;; amdgpu-corpus repo=pytorch/pytorch kind=compiled arch=gfx1100 opt=O3
	.text
	.amdgcn_target "amdgcn-amd-amdhsa--gfx1100"
	.amdhsa_code_object_version 6
	.section	.text._ZN2at6native12_GLOBAL__N_129fill_index_and_segment_kernelEP15HIP_vector_typeIiLj2EEiNS_4cuda6detail10IntDividerIjEE,"axG",@progbits,_ZN2at6native12_GLOBAL__N_129fill_index_and_segment_kernelEP15HIP_vector_typeIiLj2EEiNS_4cuda6detail10IntDividerIjEE,comdat
	.globl	_ZN2at6native12_GLOBAL__N_129fill_index_and_segment_kernelEP15HIP_vector_typeIiLj2EEiNS_4cuda6detail10IntDividerIjEE ; -- Begin function _ZN2at6native12_GLOBAL__N_129fill_index_and_segment_kernelEP15HIP_vector_typeIiLj2EEiNS_4cuda6detail10IntDividerIjEE
	.p2align	8
	.type	_ZN2at6native12_GLOBAL__N_129fill_index_and_segment_kernelEP15HIP_vector_typeIiLj2EEiNS_4cuda6detail10IntDividerIjEE,@function
_ZN2at6native12_GLOBAL__N_129fill_index_and_segment_kernelEP15HIP_vector_typeIiLj2EEiNS_4cuda6detail10IntDividerIjEE: ; @_ZN2at6native12_GLOBAL__N_129fill_index_and_segment_kernelEP15HIP_vector_typeIiLj2EEiNS_4cuda6detail10IntDividerIjEE
; %bb.0:
	s_clause 0x1
	s_load_b32 s2, s[0:1], 0x24
	s_load_b64 s[8:9], s[0:1], 0x8
	s_add_u32 s4, s0, 24
	s_addc_u32 s5, s1, 0
	s_waitcnt lgkmcnt(0)
	s_and_b32 s12, s2, 0xffff
	s_ashr_i32 s3, s8, 31
	s_mul_i32 s11, s12, s15
	s_mul_hi_u32 s10, s12, s15
	v_add_co_u32 v2, s2, s11, v0
	s_delay_alu instid0(VALU_DEP_1)
	v_add_co_ci_u32_e64 v3, null, s10, 0, s2
	s_mov_b32 s2, s8
	s_delay_alu instid0(VALU_DEP_1) | instid1(SALU_CYCLE_1)
	v_cmp_gt_i64_e32 vcc_lo, s[2:3], v[2:3]
	v_mov_b32_e32 v3, 0
	s_and_saveexec_b32 s6, vcc_lo
	s_cbranch_execz .LBB0_3
; %bb.1:
	s_load_b32 s13, s[4:5], 0x0
	s_clause 0x1
	s_load_b64 s[4:5], s[0:1], 0x0
	s_load_b64 s[6:7], s[0:1], 0x10
	v_dual_mov_b32 v1, v3 :: v_dual_add_nc_u32 v4, s11, v0
	s_mov_b32 s8, 0
	s_sub_i32 s9, 0, s9
	s_waitcnt lgkmcnt(0)
	s_mul_i32 s12, s13, s12
	s_delay_alu instid0(SALU_CYCLE_1)
	s_mov_b32 s13, s12
	.p2align	6
.LBB0_2:                                ; =>This Inner Loop Header: Depth=1
	v_mul_hi_u32 v8, s6, v4
	v_add_nc_u32_e32 v5, s11, v0
	v_add_co_u32 v0, vcc_lo, v0, s12
	v_add_co_ci_u32_e32 v3, vcc_lo, 0, v3, vcc_lo
	v_ashrrev_i64 v[6:7], 29, v[1:2]
	v_add_nc_u32_e32 v4, s12, v4
	v_add_nc_u32_e32 v9, v5, v8
	v_add_co_u32 v8, vcc_lo, s11, v0
	s_delay_alu instid0(VALU_DEP_2) | instskip(SKIP_2) | instid1(VALU_DEP_3)
	v_lshrrev_b32_e32 v10, s7, v9
	v_add_co_ci_u32_e32 v9, vcc_lo, s10, v3, vcc_lo
	v_add_co_u32 v1, vcc_lo, v1, 0
	v_mad_u64_u32 v[11:12], null, s9, v10, v[5:6]
	s_delay_alu instid0(VALU_DEP_3) | instskip(SKIP_1) | instid1(VALU_DEP_1)
	v_cmp_le_i64_e64 s1, s[2:3], v[8:9]
	v_add_co_u32 v5, s0, s4, v6
	v_add_co_ci_u32_e64 v6, s0, s5, v7, s0
	v_add_co_ci_u32_e32 v2, vcc_lo, s13, v2, vcc_lo
	s_delay_alu instid0(VALU_DEP_4)
	s_or_b32 s8, s1, s8
	global_store_b64 v[5:6], v[10:11], off
	s_and_not1_b32 exec_lo, exec_lo, s8
	s_cbranch_execnz .LBB0_2
.LBB0_3:
	s_nop 0
	s_sendmsg sendmsg(MSG_DEALLOC_VGPRS)
	s_endpgm
	.section	.rodata,"a",@progbits
	.p2align	6, 0x0
	.amdhsa_kernel _ZN2at6native12_GLOBAL__N_129fill_index_and_segment_kernelEP15HIP_vector_typeIiLj2EEiNS_4cuda6detail10IntDividerIjEE
		.amdhsa_group_segment_fixed_size 0
		.amdhsa_private_segment_fixed_size 0
		.amdhsa_kernarg_size 280
		.amdhsa_user_sgpr_count 15
		.amdhsa_user_sgpr_dispatch_ptr 0
		.amdhsa_user_sgpr_queue_ptr 0
		.amdhsa_user_sgpr_kernarg_segment_ptr 1
		.amdhsa_user_sgpr_dispatch_id 0
		.amdhsa_user_sgpr_private_segment_size 0
		.amdhsa_wavefront_size32 1
		.amdhsa_uses_dynamic_stack 0
		.amdhsa_enable_private_segment 0
		.amdhsa_system_sgpr_workgroup_id_x 1
		.amdhsa_system_sgpr_workgroup_id_y 0
		.amdhsa_system_sgpr_workgroup_id_z 0
		.amdhsa_system_sgpr_workgroup_info 0
		.amdhsa_system_vgpr_workitem_id 0
		.amdhsa_next_free_vgpr 13
		.amdhsa_next_free_sgpr 16
		.amdhsa_reserve_vcc 1
		.amdhsa_float_round_mode_32 0
		.amdhsa_float_round_mode_16_64 0
		.amdhsa_float_denorm_mode_32 3
		.amdhsa_float_denorm_mode_16_64 3
		.amdhsa_dx10_clamp 1
		.amdhsa_ieee_mode 1
		.amdhsa_fp16_overflow 0
		.amdhsa_workgroup_processor_mode 1
		.amdhsa_memory_ordered 1
		.amdhsa_forward_progress 0
		.amdhsa_shared_vgpr_count 0
		.amdhsa_exception_fp_ieee_invalid_op 0
		.amdhsa_exception_fp_denorm_src 0
		.amdhsa_exception_fp_ieee_div_zero 0
		.amdhsa_exception_fp_ieee_overflow 0
		.amdhsa_exception_fp_ieee_underflow 0
		.amdhsa_exception_fp_ieee_inexact 0
		.amdhsa_exception_int_div_zero 0
	.end_amdhsa_kernel
	.section	.text._ZN2at6native12_GLOBAL__N_129fill_index_and_segment_kernelEP15HIP_vector_typeIiLj2EEiNS_4cuda6detail10IntDividerIjEE,"axG",@progbits,_ZN2at6native12_GLOBAL__N_129fill_index_and_segment_kernelEP15HIP_vector_typeIiLj2EEiNS_4cuda6detail10IntDividerIjEE,comdat
.Lfunc_end0:
	.size	_ZN2at6native12_GLOBAL__N_129fill_index_and_segment_kernelEP15HIP_vector_typeIiLj2EEiNS_4cuda6detail10IntDividerIjEE, .Lfunc_end0-_ZN2at6native12_GLOBAL__N_129fill_index_and_segment_kernelEP15HIP_vector_typeIiLj2EEiNS_4cuda6detail10IntDividerIjEE
                                        ; -- End function
	.section	.AMDGPU.csdata,"",@progbits
; Kernel info:
; codeLenInByte = 300
; NumSgprs: 18
; NumVgprs: 13
; ScratchSize: 0
; MemoryBound: 0
; FloatMode: 240
; IeeeMode: 1
; LDSByteSize: 0 bytes/workgroup (compile time only)
; SGPRBlocks: 2
; VGPRBlocks: 1
; NumSGPRsForWavesPerEU: 18
; NumVGPRsForWavesPerEU: 13
; Occupancy: 16
; WaveLimiterHint : 0
; COMPUTE_PGM_RSRC2:SCRATCH_EN: 0
; COMPUTE_PGM_RSRC2:USER_SGPR: 15
; COMPUTE_PGM_RSRC2:TRAP_HANDLER: 0
; COMPUTE_PGM_RSRC2:TGID_X_EN: 1
; COMPUTE_PGM_RSRC2:TGID_Y_EN: 0
; COMPUTE_PGM_RSRC2:TGID_Z_EN: 0
; COMPUTE_PGM_RSRC2:TIDIG_COMP_CNT: 0
	.section	.text._ZN2at6native12_GLOBAL__N_127fill_reverse_indices_kernelEPliNS_4cuda6detail10IntDividerIjEE,"axG",@progbits,_ZN2at6native12_GLOBAL__N_127fill_reverse_indices_kernelEPliNS_4cuda6detail10IntDividerIjEE,comdat
	.globl	_ZN2at6native12_GLOBAL__N_127fill_reverse_indices_kernelEPliNS_4cuda6detail10IntDividerIjEE ; -- Begin function _ZN2at6native12_GLOBAL__N_127fill_reverse_indices_kernelEPliNS_4cuda6detail10IntDividerIjEE
	.p2align	8
	.type	_ZN2at6native12_GLOBAL__N_127fill_reverse_indices_kernelEPliNS_4cuda6detail10IntDividerIjEE,@function
_ZN2at6native12_GLOBAL__N_127fill_reverse_indices_kernelEPliNS_4cuda6detail10IntDividerIjEE: ; @_ZN2at6native12_GLOBAL__N_127fill_reverse_indices_kernelEPliNS_4cuda6detail10IntDividerIjEE
; %bb.0:
	s_clause 0x1
	s_load_b32 s2, s[0:1], 0x24
	s_load_b64 s[8:9], s[0:1], 0x8
	s_add_u32 s4, s0, 24
	s_addc_u32 s5, s1, 0
	v_mov_b32_e32 v1, 0
	s_mov_b32 s6, exec_lo
	s_waitcnt lgkmcnt(0)
	s_and_b32 s12, s2, 0xffff
	s_ashr_i32 s3, s8, 31
	s_mul_i32 s11, s12, s15
	s_mul_hi_u32 s10, s12, s15
	v_add_co_u32 v3, s2, s11, v0
	s_delay_alu instid0(VALU_DEP_1)
	v_add_co_ci_u32_e64 v4, null, s10, 0, s2
	s_mov_b32 s2, s8
	s_delay_alu instid0(VALU_DEP_1) | instid1(SALU_CYCLE_1)
	v_cmpx_gt_i64_e64 s[2:3], v[3:4]
	s_cbranch_execz .LBB1_3
; %bb.1:
	s_load_b32 s13, s[4:5], 0x0
	s_clause 0x1
	s_load_b64 s[4:5], s[0:1], 0x0
	s_load_b64 s[6:7], s[0:1], 0x10
	v_dual_mov_b32 v5, v1 :: v_dual_add_nc_u32 v6, s11, v0
	v_mov_b32_e32 v2, v1
	v_mov_b32_e32 v4, v0
	s_mov_b32 s8, 0
	s_sub_i32 s9, 0, s9
	s_waitcnt lgkmcnt(0)
	s_mul_i32 s12, s13, s12
	s_delay_alu instid0(SALU_CYCLE_1)
	s_mov_b32 s13, s12
	.p2align	6
.LBB1_2:                                ; =>This Inner Loop Header: Depth=1
	v_mul_hi_u32 v10, s6, v6
	v_add_nc_u32_e32 v0, s11, v4
	v_add_co_u32 v4, vcc_lo, v4, s12
	v_add_co_ci_u32_e32 v5, vcc_lo, 0, v5, vcc_lo
	v_ashrrev_i64 v[7:8], 29, v[2:3]
	s_delay_alu instid0(VALU_DEP_3) | instskip(SKIP_1) | instid1(VALU_DEP_4)
	v_add_co_u32 v9, s0, s11, v4
	v_add_nc_u32_e32 v11, v0, v10
	v_add_co_ci_u32_e64 v10, s0, s10, v5, s0
	v_add_co_u32 v2, vcc_lo, v2, 0
	s_delay_alu instid0(VALU_DEP_3) | instskip(NEXT) | instid1(VALU_DEP_3)
	v_lshrrev_b32_e32 v11, s7, v11
	v_cmp_le_i64_e64 s1, s[2:3], v[9:10]
	v_add_co_u32 v7, s0, s4, v7
	v_add_nc_u32_e32 v6, s12, v6
	s_delay_alu instid0(VALU_DEP_4)
	v_mad_u64_u32 v[9:10], null, s9, v11, v[0:1]
	v_mov_b32_e32 v10, v1
	v_add_co_ci_u32_e64 v8, s0, s5, v8, s0
	v_add_co_ci_u32_e32 v3, vcc_lo, s13, v3, vcc_lo
	s_or_b32 s8, s1, s8
	global_store_b64 v[7:8], v[9:10], off
	s_and_not1_b32 exec_lo, exec_lo, s8
	s_cbranch_execnz .LBB1_2
.LBB1_3:
	s_nop 0
	s_sendmsg sendmsg(MSG_DEALLOC_VGPRS)
	s_endpgm
	.section	.rodata,"a",@progbits
	.p2align	6, 0x0
	.amdhsa_kernel _ZN2at6native12_GLOBAL__N_127fill_reverse_indices_kernelEPliNS_4cuda6detail10IntDividerIjEE
		.amdhsa_group_segment_fixed_size 0
		.amdhsa_private_segment_fixed_size 0
		.amdhsa_kernarg_size 280
		.amdhsa_user_sgpr_count 15
		.amdhsa_user_sgpr_dispatch_ptr 0
		.amdhsa_user_sgpr_queue_ptr 0
		.amdhsa_user_sgpr_kernarg_segment_ptr 1
		.amdhsa_user_sgpr_dispatch_id 0
		.amdhsa_user_sgpr_private_segment_size 0
		.amdhsa_wavefront_size32 1
		.amdhsa_uses_dynamic_stack 0
		.amdhsa_enable_private_segment 0
		.amdhsa_system_sgpr_workgroup_id_x 1
		.amdhsa_system_sgpr_workgroup_id_y 0
		.amdhsa_system_sgpr_workgroup_id_z 0
		.amdhsa_system_sgpr_workgroup_info 0
		.amdhsa_system_vgpr_workitem_id 0
		.amdhsa_next_free_vgpr 12
		.amdhsa_next_free_sgpr 16
		.amdhsa_reserve_vcc 1
		.amdhsa_float_round_mode_32 0
		.amdhsa_float_round_mode_16_64 0
		.amdhsa_float_denorm_mode_32 3
		.amdhsa_float_denorm_mode_16_64 3
		.amdhsa_dx10_clamp 1
		.amdhsa_ieee_mode 1
		.amdhsa_fp16_overflow 0
		.amdhsa_workgroup_processor_mode 1
		.amdhsa_memory_ordered 1
		.amdhsa_forward_progress 0
		.amdhsa_shared_vgpr_count 0
		.amdhsa_exception_fp_ieee_invalid_op 0
		.amdhsa_exception_fp_denorm_src 0
		.amdhsa_exception_fp_ieee_div_zero 0
		.amdhsa_exception_fp_ieee_overflow 0
		.amdhsa_exception_fp_ieee_underflow 0
		.amdhsa_exception_fp_ieee_inexact 0
		.amdhsa_exception_int_div_zero 0
	.end_amdhsa_kernel
	.section	.text._ZN2at6native12_GLOBAL__N_127fill_reverse_indices_kernelEPliNS_4cuda6detail10IntDividerIjEE,"axG",@progbits,_ZN2at6native12_GLOBAL__N_127fill_reverse_indices_kernelEPliNS_4cuda6detail10IntDividerIjEE,comdat
.Lfunc_end1:
	.size	_ZN2at6native12_GLOBAL__N_127fill_reverse_indices_kernelEPliNS_4cuda6detail10IntDividerIjEE, .Lfunc_end1-_ZN2at6native12_GLOBAL__N_127fill_reverse_indices_kernelEPliNS_4cuda6detail10IntDividerIjEE
                                        ; -- End function
	.section	.AMDGPU.csdata,"",@progbits
; Kernel info:
; codeLenInByte = 320
; NumSgprs: 18
; NumVgprs: 12
; ScratchSize: 0
; MemoryBound: 0
; FloatMode: 240
; IeeeMode: 1
; LDSByteSize: 0 bytes/workgroup (compile time only)
; SGPRBlocks: 2
; VGPRBlocks: 1
; NumSGPRsForWavesPerEU: 18
; NumVGPRsForWavesPerEU: 12
; Occupancy: 16
; WaveLimiterHint : 0
; COMPUTE_PGM_RSRC2:SCRATCH_EN: 0
; COMPUTE_PGM_RSRC2:USER_SGPR: 15
; COMPUTE_PGM_RSRC2:TRAP_HANDLER: 0
; COMPUTE_PGM_RSRC2:TGID_X_EN: 1
; COMPUTE_PGM_RSRC2:TGID_Y_EN: 0
; COMPUTE_PGM_RSRC2:TGID_Z_EN: 0
; COMPUTE_PGM_RSRC2:TIDIG_COMP_CNT: 0
	.section	.text._ZN2at6native12_GLOBAL__N_123sort_postprocess_kernelIhEEvPKT_PS3_PlPK15HIP_vector_typeIiLj2EEii,"axG",@progbits,_ZN2at6native12_GLOBAL__N_123sort_postprocess_kernelIhEEvPKT_PS3_PlPK15HIP_vector_typeIiLj2EEii,comdat
	.globl	_ZN2at6native12_GLOBAL__N_123sort_postprocess_kernelIhEEvPKT_PS3_PlPK15HIP_vector_typeIiLj2EEii ; -- Begin function _ZN2at6native12_GLOBAL__N_123sort_postprocess_kernelIhEEvPKT_PS3_PlPK15HIP_vector_typeIiLj2EEii
	.p2align	8
	.type	_ZN2at6native12_GLOBAL__N_123sort_postprocess_kernelIhEEvPKT_PS3_PlPK15HIP_vector_typeIiLj2EEii,@function
_ZN2at6native12_GLOBAL__N_123sort_postprocess_kernelIhEEvPKT_PS3_PlPK15HIP_vector_typeIiLj2EEii: ; @_ZN2at6native12_GLOBAL__N_123sort_postprocess_kernelIhEEvPKT_PS3_PlPK15HIP_vector_typeIiLj2EEii
; %bb.0:
	s_clause 0x1
	s_load_b32 s2, s[0:1], 0x34
	s_load_b64 s[6:7], s[0:1], 0x20
	v_mov_b32_e32 v1, 0
	s_add_u32 s4, s0, 40
	s_addc_u32 s5, s1, 0
	s_waitcnt lgkmcnt(0)
	s_and_b32 s13, s2, 0xffff
	s_mul_i32 s2, s7, s6
	v_mad_u64_u32 v[2:3], null, s13, s15, v[0:1]
	s_ashr_i32 s3, s2, 31
	s_mov_b32 s6, exec_lo
	s_delay_alu instid0(VALU_DEP_1)
	v_cmpx_gt_i64_e64 s[2:3], v[2:3]
	s_cbranch_execz .LBB2_3
; %bb.1:
	s_abs_i32 s12, s7
	s_load_b32 s14, s[4:5], 0x0
	v_cvt_f32_u32_e32 v0, s12
	s_sub_i32 s4, 0, s12
	s_delay_alu instid0(VALU_DEP_1) | instskip(SKIP_2) | instid1(VALU_DEP_1)
	v_rcp_iflag_f32_e32 v0, v0
	s_waitcnt_depctr 0xfff
	v_mul_f32_e32 v0, 0x4f7ffffe, v0
	v_cvt_u32_f32_e32 v0, v0
	s_delay_alu instid0(VALU_DEP_1) | instskip(SKIP_4) | instid1(VALU_DEP_1)
	v_mul_lo_u32 v1, s4, v0
	s_load_b256 s[4:11], s[0:1], 0x0
	s_waitcnt lgkmcnt(0)
	s_mul_i32 s1, s14, s13
	s_mov_b32 s13, 0
	v_mul_hi_u32 v1, v0, v1
	s_delay_alu instid0(VALU_DEP_1)
	v_add_nc_u32_e32 v0, v0, v1
.LBB2_2:                                ; =>This Inner Loop Header: Depth=1
	v_sub_nc_u32_e32 v1, 0, v2
	v_ashrrev_i32_e32 v5, 31, v2
	s_delay_alu instid0(VALU_DEP_2) | instskip(NEXT) | instid1(VALU_DEP_1)
	v_max_i32_e32 v1, v2, v1
	v_mul_hi_u32 v4, v1, v0
	s_delay_alu instid0(VALU_DEP_1) | instskip(NEXT) | instid1(VALU_DEP_1)
	v_mul_lo_u32 v4, v4, s12
	v_sub_nc_u32_e32 v1, v1, v4
	s_delay_alu instid0(VALU_DEP_1) | instskip(SKIP_1) | instid1(VALU_DEP_2)
	v_subrev_nc_u32_e32 v4, s12, v1
	v_cmp_le_u32_e32 vcc_lo, s12, v1
	v_cndmask_b32_e32 v1, v1, v4, vcc_lo
	s_delay_alu instid0(VALU_DEP_1) | instskip(SKIP_1) | instid1(VALU_DEP_2)
	v_subrev_nc_u32_e32 v4, s12, v1
	v_cmp_le_u32_e32 vcc_lo, s12, v1
	v_dual_cndmask_b32 v1, v1, v4 :: v_dual_add_nc_u32 v4, v2, v5
	s_delay_alu instid0(VALU_DEP_1) | instskip(NEXT) | instid1(VALU_DEP_1)
	v_xor_b32_e32 v1, v1, v5
	v_sub_nc_u32_e32 v4, v4, v1
	v_sub_nc_u32_e32 v6, v1, v5
	s_delay_alu instid0(VALU_DEP_2) | instskip(NEXT) | instid1(VALU_DEP_2)
	v_ashrrev_i32_e32 v5, 31, v4
	v_ashrrev_i32_e32 v7, 31, v6
	s_delay_alu instid0(VALU_DEP_2) | instskip(NEXT) | instid1(VALU_DEP_2)
	v_lshlrev_b64 v[8:9], 3, v[4:5]
	v_lshlrev_b64 v[10:11], 3, v[6:7]
	s_delay_alu instid0(VALU_DEP_2) | instskip(NEXT) | instid1(VALU_DEP_3)
	v_add_co_u32 v1, vcc_lo, s10, v8
	v_add_co_ci_u32_e32 v13, vcc_lo, s11, v9, vcc_lo
	s_delay_alu instid0(VALU_DEP_2) | instskip(NEXT) | instid1(VALU_DEP_2)
	v_add_co_u32 v12, vcc_lo, v1, v10
	v_add_co_ci_u32_e32 v13, vcc_lo, v13, v11, vcc_lo
	v_add_co_u32 v1, vcc_lo, s4, v4
	v_add_co_ci_u32_e32 v14, vcc_lo, s5, v5, vcc_lo
	global_load_b32 v12, v[12:13], off offset:4
	v_add_co_u32 v8, vcc_lo, s8, v8
	v_add_co_ci_u32_e32 v9, vcc_lo, s9, v9, vcc_lo
	s_delay_alu instid0(VALU_DEP_2) | instskip(NEXT) | instid1(VALU_DEP_2)
	v_add_co_u32 v8, vcc_lo, v8, v10
	v_add_co_ci_u32_e32 v9, vcc_lo, v9, v11, vcc_lo
	s_waitcnt vmcnt(0)
	v_ashrrev_i32_e32 v13, 31, v12
	v_add_co_u32 v10, vcc_lo, v1, v12
	s_delay_alu instid0(VALU_DEP_2)
	v_add_co_ci_u32_e32 v11, vcc_lo, v14, v13, vcc_lo
	global_store_b64 v[8:9], v[12:13], off
	v_add_co_u32 v2, vcc_lo, v2, s1
	global_load_u8 v1, v[10:11], off
	v_add_co_ci_u32_e32 v3, vcc_lo, 0, v3, vcc_lo
	v_add_co_u32 v4, vcc_lo, s6, v4
	v_add_co_ci_u32_e32 v5, vcc_lo, s7, v5, vcc_lo
	s_delay_alu instid0(VALU_DEP_3) | instskip(NEXT) | instid1(VALU_DEP_3)
	v_cmp_le_i64_e32 vcc_lo, s[2:3], v[2:3]
	v_add_co_u32 v4, s0, v4, v6
	s_delay_alu instid0(VALU_DEP_1)
	v_add_co_ci_u32_e64 v5, s0, v5, v7, s0
	s_or_b32 s13, vcc_lo, s13
	s_waitcnt vmcnt(0)
	global_store_b8 v[4:5], v1, off
	s_and_not1_b32 exec_lo, exec_lo, s13
	s_cbranch_execnz .LBB2_2
.LBB2_3:
	s_nop 0
	s_sendmsg sendmsg(MSG_DEALLOC_VGPRS)
	s_endpgm
	.section	.rodata,"a",@progbits
	.p2align	6, 0x0
	.amdhsa_kernel _ZN2at6native12_GLOBAL__N_123sort_postprocess_kernelIhEEvPKT_PS3_PlPK15HIP_vector_typeIiLj2EEii
		.amdhsa_group_segment_fixed_size 0
		.amdhsa_private_segment_fixed_size 0
		.amdhsa_kernarg_size 296
		.amdhsa_user_sgpr_count 15
		.amdhsa_user_sgpr_dispatch_ptr 0
		.amdhsa_user_sgpr_queue_ptr 0
		.amdhsa_user_sgpr_kernarg_segment_ptr 1
		.amdhsa_user_sgpr_dispatch_id 0
		.amdhsa_user_sgpr_private_segment_size 0
		.amdhsa_wavefront_size32 1
		.amdhsa_uses_dynamic_stack 0
		.amdhsa_enable_private_segment 0
		.amdhsa_system_sgpr_workgroup_id_x 1
		.amdhsa_system_sgpr_workgroup_id_y 0
		.amdhsa_system_sgpr_workgroup_id_z 0
		.amdhsa_system_sgpr_workgroup_info 0
		.amdhsa_system_vgpr_workitem_id 0
		.amdhsa_next_free_vgpr 15
		.amdhsa_next_free_sgpr 16
		.amdhsa_reserve_vcc 1
		.amdhsa_float_round_mode_32 0
		.amdhsa_float_round_mode_16_64 0
		.amdhsa_float_denorm_mode_32 3
		.amdhsa_float_denorm_mode_16_64 3
		.amdhsa_dx10_clamp 1
		.amdhsa_ieee_mode 1
		.amdhsa_fp16_overflow 0
		.amdhsa_workgroup_processor_mode 1
		.amdhsa_memory_ordered 1
		.amdhsa_forward_progress 0
		.amdhsa_shared_vgpr_count 0
		.amdhsa_exception_fp_ieee_invalid_op 0
		.amdhsa_exception_fp_denorm_src 0
		.amdhsa_exception_fp_ieee_div_zero 0
		.amdhsa_exception_fp_ieee_overflow 0
		.amdhsa_exception_fp_ieee_underflow 0
		.amdhsa_exception_fp_ieee_inexact 0
		.amdhsa_exception_int_div_zero 0
	.end_amdhsa_kernel
	.section	.text._ZN2at6native12_GLOBAL__N_123sort_postprocess_kernelIhEEvPKT_PS3_PlPK15HIP_vector_typeIiLj2EEii,"axG",@progbits,_ZN2at6native12_GLOBAL__N_123sort_postprocess_kernelIhEEvPKT_PS3_PlPK15HIP_vector_typeIiLj2EEii,comdat
.Lfunc_end2:
	.size	_ZN2at6native12_GLOBAL__N_123sort_postprocess_kernelIhEEvPKT_PS3_PlPK15HIP_vector_typeIiLj2EEii, .Lfunc_end2-_ZN2at6native12_GLOBAL__N_123sort_postprocess_kernelIhEEvPKT_PS3_PlPK15HIP_vector_typeIiLj2EEii
                                        ; -- End function
	.section	.AMDGPU.csdata,"",@progbits
; Kernel info:
; codeLenInByte = 504
; NumSgprs: 18
; NumVgprs: 15
; ScratchSize: 0
; MemoryBound: 0
; FloatMode: 240
; IeeeMode: 1
; LDSByteSize: 0 bytes/workgroup (compile time only)
; SGPRBlocks: 2
; VGPRBlocks: 1
; NumSGPRsForWavesPerEU: 18
; NumVGPRsForWavesPerEU: 15
; Occupancy: 16
; WaveLimiterHint : 1
; COMPUTE_PGM_RSRC2:SCRATCH_EN: 0
; COMPUTE_PGM_RSRC2:USER_SGPR: 15
; COMPUTE_PGM_RSRC2:TRAP_HANDLER: 0
; COMPUTE_PGM_RSRC2:TGID_X_EN: 1
; COMPUTE_PGM_RSRC2:TGID_Y_EN: 0
; COMPUTE_PGM_RSRC2:TGID_Z_EN: 0
; COMPUTE_PGM_RSRC2:TIDIG_COMP_CNT: 0
	.section	.text._ZN7rocprim17ROCPRIM_400000_NS6detail31init_lookback_scan_state_kernelINS1_19lookback_scan_stateI15HIP_vector_typeIjLj2EELb0ELb1EEENS1_16block_id_wrapperIjLb0EEEEEvT_jT0_jPNS9_10value_typeE,"axG",@progbits,_ZN7rocprim17ROCPRIM_400000_NS6detail31init_lookback_scan_state_kernelINS1_19lookback_scan_stateI15HIP_vector_typeIjLj2EELb0ELb1EEENS1_16block_id_wrapperIjLb0EEEEEvT_jT0_jPNS9_10value_typeE,comdat
	.protected	_ZN7rocprim17ROCPRIM_400000_NS6detail31init_lookback_scan_state_kernelINS1_19lookback_scan_stateI15HIP_vector_typeIjLj2EELb0ELb1EEENS1_16block_id_wrapperIjLb0EEEEEvT_jT0_jPNS9_10value_typeE ; -- Begin function _ZN7rocprim17ROCPRIM_400000_NS6detail31init_lookback_scan_state_kernelINS1_19lookback_scan_stateI15HIP_vector_typeIjLj2EELb0ELb1EEENS1_16block_id_wrapperIjLb0EEEEEvT_jT0_jPNS9_10value_typeE
	.globl	_ZN7rocprim17ROCPRIM_400000_NS6detail31init_lookback_scan_state_kernelINS1_19lookback_scan_stateI15HIP_vector_typeIjLj2EELb0ELb1EEENS1_16block_id_wrapperIjLb0EEEEEvT_jT0_jPNS9_10value_typeE
	.p2align	8
	.type	_ZN7rocprim17ROCPRIM_400000_NS6detail31init_lookback_scan_state_kernelINS1_19lookback_scan_stateI15HIP_vector_typeIjLj2EELb0ELb1EEENS1_16block_id_wrapperIjLb0EEEEEvT_jT0_jPNS9_10value_typeE,@function
_ZN7rocprim17ROCPRIM_400000_NS6detail31init_lookback_scan_state_kernelINS1_19lookback_scan_stateI15HIP_vector_typeIjLj2EELb0ELb1EEENS1_16block_id_wrapperIjLb0EEEEEvT_jT0_jPNS9_10value_typeE: ; @_ZN7rocprim17ROCPRIM_400000_NS6detail31init_lookback_scan_state_kernelINS1_19lookback_scan_stateI15HIP_vector_typeIjLj2EELb0ELb1EEENS1_16block_id_wrapperIjLb0EEEEEvT_jT0_jPNS9_10value_typeE
; %bb.0:
	s_clause 0x3
	s_load_b32 s7, s[0:1], 0x2c
	s_load_b64 s[4:5], s[0:1], 0x18
	s_load_b64 s[2:3], s[0:1], 0x0
	s_load_b32 s6, s[0:1], 0x8
	s_waitcnt lgkmcnt(0)
	s_and_b32 s7, s7, 0xffff
	s_cmp_eq_u64 s[4:5], 0
	v_mad_u64_u32 v[1:2], null, s15, s7, v[0:1]
	s_cbranch_scc1 .LBB3_8
; %bb.1:
	s_load_b32 s0, s[0:1], 0x10
	s_waitcnt lgkmcnt(0)
	s_cmp_lt_u32 s0, s6
	s_cselect_b32 s1, s0, 0
	s_delay_alu instid0(VALU_DEP_1) | instid1(SALU_CYCLE_1)
	v_cmp_eq_u32_e32 vcc_lo, s1, v1
	s_mov_b32 s1, 0
	s_and_saveexec_b32 s7, vcc_lo
	s_cbranch_execz .LBB3_7
; %bb.2:
	s_add_i32 s0, s0, 32
	s_mov_b32 s8, exec_lo
	s_lshl_b64 s[0:1], s[0:1], 4
	v_mov_b32_e32 v6, 0
	s_add_u32 s0, s2, s0
	s_addc_u32 s1, s3, s1
	s_delay_alu instid0(SALU_CYCLE_1) | instskip(SKIP_2) | instid1(VALU_DEP_1)
	v_dual_mov_b32 v3, s1 :: v_dual_mov_b32 v2, s0
	;;#ASMSTART
	global_load_dwordx4 v[2:5], v[2:3] off glc	
s_waitcnt vmcnt(0)
	;;#ASMEND
	v_and_b32_e32 v5, 0xff, v4
	v_cmpx_eq_u64_e32 0, v[5:6]
	s_cbranch_execz .LBB3_6
; %bb.3:
	v_dual_mov_b32 v8, s1 :: v_dual_mov_b32 v7, s0
	s_mov_b32 s0, 0
.LBB3_4:                                ; =>This Inner Loop Header: Depth=1
	;;#ASMSTART
	global_load_dwordx4 v[2:5], v[7:8] off glc	
s_waitcnt vmcnt(0)
	;;#ASMEND
	v_and_b32_e32 v5, 0xff, v4
	s_delay_alu instid0(VALU_DEP_1) | instskip(SKIP_1) | instid1(SALU_CYCLE_1)
	v_cmp_ne_u64_e32 vcc_lo, 0, v[5:6]
	s_or_b32 s0, vcc_lo, s0
	s_and_not1_b32 exec_lo, exec_lo, s0
	s_cbranch_execnz .LBB3_4
; %bb.5:
	s_or_b32 exec_lo, exec_lo, s0
.LBB3_6:
	s_delay_alu instid0(SALU_CYCLE_1)
	s_or_b32 exec_lo, exec_lo, s8
	v_mov_b32_e32 v0, 0
	global_store_b64 v0, v[2:3], s[4:5]
.LBB3_7:
	s_or_b32 exec_lo, exec_lo, s7
.LBB3_8:
	s_delay_alu instid0(SALU_CYCLE_1) | instskip(NEXT) | instid1(VALU_DEP_1)
	s_mov_b32 s0, exec_lo
	v_cmpx_gt_u32_e64 s6, v1
	s_cbranch_execz .LBB3_10
; %bb.9:
	v_dual_mov_b32 v3, 0 :: v_dual_add_nc_u32 v2, 32, v1
	s_delay_alu instid0(VALU_DEP_1) | instskip(SKIP_2) | instid1(VALU_DEP_3)
	v_lshlrev_b64 v[5:6], 4, v[2:3]
	v_mov_b32_e32 v2, v3
	v_mov_b32_e32 v4, v3
	v_add_co_u32 v7, vcc_lo, s2, v5
	s_delay_alu instid0(VALU_DEP_4)
	v_add_co_ci_u32_e32 v8, vcc_lo, s3, v6, vcc_lo
	v_mov_b32_e32 v5, v3
	global_store_b128 v[7:8], v[2:5], off
.LBB3_10:
	s_or_b32 exec_lo, exec_lo, s0
	s_delay_alu instid0(SALU_CYCLE_1)
	s_mov_b32 s0, exec_lo
	v_cmpx_gt_u32_e32 32, v1
	s_cbranch_execz .LBB3_12
; %bb.11:
	v_dual_mov_b32 v2, 0 :: v_dual_mov_b32 v3, 0xff
	s_delay_alu instid0(VALU_DEP_1) | instskip(SKIP_1) | instid1(VALU_DEP_2)
	v_lshlrev_b64 v[4:5], 4, v[1:2]
	v_mov_b32_e32 v1, v2
	v_add_co_u32 v6, vcc_lo, s2, v4
	s_delay_alu instid0(VALU_DEP_3)
	v_add_co_ci_u32_e32 v7, vcc_lo, s3, v5, vcc_lo
	v_mov_b32_e32 v4, v2
	global_store_b128 v[6:7], v[1:4], off
.LBB3_12:
	s_nop 0
	s_sendmsg sendmsg(MSG_DEALLOC_VGPRS)
	s_endpgm
	.section	.rodata,"a",@progbits
	.p2align	6, 0x0
	.amdhsa_kernel _ZN7rocprim17ROCPRIM_400000_NS6detail31init_lookback_scan_state_kernelINS1_19lookback_scan_stateI15HIP_vector_typeIjLj2EELb0ELb1EEENS1_16block_id_wrapperIjLb0EEEEEvT_jT0_jPNS9_10value_typeE
		.amdhsa_group_segment_fixed_size 0
		.amdhsa_private_segment_fixed_size 0
		.amdhsa_kernarg_size 288
		.amdhsa_user_sgpr_count 15
		.amdhsa_user_sgpr_dispatch_ptr 0
		.amdhsa_user_sgpr_queue_ptr 0
		.amdhsa_user_sgpr_kernarg_segment_ptr 1
		.amdhsa_user_sgpr_dispatch_id 0
		.amdhsa_user_sgpr_private_segment_size 0
		.amdhsa_wavefront_size32 1
		.amdhsa_uses_dynamic_stack 0
		.amdhsa_enable_private_segment 0
		.amdhsa_system_sgpr_workgroup_id_x 1
		.amdhsa_system_sgpr_workgroup_id_y 0
		.amdhsa_system_sgpr_workgroup_id_z 0
		.amdhsa_system_sgpr_workgroup_info 0
		.amdhsa_system_vgpr_workitem_id 0
		.amdhsa_next_free_vgpr 9
		.amdhsa_next_free_sgpr 16
		.amdhsa_reserve_vcc 1
		.amdhsa_float_round_mode_32 0
		.amdhsa_float_round_mode_16_64 0
		.amdhsa_float_denorm_mode_32 3
		.amdhsa_float_denorm_mode_16_64 3
		.amdhsa_dx10_clamp 1
		.amdhsa_ieee_mode 1
		.amdhsa_fp16_overflow 0
		.amdhsa_workgroup_processor_mode 1
		.amdhsa_memory_ordered 1
		.amdhsa_forward_progress 0
		.amdhsa_shared_vgpr_count 0
		.amdhsa_exception_fp_ieee_invalid_op 0
		.amdhsa_exception_fp_denorm_src 0
		.amdhsa_exception_fp_ieee_div_zero 0
		.amdhsa_exception_fp_ieee_overflow 0
		.amdhsa_exception_fp_ieee_underflow 0
		.amdhsa_exception_fp_ieee_inexact 0
		.amdhsa_exception_int_div_zero 0
	.end_amdhsa_kernel
	.section	.text._ZN7rocprim17ROCPRIM_400000_NS6detail31init_lookback_scan_state_kernelINS1_19lookback_scan_stateI15HIP_vector_typeIjLj2EELb0ELb1EEENS1_16block_id_wrapperIjLb0EEEEEvT_jT0_jPNS9_10value_typeE,"axG",@progbits,_ZN7rocprim17ROCPRIM_400000_NS6detail31init_lookback_scan_state_kernelINS1_19lookback_scan_stateI15HIP_vector_typeIjLj2EELb0ELb1EEENS1_16block_id_wrapperIjLb0EEEEEvT_jT0_jPNS9_10value_typeE,comdat
.Lfunc_end3:
	.size	_ZN7rocprim17ROCPRIM_400000_NS6detail31init_lookback_scan_state_kernelINS1_19lookback_scan_stateI15HIP_vector_typeIjLj2EELb0ELb1EEENS1_16block_id_wrapperIjLb0EEEEEvT_jT0_jPNS9_10value_typeE, .Lfunc_end3-_ZN7rocprim17ROCPRIM_400000_NS6detail31init_lookback_scan_state_kernelINS1_19lookback_scan_stateI15HIP_vector_typeIjLj2EELb0ELb1EEENS1_16block_id_wrapperIjLb0EEEEEvT_jT0_jPNS9_10value_typeE
                                        ; -- End function
	.section	.AMDGPU.csdata,"",@progbits
; Kernel info:
; codeLenInByte = 468
; NumSgprs: 18
; NumVgprs: 9
; ScratchSize: 0
; MemoryBound: 0
; FloatMode: 240
; IeeeMode: 1
; LDSByteSize: 0 bytes/workgroup (compile time only)
; SGPRBlocks: 2
; VGPRBlocks: 1
; NumSGPRsForWavesPerEU: 18
; NumVGPRsForWavesPerEU: 9
; Occupancy: 16
; WaveLimiterHint : 0
; COMPUTE_PGM_RSRC2:SCRATCH_EN: 0
; COMPUTE_PGM_RSRC2:USER_SGPR: 15
; COMPUTE_PGM_RSRC2:TRAP_HANDLER: 0
; COMPUTE_PGM_RSRC2:TGID_X_EN: 1
; COMPUTE_PGM_RSRC2:TGID_Y_EN: 0
; COMPUTE_PGM_RSRC2:TGID_Z_EN: 0
; COMPUTE_PGM_RSRC2:TIDIG_COMP_CNT: 0
	.section	.text._ZN7rocprim17ROCPRIM_400000_NS6detail17trampoline_kernelINS0_13select_configILj256ELj13ELNS0_17block_load_methodE3ELS4_3ELS4_3ELNS0_20block_scan_algorithmE0ELj4294967295EEENS1_25partition_config_selectorILNS1_17partition_subalgoE4EjNS0_10empty_typeEbEEZZNS1_14partition_implILS8_4ELb0ES6_15HIP_vector_typeIjLj2EENS0_17counting_iteratorIjlEEPS9_SG_NS0_5tupleIJPjSI_NS0_16reverse_iteratorISI_EEEEENSH_IJSG_SG_SG_EEES9_SI_JZNS1_25segmented_radix_sort_implINS0_14default_configELb1EPKhPhPKlPlN2at6native12_GLOBAL__N_18offset_tEEE10hipError_tPvRmT1_PNSt15iterator_traitsIS12_E10value_typeET2_T3_PNS13_IS18_E10value_typeET4_jRbjT5_S1E_jjP12ihipStream_tbEUljE_ZNSN_ISO_Lb1ESQ_SR_ST_SU_SY_EESZ_S10_S11_S12_S16_S17_S18_S1B_S1C_jS1D_jS1E_S1E_jjS1G_bEUljE0_EEESZ_S10_S11_S18_S1C_S1E_T6_T7_T9_mT8_S1G_bDpT10_ENKUlT_T0_E_clISt17integral_constantIbLb0EES1U_EEDaS1P_S1Q_EUlS1P_E_NS1_11comp_targetILNS1_3genE0ELNS1_11target_archE4294967295ELNS1_3gpuE0ELNS1_3repE0EEENS1_30default_config_static_selectorELNS0_4arch9wavefront6targetE0EEEvS12_,"axG",@progbits,_ZN7rocprim17ROCPRIM_400000_NS6detail17trampoline_kernelINS0_13select_configILj256ELj13ELNS0_17block_load_methodE3ELS4_3ELS4_3ELNS0_20block_scan_algorithmE0ELj4294967295EEENS1_25partition_config_selectorILNS1_17partition_subalgoE4EjNS0_10empty_typeEbEEZZNS1_14partition_implILS8_4ELb0ES6_15HIP_vector_typeIjLj2EENS0_17counting_iteratorIjlEEPS9_SG_NS0_5tupleIJPjSI_NS0_16reverse_iteratorISI_EEEEENSH_IJSG_SG_SG_EEES9_SI_JZNS1_25segmented_radix_sort_implINS0_14default_configELb1EPKhPhPKlPlN2at6native12_GLOBAL__N_18offset_tEEE10hipError_tPvRmT1_PNSt15iterator_traitsIS12_E10value_typeET2_T3_PNS13_IS18_E10value_typeET4_jRbjT5_S1E_jjP12ihipStream_tbEUljE_ZNSN_ISO_Lb1ESQ_SR_ST_SU_SY_EESZ_S10_S11_S12_S16_S17_S18_S1B_S1C_jS1D_jS1E_S1E_jjS1G_bEUljE0_EEESZ_S10_S11_S18_S1C_S1E_T6_T7_T9_mT8_S1G_bDpT10_ENKUlT_T0_E_clISt17integral_constantIbLb0EES1U_EEDaS1P_S1Q_EUlS1P_E_NS1_11comp_targetILNS1_3genE0ELNS1_11target_archE4294967295ELNS1_3gpuE0ELNS1_3repE0EEENS1_30default_config_static_selectorELNS0_4arch9wavefront6targetE0EEEvS12_,comdat
	.globl	_ZN7rocprim17ROCPRIM_400000_NS6detail17trampoline_kernelINS0_13select_configILj256ELj13ELNS0_17block_load_methodE3ELS4_3ELS4_3ELNS0_20block_scan_algorithmE0ELj4294967295EEENS1_25partition_config_selectorILNS1_17partition_subalgoE4EjNS0_10empty_typeEbEEZZNS1_14partition_implILS8_4ELb0ES6_15HIP_vector_typeIjLj2EENS0_17counting_iteratorIjlEEPS9_SG_NS0_5tupleIJPjSI_NS0_16reverse_iteratorISI_EEEEENSH_IJSG_SG_SG_EEES9_SI_JZNS1_25segmented_radix_sort_implINS0_14default_configELb1EPKhPhPKlPlN2at6native12_GLOBAL__N_18offset_tEEE10hipError_tPvRmT1_PNSt15iterator_traitsIS12_E10value_typeET2_T3_PNS13_IS18_E10value_typeET4_jRbjT5_S1E_jjP12ihipStream_tbEUljE_ZNSN_ISO_Lb1ESQ_SR_ST_SU_SY_EESZ_S10_S11_S12_S16_S17_S18_S1B_S1C_jS1D_jS1E_S1E_jjS1G_bEUljE0_EEESZ_S10_S11_S18_S1C_S1E_T6_T7_T9_mT8_S1G_bDpT10_ENKUlT_T0_E_clISt17integral_constantIbLb0EES1U_EEDaS1P_S1Q_EUlS1P_E_NS1_11comp_targetILNS1_3genE0ELNS1_11target_archE4294967295ELNS1_3gpuE0ELNS1_3repE0EEENS1_30default_config_static_selectorELNS0_4arch9wavefront6targetE0EEEvS12_ ; -- Begin function _ZN7rocprim17ROCPRIM_400000_NS6detail17trampoline_kernelINS0_13select_configILj256ELj13ELNS0_17block_load_methodE3ELS4_3ELS4_3ELNS0_20block_scan_algorithmE0ELj4294967295EEENS1_25partition_config_selectorILNS1_17partition_subalgoE4EjNS0_10empty_typeEbEEZZNS1_14partition_implILS8_4ELb0ES6_15HIP_vector_typeIjLj2EENS0_17counting_iteratorIjlEEPS9_SG_NS0_5tupleIJPjSI_NS0_16reverse_iteratorISI_EEEEENSH_IJSG_SG_SG_EEES9_SI_JZNS1_25segmented_radix_sort_implINS0_14default_configELb1EPKhPhPKlPlN2at6native12_GLOBAL__N_18offset_tEEE10hipError_tPvRmT1_PNSt15iterator_traitsIS12_E10value_typeET2_T3_PNS13_IS18_E10value_typeET4_jRbjT5_S1E_jjP12ihipStream_tbEUljE_ZNSN_ISO_Lb1ESQ_SR_ST_SU_SY_EESZ_S10_S11_S12_S16_S17_S18_S1B_S1C_jS1D_jS1E_S1E_jjS1G_bEUljE0_EEESZ_S10_S11_S18_S1C_S1E_T6_T7_T9_mT8_S1G_bDpT10_ENKUlT_T0_E_clISt17integral_constantIbLb0EES1U_EEDaS1P_S1Q_EUlS1P_E_NS1_11comp_targetILNS1_3genE0ELNS1_11target_archE4294967295ELNS1_3gpuE0ELNS1_3repE0EEENS1_30default_config_static_selectorELNS0_4arch9wavefront6targetE0EEEvS12_
	.p2align	8
	.type	_ZN7rocprim17ROCPRIM_400000_NS6detail17trampoline_kernelINS0_13select_configILj256ELj13ELNS0_17block_load_methodE3ELS4_3ELS4_3ELNS0_20block_scan_algorithmE0ELj4294967295EEENS1_25partition_config_selectorILNS1_17partition_subalgoE4EjNS0_10empty_typeEbEEZZNS1_14partition_implILS8_4ELb0ES6_15HIP_vector_typeIjLj2EENS0_17counting_iteratorIjlEEPS9_SG_NS0_5tupleIJPjSI_NS0_16reverse_iteratorISI_EEEEENSH_IJSG_SG_SG_EEES9_SI_JZNS1_25segmented_radix_sort_implINS0_14default_configELb1EPKhPhPKlPlN2at6native12_GLOBAL__N_18offset_tEEE10hipError_tPvRmT1_PNSt15iterator_traitsIS12_E10value_typeET2_T3_PNS13_IS18_E10value_typeET4_jRbjT5_S1E_jjP12ihipStream_tbEUljE_ZNSN_ISO_Lb1ESQ_SR_ST_SU_SY_EESZ_S10_S11_S12_S16_S17_S18_S1B_S1C_jS1D_jS1E_S1E_jjS1G_bEUljE0_EEESZ_S10_S11_S18_S1C_S1E_T6_T7_T9_mT8_S1G_bDpT10_ENKUlT_T0_E_clISt17integral_constantIbLb0EES1U_EEDaS1P_S1Q_EUlS1P_E_NS1_11comp_targetILNS1_3genE0ELNS1_11target_archE4294967295ELNS1_3gpuE0ELNS1_3repE0EEENS1_30default_config_static_selectorELNS0_4arch9wavefront6targetE0EEEvS12_,@function
_ZN7rocprim17ROCPRIM_400000_NS6detail17trampoline_kernelINS0_13select_configILj256ELj13ELNS0_17block_load_methodE3ELS4_3ELS4_3ELNS0_20block_scan_algorithmE0ELj4294967295EEENS1_25partition_config_selectorILNS1_17partition_subalgoE4EjNS0_10empty_typeEbEEZZNS1_14partition_implILS8_4ELb0ES6_15HIP_vector_typeIjLj2EENS0_17counting_iteratorIjlEEPS9_SG_NS0_5tupleIJPjSI_NS0_16reverse_iteratorISI_EEEEENSH_IJSG_SG_SG_EEES9_SI_JZNS1_25segmented_radix_sort_implINS0_14default_configELb1EPKhPhPKlPlN2at6native12_GLOBAL__N_18offset_tEEE10hipError_tPvRmT1_PNSt15iterator_traitsIS12_E10value_typeET2_T3_PNS13_IS18_E10value_typeET4_jRbjT5_S1E_jjP12ihipStream_tbEUljE_ZNSN_ISO_Lb1ESQ_SR_ST_SU_SY_EESZ_S10_S11_S12_S16_S17_S18_S1B_S1C_jS1D_jS1E_S1E_jjS1G_bEUljE0_EEESZ_S10_S11_S18_S1C_S1E_T6_T7_T9_mT8_S1G_bDpT10_ENKUlT_T0_E_clISt17integral_constantIbLb0EES1U_EEDaS1P_S1Q_EUlS1P_E_NS1_11comp_targetILNS1_3genE0ELNS1_11target_archE4294967295ELNS1_3gpuE0ELNS1_3repE0EEENS1_30default_config_static_selectorELNS0_4arch9wavefront6targetE0EEEvS12_: ; @_ZN7rocprim17ROCPRIM_400000_NS6detail17trampoline_kernelINS0_13select_configILj256ELj13ELNS0_17block_load_methodE3ELS4_3ELS4_3ELNS0_20block_scan_algorithmE0ELj4294967295EEENS1_25partition_config_selectorILNS1_17partition_subalgoE4EjNS0_10empty_typeEbEEZZNS1_14partition_implILS8_4ELb0ES6_15HIP_vector_typeIjLj2EENS0_17counting_iteratorIjlEEPS9_SG_NS0_5tupleIJPjSI_NS0_16reverse_iteratorISI_EEEEENSH_IJSG_SG_SG_EEES9_SI_JZNS1_25segmented_radix_sort_implINS0_14default_configELb1EPKhPhPKlPlN2at6native12_GLOBAL__N_18offset_tEEE10hipError_tPvRmT1_PNSt15iterator_traitsIS12_E10value_typeET2_T3_PNS13_IS18_E10value_typeET4_jRbjT5_S1E_jjP12ihipStream_tbEUljE_ZNSN_ISO_Lb1ESQ_SR_ST_SU_SY_EESZ_S10_S11_S12_S16_S17_S18_S1B_S1C_jS1D_jS1E_S1E_jjS1G_bEUljE0_EEESZ_S10_S11_S18_S1C_S1E_T6_T7_T9_mT8_S1G_bDpT10_ENKUlT_T0_E_clISt17integral_constantIbLb0EES1U_EEDaS1P_S1Q_EUlS1P_E_NS1_11comp_targetILNS1_3genE0ELNS1_11target_archE4294967295ELNS1_3gpuE0ELNS1_3repE0EEENS1_30default_config_static_selectorELNS0_4arch9wavefront6targetE0EEEvS12_
; %bb.0:
	.section	.rodata,"a",@progbits
	.p2align	6, 0x0
	.amdhsa_kernel _ZN7rocprim17ROCPRIM_400000_NS6detail17trampoline_kernelINS0_13select_configILj256ELj13ELNS0_17block_load_methodE3ELS4_3ELS4_3ELNS0_20block_scan_algorithmE0ELj4294967295EEENS1_25partition_config_selectorILNS1_17partition_subalgoE4EjNS0_10empty_typeEbEEZZNS1_14partition_implILS8_4ELb0ES6_15HIP_vector_typeIjLj2EENS0_17counting_iteratorIjlEEPS9_SG_NS0_5tupleIJPjSI_NS0_16reverse_iteratorISI_EEEEENSH_IJSG_SG_SG_EEES9_SI_JZNS1_25segmented_radix_sort_implINS0_14default_configELb1EPKhPhPKlPlN2at6native12_GLOBAL__N_18offset_tEEE10hipError_tPvRmT1_PNSt15iterator_traitsIS12_E10value_typeET2_T3_PNS13_IS18_E10value_typeET4_jRbjT5_S1E_jjP12ihipStream_tbEUljE_ZNSN_ISO_Lb1ESQ_SR_ST_SU_SY_EESZ_S10_S11_S12_S16_S17_S18_S1B_S1C_jS1D_jS1E_S1E_jjS1G_bEUljE0_EEESZ_S10_S11_S18_S1C_S1E_T6_T7_T9_mT8_S1G_bDpT10_ENKUlT_T0_E_clISt17integral_constantIbLb0EES1U_EEDaS1P_S1Q_EUlS1P_E_NS1_11comp_targetILNS1_3genE0ELNS1_11target_archE4294967295ELNS1_3gpuE0ELNS1_3repE0EEENS1_30default_config_static_selectorELNS0_4arch9wavefront6targetE0EEEvS12_
		.amdhsa_group_segment_fixed_size 0
		.amdhsa_private_segment_fixed_size 0
		.amdhsa_kernarg_size 176
		.amdhsa_user_sgpr_count 15
		.amdhsa_user_sgpr_dispatch_ptr 0
		.amdhsa_user_sgpr_queue_ptr 0
		.amdhsa_user_sgpr_kernarg_segment_ptr 1
		.amdhsa_user_sgpr_dispatch_id 0
		.amdhsa_user_sgpr_private_segment_size 0
		.amdhsa_wavefront_size32 1
		.amdhsa_uses_dynamic_stack 0
		.amdhsa_enable_private_segment 0
		.amdhsa_system_sgpr_workgroup_id_x 1
		.amdhsa_system_sgpr_workgroup_id_y 0
		.amdhsa_system_sgpr_workgroup_id_z 0
		.amdhsa_system_sgpr_workgroup_info 0
		.amdhsa_system_vgpr_workitem_id 0
		.amdhsa_next_free_vgpr 1
		.amdhsa_next_free_sgpr 1
		.amdhsa_reserve_vcc 0
		.amdhsa_float_round_mode_32 0
		.amdhsa_float_round_mode_16_64 0
		.amdhsa_float_denorm_mode_32 3
		.amdhsa_float_denorm_mode_16_64 3
		.amdhsa_dx10_clamp 1
		.amdhsa_ieee_mode 1
		.amdhsa_fp16_overflow 0
		.amdhsa_workgroup_processor_mode 1
		.amdhsa_memory_ordered 1
		.amdhsa_forward_progress 0
		.amdhsa_shared_vgpr_count 0
		.amdhsa_exception_fp_ieee_invalid_op 0
		.amdhsa_exception_fp_denorm_src 0
		.amdhsa_exception_fp_ieee_div_zero 0
		.amdhsa_exception_fp_ieee_overflow 0
		.amdhsa_exception_fp_ieee_underflow 0
		.amdhsa_exception_fp_ieee_inexact 0
		.amdhsa_exception_int_div_zero 0
	.end_amdhsa_kernel
	.section	.text._ZN7rocprim17ROCPRIM_400000_NS6detail17trampoline_kernelINS0_13select_configILj256ELj13ELNS0_17block_load_methodE3ELS4_3ELS4_3ELNS0_20block_scan_algorithmE0ELj4294967295EEENS1_25partition_config_selectorILNS1_17partition_subalgoE4EjNS0_10empty_typeEbEEZZNS1_14partition_implILS8_4ELb0ES6_15HIP_vector_typeIjLj2EENS0_17counting_iteratorIjlEEPS9_SG_NS0_5tupleIJPjSI_NS0_16reverse_iteratorISI_EEEEENSH_IJSG_SG_SG_EEES9_SI_JZNS1_25segmented_radix_sort_implINS0_14default_configELb1EPKhPhPKlPlN2at6native12_GLOBAL__N_18offset_tEEE10hipError_tPvRmT1_PNSt15iterator_traitsIS12_E10value_typeET2_T3_PNS13_IS18_E10value_typeET4_jRbjT5_S1E_jjP12ihipStream_tbEUljE_ZNSN_ISO_Lb1ESQ_SR_ST_SU_SY_EESZ_S10_S11_S12_S16_S17_S18_S1B_S1C_jS1D_jS1E_S1E_jjS1G_bEUljE0_EEESZ_S10_S11_S18_S1C_S1E_T6_T7_T9_mT8_S1G_bDpT10_ENKUlT_T0_E_clISt17integral_constantIbLb0EES1U_EEDaS1P_S1Q_EUlS1P_E_NS1_11comp_targetILNS1_3genE0ELNS1_11target_archE4294967295ELNS1_3gpuE0ELNS1_3repE0EEENS1_30default_config_static_selectorELNS0_4arch9wavefront6targetE0EEEvS12_,"axG",@progbits,_ZN7rocprim17ROCPRIM_400000_NS6detail17trampoline_kernelINS0_13select_configILj256ELj13ELNS0_17block_load_methodE3ELS4_3ELS4_3ELNS0_20block_scan_algorithmE0ELj4294967295EEENS1_25partition_config_selectorILNS1_17partition_subalgoE4EjNS0_10empty_typeEbEEZZNS1_14partition_implILS8_4ELb0ES6_15HIP_vector_typeIjLj2EENS0_17counting_iteratorIjlEEPS9_SG_NS0_5tupleIJPjSI_NS0_16reverse_iteratorISI_EEEEENSH_IJSG_SG_SG_EEES9_SI_JZNS1_25segmented_radix_sort_implINS0_14default_configELb1EPKhPhPKlPlN2at6native12_GLOBAL__N_18offset_tEEE10hipError_tPvRmT1_PNSt15iterator_traitsIS12_E10value_typeET2_T3_PNS13_IS18_E10value_typeET4_jRbjT5_S1E_jjP12ihipStream_tbEUljE_ZNSN_ISO_Lb1ESQ_SR_ST_SU_SY_EESZ_S10_S11_S12_S16_S17_S18_S1B_S1C_jS1D_jS1E_S1E_jjS1G_bEUljE0_EEESZ_S10_S11_S18_S1C_S1E_T6_T7_T9_mT8_S1G_bDpT10_ENKUlT_T0_E_clISt17integral_constantIbLb0EES1U_EEDaS1P_S1Q_EUlS1P_E_NS1_11comp_targetILNS1_3genE0ELNS1_11target_archE4294967295ELNS1_3gpuE0ELNS1_3repE0EEENS1_30default_config_static_selectorELNS0_4arch9wavefront6targetE0EEEvS12_,comdat
.Lfunc_end4:
	.size	_ZN7rocprim17ROCPRIM_400000_NS6detail17trampoline_kernelINS0_13select_configILj256ELj13ELNS0_17block_load_methodE3ELS4_3ELS4_3ELNS0_20block_scan_algorithmE0ELj4294967295EEENS1_25partition_config_selectorILNS1_17partition_subalgoE4EjNS0_10empty_typeEbEEZZNS1_14partition_implILS8_4ELb0ES6_15HIP_vector_typeIjLj2EENS0_17counting_iteratorIjlEEPS9_SG_NS0_5tupleIJPjSI_NS0_16reverse_iteratorISI_EEEEENSH_IJSG_SG_SG_EEES9_SI_JZNS1_25segmented_radix_sort_implINS0_14default_configELb1EPKhPhPKlPlN2at6native12_GLOBAL__N_18offset_tEEE10hipError_tPvRmT1_PNSt15iterator_traitsIS12_E10value_typeET2_T3_PNS13_IS18_E10value_typeET4_jRbjT5_S1E_jjP12ihipStream_tbEUljE_ZNSN_ISO_Lb1ESQ_SR_ST_SU_SY_EESZ_S10_S11_S12_S16_S17_S18_S1B_S1C_jS1D_jS1E_S1E_jjS1G_bEUljE0_EEESZ_S10_S11_S18_S1C_S1E_T6_T7_T9_mT8_S1G_bDpT10_ENKUlT_T0_E_clISt17integral_constantIbLb0EES1U_EEDaS1P_S1Q_EUlS1P_E_NS1_11comp_targetILNS1_3genE0ELNS1_11target_archE4294967295ELNS1_3gpuE0ELNS1_3repE0EEENS1_30default_config_static_selectorELNS0_4arch9wavefront6targetE0EEEvS12_, .Lfunc_end4-_ZN7rocprim17ROCPRIM_400000_NS6detail17trampoline_kernelINS0_13select_configILj256ELj13ELNS0_17block_load_methodE3ELS4_3ELS4_3ELNS0_20block_scan_algorithmE0ELj4294967295EEENS1_25partition_config_selectorILNS1_17partition_subalgoE4EjNS0_10empty_typeEbEEZZNS1_14partition_implILS8_4ELb0ES6_15HIP_vector_typeIjLj2EENS0_17counting_iteratorIjlEEPS9_SG_NS0_5tupleIJPjSI_NS0_16reverse_iteratorISI_EEEEENSH_IJSG_SG_SG_EEES9_SI_JZNS1_25segmented_radix_sort_implINS0_14default_configELb1EPKhPhPKlPlN2at6native12_GLOBAL__N_18offset_tEEE10hipError_tPvRmT1_PNSt15iterator_traitsIS12_E10value_typeET2_T3_PNS13_IS18_E10value_typeET4_jRbjT5_S1E_jjP12ihipStream_tbEUljE_ZNSN_ISO_Lb1ESQ_SR_ST_SU_SY_EESZ_S10_S11_S12_S16_S17_S18_S1B_S1C_jS1D_jS1E_S1E_jjS1G_bEUljE0_EEESZ_S10_S11_S18_S1C_S1E_T6_T7_T9_mT8_S1G_bDpT10_ENKUlT_T0_E_clISt17integral_constantIbLb0EES1U_EEDaS1P_S1Q_EUlS1P_E_NS1_11comp_targetILNS1_3genE0ELNS1_11target_archE4294967295ELNS1_3gpuE0ELNS1_3repE0EEENS1_30default_config_static_selectorELNS0_4arch9wavefront6targetE0EEEvS12_
                                        ; -- End function
	.section	.AMDGPU.csdata,"",@progbits
; Kernel info:
; codeLenInByte = 0
; NumSgprs: 0
; NumVgprs: 0
; ScratchSize: 0
; MemoryBound: 0
; FloatMode: 240
; IeeeMode: 1
; LDSByteSize: 0 bytes/workgroup (compile time only)
; SGPRBlocks: 0
; VGPRBlocks: 0
; NumSGPRsForWavesPerEU: 1
; NumVGPRsForWavesPerEU: 1
; Occupancy: 16
; WaveLimiterHint : 0
; COMPUTE_PGM_RSRC2:SCRATCH_EN: 0
; COMPUTE_PGM_RSRC2:USER_SGPR: 15
; COMPUTE_PGM_RSRC2:TRAP_HANDLER: 0
; COMPUTE_PGM_RSRC2:TGID_X_EN: 1
; COMPUTE_PGM_RSRC2:TGID_Y_EN: 0
; COMPUTE_PGM_RSRC2:TGID_Z_EN: 0
; COMPUTE_PGM_RSRC2:TIDIG_COMP_CNT: 0
	.section	.text._ZN7rocprim17ROCPRIM_400000_NS6detail17trampoline_kernelINS0_13select_configILj256ELj13ELNS0_17block_load_methodE3ELS4_3ELS4_3ELNS0_20block_scan_algorithmE0ELj4294967295EEENS1_25partition_config_selectorILNS1_17partition_subalgoE4EjNS0_10empty_typeEbEEZZNS1_14partition_implILS8_4ELb0ES6_15HIP_vector_typeIjLj2EENS0_17counting_iteratorIjlEEPS9_SG_NS0_5tupleIJPjSI_NS0_16reverse_iteratorISI_EEEEENSH_IJSG_SG_SG_EEES9_SI_JZNS1_25segmented_radix_sort_implINS0_14default_configELb1EPKhPhPKlPlN2at6native12_GLOBAL__N_18offset_tEEE10hipError_tPvRmT1_PNSt15iterator_traitsIS12_E10value_typeET2_T3_PNS13_IS18_E10value_typeET4_jRbjT5_S1E_jjP12ihipStream_tbEUljE_ZNSN_ISO_Lb1ESQ_SR_ST_SU_SY_EESZ_S10_S11_S12_S16_S17_S18_S1B_S1C_jS1D_jS1E_S1E_jjS1G_bEUljE0_EEESZ_S10_S11_S18_S1C_S1E_T6_T7_T9_mT8_S1G_bDpT10_ENKUlT_T0_E_clISt17integral_constantIbLb0EES1U_EEDaS1P_S1Q_EUlS1P_E_NS1_11comp_targetILNS1_3genE5ELNS1_11target_archE942ELNS1_3gpuE9ELNS1_3repE0EEENS1_30default_config_static_selectorELNS0_4arch9wavefront6targetE0EEEvS12_,"axG",@progbits,_ZN7rocprim17ROCPRIM_400000_NS6detail17trampoline_kernelINS0_13select_configILj256ELj13ELNS0_17block_load_methodE3ELS4_3ELS4_3ELNS0_20block_scan_algorithmE0ELj4294967295EEENS1_25partition_config_selectorILNS1_17partition_subalgoE4EjNS0_10empty_typeEbEEZZNS1_14partition_implILS8_4ELb0ES6_15HIP_vector_typeIjLj2EENS0_17counting_iteratorIjlEEPS9_SG_NS0_5tupleIJPjSI_NS0_16reverse_iteratorISI_EEEEENSH_IJSG_SG_SG_EEES9_SI_JZNS1_25segmented_radix_sort_implINS0_14default_configELb1EPKhPhPKlPlN2at6native12_GLOBAL__N_18offset_tEEE10hipError_tPvRmT1_PNSt15iterator_traitsIS12_E10value_typeET2_T3_PNS13_IS18_E10value_typeET4_jRbjT5_S1E_jjP12ihipStream_tbEUljE_ZNSN_ISO_Lb1ESQ_SR_ST_SU_SY_EESZ_S10_S11_S12_S16_S17_S18_S1B_S1C_jS1D_jS1E_S1E_jjS1G_bEUljE0_EEESZ_S10_S11_S18_S1C_S1E_T6_T7_T9_mT8_S1G_bDpT10_ENKUlT_T0_E_clISt17integral_constantIbLb0EES1U_EEDaS1P_S1Q_EUlS1P_E_NS1_11comp_targetILNS1_3genE5ELNS1_11target_archE942ELNS1_3gpuE9ELNS1_3repE0EEENS1_30default_config_static_selectorELNS0_4arch9wavefront6targetE0EEEvS12_,comdat
	.globl	_ZN7rocprim17ROCPRIM_400000_NS6detail17trampoline_kernelINS0_13select_configILj256ELj13ELNS0_17block_load_methodE3ELS4_3ELS4_3ELNS0_20block_scan_algorithmE0ELj4294967295EEENS1_25partition_config_selectorILNS1_17partition_subalgoE4EjNS0_10empty_typeEbEEZZNS1_14partition_implILS8_4ELb0ES6_15HIP_vector_typeIjLj2EENS0_17counting_iteratorIjlEEPS9_SG_NS0_5tupleIJPjSI_NS0_16reverse_iteratorISI_EEEEENSH_IJSG_SG_SG_EEES9_SI_JZNS1_25segmented_radix_sort_implINS0_14default_configELb1EPKhPhPKlPlN2at6native12_GLOBAL__N_18offset_tEEE10hipError_tPvRmT1_PNSt15iterator_traitsIS12_E10value_typeET2_T3_PNS13_IS18_E10value_typeET4_jRbjT5_S1E_jjP12ihipStream_tbEUljE_ZNSN_ISO_Lb1ESQ_SR_ST_SU_SY_EESZ_S10_S11_S12_S16_S17_S18_S1B_S1C_jS1D_jS1E_S1E_jjS1G_bEUljE0_EEESZ_S10_S11_S18_S1C_S1E_T6_T7_T9_mT8_S1G_bDpT10_ENKUlT_T0_E_clISt17integral_constantIbLb0EES1U_EEDaS1P_S1Q_EUlS1P_E_NS1_11comp_targetILNS1_3genE5ELNS1_11target_archE942ELNS1_3gpuE9ELNS1_3repE0EEENS1_30default_config_static_selectorELNS0_4arch9wavefront6targetE0EEEvS12_ ; -- Begin function _ZN7rocprim17ROCPRIM_400000_NS6detail17trampoline_kernelINS0_13select_configILj256ELj13ELNS0_17block_load_methodE3ELS4_3ELS4_3ELNS0_20block_scan_algorithmE0ELj4294967295EEENS1_25partition_config_selectorILNS1_17partition_subalgoE4EjNS0_10empty_typeEbEEZZNS1_14partition_implILS8_4ELb0ES6_15HIP_vector_typeIjLj2EENS0_17counting_iteratorIjlEEPS9_SG_NS0_5tupleIJPjSI_NS0_16reverse_iteratorISI_EEEEENSH_IJSG_SG_SG_EEES9_SI_JZNS1_25segmented_radix_sort_implINS0_14default_configELb1EPKhPhPKlPlN2at6native12_GLOBAL__N_18offset_tEEE10hipError_tPvRmT1_PNSt15iterator_traitsIS12_E10value_typeET2_T3_PNS13_IS18_E10value_typeET4_jRbjT5_S1E_jjP12ihipStream_tbEUljE_ZNSN_ISO_Lb1ESQ_SR_ST_SU_SY_EESZ_S10_S11_S12_S16_S17_S18_S1B_S1C_jS1D_jS1E_S1E_jjS1G_bEUljE0_EEESZ_S10_S11_S18_S1C_S1E_T6_T7_T9_mT8_S1G_bDpT10_ENKUlT_T0_E_clISt17integral_constantIbLb0EES1U_EEDaS1P_S1Q_EUlS1P_E_NS1_11comp_targetILNS1_3genE5ELNS1_11target_archE942ELNS1_3gpuE9ELNS1_3repE0EEENS1_30default_config_static_selectorELNS0_4arch9wavefront6targetE0EEEvS12_
	.p2align	8
	.type	_ZN7rocprim17ROCPRIM_400000_NS6detail17trampoline_kernelINS0_13select_configILj256ELj13ELNS0_17block_load_methodE3ELS4_3ELS4_3ELNS0_20block_scan_algorithmE0ELj4294967295EEENS1_25partition_config_selectorILNS1_17partition_subalgoE4EjNS0_10empty_typeEbEEZZNS1_14partition_implILS8_4ELb0ES6_15HIP_vector_typeIjLj2EENS0_17counting_iteratorIjlEEPS9_SG_NS0_5tupleIJPjSI_NS0_16reverse_iteratorISI_EEEEENSH_IJSG_SG_SG_EEES9_SI_JZNS1_25segmented_radix_sort_implINS0_14default_configELb1EPKhPhPKlPlN2at6native12_GLOBAL__N_18offset_tEEE10hipError_tPvRmT1_PNSt15iterator_traitsIS12_E10value_typeET2_T3_PNS13_IS18_E10value_typeET4_jRbjT5_S1E_jjP12ihipStream_tbEUljE_ZNSN_ISO_Lb1ESQ_SR_ST_SU_SY_EESZ_S10_S11_S12_S16_S17_S18_S1B_S1C_jS1D_jS1E_S1E_jjS1G_bEUljE0_EEESZ_S10_S11_S18_S1C_S1E_T6_T7_T9_mT8_S1G_bDpT10_ENKUlT_T0_E_clISt17integral_constantIbLb0EES1U_EEDaS1P_S1Q_EUlS1P_E_NS1_11comp_targetILNS1_3genE5ELNS1_11target_archE942ELNS1_3gpuE9ELNS1_3repE0EEENS1_30default_config_static_selectorELNS0_4arch9wavefront6targetE0EEEvS12_,@function
_ZN7rocprim17ROCPRIM_400000_NS6detail17trampoline_kernelINS0_13select_configILj256ELj13ELNS0_17block_load_methodE3ELS4_3ELS4_3ELNS0_20block_scan_algorithmE0ELj4294967295EEENS1_25partition_config_selectorILNS1_17partition_subalgoE4EjNS0_10empty_typeEbEEZZNS1_14partition_implILS8_4ELb0ES6_15HIP_vector_typeIjLj2EENS0_17counting_iteratorIjlEEPS9_SG_NS0_5tupleIJPjSI_NS0_16reverse_iteratorISI_EEEEENSH_IJSG_SG_SG_EEES9_SI_JZNS1_25segmented_radix_sort_implINS0_14default_configELb1EPKhPhPKlPlN2at6native12_GLOBAL__N_18offset_tEEE10hipError_tPvRmT1_PNSt15iterator_traitsIS12_E10value_typeET2_T3_PNS13_IS18_E10value_typeET4_jRbjT5_S1E_jjP12ihipStream_tbEUljE_ZNSN_ISO_Lb1ESQ_SR_ST_SU_SY_EESZ_S10_S11_S12_S16_S17_S18_S1B_S1C_jS1D_jS1E_S1E_jjS1G_bEUljE0_EEESZ_S10_S11_S18_S1C_S1E_T6_T7_T9_mT8_S1G_bDpT10_ENKUlT_T0_E_clISt17integral_constantIbLb0EES1U_EEDaS1P_S1Q_EUlS1P_E_NS1_11comp_targetILNS1_3genE5ELNS1_11target_archE942ELNS1_3gpuE9ELNS1_3repE0EEENS1_30default_config_static_selectorELNS0_4arch9wavefront6targetE0EEEvS12_: ; @_ZN7rocprim17ROCPRIM_400000_NS6detail17trampoline_kernelINS0_13select_configILj256ELj13ELNS0_17block_load_methodE3ELS4_3ELS4_3ELNS0_20block_scan_algorithmE0ELj4294967295EEENS1_25partition_config_selectorILNS1_17partition_subalgoE4EjNS0_10empty_typeEbEEZZNS1_14partition_implILS8_4ELb0ES6_15HIP_vector_typeIjLj2EENS0_17counting_iteratorIjlEEPS9_SG_NS0_5tupleIJPjSI_NS0_16reverse_iteratorISI_EEEEENSH_IJSG_SG_SG_EEES9_SI_JZNS1_25segmented_radix_sort_implINS0_14default_configELb1EPKhPhPKlPlN2at6native12_GLOBAL__N_18offset_tEEE10hipError_tPvRmT1_PNSt15iterator_traitsIS12_E10value_typeET2_T3_PNS13_IS18_E10value_typeET4_jRbjT5_S1E_jjP12ihipStream_tbEUljE_ZNSN_ISO_Lb1ESQ_SR_ST_SU_SY_EESZ_S10_S11_S12_S16_S17_S18_S1B_S1C_jS1D_jS1E_S1E_jjS1G_bEUljE0_EEESZ_S10_S11_S18_S1C_S1E_T6_T7_T9_mT8_S1G_bDpT10_ENKUlT_T0_E_clISt17integral_constantIbLb0EES1U_EEDaS1P_S1Q_EUlS1P_E_NS1_11comp_targetILNS1_3genE5ELNS1_11target_archE942ELNS1_3gpuE9ELNS1_3repE0EEENS1_30default_config_static_selectorELNS0_4arch9wavefront6targetE0EEEvS12_
; %bb.0:
	.section	.rodata,"a",@progbits
	.p2align	6, 0x0
	.amdhsa_kernel _ZN7rocprim17ROCPRIM_400000_NS6detail17trampoline_kernelINS0_13select_configILj256ELj13ELNS0_17block_load_methodE3ELS4_3ELS4_3ELNS0_20block_scan_algorithmE0ELj4294967295EEENS1_25partition_config_selectorILNS1_17partition_subalgoE4EjNS0_10empty_typeEbEEZZNS1_14partition_implILS8_4ELb0ES6_15HIP_vector_typeIjLj2EENS0_17counting_iteratorIjlEEPS9_SG_NS0_5tupleIJPjSI_NS0_16reverse_iteratorISI_EEEEENSH_IJSG_SG_SG_EEES9_SI_JZNS1_25segmented_radix_sort_implINS0_14default_configELb1EPKhPhPKlPlN2at6native12_GLOBAL__N_18offset_tEEE10hipError_tPvRmT1_PNSt15iterator_traitsIS12_E10value_typeET2_T3_PNS13_IS18_E10value_typeET4_jRbjT5_S1E_jjP12ihipStream_tbEUljE_ZNSN_ISO_Lb1ESQ_SR_ST_SU_SY_EESZ_S10_S11_S12_S16_S17_S18_S1B_S1C_jS1D_jS1E_S1E_jjS1G_bEUljE0_EEESZ_S10_S11_S18_S1C_S1E_T6_T7_T9_mT8_S1G_bDpT10_ENKUlT_T0_E_clISt17integral_constantIbLb0EES1U_EEDaS1P_S1Q_EUlS1P_E_NS1_11comp_targetILNS1_3genE5ELNS1_11target_archE942ELNS1_3gpuE9ELNS1_3repE0EEENS1_30default_config_static_selectorELNS0_4arch9wavefront6targetE0EEEvS12_
		.amdhsa_group_segment_fixed_size 0
		.amdhsa_private_segment_fixed_size 0
		.amdhsa_kernarg_size 176
		.amdhsa_user_sgpr_count 15
		.amdhsa_user_sgpr_dispatch_ptr 0
		.amdhsa_user_sgpr_queue_ptr 0
		.amdhsa_user_sgpr_kernarg_segment_ptr 1
		.amdhsa_user_sgpr_dispatch_id 0
		.amdhsa_user_sgpr_private_segment_size 0
		.amdhsa_wavefront_size32 1
		.amdhsa_uses_dynamic_stack 0
		.amdhsa_enable_private_segment 0
		.amdhsa_system_sgpr_workgroup_id_x 1
		.amdhsa_system_sgpr_workgroup_id_y 0
		.amdhsa_system_sgpr_workgroup_id_z 0
		.amdhsa_system_sgpr_workgroup_info 0
		.amdhsa_system_vgpr_workitem_id 0
		.amdhsa_next_free_vgpr 1
		.amdhsa_next_free_sgpr 1
		.amdhsa_reserve_vcc 0
		.amdhsa_float_round_mode_32 0
		.amdhsa_float_round_mode_16_64 0
		.amdhsa_float_denorm_mode_32 3
		.amdhsa_float_denorm_mode_16_64 3
		.amdhsa_dx10_clamp 1
		.amdhsa_ieee_mode 1
		.amdhsa_fp16_overflow 0
		.amdhsa_workgroup_processor_mode 1
		.amdhsa_memory_ordered 1
		.amdhsa_forward_progress 0
		.amdhsa_shared_vgpr_count 0
		.amdhsa_exception_fp_ieee_invalid_op 0
		.amdhsa_exception_fp_denorm_src 0
		.amdhsa_exception_fp_ieee_div_zero 0
		.amdhsa_exception_fp_ieee_overflow 0
		.amdhsa_exception_fp_ieee_underflow 0
		.amdhsa_exception_fp_ieee_inexact 0
		.amdhsa_exception_int_div_zero 0
	.end_amdhsa_kernel
	.section	.text._ZN7rocprim17ROCPRIM_400000_NS6detail17trampoline_kernelINS0_13select_configILj256ELj13ELNS0_17block_load_methodE3ELS4_3ELS4_3ELNS0_20block_scan_algorithmE0ELj4294967295EEENS1_25partition_config_selectorILNS1_17partition_subalgoE4EjNS0_10empty_typeEbEEZZNS1_14partition_implILS8_4ELb0ES6_15HIP_vector_typeIjLj2EENS0_17counting_iteratorIjlEEPS9_SG_NS0_5tupleIJPjSI_NS0_16reverse_iteratorISI_EEEEENSH_IJSG_SG_SG_EEES9_SI_JZNS1_25segmented_radix_sort_implINS0_14default_configELb1EPKhPhPKlPlN2at6native12_GLOBAL__N_18offset_tEEE10hipError_tPvRmT1_PNSt15iterator_traitsIS12_E10value_typeET2_T3_PNS13_IS18_E10value_typeET4_jRbjT5_S1E_jjP12ihipStream_tbEUljE_ZNSN_ISO_Lb1ESQ_SR_ST_SU_SY_EESZ_S10_S11_S12_S16_S17_S18_S1B_S1C_jS1D_jS1E_S1E_jjS1G_bEUljE0_EEESZ_S10_S11_S18_S1C_S1E_T6_T7_T9_mT8_S1G_bDpT10_ENKUlT_T0_E_clISt17integral_constantIbLb0EES1U_EEDaS1P_S1Q_EUlS1P_E_NS1_11comp_targetILNS1_3genE5ELNS1_11target_archE942ELNS1_3gpuE9ELNS1_3repE0EEENS1_30default_config_static_selectorELNS0_4arch9wavefront6targetE0EEEvS12_,"axG",@progbits,_ZN7rocprim17ROCPRIM_400000_NS6detail17trampoline_kernelINS0_13select_configILj256ELj13ELNS0_17block_load_methodE3ELS4_3ELS4_3ELNS0_20block_scan_algorithmE0ELj4294967295EEENS1_25partition_config_selectorILNS1_17partition_subalgoE4EjNS0_10empty_typeEbEEZZNS1_14partition_implILS8_4ELb0ES6_15HIP_vector_typeIjLj2EENS0_17counting_iteratorIjlEEPS9_SG_NS0_5tupleIJPjSI_NS0_16reverse_iteratorISI_EEEEENSH_IJSG_SG_SG_EEES9_SI_JZNS1_25segmented_radix_sort_implINS0_14default_configELb1EPKhPhPKlPlN2at6native12_GLOBAL__N_18offset_tEEE10hipError_tPvRmT1_PNSt15iterator_traitsIS12_E10value_typeET2_T3_PNS13_IS18_E10value_typeET4_jRbjT5_S1E_jjP12ihipStream_tbEUljE_ZNSN_ISO_Lb1ESQ_SR_ST_SU_SY_EESZ_S10_S11_S12_S16_S17_S18_S1B_S1C_jS1D_jS1E_S1E_jjS1G_bEUljE0_EEESZ_S10_S11_S18_S1C_S1E_T6_T7_T9_mT8_S1G_bDpT10_ENKUlT_T0_E_clISt17integral_constantIbLb0EES1U_EEDaS1P_S1Q_EUlS1P_E_NS1_11comp_targetILNS1_3genE5ELNS1_11target_archE942ELNS1_3gpuE9ELNS1_3repE0EEENS1_30default_config_static_selectorELNS0_4arch9wavefront6targetE0EEEvS12_,comdat
.Lfunc_end5:
	.size	_ZN7rocprim17ROCPRIM_400000_NS6detail17trampoline_kernelINS0_13select_configILj256ELj13ELNS0_17block_load_methodE3ELS4_3ELS4_3ELNS0_20block_scan_algorithmE0ELj4294967295EEENS1_25partition_config_selectorILNS1_17partition_subalgoE4EjNS0_10empty_typeEbEEZZNS1_14partition_implILS8_4ELb0ES6_15HIP_vector_typeIjLj2EENS0_17counting_iteratorIjlEEPS9_SG_NS0_5tupleIJPjSI_NS0_16reverse_iteratorISI_EEEEENSH_IJSG_SG_SG_EEES9_SI_JZNS1_25segmented_radix_sort_implINS0_14default_configELb1EPKhPhPKlPlN2at6native12_GLOBAL__N_18offset_tEEE10hipError_tPvRmT1_PNSt15iterator_traitsIS12_E10value_typeET2_T3_PNS13_IS18_E10value_typeET4_jRbjT5_S1E_jjP12ihipStream_tbEUljE_ZNSN_ISO_Lb1ESQ_SR_ST_SU_SY_EESZ_S10_S11_S12_S16_S17_S18_S1B_S1C_jS1D_jS1E_S1E_jjS1G_bEUljE0_EEESZ_S10_S11_S18_S1C_S1E_T6_T7_T9_mT8_S1G_bDpT10_ENKUlT_T0_E_clISt17integral_constantIbLb0EES1U_EEDaS1P_S1Q_EUlS1P_E_NS1_11comp_targetILNS1_3genE5ELNS1_11target_archE942ELNS1_3gpuE9ELNS1_3repE0EEENS1_30default_config_static_selectorELNS0_4arch9wavefront6targetE0EEEvS12_, .Lfunc_end5-_ZN7rocprim17ROCPRIM_400000_NS6detail17trampoline_kernelINS0_13select_configILj256ELj13ELNS0_17block_load_methodE3ELS4_3ELS4_3ELNS0_20block_scan_algorithmE0ELj4294967295EEENS1_25partition_config_selectorILNS1_17partition_subalgoE4EjNS0_10empty_typeEbEEZZNS1_14partition_implILS8_4ELb0ES6_15HIP_vector_typeIjLj2EENS0_17counting_iteratorIjlEEPS9_SG_NS0_5tupleIJPjSI_NS0_16reverse_iteratorISI_EEEEENSH_IJSG_SG_SG_EEES9_SI_JZNS1_25segmented_radix_sort_implINS0_14default_configELb1EPKhPhPKlPlN2at6native12_GLOBAL__N_18offset_tEEE10hipError_tPvRmT1_PNSt15iterator_traitsIS12_E10value_typeET2_T3_PNS13_IS18_E10value_typeET4_jRbjT5_S1E_jjP12ihipStream_tbEUljE_ZNSN_ISO_Lb1ESQ_SR_ST_SU_SY_EESZ_S10_S11_S12_S16_S17_S18_S1B_S1C_jS1D_jS1E_S1E_jjS1G_bEUljE0_EEESZ_S10_S11_S18_S1C_S1E_T6_T7_T9_mT8_S1G_bDpT10_ENKUlT_T0_E_clISt17integral_constantIbLb0EES1U_EEDaS1P_S1Q_EUlS1P_E_NS1_11comp_targetILNS1_3genE5ELNS1_11target_archE942ELNS1_3gpuE9ELNS1_3repE0EEENS1_30default_config_static_selectorELNS0_4arch9wavefront6targetE0EEEvS12_
                                        ; -- End function
	.section	.AMDGPU.csdata,"",@progbits
; Kernel info:
; codeLenInByte = 0
; NumSgprs: 0
; NumVgprs: 0
; ScratchSize: 0
; MemoryBound: 0
; FloatMode: 240
; IeeeMode: 1
; LDSByteSize: 0 bytes/workgroup (compile time only)
; SGPRBlocks: 0
; VGPRBlocks: 0
; NumSGPRsForWavesPerEU: 1
; NumVGPRsForWavesPerEU: 1
; Occupancy: 16
; WaveLimiterHint : 0
; COMPUTE_PGM_RSRC2:SCRATCH_EN: 0
; COMPUTE_PGM_RSRC2:USER_SGPR: 15
; COMPUTE_PGM_RSRC2:TRAP_HANDLER: 0
; COMPUTE_PGM_RSRC2:TGID_X_EN: 1
; COMPUTE_PGM_RSRC2:TGID_Y_EN: 0
; COMPUTE_PGM_RSRC2:TGID_Z_EN: 0
; COMPUTE_PGM_RSRC2:TIDIG_COMP_CNT: 0
	.section	.text._ZN7rocprim17ROCPRIM_400000_NS6detail17trampoline_kernelINS0_13select_configILj256ELj13ELNS0_17block_load_methodE3ELS4_3ELS4_3ELNS0_20block_scan_algorithmE0ELj4294967295EEENS1_25partition_config_selectorILNS1_17partition_subalgoE4EjNS0_10empty_typeEbEEZZNS1_14partition_implILS8_4ELb0ES6_15HIP_vector_typeIjLj2EENS0_17counting_iteratorIjlEEPS9_SG_NS0_5tupleIJPjSI_NS0_16reverse_iteratorISI_EEEEENSH_IJSG_SG_SG_EEES9_SI_JZNS1_25segmented_radix_sort_implINS0_14default_configELb1EPKhPhPKlPlN2at6native12_GLOBAL__N_18offset_tEEE10hipError_tPvRmT1_PNSt15iterator_traitsIS12_E10value_typeET2_T3_PNS13_IS18_E10value_typeET4_jRbjT5_S1E_jjP12ihipStream_tbEUljE_ZNSN_ISO_Lb1ESQ_SR_ST_SU_SY_EESZ_S10_S11_S12_S16_S17_S18_S1B_S1C_jS1D_jS1E_S1E_jjS1G_bEUljE0_EEESZ_S10_S11_S18_S1C_S1E_T6_T7_T9_mT8_S1G_bDpT10_ENKUlT_T0_E_clISt17integral_constantIbLb0EES1U_EEDaS1P_S1Q_EUlS1P_E_NS1_11comp_targetILNS1_3genE4ELNS1_11target_archE910ELNS1_3gpuE8ELNS1_3repE0EEENS1_30default_config_static_selectorELNS0_4arch9wavefront6targetE0EEEvS12_,"axG",@progbits,_ZN7rocprim17ROCPRIM_400000_NS6detail17trampoline_kernelINS0_13select_configILj256ELj13ELNS0_17block_load_methodE3ELS4_3ELS4_3ELNS0_20block_scan_algorithmE0ELj4294967295EEENS1_25partition_config_selectorILNS1_17partition_subalgoE4EjNS0_10empty_typeEbEEZZNS1_14partition_implILS8_4ELb0ES6_15HIP_vector_typeIjLj2EENS0_17counting_iteratorIjlEEPS9_SG_NS0_5tupleIJPjSI_NS0_16reverse_iteratorISI_EEEEENSH_IJSG_SG_SG_EEES9_SI_JZNS1_25segmented_radix_sort_implINS0_14default_configELb1EPKhPhPKlPlN2at6native12_GLOBAL__N_18offset_tEEE10hipError_tPvRmT1_PNSt15iterator_traitsIS12_E10value_typeET2_T3_PNS13_IS18_E10value_typeET4_jRbjT5_S1E_jjP12ihipStream_tbEUljE_ZNSN_ISO_Lb1ESQ_SR_ST_SU_SY_EESZ_S10_S11_S12_S16_S17_S18_S1B_S1C_jS1D_jS1E_S1E_jjS1G_bEUljE0_EEESZ_S10_S11_S18_S1C_S1E_T6_T7_T9_mT8_S1G_bDpT10_ENKUlT_T0_E_clISt17integral_constantIbLb0EES1U_EEDaS1P_S1Q_EUlS1P_E_NS1_11comp_targetILNS1_3genE4ELNS1_11target_archE910ELNS1_3gpuE8ELNS1_3repE0EEENS1_30default_config_static_selectorELNS0_4arch9wavefront6targetE0EEEvS12_,comdat
	.globl	_ZN7rocprim17ROCPRIM_400000_NS6detail17trampoline_kernelINS0_13select_configILj256ELj13ELNS0_17block_load_methodE3ELS4_3ELS4_3ELNS0_20block_scan_algorithmE0ELj4294967295EEENS1_25partition_config_selectorILNS1_17partition_subalgoE4EjNS0_10empty_typeEbEEZZNS1_14partition_implILS8_4ELb0ES6_15HIP_vector_typeIjLj2EENS0_17counting_iteratorIjlEEPS9_SG_NS0_5tupleIJPjSI_NS0_16reverse_iteratorISI_EEEEENSH_IJSG_SG_SG_EEES9_SI_JZNS1_25segmented_radix_sort_implINS0_14default_configELb1EPKhPhPKlPlN2at6native12_GLOBAL__N_18offset_tEEE10hipError_tPvRmT1_PNSt15iterator_traitsIS12_E10value_typeET2_T3_PNS13_IS18_E10value_typeET4_jRbjT5_S1E_jjP12ihipStream_tbEUljE_ZNSN_ISO_Lb1ESQ_SR_ST_SU_SY_EESZ_S10_S11_S12_S16_S17_S18_S1B_S1C_jS1D_jS1E_S1E_jjS1G_bEUljE0_EEESZ_S10_S11_S18_S1C_S1E_T6_T7_T9_mT8_S1G_bDpT10_ENKUlT_T0_E_clISt17integral_constantIbLb0EES1U_EEDaS1P_S1Q_EUlS1P_E_NS1_11comp_targetILNS1_3genE4ELNS1_11target_archE910ELNS1_3gpuE8ELNS1_3repE0EEENS1_30default_config_static_selectorELNS0_4arch9wavefront6targetE0EEEvS12_ ; -- Begin function _ZN7rocprim17ROCPRIM_400000_NS6detail17trampoline_kernelINS0_13select_configILj256ELj13ELNS0_17block_load_methodE3ELS4_3ELS4_3ELNS0_20block_scan_algorithmE0ELj4294967295EEENS1_25partition_config_selectorILNS1_17partition_subalgoE4EjNS0_10empty_typeEbEEZZNS1_14partition_implILS8_4ELb0ES6_15HIP_vector_typeIjLj2EENS0_17counting_iteratorIjlEEPS9_SG_NS0_5tupleIJPjSI_NS0_16reverse_iteratorISI_EEEEENSH_IJSG_SG_SG_EEES9_SI_JZNS1_25segmented_radix_sort_implINS0_14default_configELb1EPKhPhPKlPlN2at6native12_GLOBAL__N_18offset_tEEE10hipError_tPvRmT1_PNSt15iterator_traitsIS12_E10value_typeET2_T3_PNS13_IS18_E10value_typeET4_jRbjT5_S1E_jjP12ihipStream_tbEUljE_ZNSN_ISO_Lb1ESQ_SR_ST_SU_SY_EESZ_S10_S11_S12_S16_S17_S18_S1B_S1C_jS1D_jS1E_S1E_jjS1G_bEUljE0_EEESZ_S10_S11_S18_S1C_S1E_T6_T7_T9_mT8_S1G_bDpT10_ENKUlT_T0_E_clISt17integral_constantIbLb0EES1U_EEDaS1P_S1Q_EUlS1P_E_NS1_11comp_targetILNS1_3genE4ELNS1_11target_archE910ELNS1_3gpuE8ELNS1_3repE0EEENS1_30default_config_static_selectorELNS0_4arch9wavefront6targetE0EEEvS12_
	.p2align	8
	.type	_ZN7rocprim17ROCPRIM_400000_NS6detail17trampoline_kernelINS0_13select_configILj256ELj13ELNS0_17block_load_methodE3ELS4_3ELS4_3ELNS0_20block_scan_algorithmE0ELj4294967295EEENS1_25partition_config_selectorILNS1_17partition_subalgoE4EjNS0_10empty_typeEbEEZZNS1_14partition_implILS8_4ELb0ES6_15HIP_vector_typeIjLj2EENS0_17counting_iteratorIjlEEPS9_SG_NS0_5tupleIJPjSI_NS0_16reverse_iteratorISI_EEEEENSH_IJSG_SG_SG_EEES9_SI_JZNS1_25segmented_radix_sort_implINS0_14default_configELb1EPKhPhPKlPlN2at6native12_GLOBAL__N_18offset_tEEE10hipError_tPvRmT1_PNSt15iterator_traitsIS12_E10value_typeET2_T3_PNS13_IS18_E10value_typeET4_jRbjT5_S1E_jjP12ihipStream_tbEUljE_ZNSN_ISO_Lb1ESQ_SR_ST_SU_SY_EESZ_S10_S11_S12_S16_S17_S18_S1B_S1C_jS1D_jS1E_S1E_jjS1G_bEUljE0_EEESZ_S10_S11_S18_S1C_S1E_T6_T7_T9_mT8_S1G_bDpT10_ENKUlT_T0_E_clISt17integral_constantIbLb0EES1U_EEDaS1P_S1Q_EUlS1P_E_NS1_11comp_targetILNS1_3genE4ELNS1_11target_archE910ELNS1_3gpuE8ELNS1_3repE0EEENS1_30default_config_static_selectorELNS0_4arch9wavefront6targetE0EEEvS12_,@function
_ZN7rocprim17ROCPRIM_400000_NS6detail17trampoline_kernelINS0_13select_configILj256ELj13ELNS0_17block_load_methodE3ELS4_3ELS4_3ELNS0_20block_scan_algorithmE0ELj4294967295EEENS1_25partition_config_selectorILNS1_17partition_subalgoE4EjNS0_10empty_typeEbEEZZNS1_14partition_implILS8_4ELb0ES6_15HIP_vector_typeIjLj2EENS0_17counting_iteratorIjlEEPS9_SG_NS0_5tupleIJPjSI_NS0_16reverse_iteratorISI_EEEEENSH_IJSG_SG_SG_EEES9_SI_JZNS1_25segmented_radix_sort_implINS0_14default_configELb1EPKhPhPKlPlN2at6native12_GLOBAL__N_18offset_tEEE10hipError_tPvRmT1_PNSt15iterator_traitsIS12_E10value_typeET2_T3_PNS13_IS18_E10value_typeET4_jRbjT5_S1E_jjP12ihipStream_tbEUljE_ZNSN_ISO_Lb1ESQ_SR_ST_SU_SY_EESZ_S10_S11_S12_S16_S17_S18_S1B_S1C_jS1D_jS1E_S1E_jjS1G_bEUljE0_EEESZ_S10_S11_S18_S1C_S1E_T6_T7_T9_mT8_S1G_bDpT10_ENKUlT_T0_E_clISt17integral_constantIbLb0EES1U_EEDaS1P_S1Q_EUlS1P_E_NS1_11comp_targetILNS1_3genE4ELNS1_11target_archE910ELNS1_3gpuE8ELNS1_3repE0EEENS1_30default_config_static_selectorELNS0_4arch9wavefront6targetE0EEEvS12_: ; @_ZN7rocprim17ROCPRIM_400000_NS6detail17trampoline_kernelINS0_13select_configILj256ELj13ELNS0_17block_load_methodE3ELS4_3ELS4_3ELNS0_20block_scan_algorithmE0ELj4294967295EEENS1_25partition_config_selectorILNS1_17partition_subalgoE4EjNS0_10empty_typeEbEEZZNS1_14partition_implILS8_4ELb0ES6_15HIP_vector_typeIjLj2EENS0_17counting_iteratorIjlEEPS9_SG_NS0_5tupleIJPjSI_NS0_16reverse_iteratorISI_EEEEENSH_IJSG_SG_SG_EEES9_SI_JZNS1_25segmented_radix_sort_implINS0_14default_configELb1EPKhPhPKlPlN2at6native12_GLOBAL__N_18offset_tEEE10hipError_tPvRmT1_PNSt15iterator_traitsIS12_E10value_typeET2_T3_PNS13_IS18_E10value_typeET4_jRbjT5_S1E_jjP12ihipStream_tbEUljE_ZNSN_ISO_Lb1ESQ_SR_ST_SU_SY_EESZ_S10_S11_S12_S16_S17_S18_S1B_S1C_jS1D_jS1E_S1E_jjS1G_bEUljE0_EEESZ_S10_S11_S18_S1C_S1E_T6_T7_T9_mT8_S1G_bDpT10_ENKUlT_T0_E_clISt17integral_constantIbLb0EES1U_EEDaS1P_S1Q_EUlS1P_E_NS1_11comp_targetILNS1_3genE4ELNS1_11target_archE910ELNS1_3gpuE8ELNS1_3repE0EEENS1_30default_config_static_selectorELNS0_4arch9wavefront6targetE0EEEvS12_
; %bb.0:
	.section	.rodata,"a",@progbits
	.p2align	6, 0x0
	.amdhsa_kernel _ZN7rocprim17ROCPRIM_400000_NS6detail17trampoline_kernelINS0_13select_configILj256ELj13ELNS0_17block_load_methodE3ELS4_3ELS4_3ELNS0_20block_scan_algorithmE0ELj4294967295EEENS1_25partition_config_selectorILNS1_17partition_subalgoE4EjNS0_10empty_typeEbEEZZNS1_14partition_implILS8_4ELb0ES6_15HIP_vector_typeIjLj2EENS0_17counting_iteratorIjlEEPS9_SG_NS0_5tupleIJPjSI_NS0_16reverse_iteratorISI_EEEEENSH_IJSG_SG_SG_EEES9_SI_JZNS1_25segmented_radix_sort_implINS0_14default_configELb1EPKhPhPKlPlN2at6native12_GLOBAL__N_18offset_tEEE10hipError_tPvRmT1_PNSt15iterator_traitsIS12_E10value_typeET2_T3_PNS13_IS18_E10value_typeET4_jRbjT5_S1E_jjP12ihipStream_tbEUljE_ZNSN_ISO_Lb1ESQ_SR_ST_SU_SY_EESZ_S10_S11_S12_S16_S17_S18_S1B_S1C_jS1D_jS1E_S1E_jjS1G_bEUljE0_EEESZ_S10_S11_S18_S1C_S1E_T6_T7_T9_mT8_S1G_bDpT10_ENKUlT_T0_E_clISt17integral_constantIbLb0EES1U_EEDaS1P_S1Q_EUlS1P_E_NS1_11comp_targetILNS1_3genE4ELNS1_11target_archE910ELNS1_3gpuE8ELNS1_3repE0EEENS1_30default_config_static_selectorELNS0_4arch9wavefront6targetE0EEEvS12_
		.amdhsa_group_segment_fixed_size 0
		.amdhsa_private_segment_fixed_size 0
		.amdhsa_kernarg_size 176
		.amdhsa_user_sgpr_count 15
		.amdhsa_user_sgpr_dispatch_ptr 0
		.amdhsa_user_sgpr_queue_ptr 0
		.amdhsa_user_sgpr_kernarg_segment_ptr 1
		.amdhsa_user_sgpr_dispatch_id 0
		.amdhsa_user_sgpr_private_segment_size 0
		.amdhsa_wavefront_size32 1
		.amdhsa_uses_dynamic_stack 0
		.amdhsa_enable_private_segment 0
		.amdhsa_system_sgpr_workgroup_id_x 1
		.amdhsa_system_sgpr_workgroup_id_y 0
		.amdhsa_system_sgpr_workgroup_id_z 0
		.amdhsa_system_sgpr_workgroup_info 0
		.amdhsa_system_vgpr_workitem_id 0
		.amdhsa_next_free_vgpr 1
		.amdhsa_next_free_sgpr 1
		.amdhsa_reserve_vcc 0
		.amdhsa_float_round_mode_32 0
		.amdhsa_float_round_mode_16_64 0
		.amdhsa_float_denorm_mode_32 3
		.amdhsa_float_denorm_mode_16_64 3
		.amdhsa_dx10_clamp 1
		.amdhsa_ieee_mode 1
		.amdhsa_fp16_overflow 0
		.amdhsa_workgroup_processor_mode 1
		.amdhsa_memory_ordered 1
		.amdhsa_forward_progress 0
		.amdhsa_shared_vgpr_count 0
		.amdhsa_exception_fp_ieee_invalid_op 0
		.amdhsa_exception_fp_denorm_src 0
		.amdhsa_exception_fp_ieee_div_zero 0
		.amdhsa_exception_fp_ieee_overflow 0
		.amdhsa_exception_fp_ieee_underflow 0
		.amdhsa_exception_fp_ieee_inexact 0
		.amdhsa_exception_int_div_zero 0
	.end_amdhsa_kernel
	.section	.text._ZN7rocprim17ROCPRIM_400000_NS6detail17trampoline_kernelINS0_13select_configILj256ELj13ELNS0_17block_load_methodE3ELS4_3ELS4_3ELNS0_20block_scan_algorithmE0ELj4294967295EEENS1_25partition_config_selectorILNS1_17partition_subalgoE4EjNS0_10empty_typeEbEEZZNS1_14partition_implILS8_4ELb0ES6_15HIP_vector_typeIjLj2EENS0_17counting_iteratorIjlEEPS9_SG_NS0_5tupleIJPjSI_NS0_16reverse_iteratorISI_EEEEENSH_IJSG_SG_SG_EEES9_SI_JZNS1_25segmented_radix_sort_implINS0_14default_configELb1EPKhPhPKlPlN2at6native12_GLOBAL__N_18offset_tEEE10hipError_tPvRmT1_PNSt15iterator_traitsIS12_E10value_typeET2_T3_PNS13_IS18_E10value_typeET4_jRbjT5_S1E_jjP12ihipStream_tbEUljE_ZNSN_ISO_Lb1ESQ_SR_ST_SU_SY_EESZ_S10_S11_S12_S16_S17_S18_S1B_S1C_jS1D_jS1E_S1E_jjS1G_bEUljE0_EEESZ_S10_S11_S18_S1C_S1E_T6_T7_T9_mT8_S1G_bDpT10_ENKUlT_T0_E_clISt17integral_constantIbLb0EES1U_EEDaS1P_S1Q_EUlS1P_E_NS1_11comp_targetILNS1_3genE4ELNS1_11target_archE910ELNS1_3gpuE8ELNS1_3repE0EEENS1_30default_config_static_selectorELNS0_4arch9wavefront6targetE0EEEvS12_,"axG",@progbits,_ZN7rocprim17ROCPRIM_400000_NS6detail17trampoline_kernelINS0_13select_configILj256ELj13ELNS0_17block_load_methodE3ELS4_3ELS4_3ELNS0_20block_scan_algorithmE0ELj4294967295EEENS1_25partition_config_selectorILNS1_17partition_subalgoE4EjNS0_10empty_typeEbEEZZNS1_14partition_implILS8_4ELb0ES6_15HIP_vector_typeIjLj2EENS0_17counting_iteratorIjlEEPS9_SG_NS0_5tupleIJPjSI_NS0_16reverse_iteratorISI_EEEEENSH_IJSG_SG_SG_EEES9_SI_JZNS1_25segmented_radix_sort_implINS0_14default_configELb1EPKhPhPKlPlN2at6native12_GLOBAL__N_18offset_tEEE10hipError_tPvRmT1_PNSt15iterator_traitsIS12_E10value_typeET2_T3_PNS13_IS18_E10value_typeET4_jRbjT5_S1E_jjP12ihipStream_tbEUljE_ZNSN_ISO_Lb1ESQ_SR_ST_SU_SY_EESZ_S10_S11_S12_S16_S17_S18_S1B_S1C_jS1D_jS1E_S1E_jjS1G_bEUljE0_EEESZ_S10_S11_S18_S1C_S1E_T6_T7_T9_mT8_S1G_bDpT10_ENKUlT_T0_E_clISt17integral_constantIbLb0EES1U_EEDaS1P_S1Q_EUlS1P_E_NS1_11comp_targetILNS1_3genE4ELNS1_11target_archE910ELNS1_3gpuE8ELNS1_3repE0EEENS1_30default_config_static_selectorELNS0_4arch9wavefront6targetE0EEEvS12_,comdat
.Lfunc_end6:
	.size	_ZN7rocprim17ROCPRIM_400000_NS6detail17trampoline_kernelINS0_13select_configILj256ELj13ELNS0_17block_load_methodE3ELS4_3ELS4_3ELNS0_20block_scan_algorithmE0ELj4294967295EEENS1_25partition_config_selectorILNS1_17partition_subalgoE4EjNS0_10empty_typeEbEEZZNS1_14partition_implILS8_4ELb0ES6_15HIP_vector_typeIjLj2EENS0_17counting_iteratorIjlEEPS9_SG_NS0_5tupleIJPjSI_NS0_16reverse_iteratorISI_EEEEENSH_IJSG_SG_SG_EEES9_SI_JZNS1_25segmented_radix_sort_implINS0_14default_configELb1EPKhPhPKlPlN2at6native12_GLOBAL__N_18offset_tEEE10hipError_tPvRmT1_PNSt15iterator_traitsIS12_E10value_typeET2_T3_PNS13_IS18_E10value_typeET4_jRbjT5_S1E_jjP12ihipStream_tbEUljE_ZNSN_ISO_Lb1ESQ_SR_ST_SU_SY_EESZ_S10_S11_S12_S16_S17_S18_S1B_S1C_jS1D_jS1E_S1E_jjS1G_bEUljE0_EEESZ_S10_S11_S18_S1C_S1E_T6_T7_T9_mT8_S1G_bDpT10_ENKUlT_T0_E_clISt17integral_constantIbLb0EES1U_EEDaS1P_S1Q_EUlS1P_E_NS1_11comp_targetILNS1_3genE4ELNS1_11target_archE910ELNS1_3gpuE8ELNS1_3repE0EEENS1_30default_config_static_selectorELNS0_4arch9wavefront6targetE0EEEvS12_, .Lfunc_end6-_ZN7rocprim17ROCPRIM_400000_NS6detail17trampoline_kernelINS0_13select_configILj256ELj13ELNS0_17block_load_methodE3ELS4_3ELS4_3ELNS0_20block_scan_algorithmE0ELj4294967295EEENS1_25partition_config_selectorILNS1_17partition_subalgoE4EjNS0_10empty_typeEbEEZZNS1_14partition_implILS8_4ELb0ES6_15HIP_vector_typeIjLj2EENS0_17counting_iteratorIjlEEPS9_SG_NS0_5tupleIJPjSI_NS0_16reverse_iteratorISI_EEEEENSH_IJSG_SG_SG_EEES9_SI_JZNS1_25segmented_radix_sort_implINS0_14default_configELb1EPKhPhPKlPlN2at6native12_GLOBAL__N_18offset_tEEE10hipError_tPvRmT1_PNSt15iterator_traitsIS12_E10value_typeET2_T3_PNS13_IS18_E10value_typeET4_jRbjT5_S1E_jjP12ihipStream_tbEUljE_ZNSN_ISO_Lb1ESQ_SR_ST_SU_SY_EESZ_S10_S11_S12_S16_S17_S18_S1B_S1C_jS1D_jS1E_S1E_jjS1G_bEUljE0_EEESZ_S10_S11_S18_S1C_S1E_T6_T7_T9_mT8_S1G_bDpT10_ENKUlT_T0_E_clISt17integral_constantIbLb0EES1U_EEDaS1P_S1Q_EUlS1P_E_NS1_11comp_targetILNS1_3genE4ELNS1_11target_archE910ELNS1_3gpuE8ELNS1_3repE0EEENS1_30default_config_static_selectorELNS0_4arch9wavefront6targetE0EEEvS12_
                                        ; -- End function
	.section	.AMDGPU.csdata,"",@progbits
; Kernel info:
; codeLenInByte = 0
; NumSgprs: 0
; NumVgprs: 0
; ScratchSize: 0
; MemoryBound: 0
; FloatMode: 240
; IeeeMode: 1
; LDSByteSize: 0 bytes/workgroup (compile time only)
; SGPRBlocks: 0
; VGPRBlocks: 0
; NumSGPRsForWavesPerEU: 1
; NumVGPRsForWavesPerEU: 1
; Occupancy: 16
; WaveLimiterHint : 0
; COMPUTE_PGM_RSRC2:SCRATCH_EN: 0
; COMPUTE_PGM_RSRC2:USER_SGPR: 15
; COMPUTE_PGM_RSRC2:TRAP_HANDLER: 0
; COMPUTE_PGM_RSRC2:TGID_X_EN: 1
; COMPUTE_PGM_RSRC2:TGID_Y_EN: 0
; COMPUTE_PGM_RSRC2:TGID_Z_EN: 0
; COMPUTE_PGM_RSRC2:TIDIG_COMP_CNT: 0
	.section	.text._ZN7rocprim17ROCPRIM_400000_NS6detail17trampoline_kernelINS0_13select_configILj256ELj13ELNS0_17block_load_methodE3ELS4_3ELS4_3ELNS0_20block_scan_algorithmE0ELj4294967295EEENS1_25partition_config_selectorILNS1_17partition_subalgoE4EjNS0_10empty_typeEbEEZZNS1_14partition_implILS8_4ELb0ES6_15HIP_vector_typeIjLj2EENS0_17counting_iteratorIjlEEPS9_SG_NS0_5tupleIJPjSI_NS0_16reverse_iteratorISI_EEEEENSH_IJSG_SG_SG_EEES9_SI_JZNS1_25segmented_radix_sort_implINS0_14default_configELb1EPKhPhPKlPlN2at6native12_GLOBAL__N_18offset_tEEE10hipError_tPvRmT1_PNSt15iterator_traitsIS12_E10value_typeET2_T3_PNS13_IS18_E10value_typeET4_jRbjT5_S1E_jjP12ihipStream_tbEUljE_ZNSN_ISO_Lb1ESQ_SR_ST_SU_SY_EESZ_S10_S11_S12_S16_S17_S18_S1B_S1C_jS1D_jS1E_S1E_jjS1G_bEUljE0_EEESZ_S10_S11_S18_S1C_S1E_T6_T7_T9_mT8_S1G_bDpT10_ENKUlT_T0_E_clISt17integral_constantIbLb0EES1U_EEDaS1P_S1Q_EUlS1P_E_NS1_11comp_targetILNS1_3genE3ELNS1_11target_archE908ELNS1_3gpuE7ELNS1_3repE0EEENS1_30default_config_static_selectorELNS0_4arch9wavefront6targetE0EEEvS12_,"axG",@progbits,_ZN7rocprim17ROCPRIM_400000_NS6detail17trampoline_kernelINS0_13select_configILj256ELj13ELNS0_17block_load_methodE3ELS4_3ELS4_3ELNS0_20block_scan_algorithmE0ELj4294967295EEENS1_25partition_config_selectorILNS1_17partition_subalgoE4EjNS0_10empty_typeEbEEZZNS1_14partition_implILS8_4ELb0ES6_15HIP_vector_typeIjLj2EENS0_17counting_iteratorIjlEEPS9_SG_NS0_5tupleIJPjSI_NS0_16reverse_iteratorISI_EEEEENSH_IJSG_SG_SG_EEES9_SI_JZNS1_25segmented_radix_sort_implINS0_14default_configELb1EPKhPhPKlPlN2at6native12_GLOBAL__N_18offset_tEEE10hipError_tPvRmT1_PNSt15iterator_traitsIS12_E10value_typeET2_T3_PNS13_IS18_E10value_typeET4_jRbjT5_S1E_jjP12ihipStream_tbEUljE_ZNSN_ISO_Lb1ESQ_SR_ST_SU_SY_EESZ_S10_S11_S12_S16_S17_S18_S1B_S1C_jS1D_jS1E_S1E_jjS1G_bEUljE0_EEESZ_S10_S11_S18_S1C_S1E_T6_T7_T9_mT8_S1G_bDpT10_ENKUlT_T0_E_clISt17integral_constantIbLb0EES1U_EEDaS1P_S1Q_EUlS1P_E_NS1_11comp_targetILNS1_3genE3ELNS1_11target_archE908ELNS1_3gpuE7ELNS1_3repE0EEENS1_30default_config_static_selectorELNS0_4arch9wavefront6targetE0EEEvS12_,comdat
	.globl	_ZN7rocprim17ROCPRIM_400000_NS6detail17trampoline_kernelINS0_13select_configILj256ELj13ELNS0_17block_load_methodE3ELS4_3ELS4_3ELNS0_20block_scan_algorithmE0ELj4294967295EEENS1_25partition_config_selectorILNS1_17partition_subalgoE4EjNS0_10empty_typeEbEEZZNS1_14partition_implILS8_4ELb0ES6_15HIP_vector_typeIjLj2EENS0_17counting_iteratorIjlEEPS9_SG_NS0_5tupleIJPjSI_NS0_16reverse_iteratorISI_EEEEENSH_IJSG_SG_SG_EEES9_SI_JZNS1_25segmented_radix_sort_implINS0_14default_configELb1EPKhPhPKlPlN2at6native12_GLOBAL__N_18offset_tEEE10hipError_tPvRmT1_PNSt15iterator_traitsIS12_E10value_typeET2_T3_PNS13_IS18_E10value_typeET4_jRbjT5_S1E_jjP12ihipStream_tbEUljE_ZNSN_ISO_Lb1ESQ_SR_ST_SU_SY_EESZ_S10_S11_S12_S16_S17_S18_S1B_S1C_jS1D_jS1E_S1E_jjS1G_bEUljE0_EEESZ_S10_S11_S18_S1C_S1E_T6_T7_T9_mT8_S1G_bDpT10_ENKUlT_T0_E_clISt17integral_constantIbLb0EES1U_EEDaS1P_S1Q_EUlS1P_E_NS1_11comp_targetILNS1_3genE3ELNS1_11target_archE908ELNS1_3gpuE7ELNS1_3repE0EEENS1_30default_config_static_selectorELNS0_4arch9wavefront6targetE0EEEvS12_ ; -- Begin function _ZN7rocprim17ROCPRIM_400000_NS6detail17trampoline_kernelINS0_13select_configILj256ELj13ELNS0_17block_load_methodE3ELS4_3ELS4_3ELNS0_20block_scan_algorithmE0ELj4294967295EEENS1_25partition_config_selectorILNS1_17partition_subalgoE4EjNS0_10empty_typeEbEEZZNS1_14partition_implILS8_4ELb0ES6_15HIP_vector_typeIjLj2EENS0_17counting_iteratorIjlEEPS9_SG_NS0_5tupleIJPjSI_NS0_16reverse_iteratorISI_EEEEENSH_IJSG_SG_SG_EEES9_SI_JZNS1_25segmented_radix_sort_implINS0_14default_configELb1EPKhPhPKlPlN2at6native12_GLOBAL__N_18offset_tEEE10hipError_tPvRmT1_PNSt15iterator_traitsIS12_E10value_typeET2_T3_PNS13_IS18_E10value_typeET4_jRbjT5_S1E_jjP12ihipStream_tbEUljE_ZNSN_ISO_Lb1ESQ_SR_ST_SU_SY_EESZ_S10_S11_S12_S16_S17_S18_S1B_S1C_jS1D_jS1E_S1E_jjS1G_bEUljE0_EEESZ_S10_S11_S18_S1C_S1E_T6_T7_T9_mT8_S1G_bDpT10_ENKUlT_T0_E_clISt17integral_constantIbLb0EES1U_EEDaS1P_S1Q_EUlS1P_E_NS1_11comp_targetILNS1_3genE3ELNS1_11target_archE908ELNS1_3gpuE7ELNS1_3repE0EEENS1_30default_config_static_selectorELNS0_4arch9wavefront6targetE0EEEvS12_
	.p2align	8
	.type	_ZN7rocprim17ROCPRIM_400000_NS6detail17trampoline_kernelINS0_13select_configILj256ELj13ELNS0_17block_load_methodE3ELS4_3ELS4_3ELNS0_20block_scan_algorithmE0ELj4294967295EEENS1_25partition_config_selectorILNS1_17partition_subalgoE4EjNS0_10empty_typeEbEEZZNS1_14partition_implILS8_4ELb0ES6_15HIP_vector_typeIjLj2EENS0_17counting_iteratorIjlEEPS9_SG_NS0_5tupleIJPjSI_NS0_16reverse_iteratorISI_EEEEENSH_IJSG_SG_SG_EEES9_SI_JZNS1_25segmented_radix_sort_implINS0_14default_configELb1EPKhPhPKlPlN2at6native12_GLOBAL__N_18offset_tEEE10hipError_tPvRmT1_PNSt15iterator_traitsIS12_E10value_typeET2_T3_PNS13_IS18_E10value_typeET4_jRbjT5_S1E_jjP12ihipStream_tbEUljE_ZNSN_ISO_Lb1ESQ_SR_ST_SU_SY_EESZ_S10_S11_S12_S16_S17_S18_S1B_S1C_jS1D_jS1E_S1E_jjS1G_bEUljE0_EEESZ_S10_S11_S18_S1C_S1E_T6_T7_T9_mT8_S1G_bDpT10_ENKUlT_T0_E_clISt17integral_constantIbLb0EES1U_EEDaS1P_S1Q_EUlS1P_E_NS1_11comp_targetILNS1_3genE3ELNS1_11target_archE908ELNS1_3gpuE7ELNS1_3repE0EEENS1_30default_config_static_selectorELNS0_4arch9wavefront6targetE0EEEvS12_,@function
_ZN7rocprim17ROCPRIM_400000_NS6detail17trampoline_kernelINS0_13select_configILj256ELj13ELNS0_17block_load_methodE3ELS4_3ELS4_3ELNS0_20block_scan_algorithmE0ELj4294967295EEENS1_25partition_config_selectorILNS1_17partition_subalgoE4EjNS0_10empty_typeEbEEZZNS1_14partition_implILS8_4ELb0ES6_15HIP_vector_typeIjLj2EENS0_17counting_iteratorIjlEEPS9_SG_NS0_5tupleIJPjSI_NS0_16reverse_iteratorISI_EEEEENSH_IJSG_SG_SG_EEES9_SI_JZNS1_25segmented_radix_sort_implINS0_14default_configELb1EPKhPhPKlPlN2at6native12_GLOBAL__N_18offset_tEEE10hipError_tPvRmT1_PNSt15iterator_traitsIS12_E10value_typeET2_T3_PNS13_IS18_E10value_typeET4_jRbjT5_S1E_jjP12ihipStream_tbEUljE_ZNSN_ISO_Lb1ESQ_SR_ST_SU_SY_EESZ_S10_S11_S12_S16_S17_S18_S1B_S1C_jS1D_jS1E_S1E_jjS1G_bEUljE0_EEESZ_S10_S11_S18_S1C_S1E_T6_T7_T9_mT8_S1G_bDpT10_ENKUlT_T0_E_clISt17integral_constantIbLb0EES1U_EEDaS1P_S1Q_EUlS1P_E_NS1_11comp_targetILNS1_3genE3ELNS1_11target_archE908ELNS1_3gpuE7ELNS1_3repE0EEENS1_30default_config_static_selectorELNS0_4arch9wavefront6targetE0EEEvS12_: ; @_ZN7rocprim17ROCPRIM_400000_NS6detail17trampoline_kernelINS0_13select_configILj256ELj13ELNS0_17block_load_methodE3ELS4_3ELS4_3ELNS0_20block_scan_algorithmE0ELj4294967295EEENS1_25partition_config_selectorILNS1_17partition_subalgoE4EjNS0_10empty_typeEbEEZZNS1_14partition_implILS8_4ELb0ES6_15HIP_vector_typeIjLj2EENS0_17counting_iteratorIjlEEPS9_SG_NS0_5tupleIJPjSI_NS0_16reverse_iteratorISI_EEEEENSH_IJSG_SG_SG_EEES9_SI_JZNS1_25segmented_radix_sort_implINS0_14default_configELb1EPKhPhPKlPlN2at6native12_GLOBAL__N_18offset_tEEE10hipError_tPvRmT1_PNSt15iterator_traitsIS12_E10value_typeET2_T3_PNS13_IS18_E10value_typeET4_jRbjT5_S1E_jjP12ihipStream_tbEUljE_ZNSN_ISO_Lb1ESQ_SR_ST_SU_SY_EESZ_S10_S11_S12_S16_S17_S18_S1B_S1C_jS1D_jS1E_S1E_jjS1G_bEUljE0_EEESZ_S10_S11_S18_S1C_S1E_T6_T7_T9_mT8_S1G_bDpT10_ENKUlT_T0_E_clISt17integral_constantIbLb0EES1U_EEDaS1P_S1Q_EUlS1P_E_NS1_11comp_targetILNS1_3genE3ELNS1_11target_archE908ELNS1_3gpuE7ELNS1_3repE0EEENS1_30default_config_static_selectorELNS0_4arch9wavefront6targetE0EEEvS12_
; %bb.0:
	.section	.rodata,"a",@progbits
	.p2align	6, 0x0
	.amdhsa_kernel _ZN7rocprim17ROCPRIM_400000_NS6detail17trampoline_kernelINS0_13select_configILj256ELj13ELNS0_17block_load_methodE3ELS4_3ELS4_3ELNS0_20block_scan_algorithmE0ELj4294967295EEENS1_25partition_config_selectorILNS1_17partition_subalgoE4EjNS0_10empty_typeEbEEZZNS1_14partition_implILS8_4ELb0ES6_15HIP_vector_typeIjLj2EENS0_17counting_iteratorIjlEEPS9_SG_NS0_5tupleIJPjSI_NS0_16reverse_iteratorISI_EEEEENSH_IJSG_SG_SG_EEES9_SI_JZNS1_25segmented_radix_sort_implINS0_14default_configELb1EPKhPhPKlPlN2at6native12_GLOBAL__N_18offset_tEEE10hipError_tPvRmT1_PNSt15iterator_traitsIS12_E10value_typeET2_T3_PNS13_IS18_E10value_typeET4_jRbjT5_S1E_jjP12ihipStream_tbEUljE_ZNSN_ISO_Lb1ESQ_SR_ST_SU_SY_EESZ_S10_S11_S12_S16_S17_S18_S1B_S1C_jS1D_jS1E_S1E_jjS1G_bEUljE0_EEESZ_S10_S11_S18_S1C_S1E_T6_T7_T9_mT8_S1G_bDpT10_ENKUlT_T0_E_clISt17integral_constantIbLb0EES1U_EEDaS1P_S1Q_EUlS1P_E_NS1_11comp_targetILNS1_3genE3ELNS1_11target_archE908ELNS1_3gpuE7ELNS1_3repE0EEENS1_30default_config_static_selectorELNS0_4arch9wavefront6targetE0EEEvS12_
		.amdhsa_group_segment_fixed_size 0
		.amdhsa_private_segment_fixed_size 0
		.amdhsa_kernarg_size 176
		.amdhsa_user_sgpr_count 15
		.amdhsa_user_sgpr_dispatch_ptr 0
		.amdhsa_user_sgpr_queue_ptr 0
		.amdhsa_user_sgpr_kernarg_segment_ptr 1
		.amdhsa_user_sgpr_dispatch_id 0
		.amdhsa_user_sgpr_private_segment_size 0
		.amdhsa_wavefront_size32 1
		.amdhsa_uses_dynamic_stack 0
		.amdhsa_enable_private_segment 0
		.amdhsa_system_sgpr_workgroup_id_x 1
		.amdhsa_system_sgpr_workgroup_id_y 0
		.amdhsa_system_sgpr_workgroup_id_z 0
		.amdhsa_system_sgpr_workgroup_info 0
		.amdhsa_system_vgpr_workitem_id 0
		.amdhsa_next_free_vgpr 1
		.amdhsa_next_free_sgpr 1
		.amdhsa_reserve_vcc 0
		.amdhsa_float_round_mode_32 0
		.amdhsa_float_round_mode_16_64 0
		.amdhsa_float_denorm_mode_32 3
		.amdhsa_float_denorm_mode_16_64 3
		.amdhsa_dx10_clamp 1
		.amdhsa_ieee_mode 1
		.amdhsa_fp16_overflow 0
		.amdhsa_workgroup_processor_mode 1
		.amdhsa_memory_ordered 1
		.amdhsa_forward_progress 0
		.amdhsa_shared_vgpr_count 0
		.amdhsa_exception_fp_ieee_invalid_op 0
		.amdhsa_exception_fp_denorm_src 0
		.amdhsa_exception_fp_ieee_div_zero 0
		.amdhsa_exception_fp_ieee_overflow 0
		.amdhsa_exception_fp_ieee_underflow 0
		.amdhsa_exception_fp_ieee_inexact 0
		.amdhsa_exception_int_div_zero 0
	.end_amdhsa_kernel
	.section	.text._ZN7rocprim17ROCPRIM_400000_NS6detail17trampoline_kernelINS0_13select_configILj256ELj13ELNS0_17block_load_methodE3ELS4_3ELS4_3ELNS0_20block_scan_algorithmE0ELj4294967295EEENS1_25partition_config_selectorILNS1_17partition_subalgoE4EjNS0_10empty_typeEbEEZZNS1_14partition_implILS8_4ELb0ES6_15HIP_vector_typeIjLj2EENS0_17counting_iteratorIjlEEPS9_SG_NS0_5tupleIJPjSI_NS0_16reverse_iteratorISI_EEEEENSH_IJSG_SG_SG_EEES9_SI_JZNS1_25segmented_radix_sort_implINS0_14default_configELb1EPKhPhPKlPlN2at6native12_GLOBAL__N_18offset_tEEE10hipError_tPvRmT1_PNSt15iterator_traitsIS12_E10value_typeET2_T3_PNS13_IS18_E10value_typeET4_jRbjT5_S1E_jjP12ihipStream_tbEUljE_ZNSN_ISO_Lb1ESQ_SR_ST_SU_SY_EESZ_S10_S11_S12_S16_S17_S18_S1B_S1C_jS1D_jS1E_S1E_jjS1G_bEUljE0_EEESZ_S10_S11_S18_S1C_S1E_T6_T7_T9_mT8_S1G_bDpT10_ENKUlT_T0_E_clISt17integral_constantIbLb0EES1U_EEDaS1P_S1Q_EUlS1P_E_NS1_11comp_targetILNS1_3genE3ELNS1_11target_archE908ELNS1_3gpuE7ELNS1_3repE0EEENS1_30default_config_static_selectorELNS0_4arch9wavefront6targetE0EEEvS12_,"axG",@progbits,_ZN7rocprim17ROCPRIM_400000_NS6detail17trampoline_kernelINS0_13select_configILj256ELj13ELNS0_17block_load_methodE3ELS4_3ELS4_3ELNS0_20block_scan_algorithmE0ELj4294967295EEENS1_25partition_config_selectorILNS1_17partition_subalgoE4EjNS0_10empty_typeEbEEZZNS1_14partition_implILS8_4ELb0ES6_15HIP_vector_typeIjLj2EENS0_17counting_iteratorIjlEEPS9_SG_NS0_5tupleIJPjSI_NS0_16reverse_iteratorISI_EEEEENSH_IJSG_SG_SG_EEES9_SI_JZNS1_25segmented_radix_sort_implINS0_14default_configELb1EPKhPhPKlPlN2at6native12_GLOBAL__N_18offset_tEEE10hipError_tPvRmT1_PNSt15iterator_traitsIS12_E10value_typeET2_T3_PNS13_IS18_E10value_typeET4_jRbjT5_S1E_jjP12ihipStream_tbEUljE_ZNSN_ISO_Lb1ESQ_SR_ST_SU_SY_EESZ_S10_S11_S12_S16_S17_S18_S1B_S1C_jS1D_jS1E_S1E_jjS1G_bEUljE0_EEESZ_S10_S11_S18_S1C_S1E_T6_T7_T9_mT8_S1G_bDpT10_ENKUlT_T0_E_clISt17integral_constantIbLb0EES1U_EEDaS1P_S1Q_EUlS1P_E_NS1_11comp_targetILNS1_3genE3ELNS1_11target_archE908ELNS1_3gpuE7ELNS1_3repE0EEENS1_30default_config_static_selectorELNS0_4arch9wavefront6targetE0EEEvS12_,comdat
.Lfunc_end7:
	.size	_ZN7rocprim17ROCPRIM_400000_NS6detail17trampoline_kernelINS0_13select_configILj256ELj13ELNS0_17block_load_methodE3ELS4_3ELS4_3ELNS0_20block_scan_algorithmE0ELj4294967295EEENS1_25partition_config_selectorILNS1_17partition_subalgoE4EjNS0_10empty_typeEbEEZZNS1_14partition_implILS8_4ELb0ES6_15HIP_vector_typeIjLj2EENS0_17counting_iteratorIjlEEPS9_SG_NS0_5tupleIJPjSI_NS0_16reverse_iteratorISI_EEEEENSH_IJSG_SG_SG_EEES9_SI_JZNS1_25segmented_radix_sort_implINS0_14default_configELb1EPKhPhPKlPlN2at6native12_GLOBAL__N_18offset_tEEE10hipError_tPvRmT1_PNSt15iterator_traitsIS12_E10value_typeET2_T3_PNS13_IS18_E10value_typeET4_jRbjT5_S1E_jjP12ihipStream_tbEUljE_ZNSN_ISO_Lb1ESQ_SR_ST_SU_SY_EESZ_S10_S11_S12_S16_S17_S18_S1B_S1C_jS1D_jS1E_S1E_jjS1G_bEUljE0_EEESZ_S10_S11_S18_S1C_S1E_T6_T7_T9_mT8_S1G_bDpT10_ENKUlT_T0_E_clISt17integral_constantIbLb0EES1U_EEDaS1P_S1Q_EUlS1P_E_NS1_11comp_targetILNS1_3genE3ELNS1_11target_archE908ELNS1_3gpuE7ELNS1_3repE0EEENS1_30default_config_static_selectorELNS0_4arch9wavefront6targetE0EEEvS12_, .Lfunc_end7-_ZN7rocprim17ROCPRIM_400000_NS6detail17trampoline_kernelINS0_13select_configILj256ELj13ELNS0_17block_load_methodE3ELS4_3ELS4_3ELNS0_20block_scan_algorithmE0ELj4294967295EEENS1_25partition_config_selectorILNS1_17partition_subalgoE4EjNS0_10empty_typeEbEEZZNS1_14partition_implILS8_4ELb0ES6_15HIP_vector_typeIjLj2EENS0_17counting_iteratorIjlEEPS9_SG_NS0_5tupleIJPjSI_NS0_16reverse_iteratorISI_EEEEENSH_IJSG_SG_SG_EEES9_SI_JZNS1_25segmented_radix_sort_implINS0_14default_configELb1EPKhPhPKlPlN2at6native12_GLOBAL__N_18offset_tEEE10hipError_tPvRmT1_PNSt15iterator_traitsIS12_E10value_typeET2_T3_PNS13_IS18_E10value_typeET4_jRbjT5_S1E_jjP12ihipStream_tbEUljE_ZNSN_ISO_Lb1ESQ_SR_ST_SU_SY_EESZ_S10_S11_S12_S16_S17_S18_S1B_S1C_jS1D_jS1E_S1E_jjS1G_bEUljE0_EEESZ_S10_S11_S18_S1C_S1E_T6_T7_T9_mT8_S1G_bDpT10_ENKUlT_T0_E_clISt17integral_constantIbLb0EES1U_EEDaS1P_S1Q_EUlS1P_E_NS1_11comp_targetILNS1_3genE3ELNS1_11target_archE908ELNS1_3gpuE7ELNS1_3repE0EEENS1_30default_config_static_selectorELNS0_4arch9wavefront6targetE0EEEvS12_
                                        ; -- End function
	.section	.AMDGPU.csdata,"",@progbits
; Kernel info:
; codeLenInByte = 0
; NumSgprs: 0
; NumVgprs: 0
; ScratchSize: 0
; MemoryBound: 0
; FloatMode: 240
; IeeeMode: 1
; LDSByteSize: 0 bytes/workgroup (compile time only)
; SGPRBlocks: 0
; VGPRBlocks: 0
; NumSGPRsForWavesPerEU: 1
; NumVGPRsForWavesPerEU: 1
; Occupancy: 16
; WaveLimiterHint : 0
; COMPUTE_PGM_RSRC2:SCRATCH_EN: 0
; COMPUTE_PGM_RSRC2:USER_SGPR: 15
; COMPUTE_PGM_RSRC2:TRAP_HANDLER: 0
; COMPUTE_PGM_RSRC2:TGID_X_EN: 1
; COMPUTE_PGM_RSRC2:TGID_Y_EN: 0
; COMPUTE_PGM_RSRC2:TGID_Z_EN: 0
; COMPUTE_PGM_RSRC2:TIDIG_COMP_CNT: 0
	.section	.text._ZN7rocprim17ROCPRIM_400000_NS6detail17trampoline_kernelINS0_13select_configILj256ELj13ELNS0_17block_load_methodE3ELS4_3ELS4_3ELNS0_20block_scan_algorithmE0ELj4294967295EEENS1_25partition_config_selectorILNS1_17partition_subalgoE4EjNS0_10empty_typeEbEEZZNS1_14partition_implILS8_4ELb0ES6_15HIP_vector_typeIjLj2EENS0_17counting_iteratorIjlEEPS9_SG_NS0_5tupleIJPjSI_NS0_16reverse_iteratorISI_EEEEENSH_IJSG_SG_SG_EEES9_SI_JZNS1_25segmented_radix_sort_implINS0_14default_configELb1EPKhPhPKlPlN2at6native12_GLOBAL__N_18offset_tEEE10hipError_tPvRmT1_PNSt15iterator_traitsIS12_E10value_typeET2_T3_PNS13_IS18_E10value_typeET4_jRbjT5_S1E_jjP12ihipStream_tbEUljE_ZNSN_ISO_Lb1ESQ_SR_ST_SU_SY_EESZ_S10_S11_S12_S16_S17_S18_S1B_S1C_jS1D_jS1E_S1E_jjS1G_bEUljE0_EEESZ_S10_S11_S18_S1C_S1E_T6_T7_T9_mT8_S1G_bDpT10_ENKUlT_T0_E_clISt17integral_constantIbLb0EES1U_EEDaS1P_S1Q_EUlS1P_E_NS1_11comp_targetILNS1_3genE2ELNS1_11target_archE906ELNS1_3gpuE6ELNS1_3repE0EEENS1_30default_config_static_selectorELNS0_4arch9wavefront6targetE0EEEvS12_,"axG",@progbits,_ZN7rocprim17ROCPRIM_400000_NS6detail17trampoline_kernelINS0_13select_configILj256ELj13ELNS0_17block_load_methodE3ELS4_3ELS4_3ELNS0_20block_scan_algorithmE0ELj4294967295EEENS1_25partition_config_selectorILNS1_17partition_subalgoE4EjNS0_10empty_typeEbEEZZNS1_14partition_implILS8_4ELb0ES6_15HIP_vector_typeIjLj2EENS0_17counting_iteratorIjlEEPS9_SG_NS0_5tupleIJPjSI_NS0_16reverse_iteratorISI_EEEEENSH_IJSG_SG_SG_EEES9_SI_JZNS1_25segmented_radix_sort_implINS0_14default_configELb1EPKhPhPKlPlN2at6native12_GLOBAL__N_18offset_tEEE10hipError_tPvRmT1_PNSt15iterator_traitsIS12_E10value_typeET2_T3_PNS13_IS18_E10value_typeET4_jRbjT5_S1E_jjP12ihipStream_tbEUljE_ZNSN_ISO_Lb1ESQ_SR_ST_SU_SY_EESZ_S10_S11_S12_S16_S17_S18_S1B_S1C_jS1D_jS1E_S1E_jjS1G_bEUljE0_EEESZ_S10_S11_S18_S1C_S1E_T6_T7_T9_mT8_S1G_bDpT10_ENKUlT_T0_E_clISt17integral_constantIbLb0EES1U_EEDaS1P_S1Q_EUlS1P_E_NS1_11comp_targetILNS1_3genE2ELNS1_11target_archE906ELNS1_3gpuE6ELNS1_3repE0EEENS1_30default_config_static_selectorELNS0_4arch9wavefront6targetE0EEEvS12_,comdat
	.globl	_ZN7rocprim17ROCPRIM_400000_NS6detail17trampoline_kernelINS0_13select_configILj256ELj13ELNS0_17block_load_methodE3ELS4_3ELS4_3ELNS0_20block_scan_algorithmE0ELj4294967295EEENS1_25partition_config_selectorILNS1_17partition_subalgoE4EjNS0_10empty_typeEbEEZZNS1_14partition_implILS8_4ELb0ES6_15HIP_vector_typeIjLj2EENS0_17counting_iteratorIjlEEPS9_SG_NS0_5tupleIJPjSI_NS0_16reverse_iteratorISI_EEEEENSH_IJSG_SG_SG_EEES9_SI_JZNS1_25segmented_radix_sort_implINS0_14default_configELb1EPKhPhPKlPlN2at6native12_GLOBAL__N_18offset_tEEE10hipError_tPvRmT1_PNSt15iterator_traitsIS12_E10value_typeET2_T3_PNS13_IS18_E10value_typeET4_jRbjT5_S1E_jjP12ihipStream_tbEUljE_ZNSN_ISO_Lb1ESQ_SR_ST_SU_SY_EESZ_S10_S11_S12_S16_S17_S18_S1B_S1C_jS1D_jS1E_S1E_jjS1G_bEUljE0_EEESZ_S10_S11_S18_S1C_S1E_T6_T7_T9_mT8_S1G_bDpT10_ENKUlT_T0_E_clISt17integral_constantIbLb0EES1U_EEDaS1P_S1Q_EUlS1P_E_NS1_11comp_targetILNS1_3genE2ELNS1_11target_archE906ELNS1_3gpuE6ELNS1_3repE0EEENS1_30default_config_static_selectorELNS0_4arch9wavefront6targetE0EEEvS12_ ; -- Begin function _ZN7rocprim17ROCPRIM_400000_NS6detail17trampoline_kernelINS0_13select_configILj256ELj13ELNS0_17block_load_methodE3ELS4_3ELS4_3ELNS0_20block_scan_algorithmE0ELj4294967295EEENS1_25partition_config_selectorILNS1_17partition_subalgoE4EjNS0_10empty_typeEbEEZZNS1_14partition_implILS8_4ELb0ES6_15HIP_vector_typeIjLj2EENS0_17counting_iteratorIjlEEPS9_SG_NS0_5tupleIJPjSI_NS0_16reverse_iteratorISI_EEEEENSH_IJSG_SG_SG_EEES9_SI_JZNS1_25segmented_radix_sort_implINS0_14default_configELb1EPKhPhPKlPlN2at6native12_GLOBAL__N_18offset_tEEE10hipError_tPvRmT1_PNSt15iterator_traitsIS12_E10value_typeET2_T3_PNS13_IS18_E10value_typeET4_jRbjT5_S1E_jjP12ihipStream_tbEUljE_ZNSN_ISO_Lb1ESQ_SR_ST_SU_SY_EESZ_S10_S11_S12_S16_S17_S18_S1B_S1C_jS1D_jS1E_S1E_jjS1G_bEUljE0_EEESZ_S10_S11_S18_S1C_S1E_T6_T7_T9_mT8_S1G_bDpT10_ENKUlT_T0_E_clISt17integral_constantIbLb0EES1U_EEDaS1P_S1Q_EUlS1P_E_NS1_11comp_targetILNS1_3genE2ELNS1_11target_archE906ELNS1_3gpuE6ELNS1_3repE0EEENS1_30default_config_static_selectorELNS0_4arch9wavefront6targetE0EEEvS12_
	.p2align	8
	.type	_ZN7rocprim17ROCPRIM_400000_NS6detail17trampoline_kernelINS0_13select_configILj256ELj13ELNS0_17block_load_methodE3ELS4_3ELS4_3ELNS0_20block_scan_algorithmE0ELj4294967295EEENS1_25partition_config_selectorILNS1_17partition_subalgoE4EjNS0_10empty_typeEbEEZZNS1_14partition_implILS8_4ELb0ES6_15HIP_vector_typeIjLj2EENS0_17counting_iteratorIjlEEPS9_SG_NS0_5tupleIJPjSI_NS0_16reverse_iteratorISI_EEEEENSH_IJSG_SG_SG_EEES9_SI_JZNS1_25segmented_radix_sort_implINS0_14default_configELb1EPKhPhPKlPlN2at6native12_GLOBAL__N_18offset_tEEE10hipError_tPvRmT1_PNSt15iterator_traitsIS12_E10value_typeET2_T3_PNS13_IS18_E10value_typeET4_jRbjT5_S1E_jjP12ihipStream_tbEUljE_ZNSN_ISO_Lb1ESQ_SR_ST_SU_SY_EESZ_S10_S11_S12_S16_S17_S18_S1B_S1C_jS1D_jS1E_S1E_jjS1G_bEUljE0_EEESZ_S10_S11_S18_S1C_S1E_T6_T7_T9_mT8_S1G_bDpT10_ENKUlT_T0_E_clISt17integral_constantIbLb0EES1U_EEDaS1P_S1Q_EUlS1P_E_NS1_11comp_targetILNS1_3genE2ELNS1_11target_archE906ELNS1_3gpuE6ELNS1_3repE0EEENS1_30default_config_static_selectorELNS0_4arch9wavefront6targetE0EEEvS12_,@function
_ZN7rocprim17ROCPRIM_400000_NS6detail17trampoline_kernelINS0_13select_configILj256ELj13ELNS0_17block_load_methodE3ELS4_3ELS4_3ELNS0_20block_scan_algorithmE0ELj4294967295EEENS1_25partition_config_selectorILNS1_17partition_subalgoE4EjNS0_10empty_typeEbEEZZNS1_14partition_implILS8_4ELb0ES6_15HIP_vector_typeIjLj2EENS0_17counting_iteratorIjlEEPS9_SG_NS0_5tupleIJPjSI_NS0_16reverse_iteratorISI_EEEEENSH_IJSG_SG_SG_EEES9_SI_JZNS1_25segmented_radix_sort_implINS0_14default_configELb1EPKhPhPKlPlN2at6native12_GLOBAL__N_18offset_tEEE10hipError_tPvRmT1_PNSt15iterator_traitsIS12_E10value_typeET2_T3_PNS13_IS18_E10value_typeET4_jRbjT5_S1E_jjP12ihipStream_tbEUljE_ZNSN_ISO_Lb1ESQ_SR_ST_SU_SY_EESZ_S10_S11_S12_S16_S17_S18_S1B_S1C_jS1D_jS1E_S1E_jjS1G_bEUljE0_EEESZ_S10_S11_S18_S1C_S1E_T6_T7_T9_mT8_S1G_bDpT10_ENKUlT_T0_E_clISt17integral_constantIbLb0EES1U_EEDaS1P_S1Q_EUlS1P_E_NS1_11comp_targetILNS1_3genE2ELNS1_11target_archE906ELNS1_3gpuE6ELNS1_3repE0EEENS1_30default_config_static_selectorELNS0_4arch9wavefront6targetE0EEEvS12_: ; @_ZN7rocprim17ROCPRIM_400000_NS6detail17trampoline_kernelINS0_13select_configILj256ELj13ELNS0_17block_load_methodE3ELS4_3ELS4_3ELNS0_20block_scan_algorithmE0ELj4294967295EEENS1_25partition_config_selectorILNS1_17partition_subalgoE4EjNS0_10empty_typeEbEEZZNS1_14partition_implILS8_4ELb0ES6_15HIP_vector_typeIjLj2EENS0_17counting_iteratorIjlEEPS9_SG_NS0_5tupleIJPjSI_NS0_16reverse_iteratorISI_EEEEENSH_IJSG_SG_SG_EEES9_SI_JZNS1_25segmented_radix_sort_implINS0_14default_configELb1EPKhPhPKlPlN2at6native12_GLOBAL__N_18offset_tEEE10hipError_tPvRmT1_PNSt15iterator_traitsIS12_E10value_typeET2_T3_PNS13_IS18_E10value_typeET4_jRbjT5_S1E_jjP12ihipStream_tbEUljE_ZNSN_ISO_Lb1ESQ_SR_ST_SU_SY_EESZ_S10_S11_S12_S16_S17_S18_S1B_S1C_jS1D_jS1E_S1E_jjS1G_bEUljE0_EEESZ_S10_S11_S18_S1C_S1E_T6_T7_T9_mT8_S1G_bDpT10_ENKUlT_T0_E_clISt17integral_constantIbLb0EES1U_EEDaS1P_S1Q_EUlS1P_E_NS1_11comp_targetILNS1_3genE2ELNS1_11target_archE906ELNS1_3gpuE6ELNS1_3repE0EEENS1_30default_config_static_selectorELNS0_4arch9wavefront6targetE0EEEvS12_
; %bb.0:
	.section	.rodata,"a",@progbits
	.p2align	6, 0x0
	.amdhsa_kernel _ZN7rocprim17ROCPRIM_400000_NS6detail17trampoline_kernelINS0_13select_configILj256ELj13ELNS0_17block_load_methodE3ELS4_3ELS4_3ELNS0_20block_scan_algorithmE0ELj4294967295EEENS1_25partition_config_selectorILNS1_17partition_subalgoE4EjNS0_10empty_typeEbEEZZNS1_14partition_implILS8_4ELb0ES6_15HIP_vector_typeIjLj2EENS0_17counting_iteratorIjlEEPS9_SG_NS0_5tupleIJPjSI_NS0_16reverse_iteratorISI_EEEEENSH_IJSG_SG_SG_EEES9_SI_JZNS1_25segmented_radix_sort_implINS0_14default_configELb1EPKhPhPKlPlN2at6native12_GLOBAL__N_18offset_tEEE10hipError_tPvRmT1_PNSt15iterator_traitsIS12_E10value_typeET2_T3_PNS13_IS18_E10value_typeET4_jRbjT5_S1E_jjP12ihipStream_tbEUljE_ZNSN_ISO_Lb1ESQ_SR_ST_SU_SY_EESZ_S10_S11_S12_S16_S17_S18_S1B_S1C_jS1D_jS1E_S1E_jjS1G_bEUljE0_EEESZ_S10_S11_S18_S1C_S1E_T6_T7_T9_mT8_S1G_bDpT10_ENKUlT_T0_E_clISt17integral_constantIbLb0EES1U_EEDaS1P_S1Q_EUlS1P_E_NS1_11comp_targetILNS1_3genE2ELNS1_11target_archE906ELNS1_3gpuE6ELNS1_3repE0EEENS1_30default_config_static_selectorELNS0_4arch9wavefront6targetE0EEEvS12_
		.amdhsa_group_segment_fixed_size 0
		.amdhsa_private_segment_fixed_size 0
		.amdhsa_kernarg_size 176
		.amdhsa_user_sgpr_count 15
		.amdhsa_user_sgpr_dispatch_ptr 0
		.amdhsa_user_sgpr_queue_ptr 0
		.amdhsa_user_sgpr_kernarg_segment_ptr 1
		.amdhsa_user_sgpr_dispatch_id 0
		.amdhsa_user_sgpr_private_segment_size 0
		.amdhsa_wavefront_size32 1
		.amdhsa_uses_dynamic_stack 0
		.amdhsa_enable_private_segment 0
		.amdhsa_system_sgpr_workgroup_id_x 1
		.amdhsa_system_sgpr_workgroup_id_y 0
		.amdhsa_system_sgpr_workgroup_id_z 0
		.amdhsa_system_sgpr_workgroup_info 0
		.amdhsa_system_vgpr_workitem_id 0
		.amdhsa_next_free_vgpr 1
		.amdhsa_next_free_sgpr 1
		.amdhsa_reserve_vcc 0
		.amdhsa_float_round_mode_32 0
		.amdhsa_float_round_mode_16_64 0
		.amdhsa_float_denorm_mode_32 3
		.amdhsa_float_denorm_mode_16_64 3
		.amdhsa_dx10_clamp 1
		.amdhsa_ieee_mode 1
		.amdhsa_fp16_overflow 0
		.amdhsa_workgroup_processor_mode 1
		.amdhsa_memory_ordered 1
		.amdhsa_forward_progress 0
		.amdhsa_shared_vgpr_count 0
		.amdhsa_exception_fp_ieee_invalid_op 0
		.amdhsa_exception_fp_denorm_src 0
		.amdhsa_exception_fp_ieee_div_zero 0
		.amdhsa_exception_fp_ieee_overflow 0
		.amdhsa_exception_fp_ieee_underflow 0
		.amdhsa_exception_fp_ieee_inexact 0
		.amdhsa_exception_int_div_zero 0
	.end_amdhsa_kernel
	.section	.text._ZN7rocprim17ROCPRIM_400000_NS6detail17trampoline_kernelINS0_13select_configILj256ELj13ELNS0_17block_load_methodE3ELS4_3ELS4_3ELNS0_20block_scan_algorithmE0ELj4294967295EEENS1_25partition_config_selectorILNS1_17partition_subalgoE4EjNS0_10empty_typeEbEEZZNS1_14partition_implILS8_4ELb0ES6_15HIP_vector_typeIjLj2EENS0_17counting_iteratorIjlEEPS9_SG_NS0_5tupleIJPjSI_NS0_16reverse_iteratorISI_EEEEENSH_IJSG_SG_SG_EEES9_SI_JZNS1_25segmented_radix_sort_implINS0_14default_configELb1EPKhPhPKlPlN2at6native12_GLOBAL__N_18offset_tEEE10hipError_tPvRmT1_PNSt15iterator_traitsIS12_E10value_typeET2_T3_PNS13_IS18_E10value_typeET4_jRbjT5_S1E_jjP12ihipStream_tbEUljE_ZNSN_ISO_Lb1ESQ_SR_ST_SU_SY_EESZ_S10_S11_S12_S16_S17_S18_S1B_S1C_jS1D_jS1E_S1E_jjS1G_bEUljE0_EEESZ_S10_S11_S18_S1C_S1E_T6_T7_T9_mT8_S1G_bDpT10_ENKUlT_T0_E_clISt17integral_constantIbLb0EES1U_EEDaS1P_S1Q_EUlS1P_E_NS1_11comp_targetILNS1_3genE2ELNS1_11target_archE906ELNS1_3gpuE6ELNS1_3repE0EEENS1_30default_config_static_selectorELNS0_4arch9wavefront6targetE0EEEvS12_,"axG",@progbits,_ZN7rocprim17ROCPRIM_400000_NS6detail17trampoline_kernelINS0_13select_configILj256ELj13ELNS0_17block_load_methodE3ELS4_3ELS4_3ELNS0_20block_scan_algorithmE0ELj4294967295EEENS1_25partition_config_selectorILNS1_17partition_subalgoE4EjNS0_10empty_typeEbEEZZNS1_14partition_implILS8_4ELb0ES6_15HIP_vector_typeIjLj2EENS0_17counting_iteratorIjlEEPS9_SG_NS0_5tupleIJPjSI_NS0_16reverse_iteratorISI_EEEEENSH_IJSG_SG_SG_EEES9_SI_JZNS1_25segmented_radix_sort_implINS0_14default_configELb1EPKhPhPKlPlN2at6native12_GLOBAL__N_18offset_tEEE10hipError_tPvRmT1_PNSt15iterator_traitsIS12_E10value_typeET2_T3_PNS13_IS18_E10value_typeET4_jRbjT5_S1E_jjP12ihipStream_tbEUljE_ZNSN_ISO_Lb1ESQ_SR_ST_SU_SY_EESZ_S10_S11_S12_S16_S17_S18_S1B_S1C_jS1D_jS1E_S1E_jjS1G_bEUljE0_EEESZ_S10_S11_S18_S1C_S1E_T6_T7_T9_mT8_S1G_bDpT10_ENKUlT_T0_E_clISt17integral_constantIbLb0EES1U_EEDaS1P_S1Q_EUlS1P_E_NS1_11comp_targetILNS1_3genE2ELNS1_11target_archE906ELNS1_3gpuE6ELNS1_3repE0EEENS1_30default_config_static_selectorELNS0_4arch9wavefront6targetE0EEEvS12_,comdat
.Lfunc_end8:
	.size	_ZN7rocprim17ROCPRIM_400000_NS6detail17trampoline_kernelINS0_13select_configILj256ELj13ELNS0_17block_load_methodE3ELS4_3ELS4_3ELNS0_20block_scan_algorithmE0ELj4294967295EEENS1_25partition_config_selectorILNS1_17partition_subalgoE4EjNS0_10empty_typeEbEEZZNS1_14partition_implILS8_4ELb0ES6_15HIP_vector_typeIjLj2EENS0_17counting_iteratorIjlEEPS9_SG_NS0_5tupleIJPjSI_NS0_16reverse_iteratorISI_EEEEENSH_IJSG_SG_SG_EEES9_SI_JZNS1_25segmented_radix_sort_implINS0_14default_configELb1EPKhPhPKlPlN2at6native12_GLOBAL__N_18offset_tEEE10hipError_tPvRmT1_PNSt15iterator_traitsIS12_E10value_typeET2_T3_PNS13_IS18_E10value_typeET4_jRbjT5_S1E_jjP12ihipStream_tbEUljE_ZNSN_ISO_Lb1ESQ_SR_ST_SU_SY_EESZ_S10_S11_S12_S16_S17_S18_S1B_S1C_jS1D_jS1E_S1E_jjS1G_bEUljE0_EEESZ_S10_S11_S18_S1C_S1E_T6_T7_T9_mT8_S1G_bDpT10_ENKUlT_T0_E_clISt17integral_constantIbLb0EES1U_EEDaS1P_S1Q_EUlS1P_E_NS1_11comp_targetILNS1_3genE2ELNS1_11target_archE906ELNS1_3gpuE6ELNS1_3repE0EEENS1_30default_config_static_selectorELNS0_4arch9wavefront6targetE0EEEvS12_, .Lfunc_end8-_ZN7rocprim17ROCPRIM_400000_NS6detail17trampoline_kernelINS0_13select_configILj256ELj13ELNS0_17block_load_methodE3ELS4_3ELS4_3ELNS0_20block_scan_algorithmE0ELj4294967295EEENS1_25partition_config_selectorILNS1_17partition_subalgoE4EjNS0_10empty_typeEbEEZZNS1_14partition_implILS8_4ELb0ES6_15HIP_vector_typeIjLj2EENS0_17counting_iteratorIjlEEPS9_SG_NS0_5tupleIJPjSI_NS0_16reverse_iteratorISI_EEEEENSH_IJSG_SG_SG_EEES9_SI_JZNS1_25segmented_radix_sort_implINS0_14default_configELb1EPKhPhPKlPlN2at6native12_GLOBAL__N_18offset_tEEE10hipError_tPvRmT1_PNSt15iterator_traitsIS12_E10value_typeET2_T3_PNS13_IS18_E10value_typeET4_jRbjT5_S1E_jjP12ihipStream_tbEUljE_ZNSN_ISO_Lb1ESQ_SR_ST_SU_SY_EESZ_S10_S11_S12_S16_S17_S18_S1B_S1C_jS1D_jS1E_S1E_jjS1G_bEUljE0_EEESZ_S10_S11_S18_S1C_S1E_T6_T7_T9_mT8_S1G_bDpT10_ENKUlT_T0_E_clISt17integral_constantIbLb0EES1U_EEDaS1P_S1Q_EUlS1P_E_NS1_11comp_targetILNS1_3genE2ELNS1_11target_archE906ELNS1_3gpuE6ELNS1_3repE0EEENS1_30default_config_static_selectorELNS0_4arch9wavefront6targetE0EEEvS12_
                                        ; -- End function
	.section	.AMDGPU.csdata,"",@progbits
; Kernel info:
; codeLenInByte = 0
; NumSgprs: 0
; NumVgprs: 0
; ScratchSize: 0
; MemoryBound: 0
; FloatMode: 240
; IeeeMode: 1
; LDSByteSize: 0 bytes/workgroup (compile time only)
; SGPRBlocks: 0
; VGPRBlocks: 0
; NumSGPRsForWavesPerEU: 1
; NumVGPRsForWavesPerEU: 1
; Occupancy: 16
; WaveLimiterHint : 0
; COMPUTE_PGM_RSRC2:SCRATCH_EN: 0
; COMPUTE_PGM_RSRC2:USER_SGPR: 15
; COMPUTE_PGM_RSRC2:TRAP_HANDLER: 0
; COMPUTE_PGM_RSRC2:TGID_X_EN: 1
; COMPUTE_PGM_RSRC2:TGID_Y_EN: 0
; COMPUTE_PGM_RSRC2:TGID_Z_EN: 0
; COMPUTE_PGM_RSRC2:TIDIG_COMP_CNT: 0
	.section	.text._ZN7rocprim17ROCPRIM_400000_NS6detail17trampoline_kernelINS0_13select_configILj256ELj13ELNS0_17block_load_methodE3ELS4_3ELS4_3ELNS0_20block_scan_algorithmE0ELj4294967295EEENS1_25partition_config_selectorILNS1_17partition_subalgoE4EjNS0_10empty_typeEbEEZZNS1_14partition_implILS8_4ELb0ES6_15HIP_vector_typeIjLj2EENS0_17counting_iteratorIjlEEPS9_SG_NS0_5tupleIJPjSI_NS0_16reverse_iteratorISI_EEEEENSH_IJSG_SG_SG_EEES9_SI_JZNS1_25segmented_radix_sort_implINS0_14default_configELb1EPKhPhPKlPlN2at6native12_GLOBAL__N_18offset_tEEE10hipError_tPvRmT1_PNSt15iterator_traitsIS12_E10value_typeET2_T3_PNS13_IS18_E10value_typeET4_jRbjT5_S1E_jjP12ihipStream_tbEUljE_ZNSN_ISO_Lb1ESQ_SR_ST_SU_SY_EESZ_S10_S11_S12_S16_S17_S18_S1B_S1C_jS1D_jS1E_S1E_jjS1G_bEUljE0_EEESZ_S10_S11_S18_S1C_S1E_T6_T7_T9_mT8_S1G_bDpT10_ENKUlT_T0_E_clISt17integral_constantIbLb0EES1U_EEDaS1P_S1Q_EUlS1P_E_NS1_11comp_targetILNS1_3genE10ELNS1_11target_archE1200ELNS1_3gpuE4ELNS1_3repE0EEENS1_30default_config_static_selectorELNS0_4arch9wavefront6targetE0EEEvS12_,"axG",@progbits,_ZN7rocprim17ROCPRIM_400000_NS6detail17trampoline_kernelINS0_13select_configILj256ELj13ELNS0_17block_load_methodE3ELS4_3ELS4_3ELNS0_20block_scan_algorithmE0ELj4294967295EEENS1_25partition_config_selectorILNS1_17partition_subalgoE4EjNS0_10empty_typeEbEEZZNS1_14partition_implILS8_4ELb0ES6_15HIP_vector_typeIjLj2EENS0_17counting_iteratorIjlEEPS9_SG_NS0_5tupleIJPjSI_NS0_16reverse_iteratorISI_EEEEENSH_IJSG_SG_SG_EEES9_SI_JZNS1_25segmented_radix_sort_implINS0_14default_configELb1EPKhPhPKlPlN2at6native12_GLOBAL__N_18offset_tEEE10hipError_tPvRmT1_PNSt15iterator_traitsIS12_E10value_typeET2_T3_PNS13_IS18_E10value_typeET4_jRbjT5_S1E_jjP12ihipStream_tbEUljE_ZNSN_ISO_Lb1ESQ_SR_ST_SU_SY_EESZ_S10_S11_S12_S16_S17_S18_S1B_S1C_jS1D_jS1E_S1E_jjS1G_bEUljE0_EEESZ_S10_S11_S18_S1C_S1E_T6_T7_T9_mT8_S1G_bDpT10_ENKUlT_T0_E_clISt17integral_constantIbLb0EES1U_EEDaS1P_S1Q_EUlS1P_E_NS1_11comp_targetILNS1_3genE10ELNS1_11target_archE1200ELNS1_3gpuE4ELNS1_3repE0EEENS1_30default_config_static_selectorELNS0_4arch9wavefront6targetE0EEEvS12_,comdat
	.globl	_ZN7rocprim17ROCPRIM_400000_NS6detail17trampoline_kernelINS0_13select_configILj256ELj13ELNS0_17block_load_methodE3ELS4_3ELS4_3ELNS0_20block_scan_algorithmE0ELj4294967295EEENS1_25partition_config_selectorILNS1_17partition_subalgoE4EjNS0_10empty_typeEbEEZZNS1_14partition_implILS8_4ELb0ES6_15HIP_vector_typeIjLj2EENS0_17counting_iteratorIjlEEPS9_SG_NS0_5tupleIJPjSI_NS0_16reverse_iteratorISI_EEEEENSH_IJSG_SG_SG_EEES9_SI_JZNS1_25segmented_radix_sort_implINS0_14default_configELb1EPKhPhPKlPlN2at6native12_GLOBAL__N_18offset_tEEE10hipError_tPvRmT1_PNSt15iterator_traitsIS12_E10value_typeET2_T3_PNS13_IS18_E10value_typeET4_jRbjT5_S1E_jjP12ihipStream_tbEUljE_ZNSN_ISO_Lb1ESQ_SR_ST_SU_SY_EESZ_S10_S11_S12_S16_S17_S18_S1B_S1C_jS1D_jS1E_S1E_jjS1G_bEUljE0_EEESZ_S10_S11_S18_S1C_S1E_T6_T7_T9_mT8_S1G_bDpT10_ENKUlT_T0_E_clISt17integral_constantIbLb0EES1U_EEDaS1P_S1Q_EUlS1P_E_NS1_11comp_targetILNS1_3genE10ELNS1_11target_archE1200ELNS1_3gpuE4ELNS1_3repE0EEENS1_30default_config_static_selectorELNS0_4arch9wavefront6targetE0EEEvS12_ ; -- Begin function _ZN7rocprim17ROCPRIM_400000_NS6detail17trampoline_kernelINS0_13select_configILj256ELj13ELNS0_17block_load_methodE3ELS4_3ELS4_3ELNS0_20block_scan_algorithmE0ELj4294967295EEENS1_25partition_config_selectorILNS1_17partition_subalgoE4EjNS0_10empty_typeEbEEZZNS1_14partition_implILS8_4ELb0ES6_15HIP_vector_typeIjLj2EENS0_17counting_iteratorIjlEEPS9_SG_NS0_5tupleIJPjSI_NS0_16reverse_iteratorISI_EEEEENSH_IJSG_SG_SG_EEES9_SI_JZNS1_25segmented_radix_sort_implINS0_14default_configELb1EPKhPhPKlPlN2at6native12_GLOBAL__N_18offset_tEEE10hipError_tPvRmT1_PNSt15iterator_traitsIS12_E10value_typeET2_T3_PNS13_IS18_E10value_typeET4_jRbjT5_S1E_jjP12ihipStream_tbEUljE_ZNSN_ISO_Lb1ESQ_SR_ST_SU_SY_EESZ_S10_S11_S12_S16_S17_S18_S1B_S1C_jS1D_jS1E_S1E_jjS1G_bEUljE0_EEESZ_S10_S11_S18_S1C_S1E_T6_T7_T9_mT8_S1G_bDpT10_ENKUlT_T0_E_clISt17integral_constantIbLb0EES1U_EEDaS1P_S1Q_EUlS1P_E_NS1_11comp_targetILNS1_3genE10ELNS1_11target_archE1200ELNS1_3gpuE4ELNS1_3repE0EEENS1_30default_config_static_selectorELNS0_4arch9wavefront6targetE0EEEvS12_
	.p2align	8
	.type	_ZN7rocprim17ROCPRIM_400000_NS6detail17trampoline_kernelINS0_13select_configILj256ELj13ELNS0_17block_load_methodE3ELS4_3ELS4_3ELNS0_20block_scan_algorithmE0ELj4294967295EEENS1_25partition_config_selectorILNS1_17partition_subalgoE4EjNS0_10empty_typeEbEEZZNS1_14partition_implILS8_4ELb0ES6_15HIP_vector_typeIjLj2EENS0_17counting_iteratorIjlEEPS9_SG_NS0_5tupleIJPjSI_NS0_16reverse_iteratorISI_EEEEENSH_IJSG_SG_SG_EEES9_SI_JZNS1_25segmented_radix_sort_implINS0_14default_configELb1EPKhPhPKlPlN2at6native12_GLOBAL__N_18offset_tEEE10hipError_tPvRmT1_PNSt15iterator_traitsIS12_E10value_typeET2_T3_PNS13_IS18_E10value_typeET4_jRbjT5_S1E_jjP12ihipStream_tbEUljE_ZNSN_ISO_Lb1ESQ_SR_ST_SU_SY_EESZ_S10_S11_S12_S16_S17_S18_S1B_S1C_jS1D_jS1E_S1E_jjS1G_bEUljE0_EEESZ_S10_S11_S18_S1C_S1E_T6_T7_T9_mT8_S1G_bDpT10_ENKUlT_T0_E_clISt17integral_constantIbLb0EES1U_EEDaS1P_S1Q_EUlS1P_E_NS1_11comp_targetILNS1_3genE10ELNS1_11target_archE1200ELNS1_3gpuE4ELNS1_3repE0EEENS1_30default_config_static_selectorELNS0_4arch9wavefront6targetE0EEEvS12_,@function
_ZN7rocprim17ROCPRIM_400000_NS6detail17trampoline_kernelINS0_13select_configILj256ELj13ELNS0_17block_load_methodE3ELS4_3ELS4_3ELNS0_20block_scan_algorithmE0ELj4294967295EEENS1_25partition_config_selectorILNS1_17partition_subalgoE4EjNS0_10empty_typeEbEEZZNS1_14partition_implILS8_4ELb0ES6_15HIP_vector_typeIjLj2EENS0_17counting_iteratorIjlEEPS9_SG_NS0_5tupleIJPjSI_NS0_16reverse_iteratorISI_EEEEENSH_IJSG_SG_SG_EEES9_SI_JZNS1_25segmented_radix_sort_implINS0_14default_configELb1EPKhPhPKlPlN2at6native12_GLOBAL__N_18offset_tEEE10hipError_tPvRmT1_PNSt15iterator_traitsIS12_E10value_typeET2_T3_PNS13_IS18_E10value_typeET4_jRbjT5_S1E_jjP12ihipStream_tbEUljE_ZNSN_ISO_Lb1ESQ_SR_ST_SU_SY_EESZ_S10_S11_S12_S16_S17_S18_S1B_S1C_jS1D_jS1E_S1E_jjS1G_bEUljE0_EEESZ_S10_S11_S18_S1C_S1E_T6_T7_T9_mT8_S1G_bDpT10_ENKUlT_T0_E_clISt17integral_constantIbLb0EES1U_EEDaS1P_S1Q_EUlS1P_E_NS1_11comp_targetILNS1_3genE10ELNS1_11target_archE1200ELNS1_3gpuE4ELNS1_3repE0EEENS1_30default_config_static_selectorELNS0_4arch9wavefront6targetE0EEEvS12_: ; @_ZN7rocprim17ROCPRIM_400000_NS6detail17trampoline_kernelINS0_13select_configILj256ELj13ELNS0_17block_load_methodE3ELS4_3ELS4_3ELNS0_20block_scan_algorithmE0ELj4294967295EEENS1_25partition_config_selectorILNS1_17partition_subalgoE4EjNS0_10empty_typeEbEEZZNS1_14partition_implILS8_4ELb0ES6_15HIP_vector_typeIjLj2EENS0_17counting_iteratorIjlEEPS9_SG_NS0_5tupleIJPjSI_NS0_16reverse_iteratorISI_EEEEENSH_IJSG_SG_SG_EEES9_SI_JZNS1_25segmented_radix_sort_implINS0_14default_configELb1EPKhPhPKlPlN2at6native12_GLOBAL__N_18offset_tEEE10hipError_tPvRmT1_PNSt15iterator_traitsIS12_E10value_typeET2_T3_PNS13_IS18_E10value_typeET4_jRbjT5_S1E_jjP12ihipStream_tbEUljE_ZNSN_ISO_Lb1ESQ_SR_ST_SU_SY_EESZ_S10_S11_S12_S16_S17_S18_S1B_S1C_jS1D_jS1E_S1E_jjS1G_bEUljE0_EEESZ_S10_S11_S18_S1C_S1E_T6_T7_T9_mT8_S1G_bDpT10_ENKUlT_T0_E_clISt17integral_constantIbLb0EES1U_EEDaS1P_S1Q_EUlS1P_E_NS1_11comp_targetILNS1_3genE10ELNS1_11target_archE1200ELNS1_3gpuE4ELNS1_3repE0EEENS1_30default_config_static_selectorELNS0_4arch9wavefront6targetE0EEEvS12_
; %bb.0:
	.section	.rodata,"a",@progbits
	.p2align	6, 0x0
	.amdhsa_kernel _ZN7rocprim17ROCPRIM_400000_NS6detail17trampoline_kernelINS0_13select_configILj256ELj13ELNS0_17block_load_methodE3ELS4_3ELS4_3ELNS0_20block_scan_algorithmE0ELj4294967295EEENS1_25partition_config_selectorILNS1_17partition_subalgoE4EjNS0_10empty_typeEbEEZZNS1_14partition_implILS8_4ELb0ES6_15HIP_vector_typeIjLj2EENS0_17counting_iteratorIjlEEPS9_SG_NS0_5tupleIJPjSI_NS0_16reverse_iteratorISI_EEEEENSH_IJSG_SG_SG_EEES9_SI_JZNS1_25segmented_radix_sort_implINS0_14default_configELb1EPKhPhPKlPlN2at6native12_GLOBAL__N_18offset_tEEE10hipError_tPvRmT1_PNSt15iterator_traitsIS12_E10value_typeET2_T3_PNS13_IS18_E10value_typeET4_jRbjT5_S1E_jjP12ihipStream_tbEUljE_ZNSN_ISO_Lb1ESQ_SR_ST_SU_SY_EESZ_S10_S11_S12_S16_S17_S18_S1B_S1C_jS1D_jS1E_S1E_jjS1G_bEUljE0_EEESZ_S10_S11_S18_S1C_S1E_T6_T7_T9_mT8_S1G_bDpT10_ENKUlT_T0_E_clISt17integral_constantIbLb0EES1U_EEDaS1P_S1Q_EUlS1P_E_NS1_11comp_targetILNS1_3genE10ELNS1_11target_archE1200ELNS1_3gpuE4ELNS1_3repE0EEENS1_30default_config_static_selectorELNS0_4arch9wavefront6targetE0EEEvS12_
		.amdhsa_group_segment_fixed_size 0
		.amdhsa_private_segment_fixed_size 0
		.amdhsa_kernarg_size 176
		.amdhsa_user_sgpr_count 15
		.amdhsa_user_sgpr_dispatch_ptr 0
		.amdhsa_user_sgpr_queue_ptr 0
		.amdhsa_user_sgpr_kernarg_segment_ptr 1
		.amdhsa_user_sgpr_dispatch_id 0
		.amdhsa_user_sgpr_private_segment_size 0
		.amdhsa_wavefront_size32 1
		.amdhsa_uses_dynamic_stack 0
		.amdhsa_enable_private_segment 0
		.amdhsa_system_sgpr_workgroup_id_x 1
		.amdhsa_system_sgpr_workgroup_id_y 0
		.amdhsa_system_sgpr_workgroup_id_z 0
		.amdhsa_system_sgpr_workgroup_info 0
		.amdhsa_system_vgpr_workitem_id 0
		.amdhsa_next_free_vgpr 1
		.amdhsa_next_free_sgpr 1
		.amdhsa_reserve_vcc 0
		.amdhsa_float_round_mode_32 0
		.amdhsa_float_round_mode_16_64 0
		.amdhsa_float_denorm_mode_32 3
		.amdhsa_float_denorm_mode_16_64 3
		.amdhsa_dx10_clamp 1
		.amdhsa_ieee_mode 1
		.amdhsa_fp16_overflow 0
		.amdhsa_workgroup_processor_mode 1
		.amdhsa_memory_ordered 1
		.amdhsa_forward_progress 0
		.amdhsa_shared_vgpr_count 0
		.amdhsa_exception_fp_ieee_invalid_op 0
		.amdhsa_exception_fp_denorm_src 0
		.amdhsa_exception_fp_ieee_div_zero 0
		.amdhsa_exception_fp_ieee_overflow 0
		.amdhsa_exception_fp_ieee_underflow 0
		.amdhsa_exception_fp_ieee_inexact 0
		.amdhsa_exception_int_div_zero 0
	.end_amdhsa_kernel
	.section	.text._ZN7rocprim17ROCPRIM_400000_NS6detail17trampoline_kernelINS0_13select_configILj256ELj13ELNS0_17block_load_methodE3ELS4_3ELS4_3ELNS0_20block_scan_algorithmE0ELj4294967295EEENS1_25partition_config_selectorILNS1_17partition_subalgoE4EjNS0_10empty_typeEbEEZZNS1_14partition_implILS8_4ELb0ES6_15HIP_vector_typeIjLj2EENS0_17counting_iteratorIjlEEPS9_SG_NS0_5tupleIJPjSI_NS0_16reverse_iteratorISI_EEEEENSH_IJSG_SG_SG_EEES9_SI_JZNS1_25segmented_radix_sort_implINS0_14default_configELb1EPKhPhPKlPlN2at6native12_GLOBAL__N_18offset_tEEE10hipError_tPvRmT1_PNSt15iterator_traitsIS12_E10value_typeET2_T3_PNS13_IS18_E10value_typeET4_jRbjT5_S1E_jjP12ihipStream_tbEUljE_ZNSN_ISO_Lb1ESQ_SR_ST_SU_SY_EESZ_S10_S11_S12_S16_S17_S18_S1B_S1C_jS1D_jS1E_S1E_jjS1G_bEUljE0_EEESZ_S10_S11_S18_S1C_S1E_T6_T7_T9_mT8_S1G_bDpT10_ENKUlT_T0_E_clISt17integral_constantIbLb0EES1U_EEDaS1P_S1Q_EUlS1P_E_NS1_11comp_targetILNS1_3genE10ELNS1_11target_archE1200ELNS1_3gpuE4ELNS1_3repE0EEENS1_30default_config_static_selectorELNS0_4arch9wavefront6targetE0EEEvS12_,"axG",@progbits,_ZN7rocprim17ROCPRIM_400000_NS6detail17trampoline_kernelINS0_13select_configILj256ELj13ELNS0_17block_load_methodE3ELS4_3ELS4_3ELNS0_20block_scan_algorithmE0ELj4294967295EEENS1_25partition_config_selectorILNS1_17partition_subalgoE4EjNS0_10empty_typeEbEEZZNS1_14partition_implILS8_4ELb0ES6_15HIP_vector_typeIjLj2EENS0_17counting_iteratorIjlEEPS9_SG_NS0_5tupleIJPjSI_NS0_16reverse_iteratorISI_EEEEENSH_IJSG_SG_SG_EEES9_SI_JZNS1_25segmented_radix_sort_implINS0_14default_configELb1EPKhPhPKlPlN2at6native12_GLOBAL__N_18offset_tEEE10hipError_tPvRmT1_PNSt15iterator_traitsIS12_E10value_typeET2_T3_PNS13_IS18_E10value_typeET4_jRbjT5_S1E_jjP12ihipStream_tbEUljE_ZNSN_ISO_Lb1ESQ_SR_ST_SU_SY_EESZ_S10_S11_S12_S16_S17_S18_S1B_S1C_jS1D_jS1E_S1E_jjS1G_bEUljE0_EEESZ_S10_S11_S18_S1C_S1E_T6_T7_T9_mT8_S1G_bDpT10_ENKUlT_T0_E_clISt17integral_constantIbLb0EES1U_EEDaS1P_S1Q_EUlS1P_E_NS1_11comp_targetILNS1_3genE10ELNS1_11target_archE1200ELNS1_3gpuE4ELNS1_3repE0EEENS1_30default_config_static_selectorELNS0_4arch9wavefront6targetE0EEEvS12_,comdat
.Lfunc_end9:
	.size	_ZN7rocprim17ROCPRIM_400000_NS6detail17trampoline_kernelINS0_13select_configILj256ELj13ELNS0_17block_load_methodE3ELS4_3ELS4_3ELNS0_20block_scan_algorithmE0ELj4294967295EEENS1_25partition_config_selectorILNS1_17partition_subalgoE4EjNS0_10empty_typeEbEEZZNS1_14partition_implILS8_4ELb0ES6_15HIP_vector_typeIjLj2EENS0_17counting_iteratorIjlEEPS9_SG_NS0_5tupleIJPjSI_NS0_16reverse_iteratorISI_EEEEENSH_IJSG_SG_SG_EEES9_SI_JZNS1_25segmented_radix_sort_implINS0_14default_configELb1EPKhPhPKlPlN2at6native12_GLOBAL__N_18offset_tEEE10hipError_tPvRmT1_PNSt15iterator_traitsIS12_E10value_typeET2_T3_PNS13_IS18_E10value_typeET4_jRbjT5_S1E_jjP12ihipStream_tbEUljE_ZNSN_ISO_Lb1ESQ_SR_ST_SU_SY_EESZ_S10_S11_S12_S16_S17_S18_S1B_S1C_jS1D_jS1E_S1E_jjS1G_bEUljE0_EEESZ_S10_S11_S18_S1C_S1E_T6_T7_T9_mT8_S1G_bDpT10_ENKUlT_T0_E_clISt17integral_constantIbLb0EES1U_EEDaS1P_S1Q_EUlS1P_E_NS1_11comp_targetILNS1_3genE10ELNS1_11target_archE1200ELNS1_3gpuE4ELNS1_3repE0EEENS1_30default_config_static_selectorELNS0_4arch9wavefront6targetE0EEEvS12_, .Lfunc_end9-_ZN7rocprim17ROCPRIM_400000_NS6detail17trampoline_kernelINS0_13select_configILj256ELj13ELNS0_17block_load_methodE3ELS4_3ELS4_3ELNS0_20block_scan_algorithmE0ELj4294967295EEENS1_25partition_config_selectorILNS1_17partition_subalgoE4EjNS0_10empty_typeEbEEZZNS1_14partition_implILS8_4ELb0ES6_15HIP_vector_typeIjLj2EENS0_17counting_iteratorIjlEEPS9_SG_NS0_5tupleIJPjSI_NS0_16reverse_iteratorISI_EEEEENSH_IJSG_SG_SG_EEES9_SI_JZNS1_25segmented_radix_sort_implINS0_14default_configELb1EPKhPhPKlPlN2at6native12_GLOBAL__N_18offset_tEEE10hipError_tPvRmT1_PNSt15iterator_traitsIS12_E10value_typeET2_T3_PNS13_IS18_E10value_typeET4_jRbjT5_S1E_jjP12ihipStream_tbEUljE_ZNSN_ISO_Lb1ESQ_SR_ST_SU_SY_EESZ_S10_S11_S12_S16_S17_S18_S1B_S1C_jS1D_jS1E_S1E_jjS1G_bEUljE0_EEESZ_S10_S11_S18_S1C_S1E_T6_T7_T9_mT8_S1G_bDpT10_ENKUlT_T0_E_clISt17integral_constantIbLb0EES1U_EEDaS1P_S1Q_EUlS1P_E_NS1_11comp_targetILNS1_3genE10ELNS1_11target_archE1200ELNS1_3gpuE4ELNS1_3repE0EEENS1_30default_config_static_selectorELNS0_4arch9wavefront6targetE0EEEvS12_
                                        ; -- End function
	.section	.AMDGPU.csdata,"",@progbits
; Kernel info:
; codeLenInByte = 0
; NumSgprs: 0
; NumVgprs: 0
; ScratchSize: 0
; MemoryBound: 0
; FloatMode: 240
; IeeeMode: 1
; LDSByteSize: 0 bytes/workgroup (compile time only)
; SGPRBlocks: 0
; VGPRBlocks: 0
; NumSGPRsForWavesPerEU: 1
; NumVGPRsForWavesPerEU: 1
; Occupancy: 16
; WaveLimiterHint : 0
; COMPUTE_PGM_RSRC2:SCRATCH_EN: 0
; COMPUTE_PGM_RSRC2:USER_SGPR: 15
; COMPUTE_PGM_RSRC2:TRAP_HANDLER: 0
; COMPUTE_PGM_RSRC2:TGID_X_EN: 1
; COMPUTE_PGM_RSRC2:TGID_Y_EN: 0
; COMPUTE_PGM_RSRC2:TGID_Z_EN: 0
; COMPUTE_PGM_RSRC2:TIDIG_COMP_CNT: 0
	.section	.text._ZN7rocprim17ROCPRIM_400000_NS6detail17trampoline_kernelINS0_13select_configILj256ELj13ELNS0_17block_load_methodE3ELS4_3ELS4_3ELNS0_20block_scan_algorithmE0ELj4294967295EEENS1_25partition_config_selectorILNS1_17partition_subalgoE4EjNS0_10empty_typeEbEEZZNS1_14partition_implILS8_4ELb0ES6_15HIP_vector_typeIjLj2EENS0_17counting_iteratorIjlEEPS9_SG_NS0_5tupleIJPjSI_NS0_16reverse_iteratorISI_EEEEENSH_IJSG_SG_SG_EEES9_SI_JZNS1_25segmented_radix_sort_implINS0_14default_configELb1EPKhPhPKlPlN2at6native12_GLOBAL__N_18offset_tEEE10hipError_tPvRmT1_PNSt15iterator_traitsIS12_E10value_typeET2_T3_PNS13_IS18_E10value_typeET4_jRbjT5_S1E_jjP12ihipStream_tbEUljE_ZNSN_ISO_Lb1ESQ_SR_ST_SU_SY_EESZ_S10_S11_S12_S16_S17_S18_S1B_S1C_jS1D_jS1E_S1E_jjS1G_bEUljE0_EEESZ_S10_S11_S18_S1C_S1E_T6_T7_T9_mT8_S1G_bDpT10_ENKUlT_T0_E_clISt17integral_constantIbLb0EES1U_EEDaS1P_S1Q_EUlS1P_E_NS1_11comp_targetILNS1_3genE9ELNS1_11target_archE1100ELNS1_3gpuE3ELNS1_3repE0EEENS1_30default_config_static_selectorELNS0_4arch9wavefront6targetE0EEEvS12_,"axG",@progbits,_ZN7rocprim17ROCPRIM_400000_NS6detail17trampoline_kernelINS0_13select_configILj256ELj13ELNS0_17block_load_methodE3ELS4_3ELS4_3ELNS0_20block_scan_algorithmE0ELj4294967295EEENS1_25partition_config_selectorILNS1_17partition_subalgoE4EjNS0_10empty_typeEbEEZZNS1_14partition_implILS8_4ELb0ES6_15HIP_vector_typeIjLj2EENS0_17counting_iteratorIjlEEPS9_SG_NS0_5tupleIJPjSI_NS0_16reverse_iteratorISI_EEEEENSH_IJSG_SG_SG_EEES9_SI_JZNS1_25segmented_radix_sort_implINS0_14default_configELb1EPKhPhPKlPlN2at6native12_GLOBAL__N_18offset_tEEE10hipError_tPvRmT1_PNSt15iterator_traitsIS12_E10value_typeET2_T3_PNS13_IS18_E10value_typeET4_jRbjT5_S1E_jjP12ihipStream_tbEUljE_ZNSN_ISO_Lb1ESQ_SR_ST_SU_SY_EESZ_S10_S11_S12_S16_S17_S18_S1B_S1C_jS1D_jS1E_S1E_jjS1G_bEUljE0_EEESZ_S10_S11_S18_S1C_S1E_T6_T7_T9_mT8_S1G_bDpT10_ENKUlT_T0_E_clISt17integral_constantIbLb0EES1U_EEDaS1P_S1Q_EUlS1P_E_NS1_11comp_targetILNS1_3genE9ELNS1_11target_archE1100ELNS1_3gpuE3ELNS1_3repE0EEENS1_30default_config_static_selectorELNS0_4arch9wavefront6targetE0EEEvS12_,comdat
	.globl	_ZN7rocprim17ROCPRIM_400000_NS6detail17trampoline_kernelINS0_13select_configILj256ELj13ELNS0_17block_load_methodE3ELS4_3ELS4_3ELNS0_20block_scan_algorithmE0ELj4294967295EEENS1_25partition_config_selectorILNS1_17partition_subalgoE4EjNS0_10empty_typeEbEEZZNS1_14partition_implILS8_4ELb0ES6_15HIP_vector_typeIjLj2EENS0_17counting_iteratorIjlEEPS9_SG_NS0_5tupleIJPjSI_NS0_16reverse_iteratorISI_EEEEENSH_IJSG_SG_SG_EEES9_SI_JZNS1_25segmented_radix_sort_implINS0_14default_configELb1EPKhPhPKlPlN2at6native12_GLOBAL__N_18offset_tEEE10hipError_tPvRmT1_PNSt15iterator_traitsIS12_E10value_typeET2_T3_PNS13_IS18_E10value_typeET4_jRbjT5_S1E_jjP12ihipStream_tbEUljE_ZNSN_ISO_Lb1ESQ_SR_ST_SU_SY_EESZ_S10_S11_S12_S16_S17_S18_S1B_S1C_jS1D_jS1E_S1E_jjS1G_bEUljE0_EEESZ_S10_S11_S18_S1C_S1E_T6_T7_T9_mT8_S1G_bDpT10_ENKUlT_T0_E_clISt17integral_constantIbLb0EES1U_EEDaS1P_S1Q_EUlS1P_E_NS1_11comp_targetILNS1_3genE9ELNS1_11target_archE1100ELNS1_3gpuE3ELNS1_3repE0EEENS1_30default_config_static_selectorELNS0_4arch9wavefront6targetE0EEEvS12_ ; -- Begin function _ZN7rocprim17ROCPRIM_400000_NS6detail17trampoline_kernelINS0_13select_configILj256ELj13ELNS0_17block_load_methodE3ELS4_3ELS4_3ELNS0_20block_scan_algorithmE0ELj4294967295EEENS1_25partition_config_selectorILNS1_17partition_subalgoE4EjNS0_10empty_typeEbEEZZNS1_14partition_implILS8_4ELb0ES6_15HIP_vector_typeIjLj2EENS0_17counting_iteratorIjlEEPS9_SG_NS0_5tupleIJPjSI_NS0_16reverse_iteratorISI_EEEEENSH_IJSG_SG_SG_EEES9_SI_JZNS1_25segmented_radix_sort_implINS0_14default_configELb1EPKhPhPKlPlN2at6native12_GLOBAL__N_18offset_tEEE10hipError_tPvRmT1_PNSt15iterator_traitsIS12_E10value_typeET2_T3_PNS13_IS18_E10value_typeET4_jRbjT5_S1E_jjP12ihipStream_tbEUljE_ZNSN_ISO_Lb1ESQ_SR_ST_SU_SY_EESZ_S10_S11_S12_S16_S17_S18_S1B_S1C_jS1D_jS1E_S1E_jjS1G_bEUljE0_EEESZ_S10_S11_S18_S1C_S1E_T6_T7_T9_mT8_S1G_bDpT10_ENKUlT_T0_E_clISt17integral_constantIbLb0EES1U_EEDaS1P_S1Q_EUlS1P_E_NS1_11comp_targetILNS1_3genE9ELNS1_11target_archE1100ELNS1_3gpuE3ELNS1_3repE0EEENS1_30default_config_static_selectorELNS0_4arch9wavefront6targetE0EEEvS12_
	.p2align	8
	.type	_ZN7rocprim17ROCPRIM_400000_NS6detail17trampoline_kernelINS0_13select_configILj256ELj13ELNS0_17block_load_methodE3ELS4_3ELS4_3ELNS0_20block_scan_algorithmE0ELj4294967295EEENS1_25partition_config_selectorILNS1_17partition_subalgoE4EjNS0_10empty_typeEbEEZZNS1_14partition_implILS8_4ELb0ES6_15HIP_vector_typeIjLj2EENS0_17counting_iteratorIjlEEPS9_SG_NS0_5tupleIJPjSI_NS0_16reverse_iteratorISI_EEEEENSH_IJSG_SG_SG_EEES9_SI_JZNS1_25segmented_radix_sort_implINS0_14default_configELb1EPKhPhPKlPlN2at6native12_GLOBAL__N_18offset_tEEE10hipError_tPvRmT1_PNSt15iterator_traitsIS12_E10value_typeET2_T3_PNS13_IS18_E10value_typeET4_jRbjT5_S1E_jjP12ihipStream_tbEUljE_ZNSN_ISO_Lb1ESQ_SR_ST_SU_SY_EESZ_S10_S11_S12_S16_S17_S18_S1B_S1C_jS1D_jS1E_S1E_jjS1G_bEUljE0_EEESZ_S10_S11_S18_S1C_S1E_T6_T7_T9_mT8_S1G_bDpT10_ENKUlT_T0_E_clISt17integral_constantIbLb0EES1U_EEDaS1P_S1Q_EUlS1P_E_NS1_11comp_targetILNS1_3genE9ELNS1_11target_archE1100ELNS1_3gpuE3ELNS1_3repE0EEENS1_30default_config_static_selectorELNS0_4arch9wavefront6targetE0EEEvS12_,@function
_ZN7rocprim17ROCPRIM_400000_NS6detail17trampoline_kernelINS0_13select_configILj256ELj13ELNS0_17block_load_methodE3ELS4_3ELS4_3ELNS0_20block_scan_algorithmE0ELj4294967295EEENS1_25partition_config_selectorILNS1_17partition_subalgoE4EjNS0_10empty_typeEbEEZZNS1_14partition_implILS8_4ELb0ES6_15HIP_vector_typeIjLj2EENS0_17counting_iteratorIjlEEPS9_SG_NS0_5tupleIJPjSI_NS0_16reverse_iteratorISI_EEEEENSH_IJSG_SG_SG_EEES9_SI_JZNS1_25segmented_radix_sort_implINS0_14default_configELb1EPKhPhPKlPlN2at6native12_GLOBAL__N_18offset_tEEE10hipError_tPvRmT1_PNSt15iterator_traitsIS12_E10value_typeET2_T3_PNS13_IS18_E10value_typeET4_jRbjT5_S1E_jjP12ihipStream_tbEUljE_ZNSN_ISO_Lb1ESQ_SR_ST_SU_SY_EESZ_S10_S11_S12_S16_S17_S18_S1B_S1C_jS1D_jS1E_S1E_jjS1G_bEUljE0_EEESZ_S10_S11_S18_S1C_S1E_T6_T7_T9_mT8_S1G_bDpT10_ENKUlT_T0_E_clISt17integral_constantIbLb0EES1U_EEDaS1P_S1Q_EUlS1P_E_NS1_11comp_targetILNS1_3genE9ELNS1_11target_archE1100ELNS1_3gpuE3ELNS1_3repE0EEENS1_30default_config_static_selectorELNS0_4arch9wavefront6targetE0EEEvS12_: ; @_ZN7rocprim17ROCPRIM_400000_NS6detail17trampoline_kernelINS0_13select_configILj256ELj13ELNS0_17block_load_methodE3ELS4_3ELS4_3ELNS0_20block_scan_algorithmE0ELj4294967295EEENS1_25partition_config_selectorILNS1_17partition_subalgoE4EjNS0_10empty_typeEbEEZZNS1_14partition_implILS8_4ELb0ES6_15HIP_vector_typeIjLj2EENS0_17counting_iteratorIjlEEPS9_SG_NS0_5tupleIJPjSI_NS0_16reverse_iteratorISI_EEEEENSH_IJSG_SG_SG_EEES9_SI_JZNS1_25segmented_radix_sort_implINS0_14default_configELb1EPKhPhPKlPlN2at6native12_GLOBAL__N_18offset_tEEE10hipError_tPvRmT1_PNSt15iterator_traitsIS12_E10value_typeET2_T3_PNS13_IS18_E10value_typeET4_jRbjT5_S1E_jjP12ihipStream_tbEUljE_ZNSN_ISO_Lb1ESQ_SR_ST_SU_SY_EESZ_S10_S11_S12_S16_S17_S18_S1B_S1C_jS1D_jS1E_S1E_jjS1G_bEUljE0_EEESZ_S10_S11_S18_S1C_S1E_T6_T7_T9_mT8_S1G_bDpT10_ENKUlT_T0_E_clISt17integral_constantIbLb0EES1U_EEDaS1P_S1Q_EUlS1P_E_NS1_11comp_targetILNS1_3genE9ELNS1_11target_archE1100ELNS1_3gpuE3ELNS1_3repE0EEENS1_30default_config_static_selectorELNS0_4arch9wavefront6targetE0EEEvS12_
; %bb.0:
	s_clause 0x6
	s_load_b32 s5, s[0:1], 0x80
	s_load_b64 s[34:35], s[0:1], 0x10
	s_load_b64 s[2:3], s[0:1], 0x68
	s_load_b32 s8, s[0:1], 0x8
	s_load_b128 s[24:27], s[0:1], 0x58
	s_load_b64 s[40:41], s[0:1], 0xa8
	s_load_b256 s[16:23], s[0:1], 0x88
	s_mul_i32 s33, s15, 0xd00
	s_waitcnt lgkmcnt(0)
	s_mul_i32 s4, s5, 0xd00
	s_add_i32 s5, s5, -1
	s_add_u32 s6, s34, s4
	s_addc_u32 s7, s35, 0
	s_load_b128 s[28:31], s[26:27], 0x0
	s_cmp_eq_u32 s15, s5
	v_cmp_lt_u64_e64 s3, s[6:7], s[2:3]
	s_cselect_b32 s14, -1, 0
	s_cmp_lg_u32 s15, s5
	s_cselect_b32 s5, -1, 0
	s_add_i32 s6, s8, s33
	s_delay_alu instid0(VALU_DEP_1) | instskip(SKIP_4) | instid1(VALU_DEP_1)
	s_or_b32 s3, s5, s3
	s_add_i32 s6, s6, s34
	s_and_b32 vcc_lo, exec_lo, s3
	v_add_nc_u32_e32 v1, s6, v0
	s_mov_b32 s5, -1
	v_add_nc_u32_e32 v2, 0x100, v1
	v_add_nc_u32_e32 v3, 0x200, v1
	;; [unrolled: 1-line block ×12, first 2 shown]
	s_cbranch_vccz .LBB10_2
; %bb.1:
	v_lshlrev_b32_e32 v14, 2, v0
	s_mov_b32 s5, 0
	ds_store_2addr_stride64_b32 v14, v1, v2 offset1:4
	ds_store_2addr_stride64_b32 v14, v3, v4 offset0:8 offset1:12
	ds_store_2addr_stride64_b32 v14, v5, v6 offset0:16 offset1:20
	;; [unrolled: 1-line block ×5, first 2 shown]
	ds_store_b32 v14, v13 offset:12288
	s_waitcnt lgkmcnt(0)
	s_barrier
.LBB10_2:
	s_and_not1_b32 vcc_lo, exec_lo, s5
	s_add_i32 s4, s4, s34
	s_cbranch_vccnz .LBB10_4
; %bb.3:
	v_lshlrev_b32_e32 v14, 2, v0
	ds_store_2addr_stride64_b32 v14, v1, v2 offset1:4
	ds_store_2addr_stride64_b32 v14, v3, v4 offset0:8 offset1:12
	ds_store_2addr_stride64_b32 v14, v5, v6 offset0:16 offset1:20
	;; [unrolled: 1-line block ×5, first 2 shown]
	ds_store_b32 v14, v13 offset:12288
	s_waitcnt lgkmcnt(0)
	s_barrier
.LBB10_4:
	v_mul_u32_u24_e32 v28, 13, v0
	s_clause 0x1
	s_load_b128 s[36:39], s[0:1], 0x28
	s_load_b64 s[26:27], s[0:1], 0x38
	s_waitcnt lgkmcnt(0)
	buffer_gl0_inv
	v_cndmask_b32_e64 v26, 0, 1, s3
	s_sub_i32 s44, s2, s4
	v_lshlrev_b32_e32 v1, 2, v28
	s_and_not1_b32 vcc_lo, exec_lo, s3
	ds_load_2addr_b32 v[16:17], v1 offset1:1
	ds_load_2addr_b32 v[14:15], v1 offset0:2 offset1:3
	ds_load_2addr_b32 v[12:13], v1 offset0:4 offset1:5
	;; [unrolled: 1-line block ×5, first 2 shown]
	ds_load_b32 v27, v1 offset:48
	s_waitcnt lgkmcnt(0)
	s_barrier
	buffer_gl0_inv
	s_cbranch_vccnz .LBB10_32
; %bb.5:
	v_add_nc_u32_e32 v1, s17, v16
	v_add_nc_u32_e32 v2, s19, v16
	s_mov_b32 s46, 0
	s_mov_b32 s45, 0
	s_mov_b32 s3, exec_lo
	v_mul_lo_u32 v1, v1, s16
	v_mul_lo_u32 v2, v2, s18
	s_delay_alu instid0(VALU_DEP_1) | instskip(NEXT) | instid1(VALU_DEP_1)
	v_sub_nc_u32_e32 v1, v1, v2
	v_cmp_lt_u32_e32 vcc_lo, s20, v1
	v_cmpx_ge_u32_e64 s20, v1
; %bb.6:
	v_add_nc_u32_e32 v1, s22, v16
	v_add_nc_u32_e32 v2, s40, v16
	s_delay_alu instid0(VALU_DEP_2) | instskip(NEXT) | instid1(VALU_DEP_2)
	v_mul_lo_u32 v1, v1, s21
	v_mul_lo_u32 v2, v2, s23
	s_delay_alu instid0(VALU_DEP_1) | instskip(NEXT) | instid1(VALU_DEP_1)
	v_sub_nc_u32_e32 v1, v1, v2
	v_cmp_lt_u32_e64 s2, s41, v1
	s_delay_alu instid0(VALU_DEP_1)
	s_and_b32 s45, s2, exec_lo
; %bb.7:
	s_or_b32 exec_lo, exec_lo, s3
	v_add_nc_u32_e32 v1, s17, v17
	v_add_nc_u32_e32 v2, s19, v17
	s_mov_b32 s4, exec_lo
	s_delay_alu instid0(VALU_DEP_2) | instskip(NEXT) | instid1(VALU_DEP_2)
	v_mul_lo_u32 v1, v1, s16
	v_mul_lo_u32 v2, v2, s18
	s_delay_alu instid0(VALU_DEP_1) | instskip(NEXT) | instid1(VALU_DEP_1)
	v_sub_nc_u32_e32 v1, v1, v2
	v_cmp_lt_u32_e64 s2, s20, v1
	v_cmpx_ge_u32_e64 s20, v1
; %bb.8:
	v_add_nc_u32_e32 v1, s22, v17
	v_add_nc_u32_e32 v2, s40, v17
	s_delay_alu instid0(VALU_DEP_2) | instskip(NEXT) | instid1(VALU_DEP_2)
	v_mul_lo_u32 v1, v1, s21
	v_mul_lo_u32 v2, v2, s23
	s_delay_alu instid0(VALU_DEP_1) | instskip(NEXT) | instid1(VALU_DEP_1)
	v_sub_nc_u32_e32 v1, v1, v2
	v_cmp_lt_u32_e64 s3, s41, v1
	s_delay_alu instid0(VALU_DEP_1)
	s_and_b32 s46, s3, exec_lo
; %bb.9:
	s_or_b32 exec_lo, exec_lo, s4
	v_add_nc_u32_e32 v1, s17, v14
	v_add_nc_u32_e32 v2, s19, v14
	s_mov_b32 s48, 0
	s_mov_b32 s47, 0
	s_mov_b32 s5, exec_lo
	v_mul_lo_u32 v1, v1, s16
	v_mul_lo_u32 v2, v2, s18
	s_delay_alu instid0(VALU_DEP_1) | instskip(NEXT) | instid1(VALU_DEP_1)
	v_sub_nc_u32_e32 v1, v1, v2
	v_cmp_lt_u32_e64 s3, s20, v1
	v_cmpx_ge_u32_e64 s20, v1
; %bb.10:
	v_add_nc_u32_e32 v1, s22, v14
	v_add_nc_u32_e32 v2, s40, v14
	s_delay_alu instid0(VALU_DEP_2) | instskip(NEXT) | instid1(VALU_DEP_2)
	v_mul_lo_u32 v1, v1, s21
	v_mul_lo_u32 v2, v2, s23
	s_delay_alu instid0(VALU_DEP_1) | instskip(NEXT) | instid1(VALU_DEP_1)
	v_sub_nc_u32_e32 v1, v1, v2
	v_cmp_lt_u32_e64 s4, s41, v1
	s_delay_alu instid0(VALU_DEP_1)
	s_and_b32 s47, s4, exec_lo
; %bb.11:
	s_or_b32 exec_lo, exec_lo, s5
	v_add_nc_u32_e32 v1, s17, v15
	v_add_nc_u32_e32 v2, s19, v15
	s_mov_b32 s6, exec_lo
	s_delay_alu instid0(VALU_DEP_2) | instskip(NEXT) | instid1(VALU_DEP_2)
	v_mul_lo_u32 v1, v1, s16
	v_mul_lo_u32 v2, v2, s18
	s_delay_alu instid0(VALU_DEP_1) | instskip(NEXT) | instid1(VALU_DEP_1)
	v_sub_nc_u32_e32 v1, v1, v2
	v_cmp_lt_u32_e64 s4, s20, v1
	v_cmpx_ge_u32_e64 s20, v1
; %bb.12:
	v_add_nc_u32_e32 v1, s22, v15
	v_add_nc_u32_e32 v2, s40, v15
	s_delay_alu instid0(VALU_DEP_2) | instskip(NEXT) | instid1(VALU_DEP_2)
	v_mul_lo_u32 v1, v1, s21
	v_mul_lo_u32 v2, v2, s23
	s_delay_alu instid0(VALU_DEP_1) | instskip(NEXT) | instid1(VALU_DEP_1)
	v_sub_nc_u32_e32 v1, v1, v2
	v_cmp_lt_u32_e64 s5, s41, v1
	s_delay_alu instid0(VALU_DEP_1)
	s_and_b32 s48, s5, exec_lo
; %bb.13:
	s_or_b32 exec_lo, exec_lo, s6
	v_add_nc_u32_e32 v1, s17, v12
	v_add_nc_u32_e32 v2, s19, v12
	s_mov_b32 s50, 0
	s_mov_b32 s49, 0
	s_mov_b32 s7, exec_lo
	v_mul_lo_u32 v1, v1, s16
	v_mul_lo_u32 v2, v2, s18
	s_delay_alu instid0(VALU_DEP_1) | instskip(NEXT) | instid1(VALU_DEP_1)
	v_sub_nc_u32_e32 v1, v1, v2
	v_cmp_lt_u32_e64 s5, s20, v1
	v_cmpx_ge_u32_e64 s20, v1
; %bb.14:
	v_add_nc_u32_e32 v1, s22, v12
	v_add_nc_u32_e32 v2, s40, v12
	s_delay_alu instid0(VALU_DEP_2) | instskip(NEXT) | instid1(VALU_DEP_2)
	v_mul_lo_u32 v1, v1, s21
	v_mul_lo_u32 v2, v2, s23
	s_delay_alu instid0(VALU_DEP_1) | instskip(NEXT) | instid1(VALU_DEP_1)
	v_sub_nc_u32_e32 v1, v1, v2
	v_cmp_lt_u32_e64 s6, s41, v1
	s_delay_alu instid0(VALU_DEP_1)
	s_and_b32 s49, s6, exec_lo
; %bb.15:
	s_or_b32 exec_lo, exec_lo, s7
	v_add_nc_u32_e32 v1, s17, v13
	v_add_nc_u32_e32 v2, s19, v13
	s_mov_b32 s8, exec_lo
	s_delay_alu instid0(VALU_DEP_2) | instskip(NEXT) | instid1(VALU_DEP_2)
	v_mul_lo_u32 v1, v1, s16
	v_mul_lo_u32 v2, v2, s18
	s_delay_alu instid0(VALU_DEP_1) | instskip(NEXT) | instid1(VALU_DEP_1)
	v_sub_nc_u32_e32 v1, v1, v2
	v_cmp_lt_u32_e64 s6, s20, v1
	v_cmpx_ge_u32_e64 s20, v1
; %bb.16:
	v_add_nc_u32_e32 v1, s22, v13
	v_add_nc_u32_e32 v2, s40, v13
	s_delay_alu instid0(VALU_DEP_2) | instskip(NEXT) | instid1(VALU_DEP_2)
	v_mul_lo_u32 v1, v1, s21
	v_mul_lo_u32 v2, v2, s23
	s_delay_alu instid0(VALU_DEP_1) | instskip(NEXT) | instid1(VALU_DEP_1)
	v_sub_nc_u32_e32 v1, v1, v2
	v_cmp_lt_u32_e64 s7, s41, v1
	s_delay_alu instid0(VALU_DEP_1)
	s_and_b32 s50, s7, exec_lo
; %bb.17:
	s_or_b32 exec_lo, exec_lo, s8
	v_add_nc_u32_e32 v1, s17, v10
	v_add_nc_u32_e32 v2, s19, v10
	s_mov_b32 s52, 0
	s_mov_b32 s51, 0
	s_mov_b32 s9, exec_lo
	v_mul_lo_u32 v1, v1, s16
	v_mul_lo_u32 v2, v2, s18
	s_delay_alu instid0(VALU_DEP_1) | instskip(NEXT) | instid1(VALU_DEP_1)
	v_sub_nc_u32_e32 v1, v1, v2
	v_cmp_lt_u32_e64 s7, s20, v1
	v_cmpx_ge_u32_e64 s20, v1
; %bb.18:
	v_add_nc_u32_e32 v1, s22, v10
	v_add_nc_u32_e32 v2, s40, v10
	s_delay_alu instid0(VALU_DEP_2) | instskip(NEXT) | instid1(VALU_DEP_2)
	v_mul_lo_u32 v1, v1, s21
	v_mul_lo_u32 v2, v2, s23
	s_delay_alu instid0(VALU_DEP_1) | instskip(NEXT) | instid1(VALU_DEP_1)
	v_sub_nc_u32_e32 v1, v1, v2
	v_cmp_lt_u32_e64 s8, s41, v1
	s_delay_alu instid0(VALU_DEP_1)
	s_and_b32 s51, s8, exec_lo
; %bb.19:
	s_or_b32 exec_lo, exec_lo, s9
	v_add_nc_u32_e32 v1, s17, v11
	v_add_nc_u32_e32 v2, s19, v11
	s_mov_b32 s10, exec_lo
	s_delay_alu instid0(VALU_DEP_2) | instskip(NEXT) | instid1(VALU_DEP_2)
	v_mul_lo_u32 v1, v1, s16
	v_mul_lo_u32 v2, v2, s18
	s_delay_alu instid0(VALU_DEP_1) | instskip(NEXT) | instid1(VALU_DEP_1)
	v_sub_nc_u32_e32 v1, v1, v2
	v_cmp_lt_u32_e64 s8, s20, v1
	v_cmpx_ge_u32_e64 s20, v1
; %bb.20:
	v_add_nc_u32_e32 v1, s22, v11
	v_add_nc_u32_e32 v2, s40, v11
	s_delay_alu instid0(VALU_DEP_2) | instskip(NEXT) | instid1(VALU_DEP_2)
	v_mul_lo_u32 v1, v1, s21
	v_mul_lo_u32 v2, v2, s23
	s_delay_alu instid0(VALU_DEP_1) | instskip(NEXT) | instid1(VALU_DEP_1)
	v_sub_nc_u32_e32 v1, v1, v2
	v_cmp_lt_u32_e64 s9, s41, v1
	s_delay_alu instid0(VALU_DEP_1)
	s_and_b32 s52, s9, exec_lo
; %bb.21:
	s_or_b32 exec_lo, exec_lo, s10
	v_add_nc_u32_e32 v1, s17, v8
	v_add_nc_u32_e32 v2, s19, v8
	s_mov_b32 s55, 0
	s_mov_b32 s54, 0
	s_mov_b32 s11, exec_lo
	v_mul_lo_u32 v1, v1, s16
	v_mul_lo_u32 v2, v2, s18
	s_delay_alu instid0(VALU_DEP_1) | instskip(NEXT) | instid1(VALU_DEP_1)
	v_sub_nc_u32_e32 v1, v1, v2
	v_cmp_lt_u32_e64 s9, s20, v1
	v_cmpx_ge_u32_e64 s20, v1
; %bb.22:
	v_add_nc_u32_e32 v1, s22, v8
	v_add_nc_u32_e32 v2, s40, v8
	s_delay_alu instid0(VALU_DEP_2) | instskip(NEXT) | instid1(VALU_DEP_2)
	v_mul_lo_u32 v1, v1, s21
	v_mul_lo_u32 v2, v2, s23
	s_delay_alu instid0(VALU_DEP_1) | instskip(NEXT) | instid1(VALU_DEP_1)
	v_sub_nc_u32_e32 v1, v1, v2
	v_cmp_lt_u32_e64 s10, s41, v1
	s_delay_alu instid0(VALU_DEP_1)
	s_and_b32 s54, s10, exec_lo
; %bb.23:
	s_or_b32 exec_lo, exec_lo, s11
	v_add_nc_u32_e32 v1, s17, v9
	v_add_nc_u32_e32 v2, s19, v9
	s_mov_b32 s12, exec_lo
	s_delay_alu instid0(VALU_DEP_2) | instskip(NEXT) | instid1(VALU_DEP_2)
	v_mul_lo_u32 v1, v1, s16
	v_mul_lo_u32 v2, v2, s18
	s_delay_alu instid0(VALU_DEP_1) | instskip(NEXT) | instid1(VALU_DEP_1)
	v_sub_nc_u32_e32 v1, v1, v2
	v_cmp_lt_u32_e64 s10, s20, v1
	v_cmpx_ge_u32_e64 s20, v1
; %bb.24:
	v_add_nc_u32_e32 v1, s22, v9
	v_add_nc_u32_e32 v2, s40, v9
	s_delay_alu instid0(VALU_DEP_2) | instskip(NEXT) | instid1(VALU_DEP_2)
	v_mul_lo_u32 v1, v1, s21
	v_mul_lo_u32 v2, v2, s23
	s_delay_alu instid0(VALU_DEP_1) | instskip(NEXT) | instid1(VALU_DEP_1)
	v_sub_nc_u32_e32 v1, v1, v2
	v_cmp_lt_u32_e64 s11, s41, v1
	s_delay_alu instid0(VALU_DEP_1)
	s_and_b32 s55, s11, exec_lo
; %bb.25:
	s_or_b32 exec_lo, exec_lo, s12
	v_add_nc_u32_e32 v1, s17, v6
	v_add_nc_u32_e32 v2, s19, v6
	s_mov_b32 s56, 0
	s_mov_b32 s57, 0
	s_mov_b32 s13, exec_lo
	v_mul_lo_u32 v1, v1, s16
	v_mul_lo_u32 v2, v2, s18
	s_delay_alu instid0(VALU_DEP_1) | instskip(NEXT) | instid1(VALU_DEP_1)
	v_sub_nc_u32_e32 v1, v1, v2
	v_cmp_lt_u32_e64 s11, s20, v1
	v_cmpx_ge_u32_e64 s20, v1
; %bb.26:
	v_add_nc_u32_e32 v1, s22, v6
	v_add_nc_u32_e32 v2, s40, v6
	s_delay_alu instid0(VALU_DEP_2) | instskip(NEXT) | instid1(VALU_DEP_2)
	v_mul_lo_u32 v1, v1, s21
	v_mul_lo_u32 v2, v2, s23
	s_delay_alu instid0(VALU_DEP_1) | instskip(NEXT) | instid1(VALU_DEP_1)
	v_sub_nc_u32_e32 v1, v1, v2
	v_cmp_lt_u32_e64 s12, s41, v1
	s_delay_alu instid0(VALU_DEP_1)
	s_and_b32 s57, s12, exec_lo
; %bb.27:
	s_or_b32 exec_lo, exec_lo, s13
	v_add_nc_u32_e32 v1, s17, v7
	v_add_nc_u32_e32 v2, s19, v7
	s_mov_b32 s42, exec_lo
	s_delay_alu instid0(VALU_DEP_2) | instskip(NEXT) | instid1(VALU_DEP_2)
	v_mul_lo_u32 v1, v1, s16
	v_mul_lo_u32 v2, v2, s18
	s_delay_alu instid0(VALU_DEP_1) | instskip(NEXT) | instid1(VALU_DEP_1)
	v_sub_nc_u32_e32 v1, v1, v2
	v_cmp_lt_u32_e64 s12, s20, v1
	v_cmpx_ge_u32_e64 s20, v1
; %bb.28:
	v_add_nc_u32_e32 v1, s22, v7
	v_add_nc_u32_e32 v2, s40, v7
	s_delay_alu instid0(VALU_DEP_2) | instskip(NEXT) | instid1(VALU_DEP_2)
	v_mul_lo_u32 v1, v1, s21
	v_mul_lo_u32 v2, v2, s23
	s_delay_alu instid0(VALU_DEP_1) | instskip(NEXT) | instid1(VALU_DEP_1)
	v_sub_nc_u32_e32 v1, v1, v2
	v_cmp_lt_u32_e64 s13, s41, v1
	s_delay_alu instid0(VALU_DEP_1)
	s_and_b32 s56, s13, exec_lo
; %bb.29:
	s_or_b32 exec_lo, exec_lo, s42
	v_add_nc_u32_e32 v1, s17, v27
	v_add_nc_u32_e32 v2, s19, v27
	s_mov_b32 s42, -1
	s_mov_b32 s53, 0
	s_mov_b32 s43, 0
	v_mul_lo_u32 v1, v1, s16
	v_mul_lo_u32 v2, v2, s18
	s_mov_b32 s58, exec_lo
	s_delay_alu instid0(VALU_DEP_1) | instskip(NEXT) | instid1(VALU_DEP_1)
	v_sub_nc_u32_e32 v1, v1, v2
	v_cmpx_ge_u32_e64 s20, v1
; %bb.30:
	v_add_nc_u32_e32 v1, s22, v27
	v_add_nc_u32_e32 v2, s40, v27
	s_xor_b32 s42, exec_lo, -1
	s_delay_alu instid0(VALU_DEP_2) | instskip(NEXT) | instid1(VALU_DEP_2)
	v_mul_lo_u32 v1, v1, s21
	v_mul_lo_u32 v2, v2, s23
	s_delay_alu instid0(VALU_DEP_1) | instskip(NEXT) | instid1(VALU_DEP_1)
	v_sub_nc_u32_e32 v1, v1, v2
	v_cmp_lt_u32_e64 s13, s41, v1
	s_delay_alu instid0(VALU_DEP_1)
	s_and_b32 s43, s13, exec_lo
; %bb.31:
	s_or_b32 exec_lo, exec_lo, s58
	v_cndmask_b32_e64 v48, 0, 1, s57
	v_cndmask_b32_e64 v51, 0, 1, s12
	;; [unrolled: 1-line block ×22, first 2 shown]
	v_cndmask_b32_e64 v29, 0, 1, vcc_lo
	v_cndmask_b32_e64 v52, 0, 1, s56
	s_load_b64 s[4:5], s[0:1], 0x78
	s_and_b32 vcc_lo, exec_lo, s53
	s_add_i32 s3, s44, 0xd00
	s_cbranch_vccnz .LBB10_33
	s_branch .LBB10_86
.LBB10_32:
                                        ; implicit-def: $sgpr42
                                        ; implicit-def: $sgpr43
                                        ; implicit-def: $vgpr52
                                        ; implicit-def: $vgpr48
                                        ; implicit-def: $vgpr47
                                        ; implicit-def: $vgpr45
                                        ; implicit-def: $vgpr43
                                        ; implicit-def: $vgpr40
                                        ; implicit-def: $vgpr39
                                        ; implicit-def: $vgpr37
                                        ; implicit-def: $vgpr35
                                        ; implicit-def: $vgpr29
                                        ; implicit-def: $vgpr33
                                        ; implicit-def: $vgpr31
                                        ; implicit-def: $vgpr32
                                        ; implicit-def: $vgpr38
                                        ; implicit-def: $vgpr41
                                        ; implicit-def: $vgpr42
                                        ; implicit-def: $vgpr44
                                        ; implicit-def: $vgpr46
                                        ; implicit-def: $vgpr49
                                        ; implicit-def: $vgpr50
                                        ; implicit-def: $vgpr51
                                        ; implicit-def: $vgpr30
                                        ; implicit-def: $vgpr34
                                        ; implicit-def: $vgpr36
	s_load_b64 s[4:5], s[0:1], 0x78
	s_add_i32 s3, s44, 0xd00
	s_cbranch_execz .LBB10_86
.LBB10_33:
	v_dual_mov_b32 v30, 0 :: v_dual_mov_b32 v29, 0
	s_mov_b32 s2, 0
	s_mov_b32 s1, exec_lo
	v_cmpx_gt_u32_e64 s3, v28
	s_cbranch_execz .LBB10_37
; %bb.34:
	v_add_nc_u32_e32 v1, s17, v16
	v_add_nc_u32_e32 v2, s19, v16
	s_mov_b32 s6, exec_lo
	s_delay_alu instid0(VALU_DEP_2) | instskip(NEXT) | instid1(VALU_DEP_2)
	v_mul_lo_u32 v1, v1, s16
	v_mul_lo_u32 v2, v2, s18
	s_delay_alu instid0(VALU_DEP_1) | instskip(NEXT) | instid1(VALU_DEP_1)
	v_sub_nc_u32_e32 v1, v1, v2
	v_cmp_lt_u32_e32 vcc_lo, s20, v1
	v_cmpx_ge_u32_e64 s20, v1
; %bb.35:
	v_add_nc_u32_e32 v1, s22, v16
	v_add_nc_u32_e32 v2, s40, v16
	s_delay_alu instid0(VALU_DEP_2) | instskip(NEXT) | instid1(VALU_DEP_2)
	v_mul_lo_u32 v1, v1, s21
	v_mul_lo_u32 v2, v2, s23
	s_delay_alu instid0(VALU_DEP_1) | instskip(NEXT) | instid1(VALU_DEP_1)
	v_sub_nc_u32_e32 v1, v1, v2
	v_cmp_lt_u32_e64 s0, s41, v1
	s_delay_alu instid0(VALU_DEP_1)
	s_and_b32 s2, s0, exec_lo
; %bb.36:
	s_or_b32 exec_lo, exec_lo, s6
	v_cndmask_b32_e64 v29, 0, 1, vcc_lo
	v_cndmask_b32_e64 v30, 0, 1, s2
.LBB10_37:
	s_or_b32 exec_lo, exec_lo, s1
	v_dual_mov_b32 v34, 0 :: v_dual_add_nc_u32 v1, 1, v28
	v_mov_b32_e32 v33, 0
	s_mov_b32 s2, 0
	s_mov_b32 s1, exec_lo
	s_delay_alu instid0(VALU_DEP_2)
	v_cmpx_gt_u32_e64 s3, v1
	s_cbranch_execz .LBB10_41
; %bb.38:
	v_add_nc_u32_e32 v1, s17, v17
	v_add_nc_u32_e32 v2, s19, v17
	s_mov_b32 s6, exec_lo
	s_delay_alu instid0(VALU_DEP_2) | instskip(NEXT) | instid1(VALU_DEP_2)
	v_mul_lo_u32 v1, v1, s16
	v_mul_lo_u32 v2, v2, s18
	s_delay_alu instid0(VALU_DEP_1) | instskip(NEXT) | instid1(VALU_DEP_1)
	v_sub_nc_u32_e32 v1, v1, v2
	v_cmp_lt_u32_e32 vcc_lo, s20, v1
	v_cmpx_ge_u32_e64 s20, v1
; %bb.39:
	v_add_nc_u32_e32 v1, s22, v17
	v_add_nc_u32_e32 v2, s40, v17
	s_delay_alu instid0(VALU_DEP_2) | instskip(NEXT) | instid1(VALU_DEP_2)
	v_mul_lo_u32 v1, v1, s21
	v_mul_lo_u32 v2, v2, s23
	s_delay_alu instid0(VALU_DEP_1) | instskip(NEXT) | instid1(VALU_DEP_1)
	v_sub_nc_u32_e32 v1, v1, v2
	v_cmp_lt_u32_e64 s0, s41, v1
	s_delay_alu instid0(VALU_DEP_1)
	s_and_b32 s2, s0, exec_lo
; %bb.40:
	s_or_b32 exec_lo, exec_lo, s6
	v_cndmask_b32_e64 v33, 0, 1, vcc_lo
	v_cndmask_b32_e64 v34, 0, 1, s2
.LBB10_41:
	s_or_b32 exec_lo, exec_lo, s1
	v_dual_mov_b32 v36, 0 :: v_dual_add_nc_u32 v1, 2, v28
	v_mov_b32_e32 v31, 0
	s_mov_b32 s2, 0
	s_mov_b32 s1, exec_lo
	s_delay_alu instid0(VALU_DEP_2)
	;; [unrolled: 35-line block ×4, first 2 shown]
	v_cmpx_gt_u32_e64 s3, v1
	s_cbranch_execz .LBB10_53
; %bb.50:
	v_add_nc_u32_e32 v1, s17, v12
	v_add_nc_u32_e32 v2, s19, v12
	s_mov_b32 s6, exec_lo
	s_delay_alu instid0(VALU_DEP_2) | instskip(NEXT) | instid1(VALU_DEP_2)
	v_mul_lo_u32 v1, v1, s16
	v_mul_lo_u32 v2, v2, s18
	s_delay_alu instid0(VALU_DEP_1) | instskip(NEXT) | instid1(VALU_DEP_1)
	v_sub_nc_u32_e32 v1, v1, v2
	v_cmp_lt_u32_e32 vcc_lo, s20, v1
	v_cmpx_ge_u32_e64 s20, v1
; %bb.51:
	v_add_nc_u32_e32 v1, s22, v12
	v_add_nc_u32_e32 v2, s40, v12
	s_delay_alu instid0(VALU_DEP_2) | instskip(NEXT) | instid1(VALU_DEP_2)
	v_mul_lo_u32 v1, v1, s21
	v_mul_lo_u32 v2, v2, s23
	s_delay_alu instid0(VALU_DEP_1) | instskip(NEXT) | instid1(VALU_DEP_1)
	v_sub_nc_u32_e32 v1, v1, v2
	v_cmp_lt_u32_e64 s0, s41, v1
	s_delay_alu instid0(VALU_DEP_1)
	s_and_b32 s2, s0, exec_lo
; %bb.52:
	s_or_b32 exec_lo, exec_lo, s6
	v_cndmask_b32_e64 v38, 0, 1, vcc_lo
	v_cndmask_b32_e64 v37, 0, 1, s2
.LBB10_53:
	s_or_b32 exec_lo, exec_lo, s1
	v_add_nc_u32_e32 v1, 5, v28
	v_mov_b32_e32 v39, 0
	v_mov_b32_e32 v41, 0
	s_mov_b32 s2, 0
	s_mov_b32 s1, exec_lo
	v_cmpx_gt_u32_e64 s3, v1
	s_cbranch_execz .LBB10_57
; %bb.54:
	v_add_nc_u32_e32 v1, s17, v13
	v_add_nc_u32_e32 v2, s19, v13
	s_mov_b32 s6, exec_lo
	s_delay_alu instid0(VALU_DEP_2) | instskip(NEXT) | instid1(VALU_DEP_2)
	v_mul_lo_u32 v1, v1, s16
	v_mul_lo_u32 v2, v2, s18
	s_delay_alu instid0(VALU_DEP_1) | instskip(NEXT) | instid1(VALU_DEP_1)
	v_sub_nc_u32_e32 v1, v1, v2
	v_cmp_lt_u32_e32 vcc_lo, s20, v1
	v_cmpx_ge_u32_e64 s20, v1
; %bb.55:
	v_add_nc_u32_e32 v1, s22, v13
	v_add_nc_u32_e32 v2, s40, v13
	s_delay_alu instid0(VALU_DEP_2) | instskip(NEXT) | instid1(VALU_DEP_2)
	v_mul_lo_u32 v1, v1, s21
	v_mul_lo_u32 v2, v2, s23
	s_delay_alu instid0(VALU_DEP_1) | instskip(NEXT) | instid1(VALU_DEP_1)
	v_sub_nc_u32_e32 v1, v1, v2
	v_cmp_lt_u32_e64 s0, s41, v1
	s_delay_alu instid0(VALU_DEP_1)
	s_and_b32 s2, s0, exec_lo
; %bb.56:
	s_or_b32 exec_lo, exec_lo, s6
	v_cndmask_b32_e64 v41, 0, 1, vcc_lo
	v_cndmask_b32_e64 v39, 0, 1, s2
.LBB10_57:
	s_or_b32 exec_lo, exec_lo, s1
	v_dual_mov_b32 v40, 0 :: v_dual_add_nc_u32 v1, 6, v28
	v_mov_b32_e32 v42, 0
	s_mov_b32 s2, 0
	s_mov_b32 s1, exec_lo
	s_delay_alu instid0(VALU_DEP_2)
	v_cmpx_gt_u32_e64 s3, v1
	s_cbranch_execz .LBB10_61
; %bb.58:
	v_add_nc_u32_e32 v1, s17, v10
	v_add_nc_u32_e32 v2, s19, v10
	s_mov_b32 s6, exec_lo
	s_delay_alu instid0(VALU_DEP_2) | instskip(NEXT) | instid1(VALU_DEP_2)
	v_mul_lo_u32 v1, v1, s16
	v_mul_lo_u32 v2, v2, s18
	s_delay_alu instid0(VALU_DEP_1) | instskip(NEXT) | instid1(VALU_DEP_1)
	v_sub_nc_u32_e32 v1, v1, v2
	v_cmp_lt_u32_e32 vcc_lo, s20, v1
	v_cmpx_ge_u32_e64 s20, v1
; %bb.59:
	v_add_nc_u32_e32 v1, s22, v10
	v_add_nc_u32_e32 v2, s40, v10
	s_delay_alu instid0(VALU_DEP_2) | instskip(NEXT) | instid1(VALU_DEP_2)
	v_mul_lo_u32 v1, v1, s21
	v_mul_lo_u32 v2, v2, s23
	s_delay_alu instid0(VALU_DEP_1) | instskip(NEXT) | instid1(VALU_DEP_1)
	v_sub_nc_u32_e32 v1, v1, v2
	v_cmp_lt_u32_e64 s0, s41, v1
	s_delay_alu instid0(VALU_DEP_1)
	s_and_b32 s2, s0, exec_lo
; %bb.60:
	s_or_b32 exec_lo, exec_lo, s6
	v_cndmask_b32_e64 v42, 0, 1, vcc_lo
	v_cndmask_b32_e64 v40, 0, 1, s2
.LBB10_61:
	s_or_b32 exec_lo, exec_lo, s1
	v_dual_mov_b32 v44, 0 :: v_dual_add_nc_u32 v1, 7, v28
	v_mov_b32_e32 v43, 0
	s_mov_b32 s2, 0
	s_mov_b32 s1, exec_lo
	s_delay_alu instid0(VALU_DEP_2)
	v_cmpx_gt_u32_e64 s3, v1
	s_cbranch_execz .LBB10_65
; %bb.62:
	v_add_nc_u32_e32 v1, s17, v11
	v_add_nc_u32_e32 v2, s19, v11
	s_mov_b32 s6, exec_lo
	s_delay_alu instid0(VALU_DEP_2) | instskip(NEXT) | instid1(VALU_DEP_2)
	v_mul_lo_u32 v1, v1, s16
	v_mul_lo_u32 v2, v2, s18
	s_delay_alu instid0(VALU_DEP_1) | instskip(NEXT) | instid1(VALU_DEP_1)
	v_sub_nc_u32_e32 v1, v1, v2
	v_cmp_lt_u32_e32 vcc_lo, s20, v1
	v_cmpx_ge_u32_e64 s20, v1
; %bb.63:
	v_add_nc_u32_e32 v1, s22, v11
	v_add_nc_u32_e32 v2, s40, v11
	s_delay_alu instid0(VALU_DEP_2) | instskip(NEXT) | instid1(VALU_DEP_2)
	v_mul_lo_u32 v1, v1, s21
	v_mul_lo_u32 v2, v2, s23
	s_delay_alu instid0(VALU_DEP_1) | instskip(NEXT) | instid1(VALU_DEP_1)
	v_sub_nc_u32_e32 v1, v1, v2
	v_cmp_lt_u32_e64 s0, s41, v1
	s_delay_alu instid0(VALU_DEP_1)
	s_and_b32 s2, s0, exec_lo
; %bb.64:
	s_or_b32 exec_lo, exec_lo, s6
	v_cndmask_b32_e64 v44, 0, 1, vcc_lo
	v_cndmask_b32_e64 v43, 0, 1, s2
.LBB10_65:
	s_or_b32 exec_lo, exec_lo, s1
	v_dual_mov_b32 v46, 0 :: v_dual_add_nc_u32 v1, 8, v28
	v_mov_b32_e32 v45, 0
	s_mov_b32 s2, 0
	s_mov_b32 s1, exec_lo
	s_delay_alu instid0(VALU_DEP_2)
	v_cmpx_gt_u32_e64 s3, v1
	s_cbranch_execz .LBB10_69
; %bb.66:
	v_add_nc_u32_e32 v1, s17, v8
	v_add_nc_u32_e32 v2, s19, v8
	s_mov_b32 s6, exec_lo
	s_delay_alu instid0(VALU_DEP_2) | instskip(NEXT) | instid1(VALU_DEP_2)
	v_mul_lo_u32 v1, v1, s16
	v_mul_lo_u32 v2, v2, s18
	s_delay_alu instid0(VALU_DEP_1) | instskip(NEXT) | instid1(VALU_DEP_1)
	v_sub_nc_u32_e32 v1, v1, v2
	v_cmp_lt_u32_e32 vcc_lo, s20, v1
	v_cmpx_ge_u32_e64 s20, v1
; %bb.67:
	v_add_nc_u32_e32 v1, s22, v8
	v_add_nc_u32_e32 v2, s40, v8
	s_delay_alu instid0(VALU_DEP_2) | instskip(NEXT) | instid1(VALU_DEP_2)
	v_mul_lo_u32 v1, v1, s21
	v_mul_lo_u32 v2, v2, s23
	s_delay_alu instid0(VALU_DEP_1) | instskip(NEXT) | instid1(VALU_DEP_1)
	v_sub_nc_u32_e32 v1, v1, v2
	v_cmp_lt_u32_e64 s0, s41, v1
	s_delay_alu instid0(VALU_DEP_1)
	s_and_b32 s2, s0, exec_lo
; %bb.68:
	s_or_b32 exec_lo, exec_lo, s6
	v_cndmask_b32_e64 v46, 0, 1, vcc_lo
	v_cndmask_b32_e64 v45, 0, 1, s2
.LBB10_69:
	s_or_b32 exec_lo, exec_lo, s1
	v_add_nc_u32_e32 v1, 9, v28
	v_mov_b32_e32 v47, 0
	v_mov_b32_e32 v49, 0
	s_mov_b32 s2, 0
	s_mov_b32 s1, exec_lo
	v_cmpx_gt_u32_e64 s3, v1
	s_cbranch_execz .LBB10_73
; %bb.70:
	v_add_nc_u32_e32 v1, s17, v9
	v_add_nc_u32_e32 v2, s19, v9
	s_mov_b32 s6, exec_lo
	s_delay_alu instid0(VALU_DEP_2) | instskip(NEXT) | instid1(VALU_DEP_2)
	v_mul_lo_u32 v1, v1, s16
	v_mul_lo_u32 v2, v2, s18
	s_delay_alu instid0(VALU_DEP_1) | instskip(NEXT) | instid1(VALU_DEP_1)
	v_sub_nc_u32_e32 v1, v1, v2
	v_cmp_lt_u32_e32 vcc_lo, s20, v1
	v_cmpx_ge_u32_e64 s20, v1
; %bb.71:
	v_add_nc_u32_e32 v1, s22, v9
	v_add_nc_u32_e32 v2, s40, v9
	s_delay_alu instid0(VALU_DEP_2) | instskip(NEXT) | instid1(VALU_DEP_2)
	v_mul_lo_u32 v1, v1, s21
	v_mul_lo_u32 v2, v2, s23
	s_delay_alu instid0(VALU_DEP_1) | instskip(NEXT) | instid1(VALU_DEP_1)
	v_sub_nc_u32_e32 v1, v1, v2
	v_cmp_lt_u32_e64 s0, s41, v1
	s_delay_alu instid0(VALU_DEP_1)
	s_and_b32 s2, s0, exec_lo
; %bb.72:
	s_or_b32 exec_lo, exec_lo, s6
	v_cndmask_b32_e64 v49, 0, 1, vcc_lo
	v_cndmask_b32_e64 v47, 0, 1, s2
.LBB10_73:
	s_or_b32 exec_lo, exec_lo, s1
	v_dual_mov_b32 v48, 0 :: v_dual_add_nc_u32 v1, 10, v28
	v_mov_b32_e32 v50, 0
	s_mov_b32 s2, 0
	s_mov_b32 s1, exec_lo
	s_delay_alu instid0(VALU_DEP_2)
	v_cmpx_gt_u32_e64 s3, v1
	s_cbranch_execz .LBB10_77
; %bb.74:
	v_add_nc_u32_e32 v1, s17, v6
	v_add_nc_u32_e32 v2, s19, v6
	s_mov_b32 s6, exec_lo
	s_delay_alu instid0(VALU_DEP_2) | instskip(NEXT) | instid1(VALU_DEP_2)
	v_mul_lo_u32 v1, v1, s16
	v_mul_lo_u32 v2, v2, s18
	s_delay_alu instid0(VALU_DEP_1) | instskip(NEXT) | instid1(VALU_DEP_1)
	v_sub_nc_u32_e32 v1, v1, v2
	v_cmp_lt_u32_e32 vcc_lo, s20, v1
	v_cmpx_ge_u32_e64 s20, v1
; %bb.75:
	v_add_nc_u32_e32 v1, s22, v6
	v_add_nc_u32_e32 v2, s40, v6
	s_delay_alu instid0(VALU_DEP_2) | instskip(NEXT) | instid1(VALU_DEP_2)
	v_mul_lo_u32 v1, v1, s21
	v_mul_lo_u32 v2, v2, s23
	s_delay_alu instid0(VALU_DEP_1) | instskip(NEXT) | instid1(VALU_DEP_1)
	v_sub_nc_u32_e32 v1, v1, v2
	v_cmp_lt_u32_e64 s0, s41, v1
	s_delay_alu instid0(VALU_DEP_1)
	s_and_b32 s2, s0, exec_lo
; %bb.76:
	s_or_b32 exec_lo, exec_lo, s6
	v_cndmask_b32_e64 v50, 0, 1, vcc_lo
	v_cndmask_b32_e64 v48, 0, 1, s2
.LBB10_77:
	s_or_b32 exec_lo, exec_lo, s1
	v_dual_mov_b32 v52, 0 :: v_dual_add_nc_u32 v1, 11, v28
	v_mov_b32_e32 v51, 0
	s_mov_b32 s2, 0
	s_mov_b32 s1, exec_lo
	s_delay_alu instid0(VALU_DEP_2)
	v_cmpx_gt_u32_e64 s3, v1
	s_cbranch_execz .LBB10_81
; %bb.78:
	v_add_nc_u32_e32 v1, s17, v7
	v_add_nc_u32_e32 v2, s19, v7
	s_mov_b32 s6, exec_lo
	s_delay_alu instid0(VALU_DEP_2) | instskip(NEXT) | instid1(VALU_DEP_2)
	v_mul_lo_u32 v1, v1, s16
	v_mul_lo_u32 v2, v2, s18
	s_delay_alu instid0(VALU_DEP_1) | instskip(NEXT) | instid1(VALU_DEP_1)
	v_sub_nc_u32_e32 v1, v1, v2
	v_cmp_lt_u32_e32 vcc_lo, s20, v1
	v_cmpx_ge_u32_e64 s20, v1
; %bb.79:
	v_add_nc_u32_e32 v1, s22, v7
	v_add_nc_u32_e32 v2, s40, v7
	s_delay_alu instid0(VALU_DEP_2) | instskip(NEXT) | instid1(VALU_DEP_2)
	v_mul_lo_u32 v1, v1, s21
	v_mul_lo_u32 v2, v2, s23
	s_delay_alu instid0(VALU_DEP_1) | instskip(NEXT) | instid1(VALU_DEP_1)
	v_sub_nc_u32_e32 v1, v1, v2
	v_cmp_lt_u32_e64 s0, s41, v1
	s_delay_alu instid0(VALU_DEP_1)
	s_and_b32 s2, s0, exec_lo
; %bb.80:
	s_or_b32 exec_lo, exec_lo, s6
	v_cndmask_b32_e64 v51, 0, 1, vcc_lo
	v_cndmask_b32_e64 v52, 0, 1, s2
.LBB10_81:
	s_or_b32 exec_lo, exec_lo, s1
	v_add_nc_u32_e32 v1, 12, v28
	s_mov_b32 s42, 0
	s_mov_b32 s43, 0
	s_mov_b32 s0, exec_lo
	s_delay_alu instid0(VALU_DEP_1)
	v_cmpx_gt_u32_e64 s3, v1
	s_cbranch_execz .LBB10_85
; %bb.82:
	v_add_nc_u32_e32 v1, s17, v27
	v_add_nc_u32_e32 v2, s19, v27
	s_mov_b32 s2, -1
	s_mov_b32 s6, 0
	s_mov_b32 s1, exec_lo
	v_mul_lo_u32 v1, v1, s16
	v_mul_lo_u32 v2, v2, s18
	s_delay_alu instid0(VALU_DEP_1) | instskip(NEXT) | instid1(VALU_DEP_1)
	v_sub_nc_u32_e32 v1, v1, v2
	v_cmpx_ge_u32_e64 s20, v1
; %bb.83:
	v_add_nc_u32_e32 v1, s22, v27
	v_add_nc_u32_e32 v2, s40, v27
	s_xor_b32 s2, exec_lo, -1
	s_delay_alu instid0(VALU_DEP_2) | instskip(NEXT) | instid1(VALU_DEP_2)
	v_mul_lo_u32 v1, v1, s21
	v_mul_lo_u32 v2, v2, s23
	s_delay_alu instid0(VALU_DEP_1) | instskip(NEXT) | instid1(VALU_DEP_1)
	v_sub_nc_u32_e32 v1, v1, v2
	v_cmp_lt_u32_e32 vcc_lo, s41, v1
	s_and_b32 s6, vcc_lo, exec_lo
; %bb.84:
	s_or_b32 exec_lo, exec_lo, s1
	s_delay_alu instid0(SALU_CYCLE_1)
	s_and_b32 s43, s6, exec_lo
	s_and_b32 s42, s2, exec_lo
.LBB10_85:
	s_or_b32 exec_lo, exec_lo, s0
.LBB10_86:
	v_and_b32_e32 v75, 0xff, v29
	v_and_b32_e32 v76, 0xff, v30
	;; [unrolled: 1-line block ×10, first 2 shown]
	v_add3_u32 v1, v71, v73, v75
	v_add3_u32 v2, v72, v74, v76
	v_and_b32_e32 v65, 0xff, v41
	v_and_b32_e32 v66, 0xff, v39
	v_and_b32_e32 v61, 0xff, v42
	v_and_b32_e32 v62, 0xff, v40
	v_add3_u32 v1, v1, v69, v67
	v_add3_u32 v2, v2, v70, v68
	v_and_b32_e32 v63, 0xff, v44
	v_and_b32_e32 v64, 0xff, v43
	v_and_b32_e32 v59, 0xff, v46
	v_and_b32_e32 v60, 0xff, v45
	;; [unrolled: 6-line block ×3, first 2 shown]
	v_add3_u32 v1, v1, v63, v59
	v_add3_u32 v2, v2, v64, v60
	v_mbcnt_lo_u32_b32 v77, -1, 0
	v_and_b32_e32 v53, 0xff, v51
	v_and_b32_e32 v54, 0xff, v52
	v_cndmask_b32_e64 v3, 0, 1, s43
	v_add3_u32 v1, v1, v57, v55
	v_cndmask_b32_e64 v4, 0, 1, s42
	v_add3_u32 v2, v2, v58, v56
	v_and_b32_e32 v81, 15, v77
	v_and_b32_e32 v80, 16, v77
	v_lshrrev_b32_e32 v78, 5, v0
	v_add3_u32 v82, v1, v53, v4
	v_add3_u32 v83, v2, v54, v3
	v_cmp_eq_u32_e64 s1, 0, v81
	v_cmp_lt_u32_e64 s0, 1, v81
	v_cmp_lt_u32_e64 s2, 3, v81
	v_cmp_lt_u32_e32 vcc_lo, 7, v81
	v_or_b32_e32 v79, 31, v0
	s_cmp_lg_u32 s15, 0
	s_mov_b32 s6, -1
	s_cbranch_scc0 .LBB10_114
; %bb.87:
	v_mov_b32_dpp v1, v83 row_shr:1 row_mask:0xf bank_mask:0xf
	v_mov_b32_dpp v2, v82 row_shr:1 row_mask:0xf bank_mask:0xf
	s_delay_alu instid0(VALU_DEP_2) | instskip(NEXT) | instid1(VALU_DEP_1)
	v_add_nc_u32_e32 v1, v1, v83
	v_cndmask_b32_e64 v1, v1, v83, s1
	s_delay_alu instid0(VALU_DEP_1) | instskip(NEXT) | instid1(VALU_DEP_1)
	v_mov_b32_dpp v3, v1 row_shr:2 row_mask:0xf bank_mask:0xf
	v_add_nc_u32_e32 v3, v1, v3
	s_delay_alu instid0(VALU_DEP_1) | instskip(NEXT) | instid1(VALU_DEP_1)
	v_cndmask_b32_e64 v1, v1, v3, s0
	v_mov_b32_dpp v3, v1 row_shr:4 row_mask:0xf bank_mask:0xf
	s_delay_alu instid0(VALU_DEP_1) | instskip(NEXT) | instid1(VALU_DEP_1)
	v_add_nc_u32_e32 v3, v1, v3
	v_cndmask_b32_e64 v1, v1, v3, s2
	s_delay_alu instid0(VALU_DEP_1) | instskip(NEXT) | instid1(VALU_DEP_1)
	v_mov_b32_dpp v3, v1 row_shr:8 row_mask:0xf bank_mask:0xf
	v_add_nc_u32_e32 v3, v1, v3
	s_delay_alu instid0(VALU_DEP_1) | instskip(NEXT) | instid1(VALU_DEP_1)
	v_dual_cndmask_b32 v1, v1, v3 :: v_dual_add_nc_u32 v2, v2, v82
	v_cndmask_b32_e64 v2, v2, v82, s1
	s_delay_alu instid0(VALU_DEP_1) | instskip(NEXT) | instid1(VALU_DEP_1)
	v_mov_b32_dpp v4, v2 row_shr:2 row_mask:0xf bank_mask:0xf
	v_add_nc_u32_e32 v4, v2, v4
	s_delay_alu instid0(VALU_DEP_1) | instskip(NEXT) | instid1(VALU_DEP_1)
	v_cndmask_b32_e64 v2, v2, v4, s0
	v_mov_b32_dpp v4, v2 row_shr:4 row_mask:0xf bank_mask:0xf
	s_delay_alu instid0(VALU_DEP_1) | instskip(NEXT) | instid1(VALU_DEP_1)
	v_add_nc_u32_e32 v4, v2, v4
	v_cndmask_b32_e64 v2, v2, v4, s2
	s_mov_b32 s2, exec_lo
	s_delay_alu instid0(VALU_DEP_1) | instskip(NEXT) | instid1(VALU_DEP_1)
	v_mov_b32_dpp v4, v2 row_shr:8 row_mask:0xf bank_mask:0xf
	v_add_nc_u32_e32 v4, v2, v4
	s_delay_alu instid0(VALU_DEP_1)
	v_cndmask_b32_e32 v3, v2, v4, vcc_lo
	ds_swizzle_b32 v2, v1 offset:swizzle(BROADCAST,32,15)
	v_cmp_eq_u32_e32 vcc_lo, 0, v80
	s_waitcnt lgkmcnt(0)
	v_add_nc_u32_e32 v2, v1, v2
	ds_swizzle_b32 v4, v3 offset:swizzle(BROADCAST,32,15)
	v_cndmask_b32_e32 v2, v2, v1, vcc_lo
	s_waitcnt lgkmcnt(0)
	v_add_nc_u32_e32 v4, v3, v4
	s_delay_alu instid0(VALU_DEP_1)
	v_cndmask_b32_e32 v1, v4, v3, vcc_lo
	v_cmpx_eq_u32_e64 v79, v0
	s_cbranch_execz .LBB10_89
; %bb.88:
	v_lshlrev_b32_e32 v3, 3, v78
	ds_store_b64 v3, v[1:2]
.LBB10_89:
	s_or_b32 exec_lo, exec_lo, s2
	s_delay_alu instid0(SALU_CYCLE_1)
	s_mov_b32 s2, exec_lo
	s_waitcnt lgkmcnt(0)
	s_barrier
	buffer_gl0_inv
	v_cmpx_gt_u32_e32 8, v0
	s_cbranch_execz .LBB10_91
; %bb.90:
	v_lshlrev_b32_e32 v5, 3, v0
	ds_load_b64 v[3:4], v5
	s_waitcnt lgkmcnt(0)
	v_mov_b32_dpp v18, v3 row_shr:1 row_mask:0xf bank_mask:0xf
	v_mov_b32_dpp v19, v4 row_shr:1 row_mask:0xf bank_mask:0xf
	s_delay_alu instid0(VALU_DEP_2) | instskip(SKIP_1) | instid1(VALU_DEP_3)
	v_add_nc_u32_e32 v18, v18, v3
	v_and_b32_e32 v20, 7, v77
	v_add_nc_u32_e32 v19, v19, v4
	s_delay_alu instid0(VALU_DEP_2) | instskip(NEXT) | instid1(VALU_DEP_2)
	v_cmp_eq_u32_e32 vcc_lo, 0, v20
	v_dual_cndmask_b32 v4, v19, v4 :: v_dual_cndmask_b32 v3, v18, v3
	v_cmp_lt_u32_e32 vcc_lo, 1, v20
	s_delay_alu instid0(VALU_DEP_2) | instskip(NEXT) | instid1(VALU_DEP_3)
	v_mov_b32_dpp v19, v4 row_shr:2 row_mask:0xf bank_mask:0xf
	v_mov_b32_dpp v18, v3 row_shr:2 row_mask:0xf bank_mask:0xf
	s_delay_alu instid0(VALU_DEP_2) | instskip(NEXT) | instid1(VALU_DEP_2)
	v_add_nc_u32_e32 v19, v4, v19
	v_add_nc_u32_e32 v18, v3, v18
	s_delay_alu instid0(VALU_DEP_1) | instskip(SKIP_1) | instid1(VALU_DEP_2)
	v_dual_cndmask_b32 v4, v4, v19 :: v_dual_cndmask_b32 v3, v3, v18
	v_cmp_lt_u32_e32 vcc_lo, 3, v20
	v_mov_b32_dpp v19, v4 row_shr:4 row_mask:0xf bank_mask:0xf
	s_delay_alu instid0(VALU_DEP_3) | instskip(NEXT) | instid1(VALU_DEP_1)
	v_mov_b32_dpp v18, v3 row_shr:4 row_mask:0xf bank_mask:0xf
	v_dual_cndmask_b32 v19, 0, v19 :: v_dual_cndmask_b32 v18, 0, v18
	s_delay_alu instid0(VALU_DEP_1) | instskip(NEXT) | instid1(VALU_DEP_2)
	v_add_nc_u32_e32 v4, v19, v4
	v_add_nc_u32_e32 v3, v18, v3
	ds_store_b64 v5, v[3:4]
.LBB10_91:
	s_or_b32 exec_lo, exec_lo, s2
	v_cmp_gt_u32_e32 vcc_lo, 32, v0
	v_cmp_lt_u32_e64 s2, 31, v0
	s_waitcnt lgkmcnt(0)
	s_barrier
	buffer_gl0_inv
                                        ; implicit-def: $vgpr19
	s_and_saveexec_b32 s6, s2
	s_delay_alu instid0(SALU_CYCLE_1)
	s_xor_b32 s2, exec_lo, s6
	s_cbranch_execz .LBB10_93
; %bb.92:
	v_lshl_add_u32 v3, v78, 3, -8
	ds_load_b64 v[18:19], v3
	s_waitcnt lgkmcnt(0)
	v_add_nc_u32_e32 v2, v19, v2
	v_add_nc_u32_e32 v1, v18, v1
.LBB10_93:
	s_and_not1_saveexec_b32 s2, s2
; %bb.94:
                                        ; implicit-def: $vgpr18
; %bb.95:
	s_delay_alu instid0(SALU_CYCLE_1) | instskip(SKIP_1) | instid1(VALU_DEP_1)
	s_or_b32 exec_lo, exec_lo, s2
	v_add_nc_u32_e32 v3, -1, v77
	v_cmp_gt_i32_e64 s2, 0, v3
	s_delay_alu instid0(VALU_DEP_1) | instskip(SKIP_1) | instid1(VALU_DEP_2)
	v_cndmask_b32_e64 v3, v3, v77, s2
	v_cmp_eq_u32_e64 s2, 0, v77
	v_lshlrev_b32_e32 v3, 2, v3
	ds_bpermute_b32 v84, v3, v1
	ds_bpermute_b32 v85, v3, v2
	s_and_saveexec_b32 s6, vcc_lo
	s_cbranch_execz .LBB10_113
; %bb.96:
	v_mov_b32_e32 v4, 0
	ds_load_b64 v[1:2], v4 offset:56
	s_waitcnt lgkmcnt(0)
	v_readfirstlane_b32 s7, v2
	s_and_saveexec_b32 s8, s2
	s_cbranch_execz .LBB10_98
; %bb.97:
	s_add_i32 s10, s15, 32
	s_mov_b32 s11, 0
	v_mov_b32_e32 v3, 1
	s_lshl_b64 s[12:13], s[10:11], 4
	s_mov_b32 s16, s11
	s_add_u32 s12, s4, s12
	s_addc_u32 s13, s5, s13
	s_and_b32 s17, s7, 0xff000000
	s_and_b32 s19, s7, 0xff0000
	s_mov_b32 s18, s11
	v_dual_mov_b32 v21, s13 :: v_dual_mov_b32 v20, s12
	s_or_b64 s[16:17], s[18:19], s[16:17]
	s_and_b32 s19, s7, 0xff00
	s_delay_alu instid0(SALU_CYCLE_1) | instskip(SKIP_1) | instid1(SALU_CYCLE_1)
	s_or_b64 s[16:17], s[16:17], s[18:19]
	s_and_b32 s19, s7, 0xff
	s_or_b64 s[10:11], s[16:17], s[18:19]
	s_delay_alu instid0(SALU_CYCLE_1)
	v_mov_b32_e32 v2, s11
	;;#ASMSTART
	global_store_dwordx4 v[20:21], v[1:4] off	
s_waitcnt vmcnt(0)
	;;#ASMEND
.LBB10_98:
	s_or_b32 exec_lo, exec_lo, s8
	v_xad_u32 v20, v77, -1, s15
	s_mov_b32 s9, 0
	s_mov_b32 s8, exec_lo
	s_delay_alu instid0(VALU_DEP_1) | instskip(NEXT) | instid1(VALU_DEP_1)
	v_add_nc_u32_e32 v3, 32, v20
	v_lshlrev_b64 v[2:3], 4, v[3:4]
	s_delay_alu instid0(VALU_DEP_1) | instskip(NEXT) | instid1(VALU_DEP_2)
	v_add_co_u32 v21, vcc_lo, s4, v2
	v_add_co_ci_u32_e32 v22, vcc_lo, s5, v3, vcc_lo
	;;#ASMSTART
	global_load_dwordx4 v[2:5], v[21:22] off glc	
s_waitcnt vmcnt(0)
	;;#ASMEND
	v_and_b32_e32 v5, 0xff, v3
	v_and_b32_e32 v23, 0xff00, v3
	v_or3_b32 v2, v2, 0, 0
	v_and_b32_e32 v24, 0xff000000, v3
	v_and_b32_e32 v3, 0xff0000, v3
	s_delay_alu instid0(VALU_DEP_4) | instskip(SKIP_2) | instid1(VALU_DEP_3)
	v_or3_b32 v5, 0, v5, v23
	v_and_b32_e32 v23, 0xff, v4
	v_or3_b32 v2, v2, 0, 0
	v_or3_b32 v3, v5, v3, v24
	s_delay_alu instid0(VALU_DEP_3)
	v_cmpx_eq_u16_e32 0, v23
	s_cbranch_execz .LBB10_101
.LBB10_99:                              ; =>This Inner Loop Header: Depth=1
	;;#ASMSTART
	global_load_dwordx4 v[2:5], v[21:22] off glc	
s_waitcnt vmcnt(0)
	;;#ASMEND
	v_and_b32_e32 v5, 0xff, v4
	s_delay_alu instid0(VALU_DEP_1) | instskip(SKIP_1) | instid1(SALU_CYCLE_1)
	v_cmp_ne_u16_e32 vcc_lo, 0, v5
	s_or_b32 s9, vcc_lo, s9
	s_and_not1_b32 exec_lo, exec_lo, s9
	s_cbranch_execnz .LBB10_99
; %bb.100:
	s_or_b32 exec_lo, exec_lo, s9
.LBB10_101:
	s_delay_alu instid0(SALU_CYCLE_1)
	s_or_b32 exec_lo, exec_lo, s8
	v_cmp_ne_u32_e32 vcc_lo, 31, v77
	v_lshlrev_b32_e64 v87, v77, -1
	v_add_nc_u32_e32 v91, 4, v77
	v_add_nc_u32_e32 v93, 8, v77
	;; [unrolled: 1-line block ×3, first 2 shown]
	v_add_co_ci_u32_e32 v5, vcc_lo, 0, v77, vcc_lo
	s_delay_alu instid0(VALU_DEP_1)
	v_lshlrev_b32_e32 v86, 2, v5
	ds_bpermute_b32 v21, v86, v3
	ds_bpermute_b32 v5, v86, v2
	s_waitcnt lgkmcnt(1)
	v_add_nc_u32_e32 v21, v21, v3
	v_and_b32_e32 v22, 0xff, v4
	s_waitcnt lgkmcnt(0)
	v_add_nc_u32_e32 v5, v5, v2
	s_delay_alu instid0(VALU_DEP_2) | instskip(SKIP_2) | instid1(VALU_DEP_2)
	v_cmp_eq_u16_e32 vcc_lo, 2, v22
	v_and_or_b32 v22, vcc_lo, v87, 0x80000000
	v_cmp_gt_u32_e32 vcc_lo, 30, v77
	v_ctz_i32_b32_e32 v22, v22
	v_cndmask_b32_e64 v23, 0, 1, vcc_lo
	s_delay_alu instid0(VALU_DEP_2) | instskip(NEXT) | instid1(VALU_DEP_2)
	v_cmp_lt_u32_e32 vcc_lo, v77, v22
	v_dual_cndmask_b32 v2, v2, v5 :: v_dual_lshlrev_b32 v23, 1, v23
	s_delay_alu instid0(VALU_DEP_1)
	v_add_lshl_u32 v88, v23, v77, 2
	v_cndmask_b32_e32 v3, v3, v21, vcc_lo
	v_cmp_gt_u32_e32 vcc_lo, 28, v77
	ds_bpermute_b32 v5, v88, v2
	ds_bpermute_b32 v21, v88, v3
	v_cndmask_b32_e64 v23, 0, 1, vcc_lo
	s_waitcnt lgkmcnt(1)
	v_add_nc_u32_e32 v5, v2, v5
	v_add_nc_u32_e32 v89, 2, v77
	s_waitcnt lgkmcnt(0)
	v_add_nc_u32_e32 v21, v3, v21
	s_delay_alu instid0(VALU_DEP_2) | instskip(SKIP_1) | instid1(VALU_DEP_3)
	v_cmp_gt_u32_e32 vcc_lo, v89, v22
	v_dual_cndmask_b32 v2, v5, v2 :: v_dual_lshlrev_b32 v23, 2, v23
	v_cndmask_b32_e32 v3, v21, v3, vcc_lo
	v_cmp_gt_u32_e32 vcc_lo, 24, v77
	s_delay_alu instid0(VALU_DEP_3)
	v_add_lshl_u32 v90, v23, v77, 2
	v_cndmask_b32_e64 v23, 0, 1, vcc_lo
	v_cmp_gt_u32_e32 vcc_lo, v91, v22
	ds_bpermute_b32 v5, v90, v2
	ds_bpermute_b32 v21, v90, v3
	v_lshlrev_b32_e32 v23, 3, v23
	s_delay_alu instid0(VALU_DEP_1) | instskip(SKIP_3) | instid1(VALU_DEP_1)
	v_add_lshl_u32 v92, v23, v77, 2
	s_waitcnt lgkmcnt(1)
	v_add_nc_u32_e32 v5, v2, v5
	s_waitcnt lgkmcnt(0)
	v_dual_cndmask_b32 v2, v5, v2 :: v_dual_add_nc_u32 v21, v3, v21
	s_delay_alu instid0(VALU_DEP_1)
	v_cndmask_b32_e32 v3, v21, v3, vcc_lo
	v_cmp_gt_u32_e32 vcc_lo, 16, v77
	ds_bpermute_b32 v5, v92, v2
	ds_bpermute_b32 v21, v92, v3
	v_cndmask_b32_e64 v23, 0, 1, vcc_lo
	v_cmp_gt_u32_e32 vcc_lo, v93, v22
	s_delay_alu instid0(VALU_DEP_2) | instskip(NEXT) | instid1(VALU_DEP_1)
	v_lshlrev_b32_e32 v23, 4, v23
	v_add_lshl_u32 v94, v23, v77, 2
	s_waitcnt lgkmcnt(1)
	v_add_nc_u32_e32 v5, v2, v5
	s_waitcnt lgkmcnt(0)
	s_delay_alu instid0(VALU_DEP_1) | instskip(NEXT) | instid1(VALU_DEP_1)
	v_dual_cndmask_b32 v2, v5, v2 :: v_dual_add_nc_u32 v21, v3, v21
	v_cndmask_b32_e32 v3, v21, v3, vcc_lo
	v_cmp_le_u32_e32 vcc_lo, v95, v22
	ds_bpermute_b32 v5, v94, v2
	ds_bpermute_b32 v21, v94, v3
	s_waitcnt lgkmcnt(1)
	v_cndmask_b32_e32 v5, 0, v5, vcc_lo
	s_waitcnt lgkmcnt(0)
	s_delay_alu instid0(VALU_DEP_1) | instskip(NEXT) | instid1(VALU_DEP_1)
	v_dual_cndmask_b32 v21, 0, v21 :: v_dual_add_nc_u32 v2, v5, v2
	v_add_nc_u32_e32 v3, v21, v3
	v_mov_b32_e32 v21, 0
	s_branch .LBB10_103
.LBB10_102:                             ;   in Loop: Header=BB10_103 Depth=1
	s_or_b32 exec_lo, exec_lo, s8
	ds_bpermute_b32 v5, v86, v2
	ds_bpermute_b32 v24, v86, v3
	v_subrev_nc_u32_e32 v20, 32, v20
	s_waitcnt lgkmcnt(1)
	v_add_nc_u32_e32 v5, v5, v2
	v_and_b32_e32 v25, 0xff, v4
	s_waitcnt lgkmcnt(0)
	v_add_nc_u32_e32 v24, v24, v3
	s_delay_alu instid0(VALU_DEP_2) | instskip(SKIP_1) | instid1(VALU_DEP_1)
	v_cmp_eq_u16_e32 vcc_lo, 2, v25
	v_and_or_b32 v25, vcc_lo, v87, 0x80000000
	v_ctz_i32_b32_e32 v25, v25
	s_delay_alu instid0(VALU_DEP_1)
	v_cmp_lt_u32_e32 vcc_lo, v77, v25
	v_cndmask_b32_e32 v2, v2, v5, vcc_lo
	ds_bpermute_b32 v5, v88, v2
	s_waitcnt lgkmcnt(0)
	v_add_nc_u32_e32 v5, v2, v5
	v_cndmask_b32_e32 v3, v3, v24, vcc_lo
	v_cmp_gt_u32_e32 vcc_lo, v89, v25
	s_delay_alu instid0(VALU_DEP_3)
	v_cndmask_b32_e32 v2, v5, v2, vcc_lo
	ds_bpermute_b32 v24, v88, v3
	ds_bpermute_b32 v5, v90, v2
	s_waitcnt lgkmcnt(1)
	v_add_nc_u32_e32 v24, v3, v24
	s_waitcnt lgkmcnt(0)
	v_add_nc_u32_e32 v5, v2, v5
	s_delay_alu instid0(VALU_DEP_2) | instskip(SKIP_1) | instid1(VALU_DEP_3)
	v_cndmask_b32_e32 v3, v24, v3, vcc_lo
	v_cmp_gt_u32_e32 vcc_lo, v91, v25
	v_cndmask_b32_e32 v2, v5, v2, vcc_lo
	ds_bpermute_b32 v24, v90, v3
	ds_bpermute_b32 v5, v92, v2
	s_waitcnt lgkmcnt(1)
	v_add_nc_u32_e32 v24, v3, v24
	s_waitcnt lgkmcnt(0)
	v_add_nc_u32_e32 v5, v2, v5
	s_delay_alu instid0(VALU_DEP_2) | instskip(SKIP_1) | instid1(VALU_DEP_3)
	v_cndmask_b32_e32 v3, v24, v3, vcc_lo
	v_cmp_gt_u32_e32 vcc_lo, v93, v25
	v_cndmask_b32_e32 v2, v5, v2, vcc_lo
	ds_bpermute_b32 v24, v92, v3
	ds_bpermute_b32 v5, v94, v2
	s_waitcnt lgkmcnt(1)
	v_add_nc_u32_e32 v24, v3, v24
	s_delay_alu instid0(VALU_DEP_1) | instskip(SKIP_4) | instid1(VALU_DEP_1)
	v_cndmask_b32_e32 v3, v24, v3, vcc_lo
	v_cmp_le_u32_e32 vcc_lo, v95, v25
	ds_bpermute_b32 v24, v94, v3
	s_waitcnt lgkmcnt(1)
	v_cndmask_b32_e32 v5, 0, v5, vcc_lo
	v_add3_u32 v2, v2, v22, v5
	s_waitcnt lgkmcnt(0)
	v_cndmask_b32_e32 v24, 0, v24, vcc_lo
	s_delay_alu instid0(VALU_DEP_1)
	v_add3_u32 v3, v3, v23, v24
.LBB10_103:                             ; =>This Loop Header: Depth=1
                                        ;     Child Loop BB10_106 Depth 2
	s_delay_alu instid0(VALU_DEP_1) | instskip(SKIP_1) | instid1(VALU_DEP_2)
	v_dual_mov_b32 v23, v3 :: v_dual_and_b32 v4, 0xff, v4
	v_mov_b32_e32 v22, v2
	v_cmp_ne_u16_e32 vcc_lo, 2, v4
	v_cndmask_b32_e64 v4, 0, 1, vcc_lo
	;;#ASMSTART
	;;#ASMEND
	s_delay_alu instid0(VALU_DEP_1)
	v_cmp_ne_u32_e32 vcc_lo, 0, v4
	s_cmp_lg_u32 vcc_lo, exec_lo
	s_cbranch_scc1 .LBB10_108
; %bb.104:                              ;   in Loop: Header=BB10_103 Depth=1
	v_lshlrev_b64 v[2:3], 4, v[20:21]
	s_mov_b32 s8, exec_lo
	s_delay_alu instid0(VALU_DEP_1) | instskip(NEXT) | instid1(VALU_DEP_2)
	v_add_co_u32 v24, vcc_lo, s4, v2
	v_add_co_ci_u32_e32 v25, vcc_lo, s5, v3, vcc_lo
	;;#ASMSTART
	global_load_dwordx4 v[2:5], v[24:25] off glc	
s_waitcnt vmcnt(0)
	;;#ASMEND
	v_and_b32_e32 v5, 0xff, v3
	v_and_b32_e32 v96, 0xff00, v3
	v_or3_b32 v2, v2, 0, 0
	v_and_b32_e32 v97, 0xff000000, v3
	v_and_b32_e32 v3, 0xff0000, v3
	s_delay_alu instid0(VALU_DEP_4) | instskip(SKIP_2) | instid1(VALU_DEP_3)
	v_or3_b32 v5, 0, v5, v96
	v_and_b32_e32 v96, 0xff, v4
	v_or3_b32 v2, v2, 0, 0
	v_or3_b32 v3, v5, v3, v97
	s_delay_alu instid0(VALU_DEP_3)
	v_cmpx_eq_u16_e32 0, v96
	s_cbranch_execz .LBB10_102
; %bb.105:                              ;   in Loop: Header=BB10_103 Depth=1
	s_mov_b32 s9, 0
.LBB10_106:                             ;   Parent Loop BB10_103 Depth=1
                                        ; =>  This Inner Loop Header: Depth=2
	;;#ASMSTART
	global_load_dwordx4 v[2:5], v[24:25] off glc	
s_waitcnt vmcnt(0)
	;;#ASMEND
	v_and_b32_e32 v5, 0xff, v4
	s_delay_alu instid0(VALU_DEP_1) | instskip(SKIP_1) | instid1(SALU_CYCLE_1)
	v_cmp_ne_u16_e32 vcc_lo, 0, v5
	s_or_b32 s9, vcc_lo, s9
	s_and_not1_b32 exec_lo, exec_lo, s9
	s_cbranch_execnz .LBB10_106
; %bb.107:                              ;   in Loop: Header=BB10_103 Depth=1
	s_or_b32 exec_lo, exec_lo, s9
	s_branch .LBB10_102
.LBB10_108:                             ;   in Loop: Header=BB10_103 Depth=1
                                        ; implicit-def: $vgpr4
                                        ; implicit-def: $vgpr2_vgpr3
	s_cbranch_execz .LBB10_103
; %bb.109:
	s_and_saveexec_b32 s8, s2
	s_cbranch_execnz .LBB10_352
; %bb.110:
	s_or_b32 exec_lo, exec_lo, s8
	s_and_saveexec_b32 s8, s2
	s_cbranch_execnz .LBB10_353
.LBB10_111:
	s_or_b32 exec_lo, exec_lo, s8
	v_cmp_eq_u32_e32 vcc_lo, 0, v0
	s_and_b32 exec_lo, exec_lo, vcc_lo
	s_cbranch_execz .LBB10_113
.LBB10_112:
	v_mov_b32_e32 v1, 0
	ds_store_b64 v1, v[22:23] offset:56
.LBB10_113:
	s_or_b32 exec_lo, exec_lo, s6
	v_cmp_eq_u32_e32 vcc_lo, 0, v0
	v_mov_b32_e32 v1, 0
	s_waitcnt lgkmcnt(0)
	s_barrier
	buffer_gl0_inv
	v_add_nc_u32_e64 v3, 0x3400, 0
	ds_load_b64 v[20:21], v1 offset:56
	s_waitcnt lgkmcnt(0)
	s_barrier
	buffer_gl0_inv
	ds_load_2addr_b32 v[1:2], v3 offset1:2
	ds_load_2addr_b32 v[3:4], v3 offset0:4 offset1:6
	v_cndmask_b32_e64 v5, v84, v18, s2
	v_cndmask_b32_e64 v18, v85, v19, s2
	s_delay_alu instid0(VALU_DEP_2) | instskip(NEXT) | instid1(VALU_DEP_1)
	v_add_nc_u32_e32 v19, v20, v5
	v_dual_cndmask_b32 v20, v19, v20 :: v_dual_add_nc_u32 v5, v21, v18
	s_delay_alu instid0(VALU_DEP_1)
	v_cndmask_b32_e32 v5, v5, v21, vcc_lo
	s_branch .LBB10_124
.LBB10_114:
                                        ; implicit-def: $vgpr5
                                        ; implicit-def: $vgpr3
                                        ; implicit-def: $vgpr1
                                        ; implicit-def: $vgpr20_vgpr21
	s_and_b32 vcc_lo, exec_lo, s6
	s_cbranch_vccz .LBB10_124
; %bb.115:
	s_waitcnt lgkmcnt(0)
	v_mov_b32_dpp v2, v83 row_shr:1 row_mask:0xf bank_mask:0xf
	v_cmp_lt_u32_e32 vcc_lo, 3, v81
	v_mov_b32_dpp v1, v82 row_shr:1 row_mask:0xf bank_mask:0xf
	s_delay_alu instid0(VALU_DEP_3) | instskip(NEXT) | instid1(VALU_DEP_1)
	v_add_nc_u32_e32 v2, v2, v83
	v_cndmask_b32_e64 v2, v2, v83, s1
	s_delay_alu instid0(VALU_DEP_1) | instskip(NEXT) | instid1(VALU_DEP_1)
	v_mov_b32_dpp v4, v2 row_shr:2 row_mask:0xf bank_mask:0xf
	v_add_nc_u32_e32 v4, v2, v4
	s_delay_alu instid0(VALU_DEP_1) | instskip(NEXT) | instid1(VALU_DEP_1)
	v_cndmask_b32_e64 v2, v2, v4, s0
	v_mov_b32_dpp v4, v2 row_shr:4 row_mask:0xf bank_mask:0xf
	s_delay_alu instid0(VALU_DEP_1) | instskip(NEXT) | instid1(VALU_DEP_1)
	v_add_nc_u32_e32 v4, v2, v4
	v_dual_cndmask_b32 v2, v2, v4 :: v_dual_add_nc_u32 v1, v1, v82
	s_delay_alu instid0(VALU_DEP_1) | instskip(NEXT) | instid1(VALU_DEP_2)
	v_cndmask_b32_e64 v1, v1, v82, s1
	v_mov_b32_dpp v4, v2 row_shr:8 row_mask:0xf bank_mask:0xf
	s_delay_alu instid0(VALU_DEP_2) | instskip(NEXT) | instid1(VALU_DEP_2)
	v_mov_b32_dpp v3, v1 row_shr:2 row_mask:0xf bank_mask:0xf
	v_add_nc_u32_e32 v4, v2, v4
	s_delay_alu instid0(VALU_DEP_2) | instskip(NEXT) | instid1(VALU_DEP_1)
	v_add_nc_u32_e32 v3, v1, v3
	v_cndmask_b32_e64 v1, v1, v3, s0
	s_mov_b32 s0, exec_lo
	s_delay_alu instid0(VALU_DEP_1) | instskip(NEXT) | instid1(VALU_DEP_1)
	v_mov_b32_dpp v3, v1 row_shr:4 row_mask:0xf bank_mask:0xf
	v_add_nc_u32_e32 v3, v1, v3
	s_delay_alu instid0(VALU_DEP_1) | instskip(SKIP_1) | instid1(VALU_DEP_2)
	v_cndmask_b32_e32 v1, v1, v3, vcc_lo
	v_cmp_lt_u32_e32 vcc_lo, 7, v81
	v_mov_b32_dpp v3, v1 row_shr:8 row_mask:0xf bank_mask:0xf
	s_delay_alu instid0(VALU_DEP_1) | instskip(NEXT) | instid1(VALU_DEP_1)
	v_dual_cndmask_b32 v2, v2, v4 :: v_dual_add_nc_u32 v3, v1, v3
	v_cndmask_b32_e32 v1, v1, v3, vcc_lo
	ds_swizzle_b32 v3, v2 offset:swizzle(BROADCAST,32,15)
	v_cmp_eq_u32_e32 vcc_lo, 0, v80
	ds_swizzle_b32 v4, v1 offset:swizzle(BROADCAST,32,15)
	s_waitcnt lgkmcnt(1)
	v_add_nc_u32_e32 v3, v2, v3
	s_waitcnt lgkmcnt(0)
	v_add_nc_u32_e32 v4, v1, v4
	s_delay_alu instid0(VALU_DEP_1)
	v_dual_cndmask_b32 v2, v3, v2 :: v_dual_cndmask_b32 v1, v4, v1
	v_cmpx_eq_u32_e64 v79, v0
	s_cbranch_execz .LBB10_117
; %bb.116:
	v_lshlrev_b32_e32 v3, 3, v78
	ds_store_b64 v3, v[1:2]
.LBB10_117:
	s_or_b32 exec_lo, exec_lo, s0
	s_delay_alu instid0(SALU_CYCLE_1)
	s_mov_b32 s0, exec_lo
	s_waitcnt lgkmcnt(0)
	s_barrier
	buffer_gl0_inv
	v_cmpx_gt_u32_e32 8, v0
	s_cbranch_execz .LBB10_119
; %bb.118:
	v_lshlrev_b32_e32 v5, 3, v0
	ds_load_b64 v[3:4], v5
	s_waitcnt lgkmcnt(0)
	v_mov_b32_dpp v18, v3 row_shr:1 row_mask:0xf bank_mask:0xf
	v_mov_b32_dpp v19, v4 row_shr:1 row_mask:0xf bank_mask:0xf
	s_delay_alu instid0(VALU_DEP_2) | instskip(SKIP_1) | instid1(VALU_DEP_3)
	v_add_nc_u32_e32 v18, v18, v3
	v_and_b32_e32 v20, 7, v77
	v_add_nc_u32_e32 v19, v19, v4
	s_delay_alu instid0(VALU_DEP_2) | instskip(NEXT) | instid1(VALU_DEP_2)
	v_cmp_eq_u32_e32 vcc_lo, 0, v20
	v_dual_cndmask_b32 v4, v19, v4 :: v_dual_cndmask_b32 v3, v18, v3
	v_cmp_lt_u32_e32 vcc_lo, 1, v20
	s_delay_alu instid0(VALU_DEP_2) | instskip(NEXT) | instid1(VALU_DEP_3)
	v_mov_b32_dpp v19, v4 row_shr:2 row_mask:0xf bank_mask:0xf
	v_mov_b32_dpp v18, v3 row_shr:2 row_mask:0xf bank_mask:0xf
	s_delay_alu instid0(VALU_DEP_2) | instskip(NEXT) | instid1(VALU_DEP_2)
	v_add_nc_u32_e32 v19, v4, v19
	v_add_nc_u32_e32 v18, v3, v18
	s_delay_alu instid0(VALU_DEP_1) | instskip(SKIP_1) | instid1(VALU_DEP_2)
	v_dual_cndmask_b32 v4, v4, v19 :: v_dual_cndmask_b32 v3, v3, v18
	v_cmp_lt_u32_e32 vcc_lo, 3, v20
	v_mov_b32_dpp v19, v4 row_shr:4 row_mask:0xf bank_mask:0xf
	s_delay_alu instid0(VALU_DEP_3) | instskip(NEXT) | instid1(VALU_DEP_1)
	v_mov_b32_dpp v18, v3 row_shr:4 row_mask:0xf bank_mask:0xf
	v_dual_cndmask_b32 v19, 0, v19 :: v_dual_cndmask_b32 v18, 0, v18
	s_delay_alu instid0(VALU_DEP_1) | instskip(NEXT) | instid1(VALU_DEP_2)
	v_add_nc_u32_e32 v4, v19, v4
	v_add_nc_u32_e32 v3, v18, v3
	ds_store_b64 v5, v[3:4]
.LBB10_119:
	s_or_b32 exec_lo, exec_lo, s0
	v_dual_mov_b32 v3, 0 :: v_dual_mov_b32 v18, 0
	v_mov_b32_e32 v19, 0
	s_mov_b32 s0, exec_lo
	s_waitcnt lgkmcnt(0)
	s_barrier
	buffer_gl0_inv
	v_cmpx_lt_u32_e32 31, v0
	s_cbranch_execz .LBB10_121
; %bb.120:
	v_lshl_add_u32 v4, v78, 3, -8
	ds_load_b64 v[18:19], v4
.LBB10_121:
	s_or_b32 exec_lo, exec_lo, s0
	v_add_nc_u32_e32 v4, -1, v77
	s_waitcnt lgkmcnt(0)
	v_add_nc_u32_e32 v20, v19, v2
	v_add_nc_u32_e32 v5, v18, v1
	ds_load_b64 v[1:2], v3 offset:56
	v_cmp_gt_i32_e32 vcc_lo, 0, v4
	v_cndmask_b32_e32 v4, v4, v77, vcc_lo
	v_cmp_eq_u32_e32 vcc_lo, 0, v0
	s_delay_alu instid0(VALU_DEP_2)
	v_lshlrev_b32_e32 v4, 2, v4
	ds_bpermute_b32 v5, v4, v5
	ds_bpermute_b32 v20, v4, v20
	s_waitcnt lgkmcnt(2)
	v_readfirstlane_b32 s1, v2
	s_and_saveexec_b32 s0, vcc_lo
	s_cbranch_execz .LBB10_123
; %bb.122:
	s_mov_b32 s6, 0
	s_add_u32 s4, s4, 0x200
	s_addc_u32 s5, s5, 0
	s_and_b32 s7, s1, 0xff000000
	s_and_b32 s9, s1, 0xff0000
	s_mov_b32 s8, s6
	v_mov_b32_e32 v22, s5
	s_or_b64 s[8:9], s[8:9], s[6:7]
	s_and_b32 s7, s1, 0xff00
	v_dual_mov_b32 v4, 0 :: v_dual_mov_b32 v21, s4
	s_or_b64 s[8:9], s[8:9], s[6:7]
	s_and_b32 s7, s1, 0xff
	v_mov_b32_e32 v3, 2
	s_or_b64 s[6:7], s[8:9], s[6:7]
	s_delay_alu instid0(SALU_CYCLE_1)
	v_mov_b32_e32 v2, s7
	;;#ASMSTART
	global_store_dwordx4 v[21:22], v[1:4] off	
s_waitcnt vmcnt(0)
	;;#ASMEND
.LBB10_123:
	s_or_b32 exec_lo, exec_lo, s0
	v_cmp_eq_u32_e64 s0, 0, v77
	v_dual_mov_b32 v3, 0 :: v_dual_mov_b32 v2, s1
	s_waitcnt lgkmcnt(0)
	s_barrier
	s_delay_alu instid0(VALU_DEP_2)
	v_cndmask_b32_e64 v4, v5, v18, s0
	v_cndmask_b32_e64 v5, v20, v19, s0
	buffer_gl0_inv
	v_cndmask_b32_e64 v20, v4, 0, vcc_lo
	v_cndmask_b32_e64 v5, v5, 0, vcc_lo
	v_mov_b32_e32 v4, 0
.LBB10_124:
	v_and_b32_e32 v30, 1, v30
	v_and_b32_e32 v34, 1, v34
	;; [unrolled: 1-line block ×4, first 2 shown]
	s_waitcnt lgkmcnt(0)
	v_add_co_u32 v18, s0, s28, v3
	v_cmp_eq_u32_e32 vcc_lo, 1, v30
	v_add_nc_u32_e32 v22, v5, v76
	v_sub_nc_u32_e32 v5, v5, v4
	v_add_co_ci_u32_e64 v19, null, s29, 0, s0
	s_mov_b32 s2, -1
	s_delay_alu instid0(VALU_DEP_3) | instskip(SKIP_3) | instid1(VALU_DEP_3)
	v_add_nc_u32_e32 v24, v22, v72
	v_sub_nc_u32_e32 v22, v22, v4
	v_add_nc_u32_e32 v5, v5, v1
	v_sub_co_u32 v72, s0, s30, v1
	v_add_nc_u32_e32 v22, v22, v1
	v_add_nc_u32_e32 v21, v20, v75
	v_sub_nc_u32_e32 v20, v20, v3
	s_delay_alu instid0(VALU_DEP_2)
	v_add_nc_u32_e32 v23, v21, v71
	v_add_nc_u32_e32 v71, v24, v74
	v_lshlrev_b32_e32 v74, 1, v1
	v_sub_nc_u32_e32 v21, v21, v3
	v_add_nc_u32_e32 v75, v20, v5
	v_sub_nc_u32_e32 v24, v24, v4
	s_delay_alu instid0(VALU_DEP_4) | instskip(NEXT) | instid1(VALU_DEP_4)
	v_add3_u32 v28, v74, v2, v28
	v_add_nc_u32_e32 v76, v22, v21
	s_delay_alu instid0(VALU_DEP_3) | instskip(NEXT) | instid1(VALU_DEP_3)
	v_add_nc_u32_e32 v24, v24, v1
	v_sub_nc_u32_e32 v75, v28, v75
	s_delay_alu instid0(VALU_DEP_3) | instskip(NEXT) | instid1(VALU_DEP_1)
	v_sub_nc_u32_e32 v76, v28, v76
	v_dual_cndmask_b32 v5, v75, v5 :: v_dual_add_nc_u32 v30, 1, v76
	v_cmp_eq_u32_e32 vcc_lo, 1, v34
	s_delay_alu instid0(VALU_DEP_2) | instskip(SKIP_1) | instid1(VALU_DEP_4)
	v_cndmask_b32_e32 v22, v30, v22, vcc_lo
	v_cmp_eq_u32_e32 vcc_lo, 1, v29
	v_cndmask_b32_e32 v5, v5, v20, vcc_lo
	v_and_b32_e32 v20, 1, v36
	v_cmp_eq_u32_e32 vcc_lo, 1, v33
	s_delay_alu instid0(VALU_DEP_3) | instskip(SKIP_1) | instid1(VALU_DEP_4)
	v_lshlrev_b32_e32 v5, 2, v5
	v_cndmask_b32_e32 v21, v22, v21, vcc_lo
	v_cmp_eq_u32_e32 vcc_lo, 1, v20
	v_add_nc_u32_e32 v25, v23, v73
	v_sub_nc_u32_e32 v23, v23, v3
	v_and_b32_e32 v22, 1, v31
	v_sub_co_ci_u32_e64 v73, null, s31, 0, s0
	v_and_b32_e32 v31, 1, v32
	s_delay_alu instid0(VALU_DEP_4) | instskip(NEXT) | instid1(VALU_DEP_1)
	v_add_nc_u32_e32 v77, v24, v23
	v_sub_nc_u32_e32 v75, v28, v77
	s_delay_alu instid0(VALU_DEP_1) | instskip(NEXT) | instid1(VALU_DEP_1)
	v_add_nc_u32_e32 v29, 2, v75
	v_cndmask_b32_e32 v20, v29, v24, vcc_lo
	v_sub_nc_u32_e32 v24, v71, v4
	v_cmp_eq_u32_e32 vcc_lo, 1, v22
	v_add_nc_u32_e32 v69, v25, v69
	v_lshlrev_b32_e32 v29, 2, v21
	ds_store_b32 v5, v16
	ds_store_b32 v29, v17
	v_cndmask_b32_e32 v22, v20, v23, vcc_lo
	v_sub_nc_u32_e32 v23, v25, v3
	v_add_nc_u32_e32 v24, v24, v1
	v_add_co_u32 v20, vcc_lo, v72, v4
	s_delay_alu instid0(VALU_DEP_4) | instskip(SKIP_1) | instid1(VALU_DEP_4)
	v_lshlrev_b32_e32 v5, 2, v22
	v_and_b32_e32 v22, 1, v35
	v_add_nc_u32_e32 v25, v23, v24
	v_add_co_ci_u32_e32 v21, vcc_lo, 0, v73, vcc_lo
	ds_store_b32 v5, v14
	v_cmp_eq_u32_e32 vcc_lo, 1, v22
	v_sub_nc_u32_e32 v17, v28, v25
	v_sub_nc_u32_e32 v29, v69, v3
	v_add_nc_u32_e32 v67, v69, v67
	s_delay_alu instid0(VALU_DEP_3) | instskip(NEXT) | instid1(VALU_DEP_2)
	v_add_nc_u32_e32 v17, 3, v17
	v_sub_nc_u32_e32 v30, v67, v3
	s_delay_alu instid0(VALU_DEP_2) | instskip(SKIP_2) | instid1(VALU_DEP_3)
	v_cndmask_b32_e32 v17, v17, v24, vcc_lo
	v_cmp_eq_u32_e32 vcc_lo, 1, v31
	v_and_b32_e32 v24, 1, v39
	v_cndmask_b32_e32 v14, v17, v23, vcc_lo
	v_add_nc_u32_e32 v70, v71, v70
	v_and_b32_e32 v23, 1, v38
	s_delay_alu instid0(VALU_DEP_3) | instskip(NEXT) | instid1(VALU_DEP_3)
	v_lshlrev_b32_e32 v14, 2, v14
	v_add_nc_u32_e32 v68, v70, v68
	v_sub_nc_u32_e32 v16, v70, v4
	ds_store_b32 v14, v15
	v_sub_nc_u32_e32 v25, v68, v4
	v_add_nc_u32_e32 v16, v16, v1
	s_delay_alu instid0(VALU_DEP_2) | instskip(NEXT) | instid1(VALU_DEP_2)
	v_add_nc_u32_e32 v25, v25, v1
	v_add_nc_u32_e32 v32, v29, v16
	s_delay_alu instid0(VALU_DEP_2) | instskip(NEXT) | instid1(VALU_DEP_2)
	v_add_nc_u32_e32 v22, v30, v25
	v_sub_nc_u32_e32 v5, v28, v32
	s_delay_alu instid0(VALU_DEP_2) | instskip(SKIP_1) | instid1(VALU_DEP_3)
	v_sub_nc_u32_e32 v17, v28, v22
	v_and_b32_e32 v22, 1, v37
	v_add_nc_u32_e32 v5, 4, v5
	s_delay_alu instid0(VALU_DEP_3) | instskip(NEXT) | instid1(VALU_DEP_3)
	v_add_nc_u32_e32 v17, 5, v17
	v_cmp_eq_u32_e32 vcc_lo, 1, v22
	s_delay_alu instid0(VALU_DEP_3)
	v_cndmask_b32_e32 v5, v5, v16, vcc_lo
	v_cmp_eq_u32_e32 vcc_lo, 1, v24
	v_and_b32_e32 v16, 1, v41
	v_cndmask_b32_e32 v17, v17, v25, vcc_lo
	v_cmp_eq_u32_e32 vcc_lo, 1, v23
	v_cndmask_b32_e32 v5, v5, v29, vcc_lo
	s_delay_alu instid0(VALU_DEP_4) | instskip(SKIP_1) | instid1(VALU_DEP_3)
	v_cmp_eq_u32_e32 vcc_lo, 1, v16
	v_add_nc_u32_e32 v66, v68, v66
	v_dual_cndmask_b32 v16, v17, v30 :: v_dual_lshlrev_b32 v5, 2, v5
	s_delay_alu instid0(VALU_DEP_2) | instskip(SKIP_1) | instid1(VALU_DEP_3)
	v_sub_nc_u32_e32 v22, v66, v4
	v_add_nc_u32_e32 v62, v66, v62
	v_lshlrev_b32_e32 v16, 2, v16
	ds_store_b32 v5, v12
	ds_store_b32 v16, v13
	v_and_b32_e32 v12, 1, v40
	v_add_nc_u32_e32 v22, v22, v1
	v_add_nc_u32_e32 v64, v62, v64
	v_sub_nc_u32_e32 v17, v62, v4
	v_and_b32_e32 v16, 1, v43
	v_cmp_eq_u32_e32 vcc_lo, 1, v12
	v_add_nc_u32_e32 v65, v67, v65
	v_sub_nc_u32_e32 v15, v64, v4
	v_add_nc_u32_e32 v17, v17, v1
	s_delay_alu instid0(VALU_DEP_3) | instskip(NEXT) | instid1(VALU_DEP_3)
	v_sub_nc_u32_e32 v23, v65, v3
	v_add_nc_u32_e32 v15, v15, v1
	s_delay_alu instid0(VALU_DEP_2) | instskip(NEXT) | instid1(VALU_DEP_1)
	v_add_nc_u32_e32 v24, v23, v22
	v_sub_nc_u32_e32 v14, v28, v24
	v_and_b32_e32 v24, 1, v48
	s_delay_alu instid0(VALU_DEP_2) | instskip(SKIP_1) | instid1(VALU_DEP_2)
	v_add_nc_u32_e32 v13, 6, v14
	v_and_b32_e32 v14, 1, v42
	v_cndmask_b32_e32 v12, v13, v22, vcc_lo
	v_add_nc_u32_e32 v61, v65, v61
	s_delay_alu instid0(VALU_DEP_3) | instskip(SKIP_1) | instid1(VALU_DEP_3)
	v_cmp_eq_u32_e32 vcc_lo, 1, v14
	v_and_b32_e32 v22, 1, v44
	v_sub_nc_u32_e32 v25, v61, v3
	v_add_nc_u32_e32 v63, v61, v63
	v_cndmask_b32_e32 v12, v12, v23, vcc_lo
	v_cmp_eq_u32_e32 vcc_lo, 1, v16
	v_and_b32_e32 v23, 1, v46
	v_add_nc_u32_e32 v5, v25, v17
	v_sub_nc_u32_e32 v13, v63, v3
	v_lshlrev_b32_e32 v12, 2, v12
	v_add_nc_u32_e32 v59, v63, v59
	s_delay_alu instid0(VALU_DEP_4) | instskip(NEXT) | instid1(VALU_DEP_4)
	v_sub_nc_u32_e32 v5, v28, v5
	v_add_nc_u32_e32 v14, v13, v15
	s_delay_alu instid0(VALU_DEP_3) | instskip(NEXT) | instid1(VALU_DEP_3)
	v_add_nc_u32_e32 v57, v59, v57
	v_add_nc_u32_e32 v5, 7, v5
	s_delay_alu instid0(VALU_DEP_3) | instskip(NEXT) | instid1(VALU_DEP_3)
	v_sub_nc_u32_e32 v14, v28, v14
	v_add_nc_u32_e32 v55, v57, v55
	s_delay_alu instid0(VALU_DEP_3)
	v_cndmask_b32_e32 v5, v5, v17, vcc_lo
	v_cmp_eq_u32_e32 vcc_lo, 1, v22
	v_and_b32_e32 v17, 1, v45
	v_add_nc_u32_e32 v14, 8, v14
	v_sub_nc_u32_e32 v22, v59, v3
	v_add_nc_u32_e32 v53, v55, v53
	v_cndmask_b32_e32 v5, v5, v25, vcc_lo
	v_cmp_eq_u32_e32 vcc_lo, 1, v17
	v_sub_nc_u32_e32 v17, v55, v3
	v_and_b32_e32 v25, 1, v52
	s_delay_alu instid0(VALU_DEP_4)
	v_dual_cndmask_b32 v14, v14, v15 :: v_dual_lshlrev_b32 v5, 2, v5
	v_cmp_eq_u32_e32 vcc_lo, 1, v23
	v_add_nc_u32_e32 v60, v64, v60
	ds_store_b32 v12, v10
	ds_store_b32 v5, v11
	v_and_b32_e32 v11, 1, v49
	v_cndmask_b32_e32 v5, v14, v13, vcc_lo
	v_sub_nc_u32_e32 v16, v60, v4
	v_add_nc_u32_e32 v58, v60, v58
	v_and_b32_e32 v13, 1, v47
	s_delay_alu instid0(VALU_DEP_4) | instskip(NEXT) | instid1(VALU_DEP_4)
	v_lshlrev_b32_e32 v5, 2, v5
	v_add_nc_u32_e32 v16, v16, v1
	s_delay_alu instid0(VALU_DEP_4) | instskip(SKIP_2) | instid1(VALU_DEP_4)
	v_add_nc_u32_e32 v56, v58, v56
	v_sub_nc_u32_e32 v12, v58, v4
	v_cmp_eq_u32_e32 vcc_lo, 1, v13
	v_add_nc_u32_e32 v15, v22, v16
	s_delay_alu instid0(VALU_DEP_4) | instskip(NEXT) | instid1(VALU_DEP_4)
	v_sub_nc_u32_e32 v14, v56, v4
	v_add_nc_u32_e32 v12, v12, v1
	v_add_nc_u32_e32 v54, v56, v54
	s_delay_alu instid0(VALU_DEP_4) | instskip(SKIP_2) | instid1(VALU_DEP_4)
	v_sub_nc_u32_e32 v10, v28, v15
	v_sub_nc_u32_e32 v15, v57, v3
	v_add_nc_u32_e32 v14, v14, v1
	v_sub_nc_u32_e32 v23, v54, v4
	v_sub_nc_u32_e32 v3, v53, v3
	v_add_nc_u32_e32 v10, 9, v10
	v_add_nc_u32_e32 v13, v15, v12
	s_delay_alu instid0(VALU_DEP_2) | instskip(SKIP_2) | instid1(VALU_DEP_4)
	v_dual_cndmask_b32 v10, v10, v16 :: v_dual_add_nc_u32 v23, v23, v1
	v_add_nc_u32_e32 v16, v17, v14
	v_cmp_eq_u32_e32 vcc_lo, 1, v11
	v_sub_nc_u32_e32 v11, v28, v13
	v_and_b32_e32 v13, 1, v50
	s_delay_alu instid0(VALU_DEP_4) | instskip(NEXT) | instid1(VALU_DEP_3)
	v_sub_nc_u32_e32 v16, v28, v16
	v_dual_cndmask_b32 v10, v10, v22 :: v_dual_add_nc_u32 v11, 10, v11
	v_cmp_eq_u32_e32 vcc_lo, 1, v24
	v_add_nc_u32_e32 v22, v3, v23
	s_delay_alu instid0(VALU_DEP_4) | instskip(NEXT) | instid1(VALU_DEP_4)
	v_add_nc_u32_e32 v16, 11, v16
	v_dual_cndmask_b32 v11, v11, v12 :: v_dual_lshlrev_b32 v10, 2, v10
	v_cmp_eq_u32_e32 vcc_lo, 1, v25
	s_delay_alu instid0(VALU_DEP_4) | instskip(SKIP_3) | instid1(VALU_DEP_4)
	v_sub_nc_u32_e32 v22, v28, v22
	v_and_b32_e32 v12, 1, v51
	v_cndmask_b32_e32 v14, v16, v14, vcc_lo
	v_cmp_eq_u32_e32 vcc_lo, 1, v13
	v_dual_cndmask_b32 v11, v11, v15 :: v_dual_add_nc_u32 v16, 12, v22
	s_delay_alu instid0(VALU_DEP_4) | instskip(NEXT) | instid1(VALU_DEP_2)
	v_cmp_eq_u32_e32 vcc_lo, 1, v12
	v_cndmask_b32_e64 v13, v16, v23, s43
	s_delay_alu instid0(VALU_DEP_3) | instskip(NEXT) | instid1(VALU_DEP_2)
	v_dual_cndmask_b32 v12, v14, v17 :: v_dual_lshlrev_b32 v11, 2, v11
	v_cndmask_b32_e64 v3, v13, v3, s42
	s_delay_alu instid0(VALU_DEP_2)
	v_lshlrev_b32_e32 v12, 2, v12
	ds_store_b32 v5, v8
	ds_store_b32 v10, v9
	;; [unrolled: 1-line block ×4, first 2 shown]
	v_lshlrev_b32_e32 v3, 2, v3
	v_add_co_u32 v5, s0, v2, v74
	s_delay_alu instid0(VALU_DEP_1) | instskip(SKIP_4) | instid1(VALU_DEP_2)
	v_add_co_ci_u32_e64 v6, null, 0, 0, s0
	ds_store_b32 v3, v27
	v_add_co_u32 v3, vcc_lo, v5, v20
	v_add_co_ci_u32_e32 v5, vcc_lo, v6, v21, vcc_lo
	s_add_u32 s0, s34, s33
	v_add_co_u32 v3, vcc_lo, v3, v18
	s_delay_alu instid0(VALU_DEP_2) | instskip(SKIP_1) | instid1(VALU_DEP_2)
	v_add_co_ci_u32_e32 v5, vcc_lo, v5, v19, vcc_lo
	s_addc_u32 s1, s35, 0
	v_sub_co_u32 v3, vcc_lo, s0, v3
	s_delay_alu instid0(VALU_DEP_2)
	v_sub_co_ci_u32_e32 v9, vcc_lo, s1, v5, vcc_lo
	v_lshlrev_b64 v[5:6], 2, v[20:21]
	v_lshlrev_b64 v[7:8], 2, v[18:19]
	v_add_nc_u32_e32 v10, v1, v2
	s_add_u32 s1, s26, -4
	s_waitcnt lgkmcnt(0)
	s_barrier
	v_add_co_u32 v5, vcc_lo, s38, v5
	v_add_co_ci_u32_e32 v6, vcc_lo, s39, v6, vcc_lo
	v_cmp_ne_u32_e32 vcc_lo, 1, v26
	v_add_co_u32 v7, s0, s36, v7
	s_delay_alu instid0(VALU_DEP_1)
	v_add_co_ci_u32_e64 v8, s0, s37, v8, s0
	s_addc_u32 s0, s27, -1
	buffer_gl0_inv
	s_cbranch_vccz .LBB10_128
; %bb.125:
	s_and_b32 vcc_lo, exec_lo, s2
	s_cbranch_vccnz .LBB10_233
.LBB10_126:
	v_cmp_eq_u32_e32 vcc_lo, 0, v0
	s_and_b32 s0, vcc_lo, s14
	s_delay_alu instid0(SALU_CYCLE_1)
	s_and_saveexec_b32 s1, s0
	s_cbranch_execnz .LBB10_351
.LBB10_127:
	s_nop 0
	s_sendmsg sendmsg(MSG_DEALLOC_VGPRS)
	s_endpgm
.LBB10_128:
	s_mov_b32 s2, exec_lo
	v_cmpx_le_u32_e64 v1, v0
	s_xor_b32 s2, exec_lo, s2
	s_cbranch_execz .LBB10_134
; %bb.129:
	s_mov_b32 s4, exec_lo
	v_cmpx_le_u32_e64 v10, v0
	s_xor_b32 s4, exec_lo, s4
	s_cbranch_execz .LBB10_131
; %bb.130:
	v_lshlrev_b32_e32 v11, 2, v0
	ds_load_b32 v13, v11
	v_add_co_u32 v11, vcc_lo, v3, v0
	v_add_co_ci_u32_e32 v12, vcc_lo, 0, v9, vcc_lo
	s_delay_alu instid0(VALU_DEP_1) | instskip(NEXT) | instid1(VALU_DEP_1)
	v_lshlrev_b64 v[11:12], 2, v[11:12]
	v_sub_co_u32 v11, vcc_lo, s26, v11
	s_delay_alu instid0(VALU_DEP_2)
	v_sub_co_ci_u32_e32 v12, vcc_lo, s27, v12, vcc_lo
	s_waitcnt lgkmcnt(0)
	global_store_b32 v[11:12], v13, off offset:-4
.LBB10_131:
	s_and_not1_saveexec_b32 s4, s4
	s_cbranch_execz .LBB10_133
; %bb.132:
	v_lshlrev_b32_e32 v11, 2, v0
	v_readfirstlane_b32 s6, v5
	v_readfirstlane_b32 s7, v6
	ds_load_b32 v12, v11
	s_waitcnt lgkmcnt(0)
	global_store_b32 v11, v12, s[6:7]
.LBB10_133:
	s_or_b32 exec_lo, exec_lo, s4
.LBB10_134:
	s_and_not1_saveexec_b32 s2, s2
	s_cbranch_execz .LBB10_136
; %bb.135:
	v_lshlrev_b32_e32 v11, 2, v0
	v_readfirstlane_b32 s4, v7
	v_readfirstlane_b32 s5, v8
	ds_load_b32 v12, v11
	s_waitcnt lgkmcnt(0)
	global_store_b32 v11, v12, s[4:5]
.LBB10_136:
	s_or_b32 exec_lo, exec_lo, s2
	v_or_b32_e32 v11, 0x100, v0
	s_mov_b32 s2, exec_lo
	s_delay_alu instid0(VALU_DEP_1)
	v_cmpx_le_u32_e64 v1, v11
	s_xor_b32 s2, exec_lo, s2
	s_cbranch_execz .LBB10_142
; %bb.137:
	s_mov_b32 s4, exec_lo
	v_cmpx_le_u32_e64 v10, v11
	s_xor_b32 s4, exec_lo, s4
	s_cbranch_execz .LBB10_139
; %bb.138:
	v_lshlrev_b32_e32 v11, 2, v0
	ds_load_b32 v13, v11 offset:1024
	v_add_co_u32 v11, vcc_lo, v3, v0
	v_add_co_ci_u32_e32 v12, vcc_lo, 0, v9, vcc_lo
	s_delay_alu instid0(VALU_DEP_1) | instskip(NEXT) | instid1(VALU_DEP_1)
	v_lshlrev_b64 v[11:12], 2, v[11:12]
	v_sub_co_u32 v11, vcc_lo, s1, v11
	s_delay_alu instid0(VALU_DEP_2)
	v_sub_co_ci_u32_e32 v12, vcc_lo, s0, v12, vcc_lo
	s_waitcnt lgkmcnt(0)
	global_store_b32 v[11:12], v13, off offset:-1024
.LBB10_139:
	s_and_not1_saveexec_b32 s4, s4
	s_cbranch_execz .LBB10_141
; %bb.140:
	v_lshlrev_b32_e32 v11, 2, v0
	v_readfirstlane_b32 s6, v5
	v_readfirstlane_b32 s7, v6
	ds_load_b32 v12, v11 offset:1024
	s_waitcnt lgkmcnt(0)
	global_store_b32 v11, v12, s[6:7] offset:1024
.LBB10_141:
	s_or_b32 exec_lo, exec_lo, s4
.LBB10_142:
	s_and_not1_saveexec_b32 s2, s2
	s_cbranch_execz .LBB10_144
; %bb.143:
	v_lshlrev_b32_e32 v11, 2, v0
	v_readfirstlane_b32 s4, v7
	v_readfirstlane_b32 s5, v8
	ds_load_b32 v12, v11 offset:1024
	s_waitcnt lgkmcnt(0)
	global_store_b32 v11, v12, s[4:5] offset:1024
.LBB10_144:
	s_or_b32 exec_lo, exec_lo, s2
	v_or_b32_e32 v11, 0x200, v0
	s_mov_b32 s2, exec_lo
	s_delay_alu instid0(VALU_DEP_1)
	v_cmpx_le_u32_e64 v1, v11
	s_xor_b32 s2, exec_lo, s2
	s_cbranch_execz .LBB10_150
; %bb.145:
	s_mov_b32 s4, exec_lo
	v_cmpx_le_u32_e64 v10, v11
	s_xor_b32 s4, exec_lo, s4
	s_cbranch_execz .LBB10_147
; %bb.146:
	v_lshlrev_b32_e32 v11, 2, v0
	ds_load_b32 v13, v11 offset:2048
	v_add_co_u32 v11, vcc_lo, v3, v0
	v_add_co_ci_u32_e32 v12, vcc_lo, 0, v9, vcc_lo
	s_delay_alu instid0(VALU_DEP_1) | instskip(NEXT) | instid1(VALU_DEP_1)
	v_lshlrev_b64 v[11:12], 2, v[11:12]
	v_sub_co_u32 v11, vcc_lo, s1, v11
	s_delay_alu instid0(VALU_DEP_2)
	v_sub_co_ci_u32_e32 v12, vcc_lo, s0, v12, vcc_lo
	s_waitcnt lgkmcnt(0)
	global_store_b32 v[11:12], v13, off offset:-2048
.LBB10_147:
	s_and_not1_saveexec_b32 s4, s4
	s_cbranch_execz .LBB10_149
; %bb.148:
	v_lshlrev_b32_e32 v11, 2, v0
	v_readfirstlane_b32 s6, v5
	v_readfirstlane_b32 s7, v6
	ds_load_b32 v12, v11 offset:2048
	s_waitcnt lgkmcnt(0)
	global_store_b32 v11, v12, s[6:7] offset:2048
.LBB10_149:
	s_or_b32 exec_lo, exec_lo, s4
.LBB10_150:
	s_and_not1_saveexec_b32 s2, s2
	s_cbranch_execz .LBB10_152
; %bb.151:
	v_lshlrev_b32_e32 v11, 2, v0
	v_readfirstlane_b32 s4, v7
	v_readfirstlane_b32 s5, v8
	ds_load_b32 v12, v11 offset:2048
	s_waitcnt lgkmcnt(0)
	global_store_b32 v11, v12, s[4:5] offset:2048
.LBB10_152:
	;; [unrolled: 47-line block ×3, first 2 shown]
	s_or_b32 exec_lo, exec_lo, s2
	v_or_b32_e32 v11, 0x400, v0
	s_mov_b32 s2, exec_lo
	s_delay_alu instid0(VALU_DEP_1)
	v_cmpx_le_u32_e64 v1, v11
	s_xor_b32 s2, exec_lo, s2
	s_cbranch_execz .LBB10_166
; %bb.161:
	s_mov_b32 s4, exec_lo
	v_cmpx_le_u32_e64 v10, v11
	s_xor_b32 s4, exec_lo, s4
	s_cbranch_execz .LBB10_163
; %bb.162:
	v_lshlrev_b32_e32 v11, 2, v0
	ds_load_b32 v13, v11 offset:4096
	v_add_co_u32 v11, vcc_lo, v3, v0
	v_add_co_ci_u32_e32 v12, vcc_lo, 0, v9, vcc_lo
	s_delay_alu instid0(VALU_DEP_1) | instskip(NEXT) | instid1(VALU_DEP_1)
	v_lshlrev_b64 v[11:12], 2, v[11:12]
	v_sub_co_u32 v11, vcc_lo, s1, v11
	s_delay_alu instid0(VALU_DEP_2)
	v_sub_co_ci_u32_e32 v12, vcc_lo, s0, v12, vcc_lo
	s_waitcnt lgkmcnt(0)
	global_store_b32 v[11:12], v13, off offset:-4096
                                        ; implicit-def: $vgpr11
.LBB10_163:
	s_and_not1_saveexec_b32 s4, s4
	s_cbranch_execz .LBB10_165
; %bb.164:
	v_lshlrev_b32_e32 v12, 2, v0
	v_lshlrev_b32_e32 v11, 2, v11
	v_readfirstlane_b32 s6, v5
	v_readfirstlane_b32 s7, v6
	ds_load_b32 v12, v12 offset:4096
	s_waitcnt lgkmcnt(0)
	global_store_b32 v11, v12, s[6:7]
.LBB10_165:
	s_or_b32 exec_lo, exec_lo, s4
                                        ; implicit-def: $vgpr11
.LBB10_166:
	s_and_not1_saveexec_b32 s2, s2
	s_cbranch_execz .LBB10_168
; %bb.167:
	v_lshlrev_b32_e32 v12, 2, v0
	v_lshlrev_b32_e32 v11, 2, v11
	v_readfirstlane_b32 s4, v7
	v_readfirstlane_b32 s5, v8
	ds_load_b32 v12, v12 offset:4096
	s_waitcnt lgkmcnt(0)
	global_store_b32 v11, v12, s[4:5]
.LBB10_168:
	s_or_b32 exec_lo, exec_lo, s2
	v_or_b32_e32 v11, 0x500, v0
	s_mov_b32 s2, exec_lo
	s_delay_alu instid0(VALU_DEP_1)
	v_cmpx_le_u32_e64 v1, v11
	s_xor_b32 s2, exec_lo, s2
	s_cbranch_execz .LBB10_174
; %bb.169:
	s_mov_b32 s4, exec_lo
	v_cmpx_le_u32_e64 v10, v11
	s_xor_b32 s4, exec_lo, s4
	s_cbranch_execz .LBB10_171
; %bb.170:
	v_lshlrev_b32_e32 v12, 2, v0
	v_add_co_u32 v11, vcc_lo, v3, v11
	ds_load_b32 v13, v12 offset:5120
	v_add_co_ci_u32_e32 v12, vcc_lo, 0, v9, vcc_lo
	s_delay_alu instid0(VALU_DEP_1) | instskip(NEXT) | instid1(VALU_DEP_1)
	v_lshlrev_b64 v[11:12], 2, v[11:12]
	v_sub_co_u32 v11, vcc_lo, s1, v11
	s_delay_alu instid0(VALU_DEP_2)
	v_sub_co_ci_u32_e32 v12, vcc_lo, s0, v12, vcc_lo
	s_waitcnt lgkmcnt(0)
	global_store_b32 v[11:12], v13, off
                                        ; implicit-def: $vgpr11
.LBB10_171:
	s_and_not1_saveexec_b32 s4, s4
	s_cbranch_execz .LBB10_173
; %bb.172:
	v_lshlrev_b32_e32 v12, 2, v0
	v_lshlrev_b32_e32 v11, 2, v11
	v_readfirstlane_b32 s6, v5
	v_readfirstlane_b32 s7, v6
	ds_load_b32 v12, v12 offset:5120
	s_waitcnt lgkmcnt(0)
	global_store_b32 v11, v12, s[6:7]
.LBB10_173:
	s_or_b32 exec_lo, exec_lo, s4
                                        ; implicit-def: $vgpr11
.LBB10_174:
	s_and_not1_saveexec_b32 s2, s2
	s_cbranch_execz .LBB10_176
; %bb.175:
	v_lshlrev_b32_e32 v12, 2, v0
	v_lshlrev_b32_e32 v11, 2, v11
	v_readfirstlane_b32 s4, v7
	v_readfirstlane_b32 s5, v8
	ds_load_b32 v12, v12 offset:5120
	s_waitcnt lgkmcnt(0)
	global_store_b32 v11, v12, s[4:5]
.LBB10_176:
	s_or_b32 exec_lo, exec_lo, s2
	v_or_b32_e32 v11, 0x600, v0
	s_mov_b32 s2, exec_lo
	s_delay_alu instid0(VALU_DEP_1)
	v_cmpx_le_u32_e64 v1, v11
	s_xor_b32 s2, exec_lo, s2
	s_cbranch_execz .LBB10_182
; %bb.177:
	s_mov_b32 s4, exec_lo
	v_cmpx_le_u32_e64 v10, v11
	s_xor_b32 s4, exec_lo, s4
	s_cbranch_execz .LBB10_179
; %bb.178:
	v_lshlrev_b32_e32 v12, 2, v0
	v_add_co_u32 v11, vcc_lo, v3, v11
	ds_load_b32 v13, v12 offset:6144
	v_add_co_ci_u32_e32 v12, vcc_lo, 0, v9, vcc_lo
	s_delay_alu instid0(VALU_DEP_1) | instskip(NEXT) | instid1(VALU_DEP_1)
	v_lshlrev_b64 v[11:12], 2, v[11:12]
	v_sub_co_u32 v11, vcc_lo, s1, v11
	s_delay_alu instid0(VALU_DEP_2)
	v_sub_co_ci_u32_e32 v12, vcc_lo, s0, v12, vcc_lo
	s_waitcnt lgkmcnt(0)
	global_store_b32 v[11:12], v13, off
                                        ; implicit-def: $vgpr11
.LBB10_179:
	s_and_not1_saveexec_b32 s4, s4
	s_cbranch_execz .LBB10_181
; %bb.180:
	v_lshlrev_b32_e32 v12, 2, v0
	v_lshlrev_b32_e32 v11, 2, v11
	v_readfirstlane_b32 s6, v5
	v_readfirstlane_b32 s7, v6
	ds_load_b32 v12, v12 offset:6144
	s_waitcnt lgkmcnt(0)
	global_store_b32 v11, v12, s[6:7]
.LBB10_181:
	s_or_b32 exec_lo, exec_lo, s4
                                        ; implicit-def: $vgpr11
.LBB10_182:
	;; [unrolled: 51-line block ×8, first 2 shown]
	s_and_not1_saveexec_b32 s2, s2
	s_cbranch_execz .LBB10_232
; %bb.231:
	v_lshlrev_b32_e32 v12, 2, v0
	v_lshlrev_b32_e32 v11, 2, v11
	v_readfirstlane_b32 s4, v7
	v_readfirstlane_b32 s5, v8
	ds_load_b32 v12, v12 offset:12288
	s_waitcnt lgkmcnt(0)
	global_store_b32 v11, v12, s[4:5]
.LBB10_232:
	s_or_b32 exec_lo, exec_lo, s2
	s_branch .LBB10_126
.LBB10_233:
	s_mov_b32 s2, exec_lo
	v_cmpx_gt_u32_e64 s3, v0
	s_cbranch_execz .LBB10_242
; %bb.234:
	s_mov_b32 s4, exec_lo
	v_cmpx_le_u32_e64 v1, v0
	s_xor_b32 s4, exec_lo, s4
	s_cbranch_execz .LBB10_240
; %bb.235:
	s_mov_b32 s5, exec_lo
	v_cmpx_le_u32_e64 v10, v0
	s_xor_b32 s5, exec_lo, s5
	s_cbranch_execz .LBB10_237
; %bb.236:
	v_lshlrev_b32_e32 v11, 2, v0
	ds_load_b32 v13, v11
	v_add_co_u32 v11, vcc_lo, v3, v0
	v_add_co_ci_u32_e32 v12, vcc_lo, 0, v9, vcc_lo
	s_delay_alu instid0(VALU_DEP_1) | instskip(NEXT) | instid1(VALU_DEP_1)
	v_lshlrev_b64 v[11:12], 2, v[11:12]
	v_sub_co_u32 v11, vcc_lo, s26, v11
	s_delay_alu instid0(VALU_DEP_2)
	v_sub_co_ci_u32_e32 v12, vcc_lo, s27, v12, vcc_lo
	s_waitcnt lgkmcnt(0)
	global_store_b32 v[11:12], v13, off offset:-4
.LBB10_237:
	s_and_not1_saveexec_b32 s5, s5
	s_cbranch_execz .LBB10_239
; %bb.238:
	v_lshlrev_b32_e32 v11, 2, v0
	v_readfirstlane_b32 s6, v5
	v_readfirstlane_b32 s7, v6
	ds_load_b32 v12, v11
	s_waitcnt lgkmcnt(0)
	global_store_b32 v11, v12, s[6:7]
.LBB10_239:
	s_or_b32 exec_lo, exec_lo, s5
.LBB10_240:
	s_and_not1_saveexec_b32 s4, s4
	s_cbranch_execz .LBB10_242
; %bb.241:
	v_lshlrev_b32_e32 v11, 2, v0
	v_readfirstlane_b32 s4, v7
	v_readfirstlane_b32 s5, v8
	ds_load_b32 v12, v11
	s_waitcnt lgkmcnt(0)
	global_store_b32 v11, v12, s[4:5]
.LBB10_242:
	s_or_b32 exec_lo, exec_lo, s2
	v_or_b32_e32 v11, 0x100, v0
	s_mov_b32 s2, exec_lo
	s_delay_alu instid0(VALU_DEP_1)
	v_cmpx_gt_u32_e64 s3, v11
	s_cbranch_execz .LBB10_251
; %bb.243:
	s_mov_b32 s4, exec_lo
	v_cmpx_le_u32_e64 v1, v11
	s_xor_b32 s4, exec_lo, s4
	s_cbranch_execz .LBB10_249
; %bb.244:
	s_mov_b32 s5, exec_lo
	v_cmpx_le_u32_e64 v10, v11
	s_xor_b32 s5, exec_lo, s5
	s_cbranch_execz .LBB10_246
; %bb.245:
	v_lshlrev_b32_e32 v11, 2, v0
	ds_load_b32 v13, v11 offset:1024
	v_add_co_u32 v11, vcc_lo, v3, v0
	v_add_co_ci_u32_e32 v12, vcc_lo, 0, v9, vcc_lo
	s_delay_alu instid0(VALU_DEP_1) | instskip(NEXT) | instid1(VALU_DEP_1)
	v_lshlrev_b64 v[11:12], 2, v[11:12]
	v_sub_co_u32 v11, vcc_lo, s1, v11
	s_delay_alu instid0(VALU_DEP_2)
	v_sub_co_ci_u32_e32 v12, vcc_lo, s0, v12, vcc_lo
	s_waitcnt lgkmcnt(0)
	global_store_b32 v[11:12], v13, off offset:-1024
.LBB10_246:
	s_and_not1_saveexec_b32 s5, s5
	s_cbranch_execz .LBB10_248
; %bb.247:
	v_lshlrev_b32_e32 v11, 2, v0
	v_readfirstlane_b32 s6, v5
	v_readfirstlane_b32 s7, v6
	ds_load_b32 v12, v11 offset:1024
	s_waitcnt lgkmcnt(0)
	global_store_b32 v11, v12, s[6:7] offset:1024
.LBB10_248:
	s_or_b32 exec_lo, exec_lo, s5
.LBB10_249:
	s_and_not1_saveexec_b32 s4, s4
	s_cbranch_execz .LBB10_251
; %bb.250:
	v_lshlrev_b32_e32 v11, 2, v0
	v_readfirstlane_b32 s4, v7
	v_readfirstlane_b32 s5, v8
	ds_load_b32 v12, v11 offset:1024
	s_waitcnt lgkmcnt(0)
	global_store_b32 v11, v12, s[4:5] offset:1024
.LBB10_251:
	s_or_b32 exec_lo, exec_lo, s2
	v_or_b32_e32 v11, 0x200, v0
	s_mov_b32 s2, exec_lo
	s_delay_alu instid0(VALU_DEP_1)
	v_cmpx_gt_u32_e64 s3, v11
	s_cbranch_execz .LBB10_260
; %bb.252:
	s_mov_b32 s4, exec_lo
	v_cmpx_le_u32_e64 v1, v11
	s_xor_b32 s4, exec_lo, s4
	s_cbranch_execz .LBB10_258
; %bb.253:
	s_mov_b32 s5, exec_lo
	v_cmpx_le_u32_e64 v10, v11
	s_xor_b32 s5, exec_lo, s5
	s_cbranch_execz .LBB10_255
; %bb.254:
	v_lshlrev_b32_e32 v11, 2, v0
	ds_load_b32 v13, v11 offset:2048
	v_add_co_u32 v11, vcc_lo, v3, v0
	v_add_co_ci_u32_e32 v12, vcc_lo, 0, v9, vcc_lo
	s_delay_alu instid0(VALU_DEP_1) | instskip(NEXT) | instid1(VALU_DEP_1)
	v_lshlrev_b64 v[11:12], 2, v[11:12]
	v_sub_co_u32 v11, vcc_lo, s1, v11
	s_delay_alu instid0(VALU_DEP_2)
	v_sub_co_ci_u32_e32 v12, vcc_lo, s0, v12, vcc_lo
	s_waitcnt lgkmcnt(0)
	global_store_b32 v[11:12], v13, off offset:-2048
.LBB10_255:
	s_and_not1_saveexec_b32 s5, s5
	s_cbranch_execz .LBB10_257
; %bb.256:
	v_lshlrev_b32_e32 v11, 2, v0
	v_readfirstlane_b32 s6, v5
	v_readfirstlane_b32 s7, v6
	ds_load_b32 v12, v11 offset:2048
	s_waitcnt lgkmcnt(0)
	global_store_b32 v11, v12, s[6:7] offset:2048
.LBB10_257:
	s_or_b32 exec_lo, exec_lo, s5
.LBB10_258:
	s_and_not1_saveexec_b32 s4, s4
	s_cbranch_execz .LBB10_260
; %bb.259:
	v_lshlrev_b32_e32 v11, 2, v0
	v_readfirstlane_b32 s4, v7
	v_readfirstlane_b32 s5, v8
	ds_load_b32 v12, v11 offset:2048
	s_waitcnt lgkmcnt(0)
	global_store_b32 v11, v12, s[4:5] offset:2048
.LBB10_260:
	;; [unrolled: 51-line block ×3, first 2 shown]
	s_or_b32 exec_lo, exec_lo, s2
	v_or_b32_e32 v11, 0x400, v0
	s_mov_b32 s2, exec_lo
	s_delay_alu instid0(VALU_DEP_1)
	v_cmpx_gt_u32_e64 s3, v11
	s_cbranch_execz .LBB10_278
; %bb.270:
	s_mov_b32 s4, exec_lo
	v_cmpx_le_u32_e64 v1, v11
	s_xor_b32 s4, exec_lo, s4
	s_cbranch_execz .LBB10_276
; %bb.271:
	s_mov_b32 s5, exec_lo
	v_cmpx_le_u32_e64 v10, v11
	s_xor_b32 s5, exec_lo, s5
	s_cbranch_execz .LBB10_273
; %bb.272:
	v_lshlrev_b32_e32 v11, 2, v0
	ds_load_b32 v13, v11 offset:4096
	v_add_co_u32 v11, vcc_lo, v3, v0
	v_add_co_ci_u32_e32 v12, vcc_lo, 0, v9, vcc_lo
	s_delay_alu instid0(VALU_DEP_1) | instskip(NEXT) | instid1(VALU_DEP_1)
	v_lshlrev_b64 v[11:12], 2, v[11:12]
	v_sub_co_u32 v11, vcc_lo, s1, v11
	s_delay_alu instid0(VALU_DEP_2)
	v_sub_co_ci_u32_e32 v12, vcc_lo, s0, v12, vcc_lo
	s_waitcnt lgkmcnt(0)
	global_store_b32 v[11:12], v13, off offset:-4096
                                        ; implicit-def: $vgpr11
.LBB10_273:
	s_and_not1_saveexec_b32 s5, s5
	s_cbranch_execz .LBB10_275
; %bb.274:
	v_lshlrev_b32_e32 v12, 2, v0
	v_lshlrev_b32_e32 v11, 2, v11
	v_readfirstlane_b32 s6, v5
	v_readfirstlane_b32 s7, v6
	ds_load_b32 v12, v12 offset:4096
	s_waitcnt lgkmcnt(0)
	global_store_b32 v11, v12, s[6:7]
.LBB10_275:
	s_or_b32 exec_lo, exec_lo, s5
                                        ; implicit-def: $vgpr11
.LBB10_276:
	s_and_not1_saveexec_b32 s4, s4
	s_cbranch_execz .LBB10_278
; %bb.277:
	v_lshlrev_b32_e32 v12, 2, v0
	v_lshlrev_b32_e32 v11, 2, v11
	v_readfirstlane_b32 s4, v7
	v_readfirstlane_b32 s5, v8
	ds_load_b32 v12, v12 offset:4096
	s_waitcnt lgkmcnt(0)
	global_store_b32 v11, v12, s[4:5]
.LBB10_278:
	s_or_b32 exec_lo, exec_lo, s2
	v_or_b32_e32 v11, 0x500, v0
	s_mov_b32 s2, exec_lo
	s_delay_alu instid0(VALU_DEP_1)
	v_cmpx_gt_u32_e64 s3, v11
	s_cbranch_execz .LBB10_287
; %bb.279:
	s_mov_b32 s4, exec_lo
	v_cmpx_le_u32_e64 v1, v11
	s_xor_b32 s4, exec_lo, s4
	s_cbranch_execz .LBB10_285
; %bb.280:
	s_mov_b32 s5, exec_lo
	v_cmpx_le_u32_e64 v10, v11
	s_xor_b32 s5, exec_lo, s5
	s_cbranch_execz .LBB10_282
; %bb.281:
	v_lshlrev_b32_e32 v12, 2, v0
	v_add_co_u32 v11, vcc_lo, v3, v11
	ds_load_b32 v13, v12 offset:5120
	v_add_co_ci_u32_e32 v12, vcc_lo, 0, v9, vcc_lo
	s_delay_alu instid0(VALU_DEP_1) | instskip(NEXT) | instid1(VALU_DEP_1)
	v_lshlrev_b64 v[11:12], 2, v[11:12]
	v_sub_co_u32 v11, vcc_lo, s1, v11
	s_delay_alu instid0(VALU_DEP_2)
	v_sub_co_ci_u32_e32 v12, vcc_lo, s0, v12, vcc_lo
	s_waitcnt lgkmcnt(0)
	global_store_b32 v[11:12], v13, off
                                        ; implicit-def: $vgpr11
.LBB10_282:
	s_and_not1_saveexec_b32 s5, s5
	s_cbranch_execz .LBB10_284
; %bb.283:
	v_lshlrev_b32_e32 v12, 2, v0
	v_lshlrev_b32_e32 v11, 2, v11
	v_readfirstlane_b32 s6, v5
	v_readfirstlane_b32 s7, v6
	ds_load_b32 v12, v12 offset:5120
	s_waitcnt lgkmcnt(0)
	global_store_b32 v11, v12, s[6:7]
.LBB10_284:
	s_or_b32 exec_lo, exec_lo, s5
                                        ; implicit-def: $vgpr11
.LBB10_285:
	s_and_not1_saveexec_b32 s4, s4
	s_cbranch_execz .LBB10_287
; %bb.286:
	v_lshlrev_b32_e32 v12, 2, v0
	v_lshlrev_b32_e32 v11, 2, v11
	v_readfirstlane_b32 s4, v7
	v_readfirstlane_b32 s5, v8
	ds_load_b32 v12, v12 offset:5120
	s_waitcnt lgkmcnt(0)
	global_store_b32 v11, v12, s[4:5]
.LBB10_287:
	s_or_b32 exec_lo, exec_lo, s2
	v_or_b32_e32 v11, 0x600, v0
	s_mov_b32 s2, exec_lo
	s_delay_alu instid0(VALU_DEP_1)
	v_cmpx_gt_u32_e64 s3, v11
	s_cbranch_execz .LBB10_296
; %bb.288:
	s_mov_b32 s4, exec_lo
	v_cmpx_le_u32_e64 v1, v11
	s_xor_b32 s4, exec_lo, s4
	s_cbranch_execz .LBB10_294
; %bb.289:
	s_mov_b32 s5, exec_lo
	v_cmpx_le_u32_e64 v10, v11
	s_xor_b32 s5, exec_lo, s5
	s_cbranch_execz .LBB10_291
; %bb.290:
	v_lshlrev_b32_e32 v12, 2, v0
	v_add_co_u32 v11, vcc_lo, v3, v11
	ds_load_b32 v13, v12 offset:6144
	v_add_co_ci_u32_e32 v12, vcc_lo, 0, v9, vcc_lo
	s_delay_alu instid0(VALU_DEP_1) | instskip(NEXT) | instid1(VALU_DEP_1)
	v_lshlrev_b64 v[11:12], 2, v[11:12]
	v_sub_co_u32 v11, vcc_lo, s1, v11
	s_delay_alu instid0(VALU_DEP_2)
	v_sub_co_ci_u32_e32 v12, vcc_lo, s0, v12, vcc_lo
	s_waitcnt lgkmcnt(0)
	global_store_b32 v[11:12], v13, off
                                        ; implicit-def: $vgpr11
.LBB10_291:
	s_and_not1_saveexec_b32 s5, s5
	s_cbranch_execz .LBB10_293
; %bb.292:
	v_lshlrev_b32_e32 v12, 2, v0
	v_lshlrev_b32_e32 v11, 2, v11
	v_readfirstlane_b32 s6, v5
	v_readfirstlane_b32 s7, v6
	ds_load_b32 v12, v12 offset:6144
	s_waitcnt lgkmcnt(0)
	global_store_b32 v11, v12, s[6:7]
.LBB10_293:
	s_or_b32 exec_lo, exec_lo, s5
                                        ; implicit-def: $vgpr11
.LBB10_294:
	s_and_not1_saveexec_b32 s4, s4
	s_cbranch_execz .LBB10_296
; %bb.295:
	v_lshlrev_b32_e32 v12, 2, v0
	v_lshlrev_b32_e32 v11, 2, v11
	v_readfirstlane_b32 s4, v7
	v_readfirstlane_b32 s5, v8
	ds_load_b32 v12, v12 offset:6144
	s_waitcnt lgkmcnt(0)
	global_store_b32 v11, v12, s[4:5]
.LBB10_296:
	;; [unrolled: 55-line block ×7, first 2 shown]
	s_or_b32 exec_lo, exec_lo, s2
	v_or_b32_e32 v11, 0xc00, v0
	s_mov_b32 s2, exec_lo
	s_delay_alu instid0(VALU_DEP_1)
	v_cmpx_gt_u32_e64 s3, v11
	s_cbranch_execz .LBB10_350
; %bb.342:
	s_mov_b32 s3, exec_lo
	v_cmpx_le_u32_e64 v1, v11
	s_xor_b32 s3, exec_lo, s3
	s_cbranch_execz .LBB10_348
; %bb.343:
	s_mov_b32 s4, exec_lo
	v_cmpx_le_u32_e64 v10, v11
	s_xor_b32 s4, exec_lo, s4
	s_cbranch_execz .LBB10_345
; %bb.344:
	v_lshlrev_b32_e32 v5, 2, v0
	ds_load_b32 v7, v5 offset:12288
	v_add_co_u32 v5, vcc_lo, v3, v11
	v_add_co_ci_u32_e32 v6, vcc_lo, 0, v9, vcc_lo
                                        ; implicit-def: $vgpr11
	s_delay_alu instid0(VALU_DEP_1) | instskip(NEXT) | instid1(VALU_DEP_1)
	v_lshlrev_b64 v[5:6], 2, v[5:6]
	v_sub_co_u32 v5, vcc_lo, s1, v5
	s_delay_alu instid0(VALU_DEP_2)
	v_sub_co_ci_u32_e32 v6, vcc_lo, s0, v6, vcc_lo
	s_waitcnt lgkmcnt(0)
	global_store_b32 v[5:6], v7, off
                                        ; implicit-def: $vgpr5_vgpr6
.LBB10_345:
	s_and_not1_saveexec_b32 s0, s4
	s_cbranch_execz .LBB10_347
; %bb.346:
	v_lshlrev_b32_e32 v3, 2, v0
	v_lshlrev_b32_e32 v7, 2, v11
	v_readfirstlane_b32 s4, v5
	v_readfirstlane_b32 s5, v6
	ds_load_b32 v3, v3 offset:12288
	s_waitcnt lgkmcnt(0)
	global_store_b32 v7, v3, s[4:5]
.LBB10_347:
	s_or_b32 exec_lo, exec_lo, s0
                                        ; implicit-def: $vgpr11
                                        ; implicit-def: $vgpr7_vgpr8
.LBB10_348:
	s_and_not1_saveexec_b32 s0, s3
	s_cbranch_execz .LBB10_350
; %bb.349:
	v_lshlrev_b32_e32 v3, 2, v0
	v_lshlrev_b32_e32 v5, 2, v11
	v_readfirstlane_b32 s0, v7
	v_readfirstlane_b32 s1, v8
	ds_load_b32 v3, v3 offset:12288
	s_waitcnt lgkmcnt(0)
	global_store_b32 v5, v3, s[0:1]
.LBB10_350:
	s_or_b32 exec_lo, exec_lo, s2
	v_cmp_eq_u32_e32 vcc_lo, 0, v0
	s_and_b32 s0, vcc_lo, s14
	s_delay_alu instid0(SALU_CYCLE_1)
	s_and_saveexec_b32 s1, s0
	s_cbranch_execz .LBB10_127
.LBB10_351:
	v_add_co_u32 v2, s0, s30, v2
	s_delay_alu instid0(VALU_DEP_1) | instskip(SKIP_2) | instid1(VALU_DEP_4)
	v_add_co_ci_u32_e64 v3, null, s31, 0, s0
	v_add_co_u32 v0, vcc_lo, v18, v1
	v_add_co_ci_u32_e32 v1, vcc_lo, 0, v19, vcc_lo
	v_add_co_u32 v2, vcc_lo, v2, v4
	v_mov_b32_e32 v5, 0
	v_add_co_ci_u32_e32 v3, vcc_lo, 0, v3, vcc_lo
	global_store_b128 v5, v[0:3], s[24:25]
	s_nop 0
	s_sendmsg sendmsg(MSG_DEALLOC_VGPRS)
	s_endpgm
.LBB10_352:
	v_add_nc_u32_e32 v3, s7, v23
	s_add_i32 s10, s15, 32
	s_mov_b32 s11, 0
	v_dual_mov_b32 v5, 0 :: v_dual_add_nc_u32 v2, v22, v1
	s_lshl_b64 s[10:11], s[10:11], 4
	v_and_b32_e32 v20, 0xff0000, v3
	s_add_u32 s10, s4, s10
	s_addc_u32 s11, s5, s11
	v_and_b32_e32 v4, 0xff000000, v3
	s_delay_alu instid0(VALU_DEP_1) | instskip(SKIP_2) | instid1(VALU_DEP_1)
	v_or_b32_e32 v20, v20, v4
	v_dual_mov_b32 v4, 2 :: v_dual_and_b32 v21, 0xff00, v3
	v_and_b32_e32 v3, 0xff, v3
	v_or3_b32 v3, v20, v21, v3
	v_dual_mov_b32 v21, s11 :: v_dual_mov_b32 v20, s10
	;;#ASMSTART
	global_store_dwordx4 v[20:21], v[2:5] off	
s_waitcnt vmcnt(0)
	;;#ASMEND
	s_or_b32 exec_lo, exec_lo, s8
	s_and_saveexec_b32 s8, s2
	s_cbranch_execz .LBB10_111
.LBB10_353:
	v_mov_b32_e32 v2, s7
	v_add_nc_u32_e64 v3, 0x3400, 0
	ds_store_2addr_b32 v3, v1, v2 offset1:2
	ds_store_2addr_b32 v3, v22, v23 offset0:4 offset1:6
	s_or_b32 exec_lo, exec_lo, s8
	v_cmp_eq_u32_e32 vcc_lo, 0, v0
	s_and_b32 exec_lo, exec_lo, vcc_lo
	s_cbranch_execnz .LBB10_112
	s_branch .LBB10_113
	.section	.rodata,"a",@progbits
	.p2align	6, 0x0
	.amdhsa_kernel _ZN7rocprim17ROCPRIM_400000_NS6detail17trampoline_kernelINS0_13select_configILj256ELj13ELNS0_17block_load_methodE3ELS4_3ELS4_3ELNS0_20block_scan_algorithmE0ELj4294967295EEENS1_25partition_config_selectorILNS1_17partition_subalgoE4EjNS0_10empty_typeEbEEZZNS1_14partition_implILS8_4ELb0ES6_15HIP_vector_typeIjLj2EENS0_17counting_iteratorIjlEEPS9_SG_NS0_5tupleIJPjSI_NS0_16reverse_iteratorISI_EEEEENSH_IJSG_SG_SG_EEES9_SI_JZNS1_25segmented_radix_sort_implINS0_14default_configELb1EPKhPhPKlPlN2at6native12_GLOBAL__N_18offset_tEEE10hipError_tPvRmT1_PNSt15iterator_traitsIS12_E10value_typeET2_T3_PNS13_IS18_E10value_typeET4_jRbjT5_S1E_jjP12ihipStream_tbEUljE_ZNSN_ISO_Lb1ESQ_SR_ST_SU_SY_EESZ_S10_S11_S12_S16_S17_S18_S1B_S1C_jS1D_jS1E_S1E_jjS1G_bEUljE0_EEESZ_S10_S11_S18_S1C_S1E_T6_T7_T9_mT8_S1G_bDpT10_ENKUlT_T0_E_clISt17integral_constantIbLb0EES1U_EEDaS1P_S1Q_EUlS1P_E_NS1_11comp_targetILNS1_3genE9ELNS1_11target_archE1100ELNS1_3gpuE3ELNS1_3repE0EEENS1_30default_config_static_selectorELNS0_4arch9wavefront6targetE0EEEvS12_
		.amdhsa_group_segment_fixed_size 13340
		.amdhsa_private_segment_fixed_size 0
		.amdhsa_kernarg_size 176
		.amdhsa_user_sgpr_count 15
		.amdhsa_user_sgpr_dispatch_ptr 0
		.amdhsa_user_sgpr_queue_ptr 0
		.amdhsa_user_sgpr_kernarg_segment_ptr 1
		.amdhsa_user_sgpr_dispatch_id 0
		.amdhsa_user_sgpr_private_segment_size 0
		.amdhsa_wavefront_size32 1
		.amdhsa_uses_dynamic_stack 0
		.amdhsa_enable_private_segment 0
		.amdhsa_system_sgpr_workgroup_id_x 1
		.amdhsa_system_sgpr_workgroup_id_y 0
		.amdhsa_system_sgpr_workgroup_id_z 0
		.amdhsa_system_sgpr_workgroup_info 0
		.amdhsa_system_vgpr_workitem_id 0
		.amdhsa_next_free_vgpr 98
		.amdhsa_next_free_sgpr 59
		.amdhsa_reserve_vcc 1
		.amdhsa_float_round_mode_32 0
		.amdhsa_float_round_mode_16_64 0
		.amdhsa_float_denorm_mode_32 3
		.amdhsa_float_denorm_mode_16_64 3
		.amdhsa_dx10_clamp 1
		.amdhsa_ieee_mode 1
		.amdhsa_fp16_overflow 0
		.amdhsa_workgroup_processor_mode 1
		.amdhsa_memory_ordered 1
		.amdhsa_forward_progress 0
		.amdhsa_shared_vgpr_count 0
		.amdhsa_exception_fp_ieee_invalid_op 0
		.amdhsa_exception_fp_denorm_src 0
		.amdhsa_exception_fp_ieee_div_zero 0
		.amdhsa_exception_fp_ieee_overflow 0
		.amdhsa_exception_fp_ieee_underflow 0
		.amdhsa_exception_fp_ieee_inexact 0
		.amdhsa_exception_int_div_zero 0
	.end_amdhsa_kernel
	.section	.text._ZN7rocprim17ROCPRIM_400000_NS6detail17trampoline_kernelINS0_13select_configILj256ELj13ELNS0_17block_load_methodE3ELS4_3ELS4_3ELNS0_20block_scan_algorithmE0ELj4294967295EEENS1_25partition_config_selectorILNS1_17partition_subalgoE4EjNS0_10empty_typeEbEEZZNS1_14partition_implILS8_4ELb0ES6_15HIP_vector_typeIjLj2EENS0_17counting_iteratorIjlEEPS9_SG_NS0_5tupleIJPjSI_NS0_16reverse_iteratorISI_EEEEENSH_IJSG_SG_SG_EEES9_SI_JZNS1_25segmented_radix_sort_implINS0_14default_configELb1EPKhPhPKlPlN2at6native12_GLOBAL__N_18offset_tEEE10hipError_tPvRmT1_PNSt15iterator_traitsIS12_E10value_typeET2_T3_PNS13_IS18_E10value_typeET4_jRbjT5_S1E_jjP12ihipStream_tbEUljE_ZNSN_ISO_Lb1ESQ_SR_ST_SU_SY_EESZ_S10_S11_S12_S16_S17_S18_S1B_S1C_jS1D_jS1E_S1E_jjS1G_bEUljE0_EEESZ_S10_S11_S18_S1C_S1E_T6_T7_T9_mT8_S1G_bDpT10_ENKUlT_T0_E_clISt17integral_constantIbLb0EES1U_EEDaS1P_S1Q_EUlS1P_E_NS1_11comp_targetILNS1_3genE9ELNS1_11target_archE1100ELNS1_3gpuE3ELNS1_3repE0EEENS1_30default_config_static_selectorELNS0_4arch9wavefront6targetE0EEEvS12_,"axG",@progbits,_ZN7rocprim17ROCPRIM_400000_NS6detail17trampoline_kernelINS0_13select_configILj256ELj13ELNS0_17block_load_methodE3ELS4_3ELS4_3ELNS0_20block_scan_algorithmE0ELj4294967295EEENS1_25partition_config_selectorILNS1_17partition_subalgoE4EjNS0_10empty_typeEbEEZZNS1_14partition_implILS8_4ELb0ES6_15HIP_vector_typeIjLj2EENS0_17counting_iteratorIjlEEPS9_SG_NS0_5tupleIJPjSI_NS0_16reverse_iteratorISI_EEEEENSH_IJSG_SG_SG_EEES9_SI_JZNS1_25segmented_radix_sort_implINS0_14default_configELb1EPKhPhPKlPlN2at6native12_GLOBAL__N_18offset_tEEE10hipError_tPvRmT1_PNSt15iterator_traitsIS12_E10value_typeET2_T3_PNS13_IS18_E10value_typeET4_jRbjT5_S1E_jjP12ihipStream_tbEUljE_ZNSN_ISO_Lb1ESQ_SR_ST_SU_SY_EESZ_S10_S11_S12_S16_S17_S18_S1B_S1C_jS1D_jS1E_S1E_jjS1G_bEUljE0_EEESZ_S10_S11_S18_S1C_S1E_T6_T7_T9_mT8_S1G_bDpT10_ENKUlT_T0_E_clISt17integral_constantIbLb0EES1U_EEDaS1P_S1Q_EUlS1P_E_NS1_11comp_targetILNS1_3genE9ELNS1_11target_archE1100ELNS1_3gpuE3ELNS1_3repE0EEENS1_30default_config_static_selectorELNS0_4arch9wavefront6targetE0EEEvS12_,comdat
.Lfunc_end10:
	.size	_ZN7rocprim17ROCPRIM_400000_NS6detail17trampoline_kernelINS0_13select_configILj256ELj13ELNS0_17block_load_methodE3ELS4_3ELS4_3ELNS0_20block_scan_algorithmE0ELj4294967295EEENS1_25partition_config_selectorILNS1_17partition_subalgoE4EjNS0_10empty_typeEbEEZZNS1_14partition_implILS8_4ELb0ES6_15HIP_vector_typeIjLj2EENS0_17counting_iteratorIjlEEPS9_SG_NS0_5tupleIJPjSI_NS0_16reverse_iteratorISI_EEEEENSH_IJSG_SG_SG_EEES9_SI_JZNS1_25segmented_radix_sort_implINS0_14default_configELb1EPKhPhPKlPlN2at6native12_GLOBAL__N_18offset_tEEE10hipError_tPvRmT1_PNSt15iterator_traitsIS12_E10value_typeET2_T3_PNS13_IS18_E10value_typeET4_jRbjT5_S1E_jjP12ihipStream_tbEUljE_ZNSN_ISO_Lb1ESQ_SR_ST_SU_SY_EESZ_S10_S11_S12_S16_S17_S18_S1B_S1C_jS1D_jS1E_S1E_jjS1G_bEUljE0_EEESZ_S10_S11_S18_S1C_S1E_T6_T7_T9_mT8_S1G_bDpT10_ENKUlT_T0_E_clISt17integral_constantIbLb0EES1U_EEDaS1P_S1Q_EUlS1P_E_NS1_11comp_targetILNS1_3genE9ELNS1_11target_archE1100ELNS1_3gpuE3ELNS1_3repE0EEENS1_30default_config_static_selectorELNS0_4arch9wavefront6targetE0EEEvS12_, .Lfunc_end10-_ZN7rocprim17ROCPRIM_400000_NS6detail17trampoline_kernelINS0_13select_configILj256ELj13ELNS0_17block_load_methodE3ELS4_3ELS4_3ELNS0_20block_scan_algorithmE0ELj4294967295EEENS1_25partition_config_selectorILNS1_17partition_subalgoE4EjNS0_10empty_typeEbEEZZNS1_14partition_implILS8_4ELb0ES6_15HIP_vector_typeIjLj2EENS0_17counting_iteratorIjlEEPS9_SG_NS0_5tupleIJPjSI_NS0_16reverse_iteratorISI_EEEEENSH_IJSG_SG_SG_EEES9_SI_JZNS1_25segmented_radix_sort_implINS0_14default_configELb1EPKhPhPKlPlN2at6native12_GLOBAL__N_18offset_tEEE10hipError_tPvRmT1_PNSt15iterator_traitsIS12_E10value_typeET2_T3_PNS13_IS18_E10value_typeET4_jRbjT5_S1E_jjP12ihipStream_tbEUljE_ZNSN_ISO_Lb1ESQ_SR_ST_SU_SY_EESZ_S10_S11_S12_S16_S17_S18_S1B_S1C_jS1D_jS1E_S1E_jjS1G_bEUljE0_EEESZ_S10_S11_S18_S1C_S1E_T6_T7_T9_mT8_S1G_bDpT10_ENKUlT_T0_E_clISt17integral_constantIbLb0EES1U_EEDaS1P_S1Q_EUlS1P_E_NS1_11comp_targetILNS1_3genE9ELNS1_11target_archE1100ELNS1_3gpuE3ELNS1_3repE0EEENS1_30default_config_static_selectorELNS0_4arch9wavefront6targetE0EEEvS12_
                                        ; -- End function
	.section	.AMDGPU.csdata,"",@progbits
; Kernel info:
; codeLenInByte = 14984
; NumSgprs: 61
; NumVgprs: 98
; ScratchSize: 0
; MemoryBound: 0
; FloatMode: 240
; IeeeMode: 1
; LDSByteSize: 13340 bytes/workgroup (compile time only)
; SGPRBlocks: 7
; VGPRBlocks: 12
; NumSGPRsForWavesPerEU: 61
; NumVGPRsForWavesPerEU: 98
; Occupancy: 12
; WaveLimiterHint : 1
; COMPUTE_PGM_RSRC2:SCRATCH_EN: 0
; COMPUTE_PGM_RSRC2:USER_SGPR: 15
; COMPUTE_PGM_RSRC2:TRAP_HANDLER: 0
; COMPUTE_PGM_RSRC2:TGID_X_EN: 1
; COMPUTE_PGM_RSRC2:TGID_Y_EN: 0
; COMPUTE_PGM_RSRC2:TGID_Z_EN: 0
; COMPUTE_PGM_RSRC2:TIDIG_COMP_CNT: 0
	.section	.text._ZN7rocprim17ROCPRIM_400000_NS6detail17trampoline_kernelINS0_13select_configILj256ELj13ELNS0_17block_load_methodE3ELS4_3ELS4_3ELNS0_20block_scan_algorithmE0ELj4294967295EEENS1_25partition_config_selectorILNS1_17partition_subalgoE4EjNS0_10empty_typeEbEEZZNS1_14partition_implILS8_4ELb0ES6_15HIP_vector_typeIjLj2EENS0_17counting_iteratorIjlEEPS9_SG_NS0_5tupleIJPjSI_NS0_16reverse_iteratorISI_EEEEENSH_IJSG_SG_SG_EEES9_SI_JZNS1_25segmented_radix_sort_implINS0_14default_configELb1EPKhPhPKlPlN2at6native12_GLOBAL__N_18offset_tEEE10hipError_tPvRmT1_PNSt15iterator_traitsIS12_E10value_typeET2_T3_PNS13_IS18_E10value_typeET4_jRbjT5_S1E_jjP12ihipStream_tbEUljE_ZNSN_ISO_Lb1ESQ_SR_ST_SU_SY_EESZ_S10_S11_S12_S16_S17_S18_S1B_S1C_jS1D_jS1E_S1E_jjS1G_bEUljE0_EEESZ_S10_S11_S18_S1C_S1E_T6_T7_T9_mT8_S1G_bDpT10_ENKUlT_T0_E_clISt17integral_constantIbLb0EES1U_EEDaS1P_S1Q_EUlS1P_E_NS1_11comp_targetILNS1_3genE8ELNS1_11target_archE1030ELNS1_3gpuE2ELNS1_3repE0EEENS1_30default_config_static_selectorELNS0_4arch9wavefront6targetE0EEEvS12_,"axG",@progbits,_ZN7rocprim17ROCPRIM_400000_NS6detail17trampoline_kernelINS0_13select_configILj256ELj13ELNS0_17block_load_methodE3ELS4_3ELS4_3ELNS0_20block_scan_algorithmE0ELj4294967295EEENS1_25partition_config_selectorILNS1_17partition_subalgoE4EjNS0_10empty_typeEbEEZZNS1_14partition_implILS8_4ELb0ES6_15HIP_vector_typeIjLj2EENS0_17counting_iteratorIjlEEPS9_SG_NS0_5tupleIJPjSI_NS0_16reverse_iteratorISI_EEEEENSH_IJSG_SG_SG_EEES9_SI_JZNS1_25segmented_radix_sort_implINS0_14default_configELb1EPKhPhPKlPlN2at6native12_GLOBAL__N_18offset_tEEE10hipError_tPvRmT1_PNSt15iterator_traitsIS12_E10value_typeET2_T3_PNS13_IS18_E10value_typeET4_jRbjT5_S1E_jjP12ihipStream_tbEUljE_ZNSN_ISO_Lb1ESQ_SR_ST_SU_SY_EESZ_S10_S11_S12_S16_S17_S18_S1B_S1C_jS1D_jS1E_S1E_jjS1G_bEUljE0_EEESZ_S10_S11_S18_S1C_S1E_T6_T7_T9_mT8_S1G_bDpT10_ENKUlT_T0_E_clISt17integral_constantIbLb0EES1U_EEDaS1P_S1Q_EUlS1P_E_NS1_11comp_targetILNS1_3genE8ELNS1_11target_archE1030ELNS1_3gpuE2ELNS1_3repE0EEENS1_30default_config_static_selectorELNS0_4arch9wavefront6targetE0EEEvS12_,comdat
	.globl	_ZN7rocprim17ROCPRIM_400000_NS6detail17trampoline_kernelINS0_13select_configILj256ELj13ELNS0_17block_load_methodE3ELS4_3ELS4_3ELNS0_20block_scan_algorithmE0ELj4294967295EEENS1_25partition_config_selectorILNS1_17partition_subalgoE4EjNS0_10empty_typeEbEEZZNS1_14partition_implILS8_4ELb0ES6_15HIP_vector_typeIjLj2EENS0_17counting_iteratorIjlEEPS9_SG_NS0_5tupleIJPjSI_NS0_16reverse_iteratorISI_EEEEENSH_IJSG_SG_SG_EEES9_SI_JZNS1_25segmented_radix_sort_implINS0_14default_configELb1EPKhPhPKlPlN2at6native12_GLOBAL__N_18offset_tEEE10hipError_tPvRmT1_PNSt15iterator_traitsIS12_E10value_typeET2_T3_PNS13_IS18_E10value_typeET4_jRbjT5_S1E_jjP12ihipStream_tbEUljE_ZNSN_ISO_Lb1ESQ_SR_ST_SU_SY_EESZ_S10_S11_S12_S16_S17_S18_S1B_S1C_jS1D_jS1E_S1E_jjS1G_bEUljE0_EEESZ_S10_S11_S18_S1C_S1E_T6_T7_T9_mT8_S1G_bDpT10_ENKUlT_T0_E_clISt17integral_constantIbLb0EES1U_EEDaS1P_S1Q_EUlS1P_E_NS1_11comp_targetILNS1_3genE8ELNS1_11target_archE1030ELNS1_3gpuE2ELNS1_3repE0EEENS1_30default_config_static_selectorELNS0_4arch9wavefront6targetE0EEEvS12_ ; -- Begin function _ZN7rocprim17ROCPRIM_400000_NS6detail17trampoline_kernelINS0_13select_configILj256ELj13ELNS0_17block_load_methodE3ELS4_3ELS4_3ELNS0_20block_scan_algorithmE0ELj4294967295EEENS1_25partition_config_selectorILNS1_17partition_subalgoE4EjNS0_10empty_typeEbEEZZNS1_14partition_implILS8_4ELb0ES6_15HIP_vector_typeIjLj2EENS0_17counting_iteratorIjlEEPS9_SG_NS0_5tupleIJPjSI_NS0_16reverse_iteratorISI_EEEEENSH_IJSG_SG_SG_EEES9_SI_JZNS1_25segmented_radix_sort_implINS0_14default_configELb1EPKhPhPKlPlN2at6native12_GLOBAL__N_18offset_tEEE10hipError_tPvRmT1_PNSt15iterator_traitsIS12_E10value_typeET2_T3_PNS13_IS18_E10value_typeET4_jRbjT5_S1E_jjP12ihipStream_tbEUljE_ZNSN_ISO_Lb1ESQ_SR_ST_SU_SY_EESZ_S10_S11_S12_S16_S17_S18_S1B_S1C_jS1D_jS1E_S1E_jjS1G_bEUljE0_EEESZ_S10_S11_S18_S1C_S1E_T6_T7_T9_mT8_S1G_bDpT10_ENKUlT_T0_E_clISt17integral_constantIbLb0EES1U_EEDaS1P_S1Q_EUlS1P_E_NS1_11comp_targetILNS1_3genE8ELNS1_11target_archE1030ELNS1_3gpuE2ELNS1_3repE0EEENS1_30default_config_static_selectorELNS0_4arch9wavefront6targetE0EEEvS12_
	.p2align	8
	.type	_ZN7rocprim17ROCPRIM_400000_NS6detail17trampoline_kernelINS0_13select_configILj256ELj13ELNS0_17block_load_methodE3ELS4_3ELS4_3ELNS0_20block_scan_algorithmE0ELj4294967295EEENS1_25partition_config_selectorILNS1_17partition_subalgoE4EjNS0_10empty_typeEbEEZZNS1_14partition_implILS8_4ELb0ES6_15HIP_vector_typeIjLj2EENS0_17counting_iteratorIjlEEPS9_SG_NS0_5tupleIJPjSI_NS0_16reverse_iteratorISI_EEEEENSH_IJSG_SG_SG_EEES9_SI_JZNS1_25segmented_radix_sort_implINS0_14default_configELb1EPKhPhPKlPlN2at6native12_GLOBAL__N_18offset_tEEE10hipError_tPvRmT1_PNSt15iterator_traitsIS12_E10value_typeET2_T3_PNS13_IS18_E10value_typeET4_jRbjT5_S1E_jjP12ihipStream_tbEUljE_ZNSN_ISO_Lb1ESQ_SR_ST_SU_SY_EESZ_S10_S11_S12_S16_S17_S18_S1B_S1C_jS1D_jS1E_S1E_jjS1G_bEUljE0_EEESZ_S10_S11_S18_S1C_S1E_T6_T7_T9_mT8_S1G_bDpT10_ENKUlT_T0_E_clISt17integral_constantIbLb0EES1U_EEDaS1P_S1Q_EUlS1P_E_NS1_11comp_targetILNS1_3genE8ELNS1_11target_archE1030ELNS1_3gpuE2ELNS1_3repE0EEENS1_30default_config_static_selectorELNS0_4arch9wavefront6targetE0EEEvS12_,@function
_ZN7rocprim17ROCPRIM_400000_NS6detail17trampoline_kernelINS0_13select_configILj256ELj13ELNS0_17block_load_methodE3ELS4_3ELS4_3ELNS0_20block_scan_algorithmE0ELj4294967295EEENS1_25partition_config_selectorILNS1_17partition_subalgoE4EjNS0_10empty_typeEbEEZZNS1_14partition_implILS8_4ELb0ES6_15HIP_vector_typeIjLj2EENS0_17counting_iteratorIjlEEPS9_SG_NS0_5tupleIJPjSI_NS0_16reverse_iteratorISI_EEEEENSH_IJSG_SG_SG_EEES9_SI_JZNS1_25segmented_radix_sort_implINS0_14default_configELb1EPKhPhPKlPlN2at6native12_GLOBAL__N_18offset_tEEE10hipError_tPvRmT1_PNSt15iterator_traitsIS12_E10value_typeET2_T3_PNS13_IS18_E10value_typeET4_jRbjT5_S1E_jjP12ihipStream_tbEUljE_ZNSN_ISO_Lb1ESQ_SR_ST_SU_SY_EESZ_S10_S11_S12_S16_S17_S18_S1B_S1C_jS1D_jS1E_S1E_jjS1G_bEUljE0_EEESZ_S10_S11_S18_S1C_S1E_T6_T7_T9_mT8_S1G_bDpT10_ENKUlT_T0_E_clISt17integral_constantIbLb0EES1U_EEDaS1P_S1Q_EUlS1P_E_NS1_11comp_targetILNS1_3genE8ELNS1_11target_archE1030ELNS1_3gpuE2ELNS1_3repE0EEENS1_30default_config_static_selectorELNS0_4arch9wavefront6targetE0EEEvS12_: ; @_ZN7rocprim17ROCPRIM_400000_NS6detail17trampoline_kernelINS0_13select_configILj256ELj13ELNS0_17block_load_methodE3ELS4_3ELS4_3ELNS0_20block_scan_algorithmE0ELj4294967295EEENS1_25partition_config_selectorILNS1_17partition_subalgoE4EjNS0_10empty_typeEbEEZZNS1_14partition_implILS8_4ELb0ES6_15HIP_vector_typeIjLj2EENS0_17counting_iteratorIjlEEPS9_SG_NS0_5tupleIJPjSI_NS0_16reverse_iteratorISI_EEEEENSH_IJSG_SG_SG_EEES9_SI_JZNS1_25segmented_radix_sort_implINS0_14default_configELb1EPKhPhPKlPlN2at6native12_GLOBAL__N_18offset_tEEE10hipError_tPvRmT1_PNSt15iterator_traitsIS12_E10value_typeET2_T3_PNS13_IS18_E10value_typeET4_jRbjT5_S1E_jjP12ihipStream_tbEUljE_ZNSN_ISO_Lb1ESQ_SR_ST_SU_SY_EESZ_S10_S11_S12_S16_S17_S18_S1B_S1C_jS1D_jS1E_S1E_jjS1G_bEUljE0_EEESZ_S10_S11_S18_S1C_S1E_T6_T7_T9_mT8_S1G_bDpT10_ENKUlT_T0_E_clISt17integral_constantIbLb0EES1U_EEDaS1P_S1Q_EUlS1P_E_NS1_11comp_targetILNS1_3genE8ELNS1_11target_archE1030ELNS1_3gpuE2ELNS1_3repE0EEENS1_30default_config_static_selectorELNS0_4arch9wavefront6targetE0EEEvS12_
; %bb.0:
	.section	.rodata,"a",@progbits
	.p2align	6, 0x0
	.amdhsa_kernel _ZN7rocprim17ROCPRIM_400000_NS6detail17trampoline_kernelINS0_13select_configILj256ELj13ELNS0_17block_load_methodE3ELS4_3ELS4_3ELNS0_20block_scan_algorithmE0ELj4294967295EEENS1_25partition_config_selectorILNS1_17partition_subalgoE4EjNS0_10empty_typeEbEEZZNS1_14partition_implILS8_4ELb0ES6_15HIP_vector_typeIjLj2EENS0_17counting_iteratorIjlEEPS9_SG_NS0_5tupleIJPjSI_NS0_16reverse_iteratorISI_EEEEENSH_IJSG_SG_SG_EEES9_SI_JZNS1_25segmented_radix_sort_implINS0_14default_configELb1EPKhPhPKlPlN2at6native12_GLOBAL__N_18offset_tEEE10hipError_tPvRmT1_PNSt15iterator_traitsIS12_E10value_typeET2_T3_PNS13_IS18_E10value_typeET4_jRbjT5_S1E_jjP12ihipStream_tbEUljE_ZNSN_ISO_Lb1ESQ_SR_ST_SU_SY_EESZ_S10_S11_S12_S16_S17_S18_S1B_S1C_jS1D_jS1E_S1E_jjS1G_bEUljE0_EEESZ_S10_S11_S18_S1C_S1E_T6_T7_T9_mT8_S1G_bDpT10_ENKUlT_T0_E_clISt17integral_constantIbLb0EES1U_EEDaS1P_S1Q_EUlS1P_E_NS1_11comp_targetILNS1_3genE8ELNS1_11target_archE1030ELNS1_3gpuE2ELNS1_3repE0EEENS1_30default_config_static_selectorELNS0_4arch9wavefront6targetE0EEEvS12_
		.amdhsa_group_segment_fixed_size 0
		.amdhsa_private_segment_fixed_size 0
		.amdhsa_kernarg_size 176
		.amdhsa_user_sgpr_count 15
		.amdhsa_user_sgpr_dispatch_ptr 0
		.amdhsa_user_sgpr_queue_ptr 0
		.amdhsa_user_sgpr_kernarg_segment_ptr 1
		.amdhsa_user_sgpr_dispatch_id 0
		.amdhsa_user_sgpr_private_segment_size 0
		.amdhsa_wavefront_size32 1
		.amdhsa_uses_dynamic_stack 0
		.amdhsa_enable_private_segment 0
		.amdhsa_system_sgpr_workgroup_id_x 1
		.amdhsa_system_sgpr_workgroup_id_y 0
		.amdhsa_system_sgpr_workgroup_id_z 0
		.amdhsa_system_sgpr_workgroup_info 0
		.amdhsa_system_vgpr_workitem_id 0
		.amdhsa_next_free_vgpr 1
		.amdhsa_next_free_sgpr 1
		.amdhsa_reserve_vcc 0
		.amdhsa_float_round_mode_32 0
		.amdhsa_float_round_mode_16_64 0
		.amdhsa_float_denorm_mode_32 3
		.amdhsa_float_denorm_mode_16_64 3
		.amdhsa_dx10_clamp 1
		.amdhsa_ieee_mode 1
		.amdhsa_fp16_overflow 0
		.amdhsa_workgroup_processor_mode 1
		.amdhsa_memory_ordered 1
		.amdhsa_forward_progress 0
		.amdhsa_shared_vgpr_count 0
		.amdhsa_exception_fp_ieee_invalid_op 0
		.amdhsa_exception_fp_denorm_src 0
		.amdhsa_exception_fp_ieee_div_zero 0
		.amdhsa_exception_fp_ieee_overflow 0
		.amdhsa_exception_fp_ieee_underflow 0
		.amdhsa_exception_fp_ieee_inexact 0
		.amdhsa_exception_int_div_zero 0
	.end_amdhsa_kernel
	.section	.text._ZN7rocprim17ROCPRIM_400000_NS6detail17trampoline_kernelINS0_13select_configILj256ELj13ELNS0_17block_load_methodE3ELS4_3ELS4_3ELNS0_20block_scan_algorithmE0ELj4294967295EEENS1_25partition_config_selectorILNS1_17partition_subalgoE4EjNS0_10empty_typeEbEEZZNS1_14partition_implILS8_4ELb0ES6_15HIP_vector_typeIjLj2EENS0_17counting_iteratorIjlEEPS9_SG_NS0_5tupleIJPjSI_NS0_16reverse_iteratorISI_EEEEENSH_IJSG_SG_SG_EEES9_SI_JZNS1_25segmented_radix_sort_implINS0_14default_configELb1EPKhPhPKlPlN2at6native12_GLOBAL__N_18offset_tEEE10hipError_tPvRmT1_PNSt15iterator_traitsIS12_E10value_typeET2_T3_PNS13_IS18_E10value_typeET4_jRbjT5_S1E_jjP12ihipStream_tbEUljE_ZNSN_ISO_Lb1ESQ_SR_ST_SU_SY_EESZ_S10_S11_S12_S16_S17_S18_S1B_S1C_jS1D_jS1E_S1E_jjS1G_bEUljE0_EEESZ_S10_S11_S18_S1C_S1E_T6_T7_T9_mT8_S1G_bDpT10_ENKUlT_T0_E_clISt17integral_constantIbLb0EES1U_EEDaS1P_S1Q_EUlS1P_E_NS1_11comp_targetILNS1_3genE8ELNS1_11target_archE1030ELNS1_3gpuE2ELNS1_3repE0EEENS1_30default_config_static_selectorELNS0_4arch9wavefront6targetE0EEEvS12_,"axG",@progbits,_ZN7rocprim17ROCPRIM_400000_NS6detail17trampoline_kernelINS0_13select_configILj256ELj13ELNS0_17block_load_methodE3ELS4_3ELS4_3ELNS0_20block_scan_algorithmE0ELj4294967295EEENS1_25partition_config_selectorILNS1_17partition_subalgoE4EjNS0_10empty_typeEbEEZZNS1_14partition_implILS8_4ELb0ES6_15HIP_vector_typeIjLj2EENS0_17counting_iteratorIjlEEPS9_SG_NS0_5tupleIJPjSI_NS0_16reverse_iteratorISI_EEEEENSH_IJSG_SG_SG_EEES9_SI_JZNS1_25segmented_radix_sort_implINS0_14default_configELb1EPKhPhPKlPlN2at6native12_GLOBAL__N_18offset_tEEE10hipError_tPvRmT1_PNSt15iterator_traitsIS12_E10value_typeET2_T3_PNS13_IS18_E10value_typeET4_jRbjT5_S1E_jjP12ihipStream_tbEUljE_ZNSN_ISO_Lb1ESQ_SR_ST_SU_SY_EESZ_S10_S11_S12_S16_S17_S18_S1B_S1C_jS1D_jS1E_S1E_jjS1G_bEUljE0_EEESZ_S10_S11_S18_S1C_S1E_T6_T7_T9_mT8_S1G_bDpT10_ENKUlT_T0_E_clISt17integral_constantIbLb0EES1U_EEDaS1P_S1Q_EUlS1P_E_NS1_11comp_targetILNS1_3genE8ELNS1_11target_archE1030ELNS1_3gpuE2ELNS1_3repE0EEENS1_30default_config_static_selectorELNS0_4arch9wavefront6targetE0EEEvS12_,comdat
.Lfunc_end11:
	.size	_ZN7rocprim17ROCPRIM_400000_NS6detail17trampoline_kernelINS0_13select_configILj256ELj13ELNS0_17block_load_methodE3ELS4_3ELS4_3ELNS0_20block_scan_algorithmE0ELj4294967295EEENS1_25partition_config_selectorILNS1_17partition_subalgoE4EjNS0_10empty_typeEbEEZZNS1_14partition_implILS8_4ELb0ES6_15HIP_vector_typeIjLj2EENS0_17counting_iteratorIjlEEPS9_SG_NS0_5tupleIJPjSI_NS0_16reverse_iteratorISI_EEEEENSH_IJSG_SG_SG_EEES9_SI_JZNS1_25segmented_radix_sort_implINS0_14default_configELb1EPKhPhPKlPlN2at6native12_GLOBAL__N_18offset_tEEE10hipError_tPvRmT1_PNSt15iterator_traitsIS12_E10value_typeET2_T3_PNS13_IS18_E10value_typeET4_jRbjT5_S1E_jjP12ihipStream_tbEUljE_ZNSN_ISO_Lb1ESQ_SR_ST_SU_SY_EESZ_S10_S11_S12_S16_S17_S18_S1B_S1C_jS1D_jS1E_S1E_jjS1G_bEUljE0_EEESZ_S10_S11_S18_S1C_S1E_T6_T7_T9_mT8_S1G_bDpT10_ENKUlT_T0_E_clISt17integral_constantIbLb0EES1U_EEDaS1P_S1Q_EUlS1P_E_NS1_11comp_targetILNS1_3genE8ELNS1_11target_archE1030ELNS1_3gpuE2ELNS1_3repE0EEENS1_30default_config_static_selectorELNS0_4arch9wavefront6targetE0EEEvS12_, .Lfunc_end11-_ZN7rocprim17ROCPRIM_400000_NS6detail17trampoline_kernelINS0_13select_configILj256ELj13ELNS0_17block_load_methodE3ELS4_3ELS4_3ELNS0_20block_scan_algorithmE0ELj4294967295EEENS1_25partition_config_selectorILNS1_17partition_subalgoE4EjNS0_10empty_typeEbEEZZNS1_14partition_implILS8_4ELb0ES6_15HIP_vector_typeIjLj2EENS0_17counting_iteratorIjlEEPS9_SG_NS0_5tupleIJPjSI_NS0_16reverse_iteratorISI_EEEEENSH_IJSG_SG_SG_EEES9_SI_JZNS1_25segmented_radix_sort_implINS0_14default_configELb1EPKhPhPKlPlN2at6native12_GLOBAL__N_18offset_tEEE10hipError_tPvRmT1_PNSt15iterator_traitsIS12_E10value_typeET2_T3_PNS13_IS18_E10value_typeET4_jRbjT5_S1E_jjP12ihipStream_tbEUljE_ZNSN_ISO_Lb1ESQ_SR_ST_SU_SY_EESZ_S10_S11_S12_S16_S17_S18_S1B_S1C_jS1D_jS1E_S1E_jjS1G_bEUljE0_EEESZ_S10_S11_S18_S1C_S1E_T6_T7_T9_mT8_S1G_bDpT10_ENKUlT_T0_E_clISt17integral_constantIbLb0EES1U_EEDaS1P_S1Q_EUlS1P_E_NS1_11comp_targetILNS1_3genE8ELNS1_11target_archE1030ELNS1_3gpuE2ELNS1_3repE0EEENS1_30default_config_static_selectorELNS0_4arch9wavefront6targetE0EEEvS12_
                                        ; -- End function
	.section	.AMDGPU.csdata,"",@progbits
; Kernel info:
; codeLenInByte = 0
; NumSgprs: 0
; NumVgprs: 0
; ScratchSize: 0
; MemoryBound: 0
; FloatMode: 240
; IeeeMode: 1
; LDSByteSize: 0 bytes/workgroup (compile time only)
; SGPRBlocks: 0
; VGPRBlocks: 0
; NumSGPRsForWavesPerEU: 1
; NumVGPRsForWavesPerEU: 1
; Occupancy: 16
; WaveLimiterHint : 0
; COMPUTE_PGM_RSRC2:SCRATCH_EN: 0
; COMPUTE_PGM_RSRC2:USER_SGPR: 15
; COMPUTE_PGM_RSRC2:TRAP_HANDLER: 0
; COMPUTE_PGM_RSRC2:TGID_X_EN: 1
; COMPUTE_PGM_RSRC2:TGID_Y_EN: 0
; COMPUTE_PGM_RSRC2:TGID_Z_EN: 0
; COMPUTE_PGM_RSRC2:TIDIG_COMP_CNT: 0
	.section	.text._ZN7rocprim17ROCPRIM_400000_NS6detail17trampoline_kernelINS0_14default_configENS1_25transform_config_selectorImLb1EEEZNS1_14transform_implILb1ES3_S5_PmPjNS0_8identityIvEEEE10hipError_tT2_T3_mT4_P12ihipStream_tbEUlT_E_NS1_11comp_targetILNS1_3genE0ELNS1_11target_archE4294967295ELNS1_3gpuE0ELNS1_3repE0EEENS1_30default_config_static_selectorELNS0_4arch9wavefront6targetE0EEEvT1_,"axG",@progbits,_ZN7rocprim17ROCPRIM_400000_NS6detail17trampoline_kernelINS0_14default_configENS1_25transform_config_selectorImLb1EEEZNS1_14transform_implILb1ES3_S5_PmPjNS0_8identityIvEEEE10hipError_tT2_T3_mT4_P12ihipStream_tbEUlT_E_NS1_11comp_targetILNS1_3genE0ELNS1_11target_archE4294967295ELNS1_3gpuE0ELNS1_3repE0EEENS1_30default_config_static_selectorELNS0_4arch9wavefront6targetE0EEEvT1_,comdat
	.protected	_ZN7rocprim17ROCPRIM_400000_NS6detail17trampoline_kernelINS0_14default_configENS1_25transform_config_selectorImLb1EEEZNS1_14transform_implILb1ES3_S5_PmPjNS0_8identityIvEEEE10hipError_tT2_T3_mT4_P12ihipStream_tbEUlT_E_NS1_11comp_targetILNS1_3genE0ELNS1_11target_archE4294967295ELNS1_3gpuE0ELNS1_3repE0EEENS1_30default_config_static_selectorELNS0_4arch9wavefront6targetE0EEEvT1_ ; -- Begin function _ZN7rocprim17ROCPRIM_400000_NS6detail17trampoline_kernelINS0_14default_configENS1_25transform_config_selectorImLb1EEEZNS1_14transform_implILb1ES3_S5_PmPjNS0_8identityIvEEEE10hipError_tT2_T3_mT4_P12ihipStream_tbEUlT_E_NS1_11comp_targetILNS1_3genE0ELNS1_11target_archE4294967295ELNS1_3gpuE0ELNS1_3repE0EEENS1_30default_config_static_selectorELNS0_4arch9wavefront6targetE0EEEvT1_
	.globl	_ZN7rocprim17ROCPRIM_400000_NS6detail17trampoline_kernelINS0_14default_configENS1_25transform_config_selectorImLb1EEEZNS1_14transform_implILb1ES3_S5_PmPjNS0_8identityIvEEEE10hipError_tT2_T3_mT4_P12ihipStream_tbEUlT_E_NS1_11comp_targetILNS1_3genE0ELNS1_11target_archE4294967295ELNS1_3gpuE0ELNS1_3repE0EEENS1_30default_config_static_selectorELNS0_4arch9wavefront6targetE0EEEvT1_
	.p2align	8
	.type	_ZN7rocprim17ROCPRIM_400000_NS6detail17trampoline_kernelINS0_14default_configENS1_25transform_config_selectorImLb1EEEZNS1_14transform_implILb1ES3_S5_PmPjNS0_8identityIvEEEE10hipError_tT2_T3_mT4_P12ihipStream_tbEUlT_E_NS1_11comp_targetILNS1_3genE0ELNS1_11target_archE4294967295ELNS1_3gpuE0ELNS1_3repE0EEENS1_30default_config_static_selectorELNS0_4arch9wavefront6targetE0EEEvT1_,@function
_ZN7rocprim17ROCPRIM_400000_NS6detail17trampoline_kernelINS0_14default_configENS1_25transform_config_selectorImLb1EEEZNS1_14transform_implILb1ES3_S5_PmPjNS0_8identityIvEEEE10hipError_tT2_T3_mT4_P12ihipStream_tbEUlT_E_NS1_11comp_targetILNS1_3genE0ELNS1_11target_archE4294967295ELNS1_3gpuE0ELNS1_3repE0EEENS1_30default_config_static_selectorELNS0_4arch9wavefront6targetE0EEEvT1_: ; @_ZN7rocprim17ROCPRIM_400000_NS6detail17trampoline_kernelINS0_14default_configENS1_25transform_config_selectorImLb1EEEZNS1_14transform_implILb1ES3_S5_PmPjNS0_8identityIvEEEE10hipError_tT2_T3_mT4_P12ihipStream_tbEUlT_E_NS1_11comp_targetILNS1_3genE0ELNS1_11target_archE4294967295ELNS1_3gpuE0ELNS1_3repE0EEENS1_30default_config_static_selectorELNS0_4arch9wavefront6targetE0EEEvT1_
; %bb.0:
	.section	.rodata,"a",@progbits
	.p2align	6, 0x0
	.amdhsa_kernel _ZN7rocprim17ROCPRIM_400000_NS6detail17trampoline_kernelINS0_14default_configENS1_25transform_config_selectorImLb1EEEZNS1_14transform_implILb1ES3_S5_PmPjNS0_8identityIvEEEE10hipError_tT2_T3_mT4_P12ihipStream_tbEUlT_E_NS1_11comp_targetILNS1_3genE0ELNS1_11target_archE4294967295ELNS1_3gpuE0ELNS1_3repE0EEENS1_30default_config_static_selectorELNS0_4arch9wavefront6targetE0EEEvT1_
		.amdhsa_group_segment_fixed_size 0
		.amdhsa_private_segment_fixed_size 0
		.amdhsa_kernarg_size 40
		.amdhsa_user_sgpr_count 15
		.amdhsa_user_sgpr_dispatch_ptr 0
		.amdhsa_user_sgpr_queue_ptr 0
		.amdhsa_user_sgpr_kernarg_segment_ptr 1
		.amdhsa_user_sgpr_dispatch_id 0
		.amdhsa_user_sgpr_private_segment_size 0
		.amdhsa_wavefront_size32 1
		.amdhsa_uses_dynamic_stack 0
		.amdhsa_enable_private_segment 0
		.amdhsa_system_sgpr_workgroup_id_x 1
		.amdhsa_system_sgpr_workgroup_id_y 0
		.amdhsa_system_sgpr_workgroup_id_z 0
		.amdhsa_system_sgpr_workgroup_info 0
		.amdhsa_system_vgpr_workitem_id 0
		.amdhsa_next_free_vgpr 1
		.amdhsa_next_free_sgpr 1
		.amdhsa_reserve_vcc 0
		.amdhsa_float_round_mode_32 0
		.amdhsa_float_round_mode_16_64 0
		.amdhsa_float_denorm_mode_32 3
		.amdhsa_float_denorm_mode_16_64 3
		.amdhsa_dx10_clamp 1
		.amdhsa_ieee_mode 1
		.amdhsa_fp16_overflow 0
		.amdhsa_workgroup_processor_mode 1
		.amdhsa_memory_ordered 1
		.amdhsa_forward_progress 0
		.amdhsa_shared_vgpr_count 0
		.amdhsa_exception_fp_ieee_invalid_op 0
		.amdhsa_exception_fp_denorm_src 0
		.amdhsa_exception_fp_ieee_div_zero 0
		.amdhsa_exception_fp_ieee_overflow 0
		.amdhsa_exception_fp_ieee_underflow 0
		.amdhsa_exception_fp_ieee_inexact 0
		.amdhsa_exception_int_div_zero 0
	.end_amdhsa_kernel
	.section	.text._ZN7rocprim17ROCPRIM_400000_NS6detail17trampoline_kernelINS0_14default_configENS1_25transform_config_selectorImLb1EEEZNS1_14transform_implILb1ES3_S5_PmPjNS0_8identityIvEEEE10hipError_tT2_T3_mT4_P12ihipStream_tbEUlT_E_NS1_11comp_targetILNS1_3genE0ELNS1_11target_archE4294967295ELNS1_3gpuE0ELNS1_3repE0EEENS1_30default_config_static_selectorELNS0_4arch9wavefront6targetE0EEEvT1_,"axG",@progbits,_ZN7rocprim17ROCPRIM_400000_NS6detail17trampoline_kernelINS0_14default_configENS1_25transform_config_selectorImLb1EEEZNS1_14transform_implILb1ES3_S5_PmPjNS0_8identityIvEEEE10hipError_tT2_T3_mT4_P12ihipStream_tbEUlT_E_NS1_11comp_targetILNS1_3genE0ELNS1_11target_archE4294967295ELNS1_3gpuE0ELNS1_3repE0EEENS1_30default_config_static_selectorELNS0_4arch9wavefront6targetE0EEEvT1_,comdat
.Lfunc_end12:
	.size	_ZN7rocprim17ROCPRIM_400000_NS6detail17trampoline_kernelINS0_14default_configENS1_25transform_config_selectorImLb1EEEZNS1_14transform_implILb1ES3_S5_PmPjNS0_8identityIvEEEE10hipError_tT2_T3_mT4_P12ihipStream_tbEUlT_E_NS1_11comp_targetILNS1_3genE0ELNS1_11target_archE4294967295ELNS1_3gpuE0ELNS1_3repE0EEENS1_30default_config_static_selectorELNS0_4arch9wavefront6targetE0EEEvT1_, .Lfunc_end12-_ZN7rocprim17ROCPRIM_400000_NS6detail17trampoline_kernelINS0_14default_configENS1_25transform_config_selectorImLb1EEEZNS1_14transform_implILb1ES3_S5_PmPjNS0_8identityIvEEEE10hipError_tT2_T3_mT4_P12ihipStream_tbEUlT_E_NS1_11comp_targetILNS1_3genE0ELNS1_11target_archE4294967295ELNS1_3gpuE0ELNS1_3repE0EEENS1_30default_config_static_selectorELNS0_4arch9wavefront6targetE0EEEvT1_
                                        ; -- End function
	.section	.AMDGPU.csdata,"",@progbits
; Kernel info:
; codeLenInByte = 0
; NumSgprs: 0
; NumVgprs: 0
; ScratchSize: 0
; MemoryBound: 0
; FloatMode: 240
; IeeeMode: 1
; LDSByteSize: 0 bytes/workgroup (compile time only)
; SGPRBlocks: 0
; VGPRBlocks: 0
; NumSGPRsForWavesPerEU: 1
; NumVGPRsForWavesPerEU: 1
; Occupancy: 16
; WaveLimiterHint : 0
; COMPUTE_PGM_RSRC2:SCRATCH_EN: 0
; COMPUTE_PGM_RSRC2:USER_SGPR: 15
; COMPUTE_PGM_RSRC2:TRAP_HANDLER: 0
; COMPUTE_PGM_RSRC2:TGID_X_EN: 1
; COMPUTE_PGM_RSRC2:TGID_Y_EN: 0
; COMPUTE_PGM_RSRC2:TGID_Z_EN: 0
; COMPUTE_PGM_RSRC2:TIDIG_COMP_CNT: 0
	.section	.text._ZN7rocprim17ROCPRIM_400000_NS6detail17trampoline_kernelINS0_14default_configENS1_25transform_config_selectorImLb1EEEZNS1_14transform_implILb1ES3_S5_PmPjNS0_8identityIvEEEE10hipError_tT2_T3_mT4_P12ihipStream_tbEUlT_E_NS1_11comp_targetILNS1_3genE10ELNS1_11target_archE1201ELNS1_3gpuE5ELNS1_3repE0EEENS1_30default_config_static_selectorELNS0_4arch9wavefront6targetE0EEEvT1_,"axG",@progbits,_ZN7rocprim17ROCPRIM_400000_NS6detail17trampoline_kernelINS0_14default_configENS1_25transform_config_selectorImLb1EEEZNS1_14transform_implILb1ES3_S5_PmPjNS0_8identityIvEEEE10hipError_tT2_T3_mT4_P12ihipStream_tbEUlT_E_NS1_11comp_targetILNS1_3genE10ELNS1_11target_archE1201ELNS1_3gpuE5ELNS1_3repE0EEENS1_30default_config_static_selectorELNS0_4arch9wavefront6targetE0EEEvT1_,comdat
	.protected	_ZN7rocprim17ROCPRIM_400000_NS6detail17trampoline_kernelINS0_14default_configENS1_25transform_config_selectorImLb1EEEZNS1_14transform_implILb1ES3_S5_PmPjNS0_8identityIvEEEE10hipError_tT2_T3_mT4_P12ihipStream_tbEUlT_E_NS1_11comp_targetILNS1_3genE10ELNS1_11target_archE1201ELNS1_3gpuE5ELNS1_3repE0EEENS1_30default_config_static_selectorELNS0_4arch9wavefront6targetE0EEEvT1_ ; -- Begin function _ZN7rocprim17ROCPRIM_400000_NS6detail17trampoline_kernelINS0_14default_configENS1_25transform_config_selectorImLb1EEEZNS1_14transform_implILb1ES3_S5_PmPjNS0_8identityIvEEEE10hipError_tT2_T3_mT4_P12ihipStream_tbEUlT_E_NS1_11comp_targetILNS1_3genE10ELNS1_11target_archE1201ELNS1_3gpuE5ELNS1_3repE0EEENS1_30default_config_static_selectorELNS0_4arch9wavefront6targetE0EEEvT1_
	.globl	_ZN7rocprim17ROCPRIM_400000_NS6detail17trampoline_kernelINS0_14default_configENS1_25transform_config_selectorImLb1EEEZNS1_14transform_implILb1ES3_S5_PmPjNS0_8identityIvEEEE10hipError_tT2_T3_mT4_P12ihipStream_tbEUlT_E_NS1_11comp_targetILNS1_3genE10ELNS1_11target_archE1201ELNS1_3gpuE5ELNS1_3repE0EEENS1_30default_config_static_selectorELNS0_4arch9wavefront6targetE0EEEvT1_
	.p2align	8
	.type	_ZN7rocprim17ROCPRIM_400000_NS6detail17trampoline_kernelINS0_14default_configENS1_25transform_config_selectorImLb1EEEZNS1_14transform_implILb1ES3_S5_PmPjNS0_8identityIvEEEE10hipError_tT2_T3_mT4_P12ihipStream_tbEUlT_E_NS1_11comp_targetILNS1_3genE10ELNS1_11target_archE1201ELNS1_3gpuE5ELNS1_3repE0EEENS1_30default_config_static_selectorELNS0_4arch9wavefront6targetE0EEEvT1_,@function
_ZN7rocprim17ROCPRIM_400000_NS6detail17trampoline_kernelINS0_14default_configENS1_25transform_config_selectorImLb1EEEZNS1_14transform_implILb1ES3_S5_PmPjNS0_8identityIvEEEE10hipError_tT2_T3_mT4_P12ihipStream_tbEUlT_E_NS1_11comp_targetILNS1_3genE10ELNS1_11target_archE1201ELNS1_3gpuE5ELNS1_3repE0EEENS1_30default_config_static_selectorELNS0_4arch9wavefront6targetE0EEEvT1_: ; @_ZN7rocprim17ROCPRIM_400000_NS6detail17trampoline_kernelINS0_14default_configENS1_25transform_config_selectorImLb1EEEZNS1_14transform_implILb1ES3_S5_PmPjNS0_8identityIvEEEE10hipError_tT2_T3_mT4_P12ihipStream_tbEUlT_E_NS1_11comp_targetILNS1_3genE10ELNS1_11target_archE1201ELNS1_3gpuE5ELNS1_3repE0EEENS1_30default_config_static_selectorELNS0_4arch9wavefront6targetE0EEEvT1_
; %bb.0:
	.section	.rodata,"a",@progbits
	.p2align	6, 0x0
	.amdhsa_kernel _ZN7rocprim17ROCPRIM_400000_NS6detail17trampoline_kernelINS0_14default_configENS1_25transform_config_selectorImLb1EEEZNS1_14transform_implILb1ES3_S5_PmPjNS0_8identityIvEEEE10hipError_tT2_T3_mT4_P12ihipStream_tbEUlT_E_NS1_11comp_targetILNS1_3genE10ELNS1_11target_archE1201ELNS1_3gpuE5ELNS1_3repE0EEENS1_30default_config_static_selectorELNS0_4arch9wavefront6targetE0EEEvT1_
		.amdhsa_group_segment_fixed_size 0
		.amdhsa_private_segment_fixed_size 0
		.amdhsa_kernarg_size 40
		.amdhsa_user_sgpr_count 15
		.amdhsa_user_sgpr_dispatch_ptr 0
		.amdhsa_user_sgpr_queue_ptr 0
		.amdhsa_user_sgpr_kernarg_segment_ptr 1
		.amdhsa_user_sgpr_dispatch_id 0
		.amdhsa_user_sgpr_private_segment_size 0
		.amdhsa_wavefront_size32 1
		.amdhsa_uses_dynamic_stack 0
		.amdhsa_enable_private_segment 0
		.amdhsa_system_sgpr_workgroup_id_x 1
		.amdhsa_system_sgpr_workgroup_id_y 0
		.amdhsa_system_sgpr_workgroup_id_z 0
		.amdhsa_system_sgpr_workgroup_info 0
		.amdhsa_system_vgpr_workitem_id 0
		.amdhsa_next_free_vgpr 1
		.amdhsa_next_free_sgpr 1
		.amdhsa_reserve_vcc 0
		.amdhsa_float_round_mode_32 0
		.amdhsa_float_round_mode_16_64 0
		.amdhsa_float_denorm_mode_32 3
		.amdhsa_float_denorm_mode_16_64 3
		.amdhsa_dx10_clamp 1
		.amdhsa_ieee_mode 1
		.amdhsa_fp16_overflow 0
		.amdhsa_workgroup_processor_mode 1
		.amdhsa_memory_ordered 1
		.amdhsa_forward_progress 0
		.amdhsa_shared_vgpr_count 0
		.amdhsa_exception_fp_ieee_invalid_op 0
		.amdhsa_exception_fp_denorm_src 0
		.amdhsa_exception_fp_ieee_div_zero 0
		.amdhsa_exception_fp_ieee_overflow 0
		.amdhsa_exception_fp_ieee_underflow 0
		.amdhsa_exception_fp_ieee_inexact 0
		.amdhsa_exception_int_div_zero 0
	.end_amdhsa_kernel
	.section	.text._ZN7rocprim17ROCPRIM_400000_NS6detail17trampoline_kernelINS0_14default_configENS1_25transform_config_selectorImLb1EEEZNS1_14transform_implILb1ES3_S5_PmPjNS0_8identityIvEEEE10hipError_tT2_T3_mT4_P12ihipStream_tbEUlT_E_NS1_11comp_targetILNS1_3genE10ELNS1_11target_archE1201ELNS1_3gpuE5ELNS1_3repE0EEENS1_30default_config_static_selectorELNS0_4arch9wavefront6targetE0EEEvT1_,"axG",@progbits,_ZN7rocprim17ROCPRIM_400000_NS6detail17trampoline_kernelINS0_14default_configENS1_25transform_config_selectorImLb1EEEZNS1_14transform_implILb1ES3_S5_PmPjNS0_8identityIvEEEE10hipError_tT2_T3_mT4_P12ihipStream_tbEUlT_E_NS1_11comp_targetILNS1_3genE10ELNS1_11target_archE1201ELNS1_3gpuE5ELNS1_3repE0EEENS1_30default_config_static_selectorELNS0_4arch9wavefront6targetE0EEEvT1_,comdat
.Lfunc_end13:
	.size	_ZN7rocprim17ROCPRIM_400000_NS6detail17trampoline_kernelINS0_14default_configENS1_25transform_config_selectorImLb1EEEZNS1_14transform_implILb1ES3_S5_PmPjNS0_8identityIvEEEE10hipError_tT2_T3_mT4_P12ihipStream_tbEUlT_E_NS1_11comp_targetILNS1_3genE10ELNS1_11target_archE1201ELNS1_3gpuE5ELNS1_3repE0EEENS1_30default_config_static_selectorELNS0_4arch9wavefront6targetE0EEEvT1_, .Lfunc_end13-_ZN7rocprim17ROCPRIM_400000_NS6detail17trampoline_kernelINS0_14default_configENS1_25transform_config_selectorImLb1EEEZNS1_14transform_implILb1ES3_S5_PmPjNS0_8identityIvEEEE10hipError_tT2_T3_mT4_P12ihipStream_tbEUlT_E_NS1_11comp_targetILNS1_3genE10ELNS1_11target_archE1201ELNS1_3gpuE5ELNS1_3repE0EEENS1_30default_config_static_selectorELNS0_4arch9wavefront6targetE0EEEvT1_
                                        ; -- End function
	.section	.AMDGPU.csdata,"",@progbits
; Kernel info:
; codeLenInByte = 0
; NumSgprs: 0
; NumVgprs: 0
; ScratchSize: 0
; MemoryBound: 0
; FloatMode: 240
; IeeeMode: 1
; LDSByteSize: 0 bytes/workgroup (compile time only)
; SGPRBlocks: 0
; VGPRBlocks: 0
; NumSGPRsForWavesPerEU: 1
; NumVGPRsForWavesPerEU: 1
; Occupancy: 16
; WaveLimiterHint : 0
; COMPUTE_PGM_RSRC2:SCRATCH_EN: 0
; COMPUTE_PGM_RSRC2:USER_SGPR: 15
; COMPUTE_PGM_RSRC2:TRAP_HANDLER: 0
; COMPUTE_PGM_RSRC2:TGID_X_EN: 1
; COMPUTE_PGM_RSRC2:TGID_Y_EN: 0
; COMPUTE_PGM_RSRC2:TGID_Z_EN: 0
; COMPUTE_PGM_RSRC2:TIDIG_COMP_CNT: 0
	.section	.text._ZN7rocprim17ROCPRIM_400000_NS6detail17trampoline_kernelINS0_14default_configENS1_25transform_config_selectorImLb1EEEZNS1_14transform_implILb1ES3_S5_PmPjNS0_8identityIvEEEE10hipError_tT2_T3_mT4_P12ihipStream_tbEUlT_E_NS1_11comp_targetILNS1_3genE5ELNS1_11target_archE942ELNS1_3gpuE9ELNS1_3repE0EEENS1_30default_config_static_selectorELNS0_4arch9wavefront6targetE0EEEvT1_,"axG",@progbits,_ZN7rocprim17ROCPRIM_400000_NS6detail17trampoline_kernelINS0_14default_configENS1_25transform_config_selectorImLb1EEEZNS1_14transform_implILb1ES3_S5_PmPjNS0_8identityIvEEEE10hipError_tT2_T3_mT4_P12ihipStream_tbEUlT_E_NS1_11comp_targetILNS1_3genE5ELNS1_11target_archE942ELNS1_3gpuE9ELNS1_3repE0EEENS1_30default_config_static_selectorELNS0_4arch9wavefront6targetE0EEEvT1_,comdat
	.protected	_ZN7rocprim17ROCPRIM_400000_NS6detail17trampoline_kernelINS0_14default_configENS1_25transform_config_selectorImLb1EEEZNS1_14transform_implILb1ES3_S5_PmPjNS0_8identityIvEEEE10hipError_tT2_T3_mT4_P12ihipStream_tbEUlT_E_NS1_11comp_targetILNS1_3genE5ELNS1_11target_archE942ELNS1_3gpuE9ELNS1_3repE0EEENS1_30default_config_static_selectorELNS0_4arch9wavefront6targetE0EEEvT1_ ; -- Begin function _ZN7rocprim17ROCPRIM_400000_NS6detail17trampoline_kernelINS0_14default_configENS1_25transform_config_selectorImLb1EEEZNS1_14transform_implILb1ES3_S5_PmPjNS0_8identityIvEEEE10hipError_tT2_T3_mT4_P12ihipStream_tbEUlT_E_NS1_11comp_targetILNS1_3genE5ELNS1_11target_archE942ELNS1_3gpuE9ELNS1_3repE0EEENS1_30default_config_static_selectorELNS0_4arch9wavefront6targetE0EEEvT1_
	.globl	_ZN7rocprim17ROCPRIM_400000_NS6detail17trampoline_kernelINS0_14default_configENS1_25transform_config_selectorImLb1EEEZNS1_14transform_implILb1ES3_S5_PmPjNS0_8identityIvEEEE10hipError_tT2_T3_mT4_P12ihipStream_tbEUlT_E_NS1_11comp_targetILNS1_3genE5ELNS1_11target_archE942ELNS1_3gpuE9ELNS1_3repE0EEENS1_30default_config_static_selectorELNS0_4arch9wavefront6targetE0EEEvT1_
	.p2align	8
	.type	_ZN7rocprim17ROCPRIM_400000_NS6detail17trampoline_kernelINS0_14default_configENS1_25transform_config_selectorImLb1EEEZNS1_14transform_implILb1ES3_S5_PmPjNS0_8identityIvEEEE10hipError_tT2_T3_mT4_P12ihipStream_tbEUlT_E_NS1_11comp_targetILNS1_3genE5ELNS1_11target_archE942ELNS1_3gpuE9ELNS1_3repE0EEENS1_30default_config_static_selectorELNS0_4arch9wavefront6targetE0EEEvT1_,@function
_ZN7rocprim17ROCPRIM_400000_NS6detail17trampoline_kernelINS0_14default_configENS1_25transform_config_selectorImLb1EEEZNS1_14transform_implILb1ES3_S5_PmPjNS0_8identityIvEEEE10hipError_tT2_T3_mT4_P12ihipStream_tbEUlT_E_NS1_11comp_targetILNS1_3genE5ELNS1_11target_archE942ELNS1_3gpuE9ELNS1_3repE0EEENS1_30default_config_static_selectorELNS0_4arch9wavefront6targetE0EEEvT1_: ; @_ZN7rocprim17ROCPRIM_400000_NS6detail17trampoline_kernelINS0_14default_configENS1_25transform_config_selectorImLb1EEEZNS1_14transform_implILb1ES3_S5_PmPjNS0_8identityIvEEEE10hipError_tT2_T3_mT4_P12ihipStream_tbEUlT_E_NS1_11comp_targetILNS1_3genE5ELNS1_11target_archE942ELNS1_3gpuE9ELNS1_3repE0EEENS1_30default_config_static_selectorELNS0_4arch9wavefront6targetE0EEEvT1_
; %bb.0:
	.section	.rodata,"a",@progbits
	.p2align	6, 0x0
	.amdhsa_kernel _ZN7rocprim17ROCPRIM_400000_NS6detail17trampoline_kernelINS0_14default_configENS1_25transform_config_selectorImLb1EEEZNS1_14transform_implILb1ES3_S5_PmPjNS0_8identityIvEEEE10hipError_tT2_T3_mT4_P12ihipStream_tbEUlT_E_NS1_11comp_targetILNS1_3genE5ELNS1_11target_archE942ELNS1_3gpuE9ELNS1_3repE0EEENS1_30default_config_static_selectorELNS0_4arch9wavefront6targetE0EEEvT1_
		.amdhsa_group_segment_fixed_size 0
		.amdhsa_private_segment_fixed_size 0
		.amdhsa_kernarg_size 40
		.amdhsa_user_sgpr_count 15
		.amdhsa_user_sgpr_dispatch_ptr 0
		.amdhsa_user_sgpr_queue_ptr 0
		.amdhsa_user_sgpr_kernarg_segment_ptr 1
		.amdhsa_user_sgpr_dispatch_id 0
		.amdhsa_user_sgpr_private_segment_size 0
		.amdhsa_wavefront_size32 1
		.amdhsa_uses_dynamic_stack 0
		.amdhsa_enable_private_segment 0
		.amdhsa_system_sgpr_workgroup_id_x 1
		.amdhsa_system_sgpr_workgroup_id_y 0
		.amdhsa_system_sgpr_workgroup_id_z 0
		.amdhsa_system_sgpr_workgroup_info 0
		.amdhsa_system_vgpr_workitem_id 0
		.amdhsa_next_free_vgpr 1
		.amdhsa_next_free_sgpr 1
		.amdhsa_reserve_vcc 0
		.amdhsa_float_round_mode_32 0
		.amdhsa_float_round_mode_16_64 0
		.amdhsa_float_denorm_mode_32 3
		.amdhsa_float_denorm_mode_16_64 3
		.amdhsa_dx10_clamp 1
		.amdhsa_ieee_mode 1
		.amdhsa_fp16_overflow 0
		.amdhsa_workgroup_processor_mode 1
		.amdhsa_memory_ordered 1
		.amdhsa_forward_progress 0
		.amdhsa_shared_vgpr_count 0
		.amdhsa_exception_fp_ieee_invalid_op 0
		.amdhsa_exception_fp_denorm_src 0
		.amdhsa_exception_fp_ieee_div_zero 0
		.amdhsa_exception_fp_ieee_overflow 0
		.amdhsa_exception_fp_ieee_underflow 0
		.amdhsa_exception_fp_ieee_inexact 0
		.amdhsa_exception_int_div_zero 0
	.end_amdhsa_kernel
	.section	.text._ZN7rocprim17ROCPRIM_400000_NS6detail17trampoline_kernelINS0_14default_configENS1_25transform_config_selectorImLb1EEEZNS1_14transform_implILb1ES3_S5_PmPjNS0_8identityIvEEEE10hipError_tT2_T3_mT4_P12ihipStream_tbEUlT_E_NS1_11comp_targetILNS1_3genE5ELNS1_11target_archE942ELNS1_3gpuE9ELNS1_3repE0EEENS1_30default_config_static_selectorELNS0_4arch9wavefront6targetE0EEEvT1_,"axG",@progbits,_ZN7rocprim17ROCPRIM_400000_NS6detail17trampoline_kernelINS0_14default_configENS1_25transform_config_selectorImLb1EEEZNS1_14transform_implILb1ES3_S5_PmPjNS0_8identityIvEEEE10hipError_tT2_T3_mT4_P12ihipStream_tbEUlT_E_NS1_11comp_targetILNS1_3genE5ELNS1_11target_archE942ELNS1_3gpuE9ELNS1_3repE0EEENS1_30default_config_static_selectorELNS0_4arch9wavefront6targetE0EEEvT1_,comdat
.Lfunc_end14:
	.size	_ZN7rocprim17ROCPRIM_400000_NS6detail17trampoline_kernelINS0_14default_configENS1_25transform_config_selectorImLb1EEEZNS1_14transform_implILb1ES3_S5_PmPjNS0_8identityIvEEEE10hipError_tT2_T3_mT4_P12ihipStream_tbEUlT_E_NS1_11comp_targetILNS1_3genE5ELNS1_11target_archE942ELNS1_3gpuE9ELNS1_3repE0EEENS1_30default_config_static_selectorELNS0_4arch9wavefront6targetE0EEEvT1_, .Lfunc_end14-_ZN7rocprim17ROCPRIM_400000_NS6detail17trampoline_kernelINS0_14default_configENS1_25transform_config_selectorImLb1EEEZNS1_14transform_implILb1ES3_S5_PmPjNS0_8identityIvEEEE10hipError_tT2_T3_mT4_P12ihipStream_tbEUlT_E_NS1_11comp_targetILNS1_3genE5ELNS1_11target_archE942ELNS1_3gpuE9ELNS1_3repE0EEENS1_30default_config_static_selectorELNS0_4arch9wavefront6targetE0EEEvT1_
                                        ; -- End function
	.section	.AMDGPU.csdata,"",@progbits
; Kernel info:
; codeLenInByte = 0
; NumSgprs: 0
; NumVgprs: 0
; ScratchSize: 0
; MemoryBound: 0
; FloatMode: 240
; IeeeMode: 1
; LDSByteSize: 0 bytes/workgroup (compile time only)
; SGPRBlocks: 0
; VGPRBlocks: 0
; NumSGPRsForWavesPerEU: 1
; NumVGPRsForWavesPerEU: 1
; Occupancy: 16
; WaveLimiterHint : 0
; COMPUTE_PGM_RSRC2:SCRATCH_EN: 0
; COMPUTE_PGM_RSRC2:USER_SGPR: 15
; COMPUTE_PGM_RSRC2:TRAP_HANDLER: 0
; COMPUTE_PGM_RSRC2:TGID_X_EN: 1
; COMPUTE_PGM_RSRC2:TGID_Y_EN: 0
; COMPUTE_PGM_RSRC2:TGID_Z_EN: 0
; COMPUTE_PGM_RSRC2:TIDIG_COMP_CNT: 0
	.section	.text._ZN7rocprim17ROCPRIM_400000_NS6detail17trampoline_kernelINS0_14default_configENS1_25transform_config_selectorImLb1EEEZNS1_14transform_implILb1ES3_S5_PmPjNS0_8identityIvEEEE10hipError_tT2_T3_mT4_P12ihipStream_tbEUlT_E_NS1_11comp_targetILNS1_3genE4ELNS1_11target_archE910ELNS1_3gpuE8ELNS1_3repE0EEENS1_30default_config_static_selectorELNS0_4arch9wavefront6targetE0EEEvT1_,"axG",@progbits,_ZN7rocprim17ROCPRIM_400000_NS6detail17trampoline_kernelINS0_14default_configENS1_25transform_config_selectorImLb1EEEZNS1_14transform_implILb1ES3_S5_PmPjNS0_8identityIvEEEE10hipError_tT2_T3_mT4_P12ihipStream_tbEUlT_E_NS1_11comp_targetILNS1_3genE4ELNS1_11target_archE910ELNS1_3gpuE8ELNS1_3repE0EEENS1_30default_config_static_selectorELNS0_4arch9wavefront6targetE0EEEvT1_,comdat
	.protected	_ZN7rocprim17ROCPRIM_400000_NS6detail17trampoline_kernelINS0_14default_configENS1_25transform_config_selectorImLb1EEEZNS1_14transform_implILb1ES3_S5_PmPjNS0_8identityIvEEEE10hipError_tT2_T3_mT4_P12ihipStream_tbEUlT_E_NS1_11comp_targetILNS1_3genE4ELNS1_11target_archE910ELNS1_3gpuE8ELNS1_3repE0EEENS1_30default_config_static_selectorELNS0_4arch9wavefront6targetE0EEEvT1_ ; -- Begin function _ZN7rocprim17ROCPRIM_400000_NS6detail17trampoline_kernelINS0_14default_configENS1_25transform_config_selectorImLb1EEEZNS1_14transform_implILb1ES3_S5_PmPjNS0_8identityIvEEEE10hipError_tT2_T3_mT4_P12ihipStream_tbEUlT_E_NS1_11comp_targetILNS1_3genE4ELNS1_11target_archE910ELNS1_3gpuE8ELNS1_3repE0EEENS1_30default_config_static_selectorELNS0_4arch9wavefront6targetE0EEEvT1_
	.globl	_ZN7rocprim17ROCPRIM_400000_NS6detail17trampoline_kernelINS0_14default_configENS1_25transform_config_selectorImLb1EEEZNS1_14transform_implILb1ES3_S5_PmPjNS0_8identityIvEEEE10hipError_tT2_T3_mT4_P12ihipStream_tbEUlT_E_NS1_11comp_targetILNS1_3genE4ELNS1_11target_archE910ELNS1_3gpuE8ELNS1_3repE0EEENS1_30default_config_static_selectorELNS0_4arch9wavefront6targetE0EEEvT1_
	.p2align	8
	.type	_ZN7rocprim17ROCPRIM_400000_NS6detail17trampoline_kernelINS0_14default_configENS1_25transform_config_selectorImLb1EEEZNS1_14transform_implILb1ES3_S5_PmPjNS0_8identityIvEEEE10hipError_tT2_T3_mT4_P12ihipStream_tbEUlT_E_NS1_11comp_targetILNS1_3genE4ELNS1_11target_archE910ELNS1_3gpuE8ELNS1_3repE0EEENS1_30default_config_static_selectorELNS0_4arch9wavefront6targetE0EEEvT1_,@function
_ZN7rocprim17ROCPRIM_400000_NS6detail17trampoline_kernelINS0_14default_configENS1_25transform_config_selectorImLb1EEEZNS1_14transform_implILb1ES3_S5_PmPjNS0_8identityIvEEEE10hipError_tT2_T3_mT4_P12ihipStream_tbEUlT_E_NS1_11comp_targetILNS1_3genE4ELNS1_11target_archE910ELNS1_3gpuE8ELNS1_3repE0EEENS1_30default_config_static_selectorELNS0_4arch9wavefront6targetE0EEEvT1_: ; @_ZN7rocprim17ROCPRIM_400000_NS6detail17trampoline_kernelINS0_14default_configENS1_25transform_config_selectorImLb1EEEZNS1_14transform_implILb1ES3_S5_PmPjNS0_8identityIvEEEE10hipError_tT2_T3_mT4_P12ihipStream_tbEUlT_E_NS1_11comp_targetILNS1_3genE4ELNS1_11target_archE910ELNS1_3gpuE8ELNS1_3repE0EEENS1_30default_config_static_selectorELNS0_4arch9wavefront6targetE0EEEvT1_
; %bb.0:
	.section	.rodata,"a",@progbits
	.p2align	6, 0x0
	.amdhsa_kernel _ZN7rocprim17ROCPRIM_400000_NS6detail17trampoline_kernelINS0_14default_configENS1_25transform_config_selectorImLb1EEEZNS1_14transform_implILb1ES3_S5_PmPjNS0_8identityIvEEEE10hipError_tT2_T3_mT4_P12ihipStream_tbEUlT_E_NS1_11comp_targetILNS1_3genE4ELNS1_11target_archE910ELNS1_3gpuE8ELNS1_3repE0EEENS1_30default_config_static_selectorELNS0_4arch9wavefront6targetE0EEEvT1_
		.amdhsa_group_segment_fixed_size 0
		.amdhsa_private_segment_fixed_size 0
		.amdhsa_kernarg_size 40
		.amdhsa_user_sgpr_count 15
		.amdhsa_user_sgpr_dispatch_ptr 0
		.amdhsa_user_sgpr_queue_ptr 0
		.amdhsa_user_sgpr_kernarg_segment_ptr 1
		.amdhsa_user_sgpr_dispatch_id 0
		.amdhsa_user_sgpr_private_segment_size 0
		.amdhsa_wavefront_size32 1
		.amdhsa_uses_dynamic_stack 0
		.amdhsa_enable_private_segment 0
		.amdhsa_system_sgpr_workgroup_id_x 1
		.amdhsa_system_sgpr_workgroup_id_y 0
		.amdhsa_system_sgpr_workgroup_id_z 0
		.amdhsa_system_sgpr_workgroup_info 0
		.amdhsa_system_vgpr_workitem_id 0
		.amdhsa_next_free_vgpr 1
		.amdhsa_next_free_sgpr 1
		.amdhsa_reserve_vcc 0
		.amdhsa_float_round_mode_32 0
		.amdhsa_float_round_mode_16_64 0
		.amdhsa_float_denorm_mode_32 3
		.amdhsa_float_denorm_mode_16_64 3
		.amdhsa_dx10_clamp 1
		.amdhsa_ieee_mode 1
		.amdhsa_fp16_overflow 0
		.amdhsa_workgroup_processor_mode 1
		.amdhsa_memory_ordered 1
		.amdhsa_forward_progress 0
		.amdhsa_shared_vgpr_count 0
		.amdhsa_exception_fp_ieee_invalid_op 0
		.amdhsa_exception_fp_denorm_src 0
		.amdhsa_exception_fp_ieee_div_zero 0
		.amdhsa_exception_fp_ieee_overflow 0
		.amdhsa_exception_fp_ieee_underflow 0
		.amdhsa_exception_fp_ieee_inexact 0
		.amdhsa_exception_int_div_zero 0
	.end_amdhsa_kernel
	.section	.text._ZN7rocprim17ROCPRIM_400000_NS6detail17trampoline_kernelINS0_14default_configENS1_25transform_config_selectorImLb1EEEZNS1_14transform_implILb1ES3_S5_PmPjNS0_8identityIvEEEE10hipError_tT2_T3_mT4_P12ihipStream_tbEUlT_E_NS1_11comp_targetILNS1_3genE4ELNS1_11target_archE910ELNS1_3gpuE8ELNS1_3repE0EEENS1_30default_config_static_selectorELNS0_4arch9wavefront6targetE0EEEvT1_,"axG",@progbits,_ZN7rocprim17ROCPRIM_400000_NS6detail17trampoline_kernelINS0_14default_configENS1_25transform_config_selectorImLb1EEEZNS1_14transform_implILb1ES3_S5_PmPjNS0_8identityIvEEEE10hipError_tT2_T3_mT4_P12ihipStream_tbEUlT_E_NS1_11comp_targetILNS1_3genE4ELNS1_11target_archE910ELNS1_3gpuE8ELNS1_3repE0EEENS1_30default_config_static_selectorELNS0_4arch9wavefront6targetE0EEEvT1_,comdat
.Lfunc_end15:
	.size	_ZN7rocprim17ROCPRIM_400000_NS6detail17trampoline_kernelINS0_14default_configENS1_25transform_config_selectorImLb1EEEZNS1_14transform_implILb1ES3_S5_PmPjNS0_8identityIvEEEE10hipError_tT2_T3_mT4_P12ihipStream_tbEUlT_E_NS1_11comp_targetILNS1_3genE4ELNS1_11target_archE910ELNS1_3gpuE8ELNS1_3repE0EEENS1_30default_config_static_selectorELNS0_4arch9wavefront6targetE0EEEvT1_, .Lfunc_end15-_ZN7rocprim17ROCPRIM_400000_NS6detail17trampoline_kernelINS0_14default_configENS1_25transform_config_selectorImLb1EEEZNS1_14transform_implILb1ES3_S5_PmPjNS0_8identityIvEEEE10hipError_tT2_T3_mT4_P12ihipStream_tbEUlT_E_NS1_11comp_targetILNS1_3genE4ELNS1_11target_archE910ELNS1_3gpuE8ELNS1_3repE0EEENS1_30default_config_static_selectorELNS0_4arch9wavefront6targetE0EEEvT1_
                                        ; -- End function
	.section	.AMDGPU.csdata,"",@progbits
; Kernel info:
; codeLenInByte = 0
; NumSgprs: 0
; NumVgprs: 0
; ScratchSize: 0
; MemoryBound: 0
; FloatMode: 240
; IeeeMode: 1
; LDSByteSize: 0 bytes/workgroup (compile time only)
; SGPRBlocks: 0
; VGPRBlocks: 0
; NumSGPRsForWavesPerEU: 1
; NumVGPRsForWavesPerEU: 1
; Occupancy: 16
; WaveLimiterHint : 0
; COMPUTE_PGM_RSRC2:SCRATCH_EN: 0
; COMPUTE_PGM_RSRC2:USER_SGPR: 15
; COMPUTE_PGM_RSRC2:TRAP_HANDLER: 0
; COMPUTE_PGM_RSRC2:TGID_X_EN: 1
; COMPUTE_PGM_RSRC2:TGID_Y_EN: 0
; COMPUTE_PGM_RSRC2:TGID_Z_EN: 0
; COMPUTE_PGM_RSRC2:TIDIG_COMP_CNT: 0
	.section	.text._ZN7rocprim17ROCPRIM_400000_NS6detail17trampoline_kernelINS0_14default_configENS1_25transform_config_selectorImLb1EEEZNS1_14transform_implILb1ES3_S5_PmPjNS0_8identityIvEEEE10hipError_tT2_T3_mT4_P12ihipStream_tbEUlT_E_NS1_11comp_targetILNS1_3genE3ELNS1_11target_archE908ELNS1_3gpuE7ELNS1_3repE0EEENS1_30default_config_static_selectorELNS0_4arch9wavefront6targetE0EEEvT1_,"axG",@progbits,_ZN7rocprim17ROCPRIM_400000_NS6detail17trampoline_kernelINS0_14default_configENS1_25transform_config_selectorImLb1EEEZNS1_14transform_implILb1ES3_S5_PmPjNS0_8identityIvEEEE10hipError_tT2_T3_mT4_P12ihipStream_tbEUlT_E_NS1_11comp_targetILNS1_3genE3ELNS1_11target_archE908ELNS1_3gpuE7ELNS1_3repE0EEENS1_30default_config_static_selectorELNS0_4arch9wavefront6targetE0EEEvT1_,comdat
	.protected	_ZN7rocprim17ROCPRIM_400000_NS6detail17trampoline_kernelINS0_14default_configENS1_25transform_config_selectorImLb1EEEZNS1_14transform_implILb1ES3_S5_PmPjNS0_8identityIvEEEE10hipError_tT2_T3_mT4_P12ihipStream_tbEUlT_E_NS1_11comp_targetILNS1_3genE3ELNS1_11target_archE908ELNS1_3gpuE7ELNS1_3repE0EEENS1_30default_config_static_selectorELNS0_4arch9wavefront6targetE0EEEvT1_ ; -- Begin function _ZN7rocprim17ROCPRIM_400000_NS6detail17trampoline_kernelINS0_14default_configENS1_25transform_config_selectorImLb1EEEZNS1_14transform_implILb1ES3_S5_PmPjNS0_8identityIvEEEE10hipError_tT2_T3_mT4_P12ihipStream_tbEUlT_E_NS1_11comp_targetILNS1_3genE3ELNS1_11target_archE908ELNS1_3gpuE7ELNS1_3repE0EEENS1_30default_config_static_selectorELNS0_4arch9wavefront6targetE0EEEvT1_
	.globl	_ZN7rocprim17ROCPRIM_400000_NS6detail17trampoline_kernelINS0_14default_configENS1_25transform_config_selectorImLb1EEEZNS1_14transform_implILb1ES3_S5_PmPjNS0_8identityIvEEEE10hipError_tT2_T3_mT4_P12ihipStream_tbEUlT_E_NS1_11comp_targetILNS1_3genE3ELNS1_11target_archE908ELNS1_3gpuE7ELNS1_3repE0EEENS1_30default_config_static_selectorELNS0_4arch9wavefront6targetE0EEEvT1_
	.p2align	8
	.type	_ZN7rocprim17ROCPRIM_400000_NS6detail17trampoline_kernelINS0_14default_configENS1_25transform_config_selectorImLb1EEEZNS1_14transform_implILb1ES3_S5_PmPjNS0_8identityIvEEEE10hipError_tT2_T3_mT4_P12ihipStream_tbEUlT_E_NS1_11comp_targetILNS1_3genE3ELNS1_11target_archE908ELNS1_3gpuE7ELNS1_3repE0EEENS1_30default_config_static_selectorELNS0_4arch9wavefront6targetE0EEEvT1_,@function
_ZN7rocprim17ROCPRIM_400000_NS6detail17trampoline_kernelINS0_14default_configENS1_25transform_config_selectorImLb1EEEZNS1_14transform_implILb1ES3_S5_PmPjNS0_8identityIvEEEE10hipError_tT2_T3_mT4_P12ihipStream_tbEUlT_E_NS1_11comp_targetILNS1_3genE3ELNS1_11target_archE908ELNS1_3gpuE7ELNS1_3repE0EEENS1_30default_config_static_selectorELNS0_4arch9wavefront6targetE0EEEvT1_: ; @_ZN7rocprim17ROCPRIM_400000_NS6detail17trampoline_kernelINS0_14default_configENS1_25transform_config_selectorImLb1EEEZNS1_14transform_implILb1ES3_S5_PmPjNS0_8identityIvEEEE10hipError_tT2_T3_mT4_P12ihipStream_tbEUlT_E_NS1_11comp_targetILNS1_3genE3ELNS1_11target_archE908ELNS1_3gpuE7ELNS1_3repE0EEENS1_30default_config_static_selectorELNS0_4arch9wavefront6targetE0EEEvT1_
; %bb.0:
	.section	.rodata,"a",@progbits
	.p2align	6, 0x0
	.amdhsa_kernel _ZN7rocprim17ROCPRIM_400000_NS6detail17trampoline_kernelINS0_14default_configENS1_25transform_config_selectorImLb1EEEZNS1_14transform_implILb1ES3_S5_PmPjNS0_8identityIvEEEE10hipError_tT2_T3_mT4_P12ihipStream_tbEUlT_E_NS1_11comp_targetILNS1_3genE3ELNS1_11target_archE908ELNS1_3gpuE7ELNS1_3repE0EEENS1_30default_config_static_selectorELNS0_4arch9wavefront6targetE0EEEvT1_
		.amdhsa_group_segment_fixed_size 0
		.amdhsa_private_segment_fixed_size 0
		.amdhsa_kernarg_size 40
		.amdhsa_user_sgpr_count 15
		.amdhsa_user_sgpr_dispatch_ptr 0
		.amdhsa_user_sgpr_queue_ptr 0
		.amdhsa_user_sgpr_kernarg_segment_ptr 1
		.amdhsa_user_sgpr_dispatch_id 0
		.amdhsa_user_sgpr_private_segment_size 0
		.amdhsa_wavefront_size32 1
		.amdhsa_uses_dynamic_stack 0
		.amdhsa_enable_private_segment 0
		.amdhsa_system_sgpr_workgroup_id_x 1
		.amdhsa_system_sgpr_workgroup_id_y 0
		.amdhsa_system_sgpr_workgroup_id_z 0
		.amdhsa_system_sgpr_workgroup_info 0
		.amdhsa_system_vgpr_workitem_id 0
		.amdhsa_next_free_vgpr 1
		.amdhsa_next_free_sgpr 1
		.amdhsa_reserve_vcc 0
		.amdhsa_float_round_mode_32 0
		.amdhsa_float_round_mode_16_64 0
		.amdhsa_float_denorm_mode_32 3
		.amdhsa_float_denorm_mode_16_64 3
		.amdhsa_dx10_clamp 1
		.amdhsa_ieee_mode 1
		.amdhsa_fp16_overflow 0
		.amdhsa_workgroup_processor_mode 1
		.amdhsa_memory_ordered 1
		.amdhsa_forward_progress 0
		.amdhsa_shared_vgpr_count 0
		.amdhsa_exception_fp_ieee_invalid_op 0
		.amdhsa_exception_fp_denorm_src 0
		.amdhsa_exception_fp_ieee_div_zero 0
		.amdhsa_exception_fp_ieee_overflow 0
		.amdhsa_exception_fp_ieee_underflow 0
		.amdhsa_exception_fp_ieee_inexact 0
		.amdhsa_exception_int_div_zero 0
	.end_amdhsa_kernel
	.section	.text._ZN7rocprim17ROCPRIM_400000_NS6detail17trampoline_kernelINS0_14default_configENS1_25transform_config_selectorImLb1EEEZNS1_14transform_implILb1ES3_S5_PmPjNS0_8identityIvEEEE10hipError_tT2_T3_mT4_P12ihipStream_tbEUlT_E_NS1_11comp_targetILNS1_3genE3ELNS1_11target_archE908ELNS1_3gpuE7ELNS1_3repE0EEENS1_30default_config_static_selectorELNS0_4arch9wavefront6targetE0EEEvT1_,"axG",@progbits,_ZN7rocprim17ROCPRIM_400000_NS6detail17trampoline_kernelINS0_14default_configENS1_25transform_config_selectorImLb1EEEZNS1_14transform_implILb1ES3_S5_PmPjNS0_8identityIvEEEE10hipError_tT2_T3_mT4_P12ihipStream_tbEUlT_E_NS1_11comp_targetILNS1_3genE3ELNS1_11target_archE908ELNS1_3gpuE7ELNS1_3repE0EEENS1_30default_config_static_selectorELNS0_4arch9wavefront6targetE0EEEvT1_,comdat
.Lfunc_end16:
	.size	_ZN7rocprim17ROCPRIM_400000_NS6detail17trampoline_kernelINS0_14default_configENS1_25transform_config_selectorImLb1EEEZNS1_14transform_implILb1ES3_S5_PmPjNS0_8identityIvEEEE10hipError_tT2_T3_mT4_P12ihipStream_tbEUlT_E_NS1_11comp_targetILNS1_3genE3ELNS1_11target_archE908ELNS1_3gpuE7ELNS1_3repE0EEENS1_30default_config_static_selectorELNS0_4arch9wavefront6targetE0EEEvT1_, .Lfunc_end16-_ZN7rocprim17ROCPRIM_400000_NS6detail17trampoline_kernelINS0_14default_configENS1_25transform_config_selectorImLb1EEEZNS1_14transform_implILb1ES3_S5_PmPjNS0_8identityIvEEEE10hipError_tT2_T3_mT4_P12ihipStream_tbEUlT_E_NS1_11comp_targetILNS1_3genE3ELNS1_11target_archE908ELNS1_3gpuE7ELNS1_3repE0EEENS1_30default_config_static_selectorELNS0_4arch9wavefront6targetE0EEEvT1_
                                        ; -- End function
	.section	.AMDGPU.csdata,"",@progbits
; Kernel info:
; codeLenInByte = 0
; NumSgprs: 0
; NumVgprs: 0
; ScratchSize: 0
; MemoryBound: 0
; FloatMode: 240
; IeeeMode: 1
; LDSByteSize: 0 bytes/workgroup (compile time only)
; SGPRBlocks: 0
; VGPRBlocks: 0
; NumSGPRsForWavesPerEU: 1
; NumVGPRsForWavesPerEU: 1
; Occupancy: 16
; WaveLimiterHint : 0
; COMPUTE_PGM_RSRC2:SCRATCH_EN: 0
; COMPUTE_PGM_RSRC2:USER_SGPR: 15
; COMPUTE_PGM_RSRC2:TRAP_HANDLER: 0
; COMPUTE_PGM_RSRC2:TGID_X_EN: 1
; COMPUTE_PGM_RSRC2:TGID_Y_EN: 0
; COMPUTE_PGM_RSRC2:TGID_Z_EN: 0
; COMPUTE_PGM_RSRC2:TIDIG_COMP_CNT: 0
	.section	.text._ZN7rocprim17ROCPRIM_400000_NS6detail17trampoline_kernelINS0_14default_configENS1_25transform_config_selectorImLb1EEEZNS1_14transform_implILb1ES3_S5_PmPjNS0_8identityIvEEEE10hipError_tT2_T3_mT4_P12ihipStream_tbEUlT_E_NS1_11comp_targetILNS1_3genE2ELNS1_11target_archE906ELNS1_3gpuE6ELNS1_3repE0EEENS1_30default_config_static_selectorELNS0_4arch9wavefront6targetE0EEEvT1_,"axG",@progbits,_ZN7rocprim17ROCPRIM_400000_NS6detail17trampoline_kernelINS0_14default_configENS1_25transform_config_selectorImLb1EEEZNS1_14transform_implILb1ES3_S5_PmPjNS0_8identityIvEEEE10hipError_tT2_T3_mT4_P12ihipStream_tbEUlT_E_NS1_11comp_targetILNS1_3genE2ELNS1_11target_archE906ELNS1_3gpuE6ELNS1_3repE0EEENS1_30default_config_static_selectorELNS0_4arch9wavefront6targetE0EEEvT1_,comdat
	.protected	_ZN7rocprim17ROCPRIM_400000_NS6detail17trampoline_kernelINS0_14default_configENS1_25transform_config_selectorImLb1EEEZNS1_14transform_implILb1ES3_S5_PmPjNS0_8identityIvEEEE10hipError_tT2_T3_mT4_P12ihipStream_tbEUlT_E_NS1_11comp_targetILNS1_3genE2ELNS1_11target_archE906ELNS1_3gpuE6ELNS1_3repE0EEENS1_30default_config_static_selectorELNS0_4arch9wavefront6targetE0EEEvT1_ ; -- Begin function _ZN7rocprim17ROCPRIM_400000_NS6detail17trampoline_kernelINS0_14default_configENS1_25transform_config_selectorImLb1EEEZNS1_14transform_implILb1ES3_S5_PmPjNS0_8identityIvEEEE10hipError_tT2_T3_mT4_P12ihipStream_tbEUlT_E_NS1_11comp_targetILNS1_3genE2ELNS1_11target_archE906ELNS1_3gpuE6ELNS1_3repE0EEENS1_30default_config_static_selectorELNS0_4arch9wavefront6targetE0EEEvT1_
	.globl	_ZN7rocprim17ROCPRIM_400000_NS6detail17trampoline_kernelINS0_14default_configENS1_25transform_config_selectorImLb1EEEZNS1_14transform_implILb1ES3_S5_PmPjNS0_8identityIvEEEE10hipError_tT2_T3_mT4_P12ihipStream_tbEUlT_E_NS1_11comp_targetILNS1_3genE2ELNS1_11target_archE906ELNS1_3gpuE6ELNS1_3repE0EEENS1_30default_config_static_selectorELNS0_4arch9wavefront6targetE0EEEvT1_
	.p2align	8
	.type	_ZN7rocprim17ROCPRIM_400000_NS6detail17trampoline_kernelINS0_14default_configENS1_25transform_config_selectorImLb1EEEZNS1_14transform_implILb1ES3_S5_PmPjNS0_8identityIvEEEE10hipError_tT2_T3_mT4_P12ihipStream_tbEUlT_E_NS1_11comp_targetILNS1_3genE2ELNS1_11target_archE906ELNS1_3gpuE6ELNS1_3repE0EEENS1_30default_config_static_selectorELNS0_4arch9wavefront6targetE0EEEvT1_,@function
_ZN7rocprim17ROCPRIM_400000_NS6detail17trampoline_kernelINS0_14default_configENS1_25transform_config_selectorImLb1EEEZNS1_14transform_implILb1ES3_S5_PmPjNS0_8identityIvEEEE10hipError_tT2_T3_mT4_P12ihipStream_tbEUlT_E_NS1_11comp_targetILNS1_3genE2ELNS1_11target_archE906ELNS1_3gpuE6ELNS1_3repE0EEENS1_30default_config_static_selectorELNS0_4arch9wavefront6targetE0EEEvT1_: ; @_ZN7rocprim17ROCPRIM_400000_NS6detail17trampoline_kernelINS0_14default_configENS1_25transform_config_selectorImLb1EEEZNS1_14transform_implILb1ES3_S5_PmPjNS0_8identityIvEEEE10hipError_tT2_T3_mT4_P12ihipStream_tbEUlT_E_NS1_11comp_targetILNS1_3genE2ELNS1_11target_archE906ELNS1_3gpuE6ELNS1_3repE0EEENS1_30default_config_static_selectorELNS0_4arch9wavefront6targetE0EEEvT1_
; %bb.0:
	.section	.rodata,"a",@progbits
	.p2align	6, 0x0
	.amdhsa_kernel _ZN7rocprim17ROCPRIM_400000_NS6detail17trampoline_kernelINS0_14default_configENS1_25transform_config_selectorImLb1EEEZNS1_14transform_implILb1ES3_S5_PmPjNS0_8identityIvEEEE10hipError_tT2_T3_mT4_P12ihipStream_tbEUlT_E_NS1_11comp_targetILNS1_3genE2ELNS1_11target_archE906ELNS1_3gpuE6ELNS1_3repE0EEENS1_30default_config_static_selectorELNS0_4arch9wavefront6targetE0EEEvT1_
		.amdhsa_group_segment_fixed_size 0
		.amdhsa_private_segment_fixed_size 0
		.amdhsa_kernarg_size 40
		.amdhsa_user_sgpr_count 15
		.amdhsa_user_sgpr_dispatch_ptr 0
		.amdhsa_user_sgpr_queue_ptr 0
		.amdhsa_user_sgpr_kernarg_segment_ptr 1
		.amdhsa_user_sgpr_dispatch_id 0
		.amdhsa_user_sgpr_private_segment_size 0
		.amdhsa_wavefront_size32 1
		.amdhsa_uses_dynamic_stack 0
		.amdhsa_enable_private_segment 0
		.amdhsa_system_sgpr_workgroup_id_x 1
		.amdhsa_system_sgpr_workgroup_id_y 0
		.amdhsa_system_sgpr_workgroup_id_z 0
		.amdhsa_system_sgpr_workgroup_info 0
		.amdhsa_system_vgpr_workitem_id 0
		.amdhsa_next_free_vgpr 1
		.amdhsa_next_free_sgpr 1
		.amdhsa_reserve_vcc 0
		.amdhsa_float_round_mode_32 0
		.amdhsa_float_round_mode_16_64 0
		.amdhsa_float_denorm_mode_32 3
		.amdhsa_float_denorm_mode_16_64 3
		.amdhsa_dx10_clamp 1
		.amdhsa_ieee_mode 1
		.amdhsa_fp16_overflow 0
		.amdhsa_workgroup_processor_mode 1
		.amdhsa_memory_ordered 1
		.amdhsa_forward_progress 0
		.amdhsa_shared_vgpr_count 0
		.amdhsa_exception_fp_ieee_invalid_op 0
		.amdhsa_exception_fp_denorm_src 0
		.amdhsa_exception_fp_ieee_div_zero 0
		.amdhsa_exception_fp_ieee_overflow 0
		.amdhsa_exception_fp_ieee_underflow 0
		.amdhsa_exception_fp_ieee_inexact 0
		.amdhsa_exception_int_div_zero 0
	.end_amdhsa_kernel
	.section	.text._ZN7rocprim17ROCPRIM_400000_NS6detail17trampoline_kernelINS0_14default_configENS1_25transform_config_selectorImLb1EEEZNS1_14transform_implILb1ES3_S5_PmPjNS0_8identityIvEEEE10hipError_tT2_T3_mT4_P12ihipStream_tbEUlT_E_NS1_11comp_targetILNS1_3genE2ELNS1_11target_archE906ELNS1_3gpuE6ELNS1_3repE0EEENS1_30default_config_static_selectorELNS0_4arch9wavefront6targetE0EEEvT1_,"axG",@progbits,_ZN7rocprim17ROCPRIM_400000_NS6detail17trampoline_kernelINS0_14default_configENS1_25transform_config_selectorImLb1EEEZNS1_14transform_implILb1ES3_S5_PmPjNS0_8identityIvEEEE10hipError_tT2_T3_mT4_P12ihipStream_tbEUlT_E_NS1_11comp_targetILNS1_3genE2ELNS1_11target_archE906ELNS1_3gpuE6ELNS1_3repE0EEENS1_30default_config_static_selectorELNS0_4arch9wavefront6targetE0EEEvT1_,comdat
.Lfunc_end17:
	.size	_ZN7rocprim17ROCPRIM_400000_NS6detail17trampoline_kernelINS0_14default_configENS1_25transform_config_selectorImLb1EEEZNS1_14transform_implILb1ES3_S5_PmPjNS0_8identityIvEEEE10hipError_tT2_T3_mT4_P12ihipStream_tbEUlT_E_NS1_11comp_targetILNS1_3genE2ELNS1_11target_archE906ELNS1_3gpuE6ELNS1_3repE0EEENS1_30default_config_static_selectorELNS0_4arch9wavefront6targetE0EEEvT1_, .Lfunc_end17-_ZN7rocprim17ROCPRIM_400000_NS6detail17trampoline_kernelINS0_14default_configENS1_25transform_config_selectorImLb1EEEZNS1_14transform_implILb1ES3_S5_PmPjNS0_8identityIvEEEE10hipError_tT2_T3_mT4_P12ihipStream_tbEUlT_E_NS1_11comp_targetILNS1_3genE2ELNS1_11target_archE906ELNS1_3gpuE6ELNS1_3repE0EEENS1_30default_config_static_selectorELNS0_4arch9wavefront6targetE0EEEvT1_
                                        ; -- End function
	.section	.AMDGPU.csdata,"",@progbits
; Kernel info:
; codeLenInByte = 0
; NumSgprs: 0
; NumVgprs: 0
; ScratchSize: 0
; MemoryBound: 0
; FloatMode: 240
; IeeeMode: 1
; LDSByteSize: 0 bytes/workgroup (compile time only)
; SGPRBlocks: 0
; VGPRBlocks: 0
; NumSGPRsForWavesPerEU: 1
; NumVGPRsForWavesPerEU: 1
; Occupancy: 16
; WaveLimiterHint : 0
; COMPUTE_PGM_RSRC2:SCRATCH_EN: 0
; COMPUTE_PGM_RSRC2:USER_SGPR: 15
; COMPUTE_PGM_RSRC2:TRAP_HANDLER: 0
; COMPUTE_PGM_RSRC2:TGID_X_EN: 1
; COMPUTE_PGM_RSRC2:TGID_Y_EN: 0
; COMPUTE_PGM_RSRC2:TGID_Z_EN: 0
; COMPUTE_PGM_RSRC2:TIDIG_COMP_CNT: 0
	.section	.text._ZN7rocprim17ROCPRIM_400000_NS6detail17trampoline_kernelINS0_14default_configENS1_25transform_config_selectorImLb1EEEZNS1_14transform_implILb1ES3_S5_PmPjNS0_8identityIvEEEE10hipError_tT2_T3_mT4_P12ihipStream_tbEUlT_E_NS1_11comp_targetILNS1_3genE9ELNS1_11target_archE1100ELNS1_3gpuE3ELNS1_3repE0EEENS1_30default_config_static_selectorELNS0_4arch9wavefront6targetE0EEEvT1_,"axG",@progbits,_ZN7rocprim17ROCPRIM_400000_NS6detail17trampoline_kernelINS0_14default_configENS1_25transform_config_selectorImLb1EEEZNS1_14transform_implILb1ES3_S5_PmPjNS0_8identityIvEEEE10hipError_tT2_T3_mT4_P12ihipStream_tbEUlT_E_NS1_11comp_targetILNS1_3genE9ELNS1_11target_archE1100ELNS1_3gpuE3ELNS1_3repE0EEENS1_30default_config_static_selectorELNS0_4arch9wavefront6targetE0EEEvT1_,comdat
	.protected	_ZN7rocprim17ROCPRIM_400000_NS6detail17trampoline_kernelINS0_14default_configENS1_25transform_config_selectorImLb1EEEZNS1_14transform_implILb1ES3_S5_PmPjNS0_8identityIvEEEE10hipError_tT2_T3_mT4_P12ihipStream_tbEUlT_E_NS1_11comp_targetILNS1_3genE9ELNS1_11target_archE1100ELNS1_3gpuE3ELNS1_3repE0EEENS1_30default_config_static_selectorELNS0_4arch9wavefront6targetE0EEEvT1_ ; -- Begin function _ZN7rocprim17ROCPRIM_400000_NS6detail17trampoline_kernelINS0_14default_configENS1_25transform_config_selectorImLb1EEEZNS1_14transform_implILb1ES3_S5_PmPjNS0_8identityIvEEEE10hipError_tT2_T3_mT4_P12ihipStream_tbEUlT_E_NS1_11comp_targetILNS1_3genE9ELNS1_11target_archE1100ELNS1_3gpuE3ELNS1_3repE0EEENS1_30default_config_static_selectorELNS0_4arch9wavefront6targetE0EEEvT1_
	.globl	_ZN7rocprim17ROCPRIM_400000_NS6detail17trampoline_kernelINS0_14default_configENS1_25transform_config_selectorImLb1EEEZNS1_14transform_implILb1ES3_S5_PmPjNS0_8identityIvEEEE10hipError_tT2_T3_mT4_P12ihipStream_tbEUlT_E_NS1_11comp_targetILNS1_3genE9ELNS1_11target_archE1100ELNS1_3gpuE3ELNS1_3repE0EEENS1_30default_config_static_selectorELNS0_4arch9wavefront6targetE0EEEvT1_
	.p2align	8
	.type	_ZN7rocprim17ROCPRIM_400000_NS6detail17trampoline_kernelINS0_14default_configENS1_25transform_config_selectorImLb1EEEZNS1_14transform_implILb1ES3_S5_PmPjNS0_8identityIvEEEE10hipError_tT2_T3_mT4_P12ihipStream_tbEUlT_E_NS1_11comp_targetILNS1_3genE9ELNS1_11target_archE1100ELNS1_3gpuE3ELNS1_3repE0EEENS1_30default_config_static_selectorELNS0_4arch9wavefront6targetE0EEEvT1_,@function
_ZN7rocprim17ROCPRIM_400000_NS6detail17trampoline_kernelINS0_14default_configENS1_25transform_config_selectorImLb1EEEZNS1_14transform_implILb1ES3_S5_PmPjNS0_8identityIvEEEE10hipError_tT2_T3_mT4_P12ihipStream_tbEUlT_E_NS1_11comp_targetILNS1_3genE9ELNS1_11target_archE1100ELNS1_3gpuE3ELNS1_3repE0EEENS1_30default_config_static_selectorELNS0_4arch9wavefront6targetE0EEEvT1_: ; @_ZN7rocprim17ROCPRIM_400000_NS6detail17trampoline_kernelINS0_14default_configENS1_25transform_config_selectorImLb1EEEZNS1_14transform_implILb1ES3_S5_PmPjNS0_8identityIvEEEE10hipError_tT2_T3_mT4_P12ihipStream_tbEUlT_E_NS1_11comp_targetILNS1_3genE9ELNS1_11target_archE1100ELNS1_3gpuE3ELNS1_3repE0EEENS1_30default_config_static_selectorELNS0_4arch9wavefront6targetE0EEEvT1_
; %bb.0:
	s_load_b256 s[4:11], s[0:1], 0x0
	s_waitcnt lgkmcnt(0)
	s_load_b32 s9, s[0:1], 0x28
	s_lshl_b64 s[0:1], s[6:7], 3
	s_delay_alu instid0(SALU_CYCLE_1) | instskip(SKIP_2) | instid1(SALU_CYCLE_1)
	s_add_u32 s0, s4, s0
	s_addc_u32 s12, s5, s1
	s_lshl_b64 s[2:3], s[6:7], 2
	s_add_u32 s1, s10, s2
	s_addc_u32 s6, s11, s3
	s_lshl_b32 s2, s15, 11
	s_mov_b32 s3, 0
	s_waitcnt lgkmcnt(0)
	s_add_i32 s9, s9, -1
	s_lshl_b64 s[4:5], s[2:3], 3
	s_delay_alu instid0(SALU_CYCLE_1)
	s_add_u32 s4, s0, s4
	s_addc_u32 s5, s12, s5
	s_cmp_lg_u32 s15, s9
	s_mov_b32 s0, -1
	s_cbranch_scc0 .LBB18_2
; %bb.1:
	v_lshlrev_b32_e32 v1, 4, v0
	s_lshl_b64 s[10:11], s[2:3], 2
	s_mov_b32 s0, s3
	s_add_u32 s10, s1, s10
	s_addc_u32 s11, s6, s11
	global_load_b128 v[1:4], v1, s[4:5] slc dlc
	s_waitcnt vmcnt(0)
	v_dual_mov_b32 v2, v3 :: v_dual_lshlrev_b32 v3, 3, v0
	global_store_b64 v3, v[1:2], s[10:11]
.LBB18_2:
	s_and_not1_b32 vcc_lo, exec_lo, s0
	s_cbranch_vccnz .LBB18_11
; %bb.3:
	s_sub_i32 s0, s8, s2
                                        ; implicit-def: $vgpr1_vgpr2_vgpr3_vgpr4
	s_delay_alu instid0(SALU_CYCLE_1)
	v_cmp_gt_u32_e32 vcc_lo, s0, v0
	s_and_saveexec_b32 s7, vcc_lo
	s_cbranch_execz .LBB18_5
; %bb.4:
	v_lshlrev_b32_e32 v1, 3, v0
	global_load_b64 v[1:2], v1, s[4:5]
.LBB18_5:
	s_or_b32 exec_lo, exec_lo, s7
	s_waitcnt vmcnt(0)
	v_or_b32_e32 v2, 0x400, v0
	s_delay_alu instid0(VALU_DEP_1) | instskip(NEXT) | instid1(VALU_DEP_1)
	v_cmp_gt_u32_e64 s0, s0, v2
	s_and_saveexec_b32 s7, s0
	s_cbranch_execz .LBB18_7
; %bb.6:
	v_lshlrev_b32_e32 v2, 3, v2
	global_load_b64 v[3:4], v2, s[4:5]
.LBB18_7:
	s_or_b32 exec_lo, exec_lo, s7
	v_lshlrev_b32_e32 v0, 2, v0
	s_lshl_b64 s[2:3], s[2:3], 2
	s_delay_alu instid0(SALU_CYCLE_1) | instskip(SKIP_3) | instid1(VALU_DEP_1)
	s_add_u32 s1, s1, s2
	s_addc_u32 s2, s6, s3
	s_waitcnt vmcnt(0)
	v_add_co_u32 v4, s1, s1, v0
	v_add_co_ci_u32_e64 v5, null, s2, 0, s1
	s_and_saveexec_b32 s1, vcc_lo
	s_cbranch_execz .LBB18_9
; %bb.8:
	global_store_b32 v[4:5], v1, off
.LBB18_9:
	s_or_b32 exec_lo, exec_lo, s1
	s_and_saveexec_b32 s1, s0
	s_cbranch_execz .LBB18_11
; %bb.10:
	v_add_co_u32 v0, vcc_lo, 0x1000, v4
	v_add_co_ci_u32_e32 v1, vcc_lo, 0, v5, vcc_lo
	global_store_b32 v[0:1], v3, off
.LBB18_11:
	s_nop 0
	s_sendmsg sendmsg(MSG_DEALLOC_VGPRS)
	s_endpgm
	.section	.rodata,"a",@progbits
	.p2align	6, 0x0
	.amdhsa_kernel _ZN7rocprim17ROCPRIM_400000_NS6detail17trampoline_kernelINS0_14default_configENS1_25transform_config_selectorImLb1EEEZNS1_14transform_implILb1ES3_S5_PmPjNS0_8identityIvEEEE10hipError_tT2_T3_mT4_P12ihipStream_tbEUlT_E_NS1_11comp_targetILNS1_3genE9ELNS1_11target_archE1100ELNS1_3gpuE3ELNS1_3repE0EEENS1_30default_config_static_selectorELNS0_4arch9wavefront6targetE0EEEvT1_
		.amdhsa_group_segment_fixed_size 0
		.amdhsa_private_segment_fixed_size 0
		.amdhsa_kernarg_size 296
		.amdhsa_user_sgpr_count 15
		.amdhsa_user_sgpr_dispatch_ptr 0
		.amdhsa_user_sgpr_queue_ptr 0
		.amdhsa_user_sgpr_kernarg_segment_ptr 1
		.amdhsa_user_sgpr_dispatch_id 0
		.amdhsa_user_sgpr_private_segment_size 0
		.amdhsa_wavefront_size32 1
		.amdhsa_uses_dynamic_stack 0
		.amdhsa_enable_private_segment 0
		.amdhsa_system_sgpr_workgroup_id_x 1
		.amdhsa_system_sgpr_workgroup_id_y 0
		.amdhsa_system_sgpr_workgroup_id_z 0
		.amdhsa_system_sgpr_workgroup_info 0
		.amdhsa_system_vgpr_workitem_id 0
		.amdhsa_next_free_vgpr 6
		.amdhsa_next_free_sgpr 16
		.amdhsa_reserve_vcc 1
		.amdhsa_float_round_mode_32 0
		.amdhsa_float_round_mode_16_64 0
		.amdhsa_float_denorm_mode_32 3
		.amdhsa_float_denorm_mode_16_64 3
		.amdhsa_dx10_clamp 1
		.amdhsa_ieee_mode 1
		.amdhsa_fp16_overflow 0
		.amdhsa_workgroup_processor_mode 1
		.amdhsa_memory_ordered 1
		.amdhsa_forward_progress 0
		.amdhsa_shared_vgpr_count 0
		.amdhsa_exception_fp_ieee_invalid_op 0
		.amdhsa_exception_fp_denorm_src 0
		.amdhsa_exception_fp_ieee_div_zero 0
		.amdhsa_exception_fp_ieee_overflow 0
		.amdhsa_exception_fp_ieee_underflow 0
		.amdhsa_exception_fp_ieee_inexact 0
		.amdhsa_exception_int_div_zero 0
	.end_amdhsa_kernel
	.section	.text._ZN7rocprim17ROCPRIM_400000_NS6detail17trampoline_kernelINS0_14default_configENS1_25transform_config_selectorImLb1EEEZNS1_14transform_implILb1ES3_S5_PmPjNS0_8identityIvEEEE10hipError_tT2_T3_mT4_P12ihipStream_tbEUlT_E_NS1_11comp_targetILNS1_3genE9ELNS1_11target_archE1100ELNS1_3gpuE3ELNS1_3repE0EEENS1_30default_config_static_selectorELNS0_4arch9wavefront6targetE0EEEvT1_,"axG",@progbits,_ZN7rocprim17ROCPRIM_400000_NS6detail17trampoline_kernelINS0_14default_configENS1_25transform_config_selectorImLb1EEEZNS1_14transform_implILb1ES3_S5_PmPjNS0_8identityIvEEEE10hipError_tT2_T3_mT4_P12ihipStream_tbEUlT_E_NS1_11comp_targetILNS1_3genE9ELNS1_11target_archE1100ELNS1_3gpuE3ELNS1_3repE0EEENS1_30default_config_static_selectorELNS0_4arch9wavefront6targetE0EEEvT1_,comdat
.Lfunc_end18:
	.size	_ZN7rocprim17ROCPRIM_400000_NS6detail17trampoline_kernelINS0_14default_configENS1_25transform_config_selectorImLb1EEEZNS1_14transform_implILb1ES3_S5_PmPjNS0_8identityIvEEEE10hipError_tT2_T3_mT4_P12ihipStream_tbEUlT_E_NS1_11comp_targetILNS1_3genE9ELNS1_11target_archE1100ELNS1_3gpuE3ELNS1_3repE0EEENS1_30default_config_static_selectorELNS0_4arch9wavefront6targetE0EEEvT1_, .Lfunc_end18-_ZN7rocprim17ROCPRIM_400000_NS6detail17trampoline_kernelINS0_14default_configENS1_25transform_config_selectorImLb1EEEZNS1_14transform_implILb1ES3_S5_PmPjNS0_8identityIvEEEE10hipError_tT2_T3_mT4_P12ihipStream_tbEUlT_E_NS1_11comp_targetILNS1_3genE9ELNS1_11target_archE1100ELNS1_3gpuE3ELNS1_3repE0EEENS1_30default_config_static_selectorELNS0_4arch9wavefront6targetE0EEEvT1_
                                        ; -- End function
	.section	.AMDGPU.csdata,"",@progbits
; Kernel info:
; codeLenInByte = 336
; NumSgprs: 18
; NumVgprs: 6
; ScratchSize: 0
; MemoryBound: 0
; FloatMode: 240
; IeeeMode: 1
; LDSByteSize: 0 bytes/workgroup (compile time only)
; SGPRBlocks: 2
; VGPRBlocks: 0
; NumSGPRsForWavesPerEU: 18
; NumVGPRsForWavesPerEU: 6
; Occupancy: 16
; WaveLimiterHint : 0
; COMPUTE_PGM_RSRC2:SCRATCH_EN: 0
; COMPUTE_PGM_RSRC2:USER_SGPR: 15
; COMPUTE_PGM_RSRC2:TRAP_HANDLER: 0
; COMPUTE_PGM_RSRC2:TGID_X_EN: 1
; COMPUTE_PGM_RSRC2:TGID_Y_EN: 0
; COMPUTE_PGM_RSRC2:TGID_Z_EN: 0
; COMPUTE_PGM_RSRC2:TIDIG_COMP_CNT: 0
	.section	.text._ZN7rocprim17ROCPRIM_400000_NS6detail17trampoline_kernelINS0_14default_configENS1_25transform_config_selectorImLb1EEEZNS1_14transform_implILb1ES3_S5_PmPjNS0_8identityIvEEEE10hipError_tT2_T3_mT4_P12ihipStream_tbEUlT_E_NS1_11comp_targetILNS1_3genE8ELNS1_11target_archE1030ELNS1_3gpuE2ELNS1_3repE0EEENS1_30default_config_static_selectorELNS0_4arch9wavefront6targetE0EEEvT1_,"axG",@progbits,_ZN7rocprim17ROCPRIM_400000_NS6detail17trampoline_kernelINS0_14default_configENS1_25transform_config_selectorImLb1EEEZNS1_14transform_implILb1ES3_S5_PmPjNS0_8identityIvEEEE10hipError_tT2_T3_mT4_P12ihipStream_tbEUlT_E_NS1_11comp_targetILNS1_3genE8ELNS1_11target_archE1030ELNS1_3gpuE2ELNS1_3repE0EEENS1_30default_config_static_selectorELNS0_4arch9wavefront6targetE0EEEvT1_,comdat
	.protected	_ZN7rocprim17ROCPRIM_400000_NS6detail17trampoline_kernelINS0_14default_configENS1_25transform_config_selectorImLb1EEEZNS1_14transform_implILb1ES3_S5_PmPjNS0_8identityIvEEEE10hipError_tT2_T3_mT4_P12ihipStream_tbEUlT_E_NS1_11comp_targetILNS1_3genE8ELNS1_11target_archE1030ELNS1_3gpuE2ELNS1_3repE0EEENS1_30default_config_static_selectorELNS0_4arch9wavefront6targetE0EEEvT1_ ; -- Begin function _ZN7rocprim17ROCPRIM_400000_NS6detail17trampoline_kernelINS0_14default_configENS1_25transform_config_selectorImLb1EEEZNS1_14transform_implILb1ES3_S5_PmPjNS0_8identityIvEEEE10hipError_tT2_T3_mT4_P12ihipStream_tbEUlT_E_NS1_11comp_targetILNS1_3genE8ELNS1_11target_archE1030ELNS1_3gpuE2ELNS1_3repE0EEENS1_30default_config_static_selectorELNS0_4arch9wavefront6targetE0EEEvT1_
	.globl	_ZN7rocprim17ROCPRIM_400000_NS6detail17trampoline_kernelINS0_14default_configENS1_25transform_config_selectorImLb1EEEZNS1_14transform_implILb1ES3_S5_PmPjNS0_8identityIvEEEE10hipError_tT2_T3_mT4_P12ihipStream_tbEUlT_E_NS1_11comp_targetILNS1_3genE8ELNS1_11target_archE1030ELNS1_3gpuE2ELNS1_3repE0EEENS1_30default_config_static_selectorELNS0_4arch9wavefront6targetE0EEEvT1_
	.p2align	8
	.type	_ZN7rocprim17ROCPRIM_400000_NS6detail17trampoline_kernelINS0_14default_configENS1_25transform_config_selectorImLb1EEEZNS1_14transform_implILb1ES3_S5_PmPjNS0_8identityIvEEEE10hipError_tT2_T3_mT4_P12ihipStream_tbEUlT_E_NS1_11comp_targetILNS1_3genE8ELNS1_11target_archE1030ELNS1_3gpuE2ELNS1_3repE0EEENS1_30default_config_static_selectorELNS0_4arch9wavefront6targetE0EEEvT1_,@function
_ZN7rocprim17ROCPRIM_400000_NS6detail17trampoline_kernelINS0_14default_configENS1_25transform_config_selectorImLb1EEEZNS1_14transform_implILb1ES3_S5_PmPjNS0_8identityIvEEEE10hipError_tT2_T3_mT4_P12ihipStream_tbEUlT_E_NS1_11comp_targetILNS1_3genE8ELNS1_11target_archE1030ELNS1_3gpuE2ELNS1_3repE0EEENS1_30default_config_static_selectorELNS0_4arch9wavefront6targetE0EEEvT1_: ; @_ZN7rocprim17ROCPRIM_400000_NS6detail17trampoline_kernelINS0_14default_configENS1_25transform_config_selectorImLb1EEEZNS1_14transform_implILb1ES3_S5_PmPjNS0_8identityIvEEEE10hipError_tT2_T3_mT4_P12ihipStream_tbEUlT_E_NS1_11comp_targetILNS1_3genE8ELNS1_11target_archE1030ELNS1_3gpuE2ELNS1_3repE0EEENS1_30default_config_static_selectorELNS0_4arch9wavefront6targetE0EEEvT1_
; %bb.0:
	.section	.rodata,"a",@progbits
	.p2align	6, 0x0
	.amdhsa_kernel _ZN7rocprim17ROCPRIM_400000_NS6detail17trampoline_kernelINS0_14default_configENS1_25transform_config_selectorImLb1EEEZNS1_14transform_implILb1ES3_S5_PmPjNS0_8identityIvEEEE10hipError_tT2_T3_mT4_P12ihipStream_tbEUlT_E_NS1_11comp_targetILNS1_3genE8ELNS1_11target_archE1030ELNS1_3gpuE2ELNS1_3repE0EEENS1_30default_config_static_selectorELNS0_4arch9wavefront6targetE0EEEvT1_
		.amdhsa_group_segment_fixed_size 0
		.amdhsa_private_segment_fixed_size 0
		.amdhsa_kernarg_size 40
		.amdhsa_user_sgpr_count 15
		.amdhsa_user_sgpr_dispatch_ptr 0
		.amdhsa_user_sgpr_queue_ptr 0
		.amdhsa_user_sgpr_kernarg_segment_ptr 1
		.amdhsa_user_sgpr_dispatch_id 0
		.amdhsa_user_sgpr_private_segment_size 0
		.amdhsa_wavefront_size32 1
		.amdhsa_uses_dynamic_stack 0
		.amdhsa_enable_private_segment 0
		.amdhsa_system_sgpr_workgroup_id_x 1
		.amdhsa_system_sgpr_workgroup_id_y 0
		.amdhsa_system_sgpr_workgroup_id_z 0
		.amdhsa_system_sgpr_workgroup_info 0
		.amdhsa_system_vgpr_workitem_id 0
		.amdhsa_next_free_vgpr 1
		.amdhsa_next_free_sgpr 1
		.amdhsa_reserve_vcc 0
		.amdhsa_float_round_mode_32 0
		.amdhsa_float_round_mode_16_64 0
		.amdhsa_float_denorm_mode_32 3
		.amdhsa_float_denorm_mode_16_64 3
		.amdhsa_dx10_clamp 1
		.amdhsa_ieee_mode 1
		.amdhsa_fp16_overflow 0
		.amdhsa_workgroup_processor_mode 1
		.amdhsa_memory_ordered 1
		.amdhsa_forward_progress 0
		.amdhsa_shared_vgpr_count 0
		.amdhsa_exception_fp_ieee_invalid_op 0
		.amdhsa_exception_fp_denorm_src 0
		.amdhsa_exception_fp_ieee_div_zero 0
		.amdhsa_exception_fp_ieee_overflow 0
		.amdhsa_exception_fp_ieee_underflow 0
		.amdhsa_exception_fp_ieee_inexact 0
		.amdhsa_exception_int_div_zero 0
	.end_amdhsa_kernel
	.section	.text._ZN7rocprim17ROCPRIM_400000_NS6detail17trampoline_kernelINS0_14default_configENS1_25transform_config_selectorImLb1EEEZNS1_14transform_implILb1ES3_S5_PmPjNS0_8identityIvEEEE10hipError_tT2_T3_mT4_P12ihipStream_tbEUlT_E_NS1_11comp_targetILNS1_3genE8ELNS1_11target_archE1030ELNS1_3gpuE2ELNS1_3repE0EEENS1_30default_config_static_selectorELNS0_4arch9wavefront6targetE0EEEvT1_,"axG",@progbits,_ZN7rocprim17ROCPRIM_400000_NS6detail17trampoline_kernelINS0_14default_configENS1_25transform_config_selectorImLb1EEEZNS1_14transform_implILb1ES3_S5_PmPjNS0_8identityIvEEEE10hipError_tT2_T3_mT4_P12ihipStream_tbEUlT_E_NS1_11comp_targetILNS1_3genE8ELNS1_11target_archE1030ELNS1_3gpuE2ELNS1_3repE0EEENS1_30default_config_static_selectorELNS0_4arch9wavefront6targetE0EEEvT1_,comdat
.Lfunc_end19:
	.size	_ZN7rocprim17ROCPRIM_400000_NS6detail17trampoline_kernelINS0_14default_configENS1_25transform_config_selectorImLb1EEEZNS1_14transform_implILb1ES3_S5_PmPjNS0_8identityIvEEEE10hipError_tT2_T3_mT4_P12ihipStream_tbEUlT_E_NS1_11comp_targetILNS1_3genE8ELNS1_11target_archE1030ELNS1_3gpuE2ELNS1_3repE0EEENS1_30default_config_static_selectorELNS0_4arch9wavefront6targetE0EEEvT1_, .Lfunc_end19-_ZN7rocprim17ROCPRIM_400000_NS6detail17trampoline_kernelINS0_14default_configENS1_25transform_config_selectorImLb1EEEZNS1_14transform_implILb1ES3_S5_PmPjNS0_8identityIvEEEE10hipError_tT2_T3_mT4_P12ihipStream_tbEUlT_E_NS1_11comp_targetILNS1_3genE8ELNS1_11target_archE1030ELNS1_3gpuE2ELNS1_3repE0EEENS1_30default_config_static_selectorELNS0_4arch9wavefront6targetE0EEEvT1_
                                        ; -- End function
	.section	.AMDGPU.csdata,"",@progbits
; Kernel info:
; codeLenInByte = 0
; NumSgprs: 0
; NumVgprs: 0
; ScratchSize: 0
; MemoryBound: 0
; FloatMode: 240
; IeeeMode: 1
; LDSByteSize: 0 bytes/workgroup (compile time only)
; SGPRBlocks: 0
; VGPRBlocks: 0
; NumSGPRsForWavesPerEU: 1
; NumVGPRsForWavesPerEU: 1
; Occupancy: 16
; WaveLimiterHint : 0
; COMPUTE_PGM_RSRC2:SCRATCH_EN: 0
; COMPUTE_PGM_RSRC2:USER_SGPR: 15
; COMPUTE_PGM_RSRC2:TRAP_HANDLER: 0
; COMPUTE_PGM_RSRC2:TGID_X_EN: 1
; COMPUTE_PGM_RSRC2:TGID_Y_EN: 0
; COMPUTE_PGM_RSRC2:TGID_Z_EN: 0
; COMPUTE_PGM_RSRC2:TIDIG_COMP_CNT: 0
	.section	.text._ZN7rocprim17ROCPRIM_400000_NS6detail31init_lookback_scan_state_kernelINS1_19lookback_scan_stateI15HIP_vector_typeIjLj2EELb1ELb1EEENS1_16block_id_wrapperIjLb1EEEEEvT_jT0_jPNS9_10value_typeE,"axG",@progbits,_ZN7rocprim17ROCPRIM_400000_NS6detail31init_lookback_scan_state_kernelINS1_19lookback_scan_stateI15HIP_vector_typeIjLj2EELb1ELb1EEENS1_16block_id_wrapperIjLb1EEEEEvT_jT0_jPNS9_10value_typeE,comdat
	.protected	_ZN7rocprim17ROCPRIM_400000_NS6detail31init_lookback_scan_state_kernelINS1_19lookback_scan_stateI15HIP_vector_typeIjLj2EELb1ELb1EEENS1_16block_id_wrapperIjLb1EEEEEvT_jT0_jPNS9_10value_typeE ; -- Begin function _ZN7rocprim17ROCPRIM_400000_NS6detail31init_lookback_scan_state_kernelINS1_19lookback_scan_stateI15HIP_vector_typeIjLj2EELb1ELb1EEENS1_16block_id_wrapperIjLb1EEEEEvT_jT0_jPNS9_10value_typeE
	.globl	_ZN7rocprim17ROCPRIM_400000_NS6detail31init_lookback_scan_state_kernelINS1_19lookback_scan_stateI15HIP_vector_typeIjLj2EELb1ELb1EEENS1_16block_id_wrapperIjLb1EEEEEvT_jT0_jPNS9_10value_typeE
	.p2align	8
	.type	_ZN7rocprim17ROCPRIM_400000_NS6detail31init_lookback_scan_state_kernelINS1_19lookback_scan_stateI15HIP_vector_typeIjLj2EELb1ELb1EEENS1_16block_id_wrapperIjLb1EEEEEvT_jT0_jPNS9_10value_typeE,@function
_ZN7rocprim17ROCPRIM_400000_NS6detail31init_lookback_scan_state_kernelINS1_19lookback_scan_stateI15HIP_vector_typeIjLj2EELb1ELb1EEENS1_16block_id_wrapperIjLb1EEEEEvT_jT0_jPNS9_10value_typeE: ; @_ZN7rocprim17ROCPRIM_400000_NS6detail31init_lookback_scan_state_kernelINS1_19lookback_scan_stateI15HIP_vector_typeIjLj2EELb1ELb1EEENS1_16block_id_wrapperIjLb1EEEEEvT_jT0_jPNS9_10value_typeE
; %bb.0:
	s_clause 0x3
	s_load_b32 s6, s[0:1], 0x34
	s_load_b64 s[4:5], s[0:1], 0x20
	s_load_b64 s[2:3], s[0:1], 0x0
	s_load_b32 s8, s[0:1], 0x8
	s_waitcnt lgkmcnt(0)
	s_and_b32 s6, s6, 0xffff
	s_cmp_eq_u64 s[4:5], 0
	v_mad_u64_u32 v[1:2], null, s15, s6, v[0:1]
	s_cbranch_scc1 .LBB20_10
; %bb.1:
	s_load_b32 s6, s[0:1], 0x18
	s_waitcnt lgkmcnt(0)
	s_cmp_lt_u32 s6, s8
	s_cselect_b32 s7, s6, 0
	s_delay_alu instid0(VALU_DEP_1) | instid1(SALU_CYCLE_1)
	v_cmp_eq_u32_e32 vcc_lo, s7, v1
	s_mov_b32 s7, 0
	s_and_saveexec_b32 s9, vcc_lo
	s_cbranch_execz .LBB20_9
; %bb.2:
	s_add_i32 s6, s6, 32
	s_mov_b32 s10, exec_lo
	s_lshl_b64 s[6:7], s[6:7], 4
	v_mov_b32_e32 v6, 0
	s_add_u32 s6, s2, s6
	s_addc_u32 s7, s3, s7
	s_delay_alu instid0(SALU_CYCLE_1) | instskip(SKIP_2) | instid1(VALU_DEP_1)
	v_dual_mov_b32 v2, s6 :: v_dual_mov_b32 v3, s7
	;;#ASMSTART
	global_load_dwordx4 v[2:5], v[2:3] off glc	
s_waitcnt vmcnt(0)
	;;#ASMEND
	v_and_b32_e32 v5, 0xff, v4
	v_cmpx_eq_u64_e32 0, v[5:6]
	s_cbranch_execz .LBB20_8
; %bb.3:
	v_dual_mov_b32 v8, s7 :: v_dual_mov_b32 v7, s6
	s_mov_b32 s7, 1
	s_mov_b32 s6, 0
	.p2align	6
.LBB20_4:                               ; =>This Loop Header: Depth=1
                                        ;     Child Loop BB20_5 Depth 2
	s_max_u32 s11, s7, 1
.LBB20_5:                               ;   Parent Loop BB20_4 Depth=1
                                        ; =>  This Inner Loop Header: Depth=2
	s_delay_alu instid0(SALU_CYCLE_1)
	s_add_i32 s11, s11, -1
	s_sleep 1
	s_cmp_eq_u32 s11, 0
	s_cbranch_scc0 .LBB20_5
; %bb.6:                                ;   in Loop: Header=BB20_4 Depth=1
	;;#ASMSTART
	global_load_dwordx4 v[2:5], v[7:8] off glc	
s_waitcnt vmcnt(0)
	;;#ASMEND
	v_and_b32_e32 v5, 0xff, v4
	s_cmp_lt_u32 s7, 32
	s_cselect_b32 s11, -1, 0
	s_delay_alu instid0(SALU_CYCLE_1) | instskip(NEXT) | instid1(VALU_DEP_1)
	s_cmp_lg_u32 s11, 0
	v_cmp_ne_u64_e32 vcc_lo, 0, v[5:6]
	s_addc_u32 s7, s7, 0
	s_or_b32 s6, vcc_lo, s6
	s_delay_alu instid0(SALU_CYCLE_1)
	s_and_not1_b32 exec_lo, exec_lo, s6
	s_cbranch_execnz .LBB20_4
; %bb.7:
	s_or_b32 exec_lo, exec_lo, s6
.LBB20_8:
	s_delay_alu instid0(SALU_CYCLE_1)
	s_or_b32 exec_lo, exec_lo, s10
	v_mov_b32_e32 v0, 0
	global_store_b64 v0, v[2:3], s[4:5]
.LBB20_9:
	s_or_b32 exec_lo, exec_lo, s9
.LBB20_10:
	s_delay_alu instid0(SALU_CYCLE_1) | instskip(NEXT) | instid1(VALU_DEP_1)
	s_mov_b32 s4, exec_lo
	v_cmpx_eq_u32_e32 0, v1
	s_cbranch_execz .LBB20_12
; %bb.11:
	s_load_b64 s[0:1], s[0:1], 0x10
	v_mov_b32_e32 v0, 0
	s_waitcnt lgkmcnt(0)
	global_store_b32 v0, v0, s[0:1]
.LBB20_12:
	s_or_b32 exec_lo, exec_lo, s4
	s_delay_alu instid0(SALU_CYCLE_1)
	s_mov_b32 s0, exec_lo
	v_cmpx_gt_u32_e64 s8, v1
	s_cbranch_execz .LBB20_14
; %bb.13:
	v_dual_mov_b32 v3, 0 :: v_dual_add_nc_u32 v2, 32, v1
	s_delay_alu instid0(VALU_DEP_1) | instskip(SKIP_2) | instid1(VALU_DEP_3)
	v_lshlrev_b64 v[5:6], 4, v[2:3]
	v_mov_b32_e32 v2, v3
	v_mov_b32_e32 v4, v3
	v_add_co_u32 v7, vcc_lo, s2, v5
	s_delay_alu instid0(VALU_DEP_4)
	v_add_co_ci_u32_e32 v8, vcc_lo, s3, v6, vcc_lo
	v_mov_b32_e32 v5, v3
	global_store_b128 v[7:8], v[2:5], off
.LBB20_14:
	s_or_b32 exec_lo, exec_lo, s0
	s_delay_alu instid0(SALU_CYCLE_1)
	s_mov_b32 s0, exec_lo
	v_cmpx_gt_u32_e32 32, v1
	s_cbranch_execz .LBB20_16
; %bb.15:
	v_dual_mov_b32 v2, 0 :: v_dual_mov_b32 v3, 0xff
	s_delay_alu instid0(VALU_DEP_1) | instskip(SKIP_1) | instid1(VALU_DEP_2)
	v_lshlrev_b64 v[4:5], 4, v[1:2]
	v_mov_b32_e32 v1, v2
	v_add_co_u32 v6, vcc_lo, s2, v4
	s_delay_alu instid0(VALU_DEP_3)
	v_add_co_ci_u32_e32 v7, vcc_lo, s3, v5, vcc_lo
	v_mov_b32_e32 v4, v2
	global_store_b128 v[6:7], v[1:4], off
.LBB20_16:
	s_nop 0
	s_sendmsg sendmsg(MSG_DEALLOC_VGPRS)
	s_endpgm
	.section	.rodata,"a",@progbits
	.p2align	6, 0x0
	.amdhsa_kernel _ZN7rocprim17ROCPRIM_400000_NS6detail31init_lookback_scan_state_kernelINS1_19lookback_scan_stateI15HIP_vector_typeIjLj2EELb1ELb1EEENS1_16block_id_wrapperIjLb1EEEEEvT_jT0_jPNS9_10value_typeE
		.amdhsa_group_segment_fixed_size 0
		.amdhsa_private_segment_fixed_size 0
		.amdhsa_kernarg_size 296
		.amdhsa_user_sgpr_count 15
		.amdhsa_user_sgpr_dispatch_ptr 0
		.amdhsa_user_sgpr_queue_ptr 0
		.amdhsa_user_sgpr_kernarg_segment_ptr 1
		.amdhsa_user_sgpr_dispatch_id 0
		.amdhsa_user_sgpr_private_segment_size 0
		.amdhsa_wavefront_size32 1
		.amdhsa_uses_dynamic_stack 0
		.amdhsa_enable_private_segment 0
		.amdhsa_system_sgpr_workgroup_id_x 1
		.amdhsa_system_sgpr_workgroup_id_y 0
		.amdhsa_system_sgpr_workgroup_id_z 0
		.amdhsa_system_sgpr_workgroup_info 0
		.amdhsa_system_vgpr_workitem_id 0
		.amdhsa_next_free_vgpr 9
		.amdhsa_next_free_sgpr 16
		.amdhsa_reserve_vcc 1
		.amdhsa_float_round_mode_32 0
		.amdhsa_float_round_mode_16_64 0
		.amdhsa_float_denorm_mode_32 3
		.amdhsa_float_denorm_mode_16_64 3
		.amdhsa_dx10_clamp 1
		.amdhsa_ieee_mode 1
		.amdhsa_fp16_overflow 0
		.amdhsa_workgroup_processor_mode 1
		.amdhsa_memory_ordered 1
		.amdhsa_forward_progress 0
		.amdhsa_shared_vgpr_count 0
		.amdhsa_exception_fp_ieee_invalid_op 0
		.amdhsa_exception_fp_denorm_src 0
		.amdhsa_exception_fp_ieee_div_zero 0
		.amdhsa_exception_fp_ieee_overflow 0
		.amdhsa_exception_fp_ieee_underflow 0
		.amdhsa_exception_fp_ieee_inexact 0
		.amdhsa_exception_int_div_zero 0
	.end_amdhsa_kernel
	.section	.text._ZN7rocprim17ROCPRIM_400000_NS6detail31init_lookback_scan_state_kernelINS1_19lookback_scan_stateI15HIP_vector_typeIjLj2EELb1ELb1EEENS1_16block_id_wrapperIjLb1EEEEEvT_jT0_jPNS9_10value_typeE,"axG",@progbits,_ZN7rocprim17ROCPRIM_400000_NS6detail31init_lookback_scan_state_kernelINS1_19lookback_scan_stateI15HIP_vector_typeIjLj2EELb1ELb1EEENS1_16block_id_wrapperIjLb1EEEEEvT_jT0_jPNS9_10value_typeE,comdat
.Lfunc_end20:
	.size	_ZN7rocprim17ROCPRIM_400000_NS6detail31init_lookback_scan_state_kernelINS1_19lookback_scan_stateI15HIP_vector_typeIjLj2EELb1ELb1EEENS1_16block_id_wrapperIjLb1EEEEEvT_jT0_jPNS9_10value_typeE, .Lfunc_end20-_ZN7rocprim17ROCPRIM_400000_NS6detail31init_lookback_scan_state_kernelINS1_19lookback_scan_stateI15HIP_vector_typeIjLj2EELb1ELb1EEENS1_16block_id_wrapperIjLb1EEEEEvT_jT0_jPNS9_10value_typeE
                                        ; -- End function
	.section	.AMDGPU.csdata,"",@progbits
; Kernel info:
; codeLenInByte = 560
; NumSgprs: 18
; NumVgprs: 9
; ScratchSize: 0
; MemoryBound: 0
; FloatMode: 240
; IeeeMode: 1
; LDSByteSize: 0 bytes/workgroup (compile time only)
; SGPRBlocks: 2
; VGPRBlocks: 1
; NumSGPRsForWavesPerEU: 18
; NumVGPRsForWavesPerEU: 9
; Occupancy: 16
; WaveLimiterHint : 0
; COMPUTE_PGM_RSRC2:SCRATCH_EN: 0
; COMPUTE_PGM_RSRC2:USER_SGPR: 15
; COMPUTE_PGM_RSRC2:TRAP_HANDLER: 0
; COMPUTE_PGM_RSRC2:TGID_X_EN: 1
; COMPUTE_PGM_RSRC2:TGID_Y_EN: 0
; COMPUTE_PGM_RSRC2:TGID_Z_EN: 0
; COMPUTE_PGM_RSRC2:TIDIG_COMP_CNT: 0
	.section	.text._ZN7rocprim17ROCPRIM_400000_NS6detail17trampoline_kernelINS0_13select_configILj256ELj13ELNS0_17block_load_methodE3ELS4_3ELS4_3ELNS0_20block_scan_algorithmE0ELj4294967295EEENS1_25partition_config_selectorILNS1_17partition_subalgoE4EjNS0_10empty_typeEbEEZZNS1_14partition_implILS8_4ELb0ES6_15HIP_vector_typeIjLj2EENS0_17counting_iteratorIjlEEPS9_SG_NS0_5tupleIJPjSI_NS0_16reverse_iteratorISI_EEEEENSH_IJSG_SG_SG_EEES9_SI_JZNS1_25segmented_radix_sort_implINS0_14default_configELb1EPKhPhPKlPlN2at6native12_GLOBAL__N_18offset_tEEE10hipError_tPvRmT1_PNSt15iterator_traitsIS12_E10value_typeET2_T3_PNS13_IS18_E10value_typeET4_jRbjT5_S1E_jjP12ihipStream_tbEUljE_ZNSN_ISO_Lb1ESQ_SR_ST_SU_SY_EESZ_S10_S11_S12_S16_S17_S18_S1B_S1C_jS1D_jS1E_S1E_jjS1G_bEUljE0_EEESZ_S10_S11_S18_S1C_S1E_T6_T7_T9_mT8_S1G_bDpT10_ENKUlT_T0_E_clISt17integral_constantIbLb1EES1U_EEDaS1P_S1Q_EUlS1P_E_NS1_11comp_targetILNS1_3genE0ELNS1_11target_archE4294967295ELNS1_3gpuE0ELNS1_3repE0EEENS1_30default_config_static_selectorELNS0_4arch9wavefront6targetE0EEEvS12_,"axG",@progbits,_ZN7rocprim17ROCPRIM_400000_NS6detail17trampoline_kernelINS0_13select_configILj256ELj13ELNS0_17block_load_methodE3ELS4_3ELS4_3ELNS0_20block_scan_algorithmE0ELj4294967295EEENS1_25partition_config_selectorILNS1_17partition_subalgoE4EjNS0_10empty_typeEbEEZZNS1_14partition_implILS8_4ELb0ES6_15HIP_vector_typeIjLj2EENS0_17counting_iteratorIjlEEPS9_SG_NS0_5tupleIJPjSI_NS0_16reverse_iteratorISI_EEEEENSH_IJSG_SG_SG_EEES9_SI_JZNS1_25segmented_radix_sort_implINS0_14default_configELb1EPKhPhPKlPlN2at6native12_GLOBAL__N_18offset_tEEE10hipError_tPvRmT1_PNSt15iterator_traitsIS12_E10value_typeET2_T3_PNS13_IS18_E10value_typeET4_jRbjT5_S1E_jjP12ihipStream_tbEUljE_ZNSN_ISO_Lb1ESQ_SR_ST_SU_SY_EESZ_S10_S11_S12_S16_S17_S18_S1B_S1C_jS1D_jS1E_S1E_jjS1G_bEUljE0_EEESZ_S10_S11_S18_S1C_S1E_T6_T7_T9_mT8_S1G_bDpT10_ENKUlT_T0_E_clISt17integral_constantIbLb1EES1U_EEDaS1P_S1Q_EUlS1P_E_NS1_11comp_targetILNS1_3genE0ELNS1_11target_archE4294967295ELNS1_3gpuE0ELNS1_3repE0EEENS1_30default_config_static_selectorELNS0_4arch9wavefront6targetE0EEEvS12_,comdat
	.globl	_ZN7rocprim17ROCPRIM_400000_NS6detail17trampoline_kernelINS0_13select_configILj256ELj13ELNS0_17block_load_methodE3ELS4_3ELS4_3ELNS0_20block_scan_algorithmE0ELj4294967295EEENS1_25partition_config_selectorILNS1_17partition_subalgoE4EjNS0_10empty_typeEbEEZZNS1_14partition_implILS8_4ELb0ES6_15HIP_vector_typeIjLj2EENS0_17counting_iteratorIjlEEPS9_SG_NS0_5tupleIJPjSI_NS0_16reverse_iteratorISI_EEEEENSH_IJSG_SG_SG_EEES9_SI_JZNS1_25segmented_radix_sort_implINS0_14default_configELb1EPKhPhPKlPlN2at6native12_GLOBAL__N_18offset_tEEE10hipError_tPvRmT1_PNSt15iterator_traitsIS12_E10value_typeET2_T3_PNS13_IS18_E10value_typeET4_jRbjT5_S1E_jjP12ihipStream_tbEUljE_ZNSN_ISO_Lb1ESQ_SR_ST_SU_SY_EESZ_S10_S11_S12_S16_S17_S18_S1B_S1C_jS1D_jS1E_S1E_jjS1G_bEUljE0_EEESZ_S10_S11_S18_S1C_S1E_T6_T7_T9_mT8_S1G_bDpT10_ENKUlT_T0_E_clISt17integral_constantIbLb1EES1U_EEDaS1P_S1Q_EUlS1P_E_NS1_11comp_targetILNS1_3genE0ELNS1_11target_archE4294967295ELNS1_3gpuE0ELNS1_3repE0EEENS1_30default_config_static_selectorELNS0_4arch9wavefront6targetE0EEEvS12_ ; -- Begin function _ZN7rocprim17ROCPRIM_400000_NS6detail17trampoline_kernelINS0_13select_configILj256ELj13ELNS0_17block_load_methodE3ELS4_3ELS4_3ELNS0_20block_scan_algorithmE0ELj4294967295EEENS1_25partition_config_selectorILNS1_17partition_subalgoE4EjNS0_10empty_typeEbEEZZNS1_14partition_implILS8_4ELb0ES6_15HIP_vector_typeIjLj2EENS0_17counting_iteratorIjlEEPS9_SG_NS0_5tupleIJPjSI_NS0_16reverse_iteratorISI_EEEEENSH_IJSG_SG_SG_EEES9_SI_JZNS1_25segmented_radix_sort_implINS0_14default_configELb1EPKhPhPKlPlN2at6native12_GLOBAL__N_18offset_tEEE10hipError_tPvRmT1_PNSt15iterator_traitsIS12_E10value_typeET2_T3_PNS13_IS18_E10value_typeET4_jRbjT5_S1E_jjP12ihipStream_tbEUljE_ZNSN_ISO_Lb1ESQ_SR_ST_SU_SY_EESZ_S10_S11_S12_S16_S17_S18_S1B_S1C_jS1D_jS1E_S1E_jjS1G_bEUljE0_EEESZ_S10_S11_S18_S1C_S1E_T6_T7_T9_mT8_S1G_bDpT10_ENKUlT_T0_E_clISt17integral_constantIbLb1EES1U_EEDaS1P_S1Q_EUlS1P_E_NS1_11comp_targetILNS1_3genE0ELNS1_11target_archE4294967295ELNS1_3gpuE0ELNS1_3repE0EEENS1_30default_config_static_selectorELNS0_4arch9wavefront6targetE0EEEvS12_
	.p2align	8
	.type	_ZN7rocprim17ROCPRIM_400000_NS6detail17trampoline_kernelINS0_13select_configILj256ELj13ELNS0_17block_load_methodE3ELS4_3ELS4_3ELNS0_20block_scan_algorithmE0ELj4294967295EEENS1_25partition_config_selectorILNS1_17partition_subalgoE4EjNS0_10empty_typeEbEEZZNS1_14partition_implILS8_4ELb0ES6_15HIP_vector_typeIjLj2EENS0_17counting_iteratorIjlEEPS9_SG_NS0_5tupleIJPjSI_NS0_16reverse_iteratorISI_EEEEENSH_IJSG_SG_SG_EEES9_SI_JZNS1_25segmented_radix_sort_implINS0_14default_configELb1EPKhPhPKlPlN2at6native12_GLOBAL__N_18offset_tEEE10hipError_tPvRmT1_PNSt15iterator_traitsIS12_E10value_typeET2_T3_PNS13_IS18_E10value_typeET4_jRbjT5_S1E_jjP12ihipStream_tbEUljE_ZNSN_ISO_Lb1ESQ_SR_ST_SU_SY_EESZ_S10_S11_S12_S16_S17_S18_S1B_S1C_jS1D_jS1E_S1E_jjS1G_bEUljE0_EEESZ_S10_S11_S18_S1C_S1E_T6_T7_T9_mT8_S1G_bDpT10_ENKUlT_T0_E_clISt17integral_constantIbLb1EES1U_EEDaS1P_S1Q_EUlS1P_E_NS1_11comp_targetILNS1_3genE0ELNS1_11target_archE4294967295ELNS1_3gpuE0ELNS1_3repE0EEENS1_30default_config_static_selectorELNS0_4arch9wavefront6targetE0EEEvS12_,@function
_ZN7rocprim17ROCPRIM_400000_NS6detail17trampoline_kernelINS0_13select_configILj256ELj13ELNS0_17block_load_methodE3ELS4_3ELS4_3ELNS0_20block_scan_algorithmE0ELj4294967295EEENS1_25partition_config_selectorILNS1_17partition_subalgoE4EjNS0_10empty_typeEbEEZZNS1_14partition_implILS8_4ELb0ES6_15HIP_vector_typeIjLj2EENS0_17counting_iteratorIjlEEPS9_SG_NS0_5tupleIJPjSI_NS0_16reverse_iteratorISI_EEEEENSH_IJSG_SG_SG_EEES9_SI_JZNS1_25segmented_radix_sort_implINS0_14default_configELb1EPKhPhPKlPlN2at6native12_GLOBAL__N_18offset_tEEE10hipError_tPvRmT1_PNSt15iterator_traitsIS12_E10value_typeET2_T3_PNS13_IS18_E10value_typeET4_jRbjT5_S1E_jjP12ihipStream_tbEUljE_ZNSN_ISO_Lb1ESQ_SR_ST_SU_SY_EESZ_S10_S11_S12_S16_S17_S18_S1B_S1C_jS1D_jS1E_S1E_jjS1G_bEUljE0_EEESZ_S10_S11_S18_S1C_S1E_T6_T7_T9_mT8_S1G_bDpT10_ENKUlT_T0_E_clISt17integral_constantIbLb1EES1U_EEDaS1P_S1Q_EUlS1P_E_NS1_11comp_targetILNS1_3genE0ELNS1_11target_archE4294967295ELNS1_3gpuE0ELNS1_3repE0EEENS1_30default_config_static_selectorELNS0_4arch9wavefront6targetE0EEEvS12_: ; @_ZN7rocprim17ROCPRIM_400000_NS6detail17trampoline_kernelINS0_13select_configILj256ELj13ELNS0_17block_load_methodE3ELS4_3ELS4_3ELNS0_20block_scan_algorithmE0ELj4294967295EEENS1_25partition_config_selectorILNS1_17partition_subalgoE4EjNS0_10empty_typeEbEEZZNS1_14partition_implILS8_4ELb0ES6_15HIP_vector_typeIjLj2EENS0_17counting_iteratorIjlEEPS9_SG_NS0_5tupleIJPjSI_NS0_16reverse_iteratorISI_EEEEENSH_IJSG_SG_SG_EEES9_SI_JZNS1_25segmented_radix_sort_implINS0_14default_configELb1EPKhPhPKlPlN2at6native12_GLOBAL__N_18offset_tEEE10hipError_tPvRmT1_PNSt15iterator_traitsIS12_E10value_typeET2_T3_PNS13_IS18_E10value_typeET4_jRbjT5_S1E_jjP12ihipStream_tbEUljE_ZNSN_ISO_Lb1ESQ_SR_ST_SU_SY_EESZ_S10_S11_S12_S16_S17_S18_S1B_S1C_jS1D_jS1E_S1E_jjS1G_bEUljE0_EEESZ_S10_S11_S18_S1C_S1E_T6_T7_T9_mT8_S1G_bDpT10_ENKUlT_T0_E_clISt17integral_constantIbLb1EES1U_EEDaS1P_S1Q_EUlS1P_E_NS1_11comp_targetILNS1_3genE0ELNS1_11target_archE4294967295ELNS1_3gpuE0ELNS1_3repE0EEENS1_30default_config_static_selectorELNS0_4arch9wavefront6targetE0EEEvS12_
; %bb.0:
	.section	.rodata,"a",@progbits
	.p2align	6, 0x0
	.amdhsa_kernel _ZN7rocprim17ROCPRIM_400000_NS6detail17trampoline_kernelINS0_13select_configILj256ELj13ELNS0_17block_load_methodE3ELS4_3ELS4_3ELNS0_20block_scan_algorithmE0ELj4294967295EEENS1_25partition_config_selectorILNS1_17partition_subalgoE4EjNS0_10empty_typeEbEEZZNS1_14partition_implILS8_4ELb0ES6_15HIP_vector_typeIjLj2EENS0_17counting_iteratorIjlEEPS9_SG_NS0_5tupleIJPjSI_NS0_16reverse_iteratorISI_EEEEENSH_IJSG_SG_SG_EEES9_SI_JZNS1_25segmented_radix_sort_implINS0_14default_configELb1EPKhPhPKlPlN2at6native12_GLOBAL__N_18offset_tEEE10hipError_tPvRmT1_PNSt15iterator_traitsIS12_E10value_typeET2_T3_PNS13_IS18_E10value_typeET4_jRbjT5_S1E_jjP12ihipStream_tbEUljE_ZNSN_ISO_Lb1ESQ_SR_ST_SU_SY_EESZ_S10_S11_S12_S16_S17_S18_S1B_S1C_jS1D_jS1E_S1E_jjS1G_bEUljE0_EEESZ_S10_S11_S18_S1C_S1E_T6_T7_T9_mT8_S1G_bDpT10_ENKUlT_T0_E_clISt17integral_constantIbLb1EES1U_EEDaS1P_S1Q_EUlS1P_E_NS1_11comp_targetILNS1_3genE0ELNS1_11target_archE4294967295ELNS1_3gpuE0ELNS1_3repE0EEENS1_30default_config_static_selectorELNS0_4arch9wavefront6targetE0EEEvS12_
		.amdhsa_group_segment_fixed_size 0
		.amdhsa_private_segment_fixed_size 0
		.amdhsa_kernarg_size 184
		.amdhsa_user_sgpr_count 15
		.amdhsa_user_sgpr_dispatch_ptr 0
		.amdhsa_user_sgpr_queue_ptr 0
		.amdhsa_user_sgpr_kernarg_segment_ptr 1
		.amdhsa_user_sgpr_dispatch_id 0
		.amdhsa_user_sgpr_private_segment_size 0
		.amdhsa_wavefront_size32 1
		.amdhsa_uses_dynamic_stack 0
		.amdhsa_enable_private_segment 0
		.amdhsa_system_sgpr_workgroup_id_x 1
		.amdhsa_system_sgpr_workgroup_id_y 0
		.amdhsa_system_sgpr_workgroup_id_z 0
		.amdhsa_system_sgpr_workgroup_info 0
		.amdhsa_system_vgpr_workitem_id 0
		.amdhsa_next_free_vgpr 1
		.amdhsa_next_free_sgpr 1
		.amdhsa_reserve_vcc 0
		.amdhsa_float_round_mode_32 0
		.amdhsa_float_round_mode_16_64 0
		.amdhsa_float_denorm_mode_32 3
		.amdhsa_float_denorm_mode_16_64 3
		.amdhsa_dx10_clamp 1
		.amdhsa_ieee_mode 1
		.amdhsa_fp16_overflow 0
		.amdhsa_workgroup_processor_mode 1
		.amdhsa_memory_ordered 1
		.amdhsa_forward_progress 0
		.amdhsa_shared_vgpr_count 0
		.amdhsa_exception_fp_ieee_invalid_op 0
		.amdhsa_exception_fp_denorm_src 0
		.amdhsa_exception_fp_ieee_div_zero 0
		.amdhsa_exception_fp_ieee_overflow 0
		.amdhsa_exception_fp_ieee_underflow 0
		.amdhsa_exception_fp_ieee_inexact 0
		.amdhsa_exception_int_div_zero 0
	.end_amdhsa_kernel
	.section	.text._ZN7rocprim17ROCPRIM_400000_NS6detail17trampoline_kernelINS0_13select_configILj256ELj13ELNS0_17block_load_methodE3ELS4_3ELS4_3ELNS0_20block_scan_algorithmE0ELj4294967295EEENS1_25partition_config_selectorILNS1_17partition_subalgoE4EjNS0_10empty_typeEbEEZZNS1_14partition_implILS8_4ELb0ES6_15HIP_vector_typeIjLj2EENS0_17counting_iteratorIjlEEPS9_SG_NS0_5tupleIJPjSI_NS0_16reverse_iteratorISI_EEEEENSH_IJSG_SG_SG_EEES9_SI_JZNS1_25segmented_radix_sort_implINS0_14default_configELb1EPKhPhPKlPlN2at6native12_GLOBAL__N_18offset_tEEE10hipError_tPvRmT1_PNSt15iterator_traitsIS12_E10value_typeET2_T3_PNS13_IS18_E10value_typeET4_jRbjT5_S1E_jjP12ihipStream_tbEUljE_ZNSN_ISO_Lb1ESQ_SR_ST_SU_SY_EESZ_S10_S11_S12_S16_S17_S18_S1B_S1C_jS1D_jS1E_S1E_jjS1G_bEUljE0_EEESZ_S10_S11_S18_S1C_S1E_T6_T7_T9_mT8_S1G_bDpT10_ENKUlT_T0_E_clISt17integral_constantIbLb1EES1U_EEDaS1P_S1Q_EUlS1P_E_NS1_11comp_targetILNS1_3genE0ELNS1_11target_archE4294967295ELNS1_3gpuE0ELNS1_3repE0EEENS1_30default_config_static_selectorELNS0_4arch9wavefront6targetE0EEEvS12_,"axG",@progbits,_ZN7rocprim17ROCPRIM_400000_NS6detail17trampoline_kernelINS0_13select_configILj256ELj13ELNS0_17block_load_methodE3ELS4_3ELS4_3ELNS0_20block_scan_algorithmE0ELj4294967295EEENS1_25partition_config_selectorILNS1_17partition_subalgoE4EjNS0_10empty_typeEbEEZZNS1_14partition_implILS8_4ELb0ES6_15HIP_vector_typeIjLj2EENS0_17counting_iteratorIjlEEPS9_SG_NS0_5tupleIJPjSI_NS0_16reverse_iteratorISI_EEEEENSH_IJSG_SG_SG_EEES9_SI_JZNS1_25segmented_radix_sort_implINS0_14default_configELb1EPKhPhPKlPlN2at6native12_GLOBAL__N_18offset_tEEE10hipError_tPvRmT1_PNSt15iterator_traitsIS12_E10value_typeET2_T3_PNS13_IS18_E10value_typeET4_jRbjT5_S1E_jjP12ihipStream_tbEUljE_ZNSN_ISO_Lb1ESQ_SR_ST_SU_SY_EESZ_S10_S11_S12_S16_S17_S18_S1B_S1C_jS1D_jS1E_S1E_jjS1G_bEUljE0_EEESZ_S10_S11_S18_S1C_S1E_T6_T7_T9_mT8_S1G_bDpT10_ENKUlT_T0_E_clISt17integral_constantIbLb1EES1U_EEDaS1P_S1Q_EUlS1P_E_NS1_11comp_targetILNS1_3genE0ELNS1_11target_archE4294967295ELNS1_3gpuE0ELNS1_3repE0EEENS1_30default_config_static_selectorELNS0_4arch9wavefront6targetE0EEEvS12_,comdat
.Lfunc_end21:
	.size	_ZN7rocprim17ROCPRIM_400000_NS6detail17trampoline_kernelINS0_13select_configILj256ELj13ELNS0_17block_load_methodE3ELS4_3ELS4_3ELNS0_20block_scan_algorithmE0ELj4294967295EEENS1_25partition_config_selectorILNS1_17partition_subalgoE4EjNS0_10empty_typeEbEEZZNS1_14partition_implILS8_4ELb0ES6_15HIP_vector_typeIjLj2EENS0_17counting_iteratorIjlEEPS9_SG_NS0_5tupleIJPjSI_NS0_16reverse_iteratorISI_EEEEENSH_IJSG_SG_SG_EEES9_SI_JZNS1_25segmented_radix_sort_implINS0_14default_configELb1EPKhPhPKlPlN2at6native12_GLOBAL__N_18offset_tEEE10hipError_tPvRmT1_PNSt15iterator_traitsIS12_E10value_typeET2_T3_PNS13_IS18_E10value_typeET4_jRbjT5_S1E_jjP12ihipStream_tbEUljE_ZNSN_ISO_Lb1ESQ_SR_ST_SU_SY_EESZ_S10_S11_S12_S16_S17_S18_S1B_S1C_jS1D_jS1E_S1E_jjS1G_bEUljE0_EEESZ_S10_S11_S18_S1C_S1E_T6_T7_T9_mT8_S1G_bDpT10_ENKUlT_T0_E_clISt17integral_constantIbLb1EES1U_EEDaS1P_S1Q_EUlS1P_E_NS1_11comp_targetILNS1_3genE0ELNS1_11target_archE4294967295ELNS1_3gpuE0ELNS1_3repE0EEENS1_30default_config_static_selectorELNS0_4arch9wavefront6targetE0EEEvS12_, .Lfunc_end21-_ZN7rocprim17ROCPRIM_400000_NS6detail17trampoline_kernelINS0_13select_configILj256ELj13ELNS0_17block_load_methodE3ELS4_3ELS4_3ELNS0_20block_scan_algorithmE0ELj4294967295EEENS1_25partition_config_selectorILNS1_17partition_subalgoE4EjNS0_10empty_typeEbEEZZNS1_14partition_implILS8_4ELb0ES6_15HIP_vector_typeIjLj2EENS0_17counting_iteratorIjlEEPS9_SG_NS0_5tupleIJPjSI_NS0_16reverse_iteratorISI_EEEEENSH_IJSG_SG_SG_EEES9_SI_JZNS1_25segmented_radix_sort_implINS0_14default_configELb1EPKhPhPKlPlN2at6native12_GLOBAL__N_18offset_tEEE10hipError_tPvRmT1_PNSt15iterator_traitsIS12_E10value_typeET2_T3_PNS13_IS18_E10value_typeET4_jRbjT5_S1E_jjP12ihipStream_tbEUljE_ZNSN_ISO_Lb1ESQ_SR_ST_SU_SY_EESZ_S10_S11_S12_S16_S17_S18_S1B_S1C_jS1D_jS1E_S1E_jjS1G_bEUljE0_EEESZ_S10_S11_S18_S1C_S1E_T6_T7_T9_mT8_S1G_bDpT10_ENKUlT_T0_E_clISt17integral_constantIbLb1EES1U_EEDaS1P_S1Q_EUlS1P_E_NS1_11comp_targetILNS1_3genE0ELNS1_11target_archE4294967295ELNS1_3gpuE0ELNS1_3repE0EEENS1_30default_config_static_selectorELNS0_4arch9wavefront6targetE0EEEvS12_
                                        ; -- End function
	.section	.AMDGPU.csdata,"",@progbits
; Kernel info:
; codeLenInByte = 0
; NumSgprs: 0
; NumVgprs: 0
; ScratchSize: 0
; MemoryBound: 0
; FloatMode: 240
; IeeeMode: 1
; LDSByteSize: 0 bytes/workgroup (compile time only)
; SGPRBlocks: 0
; VGPRBlocks: 0
; NumSGPRsForWavesPerEU: 1
; NumVGPRsForWavesPerEU: 1
; Occupancy: 16
; WaveLimiterHint : 0
; COMPUTE_PGM_RSRC2:SCRATCH_EN: 0
; COMPUTE_PGM_RSRC2:USER_SGPR: 15
; COMPUTE_PGM_RSRC2:TRAP_HANDLER: 0
; COMPUTE_PGM_RSRC2:TGID_X_EN: 1
; COMPUTE_PGM_RSRC2:TGID_Y_EN: 0
; COMPUTE_PGM_RSRC2:TGID_Z_EN: 0
; COMPUTE_PGM_RSRC2:TIDIG_COMP_CNT: 0
	.section	.text._ZN7rocprim17ROCPRIM_400000_NS6detail17trampoline_kernelINS0_13select_configILj256ELj13ELNS0_17block_load_methodE3ELS4_3ELS4_3ELNS0_20block_scan_algorithmE0ELj4294967295EEENS1_25partition_config_selectorILNS1_17partition_subalgoE4EjNS0_10empty_typeEbEEZZNS1_14partition_implILS8_4ELb0ES6_15HIP_vector_typeIjLj2EENS0_17counting_iteratorIjlEEPS9_SG_NS0_5tupleIJPjSI_NS0_16reverse_iteratorISI_EEEEENSH_IJSG_SG_SG_EEES9_SI_JZNS1_25segmented_radix_sort_implINS0_14default_configELb1EPKhPhPKlPlN2at6native12_GLOBAL__N_18offset_tEEE10hipError_tPvRmT1_PNSt15iterator_traitsIS12_E10value_typeET2_T3_PNS13_IS18_E10value_typeET4_jRbjT5_S1E_jjP12ihipStream_tbEUljE_ZNSN_ISO_Lb1ESQ_SR_ST_SU_SY_EESZ_S10_S11_S12_S16_S17_S18_S1B_S1C_jS1D_jS1E_S1E_jjS1G_bEUljE0_EEESZ_S10_S11_S18_S1C_S1E_T6_T7_T9_mT8_S1G_bDpT10_ENKUlT_T0_E_clISt17integral_constantIbLb1EES1U_EEDaS1P_S1Q_EUlS1P_E_NS1_11comp_targetILNS1_3genE5ELNS1_11target_archE942ELNS1_3gpuE9ELNS1_3repE0EEENS1_30default_config_static_selectorELNS0_4arch9wavefront6targetE0EEEvS12_,"axG",@progbits,_ZN7rocprim17ROCPRIM_400000_NS6detail17trampoline_kernelINS0_13select_configILj256ELj13ELNS0_17block_load_methodE3ELS4_3ELS4_3ELNS0_20block_scan_algorithmE0ELj4294967295EEENS1_25partition_config_selectorILNS1_17partition_subalgoE4EjNS0_10empty_typeEbEEZZNS1_14partition_implILS8_4ELb0ES6_15HIP_vector_typeIjLj2EENS0_17counting_iteratorIjlEEPS9_SG_NS0_5tupleIJPjSI_NS0_16reverse_iteratorISI_EEEEENSH_IJSG_SG_SG_EEES9_SI_JZNS1_25segmented_radix_sort_implINS0_14default_configELb1EPKhPhPKlPlN2at6native12_GLOBAL__N_18offset_tEEE10hipError_tPvRmT1_PNSt15iterator_traitsIS12_E10value_typeET2_T3_PNS13_IS18_E10value_typeET4_jRbjT5_S1E_jjP12ihipStream_tbEUljE_ZNSN_ISO_Lb1ESQ_SR_ST_SU_SY_EESZ_S10_S11_S12_S16_S17_S18_S1B_S1C_jS1D_jS1E_S1E_jjS1G_bEUljE0_EEESZ_S10_S11_S18_S1C_S1E_T6_T7_T9_mT8_S1G_bDpT10_ENKUlT_T0_E_clISt17integral_constantIbLb1EES1U_EEDaS1P_S1Q_EUlS1P_E_NS1_11comp_targetILNS1_3genE5ELNS1_11target_archE942ELNS1_3gpuE9ELNS1_3repE0EEENS1_30default_config_static_selectorELNS0_4arch9wavefront6targetE0EEEvS12_,comdat
	.globl	_ZN7rocprim17ROCPRIM_400000_NS6detail17trampoline_kernelINS0_13select_configILj256ELj13ELNS0_17block_load_methodE3ELS4_3ELS4_3ELNS0_20block_scan_algorithmE0ELj4294967295EEENS1_25partition_config_selectorILNS1_17partition_subalgoE4EjNS0_10empty_typeEbEEZZNS1_14partition_implILS8_4ELb0ES6_15HIP_vector_typeIjLj2EENS0_17counting_iteratorIjlEEPS9_SG_NS0_5tupleIJPjSI_NS0_16reverse_iteratorISI_EEEEENSH_IJSG_SG_SG_EEES9_SI_JZNS1_25segmented_radix_sort_implINS0_14default_configELb1EPKhPhPKlPlN2at6native12_GLOBAL__N_18offset_tEEE10hipError_tPvRmT1_PNSt15iterator_traitsIS12_E10value_typeET2_T3_PNS13_IS18_E10value_typeET4_jRbjT5_S1E_jjP12ihipStream_tbEUljE_ZNSN_ISO_Lb1ESQ_SR_ST_SU_SY_EESZ_S10_S11_S12_S16_S17_S18_S1B_S1C_jS1D_jS1E_S1E_jjS1G_bEUljE0_EEESZ_S10_S11_S18_S1C_S1E_T6_T7_T9_mT8_S1G_bDpT10_ENKUlT_T0_E_clISt17integral_constantIbLb1EES1U_EEDaS1P_S1Q_EUlS1P_E_NS1_11comp_targetILNS1_3genE5ELNS1_11target_archE942ELNS1_3gpuE9ELNS1_3repE0EEENS1_30default_config_static_selectorELNS0_4arch9wavefront6targetE0EEEvS12_ ; -- Begin function _ZN7rocprim17ROCPRIM_400000_NS6detail17trampoline_kernelINS0_13select_configILj256ELj13ELNS0_17block_load_methodE3ELS4_3ELS4_3ELNS0_20block_scan_algorithmE0ELj4294967295EEENS1_25partition_config_selectorILNS1_17partition_subalgoE4EjNS0_10empty_typeEbEEZZNS1_14partition_implILS8_4ELb0ES6_15HIP_vector_typeIjLj2EENS0_17counting_iteratorIjlEEPS9_SG_NS0_5tupleIJPjSI_NS0_16reverse_iteratorISI_EEEEENSH_IJSG_SG_SG_EEES9_SI_JZNS1_25segmented_radix_sort_implINS0_14default_configELb1EPKhPhPKlPlN2at6native12_GLOBAL__N_18offset_tEEE10hipError_tPvRmT1_PNSt15iterator_traitsIS12_E10value_typeET2_T3_PNS13_IS18_E10value_typeET4_jRbjT5_S1E_jjP12ihipStream_tbEUljE_ZNSN_ISO_Lb1ESQ_SR_ST_SU_SY_EESZ_S10_S11_S12_S16_S17_S18_S1B_S1C_jS1D_jS1E_S1E_jjS1G_bEUljE0_EEESZ_S10_S11_S18_S1C_S1E_T6_T7_T9_mT8_S1G_bDpT10_ENKUlT_T0_E_clISt17integral_constantIbLb1EES1U_EEDaS1P_S1Q_EUlS1P_E_NS1_11comp_targetILNS1_3genE5ELNS1_11target_archE942ELNS1_3gpuE9ELNS1_3repE0EEENS1_30default_config_static_selectorELNS0_4arch9wavefront6targetE0EEEvS12_
	.p2align	8
	.type	_ZN7rocprim17ROCPRIM_400000_NS6detail17trampoline_kernelINS0_13select_configILj256ELj13ELNS0_17block_load_methodE3ELS4_3ELS4_3ELNS0_20block_scan_algorithmE0ELj4294967295EEENS1_25partition_config_selectorILNS1_17partition_subalgoE4EjNS0_10empty_typeEbEEZZNS1_14partition_implILS8_4ELb0ES6_15HIP_vector_typeIjLj2EENS0_17counting_iteratorIjlEEPS9_SG_NS0_5tupleIJPjSI_NS0_16reverse_iteratorISI_EEEEENSH_IJSG_SG_SG_EEES9_SI_JZNS1_25segmented_radix_sort_implINS0_14default_configELb1EPKhPhPKlPlN2at6native12_GLOBAL__N_18offset_tEEE10hipError_tPvRmT1_PNSt15iterator_traitsIS12_E10value_typeET2_T3_PNS13_IS18_E10value_typeET4_jRbjT5_S1E_jjP12ihipStream_tbEUljE_ZNSN_ISO_Lb1ESQ_SR_ST_SU_SY_EESZ_S10_S11_S12_S16_S17_S18_S1B_S1C_jS1D_jS1E_S1E_jjS1G_bEUljE0_EEESZ_S10_S11_S18_S1C_S1E_T6_T7_T9_mT8_S1G_bDpT10_ENKUlT_T0_E_clISt17integral_constantIbLb1EES1U_EEDaS1P_S1Q_EUlS1P_E_NS1_11comp_targetILNS1_3genE5ELNS1_11target_archE942ELNS1_3gpuE9ELNS1_3repE0EEENS1_30default_config_static_selectorELNS0_4arch9wavefront6targetE0EEEvS12_,@function
_ZN7rocprim17ROCPRIM_400000_NS6detail17trampoline_kernelINS0_13select_configILj256ELj13ELNS0_17block_load_methodE3ELS4_3ELS4_3ELNS0_20block_scan_algorithmE0ELj4294967295EEENS1_25partition_config_selectorILNS1_17partition_subalgoE4EjNS0_10empty_typeEbEEZZNS1_14partition_implILS8_4ELb0ES6_15HIP_vector_typeIjLj2EENS0_17counting_iteratorIjlEEPS9_SG_NS0_5tupleIJPjSI_NS0_16reverse_iteratorISI_EEEEENSH_IJSG_SG_SG_EEES9_SI_JZNS1_25segmented_radix_sort_implINS0_14default_configELb1EPKhPhPKlPlN2at6native12_GLOBAL__N_18offset_tEEE10hipError_tPvRmT1_PNSt15iterator_traitsIS12_E10value_typeET2_T3_PNS13_IS18_E10value_typeET4_jRbjT5_S1E_jjP12ihipStream_tbEUljE_ZNSN_ISO_Lb1ESQ_SR_ST_SU_SY_EESZ_S10_S11_S12_S16_S17_S18_S1B_S1C_jS1D_jS1E_S1E_jjS1G_bEUljE0_EEESZ_S10_S11_S18_S1C_S1E_T6_T7_T9_mT8_S1G_bDpT10_ENKUlT_T0_E_clISt17integral_constantIbLb1EES1U_EEDaS1P_S1Q_EUlS1P_E_NS1_11comp_targetILNS1_3genE5ELNS1_11target_archE942ELNS1_3gpuE9ELNS1_3repE0EEENS1_30default_config_static_selectorELNS0_4arch9wavefront6targetE0EEEvS12_: ; @_ZN7rocprim17ROCPRIM_400000_NS6detail17trampoline_kernelINS0_13select_configILj256ELj13ELNS0_17block_load_methodE3ELS4_3ELS4_3ELNS0_20block_scan_algorithmE0ELj4294967295EEENS1_25partition_config_selectorILNS1_17partition_subalgoE4EjNS0_10empty_typeEbEEZZNS1_14partition_implILS8_4ELb0ES6_15HIP_vector_typeIjLj2EENS0_17counting_iteratorIjlEEPS9_SG_NS0_5tupleIJPjSI_NS0_16reverse_iteratorISI_EEEEENSH_IJSG_SG_SG_EEES9_SI_JZNS1_25segmented_radix_sort_implINS0_14default_configELb1EPKhPhPKlPlN2at6native12_GLOBAL__N_18offset_tEEE10hipError_tPvRmT1_PNSt15iterator_traitsIS12_E10value_typeET2_T3_PNS13_IS18_E10value_typeET4_jRbjT5_S1E_jjP12ihipStream_tbEUljE_ZNSN_ISO_Lb1ESQ_SR_ST_SU_SY_EESZ_S10_S11_S12_S16_S17_S18_S1B_S1C_jS1D_jS1E_S1E_jjS1G_bEUljE0_EEESZ_S10_S11_S18_S1C_S1E_T6_T7_T9_mT8_S1G_bDpT10_ENKUlT_T0_E_clISt17integral_constantIbLb1EES1U_EEDaS1P_S1Q_EUlS1P_E_NS1_11comp_targetILNS1_3genE5ELNS1_11target_archE942ELNS1_3gpuE9ELNS1_3repE0EEENS1_30default_config_static_selectorELNS0_4arch9wavefront6targetE0EEEvS12_
; %bb.0:
	.section	.rodata,"a",@progbits
	.p2align	6, 0x0
	.amdhsa_kernel _ZN7rocprim17ROCPRIM_400000_NS6detail17trampoline_kernelINS0_13select_configILj256ELj13ELNS0_17block_load_methodE3ELS4_3ELS4_3ELNS0_20block_scan_algorithmE0ELj4294967295EEENS1_25partition_config_selectorILNS1_17partition_subalgoE4EjNS0_10empty_typeEbEEZZNS1_14partition_implILS8_4ELb0ES6_15HIP_vector_typeIjLj2EENS0_17counting_iteratorIjlEEPS9_SG_NS0_5tupleIJPjSI_NS0_16reverse_iteratorISI_EEEEENSH_IJSG_SG_SG_EEES9_SI_JZNS1_25segmented_radix_sort_implINS0_14default_configELb1EPKhPhPKlPlN2at6native12_GLOBAL__N_18offset_tEEE10hipError_tPvRmT1_PNSt15iterator_traitsIS12_E10value_typeET2_T3_PNS13_IS18_E10value_typeET4_jRbjT5_S1E_jjP12ihipStream_tbEUljE_ZNSN_ISO_Lb1ESQ_SR_ST_SU_SY_EESZ_S10_S11_S12_S16_S17_S18_S1B_S1C_jS1D_jS1E_S1E_jjS1G_bEUljE0_EEESZ_S10_S11_S18_S1C_S1E_T6_T7_T9_mT8_S1G_bDpT10_ENKUlT_T0_E_clISt17integral_constantIbLb1EES1U_EEDaS1P_S1Q_EUlS1P_E_NS1_11comp_targetILNS1_3genE5ELNS1_11target_archE942ELNS1_3gpuE9ELNS1_3repE0EEENS1_30default_config_static_selectorELNS0_4arch9wavefront6targetE0EEEvS12_
		.amdhsa_group_segment_fixed_size 0
		.amdhsa_private_segment_fixed_size 0
		.amdhsa_kernarg_size 184
		.amdhsa_user_sgpr_count 15
		.amdhsa_user_sgpr_dispatch_ptr 0
		.amdhsa_user_sgpr_queue_ptr 0
		.amdhsa_user_sgpr_kernarg_segment_ptr 1
		.amdhsa_user_sgpr_dispatch_id 0
		.amdhsa_user_sgpr_private_segment_size 0
		.amdhsa_wavefront_size32 1
		.amdhsa_uses_dynamic_stack 0
		.amdhsa_enable_private_segment 0
		.amdhsa_system_sgpr_workgroup_id_x 1
		.amdhsa_system_sgpr_workgroup_id_y 0
		.amdhsa_system_sgpr_workgroup_id_z 0
		.amdhsa_system_sgpr_workgroup_info 0
		.amdhsa_system_vgpr_workitem_id 0
		.amdhsa_next_free_vgpr 1
		.amdhsa_next_free_sgpr 1
		.amdhsa_reserve_vcc 0
		.amdhsa_float_round_mode_32 0
		.amdhsa_float_round_mode_16_64 0
		.amdhsa_float_denorm_mode_32 3
		.amdhsa_float_denorm_mode_16_64 3
		.amdhsa_dx10_clamp 1
		.amdhsa_ieee_mode 1
		.amdhsa_fp16_overflow 0
		.amdhsa_workgroup_processor_mode 1
		.amdhsa_memory_ordered 1
		.amdhsa_forward_progress 0
		.amdhsa_shared_vgpr_count 0
		.amdhsa_exception_fp_ieee_invalid_op 0
		.amdhsa_exception_fp_denorm_src 0
		.amdhsa_exception_fp_ieee_div_zero 0
		.amdhsa_exception_fp_ieee_overflow 0
		.amdhsa_exception_fp_ieee_underflow 0
		.amdhsa_exception_fp_ieee_inexact 0
		.amdhsa_exception_int_div_zero 0
	.end_amdhsa_kernel
	.section	.text._ZN7rocprim17ROCPRIM_400000_NS6detail17trampoline_kernelINS0_13select_configILj256ELj13ELNS0_17block_load_methodE3ELS4_3ELS4_3ELNS0_20block_scan_algorithmE0ELj4294967295EEENS1_25partition_config_selectorILNS1_17partition_subalgoE4EjNS0_10empty_typeEbEEZZNS1_14partition_implILS8_4ELb0ES6_15HIP_vector_typeIjLj2EENS0_17counting_iteratorIjlEEPS9_SG_NS0_5tupleIJPjSI_NS0_16reverse_iteratorISI_EEEEENSH_IJSG_SG_SG_EEES9_SI_JZNS1_25segmented_radix_sort_implINS0_14default_configELb1EPKhPhPKlPlN2at6native12_GLOBAL__N_18offset_tEEE10hipError_tPvRmT1_PNSt15iterator_traitsIS12_E10value_typeET2_T3_PNS13_IS18_E10value_typeET4_jRbjT5_S1E_jjP12ihipStream_tbEUljE_ZNSN_ISO_Lb1ESQ_SR_ST_SU_SY_EESZ_S10_S11_S12_S16_S17_S18_S1B_S1C_jS1D_jS1E_S1E_jjS1G_bEUljE0_EEESZ_S10_S11_S18_S1C_S1E_T6_T7_T9_mT8_S1G_bDpT10_ENKUlT_T0_E_clISt17integral_constantIbLb1EES1U_EEDaS1P_S1Q_EUlS1P_E_NS1_11comp_targetILNS1_3genE5ELNS1_11target_archE942ELNS1_3gpuE9ELNS1_3repE0EEENS1_30default_config_static_selectorELNS0_4arch9wavefront6targetE0EEEvS12_,"axG",@progbits,_ZN7rocprim17ROCPRIM_400000_NS6detail17trampoline_kernelINS0_13select_configILj256ELj13ELNS0_17block_load_methodE3ELS4_3ELS4_3ELNS0_20block_scan_algorithmE0ELj4294967295EEENS1_25partition_config_selectorILNS1_17partition_subalgoE4EjNS0_10empty_typeEbEEZZNS1_14partition_implILS8_4ELb0ES6_15HIP_vector_typeIjLj2EENS0_17counting_iteratorIjlEEPS9_SG_NS0_5tupleIJPjSI_NS0_16reverse_iteratorISI_EEEEENSH_IJSG_SG_SG_EEES9_SI_JZNS1_25segmented_radix_sort_implINS0_14default_configELb1EPKhPhPKlPlN2at6native12_GLOBAL__N_18offset_tEEE10hipError_tPvRmT1_PNSt15iterator_traitsIS12_E10value_typeET2_T3_PNS13_IS18_E10value_typeET4_jRbjT5_S1E_jjP12ihipStream_tbEUljE_ZNSN_ISO_Lb1ESQ_SR_ST_SU_SY_EESZ_S10_S11_S12_S16_S17_S18_S1B_S1C_jS1D_jS1E_S1E_jjS1G_bEUljE0_EEESZ_S10_S11_S18_S1C_S1E_T6_T7_T9_mT8_S1G_bDpT10_ENKUlT_T0_E_clISt17integral_constantIbLb1EES1U_EEDaS1P_S1Q_EUlS1P_E_NS1_11comp_targetILNS1_3genE5ELNS1_11target_archE942ELNS1_3gpuE9ELNS1_3repE0EEENS1_30default_config_static_selectorELNS0_4arch9wavefront6targetE0EEEvS12_,comdat
.Lfunc_end22:
	.size	_ZN7rocprim17ROCPRIM_400000_NS6detail17trampoline_kernelINS0_13select_configILj256ELj13ELNS0_17block_load_methodE3ELS4_3ELS4_3ELNS0_20block_scan_algorithmE0ELj4294967295EEENS1_25partition_config_selectorILNS1_17partition_subalgoE4EjNS0_10empty_typeEbEEZZNS1_14partition_implILS8_4ELb0ES6_15HIP_vector_typeIjLj2EENS0_17counting_iteratorIjlEEPS9_SG_NS0_5tupleIJPjSI_NS0_16reverse_iteratorISI_EEEEENSH_IJSG_SG_SG_EEES9_SI_JZNS1_25segmented_radix_sort_implINS0_14default_configELb1EPKhPhPKlPlN2at6native12_GLOBAL__N_18offset_tEEE10hipError_tPvRmT1_PNSt15iterator_traitsIS12_E10value_typeET2_T3_PNS13_IS18_E10value_typeET4_jRbjT5_S1E_jjP12ihipStream_tbEUljE_ZNSN_ISO_Lb1ESQ_SR_ST_SU_SY_EESZ_S10_S11_S12_S16_S17_S18_S1B_S1C_jS1D_jS1E_S1E_jjS1G_bEUljE0_EEESZ_S10_S11_S18_S1C_S1E_T6_T7_T9_mT8_S1G_bDpT10_ENKUlT_T0_E_clISt17integral_constantIbLb1EES1U_EEDaS1P_S1Q_EUlS1P_E_NS1_11comp_targetILNS1_3genE5ELNS1_11target_archE942ELNS1_3gpuE9ELNS1_3repE0EEENS1_30default_config_static_selectorELNS0_4arch9wavefront6targetE0EEEvS12_, .Lfunc_end22-_ZN7rocprim17ROCPRIM_400000_NS6detail17trampoline_kernelINS0_13select_configILj256ELj13ELNS0_17block_load_methodE3ELS4_3ELS4_3ELNS0_20block_scan_algorithmE0ELj4294967295EEENS1_25partition_config_selectorILNS1_17partition_subalgoE4EjNS0_10empty_typeEbEEZZNS1_14partition_implILS8_4ELb0ES6_15HIP_vector_typeIjLj2EENS0_17counting_iteratorIjlEEPS9_SG_NS0_5tupleIJPjSI_NS0_16reverse_iteratorISI_EEEEENSH_IJSG_SG_SG_EEES9_SI_JZNS1_25segmented_radix_sort_implINS0_14default_configELb1EPKhPhPKlPlN2at6native12_GLOBAL__N_18offset_tEEE10hipError_tPvRmT1_PNSt15iterator_traitsIS12_E10value_typeET2_T3_PNS13_IS18_E10value_typeET4_jRbjT5_S1E_jjP12ihipStream_tbEUljE_ZNSN_ISO_Lb1ESQ_SR_ST_SU_SY_EESZ_S10_S11_S12_S16_S17_S18_S1B_S1C_jS1D_jS1E_S1E_jjS1G_bEUljE0_EEESZ_S10_S11_S18_S1C_S1E_T6_T7_T9_mT8_S1G_bDpT10_ENKUlT_T0_E_clISt17integral_constantIbLb1EES1U_EEDaS1P_S1Q_EUlS1P_E_NS1_11comp_targetILNS1_3genE5ELNS1_11target_archE942ELNS1_3gpuE9ELNS1_3repE0EEENS1_30default_config_static_selectorELNS0_4arch9wavefront6targetE0EEEvS12_
                                        ; -- End function
	.section	.AMDGPU.csdata,"",@progbits
; Kernel info:
; codeLenInByte = 0
; NumSgprs: 0
; NumVgprs: 0
; ScratchSize: 0
; MemoryBound: 0
; FloatMode: 240
; IeeeMode: 1
; LDSByteSize: 0 bytes/workgroup (compile time only)
; SGPRBlocks: 0
; VGPRBlocks: 0
; NumSGPRsForWavesPerEU: 1
; NumVGPRsForWavesPerEU: 1
; Occupancy: 16
; WaveLimiterHint : 0
; COMPUTE_PGM_RSRC2:SCRATCH_EN: 0
; COMPUTE_PGM_RSRC2:USER_SGPR: 15
; COMPUTE_PGM_RSRC2:TRAP_HANDLER: 0
; COMPUTE_PGM_RSRC2:TGID_X_EN: 1
; COMPUTE_PGM_RSRC2:TGID_Y_EN: 0
; COMPUTE_PGM_RSRC2:TGID_Z_EN: 0
; COMPUTE_PGM_RSRC2:TIDIG_COMP_CNT: 0
	.section	.text._ZN7rocprim17ROCPRIM_400000_NS6detail17trampoline_kernelINS0_13select_configILj256ELj13ELNS0_17block_load_methodE3ELS4_3ELS4_3ELNS0_20block_scan_algorithmE0ELj4294967295EEENS1_25partition_config_selectorILNS1_17partition_subalgoE4EjNS0_10empty_typeEbEEZZNS1_14partition_implILS8_4ELb0ES6_15HIP_vector_typeIjLj2EENS0_17counting_iteratorIjlEEPS9_SG_NS0_5tupleIJPjSI_NS0_16reverse_iteratorISI_EEEEENSH_IJSG_SG_SG_EEES9_SI_JZNS1_25segmented_radix_sort_implINS0_14default_configELb1EPKhPhPKlPlN2at6native12_GLOBAL__N_18offset_tEEE10hipError_tPvRmT1_PNSt15iterator_traitsIS12_E10value_typeET2_T3_PNS13_IS18_E10value_typeET4_jRbjT5_S1E_jjP12ihipStream_tbEUljE_ZNSN_ISO_Lb1ESQ_SR_ST_SU_SY_EESZ_S10_S11_S12_S16_S17_S18_S1B_S1C_jS1D_jS1E_S1E_jjS1G_bEUljE0_EEESZ_S10_S11_S18_S1C_S1E_T6_T7_T9_mT8_S1G_bDpT10_ENKUlT_T0_E_clISt17integral_constantIbLb1EES1U_EEDaS1P_S1Q_EUlS1P_E_NS1_11comp_targetILNS1_3genE4ELNS1_11target_archE910ELNS1_3gpuE8ELNS1_3repE0EEENS1_30default_config_static_selectorELNS0_4arch9wavefront6targetE0EEEvS12_,"axG",@progbits,_ZN7rocprim17ROCPRIM_400000_NS6detail17trampoline_kernelINS0_13select_configILj256ELj13ELNS0_17block_load_methodE3ELS4_3ELS4_3ELNS0_20block_scan_algorithmE0ELj4294967295EEENS1_25partition_config_selectorILNS1_17partition_subalgoE4EjNS0_10empty_typeEbEEZZNS1_14partition_implILS8_4ELb0ES6_15HIP_vector_typeIjLj2EENS0_17counting_iteratorIjlEEPS9_SG_NS0_5tupleIJPjSI_NS0_16reverse_iteratorISI_EEEEENSH_IJSG_SG_SG_EEES9_SI_JZNS1_25segmented_radix_sort_implINS0_14default_configELb1EPKhPhPKlPlN2at6native12_GLOBAL__N_18offset_tEEE10hipError_tPvRmT1_PNSt15iterator_traitsIS12_E10value_typeET2_T3_PNS13_IS18_E10value_typeET4_jRbjT5_S1E_jjP12ihipStream_tbEUljE_ZNSN_ISO_Lb1ESQ_SR_ST_SU_SY_EESZ_S10_S11_S12_S16_S17_S18_S1B_S1C_jS1D_jS1E_S1E_jjS1G_bEUljE0_EEESZ_S10_S11_S18_S1C_S1E_T6_T7_T9_mT8_S1G_bDpT10_ENKUlT_T0_E_clISt17integral_constantIbLb1EES1U_EEDaS1P_S1Q_EUlS1P_E_NS1_11comp_targetILNS1_3genE4ELNS1_11target_archE910ELNS1_3gpuE8ELNS1_3repE0EEENS1_30default_config_static_selectorELNS0_4arch9wavefront6targetE0EEEvS12_,comdat
	.globl	_ZN7rocprim17ROCPRIM_400000_NS6detail17trampoline_kernelINS0_13select_configILj256ELj13ELNS0_17block_load_methodE3ELS4_3ELS4_3ELNS0_20block_scan_algorithmE0ELj4294967295EEENS1_25partition_config_selectorILNS1_17partition_subalgoE4EjNS0_10empty_typeEbEEZZNS1_14partition_implILS8_4ELb0ES6_15HIP_vector_typeIjLj2EENS0_17counting_iteratorIjlEEPS9_SG_NS0_5tupleIJPjSI_NS0_16reverse_iteratorISI_EEEEENSH_IJSG_SG_SG_EEES9_SI_JZNS1_25segmented_radix_sort_implINS0_14default_configELb1EPKhPhPKlPlN2at6native12_GLOBAL__N_18offset_tEEE10hipError_tPvRmT1_PNSt15iterator_traitsIS12_E10value_typeET2_T3_PNS13_IS18_E10value_typeET4_jRbjT5_S1E_jjP12ihipStream_tbEUljE_ZNSN_ISO_Lb1ESQ_SR_ST_SU_SY_EESZ_S10_S11_S12_S16_S17_S18_S1B_S1C_jS1D_jS1E_S1E_jjS1G_bEUljE0_EEESZ_S10_S11_S18_S1C_S1E_T6_T7_T9_mT8_S1G_bDpT10_ENKUlT_T0_E_clISt17integral_constantIbLb1EES1U_EEDaS1P_S1Q_EUlS1P_E_NS1_11comp_targetILNS1_3genE4ELNS1_11target_archE910ELNS1_3gpuE8ELNS1_3repE0EEENS1_30default_config_static_selectorELNS0_4arch9wavefront6targetE0EEEvS12_ ; -- Begin function _ZN7rocprim17ROCPRIM_400000_NS6detail17trampoline_kernelINS0_13select_configILj256ELj13ELNS0_17block_load_methodE3ELS4_3ELS4_3ELNS0_20block_scan_algorithmE0ELj4294967295EEENS1_25partition_config_selectorILNS1_17partition_subalgoE4EjNS0_10empty_typeEbEEZZNS1_14partition_implILS8_4ELb0ES6_15HIP_vector_typeIjLj2EENS0_17counting_iteratorIjlEEPS9_SG_NS0_5tupleIJPjSI_NS0_16reverse_iteratorISI_EEEEENSH_IJSG_SG_SG_EEES9_SI_JZNS1_25segmented_radix_sort_implINS0_14default_configELb1EPKhPhPKlPlN2at6native12_GLOBAL__N_18offset_tEEE10hipError_tPvRmT1_PNSt15iterator_traitsIS12_E10value_typeET2_T3_PNS13_IS18_E10value_typeET4_jRbjT5_S1E_jjP12ihipStream_tbEUljE_ZNSN_ISO_Lb1ESQ_SR_ST_SU_SY_EESZ_S10_S11_S12_S16_S17_S18_S1B_S1C_jS1D_jS1E_S1E_jjS1G_bEUljE0_EEESZ_S10_S11_S18_S1C_S1E_T6_T7_T9_mT8_S1G_bDpT10_ENKUlT_T0_E_clISt17integral_constantIbLb1EES1U_EEDaS1P_S1Q_EUlS1P_E_NS1_11comp_targetILNS1_3genE4ELNS1_11target_archE910ELNS1_3gpuE8ELNS1_3repE0EEENS1_30default_config_static_selectorELNS0_4arch9wavefront6targetE0EEEvS12_
	.p2align	8
	.type	_ZN7rocprim17ROCPRIM_400000_NS6detail17trampoline_kernelINS0_13select_configILj256ELj13ELNS0_17block_load_methodE3ELS4_3ELS4_3ELNS0_20block_scan_algorithmE0ELj4294967295EEENS1_25partition_config_selectorILNS1_17partition_subalgoE4EjNS0_10empty_typeEbEEZZNS1_14partition_implILS8_4ELb0ES6_15HIP_vector_typeIjLj2EENS0_17counting_iteratorIjlEEPS9_SG_NS0_5tupleIJPjSI_NS0_16reverse_iteratorISI_EEEEENSH_IJSG_SG_SG_EEES9_SI_JZNS1_25segmented_radix_sort_implINS0_14default_configELb1EPKhPhPKlPlN2at6native12_GLOBAL__N_18offset_tEEE10hipError_tPvRmT1_PNSt15iterator_traitsIS12_E10value_typeET2_T3_PNS13_IS18_E10value_typeET4_jRbjT5_S1E_jjP12ihipStream_tbEUljE_ZNSN_ISO_Lb1ESQ_SR_ST_SU_SY_EESZ_S10_S11_S12_S16_S17_S18_S1B_S1C_jS1D_jS1E_S1E_jjS1G_bEUljE0_EEESZ_S10_S11_S18_S1C_S1E_T6_T7_T9_mT8_S1G_bDpT10_ENKUlT_T0_E_clISt17integral_constantIbLb1EES1U_EEDaS1P_S1Q_EUlS1P_E_NS1_11comp_targetILNS1_3genE4ELNS1_11target_archE910ELNS1_3gpuE8ELNS1_3repE0EEENS1_30default_config_static_selectorELNS0_4arch9wavefront6targetE0EEEvS12_,@function
_ZN7rocprim17ROCPRIM_400000_NS6detail17trampoline_kernelINS0_13select_configILj256ELj13ELNS0_17block_load_methodE3ELS4_3ELS4_3ELNS0_20block_scan_algorithmE0ELj4294967295EEENS1_25partition_config_selectorILNS1_17partition_subalgoE4EjNS0_10empty_typeEbEEZZNS1_14partition_implILS8_4ELb0ES6_15HIP_vector_typeIjLj2EENS0_17counting_iteratorIjlEEPS9_SG_NS0_5tupleIJPjSI_NS0_16reverse_iteratorISI_EEEEENSH_IJSG_SG_SG_EEES9_SI_JZNS1_25segmented_radix_sort_implINS0_14default_configELb1EPKhPhPKlPlN2at6native12_GLOBAL__N_18offset_tEEE10hipError_tPvRmT1_PNSt15iterator_traitsIS12_E10value_typeET2_T3_PNS13_IS18_E10value_typeET4_jRbjT5_S1E_jjP12ihipStream_tbEUljE_ZNSN_ISO_Lb1ESQ_SR_ST_SU_SY_EESZ_S10_S11_S12_S16_S17_S18_S1B_S1C_jS1D_jS1E_S1E_jjS1G_bEUljE0_EEESZ_S10_S11_S18_S1C_S1E_T6_T7_T9_mT8_S1G_bDpT10_ENKUlT_T0_E_clISt17integral_constantIbLb1EES1U_EEDaS1P_S1Q_EUlS1P_E_NS1_11comp_targetILNS1_3genE4ELNS1_11target_archE910ELNS1_3gpuE8ELNS1_3repE0EEENS1_30default_config_static_selectorELNS0_4arch9wavefront6targetE0EEEvS12_: ; @_ZN7rocprim17ROCPRIM_400000_NS6detail17trampoline_kernelINS0_13select_configILj256ELj13ELNS0_17block_load_methodE3ELS4_3ELS4_3ELNS0_20block_scan_algorithmE0ELj4294967295EEENS1_25partition_config_selectorILNS1_17partition_subalgoE4EjNS0_10empty_typeEbEEZZNS1_14partition_implILS8_4ELb0ES6_15HIP_vector_typeIjLj2EENS0_17counting_iteratorIjlEEPS9_SG_NS0_5tupleIJPjSI_NS0_16reverse_iteratorISI_EEEEENSH_IJSG_SG_SG_EEES9_SI_JZNS1_25segmented_radix_sort_implINS0_14default_configELb1EPKhPhPKlPlN2at6native12_GLOBAL__N_18offset_tEEE10hipError_tPvRmT1_PNSt15iterator_traitsIS12_E10value_typeET2_T3_PNS13_IS18_E10value_typeET4_jRbjT5_S1E_jjP12ihipStream_tbEUljE_ZNSN_ISO_Lb1ESQ_SR_ST_SU_SY_EESZ_S10_S11_S12_S16_S17_S18_S1B_S1C_jS1D_jS1E_S1E_jjS1G_bEUljE0_EEESZ_S10_S11_S18_S1C_S1E_T6_T7_T9_mT8_S1G_bDpT10_ENKUlT_T0_E_clISt17integral_constantIbLb1EES1U_EEDaS1P_S1Q_EUlS1P_E_NS1_11comp_targetILNS1_3genE4ELNS1_11target_archE910ELNS1_3gpuE8ELNS1_3repE0EEENS1_30default_config_static_selectorELNS0_4arch9wavefront6targetE0EEEvS12_
; %bb.0:
	.section	.rodata,"a",@progbits
	.p2align	6, 0x0
	.amdhsa_kernel _ZN7rocprim17ROCPRIM_400000_NS6detail17trampoline_kernelINS0_13select_configILj256ELj13ELNS0_17block_load_methodE3ELS4_3ELS4_3ELNS0_20block_scan_algorithmE0ELj4294967295EEENS1_25partition_config_selectorILNS1_17partition_subalgoE4EjNS0_10empty_typeEbEEZZNS1_14partition_implILS8_4ELb0ES6_15HIP_vector_typeIjLj2EENS0_17counting_iteratorIjlEEPS9_SG_NS0_5tupleIJPjSI_NS0_16reverse_iteratorISI_EEEEENSH_IJSG_SG_SG_EEES9_SI_JZNS1_25segmented_radix_sort_implINS0_14default_configELb1EPKhPhPKlPlN2at6native12_GLOBAL__N_18offset_tEEE10hipError_tPvRmT1_PNSt15iterator_traitsIS12_E10value_typeET2_T3_PNS13_IS18_E10value_typeET4_jRbjT5_S1E_jjP12ihipStream_tbEUljE_ZNSN_ISO_Lb1ESQ_SR_ST_SU_SY_EESZ_S10_S11_S12_S16_S17_S18_S1B_S1C_jS1D_jS1E_S1E_jjS1G_bEUljE0_EEESZ_S10_S11_S18_S1C_S1E_T6_T7_T9_mT8_S1G_bDpT10_ENKUlT_T0_E_clISt17integral_constantIbLb1EES1U_EEDaS1P_S1Q_EUlS1P_E_NS1_11comp_targetILNS1_3genE4ELNS1_11target_archE910ELNS1_3gpuE8ELNS1_3repE0EEENS1_30default_config_static_selectorELNS0_4arch9wavefront6targetE0EEEvS12_
		.amdhsa_group_segment_fixed_size 0
		.amdhsa_private_segment_fixed_size 0
		.amdhsa_kernarg_size 184
		.amdhsa_user_sgpr_count 15
		.amdhsa_user_sgpr_dispatch_ptr 0
		.amdhsa_user_sgpr_queue_ptr 0
		.amdhsa_user_sgpr_kernarg_segment_ptr 1
		.amdhsa_user_sgpr_dispatch_id 0
		.amdhsa_user_sgpr_private_segment_size 0
		.amdhsa_wavefront_size32 1
		.amdhsa_uses_dynamic_stack 0
		.amdhsa_enable_private_segment 0
		.amdhsa_system_sgpr_workgroup_id_x 1
		.amdhsa_system_sgpr_workgroup_id_y 0
		.amdhsa_system_sgpr_workgroup_id_z 0
		.amdhsa_system_sgpr_workgroup_info 0
		.amdhsa_system_vgpr_workitem_id 0
		.amdhsa_next_free_vgpr 1
		.amdhsa_next_free_sgpr 1
		.amdhsa_reserve_vcc 0
		.amdhsa_float_round_mode_32 0
		.amdhsa_float_round_mode_16_64 0
		.amdhsa_float_denorm_mode_32 3
		.amdhsa_float_denorm_mode_16_64 3
		.amdhsa_dx10_clamp 1
		.amdhsa_ieee_mode 1
		.amdhsa_fp16_overflow 0
		.amdhsa_workgroup_processor_mode 1
		.amdhsa_memory_ordered 1
		.amdhsa_forward_progress 0
		.amdhsa_shared_vgpr_count 0
		.amdhsa_exception_fp_ieee_invalid_op 0
		.amdhsa_exception_fp_denorm_src 0
		.amdhsa_exception_fp_ieee_div_zero 0
		.amdhsa_exception_fp_ieee_overflow 0
		.amdhsa_exception_fp_ieee_underflow 0
		.amdhsa_exception_fp_ieee_inexact 0
		.amdhsa_exception_int_div_zero 0
	.end_amdhsa_kernel
	.section	.text._ZN7rocprim17ROCPRIM_400000_NS6detail17trampoline_kernelINS0_13select_configILj256ELj13ELNS0_17block_load_methodE3ELS4_3ELS4_3ELNS0_20block_scan_algorithmE0ELj4294967295EEENS1_25partition_config_selectorILNS1_17partition_subalgoE4EjNS0_10empty_typeEbEEZZNS1_14partition_implILS8_4ELb0ES6_15HIP_vector_typeIjLj2EENS0_17counting_iteratorIjlEEPS9_SG_NS0_5tupleIJPjSI_NS0_16reverse_iteratorISI_EEEEENSH_IJSG_SG_SG_EEES9_SI_JZNS1_25segmented_radix_sort_implINS0_14default_configELb1EPKhPhPKlPlN2at6native12_GLOBAL__N_18offset_tEEE10hipError_tPvRmT1_PNSt15iterator_traitsIS12_E10value_typeET2_T3_PNS13_IS18_E10value_typeET4_jRbjT5_S1E_jjP12ihipStream_tbEUljE_ZNSN_ISO_Lb1ESQ_SR_ST_SU_SY_EESZ_S10_S11_S12_S16_S17_S18_S1B_S1C_jS1D_jS1E_S1E_jjS1G_bEUljE0_EEESZ_S10_S11_S18_S1C_S1E_T6_T7_T9_mT8_S1G_bDpT10_ENKUlT_T0_E_clISt17integral_constantIbLb1EES1U_EEDaS1P_S1Q_EUlS1P_E_NS1_11comp_targetILNS1_3genE4ELNS1_11target_archE910ELNS1_3gpuE8ELNS1_3repE0EEENS1_30default_config_static_selectorELNS0_4arch9wavefront6targetE0EEEvS12_,"axG",@progbits,_ZN7rocprim17ROCPRIM_400000_NS6detail17trampoline_kernelINS0_13select_configILj256ELj13ELNS0_17block_load_methodE3ELS4_3ELS4_3ELNS0_20block_scan_algorithmE0ELj4294967295EEENS1_25partition_config_selectorILNS1_17partition_subalgoE4EjNS0_10empty_typeEbEEZZNS1_14partition_implILS8_4ELb0ES6_15HIP_vector_typeIjLj2EENS0_17counting_iteratorIjlEEPS9_SG_NS0_5tupleIJPjSI_NS0_16reverse_iteratorISI_EEEEENSH_IJSG_SG_SG_EEES9_SI_JZNS1_25segmented_radix_sort_implINS0_14default_configELb1EPKhPhPKlPlN2at6native12_GLOBAL__N_18offset_tEEE10hipError_tPvRmT1_PNSt15iterator_traitsIS12_E10value_typeET2_T3_PNS13_IS18_E10value_typeET4_jRbjT5_S1E_jjP12ihipStream_tbEUljE_ZNSN_ISO_Lb1ESQ_SR_ST_SU_SY_EESZ_S10_S11_S12_S16_S17_S18_S1B_S1C_jS1D_jS1E_S1E_jjS1G_bEUljE0_EEESZ_S10_S11_S18_S1C_S1E_T6_T7_T9_mT8_S1G_bDpT10_ENKUlT_T0_E_clISt17integral_constantIbLb1EES1U_EEDaS1P_S1Q_EUlS1P_E_NS1_11comp_targetILNS1_3genE4ELNS1_11target_archE910ELNS1_3gpuE8ELNS1_3repE0EEENS1_30default_config_static_selectorELNS0_4arch9wavefront6targetE0EEEvS12_,comdat
.Lfunc_end23:
	.size	_ZN7rocprim17ROCPRIM_400000_NS6detail17trampoline_kernelINS0_13select_configILj256ELj13ELNS0_17block_load_methodE3ELS4_3ELS4_3ELNS0_20block_scan_algorithmE0ELj4294967295EEENS1_25partition_config_selectorILNS1_17partition_subalgoE4EjNS0_10empty_typeEbEEZZNS1_14partition_implILS8_4ELb0ES6_15HIP_vector_typeIjLj2EENS0_17counting_iteratorIjlEEPS9_SG_NS0_5tupleIJPjSI_NS0_16reverse_iteratorISI_EEEEENSH_IJSG_SG_SG_EEES9_SI_JZNS1_25segmented_radix_sort_implINS0_14default_configELb1EPKhPhPKlPlN2at6native12_GLOBAL__N_18offset_tEEE10hipError_tPvRmT1_PNSt15iterator_traitsIS12_E10value_typeET2_T3_PNS13_IS18_E10value_typeET4_jRbjT5_S1E_jjP12ihipStream_tbEUljE_ZNSN_ISO_Lb1ESQ_SR_ST_SU_SY_EESZ_S10_S11_S12_S16_S17_S18_S1B_S1C_jS1D_jS1E_S1E_jjS1G_bEUljE0_EEESZ_S10_S11_S18_S1C_S1E_T6_T7_T9_mT8_S1G_bDpT10_ENKUlT_T0_E_clISt17integral_constantIbLb1EES1U_EEDaS1P_S1Q_EUlS1P_E_NS1_11comp_targetILNS1_3genE4ELNS1_11target_archE910ELNS1_3gpuE8ELNS1_3repE0EEENS1_30default_config_static_selectorELNS0_4arch9wavefront6targetE0EEEvS12_, .Lfunc_end23-_ZN7rocprim17ROCPRIM_400000_NS6detail17trampoline_kernelINS0_13select_configILj256ELj13ELNS0_17block_load_methodE3ELS4_3ELS4_3ELNS0_20block_scan_algorithmE0ELj4294967295EEENS1_25partition_config_selectorILNS1_17partition_subalgoE4EjNS0_10empty_typeEbEEZZNS1_14partition_implILS8_4ELb0ES6_15HIP_vector_typeIjLj2EENS0_17counting_iteratorIjlEEPS9_SG_NS0_5tupleIJPjSI_NS0_16reverse_iteratorISI_EEEEENSH_IJSG_SG_SG_EEES9_SI_JZNS1_25segmented_radix_sort_implINS0_14default_configELb1EPKhPhPKlPlN2at6native12_GLOBAL__N_18offset_tEEE10hipError_tPvRmT1_PNSt15iterator_traitsIS12_E10value_typeET2_T3_PNS13_IS18_E10value_typeET4_jRbjT5_S1E_jjP12ihipStream_tbEUljE_ZNSN_ISO_Lb1ESQ_SR_ST_SU_SY_EESZ_S10_S11_S12_S16_S17_S18_S1B_S1C_jS1D_jS1E_S1E_jjS1G_bEUljE0_EEESZ_S10_S11_S18_S1C_S1E_T6_T7_T9_mT8_S1G_bDpT10_ENKUlT_T0_E_clISt17integral_constantIbLb1EES1U_EEDaS1P_S1Q_EUlS1P_E_NS1_11comp_targetILNS1_3genE4ELNS1_11target_archE910ELNS1_3gpuE8ELNS1_3repE0EEENS1_30default_config_static_selectorELNS0_4arch9wavefront6targetE0EEEvS12_
                                        ; -- End function
	.section	.AMDGPU.csdata,"",@progbits
; Kernel info:
; codeLenInByte = 0
; NumSgprs: 0
; NumVgprs: 0
; ScratchSize: 0
; MemoryBound: 0
; FloatMode: 240
; IeeeMode: 1
; LDSByteSize: 0 bytes/workgroup (compile time only)
; SGPRBlocks: 0
; VGPRBlocks: 0
; NumSGPRsForWavesPerEU: 1
; NumVGPRsForWavesPerEU: 1
; Occupancy: 16
; WaveLimiterHint : 0
; COMPUTE_PGM_RSRC2:SCRATCH_EN: 0
; COMPUTE_PGM_RSRC2:USER_SGPR: 15
; COMPUTE_PGM_RSRC2:TRAP_HANDLER: 0
; COMPUTE_PGM_RSRC2:TGID_X_EN: 1
; COMPUTE_PGM_RSRC2:TGID_Y_EN: 0
; COMPUTE_PGM_RSRC2:TGID_Z_EN: 0
; COMPUTE_PGM_RSRC2:TIDIG_COMP_CNT: 0
	.section	.text._ZN7rocprim17ROCPRIM_400000_NS6detail17trampoline_kernelINS0_13select_configILj256ELj13ELNS0_17block_load_methodE3ELS4_3ELS4_3ELNS0_20block_scan_algorithmE0ELj4294967295EEENS1_25partition_config_selectorILNS1_17partition_subalgoE4EjNS0_10empty_typeEbEEZZNS1_14partition_implILS8_4ELb0ES6_15HIP_vector_typeIjLj2EENS0_17counting_iteratorIjlEEPS9_SG_NS0_5tupleIJPjSI_NS0_16reverse_iteratorISI_EEEEENSH_IJSG_SG_SG_EEES9_SI_JZNS1_25segmented_radix_sort_implINS0_14default_configELb1EPKhPhPKlPlN2at6native12_GLOBAL__N_18offset_tEEE10hipError_tPvRmT1_PNSt15iterator_traitsIS12_E10value_typeET2_T3_PNS13_IS18_E10value_typeET4_jRbjT5_S1E_jjP12ihipStream_tbEUljE_ZNSN_ISO_Lb1ESQ_SR_ST_SU_SY_EESZ_S10_S11_S12_S16_S17_S18_S1B_S1C_jS1D_jS1E_S1E_jjS1G_bEUljE0_EEESZ_S10_S11_S18_S1C_S1E_T6_T7_T9_mT8_S1G_bDpT10_ENKUlT_T0_E_clISt17integral_constantIbLb1EES1U_EEDaS1P_S1Q_EUlS1P_E_NS1_11comp_targetILNS1_3genE3ELNS1_11target_archE908ELNS1_3gpuE7ELNS1_3repE0EEENS1_30default_config_static_selectorELNS0_4arch9wavefront6targetE0EEEvS12_,"axG",@progbits,_ZN7rocprim17ROCPRIM_400000_NS6detail17trampoline_kernelINS0_13select_configILj256ELj13ELNS0_17block_load_methodE3ELS4_3ELS4_3ELNS0_20block_scan_algorithmE0ELj4294967295EEENS1_25partition_config_selectorILNS1_17partition_subalgoE4EjNS0_10empty_typeEbEEZZNS1_14partition_implILS8_4ELb0ES6_15HIP_vector_typeIjLj2EENS0_17counting_iteratorIjlEEPS9_SG_NS0_5tupleIJPjSI_NS0_16reverse_iteratorISI_EEEEENSH_IJSG_SG_SG_EEES9_SI_JZNS1_25segmented_radix_sort_implINS0_14default_configELb1EPKhPhPKlPlN2at6native12_GLOBAL__N_18offset_tEEE10hipError_tPvRmT1_PNSt15iterator_traitsIS12_E10value_typeET2_T3_PNS13_IS18_E10value_typeET4_jRbjT5_S1E_jjP12ihipStream_tbEUljE_ZNSN_ISO_Lb1ESQ_SR_ST_SU_SY_EESZ_S10_S11_S12_S16_S17_S18_S1B_S1C_jS1D_jS1E_S1E_jjS1G_bEUljE0_EEESZ_S10_S11_S18_S1C_S1E_T6_T7_T9_mT8_S1G_bDpT10_ENKUlT_T0_E_clISt17integral_constantIbLb1EES1U_EEDaS1P_S1Q_EUlS1P_E_NS1_11comp_targetILNS1_3genE3ELNS1_11target_archE908ELNS1_3gpuE7ELNS1_3repE0EEENS1_30default_config_static_selectorELNS0_4arch9wavefront6targetE0EEEvS12_,comdat
	.globl	_ZN7rocprim17ROCPRIM_400000_NS6detail17trampoline_kernelINS0_13select_configILj256ELj13ELNS0_17block_load_methodE3ELS4_3ELS4_3ELNS0_20block_scan_algorithmE0ELj4294967295EEENS1_25partition_config_selectorILNS1_17partition_subalgoE4EjNS0_10empty_typeEbEEZZNS1_14partition_implILS8_4ELb0ES6_15HIP_vector_typeIjLj2EENS0_17counting_iteratorIjlEEPS9_SG_NS0_5tupleIJPjSI_NS0_16reverse_iteratorISI_EEEEENSH_IJSG_SG_SG_EEES9_SI_JZNS1_25segmented_radix_sort_implINS0_14default_configELb1EPKhPhPKlPlN2at6native12_GLOBAL__N_18offset_tEEE10hipError_tPvRmT1_PNSt15iterator_traitsIS12_E10value_typeET2_T3_PNS13_IS18_E10value_typeET4_jRbjT5_S1E_jjP12ihipStream_tbEUljE_ZNSN_ISO_Lb1ESQ_SR_ST_SU_SY_EESZ_S10_S11_S12_S16_S17_S18_S1B_S1C_jS1D_jS1E_S1E_jjS1G_bEUljE0_EEESZ_S10_S11_S18_S1C_S1E_T6_T7_T9_mT8_S1G_bDpT10_ENKUlT_T0_E_clISt17integral_constantIbLb1EES1U_EEDaS1P_S1Q_EUlS1P_E_NS1_11comp_targetILNS1_3genE3ELNS1_11target_archE908ELNS1_3gpuE7ELNS1_3repE0EEENS1_30default_config_static_selectorELNS0_4arch9wavefront6targetE0EEEvS12_ ; -- Begin function _ZN7rocprim17ROCPRIM_400000_NS6detail17trampoline_kernelINS0_13select_configILj256ELj13ELNS0_17block_load_methodE3ELS4_3ELS4_3ELNS0_20block_scan_algorithmE0ELj4294967295EEENS1_25partition_config_selectorILNS1_17partition_subalgoE4EjNS0_10empty_typeEbEEZZNS1_14partition_implILS8_4ELb0ES6_15HIP_vector_typeIjLj2EENS0_17counting_iteratorIjlEEPS9_SG_NS0_5tupleIJPjSI_NS0_16reverse_iteratorISI_EEEEENSH_IJSG_SG_SG_EEES9_SI_JZNS1_25segmented_radix_sort_implINS0_14default_configELb1EPKhPhPKlPlN2at6native12_GLOBAL__N_18offset_tEEE10hipError_tPvRmT1_PNSt15iterator_traitsIS12_E10value_typeET2_T3_PNS13_IS18_E10value_typeET4_jRbjT5_S1E_jjP12ihipStream_tbEUljE_ZNSN_ISO_Lb1ESQ_SR_ST_SU_SY_EESZ_S10_S11_S12_S16_S17_S18_S1B_S1C_jS1D_jS1E_S1E_jjS1G_bEUljE0_EEESZ_S10_S11_S18_S1C_S1E_T6_T7_T9_mT8_S1G_bDpT10_ENKUlT_T0_E_clISt17integral_constantIbLb1EES1U_EEDaS1P_S1Q_EUlS1P_E_NS1_11comp_targetILNS1_3genE3ELNS1_11target_archE908ELNS1_3gpuE7ELNS1_3repE0EEENS1_30default_config_static_selectorELNS0_4arch9wavefront6targetE0EEEvS12_
	.p2align	8
	.type	_ZN7rocprim17ROCPRIM_400000_NS6detail17trampoline_kernelINS0_13select_configILj256ELj13ELNS0_17block_load_methodE3ELS4_3ELS4_3ELNS0_20block_scan_algorithmE0ELj4294967295EEENS1_25partition_config_selectorILNS1_17partition_subalgoE4EjNS0_10empty_typeEbEEZZNS1_14partition_implILS8_4ELb0ES6_15HIP_vector_typeIjLj2EENS0_17counting_iteratorIjlEEPS9_SG_NS0_5tupleIJPjSI_NS0_16reverse_iteratorISI_EEEEENSH_IJSG_SG_SG_EEES9_SI_JZNS1_25segmented_radix_sort_implINS0_14default_configELb1EPKhPhPKlPlN2at6native12_GLOBAL__N_18offset_tEEE10hipError_tPvRmT1_PNSt15iterator_traitsIS12_E10value_typeET2_T3_PNS13_IS18_E10value_typeET4_jRbjT5_S1E_jjP12ihipStream_tbEUljE_ZNSN_ISO_Lb1ESQ_SR_ST_SU_SY_EESZ_S10_S11_S12_S16_S17_S18_S1B_S1C_jS1D_jS1E_S1E_jjS1G_bEUljE0_EEESZ_S10_S11_S18_S1C_S1E_T6_T7_T9_mT8_S1G_bDpT10_ENKUlT_T0_E_clISt17integral_constantIbLb1EES1U_EEDaS1P_S1Q_EUlS1P_E_NS1_11comp_targetILNS1_3genE3ELNS1_11target_archE908ELNS1_3gpuE7ELNS1_3repE0EEENS1_30default_config_static_selectorELNS0_4arch9wavefront6targetE0EEEvS12_,@function
_ZN7rocprim17ROCPRIM_400000_NS6detail17trampoline_kernelINS0_13select_configILj256ELj13ELNS0_17block_load_methodE3ELS4_3ELS4_3ELNS0_20block_scan_algorithmE0ELj4294967295EEENS1_25partition_config_selectorILNS1_17partition_subalgoE4EjNS0_10empty_typeEbEEZZNS1_14partition_implILS8_4ELb0ES6_15HIP_vector_typeIjLj2EENS0_17counting_iteratorIjlEEPS9_SG_NS0_5tupleIJPjSI_NS0_16reverse_iteratorISI_EEEEENSH_IJSG_SG_SG_EEES9_SI_JZNS1_25segmented_radix_sort_implINS0_14default_configELb1EPKhPhPKlPlN2at6native12_GLOBAL__N_18offset_tEEE10hipError_tPvRmT1_PNSt15iterator_traitsIS12_E10value_typeET2_T3_PNS13_IS18_E10value_typeET4_jRbjT5_S1E_jjP12ihipStream_tbEUljE_ZNSN_ISO_Lb1ESQ_SR_ST_SU_SY_EESZ_S10_S11_S12_S16_S17_S18_S1B_S1C_jS1D_jS1E_S1E_jjS1G_bEUljE0_EEESZ_S10_S11_S18_S1C_S1E_T6_T7_T9_mT8_S1G_bDpT10_ENKUlT_T0_E_clISt17integral_constantIbLb1EES1U_EEDaS1P_S1Q_EUlS1P_E_NS1_11comp_targetILNS1_3genE3ELNS1_11target_archE908ELNS1_3gpuE7ELNS1_3repE0EEENS1_30default_config_static_selectorELNS0_4arch9wavefront6targetE0EEEvS12_: ; @_ZN7rocprim17ROCPRIM_400000_NS6detail17trampoline_kernelINS0_13select_configILj256ELj13ELNS0_17block_load_methodE3ELS4_3ELS4_3ELNS0_20block_scan_algorithmE0ELj4294967295EEENS1_25partition_config_selectorILNS1_17partition_subalgoE4EjNS0_10empty_typeEbEEZZNS1_14partition_implILS8_4ELb0ES6_15HIP_vector_typeIjLj2EENS0_17counting_iteratorIjlEEPS9_SG_NS0_5tupleIJPjSI_NS0_16reverse_iteratorISI_EEEEENSH_IJSG_SG_SG_EEES9_SI_JZNS1_25segmented_radix_sort_implINS0_14default_configELb1EPKhPhPKlPlN2at6native12_GLOBAL__N_18offset_tEEE10hipError_tPvRmT1_PNSt15iterator_traitsIS12_E10value_typeET2_T3_PNS13_IS18_E10value_typeET4_jRbjT5_S1E_jjP12ihipStream_tbEUljE_ZNSN_ISO_Lb1ESQ_SR_ST_SU_SY_EESZ_S10_S11_S12_S16_S17_S18_S1B_S1C_jS1D_jS1E_S1E_jjS1G_bEUljE0_EEESZ_S10_S11_S18_S1C_S1E_T6_T7_T9_mT8_S1G_bDpT10_ENKUlT_T0_E_clISt17integral_constantIbLb1EES1U_EEDaS1P_S1Q_EUlS1P_E_NS1_11comp_targetILNS1_3genE3ELNS1_11target_archE908ELNS1_3gpuE7ELNS1_3repE0EEENS1_30default_config_static_selectorELNS0_4arch9wavefront6targetE0EEEvS12_
; %bb.0:
	.section	.rodata,"a",@progbits
	.p2align	6, 0x0
	.amdhsa_kernel _ZN7rocprim17ROCPRIM_400000_NS6detail17trampoline_kernelINS0_13select_configILj256ELj13ELNS0_17block_load_methodE3ELS4_3ELS4_3ELNS0_20block_scan_algorithmE0ELj4294967295EEENS1_25partition_config_selectorILNS1_17partition_subalgoE4EjNS0_10empty_typeEbEEZZNS1_14partition_implILS8_4ELb0ES6_15HIP_vector_typeIjLj2EENS0_17counting_iteratorIjlEEPS9_SG_NS0_5tupleIJPjSI_NS0_16reverse_iteratorISI_EEEEENSH_IJSG_SG_SG_EEES9_SI_JZNS1_25segmented_radix_sort_implINS0_14default_configELb1EPKhPhPKlPlN2at6native12_GLOBAL__N_18offset_tEEE10hipError_tPvRmT1_PNSt15iterator_traitsIS12_E10value_typeET2_T3_PNS13_IS18_E10value_typeET4_jRbjT5_S1E_jjP12ihipStream_tbEUljE_ZNSN_ISO_Lb1ESQ_SR_ST_SU_SY_EESZ_S10_S11_S12_S16_S17_S18_S1B_S1C_jS1D_jS1E_S1E_jjS1G_bEUljE0_EEESZ_S10_S11_S18_S1C_S1E_T6_T7_T9_mT8_S1G_bDpT10_ENKUlT_T0_E_clISt17integral_constantIbLb1EES1U_EEDaS1P_S1Q_EUlS1P_E_NS1_11comp_targetILNS1_3genE3ELNS1_11target_archE908ELNS1_3gpuE7ELNS1_3repE0EEENS1_30default_config_static_selectorELNS0_4arch9wavefront6targetE0EEEvS12_
		.amdhsa_group_segment_fixed_size 0
		.amdhsa_private_segment_fixed_size 0
		.amdhsa_kernarg_size 184
		.amdhsa_user_sgpr_count 15
		.amdhsa_user_sgpr_dispatch_ptr 0
		.amdhsa_user_sgpr_queue_ptr 0
		.amdhsa_user_sgpr_kernarg_segment_ptr 1
		.amdhsa_user_sgpr_dispatch_id 0
		.amdhsa_user_sgpr_private_segment_size 0
		.amdhsa_wavefront_size32 1
		.amdhsa_uses_dynamic_stack 0
		.amdhsa_enable_private_segment 0
		.amdhsa_system_sgpr_workgroup_id_x 1
		.amdhsa_system_sgpr_workgroup_id_y 0
		.amdhsa_system_sgpr_workgroup_id_z 0
		.amdhsa_system_sgpr_workgroup_info 0
		.amdhsa_system_vgpr_workitem_id 0
		.amdhsa_next_free_vgpr 1
		.amdhsa_next_free_sgpr 1
		.amdhsa_reserve_vcc 0
		.amdhsa_float_round_mode_32 0
		.amdhsa_float_round_mode_16_64 0
		.amdhsa_float_denorm_mode_32 3
		.amdhsa_float_denorm_mode_16_64 3
		.amdhsa_dx10_clamp 1
		.amdhsa_ieee_mode 1
		.amdhsa_fp16_overflow 0
		.amdhsa_workgroup_processor_mode 1
		.amdhsa_memory_ordered 1
		.amdhsa_forward_progress 0
		.amdhsa_shared_vgpr_count 0
		.amdhsa_exception_fp_ieee_invalid_op 0
		.amdhsa_exception_fp_denorm_src 0
		.amdhsa_exception_fp_ieee_div_zero 0
		.amdhsa_exception_fp_ieee_overflow 0
		.amdhsa_exception_fp_ieee_underflow 0
		.amdhsa_exception_fp_ieee_inexact 0
		.amdhsa_exception_int_div_zero 0
	.end_amdhsa_kernel
	.section	.text._ZN7rocprim17ROCPRIM_400000_NS6detail17trampoline_kernelINS0_13select_configILj256ELj13ELNS0_17block_load_methodE3ELS4_3ELS4_3ELNS0_20block_scan_algorithmE0ELj4294967295EEENS1_25partition_config_selectorILNS1_17partition_subalgoE4EjNS0_10empty_typeEbEEZZNS1_14partition_implILS8_4ELb0ES6_15HIP_vector_typeIjLj2EENS0_17counting_iteratorIjlEEPS9_SG_NS0_5tupleIJPjSI_NS0_16reverse_iteratorISI_EEEEENSH_IJSG_SG_SG_EEES9_SI_JZNS1_25segmented_radix_sort_implINS0_14default_configELb1EPKhPhPKlPlN2at6native12_GLOBAL__N_18offset_tEEE10hipError_tPvRmT1_PNSt15iterator_traitsIS12_E10value_typeET2_T3_PNS13_IS18_E10value_typeET4_jRbjT5_S1E_jjP12ihipStream_tbEUljE_ZNSN_ISO_Lb1ESQ_SR_ST_SU_SY_EESZ_S10_S11_S12_S16_S17_S18_S1B_S1C_jS1D_jS1E_S1E_jjS1G_bEUljE0_EEESZ_S10_S11_S18_S1C_S1E_T6_T7_T9_mT8_S1G_bDpT10_ENKUlT_T0_E_clISt17integral_constantIbLb1EES1U_EEDaS1P_S1Q_EUlS1P_E_NS1_11comp_targetILNS1_3genE3ELNS1_11target_archE908ELNS1_3gpuE7ELNS1_3repE0EEENS1_30default_config_static_selectorELNS0_4arch9wavefront6targetE0EEEvS12_,"axG",@progbits,_ZN7rocprim17ROCPRIM_400000_NS6detail17trampoline_kernelINS0_13select_configILj256ELj13ELNS0_17block_load_methodE3ELS4_3ELS4_3ELNS0_20block_scan_algorithmE0ELj4294967295EEENS1_25partition_config_selectorILNS1_17partition_subalgoE4EjNS0_10empty_typeEbEEZZNS1_14partition_implILS8_4ELb0ES6_15HIP_vector_typeIjLj2EENS0_17counting_iteratorIjlEEPS9_SG_NS0_5tupleIJPjSI_NS0_16reverse_iteratorISI_EEEEENSH_IJSG_SG_SG_EEES9_SI_JZNS1_25segmented_radix_sort_implINS0_14default_configELb1EPKhPhPKlPlN2at6native12_GLOBAL__N_18offset_tEEE10hipError_tPvRmT1_PNSt15iterator_traitsIS12_E10value_typeET2_T3_PNS13_IS18_E10value_typeET4_jRbjT5_S1E_jjP12ihipStream_tbEUljE_ZNSN_ISO_Lb1ESQ_SR_ST_SU_SY_EESZ_S10_S11_S12_S16_S17_S18_S1B_S1C_jS1D_jS1E_S1E_jjS1G_bEUljE0_EEESZ_S10_S11_S18_S1C_S1E_T6_T7_T9_mT8_S1G_bDpT10_ENKUlT_T0_E_clISt17integral_constantIbLb1EES1U_EEDaS1P_S1Q_EUlS1P_E_NS1_11comp_targetILNS1_3genE3ELNS1_11target_archE908ELNS1_3gpuE7ELNS1_3repE0EEENS1_30default_config_static_selectorELNS0_4arch9wavefront6targetE0EEEvS12_,comdat
.Lfunc_end24:
	.size	_ZN7rocprim17ROCPRIM_400000_NS6detail17trampoline_kernelINS0_13select_configILj256ELj13ELNS0_17block_load_methodE3ELS4_3ELS4_3ELNS0_20block_scan_algorithmE0ELj4294967295EEENS1_25partition_config_selectorILNS1_17partition_subalgoE4EjNS0_10empty_typeEbEEZZNS1_14partition_implILS8_4ELb0ES6_15HIP_vector_typeIjLj2EENS0_17counting_iteratorIjlEEPS9_SG_NS0_5tupleIJPjSI_NS0_16reverse_iteratorISI_EEEEENSH_IJSG_SG_SG_EEES9_SI_JZNS1_25segmented_radix_sort_implINS0_14default_configELb1EPKhPhPKlPlN2at6native12_GLOBAL__N_18offset_tEEE10hipError_tPvRmT1_PNSt15iterator_traitsIS12_E10value_typeET2_T3_PNS13_IS18_E10value_typeET4_jRbjT5_S1E_jjP12ihipStream_tbEUljE_ZNSN_ISO_Lb1ESQ_SR_ST_SU_SY_EESZ_S10_S11_S12_S16_S17_S18_S1B_S1C_jS1D_jS1E_S1E_jjS1G_bEUljE0_EEESZ_S10_S11_S18_S1C_S1E_T6_T7_T9_mT8_S1G_bDpT10_ENKUlT_T0_E_clISt17integral_constantIbLb1EES1U_EEDaS1P_S1Q_EUlS1P_E_NS1_11comp_targetILNS1_3genE3ELNS1_11target_archE908ELNS1_3gpuE7ELNS1_3repE0EEENS1_30default_config_static_selectorELNS0_4arch9wavefront6targetE0EEEvS12_, .Lfunc_end24-_ZN7rocprim17ROCPRIM_400000_NS6detail17trampoline_kernelINS0_13select_configILj256ELj13ELNS0_17block_load_methodE3ELS4_3ELS4_3ELNS0_20block_scan_algorithmE0ELj4294967295EEENS1_25partition_config_selectorILNS1_17partition_subalgoE4EjNS0_10empty_typeEbEEZZNS1_14partition_implILS8_4ELb0ES6_15HIP_vector_typeIjLj2EENS0_17counting_iteratorIjlEEPS9_SG_NS0_5tupleIJPjSI_NS0_16reverse_iteratorISI_EEEEENSH_IJSG_SG_SG_EEES9_SI_JZNS1_25segmented_radix_sort_implINS0_14default_configELb1EPKhPhPKlPlN2at6native12_GLOBAL__N_18offset_tEEE10hipError_tPvRmT1_PNSt15iterator_traitsIS12_E10value_typeET2_T3_PNS13_IS18_E10value_typeET4_jRbjT5_S1E_jjP12ihipStream_tbEUljE_ZNSN_ISO_Lb1ESQ_SR_ST_SU_SY_EESZ_S10_S11_S12_S16_S17_S18_S1B_S1C_jS1D_jS1E_S1E_jjS1G_bEUljE0_EEESZ_S10_S11_S18_S1C_S1E_T6_T7_T9_mT8_S1G_bDpT10_ENKUlT_T0_E_clISt17integral_constantIbLb1EES1U_EEDaS1P_S1Q_EUlS1P_E_NS1_11comp_targetILNS1_3genE3ELNS1_11target_archE908ELNS1_3gpuE7ELNS1_3repE0EEENS1_30default_config_static_selectorELNS0_4arch9wavefront6targetE0EEEvS12_
                                        ; -- End function
	.section	.AMDGPU.csdata,"",@progbits
; Kernel info:
; codeLenInByte = 0
; NumSgprs: 0
; NumVgprs: 0
; ScratchSize: 0
; MemoryBound: 0
; FloatMode: 240
; IeeeMode: 1
; LDSByteSize: 0 bytes/workgroup (compile time only)
; SGPRBlocks: 0
; VGPRBlocks: 0
; NumSGPRsForWavesPerEU: 1
; NumVGPRsForWavesPerEU: 1
; Occupancy: 16
; WaveLimiterHint : 0
; COMPUTE_PGM_RSRC2:SCRATCH_EN: 0
; COMPUTE_PGM_RSRC2:USER_SGPR: 15
; COMPUTE_PGM_RSRC2:TRAP_HANDLER: 0
; COMPUTE_PGM_RSRC2:TGID_X_EN: 1
; COMPUTE_PGM_RSRC2:TGID_Y_EN: 0
; COMPUTE_PGM_RSRC2:TGID_Z_EN: 0
; COMPUTE_PGM_RSRC2:TIDIG_COMP_CNT: 0
	.section	.text._ZN7rocprim17ROCPRIM_400000_NS6detail17trampoline_kernelINS0_13select_configILj256ELj13ELNS0_17block_load_methodE3ELS4_3ELS4_3ELNS0_20block_scan_algorithmE0ELj4294967295EEENS1_25partition_config_selectorILNS1_17partition_subalgoE4EjNS0_10empty_typeEbEEZZNS1_14partition_implILS8_4ELb0ES6_15HIP_vector_typeIjLj2EENS0_17counting_iteratorIjlEEPS9_SG_NS0_5tupleIJPjSI_NS0_16reverse_iteratorISI_EEEEENSH_IJSG_SG_SG_EEES9_SI_JZNS1_25segmented_radix_sort_implINS0_14default_configELb1EPKhPhPKlPlN2at6native12_GLOBAL__N_18offset_tEEE10hipError_tPvRmT1_PNSt15iterator_traitsIS12_E10value_typeET2_T3_PNS13_IS18_E10value_typeET4_jRbjT5_S1E_jjP12ihipStream_tbEUljE_ZNSN_ISO_Lb1ESQ_SR_ST_SU_SY_EESZ_S10_S11_S12_S16_S17_S18_S1B_S1C_jS1D_jS1E_S1E_jjS1G_bEUljE0_EEESZ_S10_S11_S18_S1C_S1E_T6_T7_T9_mT8_S1G_bDpT10_ENKUlT_T0_E_clISt17integral_constantIbLb1EES1U_EEDaS1P_S1Q_EUlS1P_E_NS1_11comp_targetILNS1_3genE2ELNS1_11target_archE906ELNS1_3gpuE6ELNS1_3repE0EEENS1_30default_config_static_selectorELNS0_4arch9wavefront6targetE0EEEvS12_,"axG",@progbits,_ZN7rocprim17ROCPRIM_400000_NS6detail17trampoline_kernelINS0_13select_configILj256ELj13ELNS0_17block_load_methodE3ELS4_3ELS4_3ELNS0_20block_scan_algorithmE0ELj4294967295EEENS1_25partition_config_selectorILNS1_17partition_subalgoE4EjNS0_10empty_typeEbEEZZNS1_14partition_implILS8_4ELb0ES6_15HIP_vector_typeIjLj2EENS0_17counting_iteratorIjlEEPS9_SG_NS0_5tupleIJPjSI_NS0_16reverse_iteratorISI_EEEEENSH_IJSG_SG_SG_EEES9_SI_JZNS1_25segmented_radix_sort_implINS0_14default_configELb1EPKhPhPKlPlN2at6native12_GLOBAL__N_18offset_tEEE10hipError_tPvRmT1_PNSt15iterator_traitsIS12_E10value_typeET2_T3_PNS13_IS18_E10value_typeET4_jRbjT5_S1E_jjP12ihipStream_tbEUljE_ZNSN_ISO_Lb1ESQ_SR_ST_SU_SY_EESZ_S10_S11_S12_S16_S17_S18_S1B_S1C_jS1D_jS1E_S1E_jjS1G_bEUljE0_EEESZ_S10_S11_S18_S1C_S1E_T6_T7_T9_mT8_S1G_bDpT10_ENKUlT_T0_E_clISt17integral_constantIbLb1EES1U_EEDaS1P_S1Q_EUlS1P_E_NS1_11comp_targetILNS1_3genE2ELNS1_11target_archE906ELNS1_3gpuE6ELNS1_3repE0EEENS1_30default_config_static_selectorELNS0_4arch9wavefront6targetE0EEEvS12_,comdat
	.globl	_ZN7rocprim17ROCPRIM_400000_NS6detail17trampoline_kernelINS0_13select_configILj256ELj13ELNS0_17block_load_methodE3ELS4_3ELS4_3ELNS0_20block_scan_algorithmE0ELj4294967295EEENS1_25partition_config_selectorILNS1_17partition_subalgoE4EjNS0_10empty_typeEbEEZZNS1_14partition_implILS8_4ELb0ES6_15HIP_vector_typeIjLj2EENS0_17counting_iteratorIjlEEPS9_SG_NS0_5tupleIJPjSI_NS0_16reverse_iteratorISI_EEEEENSH_IJSG_SG_SG_EEES9_SI_JZNS1_25segmented_radix_sort_implINS0_14default_configELb1EPKhPhPKlPlN2at6native12_GLOBAL__N_18offset_tEEE10hipError_tPvRmT1_PNSt15iterator_traitsIS12_E10value_typeET2_T3_PNS13_IS18_E10value_typeET4_jRbjT5_S1E_jjP12ihipStream_tbEUljE_ZNSN_ISO_Lb1ESQ_SR_ST_SU_SY_EESZ_S10_S11_S12_S16_S17_S18_S1B_S1C_jS1D_jS1E_S1E_jjS1G_bEUljE0_EEESZ_S10_S11_S18_S1C_S1E_T6_T7_T9_mT8_S1G_bDpT10_ENKUlT_T0_E_clISt17integral_constantIbLb1EES1U_EEDaS1P_S1Q_EUlS1P_E_NS1_11comp_targetILNS1_3genE2ELNS1_11target_archE906ELNS1_3gpuE6ELNS1_3repE0EEENS1_30default_config_static_selectorELNS0_4arch9wavefront6targetE0EEEvS12_ ; -- Begin function _ZN7rocprim17ROCPRIM_400000_NS6detail17trampoline_kernelINS0_13select_configILj256ELj13ELNS0_17block_load_methodE3ELS4_3ELS4_3ELNS0_20block_scan_algorithmE0ELj4294967295EEENS1_25partition_config_selectorILNS1_17partition_subalgoE4EjNS0_10empty_typeEbEEZZNS1_14partition_implILS8_4ELb0ES6_15HIP_vector_typeIjLj2EENS0_17counting_iteratorIjlEEPS9_SG_NS0_5tupleIJPjSI_NS0_16reverse_iteratorISI_EEEEENSH_IJSG_SG_SG_EEES9_SI_JZNS1_25segmented_radix_sort_implINS0_14default_configELb1EPKhPhPKlPlN2at6native12_GLOBAL__N_18offset_tEEE10hipError_tPvRmT1_PNSt15iterator_traitsIS12_E10value_typeET2_T3_PNS13_IS18_E10value_typeET4_jRbjT5_S1E_jjP12ihipStream_tbEUljE_ZNSN_ISO_Lb1ESQ_SR_ST_SU_SY_EESZ_S10_S11_S12_S16_S17_S18_S1B_S1C_jS1D_jS1E_S1E_jjS1G_bEUljE0_EEESZ_S10_S11_S18_S1C_S1E_T6_T7_T9_mT8_S1G_bDpT10_ENKUlT_T0_E_clISt17integral_constantIbLb1EES1U_EEDaS1P_S1Q_EUlS1P_E_NS1_11comp_targetILNS1_3genE2ELNS1_11target_archE906ELNS1_3gpuE6ELNS1_3repE0EEENS1_30default_config_static_selectorELNS0_4arch9wavefront6targetE0EEEvS12_
	.p2align	8
	.type	_ZN7rocprim17ROCPRIM_400000_NS6detail17trampoline_kernelINS0_13select_configILj256ELj13ELNS0_17block_load_methodE3ELS4_3ELS4_3ELNS0_20block_scan_algorithmE0ELj4294967295EEENS1_25partition_config_selectorILNS1_17partition_subalgoE4EjNS0_10empty_typeEbEEZZNS1_14partition_implILS8_4ELb0ES6_15HIP_vector_typeIjLj2EENS0_17counting_iteratorIjlEEPS9_SG_NS0_5tupleIJPjSI_NS0_16reverse_iteratorISI_EEEEENSH_IJSG_SG_SG_EEES9_SI_JZNS1_25segmented_radix_sort_implINS0_14default_configELb1EPKhPhPKlPlN2at6native12_GLOBAL__N_18offset_tEEE10hipError_tPvRmT1_PNSt15iterator_traitsIS12_E10value_typeET2_T3_PNS13_IS18_E10value_typeET4_jRbjT5_S1E_jjP12ihipStream_tbEUljE_ZNSN_ISO_Lb1ESQ_SR_ST_SU_SY_EESZ_S10_S11_S12_S16_S17_S18_S1B_S1C_jS1D_jS1E_S1E_jjS1G_bEUljE0_EEESZ_S10_S11_S18_S1C_S1E_T6_T7_T9_mT8_S1G_bDpT10_ENKUlT_T0_E_clISt17integral_constantIbLb1EES1U_EEDaS1P_S1Q_EUlS1P_E_NS1_11comp_targetILNS1_3genE2ELNS1_11target_archE906ELNS1_3gpuE6ELNS1_3repE0EEENS1_30default_config_static_selectorELNS0_4arch9wavefront6targetE0EEEvS12_,@function
_ZN7rocprim17ROCPRIM_400000_NS6detail17trampoline_kernelINS0_13select_configILj256ELj13ELNS0_17block_load_methodE3ELS4_3ELS4_3ELNS0_20block_scan_algorithmE0ELj4294967295EEENS1_25partition_config_selectorILNS1_17partition_subalgoE4EjNS0_10empty_typeEbEEZZNS1_14partition_implILS8_4ELb0ES6_15HIP_vector_typeIjLj2EENS0_17counting_iteratorIjlEEPS9_SG_NS0_5tupleIJPjSI_NS0_16reverse_iteratorISI_EEEEENSH_IJSG_SG_SG_EEES9_SI_JZNS1_25segmented_radix_sort_implINS0_14default_configELb1EPKhPhPKlPlN2at6native12_GLOBAL__N_18offset_tEEE10hipError_tPvRmT1_PNSt15iterator_traitsIS12_E10value_typeET2_T3_PNS13_IS18_E10value_typeET4_jRbjT5_S1E_jjP12ihipStream_tbEUljE_ZNSN_ISO_Lb1ESQ_SR_ST_SU_SY_EESZ_S10_S11_S12_S16_S17_S18_S1B_S1C_jS1D_jS1E_S1E_jjS1G_bEUljE0_EEESZ_S10_S11_S18_S1C_S1E_T6_T7_T9_mT8_S1G_bDpT10_ENKUlT_T0_E_clISt17integral_constantIbLb1EES1U_EEDaS1P_S1Q_EUlS1P_E_NS1_11comp_targetILNS1_3genE2ELNS1_11target_archE906ELNS1_3gpuE6ELNS1_3repE0EEENS1_30default_config_static_selectorELNS0_4arch9wavefront6targetE0EEEvS12_: ; @_ZN7rocprim17ROCPRIM_400000_NS6detail17trampoline_kernelINS0_13select_configILj256ELj13ELNS0_17block_load_methodE3ELS4_3ELS4_3ELNS0_20block_scan_algorithmE0ELj4294967295EEENS1_25partition_config_selectorILNS1_17partition_subalgoE4EjNS0_10empty_typeEbEEZZNS1_14partition_implILS8_4ELb0ES6_15HIP_vector_typeIjLj2EENS0_17counting_iteratorIjlEEPS9_SG_NS0_5tupleIJPjSI_NS0_16reverse_iteratorISI_EEEEENSH_IJSG_SG_SG_EEES9_SI_JZNS1_25segmented_radix_sort_implINS0_14default_configELb1EPKhPhPKlPlN2at6native12_GLOBAL__N_18offset_tEEE10hipError_tPvRmT1_PNSt15iterator_traitsIS12_E10value_typeET2_T3_PNS13_IS18_E10value_typeET4_jRbjT5_S1E_jjP12ihipStream_tbEUljE_ZNSN_ISO_Lb1ESQ_SR_ST_SU_SY_EESZ_S10_S11_S12_S16_S17_S18_S1B_S1C_jS1D_jS1E_S1E_jjS1G_bEUljE0_EEESZ_S10_S11_S18_S1C_S1E_T6_T7_T9_mT8_S1G_bDpT10_ENKUlT_T0_E_clISt17integral_constantIbLb1EES1U_EEDaS1P_S1Q_EUlS1P_E_NS1_11comp_targetILNS1_3genE2ELNS1_11target_archE906ELNS1_3gpuE6ELNS1_3repE0EEENS1_30default_config_static_selectorELNS0_4arch9wavefront6targetE0EEEvS12_
; %bb.0:
	.section	.rodata,"a",@progbits
	.p2align	6, 0x0
	.amdhsa_kernel _ZN7rocprim17ROCPRIM_400000_NS6detail17trampoline_kernelINS0_13select_configILj256ELj13ELNS0_17block_load_methodE3ELS4_3ELS4_3ELNS0_20block_scan_algorithmE0ELj4294967295EEENS1_25partition_config_selectorILNS1_17partition_subalgoE4EjNS0_10empty_typeEbEEZZNS1_14partition_implILS8_4ELb0ES6_15HIP_vector_typeIjLj2EENS0_17counting_iteratorIjlEEPS9_SG_NS0_5tupleIJPjSI_NS0_16reverse_iteratorISI_EEEEENSH_IJSG_SG_SG_EEES9_SI_JZNS1_25segmented_radix_sort_implINS0_14default_configELb1EPKhPhPKlPlN2at6native12_GLOBAL__N_18offset_tEEE10hipError_tPvRmT1_PNSt15iterator_traitsIS12_E10value_typeET2_T3_PNS13_IS18_E10value_typeET4_jRbjT5_S1E_jjP12ihipStream_tbEUljE_ZNSN_ISO_Lb1ESQ_SR_ST_SU_SY_EESZ_S10_S11_S12_S16_S17_S18_S1B_S1C_jS1D_jS1E_S1E_jjS1G_bEUljE0_EEESZ_S10_S11_S18_S1C_S1E_T6_T7_T9_mT8_S1G_bDpT10_ENKUlT_T0_E_clISt17integral_constantIbLb1EES1U_EEDaS1P_S1Q_EUlS1P_E_NS1_11comp_targetILNS1_3genE2ELNS1_11target_archE906ELNS1_3gpuE6ELNS1_3repE0EEENS1_30default_config_static_selectorELNS0_4arch9wavefront6targetE0EEEvS12_
		.amdhsa_group_segment_fixed_size 0
		.amdhsa_private_segment_fixed_size 0
		.amdhsa_kernarg_size 184
		.amdhsa_user_sgpr_count 15
		.amdhsa_user_sgpr_dispatch_ptr 0
		.amdhsa_user_sgpr_queue_ptr 0
		.amdhsa_user_sgpr_kernarg_segment_ptr 1
		.amdhsa_user_sgpr_dispatch_id 0
		.amdhsa_user_sgpr_private_segment_size 0
		.amdhsa_wavefront_size32 1
		.amdhsa_uses_dynamic_stack 0
		.amdhsa_enable_private_segment 0
		.amdhsa_system_sgpr_workgroup_id_x 1
		.amdhsa_system_sgpr_workgroup_id_y 0
		.amdhsa_system_sgpr_workgroup_id_z 0
		.amdhsa_system_sgpr_workgroup_info 0
		.amdhsa_system_vgpr_workitem_id 0
		.amdhsa_next_free_vgpr 1
		.amdhsa_next_free_sgpr 1
		.amdhsa_reserve_vcc 0
		.amdhsa_float_round_mode_32 0
		.amdhsa_float_round_mode_16_64 0
		.amdhsa_float_denorm_mode_32 3
		.amdhsa_float_denorm_mode_16_64 3
		.amdhsa_dx10_clamp 1
		.amdhsa_ieee_mode 1
		.amdhsa_fp16_overflow 0
		.amdhsa_workgroup_processor_mode 1
		.amdhsa_memory_ordered 1
		.amdhsa_forward_progress 0
		.amdhsa_shared_vgpr_count 0
		.amdhsa_exception_fp_ieee_invalid_op 0
		.amdhsa_exception_fp_denorm_src 0
		.amdhsa_exception_fp_ieee_div_zero 0
		.amdhsa_exception_fp_ieee_overflow 0
		.amdhsa_exception_fp_ieee_underflow 0
		.amdhsa_exception_fp_ieee_inexact 0
		.amdhsa_exception_int_div_zero 0
	.end_amdhsa_kernel
	.section	.text._ZN7rocprim17ROCPRIM_400000_NS6detail17trampoline_kernelINS0_13select_configILj256ELj13ELNS0_17block_load_methodE3ELS4_3ELS4_3ELNS0_20block_scan_algorithmE0ELj4294967295EEENS1_25partition_config_selectorILNS1_17partition_subalgoE4EjNS0_10empty_typeEbEEZZNS1_14partition_implILS8_4ELb0ES6_15HIP_vector_typeIjLj2EENS0_17counting_iteratorIjlEEPS9_SG_NS0_5tupleIJPjSI_NS0_16reverse_iteratorISI_EEEEENSH_IJSG_SG_SG_EEES9_SI_JZNS1_25segmented_radix_sort_implINS0_14default_configELb1EPKhPhPKlPlN2at6native12_GLOBAL__N_18offset_tEEE10hipError_tPvRmT1_PNSt15iterator_traitsIS12_E10value_typeET2_T3_PNS13_IS18_E10value_typeET4_jRbjT5_S1E_jjP12ihipStream_tbEUljE_ZNSN_ISO_Lb1ESQ_SR_ST_SU_SY_EESZ_S10_S11_S12_S16_S17_S18_S1B_S1C_jS1D_jS1E_S1E_jjS1G_bEUljE0_EEESZ_S10_S11_S18_S1C_S1E_T6_T7_T9_mT8_S1G_bDpT10_ENKUlT_T0_E_clISt17integral_constantIbLb1EES1U_EEDaS1P_S1Q_EUlS1P_E_NS1_11comp_targetILNS1_3genE2ELNS1_11target_archE906ELNS1_3gpuE6ELNS1_3repE0EEENS1_30default_config_static_selectorELNS0_4arch9wavefront6targetE0EEEvS12_,"axG",@progbits,_ZN7rocprim17ROCPRIM_400000_NS6detail17trampoline_kernelINS0_13select_configILj256ELj13ELNS0_17block_load_methodE3ELS4_3ELS4_3ELNS0_20block_scan_algorithmE0ELj4294967295EEENS1_25partition_config_selectorILNS1_17partition_subalgoE4EjNS0_10empty_typeEbEEZZNS1_14partition_implILS8_4ELb0ES6_15HIP_vector_typeIjLj2EENS0_17counting_iteratorIjlEEPS9_SG_NS0_5tupleIJPjSI_NS0_16reverse_iteratorISI_EEEEENSH_IJSG_SG_SG_EEES9_SI_JZNS1_25segmented_radix_sort_implINS0_14default_configELb1EPKhPhPKlPlN2at6native12_GLOBAL__N_18offset_tEEE10hipError_tPvRmT1_PNSt15iterator_traitsIS12_E10value_typeET2_T3_PNS13_IS18_E10value_typeET4_jRbjT5_S1E_jjP12ihipStream_tbEUljE_ZNSN_ISO_Lb1ESQ_SR_ST_SU_SY_EESZ_S10_S11_S12_S16_S17_S18_S1B_S1C_jS1D_jS1E_S1E_jjS1G_bEUljE0_EEESZ_S10_S11_S18_S1C_S1E_T6_T7_T9_mT8_S1G_bDpT10_ENKUlT_T0_E_clISt17integral_constantIbLb1EES1U_EEDaS1P_S1Q_EUlS1P_E_NS1_11comp_targetILNS1_3genE2ELNS1_11target_archE906ELNS1_3gpuE6ELNS1_3repE0EEENS1_30default_config_static_selectorELNS0_4arch9wavefront6targetE0EEEvS12_,comdat
.Lfunc_end25:
	.size	_ZN7rocprim17ROCPRIM_400000_NS6detail17trampoline_kernelINS0_13select_configILj256ELj13ELNS0_17block_load_methodE3ELS4_3ELS4_3ELNS0_20block_scan_algorithmE0ELj4294967295EEENS1_25partition_config_selectorILNS1_17partition_subalgoE4EjNS0_10empty_typeEbEEZZNS1_14partition_implILS8_4ELb0ES6_15HIP_vector_typeIjLj2EENS0_17counting_iteratorIjlEEPS9_SG_NS0_5tupleIJPjSI_NS0_16reverse_iteratorISI_EEEEENSH_IJSG_SG_SG_EEES9_SI_JZNS1_25segmented_radix_sort_implINS0_14default_configELb1EPKhPhPKlPlN2at6native12_GLOBAL__N_18offset_tEEE10hipError_tPvRmT1_PNSt15iterator_traitsIS12_E10value_typeET2_T3_PNS13_IS18_E10value_typeET4_jRbjT5_S1E_jjP12ihipStream_tbEUljE_ZNSN_ISO_Lb1ESQ_SR_ST_SU_SY_EESZ_S10_S11_S12_S16_S17_S18_S1B_S1C_jS1D_jS1E_S1E_jjS1G_bEUljE0_EEESZ_S10_S11_S18_S1C_S1E_T6_T7_T9_mT8_S1G_bDpT10_ENKUlT_T0_E_clISt17integral_constantIbLb1EES1U_EEDaS1P_S1Q_EUlS1P_E_NS1_11comp_targetILNS1_3genE2ELNS1_11target_archE906ELNS1_3gpuE6ELNS1_3repE0EEENS1_30default_config_static_selectorELNS0_4arch9wavefront6targetE0EEEvS12_, .Lfunc_end25-_ZN7rocprim17ROCPRIM_400000_NS6detail17trampoline_kernelINS0_13select_configILj256ELj13ELNS0_17block_load_methodE3ELS4_3ELS4_3ELNS0_20block_scan_algorithmE0ELj4294967295EEENS1_25partition_config_selectorILNS1_17partition_subalgoE4EjNS0_10empty_typeEbEEZZNS1_14partition_implILS8_4ELb0ES6_15HIP_vector_typeIjLj2EENS0_17counting_iteratorIjlEEPS9_SG_NS0_5tupleIJPjSI_NS0_16reverse_iteratorISI_EEEEENSH_IJSG_SG_SG_EEES9_SI_JZNS1_25segmented_radix_sort_implINS0_14default_configELb1EPKhPhPKlPlN2at6native12_GLOBAL__N_18offset_tEEE10hipError_tPvRmT1_PNSt15iterator_traitsIS12_E10value_typeET2_T3_PNS13_IS18_E10value_typeET4_jRbjT5_S1E_jjP12ihipStream_tbEUljE_ZNSN_ISO_Lb1ESQ_SR_ST_SU_SY_EESZ_S10_S11_S12_S16_S17_S18_S1B_S1C_jS1D_jS1E_S1E_jjS1G_bEUljE0_EEESZ_S10_S11_S18_S1C_S1E_T6_T7_T9_mT8_S1G_bDpT10_ENKUlT_T0_E_clISt17integral_constantIbLb1EES1U_EEDaS1P_S1Q_EUlS1P_E_NS1_11comp_targetILNS1_3genE2ELNS1_11target_archE906ELNS1_3gpuE6ELNS1_3repE0EEENS1_30default_config_static_selectorELNS0_4arch9wavefront6targetE0EEEvS12_
                                        ; -- End function
	.section	.AMDGPU.csdata,"",@progbits
; Kernel info:
; codeLenInByte = 0
; NumSgprs: 0
; NumVgprs: 0
; ScratchSize: 0
; MemoryBound: 0
; FloatMode: 240
; IeeeMode: 1
; LDSByteSize: 0 bytes/workgroup (compile time only)
; SGPRBlocks: 0
; VGPRBlocks: 0
; NumSGPRsForWavesPerEU: 1
; NumVGPRsForWavesPerEU: 1
; Occupancy: 16
; WaveLimiterHint : 0
; COMPUTE_PGM_RSRC2:SCRATCH_EN: 0
; COMPUTE_PGM_RSRC2:USER_SGPR: 15
; COMPUTE_PGM_RSRC2:TRAP_HANDLER: 0
; COMPUTE_PGM_RSRC2:TGID_X_EN: 1
; COMPUTE_PGM_RSRC2:TGID_Y_EN: 0
; COMPUTE_PGM_RSRC2:TGID_Z_EN: 0
; COMPUTE_PGM_RSRC2:TIDIG_COMP_CNT: 0
	.section	.text._ZN7rocprim17ROCPRIM_400000_NS6detail17trampoline_kernelINS0_13select_configILj256ELj13ELNS0_17block_load_methodE3ELS4_3ELS4_3ELNS0_20block_scan_algorithmE0ELj4294967295EEENS1_25partition_config_selectorILNS1_17partition_subalgoE4EjNS0_10empty_typeEbEEZZNS1_14partition_implILS8_4ELb0ES6_15HIP_vector_typeIjLj2EENS0_17counting_iteratorIjlEEPS9_SG_NS0_5tupleIJPjSI_NS0_16reverse_iteratorISI_EEEEENSH_IJSG_SG_SG_EEES9_SI_JZNS1_25segmented_radix_sort_implINS0_14default_configELb1EPKhPhPKlPlN2at6native12_GLOBAL__N_18offset_tEEE10hipError_tPvRmT1_PNSt15iterator_traitsIS12_E10value_typeET2_T3_PNS13_IS18_E10value_typeET4_jRbjT5_S1E_jjP12ihipStream_tbEUljE_ZNSN_ISO_Lb1ESQ_SR_ST_SU_SY_EESZ_S10_S11_S12_S16_S17_S18_S1B_S1C_jS1D_jS1E_S1E_jjS1G_bEUljE0_EEESZ_S10_S11_S18_S1C_S1E_T6_T7_T9_mT8_S1G_bDpT10_ENKUlT_T0_E_clISt17integral_constantIbLb1EES1U_EEDaS1P_S1Q_EUlS1P_E_NS1_11comp_targetILNS1_3genE10ELNS1_11target_archE1200ELNS1_3gpuE4ELNS1_3repE0EEENS1_30default_config_static_selectorELNS0_4arch9wavefront6targetE0EEEvS12_,"axG",@progbits,_ZN7rocprim17ROCPRIM_400000_NS6detail17trampoline_kernelINS0_13select_configILj256ELj13ELNS0_17block_load_methodE3ELS4_3ELS4_3ELNS0_20block_scan_algorithmE0ELj4294967295EEENS1_25partition_config_selectorILNS1_17partition_subalgoE4EjNS0_10empty_typeEbEEZZNS1_14partition_implILS8_4ELb0ES6_15HIP_vector_typeIjLj2EENS0_17counting_iteratorIjlEEPS9_SG_NS0_5tupleIJPjSI_NS0_16reverse_iteratorISI_EEEEENSH_IJSG_SG_SG_EEES9_SI_JZNS1_25segmented_radix_sort_implINS0_14default_configELb1EPKhPhPKlPlN2at6native12_GLOBAL__N_18offset_tEEE10hipError_tPvRmT1_PNSt15iterator_traitsIS12_E10value_typeET2_T3_PNS13_IS18_E10value_typeET4_jRbjT5_S1E_jjP12ihipStream_tbEUljE_ZNSN_ISO_Lb1ESQ_SR_ST_SU_SY_EESZ_S10_S11_S12_S16_S17_S18_S1B_S1C_jS1D_jS1E_S1E_jjS1G_bEUljE0_EEESZ_S10_S11_S18_S1C_S1E_T6_T7_T9_mT8_S1G_bDpT10_ENKUlT_T0_E_clISt17integral_constantIbLb1EES1U_EEDaS1P_S1Q_EUlS1P_E_NS1_11comp_targetILNS1_3genE10ELNS1_11target_archE1200ELNS1_3gpuE4ELNS1_3repE0EEENS1_30default_config_static_selectorELNS0_4arch9wavefront6targetE0EEEvS12_,comdat
	.globl	_ZN7rocprim17ROCPRIM_400000_NS6detail17trampoline_kernelINS0_13select_configILj256ELj13ELNS0_17block_load_methodE3ELS4_3ELS4_3ELNS0_20block_scan_algorithmE0ELj4294967295EEENS1_25partition_config_selectorILNS1_17partition_subalgoE4EjNS0_10empty_typeEbEEZZNS1_14partition_implILS8_4ELb0ES6_15HIP_vector_typeIjLj2EENS0_17counting_iteratorIjlEEPS9_SG_NS0_5tupleIJPjSI_NS0_16reverse_iteratorISI_EEEEENSH_IJSG_SG_SG_EEES9_SI_JZNS1_25segmented_radix_sort_implINS0_14default_configELb1EPKhPhPKlPlN2at6native12_GLOBAL__N_18offset_tEEE10hipError_tPvRmT1_PNSt15iterator_traitsIS12_E10value_typeET2_T3_PNS13_IS18_E10value_typeET4_jRbjT5_S1E_jjP12ihipStream_tbEUljE_ZNSN_ISO_Lb1ESQ_SR_ST_SU_SY_EESZ_S10_S11_S12_S16_S17_S18_S1B_S1C_jS1D_jS1E_S1E_jjS1G_bEUljE0_EEESZ_S10_S11_S18_S1C_S1E_T6_T7_T9_mT8_S1G_bDpT10_ENKUlT_T0_E_clISt17integral_constantIbLb1EES1U_EEDaS1P_S1Q_EUlS1P_E_NS1_11comp_targetILNS1_3genE10ELNS1_11target_archE1200ELNS1_3gpuE4ELNS1_3repE0EEENS1_30default_config_static_selectorELNS0_4arch9wavefront6targetE0EEEvS12_ ; -- Begin function _ZN7rocprim17ROCPRIM_400000_NS6detail17trampoline_kernelINS0_13select_configILj256ELj13ELNS0_17block_load_methodE3ELS4_3ELS4_3ELNS0_20block_scan_algorithmE0ELj4294967295EEENS1_25partition_config_selectorILNS1_17partition_subalgoE4EjNS0_10empty_typeEbEEZZNS1_14partition_implILS8_4ELb0ES6_15HIP_vector_typeIjLj2EENS0_17counting_iteratorIjlEEPS9_SG_NS0_5tupleIJPjSI_NS0_16reverse_iteratorISI_EEEEENSH_IJSG_SG_SG_EEES9_SI_JZNS1_25segmented_radix_sort_implINS0_14default_configELb1EPKhPhPKlPlN2at6native12_GLOBAL__N_18offset_tEEE10hipError_tPvRmT1_PNSt15iterator_traitsIS12_E10value_typeET2_T3_PNS13_IS18_E10value_typeET4_jRbjT5_S1E_jjP12ihipStream_tbEUljE_ZNSN_ISO_Lb1ESQ_SR_ST_SU_SY_EESZ_S10_S11_S12_S16_S17_S18_S1B_S1C_jS1D_jS1E_S1E_jjS1G_bEUljE0_EEESZ_S10_S11_S18_S1C_S1E_T6_T7_T9_mT8_S1G_bDpT10_ENKUlT_T0_E_clISt17integral_constantIbLb1EES1U_EEDaS1P_S1Q_EUlS1P_E_NS1_11comp_targetILNS1_3genE10ELNS1_11target_archE1200ELNS1_3gpuE4ELNS1_3repE0EEENS1_30default_config_static_selectorELNS0_4arch9wavefront6targetE0EEEvS12_
	.p2align	8
	.type	_ZN7rocprim17ROCPRIM_400000_NS6detail17trampoline_kernelINS0_13select_configILj256ELj13ELNS0_17block_load_methodE3ELS4_3ELS4_3ELNS0_20block_scan_algorithmE0ELj4294967295EEENS1_25partition_config_selectorILNS1_17partition_subalgoE4EjNS0_10empty_typeEbEEZZNS1_14partition_implILS8_4ELb0ES6_15HIP_vector_typeIjLj2EENS0_17counting_iteratorIjlEEPS9_SG_NS0_5tupleIJPjSI_NS0_16reverse_iteratorISI_EEEEENSH_IJSG_SG_SG_EEES9_SI_JZNS1_25segmented_radix_sort_implINS0_14default_configELb1EPKhPhPKlPlN2at6native12_GLOBAL__N_18offset_tEEE10hipError_tPvRmT1_PNSt15iterator_traitsIS12_E10value_typeET2_T3_PNS13_IS18_E10value_typeET4_jRbjT5_S1E_jjP12ihipStream_tbEUljE_ZNSN_ISO_Lb1ESQ_SR_ST_SU_SY_EESZ_S10_S11_S12_S16_S17_S18_S1B_S1C_jS1D_jS1E_S1E_jjS1G_bEUljE0_EEESZ_S10_S11_S18_S1C_S1E_T6_T7_T9_mT8_S1G_bDpT10_ENKUlT_T0_E_clISt17integral_constantIbLb1EES1U_EEDaS1P_S1Q_EUlS1P_E_NS1_11comp_targetILNS1_3genE10ELNS1_11target_archE1200ELNS1_3gpuE4ELNS1_3repE0EEENS1_30default_config_static_selectorELNS0_4arch9wavefront6targetE0EEEvS12_,@function
_ZN7rocprim17ROCPRIM_400000_NS6detail17trampoline_kernelINS0_13select_configILj256ELj13ELNS0_17block_load_methodE3ELS4_3ELS4_3ELNS0_20block_scan_algorithmE0ELj4294967295EEENS1_25partition_config_selectorILNS1_17partition_subalgoE4EjNS0_10empty_typeEbEEZZNS1_14partition_implILS8_4ELb0ES6_15HIP_vector_typeIjLj2EENS0_17counting_iteratorIjlEEPS9_SG_NS0_5tupleIJPjSI_NS0_16reverse_iteratorISI_EEEEENSH_IJSG_SG_SG_EEES9_SI_JZNS1_25segmented_radix_sort_implINS0_14default_configELb1EPKhPhPKlPlN2at6native12_GLOBAL__N_18offset_tEEE10hipError_tPvRmT1_PNSt15iterator_traitsIS12_E10value_typeET2_T3_PNS13_IS18_E10value_typeET4_jRbjT5_S1E_jjP12ihipStream_tbEUljE_ZNSN_ISO_Lb1ESQ_SR_ST_SU_SY_EESZ_S10_S11_S12_S16_S17_S18_S1B_S1C_jS1D_jS1E_S1E_jjS1G_bEUljE0_EEESZ_S10_S11_S18_S1C_S1E_T6_T7_T9_mT8_S1G_bDpT10_ENKUlT_T0_E_clISt17integral_constantIbLb1EES1U_EEDaS1P_S1Q_EUlS1P_E_NS1_11comp_targetILNS1_3genE10ELNS1_11target_archE1200ELNS1_3gpuE4ELNS1_3repE0EEENS1_30default_config_static_selectorELNS0_4arch9wavefront6targetE0EEEvS12_: ; @_ZN7rocprim17ROCPRIM_400000_NS6detail17trampoline_kernelINS0_13select_configILj256ELj13ELNS0_17block_load_methodE3ELS4_3ELS4_3ELNS0_20block_scan_algorithmE0ELj4294967295EEENS1_25partition_config_selectorILNS1_17partition_subalgoE4EjNS0_10empty_typeEbEEZZNS1_14partition_implILS8_4ELb0ES6_15HIP_vector_typeIjLj2EENS0_17counting_iteratorIjlEEPS9_SG_NS0_5tupleIJPjSI_NS0_16reverse_iteratorISI_EEEEENSH_IJSG_SG_SG_EEES9_SI_JZNS1_25segmented_radix_sort_implINS0_14default_configELb1EPKhPhPKlPlN2at6native12_GLOBAL__N_18offset_tEEE10hipError_tPvRmT1_PNSt15iterator_traitsIS12_E10value_typeET2_T3_PNS13_IS18_E10value_typeET4_jRbjT5_S1E_jjP12ihipStream_tbEUljE_ZNSN_ISO_Lb1ESQ_SR_ST_SU_SY_EESZ_S10_S11_S12_S16_S17_S18_S1B_S1C_jS1D_jS1E_S1E_jjS1G_bEUljE0_EEESZ_S10_S11_S18_S1C_S1E_T6_T7_T9_mT8_S1G_bDpT10_ENKUlT_T0_E_clISt17integral_constantIbLb1EES1U_EEDaS1P_S1Q_EUlS1P_E_NS1_11comp_targetILNS1_3genE10ELNS1_11target_archE1200ELNS1_3gpuE4ELNS1_3repE0EEENS1_30default_config_static_selectorELNS0_4arch9wavefront6targetE0EEEvS12_
; %bb.0:
	.section	.rodata,"a",@progbits
	.p2align	6, 0x0
	.amdhsa_kernel _ZN7rocprim17ROCPRIM_400000_NS6detail17trampoline_kernelINS0_13select_configILj256ELj13ELNS0_17block_load_methodE3ELS4_3ELS4_3ELNS0_20block_scan_algorithmE0ELj4294967295EEENS1_25partition_config_selectorILNS1_17partition_subalgoE4EjNS0_10empty_typeEbEEZZNS1_14partition_implILS8_4ELb0ES6_15HIP_vector_typeIjLj2EENS0_17counting_iteratorIjlEEPS9_SG_NS0_5tupleIJPjSI_NS0_16reverse_iteratorISI_EEEEENSH_IJSG_SG_SG_EEES9_SI_JZNS1_25segmented_radix_sort_implINS0_14default_configELb1EPKhPhPKlPlN2at6native12_GLOBAL__N_18offset_tEEE10hipError_tPvRmT1_PNSt15iterator_traitsIS12_E10value_typeET2_T3_PNS13_IS18_E10value_typeET4_jRbjT5_S1E_jjP12ihipStream_tbEUljE_ZNSN_ISO_Lb1ESQ_SR_ST_SU_SY_EESZ_S10_S11_S12_S16_S17_S18_S1B_S1C_jS1D_jS1E_S1E_jjS1G_bEUljE0_EEESZ_S10_S11_S18_S1C_S1E_T6_T7_T9_mT8_S1G_bDpT10_ENKUlT_T0_E_clISt17integral_constantIbLb1EES1U_EEDaS1P_S1Q_EUlS1P_E_NS1_11comp_targetILNS1_3genE10ELNS1_11target_archE1200ELNS1_3gpuE4ELNS1_3repE0EEENS1_30default_config_static_selectorELNS0_4arch9wavefront6targetE0EEEvS12_
		.amdhsa_group_segment_fixed_size 0
		.amdhsa_private_segment_fixed_size 0
		.amdhsa_kernarg_size 184
		.amdhsa_user_sgpr_count 15
		.amdhsa_user_sgpr_dispatch_ptr 0
		.amdhsa_user_sgpr_queue_ptr 0
		.amdhsa_user_sgpr_kernarg_segment_ptr 1
		.amdhsa_user_sgpr_dispatch_id 0
		.amdhsa_user_sgpr_private_segment_size 0
		.amdhsa_wavefront_size32 1
		.amdhsa_uses_dynamic_stack 0
		.amdhsa_enable_private_segment 0
		.amdhsa_system_sgpr_workgroup_id_x 1
		.amdhsa_system_sgpr_workgroup_id_y 0
		.amdhsa_system_sgpr_workgroup_id_z 0
		.amdhsa_system_sgpr_workgroup_info 0
		.amdhsa_system_vgpr_workitem_id 0
		.amdhsa_next_free_vgpr 1
		.amdhsa_next_free_sgpr 1
		.amdhsa_reserve_vcc 0
		.amdhsa_float_round_mode_32 0
		.amdhsa_float_round_mode_16_64 0
		.amdhsa_float_denorm_mode_32 3
		.amdhsa_float_denorm_mode_16_64 3
		.amdhsa_dx10_clamp 1
		.amdhsa_ieee_mode 1
		.amdhsa_fp16_overflow 0
		.amdhsa_workgroup_processor_mode 1
		.amdhsa_memory_ordered 1
		.amdhsa_forward_progress 0
		.amdhsa_shared_vgpr_count 0
		.amdhsa_exception_fp_ieee_invalid_op 0
		.amdhsa_exception_fp_denorm_src 0
		.amdhsa_exception_fp_ieee_div_zero 0
		.amdhsa_exception_fp_ieee_overflow 0
		.amdhsa_exception_fp_ieee_underflow 0
		.amdhsa_exception_fp_ieee_inexact 0
		.amdhsa_exception_int_div_zero 0
	.end_amdhsa_kernel
	.section	.text._ZN7rocprim17ROCPRIM_400000_NS6detail17trampoline_kernelINS0_13select_configILj256ELj13ELNS0_17block_load_methodE3ELS4_3ELS4_3ELNS0_20block_scan_algorithmE0ELj4294967295EEENS1_25partition_config_selectorILNS1_17partition_subalgoE4EjNS0_10empty_typeEbEEZZNS1_14partition_implILS8_4ELb0ES6_15HIP_vector_typeIjLj2EENS0_17counting_iteratorIjlEEPS9_SG_NS0_5tupleIJPjSI_NS0_16reverse_iteratorISI_EEEEENSH_IJSG_SG_SG_EEES9_SI_JZNS1_25segmented_radix_sort_implINS0_14default_configELb1EPKhPhPKlPlN2at6native12_GLOBAL__N_18offset_tEEE10hipError_tPvRmT1_PNSt15iterator_traitsIS12_E10value_typeET2_T3_PNS13_IS18_E10value_typeET4_jRbjT5_S1E_jjP12ihipStream_tbEUljE_ZNSN_ISO_Lb1ESQ_SR_ST_SU_SY_EESZ_S10_S11_S12_S16_S17_S18_S1B_S1C_jS1D_jS1E_S1E_jjS1G_bEUljE0_EEESZ_S10_S11_S18_S1C_S1E_T6_T7_T9_mT8_S1G_bDpT10_ENKUlT_T0_E_clISt17integral_constantIbLb1EES1U_EEDaS1P_S1Q_EUlS1P_E_NS1_11comp_targetILNS1_3genE10ELNS1_11target_archE1200ELNS1_3gpuE4ELNS1_3repE0EEENS1_30default_config_static_selectorELNS0_4arch9wavefront6targetE0EEEvS12_,"axG",@progbits,_ZN7rocprim17ROCPRIM_400000_NS6detail17trampoline_kernelINS0_13select_configILj256ELj13ELNS0_17block_load_methodE3ELS4_3ELS4_3ELNS0_20block_scan_algorithmE0ELj4294967295EEENS1_25partition_config_selectorILNS1_17partition_subalgoE4EjNS0_10empty_typeEbEEZZNS1_14partition_implILS8_4ELb0ES6_15HIP_vector_typeIjLj2EENS0_17counting_iteratorIjlEEPS9_SG_NS0_5tupleIJPjSI_NS0_16reverse_iteratorISI_EEEEENSH_IJSG_SG_SG_EEES9_SI_JZNS1_25segmented_radix_sort_implINS0_14default_configELb1EPKhPhPKlPlN2at6native12_GLOBAL__N_18offset_tEEE10hipError_tPvRmT1_PNSt15iterator_traitsIS12_E10value_typeET2_T3_PNS13_IS18_E10value_typeET4_jRbjT5_S1E_jjP12ihipStream_tbEUljE_ZNSN_ISO_Lb1ESQ_SR_ST_SU_SY_EESZ_S10_S11_S12_S16_S17_S18_S1B_S1C_jS1D_jS1E_S1E_jjS1G_bEUljE0_EEESZ_S10_S11_S18_S1C_S1E_T6_T7_T9_mT8_S1G_bDpT10_ENKUlT_T0_E_clISt17integral_constantIbLb1EES1U_EEDaS1P_S1Q_EUlS1P_E_NS1_11comp_targetILNS1_3genE10ELNS1_11target_archE1200ELNS1_3gpuE4ELNS1_3repE0EEENS1_30default_config_static_selectorELNS0_4arch9wavefront6targetE0EEEvS12_,comdat
.Lfunc_end26:
	.size	_ZN7rocprim17ROCPRIM_400000_NS6detail17trampoline_kernelINS0_13select_configILj256ELj13ELNS0_17block_load_methodE3ELS4_3ELS4_3ELNS0_20block_scan_algorithmE0ELj4294967295EEENS1_25partition_config_selectorILNS1_17partition_subalgoE4EjNS0_10empty_typeEbEEZZNS1_14partition_implILS8_4ELb0ES6_15HIP_vector_typeIjLj2EENS0_17counting_iteratorIjlEEPS9_SG_NS0_5tupleIJPjSI_NS0_16reverse_iteratorISI_EEEEENSH_IJSG_SG_SG_EEES9_SI_JZNS1_25segmented_radix_sort_implINS0_14default_configELb1EPKhPhPKlPlN2at6native12_GLOBAL__N_18offset_tEEE10hipError_tPvRmT1_PNSt15iterator_traitsIS12_E10value_typeET2_T3_PNS13_IS18_E10value_typeET4_jRbjT5_S1E_jjP12ihipStream_tbEUljE_ZNSN_ISO_Lb1ESQ_SR_ST_SU_SY_EESZ_S10_S11_S12_S16_S17_S18_S1B_S1C_jS1D_jS1E_S1E_jjS1G_bEUljE0_EEESZ_S10_S11_S18_S1C_S1E_T6_T7_T9_mT8_S1G_bDpT10_ENKUlT_T0_E_clISt17integral_constantIbLb1EES1U_EEDaS1P_S1Q_EUlS1P_E_NS1_11comp_targetILNS1_3genE10ELNS1_11target_archE1200ELNS1_3gpuE4ELNS1_3repE0EEENS1_30default_config_static_selectorELNS0_4arch9wavefront6targetE0EEEvS12_, .Lfunc_end26-_ZN7rocprim17ROCPRIM_400000_NS6detail17trampoline_kernelINS0_13select_configILj256ELj13ELNS0_17block_load_methodE3ELS4_3ELS4_3ELNS0_20block_scan_algorithmE0ELj4294967295EEENS1_25partition_config_selectorILNS1_17partition_subalgoE4EjNS0_10empty_typeEbEEZZNS1_14partition_implILS8_4ELb0ES6_15HIP_vector_typeIjLj2EENS0_17counting_iteratorIjlEEPS9_SG_NS0_5tupleIJPjSI_NS0_16reverse_iteratorISI_EEEEENSH_IJSG_SG_SG_EEES9_SI_JZNS1_25segmented_radix_sort_implINS0_14default_configELb1EPKhPhPKlPlN2at6native12_GLOBAL__N_18offset_tEEE10hipError_tPvRmT1_PNSt15iterator_traitsIS12_E10value_typeET2_T3_PNS13_IS18_E10value_typeET4_jRbjT5_S1E_jjP12ihipStream_tbEUljE_ZNSN_ISO_Lb1ESQ_SR_ST_SU_SY_EESZ_S10_S11_S12_S16_S17_S18_S1B_S1C_jS1D_jS1E_S1E_jjS1G_bEUljE0_EEESZ_S10_S11_S18_S1C_S1E_T6_T7_T9_mT8_S1G_bDpT10_ENKUlT_T0_E_clISt17integral_constantIbLb1EES1U_EEDaS1P_S1Q_EUlS1P_E_NS1_11comp_targetILNS1_3genE10ELNS1_11target_archE1200ELNS1_3gpuE4ELNS1_3repE0EEENS1_30default_config_static_selectorELNS0_4arch9wavefront6targetE0EEEvS12_
                                        ; -- End function
	.section	.AMDGPU.csdata,"",@progbits
; Kernel info:
; codeLenInByte = 0
; NumSgprs: 0
; NumVgprs: 0
; ScratchSize: 0
; MemoryBound: 0
; FloatMode: 240
; IeeeMode: 1
; LDSByteSize: 0 bytes/workgroup (compile time only)
; SGPRBlocks: 0
; VGPRBlocks: 0
; NumSGPRsForWavesPerEU: 1
; NumVGPRsForWavesPerEU: 1
; Occupancy: 16
; WaveLimiterHint : 0
; COMPUTE_PGM_RSRC2:SCRATCH_EN: 0
; COMPUTE_PGM_RSRC2:USER_SGPR: 15
; COMPUTE_PGM_RSRC2:TRAP_HANDLER: 0
; COMPUTE_PGM_RSRC2:TGID_X_EN: 1
; COMPUTE_PGM_RSRC2:TGID_Y_EN: 0
; COMPUTE_PGM_RSRC2:TGID_Z_EN: 0
; COMPUTE_PGM_RSRC2:TIDIG_COMP_CNT: 0
	.section	.text._ZN7rocprim17ROCPRIM_400000_NS6detail17trampoline_kernelINS0_13select_configILj256ELj13ELNS0_17block_load_methodE3ELS4_3ELS4_3ELNS0_20block_scan_algorithmE0ELj4294967295EEENS1_25partition_config_selectorILNS1_17partition_subalgoE4EjNS0_10empty_typeEbEEZZNS1_14partition_implILS8_4ELb0ES6_15HIP_vector_typeIjLj2EENS0_17counting_iteratorIjlEEPS9_SG_NS0_5tupleIJPjSI_NS0_16reverse_iteratorISI_EEEEENSH_IJSG_SG_SG_EEES9_SI_JZNS1_25segmented_radix_sort_implINS0_14default_configELb1EPKhPhPKlPlN2at6native12_GLOBAL__N_18offset_tEEE10hipError_tPvRmT1_PNSt15iterator_traitsIS12_E10value_typeET2_T3_PNS13_IS18_E10value_typeET4_jRbjT5_S1E_jjP12ihipStream_tbEUljE_ZNSN_ISO_Lb1ESQ_SR_ST_SU_SY_EESZ_S10_S11_S12_S16_S17_S18_S1B_S1C_jS1D_jS1E_S1E_jjS1G_bEUljE0_EEESZ_S10_S11_S18_S1C_S1E_T6_T7_T9_mT8_S1G_bDpT10_ENKUlT_T0_E_clISt17integral_constantIbLb1EES1U_EEDaS1P_S1Q_EUlS1P_E_NS1_11comp_targetILNS1_3genE9ELNS1_11target_archE1100ELNS1_3gpuE3ELNS1_3repE0EEENS1_30default_config_static_selectorELNS0_4arch9wavefront6targetE0EEEvS12_,"axG",@progbits,_ZN7rocprim17ROCPRIM_400000_NS6detail17trampoline_kernelINS0_13select_configILj256ELj13ELNS0_17block_load_methodE3ELS4_3ELS4_3ELNS0_20block_scan_algorithmE0ELj4294967295EEENS1_25partition_config_selectorILNS1_17partition_subalgoE4EjNS0_10empty_typeEbEEZZNS1_14partition_implILS8_4ELb0ES6_15HIP_vector_typeIjLj2EENS0_17counting_iteratorIjlEEPS9_SG_NS0_5tupleIJPjSI_NS0_16reverse_iteratorISI_EEEEENSH_IJSG_SG_SG_EEES9_SI_JZNS1_25segmented_radix_sort_implINS0_14default_configELb1EPKhPhPKlPlN2at6native12_GLOBAL__N_18offset_tEEE10hipError_tPvRmT1_PNSt15iterator_traitsIS12_E10value_typeET2_T3_PNS13_IS18_E10value_typeET4_jRbjT5_S1E_jjP12ihipStream_tbEUljE_ZNSN_ISO_Lb1ESQ_SR_ST_SU_SY_EESZ_S10_S11_S12_S16_S17_S18_S1B_S1C_jS1D_jS1E_S1E_jjS1G_bEUljE0_EEESZ_S10_S11_S18_S1C_S1E_T6_T7_T9_mT8_S1G_bDpT10_ENKUlT_T0_E_clISt17integral_constantIbLb1EES1U_EEDaS1P_S1Q_EUlS1P_E_NS1_11comp_targetILNS1_3genE9ELNS1_11target_archE1100ELNS1_3gpuE3ELNS1_3repE0EEENS1_30default_config_static_selectorELNS0_4arch9wavefront6targetE0EEEvS12_,comdat
	.globl	_ZN7rocprim17ROCPRIM_400000_NS6detail17trampoline_kernelINS0_13select_configILj256ELj13ELNS0_17block_load_methodE3ELS4_3ELS4_3ELNS0_20block_scan_algorithmE0ELj4294967295EEENS1_25partition_config_selectorILNS1_17partition_subalgoE4EjNS0_10empty_typeEbEEZZNS1_14partition_implILS8_4ELb0ES6_15HIP_vector_typeIjLj2EENS0_17counting_iteratorIjlEEPS9_SG_NS0_5tupleIJPjSI_NS0_16reverse_iteratorISI_EEEEENSH_IJSG_SG_SG_EEES9_SI_JZNS1_25segmented_radix_sort_implINS0_14default_configELb1EPKhPhPKlPlN2at6native12_GLOBAL__N_18offset_tEEE10hipError_tPvRmT1_PNSt15iterator_traitsIS12_E10value_typeET2_T3_PNS13_IS18_E10value_typeET4_jRbjT5_S1E_jjP12ihipStream_tbEUljE_ZNSN_ISO_Lb1ESQ_SR_ST_SU_SY_EESZ_S10_S11_S12_S16_S17_S18_S1B_S1C_jS1D_jS1E_S1E_jjS1G_bEUljE0_EEESZ_S10_S11_S18_S1C_S1E_T6_T7_T9_mT8_S1G_bDpT10_ENKUlT_T0_E_clISt17integral_constantIbLb1EES1U_EEDaS1P_S1Q_EUlS1P_E_NS1_11comp_targetILNS1_3genE9ELNS1_11target_archE1100ELNS1_3gpuE3ELNS1_3repE0EEENS1_30default_config_static_selectorELNS0_4arch9wavefront6targetE0EEEvS12_ ; -- Begin function _ZN7rocprim17ROCPRIM_400000_NS6detail17trampoline_kernelINS0_13select_configILj256ELj13ELNS0_17block_load_methodE3ELS4_3ELS4_3ELNS0_20block_scan_algorithmE0ELj4294967295EEENS1_25partition_config_selectorILNS1_17partition_subalgoE4EjNS0_10empty_typeEbEEZZNS1_14partition_implILS8_4ELb0ES6_15HIP_vector_typeIjLj2EENS0_17counting_iteratorIjlEEPS9_SG_NS0_5tupleIJPjSI_NS0_16reverse_iteratorISI_EEEEENSH_IJSG_SG_SG_EEES9_SI_JZNS1_25segmented_radix_sort_implINS0_14default_configELb1EPKhPhPKlPlN2at6native12_GLOBAL__N_18offset_tEEE10hipError_tPvRmT1_PNSt15iterator_traitsIS12_E10value_typeET2_T3_PNS13_IS18_E10value_typeET4_jRbjT5_S1E_jjP12ihipStream_tbEUljE_ZNSN_ISO_Lb1ESQ_SR_ST_SU_SY_EESZ_S10_S11_S12_S16_S17_S18_S1B_S1C_jS1D_jS1E_S1E_jjS1G_bEUljE0_EEESZ_S10_S11_S18_S1C_S1E_T6_T7_T9_mT8_S1G_bDpT10_ENKUlT_T0_E_clISt17integral_constantIbLb1EES1U_EEDaS1P_S1Q_EUlS1P_E_NS1_11comp_targetILNS1_3genE9ELNS1_11target_archE1100ELNS1_3gpuE3ELNS1_3repE0EEENS1_30default_config_static_selectorELNS0_4arch9wavefront6targetE0EEEvS12_
	.p2align	8
	.type	_ZN7rocprim17ROCPRIM_400000_NS6detail17trampoline_kernelINS0_13select_configILj256ELj13ELNS0_17block_load_methodE3ELS4_3ELS4_3ELNS0_20block_scan_algorithmE0ELj4294967295EEENS1_25partition_config_selectorILNS1_17partition_subalgoE4EjNS0_10empty_typeEbEEZZNS1_14partition_implILS8_4ELb0ES6_15HIP_vector_typeIjLj2EENS0_17counting_iteratorIjlEEPS9_SG_NS0_5tupleIJPjSI_NS0_16reverse_iteratorISI_EEEEENSH_IJSG_SG_SG_EEES9_SI_JZNS1_25segmented_radix_sort_implINS0_14default_configELb1EPKhPhPKlPlN2at6native12_GLOBAL__N_18offset_tEEE10hipError_tPvRmT1_PNSt15iterator_traitsIS12_E10value_typeET2_T3_PNS13_IS18_E10value_typeET4_jRbjT5_S1E_jjP12ihipStream_tbEUljE_ZNSN_ISO_Lb1ESQ_SR_ST_SU_SY_EESZ_S10_S11_S12_S16_S17_S18_S1B_S1C_jS1D_jS1E_S1E_jjS1G_bEUljE0_EEESZ_S10_S11_S18_S1C_S1E_T6_T7_T9_mT8_S1G_bDpT10_ENKUlT_T0_E_clISt17integral_constantIbLb1EES1U_EEDaS1P_S1Q_EUlS1P_E_NS1_11comp_targetILNS1_3genE9ELNS1_11target_archE1100ELNS1_3gpuE3ELNS1_3repE0EEENS1_30default_config_static_selectorELNS0_4arch9wavefront6targetE0EEEvS12_,@function
_ZN7rocprim17ROCPRIM_400000_NS6detail17trampoline_kernelINS0_13select_configILj256ELj13ELNS0_17block_load_methodE3ELS4_3ELS4_3ELNS0_20block_scan_algorithmE0ELj4294967295EEENS1_25partition_config_selectorILNS1_17partition_subalgoE4EjNS0_10empty_typeEbEEZZNS1_14partition_implILS8_4ELb0ES6_15HIP_vector_typeIjLj2EENS0_17counting_iteratorIjlEEPS9_SG_NS0_5tupleIJPjSI_NS0_16reverse_iteratorISI_EEEEENSH_IJSG_SG_SG_EEES9_SI_JZNS1_25segmented_radix_sort_implINS0_14default_configELb1EPKhPhPKlPlN2at6native12_GLOBAL__N_18offset_tEEE10hipError_tPvRmT1_PNSt15iterator_traitsIS12_E10value_typeET2_T3_PNS13_IS18_E10value_typeET4_jRbjT5_S1E_jjP12ihipStream_tbEUljE_ZNSN_ISO_Lb1ESQ_SR_ST_SU_SY_EESZ_S10_S11_S12_S16_S17_S18_S1B_S1C_jS1D_jS1E_S1E_jjS1G_bEUljE0_EEESZ_S10_S11_S18_S1C_S1E_T6_T7_T9_mT8_S1G_bDpT10_ENKUlT_T0_E_clISt17integral_constantIbLb1EES1U_EEDaS1P_S1Q_EUlS1P_E_NS1_11comp_targetILNS1_3genE9ELNS1_11target_archE1100ELNS1_3gpuE3ELNS1_3repE0EEENS1_30default_config_static_selectorELNS0_4arch9wavefront6targetE0EEEvS12_: ; @_ZN7rocprim17ROCPRIM_400000_NS6detail17trampoline_kernelINS0_13select_configILj256ELj13ELNS0_17block_load_methodE3ELS4_3ELS4_3ELNS0_20block_scan_algorithmE0ELj4294967295EEENS1_25partition_config_selectorILNS1_17partition_subalgoE4EjNS0_10empty_typeEbEEZZNS1_14partition_implILS8_4ELb0ES6_15HIP_vector_typeIjLj2EENS0_17counting_iteratorIjlEEPS9_SG_NS0_5tupleIJPjSI_NS0_16reverse_iteratorISI_EEEEENSH_IJSG_SG_SG_EEES9_SI_JZNS1_25segmented_radix_sort_implINS0_14default_configELb1EPKhPhPKlPlN2at6native12_GLOBAL__N_18offset_tEEE10hipError_tPvRmT1_PNSt15iterator_traitsIS12_E10value_typeET2_T3_PNS13_IS18_E10value_typeET4_jRbjT5_S1E_jjP12ihipStream_tbEUljE_ZNSN_ISO_Lb1ESQ_SR_ST_SU_SY_EESZ_S10_S11_S12_S16_S17_S18_S1B_S1C_jS1D_jS1E_S1E_jjS1G_bEUljE0_EEESZ_S10_S11_S18_S1C_S1E_T6_T7_T9_mT8_S1G_bDpT10_ENKUlT_T0_E_clISt17integral_constantIbLb1EES1U_EEDaS1P_S1Q_EUlS1P_E_NS1_11comp_targetILNS1_3genE9ELNS1_11target_archE1100ELNS1_3gpuE3ELNS1_3repE0EEENS1_30default_config_static_selectorELNS0_4arch9wavefront6targetE0EEEvS12_
; %bb.0:
	s_clause 0x7
	s_load_b64 s[34:35], s[0:1], 0x10
	s_load_b128 s[28:31], s[0:1], 0x28
	s_load_b64 s[14:15], s[0:1], 0x38
	s_load_b128 s[24:27], s[0:1], 0x58
	s_load_b64 s[4:5], s[0:1], 0x68
	s_load_b64 s[36:37], s[0:1], 0x78
	;; [unrolled: 1-line block ×3, first 2 shown]
	s_load_b256 s[16:23], s[0:1], 0x90
	v_cmp_eq_u32_e64 s2, 0, v0
	s_delay_alu instid0(VALU_DEP_1)
	s_and_saveexec_b32 s3, s2
	s_cbranch_execz .LBB27_4
; %bb.1:
	s_mov_b32 s7, exec_lo
	s_mov_b32 s6, exec_lo
	v_mbcnt_lo_u32_b32 v1, s7, 0
                                        ; implicit-def: $vgpr2
	s_delay_alu instid0(VALU_DEP_1)
	v_cmpx_eq_u32_e32 0, v1
	s_cbranch_execz .LBB27_3
; %bb.2:
	s_load_b64 s[8:9], s[0:1], 0x88
	s_bcnt1_i32_b32 s7, s7
	s_delay_alu instid0(SALU_CYCLE_1)
	v_dual_mov_b32 v2, 0 :: v_dual_mov_b32 v3, s7
	s_waitcnt lgkmcnt(0)
	global_atomic_add_u32 v2, v2, v3, s[8:9] glc
.LBB27_3:
	s_or_b32 exec_lo, exec_lo, s6
	s_waitcnt vmcnt(0)
	v_readfirstlane_b32 s6, v2
	s_delay_alu instid0(VALU_DEP_1)
	v_dual_mov_b32 v2, 0 :: v_dual_add_nc_u32 v1, s6, v1
	ds_store_b32 v2, v1
.LBB27_4:
	s_or_b32 exec_lo, exec_lo, s3
	v_mov_b32_e32 v1, 0
	s_clause 0x1
	s_load_b32 s3, s[0:1], 0x8
	s_load_b32 s0, s[0:1], 0x80
	s_waitcnt lgkmcnt(0)
	s_barrier
	buffer_gl0_inv
	ds_load_b32 v5, v1
	s_waitcnt lgkmcnt(0)
	s_barrier
	buffer_gl0_inv
	global_load_b128 v[1:4], v1, s[26:27]
	s_add_i32 s3, s3, s34
	s_mul_i32 s1, s0, 0xd00
	s_add_i32 s0, s0, -1
	s_add_u32 s6, s34, s1
	s_addc_u32 s7, s35, 0
	v_mul_lo_u32 v30, 0xd00, v5
	v_readfirstlane_b32 s26, v5
	v_cmp_lt_u64_e64 s5, s[6:7], s[4:5]
	v_cmp_ne_u32_e32 vcc_lo, s0, v5
	s_delay_alu instid0(VALU_DEP_3) | instskip(SKIP_1) | instid1(VALU_DEP_4)
	s_cmp_eq_u32 s26, s0
	s_cselect_b32 s13, -1, 0
	v_add3_u32 v5, v30, s3, v0
	s_delay_alu instid0(VALU_DEP_3) | instskip(SKIP_2) | instid1(VALU_DEP_1)
	s_or_b32 s0, s5, vcc_lo
	s_mov_b32 s3, -1
	s_and_b32 vcc_lo, exec_lo, s0
	v_add_nc_u32_e32 v6, 0x100, v5
	v_add_nc_u32_e32 v7, 0x200, v5
	;; [unrolled: 1-line block ×12, first 2 shown]
	s_cbranch_vccz .LBB27_6
; %bb.5:
	v_lshlrev_b32_e32 v18, 2, v0
	s_mov_b32 s3, 0
	ds_store_2addr_stride64_b32 v18, v5, v6 offset1:4
	ds_store_2addr_stride64_b32 v18, v7, v8 offset0:8 offset1:12
	ds_store_2addr_stride64_b32 v18, v9, v10 offset0:16 offset1:20
	;; [unrolled: 1-line block ×5, first 2 shown]
	ds_store_b32 v18, v17 offset:12288
	s_waitcnt vmcnt(0) lgkmcnt(0)
	s_barrier
.LBB27_6:
	s_and_not1_b32 vcc_lo, exec_lo, s3
	s_add_i32 s1, s1, s34
	s_cbranch_vccnz .LBB27_8
; %bb.7:
	v_lshlrev_b32_e32 v18, 2, v0
	ds_store_2addr_stride64_b32 v18, v5, v6 offset1:4
	ds_store_2addr_stride64_b32 v18, v7, v8 offset0:8 offset1:12
	ds_store_2addr_stride64_b32 v18, v9, v10 offset0:16 offset1:20
	;; [unrolled: 1-line block ×5, first 2 shown]
	ds_store_b32 v18, v17 offset:12288
	s_waitcnt vmcnt(0) lgkmcnt(0)
	s_barrier
.LBB27_8:
	v_mul_u32_u24_e32 v33, 13, v0
	s_waitcnt vmcnt(0)
	buffer_gl0_inv
	v_cndmask_b32_e64 v31, 0, 1, s0
	s_sub_i32 s40, s4, s1
	s_and_not1_b32 vcc_lo, exec_lo, s0
	v_lshlrev_b32_e32 v5, 2, v33
	ds_load_2addr_b32 v[20:21], v5 offset1:1
	ds_load_2addr_b32 v[18:19], v5 offset0:2 offset1:3
	ds_load_2addr_b32 v[16:17], v5 offset0:4 offset1:5
	;; [unrolled: 1-line block ×5, first 2 shown]
	ds_load_b32 v32, v5 offset:48
	s_waitcnt lgkmcnt(0)
	s_barrier
	buffer_gl0_inv
	s_cbranch_vccnz .LBB27_36
; %bb.9:
	v_add_nc_u32_e32 v5, s17, v20
	v_add_nc_u32_e32 v6, s19, v20
	s_mov_b32 s42, 0
	s_mov_b32 s41, 0
	s_mov_b32 s1, exec_lo
	v_mul_lo_u32 v5, v5, s16
	v_mul_lo_u32 v6, v6, s18
	s_delay_alu instid0(VALU_DEP_1) | instskip(NEXT) | instid1(VALU_DEP_1)
	v_sub_nc_u32_e32 v5, v5, v6
	v_cmp_lt_u32_e32 vcc_lo, s20, v5
	v_cmpx_ge_u32_e64 s20, v5
; %bb.10:
	v_add_nc_u32_e32 v5, s22, v20
	v_add_nc_u32_e32 v6, s38, v20
	s_delay_alu instid0(VALU_DEP_2) | instskip(NEXT) | instid1(VALU_DEP_2)
	v_mul_lo_u32 v5, v5, s21
	v_mul_lo_u32 v6, v6, s23
	s_delay_alu instid0(VALU_DEP_1) | instskip(NEXT) | instid1(VALU_DEP_1)
	v_sub_nc_u32_e32 v5, v5, v6
	v_cmp_lt_u32_e64 s0, s39, v5
	s_delay_alu instid0(VALU_DEP_1)
	s_and_b32 s41, s0, exec_lo
; %bb.11:
	s_or_b32 exec_lo, exec_lo, s1
	v_add_nc_u32_e32 v5, s17, v21
	v_add_nc_u32_e32 v6, s19, v21
	s_mov_b32 s3, exec_lo
	s_delay_alu instid0(VALU_DEP_2) | instskip(NEXT) | instid1(VALU_DEP_2)
	v_mul_lo_u32 v5, v5, s16
	v_mul_lo_u32 v6, v6, s18
	s_delay_alu instid0(VALU_DEP_1) | instskip(NEXT) | instid1(VALU_DEP_1)
	v_sub_nc_u32_e32 v5, v5, v6
	v_cmp_lt_u32_e64 s0, s20, v5
	v_cmpx_ge_u32_e64 s20, v5
; %bb.12:
	v_add_nc_u32_e32 v5, s22, v21
	v_add_nc_u32_e32 v6, s38, v21
	s_delay_alu instid0(VALU_DEP_2) | instskip(NEXT) | instid1(VALU_DEP_2)
	v_mul_lo_u32 v5, v5, s21
	v_mul_lo_u32 v6, v6, s23
	s_delay_alu instid0(VALU_DEP_1) | instskip(NEXT) | instid1(VALU_DEP_1)
	v_sub_nc_u32_e32 v5, v5, v6
	v_cmp_lt_u32_e64 s1, s39, v5
	s_delay_alu instid0(VALU_DEP_1)
	s_and_b32 s42, s1, exec_lo
; %bb.13:
	s_or_b32 exec_lo, exec_lo, s3
	v_add_nc_u32_e32 v5, s17, v18
	v_add_nc_u32_e32 v6, s19, v18
	s_mov_b32 s44, 0
	s_mov_b32 s43, 0
	s_mov_b32 s4, exec_lo
	v_mul_lo_u32 v5, v5, s16
	v_mul_lo_u32 v6, v6, s18
	s_delay_alu instid0(VALU_DEP_1) | instskip(NEXT) | instid1(VALU_DEP_1)
	v_sub_nc_u32_e32 v5, v5, v6
	v_cmp_lt_u32_e64 s1, s20, v5
	v_cmpx_ge_u32_e64 s20, v5
; %bb.14:
	v_add_nc_u32_e32 v5, s22, v18
	v_add_nc_u32_e32 v6, s38, v18
	s_delay_alu instid0(VALU_DEP_2) | instskip(NEXT) | instid1(VALU_DEP_2)
	v_mul_lo_u32 v5, v5, s21
	v_mul_lo_u32 v6, v6, s23
	s_delay_alu instid0(VALU_DEP_1) | instskip(NEXT) | instid1(VALU_DEP_1)
	v_sub_nc_u32_e32 v5, v5, v6
	v_cmp_lt_u32_e64 s3, s39, v5
	s_delay_alu instid0(VALU_DEP_1)
	s_and_b32 s43, s3, exec_lo
; %bb.15:
	s_or_b32 exec_lo, exec_lo, s4
	v_add_nc_u32_e32 v5, s17, v19
	v_add_nc_u32_e32 v6, s19, v19
	s_mov_b32 s5, exec_lo
	s_delay_alu instid0(VALU_DEP_2) | instskip(NEXT) | instid1(VALU_DEP_2)
	v_mul_lo_u32 v5, v5, s16
	v_mul_lo_u32 v6, v6, s18
	s_delay_alu instid0(VALU_DEP_1) | instskip(NEXT) | instid1(VALU_DEP_1)
	v_sub_nc_u32_e32 v5, v5, v6
	v_cmp_lt_u32_e64 s3, s20, v5
	v_cmpx_ge_u32_e64 s20, v5
; %bb.16:
	v_add_nc_u32_e32 v5, s22, v19
	v_add_nc_u32_e32 v6, s38, v19
	s_delay_alu instid0(VALU_DEP_2) | instskip(NEXT) | instid1(VALU_DEP_2)
	v_mul_lo_u32 v5, v5, s21
	v_mul_lo_u32 v6, v6, s23
	s_delay_alu instid0(VALU_DEP_1) | instskip(NEXT) | instid1(VALU_DEP_1)
	v_sub_nc_u32_e32 v5, v5, v6
	v_cmp_lt_u32_e64 s4, s39, v5
	s_delay_alu instid0(VALU_DEP_1)
	s_and_b32 s44, s4, exec_lo
; %bb.17:
	s_or_b32 exec_lo, exec_lo, s5
	v_add_nc_u32_e32 v5, s17, v16
	v_add_nc_u32_e32 v6, s19, v16
	s_mov_b32 s46, 0
	s_mov_b32 s45, 0
	s_mov_b32 s6, exec_lo
	v_mul_lo_u32 v5, v5, s16
	v_mul_lo_u32 v6, v6, s18
	s_delay_alu instid0(VALU_DEP_1) | instskip(NEXT) | instid1(VALU_DEP_1)
	v_sub_nc_u32_e32 v5, v5, v6
	v_cmp_lt_u32_e64 s4, s20, v5
	;; [unrolled: 47-line block ×5, first 2 shown]
	v_cmpx_ge_u32_e64 s20, v5
; %bb.30:
	v_add_nc_u32_e32 v5, s22, v10
	v_add_nc_u32_e32 v6, s38, v10
	s_delay_alu instid0(VALU_DEP_2) | instskip(NEXT) | instid1(VALU_DEP_2)
	v_mul_lo_u32 v5, v5, s21
	v_mul_lo_u32 v6, v6, s23
	s_delay_alu instid0(VALU_DEP_1) | instskip(NEXT) | instid1(VALU_DEP_1)
	v_sub_nc_u32_e32 v5, v5, v6
	v_cmp_lt_u32_e64 s11, s39, v5
	s_delay_alu instid0(VALU_DEP_1)
	s_and_b32 s53, s11, exec_lo
; %bb.31:
	s_or_b32 exec_lo, exec_lo, s12
	v_add_nc_u32_e32 v5, s17, v11
	v_add_nc_u32_e32 v6, s19, v11
	s_mov_b32 s27, exec_lo
	s_delay_alu instid0(VALU_DEP_2) | instskip(NEXT) | instid1(VALU_DEP_2)
	v_mul_lo_u32 v5, v5, s16
	v_mul_lo_u32 v6, v6, s18
	s_delay_alu instid0(VALU_DEP_1) | instskip(NEXT) | instid1(VALU_DEP_1)
	v_sub_nc_u32_e32 v5, v5, v6
	v_cmp_lt_u32_e64 s11, s20, v5
	v_cmpx_ge_u32_e64 s20, v5
; %bb.32:
	v_add_nc_u32_e32 v5, s22, v11
	v_add_nc_u32_e32 v6, s38, v11
	s_delay_alu instid0(VALU_DEP_2) | instskip(NEXT) | instid1(VALU_DEP_2)
	v_mul_lo_u32 v5, v5, s21
	v_mul_lo_u32 v6, v6, s23
	s_delay_alu instid0(VALU_DEP_1) | instskip(NEXT) | instid1(VALU_DEP_1)
	v_sub_nc_u32_e32 v5, v5, v6
	v_cmp_lt_u32_e64 s12, s39, v5
	s_delay_alu instid0(VALU_DEP_1)
	s_and_b32 s52, s12, exec_lo
; %bb.33:
	s_or_b32 exec_lo, exec_lo, s27
	v_add_nc_u32_e32 v5, s17, v32
	v_add_nc_u32_e32 v6, s19, v32
	s_mov_b32 s27, -1
	s_mov_b32 s49, 0
	s_mov_b32 s33, 0
	v_mul_lo_u32 v5, v5, s16
	v_mul_lo_u32 v6, v6, s18
	s_mov_b32 s54, exec_lo
	s_delay_alu instid0(VALU_DEP_1) | instskip(NEXT) | instid1(VALU_DEP_1)
	v_sub_nc_u32_e32 v5, v5, v6
	v_cmpx_ge_u32_e64 s20, v5
; %bb.34:
	v_add_nc_u32_e32 v5, s22, v32
	v_add_nc_u32_e32 v6, s38, v32
	s_xor_b32 s27, exec_lo, -1
	s_delay_alu instid0(VALU_DEP_2) | instskip(NEXT) | instid1(VALU_DEP_2)
	v_mul_lo_u32 v5, v5, s21
	v_mul_lo_u32 v6, v6, s23
	s_delay_alu instid0(VALU_DEP_1) | instskip(NEXT) | instid1(VALU_DEP_1)
	v_sub_nc_u32_e32 v5, v5, v6
	v_cmp_lt_u32_e64 s12, s39, v5
	s_delay_alu instid0(VALU_DEP_1)
	s_and_b32 s33, s12, exec_lo
; %bb.35:
	s_or_b32 exec_lo, exec_lo, s54
	v_cndmask_b32_e64 v53, 0, 1, s53
	v_cndmask_b32_e64 v56, 0, 1, s11
	;; [unrolled: 1-line block ×22, first 2 shown]
	v_cndmask_b32_e64 v34, 0, 1, vcc_lo
	v_cndmask_b32_e64 v57, 0, 1, s52
	s_and_b32 vcc_lo, exec_lo, s49
	s_add_i32 s4, s40, 0xd00
	s_cbranch_vccnz .LBB27_37
	s_branch .LBB27_90
.LBB27_36:
                                        ; implicit-def: $sgpr27
                                        ; implicit-def: $sgpr33
                                        ; implicit-def: $vgpr57
                                        ; implicit-def: $vgpr53
                                        ; implicit-def: $vgpr52
                                        ; implicit-def: $vgpr50
                                        ; implicit-def: $vgpr48
                                        ; implicit-def: $vgpr46
                                        ; implicit-def: $vgpr44
                                        ; implicit-def: $vgpr42
                                        ; implicit-def: $vgpr39
                                        ; implicit-def: $vgpr34
                                        ; implicit-def: $vgpr37
                                        ; implicit-def: $vgpr36
                                        ; implicit-def: $vgpr41
                                        ; implicit-def: $vgpr43
                                        ; implicit-def: $vgpr45
                                        ; implicit-def: $vgpr47
                                        ; implicit-def: $vgpr49
                                        ; implicit-def: $vgpr51
                                        ; implicit-def: $vgpr54
                                        ; implicit-def: $vgpr55
                                        ; implicit-def: $vgpr56
                                        ; implicit-def: $vgpr35
                                        ; implicit-def: $vgpr40
                                        ; implicit-def: $vgpr38
	s_add_i32 s4, s40, 0xd00
	s_cbranch_execz .LBB27_90
.LBB27_37:
	v_dual_mov_b32 v35, 0 :: v_dual_mov_b32 v34, 0
	s_mov_b32 s3, 0
	s_mov_b32 s1, exec_lo
	v_cmpx_gt_u32_e64 s4, v33
	s_cbranch_execz .LBB27_41
; %bb.38:
	v_add_nc_u32_e32 v5, s17, v20
	v_add_nc_u32_e32 v6, s19, v20
	s_mov_b32 s5, exec_lo
	s_delay_alu instid0(VALU_DEP_2) | instskip(NEXT) | instid1(VALU_DEP_2)
	v_mul_lo_u32 v5, v5, s16
	v_mul_lo_u32 v6, v6, s18
	s_delay_alu instid0(VALU_DEP_1) | instskip(NEXT) | instid1(VALU_DEP_1)
	v_sub_nc_u32_e32 v5, v5, v6
	v_cmp_lt_u32_e32 vcc_lo, s20, v5
	v_cmpx_ge_u32_e64 s20, v5
; %bb.39:
	v_add_nc_u32_e32 v5, s22, v20
	v_add_nc_u32_e32 v6, s38, v20
	s_delay_alu instid0(VALU_DEP_2) | instskip(NEXT) | instid1(VALU_DEP_2)
	v_mul_lo_u32 v5, v5, s21
	v_mul_lo_u32 v6, v6, s23
	s_delay_alu instid0(VALU_DEP_1) | instskip(NEXT) | instid1(VALU_DEP_1)
	v_sub_nc_u32_e32 v5, v5, v6
	v_cmp_lt_u32_e64 s0, s39, v5
	s_delay_alu instid0(VALU_DEP_1)
	s_and_b32 s3, s0, exec_lo
; %bb.40:
	s_or_b32 exec_lo, exec_lo, s5
	v_cndmask_b32_e64 v34, 0, 1, vcc_lo
	v_cndmask_b32_e64 v35, 0, 1, s3
.LBB27_41:
	s_or_b32 exec_lo, exec_lo, s1
	v_dual_mov_b32 v40, 0 :: v_dual_add_nc_u32 v5, 1, v33
	v_mov_b32_e32 v37, 0
	s_mov_b32 s3, 0
	s_mov_b32 s1, exec_lo
	s_delay_alu instid0(VALU_DEP_2)
	v_cmpx_gt_u32_e64 s4, v5
	s_cbranch_execz .LBB27_45
; %bb.42:
	v_add_nc_u32_e32 v5, s17, v21
	v_add_nc_u32_e32 v6, s19, v21
	s_mov_b32 s5, exec_lo
	s_delay_alu instid0(VALU_DEP_2) | instskip(NEXT) | instid1(VALU_DEP_2)
	v_mul_lo_u32 v5, v5, s16
	v_mul_lo_u32 v6, v6, s18
	s_delay_alu instid0(VALU_DEP_1) | instskip(NEXT) | instid1(VALU_DEP_1)
	v_sub_nc_u32_e32 v5, v5, v6
	v_cmp_lt_u32_e32 vcc_lo, s20, v5
	v_cmpx_ge_u32_e64 s20, v5
; %bb.43:
	v_add_nc_u32_e32 v5, s22, v21
	v_add_nc_u32_e32 v6, s38, v21
	s_delay_alu instid0(VALU_DEP_2) | instskip(NEXT) | instid1(VALU_DEP_2)
	v_mul_lo_u32 v5, v5, s21
	v_mul_lo_u32 v6, v6, s23
	s_delay_alu instid0(VALU_DEP_1) | instskip(NEXT) | instid1(VALU_DEP_1)
	v_sub_nc_u32_e32 v5, v5, v6
	v_cmp_lt_u32_e64 s0, s39, v5
	s_delay_alu instid0(VALU_DEP_1)
	s_and_b32 s3, s0, exec_lo
; %bb.44:
	s_or_b32 exec_lo, exec_lo, s5
	v_cndmask_b32_e64 v37, 0, 1, vcc_lo
	v_cndmask_b32_e64 v40, 0, 1, s3
.LBB27_45:
	s_or_b32 exec_lo, exec_lo, s1
	v_dual_mov_b32 v36, 0 :: v_dual_add_nc_u32 v5, 2, v33
	v_mov_b32_e32 v38, 0
	s_mov_b32 s3, 0
	s_mov_b32 s1, exec_lo
	s_delay_alu instid0(VALU_DEP_2)
	v_cmpx_gt_u32_e64 s4, v5
	s_cbranch_execz .LBB27_49
; %bb.46:
	v_add_nc_u32_e32 v5, s17, v18
	v_add_nc_u32_e32 v6, s19, v18
	s_mov_b32 s5, exec_lo
	s_delay_alu instid0(VALU_DEP_2) | instskip(NEXT) | instid1(VALU_DEP_2)
	v_mul_lo_u32 v5, v5, s16
	v_mul_lo_u32 v6, v6, s18
	s_delay_alu instid0(VALU_DEP_1) | instskip(NEXT) | instid1(VALU_DEP_1)
	v_sub_nc_u32_e32 v5, v5, v6
	v_cmp_lt_u32_e32 vcc_lo, s20, v5
	v_cmpx_ge_u32_e64 s20, v5
; %bb.47:
	v_add_nc_u32_e32 v5, s22, v18
	v_add_nc_u32_e32 v6, s38, v18
	s_delay_alu instid0(VALU_DEP_2) | instskip(NEXT) | instid1(VALU_DEP_2)
	v_mul_lo_u32 v5, v5, s21
	v_mul_lo_u32 v6, v6, s23
	s_delay_alu instid0(VALU_DEP_1) | instskip(NEXT) | instid1(VALU_DEP_1)
	v_sub_nc_u32_e32 v5, v5, v6
	v_cmp_lt_u32_e64 s0, s39, v5
	s_delay_alu instid0(VALU_DEP_1)
	s_and_b32 s3, s0, exec_lo
; %bb.48:
	s_or_b32 exec_lo, exec_lo, s5
	v_cndmask_b32_e64 v36, 0, 1, vcc_lo
	v_cndmask_b32_e64 v38, 0, 1, s3
.LBB27_49:
	s_or_b32 exec_lo, exec_lo, s1
	v_add_nc_u32_e32 v5, 3, v33
	v_mov_b32_e32 v39, 0
	v_mov_b32_e32 v41, 0
	s_mov_b32 s3, 0
	s_mov_b32 s1, exec_lo
	v_cmpx_gt_u32_e64 s4, v5
	s_cbranch_execz .LBB27_53
; %bb.50:
	v_add_nc_u32_e32 v5, s17, v19
	v_add_nc_u32_e32 v6, s19, v19
	s_mov_b32 s5, exec_lo
	s_delay_alu instid0(VALU_DEP_2) | instskip(NEXT) | instid1(VALU_DEP_2)
	v_mul_lo_u32 v5, v5, s16
	v_mul_lo_u32 v6, v6, s18
	s_delay_alu instid0(VALU_DEP_1) | instskip(NEXT) | instid1(VALU_DEP_1)
	v_sub_nc_u32_e32 v5, v5, v6
	v_cmp_lt_u32_e32 vcc_lo, s20, v5
	v_cmpx_ge_u32_e64 s20, v5
; %bb.51:
	v_add_nc_u32_e32 v5, s22, v19
	v_add_nc_u32_e32 v6, s38, v19
	s_delay_alu instid0(VALU_DEP_2) | instskip(NEXT) | instid1(VALU_DEP_2)
	v_mul_lo_u32 v5, v5, s21
	v_mul_lo_u32 v6, v6, s23
	s_delay_alu instid0(VALU_DEP_1) | instskip(NEXT) | instid1(VALU_DEP_1)
	v_sub_nc_u32_e32 v5, v5, v6
	v_cmp_lt_u32_e64 s0, s39, v5
	s_delay_alu instid0(VALU_DEP_1)
	s_and_b32 s3, s0, exec_lo
; %bb.52:
	s_or_b32 exec_lo, exec_lo, s5
	v_cndmask_b32_e64 v41, 0, 1, vcc_lo
	v_cndmask_b32_e64 v39, 0, 1, s3
.LBB27_53:
	s_or_b32 exec_lo, exec_lo, s1
	v_dual_mov_b32 v42, 0 :: v_dual_add_nc_u32 v5, 4, v33
	v_mov_b32_e32 v43, 0
	s_mov_b32 s3, 0
	s_mov_b32 s1, exec_lo
	s_delay_alu instid0(VALU_DEP_2)
	v_cmpx_gt_u32_e64 s4, v5
	s_cbranch_execz .LBB27_57
; %bb.54:
	v_add_nc_u32_e32 v5, s17, v16
	v_add_nc_u32_e32 v6, s19, v16
	s_mov_b32 s5, exec_lo
	s_delay_alu instid0(VALU_DEP_2) | instskip(NEXT) | instid1(VALU_DEP_2)
	v_mul_lo_u32 v5, v5, s16
	v_mul_lo_u32 v6, v6, s18
	s_delay_alu instid0(VALU_DEP_1) | instskip(NEXT) | instid1(VALU_DEP_1)
	v_sub_nc_u32_e32 v5, v5, v6
	v_cmp_lt_u32_e32 vcc_lo, s20, v5
	v_cmpx_ge_u32_e64 s20, v5
; %bb.55:
	v_add_nc_u32_e32 v5, s22, v16
	v_add_nc_u32_e32 v6, s38, v16
	s_delay_alu instid0(VALU_DEP_2) | instskip(NEXT) | instid1(VALU_DEP_2)
	v_mul_lo_u32 v5, v5, s21
	v_mul_lo_u32 v6, v6, s23
	s_delay_alu instid0(VALU_DEP_1) | instskip(NEXT) | instid1(VALU_DEP_1)
	v_sub_nc_u32_e32 v5, v5, v6
	v_cmp_lt_u32_e64 s0, s39, v5
	s_delay_alu instid0(VALU_DEP_1)
	s_and_b32 s3, s0, exec_lo
; %bb.56:
	s_or_b32 exec_lo, exec_lo, s5
	v_cndmask_b32_e64 v43, 0, 1, vcc_lo
	v_cndmask_b32_e64 v42, 0, 1, s3
.LBB27_57:
	s_or_b32 exec_lo, exec_lo, s1
	v_dual_mov_b32 v44, 0 :: v_dual_add_nc_u32 v5, 5, v33
	v_mov_b32_e32 v45, 0
	s_mov_b32 s3, 0
	s_mov_b32 s1, exec_lo
	s_delay_alu instid0(VALU_DEP_2)
	;; [unrolled: 35-line block ×6, first 2 shown]
	v_cmpx_gt_u32_e64 s4, v5
	s_cbranch_execz .LBB27_77
; %bb.74:
	v_add_nc_u32_e32 v5, s17, v13
	v_add_nc_u32_e32 v6, s19, v13
	s_mov_b32 s5, exec_lo
	s_delay_alu instid0(VALU_DEP_2) | instskip(NEXT) | instid1(VALU_DEP_2)
	v_mul_lo_u32 v5, v5, s16
	v_mul_lo_u32 v6, v6, s18
	s_delay_alu instid0(VALU_DEP_1) | instskip(NEXT) | instid1(VALU_DEP_1)
	v_sub_nc_u32_e32 v5, v5, v6
	v_cmp_lt_u32_e32 vcc_lo, s20, v5
	v_cmpx_ge_u32_e64 s20, v5
; %bb.75:
	v_add_nc_u32_e32 v5, s22, v13
	v_add_nc_u32_e32 v6, s38, v13
	s_delay_alu instid0(VALU_DEP_2) | instskip(NEXT) | instid1(VALU_DEP_2)
	v_mul_lo_u32 v5, v5, s21
	v_mul_lo_u32 v6, v6, s23
	s_delay_alu instid0(VALU_DEP_1) | instskip(NEXT) | instid1(VALU_DEP_1)
	v_sub_nc_u32_e32 v5, v5, v6
	v_cmp_lt_u32_e64 s0, s39, v5
	s_delay_alu instid0(VALU_DEP_1)
	s_and_b32 s3, s0, exec_lo
; %bb.76:
	s_or_b32 exec_lo, exec_lo, s5
	v_cndmask_b32_e64 v54, 0, 1, vcc_lo
	v_cndmask_b32_e64 v52, 0, 1, s3
.LBB27_77:
	s_or_b32 exec_lo, exec_lo, s1
	v_add_nc_u32_e32 v5, 10, v33
	v_mov_b32_e32 v53, 0
	v_mov_b32_e32 v55, 0
	s_mov_b32 s3, 0
	s_mov_b32 s1, exec_lo
	v_cmpx_gt_u32_e64 s4, v5
	s_cbranch_execz .LBB27_81
; %bb.78:
	v_add_nc_u32_e32 v5, s17, v10
	v_add_nc_u32_e32 v6, s19, v10
	s_mov_b32 s5, exec_lo
	s_delay_alu instid0(VALU_DEP_2) | instskip(NEXT) | instid1(VALU_DEP_2)
	v_mul_lo_u32 v5, v5, s16
	v_mul_lo_u32 v6, v6, s18
	s_delay_alu instid0(VALU_DEP_1) | instskip(NEXT) | instid1(VALU_DEP_1)
	v_sub_nc_u32_e32 v5, v5, v6
	v_cmp_lt_u32_e32 vcc_lo, s20, v5
	v_cmpx_ge_u32_e64 s20, v5
; %bb.79:
	v_add_nc_u32_e32 v5, s22, v10
	v_add_nc_u32_e32 v6, s38, v10
	s_delay_alu instid0(VALU_DEP_2) | instskip(NEXT) | instid1(VALU_DEP_2)
	v_mul_lo_u32 v5, v5, s21
	v_mul_lo_u32 v6, v6, s23
	s_delay_alu instid0(VALU_DEP_1) | instskip(NEXT) | instid1(VALU_DEP_1)
	v_sub_nc_u32_e32 v5, v5, v6
	v_cmp_lt_u32_e64 s0, s39, v5
	s_delay_alu instid0(VALU_DEP_1)
	s_and_b32 s3, s0, exec_lo
; %bb.80:
	s_or_b32 exec_lo, exec_lo, s5
	v_cndmask_b32_e64 v55, 0, 1, vcc_lo
	v_cndmask_b32_e64 v53, 0, 1, s3
.LBB27_81:
	s_or_b32 exec_lo, exec_lo, s1
	v_dual_mov_b32 v56, 0 :: v_dual_add_nc_u32 v5, 11, v33
	v_mov_b32_e32 v57, 0
	s_mov_b32 s3, 0
	s_mov_b32 s1, exec_lo
	s_delay_alu instid0(VALU_DEP_2)
	v_cmpx_gt_u32_e64 s4, v5
	s_cbranch_execz .LBB27_85
; %bb.82:
	v_add_nc_u32_e32 v5, s17, v11
	v_add_nc_u32_e32 v6, s19, v11
	s_mov_b32 s5, exec_lo
	s_delay_alu instid0(VALU_DEP_2) | instskip(NEXT) | instid1(VALU_DEP_2)
	v_mul_lo_u32 v5, v5, s16
	v_mul_lo_u32 v6, v6, s18
	s_delay_alu instid0(VALU_DEP_1) | instskip(NEXT) | instid1(VALU_DEP_1)
	v_sub_nc_u32_e32 v5, v5, v6
	v_cmp_lt_u32_e32 vcc_lo, s20, v5
	v_cmpx_ge_u32_e64 s20, v5
; %bb.83:
	v_add_nc_u32_e32 v5, s22, v11
	v_add_nc_u32_e32 v6, s38, v11
	s_delay_alu instid0(VALU_DEP_2) | instskip(NEXT) | instid1(VALU_DEP_2)
	v_mul_lo_u32 v5, v5, s21
	v_mul_lo_u32 v6, v6, s23
	s_delay_alu instid0(VALU_DEP_1) | instskip(NEXT) | instid1(VALU_DEP_1)
	v_sub_nc_u32_e32 v5, v5, v6
	v_cmp_lt_u32_e64 s0, s39, v5
	s_delay_alu instid0(VALU_DEP_1)
	s_and_b32 s3, s0, exec_lo
; %bb.84:
	s_or_b32 exec_lo, exec_lo, s5
	v_cndmask_b32_e64 v56, 0, 1, vcc_lo
	v_cndmask_b32_e64 v57, 0, 1, s3
.LBB27_85:
	s_or_b32 exec_lo, exec_lo, s1
	v_add_nc_u32_e32 v5, 12, v33
	s_mov_b32 s27, 0
	s_mov_b32 s33, 0
	s_mov_b32 s0, exec_lo
	s_delay_alu instid0(VALU_DEP_1)
	v_cmpx_gt_u32_e64 s4, v5
	s_cbranch_execz .LBB27_89
; %bb.86:
	v_add_nc_u32_e32 v5, s17, v32
	v_add_nc_u32_e32 v6, s19, v32
	s_mov_b32 s3, -1
	s_mov_b32 s5, 0
	s_mov_b32 s1, exec_lo
	v_mul_lo_u32 v5, v5, s16
	v_mul_lo_u32 v6, v6, s18
	s_delay_alu instid0(VALU_DEP_1) | instskip(NEXT) | instid1(VALU_DEP_1)
	v_sub_nc_u32_e32 v5, v5, v6
	v_cmpx_ge_u32_e64 s20, v5
; %bb.87:
	v_add_nc_u32_e32 v5, s22, v32
	v_add_nc_u32_e32 v6, s38, v32
	s_xor_b32 s3, exec_lo, -1
	s_delay_alu instid0(VALU_DEP_2) | instskip(NEXT) | instid1(VALU_DEP_2)
	v_mul_lo_u32 v5, v5, s21
	v_mul_lo_u32 v6, v6, s23
	s_delay_alu instid0(VALU_DEP_1) | instskip(NEXT) | instid1(VALU_DEP_1)
	v_sub_nc_u32_e32 v5, v5, v6
	v_cmp_lt_u32_e32 vcc_lo, s39, v5
	s_and_b32 s5, vcc_lo, exec_lo
; %bb.88:
	s_or_b32 exec_lo, exec_lo, s1
	s_delay_alu instid0(SALU_CYCLE_1)
	s_and_b32 s33, s5, exec_lo
	s_and_b32 s27, s3, exec_lo
.LBB27_89:
	s_or_b32 exec_lo, exec_lo, s0
.LBB27_90:
	v_and_b32_e32 v80, 0xff, v34
	v_and_b32_e32 v81, 0xff, v35
	;; [unrolled: 1-line block ×10, first 2 shown]
	v_add3_u32 v5, v76, v78, v80
	v_add3_u32 v6, v77, v79, v81
	v_and_b32_e32 v70, 0xff, v45
	v_and_b32_e32 v71, 0xff, v44
	v_and_b32_e32 v64, 0xff, v47
	v_and_b32_e32 v65, 0xff, v46
	v_add3_u32 v5, v5, v74, v72
	v_add3_u32 v6, v6, v75, v73
	v_and_b32_e32 v68, 0xff, v49
	v_and_b32_e32 v69, 0xff, v48
	v_and_b32_e32 v66, 0xff, v51
	v_and_b32_e32 v67, 0xff, v50
	;; [unrolled: 6-line block ×3, first 2 shown]
	v_add3_u32 v5, v5, v68, v66
	v_add3_u32 v6, v6, v69, v67
	v_mbcnt_lo_u32_b32 v82, -1, 0
	v_and_b32_e32 v58, 0xff, v56
	v_and_b32_e32 v59, 0xff, v57
	v_cndmask_b32_e64 v7, 0, 1, s33
	v_add3_u32 v5, v5, v61, v60
	v_cndmask_b32_e64 v8, 0, 1, s27
	v_add3_u32 v6, v6, v62, v63
	v_and_b32_e32 v86, 15, v82
	v_and_b32_e32 v85, 16, v82
	v_lshrrev_b32_e32 v83, 5, v0
	v_add3_u32 v87, v5, v58, v8
	v_add3_u32 v88, v6, v59, v7
	v_cmp_eq_u32_e64 s1, 0, v86
	v_cmp_lt_u32_e64 s0, 1, v86
	v_cmp_lt_u32_e64 s3, 3, v86
	v_cmp_lt_u32_e32 vcc_lo, 7, v86
	v_or_b32_e32 v84, 31, v0
	s_cmp_lg_u32 s26, 0
	s_mov_b32 s5, -1
	s_cbranch_scc0 .LBB27_123
; %bb.91:
	v_mov_b32_dpp v5, v88 row_shr:1 row_mask:0xf bank_mask:0xf
	v_mov_b32_dpp v6, v87 row_shr:1 row_mask:0xf bank_mask:0xf
	s_delay_alu instid0(VALU_DEP_2) | instskip(NEXT) | instid1(VALU_DEP_2)
	v_add_nc_u32_e32 v5, v5, v88
	v_add_nc_u32_e32 v6, v6, v87
	s_delay_alu instid0(VALU_DEP_2) | instskip(NEXT) | instid1(VALU_DEP_2)
	v_cndmask_b32_e64 v5, v5, v88, s1
	v_cndmask_b32_e64 v6, v6, v87, s1
	s_delay_alu instid0(VALU_DEP_2) | instskip(NEXT) | instid1(VALU_DEP_2)
	v_mov_b32_dpp v7, v5 row_shr:2 row_mask:0xf bank_mask:0xf
	v_mov_b32_dpp v8, v6 row_shr:2 row_mask:0xf bank_mask:0xf
	s_delay_alu instid0(VALU_DEP_2) | instskip(NEXT) | instid1(VALU_DEP_1)
	v_add_nc_u32_e32 v7, v5, v7
	v_cndmask_b32_e64 v5, v5, v7, s0
	s_delay_alu instid0(VALU_DEP_1) | instskip(NEXT) | instid1(VALU_DEP_1)
	v_mov_b32_dpp v7, v5 row_shr:4 row_mask:0xf bank_mask:0xf
	v_add_nc_u32_e32 v7, v5, v7
	s_delay_alu instid0(VALU_DEP_1) | instskip(NEXT) | instid1(VALU_DEP_1)
	v_cndmask_b32_e64 v5, v5, v7, s3
	v_mov_b32_dpp v7, v5 row_shr:8 row_mask:0xf bank_mask:0xf
	s_delay_alu instid0(VALU_DEP_1) | instskip(NEXT) | instid1(VALU_DEP_1)
	v_add_nc_u32_e32 v7, v5, v7
	v_dual_cndmask_b32 v5, v5, v7 :: v_dual_add_nc_u32 v8, v6, v8
	s_delay_alu instid0(VALU_DEP_1) | instskip(NEXT) | instid1(VALU_DEP_1)
	v_cndmask_b32_e64 v6, v6, v8, s0
	v_mov_b32_dpp v8, v6 row_shr:4 row_mask:0xf bank_mask:0xf
	s_delay_alu instid0(VALU_DEP_1) | instskip(NEXT) | instid1(VALU_DEP_1)
	v_add_nc_u32_e32 v8, v6, v8
	v_cndmask_b32_e64 v6, v6, v8, s3
	s_mov_b32 s3, exec_lo
	s_delay_alu instid0(VALU_DEP_1) | instskip(NEXT) | instid1(VALU_DEP_1)
	v_mov_b32_dpp v8, v6 row_shr:8 row_mask:0xf bank_mask:0xf
	v_add_nc_u32_e32 v8, v6, v8
	s_delay_alu instid0(VALU_DEP_1)
	v_cndmask_b32_e32 v7, v6, v8, vcc_lo
	ds_swizzle_b32 v6, v5 offset:swizzle(BROADCAST,32,15)
	v_cmp_eq_u32_e32 vcc_lo, 0, v85
	s_waitcnt lgkmcnt(0)
	v_add_nc_u32_e32 v6, v5, v6
	ds_swizzle_b32 v8, v7 offset:swizzle(BROADCAST,32,15)
	v_cndmask_b32_e32 v6, v6, v5, vcc_lo
	s_waitcnt lgkmcnt(0)
	v_add_nc_u32_e32 v8, v7, v8
	s_delay_alu instid0(VALU_DEP_1)
	v_cndmask_b32_e32 v5, v8, v7, vcc_lo
	v_cmpx_eq_u32_e64 v84, v0
	s_cbranch_execz .LBB27_93
; %bb.92:
	v_lshlrev_b32_e32 v7, 3, v83
	ds_store_b64 v7, v[5:6]
.LBB27_93:
	s_or_b32 exec_lo, exec_lo, s3
	s_delay_alu instid0(SALU_CYCLE_1)
	s_mov_b32 s3, exec_lo
	s_waitcnt lgkmcnt(0)
	s_barrier
	buffer_gl0_inv
	v_cmpx_gt_u32_e32 8, v0
	s_cbranch_execz .LBB27_95
; %bb.94:
	v_lshlrev_b32_e32 v9, 3, v0
	ds_load_b64 v[7:8], v9
	s_waitcnt lgkmcnt(0)
	v_mov_b32_dpp v22, v7 row_shr:1 row_mask:0xf bank_mask:0xf
	v_mov_b32_dpp v23, v8 row_shr:1 row_mask:0xf bank_mask:0xf
	s_delay_alu instid0(VALU_DEP_2) | instskip(SKIP_1) | instid1(VALU_DEP_3)
	v_add_nc_u32_e32 v22, v22, v7
	v_and_b32_e32 v24, 7, v82
	v_add_nc_u32_e32 v23, v23, v8
	s_delay_alu instid0(VALU_DEP_2) | instskip(NEXT) | instid1(VALU_DEP_2)
	v_cmp_eq_u32_e32 vcc_lo, 0, v24
	v_dual_cndmask_b32 v8, v23, v8 :: v_dual_cndmask_b32 v7, v22, v7
	v_cmp_lt_u32_e32 vcc_lo, 1, v24
	s_delay_alu instid0(VALU_DEP_2) | instskip(NEXT) | instid1(VALU_DEP_3)
	v_mov_b32_dpp v23, v8 row_shr:2 row_mask:0xf bank_mask:0xf
	v_mov_b32_dpp v22, v7 row_shr:2 row_mask:0xf bank_mask:0xf
	s_delay_alu instid0(VALU_DEP_2) | instskip(NEXT) | instid1(VALU_DEP_2)
	v_add_nc_u32_e32 v23, v8, v23
	v_add_nc_u32_e32 v22, v7, v22
	s_delay_alu instid0(VALU_DEP_1) | instskip(SKIP_1) | instid1(VALU_DEP_2)
	v_dual_cndmask_b32 v8, v8, v23 :: v_dual_cndmask_b32 v7, v7, v22
	v_cmp_lt_u32_e32 vcc_lo, 3, v24
	v_mov_b32_dpp v23, v8 row_shr:4 row_mask:0xf bank_mask:0xf
	s_delay_alu instid0(VALU_DEP_3) | instskip(NEXT) | instid1(VALU_DEP_1)
	v_mov_b32_dpp v22, v7 row_shr:4 row_mask:0xf bank_mask:0xf
	v_dual_cndmask_b32 v23, 0, v23 :: v_dual_cndmask_b32 v22, 0, v22
	s_delay_alu instid0(VALU_DEP_1) | instskip(NEXT) | instid1(VALU_DEP_2)
	v_add_nc_u32_e32 v8, v23, v8
	v_add_nc_u32_e32 v7, v22, v7
	ds_store_b64 v9, v[7:8]
.LBB27_95:
	s_or_b32 exec_lo, exec_lo, s3
	v_cmp_gt_u32_e32 vcc_lo, 32, v0
	v_cmp_lt_u32_e64 s3, 31, v0
	s_waitcnt lgkmcnt(0)
	s_barrier
	buffer_gl0_inv
                                        ; implicit-def: $vgpr23
	s_and_saveexec_b32 s5, s3
	s_delay_alu instid0(SALU_CYCLE_1)
	s_xor_b32 s3, exec_lo, s5
	s_cbranch_execz .LBB27_97
; %bb.96:
	v_lshl_add_u32 v7, v83, 3, -8
	ds_load_b64 v[22:23], v7
	s_waitcnt lgkmcnt(0)
	v_add_nc_u32_e32 v6, v23, v6
	v_add_nc_u32_e32 v5, v22, v5
.LBB27_97:
	s_and_not1_saveexec_b32 s3, s3
; %bb.98:
                                        ; implicit-def: $vgpr22
; %bb.99:
	s_delay_alu instid0(SALU_CYCLE_1) | instskip(SKIP_1) | instid1(VALU_DEP_1)
	s_or_b32 exec_lo, exec_lo, s3
	v_add_nc_u32_e32 v7, -1, v82
	v_cmp_gt_i32_e64 s3, 0, v7
	s_delay_alu instid0(VALU_DEP_1) | instskip(SKIP_1) | instid1(VALU_DEP_2)
	v_cndmask_b32_e64 v7, v7, v82, s3
	v_cmp_eq_u32_e64 s3, 0, v82
	v_lshlrev_b32_e32 v7, 2, v7
	ds_bpermute_b32 v89, v7, v5
	ds_bpermute_b32 v90, v7, v6
	s_and_saveexec_b32 s5, vcc_lo
	s_cbranch_execz .LBB27_122
; %bb.100:
	v_mov_b32_e32 v8, 0
	ds_load_b64 v[5:6], v8 offset:56
	s_waitcnt lgkmcnt(0)
	v_readfirstlane_b32 s6, v6
	s_and_saveexec_b32 s7, s3
	s_cbranch_execz .LBB27_102
; %bb.101:
	s_add_i32 s8, s26, 32
	s_mov_b32 s9, 0
	v_mov_b32_e32 v7, 1
	s_lshl_b64 s[10:11], s[8:9], 4
	s_mov_b32 s16, s9
	s_add_u32 s10, s36, s10
	s_addc_u32 s11, s37, s11
	s_and_b32 s17, s6, 0xff000000
	s_and_b32 s19, s6, 0xff0000
	s_mov_b32 s18, s9
	v_dual_mov_b32 v25, s11 :: v_dual_mov_b32 v24, s10
	s_or_b64 s[16:17], s[18:19], s[16:17]
	s_and_b32 s19, s6, 0xff00
	s_delay_alu instid0(SALU_CYCLE_1) | instskip(SKIP_1) | instid1(SALU_CYCLE_1)
	s_or_b64 s[16:17], s[16:17], s[18:19]
	s_and_b32 s19, s6, 0xff
	s_or_b64 s[8:9], s[16:17], s[18:19]
	s_delay_alu instid0(SALU_CYCLE_1)
	v_mov_b32_e32 v6, s9
	;;#ASMSTART
	global_store_dwordx4 v[24:25], v[5:8] off	
s_waitcnt vmcnt(0)
	;;#ASMEND
.LBB27_102:
	s_or_b32 exec_lo, exec_lo, s7
	v_xad_u32 v24, v82, -1, s26
	s_mov_b32 s8, 0
	s_mov_b32 s7, exec_lo
	s_delay_alu instid0(VALU_DEP_1) | instskip(NEXT) | instid1(VALU_DEP_1)
	v_add_nc_u32_e32 v7, 32, v24
	v_lshlrev_b64 v[6:7], 4, v[7:8]
	s_delay_alu instid0(VALU_DEP_1) | instskip(NEXT) | instid1(VALU_DEP_2)
	v_add_co_u32 v25, vcc_lo, s36, v6
	v_add_co_ci_u32_e32 v26, vcc_lo, s37, v7, vcc_lo
	;;#ASMSTART
	global_load_dwordx4 v[6:9], v[25:26] off glc	
s_waitcnt vmcnt(0)
	;;#ASMEND
	v_and_b32_e32 v9, 0xff, v7
	v_and_b32_e32 v27, 0xff00, v7
	v_or3_b32 v6, v6, 0, 0
	v_and_b32_e32 v28, 0xff000000, v7
	v_and_b32_e32 v7, 0xff0000, v7
	s_delay_alu instid0(VALU_DEP_4) | instskip(SKIP_2) | instid1(VALU_DEP_3)
	v_or3_b32 v9, 0, v9, v27
	v_and_b32_e32 v27, 0xff, v8
	v_or3_b32 v6, v6, 0, 0
	v_or3_b32 v7, v9, v7, v28
	s_delay_alu instid0(VALU_DEP_3)
	v_cmpx_eq_u16_e32 0, v27
	s_cbranch_execz .LBB27_108
; %bb.103:
	s_mov_b32 s9, 1
	.p2align	6
.LBB27_104:                             ; =>This Loop Header: Depth=1
                                        ;     Child Loop BB27_105 Depth 2
	s_delay_alu instid0(SALU_CYCLE_1)
	s_max_u32 s10, s9, 1
.LBB27_105:                             ;   Parent Loop BB27_104 Depth=1
                                        ; =>  This Inner Loop Header: Depth=2
	s_delay_alu instid0(SALU_CYCLE_1)
	s_add_i32 s10, s10, -1
	s_sleep 1
	s_cmp_eq_u32 s10, 0
	s_cbranch_scc0 .LBB27_105
; %bb.106:                              ;   in Loop: Header=BB27_104 Depth=1
	;;#ASMSTART
	global_load_dwordx4 v[6:9], v[25:26] off glc	
s_waitcnt vmcnt(0)
	;;#ASMEND
	v_and_b32_e32 v9, 0xff, v8
	s_cmp_lt_u32 s9, 32
	s_cselect_b32 s10, -1, 0
	s_delay_alu instid0(SALU_CYCLE_1) | instskip(NEXT) | instid1(VALU_DEP_1)
	s_cmp_lg_u32 s10, 0
	v_cmp_ne_u16_e32 vcc_lo, 0, v9
	s_addc_u32 s9, s9, 0
	s_or_b32 s8, vcc_lo, s8
	s_delay_alu instid0(SALU_CYCLE_1)
	s_and_not1_b32 exec_lo, exec_lo, s8
	s_cbranch_execnz .LBB27_104
; %bb.107:
	s_or_b32 exec_lo, exec_lo, s8
.LBB27_108:
	s_delay_alu instid0(SALU_CYCLE_1) | instskip(SKIP_3) | instid1(VALU_DEP_1)
	s_or_b32 exec_lo, exec_lo, s7
	v_cmp_ne_u32_e32 vcc_lo, 31, v82
	v_lshlrev_b32_e64 v92, v82, -1
	v_add_co_ci_u32_e32 v9, vcc_lo, 0, v82, vcc_lo
	v_lshlrev_b32_e32 v91, 2, v9
	ds_bpermute_b32 v25, v91, v7
	ds_bpermute_b32 v9, v91, v6
	s_waitcnt lgkmcnt(1)
	v_add_nc_u32_e32 v25, v25, v7
	v_and_b32_e32 v26, 0xff, v8
	s_waitcnt lgkmcnt(0)
	v_add_nc_u32_e32 v9, v9, v6
	s_delay_alu instid0(VALU_DEP_2) | instskip(SKIP_2) | instid1(VALU_DEP_2)
	v_cmp_eq_u16_e32 vcc_lo, 2, v26
	v_and_or_b32 v26, vcc_lo, v92, 0x80000000
	v_cmp_gt_u32_e32 vcc_lo, 30, v82
	v_ctz_i32_b32_e32 v26, v26
	v_cndmask_b32_e64 v27, 0, 1, vcc_lo
	s_delay_alu instid0(VALU_DEP_2) | instskip(NEXT) | instid1(VALU_DEP_2)
	v_cmp_lt_u32_e32 vcc_lo, v82, v26
	v_dual_cndmask_b32 v6, v6, v9 :: v_dual_lshlrev_b32 v27, 1, v27
	s_delay_alu instid0(VALU_DEP_1)
	v_add_lshl_u32 v93, v27, v82, 2
	v_cndmask_b32_e32 v7, v7, v25, vcc_lo
	v_cmp_gt_u32_e32 vcc_lo, 28, v82
	ds_bpermute_b32 v9, v93, v6
	ds_bpermute_b32 v25, v93, v7
	v_cndmask_b32_e64 v27, 0, 1, vcc_lo
	s_waitcnt lgkmcnt(1)
	v_add_nc_u32_e32 v9, v6, v9
	s_waitcnt lgkmcnt(0)
	v_add_nc_u32_e32 v25, v7, v25
	v_add_nc_u32_e32 v94, 2, v82
	s_delay_alu instid0(VALU_DEP_1) | instskip(NEXT) | instid1(VALU_DEP_3)
	v_cmp_gt_u32_e32 vcc_lo, v94, v26
	v_cndmask_b32_e32 v7, v25, v7, vcc_lo
	v_dual_cndmask_b32 v6, v9, v6 :: v_dual_lshlrev_b32 v27, 2, v27
	v_cmp_gt_u32_e32 vcc_lo, 24, v82
	s_delay_alu instid0(VALU_DEP_2) | instskip(SKIP_4) | instid1(VALU_DEP_1)
	v_add_lshl_u32 v95, v27, v82, 2
	v_cndmask_b32_e64 v27, 0, 1, vcc_lo
	ds_bpermute_b32 v25, v95, v7
	ds_bpermute_b32 v9, v95, v6
	v_lshlrev_b32_e32 v27, 3, v27
	v_add_lshl_u32 v97, v27, v82, 2
	s_waitcnt lgkmcnt(1)
	v_add_nc_u32_e32 v25, v7, v25
	v_add_nc_u32_e32 v96, 4, v82
	s_waitcnt lgkmcnt(0)
	v_add_nc_u32_e32 v9, v6, v9
	s_delay_alu instid0(VALU_DEP_2) | instskip(SKIP_1) | instid1(VALU_DEP_3)
	v_cmp_gt_u32_e32 vcc_lo, v96, v26
	v_cndmask_b32_e32 v7, v25, v7, vcc_lo
	v_cndmask_b32_e32 v6, v9, v6, vcc_lo
	v_cmp_gt_u32_e32 vcc_lo, 16, v82
	ds_bpermute_b32 v25, v97, v7
	ds_bpermute_b32 v9, v97, v6
	v_cndmask_b32_e64 v27, 0, 1, vcc_lo
	s_delay_alu instid0(VALU_DEP_1) | instskip(NEXT) | instid1(VALU_DEP_1)
	v_lshlrev_b32_e32 v27, 4, v27
	v_add_lshl_u32 v99, v27, v82, 2
	s_waitcnt lgkmcnt(1)
	v_add_nc_u32_e32 v25, v7, v25
	v_add_nc_u32_e32 v98, 8, v82
	s_waitcnt lgkmcnt(0)
	v_add_nc_u32_e32 v9, v6, v9
	s_delay_alu instid0(VALU_DEP_2) | instskip(SKIP_1) | instid1(VALU_DEP_3)
	v_cmp_gt_u32_e32 vcc_lo, v98, v26
	v_cndmask_b32_e32 v7, v25, v7, vcc_lo
	v_cndmask_b32_e32 v6, v9, v6, vcc_lo
	ds_bpermute_b32 v25, v99, v7
	ds_bpermute_b32 v9, v99, v6
	v_add_nc_u32_e32 v100, 16, v82
	s_delay_alu instid0(VALU_DEP_1) | instskip(SKIP_2) | instid1(VALU_DEP_1)
	v_cmp_le_u32_e32 vcc_lo, v100, v26
	s_waitcnt lgkmcnt(0)
	v_cndmask_b32_e32 v9, 0, v9, vcc_lo
	v_dual_cndmask_b32 v25, 0, v25 :: v_dual_add_nc_u32 v6, v9, v6
	s_delay_alu instid0(VALU_DEP_1)
	v_add_nc_u32_e32 v7, v25, v7
	v_mov_b32_e32 v25, 0
	s_branch .LBB27_110
.LBB27_109:                             ;   in Loop: Header=BB27_110 Depth=1
	s_or_b32 exec_lo, exec_lo, s7
	ds_bpermute_b32 v9, v91, v6
	ds_bpermute_b32 v28, v91, v7
	v_subrev_nc_u32_e32 v24, 32, v24
	s_waitcnt lgkmcnt(1)
	v_add_nc_u32_e32 v9, v9, v6
	v_and_b32_e32 v29, 0xff, v8
	s_waitcnt lgkmcnt(0)
	v_add_nc_u32_e32 v28, v28, v7
	s_delay_alu instid0(VALU_DEP_2) | instskip(SKIP_1) | instid1(VALU_DEP_1)
	v_cmp_eq_u16_e32 vcc_lo, 2, v29
	v_and_or_b32 v29, vcc_lo, v92, 0x80000000
	v_ctz_i32_b32_e32 v29, v29
	s_delay_alu instid0(VALU_DEP_1)
	v_cmp_lt_u32_e32 vcc_lo, v82, v29
	v_cndmask_b32_e32 v6, v6, v9, vcc_lo
	ds_bpermute_b32 v9, v93, v6
	s_waitcnt lgkmcnt(0)
	v_add_nc_u32_e32 v9, v6, v9
	v_cndmask_b32_e32 v7, v7, v28, vcc_lo
	v_cmp_gt_u32_e32 vcc_lo, v94, v29
	s_delay_alu instid0(VALU_DEP_3)
	v_cndmask_b32_e32 v6, v9, v6, vcc_lo
	ds_bpermute_b32 v28, v93, v7
	ds_bpermute_b32 v9, v95, v6
	s_waitcnt lgkmcnt(1)
	v_add_nc_u32_e32 v28, v7, v28
	s_waitcnt lgkmcnt(0)
	v_add_nc_u32_e32 v9, v6, v9
	s_delay_alu instid0(VALU_DEP_2) | instskip(SKIP_1) | instid1(VALU_DEP_3)
	v_cndmask_b32_e32 v7, v28, v7, vcc_lo
	v_cmp_gt_u32_e32 vcc_lo, v96, v29
	v_cndmask_b32_e32 v6, v9, v6, vcc_lo
	ds_bpermute_b32 v28, v95, v7
	ds_bpermute_b32 v9, v97, v6
	s_waitcnt lgkmcnt(1)
	v_add_nc_u32_e32 v28, v7, v28
	s_waitcnt lgkmcnt(0)
	v_add_nc_u32_e32 v9, v6, v9
	s_delay_alu instid0(VALU_DEP_2) | instskip(SKIP_1) | instid1(VALU_DEP_3)
	v_cndmask_b32_e32 v7, v28, v7, vcc_lo
	v_cmp_gt_u32_e32 vcc_lo, v98, v29
	v_cndmask_b32_e32 v6, v9, v6, vcc_lo
	ds_bpermute_b32 v28, v97, v7
	ds_bpermute_b32 v9, v99, v6
	s_waitcnt lgkmcnt(1)
	v_add_nc_u32_e32 v28, v7, v28
	s_delay_alu instid0(VALU_DEP_1) | instskip(SKIP_4) | instid1(VALU_DEP_1)
	v_cndmask_b32_e32 v7, v28, v7, vcc_lo
	v_cmp_le_u32_e32 vcc_lo, v100, v29
	ds_bpermute_b32 v28, v99, v7
	s_waitcnt lgkmcnt(1)
	v_cndmask_b32_e32 v9, 0, v9, vcc_lo
	v_add3_u32 v6, v6, v26, v9
	s_waitcnt lgkmcnt(0)
	v_cndmask_b32_e32 v28, 0, v28, vcc_lo
	s_delay_alu instid0(VALU_DEP_1)
	v_add3_u32 v7, v7, v27, v28
.LBB27_110:                             ; =>This Loop Header: Depth=1
                                        ;     Child Loop BB27_113 Depth 2
                                        ;       Child Loop BB27_114 Depth 3
	s_delay_alu instid0(VALU_DEP_1) | instskip(SKIP_1) | instid1(VALU_DEP_2)
	v_dual_mov_b32 v27, v7 :: v_dual_and_b32 v8, 0xff, v8
	v_mov_b32_e32 v26, v6
	v_cmp_ne_u16_e32 vcc_lo, 2, v8
	v_cndmask_b32_e64 v8, 0, 1, vcc_lo
	;;#ASMSTART
	;;#ASMEND
	s_delay_alu instid0(VALU_DEP_1)
	v_cmp_ne_u32_e32 vcc_lo, 0, v8
	s_cmp_lg_u32 vcc_lo, exec_lo
	s_cbranch_scc1 .LBB27_117
; %bb.111:                              ;   in Loop: Header=BB27_110 Depth=1
	v_lshlrev_b64 v[6:7], 4, v[24:25]
	s_mov_b32 s7, exec_lo
	s_delay_alu instid0(VALU_DEP_1) | instskip(NEXT) | instid1(VALU_DEP_2)
	v_add_co_u32 v28, vcc_lo, s36, v6
	v_add_co_ci_u32_e32 v29, vcc_lo, s37, v7, vcc_lo
	;;#ASMSTART
	global_load_dwordx4 v[6:9], v[28:29] off glc	
s_waitcnt vmcnt(0)
	;;#ASMEND
	v_and_b32_e32 v9, 0xff, v7
	v_and_b32_e32 v101, 0xff00, v7
	v_or3_b32 v6, v6, 0, 0
	v_and_b32_e32 v102, 0xff000000, v7
	v_and_b32_e32 v7, 0xff0000, v7
	s_delay_alu instid0(VALU_DEP_4) | instskip(SKIP_2) | instid1(VALU_DEP_3)
	v_or3_b32 v9, 0, v9, v101
	v_and_b32_e32 v101, 0xff, v8
	v_or3_b32 v6, v6, 0, 0
	v_or3_b32 v7, v9, v7, v102
	s_delay_alu instid0(VALU_DEP_3)
	v_cmpx_eq_u16_e32 0, v101
	s_cbranch_execz .LBB27_109
; %bb.112:                              ;   in Loop: Header=BB27_110 Depth=1
	s_mov_b32 s9, 1
	s_mov_b32 s8, 0
	.p2align	6
.LBB27_113:                             ;   Parent Loop BB27_110 Depth=1
                                        ; =>  This Loop Header: Depth=2
                                        ;       Child Loop BB27_114 Depth 3
	s_max_u32 s10, s9, 1
.LBB27_114:                             ;   Parent Loop BB27_110 Depth=1
                                        ;     Parent Loop BB27_113 Depth=2
                                        ; =>    This Inner Loop Header: Depth=3
	s_delay_alu instid0(SALU_CYCLE_1)
	s_add_i32 s10, s10, -1
	s_sleep 1
	s_cmp_eq_u32 s10, 0
	s_cbranch_scc0 .LBB27_114
; %bb.115:                              ;   in Loop: Header=BB27_113 Depth=2
	;;#ASMSTART
	global_load_dwordx4 v[6:9], v[28:29] off glc	
s_waitcnt vmcnt(0)
	;;#ASMEND
	v_and_b32_e32 v9, 0xff, v8
	s_cmp_lt_u32 s9, 32
	s_cselect_b32 s10, -1, 0
	s_delay_alu instid0(SALU_CYCLE_1) | instskip(NEXT) | instid1(VALU_DEP_1)
	s_cmp_lg_u32 s10, 0
	v_cmp_ne_u16_e32 vcc_lo, 0, v9
	s_addc_u32 s9, s9, 0
	s_or_b32 s8, vcc_lo, s8
	s_delay_alu instid0(SALU_CYCLE_1)
	s_and_not1_b32 exec_lo, exec_lo, s8
	s_cbranch_execnz .LBB27_113
; %bb.116:                              ;   in Loop: Header=BB27_110 Depth=1
	s_or_b32 exec_lo, exec_lo, s8
	s_branch .LBB27_109
.LBB27_117:                             ;   in Loop: Header=BB27_110 Depth=1
                                        ; implicit-def: $vgpr8
                                        ; implicit-def: $vgpr6_vgpr7
	s_cbranch_execz .LBB27_110
; %bb.118:
	s_and_saveexec_b32 s7, s3
	s_cbranch_execnz .LBB27_361
; %bb.119:
	s_or_b32 exec_lo, exec_lo, s7
	s_and_saveexec_b32 s7, s3
	s_cbranch_execnz .LBB27_362
.LBB27_120:
	s_or_b32 exec_lo, exec_lo, s7
	s_delay_alu instid0(SALU_CYCLE_1)
	s_and_b32 exec_lo, exec_lo, s2
	s_cbranch_execz .LBB27_122
.LBB27_121:
	v_mov_b32_e32 v5, 0
	ds_store_b64 v5, v[26:27] offset:56
.LBB27_122:
	s_or_b32 exec_lo, exec_lo, s5
	s_waitcnt lgkmcnt(1)
	v_cndmask_b32_e64 v22, v89, v22, s3
	v_mov_b32_e32 v5, 0
	s_waitcnt lgkmcnt(0)
	s_barrier
	buffer_gl0_inv
	v_add_nc_u32_e64 v7, 0x3400, 0
	ds_load_b64 v[24:25], v5 offset:56
	s_waitcnt lgkmcnt(0)
	s_barrier
	buffer_gl0_inv
	ds_load_2addr_b32 v[5:6], v7 offset1:2
	ds_load_2addr_b32 v[7:8], v7 offset0:4 offset1:6
	v_cndmask_b32_e64 v9, v90, v23, s3
	v_add_nc_u32_e32 v22, v24, v22
	s_delay_alu instid0(VALU_DEP_2) | instskip(NEXT) | instid1(VALU_DEP_2)
	v_add_nc_u32_e32 v9, v25, v9
	v_cndmask_b32_e64 v22, v22, v24, s2
	s_delay_alu instid0(VALU_DEP_2)
	v_cndmask_b32_e64 v9, v9, v25, s2
	s_branch .LBB27_133
.LBB27_123:
                                        ; implicit-def: $vgpr9
                                        ; implicit-def: $vgpr7
                                        ; implicit-def: $vgpr5
                                        ; implicit-def: $vgpr22_vgpr23
	s_and_b32 vcc_lo, exec_lo, s5
	s_cbranch_vccz .LBB27_133
; %bb.124:
	s_waitcnt lgkmcnt(1)
	v_mov_b32_dpp v6, v88 row_shr:1 row_mask:0xf bank_mask:0xf
	v_cmp_lt_u32_e32 vcc_lo, 3, v86
	v_mov_b32_dpp v5, v87 row_shr:1 row_mask:0xf bank_mask:0xf
	s_delay_alu instid0(VALU_DEP_3) | instskip(NEXT) | instid1(VALU_DEP_1)
	v_add_nc_u32_e32 v6, v6, v88
	v_cndmask_b32_e64 v6, v6, v88, s1
	s_waitcnt lgkmcnt(0)
	s_delay_alu instid0(VALU_DEP_1) | instskip(NEXT) | instid1(VALU_DEP_1)
	v_mov_b32_dpp v8, v6 row_shr:2 row_mask:0xf bank_mask:0xf
	v_add_nc_u32_e32 v8, v6, v8
	s_delay_alu instid0(VALU_DEP_1) | instskip(NEXT) | instid1(VALU_DEP_1)
	v_cndmask_b32_e64 v6, v6, v8, s0
	v_mov_b32_dpp v8, v6 row_shr:4 row_mask:0xf bank_mask:0xf
	s_delay_alu instid0(VALU_DEP_1) | instskip(NEXT) | instid1(VALU_DEP_1)
	v_add_nc_u32_e32 v8, v6, v8
	v_dual_cndmask_b32 v6, v6, v8 :: v_dual_add_nc_u32 v5, v5, v87
	s_delay_alu instid0(VALU_DEP_1) | instskip(NEXT) | instid1(VALU_DEP_2)
	v_cndmask_b32_e64 v5, v5, v87, s1
	v_mov_b32_dpp v8, v6 row_shr:8 row_mask:0xf bank_mask:0xf
	s_delay_alu instid0(VALU_DEP_2) | instskip(NEXT) | instid1(VALU_DEP_2)
	v_mov_b32_dpp v7, v5 row_shr:2 row_mask:0xf bank_mask:0xf
	v_add_nc_u32_e32 v8, v6, v8
	s_delay_alu instid0(VALU_DEP_2) | instskip(NEXT) | instid1(VALU_DEP_1)
	v_add_nc_u32_e32 v7, v5, v7
	v_cndmask_b32_e64 v5, v5, v7, s0
	s_mov_b32 s0, exec_lo
	s_delay_alu instid0(VALU_DEP_1) | instskip(NEXT) | instid1(VALU_DEP_1)
	v_mov_b32_dpp v7, v5 row_shr:4 row_mask:0xf bank_mask:0xf
	v_add_nc_u32_e32 v7, v5, v7
	s_delay_alu instid0(VALU_DEP_1) | instskip(SKIP_1) | instid1(VALU_DEP_2)
	v_cndmask_b32_e32 v5, v5, v7, vcc_lo
	v_cmp_lt_u32_e32 vcc_lo, 7, v86
	v_mov_b32_dpp v7, v5 row_shr:8 row_mask:0xf bank_mask:0xf
	s_delay_alu instid0(VALU_DEP_1) | instskip(NEXT) | instid1(VALU_DEP_1)
	v_dual_cndmask_b32 v6, v6, v8 :: v_dual_add_nc_u32 v7, v5, v7
	v_cndmask_b32_e32 v5, v5, v7, vcc_lo
	ds_swizzle_b32 v7, v6 offset:swizzle(BROADCAST,32,15)
	v_cmp_eq_u32_e32 vcc_lo, 0, v85
	ds_swizzle_b32 v8, v5 offset:swizzle(BROADCAST,32,15)
	s_waitcnt lgkmcnt(1)
	v_add_nc_u32_e32 v7, v6, v7
	s_waitcnt lgkmcnt(0)
	v_add_nc_u32_e32 v8, v5, v8
	s_delay_alu instid0(VALU_DEP_1)
	v_dual_cndmask_b32 v6, v7, v6 :: v_dual_cndmask_b32 v5, v8, v5
	v_cmpx_eq_u32_e64 v84, v0
	s_cbranch_execz .LBB27_126
; %bb.125:
	v_lshlrev_b32_e32 v7, 3, v83
	ds_store_b64 v7, v[5:6]
.LBB27_126:
	s_or_b32 exec_lo, exec_lo, s0
	s_delay_alu instid0(SALU_CYCLE_1)
	s_mov_b32 s0, exec_lo
	s_waitcnt lgkmcnt(0)
	s_barrier
	buffer_gl0_inv
	v_cmpx_gt_u32_e32 8, v0
	s_cbranch_execz .LBB27_128
; %bb.127:
	v_lshlrev_b32_e32 v9, 3, v0
	ds_load_b64 v[7:8], v9
	s_waitcnt lgkmcnt(0)
	v_mov_b32_dpp v22, v7 row_shr:1 row_mask:0xf bank_mask:0xf
	v_mov_b32_dpp v23, v8 row_shr:1 row_mask:0xf bank_mask:0xf
	s_delay_alu instid0(VALU_DEP_2) | instskip(SKIP_1) | instid1(VALU_DEP_3)
	v_add_nc_u32_e32 v22, v22, v7
	v_and_b32_e32 v24, 7, v82
	v_add_nc_u32_e32 v23, v23, v8
	s_delay_alu instid0(VALU_DEP_2) | instskip(NEXT) | instid1(VALU_DEP_2)
	v_cmp_eq_u32_e32 vcc_lo, 0, v24
	v_dual_cndmask_b32 v8, v23, v8 :: v_dual_cndmask_b32 v7, v22, v7
	v_cmp_lt_u32_e32 vcc_lo, 1, v24
	s_delay_alu instid0(VALU_DEP_2) | instskip(NEXT) | instid1(VALU_DEP_3)
	v_mov_b32_dpp v23, v8 row_shr:2 row_mask:0xf bank_mask:0xf
	v_mov_b32_dpp v22, v7 row_shr:2 row_mask:0xf bank_mask:0xf
	s_delay_alu instid0(VALU_DEP_2) | instskip(NEXT) | instid1(VALU_DEP_2)
	v_add_nc_u32_e32 v23, v8, v23
	v_add_nc_u32_e32 v22, v7, v22
	s_delay_alu instid0(VALU_DEP_1) | instskip(SKIP_1) | instid1(VALU_DEP_2)
	v_dual_cndmask_b32 v8, v8, v23 :: v_dual_cndmask_b32 v7, v7, v22
	v_cmp_lt_u32_e32 vcc_lo, 3, v24
	v_mov_b32_dpp v23, v8 row_shr:4 row_mask:0xf bank_mask:0xf
	s_delay_alu instid0(VALU_DEP_3) | instskip(NEXT) | instid1(VALU_DEP_1)
	v_mov_b32_dpp v22, v7 row_shr:4 row_mask:0xf bank_mask:0xf
	v_dual_cndmask_b32 v23, 0, v23 :: v_dual_cndmask_b32 v22, 0, v22
	s_delay_alu instid0(VALU_DEP_1) | instskip(NEXT) | instid1(VALU_DEP_2)
	v_add_nc_u32_e32 v8, v23, v8
	v_add_nc_u32_e32 v7, v22, v7
	ds_store_b64 v9, v[7:8]
.LBB27_128:
	s_or_b32 exec_lo, exec_lo, s0
	v_dual_mov_b32 v7, 0 :: v_dual_mov_b32 v22, 0
	v_mov_b32_e32 v23, 0
	s_mov_b32 s0, exec_lo
	s_waitcnt lgkmcnt(0)
	s_barrier
	buffer_gl0_inv
	v_cmpx_lt_u32_e32 31, v0
	s_cbranch_execz .LBB27_130
; %bb.129:
	v_lshl_add_u32 v8, v83, 3, -8
	ds_load_b64 v[22:23], v8
.LBB27_130:
	s_or_b32 exec_lo, exec_lo, s0
	v_add_nc_u32_e32 v8, -1, v82
	s_waitcnt lgkmcnt(0)
	v_add_nc_u32_e32 v24, v23, v6
	v_add_nc_u32_e32 v9, v22, v5
	ds_load_b64 v[5:6], v7 offset:56
	v_cmp_gt_i32_e32 vcc_lo, 0, v8
	v_cndmask_b32_e32 v8, v8, v82, vcc_lo
	s_delay_alu instid0(VALU_DEP_1)
	v_lshlrev_b32_e32 v8, 2, v8
	ds_bpermute_b32 v9, v8, v9
	ds_bpermute_b32 v24, v8, v24
	s_waitcnt lgkmcnt(2)
	v_readfirstlane_b32 s0, v6
	s_and_saveexec_b32 s1, s2
	s_cbranch_execz .LBB27_132
; %bb.131:
	s_mov_b32 s8, 0
	s_add_u32 s6, s36, 0x200
	s_addc_u32 s7, s37, 0
	s_and_b32 s9, s0, 0xff000000
	s_and_b32 s11, s0, 0xff0000
	s_mov_b32 s10, s8
	v_mov_b32_e32 v26, s7
	s_or_b64 s[10:11], s[10:11], s[8:9]
	s_and_b32 s9, s0, 0xff00
	v_dual_mov_b32 v8, 0 :: v_dual_mov_b32 v25, s6
	s_or_b64 s[10:11], s[10:11], s[8:9]
	s_and_b32 s9, s0, 0xff
	v_mov_b32_e32 v7, 2
	s_or_b64 s[8:9], s[10:11], s[8:9]
	s_delay_alu instid0(SALU_CYCLE_1)
	v_mov_b32_e32 v6, s9
	;;#ASMSTART
	global_store_dwordx4 v[25:26], v[5:8] off	
s_waitcnt vmcnt(0)
	;;#ASMEND
.LBB27_132:
	s_or_b32 exec_lo, exec_lo, s1
	v_cmp_eq_u32_e32 vcc_lo, 0, v82
	v_dual_mov_b32 v7, 0 :: v_dual_mov_b32 v6, s0
	s_waitcnt lgkmcnt(0)
	s_barrier
	v_dual_cndmask_b32 v8, v9, v22 :: v_dual_cndmask_b32 v9, v24, v23
	buffer_gl0_inv
	v_cndmask_b32_e64 v22, v8, 0, s2
	v_cndmask_b32_e64 v9, v9, 0, s2
	v_mov_b32_e32 v8, 0
.LBB27_133:
	s_delay_alu instid0(VALU_DEP_1) | instskip(SKIP_1) | instid1(VALU_DEP_2)
	v_add_nc_u32_e32 v24, v9, v81
	s_waitcnt lgkmcnt(0)
	v_sub_nc_u32_e32 v9, v9, v8
	v_add_co_u32 v1, vcc_lo, v1, v7
	v_and_b32_e32 v35, 1, v35
	v_add_nc_u32_e32 v26, v24, v77
	v_sub_nc_u32_e32 v24, v24, v8
	v_lshlrev_b32_e32 v77, 1, v5
	v_add_nc_u32_e32 v9, v9, v5
	v_add_co_ci_u32_e32 v2, vcc_lo, 0, v2, vcc_lo
	v_add_nc_u32_e32 v28, v26, v79
	s_delay_alu instid0(VALU_DEP_4)
	v_add3_u32 v33, v77, v6, v33
	v_and_b32_e32 v40, 1, v40
	v_and_b32_e32 v37, 1, v37
	;; [unrolled: 1-line block ×3, first 2 shown]
	v_add_nc_u32_e32 v29, v28, v75
	v_sub_nc_u32_e32 v28, v28, v8
	v_sub_co_u32 v75, vcc_lo, v3, v5
	s_add_u32 s1, s14, -4
	s_delay_alu instid0(VALU_DEP_3) | instskip(SKIP_4) | instid1(VALU_DEP_3)
	v_add_nc_u32_e32 v73, v29, v73
	v_sub_nc_u32_e32 v29, v29, v8
	v_add_nc_u32_e32 v28, v28, v5
	v_add_nc_u32_e32 v24, v24, v5
	s_mov_b32 s3, -1
	v_add_nc_u32_e32 v29, v29, v5
	v_add_nc_u32_e32 v23, v22, v80
	v_sub_nc_u32_e32 v22, v22, v7
	s_delay_alu instid0(VALU_DEP_2) | instskip(SKIP_3) | instid1(VALU_DEP_3)
	v_add_nc_u32_e32 v25, v23, v76
	v_sub_nc_u32_e32 v23, v23, v7
	v_subrev_co_ci_u32_e32 v76, vcc_lo, 0, v4, vcc_lo
	v_cmp_eq_u32_e32 vcc_lo, 1, v35
	v_add_nc_u32_e32 v79, v24, v23
	s_delay_alu instid0(VALU_DEP_1) | instskip(NEXT) | instid1(VALU_DEP_1)
	v_sub_nc_u32_e32 v79, v33, v79
	v_add_nc_u32_e32 v79, 1, v79
	v_add_nc_u32_e32 v27, v25, v78
	;; [unrolled: 1-line block ×3, first 2 shown]
	s_delay_alu instid0(VALU_DEP_1) | instskip(NEXT) | instid1(VALU_DEP_1)
	v_sub_nc_u32_e32 v78, v33, v78
	v_dual_cndmask_b32 v9, v78, v9 :: v_dual_and_b32 v34, 1, v34
	v_cmp_eq_u32_e32 vcc_lo, 1, v40
	v_cndmask_b32_e32 v24, v79, v24, vcc_lo
	s_delay_alu instid0(VALU_DEP_3) | instskip(NEXT) | instid1(VALU_DEP_4)
	v_cmp_eq_u32_e32 vcc_lo, 1, v34
	v_cndmask_b32_e32 v9, v9, v22, vcc_lo
	v_sub_nc_u32_e32 v26, v26, v8
	v_cmp_eq_u32_e32 vcc_lo, 1, v37
	v_and_b32_e32 v37, 1, v38
	s_delay_alu instid0(VALU_DEP_4) | instskip(NEXT) | instid1(VALU_DEP_4)
	v_lshlrev_b32_e32 v9, 2, v9
	v_add_nc_u32_e32 v26, v26, v5
	v_cndmask_b32_e32 v24, v24, v23, vcc_lo
	v_sub_nc_u32_e32 v25, v25, v7
	v_add_co_u32 v22, vcc_lo, v75, v8
	v_add_co_ci_u32_e32 v23, vcc_lo, 0, v76, vcc_lo
	s_delay_alu instid0(VALU_DEP_3)
	v_add_nc_u32_e32 v34, v26, v25
	v_cmp_eq_u32_e32 vcc_lo, 1, v37
	v_lshlrev_b32_e32 v24, 2, v24
	ds_store_b32 v9, v20
	v_sub_nc_u32_e32 v34, v33, v34
	ds_store_b32 v24, v21
	v_and_b32_e32 v24, 1, v39
	v_add_nc_u32_e32 v34, 2, v34
	s_delay_alu instid0(VALU_DEP_1) | instskip(SKIP_3) | instid1(VALU_DEP_4)
	v_cndmask_b32_e32 v26, v34, v26, vcc_lo
	v_cmp_eq_u32_e32 vcc_lo, 1, v36
	v_add_nc_u32_e32 v74, v27, v74
	v_sub_nc_u32_e32 v27, v27, v7
	v_cndmask_b32_e32 v25, v26, v25, vcc_lo
	s_delay_alu instid0(VALU_DEP_3) | instskip(NEXT) | instid1(VALU_DEP_3)
	v_sub_nc_u32_e32 v37, v74, v7
	v_add_nc_u32_e32 v34, v27, v28
	v_cmp_eq_u32_e32 vcc_lo, 1, v24
	v_sub_nc_u32_e32 v26, v73, v8
	v_lshlrev_b32_e32 v21, 2, v25
	v_and_b32_e32 v25, 1, v41
	v_sub_nc_u32_e32 v9, v33, v34
	v_add_nc_u32_e32 v20, v37, v29
	v_and_b32_e32 v24, 1, v42
	v_add_nc_u32_e32 v26, v26, v5
	ds_store_b32 v21, v18
	v_add_nc_u32_e32 v9, 3, v9
	v_sub_nc_u32_e32 v20, v33, v20
	s_delay_alu instid0(VALU_DEP_2) | instskip(SKIP_2) | instid1(VALU_DEP_4)
	v_cndmask_b32_e32 v9, v9, v28, vcc_lo
	v_cmp_eq_u32_e32 vcc_lo, 1, v25
	v_add_nc_u32_e32 v72, v74, v72
	v_add_nc_u32_e32 v20, 4, v20
	v_and_b32_e32 v25, 1, v43
	v_cndmask_b32_e32 v9, v9, v27, vcc_lo
	s_delay_alu instid0(VALU_DEP_4)
	v_sub_nc_u32_e32 v28, v72, v7
	v_cmp_eq_u32_e32 vcc_lo, 1, v24
	v_and_b32_e32 v24, 1, v44
	v_add_nc_u32_e32 v70, v72, v70
	v_lshlrev_b32_e32 v9, 2, v9
	v_add_nc_u32_e32 v27, v28, v26
	v_cndmask_b32_e32 v20, v20, v29, vcc_lo
	v_cmp_eq_u32_e32 vcc_lo, 1, v25
	v_and_b32_e32 v25, 1, v45
	v_add_nc_u32_e32 v64, v70, v64
	v_sub_nc_u32_e32 v18, v33, v27
	v_sub_nc_u32_e32 v27, v70, v7
	v_cndmask_b32_e32 v20, v20, v37, vcc_lo
	v_cmp_eq_u32_e32 vcc_lo, 1, v24
	ds_store_b32 v9, v19
	v_add_nc_u32_e32 v18, 5, v18
	v_and_b32_e32 v19, 1, v46
	v_lshlrev_b32_e32 v20, 2, v20
	v_add_nc_u32_e32 v68, v64, v68
	s_delay_alu instid0(VALU_DEP_4)
	v_cndmask_b32_e32 v18, v18, v26, vcc_lo
	v_cmp_eq_u32_e32 vcc_lo, 1, v25
	v_sub_nc_u32_e32 v25, v64, v7
	ds_store_b32 v20, v16
	v_and_b32_e32 v20, 1, v49
	v_add_nc_u32_e32 v66, v68, v66
	v_dual_cndmask_b32 v18, v18, v28 :: v_dual_add_nc_u32 v71, v73, v71
	v_cmp_eq_u32_e32 vcc_lo, 1, v19
	v_and_b32_e32 v19, 1, v48
	s_delay_alu instid0(VALU_DEP_4) | instskip(NEXT) | instid1(VALU_DEP_4)
	v_add_nc_u32_e32 v61, v66, v61
	v_lshlrev_b32_e32 v18, 2, v18
	v_add_nc_u32_e32 v65, v71, v65
	v_sub_nc_u32_e32 v21, v71, v8
	s_delay_alu instid0(VALU_DEP_4)
	v_add_nc_u32_e32 v60, v61, v60
	ds_store_b32 v18, v17
	v_sub_nc_u32_e32 v24, v65, v8
	v_add_nc_u32_e32 v21, v21, v5
	v_add_nc_u32_e32 v69, v65, v69
	v_and_b32_e32 v17, 1, v47
	s_delay_alu instid0(VALU_DEP_4) | instskip(NEXT) | instid1(VALU_DEP_4)
	v_add_nc_u32_e32 v24, v24, v5
	v_add_nc_u32_e32 v26, v27, v21
	s_delay_alu instid0(VALU_DEP_4) | instskip(NEXT) | instid1(VALU_DEP_3)
	v_sub_nc_u32_e32 v18, v69, v8
	v_add_nc_u32_e32 v16, v25, v24
	s_delay_alu instid0(VALU_DEP_3) | instskip(NEXT) | instid1(VALU_DEP_3)
	v_sub_nc_u32_e32 v9, v33, v26
	v_add_nc_u32_e32 v18, v18, v5
	v_sub_nc_u32_e32 v26, v60, v7
	s_delay_alu instid0(VALU_DEP_4) | instskip(NEXT) | instid1(VALU_DEP_4)
	v_sub_nc_u32_e32 v16, v33, v16
	v_add_nc_u32_e32 v9, 6, v9
	s_delay_alu instid0(VALU_DEP_1) | instskip(SKIP_2) | instid1(VALU_DEP_3)
	v_dual_cndmask_b32 v9, v9, v21 :: v_dual_add_nc_u32 v16, 7, v16
	v_cmp_eq_u32_e32 vcc_lo, 1, v19
	v_sub_nc_u32_e32 v21, v68, v7
	v_cndmask_b32_e32 v16, v16, v24, vcc_lo
	v_cmp_eq_u32_e32 vcc_lo, 1, v17
	s_delay_alu instid0(VALU_DEP_3) | instskip(SKIP_3) | instid1(VALU_DEP_4)
	v_add_nc_u32_e32 v17, v21, v18
	v_cndmask_b32_e32 v9, v9, v27, vcc_lo
	v_cmp_eq_u32_e32 vcc_lo, 1, v20
	v_add_nc_u32_e32 v67, v69, v67
	v_sub_nc_u32_e32 v17, v33, v17
	v_sub_nc_u32_e32 v20, v66, v7
	v_lshlrev_b32_e32 v9, 2, v9
	v_cndmask_b32_e32 v16, v16, v25, vcc_lo
	v_sub_nc_u32_e32 v19, v67, v8
	v_add_nc_u32_e32 v62, v67, v62
	v_sub_nc_u32_e32 v25, v61, v7
	ds_store_b32 v9, v14
	v_and_b32_e32 v9, 1, v50
	v_add_nc_u32_e32 v19, v19, v5
	v_add_nc_u32_e32 v14, 8, v17
	v_lshlrev_b32_e32 v16, 2, v16
	v_add_nc_u32_e32 v63, v62, v63
	v_cmp_eq_u32_e32 vcc_lo, 1, v9
	v_add_nc_u32_e32 v17, v20, v19
	ds_store_b32 v16, v15
	v_and_b32_e32 v15, 1, v51
	v_cndmask_b32_e32 v9, v14, v18, vcc_lo
	v_sub_nc_u32_e32 v14, v33, v17
	v_and_b32_e32 v18, 1, v52
	v_sub_nc_u32_e32 v17, v62, v8
	v_and_b32_e32 v16, 1, v54
	v_sub_nc_u32_e32 v24, v63, v8
	v_add_nc_u32_e32 v14, 9, v14
	v_cmp_eq_u32_e32 vcc_lo, 1, v18
	v_add_nc_u32_e32 v17, v17, v5
	v_add_nc_u32_e32 v35, v63, v59
	;; [unrolled: 1-line block ×3, first 2 shown]
	v_cndmask_b32_e32 v14, v14, v19, vcc_lo
	v_cmp_eq_u32_e32 vcc_lo, 1, v15
	v_add_nc_u32_e32 v15, v25, v17
	s_delay_alu instid0(VALU_DEP_4)
	v_add_nc_u32_e32 v18, v26, v24
	v_and_b32_e32 v19, 1, v55
	v_cndmask_b32_e32 v9, v9, v21, vcc_lo
	v_cmp_eq_u32_e32 vcc_lo, 1, v16
	v_sub_nc_u32_e32 v15, v33, v15
	v_sub_nc_u32_e32 v18, v33, v18
	v_and_b32_e32 v21, 1, v57
	v_sub_nc_u32_e32 v16, v35, v8
	v_cndmask_b32_e32 v14, v14, v20, vcc_lo
	v_and_b32_e32 v20, 1, v53
	v_add_nc_u32_e32 v15, 10, v15
	v_add_nc_u32_e32 v18, 11, v18
	;; [unrolled: 1-line block ×3, first 2 shown]
	v_lshlrev_b32_e32 v9, 2, v9
	v_cmp_eq_u32_e32 vcc_lo, 1, v20
	v_dual_cndmask_b32 v15, v15, v17 :: v_dual_lshlrev_b32 v14, 2, v14
	v_cmp_eq_u32_e32 vcc_lo, 1, v21
	v_and_b32_e32 v17, 1, v56
	v_cndmask_b32_e32 v18, v18, v24, vcc_lo
	v_cmp_eq_u32_e32 vcc_lo, 1, v19
	v_cndmask_b32_e32 v15, v15, v25, vcc_lo
	s_delay_alu instid0(VALU_DEP_4) | instskip(NEXT) | instid1(VALU_DEP_2)
	v_cmp_eq_u32_e32 vcc_lo, 1, v17
	v_lshlrev_b32_e32 v15, 2, v15
	v_cndmask_b32_e32 v17, v18, v26, vcc_lo
	v_add_nc_u32_e32 v40, v60, v58
	s_delay_alu instid0(VALU_DEP_2) | instskip(NEXT) | instid1(VALU_DEP_2)
	v_lshlrev_b32_e32 v17, 2, v17
	v_sub_nc_u32_e32 v7, v40, v7
	ds_store_b32 v9, v12
	ds_store_b32 v14, v13
	;; [unrolled: 1-line block ×4, first 2 shown]
	v_add_co_u32 v9, s0, v6, v77
	s_delay_alu instid0(VALU_DEP_1) | instskip(SKIP_1) | instid1(VALU_DEP_3)
	v_add_co_ci_u32_e64 v10, null, 0, 0, s0
	v_add_nc_u32_e32 v27, v7, v16
	v_add_co_u32 v9, vcc_lo, v9, v22
	s_delay_alu instid0(VALU_DEP_3) | instskip(NEXT) | instid1(VALU_DEP_3)
	v_add_co_ci_u32_e32 v10, vcc_lo, v10, v23, vcc_lo
	v_sub_nc_u32_e32 v20, v33, v27
	v_add_co_u32 v11, s0, s34, v30
	s_delay_alu instid0(VALU_DEP_4) | instskip(NEXT) | instid1(VALU_DEP_3)
	v_add_co_u32 v9, vcc_lo, v9, v1
	v_add_nc_u32_e32 v18, 12, v20
	v_add_co_ci_u32_e64 v12, null, s35, 0, s0
	v_add_co_ci_u32_e32 v10, vcc_lo, v10, v2, vcc_lo
	s_delay_alu instid0(VALU_DEP_3) | instskip(SKIP_1) | instid1(VALU_DEP_2)
	v_cndmask_b32_e64 v16, v18, v16, s33
	v_add_nc_u32_e32 v14, v5, v6
	v_cndmask_b32_e64 v7, v16, v7, s27
	s_delay_alu instid0(VALU_DEP_1)
	v_lshlrev_b32_e32 v7, 2, v7
	ds_store_b32 v7, v32
	v_sub_co_u32 v7, vcc_lo, v11, v9
	v_sub_co_ci_u32_e32 v13, vcc_lo, v12, v10, vcc_lo
	v_lshlrev_b64 v[9:10], 2, v[22:23]
	v_lshlrev_b64 v[11:12], 2, v[1:2]
	s_waitcnt lgkmcnt(0)
	s_barrier
	buffer_gl0_inv
	v_add_co_u32 v9, vcc_lo, s30, v9
	v_add_co_ci_u32_e32 v10, vcc_lo, s31, v10, vcc_lo
	v_cmp_ne_u32_e32 vcc_lo, 1, v31
	v_add_co_u32 v11, s0, s28, v11
	s_delay_alu instid0(VALU_DEP_1)
	v_add_co_ci_u32_e64 v12, s0, s29, v12, s0
	s_addc_u32 s0, s15, -1
	s_cbranch_vccz .LBB27_137
; %bb.134:
	s_and_b32 vcc_lo, exec_lo, s3
	s_cbranch_vccnz .LBB27_242
.LBB27_135:
	s_and_b32 s0, s2, s13
	s_delay_alu instid0(SALU_CYCLE_1)
	s_and_saveexec_b32 s1, s0
	s_cbranch_execnz .LBB27_360
.LBB27_136:
	s_nop 0
	s_sendmsg sendmsg(MSG_DEALLOC_VGPRS)
	s_endpgm
.LBB27_137:
	s_mov_b32 s3, exec_lo
	v_cmpx_le_u32_e64 v5, v0
	s_xor_b32 s3, exec_lo, s3
	s_cbranch_execz .LBB27_143
; %bb.138:
	s_mov_b32 s5, exec_lo
	v_cmpx_le_u32_e64 v14, v0
	s_xor_b32 s5, exec_lo, s5
	s_cbranch_execz .LBB27_140
; %bb.139:
	v_lshlrev_b32_e32 v15, 2, v0
	ds_load_b32 v17, v15
	v_add_co_u32 v15, vcc_lo, v7, v0
	v_add_co_ci_u32_e32 v16, vcc_lo, 0, v13, vcc_lo
	s_delay_alu instid0(VALU_DEP_1) | instskip(NEXT) | instid1(VALU_DEP_1)
	v_lshlrev_b64 v[15:16], 2, v[15:16]
	v_sub_co_u32 v15, vcc_lo, s14, v15
	s_delay_alu instid0(VALU_DEP_2)
	v_sub_co_ci_u32_e32 v16, vcc_lo, s15, v16, vcc_lo
	s_waitcnt lgkmcnt(0)
	global_store_b32 v[15:16], v17, off offset:-4
.LBB27_140:
	s_and_not1_saveexec_b32 s5, s5
	s_cbranch_execz .LBB27_142
; %bb.141:
	v_lshlrev_b32_e32 v15, 2, v0
	v_readfirstlane_b32 s6, v9
	v_readfirstlane_b32 s7, v10
	ds_load_b32 v16, v15
	s_waitcnt lgkmcnt(0)
	global_store_b32 v15, v16, s[6:7]
.LBB27_142:
	s_or_b32 exec_lo, exec_lo, s5
.LBB27_143:
	s_and_not1_saveexec_b32 s3, s3
	s_cbranch_execz .LBB27_145
; %bb.144:
	v_lshlrev_b32_e32 v15, 2, v0
	v_readfirstlane_b32 s6, v11
	v_readfirstlane_b32 s7, v12
	ds_load_b32 v16, v15
	s_waitcnt lgkmcnt(0)
	global_store_b32 v15, v16, s[6:7]
.LBB27_145:
	s_or_b32 exec_lo, exec_lo, s3
	v_or_b32_e32 v15, 0x100, v0
	s_mov_b32 s3, exec_lo
	s_delay_alu instid0(VALU_DEP_1)
	v_cmpx_le_u32_e64 v5, v15
	s_xor_b32 s3, exec_lo, s3
	s_cbranch_execz .LBB27_151
; %bb.146:
	s_mov_b32 s5, exec_lo
	v_cmpx_le_u32_e64 v14, v15
	s_xor_b32 s5, exec_lo, s5
	s_cbranch_execz .LBB27_148
; %bb.147:
	v_lshlrev_b32_e32 v15, 2, v0
	ds_load_b32 v17, v15 offset:1024
	v_add_co_u32 v15, vcc_lo, v7, v0
	v_add_co_ci_u32_e32 v16, vcc_lo, 0, v13, vcc_lo
	s_delay_alu instid0(VALU_DEP_1) | instskip(NEXT) | instid1(VALU_DEP_1)
	v_lshlrev_b64 v[15:16], 2, v[15:16]
	v_sub_co_u32 v15, vcc_lo, s1, v15
	s_delay_alu instid0(VALU_DEP_2)
	v_sub_co_ci_u32_e32 v16, vcc_lo, s0, v16, vcc_lo
	s_waitcnt lgkmcnt(0)
	global_store_b32 v[15:16], v17, off offset:-1024
.LBB27_148:
	s_and_not1_saveexec_b32 s5, s5
	s_cbranch_execz .LBB27_150
; %bb.149:
	v_lshlrev_b32_e32 v15, 2, v0
	v_readfirstlane_b32 s6, v9
	v_readfirstlane_b32 s7, v10
	ds_load_b32 v16, v15 offset:1024
	s_waitcnt lgkmcnt(0)
	global_store_b32 v15, v16, s[6:7] offset:1024
.LBB27_150:
	s_or_b32 exec_lo, exec_lo, s5
.LBB27_151:
	s_and_not1_saveexec_b32 s3, s3
	s_cbranch_execz .LBB27_153
; %bb.152:
	v_lshlrev_b32_e32 v15, 2, v0
	v_readfirstlane_b32 s6, v11
	v_readfirstlane_b32 s7, v12
	ds_load_b32 v16, v15 offset:1024
	s_waitcnt lgkmcnt(0)
	global_store_b32 v15, v16, s[6:7] offset:1024
.LBB27_153:
	s_or_b32 exec_lo, exec_lo, s3
	v_or_b32_e32 v15, 0x200, v0
	s_mov_b32 s3, exec_lo
	s_delay_alu instid0(VALU_DEP_1)
	v_cmpx_le_u32_e64 v5, v15
	s_xor_b32 s3, exec_lo, s3
	s_cbranch_execz .LBB27_159
; %bb.154:
	s_mov_b32 s5, exec_lo
	v_cmpx_le_u32_e64 v14, v15
	s_xor_b32 s5, exec_lo, s5
	s_cbranch_execz .LBB27_156
; %bb.155:
	v_lshlrev_b32_e32 v15, 2, v0
	ds_load_b32 v17, v15 offset:2048
	v_add_co_u32 v15, vcc_lo, v7, v0
	v_add_co_ci_u32_e32 v16, vcc_lo, 0, v13, vcc_lo
	s_delay_alu instid0(VALU_DEP_1) | instskip(NEXT) | instid1(VALU_DEP_1)
	v_lshlrev_b64 v[15:16], 2, v[15:16]
	v_sub_co_u32 v15, vcc_lo, s1, v15
	s_delay_alu instid0(VALU_DEP_2)
	v_sub_co_ci_u32_e32 v16, vcc_lo, s0, v16, vcc_lo
	s_waitcnt lgkmcnt(0)
	global_store_b32 v[15:16], v17, off offset:-2048
.LBB27_156:
	s_and_not1_saveexec_b32 s5, s5
	s_cbranch_execz .LBB27_158
; %bb.157:
	v_lshlrev_b32_e32 v15, 2, v0
	v_readfirstlane_b32 s6, v9
	v_readfirstlane_b32 s7, v10
	ds_load_b32 v16, v15 offset:2048
	s_waitcnt lgkmcnt(0)
	global_store_b32 v15, v16, s[6:7] offset:2048
.LBB27_158:
	s_or_b32 exec_lo, exec_lo, s5
.LBB27_159:
	s_and_not1_saveexec_b32 s3, s3
	s_cbranch_execz .LBB27_161
; %bb.160:
	v_lshlrev_b32_e32 v15, 2, v0
	v_readfirstlane_b32 s6, v11
	v_readfirstlane_b32 s7, v12
	ds_load_b32 v16, v15 offset:2048
	s_waitcnt lgkmcnt(0)
	global_store_b32 v15, v16, s[6:7] offset:2048
.LBB27_161:
	s_or_b32 exec_lo, exec_lo, s3
	v_or_b32_e32 v15, 0x300, v0
	s_mov_b32 s3, exec_lo
	s_delay_alu instid0(VALU_DEP_1)
	v_cmpx_le_u32_e64 v5, v15
	s_xor_b32 s3, exec_lo, s3
	s_cbranch_execz .LBB27_167
; %bb.162:
	s_mov_b32 s5, exec_lo
	v_cmpx_le_u32_e64 v14, v15
	s_xor_b32 s5, exec_lo, s5
	s_cbranch_execz .LBB27_164
; %bb.163:
	v_lshlrev_b32_e32 v15, 2, v0
	ds_load_b32 v17, v15 offset:3072
	v_add_co_u32 v15, vcc_lo, v7, v0
	v_add_co_ci_u32_e32 v16, vcc_lo, 0, v13, vcc_lo
	s_delay_alu instid0(VALU_DEP_1) | instskip(NEXT) | instid1(VALU_DEP_1)
	v_lshlrev_b64 v[15:16], 2, v[15:16]
	v_sub_co_u32 v15, vcc_lo, s1, v15
	s_delay_alu instid0(VALU_DEP_2)
	v_sub_co_ci_u32_e32 v16, vcc_lo, s0, v16, vcc_lo
	s_waitcnt lgkmcnt(0)
	global_store_b32 v[15:16], v17, off offset:-3072
.LBB27_164:
	s_and_not1_saveexec_b32 s5, s5
	s_cbranch_execz .LBB27_166
; %bb.165:
	v_lshlrev_b32_e32 v15, 2, v0
	v_readfirstlane_b32 s6, v9
	v_readfirstlane_b32 s7, v10
	ds_load_b32 v16, v15 offset:3072
	s_waitcnt lgkmcnt(0)
	global_store_b32 v15, v16, s[6:7] offset:3072
.LBB27_166:
	s_or_b32 exec_lo, exec_lo, s5
.LBB27_167:
	s_and_not1_saveexec_b32 s3, s3
	s_cbranch_execz .LBB27_169
; %bb.168:
	v_lshlrev_b32_e32 v15, 2, v0
	v_readfirstlane_b32 s6, v11
	v_readfirstlane_b32 s7, v12
	ds_load_b32 v16, v15 offset:3072
	s_waitcnt lgkmcnt(0)
	global_store_b32 v15, v16, s[6:7] offset:3072
.LBB27_169:
	s_or_b32 exec_lo, exec_lo, s3
	v_or_b32_e32 v15, 0x400, v0
	s_mov_b32 s3, exec_lo
	s_delay_alu instid0(VALU_DEP_1)
	v_cmpx_le_u32_e64 v5, v15
	s_xor_b32 s3, exec_lo, s3
	s_cbranch_execz .LBB27_175
; %bb.170:
	s_mov_b32 s5, exec_lo
	v_cmpx_le_u32_e64 v14, v15
	s_xor_b32 s5, exec_lo, s5
	s_cbranch_execz .LBB27_172
; %bb.171:
	v_lshlrev_b32_e32 v15, 2, v0
	ds_load_b32 v17, v15 offset:4096
	v_add_co_u32 v15, vcc_lo, v7, v0
	v_add_co_ci_u32_e32 v16, vcc_lo, 0, v13, vcc_lo
	s_delay_alu instid0(VALU_DEP_1) | instskip(NEXT) | instid1(VALU_DEP_1)
	v_lshlrev_b64 v[15:16], 2, v[15:16]
	v_sub_co_u32 v15, vcc_lo, s1, v15
	s_delay_alu instid0(VALU_DEP_2)
	v_sub_co_ci_u32_e32 v16, vcc_lo, s0, v16, vcc_lo
	s_waitcnt lgkmcnt(0)
	global_store_b32 v[15:16], v17, off offset:-4096
                                        ; implicit-def: $vgpr15
.LBB27_172:
	s_and_not1_saveexec_b32 s5, s5
	s_cbranch_execz .LBB27_174
; %bb.173:
	v_lshlrev_b32_e32 v16, 2, v0
	v_lshlrev_b32_e32 v15, 2, v15
	v_readfirstlane_b32 s6, v9
	v_readfirstlane_b32 s7, v10
	ds_load_b32 v16, v16 offset:4096
	s_waitcnt lgkmcnt(0)
	global_store_b32 v15, v16, s[6:7]
.LBB27_174:
	s_or_b32 exec_lo, exec_lo, s5
                                        ; implicit-def: $vgpr15
.LBB27_175:
	s_and_not1_saveexec_b32 s3, s3
	s_cbranch_execz .LBB27_177
; %bb.176:
	v_lshlrev_b32_e32 v16, 2, v0
	v_lshlrev_b32_e32 v15, 2, v15
	v_readfirstlane_b32 s6, v11
	v_readfirstlane_b32 s7, v12
	ds_load_b32 v16, v16 offset:4096
	s_waitcnt lgkmcnt(0)
	global_store_b32 v15, v16, s[6:7]
.LBB27_177:
	s_or_b32 exec_lo, exec_lo, s3
	v_or_b32_e32 v15, 0x500, v0
	s_mov_b32 s3, exec_lo
	s_delay_alu instid0(VALU_DEP_1)
	v_cmpx_le_u32_e64 v5, v15
	s_xor_b32 s3, exec_lo, s3
	s_cbranch_execz .LBB27_183
; %bb.178:
	s_mov_b32 s5, exec_lo
	v_cmpx_le_u32_e64 v14, v15
	s_xor_b32 s5, exec_lo, s5
	s_cbranch_execz .LBB27_180
; %bb.179:
	v_lshlrev_b32_e32 v16, 2, v0
	v_add_co_u32 v15, vcc_lo, v7, v15
	ds_load_b32 v17, v16 offset:5120
	v_add_co_ci_u32_e32 v16, vcc_lo, 0, v13, vcc_lo
	s_delay_alu instid0(VALU_DEP_1) | instskip(NEXT) | instid1(VALU_DEP_1)
	v_lshlrev_b64 v[15:16], 2, v[15:16]
	v_sub_co_u32 v15, vcc_lo, s1, v15
	s_delay_alu instid0(VALU_DEP_2)
	v_sub_co_ci_u32_e32 v16, vcc_lo, s0, v16, vcc_lo
	s_waitcnt lgkmcnt(0)
	global_store_b32 v[15:16], v17, off
                                        ; implicit-def: $vgpr15
.LBB27_180:
	s_and_not1_saveexec_b32 s5, s5
	s_cbranch_execz .LBB27_182
; %bb.181:
	v_lshlrev_b32_e32 v16, 2, v0
	v_lshlrev_b32_e32 v15, 2, v15
	v_readfirstlane_b32 s6, v9
	v_readfirstlane_b32 s7, v10
	ds_load_b32 v16, v16 offset:5120
	s_waitcnt lgkmcnt(0)
	global_store_b32 v15, v16, s[6:7]
.LBB27_182:
	s_or_b32 exec_lo, exec_lo, s5
                                        ; implicit-def: $vgpr15
.LBB27_183:
	s_and_not1_saveexec_b32 s3, s3
	s_cbranch_execz .LBB27_185
; %bb.184:
	v_lshlrev_b32_e32 v16, 2, v0
	v_lshlrev_b32_e32 v15, 2, v15
	v_readfirstlane_b32 s6, v11
	v_readfirstlane_b32 s7, v12
	ds_load_b32 v16, v16 offset:5120
	s_waitcnt lgkmcnt(0)
	global_store_b32 v15, v16, s[6:7]
.LBB27_185:
	s_or_b32 exec_lo, exec_lo, s3
	v_or_b32_e32 v15, 0x600, v0
	s_mov_b32 s3, exec_lo
	s_delay_alu instid0(VALU_DEP_1)
	v_cmpx_le_u32_e64 v5, v15
	s_xor_b32 s3, exec_lo, s3
	s_cbranch_execz .LBB27_191
; %bb.186:
	s_mov_b32 s5, exec_lo
	v_cmpx_le_u32_e64 v14, v15
	s_xor_b32 s5, exec_lo, s5
	s_cbranch_execz .LBB27_188
; %bb.187:
	v_lshlrev_b32_e32 v16, 2, v0
	v_add_co_u32 v15, vcc_lo, v7, v15
	ds_load_b32 v17, v16 offset:6144
	v_add_co_ci_u32_e32 v16, vcc_lo, 0, v13, vcc_lo
	s_delay_alu instid0(VALU_DEP_1) | instskip(NEXT) | instid1(VALU_DEP_1)
	v_lshlrev_b64 v[15:16], 2, v[15:16]
	v_sub_co_u32 v15, vcc_lo, s1, v15
	s_delay_alu instid0(VALU_DEP_2)
	v_sub_co_ci_u32_e32 v16, vcc_lo, s0, v16, vcc_lo
	s_waitcnt lgkmcnt(0)
	global_store_b32 v[15:16], v17, off
                                        ; implicit-def: $vgpr15
.LBB27_188:
	s_and_not1_saveexec_b32 s5, s5
	s_cbranch_execz .LBB27_190
; %bb.189:
	v_lshlrev_b32_e32 v16, 2, v0
	v_lshlrev_b32_e32 v15, 2, v15
	v_readfirstlane_b32 s6, v9
	v_readfirstlane_b32 s7, v10
	ds_load_b32 v16, v16 offset:6144
	s_waitcnt lgkmcnt(0)
	global_store_b32 v15, v16, s[6:7]
.LBB27_190:
	s_or_b32 exec_lo, exec_lo, s5
                                        ; implicit-def: $vgpr15
.LBB27_191:
	;; [unrolled: 51-line block ×8, first 2 shown]
	s_and_not1_saveexec_b32 s3, s3
	s_cbranch_execz .LBB27_241
; %bb.240:
	v_lshlrev_b32_e32 v16, 2, v0
	v_lshlrev_b32_e32 v15, 2, v15
	v_readfirstlane_b32 s6, v11
	v_readfirstlane_b32 s7, v12
	ds_load_b32 v16, v16 offset:12288
	s_waitcnt lgkmcnt(0)
	global_store_b32 v15, v16, s[6:7]
.LBB27_241:
	s_or_b32 exec_lo, exec_lo, s3
	s_branch .LBB27_135
.LBB27_242:
	s_mov_b32 s3, exec_lo
	v_cmpx_gt_u32_e64 s4, v0
	s_cbranch_execz .LBB27_251
; %bb.243:
	s_mov_b32 s5, exec_lo
	v_cmpx_le_u32_e64 v5, v0
	s_xor_b32 s5, exec_lo, s5
	s_cbranch_execz .LBB27_249
; %bb.244:
	s_mov_b32 s6, exec_lo
	v_cmpx_le_u32_e64 v14, v0
	s_xor_b32 s6, exec_lo, s6
	s_cbranch_execz .LBB27_246
; %bb.245:
	v_lshlrev_b32_e32 v15, 2, v0
	ds_load_b32 v17, v15
	v_add_co_u32 v15, vcc_lo, v7, v0
	v_add_co_ci_u32_e32 v16, vcc_lo, 0, v13, vcc_lo
	s_delay_alu instid0(VALU_DEP_1) | instskip(NEXT) | instid1(VALU_DEP_1)
	v_lshlrev_b64 v[15:16], 2, v[15:16]
	v_sub_co_u32 v15, vcc_lo, s14, v15
	s_delay_alu instid0(VALU_DEP_2)
	v_sub_co_ci_u32_e32 v16, vcc_lo, s15, v16, vcc_lo
	s_waitcnt lgkmcnt(0)
	global_store_b32 v[15:16], v17, off offset:-4
.LBB27_246:
	s_and_not1_saveexec_b32 s6, s6
	s_cbranch_execz .LBB27_248
; %bb.247:
	v_lshlrev_b32_e32 v15, 2, v0
	v_readfirstlane_b32 s8, v9
	v_readfirstlane_b32 s9, v10
	ds_load_b32 v16, v15
	s_waitcnt lgkmcnt(0)
	global_store_b32 v15, v16, s[8:9]
.LBB27_248:
	s_or_b32 exec_lo, exec_lo, s6
.LBB27_249:
	s_and_not1_saveexec_b32 s5, s5
	s_cbranch_execz .LBB27_251
; %bb.250:
	v_lshlrev_b32_e32 v15, 2, v0
	v_readfirstlane_b32 s6, v11
	v_readfirstlane_b32 s7, v12
	ds_load_b32 v16, v15
	s_waitcnt lgkmcnt(0)
	global_store_b32 v15, v16, s[6:7]
.LBB27_251:
	s_or_b32 exec_lo, exec_lo, s3
	v_or_b32_e32 v15, 0x100, v0
	s_mov_b32 s3, exec_lo
	s_delay_alu instid0(VALU_DEP_1)
	v_cmpx_gt_u32_e64 s4, v15
	s_cbranch_execz .LBB27_260
; %bb.252:
	s_mov_b32 s5, exec_lo
	v_cmpx_le_u32_e64 v5, v15
	s_xor_b32 s5, exec_lo, s5
	s_cbranch_execz .LBB27_258
; %bb.253:
	s_mov_b32 s6, exec_lo
	v_cmpx_le_u32_e64 v14, v15
	s_xor_b32 s6, exec_lo, s6
	s_cbranch_execz .LBB27_255
; %bb.254:
	v_lshlrev_b32_e32 v15, 2, v0
	ds_load_b32 v17, v15 offset:1024
	v_add_co_u32 v15, vcc_lo, v7, v0
	v_add_co_ci_u32_e32 v16, vcc_lo, 0, v13, vcc_lo
	s_delay_alu instid0(VALU_DEP_1) | instskip(NEXT) | instid1(VALU_DEP_1)
	v_lshlrev_b64 v[15:16], 2, v[15:16]
	v_sub_co_u32 v15, vcc_lo, s1, v15
	s_delay_alu instid0(VALU_DEP_2)
	v_sub_co_ci_u32_e32 v16, vcc_lo, s0, v16, vcc_lo
	s_waitcnt lgkmcnt(0)
	global_store_b32 v[15:16], v17, off offset:-1024
.LBB27_255:
	s_and_not1_saveexec_b32 s6, s6
	s_cbranch_execz .LBB27_257
; %bb.256:
	v_lshlrev_b32_e32 v15, 2, v0
	v_readfirstlane_b32 s8, v9
	v_readfirstlane_b32 s9, v10
	ds_load_b32 v16, v15 offset:1024
	s_waitcnt lgkmcnt(0)
	global_store_b32 v15, v16, s[8:9] offset:1024
.LBB27_257:
	s_or_b32 exec_lo, exec_lo, s6
.LBB27_258:
	s_and_not1_saveexec_b32 s5, s5
	s_cbranch_execz .LBB27_260
; %bb.259:
	v_lshlrev_b32_e32 v15, 2, v0
	v_readfirstlane_b32 s6, v11
	v_readfirstlane_b32 s7, v12
	ds_load_b32 v16, v15 offset:1024
	s_waitcnt lgkmcnt(0)
	global_store_b32 v15, v16, s[6:7] offset:1024
.LBB27_260:
	s_or_b32 exec_lo, exec_lo, s3
	v_or_b32_e32 v15, 0x200, v0
	s_mov_b32 s3, exec_lo
	s_delay_alu instid0(VALU_DEP_1)
	v_cmpx_gt_u32_e64 s4, v15
	s_cbranch_execz .LBB27_269
; %bb.261:
	s_mov_b32 s5, exec_lo
	v_cmpx_le_u32_e64 v5, v15
	s_xor_b32 s5, exec_lo, s5
	s_cbranch_execz .LBB27_267
; %bb.262:
	s_mov_b32 s6, exec_lo
	v_cmpx_le_u32_e64 v14, v15
	s_xor_b32 s6, exec_lo, s6
	s_cbranch_execz .LBB27_264
; %bb.263:
	v_lshlrev_b32_e32 v15, 2, v0
	ds_load_b32 v17, v15 offset:2048
	v_add_co_u32 v15, vcc_lo, v7, v0
	v_add_co_ci_u32_e32 v16, vcc_lo, 0, v13, vcc_lo
	s_delay_alu instid0(VALU_DEP_1) | instskip(NEXT) | instid1(VALU_DEP_1)
	v_lshlrev_b64 v[15:16], 2, v[15:16]
	v_sub_co_u32 v15, vcc_lo, s1, v15
	s_delay_alu instid0(VALU_DEP_2)
	v_sub_co_ci_u32_e32 v16, vcc_lo, s0, v16, vcc_lo
	s_waitcnt lgkmcnt(0)
	global_store_b32 v[15:16], v17, off offset:-2048
.LBB27_264:
	s_and_not1_saveexec_b32 s6, s6
	s_cbranch_execz .LBB27_266
; %bb.265:
	v_lshlrev_b32_e32 v15, 2, v0
	v_readfirstlane_b32 s8, v9
	v_readfirstlane_b32 s9, v10
	ds_load_b32 v16, v15 offset:2048
	s_waitcnt lgkmcnt(0)
	global_store_b32 v15, v16, s[8:9] offset:2048
.LBB27_266:
	s_or_b32 exec_lo, exec_lo, s6
.LBB27_267:
	s_and_not1_saveexec_b32 s5, s5
	s_cbranch_execz .LBB27_269
; %bb.268:
	v_lshlrev_b32_e32 v15, 2, v0
	v_readfirstlane_b32 s6, v11
	v_readfirstlane_b32 s7, v12
	ds_load_b32 v16, v15 offset:2048
	s_waitcnt lgkmcnt(0)
	global_store_b32 v15, v16, s[6:7] offset:2048
.LBB27_269:
	;; [unrolled: 51-line block ×3, first 2 shown]
	s_or_b32 exec_lo, exec_lo, s3
	v_or_b32_e32 v15, 0x400, v0
	s_mov_b32 s3, exec_lo
	s_delay_alu instid0(VALU_DEP_1)
	v_cmpx_gt_u32_e64 s4, v15
	s_cbranch_execz .LBB27_287
; %bb.279:
	s_mov_b32 s5, exec_lo
	v_cmpx_le_u32_e64 v5, v15
	s_xor_b32 s5, exec_lo, s5
	s_cbranch_execz .LBB27_285
; %bb.280:
	s_mov_b32 s6, exec_lo
	v_cmpx_le_u32_e64 v14, v15
	s_xor_b32 s6, exec_lo, s6
	s_cbranch_execz .LBB27_282
; %bb.281:
	v_lshlrev_b32_e32 v15, 2, v0
	ds_load_b32 v17, v15 offset:4096
	v_add_co_u32 v15, vcc_lo, v7, v0
	v_add_co_ci_u32_e32 v16, vcc_lo, 0, v13, vcc_lo
	s_delay_alu instid0(VALU_DEP_1) | instskip(NEXT) | instid1(VALU_DEP_1)
	v_lshlrev_b64 v[15:16], 2, v[15:16]
	v_sub_co_u32 v15, vcc_lo, s1, v15
	s_delay_alu instid0(VALU_DEP_2)
	v_sub_co_ci_u32_e32 v16, vcc_lo, s0, v16, vcc_lo
	s_waitcnt lgkmcnt(0)
	global_store_b32 v[15:16], v17, off offset:-4096
                                        ; implicit-def: $vgpr15
.LBB27_282:
	s_and_not1_saveexec_b32 s6, s6
	s_cbranch_execz .LBB27_284
; %bb.283:
	v_lshlrev_b32_e32 v16, 2, v0
	v_lshlrev_b32_e32 v15, 2, v15
	v_readfirstlane_b32 s8, v9
	v_readfirstlane_b32 s9, v10
	ds_load_b32 v16, v16 offset:4096
	s_waitcnt lgkmcnt(0)
	global_store_b32 v15, v16, s[8:9]
.LBB27_284:
	s_or_b32 exec_lo, exec_lo, s6
                                        ; implicit-def: $vgpr15
.LBB27_285:
	s_and_not1_saveexec_b32 s5, s5
	s_cbranch_execz .LBB27_287
; %bb.286:
	v_lshlrev_b32_e32 v16, 2, v0
	v_lshlrev_b32_e32 v15, 2, v15
	v_readfirstlane_b32 s6, v11
	v_readfirstlane_b32 s7, v12
	ds_load_b32 v16, v16 offset:4096
	s_waitcnt lgkmcnt(0)
	global_store_b32 v15, v16, s[6:7]
.LBB27_287:
	s_or_b32 exec_lo, exec_lo, s3
	v_or_b32_e32 v15, 0x500, v0
	s_mov_b32 s3, exec_lo
	s_delay_alu instid0(VALU_DEP_1)
	v_cmpx_gt_u32_e64 s4, v15
	s_cbranch_execz .LBB27_296
; %bb.288:
	s_mov_b32 s5, exec_lo
	v_cmpx_le_u32_e64 v5, v15
	s_xor_b32 s5, exec_lo, s5
	s_cbranch_execz .LBB27_294
; %bb.289:
	s_mov_b32 s6, exec_lo
	v_cmpx_le_u32_e64 v14, v15
	s_xor_b32 s6, exec_lo, s6
	s_cbranch_execz .LBB27_291
; %bb.290:
	v_lshlrev_b32_e32 v16, 2, v0
	v_add_co_u32 v15, vcc_lo, v7, v15
	ds_load_b32 v17, v16 offset:5120
	v_add_co_ci_u32_e32 v16, vcc_lo, 0, v13, vcc_lo
	s_delay_alu instid0(VALU_DEP_1) | instskip(NEXT) | instid1(VALU_DEP_1)
	v_lshlrev_b64 v[15:16], 2, v[15:16]
	v_sub_co_u32 v15, vcc_lo, s1, v15
	s_delay_alu instid0(VALU_DEP_2)
	v_sub_co_ci_u32_e32 v16, vcc_lo, s0, v16, vcc_lo
	s_waitcnt lgkmcnt(0)
	global_store_b32 v[15:16], v17, off
                                        ; implicit-def: $vgpr15
.LBB27_291:
	s_and_not1_saveexec_b32 s6, s6
	s_cbranch_execz .LBB27_293
; %bb.292:
	v_lshlrev_b32_e32 v16, 2, v0
	v_lshlrev_b32_e32 v15, 2, v15
	v_readfirstlane_b32 s8, v9
	v_readfirstlane_b32 s9, v10
	ds_load_b32 v16, v16 offset:5120
	s_waitcnt lgkmcnt(0)
	global_store_b32 v15, v16, s[8:9]
.LBB27_293:
	s_or_b32 exec_lo, exec_lo, s6
                                        ; implicit-def: $vgpr15
.LBB27_294:
	s_and_not1_saveexec_b32 s5, s5
	s_cbranch_execz .LBB27_296
; %bb.295:
	v_lshlrev_b32_e32 v16, 2, v0
	v_lshlrev_b32_e32 v15, 2, v15
	v_readfirstlane_b32 s6, v11
	v_readfirstlane_b32 s7, v12
	ds_load_b32 v16, v16 offset:5120
	s_waitcnt lgkmcnt(0)
	global_store_b32 v15, v16, s[6:7]
.LBB27_296:
	s_or_b32 exec_lo, exec_lo, s3
	v_or_b32_e32 v15, 0x600, v0
	s_mov_b32 s3, exec_lo
	s_delay_alu instid0(VALU_DEP_1)
	v_cmpx_gt_u32_e64 s4, v15
	s_cbranch_execz .LBB27_305
; %bb.297:
	s_mov_b32 s5, exec_lo
	v_cmpx_le_u32_e64 v5, v15
	s_xor_b32 s5, exec_lo, s5
	s_cbranch_execz .LBB27_303
; %bb.298:
	s_mov_b32 s6, exec_lo
	v_cmpx_le_u32_e64 v14, v15
	s_xor_b32 s6, exec_lo, s6
	s_cbranch_execz .LBB27_300
; %bb.299:
	v_lshlrev_b32_e32 v16, 2, v0
	v_add_co_u32 v15, vcc_lo, v7, v15
	ds_load_b32 v17, v16 offset:6144
	v_add_co_ci_u32_e32 v16, vcc_lo, 0, v13, vcc_lo
	s_delay_alu instid0(VALU_DEP_1) | instskip(NEXT) | instid1(VALU_DEP_1)
	v_lshlrev_b64 v[15:16], 2, v[15:16]
	v_sub_co_u32 v15, vcc_lo, s1, v15
	s_delay_alu instid0(VALU_DEP_2)
	v_sub_co_ci_u32_e32 v16, vcc_lo, s0, v16, vcc_lo
	s_waitcnt lgkmcnt(0)
	global_store_b32 v[15:16], v17, off
                                        ; implicit-def: $vgpr15
.LBB27_300:
	s_and_not1_saveexec_b32 s6, s6
	s_cbranch_execz .LBB27_302
; %bb.301:
	v_lshlrev_b32_e32 v16, 2, v0
	v_lshlrev_b32_e32 v15, 2, v15
	v_readfirstlane_b32 s8, v9
	v_readfirstlane_b32 s9, v10
	ds_load_b32 v16, v16 offset:6144
	s_waitcnt lgkmcnt(0)
	global_store_b32 v15, v16, s[8:9]
.LBB27_302:
	s_or_b32 exec_lo, exec_lo, s6
                                        ; implicit-def: $vgpr15
.LBB27_303:
	s_and_not1_saveexec_b32 s5, s5
	s_cbranch_execz .LBB27_305
; %bb.304:
	v_lshlrev_b32_e32 v16, 2, v0
	v_lshlrev_b32_e32 v15, 2, v15
	v_readfirstlane_b32 s6, v11
	v_readfirstlane_b32 s7, v12
	ds_load_b32 v16, v16 offset:6144
	s_waitcnt lgkmcnt(0)
	global_store_b32 v15, v16, s[6:7]
.LBB27_305:
	;; [unrolled: 55-line block ×7, first 2 shown]
	s_or_b32 exec_lo, exec_lo, s3
	v_or_b32_e32 v15, 0xc00, v0
	s_mov_b32 s3, exec_lo
	s_delay_alu instid0(VALU_DEP_1)
	v_cmpx_gt_u32_e64 s4, v15
	s_cbranch_execz .LBB27_359
; %bb.351:
	s_mov_b32 s4, exec_lo
	v_cmpx_le_u32_e64 v5, v15
	s_xor_b32 s4, exec_lo, s4
	s_cbranch_execz .LBB27_357
; %bb.352:
	s_mov_b32 s5, exec_lo
	v_cmpx_le_u32_e64 v14, v15
	s_xor_b32 s5, exec_lo, s5
	s_cbranch_execz .LBB27_354
; %bb.353:
	v_lshlrev_b32_e32 v0, 2, v0
	v_add_co_u32 v9, vcc_lo, v7, v15
	v_add_co_ci_u32_e32 v10, vcc_lo, 0, v13, vcc_lo
	ds_load_b32 v0, v0 offset:12288
                                        ; implicit-def: $vgpr15
	v_lshlrev_b64 v[9:10], 2, v[9:10]
	s_delay_alu instid0(VALU_DEP_1) | instskip(NEXT) | instid1(VALU_DEP_2)
	v_sub_co_u32 v9, vcc_lo, s1, v9
	v_sub_co_ci_u32_e32 v10, vcc_lo, s0, v10, vcc_lo
	s_waitcnt lgkmcnt(0)
	global_store_b32 v[9:10], v0, off
                                        ; implicit-def: $vgpr0
                                        ; implicit-def: $vgpr9_vgpr10
.LBB27_354:
	s_and_not1_saveexec_b32 s0, s5
	s_cbranch_execz .LBB27_356
; %bb.355:
	v_lshlrev_b32_e32 v0, 2, v0
	v_lshlrev_b32_e32 v7, 2, v15
	v_readfirstlane_b32 s6, v9
	v_readfirstlane_b32 s7, v10
	ds_load_b32 v0, v0 offset:12288
	s_waitcnt lgkmcnt(0)
	global_store_b32 v7, v0, s[6:7]
.LBB27_356:
	s_or_b32 exec_lo, exec_lo, s0
                                        ; implicit-def: $vgpr0
                                        ; implicit-def: $vgpr15
                                        ; implicit-def: $vgpr11_vgpr12
.LBB27_357:
	s_and_not1_saveexec_b32 s0, s4
	s_cbranch_execz .LBB27_359
; %bb.358:
	v_lshlrev_b32_e32 v0, 2, v0
	v_lshlrev_b32_e32 v7, 2, v15
	v_readfirstlane_b32 s0, v11
	v_readfirstlane_b32 s1, v12
	ds_load_b32 v0, v0 offset:12288
	s_waitcnt lgkmcnt(0)
	global_store_b32 v7, v0, s[0:1]
.LBB27_359:
	s_or_b32 exec_lo, exec_lo, s3
	s_and_b32 s0, s2, s13
	s_delay_alu instid0(SALU_CYCLE_1)
	s_and_saveexec_b32 s1, s0
	s_cbranch_execz .LBB27_136
.LBB27_360:
	v_add_co_u32 v3, vcc_lo, v3, v6
	v_add_co_ci_u32_e32 v4, vcc_lo, 0, v4, vcc_lo
	v_add_co_u32 v0, vcc_lo, v1, v5
	v_add_co_ci_u32_e32 v1, vcc_lo, 0, v2, vcc_lo
	s_delay_alu instid0(VALU_DEP_4)
	v_add_co_u32 v2, vcc_lo, v3, v8
	v_mov_b32_e32 v7, 0
	v_add_co_ci_u32_e32 v3, vcc_lo, 0, v4, vcc_lo
	global_store_b128 v7, v[0:3], s[24:25]
	s_nop 0
	s_sendmsg sendmsg(MSG_DEALLOC_VGPRS)
	s_endpgm
.LBB27_361:
	v_add_nc_u32_e32 v7, s6, v27
	s_add_i32 s8, s26, 32
	s_mov_b32 s9, 0
	v_dual_mov_b32 v9, 0 :: v_dual_add_nc_u32 v6, v26, v5
	s_lshl_b64 s[8:9], s[8:9], 4
	v_and_b32_e32 v24, 0xff0000, v7
	s_add_u32 s8, s36, s8
	s_addc_u32 s9, s37, s9
	v_and_b32_e32 v8, 0xff000000, v7
	s_delay_alu instid0(VALU_DEP_1) | instskip(SKIP_2) | instid1(VALU_DEP_1)
	v_or_b32_e32 v24, v24, v8
	v_dual_mov_b32 v8, 2 :: v_dual_and_b32 v25, 0xff00, v7
	v_and_b32_e32 v7, 0xff, v7
	v_or3_b32 v7, v24, v25, v7
	v_dual_mov_b32 v25, s9 :: v_dual_mov_b32 v24, s8
	;;#ASMSTART
	global_store_dwordx4 v[24:25], v[6:9] off	
s_waitcnt vmcnt(0)
	;;#ASMEND
	s_or_b32 exec_lo, exec_lo, s7
	s_and_saveexec_b32 s7, s3
	s_cbranch_execz .LBB27_120
.LBB27_362:
	v_mov_b32_e32 v6, s6
	v_add_nc_u32_e64 v7, 0x3400, 0
	ds_store_2addr_b32 v7, v5, v6 offset1:2
	ds_store_2addr_b32 v7, v26, v27 offset0:4 offset1:6
	s_or_b32 exec_lo, exec_lo, s7
	s_delay_alu instid0(SALU_CYCLE_1)
	s_and_b32 exec_lo, exec_lo, s2
	s_cbranch_execnz .LBB27_121
	s_branch .LBB27_122
	.section	.rodata,"a",@progbits
	.p2align	6, 0x0
	.amdhsa_kernel _ZN7rocprim17ROCPRIM_400000_NS6detail17trampoline_kernelINS0_13select_configILj256ELj13ELNS0_17block_load_methodE3ELS4_3ELS4_3ELNS0_20block_scan_algorithmE0ELj4294967295EEENS1_25partition_config_selectorILNS1_17partition_subalgoE4EjNS0_10empty_typeEbEEZZNS1_14partition_implILS8_4ELb0ES6_15HIP_vector_typeIjLj2EENS0_17counting_iteratorIjlEEPS9_SG_NS0_5tupleIJPjSI_NS0_16reverse_iteratorISI_EEEEENSH_IJSG_SG_SG_EEES9_SI_JZNS1_25segmented_radix_sort_implINS0_14default_configELb1EPKhPhPKlPlN2at6native12_GLOBAL__N_18offset_tEEE10hipError_tPvRmT1_PNSt15iterator_traitsIS12_E10value_typeET2_T3_PNS13_IS18_E10value_typeET4_jRbjT5_S1E_jjP12ihipStream_tbEUljE_ZNSN_ISO_Lb1ESQ_SR_ST_SU_SY_EESZ_S10_S11_S12_S16_S17_S18_S1B_S1C_jS1D_jS1E_S1E_jjS1G_bEUljE0_EEESZ_S10_S11_S18_S1C_S1E_T6_T7_T9_mT8_S1G_bDpT10_ENKUlT_T0_E_clISt17integral_constantIbLb1EES1U_EEDaS1P_S1Q_EUlS1P_E_NS1_11comp_targetILNS1_3genE9ELNS1_11target_archE1100ELNS1_3gpuE3ELNS1_3repE0EEENS1_30default_config_static_selectorELNS0_4arch9wavefront6targetE0EEEvS12_
		.amdhsa_group_segment_fixed_size 13340
		.amdhsa_private_segment_fixed_size 0
		.amdhsa_kernarg_size 184
		.amdhsa_user_sgpr_count 15
		.amdhsa_user_sgpr_dispatch_ptr 0
		.amdhsa_user_sgpr_queue_ptr 0
		.amdhsa_user_sgpr_kernarg_segment_ptr 1
		.amdhsa_user_sgpr_dispatch_id 0
		.amdhsa_user_sgpr_private_segment_size 0
		.amdhsa_wavefront_size32 1
		.amdhsa_uses_dynamic_stack 0
		.amdhsa_enable_private_segment 0
		.amdhsa_system_sgpr_workgroup_id_x 1
		.amdhsa_system_sgpr_workgroup_id_y 0
		.amdhsa_system_sgpr_workgroup_id_z 0
		.amdhsa_system_sgpr_workgroup_info 0
		.amdhsa_system_vgpr_workitem_id 0
		.amdhsa_next_free_vgpr 103
		.amdhsa_next_free_sgpr 55
		.amdhsa_reserve_vcc 1
		.amdhsa_float_round_mode_32 0
		.amdhsa_float_round_mode_16_64 0
		.amdhsa_float_denorm_mode_32 3
		.amdhsa_float_denorm_mode_16_64 3
		.amdhsa_dx10_clamp 1
		.amdhsa_ieee_mode 1
		.amdhsa_fp16_overflow 0
		.amdhsa_workgroup_processor_mode 1
		.amdhsa_memory_ordered 1
		.amdhsa_forward_progress 0
		.amdhsa_shared_vgpr_count 0
		.amdhsa_exception_fp_ieee_invalid_op 0
		.amdhsa_exception_fp_denorm_src 0
		.amdhsa_exception_fp_ieee_div_zero 0
		.amdhsa_exception_fp_ieee_overflow 0
		.amdhsa_exception_fp_ieee_underflow 0
		.amdhsa_exception_fp_ieee_inexact 0
		.amdhsa_exception_int_div_zero 0
	.end_amdhsa_kernel
	.section	.text._ZN7rocprim17ROCPRIM_400000_NS6detail17trampoline_kernelINS0_13select_configILj256ELj13ELNS0_17block_load_methodE3ELS4_3ELS4_3ELNS0_20block_scan_algorithmE0ELj4294967295EEENS1_25partition_config_selectorILNS1_17partition_subalgoE4EjNS0_10empty_typeEbEEZZNS1_14partition_implILS8_4ELb0ES6_15HIP_vector_typeIjLj2EENS0_17counting_iteratorIjlEEPS9_SG_NS0_5tupleIJPjSI_NS0_16reverse_iteratorISI_EEEEENSH_IJSG_SG_SG_EEES9_SI_JZNS1_25segmented_radix_sort_implINS0_14default_configELb1EPKhPhPKlPlN2at6native12_GLOBAL__N_18offset_tEEE10hipError_tPvRmT1_PNSt15iterator_traitsIS12_E10value_typeET2_T3_PNS13_IS18_E10value_typeET4_jRbjT5_S1E_jjP12ihipStream_tbEUljE_ZNSN_ISO_Lb1ESQ_SR_ST_SU_SY_EESZ_S10_S11_S12_S16_S17_S18_S1B_S1C_jS1D_jS1E_S1E_jjS1G_bEUljE0_EEESZ_S10_S11_S18_S1C_S1E_T6_T7_T9_mT8_S1G_bDpT10_ENKUlT_T0_E_clISt17integral_constantIbLb1EES1U_EEDaS1P_S1Q_EUlS1P_E_NS1_11comp_targetILNS1_3genE9ELNS1_11target_archE1100ELNS1_3gpuE3ELNS1_3repE0EEENS1_30default_config_static_selectorELNS0_4arch9wavefront6targetE0EEEvS12_,"axG",@progbits,_ZN7rocprim17ROCPRIM_400000_NS6detail17trampoline_kernelINS0_13select_configILj256ELj13ELNS0_17block_load_methodE3ELS4_3ELS4_3ELNS0_20block_scan_algorithmE0ELj4294967295EEENS1_25partition_config_selectorILNS1_17partition_subalgoE4EjNS0_10empty_typeEbEEZZNS1_14partition_implILS8_4ELb0ES6_15HIP_vector_typeIjLj2EENS0_17counting_iteratorIjlEEPS9_SG_NS0_5tupleIJPjSI_NS0_16reverse_iteratorISI_EEEEENSH_IJSG_SG_SG_EEES9_SI_JZNS1_25segmented_radix_sort_implINS0_14default_configELb1EPKhPhPKlPlN2at6native12_GLOBAL__N_18offset_tEEE10hipError_tPvRmT1_PNSt15iterator_traitsIS12_E10value_typeET2_T3_PNS13_IS18_E10value_typeET4_jRbjT5_S1E_jjP12ihipStream_tbEUljE_ZNSN_ISO_Lb1ESQ_SR_ST_SU_SY_EESZ_S10_S11_S12_S16_S17_S18_S1B_S1C_jS1D_jS1E_S1E_jjS1G_bEUljE0_EEESZ_S10_S11_S18_S1C_S1E_T6_T7_T9_mT8_S1G_bDpT10_ENKUlT_T0_E_clISt17integral_constantIbLb1EES1U_EEDaS1P_S1Q_EUlS1P_E_NS1_11comp_targetILNS1_3genE9ELNS1_11target_archE1100ELNS1_3gpuE3ELNS1_3repE0EEENS1_30default_config_static_selectorELNS0_4arch9wavefront6targetE0EEEvS12_,comdat
.Lfunc_end27:
	.size	_ZN7rocprim17ROCPRIM_400000_NS6detail17trampoline_kernelINS0_13select_configILj256ELj13ELNS0_17block_load_methodE3ELS4_3ELS4_3ELNS0_20block_scan_algorithmE0ELj4294967295EEENS1_25partition_config_selectorILNS1_17partition_subalgoE4EjNS0_10empty_typeEbEEZZNS1_14partition_implILS8_4ELb0ES6_15HIP_vector_typeIjLj2EENS0_17counting_iteratorIjlEEPS9_SG_NS0_5tupleIJPjSI_NS0_16reverse_iteratorISI_EEEEENSH_IJSG_SG_SG_EEES9_SI_JZNS1_25segmented_radix_sort_implINS0_14default_configELb1EPKhPhPKlPlN2at6native12_GLOBAL__N_18offset_tEEE10hipError_tPvRmT1_PNSt15iterator_traitsIS12_E10value_typeET2_T3_PNS13_IS18_E10value_typeET4_jRbjT5_S1E_jjP12ihipStream_tbEUljE_ZNSN_ISO_Lb1ESQ_SR_ST_SU_SY_EESZ_S10_S11_S12_S16_S17_S18_S1B_S1C_jS1D_jS1E_S1E_jjS1G_bEUljE0_EEESZ_S10_S11_S18_S1C_S1E_T6_T7_T9_mT8_S1G_bDpT10_ENKUlT_T0_E_clISt17integral_constantIbLb1EES1U_EEDaS1P_S1Q_EUlS1P_E_NS1_11comp_targetILNS1_3genE9ELNS1_11target_archE1100ELNS1_3gpuE3ELNS1_3repE0EEENS1_30default_config_static_selectorELNS0_4arch9wavefront6targetE0EEEvS12_, .Lfunc_end27-_ZN7rocprim17ROCPRIM_400000_NS6detail17trampoline_kernelINS0_13select_configILj256ELj13ELNS0_17block_load_methodE3ELS4_3ELS4_3ELNS0_20block_scan_algorithmE0ELj4294967295EEENS1_25partition_config_selectorILNS1_17partition_subalgoE4EjNS0_10empty_typeEbEEZZNS1_14partition_implILS8_4ELb0ES6_15HIP_vector_typeIjLj2EENS0_17counting_iteratorIjlEEPS9_SG_NS0_5tupleIJPjSI_NS0_16reverse_iteratorISI_EEEEENSH_IJSG_SG_SG_EEES9_SI_JZNS1_25segmented_radix_sort_implINS0_14default_configELb1EPKhPhPKlPlN2at6native12_GLOBAL__N_18offset_tEEE10hipError_tPvRmT1_PNSt15iterator_traitsIS12_E10value_typeET2_T3_PNS13_IS18_E10value_typeET4_jRbjT5_S1E_jjP12ihipStream_tbEUljE_ZNSN_ISO_Lb1ESQ_SR_ST_SU_SY_EESZ_S10_S11_S12_S16_S17_S18_S1B_S1C_jS1D_jS1E_S1E_jjS1G_bEUljE0_EEESZ_S10_S11_S18_S1C_S1E_T6_T7_T9_mT8_S1G_bDpT10_ENKUlT_T0_E_clISt17integral_constantIbLb1EES1U_EEDaS1P_S1Q_EUlS1P_E_NS1_11comp_targetILNS1_3genE9ELNS1_11target_archE1100ELNS1_3gpuE3ELNS1_3repE0EEENS1_30default_config_static_selectorELNS0_4arch9wavefront6targetE0EEEvS12_
                                        ; -- End function
	.section	.AMDGPU.csdata,"",@progbits
; Kernel info:
; codeLenInByte = 15160
; NumSgprs: 57
; NumVgprs: 103
; ScratchSize: 0
; MemoryBound: 0
; FloatMode: 240
; IeeeMode: 1
; LDSByteSize: 13340 bytes/workgroup (compile time only)
; SGPRBlocks: 7
; VGPRBlocks: 12
; NumSGPRsForWavesPerEU: 57
; NumVGPRsForWavesPerEU: 103
; Occupancy: 12
; WaveLimiterHint : 1
; COMPUTE_PGM_RSRC2:SCRATCH_EN: 0
; COMPUTE_PGM_RSRC2:USER_SGPR: 15
; COMPUTE_PGM_RSRC2:TRAP_HANDLER: 0
; COMPUTE_PGM_RSRC2:TGID_X_EN: 1
; COMPUTE_PGM_RSRC2:TGID_Y_EN: 0
; COMPUTE_PGM_RSRC2:TGID_Z_EN: 0
; COMPUTE_PGM_RSRC2:TIDIG_COMP_CNT: 0
	.section	.text._ZN7rocprim17ROCPRIM_400000_NS6detail17trampoline_kernelINS0_13select_configILj256ELj13ELNS0_17block_load_methodE3ELS4_3ELS4_3ELNS0_20block_scan_algorithmE0ELj4294967295EEENS1_25partition_config_selectorILNS1_17partition_subalgoE4EjNS0_10empty_typeEbEEZZNS1_14partition_implILS8_4ELb0ES6_15HIP_vector_typeIjLj2EENS0_17counting_iteratorIjlEEPS9_SG_NS0_5tupleIJPjSI_NS0_16reverse_iteratorISI_EEEEENSH_IJSG_SG_SG_EEES9_SI_JZNS1_25segmented_radix_sort_implINS0_14default_configELb1EPKhPhPKlPlN2at6native12_GLOBAL__N_18offset_tEEE10hipError_tPvRmT1_PNSt15iterator_traitsIS12_E10value_typeET2_T3_PNS13_IS18_E10value_typeET4_jRbjT5_S1E_jjP12ihipStream_tbEUljE_ZNSN_ISO_Lb1ESQ_SR_ST_SU_SY_EESZ_S10_S11_S12_S16_S17_S18_S1B_S1C_jS1D_jS1E_S1E_jjS1G_bEUljE0_EEESZ_S10_S11_S18_S1C_S1E_T6_T7_T9_mT8_S1G_bDpT10_ENKUlT_T0_E_clISt17integral_constantIbLb1EES1U_EEDaS1P_S1Q_EUlS1P_E_NS1_11comp_targetILNS1_3genE8ELNS1_11target_archE1030ELNS1_3gpuE2ELNS1_3repE0EEENS1_30default_config_static_selectorELNS0_4arch9wavefront6targetE0EEEvS12_,"axG",@progbits,_ZN7rocprim17ROCPRIM_400000_NS6detail17trampoline_kernelINS0_13select_configILj256ELj13ELNS0_17block_load_methodE3ELS4_3ELS4_3ELNS0_20block_scan_algorithmE0ELj4294967295EEENS1_25partition_config_selectorILNS1_17partition_subalgoE4EjNS0_10empty_typeEbEEZZNS1_14partition_implILS8_4ELb0ES6_15HIP_vector_typeIjLj2EENS0_17counting_iteratorIjlEEPS9_SG_NS0_5tupleIJPjSI_NS0_16reverse_iteratorISI_EEEEENSH_IJSG_SG_SG_EEES9_SI_JZNS1_25segmented_radix_sort_implINS0_14default_configELb1EPKhPhPKlPlN2at6native12_GLOBAL__N_18offset_tEEE10hipError_tPvRmT1_PNSt15iterator_traitsIS12_E10value_typeET2_T3_PNS13_IS18_E10value_typeET4_jRbjT5_S1E_jjP12ihipStream_tbEUljE_ZNSN_ISO_Lb1ESQ_SR_ST_SU_SY_EESZ_S10_S11_S12_S16_S17_S18_S1B_S1C_jS1D_jS1E_S1E_jjS1G_bEUljE0_EEESZ_S10_S11_S18_S1C_S1E_T6_T7_T9_mT8_S1G_bDpT10_ENKUlT_T0_E_clISt17integral_constantIbLb1EES1U_EEDaS1P_S1Q_EUlS1P_E_NS1_11comp_targetILNS1_3genE8ELNS1_11target_archE1030ELNS1_3gpuE2ELNS1_3repE0EEENS1_30default_config_static_selectorELNS0_4arch9wavefront6targetE0EEEvS12_,comdat
	.globl	_ZN7rocprim17ROCPRIM_400000_NS6detail17trampoline_kernelINS0_13select_configILj256ELj13ELNS0_17block_load_methodE3ELS4_3ELS4_3ELNS0_20block_scan_algorithmE0ELj4294967295EEENS1_25partition_config_selectorILNS1_17partition_subalgoE4EjNS0_10empty_typeEbEEZZNS1_14partition_implILS8_4ELb0ES6_15HIP_vector_typeIjLj2EENS0_17counting_iteratorIjlEEPS9_SG_NS0_5tupleIJPjSI_NS0_16reverse_iteratorISI_EEEEENSH_IJSG_SG_SG_EEES9_SI_JZNS1_25segmented_radix_sort_implINS0_14default_configELb1EPKhPhPKlPlN2at6native12_GLOBAL__N_18offset_tEEE10hipError_tPvRmT1_PNSt15iterator_traitsIS12_E10value_typeET2_T3_PNS13_IS18_E10value_typeET4_jRbjT5_S1E_jjP12ihipStream_tbEUljE_ZNSN_ISO_Lb1ESQ_SR_ST_SU_SY_EESZ_S10_S11_S12_S16_S17_S18_S1B_S1C_jS1D_jS1E_S1E_jjS1G_bEUljE0_EEESZ_S10_S11_S18_S1C_S1E_T6_T7_T9_mT8_S1G_bDpT10_ENKUlT_T0_E_clISt17integral_constantIbLb1EES1U_EEDaS1P_S1Q_EUlS1P_E_NS1_11comp_targetILNS1_3genE8ELNS1_11target_archE1030ELNS1_3gpuE2ELNS1_3repE0EEENS1_30default_config_static_selectorELNS0_4arch9wavefront6targetE0EEEvS12_ ; -- Begin function _ZN7rocprim17ROCPRIM_400000_NS6detail17trampoline_kernelINS0_13select_configILj256ELj13ELNS0_17block_load_methodE3ELS4_3ELS4_3ELNS0_20block_scan_algorithmE0ELj4294967295EEENS1_25partition_config_selectorILNS1_17partition_subalgoE4EjNS0_10empty_typeEbEEZZNS1_14partition_implILS8_4ELb0ES6_15HIP_vector_typeIjLj2EENS0_17counting_iteratorIjlEEPS9_SG_NS0_5tupleIJPjSI_NS0_16reverse_iteratorISI_EEEEENSH_IJSG_SG_SG_EEES9_SI_JZNS1_25segmented_radix_sort_implINS0_14default_configELb1EPKhPhPKlPlN2at6native12_GLOBAL__N_18offset_tEEE10hipError_tPvRmT1_PNSt15iterator_traitsIS12_E10value_typeET2_T3_PNS13_IS18_E10value_typeET4_jRbjT5_S1E_jjP12ihipStream_tbEUljE_ZNSN_ISO_Lb1ESQ_SR_ST_SU_SY_EESZ_S10_S11_S12_S16_S17_S18_S1B_S1C_jS1D_jS1E_S1E_jjS1G_bEUljE0_EEESZ_S10_S11_S18_S1C_S1E_T6_T7_T9_mT8_S1G_bDpT10_ENKUlT_T0_E_clISt17integral_constantIbLb1EES1U_EEDaS1P_S1Q_EUlS1P_E_NS1_11comp_targetILNS1_3genE8ELNS1_11target_archE1030ELNS1_3gpuE2ELNS1_3repE0EEENS1_30default_config_static_selectorELNS0_4arch9wavefront6targetE0EEEvS12_
	.p2align	8
	.type	_ZN7rocprim17ROCPRIM_400000_NS6detail17trampoline_kernelINS0_13select_configILj256ELj13ELNS0_17block_load_methodE3ELS4_3ELS4_3ELNS0_20block_scan_algorithmE0ELj4294967295EEENS1_25partition_config_selectorILNS1_17partition_subalgoE4EjNS0_10empty_typeEbEEZZNS1_14partition_implILS8_4ELb0ES6_15HIP_vector_typeIjLj2EENS0_17counting_iteratorIjlEEPS9_SG_NS0_5tupleIJPjSI_NS0_16reverse_iteratorISI_EEEEENSH_IJSG_SG_SG_EEES9_SI_JZNS1_25segmented_radix_sort_implINS0_14default_configELb1EPKhPhPKlPlN2at6native12_GLOBAL__N_18offset_tEEE10hipError_tPvRmT1_PNSt15iterator_traitsIS12_E10value_typeET2_T3_PNS13_IS18_E10value_typeET4_jRbjT5_S1E_jjP12ihipStream_tbEUljE_ZNSN_ISO_Lb1ESQ_SR_ST_SU_SY_EESZ_S10_S11_S12_S16_S17_S18_S1B_S1C_jS1D_jS1E_S1E_jjS1G_bEUljE0_EEESZ_S10_S11_S18_S1C_S1E_T6_T7_T9_mT8_S1G_bDpT10_ENKUlT_T0_E_clISt17integral_constantIbLb1EES1U_EEDaS1P_S1Q_EUlS1P_E_NS1_11comp_targetILNS1_3genE8ELNS1_11target_archE1030ELNS1_3gpuE2ELNS1_3repE0EEENS1_30default_config_static_selectorELNS0_4arch9wavefront6targetE0EEEvS12_,@function
_ZN7rocprim17ROCPRIM_400000_NS6detail17trampoline_kernelINS0_13select_configILj256ELj13ELNS0_17block_load_methodE3ELS4_3ELS4_3ELNS0_20block_scan_algorithmE0ELj4294967295EEENS1_25partition_config_selectorILNS1_17partition_subalgoE4EjNS0_10empty_typeEbEEZZNS1_14partition_implILS8_4ELb0ES6_15HIP_vector_typeIjLj2EENS0_17counting_iteratorIjlEEPS9_SG_NS0_5tupleIJPjSI_NS0_16reverse_iteratorISI_EEEEENSH_IJSG_SG_SG_EEES9_SI_JZNS1_25segmented_radix_sort_implINS0_14default_configELb1EPKhPhPKlPlN2at6native12_GLOBAL__N_18offset_tEEE10hipError_tPvRmT1_PNSt15iterator_traitsIS12_E10value_typeET2_T3_PNS13_IS18_E10value_typeET4_jRbjT5_S1E_jjP12ihipStream_tbEUljE_ZNSN_ISO_Lb1ESQ_SR_ST_SU_SY_EESZ_S10_S11_S12_S16_S17_S18_S1B_S1C_jS1D_jS1E_S1E_jjS1G_bEUljE0_EEESZ_S10_S11_S18_S1C_S1E_T6_T7_T9_mT8_S1G_bDpT10_ENKUlT_T0_E_clISt17integral_constantIbLb1EES1U_EEDaS1P_S1Q_EUlS1P_E_NS1_11comp_targetILNS1_3genE8ELNS1_11target_archE1030ELNS1_3gpuE2ELNS1_3repE0EEENS1_30default_config_static_selectorELNS0_4arch9wavefront6targetE0EEEvS12_: ; @_ZN7rocprim17ROCPRIM_400000_NS6detail17trampoline_kernelINS0_13select_configILj256ELj13ELNS0_17block_load_methodE3ELS4_3ELS4_3ELNS0_20block_scan_algorithmE0ELj4294967295EEENS1_25partition_config_selectorILNS1_17partition_subalgoE4EjNS0_10empty_typeEbEEZZNS1_14partition_implILS8_4ELb0ES6_15HIP_vector_typeIjLj2EENS0_17counting_iteratorIjlEEPS9_SG_NS0_5tupleIJPjSI_NS0_16reverse_iteratorISI_EEEEENSH_IJSG_SG_SG_EEES9_SI_JZNS1_25segmented_radix_sort_implINS0_14default_configELb1EPKhPhPKlPlN2at6native12_GLOBAL__N_18offset_tEEE10hipError_tPvRmT1_PNSt15iterator_traitsIS12_E10value_typeET2_T3_PNS13_IS18_E10value_typeET4_jRbjT5_S1E_jjP12ihipStream_tbEUljE_ZNSN_ISO_Lb1ESQ_SR_ST_SU_SY_EESZ_S10_S11_S12_S16_S17_S18_S1B_S1C_jS1D_jS1E_S1E_jjS1G_bEUljE0_EEESZ_S10_S11_S18_S1C_S1E_T6_T7_T9_mT8_S1G_bDpT10_ENKUlT_T0_E_clISt17integral_constantIbLb1EES1U_EEDaS1P_S1Q_EUlS1P_E_NS1_11comp_targetILNS1_3genE8ELNS1_11target_archE1030ELNS1_3gpuE2ELNS1_3repE0EEENS1_30default_config_static_selectorELNS0_4arch9wavefront6targetE0EEEvS12_
; %bb.0:
	.section	.rodata,"a",@progbits
	.p2align	6, 0x0
	.amdhsa_kernel _ZN7rocprim17ROCPRIM_400000_NS6detail17trampoline_kernelINS0_13select_configILj256ELj13ELNS0_17block_load_methodE3ELS4_3ELS4_3ELNS0_20block_scan_algorithmE0ELj4294967295EEENS1_25partition_config_selectorILNS1_17partition_subalgoE4EjNS0_10empty_typeEbEEZZNS1_14partition_implILS8_4ELb0ES6_15HIP_vector_typeIjLj2EENS0_17counting_iteratorIjlEEPS9_SG_NS0_5tupleIJPjSI_NS0_16reverse_iteratorISI_EEEEENSH_IJSG_SG_SG_EEES9_SI_JZNS1_25segmented_radix_sort_implINS0_14default_configELb1EPKhPhPKlPlN2at6native12_GLOBAL__N_18offset_tEEE10hipError_tPvRmT1_PNSt15iterator_traitsIS12_E10value_typeET2_T3_PNS13_IS18_E10value_typeET4_jRbjT5_S1E_jjP12ihipStream_tbEUljE_ZNSN_ISO_Lb1ESQ_SR_ST_SU_SY_EESZ_S10_S11_S12_S16_S17_S18_S1B_S1C_jS1D_jS1E_S1E_jjS1G_bEUljE0_EEESZ_S10_S11_S18_S1C_S1E_T6_T7_T9_mT8_S1G_bDpT10_ENKUlT_T0_E_clISt17integral_constantIbLb1EES1U_EEDaS1P_S1Q_EUlS1P_E_NS1_11comp_targetILNS1_3genE8ELNS1_11target_archE1030ELNS1_3gpuE2ELNS1_3repE0EEENS1_30default_config_static_selectorELNS0_4arch9wavefront6targetE0EEEvS12_
		.amdhsa_group_segment_fixed_size 0
		.amdhsa_private_segment_fixed_size 0
		.amdhsa_kernarg_size 184
		.amdhsa_user_sgpr_count 15
		.amdhsa_user_sgpr_dispatch_ptr 0
		.amdhsa_user_sgpr_queue_ptr 0
		.amdhsa_user_sgpr_kernarg_segment_ptr 1
		.amdhsa_user_sgpr_dispatch_id 0
		.amdhsa_user_sgpr_private_segment_size 0
		.amdhsa_wavefront_size32 1
		.amdhsa_uses_dynamic_stack 0
		.amdhsa_enable_private_segment 0
		.amdhsa_system_sgpr_workgroup_id_x 1
		.amdhsa_system_sgpr_workgroup_id_y 0
		.amdhsa_system_sgpr_workgroup_id_z 0
		.amdhsa_system_sgpr_workgroup_info 0
		.amdhsa_system_vgpr_workitem_id 0
		.amdhsa_next_free_vgpr 1
		.amdhsa_next_free_sgpr 1
		.amdhsa_reserve_vcc 0
		.amdhsa_float_round_mode_32 0
		.amdhsa_float_round_mode_16_64 0
		.amdhsa_float_denorm_mode_32 3
		.amdhsa_float_denorm_mode_16_64 3
		.amdhsa_dx10_clamp 1
		.amdhsa_ieee_mode 1
		.amdhsa_fp16_overflow 0
		.amdhsa_workgroup_processor_mode 1
		.amdhsa_memory_ordered 1
		.amdhsa_forward_progress 0
		.amdhsa_shared_vgpr_count 0
		.amdhsa_exception_fp_ieee_invalid_op 0
		.amdhsa_exception_fp_denorm_src 0
		.amdhsa_exception_fp_ieee_div_zero 0
		.amdhsa_exception_fp_ieee_overflow 0
		.amdhsa_exception_fp_ieee_underflow 0
		.amdhsa_exception_fp_ieee_inexact 0
		.amdhsa_exception_int_div_zero 0
	.end_amdhsa_kernel
	.section	.text._ZN7rocprim17ROCPRIM_400000_NS6detail17trampoline_kernelINS0_13select_configILj256ELj13ELNS0_17block_load_methodE3ELS4_3ELS4_3ELNS0_20block_scan_algorithmE0ELj4294967295EEENS1_25partition_config_selectorILNS1_17partition_subalgoE4EjNS0_10empty_typeEbEEZZNS1_14partition_implILS8_4ELb0ES6_15HIP_vector_typeIjLj2EENS0_17counting_iteratorIjlEEPS9_SG_NS0_5tupleIJPjSI_NS0_16reverse_iteratorISI_EEEEENSH_IJSG_SG_SG_EEES9_SI_JZNS1_25segmented_radix_sort_implINS0_14default_configELb1EPKhPhPKlPlN2at6native12_GLOBAL__N_18offset_tEEE10hipError_tPvRmT1_PNSt15iterator_traitsIS12_E10value_typeET2_T3_PNS13_IS18_E10value_typeET4_jRbjT5_S1E_jjP12ihipStream_tbEUljE_ZNSN_ISO_Lb1ESQ_SR_ST_SU_SY_EESZ_S10_S11_S12_S16_S17_S18_S1B_S1C_jS1D_jS1E_S1E_jjS1G_bEUljE0_EEESZ_S10_S11_S18_S1C_S1E_T6_T7_T9_mT8_S1G_bDpT10_ENKUlT_T0_E_clISt17integral_constantIbLb1EES1U_EEDaS1P_S1Q_EUlS1P_E_NS1_11comp_targetILNS1_3genE8ELNS1_11target_archE1030ELNS1_3gpuE2ELNS1_3repE0EEENS1_30default_config_static_selectorELNS0_4arch9wavefront6targetE0EEEvS12_,"axG",@progbits,_ZN7rocprim17ROCPRIM_400000_NS6detail17trampoline_kernelINS0_13select_configILj256ELj13ELNS0_17block_load_methodE3ELS4_3ELS4_3ELNS0_20block_scan_algorithmE0ELj4294967295EEENS1_25partition_config_selectorILNS1_17partition_subalgoE4EjNS0_10empty_typeEbEEZZNS1_14partition_implILS8_4ELb0ES6_15HIP_vector_typeIjLj2EENS0_17counting_iteratorIjlEEPS9_SG_NS0_5tupleIJPjSI_NS0_16reverse_iteratorISI_EEEEENSH_IJSG_SG_SG_EEES9_SI_JZNS1_25segmented_radix_sort_implINS0_14default_configELb1EPKhPhPKlPlN2at6native12_GLOBAL__N_18offset_tEEE10hipError_tPvRmT1_PNSt15iterator_traitsIS12_E10value_typeET2_T3_PNS13_IS18_E10value_typeET4_jRbjT5_S1E_jjP12ihipStream_tbEUljE_ZNSN_ISO_Lb1ESQ_SR_ST_SU_SY_EESZ_S10_S11_S12_S16_S17_S18_S1B_S1C_jS1D_jS1E_S1E_jjS1G_bEUljE0_EEESZ_S10_S11_S18_S1C_S1E_T6_T7_T9_mT8_S1G_bDpT10_ENKUlT_T0_E_clISt17integral_constantIbLb1EES1U_EEDaS1P_S1Q_EUlS1P_E_NS1_11comp_targetILNS1_3genE8ELNS1_11target_archE1030ELNS1_3gpuE2ELNS1_3repE0EEENS1_30default_config_static_selectorELNS0_4arch9wavefront6targetE0EEEvS12_,comdat
.Lfunc_end28:
	.size	_ZN7rocprim17ROCPRIM_400000_NS6detail17trampoline_kernelINS0_13select_configILj256ELj13ELNS0_17block_load_methodE3ELS4_3ELS4_3ELNS0_20block_scan_algorithmE0ELj4294967295EEENS1_25partition_config_selectorILNS1_17partition_subalgoE4EjNS0_10empty_typeEbEEZZNS1_14partition_implILS8_4ELb0ES6_15HIP_vector_typeIjLj2EENS0_17counting_iteratorIjlEEPS9_SG_NS0_5tupleIJPjSI_NS0_16reverse_iteratorISI_EEEEENSH_IJSG_SG_SG_EEES9_SI_JZNS1_25segmented_radix_sort_implINS0_14default_configELb1EPKhPhPKlPlN2at6native12_GLOBAL__N_18offset_tEEE10hipError_tPvRmT1_PNSt15iterator_traitsIS12_E10value_typeET2_T3_PNS13_IS18_E10value_typeET4_jRbjT5_S1E_jjP12ihipStream_tbEUljE_ZNSN_ISO_Lb1ESQ_SR_ST_SU_SY_EESZ_S10_S11_S12_S16_S17_S18_S1B_S1C_jS1D_jS1E_S1E_jjS1G_bEUljE0_EEESZ_S10_S11_S18_S1C_S1E_T6_T7_T9_mT8_S1G_bDpT10_ENKUlT_T0_E_clISt17integral_constantIbLb1EES1U_EEDaS1P_S1Q_EUlS1P_E_NS1_11comp_targetILNS1_3genE8ELNS1_11target_archE1030ELNS1_3gpuE2ELNS1_3repE0EEENS1_30default_config_static_selectorELNS0_4arch9wavefront6targetE0EEEvS12_, .Lfunc_end28-_ZN7rocprim17ROCPRIM_400000_NS6detail17trampoline_kernelINS0_13select_configILj256ELj13ELNS0_17block_load_methodE3ELS4_3ELS4_3ELNS0_20block_scan_algorithmE0ELj4294967295EEENS1_25partition_config_selectorILNS1_17partition_subalgoE4EjNS0_10empty_typeEbEEZZNS1_14partition_implILS8_4ELb0ES6_15HIP_vector_typeIjLj2EENS0_17counting_iteratorIjlEEPS9_SG_NS0_5tupleIJPjSI_NS0_16reverse_iteratorISI_EEEEENSH_IJSG_SG_SG_EEES9_SI_JZNS1_25segmented_radix_sort_implINS0_14default_configELb1EPKhPhPKlPlN2at6native12_GLOBAL__N_18offset_tEEE10hipError_tPvRmT1_PNSt15iterator_traitsIS12_E10value_typeET2_T3_PNS13_IS18_E10value_typeET4_jRbjT5_S1E_jjP12ihipStream_tbEUljE_ZNSN_ISO_Lb1ESQ_SR_ST_SU_SY_EESZ_S10_S11_S12_S16_S17_S18_S1B_S1C_jS1D_jS1E_S1E_jjS1G_bEUljE0_EEESZ_S10_S11_S18_S1C_S1E_T6_T7_T9_mT8_S1G_bDpT10_ENKUlT_T0_E_clISt17integral_constantIbLb1EES1U_EEDaS1P_S1Q_EUlS1P_E_NS1_11comp_targetILNS1_3genE8ELNS1_11target_archE1030ELNS1_3gpuE2ELNS1_3repE0EEENS1_30default_config_static_selectorELNS0_4arch9wavefront6targetE0EEEvS12_
                                        ; -- End function
	.section	.AMDGPU.csdata,"",@progbits
; Kernel info:
; codeLenInByte = 0
; NumSgprs: 0
; NumVgprs: 0
; ScratchSize: 0
; MemoryBound: 0
; FloatMode: 240
; IeeeMode: 1
; LDSByteSize: 0 bytes/workgroup (compile time only)
; SGPRBlocks: 0
; VGPRBlocks: 0
; NumSGPRsForWavesPerEU: 1
; NumVGPRsForWavesPerEU: 1
; Occupancy: 16
; WaveLimiterHint : 0
; COMPUTE_PGM_RSRC2:SCRATCH_EN: 0
; COMPUTE_PGM_RSRC2:USER_SGPR: 15
; COMPUTE_PGM_RSRC2:TRAP_HANDLER: 0
; COMPUTE_PGM_RSRC2:TGID_X_EN: 1
; COMPUTE_PGM_RSRC2:TGID_Y_EN: 0
; COMPUTE_PGM_RSRC2:TGID_Z_EN: 0
; COMPUTE_PGM_RSRC2:TIDIG_COMP_CNT: 0
	.section	.text._ZN7rocprim17ROCPRIM_400000_NS6detail31init_lookback_scan_state_kernelINS1_19lookback_scan_stateI15HIP_vector_typeIjLj2EELb1ELb1EEENS1_16block_id_wrapperIjLb0EEEEEvT_jT0_jPNS9_10value_typeE,"axG",@progbits,_ZN7rocprim17ROCPRIM_400000_NS6detail31init_lookback_scan_state_kernelINS1_19lookback_scan_stateI15HIP_vector_typeIjLj2EELb1ELb1EEENS1_16block_id_wrapperIjLb0EEEEEvT_jT0_jPNS9_10value_typeE,comdat
	.protected	_ZN7rocprim17ROCPRIM_400000_NS6detail31init_lookback_scan_state_kernelINS1_19lookback_scan_stateI15HIP_vector_typeIjLj2EELb1ELb1EEENS1_16block_id_wrapperIjLb0EEEEEvT_jT0_jPNS9_10value_typeE ; -- Begin function _ZN7rocprim17ROCPRIM_400000_NS6detail31init_lookback_scan_state_kernelINS1_19lookback_scan_stateI15HIP_vector_typeIjLj2EELb1ELb1EEENS1_16block_id_wrapperIjLb0EEEEEvT_jT0_jPNS9_10value_typeE
	.globl	_ZN7rocprim17ROCPRIM_400000_NS6detail31init_lookback_scan_state_kernelINS1_19lookback_scan_stateI15HIP_vector_typeIjLj2EELb1ELb1EEENS1_16block_id_wrapperIjLb0EEEEEvT_jT0_jPNS9_10value_typeE
	.p2align	8
	.type	_ZN7rocprim17ROCPRIM_400000_NS6detail31init_lookback_scan_state_kernelINS1_19lookback_scan_stateI15HIP_vector_typeIjLj2EELb1ELb1EEENS1_16block_id_wrapperIjLb0EEEEEvT_jT0_jPNS9_10value_typeE,@function
_ZN7rocprim17ROCPRIM_400000_NS6detail31init_lookback_scan_state_kernelINS1_19lookback_scan_stateI15HIP_vector_typeIjLj2EELb1ELb1EEENS1_16block_id_wrapperIjLb0EEEEEvT_jT0_jPNS9_10value_typeE: ; @_ZN7rocprim17ROCPRIM_400000_NS6detail31init_lookback_scan_state_kernelINS1_19lookback_scan_stateI15HIP_vector_typeIjLj2EELb1ELb1EEENS1_16block_id_wrapperIjLb0EEEEEvT_jT0_jPNS9_10value_typeE
; %bb.0:
	s_clause 0x3
	s_load_b32 s7, s[0:1], 0x2c
	s_load_b64 s[4:5], s[0:1], 0x18
	s_load_b64 s[2:3], s[0:1], 0x0
	s_load_b32 s6, s[0:1], 0x8
	s_waitcnt lgkmcnt(0)
	s_and_b32 s7, s7, 0xffff
	s_cmp_eq_u64 s[4:5], 0
	v_mad_u64_u32 v[1:2], null, s15, s7, v[0:1]
	s_cbranch_scc1 .LBB29_10
; %bb.1:
	s_load_b32 s0, s[0:1], 0x10
	s_waitcnt lgkmcnt(0)
	s_cmp_lt_u32 s0, s6
	s_cselect_b32 s1, s0, 0
	s_delay_alu instid0(VALU_DEP_1) | instid1(SALU_CYCLE_1)
	v_cmp_eq_u32_e32 vcc_lo, s1, v1
	s_mov_b32 s1, 0
	s_and_saveexec_b32 s7, vcc_lo
	s_cbranch_execz .LBB29_9
; %bb.2:
	s_add_i32 s0, s0, 32
	s_mov_b32 s8, exec_lo
	s_lshl_b64 s[0:1], s[0:1], 4
	v_mov_b32_e32 v6, 0
	s_add_u32 s0, s2, s0
	s_addc_u32 s1, s3, s1
	s_delay_alu instid0(SALU_CYCLE_1) | instskip(SKIP_2) | instid1(VALU_DEP_1)
	v_dual_mov_b32 v3, s1 :: v_dual_mov_b32 v2, s0
	;;#ASMSTART
	global_load_dwordx4 v[2:5], v[2:3] off glc	
s_waitcnt vmcnt(0)
	;;#ASMEND
	v_and_b32_e32 v5, 0xff, v4
	v_cmpx_eq_u64_e32 0, v[5:6]
	s_cbranch_execz .LBB29_8
; %bb.3:
	v_dual_mov_b32 v8, s1 :: v_dual_mov_b32 v7, s0
	s_mov_b32 s1, 1
	s_mov_b32 s0, 0
	.p2align	6
.LBB29_4:                               ; =>This Loop Header: Depth=1
                                        ;     Child Loop BB29_5 Depth 2
	s_max_u32 s9, s1, 1
.LBB29_5:                               ;   Parent Loop BB29_4 Depth=1
                                        ; =>  This Inner Loop Header: Depth=2
	s_delay_alu instid0(SALU_CYCLE_1)
	s_add_i32 s9, s9, -1
	s_sleep 1
	s_cmp_eq_u32 s9, 0
	s_cbranch_scc0 .LBB29_5
; %bb.6:                                ;   in Loop: Header=BB29_4 Depth=1
	;;#ASMSTART
	global_load_dwordx4 v[2:5], v[7:8] off glc	
s_waitcnt vmcnt(0)
	;;#ASMEND
	v_and_b32_e32 v5, 0xff, v4
	s_cmp_lt_u32 s1, 32
	s_cselect_b32 s9, -1, 0
	s_delay_alu instid0(SALU_CYCLE_1) | instskip(NEXT) | instid1(VALU_DEP_1)
	s_cmp_lg_u32 s9, 0
	v_cmp_ne_u64_e32 vcc_lo, 0, v[5:6]
	s_addc_u32 s1, s1, 0
	s_or_b32 s0, vcc_lo, s0
	s_delay_alu instid0(SALU_CYCLE_1)
	s_and_not1_b32 exec_lo, exec_lo, s0
	s_cbranch_execnz .LBB29_4
; %bb.7:
	s_or_b32 exec_lo, exec_lo, s0
.LBB29_8:
	s_delay_alu instid0(SALU_CYCLE_1)
	s_or_b32 exec_lo, exec_lo, s8
	v_mov_b32_e32 v0, 0
	global_store_b64 v0, v[2:3], s[4:5]
.LBB29_9:
	s_or_b32 exec_lo, exec_lo, s7
.LBB29_10:
	s_delay_alu instid0(SALU_CYCLE_1) | instskip(NEXT) | instid1(VALU_DEP_1)
	s_mov_b32 s0, exec_lo
	v_cmpx_gt_u32_e64 s6, v1
	s_cbranch_execz .LBB29_12
; %bb.11:
	v_dual_mov_b32 v3, 0 :: v_dual_add_nc_u32 v2, 32, v1
	s_delay_alu instid0(VALU_DEP_1) | instskip(SKIP_2) | instid1(VALU_DEP_3)
	v_lshlrev_b64 v[5:6], 4, v[2:3]
	v_mov_b32_e32 v2, v3
	v_mov_b32_e32 v4, v3
	v_add_co_u32 v7, vcc_lo, s2, v5
	s_delay_alu instid0(VALU_DEP_4)
	v_add_co_ci_u32_e32 v8, vcc_lo, s3, v6, vcc_lo
	v_mov_b32_e32 v5, v3
	global_store_b128 v[7:8], v[2:5], off
.LBB29_12:
	s_or_b32 exec_lo, exec_lo, s0
	s_delay_alu instid0(SALU_CYCLE_1)
	s_mov_b32 s0, exec_lo
	v_cmpx_gt_u32_e32 32, v1
	s_cbranch_execz .LBB29_14
; %bb.13:
	v_dual_mov_b32 v2, 0 :: v_dual_mov_b32 v3, 0xff
	s_delay_alu instid0(VALU_DEP_1) | instskip(SKIP_1) | instid1(VALU_DEP_2)
	v_lshlrev_b64 v[4:5], 4, v[1:2]
	v_mov_b32_e32 v1, v2
	v_add_co_u32 v6, vcc_lo, s2, v4
	s_delay_alu instid0(VALU_DEP_3)
	v_add_co_ci_u32_e32 v7, vcc_lo, s3, v5, vcc_lo
	v_mov_b32_e32 v4, v2
	global_store_b128 v[6:7], v[1:4], off
.LBB29_14:
	s_nop 0
	s_sendmsg sendmsg(MSG_DEALLOC_VGPRS)
	s_endpgm
	.section	.rodata,"a",@progbits
	.p2align	6, 0x0
	.amdhsa_kernel _ZN7rocprim17ROCPRIM_400000_NS6detail31init_lookback_scan_state_kernelINS1_19lookback_scan_stateI15HIP_vector_typeIjLj2EELb1ELb1EEENS1_16block_id_wrapperIjLb0EEEEEvT_jT0_jPNS9_10value_typeE
		.amdhsa_group_segment_fixed_size 0
		.amdhsa_private_segment_fixed_size 0
		.amdhsa_kernarg_size 288
		.amdhsa_user_sgpr_count 15
		.amdhsa_user_sgpr_dispatch_ptr 0
		.amdhsa_user_sgpr_queue_ptr 0
		.amdhsa_user_sgpr_kernarg_segment_ptr 1
		.amdhsa_user_sgpr_dispatch_id 0
		.amdhsa_user_sgpr_private_segment_size 0
		.amdhsa_wavefront_size32 1
		.amdhsa_uses_dynamic_stack 0
		.amdhsa_enable_private_segment 0
		.amdhsa_system_sgpr_workgroup_id_x 1
		.amdhsa_system_sgpr_workgroup_id_y 0
		.amdhsa_system_sgpr_workgroup_id_z 0
		.amdhsa_system_sgpr_workgroup_info 0
		.amdhsa_system_vgpr_workitem_id 0
		.amdhsa_next_free_vgpr 9
		.amdhsa_next_free_sgpr 16
		.amdhsa_reserve_vcc 1
		.amdhsa_float_round_mode_32 0
		.amdhsa_float_round_mode_16_64 0
		.amdhsa_float_denorm_mode_32 3
		.amdhsa_float_denorm_mode_16_64 3
		.amdhsa_dx10_clamp 1
		.amdhsa_ieee_mode 1
		.amdhsa_fp16_overflow 0
		.amdhsa_workgroup_processor_mode 1
		.amdhsa_memory_ordered 1
		.amdhsa_forward_progress 0
		.amdhsa_shared_vgpr_count 0
		.amdhsa_exception_fp_ieee_invalid_op 0
		.amdhsa_exception_fp_denorm_src 0
		.amdhsa_exception_fp_ieee_div_zero 0
		.amdhsa_exception_fp_ieee_overflow 0
		.amdhsa_exception_fp_ieee_underflow 0
		.amdhsa_exception_fp_ieee_inexact 0
		.amdhsa_exception_int_div_zero 0
	.end_amdhsa_kernel
	.section	.text._ZN7rocprim17ROCPRIM_400000_NS6detail31init_lookback_scan_state_kernelINS1_19lookback_scan_stateI15HIP_vector_typeIjLj2EELb1ELb1EEENS1_16block_id_wrapperIjLb0EEEEEvT_jT0_jPNS9_10value_typeE,"axG",@progbits,_ZN7rocprim17ROCPRIM_400000_NS6detail31init_lookback_scan_state_kernelINS1_19lookback_scan_stateI15HIP_vector_typeIjLj2EELb1ELb1EEENS1_16block_id_wrapperIjLb0EEEEEvT_jT0_jPNS9_10value_typeE,comdat
.Lfunc_end29:
	.size	_ZN7rocprim17ROCPRIM_400000_NS6detail31init_lookback_scan_state_kernelINS1_19lookback_scan_stateI15HIP_vector_typeIjLj2EELb1ELb1EEENS1_16block_id_wrapperIjLb0EEEEEvT_jT0_jPNS9_10value_typeE, .Lfunc_end29-_ZN7rocprim17ROCPRIM_400000_NS6detail31init_lookback_scan_state_kernelINS1_19lookback_scan_stateI15HIP_vector_typeIjLj2EELb1ELb1EEENS1_16block_id_wrapperIjLb0EEEEEvT_jT0_jPNS9_10value_typeE
                                        ; -- End function
	.section	.AMDGPU.csdata,"",@progbits
; Kernel info:
; codeLenInByte = 516
; NumSgprs: 18
; NumVgprs: 9
; ScratchSize: 0
; MemoryBound: 0
; FloatMode: 240
; IeeeMode: 1
; LDSByteSize: 0 bytes/workgroup (compile time only)
; SGPRBlocks: 2
; VGPRBlocks: 1
; NumSGPRsForWavesPerEU: 18
; NumVGPRsForWavesPerEU: 9
; Occupancy: 16
; WaveLimiterHint : 0
; COMPUTE_PGM_RSRC2:SCRATCH_EN: 0
; COMPUTE_PGM_RSRC2:USER_SGPR: 15
; COMPUTE_PGM_RSRC2:TRAP_HANDLER: 0
; COMPUTE_PGM_RSRC2:TGID_X_EN: 1
; COMPUTE_PGM_RSRC2:TGID_Y_EN: 0
; COMPUTE_PGM_RSRC2:TGID_Z_EN: 0
; COMPUTE_PGM_RSRC2:TIDIG_COMP_CNT: 0
	.section	.text._ZN7rocprim17ROCPRIM_400000_NS6detail17trampoline_kernelINS0_13select_configILj256ELj13ELNS0_17block_load_methodE3ELS4_3ELS4_3ELNS0_20block_scan_algorithmE0ELj4294967295EEENS1_25partition_config_selectorILNS1_17partition_subalgoE4EjNS0_10empty_typeEbEEZZNS1_14partition_implILS8_4ELb0ES6_15HIP_vector_typeIjLj2EENS0_17counting_iteratorIjlEEPS9_SG_NS0_5tupleIJPjSI_NS0_16reverse_iteratorISI_EEEEENSH_IJSG_SG_SG_EEES9_SI_JZNS1_25segmented_radix_sort_implINS0_14default_configELb1EPKhPhPKlPlN2at6native12_GLOBAL__N_18offset_tEEE10hipError_tPvRmT1_PNSt15iterator_traitsIS12_E10value_typeET2_T3_PNS13_IS18_E10value_typeET4_jRbjT5_S1E_jjP12ihipStream_tbEUljE_ZNSN_ISO_Lb1ESQ_SR_ST_SU_SY_EESZ_S10_S11_S12_S16_S17_S18_S1B_S1C_jS1D_jS1E_S1E_jjS1G_bEUljE0_EEESZ_S10_S11_S18_S1C_S1E_T6_T7_T9_mT8_S1G_bDpT10_ENKUlT_T0_E_clISt17integral_constantIbLb1EES1T_IbLb0EEEEDaS1P_S1Q_EUlS1P_E_NS1_11comp_targetILNS1_3genE0ELNS1_11target_archE4294967295ELNS1_3gpuE0ELNS1_3repE0EEENS1_30default_config_static_selectorELNS0_4arch9wavefront6targetE0EEEvS12_,"axG",@progbits,_ZN7rocprim17ROCPRIM_400000_NS6detail17trampoline_kernelINS0_13select_configILj256ELj13ELNS0_17block_load_methodE3ELS4_3ELS4_3ELNS0_20block_scan_algorithmE0ELj4294967295EEENS1_25partition_config_selectorILNS1_17partition_subalgoE4EjNS0_10empty_typeEbEEZZNS1_14partition_implILS8_4ELb0ES6_15HIP_vector_typeIjLj2EENS0_17counting_iteratorIjlEEPS9_SG_NS0_5tupleIJPjSI_NS0_16reverse_iteratorISI_EEEEENSH_IJSG_SG_SG_EEES9_SI_JZNS1_25segmented_radix_sort_implINS0_14default_configELb1EPKhPhPKlPlN2at6native12_GLOBAL__N_18offset_tEEE10hipError_tPvRmT1_PNSt15iterator_traitsIS12_E10value_typeET2_T3_PNS13_IS18_E10value_typeET4_jRbjT5_S1E_jjP12ihipStream_tbEUljE_ZNSN_ISO_Lb1ESQ_SR_ST_SU_SY_EESZ_S10_S11_S12_S16_S17_S18_S1B_S1C_jS1D_jS1E_S1E_jjS1G_bEUljE0_EEESZ_S10_S11_S18_S1C_S1E_T6_T7_T9_mT8_S1G_bDpT10_ENKUlT_T0_E_clISt17integral_constantIbLb1EES1T_IbLb0EEEEDaS1P_S1Q_EUlS1P_E_NS1_11comp_targetILNS1_3genE0ELNS1_11target_archE4294967295ELNS1_3gpuE0ELNS1_3repE0EEENS1_30default_config_static_selectorELNS0_4arch9wavefront6targetE0EEEvS12_,comdat
	.globl	_ZN7rocprim17ROCPRIM_400000_NS6detail17trampoline_kernelINS0_13select_configILj256ELj13ELNS0_17block_load_methodE3ELS4_3ELS4_3ELNS0_20block_scan_algorithmE0ELj4294967295EEENS1_25partition_config_selectorILNS1_17partition_subalgoE4EjNS0_10empty_typeEbEEZZNS1_14partition_implILS8_4ELb0ES6_15HIP_vector_typeIjLj2EENS0_17counting_iteratorIjlEEPS9_SG_NS0_5tupleIJPjSI_NS0_16reverse_iteratorISI_EEEEENSH_IJSG_SG_SG_EEES9_SI_JZNS1_25segmented_radix_sort_implINS0_14default_configELb1EPKhPhPKlPlN2at6native12_GLOBAL__N_18offset_tEEE10hipError_tPvRmT1_PNSt15iterator_traitsIS12_E10value_typeET2_T3_PNS13_IS18_E10value_typeET4_jRbjT5_S1E_jjP12ihipStream_tbEUljE_ZNSN_ISO_Lb1ESQ_SR_ST_SU_SY_EESZ_S10_S11_S12_S16_S17_S18_S1B_S1C_jS1D_jS1E_S1E_jjS1G_bEUljE0_EEESZ_S10_S11_S18_S1C_S1E_T6_T7_T9_mT8_S1G_bDpT10_ENKUlT_T0_E_clISt17integral_constantIbLb1EES1T_IbLb0EEEEDaS1P_S1Q_EUlS1P_E_NS1_11comp_targetILNS1_3genE0ELNS1_11target_archE4294967295ELNS1_3gpuE0ELNS1_3repE0EEENS1_30default_config_static_selectorELNS0_4arch9wavefront6targetE0EEEvS12_ ; -- Begin function _ZN7rocprim17ROCPRIM_400000_NS6detail17trampoline_kernelINS0_13select_configILj256ELj13ELNS0_17block_load_methodE3ELS4_3ELS4_3ELNS0_20block_scan_algorithmE0ELj4294967295EEENS1_25partition_config_selectorILNS1_17partition_subalgoE4EjNS0_10empty_typeEbEEZZNS1_14partition_implILS8_4ELb0ES6_15HIP_vector_typeIjLj2EENS0_17counting_iteratorIjlEEPS9_SG_NS0_5tupleIJPjSI_NS0_16reverse_iteratorISI_EEEEENSH_IJSG_SG_SG_EEES9_SI_JZNS1_25segmented_radix_sort_implINS0_14default_configELb1EPKhPhPKlPlN2at6native12_GLOBAL__N_18offset_tEEE10hipError_tPvRmT1_PNSt15iterator_traitsIS12_E10value_typeET2_T3_PNS13_IS18_E10value_typeET4_jRbjT5_S1E_jjP12ihipStream_tbEUljE_ZNSN_ISO_Lb1ESQ_SR_ST_SU_SY_EESZ_S10_S11_S12_S16_S17_S18_S1B_S1C_jS1D_jS1E_S1E_jjS1G_bEUljE0_EEESZ_S10_S11_S18_S1C_S1E_T6_T7_T9_mT8_S1G_bDpT10_ENKUlT_T0_E_clISt17integral_constantIbLb1EES1T_IbLb0EEEEDaS1P_S1Q_EUlS1P_E_NS1_11comp_targetILNS1_3genE0ELNS1_11target_archE4294967295ELNS1_3gpuE0ELNS1_3repE0EEENS1_30default_config_static_selectorELNS0_4arch9wavefront6targetE0EEEvS12_
	.p2align	8
	.type	_ZN7rocprim17ROCPRIM_400000_NS6detail17trampoline_kernelINS0_13select_configILj256ELj13ELNS0_17block_load_methodE3ELS4_3ELS4_3ELNS0_20block_scan_algorithmE0ELj4294967295EEENS1_25partition_config_selectorILNS1_17partition_subalgoE4EjNS0_10empty_typeEbEEZZNS1_14partition_implILS8_4ELb0ES6_15HIP_vector_typeIjLj2EENS0_17counting_iteratorIjlEEPS9_SG_NS0_5tupleIJPjSI_NS0_16reverse_iteratorISI_EEEEENSH_IJSG_SG_SG_EEES9_SI_JZNS1_25segmented_radix_sort_implINS0_14default_configELb1EPKhPhPKlPlN2at6native12_GLOBAL__N_18offset_tEEE10hipError_tPvRmT1_PNSt15iterator_traitsIS12_E10value_typeET2_T3_PNS13_IS18_E10value_typeET4_jRbjT5_S1E_jjP12ihipStream_tbEUljE_ZNSN_ISO_Lb1ESQ_SR_ST_SU_SY_EESZ_S10_S11_S12_S16_S17_S18_S1B_S1C_jS1D_jS1E_S1E_jjS1G_bEUljE0_EEESZ_S10_S11_S18_S1C_S1E_T6_T7_T9_mT8_S1G_bDpT10_ENKUlT_T0_E_clISt17integral_constantIbLb1EES1T_IbLb0EEEEDaS1P_S1Q_EUlS1P_E_NS1_11comp_targetILNS1_3genE0ELNS1_11target_archE4294967295ELNS1_3gpuE0ELNS1_3repE0EEENS1_30default_config_static_selectorELNS0_4arch9wavefront6targetE0EEEvS12_,@function
_ZN7rocprim17ROCPRIM_400000_NS6detail17trampoline_kernelINS0_13select_configILj256ELj13ELNS0_17block_load_methodE3ELS4_3ELS4_3ELNS0_20block_scan_algorithmE0ELj4294967295EEENS1_25partition_config_selectorILNS1_17partition_subalgoE4EjNS0_10empty_typeEbEEZZNS1_14partition_implILS8_4ELb0ES6_15HIP_vector_typeIjLj2EENS0_17counting_iteratorIjlEEPS9_SG_NS0_5tupleIJPjSI_NS0_16reverse_iteratorISI_EEEEENSH_IJSG_SG_SG_EEES9_SI_JZNS1_25segmented_radix_sort_implINS0_14default_configELb1EPKhPhPKlPlN2at6native12_GLOBAL__N_18offset_tEEE10hipError_tPvRmT1_PNSt15iterator_traitsIS12_E10value_typeET2_T3_PNS13_IS18_E10value_typeET4_jRbjT5_S1E_jjP12ihipStream_tbEUljE_ZNSN_ISO_Lb1ESQ_SR_ST_SU_SY_EESZ_S10_S11_S12_S16_S17_S18_S1B_S1C_jS1D_jS1E_S1E_jjS1G_bEUljE0_EEESZ_S10_S11_S18_S1C_S1E_T6_T7_T9_mT8_S1G_bDpT10_ENKUlT_T0_E_clISt17integral_constantIbLb1EES1T_IbLb0EEEEDaS1P_S1Q_EUlS1P_E_NS1_11comp_targetILNS1_3genE0ELNS1_11target_archE4294967295ELNS1_3gpuE0ELNS1_3repE0EEENS1_30default_config_static_selectorELNS0_4arch9wavefront6targetE0EEEvS12_: ; @_ZN7rocprim17ROCPRIM_400000_NS6detail17trampoline_kernelINS0_13select_configILj256ELj13ELNS0_17block_load_methodE3ELS4_3ELS4_3ELNS0_20block_scan_algorithmE0ELj4294967295EEENS1_25partition_config_selectorILNS1_17partition_subalgoE4EjNS0_10empty_typeEbEEZZNS1_14partition_implILS8_4ELb0ES6_15HIP_vector_typeIjLj2EENS0_17counting_iteratorIjlEEPS9_SG_NS0_5tupleIJPjSI_NS0_16reverse_iteratorISI_EEEEENSH_IJSG_SG_SG_EEES9_SI_JZNS1_25segmented_radix_sort_implINS0_14default_configELb1EPKhPhPKlPlN2at6native12_GLOBAL__N_18offset_tEEE10hipError_tPvRmT1_PNSt15iterator_traitsIS12_E10value_typeET2_T3_PNS13_IS18_E10value_typeET4_jRbjT5_S1E_jjP12ihipStream_tbEUljE_ZNSN_ISO_Lb1ESQ_SR_ST_SU_SY_EESZ_S10_S11_S12_S16_S17_S18_S1B_S1C_jS1D_jS1E_S1E_jjS1G_bEUljE0_EEESZ_S10_S11_S18_S1C_S1E_T6_T7_T9_mT8_S1G_bDpT10_ENKUlT_T0_E_clISt17integral_constantIbLb1EES1T_IbLb0EEEEDaS1P_S1Q_EUlS1P_E_NS1_11comp_targetILNS1_3genE0ELNS1_11target_archE4294967295ELNS1_3gpuE0ELNS1_3repE0EEENS1_30default_config_static_selectorELNS0_4arch9wavefront6targetE0EEEvS12_
; %bb.0:
	.section	.rodata,"a",@progbits
	.p2align	6, 0x0
	.amdhsa_kernel _ZN7rocprim17ROCPRIM_400000_NS6detail17trampoline_kernelINS0_13select_configILj256ELj13ELNS0_17block_load_methodE3ELS4_3ELS4_3ELNS0_20block_scan_algorithmE0ELj4294967295EEENS1_25partition_config_selectorILNS1_17partition_subalgoE4EjNS0_10empty_typeEbEEZZNS1_14partition_implILS8_4ELb0ES6_15HIP_vector_typeIjLj2EENS0_17counting_iteratorIjlEEPS9_SG_NS0_5tupleIJPjSI_NS0_16reverse_iteratorISI_EEEEENSH_IJSG_SG_SG_EEES9_SI_JZNS1_25segmented_radix_sort_implINS0_14default_configELb1EPKhPhPKlPlN2at6native12_GLOBAL__N_18offset_tEEE10hipError_tPvRmT1_PNSt15iterator_traitsIS12_E10value_typeET2_T3_PNS13_IS18_E10value_typeET4_jRbjT5_S1E_jjP12ihipStream_tbEUljE_ZNSN_ISO_Lb1ESQ_SR_ST_SU_SY_EESZ_S10_S11_S12_S16_S17_S18_S1B_S1C_jS1D_jS1E_S1E_jjS1G_bEUljE0_EEESZ_S10_S11_S18_S1C_S1E_T6_T7_T9_mT8_S1G_bDpT10_ENKUlT_T0_E_clISt17integral_constantIbLb1EES1T_IbLb0EEEEDaS1P_S1Q_EUlS1P_E_NS1_11comp_targetILNS1_3genE0ELNS1_11target_archE4294967295ELNS1_3gpuE0ELNS1_3repE0EEENS1_30default_config_static_selectorELNS0_4arch9wavefront6targetE0EEEvS12_
		.amdhsa_group_segment_fixed_size 0
		.amdhsa_private_segment_fixed_size 0
		.amdhsa_kernarg_size 176
		.amdhsa_user_sgpr_count 15
		.amdhsa_user_sgpr_dispatch_ptr 0
		.amdhsa_user_sgpr_queue_ptr 0
		.amdhsa_user_sgpr_kernarg_segment_ptr 1
		.amdhsa_user_sgpr_dispatch_id 0
		.amdhsa_user_sgpr_private_segment_size 0
		.amdhsa_wavefront_size32 1
		.amdhsa_uses_dynamic_stack 0
		.amdhsa_enable_private_segment 0
		.amdhsa_system_sgpr_workgroup_id_x 1
		.amdhsa_system_sgpr_workgroup_id_y 0
		.amdhsa_system_sgpr_workgroup_id_z 0
		.amdhsa_system_sgpr_workgroup_info 0
		.amdhsa_system_vgpr_workitem_id 0
		.amdhsa_next_free_vgpr 1
		.amdhsa_next_free_sgpr 1
		.amdhsa_reserve_vcc 0
		.amdhsa_float_round_mode_32 0
		.amdhsa_float_round_mode_16_64 0
		.amdhsa_float_denorm_mode_32 3
		.amdhsa_float_denorm_mode_16_64 3
		.amdhsa_dx10_clamp 1
		.amdhsa_ieee_mode 1
		.amdhsa_fp16_overflow 0
		.amdhsa_workgroup_processor_mode 1
		.amdhsa_memory_ordered 1
		.amdhsa_forward_progress 0
		.amdhsa_shared_vgpr_count 0
		.amdhsa_exception_fp_ieee_invalid_op 0
		.amdhsa_exception_fp_denorm_src 0
		.amdhsa_exception_fp_ieee_div_zero 0
		.amdhsa_exception_fp_ieee_overflow 0
		.amdhsa_exception_fp_ieee_underflow 0
		.amdhsa_exception_fp_ieee_inexact 0
		.amdhsa_exception_int_div_zero 0
	.end_amdhsa_kernel
	.section	.text._ZN7rocprim17ROCPRIM_400000_NS6detail17trampoline_kernelINS0_13select_configILj256ELj13ELNS0_17block_load_methodE3ELS4_3ELS4_3ELNS0_20block_scan_algorithmE0ELj4294967295EEENS1_25partition_config_selectorILNS1_17partition_subalgoE4EjNS0_10empty_typeEbEEZZNS1_14partition_implILS8_4ELb0ES6_15HIP_vector_typeIjLj2EENS0_17counting_iteratorIjlEEPS9_SG_NS0_5tupleIJPjSI_NS0_16reverse_iteratorISI_EEEEENSH_IJSG_SG_SG_EEES9_SI_JZNS1_25segmented_radix_sort_implINS0_14default_configELb1EPKhPhPKlPlN2at6native12_GLOBAL__N_18offset_tEEE10hipError_tPvRmT1_PNSt15iterator_traitsIS12_E10value_typeET2_T3_PNS13_IS18_E10value_typeET4_jRbjT5_S1E_jjP12ihipStream_tbEUljE_ZNSN_ISO_Lb1ESQ_SR_ST_SU_SY_EESZ_S10_S11_S12_S16_S17_S18_S1B_S1C_jS1D_jS1E_S1E_jjS1G_bEUljE0_EEESZ_S10_S11_S18_S1C_S1E_T6_T7_T9_mT8_S1G_bDpT10_ENKUlT_T0_E_clISt17integral_constantIbLb1EES1T_IbLb0EEEEDaS1P_S1Q_EUlS1P_E_NS1_11comp_targetILNS1_3genE0ELNS1_11target_archE4294967295ELNS1_3gpuE0ELNS1_3repE0EEENS1_30default_config_static_selectorELNS0_4arch9wavefront6targetE0EEEvS12_,"axG",@progbits,_ZN7rocprim17ROCPRIM_400000_NS6detail17trampoline_kernelINS0_13select_configILj256ELj13ELNS0_17block_load_methodE3ELS4_3ELS4_3ELNS0_20block_scan_algorithmE0ELj4294967295EEENS1_25partition_config_selectorILNS1_17partition_subalgoE4EjNS0_10empty_typeEbEEZZNS1_14partition_implILS8_4ELb0ES6_15HIP_vector_typeIjLj2EENS0_17counting_iteratorIjlEEPS9_SG_NS0_5tupleIJPjSI_NS0_16reverse_iteratorISI_EEEEENSH_IJSG_SG_SG_EEES9_SI_JZNS1_25segmented_radix_sort_implINS0_14default_configELb1EPKhPhPKlPlN2at6native12_GLOBAL__N_18offset_tEEE10hipError_tPvRmT1_PNSt15iterator_traitsIS12_E10value_typeET2_T3_PNS13_IS18_E10value_typeET4_jRbjT5_S1E_jjP12ihipStream_tbEUljE_ZNSN_ISO_Lb1ESQ_SR_ST_SU_SY_EESZ_S10_S11_S12_S16_S17_S18_S1B_S1C_jS1D_jS1E_S1E_jjS1G_bEUljE0_EEESZ_S10_S11_S18_S1C_S1E_T6_T7_T9_mT8_S1G_bDpT10_ENKUlT_T0_E_clISt17integral_constantIbLb1EES1T_IbLb0EEEEDaS1P_S1Q_EUlS1P_E_NS1_11comp_targetILNS1_3genE0ELNS1_11target_archE4294967295ELNS1_3gpuE0ELNS1_3repE0EEENS1_30default_config_static_selectorELNS0_4arch9wavefront6targetE0EEEvS12_,comdat
.Lfunc_end30:
	.size	_ZN7rocprim17ROCPRIM_400000_NS6detail17trampoline_kernelINS0_13select_configILj256ELj13ELNS0_17block_load_methodE3ELS4_3ELS4_3ELNS0_20block_scan_algorithmE0ELj4294967295EEENS1_25partition_config_selectorILNS1_17partition_subalgoE4EjNS0_10empty_typeEbEEZZNS1_14partition_implILS8_4ELb0ES6_15HIP_vector_typeIjLj2EENS0_17counting_iteratorIjlEEPS9_SG_NS0_5tupleIJPjSI_NS0_16reverse_iteratorISI_EEEEENSH_IJSG_SG_SG_EEES9_SI_JZNS1_25segmented_radix_sort_implINS0_14default_configELb1EPKhPhPKlPlN2at6native12_GLOBAL__N_18offset_tEEE10hipError_tPvRmT1_PNSt15iterator_traitsIS12_E10value_typeET2_T3_PNS13_IS18_E10value_typeET4_jRbjT5_S1E_jjP12ihipStream_tbEUljE_ZNSN_ISO_Lb1ESQ_SR_ST_SU_SY_EESZ_S10_S11_S12_S16_S17_S18_S1B_S1C_jS1D_jS1E_S1E_jjS1G_bEUljE0_EEESZ_S10_S11_S18_S1C_S1E_T6_T7_T9_mT8_S1G_bDpT10_ENKUlT_T0_E_clISt17integral_constantIbLb1EES1T_IbLb0EEEEDaS1P_S1Q_EUlS1P_E_NS1_11comp_targetILNS1_3genE0ELNS1_11target_archE4294967295ELNS1_3gpuE0ELNS1_3repE0EEENS1_30default_config_static_selectorELNS0_4arch9wavefront6targetE0EEEvS12_, .Lfunc_end30-_ZN7rocprim17ROCPRIM_400000_NS6detail17trampoline_kernelINS0_13select_configILj256ELj13ELNS0_17block_load_methodE3ELS4_3ELS4_3ELNS0_20block_scan_algorithmE0ELj4294967295EEENS1_25partition_config_selectorILNS1_17partition_subalgoE4EjNS0_10empty_typeEbEEZZNS1_14partition_implILS8_4ELb0ES6_15HIP_vector_typeIjLj2EENS0_17counting_iteratorIjlEEPS9_SG_NS0_5tupleIJPjSI_NS0_16reverse_iteratorISI_EEEEENSH_IJSG_SG_SG_EEES9_SI_JZNS1_25segmented_radix_sort_implINS0_14default_configELb1EPKhPhPKlPlN2at6native12_GLOBAL__N_18offset_tEEE10hipError_tPvRmT1_PNSt15iterator_traitsIS12_E10value_typeET2_T3_PNS13_IS18_E10value_typeET4_jRbjT5_S1E_jjP12ihipStream_tbEUljE_ZNSN_ISO_Lb1ESQ_SR_ST_SU_SY_EESZ_S10_S11_S12_S16_S17_S18_S1B_S1C_jS1D_jS1E_S1E_jjS1G_bEUljE0_EEESZ_S10_S11_S18_S1C_S1E_T6_T7_T9_mT8_S1G_bDpT10_ENKUlT_T0_E_clISt17integral_constantIbLb1EES1T_IbLb0EEEEDaS1P_S1Q_EUlS1P_E_NS1_11comp_targetILNS1_3genE0ELNS1_11target_archE4294967295ELNS1_3gpuE0ELNS1_3repE0EEENS1_30default_config_static_selectorELNS0_4arch9wavefront6targetE0EEEvS12_
                                        ; -- End function
	.section	.AMDGPU.csdata,"",@progbits
; Kernel info:
; codeLenInByte = 0
; NumSgprs: 0
; NumVgprs: 0
; ScratchSize: 0
; MemoryBound: 0
; FloatMode: 240
; IeeeMode: 1
; LDSByteSize: 0 bytes/workgroup (compile time only)
; SGPRBlocks: 0
; VGPRBlocks: 0
; NumSGPRsForWavesPerEU: 1
; NumVGPRsForWavesPerEU: 1
; Occupancy: 16
; WaveLimiterHint : 0
; COMPUTE_PGM_RSRC2:SCRATCH_EN: 0
; COMPUTE_PGM_RSRC2:USER_SGPR: 15
; COMPUTE_PGM_RSRC2:TRAP_HANDLER: 0
; COMPUTE_PGM_RSRC2:TGID_X_EN: 1
; COMPUTE_PGM_RSRC2:TGID_Y_EN: 0
; COMPUTE_PGM_RSRC2:TGID_Z_EN: 0
; COMPUTE_PGM_RSRC2:TIDIG_COMP_CNT: 0
	.section	.text._ZN7rocprim17ROCPRIM_400000_NS6detail17trampoline_kernelINS0_13select_configILj256ELj13ELNS0_17block_load_methodE3ELS4_3ELS4_3ELNS0_20block_scan_algorithmE0ELj4294967295EEENS1_25partition_config_selectorILNS1_17partition_subalgoE4EjNS0_10empty_typeEbEEZZNS1_14partition_implILS8_4ELb0ES6_15HIP_vector_typeIjLj2EENS0_17counting_iteratorIjlEEPS9_SG_NS0_5tupleIJPjSI_NS0_16reverse_iteratorISI_EEEEENSH_IJSG_SG_SG_EEES9_SI_JZNS1_25segmented_radix_sort_implINS0_14default_configELb1EPKhPhPKlPlN2at6native12_GLOBAL__N_18offset_tEEE10hipError_tPvRmT1_PNSt15iterator_traitsIS12_E10value_typeET2_T3_PNS13_IS18_E10value_typeET4_jRbjT5_S1E_jjP12ihipStream_tbEUljE_ZNSN_ISO_Lb1ESQ_SR_ST_SU_SY_EESZ_S10_S11_S12_S16_S17_S18_S1B_S1C_jS1D_jS1E_S1E_jjS1G_bEUljE0_EEESZ_S10_S11_S18_S1C_S1E_T6_T7_T9_mT8_S1G_bDpT10_ENKUlT_T0_E_clISt17integral_constantIbLb1EES1T_IbLb0EEEEDaS1P_S1Q_EUlS1P_E_NS1_11comp_targetILNS1_3genE5ELNS1_11target_archE942ELNS1_3gpuE9ELNS1_3repE0EEENS1_30default_config_static_selectorELNS0_4arch9wavefront6targetE0EEEvS12_,"axG",@progbits,_ZN7rocprim17ROCPRIM_400000_NS6detail17trampoline_kernelINS0_13select_configILj256ELj13ELNS0_17block_load_methodE3ELS4_3ELS4_3ELNS0_20block_scan_algorithmE0ELj4294967295EEENS1_25partition_config_selectorILNS1_17partition_subalgoE4EjNS0_10empty_typeEbEEZZNS1_14partition_implILS8_4ELb0ES6_15HIP_vector_typeIjLj2EENS0_17counting_iteratorIjlEEPS9_SG_NS0_5tupleIJPjSI_NS0_16reverse_iteratorISI_EEEEENSH_IJSG_SG_SG_EEES9_SI_JZNS1_25segmented_radix_sort_implINS0_14default_configELb1EPKhPhPKlPlN2at6native12_GLOBAL__N_18offset_tEEE10hipError_tPvRmT1_PNSt15iterator_traitsIS12_E10value_typeET2_T3_PNS13_IS18_E10value_typeET4_jRbjT5_S1E_jjP12ihipStream_tbEUljE_ZNSN_ISO_Lb1ESQ_SR_ST_SU_SY_EESZ_S10_S11_S12_S16_S17_S18_S1B_S1C_jS1D_jS1E_S1E_jjS1G_bEUljE0_EEESZ_S10_S11_S18_S1C_S1E_T6_T7_T9_mT8_S1G_bDpT10_ENKUlT_T0_E_clISt17integral_constantIbLb1EES1T_IbLb0EEEEDaS1P_S1Q_EUlS1P_E_NS1_11comp_targetILNS1_3genE5ELNS1_11target_archE942ELNS1_3gpuE9ELNS1_3repE0EEENS1_30default_config_static_selectorELNS0_4arch9wavefront6targetE0EEEvS12_,comdat
	.globl	_ZN7rocprim17ROCPRIM_400000_NS6detail17trampoline_kernelINS0_13select_configILj256ELj13ELNS0_17block_load_methodE3ELS4_3ELS4_3ELNS0_20block_scan_algorithmE0ELj4294967295EEENS1_25partition_config_selectorILNS1_17partition_subalgoE4EjNS0_10empty_typeEbEEZZNS1_14partition_implILS8_4ELb0ES6_15HIP_vector_typeIjLj2EENS0_17counting_iteratorIjlEEPS9_SG_NS0_5tupleIJPjSI_NS0_16reverse_iteratorISI_EEEEENSH_IJSG_SG_SG_EEES9_SI_JZNS1_25segmented_radix_sort_implINS0_14default_configELb1EPKhPhPKlPlN2at6native12_GLOBAL__N_18offset_tEEE10hipError_tPvRmT1_PNSt15iterator_traitsIS12_E10value_typeET2_T3_PNS13_IS18_E10value_typeET4_jRbjT5_S1E_jjP12ihipStream_tbEUljE_ZNSN_ISO_Lb1ESQ_SR_ST_SU_SY_EESZ_S10_S11_S12_S16_S17_S18_S1B_S1C_jS1D_jS1E_S1E_jjS1G_bEUljE0_EEESZ_S10_S11_S18_S1C_S1E_T6_T7_T9_mT8_S1G_bDpT10_ENKUlT_T0_E_clISt17integral_constantIbLb1EES1T_IbLb0EEEEDaS1P_S1Q_EUlS1P_E_NS1_11comp_targetILNS1_3genE5ELNS1_11target_archE942ELNS1_3gpuE9ELNS1_3repE0EEENS1_30default_config_static_selectorELNS0_4arch9wavefront6targetE0EEEvS12_ ; -- Begin function _ZN7rocprim17ROCPRIM_400000_NS6detail17trampoline_kernelINS0_13select_configILj256ELj13ELNS0_17block_load_methodE3ELS4_3ELS4_3ELNS0_20block_scan_algorithmE0ELj4294967295EEENS1_25partition_config_selectorILNS1_17partition_subalgoE4EjNS0_10empty_typeEbEEZZNS1_14partition_implILS8_4ELb0ES6_15HIP_vector_typeIjLj2EENS0_17counting_iteratorIjlEEPS9_SG_NS0_5tupleIJPjSI_NS0_16reverse_iteratorISI_EEEEENSH_IJSG_SG_SG_EEES9_SI_JZNS1_25segmented_radix_sort_implINS0_14default_configELb1EPKhPhPKlPlN2at6native12_GLOBAL__N_18offset_tEEE10hipError_tPvRmT1_PNSt15iterator_traitsIS12_E10value_typeET2_T3_PNS13_IS18_E10value_typeET4_jRbjT5_S1E_jjP12ihipStream_tbEUljE_ZNSN_ISO_Lb1ESQ_SR_ST_SU_SY_EESZ_S10_S11_S12_S16_S17_S18_S1B_S1C_jS1D_jS1E_S1E_jjS1G_bEUljE0_EEESZ_S10_S11_S18_S1C_S1E_T6_T7_T9_mT8_S1G_bDpT10_ENKUlT_T0_E_clISt17integral_constantIbLb1EES1T_IbLb0EEEEDaS1P_S1Q_EUlS1P_E_NS1_11comp_targetILNS1_3genE5ELNS1_11target_archE942ELNS1_3gpuE9ELNS1_3repE0EEENS1_30default_config_static_selectorELNS0_4arch9wavefront6targetE0EEEvS12_
	.p2align	8
	.type	_ZN7rocprim17ROCPRIM_400000_NS6detail17trampoline_kernelINS0_13select_configILj256ELj13ELNS0_17block_load_methodE3ELS4_3ELS4_3ELNS0_20block_scan_algorithmE0ELj4294967295EEENS1_25partition_config_selectorILNS1_17partition_subalgoE4EjNS0_10empty_typeEbEEZZNS1_14partition_implILS8_4ELb0ES6_15HIP_vector_typeIjLj2EENS0_17counting_iteratorIjlEEPS9_SG_NS0_5tupleIJPjSI_NS0_16reverse_iteratorISI_EEEEENSH_IJSG_SG_SG_EEES9_SI_JZNS1_25segmented_radix_sort_implINS0_14default_configELb1EPKhPhPKlPlN2at6native12_GLOBAL__N_18offset_tEEE10hipError_tPvRmT1_PNSt15iterator_traitsIS12_E10value_typeET2_T3_PNS13_IS18_E10value_typeET4_jRbjT5_S1E_jjP12ihipStream_tbEUljE_ZNSN_ISO_Lb1ESQ_SR_ST_SU_SY_EESZ_S10_S11_S12_S16_S17_S18_S1B_S1C_jS1D_jS1E_S1E_jjS1G_bEUljE0_EEESZ_S10_S11_S18_S1C_S1E_T6_T7_T9_mT8_S1G_bDpT10_ENKUlT_T0_E_clISt17integral_constantIbLb1EES1T_IbLb0EEEEDaS1P_S1Q_EUlS1P_E_NS1_11comp_targetILNS1_3genE5ELNS1_11target_archE942ELNS1_3gpuE9ELNS1_3repE0EEENS1_30default_config_static_selectorELNS0_4arch9wavefront6targetE0EEEvS12_,@function
_ZN7rocprim17ROCPRIM_400000_NS6detail17trampoline_kernelINS0_13select_configILj256ELj13ELNS0_17block_load_methodE3ELS4_3ELS4_3ELNS0_20block_scan_algorithmE0ELj4294967295EEENS1_25partition_config_selectorILNS1_17partition_subalgoE4EjNS0_10empty_typeEbEEZZNS1_14partition_implILS8_4ELb0ES6_15HIP_vector_typeIjLj2EENS0_17counting_iteratorIjlEEPS9_SG_NS0_5tupleIJPjSI_NS0_16reverse_iteratorISI_EEEEENSH_IJSG_SG_SG_EEES9_SI_JZNS1_25segmented_radix_sort_implINS0_14default_configELb1EPKhPhPKlPlN2at6native12_GLOBAL__N_18offset_tEEE10hipError_tPvRmT1_PNSt15iterator_traitsIS12_E10value_typeET2_T3_PNS13_IS18_E10value_typeET4_jRbjT5_S1E_jjP12ihipStream_tbEUljE_ZNSN_ISO_Lb1ESQ_SR_ST_SU_SY_EESZ_S10_S11_S12_S16_S17_S18_S1B_S1C_jS1D_jS1E_S1E_jjS1G_bEUljE0_EEESZ_S10_S11_S18_S1C_S1E_T6_T7_T9_mT8_S1G_bDpT10_ENKUlT_T0_E_clISt17integral_constantIbLb1EES1T_IbLb0EEEEDaS1P_S1Q_EUlS1P_E_NS1_11comp_targetILNS1_3genE5ELNS1_11target_archE942ELNS1_3gpuE9ELNS1_3repE0EEENS1_30default_config_static_selectorELNS0_4arch9wavefront6targetE0EEEvS12_: ; @_ZN7rocprim17ROCPRIM_400000_NS6detail17trampoline_kernelINS0_13select_configILj256ELj13ELNS0_17block_load_methodE3ELS4_3ELS4_3ELNS0_20block_scan_algorithmE0ELj4294967295EEENS1_25partition_config_selectorILNS1_17partition_subalgoE4EjNS0_10empty_typeEbEEZZNS1_14partition_implILS8_4ELb0ES6_15HIP_vector_typeIjLj2EENS0_17counting_iteratorIjlEEPS9_SG_NS0_5tupleIJPjSI_NS0_16reverse_iteratorISI_EEEEENSH_IJSG_SG_SG_EEES9_SI_JZNS1_25segmented_radix_sort_implINS0_14default_configELb1EPKhPhPKlPlN2at6native12_GLOBAL__N_18offset_tEEE10hipError_tPvRmT1_PNSt15iterator_traitsIS12_E10value_typeET2_T3_PNS13_IS18_E10value_typeET4_jRbjT5_S1E_jjP12ihipStream_tbEUljE_ZNSN_ISO_Lb1ESQ_SR_ST_SU_SY_EESZ_S10_S11_S12_S16_S17_S18_S1B_S1C_jS1D_jS1E_S1E_jjS1G_bEUljE0_EEESZ_S10_S11_S18_S1C_S1E_T6_T7_T9_mT8_S1G_bDpT10_ENKUlT_T0_E_clISt17integral_constantIbLb1EES1T_IbLb0EEEEDaS1P_S1Q_EUlS1P_E_NS1_11comp_targetILNS1_3genE5ELNS1_11target_archE942ELNS1_3gpuE9ELNS1_3repE0EEENS1_30default_config_static_selectorELNS0_4arch9wavefront6targetE0EEEvS12_
; %bb.0:
	.section	.rodata,"a",@progbits
	.p2align	6, 0x0
	.amdhsa_kernel _ZN7rocprim17ROCPRIM_400000_NS6detail17trampoline_kernelINS0_13select_configILj256ELj13ELNS0_17block_load_methodE3ELS4_3ELS4_3ELNS0_20block_scan_algorithmE0ELj4294967295EEENS1_25partition_config_selectorILNS1_17partition_subalgoE4EjNS0_10empty_typeEbEEZZNS1_14partition_implILS8_4ELb0ES6_15HIP_vector_typeIjLj2EENS0_17counting_iteratorIjlEEPS9_SG_NS0_5tupleIJPjSI_NS0_16reverse_iteratorISI_EEEEENSH_IJSG_SG_SG_EEES9_SI_JZNS1_25segmented_radix_sort_implINS0_14default_configELb1EPKhPhPKlPlN2at6native12_GLOBAL__N_18offset_tEEE10hipError_tPvRmT1_PNSt15iterator_traitsIS12_E10value_typeET2_T3_PNS13_IS18_E10value_typeET4_jRbjT5_S1E_jjP12ihipStream_tbEUljE_ZNSN_ISO_Lb1ESQ_SR_ST_SU_SY_EESZ_S10_S11_S12_S16_S17_S18_S1B_S1C_jS1D_jS1E_S1E_jjS1G_bEUljE0_EEESZ_S10_S11_S18_S1C_S1E_T6_T7_T9_mT8_S1G_bDpT10_ENKUlT_T0_E_clISt17integral_constantIbLb1EES1T_IbLb0EEEEDaS1P_S1Q_EUlS1P_E_NS1_11comp_targetILNS1_3genE5ELNS1_11target_archE942ELNS1_3gpuE9ELNS1_3repE0EEENS1_30default_config_static_selectorELNS0_4arch9wavefront6targetE0EEEvS12_
		.amdhsa_group_segment_fixed_size 0
		.amdhsa_private_segment_fixed_size 0
		.amdhsa_kernarg_size 176
		.amdhsa_user_sgpr_count 15
		.amdhsa_user_sgpr_dispatch_ptr 0
		.amdhsa_user_sgpr_queue_ptr 0
		.amdhsa_user_sgpr_kernarg_segment_ptr 1
		.amdhsa_user_sgpr_dispatch_id 0
		.amdhsa_user_sgpr_private_segment_size 0
		.amdhsa_wavefront_size32 1
		.amdhsa_uses_dynamic_stack 0
		.amdhsa_enable_private_segment 0
		.amdhsa_system_sgpr_workgroup_id_x 1
		.amdhsa_system_sgpr_workgroup_id_y 0
		.amdhsa_system_sgpr_workgroup_id_z 0
		.amdhsa_system_sgpr_workgroup_info 0
		.amdhsa_system_vgpr_workitem_id 0
		.amdhsa_next_free_vgpr 1
		.amdhsa_next_free_sgpr 1
		.amdhsa_reserve_vcc 0
		.amdhsa_float_round_mode_32 0
		.amdhsa_float_round_mode_16_64 0
		.amdhsa_float_denorm_mode_32 3
		.amdhsa_float_denorm_mode_16_64 3
		.amdhsa_dx10_clamp 1
		.amdhsa_ieee_mode 1
		.amdhsa_fp16_overflow 0
		.amdhsa_workgroup_processor_mode 1
		.amdhsa_memory_ordered 1
		.amdhsa_forward_progress 0
		.amdhsa_shared_vgpr_count 0
		.amdhsa_exception_fp_ieee_invalid_op 0
		.amdhsa_exception_fp_denorm_src 0
		.amdhsa_exception_fp_ieee_div_zero 0
		.amdhsa_exception_fp_ieee_overflow 0
		.amdhsa_exception_fp_ieee_underflow 0
		.amdhsa_exception_fp_ieee_inexact 0
		.amdhsa_exception_int_div_zero 0
	.end_amdhsa_kernel
	.section	.text._ZN7rocprim17ROCPRIM_400000_NS6detail17trampoline_kernelINS0_13select_configILj256ELj13ELNS0_17block_load_methodE3ELS4_3ELS4_3ELNS0_20block_scan_algorithmE0ELj4294967295EEENS1_25partition_config_selectorILNS1_17partition_subalgoE4EjNS0_10empty_typeEbEEZZNS1_14partition_implILS8_4ELb0ES6_15HIP_vector_typeIjLj2EENS0_17counting_iteratorIjlEEPS9_SG_NS0_5tupleIJPjSI_NS0_16reverse_iteratorISI_EEEEENSH_IJSG_SG_SG_EEES9_SI_JZNS1_25segmented_radix_sort_implINS0_14default_configELb1EPKhPhPKlPlN2at6native12_GLOBAL__N_18offset_tEEE10hipError_tPvRmT1_PNSt15iterator_traitsIS12_E10value_typeET2_T3_PNS13_IS18_E10value_typeET4_jRbjT5_S1E_jjP12ihipStream_tbEUljE_ZNSN_ISO_Lb1ESQ_SR_ST_SU_SY_EESZ_S10_S11_S12_S16_S17_S18_S1B_S1C_jS1D_jS1E_S1E_jjS1G_bEUljE0_EEESZ_S10_S11_S18_S1C_S1E_T6_T7_T9_mT8_S1G_bDpT10_ENKUlT_T0_E_clISt17integral_constantIbLb1EES1T_IbLb0EEEEDaS1P_S1Q_EUlS1P_E_NS1_11comp_targetILNS1_3genE5ELNS1_11target_archE942ELNS1_3gpuE9ELNS1_3repE0EEENS1_30default_config_static_selectorELNS0_4arch9wavefront6targetE0EEEvS12_,"axG",@progbits,_ZN7rocprim17ROCPRIM_400000_NS6detail17trampoline_kernelINS0_13select_configILj256ELj13ELNS0_17block_load_methodE3ELS4_3ELS4_3ELNS0_20block_scan_algorithmE0ELj4294967295EEENS1_25partition_config_selectorILNS1_17partition_subalgoE4EjNS0_10empty_typeEbEEZZNS1_14partition_implILS8_4ELb0ES6_15HIP_vector_typeIjLj2EENS0_17counting_iteratorIjlEEPS9_SG_NS0_5tupleIJPjSI_NS0_16reverse_iteratorISI_EEEEENSH_IJSG_SG_SG_EEES9_SI_JZNS1_25segmented_radix_sort_implINS0_14default_configELb1EPKhPhPKlPlN2at6native12_GLOBAL__N_18offset_tEEE10hipError_tPvRmT1_PNSt15iterator_traitsIS12_E10value_typeET2_T3_PNS13_IS18_E10value_typeET4_jRbjT5_S1E_jjP12ihipStream_tbEUljE_ZNSN_ISO_Lb1ESQ_SR_ST_SU_SY_EESZ_S10_S11_S12_S16_S17_S18_S1B_S1C_jS1D_jS1E_S1E_jjS1G_bEUljE0_EEESZ_S10_S11_S18_S1C_S1E_T6_T7_T9_mT8_S1G_bDpT10_ENKUlT_T0_E_clISt17integral_constantIbLb1EES1T_IbLb0EEEEDaS1P_S1Q_EUlS1P_E_NS1_11comp_targetILNS1_3genE5ELNS1_11target_archE942ELNS1_3gpuE9ELNS1_3repE0EEENS1_30default_config_static_selectorELNS0_4arch9wavefront6targetE0EEEvS12_,comdat
.Lfunc_end31:
	.size	_ZN7rocprim17ROCPRIM_400000_NS6detail17trampoline_kernelINS0_13select_configILj256ELj13ELNS0_17block_load_methodE3ELS4_3ELS4_3ELNS0_20block_scan_algorithmE0ELj4294967295EEENS1_25partition_config_selectorILNS1_17partition_subalgoE4EjNS0_10empty_typeEbEEZZNS1_14partition_implILS8_4ELb0ES6_15HIP_vector_typeIjLj2EENS0_17counting_iteratorIjlEEPS9_SG_NS0_5tupleIJPjSI_NS0_16reverse_iteratorISI_EEEEENSH_IJSG_SG_SG_EEES9_SI_JZNS1_25segmented_radix_sort_implINS0_14default_configELb1EPKhPhPKlPlN2at6native12_GLOBAL__N_18offset_tEEE10hipError_tPvRmT1_PNSt15iterator_traitsIS12_E10value_typeET2_T3_PNS13_IS18_E10value_typeET4_jRbjT5_S1E_jjP12ihipStream_tbEUljE_ZNSN_ISO_Lb1ESQ_SR_ST_SU_SY_EESZ_S10_S11_S12_S16_S17_S18_S1B_S1C_jS1D_jS1E_S1E_jjS1G_bEUljE0_EEESZ_S10_S11_S18_S1C_S1E_T6_T7_T9_mT8_S1G_bDpT10_ENKUlT_T0_E_clISt17integral_constantIbLb1EES1T_IbLb0EEEEDaS1P_S1Q_EUlS1P_E_NS1_11comp_targetILNS1_3genE5ELNS1_11target_archE942ELNS1_3gpuE9ELNS1_3repE0EEENS1_30default_config_static_selectorELNS0_4arch9wavefront6targetE0EEEvS12_, .Lfunc_end31-_ZN7rocprim17ROCPRIM_400000_NS6detail17trampoline_kernelINS0_13select_configILj256ELj13ELNS0_17block_load_methodE3ELS4_3ELS4_3ELNS0_20block_scan_algorithmE0ELj4294967295EEENS1_25partition_config_selectorILNS1_17partition_subalgoE4EjNS0_10empty_typeEbEEZZNS1_14partition_implILS8_4ELb0ES6_15HIP_vector_typeIjLj2EENS0_17counting_iteratorIjlEEPS9_SG_NS0_5tupleIJPjSI_NS0_16reverse_iteratorISI_EEEEENSH_IJSG_SG_SG_EEES9_SI_JZNS1_25segmented_radix_sort_implINS0_14default_configELb1EPKhPhPKlPlN2at6native12_GLOBAL__N_18offset_tEEE10hipError_tPvRmT1_PNSt15iterator_traitsIS12_E10value_typeET2_T3_PNS13_IS18_E10value_typeET4_jRbjT5_S1E_jjP12ihipStream_tbEUljE_ZNSN_ISO_Lb1ESQ_SR_ST_SU_SY_EESZ_S10_S11_S12_S16_S17_S18_S1B_S1C_jS1D_jS1E_S1E_jjS1G_bEUljE0_EEESZ_S10_S11_S18_S1C_S1E_T6_T7_T9_mT8_S1G_bDpT10_ENKUlT_T0_E_clISt17integral_constantIbLb1EES1T_IbLb0EEEEDaS1P_S1Q_EUlS1P_E_NS1_11comp_targetILNS1_3genE5ELNS1_11target_archE942ELNS1_3gpuE9ELNS1_3repE0EEENS1_30default_config_static_selectorELNS0_4arch9wavefront6targetE0EEEvS12_
                                        ; -- End function
	.section	.AMDGPU.csdata,"",@progbits
; Kernel info:
; codeLenInByte = 0
; NumSgprs: 0
; NumVgprs: 0
; ScratchSize: 0
; MemoryBound: 0
; FloatMode: 240
; IeeeMode: 1
; LDSByteSize: 0 bytes/workgroup (compile time only)
; SGPRBlocks: 0
; VGPRBlocks: 0
; NumSGPRsForWavesPerEU: 1
; NumVGPRsForWavesPerEU: 1
; Occupancy: 16
; WaveLimiterHint : 0
; COMPUTE_PGM_RSRC2:SCRATCH_EN: 0
; COMPUTE_PGM_RSRC2:USER_SGPR: 15
; COMPUTE_PGM_RSRC2:TRAP_HANDLER: 0
; COMPUTE_PGM_RSRC2:TGID_X_EN: 1
; COMPUTE_PGM_RSRC2:TGID_Y_EN: 0
; COMPUTE_PGM_RSRC2:TGID_Z_EN: 0
; COMPUTE_PGM_RSRC2:TIDIG_COMP_CNT: 0
	.section	.text._ZN7rocprim17ROCPRIM_400000_NS6detail17trampoline_kernelINS0_13select_configILj256ELj13ELNS0_17block_load_methodE3ELS4_3ELS4_3ELNS0_20block_scan_algorithmE0ELj4294967295EEENS1_25partition_config_selectorILNS1_17partition_subalgoE4EjNS0_10empty_typeEbEEZZNS1_14partition_implILS8_4ELb0ES6_15HIP_vector_typeIjLj2EENS0_17counting_iteratorIjlEEPS9_SG_NS0_5tupleIJPjSI_NS0_16reverse_iteratorISI_EEEEENSH_IJSG_SG_SG_EEES9_SI_JZNS1_25segmented_radix_sort_implINS0_14default_configELb1EPKhPhPKlPlN2at6native12_GLOBAL__N_18offset_tEEE10hipError_tPvRmT1_PNSt15iterator_traitsIS12_E10value_typeET2_T3_PNS13_IS18_E10value_typeET4_jRbjT5_S1E_jjP12ihipStream_tbEUljE_ZNSN_ISO_Lb1ESQ_SR_ST_SU_SY_EESZ_S10_S11_S12_S16_S17_S18_S1B_S1C_jS1D_jS1E_S1E_jjS1G_bEUljE0_EEESZ_S10_S11_S18_S1C_S1E_T6_T7_T9_mT8_S1G_bDpT10_ENKUlT_T0_E_clISt17integral_constantIbLb1EES1T_IbLb0EEEEDaS1P_S1Q_EUlS1P_E_NS1_11comp_targetILNS1_3genE4ELNS1_11target_archE910ELNS1_3gpuE8ELNS1_3repE0EEENS1_30default_config_static_selectorELNS0_4arch9wavefront6targetE0EEEvS12_,"axG",@progbits,_ZN7rocprim17ROCPRIM_400000_NS6detail17trampoline_kernelINS0_13select_configILj256ELj13ELNS0_17block_load_methodE3ELS4_3ELS4_3ELNS0_20block_scan_algorithmE0ELj4294967295EEENS1_25partition_config_selectorILNS1_17partition_subalgoE4EjNS0_10empty_typeEbEEZZNS1_14partition_implILS8_4ELb0ES6_15HIP_vector_typeIjLj2EENS0_17counting_iteratorIjlEEPS9_SG_NS0_5tupleIJPjSI_NS0_16reverse_iteratorISI_EEEEENSH_IJSG_SG_SG_EEES9_SI_JZNS1_25segmented_radix_sort_implINS0_14default_configELb1EPKhPhPKlPlN2at6native12_GLOBAL__N_18offset_tEEE10hipError_tPvRmT1_PNSt15iterator_traitsIS12_E10value_typeET2_T3_PNS13_IS18_E10value_typeET4_jRbjT5_S1E_jjP12ihipStream_tbEUljE_ZNSN_ISO_Lb1ESQ_SR_ST_SU_SY_EESZ_S10_S11_S12_S16_S17_S18_S1B_S1C_jS1D_jS1E_S1E_jjS1G_bEUljE0_EEESZ_S10_S11_S18_S1C_S1E_T6_T7_T9_mT8_S1G_bDpT10_ENKUlT_T0_E_clISt17integral_constantIbLb1EES1T_IbLb0EEEEDaS1P_S1Q_EUlS1P_E_NS1_11comp_targetILNS1_3genE4ELNS1_11target_archE910ELNS1_3gpuE8ELNS1_3repE0EEENS1_30default_config_static_selectorELNS0_4arch9wavefront6targetE0EEEvS12_,comdat
	.globl	_ZN7rocprim17ROCPRIM_400000_NS6detail17trampoline_kernelINS0_13select_configILj256ELj13ELNS0_17block_load_methodE3ELS4_3ELS4_3ELNS0_20block_scan_algorithmE0ELj4294967295EEENS1_25partition_config_selectorILNS1_17partition_subalgoE4EjNS0_10empty_typeEbEEZZNS1_14partition_implILS8_4ELb0ES6_15HIP_vector_typeIjLj2EENS0_17counting_iteratorIjlEEPS9_SG_NS0_5tupleIJPjSI_NS0_16reverse_iteratorISI_EEEEENSH_IJSG_SG_SG_EEES9_SI_JZNS1_25segmented_radix_sort_implINS0_14default_configELb1EPKhPhPKlPlN2at6native12_GLOBAL__N_18offset_tEEE10hipError_tPvRmT1_PNSt15iterator_traitsIS12_E10value_typeET2_T3_PNS13_IS18_E10value_typeET4_jRbjT5_S1E_jjP12ihipStream_tbEUljE_ZNSN_ISO_Lb1ESQ_SR_ST_SU_SY_EESZ_S10_S11_S12_S16_S17_S18_S1B_S1C_jS1D_jS1E_S1E_jjS1G_bEUljE0_EEESZ_S10_S11_S18_S1C_S1E_T6_T7_T9_mT8_S1G_bDpT10_ENKUlT_T0_E_clISt17integral_constantIbLb1EES1T_IbLb0EEEEDaS1P_S1Q_EUlS1P_E_NS1_11comp_targetILNS1_3genE4ELNS1_11target_archE910ELNS1_3gpuE8ELNS1_3repE0EEENS1_30default_config_static_selectorELNS0_4arch9wavefront6targetE0EEEvS12_ ; -- Begin function _ZN7rocprim17ROCPRIM_400000_NS6detail17trampoline_kernelINS0_13select_configILj256ELj13ELNS0_17block_load_methodE3ELS4_3ELS4_3ELNS0_20block_scan_algorithmE0ELj4294967295EEENS1_25partition_config_selectorILNS1_17partition_subalgoE4EjNS0_10empty_typeEbEEZZNS1_14partition_implILS8_4ELb0ES6_15HIP_vector_typeIjLj2EENS0_17counting_iteratorIjlEEPS9_SG_NS0_5tupleIJPjSI_NS0_16reverse_iteratorISI_EEEEENSH_IJSG_SG_SG_EEES9_SI_JZNS1_25segmented_radix_sort_implINS0_14default_configELb1EPKhPhPKlPlN2at6native12_GLOBAL__N_18offset_tEEE10hipError_tPvRmT1_PNSt15iterator_traitsIS12_E10value_typeET2_T3_PNS13_IS18_E10value_typeET4_jRbjT5_S1E_jjP12ihipStream_tbEUljE_ZNSN_ISO_Lb1ESQ_SR_ST_SU_SY_EESZ_S10_S11_S12_S16_S17_S18_S1B_S1C_jS1D_jS1E_S1E_jjS1G_bEUljE0_EEESZ_S10_S11_S18_S1C_S1E_T6_T7_T9_mT8_S1G_bDpT10_ENKUlT_T0_E_clISt17integral_constantIbLb1EES1T_IbLb0EEEEDaS1P_S1Q_EUlS1P_E_NS1_11comp_targetILNS1_3genE4ELNS1_11target_archE910ELNS1_3gpuE8ELNS1_3repE0EEENS1_30default_config_static_selectorELNS0_4arch9wavefront6targetE0EEEvS12_
	.p2align	8
	.type	_ZN7rocprim17ROCPRIM_400000_NS6detail17trampoline_kernelINS0_13select_configILj256ELj13ELNS0_17block_load_methodE3ELS4_3ELS4_3ELNS0_20block_scan_algorithmE0ELj4294967295EEENS1_25partition_config_selectorILNS1_17partition_subalgoE4EjNS0_10empty_typeEbEEZZNS1_14partition_implILS8_4ELb0ES6_15HIP_vector_typeIjLj2EENS0_17counting_iteratorIjlEEPS9_SG_NS0_5tupleIJPjSI_NS0_16reverse_iteratorISI_EEEEENSH_IJSG_SG_SG_EEES9_SI_JZNS1_25segmented_radix_sort_implINS0_14default_configELb1EPKhPhPKlPlN2at6native12_GLOBAL__N_18offset_tEEE10hipError_tPvRmT1_PNSt15iterator_traitsIS12_E10value_typeET2_T3_PNS13_IS18_E10value_typeET4_jRbjT5_S1E_jjP12ihipStream_tbEUljE_ZNSN_ISO_Lb1ESQ_SR_ST_SU_SY_EESZ_S10_S11_S12_S16_S17_S18_S1B_S1C_jS1D_jS1E_S1E_jjS1G_bEUljE0_EEESZ_S10_S11_S18_S1C_S1E_T6_T7_T9_mT8_S1G_bDpT10_ENKUlT_T0_E_clISt17integral_constantIbLb1EES1T_IbLb0EEEEDaS1P_S1Q_EUlS1P_E_NS1_11comp_targetILNS1_3genE4ELNS1_11target_archE910ELNS1_3gpuE8ELNS1_3repE0EEENS1_30default_config_static_selectorELNS0_4arch9wavefront6targetE0EEEvS12_,@function
_ZN7rocprim17ROCPRIM_400000_NS6detail17trampoline_kernelINS0_13select_configILj256ELj13ELNS0_17block_load_methodE3ELS4_3ELS4_3ELNS0_20block_scan_algorithmE0ELj4294967295EEENS1_25partition_config_selectorILNS1_17partition_subalgoE4EjNS0_10empty_typeEbEEZZNS1_14partition_implILS8_4ELb0ES6_15HIP_vector_typeIjLj2EENS0_17counting_iteratorIjlEEPS9_SG_NS0_5tupleIJPjSI_NS0_16reverse_iteratorISI_EEEEENSH_IJSG_SG_SG_EEES9_SI_JZNS1_25segmented_radix_sort_implINS0_14default_configELb1EPKhPhPKlPlN2at6native12_GLOBAL__N_18offset_tEEE10hipError_tPvRmT1_PNSt15iterator_traitsIS12_E10value_typeET2_T3_PNS13_IS18_E10value_typeET4_jRbjT5_S1E_jjP12ihipStream_tbEUljE_ZNSN_ISO_Lb1ESQ_SR_ST_SU_SY_EESZ_S10_S11_S12_S16_S17_S18_S1B_S1C_jS1D_jS1E_S1E_jjS1G_bEUljE0_EEESZ_S10_S11_S18_S1C_S1E_T6_T7_T9_mT8_S1G_bDpT10_ENKUlT_T0_E_clISt17integral_constantIbLb1EES1T_IbLb0EEEEDaS1P_S1Q_EUlS1P_E_NS1_11comp_targetILNS1_3genE4ELNS1_11target_archE910ELNS1_3gpuE8ELNS1_3repE0EEENS1_30default_config_static_selectorELNS0_4arch9wavefront6targetE0EEEvS12_: ; @_ZN7rocprim17ROCPRIM_400000_NS6detail17trampoline_kernelINS0_13select_configILj256ELj13ELNS0_17block_load_methodE3ELS4_3ELS4_3ELNS0_20block_scan_algorithmE0ELj4294967295EEENS1_25partition_config_selectorILNS1_17partition_subalgoE4EjNS0_10empty_typeEbEEZZNS1_14partition_implILS8_4ELb0ES6_15HIP_vector_typeIjLj2EENS0_17counting_iteratorIjlEEPS9_SG_NS0_5tupleIJPjSI_NS0_16reverse_iteratorISI_EEEEENSH_IJSG_SG_SG_EEES9_SI_JZNS1_25segmented_radix_sort_implINS0_14default_configELb1EPKhPhPKlPlN2at6native12_GLOBAL__N_18offset_tEEE10hipError_tPvRmT1_PNSt15iterator_traitsIS12_E10value_typeET2_T3_PNS13_IS18_E10value_typeET4_jRbjT5_S1E_jjP12ihipStream_tbEUljE_ZNSN_ISO_Lb1ESQ_SR_ST_SU_SY_EESZ_S10_S11_S12_S16_S17_S18_S1B_S1C_jS1D_jS1E_S1E_jjS1G_bEUljE0_EEESZ_S10_S11_S18_S1C_S1E_T6_T7_T9_mT8_S1G_bDpT10_ENKUlT_T0_E_clISt17integral_constantIbLb1EES1T_IbLb0EEEEDaS1P_S1Q_EUlS1P_E_NS1_11comp_targetILNS1_3genE4ELNS1_11target_archE910ELNS1_3gpuE8ELNS1_3repE0EEENS1_30default_config_static_selectorELNS0_4arch9wavefront6targetE0EEEvS12_
; %bb.0:
	.section	.rodata,"a",@progbits
	.p2align	6, 0x0
	.amdhsa_kernel _ZN7rocprim17ROCPRIM_400000_NS6detail17trampoline_kernelINS0_13select_configILj256ELj13ELNS0_17block_load_methodE3ELS4_3ELS4_3ELNS0_20block_scan_algorithmE0ELj4294967295EEENS1_25partition_config_selectorILNS1_17partition_subalgoE4EjNS0_10empty_typeEbEEZZNS1_14partition_implILS8_4ELb0ES6_15HIP_vector_typeIjLj2EENS0_17counting_iteratorIjlEEPS9_SG_NS0_5tupleIJPjSI_NS0_16reverse_iteratorISI_EEEEENSH_IJSG_SG_SG_EEES9_SI_JZNS1_25segmented_radix_sort_implINS0_14default_configELb1EPKhPhPKlPlN2at6native12_GLOBAL__N_18offset_tEEE10hipError_tPvRmT1_PNSt15iterator_traitsIS12_E10value_typeET2_T3_PNS13_IS18_E10value_typeET4_jRbjT5_S1E_jjP12ihipStream_tbEUljE_ZNSN_ISO_Lb1ESQ_SR_ST_SU_SY_EESZ_S10_S11_S12_S16_S17_S18_S1B_S1C_jS1D_jS1E_S1E_jjS1G_bEUljE0_EEESZ_S10_S11_S18_S1C_S1E_T6_T7_T9_mT8_S1G_bDpT10_ENKUlT_T0_E_clISt17integral_constantIbLb1EES1T_IbLb0EEEEDaS1P_S1Q_EUlS1P_E_NS1_11comp_targetILNS1_3genE4ELNS1_11target_archE910ELNS1_3gpuE8ELNS1_3repE0EEENS1_30default_config_static_selectorELNS0_4arch9wavefront6targetE0EEEvS12_
		.amdhsa_group_segment_fixed_size 0
		.amdhsa_private_segment_fixed_size 0
		.amdhsa_kernarg_size 176
		.amdhsa_user_sgpr_count 15
		.amdhsa_user_sgpr_dispatch_ptr 0
		.amdhsa_user_sgpr_queue_ptr 0
		.amdhsa_user_sgpr_kernarg_segment_ptr 1
		.amdhsa_user_sgpr_dispatch_id 0
		.amdhsa_user_sgpr_private_segment_size 0
		.amdhsa_wavefront_size32 1
		.amdhsa_uses_dynamic_stack 0
		.amdhsa_enable_private_segment 0
		.amdhsa_system_sgpr_workgroup_id_x 1
		.amdhsa_system_sgpr_workgroup_id_y 0
		.amdhsa_system_sgpr_workgroup_id_z 0
		.amdhsa_system_sgpr_workgroup_info 0
		.amdhsa_system_vgpr_workitem_id 0
		.amdhsa_next_free_vgpr 1
		.amdhsa_next_free_sgpr 1
		.amdhsa_reserve_vcc 0
		.amdhsa_float_round_mode_32 0
		.amdhsa_float_round_mode_16_64 0
		.amdhsa_float_denorm_mode_32 3
		.amdhsa_float_denorm_mode_16_64 3
		.amdhsa_dx10_clamp 1
		.amdhsa_ieee_mode 1
		.amdhsa_fp16_overflow 0
		.amdhsa_workgroup_processor_mode 1
		.amdhsa_memory_ordered 1
		.amdhsa_forward_progress 0
		.amdhsa_shared_vgpr_count 0
		.amdhsa_exception_fp_ieee_invalid_op 0
		.amdhsa_exception_fp_denorm_src 0
		.amdhsa_exception_fp_ieee_div_zero 0
		.amdhsa_exception_fp_ieee_overflow 0
		.amdhsa_exception_fp_ieee_underflow 0
		.amdhsa_exception_fp_ieee_inexact 0
		.amdhsa_exception_int_div_zero 0
	.end_amdhsa_kernel
	.section	.text._ZN7rocprim17ROCPRIM_400000_NS6detail17trampoline_kernelINS0_13select_configILj256ELj13ELNS0_17block_load_methodE3ELS4_3ELS4_3ELNS0_20block_scan_algorithmE0ELj4294967295EEENS1_25partition_config_selectorILNS1_17partition_subalgoE4EjNS0_10empty_typeEbEEZZNS1_14partition_implILS8_4ELb0ES6_15HIP_vector_typeIjLj2EENS0_17counting_iteratorIjlEEPS9_SG_NS0_5tupleIJPjSI_NS0_16reverse_iteratorISI_EEEEENSH_IJSG_SG_SG_EEES9_SI_JZNS1_25segmented_radix_sort_implINS0_14default_configELb1EPKhPhPKlPlN2at6native12_GLOBAL__N_18offset_tEEE10hipError_tPvRmT1_PNSt15iterator_traitsIS12_E10value_typeET2_T3_PNS13_IS18_E10value_typeET4_jRbjT5_S1E_jjP12ihipStream_tbEUljE_ZNSN_ISO_Lb1ESQ_SR_ST_SU_SY_EESZ_S10_S11_S12_S16_S17_S18_S1B_S1C_jS1D_jS1E_S1E_jjS1G_bEUljE0_EEESZ_S10_S11_S18_S1C_S1E_T6_T7_T9_mT8_S1G_bDpT10_ENKUlT_T0_E_clISt17integral_constantIbLb1EES1T_IbLb0EEEEDaS1P_S1Q_EUlS1P_E_NS1_11comp_targetILNS1_3genE4ELNS1_11target_archE910ELNS1_3gpuE8ELNS1_3repE0EEENS1_30default_config_static_selectorELNS0_4arch9wavefront6targetE0EEEvS12_,"axG",@progbits,_ZN7rocprim17ROCPRIM_400000_NS6detail17trampoline_kernelINS0_13select_configILj256ELj13ELNS0_17block_load_methodE3ELS4_3ELS4_3ELNS0_20block_scan_algorithmE0ELj4294967295EEENS1_25partition_config_selectorILNS1_17partition_subalgoE4EjNS0_10empty_typeEbEEZZNS1_14partition_implILS8_4ELb0ES6_15HIP_vector_typeIjLj2EENS0_17counting_iteratorIjlEEPS9_SG_NS0_5tupleIJPjSI_NS0_16reverse_iteratorISI_EEEEENSH_IJSG_SG_SG_EEES9_SI_JZNS1_25segmented_radix_sort_implINS0_14default_configELb1EPKhPhPKlPlN2at6native12_GLOBAL__N_18offset_tEEE10hipError_tPvRmT1_PNSt15iterator_traitsIS12_E10value_typeET2_T3_PNS13_IS18_E10value_typeET4_jRbjT5_S1E_jjP12ihipStream_tbEUljE_ZNSN_ISO_Lb1ESQ_SR_ST_SU_SY_EESZ_S10_S11_S12_S16_S17_S18_S1B_S1C_jS1D_jS1E_S1E_jjS1G_bEUljE0_EEESZ_S10_S11_S18_S1C_S1E_T6_T7_T9_mT8_S1G_bDpT10_ENKUlT_T0_E_clISt17integral_constantIbLb1EES1T_IbLb0EEEEDaS1P_S1Q_EUlS1P_E_NS1_11comp_targetILNS1_3genE4ELNS1_11target_archE910ELNS1_3gpuE8ELNS1_3repE0EEENS1_30default_config_static_selectorELNS0_4arch9wavefront6targetE0EEEvS12_,comdat
.Lfunc_end32:
	.size	_ZN7rocprim17ROCPRIM_400000_NS6detail17trampoline_kernelINS0_13select_configILj256ELj13ELNS0_17block_load_methodE3ELS4_3ELS4_3ELNS0_20block_scan_algorithmE0ELj4294967295EEENS1_25partition_config_selectorILNS1_17partition_subalgoE4EjNS0_10empty_typeEbEEZZNS1_14partition_implILS8_4ELb0ES6_15HIP_vector_typeIjLj2EENS0_17counting_iteratorIjlEEPS9_SG_NS0_5tupleIJPjSI_NS0_16reverse_iteratorISI_EEEEENSH_IJSG_SG_SG_EEES9_SI_JZNS1_25segmented_radix_sort_implINS0_14default_configELb1EPKhPhPKlPlN2at6native12_GLOBAL__N_18offset_tEEE10hipError_tPvRmT1_PNSt15iterator_traitsIS12_E10value_typeET2_T3_PNS13_IS18_E10value_typeET4_jRbjT5_S1E_jjP12ihipStream_tbEUljE_ZNSN_ISO_Lb1ESQ_SR_ST_SU_SY_EESZ_S10_S11_S12_S16_S17_S18_S1B_S1C_jS1D_jS1E_S1E_jjS1G_bEUljE0_EEESZ_S10_S11_S18_S1C_S1E_T6_T7_T9_mT8_S1G_bDpT10_ENKUlT_T0_E_clISt17integral_constantIbLb1EES1T_IbLb0EEEEDaS1P_S1Q_EUlS1P_E_NS1_11comp_targetILNS1_3genE4ELNS1_11target_archE910ELNS1_3gpuE8ELNS1_3repE0EEENS1_30default_config_static_selectorELNS0_4arch9wavefront6targetE0EEEvS12_, .Lfunc_end32-_ZN7rocprim17ROCPRIM_400000_NS6detail17trampoline_kernelINS0_13select_configILj256ELj13ELNS0_17block_load_methodE3ELS4_3ELS4_3ELNS0_20block_scan_algorithmE0ELj4294967295EEENS1_25partition_config_selectorILNS1_17partition_subalgoE4EjNS0_10empty_typeEbEEZZNS1_14partition_implILS8_4ELb0ES6_15HIP_vector_typeIjLj2EENS0_17counting_iteratorIjlEEPS9_SG_NS0_5tupleIJPjSI_NS0_16reverse_iteratorISI_EEEEENSH_IJSG_SG_SG_EEES9_SI_JZNS1_25segmented_radix_sort_implINS0_14default_configELb1EPKhPhPKlPlN2at6native12_GLOBAL__N_18offset_tEEE10hipError_tPvRmT1_PNSt15iterator_traitsIS12_E10value_typeET2_T3_PNS13_IS18_E10value_typeET4_jRbjT5_S1E_jjP12ihipStream_tbEUljE_ZNSN_ISO_Lb1ESQ_SR_ST_SU_SY_EESZ_S10_S11_S12_S16_S17_S18_S1B_S1C_jS1D_jS1E_S1E_jjS1G_bEUljE0_EEESZ_S10_S11_S18_S1C_S1E_T6_T7_T9_mT8_S1G_bDpT10_ENKUlT_T0_E_clISt17integral_constantIbLb1EES1T_IbLb0EEEEDaS1P_S1Q_EUlS1P_E_NS1_11comp_targetILNS1_3genE4ELNS1_11target_archE910ELNS1_3gpuE8ELNS1_3repE0EEENS1_30default_config_static_selectorELNS0_4arch9wavefront6targetE0EEEvS12_
                                        ; -- End function
	.section	.AMDGPU.csdata,"",@progbits
; Kernel info:
; codeLenInByte = 0
; NumSgprs: 0
; NumVgprs: 0
; ScratchSize: 0
; MemoryBound: 0
; FloatMode: 240
; IeeeMode: 1
; LDSByteSize: 0 bytes/workgroup (compile time only)
; SGPRBlocks: 0
; VGPRBlocks: 0
; NumSGPRsForWavesPerEU: 1
; NumVGPRsForWavesPerEU: 1
; Occupancy: 16
; WaveLimiterHint : 0
; COMPUTE_PGM_RSRC2:SCRATCH_EN: 0
; COMPUTE_PGM_RSRC2:USER_SGPR: 15
; COMPUTE_PGM_RSRC2:TRAP_HANDLER: 0
; COMPUTE_PGM_RSRC2:TGID_X_EN: 1
; COMPUTE_PGM_RSRC2:TGID_Y_EN: 0
; COMPUTE_PGM_RSRC2:TGID_Z_EN: 0
; COMPUTE_PGM_RSRC2:TIDIG_COMP_CNT: 0
	.section	.text._ZN7rocprim17ROCPRIM_400000_NS6detail17trampoline_kernelINS0_13select_configILj256ELj13ELNS0_17block_load_methodE3ELS4_3ELS4_3ELNS0_20block_scan_algorithmE0ELj4294967295EEENS1_25partition_config_selectorILNS1_17partition_subalgoE4EjNS0_10empty_typeEbEEZZNS1_14partition_implILS8_4ELb0ES6_15HIP_vector_typeIjLj2EENS0_17counting_iteratorIjlEEPS9_SG_NS0_5tupleIJPjSI_NS0_16reverse_iteratorISI_EEEEENSH_IJSG_SG_SG_EEES9_SI_JZNS1_25segmented_radix_sort_implINS0_14default_configELb1EPKhPhPKlPlN2at6native12_GLOBAL__N_18offset_tEEE10hipError_tPvRmT1_PNSt15iterator_traitsIS12_E10value_typeET2_T3_PNS13_IS18_E10value_typeET4_jRbjT5_S1E_jjP12ihipStream_tbEUljE_ZNSN_ISO_Lb1ESQ_SR_ST_SU_SY_EESZ_S10_S11_S12_S16_S17_S18_S1B_S1C_jS1D_jS1E_S1E_jjS1G_bEUljE0_EEESZ_S10_S11_S18_S1C_S1E_T6_T7_T9_mT8_S1G_bDpT10_ENKUlT_T0_E_clISt17integral_constantIbLb1EES1T_IbLb0EEEEDaS1P_S1Q_EUlS1P_E_NS1_11comp_targetILNS1_3genE3ELNS1_11target_archE908ELNS1_3gpuE7ELNS1_3repE0EEENS1_30default_config_static_selectorELNS0_4arch9wavefront6targetE0EEEvS12_,"axG",@progbits,_ZN7rocprim17ROCPRIM_400000_NS6detail17trampoline_kernelINS0_13select_configILj256ELj13ELNS0_17block_load_methodE3ELS4_3ELS4_3ELNS0_20block_scan_algorithmE0ELj4294967295EEENS1_25partition_config_selectorILNS1_17partition_subalgoE4EjNS0_10empty_typeEbEEZZNS1_14partition_implILS8_4ELb0ES6_15HIP_vector_typeIjLj2EENS0_17counting_iteratorIjlEEPS9_SG_NS0_5tupleIJPjSI_NS0_16reverse_iteratorISI_EEEEENSH_IJSG_SG_SG_EEES9_SI_JZNS1_25segmented_radix_sort_implINS0_14default_configELb1EPKhPhPKlPlN2at6native12_GLOBAL__N_18offset_tEEE10hipError_tPvRmT1_PNSt15iterator_traitsIS12_E10value_typeET2_T3_PNS13_IS18_E10value_typeET4_jRbjT5_S1E_jjP12ihipStream_tbEUljE_ZNSN_ISO_Lb1ESQ_SR_ST_SU_SY_EESZ_S10_S11_S12_S16_S17_S18_S1B_S1C_jS1D_jS1E_S1E_jjS1G_bEUljE0_EEESZ_S10_S11_S18_S1C_S1E_T6_T7_T9_mT8_S1G_bDpT10_ENKUlT_T0_E_clISt17integral_constantIbLb1EES1T_IbLb0EEEEDaS1P_S1Q_EUlS1P_E_NS1_11comp_targetILNS1_3genE3ELNS1_11target_archE908ELNS1_3gpuE7ELNS1_3repE0EEENS1_30default_config_static_selectorELNS0_4arch9wavefront6targetE0EEEvS12_,comdat
	.globl	_ZN7rocprim17ROCPRIM_400000_NS6detail17trampoline_kernelINS0_13select_configILj256ELj13ELNS0_17block_load_methodE3ELS4_3ELS4_3ELNS0_20block_scan_algorithmE0ELj4294967295EEENS1_25partition_config_selectorILNS1_17partition_subalgoE4EjNS0_10empty_typeEbEEZZNS1_14partition_implILS8_4ELb0ES6_15HIP_vector_typeIjLj2EENS0_17counting_iteratorIjlEEPS9_SG_NS0_5tupleIJPjSI_NS0_16reverse_iteratorISI_EEEEENSH_IJSG_SG_SG_EEES9_SI_JZNS1_25segmented_radix_sort_implINS0_14default_configELb1EPKhPhPKlPlN2at6native12_GLOBAL__N_18offset_tEEE10hipError_tPvRmT1_PNSt15iterator_traitsIS12_E10value_typeET2_T3_PNS13_IS18_E10value_typeET4_jRbjT5_S1E_jjP12ihipStream_tbEUljE_ZNSN_ISO_Lb1ESQ_SR_ST_SU_SY_EESZ_S10_S11_S12_S16_S17_S18_S1B_S1C_jS1D_jS1E_S1E_jjS1G_bEUljE0_EEESZ_S10_S11_S18_S1C_S1E_T6_T7_T9_mT8_S1G_bDpT10_ENKUlT_T0_E_clISt17integral_constantIbLb1EES1T_IbLb0EEEEDaS1P_S1Q_EUlS1P_E_NS1_11comp_targetILNS1_3genE3ELNS1_11target_archE908ELNS1_3gpuE7ELNS1_3repE0EEENS1_30default_config_static_selectorELNS0_4arch9wavefront6targetE0EEEvS12_ ; -- Begin function _ZN7rocprim17ROCPRIM_400000_NS6detail17trampoline_kernelINS0_13select_configILj256ELj13ELNS0_17block_load_methodE3ELS4_3ELS4_3ELNS0_20block_scan_algorithmE0ELj4294967295EEENS1_25partition_config_selectorILNS1_17partition_subalgoE4EjNS0_10empty_typeEbEEZZNS1_14partition_implILS8_4ELb0ES6_15HIP_vector_typeIjLj2EENS0_17counting_iteratorIjlEEPS9_SG_NS0_5tupleIJPjSI_NS0_16reverse_iteratorISI_EEEEENSH_IJSG_SG_SG_EEES9_SI_JZNS1_25segmented_radix_sort_implINS0_14default_configELb1EPKhPhPKlPlN2at6native12_GLOBAL__N_18offset_tEEE10hipError_tPvRmT1_PNSt15iterator_traitsIS12_E10value_typeET2_T3_PNS13_IS18_E10value_typeET4_jRbjT5_S1E_jjP12ihipStream_tbEUljE_ZNSN_ISO_Lb1ESQ_SR_ST_SU_SY_EESZ_S10_S11_S12_S16_S17_S18_S1B_S1C_jS1D_jS1E_S1E_jjS1G_bEUljE0_EEESZ_S10_S11_S18_S1C_S1E_T6_T7_T9_mT8_S1G_bDpT10_ENKUlT_T0_E_clISt17integral_constantIbLb1EES1T_IbLb0EEEEDaS1P_S1Q_EUlS1P_E_NS1_11comp_targetILNS1_3genE3ELNS1_11target_archE908ELNS1_3gpuE7ELNS1_3repE0EEENS1_30default_config_static_selectorELNS0_4arch9wavefront6targetE0EEEvS12_
	.p2align	8
	.type	_ZN7rocprim17ROCPRIM_400000_NS6detail17trampoline_kernelINS0_13select_configILj256ELj13ELNS0_17block_load_methodE3ELS4_3ELS4_3ELNS0_20block_scan_algorithmE0ELj4294967295EEENS1_25partition_config_selectorILNS1_17partition_subalgoE4EjNS0_10empty_typeEbEEZZNS1_14partition_implILS8_4ELb0ES6_15HIP_vector_typeIjLj2EENS0_17counting_iteratorIjlEEPS9_SG_NS0_5tupleIJPjSI_NS0_16reverse_iteratorISI_EEEEENSH_IJSG_SG_SG_EEES9_SI_JZNS1_25segmented_radix_sort_implINS0_14default_configELb1EPKhPhPKlPlN2at6native12_GLOBAL__N_18offset_tEEE10hipError_tPvRmT1_PNSt15iterator_traitsIS12_E10value_typeET2_T3_PNS13_IS18_E10value_typeET4_jRbjT5_S1E_jjP12ihipStream_tbEUljE_ZNSN_ISO_Lb1ESQ_SR_ST_SU_SY_EESZ_S10_S11_S12_S16_S17_S18_S1B_S1C_jS1D_jS1E_S1E_jjS1G_bEUljE0_EEESZ_S10_S11_S18_S1C_S1E_T6_T7_T9_mT8_S1G_bDpT10_ENKUlT_T0_E_clISt17integral_constantIbLb1EES1T_IbLb0EEEEDaS1P_S1Q_EUlS1P_E_NS1_11comp_targetILNS1_3genE3ELNS1_11target_archE908ELNS1_3gpuE7ELNS1_3repE0EEENS1_30default_config_static_selectorELNS0_4arch9wavefront6targetE0EEEvS12_,@function
_ZN7rocprim17ROCPRIM_400000_NS6detail17trampoline_kernelINS0_13select_configILj256ELj13ELNS0_17block_load_methodE3ELS4_3ELS4_3ELNS0_20block_scan_algorithmE0ELj4294967295EEENS1_25partition_config_selectorILNS1_17partition_subalgoE4EjNS0_10empty_typeEbEEZZNS1_14partition_implILS8_4ELb0ES6_15HIP_vector_typeIjLj2EENS0_17counting_iteratorIjlEEPS9_SG_NS0_5tupleIJPjSI_NS0_16reverse_iteratorISI_EEEEENSH_IJSG_SG_SG_EEES9_SI_JZNS1_25segmented_radix_sort_implINS0_14default_configELb1EPKhPhPKlPlN2at6native12_GLOBAL__N_18offset_tEEE10hipError_tPvRmT1_PNSt15iterator_traitsIS12_E10value_typeET2_T3_PNS13_IS18_E10value_typeET4_jRbjT5_S1E_jjP12ihipStream_tbEUljE_ZNSN_ISO_Lb1ESQ_SR_ST_SU_SY_EESZ_S10_S11_S12_S16_S17_S18_S1B_S1C_jS1D_jS1E_S1E_jjS1G_bEUljE0_EEESZ_S10_S11_S18_S1C_S1E_T6_T7_T9_mT8_S1G_bDpT10_ENKUlT_T0_E_clISt17integral_constantIbLb1EES1T_IbLb0EEEEDaS1P_S1Q_EUlS1P_E_NS1_11comp_targetILNS1_3genE3ELNS1_11target_archE908ELNS1_3gpuE7ELNS1_3repE0EEENS1_30default_config_static_selectorELNS0_4arch9wavefront6targetE0EEEvS12_: ; @_ZN7rocprim17ROCPRIM_400000_NS6detail17trampoline_kernelINS0_13select_configILj256ELj13ELNS0_17block_load_methodE3ELS4_3ELS4_3ELNS0_20block_scan_algorithmE0ELj4294967295EEENS1_25partition_config_selectorILNS1_17partition_subalgoE4EjNS0_10empty_typeEbEEZZNS1_14partition_implILS8_4ELb0ES6_15HIP_vector_typeIjLj2EENS0_17counting_iteratorIjlEEPS9_SG_NS0_5tupleIJPjSI_NS0_16reverse_iteratorISI_EEEEENSH_IJSG_SG_SG_EEES9_SI_JZNS1_25segmented_radix_sort_implINS0_14default_configELb1EPKhPhPKlPlN2at6native12_GLOBAL__N_18offset_tEEE10hipError_tPvRmT1_PNSt15iterator_traitsIS12_E10value_typeET2_T3_PNS13_IS18_E10value_typeET4_jRbjT5_S1E_jjP12ihipStream_tbEUljE_ZNSN_ISO_Lb1ESQ_SR_ST_SU_SY_EESZ_S10_S11_S12_S16_S17_S18_S1B_S1C_jS1D_jS1E_S1E_jjS1G_bEUljE0_EEESZ_S10_S11_S18_S1C_S1E_T6_T7_T9_mT8_S1G_bDpT10_ENKUlT_T0_E_clISt17integral_constantIbLb1EES1T_IbLb0EEEEDaS1P_S1Q_EUlS1P_E_NS1_11comp_targetILNS1_3genE3ELNS1_11target_archE908ELNS1_3gpuE7ELNS1_3repE0EEENS1_30default_config_static_selectorELNS0_4arch9wavefront6targetE0EEEvS12_
; %bb.0:
	.section	.rodata,"a",@progbits
	.p2align	6, 0x0
	.amdhsa_kernel _ZN7rocprim17ROCPRIM_400000_NS6detail17trampoline_kernelINS0_13select_configILj256ELj13ELNS0_17block_load_methodE3ELS4_3ELS4_3ELNS0_20block_scan_algorithmE0ELj4294967295EEENS1_25partition_config_selectorILNS1_17partition_subalgoE4EjNS0_10empty_typeEbEEZZNS1_14partition_implILS8_4ELb0ES6_15HIP_vector_typeIjLj2EENS0_17counting_iteratorIjlEEPS9_SG_NS0_5tupleIJPjSI_NS0_16reverse_iteratorISI_EEEEENSH_IJSG_SG_SG_EEES9_SI_JZNS1_25segmented_radix_sort_implINS0_14default_configELb1EPKhPhPKlPlN2at6native12_GLOBAL__N_18offset_tEEE10hipError_tPvRmT1_PNSt15iterator_traitsIS12_E10value_typeET2_T3_PNS13_IS18_E10value_typeET4_jRbjT5_S1E_jjP12ihipStream_tbEUljE_ZNSN_ISO_Lb1ESQ_SR_ST_SU_SY_EESZ_S10_S11_S12_S16_S17_S18_S1B_S1C_jS1D_jS1E_S1E_jjS1G_bEUljE0_EEESZ_S10_S11_S18_S1C_S1E_T6_T7_T9_mT8_S1G_bDpT10_ENKUlT_T0_E_clISt17integral_constantIbLb1EES1T_IbLb0EEEEDaS1P_S1Q_EUlS1P_E_NS1_11comp_targetILNS1_3genE3ELNS1_11target_archE908ELNS1_3gpuE7ELNS1_3repE0EEENS1_30default_config_static_selectorELNS0_4arch9wavefront6targetE0EEEvS12_
		.amdhsa_group_segment_fixed_size 0
		.amdhsa_private_segment_fixed_size 0
		.amdhsa_kernarg_size 176
		.amdhsa_user_sgpr_count 15
		.amdhsa_user_sgpr_dispatch_ptr 0
		.amdhsa_user_sgpr_queue_ptr 0
		.amdhsa_user_sgpr_kernarg_segment_ptr 1
		.amdhsa_user_sgpr_dispatch_id 0
		.amdhsa_user_sgpr_private_segment_size 0
		.amdhsa_wavefront_size32 1
		.amdhsa_uses_dynamic_stack 0
		.amdhsa_enable_private_segment 0
		.amdhsa_system_sgpr_workgroup_id_x 1
		.amdhsa_system_sgpr_workgroup_id_y 0
		.amdhsa_system_sgpr_workgroup_id_z 0
		.amdhsa_system_sgpr_workgroup_info 0
		.amdhsa_system_vgpr_workitem_id 0
		.amdhsa_next_free_vgpr 1
		.amdhsa_next_free_sgpr 1
		.amdhsa_reserve_vcc 0
		.amdhsa_float_round_mode_32 0
		.amdhsa_float_round_mode_16_64 0
		.amdhsa_float_denorm_mode_32 3
		.amdhsa_float_denorm_mode_16_64 3
		.amdhsa_dx10_clamp 1
		.amdhsa_ieee_mode 1
		.amdhsa_fp16_overflow 0
		.amdhsa_workgroup_processor_mode 1
		.amdhsa_memory_ordered 1
		.amdhsa_forward_progress 0
		.amdhsa_shared_vgpr_count 0
		.amdhsa_exception_fp_ieee_invalid_op 0
		.amdhsa_exception_fp_denorm_src 0
		.amdhsa_exception_fp_ieee_div_zero 0
		.amdhsa_exception_fp_ieee_overflow 0
		.amdhsa_exception_fp_ieee_underflow 0
		.amdhsa_exception_fp_ieee_inexact 0
		.amdhsa_exception_int_div_zero 0
	.end_amdhsa_kernel
	.section	.text._ZN7rocprim17ROCPRIM_400000_NS6detail17trampoline_kernelINS0_13select_configILj256ELj13ELNS0_17block_load_methodE3ELS4_3ELS4_3ELNS0_20block_scan_algorithmE0ELj4294967295EEENS1_25partition_config_selectorILNS1_17partition_subalgoE4EjNS0_10empty_typeEbEEZZNS1_14partition_implILS8_4ELb0ES6_15HIP_vector_typeIjLj2EENS0_17counting_iteratorIjlEEPS9_SG_NS0_5tupleIJPjSI_NS0_16reverse_iteratorISI_EEEEENSH_IJSG_SG_SG_EEES9_SI_JZNS1_25segmented_radix_sort_implINS0_14default_configELb1EPKhPhPKlPlN2at6native12_GLOBAL__N_18offset_tEEE10hipError_tPvRmT1_PNSt15iterator_traitsIS12_E10value_typeET2_T3_PNS13_IS18_E10value_typeET4_jRbjT5_S1E_jjP12ihipStream_tbEUljE_ZNSN_ISO_Lb1ESQ_SR_ST_SU_SY_EESZ_S10_S11_S12_S16_S17_S18_S1B_S1C_jS1D_jS1E_S1E_jjS1G_bEUljE0_EEESZ_S10_S11_S18_S1C_S1E_T6_T7_T9_mT8_S1G_bDpT10_ENKUlT_T0_E_clISt17integral_constantIbLb1EES1T_IbLb0EEEEDaS1P_S1Q_EUlS1P_E_NS1_11comp_targetILNS1_3genE3ELNS1_11target_archE908ELNS1_3gpuE7ELNS1_3repE0EEENS1_30default_config_static_selectorELNS0_4arch9wavefront6targetE0EEEvS12_,"axG",@progbits,_ZN7rocprim17ROCPRIM_400000_NS6detail17trampoline_kernelINS0_13select_configILj256ELj13ELNS0_17block_load_methodE3ELS4_3ELS4_3ELNS0_20block_scan_algorithmE0ELj4294967295EEENS1_25partition_config_selectorILNS1_17partition_subalgoE4EjNS0_10empty_typeEbEEZZNS1_14partition_implILS8_4ELb0ES6_15HIP_vector_typeIjLj2EENS0_17counting_iteratorIjlEEPS9_SG_NS0_5tupleIJPjSI_NS0_16reverse_iteratorISI_EEEEENSH_IJSG_SG_SG_EEES9_SI_JZNS1_25segmented_radix_sort_implINS0_14default_configELb1EPKhPhPKlPlN2at6native12_GLOBAL__N_18offset_tEEE10hipError_tPvRmT1_PNSt15iterator_traitsIS12_E10value_typeET2_T3_PNS13_IS18_E10value_typeET4_jRbjT5_S1E_jjP12ihipStream_tbEUljE_ZNSN_ISO_Lb1ESQ_SR_ST_SU_SY_EESZ_S10_S11_S12_S16_S17_S18_S1B_S1C_jS1D_jS1E_S1E_jjS1G_bEUljE0_EEESZ_S10_S11_S18_S1C_S1E_T6_T7_T9_mT8_S1G_bDpT10_ENKUlT_T0_E_clISt17integral_constantIbLb1EES1T_IbLb0EEEEDaS1P_S1Q_EUlS1P_E_NS1_11comp_targetILNS1_3genE3ELNS1_11target_archE908ELNS1_3gpuE7ELNS1_3repE0EEENS1_30default_config_static_selectorELNS0_4arch9wavefront6targetE0EEEvS12_,comdat
.Lfunc_end33:
	.size	_ZN7rocprim17ROCPRIM_400000_NS6detail17trampoline_kernelINS0_13select_configILj256ELj13ELNS0_17block_load_methodE3ELS4_3ELS4_3ELNS0_20block_scan_algorithmE0ELj4294967295EEENS1_25partition_config_selectorILNS1_17partition_subalgoE4EjNS0_10empty_typeEbEEZZNS1_14partition_implILS8_4ELb0ES6_15HIP_vector_typeIjLj2EENS0_17counting_iteratorIjlEEPS9_SG_NS0_5tupleIJPjSI_NS0_16reverse_iteratorISI_EEEEENSH_IJSG_SG_SG_EEES9_SI_JZNS1_25segmented_radix_sort_implINS0_14default_configELb1EPKhPhPKlPlN2at6native12_GLOBAL__N_18offset_tEEE10hipError_tPvRmT1_PNSt15iterator_traitsIS12_E10value_typeET2_T3_PNS13_IS18_E10value_typeET4_jRbjT5_S1E_jjP12ihipStream_tbEUljE_ZNSN_ISO_Lb1ESQ_SR_ST_SU_SY_EESZ_S10_S11_S12_S16_S17_S18_S1B_S1C_jS1D_jS1E_S1E_jjS1G_bEUljE0_EEESZ_S10_S11_S18_S1C_S1E_T6_T7_T9_mT8_S1G_bDpT10_ENKUlT_T0_E_clISt17integral_constantIbLb1EES1T_IbLb0EEEEDaS1P_S1Q_EUlS1P_E_NS1_11comp_targetILNS1_3genE3ELNS1_11target_archE908ELNS1_3gpuE7ELNS1_3repE0EEENS1_30default_config_static_selectorELNS0_4arch9wavefront6targetE0EEEvS12_, .Lfunc_end33-_ZN7rocprim17ROCPRIM_400000_NS6detail17trampoline_kernelINS0_13select_configILj256ELj13ELNS0_17block_load_methodE3ELS4_3ELS4_3ELNS0_20block_scan_algorithmE0ELj4294967295EEENS1_25partition_config_selectorILNS1_17partition_subalgoE4EjNS0_10empty_typeEbEEZZNS1_14partition_implILS8_4ELb0ES6_15HIP_vector_typeIjLj2EENS0_17counting_iteratorIjlEEPS9_SG_NS0_5tupleIJPjSI_NS0_16reverse_iteratorISI_EEEEENSH_IJSG_SG_SG_EEES9_SI_JZNS1_25segmented_radix_sort_implINS0_14default_configELb1EPKhPhPKlPlN2at6native12_GLOBAL__N_18offset_tEEE10hipError_tPvRmT1_PNSt15iterator_traitsIS12_E10value_typeET2_T3_PNS13_IS18_E10value_typeET4_jRbjT5_S1E_jjP12ihipStream_tbEUljE_ZNSN_ISO_Lb1ESQ_SR_ST_SU_SY_EESZ_S10_S11_S12_S16_S17_S18_S1B_S1C_jS1D_jS1E_S1E_jjS1G_bEUljE0_EEESZ_S10_S11_S18_S1C_S1E_T6_T7_T9_mT8_S1G_bDpT10_ENKUlT_T0_E_clISt17integral_constantIbLb1EES1T_IbLb0EEEEDaS1P_S1Q_EUlS1P_E_NS1_11comp_targetILNS1_3genE3ELNS1_11target_archE908ELNS1_3gpuE7ELNS1_3repE0EEENS1_30default_config_static_selectorELNS0_4arch9wavefront6targetE0EEEvS12_
                                        ; -- End function
	.section	.AMDGPU.csdata,"",@progbits
; Kernel info:
; codeLenInByte = 0
; NumSgprs: 0
; NumVgprs: 0
; ScratchSize: 0
; MemoryBound: 0
; FloatMode: 240
; IeeeMode: 1
; LDSByteSize: 0 bytes/workgroup (compile time only)
; SGPRBlocks: 0
; VGPRBlocks: 0
; NumSGPRsForWavesPerEU: 1
; NumVGPRsForWavesPerEU: 1
; Occupancy: 16
; WaveLimiterHint : 0
; COMPUTE_PGM_RSRC2:SCRATCH_EN: 0
; COMPUTE_PGM_RSRC2:USER_SGPR: 15
; COMPUTE_PGM_RSRC2:TRAP_HANDLER: 0
; COMPUTE_PGM_RSRC2:TGID_X_EN: 1
; COMPUTE_PGM_RSRC2:TGID_Y_EN: 0
; COMPUTE_PGM_RSRC2:TGID_Z_EN: 0
; COMPUTE_PGM_RSRC2:TIDIG_COMP_CNT: 0
	.section	.text._ZN7rocprim17ROCPRIM_400000_NS6detail17trampoline_kernelINS0_13select_configILj256ELj13ELNS0_17block_load_methodE3ELS4_3ELS4_3ELNS0_20block_scan_algorithmE0ELj4294967295EEENS1_25partition_config_selectorILNS1_17partition_subalgoE4EjNS0_10empty_typeEbEEZZNS1_14partition_implILS8_4ELb0ES6_15HIP_vector_typeIjLj2EENS0_17counting_iteratorIjlEEPS9_SG_NS0_5tupleIJPjSI_NS0_16reverse_iteratorISI_EEEEENSH_IJSG_SG_SG_EEES9_SI_JZNS1_25segmented_radix_sort_implINS0_14default_configELb1EPKhPhPKlPlN2at6native12_GLOBAL__N_18offset_tEEE10hipError_tPvRmT1_PNSt15iterator_traitsIS12_E10value_typeET2_T3_PNS13_IS18_E10value_typeET4_jRbjT5_S1E_jjP12ihipStream_tbEUljE_ZNSN_ISO_Lb1ESQ_SR_ST_SU_SY_EESZ_S10_S11_S12_S16_S17_S18_S1B_S1C_jS1D_jS1E_S1E_jjS1G_bEUljE0_EEESZ_S10_S11_S18_S1C_S1E_T6_T7_T9_mT8_S1G_bDpT10_ENKUlT_T0_E_clISt17integral_constantIbLb1EES1T_IbLb0EEEEDaS1P_S1Q_EUlS1P_E_NS1_11comp_targetILNS1_3genE2ELNS1_11target_archE906ELNS1_3gpuE6ELNS1_3repE0EEENS1_30default_config_static_selectorELNS0_4arch9wavefront6targetE0EEEvS12_,"axG",@progbits,_ZN7rocprim17ROCPRIM_400000_NS6detail17trampoline_kernelINS0_13select_configILj256ELj13ELNS0_17block_load_methodE3ELS4_3ELS4_3ELNS0_20block_scan_algorithmE0ELj4294967295EEENS1_25partition_config_selectorILNS1_17partition_subalgoE4EjNS0_10empty_typeEbEEZZNS1_14partition_implILS8_4ELb0ES6_15HIP_vector_typeIjLj2EENS0_17counting_iteratorIjlEEPS9_SG_NS0_5tupleIJPjSI_NS0_16reverse_iteratorISI_EEEEENSH_IJSG_SG_SG_EEES9_SI_JZNS1_25segmented_radix_sort_implINS0_14default_configELb1EPKhPhPKlPlN2at6native12_GLOBAL__N_18offset_tEEE10hipError_tPvRmT1_PNSt15iterator_traitsIS12_E10value_typeET2_T3_PNS13_IS18_E10value_typeET4_jRbjT5_S1E_jjP12ihipStream_tbEUljE_ZNSN_ISO_Lb1ESQ_SR_ST_SU_SY_EESZ_S10_S11_S12_S16_S17_S18_S1B_S1C_jS1D_jS1E_S1E_jjS1G_bEUljE0_EEESZ_S10_S11_S18_S1C_S1E_T6_T7_T9_mT8_S1G_bDpT10_ENKUlT_T0_E_clISt17integral_constantIbLb1EES1T_IbLb0EEEEDaS1P_S1Q_EUlS1P_E_NS1_11comp_targetILNS1_3genE2ELNS1_11target_archE906ELNS1_3gpuE6ELNS1_3repE0EEENS1_30default_config_static_selectorELNS0_4arch9wavefront6targetE0EEEvS12_,comdat
	.globl	_ZN7rocprim17ROCPRIM_400000_NS6detail17trampoline_kernelINS0_13select_configILj256ELj13ELNS0_17block_load_methodE3ELS4_3ELS4_3ELNS0_20block_scan_algorithmE0ELj4294967295EEENS1_25partition_config_selectorILNS1_17partition_subalgoE4EjNS0_10empty_typeEbEEZZNS1_14partition_implILS8_4ELb0ES6_15HIP_vector_typeIjLj2EENS0_17counting_iteratorIjlEEPS9_SG_NS0_5tupleIJPjSI_NS0_16reverse_iteratorISI_EEEEENSH_IJSG_SG_SG_EEES9_SI_JZNS1_25segmented_radix_sort_implINS0_14default_configELb1EPKhPhPKlPlN2at6native12_GLOBAL__N_18offset_tEEE10hipError_tPvRmT1_PNSt15iterator_traitsIS12_E10value_typeET2_T3_PNS13_IS18_E10value_typeET4_jRbjT5_S1E_jjP12ihipStream_tbEUljE_ZNSN_ISO_Lb1ESQ_SR_ST_SU_SY_EESZ_S10_S11_S12_S16_S17_S18_S1B_S1C_jS1D_jS1E_S1E_jjS1G_bEUljE0_EEESZ_S10_S11_S18_S1C_S1E_T6_T7_T9_mT8_S1G_bDpT10_ENKUlT_T0_E_clISt17integral_constantIbLb1EES1T_IbLb0EEEEDaS1P_S1Q_EUlS1P_E_NS1_11comp_targetILNS1_3genE2ELNS1_11target_archE906ELNS1_3gpuE6ELNS1_3repE0EEENS1_30default_config_static_selectorELNS0_4arch9wavefront6targetE0EEEvS12_ ; -- Begin function _ZN7rocprim17ROCPRIM_400000_NS6detail17trampoline_kernelINS0_13select_configILj256ELj13ELNS0_17block_load_methodE3ELS4_3ELS4_3ELNS0_20block_scan_algorithmE0ELj4294967295EEENS1_25partition_config_selectorILNS1_17partition_subalgoE4EjNS0_10empty_typeEbEEZZNS1_14partition_implILS8_4ELb0ES6_15HIP_vector_typeIjLj2EENS0_17counting_iteratorIjlEEPS9_SG_NS0_5tupleIJPjSI_NS0_16reverse_iteratorISI_EEEEENSH_IJSG_SG_SG_EEES9_SI_JZNS1_25segmented_radix_sort_implINS0_14default_configELb1EPKhPhPKlPlN2at6native12_GLOBAL__N_18offset_tEEE10hipError_tPvRmT1_PNSt15iterator_traitsIS12_E10value_typeET2_T3_PNS13_IS18_E10value_typeET4_jRbjT5_S1E_jjP12ihipStream_tbEUljE_ZNSN_ISO_Lb1ESQ_SR_ST_SU_SY_EESZ_S10_S11_S12_S16_S17_S18_S1B_S1C_jS1D_jS1E_S1E_jjS1G_bEUljE0_EEESZ_S10_S11_S18_S1C_S1E_T6_T7_T9_mT8_S1G_bDpT10_ENKUlT_T0_E_clISt17integral_constantIbLb1EES1T_IbLb0EEEEDaS1P_S1Q_EUlS1P_E_NS1_11comp_targetILNS1_3genE2ELNS1_11target_archE906ELNS1_3gpuE6ELNS1_3repE0EEENS1_30default_config_static_selectorELNS0_4arch9wavefront6targetE0EEEvS12_
	.p2align	8
	.type	_ZN7rocprim17ROCPRIM_400000_NS6detail17trampoline_kernelINS0_13select_configILj256ELj13ELNS0_17block_load_methodE3ELS4_3ELS4_3ELNS0_20block_scan_algorithmE0ELj4294967295EEENS1_25partition_config_selectorILNS1_17partition_subalgoE4EjNS0_10empty_typeEbEEZZNS1_14partition_implILS8_4ELb0ES6_15HIP_vector_typeIjLj2EENS0_17counting_iteratorIjlEEPS9_SG_NS0_5tupleIJPjSI_NS0_16reverse_iteratorISI_EEEEENSH_IJSG_SG_SG_EEES9_SI_JZNS1_25segmented_radix_sort_implINS0_14default_configELb1EPKhPhPKlPlN2at6native12_GLOBAL__N_18offset_tEEE10hipError_tPvRmT1_PNSt15iterator_traitsIS12_E10value_typeET2_T3_PNS13_IS18_E10value_typeET4_jRbjT5_S1E_jjP12ihipStream_tbEUljE_ZNSN_ISO_Lb1ESQ_SR_ST_SU_SY_EESZ_S10_S11_S12_S16_S17_S18_S1B_S1C_jS1D_jS1E_S1E_jjS1G_bEUljE0_EEESZ_S10_S11_S18_S1C_S1E_T6_T7_T9_mT8_S1G_bDpT10_ENKUlT_T0_E_clISt17integral_constantIbLb1EES1T_IbLb0EEEEDaS1P_S1Q_EUlS1P_E_NS1_11comp_targetILNS1_3genE2ELNS1_11target_archE906ELNS1_3gpuE6ELNS1_3repE0EEENS1_30default_config_static_selectorELNS0_4arch9wavefront6targetE0EEEvS12_,@function
_ZN7rocprim17ROCPRIM_400000_NS6detail17trampoline_kernelINS0_13select_configILj256ELj13ELNS0_17block_load_methodE3ELS4_3ELS4_3ELNS0_20block_scan_algorithmE0ELj4294967295EEENS1_25partition_config_selectorILNS1_17partition_subalgoE4EjNS0_10empty_typeEbEEZZNS1_14partition_implILS8_4ELb0ES6_15HIP_vector_typeIjLj2EENS0_17counting_iteratorIjlEEPS9_SG_NS0_5tupleIJPjSI_NS0_16reverse_iteratorISI_EEEEENSH_IJSG_SG_SG_EEES9_SI_JZNS1_25segmented_radix_sort_implINS0_14default_configELb1EPKhPhPKlPlN2at6native12_GLOBAL__N_18offset_tEEE10hipError_tPvRmT1_PNSt15iterator_traitsIS12_E10value_typeET2_T3_PNS13_IS18_E10value_typeET4_jRbjT5_S1E_jjP12ihipStream_tbEUljE_ZNSN_ISO_Lb1ESQ_SR_ST_SU_SY_EESZ_S10_S11_S12_S16_S17_S18_S1B_S1C_jS1D_jS1E_S1E_jjS1G_bEUljE0_EEESZ_S10_S11_S18_S1C_S1E_T6_T7_T9_mT8_S1G_bDpT10_ENKUlT_T0_E_clISt17integral_constantIbLb1EES1T_IbLb0EEEEDaS1P_S1Q_EUlS1P_E_NS1_11comp_targetILNS1_3genE2ELNS1_11target_archE906ELNS1_3gpuE6ELNS1_3repE0EEENS1_30default_config_static_selectorELNS0_4arch9wavefront6targetE0EEEvS12_: ; @_ZN7rocprim17ROCPRIM_400000_NS6detail17trampoline_kernelINS0_13select_configILj256ELj13ELNS0_17block_load_methodE3ELS4_3ELS4_3ELNS0_20block_scan_algorithmE0ELj4294967295EEENS1_25partition_config_selectorILNS1_17partition_subalgoE4EjNS0_10empty_typeEbEEZZNS1_14partition_implILS8_4ELb0ES6_15HIP_vector_typeIjLj2EENS0_17counting_iteratorIjlEEPS9_SG_NS0_5tupleIJPjSI_NS0_16reverse_iteratorISI_EEEEENSH_IJSG_SG_SG_EEES9_SI_JZNS1_25segmented_radix_sort_implINS0_14default_configELb1EPKhPhPKlPlN2at6native12_GLOBAL__N_18offset_tEEE10hipError_tPvRmT1_PNSt15iterator_traitsIS12_E10value_typeET2_T3_PNS13_IS18_E10value_typeET4_jRbjT5_S1E_jjP12ihipStream_tbEUljE_ZNSN_ISO_Lb1ESQ_SR_ST_SU_SY_EESZ_S10_S11_S12_S16_S17_S18_S1B_S1C_jS1D_jS1E_S1E_jjS1G_bEUljE0_EEESZ_S10_S11_S18_S1C_S1E_T6_T7_T9_mT8_S1G_bDpT10_ENKUlT_T0_E_clISt17integral_constantIbLb1EES1T_IbLb0EEEEDaS1P_S1Q_EUlS1P_E_NS1_11comp_targetILNS1_3genE2ELNS1_11target_archE906ELNS1_3gpuE6ELNS1_3repE0EEENS1_30default_config_static_selectorELNS0_4arch9wavefront6targetE0EEEvS12_
; %bb.0:
	.section	.rodata,"a",@progbits
	.p2align	6, 0x0
	.amdhsa_kernel _ZN7rocprim17ROCPRIM_400000_NS6detail17trampoline_kernelINS0_13select_configILj256ELj13ELNS0_17block_load_methodE3ELS4_3ELS4_3ELNS0_20block_scan_algorithmE0ELj4294967295EEENS1_25partition_config_selectorILNS1_17partition_subalgoE4EjNS0_10empty_typeEbEEZZNS1_14partition_implILS8_4ELb0ES6_15HIP_vector_typeIjLj2EENS0_17counting_iteratorIjlEEPS9_SG_NS0_5tupleIJPjSI_NS0_16reverse_iteratorISI_EEEEENSH_IJSG_SG_SG_EEES9_SI_JZNS1_25segmented_radix_sort_implINS0_14default_configELb1EPKhPhPKlPlN2at6native12_GLOBAL__N_18offset_tEEE10hipError_tPvRmT1_PNSt15iterator_traitsIS12_E10value_typeET2_T3_PNS13_IS18_E10value_typeET4_jRbjT5_S1E_jjP12ihipStream_tbEUljE_ZNSN_ISO_Lb1ESQ_SR_ST_SU_SY_EESZ_S10_S11_S12_S16_S17_S18_S1B_S1C_jS1D_jS1E_S1E_jjS1G_bEUljE0_EEESZ_S10_S11_S18_S1C_S1E_T6_T7_T9_mT8_S1G_bDpT10_ENKUlT_T0_E_clISt17integral_constantIbLb1EES1T_IbLb0EEEEDaS1P_S1Q_EUlS1P_E_NS1_11comp_targetILNS1_3genE2ELNS1_11target_archE906ELNS1_3gpuE6ELNS1_3repE0EEENS1_30default_config_static_selectorELNS0_4arch9wavefront6targetE0EEEvS12_
		.amdhsa_group_segment_fixed_size 0
		.amdhsa_private_segment_fixed_size 0
		.amdhsa_kernarg_size 176
		.amdhsa_user_sgpr_count 15
		.amdhsa_user_sgpr_dispatch_ptr 0
		.amdhsa_user_sgpr_queue_ptr 0
		.amdhsa_user_sgpr_kernarg_segment_ptr 1
		.amdhsa_user_sgpr_dispatch_id 0
		.amdhsa_user_sgpr_private_segment_size 0
		.amdhsa_wavefront_size32 1
		.amdhsa_uses_dynamic_stack 0
		.amdhsa_enable_private_segment 0
		.amdhsa_system_sgpr_workgroup_id_x 1
		.amdhsa_system_sgpr_workgroup_id_y 0
		.amdhsa_system_sgpr_workgroup_id_z 0
		.amdhsa_system_sgpr_workgroup_info 0
		.amdhsa_system_vgpr_workitem_id 0
		.amdhsa_next_free_vgpr 1
		.amdhsa_next_free_sgpr 1
		.amdhsa_reserve_vcc 0
		.amdhsa_float_round_mode_32 0
		.amdhsa_float_round_mode_16_64 0
		.amdhsa_float_denorm_mode_32 3
		.amdhsa_float_denorm_mode_16_64 3
		.amdhsa_dx10_clamp 1
		.amdhsa_ieee_mode 1
		.amdhsa_fp16_overflow 0
		.amdhsa_workgroup_processor_mode 1
		.amdhsa_memory_ordered 1
		.amdhsa_forward_progress 0
		.amdhsa_shared_vgpr_count 0
		.amdhsa_exception_fp_ieee_invalid_op 0
		.amdhsa_exception_fp_denorm_src 0
		.amdhsa_exception_fp_ieee_div_zero 0
		.amdhsa_exception_fp_ieee_overflow 0
		.amdhsa_exception_fp_ieee_underflow 0
		.amdhsa_exception_fp_ieee_inexact 0
		.amdhsa_exception_int_div_zero 0
	.end_amdhsa_kernel
	.section	.text._ZN7rocprim17ROCPRIM_400000_NS6detail17trampoline_kernelINS0_13select_configILj256ELj13ELNS0_17block_load_methodE3ELS4_3ELS4_3ELNS0_20block_scan_algorithmE0ELj4294967295EEENS1_25partition_config_selectorILNS1_17partition_subalgoE4EjNS0_10empty_typeEbEEZZNS1_14partition_implILS8_4ELb0ES6_15HIP_vector_typeIjLj2EENS0_17counting_iteratorIjlEEPS9_SG_NS0_5tupleIJPjSI_NS0_16reverse_iteratorISI_EEEEENSH_IJSG_SG_SG_EEES9_SI_JZNS1_25segmented_radix_sort_implINS0_14default_configELb1EPKhPhPKlPlN2at6native12_GLOBAL__N_18offset_tEEE10hipError_tPvRmT1_PNSt15iterator_traitsIS12_E10value_typeET2_T3_PNS13_IS18_E10value_typeET4_jRbjT5_S1E_jjP12ihipStream_tbEUljE_ZNSN_ISO_Lb1ESQ_SR_ST_SU_SY_EESZ_S10_S11_S12_S16_S17_S18_S1B_S1C_jS1D_jS1E_S1E_jjS1G_bEUljE0_EEESZ_S10_S11_S18_S1C_S1E_T6_T7_T9_mT8_S1G_bDpT10_ENKUlT_T0_E_clISt17integral_constantIbLb1EES1T_IbLb0EEEEDaS1P_S1Q_EUlS1P_E_NS1_11comp_targetILNS1_3genE2ELNS1_11target_archE906ELNS1_3gpuE6ELNS1_3repE0EEENS1_30default_config_static_selectorELNS0_4arch9wavefront6targetE0EEEvS12_,"axG",@progbits,_ZN7rocprim17ROCPRIM_400000_NS6detail17trampoline_kernelINS0_13select_configILj256ELj13ELNS0_17block_load_methodE3ELS4_3ELS4_3ELNS0_20block_scan_algorithmE0ELj4294967295EEENS1_25partition_config_selectorILNS1_17partition_subalgoE4EjNS0_10empty_typeEbEEZZNS1_14partition_implILS8_4ELb0ES6_15HIP_vector_typeIjLj2EENS0_17counting_iteratorIjlEEPS9_SG_NS0_5tupleIJPjSI_NS0_16reverse_iteratorISI_EEEEENSH_IJSG_SG_SG_EEES9_SI_JZNS1_25segmented_radix_sort_implINS0_14default_configELb1EPKhPhPKlPlN2at6native12_GLOBAL__N_18offset_tEEE10hipError_tPvRmT1_PNSt15iterator_traitsIS12_E10value_typeET2_T3_PNS13_IS18_E10value_typeET4_jRbjT5_S1E_jjP12ihipStream_tbEUljE_ZNSN_ISO_Lb1ESQ_SR_ST_SU_SY_EESZ_S10_S11_S12_S16_S17_S18_S1B_S1C_jS1D_jS1E_S1E_jjS1G_bEUljE0_EEESZ_S10_S11_S18_S1C_S1E_T6_T7_T9_mT8_S1G_bDpT10_ENKUlT_T0_E_clISt17integral_constantIbLb1EES1T_IbLb0EEEEDaS1P_S1Q_EUlS1P_E_NS1_11comp_targetILNS1_3genE2ELNS1_11target_archE906ELNS1_3gpuE6ELNS1_3repE0EEENS1_30default_config_static_selectorELNS0_4arch9wavefront6targetE0EEEvS12_,comdat
.Lfunc_end34:
	.size	_ZN7rocprim17ROCPRIM_400000_NS6detail17trampoline_kernelINS0_13select_configILj256ELj13ELNS0_17block_load_methodE3ELS4_3ELS4_3ELNS0_20block_scan_algorithmE0ELj4294967295EEENS1_25partition_config_selectorILNS1_17partition_subalgoE4EjNS0_10empty_typeEbEEZZNS1_14partition_implILS8_4ELb0ES6_15HIP_vector_typeIjLj2EENS0_17counting_iteratorIjlEEPS9_SG_NS0_5tupleIJPjSI_NS0_16reverse_iteratorISI_EEEEENSH_IJSG_SG_SG_EEES9_SI_JZNS1_25segmented_radix_sort_implINS0_14default_configELb1EPKhPhPKlPlN2at6native12_GLOBAL__N_18offset_tEEE10hipError_tPvRmT1_PNSt15iterator_traitsIS12_E10value_typeET2_T3_PNS13_IS18_E10value_typeET4_jRbjT5_S1E_jjP12ihipStream_tbEUljE_ZNSN_ISO_Lb1ESQ_SR_ST_SU_SY_EESZ_S10_S11_S12_S16_S17_S18_S1B_S1C_jS1D_jS1E_S1E_jjS1G_bEUljE0_EEESZ_S10_S11_S18_S1C_S1E_T6_T7_T9_mT8_S1G_bDpT10_ENKUlT_T0_E_clISt17integral_constantIbLb1EES1T_IbLb0EEEEDaS1P_S1Q_EUlS1P_E_NS1_11comp_targetILNS1_3genE2ELNS1_11target_archE906ELNS1_3gpuE6ELNS1_3repE0EEENS1_30default_config_static_selectorELNS0_4arch9wavefront6targetE0EEEvS12_, .Lfunc_end34-_ZN7rocprim17ROCPRIM_400000_NS6detail17trampoline_kernelINS0_13select_configILj256ELj13ELNS0_17block_load_methodE3ELS4_3ELS4_3ELNS0_20block_scan_algorithmE0ELj4294967295EEENS1_25partition_config_selectorILNS1_17partition_subalgoE4EjNS0_10empty_typeEbEEZZNS1_14partition_implILS8_4ELb0ES6_15HIP_vector_typeIjLj2EENS0_17counting_iteratorIjlEEPS9_SG_NS0_5tupleIJPjSI_NS0_16reverse_iteratorISI_EEEEENSH_IJSG_SG_SG_EEES9_SI_JZNS1_25segmented_radix_sort_implINS0_14default_configELb1EPKhPhPKlPlN2at6native12_GLOBAL__N_18offset_tEEE10hipError_tPvRmT1_PNSt15iterator_traitsIS12_E10value_typeET2_T3_PNS13_IS18_E10value_typeET4_jRbjT5_S1E_jjP12ihipStream_tbEUljE_ZNSN_ISO_Lb1ESQ_SR_ST_SU_SY_EESZ_S10_S11_S12_S16_S17_S18_S1B_S1C_jS1D_jS1E_S1E_jjS1G_bEUljE0_EEESZ_S10_S11_S18_S1C_S1E_T6_T7_T9_mT8_S1G_bDpT10_ENKUlT_T0_E_clISt17integral_constantIbLb1EES1T_IbLb0EEEEDaS1P_S1Q_EUlS1P_E_NS1_11comp_targetILNS1_3genE2ELNS1_11target_archE906ELNS1_3gpuE6ELNS1_3repE0EEENS1_30default_config_static_selectorELNS0_4arch9wavefront6targetE0EEEvS12_
                                        ; -- End function
	.section	.AMDGPU.csdata,"",@progbits
; Kernel info:
; codeLenInByte = 0
; NumSgprs: 0
; NumVgprs: 0
; ScratchSize: 0
; MemoryBound: 0
; FloatMode: 240
; IeeeMode: 1
; LDSByteSize: 0 bytes/workgroup (compile time only)
; SGPRBlocks: 0
; VGPRBlocks: 0
; NumSGPRsForWavesPerEU: 1
; NumVGPRsForWavesPerEU: 1
; Occupancy: 16
; WaveLimiterHint : 0
; COMPUTE_PGM_RSRC2:SCRATCH_EN: 0
; COMPUTE_PGM_RSRC2:USER_SGPR: 15
; COMPUTE_PGM_RSRC2:TRAP_HANDLER: 0
; COMPUTE_PGM_RSRC2:TGID_X_EN: 1
; COMPUTE_PGM_RSRC2:TGID_Y_EN: 0
; COMPUTE_PGM_RSRC2:TGID_Z_EN: 0
; COMPUTE_PGM_RSRC2:TIDIG_COMP_CNT: 0
	.section	.text._ZN7rocprim17ROCPRIM_400000_NS6detail17trampoline_kernelINS0_13select_configILj256ELj13ELNS0_17block_load_methodE3ELS4_3ELS4_3ELNS0_20block_scan_algorithmE0ELj4294967295EEENS1_25partition_config_selectorILNS1_17partition_subalgoE4EjNS0_10empty_typeEbEEZZNS1_14partition_implILS8_4ELb0ES6_15HIP_vector_typeIjLj2EENS0_17counting_iteratorIjlEEPS9_SG_NS0_5tupleIJPjSI_NS0_16reverse_iteratorISI_EEEEENSH_IJSG_SG_SG_EEES9_SI_JZNS1_25segmented_radix_sort_implINS0_14default_configELb1EPKhPhPKlPlN2at6native12_GLOBAL__N_18offset_tEEE10hipError_tPvRmT1_PNSt15iterator_traitsIS12_E10value_typeET2_T3_PNS13_IS18_E10value_typeET4_jRbjT5_S1E_jjP12ihipStream_tbEUljE_ZNSN_ISO_Lb1ESQ_SR_ST_SU_SY_EESZ_S10_S11_S12_S16_S17_S18_S1B_S1C_jS1D_jS1E_S1E_jjS1G_bEUljE0_EEESZ_S10_S11_S18_S1C_S1E_T6_T7_T9_mT8_S1G_bDpT10_ENKUlT_T0_E_clISt17integral_constantIbLb1EES1T_IbLb0EEEEDaS1P_S1Q_EUlS1P_E_NS1_11comp_targetILNS1_3genE10ELNS1_11target_archE1200ELNS1_3gpuE4ELNS1_3repE0EEENS1_30default_config_static_selectorELNS0_4arch9wavefront6targetE0EEEvS12_,"axG",@progbits,_ZN7rocprim17ROCPRIM_400000_NS6detail17trampoline_kernelINS0_13select_configILj256ELj13ELNS0_17block_load_methodE3ELS4_3ELS4_3ELNS0_20block_scan_algorithmE0ELj4294967295EEENS1_25partition_config_selectorILNS1_17partition_subalgoE4EjNS0_10empty_typeEbEEZZNS1_14partition_implILS8_4ELb0ES6_15HIP_vector_typeIjLj2EENS0_17counting_iteratorIjlEEPS9_SG_NS0_5tupleIJPjSI_NS0_16reverse_iteratorISI_EEEEENSH_IJSG_SG_SG_EEES9_SI_JZNS1_25segmented_radix_sort_implINS0_14default_configELb1EPKhPhPKlPlN2at6native12_GLOBAL__N_18offset_tEEE10hipError_tPvRmT1_PNSt15iterator_traitsIS12_E10value_typeET2_T3_PNS13_IS18_E10value_typeET4_jRbjT5_S1E_jjP12ihipStream_tbEUljE_ZNSN_ISO_Lb1ESQ_SR_ST_SU_SY_EESZ_S10_S11_S12_S16_S17_S18_S1B_S1C_jS1D_jS1E_S1E_jjS1G_bEUljE0_EEESZ_S10_S11_S18_S1C_S1E_T6_T7_T9_mT8_S1G_bDpT10_ENKUlT_T0_E_clISt17integral_constantIbLb1EES1T_IbLb0EEEEDaS1P_S1Q_EUlS1P_E_NS1_11comp_targetILNS1_3genE10ELNS1_11target_archE1200ELNS1_3gpuE4ELNS1_3repE0EEENS1_30default_config_static_selectorELNS0_4arch9wavefront6targetE0EEEvS12_,comdat
	.globl	_ZN7rocprim17ROCPRIM_400000_NS6detail17trampoline_kernelINS0_13select_configILj256ELj13ELNS0_17block_load_methodE3ELS4_3ELS4_3ELNS0_20block_scan_algorithmE0ELj4294967295EEENS1_25partition_config_selectorILNS1_17partition_subalgoE4EjNS0_10empty_typeEbEEZZNS1_14partition_implILS8_4ELb0ES6_15HIP_vector_typeIjLj2EENS0_17counting_iteratorIjlEEPS9_SG_NS0_5tupleIJPjSI_NS0_16reverse_iteratorISI_EEEEENSH_IJSG_SG_SG_EEES9_SI_JZNS1_25segmented_radix_sort_implINS0_14default_configELb1EPKhPhPKlPlN2at6native12_GLOBAL__N_18offset_tEEE10hipError_tPvRmT1_PNSt15iterator_traitsIS12_E10value_typeET2_T3_PNS13_IS18_E10value_typeET4_jRbjT5_S1E_jjP12ihipStream_tbEUljE_ZNSN_ISO_Lb1ESQ_SR_ST_SU_SY_EESZ_S10_S11_S12_S16_S17_S18_S1B_S1C_jS1D_jS1E_S1E_jjS1G_bEUljE0_EEESZ_S10_S11_S18_S1C_S1E_T6_T7_T9_mT8_S1G_bDpT10_ENKUlT_T0_E_clISt17integral_constantIbLb1EES1T_IbLb0EEEEDaS1P_S1Q_EUlS1P_E_NS1_11comp_targetILNS1_3genE10ELNS1_11target_archE1200ELNS1_3gpuE4ELNS1_3repE0EEENS1_30default_config_static_selectorELNS0_4arch9wavefront6targetE0EEEvS12_ ; -- Begin function _ZN7rocprim17ROCPRIM_400000_NS6detail17trampoline_kernelINS0_13select_configILj256ELj13ELNS0_17block_load_methodE3ELS4_3ELS4_3ELNS0_20block_scan_algorithmE0ELj4294967295EEENS1_25partition_config_selectorILNS1_17partition_subalgoE4EjNS0_10empty_typeEbEEZZNS1_14partition_implILS8_4ELb0ES6_15HIP_vector_typeIjLj2EENS0_17counting_iteratorIjlEEPS9_SG_NS0_5tupleIJPjSI_NS0_16reverse_iteratorISI_EEEEENSH_IJSG_SG_SG_EEES9_SI_JZNS1_25segmented_radix_sort_implINS0_14default_configELb1EPKhPhPKlPlN2at6native12_GLOBAL__N_18offset_tEEE10hipError_tPvRmT1_PNSt15iterator_traitsIS12_E10value_typeET2_T3_PNS13_IS18_E10value_typeET4_jRbjT5_S1E_jjP12ihipStream_tbEUljE_ZNSN_ISO_Lb1ESQ_SR_ST_SU_SY_EESZ_S10_S11_S12_S16_S17_S18_S1B_S1C_jS1D_jS1E_S1E_jjS1G_bEUljE0_EEESZ_S10_S11_S18_S1C_S1E_T6_T7_T9_mT8_S1G_bDpT10_ENKUlT_T0_E_clISt17integral_constantIbLb1EES1T_IbLb0EEEEDaS1P_S1Q_EUlS1P_E_NS1_11comp_targetILNS1_3genE10ELNS1_11target_archE1200ELNS1_3gpuE4ELNS1_3repE0EEENS1_30default_config_static_selectorELNS0_4arch9wavefront6targetE0EEEvS12_
	.p2align	8
	.type	_ZN7rocprim17ROCPRIM_400000_NS6detail17trampoline_kernelINS0_13select_configILj256ELj13ELNS0_17block_load_methodE3ELS4_3ELS4_3ELNS0_20block_scan_algorithmE0ELj4294967295EEENS1_25partition_config_selectorILNS1_17partition_subalgoE4EjNS0_10empty_typeEbEEZZNS1_14partition_implILS8_4ELb0ES6_15HIP_vector_typeIjLj2EENS0_17counting_iteratorIjlEEPS9_SG_NS0_5tupleIJPjSI_NS0_16reverse_iteratorISI_EEEEENSH_IJSG_SG_SG_EEES9_SI_JZNS1_25segmented_radix_sort_implINS0_14default_configELb1EPKhPhPKlPlN2at6native12_GLOBAL__N_18offset_tEEE10hipError_tPvRmT1_PNSt15iterator_traitsIS12_E10value_typeET2_T3_PNS13_IS18_E10value_typeET4_jRbjT5_S1E_jjP12ihipStream_tbEUljE_ZNSN_ISO_Lb1ESQ_SR_ST_SU_SY_EESZ_S10_S11_S12_S16_S17_S18_S1B_S1C_jS1D_jS1E_S1E_jjS1G_bEUljE0_EEESZ_S10_S11_S18_S1C_S1E_T6_T7_T9_mT8_S1G_bDpT10_ENKUlT_T0_E_clISt17integral_constantIbLb1EES1T_IbLb0EEEEDaS1P_S1Q_EUlS1P_E_NS1_11comp_targetILNS1_3genE10ELNS1_11target_archE1200ELNS1_3gpuE4ELNS1_3repE0EEENS1_30default_config_static_selectorELNS0_4arch9wavefront6targetE0EEEvS12_,@function
_ZN7rocprim17ROCPRIM_400000_NS6detail17trampoline_kernelINS0_13select_configILj256ELj13ELNS0_17block_load_methodE3ELS4_3ELS4_3ELNS0_20block_scan_algorithmE0ELj4294967295EEENS1_25partition_config_selectorILNS1_17partition_subalgoE4EjNS0_10empty_typeEbEEZZNS1_14partition_implILS8_4ELb0ES6_15HIP_vector_typeIjLj2EENS0_17counting_iteratorIjlEEPS9_SG_NS0_5tupleIJPjSI_NS0_16reverse_iteratorISI_EEEEENSH_IJSG_SG_SG_EEES9_SI_JZNS1_25segmented_radix_sort_implINS0_14default_configELb1EPKhPhPKlPlN2at6native12_GLOBAL__N_18offset_tEEE10hipError_tPvRmT1_PNSt15iterator_traitsIS12_E10value_typeET2_T3_PNS13_IS18_E10value_typeET4_jRbjT5_S1E_jjP12ihipStream_tbEUljE_ZNSN_ISO_Lb1ESQ_SR_ST_SU_SY_EESZ_S10_S11_S12_S16_S17_S18_S1B_S1C_jS1D_jS1E_S1E_jjS1G_bEUljE0_EEESZ_S10_S11_S18_S1C_S1E_T6_T7_T9_mT8_S1G_bDpT10_ENKUlT_T0_E_clISt17integral_constantIbLb1EES1T_IbLb0EEEEDaS1P_S1Q_EUlS1P_E_NS1_11comp_targetILNS1_3genE10ELNS1_11target_archE1200ELNS1_3gpuE4ELNS1_3repE0EEENS1_30default_config_static_selectorELNS0_4arch9wavefront6targetE0EEEvS12_: ; @_ZN7rocprim17ROCPRIM_400000_NS6detail17trampoline_kernelINS0_13select_configILj256ELj13ELNS0_17block_load_methodE3ELS4_3ELS4_3ELNS0_20block_scan_algorithmE0ELj4294967295EEENS1_25partition_config_selectorILNS1_17partition_subalgoE4EjNS0_10empty_typeEbEEZZNS1_14partition_implILS8_4ELb0ES6_15HIP_vector_typeIjLj2EENS0_17counting_iteratorIjlEEPS9_SG_NS0_5tupleIJPjSI_NS0_16reverse_iteratorISI_EEEEENSH_IJSG_SG_SG_EEES9_SI_JZNS1_25segmented_radix_sort_implINS0_14default_configELb1EPKhPhPKlPlN2at6native12_GLOBAL__N_18offset_tEEE10hipError_tPvRmT1_PNSt15iterator_traitsIS12_E10value_typeET2_T3_PNS13_IS18_E10value_typeET4_jRbjT5_S1E_jjP12ihipStream_tbEUljE_ZNSN_ISO_Lb1ESQ_SR_ST_SU_SY_EESZ_S10_S11_S12_S16_S17_S18_S1B_S1C_jS1D_jS1E_S1E_jjS1G_bEUljE0_EEESZ_S10_S11_S18_S1C_S1E_T6_T7_T9_mT8_S1G_bDpT10_ENKUlT_T0_E_clISt17integral_constantIbLb1EES1T_IbLb0EEEEDaS1P_S1Q_EUlS1P_E_NS1_11comp_targetILNS1_3genE10ELNS1_11target_archE1200ELNS1_3gpuE4ELNS1_3repE0EEENS1_30default_config_static_selectorELNS0_4arch9wavefront6targetE0EEEvS12_
; %bb.0:
	.section	.rodata,"a",@progbits
	.p2align	6, 0x0
	.amdhsa_kernel _ZN7rocprim17ROCPRIM_400000_NS6detail17trampoline_kernelINS0_13select_configILj256ELj13ELNS0_17block_load_methodE3ELS4_3ELS4_3ELNS0_20block_scan_algorithmE0ELj4294967295EEENS1_25partition_config_selectorILNS1_17partition_subalgoE4EjNS0_10empty_typeEbEEZZNS1_14partition_implILS8_4ELb0ES6_15HIP_vector_typeIjLj2EENS0_17counting_iteratorIjlEEPS9_SG_NS0_5tupleIJPjSI_NS0_16reverse_iteratorISI_EEEEENSH_IJSG_SG_SG_EEES9_SI_JZNS1_25segmented_radix_sort_implINS0_14default_configELb1EPKhPhPKlPlN2at6native12_GLOBAL__N_18offset_tEEE10hipError_tPvRmT1_PNSt15iterator_traitsIS12_E10value_typeET2_T3_PNS13_IS18_E10value_typeET4_jRbjT5_S1E_jjP12ihipStream_tbEUljE_ZNSN_ISO_Lb1ESQ_SR_ST_SU_SY_EESZ_S10_S11_S12_S16_S17_S18_S1B_S1C_jS1D_jS1E_S1E_jjS1G_bEUljE0_EEESZ_S10_S11_S18_S1C_S1E_T6_T7_T9_mT8_S1G_bDpT10_ENKUlT_T0_E_clISt17integral_constantIbLb1EES1T_IbLb0EEEEDaS1P_S1Q_EUlS1P_E_NS1_11comp_targetILNS1_3genE10ELNS1_11target_archE1200ELNS1_3gpuE4ELNS1_3repE0EEENS1_30default_config_static_selectorELNS0_4arch9wavefront6targetE0EEEvS12_
		.amdhsa_group_segment_fixed_size 0
		.amdhsa_private_segment_fixed_size 0
		.amdhsa_kernarg_size 176
		.amdhsa_user_sgpr_count 15
		.amdhsa_user_sgpr_dispatch_ptr 0
		.amdhsa_user_sgpr_queue_ptr 0
		.amdhsa_user_sgpr_kernarg_segment_ptr 1
		.amdhsa_user_sgpr_dispatch_id 0
		.amdhsa_user_sgpr_private_segment_size 0
		.amdhsa_wavefront_size32 1
		.amdhsa_uses_dynamic_stack 0
		.amdhsa_enable_private_segment 0
		.amdhsa_system_sgpr_workgroup_id_x 1
		.amdhsa_system_sgpr_workgroup_id_y 0
		.amdhsa_system_sgpr_workgroup_id_z 0
		.amdhsa_system_sgpr_workgroup_info 0
		.amdhsa_system_vgpr_workitem_id 0
		.amdhsa_next_free_vgpr 1
		.amdhsa_next_free_sgpr 1
		.amdhsa_reserve_vcc 0
		.amdhsa_float_round_mode_32 0
		.amdhsa_float_round_mode_16_64 0
		.amdhsa_float_denorm_mode_32 3
		.amdhsa_float_denorm_mode_16_64 3
		.amdhsa_dx10_clamp 1
		.amdhsa_ieee_mode 1
		.amdhsa_fp16_overflow 0
		.amdhsa_workgroup_processor_mode 1
		.amdhsa_memory_ordered 1
		.amdhsa_forward_progress 0
		.amdhsa_shared_vgpr_count 0
		.amdhsa_exception_fp_ieee_invalid_op 0
		.amdhsa_exception_fp_denorm_src 0
		.amdhsa_exception_fp_ieee_div_zero 0
		.amdhsa_exception_fp_ieee_overflow 0
		.amdhsa_exception_fp_ieee_underflow 0
		.amdhsa_exception_fp_ieee_inexact 0
		.amdhsa_exception_int_div_zero 0
	.end_amdhsa_kernel
	.section	.text._ZN7rocprim17ROCPRIM_400000_NS6detail17trampoline_kernelINS0_13select_configILj256ELj13ELNS0_17block_load_methodE3ELS4_3ELS4_3ELNS0_20block_scan_algorithmE0ELj4294967295EEENS1_25partition_config_selectorILNS1_17partition_subalgoE4EjNS0_10empty_typeEbEEZZNS1_14partition_implILS8_4ELb0ES6_15HIP_vector_typeIjLj2EENS0_17counting_iteratorIjlEEPS9_SG_NS0_5tupleIJPjSI_NS0_16reverse_iteratorISI_EEEEENSH_IJSG_SG_SG_EEES9_SI_JZNS1_25segmented_radix_sort_implINS0_14default_configELb1EPKhPhPKlPlN2at6native12_GLOBAL__N_18offset_tEEE10hipError_tPvRmT1_PNSt15iterator_traitsIS12_E10value_typeET2_T3_PNS13_IS18_E10value_typeET4_jRbjT5_S1E_jjP12ihipStream_tbEUljE_ZNSN_ISO_Lb1ESQ_SR_ST_SU_SY_EESZ_S10_S11_S12_S16_S17_S18_S1B_S1C_jS1D_jS1E_S1E_jjS1G_bEUljE0_EEESZ_S10_S11_S18_S1C_S1E_T6_T7_T9_mT8_S1G_bDpT10_ENKUlT_T0_E_clISt17integral_constantIbLb1EES1T_IbLb0EEEEDaS1P_S1Q_EUlS1P_E_NS1_11comp_targetILNS1_3genE10ELNS1_11target_archE1200ELNS1_3gpuE4ELNS1_3repE0EEENS1_30default_config_static_selectorELNS0_4arch9wavefront6targetE0EEEvS12_,"axG",@progbits,_ZN7rocprim17ROCPRIM_400000_NS6detail17trampoline_kernelINS0_13select_configILj256ELj13ELNS0_17block_load_methodE3ELS4_3ELS4_3ELNS0_20block_scan_algorithmE0ELj4294967295EEENS1_25partition_config_selectorILNS1_17partition_subalgoE4EjNS0_10empty_typeEbEEZZNS1_14partition_implILS8_4ELb0ES6_15HIP_vector_typeIjLj2EENS0_17counting_iteratorIjlEEPS9_SG_NS0_5tupleIJPjSI_NS0_16reverse_iteratorISI_EEEEENSH_IJSG_SG_SG_EEES9_SI_JZNS1_25segmented_radix_sort_implINS0_14default_configELb1EPKhPhPKlPlN2at6native12_GLOBAL__N_18offset_tEEE10hipError_tPvRmT1_PNSt15iterator_traitsIS12_E10value_typeET2_T3_PNS13_IS18_E10value_typeET4_jRbjT5_S1E_jjP12ihipStream_tbEUljE_ZNSN_ISO_Lb1ESQ_SR_ST_SU_SY_EESZ_S10_S11_S12_S16_S17_S18_S1B_S1C_jS1D_jS1E_S1E_jjS1G_bEUljE0_EEESZ_S10_S11_S18_S1C_S1E_T6_T7_T9_mT8_S1G_bDpT10_ENKUlT_T0_E_clISt17integral_constantIbLb1EES1T_IbLb0EEEEDaS1P_S1Q_EUlS1P_E_NS1_11comp_targetILNS1_3genE10ELNS1_11target_archE1200ELNS1_3gpuE4ELNS1_3repE0EEENS1_30default_config_static_selectorELNS0_4arch9wavefront6targetE0EEEvS12_,comdat
.Lfunc_end35:
	.size	_ZN7rocprim17ROCPRIM_400000_NS6detail17trampoline_kernelINS0_13select_configILj256ELj13ELNS0_17block_load_methodE3ELS4_3ELS4_3ELNS0_20block_scan_algorithmE0ELj4294967295EEENS1_25partition_config_selectorILNS1_17partition_subalgoE4EjNS0_10empty_typeEbEEZZNS1_14partition_implILS8_4ELb0ES6_15HIP_vector_typeIjLj2EENS0_17counting_iteratorIjlEEPS9_SG_NS0_5tupleIJPjSI_NS0_16reverse_iteratorISI_EEEEENSH_IJSG_SG_SG_EEES9_SI_JZNS1_25segmented_radix_sort_implINS0_14default_configELb1EPKhPhPKlPlN2at6native12_GLOBAL__N_18offset_tEEE10hipError_tPvRmT1_PNSt15iterator_traitsIS12_E10value_typeET2_T3_PNS13_IS18_E10value_typeET4_jRbjT5_S1E_jjP12ihipStream_tbEUljE_ZNSN_ISO_Lb1ESQ_SR_ST_SU_SY_EESZ_S10_S11_S12_S16_S17_S18_S1B_S1C_jS1D_jS1E_S1E_jjS1G_bEUljE0_EEESZ_S10_S11_S18_S1C_S1E_T6_T7_T9_mT8_S1G_bDpT10_ENKUlT_T0_E_clISt17integral_constantIbLb1EES1T_IbLb0EEEEDaS1P_S1Q_EUlS1P_E_NS1_11comp_targetILNS1_3genE10ELNS1_11target_archE1200ELNS1_3gpuE4ELNS1_3repE0EEENS1_30default_config_static_selectorELNS0_4arch9wavefront6targetE0EEEvS12_, .Lfunc_end35-_ZN7rocprim17ROCPRIM_400000_NS6detail17trampoline_kernelINS0_13select_configILj256ELj13ELNS0_17block_load_methodE3ELS4_3ELS4_3ELNS0_20block_scan_algorithmE0ELj4294967295EEENS1_25partition_config_selectorILNS1_17partition_subalgoE4EjNS0_10empty_typeEbEEZZNS1_14partition_implILS8_4ELb0ES6_15HIP_vector_typeIjLj2EENS0_17counting_iteratorIjlEEPS9_SG_NS0_5tupleIJPjSI_NS0_16reverse_iteratorISI_EEEEENSH_IJSG_SG_SG_EEES9_SI_JZNS1_25segmented_radix_sort_implINS0_14default_configELb1EPKhPhPKlPlN2at6native12_GLOBAL__N_18offset_tEEE10hipError_tPvRmT1_PNSt15iterator_traitsIS12_E10value_typeET2_T3_PNS13_IS18_E10value_typeET4_jRbjT5_S1E_jjP12ihipStream_tbEUljE_ZNSN_ISO_Lb1ESQ_SR_ST_SU_SY_EESZ_S10_S11_S12_S16_S17_S18_S1B_S1C_jS1D_jS1E_S1E_jjS1G_bEUljE0_EEESZ_S10_S11_S18_S1C_S1E_T6_T7_T9_mT8_S1G_bDpT10_ENKUlT_T0_E_clISt17integral_constantIbLb1EES1T_IbLb0EEEEDaS1P_S1Q_EUlS1P_E_NS1_11comp_targetILNS1_3genE10ELNS1_11target_archE1200ELNS1_3gpuE4ELNS1_3repE0EEENS1_30default_config_static_selectorELNS0_4arch9wavefront6targetE0EEEvS12_
                                        ; -- End function
	.section	.AMDGPU.csdata,"",@progbits
; Kernel info:
; codeLenInByte = 0
; NumSgprs: 0
; NumVgprs: 0
; ScratchSize: 0
; MemoryBound: 0
; FloatMode: 240
; IeeeMode: 1
; LDSByteSize: 0 bytes/workgroup (compile time only)
; SGPRBlocks: 0
; VGPRBlocks: 0
; NumSGPRsForWavesPerEU: 1
; NumVGPRsForWavesPerEU: 1
; Occupancy: 16
; WaveLimiterHint : 0
; COMPUTE_PGM_RSRC2:SCRATCH_EN: 0
; COMPUTE_PGM_RSRC2:USER_SGPR: 15
; COMPUTE_PGM_RSRC2:TRAP_HANDLER: 0
; COMPUTE_PGM_RSRC2:TGID_X_EN: 1
; COMPUTE_PGM_RSRC2:TGID_Y_EN: 0
; COMPUTE_PGM_RSRC2:TGID_Z_EN: 0
; COMPUTE_PGM_RSRC2:TIDIG_COMP_CNT: 0
	.section	.text._ZN7rocprim17ROCPRIM_400000_NS6detail17trampoline_kernelINS0_13select_configILj256ELj13ELNS0_17block_load_methodE3ELS4_3ELS4_3ELNS0_20block_scan_algorithmE0ELj4294967295EEENS1_25partition_config_selectorILNS1_17partition_subalgoE4EjNS0_10empty_typeEbEEZZNS1_14partition_implILS8_4ELb0ES6_15HIP_vector_typeIjLj2EENS0_17counting_iteratorIjlEEPS9_SG_NS0_5tupleIJPjSI_NS0_16reverse_iteratorISI_EEEEENSH_IJSG_SG_SG_EEES9_SI_JZNS1_25segmented_radix_sort_implINS0_14default_configELb1EPKhPhPKlPlN2at6native12_GLOBAL__N_18offset_tEEE10hipError_tPvRmT1_PNSt15iterator_traitsIS12_E10value_typeET2_T3_PNS13_IS18_E10value_typeET4_jRbjT5_S1E_jjP12ihipStream_tbEUljE_ZNSN_ISO_Lb1ESQ_SR_ST_SU_SY_EESZ_S10_S11_S12_S16_S17_S18_S1B_S1C_jS1D_jS1E_S1E_jjS1G_bEUljE0_EEESZ_S10_S11_S18_S1C_S1E_T6_T7_T9_mT8_S1G_bDpT10_ENKUlT_T0_E_clISt17integral_constantIbLb1EES1T_IbLb0EEEEDaS1P_S1Q_EUlS1P_E_NS1_11comp_targetILNS1_3genE9ELNS1_11target_archE1100ELNS1_3gpuE3ELNS1_3repE0EEENS1_30default_config_static_selectorELNS0_4arch9wavefront6targetE0EEEvS12_,"axG",@progbits,_ZN7rocprim17ROCPRIM_400000_NS6detail17trampoline_kernelINS0_13select_configILj256ELj13ELNS0_17block_load_methodE3ELS4_3ELS4_3ELNS0_20block_scan_algorithmE0ELj4294967295EEENS1_25partition_config_selectorILNS1_17partition_subalgoE4EjNS0_10empty_typeEbEEZZNS1_14partition_implILS8_4ELb0ES6_15HIP_vector_typeIjLj2EENS0_17counting_iteratorIjlEEPS9_SG_NS0_5tupleIJPjSI_NS0_16reverse_iteratorISI_EEEEENSH_IJSG_SG_SG_EEES9_SI_JZNS1_25segmented_radix_sort_implINS0_14default_configELb1EPKhPhPKlPlN2at6native12_GLOBAL__N_18offset_tEEE10hipError_tPvRmT1_PNSt15iterator_traitsIS12_E10value_typeET2_T3_PNS13_IS18_E10value_typeET4_jRbjT5_S1E_jjP12ihipStream_tbEUljE_ZNSN_ISO_Lb1ESQ_SR_ST_SU_SY_EESZ_S10_S11_S12_S16_S17_S18_S1B_S1C_jS1D_jS1E_S1E_jjS1G_bEUljE0_EEESZ_S10_S11_S18_S1C_S1E_T6_T7_T9_mT8_S1G_bDpT10_ENKUlT_T0_E_clISt17integral_constantIbLb1EES1T_IbLb0EEEEDaS1P_S1Q_EUlS1P_E_NS1_11comp_targetILNS1_3genE9ELNS1_11target_archE1100ELNS1_3gpuE3ELNS1_3repE0EEENS1_30default_config_static_selectorELNS0_4arch9wavefront6targetE0EEEvS12_,comdat
	.globl	_ZN7rocprim17ROCPRIM_400000_NS6detail17trampoline_kernelINS0_13select_configILj256ELj13ELNS0_17block_load_methodE3ELS4_3ELS4_3ELNS0_20block_scan_algorithmE0ELj4294967295EEENS1_25partition_config_selectorILNS1_17partition_subalgoE4EjNS0_10empty_typeEbEEZZNS1_14partition_implILS8_4ELb0ES6_15HIP_vector_typeIjLj2EENS0_17counting_iteratorIjlEEPS9_SG_NS0_5tupleIJPjSI_NS0_16reverse_iteratorISI_EEEEENSH_IJSG_SG_SG_EEES9_SI_JZNS1_25segmented_radix_sort_implINS0_14default_configELb1EPKhPhPKlPlN2at6native12_GLOBAL__N_18offset_tEEE10hipError_tPvRmT1_PNSt15iterator_traitsIS12_E10value_typeET2_T3_PNS13_IS18_E10value_typeET4_jRbjT5_S1E_jjP12ihipStream_tbEUljE_ZNSN_ISO_Lb1ESQ_SR_ST_SU_SY_EESZ_S10_S11_S12_S16_S17_S18_S1B_S1C_jS1D_jS1E_S1E_jjS1G_bEUljE0_EEESZ_S10_S11_S18_S1C_S1E_T6_T7_T9_mT8_S1G_bDpT10_ENKUlT_T0_E_clISt17integral_constantIbLb1EES1T_IbLb0EEEEDaS1P_S1Q_EUlS1P_E_NS1_11comp_targetILNS1_3genE9ELNS1_11target_archE1100ELNS1_3gpuE3ELNS1_3repE0EEENS1_30default_config_static_selectorELNS0_4arch9wavefront6targetE0EEEvS12_ ; -- Begin function _ZN7rocprim17ROCPRIM_400000_NS6detail17trampoline_kernelINS0_13select_configILj256ELj13ELNS0_17block_load_methodE3ELS4_3ELS4_3ELNS0_20block_scan_algorithmE0ELj4294967295EEENS1_25partition_config_selectorILNS1_17partition_subalgoE4EjNS0_10empty_typeEbEEZZNS1_14partition_implILS8_4ELb0ES6_15HIP_vector_typeIjLj2EENS0_17counting_iteratorIjlEEPS9_SG_NS0_5tupleIJPjSI_NS0_16reverse_iteratorISI_EEEEENSH_IJSG_SG_SG_EEES9_SI_JZNS1_25segmented_radix_sort_implINS0_14default_configELb1EPKhPhPKlPlN2at6native12_GLOBAL__N_18offset_tEEE10hipError_tPvRmT1_PNSt15iterator_traitsIS12_E10value_typeET2_T3_PNS13_IS18_E10value_typeET4_jRbjT5_S1E_jjP12ihipStream_tbEUljE_ZNSN_ISO_Lb1ESQ_SR_ST_SU_SY_EESZ_S10_S11_S12_S16_S17_S18_S1B_S1C_jS1D_jS1E_S1E_jjS1G_bEUljE0_EEESZ_S10_S11_S18_S1C_S1E_T6_T7_T9_mT8_S1G_bDpT10_ENKUlT_T0_E_clISt17integral_constantIbLb1EES1T_IbLb0EEEEDaS1P_S1Q_EUlS1P_E_NS1_11comp_targetILNS1_3genE9ELNS1_11target_archE1100ELNS1_3gpuE3ELNS1_3repE0EEENS1_30default_config_static_selectorELNS0_4arch9wavefront6targetE0EEEvS12_
	.p2align	8
	.type	_ZN7rocprim17ROCPRIM_400000_NS6detail17trampoline_kernelINS0_13select_configILj256ELj13ELNS0_17block_load_methodE3ELS4_3ELS4_3ELNS0_20block_scan_algorithmE0ELj4294967295EEENS1_25partition_config_selectorILNS1_17partition_subalgoE4EjNS0_10empty_typeEbEEZZNS1_14partition_implILS8_4ELb0ES6_15HIP_vector_typeIjLj2EENS0_17counting_iteratorIjlEEPS9_SG_NS0_5tupleIJPjSI_NS0_16reverse_iteratorISI_EEEEENSH_IJSG_SG_SG_EEES9_SI_JZNS1_25segmented_radix_sort_implINS0_14default_configELb1EPKhPhPKlPlN2at6native12_GLOBAL__N_18offset_tEEE10hipError_tPvRmT1_PNSt15iterator_traitsIS12_E10value_typeET2_T3_PNS13_IS18_E10value_typeET4_jRbjT5_S1E_jjP12ihipStream_tbEUljE_ZNSN_ISO_Lb1ESQ_SR_ST_SU_SY_EESZ_S10_S11_S12_S16_S17_S18_S1B_S1C_jS1D_jS1E_S1E_jjS1G_bEUljE0_EEESZ_S10_S11_S18_S1C_S1E_T6_T7_T9_mT8_S1G_bDpT10_ENKUlT_T0_E_clISt17integral_constantIbLb1EES1T_IbLb0EEEEDaS1P_S1Q_EUlS1P_E_NS1_11comp_targetILNS1_3genE9ELNS1_11target_archE1100ELNS1_3gpuE3ELNS1_3repE0EEENS1_30default_config_static_selectorELNS0_4arch9wavefront6targetE0EEEvS12_,@function
_ZN7rocprim17ROCPRIM_400000_NS6detail17trampoline_kernelINS0_13select_configILj256ELj13ELNS0_17block_load_methodE3ELS4_3ELS4_3ELNS0_20block_scan_algorithmE0ELj4294967295EEENS1_25partition_config_selectorILNS1_17partition_subalgoE4EjNS0_10empty_typeEbEEZZNS1_14partition_implILS8_4ELb0ES6_15HIP_vector_typeIjLj2EENS0_17counting_iteratorIjlEEPS9_SG_NS0_5tupleIJPjSI_NS0_16reverse_iteratorISI_EEEEENSH_IJSG_SG_SG_EEES9_SI_JZNS1_25segmented_radix_sort_implINS0_14default_configELb1EPKhPhPKlPlN2at6native12_GLOBAL__N_18offset_tEEE10hipError_tPvRmT1_PNSt15iterator_traitsIS12_E10value_typeET2_T3_PNS13_IS18_E10value_typeET4_jRbjT5_S1E_jjP12ihipStream_tbEUljE_ZNSN_ISO_Lb1ESQ_SR_ST_SU_SY_EESZ_S10_S11_S12_S16_S17_S18_S1B_S1C_jS1D_jS1E_S1E_jjS1G_bEUljE0_EEESZ_S10_S11_S18_S1C_S1E_T6_T7_T9_mT8_S1G_bDpT10_ENKUlT_T0_E_clISt17integral_constantIbLb1EES1T_IbLb0EEEEDaS1P_S1Q_EUlS1P_E_NS1_11comp_targetILNS1_3genE9ELNS1_11target_archE1100ELNS1_3gpuE3ELNS1_3repE0EEENS1_30default_config_static_selectorELNS0_4arch9wavefront6targetE0EEEvS12_: ; @_ZN7rocprim17ROCPRIM_400000_NS6detail17trampoline_kernelINS0_13select_configILj256ELj13ELNS0_17block_load_methodE3ELS4_3ELS4_3ELNS0_20block_scan_algorithmE0ELj4294967295EEENS1_25partition_config_selectorILNS1_17partition_subalgoE4EjNS0_10empty_typeEbEEZZNS1_14partition_implILS8_4ELb0ES6_15HIP_vector_typeIjLj2EENS0_17counting_iteratorIjlEEPS9_SG_NS0_5tupleIJPjSI_NS0_16reverse_iteratorISI_EEEEENSH_IJSG_SG_SG_EEES9_SI_JZNS1_25segmented_radix_sort_implINS0_14default_configELb1EPKhPhPKlPlN2at6native12_GLOBAL__N_18offset_tEEE10hipError_tPvRmT1_PNSt15iterator_traitsIS12_E10value_typeET2_T3_PNS13_IS18_E10value_typeET4_jRbjT5_S1E_jjP12ihipStream_tbEUljE_ZNSN_ISO_Lb1ESQ_SR_ST_SU_SY_EESZ_S10_S11_S12_S16_S17_S18_S1B_S1C_jS1D_jS1E_S1E_jjS1G_bEUljE0_EEESZ_S10_S11_S18_S1C_S1E_T6_T7_T9_mT8_S1G_bDpT10_ENKUlT_T0_E_clISt17integral_constantIbLb1EES1T_IbLb0EEEEDaS1P_S1Q_EUlS1P_E_NS1_11comp_targetILNS1_3genE9ELNS1_11target_archE1100ELNS1_3gpuE3ELNS1_3repE0EEENS1_30default_config_static_selectorELNS0_4arch9wavefront6targetE0EEEvS12_
; %bb.0:
	s_clause 0x6
	s_load_b32 s5, s[0:1], 0x80
	s_load_b64 s[34:35], s[0:1], 0x10
	s_load_b64 s[2:3], s[0:1], 0x68
	s_load_b32 s8, s[0:1], 0x8
	s_load_b128 s[24:27], s[0:1], 0x58
	s_load_b64 s[40:41], s[0:1], 0xa8
	s_load_b256 s[16:23], s[0:1], 0x88
	s_mul_i32 s33, s15, 0xd00
	s_waitcnt lgkmcnt(0)
	s_mul_i32 s4, s5, 0xd00
	s_add_i32 s5, s5, -1
	s_add_u32 s6, s34, s4
	s_addc_u32 s7, s35, 0
	s_load_b128 s[28:31], s[26:27], 0x0
	s_cmp_eq_u32 s15, s5
	v_cmp_lt_u64_e64 s3, s[6:7], s[2:3]
	s_cselect_b32 s14, -1, 0
	s_cmp_lg_u32 s15, s5
	s_cselect_b32 s5, -1, 0
	s_add_i32 s6, s8, s33
	s_delay_alu instid0(VALU_DEP_1) | instskip(SKIP_4) | instid1(VALU_DEP_1)
	s_or_b32 s3, s5, s3
	s_add_i32 s6, s6, s34
	s_and_b32 vcc_lo, exec_lo, s3
	v_add_nc_u32_e32 v1, s6, v0
	s_mov_b32 s5, -1
	v_add_nc_u32_e32 v2, 0x100, v1
	v_add_nc_u32_e32 v3, 0x200, v1
	;; [unrolled: 1-line block ×12, first 2 shown]
	s_cbranch_vccz .LBB36_2
; %bb.1:
	v_lshlrev_b32_e32 v14, 2, v0
	s_mov_b32 s5, 0
	ds_store_2addr_stride64_b32 v14, v1, v2 offset1:4
	ds_store_2addr_stride64_b32 v14, v3, v4 offset0:8 offset1:12
	ds_store_2addr_stride64_b32 v14, v5, v6 offset0:16 offset1:20
	;; [unrolled: 1-line block ×5, first 2 shown]
	ds_store_b32 v14, v13 offset:12288
	s_waitcnt lgkmcnt(0)
	s_barrier
.LBB36_2:
	s_and_not1_b32 vcc_lo, exec_lo, s5
	s_add_i32 s4, s4, s34
	s_cbranch_vccnz .LBB36_4
; %bb.3:
	v_lshlrev_b32_e32 v14, 2, v0
	ds_store_2addr_stride64_b32 v14, v1, v2 offset1:4
	ds_store_2addr_stride64_b32 v14, v3, v4 offset0:8 offset1:12
	ds_store_2addr_stride64_b32 v14, v5, v6 offset0:16 offset1:20
	;; [unrolled: 1-line block ×5, first 2 shown]
	ds_store_b32 v14, v13 offset:12288
	s_waitcnt lgkmcnt(0)
	s_barrier
.LBB36_4:
	v_mul_u32_u24_e32 v28, 13, v0
	s_clause 0x1
	s_load_b128 s[36:39], s[0:1], 0x28
	s_load_b64 s[26:27], s[0:1], 0x38
	s_waitcnt lgkmcnt(0)
	buffer_gl0_inv
	v_cndmask_b32_e64 v26, 0, 1, s3
	s_sub_i32 s44, s2, s4
	v_lshlrev_b32_e32 v1, 2, v28
	s_and_not1_b32 vcc_lo, exec_lo, s3
	ds_load_2addr_b32 v[16:17], v1 offset1:1
	ds_load_2addr_b32 v[14:15], v1 offset0:2 offset1:3
	ds_load_2addr_b32 v[12:13], v1 offset0:4 offset1:5
	;; [unrolled: 1-line block ×5, first 2 shown]
	ds_load_b32 v27, v1 offset:48
	s_waitcnt lgkmcnt(0)
	s_barrier
	buffer_gl0_inv
	s_cbranch_vccnz .LBB36_32
; %bb.5:
	v_add_nc_u32_e32 v1, s17, v16
	v_add_nc_u32_e32 v2, s19, v16
	s_mov_b32 s46, 0
	s_mov_b32 s45, 0
	s_mov_b32 s3, exec_lo
	v_mul_lo_u32 v1, v1, s16
	v_mul_lo_u32 v2, v2, s18
	s_delay_alu instid0(VALU_DEP_1) | instskip(NEXT) | instid1(VALU_DEP_1)
	v_sub_nc_u32_e32 v1, v1, v2
	v_cmp_lt_u32_e32 vcc_lo, s20, v1
	v_cmpx_ge_u32_e64 s20, v1
; %bb.6:
	v_add_nc_u32_e32 v1, s22, v16
	v_add_nc_u32_e32 v2, s40, v16
	s_delay_alu instid0(VALU_DEP_2) | instskip(NEXT) | instid1(VALU_DEP_2)
	v_mul_lo_u32 v1, v1, s21
	v_mul_lo_u32 v2, v2, s23
	s_delay_alu instid0(VALU_DEP_1) | instskip(NEXT) | instid1(VALU_DEP_1)
	v_sub_nc_u32_e32 v1, v1, v2
	v_cmp_lt_u32_e64 s2, s41, v1
	s_delay_alu instid0(VALU_DEP_1)
	s_and_b32 s45, s2, exec_lo
; %bb.7:
	s_or_b32 exec_lo, exec_lo, s3
	v_add_nc_u32_e32 v1, s17, v17
	v_add_nc_u32_e32 v2, s19, v17
	s_mov_b32 s4, exec_lo
	s_delay_alu instid0(VALU_DEP_2) | instskip(NEXT) | instid1(VALU_DEP_2)
	v_mul_lo_u32 v1, v1, s16
	v_mul_lo_u32 v2, v2, s18
	s_delay_alu instid0(VALU_DEP_1) | instskip(NEXT) | instid1(VALU_DEP_1)
	v_sub_nc_u32_e32 v1, v1, v2
	v_cmp_lt_u32_e64 s2, s20, v1
	v_cmpx_ge_u32_e64 s20, v1
; %bb.8:
	v_add_nc_u32_e32 v1, s22, v17
	v_add_nc_u32_e32 v2, s40, v17
	s_delay_alu instid0(VALU_DEP_2) | instskip(NEXT) | instid1(VALU_DEP_2)
	v_mul_lo_u32 v1, v1, s21
	v_mul_lo_u32 v2, v2, s23
	s_delay_alu instid0(VALU_DEP_1) | instskip(NEXT) | instid1(VALU_DEP_1)
	v_sub_nc_u32_e32 v1, v1, v2
	v_cmp_lt_u32_e64 s3, s41, v1
	s_delay_alu instid0(VALU_DEP_1)
	s_and_b32 s46, s3, exec_lo
; %bb.9:
	s_or_b32 exec_lo, exec_lo, s4
	v_add_nc_u32_e32 v1, s17, v14
	v_add_nc_u32_e32 v2, s19, v14
	s_mov_b32 s48, 0
	s_mov_b32 s47, 0
	s_mov_b32 s5, exec_lo
	v_mul_lo_u32 v1, v1, s16
	v_mul_lo_u32 v2, v2, s18
	s_delay_alu instid0(VALU_DEP_1) | instskip(NEXT) | instid1(VALU_DEP_1)
	v_sub_nc_u32_e32 v1, v1, v2
	v_cmp_lt_u32_e64 s3, s20, v1
	v_cmpx_ge_u32_e64 s20, v1
; %bb.10:
	v_add_nc_u32_e32 v1, s22, v14
	v_add_nc_u32_e32 v2, s40, v14
	s_delay_alu instid0(VALU_DEP_2) | instskip(NEXT) | instid1(VALU_DEP_2)
	v_mul_lo_u32 v1, v1, s21
	v_mul_lo_u32 v2, v2, s23
	s_delay_alu instid0(VALU_DEP_1) | instskip(NEXT) | instid1(VALU_DEP_1)
	v_sub_nc_u32_e32 v1, v1, v2
	v_cmp_lt_u32_e64 s4, s41, v1
	s_delay_alu instid0(VALU_DEP_1)
	s_and_b32 s47, s4, exec_lo
; %bb.11:
	s_or_b32 exec_lo, exec_lo, s5
	v_add_nc_u32_e32 v1, s17, v15
	v_add_nc_u32_e32 v2, s19, v15
	s_mov_b32 s6, exec_lo
	s_delay_alu instid0(VALU_DEP_2) | instskip(NEXT) | instid1(VALU_DEP_2)
	v_mul_lo_u32 v1, v1, s16
	v_mul_lo_u32 v2, v2, s18
	s_delay_alu instid0(VALU_DEP_1) | instskip(NEXT) | instid1(VALU_DEP_1)
	v_sub_nc_u32_e32 v1, v1, v2
	v_cmp_lt_u32_e64 s4, s20, v1
	v_cmpx_ge_u32_e64 s20, v1
; %bb.12:
	v_add_nc_u32_e32 v1, s22, v15
	v_add_nc_u32_e32 v2, s40, v15
	s_delay_alu instid0(VALU_DEP_2) | instskip(NEXT) | instid1(VALU_DEP_2)
	v_mul_lo_u32 v1, v1, s21
	v_mul_lo_u32 v2, v2, s23
	s_delay_alu instid0(VALU_DEP_1) | instskip(NEXT) | instid1(VALU_DEP_1)
	v_sub_nc_u32_e32 v1, v1, v2
	v_cmp_lt_u32_e64 s5, s41, v1
	s_delay_alu instid0(VALU_DEP_1)
	s_and_b32 s48, s5, exec_lo
; %bb.13:
	s_or_b32 exec_lo, exec_lo, s6
	v_add_nc_u32_e32 v1, s17, v12
	v_add_nc_u32_e32 v2, s19, v12
	s_mov_b32 s50, 0
	s_mov_b32 s49, 0
	s_mov_b32 s7, exec_lo
	v_mul_lo_u32 v1, v1, s16
	v_mul_lo_u32 v2, v2, s18
	s_delay_alu instid0(VALU_DEP_1) | instskip(NEXT) | instid1(VALU_DEP_1)
	v_sub_nc_u32_e32 v1, v1, v2
	v_cmp_lt_u32_e64 s5, s20, v1
	;; [unrolled: 47-line block ×5, first 2 shown]
	v_cmpx_ge_u32_e64 s20, v1
; %bb.26:
	v_add_nc_u32_e32 v1, s22, v6
	v_add_nc_u32_e32 v2, s40, v6
	s_delay_alu instid0(VALU_DEP_2) | instskip(NEXT) | instid1(VALU_DEP_2)
	v_mul_lo_u32 v1, v1, s21
	v_mul_lo_u32 v2, v2, s23
	s_delay_alu instid0(VALU_DEP_1) | instskip(NEXT) | instid1(VALU_DEP_1)
	v_sub_nc_u32_e32 v1, v1, v2
	v_cmp_lt_u32_e64 s12, s41, v1
	s_delay_alu instid0(VALU_DEP_1)
	s_and_b32 s57, s12, exec_lo
; %bb.27:
	s_or_b32 exec_lo, exec_lo, s13
	v_add_nc_u32_e32 v1, s17, v7
	v_add_nc_u32_e32 v2, s19, v7
	s_mov_b32 s42, exec_lo
	s_delay_alu instid0(VALU_DEP_2) | instskip(NEXT) | instid1(VALU_DEP_2)
	v_mul_lo_u32 v1, v1, s16
	v_mul_lo_u32 v2, v2, s18
	s_delay_alu instid0(VALU_DEP_1) | instskip(NEXT) | instid1(VALU_DEP_1)
	v_sub_nc_u32_e32 v1, v1, v2
	v_cmp_lt_u32_e64 s12, s20, v1
	v_cmpx_ge_u32_e64 s20, v1
; %bb.28:
	v_add_nc_u32_e32 v1, s22, v7
	v_add_nc_u32_e32 v2, s40, v7
	s_delay_alu instid0(VALU_DEP_2) | instskip(NEXT) | instid1(VALU_DEP_2)
	v_mul_lo_u32 v1, v1, s21
	v_mul_lo_u32 v2, v2, s23
	s_delay_alu instid0(VALU_DEP_1) | instskip(NEXT) | instid1(VALU_DEP_1)
	v_sub_nc_u32_e32 v1, v1, v2
	v_cmp_lt_u32_e64 s13, s41, v1
	s_delay_alu instid0(VALU_DEP_1)
	s_and_b32 s56, s13, exec_lo
; %bb.29:
	s_or_b32 exec_lo, exec_lo, s42
	v_add_nc_u32_e32 v1, s17, v27
	v_add_nc_u32_e32 v2, s19, v27
	s_mov_b32 s42, -1
	s_mov_b32 s53, 0
	s_mov_b32 s43, 0
	v_mul_lo_u32 v1, v1, s16
	v_mul_lo_u32 v2, v2, s18
	s_mov_b32 s58, exec_lo
	s_delay_alu instid0(VALU_DEP_1) | instskip(NEXT) | instid1(VALU_DEP_1)
	v_sub_nc_u32_e32 v1, v1, v2
	v_cmpx_ge_u32_e64 s20, v1
; %bb.30:
	v_add_nc_u32_e32 v1, s22, v27
	v_add_nc_u32_e32 v2, s40, v27
	s_xor_b32 s42, exec_lo, -1
	s_delay_alu instid0(VALU_DEP_2) | instskip(NEXT) | instid1(VALU_DEP_2)
	v_mul_lo_u32 v1, v1, s21
	v_mul_lo_u32 v2, v2, s23
	s_delay_alu instid0(VALU_DEP_1) | instskip(NEXT) | instid1(VALU_DEP_1)
	v_sub_nc_u32_e32 v1, v1, v2
	v_cmp_lt_u32_e64 s13, s41, v1
	s_delay_alu instid0(VALU_DEP_1)
	s_and_b32 s43, s13, exec_lo
; %bb.31:
	s_or_b32 exec_lo, exec_lo, s58
	v_cndmask_b32_e64 v48, 0, 1, s57
	v_cndmask_b32_e64 v51, 0, 1, s12
	;; [unrolled: 1-line block ×22, first 2 shown]
	v_cndmask_b32_e64 v29, 0, 1, vcc_lo
	v_cndmask_b32_e64 v52, 0, 1, s56
	s_load_b64 s[4:5], s[0:1], 0x78
	s_and_b32 vcc_lo, exec_lo, s53
	s_add_i32 s3, s44, 0xd00
	s_cbranch_vccnz .LBB36_33
	s_branch .LBB36_86
.LBB36_32:
                                        ; implicit-def: $sgpr42
                                        ; implicit-def: $sgpr43
                                        ; implicit-def: $vgpr52
                                        ; implicit-def: $vgpr48
                                        ; implicit-def: $vgpr47
                                        ; implicit-def: $vgpr45
                                        ; implicit-def: $vgpr43
                                        ; implicit-def: $vgpr40
                                        ; implicit-def: $vgpr39
                                        ; implicit-def: $vgpr37
                                        ; implicit-def: $vgpr35
                                        ; implicit-def: $vgpr29
                                        ; implicit-def: $vgpr33
                                        ; implicit-def: $vgpr31
                                        ; implicit-def: $vgpr32
                                        ; implicit-def: $vgpr38
                                        ; implicit-def: $vgpr41
                                        ; implicit-def: $vgpr42
                                        ; implicit-def: $vgpr44
                                        ; implicit-def: $vgpr46
                                        ; implicit-def: $vgpr49
                                        ; implicit-def: $vgpr50
                                        ; implicit-def: $vgpr51
                                        ; implicit-def: $vgpr30
                                        ; implicit-def: $vgpr34
                                        ; implicit-def: $vgpr36
	s_load_b64 s[4:5], s[0:1], 0x78
	s_add_i32 s3, s44, 0xd00
	s_cbranch_execz .LBB36_86
.LBB36_33:
	v_dual_mov_b32 v30, 0 :: v_dual_mov_b32 v29, 0
	s_mov_b32 s2, 0
	s_mov_b32 s1, exec_lo
	v_cmpx_gt_u32_e64 s3, v28
	s_cbranch_execz .LBB36_37
; %bb.34:
	v_add_nc_u32_e32 v1, s17, v16
	v_add_nc_u32_e32 v2, s19, v16
	s_mov_b32 s6, exec_lo
	s_delay_alu instid0(VALU_DEP_2) | instskip(NEXT) | instid1(VALU_DEP_2)
	v_mul_lo_u32 v1, v1, s16
	v_mul_lo_u32 v2, v2, s18
	s_delay_alu instid0(VALU_DEP_1) | instskip(NEXT) | instid1(VALU_DEP_1)
	v_sub_nc_u32_e32 v1, v1, v2
	v_cmp_lt_u32_e32 vcc_lo, s20, v1
	v_cmpx_ge_u32_e64 s20, v1
; %bb.35:
	v_add_nc_u32_e32 v1, s22, v16
	v_add_nc_u32_e32 v2, s40, v16
	s_delay_alu instid0(VALU_DEP_2) | instskip(NEXT) | instid1(VALU_DEP_2)
	v_mul_lo_u32 v1, v1, s21
	v_mul_lo_u32 v2, v2, s23
	s_delay_alu instid0(VALU_DEP_1) | instskip(NEXT) | instid1(VALU_DEP_1)
	v_sub_nc_u32_e32 v1, v1, v2
	v_cmp_lt_u32_e64 s0, s41, v1
	s_delay_alu instid0(VALU_DEP_1)
	s_and_b32 s2, s0, exec_lo
; %bb.36:
	s_or_b32 exec_lo, exec_lo, s6
	v_cndmask_b32_e64 v29, 0, 1, vcc_lo
	v_cndmask_b32_e64 v30, 0, 1, s2
.LBB36_37:
	s_or_b32 exec_lo, exec_lo, s1
	v_dual_mov_b32 v34, 0 :: v_dual_add_nc_u32 v1, 1, v28
	v_mov_b32_e32 v33, 0
	s_mov_b32 s2, 0
	s_mov_b32 s1, exec_lo
	s_delay_alu instid0(VALU_DEP_2)
	v_cmpx_gt_u32_e64 s3, v1
	s_cbranch_execz .LBB36_41
; %bb.38:
	v_add_nc_u32_e32 v1, s17, v17
	v_add_nc_u32_e32 v2, s19, v17
	s_mov_b32 s6, exec_lo
	s_delay_alu instid0(VALU_DEP_2) | instskip(NEXT) | instid1(VALU_DEP_2)
	v_mul_lo_u32 v1, v1, s16
	v_mul_lo_u32 v2, v2, s18
	s_delay_alu instid0(VALU_DEP_1) | instskip(NEXT) | instid1(VALU_DEP_1)
	v_sub_nc_u32_e32 v1, v1, v2
	v_cmp_lt_u32_e32 vcc_lo, s20, v1
	v_cmpx_ge_u32_e64 s20, v1
; %bb.39:
	v_add_nc_u32_e32 v1, s22, v17
	v_add_nc_u32_e32 v2, s40, v17
	s_delay_alu instid0(VALU_DEP_2) | instskip(NEXT) | instid1(VALU_DEP_2)
	v_mul_lo_u32 v1, v1, s21
	v_mul_lo_u32 v2, v2, s23
	s_delay_alu instid0(VALU_DEP_1) | instskip(NEXT) | instid1(VALU_DEP_1)
	v_sub_nc_u32_e32 v1, v1, v2
	v_cmp_lt_u32_e64 s0, s41, v1
	s_delay_alu instid0(VALU_DEP_1)
	s_and_b32 s2, s0, exec_lo
; %bb.40:
	s_or_b32 exec_lo, exec_lo, s6
	v_cndmask_b32_e64 v33, 0, 1, vcc_lo
	v_cndmask_b32_e64 v34, 0, 1, s2
.LBB36_41:
	s_or_b32 exec_lo, exec_lo, s1
	v_dual_mov_b32 v36, 0 :: v_dual_add_nc_u32 v1, 2, v28
	v_mov_b32_e32 v31, 0
	s_mov_b32 s2, 0
	s_mov_b32 s1, exec_lo
	s_delay_alu instid0(VALU_DEP_2)
	;; [unrolled: 35-line block ×4, first 2 shown]
	v_cmpx_gt_u32_e64 s3, v1
	s_cbranch_execz .LBB36_53
; %bb.50:
	v_add_nc_u32_e32 v1, s17, v12
	v_add_nc_u32_e32 v2, s19, v12
	s_mov_b32 s6, exec_lo
	s_delay_alu instid0(VALU_DEP_2) | instskip(NEXT) | instid1(VALU_DEP_2)
	v_mul_lo_u32 v1, v1, s16
	v_mul_lo_u32 v2, v2, s18
	s_delay_alu instid0(VALU_DEP_1) | instskip(NEXT) | instid1(VALU_DEP_1)
	v_sub_nc_u32_e32 v1, v1, v2
	v_cmp_lt_u32_e32 vcc_lo, s20, v1
	v_cmpx_ge_u32_e64 s20, v1
; %bb.51:
	v_add_nc_u32_e32 v1, s22, v12
	v_add_nc_u32_e32 v2, s40, v12
	s_delay_alu instid0(VALU_DEP_2) | instskip(NEXT) | instid1(VALU_DEP_2)
	v_mul_lo_u32 v1, v1, s21
	v_mul_lo_u32 v2, v2, s23
	s_delay_alu instid0(VALU_DEP_1) | instskip(NEXT) | instid1(VALU_DEP_1)
	v_sub_nc_u32_e32 v1, v1, v2
	v_cmp_lt_u32_e64 s0, s41, v1
	s_delay_alu instid0(VALU_DEP_1)
	s_and_b32 s2, s0, exec_lo
; %bb.52:
	s_or_b32 exec_lo, exec_lo, s6
	v_cndmask_b32_e64 v38, 0, 1, vcc_lo
	v_cndmask_b32_e64 v37, 0, 1, s2
.LBB36_53:
	s_or_b32 exec_lo, exec_lo, s1
	v_add_nc_u32_e32 v1, 5, v28
	v_mov_b32_e32 v39, 0
	v_mov_b32_e32 v41, 0
	s_mov_b32 s2, 0
	s_mov_b32 s1, exec_lo
	v_cmpx_gt_u32_e64 s3, v1
	s_cbranch_execz .LBB36_57
; %bb.54:
	v_add_nc_u32_e32 v1, s17, v13
	v_add_nc_u32_e32 v2, s19, v13
	s_mov_b32 s6, exec_lo
	s_delay_alu instid0(VALU_DEP_2) | instskip(NEXT) | instid1(VALU_DEP_2)
	v_mul_lo_u32 v1, v1, s16
	v_mul_lo_u32 v2, v2, s18
	s_delay_alu instid0(VALU_DEP_1) | instskip(NEXT) | instid1(VALU_DEP_1)
	v_sub_nc_u32_e32 v1, v1, v2
	v_cmp_lt_u32_e32 vcc_lo, s20, v1
	v_cmpx_ge_u32_e64 s20, v1
; %bb.55:
	v_add_nc_u32_e32 v1, s22, v13
	v_add_nc_u32_e32 v2, s40, v13
	s_delay_alu instid0(VALU_DEP_2) | instskip(NEXT) | instid1(VALU_DEP_2)
	v_mul_lo_u32 v1, v1, s21
	v_mul_lo_u32 v2, v2, s23
	s_delay_alu instid0(VALU_DEP_1) | instskip(NEXT) | instid1(VALU_DEP_1)
	v_sub_nc_u32_e32 v1, v1, v2
	v_cmp_lt_u32_e64 s0, s41, v1
	s_delay_alu instid0(VALU_DEP_1)
	s_and_b32 s2, s0, exec_lo
; %bb.56:
	s_or_b32 exec_lo, exec_lo, s6
	v_cndmask_b32_e64 v41, 0, 1, vcc_lo
	v_cndmask_b32_e64 v39, 0, 1, s2
.LBB36_57:
	s_or_b32 exec_lo, exec_lo, s1
	v_dual_mov_b32 v40, 0 :: v_dual_add_nc_u32 v1, 6, v28
	v_mov_b32_e32 v42, 0
	s_mov_b32 s2, 0
	s_mov_b32 s1, exec_lo
	s_delay_alu instid0(VALU_DEP_2)
	v_cmpx_gt_u32_e64 s3, v1
	s_cbranch_execz .LBB36_61
; %bb.58:
	v_add_nc_u32_e32 v1, s17, v10
	v_add_nc_u32_e32 v2, s19, v10
	s_mov_b32 s6, exec_lo
	s_delay_alu instid0(VALU_DEP_2) | instskip(NEXT) | instid1(VALU_DEP_2)
	v_mul_lo_u32 v1, v1, s16
	v_mul_lo_u32 v2, v2, s18
	s_delay_alu instid0(VALU_DEP_1) | instskip(NEXT) | instid1(VALU_DEP_1)
	v_sub_nc_u32_e32 v1, v1, v2
	v_cmp_lt_u32_e32 vcc_lo, s20, v1
	v_cmpx_ge_u32_e64 s20, v1
; %bb.59:
	v_add_nc_u32_e32 v1, s22, v10
	v_add_nc_u32_e32 v2, s40, v10
	s_delay_alu instid0(VALU_DEP_2) | instskip(NEXT) | instid1(VALU_DEP_2)
	v_mul_lo_u32 v1, v1, s21
	v_mul_lo_u32 v2, v2, s23
	s_delay_alu instid0(VALU_DEP_1) | instskip(NEXT) | instid1(VALU_DEP_1)
	v_sub_nc_u32_e32 v1, v1, v2
	v_cmp_lt_u32_e64 s0, s41, v1
	s_delay_alu instid0(VALU_DEP_1)
	s_and_b32 s2, s0, exec_lo
; %bb.60:
	s_or_b32 exec_lo, exec_lo, s6
	v_cndmask_b32_e64 v42, 0, 1, vcc_lo
	v_cndmask_b32_e64 v40, 0, 1, s2
.LBB36_61:
	s_or_b32 exec_lo, exec_lo, s1
	v_dual_mov_b32 v44, 0 :: v_dual_add_nc_u32 v1, 7, v28
	v_mov_b32_e32 v43, 0
	s_mov_b32 s2, 0
	s_mov_b32 s1, exec_lo
	s_delay_alu instid0(VALU_DEP_2)
	;; [unrolled: 35-line block ×3, first 2 shown]
	v_cmpx_gt_u32_e64 s3, v1
	s_cbranch_execz .LBB36_69
; %bb.66:
	v_add_nc_u32_e32 v1, s17, v8
	v_add_nc_u32_e32 v2, s19, v8
	s_mov_b32 s6, exec_lo
	s_delay_alu instid0(VALU_DEP_2) | instskip(NEXT) | instid1(VALU_DEP_2)
	v_mul_lo_u32 v1, v1, s16
	v_mul_lo_u32 v2, v2, s18
	s_delay_alu instid0(VALU_DEP_1) | instskip(NEXT) | instid1(VALU_DEP_1)
	v_sub_nc_u32_e32 v1, v1, v2
	v_cmp_lt_u32_e32 vcc_lo, s20, v1
	v_cmpx_ge_u32_e64 s20, v1
; %bb.67:
	v_add_nc_u32_e32 v1, s22, v8
	v_add_nc_u32_e32 v2, s40, v8
	s_delay_alu instid0(VALU_DEP_2) | instskip(NEXT) | instid1(VALU_DEP_2)
	v_mul_lo_u32 v1, v1, s21
	v_mul_lo_u32 v2, v2, s23
	s_delay_alu instid0(VALU_DEP_1) | instskip(NEXT) | instid1(VALU_DEP_1)
	v_sub_nc_u32_e32 v1, v1, v2
	v_cmp_lt_u32_e64 s0, s41, v1
	s_delay_alu instid0(VALU_DEP_1)
	s_and_b32 s2, s0, exec_lo
; %bb.68:
	s_or_b32 exec_lo, exec_lo, s6
	v_cndmask_b32_e64 v46, 0, 1, vcc_lo
	v_cndmask_b32_e64 v45, 0, 1, s2
.LBB36_69:
	s_or_b32 exec_lo, exec_lo, s1
	v_add_nc_u32_e32 v1, 9, v28
	v_mov_b32_e32 v47, 0
	v_mov_b32_e32 v49, 0
	s_mov_b32 s2, 0
	s_mov_b32 s1, exec_lo
	v_cmpx_gt_u32_e64 s3, v1
	s_cbranch_execz .LBB36_73
; %bb.70:
	v_add_nc_u32_e32 v1, s17, v9
	v_add_nc_u32_e32 v2, s19, v9
	s_mov_b32 s6, exec_lo
	s_delay_alu instid0(VALU_DEP_2) | instskip(NEXT) | instid1(VALU_DEP_2)
	v_mul_lo_u32 v1, v1, s16
	v_mul_lo_u32 v2, v2, s18
	s_delay_alu instid0(VALU_DEP_1) | instskip(NEXT) | instid1(VALU_DEP_1)
	v_sub_nc_u32_e32 v1, v1, v2
	v_cmp_lt_u32_e32 vcc_lo, s20, v1
	v_cmpx_ge_u32_e64 s20, v1
; %bb.71:
	v_add_nc_u32_e32 v1, s22, v9
	v_add_nc_u32_e32 v2, s40, v9
	s_delay_alu instid0(VALU_DEP_2) | instskip(NEXT) | instid1(VALU_DEP_2)
	v_mul_lo_u32 v1, v1, s21
	v_mul_lo_u32 v2, v2, s23
	s_delay_alu instid0(VALU_DEP_1) | instskip(NEXT) | instid1(VALU_DEP_1)
	v_sub_nc_u32_e32 v1, v1, v2
	v_cmp_lt_u32_e64 s0, s41, v1
	s_delay_alu instid0(VALU_DEP_1)
	s_and_b32 s2, s0, exec_lo
; %bb.72:
	s_or_b32 exec_lo, exec_lo, s6
	v_cndmask_b32_e64 v49, 0, 1, vcc_lo
	v_cndmask_b32_e64 v47, 0, 1, s2
.LBB36_73:
	s_or_b32 exec_lo, exec_lo, s1
	v_dual_mov_b32 v48, 0 :: v_dual_add_nc_u32 v1, 10, v28
	v_mov_b32_e32 v50, 0
	s_mov_b32 s2, 0
	s_mov_b32 s1, exec_lo
	s_delay_alu instid0(VALU_DEP_2)
	v_cmpx_gt_u32_e64 s3, v1
	s_cbranch_execz .LBB36_77
; %bb.74:
	v_add_nc_u32_e32 v1, s17, v6
	v_add_nc_u32_e32 v2, s19, v6
	s_mov_b32 s6, exec_lo
	s_delay_alu instid0(VALU_DEP_2) | instskip(NEXT) | instid1(VALU_DEP_2)
	v_mul_lo_u32 v1, v1, s16
	v_mul_lo_u32 v2, v2, s18
	s_delay_alu instid0(VALU_DEP_1) | instskip(NEXT) | instid1(VALU_DEP_1)
	v_sub_nc_u32_e32 v1, v1, v2
	v_cmp_lt_u32_e32 vcc_lo, s20, v1
	v_cmpx_ge_u32_e64 s20, v1
; %bb.75:
	v_add_nc_u32_e32 v1, s22, v6
	v_add_nc_u32_e32 v2, s40, v6
	s_delay_alu instid0(VALU_DEP_2) | instskip(NEXT) | instid1(VALU_DEP_2)
	v_mul_lo_u32 v1, v1, s21
	v_mul_lo_u32 v2, v2, s23
	s_delay_alu instid0(VALU_DEP_1) | instskip(NEXT) | instid1(VALU_DEP_1)
	v_sub_nc_u32_e32 v1, v1, v2
	v_cmp_lt_u32_e64 s0, s41, v1
	s_delay_alu instid0(VALU_DEP_1)
	s_and_b32 s2, s0, exec_lo
; %bb.76:
	s_or_b32 exec_lo, exec_lo, s6
	v_cndmask_b32_e64 v50, 0, 1, vcc_lo
	v_cndmask_b32_e64 v48, 0, 1, s2
.LBB36_77:
	s_or_b32 exec_lo, exec_lo, s1
	v_dual_mov_b32 v52, 0 :: v_dual_add_nc_u32 v1, 11, v28
	v_mov_b32_e32 v51, 0
	s_mov_b32 s2, 0
	s_mov_b32 s1, exec_lo
	s_delay_alu instid0(VALU_DEP_2)
	v_cmpx_gt_u32_e64 s3, v1
	s_cbranch_execz .LBB36_81
; %bb.78:
	v_add_nc_u32_e32 v1, s17, v7
	v_add_nc_u32_e32 v2, s19, v7
	s_mov_b32 s6, exec_lo
	s_delay_alu instid0(VALU_DEP_2) | instskip(NEXT) | instid1(VALU_DEP_2)
	v_mul_lo_u32 v1, v1, s16
	v_mul_lo_u32 v2, v2, s18
	s_delay_alu instid0(VALU_DEP_1) | instskip(NEXT) | instid1(VALU_DEP_1)
	v_sub_nc_u32_e32 v1, v1, v2
	v_cmp_lt_u32_e32 vcc_lo, s20, v1
	v_cmpx_ge_u32_e64 s20, v1
; %bb.79:
	v_add_nc_u32_e32 v1, s22, v7
	v_add_nc_u32_e32 v2, s40, v7
	s_delay_alu instid0(VALU_DEP_2) | instskip(NEXT) | instid1(VALU_DEP_2)
	v_mul_lo_u32 v1, v1, s21
	v_mul_lo_u32 v2, v2, s23
	s_delay_alu instid0(VALU_DEP_1) | instskip(NEXT) | instid1(VALU_DEP_1)
	v_sub_nc_u32_e32 v1, v1, v2
	v_cmp_lt_u32_e64 s0, s41, v1
	s_delay_alu instid0(VALU_DEP_1)
	s_and_b32 s2, s0, exec_lo
; %bb.80:
	s_or_b32 exec_lo, exec_lo, s6
	v_cndmask_b32_e64 v51, 0, 1, vcc_lo
	v_cndmask_b32_e64 v52, 0, 1, s2
.LBB36_81:
	s_or_b32 exec_lo, exec_lo, s1
	v_add_nc_u32_e32 v1, 12, v28
	s_mov_b32 s42, 0
	s_mov_b32 s43, 0
	s_mov_b32 s0, exec_lo
	s_delay_alu instid0(VALU_DEP_1)
	v_cmpx_gt_u32_e64 s3, v1
	s_cbranch_execz .LBB36_85
; %bb.82:
	v_add_nc_u32_e32 v1, s17, v27
	v_add_nc_u32_e32 v2, s19, v27
	s_mov_b32 s2, -1
	s_mov_b32 s6, 0
	s_mov_b32 s1, exec_lo
	v_mul_lo_u32 v1, v1, s16
	v_mul_lo_u32 v2, v2, s18
	s_delay_alu instid0(VALU_DEP_1) | instskip(NEXT) | instid1(VALU_DEP_1)
	v_sub_nc_u32_e32 v1, v1, v2
	v_cmpx_ge_u32_e64 s20, v1
; %bb.83:
	v_add_nc_u32_e32 v1, s22, v27
	v_add_nc_u32_e32 v2, s40, v27
	s_xor_b32 s2, exec_lo, -1
	s_delay_alu instid0(VALU_DEP_2) | instskip(NEXT) | instid1(VALU_DEP_2)
	v_mul_lo_u32 v1, v1, s21
	v_mul_lo_u32 v2, v2, s23
	s_delay_alu instid0(VALU_DEP_1) | instskip(NEXT) | instid1(VALU_DEP_1)
	v_sub_nc_u32_e32 v1, v1, v2
	v_cmp_lt_u32_e32 vcc_lo, s41, v1
	s_and_b32 s6, vcc_lo, exec_lo
; %bb.84:
	s_or_b32 exec_lo, exec_lo, s1
	s_delay_alu instid0(SALU_CYCLE_1)
	s_and_b32 s43, s6, exec_lo
	s_and_b32 s42, s2, exec_lo
.LBB36_85:
	s_or_b32 exec_lo, exec_lo, s0
.LBB36_86:
	v_and_b32_e32 v75, 0xff, v29
	v_and_b32_e32 v76, 0xff, v30
	;; [unrolled: 1-line block ×10, first 2 shown]
	v_add3_u32 v1, v71, v73, v75
	v_add3_u32 v2, v72, v74, v76
	v_and_b32_e32 v65, 0xff, v41
	v_and_b32_e32 v66, 0xff, v39
	v_and_b32_e32 v61, 0xff, v42
	v_and_b32_e32 v62, 0xff, v40
	v_add3_u32 v1, v1, v69, v67
	v_add3_u32 v2, v2, v70, v68
	v_and_b32_e32 v63, 0xff, v44
	v_and_b32_e32 v64, 0xff, v43
	v_and_b32_e32 v59, 0xff, v46
	v_and_b32_e32 v60, 0xff, v45
	;; [unrolled: 6-line block ×3, first 2 shown]
	v_add3_u32 v1, v1, v63, v59
	v_add3_u32 v2, v2, v64, v60
	v_mbcnt_lo_u32_b32 v77, -1, 0
	v_and_b32_e32 v53, 0xff, v51
	v_and_b32_e32 v54, 0xff, v52
	v_cndmask_b32_e64 v3, 0, 1, s43
	v_add3_u32 v1, v1, v57, v55
	v_cndmask_b32_e64 v4, 0, 1, s42
	v_add3_u32 v2, v2, v58, v56
	v_and_b32_e32 v81, 15, v77
	v_and_b32_e32 v80, 16, v77
	v_lshrrev_b32_e32 v78, 5, v0
	v_add3_u32 v82, v1, v53, v4
	v_add3_u32 v83, v2, v54, v3
	v_cmp_eq_u32_e64 s1, 0, v81
	v_cmp_lt_u32_e64 s0, 1, v81
	v_cmp_lt_u32_e64 s2, 3, v81
	v_cmp_lt_u32_e32 vcc_lo, 7, v81
	v_or_b32_e32 v79, 31, v0
	s_cmp_lg_u32 s15, 0
	s_mov_b32 s6, -1
	s_cbranch_scc0 .LBB36_119
; %bb.87:
	v_mov_b32_dpp v1, v83 row_shr:1 row_mask:0xf bank_mask:0xf
	v_mov_b32_dpp v2, v82 row_shr:1 row_mask:0xf bank_mask:0xf
	s_delay_alu instid0(VALU_DEP_2) | instskip(NEXT) | instid1(VALU_DEP_1)
	v_add_nc_u32_e32 v1, v1, v83
	v_cndmask_b32_e64 v1, v1, v83, s1
	s_delay_alu instid0(VALU_DEP_1) | instskip(NEXT) | instid1(VALU_DEP_1)
	v_mov_b32_dpp v3, v1 row_shr:2 row_mask:0xf bank_mask:0xf
	v_add_nc_u32_e32 v3, v1, v3
	s_delay_alu instid0(VALU_DEP_1) | instskip(NEXT) | instid1(VALU_DEP_1)
	v_cndmask_b32_e64 v1, v1, v3, s0
	v_mov_b32_dpp v3, v1 row_shr:4 row_mask:0xf bank_mask:0xf
	s_delay_alu instid0(VALU_DEP_1) | instskip(NEXT) | instid1(VALU_DEP_1)
	v_add_nc_u32_e32 v3, v1, v3
	v_cndmask_b32_e64 v1, v1, v3, s2
	s_delay_alu instid0(VALU_DEP_1) | instskip(NEXT) | instid1(VALU_DEP_1)
	v_mov_b32_dpp v3, v1 row_shr:8 row_mask:0xf bank_mask:0xf
	v_add_nc_u32_e32 v3, v1, v3
	s_delay_alu instid0(VALU_DEP_1) | instskip(NEXT) | instid1(VALU_DEP_1)
	v_dual_cndmask_b32 v1, v1, v3 :: v_dual_add_nc_u32 v2, v2, v82
	v_cndmask_b32_e64 v2, v2, v82, s1
	s_delay_alu instid0(VALU_DEP_1) | instskip(NEXT) | instid1(VALU_DEP_1)
	v_mov_b32_dpp v4, v2 row_shr:2 row_mask:0xf bank_mask:0xf
	v_add_nc_u32_e32 v4, v2, v4
	s_delay_alu instid0(VALU_DEP_1) | instskip(NEXT) | instid1(VALU_DEP_1)
	v_cndmask_b32_e64 v2, v2, v4, s0
	v_mov_b32_dpp v4, v2 row_shr:4 row_mask:0xf bank_mask:0xf
	s_delay_alu instid0(VALU_DEP_1) | instskip(NEXT) | instid1(VALU_DEP_1)
	v_add_nc_u32_e32 v4, v2, v4
	v_cndmask_b32_e64 v2, v2, v4, s2
	s_mov_b32 s2, exec_lo
	s_delay_alu instid0(VALU_DEP_1) | instskip(NEXT) | instid1(VALU_DEP_1)
	v_mov_b32_dpp v4, v2 row_shr:8 row_mask:0xf bank_mask:0xf
	v_add_nc_u32_e32 v4, v2, v4
	s_delay_alu instid0(VALU_DEP_1)
	v_cndmask_b32_e32 v3, v2, v4, vcc_lo
	ds_swizzle_b32 v2, v1 offset:swizzle(BROADCAST,32,15)
	v_cmp_eq_u32_e32 vcc_lo, 0, v80
	s_waitcnt lgkmcnt(0)
	v_add_nc_u32_e32 v2, v1, v2
	ds_swizzle_b32 v4, v3 offset:swizzle(BROADCAST,32,15)
	v_cndmask_b32_e32 v2, v2, v1, vcc_lo
	s_waitcnt lgkmcnt(0)
	v_add_nc_u32_e32 v4, v3, v4
	s_delay_alu instid0(VALU_DEP_1)
	v_cndmask_b32_e32 v1, v4, v3, vcc_lo
	v_cmpx_eq_u32_e64 v79, v0
	s_cbranch_execz .LBB36_89
; %bb.88:
	v_lshlrev_b32_e32 v3, 3, v78
	ds_store_b64 v3, v[1:2]
.LBB36_89:
	s_or_b32 exec_lo, exec_lo, s2
	s_delay_alu instid0(SALU_CYCLE_1)
	s_mov_b32 s2, exec_lo
	s_waitcnt lgkmcnt(0)
	s_barrier
	buffer_gl0_inv
	v_cmpx_gt_u32_e32 8, v0
	s_cbranch_execz .LBB36_91
; %bb.90:
	v_lshlrev_b32_e32 v5, 3, v0
	ds_load_b64 v[3:4], v5
	s_waitcnt lgkmcnt(0)
	v_mov_b32_dpp v18, v3 row_shr:1 row_mask:0xf bank_mask:0xf
	v_mov_b32_dpp v19, v4 row_shr:1 row_mask:0xf bank_mask:0xf
	s_delay_alu instid0(VALU_DEP_2) | instskip(SKIP_1) | instid1(VALU_DEP_3)
	v_add_nc_u32_e32 v18, v18, v3
	v_and_b32_e32 v20, 7, v77
	v_add_nc_u32_e32 v19, v19, v4
	s_delay_alu instid0(VALU_DEP_2) | instskip(NEXT) | instid1(VALU_DEP_2)
	v_cmp_eq_u32_e32 vcc_lo, 0, v20
	v_dual_cndmask_b32 v4, v19, v4 :: v_dual_cndmask_b32 v3, v18, v3
	v_cmp_lt_u32_e32 vcc_lo, 1, v20
	s_delay_alu instid0(VALU_DEP_2) | instskip(NEXT) | instid1(VALU_DEP_3)
	v_mov_b32_dpp v19, v4 row_shr:2 row_mask:0xf bank_mask:0xf
	v_mov_b32_dpp v18, v3 row_shr:2 row_mask:0xf bank_mask:0xf
	s_delay_alu instid0(VALU_DEP_2) | instskip(NEXT) | instid1(VALU_DEP_2)
	v_add_nc_u32_e32 v19, v4, v19
	v_add_nc_u32_e32 v18, v3, v18
	s_delay_alu instid0(VALU_DEP_1) | instskip(SKIP_1) | instid1(VALU_DEP_2)
	v_dual_cndmask_b32 v4, v4, v19 :: v_dual_cndmask_b32 v3, v3, v18
	v_cmp_lt_u32_e32 vcc_lo, 3, v20
	v_mov_b32_dpp v19, v4 row_shr:4 row_mask:0xf bank_mask:0xf
	s_delay_alu instid0(VALU_DEP_3) | instskip(NEXT) | instid1(VALU_DEP_1)
	v_mov_b32_dpp v18, v3 row_shr:4 row_mask:0xf bank_mask:0xf
	v_dual_cndmask_b32 v19, 0, v19 :: v_dual_cndmask_b32 v18, 0, v18
	s_delay_alu instid0(VALU_DEP_1) | instskip(NEXT) | instid1(VALU_DEP_2)
	v_add_nc_u32_e32 v4, v19, v4
	v_add_nc_u32_e32 v3, v18, v3
	ds_store_b64 v5, v[3:4]
.LBB36_91:
	s_or_b32 exec_lo, exec_lo, s2
	v_cmp_gt_u32_e32 vcc_lo, 32, v0
	v_cmp_lt_u32_e64 s2, 31, v0
	s_waitcnt lgkmcnt(0)
	s_barrier
	buffer_gl0_inv
                                        ; implicit-def: $vgpr19
	s_and_saveexec_b32 s6, s2
	s_delay_alu instid0(SALU_CYCLE_1)
	s_xor_b32 s2, exec_lo, s6
	s_cbranch_execz .LBB36_93
; %bb.92:
	v_lshl_add_u32 v3, v78, 3, -8
	ds_load_b64 v[18:19], v3
	s_waitcnt lgkmcnt(0)
	v_add_nc_u32_e32 v2, v19, v2
	v_add_nc_u32_e32 v1, v18, v1
.LBB36_93:
	s_and_not1_saveexec_b32 s2, s2
; %bb.94:
                                        ; implicit-def: $vgpr18
; %bb.95:
	s_delay_alu instid0(SALU_CYCLE_1) | instskip(SKIP_1) | instid1(VALU_DEP_1)
	s_or_b32 exec_lo, exec_lo, s2
	v_add_nc_u32_e32 v3, -1, v77
	v_cmp_gt_i32_e64 s2, 0, v3
	s_delay_alu instid0(VALU_DEP_1) | instskip(SKIP_1) | instid1(VALU_DEP_2)
	v_cndmask_b32_e64 v3, v3, v77, s2
	v_cmp_eq_u32_e64 s2, 0, v77
	v_lshlrev_b32_e32 v3, 2, v3
	ds_bpermute_b32 v84, v3, v1
	ds_bpermute_b32 v85, v3, v2
	s_and_saveexec_b32 s6, vcc_lo
	s_cbranch_execz .LBB36_118
; %bb.96:
	v_mov_b32_e32 v4, 0
	ds_load_b64 v[1:2], v4 offset:56
	s_waitcnt lgkmcnt(0)
	v_readfirstlane_b32 s7, v2
	s_and_saveexec_b32 s8, s2
	s_cbranch_execz .LBB36_98
; %bb.97:
	s_add_i32 s10, s15, 32
	s_mov_b32 s11, 0
	v_mov_b32_e32 v3, 1
	s_lshl_b64 s[12:13], s[10:11], 4
	s_mov_b32 s16, s11
	s_add_u32 s12, s4, s12
	s_addc_u32 s13, s5, s13
	s_and_b32 s17, s7, 0xff000000
	s_and_b32 s19, s7, 0xff0000
	s_mov_b32 s18, s11
	v_dual_mov_b32 v21, s13 :: v_dual_mov_b32 v20, s12
	s_or_b64 s[16:17], s[18:19], s[16:17]
	s_and_b32 s19, s7, 0xff00
	s_delay_alu instid0(SALU_CYCLE_1) | instskip(SKIP_1) | instid1(SALU_CYCLE_1)
	s_or_b64 s[16:17], s[16:17], s[18:19]
	s_and_b32 s19, s7, 0xff
	s_or_b64 s[10:11], s[16:17], s[18:19]
	s_delay_alu instid0(SALU_CYCLE_1)
	v_mov_b32_e32 v2, s11
	;;#ASMSTART
	global_store_dwordx4 v[20:21], v[1:4] off	
s_waitcnt vmcnt(0)
	;;#ASMEND
.LBB36_98:
	s_or_b32 exec_lo, exec_lo, s8
	v_xad_u32 v20, v77, -1, s15
	s_mov_b32 s9, 0
	s_mov_b32 s8, exec_lo
	s_delay_alu instid0(VALU_DEP_1) | instskip(NEXT) | instid1(VALU_DEP_1)
	v_add_nc_u32_e32 v3, 32, v20
	v_lshlrev_b64 v[2:3], 4, v[3:4]
	s_delay_alu instid0(VALU_DEP_1) | instskip(NEXT) | instid1(VALU_DEP_2)
	v_add_co_u32 v21, vcc_lo, s4, v2
	v_add_co_ci_u32_e32 v22, vcc_lo, s5, v3, vcc_lo
	;;#ASMSTART
	global_load_dwordx4 v[2:5], v[21:22] off glc	
s_waitcnt vmcnt(0)
	;;#ASMEND
	v_and_b32_e32 v5, 0xff, v3
	v_and_b32_e32 v23, 0xff00, v3
	v_or3_b32 v2, v2, 0, 0
	v_and_b32_e32 v24, 0xff000000, v3
	v_and_b32_e32 v3, 0xff0000, v3
	s_delay_alu instid0(VALU_DEP_4) | instskip(SKIP_2) | instid1(VALU_DEP_3)
	v_or3_b32 v5, 0, v5, v23
	v_and_b32_e32 v23, 0xff, v4
	v_or3_b32 v2, v2, 0, 0
	v_or3_b32 v3, v5, v3, v24
	s_delay_alu instid0(VALU_DEP_3)
	v_cmpx_eq_u16_e32 0, v23
	s_cbranch_execz .LBB36_104
; %bb.99:
	s_mov_b32 s10, 1
	.p2align	6
.LBB36_100:                             ; =>This Loop Header: Depth=1
                                        ;     Child Loop BB36_101 Depth 2
	s_delay_alu instid0(SALU_CYCLE_1)
	s_max_u32 s11, s10, 1
.LBB36_101:                             ;   Parent Loop BB36_100 Depth=1
                                        ; =>  This Inner Loop Header: Depth=2
	s_delay_alu instid0(SALU_CYCLE_1)
	s_add_i32 s11, s11, -1
	s_sleep 1
	s_cmp_eq_u32 s11, 0
	s_cbranch_scc0 .LBB36_101
; %bb.102:                              ;   in Loop: Header=BB36_100 Depth=1
	;;#ASMSTART
	global_load_dwordx4 v[2:5], v[21:22] off glc	
s_waitcnt vmcnt(0)
	;;#ASMEND
	v_and_b32_e32 v5, 0xff, v4
	s_cmp_lt_u32 s10, 32
	s_cselect_b32 s11, -1, 0
	s_delay_alu instid0(SALU_CYCLE_1) | instskip(NEXT) | instid1(VALU_DEP_1)
	s_cmp_lg_u32 s11, 0
	v_cmp_ne_u16_e32 vcc_lo, 0, v5
	s_addc_u32 s10, s10, 0
	s_or_b32 s9, vcc_lo, s9
	s_delay_alu instid0(SALU_CYCLE_1)
	s_and_not1_b32 exec_lo, exec_lo, s9
	s_cbranch_execnz .LBB36_100
; %bb.103:
	s_or_b32 exec_lo, exec_lo, s9
.LBB36_104:
	s_delay_alu instid0(SALU_CYCLE_1)
	s_or_b32 exec_lo, exec_lo, s8
	v_cmp_ne_u32_e32 vcc_lo, 31, v77
	v_lshlrev_b32_e64 v87, v77, -1
	v_add_nc_u32_e32 v91, 4, v77
	v_add_nc_u32_e32 v93, 8, v77
	;; [unrolled: 1-line block ×3, first 2 shown]
	v_add_co_ci_u32_e32 v5, vcc_lo, 0, v77, vcc_lo
	s_delay_alu instid0(VALU_DEP_1)
	v_lshlrev_b32_e32 v86, 2, v5
	ds_bpermute_b32 v21, v86, v3
	ds_bpermute_b32 v5, v86, v2
	s_waitcnt lgkmcnt(1)
	v_add_nc_u32_e32 v21, v21, v3
	v_and_b32_e32 v22, 0xff, v4
	s_waitcnt lgkmcnt(0)
	v_add_nc_u32_e32 v5, v5, v2
	s_delay_alu instid0(VALU_DEP_2) | instskip(SKIP_2) | instid1(VALU_DEP_2)
	v_cmp_eq_u16_e32 vcc_lo, 2, v22
	v_and_or_b32 v22, vcc_lo, v87, 0x80000000
	v_cmp_gt_u32_e32 vcc_lo, 30, v77
	v_ctz_i32_b32_e32 v22, v22
	v_cndmask_b32_e64 v23, 0, 1, vcc_lo
	s_delay_alu instid0(VALU_DEP_2) | instskip(NEXT) | instid1(VALU_DEP_2)
	v_cmp_lt_u32_e32 vcc_lo, v77, v22
	v_dual_cndmask_b32 v2, v2, v5 :: v_dual_lshlrev_b32 v23, 1, v23
	s_delay_alu instid0(VALU_DEP_1)
	v_add_lshl_u32 v88, v23, v77, 2
	v_cndmask_b32_e32 v3, v3, v21, vcc_lo
	v_cmp_gt_u32_e32 vcc_lo, 28, v77
	ds_bpermute_b32 v5, v88, v2
	ds_bpermute_b32 v21, v88, v3
	v_cndmask_b32_e64 v23, 0, 1, vcc_lo
	s_waitcnt lgkmcnt(1)
	v_add_nc_u32_e32 v5, v2, v5
	v_add_nc_u32_e32 v89, 2, v77
	s_waitcnt lgkmcnt(0)
	v_add_nc_u32_e32 v21, v3, v21
	s_delay_alu instid0(VALU_DEP_2) | instskip(SKIP_1) | instid1(VALU_DEP_3)
	v_cmp_gt_u32_e32 vcc_lo, v89, v22
	v_dual_cndmask_b32 v2, v5, v2 :: v_dual_lshlrev_b32 v23, 2, v23
	v_cndmask_b32_e32 v3, v21, v3, vcc_lo
	v_cmp_gt_u32_e32 vcc_lo, 24, v77
	s_delay_alu instid0(VALU_DEP_3)
	v_add_lshl_u32 v90, v23, v77, 2
	v_cndmask_b32_e64 v23, 0, 1, vcc_lo
	v_cmp_gt_u32_e32 vcc_lo, v91, v22
	ds_bpermute_b32 v5, v90, v2
	ds_bpermute_b32 v21, v90, v3
	v_lshlrev_b32_e32 v23, 3, v23
	s_delay_alu instid0(VALU_DEP_1) | instskip(SKIP_3) | instid1(VALU_DEP_1)
	v_add_lshl_u32 v92, v23, v77, 2
	s_waitcnt lgkmcnt(1)
	v_add_nc_u32_e32 v5, v2, v5
	s_waitcnt lgkmcnt(0)
	v_dual_cndmask_b32 v2, v5, v2 :: v_dual_add_nc_u32 v21, v3, v21
	s_delay_alu instid0(VALU_DEP_1)
	v_cndmask_b32_e32 v3, v21, v3, vcc_lo
	v_cmp_gt_u32_e32 vcc_lo, 16, v77
	ds_bpermute_b32 v5, v92, v2
	ds_bpermute_b32 v21, v92, v3
	v_cndmask_b32_e64 v23, 0, 1, vcc_lo
	v_cmp_gt_u32_e32 vcc_lo, v93, v22
	s_delay_alu instid0(VALU_DEP_2) | instskip(NEXT) | instid1(VALU_DEP_1)
	v_lshlrev_b32_e32 v23, 4, v23
	v_add_lshl_u32 v94, v23, v77, 2
	s_waitcnt lgkmcnt(1)
	v_add_nc_u32_e32 v5, v2, v5
	s_waitcnt lgkmcnt(0)
	s_delay_alu instid0(VALU_DEP_1) | instskip(NEXT) | instid1(VALU_DEP_1)
	v_dual_cndmask_b32 v2, v5, v2 :: v_dual_add_nc_u32 v21, v3, v21
	v_cndmask_b32_e32 v3, v21, v3, vcc_lo
	v_cmp_le_u32_e32 vcc_lo, v95, v22
	ds_bpermute_b32 v5, v94, v2
	ds_bpermute_b32 v21, v94, v3
	s_waitcnt lgkmcnt(1)
	v_cndmask_b32_e32 v5, 0, v5, vcc_lo
	s_waitcnt lgkmcnt(0)
	s_delay_alu instid0(VALU_DEP_1) | instskip(NEXT) | instid1(VALU_DEP_1)
	v_dual_cndmask_b32 v21, 0, v21 :: v_dual_add_nc_u32 v2, v5, v2
	v_add_nc_u32_e32 v3, v21, v3
	v_mov_b32_e32 v21, 0
	s_branch .LBB36_106
.LBB36_105:                             ;   in Loop: Header=BB36_106 Depth=1
	s_or_b32 exec_lo, exec_lo, s8
	ds_bpermute_b32 v5, v86, v2
	ds_bpermute_b32 v24, v86, v3
	v_subrev_nc_u32_e32 v20, 32, v20
	s_waitcnt lgkmcnt(1)
	v_add_nc_u32_e32 v5, v5, v2
	v_and_b32_e32 v25, 0xff, v4
	s_waitcnt lgkmcnt(0)
	v_add_nc_u32_e32 v24, v24, v3
	s_delay_alu instid0(VALU_DEP_2) | instskip(SKIP_1) | instid1(VALU_DEP_1)
	v_cmp_eq_u16_e32 vcc_lo, 2, v25
	v_and_or_b32 v25, vcc_lo, v87, 0x80000000
	v_ctz_i32_b32_e32 v25, v25
	s_delay_alu instid0(VALU_DEP_1)
	v_cmp_lt_u32_e32 vcc_lo, v77, v25
	v_cndmask_b32_e32 v2, v2, v5, vcc_lo
	ds_bpermute_b32 v5, v88, v2
	s_waitcnt lgkmcnt(0)
	v_add_nc_u32_e32 v5, v2, v5
	v_cndmask_b32_e32 v3, v3, v24, vcc_lo
	v_cmp_gt_u32_e32 vcc_lo, v89, v25
	s_delay_alu instid0(VALU_DEP_3)
	v_cndmask_b32_e32 v2, v5, v2, vcc_lo
	ds_bpermute_b32 v24, v88, v3
	ds_bpermute_b32 v5, v90, v2
	s_waitcnt lgkmcnt(1)
	v_add_nc_u32_e32 v24, v3, v24
	s_waitcnt lgkmcnt(0)
	v_add_nc_u32_e32 v5, v2, v5
	s_delay_alu instid0(VALU_DEP_2) | instskip(SKIP_1) | instid1(VALU_DEP_3)
	v_cndmask_b32_e32 v3, v24, v3, vcc_lo
	v_cmp_gt_u32_e32 vcc_lo, v91, v25
	v_cndmask_b32_e32 v2, v5, v2, vcc_lo
	ds_bpermute_b32 v24, v90, v3
	ds_bpermute_b32 v5, v92, v2
	s_waitcnt lgkmcnt(1)
	v_add_nc_u32_e32 v24, v3, v24
	s_waitcnt lgkmcnt(0)
	v_add_nc_u32_e32 v5, v2, v5
	s_delay_alu instid0(VALU_DEP_2) | instskip(SKIP_1) | instid1(VALU_DEP_3)
	v_cndmask_b32_e32 v3, v24, v3, vcc_lo
	v_cmp_gt_u32_e32 vcc_lo, v93, v25
	v_cndmask_b32_e32 v2, v5, v2, vcc_lo
	ds_bpermute_b32 v24, v92, v3
	ds_bpermute_b32 v5, v94, v2
	s_waitcnt lgkmcnt(1)
	v_add_nc_u32_e32 v24, v3, v24
	s_delay_alu instid0(VALU_DEP_1) | instskip(SKIP_4) | instid1(VALU_DEP_1)
	v_cndmask_b32_e32 v3, v24, v3, vcc_lo
	v_cmp_le_u32_e32 vcc_lo, v95, v25
	ds_bpermute_b32 v24, v94, v3
	s_waitcnt lgkmcnt(1)
	v_cndmask_b32_e32 v5, 0, v5, vcc_lo
	v_add3_u32 v2, v2, v22, v5
	s_waitcnt lgkmcnt(0)
	v_cndmask_b32_e32 v24, 0, v24, vcc_lo
	s_delay_alu instid0(VALU_DEP_1)
	v_add3_u32 v3, v3, v23, v24
.LBB36_106:                             ; =>This Loop Header: Depth=1
                                        ;     Child Loop BB36_109 Depth 2
                                        ;       Child Loop BB36_110 Depth 3
	s_delay_alu instid0(VALU_DEP_1) | instskip(SKIP_1) | instid1(VALU_DEP_2)
	v_dual_mov_b32 v23, v3 :: v_dual_and_b32 v4, 0xff, v4
	v_mov_b32_e32 v22, v2
	v_cmp_ne_u16_e32 vcc_lo, 2, v4
	v_cndmask_b32_e64 v4, 0, 1, vcc_lo
	;;#ASMSTART
	;;#ASMEND
	s_delay_alu instid0(VALU_DEP_1)
	v_cmp_ne_u32_e32 vcc_lo, 0, v4
	s_cmp_lg_u32 vcc_lo, exec_lo
	s_cbranch_scc1 .LBB36_113
; %bb.107:                              ;   in Loop: Header=BB36_106 Depth=1
	v_lshlrev_b64 v[2:3], 4, v[20:21]
	s_mov_b32 s8, exec_lo
	s_delay_alu instid0(VALU_DEP_1) | instskip(NEXT) | instid1(VALU_DEP_2)
	v_add_co_u32 v24, vcc_lo, s4, v2
	v_add_co_ci_u32_e32 v25, vcc_lo, s5, v3, vcc_lo
	;;#ASMSTART
	global_load_dwordx4 v[2:5], v[24:25] off glc	
s_waitcnt vmcnt(0)
	;;#ASMEND
	v_and_b32_e32 v5, 0xff, v3
	v_and_b32_e32 v96, 0xff00, v3
	v_or3_b32 v2, v2, 0, 0
	v_and_b32_e32 v97, 0xff000000, v3
	v_and_b32_e32 v3, 0xff0000, v3
	s_delay_alu instid0(VALU_DEP_4) | instskip(SKIP_2) | instid1(VALU_DEP_3)
	v_or3_b32 v5, 0, v5, v96
	v_and_b32_e32 v96, 0xff, v4
	v_or3_b32 v2, v2, 0, 0
	v_or3_b32 v3, v5, v3, v97
	s_delay_alu instid0(VALU_DEP_3)
	v_cmpx_eq_u16_e32 0, v96
	s_cbranch_execz .LBB36_105
; %bb.108:                              ;   in Loop: Header=BB36_106 Depth=1
	s_mov_b32 s10, 1
	s_mov_b32 s9, 0
	.p2align	6
.LBB36_109:                             ;   Parent Loop BB36_106 Depth=1
                                        ; =>  This Loop Header: Depth=2
                                        ;       Child Loop BB36_110 Depth 3
	s_max_u32 s11, s10, 1
.LBB36_110:                             ;   Parent Loop BB36_106 Depth=1
                                        ;     Parent Loop BB36_109 Depth=2
                                        ; =>    This Inner Loop Header: Depth=3
	s_delay_alu instid0(SALU_CYCLE_1)
	s_add_i32 s11, s11, -1
	s_sleep 1
	s_cmp_eq_u32 s11, 0
	s_cbranch_scc0 .LBB36_110
; %bb.111:                              ;   in Loop: Header=BB36_109 Depth=2
	;;#ASMSTART
	global_load_dwordx4 v[2:5], v[24:25] off glc	
s_waitcnt vmcnt(0)
	;;#ASMEND
	v_and_b32_e32 v5, 0xff, v4
	s_cmp_lt_u32 s10, 32
	s_cselect_b32 s11, -1, 0
	s_delay_alu instid0(SALU_CYCLE_1) | instskip(NEXT) | instid1(VALU_DEP_1)
	s_cmp_lg_u32 s11, 0
	v_cmp_ne_u16_e32 vcc_lo, 0, v5
	s_addc_u32 s10, s10, 0
	s_or_b32 s9, vcc_lo, s9
	s_delay_alu instid0(SALU_CYCLE_1)
	s_and_not1_b32 exec_lo, exec_lo, s9
	s_cbranch_execnz .LBB36_109
; %bb.112:                              ;   in Loop: Header=BB36_106 Depth=1
	s_or_b32 exec_lo, exec_lo, s9
	s_branch .LBB36_105
.LBB36_113:                             ;   in Loop: Header=BB36_106 Depth=1
                                        ; implicit-def: $vgpr4
                                        ; implicit-def: $vgpr2_vgpr3
	s_cbranch_execz .LBB36_106
; %bb.114:
	s_and_saveexec_b32 s8, s2
	s_cbranch_execnz .LBB36_357
; %bb.115:
	s_or_b32 exec_lo, exec_lo, s8
	s_and_saveexec_b32 s8, s2
	s_cbranch_execnz .LBB36_358
.LBB36_116:
	s_or_b32 exec_lo, exec_lo, s8
	v_cmp_eq_u32_e32 vcc_lo, 0, v0
	s_and_b32 exec_lo, exec_lo, vcc_lo
	s_cbranch_execz .LBB36_118
.LBB36_117:
	v_mov_b32_e32 v1, 0
	ds_store_b64 v1, v[22:23] offset:56
.LBB36_118:
	s_or_b32 exec_lo, exec_lo, s6
	v_cmp_eq_u32_e32 vcc_lo, 0, v0
	v_mov_b32_e32 v1, 0
	s_waitcnt lgkmcnt(0)
	s_barrier
	buffer_gl0_inv
	v_add_nc_u32_e64 v3, 0x3400, 0
	ds_load_b64 v[20:21], v1 offset:56
	s_waitcnt lgkmcnt(0)
	s_barrier
	buffer_gl0_inv
	ds_load_2addr_b32 v[1:2], v3 offset1:2
	ds_load_2addr_b32 v[3:4], v3 offset0:4 offset1:6
	v_cndmask_b32_e64 v5, v84, v18, s2
	v_cndmask_b32_e64 v18, v85, v19, s2
	s_delay_alu instid0(VALU_DEP_2) | instskip(NEXT) | instid1(VALU_DEP_1)
	v_add_nc_u32_e32 v19, v20, v5
	v_dual_cndmask_b32 v20, v19, v20 :: v_dual_add_nc_u32 v5, v21, v18
	s_delay_alu instid0(VALU_DEP_1)
	v_cndmask_b32_e32 v5, v5, v21, vcc_lo
	s_branch .LBB36_129
.LBB36_119:
                                        ; implicit-def: $vgpr5
                                        ; implicit-def: $vgpr3
                                        ; implicit-def: $vgpr1
                                        ; implicit-def: $vgpr20_vgpr21
	s_and_b32 vcc_lo, exec_lo, s6
	s_cbranch_vccz .LBB36_129
; %bb.120:
	s_waitcnt lgkmcnt(0)
	v_mov_b32_dpp v2, v83 row_shr:1 row_mask:0xf bank_mask:0xf
	v_cmp_lt_u32_e32 vcc_lo, 3, v81
	v_mov_b32_dpp v1, v82 row_shr:1 row_mask:0xf bank_mask:0xf
	s_delay_alu instid0(VALU_DEP_3) | instskip(NEXT) | instid1(VALU_DEP_1)
	v_add_nc_u32_e32 v2, v2, v83
	v_cndmask_b32_e64 v2, v2, v83, s1
	s_delay_alu instid0(VALU_DEP_1) | instskip(NEXT) | instid1(VALU_DEP_1)
	v_mov_b32_dpp v4, v2 row_shr:2 row_mask:0xf bank_mask:0xf
	v_add_nc_u32_e32 v4, v2, v4
	s_delay_alu instid0(VALU_DEP_1) | instskip(NEXT) | instid1(VALU_DEP_1)
	v_cndmask_b32_e64 v2, v2, v4, s0
	v_mov_b32_dpp v4, v2 row_shr:4 row_mask:0xf bank_mask:0xf
	s_delay_alu instid0(VALU_DEP_1) | instskip(NEXT) | instid1(VALU_DEP_1)
	v_add_nc_u32_e32 v4, v2, v4
	v_dual_cndmask_b32 v2, v2, v4 :: v_dual_add_nc_u32 v1, v1, v82
	s_delay_alu instid0(VALU_DEP_1) | instskip(NEXT) | instid1(VALU_DEP_2)
	v_cndmask_b32_e64 v1, v1, v82, s1
	v_mov_b32_dpp v4, v2 row_shr:8 row_mask:0xf bank_mask:0xf
	s_delay_alu instid0(VALU_DEP_2) | instskip(NEXT) | instid1(VALU_DEP_2)
	v_mov_b32_dpp v3, v1 row_shr:2 row_mask:0xf bank_mask:0xf
	v_add_nc_u32_e32 v4, v2, v4
	s_delay_alu instid0(VALU_DEP_2) | instskip(NEXT) | instid1(VALU_DEP_1)
	v_add_nc_u32_e32 v3, v1, v3
	v_cndmask_b32_e64 v1, v1, v3, s0
	s_mov_b32 s0, exec_lo
	s_delay_alu instid0(VALU_DEP_1) | instskip(NEXT) | instid1(VALU_DEP_1)
	v_mov_b32_dpp v3, v1 row_shr:4 row_mask:0xf bank_mask:0xf
	v_add_nc_u32_e32 v3, v1, v3
	s_delay_alu instid0(VALU_DEP_1) | instskip(SKIP_1) | instid1(VALU_DEP_2)
	v_cndmask_b32_e32 v1, v1, v3, vcc_lo
	v_cmp_lt_u32_e32 vcc_lo, 7, v81
	v_mov_b32_dpp v3, v1 row_shr:8 row_mask:0xf bank_mask:0xf
	s_delay_alu instid0(VALU_DEP_1) | instskip(NEXT) | instid1(VALU_DEP_1)
	v_dual_cndmask_b32 v2, v2, v4 :: v_dual_add_nc_u32 v3, v1, v3
	v_cndmask_b32_e32 v1, v1, v3, vcc_lo
	ds_swizzle_b32 v3, v2 offset:swizzle(BROADCAST,32,15)
	v_cmp_eq_u32_e32 vcc_lo, 0, v80
	ds_swizzle_b32 v4, v1 offset:swizzle(BROADCAST,32,15)
	s_waitcnt lgkmcnt(1)
	v_add_nc_u32_e32 v3, v2, v3
	s_waitcnt lgkmcnt(0)
	v_add_nc_u32_e32 v4, v1, v4
	s_delay_alu instid0(VALU_DEP_1)
	v_dual_cndmask_b32 v2, v3, v2 :: v_dual_cndmask_b32 v1, v4, v1
	v_cmpx_eq_u32_e64 v79, v0
	s_cbranch_execz .LBB36_122
; %bb.121:
	v_lshlrev_b32_e32 v3, 3, v78
	ds_store_b64 v3, v[1:2]
.LBB36_122:
	s_or_b32 exec_lo, exec_lo, s0
	s_delay_alu instid0(SALU_CYCLE_1)
	s_mov_b32 s0, exec_lo
	s_waitcnt lgkmcnt(0)
	s_barrier
	buffer_gl0_inv
	v_cmpx_gt_u32_e32 8, v0
	s_cbranch_execz .LBB36_124
; %bb.123:
	v_lshlrev_b32_e32 v5, 3, v0
	ds_load_b64 v[3:4], v5
	s_waitcnt lgkmcnt(0)
	v_mov_b32_dpp v18, v3 row_shr:1 row_mask:0xf bank_mask:0xf
	v_mov_b32_dpp v19, v4 row_shr:1 row_mask:0xf bank_mask:0xf
	s_delay_alu instid0(VALU_DEP_2) | instskip(SKIP_1) | instid1(VALU_DEP_3)
	v_add_nc_u32_e32 v18, v18, v3
	v_and_b32_e32 v20, 7, v77
	v_add_nc_u32_e32 v19, v19, v4
	s_delay_alu instid0(VALU_DEP_2) | instskip(NEXT) | instid1(VALU_DEP_2)
	v_cmp_eq_u32_e32 vcc_lo, 0, v20
	v_dual_cndmask_b32 v4, v19, v4 :: v_dual_cndmask_b32 v3, v18, v3
	v_cmp_lt_u32_e32 vcc_lo, 1, v20
	s_delay_alu instid0(VALU_DEP_2) | instskip(NEXT) | instid1(VALU_DEP_3)
	v_mov_b32_dpp v19, v4 row_shr:2 row_mask:0xf bank_mask:0xf
	v_mov_b32_dpp v18, v3 row_shr:2 row_mask:0xf bank_mask:0xf
	s_delay_alu instid0(VALU_DEP_2) | instskip(NEXT) | instid1(VALU_DEP_2)
	v_add_nc_u32_e32 v19, v4, v19
	v_add_nc_u32_e32 v18, v3, v18
	s_delay_alu instid0(VALU_DEP_1) | instskip(SKIP_1) | instid1(VALU_DEP_2)
	v_dual_cndmask_b32 v4, v4, v19 :: v_dual_cndmask_b32 v3, v3, v18
	v_cmp_lt_u32_e32 vcc_lo, 3, v20
	v_mov_b32_dpp v19, v4 row_shr:4 row_mask:0xf bank_mask:0xf
	s_delay_alu instid0(VALU_DEP_3) | instskip(NEXT) | instid1(VALU_DEP_1)
	v_mov_b32_dpp v18, v3 row_shr:4 row_mask:0xf bank_mask:0xf
	v_dual_cndmask_b32 v19, 0, v19 :: v_dual_cndmask_b32 v18, 0, v18
	s_delay_alu instid0(VALU_DEP_1) | instskip(NEXT) | instid1(VALU_DEP_2)
	v_add_nc_u32_e32 v4, v19, v4
	v_add_nc_u32_e32 v3, v18, v3
	ds_store_b64 v5, v[3:4]
.LBB36_124:
	s_or_b32 exec_lo, exec_lo, s0
	v_dual_mov_b32 v3, 0 :: v_dual_mov_b32 v18, 0
	v_mov_b32_e32 v19, 0
	s_mov_b32 s0, exec_lo
	s_waitcnt lgkmcnt(0)
	s_barrier
	buffer_gl0_inv
	v_cmpx_lt_u32_e32 31, v0
	s_cbranch_execz .LBB36_126
; %bb.125:
	v_lshl_add_u32 v4, v78, 3, -8
	ds_load_b64 v[18:19], v4
.LBB36_126:
	s_or_b32 exec_lo, exec_lo, s0
	v_add_nc_u32_e32 v4, -1, v77
	s_waitcnt lgkmcnt(0)
	v_add_nc_u32_e32 v20, v19, v2
	v_add_nc_u32_e32 v5, v18, v1
	ds_load_b64 v[1:2], v3 offset:56
	v_cmp_gt_i32_e32 vcc_lo, 0, v4
	v_cndmask_b32_e32 v4, v4, v77, vcc_lo
	v_cmp_eq_u32_e32 vcc_lo, 0, v0
	s_delay_alu instid0(VALU_DEP_2)
	v_lshlrev_b32_e32 v4, 2, v4
	ds_bpermute_b32 v5, v4, v5
	ds_bpermute_b32 v20, v4, v20
	s_waitcnt lgkmcnt(2)
	v_readfirstlane_b32 s1, v2
	s_and_saveexec_b32 s0, vcc_lo
	s_cbranch_execz .LBB36_128
; %bb.127:
	s_mov_b32 s6, 0
	s_add_u32 s4, s4, 0x200
	s_addc_u32 s5, s5, 0
	s_and_b32 s7, s1, 0xff000000
	s_and_b32 s9, s1, 0xff0000
	s_mov_b32 s8, s6
	v_mov_b32_e32 v22, s5
	s_or_b64 s[8:9], s[8:9], s[6:7]
	s_and_b32 s7, s1, 0xff00
	v_dual_mov_b32 v4, 0 :: v_dual_mov_b32 v21, s4
	s_or_b64 s[8:9], s[8:9], s[6:7]
	s_and_b32 s7, s1, 0xff
	v_mov_b32_e32 v3, 2
	s_or_b64 s[6:7], s[8:9], s[6:7]
	s_delay_alu instid0(SALU_CYCLE_1)
	v_mov_b32_e32 v2, s7
	;;#ASMSTART
	global_store_dwordx4 v[21:22], v[1:4] off	
s_waitcnt vmcnt(0)
	;;#ASMEND
.LBB36_128:
	s_or_b32 exec_lo, exec_lo, s0
	v_cmp_eq_u32_e64 s0, 0, v77
	v_dual_mov_b32 v3, 0 :: v_dual_mov_b32 v2, s1
	s_waitcnt lgkmcnt(0)
	s_barrier
	s_delay_alu instid0(VALU_DEP_2)
	v_cndmask_b32_e64 v4, v5, v18, s0
	v_cndmask_b32_e64 v5, v20, v19, s0
	buffer_gl0_inv
	v_cndmask_b32_e64 v20, v4, 0, vcc_lo
	v_cndmask_b32_e64 v5, v5, 0, vcc_lo
	v_mov_b32_e32 v4, 0
.LBB36_129:
	v_and_b32_e32 v30, 1, v30
	v_and_b32_e32 v34, 1, v34
	;; [unrolled: 1-line block ×4, first 2 shown]
	s_waitcnt lgkmcnt(0)
	v_add_co_u32 v18, s0, s28, v3
	v_cmp_eq_u32_e32 vcc_lo, 1, v30
	v_add_nc_u32_e32 v22, v5, v76
	v_sub_nc_u32_e32 v5, v5, v4
	v_add_co_ci_u32_e64 v19, null, s29, 0, s0
	s_mov_b32 s2, -1
	s_delay_alu instid0(VALU_DEP_3) | instskip(SKIP_3) | instid1(VALU_DEP_3)
	v_add_nc_u32_e32 v24, v22, v72
	v_sub_nc_u32_e32 v22, v22, v4
	v_add_nc_u32_e32 v5, v5, v1
	v_sub_co_u32 v72, s0, s30, v1
	v_add_nc_u32_e32 v22, v22, v1
	v_add_nc_u32_e32 v21, v20, v75
	v_sub_nc_u32_e32 v20, v20, v3
	s_delay_alu instid0(VALU_DEP_2)
	v_add_nc_u32_e32 v23, v21, v71
	v_add_nc_u32_e32 v71, v24, v74
	v_lshlrev_b32_e32 v74, 1, v1
	v_sub_nc_u32_e32 v21, v21, v3
	v_add_nc_u32_e32 v75, v20, v5
	v_sub_nc_u32_e32 v24, v24, v4
	s_delay_alu instid0(VALU_DEP_4) | instskip(NEXT) | instid1(VALU_DEP_4)
	v_add3_u32 v28, v74, v2, v28
	v_add_nc_u32_e32 v76, v22, v21
	s_delay_alu instid0(VALU_DEP_3) | instskip(NEXT) | instid1(VALU_DEP_3)
	v_add_nc_u32_e32 v24, v24, v1
	v_sub_nc_u32_e32 v75, v28, v75
	s_delay_alu instid0(VALU_DEP_3) | instskip(NEXT) | instid1(VALU_DEP_1)
	v_sub_nc_u32_e32 v76, v28, v76
	v_dual_cndmask_b32 v5, v75, v5 :: v_dual_add_nc_u32 v30, 1, v76
	v_cmp_eq_u32_e32 vcc_lo, 1, v34
	s_delay_alu instid0(VALU_DEP_2) | instskip(SKIP_1) | instid1(VALU_DEP_4)
	v_cndmask_b32_e32 v22, v30, v22, vcc_lo
	v_cmp_eq_u32_e32 vcc_lo, 1, v29
	v_cndmask_b32_e32 v5, v5, v20, vcc_lo
	v_and_b32_e32 v20, 1, v36
	v_cmp_eq_u32_e32 vcc_lo, 1, v33
	s_delay_alu instid0(VALU_DEP_3) | instskip(SKIP_1) | instid1(VALU_DEP_4)
	v_lshlrev_b32_e32 v5, 2, v5
	v_cndmask_b32_e32 v21, v22, v21, vcc_lo
	v_cmp_eq_u32_e32 vcc_lo, 1, v20
	v_add_nc_u32_e32 v25, v23, v73
	v_sub_nc_u32_e32 v23, v23, v3
	v_and_b32_e32 v22, 1, v31
	v_sub_co_ci_u32_e64 v73, null, s31, 0, s0
	v_and_b32_e32 v31, 1, v32
	s_delay_alu instid0(VALU_DEP_4) | instskip(NEXT) | instid1(VALU_DEP_1)
	v_add_nc_u32_e32 v77, v24, v23
	v_sub_nc_u32_e32 v75, v28, v77
	s_delay_alu instid0(VALU_DEP_1) | instskip(NEXT) | instid1(VALU_DEP_1)
	v_add_nc_u32_e32 v29, 2, v75
	v_cndmask_b32_e32 v20, v29, v24, vcc_lo
	v_sub_nc_u32_e32 v24, v71, v4
	v_cmp_eq_u32_e32 vcc_lo, 1, v22
	v_add_nc_u32_e32 v69, v25, v69
	v_lshlrev_b32_e32 v29, 2, v21
	ds_store_b32 v5, v16
	ds_store_b32 v29, v17
	v_cndmask_b32_e32 v22, v20, v23, vcc_lo
	v_sub_nc_u32_e32 v23, v25, v3
	v_add_nc_u32_e32 v24, v24, v1
	v_add_co_u32 v20, vcc_lo, v72, v4
	s_delay_alu instid0(VALU_DEP_4) | instskip(SKIP_1) | instid1(VALU_DEP_4)
	v_lshlrev_b32_e32 v5, 2, v22
	v_and_b32_e32 v22, 1, v35
	v_add_nc_u32_e32 v25, v23, v24
	v_add_co_ci_u32_e32 v21, vcc_lo, 0, v73, vcc_lo
	ds_store_b32 v5, v14
	v_cmp_eq_u32_e32 vcc_lo, 1, v22
	v_sub_nc_u32_e32 v17, v28, v25
	v_sub_nc_u32_e32 v29, v69, v3
	v_add_nc_u32_e32 v67, v69, v67
	s_delay_alu instid0(VALU_DEP_3) | instskip(NEXT) | instid1(VALU_DEP_2)
	v_add_nc_u32_e32 v17, 3, v17
	v_sub_nc_u32_e32 v30, v67, v3
	s_delay_alu instid0(VALU_DEP_2) | instskip(SKIP_2) | instid1(VALU_DEP_3)
	v_cndmask_b32_e32 v17, v17, v24, vcc_lo
	v_cmp_eq_u32_e32 vcc_lo, 1, v31
	v_and_b32_e32 v24, 1, v39
	v_cndmask_b32_e32 v14, v17, v23, vcc_lo
	v_add_nc_u32_e32 v70, v71, v70
	v_and_b32_e32 v23, 1, v38
	s_delay_alu instid0(VALU_DEP_3) | instskip(NEXT) | instid1(VALU_DEP_3)
	v_lshlrev_b32_e32 v14, 2, v14
	v_add_nc_u32_e32 v68, v70, v68
	v_sub_nc_u32_e32 v16, v70, v4
	ds_store_b32 v14, v15
	v_sub_nc_u32_e32 v25, v68, v4
	v_add_nc_u32_e32 v16, v16, v1
	s_delay_alu instid0(VALU_DEP_2) | instskip(NEXT) | instid1(VALU_DEP_2)
	v_add_nc_u32_e32 v25, v25, v1
	v_add_nc_u32_e32 v32, v29, v16
	s_delay_alu instid0(VALU_DEP_2) | instskip(NEXT) | instid1(VALU_DEP_2)
	v_add_nc_u32_e32 v22, v30, v25
	v_sub_nc_u32_e32 v5, v28, v32
	s_delay_alu instid0(VALU_DEP_2) | instskip(SKIP_1) | instid1(VALU_DEP_3)
	v_sub_nc_u32_e32 v17, v28, v22
	v_and_b32_e32 v22, 1, v37
	v_add_nc_u32_e32 v5, 4, v5
	s_delay_alu instid0(VALU_DEP_3) | instskip(NEXT) | instid1(VALU_DEP_3)
	v_add_nc_u32_e32 v17, 5, v17
	v_cmp_eq_u32_e32 vcc_lo, 1, v22
	s_delay_alu instid0(VALU_DEP_3)
	v_cndmask_b32_e32 v5, v5, v16, vcc_lo
	v_cmp_eq_u32_e32 vcc_lo, 1, v24
	v_and_b32_e32 v16, 1, v41
	v_cndmask_b32_e32 v17, v17, v25, vcc_lo
	v_cmp_eq_u32_e32 vcc_lo, 1, v23
	v_cndmask_b32_e32 v5, v5, v29, vcc_lo
	s_delay_alu instid0(VALU_DEP_4) | instskip(SKIP_1) | instid1(VALU_DEP_3)
	v_cmp_eq_u32_e32 vcc_lo, 1, v16
	v_add_nc_u32_e32 v66, v68, v66
	v_dual_cndmask_b32 v16, v17, v30 :: v_dual_lshlrev_b32 v5, 2, v5
	s_delay_alu instid0(VALU_DEP_2) | instskip(SKIP_1) | instid1(VALU_DEP_3)
	v_sub_nc_u32_e32 v22, v66, v4
	v_add_nc_u32_e32 v62, v66, v62
	v_lshlrev_b32_e32 v16, 2, v16
	ds_store_b32 v5, v12
	ds_store_b32 v16, v13
	v_and_b32_e32 v12, 1, v40
	v_add_nc_u32_e32 v22, v22, v1
	v_add_nc_u32_e32 v64, v62, v64
	v_sub_nc_u32_e32 v17, v62, v4
	v_and_b32_e32 v16, 1, v43
	v_cmp_eq_u32_e32 vcc_lo, 1, v12
	v_add_nc_u32_e32 v65, v67, v65
	v_sub_nc_u32_e32 v15, v64, v4
	v_add_nc_u32_e32 v17, v17, v1
	s_delay_alu instid0(VALU_DEP_3) | instskip(NEXT) | instid1(VALU_DEP_3)
	v_sub_nc_u32_e32 v23, v65, v3
	v_add_nc_u32_e32 v15, v15, v1
	s_delay_alu instid0(VALU_DEP_2) | instskip(NEXT) | instid1(VALU_DEP_1)
	v_add_nc_u32_e32 v24, v23, v22
	v_sub_nc_u32_e32 v14, v28, v24
	v_and_b32_e32 v24, 1, v48
	s_delay_alu instid0(VALU_DEP_2) | instskip(SKIP_1) | instid1(VALU_DEP_2)
	v_add_nc_u32_e32 v13, 6, v14
	v_and_b32_e32 v14, 1, v42
	v_cndmask_b32_e32 v12, v13, v22, vcc_lo
	v_add_nc_u32_e32 v61, v65, v61
	s_delay_alu instid0(VALU_DEP_3) | instskip(SKIP_1) | instid1(VALU_DEP_3)
	v_cmp_eq_u32_e32 vcc_lo, 1, v14
	v_and_b32_e32 v22, 1, v44
	v_sub_nc_u32_e32 v25, v61, v3
	v_add_nc_u32_e32 v63, v61, v63
	v_cndmask_b32_e32 v12, v12, v23, vcc_lo
	v_cmp_eq_u32_e32 vcc_lo, 1, v16
	v_and_b32_e32 v23, 1, v46
	v_add_nc_u32_e32 v5, v25, v17
	v_sub_nc_u32_e32 v13, v63, v3
	v_lshlrev_b32_e32 v12, 2, v12
	v_add_nc_u32_e32 v59, v63, v59
	s_delay_alu instid0(VALU_DEP_4) | instskip(NEXT) | instid1(VALU_DEP_4)
	v_sub_nc_u32_e32 v5, v28, v5
	v_add_nc_u32_e32 v14, v13, v15
	s_delay_alu instid0(VALU_DEP_3) | instskip(NEXT) | instid1(VALU_DEP_3)
	v_add_nc_u32_e32 v57, v59, v57
	v_add_nc_u32_e32 v5, 7, v5
	s_delay_alu instid0(VALU_DEP_3) | instskip(NEXT) | instid1(VALU_DEP_3)
	v_sub_nc_u32_e32 v14, v28, v14
	v_add_nc_u32_e32 v55, v57, v55
	s_delay_alu instid0(VALU_DEP_3)
	v_cndmask_b32_e32 v5, v5, v17, vcc_lo
	v_cmp_eq_u32_e32 vcc_lo, 1, v22
	v_and_b32_e32 v17, 1, v45
	v_add_nc_u32_e32 v14, 8, v14
	v_sub_nc_u32_e32 v22, v59, v3
	v_add_nc_u32_e32 v53, v55, v53
	v_cndmask_b32_e32 v5, v5, v25, vcc_lo
	v_cmp_eq_u32_e32 vcc_lo, 1, v17
	v_sub_nc_u32_e32 v17, v55, v3
	v_and_b32_e32 v25, 1, v52
	s_delay_alu instid0(VALU_DEP_4)
	v_dual_cndmask_b32 v14, v14, v15 :: v_dual_lshlrev_b32 v5, 2, v5
	v_cmp_eq_u32_e32 vcc_lo, 1, v23
	v_add_nc_u32_e32 v60, v64, v60
	ds_store_b32 v12, v10
	ds_store_b32 v5, v11
	v_and_b32_e32 v11, 1, v49
	v_cndmask_b32_e32 v5, v14, v13, vcc_lo
	v_sub_nc_u32_e32 v16, v60, v4
	v_add_nc_u32_e32 v58, v60, v58
	v_and_b32_e32 v13, 1, v47
	s_delay_alu instid0(VALU_DEP_4) | instskip(NEXT) | instid1(VALU_DEP_4)
	v_lshlrev_b32_e32 v5, 2, v5
	v_add_nc_u32_e32 v16, v16, v1
	s_delay_alu instid0(VALU_DEP_4) | instskip(SKIP_2) | instid1(VALU_DEP_4)
	v_add_nc_u32_e32 v56, v58, v56
	v_sub_nc_u32_e32 v12, v58, v4
	v_cmp_eq_u32_e32 vcc_lo, 1, v13
	v_add_nc_u32_e32 v15, v22, v16
	s_delay_alu instid0(VALU_DEP_4) | instskip(NEXT) | instid1(VALU_DEP_4)
	v_sub_nc_u32_e32 v14, v56, v4
	v_add_nc_u32_e32 v12, v12, v1
	v_add_nc_u32_e32 v54, v56, v54
	s_delay_alu instid0(VALU_DEP_4) | instskip(SKIP_2) | instid1(VALU_DEP_4)
	v_sub_nc_u32_e32 v10, v28, v15
	v_sub_nc_u32_e32 v15, v57, v3
	v_add_nc_u32_e32 v14, v14, v1
	v_sub_nc_u32_e32 v23, v54, v4
	v_sub_nc_u32_e32 v3, v53, v3
	v_add_nc_u32_e32 v10, 9, v10
	v_add_nc_u32_e32 v13, v15, v12
	s_delay_alu instid0(VALU_DEP_2) | instskip(SKIP_2) | instid1(VALU_DEP_4)
	v_dual_cndmask_b32 v10, v10, v16 :: v_dual_add_nc_u32 v23, v23, v1
	v_add_nc_u32_e32 v16, v17, v14
	v_cmp_eq_u32_e32 vcc_lo, 1, v11
	v_sub_nc_u32_e32 v11, v28, v13
	v_and_b32_e32 v13, 1, v50
	s_delay_alu instid0(VALU_DEP_4) | instskip(NEXT) | instid1(VALU_DEP_3)
	v_sub_nc_u32_e32 v16, v28, v16
	v_dual_cndmask_b32 v10, v10, v22 :: v_dual_add_nc_u32 v11, 10, v11
	v_cmp_eq_u32_e32 vcc_lo, 1, v24
	v_add_nc_u32_e32 v22, v3, v23
	s_delay_alu instid0(VALU_DEP_4) | instskip(NEXT) | instid1(VALU_DEP_4)
	v_add_nc_u32_e32 v16, 11, v16
	v_dual_cndmask_b32 v11, v11, v12 :: v_dual_lshlrev_b32 v10, 2, v10
	v_cmp_eq_u32_e32 vcc_lo, 1, v25
	s_delay_alu instid0(VALU_DEP_4) | instskip(SKIP_3) | instid1(VALU_DEP_4)
	v_sub_nc_u32_e32 v22, v28, v22
	v_and_b32_e32 v12, 1, v51
	v_cndmask_b32_e32 v14, v16, v14, vcc_lo
	v_cmp_eq_u32_e32 vcc_lo, 1, v13
	v_dual_cndmask_b32 v11, v11, v15 :: v_dual_add_nc_u32 v16, 12, v22
	s_delay_alu instid0(VALU_DEP_4) | instskip(NEXT) | instid1(VALU_DEP_2)
	v_cmp_eq_u32_e32 vcc_lo, 1, v12
	v_cndmask_b32_e64 v13, v16, v23, s43
	s_delay_alu instid0(VALU_DEP_3) | instskip(NEXT) | instid1(VALU_DEP_2)
	v_dual_cndmask_b32 v12, v14, v17 :: v_dual_lshlrev_b32 v11, 2, v11
	v_cndmask_b32_e64 v3, v13, v3, s42
	s_delay_alu instid0(VALU_DEP_2)
	v_lshlrev_b32_e32 v12, 2, v12
	ds_store_b32 v5, v8
	ds_store_b32 v10, v9
	;; [unrolled: 1-line block ×4, first 2 shown]
	v_lshlrev_b32_e32 v3, 2, v3
	v_add_co_u32 v5, s0, v2, v74
	s_delay_alu instid0(VALU_DEP_1) | instskip(SKIP_4) | instid1(VALU_DEP_2)
	v_add_co_ci_u32_e64 v6, null, 0, 0, s0
	ds_store_b32 v3, v27
	v_add_co_u32 v3, vcc_lo, v5, v20
	v_add_co_ci_u32_e32 v5, vcc_lo, v6, v21, vcc_lo
	s_add_u32 s0, s34, s33
	v_add_co_u32 v3, vcc_lo, v3, v18
	s_delay_alu instid0(VALU_DEP_2) | instskip(SKIP_1) | instid1(VALU_DEP_2)
	v_add_co_ci_u32_e32 v5, vcc_lo, v5, v19, vcc_lo
	s_addc_u32 s1, s35, 0
	v_sub_co_u32 v3, vcc_lo, s0, v3
	s_delay_alu instid0(VALU_DEP_2)
	v_sub_co_ci_u32_e32 v9, vcc_lo, s1, v5, vcc_lo
	v_lshlrev_b64 v[5:6], 2, v[20:21]
	v_lshlrev_b64 v[7:8], 2, v[18:19]
	v_add_nc_u32_e32 v10, v1, v2
	s_add_u32 s1, s26, -4
	s_waitcnt lgkmcnt(0)
	s_barrier
	v_add_co_u32 v5, vcc_lo, s38, v5
	v_add_co_ci_u32_e32 v6, vcc_lo, s39, v6, vcc_lo
	v_cmp_ne_u32_e32 vcc_lo, 1, v26
	v_add_co_u32 v7, s0, s36, v7
	s_delay_alu instid0(VALU_DEP_1)
	v_add_co_ci_u32_e64 v8, s0, s37, v8, s0
	s_addc_u32 s0, s27, -1
	buffer_gl0_inv
	s_cbranch_vccz .LBB36_133
; %bb.130:
	s_and_b32 vcc_lo, exec_lo, s2
	s_cbranch_vccnz .LBB36_238
.LBB36_131:
	v_cmp_eq_u32_e32 vcc_lo, 0, v0
	s_and_b32 s0, vcc_lo, s14
	s_delay_alu instid0(SALU_CYCLE_1)
	s_and_saveexec_b32 s1, s0
	s_cbranch_execnz .LBB36_356
.LBB36_132:
	s_nop 0
	s_sendmsg sendmsg(MSG_DEALLOC_VGPRS)
	s_endpgm
.LBB36_133:
	s_mov_b32 s2, exec_lo
	v_cmpx_le_u32_e64 v1, v0
	s_xor_b32 s2, exec_lo, s2
	s_cbranch_execz .LBB36_139
; %bb.134:
	s_mov_b32 s4, exec_lo
	v_cmpx_le_u32_e64 v10, v0
	s_xor_b32 s4, exec_lo, s4
	s_cbranch_execz .LBB36_136
; %bb.135:
	v_lshlrev_b32_e32 v11, 2, v0
	ds_load_b32 v13, v11
	v_add_co_u32 v11, vcc_lo, v3, v0
	v_add_co_ci_u32_e32 v12, vcc_lo, 0, v9, vcc_lo
	s_delay_alu instid0(VALU_DEP_1) | instskip(NEXT) | instid1(VALU_DEP_1)
	v_lshlrev_b64 v[11:12], 2, v[11:12]
	v_sub_co_u32 v11, vcc_lo, s26, v11
	s_delay_alu instid0(VALU_DEP_2)
	v_sub_co_ci_u32_e32 v12, vcc_lo, s27, v12, vcc_lo
	s_waitcnt lgkmcnt(0)
	global_store_b32 v[11:12], v13, off offset:-4
.LBB36_136:
	s_and_not1_saveexec_b32 s4, s4
	s_cbranch_execz .LBB36_138
; %bb.137:
	v_lshlrev_b32_e32 v11, 2, v0
	v_readfirstlane_b32 s6, v5
	v_readfirstlane_b32 s7, v6
	ds_load_b32 v12, v11
	s_waitcnt lgkmcnt(0)
	global_store_b32 v11, v12, s[6:7]
.LBB36_138:
	s_or_b32 exec_lo, exec_lo, s4
.LBB36_139:
	s_and_not1_saveexec_b32 s2, s2
	s_cbranch_execz .LBB36_141
; %bb.140:
	v_lshlrev_b32_e32 v11, 2, v0
	v_readfirstlane_b32 s4, v7
	v_readfirstlane_b32 s5, v8
	ds_load_b32 v12, v11
	s_waitcnt lgkmcnt(0)
	global_store_b32 v11, v12, s[4:5]
.LBB36_141:
	s_or_b32 exec_lo, exec_lo, s2
	v_or_b32_e32 v11, 0x100, v0
	s_mov_b32 s2, exec_lo
	s_delay_alu instid0(VALU_DEP_1)
	v_cmpx_le_u32_e64 v1, v11
	s_xor_b32 s2, exec_lo, s2
	s_cbranch_execz .LBB36_147
; %bb.142:
	s_mov_b32 s4, exec_lo
	v_cmpx_le_u32_e64 v10, v11
	s_xor_b32 s4, exec_lo, s4
	s_cbranch_execz .LBB36_144
; %bb.143:
	v_lshlrev_b32_e32 v11, 2, v0
	ds_load_b32 v13, v11 offset:1024
	v_add_co_u32 v11, vcc_lo, v3, v0
	v_add_co_ci_u32_e32 v12, vcc_lo, 0, v9, vcc_lo
	s_delay_alu instid0(VALU_DEP_1) | instskip(NEXT) | instid1(VALU_DEP_1)
	v_lshlrev_b64 v[11:12], 2, v[11:12]
	v_sub_co_u32 v11, vcc_lo, s1, v11
	s_delay_alu instid0(VALU_DEP_2)
	v_sub_co_ci_u32_e32 v12, vcc_lo, s0, v12, vcc_lo
	s_waitcnt lgkmcnt(0)
	global_store_b32 v[11:12], v13, off offset:-1024
.LBB36_144:
	s_and_not1_saveexec_b32 s4, s4
	s_cbranch_execz .LBB36_146
; %bb.145:
	v_lshlrev_b32_e32 v11, 2, v0
	v_readfirstlane_b32 s6, v5
	v_readfirstlane_b32 s7, v6
	ds_load_b32 v12, v11 offset:1024
	s_waitcnt lgkmcnt(0)
	global_store_b32 v11, v12, s[6:7] offset:1024
.LBB36_146:
	s_or_b32 exec_lo, exec_lo, s4
.LBB36_147:
	s_and_not1_saveexec_b32 s2, s2
	s_cbranch_execz .LBB36_149
; %bb.148:
	v_lshlrev_b32_e32 v11, 2, v0
	v_readfirstlane_b32 s4, v7
	v_readfirstlane_b32 s5, v8
	ds_load_b32 v12, v11 offset:1024
	s_waitcnt lgkmcnt(0)
	global_store_b32 v11, v12, s[4:5] offset:1024
.LBB36_149:
	s_or_b32 exec_lo, exec_lo, s2
	v_or_b32_e32 v11, 0x200, v0
	s_mov_b32 s2, exec_lo
	s_delay_alu instid0(VALU_DEP_1)
	v_cmpx_le_u32_e64 v1, v11
	s_xor_b32 s2, exec_lo, s2
	s_cbranch_execz .LBB36_155
; %bb.150:
	s_mov_b32 s4, exec_lo
	v_cmpx_le_u32_e64 v10, v11
	s_xor_b32 s4, exec_lo, s4
	s_cbranch_execz .LBB36_152
; %bb.151:
	v_lshlrev_b32_e32 v11, 2, v0
	ds_load_b32 v13, v11 offset:2048
	v_add_co_u32 v11, vcc_lo, v3, v0
	v_add_co_ci_u32_e32 v12, vcc_lo, 0, v9, vcc_lo
	s_delay_alu instid0(VALU_DEP_1) | instskip(NEXT) | instid1(VALU_DEP_1)
	v_lshlrev_b64 v[11:12], 2, v[11:12]
	v_sub_co_u32 v11, vcc_lo, s1, v11
	s_delay_alu instid0(VALU_DEP_2)
	v_sub_co_ci_u32_e32 v12, vcc_lo, s0, v12, vcc_lo
	s_waitcnt lgkmcnt(0)
	global_store_b32 v[11:12], v13, off offset:-2048
.LBB36_152:
	s_and_not1_saveexec_b32 s4, s4
	s_cbranch_execz .LBB36_154
; %bb.153:
	v_lshlrev_b32_e32 v11, 2, v0
	v_readfirstlane_b32 s6, v5
	v_readfirstlane_b32 s7, v6
	ds_load_b32 v12, v11 offset:2048
	s_waitcnt lgkmcnt(0)
	global_store_b32 v11, v12, s[6:7] offset:2048
.LBB36_154:
	s_or_b32 exec_lo, exec_lo, s4
.LBB36_155:
	s_and_not1_saveexec_b32 s2, s2
	s_cbranch_execz .LBB36_157
; %bb.156:
	v_lshlrev_b32_e32 v11, 2, v0
	v_readfirstlane_b32 s4, v7
	v_readfirstlane_b32 s5, v8
	ds_load_b32 v12, v11 offset:2048
	s_waitcnt lgkmcnt(0)
	global_store_b32 v11, v12, s[4:5] offset:2048
.LBB36_157:
	;; [unrolled: 47-line block ×3, first 2 shown]
	s_or_b32 exec_lo, exec_lo, s2
	v_or_b32_e32 v11, 0x400, v0
	s_mov_b32 s2, exec_lo
	s_delay_alu instid0(VALU_DEP_1)
	v_cmpx_le_u32_e64 v1, v11
	s_xor_b32 s2, exec_lo, s2
	s_cbranch_execz .LBB36_171
; %bb.166:
	s_mov_b32 s4, exec_lo
	v_cmpx_le_u32_e64 v10, v11
	s_xor_b32 s4, exec_lo, s4
	s_cbranch_execz .LBB36_168
; %bb.167:
	v_lshlrev_b32_e32 v11, 2, v0
	ds_load_b32 v13, v11 offset:4096
	v_add_co_u32 v11, vcc_lo, v3, v0
	v_add_co_ci_u32_e32 v12, vcc_lo, 0, v9, vcc_lo
	s_delay_alu instid0(VALU_DEP_1) | instskip(NEXT) | instid1(VALU_DEP_1)
	v_lshlrev_b64 v[11:12], 2, v[11:12]
	v_sub_co_u32 v11, vcc_lo, s1, v11
	s_delay_alu instid0(VALU_DEP_2)
	v_sub_co_ci_u32_e32 v12, vcc_lo, s0, v12, vcc_lo
	s_waitcnt lgkmcnt(0)
	global_store_b32 v[11:12], v13, off offset:-4096
                                        ; implicit-def: $vgpr11
.LBB36_168:
	s_and_not1_saveexec_b32 s4, s4
	s_cbranch_execz .LBB36_170
; %bb.169:
	v_lshlrev_b32_e32 v12, 2, v0
	v_lshlrev_b32_e32 v11, 2, v11
	v_readfirstlane_b32 s6, v5
	v_readfirstlane_b32 s7, v6
	ds_load_b32 v12, v12 offset:4096
	s_waitcnt lgkmcnt(0)
	global_store_b32 v11, v12, s[6:7]
.LBB36_170:
	s_or_b32 exec_lo, exec_lo, s4
                                        ; implicit-def: $vgpr11
.LBB36_171:
	s_and_not1_saveexec_b32 s2, s2
	s_cbranch_execz .LBB36_173
; %bb.172:
	v_lshlrev_b32_e32 v12, 2, v0
	v_lshlrev_b32_e32 v11, 2, v11
	v_readfirstlane_b32 s4, v7
	v_readfirstlane_b32 s5, v8
	ds_load_b32 v12, v12 offset:4096
	s_waitcnt lgkmcnt(0)
	global_store_b32 v11, v12, s[4:5]
.LBB36_173:
	s_or_b32 exec_lo, exec_lo, s2
	v_or_b32_e32 v11, 0x500, v0
	s_mov_b32 s2, exec_lo
	s_delay_alu instid0(VALU_DEP_1)
	v_cmpx_le_u32_e64 v1, v11
	s_xor_b32 s2, exec_lo, s2
	s_cbranch_execz .LBB36_179
; %bb.174:
	s_mov_b32 s4, exec_lo
	v_cmpx_le_u32_e64 v10, v11
	s_xor_b32 s4, exec_lo, s4
	s_cbranch_execz .LBB36_176
; %bb.175:
	v_lshlrev_b32_e32 v12, 2, v0
	v_add_co_u32 v11, vcc_lo, v3, v11
	ds_load_b32 v13, v12 offset:5120
	v_add_co_ci_u32_e32 v12, vcc_lo, 0, v9, vcc_lo
	s_delay_alu instid0(VALU_DEP_1) | instskip(NEXT) | instid1(VALU_DEP_1)
	v_lshlrev_b64 v[11:12], 2, v[11:12]
	v_sub_co_u32 v11, vcc_lo, s1, v11
	s_delay_alu instid0(VALU_DEP_2)
	v_sub_co_ci_u32_e32 v12, vcc_lo, s0, v12, vcc_lo
	s_waitcnt lgkmcnt(0)
	global_store_b32 v[11:12], v13, off
                                        ; implicit-def: $vgpr11
.LBB36_176:
	s_and_not1_saveexec_b32 s4, s4
	s_cbranch_execz .LBB36_178
; %bb.177:
	v_lshlrev_b32_e32 v12, 2, v0
	v_lshlrev_b32_e32 v11, 2, v11
	v_readfirstlane_b32 s6, v5
	v_readfirstlane_b32 s7, v6
	ds_load_b32 v12, v12 offset:5120
	s_waitcnt lgkmcnt(0)
	global_store_b32 v11, v12, s[6:7]
.LBB36_178:
	s_or_b32 exec_lo, exec_lo, s4
                                        ; implicit-def: $vgpr11
.LBB36_179:
	s_and_not1_saveexec_b32 s2, s2
	s_cbranch_execz .LBB36_181
; %bb.180:
	v_lshlrev_b32_e32 v12, 2, v0
	v_lshlrev_b32_e32 v11, 2, v11
	v_readfirstlane_b32 s4, v7
	v_readfirstlane_b32 s5, v8
	ds_load_b32 v12, v12 offset:5120
	s_waitcnt lgkmcnt(0)
	global_store_b32 v11, v12, s[4:5]
.LBB36_181:
	s_or_b32 exec_lo, exec_lo, s2
	v_or_b32_e32 v11, 0x600, v0
	s_mov_b32 s2, exec_lo
	s_delay_alu instid0(VALU_DEP_1)
	v_cmpx_le_u32_e64 v1, v11
	s_xor_b32 s2, exec_lo, s2
	s_cbranch_execz .LBB36_187
; %bb.182:
	s_mov_b32 s4, exec_lo
	v_cmpx_le_u32_e64 v10, v11
	s_xor_b32 s4, exec_lo, s4
	s_cbranch_execz .LBB36_184
; %bb.183:
	v_lshlrev_b32_e32 v12, 2, v0
	v_add_co_u32 v11, vcc_lo, v3, v11
	ds_load_b32 v13, v12 offset:6144
	v_add_co_ci_u32_e32 v12, vcc_lo, 0, v9, vcc_lo
	s_delay_alu instid0(VALU_DEP_1) | instskip(NEXT) | instid1(VALU_DEP_1)
	v_lshlrev_b64 v[11:12], 2, v[11:12]
	v_sub_co_u32 v11, vcc_lo, s1, v11
	s_delay_alu instid0(VALU_DEP_2)
	v_sub_co_ci_u32_e32 v12, vcc_lo, s0, v12, vcc_lo
	s_waitcnt lgkmcnt(0)
	global_store_b32 v[11:12], v13, off
                                        ; implicit-def: $vgpr11
.LBB36_184:
	s_and_not1_saveexec_b32 s4, s4
	s_cbranch_execz .LBB36_186
; %bb.185:
	v_lshlrev_b32_e32 v12, 2, v0
	v_lshlrev_b32_e32 v11, 2, v11
	v_readfirstlane_b32 s6, v5
	v_readfirstlane_b32 s7, v6
	ds_load_b32 v12, v12 offset:6144
	s_waitcnt lgkmcnt(0)
	global_store_b32 v11, v12, s[6:7]
.LBB36_186:
	s_or_b32 exec_lo, exec_lo, s4
                                        ; implicit-def: $vgpr11
.LBB36_187:
	s_and_not1_saveexec_b32 s2, s2
	s_cbranch_execz .LBB36_189
; %bb.188:
	v_lshlrev_b32_e32 v12, 2, v0
	v_lshlrev_b32_e32 v11, 2, v11
	v_readfirstlane_b32 s4, v7
	v_readfirstlane_b32 s5, v8
	ds_load_b32 v12, v12 offset:6144
	s_waitcnt lgkmcnt(0)
	global_store_b32 v11, v12, s[4:5]
.LBB36_189:
	s_or_b32 exec_lo, exec_lo, s2
	v_or_b32_e32 v11, 0x700, v0
	s_mov_b32 s2, exec_lo
	s_delay_alu instid0(VALU_DEP_1)
	v_cmpx_le_u32_e64 v1, v11
	s_xor_b32 s2, exec_lo, s2
	s_cbranch_execz .LBB36_195
; %bb.190:
	s_mov_b32 s4, exec_lo
	v_cmpx_le_u32_e64 v10, v11
	s_xor_b32 s4, exec_lo, s4
	s_cbranch_execz .LBB36_192
; %bb.191:
	v_lshlrev_b32_e32 v12, 2, v0
	v_add_co_u32 v11, vcc_lo, v3, v11
	ds_load_b32 v13, v12 offset:7168
	v_add_co_ci_u32_e32 v12, vcc_lo, 0, v9, vcc_lo
	s_delay_alu instid0(VALU_DEP_1) | instskip(NEXT) | instid1(VALU_DEP_1)
	v_lshlrev_b64 v[11:12], 2, v[11:12]
	v_sub_co_u32 v11, vcc_lo, s1, v11
	s_delay_alu instid0(VALU_DEP_2)
	v_sub_co_ci_u32_e32 v12, vcc_lo, s0, v12, vcc_lo
	s_waitcnt lgkmcnt(0)
	global_store_b32 v[11:12], v13, off
                                        ; implicit-def: $vgpr11
.LBB36_192:
	s_and_not1_saveexec_b32 s4, s4
	s_cbranch_execz .LBB36_194
; %bb.193:
	v_lshlrev_b32_e32 v12, 2, v0
	v_lshlrev_b32_e32 v11, 2, v11
	v_readfirstlane_b32 s6, v5
	v_readfirstlane_b32 s7, v6
	ds_load_b32 v12, v12 offset:7168
	s_waitcnt lgkmcnt(0)
	global_store_b32 v11, v12, s[6:7]
.LBB36_194:
	s_or_b32 exec_lo, exec_lo, s4
                                        ; implicit-def: $vgpr11
.LBB36_195:
	s_and_not1_saveexec_b32 s2, s2
	s_cbranch_execz .LBB36_197
; %bb.196:
	v_lshlrev_b32_e32 v12, 2, v0
	v_lshlrev_b32_e32 v11, 2, v11
	v_readfirstlane_b32 s4, v7
	v_readfirstlane_b32 s5, v8
	ds_load_b32 v12, v12 offset:7168
	s_waitcnt lgkmcnt(0)
	global_store_b32 v11, v12, s[4:5]
.LBB36_197:
	s_or_b32 exec_lo, exec_lo, s2
	v_or_b32_e32 v11, 0x800, v0
	s_mov_b32 s2, exec_lo
	s_delay_alu instid0(VALU_DEP_1)
	v_cmpx_le_u32_e64 v1, v11
	s_xor_b32 s2, exec_lo, s2
	s_cbranch_execz .LBB36_203
; %bb.198:
	s_mov_b32 s4, exec_lo
	v_cmpx_le_u32_e64 v10, v11
	s_xor_b32 s4, exec_lo, s4
	s_cbranch_execz .LBB36_200
; %bb.199:
	v_lshlrev_b32_e32 v12, 2, v0
	v_add_co_u32 v11, vcc_lo, v3, v11
	ds_load_b32 v13, v12 offset:8192
	v_add_co_ci_u32_e32 v12, vcc_lo, 0, v9, vcc_lo
	s_delay_alu instid0(VALU_DEP_1) | instskip(NEXT) | instid1(VALU_DEP_1)
	v_lshlrev_b64 v[11:12], 2, v[11:12]
	v_sub_co_u32 v11, vcc_lo, s1, v11
	s_delay_alu instid0(VALU_DEP_2)
	v_sub_co_ci_u32_e32 v12, vcc_lo, s0, v12, vcc_lo
	s_waitcnt lgkmcnt(0)
	global_store_b32 v[11:12], v13, off
                                        ; implicit-def: $vgpr11
.LBB36_200:
	s_and_not1_saveexec_b32 s4, s4
	s_cbranch_execz .LBB36_202
; %bb.201:
	v_lshlrev_b32_e32 v12, 2, v0
	v_lshlrev_b32_e32 v11, 2, v11
	v_readfirstlane_b32 s6, v5
	v_readfirstlane_b32 s7, v6
	ds_load_b32 v12, v12 offset:8192
	s_waitcnt lgkmcnt(0)
	global_store_b32 v11, v12, s[6:7]
.LBB36_202:
	s_or_b32 exec_lo, exec_lo, s4
                                        ; implicit-def: $vgpr11
.LBB36_203:
	s_and_not1_saveexec_b32 s2, s2
	s_cbranch_execz .LBB36_205
; %bb.204:
	v_lshlrev_b32_e32 v12, 2, v0
	v_lshlrev_b32_e32 v11, 2, v11
	v_readfirstlane_b32 s4, v7
	v_readfirstlane_b32 s5, v8
	ds_load_b32 v12, v12 offset:8192
	s_waitcnt lgkmcnt(0)
	global_store_b32 v11, v12, s[4:5]
.LBB36_205:
	s_or_b32 exec_lo, exec_lo, s2
	v_or_b32_e32 v11, 0x900, v0
	s_mov_b32 s2, exec_lo
	s_delay_alu instid0(VALU_DEP_1)
	v_cmpx_le_u32_e64 v1, v11
	s_xor_b32 s2, exec_lo, s2
	s_cbranch_execz .LBB36_211
; %bb.206:
	s_mov_b32 s4, exec_lo
	v_cmpx_le_u32_e64 v10, v11
	s_xor_b32 s4, exec_lo, s4
	s_cbranch_execz .LBB36_208
; %bb.207:
	v_lshlrev_b32_e32 v12, 2, v0
	v_add_co_u32 v11, vcc_lo, v3, v11
	ds_load_b32 v13, v12 offset:9216
	v_add_co_ci_u32_e32 v12, vcc_lo, 0, v9, vcc_lo
	s_delay_alu instid0(VALU_DEP_1) | instskip(NEXT) | instid1(VALU_DEP_1)
	v_lshlrev_b64 v[11:12], 2, v[11:12]
	v_sub_co_u32 v11, vcc_lo, s1, v11
	s_delay_alu instid0(VALU_DEP_2)
	v_sub_co_ci_u32_e32 v12, vcc_lo, s0, v12, vcc_lo
	s_waitcnt lgkmcnt(0)
	global_store_b32 v[11:12], v13, off
                                        ; implicit-def: $vgpr11
.LBB36_208:
	s_and_not1_saveexec_b32 s4, s4
	s_cbranch_execz .LBB36_210
; %bb.209:
	v_lshlrev_b32_e32 v12, 2, v0
	v_lshlrev_b32_e32 v11, 2, v11
	v_readfirstlane_b32 s6, v5
	v_readfirstlane_b32 s7, v6
	ds_load_b32 v12, v12 offset:9216
	s_waitcnt lgkmcnt(0)
	global_store_b32 v11, v12, s[6:7]
.LBB36_210:
	s_or_b32 exec_lo, exec_lo, s4
                                        ; implicit-def: $vgpr11
.LBB36_211:
	s_and_not1_saveexec_b32 s2, s2
	s_cbranch_execz .LBB36_213
; %bb.212:
	v_lshlrev_b32_e32 v12, 2, v0
	v_lshlrev_b32_e32 v11, 2, v11
	v_readfirstlane_b32 s4, v7
	v_readfirstlane_b32 s5, v8
	ds_load_b32 v12, v12 offset:9216
	s_waitcnt lgkmcnt(0)
	global_store_b32 v11, v12, s[4:5]
.LBB36_213:
	s_or_b32 exec_lo, exec_lo, s2
	v_or_b32_e32 v11, 0xa00, v0
	s_mov_b32 s2, exec_lo
	s_delay_alu instid0(VALU_DEP_1)
	v_cmpx_le_u32_e64 v1, v11
	s_xor_b32 s2, exec_lo, s2
	s_cbranch_execz .LBB36_219
; %bb.214:
	s_mov_b32 s4, exec_lo
	v_cmpx_le_u32_e64 v10, v11
	s_xor_b32 s4, exec_lo, s4
	s_cbranch_execz .LBB36_216
; %bb.215:
	v_lshlrev_b32_e32 v12, 2, v0
	v_add_co_u32 v11, vcc_lo, v3, v11
	ds_load_b32 v13, v12 offset:10240
	v_add_co_ci_u32_e32 v12, vcc_lo, 0, v9, vcc_lo
	s_delay_alu instid0(VALU_DEP_1) | instskip(NEXT) | instid1(VALU_DEP_1)
	v_lshlrev_b64 v[11:12], 2, v[11:12]
	v_sub_co_u32 v11, vcc_lo, s1, v11
	s_delay_alu instid0(VALU_DEP_2)
	v_sub_co_ci_u32_e32 v12, vcc_lo, s0, v12, vcc_lo
	s_waitcnt lgkmcnt(0)
	global_store_b32 v[11:12], v13, off
                                        ; implicit-def: $vgpr11
.LBB36_216:
	s_and_not1_saveexec_b32 s4, s4
	s_cbranch_execz .LBB36_218
; %bb.217:
	v_lshlrev_b32_e32 v12, 2, v0
	v_lshlrev_b32_e32 v11, 2, v11
	v_readfirstlane_b32 s6, v5
	v_readfirstlane_b32 s7, v6
	ds_load_b32 v12, v12 offset:10240
	s_waitcnt lgkmcnt(0)
	global_store_b32 v11, v12, s[6:7]
.LBB36_218:
	s_or_b32 exec_lo, exec_lo, s4
                                        ; implicit-def: $vgpr11
.LBB36_219:
	s_and_not1_saveexec_b32 s2, s2
	s_cbranch_execz .LBB36_221
; %bb.220:
	v_lshlrev_b32_e32 v12, 2, v0
	v_lshlrev_b32_e32 v11, 2, v11
	v_readfirstlane_b32 s4, v7
	v_readfirstlane_b32 s5, v8
	ds_load_b32 v12, v12 offset:10240
	s_waitcnt lgkmcnt(0)
	global_store_b32 v11, v12, s[4:5]
.LBB36_221:
	s_or_b32 exec_lo, exec_lo, s2
	v_or_b32_e32 v11, 0xb00, v0
	s_mov_b32 s2, exec_lo
	s_delay_alu instid0(VALU_DEP_1)
	v_cmpx_le_u32_e64 v1, v11
	s_xor_b32 s2, exec_lo, s2
	s_cbranch_execz .LBB36_227
; %bb.222:
	s_mov_b32 s4, exec_lo
	v_cmpx_le_u32_e64 v10, v11
	s_xor_b32 s4, exec_lo, s4
	s_cbranch_execz .LBB36_224
; %bb.223:
	v_lshlrev_b32_e32 v12, 2, v0
	v_add_co_u32 v11, vcc_lo, v3, v11
	ds_load_b32 v13, v12 offset:11264
	v_add_co_ci_u32_e32 v12, vcc_lo, 0, v9, vcc_lo
	s_delay_alu instid0(VALU_DEP_1) | instskip(NEXT) | instid1(VALU_DEP_1)
	v_lshlrev_b64 v[11:12], 2, v[11:12]
	v_sub_co_u32 v11, vcc_lo, s1, v11
	s_delay_alu instid0(VALU_DEP_2)
	v_sub_co_ci_u32_e32 v12, vcc_lo, s0, v12, vcc_lo
	s_waitcnt lgkmcnt(0)
	global_store_b32 v[11:12], v13, off
                                        ; implicit-def: $vgpr11
.LBB36_224:
	s_and_not1_saveexec_b32 s4, s4
	s_cbranch_execz .LBB36_226
; %bb.225:
	v_lshlrev_b32_e32 v12, 2, v0
	v_lshlrev_b32_e32 v11, 2, v11
	v_readfirstlane_b32 s6, v5
	v_readfirstlane_b32 s7, v6
	ds_load_b32 v12, v12 offset:11264
	s_waitcnt lgkmcnt(0)
	global_store_b32 v11, v12, s[6:7]
.LBB36_226:
	s_or_b32 exec_lo, exec_lo, s4
                                        ; implicit-def: $vgpr11
.LBB36_227:
	s_and_not1_saveexec_b32 s2, s2
	s_cbranch_execz .LBB36_229
; %bb.228:
	v_lshlrev_b32_e32 v12, 2, v0
	v_lshlrev_b32_e32 v11, 2, v11
	v_readfirstlane_b32 s4, v7
	v_readfirstlane_b32 s5, v8
	ds_load_b32 v12, v12 offset:11264
	s_waitcnt lgkmcnt(0)
	global_store_b32 v11, v12, s[4:5]
.LBB36_229:
	s_or_b32 exec_lo, exec_lo, s2
	v_or_b32_e32 v11, 0xc00, v0
	s_mov_b32 s2, exec_lo
	s_delay_alu instid0(VALU_DEP_1)
	v_cmpx_le_u32_e64 v1, v11
	s_xor_b32 s2, exec_lo, s2
	s_cbranch_execz .LBB36_235
; %bb.230:
	s_mov_b32 s4, exec_lo
	v_cmpx_le_u32_e64 v10, v11
	s_xor_b32 s4, exec_lo, s4
	s_cbranch_execz .LBB36_232
; %bb.231:
	v_lshlrev_b32_e32 v12, 2, v0
	v_add_co_u32 v11, vcc_lo, v3, v11
	ds_load_b32 v13, v12 offset:12288
	v_add_co_ci_u32_e32 v12, vcc_lo, 0, v9, vcc_lo
	s_delay_alu instid0(VALU_DEP_1) | instskip(NEXT) | instid1(VALU_DEP_1)
	v_lshlrev_b64 v[11:12], 2, v[11:12]
	v_sub_co_u32 v11, vcc_lo, s1, v11
	s_delay_alu instid0(VALU_DEP_2)
	v_sub_co_ci_u32_e32 v12, vcc_lo, s0, v12, vcc_lo
	s_waitcnt lgkmcnt(0)
	global_store_b32 v[11:12], v13, off
                                        ; implicit-def: $vgpr11
.LBB36_232:
	s_and_not1_saveexec_b32 s4, s4
	s_cbranch_execz .LBB36_234
; %bb.233:
	v_lshlrev_b32_e32 v12, 2, v0
	v_lshlrev_b32_e32 v11, 2, v11
	v_readfirstlane_b32 s6, v5
	v_readfirstlane_b32 s7, v6
	ds_load_b32 v12, v12 offset:12288
	s_waitcnt lgkmcnt(0)
	global_store_b32 v11, v12, s[6:7]
.LBB36_234:
	s_or_b32 exec_lo, exec_lo, s4
                                        ; implicit-def: $vgpr11
.LBB36_235:
	s_and_not1_saveexec_b32 s2, s2
	s_cbranch_execz .LBB36_237
; %bb.236:
	v_lshlrev_b32_e32 v12, 2, v0
	v_lshlrev_b32_e32 v11, 2, v11
	v_readfirstlane_b32 s4, v7
	v_readfirstlane_b32 s5, v8
	ds_load_b32 v12, v12 offset:12288
	s_waitcnt lgkmcnt(0)
	global_store_b32 v11, v12, s[4:5]
.LBB36_237:
	s_or_b32 exec_lo, exec_lo, s2
	s_branch .LBB36_131
.LBB36_238:
	s_mov_b32 s2, exec_lo
	v_cmpx_gt_u32_e64 s3, v0
	s_cbranch_execz .LBB36_247
; %bb.239:
	s_mov_b32 s4, exec_lo
	v_cmpx_le_u32_e64 v1, v0
	s_xor_b32 s4, exec_lo, s4
	s_cbranch_execz .LBB36_245
; %bb.240:
	s_mov_b32 s5, exec_lo
	v_cmpx_le_u32_e64 v10, v0
	s_xor_b32 s5, exec_lo, s5
	s_cbranch_execz .LBB36_242
; %bb.241:
	v_lshlrev_b32_e32 v11, 2, v0
	ds_load_b32 v13, v11
	v_add_co_u32 v11, vcc_lo, v3, v0
	v_add_co_ci_u32_e32 v12, vcc_lo, 0, v9, vcc_lo
	s_delay_alu instid0(VALU_DEP_1) | instskip(NEXT) | instid1(VALU_DEP_1)
	v_lshlrev_b64 v[11:12], 2, v[11:12]
	v_sub_co_u32 v11, vcc_lo, s26, v11
	s_delay_alu instid0(VALU_DEP_2)
	v_sub_co_ci_u32_e32 v12, vcc_lo, s27, v12, vcc_lo
	s_waitcnt lgkmcnt(0)
	global_store_b32 v[11:12], v13, off offset:-4
.LBB36_242:
	s_and_not1_saveexec_b32 s5, s5
	s_cbranch_execz .LBB36_244
; %bb.243:
	v_lshlrev_b32_e32 v11, 2, v0
	v_readfirstlane_b32 s6, v5
	v_readfirstlane_b32 s7, v6
	ds_load_b32 v12, v11
	s_waitcnt lgkmcnt(0)
	global_store_b32 v11, v12, s[6:7]
.LBB36_244:
	s_or_b32 exec_lo, exec_lo, s5
.LBB36_245:
	s_and_not1_saveexec_b32 s4, s4
	s_cbranch_execz .LBB36_247
; %bb.246:
	v_lshlrev_b32_e32 v11, 2, v0
	v_readfirstlane_b32 s4, v7
	v_readfirstlane_b32 s5, v8
	ds_load_b32 v12, v11
	s_waitcnt lgkmcnt(0)
	global_store_b32 v11, v12, s[4:5]
.LBB36_247:
	s_or_b32 exec_lo, exec_lo, s2
	v_or_b32_e32 v11, 0x100, v0
	s_mov_b32 s2, exec_lo
	s_delay_alu instid0(VALU_DEP_1)
	v_cmpx_gt_u32_e64 s3, v11
	s_cbranch_execz .LBB36_256
; %bb.248:
	s_mov_b32 s4, exec_lo
	v_cmpx_le_u32_e64 v1, v11
	s_xor_b32 s4, exec_lo, s4
	s_cbranch_execz .LBB36_254
; %bb.249:
	s_mov_b32 s5, exec_lo
	v_cmpx_le_u32_e64 v10, v11
	s_xor_b32 s5, exec_lo, s5
	s_cbranch_execz .LBB36_251
; %bb.250:
	v_lshlrev_b32_e32 v11, 2, v0
	ds_load_b32 v13, v11 offset:1024
	v_add_co_u32 v11, vcc_lo, v3, v0
	v_add_co_ci_u32_e32 v12, vcc_lo, 0, v9, vcc_lo
	s_delay_alu instid0(VALU_DEP_1) | instskip(NEXT) | instid1(VALU_DEP_1)
	v_lshlrev_b64 v[11:12], 2, v[11:12]
	v_sub_co_u32 v11, vcc_lo, s1, v11
	s_delay_alu instid0(VALU_DEP_2)
	v_sub_co_ci_u32_e32 v12, vcc_lo, s0, v12, vcc_lo
	s_waitcnt lgkmcnt(0)
	global_store_b32 v[11:12], v13, off offset:-1024
.LBB36_251:
	s_and_not1_saveexec_b32 s5, s5
	s_cbranch_execz .LBB36_253
; %bb.252:
	v_lshlrev_b32_e32 v11, 2, v0
	v_readfirstlane_b32 s6, v5
	v_readfirstlane_b32 s7, v6
	ds_load_b32 v12, v11 offset:1024
	s_waitcnt lgkmcnt(0)
	global_store_b32 v11, v12, s[6:7] offset:1024
.LBB36_253:
	s_or_b32 exec_lo, exec_lo, s5
.LBB36_254:
	s_and_not1_saveexec_b32 s4, s4
	s_cbranch_execz .LBB36_256
; %bb.255:
	v_lshlrev_b32_e32 v11, 2, v0
	v_readfirstlane_b32 s4, v7
	v_readfirstlane_b32 s5, v8
	ds_load_b32 v12, v11 offset:1024
	s_waitcnt lgkmcnt(0)
	global_store_b32 v11, v12, s[4:5] offset:1024
.LBB36_256:
	s_or_b32 exec_lo, exec_lo, s2
	v_or_b32_e32 v11, 0x200, v0
	s_mov_b32 s2, exec_lo
	s_delay_alu instid0(VALU_DEP_1)
	v_cmpx_gt_u32_e64 s3, v11
	s_cbranch_execz .LBB36_265
; %bb.257:
	s_mov_b32 s4, exec_lo
	v_cmpx_le_u32_e64 v1, v11
	s_xor_b32 s4, exec_lo, s4
	s_cbranch_execz .LBB36_263
; %bb.258:
	s_mov_b32 s5, exec_lo
	v_cmpx_le_u32_e64 v10, v11
	s_xor_b32 s5, exec_lo, s5
	s_cbranch_execz .LBB36_260
; %bb.259:
	v_lshlrev_b32_e32 v11, 2, v0
	ds_load_b32 v13, v11 offset:2048
	v_add_co_u32 v11, vcc_lo, v3, v0
	v_add_co_ci_u32_e32 v12, vcc_lo, 0, v9, vcc_lo
	s_delay_alu instid0(VALU_DEP_1) | instskip(NEXT) | instid1(VALU_DEP_1)
	v_lshlrev_b64 v[11:12], 2, v[11:12]
	v_sub_co_u32 v11, vcc_lo, s1, v11
	s_delay_alu instid0(VALU_DEP_2)
	v_sub_co_ci_u32_e32 v12, vcc_lo, s0, v12, vcc_lo
	s_waitcnt lgkmcnt(0)
	global_store_b32 v[11:12], v13, off offset:-2048
.LBB36_260:
	s_and_not1_saveexec_b32 s5, s5
	s_cbranch_execz .LBB36_262
; %bb.261:
	v_lshlrev_b32_e32 v11, 2, v0
	v_readfirstlane_b32 s6, v5
	v_readfirstlane_b32 s7, v6
	ds_load_b32 v12, v11 offset:2048
	s_waitcnt lgkmcnt(0)
	global_store_b32 v11, v12, s[6:7] offset:2048
.LBB36_262:
	s_or_b32 exec_lo, exec_lo, s5
.LBB36_263:
	s_and_not1_saveexec_b32 s4, s4
	s_cbranch_execz .LBB36_265
; %bb.264:
	v_lshlrev_b32_e32 v11, 2, v0
	v_readfirstlane_b32 s4, v7
	v_readfirstlane_b32 s5, v8
	ds_load_b32 v12, v11 offset:2048
	s_waitcnt lgkmcnt(0)
	global_store_b32 v11, v12, s[4:5] offset:2048
.LBB36_265:
	;; [unrolled: 51-line block ×3, first 2 shown]
	s_or_b32 exec_lo, exec_lo, s2
	v_or_b32_e32 v11, 0x400, v0
	s_mov_b32 s2, exec_lo
	s_delay_alu instid0(VALU_DEP_1)
	v_cmpx_gt_u32_e64 s3, v11
	s_cbranch_execz .LBB36_283
; %bb.275:
	s_mov_b32 s4, exec_lo
	v_cmpx_le_u32_e64 v1, v11
	s_xor_b32 s4, exec_lo, s4
	s_cbranch_execz .LBB36_281
; %bb.276:
	s_mov_b32 s5, exec_lo
	v_cmpx_le_u32_e64 v10, v11
	s_xor_b32 s5, exec_lo, s5
	s_cbranch_execz .LBB36_278
; %bb.277:
	v_lshlrev_b32_e32 v11, 2, v0
	ds_load_b32 v13, v11 offset:4096
	v_add_co_u32 v11, vcc_lo, v3, v0
	v_add_co_ci_u32_e32 v12, vcc_lo, 0, v9, vcc_lo
	s_delay_alu instid0(VALU_DEP_1) | instskip(NEXT) | instid1(VALU_DEP_1)
	v_lshlrev_b64 v[11:12], 2, v[11:12]
	v_sub_co_u32 v11, vcc_lo, s1, v11
	s_delay_alu instid0(VALU_DEP_2)
	v_sub_co_ci_u32_e32 v12, vcc_lo, s0, v12, vcc_lo
	s_waitcnt lgkmcnt(0)
	global_store_b32 v[11:12], v13, off offset:-4096
                                        ; implicit-def: $vgpr11
.LBB36_278:
	s_and_not1_saveexec_b32 s5, s5
	s_cbranch_execz .LBB36_280
; %bb.279:
	v_lshlrev_b32_e32 v12, 2, v0
	v_lshlrev_b32_e32 v11, 2, v11
	v_readfirstlane_b32 s6, v5
	v_readfirstlane_b32 s7, v6
	ds_load_b32 v12, v12 offset:4096
	s_waitcnt lgkmcnt(0)
	global_store_b32 v11, v12, s[6:7]
.LBB36_280:
	s_or_b32 exec_lo, exec_lo, s5
                                        ; implicit-def: $vgpr11
.LBB36_281:
	s_and_not1_saveexec_b32 s4, s4
	s_cbranch_execz .LBB36_283
; %bb.282:
	v_lshlrev_b32_e32 v12, 2, v0
	v_lshlrev_b32_e32 v11, 2, v11
	v_readfirstlane_b32 s4, v7
	v_readfirstlane_b32 s5, v8
	ds_load_b32 v12, v12 offset:4096
	s_waitcnt lgkmcnt(0)
	global_store_b32 v11, v12, s[4:5]
.LBB36_283:
	s_or_b32 exec_lo, exec_lo, s2
	v_or_b32_e32 v11, 0x500, v0
	s_mov_b32 s2, exec_lo
	s_delay_alu instid0(VALU_DEP_1)
	v_cmpx_gt_u32_e64 s3, v11
	s_cbranch_execz .LBB36_292
; %bb.284:
	s_mov_b32 s4, exec_lo
	v_cmpx_le_u32_e64 v1, v11
	s_xor_b32 s4, exec_lo, s4
	s_cbranch_execz .LBB36_290
; %bb.285:
	s_mov_b32 s5, exec_lo
	v_cmpx_le_u32_e64 v10, v11
	s_xor_b32 s5, exec_lo, s5
	s_cbranch_execz .LBB36_287
; %bb.286:
	v_lshlrev_b32_e32 v12, 2, v0
	v_add_co_u32 v11, vcc_lo, v3, v11
	ds_load_b32 v13, v12 offset:5120
	v_add_co_ci_u32_e32 v12, vcc_lo, 0, v9, vcc_lo
	s_delay_alu instid0(VALU_DEP_1) | instskip(NEXT) | instid1(VALU_DEP_1)
	v_lshlrev_b64 v[11:12], 2, v[11:12]
	v_sub_co_u32 v11, vcc_lo, s1, v11
	s_delay_alu instid0(VALU_DEP_2)
	v_sub_co_ci_u32_e32 v12, vcc_lo, s0, v12, vcc_lo
	s_waitcnt lgkmcnt(0)
	global_store_b32 v[11:12], v13, off
                                        ; implicit-def: $vgpr11
.LBB36_287:
	s_and_not1_saveexec_b32 s5, s5
	s_cbranch_execz .LBB36_289
; %bb.288:
	v_lshlrev_b32_e32 v12, 2, v0
	v_lshlrev_b32_e32 v11, 2, v11
	v_readfirstlane_b32 s6, v5
	v_readfirstlane_b32 s7, v6
	ds_load_b32 v12, v12 offset:5120
	s_waitcnt lgkmcnt(0)
	global_store_b32 v11, v12, s[6:7]
.LBB36_289:
	s_or_b32 exec_lo, exec_lo, s5
                                        ; implicit-def: $vgpr11
.LBB36_290:
	s_and_not1_saveexec_b32 s4, s4
	s_cbranch_execz .LBB36_292
; %bb.291:
	v_lshlrev_b32_e32 v12, 2, v0
	v_lshlrev_b32_e32 v11, 2, v11
	v_readfirstlane_b32 s4, v7
	v_readfirstlane_b32 s5, v8
	ds_load_b32 v12, v12 offset:5120
	s_waitcnt lgkmcnt(0)
	global_store_b32 v11, v12, s[4:5]
.LBB36_292:
	s_or_b32 exec_lo, exec_lo, s2
	v_or_b32_e32 v11, 0x600, v0
	s_mov_b32 s2, exec_lo
	s_delay_alu instid0(VALU_DEP_1)
	v_cmpx_gt_u32_e64 s3, v11
	s_cbranch_execz .LBB36_301
; %bb.293:
	s_mov_b32 s4, exec_lo
	v_cmpx_le_u32_e64 v1, v11
	s_xor_b32 s4, exec_lo, s4
	s_cbranch_execz .LBB36_299
; %bb.294:
	s_mov_b32 s5, exec_lo
	v_cmpx_le_u32_e64 v10, v11
	s_xor_b32 s5, exec_lo, s5
	s_cbranch_execz .LBB36_296
; %bb.295:
	v_lshlrev_b32_e32 v12, 2, v0
	v_add_co_u32 v11, vcc_lo, v3, v11
	ds_load_b32 v13, v12 offset:6144
	v_add_co_ci_u32_e32 v12, vcc_lo, 0, v9, vcc_lo
	s_delay_alu instid0(VALU_DEP_1) | instskip(NEXT) | instid1(VALU_DEP_1)
	v_lshlrev_b64 v[11:12], 2, v[11:12]
	v_sub_co_u32 v11, vcc_lo, s1, v11
	s_delay_alu instid0(VALU_DEP_2)
	v_sub_co_ci_u32_e32 v12, vcc_lo, s0, v12, vcc_lo
	s_waitcnt lgkmcnt(0)
	global_store_b32 v[11:12], v13, off
                                        ; implicit-def: $vgpr11
.LBB36_296:
	s_and_not1_saveexec_b32 s5, s5
	s_cbranch_execz .LBB36_298
; %bb.297:
	v_lshlrev_b32_e32 v12, 2, v0
	v_lshlrev_b32_e32 v11, 2, v11
	v_readfirstlane_b32 s6, v5
	v_readfirstlane_b32 s7, v6
	ds_load_b32 v12, v12 offset:6144
	s_waitcnt lgkmcnt(0)
	global_store_b32 v11, v12, s[6:7]
.LBB36_298:
	s_or_b32 exec_lo, exec_lo, s5
                                        ; implicit-def: $vgpr11
.LBB36_299:
	s_and_not1_saveexec_b32 s4, s4
	s_cbranch_execz .LBB36_301
; %bb.300:
	v_lshlrev_b32_e32 v12, 2, v0
	v_lshlrev_b32_e32 v11, 2, v11
	v_readfirstlane_b32 s4, v7
	v_readfirstlane_b32 s5, v8
	ds_load_b32 v12, v12 offset:6144
	s_waitcnt lgkmcnt(0)
	global_store_b32 v11, v12, s[4:5]
.LBB36_301:
	;; [unrolled: 55-line block ×7, first 2 shown]
	s_or_b32 exec_lo, exec_lo, s2
	v_or_b32_e32 v11, 0xc00, v0
	s_mov_b32 s2, exec_lo
	s_delay_alu instid0(VALU_DEP_1)
	v_cmpx_gt_u32_e64 s3, v11
	s_cbranch_execz .LBB36_355
; %bb.347:
	s_mov_b32 s3, exec_lo
	v_cmpx_le_u32_e64 v1, v11
	s_xor_b32 s3, exec_lo, s3
	s_cbranch_execz .LBB36_353
; %bb.348:
	s_mov_b32 s4, exec_lo
	v_cmpx_le_u32_e64 v10, v11
	s_xor_b32 s4, exec_lo, s4
	s_cbranch_execz .LBB36_350
; %bb.349:
	v_lshlrev_b32_e32 v5, 2, v0
	ds_load_b32 v7, v5 offset:12288
	v_add_co_u32 v5, vcc_lo, v3, v11
	v_add_co_ci_u32_e32 v6, vcc_lo, 0, v9, vcc_lo
                                        ; implicit-def: $vgpr11
	s_delay_alu instid0(VALU_DEP_1) | instskip(NEXT) | instid1(VALU_DEP_1)
	v_lshlrev_b64 v[5:6], 2, v[5:6]
	v_sub_co_u32 v5, vcc_lo, s1, v5
	s_delay_alu instid0(VALU_DEP_2)
	v_sub_co_ci_u32_e32 v6, vcc_lo, s0, v6, vcc_lo
	s_waitcnt lgkmcnt(0)
	global_store_b32 v[5:6], v7, off
                                        ; implicit-def: $vgpr5_vgpr6
.LBB36_350:
	s_and_not1_saveexec_b32 s0, s4
	s_cbranch_execz .LBB36_352
; %bb.351:
	v_lshlrev_b32_e32 v3, 2, v0
	v_lshlrev_b32_e32 v7, 2, v11
	v_readfirstlane_b32 s4, v5
	v_readfirstlane_b32 s5, v6
	ds_load_b32 v3, v3 offset:12288
	s_waitcnt lgkmcnt(0)
	global_store_b32 v7, v3, s[4:5]
.LBB36_352:
	s_or_b32 exec_lo, exec_lo, s0
                                        ; implicit-def: $vgpr11
                                        ; implicit-def: $vgpr7_vgpr8
.LBB36_353:
	s_and_not1_saveexec_b32 s0, s3
	s_cbranch_execz .LBB36_355
; %bb.354:
	v_lshlrev_b32_e32 v3, 2, v0
	v_lshlrev_b32_e32 v5, 2, v11
	v_readfirstlane_b32 s0, v7
	v_readfirstlane_b32 s1, v8
	ds_load_b32 v3, v3 offset:12288
	s_waitcnt lgkmcnt(0)
	global_store_b32 v5, v3, s[0:1]
.LBB36_355:
	s_or_b32 exec_lo, exec_lo, s2
	v_cmp_eq_u32_e32 vcc_lo, 0, v0
	s_and_b32 s0, vcc_lo, s14
	s_delay_alu instid0(SALU_CYCLE_1)
	s_and_saveexec_b32 s1, s0
	s_cbranch_execz .LBB36_132
.LBB36_356:
	v_add_co_u32 v2, s0, s30, v2
	s_delay_alu instid0(VALU_DEP_1) | instskip(SKIP_2) | instid1(VALU_DEP_4)
	v_add_co_ci_u32_e64 v3, null, s31, 0, s0
	v_add_co_u32 v0, vcc_lo, v18, v1
	v_add_co_ci_u32_e32 v1, vcc_lo, 0, v19, vcc_lo
	v_add_co_u32 v2, vcc_lo, v2, v4
	v_mov_b32_e32 v5, 0
	v_add_co_ci_u32_e32 v3, vcc_lo, 0, v3, vcc_lo
	global_store_b128 v5, v[0:3], s[24:25]
	s_nop 0
	s_sendmsg sendmsg(MSG_DEALLOC_VGPRS)
	s_endpgm
.LBB36_357:
	v_add_nc_u32_e32 v3, s7, v23
	s_add_i32 s10, s15, 32
	s_mov_b32 s11, 0
	v_dual_mov_b32 v5, 0 :: v_dual_add_nc_u32 v2, v22, v1
	s_lshl_b64 s[10:11], s[10:11], 4
	v_and_b32_e32 v20, 0xff0000, v3
	s_add_u32 s10, s4, s10
	s_addc_u32 s11, s5, s11
	v_and_b32_e32 v4, 0xff000000, v3
	s_delay_alu instid0(VALU_DEP_1) | instskip(SKIP_2) | instid1(VALU_DEP_1)
	v_or_b32_e32 v20, v20, v4
	v_dual_mov_b32 v4, 2 :: v_dual_and_b32 v21, 0xff00, v3
	v_and_b32_e32 v3, 0xff, v3
	v_or3_b32 v3, v20, v21, v3
	v_dual_mov_b32 v21, s11 :: v_dual_mov_b32 v20, s10
	;;#ASMSTART
	global_store_dwordx4 v[20:21], v[2:5] off	
s_waitcnt vmcnt(0)
	;;#ASMEND
	s_or_b32 exec_lo, exec_lo, s8
	s_and_saveexec_b32 s8, s2
	s_cbranch_execz .LBB36_116
.LBB36_358:
	v_mov_b32_e32 v2, s7
	v_add_nc_u32_e64 v3, 0x3400, 0
	ds_store_2addr_b32 v3, v1, v2 offset1:2
	ds_store_2addr_b32 v3, v22, v23 offset0:4 offset1:6
	s_or_b32 exec_lo, exec_lo, s8
	v_cmp_eq_u32_e32 vcc_lo, 0, v0
	s_and_b32 exec_lo, exec_lo, vcc_lo
	s_cbranch_execnz .LBB36_117
	s_branch .LBB36_118
	.section	.rodata,"a",@progbits
	.p2align	6, 0x0
	.amdhsa_kernel _ZN7rocprim17ROCPRIM_400000_NS6detail17trampoline_kernelINS0_13select_configILj256ELj13ELNS0_17block_load_methodE3ELS4_3ELS4_3ELNS0_20block_scan_algorithmE0ELj4294967295EEENS1_25partition_config_selectorILNS1_17partition_subalgoE4EjNS0_10empty_typeEbEEZZNS1_14partition_implILS8_4ELb0ES6_15HIP_vector_typeIjLj2EENS0_17counting_iteratorIjlEEPS9_SG_NS0_5tupleIJPjSI_NS0_16reverse_iteratorISI_EEEEENSH_IJSG_SG_SG_EEES9_SI_JZNS1_25segmented_radix_sort_implINS0_14default_configELb1EPKhPhPKlPlN2at6native12_GLOBAL__N_18offset_tEEE10hipError_tPvRmT1_PNSt15iterator_traitsIS12_E10value_typeET2_T3_PNS13_IS18_E10value_typeET4_jRbjT5_S1E_jjP12ihipStream_tbEUljE_ZNSN_ISO_Lb1ESQ_SR_ST_SU_SY_EESZ_S10_S11_S12_S16_S17_S18_S1B_S1C_jS1D_jS1E_S1E_jjS1G_bEUljE0_EEESZ_S10_S11_S18_S1C_S1E_T6_T7_T9_mT8_S1G_bDpT10_ENKUlT_T0_E_clISt17integral_constantIbLb1EES1T_IbLb0EEEEDaS1P_S1Q_EUlS1P_E_NS1_11comp_targetILNS1_3genE9ELNS1_11target_archE1100ELNS1_3gpuE3ELNS1_3repE0EEENS1_30default_config_static_selectorELNS0_4arch9wavefront6targetE0EEEvS12_
		.amdhsa_group_segment_fixed_size 13340
		.amdhsa_private_segment_fixed_size 0
		.amdhsa_kernarg_size 176
		.amdhsa_user_sgpr_count 15
		.amdhsa_user_sgpr_dispatch_ptr 0
		.amdhsa_user_sgpr_queue_ptr 0
		.amdhsa_user_sgpr_kernarg_segment_ptr 1
		.amdhsa_user_sgpr_dispatch_id 0
		.amdhsa_user_sgpr_private_segment_size 0
		.amdhsa_wavefront_size32 1
		.amdhsa_uses_dynamic_stack 0
		.amdhsa_enable_private_segment 0
		.amdhsa_system_sgpr_workgroup_id_x 1
		.amdhsa_system_sgpr_workgroup_id_y 0
		.amdhsa_system_sgpr_workgroup_id_z 0
		.amdhsa_system_sgpr_workgroup_info 0
		.amdhsa_system_vgpr_workitem_id 0
		.amdhsa_next_free_vgpr 98
		.amdhsa_next_free_sgpr 59
		.amdhsa_reserve_vcc 1
		.amdhsa_float_round_mode_32 0
		.amdhsa_float_round_mode_16_64 0
		.amdhsa_float_denorm_mode_32 3
		.amdhsa_float_denorm_mode_16_64 3
		.amdhsa_dx10_clamp 1
		.amdhsa_ieee_mode 1
		.amdhsa_fp16_overflow 0
		.amdhsa_workgroup_processor_mode 1
		.amdhsa_memory_ordered 1
		.amdhsa_forward_progress 0
		.amdhsa_shared_vgpr_count 0
		.amdhsa_exception_fp_ieee_invalid_op 0
		.amdhsa_exception_fp_denorm_src 0
		.amdhsa_exception_fp_ieee_div_zero 0
		.amdhsa_exception_fp_ieee_overflow 0
		.amdhsa_exception_fp_ieee_underflow 0
		.amdhsa_exception_fp_ieee_inexact 0
		.amdhsa_exception_int_div_zero 0
	.end_amdhsa_kernel
	.section	.text._ZN7rocprim17ROCPRIM_400000_NS6detail17trampoline_kernelINS0_13select_configILj256ELj13ELNS0_17block_load_methodE3ELS4_3ELS4_3ELNS0_20block_scan_algorithmE0ELj4294967295EEENS1_25partition_config_selectorILNS1_17partition_subalgoE4EjNS0_10empty_typeEbEEZZNS1_14partition_implILS8_4ELb0ES6_15HIP_vector_typeIjLj2EENS0_17counting_iteratorIjlEEPS9_SG_NS0_5tupleIJPjSI_NS0_16reverse_iteratorISI_EEEEENSH_IJSG_SG_SG_EEES9_SI_JZNS1_25segmented_radix_sort_implINS0_14default_configELb1EPKhPhPKlPlN2at6native12_GLOBAL__N_18offset_tEEE10hipError_tPvRmT1_PNSt15iterator_traitsIS12_E10value_typeET2_T3_PNS13_IS18_E10value_typeET4_jRbjT5_S1E_jjP12ihipStream_tbEUljE_ZNSN_ISO_Lb1ESQ_SR_ST_SU_SY_EESZ_S10_S11_S12_S16_S17_S18_S1B_S1C_jS1D_jS1E_S1E_jjS1G_bEUljE0_EEESZ_S10_S11_S18_S1C_S1E_T6_T7_T9_mT8_S1G_bDpT10_ENKUlT_T0_E_clISt17integral_constantIbLb1EES1T_IbLb0EEEEDaS1P_S1Q_EUlS1P_E_NS1_11comp_targetILNS1_3genE9ELNS1_11target_archE1100ELNS1_3gpuE3ELNS1_3repE0EEENS1_30default_config_static_selectorELNS0_4arch9wavefront6targetE0EEEvS12_,"axG",@progbits,_ZN7rocprim17ROCPRIM_400000_NS6detail17trampoline_kernelINS0_13select_configILj256ELj13ELNS0_17block_load_methodE3ELS4_3ELS4_3ELNS0_20block_scan_algorithmE0ELj4294967295EEENS1_25partition_config_selectorILNS1_17partition_subalgoE4EjNS0_10empty_typeEbEEZZNS1_14partition_implILS8_4ELb0ES6_15HIP_vector_typeIjLj2EENS0_17counting_iteratorIjlEEPS9_SG_NS0_5tupleIJPjSI_NS0_16reverse_iteratorISI_EEEEENSH_IJSG_SG_SG_EEES9_SI_JZNS1_25segmented_radix_sort_implINS0_14default_configELb1EPKhPhPKlPlN2at6native12_GLOBAL__N_18offset_tEEE10hipError_tPvRmT1_PNSt15iterator_traitsIS12_E10value_typeET2_T3_PNS13_IS18_E10value_typeET4_jRbjT5_S1E_jjP12ihipStream_tbEUljE_ZNSN_ISO_Lb1ESQ_SR_ST_SU_SY_EESZ_S10_S11_S12_S16_S17_S18_S1B_S1C_jS1D_jS1E_S1E_jjS1G_bEUljE0_EEESZ_S10_S11_S18_S1C_S1E_T6_T7_T9_mT8_S1G_bDpT10_ENKUlT_T0_E_clISt17integral_constantIbLb1EES1T_IbLb0EEEEDaS1P_S1Q_EUlS1P_E_NS1_11comp_targetILNS1_3genE9ELNS1_11target_archE1100ELNS1_3gpuE3ELNS1_3repE0EEENS1_30default_config_static_selectorELNS0_4arch9wavefront6targetE0EEEvS12_,comdat
.Lfunc_end36:
	.size	_ZN7rocprim17ROCPRIM_400000_NS6detail17trampoline_kernelINS0_13select_configILj256ELj13ELNS0_17block_load_methodE3ELS4_3ELS4_3ELNS0_20block_scan_algorithmE0ELj4294967295EEENS1_25partition_config_selectorILNS1_17partition_subalgoE4EjNS0_10empty_typeEbEEZZNS1_14partition_implILS8_4ELb0ES6_15HIP_vector_typeIjLj2EENS0_17counting_iteratorIjlEEPS9_SG_NS0_5tupleIJPjSI_NS0_16reverse_iteratorISI_EEEEENSH_IJSG_SG_SG_EEES9_SI_JZNS1_25segmented_radix_sort_implINS0_14default_configELb1EPKhPhPKlPlN2at6native12_GLOBAL__N_18offset_tEEE10hipError_tPvRmT1_PNSt15iterator_traitsIS12_E10value_typeET2_T3_PNS13_IS18_E10value_typeET4_jRbjT5_S1E_jjP12ihipStream_tbEUljE_ZNSN_ISO_Lb1ESQ_SR_ST_SU_SY_EESZ_S10_S11_S12_S16_S17_S18_S1B_S1C_jS1D_jS1E_S1E_jjS1G_bEUljE0_EEESZ_S10_S11_S18_S1C_S1E_T6_T7_T9_mT8_S1G_bDpT10_ENKUlT_T0_E_clISt17integral_constantIbLb1EES1T_IbLb0EEEEDaS1P_S1Q_EUlS1P_E_NS1_11comp_targetILNS1_3genE9ELNS1_11target_archE1100ELNS1_3gpuE3ELNS1_3repE0EEENS1_30default_config_static_selectorELNS0_4arch9wavefront6targetE0EEEvS12_, .Lfunc_end36-_ZN7rocprim17ROCPRIM_400000_NS6detail17trampoline_kernelINS0_13select_configILj256ELj13ELNS0_17block_load_methodE3ELS4_3ELS4_3ELNS0_20block_scan_algorithmE0ELj4294967295EEENS1_25partition_config_selectorILNS1_17partition_subalgoE4EjNS0_10empty_typeEbEEZZNS1_14partition_implILS8_4ELb0ES6_15HIP_vector_typeIjLj2EENS0_17counting_iteratorIjlEEPS9_SG_NS0_5tupleIJPjSI_NS0_16reverse_iteratorISI_EEEEENSH_IJSG_SG_SG_EEES9_SI_JZNS1_25segmented_radix_sort_implINS0_14default_configELb1EPKhPhPKlPlN2at6native12_GLOBAL__N_18offset_tEEE10hipError_tPvRmT1_PNSt15iterator_traitsIS12_E10value_typeET2_T3_PNS13_IS18_E10value_typeET4_jRbjT5_S1E_jjP12ihipStream_tbEUljE_ZNSN_ISO_Lb1ESQ_SR_ST_SU_SY_EESZ_S10_S11_S12_S16_S17_S18_S1B_S1C_jS1D_jS1E_S1E_jjS1G_bEUljE0_EEESZ_S10_S11_S18_S1C_S1E_T6_T7_T9_mT8_S1G_bDpT10_ENKUlT_T0_E_clISt17integral_constantIbLb1EES1T_IbLb0EEEEDaS1P_S1Q_EUlS1P_E_NS1_11comp_targetILNS1_3genE9ELNS1_11target_archE1100ELNS1_3gpuE3ELNS1_3repE0EEENS1_30default_config_static_selectorELNS0_4arch9wavefront6targetE0EEEvS12_
                                        ; -- End function
	.section	.AMDGPU.csdata,"",@progbits
; Kernel info:
; codeLenInByte = 15084
; NumSgprs: 61
; NumVgprs: 98
; ScratchSize: 0
; MemoryBound: 0
; FloatMode: 240
; IeeeMode: 1
; LDSByteSize: 13340 bytes/workgroup (compile time only)
; SGPRBlocks: 7
; VGPRBlocks: 12
; NumSGPRsForWavesPerEU: 61
; NumVGPRsForWavesPerEU: 98
; Occupancy: 12
; WaveLimiterHint : 1
; COMPUTE_PGM_RSRC2:SCRATCH_EN: 0
; COMPUTE_PGM_RSRC2:USER_SGPR: 15
; COMPUTE_PGM_RSRC2:TRAP_HANDLER: 0
; COMPUTE_PGM_RSRC2:TGID_X_EN: 1
; COMPUTE_PGM_RSRC2:TGID_Y_EN: 0
; COMPUTE_PGM_RSRC2:TGID_Z_EN: 0
; COMPUTE_PGM_RSRC2:TIDIG_COMP_CNT: 0
	.section	.text._ZN7rocprim17ROCPRIM_400000_NS6detail17trampoline_kernelINS0_13select_configILj256ELj13ELNS0_17block_load_methodE3ELS4_3ELS4_3ELNS0_20block_scan_algorithmE0ELj4294967295EEENS1_25partition_config_selectorILNS1_17partition_subalgoE4EjNS0_10empty_typeEbEEZZNS1_14partition_implILS8_4ELb0ES6_15HIP_vector_typeIjLj2EENS0_17counting_iteratorIjlEEPS9_SG_NS0_5tupleIJPjSI_NS0_16reverse_iteratorISI_EEEEENSH_IJSG_SG_SG_EEES9_SI_JZNS1_25segmented_radix_sort_implINS0_14default_configELb1EPKhPhPKlPlN2at6native12_GLOBAL__N_18offset_tEEE10hipError_tPvRmT1_PNSt15iterator_traitsIS12_E10value_typeET2_T3_PNS13_IS18_E10value_typeET4_jRbjT5_S1E_jjP12ihipStream_tbEUljE_ZNSN_ISO_Lb1ESQ_SR_ST_SU_SY_EESZ_S10_S11_S12_S16_S17_S18_S1B_S1C_jS1D_jS1E_S1E_jjS1G_bEUljE0_EEESZ_S10_S11_S18_S1C_S1E_T6_T7_T9_mT8_S1G_bDpT10_ENKUlT_T0_E_clISt17integral_constantIbLb1EES1T_IbLb0EEEEDaS1P_S1Q_EUlS1P_E_NS1_11comp_targetILNS1_3genE8ELNS1_11target_archE1030ELNS1_3gpuE2ELNS1_3repE0EEENS1_30default_config_static_selectorELNS0_4arch9wavefront6targetE0EEEvS12_,"axG",@progbits,_ZN7rocprim17ROCPRIM_400000_NS6detail17trampoline_kernelINS0_13select_configILj256ELj13ELNS0_17block_load_methodE3ELS4_3ELS4_3ELNS0_20block_scan_algorithmE0ELj4294967295EEENS1_25partition_config_selectorILNS1_17partition_subalgoE4EjNS0_10empty_typeEbEEZZNS1_14partition_implILS8_4ELb0ES6_15HIP_vector_typeIjLj2EENS0_17counting_iteratorIjlEEPS9_SG_NS0_5tupleIJPjSI_NS0_16reverse_iteratorISI_EEEEENSH_IJSG_SG_SG_EEES9_SI_JZNS1_25segmented_radix_sort_implINS0_14default_configELb1EPKhPhPKlPlN2at6native12_GLOBAL__N_18offset_tEEE10hipError_tPvRmT1_PNSt15iterator_traitsIS12_E10value_typeET2_T3_PNS13_IS18_E10value_typeET4_jRbjT5_S1E_jjP12ihipStream_tbEUljE_ZNSN_ISO_Lb1ESQ_SR_ST_SU_SY_EESZ_S10_S11_S12_S16_S17_S18_S1B_S1C_jS1D_jS1E_S1E_jjS1G_bEUljE0_EEESZ_S10_S11_S18_S1C_S1E_T6_T7_T9_mT8_S1G_bDpT10_ENKUlT_T0_E_clISt17integral_constantIbLb1EES1T_IbLb0EEEEDaS1P_S1Q_EUlS1P_E_NS1_11comp_targetILNS1_3genE8ELNS1_11target_archE1030ELNS1_3gpuE2ELNS1_3repE0EEENS1_30default_config_static_selectorELNS0_4arch9wavefront6targetE0EEEvS12_,comdat
	.globl	_ZN7rocprim17ROCPRIM_400000_NS6detail17trampoline_kernelINS0_13select_configILj256ELj13ELNS0_17block_load_methodE3ELS4_3ELS4_3ELNS0_20block_scan_algorithmE0ELj4294967295EEENS1_25partition_config_selectorILNS1_17partition_subalgoE4EjNS0_10empty_typeEbEEZZNS1_14partition_implILS8_4ELb0ES6_15HIP_vector_typeIjLj2EENS0_17counting_iteratorIjlEEPS9_SG_NS0_5tupleIJPjSI_NS0_16reverse_iteratorISI_EEEEENSH_IJSG_SG_SG_EEES9_SI_JZNS1_25segmented_radix_sort_implINS0_14default_configELb1EPKhPhPKlPlN2at6native12_GLOBAL__N_18offset_tEEE10hipError_tPvRmT1_PNSt15iterator_traitsIS12_E10value_typeET2_T3_PNS13_IS18_E10value_typeET4_jRbjT5_S1E_jjP12ihipStream_tbEUljE_ZNSN_ISO_Lb1ESQ_SR_ST_SU_SY_EESZ_S10_S11_S12_S16_S17_S18_S1B_S1C_jS1D_jS1E_S1E_jjS1G_bEUljE0_EEESZ_S10_S11_S18_S1C_S1E_T6_T7_T9_mT8_S1G_bDpT10_ENKUlT_T0_E_clISt17integral_constantIbLb1EES1T_IbLb0EEEEDaS1P_S1Q_EUlS1P_E_NS1_11comp_targetILNS1_3genE8ELNS1_11target_archE1030ELNS1_3gpuE2ELNS1_3repE0EEENS1_30default_config_static_selectorELNS0_4arch9wavefront6targetE0EEEvS12_ ; -- Begin function _ZN7rocprim17ROCPRIM_400000_NS6detail17trampoline_kernelINS0_13select_configILj256ELj13ELNS0_17block_load_methodE3ELS4_3ELS4_3ELNS0_20block_scan_algorithmE0ELj4294967295EEENS1_25partition_config_selectorILNS1_17partition_subalgoE4EjNS0_10empty_typeEbEEZZNS1_14partition_implILS8_4ELb0ES6_15HIP_vector_typeIjLj2EENS0_17counting_iteratorIjlEEPS9_SG_NS0_5tupleIJPjSI_NS0_16reverse_iteratorISI_EEEEENSH_IJSG_SG_SG_EEES9_SI_JZNS1_25segmented_radix_sort_implINS0_14default_configELb1EPKhPhPKlPlN2at6native12_GLOBAL__N_18offset_tEEE10hipError_tPvRmT1_PNSt15iterator_traitsIS12_E10value_typeET2_T3_PNS13_IS18_E10value_typeET4_jRbjT5_S1E_jjP12ihipStream_tbEUljE_ZNSN_ISO_Lb1ESQ_SR_ST_SU_SY_EESZ_S10_S11_S12_S16_S17_S18_S1B_S1C_jS1D_jS1E_S1E_jjS1G_bEUljE0_EEESZ_S10_S11_S18_S1C_S1E_T6_T7_T9_mT8_S1G_bDpT10_ENKUlT_T0_E_clISt17integral_constantIbLb1EES1T_IbLb0EEEEDaS1P_S1Q_EUlS1P_E_NS1_11comp_targetILNS1_3genE8ELNS1_11target_archE1030ELNS1_3gpuE2ELNS1_3repE0EEENS1_30default_config_static_selectorELNS0_4arch9wavefront6targetE0EEEvS12_
	.p2align	8
	.type	_ZN7rocprim17ROCPRIM_400000_NS6detail17trampoline_kernelINS0_13select_configILj256ELj13ELNS0_17block_load_methodE3ELS4_3ELS4_3ELNS0_20block_scan_algorithmE0ELj4294967295EEENS1_25partition_config_selectorILNS1_17partition_subalgoE4EjNS0_10empty_typeEbEEZZNS1_14partition_implILS8_4ELb0ES6_15HIP_vector_typeIjLj2EENS0_17counting_iteratorIjlEEPS9_SG_NS0_5tupleIJPjSI_NS0_16reverse_iteratorISI_EEEEENSH_IJSG_SG_SG_EEES9_SI_JZNS1_25segmented_radix_sort_implINS0_14default_configELb1EPKhPhPKlPlN2at6native12_GLOBAL__N_18offset_tEEE10hipError_tPvRmT1_PNSt15iterator_traitsIS12_E10value_typeET2_T3_PNS13_IS18_E10value_typeET4_jRbjT5_S1E_jjP12ihipStream_tbEUljE_ZNSN_ISO_Lb1ESQ_SR_ST_SU_SY_EESZ_S10_S11_S12_S16_S17_S18_S1B_S1C_jS1D_jS1E_S1E_jjS1G_bEUljE0_EEESZ_S10_S11_S18_S1C_S1E_T6_T7_T9_mT8_S1G_bDpT10_ENKUlT_T0_E_clISt17integral_constantIbLb1EES1T_IbLb0EEEEDaS1P_S1Q_EUlS1P_E_NS1_11comp_targetILNS1_3genE8ELNS1_11target_archE1030ELNS1_3gpuE2ELNS1_3repE0EEENS1_30default_config_static_selectorELNS0_4arch9wavefront6targetE0EEEvS12_,@function
_ZN7rocprim17ROCPRIM_400000_NS6detail17trampoline_kernelINS0_13select_configILj256ELj13ELNS0_17block_load_methodE3ELS4_3ELS4_3ELNS0_20block_scan_algorithmE0ELj4294967295EEENS1_25partition_config_selectorILNS1_17partition_subalgoE4EjNS0_10empty_typeEbEEZZNS1_14partition_implILS8_4ELb0ES6_15HIP_vector_typeIjLj2EENS0_17counting_iteratorIjlEEPS9_SG_NS0_5tupleIJPjSI_NS0_16reverse_iteratorISI_EEEEENSH_IJSG_SG_SG_EEES9_SI_JZNS1_25segmented_radix_sort_implINS0_14default_configELb1EPKhPhPKlPlN2at6native12_GLOBAL__N_18offset_tEEE10hipError_tPvRmT1_PNSt15iterator_traitsIS12_E10value_typeET2_T3_PNS13_IS18_E10value_typeET4_jRbjT5_S1E_jjP12ihipStream_tbEUljE_ZNSN_ISO_Lb1ESQ_SR_ST_SU_SY_EESZ_S10_S11_S12_S16_S17_S18_S1B_S1C_jS1D_jS1E_S1E_jjS1G_bEUljE0_EEESZ_S10_S11_S18_S1C_S1E_T6_T7_T9_mT8_S1G_bDpT10_ENKUlT_T0_E_clISt17integral_constantIbLb1EES1T_IbLb0EEEEDaS1P_S1Q_EUlS1P_E_NS1_11comp_targetILNS1_3genE8ELNS1_11target_archE1030ELNS1_3gpuE2ELNS1_3repE0EEENS1_30default_config_static_selectorELNS0_4arch9wavefront6targetE0EEEvS12_: ; @_ZN7rocprim17ROCPRIM_400000_NS6detail17trampoline_kernelINS0_13select_configILj256ELj13ELNS0_17block_load_methodE3ELS4_3ELS4_3ELNS0_20block_scan_algorithmE0ELj4294967295EEENS1_25partition_config_selectorILNS1_17partition_subalgoE4EjNS0_10empty_typeEbEEZZNS1_14partition_implILS8_4ELb0ES6_15HIP_vector_typeIjLj2EENS0_17counting_iteratorIjlEEPS9_SG_NS0_5tupleIJPjSI_NS0_16reverse_iteratorISI_EEEEENSH_IJSG_SG_SG_EEES9_SI_JZNS1_25segmented_radix_sort_implINS0_14default_configELb1EPKhPhPKlPlN2at6native12_GLOBAL__N_18offset_tEEE10hipError_tPvRmT1_PNSt15iterator_traitsIS12_E10value_typeET2_T3_PNS13_IS18_E10value_typeET4_jRbjT5_S1E_jjP12ihipStream_tbEUljE_ZNSN_ISO_Lb1ESQ_SR_ST_SU_SY_EESZ_S10_S11_S12_S16_S17_S18_S1B_S1C_jS1D_jS1E_S1E_jjS1G_bEUljE0_EEESZ_S10_S11_S18_S1C_S1E_T6_T7_T9_mT8_S1G_bDpT10_ENKUlT_T0_E_clISt17integral_constantIbLb1EES1T_IbLb0EEEEDaS1P_S1Q_EUlS1P_E_NS1_11comp_targetILNS1_3genE8ELNS1_11target_archE1030ELNS1_3gpuE2ELNS1_3repE0EEENS1_30default_config_static_selectorELNS0_4arch9wavefront6targetE0EEEvS12_
; %bb.0:
	.section	.rodata,"a",@progbits
	.p2align	6, 0x0
	.amdhsa_kernel _ZN7rocprim17ROCPRIM_400000_NS6detail17trampoline_kernelINS0_13select_configILj256ELj13ELNS0_17block_load_methodE3ELS4_3ELS4_3ELNS0_20block_scan_algorithmE0ELj4294967295EEENS1_25partition_config_selectorILNS1_17partition_subalgoE4EjNS0_10empty_typeEbEEZZNS1_14partition_implILS8_4ELb0ES6_15HIP_vector_typeIjLj2EENS0_17counting_iteratorIjlEEPS9_SG_NS0_5tupleIJPjSI_NS0_16reverse_iteratorISI_EEEEENSH_IJSG_SG_SG_EEES9_SI_JZNS1_25segmented_radix_sort_implINS0_14default_configELb1EPKhPhPKlPlN2at6native12_GLOBAL__N_18offset_tEEE10hipError_tPvRmT1_PNSt15iterator_traitsIS12_E10value_typeET2_T3_PNS13_IS18_E10value_typeET4_jRbjT5_S1E_jjP12ihipStream_tbEUljE_ZNSN_ISO_Lb1ESQ_SR_ST_SU_SY_EESZ_S10_S11_S12_S16_S17_S18_S1B_S1C_jS1D_jS1E_S1E_jjS1G_bEUljE0_EEESZ_S10_S11_S18_S1C_S1E_T6_T7_T9_mT8_S1G_bDpT10_ENKUlT_T0_E_clISt17integral_constantIbLb1EES1T_IbLb0EEEEDaS1P_S1Q_EUlS1P_E_NS1_11comp_targetILNS1_3genE8ELNS1_11target_archE1030ELNS1_3gpuE2ELNS1_3repE0EEENS1_30default_config_static_selectorELNS0_4arch9wavefront6targetE0EEEvS12_
		.amdhsa_group_segment_fixed_size 0
		.amdhsa_private_segment_fixed_size 0
		.amdhsa_kernarg_size 176
		.amdhsa_user_sgpr_count 15
		.amdhsa_user_sgpr_dispatch_ptr 0
		.amdhsa_user_sgpr_queue_ptr 0
		.amdhsa_user_sgpr_kernarg_segment_ptr 1
		.amdhsa_user_sgpr_dispatch_id 0
		.amdhsa_user_sgpr_private_segment_size 0
		.amdhsa_wavefront_size32 1
		.amdhsa_uses_dynamic_stack 0
		.amdhsa_enable_private_segment 0
		.amdhsa_system_sgpr_workgroup_id_x 1
		.amdhsa_system_sgpr_workgroup_id_y 0
		.amdhsa_system_sgpr_workgroup_id_z 0
		.amdhsa_system_sgpr_workgroup_info 0
		.amdhsa_system_vgpr_workitem_id 0
		.amdhsa_next_free_vgpr 1
		.amdhsa_next_free_sgpr 1
		.amdhsa_reserve_vcc 0
		.amdhsa_float_round_mode_32 0
		.amdhsa_float_round_mode_16_64 0
		.amdhsa_float_denorm_mode_32 3
		.amdhsa_float_denorm_mode_16_64 3
		.amdhsa_dx10_clamp 1
		.amdhsa_ieee_mode 1
		.amdhsa_fp16_overflow 0
		.amdhsa_workgroup_processor_mode 1
		.amdhsa_memory_ordered 1
		.amdhsa_forward_progress 0
		.amdhsa_shared_vgpr_count 0
		.amdhsa_exception_fp_ieee_invalid_op 0
		.amdhsa_exception_fp_denorm_src 0
		.amdhsa_exception_fp_ieee_div_zero 0
		.amdhsa_exception_fp_ieee_overflow 0
		.amdhsa_exception_fp_ieee_underflow 0
		.amdhsa_exception_fp_ieee_inexact 0
		.amdhsa_exception_int_div_zero 0
	.end_amdhsa_kernel
	.section	.text._ZN7rocprim17ROCPRIM_400000_NS6detail17trampoline_kernelINS0_13select_configILj256ELj13ELNS0_17block_load_methodE3ELS4_3ELS4_3ELNS0_20block_scan_algorithmE0ELj4294967295EEENS1_25partition_config_selectorILNS1_17partition_subalgoE4EjNS0_10empty_typeEbEEZZNS1_14partition_implILS8_4ELb0ES6_15HIP_vector_typeIjLj2EENS0_17counting_iteratorIjlEEPS9_SG_NS0_5tupleIJPjSI_NS0_16reverse_iteratorISI_EEEEENSH_IJSG_SG_SG_EEES9_SI_JZNS1_25segmented_radix_sort_implINS0_14default_configELb1EPKhPhPKlPlN2at6native12_GLOBAL__N_18offset_tEEE10hipError_tPvRmT1_PNSt15iterator_traitsIS12_E10value_typeET2_T3_PNS13_IS18_E10value_typeET4_jRbjT5_S1E_jjP12ihipStream_tbEUljE_ZNSN_ISO_Lb1ESQ_SR_ST_SU_SY_EESZ_S10_S11_S12_S16_S17_S18_S1B_S1C_jS1D_jS1E_S1E_jjS1G_bEUljE0_EEESZ_S10_S11_S18_S1C_S1E_T6_T7_T9_mT8_S1G_bDpT10_ENKUlT_T0_E_clISt17integral_constantIbLb1EES1T_IbLb0EEEEDaS1P_S1Q_EUlS1P_E_NS1_11comp_targetILNS1_3genE8ELNS1_11target_archE1030ELNS1_3gpuE2ELNS1_3repE0EEENS1_30default_config_static_selectorELNS0_4arch9wavefront6targetE0EEEvS12_,"axG",@progbits,_ZN7rocprim17ROCPRIM_400000_NS6detail17trampoline_kernelINS0_13select_configILj256ELj13ELNS0_17block_load_methodE3ELS4_3ELS4_3ELNS0_20block_scan_algorithmE0ELj4294967295EEENS1_25partition_config_selectorILNS1_17partition_subalgoE4EjNS0_10empty_typeEbEEZZNS1_14partition_implILS8_4ELb0ES6_15HIP_vector_typeIjLj2EENS0_17counting_iteratorIjlEEPS9_SG_NS0_5tupleIJPjSI_NS0_16reverse_iteratorISI_EEEEENSH_IJSG_SG_SG_EEES9_SI_JZNS1_25segmented_radix_sort_implINS0_14default_configELb1EPKhPhPKlPlN2at6native12_GLOBAL__N_18offset_tEEE10hipError_tPvRmT1_PNSt15iterator_traitsIS12_E10value_typeET2_T3_PNS13_IS18_E10value_typeET4_jRbjT5_S1E_jjP12ihipStream_tbEUljE_ZNSN_ISO_Lb1ESQ_SR_ST_SU_SY_EESZ_S10_S11_S12_S16_S17_S18_S1B_S1C_jS1D_jS1E_S1E_jjS1G_bEUljE0_EEESZ_S10_S11_S18_S1C_S1E_T6_T7_T9_mT8_S1G_bDpT10_ENKUlT_T0_E_clISt17integral_constantIbLb1EES1T_IbLb0EEEEDaS1P_S1Q_EUlS1P_E_NS1_11comp_targetILNS1_3genE8ELNS1_11target_archE1030ELNS1_3gpuE2ELNS1_3repE0EEENS1_30default_config_static_selectorELNS0_4arch9wavefront6targetE0EEEvS12_,comdat
.Lfunc_end37:
	.size	_ZN7rocprim17ROCPRIM_400000_NS6detail17trampoline_kernelINS0_13select_configILj256ELj13ELNS0_17block_load_methodE3ELS4_3ELS4_3ELNS0_20block_scan_algorithmE0ELj4294967295EEENS1_25partition_config_selectorILNS1_17partition_subalgoE4EjNS0_10empty_typeEbEEZZNS1_14partition_implILS8_4ELb0ES6_15HIP_vector_typeIjLj2EENS0_17counting_iteratorIjlEEPS9_SG_NS0_5tupleIJPjSI_NS0_16reverse_iteratorISI_EEEEENSH_IJSG_SG_SG_EEES9_SI_JZNS1_25segmented_radix_sort_implINS0_14default_configELb1EPKhPhPKlPlN2at6native12_GLOBAL__N_18offset_tEEE10hipError_tPvRmT1_PNSt15iterator_traitsIS12_E10value_typeET2_T3_PNS13_IS18_E10value_typeET4_jRbjT5_S1E_jjP12ihipStream_tbEUljE_ZNSN_ISO_Lb1ESQ_SR_ST_SU_SY_EESZ_S10_S11_S12_S16_S17_S18_S1B_S1C_jS1D_jS1E_S1E_jjS1G_bEUljE0_EEESZ_S10_S11_S18_S1C_S1E_T6_T7_T9_mT8_S1G_bDpT10_ENKUlT_T0_E_clISt17integral_constantIbLb1EES1T_IbLb0EEEEDaS1P_S1Q_EUlS1P_E_NS1_11comp_targetILNS1_3genE8ELNS1_11target_archE1030ELNS1_3gpuE2ELNS1_3repE0EEENS1_30default_config_static_selectorELNS0_4arch9wavefront6targetE0EEEvS12_, .Lfunc_end37-_ZN7rocprim17ROCPRIM_400000_NS6detail17trampoline_kernelINS0_13select_configILj256ELj13ELNS0_17block_load_methodE3ELS4_3ELS4_3ELNS0_20block_scan_algorithmE0ELj4294967295EEENS1_25partition_config_selectorILNS1_17partition_subalgoE4EjNS0_10empty_typeEbEEZZNS1_14partition_implILS8_4ELb0ES6_15HIP_vector_typeIjLj2EENS0_17counting_iteratorIjlEEPS9_SG_NS0_5tupleIJPjSI_NS0_16reverse_iteratorISI_EEEEENSH_IJSG_SG_SG_EEES9_SI_JZNS1_25segmented_radix_sort_implINS0_14default_configELb1EPKhPhPKlPlN2at6native12_GLOBAL__N_18offset_tEEE10hipError_tPvRmT1_PNSt15iterator_traitsIS12_E10value_typeET2_T3_PNS13_IS18_E10value_typeET4_jRbjT5_S1E_jjP12ihipStream_tbEUljE_ZNSN_ISO_Lb1ESQ_SR_ST_SU_SY_EESZ_S10_S11_S12_S16_S17_S18_S1B_S1C_jS1D_jS1E_S1E_jjS1G_bEUljE0_EEESZ_S10_S11_S18_S1C_S1E_T6_T7_T9_mT8_S1G_bDpT10_ENKUlT_T0_E_clISt17integral_constantIbLb1EES1T_IbLb0EEEEDaS1P_S1Q_EUlS1P_E_NS1_11comp_targetILNS1_3genE8ELNS1_11target_archE1030ELNS1_3gpuE2ELNS1_3repE0EEENS1_30default_config_static_selectorELNS0_4arch9wavefront6targetE0EEEvS12_
                                        ; -- End function
	.section	.AMDGPU.csdata,"",@progbits
; Kernel info:
; codeLenInByte = 0
; NumSgprs: 0
; NumVgprs: 0
; ScratchSize: 0
; MemoryBound: 0
; FloatMode: 240
; IeeeMode: 1
; LDSByteSize: 0 bytes/workgroup (compile time only)
; SGPRBlocks: 0
; VGPRBlocks: 0
; NumSGPRsForWavesPerEU: 1
; NumVGPRsForWavesPerEU: 1
; Occupancy: 16
; WaveLimiterHint : 0
; COMPUTE_PGM_RSRC2:SCRATCH_EN: 0
; COMPUTE_PGM_RSRC2:USER_SGPR: 15
; COMPUTE_PGM_RSRC2:TRAP_HANDLER: 0
; COMPUTE_PGM_RSRC2:TGID_X_EN: 1
; COMPUTE_PGM_RSRC2:TGID_Y_EN: 0
; COMPUTE_PGM_RSRC2:TGID_Z_EN: 0
; COMPUTE_PGM_RSRC2:TIDIG_COMP_CNT: 0
	.section	.text._ZN7rocprim17ROCPRIM_400000_NS6detail31init_lookback_scan_state_kernelINS1_19lookback_scan_stateI15HIP_vector_typeIjLj2EELb0ELb1EEENS1_16block_id_wrapperIjLb1EEEEEvT_jT0_jPNS9_10value_typeE,"axG",@progbits,_ZN7rocprim17ROCPRIM_400000_NS6detail31init_lookback_scan_state_kernelINS1_19lookback_scan_stateI15HIP_vector_typeIjLj2EELb0ELb1EEENS1_16block_id_wrapperIjLb1EEEEEvT_jT0_jPNS9_10value_typeE,comdat
	.protected	_ZN7rocprim17ROCPRIM_400000_NS6detail31init_lookback_scan_state_kernelINS1_19lookback_scan_stateI15HIP_vector_typeIjLj2EELb0ELb1EEENS1_16block_id_wrapperIjLb1EEEEEvT_jT0_jPNS9_10value_typeE ; -- Begin function _ZN7rocprim17ROCPRIM_400000_NS6detail31init_lookback_scan_state_kernelINS1_19lookback_scan_stateI15HIP_vector_typeIjLj2EELb0ELb1EEENS1_16block_id_wrapperIjLb1EEEEEvT_jT0_jPNS9_10value_typeE
	.globl	_ZN7rocprim17ROCPRIM_400000_NS6detail31init_lookback_scan_state_kernelINS1_19lookback_scan_stateI15HIP_vector_typeIjLj2EELb0ELb1EEENS1_16block_id_wrapperIjLb1EEEEEvT_jT0_jPNS9_10value_typeE
	.p2align	8
	.type	_ZN7rocprim17ROCPRIM_400000_NS6detail31init_lookback_scan_state_kernelINS1_19lookback_scan_stateI15HIP_vector_typeIjLj2EELb0ELb1EEENS1_16block_id_wrapperIjLb1EEEEEvT_jT0_jPNS9_10value_typeE,@function
_ZN7rocprim17ROCPRIM_400000_NS6detail31init_lookback_scan_state_kernelINS1_19lookback_scan_stateI15HIP_vector_typeIjLj2EELb0ELb1EEENS1_16block_id_wrapperIjLb1EEEEEvT_jT0_jPNS9_10value_typeE: ; @_ZN7rocprim17ROCPRIM_400000_NS6detail31init_lookback_scan_state_kernelINS1_19lookback_scan_stateI15HIP_vector_typeIjLj2EELb0ELb1EEENS1_16block_id_wrapperIjLb1EEEEEvT_jT0_jPNS9_10value_typeE
; %bb.0:
	s_clause 0x3
	s_load_b32 s6, s[0:1], 0x34
	s_load_b64 s[4:5], s[0:1], 0x20
	s_load_b64 s[2:3], s[0:1], 0x0
	s_load_b32 s8, s[0:1], 0x8
	s_waitcnt lgkmcnt(0)
	s_and_b32 s6, s6, 0xffff
	s_cmp_eq_u64 s[4:5], 0
	v_mad_u64_u32 v[1:2], null, s15, s6, v[0:1]
	s_cbranch_scc1 .LBB38_8
; %bb.1:
	s_load_b32 s6, s[0:1], 0x18
	s_waitcnt lgkmcnt(0)
	s_cmp_lt_u32 s6, s8
	s_cselect_b32 s7, s6, 0
	s_delay_alu instid0(VALU_DEP_1) | instid1(SALU_CYCLE_1)
	v_cmp_eq_u32_e32 vcc_lo, s7, v1
	s_mov_b32 s7, 0
	s_and_saveexec_b32 s9, vcc_lo
	s_cbranch_execz .LBB38_7
; %bb.2:
	s_add_i32 s6, s6, 32
	s_mov_b32 s10, exec_lo
	s_lshl_b64 s[6:7], s[6:7], 4
	v_mov_b32_e32 v6, 0
	s_add_u32 s6, s2, s6
	s_addc_u32 s7, s3, s7
	s_delay_alu instid0(SALU_CYCLE_1) | instskip(SKIP_2) | instid1(VALU_DEP_1)
	v_dual_mov_b32 v2, s6 :: v_dual_mov_b32 v3, s7
	;;#ASMSTART
	global_load_dwordx4 v[2:5], v[2:3] off glc	
s_waitcnt vmcnt(0)
	;;#ASMEND
	v_and_b32_e32 v5, 0xff, v4
	v_cmpx_eq_u64_e32 0, v[5:6]
	s_cbranch_execz .LBB38_6
; %bb.3:
	v_dual_mov_b32 v8, s7 :: v_dual_mov_b32 v7, s6
	s_mov_b32 s6, 0
.LBB38_4:                               ; =>This Inner Loop Header: Depth=1
	;;#ASMSTART
	global_load_dwordx4 v[2:5], v[7:8] off glc	
s_waitcnt vmcnt(0)
	;;#ASMEND
	v_and_b32_e32 v5, 0xff, v4
	s_delay_alu instid0(VALU_DEP_1) | instskip(SKIP_1) | instid1(SALU_CYCLE_1)
	v_cmp_ne_u64_e32 vcc_lo, 0, v[5:6]
	s_or_b32 s6, vcc_lo, s6
	s_and_not1_b32 exec_lo, exec_lo, s6
	s_cbranch_execnz .LBB38_4
; %bb.5:
	s_or_b32 exec_lo, exec_lo, s6
.LBB38_6:
	s_delay_alu instid0(SALU_CYCLE_1)
	s_or_b32 exec_lo, exec_lo, s10
	v_mov_b32_e32 v0, 0
	global_store_b64 v0, v[2:3], s[4:5]
.LBB38_7:
	s_or_b32 exec_lo, exec_lo, s9
.LBB38_8:
	s_delay_alu instid0(SALU_CYCLE_1) | instskip(NEXT) | instid1(VALU_DEP_1)
	s_mov_b32 s4, exec_lo
	v_cmpx_eq_u32_e32 0, v1
	s_cbranch_execz .LBB38_10
; %bb.9:
	s_load_b64 s[0:1], s[0:1], 0x10
	v_mov_b32_e32 v0, 0
	s_waitcnt lgkmcnt(0)
	global_store_b32 v0, v0, s[0:1]
.LBB38_10:
	s_or_b32 exec_lo, exec_lo, s4
	s_delay_alu instid0(SALU_CYCLE_1)
	s_mov_b32 s0, exec_lo
	v_cmpx_gt_u32_e64 s8, v1
	s_cbranch_execz .LBB38_12
; %bb.11:
	v_dual_mov_b32 v3, 0 :: v_dual_add_nc_u32 v2, 32, v1
	s_delay_alu instid0(VALU_DEP_1) | instskip(SKIP_2) | instid1(VALU_DEP_3)
	v_lshlrev_b64 v[5:6], 4, v[2:3]
	v_mov_b32_e32 v2, v3
	v_mov_b32_e32 v4, v3
	v_add_co_u32 v7, vcc_lo, s2, v5
	s_delay_alu instid0(VALU_DEP_4)
	v_add_co_ci_u32_e32 v8, vcc_lo, s3, v6, vcc_lo
	v_mov_b32_e32 v5, v3
	global_store_b128 v[7:8], v[2:5], off
.LBB38_12:
	s_or_b32 exec_lo, exec_lo, s0
	s_delay_alu instid0(SALU_CYCLE_1)
	s_mov_b32 s0, exec_lo
	v_cmpx_gt_u32_e32 32, v1
	s_cbranch_execz .LBB38_14
; %bb.13:
	v_dual_mov_b32 v2, 0 :: v_dual_mov_b32 v3, 0xff
	s_delay_alu instid0(VALU_DEP_1) | instskip(SKIP_1) | instid1(VALU_DEP_2)
	v_lshlrev_b64 v[4:5], 4, v[1:2]
	v_mov_b32_e32 v1, v2
	v_add_co_u32 v6, vcc_lo, s2, v4
	s_delay_alu instid0(VALU_DEP_3)
	v_add_co_ci_u32_e32 v7, vcc_lo, s3, v5, vcc_lo
	v_mov_b32_e32 v4, v2
	global_store_b128 v[6:7], v[1:4], off
.LBB38_14:
	s_nop 0
	s_sendmsg sendmsg(MSG_DEALLOC_VGPRS)
	s_endpgm
	.section	.rodata,"a",@progbits
	.p2align	6, 0x0
	.amdhsa_kernel _ZN7rocprim17ROCPRIM_400000_NS6detail31init_lookback_scan_state_kernelINS1_19lookback_scan_stateI15HIP_vector_typeIjLj2EELb0ELb1EEENS1_16block_id_wrapperIjLb1EEEEEvT_jT0_jPNS9_10value_typeE
		.amdhsa_group_segment_fixed_size 0
		.amdhsa_private_segment_fixed_size 0
		.amdhsa_kernarg_size 296
		.amdhsa_user_sgpr_count 15
		.amdhsa_user_sgpr_dispatch_ptr 0
		.amdhsa_user_sgpr_queue_ptr 0
		.amdhsa_user_sgpr_kernarg_segment_ptr 1
		.amdhsa_user_sgpr_dispatch_id 0
		.amdhsa_user_sgpr_private_segment_size 0
		.amdhsa_wavefront_size32 1
		.amdhsa_uses_dynamic_stack 0
		.amdhsa_enable_private_segment 0
		.amdhsa_system_sgpr_workgroup_id_x 1
		.amdhsa_system_sgpr_workgroup_id_y 0
		.amdhsa_system_sgpr_workgroup_id_z 0
		.amdhsa_system_sgpr_workgroup_info 0
		.amdhsa_system_vgpr_workitem_id 0
		.amdhsa_next_free_vgpr 9
		.amdhsa_next_free_sgpr 16
		.amdhsa_reserve_vcc 1
		.amdhsa_float_round_mode_32 0
		.amdhsa_float_round_mode_16_64 0
		.amdhsa_float_denorm_mode_32 3
		.amdhsa_float_denorm_mode_16_64 3
		.amdhsa_dx10_clamp 1
		.amdhsa_ieee_mode 1
		.amdhsa_fp16_overflow 0
		.amdhsa_workgroup_processor_mode 1
		.amdhsa_memory_ordered 1
		.amdhsa_forward_progress 0
		.amdhsa_shared_vgpr_count 0
		.amdhsa_exception_fp_ieee_invalid_op 0
		.amdhsa_exception_fp_denorm_src 0
		.amdhsa_exception_fp_ieee_div_zero 0
		.amdhsa_exception_fp_ieee_overflow 0
		.amdhsa_exception_fp_ieee_underflow 0
		.amdhsa_exception_fp_ieee_inexact 0
		.amdhsa_exception_int_div_zero 0
	.end_amdhsa_kernel
	.section	.text._ZN7rocprim17ROCPRIM_400000_NS6detail31init_lookback_scan_state_kernelINS1_19lookback_scan_stateI15HIP_vector_typeIjLj2EELb0ELb1EEENS1_16block_id_wrapperIjLb1EEEEEvT_jT0_jPNS9_10value_typeE,"axG",@progbits,_ZN7rocprim17ROCPRIM_400000_NS6detail31init_lookback_scan_state_kernelINS1_19lookback_scan_stateI15HIP_vector_typeIjLj2EELb0ELb1EEENS1_16block_id_wrapperIjLb1EEEEEvT_jT0_jPNS9_10value_typeE,comdat
.Lfunc_end38:
	.size	_ZN7rocprim17ROCPRIM_400000_NS6detail31init_lookback_scan_state_kernelINS1_19lookback_scan_stateI15HIP_vector_typeIjLj2EELb0ELb1EEENS1_16block_id_wrapperIjLb1EEEEEvT_jT0_jPNS9_10value_typeE, .Lfunc_end38-_ZN7rocprim17ROCPRIM_400000_NS6detail31init_lookback_scan_state_kernelINS1_19lookback_scan_stateI15HIP_vector_typeIjLj2EELb0ELb1EEENS1_16block_id_wrapperIjLb1EEEEEvT_jT0_jPNS9_10value_typeE
                                        ; -- End function
	.section	.AMDGPU.csdata,"",@progbits
; Kernel info:
; codeLenInByte = 512
; NumSgprs: 18
; NumVgprs: 9
; ScratchSize: 0
; MemoryBound: 0
; FloatMode: 240
; IeeeMode: 1
; LDSByteSize: 0 bytes/workgroup (compile time only)
; SGPRBlocks: 2
; VGPRBlocks: 1
; NumSGPRsForWavesPerEU: 18
; NumVGPRsForWavesPerEU: 9
; Occupancy: 16
; WaveLimiterHint : 0
; COMPUTE_PGM_RSRC2:SCRATCH_EN: 0
; COMPUTE_PGM_RSRC2:USER_SGPR: 15
; COMPUTE_PGM_RSRC2:TRAP_HANDLER: 0
; COMPUTE_PGM_RSRC2:TGID_X_EN: 1
; COMPUTE_PGM_RSRC2:TGID_Y_EN: 0
; COMPUTE_PGM_RSRC2:TGID_Z_EN: 0
; COMPUTE_PGM_RSRC2:TIDIG_COMP_CNT: 0
	.section	.text._ZN7rocprim17ROCPRIM_400000_NS6detail17trampoline_kernelINS0_13select_configILj256ELj13ELNS0_17block_load_methodE3ELS4_3ELS4_3ELNS0_20block_scan_algorithmE0ELj4294967295EEENS1_25partition_config_selectorILNS1_17partition_subalgoE4EjNS0_10empty_typeEbEEZZNS1_14partition_implILS8_4ELb0ES6_15HIP_vector_typeIjLj2EENS0_17counting_iteratorIjlEEPS9_SG_NS0_5tupleIJPjSI_NS0_16reverse_iteratorISI_EEEEENSH_IJSG_SG_SG_EEES9_SI_JZNS1_25segmented_radix_sort_implINS0_14default_configELb1EPKhPhPKlPlN2at6native12_GLOBAL__N_18offset_tEEE10hipError_tPvRmT1_PNSt15iterator_traitsIS12_E10value_typeET2_T3_PNS13_IS18_E10value_typeET4_jRbjT5_S1E_jjP12ihipStream_tbEUljE_ZNSN_ISO_Lb1ESQ_SR_ST_SU_SY_EESZ_S10_S11_S12_S16_S17_S18_S1B_S1C_jS1D_jS1E_S1E_jjS1G_bEUljE0_EEESZ_S10_S11_S18_S1C_S1E_T6_T7_T9_mT8_S1G_bDpT10_ENKUlT_T0_E_clISt17integral_constantIbLb0EES1T_IbLb1EEEEDaS1P_S1Q_EUlS1P_E_NS1_11comp_targetILNS1_3genE0ELNS1_11target_archE4294967295ELNS1_3gpuE0ELNS1_3repE0EEENS1_30default_config_static_selectorELNS0_4arch9wavefront6targetE0EEEvS12_,"axG",@progbits,_ZN7rocprim17ROCPRIM_400000_NS6detail17trampoline_kernelINS0_13select_configILj256ELj13ELNS0_17block_load_methodE3ELS4_3ELS4_3ELNS0_20block_scan_algorithmE0ELj4294967295EEENS1_25partition_config_selectorILNS1_17partition_subalgoE4EjNS0_10empty_typeEbEEZZNS1_14partition_implILS8_4ELb0ES6_15HIP_vector_typeIjLj2EENS0_17counting_iteratorIjlEEPS9_SG_NS0_5tupleIJPjSI_NS0_16reverse_iteratorISI_EEEEENSH_IJSG_SG_SG_EEES9_SI_JZNS1_25segmented_radix_sort_implINS0_14default_configELb1EPKhPhPKlPlN2at6native12_GLOBAL__N_18offset_tEEE10hipError_tPvRmT1_PNSt15iterator_traitsIS12_E10value_typeET2_T3_PNS13_IS18_E10value_typeET4_jRbjT5_S1E_jjP12ihipStream_tbEUljE_ZNSN_ISO_Lb1ESQ_SR_ST_SU_SY_EESZ_S10_S11_S12_S16_S17_S18_S1B_S1C_jS1D_jS1E_S1E_jjS1G_bEUljE0_EEESZ_S10_S11_S18_S1C_S1E_T6_T7_T9_mT8_S1G_bDpT10_ENKUlT_T0_E_clISt17integral_constantIbLb0EES1T_IbLb1EEEEDaS1P_S1Q_EUlS1P_E_NS1_11comp_targetILNS1_3genE0ELNS1_11target_archE4294967295ELNS1_3gpuE0ELNS1_3repE0EEENS1_30default_config_static_selectorELNS0_4arch9wavefront6targetE0EEEvS12_,comdat
	.globl	_ZN7rocprim17ROCPRIM_400000_NS6detail17trampoline_kernelINS0_13select_configILj256ELj13ELNS0_17block_load_methodE3ELS4_3ELS4_3ELNS0_20block_scan_algorithmE0ELj4294967295EEENS1_25partition_config_selectorILNS1_17partition_subalgoE4EjNS0_10empty_typeEbEEZZNS1_14partition_implILS8_4ELb0ES6_15HIP_vector_typeIjLj2EENS0_17counting_iteratorIjlEEPS9_SG_NS0_5tupleIJPjSI_NS0_16reverse_iteratorISI_EEEEENSH_IJSG_SG_SG_EEES9_SI_JZNS1_25segmented_radix_sort_implINS0_14default_configELb1EPKhPhPKlPlN2at6native12_GLOBAL__N_18offset_tEEE10hipError_tPvRmT1_PNSt15iterator_traitsIS12_E10value_typeET2_T3_PNS13_IS18_E10value_typeET4_jRbjT5_S1E_jjP12ihipStream_tbEUljE_ZNSN_ISO_Lb1ESQ_SR_ST_SU_SY_EESZ_S10_S11_S12_S16_S17_S18_S1B_S1C_jS1D_jS1E_S1E_jjS1G_bEUljE0_EEESZ_S10_S11_S18_S1C_S1E_T6_T7_T9_mT8_S1G_bDpT10_ENKUlT_T0_E_clISt17integral_constantIbLb0EES1T_IbLb1EEEEDaS1P_S1Q_EUlS1P_E_NS1_11comp_targetILNS1_3genE0ELNS1_11target_archE4294967295ELNS1_3gpuE0ELNS1_3repE0EEENS1_30default_config_static_selectorELNS0_4arch9wavefront6targetE0EEEvS12_ ; -- Begin function _ZN7rocprim17ROCPRIM_400000_NS6detail17trampoline_kernelINS0_13select_configILj256ELj13ELNS0_17block_load_methodE3ELS4_3ELS4_3ELNS0_20block_scan_algorithmE0ELj4294967295EEENS1_25partition_config_selectorILNS1_17partition_subalgoE4EjNS0_10empty_typeEbEEZZNS1_14partition_implILS8_4ELb0ES6_15HIP_vector_typeIjLj2EENS0_17counting_iteratorIjlEEPS9_SG_NS0_5tupleIJPjSI_NS0_16reverse_iteratorISI_EEEEENSH_IJSG_SG_SG_EEES9_SI_JZNS1_25segmented_radix_sort_implINS0_14default_configELb1EPKhPhPKlPlN2at6native12_GLOBAL__N_18offset_tEEE10hipError_tPvRmT1_PNSt15iterator_traitsIS12_E10value_typeET2_T3_PNS13_IS18_E10value_typeET4_jRbjT5_S1E_jjP12ihipStream_tbEUljE_ZNSN_ISO_Lb1ESQ_SR_ST_SU_SY_EESZ_S10_S11_S12_S16_S17_S18_S1B_S1C_jS1D_jS1E_S1E_jjS1G_bEUljE0_EEESZ_S10_S11_S18_S1C_S1E_T6_T7_T9_mT8_S1G_bDpT10_ENKUlT_T0_E_clISt17integral_constantIbLb0EES1T_IbLb1EEEEDaS1P_S1Q_EUlS1P_E_NS1_11comp_targetILNS1_3genE0ELNS1_11target_archE4294967295ELNS1_3gpuE0ELNS1_3repE0EEENS1_30default_config_static_selectorELNS0_4arch9wavefront6targetE0EEEvS12_
	.p2align	8
	.type	_ZN7rocprim17ROCPRIM_400000_NS6detail17trampoline_kernelINS0_13select_configILj256ELj13ELNS0_17block_load_methodE3ELS4_3ELS4_3ELNS0_20block_scan_algorithmE0ELj4294967295EEENS1_25partition_config_selectorILNS1_17partition_subalgoE4EjNS0_10empty_typeEbEEZZNS1_14partition_implILS8_4ELb0ES6_15HIP_vector_typeIjLj2EENS0_17counting_iteratorIjlEEPS9_SG_NS0_5tupleIJPjSI_NS0_16reverse_iteratorISI_EEEEENSH_IJSG_SG_SG_EEES9_SI_JZNS1_25segmented_radix_sort_implINS0_14default_configELb1EPKhPhPKlPlN2at6native12_GLOBAL__N_18offset_tEEE10hipError_tPvRmT1_PNSt15iterator_traitsIS12_E10value_typeET2_T3_PNS13_IS18_E10value_typeET4_jRbjT5_S1E_jjP12ihipStream_tbEUljE_ZNSN_ISO_Lb1ESQ_SR_ST_SU_SY_EESZ_S10_S11_S12_S16_S17_S18_S1B_S1C_jS1D_jS1E_S1E_jjS1G_bEUljE0_EEESZ_S10_S11_S18_S1C_S1E_T6_T7_T9_mT8_S1G_bDpT10_ENKUlT_T0_E_clISt17integral_constantIbLb0EES1T_IbLb1EEEEDaS1P_S1Q_EUlS1P_E_NS1_11comp_targetILNS1_3genE0ELNS1_11target_archE4294967295ELNS1_3gpuE0ELNS1_3repE0EEENS1_30default_config_static_selectorELNS0_4arch9wavefront6targetE0EEEvS12_,@function
_ZN7rocprim17ROCPRIM_400000_NS6detail17trampoline_kernelINS0_13select_configILj256ELj13ELNS0_17block_load_methodE3ELS4_3ELS4_3ELNS0_20block_scan_algorithmE0ELj4294967295EEENS1_25partition_config_selectorILNS1_17partition_subalgoE4EjNS0_10empty_typeEbEEZZNS1_14partition_implILS8_4ELb0ES6_15HIP_vector_typeIjLj2EENS0_17counting_iteratorIjlEEPS9_SG_NS0_5tupleIJPjSI_NS0_16reverse_iteratorISI_EEEEENSH_IJSG_SG_SG_EEES9_SI_JZNS1_25segmented_radix_sort_implINS0_14default_configELb1EPKhPhPKlPlN2at6native12_GLOBAL__N_18offset_tEEE10hipError_tPvRmT1_PNSt15iterator_traitsIS12_E10value_typeET2_T3_PNS13_IS18_E10value_typeET4_jRbjT5_S1E_jjP12ihipStream_tbEUljE_ZNSN_ISO_Lb1ESQ_SR_ST_SU_SY_EESZ_S10_S11_S12_S16_S17_S18_S1B_S1C_jS1D_jS1E_S1E_jjS1G_bEUljE0_EEESZ_S10_S11_S18_S1C_S1E_T6_T7_T9_mT8_S1G_bDpT10_ENKUlT_T0_E_clISt17integral_constantIbLb0EES1T_IbLb1EEEEDaS1P_S1Q_EUlS1P_E_NS1_11comp_targetILNS1_3genE0ELNS1_11target_archE4294967295ELNS1_3gpuE0ELNS1_3repE0EEENS1_30default_config_static_selectorELNS0_4arch9wavefront6targetE0EEEvS12_: ; @_ZN7rocprim17ROCPRIM_400000_NS6detail17trampoline_kernelINS0_13select_configILj256ELj13ELNS0_17block_load_methodE3ELS4_3ELS4_3ELNS0_20block_scan_algorithmE0ELj4294967295EEENS1_25partition_config_selectorILNS1_17partition_subalgoE4EjNS0_10empty_typeEbEEZZNS1_14partition_implILS8_4ELb0ES6_15HIP_vector_typeIjLj2EENS0_17counting_iteratorIjlEEPS9_SG_NS0_5tupleIJPjSI_NS0_16reverse_iteratorISI_EEEEENSH_IJSG_SG_SG_EEES9_SI_JZNS1_25segmented_radix_sort_implINS0_14default_configELb1EPKhPhPKlPlN2at6native12_GLOBAL__N_18offset_tEEE10hipError_tPvRmT1_PNSt15iterator_traitsIS12_E10value_typeET2_T3_PNS13_IS18_E10value_typeET4_jRbjT5_S1E_jjP12ihipStream_tbEUljE_ZNSN_ISO_Lb1ESQ_SR_ST_SU_SY_EESZ_S10_S11_S12_S16_S17_S18_S1B_S1C_jS1D_jS1E_S1E_jjS1G_bEUljE0_EEESZ_S10_S11_S18_S1C_S1E_T6_T7_T9_mT8_S1G_bDpT10_ENKUlT_T0_E_clISt17integral_constantIbLb0EES1T_IbLb1EEEEDaS1P_S1Q_EUlS1P_E_NS1_11comp_targetILNS1_3genE0ELNS1_11target_archE4294967295ELNS1_3gpuE0ELNS1_3repE0EEENS1_30default_config_static_selectorELNS0_4arch9wavefront6targetE0EEEvS12_
; %bb.0:
	.section	.rodata,"a",@progbits
	.p2align	6, 0x0
	.amdhsa_kernel _ZN7rocprim17ROCPRIM_400000_NS6detail17trampoline_kernelINS0_13select_configILj256ELj13ELNS0_17block_load_methodE3ELS4_3ELS4_3ELNS0_20block_scan_algorithmE0ELj4294967295EEENS1_25partition_config_selectorILNS1_17partition_subalgoE4EjNS0_10empty_typeEbEEZZNS1_14partition_implILS8_4ELb0ES6_15HIP_vector_typeIjLj2EENS0_17counting_iteratorIjlEEPS9_SG_NS0_5tupleIJPjSI_NS0_16reverse_iteratorISI_EEEEENSH_IJSG_SG_SG_EEES9_SI_JZNS1_25segmented_radix_sort_implINS0_14default_configELb1EPKhPhPKlPlN2at6native12_GLOBAL__N_18offset_tEEE10hipError_tPvRmT1_PNSt15iterator_traitsIS12_E10value_typeET2_T3_PNS13_IS18_E10value_typeET4_jRbjT5_S1E_jjP12ihipStream_tbEUljE_ZNSN_ISO_Lb1ESQ_SR_ST_SU_SY_EESZ_S10_S11_S12_S16_S17_S18_S1B_S1C_jS1D_jS1E_S1E_jjS1G_bEUljE0_EEESZ_S10_S11_S18_S1C_S1E_T6_T7_T9_mT8_S1G_bDpT10_ENKUlT_T0_E_clISt17integral_constantIbLb0EES1T_IbLb1EEEEDaS1P_S1Q_EUlS1P_E_NS1_11comp_targetILNS1_3genE0ELNS1_11target_archE4294967295ELNS1_3gpuE0ELNS1_3repE0EEENS1_30default_config_static_selectorELNS0_4arch9wavefront6targetE0EEEvS12_
		.amdhsa_group_segment_fixed_size 0
		.amdhsa_private_segment_fixed_size 0
		.amdhsa_kernarg_size 184
		.amdhsa_user_sgpr_count 15
		.amdhsa_user_sgpr_dispatch_ptr 0
		.amdhsa_user_sgpr_queue_ptr 0
		.amdhsa_user_sgpr_kernarg_segment_ptr 1
		.amdhsa_user_sgpr_dispatch_id 0
		.amdhsa_user_sgpr_private_segment_size 0
		.amdhsa_wavefront_size32 1
		.amdhsa_uses_dynamic_stack 0
		.amdhsa_enable_private_segment 0
		.amdhsa_system_sgpr_workgroup_id_x 1
		.amdhsa_system_sgpr_workgroup_id_y 0
		.amdhsa_system_sgpr_workgroup_id_z 0
		.amdhsa_system_sgpr_workgroup_info 0
		.amdhsa_system_vgpr_workitem_id 0
		.amdhsa_next_free_vgpr 1
		.amdhsa_next_free_sgpr 1
		.amdhsa_reserve_vcc 0
		.amdhsa_float_round_mode_32 0
		.amdhsa_float_round_mode_16_64 0
		.amdhsa_float_denorm_mode_32 3
		.amdhsa_float_denorm_mode_16_64 3
		.amdhsa_dx10_clamp 1
		.amdhsa_ieee_mode 1
		.amdhsa_fp16_overflow 0
		.amdhsa_workgroup_processor_mode 1
		.amdhsa_memory_ordered 1
		.amdhsa_forward_progress 0
		.amdhsa_shared_vgpr_count 0
		.amdhsa_exception_fp_ieee_invalid_op 0
		.amdhsa_exception_fp_denorm_src 0
		.amdhsa_exception_fp_ieee_div_zero 0
		.amdhsa_exception_fp_ieee_overflow 0
		.amdhsa_exception_fp_ieee_underflow 0
		.amdhsa_exception_fp_ieee_inexact 0
		.amdhsa_exception_int_div_zero 0
	.end_amdhsa_kernel
	.section	.text._ZN7rocprim17ROCPRIM_400000_NS6detail17trampoline_kernelINS0_13select_configILj256ELj13ELNS0_17block_load_methodE3ELS4_3ELS4_3ELNS0_20block_scan_algorithmE0ELj4294967295EEENS1_25partition_config_selectorILNS1_17partition_subalgoE4EjNS0_10empty_typeEbEEZZNS1_14partition_implILS8_4ELb0ES6_15HIP_vector_typeIjLj2EENS0_17counting_iteratorIjlEEPS9_SG_NS0_5tupleIJPjSI_NS0_16reverse_iteratorISI_EEEEENSH_IJSG_SG_SG_EEES9_SI_JZNS1_25segmented_radix_sort_implINS0_14default_configELb1EPKhPhPKlPlN2at6native12_GLOBAL__N_18offset_tEEE10hipError_tPvRmT1_PNSt15iterator_traitsIS12_E10value_typeET2_T3_PNS13_IS18_E10value_typeET4_jRbjT5_S1E_jjP12ihipStream_tbEUljE_ZNSN_ISO_Lb1ESQ_SR_ST_SU_SY_EESZ_S10_S11_S12_S16_S17_S18_S1B_S1C_jS1D_jS1E_S1E_jjS1G_bEUljE0_EEESZ_S10_S11_S18_S1C_S1E_T6_T7_T9_mT8_S1G_bDpT10_ENKUlT_T0_E_clISt17integral_constantIbLb0EES1T_IbLb1EEEEDaS1P_S1Q_EUlS1P_E_NS1_11comp_targetILNS1_3genE0ELNS1_11target_archE4294967295ELNS1_3gpuE0ELNS1_3repE0EEENS1_30default_config_static_selectorELNS0_4arch9wavefront6targetE0EEEvS12_,"axG",@progbits,_ZN7rocprim17ROCPRIM_400000_NS6detail17trampoline_kernelINS0_13select_configILj256ELj13ELNS0_17block_load_methodE3ELS4_3ELS4_3ELNS0_20block_scan_algorithmE0ELj4294967295EEENS1_25partition_config_selectorILNS1_17partition_subalgoE4EjNS0_10empty_typeEbEEZZNS1_14partition_implILS8_4ELb0ES6_15HIP_vector_typeIjLj2EENS0_17counting_iteratorIjlEEPS9_SG_NS0_5tupleIJPjSI_NS0_16reverse_iteratorISI_EEEEENSH_IJSG_SG_SG_EEES9_SI_JZNS1_25segmented_radix_sort_implINS0_14default_configELb1EPKhPhPKlPlN2at6native12_GLOBAL__N_18offset_tEEE10hipError_tPvRmT1_PNSt15iterator_traitsIS12_E10value_typeET2_T3_PNS13_IS18_E10value_typeET4_jRbjT5_S1E_jjP12ihipStream_tbEUljE_ZNSN_ISO_Lb1ESQ_SR_ST_SU_SY_EESZ_S10_S11_S12_S16_S17_S18_S1B_S1C_jS1D_jS1E_S1E_jjS1G_bEUljE0_EEESZ_S10_S11_S18_S1C_S1E_T6_T7_T9_mT8_S1G_bDpT10_ENKUlT_T0_E_clISt17integral_constantIbLb0EES1T_IbLb1EEEEDaS1P_S1Q_EUlS1P_E_NS1_11comp_targetILNS1_3genE0ELNS1_11target_archE4294967295ELNS1_3gpuE0ELNS1_3repE0EEENS1_30default_config_static_selectorELNS0_4arch9wavefront6targetE0EEEvS12_,comdat
.Lfunc_end39:
	.size	_ZN7rocprim17ROCPRIM_400000_NS6detail17trampoline_kernelINS0_13select_configILj256ELj13ELNS0_17block_load_methodE3ELS4_3ELS4_3ELNS0_20block_scan_algorithmE0ELj4294967295EEENS1_25partition_config_selectorILNS1_17partition_subalgoE4EjNS0_10empty_typeEbEEZZNS1_14partition_implILS8_4ELb0ES6_15HIP_vector_typeIjLj2EENS0_17counting_iteratorIjlEEPS9_SG_NS0_5tupleIJPjSI_NS0_16reverse_iteratorISI_EEEEENSH_IJSG_SG_SG_EEES9_SI_JZNS1_25segmented_radix_sort_implINS0_14default_configELb1EPKhPhPKlPlN2at6native12_GLOBAL__N_18offset_tEEE10hipError_tPvRmT1_PNSt15iterator_traitsIS12_E10value_typeET2_T3_PNS13_IS18_E10value_typeET4_jRbjT5_S1E_jjP12ihipStream_tbEUljE_ZNSN_ISO_Lb1ESQ_SR_ST_SU_SY_EESZ_S10_S11_S12_S16_S17_S18_S1B_S1C_jS1D_jS1E_S1E_jjS1G_bEUljE0_EEESZ_S10_S11_S18_S1C_S1E_T6_T7_T9_mT8_S1G_bDpT10_ENKUlT_T0_E_clISt17integral_constantIbLb0EES1T_IbLb1EEEEDaS1P_S1Q_EUlS1P_E_NS1_11comp_targetILNS1_3genE0ELNS1_11target_archE4294967295ELNS1_3gpuE0ELNS1_3repE0EEENS1_30default_config_static_selectorELNS0_4arch9wavefront6targetE0EEEvS12_, .Lfunc_end39-_ZN7rocprim17ROCPRIM_400000_NS6detail17trampoline_kernelINS0_13select_configILj256ELj13ELNS0_17block_load_methodE3ELS4_3ELS4_3ELNS0_20block_scan_algorithmE0ELj4294967295EEENS1_25partition_config_selectorILNS1_17partition_subalgoE4EjNS0_10empty_typeEbEEZZNS1_14partition_implILS8_4ELb0ES6_15HIP_vector_typeIjLj2EENS0_17counting_iteratorIjlEEPS9_SG_NS0_5tupleIJPjSI_NS0_16reverse_iteratorISI_EEEEENSH_IJSG_SG_SG_EEES9_SI_JZNS1_25segmented_radix_sort_implINS0_14default_configELb1EPKhPhPKlPlN2at6native12_GLOBAL__N_18offset_tEEE10hipError_tPvRmT1_PNSt15iterator_traitsIS12_E10value_typeET2_T3_PNS13_IS18_E10value_typeET4_jRbjT5_S1E_jjP12ihipStream_tbEUljE_ZNSN_ISO_Lb1ESQ_SR_ST_SU_SY_EESZ_S10_S11_S12_S16_S17_S18_S1B_S1C_jS1D_jS1E_S1E_jjS1G_bEUljE0_EEESZ_S10_S11_S18_S1C_S1E_T6_T7_T9_mT8_S1G_bDpT10_ENKUlT_T0_E_clISt17integral_constantIbLb0EES1T_IbLb1EEEEDaS1P_S1Q_EUlS1P_E_NS1_11comp_targetILNS1_3genE0ELNS1_11target_archE4294967295ELNS1_3gpuE0ELNS1_3repE0EEENS1_30default_config_static_selectorELNS0_4arch9wavefront6targetE0EEEvS12_
                                        ; -- End function
	.section	.AMDGPU.csdata,"",@progbits
; Kernel info:
; codeLenInByte = 0
; NumSgprs: 0
; NumVgprs: 0
; ScratchSize: 0
; MemoryBound: 0
; FloatMode: 240
; IeeeMode: 1
; LDSByteSize: 0 bytes/workgroup (compile time only)
; SGPRBlocks: 0
; VGPRBlocks: 0
; NumSGPRsForWavesPerEU: 1
; NumVGPRsForWavesPerEU: 1
; Occupancy: 16
; WaveLimiterHint : 0
; COMPUTE_PGM_RSRC2:SCRATCH_EN: 0
; COMPUTE_PGM_RSRC2:USER_SGPR: 15
; COMPUTE_PGM_RSRC2:TRAP_HANDLER: 0
; COMPUTE_PGM_RSRC2:TGID_X_EN: 1
; COMPUTE_PGM_RSRC2:TGID_Y_EN: 0
; COMPUTE_PGM_RSRC2:TGID_Z_EN: 0
; COMPUTE_PGM_RSRC2:TIDIG_COMP_CNT: 0
	.section	.text._ZN7rocprim17ROCPRIM_400000_NS6detail17trampoline_kernelINS0_13select_configILj256ELj13ELNS0_17block_load_methodE3ELS4_3ELS4_3ELNS0_20block_scan_algorithmE0ELj4294967295EEENS1_25partition_config_selectorILNS1_17partition_subalgoE4EjNS0_10empty_typeEbEEZZNS1_14partition_implILS8_4ELb0ES6_15HIP_vector_typeIjLj2EENS0_17counting_iteratorIjlEEPS9_SG_NS0_5tupleIJPjSI_NS0_16reverse_iteratorISI_EEEEENSH_IJSG_SG_SG_EEES9_SI_JZNS1_25segmented_radix_sort_implINS0_14default_configELb1EPKhPhPKlPlN2at6native12_GLOBAL__N_18offset_tEEE10hipError_tPvRmT1_PNSt15iterator_traitsIS12_E10value_typeET2_T3_PNS13_IS18_E10value_typeET4_jRbjT5_S1E_jjP12ihipStream_tbEUljE_ZNSN_ISO_Lb1ESQ_SR_ST_SU_SY_EESZ_S10_S11_S12_S16_S17_S18_S1B_S1C_jS1D_jS1E_S1E_jjS1G_bEUljE0_EEESZ_S10_S11_S18_S1C_S1E_T6_T7_T9_mT8_S1G_bDpT10_ENKUlT_T0_E_clISt17integral_constantIbLb0EES1T_IbLb1EEEEDaS1P_S1Q_EUlS1P_E_NS1_11comp_targetILNS1_3genE5ELNS1_11target_archE942ELNS1_3gpuE9ELNS1_3repE0EEENS1_30default_config_static_selectorELNS0_4arch9wavefront6targetE0EEEvS12_,"axG",@progbits,_ZN7rocprim17ROCPRIM_400000_NS6detail17trampoline_kernelINS0_13select_configILj256ELj13ELNS0_17block_load_methodE3ELS4_3ELS4_3ELNS0_20block_scan_algorithmE0ELj4294967295EEENS1_25partition_config_selectorILNS1_17partition_subalgoE4EjNS0_10empty_typeEbEEZZNS1_14partition_implILS8_4ELb0ES6_15HIP_vector_typeIjLj2EENS0_17counting_iteratorIjlEEPS9_SG_NS0_5tupleIJPjSI_NS0_16reverse_iteratorISI_EEEEENSH_IJSG_SG_SG_EEES9_SI_JZNS1_25segmented_radix_sort_implINS0_14default_configELb1EPKhPhPKlPlN2at6native12_GLOBAL__N_18offset_tEEE10hipError_tPvRmT1_PNSt15iterator_traitsIS12_E10value_typeET2_T3_PNS13_IS18_E10value_typeET4_jRbjT5_S1E_jjP12ihipStream_tbEUljE_ZNSN_ISO_Lb1ESQ_SR_ST_SU_SY_EESZ_S10_S11_S12_S16_S17_S18_S1B_S1C_jS1D_jS1E_S1E_jjS1G_bEUljE0_EEESZ_S10_S11_S18_S1C_S1E_T6_T7_T9_mT8_S1G_bDpT10_ENKUlT_T0_E_clISt17integral_constantIbLb0EES1T_IbLb1EEEEDaS1P_S1Q_EUlS1P_E_NS1_11comp_targetILNS1_3genE5ELNS1_11target_archE942ELNS1_3gpuE9ELNS1_3repE0EEENS1_30default_config_static_selectorELNS0_4arch9wavefront6targetE0EEEvS12_,comdat
	.globl	_ZN7rocprim17ROCPRIM_400000_NS6detail17trampoline_kernelINS0_13select_configILj256ELj13ELNS0_17block_load_methodE3ELS4_3ELS4_3ELNS0_20block_scan_algorithmE0ELj4294967295EEENS1_25partition_config_selectorILNS1_17partition_subalgoE4EjNS0_10empty_typeEbEEZZNS1_14partition_implILS8_4ELb0ES6_15HIP_vector_typeIjLj2EENS0_17counting_iteratorIjlEEPS9_SG_NS0_5tupleIJPjSI_NS0_16reverse_iteratorISI_EEEEENSH_IJSG_SG_SG_EEES9_SI_JZNS1_25segmented_radix_sort_implINS0_14default_configELb1EPKhPhPKlPlN2at6native12_GLOBAL__N_18offset_tEEE10hipError_tPvRmT1_PNSt15iterator_traitsIS12_E10value_typeET2_T3_PNS13_IS18_E10value_typeET4_jRbjT5_S1E_jjP12ihipStream_tbEUljE_ZNSN_ISO_Lb1ESQ_SR_ST_SU_SY_EESZ_S10_S11_S12_S16_S17_S18_S1B_S1C_jS1D_jS1E_S1E_jjS1G_bEUljE0_EEESZ_S10_S11_S18_S1C_S1E_T6_T7_T9_mT8_S1G_bDpT10_ENKUlT_T0_E_clISt17integral_constantIbLb0EES1T_IbLb1EEEEDaS1P_S1Q_EUlS1P_E_NS1_11comp_targetILNS1_3genE5ELNS1_11target_archE942ELNS1_3gpuE9ELNS1_3repE0EEENS1_30default_config_static_selectorELNS0_4arch9wavefront6targetE0EEEvS12_ ; -- Begin function _ZN7rocprim17ROCPRIM_400000_NS6detail17trampoline_kernelINS0_13select_configILj256ELj13ELNS0_17block_load_methodE3ELS4_3ELS4_3ELNS0_20block_scan_algorithmE0ELj4294967295EEENS1_25partition_config_selectorILNS1_17partition_subalgoE4EjNS0_10empty_typeEbEEZZNS1_14partition_implILS8_4ELb0ES6_15HIP_vector_typeIjLj2EENS0_17counting_iteratorIjlEEPS9_SG_NS0_5tupleIJPjSI_NS0_16reverse_iteratorISI_EEEEENSH_IJSG_SG_SG_EEES9_SI_JZNS1_25segmented_radix_sort_implINS0_14default_configELb1EPKhPhPKlPlN2at6native12_GLOBAL__N_18offset_tEEE10hipError_tPvRmT1_PNSt15iterator_traitsIS12_E10value_typeET2_T3_PNS13_IS18_E10value_typeET4_jRbjT5_S1E_jjP12ihipStream_tbEUljE_ZNSN_ISO_Lb1ESQ_SR_ST_SU_SY_EESZ_S10_S11_S12_S16_S17_S18_S1B_S1C_jS1D_jS1E_S1E_jjS1G_bEUljE0_EEESZ_S10_S11_S18_S1C_S1E_T6_T7_T9_mT8_S1G_bDpT10_ENKUlT_T0_E_clISt17integral_constantIbLb0EES1T_IbLb1EEEEDaS1P_S1Q_EUlS1P_E_NS1_11comp_targetILNS1_3genE5ELNS1_11target_archE942ELNS1_3gpuE9ELNS1_3repE0EEENS1_30default_config_static_selectorELNS0_4arch9wavefront6targetE0EEEvS12_
	.p2align	8
	.type	_ZN7rocprim17ROCPRIM_400000_NS6detail17trampoline_kernelINS0_13select_configILj256ELj13ELNS0_17block_load_methodE3ELS4_3ELS4_3ELNS0_20block_scan_algorithmE0ELj4294967295EEENS1_25partition_config_selectorILNS1_17partition_subalgoE4EjNS0_10empty_typeEbEEZZNS1_14partition_implILS8_4ELb0ES6_15HIP_vector_typeIjLj2EENS0_17counting_iteratorIjlEEPS9_SG_NS0_5tupleIJPjSI_NS0_16reverse_iteratorISI_EEEEENSH_IJSG_SG_SG_EEES9_SI_JZNS1_25segmented_radix_sort_implINS0_14default_configELb1EPKhPhPKlPlN2at6native12_GLOBAL__N_18offset_tEEE10hipError_tPvRmT1_PNSt15iterator_traitsIS12_E10value_typeET2_T3_PNS13_IS18_E10value_typeET4_jRbjT5_S1E_jjP12ihipStream_tbEUljE_ZNSN_ISO_Lb1ESQ_SR_ST_SU_SY_EESZ_S10_S11_S12_S16_S17_S18_S1B_S1C_jS1D_jS1E_S1E_jjS1G_bEUljE0_EEESZ_S10_S11_S18_S1C_S1E_T6_T7_T9_mT8_S1G_bDpT10_ENKUlT_T0_E_clISt17integral_constantIbLb0EES1T_IbLb1EEEEDaS1P_S1Q_EUlS1P_E_NS1_11comp_targetILNS1_3genE5ELNS1_11target_archE942ELNS1_3gpuE9ELNS1_3repE0EEENS1_30default_config_static_selectorELNS0_4arch9wavefront6targetE0EEEvS12_,@function
_ZN7rocprim17ROCPRIM_400000_NS6detail17trampoline_kernelINS0_13select_configILj256ELj13ELNS0_17block_load_methodE3ELS4_3ELS4_3ELNS0_20block_scan_algorithmE0ELj4294967295EEENS1_25partition_config_selectorILNS1_17partition_subalgoE4EjNS0_10empty_typeEbEEZZNS1_14partition_implILS8_4ELb0ES6_15HIP_vector_typeIjLj2EENS0_17counting_iteratorIjlEEPS9_SG_NS0_5tupleIJPjSI_NS0_16reverse_iteratorISI_EEEEENSH_IJSG_SG_SG_EEES9_SI_JZNS1_25segmented_radix_sort_implINS0_14default_configELb1EPKhPhPKlPlN2at6native12_GLOBAL__N_18offset_tEEE10hipError_tPvRmT1_PNSt15iterator_traitsIS12_E10value_typeET2_T3_PNS13_IS18_E10value_typeET4_jRbjT5_S1E_jjP12ihipStream_tbEUljE_ZNSN_ISO_Lb1ESQ_SR_ST_SU_SY_EESZ_S10_S11_S12_S16_S17_S18_S1B_S1C_jS1D_jS1E_S1E_jjS1G_bEUljE0_EEESZ_S10_S11_S18_S1C_S1E_T6_T7_T9_mT8_S1G_bDpT10_ENKUlT_T0_E_clISt17integral_constantIbLb0EES1T_IbLb1EEEEDaS1P_S1Q_EUlS1P_E_NS1_11comp_targetILNS1_3genE5ELNS1_11target_archE942ELNS1_3gpuE9ELNS1_3repE0EEENS1_30default_config_static_selectorELNS0_4arch9wavefront6targetE0EEEvS12_: ; @_ZN7rocprim17ROCPRIM_400000_NS6detail17trampoline_kernelINS0_13select_configILj256ELj13ELNS0_17block_load_methodE3ELS4_3ELS4_3ELNS0_20block_scan_algorithmE0ELj4294967295EEENS1_25partition_config_selectorILNS1_17partition_subalgoE4EjNS0_10empty_typeEbEEZZNS1_14partition_implILS8_4ELb0ES6_15HIP_vector_typeIjLj2EENS0_17counting_iteratorIjlEEPS9_SG_NS0_5tupleIJPjSI_NS0_16reverse_iteratorISI_EEEEENSH_IJSG_SG_SG_EEES9_SI_JZNS1_25segmented_radix_sort_implINS0_14default_configELb1EPKhPhPKlPlN2at6native12_GLOBAL__N_18offset_tEEE10hipError_tPvRmT1_PNSt15iterator_traitsIS12_E10value_typeET2_T3_PNS13_IS18_E10value_typeET4_jRbjT5_S1E_jjP12ihipStream_tbEUljE_ZNSN_ISO_Lb1ESQ_SR_ST_SU_SY_EESZ_S10_S11_S12_S16_S17_S18_S1B_S1C_jS1D_jS1E_S1E_jjS1G_bEUljE0_EEESZ_S10_S11_S18_S1C_S1E_T6_T7_T9_mT8_S1G_bDpT10_ENKUlT_T0_E_clISt17integral_constantIbLb0EES1T_IbLb1EEEEDaS1P_S1Q_EUlS1P_E_NS1_11comp_targetILNS1_3genE5ELNS1_11target_archE942ELNS1_3gpuE9ELNS1_3repE0EEENS1_30default_config_static_selectorELNS0_4arch9wavefront6targetE0EEEvS12_
; %bb.0:
	.section	.rodata,"a",@progbits
	.p2align	6, 0x0
	.amdhsa_kernel _ZN7rocprim17ROCPRIM_400000_NS6detail17trampoline_kernelINS0_13select_configILj256ELj13ELNS0_17block_load_methodE3ELS4_3ELS4_3ELNS0_20block_scan_algorithmE0ELj4294967295EEENS1_25partition_config_selectorILNS1_17partition_subalgoE4EjNS0_10empty_typeEbEEZZNS1_14partition_implILS8_4ELb0ES6_15HIP_vector_typeIjLj2EENS0_17counting_iteratorIjlEEPS9_SG_NS0_5tupleIJPjSI_NS0_16reverse_iteratorISI_EEEEENSH_IJSG_SG_SG_EEES9_SI_JZNS1_25segmented_radix_sort_implINS0_14default_configELb1EPKhPhPKlPlN2at6native12_GLOBAL__N_18offset_tEEE10hipError_tPvRmT1_PNSt15iterator_traitsIS12_E10value_typeET2_T3_PNS13_IS18_E10value_typeET4_jRbjT5_S1E_jjP12ihipStream_tbEUljE_ZNSN_ISO_Lb1ESQ_SR_ST_SU_SY_EESZ_S10_S11_S12_S16_S17_S18_S1B_S1C_jS1D_jS1E_S1E_jjS1G_bEUljE0_EEESZ_S10_S11_S18_S1C_S1E_T6_T7_T9_mT8_S1G_bDpT10_ENKUlT_T0_E_clISt17integral_constantIbLb0EES1T_IbLb1EEEEDaS1P_S1Q_EUlS1P_E_NS1_11comp_targetILNS1_3genE5ELNS1_11target_archE942ELNS1_3gpuE9ELNS1_3repE0EEENS1_30default_config_static_selectorELNS0_4arch9wavefront6targetE0EEEvS12_
		.amdhsa_group_segment_fixed_size 0
		.amdhsa_private_segment_fixed_size 0
		.amdhsa_kernarg_size 184
		.amdhsa_user_sgpr_count 15
		.amdhsa_user_sgpr_dispatch_ptr 0
		.amdhsa_user_sgpr_queue_ptr 0
		.amdhsa_user_sgpr_kernarg_segment_ptr 1
		.amdhsa_user_sgpr_dispatch_id 0
		.amdhsa_user_sgpr_private_segment_size 0
		.amdhsa_wavefront_size32 1
		.amdhsa_uses_dynamic_stack 0
		.amdhsa_enable_private_segment 0
		.amdhsa_system_sgpr_workgroup_id_x 1
		.amdhsa_system_sgpr_workgroup_id_y 0
		.amdhsa_system_sgpr_workgroup_id_z 0
		.amdhsa_system_sgpr_workgroup_info 0
		.amdhsa_system_vgpr_workitem_id 0
		.amdhsa_next_free_vgpr 1
		.amdhsa_next_free_sgpr 1
		.amdhsa_reserve_vcc 0
		.amdhsa_float_round_mode_32 0
		.amdhsa_float_round_mode_16_64 0
		.amdhsa_float_denorm_mode_32 3
		.amdhsa_float_denorm_mode_16_64 3
		.amdhsa_dx10_clamp 1
		.amdhsa_ieee_mode 1
		.amdhsa_fp16_overflow 0
		.amdhsa_workgroup_processor_mode 1
		.amdhsa_memory_ordered 1
		.amdhsa_forward_progress 0
		.amdhsa_shared_vgpr_count 0
		.amdhsa_exception_fp_ieee_invalid_op 0
		.amdhsa_exception_fp_denorm_src 0
		.amdhsa_exception_fp_ieee_div_zero 0
		.amdhsa_exception_fp_ieee_overflow 0
		.amdhsa_exception_fp_ieee_underflow 0
		.amdhsa_exception_fp_ieee_inexact 0
		.amdhsa_exception_int_div_zero 0
	.end_amdhsa_kernel
	.section	.text._ZN7rocprim17ROCPRIM_400000_NS6detail17trampoline_kernelINS0_13select_configILj256ELj13ELNS0_17block_load_methodE3ELS4_3ELS4_3ELNS0_20block_scan_algorithmE0ELj4294967295EEENS1_25partition_config_selectorILNS1_17partition_subalgoE4EjNS0_10empty_typeEbEEZZNS1_14partition_implILS8_4ELb0ES6_15HIP_vector_typeIjLj2EENS0_17counting_iteratorIjlEEPS9_SG_NS0_5tupleIJPjSI_NS0_16reverse_iteratorISI_EEEEENSH_IJSG_SG_SG_EEES9_SI_JZNS1_25segmented_radix_sort_implINS0_14default_configELb1EPKhPhPKlPlN2at6native12_GLOBAL__N_18offset_tEEE10hipError_tPvRmT1_PNSt15iterator_traitsIS12_E10value_typeET2_T3_PNS13_IS18_E10value_typeET4_jRbjT5_S1E_jjP12ihipStream_tbEUljE_ZNSN_ISO_Lb1ESQ_SR_ST_SU_SY_EESZ_S10_S11_S12_S16_S17_S18_S1B_S1C_jS1D_jS1E_S1E_jjS1G_bEUljE0_EEESZ_S10_S11_S18_S1C_S1E_T6_T7_T9_mT8_S1G_bDpT10_ENKUlT_T0_E_clISt17integral_constantIbLb0EES1T_IbLb1EEEEDaS1P_S1Q_EUlS1P_E_NS1_11comp_targetILNS1_3genE5ELNS1_11target_archE942ELNS1_3gpuE9ELNS1_3repE0EEENS1_30default_config_static_selectorELNS0_4arch9wavefront6targetE0EEEvS12_,"axG",@progbits,_ZN7rocprim17ROCPRIM_400000_NS6detail17trampoline_kernelINS0_13select_configILj256ELj13ELNS0_17block_load_methodE3ELS4_3ELS4_3ELNS0_20block_scan_algorithmE0ELj4294967295EEENS1_25partition_config_selectorILNS1_17partition_subalgoE4EjNS0_10empty_typeEbEEZZNS1_14partition_implILS8_4ELb0ES6_15HIP_vector_typeIjLj2EENS0_17counting_iteratorIjlEEPS9_SG_NS0_5tupleIJPjSI_NS0_16reverse_iteratorISI_EEEEENSH_IJSG_SG_SG_EEES9_SI_JZNS1_25segmented_radix_sort_implINS0_14default_configELb1EPKhPhPKlPlN2at6native12_GLOBAL__N_18offset_tEEE10hipError_tPvRmT1_PNSt15iterator_traitsIS12_E10value_typeET2_T3_PNS13_IS18_E10value_typeET4_jRbjT5_S1E_jjP12ihipStream_tbEUljE_ZNSN_ISO_Lb1ESQ_SR_ST_SU_SY_EESZ_S10_S11_S12_S16_S17_S18_S1B_S1C_jS1D_jS1E_S1E_jjS1G_bEUljE0_EEESZ_S10_S11_S18_S1C_S1E_T6_T7_T9_mT8_S1G_bDpT10_ENKUlT_T0_E_clISt17integral_constantIbLb0EES1T_IbLb1EEEEDaS1P_S1Q_EUlS1P_E_NS1_11comp_targetILNS1_3genE5ELNS1_11target_archE942ELNS1_3gpuE9ELNS1_3repE0EEENS1_30default_config_static_selectorELNS0_4arch9wavefront6targetE0EEEvS12_,comdat
.Lfunc_end40:
	.size	_ZN7rocprim17ROCPRIM_400000_NS6detail17trampoline_kernelINS0_13select_configILj256ELj13ELNS0_17block_load_methodE3ELS4_3ELS4_3ELNS0_20block_scan_algorithmE0ELj4294967295EEENS1_25partition_config_selectorILNS1_17partition_subalgoE4EjNS0_10empty_typeEbEEZZNS1_14partition_implILS8_4ELb0ES6_15HIP_vector_typeIjLj2EENS0_17counting_iteratorIjlEEPS9_SG_NS0_5tupleIJPjSI_NS0_16reverse_iteratorISI_EEEEENSH_IJSG_SG_SG_EEES9_SI_JZNS1_25segmented_radix_sort_implINS0_14default_configELb1EPKhPhPKlPlN2at6native12_GLOBAL__N_18offset_tEEE10hipError_tPvRmT1_PNSt15iterator_traitsIS12_E10value_typeET2_T3_PNS13_IS18_E10value_typeET4_jRbjT5_S1E_jjP12ihipStream_tbEUljE_ZNSN_ISO_Lb1ESQ_SR_ST_SU_SY_EESZ_S10_S11_S12_S16_S17_S18_S1B_S1C_jS1D_jS1E_S1E_jjS1G_bEUljE0_EEESZ_S10_S11_S18_S1C_S1E_T6_T7_T9_mT8_S1G_bDpT10_ENKUlT_T0_E_clISt17integral_constantIbLb0EES1T_IbLb1EEEEDaS1P_S1Q_EUlS1P_E_NS1_11comp_targetILNS1_3genE5ELNS1_11target_archE942ELNS1_3gpuE9ELNS1_3repE0EEENS1_30default_config_static_selectorELNS0_4arch9wavefront6targetE0EEEvS12_, .Lfunc_end40-_ZN7rocprim17ROCPRIM_400000_NS6detail17trampoline_kernelINS0_13select_configILj256ELj13ELNS0_17block_load_methodE3ELS4_3ELS4_3ELNS0_20block_scan_algorithmE0ELj4294967295EEENS1_25partition_config_selectorILNS1_17partition_subalgoE4EjNS0_10empty_typeEbEEZZNS1_14partition_implILS8_4ELb0ES6_15HIP_vector_typeIjLj2EENS0_17counting_iteratorIjlEEPS9_SG_NS0_5tupleIJPjSI_NS0_16reverse_iteratorISI_EEEEENSH_IJSG_SG_SG_EEES9_SI_JZNS1_25segmented_radix_sort_implINS0_14default_configELb1EPKhPhPKlPlN2at6native12_GLOBAL__N_18offset_tEEE10hipError_tPvRmT1_PNSt15iterator_traitsIS12_E10value_typeET2_T3_PNS13_IS18_E10value_typeET4_jRbjT5_S1E_jjP12ihipStream_tbEUljE_ZNSN_ISO_Lb1ESQ_SR_ST_SU_SY_EESZ_S10_S11_S12_S16_S17_S18_S1B_S1C_jS1D_jS1E_S1E_jjS1G_bEUljE0_EEESZ_S10_S11_S18_S1C_S1E_T6_T7_T9_mT8_S1G_bDpT10_ENKUlT_T0_E_clISt17integral_constantIbLb0EES1T_IbLb1EEEEDaS1P_S1Q_EUlS1P_E_NS1_11comp_targetILNS1_3genE5ELNS1_11target_archE942ELNS1_3gpuE9ELNS1_3repE0EEENS1_30default_config_static_selectorELNS0_4arch9wavefront6targetE0EEEvS12_
                                        ; -- End function
	.section	.AMDGPU.csdata,"",@progbits
; Kernel info:
; codeLenInByte = 0
; NumSgprs: 0
; NumVgprs: 0
; ScratchSize: 0
; MemoryBound: 0
; FloatMode: 240
; IeeeMode: 1
; LDSByteSize: 0 bytes/workgroup (compile time only)
; SGPRBlocks: 0
; VGPRBlocks: 0
; NumSGPRsForWavesPerEU: 1
; NumVGPRsForWavesPerEU: 1
; Occupancy: 16
; WaveLimiterHint : 0
; COMPUTE_PGM_RSRC2:SCRATCH_EN: 0
; COMPUTE_PGM_RSRC2:USER_SGPR: 15
; COMPUTE_PGM_RSRC2:TRAP_HANDLER: 0
; COMPUTE_PGM_RSRC2:TGID_X_EN: 1
; COMPUTE_PGM_RSRC2:TGID_Y_EN: 0
; COMPUTE_PGM_RSRC2:TGID_Z_EN: 0
; COMPUTE_PGM_RSRC2:TIDIG_COMP_CNT: 0
	.section	.text._ZN7rocprim17ROCPRIM_400000_NS6detail17trampoline_kernelINS0_13select_configILj256ELj13ELNS0_17block_load_methodE3ELS4_3ELS4_3ELNS0_20block_scan_algorithmE0ELj4294967295EEENS1_25partition_config_selectorILNS1_17partition_subalgoE4EjNS0_10empty_typeEbEEZZNS1_14partition_implILS8_4ELb0ES6_15HIP_vector_typeIjLj2EENS0_17counting_iteratorIjlEEPS9_SG_NS0_5tupleIJPjSI_NS0_16reverse_iteratorISI_EEEEENSH_IJSG_SG_SG_EEES9_SI_JZNS1_25segmented_radix_sort_implINS0_14default_configELb1EPKhPhPKlPlN2at6native12_GLOBAL__N_18offset_tEEE10hipError_tPvRmT1_PNSt15iterator_traitsIS12_E10value_typeET2_T3_PNS13_IS18_E10value_typeET4_jRbjT5_S1E_jjP12ihipStream_tbEUljE_ZNSN_ISO_Lb1ESQ_SR_ST_SU_SY_EESZ_S10_S11_S12_S16_S17_S18_S1B_S1C_jS1D_jS1E_S1E_jjS1G_bEUljE0_EEESZ_S10_S11_S18_S1C_S1E_T6_T7_T9_mT8_S1G_bDpT10_ENKUlT_T0_E_clISt17integral_constantIbLb0EES1T_IbLb1EEEEDaS1P_S1Q_EUlS1P_E_NS1_11comp_targetILNS1_3genE4ELNS1_11target_archE910ELNS1_3gpuE8ELNS1_3repE0EEENS1_30default_config_static_selectorELNS0_4arch9wavefront6targetE0EEEvS12_,"axG",@progbits,_ZN7rocprim17ROCPRIM_400000_NS6detail17trampoline_kernelINS0_13select_configILj256ELj13ELNS0_17block_load_methodE3ELS4_3ELS4_3ELNS0_20block_scan_algorithmE0ELj4294967295EEENS1_25partition_config_selectorILNS1_17partition_subalgoE4EjNS0_10empty_typeEbEEZZNS1_14partition_implILS8_4ELb0ES6_15HIP_vector_typeIjLj2EENS0_17counting_iteratorIjlEEPS9_SG_NS0_5tupleIJPjSI_NS0_16reverse_iteratorISI_EEEEENSH_IJSG_SG_SG_EEES9_SI_JZNS1_25segmented_radix_sort_implINS0_14default_configELb1EPKhPhPKlPlN2at6native12_GLOBAL__N_18offset_tEEE10hipError_tPvRmT1_PNSt15iterator_traitsIS12_E10value_typeET2_T3_PNS13_IS18_E10value_typeET4_jRbjT5_S1E_jjP12ihipStream_tbEUljE_ZNSN_ISO_Lb1ESQ_SR_ST_SU_SY_EESZ_S10_S11_S12_S16_S17_S18_S1B_S1C_jS1D_jS1E_S1E_jjS1G_bEUljE0_EEESZ_S10_S11_S18_S1C_S1E_T6_T7_T9_mT8_S1G_bDpT10_ENKUlT_T0_E_clISt17integral_constantIbLb0EES1T_IbLb1EEEEDaS1P_S1Q_EUlS1P_E_NS1_11comp_targetILNS1_3genE4ELNS1_11target_archE910ELNS1_3gpuE8ELNS1_3repE0EEENS1_30default_config_static_selectorELNS0_4arch9wavefront6targetE0EEEvS12_,comdat
	.globl	_ZN7rocprim17ROCPRIM_400000_NS6detail17trampoline_kernelINS0_13select_configILj256ELj13ELNS0_17block_load_methodE3ELS4_3ELS4_3ELNS0_20block_scan_algorithmE0ELj4294967295EEENS1_25partition_config_selectorILNS1_17partition_subalgoE4EjNS0_10empty_typeEbEEZZNS1_14partition_implILS8_4ELb0ES6_15HIP_vector_typeIjLj2EENS0_17counting_iteratorIjlEEPS9_SG_NS0_5tupleIJPjSI_NS0_16reverse_iteratorISI_EEEEENSH_IJSG_SG_SG_EEES9_SI_JZNS1_25segmented_radix_sort_implINS0_14default_configELb1EPKhPhPKlPlN2at6native12_GLOBAL__N_18offset_tEEE10hipError_tPvRmT1_PNSt15iterator_traitsIS12_E10value_typeET2_T3_PNS13_IS18_E10value_typeET4_jRbjT5_S1E_jjP12ihipStream_tbEUljE_ZNSN_ISO_Lb1ESQ_SR_ST_SU_SY_EESZ_S10_S11_S12_S16_S17_S18_S1B_S1C_jS1D_jS1E_S1E_jjS1G_bEUljE0_EEESZ_S10_S11_S18_S1C_S1E_T6_T7_T9_mT8_S1G_bDpT10_ENKUlT_T0_E_clISt17integral_constantIbLb0EES1T_IbLb1EEEEDaS1P_S1Q_EUlS1P_E_NS1_11comp_targetILNS1_3genE4ELNS1_11target_archE910ELNS1_3gpuE8ELNS1_3repE0EEENS1_30default_config_static_selectorELNS0_4arch9wavefront6targetE0EEEvS12_ ; -- Begin function _ZN7rocprim17ROCPRIM_400000_NS6detail17trampoline_kernelINS0_13select_configILj256ELj13ELNS0_17block_load_methodE3ELS4_3ELS4_3ELNS0_20block_scan_algorithmE0ELj4294967295EEENS1_25partition_config_selectorILNS1_17partition_subalgoE4EjNS0_10empty_typeEbEEZZNS1_14partition_implILS8_4ELb0ES6_15HIP_vector_typeIjLj2EENS0_17counting_iteratorIjlEEPS9_SG_NS0_5tupleIJPjSI_NS0_16reverse_iteratorISI_EEEEENSH_IJSG_SG_SG_EEES9_SI_JZNS1_25segmented_radix_sort_implINS0_14default_configELb1EPKhPhPKlPlN2at6native12_GLOBAL__N_18offset_tEEE10hipError_tPvRmT1_PNSt15iterator_traitsIS12_E10value_typeET2_T3_PNS13_IS18_E10value_typeET4_jRbjT5_S1E_jjP12ihipStream_tbEUljE_ZNSN_ISO_Lb1ESQ_SR_ST_SU_SY_EESZ_S10_S11_S12_S16_S17_S18_S1B_S1C_jS1D_jS1E_S1E_jjS1G_bEUljE0_EEESZ_S10_S11_S18_S1C_S1E_T6_T7_T9_mT8_S1G_bDpT10_ENKUlT_T0_E_clISt17integral_constantIbLb0EES1T_IbLb1EEEEDaS1P_S1Q_EUlS1P_E_NS1_11comp_targetILNS1_3genE4ELNS1_11target_archE910ELNS1_3gpuE8ELNS1_3repE0EEENS1_30default_config_static_selectorELNS0_4arch9wavefront6targetE0EEEvS12_
	.p2align	8
	.type	_ZN7rocprim17ROCPRIM_400000_NS6detail17trampoline_kernelINS0_13select_configILj256ELj13ELNS0_17block_load_methodE3ELS4_3ELS4_3ELNS0_20block_scan_algorithmE0ELj4294967295EEENS1_25partition_config_selectorILNS1_17partition_subalgoE4EjNS0_10empty_typeEbEEZZNS1_14partition_implILS8_4ELb0ES6_15HIP_vector_typeIjLj2EENS0_17counting_iteratorIjlEEPS9_SG_NS0_5tupleIJPjSI_NS0_16reverse_iteratorISI_EEEEENSH_IJSG_SG_SG_EEES9_SI_JZNS1_25segmented_radix_sort_implINS0_14default_configELb1EPKhPhPKlPlN2at6native12_GLOBAL__N_18offset_tEEE10hipError_tPvRmT1_PNSt15iterator_traitsIS12_E10value_typeET2_T3_PNS13_IS18_E10value_typeET4_jRbjT5_S1E_jjP12ihipStream_tbEUljE_ZNSN_ISO_Lb1ESQ_SR_ST_SU_SY_EESZ_S10_S11_S12_S16_S17_S18_S1B_S1C_jS1D_jS1E_S1E_jjS1G_bEUljE0_EEESZ_S10_S11_S18_S1C_S1E_T6_T7_T9_mT8_S1G_bDpT10_ENKUlT_T0_E_clISt17integral_constantIbLb0EES1T_IbLb1EEEEDaS1P_S1Q_EUlS1P_E_NS1_11comp_targetILNS1_3genE4ELNS1_11target_archE910ELNS1_3gpuE8ELNS1_3repE0EEENS1_30default_config_static_selectorELNS0_4arch9wavefront6targetE0EEEvS12_,@function
_ZN7rocprim17ROCPRIM_400000_NS6detail17trampoline_kernelINS0_13select_configILj256ELj13ELNS0_17block_load_methodE3ELS4_3ELS4_3ELNS0_20block_scan_algorithmE0ELj4294967295EEENS1_25partition_config_selectorILNS1_17partition_subalgoE4EjNS0_10empty_typeEbEEZZNS1_14partition_implILS8_4ELb0ES6_15HIP_vector_typeIjLj2EENS0_17counting_iteratorIjlEEPS9_SG_NS0_5tupleIJPjSI_NS0_16reverse_iteratorISI_EEEEENSH_IJSG_SG_SG_EEES9_SI_JZNS1_25segmented_radix_sort_implINS0_14default_configELb1EPKhPhPKlPlN2at6native12_GLOBAL__N_18offset_tEEE10hipError_tPvRmT1_PNSt15iterator_traitsIS12_E10value_typeET2_T3_PNS13_IS18_E10value_typeET4_jRbjT5_S1E_jjP12ihipStream_tbEUljE_ZNSN_ISO_Lb1ESQ_SR_ST_SU_SY_EESZ_S10_S11_S12_S16_S17_S18_S1B_S1C_jS1D_jS1E_S1E_jjS1G_bEUljE0_EEESZ_S10_S11_S18_S1C_S1E_T6_T7_T9_mT8_S1G_bDpT10_ENKUlT_T0_E_clISt17integral_constantIbLb0EES1T_IbLb1EEEEDaS1P_S1Q_EUlS1P_E_NS1_11comp_targetILNS1_3genE4ELNS1_11target_archE910ELNS1_3gpuE8ELNS1_3repE0EEENS1_30default_config_static_selectorELNS0_4arch9wavefront6targetE0EEEvS12_: ; @_ZN7rocprim17ROCPRIM_400000_NS6detail17trampoline_kernelINS0_13select_configILj256ELj13ELNS0_17block_load_methodE3ELS4_3ELS4_3ELNS0_20block_scan_algorithmE0ELj4294967295EEENS1_25partition_config_selectorILNS1_17partition_subalgoE4EjNS0_10empty_typeEbEEZZNS1_14partition_implILS8_4ELb0ES6_15HIP_vector_typeIjLj2EENS0_17counting_iteratorIjlEEPS9_SG_NS0_5tupleIJPjSI_NS0_16reverse_iteratorISI_EEEEENSH_IJSG_SG_SG_EEES9_SI_JZNS1_25segmented_radix_sort_implINS0_14default_configELb1EPKhPhPKlPlN2at6native12_GLOBAL__N_18offset_tEEE10hipError_tPvRmT1_PNSt15iterator_traitsIS12_E10value_typeET2_T3_PNS13_IS18_E10value_typeET4_jRbjT5_S1E_jjP12ihipStream_tbEUljE_ZNSN_ISO_Lb1ESQ_SR_ST_SU_SY_EESZ_S10_S11_S12_S16_S17_S18_S1B_S1C_jS1D_jS1E_S1E_jjS1G_bEUljE0_EEESZ_S10_S11_S18_S1C_S1E_T6_T7_T9_mT8_S1G_bDpT10_ENKUlT_T0_E_clISt17integral_constantIbLb0EES1T_IbLb1EEEEDaS1P_S1Q_EUlS1P_E_NS1_11comp_targetILNS1_3genE4ELNS1_11target_archE910ELNS1_3gpuE8ELNS1_3repE0EEENS1_30default_config_static_selectorELNS0_4arch9wavefront6targetE0EEEvS12_
; %bb.0:
	.section	.rodata,"a",@progbits
	.p2align	6, 0x0
	.amdhsa_kernel _ZN7rocprim17ROCPRIM_400000_NS6detail17trampoline_kernelINS0_13select_configILj256ELj13ELNS0_17block_load_methodE3ELS4_3ELS4_3ELNS0_20block_scan_algorithmE0ELj4294967295EEENS1_25partition_config_selectorILNS1_17partition_subalgoE4EjNS0_10empty_typeEbEEZZNS1_14partition_implILS8_4ELb0ES6_15HIP_vector_typeIjLj2EENS0_17counting_iteratorIjlEEPS9_SG_NS0_5tupleIJPjSI_NS0_16reverse_iteratorISI_EEEEENSH_IJSG_SG_SG_EEES9_SI_JZNS1_25segmented_radix_sort_implINS0_14default_configELb1EPKhPhPKlPlN2at6native12_GLOBAL__N_18offset_tEEE10hipError_tPvRmT1_PNSt15iterator_traitsIS12_E10value_typeET2_T3_PNS13_IS18_E10value_typeET4_jRbjT5_S1E_jjP12ihipStream_tbEUljE_ZNSN_ISO_Lb1ESQ_SR_ST_SU_SY_EESZ_S10_S11_S12_S16_S17_S18_S1B_S1C_jS1D_jS1E_S1E_jjS1G_bEUljE0_EEESZ_S10_S11_S18_S1C_S1E_T6_T7_T9_mT8_S1G_bDpT10_ENKUlT_T0_E_clISt17integral_constantIbLb0EES1T_IbLb1EEEEDaS1P_S1Q_EUlS1P_E_NS1_11comp_targetILNS1_3genE4ELNS1_11target_archE910ELNS1_3gpuE8ELNS1_3repE0EEENS1_30default_config_static_selectorELNS0_4arch9wavefront6targetE0EEEvS12_
		.amdhsa_group_segment_fixed_size 0
		.amdhsa_private_segment_fixed_size 0
		.amdhsa_kernarg_size 184
		.amdhsa_user_sgpr_count 15
		.amdhsa_user_sgpr_dispatch_ptr 0
		.amdhsa_user_sgpr_queue_ptr 0
		.amdhsa_user_sgpr_kernarg_segment_ptr 1
		.amdhsa_user_sgpr_dispatch_id 0
		.amdhsa_user_sgpr_private_segment_size 0
		.amdhsa_wavefront_size32 1
		.amdhsa_uses_dynamic_stack 0
		.amdhsa_enable_private_segment 0
		.amdhsa_system_sgpr_workgroup_id_x 1
		.amdhsa_system_sgpr_workgroup_id_y 0
		.amdhsa_system_sgpr_workgroup_id_z 0
		.amdhsa_system_sgpr_workgroup_info 0
		.amdhsa_system_vgpr_workitem_id 0
		.amdhsa_next_free_vgpr 1
		.amdhsa_next_free_sgpr 1
		.amdhsa_reserve_vcc 0
		.amdhsa_float_round_mode_32 0
		.amdhsa_float_round_mode_16_64 0
		.amdhsa_float_denorm_mode_32 3
		.amdhsa_float_denorm_mode_16_64 3
		.amdhsa_dx10_clamp 1
		.amdhsa_ieee_mode 1
		.amdhsa_fp16_overflow 0
		.amdhsa_workgroup_processor_mode 1
		.amdhsa_memory_ordered 1
		.amdhsa_forward_progress 0
		.amdhsa_shared_vgpr_count 0
		.amdhsa_exception_fp_ieee_invalid_op 0
		.amdhsa_exception_fp_denorm_src 0
		.amdhsa_exception_fp_ieee_div_zero 0
		.amdhsa_exception_fp_ieee_overflow 0
		.amdhsa_exception_fp_ieee_underflow 0
		.amdhsa_exception_fp_ieee_inexact 0
		.amdhsa_exception_int_div_zero 0
	.end_amdhsa_kernel
	.section	.text._ZN7rocprim17ROCPRIM_400000_NS6detail17trampoline_kernelINS0_13select_configILj256ELj13ELNS0_17block_load_methodE3ELS4_3ELS4_3ELNS0_20block_scan_algorithmE0ELj4294967295EEENS1_25partition_config_selectorILNS1_17partition_subalgoE4EjNS0_10empty_typeEbEEZZNS1_14partition_implILS8_4ELb0ES6_15HIP_vector_typeIjLj2EENS0_17counting_iteratorIjlEEPS9_SG_NS0_5tupleIJPjSI_NS0_16reverse_iteratorISI_EEEEENSH_IJSG_SG_SG_EEES9_SI_JZNS1_25segmented_radix_sort_implINS0_14default_configELb1EPKhPhPKlPlN2at6native12_GLOBAL__N_18offset_tEEE10hipError_tPvRmT1_PNSt15iterator_traitsIS12_E10value_typeET2_T3_PNS13_IS18_E10value_typeET4_jRbjT5_S1E_jjP12ihipStream_tbEUljE_ZNSN_ISO_Lb1ESQ_SR_ST_SU_SY_EESZ_S10_S11_S12_S16_S17_S18_S1B_S1C_jS1D_jS1E_S1E_jjS1G_bEUljE0_EEESZ_S10_S11_S18_S1C_S1E_T6_T7_T9_mT8_S1G_bDpT10_ENKUlT_T0_E_clISt17integral_constantIbLb0EES1T_IbLb1EEEEDaS1P_S1Q_EUlS1P_E_NS1_11comp_targetILNS1_3genE4ELNS1_11target_archE910ELNS1_3gpuE8ELNS1_3repE0EEENS1_30default_config_static_selectorELNS0_4arch9wavefront6targetE0EEEvS12_,"axG",@progbits,_ZN7rocprim17ROCPRIM_400000_NS6detail17trampoline_kernelINS0_13select_configILj256ELj13ELNS0_17block_load_methodE3ELS4_3ELS4_3ELNS0_20block_scan_algorithmE0ELj4294967295EEENS1_25partition_config_selectorILNS1_17partition_subalgoE4EjNS0_10empty_typeEbEEZZNS1_14partition_implILS8_4ELb0ES6_15HIP_vector_typeIjLj2EENS0_17counting_iteratorIjlEEPS9_SG_NS0_5tupleIJPjSI_NS0_16reverse_iteratorISI_EEEEENSH_IJSG_SG_SG_EEES9_SI_JZNS1_25segmented_radix_sort_implINS0_14default_configELb1EPKhPhPKlPlN2at6native12_GLOBAL__N_18offset_tEEE10hipError_tPvRmT1_PNSt15iterator_traitsIS12_E10value_typeET2_T3_PNS13_IS18_E10value_typeET4_jRbjT5_S1E_jjP12ihipStream_tbEUljE_ZNSN_ISO_Lb1ESQ_SR_ST_SU_SY_EESZ_S10_S11_S12_S16_S17_S18_S1B_S1C_jS1D_jS1E_S1E_jjS1G_bEUljE0_EEESZ_S10_S11_S18_S1C_S1E_T6_T7_T9_mT8_S1G_bDpT10_ENKUlT_T0_E_clISt17integral_constantIbLb0EES1T_IbLb1EEEEDaS1P_S1Q_EUlS1P_E_NS1_11comp_targetILNS1_3genE4ELNS1_11target_archE910ELNS1_3gpuE8ELNS1_3repE0EEENS1_30default_config_static_selectorELNS0_4arch9wavefront6targetE0EEEvS12_,comdat
.Lfunc_end41:
	.size	_ZN7rocprim17ROCPRIM_400000_NS6detail17trampoline_kernelINS0_13select_configILj256ELj13ELNS0_17block_load_methodE3ELS4_3ELS4_3ELNS0_20block_scan_algorithmE0ELj4294967295EEENS1_25partition_config_selectorILNS1_17partition_subalgoE4EjNS0_10empty_typeEbEEZZNS1_14partition_implILS8_4ELb0ES6_15HIP_vector_typeIjLj2EENS0_17counting_iteratorIjlEEPS9_SG_NS0_5tupleIJPjSI_NS0_16reverse_iteratorISI_EEEEENSH_IJSG_SG_SG_EEES9_SI_JZNS1_25segmented_radix_sort_implINS0_14default_configELb1EPKhPhPKlPlN2at6native12_GLOBAL__N_18offset_tEEE10hipError_tPvRmT1_PNSt15iterator_traitsIS12_E10value_typeET2_T3_PNS13_IS18_E10value_typeET4_jRbjT5_S1E_jjP12ihipStream_tbEUljE_ZNSN_ISO_Lb1ESQ_SR_ST_SU_SY_EESZ_S10_S11_S12_S16_S17_S18_S1B_S1C_jS1D_jS1E_S1E_jjS1G_bEUljE0_EEESZ_S10_S11_S18_S1C_S1E_T6_T7_T9_mT8_S1G_bDpT10_ENKUlT_T0_E_clISt17integral_constantIbLb0EES1T_IbLb1EEEEDaS1P_S1Q_EUlS1P_E_NS1_11comp_targetILNS1_3genE4ELNS1_11target_archE910ELNS1_3gpuE8ELNS1_3repE0EEENS1_30default_config_static_selectorELNS0_4arch9wavefront6targetE0EEEvS12_, .Lfunc_end41-_ZN7rocprim17ROCPRIM_400000_NS6detail17trampoline_kernelINS0_13select_configILj256ELj13ELNS0_17block_load_methodE3ELS4_3ELS4_3ELNS0_20block_scan_algorithmE0ELj4294967295EEENS1_25partition_config_selectorILNS1_17partition_subalgoE4EjNS0_10empty_typeEbEEZZNS1_14partition_implILS8_4ELb0ES6_15HIP_vector_typeIjLj2EENS0_17counting_iteratorIjlEEPS9_SG_NS0_5tupleIJPjSI_NS0_16reverse_iteratorISI_EEEEENSH_IJSG_SG_SG_EEES9_SI_JZNS1_25segmented_radix_sort_implINS0_14default_configELb1EPKhPhPKlPlN2at6native12_GLOBAL__N_18offset_tEEE10hipError_tPvRmT1_PNSt15iterator_traitsIS12_E10value_typeET2_T3_PNS13_IS18_E10value_typeET4_jRbjT5_S1E_jjP12ihipStream_tbEUljE_ZNSN_ISO_Lb1ESQ_SR_ST_SU_SY_EESZ_S10_S11_S12_S16_S17_S18_S1B_S1C_jS1D_jS1E_S1E_jjS1G_bEUljE0_EEESZ_S10_S11_S18_S1C_S1E_T6_T7_T9_mT8_S1G_bDpT10_ENKUlT_T0_E_clISt17integral_constantIbLb0EES1T_IbLb1EEEEDaS1P_S1Q_EUlS1P_E_NS1_11comp_targetILNS1_3genE4ELNS1_11target_archE910ELNS1_3gpuE8ELNS1_3repE0EEENS1_30default_config_static_selectorELNS0_4arch9wavefront6targetE0EEEvS12_
                                        ; -- End function
	.section	.AMDGPU.csdata,"",@progbits
; Kernel info:
; codeLenInByte = 0
; NumSgprs: 0
; NumVgprs: 0
; ScratchSize: 0
; MemoryBound: 0
; FloatMode: 240
; IeeeMode: 1
; LDSByteSize: 0 bytes/workgroup (compile time only)
; SGPRBlocks: 0
; VGPRBlocks: 0
; NumSGPRsForWavesPerEU: 1
; NumVGPRsForWavesPerEU: 1
; Occupancy: 16
; WaveLimiterHint : 0
; COMPUTE_PGM_RSRC2:SCRATCH_EN: 0
; COMPUTE_PGM_RSRC2:USER_SGPR: 15
; COMPUTE_PGM_RSRC2:TRAP_HANDLER: 0
; COMPUTE_PGM_RSRC2:TGID_X_EN: 1
; COMPUTE_PGM_RSRC2:TGID_Y_EN: 0
; COMPUTE_PGM_RSRC2:TGID_Z_EN: 0
; COMPUTE_PGM_RSRC2:TIDIG_COMP_CNT: 0
	.section	.text._ZN7rocprim17ROCPRIM_400000_NS6detail17trampoline_kernelINS0_13select_configILj256ELj13ELNS0_17block_load_methodE3ELS4_3ELS4_3ELNS0_20block_scan_algorithmE0ELj4294967295EEENS1_25partition_config_selectorILNS1_17partition_subalgoE4EjNS0_10empty_typeEbEEZZNS1_14partition_implILS8_4ELb0ES6_15HIP_vector_typeIjLj2EENS0_17counting_iteratorIjlEEPS9_SG_NS0_5tupleIJPjSI_NS0_16reverse_iteratorISI_EEEEENSH_IJSG_SG_SG_EEES9_SI_JZNS1_25segmented_radix_sort_implINS0_14default_configELb1EPKhPhPKlPlN2at6native12_GLOBAL__N_18offset_tEEE10hipError_tPvRmT1_PNSt15iterator_traitsIS12_E10value_typeET2_T3_PNS13_IS18_E10value_typeET4_jRbjT5_S1E_jjP12ihipStream_tbEUljE_ZNSN_ISO_Lb1ESQ_SR_ST_SU_SY_EESZ_S10_S11_S12_S16_S17_S18_S1B_S1C_jS1D_jS1E_S1E_jjS1G_bEUljE0_EEESZ_S10_S11_S18_S1C_S1E_T6_T7_T9_mT8_S1G_bDpT10_ENKUlT_T0_E_clISt17integral_constantIbLb0EES1T_IbLb1EEEEDaS1P_S1Q_EUlS1P_E_NS1_11comp_targetILNS1_3genE3ELNS1_11target_archE908ELNS1_3gpuE7ELNS1_3repE0EEENS1_30default_config_static_selectorELNS0_4arch9wavefront6targetE0EEEvS12_,"axG",@progbits,_ZN7rocprim17ROCPRIM_400000_NS6detail17trampoline_kernelINS0_13select_configILj256ELj13ELNS0_17block_load_methodE3ELS4_3ELS4_3ELNS0_20block_scan_algorithmE0ELj4294967295EEENS1_25partition_config_selectorILNS1_17partition_subalgoE4EjNS0_10empty_typeEbEEZZNS1_14partition_implILS8_4ELb0ES6_15HIP_vector_typeIjLj2EENS0_17counting_iteratorIjlEEPS9_SG_NS0_5tupleIJPjSI_NS0_16reverse_iteratorISI_EEEEENSH_IJSG_SG_SG_EEES9_SI_JZNS1_25segmented_radix_sort_implINS0_14default_configELb1EPKhPhPKlPlN2at6native12_GLOBAL__N_18offset_tEEE10hipError_tPvRmT1_PNSt15iterator_traitsIS12_E10value_typeET2_T3_PNS13_IS18_E10value_typeET4_jRbjT5_S1E_jjP12ihipStream_tbEUljE_ZNSN_ISO_Lb1ESQ_SR_ST_SU_SY_EESZ_S10_S11_S12_S16_S17_S18_S1B_S1C_jS1D_jS1E_S1E_jjS1G_bEUljE0_EEESZ_S10_S11_S18_S1C_S1E_T6_T7_T9_mT8_S1G_bDpT10_ENKUlT_T0_E_clISt17integral_constantIbLb0EES1T_IbLb1EEEEDaS1P_S1Q_EUlS1P_E_NS1_11comp_targetILNS1_3genE3ELNS1_11target_archE908ELNS1_3gpuE7ELNS1_3repE0EEENS1_30default_config_static_selectorELNS0_4arch9wavefront6targetE0EEEvS12_,comdat
	.globl	_ZN7rocprim17ROCPRIM_400000_NS6detail17trampoline_kernelINS0_13select_configILj256ELj13ELNS0_17block_load_methodE3ELS4_3ELS4_3ELNS0_20block_scan_algorithmE0ELj4294967295EEENS1_25partition_config_selectorILNS1_17partition_subalgoE4EjNS0_10empty_typeEbEEZZNS1_14partition_implILS8_4ELb0ES6_15HIP_vector_typeIjLj2EENS0_17counting_iteratorIjlEEPS9_SG_NS0_5tupleIJPjSI_NS0_16reverse_iteratorISI_EEEEENSH_IJSG_SG_SG_EEES9_SI_JZNS1_25segmented_radix_sort_implINS0_14default_configELb1EPKhPhPKlPlN2at6native12_GLOBAL__N_18offset_tEEE10hipError_tPvRmT1_PNSt15iterator_traitsIS12_E10value_typeET2_T3_PNS13_IS18_E10value_typeET4_jRbjT5_S1E_jjP12ihipStream_tbEUljE_ZNSN_ISO_Lb1ESQ_SR_ST_SU_SY_EESZ_S10_S11_S12_S16_S17_S18_S1B_S1C_jS1D_jS1E_S1E_jjS1G_bEUljE0_EEESZ_S10_S11_S18_S1C_S1E_T6_T7_T9_mT8_S1G_bDpT10_ENKUlT_T0_E_clISt17integral_constantIbLb0EES1T_IbLb1EEEEDaS1P_S1Q_EUlS1P_E_NS1_11comp_targetILNS1_3genE3ELNS1_11target_archE908ELNS1_3gpuE7ELNS1_3repE0EEENS1_30default_config_static_selectorELNS0_4arch9wavefront6targetE0EEEvS12_ ; -- Begin function _ZN7rocprim17ROCPRIM_400000_NS6detail17trampoline_kernelINS0_13select_configILj256ELj13ELNS0_17block_load_methodE3ELS4_3ELS4_3ELNS0_20block_scan_algorithmE0ELj4294967295EEENS1_25partition_config_selectorILNS1_17partition_subalgoE4EjNS0_10empty_typeEbEEZZNS1_14partition_implILS8_4ELb0ES6_15HIP_vector_typeIjLj2EENS0_17counting_iteratorIjlEEPS9_SG_NS0_5tupleIJPjSI_NS0_16reverse_iteratorISI_EEEEENSH_IJSG_SG_SG_EEES9_SI_JZNS1_25segmented_radix_sort_implINS0_14default_configELb1EPKhPhPKlPlN2at6native12_GLOBAL__N_18offset_tEEE10hipError_tPvRmT1_PNSt15iterator_traitsIS12_E10value_typeET2_T3_PNS13_IS18_E10value_typeET4_jRbjT5_S1E_jjP12ihipStream_tbEUljE_ZNSN_ISO_Lb1ESQ_SR_ST_SU_SY_EESZ_S10_S11_S12_S16_S17_S18_S1B_S1C_jS1D_jS1E_S1E_jjS1G_bEUljE0_EEESZ_S10_S11_S18_S1C_S1E_T6_T7_T9_mT8_S1G_bDpT10_ENKUlT_T0_E_clISt17integral_constantIbLb0EES1T_IbLb1EEEEDaS1P_S1Q_EUlS1P_E_NS1_11comp_targetILNS1_3genE3ELNS1_11target_archE908ELNS1_3gpuE7ELNS1_3repE0EEENS1_30default_config_static_selectorELNS0_4arch9wavefront6targetE0EEEvS12_
	.p2align	8
	.type	_ZN7rocprim17ROCPRIM_400000_NS6detail17trampoline_kernelINS0_13select_configILj256ELj13ELNS0_17block_load_methodE3ELS4_3ELS4_3ELNS0_20block_scan_algorithmE0ELj4294967295EEENS1_25partition_config_selectorILNS1_17partition_subalgoE4EjNS0_10empty_typeEbEEZZNS1_14partition_implILS8_4ELb0ES6_15HIP_vector_typeIjLj2EENS0_17counting_iteratorIjlEEPS9_SG_NS0_5tupleIJPjSI_NS0_16reverse_iteratorISI_EEEEENSH_IJSG_SG_SG_EEES9_SI_JZNS1_25segmented_radix_sort_implINS0_14default_configELb1EPKhPhPKlPlN2at6native12_GLOBAL__N_18offset_tEEE10hipError_tPvRmT1_PNSt15iterator_traitsIS12_E10value_typeET2_T3_PNS13_IS18_E10value_typeET4_jRbjT5_S1E_jjP12ihipStream_tbEUljE_ZNSN_ISO_Lb1ESQ_SR_ST_SU_SY_EESZ_S10_S11_S12_S16_S17_S18_S1B_S1C_jS1D_jS1E_S1E_jjS1G_bEUljE0_EEESZ_S10_S11_S18_S1C_S1E_T6_T7_T9_mT8_S1G_bDpT10_ENKUlT_T0_E_clISt17integral_constantIbLb0EES1T_IbLb1EEEEDaS1P_S1Q_EUlS1P_E_NS1_11comp_targetILNS1_3genE3ELNS1_11target_archE908ELNS1_3gpuE7ELNS1_3repE0EEENS1_30default_config_static_selectorELNS0_4arch9wavefront6targetE0EEEvS12_,@function
_ZN7rocprim17ROCPRIM_400000_NS6detail17trampoline_kernelINS0_13select_configILj256ELj13ELNS0_17block_load_methodE3ELS4_3ELS4_3ELNS0_20block_scan_algorithmE0ELj4294967295EEENS1_25partition_config_selectorILNS1_17partition_subalgoE4EjNS0_10empty_typeEbEEZZNS1_14partition_implILS8_4ELb0ES6_15HIP_vector_typeIjLj2EENS0_17counting_iteratorIjlEEPS9_SG_NS0_5tupleIJPjSI_NS0_16reverse_iteratorISI_EEEEENSH_IJSG_SG_SG_EEES9_SI_JZNS1_25segmented_radix_sort_implINS0_14default_configELb1EPKhPhPKlPlN2at6native12_GLOBAL__N_18offset_tEEE10hipError_tPvRmT1_PNSt15iterator_traitsIS12_E10value_typeET2_T3_PNS13_IS18_E10value_typeET4_jRbjT5_S1E_jjP12ihipStream_tbEUljE_ZNSN_ISO_Lb1ESQ_SR_ST_SU_SY_EESZ_S10_S11_S12_S16_S17_S18_S1B_S1C_jS1D_jS1E_S1E_jjS1G_bEUljE0_EEESZ_S10_S11_S18_S1C_S1E_T6_T7_T9_mT8_S1G_bDpT10_ENKUlT_T0_E_clISt17integral_constantIbLb0EES1T_IbLb1EEEEDaS1P_S1Q_EUlS1P_E_NS1_11comp_targetILNS1_3genE3ELNS1_11target_archE908ELNS1_3gpuE7ELNS1_3repE0EEENS1_30default_config_static_selectorELNS0_4arch9wavefront6targetE0EEEvS12_: ; @_ZN7rocprim17ROCPRIM_400000_NS6detail17trampoline_kernelINS0_13select_configILj256ELj13ELNS0_17block_load_methodE3ELS4_3ELS4_3ELNS0_20block_scan_algorithmE0ELj4294967295EEENS1_25partition_config_selectorILNS1_17partition_subalgoE4EjNS0_10empty_typeEbEEZZNS1_14partition_implILS8_4ELb0ES6_15HIP_vector_typeIjLj2EENS0_17counting_iteratorIjlEEPS9_SG_NS0_5tupleIJPjSI_NS0_16reverse_iteratorISI_EEEEENSH_IJSG_SG_SG_EEES9_SI_JZNS1_25segmented_radix_sort_implINS0_14default_configELb1EPKhPhPKlPlN2at6native12_GLOBAL__N_18offset_tEEE10hipError_tPvRmT1_PNSt15iterator_traitsIS12_E10value_typeET2_T3_PNS13_IS18_E10value_typeET4_jRbjT5_S1E_jjP12ihipStream_tbEUljE_ZNSN_ISO_Lb1ESQ_SR_ST_SU_SY_EESZ_S10_S11_S12_S16_S17_S18_S1B_S1C_jS1D_jS1E_S1E_jjS1G_bEUljE0_EEESZ_S10_S11_S18_S1C_S1E_T6_T7_T9_mT8_S1G_bDpT10_ENKUlT_T0_E_clISt17integral_constantIbLb0EES1T_IbLb1EEEEDaS1P_S1Q_EUlS1P_E_NS1_11comp_targetILNS1_3genE3ELNS1_11target_archE908ELNS1_3gpuE7ELNS1_3repE0EEENS1_30default_config_static_selectorELNS0_4arch9wavefront6targetE0EEEvS12_
; %bb.0:
	.section	.rodata,"a",@progbits
	.p2align	6, 0x0
	.amdhsa_kernel _ZN7rocprim17ROCPRIM_400000_NS6detail17trampoline_kernelINS0_13select_configILj256ELj13ELNS0_17block_load_methodE3ELS4_3ELS4_3ELNS0_20block_scan_algorithmE0ELj4294967295EEENS1_25partition_config_selectorILNS1_17partition_subalgoE4EjNS0_10empty_typeEbEEZZNS1_14partition_implILS8_4ELb0ES6_15HIP_vector_typeIjLj2EENS0_17counting_iteratorIjlEEPS9_SG_NS0_5tupleIJPjSI_NS0_16reverse_iteratorISI_EEEEENSH_IJSG_SG_SG_EEES9_SI_JZNS1_25segmented_radix_sort_implINS0_14default_configELb1EPKhPhPKlPlN2at6native12_GLOBAL__N_18offset_tEEE10hipError_tPvRmT1_PNSt15iterator_traitsIS12_E10value_typeET2_T3_PNS13_IS18_E10value_typeET4_jRbjT5_S1E_jjP12ihipStream_tbEUljE_ZNSN_ISO_Lb1ESQ_SR_ST_SU_SY_EESZ_S10_S11_S12_S16_S17_S18_S1B_S1C_jS1D_jS1E_S1E_jjS1G_bEUljE0_EEESZ_S10_S11_S18_S1C_S1E_T6_T7_T9_mT8_S1G_bDpT10_ENKUlT_T0_E_clISt17integral_constantIbLb0EES1T_IbLb1EEEEDaS1P_S1Q_EUlS1P_E_NS1_11comp_targetILNS1_3genE3ELNS1_11target_archE908ELNS1_3gpuE7ELNS1_3repE0EEENS1_30default_config_static_selectorELNS0_4arch9wavefront6targetE0EEEvS12_
		.amdhsa_group_segment_fixed_size 0
		.amdhsa_private_segment_fixed_size 0
		.amdhsa_kernarg_size 184
		.amdhsa_user_sgpr_count 15
		.amdhsa_user_sgpr_dispatch_ptr 0
		.amdhsa_user_sgpr_queue_ptr 0
		.amdhsa_user_sgpr_kernarg_segment_ptr 1
		.amdhsa_user_sgpr_dispatch_id 0
		.amdhsa_user_sgpr_private_segment_size 0
		.amdhsa_wavefront_size32 1
		.amdhsa_uses_dynamic_stack 0
		.amdhsa_enable_private_segment 0
		.amdhsa_system_sgpr_workgroup_id_x 1
		.amdhsa_system_sgpr_workgroup_id_y 0
		.amdhsa_system_sgpr_workgroup_id_z 0
		.amdhsa_system_sgpr_workgroup_info 0
		.amdhsa_system_vgpr_workitem_id 0
		.amdhsa_next_free_vgpr 1
		.amdhsa_next_free_sgpr 1
		.amdhsa_reserve_vcc 0
		.amdhsa_float_round_mode_32 0
		.amdhsa_float_round_mode_16_64 0
		.amdhsa_float_denorm_mode_32 3
		.amdhsa_float_denorm_mode_16_64 3
		.amdhsa_dx10_clamp 1
		.amdhsa_ieee_mode 1
		.amdhsa_fp16_overflow 0
		.amdhsa_workgroup_processor_mode 1
		.amdhsa_memory_ordered 1
		.amdhsa_forward_progress 0
		.amdhsa_shared_vgpr_count 0
		.amdhsa_exception_fp_ieee_invalid_op 0
		.amdhsa_exception_fp_denorm_src 0
		.amdhsa_exception_fp_ieee_div_zero 0
		.amdhsa_exception_fp_ieee_overflow 0
		.amdhsa_exception_fp_ieee_underflow 0
		.amdhsa_exception_fp_ieee_inexact 0
		.amdhsa_exception_int_div_zero 0
	.end_amdhsa_kernel
	.section	.text._ZN7rocprim17ROCPRIM_400000_NS6detail17trampoline_kernelINS0_13select_configILj256ELj13ELNS0_17block_load_methodE3ELS4_3ELS4_3ELNS0_20block_scan_algorithmE0ELj4294967295EEENS1_25partition_config_selectorILNS1_17partition_subalgoE4EjNS0_10empty_typeEbEEZZNS1_14partition_implILS8_4ELb0ES6_15HIP_vector_typeIjLj2EENS0_17counting_iteratorIjlEEPS9_SG_NS0_5tupleIJPjSI_NS0_16reverse_iteratorISI_EEEEENSH_IJSG_SG_SG_EEES9_SI_JZNS1_25segmented_radix_sort_implINS0_14default_configELb1EPKhPhPKlPlN2at6native12_GLOBAL__N_18offset_tEEE10hipError_tPvRmT1_PNSt15iterator_traitsIS12_E10value_typeET2_T3_PNS13_IS18_E10value_typeET4_jRbjT5_S1E_jjP12ihipStream_tbEUljE_ZNSN_ISO_Lb1ESQ_SR_ST_SU_SY_EESZ_S10_S11_S12_S16_S17_S18_S1B_S1C_jS1D_jS1E_S1E_jjS1G_bEUljE0_EEESZ_S10_S11_S18_S1C_S1E_T6_T7_T9_mT8_S1G_bDpT10_ENKUlT_T0_E_clISt17integral_constantIbLb0EES1T_IbLb1EEEEDaS1P_S1Q_EUlS1P_E_NS1_11comp_targetILNS1_3genE3ELNS1_11target_archE908ELNS1_3gpuE7ELNS1_3repE0EEENS1_30default_config_static_selectorELNS0_4arch9wavefront6targetE0EEEvS12_,"axG",@progbits,_ZN7rocprim17ROCPRIM_400000_NS6detail17trampoline_kernelINS0_13select_configILj256ELj13ELNS0_17block_load_methodE3ELS4_3ELS4_3ELNS0_20block_scan_algorithmE0ELj4294967295EEENS1_25partition_config_selectorILNS1_17partition_subalgoE4EjNS0_10empty_typeEbEEZZNS1_14partition_implILS8_4ELb0ES6_15HIP_vector_typeIjLj2EENS0_17counting_iteratorIjlEEPS9_SG_NS0_5tupleIJPjSI_NS0_16reverse_iteratorISI_EEEEENSH_IJSG_SG_SG_EEES9_SI_JZNS1_25segmented_radix_sort_implINS0_14default_configELb1EPKhPhPKlPlN2at6native12_GLOBAL__N_18offset_tEEE10hipError_tPvRmT1_PNSt15iterator_traitsIS12_E10value_typeET2_T3_PNS13_IS18_E10value_typeET4_jRbjT5_S1E_jjP12ihipStream_tbEUljE_ZNSN_ISO_Lb1ESQ_SR_ST_SU_SY_EESZ_S10_S11_S12_S16_S17_S18_S1B_S1C_jS1D_jS1E_S1E_jjS1G_bEUljE0_EEESZ_S10_S11_S18_S1C_S1E_T6_T7_T9_mT8_S1G_bDpT10_ENKUlT_T0_E_clISt17integral_constantIbLb0EES1T_IbLb1EEEEDaS1P_S1Q_EUlS1P_E_NS1_11comp_targetILNS1_3genE3ELNS1_11target_archE908ELNS1_3gpuE7ELNS1_3repE0EEENS1_30default_config_static_selectorELNS0_4arch9wavefront6targetE0EEEvS12_,comdat
.Lfunc_end42:
	.size	_ZN7rocprim17ROCPRIM_400000_NS6detail17trampoline_kernelINS0_13select_configILj256ELj13ELNS0_17block_load_methodE3ELS4_3ELS4_3ELNS0_20block_scan_algorithmE0ELj4294967295EEENS1_25partition_config_selectorILNS1_17partition_subalgoE4EjNS0_10empty_typeEbEEZZNS1_14partition_implILS8_4ELb0ES6_15HIP_vector_typeIjLj2EENS0_17counting_iteratorIjlEEPS9_SG_NS0_5tupleIJPjSI_NS0_16reverse_iteratorISI_EEEEENSH_IJSG_SG_SG_EEES9_SI_JZNS1_25segmented_radix_sort_implINS0_14default_configELb1EPKhPhPKlPlN2at6native12_GLOBAL__N_18offset_tEEE10hipError_tPvRmT1_PNSt15iterator_traitsIS12_E10value_typeET2_T3_PNS13_IS18_E10value_typeET4_jRbjT5_S1E_jjP12ihipStream_tbEUljE_ZNSN_ISO_Lb1ESQ_SR_ST_SU_SY_EESZ_S10_S11_S12_S16_S17_S18_S1B_S1C_jS1D_jS1E_S1E_jjS1G_bEUljE0_EEESZ_S10_S11_S18_S1C_S1E_T6_T7_T9_mT8_S1G_bDpT10_ENKUlT_T0_E_clISt17integral_constantIbLb0EES1T_IbLb1EEEEDaS1P_S1Q_EUlS1P_E_NS1_11comp_targetILNS1_3genE3ELNS1_11target_archE908ELNS1_3gpuE7ELNS1_3repE0EEENS1_30default_config_static_selectorELNS0_4arch9wavefront6targetE0EEEvS12_, .Lfunc_end42-_ZN7rocprim17ROCPRIM_400000_NS6detail17trampoline_kernelINS0_13select_configILj256ELj13ELNS0_17block_load_methodE3ELS4_3ELS4_3ELNS0_20block_scan_algorithmE0ELj4294967295EEENS1_25partition_config_selectorILNS1_17partition_subalgoE4EjNS0_10empty_typeEbEEZZNS1_14partition_implILS8_4ELb0ES6_15HIP_vector_typeIjLj2EENS0_17counting_iteratorIjlEEPS9_SG_NS0_5tupleIJPjSI_NS0_16reverse_iteratorISI_EEEEENSH_IJSG_SG_SG_EEES9_SI_JZNS1_25segmented_radix_sort_implINS0_14default_configELb1EPKhPhPKlPlN2at6native12_GLOBAL__N_18offset_tEEE10hipError_tPvRmT1_PNSt15iterator_traitsIS12_E10value_typeET2_T3_PNS13_IS18_E10value_typeET4_jRbjT5_S1E_jjP12ihipStream_tbEUljE_ZNSN_ISO_Lb1ESQ_SR_ST_SU_SY_EESZ_S10_S11_S12_S16_S17_S18_S1B_S1C_jS1D_jS1E_S1E_jjS1G_bEUljE0_EEESZ_S10_S11_S18_S1C_S1E_T6_T7_T9_mT8_S1G_bDpT10_ENKUlT_T0_E_clISt17integral_constantIbLb0EES1T_IbLb1EEEEDaS1P_S1Q_EUlS1P_E_NS1_11comp_targetILNS1_3genE3ELNS1_11target_archE908ELNS1_3gpuE7ELNS1_3repE0EEENS1_30default_config_static_selectorELNS0_4arch9wavefront6targetE0EEEvS12_
                                        ; -- End function
	.section	.AMDGPU.csdata,"",@progbits
; Kernel info:
; codeLenInByte = 0
; NumSgprs: 0
; NumVgprs: 0
; ScratchSize: 0
; MemoryBound: 0
; FloatMode: 240
; IeeeMode: 1
; LDSByteSize: 0 bytes/workgroup (compile time only)
; SGPRBlocks: 0
; VGPRBlocks: 0
; NumSGPRsForWavesPerEU: 1
; NumVGPRsForWavesPerEU: 1
; Occupancy: 16
; WaveLimiterHint : 0
; COMPUTE_PGM_RSRC2:SCRATCH_EN: 0
; COMPUTE_PGM_RSRC2:USER_SGPR: 15
; COMPUTE_PGM_RSRC2:TRAP_HANDLER: 0
; COMPUTE_PGM_RSRC2:TGID_X_EN: 1
; COMPUTE_PGM_RSRC2:TGID_Y_EN: 0
; COMPUTE_PGM_RSRC2:TGID_Z_EN: 0
; COMPUTE_PGM_RSRC2:TIDIG_COMP_CNT: 0
	.section	.text._ZN7rocprim17ROCPRIM_400000_NS6detail17trampoline_kernelINS0_13select_configILj256ELj13ELNS0_17block_load_methodE3ELS4_3ELS4_3ELNS0_20block_scan_algorithmE0ELj4294967295EEENS1_25partition_config_selectorILNS1_17partition_subalgoE4EjNS0_10empty_typeEbEEZZNS1_14partition_implILS8_4ELb0ES6_15HIP_vector_typeIjLj2EENS0_17counting_iteratorIjlEEPS9_SG_NS0_5tupleIJPjSI_NS0_16reverse_iteratorISI_EEEEENSH_IJSG_SG_SG_EEES9_SI_JZNS1_25segmented_radix_sort_implINS0_14default_configELb1EPKhPhPKlPlN2at6native12_GLOBAL__N_18offset_tEEE10hipError_tPvRmT1_PNSt15iterator_traitsIS12_E10value_typeET2_T3_PNS13_IS18_E10value_typeET4_jRbjT5_S1E_jjP12ihipStream_tbEUljE_ZNSN_ISO_Lb1ESQ_SR_ST_SU_SY_EESZ_S10_S11_S12_S16_S17_S18_S1B_S1C_jS1D_jS1E_S1E_jjS1G_bEUljE0_EEESZ_S10_S11_S18_S1C_S1E_T6_T7_T9_mT8_S1G_bDpT10_ENKUlT_T0_E_clISt17integral_constantIbLb0EES1T_IbLb1EEEEDaS1P_S1Q_EUlS1P_E_NS1_11comp_targetILNS1_3genE2ELNS1_11target_archE906ELNS1_3gpuE6ELNS1_3repE0EEENS1_30default_config_static_selectorELNS0_4arch9wavefront6targetE0EEEvS12_,"axG",@progbits,_ZN7rocprim17ROCPRIM_400000_NS6detail17trampoline_kernelINS0_13select_configILj256ELj13ELNS0_17block_load_methodE3ELS4_3ELS4_3ELNS0_20block_scan_algorithmE0ELj4294967295EEENS1_25partition_config_selectorILNS1_17partition_subalgoE4EjNS0_10empty_typeEbEEZZNS1_14partition_implILS8_4ELb0ES6_15HIP_vector_typeIjLj2EENS0_17counting_iteratorIjlEEPS9_SG_NS0_5tupleIJPjSI_NS0_16reverse_iteratorISI_EEEEENSH_IJSG_SG_SG_EEES9_SI_JZNS1_25segmented_radix_sort_implINS0_14default_configELb1EPKhPhPKlPlN2at6native12_GLOBAL__N_18offset_tEEE10hipError_tPvRmT1_PNSt15iterator_traitsIS12_E10value_typeET2_T3_PNS13_IS18_E10value_typeET4_jRbjT5_S1E_jjP12ihipStream_tbEUljE_ZNSN_ISO_Lb1ESQ_SR_ST_SU_SY_EESZ_S10_S11_S12_S16_S17_S18_S1B_S1C_jS1D_jS1E_S1E_jjS1G_bEUljE0_EEESZ_S10_S11_S18_S1C_S1E_T6_T7_T9_mT8_S1G_bDpT10_ENKUlT_T0_E_clISt17integral_constantIbLb0EES1T_IbLb1EEEEDaS1P_S1Q_EUlS1P_E_NS1_11comp_targetILNS1_3genE2ELNS1_11target_archE906ELNS1_3gpuE6ELNS1_3repE0EEENS1_30default_config_static_selectorELNS0_4arch9wavefront6targetE0EEEvS12_,comdat
	.globl	_ZN7rocprim17ROCPRIM_400000_NS6detail17trampoline_kernelINS0_13select_configILj256ELj13ELNS0_17block_load_methodE3ELS4_3ELS4_3ELNS0_20block_scan_algorithmE0ELj4294967295EEENS1_25partition_config_selectorILNS1_17partition_subalgoE4EjNS0_10empty_typeEbEEZZNS1_14partition_implILS8_4ELb0ES6_15HIP_vector_typeIjLj2EENS0_17counting_iteratorIjlEEPS9_SG_NS0_5tupleIJPjSI_NS0_16reverse_iteratorISI_EEEEENSH_IJSG_SG_SG_EEES9_SI_JZNS1_25segmented_radix_sort_implINS0_14default_configELb1EPKhPhPKlPlN2at6native12_GLOBAL__N_18offset_tEEE10hipError_tPvRmT1_PNSt15iterator_traitsIS12_E10value_typeET2_T3_PNS13_IS18_E10value_typeET4_jRbjT5_S1E_jjP12ihipStream_tbEUljE_ZNSN_ISO_Lb1ESQ_SR_ST_SU_SY_EESZ_S10_S11_S12_S16_S17_S18_S1B_S1C_jS1D_jS1E_S1E_jjS1G_bEUljE0_EEESZ_S10_S11_S18_S1C_S1E_T6_T7_T9_mT8_S1G_bDpT10_ENKUlT_T0_E_clISt17integral_constantIbLb0EES1T_IbLb1EEEEDaS1P_S1Q_EUlS1P_E_NS1_11comp_targetILNS1_3genE2ELNS1_11target_archE906ELNS1_3gpuE6ELNS1_3repE0EEENS1_30default_config_static_selectorELNS0_4arch9wavefront6targetE0EEEvS12_ ; -- Begin function _ZN7rocprim17ROCPRIM_400000_NS6detail17trampoline_kernelINS0_13select_configILj256ELj13ELNS0_17block_load_methodE3ELS4_3ELS4_3ELNS0_20block_scan_algorithmE0ELj4294967295EEENS1_25partition_config_selectorILNS1_17partition_subalgoE4EjNS0_10empty_typeEbEEZZNS1_14partition_implILS8_4ELb0ES6_15HIP_vector_typeIjLj2EENS0_17counting_iteratorIjlEEPS9_SG_NS0_5tupleIJPjSI_NS0_16reverse_iteratorISI_EEEEENSH_IJSG_SG_SG_EEES9_SI_JZNS1_25segmented_radix_sort_implINS0_14default_configELb1EPKhPhPKlPlN2at6native12_GLOBAL__N_18offset_tEEE10hipError_tPvRmT1_PNSt15iterator_traitsIS12_E10value_typeET2_T3_PNS13_IS18_E10value_typeET4_jRbjT5_S1E_jjP12ihipStream_tbEUljE_ZNSN_ISO_Lb1ESQ_SR_ST_SU_SY_EESZ_S10_S11_S12_S16_S17_S18_S1B_S1C_jS1D_jS1E_S1E_jjS1G_bEUljE0_EEESZ_S10_S11_S18_S1C_S1E_T6_T7_T9_mT8_S1G_bDpT10_ENKUlT_T0_E_clISt17integral_constantIbLb0EES1T_IbLb1EEEEDaS1P_S1Q_EUlS1P_E_NS1_11comp_targetILNS1_3genE2ELNS1_11target_archE906ELNS1_3gpuE6ELNS1_3repE0EEENS1_30default_config_static_selectorELNS0_4arch9wavefront6targetE0EEEvS12_
	.p2align	8
	.type	_ZN7rocprim17ROCPRIM_400000_NS6detail17trampoline_kernelINS0_13select_configILj256ELj13ELNS0_17block_load_methodE3ELS4_3ELS4_3ELNS0_20block_scan_algorithmE0ELj4294967295EEENS1_25partition_config_selectorILNS1_17partition_subalgoE4EjNS0_10empty_typeEbEEZZNS1_14partition_implILS8_4ELb0ES6_15HIP_vector_typeIjLj2EENS0_17counting_iteratorIjlEEPS9_SG_NS0_5tupleIJPjSI_NS0_16reverse_iteratorISI_EEEEENSH_IJSG_SG_SG_EEES9_SI_JZNS1_25segmented_radix_sort_implINS0_14default_configELb1EPKhPhPKlPlN2at6native12_GLOBAL__N_18offset_tEEE10hipError_tPvRmT1_PNSt15iterator_traitsIS12_E10value_typeET2_T3_PNS13_IS18_E10value_typeET4_jRbjT5_S1E_jjP12ihipStream_tbEUljE_ZNSN_ISO_Lb1ESQ_SR_ST_SU_SY_EESZ_S10_S11_S12_S16_S17_S18_S1B_S1C_jS1D_jS1E_S1E_jjS1G_bEUljE0_EEESZ_S10_S11_S18_S1C_S1E_T6_T7_T9_mT8_S1G_bDpT10_ENKUlT_T0_E_clISt17integral_constantIbLb0EES1T_IbLb1EEEEDaS1P_S1Q_EUlS1P_E_NS1_11comp_targetILNS1_3genE2ELNS1_11target_archE906ELNS1_3gpuE6ELNS1_3repE0EEENS1_30default_config_static_selectorELNS0_4arch9wavefront6targetE0EEEvS12_,@function
_ZN7rocprim17ROCPRIM_400000_NS6detail17trampoline_kernelINS0_13select_configILj256ELj13ELNS0_17block_load_methodE3ELS4_3ELS4_3ELNS0_20block_scan_algorithmE0ELj4294967295EEENS1_25partition_config_selectorILNS1_17partition_subalgoE4EjNS0_10empty_typeEbEEZZNS1_14partition_implILS8_4ELb0ES6_15HIP_vector_typeIjLj2EENS0_17counting_iteratorIjlEEPS9_SG_NS0_5tupleIJPjSI_NS0_16reverse_iteratorISI_EEEEENSH_IJSG_SG_SG_EEES9_SI_JZNS1_25segmented_radix_sort_implINS0_14default_configELb1EPKhPhPKlPlN2at6native12_GLOBAL__N_18offset_tEEE10hipError_tPvRmT1_PNSt15iterator_traitsIS12_E10value_typeET2_T3_PNS13_IS18_E10value_typeET4_jRbjT5_S1E_jjP12ihipStream_tbEUljE_ZNSN_ISO_Lb1ESQ_SR_ST_SU_SY_EESZ_S10_S11_S12_S16_S17_S18_S1B_S1C_jS1D_jS1E_S1E_jjS1G_bEUljE0_EEESZ_S10_S11_S18_S1C_S1E_T6_T7_T9_mT8_S1G_bDpT10_ENKUlT_T0_E_clISt17integral_constantIbLb0EES1T_IbLb1EEEEDaS1P_S1Q_EUlS1P_E_NS1_11comp_targetILNS1_3genE2ELNS1_11target_archE906ELNS1_3gpuE6ELNS1_3repE0EEENS1_30default_config_static_selectorELNS0_4arch9wavefront6targetE0EEEvS12_: ; @_ZN7rocprim17ROCPRIM_400000_NS6detail17trampoline_kernelINS0_13select_configILj256ELj13ELNS0_17block_load_methodE3ELS4_3ELS4_3ELNS0_20block_scan_algorithmE0ELj4294967295EEENS1_25partition_config_selectorILNS1_17partition_subalgoE4EjNS0_10empty_typeEbEEZZNS1_14partition_implILS8_4ELb0ES6_15HIP_vector_typeIjLj2EENS0_17counting_iteratorIjlEEPS9_SG_NS0_5tupleIJPjSI_NS0_16reverse_iteratorISI_EEEEENSH_IJSG_SG_SG_EEES9_SI_JZNS1_25segmented_radix_sort_implINS0_14default_configELb1EPKhPhPKlPlN2at6native12_GLOBAL__N_18offset_tEEE10hipError_tPvRmT1_PNSt15iterator_traitsIS12_E10value_typeET2_T3_PNS13_IS18_E10value_typeET4_jRbjT5_S1E_jjP12ihipStream_tbEUljE_ZNSN_ISO_Lb1ESQ_SR_ST_SU_SY_EESZ_S10_S11_S12_S16_S17_S18_S1B_S1C_jS1D_jS1E_S1E_jjS1G_bEUljE0_EEESZ_S10_S11_S18_S1C_S1E_T6_T7_T9_mT8_S1G_bDpT10_ENKUlT_T0_E_clISt17integral_constantIbLb0EES1T_IbLb1EEEEDaS1P_S1Q_EUlS1P_E_NS1_11comp_targetILNS1_3genE2ELNS1_11target_archE906ELNS1_3gpuE6ELNS1_3repE0EEENS1_30default_config_static_selectorELNS0_4arch9wavefront6targetE0EEEvS12_
; %bb.0:
	.section	.rodata,"a",@progbits
	.p2align	6, 0x0
	.amdhsa_kernel _ZN7rocprim17ROCPRIM_400000_NS6detail17trampoline_kernelINS0_13select_configILj256ELj13ELNS0_17block_load_methodE3ELS4_3ELS4_3ELNS0_20block_scan_algorithmE0ELj4294967295EEENS1_25partition_config_selectorILNS1_17partition_subalgoE4EjNS0_10empty_typeEbEEZZNS1_14partition_implILS8_4ELb0ES6_15HIP_vector_typeIjLj2EENS0_17counting_iteratorIjlEEPS9_SG_NS0_5tupleIJPjSI_NS0_16reverse_iteratorISI_EEEEENSH_IJSG_SG_SG_EEES9_SI_JZNS1_25segmented_radix_sort_implINS0_14default_configELb1EPKhPhPKlPlN2at6native12_GLOBAL__N_18offset_tEEE10hipError_tPvRmT1_PNSt15iterator_traitsIS12_E10value_typeET2_T3_PNS13_IS18_E10value_typeET4_jRbjT5_S1E_jjP12ihipStream_tbEUljE_ZNSN_ISO_Lb1ESQ_SR_ST_SU_SY_EESZ_S10_S11_S12_S16_S17_S18_S1B_S1C_jS1D_jS1E_S1E_jjS1G_bEUljE0_EEESZ_S10_S11_S18_S1C_S1E_T6_T7_T9_mT8_S1G_bDpT10_ENKUlT_T0_E_clISt17integral_constantIbLb0EES1T_IbLb1EEEEDaS1P_S1Q_EUlS1P_E_NS1_11comp_targetILNS1_3genE2ELNS1_11target_archE906ELNS1_3gpuE6ELNS1_3repE0EEENS1_30default_config_static_selectorELNS0_4arch9wavefront6targetE0EEEvS12_
		.amdhsa_group_segment_fixed_size 0
		.amdhsa_private_segment_fixed_size 0
		.amdhsa_kernarg_size 184
		.amdhsa_user_sgpr_count 15
		.amdhsa_user_sgpr_dispatch_ptr 0
		.amdhsa_user_sgpr_queue_ptr 0
		.amdhsa_user_sgpr_kernarg_segment_ptr 1
		.amdhsa_user_sgpr_dispatch_id 0
		.amdhsa_user_sgpr_private_segment_size 0
		.amdhsa_wavefront_size32 1
		.amdhsa_uses_dynamic_stack 0
		.amdhsa_enable_private_segment 0
		.amdhsa_system_sgpr_workgroup_id_x 1
		.amdhsa_system_sgpr_workgroup_id_y 0
		.amdhsa_system_sgpr_workgroup_id_z 0
		.amdhsa_system_sgpr_workgroup_info 0
		.amdhsa_system_vgpr_workitem_id 0
		.amdhsa_next_free_vgpr 1
		.amdhsa_next_free_sgpr 1
		.amdhsa_reserve_vcc 0
		.amdhsa_float_round_mode_32 0
		.amdhsa_float_round_mode_16_64 0
		.amdhsa_float_denorm_mode_32 3
		.amdhsa_float_denorm_mode_16_64 3
		.amdhsa_dx10_clamp 1
		.amdhsa_ieee_mode 1
		.amdhsa_fp16_overflow 0
		.amdhsa_workgroup_processor_mode 1
		.amdhsa_memory_ordered 1
		.amdhsa_forward_progress 0
		.amdhsa_shared_vgpr_count 0
		.amdhsa_exception_fp_ieee_invalid_op 0
		.amdhsa_exception_fp_denorm_src 0
		.amdhsa_exception_fp_ieee_div_zero 0
		.amdhsa_exception_fp_ieee_overflow 0
		.amdhsa_exception_fp_ieee_underflow 0
		.amdhsa_exception_fp_ieee_inexact 0
		.amdhsa_exception_int_div_zero 0
	.end_amdhsa_kernel
	.section	.text._ZN7rocprim17ROCPRIM_400000_NS6detail17trampoline_kernelINS0_13select_configILj256ELj13ELNS0_17block_load_methodE3ELS4_3ELS4_3ELNS0_20block_scan_algorithmE0ELj4294967295EEENS1_25partition_config_selectorILNS1_17partition_subalgoE4EjNS0_10empty_typeEbEEZZNS1_14partition_implILS8_4ELb0ES6_15HIP_vector_typeIjLj2EENS0_17counting_iteratorIjlEEPS9_SG_NS0_5tupleIJPjSI_NS0_16reverse_iteratorISI_EEEEENSH_IJSG_SG_SG_EEES9_SI_JZNS1_25segmented_radix_sort_implINS0_14default_configELb1EPKhPhPKlPlN2at6native12_GLOBAL__N_18offset_tEEE10hipError_tPvRmT1_PNSt15iterator_traitsIS12_E10value_typeET2_T3_PNS13_IS18_E10value_typeET4_jRbjT5_S1E_jjP12ihipStream_tbEUljE_ZNSN_ISO_Lb1ESQ_SR_ST_SU_SY_EESZ_S10_S11_S12_S16_S17_S18_S1B_S1C_jS1D_jS1E_S1E_jjS1G_bEUljE0_EEESZ_S10_S11_S18_S1C_S1E_T6_T7_T9_mT8_S1G_bDpT10_ENKUlT_T0_E_clISt17integral_constantIbLb0EES1T_IbLb1EEEEDaS1P_S1Q_EUlS1P_E_NS1_11comp_targetILNS1_3genE2ELNS1_11target_archE906ELNS1_3gpuE6ELNS1_3repE0EEENS1_30default_config_static_selectorELNS0_4arch9wavefront6targetE0EEEvS12_,"axG",@progbits,_ZN7rocprim17ROCPRIM_400000_NS6detail17trampoline_kernelINS0_13select_configILj256ELj13ELNS0_17block_load_methodE3ELS4_3ELS4_3ELNS0_20block_scan_algorithmE0ELj4294967295EEENS1_25partition_config_selectorILNS1_17partition_subalgoE4EjNS0_10empty_typeEbEEZZNS1_14partition_implILS8_4ELb0ES6_15HIP_vector_typeIjLj2EENS0_17counting_iteratorIjlEEPS9_SG_NS0_5tupleIJPjSI_NS0_16reverse_iteratorISI_EEEEENSH_IJSG_SG_SG_EEES9_SI_JZNS1_25segmented_radix_sort_implINS0_14default_configELb1EPKhPhPKlPlN2at6native12_GLOBAL__N_18offset_tEEE10hipError_tPvRmT1_PNSt15iterator_traitsIS12_E10value_typeET2_T3_PNS13_IS18_E10value_typeET4_jRbjT5_S1E_jjP12ihipStream_tbEUljE_ZNSN_ISO_Lb1ESQ_SR_ST_SU_SY_EESZ_S10_S11_S12_S16_S17_S18_S1B_S1C_jS1D_jS1E_S1E_jjS1G_bEUljE0_EEESZ_S10_S11_S18_S1C_S1E_T6_T7_T9_mT8_S1G_bDpT10_ENKUlT_T0_E_clISt17integral_constantIbLb0EES1T_IbLb1EEEEDaS1P_S1Q_EUlS1P_E_NS1_11comp_targetILNS1_3genE2ELNS1_11target_archE906ELNS1_3gpuE6ELNS1_3repE0EEENS1_30default_config_static_selectorELNS0_4arch9wavefront6targetE0EEEvS12_,comdat
.Lfunc_end43:
	.size	_ZN7rocprim17ROCPRIM_400000_NS6detail17trampoline_kernelINS0_13select_configILj256ELj13ELNS0_17block_load_methodE3ELS4_3ELS4_3ELNS0_20block_scan_algorithmE0ELj4294967295EEENS1_25partition_config_selectorILNS1_17partition_subalgoE4EjNS0_10empty_typeEbEEZZNS1_14partition_implILS8_4ELb0ES6_15HIP_vector_typeIjLj2EENS0_17counting_iteratorIjlEEPS9_SG_NS0_5tupleIJPjSI_NS0_16reverse_iteratorISI_EEEEENSH_IJSG_SG_SG_EEES9_SI_JZNS1_25segmented_radix_sort_implINS0_14default_configELb1EPKhPhPKlPlN2at6native12_GLOBAL__N_18offset_tEEE10hipError_tPvRmT1_PNSt15iterator_traitsIS12_E10value_typeET2_T3_PNS13_IS18_E10value_typeET4_jRbjT5_S1E_jjP12ihipStream_tbEUljE_ZNSN_ISO_Lb1ESQ_SR_ST_SU_SY_EESZ_S10_S11_S12_S16_S17_S18_S1B_S1C_jS1D_jS1E_S1E_jjS1G_bEUljE0_EEESZ_S10_S11_S18_S1C_S1E_T6_T7_T9_mT8_S1G_bDpT10_ENKUlT_T0_E_clISt17integral_constantIbLb0EES1T_IbLb1EEEEDaS1P_S1Q_EUlS1P_E_NS1_11comp_targetILNS1_3genE2ELNS1_11target_archE906ELNS1_3gpuE6ELNS1_3repE0EEENS1_30default_config_static_selectorELNS0_4arch9wavefront6targetE0EEEvS12_, .Lfunc_end43-_ZN7rocprim17ROCPRIM_400000_NS6detail17trampoline_kernelINS0_13select_configILj256ELj13ELNS0_17block_load_methodE3ELS4_3ELS4_3ELNS0_20block_scan_algorithmE0ELj4294967295EEENS1_25partition_config_selectorILNS1_17partition_subalgoE4EjNS0_10empty_typeEbEEZZNS1_14partition_implILS8_4ELb0ES6_15HIP_vector_typeIjLj2EENS0_17counting_iteratorIjlEEPS9_SG_NS0_5tupleIJPjSI_NS0_16reverse_iteratorISI_EEEEENSH_IJSG_SG_SG_EEES9_SI_JZNS1_25segmented_radix_sort_implINS0_14default_configELb1EPKhPhPKlPlN2at6native12_GLOBAL__N_18offset_tEEE10hipError_tPvRmT1_PNSt15iterator_traitsIS12_E10value_typeET2_T3_PNS13_IS18_E10value_typeET4_jRbjT5_S1E_jjP12ihipStream_tbEUljE_ZNSN_ISO_Lb1ESQ_SR_ST_SU_SY_EESZ_S10_S11_S12_S16_S17_S18_S1B_S1C_jS1D_jS1E_S1E_jjS1G_bEUljE0_EEESZ_S10_S11_S18_S1C_S1E_T6_T7_T9_mT8_S1G_bDpT10_ENKUlT_T0_E_clISt17integral_constantIbLb0EES1T_IbLb1EEEEDaS1P_S1Q_EUlS1P_E_NS1_11comp_targetILNS1_3genE2ELNS1_11target_archE906ELNS1_3gpuE6ELNS1_3repE0EEENS1_30default_config_static_selectorELNS0_4arch9wavefront6targetE0EEEvS12_
                                        ; -- End function
	.section	.AMDGPU.csdata,"",@progbits
; Kernel info:
; codeLenInByte = 0
; NumSgprs: 0
; NumVgprs: 0
; ScratchSize: 0
; MemoryBound: 0
; FloatMode: 240
; IeeeMode: 1
; LDSByteSize: 0 bytes/workgroup (compile time only)
; SGPRBlocks: 0
; VGPRBlocks: 0
; NumSGPRsForWavesPerEU: 1
; NumVGPRsForWavesPerEU: 1
; Occupancy: 16
; WaveLimiterHint : 0
; COMPUTE_PGM_RSRC2:SCRATCH_EN: 0
; COMPUTE_PGM_RSRC2:USER_SGPR: 15
; COMPUTE_PGM_RSRC2:TRAP_HANDLER: 0
; COMPUTE_PGM_RSRC2:TGID_X_EN: 1
; COMPUTE_PGM_RSRC2:TGID_Y_EN: 0
; COMPUTE_PGM_RSRC2:TGID_Z_EN: 0
; COMPUTE_PGM_RSRC2:TIDIG_COMP_CNT: 0
	.section	.text._ZN7rocprim17ROCPRIM_400000_NS6detail17trampoline_kernelINS0_13select_configILj256ELj13ELNS0_17block_load_methodE3ELS4_3ELS4_3ELNS0_20block_scan_algorithmE0ELj4294967295EEENS1_25partition_config_selectorILNS1_17partition_subalgoE4EjNS0_10empty_typeEbEEZZNS1_14partition_implILS8_4ELb0ES6_15HIP_vector_typeIjLj2EENS0_17counting_iteratorIjlEEPS9_SG_NS0_5tupleIJPjSI_NS0_16reverse_iteratorISI_EEEEENSH_IJSG_SG_SG_EEES9_SI_JZNS1_25segmented_radix_sort_implINS0_14default_configELb1EPKhPhPKlPlN2at6native12_GLOBAL__N_18offset_tEEE10hipError_tPvRmT1_PNSt15iterator_traitsIS12_E10value_typeET2_T3_PNS13_IS18_E10value_typeET4_jRbjT5_S1E_jjP12ihipStream_tbEUljE_ZNSN_ISO_Lb1ESQ_SR_ST_SU_SY_EESZ_S10_S11_S12_S16_S17_S18_S1B_S1C_jS1D_jS1E_S1E_jjS1G_bEUljE0_EEESZ_S10_S11_S18_S1C_S1E_T6_T7_T9_mT8_S1G_bDpT10_ENKUlT_T0_E_clISt17integral_constantIbLb0EES1T_IbLb1EEEEDaS1P_S1Q_EUlS1P_E_NS1_11comp_targetILNS1_3genE10ELNS1_11target_archE1200ELNS1_3gpuE4ELNS1_3repE0EEENS1_30default_config_static_selectorELNS0_4arch9wavefront6targetE0EEEvS12_,"axG",@progbits,_ZN7rocprim17ROCPRIM_400000_NS6detail17trampoline_kernelINS0_13select_configILj256ELj13ELNS0_17block_load_methodE3ELS4_3ELS4_3ELNS0_20block_scan_algorithmE0ELj4294967295EEENS1_25partition_config_selectorILNS1_17partition_subalgoE4EjNS0_10empty_typeEbEEZZNS1_14partition_implILS8_4ELb0ES6_15HIP_vector_typeIjLj2EENS0_17counting_iteratorIjlEEPS9_SG_NS0_5tupleIJPjSI_NS0_16reverse_iteratorISI_EEEEENSH_IJSG_SG_SG_EEES9_SI_JZNS1_25segmented_radix_sort_implINS0_14default_configELb1EPKhPhPKlPlN2at6native12_GLOBAL__N_18offset_tEEE10hipError_tPvRmT1_PNSt15iterator_traitsIS12_E10value_typeET2_T3_PNS13_IS18_E10value_typeET4_jRbjT5_S1E_jjP12ihipStream_tbEUljE_ZNSN_ISO_Lb1ESQ_SR_ST_SU_SY_EESZ_S10_S11_S12_S16_S17_S18_S1B_S1C_jS1D_jS1E_S1E_jjS1G_bEUljE0_EEESZ_S10_S11_S18_S1C_S1E_T6_T7_T9_mT8_S1G_bDpT10_ENKUlT_T0_E_clISt17integral_constantIbLb0EES1T_IbLb1EEEEDaS1P_S1Q_EUlS1P_E_NS1_11comp_targetILNS1_3genE10ELNS1_11target_archE1200ELNS1_3gpuE4ELNS1_3repE0EEENS1_30default_config_static_selectorELNS0_4arch9wavefront6targetE0EEEvS12_,comdat
	.globl	_ZN7rocprim17ROCPRIM_400000_NS6detail17trampoline_kernelINS0_13select_configILj256ELj13ELNS0_17block_load_methodE3ELS4_3ELS4_3ELNS0_20block_scan_algorithmE0ELj4294967295EEENS1_25partition_config_selectorILNS1_17partition_subalgoE4EjNS0_10empty_typeEbEEZZNS1_14partition_implILS8_4ELb0ES6_15HIP_vector_typeIjLj2EENS0_17counting_iteratorIjlEEPS9_SG_NS0_5tupleIJPjSI_NS0_16reverse_iteratorISI_EEEEENSH_IJSG_SG_SG_EEES9_SI_JZNS1_25segmented_radix_sort_implINS0_14default_configELb1EPKhPhPKlPlN2at6native12_GLOBAL__N_18offset_tEEE10hipError_tPvRmT1_PNSt15iterator_traitsIS12_E10value_typeET2_T3_PNS13_IS18_E10value_typeET4_jRbjT5_S1E_jjP12ihipStream_tbEUljE_ZNSN_ISO_Lb1ESQ_SR_ST_SU_SY_EESZ_S10_S11_S12_S16_S17_S18_S1B_S1C_jS1D_jS1E_S1E_jjS1G_bEUljE0_EEESZ_S10_S11_S18_S1C_S1E_T6_T7_T9_mT8_S1G_bDpT10_ENKUlT_T0_E_clISt17integral_constantIbLb0EES1T_IbLb1EEEEDaS1P_S1Q_EUlS1P_E_NS1_11comp_targetILNS1_3genE10ELNS1_11target_archE1200ELNS1_3gpuE4ELNS1_3repE0EEENS1_30default_config_static_selectorELNS0_4arch9wavefront6targetE0EEEvS12_ ; -- Begin function _ZN7rocprim17ROCPRIM_400000_NS6detail17trampoline_kernelINS0_13select_configILj256ELj13ELNS0_17block_load_methodE3ELS4_3ELS4_3ELNS0_20block_scan_algorithmE0ELj4294967295EEENS1_25partition_config_selectorILNS1_17partition_subalgoE4EjNS0_10empty_typeEbEEZZNS1_14partition_implILS8_4ELb0ES6_15HIP_vector_typeIjLj2EENS0_17counting_iteratorIjlEEPS9_SG_NS0_5tupleIJPjSI_NS0_16reverse_iteratorISI_EEEEENSH_IJSG_SG_SG_EEES9_SI_JZNS1_25segmented_radix_sort_implINS0_14default_configELb1EPKhPhPKlPlN2at6native12_GLOBAL__N_18offset_tEEE10hipError_tPvRmT1_PNSt15iterator_traitsIS12_E10value_typeET2_T3_PNS13_IS18_E10value_typeET4_jRbjT5_S1E_jjP12ihipStream_tbEUljE_ZNSN_ISO_Lb1ESQ_SR_ST_SU_SY_EESZ_S10_S11_S12_S16_S17_S18_S1B_S1C_jS1D_jS1E_S1E_jjS1G_bEUljE0_EEESZ_S10_S11_S18_S1C_S1E_T6_T7_T9_mT8_S1G_bDpT10_ENKUlT_T0_E_clISt17integral_constantIbLb0EES1T_IbLb1EEEEDaS1P_S1Q_EUlS1P_E_NS1_11comp_targetILNS1_3genE10ELNS1_11target_archE1200ELNS1_3gpuE4ELNS1_3repE0EEENS1_30default_config_static_selectorELNS0_4arch9wavefront6targetE0EEEvS12_
	.p2align	8
	.type	_ZN7rocprim17ROCPRIM_400000_NS6detail17trampoline_kernelINS0_13select_configILj256ELj13ELNS0_17block_load_methodE3ELS4_3ELS4_3ELNS0_20block_scan_algorithmE0ELj4294967295EEENS1_25partition_config_selectorILNS1_17partition_subalgoE4EjNS0_10empty_typeEbEEZZNS1_14partition_implILS8_4ELb0ES6_15HIP_vector_typeIjLj2EENS0_17counting_iteratorIjlEEPS9_SG_NS0_5tupleIJPjSI_NS0_16reverse_iteratorISI_EEEEENSH_IJSG_SG_SG_EEES9_SI_JZNS1_25segmented_radix_sort_implINS0_14default_configELb1EPKhPhPKlPlN2at6native12_GLOBAL__N_18offset_tEEE10hipError_tPvRmT1_PNSt15iterator_traitsIS12_E10value_typeET2_T3_PNS13_IS18_E10value_typeET4_jRbjT5_S1E_jjP12ihipStream_tbEUljE_ZNSN_ISO_Lb1ESQ_SR_ST_SU_SY_EESZ_S10_S11_S12_S16_S17_S18_S1B_S1C_jS1D_jS1E_S1E_jjS1G_bEUljE0_EEESZ_S10_S11_S18_S1C_S1E_T6_T7_T9_mT8_S1G_bDpT10_ENKUlT_T0_E_clISt17integral_constantIbLb0EES1T_IbLb1EEEEDaS1P_S1Q_EUlS1P_E_NS1_11comp_targetILNS1_3genE10ELNS1_11target_archE1200ELNS1_3gpuE4ELNS1_3repE0EEENS1_30default_config_static_selectorELNS0_4arch9wavefront6targetE0EEEvS12_,@function
_ZN7rocprim17ROCPRIM_400000_NS6detail17trampoline_kernelINS0_13select_configILj256ELj13ELNS0_17block_load_methodE3ELS4_3ELS4_3ELNS0_20block_scan_algorithmE0ELj4294967295EEENS1_25partition_config_selectorILNS1_17partition_subalgoE4EjNS0_10empty_typeEbEEZZNS1_14partition_implILS8_4ELb0ES6_15HIP_vector_typeIjLj2EENS0_17counting_iteratorIjlEEPS9_SG_NS0_5tupleIJPjSI_NS0_16reverse_iteratorISI_EEEEENSH_IJSG_SG_SG_EEES9_SI_JZNS1_25segmented_radix_sort_implINS0_14default_configELb1EPKhPhPKlPlN2at6native12_GLOBAL__N_18offset_tEEE10hipError_tPvRmT1_PNSt15iterator_traitsIS12_E10value_typeET2_T3_PNS13_IS18_E10value_typeET4_jRbjT5_S1E_jjP12ihipStream_tbEUljE_ZNSN_ISO_Lb1ESQ_SR_ST_SU_SY_EESZ_S10_S11_S12_S16_S17_S18_S1B_S1C_jS1D_jS1E_S1E_jjS1G_bEUljE0_EEESZ_S10_S11_S18_S1C_S1E_T6_T7_T9_mT8_S1G_bDpT10_ENKUlT_T0_E_clISt17integral_constantIbLb0EES1T_IbLb1EEEEDaS1P_S1Q_EUlS1P_E_NS1_11comp_targetILNS1_3genE10ELNS1_11target_archE1200ELNS1_3gpuE4ELNS1_3repE0EEENS1_30default_config_static_selectorELNS0_4arch9wavefront6targetE0EEEvS12_: ; @_ZN7rocprim17ROCPRIM_400000_NS6detail17trampoline_kernelINS0_13select_configILj256ELj13ELNS0_17block_load_methodE3ELS4_3ELS4_3ELNS0_20block_scan_algorithmE0ELj4294967295EEENS1_25partition_config_selectorILNS1_17partition_subalgoE4EjNS0_10empty_typeEbEEZZNS1_14partition_implILS8_4ELb0ES6_15HIP_vector_typeIjLj2EENS0_17counting_iteratorIjlEEPS9_SG_NS0_5tupleIJPjSI_NS0_16reverse_iteratorISI_EEEEENSH_IJSG_SG_SG_EEES9_SI_JZNS1_25segmented_radix_sort_implINS0_14default_configELb1EPKhPhPKlPlN2at6native12_GLOBAL__N_18offset_tEEE10hipError_tPvRmT1_PNSt15iterator_traitsIS12_E10value_typeET2_T3_PNS13_IS18_E10value_typeET4_jRbjT5_S1E_jjP12ihipStream_tbEUljE_ZNSN_ISO_Lb1ESQ_SR_ST_SU_SY_EESZ_S10_S11_S12_S16_S17_S18_S1B_S1C_jS1D_jS1E_S1E_jjS1G_bEUljE0_EEESZ_S10_S11_S18_S1C_S1E_T6_T7_T9_mT8_S1G_bDpT10_ENKUlT_T0_E_clISt17integral_constantIbLb0EES1T_IbLb1EEEEDaS1P_S1Q_EUlS1P_E_NS1_11comp_targetILNS1_3genE10ELNS1_11target_archE1200ELNS1_3gpuE4ELNS1_3repE0EEENS1_30default_config_static_selectorELNS0_4arch9wavefront6targetE0EEEvS12_
; %bb.0:
	.section	.rodata,"a",@progbits
	.p2align	6, 0x0
	.amdhsa_kernel _ZN7rocprim17ROCPRIM_400000_NS6detail17trampoline_kernelINS0_13select_configILj256ELj13ELNS0_17block_load_methodE3ELS4_3ELS4_3ELNS0_20block_scan_algorithmE0ELj4294967295EEENS1_25partition_config_selectorILNS1_17partition_subalgoE4EjNS0_10empty_typeEbEEZZNS1_14partition_implILS8_4ELb0ES6_15HIP_vector_typeIjLj2EENS0_17counting_iteratorIjlEEPS9_SG_NS0_5tupleIJPjSI_NS0_16reverse_iteratorISI_EEEEENSH_IJSG_SG_SG_EEES9_SI_JZNS1_25segmented_radix_sort_implINS0_14default_configELb1EPKhPhPKlPlN2at6native12_GLOBAL__N_18offset_tEEE10hipError_tPvRmT1_PNSt15iterator_traitsIS12_E10value_typeET2_T3_PNS13_IS18_E10value_typeET4_jRbjT5_S1E_jjP12ihipStream_tbEUljE_ZNSN_ISO_Lb1ESQ_SR_ST_SU_SY_EESZ_S10_S11_S12_S16_S17_S18_S1B_S1C_jS1D_jS1E_S1E_jjS1G_bEUljE0_EEESZ_S10_S11_S18_S1C_S1E_T6_T7_T9_mT8_S1G_bDpT10_ENKUlT_T0_E_clISt17integral_constantIbLb0EES1T_IbLb1EEEEDaS1P_S1Q_EUlS1P_E_NS1_11comp_targetILNS1_3genE10ELNS1_11target_archE1200ELNS1_3gpuE4ELNS1_3repE0EEENS1_30default_config_static_selectorELNS0_4arch9wavefront6targetE0EEEvS12_
		.amdhsa_group_segment_fixed_size 0
		.amdhsa_private_segment_fixed_size 0
		.amdhsa_kernarg_size 184
		.amdhsa_user_sgpr_count 15
		.amdhsa_user_sgpr_dispatch_ptr 0
		.amdhsa_user_sgpr_queue_ptr 0
		.amdhsa_user_sgpr_kernarg_segment_ptr 1
		.amdhsa_user_sgpr_dispatch_id 0
		.amdhsa_user_sgpr_private_segment_size 0
		.amdhsa_wavefront_size32 1
		.amdhsa_uses_dynamic_stack 0
		.amdhsa_enable_private_segment 0
		.amdhsa_system_sgpr_workgroup_id_x 1
		.amdhsa_system_sgpr_workgroup_id_y 0
		.amdhsa_system_sgpr_workgroup_id_z 0
		.amdhsa_system_sgpr_workgroup_info 0
		.amdhsa_system_vgpr_workitem_id 0
		.amdhsa_next_free_vgpr 1
		.amdhsa_next_free_sgpr 1
		.amdhsa_reserve_vcc 0
		.amdhsa_float_round_mode_32 0
		.amdhsa_float_round_mode_16_64 0
		.amdhsa_float_denorm_mode_32 3
		.amdhsa_float_denorm_mode_16_64 3
		.amdhsa_dx10_clamp 1
		.amdhsa_ieee_mode 1
		.amdhsa_fp16_overflow 0
		.amdhsa_workgroup_processor_mode 1
		.amdhsa_memory_ordered 1
		.amdhsa_forward_progress 0
		.amdhsa_shared_vgpr_count 0
		.amdhsa_exception_fp_ieee_invalid_op 0
		.amdhsa_exception_fp_denorm_src 0
		.amdhsa_exception_fp_ieee_div_zero 0
		.amdhsa_exception_fp_ieee_overflow 0
		.amdhsa_exception_fp_ieee_underflow 0
		.amdhsa_exception_fp_ieee_inexact 0
		.amdhsa_exception_int_div_zero 0
	.end_amdhsa_kernel
	.section	.text._ZN7rocprim17ROCPRIM_400000_NS6detail17trampoline_kernelINS0_13select_configILj256ELj13ELNS0_17block_load_methodE3ELS4_3ELS4_3ELNS0_20block_scan_algorithmE0ELj4294967295EEENS1_25partition_config_selectorILNS1_17partition_subalgoE4EjNS0_10empty_typeEbEEZZNS1_14partition_implILS8_4ELb0ES6_15HIP_vector_typeIjLj2EENS0_17counting_iteratorIjlEEPS9_SG_NS0_5tupleIJPjSI_NS0_16reverse_iteratorISI_EEEEENSH_IJSG_SG_SG_EEES9_SI_JZNS1_25segmented_radix_sort_implINS0_14default_configELb1EPKhPhPKlPlN2at6native12_GLOBAL__N_18offset_tEEE10hipError_tPvRmT1_PNSt15iterator_traitsIS12_E10value_typeET2_T3_PNS13_IS18_E10value_typeET4_jRbjT5_S1E_jjP12ihipStream_tbEUljE_ZNSN_ISO_Lb1ESQ_SR_ST_SU_SY_EESZ_S10_S11_S12_S16_S17_S18_S1B_S1C_jS1D_jS1E_S1E_jjS1G_bEUljE0_EEESZ_S10_S11_S18_S1C_S1E_T6_T7_T9_mT8_S1G_bDpT10_ENKUlT_T0_E_clISt17integral_constantIbLb0EES1T_IbLb1EEEEDaS1P_S1Q_EUlS1P_E_NS1_11comp_targetILNS1_3genE10ELNS1_11target_archE1200ELNS1_3gpuE4ELNS1_3repE0EEENS1_30default_config_static_selectorELNS0_4arch9wavefront6targetE0EEEvS12_,"axG",@progbits,_ZN7rocprim17ROCPRIM_400000_NS6detail17trampoline_kernelINS0_13select_configILj256ELj13ELNS0_17block_load_methodE3ELS4_3ELS4_3ELNS0_20block_scan_algorithmE0ELj4294967295EEENS1_25partition_config_selectorILNS1_17partition_subalgoE4EjNS0_10empty_typeEbEEZZNS1_14partition_implILS8_4ELb0ES6_15HIP_vector_typeIjLj2EENS0_17counting_iteratorIjlEEPS9_SG_NS0_5tupleIJPjSI_NS0_16reverse_iteratorISI_EEEEENSH_IJSG_SG_SG_EEES9_SI_JZNS1_25segmented_radix_sort_implINS0_14default_configELb1EPKhPhPKlPlN2at6native12_GLOBAL__N_18offset_tEEE10hipError_tPvRmT1_PNSt15iterator_traitsIS12_E10value_typeET2_T3_PNS13_IS18_E10value_typeET4_jRbjT5_S1E_jjP12ihipStream_tbEUljE_ZNSN_ISO_Lb1ESQ_SR_ST_SU_SY_EESZ_S10_S11_S12_S16_S17_S18_S1B_S1C_jS1D_jS1E_S1E_jjS1G_bEUljE0_EEESZ_S10_S11_S18_S1C_S1E_T6_T7_T9_mT8_S1G_bDpT10_ENKUlT_T0_E_clISt17integral_constantIbLb0EES1T_IbLb1EEEEDaS1P_S1Q_EUlS1P_E_NS1_11comp_targetILNS1_3genE10ELNS1_11target_archE1200ELNS1_3gpuE4ELNS1_3repE0EEENS1_30default_config_static_selectorELNS0_4arch9wavefront6targetE0EEEvS12_,comdat
.Lfunc_end44:
	.size	_ZN7rocprim17ROCPRIM_400000_NS6detail17trampoline_kernelINS0_13select_configILj256ELj13ELNS0_17block_load_methodE3ELS4_3ELS4_3ELNS0_20block_scan_algorithmE0ELj4294967295EEENS1_25partition_config_selectorILNS1_17partition_subalgoE4EjNS0_10empty_typeEbEEZZNS1_14partition_implILS8_4ELb0ES6_15HIP_vector_typeIjLj2EENS0_17counting_iteratorIjlEEPS9_SG_NS0_5tupleIJPjSI_NS0_16reverse_iteratorISI_EEEEENSH_IJSG_SG_SG_EEES9_SI_JZNS1_25segmented_radix_sort_implINS0_14default_configELb1EPKhPhPKlPlN2at6native12_GLOBAL__N_18offset_tEEE10hipError_tPvRmT1_PNSt15iterator_traitsIS12_E10value_typeET2_T3_PNS13_IS18_E10value_typeET4_jRbjT5_S1E_jjP12ihipStream_tbEUljE_ZNSN_ISO_Lb1ESQ_SR_ST_SU_SY_EESZ_S10_S11_S12_S16_S17_S18_S1B_S1C_jS1D_jS1E_S1E_jjS1G_bEUljE0_EEESZ_S10_S11_S18_S1C_S1E_T6_T7_T9_mT8_S1G_bDpT10_ENKUlT_T0_E_clISt17integral_constantIbLb0EES1T_IbLb1EEEEDaS1P_S1Q_EUlS1P_E_NS1_11comp_targetILNS1_3genE10ELNS1_11target_archE1200ELNS1_3gpuE4ELNS1_3repE0EEENS1_30default_config_static_selectorELNS0_4arch9wavefront6targetE0EEEvS12_, .Lfunc_end44-_ZN7rocprim17ROCPRIM_400000_NS6detail17trampoline_kernelINS0_13select_configILj256ELj13ELNS0_17block_load_methodE3ELS4_3ELS4_3ELNS0_20block_scan_algorithmE0ELj4294967295EEENS1_25partition_config_selectorILNS1_17partition_subalgoE4EjNS0_10empty_typeEbEEZZNS1_14partition_implILS8_4ELb0ES6_15HIP_vector_typeIjLj2EENS0_17counting_iteratorIjlEEPS9_SG_NS0_5tupleIJPjSI_NS0_16reverse_iteratorISI_EEEEENSH_IJSG_SG_SG_EEES9_SI_JZNS1_25segmented_radix_sort_implINS0_14default_configELb1EPKhPhPKlPlN2at6native12_GLOBAL__N_18offset_tEEE10hipError_tPvRmT1_PNSt15iterator_traitsIS12_E10value_typeET2_T3_PNS13_IS18_E10value_typeET4_jRbjT5_S1E_jjP12ihipStream_tbEUljE_ZNSN_ISO_Lb1ESQ_SR_ST_SU_SY_EESZ_S10_S11_S12_S16_S17_S18_S1B_S1C_jS1D_jS1E_S1E_jjS1G_bEUljE0_EEESZ_S10_S11_S18_S1C_S1E_T6_T7_T9_mT8_S1G_bDpT10_ENKUlT_T0_E_clISt17integral_constantIbLb0EES1T_IbLb1EEEEDaS1P_S1Q_EUlS1P_E_NS1_11comp_targetILNS1_3genE10ELNS1_11target_archE1200ELNS1_3gpuE4ELNS1_3repE0EEENS1_30default_config_static_selectorELNS0_4arch9wavefront6targetE0EEEvS12_
                                        ; -- End function
	.section	.AMDGPU.csdata,"",@progbits
; Kernel info:
; codeLenInByte = 0
; NumSgprs: 0
; NumVgprs: 0
; ScratchSize: 0
; MemoryBound: 0
; FloatMode: 240
; IeeeMode: 1
; LDSByteSize: 0 bytes/workgroup (compile time only)
; SGPRBlocks: 0
; VGPRBlocks: 0
; NumSGPRsForWavesPerEU: 1
; NumVGPRsForWavesPerEU: 1
; Occupancy: 16
; WaveLimiterHint : 0
; COMPUTE_PGM_RSRC2:SCRATCH_EN: 0
; COMPUTE_PGM_RSRC2:USER_SGPR: 15
; COMPUTE_PGM_RSRC2:TRAP_HANDLER: 0
; COMPUTE_PGM_RSRC2:TGID_X_EN: 1
; COMPUTE_PGM_RSRC2:TGID_Y_EN: 0
; COMPUTE_PGM_RSRC2:TGID_Z_EN: 0
; COMPUTE_PGM_RSRC2:TIDIG_COMP_CNT: 0
	.section	.text._ZN7rocprim17ROCPRIM_400000_NS6detail17trampoline_kernelINS0_13select_configILj256ELj13ELNS0_17block_load_methodE3ELS4_3ELS4_3ELNS0_20block_scan_algorithmE0ELj4294967295EEENS1_25partition_config_selectorILNS1_17partition_subalgoE4EjNS0_10empty_typeEbEEZZNS1_14partition_implILS8_4ELb0ES6_15HIP_vector_typeIjLj2EENS0_17counting_iteratorIjlEEPS9_SG_NS0_5tupleIJPjSI_NS0_16reverse_iteratorISI_EEEEENSH_IJSG_SG_SG_EEES9_SI_JZNS1_25segmented_radix_sort_implINS0_14default_configELb1EPKhPhPKlPlN2at6native12_GLOBAL__N_18offset_tEEE10hipError_tPvRmT1_PNSt15iterator_traitsIS12_E10value_typeET2_T3_PNS13_IS18_E10value_typeET4_jRbjT5_S1E_jjP12ihipStream_tbEUljE_ZNSN_ISO_Lb1ESQ_SR_ST_SU_SY_EESZ_S10_S11_S12_S16_S17_S18_S1B_S1C_jS1D_jS1E_S1E_jjS1G_bEUljE0_EEESZ_S10_S11_S18_S1C_S1E_T6_T7_T9_mT8_S1G_bDpT10_ENKUlT_T0_E_clISt17integral_constantIbLb0EES1T_IbLb1EEEEDaS1P_S1Q_EUlS1P_E_NS1_11comp_targetILNS1_3genE9ELNS1_11target_archE1100ELNS1_3gpuE3ELNS1_3repE0EEENS1_30default_config_static_selectorELNS0_4arch9wavefront6targetE0EEEvS12_,"axG",@progbits,_ZN7rocprim17ROCPRIM_400000_NS6detail17trampoline_kernelINS0_13select_configILj256ELj13ELNS0_17block_load_methodE3ELS4_3ELS4_3ELNS0_20block_scan_algorithmE0ELj4294967295EEENS1_25partition_config_selectorILNS1_17partition_subalgoE4EjNS0_10empty_typeEbEEZZNS1_14partition_implILS8_4ELb0ES6_15HIP_vector_typeIjLj2EENS0_17counting_iteratorIjlEEPS9_SG_NS0_5tupleIJPjSI_NS0_16reverse_iteratorISI_EEEEENSH_IJSG_SG_SG_EEES9_SI_JZNS1_25segmented_radix_sort_implINS0_14default_configELb1EPKhPhPKlPlN2at6native12_GLOBAL__N_18offset_tEEE10hipError_tPvRmT1_PNSt15iterator_traitsIS12_E10value_typeET2_T3_PNS13_IS18_E10value_typeET4_jRbjT5_S1E_jjP12ihipStream_tbEUljE_ZNSN_ISO_Lb1ESQ_SR_ST_SU_SY_EESZ_S10_S11_S12_S16_S17_S18_S1B_S1C_jS1D_jS1E_S1E_jjS1G_bEUljE0_EEESZ_S10_S11_S18_S1C_S1E_T6_T7_T9_mT8_S1G_bDpT10_ENKUlT_T0_E_clISt17integral_constantIbLb0EES1T_IbLb1EEEEDaS1P_S1Q_EUlS1P_E_NS1_11comp_targetILNS1_3genE9ELNS1_11target_archE1100ELNS1_3gpuE3ELNS1_3repE0EEENS1_30default_config_static_selectorELNS0_4arch9wavefront6targetE0EEEvS12_,comdat
	.globl	_ZN7rocprim17ROCPRIM_400000_NS6detail17trampoline_kernelINS0_13select_configILj256ELj13ELNS0_17block_load_methodE3ELS4_3ELS4_3ELNS0_20block_scan_algorithmE0ELj4294967295EEENS1_25partition_config_selectorILNS1_17partition_subalgoE4EjNS0_10empty_typeEbEEZZNS1_14partition_implILS8_4ELb0ES6_15HIP_vector_typeIjLj2EENS0_17counting_iteratorIjlEEPS9_SG_NS0_5tupleIJPjSI_NS0_16reverse_iteratorISI_EEEEENSH_IJSG_SG_SG_EEES9_SI_JZNS1_25segmented_radix_sort_implINS0_14default_configELb1EPKhPhPKlPlN2at6native12_GLOBAL__N_18offset_tEEE10hipError_tPvRmT1_PNSt15iterator_traitsIS12_E10value_typeET2_T3_PNS13_IS18_E10value_typeET4_jRbjT5_S1E_jjP12ihipStream_tbEUljE_ZNSN_ISO_Lb1ESQ_SR_ST_SU_SY_EESZ_S10_S11_S12_S16_S17_S18_S1B_S1C_jS1D_jS1E_S1E_jjS1G_bEUljE0_EEESZ_S10_S11_S18_S1C_S1E_T6_T7_T9_mT8_S1G_bDpT10_ENKUlT_T0_E_clISt17integral_constantIbLb0EES1T_IbLb1EEEEDaS1P_S1Q_EUlS1P_E_NS1_11comp_targetILNS1_3genE9ELNS1_11target_archE1100ELNS1_3gpuE3ELNS1_3repE0EEENS1_30default_config_static_selectorELNS0_4arch9wavefront6targetE0EEEvS12_ ; -- Begin function _ZN7rocprim17ROCPRIM_400000_NS6detail17trampoline_kernelINS0_13select_configILj256ELj13ELNS0_17block_load_methodE3ELS4_3ELS4_3ELNS0_20block_scan_algorithmE0ELj4294967295EEENS1_25partition_config_selectorILNS1_17partition_subalgoE4EjNS0_10empty_typeEbEEZZNS1_14partition_implILS8_4ELb0ES6_15HIP_vector_typeIjLj2EENS0_17counting_iteratorIjlEEPS9_SG_NS0_5tupleIJPjSI_NS0_16reverse_iteratorISI_EEEEENSH_IJSG_SG_SG_EEES9_SI_JZNS1_25segmented_radix_sort_implINS0_14default_configELb1EPKhPhPKlPlN2at6native12_GLOBAL__N_18offset_tEEE10hipError_tPvRmT1_PNSt15iterator_traitsIS12_E10value_typeET2_T3_PNS13_IS18_E10value_typeET4_jRbjT5_S1E_jjP12ihipStream_tbEUljE_ZNSN_ISO_Lb1ESQ_SR_ST_SU_SY_EESZ_S10_S11_S12_S16_S17_S18_S1B_S1C_jS1D_jS1E_S1E_jjS1G_bEUljE0_EEESZ_S10_S11_S18_S1C_S1E_T6_T7_T9_mT8_S1G_bDpT10_ENKUlT_T0_E_clISt17integral_constantIbLb0EES1T_IbLb1EEEEDaS1P_S1Q_EUlS1P_E_NS1_11comp_targetILNS1_3genE9ELNS1_11target_archE1100ELNS1_3gpuE3ELNS1_3repE0EEENS1_30default_config_static_selectorELNS0_4arch9wavefront6targetE0EEEvS12_
	.p2align	8
	.type	_ZN7rocprim17ROCPRIM_400000_NS6detail17trampoline_kernelINS0_13select_configILj256ELj13ELNS0_17block_load_methodE3ELS4_3ELS4_3ELNS0_20block_scan_algorithmE0ELj4294967295EEENS1_25partition_config_selectorILNS1_17partition_subalgoE4EjNS0_10empty_typeEbEEZZNS1_14partition_implILS8_4ELb0ES6_15HIP_vector_typeIjLj2EENS0_17counting_iteratorIjlEEPS9_SG_NS0_5tupleIJPjSI_NS0_16reverse_iteratorISI_EEEEENSH_IJSG_SG_SG_EEES9_SI_JZNS1_25segmented_radix_sort_implINS0_14default_configELb1EPKhPhPKlPlN2at6native12_GLOBAL__N_18offset_tEEE10hipError_tPvRmT1_PNSt15iterator_traitsIS12_E10value_typeET2_T3_PNS13_IS18_E10value_typeET4_jRbjT5_S1E_jjP12ihipStream_tbEUljE_ZNSN_ISO_Lb1ESQ_SR_ST_SU_SY_EESZ_S10_S11_S12_S16_S17_S18_S1B_S1C_jS1D_jS1E_S1E_jjS1G_bEUljE0_EEESZ_S10_S11_S18_S1C_S1E_T6_T7_T9_mT8_S1G_bDpT10_ENKUlT_T0_E_clISt17integral_constantIbLb0EES1T_IbLb1EEEEDaS1P_S1Q_EUlS1P_E_NS1_11comp_targetILNS1_3genE9ELNS1_11target_archE1100ELNS1_3gpuE3ELNS1_3repE0EEENS1_30default_config_static_selectorELNS0_4arch9wavefront6targetE0EEEvS12_,@function
_ZN7rocprim17ROCPRIM_400000_NS6detail17trampoline_kernelINS0_13select_configILj256ELj13ELNS0_17block_load_methodE3ELS4_3ELS4_3ELNS0_20block_scan_algorithmE0ELj4294967295EEENS1_25partition_config_selectorILNS1_17partition_subalgoE4EjNS0_10empty_typeEbEEZZNS1_14partition_implILS8_4ELb0ES6_15HIP_vector_typeIjLj2EENS0_17counting_iteratorIjlEEPS9_SG_NS0_5tupleIJPjSI_NS0_16reverse_iteratorISI_EEEEENSH_IJSG_SG_SG_EEES9_SI_JZNS1_25segmented_radix_sort_implINS0_14default_configELb1EPKhPhPKlPlN2at6native12_GLOBAL__N_18offset_tEEE10hipError_tPvRmT1_PNSt15iterator_traitsIS12_E10value_typeET2_T3_PNS13_IS18_E10value_typeET4_jRbjT5_S1E_jjP12ihipStream_tbEUljE_ZNSN_ISO_Lb1ESQ_SR_ST_SU_SY_EESZ_S10_S11_S12_S16_S17_S18_S1B_S1C_jS1D_jS1E_S1E_jjS1G_bEUljE0_EEESZ_S10_S11_S18_S1C_S1E_T6_T7_T9_mT8_S1G_bDpT10_ENKUlT_T0_E_clISt17integral_constantIbLb0EES1T_IbLb1EEEEDaS1P_S1Q_EUlS1P_E_NS1_11comp_targetILNS1_3genE9ELNS1_11target_archE1100ELNS1_3gpuE3ELNS1_3repE0EEENS1_30default_config_static_selectorELNS0_4arch9wavefront6targetE0EEEvS12_: ; @_ZN7rocprim17ROCPRIM_400000_NS6detail17trampoline_kernelINS0_13select_configILj256ELj13ELNS0_17block_load_methodE3ELS4_3ELS4_3ELNS0_20block_scan_algorithmE0ELj4294967295EEENS1_25partition_config_selectorILNS1_17partition_subalgoE4EjNS0_10empty_typeEbEEZZNS1_14partition_implILS8_4ELb0ES6_15HIP_vector_typeIjLj2EENS0_17counting_iteratorIjlEEPS9_SG_NS0_5tupleIJPjSI_NS0_16reverse_iteratorISI_EEEEENSH_IJSG_SG_SG_EEES9_SI_JZNS1_25segmented_radix_sort_implINS0_14default_configELb1EPKhPhPKlPlN2at6native12_GLOBAL__N_18offset_tEEE10hipError_tPvRmT1_PNSt15iterator_traitsIS12_E10value_typeET2_T3_PNS13_IS18_E10value_typeET4_jRbjT5_S1E_jjP12ihipStream_tbEUljE_ZNSN_ISO_Lb1ESQ_SR_ST_SU_SY_EESZ_S10_S11_S12_S16_S17_S18_S1B_S1C_jS1D_jS1E_S1E_jjS1G_bEUljE0_EEESZ_S10_S11_S18_S1C_S1E_T6_T7_T9_mT8_S1G_bDpT10_ENKUlT_T0_E_clISt17integral_constantIbLb0EES1T_IbLb1EEEEDaS1P_S1Q_EUlS1P_E_NS1_11comp_targetILNS1_3genE9ELNS1_11target_archE1100ELNS1_3gpuE3ELNS1_3repE0EEENS1_30default_config_static_selectorELNS0_4arch9wavefront6targetE0EEEvS12_
; %bb.0:
	s_clause 0x7
	s_load_b64 s[34:35], s[0:1], 0x10
	s_load_b128 s[28:31], s[0:1], 0x28
	s_load_b64 s[14:15], s[0:1], 0x38
	s_load_b128 s[24:27], s[0:1], 0x58
	s_load_b64 s[4:5], s[0:1], 0x68
	s_load_b64 s[36:37], s[0:1], 0x78
	;; [unrolled: 1-line block ×3, first 2 shown]
	s_load_b256 s[16:23], s[0:1], 0x90
	v_cmp_eq_u32_e64 s2, 0, v0
	s_delay_alu instid0(VALU_DEP_1)
	s_and_saveexec_b32 s3, s2
	s_cbranch_execz .LBB45_4
; %bb.1:
	s_mov_b32 s7, exec_lo
	s_mov_b32 s6, exec_lo
	v_mbcnt_lo_u32_b32 v1, s7, 0
                                        ; implicit-def: $vgpr2
	s_delay_alu instid0(VALU_DEP_1)
	v_cmpx_eq_u32_e32 0, v1
	s_cbranch_execz .LBB45_3
; %bb.2:
	s_load_b64 s[8:9], s[0:1], 0x88
	s_bcnt1_i32_b32 s7, s7
	s_delay_alu instid0(SALU_CYCLE_1)
	v_dual_mov_b32 v2, 0 :: v_dual_mov_b32 v3, s7
	s_waitcnt lgkmcnt(0)
	global_atomic_add_u32 v2, v2, v3, s[8:9] glc
.LBB45_3:
	s_or_b32 exec_lo, exec_lo, s6
	s_waitcnt vmcnt(0)
	v_readfirstlane_b32 s6, v2
	s_delay_alu instid0(VALU_DEP_1)
	v_dual_mov_b32 v2, 0 :: v_dual_add_nc_u32 v1, s6, v1
	ds_store_b32 v2, v1
.LBB45_4:
	s_or_b32 exec_lo, exec_lo, s3
	v_mov_b32_e32 v1, 0
	s_clause 0x1
	s_load_b32 s3, s[0:1], 0x8
	s_load_b32 s0, s[0:1], 0x80
	s_waitcnt lgkmcnt(0)
	s_barrier
	buffer_gl0_inv
	ds_load_b32 v5, v1
	s_waitcnt lgkmcnt(0)
	s_barrier
	buffer_gl0_inv
	global_load_b128 v[1:4], v1, s[26:27]
	s_add_i32 s3, s3, s34
	s_mul_i32 s1, s0, 0xd00
	s_add_i32 s0, s0, -1
	s_add_u32 s6, s34, s1
	s_addc_u32 s7, s35, 0
	v_mul_lo_u32 v30, 0xd00, v5
	v_readfirstlane_b32 s26, v5
	v_cmp_lt_u64_e64 s5, s[6:7], s[4:5]
	v_cmp_ne_u32_e32 vcc_lo, s0, v5
	s_delay_alu instid0(VALU_DEP_3) | instskip(SKIP_1) | instid1(VALU_DEP_4)
	s_cmp_eq_u32 s26, s0
	s_cselect_b32 s13, -1, 0
	v_add3_u32 v5, v30, s3, v0
	s_delay_alu instid0(VALU_DEP_3) | instskip(SKIP_2) | instid1(VALU_DEP_1)
	s_or_b32 s0, s5, vcc_lo
	s_mov_b32 s3, -1
	s_and_b32 vcc_lo, exec_lo, s0
	v_add_nc_u32_e32 v6, 0x100, v5
	v_add_nc_u32_e32 v7, 0x200, v5
	;; [unrolled: 1-line block ×12, first 2 shown]
	s_cbranch_vccz .LBB45_6
; %bb.5:
	v_lshlrev_b32_e32 v18, 2, v0
	s_mov_b32 s3, 0
	ds_store_2addr_stride64_b32 v18, v5, v6 offset1:4
	ds_store_2addr_stride64_b32 v18, v7, v8 offset0:8 offset1:12
	ds_store_2addr_stride64_b32 v18, v9, v10 offset0:16 offset1:20
	;; [unrolled: 1-line block ×5, first 2 shown]
	ds_store_b32 v18, v17 offset:12288
	s_waitcnt vmcnt(0) lgkmcnt(0)
	s_barrier
.LBB45_6:
	s_and_not1_b32 vcc_lo, exec_lo, s3
	s_add_i32 s1, s1, s34
	s_cbranch_vccnz .LBB45_8
; %bb.7:
	v_lshlrev_b32_e32 v18, 2, v0
	ds_store_2addr_stride64_b32 v18, v5, v6 offset1:4
	ds_store_2addr_stride64_b32 v18, v7, v8 offset0:8 offset1:12
	ds_store_2addr_stride64_b32 v18, v9, v10 offset0:16 offset1:20
	;; [unrolled: 1-line block ×5, first 2 shown]
	ds_store_b32 v18, v17 offset:12288
	s_waitcnt vmcnt(0) lgkmcnt(0)
	s_barrier
.LBB45_8:
	v_mul_u32_u24_e32 v33, 13, v0
	s_waitcnt vmcnt(0)
	buffer_gl0_inv
	v_cndmask_b32_e64 v31, 0, 1, s0
	s_sub_i32 s40, s4, s1
	s_and_not1_b32 vcc_lo, exec_lo, s0
	v_lshlrev_b32_e32 v5, 2, v33
	ds_load_2addr_b32 v[20:21], v5 offset1:1
	ds_load_2addr_b32 v[18:19], v5 offset0:2 offset1:3
	ds_load_2addr_b32 v[16:17], v5 offset0:4 offset1:5
	;; [unrolled: 1-line block ×5, first 2 shown]
	ds_load_b32 v32, v5 offset:48
	s_waitcnt lgkmcnt(0)
	s_barrier
	buffer_gl0_inv
	s_cbranch_vccnz .LBB45_36
; %bb.9:
	v_add_nc_u32_e32 v5, s17, v20
	v_add_nc_u32_e32 v6, s19, v20
	s_mov_b32 s42, 0
	s_mov_b32 s41, 0
	s_mov_b32 s1, exec_lo
	v_mul_lo_u32 v5, v5, s16
	v_mul_lo_u32 v6, v6, s18
	s_delay_alu instid0(VALU_DEP_1) | instskip(NEXT) | instid1(VALU_DEP_1)
	v_sub_nc_u32_e32 v5, v5, v6
	v_cmp_lt_u32_e32 vcc_lo, s20, v5
	v_cmpx_ge_u32_e64 s20, v5
; %bb.10:
	v_add_nc_u32_e32 v5, s22, v20
	v_add_nc_u32_e32 v6, s38, v20
	s_delay_alu instid0(VALU_DEP_2) | instskip(NEXT) | instid1(VALU_DEP_2)
	v_mul_lo_u32 v5, v5, s21
	v_mul_lo_u32 v6, v6, s23
	s_delay_alu instid0(VALU_DEP_1) | instskip(NEXT) | instid1(VALU_DEP_1)
	v_sub_nc_u32_e32 v5, v5, v6
	v_cmp_lt_u32_e64 s0, s39, v5
	s_delay_alu instid0(VALU_DEP_1)
	s_and_b32 s41, s0, exec_lo
; %bb.11:
	s_or_b32 exec_lo, exec_lo, s1
	v_add_nc_u32_e32 v5, s17, v21
	v_add_nc_u32_e32 v6, s19, v21
	s_mov_b32 s3, exec_lo
	s_delay_alu instid0(VALU_DEP_2) | instskip(NEXT) | instid1(VALU_DEP_2)
	v_mul_lo_u32 v5, v5, s16
	v_mul_lo_u32 v6, v6, s18
	s_delay_alu instid0(VALU_DEP_1) | instskip(NEXT) | instid1(VALU_DEP_1)
	v_sub_nc_u32_e32 v5, v5, v6
	v_cmp_lt_u32_e64 s0, s20, v5
	v_cmpx_ge_u32_e64 s20, v5
; %bb.12:
	v_add_nc_u32_e32 v5, s22, v21
	v_add_nc_u32_e32 v6, s38, v21
	s_delay_alu instid0(VALU_DEP_2) | instskip(NEXT) | instid1(VALU_DEP_2)
	v_mul_lo_u32 v5, v5, s21
	v_mul_lo_u32 v6, v6, s23
	s_delay_alu instid0(VALU_DEP_1) | instskip(NEXT) | instid1(VALU_DEP_1)
	v_sub_nc_u32_e32 v5, v5, v6
	v_cmp_lt_u32_e64 s1, s39, v5
	s_delay_alu instid0(VALU_DEP_1)
	s_and_b32 s42, s1, exec_lo
; %bb.13:
	s_or_b32 exec_lo, exec_lo, s3
	v_add_nc_u32_e32 v5, s17, v18
	v_add_nc_u32_e32 v6, s19, v18
	s_mov_b32 s44, 0
	s_mov_b32 s43, 0
	s_mov_b32 s4, exec_lo
	v_mul_lo_u32 v5, v5, s16
	v_mul_lo_u32 v6, v6, s18
	s_delay_alu instid0(VALU_DEP_1) | instskip(NEXT) | instid1(VALU_DEP_1)
	v_sub_nc_u32_e32 v5, v5, v6
	v_cmp_lt_u32_e64 s1, s20, v5
	v_cmpx_ge_u32_e64 s20, v5
; %bb.14:
	v_add_nc_u32_e32 v5, s22, v18
	v_add_nc_u32_e32 v6, s38, v18
	s_delay_alu instid0(VALU_DEP_2) | instskip(NEXT) | instid1(VALU_DEP_2)
	v_mul_lo_u32 v5, v5, s21
	v_mul_lo_u32 v6, v6, s23
	s_delay_alu instid0(VALU_DEP_1) | instskip(NEXT) | instid1(VALU_DEP_1)
	v_sub_nc_u32_e32 v5, v5, v6
	v_cmp_lt_u32_e64 s3, s39, v5
	s_delay_alu instid0(VALU_DEP_1)
	s_and_b32 s43, s3, exec_lo
; %bb.15:
	s_or_b32 exec_lo, exec_lo, s4
	v_add_nc_u32_e32 v5, s17, v19
	v_add_nc_u32_e32 v6, s19, v19
	s_mov_b32 s5, exec_lo
	s_delay_alu instid0(VALU_DEP_2) | instskip(NEXT) | instid1(VALU_DEP_2)
	v_mul_lo_u32 v5, v5, s16
	v_mul_lo_u32 v6, v6, s18
	s_delay_alu instid0(VALU_DEP_1) | instskip(NEXT) | instid1(VALU_DEP_1)
	v_sub_nc_u32_e32 v5, v5, v6
	v_cmp_lt_u32_e64 s3, s20, v5
	v_cmpx_ge_u32_e64 s20, v5
; %bb.16:
	v_add_nc_u32_e32 v5, s22, v19
	v_add_nc_u32_e32 v6, s38, v19
	s_delay_alu instid0(VALU_DEP_2) | instskip(NEXT) | instid1(VALU_DEP_2)
	v_mul_lo_u32 v5, v5, s21
	v_mul_lo_u32 v6, v6, s23
	s_delay_alu instid0(VALU_DEP_1) | instskip(NEXT) | instid1(VALU_DEP_1)
	v_sub_nc_u32_e32 v5, v5, v6
	v_cmp_lt_u32_e64 s4, s39, v5
	s_delay_alu instid0(VALU_DEP_1)
	s_and_b32 s44, s4, exec_lo
; %bb.17:
	s_or_b32 exec_lo, exec_lo, s5
	v_add_nc_u32_e32 v5, s17, v16
	v_add_nc_u32_e32 v6, s19, v16
	s_mov_b32 s46, 0
	s_mov_b32 s45, 0
	s_mov_b32 s6, exec_lo
	v_mul_lo_u32 v5, v5, s16
	v_mul_lo_u32 v6, v6, s18
	s_delay_alu instid0(VALU_DEP_1) | instskip(NEXT) | instid1(VALU_DEP_1)
	v_sub_nc_u32_e32 v5, v5, v6
	v_cmp_lt_u32_e64 s4, s20, v5
	;; [unrolled: 47-line block ×5, first 2 shown]
	v_cmpx_ge_u32_e64 s20, v5
; %bb.30:
	v_add_nc_u32_e32 v5, s22, v10
	v_add_nc_u32_e32 v6, s38, v10
	s_delay_alu instid0(VALU_DEP_2) | instskip(NEXT) | instid1(VALU_DEP_2)
	v_mul_lo_u32 v5, v5, s21
	v_mul_lo_u32 v6, v6, s23
	s_delay_alu instid0(VALU_DEP_1) | instskip(NEXT) | instid1(VALU_DEP_1)
	v_sub_nc_u32_e32 v5, v5, v6
	v_cmp_lt_u32_e64 s11, s39, v5
	s_delay_alu instid0(VALU_DEP_1)
	s_and_b32 s53, s11, exec_lo
; %bb.31:
	s_or_b32 exec_lo, exec_lo, s12
	v_add_nc_u32_e32 v5, s17, v11
	v_add_nc_u32_e32 v6, s19, v11
	s_mov_b32 s27, exec_lo
	s_delay_alu instid0(VALU_DEP_2) | instskip(NEXT) | instid1(VALU_DEP_2)
	v_mul_lo_u32 v5, v5, s16
	v_mul_lo_u32 v6, v6, s18
	s_delay_alu instid0(VALU_DEP_1) | instskip(NEXT) | instid1(VALU_DEP_1)
	v_sub_nc_u32_e32 v5, v5, v6
	v_cmp_lt_u32_e64 s11, s20, v5
	v_cmpx_ge_u32_e64 s20, v5
; %bb.32:
	v_add_nc_u32_e32 v5, s22, v11
	v_add_nc_u32_e32 v6, s38, v11
	s_delay_alu instid0(VALU_DEP_2) | instskip(NEXT) | instid1(VALU_DEP_2)
	v_mul_lo_u32 v5, v5, s21
	v_mul_lo_u32 v6, v6, s23
	s_delay_alu instid0(VALU_DEP_1) | instskip(NEXT) | instid1(VALU_DEP_1)
	v_sub_nc_u32_e32 v5, v5, v6
	v_cmp_lt_u32_e64 s12, s39, v5
	s_delay_alu instid0(VALU_DEP_1)
	s_and_b32 s52, s12, exec_lo
; %bb.33:
	s_or_b32 exec_lo, exec_lo, s27
	v_add_nc_u32_e32 v5, s17, v32
	v_add_nc_u32_e32 v6, s19, v32
	s_mov_b32 s27, -1
	s_mov_b32 s49, 0
	s_mov_b32 s33, 0
	v_mul_lo_u32 v5, v5, s16
	v_mul_lo_u32 v6, v6, s18
	s_mov_b32 s54, exec_lo
	s_delay_alu instid0(VALU_DEP_1) | instskip(NEXT) | instid1(VALU_DEP_1)
	v_sub_nc_u32_e32 v5, v5, v6
	v_cmpx_ge_u32_e64 s20, v5
; %bb.34:
	v_add_nc_u32_e32 v5, s22, v32
	v_add_nc_u32_e32 v6, s38, v32
	s_xor_b32 s27, exec_lo, -1
	s_delay_alu instid0(VALU_DEP_2) | instskip(NEXT) | instid1(VALU_DEP_2)
	v_mul_lo_u32 v5, v5, s21
	v_mul_lo_u32 v6, v6, s23
	s_delay_alu instid0(VALU_DEP_1) | instskip(NEXT) | instid1(VALU_DEP_1)
	v_sub_nc_u32_e32 v5, v5, v6
	v_cmp_lt_u32_e64 s12, s39, v5
	s_delay_alu instid0(VALU_DEP_1)
	s_and_b32 s33, s12, exec_lo
; %bb.35:
	s_or_b32 exec_lo, exec_lo, s54
	v_cndmask_b32_e64 v53, 0, 1, s53
	v_cndmask_b32_e64 v56, 0, 1, s11
	;; [unrolled: 1-line block ×22, first 2 shown]
	v_cndmask_b32_e64 v34, 0, 1, vcc_lo
	v_cndmask_b32_e64 v57, 0, 1, s52
	s_and_b32 vcc_lo, exec_lo, s49
	s_add_i32 s4, s40, 0xd00
	s_cbranch_vccnz .LBB45_37
	s_branch .LBB45_90
.LBB45_36:
                                        ; implicit-def: $sgpr27
                                        ; implicit-def: $sgpr33
                                        ; implicit-def: $vgpr57
                                        ; implicit-def: $vgpr53
                                        ; implicit-def: $vgpr52
                                        ; implicit-def: $vgpr50
                                        ; implicit-def: $vgpr48
                                        ; implicit-def: $vgpr46
                                        ; implicit-def: $vgpr44
                                        ; implicit-def: $vgpr42
                                        ; implicit-def: $vgpr39
                                        ; implicit-def: $vgpr34
                                        ; implicit-def: $vgpr37
                                        ; implicit-def: $vgpr36
                                        ; implicit-def: $vgpr41
                                        ; implicit-def: $vgpr43
                                        ; implicit-def: $vgpr45
                                        ; implicit-def: $vgpr47
                                        ; implicit-def: $vgpr49
                                        ; implicit-def: $vgpr51
                                        ; implicit-def: $vgpr54
                                        ; implicit-def: $vgpr55
                                        ; implicit-def: $vgpr56
                                        ; implicit-def: $vgpr35
                                        ; implicit-def: $vgpr40
                                        ; implicit-def: $vgpr38
	s_add_i32 s4, s40, 0xd00
	s_cbranch_execz .LBB45_90
.LBB45_37:
	v_dual_mov_b32 v35, 0 :: v_dual_mov_b32 v34, 0
	s_mov_b32 s3, 0
	s_mov_b32 s1, exec_lo
	v_cmpx_gt_u32_e64 s4, v33
	s_cbranch_execz .LBB45_41
; %bb.38:
	v_add_nc_u32_e32 v5, s17, v20
	v_add_nc_u32_e32 v6, s19, v20
	s_mov_b32 s5, exec_lo
	s_delay_alu instid0(VALU_DEP_2) | instskip(NEXT) | instid1(VALU_DEP_2)
	v_mul_lo_u32 v5, v5, s16
	v_mul_lo_u32 v6, v6, s18
	s_delay_alu instid0(VALU_DEP_1) | instskip(NEXT) | instid1(VALU_DEP_1)
	v_sub_nc_u32_e32 v5, v5, v6
	v_cmp_lt_u32_e32 vcc_lo, s20, v5
	v_cmpx_ge_u32_e64 s20, v5
; %bb.39:
	v_add_nc_u32_e32 v5, s22, v20
	v_add_nc_u32_e32 v6, s38, v20
	s_delay_alu instid0(VALU_DEP_2) | instskip(NEXT) | instid1(VALU_DEP_2)
	v_mul_lo_u32 v5, v5, s21
	v_mul_lo_u32 v6, v6, s23
	s_delay_alu instid0(VALU_DEP_1) | instskip(NEXT) | instid1(VALU_DEP_1)
	v_sub_nc_u32_e32 v5, v5, v6
	v_cmp_lt_u32_e64 s0, s39, v5
	s_delay_alu instid0(VALU_DEP_1)
	s_and_b32 s3, s0, exec_lo
; %bb.40:
	s_or_b32 exec_lo, exec_lo, s5
	v_cndmask_b32_e64 v34, 0, 1, vcc_lo
	v_cndmask_b32_e64 v35, 0, 1, s3
.LBB45_41:
	s_or_b32 exec_lo, exec_lo, s1
	v_dual_mov_b32 v40, 0 :: v_dual_add_nc_u32 v5, 1, v33
	v_mov_b32_e32 v37, 0
	s_mov_b32 s3, 0
	s_mov_b32 s1, exec_lo
	s_delay_alu instid0(VALU_DEP_2)
	v_cmpx_gt_u32_e64 s4, v5
	s_cbranch_execz .LBB45_45
; %bb.42:
	v_add_nc_u32_e32 v5, s17, v21
	v_add_nc_u32_e32 v6, s19, v21
	s_mov_b32 s5, exec_lo
	s_delay_alu instid0(VALU_DEP_2) | instskip(NEXT) | instid1(VALU_DEP_2)
	v_mul_lo_u32 v5, v5, s16
	v_mul_lo_u32 v6, v6, s18
	s_delay_alu instid0(VALU_DEP_1) | instskip(NEXT) | instid1(VALU_DEP_1)
	v_sub_nc_u32_e32 v5, v5, v6
	v_cmp_lt_u32_e32 vcc_lo, s20, v5
	v_cmpx_ge_u32_e64 s20, v5
; %bb.43:
	v_add_nc_u32_e32 v5, s22, v21
	v_add_nc_u32_e32 v6, s38, v21
	s_delay_alu instid0(VALU_DEP_2) | instskip(NEXT) | instid1(VALU_DEP_2)
	v_mul_lo_u32 v5, v5, s21
	v_mul_lo_u32 v6, v6, s23
	s_delay_alu instid0(VALU_DEP_1) | instskip(NEXT) | instid1(VALU_DEP_1)
	v_sub_nc_u32_e32 v5, v5, v6
	v_cmp_lt_u32_e64 s0, s39, v5
	s_delay_alu instid0(VALU_DEP_1)
	s_and_b32 s3, s0, exec_lo
; %bb.44:
	s_or_b32 exec_lo, exec_lo, s5
	v_cndmask_b32_e64 v37, 0, 1, vcc_lo
	v_cndmask_b32_e64 v40, 0, 1, s3
.LBB45_45:
	s_or_b32 exec_lo, exec_lo, s1
	v_dual_mov_b32 v36, 0 :: v_dual_add_nc_u32 v5, 2, v33
	v_mov_b32_e32 v38, 0
	s_mov_b32 s3, 0
	s_mov_b32 s1, exec_lo
	s_delay_alu instid0(VALU_DEP_2)
	v_cmpx_gt_u32_e64 s4, v5
	s_cbranch_execz .LBB45_49
; %bb.46:
	v_add_nc_u32_e32 v5, s17, v18
	v_add_nc_u32_e32 v6, s19, v18
	s_mov_b32 s5, exec_lo
	s_delay_alu instid0(VALU_DEP_2) | instskip(NEXT) | instid1(VALU_DEP_2)
	v_mul_lo_u32 v5, v5, s16
	v_mul_lo_u32 v6, v6, s18
	s_delay_alu instid0(VALU_DEP_1) | instskip(NEXT) | instid1(VALU_DEP_1)
	v_sub_nc_u32_e32 v5, v5, v6
	v_cmp_lt_u32_e32 vcc_lo, s20, v5
	v_cmpx_ge_u32_e64 s20, v5
; %bb.47:
	v_add_nc_u32_e32 v5, s22, v18
	v_add_nc_u32_e32 v6, s38, v18
	s_delay_alu instid0(VALU_DEP_2) | instskip(NEXT) | instid1(VALU_DEP_2)
	v_mul_lo_u32 v5, v5, s21
	v_mul_lo_u32 v6, v6, s23
	s_delay_alu instid0(VALU_DEP_1) | instskip(NEXT) | instid1(VALU_DEP_1)
	v_sub_nc_u32_e32 v5, v5, v6
	v_cmp_lt_u32_e64 s0, s39, v5
	s_delay_alu instid0(VALU_DEP_1)
	s_and_b32 s3, s0, exec_lo
; %bb.48:
	s_or_b32 exec_lo, exec_lo, s5
	v_cndmask_b32_e64 v36, 0, 1, vcc_lo
	v_cndmask_b32_e64 v38, 0, 1, s3
.LBB45_49:
	s_or_b32 exec_lo, exec_lo, s1
	v_add_nc_u32_e32 v5, 3, v33
	v_mov_b32_e32 v39, 0
	v_mov_b32_e32 v41, 0
	s_mov_b32 s3, 0
	s_mov_b32 s1, exec_lo
	v_cmpx_gt_u32_e64 s4, v5
	s_cbranch_execz .LBB45_53
; %bb.50:
	v_add_nc_u32_e32 v5, s17, v19
	v_add_nc_u32_e32 v6, s19, v19
	s_mov_b32 s5, exec_lo
	s_delay_alu instid0(VALU_DEP_2) | instskip(NEXT) | instid1(VALU_DEP_2)
	v_mul_lo_u32 v5, v5, s16
	v_mul_lo_u32 v6, v6, s18
	s_delay_alu instid0(VALU_DEP_1) | instskip(NEXT) | instid1(VALU_DEP_1)
	v_sub_nc_u32_e32 v5, v5, v6
	v_cmp_lt_u32_e32 vcc_lo, s20, v5
	v_cmpx_ge_u32_e64 s20, v5
; %bb.51:
	v_add_nc_u32_e32 v5, s22, v19
	v_add_nc_u32_e32 v6, s38, v19
	s_delay_alu instid0(VALU_DEP_2) | instskip(NEXT) | instid1(VALU_DEP_2)
	v_mul_lo_u32 v5, v5, s21
	v_mul_lo_u32 v6, v6, s23
	s_delay_alu instid0(VALU_DEP_1) | instskip(NEXT) | instid1(VALU_DEP_1)
	v_sub_nc_u32_e32 v5, v5, v6
	v_cmp_lt_u32_e64 s0, s39, v5
	s_delay_alu instid0(VALU_DEP_1)
	s_and_b32 s3, s0, exec_lo
; %bb.52:
	s_or_b32 exec_lo, exec_lo, s5
	v_cndmask_b32_e64 v41, 0, 1, vcc_lo
	v_cndmask_b32_e64 v39, 0, 1, s3
.LBB45_53:
	s_or_b32 exec_lo, exec_lo, s1
	v_dual_mov_b32 v42, 0 :: v_dual_add_nc_u32 v5, 4, v33
	v_mov_b32_e32 v43, 0
	s_mov_b32 s3, 0
	s_mov_b32 s1, exec_lo
	s_delay_alu instid0(VALU_DEP_2)
	v_cmpx_gt_u32_e64 s4, v5
	s_cbranch_execz .LBB45_57
; %bb.54:
	v_add_nc_u32_e32 v5, s17, v16
	v_add_nc_u32_e32 v6, s19, v16
	s_mov_b32 s5, exec_lo
	s_delay_alu instid0(VALU_DEP_2) | instskip(NEXT) | instid1(VALU_DEP_2)
	v_mul_lo_u32 v5, v5, s16
	v_mul_lo_u32 v6, v6, s18
	s_delay_alu instid0(VALU_DEP_1) | instskip(NEXT) | instid1(VALU_DEP_1)
	v_sub_nc_u32_e32 v5, v5, v6
	v_cmp_lt_u32_e32 vcc_lo, s20, v5
	v_cmpx_ge_u32_e64 s20, v5
; %bb.55:
	v_add_nc_u32_e32 v5, s22, v16
	v_add_nc_u32_e32 v6, s38, v16
	s_delay_alu instid0(VALU_DEP_2) | instskip(NEXT) | instid1(VALU_DEP_2)
	v_mul_lo_u32 v5, v5, s21
	v_mul_lo_u32 v6, v6, s23
	s_delay_alu instid0(VALU_DEP_1) | instskip(NEXT) | instid1(VALU_DEP_1)
	v_sub_nc_u32_e32 v5, v5, v6
	v_cmp_lt_u32_e64 s0, s39, v5
	s_delay_alu instid0(VALU_DEP_1)
	s_and_b32 s3, s0, exec_lo
; %bb.56:
	s_or_b32 exec_lo, exec_lo, s5
	v_cndmask_b32_e64 v43, 0, 1, vcc_lo
	v_cndmask_b32_e64 v42, 0, 1, s3
.LBB45_57:
	s_or_b32 exec_lo, exec_lo, s1
	v_dual_mov_b32 v44, 0 :: v_dual_add_nc_u32 v5, 5, v33
	v_mov_b32_e32 v45, 0
	s_mov_b32 s3, 0
	s_mov_b32 s1, exec_lo
	s_delay_alu instid0(VALU_DEP_2)
	;; [unrolled: 35-line block ×6, first 2 shown]
	v_cmpx_gt_u32_e64 s4, v5
	s_cbranch_execz .LBB45_77
; %bb.74:
	v_add_nc_u32_e32 v5, s17, v13
	v_add_nc_u32_e32 v6, s19, v13
	s_mov_b32 s5, exec_lo
	s_delay_alu instid0(VALU_DEP_2) | instskip(NEXT) | instid1(VALU_DEP_2)
	v_mul_lo_u32 v5, v5, s16
	v_mul_lo_u32 v6, v6, s18
	s_delay_alu instid0(VALU_DEP_1) | instskip(NEXT) | instid1(VALU_DEP_1)
	v_sub_nc_u32_e32 v5, v5, v6
	v_cmp_lt_u32_e32 vcc_lo, s20, v5
	v_cmpx_ge_u32_e64 s20, v5
; %bb.75:
	v_add_nc_u32_e32 v5, s22, v13
	v_add_nc_u32_e32 v6, s38, v13
	s_delay_alu instid0(VALU_DEP_2) | instskip(NEXT) | instid1(VALU_DEP_2)
	v_mul_lo_u32 v5, v5, s21
	v_mul_lo_u32 v6, v6, s23
	s_delay_alu instid0(VALU_DEP_1) | instskip(NEXT) | instid1(VALU_DEP_1)
	v_sub_nc_u32_e32 v5, v5, v6
	v_cmp_lt_u32_e64 s0, s39, v5
	s_delay_alu instid0(VALU_DEP_1)
	s_and_b32 s3, s0, exec_lo
; %bb.76:
	s_or_b32 exec_lo, exec_lo, s5
	v_cndmask_b32_e64 v54, 0, 1, vcc_lo
	v_cndmask_b32_e64 v52, 0, 1, s3
.LBB45_77:
	s_or_b32 exec_lo, exec_lo, s1
	v_add_nc_u32_e32 v5, 10, v33
	v_mov_b32_e32 v53, 0
	v_mov_b32_e32 v55, 0
	s_mov_b32 s3, 0
	s_mov_b32 s1, exec_lo
	v_cmpx_gt_u32_e64 s4, v5
	s_cbranch_execz .LBB45_81
; %bb.78:
	v_add_nc_u32_e32 v5, s17, v10
	v_add_nc_u32_e32 v6, s19, v10
	s_mov_b32 s5, exec_lo
	s_delay_alu instid0(VALU_DEP_2) | instskip(NEXT) | instid1(VALU_DEP_2)
	v_mul_lo_u32 v5, v5, s16
	v_mul_lo_u32 v6, v6, s18
	s_delay_alu instid0(VALU_DEP_1) | instskip(NEXT) | instid1(VALU_DEP_1)
	v_sub_nc_u32_e32 v5, v5, v6
	v_cmp_lt_u32_e32 vcc_lo, s20, v5
	v_cmpx_ge_u32_e64 s20, v5
; %bb.79:
	v_add_nc_u32_e32 v5, s22, v10
	v_add_nc_u32_e32 v6, s38, v10
	s_delay_alu instid0(VALU_DEP_2) | instskip(NEXT) | instid1(VALU_DEP_2)
	v_mul_lo_u32 v5, v5, s21
	v_mul_lo_u32 v6, v6, s23
	s_delay_alu instid0(VALU_DEP_1) | instskip(NEXT) | instid1(VALU_DEP_1)
	v_sub_nc_u32_e32 v5, v5, v6
	v_cmp_lt_u32_e64 s0, s39, v5
	s_delay_alu instid0(VALU_DEP_1)
	s_and_b32 s3, s0, exec_lo
; %bb.80:
	s_or_b32 exec_lo, exec_lo, s5
	v_cndmask_b32_e64 v55, 0, 1, vcc_lo
	v_cndmask_b32_e64 v53, 0, 1, s3
.LBB45_81:
	s_or_b32 exec_lo, exec_lo, s1
	v_dual_mov_b32 v56, 0 :: v_dual_add_nc_u32 v5, 11, v33
	v_mov_b32_e32 v57, 0
	s_mov_b32 s3, 0
	s_mov_b32 s1, exec_lo
	s_delay_alu instid0(VALU_DEP_2)
	v_cmpx_gt_u32_e64 s4, v5
	s_cbranch_execz .LBB45_85
; %bb.82:
	v_add_nc_u32_e32 v5, s17, v11
	v_add_nc_u32_e32 v6, s19, v11
	s_mov_b32 s5, exec_lo
	s_delay_alu instid0(VALU_DEP_2) | instskip(NEXT) | instid1(VALU_DEP_2)
	v_mul_lo_u32 v5, v5, s16
	v_mul_lo_u32 v6, v6, s18
	s_delay_alu instid0(VALU_DEP_1) | instskip(NEXT) | instid1(VALU_DEP_1)
	v_sub_nc_u32_e32 v5, v5, v6
	v_cmp_lt_u32_e32 vcc_lo, s20, v5
	v_cmpx_ge_u32_e64 s20, v5
; %bb.83:
	v_add_nc_u32_e32 v5, s22, v11
	v_add_nc_u32_e32 v6, s38, v11
	s_delay_alu instid0(VALU_DEP_2) | instskip(NEXT) | instid1(VALU_DEP_2)
	v_mul_lo_u32 v5, v5, s21
	v_mul_lo_u32 v6, v6, s23
	s_delay_alu instid0(VALU_DEP_1) | instskip(NEXT) | instid1(VALU_DEP_1)
	v_sub_nc_u32_e32 v5, v5, v6
	v_cmp_lt_u32_e64 s0, s39, v5
	s_delay_alu instid0(VALU_DEP_1)
	s_and_b32 s3, s0, exec_lo
; %bb.84:
	s_or_b32 exec_lo, exec_lo, s5
	v_cndmask_b32_e64 v56, 0, 1, vcc_lo
	v_cndmask_b32_e64 v57, 0, 1, s3
.LBB45_85:
	s_or_b32 exec_lo, exec_lo, s1
	v_add_nc_u32_e32 v5, 12, v33
	s_mov_b32 s27, 0
	s_mov_b32 s33, 0
	s_mov_b32 s0, exec_lo
	s_delay_alu instid0(VALU_DEP_1)
	v_cmpx_gt_u32_e64 s4, v5
	s_cbranch_execz .LBB45_89
; %bb.86:
	v_add_nc_u32_e32 v5, s17, v32
	v_add_nc_u32_e32 v6, s19, v32
	s_mov_b32 s3, -1
	s_mov_b32 s5, 0
	s_mov_b32 s1, exec_lo
	v_mul_lo_u32 v5, v5, s16
	v_mul_lo_u32 v6, v6, s18
	s_delay_alu instid0(VALU_DEP_1) | instskip(NEXT) | instid1(VALU_DEP_1)
	v_sub_nc_u32_e32 v5, v5, v6
	v_cmpx_ge_u32_e64 s20, v5
; %bb.87:
	v_add_nc_u32_e32 v5, s22, v32
	v_add_nc_u32_e32 v6, s38, v32
	s_xor_b32 s3, exec_lo, -1
	s_delay_alu instid0(VALU_DEP_2) | instskip(NEXT) | instid1(VALU_DEP_2)
	v_mul_lo_u32 v5, v5, s21
	v_mul_lo_u32 v6, v6, s23
	s_delay_alu instid0(VALU_DEP_1) | instskip(NEXT) | instid1(VALU_DEP_1)
	v_sub_nc_u32_e32 v5, v5, v6
	v_cmp_lt_u32_e32 vcc_lo, s39, v5
	s_and_b32 s5, vcc_lo, exec_lo
; %bb.88:
	s_or_b32 exec_lo, exec_lo, s1
	s_delay_alu instid0(SALU_CYCLE_1)
	s_and_b32 s33, s5, exec_lo
	s_and_b32 s27, s3, exec_lo
.LBB45_89:
	s_or_b32 exec_lo, exec_lo, s0
.LBB45_90:
	v_and_b32_e32 v80, 0xff, v34
	v_and_b32_e32 v81, 0xff, v35
	;; [unrolled: 1-line block ×10, first 2 shown]
	v_add3_u32 v5, v76, v78, v80
	v_add3_u32 v6, v77, v79, v81
	v_and_b32_e32 v70, 0xff, v45
	v_and_b32_e32 v71, 0xff, v44
	v_and_b32_e32 v64, 0xff, v47
	v_and_b32_e32 v65, 0xff, v46
	v_add3_u32 v5, v5, v74, v72
	v_add3_u32 v6, v6, v75, v73
	v_and_b32_e32 v68, 0xff, v49
	v_and_b32_e32 v69, 0xff, v48
	v_and_b32_e32 v66, 0xff, v51
	v_and_b32_e32 v67, 0xff, v50
	;; [unrolled: 6-line block ×3, first 2 shown]
	v_add3_u32 v5, v5, v68, v66
	v_add3_u32 v6, v6, v69, v67
	v_mbcnt_lo_u32_b32 v82, -1, 0
	v_and_b32_e32 v58, 0xff, v56
	v_and_b32_e32 v59, 0xff, v57
	v_cndmask_b32_e64 v7, 0, 1, s33
	v_add3_u32 v5, v5, v61, v60
	v_cndmask_b32_e64 v8, 0, 1, s27
	v_add3_u32 v6, v6, v62, v63
	v_and_b32_e32 v86, 15, v82
	v_and_b32_e32 v85, 16, v82
	v_lshrrev_b32_e32 v83, 5, v0
	v_add3_u32 v87, v5, v58, v8
	v_add3_u32 v88, v6, v59, v7
	v_cmp_eq_u32_e64 s1, 0, v86
	v_cmp_lt_u32_e64 s0, 1, v86
	v_cmp_lt_u32_e64 s3, 3, v86
	v_cmp_lt_u32_e32 vcc_lo, 7, v86
	v_or_b32_e32 v84, 31, v0
	s_cmp_lg_u32 s26, 0
	s_mov_b32 s5, -1
	s_cbranch_scc0 .LBB45_118
; %bb.91:
	v_mov_b32_dpp v5, v88 row_shr:1 row_mask:0xf bank_mask:0xf
	v_mov_b32_dpp v6, v87 row_shr:1 row_mask:0xf bank_mask:0xf
	s_delay_alu instid0(VALU_DEP_2) | instskip(NEXT) | instid1(VALU_DEP_2)
	v_add_nc_u32_e32 v5, v5, v88
	v_add_nc_u32_e32 v6, v6, v87
	s_delay_alu instid0(VALU_DEP_2) | instskip(NEXT) | instid1(VALU_DEP_2)
	v_cndmask_b32_e64 v5, v5, v88, s1
	v_cndmask_b32_e64 v6, v6, v87, s1
	s_delay_alu instid0(VALU_DEP_2) | instskip(NEXT) | instid1(VALU_DEP_2)
	v_mov_b32_dpp v7, v5 row_shr:2 row_mask:0xf bank_mask:0xf
	v_mov_b32_dpp v8, v6 row_shr:2 row_mask:0xf bank_mask:0xf
	s_delay_alu instid0(VALU_DEP_2) | instskip(NEXT) | instid1(VALU_DEP_1)
	v_add_nc_u32_e32 v7, v5, v7
	v_cndmask_b32_e64 v5, v5, v7, s0
	s_delay_alu instid0(VALU_DEP_1) | instskip(NEXT) | instid1(VALU_DEP_1)
	v_mov_b32_dpp v7, v5 row_shr:4 row_mask:0xf bank_mask:0xf
	v_add_nc_u32_e32 v7, v5, v7
	s_delay_alu instid0(VALU_DEP_1) | instskip(NEXT) | instid1(VALU_DEP_1)
	v_cndmask_b32_e64 v5, v5, v7, s3
	v_mov_b32_dpp v7, v5 row_shr:8 row_mask:0xf bank_mask:0xf
	s_delay_alu instid0(VALU_DEP_1) | instskip(NEXT) | instid1(VALU_DEP_1)
	v_add_nc_u32_e32 v7, v5, v7
	v_dual_cndmask_b32 v5, v5, v7 :: v_dual_add_nc_u32 v8, v6, v8
	s_delay_alu instid0(VALU_DEP_1) | instskip(NEXT) | instid1(VALU_DEP_1)
	v_cndmask_b32_e64 v6, v6, v8, s0
	v_mov_b32_dpp v8, v6 row_shr:4 row_mask:0xf bank_mask:0xf
	s_delay_alu instid0(VALU_DEP_1) | instskip(NEXT) | instid1(VALU_DEP_1)
	v_add_nc_u32_e32 v8, v6, v8
	v_cndmask_b32_e64 v6, v6, v8, s3
	s_mov_b32 s3, exec_lo
	s_delay_alu instid0(VALU_DEP_1) | instskip(NEXT) | instid1(VALU_DEP_1)
	v_mov_b32_dpp v8, v6 row_shr:8 row_mask:0xf bank_mask:0xf
	v_add_nc_u32_e32 v8, v6, v8
	s_delay_alu instid0(VALU_DEP_1)
	v_cndmask_b32_e32 v7, v6, v8, vcc_lo
	ds_swizzle_b32 v6, v5 offset:swizzle(BROADCAST,32,15)
	v_cmp_eq_u32_e32 vcc_lo, 0, v85
	s_waitcnt lgkmcnt(0)
	v_add_nc_u32_e32 v6, v5, v6
	ds_swizzle_b32 v8, v7 offset:swizzle(BROADCAST,32,15)
	v_cndmask_b32_e32 v6, v6, v5, vcc_lo
	s_waitcnt lgkmcnt(0)
	v_add_nc_u32_e32 v8, v7, v8
	s_delay_alu instid0(VALU_DEP_1)
	v_cndmask_b32_e32 v5, v8, v7, vcc_lo
	v_cmpx_eq_u32_e64 v84, v0
	s_cbranch_execz .LBB45_93
; %bb.92:
	v_lshlrev_b32_e32 v7, 3, v83
	ds_store_b64 v7, v[5:6]
.LBB45_93:
	s_or_b32 exec_lo, exec_lo, s3
	s_delay_alu instid0(SALU_CYCLE_1)
	s_mov_b32 s3, exec_lo
	s_waitcnt lgkmcnt(0)
	s_barrier
	buffer_gl0_inv
	v_cmpx_gt_u32_e32 8, v0
	s_cbranch_execz .LBB45_95
; %bb.94:
	v_lshlrev_b32_e32 v9, 3, v0
	ds_load_b64 v[7:8], v9
	s_waitcnt lgkmcnt(0)
	v_mov_b32_dpp v22, v7 row_shr:1 row_mask:0xf bank_mask:0xf
	v_mov_b32_dpp v23, v8 row_shr:1 row_mask:0xf bank_mask:0xf
	s_delay_alu instid0(VALU_DEP_2) | instskip(SKIP_1) | instid1(VALU_DEP_3)
	v_add_nc_u32_e32 v22, v22, v7
	v_and_b32_e32 v24, 7, v82
	v_add_nc_u32_e32 v23, v23, v8
	s_delay_alu instid0(VALU_DEP_2) | instskip(NEXT) | instid1(VALU_DEP_2)
	v_cmp_eq_u32_e32 vcc_lo, 0, v24
	v_dual_cndmask_b32 v8, v23, v8 :: v_dual_cndmask_b32 v7, v22, v7
	v_cmp_lt_u32_e32 vcc_lo, 1, v24
	s_delay_alu instid0(VALU_DEP_2) | instskip(NEXT) | instid1(VALU_DEP_3)
	v_mov_b32_dpp v23, v8 row_shr:2 row_mask:0xf bank_mask:0xf
	v_mov_b32_dpp v22, v7 row_shr:2 row_mask:0xf bank_mask:0xf
	s_delay_alu instid0(VALU_DEP_2) | instskip(NEXT) | instid1(VALU_DEP_2)
	v_add_nc_u32_e32 v23, v8, v23
	v_add_nc_u32_e32 v22, v7, v22
	s_delay_alu instid0(VALU_DEP_1) | instskip(SKIP_1) | instid1(VALU_DEP_2)
	v_dual_cndmask_b32 v8, v8, v23 :: v_dual_cndmask_b32 v7, v7, v22
	v_cmp_lt_u32_e32 vcc_lo, 3, v24
	v_mov_b32_dpp v23, v8 row_shr:4 row_mask:0xf bank_mask:0xf
	s_delay_alu instid0(VALU_DEP_3) | instskip(NEXT) | instid1(VALU_DEP_1)
	v_mov_b32_dpp v22, v7 row_shr:4 row_mask:0xf bank_mask:0xf
	v_dual_cndmask_b32 v23, 0, v23 :: v_dual_cndmask_b32 v22, 0, v22
	s_delay_alu instid0(VALU_DEP_1) | instskip(NEXT) | instid1(VALU_DEP_2)
	v_add_nc_u32_e32 v8, v23, v8
	v_add_nc_u32_e32 v7, v22, v7
	ds_store_b64 v9, v[7:8]
.LBB45_95:
	s_or_b32 exec_lo, exec_lo, s3
	v_cmp_gt_u32_e32 vcc_lo, 32, v0
	v_cmp_lt_u32_e64 s3, 31, v0
	s_waitcnt lgkmcnt(0)
	s_barrier
	buffer_gl0_inv
                                        ; implicit-def: $vgpr23
	s_and_saveexec_b32 s5, s3
	s_delay_alu instid0(SALU_CYCLE_1)
	s_xor_b32 s3, exec_lo, s5
	s_cbranch_execz .LBB45_97
; %bb.96:
	v_lshl_add_u32 v7, v83, 3, -8
	ds_load_b64 v[22:23], v7
	s_waitcnt lgkmcnt(0)
	v_add_nc_u32_e32 v6, v23, v6
	v_add_nc_u32_e32 v5, v22, v5
.LBB45_97:
	s_and_not1_saveexec_b32 s3, s3
; %bb.98:
                                        ; implicit-def: $vgpr22
; %bb.99:
	s_delay_alu instid0(SALU_CYCLE_1) | instskip(SKIP_1) | instid1(VALU_DEP_1)
	s_or_b32 exec_lo, exec_lo, s3
	v_add_nc_u32_e32 v7, -1, v82
	v_cmp_gt_i32_e64 s3, 0, v7
	s_delay_alu instid0(VALU_DEP_1) | instskip(SKIP_1) | instid1(VALU_DEP_2)
	v_cndmask_b32_e64 v7, v7, v82, s3
	v_cmp_eq_u32_e64 s3, 0, v82
	v_lshlrev_b32_e32 v7, 2, v7
	ds_bpermute_b32 v89, v7, v5
	ds_bpermute_b32 v90, v7, v6
	s_and_saveexec_b32 s5, vcc_lo
	s_cbranch_execz .LBB45_117
; %bb.100:
	v_mov_b32_e32 v8, 0
	ds_load_b64 v[5:6], v8 offset:56
	s_waitcnt lgkmcnt(0)
	v_readfirstlane_b32 s6, v6
	s_and_saveexec_b32 s7, s3
	s_cbranch_execz .LBB45_102
; %bb.101:
	s_add_i32 s8, s26, 32
	s_mov_b32 s9, 0
	v_mov_b32_e32 v7, 1
	s_lshl_b64 s[10:11], s[8:9], 4
	s_mov_b32 s16, s9
	s_add_u32 s10, s36, s10
	s_addc_u32 s11, s37, s11
	s_and_b32 s17, s6, 0xff000000
	s_and_b32 s19, s6, 0xff0000
	s_mov_b32 s18, s9
	v_dual_mov_b32 v25, s11 :: v_dual_mov_b32 v24, s10
	s_or_b64 s[16:17], s[18:19], s[16:17]
	s_and_b32 s19, s6, 0xff00
	s_delay_alu instid0(SALU_CYCLE_1) | instskip(SKIP_1) | instid1(SALU_CYCLE_1)
	s_or_b64 s[16:17], s[16:17], s[18:19]
	s_and_b32 s19, s6, 0xff
	s_or_b64 s[8:9], s[16:17], s[18:19]
	s_delay_alu instid0(SALU_CYCLE_1)
	v_mov_b32_e32 v6, s9
	;;#ASMSTART
	global_store_dwordx4 v[24:25], v[5:8] off	
s_waitcnt vmcnt(0)
	;;#ASMEND
.LBB45_102:
	s_or_b32 exec_lo, exec_lo, s7
	v_xad_u32 v24, v82, -1, s26
	s_mov_b32 s8, 0
	s_mov_b32 s7, exec_lo
	s_delay_alu instid0(VALU_DEP_1) | instskip(NEXT) | instid1(VALU_DEP_1)
	v_add_nc_u32_e32 v7, 32, v24
	v_lshlrev_b64 v[6:7], 4, v[7:8]
	s_delay_alu instid0(VALU_DEP_1) | instskip(NEXT) | instid1(VALU_DEP_2)
	v_add_co_u32 v25, vcc_lo, s36, v6
	v_add_co_ci_u32_e32 v26, vcc_lo, s37, v7, vcc_lo
	;;#ASMSTART
	global_load_dwordx4 v[6:9], v[25:26] off glc	
s_waitcnt vmcnt(0)
	;;#ASMEND
	v_and_b32_e32 v9, 0xff, v7
	v_and_b32_e32 v27, 0xff00, v7
	v_or3_b32 v6, v6, 0, 0
	v_and_b32_e32 v28, 0xff000000, v7
	v_and_b32_e32 v7, 0xff0000, v7
	s_delay_alu instid0(VALU_DEP_4) | instskip(SKIP_2) | instid1(VALU_DEP_3)
	v_or3_b32 v9, 0, v9, v27
	v_and_b32_e32 v27, 0xff, v8
	v_or3_b32 v6, v6, 0, 0
	v_or3_b32 v7, v9, v7, v28
	s_delay_alu instid0(VALU_DEP_3)
	v_cmpx_eq_u16_e32 0, v27
	s_cbranch_execz .LBB45_105
.LBB45_103:                             ; =>This Inner Loop Header: Depth=1
	;;#ASMSTART
	global_load_dwordx4 v[6:9], v[25:26] off glc	
s_waitcnt vmcnt(0)
	;;#ASMEND
	v_and_b32_e32 v9, 0xff, v8
	s_delay_alu instid0(VALU_DEP_1) | instskip(SKIP_1) | instid1(SALU_CYCLE_1)
	v_cmp_ne_u16_e32 vcc_lo, 0, v9
	s_or_b32 s8, vcc_lo, s8
	s_and_not1_b32 exec_lo, exec_lo, s8
	s_cbranch_execnz .LBB45_103
; %bb.104:
	s_or_b32 exec_lo, exec_lo, s8
.LBB45_105:
	s_delay_alu instid0(SALU_CYCLE_1) | instskip(SKIP_3) | instid1(VALU_DEP_1)
	s_or_b32 exec_lo, exec_lo, s7
	v_cmp_ne_u32_e32 vcc_lo, 31, v82
	v_lshlrev_b32_e64 v92, v82, -1
	v_add_co_ci_u32_e32 v9, vcc_lo, 0, v82, vcc_lo
	v_lshlrev_b32_e32 v91, 2, v9
	ds_bpermute_b32 v25, v91, v7
	ds_bpermute_b32 v9, v91, v6
	s_waitcnt lgkmcnt(1)
	v_add_nc_u32_e32 v25, v25, v7
	v_and_b32_e32 v26, 0xff, v8
	s_waitcnt lgkmcnt(0)
	v_add_nc_u32_e32 v9, v9, v6
	s_delay_alu instid0(VALU_DEP_2) | instskip(SKIP_2) | instid1(VALU_DEP_2)
	v_cmp_eq_u16_e32 vcc_lo, 2, v26
	v_and_or_b32 v26, vcc_lo, v92, 0x80000000
	v_cmp_gt_u32_e32 vcc_lo, 30, v82
	v_ctz_i32_b32_e32 v26, v26
	v_cndmask_b32_e64 v27, 0, 1, vcc_lo
	s_delay_alu instid0(VALU_DEP_2) | instskip(NEXT) | instid1(VALU_DEP_2)
	v_cmp_lt_u32_e32 vcc_lo, v82, v26
	v_dual_cndmask_b32 v6, v6, v9 :: v_dual_lshlrev_b32 v27, 1, v27
	s_delay_alu instid0(VALU_DEP_1)
	v_add_lshl_u32 v93, v27, v82, 2
	v_cndmask_b32_e32 v7, v7, v25, vcc_lo
	v_cmp_gt_u32_e32 vcc_lo, 28, v82
	ds_bpermute_b32 v9, v93, v6
	ds_bpermute_b32 v25, v93, v7
	v_cndmask_b32_e64 v27, 0, 1, vcc_lo
	s_waitcnt lgkmcnt(1)
	v_add_nc_u32_e32 v9, v6, v9
	s_waitcnt lgkmcnt(0)
	v_add_nc_u32_e32 v25, v7, v25
	v_add_nc_u32_e32 v94, 2, v82
	s_delay_alu instid0(VALU_DEP_1) | instskip(NEXT) | instid1(VALU_DEP_3)
	v_cmp_gt_u32_e32 vcc_lo, v94, v26
	v_cndmask_b32_e32 v7, v25, v7, vcc_lo
	v_dual_cndmask_b32 v6, v9, v6 :: v_dual_lshlrev_b32 v27, 2, v27
	v_cmp_gt_u32_e32 vcc_lo, 24, v82
	s_delay_alu instid0(VALU_DEP_2) | instskip(SKIP_4) | instid1(VALU_DEP_1)
	v_add_lshl_u32 v95, v27, v82, 2
	v_cndmask_b32_e64 v27, 0, 1, vcc_lo
	ds_bpermute_b32 v25, v95, v7
	ds_bpermute_b32 v9, v95, v6
	v_lshlrev_b32_e32 v27, 3, v27
	v_add_lshl_u32 v97, v27, v82, 2
	s_waitcnt lgkmcnt(1)
	v_add_nc_u32_e32 v25, v7, v25
	v_add_nc_u32_e32 v96, 4, v82
	s_waitcnt lgkmcnt(0)
	v_add_nc_u32_e32 v9, v6, v9
	s_delay_alu instid0(VALU_DEP_2) | instskip(SKIP_1) | instid1(VALU_DEP_3)
	v_cmp_gt_u32_e32 vcc_lo, v96, v26
	v_cndmask_b32_e32 v7, v25, v7, vcc_lo
	v_cndmask_b32_e32 v6, v9, v6, vcc_lo
	v_cmp_gt_u32_e32 vcc_lo, 16, v82
	ds_bpermute_b32 v25, v97, v7
	ds_bpermute_b32 v9, v97, v6
	v_cndmask_b32_e64 v27, 0, 1, vcc_lo
	s_delay_alu instid0(VALU_DEP_1) | instskip(NEXT) | instid1(VALU_DEP_1)
	v_lshlrev_b32_e32 v27, 4, v27
	v_add_lshl_u32 v99, v27, v82, 2
	s_waitcnt lgkmcnt(1)
	v_add_nc_u32_e32 v25, v7, v25
	v_add_nc_u32_e32 v98, 8, v82
	s_waitcnt lgkmcnt(0)
	v_add_nc_u32_e32 v9, v6, v9
	s_delay_alu instid0(VALU_DEP_2) | instskip(SKIP_1) | instid1(VALU_DEP_3)
	v_cmp_gt_u32_e32 vcc_lo, v98, v26
	v_cndmask_b32_e32 v7, v25, v7, vcc_lo
	v_cndmask_b32_e32 v6, v9, v6, vcc_lo
	ds_bpermute_b32 v25, v99, v7
	ds_bpermute_b32 v9, v99, v6
	v_add_nc_u32_e32 v100, 16, v82
	s_delay_alu instid0(VALU_DEP_1) | instskip(SKIP_2) | instid1(VALU_DEP_1)
	v_cmp_le_u32_e32 vcc_lo, v100, v26
	s_waitcnt lgkmcnt(0)
	v_cndmask_b32_e32 v9, 0, v9, vcc_lo
	v_dual_cndmask_b32 v25, 0, v25 :: v_dual_add_nc_u32 v6, v9, v6
	s_delay_alu instid0(VALU_DEP_1)
	v_add_nc_u32_e32 v7, v25, v7
	v_mov_b32_e32 v25, 0
	s_branch .LBB45_107
.LBB45_106:                             ;   in Loop: Header=BB45_107 Depth=1
	s_or_b32 exec_lo, exec_lo, s7
	ds_bpermute_b32 v9, v91, v6
	ds_bpermute_b32 v28, v91, v7
	v_subrev_nc_u32_e32 v24, 32, v24
	s_waitcnt lgkmcnt(1)
	v_add_nc_u32_e32 v9, v9, v6
	v_and_b32_e32 v29, 0xff, v8
	s_waitcnt lgkmcnt(0)
	v_add_nc_u32_e32 v28, v28, v7
	s_delay_alu instid0(VALU_DEP_2) | instskip(SKIP_1) | instid1(VALU_DEP_1)
	v_cmp_eq_u16_e32 vcc_lo, 2, v29
	v_and_or_b32 v29, vcc_lo, v92, 0x80000000
	v_ctz_i32_b32_e32 v29, v29
	s_delay_alu instid0(VALU_DEP_1)
	v_cmp_lt_u32_e32 vcc_lo, v82, v29
	v_cndmask_b32_e32 v6, v6, v9, vcc_lo
	ds_bpermute_b32 v9, v93, v6
	s_waitcnt lgkmcnt(0)
	v_add_nc_u32_e32 v9, v6, v9
	v_cndmask_b32_e32 v7, v7, v28, vcc_lo
	v_cmp_gt_u32_e32 vcc_lo, v94, v29
	s_delay_alu instid0(VALU_DEP_3)
	v_cndmask_b32_e32 v6, v9, v6, vcc_lo
	ds_bpermute_b32 v28, v93, v7
	ds_bpermute_b32 v9, v95, v6
	s_waitcnt lgkmcnt(1)
	v_add_nc_u32_e32 v28, v7, v28
	s_waitcnt lgkmcnt(0)
	v_add_nc_u32_e32 v9, v6, v9
	s_delay_alu instid0(VALU_DEP_2) | instskip(SKIP_1) | instid1(VALU_DEP_3)
	v_cndmask_b32_e32 v7, v28, v7, vcc_lo
	v_cmp_gt_u32_e32 vcc_lo, v96, v29
	v_cndmask_b32_e32 v6, v9, v6, vcc_lo
	ds_bpermute_b32 v28, v95, v7
	ds_bpermute_b32 v9, v97, v6
	s_waitcnt lgkmcnt(1)
	v_add_nc_u32_e32 v28, v7, v28
	s_waitcnt lgkmcnt(0)
	v_add_nc_u32_e32 v9, v6, v9
	s_delay_alu instid0(VALU_DEP_2) | instskip(SKIP_1) | instid1(VALU_DEP_3)
	v_cndmask_b32_e32 v7, v28, v7, vcc_lo
	v_cmp_gt_u32_e32 vcc_lo, v98, v29
	v_cndmask_b32_e32 v6, v9, v6, vcc_lo
	ds_bpermute_b32 v28, v97, v7
	ds_bpermute_b32 v9, v99, v6
	s_waitcnt lgkmcnt(1)
	v_add_nc_u32_e32 v28, v7, v28
	s_delay_alu instid0(VALU_DEP_1) | instskip(SKIP_4) | instid1(VALU_DEP_1)
	v_cndmask_b32_e32 v7, v28, v7, vcc_lo
	v_cmp_le_u32_e32 vcc_lo, v100, v29
	ds_bpermute_b32 v28, v99, v7
	s_waitcnt lgkmcnt(1)
	v_cndmask_b32_e32 v9, 0, v9, vcc_lo
	v_add3_u32 v6, v6, v26, v9
	s_waitcnt lgkmcnt(0)
	v_cndmask_b32_e32 v28, 0, v28, vcc_lo
	s_delay_alu instid0(VALU_DEP_1)
	v_add3_u32 v7, v7, v27, v28
.LBB45_107:                             ; =>This Loop Header: Depth=1
                                        ;     Child Loop BB45_110 Depth 2
	s_delay_alu instid0(VALU_DEP_1) | instskip(SKIP_1) | instid1(VALU_DEP_2)
	v_dual_mov_b32 v27, v7 :: v_dual_and_b32 v8, 0xff, v8
	v_mov_b32_e32 v26, v6
	v_cmp_ne_u16_e32 vcc_lo, 2, v8
	v_cndmask_b32_e64 v8, 0, 1, vcc_lo
	;;#ASMSTART
	;;#ASMEND
	s_delay_alu instid0(VALU_DEP_1)
	v_cmp_ne_u32_e32 vcc_lo, 0, v8
	s_cmp_lg_u32 vcc_lo, exec_lo
	s_cbranch_scc1 .LBB45_112
; %bb.108:                              ;   in Loop: Header=BB45_107 Depth=1
	v_lshlrev_b64 v[6:7], 4, v[24:25]
	s_mov_b32 s7, exec_lo
	s_delay_alu instid0(VALU_DEP_1) | instskip(NEXT) | instid1(VALU_DEP_2)
	v_add_co_u32 v28, vcc_lo, s36, v6
	v_add_co_ci_u32_e32 v29, vcc_lo, s37, v7, vcc_lo
	;;#ASMSTART
	global_load_dwordx4 v[6:9], v[28:29] off glc	
s_waitcnt vmcnt(0)
	;;#ASMEND
	v_and_b32_e32 v9, 0xff, v7
	v_and_b32_e32 v101, 0xff00, v7
	v_or3_b32 v6, v6, 0, 0
	v_and_b32_e32 v102, 0xff000000, v7
	v_and_b32_e32 v7, 0xff0000, v7
	s_delay_alu instid0(VALU_DEP_4) | instskip(SKIP_2) | instid1(VALU_DEP_3)
	v_or3_b32 v9, 0, v9, v101
	v_and_b32_e32 v101, 0xff, v8
	v_or3_b32 v6, v6, 0, 0
	v_or3_b32 v7, v9, v7, v102
	s_delay_alu instid0(VALU_DEP_3)
	v_cmpx_eq_u16_e32 0, v101
	s_cbranch_execz .LBB45_106
; %bb.109:                              ;   in Loop: Header=BB45_107 Depth=1
	s_mov_b32 s8, 0
.LBB45_110:                             ;   Parent Loop BB45_107 Depth=1
                                        ; =>  This Inner Loop Header: Depth=2
	;;#ASMSTART
	global_load_dwordx4 v[6:9], v[28:29] off glc	
s_waitcnt vmcnt(0)
	;;#ASMEND
	v_and_b32_e32 v9, 0xff, v8
	s_delay_alu instid0(VALU_DEP_1) | instskip(SKIP_1) | instid1(SALU_CYCLE_1)
	v_cmp_ne_u16_e32 vcc_lo, 0, v9
	s_or_b32 s8, vcc_lo, s8
	s_and_not1_b32 exec_lo, exec_lo, s8
	s_cbranch_execnz .LBB45_110
; %bb.111:                              ;   in Loop: Header=BB45_107 Depth=1
	s_or_b32 exec_lo, exec_lo, s8
	s_branch .LBB45_106
.LBB45_112:                             ;   in Loop: Header=BB45_107 Depth=1
                                        ; implicit-def: $vgpr8
                                        ; implicit-def: $vgpr6_vgpr7
	s_cbranch_execz .LBB45_107
; %bb.113:
	s_and_saveexec_b32 s7, s3
	s_cbranch_execnz .LBB45_356
; %bb.114:
	s_or_b32 exec_lo, exec_lo, s7
	s_and_saveexec_b32 s7, s3
	s_cbranch_execnz .LBB45_357
.LBB45_115:
	s_or_b32 exec_lo, exec_lo, s7
	s_delay_alu instid0(SALU_CYCLE_1)
	s_and_b32 exec_lo, exec_lo, s2
	s_cbranch_execz .LBB45_117
.LBB45_116:
	v_mov_b32_e32 v5, 0
	ds_store_b64 v5, v[26:27] offset:56
.LBB45_117:
	s_or_b32 exec_lo, exec_lo, s5
	s_waitcnt lgkmcnt(1)
	v_cndmask_b32_e64 v22, v89, v22, s3
	v_mov_b32_e32 v5, 0
	s_waitcnt lgkmcnt(0)
	s_barrier
	buffer_gl0_inv
	v_add_nc_u32_e64 v7, 0x3400, 0
	ds_load_b64 v[24:25], v5 offset:56
	s_waitcnt lgkmcnt(0)
	s_barrier
	buffer_gl0_inv
	ds_load_2addr_b32 v[5:6], v7 offset1:2
	ds_load_2addr_b32 v[7:8], v7 offset0:4 offset1:6
	v_cndmask_b32_e64 v9, v90, v23, s3
	v_add_nc_u32_e32 v22, v24, v22
	s_delay_alu instid0(VALU_DEP_2) | instskip(NEXT) | instid1(VALU_DEP_2)
	v_add_nc_u32_e32 v9, v25, v9
	v_cndmask_b32_e64 v22, v22, v24, s2
	s_delay_alu instid0(VALU_DEP_2)
	v_cndmask_b32_e64 v9, v9, v25, s2
	s_branch .LBB45_128
.LBB45_118:
                                        ; implicit-def: $vgpr9
                                        ; implicit-def: $vgpr7
                                        ; implicit-def: $vgpr5
                                        ; implicit-def: $vgpr22_vgpr23
	s_and_b32 vcc_lo, exec_lo, s5
	s_cbranch_vccz .LBB45_128
; %bb.119:
	s_waitcnt lgkmcnt(1)
	v_mov_b32_dpp v6, v88 row_shr:1 row_mask:0xf bank_mask:0xf
	v_cmp_lt_u32_e32 vcc_lo, 3, v86
	v_mov_b32_dpp v5, v87 row_shr:1 row_mask:0xf bank_mask:0xf
	s_delay_alu instid0(VALU_DEP_3) | instskip(NEXT) | instid1(VALU_DEP_1)
	v_add_nc_u32_e32 v6, v6, v88
	v_cndmask_b32_e64 v6, v6, v88, s1
	s_waitcnt lgkmcnt(0)
	s_delay_alu instid0(VALU_DEP_1) | instskip(NEXT) | instid1(VALU_DEP_1)
	v_mov_b32_dpp v8, v6 row_shr:2 row_mask:0xf bank_mask:0xf
	v_add_nc_u32_e32 v8, v6, v8
	s_delay_alu instid0(VALU_DEP_1) | instskip(NEXT) | instid1(VALU_DEP_1)
	v_cndmask_b32_e64 v6, v6, v8, s0
	v_mov_b32_dpp v8, v6 row_shr:4 row_mask:0xf bank_mask:0xf
	s_delay_alu instid0(VALU_DEP_1) | instskip(NEXT) | instid1(VALU_DEP_1)
	v_add_nc_u32_e32 v8, v6, v8
	v_dual_cndmask_b32 v6, v6, v8 :: v_dual_add_nc_u32 v5, v5, v87
	s_delay_alu instid0(VALU_DEP_1) | instskip(NEXT) | instid1(VALU_DEP_2)
	v_cndmask_b32_e64 v5, v5, v87, s1
	v_mov_b32_dpp v8, v6 row_shr:8 row_mask:0xf bank_mask:0xf
	s_delay_alu instid0(VALU_DEP_2) | instskip(NEXT) | instid1(VALU_DEP_2)
	v_mov_b32_dpp v7, v5 row_shr:2 row_mask:0xf bank_mask:0xf
	v_add_nc_u32_e32 v8, v6, v8
	s_delay_alu instid0(VALU_DEP_2) | instskip(NEXT) | instid1(VALU_DEP_1)
	v_add_nc_u32_e32 v7, v5, v7
	v_cndmask_b32_e64 v5, v5, v7, s0
	s_mov_b32 s0, exec_lo
	s_delay_alu instid0(VALU_DEP_1) | instskip(NEXT) | instid1(VALU_DEP_1)
	v_mov_b32_dpp v7, v5 row_shr:4 row_mask:0xf bank_mask:0xf
	v_add_nc_u32_e32 v7, v5, v7
	s_delay_alu instid0(VALU_DEP_1) | instskip(SKIP_1) | instid1(VALU_DEP_2)
	v_cndmask_b32_e32 v5, v5, v7, vcc_lo
	v_cmp_lt_u32_e32 vcc_lo, 7, v86
	v_mov_b32_dpp v7, v5 row_shr:8 row_mask:0xf bank_mask:0xf
	s_delay_alu instid0(VALU_DEP_1) | instskip(NEXT) | instid1(VALU_DEP_1)
	v_dual_cndmask_b32 v6, v6, v8 :: v_dual_add_nc_u32 v7, v5, v7
	v_cndmask_b32_e32 v5, v5, v7, vcc_lo
	ds_swizzle_b32 v7, v6 offset:swizzle(BROADCAST,32,15)
	v_cmp_eq_u32_e32 vcc_lo, 0, v85
	ds_swizzle_b32 v8, v5 offset:swizzle(BROADCAST,32,15)
	s_waitcnt lgkmcnt(1)
	v_add_nc_u32_e32 v7, v6, v7
	s_waitcnt lgkmcnt(0)
	v_add_nc_u32_e32 v8, v5, v8
	s_delay_alu instid0(VALU_DEP_1)
	v_dual_cndmask_b32 v6, v7, v6 :: v_dual_cndmask_b32 v5, v8, v5
	v_cmpx_eq_u32_e64 v84, v0
	s_cbranch_execz .LBB45_121
; %bb.120:
	v_lshlrev_b32_e32 v7, 3, v83
	ds_store_b64 v7, v[5:6]
.LBB45_121:
	s_or_b32 exec_lo, exec_lo, s0
	s_delay_alu instid0(SALU_CYCLE_1)
	s_mov_b32 s0, exec_lo
	s_waitcnt lgkmcnt(0)
	s_barrier
	buffer_gl0_inv
	v_cmpx_gt_u32_e32 8, v0
	s_cbranch_execz .LBB45_123
; %bb.122:
	v_lshlrev_b32_e32 v9, 3, v0
	ds_load_b64 v[7:8], v9
	s_waitcnt lgkmcnt(0)
	v_mov_b32_dpp v22, v7 row_shr:1 row_mask:0xf bank_mask:0xf
	v_mov_b32_dpp v23, v8 row_shr:1 row_mask:0xf bank_mask:0xf
	s_delay_alu instid0(VALU_DEP_2) | instskip(SKIP_1) | instid1(VALU_DEP_3)
	v_add_nc_u32_e32 v22, v22, v7
	v_and_b32_e32 v24, 7, v82
	v_add_nc_u32_e32 v23, v23, v8
	s_delay_alu instid0(VALU_DEP_2) | instskip(NEXT) | instid1(VALU_DEP_2)
	v_cmp_eq_u32_e32 vcc_lo, 0, v24
	v_dual_cndmask_b32 v8, v23, v8 :: v_dual_cndmask_b32 v7, v22, v7
	v_cmp_lt_u32_e32 vcc_lo, 1, v24
	s_delay_alu instid0(VALU_DEP_2) | instskip(NEXT) | instid1(VALU_DEP_3)
	v_mov_b32_dpp v23, v8 row_shr:2 row_mask:0xf bank_mask:0xf
	v_mov_b32_dpp v22, v7 row_shr:2 row_mask:0xf bank_mask:0xf
	s_delay_alu instid0(VALU_DEP_2) | instskip(NEXT) | instid1(VALU_DEP_2)
	v_add_nc_u32_e32 v23, v8, v23
	v_add_nc_u32_e32 v22, v7, v22
	s_delay_alu instid0(VALU_DEP_1) | instskip(SKIP_1) | instid1(VALU_DEP_2)
	v_dual_cndmask_b32 v8, v8, v23 :: v_dual_cndmask_b32 v7, v7, v22
	v_cmp_lt_u32_e32 vcc_lo, 3, v24
	v_mov_b32_dpp v23, v8 row_shr:4 row_mask:0xf bank_mask:0xf
	s_delay_alu instid0(VALU_DEP_3) | instskip(NEXT) | instid1(VALU_DEP_1)
	v_mov_b32_dpp v22, v7 row_shr:4 row_mask:0xf bank_mask:0xf
	v_dual_cndmask_b32 v23, 0, v23 :: v_dual_cndmask_b32 v22, 0, v22
	s_delay_alu instid0(VALU_DEP_1) | instskip(NEXT) | instid1(VALU_DEP_2)
	v_add_nc_u32_e32 v8, v23, v8
	v_add_nc_u32_e32 v7, v22, v7
	ds_store_b64 v9, v[7:8]
.LBB45_123:
	s_or_b32 exec_lo, exec_lo, s0
	v_dual_mov_b32 v7, 0 :: v_dual_mov_b32 v22, 0
	v_mov_b32_e32 v23, 0
	s_mov_b32 s0, exec_lo
	s_waitcnt lgkmcnt(0)
	s_barrier
	buffer_gl0_inv
	v_cmpx_lt_u32_e32 31, v0
	s_cbranch_execz .LBB45_125
; %bb.124:
	v_lshl_add_u32 v8, v83, 3, -8
	ds_load_b64 v[22:23], v8
.LBB45_125:
	s_or_b32 exec_lo, exec_lo, s0
	v_add_nc_u32_e32 v8, -1, v82
	s_waitcnt lgkmcnt(0)
	v_add_nc_u32_e32 v24, v23, v6
	v_add_nc_u32_e32 v9, v22, v5
	ds_load_b64 v[5:6], v7 offset:56
	v_cmp_gt_i32_e32 vcc_lo, 0, v8
	v_cndmask_b32_e32 v8, v8, v82, vcc_lo
	s_delay_alu instid0(VALU_DEP_1)
	v_lshlrev_b32_e32 v8, 2, v8
	ds_bpermute_b32 v9, v8, v9
	ds_bpermute_b32 v24, v8, v24
	s_waitcnt lgkmcnt(2)
	v_readfirstlane_b32 s0, v6
	s_and_saveexec_b32 s1, s2
	s_cbranch_execz .LBB45_127
; %bb.126:
	s_mov_b32 s8, 0
	s_add_u32 s6, s36, 0x200
	s_addc_u32 s7, s37, 0
	s_and_b32 s9, s0, 0xff000000
	s_and_b32 s11, s0, 0xff0000
	s_mov_b32 s10, s8
	v_mov_b32_e32 v26, s7
	s_or_b64 s[10:11], s[10:11], s[8:9]
	s_and_b32 s9, s0, 0xff00
	v_dual_mov_b32 v8, 0 :: v_dual_mov_b32 v25, s6
	s_or_b64 s[10:11], s[10:11], s[8:9]
	s_and_b32 s9, s0, 0xff
	v_mov_b32_e32 v7, 2
	s_or_b64 s[8:9], s[10:11], s[8:9]
	s_delay_alu instid0(SALU_CYCLE_1)
	v_mov_b32_e32 v6, s9
	;;#ASMSTART
	global_store_dwordx4 v[25:26], v[5:8] off	
s_waitcnt vmcnt(0)
	;;#ASMEND
.LBB45_127:
	s_or_b32 exec_lo, exec_lo, s1
	v_cmp_eq_u32_e32 vcc_lo, 0, v82
	v_dual_mov_b32 v7, 0 :: v_dual_mov_b32 v6, s0
	s_waitcnt lgkmcnt(0)
	s_barrier
	v_dual_cndmask_b32 v8, v9, v22 :: v_dual_cndmask_b32 v9, v24, v23
	buffer_gl0_inv
	v_cndmask_b32_e64 v22, v8, 0, s2
	v_cndmask_b32_e64 v9, v9, 0, s2
	v_mov_b32_e32 v8, 0
.LBB45_128:
	s_delay_alu instid0(VALU_DEP_1) | instskip(SKIP_1) | instid1(VALU_DEP_2)
	v_add_nc_u32_e32 v24, v9, v81
	s_waitcnt lgkmcnt(0)
	v_sub_nc_u32_e32 v9, v9, v8
	v_add_co_u32 v1, vcc_lo, v1, v7
	v_and_b32_e32 v35, 1, v35
	v_add_nc_u32_e32 v26, v24, v77
	v_sub_nc_u32_e32 v24, v24, v8
	v_lshlrev_b32_e32 v77, 1, v5
	v_add_nc_u32_e32 v9, v9, v5
	v_add_co_ci_u32_e32 v2, vcc_lo, 0, v2, vcc_lo
	v_add_nc_u32_e32 v28, v26, v79
	s_delay_alu instid0(VALU_DEP_4)
	v_add3_u32 v33, v77, v6, v33
	v_and_b32_e32 v40, 1, v40
	v_and_b32_e32 v37, 1, v37
	;; [unrolled: 1-line block ×3, first 2 shown]
	v_add_nc_u32_e32 v29, v28, v75
	v_sub_nc_u32_e32 v28, v28, v8
	v_sub_co_u32 v75, vcc_lo, v3, v5
	s_add_u32 s1, s14, -4
	s_delay_alu instid0(VALU_DEP_3) | instskip(SKIP_4) | instid1(VALU_DEP_3)
	v_add_nc_u32_e32 v73, v29, v73
	v_sub_nc_u32_e32 v29, v29, v8
	v_add_nc_u32_e32 v28, v28, v5
	v_add_nc_u32_e32 v24, v24, v5
	s_mov_b32 s3, -1
	v_add_nc_u32_e32 v29, v29, v5
	v_add_nc_u32_e32 v23, v22, v80
	v_sub_nc_u32_e32 v22, v22, v7
	s_delay_alu instid0(VALU_DEP_2) | instskip(SKIP_3) | instid1(VALU_DEP_3)
	v_add_nc_u32_e32 v25, v23, v76
	v_sub_nc_u32_e32 v23, v23, v7
	v_subrev_co_ci_u32_e32 v76, vcc_lo, 0, v4, vcc_lo
	v_cmp_eq_u32_e32 vcc_lo, 1, v35
	v_add_nc_u32_e32 v79, v24, v23
	s_delay_alu instid0(VALU_DEP_1) | instskip(NEXT) | instid1(VALU_DEP_1)
	v_sub_nc_u32_e32 v79, v33, v79
	v_add_nc_u32_e32 v79, 1, v79
	v_add_nc_u32_e32 v27, v25, v78
	;; [unrolled: 1-line block ×3, first 2 shown]
	s_delay_alu instid0(VALU_DEP_1) | instskip(NEXT) | instid1(VALU_DEP_1)
	v_sub_nc_u32_e32 v78, v33, v78
	v_dual_cndmask_b32 v9, v78, v9 :: v_dual_and_b32 v34, 1, v34
	v_cmp_eq_u32_e32 vcc_lo, 1, v40
	v_cndmask_b32_e32 v24, v79, v24, vcc_lo
	s_delay_alu instid0(VALU_DEP_3) | instskip(NEXT) | instid1(VALU_DEP_4)
	v_cmp_eq_u32_e32 vcc_lo, 1, v34
	v_cndmask_b32_e32 v9, v9, v22, vcc_lo
	v_sub_nc_u32_e32 v26, v26, v8
	v_cmp_eq_u32_e32 vcc_lo, 1, v37
	v_and_b32_e32 v37, 1, v38
	s_delay_alu instid0(VALU_DEP_4) | instskip(NEXT) | instid1(VALU_DEP_4)
	v_lshlrev_b32_e32 v9, 2, v9
	v_add_nc_u32_e32 v26, v26, v5
	v_cndmask_b32_e32 v24, v24, v23, vcc_lo
	v_sub_nc_u32_e32 v25, v25, v7
	v_add_co_u32 v22, vcc_lo, v75, v8
	v_add_co_ci_u32_e32 v23, vcc_lo, 0, v76, vcc_lo
	s_delay_alu instid0(VALU_DEP_3)
	v_add_nc_u32_e32 v34, v26, v25
	v_cmp_eq_u32_e32 vcc_lo, 1, v37
	v_lshlrev_b32_e32 v24, 2, v24
	ds_store_b32 v9, v20
	v_sub_nc_u32_e32 v34, v33, v34
	ds_store_b32 v24, v21
	v_and_b32_e32 v24, 1, v39
	v_add_nc_u32_e32 v34, 2, v34
	s_delay_alu instid0(VALU_DEP_1) | instskip(SKIP_3) | instid1(VALU_DEP_4)
	v_cndmask_b32_e32 v26, v34, v26, vcc_lo
	v_cmp_eq_u32_e32 vcc_lo, 1, v36
	v_add_nc_u32_e32 v74, v27, v74
	v_sub_nc_u32_e32 v27, v27, v7
	v_cndmask_b32_e32 v25, v26, v25, vcc_lo
	s_delay_alu instid0(VALU_DEP_3) | instskip(NEXT) | instid1(VALU_DEP_3)
	v_sub_nc_u32_e32 v37, v74, v7
	v_add_nc_u32_e32 v34, v27, v28
	v_cmp_eq_u32_e32 vcc_lo, 1, v24
	v_sub_nc_u32_e32 v26, v73, v8
	v_lshlrev_b32_e32 v21, 2, v25
	v_and_b32_e32 v25, 1, v41
	v_sub_nc_u32_e32 v9, v33, v34
	v_add_nc_u32_e32 v20, v37, v29
	v_and_b32_e32 v24, 1, v42
	v_add_nc_u32_e32 v26, v26, v5
	ds_store_b32 v21, v18
	v_add_nc_u32_e32 v9, 3, v9
	v_sub_nc_u32_e32 v20, v33, v20
	s_delay_alu instid0(VALU_DEP_2) | instskip(SKIP_2) | instid1(VALU_DEP_4)
	v_cndmask_b32_e32 v9, v9, v28, vcc_lo
	v_cmp_eq_u32_e32 vcc_lo, 1, v25
	v_add_nc_u32_e32 v72, v74, v72
	v_add_nc_u32_e32 v20, 4, v20
	v_and_b32_e32 v25, 1, v43
	v_cndmask_b32_e32 v9, v9, v27, vcc_lo
	s_delay_alu instid0(VALU_DEP_4)
	v_sub_nc_u32_e32 v28, v72, v7
	v_cmp_eq_u32_e32 vcc_lo, 1, v24
	v_and_b32_e32 v24, 1, v44
	v_add_nc_u32_e32 v70, v72, v70
	v_lshlrev_b32_e32 v9, 2, v9
	v_add_nc_u32_e32 v27, v28, v26
	v_cndmask_b32_e32 v20, v20, v29, vcc_lo
	v_cmp_eq_u32_e32 vcc_lo, 1, v25
	v_and_b32_e32 v25, 1, v45
	v_add_nc_u32_e32 v64, v70, v64
	v_sub_nc_u32_e32 v18, v33, v27
	v_sub_nc_u32_e32 v27, v70, v7
	v_cndmask_b32_e32 v20, v20, v37, vcc_lo
	v_cmp_eq_u32_e32 vcc_lo, 1, v24
	ds_store_b32 v9, v19
	v_add_nc_u32_e32 v18, 5, v18
	v_and_b32_e32 v19, 1, v46
	v_lshlrev_b32_e32 v20, 2, v20
	v_add_nc_u32_e32 v68, v64, v68
	s_delay_alu instid0(VALU_DEP_4)
	v_cndmask_b32_e32 v18, v18, v26, vcc_lo
	v_cmp_eq_u32_e32 vcc_lo, 1, v25
	v_sub_nc_u32_e32 v25, v64, v7
	ds_store_b32 v20, v16
	v_and_b32_e32 v20, 1, v49
	v_add_nc_u32_e32 v66, v68, v66
	v_dual_cndmask_b32 v18, v18, v28 :: v_dual_add_nc_u32 v71, v73, v71
	v_cmp_eq_u32_e32 vcc_lo, 1, v19
	v_and_b32_e32 v19, 1, v48
	s_delay_alu instid0(VALU_DEP_4) | instskip(NEXT) | instid1(VALU_DEP_4)
	v_add_nc_u32_e32 v61, v66, v61
	v_lshlrev_b32_e32 v18, 2, v18
	v_add_nc_u32_e32 v65, v71, v65
	v_sub_nc_u32_e32 v21, v71, v8
	s_delay_alu instid0(VALU_DEP_4)
	v_add_nc_u32_e32 v60, v61, v60
	ds_store_b32 v18, v17
	v_sub_nc_u32_e32 v24, v65, v8
	v_add_nc_u32_e32 v21, v21, v5
	v_add_nc_u32_e32 v69, v65, v69
	v_and_b32_e32 v17, 1, v47
	s_delay_alu instid0(VALU_DEP_4) | instskip(NEXT) | instid1(VALU_DEP_4)
	v_add_nc_u32_e32 v24, v24, v5
	v_add_nc_u32_e32 v26, v27, v21
	s_delay_alu instid0(VALU_DEP_4) | instskip(NEXT) | instid1(VALU_DEP_3)
	v_sub_nc_u32_e32 v18, v69, v8
	v_add_nc_u32_e32 v16, v25, v24
	s_delay_alu instid0(VALU_DEP_3) | instskip(NEXT) | instid1(VALU_DEP_3)
	v_sub_nc_u32_e32 v9, v33, v26
	v_add_nc_u32_e32 v18, v18, v5
	v_sub_nc_u32_e32 v26, v60, v7
	s_delay_alu instid0(VALU_DEP_4) | instskip(NEXT) | instid1(VALU_DEP_4)
	v_sub_nc_u32_e32 v16, v33, v16
	v_add_nc_u32_e32 v9, 6, v9
	s_delay_alu instid0(VALU_DEP_1) | instskip(SKIP_2) | instid1(VALU_DEP_3)
	v_dual_cndmask_b32 v9, v9, v21 :: v_dual_add_nc_u32 v16, 7, v16
	v_cmp_eq_u32_e32 vcc_lo, 1, v19
	v_sub_nc_u32_e32 v21, v68, v7
	v_cndmask_b32_e32 v16, v16, v24, vcc_lo
	v_cmp_eq_u32_e32 vcc_lo, 1, v17
	s_delay_alu instid0(VALU_DEP_3) | instskip(SKIP_3) | instid1(VALU_DEP_4)
	v_add_nc_u32_e32 v17, v21, v18
	v_cndmask_b32_e32 v9, v9, v27, vcc_lo
	v_cmp_eq_u32_e32 vcc_lo, 1, v20
	v_add_nc_u32_e32 v67, v69, v67
	v_sub_nc_u32_e32 v17, v33, v17
	v_sub_nc_u32_e32 v20, v66, v7
	v_lshlrev_b32_e32 v9, 2, v9
	v_cndmask_b32_e32 v16, v16, v25, vcc_lo
	v_sub_nc_u32_e32 v19, v67, v8
	v_add_nc_u32_e32 v62, v67, v62
	v_sub_nc_u32_e32 v25, v61, v7
	ds_store_b32 v9, v14
	v_and_b32_e32 v9, 1, v50
	v_add_nc_u32_e32 v19, v19, v5
	v_add_nc_u32_e32 v14, 8, v17
	v_lshlrev_b32_e32 v16, 2, v16
	v_add_nc_u32_e32 v63, v62, v63
	v_cmp_eq_u32_e32 vcc_lo, 1, v9
	v_add_nc_u32_e32 v17, v20, v19
	ds_store_b32 v16, v15
	v_and_b32_e32 v15, 1, v51
	v_cndmask_b32_e32 v9, v14, v18, vcc_lo
	v_sub_nc_u32_e32 v14, v33, v17
	v_and_b32_e32 v18, 1, v52
	v_sub_nc_u32_e32 v17, v62, v8
	v_and_b32_e32 v16, 1, v54
	v_sub_nc_u32_e32 v24, v63, v8
	v_add_nc_u32_e32 v14, 9, v14
	v_cmp_eq_u32_e32 vcc_lo, 1, v18
	v_add_nc_u32_e32 v17, v17, v5
	v_add_nc_u32_e32 v35, v63, v59
	v_add_nc_u32_e32 v24, v24, v5
	v_cndmask_b32_e32 v14, v14, v19, vcc_lo
	v_cmp_eq_u32_e32 vcc_lo, 1, v15
	v_add_nc_u32_e32 v15, v25, v17
	s_delay_alu instid0(VALU_DEP_4)
	v_add_nc_u32_e32 v18, v26, v24
	v_and_b32_e32 v19, 1, v55
	v_cndmask_b32_e32 v9, v9, v21, vcc_lo
	v_cmp_eq_u32_e32 vcc_lo, 1, v16
	v_sub_nc_u32_e32 v15, v33, v15
	v_sub_nc_u32_e32 v18, v33, v18
	v_and_b32_e32 v21, 1, v57
	v_sub_nc_u32_e32 v16, v35, v8
	v_cndmask_b32_e32 v14, v14, v20, vcc_lo
	v_and_b32_e32 v20, 1, v53
	v_add_nc_u32_e32 v15, 10, v15
	v_add_nc_u32_e32 v18, 11, v18
	v_add_nc_u32_e32 v16, v16, v5
	v_lshlrev_b32_e32 v9, 2, v9
	v_cmp_eq_u32_e32 vcc_lo, 1, v20
	v_dual_cndmask_b32 v15, v15, v17 :: v_dual_lshlrev_b32 v14, 2, v14
	v_cmp_eq_u32_e32 vcc_lo, 1, v21
	v_and_b32_e32 v17, 1, v56
	v_cndmask_b32_e32 v18, v18, v24, vcc_lo
	v_cmp_eq_u32_e32 vcc_lo, 1, v19
	v_cndmask_b32_e32 v15, v15, v25, vcc_lo
	s_delay_alu instid0(VALU_DEP_4) | instskip(NEXT) | instid1(VALU_DEP_2)
	v_cmp_eq_u32_e32 vcc_lo, 1, v17
	v_lshlrev_b32_e32 v15, 2, v15
	v_cndmask_b32_e32 v17, v18, v26, vcc_lo
	v_add_nc_u32_e32 v40, v60, v58
	s_delay_alu instid0(VALU_DEP_2) | instskip(NEXT) | instid1(VALU_DEP_2)
	v_lshlrev_b32_e32 v17, 2, v17
	v_sub_nc_u32_e32 v7, v40, v7
	ds_store_b32 v9, v12
	ds_store_b32 v14, v13
	ds_store_b32 v15, v10
	ds_store_b32 v17, v11
	v_add_co_u32 v9, s0, v6, v77
	s_delay_alu instid0(VALU_DEP_1) | instskip(SKIP_1) | instid1(VALU_DEP_3)
	v_add_co_ci_u32_e64 v10, null, 0, 0, s0
	v_add_nc_u32_e32 v27, v7, v16
	v_add_co_u32 v9, vcc_lo, v9, v22
	s_delay_alu instid0(VALU_DEP_3) | instskip(NEXT) | instid1(VALU_DEP_3)
	v_add_co_ci_u32_e32 v10, vcc_lo, v10, v23, vcc_lo
	v_sub_nc_u32_e32 v20, v33, v27
	v_add_co_u32 v11, s0, s34, v30
	s_delay_alu instid0(VALU_DEP_4) | instskip(NEXT) | instid1(VALU_DEP_3)
	v_add_co_u32 v9, vcc_lo, v9, v1
	v_add_nc_u32_e32 v18, 12, v20
	v_add_co_ci_u32_e64 v12, null, s35, 0, s0
	v_add_co_ci_u32_e32 v10, vcc_lo, v10, v2, vcc_lo
	s_delay_alu instid0(VALU_DEP_3) | instskip(SKIP_1) | instid1(VALU_DEP_2)
	v_cndmask_b32_e64 v16, v18, v16, s33
	v_add_nc_u32_e32 v14, v5, v6
	v_cndmask_b32_e64 v7, v16, v7, s27
	s_delay_alu instid0(VALU_DEP_1)
	v_lshlrev_b32_e32 v7, 2, v7
	ds_store_b32 v7, v32
	v_sub_co_u32 v7, vcc_lo, v11, v9
	v_sub_co_ci_u32_e32 v13, vcc_lo, v12, v10, vcc_lo
	v_lshlrev_b64 v[9:10], 2, v[22:23]
	v_lshlrev_b64 v[11:12], 2, v[1:2]
	s_waitcnt lgkmcnt(0)
	s_barrier
	buffer_gl0_inv
	v_add_co_u32 v9, vcc_lo, s30, v9
	v_add_co_ci_u32_e32 v10, vcc_lo, s31, v10, vcc_lo
	v_cmp_ne_u32_e32 vcc_lo, 1, v31
	v_add_co_u32 v11, s0, s28, v11
	s_delay_alu instid0(VALU_DEP_1)
	v_add_co_ci_u32_e64 v12, s0, s29, v12, s0
	s_addc_u32 s0, s15, -1
	s_cbranch_vccz .LBB45_132
; %bb.129:
	s_and_b32 vcc_lo, exec_lo, s3
	s_cbranch_vccnz .LBB45_237
.LBB45_130:
	s_and_b32 s0, s2, s13
	s_delay_alu instid0(SALU_CYCLE_1)
	s_and_saveexec_b32 s1, s0
	s_cbranch_execnz .LBB45_355
.LBB45_131:
	s_nop 0
	s_sendmsg sendmsg(MSG_DEALLOC_VGPRS)
	s_endpgm
.LBB45_132:
	s_mov_b32 s3, exec_lo
	v_cmpx_le_u32_e64 v5, v0
	s_xor_b32 s3, exec_lo, s3
	s_cbranch_execz .LBB45_138
; %bb.133:
	s_mov_b32 s5, exec_lo
	v_cmpx_le_u32_e64 v14, v0
	s_xor_b32 s5, exec_lo, s5
	s_cbranch_execz .LBB45_135
; %bb.134:
	v_lshlrev_b32_e32 v15, 2, v0
	ds_load_b32 v17, v15
	v_add_co_u32 v15, vcc_lo, v7, v0
	v_add_co_ci_u32_e32 v16, vcc_lo, 0, v13, vcc_lo
	s_delay_alu instid0(VALU_DEP_1) | instskip(NEXT) | instid1(VALU_DEP_1)
	v_lshlrev_b64 v[15:16], 2, v[15:16]
	v_sub_co_u32 v15, vcc_lo, s14, v15
	s_delay_alu instid0(VALU_DEP_2)
	v_sub_co_ci_u32_e32 v16, vcc_lo, s15, v16, vcc_lo
	s_waitcnt lgkmcnt(0)
	global_store_b32 v[15:16], v17, off offset:-4
.LBB45_135:
	s_and_not1_saveexec_b32 s5, s5
	s_cbranch_execz .LBB45_137
; %bb.136:
	v_lshlrev_b32_e32 v15, 2, v0
	v_readfirstlane_b32 s6, v9
	v_readfirstlane_b32 s7, v10
	ds_load_b32 v16, v15
	s_waitcnt lgkmcnt(0)
	global_store_b32 v15, v16, s[6:7]
.LBB45_137:
	s_or_b32 exec_lo, exec_lo, s5
.LBB45_138:
	s_and_not1_saveexec_b32 s3, s3
	s_cbranch_execz .LBB45_140
; %bb.139:
	v_lshlrev_b32_e32 v15, 2, v0
	v_readfirstlane_b32 s6, v11
	v_readfirstlane_b32 s7, v12
	ds_load_b32 v16, v15
	s_waitcnt lgkmcnt(0)
	global_store_b32 v15, v16, s[6:7]
.LBB45_140:
	s_or_b32 exec_lo, exec_lo, s3
	v_or_b32_e32 v15, 0x100, v0
	s_mov_b32 s3, exec_lo
	s_delay_alu instid0(VALU_DEP_1)
	v_cmpx_le_u32_e64 v5, v15
	s_xor_b32 s3, exec_lo, s3
	s_cbranch_execz .LBB45_146
; %bb.141:
	s_mov_b32 s5, exec_lo
	v_cmpx_le_u32_e64 v14, v15
	s_xor_b32 s5, exec_lo, s5
	s_cbranch_execz .LBB45_143
; %bb.142:
	v_lshlrev_b32_e32 v15, 2, v0
	ds_load_b32 v17, v15 offset:1024
	v_add_co_u32 v15, vcc_lo, v7, v0
	v_add_co_ci_u32_e32 v16, vcc_lo, 0, v13, vcc_lo
	s_delay_alu instid0(VALU_DEP_1) | instskip(NEXT) | instid1(VALU_DEP_1)
	v_lshlrev_b64 v[15:16], 2, v[15:16]
	v_sub_co_u32 v15, vcc_lo, s1, v15
	s_delay_alu instid0(VALU_DEP_2)
	v_sub_co_ci_u32_e32 v16, vcc_lo, s0, v16, vcc_lo
	s_waitcnt lgkmcnt(0)
	global_store_b32 v[15:16], v17, off offset:-1024
.LBB45_143:
	s_and_not1_saveexec_b32 s5, s5
	s_cbranch_execz .LBB45_145
; %bb.144:
	v_lshlrev_b32_e32 v15, 2, v0
	v_readfirstlane_b32 s6, v9
	v_readfirstlane_b32 s7, v10
	ds_load_b32 v16, v15 offset:1024
	s_waitcnt lgkmcnt(0)
	global_store_b32 v15, v16, s[6:7] offset:1024
.LBB45_145:
	s_or_b32 exec_lo, exec_lo, s5
.LBB45_146:
	s_and_not1_saveexec_b32 s3, s3
	s_cbranch_execz .LBB45_148
; %bb.147:
	v_lshlrev_b32_e32 v15, 2, v0
	v_readfirstlane_b32 s6, v11
	v_readfirstlane_b32 s7, v12
	ds_load_b32 v16, v15 offset:1024
	s_waitcnt lgkmcnt(0)
	global_store_b32 v15, v16, s[6:7] offset:1024
.LBB45_148:
	s_or_b32 exec_lo, exec_lo, s3
	v_or_b32_e32 v15, 0x200, v0
	s_mov_b32 s3, exec_lo
	s_delay_alu instid0(VALU_DEP_1)
	v_cmpx_le_u32_e64 v5, v15
	s_xor_b32 s3, exec_lo, s3
	s_cbranch_execz .LBB45_154
; %bb.149:
	s_mov_b32 s5, exec_lo
	v_cmpx_le_u32_e64 v14, v15
	s_xor_b32 s5, exec_lo, s5
	s_cbranch_execz .LBB45_151
; %bb.150:
	v_lshlrev_b32_e32 v15, 2, v0
	ds_load_b32 v17, v15 offset:2048
	v_add_co_u32 v15, vcc_lo, v7, v0
	v_add_co_ci_u32_e32 v16, vcc_lo, 0, v13, vcc_lo
	s_delay_alu instid0(VALU_DEP_1) | instskip(NEXT) | instid1(VALU_DEP_1)
	v_lshlrev_b64 v[15:16], 2, v[15:16]
	v_sub_co_u32 v15, vcc_lo, s1, v15
	s_delay_alu instid0(VALU_DEP_2)
	v_sub_co_ci_u32_e32 v16, vcc_lo, s0, v16, vcc_lo
	s_waitcnt lgkmcnt(0)
	global_store_b32 v[15:16], v17, off offset:-2048
.LBB45_151:
	s_and_not1_saveexec_b32 s5, s5
	s_cbranch_execz .LBB45_153
; %bb.152:
	v_lshlrev_b32_e32 v15, 2, v0
	v_readfirstlane_b32 s6, v9
	v_readfirstlane_b32 s7, v10
	ds_load_b32 v16, v15 offset:2048
	s_waitcnt lgkmcnt(0)
	global_store_b32 v15, v16, s[6:7] offset:2048
.LBB45_153:
	s_or_b32 exec_lo, exec_lo, s5
.LBB45_154:
	s_and_not1_saveexec_b32 s3, s3
	s_cbranch_execz .LBB45_156
; %bb.155:
	v_lshlrev_b32_e32 v15, 2, v0
	v_readfirstlane_b32 s6, v11
	v_readfirstlane_b32 s7, v12
	ds_load_b32 v16, v15 offset:2048
	s_waitcnt lgkmcnt(0)
	global_store_b32 v15, v16, s[6:7] offset:2048
.LBB45_156:
	;; [unrolled: 47-line block ×3, first 2 shown]
	s_or_b32 exec_lo, exec_lo, s3
	v_or_b32_e32 v15, 0x400, v0
	s_mov_b32 s3, exec_lo
	s_delay_alu instid0(VALU_DEP_1)
	v_cmpx_le_u32_e64 v5, v15
	s_xor_b32 s3, exec_lo, s3
	s_cbranch_execz .LBB45_170
; %bb.165:
	s_mov_b32 s5, exec_lo
	v_cmpx_le_u32_e64 v14, v15
	s_xor_b32 s5, exec_lo, s5
	s_cbranch_execz .LBB45_167
; %bb.166:
	v_lshlrev_b32_e32 v15, 2, v0
	ds_load_b32 v17, v15 offset:4096
	v_add_co_u32 v15, vcc_lo, v7, v0
	v_add_co_ci_u32_e32 v16, vcc_lo, 0, v13, vcc_lo
	s_delay_alu instid0(VALU_DEP_1) | instskip(NEXT) | instid1(VALU_DEP_1)
	v_lshlrev_b64 v[15:16], 2, v[15:16]
	v_sub_co_u32 v15, vcc_lo, s1, v15
	s_delay_alu instid0(VALU_DEP_2)
	v_sub_co_ci_u32_e32 v16, vcc_lo, s0, v16, vcc_lo
	s_waitcnt lgkmcnt(0)
	global_store_b32 v[15:16], v17, off offset:-4096
                                        ; implicit-def: $vgpr15
.LBB45_167:
	s_and_not1_saveexec_b32 s5, s5
	s_cbranch_execz .LBB45_169
; %bb.168:
	v_lshlrev_b32_e32 v16, 2, v0
	v_lshlrev_b32_e32 v15, 2, v15
	v_readfirstlane_b32 s6, v9
	v_readfirstlane_b32 s7, v10
	ds_load_b32 v16, v16 offset:4096
	s_waitcnt lgkmcnt(0)
	global_store_b32 v15, v16, s[6:7]
.LBB45_169:
	s_or_b32 exec_lo, exec_lo, s5
                                        ; implicit-def: $vgpr15
.LBB45_170:
	s_and_not1_saveexec_b32 s3, s3
	s_cbranch_execz .LBB45_172
; %bb.171:
	v_lshlrev_b32_e32 v16, 2, v0
	v_lshlrev_b32_e32 v15, 2, v15
	v_readfirstlane_b32 s6, v11
	v_readfirstlane_b32 s7, v12
	ds_load_b32 v16, v16 offset:4096
	s_waitcnt lgkmcnt(0)
	global_store_b32 v15, v16, s[6:7]
.LBB45_172:
	s_or_b32 exec_lo, exec_lo, s3
	v_or_b32_e32 v15, 0x500, v0
	s_mov_b32 s3, exec_lo
	s_delay_alu instid0(VALU_DEP_1)
	v_cmpx_le_u32_e64 v5, v15
	s_xor_b32 s3, exec_lo, s3
	s_cbranch_execz .LBB45_178
; %bb.173:
	s_mov_b32 s5, exec_lo
	v_cmpx_le_u32_e64 v14, v15
	s_xor_b32 s5, exec_lo, s5
	s_cbranch_execz .LBB45_175
; %bb.174:
	v_lshlrev_b32_e32 v16, 2, v0
	v_add_co_u32 v15, vcc_lo, v7, v15
	ds_load_b32 v17, v16 offset:5120
	v_add_co_ci_u32_e32 v16, vcc_lo, 0, v13, vcc_lo
	s_delay_alu instid0(VALU_DEP_1) | instskip(NEXT) | instid1(VALU_DEP_1)
	v_lshlrev_b64 v[15:16], 2, v[15:16]
	v_sub_co_u32 v15, vcc_lo, s1, v15
	s_delay_alu instid0(VALU_DEP_2)
	v_sub_co_ci_u32_e32 v16, vcc_lo, s0, v16, vcc_lo
	s_waitcnt lgkmcnt(0)
	global_store_b32 v[15:16], v17, off
                                        ; implicit-def: $vgpr15
.LBB45_175:
	s_and_not1_saveexec_b32 s5, s5
	s_cbranch_execz .LBB45_177
; %bb.176:
	v_lshlrev_b32_e32 v16, 2, v0
	v_lshlrev_b32_e32 v15, 2, v15
	v_readfirstlane_b32 s6, v9
	v_readfirstlane_b32 s7, v10
	ds_load_b32 v16, v16 offset:5120
	s_waitcnt lgkmcnt(0)
	global_store_b32 v15, v16, s[6:7]
.LBB45_177:
	s_or_b32 exec_lo, exec_lo, s5
                                        ; implicit-def: $vgpr15
.LBB45_178:
	s_and_not1_saveexec_b32 s3, s3
	s_cbranch_execz .LBB45_180
; %bb.179:
	v_lshlrev_b32_e32 v16, 2, v0
	v_lshlrev_b32_e32 v15, 2, v15
	v_readfirstlane_b32 s6, v11
	v_readfirstlane_b32 s7, v12
	ds_load_b32 v16, v16 offset:5120
	s_waitcnt lgkmcnt(0)
	global_store_b32 v15, v16, s[6:7]
.LBB45_180:
	s_or_b32 exec_lo, exec_lo, s3
	v_or_b32_e32 v15, 0x600, v0
	s_mov_b32 s3, exec_lo
	s_delay_alu instid0(VALU_DEP_1)
	v_cmpx_le_u32_e64 v5, v15
	s_xor_b32 s3, exec_lo, s3
	s_cbranch_execz .LBB45_186
; %bb.181:
	s_mov_b32 s5, exec_lo
	v_cmpx_le_u32_e64 v14, v15
	s_xor_b32 s5, exec_lo, s5
	s_cbranch_execz .LBB45_183
; %bb.182:
	v_lshlrev_b32_e32 v16, 2, v0
	v_add_co_u32 v15, vcc_lo, v7, v15
	ds_load_b32 v17, v16 offset:6144
	v_add_co_ci_u32_e32 v16, vcc_lo, 0, v13, vcc_lo
	s_delay_alu instid0(VALU_DEP_1) | instskip(NEXT) | instid1(VALU_DEP_1)
	v_lshlrev_b64 v[15:16], 2, v[15:16]
	v_sub_co_u32 v15, vcc_lo, s1, v15
	s_delay_alu instid0(VALU_DEP_2)
	v_sub_co_ci_u32_e32 v16, vcc_lo, s0, v16, vcc_lo
	s_waitcnt lgkmcnt(0)
	global_store_b32 v[15:16], v17, off
                                        ; implicit-def: $vgpr15
.LBB45_183:
	s_and_not1_saveexec_b32 s5, s5
	s_cbranch_execz .LBB45_185
; %bb.184:
	v_lshlrev_b32_e32 v16, 2, v0
	v_lshlrev_b32_e32 v15, 2, v15
	v_readfirstlane_b32 s6, v9
	v_readfirstlane_b32 s7, v10
	ds_load_b32 v16, v16 offset:6144
	s_waitcnt lgkmcnt(0)
	global_store_b32 v15, v16, s[6:7]
.LBB45_185:
	s_or_b32 exec_lo, exec_lo, s5
                                        ; implicit-def: $vgpr15
.LBB45_186:
	;; [unrolled: 51-line block ×8, first 2 shown]
	s_and_not1_saveexec_b32 s3, s3
	s_cbranch_execz .LBB45_236
; %bb.235:
	v_lshlrev_b32_e32 v16, 2, v0
	v_lshlrev_b32_e32 v15, 2, v15
	v_readfirstlane_b32 s6, v11
	v_readfirstlane_b32 s7, v12
	ds_load_b32 v16, v16 offset:12288
	s_waitcnt lgkmcnt(0)
	global_store_b32 v15, v16, s[6:7]
.LBB45_236:
	s_or_b32 exec_lo, exec_lo, s3
	s_branch .LBB45_130
.LBB45_237:
	s_mov_b32 s3, exec_lo
	v_cmpx_gt_u32_e64 s4, v0
	s_cbranch_execz .LBB45_246
; %bb.238:
	s_mov_b32 s5, exec_lo
	v_cmpx_le_u32_e64 v5, v0
	s_xor_b32 s5, exec_lo, s5
	s_cbranch_execz .LBB45_244
; %bb.239:
	s_mov_b32 s6, exec_lo
	v_cmpx_le_u32_e64 v14, v0
	s_xor_b32 s6, exec_lo, s6
	s_cbranch_execz .LBB45_241
; %bb.240:
	v_lshlrev_b32_e32 v15, 2, v0
	ds_load_b32 v17, v15
	v_add_co_u32 v15, vcc_lo, v7, v0
	v_add_co_ci_u32_e32 v16, vcc_lo, 0, v13, vcc_lo
	s_delay_alu instid0(VALU_DEP_1) | instskip(NEXT) | instid1(VALU_DEP_1)
	v_lshlrev_b64 v[15:16], 2, v[15:16]
	v_sub_co_u32 v15, vcc_lo, s14, v15
	s_delay_alu instid0(VALU_DEP_2)
	v_sub_co_ci_u32_e32 v16, vcc_lo, s15, v16, vcc_lo
	s_waitcnt lgkmcnt(0)
	global_store_b32 v[15:16], v17, off offset:-4
.LBB45_241:
	s_and_not1_saveexec_b32 s6, s6
	s_cbranch_execz .LBB45_243
; %bb.242:
	v_lshlrev_b32_e32 v15, 2, v0
	v_readfirstlane_b32 s8, v9
	v_readfirstlane_b32 s9, v10
	ds_load_b32 v16, v15
	s_waitcnt lgkmcnt(0)
	global_store_b32 v15, v16, s[8:9]
.LBB45_243:
	s_or_b32 exec_lo, exec_lo, s6
.LBB45_244:
	s_and_not1_saveexec_b32 s5, s5
	s_cbranch_execz .LBB45_246
; %bb.245:
	v_lshlrev_b32_e32 v15, 2, v0
	v_readfirstlane_b32 s6, v11
	v_readfirstlane_b32 s7, v12
	ds_load_b32 v16, v15
	s_waitcnt lgkmcnt(0)
	global_store_b32 v15, v16, s[6:7]
.LBB45_246:
	s_or_b32 exec_lo, exec_lo, s3
	v_or_b32_e32 v15, 0x100, v0
	s_mov_b32 s3, exec_lo
	s_delay_alu instid0(VALU_DEP_1)
	v_cmpx_gt_u32_e64 s4, v15
	s_cbranch_execz .LBB45_255
; %bb.247:
	s_mov_b32 s5, exec_lo
	v_cmpx_le_u32_e64 v5, v15
	s_xor_b32 s5, exec_lo, s5
	s_cbranch_execz .LBB45_253
; %bb.248:
	s_mov_b32 s6, exec_lo
	v_cmpx_le_u32_e64 v14, v15
	s_xor_b32 s6, exec_lo, s6
	s_cbranch_execz .LBB45_250
; %bb.249:
	v_lshlrev_b32_e32 v15, 2, v0
	ds_load_b32 v17, v15 offset:1024
	v_add_co_u32 v15, vcc_lo, v7, v0
	v_add_co_ci_u32_e32 v16, vcc_lo, 0, v13, vcc_lo
	s_delay_alu instid0(VALU_DEP_1) | instskip(NEXT) | instid1(VALU_DEP_1)
	v_lshlrev_b64 v[15:16], 2, v[15:16]
	v_sub_co_u32 v15, vcc_lo, s1, v15
	s_delay_alu instid0(VALU_DEP_2)
	v_sub_co_ci_u32_e32 v16, vcc_lo, s0, v16, vcc_lo
	s_waitcnt lgkmcnt(0)
	global_store_b32 v[15:16], v17, off offset:-1024
.LBB45_250:
	s_and_not1_saveexec_b32 s6, s6
	s_cbranch_execz .LBB45_252
; %bb.251:
	v_lshlrev_b32_e32 v15, 2, v0
	v_readfirstlane_b32 s8, v9
	v_readfirstlane_b32 s9, v10
	ds_load_b32 v16, v15 offset:1024
	s_waitcnt lgkmcnt(0)
	global_store_b32 v15, v16, s[8:9] offset:1024
.LBB45_252:
	s_or_b32 exec_lo, exec_lo, s6
.LBB45_253:
	s_and_not1_saveexec_b32 s5, s5
	s_cbranch_execz .LBB45_255
; %bb.254:
	v_lshlrev_b32_e32 v15, 2, v0
	v_readfirstlane_b32 s6, v11
	v_readfirstlane_b32 s7, v12
	ds_load_b32 v16, v15 offset:1024
	s_waitcnt lgkmcnt(0)
	global_store_b32 v15, v16, s[6:7] offset:1024
.LBB45_255:
	s_or_b32 exec_lo, exec_lo, s3
	v_or_b32_e32 v15, 0x200, v0
	s_mov_b32 s3, exec_lo
	s_delay_alu instid0(VALU_DEP_1)
	v_cmpx_gt_u32_e64 s4, v15
	s_cbranch_execz .LBB45_264
; %bb.256:
	s_mov_b32 s5, exec_lo
	v_cmpx_le_u32_e64 v5, v15
	s_xor_b32 s5, exec_lo, s5
	s_cbranch_execz .LBB45_262
; %bb.257:
	s_mov_b32 s6, exec_lo
	v_cmpx_le_u32_e64 v14, v15
	s_xor_b32 s6, exec_lo, s6
	s_cbranch_execz .LBB45_259
; %bb.258:
	v_lshlrev_b32_e32 v15, 2, v0
	ds_load_b32 v17, v15 offset:2048
	v_add_co_u32 v15, vcc_lo, v7, v0
	v_add_co_ci_u32_e32 v16, vcc_lo, 0, v13, vcc_lo
	s_delay_alu instid0(VALU_DEP_1) | instskip(NEXT) | instid1(VALU_DEP_1)
	v_lshlrev_b64 v[15:16], 2, v[15:16]
	v_sub_co_u32 v15, vcc_lo, s1, v15
	s_delay_alu instid0(VALU_DEP_2)
	v_sub_co_ci_u32_e32 v16, vcc_lo, s0, v16, vcc_lo
	s_waitcnt lgkmcnt(0)
	global_store_b32 v[15:16], v17, off offset:-2048
.LBB45_259:
	s_and_not1_saveexec_b32 s6, s6
	s_cbranch_execz .LBB45_261
; %bb.260:
	v_lshlrev_b32_e32 v15, 2, v0
	v_readfirstlane_b32 s8, v9
	v_readfirstlane_b32 s9, v10
	ds_load_b32 v16, v15 offset:2048
	s_waitcnt lgkmcnt(0)
	global_store_b32 v15, v16, s[8:9] offset:2048
.LBB45_261:
	s_or_b32 exec_lo, exec_lo, s6
.LBB45_262:
	s_and_not1_saveexec_b32 s5, s5
	s_cbranch_execz .LBB45_264
; %bb.263:
	v_lshlrev_b32_e32 v15, 2, v0
	v_readfirstlane_b32 s6, v11
	v_readfirstlane_b32 s7, v12
	ds_load_b32 v16, v15 offset:2048
	s_waitcnt lgkmcnt(0)
	global_store_b32 v15, v16, s[6:7] offset:2048
.LBB45_264:
	;; [unrolled: 51-line block ×3, first 2 shown]
	s_or_b32 exec_lo, exec_lo, s3
	v_or_b32_e32 v15, 0x400, v0
	s_mov_b32 s3, exec_lo
	s_delay_alu instid0(VALU_DEP_1)
	v_cmpx_gt_u32_e64 s4, v15
	s_cbranch_execz .LBB45_282
; %bb.274:
	s_mov_b32 s5, exec_lo
	v_cmpx_le_u32_e64 v5, v15
	s_xor_b32 s5, exec_lo, s5
	s_cbranch_execz .LBB45_280
; %bb.275:
	s_mov_b32 s6, exec_lo
	v_cmpx_le_u32_e64 v14, v15
	s_xor_b32 s6, exec_lo, s6
	s_cbranch_execz .LBB45_277
; %bb.276:
	v_lshlrev_b32_e32 v15, 2, v0
	ds_load_b32 v17, v15 offset:4096
	v_add_co_u32 v15, vcc_lo, v7, v0
	v_add_co_ci_u32_e32 v16, vcc_lo, 0, v13, vcc_lo
	s_delay_alu instid0(VALU_DEP_1) | instskip(NEXT) | instid1(VALU_DEP_1)
	v_lshlrev_b64 v[15:16], 2, v[15:16]
	v_sub_co_u32 v15, vcc_lo, s1, v15
	s_delay_alu instid0(VALU_DEP_2)
	v_sub_co_ci_u32_e32 v16, vcc_lo, s0, v16, vcc_lo
	s_waitcnt lgkmcnt(0)
	global_store_b32 v[15:16], v17, off offset:-4096
                                        ; implicit-def: $vgpr15
.LBB45_277:
	s_and_not1_saveexec_b32 s6, s6
	s_cbranch_execz .LBB45_279
; %bb.278:
	v_lshlrev_b32_e32 v16, 2, v0
	v_lshlrev_b32_e32 v15, 2, v15
	v_readfirstlane_b32 s8, v9
	v_readfirstlane_b32 s9, v10
	ds_load_b32 v16, v16 offset:4096
	s_waitcnt lgkmcnt(0)
	global_store_b32 v15, v16, s[8:9]
.LBB45_279:
	s_or_b32 exec_lo, exec_lo, s6
                                        ; implicit-def: $vgpr15
.LBB45_280:
	s_and_not1_saveexec_b32 s5, s5
	s_cbranch_execz .LBB45_282
; %bb.281:
	v_lshlrev_b32_e32 v16, 2, v0
	v_lshlrev_b32_e32 v15, 2, v15
	v_readfirstlane_b32 s6, v11
	v_readfirstlane_b32 s7, v12
	ds_load_b32 v16, v16 offset:4096
	s_waitcnt lgkmcnt(0)
	global_store_b32 v15, v16, s[6:7]
.LBB45_282:
	s_or_b32 exec_lo, exec_lo, s3
	v_or_b32_e32 v15, 0x500, v0
	s_mov_b32 s3, exec_lo
	s_delay_alu instid0(VALU_DEP_1)
	v_cmpx_gt_u32_e64 s4, v15
	s_cbranch_execz .LBB45_291
; %bb.283:
	s_mov_b32 s5, exec_lo
	v_cmpx_le_u32_e64 v5, v15
	s_xor_b32 s5, exec_lo, s5
	s_cbranch_execz .LBB45_289
; %bb.284:
	s_mov_b32 s6, exec_lo
	v_cmpx_le_u32_e64 v14, v15
	s_xor_b32 s6, exec_lo, s6
	s_cbranch_execz .LBB45_286
; %bb.285:
	v_lshlrev_b32_e32 v16, 2, v0
	v_add_co_u32 v15, vcc_lo, v7, v15
	ds_load_b32 v17, v16 offset:5120
	v_add_co_ci_u32_e32 v16, vcc_lo, 0, v13, vcc_lo
	s_delay_alu instid0(VALU_DEP_1) | instskip(NEXT) | instid1(VALU_DEP_1)
	v_lshlrev_b64 v[15:16], 2, v[15:16]
	v_sub_co_u32 v15, vcc_lo, s1, v15
	s_delay_alu instid0(VALU_DEP_2)
	v_sub_co_ci_u32_e32 v16, vcc_lo, s0, v16, vcc_lo
	s_waitcnt lgkmcnt(0)
	global_store_b32 v[15:16], v17, off
                                        ; implicit-def: $vgpr15
.LBB45_286:
	s_and_not1_saveexec_b32 s6, s6
	s_cbranch_execz .LBB45_288
; %bb.287:
	v_lshlrev_b32_e32 v16, 2, v0
	v_lshlrev_b32_e32 v15, 2, v15
	v_readfirstlane_b32 s8, v9
	v_readfirstlane_b32 s9, v10
	ds_load_b32 v16, v16 offset:5120
	s_waitcnt lgkmcnt(0)
	global_store_b32 v15, v16, s[8:9]
.LBB45_288:
	s_or_b32 exec_lo, exec_lo, s6
                                        ; implicit-def: $vgpr15
.LBB45_289:
	s_and_not1_saveexec_b32 s5, s5
	s_cbranch_execz .LBB45_291
; %bb.290:
	v_lshlrev_b32_e32 v16, 2, v0
	v_lshlrev_b32_e32 v15, 2, v15
	v_readfirstlane_b32 s6, v11
	v_readfirstlane_b32 s7, v12
	ds_load_b32 v16, v16 offset:5120
	s_waitcnt lgkmcnt(0)
	global_store_b32 v15, v16, s[6:7]
.LBB45_291:
	s_or_b32 exec_lo, exec_lo, s3
	v_or_b32_e32 v15, 0x600, v0
	s_mov_b32 s3, exec_lo
	s_delay_alu instid0(VALU_DEP_1)
	v_cmpx_gt_u32_e64 s4, v15
	s_cbranch_execz .LBB45_300
; %bb.292:
	s_mov_b32 s5, exec_lo
	v_cmpx_le_u32_e64 v5, v15
	s_xor_b32 s5, exec_lo, s5
	s_cbranch_execz .LBB45_298
; %bb.293:
	s_mov_b32 s6, exec_lo
	v_cmpx_le_u32_e64 v14, v15
	s_xor_b32 s6, exec_lo, s6
	s_cbranch_execz .LBB45_295
; %bb.294:
	v_lshlrev_b32_e32 v16, 2, v0
	v_add_co_u32 v15, vcc_lo, v7, v15
	ds_load_b32 v17, v16 offset:6144
	v_add_co_ci_u32_e32 v16, vcc_lo, 0, v13, vcc_lo
	s_delay_alu instid0(VALU_DEP_1) | instskip(NEXT) | instid1(VALU_DEP_1)
	v_lshlrev_b64 v[15:16], 2, v[15:16]
	v_sub_co_u32 v15, vcc_lo, s1, v15
	s_delay_alu instid0(VALU_DEP_2)
	v_sub_co_ci_u32_e32 v16, vcc_lo, s0, v16, vcc_lo
	s_waitcnt lgkmcnt(0)
	global_store_b32 v[15:16], v17, off
                                        ; implicit-def: $vgpr15
.LBB45_295:
	s_and_not1_saveexec_b32 s6, s6
	s_cbranch_execz .LBB45_297
; %bb.296:
	v_lshlrev_b32_e32 v16, 2, v0
	v_lshlrev_b32_e32 v15, 2, v15
	v_readfirstlane_b32 s8, v9
	v_readfirstlane_b32 s9, v10
	ds_load_b32 v16, v16 offset:6144
	s_waitcnt lgkmcnt(0)
	global_store_b32 v15, v16, s[8:9]
.LBB45_297:
	s_or_b32 exec_lo, exec_lo, s6
                                        ; implicit-def: $vgpr15
.LBB45_298:
	s_and_not1_saveexec_b32 s5, s5
	s_cbranch_execz .LBB45_300
; %bb.299:
	v_lshlrev_b32_e32 v16, 2, v0
	v_lshlrev_b32_e32 v15, 2, v15
	v_readfirstlane_b32 s6, v11
	v_readfirstlane_b32 s7, v12
	ds_load_b32 v16, v16 offset:6144
	s_waitcnt lgkmcnt(0)
	global_store_b32 v15, v16, s[6:7]
.LBB45_300:
	;; [unrolled: 55-line block ×7, first 2 shown]
	s_or_b32 exec_lo, exec_lo, s3
	v_or_b32_e32 v15, 0xc00, v0
	s_mov_b32 s3, exec_lo
	s_delay_alu instid0(VALU_DEP_1)
	v_cmpx_gt_u32_e64 s4, v15
	s_cbranch_execz .LBB45_354
; %bb.346:
	s_mov_b32 s4, exec_lo
	v_cmpx_le_u32_e64 v5, v15
	s_xor_b32 s4, exec_lo, s4
	s_cbranch_execz .LBB45_352
; %bb.347:
	s_mov_b32 s5, exec_lo
	v_cmpx_le_u32_e64 v14, v15
	s_xor_b32 s5, exec_lo, s5
	s_cbranch_execz .LBB45_349
; %bb.348:
	v_lshlrev_b32_e32 v0, 2, v0
	v_add_co_u32 v9, vcc_lo, v7, v15
	v_add_co_ci_u32_e32 v10, vcc_lo, 0, v13, vcc_lo
	ds_load_b32 v0, v0 offset:12288
                                        ; implicit-def: $vgpr15
	v_lshlrev_b64 v[9:10], 2, v[9:10]
	s_delay_alu instid0(VALU_DEP_1) | instskip(NEXT) | instid1(VALU_DEP_2)
	v_sub_co_u32 v9, vcc_lo, s1, v9
	v_sub_co_ci_u32_e32 v10, vcc_lo, s0, v10, vcc_lo
	s_waitcnt lgkmcnt(0)
	global_store_b32 v[9:10], v0, off
                                        ; implicit-def: $vgpr0
                                        ; implicit-def: $vgpr9_vgpr10
.LBB45_349:
	s_and_not1_saveexec_b32 s0, s5
	s_cbranch_execz .LBB45_351
; %bb.350:
	v_lshlrev_b32_e32 v0, 2, v0
	v_lshlrev_b32_e32 v7, 2, v15
	v_readfirstlane_b32 s6, v9
	v_readfirstlane_b32 s7, v10
	ds_load_b32 v0, v0 offset:12288
	s_waitcnt lgkmcnt(0)
	global_store_b32 v7, v0, s[6:7]
.LBB45_351:
	s_or_b32 exec_lo, exec_lo, s0
                                        ; implicit-def: $vgpr0
                                        ; implicit-def: $vgpr15
                                        ; implicit-def: $vgpr11_vgpr12
.LBB45_352:
	s_and_not1_saveexec_b32 s0, s4
	s_cbranch_execz .LBB45_354
; %bb.353:
	v_lshlrev_b32_e32 v0, 2, v0
	v_lshlrev_b32_e32 v7, 2, v15
	v_readfirstlane_b32 s0, v11
	v_readfirstlane_b32 s1, v12
	ds_load_b32 v0, v0 offset:12288
	s_waitcnt lgkmcnt(0)
	global_store_b32 v7, v0, s[0:1]
.LBB45_354:
	s_or_b32 exec_lo, exec_lo, s3
	s_and_b32 s0, s2, s13
	s_delay_alu instid0(SALU_CYCLE_1)
	s_and_saveexec_b32 s1, s0
	s_cbranch_execz .LBB45_131
.LBB45_355:
	v_add_co_u32 v3, vcc_lo, v3, v6
	v_add_co_ci_u32_e32 v4, vcc_lo, 0, v4, vcc_lo
	v_add_co_u32 v0, vcc_lo, v1, v5
	v_add_co_ci_u32_e32 v1, vcc_lo, 0, v2, vcc_lo
	s_delay_alu instid0(VALU_DEP_4)
	v_add_co_u32 v2, vcc_lo, v3, v8
	v_mov_b32_e32 v7, 0
	v_add_co_ci_u32_e32 v3, vcc_lo, 0, v4, vcc_lo
	global_store_b128 v7, v[0:3], s[24:25]
	s_nop 0
	s_sendmsg sendmsg(MSG_DEALLOC_VGPRS)
	s_endpgm
.LBB45_356:
	v_add_nc_u32_e32 v7, s6, v27
	s_add_i32 s8, s26, 32
	s_mov_b32 s9, 0
	v_dual_mov_b32 v9, 0 :: v_dual_add_nc_u32 v6, v26, v5
	s_lshl_b64 s[8:9], s[8:9], 4
	v_and_b32_e32 v24, 0xff0000, v7
	s_add_u32 s8, s36, s8
	s_addc_u32 s9, s37, s9
	v_and_b32_e32 v8, 0xff000000, v7
	s_delay_alu instid0(VALU_DEP_1) | instskip(SKIP_2) | instid1(VALU_DEP_1)
	v_or_b32_e32 v24, v24, v8
	v_dual_mov_b32 v8, 2 :: v_dual_and_b32 v25, 0xff00, v7
	v_and_b32_e32 v7, 0xff, v7
	v_or3_b32 v7, v24, v25, v7
	v_dual_mov_b32 v25, s9 :: v_dual_mov_b32 v24, s8
	;;#ASMSTART
	global_store_dwordx4 v[24:25], v[6:9] off	
s_waitcnt vmcnt(0)
	;;#ASMEND
	s_or_b32 exec_lo, exec_lo, s7
	s_and_saveexec_b32 s7, s3
	s_cbranch_execz .LBB45_115
.LBB45_357:
	v_mov_b32_e32 v6, s6
	v_add_nc_u32_e64 v7, 0x3400, 0
	ds_store_2addr_b32 v7, v5, v6 offset1:2
	ds_store_2addr_b32 v7, v26, v27 offset0:4 offset1:6
	s_or_b32 exec_lo, exec_lo, s7
	s_delay_alu instid0(SALU_CYCLE_1)
	s_and_b32 exec_lo, exec_lo, s2
	s_cbranch_execnz .LBB45_116
	s_branch .LBB45_117
	.section	.rodata,"a",@progbits
	.p2align	6, 0x0
	.amdhsa_kernel _ZN7rocprim17ROCPRIM_400000_NS6detail17trampoline_kernelINS0_13select_configILj256ELj13ELNS0_17block_load_methodE3ELS4_3ELS4_3ELNS0_20block_scan_algorithmE0ELj4294967295EEENS1_25partition_config_selectorILNS1_17partition_subalgoE4EjNS0_10empty_typeEbEEZZNS1_14partition_implILS8_4ELb0ES6_15HIP_vector_typeIjLj2EENS0_17counting_iteratorIjlEEPS9_SG_NS0_5tupleIJPjSI_NS0_16reverse_iteratorISI_EEEEENSH_IJSG_SG_SG_EEES9_SI_JZNS1_25segmented_radix_sort_implINS0_14default_configELb1EPKhPhPKlPlN2at6native12_GLOBAL__N_18offset_tEEE10hipError_tPvRmT1_PNSt15iterator_traitsIS12_E10value_typeET2_T3_PNS13_IS18_E10value_typeET4_jRbjT5_S1E_jjP12ihipStream_tbEUljE_ZNSN_ISO_Lb1ESQ_SR_ST_SU_SY_EESZ_S10_S11_S12_S16_S17_S18_S1B_S1C_jS1D_jS1E_S1E_jjS1G_bEUljE0_EEESZ_S10_S11_S18_S1C_S1E_T6_T7_T9_mT8_S1G_bDpT10_ENKUlT_T0_E_clISt17integral_constantIbLb0EES1T_IbLb1EEEEDaS1P_S1Q_EUlS1P_E_NS1_11comp_targetILNS1_3genE9ELNS1_11target_archE1100ELNS1_3gpuE3ELNS1_3repE0EEENS1_30default_config_static_selectorELNS0_4arch9wavefront6targetE0EEEvS12_
		.amdhsa_group_segment_fixed_size 13340
		.amdhsa_private_segment_fixed_size 0
		.amdhsa_kernarg_size 184
		.amdhsa_user_sgpr_count 15
		.amdhsa_user_sgpr_dispatch_ptr 0
		.amdhsa_user_sgpr_queue_ptr 0
		.amdhsa_user_sgpr_kernarg_segment_ptr 1
		.amdhsa_user_sgpr_dispatch_id 0
		.amdhsa_user_sgpr_private_segment_size 0
		.amdhsa_wavefront_size32 1
		.amdhsa_uses_dynamic_stack 0
		.amdhsa_enable_private_segment 0
		.amdhsa_system_sgpr_workgroup_id_x 1
		.amdhsa_system_sgpr_workgroup_id_y 0
		.amdhsa_system_sgpr_workgroup_id_z 0
		.amdhsa_system_sgpr_workgroup_info 0
		.amdhsa_system_vgpr_workitem_id 0
		.amdhsa_next_free_vgpr 103
		.amdhsa_next_free_sgpr 55
		.amdhsa_reserve_vcc 1
		.amdhsa_float_round_mode_32 0
		.amdhsa_float_round_mode_16_64 0
		.amdhsa_float_denorm_mode_32 3
		.amdhsa_float_denorm_mode_16_64 3
		.amdhsa_dx10_clamp 1
		.amdhsa_ieee_mode 1
		.amdhsa_fp16_overflow 0
		.amdhsa_workgroup_processor_mode 1
		.amdhsa_memory_ordered 1
		.amdhsa_forward_progress 0
		.amdhsa_shared_vgpr_count 0
		.amdhsa_exception_fp_ieee_invalid_op 0
		.amdhsa_exception_fp_denorm_src 0
		.amdhsa_exception_fp_ieee_div_zero 0
		.amdhsa_exception_fp_ieee_overflow 0
		.amdhsa_exception_fp_ieee_underflow 0
		.amdhsa_exception_fp_ieee_inexact 0
		.amdhsa_exception_int_div_zero 0
	.end_amdhsa_kernel
	.section	.text._ZN7rocprim17ROCPRIM_400000_NS6detail17trampoline_kernelINS0_13select_configILj256ELj13ELNS0_17block_load_methodE3ELS4_3ELS4_3ELNS0_20block_scan_algorithmE0ELj4294967295EEENS1_25partition_config_selectorILNS1_17partition_subalgoE4EjNS0_10empty_typeEbEEZZNS1_14partition_implILS8_4ELb0ES6_15HIP_vector_typeIjLj2EENS0_17counting_iteratorIjlEEPS9_SG_NS0_5tupleIJPjSI_NS0_16reverse_iteratorISI_EEEEENSH_IJSG_SG_SG_EEES9_SI_JZNS1_25segmented_radix_sort_implINS0_14default_configELb1EPKhPhPKlPlN2at6native12_GLOBAL__N_18offset_tEEE10hipError_tPvRmT1_PNSt15iterator_traitsIS12_E10value_typeET2_T3_PNS13_IS18_E10value_typeET4_jRbjT5_S1E_jjP12ihipStream_tbEUljE_ZNSN_ISO_Lb1ESQ_SR_ST_SU_SY_EESZ_S10_S11_S12_S16_S17_S18_S1B_S1C_jS1D_jS1E_S1E_jjS1G_bEUljE0_EEESZ_S10_S11_S18_S1C_S1E_T6_T7_T9_mT8_S1G_bDpT10_ENKUlT_T0_E_clISt17integral_constantIbLb0EES1T_IbLb1EEEEDaS1P_S1Q_EUlS1P_E_NS1_11comp_targetILNS1_3genE9ELNS1_11target_archE1100ELNS1_3gpuE3ELNS1_3repE0EEENS1_30default_config_static_selectorELNS0_4arch9wavefront6targetE0EEEvS12_,"axG",@progbits,_ZN7rocprim17ROCPRIM_400000_NS6detail17trampoline_kernelINS0_13select_configILj256ELj13ELNS0_17block_load_methodE3ELS4_3ELS4_3ELNS0_20block_scan_algorithmE0ELj4294967295EEENS1_25partition_config_selectorILNS1_17partition_subalgoE4EjNS0_10empty_typeEbEEZZNS1_14partition_implILS8_4ELb0ES6_15HIP_vector_typeIjLj2EENS0_17counting_iteratorIjlEEPS9_SG_NS0_5tupleIJPjSI_NS0_16reverse_iteratorISI_EEEEENSH_IJSG_SG_SG_EEES9_SI_JZNS1_25segmented_radix_sort_implINS0_14default_configELb1EPKhPhPKlPlN2at6native12_GLOBAL__N_18offset_tEEE10hipError_tPvRmT1_PNSt15iterator_traitsIS12_E10value_typeET2_T3_PNS13_IS18_E10value_typeET4_jRbjT5_S1E_jjP12ihipStream_tbEUljE_ZNSN_ISO_Lb1ESQ_SR_ST_SU_SY_EESZ_S10_S11_S12_S16_S17_S18_S1B_S1C_jS1D_jS1E_S1E_jjS1G_bEUljE0_EEESZ_S10_S11_S18_S1C_S1E_T6_T7_T9_mT8_S1G_bDpT10_ENKUlT_T0_E_clISt17integral_constantIbLb0EES1T_IbLb1EEEEDaS1P_S1Q_EUlS1P_E_NS1_11comp_targetILNS1_3genE9ELNS1_11target_archE1100ELNS1_3gpuE3ELNS1_3repE0EEENS1_30default_config_static_selectorELNS0_4arch9wavefront6targetE0EEEvS12_,comdat
.Lfunc_end45:
	.size	_ZN7rocprim17ROCPRIM_400000_NS6detail17trampoline_kernelINS0_13select_configILj256ELj13ELNS0_17block_load_methodE3ELS4_3ELS4_3ELNS0_20block_scan_algorithmE0ELj4294967295EEENS1_25partition_config_selectorILNS1_17partition_subalgoE4EjNS0_10empty_typeEbEEZZNS1_14partition_implILS8_4ELb0ES6_15HIP_vector_typeIjLj2EENS0_17counting_iteratorIjlEEPS9_SG_NS0_5tupleIJPjSI_NS0_16reverse_iteratorISI_EEEEENSH_IJSG_SG_SG_EEES9_SI_JZNS1_25segmented_radix_sort_implINS0_14default_configELb1EPKhPhPKlPlN2at6native12_GLOBAL__N_18offset_tEEE10hipError_tPvRmT1_PNSt15iterator_traitsIS12_E10value_typeET2_T3_PNS13_IS18_E10value_typeET4_jRbjT5_S1E_jjP12ihipStream_tbEUljE_ZNSN_ISO_Lb1ESQ_SR_ST_SU_SY_EESZ_S10_S11_S12_S16_S17_S18_S1B_S1C_jS1D_jS1E_S1E_jjS1G_bEUljE0_EEESZ_S10_S11_S18_S1C_S1E_T6_T7_T9_mT8_S1G_bDpT10_ENKUlT_T0_E_clISt17integral_constantIbLb0EES1T_IbLb1EEEEDaS1P_S1Q_EUlS1P_E_NS1_11comp_targetILNS1_3genE9ELNS1_11target_archE1100ELNS1_3gpuE3ELNS1_3repE0EEENS1_30default_config_static_selectorELNS0_4arch9wavefront6targetE0EEEvS12_, .Lfunc_end45-_ZN7rocprim17ROCPRIM_400000_NS6detail17trampoline_kernelINS0_13select_configILj256ELj13ELNS0_17block_load_methodE3ELS4_3ELS4_3ELNS0_20block_scan_algorithmE0ELj4294967295EEENS1_25partition_config_selectorILNS1_17partition_subalgoE4EjNS0_10empty_typeEbEEZZNS1_14partition_implILS8_4ELb0ES6_15HIP_vector_typeIjLj2EENS0_17counting_iteratorIjlEEPS9_SG_NS0_5tupleIJPjSI_NS0_16reverse_iteratorISI_EEEEENSH_IJSG_SG_SG_EEES9_SI_JZNS1_25segmented_radix_sort_implINS0_14default_configELb1EPKhPhPKlPlN2at6native12_GLOBAL__N_18offset_tEEE10hipError_tPvRmT1_PNSt15iterator_traitsIS12_E10value_typeET2_T3_PNS13_IS18_E10value_typeET4_jRbjT5_S1E_jjP12ihipStream_tbEUljE_ZNSN_ISO_Lb1ESQ_SR_ST_SU_SY_EESZ_S10_S11_S12_S16_S17_S18_S1B_S1C_jS1D_jS1E_S1E_jjS1G_bEUljE0_EEESZ_S10_S11_S18_S1C_S1E_T6_T7_T9_mT8_S1G_bDpT10_ENKUlT_T0_E_clISt17integral_constantIbLb0EES1T_IbLb1EEEEDaS1P_S1Q_EUlS1P_E_NS1_11comp_targetILNS1_3genE9ELNS1_11target_archE1100ELNS1_3gpuE3ELNS1_3repE0EEENS1_30default_config_static_selectorELNS0_4arch9wavefront6targetE0EEEvS12_
                                        ; -- End function
	.section	.AMDGPU.csdata,"",@progbits
; Kernel info:
; codeLenInByte = 15060
; NumSgprs: 57
; NumVgprs: 103
; ScratchSize: 0
; MemoryBound: 0
; FloatMode: 240
; IeeeMode: 1
; LDSByteSize: 13340 bytes/workgroup (compile time only)
; SGPRBlocks: 7
; VGPRBlocks: 12
; NumSGPRsForWavesPerEU: 57
; NumVGPRsForWavesPerEU: 103
; Occupancy: 12
; WaveLimiterHint : 1
; COMPUTE_PGM_RSRC2:SCRATCH_EN: 0
; COMPUTE_PGM_RSRC2:USER_SGPR: 15
; COMPUTE_PGM_RSRC2:TRAP_HANDLER: 0
; COMPUTE_PGM_RSRC2:TGID_X_EN: 1
; COMPUTE_PGM_RSRC2:TGID_Y_EN: 0
; COMPUTE_PGM_RSRC2:TGID_Z_EN: 0
; COMPUTE_PGM_RSRC2:TIDIG_COMP_CNT: 0
	.section	.text._ZN7rocprim17ROCPRIM_400000_NS6detail17trampoline_kernelINS0_13select_configILj256ELj13ELNS0_17block_load_methodE3ELS4_3ELS4_3ELNS0_20block_scan_algorithmE0ELj4294967295EEENS1_25partition_config_selectorILNS1_17partition_subalgoE4EjNS0_10empty_typeEbEEZZNS1_14partition_implILS8_4ELb0ES6_15HIP_vector_typeIjLj2EENS0_17counting_iteratorIjlEEPS9_SG_NS0_5tupleIJPjSI_NS0_16reverse_iteratorISI_EEEEENSH_IJSG_SG_SG_EEES9_SI_JZNS1_25segmented_radix_sort_implINS0_14default_configELb1EPKhPhPKlPlN2at6native12_GLOBAL__N_18offset_tEEE10hipError_tPvRmT1_PNSt15iterator_traitsIS12_E10value_typeET2_T3_PNS13_IS18_E10value_typeET4_jRbjT5_S1E_jjP12ihipStream_tbEUljE_ZNSN_ISO_Lb1ESQ_SR_ST_SU_SY_EESZ_S10_S11_S12_S16_S17_S18_S1B_S1C_jS1D_jS1E_S1E_jjS1G_bEUljE0_EEESZ_S10_S11_S18_S1C_S1E_T6_T7_T9_mT8_S1G_bDpT10_ENKUlT_T0_E_clISt17integral_constantIbLb0EES1T_IbLb1EEEEDaS1P_S1Q_EUlS1P_E_NS1_11comp_targetILNS1_3genE8ELNS1_11target_archE1030ELNS1_3gpuE2ELNS1_3repE0EEENS1_30default_config_static_selectorELNS0_4arch9wavefront6targetE0EEEvS12_,"axG",@progbits,_ZN7rocprim17ROCPRIM_400000_NS6detail17trampoline_kernelINS0_13select_configILj256ELj13ELNS0_17block_load_methodE3ELS4_3ELS4_3ELNS0_20block_scan_algorithmE0ELj4294967295EEENS1_25partition_config_selectorILNS1_17partition_subalgoE4EjNS0_10empty_typeEbEEZZNS1_14partition_implILS8_4ELb0ES6_15HIP_vector_typeIjLj2EENS0_17counting_iteratorIjlEEPS9_SG_NS0_5tupleIJPjSI_NS0_16reverse_iteratorISI_EEEEENSH_IJSG_SG_SG_EEES9_SI_JZNS1_25segmented_radix_sort_implINS0_14default_configELb1EPKhPhPKlPlN2at6native12_GLOBAL__N_18offset_tEEE10hipError_tPvRmT1_PNSt15iterator_traitsIS12_E10value_typeET2_T3_PNS13_IS18_E10value_typeET4_jRbjT5_S1E_jjP12ihipStream_tbEUljE_ZNSN_ISO_Lb1ESQ_SR_ST_SU_SY_EESZ_S10_S11_S12_S16_S17_S18_S1B_S1C_jS1D_jS1E_S1E_jjS1G_bEUljE0_EEESZ_S10_S11_S18_S1C_S1E_T6_T7_T9_mT8_S1G_bDpT10_ENKUlT_T0_E_clISt17integral_constantIbLb0EES1T_IbLb1EEEEDaS1P_S1Q_EUlS1P_E_NS1_11comp_targetILNS1_3genE8ELNS1_11target_archE1030ELNS1_3gpuE2ELNS1_3repE0EEENS1_30default_config_static_selectorELNS0_4arch9wavefront6targetE0EEEvS12_,comdat
	.globl	_ZN7rocprim17ROCPRIM_400000_NS6detail17trampoline_kernelINS0_13select_configILj256ELj13ELNS0_17block_load_methodE3ELS4_3ELS4_3ELNS0_20block_scan_algorithmE0ELj4294967295EEENS1_25partition_config_selectorILNS1_17partition_subalgoE4EjNS0_10empty_typeEbEEZZNS1_14partition_implILS8_4ELb0ES6_15HIP_vector_typeIjLj2EENS0_17counting_iteratorIjlEEPS9_SG_NS0_5tupleIJPjSI_NS0_16reverse_iteratorISI_EEEEENSH_IJSG_SG_SG_EEES9_SI_JZNS1_25segmented_radix_sort_implINS0_14default_configELb1EPKhPhPKlPlN2at6native12_GLOBAL__N_18offset_tEEE10hipError_tPvRmT1_PNSt15iterator_traitsIS12_E10value_typeET2_T3_PNS13_IS18_E10value_typeET4_jRbjT5_S1E_jjP12ihipStream_tbEUljE_ZNSN_ISO_Lb1ESQ_SR_ST_SU_SY_EESZ_S10_S11_S12_S16_S17_S18_S1B_S1C_jS1D_jS1E_S1E_jjS1G_bEUljE0_EEESZ_S10_S11_S18_S1C_S1E_T6_T7_T9_mT8_S1G_bDpT10_ENKUlT_T0_E_clISt17integral_constantIbLb0EES1T_IbLb1EEEEDaS1P_S1Q_EUlS1P_E_NS1_11comp_targetILNS1_3genE8ELNS1_11target_archE1030ELNS1_3gpuE2ELNS1_3repE0EEENS1_30default_config_static_selectorELNS0_4arch9wavefront6targetE0EEEvS12_ ; -- Begin function _ZN7rocprim17ROCPRIM_400000_NS6detail17trampoline_kernelINS0_13select_configILj256ELj13ELNS0_17block_load_methodE3ELS4_3ELS4_3ELNS0_20block_scan_algorithmE0ELj4294967295EEENS1_25partition_config_selectorILNS1_17partition_subalgoE4EjNS0_10empty_typeEbEEZZNS1_14partition_implILS8_4ELb0ES6_15HIP_vector_typeIjLj2EENS0_17counting_iteratorIjlEEPS9_SG_NS0_5tupleIJPjSI_NS0_16reverse_iteratorISI_EEEEENSH_IJSG_SG_SG_EEES9_SI_JZNS1_25segmented_radix_sort_implINS0_14default_configELb1EPKhPhPKlPlN2at6native12_GLOBAL__N_18offset_tEEE10hipError_tPvRmT1_PNSt15iterator_traitsIS12_E10value_typeET2_T3_PNS13_IS18_E10value_typeET4_jRbjT5_S1E_jjP12ihipStream_tbEUljE_ZNSN_ISO_Lb1ESQ_SR_ST_SU_SY_EESZ_S10_S11_S12_S16_S17_S18_S1B_S1C_jS1D_jS1E_S1E_jjS1G_bEUljE0_EEESZ_S10_S11_S18_S1C_S1E_T6_T7_T9_mT8_S1G_bDpT10_ENKUlT_T0_E_clISt17integral_constantIbLb0EES1T_IbLb1EEEEDaS1P_S1Q_EUlS1P_E_NS1_11comp_targetILNS1_3genE8ELNS1_11target_archE1030ELNS1_3gpuE2ELNS1_3repE0EEENS1_30default_config_static_selectorELNS0_4arch9wavefront6targetE0EEEvS12_
	.p2align	8
	.type	_ZN7rocprim17ROCPRIM_400000_NS6detail17trampoline_kernelINS0_13select_configILj256ELj13ELNS0_17block_load_methodE3ELS4_3ELS4_3ELNS0_20block_scan_algorithmE0ELj4294967295EEENS1_25partition_config_selectorILNS1_17partition_subalgoE4EjNS0_10empty_typeEbEEZZNS1_14partition_implILS8_4ELb0ES6_15HIP_vector_typeIjLj2EENS0_17counting_iteratorIjlEEPS9_SG_NS0_5tupleIJPjSI_NS0_16reverse_iteratorISI_EEEEENSH_IJSG_SG_SG_EEES9_SI_JZNS1_25segmented_radix_sort_implINS0_14default_configELb1EPKhPhPKlPlN2at6native12_GLOBAL__N_18offset_tEEE10hipError_tPvRmT1_PNSt15iterator_traitsIS12_E10value_typeET2_T3_PNS13_IS18_E10value_typeET4_jRbjT5_S1E_jjP12ihipStream_tbEUljE_ZNSN_ISO_Lb1ESQ_SR_ST_SU_SY_EESZ_S10_S11_S12_S16_S17_S18_S1B_S1C_jS1D_jS1E_S1E_jjS1G_bEUljE0_EEESZ_S10_S11_S18_S1C_S1E_T6_T7_T9_mT8_S1G_bDpT10_ENKUlT_T0_E_clISt17integral_constantIbLb0EES1T_IbLb1EEEEDaS1P_S1Q_EUlS1P_E_NS1_11comp_targetILNS1_3genE8ELNS1_11target_archE1030ELNS1_3gpuE2ELNS1_3repE0EEENS1_30default_config_static_selectorELNS0_4arch9wavefront6targetE0EEEvS12_,@function
_ZN7rocprim17ROCPRIM_400000_NS6detail17trampoline_kernelINS0_13select_configILj256ELj13ELNS0_17block_load_methodE3ELS4_3ELS4_3ELNS0_20block_scan_algorithmE0ELj4294967295EEENS1_25partition_config_selectorILNS1_17partition_subalgoE4EjNS0_10empty_typeEbEEZZNS1_14partition_implILS8_4ELb0ES6_15HIP_vector_typeIjLj2EENS0_17counting_iteratorIjlEEPS9_SG_NS0_5tupleIJPjSI_NS0_16reverse_iteratorISI_EEEEENSH_IJSG_SG_SG_EEES9_SI_JZNS1_25segmented_radix_sort_implINS0_14default_configELb1EPKhPhPKlPlN2at6native12_GLOBAL__N_18offset_tEEE10hipError_tPvRmT1_PNSt15iterator_traitsIS12_E10value_typeET2_T3_PNS13_IS18_E10value_typeET4_jRbjT5_S1E_jjP12ihipStream_tbEUljE_ZNSN_ISO_Lb1ESQ_SR_ST_SU_SY_EESZ_S10_S11_S12_S16_S17_S18_S1B_S1C_jS1D_jS1E_S1E_jjS1G_bEUljE0_EEESZ_S10_S11_S18_S1C_S1E_T6_T7_T9_mT8_S1G_bDpT10_ENKUlT_T0_E_clISt17integral_constantIbLb0EES1T_IbLb1EEEEDaS1P_S1Q_EUlS1P_E_NS1_11comp_targetILNS1_3genE8ELNS1_11target_archE1030ELNS1_3gpuE2ELNS1_3repE0EEENS1_30default_config_static_selectorELNS0_4arch9wavefront6targetE0EEEvS12_: ; @_ZN7rocprim17ROCPRIM_400000_NS6detail17trampoline_kernelINS0_13select_configILj256ELj13ELNS0_17block_load_methodE3ELS4_3ELS4_3ELNS0_20block_scan_algorithmE0ELj4294967295EEENS1_25partition_config_selectorILNS1_17partition_subalgoE4EjNS0_10empty_typeEbEEZZNS1_14partition_implILS8_4ELb0ES6_15HIP_vector_typeIjLj2EENS0_17counting_iteratorIjlEEPS9_SG_NS0_5tupleIJPjSI_NS0_16reverse_iteratorISI_EEEEENSH_IJSG_SG_SG_EEES9_SI_JZNS1_25segmented_radix_sort_implINS0_14default_configELb1EPKhPhPKlPlN2at6native12_GLOBAL__N_18offset_tEEE10hipError_tPvRmT1_PNSt15iterator_traitsIS12_E10value_typeET2_T3_PNS13_IS18_E10value_typeET4_jRbjT5_S1E_jjP12ihipStream_tbEUljE_ZNSN_ISO_Lb1ESQ_SR_ST_SU_SY_EESZ_S10_S11_S12_S16_S17_S18_S1B_S1C_jS1D_jS1E_S1E_jjS1G_bEUljE0_EEESZ_S10_S11_S18_S1C_S1E_T6_T7_T9_mT8_S1G_bDpT10_ENKUlT_T0_E_clISt17integral_constantIbLb0EES1T_IbLb1EEEEDaS1P_S1Q_EUlS1P_E_NS1_11comp_targetILNS1_3genE8ELNS1_11target_archE1030ELNS1_3gpuE2ELNS1_3repE0EEENS1_30default_config_static_selectorELNS0_4arch9wavefront6targetE0EEEvS12_
; %bb.0:
	.section	.rodata,"a",@progbits
	.p2align	6, 0x0
	.amdhsa_kernel _ZN7rocprim17ROCPRIM_400000_NS6detail17trampoline_kernelINS0_13select_configILj256ELj13ELNS0_17block_load_methodE3ELS4_3ELS4_3ELNS0_20block_scan_algorithmE0ELj4294967295EEENS1_25partition_config_selectorILNS1_17partition_subalgoE4EjNS0_10empty_typeEbEEZZNS1_14partition_implILS8_4ELb0ES6_15HIP_vector_typeIjLj2EENS0_17counting_iteratorIjlEEPS9_SG_NS0_5tupleIJPjSI_NS0_16reverse_iteratorISI_EEEEENSH_IJSG_SG_SG_EEES9_SI_JZNS1_25segmented_radix_sort_implINS0_14default_configELb1EPKhPhPKlPlN2at6native12_GLOBAL__N_18offset_tEEE10hipError_tPvRmT1_PNSt15iterator_traitsIS12_E10value_typeET2_T3_PNS13_IS18_E10value_typeET4_jRbjT5_S1E_jjP12ihipStream_tbEUljE_ZNSN_ISO_Lb1ESQ_SR_ST_SU_SY_EESZ_S10_S11_S12_S16_S17_S18_S1B_S1C_jS1D_jS1E_S1E_jjS1G_bEUljE0_EEESZ_S10_S11_S18_S1C_S1E_T6_T7_T9_mT8_S1G_bDpT10_ENKUlT_T0_E_clISt17integral_constantIbLb0EES1T_IbLb1EEEEDaS1P_S1Q_EUlS1P_E_NS1_11comp_targetILNS1_3genE8ELNS1_11target_archE1030ELNS1_3gpuE2ELNS1_3repE0EEENS1_30default_config_static_selectorELNS0_4arch9wavefront6targetE0EEEvS12_
		.amdhsa_group_segment_fixed_size 0
		.amdhsa_private_segment_fixed_size 0
		.amdhsa_kernarg_size 184
		.amdhsa_user_sgpr_count 15
		.amdhsa_user_sgpr_dispatch_ptr 0
		.amdhsa_user_sgpr_queue_ptr 0
		.amdhsa_user_sgpr_kernarg_segment_ptr 1
		.amdhsa_user_sgpr_dispatch_id 0
		.amdhsa_user_sgpr_private_segment_size 0
		.amdhsa_wavefront_size32 1
		.amdhsa_uses_dynamic_stack 0
		.amdhsa_enable_private_segment 0
		.amdhsa_system_sgpr_workgroup_id_x 1
		.amdhsa_system_sgpr_workgroup_id_y 0
		.amdhsa_system_sgpr_workgroup_id_z 0
		.amdhsa_system_sgpr_workgroup_info 0
		.amdhsa_system_vgpr_workitem_id 0
		.amdhsa_next_free_vgpr 1
		.amdhsa_next_free_sgpr 1
		.amdhsa_reserve_vcc 0
		.amdhsa_float_round_mode_32 0
		.amdhsa_float_round_mode_16_64 0
		.amdhsa_float_denorm_mode_32 3
		.amdhsa_float_denorm_mode_16_64 3
		.amdhsa_dx10_clamp 1
		.amdhsa_ieee_mode 1
		.amdhsa_fp16_overflow 0
		.amdhsa_workgroup_processor_mode 1
		.amdhsa_memory_ordered 1
		.amdhsa_forward_progress 0
		.amdhsa_shared_vgpr_count 0
		.amdhsa_exception_fp_ieee_invalid_op 0
		.amdhsa_exception_fp_denorm_src 0
		.amdhsa_exception_fp_ieee_div_zero 0
		.amdhsa_exception_fp_ieee_overflow 0
		.amdhsa_exception_fp_ieee_underflow 0
		.amdhsa_exception_fp_ieee_inexact 0
		.amdhsa_exception_int_div_zero 0
	.end_amdhsa_kernel
	.section	.text._ZN7rocprim17ROCPRIM_400000_NS6detail17trampoline_kernelINS0_13select_configILj256ELj13ELNS0_17block_load_methodE3ELS4_3ELS4_3ELNS0_20block_scan_algorithmE0ELj4294967295EEENS1_25partition_config_selectorILNS1_17partition_subalgoE4EjNS0_10empty_typeEbEEZZNS1_14partition_implILS8_4ELb0ES6_15HIP_vector_typeIjLj2EENS0_17counting_iteratorIjlEEPS9_SG_NS0_5tupleIJPjSI_NS0_16reverse_iteratorISI_EEEEENSH_IJSG_SG_SG_EEES9_SI_JZNS1_25segmented_radix_sort_implINS0_14default_configELb1EPKhPhPKlPlN2at6native12_GLOBAL__N_18offset_tEEE10hipError_tPvRmT1_PNSt15iterator_traitsIS12_E10value_typeET2_T3_PNS13_IS18_E10value_typeET4_jRbjT5_S1E_jjP12ihipStream_tbEUljE_ZNSN_ISO_Lb1ESQ_SR_ST_SU_SY_EESZ_S10_S11_S12_S16_S17_S18_S1B_S1C_jS1D_jS1E_S1E_jjS1G_bEUljE0_EEESZ_S10_S11_S18_S1C_S1E_T6_T7_T9_mT8_S1G_bDpT10_ENKUlT_T0_E_clISt17integral_constantIbLb0EES1T_IbLb1EEEEDaS1P_S1Q_EUlS1P_E_NS1_11comp_targetILNS1_3genE8ELNS1_11target_archE1030ELNS1_3gpuE2ELNS1_3repE0EEENS1_30default_config_static_selectorELNS0_4arch9wavefront6targetE0EEEvS12_,"axG",@progbits,_ZN7rocprim17ROCPRIM_400000_NS6detail17trampoline_kernelINS0_13select_configILj256ELj13ELNS0_17block_load_methodE3ELS4_3ELS4_3ELNS0_20block_scan_algorithmE0ELj4294967295EEENS1_25partition_config_selectorILNS1_17partition_subalgoE4EjNS0_10empty_typeEbEEZZNS1_14partition_implILS8_4ELb0ES6_15HIP_vector_typeIjLj2EENS0_17counting_iteratorIjlEEPS9_SG_NS0_5tupleIJPjSI_NS0_16reverse_iteratorISI_EEEEENSH_IJSG_SG_SG_EEES9_SI_JZNS1_25segmented_radix_sort_implINS0_14default_configELb1EPKhPhPKlPlN2at6native12_GLOBAL__N_18offset_tEEE10hipError_tPvRmT1_PNSt15iterator_traitsIS12_E10value_typeET2_T3_PNS13_IS18_E10value_typeET4_jRbjT5_S1E_jjP12ihipStream_tbEUljE_ZNSN_ISO_Lb1ESQ_SR_ST_SU_SY_EESZ_S10_S11_S12_S16_S17_S18_S1B_S1C_jS1D_jS1E_S1E_jjS1G_bEUljE0_EEESZ_S10_S11_S18_S1C_S1E_T6_T7_T9_mT8_S1G_bDpT10_ENKUlT_T0_E_clISt17integral_constantIbLb0EES1T_IbLb1EEEEDaS1P_S1Q_EUlS1P_E_NS1_11comp_targetILNS1_3genE8ELNS1_11target_archE1030ELNS1_3gpuE2ELNS1_3repE0EEENS1_30default_config_static_selectorELNS0_4arch9wavefront6targetE0EEEvS12_,comdat
.Lfunc_end46:
	.size	_ZN7rocprim17ROCPRIM_400000_NS6detail17trampoline_kernelINS0_13select_configILj256ELj13ELNS0_17block_load_methodE3ELS4_3ELS4_3ELNS0_20block_scan_algorithmE0ELj4294967295EEENS1_25partition_config_selectorILNS1_17partition_subalgoE4EjNS0_10empty_typeEbEEZZNS1_14partition_implILS8_4ELb0ES6_15HIP_vector_typeIjLj2EENS0_17counting_iteratorIjlEEPS9_SG_NS0_5tupleIJPjSI_NS0_16reverse_iteratorISI_EEEEENSH_IJSG_SG_SG_EEES9_SI_JZNS1_25segmented_radix_sort_implINS0_14default_configELb1EPKhPhPKlPlN2at6native12_GLOBAL__N_18offset_tEEE10hipError_tPvRmT1_PNSt15iterator_traitsIS12_E10value_typeET2_T3_PNS13_IS18_E10value_typeET4_jRbjT5_S1E_jjP12ihipStream_tbEUljE_ZNSN_ISO_Lb1ESQ_SR_ST_SU_SY_EESZ_S10_S11_S12_S16_S17_S18_S1B_S1C_jS1D_jS1E_S1E_jjS1G_bEUljE0_EEESZ_S10_S11_S18_S1C_S1E_T6_T7_T9_mT8_S1G_bDpT10_ENKUlT_T0_E_clISt17integral_constantIbLb0EES1T_IbLb1EEEEDaS1P_S1Q_EUlS1P_E_NS1_11comp_targetILNS1_3genE8ELNS1_11target_archE1030ELNS1_3gpuE2ELNS1_3repE0EEENS1_30default_config_static_selectorELNS0_4arch9wavefront6targetE0EEEvS12_, .Lfunc_end46-_ZN7rocprim17ROCPRIM_400000_NS6detail17trampoline_kernelINS0_13select_configILj256ELj13ELNS0_17block_load_methodE3ELS4_3ELS4_3ELNS0_20block_scan_algorithmE0ELj4294967295EEENS1_25partition_config_selectorILNS1_17partition_subalgoE4EjNS0_10empty_typeEbEEZZNS1_14partition_implILS8_4ELb0ES6_15HIP_vector_typeIjLj2EENS0_17counting_iteratorIjlEEPS9_SG_NS0_5tupleIJPjSI_NS0_16reverse_iteratorISI_EEEEENSH_IJSG_SG_SG_EEES9_SI_JZNS1_25segmented_radix_sort_implINS0_14default_configELb1EPKhPhPKlPlN2at6native12_GLOBAL__N_18offset_tEEE10hipError_tPvRmT1_PNSt15iterator_traitsIS12_E10value_typeET2_T3_PNS13_IS18_E10value_typeET4_jRbjT5_S1E_jjP12ihipStream_tbEUljE_ZNSN_ISO_Lb1ESQ_SR_ST_SU_SY_EESZ_S10_S11_S12_S16_S17_S18_S1B_S1C_jS1D_jS1E_S1E_jjS1G_bEUljE0_EEESZ_S10_S11_S18_S1C_S1E_T6_T7_T9_mT8_S1G_bDpT10_ENKUlT_T0_E_clISt17integral_constantIbLb0EES1T_IbLb1EEEEDaS1P_S1Q_EUlS1P_E_NS1_11comp_targetILNS1_3genE8ELNS1_11target_archE1030ELNS1_3gpuE2ELNS1_3repE0EEENS1_30default_config_static_selectorELNS0_4arch9wavefront6targetE0EEEvS12_
                                        ; -- End function
	.section	.AMDGPU.csdata,"",@progbits
; Kernel info:
; codeLenInByte = 0
; NumSgprs: 0
; NumVgprs: 0
; ScratchSize: 0
; MemoryBound: 0
; FloatMode: 240
; IeeeMode: 1
; LDSByteSize: 0 bytes/workgroup (compile time only)
; SGPRBlocks: 0
; VGPRBlocks: 0
; NumSGPRsForWavesPerEU: 1
; NumVGPRsForWavesPerEU: 1
; Occupancy: 16
; WaveLimiterHint : 0
; COMPUTE_PGM_RSRC2:SCRATCH_EN: 0
; COMPUTE_PGM_RSRC2:USER_SGPR: 15
; COMPUTE_PGM_RSRC2:TRAP_HANDLER: 0
; COMPUTE_PGM_RSRC2:TGID_X_EN: 1
; COMPUTE_PGM_RSRC2:TGID_Y_EN: 0
; COMPUTE_PGM_RSRC2:TGID_Z_EN: 0
; COMPUTE_PGM_RSRC2:TIDIG_COMP_CNT: 0
	.section	.text._ZN7rocprim17ROCPRIM_400000_NS6detail31init_lookback_scan_state_kernelINS1_19lookback_scan_stateIjLb0ELb1EEENS1_16block_id_wrapperIjLb0EEEEEvT_jT0_jPNS7_10value_typeE,"axG",@progbits,_ZN7rocprim17ROCPRIM_400000_NS6detail31init_lookback_scan_state_kernelINS1_19lookback_scan_stateIjLb0ELb1EEENS1_16block_id_wrapperIjLb0EEEEEvT_jT0_jPNS7_10value_typeE,comdat
	.protected	_ZN7rocprim17ROCPRIM_400000_NS6detail31init_lookback_scan_state_kernelINS1_19lookback_scan_stateIjLb0ELb1EEENS1_16block_id_wrapperIjLb0EEEEEvT_jT0_jPNS7_10value_typeE ; -- Begin function _ZN7rocprim17ROCPRIM_400000_NS6detail31init_lookback_scan_state_kernelINS1_19lookback_scan_stateIjLb0ELb1EEENS1_16block_id_wrapperIjLb0EEEEEvT_jT0_jPNS7_10value_typeE
	.globl	_ZN7rocprim17ROCPRIM_400000_NS6detail31init_lookback_scan_state_kernelINS1_19lookback_scan_stateIjLb0ELb1EEENS1_16block_id_wrapperIjLb0EEEEEvT_jT0_jPNS7_10value_typeE
	.p2align	8
	.type	_ZN7rocprim17ROCPRIM_400000_NS6detail31init_lookback_scan_state_kernelINS1_19lookback_scan_stateIjLb0ELb1EEENS1_16block_id_wrapperIjLb0EEEEEvT_jT0_jPNS7_10value_typeE,@function
_ZN7rocprim17ROCPRIM_400000_NS6detail31init_lookback_scan_state_kernelINS1_19lookback_scan_stateIjLb0ELb1EEENS1_16block_id_wrapperIjLb0EEEEEvT_jT0_jPNS7_10value_typeE: ; @_ZN7rocprim17ROCPRIM_400000_NS6detail31init_lookback_scan_state_kernelINS1_19lookback_scan_stateIjLb0ELb1EEENS1_16block_id_wrapperIjLb0EEEEEvT_jT0_jPNS7_10value_typeE
; %bb.0:
	s_clause 0x3
	s_load_b32 s7, s[0:1], 0x2c
	s_load_b64 s[4:5], s[0:1], 0x18
	s_load_b64 s[2:3], s[0:1], 0x0
	s_load_b32 s6, s[0:1], 0x8
	s_waitcnt lgkmcnt(0)
	s_and_b32 s7, s7, 0xffff
	s_cmp_eq_u64 s[4:5], 0
	v_mad_u64_u32 v[1:2], null, s15, s7, v[0:1]
	s_cbranch_scc1 .LBB47_6
; %bb.1:
	s_load_b32 s0, s[0:1], 0x10
	s_waitcnt lgkmcnt(0)
	s_cmp_lt_u32 s0, s6
	s_cselect_b32 s1, s0, 0
	s_delay_alu instid0(VALU_DEP_1) | instid1(SALU_CYCLE_1)
	v_cmp_eq_u32_e32 vcc_lo, s1, v1
	s_mov_b32 s1, 0
	s_and_saveexec_b32 s7, vcc_lo
	s_cbranch_execz .LBB47_5
; %bb.2:
	s_add_i32 s0, s0, 32
	v_mov_b32_e32 v4, 0
	s_lshl_b64 s[0:1], s[0:1], 3
	s_delay_alu instid0(SALU_CYCLE_1) | instskip(SKIP_4) | instid1(VALU_DEP_1)
	s_add_u32 s0, s2, s0
	s_addc_u32 s1, s3, s1
	global_load_b64 v[2:3], v4, s[0:1] glc
	s_waitcnt vmcnt(0)
	v_and_b32_e32 v5, 0xff, v3
	v_cmp_ne_u64_e32 vcc_lo, 0, v[4:5]
	s_cbranch_vccnz .LBB47_4
.LBB47_3:                               ; =>This Inner Loop Header: Depth=1
	global_load_b64 v[2:3], v4, s[0:1] glc
	s_waitcnt vmcnt(0)
	v_and_b32_e32 v5, 0xff, v3
	s_delay_alu instid0(VALU_DEP_1)
	v_cmp_eq_u64_e32 vcc_lo, 0, v[4:5]
	s_cbranch_vccnz .LBB47_3
.LBB47_4:
	v_mov_b32_e32 v0, 0
	global_store_b32 v0, v2, s[4:5]
.LBB47_5:
	s_or_b32 exec_lo, exec_lo, s7
.LBB47_6:
	s_delay_alu instid0(SALU_CYCLE_1) | instskip(NEXT) | instid1(VALU_DEP_1)
	s_mov_b32 s0, exec_lo
	v_cmpx_gt_u32_e64 s6, v1
	s_cbranch_execz .LBB47_8
; %bb.7:
	v_dual_mov_b32 v3, 0 :: v_dual_add_nc_u32 v2, 32, v1
	s_delay_alu instid0(VALU_DEP_1) | instskip(SKIP_1) | instid1(VALU_DEP_2)
	v_lshlrev_b64 v[4:5], 3, v[2:3]
	v_mov_b32_e32 v2, v3
	v_add_co_u32 v4, vcc_lo, s2, v4
	s_delay_alu instid0(VALU_DEP_3)
	v_add_co_ci_u32_e32 v5, vcc_lo, s3, v5, vcc_lo
	global_store_b64 v[4:5], v[2:3], off
.LBB47_8:
	s_or_b32 exec_lo, exec_lo, s0
	s_delay_alu instid0(SALU_CYCLE_1)
	s_mov_b32 s0, exec_lo
	v_cmpx_gt_u32_e32 32, v1
	s_cbranch_execz .LBB47_10
; %bb.9:
	v_dual_mov_b32 v2, 0 :: v_dual_mov_b32 v3, 0xff
	s_delay_alu instid0(VALU_DEP_1) | instskip(NEXT) | instid1(VALU_DEP_1)
	v_lshlrev_b64 v[0:1], 3, v[1:2]
	v_add_co_u32 v0, vcc_lo, s2, v0
	s_delay_alu instid0(VALU_DEP_2)
	v_add_co_ci_u32_e32 v1, vcc_lo, s3, v1, vcc_lo
	global_store_b64 v[0:1], v[2:3], off
.LBB47_10:
	s_nop 0
	s_sendmsg sendmsg(MSG_DEALLOC_VGPRS)
	s_endpgm
	.section	.rodata,"a",@progbits
	.p2align	6, 0x0
	.amdhsa_kernel _ZN7rocprim17ROCPRIM_400000_NS6detail31init_lookback_scan_state_kernelINS1_19lookback_scan_stateIjLb0ELb1EEENS1_16block_id_wrapperIjLb0EEEEEvT_jT0_jPNS7_10value_typeE
		.amdhsa_group_segment_fixed_size 0
		.amdhsa_private_segment_fixed_size 0
		.amdhsa_kernarg_size 288
		.amdhsa_user_sgpr_count 15
		.amdhsa_user_sgpr_dispatch_ptr 0
		.amdhsa_user_sgpr_queue_ptr 0
		.amdhsa_user_sgpr_kernarg_segment_ptr 1
		.amdhsa_user_sgpr_dispatch_id 0
		.amdhsa_user_sgpr_private_segment_size 0
		.amdhsa_wavefront_size32 1
		.amdhsa_uses_dynamic_stack 0
		.amdhsa_enable_private_segment 0
		.amdhsa_system_sgpr_workgroup_id_x 1
		.amdhsa_system_sgpr_workgroup_id_y 0
		.amdhsa_system_sgpr_workgroup_id_z 0
		.amdhsa_system_sgpr_workgroup_info 0
		.amdhsa_system_vgpr_workitem_id 0
		.amdhsa_next_free_vgpr 6
		.amdhsa_next_free_sgpr 16
		.amdhsa_reserve_vcc 1
		.amdhsa_float_round_mode_32 0
		.amdhsa_float_round_mode_16_64 0
		.amdhsa_float_denorm_mode_32 3
		.amdhsa_float_denorm_mode_16_64 3
		.amdhsa_dx10_clamp 1
		.amdhsa_ieee_mode 1
		.amdhsa_fp16_overflow 0
		.amdhsa_workgroup_processor_mode 1
		.amdhsa_memory_ordered 1
		.amdhsa_forward_progress 0
		.amdhsa_shared_vgpr_count 0
		.amdhsa_exception_fp_ieee_invalid_op 0
		.amdhsa_exception_fp_denorm_src 0
		.amdhsa_exception_fp_ieee_div_zero 0
		.amdhsa_exception_fp_ieee_overflow 0
		.amdhsa_exception_fp_ieee_underflow 0
		.amdhsa_exception_fp_ieee_inexact 0
		.amdhsa_exception_int_div_zero 0
	.end_amdhsa_kernel
	.section	.text._ZN7rocprim17ROCPRIM_400000_NS6detail31init_lookback_scan_state_kernelINS1_19lookback_scan_stateIjLb0ELb1EEENS1_16block_id_wrapperIjLb0EEEEEvT_jT0_jPNS7_10value_typeE,"axG",@progbits,_ZN7rocprim17ROCPRIM_400000_NS6detail31init_lookback_scan_state_kernelINS1_19lookback_scan_stateIjLb0ELb1EEENS1_16block_id_wrapperIjLb0EEEEEvT_jT0_jPNS7_10value_typeE,comdat
.Lfunc_end47:
	.size	_ZN7rocprim17ROCPRIM_400000_NS6detail31init_lookback_scan_state_kernelINS1_19lookback_scan_stateIjLb0ELb1EEENS1_16block_id_wrapperIjLb0EEEEEvT_jT0_jPNS7_10value_typeE, .Lfunc_end47-_ZN7rocprim17ROCPRIM_400000_NS6detail31init_lookback_scan_state_kernelINS1_19lookback_scan_stateIjLb0ELb1EEENS1_16block_id_wrapperIjLb0EEEEEvT_jT0_jPNS7_10value_typeE
                                        ; -- End function
	.section	.AMDGPU.csdata,"",@progbits
; Kernel info:
; codeLenInByte = 352
; NumSgprs: 18
; NumVgprs: 6
; ScratchSize: 0
; MemoryBound: 0
; FloatMode: 240
; IeeeMode: 1
; LDSByteSize: 0 bytes/workgroup (compile time only)
; SGPRBlocks: 2
; VGPRBlocks: 0
; NumSGPRsForWavesPerEU: 18
; NumVGPRsForWavesPerEU: 6
; Occupancy: 16
; WaveLimiterHint : 0
; COMPUTE_PGM_RSRC2:SCRATCH_EN: 0
; COMPUTE_PGM_RSRC2:USER_SGPR: 15
; COMPUTE_PGM_RSRC2:TRAP_HANDLER: 0
; COMPUTE_PGM_RSRC2:TGID_X_EN: 1
; COMPUTE_PGM_RSRC2:TGID_Y_EN: 0
; COMPUTE_PGM_RSRC2:TGID_Z_EN: 0
; COMPUTE_PGM_RSRC2:TIDIG_COMP_CNT: 0
	.section	.text._ZN7rocprim17ROCPRIM_400000_NS6detail17trampoline_kernelINS0_13select_configILj256ELj13ELNS0_17block_load_methodE3ELS4_3ELS4_3ELNS0_20block_scan_algorithmE0ELj4294967295EEENS1_25partition_config_selectorILNS1_17partition_subalgoE3EjNS0_10empty_typeEbEEZZNS1_14partition_implILS8_3ELb0ES6_jNS0_17counting_iteratorIjlEEPS9_SE_NS0_5tupleIJPjSE_EEENSF_IJSE_SE_EEES9_SG_JZNS1_25segmented_radix_sort_implINS0_14default_configELb1EPKhPhPKlPlN2at6native12_GLOBAL__N_18offset_tEEE10hipError_tPvRmT1_PNSt15iterator_traitsISY_E10value_typeET2_T3_PNSZ_IS14_E10value_typeET4_jRbjT5_S1A_jjP12ihipStream_tbEUljE_EEESV_SW_SX_S14_S18_S1A_T6_T7_T9_mT8_S1C_bDpT10_ENKUlT_T0_E_clISt17integral_constantIbLb0EES1P_EEDaS1K_S1L_EUlS1K_E_NS1_11comp_targetILNS1_3genE0ELNS1_11target_archE4294967295ELNS1_3gpuE0ELNS1_3repE0EEENS1_30default_config_static_selectorELNS0_4arch9wavefront6targetE0EEEvSY_,"axG",@progbits,_ZN7rocprim17ROCPRIM_400000_NS6detail17trampoline_kernelINS0_13select_configILj256ELj13ELNS0_17block_load_methodE3ELS4_3ELS4_3ELNS0_20block_scan_algorithmE0ELj4294967295EEENS1_25partition_config_selectorILNS1_17partition_subalgoE3EjNS0_10empty_typeEbEEZZNS1_14partition_implILS8_3ELb0ES6_jNS0_17counting_iteratorIjlEEPS9_SE_NS0_5tupleIJPjSE_EEENSF_IJSE_SE_EEES9_SG_JZNS1_25segmented_radix_sort_implINS0_14default_configELb1EPKhPhPKlPlN2at6native12_GLOBAL__N_18offset_tEEE10hipError_tPvRmT1_PNSt15iterator_traitsISY_E10value_typeET2_T3_PNSZ_IS14_E10value_typeET4_jRbjT5_S1A_jjP12ihipStream_tbEUljE_EEESV_SW_SX_S14_S18_S1A_T6_T7_T9_mT8_S1C_bDpT10_ENKUlT_T0_E_clISt17integral_constantIbLb0EES1P_EEDaS1K_S1L_EUlS1K_E_NS1_11comp_targetILNS1_3genE0ELNS1_11target_archE4294967295ELNS1_3gpuE0ELNS1_3repE0EEENS1_30default_config_static_selectorELNS0_4arch9wavefront6targetE0EEEvSY_,comdat
	.globl	_ZN7rocprim17ROCPRIM_400000_NS6detail17trampoline_kernelINS0_13select_configILj256ELj13ELNS0_17block_load_methodE3ELS4_3ELS4_3ELNS0_20block_scan_algorithmE0ELj4294967295EEENS1_25partition_config_selectorILNS1_17partition_subalgoE3EjNS0_10empty_typeEbEEZZNS1_14partition_implILS8_3ELb0ES6_jNS0_17counting_iteratorIjlEEPS9_SE_NS0_5tupleIJPjSE_EEENSF_IJSE_SE_EEES9_SG_JZNS1_25segmented_radix_sort_implINS0_14default_configELb1EPKhPhPKlPlN2at6native12_GLOBAL__N_18offset_tEEE10hipError_tPvRmT1_PNSt15iterator_traitsISY_E10value_typeET2_T3_PNSZ_IS14_E10value_typeET4_jRbjT5_S1A_jjP12ihipStream_tbEUljE_EEESV_SW_SX_S14_S18_S1A_T6_T7_T9_mT8_S1C_bDpT10_ENKUlT_T0_E_clISt17integral_constantIbLb0EES1P_EEDaS1K_S1L_EUlS1K_E_NS1_11comp_targetILNS1_3genE0ELNS1_11target_archE4294967295ELNS1_3gpuE0ELNS1_3repE0EEENS1_30default_config_static_selectorELNS0_4arch9wavefront6targetE0EEEvSY_ ; -- Begin function _ZN7rocprim17ROCPRIM_400000_NS6detail17trampoline_kernelINS0_13select_configILj256ELj13ELNS0_17block_load_methodE3ELS4_3ELS4_3ELNS0_20block_scan_algorithmE0ELj4294967295EEENS1_25partition_config_selectorILNS1_17partition_subalgoE3EjNS0_10empty_typeEbEEZZNS1_14partition_implILS8_3ELb0ES6_jNS0_17counting_iteratorIjlEEPS9_SE_NS0_5tupleIJPjSE_EEENSF_IJSE_SE_EEES9_SG_JZNS1_25segmented_radix_sort_implINS0_14default_configELb1EPKhPhPKlPlN2at6native12_GLOBAL__N_18offset_tEEE10hipError_tPvRmT1_PNSt15iterator_traitsISY_E10value_typeET2_T3_PNSZ_IS14_E10value_typeET4_jRbjT5_S1A_jjP12ihipStream_tbEUljE_EEESV_SW_SX_S14_S18_S1A_T6_T7_T9_mT8_S1C_bDpT10_ENKUlT_T0_E_clISt17integral_constantIbLb0EES1P_EEDaS1K_S1L_EUlS1K_E_NS1_11comp_targetILNS1_3genE0ELNS1_11target_archE4294967295ELNS1_3gpuE0ELNS1_3repE0EEENS1_30default_config_static_selectorELNS0_4arch9wavefront6targetE0EEEvSY_
	.p2align	8
	.type	_ZN7rocprim17ROCPRIM_400000_NS6detail17trampoline_kernelINS0_13select_configILj256ELj13ELNS0_17block_load_methodE3ELS4_3ELS4_3ELNS0_20block_scan_algorithmE0ELj4294967295EEENS1_25partition_config_selectorILNS1_17partition_subalgoE3EjNS0_10empty_typeEbEEZZNS1_14partition_implILS8_3ELb0ES6_jNS0_17counting_iteratorIjlEEPS9_SE_NS0_5tupleIJPjSE_EEENSF_IJSE_SE_EEES9_SG_JZNS1_25segmented_radix_sort_implINS0_14default_configELb1EPKhPhPKlPlN2at6native12_GLOBAL__N_18offset_tEEE10hipError_tPvRmT1_PNSt15iterator_traitsISY_E10value_typeET2_T3_PNSZ_IS14_E10value_typeET4_jRbjT5_S1A_jjP12ihipStream_tbEUljE_EEESV_SW_SX_S14_S18_S1A_T6_T7_T9_mT8_S1C_bDpT10_ENKUlT_T0_E_clISt17integral_constantIbLb0EES1P_EEDaS1K_S1L_EUlS1K_E_NS1_11comp_targetILNS1_3genE0ELNS1_11target_archE4294967295ELNS1_3gpuE0ELNS1_3repE0EEENS1_30default_config_static_selectorELNS0_4arch9wavefront6targetE0EEEvSY_,@function
_ZN7rocprim17ROCPRIM_400000_NS6detail17trampoline_kernelINS0_13select_configILj256ELj13ELNS0_17block_load_methodE3ELS4_3ELS4_3ELNS0_20block_scan_algorithmE0ELj4294967295EEENS1_25partition_config_selectorILNS1_17partition_subalgoE3EjNS0_10empty_typeEbEEZZNS1_14partition_implILS8_3ELb0ES6_jNS0_17counting_iteratorIjlEEPS9_SE_NS0_5tupleIJPjSE_EEENSF_IJSE_SE_EEES9_SG_JZNS1_25segmented_radix_sort_implINS0_14default_configELb1EPKhPhPKlPlN2at6native12_GLOBAL__N_18offset_tEEE10hipError_tPvRmT1_PNSt15iterator_traitsISY_E10value_typeET2_T3_PNSZ_IS14_E10value_typeET4_jRbjT5_S1A_jjP12ihipStream_tbEUljE_EEESV_SW_SX_S14_S18_S1A_T6_T7_T9_mT8_S1C_bDpT10_ENKUlT_T0_E_clISt17integral_constantIbLb0EES1P_EEDaS1K_S1L_EUlS1K_E_NS1_11comp_targetILNS1_3genE0ELNS1_11target_archE4294967295ELNS1_3gpuE0ELNS1_3repE0EEENS1_30default_config_static_selectorELNS0_4arch9wavefront6targetE0EEEvSY_: ; @_ZN7rocprim17ROCPRIM_400000_NS6detail17trampoline_kernelINS0_13select_configILj256ELj13ELNS0_17block_load_methodE3ELS4_3ELS4_3ELNS0_20block_scan_algorithmE0ELj4294967295EEENS1_25partition_config_selectorILNS1_17partition_subalgoE3EjNS0_10empty_typeEbEEZZNS1_14partition_implILS8_3ELb0ES6_jNS0_17counting_iteratorIjlEEPS9_SE_NS0_5tupleIJPjSE_EEENSF_IJSE_SE_EEES9_SG_JZNS1_25segmented_radix_sort_implINS0_14default_configELb1EPKhPhPKlPlN2at6native12_GLOBAL__N_18offset_tEEE10hipError_tPvRmT1_PNSt15iterator_traitsISY_E10value_typeET2_T3_PNSZ_IS14_E10value_typeET4_jRbjT5_S1A_jjP12ihipStream_tbEUljE_EEESV_SW_SX_S14_S18_S1A_T6_T7_T9_mT8_S1C_bDpT10_ENKUlT_T0_E_clISt17integral_constantIbLb0EES1P_EEDaS1K_S1L_EUlS1K_E_NS1_11comp_targetILNS1_3genE0ELNS1_11target_archE4294967295ELNS1_3gpuE0ELNS1_3repE0EEENS1_30default_config_static_selectorELNS0_4arch9wavefront6targetE0EEEvSY_
; %bb.0:
	.section	.rodata,"a",@progbits
	.p2align	6, 0x0
	.amdhsa_kernel _ZN7rocprim17ROCPRIM_400000_NS6detail17trampoline_kernelINS0_13select_configILj256ELj13ELNS0_17block_load_methodE3ELS4_3ELS4_3ELNS0_20block_scan_algorithmE0ELj4294967295EEENS1_25partition_config_selectorILNS1_17partition_subalgoE3EjNS0_10empty_typeEbEEZZNS1_14partition_implILS8_3ELb0ES6_jNS0_17counting_iteratorIjlEEPS9_SE_NS0_5tupleIJPjSE_EEENSF_IJSE_SE_EEES9_SG_JZNS1_25segmented_radix_sort_implINS0_14default_configELb1EPKhPhPKlPlN2at6native12_GLOBAL__N_18offset_tEEE10hipError_tPvRmT1_PNSt15iterator_traitsISY_E10value_typeET2_T3_PNSZ_IS14_E10value_typeET4_jRbjT5_S1A_jjP12ihipStream_tbEUljE_EEESV_SW_SX_S14_S18_S1A_T6_T7_T9_mT8_S1C_bDpT10_ENKUlT_T0_E_clISt17integral_constantIbLb0EES1P_EEDaS1K_S1L_EUlS1K_E_NS1_11comp_targetILNS1_3genE0ELNS1_11target_archE4294967295ELNS1_3gpuE0ELNS1_3repE0EEENS1_30default_config_static_selectorELNS0_4arch9wavefront6targetE0EEEvSY_
		.amdhsa_group_segment_fixed_size 0
		.amdhsa_private_segment_fixed_size 0
		.amdhsa_kernarg_size 144
		.amdhsa_user_sgpr_count 15
		.amdhsa_user_sgpr_dispatch_ptr 0
		.amdhsa_user_sgpr_queue_ptr 0
		.amdhsa_user_sgpr_kernarg_segment_ptr 1
		.amdhsa_user_sgpr_dispatch_id 0
		.amdhsa_user_sgpr_private_segment_size 0
		.amdhsa_wavefront_size32 1
		.amdhsa_uses_dynamic_stack 0
		.amdhsa_enable_private_segment 0
		.amdhsa_system_sgpr_workgroup_id_x 1
		.amdhsa_system_sgpr_workgroup_id_y 0
		.amdhsa_system_sgpr_workgroup_id_z 0
		.amdhsa_system_sgpr_workgroup_info 0
		.amdhsa_system_vgpr_workitem_id 0
		.amdhsa_next_free_vgpr 1
		.amdhsa_next_free_sgpr 1
		.amdhsa_reserve_vcc 0
		.amdhsa_float_round_mode_32 0
		.amdhsa_float_round_mode_16_64 0
		.amdhsa_float_denorm_mode_32 3
		.amdhsa_float_denorm_mode_16_64 3
		.amdhsa_dx10_clamp 1
		.amdhsa_ieee_mode 1
		.amdhsa_fp16_overflow 0
		.amdhsa_workgroup_processor_mode 1
		.amdhsa_memory_ordered 1
		.amdhsa_forward_progress 0
		.amdhsa_shared_vgpr_count 0
		.amdhsa_exception_fp_ieee_invalid_op 0
		.amdhsa_exception_fp_denorm_src 0
		.amdhsa_exception_fp_ieee_div_zero 0
		.amdhsa_exception_fp_ieee_overflow 0
		.amdhsa_exception_fp_ieee_underflow 0
		.amdhsa_exception_fp_ieee_inexact 0
		.amdhsa_exception_int_div_zero 0
	.end_amdhsa_kernel
	.section	.text._ZN7rocprim17ROCPRIM_400000_NS6detail17trampoline_kernelINS0_13select_configILj256ELj13ELNS0_17block_load_methodE3ELS4_3ELS4_3ELNS0_20block_scan_algorithmE0ELj4294967295EEENS1_25partition_config_selectorILNS1_17partition_subalgoE3EjNS0_10empty_typeEbEEZZNS1_14partition_implILS8_3ELb0ES6_jNS0_17counting_iteratorIjlEEPS9_SE_NS0_5tupleIJPjSE_EEENSF_IJSE_SE_EEES9_SG_JZNS1_25segmented_radix_sort_implINS0_14default_configELb1EPKhPhPKlPlN2at6native12_GLOBAL__N_18offset_tEEE10hipError_tPvRmT1_PNSt15iterator_traitsISY_E10value_typeET2_T3_PNSZ_IS14_E10value_typeET4_jRbjT5_S1A_jjP12ihipStream_tbEUljE_EEESV_SW_SX_S14_S18_S1A_T6_T7_T9_mT8_S1C_bDpT10_ENKUlT_T0_E_clISt17integral_constantIbLb0EES1P_EEDaS1K_S1L_EUlS1K_E_NS1_11comp_targetILNS1_3genE0ELNS1_11target_archE4294967295ELNS1_3gpuE0ELNS1_3repE0EEENS1_30default_config_static_selectorELNS0_4arch9wavefront6targetE0EEEvSY_,"axG",@progbits,_ZN7rocprim17ROCPRIM_400000_NS6detail17trampoline_kernelINS0_13select_configILj256ELj13ELNS0_17block_load_methodE3ELS4_3ELS4_3ELNS0_20block_scan_algorithmE0ELj4294967295EEENS1_25partition_config_selectorILNS1_17partition_subalgoE3EjNS0_10empty_typeEbEEZZNS1_14partition_implILS8_3ELb0ES6_jNS0_17counting_iteratorIjlEEPS9_SE_NS0_5tupleIJPjSE_EEENSF_IJSE_SE_EEES9_SG_JZNS1_25segmented_radix_sort_implINS0_14default_configELb1EPKhPhPKlPlN2at6native12_GLOBAL__N_18offset_tEEE10hipError_tPvRmT1_PNSt15iterator_traitsISY_E10value_typeET2_T3_PNSZ_IS14_E10value_typeET4_jRbjT5_S1A_jjP12ihipStream_tbEUljE_EEESV_SW_SX_S14_S18_S1A_T6_T7_T9_mT8_S1C_bDpT10_ENKUlT_T0_E_clISt17integral_constantIbLb0EES1P_EEDaS1K_S1L_EUlS1K_E_NS1_11comp_targetILNS1_3genE0ELNS1_11target_archE4294967295ELNS1_3gpuE0ELNS1_3repE0EEENS1_30default_config_static_selectorELNS0_4arch9wavefront6targetE0EEEvSY_,comdat
.Lfunc_end48:
	.size	_ZN7rocprim17ROCPRIM_400000_NS6detail17trampoline_kernelINS0_13select_configILj256ELj13ELNS0_17block_load_methodE3ELS4_3ELS4_3ELNS0_20block_scan_algorithmE0ELj4294967295EEENS1_25partition_config_selectorILNS1_17partition_subalgoE3EjNS0_10empty_typeEbEEZZNS1_14partition_implILS8_3ELb0ES6_jNS0_17counting_iteratorIjlEEPS9_SE_NS0_5tupleIJPjSE_EEENSF_IJSE_SE_EEES9_SG_JZNS1_25segmented_radix_sort_implINS0_14default_configELb1EPKhPhPKlPlN2at6native12_GLOBAL__N_18offset_tEEE10hipError_tPvRmT1_PNSt15iterator_traitsISY_E10value_typeET2_T3_PNSZ_IS14_E10value_typeET4_jRbjT5_S1A_jjP12ihipStream_tbEUljE_EEESV_SW_SX_S14_S18_S1A_T6_T7_T9_mT8_S1C_bDpT10_ENKUlT_T0_E_clISt17integral_constantIbLb0EES1P_EEDaS1K_S1L_EUlS1K_E_NS1_11comp_targetILNS1_3genE0ELNS1_11target_archE4294967295ELNS1_3gpuE0ELNS1_3repE0EEENS1_30default_config_static_selectorELNS0_4arch9wavefront6targetE0EEEvSY_, .Lfunc_end48-_ZN7rocprim17ROCPRIM_400000_NS6detail17trampoline_kernelINS0_13select_configILj256ELj13ELNS0_17block_load_methodE3ELS4_3ELS4_3ELNS0_20block_scan_algorithmE0ELj4294967295EEENS1_25partition_config_selectorILNS1_17partition_subalgoE3EjNS0_10empty_typeEbEEZZNS1_14partition_implILS8_3ELb0ES6_jNS0_17counting_iteratorIjlEEPS9_SE_NS0_5tupleIJPjSE_EEENSF_IJSE_SE_EEES9_SG_JZNS1_25segmented_radix_sort_implINS0_14default_configELb1EPKhPhPKlPlN2at6native12_GLOBAL__N_18offset_tEEE10hipError_tPvRmT1_PNSt15iterator_traitsISY_E10value_typeET2_T3_PNSZ_IS14_E10value_typeET4_jRbjT5_S1A_jjP12ihipStream_tbEUljE_EEESV_SW_SX_S14_S18_S1A_T6_T7_T9_mT8_S1C_bDpT10_ENKUlT_T0_E_clISt17integral_constantIbLb0EES1P_EEDaS1K_S1L_EUlS1K_E_NS1_11comp_targetILNS1_3genE0ELNS1_11target_archE4294967295ELNS1_3gpuE0ELNS1_3repE0EEENS1_30default_config_static_selectorELNS0_4arch9wavefront6targetE0EEEvSY_
                                        ; -- End function
	.section	.AMDGPU.csdata,"",@progbits
; Kernel info:
; codeLenInByte = 0
; NumSgprs: 0
; NumVgprs: 0
; ScratchSize: 0
; MemoryBound: 0
; FloatMode: 240
; IeeeMode: 1
; LDSByteSize: 0 bytes/workgroup (compile time only)
; SGPRBlocks: 0
; VGPRBlocks: 0
; NumSGPRsForWavesPerEU: 1
; NumVGPRsForWavesPerEU: 1
; Occupancy: 16
; WaveLimiterHint : 0
; COMPUTE_PGM_RSRC2:SCRATCH_EN: 0
; COMPUTE_PGM_RSRC2:USER_SGPR: 15
; COMPUTE_PGM_RSRC2:TRAP_HANDLER: 0
; COMPUTE_PGM_RSRC2:TGID_X_EN: 1
; COMPUTE_PGM_RSRC2:TGID_Y_EN: 0
; COMPUTE_PGM_RSRC2:TGID_Z_EN: 0
; COMPUTE_PGM_RSRC2:TIDIG_COMP_CNT: 0
	.section	.text._ZN7rocprim17ROCPRIM_400000_NS6detail17trampoline_kernelINS0_13select_configILj256ELj13ELNS0_17block_load_methodE3ELS4_3ELS4_3ELNS0_20block_scan_algorithmE0ELj4294967295EEENS1_25partition_config_selectorILNS1_17partition_subalgoE3EjNS0_10empty_typeEbEEZZNS1_14partition_implILS8_3ELb0ES6_jNS0_17counting_iteratorIjlEEPS9_SE_NS0_5tupleIJPjSE_EEENSF_IJSE_SE_EEES9_SG_JZNS1_25segmented_radix_sort_implINS0_14default_configELb1EPKhPhPKlPlN2at6native12_GLOBAL__N_18offset_tEEE10hipError_tPvRmT1_PNSt15iterator_traitsISY_E10value_typeET2_T3_PNSZ_IS14_E10value_typeET4_jRbjT5_S1A_jjP12ihipStream_tbEUljE_EEESV_SW_SX_S14_S18_S1A_T6_T7_T9_mT8_S1C_bDpT10_ENKUlT_T0_E_clISt17integral_constantIbLb0EES1P_EEDaS1K_S1L_EUlS1K_E_NS1_11comp_targetILNS1_3genE5ELNS1_11target_archE942ELNS1_3gpuE9ELNS1_3repE0EEENS1_30default_config_static_selectorELNS0_4arch9wavefront6targetE0EEEvSY_,"axG",@progbits,_ZN7rocprim17ROCPRIM_400000_NS6detail17trampoline_kernelINS0_13select_configILj256ELj13ELNS0_17block_load_methodE3ELS4_3ELS4_3ELNS0_20block_scan_algorithmE0ELj4294967295EEENS1_25partition_config_selectorILNS1_17partition_subalgoE3EjNS0_10empty_typeEbEEZZNS1_14partition_implILS8_3ELb0ES6_jNS0_17counting_iteratorIjlEEPS9_SE_NS0_5tupleIJPjSE_EEENSF_IJSE_SE_EEES9_SG_JZNS1_25segmented_radix_sort_implINS0_14default_configELb1EPKhPhPKlPlN2at6native12_GLOBAL__N_18offset_tEEE10hipError_tPvRmT1_PNSt15iterator_traitsISY_E10value_typeET2_T3_PNSZ_IS14_E10value_typeET4_jRbjT5_S1A_jjP12ihipStream_tbEUljE_EEESV_SW_SX_S14_S18_S1A_T6_T7_T9_mT8_S1C_bDpT10_ENKUlT_T0_E_clISt17integral_constantIbLb0EES1P_EEDaS1K_S1L_EUlS1K_E_NS1_11comp_targetILNS1_3genE5ELNS1_11target_archE942ELNS1_3gpuE9ELNS1_3repE0EEENS1_30default_config_static_selectorELNS0_4arch9wavefront6targetE0EEEvSY_,comdat
	.globl	_ZN7rocprim17ROCPRIM_400000_NS6detail17trampoline_kernelINS0_13select_configILj256ELj13ELNS0_17block_load_methodE3ELS4_3ELS4_3ELNS0_20block_scan_algorithmE0ELj4294967295EEENS1_25partition_config_selectorILNS1_17partition_subalgoE3EjNS0_10empty_typeEbEEZZNS1_14partition_implILS8_3ELb0ES6_jNS0_17counting_iteratorIjlEEPS9_SE_NS0_5tupleIJPjSE_EEENSF_IJSE_SE_EEES9_SG_JZNS1_25segmented_radix_sort_implINS0_14default_configELb1EPKhPhPKlPlN2at6native12_GLOBAL__N_18offset_tEEE10hipError_tPvRmT1_PNSt15iterator_traitsISY_E10value_typeET2_T3_PNSZ_IS14_E10value_typeET4_jRbjT5_S1A_jjP12ihipStream_tbEUljE_EEESV_SW_SX_S14_S18_S1A_T6_T7_T9_mT8_S1C_bDpT10_ENKUlT_T0_E_clISt17integral_constantIbLb0EES1P_EEDaS1K_S1L_EUlS1K_E_NS1_11comp_targetILNS1_3genE5ELNS1_11target_archE942ELNS1_3gpuE9ELNS1_3repE0EEENS1_30default_config_static_selectorELNS0_4arch9wavefront6targetE0EEEvSY_ ; -- Begin function _ZN7rocprim17ROCPRIM_400000_NS6detail17trampoline_kernelINS0_13select_configILj256ELj13ELNS0_17block_load_methodE3ELS4_3ELS4_3ELNS0_20block_scan_algorithmE0ELj4294967295EEENS1_25partition_config_selectorILNS1_17partition_subalgoE3EjNS0_10empty_typeEbEEZZNS1_14partition_implILS8_3ELb0ES6_jNS0_17counting_iteratorIjlEEPS9_SE_NS0_5tupleIJPjSE_EEENSF_IJSE_SE_EEES9_SG_JZNS1_25segmented_radix_sort_implINS0_14default_configELb1EPKhPhPKlPlN2at6native12_GLOBAL__N_18offset_tEEE10hipError_tPvRmT1_PNSt15iterator_traitsISY_E10value_typeET2_T3_PNSZ_IS14_E10value_typeET4_jRbjT5_S1A_jjP12ihipStream_tbEUljE_EEESV_SW_SX_S14_S18_S1A_T6_T7_T9_mT8_S1C_bDpT10_ENKUlT_T0_E_clISt17integral_constantIbLb0EES1P_EEDaS1K_S1L_EUlS1K_E_NS1_11comp_targetILNS1_3genE5ELNS1_11target_archE942ELNS1_3gpuE9ELNS1_3repE0EEENS1_30default_config_static_selectorELNS0_4arch9wavefront6targetE0EEEvSY_
	.p2align	8
	.type	_ZN7rocprim17ROCPRIM_400000_NS6detail17trampoline_kernelINS0_13select_configILj256ELj13ELNS0_17block_load_methodE3ELS4_3ELS4_3ELNS0_20block_scan_algorithmE0ELj4294967295EEENS1_25partition_config_selectorILNS1_17partition_subalgoE3EjNS0_10empty_typeEbEEZZNS1_14partition_implILS8_3ELb0ES6_jNS0_17counting_iteratorIjlEEPS9_SE_NS0_5tupleIJPjSE_EEENSF_IJSE_SE_EEES9_SG_JZNS1_25segmented_radix_sort_implINS0_14default_configELb1EPKhPhPKlPlN2at6native12_GLOBAL__N_18offset_tEEE10hipError_tPvRmT1_PNSt15iterator_traitsISY_E10value_typeET2_T3_PNSZ_IS14_E10value_typeET4_jRbjT5_S1A_jjP12ihipStream_tbEUljE_EEESV_SW_SX_S14_S18_S1A_T6_T7_T9_mT8_S1C_bDpT10_ENKUlT_T0_E_clISt17integral_constantIbLb0EES1P_EEDaS1K_S1L_EUlS1K_E_NS1_11comp_targetILNS1_3genE5ELNS1_11target_archE942ELNS1_3gpuE9ELNS1_3repE0EEENS1_30default_config_static_selectorELNS0_4arch9wavefront6targetE0EEEvSY_,@function
_ZN7rocprim17ROCPRIM_400000_NS6detail17trampoline_kernelINS0_13select_configILj256ELj13ELNS0_17block_load_methodE3ELS4_3ELS4_3ELNS0_20block_scan_algorithmE0ELj4294967295EEENS1_25partition_config_selectorILNS1_17partition_subalgoE3EjNS0_10empty_typeEbEEZZNS1_14partition_implILS8_3ELb0ES6_jNS0_17counting_iteratorIjlEEPS9_SE_NS0_5tupleIJPjSE_EEENSF_IJSE_SE_EEES9_SG_JZNS1_25segmented_radix_sort_implINS0_14default_configELb1EPKhPhPKlPlN2at6native12_GLOBAL__N_18offset_tEEE10hipError_tPvRmT1_PNSt15iterator_traitsISY_E10value_typeET2_T3_PNSZ_IS14_E10value_typeET4_jRbjT5_S1A_jjP12ihipStream_tbEUljE_EEESV_SW_SX_S14_S18_S1A_T6_T7_T9_mT8_S1C_bDpT10_ENKUlT_T0_E_clISt17integral_constantIbLb0EES1P_EEDaS1K_S1L_EUlS1K_E_NS1_11comp_targetILNS1_3genE5ELNS1_11target_archE942ELNS1_3gpuE9ELNS1_3repE0EEENS1_30default_config_static_selectorELNS0_4arch9wavefront6targetE0EEEvSY_: ; @_ZN7rocprim17ROCPRIM_400000_NS6detail17trampoline_kernelINS0_13select_configILj256ELj13ELNS0_17block_load_methodE3ELS4_3ELS4_3ELNS0_20block_scan_algorithmE0ELj4294967295EEENS1_25partition_config_selectorILNS1_17partition_subalgoE3EjNS0_10empty_typeEbEEZZNS1_14partition_implILS8_3ELb0ES6_jNS0_17counting_iteratorIjlEEPS9_SE_NS0_5tupleIJPjSE_EEENSF_IJSE_SE_EEES9_SG_JZNS1_25segmented_radix_sort_implINS0_14default_configELb1EPKhPhPKlPlN2at6native12_GLOBAL__N_18offset_tEEE10hipError_tPvRmT1_PNSt15iterator_traitsISY_E10value_typeET2_T3_PNSZ_IS14_E10value_typeET4_jRbjT5_S1A_jjP12ihipStream_tbEUljE_EEESV_SW_SX_S14_S18_S1A_T6_T7_T9_mT8_S1C_bDpT10_ENKUlT_T0_E_clISt17integral_constantIbLb0EES1P_EEDaS1K_S1L_EUlS1K_E_NS1_11comp_targetILNS1_3genE5ELNS1_11target_archE942ELNS1_3gpuE9ELNS1_3repE0EEENS1_30default_config_static_selectorELNS0_4arch9wavefront6targetE0EEEvSY_
; %bb.0:
	.section	.rodata,"a",@progbits
	.p2align	6, 0x0
	.amdhsa_kernel _ZN7rocprim17ROCPRIM_400000_NS6detail17trampoline_kernelINS0_13select_configILj256ELj13ELNS0_17block_load_methodE3ELS4_3ELS4_3ELNS0_20block_scan_algorithmE0ELj4294967295EEENS1_25partition_config_selectorILNS1_17partition_subalgoE3EjNS0_10empty_typeEbEEZZNS1_14partition_implILS8_3ELb0ES6_jNS0_17counting_iteratorIjlEEPS9_SE_NS0_5tupleIJPjSE_EEENSF_IJSE_SE_EEES9_SG_JZNS1_25segmented_radix_sort_implINS0_14default_configELb1EPKhPhPKlPlN2at6native12_GLOBAL__N_18offset_tEEE10hipError_tPvRmT1_PNSt15iterator_traitsISY_E10value_typeET2_T3_PNSZ_IS14_E10value_typeET4_jRbjT5_S1A_jjP12ihipStream_tbEUljE_EEESV_SW_SX_S14_S18_S1A_T6_T7_T9_mT8_S1C_bDpT10_ENKUlT_T0_E_clISt17integral_constantIbLb0EES1P_EEDaS1K_S1L_EUlS1K_E_NS1_11comp_targetILNS1_3genE5ELNS1_11target_archE942ELNS1_3gpuE9ELNS1_3repE0EEENS1_30default_config_static_selectorELNS0_4arch9wavefront6targetE0EEEvSY_
		.amdhsa_group_segment_fixed_size 0
		.amdhsa_private_segment_fixed_size 0
		.amdhsa_kernarg_size 144
		.amdhsa_user_sgpr_count 15
		.amdhsa_user_sgpr_dispatch_ptr 0
		.amdhsa_user_sgpr_queue_ptr 0
		.amdhsa_user_sgpr_kernarg_segment_ptr 1
		.amdhsa_user_sgpr_dispatch_id 0
		.amdhsa_user_sgpr_private_segment_size 0
		.amdhsa_wavefront_size32 1
		.amdhsa_uses_dynamic_stack 0
		.amdhsa_enable_private_segment 0
		.amdhsa_system_sgpr_workgroup_id_x 1
		.amdhsa_system_sgpr_workgroup_id_y 0
		.amdhsa_system_sgpr_workgroup_id_z 0
		.amdhsa_system_sgpr_workgroup_info 0
		.amdhsa_system_vgpr_workitem_id 0
		.amdhsa_next_free_vgpr 1
		.amdhsa_next_free_sgpr 1
		.amdhsa_reserve_vcc 0
		.amdhsa_float_round_mode_32 0
		.amdhsa_float_round_mode_16_64 0
		.amdhsa_float_denorm_mode_32 3
		.amdhsa_float_denorm_mode_16_64 3
		.amdhsa_dx10_clamp 1
		.amdhsa_ieee_mode 1
		.amdhsa_fp16_overflow 0
		.amdhsa_workgroup_processor_mode 1
		.amdhsa_memory_ordered 1
		.amdhsa_forward_progress 0
		.amdhsa_shared_vgpr_count 0
		.amdhsa_exception_fp_ieee_invalid_op 0
		.amdhsa_exception_fp_denorm_src 0
		.amdhsa_exception_fp_ieee_div_zero 0
		.amdhsa_exception_fp_ieee_overflow 0
		.amdhsa_exception_fp_ieee_underflow 0
		.amdhsa_exception_fp_ieee_inexact 0
		.amdhsa_exception_int_div_zero 0
	.end_amdhsa_kernel
	.section	.text._ZN7rocprim17ROCPRIM_400000_NS6detail17trampoline_kernelINS0_13select_configILj256ELj13ELNS0_17block_load_methodE3ELS4_3ELS4_3ELNS0_20block_scan_algorithmE0ELj4294967295EEENS1_25partition_config_selectorILNS1_17partition_subalgoE3EjNS0_10empty_typeEbEEZZNS1_14partition_implILS8_3ELb0ES6_jNS0_17counting_iteratorIjlEEPS9_SE_NS0_5tupleIJPjSE_EEENSF_IJSE_SE_EEES9_SG_JZNS1_25segmented_radix_sort_implINS0_14default_configELb1EPKhPhPKlPlN2at6native12_GLOBAL__N_18offset_tEEE10hipError_tPvRmT1_PNSt15iterator_traitsISY_E10value_typeET2_T3_PNSZ_IS14_E10value_typeET4_jRbjT5_S1A_jjP12ihipStream_tbEUljE_EEESV_SW_SX_S14_S18_S1A_T6_T7_T9_mT8_S1C_bDpT10_ENKUlT_T0_E_clISt17integral_constantIbLb0EES1P_EEDaS1K_S1L_EUlS1K_E_NS1_11comp_targetILNS1_3genE5ELNS1_11target_archE942ELNS1_3gpuE9ELNS1_3repE0EEENS1_30default_config_static_selectorELNS0_4arch9wavefront6targetE0EEEvSY_,"axG",@progbits,_ZN7rocprim17ROCPRIM_400000_NS6detail17trampoline_kernelINS0_13select_configILj256ELj13ELNS0_17block_load_methodE3ELS4_3ELS4_3ELNS0_20block_scan_algorithmE0ELj4294967295EEENS1_25partition_config_selectorILNS1_17partition_subalgoE3EjNS0_10empty_typeEbEEZZNS1_14partition_implILS8_3ELb0ES6_jNS0_17counting_iteratorIjlEEPS9_SE_NS0_5tupleIJPjSE_EEENSF_IJSE_SE_EEES9_SG_JZNS1_25segmented_radix_sort_implINS0_14default_configELb1EPKhPhPKlPlN2at6native12_GLOBAL__N_18offset_tEEE10hipError_tPvRmT1_PNSt15iterator_traitsISY_E10value_typeET2_T3_PNSZ_IS14_E10value_typeET4_jRbjT5_S1A_jjP12ihipStream_tbEUljE_EEESV_SW_SX_S14_S18_S1A_T6_T7_T9_mT8_S1C_bDpT10_ENKUlT_T0_E_clISt17integral_constantIbLb0EES1P_EEDaS1K_S1L_EUlS1K_E_NS1_11comp_targetILNS1_3genE5ELNS1_11target_archE942ELNS1_3gpuE9ELNS1_3repE0EEENS1_30default_config_static_selectorELNS0_4arch9wavefront6targetE0EEEvSY_,comdat
.Lfunc_end49:
	.size	_ZN7rocprim17ROCPRIM_400000_NS6detail17trampoline_kernelINS0_13select_configILj256ELj13ELNS0_17block_load_methodE3ELS4_3ELS4_3ELNS0_20block_scan_algorithmE0ELj4294967295EEENS1_25partition_config_selectorILNS1_17partition_subalgoE3EjNS0_10empty_typeEbEEZZNS1_14partition_implILS8_3ELb0ES6_jNS0_17counting_iteratorIjlEEPS9_SE_NS0_5tupleIJPjSE_EEENSF_IJSE_SE_EEES9_SG_JZNS1_25segmented_radix_sort_implINS0_14default_configELb1EPKhPhPKlPlN2at6native12_GLOBAL__N_18offset_tEEE10hipError_tPvRmT1_PNSt15iterator_traitsISY_E10value_typeET2_T3_PNSZ_IS14_E10value_typeET4_jRbjT5_S1A_jjP12ihipStream_tbEUljE_EEESV_SW_SX_S14_S18_S1A_T6_T7_T9_mT8_S1C_bDpT10_ENKUlT_T0_E_clISt17integral_constantIbLb0EES1P_EEDaS1K_S1L_EUlS1K_E_NS1_11comp_targetILNS1_3genE5ELNS1_11target_archE942ELNS1_3gpuE9ELNS1_3repE0EEENS1_30default_config_static_selectorELNS0_4arch9wavefront6targetE0EEEvSY_, .Lfunc_end49-_ZN7rocprim17ROCPRIM_400000_NS6detail17trampoline_kernelINS0_13select_configILj256ELj13ELNS0_17block_load_methodE3ELS4_3ELS4_3ELNS0_20block_scan_algorithmE0ELj4294967295EEENS1_25partition_config_selectorILNS1_17partition_subalgoE3EjNS0_10empty_typeEbEEZZNS1_14partition_implILS8_3ELb0ES6_jNS0_17counting_iteratorIjlEEPS9_SE_NS0_5tupleIJPjSE_EEENSF_IJSE_SE_EEES9_SG_JZNS1_25segmented_radix_sort_implINS0_14default_configELb1EPKhPhPKlPlN2at6native12_GLOBAL__N_18offset_tEEE10hipError_tPvRmT1_PNSt15iterator_traitsISY_E10value_typeET2_T3_PNSZ_IS14_E10value_typeET4_jRbjT5_S1A_jjP12ihipStream_tbEUljE_EEESV_SW_SX_S14_S18_S1A_T6_T7_T9_mT8_S1C_bDpT10_ENKUlT_T0_E_clISt17integral_constantIbLb0EES1P_EEDaS1K_S1L_EUlS1K_E_NS1_11comp_targetILNS1_3genE5ELNS1_11target_archE942ELNS1_3gpuE9ELNS1_3repE0EEENS1_30default_config_static_selectorELNS0_4arch9wavefront6targetE0EEEvSY_
                                        ; -- End function
	.section	.AMDGPU.csdata,"",@progbits
; Kernel info:
; codeLenInByte = 0
; NumSgprs: 0
; NumVgprs: 0
; ScratchSize: 0
; MemoryBound: 0
; FloatMode: 240
; IeeeMode: 1
; LDSByteSize: 0 bytes/workgroup (compile time only)
; SGPRBlocks: 0
; VGPRBlocks: 0
; NumSGPRsForWavesPerEU: 1
; NumVGPRsForWavesPerEU: 1
; Occupancy: 16
; WaveLimiterHint : 0
; COMPUTE_PGM_RSRC2:SCRATCH_EN: 0
; COMPUTE_PGM_RSRC2:USER_SGPR: 15
; COMPUTE_PGM_RSRC2:TRAP_HANDLER: 0
; COMPUTE_PGM_RSRC2:TGID_X_EN: 1
; COMPUTE_PGM_RSRC2:TGID_Y_EN: 0
; COMPUTE_PGM_RSRC2:TGID_Z_EN: 0
; COMPUTE_PGM_RSRC2:TIDIG_COMP_CNT: 0
	.section	.text._ZN7rocprim17ROCPRIM_400000_NS6detail17trampoline_kernelINS0_13select_configILj256ELj13ELNS0_17block_load_methodE3ELS4_3ELS4_3ELNS0_20block_scan_algorithmE0ELj4294967295EEENS1_25partition_config_selectorILNS1_17partition_subalgoE3EjNS0_10empty_typeEbEEZZNS1_14partition_implILS8_3ELb0ES6_jNS0_17counting_iteratorIjlEEPS9_SE_NS0_5tupleIJPjSE_EEENSF_IJSE_SE_EEES9_SG_JZNS1_25segmented_radix_sort_implINS0_14default_configELb1EPKhPhPKlPlN2at6native12_GLOBAL__N_18offset_tEEE10hipError_tPvRmT1_PNSt15iterator_traitsISY_E10value_typeET2_T3_PNSZ_IS14_E10value_typeET4_jRbjT5_S1A_jjP12ihipStream_tbEUljE_EEESV_SW_SX_S14_S18_S1A_T6_T7_T9_mT8_S1C_bDpT10_ENKUlT_T0_E_clISt17integral_constantIbLb0EES1P_EEDaS1K_S1L_EUlS1K_E_NS1_11comp_targetILNS1_3genE4ELNS1_11target_archE910ELNS1_3gpuE8ELNS1_3repE0EEENS1_30default_config_static_selectorELNS0_4arch9wavefront6targetE0EEEvSY_,"axG",@progbits,_ZN7rocprim17ROCPRIM_400000_NS6detail17trampoline_kernelINS0_13select_configILj256ELj13ELNS0_17block_load_methodE3ELS4_3ELS4_3ELNS0_20block_scan_algorithmE0ELj4294967295EEENS1_25partition_config_selectorILNS1_17partition_subalgoE3EjNS0_10empty_typeEbEEZZNS1_14partition_implILS8_3ELb0ES6_jNS0_17counting_iteratorIjlEEPS9_SE_NS0_5tupleIJPjSE_EEENSF_IJSE_SE_EEES9_SG_JZNS1_25segmented_radix_sort_implINS0_14default_configELb1EPKhPhPKlPlN2at6native12_GLOBAL__N_18offset_tEEE10hipError_tPvRmT1_PNSt15iterator_traitsISY_E10value_typeET2_T3_PNSZ_IS14_E10value_typeET4_jRbjT5_S1A_jjP12ihipStream_tbEUljE_EEESV_SW_SX_S14_S18_S1A_T6_T7_T9_mT8_S1C_bDpT10_ENKUlT_T0_E_clISt17integral_constantIbLb0EES1P_EEDaS1K_S1L_EUlS1K_E_NS1_11comp_targetILNS1_3genE4ELNS1_11target_archE910ELNS1_3gpuE8ELNS1_3repE0EEENS1_30default_config_static_selectorELNS0_4arch9wavefront6targetE0EEEvSY_,comdat
	.globl	_ZN7rocprim17ROCPRIM_400000_NS6detail17trampoline_kernelINS0_13select_configILj256ELj13ELNS0_17block_load_methodE3ELS4_3ELS4_3ELNS0_20block_scan_algorithmE0ELj4294967295EEENS1_25partition_config_selectorILNS1_17partition_subalgoE3EjNS0_10empty_typeEbEEZZNS1_14partition_implILS8_3ELb0ES6_jNS0_17counting_iteratorIjlEEPS9_SE_NS0_5tupleIJPjSE_EEENSF_IJSE_SE_EEES9_SG_JZNS1_25segmented_radix_sort_implINS0_14default_configELb1EPKhPhPKlPlN2at6native12_GLOBAL__N_18offset_tEEE10hipError_tPvRmT1_PNSt15iterator_traitsISY_E10value_typeET2_T3_PNSZ_IS14_E10value_typeET4_jRbjT5_S1A_jjP12ihipStream_tbEUljE_EEESV_SW_SX_S14_S18_S1A_T6_T7_T9_mT8_S1C_bDpT10_ENKUlT_T0_E_clISt17integral_constantIbLb0EES1P_EEDaS1K_S1L_EUlS1K_E_NS1_11comp_targetILNS1_3genE4ELNS1_11target_archE910ELNS1_3gpuE8ELNS1_3repE0EEENS1_30default_config_static_selectorELNS0_4arch9wavefront6targetE0EEEvSY_ ; -- Begin function _ZN7rocprim17ROCPRIM_400000_NS6detail17trampoline_kernelINS0_13select_configILj256ELj13ELNS0_17block_load_methodE3ELS4_3ELS4_3ELNS0_20block_scan_algorithmE0ELj4294967295EEENS1_25partition_config_selectorILNS1_17partition_subalgoE3EjNS0_10empty_typeEbEEZZNS1_14partition_implILS8_3ELb0ES6_jNS0_17counting_iteratorIjlEEPS9_SE_NS0_5tupleIJPjSE_EEENSF_IJSE_SE_EEES9_SG_JZNS1_25segmented_radix_sort_implINS0_14default_configELb1EPKhPhPKlPlN2at6native12_GLOBAL__N_18offset_tEEE10hipError_tPvRmT1_PNSt15iterator_traitsISY_E10value_typeET2_T3_PNSZ_IS14_E10value_typeET4_jRbjT5_S1A_jjP12ihipStream_tbEUljE_EEESV_SW_SX_S14_S18_S1A_T6_T7_T9_mT8_S1C_bDpT10_ENKUlT_T0_E_clISt17integral_constantIbLb0EES1P_EEDaS1K_S1L_EUlS1K_E_NS1_11comp_targetILNS1_3genE4ELNS1_11target_archE910ELNS1_3gpuE8ELNS1_3repE0EEENS1_30default_config_static_selectorELNS0_4arch9wavefront6targetE0EEEvSY_
	.p2align	8
	.type	_ZN7rocprim17ROCPRIM_400000_NS6detail17trampoline_kernelINS0_13select_configILj256ELj13ELNS0_17block_load_methodE3ELS4_3ELS4_3ELNS0_20block_scan_algorithmE0ELj4294967295EEENS1_25partition_config_selectorILNS1_17partition_subalgoE3EjNS0_10empty_typeEbEEZZNS1_14partition_implILS8_3ELb0ES6_jNS0_17counting_iteratorIjlEEPS9_SE_NS0_5tupleIJPjSE_EEENSF_IJSE_SE_EEES9_SG_JZNS1_25segmented_radix_sort_implINS0_14default_configELb1EPKhPhPKlPlN2at6native12_GLOBAL__N_18offset_tEEE10hipError_tPvRmT1_PNSt15iterator_traitsISY_E10value_typeET2_T3_PNSZ_IS14_E10value_typeET4_jRbjT5_S1A_jjP12ihipStream_tbEUljE_EEESV_SW_SX_S14_S18_S1A_T6_T7_T9_mT8_S1C_bDpT10_ENKUlT_T0_E_clISt17integral_constantIbLb0EES1P_EEDaS1K_S1L_EUlS1K_E_NS1_11comp_targetILNS1_3genE4ELNS1_11target_archE910ELNS1_3gpuE8ELNS1_3repE0EEENS1_30default_config_static_selectorELNS0_4arch9wavefront6targetE0EEEvSY_,@function
_ZN7rocprim17ROCPRIM_400000_NS6detail17trampoline_kernelINS0_13select_configILj256ELj13ELNS0_17block_load_methodE3ELS4_3ELS4_3ELNS0_20block_scan_algorithmE0ELj4294967295EEENS1_25partition_config_selectorILNS1_17partition_subalgoE3EjNS0_10empty_typeEbEEZZNS1_14partition_implILS8_3ELb0ES6_jNS0_17counting_iteratorIjlEEPS9_SE_NS0_5tupleIJPjSE_EEENSF_IJSE_SE_EEES9_SG_JZNS1_25segmented_radix_sort_implINS0_14default_configELb1EPKhPhPKlPlN2at6native12_GLOBAL__N_18offset_tEEE10hipError_tPvRmT1_PNSt15iterator_traitsISY_E10value_typeET2_T3_PNSZ_IS14_E10value_typeET4_jRbjT5_S1A_jjP12ihipStream_tbEUljE_EEESV_SW_SX_S14_S18_S1A_T6_T7_T9_mT8_S1C_bDpT10_ENKUlT_T0_E_clISt17integral_constantIbLb0EES1P_EEDaS1K_S1L_EUlS1K_E_NS1_11comp_targetILNS1_3genE4ELNS1_11target_archE910ELNS1_3gpuE8ELNS1_3repE0EEENS1_30default_config_static_selectorELNS0_4arch9wavefront6targetE0EEEvSY_: ; @_ZN7rocprim17ROCPRIM_400000_NS6detail17trampoline_kernelINS0_13select_configILj256ELj13ELNS0_17block_load_methodE3ELS4_3ELS4_3ELNS0_20block_scan_algorithmE0ELj4294967295EEENS1_25partition_config_selectorILNS1_17partition_subalgoE3EjNS0_10empty_typeEbEEZZNS1_14partition_implILS8_3ELb0ES6_jNS0_17counting_iteratorIjlEEPS9_SE_NS0_5tupleIJPjSE_EEENSF_IJSE_SE_EEES9_SG_JZNS1_25segmented_radix_sort_implINS0_14default_configELb1EPKhPhPKlPlN2at6native12_GLOBAL__N_18offset_tEEE10hipError_tPvRmT1_PNSt15iterator_traitsISY_E10value_typeET2_T3_PNSZ_IS14_E10value_typeET4_jRbjT5_S1A_jjP12ihipStream_tbEUljE_EEESV_SW_SX_S14_S18_S1A_T6_T7_T9_mT8_S1C_bDpT10_ENKUlT_T0_E_clISt17integral_constantIbLb0EES1P_EEDaS1K_S1L_EUlS1K_E_NS1_11comp_targetILNS1_3genE4ELNS1_11target_archE910ELNS1_3gpuE8ELNS1_3repE0EEENS1_30default_config_static_selectorELNS0_4arch9wavefront6targetE0EEEvSY_
; %bb.0:
	.section	.rodata,"a",@progbits
	.p2align	6, 0x0
	.amdhsa_kernel _ZN7rocprim17ROCPRIM_400000_NS6detail17trampoline_kernelINS0_13select_configILj256ELj13ELNS0_17block_load_methodE3ELS4_3ELS4_3ELNS0_20block_scan_algorithmE0ELj4294967295EEENS1_25partition_config_selectorILNS1_17partition_subalgoE3EjNS0_10empty_typeEbEEZZNS1_14partition_implILS8_3ELb0ES6_jNS0_17counting_iteratorIjlEEPS9_SE_NS0_5tupleIJPjSE_EEENSF_IJSE_SE_EEES9_SG_JZNS1_25segmented_radix_sort_implINS0_14default_configELb1EPKhPhPKlPlN2at6native12_GLOBAL__N_18offset_tEEE10hipError_tPvRmT1_PNSt15iterator_traitsISY_E10value_typeET2_T3_PNSZ_IS14_E10value_typeET4_jRbjT5_S1A_jjP12ihipStream_tbEUljE_EEESV_SW_SX_S14_S18_S1A_T6_T7_T9_mT8_S1C_bDpT10_ENKUlT_T0_E_clISt17integral_constantIbLb0EES1P_EEDaS1K_S1L_EUlS1K_E_NS1_11comp_targetILNS1_3genE4ELNS1_11target_archE910ELNS1_3gpuE8ELNS1_3repE0EEENS1_30default_config_static_selectorELNS0_4arch9wavefront6targetE0EEEvSY_
		.amdhsa_group_segment_fixed_size 0
		.amdhsa_private_segment_fixed_size 0
		.amdhsa_kernarg_size 144
		.amdhsa_user_sgpr_count 15
		.amdhsa_user_sgpr_dispatch_ptr 0
		.amdhsa_user_sgpr_queue_ptr 0
		.amdhsa_user_sgpr_kernarg_segment_ptr 1
		.amdhsa_user_sgpr_dispatch_id 0
		.amdhsa_user_sgpr_private_segment_size 0
		.amdhsa_wavefront_size32 1
		.amdhsa_uses_dynamic_stack 0
		.amdhsa_enable_private_segment 0
		.amdhsa_system_sgpr_workgroup_id_x 1
		.amdhsa_system_sgpr_workgroup_id_y 0
		.amdhsa_system_sgpr_workgroup_id_z 0
		.amdhsa_system_sgpr_workgroup_info 0
		.amdhsa_system_vgpr_workitem_id 0
		.amdhsa_next_free_vgpr 1
		.amdhsa_next_free_sgpr 1
		.amdhsa_reserve_vcc 0
		.amdhsa_float_round_mode_32 0
		.amdhsa_float_round_mode_16_64 0
		.amdhsa_float_denorm_mode_32 3
		.amdhsa_float_denorm_mode_16_64 3
		.amdhsa_dx10_clamp 1
		.amdhsa_ieee_mode 1
		.amdhsa_fp16_overflow 0
		.amdhsa_workgroup_processor_mode 1
		.amdhsa_memory_ordered 1
		.amdhsa_forward_progress 0
		.amdhsa_shared_vgpr_count 0
		.amdhsa_exception_fp_ieee_invalid_op 0
		.amdhsa_exception_fp_denorm_src 0
		.amdhsa_exception_fp_ieee_div_zero 0
		.amdhsa_exception_fp_ieee_overflow 0
		.amdhsa_exception_fp_ieee_underflow 0
		.amdhsa_exception_fp_ieee_inexact 0
		.amdhsa_exception_int_div_zero 0
	.end_amdhsa_kernel
	.section	.text._ZN7rocprim17ROCPRIM_400000_NS6detail17trampoline_kernelINS0_13select_configILj256ELj13ELNS0_17block_load_methodE3ELS4_3ELS4_3ELNS0_20block_scan_algorithmE0ELj4294967295EEENS1_25partition_config_selectorILNS1_17partition_subalgoE3EjNS0_10empty_typeEbEEZZNS1_14partition_implILS8_3ELb0ES6_jNS0_17counting_iteratorIjlEEPS9_SE_NS0_5tupleIJPjSE_EEENSF_IJSE_SE_EEES9_SG_JZNS1_25segmented_radix_sort_implINS0_14default_configELb1EPKhPhPKlPlN2at6native12_GLOBAL__N_18offset_tEEE10hipError_tPvRmT1_PNSt15iterator_traitsISY_E10value_typeET2_T3_PNSZ_IS14_E10value_typeET4_jRbjT5_S1A_jjP12ihipStream_tbEUljE_EEESV_SW_SX_S14_S18_S1A_T6_T7_T9_mT8_S1C_bDpT10_ENKUlT_T0_E_clISt17integral_constantIbLb0EES1P_EEDaS1K_S1L_EUlS1K_E_NS1_11comp_targetILNS1_3genE4ELNS1_11target_archE910ELNS1_3gpuE8ELNS1_3repE0EEENS1_30default_config_static_selectorELNS0_4arch9wavefront6targetE0EEEvSY_,"axG",@progbits,_ZN7rocprim17ROCPRIM_400000_NS6detail17trampoline_kernelINS0_13select_configILj256ELj13ELNS0_17block_load_methodE3ELS4_3ELS4_3ELNS0_20block_scan_algorithmE0ELj4294967295EEENS1_25partition_config_selectorILNS1_17partition_subalgoE3EjNS0_10empty_typeEbEEZZNS1_14partition_implILS8_3ELb0ES6_jNS0_17counting_iteratorIjlEEPS9_SE_NS0_5tupleIJPjSE_EEENSF_IJSE_SE_EEES9_SG_JZNS1_25segmented_radix_sort_implINS0_14default_configELb1EPKhPhPKlPlN2at6native12_GLOBAL__N_18offset_tEEE10hipError_tPvRmT1_PNSt15iterator_traitsISY_E10value_typeET2_T3_PNSZ_IS14_E10value_typeET4_jRbjT5_S1A_jjP12ihipStream_tbEUljE_EEESV_SW_SX_S14_S18_S1A_T6_T7_T9_mT8_S1C_bDpT10_ENKUlT_T0_E_clISt17integral_constantIbLb0EES1P_EEDaS1K_S1L_EUlS1K_E_NS1_11comp_targetILNS1_3genE4ELNS1_11target_archE910ELNS1_3gpuE8ELNS1_3repE0EEENS1_30default_config_static_selectorELNS0_4arch9wavefront6targetE0EEEvSY_,comdat
.Lfunc_end50:
	.size	_ZN7rocprim17ROCPRIM_400000_NS6detail17trampoline_kernelINS0_13select_configILj256ELj13ELNS0_17block_load_methodE3ELS4_3ELS4_3ELNS0_20block_scan_algorithmE0ELj4294967295EEENS1_25partition_config_selectorILNS1_17partition_subalgoE3EjNS0_10empty_typeEbEEZZNS1_14partition_implILS8_3ELb0ES6_jNS0_17counting_iteratorIjlEEPS9_SE_NS0_5tupleIJPjSE_EEENSF_IJSE_SE_EEES9_SG_JZNS1_25segmented_radix_sort_implINS0_14default_configELb1EPKhPhPKlPlN2at6native12_GLOBAL__N_18offset_tEEE10hipError_tPvRmT1_PNSt15iterator_traitsISY_E10value_typeET2_T3_PNSZ_IS14_E10value_typeET4_jRbjT5_S1A_jjP12ihipStream_tbEUljE_EEESV_SW_SX_S14_S18_S1A_T6_T7_T9_mT8_S1C_bDpT10_ENKUlT_T0_E_clISt17integral_constantIbLb0EES1P_EEDaS1K_S1L_EUlS1K_E_NS1_11comp_targetILNS1_3genE4ELNS1_11target_archE910ELNS1_3gpuE8ELNS1_3repE0EEENS1_30default_config_static_selectorELNS0_4arch9wavefront6targetE0EEEvSY_, .Lfunc_end50-_ZN7rocprim17ROCPRIM_400000_NS6detail17trampoline_kernelINS0_13select_configILj256ELj13ELNS0_17block_load_methodE3ELS4_3ELS4_3ELNS0_20block_scan_algorithmE0ELj4294967295EEENS1_25partition_config_selectorILNS1_17partition_subalgoE3EjNS0_10empty_typeEbEEZZNS1_14partition_implILS8_3ELb0ES6_jNS0_17counting_iteratorIjlEEPS9_SE_NS0_5tupleIJPjSE_EEENSF_IJSE_SE_EEES9_SG_JZNS1_25segmented_radix_sort_implINS0_14default_configELb1EPKhPhPKlPlN2at6native12_GLOBAL__N_18offset_tEEE10hipError_tPvRmT1_PNSt15iterator_traitsISY_E10value_typeET2_T3_PNSZ_IS14_E10value_typeET4_jRbjT5_S1A_jjP12ihipStream_tbEUljE_EEESV_SW_SX_S14_S18_S1A_T6_T7_T9_mT8_S1C_bDpT10_ENKUlT_T0_E_clISt17integral_constantIbLb0EES1P_EEDaS1K_S1L_EUlS1K_E_NS1_11comp_targetILNS1_3genE4ELNS1_11target_archE910ELNS1_3gpuE8ELNS1_3repE0EEENS1_30default_config_static_selectorELNS0_4arch9wavefront6targetE0EEEvSY_
                                        ; -- End function
	.section	.AMDGPU.csdata,"",@progbits
; Kernel info:
; codeLenInByte = 0
; NumSgprs: 0
; NumVgprs: 0
; ScratchSize: 0
; MemoryBound: 0
; FloatMode: 240
; IeeeMode: 1
; LDSByteSize: 0 bytes/workgroup (compile time only)
; SGPRBlocks: 0
; VGPRBlocks: 0
; NumSGPRsForWavesPerEU: 1
; NumVGPRsForWavesPerEU: 1
; Occupancy: 16
; WaveLimiterHint : 0
; COMPUTE_PGM_RSRC2:SCRATCH_EN: 0
; COMPUTE_PGM_RSRC2:USER_SGPR: 15
; COMPUTE_PGM_RSRC2:TRAP_HANDLER: 0
; COMPUTE_PGM_RSRC2:TGID_X_EN: 1
; COMPUTE_PGM_RSRC2:TGID_Y_EN: 0
; COMPUTE_PGM_RSRC2:TGID_Z_EN: 0
; COMPUTE_PGM_RSRC2:TIDIG_COMP_CNT: 0
	.section	.text._ZN7rocprim17ROCPRIM_400000_NS6detail17trampoline_kernelINS0_13select_configILj256ELj13ELNS0_17block_load_methodE3ELS4_3ELS4_3ELNS0_20block_scan_algorithmE0ELj4294967295EEENS1_25partition_config_selectorILNS1_17partition_subalgoE3EjNS0_10empty_typeEbEEZZNS1_14partition_implILS8_3ELb0ES6_jNS0_17counting_iteratorIjlEEPS9_SE_NS0_5tupleIJPjSE_EEENSF_IJSE_SE_EEES9_SG_JZNS1_25segmented_radix_sort_implINS0_14default_configELb1EPKhPhPKlPlN2at6native12_GLOBAL__N_18offset_tEEE10hipError_tPvRmT1_PNSt15iterator_traitsISY_E10value_typeET2_T3_PNSZ_IS14_E10value_typeET4_jRbjT5_S1A_jjP12ihipStream_tbEUljE_EEESV_SW_SX_S14_S18_S1A_T6_T7_T9_mT8_S1C_bDpT10_ENKUlT_T0_E_clISt17integral_constantIbLb0EES1P_EEDaS1K_S1L_EUlS1K_E_NS1_11comp_targetILNS1_3genE3ELNS1_11target_archE908ELNS1_3gpuE7ELNS1_3repE0EEENS1_30default_config_static_selectorELNS0_4arch9wavefront6targetE0EEEvSY_,"axG",@progbits,_ZN7rocprim17ROCPRIM_400000_NS6detail17trampoline_kernelINS0_13select_configILj256ELj13ELNS0_17block_load_methodE3ELS4_3ELS4_3ELNS0_20block_scan_algorithmE0ELj4294967295EEENS1_25partition_config_selectorILNS1_17partition_subalgoE3EjNS0_10empty_typeEbEEZZNS1_14partition_implILS8_3ELb0ES6_jNS0_17counting_iteratorIjlEEPS9_SE_NS0_5tupleIJPjSE_EEENSF_IJSE_SE_EEES9_SG_JZNS1_25segmented_radix_sort_implINS0_14default_configELb1EPKhPhPKlPlN2at6native12_GLOBAL__N_18offset_tEEE10hipError_tPvRmT1_PNSt15iterator_traitsISY_E10value_typeET2_T3_PNSZ_IS14_E10value_typeET4_jRbjT5_S1A_jjP12ihipStream_tbEUljE_EEESV_SW_SX_S14_S18_S1A_T6_T7_T9_mT8_S1C_bDpT10_ENKUlT_T0_E_clISt17integral_constantIbLb0EES1P_EEDaS1K_S1L_EUlS1K_E_NS1_11comp_targetILNS1_3genE3ELNS1_11target_archE908ELNS1_3gpuE7ELNS1_3repE0EEENS1_30default_config_static_selectorELNS0_4arch9wavefront6targetE0EEEvSY_,comdat
	.globl	_ZN7rocprim17ROCPRIM_400000_NS6detail17trampoline_kernelINS0_13select_configILj256ELj13ELNS0_17block_load_methodE3ELS4_3ELS4_3ELNS0_20block_scan_algorithmE0ELj4294967295EEENS1_25partition_config_selectorILNS1_17partition_subalgoE3EjNS0_10empty_typeEbEEZZNS1_14partition_implILS8_3ELb0ES6_jNS0_17counting_iteratorIjlEEPS9_SE_NS0_5tupleIJPjSE_EEENSF_IJSE_SE_EEES9_SG_JZNS1_25segmented_radix_sort_implINS0_14default_configELb1EPKhPhPKlPlN2at6native12_GLOBAL__N_18offset_tEEE10hipError_tPvRmT1_PNSt15iterator_traitsISY_E10value_typeET2_T3_PNSZ_IS14_E10value_typeET4_jRbjT5_S1A_jjP12ihipStream_tbEUljE_EEESV_SW_SX_S14_S18_S1A_T6_T7_T9_mT8_S1C_bDpT10_ENKUlT_T0_E_clISt17integral_constantIbLb0EES1P_EEDaS1K_S1L_EUlS1K_E_NS1_11comp_targetILNS1_3genE3ELNS1_11target_archE908ELNS1_3gpuE7ELNS1_3repE0EEENS1_30default_config_static_selectorELNS0_4arch9wavefront6targetE0EEEvSY_ ; -- Begin function _ZN7rocprim17ROCPRIM_400000_NS6detail17trampoline_kernelINS0_13select_configILj256ELj13ELNS0_17block_load_methodE3ELS4_3ELS4_3ELNS0_20block_scan_algorithmE0ELj4294967295EEENS1_25partition_config_selectorILNS1_17partition_subalgoE3EjNS0_10empty_typeEbEEZZNS1_14partition_implILS8_3ELb0ES6_jNS0_17counting_iteratorIjlEEPS9_SE_NS0_5tupleIJPjSE_EEENSF_IJSE_SE_EEES9_SG_JZNS1_25segmented_radix_sort_implINS0_14default_configELb1EPKhPhPKlPlN2at6native12_GLOBAL__N_18offset_tEEE10hipError_tPvRmT1_PNSt15iterator_traitsISY_E10value_typeET2_T3_PNSZ_IS14_E10value_typeET4_jRbjT5_S1A_jjP12ihipStream_tbEUljE_EEESV_SW_SX_S14_S18_S1A_T6_T7_T9_mT8_S1C_bDpT10_ENKUlT_T0_E_clISt17integral_constantIbLb0EES1P_EEDaS1K_S1L_EUlS1K_E_NS1_11comp_targetILNS1_3genE3ELNS1_11target_archE908ELNS1_3gpuE7ELNS1_3repE0EEENS1_30default_config_static_selectorELNS0_4arch9wavefront6targetE0EEEvSY_
	.p2align	8
	.type	_ZN7rocprim17ROCPRIM_400000_NS6detail17trampoline_kernelINS0_13select_configILj256ELj13ELNS0_17block_load_methodE3ELS4_3ELS4_3ELNS0_20block_scan_algorithmE0ELj4294967295EEENS1_25partition_config_selectorILNS1_17partition_subalgoE3EjNS0_10empty_typeEbEEZZNS1_14partition_implILS8_3ELb0ES6_jNS0_17counting_iteratorIjlEEPS9_SE_NS0_5tupleIJPjSE_EEENSF_IJSE_SE_EEES9_SG_JZNS1_25segmented_radix_sort_implINS0_14default_configELb1EPKhPhPKlPlN2at6native12_GLOBAL__N_18offset_tEEE10hipError_tPvRmT1_PNSt15iterator_traitsISY_E10value_typeET2_T3_PNSZ_IS14_E10value_typeET4_jRbjT5_S1A_jjP12ihipStream_tbEUljE_EEESV_SW_SX_S14_S18_S1A_T6_T7_T9_mT8_S1C_bDpT10_ENKUlT_T0_E_clISt17integral_constantIbLb0EES1P_EEDaS1K_S1L_EUlS1K_E_NS1_11comp_targetILNS1_3genE3ELNS1_11target_archE908ELNS1_3gpuE7ELNS1_3repE0EEENS1_30default_config_static_selectorELNS0_4arch9wavefront6targetE0EEEvSY_,@function
_ZN7rocprim17ROCPRIM_400000_NS6detail17trampoline_kernelINS0_13select_configILj256ELj13ELNS0_17block_load_methodE3ELS4_3ELS4_3ELNS0_20block_scan_algorithmE0ELj4294967295EEENS1_25partition_config_selectorILNS1_17partition_subalgoE3EjNS0_10empty_typeEbEEZZNS1_14partition_implILS8_3ELb0ES6_jNS0_17counting_iteratorIjlEEPS9_SE_NS0_5tupleIJPjSE_EEENSF_IJSE_SE_EEES9_SG_JZNS1_25segmented_radix_sort_implINS0_14default_configELb1EPKhPhPKlPlN2at6native12_GLOBAL__N_18offset_tEEE10hipError_tPvRmT1_PNSt15iterator_traitsISY_E10value_typeET2_T3_PNSZ_IS14_E10value_typeET4_jRbjT5_S1A_jjP12ihipStream_tbEUljE_EEESV_SW_SX_S14_S18_S1A_T6_T7_T9_mT8_S1C_bDpT10_ENKUlT_T0_E_clISt17integral_constantIbLb0EES1P_EEDaS1K_S1L_EUlS1K_E_NS1_11comp_targetILNS1_3genE3ELNS1_11target_archE908ELNS1_3gpuE7ELNS1_3repE0EEENS1_30default_config_static_selectorELNS0_4arch9wavefront6targetE0EEEvSY_: ; @_ZN7rocprim17ROCPRIM_400000_NS6detail17trampoline_kernelINS0_13select_configILj256ELj13ELNS0_17block_load_methodE3ELS4_3ELS4_3ELNS0_20block_scan_algorithmE0ELj4294967295EEENS1_25partition_config_selectorILNS1_17partition_subalgoE3EjNS0_10empty_typeEbEEZZNS1_14partition_implILS8_3ELb0ES6_jNS0_17counting_iteratorIjlEEPS9_SE_NS0_5tupleIJPjSE_EEENSF_IJSE_SE_EEES9_SG_JZNS1_25segmented_radix_sort_implINS0_14default_configELb1EPKhPhPKlPlN2at6native12_GLOBAL__N_18offset_tEEE10hipError_tPvRmT1_PNSt15iterator_traitsISY_E10value_typeET2_T3_PNSZ_IS14_E10value_typeET4_jRbjT5_S1A_jjP12ihipStream_tbEUljE_EEESV_SW_SX_S14_S18_S1A_T6_T7_T9_mT8_S1C_bDpT10_ENKUlT_T0_E_clISt17integral_constantIbLb0EES1P_EEDaS1K_S1L_EUlS1K_E_NS1_11comp_targetILNS1_3genE3ELNS1_11target_archE908ELNS1_3gpuE7ELNS1_3repE0EEENS1_30default_config_static_selectorELNS0_4arch9wavefront6targetE0EEEvSY_
; %bb.0:
	.section	.rodata,"a",@progbits
	.p2align	6, 0x0
	.amdhsa_kernel _ZN7rocprim17ROCPRIM_400000_NS6detail17trampoline_kernelINS0_13select_configILj256ELj13ELNS0_17block_load_methodE3ELS4_3ELS4_3ELNS0_20block_scan_algorithmE0ELj4294967295EEENS1_25partition_config_selectorILNS1_17partition_subalgoE3EjNS0_10empty_typeEbEEZZNS1_14partition_implILS8_3ELb0ES6_jNS0_17counting_iteratorIjlEEPS9_SE_NS0_5tupleIJPjSE_EEENSF_IJSE_SE_EEES9_SG_JZNS1_25segmented_radix_sort_implINS0_14default_configELb1EPKhPhPKlPlN2at6native12_GLOBAL__N_18offset_tEEE10hipError_tPvRmT1_PNSt15iterator_traitsISY_E10value_typeET2_T3_PNSZ_IS14_E10value_typeET4_jRbjT5_S1A_jjP12ihipStream_tbEUljE_EEESV_SW_SX_S14_S18_S1A_T6_T7_T9_mT8_S1C_bDpT10_ENKUlT_T0_E_clISt17integral_constantIbLb0EES1P_EEDaS1K_S1L_EUlS1K_E_NS1_11comp_targetILNS1_3genE3ELNS1_11target_archE908ELNS1_3gpuE7ELNS1_3repE0EEENS1_30default_config_static_selectorELNS0_4arch9wavefront6targetE0EEEvSY_
		.amdhsa_group_segment_fixed_size 0
		.amdhsa_private_segment_fixed_size 0
		.amdhsa_kernarg_size 144
		.amdhsa_user_sgpr_count 15
		.amdhsa_user_sgpr_dispatch_ptr 0
		.amdhsa_user_sgpr_queue_ptr 0
		.amdhsa_user_sgpr_kernarg_segment_ptr 1
		.amdhsa_user_sgpr_dispatch_id 0
		.amdhsa_user_sgpr_private_segment_size 0
		.amdhsa_wavefront_size32 1
		.amdhsa_uses_dynamic_stack 0
		.amdhsa_enable_private_segment 0
		.amdhsa_system_sgpr_workgroup_id_x 1
		.amdhsa_system_sgpr_workgroup_id_y 0
		.amdhsa_system_sgpr_workgroup_id_z 0
		.amdhsa_system_sgpr_workgroup_info 0
		.amdhsa_system_vgpr_workitem_id 0
		.amdhsa_next_free_vgpr 1
		.amdhsa_next_free_sgpr 1
		.amdhsa_reserve_vcc 0
		.amdhsa_float_round_mode_32 0
		.amdhsa_float_round_mode_16_64 0
		.amdhsa_float_denorm_mode_32 3
		.amdhsa_float_denorm_mode_16_64 3
		.amdhsa_dx10_clamp 1
		.amdhsa_ieee_mode 1
		.amdhsa_fp16_overflow 0
		.amdhsa_workgroup_processor_mode 1
		.amdhsa_memory_ordered 1
		.amdhsa_forward_progress 0
		.amdhsa_shared_vgpr_count 0
		.amdhsa_exception_fp_ieee_invalid_op 0
		.amdhsa_exception_fp_denorm_src 0
		.amdhsa_exception_fp_ieee_div_zero 0
		.amdhsa_exception_fp_ieee_overflow 0
		.amdhsa_exception_fp_ieee_underflow 0
		.amdhsa_exception_fp_ieee_inexact 0
		.amdhsa_exception_int_div_zero 0
	.end_amdhsa_kernel
	.section	.text._ZN7rocprim17ROCPRIM_400000_NS6detail17trampoline_kernelINS0_13select_configILj256ELj13ELNS0_17block_load_methodE3ELS4_3ELS4_3ELNS0_20block_scan_algorithmE0ELj4294967295EEENS1_25partition_config_selectorILNS1_17partition_subalgoE3EjNS0_10empty_typeEbEEZZNS1_14partition_implILS8_3ELb0ES6_jNS0_17counting_iteratorIjlEEPS9_SE_NS0_5tupleIJPjSE_EEENSF_IJSE_SE_EEES9_SG_JZNS1_25segmented_radix_sort_implINS0_14default_configELb1EPKhPhPKlPlN2at6native12_GLOBAL__N_18offset_tEEE10hipError_tPvRmT1_PNSt15iterator_traitsISY_E10value_typeET2_T3_PNSZ_IS14_E10value_typeET4_jRbjT5_S1A_jjP12ihipStream_tbEUljE_EEESV_SW_SX_S14_S18_S1A_T6_T7_T9_mT8_S1C_bDpT10_ENKUlT_T0_E_clISt17integral_constantIbLb0EES1P_EEDaS1K_S1L_EUlS1K_E_NS1_11comp_targetILNS1_3genE3ELNS1_11target_archE908ELNS1_3gpuE7ELNS1_3repE0EEENS1_30default_config_static_selectorELNS0_4arch9wavefront6targetE0EEEvSY_,"axG",@progbits,_ZN7rocprim17ROCPRIM_400000_NS6detail17trampoline_kernelINS0_13select_configILj256ELj13ELNS0_17block_load_methodE3ELS4_3ELS4_3ELNS0_20block_scan_algorithmE0ELj4294967295EEENS1_25partition_config_selectorILNS1_17partition_subalgoE3EjNS0_10empty_typeEbEEZZNS1_14partition_implILS8_3ELb0ES6_jNS0_17counting_iteratorIjlEEPS9_SE_NS0_5tupleIJPjSE_EEENSF_IJSE_SE_EEES9_SG_JZNS1_25segmented_radix_sort_implINS0_14default_configELb1EPKhPhPKlPlN2at6native12_GLOBAL__N_18offset_tEEE10hipError_tPvRmT1_PNSt15iterator_traitsISY_E10value_typeET2_T3_PNSZ_IS14_E10value_typeET4_jRbjT5_S1A_jjP12ihipStream_tbEUljE_EEESV_SW_SX_S14_S18_S1A_T6_T7_T9_mT8_S1C_bDpT10_ENKUlT_T0_E_clISt17integral_constantIbLb0EES1P_EEDaS1K_S1L_EUlS1K_E_NS1_11comp_targetILNS1_3genE3ELNS1_11target_archE908ELNS1_3gpuE7ELNS1_3repE0EEENS1_30default_config_static_selectorELNS0_4arch9wavefront6targetE0EEEvSY_,comdat
.Lfunc_end51:
	.size	_ZN7rocprim17ROCPRIM_400000_NS6detail17trampoline_kernelINS0_13select_configILj256ELj13ELNS0_17block_load_methodE3ELS4_3ELS4_3ELNS0_20block_scan_algorithmE0ELj4294967295EEENS1_25partition_config_selectorILNS1_17partition_subalgoE3EjNS0_10empty_typeEbEEZZNS1_14partition_implILS8_3ELb0ES6_jNS0_17counting_iteratorIjlEEPS9_SE_NS0_5tupleIJPjSE_EEENSF_IJSE_SE_EEES9_SG_JZNS1_25segmented_radix_sort_implINS0_14default_configELb1EPKhPhPKlPlN2at6native12_GLOBAL__N_18offset_tEEE10hipError_tPvRmT1_PNSt15iterator_traitsISY_E10value_typeET2_T3_PNSZ_IS14_E10value_typeET4_jRbjT5_S1A_jjP12ihipStream_tbEUljE_EEESV_SW_SX_S14_S18_S1A_T6_T7_T9_mT8_S1C_bDpT10_ENKUlT_T0_E_clISt17integral_constantIbLb0EES1P_EEDaS1K_S1L_EUlS1K_E_NS1_11comp_targetILNS1_3genE3ELNS1_11target_archE908ELNS1_3gpuE7ELNS1_3repE0EEENS1_30default_config_static_selectorELNS0_4arch9wavefront6targetE0EEEvSY_, .Lfunc_end51-_ZN7rocprim17ROCPRIM_400000_NS6detail17trampoline_kernelINS0_13select_configILj256ELj13ELNS0_17block_load_methodE3ELS4_3ELS4_3ELNS0_20block_scan_algorithmE0ELj4294967295EEENS1_25partition_config_selectorILNS1_17partition_subalgoE3EjNS0_10empty_typeEbEEZZNS1_14partition_implILS8_3ELb0ES6_jNS0_17counting_iteratorIjlEEPS9_SE_NS0_5tupleIJPjSE_EEENSF_IJSE_SE_EEES9_SG_JZNS1_25segmented_radix_sort_implINS0_14default_configELb1EPKhPhPKlPlN2at6native12_GLOBAL__N_18offset_tEEE10hipError_tPvRmT1_PNSt15iterator_traitsISY_E10value_typeET2_T3_PNSZ_IS14_E10value_typeET4_jRbjT5_S1A_jjP12ihipStream_tbEUljE_EEESV_SW_SX_S14_S18_S1A_T6_T7_T9_mT8_S1C_bDpT10_ENKUlT_T0_E_clISt17integral_constantIbLb0EES1P_EEDaS1K_S1L_EUlS1K_E_NS1_11comp_targetILNS1_3genE3ELNS1_11target_archE908ELNS1_3gpuE7ELNS1_3repE0EEENS1_30default_config_static_selectorELNS0_4arch9wavefront6targetE0EEEvSY_
                                        ; -- End function
	.section	.AMDGPU.csdata,"",@progbits
; Kernel info:
; codeLenInByte = 0
; NumSgprs: 0
; NumVgprs: 0
; ScratchSize: 0
; MemoryBound: 0
; FloatMode: 240
; IeeeMode: 1
; LDSByteSize: 0 bytes/workgroup (compile time only)
; SGPRBlocks: 0
; VGPRBlocks: 0
; NumSGPRsForWavesPerEU: 1
; NumVGPRsForWavesPerEU: 1
; Occupancy: 16
; WaveLimiterHint : 0
; COMPUTE_PGM_RSRC2:SCRATCH_EN: 0
; COMPUTE_PGM_RSRC2:USER_SGPR: 15
; COMPUTE_PGM_RSRC2:TRAP_HANDLER: 0
; COMPUTE_PGM_RSRC2:TGID_X_EN: 1
; COMPUTE_PGM_RSRC2:TGID_Y_EN: 0
; COMPUTE_PGM_RSRC2:TGID_Z_EN: 0
; COMPUTE_PGM_RSRC2:TIDIG_COMP_CNT: 0
	.section	.text._ZN7rocprim17ROCPRIM_400000_NS6detail17trampoline_kernelINS0_13select_configILj256ELj13ELNS0_17block_load_methodE3ELS4_3ELS4_3ELNS0_20block_scan_algorithmE0ELj4294967295EEENS1_25partition_config_selectorILNS1_17partition_subalgoE3EjNS0_10empty_typeEbEEZZNS1_14partition_implILS8_3ELb0ES6_jNS0_17counting_iteratorIjlEEPS9_SE_NS0_5tupleIJPjSE_EEENSF_IJSE_SE_EEES9_SG_JZNS1_25segmented_radix_sort_implINS0_14default_configELb1EPKhPhPKlPlN2at6native12_GLOBAL__N_18offset_tEEE10hipError_tPvRmT1_PNSt15iterator_traitsISY_E10value_typeET2_T3_PNSZ_IS14_E10value_typeET4_jRbjT5_S1A_jjP12ihipStream_tbEUljE_EEESV_SW_SX_S14_S18_S1A_T6_T7_T9_mT8_S1C_bDpT10_ENKUlT_T0_E_clISt17integral_constantIbLb0EES1P_EEDaS1K_S1L_EUlS1K_E_NS1_11comp_targetILNS1_3genE2ELNS1_11target_archE906ELNS1_3gpuE6ELNS1_3repE0EEENS1_30default_config_static_selectorELNS0_4arch9wavefront6targetE0EEEvSY_,"axG",@progbits,_ZN7rocprim17ROCPRIM_400000_NS6detail17trampoline_kernelINS0_13select_configILj256ELj13ELNS0_17block_load_methodE3ELS4_3ELS4_3ELNS0_20block_scan_algorithmE0ELj4294967295EEENS1_25partition_config_selectorILNS1_17partition_subalgoE3EjNS0_10empty_typeEbEEZZNS1_14partition_implILS8_3ELb0ES6_jNS0_17counting_iteratorIjlEEPS9_SE_NS0_5tupleIJPjSE_EEENSF_IJSE_SE_EEES9_SG_JZNS1_25segmented_radix_sort_implINS0_14default_configELb1EPKhPhPKlPlN2at6native12_GLOBAL__N_18offset_tEEE10hipError_tPvRmT1_PNSt15iterator_traitsISY_E10value_typeET2_T3_PNSZ_IS14_E10value_typeET4_jRbjT5_S1A_jjP12ihipStream_tbEUljE_EEESV_SW_SX_S14_S18_S1A_T6_T7_T9_mT8_S1C_bDpT10_ENKUlT_T0_E_clISt17integral_constantIbLb0EES1P_EEDaS1K_S1L_EUlS1K_E_NS1_11comp_targetILNS1_3genE2ELNS1_11target_archE906ELNS1_3gpuE6ELNS1_3repE0EEENS1_30default_config_static_selectorELNS0_4arch9wavefront6targetE0EEEvSY_,comdat
	.globl	_ZN7rocprim17ROCPRIM_400000_NS6detail17trampoline_kernelINS0_13select_configILj256ELj13ELNS0_17block_load_methodE3ELS4_3ELS4_3ELNS0_20block_scan_algorithmE0ELj4294967295EEENS1_25partition_config_selectorILNS1_17partition_subalgoE3EjNS0_10empty_typeEbEEZZNS1_14partition_implILS8_3ELb0ES6_jNS0_17counting_iteratorIjlEEPS9_SE_NS0_5tupleIJPjSE_EEENSF_IJSE_SE_EEES9_SG_JZNS1_25segmented_radix_sort_implINS0_14default_configELb1EPKhPhPKlPlN2at6native12_GLOBAL__N_18offset_tEEE10hipError_tPvRmT1_PNSt15iterator_traitsISY_E10value_typeET2_T3_PNSZ_IS14_E10value_typeET4_jRbjT5_S1A_jjP12ihipStream_tbEUljE_EEESV_SW_SX_S14_S18_S1A_T6_T7_T9_mT8_S1C_bDpT10_ENKUlT_T0_E_clISt17integral_constantIbLb0EES1P_EEDaS1K_S1L_EUlS1K_E_NS1_11comp_targetILNS1_3genE2ELNS1_11target_archE906ELNS1_3gpuE6ELNS1_3repE0EEENS1_30default_config_static_selectorELNS0_4arch9wavefront6targetE0EEEvSY_ ; -- Begin function _ZN7rocprim17ROCPRIM_400000_NS6detail17trampoline_kernelINS0_13select_configILj256ELj13ELNS0_17block_load_methodE3ELS4_3ELS4_3ELNS0_20block_scan_algorithmE0ELj4294967295EEENS1_25partition_config_selectorILNS1_17partition_subalgoE3EjNS0_10empty_typeEbEEZZNS1_14partition_implILS8_3ELb0ES6_jNS0_17counting_iteratorIjlEEPS9_SE_NS0_5tupleIJPjSE_EEENSF_IJSE_SE_EEES9_SG_JZNS1_25segmented_radix_sort_implINS0_14default_configELb1EPKhPhPKlPlN2at6native12_GLOBAL__N_18offset_tEEE10hipError_tPvRmT1_PNSt15iterator_traitsISY_E10value_typeET2_T3_PNSZ_IS14_E10value_typeET4_jRbjT5_S1A_jjP12ihipStream_tbEUljE_EEESV_SW_SX_S14_S18_S1A_T6_T7_T9_mT8_S1C_bDpT10_ENKUlT_T0_E_clISt17integral_constantIbLb0EES1P_EEDaS1K_S1L_EUlS1K_E_NS1_11comp_targetILNS1_3genE2ELNS1_11target_archE906ELNS1_3gpuE6ELNS1_3repE0EEENS1_30default_config_static_selectorELNS0_4arch9wavefront6targetE0EEEvSY_
	.p2align	8
	.type	_ZN7rocprim17ROCPRIM_400000_NS6detail17trampoline_kernelINS0_13select_configILj256ELj13ELNS0_17block_load_methodE3ELS4_3ELS4_3ELNS0_20block_scan_algorithmE0ELj4294967295EEENS1_25partition_config_selectorILNS1_17partition_subalgoE3EjNS0_10empty_typeEbEEZZNS1_14partition_implILS8_3ELb0ES6_jNS0_17counting_iteratorIjlEEPS9_SE_NS0_5tupleIJPjSE_EEENSF_IJSE_SE_EEES9_SG_JZNS1_25segmented_radix_sort_implINS0_14default_configELb1EPKhPhPKlPlN2at6native12_GLOBAL__N_18offset_tEEE10hipError_tPvRmT1_PNSt15iterator_traitsISY_E10value_typeET2_T3_PNSZ_IS14_E10value_typeET4_jRbjT5_S1A_jjP12ihipStream_tbEUljE_EEESV_SW_SX_S14_S18_S1A_T6_T7_T9_mT8_S1C_bDpT10_ENKUlT_T0_E_clISt17integral_constantIbLb0EES1P_EEDaS1K_S1L_EUlS1K_E_NS1_11comp_targetILNS1_3genE2ELNS1_11target_archE906ELNS1_3gpuE6ELNS1_3repE0EEENS1_30default_config_static_selectorELNS0_4arch9wavefront6targetE0EEEvSY_,@function
_ZN7rocprim17ROCPRIM_400000_NS6detail17trampoline_kernelINS0_13select_configILj256ELj13ELNS0_17block_load_methodE3ELS4_3ELS4_3ELNS0_20block_scan_algorithmE0ELj4294967295EEENS1_25partition_config_selectorILNS1_17partition_subalgoE3EjNS0_10empty_typeEbEEZZNS1_14partition_implILS8_3ELb0ES6_jNS0_17counting_iteratorIjlEEPS9_SE_NS0_5tupleIJPjSE_EEENSF_IJSE_SE_EEES9_SG_JZNS1_25segmented_radix_sort_implINS0_14default_configELb1EPKhPhPKlPlN2at6native12_GLOBAL__N_18offset_tEEE10hipError_tPvRmT1_PNSt15iterator_traitsISY_E10value_typeET2_T3_PNSZ_IS14_E10value_typeET4_jRbjT5_S1A_jjP12ihipStream_tbEUljE_EEESV_SW_SX_S14_S18_S1A_T6_T7_T9_mT8_S1C_bDpT10_ENKUlT_T0_E_clISt17integral_constantIbLb0EES1P_EEDaS1K_S1L_EUlS1K_E_NS1_11comp_targetILNS1_3genE2ELNS1_11target_archE906ELNS1_3gpuE6ELNS1_3repE0EEENS1_30default_config_static_selectorELNS0_4arch9wavefront6targetE0EEEvSY_: ; @_ZN7rocprim17ROCPRIM_400000_NS6detail17trampoline_kernelINS0_13select_configILj256ELj13ELNS0_17block_load_methodE3ELS4_3ELS4_3ELNS0_20block_scan_algorithmE0ELj4294967295EEENS1_25partition_config_selectorILNS1_17partition_subalgoE3EjNS0_10empty_typeEbEEZZNS1_14partition_implILS8_3ELb0ES6_jNS0_17counting_iteratorIjlEEPS9_SE_NS0_5tupleIJPjSE_EEENSF_IJSE_SE_EEES9_SG_JZNS1_25segmented_radix_sort_implINS0_14default_configELb1EPKhPhPKlPlN2at6native12_GLOBAL__N_18offset_tEEE10hipError_tPvRmT1_PNSt15iterator_traitsISY_E10value_typeET2_T3_PNSZ_IS14_E10value_typeET4_jRbjT5_S1A_jjP12ihipStream_tbEUljE_EEESV_SW_SX_S14_S18_S1A_T6_T7_T9_mT8_S1C_bDpT10_ENKUlT_T0_E_clISt17integral_constantIbLb0EES1P_EEDaS1K_S1L_EUlS1K_E_NS1_11comp_targetILNS1_3genE2ELNS1_11target_archE906ELNS1_3gpuE6ELNS1_3repE0EEENS1_30default_config_static_selectorELNS0_4arch9wavefront6targetE0EEEvSY_
; %bb.0:
	.section	.rodata,"a",@progbits
	.p2align	6, 0x0
	.amdhsa_kernel _ZN7rocprim17ROCPRIM_400000_NS6detail17trampoline_kernelINS0_13select_configILj256ELj13ELNS0_17block_load_methodE3ELS4_3ELS4_3ELNS0_20block_scan_algorithmE0ELj4294967295EEENS1_25partition_config_selectorILNS1_17partition_subalgoE3EjNS0_10empty_typeEbEEZZNS1_14partition_implILS8_3ELb0ES6_jNS0_17counting_iteratorIjlEEPS9_SE_NS0_5tupleIJPjSE_EEENSF_IJSE_SE_EEES9_SG_JZNS1_25segmented_radix_sort_implINS0_14default_configELb1EPKhPhPKlPlN2at6native12_GLOBAL__N_18offset_tEEE10hipError_tPvRmT1_PNSt15iterator_traitsISY_E10value_typeET2_T3_PNSZ_IS14_E10value_typeET4_jRbjT5_S1A_jjP12ihipStream_tbEUljE_EEESV_SW_SX_S14_S18_S1A_T6_T7_T9_mT8_S1C_bDpT10_ENKUlT_T0_E_clISt17integral_constantIbLb0EES1P_EEDaS1K_S1L_EUlS1K_E_NS1_11comp_targetILNS1_3genE2ELNS1_11target_archE906ELNS1_3gpuE6ELNS1_3repE0EEENS1_30default_config_static_selectorELNS0_4arch9wavefront6targetE0EEEvSY_
		.amdhsa_group_segment_fixed_size 0
		.amdhsa_private_segment_fixed_size 0
		.amdhsa_kernarg_size 144
		.amdhsa_user_sgpr_count 15
		.amdhsa_user_sgpr_dispatch_ptr 0
		.amdhsa_user_sgpr_queue_ptr 0
		.amdhsa_user_sgpr_kernarg_segment_ptr 1
		.amdhsa_user_sgpr_dispatch_id 0
		.amdhsa_user_sgpr_private_segment_size 0
		.amdhsa_wavefront_size32 1
		.amdhsa_uses_dynamic_stack 0
		.amdhsa_enable_private_segment 0
		.amdhsa_system_sgpr_workgroup_id_x 1
		.amdhsa_system_sgpr_workgroup_id_y 0
		.amdhsa_system_sgpr_workgroup_id_z 0
		.amdhsa_system_sgpr_workgroup_info 0
		.amdhsa_system_vgpr_workitem_id 0
		.amdhsa_next_free_vgpr 1
		.amdhsa_next_free_sgpr 1
		.amdhsa_reserve_vcc 0
		.amdhsa_float_round_mode_32 0
		.amdhsa_float_round_mode_16_64 0
		.amdhsa_float_denorm_mode_32 3
		.amdhsa_float_denorm_mode_16_64 3
		.amdhsa_dx10_clamp 1
		.amdhsa_ieee_mode 1
		.amdhsa_fp16_overflow 0
		.amdhsa_workgroup_processor_mode 1
		.amdhsa_memory_ordered 1
		.amdhsa_forward_progress 0
		.amdhsa_shared_vgpr_count 0
		.amdhsa_exception_fp_ieee_invalid_op 0
		.amdhsa_exception_fp_denorm_src 0
		.amdhsa_exception_fp_ieee_div_zero 0
		.amdhsa_exception_fp_ieee_overflow 0
		.amdhsa_exception_fp_ieee_underflow 0
		.amdhsa_exception_fp_ieee_inexact 0
		.amdhsa_exception_int_div_zero 0
	.end_amdhsa_kernel
	.section	.text._ZN7rocprim17ROCPRIM_400000_NS6detail17trampoline_kernelINS0_13select_configILj256ELj13ELNS0_17block_load_methodE3ELS4_3ELS4_3ELNS0_20block_scan_algorithmE0ELj4294967295EEENS1_25partition_config_selectorILNS1_17partition_subalgoE3EjNS0_10empty_typeEbEEZZNS1_14partition_implILS8_3ELb0ES6_jNS0_17counting_iteratorIjlEEPS9_SE_NS0_5tupleIJPjSE_EEENSF_IJSE_SE_EEES9_SG_JZNS1_25segmented_radix_sort_implINS0_14default_configELb1EPKhPhPKlPlN2at6native12_GLOBAL__N_18offset_tEEE10hipError_tPvRmT1_PNSt15iterator_traitsISY_E10value_typeET2_T3_PNSZ_IS14_E10value_typeET4_jRbjT5_S1A_jjP12ihipStream_tbEUljE_EEESV_SW_SX_S14_S18_S1A_T6_T7_T9_mT8_S1C_bDpT10_ENKUlT_T0_E_clISt17integral_constantIbLb0EES1P_EEDaS1K_S1L_EUlS1K_E_NS1_11comp_targetILNS1_3genE2ELNS1_11target_archE906ELNS1_3gpuE6ELNS1_3repE0EEENS1_30default_config_static_selectorELNS0_4arch9wavefront6targetE0EEEvSY_,"axG",@progbits,_ZN7rocprim17ROCPRIM_400000_NS6detail17trampoline_kernelINS0_13select_configILj256ELj13ELNS0_17block_load_methodE3ELS4_3ELS4_3ELNS0_20block_scan_algorithmE0ELj4294967295EEENS1_25partition_config_selectorILNS1_17partition_subalgoE3EjNS0_10empty_typeEbEEZZNS1_14partition_implILS8_3ELb0ES6_jNS0_17counting_iteratorIjlEEPS9_SE_NS0_5tupleIJPjSE_EEENSF_IJSE_SE_EEES9_SG_JZNS1_25segmented_radix_sort_implINS0_14default_configELb1EPKhPhPKlPlN2at6native12_GLOBAL__N_18offset_tEEE10hipError_tPvRmT1_PNSt15iterator_traitsISY_E10value_typeET2_T3_PNSZ_IS14_E10value_typeET4_jRbjT5_S1A_jjP12ihipStream_tbEUljE_EEESV_SW_SX_S14_S18_S1A_T6_T7_T9_mT8_S1C_bDpT10_ENKUlT_T0_E_clISt17integral_constantIbLb0EES1P_EEDaS1K_S1L_EUlS1K_E_NS1_11comp_targetILNS1_3genE2ELNS1_11target_archE906ELNS1_3gpuE6ELNS1_3repE0EEENS1_30default_config_static_selectorELNS0_4arch9wavefront6targetE0EEEvSY_,comdat
.Lfunc_end52:
	.size	_ZN7rocprim17ROCPRIM_400000_NS6detail17trampoline_kernelINS0_13select_configILj256ELj13ELNS0_17block_load_methodE3ELS4_3ELS4_3ELNS0_20block_scan_algorithmE0ELj4294967295EEENS1_25partition_config_selectorILNS1_17partition_subalgoE3EjNS0_10empty_typeEbEEZZNS1_14partition_implILS8_3ELb0ES6_jNS0_17counting_iteratorIjlEEPS9_SE_NS0_5tupleIJPjSE_EEENSF_IJSE_SE_EEES9_SG_JZNS1_25segmented_radix_sort_implINS0_14default_configELb1EPKhPhPKlPlN2at6native12_GLOBAL__N_18offset_tEEE10hipError_tPvRmT1_PNSt15iterator_traitsISY_E10value_typeET2_T3_PNSZ_IS14_E10value_typeET4_jRbjT5_S1A_jjP12ihipStream_tbEUljE_EEESV_SW_SX_S14_S18_S1A_T6_T7_T9_mT8_S1C_bDpT10_ENKUlT_T0_E_clISt17integral_constantIbLb0EES1P_EEDaS1K_S1L_EUlS1K_E_NS1_11comp_targetILNS1_3genE2ELNS1_11target_archE906ELNS1_3gpuE6ELNS1_3repE0EEENS1_30default_config_static_selectorELNS0_4arch9wavefront6targetE0EEEvSY_, .Lfunc_end52-_ZN7rocprim17ROCPRIM_400000_NS6detail17trampoline_kernelINS0_13select_configILj256ELj13ELNS0_17block_load_methodE3ELS4_3ELS4_3ELNS0_20block_scan_algorithmE0ELj4294967295EEENS1_25partition_config_selectorILNS1_17partition_subalgoE3EjNS0_10empty_typeEbEEZZNS1_14partition_implILS8_3ELb0ES6_jNS0_17counting_iteratorIjlEEPS9_SE_NS0_5tupleIJPjSE_EEENSF_IJSE_SE_EEES9_SG_JZNS1_25segmented_radix_sort_implINS0_14default_configELb1EPKhPhPKlPlN2at6native12_GLOBAL__N_18offset_tEEE10hipError_tPvRmT1_PNSt15iterator_traitsISY_E10value_typeET2_T3_PNSZ_IS14_E10value_typeET4_jRbjT5_S1A_jjP12ihipStream_tbEUljE_EEESV_SW_SX_S14_S18_S1A_T6_T7_T9_mT8_S1C_bDpT10_ENKUlT_T0_E_clISt17integral_constantIbLb0EES1P_EEDaS1K_S1L_EUlS1K_E_NS1_11comp_targetILNS1_3genE2ELNS1_11target_archE906ELNS1_3gpuE6ELNS1_3repE0EEENS1_30default_config_static_selectorELNS0_4arch9wavefront6targetE0EEEvSY_
                                        ; -- End function
	.section	.AMDGPU.csdata,"",@progbits
; Kernel info:
; codeLenInByte = 0
; NumSgprs: 0
; NumVgprs: 0
; ScratchSize: 0
; MemoryBound: 0
; FloatMode: 240
; IeeeMode: 1
; LDSByteSize: 0 bytes/workgroup (compile time only)
; SGPRBlocks: 0
; VGPRBlocks: 0
; NumSGPRsForWavesPerEU: 1
; NumVGPRsForWavesPerEU: 1
; Occupancy: 16
; WaveLimiterHint : 0
; COMPUTE_PGM_RSRC2:SCRATCH_EN: 0
; COMPUTE_PGM_RSRC2:USER_SGPR: 15
; COMPUTE_PGM_RSRC2:TRAP_HANDLER: 0
; COMPUTE_PGM_RSRC2:TGID_X_EN: 1
; COMPUTE_PGM_RSRC2:TGID_Y_EN: 0
; COMPUTE_PGM_RSRC2:TGID_Z_EN: 0
; COMPUTE_PGM_RSRC2:TIDIG_COMP_CNT: 0
	.section	.text._ZN7rocprim17ROCPRIM_400000_NS6detail17trampoline_kernelINS0_13select_configILj256ELj13ELNS0_17block_load_methodE3ELS4_3ELS4_3ELNS0_20block_scan_algorithmE0ELj4294967295EEENS1_25partition_config_selectorILNS1_17partition_subalgoE3EjNS0_10empty_typeEbEEZZNS1_14partition_implILS8_3ELb0ES6_jNS0_17counting_iteratorIjlEEPS9_SE_NS0_5tupleIJPjSE_EEENSF_IJSE_SE_EEES9_SG_JZNS1_25segmented_radix_sort_implINS0_14default_configELb1EPKhPhPKlPlN2at6native12_GLOBAL__N_18offset_tEEE10hipError_tPvRmT1_PNSt15iterator_traitsISY_E10value_typeET2_T3_PNSZ_IS14_E10value_typeET4_jRbjT5_S1A_jjP12ihipStream_tbEUljE_EEESV_SW_SX_S14_S18_S1A_T6_T7_T9_mT8_S1C_bDpT10_ENKUlT_T0_E_clISt17integral_constantIbLb0EES1P_EEDaS1K_S1L_EUlS1K_E_NS1_11comp_targetILNS1_3genE10ELNS1_11target_archE1200ELNS1_3gpuE4ELNS1_3repE0EEENS1_30default_config_static_selectorELNS0_4arch9wavefront6targetE0EEEvSY_,"axG",@progbits,_ZN7rocprim17ROCPRIM_400000_NS6detail17trampoline_kernelINS0_13select_configILj256ELj13ELNS0_17block_load_methodE3ELS4_3ELS4_3ELNS0_20block_scan_algorithmE0ELj4294967295EEENS1_25partition_config_selectorILNS1_17partition_subalgoE3EjNS0_10empty_typeEbEEZZNS1_14partition_implILS8_3ELb0ES6_jNS0_17counting_iteratorIjlEEPS9_SE_NS0_5tupleIJPjSE_EEENSF_IJSE_SE_EEES9_SG_JZNS1_25segmented_radix_sort_implINS0_14default_configELb1EPKhPhPKlPlN2at6native12_GLOBAL__N_18offset_tEEE10hipError_tPvRmT1_PNSt15iterator_traitsISY_E10value_typeET2_T3_PNSZ_IS14_E10value_typeET4_jRbjT5_S1A_jjP12ihipStream_tbEUljE_EEESV_SW_SX_S14_S18_S1A_T6_T7_T9_mT8_S1C_bDpT10_ENKUlT_T0_E_clISt17integral_constantIbLb0EES1P_EEDaS1K_S1L_EUlS1K_E_NS1_11comp_targetILNS1_3genE10ELNS1_11target_archE1200ELNS1_3gpuE4ELNS1_3repE0EEENS1_30default_config_static_selectorELNS0_4arch9wavefront6targetE0EEEvSY_,comdat
	.globl	_ZN7rocprim17ROCPRIM_400000_NS6detail17trampoline_kernelINS0_13select_configILj256ELj13ELNS0_17block_load_methodE3ELS4_3ELS4_3ELNS0_20block_scan_algorithmE0ELj4294967295EEENS1_25partition_config_selectorILNS1_17partition_subalgoE3EjNS0_10empty_typeEbEEZZNS1_14partition_implILS8_3ELb0ES6_jNS0_17counting_iteratorIjlEEPS9_SE_NS0_5tupleIJPjSE_EEENSF_IJSE_SE_EEES9_SG_JZNS1_25segmented_radix_sort_implINS0_14default_configELb1EPKhPhPKlPlN2at6native12_GLOBAL__N_18offset_tEEE10hipError_tPvRmT1_PNSt15iterator_traitsISY_E10value_typeET2_T3_PNSZ_IS14_E10value_typeET4_jRbjT5_S1A_jjP12ihipStream_tbEUljE_EEESV_SW_SX_S14_S18_S1A_T6_T7_T9_mT8_S1C_bDpT10_ENKUlT_T0_E_clISt17integral_constantIbLb0EES1P_EEDaS1K_S1L_EUlS1K_E_NS1_11comp_targetILNS1_3genE10ELNS1_11target_archE1200ELNS1_3gpuE4ELNS1_3repE0EEENS1_30default_config_static_selectorELNS0_4arch9wavefront6targetE0EEEvSY_ ; -- Begin function _ZN7rocprim17ROCPRIM_400000_NS6detail17trampoline_kernelINS0_13select_configILj256ELj13ELNS0_17block_load_methodE3ELS4_3ELS4_3ELNS0_20block_scan_algorithmE0ELj4294967295EEENS1_25partition_config_selectorILNS1_17partition_subalgoE3EjNS0_10empty_typeEbEEZZNS1_14partition_implILS8_3ELb0ES6_jNS0_17counting_iteratorIjlEEPS9_SE_NS0_5tupleIJPjSE_EEENSF_IJSE_SE_EEES9_SG_JZNS1_25segmented_radix_sort_implINS0_14default_configELb1EPKhPhPKlPlN2at6native12_GLOBAL__N_18offset_tEEE10hipError_tPvRmT1_PNSt15iterator_traitsISY_E10value_typeET2_T3_PNSZ_IS14_E10value_typeET4_jRbjT5_S1A_jjP12ihipStream_tbEUljE_EEESV_SW_SX_S14_S18_S1A_T6_T7_T9_mT8_S1C_bDpT10_ENKUlT_T0_E_clISt17integral_constantIbLb0EES1P_EEDaS1K_S1L_EUlS1K_E_NS1_11comp_targetILNS1_3genE10ELNS1_11target_archE1200ELNS1_3gpuE4ELNS1_3repE0EEENS1_30default_config_static_selectorELNS0_4arch9wavefront6targetE0EEEvSY_
	.p2align	8
	.type	_ZN7rocprim17ROCPRIM_400000_NS6detail17trampoline_kernelINS0_13select_configILj256ELj13ELNS0_17block_load_methodE3ELS4_3ELS4_3ELNS0_20block_scan_algorithmE0ELj4294967295EEENS1_25partition_config_selectorILNS1_17partition_subalgoE3EjNS0_10empty_typeEbEEZZNS1_14partition_implILS8_3ELb0ES6_jNS0_17counting_iteratorIjlEEPS9_SE_NS0_5tupleIJPjSE_EEENSF_IJSE_SE_EEES9_SG_JZNS1_25segmented_radix_sort_implINS0_14default_configELb1EPKhPhPKlPlN2at6native12_GLOBAL__N_18offset_tEEE10hipError_tPvRmT1_PNSt15iterator_traitsISY_E10value_typeET2_T3_PNSZ_IS14_E10value_typeET4_jRbjT5_S1A_jjP12ihipStream_tbEUljE_EEESV_SW_SX_S14_S18_S1A_T6_T7_T9_mT8_S1C_bDpT10_ENKUlT_T0_E_clISt17integral_constantIbLb0EES1P_EEDaS1K_S1L_EUlS1K_E_NS1_11comp_targetILNS1_3genE10ELNS1_11target_archE1200ELNS1_3gpuE4ELNS1_3repE0EEENS1_30default_config_static_selectorELNS0_4arch9wavefront6targetE0EEEvSY_,@function
_ZN7rocprim17ROCPRIM_400000_NS6detail17trampoline_kernelINS0_13select_configILj256ELj13ELNS0_17block_load_methodE3ELS4_3ELS4_3ELNS0_20block_scan_algorithmE0ELj4294967295EEENS1_25partition_config_selectorILNS1_17partition_subalgoE3EjNS0_10empty_typeEbEEZZNS1_14partition_implILS8_3ELb0ES6_jNS0_17counting_iteratorIjlEEPS9_SE_NS0_5tupleIJPjSE_EEENSF_IJSE_SE_EEES9_SG_JZNS1_25segmented_radix_sort_implINS0_14default_configELb1EPKhPhPKlPlN2at6native12_GLOBAL__N_18offset_tEEE10hipError_tPvRmT1_PNSt15iterator_traitsISY_E10value_typeET2_T3_PNSZ_IS14_E10value_typeET4_jRbjT5_S1A_jjP12ihipStream_tbEUljE_EEESV_SW_SX_S14_S18_S1A_T6_T7_T9_mT8_S1C_bDpT10_ENKUlT_T0_E_clISt17integral_constantIbLb0EES1P_EEDaS1K_S1L_EUlS1K_E_NS1_11comp_targetILNS1_3genE10ELNS1_11target_archE1200ELNS1_3gpuE4ELNS1_3repE0EEENS1_30default_config_static_selectorELNS0_4arch9wavefront6targetE0EEEvSY_: ; @_ZN7rocprim17ROCPRIM_400000_NS6detail17trampoline_kernelINS0_13select_configILj256ELj13ELNS0_17block_load_methodE3ELS4_3ELS4_3ELNS0_20block_scan_algorithmE0ELj4294967295EEENS1_25partition_config_selectorILNS1_17partition_subalgoE3EjNS0_10empty_typeEbEEZZNS1_14partition_implILS8_3ELb0ES6_jNS0_17counting_iteratorIjlEEPS9_SE_NS0_5tupleIJPjSE_EEENSF_IJSE_SE_EEES9_SG_JZNS1_25segmented_radix_sort_implINS0_14default_configELb1EPKhPhPKlPlN2at6native12_GLOBAL__N_18offset_tEEE10hipError_tPvRmT1_PNSt15iterator_traitsISY_E10value_typeET2_T3_PNSZ_IS14_E10value_typeET4_jRbjT5_S1A_jjP12ihipStream_tbEUljE_EEESV_SW_SX_S14_S18_S1A_T6_T7_T9_mT8_S1C_bDpT10_ENKUlT_T0_E_clISt17integral_constantIbLb0EES1P_EEDaS1K_S1L_EUlS1K_E_NS1_11comp_targetILNS1_3genE10ELNS1_11target_archE1200ELNS1_3gpuE4ELNS1_3repE0EEENS1_30default_config_static_selectorELNS0_4arch9wavefront6targetE0EEEvSY_
; %bb.0:
	.section	.rodata,"a",@progbits
	.p2align	6, 0x0
	.amdhsa_kernel _ZN7rocprim17ROCPRIM_400000_NS6detail17trampoline_kernelINS0_13select_configILj256ELj13ELNS0_17block_load_methodE3ELS4_3ELS4_3ELNS0_20block_scan_algorithmE0ELj4294967295EEENS1_25partition_config_selectorILNS1_17partition_subalgoE3EjNS0_10empty_typeEbEEZZNS1_14partition_implILS8_3ELb0ES6_jNS0_17counting_iteratorIjlEEPS9_SE_NS0_5tupleIJPjSE_EEENSF_IJSE_SE_EEES9_SG_JZNS1_25segmented_radix_sort_implINS0_14default_configELb1EPKhPhPKlPlN2at6native12_GLOBAL__N_18offset_tEEE10hipError_tPvRmT1_PNSt15iterator_traitsISY_E10value_typeET2_T3_PNSZ_IS14_E10value_typeET4_jRbjT5_S1A_jjP12ihipStream_tbEUljE_EEESV_SW_SX_S14_S18_S1A_T6_T7_T9_mT8_S1C_bDpT10_ENKUlT_T0_E_clISt17integral_constantIbLb0EES1P_EEDaS1K_S1L_EUlS1K_E_NS1_11comp_targetILNS1_3genE10ELNS1_11target_archE1200ELNS1_3gpuE4ELNS1_3repE0EEENS1_30default_config_static_selectorELNS0_4arch9wavefront6targetE0EEEvSY_
		.amdhsa_group_segment_fixed_size 0
		.amdhsa_private_segment_fixed_size 0
		.amdhsa_kernarg_size 144
		.amdhsa_user_sgpr_count 15
		.amdhsa_user_sgpr_dispatch_ptr 0
		.amdhsa_user_sgpr_queue_ptr 0
		.amdhsa_user_sgpr_kernarg_segment_ptr 1
		.amdhsa_user_sgpr_dispatch_id 0
		.amdhsa_user_sgpr_private_segment_size 0
		.amdhsa_wavefront_size32 1
		.amdhsa_uses_dynamic_stack 0
		.amdhsa_enable_private_segment 0
		.amdhsa_system_sgpr_workgroup_id_x 1
		.amdhsa_system_sgpr_workgroup_id_y 0
		.amdhsa_system_sgpr_workgroup_id_z 0
		.amdhsa_system_sgpr_workgroup_info 0
		.amdhsa_system_vgpr_workitem_id 0
		.amdhsa_next_free_vgpr 1
		.amdhsa_next_free_sgpr 1
		.amdhsa_reserve_vcc 0
		.amdhsa_float_round_mode_32 0
		.amdhsa_float_round_mode_16_64 0
		.amdhsa_float_denorm_mode_32 3
		.amdhsa_float_denorm_mode_16_64 3
		.amdhsa_dx10_clamp 1
		.amdhsa_ieee_mode 1
		.amdhsa_fp16_overflow 0
		.amdhsa_workgroup_processor_mode 1
		.amdhsa_memory_ordered 1
		.amdhsa_forward_progress 0
		.amdhsa_shared_vgpr_count 0
		.amdhsa_exception_fp_ieee_invalid_op 0
		.amdhsa_exception_fp_denorm_src 0
		.amdhsa_exception_fp_ieee_div_zero 0
		.amdhsa_exception_fp_ieee_overflow 0
		.amdhsa_exception_fp_ieee_underflow 0
		.amdhsa_exception_fp_ieee_inexact 0
		.amdhsa_exception_int_div_zero 0
	.end_amdhsa_kernel
	.section	.text._ZN7rocprim17ROCPRIM_400000_NS6detail17trampoline_kernelINS0_13select_configILj256ELj13ELNS0_17block_load_methodE3ELS4_3ELS4_3ELNS0_20block_scan_algorithmE0ELj4294967295EEENS1_25partition_config_selectorILNS1_17partition_subalgoE3EjNS0_10empty_typeEbEEZZNS1_14partition_implILS8_3ELb0ES6_jNS0_17counting_iteratorIjlEEPS9_SE_NS0_5tupleIJPjSE_EEENSF_IJSE_SE_EEES9_SG_JZNS1_25segmented_radix_sort_implINS0_14default_configELb1EPKhPhPKlPlN2at6native12_GLOBAL__N_18offset_tEEE10hipError_tPvRmT1_PNSt15iterator_traitsISY_E10value_typeET2_T3_PNSZ_IS14_E10value_typeET4_jRbjT5_S1A_jjP12ihipStream_tbEUljE_EEESV_SW_SX_S14_S18_S1A_T6_T7_T9_mT8_S1C_bDpT10_ENKUlT_T0_E_clISt17integral_constantIbLb0EES1P_EEDaS1K_S1L_EUlS1K_E_NS1_11comp_targetILNS1_3genE10ELNS1_11target_archE1200ELNS1_3gpuE4ELNS1_3repE0EEENS1_30default_config_static_selectorELNS0_4arch9wavefront6targetE0EEEvSY_,"axG",@progbits,_ZN7rocprim17ROCPRIM_400000_NS6detail17trampoline_kernelINS0_13select_configILj256ELj13ELNS0_17block_load_methodE3ELS4_3ELS4_3ELNS0_20block_scan_algorithmE0ELj4294967295EEENS1_25partition_config_selectorILNS1_17partition_subalgoE3EjNS0_10empty_typeEbEEZZNS1_14partition_implILS8_3ELb0ES6_jNS0_17counting_iteratorIjlEEPS9_SE_NS0_5tupleIJPjSE_EEENSF_IJSE_SE_EEES9_SG_JZNS1_25segmented_radix_sort_implINS0_14default_configELb1EPKhPhPKlPlN2at6native12_GLOBAL__N_18offset_tEEE10hipError_tPvRmT1_PNSt15iterator_traitsISY_E10value_typeET2_T3_PNSZ_IS14_E10value_typeET4_jRbjT5_S1A_jjP12ihipStream_tbEUljE_EEESV_SW_SX_S14_S18_S1A_T6_T7_T9_mT8_S1C_bDpT10_ENKUlT_T0_E_clISt17integral_constantIbLb0EES1P_EEDaS1K_S1L_EUlS1K_E_NS1_11comp_targetILNS1_3genE10ELNS1_11target_archE1200ELNS1_3gpuE4ELNS1_3repE0EEENS1_30default_config_static_selectorELNS0_4arch9wavefront6targetE0EEEvSY_,comdat
.Lfunc_end53:
	.size	_ZN7rocprim17ROCPRIM_400000_NS6detail17trampoline_kernelINS0_13select_configILj256ELj13ELNS0_17block_load_methodE3ELS4_3ELS4_3ELNS0_20block_scan_algorithmE0ELj4294967295EEENS1_25partition_config_selectorILNS1_17partition_subalgoE3EjNS0_10empty_typeEbEEZZNS1_14partition_implILS8_3ELb0ES6_jNS0_17counting_iteratorIjlEEPS9_SE_NS0_5tupleIJPjSE_EEENSF_IJSE_SE_EEES9_SG_JZNS1_25segmented_radix_sort_implINS0_14default_configELb1EPKhPhPKlPlN2at6native12_GLOBAL__N_18offset_tEEE10hipError_tPvRmT1_PNSt15iterator_traitsISY_E10value_typeET2_T3_PNSZ_IS14_E10value_typeET4_jRbjT5_S1A_jjP12ihipStream_tbEUljE_EEESV_SW_SX_S14_S18_S1A_T6_T7_T9_mT8_S1C_bDpT10_ENKUlT_T0_E_clISt17integral_constantIbLb0EES1P_EEDaS1K_S1L_EUlS1K_E_NS1_11comp_targetILNS1_3genE10ELNS1_11target_archE1200ELNS1_3gpuE4ELNS1_3repE0EEENS1_30default_config_static_selectorELNS0_4arch9wavefront6targetE0EEEvSY_, .Lfunc_end53-_ZN7rocprim17ROCPRIM_400000_NS6detail17trampoline_kernelINS0_13select_configILj256ELj13ELNS0_17block_load_methodE3ELS4_3ELS4_3ELNS0_20block_scan_algorithmE0ELj4294967295EEENS1_25partition_config_selectorILNS1_17partition_subalgoE3EjNS0_10empty_typeEbEEZZNS1_14partition_implILS8_3ELb0ES6_jNS0_17counting_iteratorIjlEEPS9_SE_NS0_5tupleIJPjSE_EEENSF_IJSE_SE_EEES9_SG_JZNS1_25segmented_radix_sort_implINS0_14default_configELb1EPKhPhPKlPlN2at6native12_GLOBAL__N_18offset_tEEE10hipError_tPvRmT1_PNSt15iterator_traitsISY_E10value_typeET2_T3_PNSZ_IS14_E10value_typeET4_jRbjT5_S1A_jjP12ihipStream_tbEUljE_EEESV_SW_SX_S14_S18_S1A_T6_T7_T9_mT8_S1C_bDpT10_ENKUlT_T0_E_clISt17integral_constantIbLb0EES1P_EEDaS1K_S1L_EUlS1K_E_NS1_11comp_targetILNS1_3genE10ELNS1_11target_archE1200ELNS1_3gpuE4ELNS1_3repE0EEENS1_30default_config_static_selectorELNS0_4arch9wavefront6targetE0EEEvSY_
                                        ; -- End function
	.section	.AMDGPU.csdata,"",@progbits
; Kernel info:
; codeLenInByte = 0
; NumSgprs: 0
; NumVgprs: 0
; ScratchSize: 0
; MemoryBound: 0
; FloatMode: 240
; IeeeMode: 1
; LDSByteSize: 0 bytes/workgroup (compile time only)
; SGPRBlocks: 0
; VGPRBlocks: 0
; NumSGPRsForWavesPerEU: 1
; NumVGPRsForWavesPerEU: 1
; Occupancy: 16
; WaveLimiterHint : 0
; COMPUTE_PGM_RSRC2:SCRATCH_EN: 0
; COMPUTE_PGM_RSRC2:USER_SGPR: 15
; COMPUTE_PGM_RSRC2:TRAP_HANDLER: 0
; COMPUTE_PGM_RSRC2:TGID_X_EN: 1
; COMPUTE_PGM_RSRC2:TGID_Y_EN: 0
; COMPUTE_PGM_RSRC2:TGID_Z_EN: 0
; COMPUTE_PGM_RSRC2:TIDIG_COMP_CNT: 0
	.section	.text._ZN7rocprim17ROCPRIM_400000_NS6detail17trampoline_kernelINS0_13select_configILj256ELj13ELNS0_17block_load_methodE3ELS4_3ELS4_3ELNS0_20block_scan_algorithmE0ELj4294967295EEENS1_25partition_config_selectorILNS1_17partition_subalgoE3EjNS0_10empty_typeEbEEZZNS1_14partition_implILS8_3ELb0ES6_jNS0_17counting_iteratorIjlEEPS9_SE_NS0_5tupleIJPjSE_EEENSF_IJSE_SE_EEES9_SG_JZNS1_25segmented_radix_sort_implINS0_14default_configELb1EPKhPhPKlPlN2at6native12_GLOBAL__N_18offset_tEEE10hipError_tPvRmT1_PNSt15iterator_traitsISY_E10value_typeET2_T3_PNSZ_IS14_E10value_typeET4_jRbjT5_S1A_jjP12ihipStream_tbEUljE_EEESV_SW_SX_S14_S18_S1A_T6_T7_T9_mT8_S1C_bDpT10_ENKUlT_T0_E_clISt17integral_constantIbLb0EES1P_EEDaS1K_S1L_EUlS1K_E_NS1_11comp_targetILNS1_3genE9ELNS1_11target_archE1100ELNS1_3gpuE3ELNS1_3repE0EEENS1_30default_config_static_selectorELNS0_4arch9wavefront6targetE0EEEvSY_,"axG",@progbits,_ZN7rocprim17ROCPRIM_400000_NS6detail17trampoline_kernelINS0_13select_configILj256ELj13ELNS0_17block_load_methodE3ELS4_3ELS4_3ELNS0_20block_scan_algorithmE0ELj4294967295EEENS1_25partition_config_selectorILNS1_17partition_subalgoE3EjNS0_10empty_typeEbEEZZNS1_14partition_implILS8_3ELb0ES6_jNS0_17counting_iteratorIjlEEPS9_SE_NS0_5tupleIJPjSE_EEENSF_IJSE_SE_EEES9_SG_JZNS1_25segmented_radix_sort_implINS0_14default_configELb1EPKhPhPKlPlN2at6native12_GLOBAL__N_18offset_tEEE10hipError_tPvRmT1_PNSt15iterator_traitsISY_E10value_typeET2_T3_PNSZ_IS14_E10value_typeET4_jRbjT5_S1A_jjP12ihipStream_tbEUljE_EEESV_SW_SX_S14_S18_S1A_T6_T7_T9_mT8_S1C_bDpT10_ENKUlT_T0_E_clISt17integral_constantIbLb0EES1P_EEDaS1K_S1L_EUlS1K_E_NS1_11comp_targetILNS1_3genE9ELNS1_11target_archE1100ELNS1_3gpuE3ELNS1_3repE0EEENS1_30default_config_static_selectorELNS0_4arch9wavefront6targetE0EEEvSY_,comdat
	.globl	_ZN7rocprim17ROCPRIM_400000_NS6detail17trampoline_kernelINS0_13select_configILj256ELj13ELNS0_17block_load_methodE3ELS4_3ELS4_3ELNS0_20block_scan_algorithmE0ELj4294967295EEENS1_25partition_config_selectorILNS1_17partition_subalgoE3EjNS0_10empty_typeEbEEZZNS1_14partition_implILS8_3ELb0ES6_jNS0_17counting_iteratorIjlEEPS9_SE_NS0_5tupleIJPjSE_EEENSF_IJSE_SE_EEES9_SG_JZNS1_25segmented_radix_sort_implINS0_14default_configELb1EPKhPhPKlPlN2at6native12_GLOBAL__N_18offset_tEEE10hipError_tPvRmT1_PNSt15iterator_traitsISY_E10value_typeET2_T3_PNSZ_IS14_E10value_typeET4_jRbjT5_S1A_jjP12ihipStream_tbEUljE_EEESV_SW_SX_S14_S18_S1A_T6_T7_T9_mT8_S1C_bDpT10_ENKUlT_T0_E_clISt17integral_constantIbLb0EES1P_EEDaS1K_S1L_EUlS1K_E_NS1_11comp_targetILNS1_3genE9ELNS1_11target_archE1100ELNS1_3gpuE3ELNS1_3repE0EEENS1_30default_config_static_selectorELNS0_4arch9wavefront6targetE0EEEvSY_ ; -- Begin function _ZN7rocprim17ROCPRIM_400000_NS6detail17trampoline_kernelINS0_13select_configILj256ELj13ELNS0_17block_load_methodE3ELS4_3ELS4_3ELNS0_20block_scan_algorithmE0ELj4294967295EEENS1_25partition_config_selectorILNS1_17partition_subalgoE3EjNS0_10empty_typeEbEEZZNS1_14partition_implILS8_3ELb0ES6_jNS0_17counting_iteratorIjlEEPS9_SE_NS0_5tupleIJPjSE_EEENSF_IJSE_SE_EEES9_SG_JZNS1_25segmented_radix_sort_implINS0_14default_configELb1EPKhPhPKlPlN2at6native12_GLOBAL__N_18offset_tEEE10hipError_tPvRmT1_PNSt15iterator_traitsISY_E10value_typeET2_T3_PNSZ_IS14_E10value_typeET4_jRbjT5_S1A_jjP12ihipStream_tbEUljE_EEESV_SW_SX_S14_S18_S1A_T6_T7_T9_mT8_S1C_bDpT10_ENKUlT_T0_E_clISt17integral_constantIbLb0EES1P_EEDaS1K_S1L_EUlS1K_E_NS1_11comp_targetILNS1_3genE9ELNS1_11target_archE1100ELNS1_3gpuE3ELNS1_3repE0EEENS1_30default_config_static_selectorELNS0_4arch9wavefront6targetE0EEEvSY_
	.p2align	8
	.type	_ZN7rocprim17ROCPRIM_400000_NS6detail17trampoline_kernelINS0_13select_configILj256ELj13ELNS0_17block_load_methodE3ELS4_3ELS4_3ELNS0_20block_scan_algorithmE0ELj4294967295EEENS1_25partition_config_selectorILNS1_17partition_subalgoE3EjNS0_10empty_typeEbEEZZNS1_14partition_implILS8_3ELb0ES6_jNS0_17counting_iteratorIjlEEPS9_SE_NS0_5tupleIJPjSE_EEENSF_IJSE_SE_EEES9_SG_JZNS1_25segmented_radix_sort_implINS0_14default_configELb1EPKhPhPKlPlN2at6native12_GLOBAL__N_18offset_tEEE10hipError_tPvRmT1_PNSt15iterator_traitsISY_E10value_typeET2_T3_PNSZ_IS14_E10value_typeET4_jRbjT5_S1A_jjP12ihipStream_tbEUljE_EEESV_SW_SX_S14_S18_S1A_T6_T7_T9_mT8_S1C_bDpT10_ENKUlT_T0_E_clISt17integral_constantIbLb0EES1P_EEDaS1K_S1L_EUlS1K_E_NS1_11comp_targetILNS1_3genE9ELNS1_11target_archE1100ELNS1_3gpuE3ELNS1_3repE0EEENS1_30default_config_static_selectorELNS0_4arch9wavefront6targetE0EEEvSY_,@function
_ZN7rocprim17ROCPRIM_400000_NS6detail17trampoline_kernelINS0_13select_configILj256ELj13ELNS0_17block_load_methodE3ELS4_3ELS4_3ELNS0_20block_scan_algorithmE0ELj4294967295EEENS1_25partition_config_selectorILNS1_17partition_subalgoE3EjNS0_10empty_typeEbEEZZNS1_14partition_implILS8_3ELb0ES6_jNS0_17counting_iteratorIjlEEPS9_SE_NS0_5tupleIJPjSE_EEENSF_IJSE_SE_EEES9_SG_JZNS1_25segmented_radix_sort_implINS0_14default_configELb1EPKhPhPKlPlN2at6native12_GLOBAL__N_18offset_tEEE10hipError_tPvRmT1_PNSt15iterator_traitsISY_E10value_typeET2_T3_PNSZ_IS14_E10value_typeET4_jRbjT5_S1A_jjP12ihipStream_tbEUljE_EEESV_SW_SX_S14_S18_S1A_T6_T7_T9_mT8_S1C_bDpT10_ENKUlT_T0_E_clISt17integral_constantIbLb0EES1P_EEDaS1K_S1L_EUlS1K_E_NS1_11comp_targetILNS1_3genE9ELNS1_11target_archE1100ELNS1_3gpuE3ELNS1_3repE0EEENS1_30default_config_static_selectorELNS0_4arch9wavefront6targetE0EEEvSY_: ; @_ZN7rocprim17ROCPRIM_400000_NS6detail17trampoline_kernelINS0_13select_configILj256ELj13ELNS0_17block_load_methodE3ELS4_3ELS4_3ELNS0_20block_scan_algorithmE0ELj4294967295EEENS1_25partition_config_selectorILNS1_17partition_subalgoE3EjNS0_10empty_typeEbEEZZNS1_14partition_implILS8_3ELb0ES6_jNS0_17counting_iteratorIjlEEPS9_SE_NS0_5tupleIJPjSE_EEENSF_IJSE_SE_EEES9_SG_JZNS1_25segmented_radix_sort_implINS0_14default_configELb1EPKhPhPKlPlN2at6native12_GLOBAL__N_18offset_tEEE10hipError_tPvRmT1_PNSt15iterator_traitsISY_E10value_typeET2_T3_PNSZ_IS14_E10value_typeET4_jRbjT5_S1A_jjP12ihipStream_tbEUljE_EEESV_SW_SX_S14_S18_S1A_T6_T7_T9_mT8_S1C_bDpT10_ENKUlT_T0_E_clISt17integral_constantIbLb0EES1P_EEDaS1K_S1L_EUlS1K_E_NS1_11comp_targetILNS1_3genE9ELNS1_11target_archE1100ELNS1_3gpuE3ELNS1_3repE0EEENS1_30default_config_static_selectorELNS0_4arch9wavefront6targetE0EEEvSY_
; %bb.0:
	s_clause 0x5
	s_load_b32 s2, s[0:1], 0x70
	s_load_b64 s[16:17], s[0:1], 0x10
	s_load_b64 s[12:13], s[0:1], 0x58
	s_load_b32 s18, s[0:1], 0x8
	s_load_b128 s[8:11], s[0:1], 0x48
	s_load_b128 s[4:7], s[0:1], 0x78
	s_mul_i32 s23, s15, 0xd00
	v_lshlrev_b32_e32 v30, 2, v0
	s_waitcnt lgkmcnt(0)
	s_mul_i32 s20, s2, 0xd00
	s_add_i32 s19, s2, -1
	s_add_u32 s2, s16, s20
	s_addc_u32 s3, s17, 0
	s_cmp_eq_u32 s15, s19
	v_cmp_lt_u64_e64 s3, s[2:3], s[12:13]
	s_cselect_b32 s14, -1, 0
	s_cmp_lg_u32 s15, s19
	s_cselect_b32 s21, -1, 0
	s_add_i32 s2, s18, s23
	s_delay_alu instid0(VALU_DEP_1)
	s_or_b32 s3, s21, s3
	s_add_i32 s18, s2, s16
	s_load_b32 s2, s[0:1], 0x88
	v_add_nc_u32_e32 v1, s18, v0
	s_load_b64 s[18:19], s[10:11], 0x0
	s_and_b32 vcc_lo, exec_lo, s3
	s_mov_b32 s10, -1
	s_delay_alu instid0(VALU_DEP_1)
	v_add_nc_u32_e32 v2, 0x100, v1
	v_add_nc_u32_e32 v3, 0x200, v1
	;; [unrolled: 1-line block ×12, first 2 shown]
	s_cbranch_vccz .LBB54_2
; %bb.1:
	ds_store_2addr_stride64_b32 v30, v1, v2 offset1:4
	ds_store_2addr_stride64_b32 v30, v3, v4 offset0:8 offset1:12
	ds_store_2addr_stride64_b32 v30, v5, v6 offset0:16 offset1:20
	;; [unrolled: 1-line block ×5, first 2 shown]
	ds_store_b32 v30, v13 offset:12288
	s_waitcnt lgkmcnt(0)
	s_mov_b32 s10, 0
	s_barrier
.LBB54_2:
	s_and_not1_b32 vcc_lo, exec_lo, s10
	s_add_i32 s20, s20, s16
	s_cbranch_vccnz .LBB54_4
; %bb.3:
	ds_store_2addr_stride64_b32 v30, v1, v2 offset1:4
	ds_store_2addr_stride64_b32 v30, v3, v4 offset0:8 offset1:12
	ds_store_2addr_stride64_b32 v30, v5, v6 offset0:16 offset1:20
	;; [unrolled: 1-line block ×5, first 2 shown]
	ds_store_b32 v30, v13 offset:12288
	s_waitcnt lgkmcnt(0)
	s_barrier
.LBB54_4:
	v_mul_u32_u24_e32 v33, 13, v0
	s_waitcnt lgkmcnt(0)
	buffer_gl0_inv
	v_cndmask_b32_e64 v31, 0, 1, s3
	s_sub_i32 s22, s12, s20
	s_and_not1_b32 vcc_lo, exec_lo, s3
	v_lshlrev_b32_e32 v1, 2, v33
	ds_load_2addr_b32 v[28:29], v1 offset1:1
	ds_load_2addr_b32 v[26:27], v1 offset0:2 offset1:3
	ds_load_2addr_b32 v[24:25], v1 offset0:4 offset1:5
	;; [unrolled: 1-line block ×5, first 2 shown]
	ds_load_b32 v32, v1 offset:48
	s_waitcnt lgkmcnt(0)
	s_barrier
	buffer_gl0_inv
	s_cbranch_vccnz .LBB54_6
; %bb.5:
	v_add_nc_u32_e32 v1, s5, v28
	v_add_nc_u32_e32 v2, s7, v28
	;; [unrolled: 1-line block ×5, first 2 shown]
	v_mul_lo_u32 v1, v1, s4
	v_mul_lo_u32 v2, v2, s6
	;; [unrolled: 1-line block ×4, first 2 shown]
	v_add_nc_u32_e32 v6, s7, v26
	v_add_nc_u32_e32 v7, s5, v27
	;; [unrolled: 1-line block ×3, first 2 shown]
	v_mul_lo_u32 v5, v5, s4
	v_add_nc_u32_e32 v9, s5, v22
	v_sub_nc_u32_e32 v1, v1, v2
	v_mul_lo_u32 v2, v6, s6
	v_sub_nc_u32_e32 v3, v3, v4
	v_mul_lo_u32 v4, v7, s4
	v_mul_lo_u32 v6, v8, s6
	v_add_nc_u32_e32 v7, s5, v24
	v_cmp_lt_u32_e32 vcc_lo, s2, v1
	v_add_nc_u32_e32 v8, s5, v25
	v_add_nc_u32_e32 v10, s7, v22
	v_sub_nc_u32_e32 v2, v5, v2
	v_add_nc_u32_e32 v5, s7, v24
	v_cndmask_b32_e64 v1, 0, 1, vcc_lo
	v_sub_nc_u32_e32 v4, v4, v6
	v_mul_lo_u32 v6, v7, s4
	v_add_nc_u32_e32 v7, s7, v25
	v_cmp_lt_u32_e32 vcc_lo, s2, v3
	v_mul_lo_u32 v5, v5, s6
	v_mul_lo_u32 v8, v8, s4
	v_mul_lo_u32 v9, v9, s4
	v_mul_lo_u32 v7, v7, s6
	v_cndmask_b32_e64 v3, 0, 1, vcc_lo
	v_cmp_lt_u32_e32 vcc_lo, s2, v2
	v_mul_lo_u32 v10, v10, s6
	v_add_nc_u32_e32 v11, s5, v20
	v_sub_nc_u32_e32 v5, v6, v5
	v_add_nc_u32_e32 v12, s7, v20
	v_cndmask_b32_e64 v2, 0, 1, vcc_lo
	v_sub_nc_u32_e32 v6, v8, v7
	v_add_nc_u32_e32 v7, s5, v23
	v_add_nc_u32_e32 v8, s7, v23
	v_cmp_lt_u32_e32 vcc_lo, s2, v4
	v_sub_nc_u32_e32 v9, v9, v10
	v_mul_lo_u32 v10, v11, s4
	v_mul_lo_u32 v7, v7, s4
	;; [unrolled: 1-line block ×4, first 2 shown]
	v_cndmask_b32_e64 v4, 0, 1, vcc_lo
	v_cmp_lt_u32_e32 vcc_lo, s2, v5
	v_add_nc_u32_e32 v12, s5, v21
	v_add_nc_u32_e32 v13, s7, v18
	;; [unrolled: 1-line block ×4, first 2 shown]
	v_cndmask_b32_e64 v5, 0, 1, vcc_lo
	v_cmp_lt_u32_e32 vcc_lo, s2, v6
	v_sub_nc_u32_e32 v7, v7, v8
	v_sub_nc_u32_e32 v8, v10, v11
	v_add_nc_u32_e32 v11, s7, v21
	v_mul_lo_u32 v10, v12, s4
	v_cndmask_b32_e64 v6, 0, 1, vcc_lo
	v_cmp_lt_u32_e32 vcc_lo, s2, v9
	v_add_nc_u32_e32 v12, s5, v18
	v_mul_lo_u32 v11, v11, s6
	v_mul_lo_u32 v13, v13, s6
	;; [unrolled: 1-line block ×3, first 2 shown]
	v_cndmask_b32_e64 v9, 0, 1, vcc_lo
	v_cmp_lt_u32_e32 vcc_lo, s2, v7
	v_mul_lo_u32 v12, v12, s4
	v_mul_lo_u32 v15, v15, s6
	v_lshlrev_b16 v3, 8, v3
	v_sub_nc_u32_e32 v10, v10, v11
	v_cndmask_b32_e64 v7, 0, 1, vcc_lo
	v_cmp_lt_u32_e32 vcc_lo, s2, v8
	v_add_nc_u32_e32 v11, s5, v32
	v_or_b32_e32 v1, v1, v3
	v_sub_nc_u32_e32 v12, v12, v13
	v_sub_nc_u32_e32 v13, v14, v15
	v_cndmask_b32_e64 v8, 0, 1, vcc_lo
	v_cmp_lt_u32_e32 vcc_lo, s2, v10
	v_add_nc_u32_e32 v16, s7, v32
	v_mul_lo_u32 v11, v11, s4
	v_lshlrev_b16 v4, 8, v4
	v_lshlrev_b16 v6, 8, v6
	v_cndmask_b32_e64 v10, 0, 1, vcc_lo
	v_cmp_lt_u32_e32 vcc_lo, s2, v12
	v_mul_lo_u32 v14, v16, s6
	v_lshlrev_b16 v7, 8, v7
	v_or_b32_e32 v2, v2, v4
	v_lshlrev_b16 v10, 8, v10
	v_cndmask_b32_e64 v3, 0, 1, vcc_lo
	v_cmp_lt_u32_e32 vcc_lo, s2, v13
	v_or_b32_e32 v4, v5, v6
	v_or_b32_e32 v5, v9, v7
	v_sub_nc_u32_e32 v11, v11, v14
	v_or_b32_e32 v6, v8, v10
	v_cndmask_b32_e64 v12, 0, 1, vcc_lo
	v_and_b32_e32 v1, 0xffff, v1
	v_lshlrev_b32_e32 v2, 16, v2
	v_and_b32_e32 v4, 0xffff, v4
	v_lshlrev_b32_e32 v5, 16, v5
	v_lshlrev_b16 v12, 8, v12
	v_and_b32_e32 v6, 0xffff, v6
	v_cmp_lt_u32_e32 vcc_lo, s2, v11
	v_or_b32_e32 v39, v1, v2
	v_or_b32_e32 v37, v4, v5
	v_or_b32_e32 v3, v3, v12
	s_mov_b32 s3, 0
	v_cndmask_b32_e64 v34, 0, 1, vcc_lo
	s_delay_alu instid0(VALU_DEP_2) | instskip(NEXT) | instid1(VALU_DEP_1)
	v_lshlrev_b32_e32 v3, 16, v3
	v_or_b32_e32 v35, v6, v3
	s_branch .LBB54_7
.LBB54_6:
	s_mov_b32 s3, -1
                                        ; implicit-def: $vgpr34
                                        ; implicit-def: $vgpr35
                                        ; implicit-def: $vgpr37
                                        ; implicit-def: $vgpr39
.LBB54_7:
	s_clause 0x1
	s_load_b64 s[10:11], s[0:1], 0x28
	s_load_b64 s[20:21], s[0:1], 0x68
	s_and_not1_b32 vcc_lo, exec_lo, s3
	s_addk_i32 s22, 0xd00
	s_cbranch_vccnz .LBB54_35
; %bb.8:
	v_dual_mov_b32 v2, 0 :: v_dual_mov_b32 v1, 0
	s_mov_b32 s0, exec_lo
	v_cmpx_gt_u32_e64 s22, v33
; %bb.9:
	v_add_nc_u32_e32 v1, s5, v28
	v_add_nc_u32_e32 v3, s7, v28
	s_delay_alu instid0(VALU_DEP_2) | instskip(NEXT) | instid1(VALU_DEP_2)
	v_mul_lo_u32 v1, v1, s4
	v_mul_lo_u32 v3, v3, s6
	s_delay_alu instid0(VALU_DEP_1) | instskip(NEXT) | instid1(VALU_DEP_1)
	v_sub_nc_u32_e32 v1, v1, v3
	v_cmp_lt_u32_e32 vcc_lo, s2, v1
	v_cndmask_b32_e64 v1, 0, 1, vcc_lo
; %bb.10:
	s_or_b32 exec_lo, exec_lo, s0
	v_add_nc_u32_e32 v3, 1, v33
	s_mov_b32 s0, exec_lo
	s_delay_alu instid0(VALU_DEP_1)
	v_cmpx_gt_u32_e64 s22, v3
; %bb.11:
	v_add_nc_u32_e32 v2, s5, v29
	v_add_nc_u32_e32 v3, s7, v29
	s_delay_alu instid0(VALU_DEP_2) | instskip(NEXT) | instid1(VALU_DEP_2)
	v_mul_lo_u32 v2, v2, s4
	v_mul_lo_u32 v3, v3, s6
	s_delay_alu instid0(VALU_DEP_1) | instskip(NEXT) | instid1(VALU_DEP_1)
	v_sub_nc_u32_e32 v2, v2, v3
	v_cmp_lt_u32_e32 vcc_lo, s2, v2
	v_cndmask_b32_e64 v2, 0, 1, vcc_lo
; %bb.12:
	s_or_b32 exec_lo, exec_lo, s0
	v_dual_mov_b32 v4, 0 :: v_dual_add_nc_u32 v3, 2, v33
	s_delay_alu instid0(VALU_DEP_1)
	v_cmp_gt_u32_e32 vcc_lo, s22, v3
	v_mov_b32_e32 v3, 0
	s_and_saveexec_b32 s0, vcc_lo
; %bb.13:
	v_add_nc_u32_e32 v3, s5, v26
	v_add_nc_u32_e32 v5, s7, v26
	s_delay_alu instid0(VALU_DEP_2) | instskip(NEXT) | instid1(VALU_DEP_2)
	v_mul_lo_u32 v3, v3, s4
	v_mul_lo_u32 v5, v5, s6
	s_delay_alu instid0(VALU_DEP_1) | instskip(NEXT) | instid1(VALU_DEP_1)
	v_sub_nc_u32_e32 v3, v3, v5
	v_cmp_lt_u32_e32 vcc_lo, s2, v3
	v_cndmask_b32_e64 v3, 0, 1, vcc_lo
; %bb.14:
	s_or_b32 exec_lo, exec_lo, s0
	v_add_nc_u32_e32 v5, 3, v33
	s_mov_b32 s0, exec_lo
	s_delay_alu instid0(VALU_DEP_1)
	v_cmpx_gt_u32_e64 s22, v5
; %bb.15:
	v_add_nc_u32_e32 v4, s5, v27
	v_add_nc_u32_e32 v5, s7, v27
	s_delay_alu instid0(VALU_DEP_2) | instskip(NEXT) | instid1(VALU_DEP_2)
	v_mul_lo_u32 v4, v4, s4
	v_mul_lo_u32 v5, v5, s6
	s_delay_alu instid0(VALU_DEP_1) | instskip(NEXT) | instid1(VALU_DEP_1)
	v_sub_nc_u32_e32 v4, v4, v5
	v_cmp_lt_u32_e32 vcc_lo, s2, v4
	v_cndmask_b32_e64 v4, 0, 1, vcc_lo
; %bb.16:
	s_or_b32 exec_lo, exec_lo, s0
	v_dual_mov_b32 v6, 0 :: v_dual_add_nc_u32 v5, 4, v33
	s_delay_alu instid0(VALU_DEP_1)
	v_cmp_gt_u32_e32 vcc_lo, s22, v5
	v_mov_b32_e32 v5, 0
	s_and_saveexec_b32 s0, vcc_lo
	;; [unrolled: 33-line block ×5, first 2 shown]
; %bb.29:
	v_add_nc_u32_e32 v11, s5, v18
	v_add_nc_u32_e32 v13, s7, v18
	s_delay_alu instid0(VALU_DEP_2) | instskip(NEXT) | instid1(VALU_DEP_2)
	v_mul_lo_u32 v11, v11, s4
	v_mul_lo_u32 v13, v13, s6
	s_delay_alu instid0(VALU_DEP_1) | instskip(NEXT) | instid1(VALU_DEP_1)
	v_sub_nc_u32_e32 v11, v11, v13
	v_cmp_lt_u32_e32 vcc_lo, s2, v11
	v_cndmask_b32_e64 v11, 0, 1, vcc_lo
; %bb.30:
	s_or_b32 exec_lo, exec_lo, s0
	v_add_nc_u32_e32 v13, 11, v33
	s_mov_b32 s0, exec_lo
	s_delay_alu instid0(VALU_DEP_1)
	v_cmpx_gt_u32_e64 s22, v13
; %bb.31:
	v_add_nc_u32_e32 v12, s5, v19
	v_add_nc_u32_e32 v13, s7, v19
	s_delay_alu instid0(VALU_DEP_2) | instskip(NEXT) | instid1(VALU_DEP_2)
	v_mul_lo_u32 v12, v12, s4
	v_mul_lo_u32 v13, v13, s6
	s_delay_alu instid0(VALU_DEP_1) | instskip(NEXT) | instid1(VALU_DEP_1)
	v_sub_nc_u32_e32 v12, v12, v13
	v_cmp_lt_u32_e32 vcc_lo, s2, v12
	v_cndmask_b32_e64 v12, 0, 1, vcc_lo
; %bb.32:
	s_or_b32 exec_lo, exec_lo, s0
	v_dual_mov_b32 v34, 0 :: v_dual_add_nc_u32 v13, 12, v33
	s_mov_b32 s0, exec_lo
	s_delay_alu instid0(VALU_DEP_1)
	v_cmpx_gt_u32_e64 s22, v13
; %bb.33:
	v_add_nc_u32_e32 v13, s5, v32
	v_add_nc_u32_e32 v14, s7, v32
	s_delay_alu instid0(VALU_DEP_2) | instskip(NEXT) | instid1(VALU_DEP_2)
	v_mul_lo_u32 v13, v13, s4
	v_mul_lo_u32 v14, v14, s6
	s_delay_alu instid0(VALU_DEP_1) | instskip(NEXT) | instid1(VALU_DEP_1)
	v_sub_nc_u32_e32 v13, v13, v14
	v_cmp_lt_u32_e32 vcc_lo, s2, v13
	v_cndmask_b32_e64 v34, 0, 1, vcc_lo
; %bb.34:
	s_or_b32 exec_lo, exec_lo, s0
	v_lshlrev_b16 v2, 8, v2
	v_lshlrev_b16 v4, 8, v4
	;; [unrolled: 1-line block ×5, first 2 shown]
	v_or_b32_e32 v1, v1, v2
	v_lshlrev_b16 v2, 8, v12
	v_or_b32_e32 v3, v3, v4
	v_or_b32_e32 v4, v5, v6
	v_or_b32_e32 v5, v7, v8
	v_or_b32_e32 v6, v9, v10
	v_or_b32_e32 v2, v11, v2
	v_and_b32_e32 v1, 0xffff, v1
	v_lshlrev_b32_e32 v3, 16, v3
	v_and_b32_e32 v4, 0xffff, v4
	v_lshlrev_b32_e32 v5, 16, v5
	;; [unrolled: 2-line block ×3, first 2 shown]
	v_or_b32_e32 v39, v1, v3
	s_delay_alu instid0(VALU_DEP_4) | instskip(NEXT) | instid1(VALU_DEP_3)
	v_or_b32_e32 v37, v4, v5
	v_or_b32_e32 v35, v6, v2
.LBB54_35:
	s_delay_alu instid0(VALU_DEP_3)
	v_and_b32_e32 v41, 0xff, v39
	v_bfe_u32 v42, v39, 8, 8
	v_bfe_u32 v43, v39, 16, 8
	v_lshrrev_b32_e32 v40, 24, v39
	v_and_b32_e32 v44, 0xff, v37
	v_bfe_u32 v45, v37, 8, 8
	v_bfe_u32 v46, v37, 16, 8
	v_add3_u32 v1, v42, v41, v43
	v_lshrrev_b32_e32 v38, 24, v37
	v_and_b32_e32 v47, 0xff, v35
	v_bfe_u32 v48, v35, 8, 8
	v_mbcnt_lo_u32_b32 v50, -1, 0
	v_add3_u32 v1, v1, v40, v44
	v_bfe_u32 v49, v35, 16, 8
	v_lshrrev_b32_e32 v36, 24, v35
	v_and_b32_e32 v2, 0xff, v34
	v_and_b32_e32 v3, 15, v50
	v_add3_u32 v1, v1, v45, v46
	v_or_b32_e32 v4, 31, v0
	v_and_b32_e32 v5, 16, v50
	v_lshrrev_b32_e32 v51, 5, v0
	v_cmp_eq_u32_e64 s5, 0, v3
	v_add3_u32 v1, v1, v38, v47
	v_cmp_lt_u32_e64 s4, 1, v3
	v_cmp_lt_u32_e64 s3, 3, v3
	v_cmp_lt_u32_e64 s2, 7, v3
	v_cmp_eq_u32_e64 s1, 0, v5
	v_add3_u32 v1, v1, v48, v49
	v_cmp_eq_u32_e64 s0, v4, v0
	s_cmp_lg_u32 s15, 0
	s_mov_b32 s6, -1
	s_delay_alu instid0(VALU_DEP_2)
	v_add3_u32 v52, v1, v36, v2
	s_cbranch_scc0 .LBB54_61
; %bb.36:
	s_delay_alu instid0(VALU_DEP_1) | instskip(NEXT) | instid1(VALU_DEP_1)
	v_mov_b32_dpp v1, v52 row_shr:1 row_mask:0xf bank_mask:0xf
	v_cndmask_b32_e64 v1, v1, 0, s5
	s_delay_alu instid0(VALU_DEP_1) | instskip(NEXT) | instid1(VALU_DEP_1)
	v_add_nc_u32_e32 v1, v1, v52
	v_mov_b32_dpp v2, v1 row_shr:2 row_mask:0xf bank_mask:0xf
	s_delay_alu instid0(VALU_DEP_1) | instskip(NEXT) | instid1(VALU_DEP_1)
	v_cndmask_b32_e64 v2, 0, v2, s4
	v_add_nc_u32_e32 v1, v1, v2
	s_delay_alu instid0(VALU_DEP_1) | instskip(NEXT) | instid1(VALU_DEP_1)
	v_mov_b32_dpp v2, v1 row_shr:4 row_mask:0xf bank_mask:0xf
	v_cndmask_b32_e64 v2, 0, v2, s3
	s_delay_alu instid0(VALU_DEP_1) | instskip(NEXT) | instid1(VALU_DEP_1)
	v_add_nc_u32_e32 v1, v1, v2
	v_mov_b32_dpp v2, v1 row_shr:8 row_mask:0xf bank_mask:0xf
	s_delay_alu instid0(VALU_DEP_1) | instskip(NEXT) | instid1(VALU_DEP_1)
	v_cndmask_b32_e64 v2, 0, v2, s2
	v_add_nc_u32_e32 v1, v1, v2
	ds_swizzle_b32 v2, v1 offset:swizzle(BROADCAST,32,15)
	s_waitcnt lgkmcnt(0)
	v_cndmask_b32_e64 v2, v2, 0, s1
	s_delay_alu instid0(VALU_DEP_1)
	v_add_nc_u32_e32 v1, v1, v2
	s_and_saveexec_b32 s6, s0
	s_cbranch_execz .LBB54_38
; %bb.37:
	v_lshlrev_b32_e32 v2, 2, v51
	ds_store_b32 v2, v1
.LBB54_38:
	s_or_b32 exec_lo, exec_lo, s6
	s_delay_alu instid0(SALU_CYCLE_1)
	s_mov_b32 s6, exec_lo
	s_waitcnt lgkmcnt(0)
	s_barrier
	buffer_gl0_inv
	v_cmpx_gt_u32_e32 8, v0
	s_cbranch_execz .LBB54_40
; %bb.39:
	ds_load_b32 v2, v30
	s_waitcnt lgkmcnt(0)
	v_mov_b32_dpp v4, v2 row_shr:1 row_mask:0xf bank_mask:0xf
	v_and_b32_e32 v3, 7, v50
	s_delay_alu instid0(VALU_DEP_1) | instskip(NEXT) | instid1(VALU_DEP_3)
	v_cmp_ne_u32_e32 vcc_lo, 0, v3
	v_cndmask_b32_e32 v4, 0, v4, vcc_lo
	v_cmp_lt_u32_e32 vcc_lo, 1, v3
	s_delay_alu instid0(VALU_DEP_2) | instskip(NEXT) | instid1(VALU_DEP_1)
	v_add_nc_u32_e32 v2, v4, v2
	v_mov_b32_dpp v4, v2 row_shr:2 row_mask:0xf bank_mask:0xf
	s_delay_alu instid0(VALU_DEP_1) | instskip(SKIP_1) | instid1(VALU_DEP_2)
	v_cndmask_b32_e32 v4, 0, v4, vcc_lo
	v_cmp_lt_u32_e32 vcc_lo, 3, v3
	v_add_nc_u32_e32 v2, v2, v4
	s_delay_alu instid0(VALU_DEP_1) | instskip(NEXT) | instid1(VALU_DEP_1)
	v_mov_b32_dpp v4, v2 row_shr:4 row_mask:0xf bank_mask:0xf
	v_cndmask_b32_e32 v3, 0, v4, vcc_lo
	s_delay_alu instid0(VALU_DEP_1)
	v_add_nc_u32_e32 v2, v2, v3
	ds_store_b32 v30, v2
.LBB54_40:
	s_or_b32 exec_lo, exec_lo, s6
	v_cmp_gt_u32_e32 vcc_lo, 32, v0
	s_mov_b32 s7, exec_lo
	s_waitcnt lgkmcnt(0)
	s_barrier
	buffer_gl0_inv
                                        ; implicit-def: $vgpr8
	v_cmpx_lt_u32_e32 31, v0
	s_cbranch_execz .LBB54_42
; %bb.41:
	v_lshl_add_u32 v2, v51, 2, -4
	ds_load_b32 v8, v2
	s_waitcnt lgkmcnt(0)
	v_add_nc_u32_e32 v1, v8, v1
.LBB54_42:
	s_or_b32 exec_lo, exec_lo, s7
	v_add_nc_u32_e32 v2, -1, v50
	s_delay_alu instid0(VALU_DEP_1) | instskip(NEXT) | instid1(VALU_DEP_1)
	v_cmp_gt_i32_e64 s6, 0, v2
	v_cndmask_b32_e64 v2, v2, v50, s6
	v_cmp_eq_u32_e64 s6, 0, v50
	s_delay_alu instid0(VALU_DEP_2)
	v_lshlrev_b32_e32 v2, 2, v2
	ds_bpermute_b32 v9, v2, v1
	s_and_saveexec_b32 s7, vcc_lo
	s_cbranch_execz .LBB54_60
; %bb.43:
	v_mov_b32_e32 v4, 0
	ds_load_b32 v1, v4 offset:28
	s_and_saveexec_b32 s24, s6
	s_cbranch_execz .LBB54_45
; %bb.44:
	s_add_i32 s26, s15, 32
	s_mov_b32 s27, 0
	v_mov_b32_e32 v2, 1
	s_lshl_b64 s[26:27], s[26:27], 3
	s_delay_alu instid0(SALU_CYCLE_1)
	s_add_u32 s26, s20, s26
	s_addc_u32 s27, s21, s27
	s_waitcnt lgkmcnt(0)
	global_store_b64 v4, v[1:2], s[26:27]
.LBB54_45:
	s_or_b32 exec_lo, exec_lo, s24
	v_xad_u32 v2, v50, -1, s15
	s_mov_b32 s25, 0
	s_mov_b32 s24, exec_lo
	s_delay_alu instid0(VALU_DEP_1) | instskip(NEXT) | instid1(VALU_DEP_1)
	v_add_nc_u32_e32 v3, 32, v2
	v_lshlrev_b64 v[3:4], 3, v[3:4]
	s_delay_alu instid0(VALU_DEP_1) | instskip(NEXT) | instid1(VALU_DEP_2)
	v_add_co_u32 v6, vcc_lo, s20, v3
	v_add_co_ci_u32_e32 v7, vcc_lo, s21, v4, vcc_lo
	global_load_b64 v[4:5], v[6:7], off glc
	s_waitcnt vmcnt(0)
	v_and_b32_e32 v3, 0xff, v5
	s_delay_alu instid0(VALU_DEP_1)
	v_cmpx_eq_u16_e32 0, v3
	s_cbranch_execz .LBB54_48
.LBB54_46:                              ; =>This Inner Loop Header: Depth=1
	global_load_b64 v[4:5], v[6:7], off glc
	s_waitcnt vmcnt(0)
	v_and_b32_e32 v3, 0xff, v5
	s_delay_alu instid0(VALU_DEP_1) | instskip(SKIP_1) | instid1(SALU_CYCLE_1)
	v_cmp_ne_u16_e32 vcc_lo, 0, v3
	s_or_b32 s25, vcc_lo, s25
	s_and_not1_b32 exec_lo, exec_lo, s25
	s_cbranch_execnz .LBB54_46
; %bb.47:
	s_or_b32 exec_lo, exec_lo, s25
.LBB54_48:
	s_delay_alu instid0(SALU_CYCLE_1)
	s_or_b32 exec_lo, exec_lo, s24
	v_cmp_ne_u32_e32 vcc_lo, 31, v50
	v_lshlrev_b32_e64 v11, v50, -1
	v_add_nc_u32_e32 v13, 2, v50
	v_add_nc_u32_e32 v16, 4, v50
	;; [unrolled: 1-line block ×3, first 2 shown]
	v_add_co_ci_u32_e32 v3, vcc_lo, 0, v50, vcc_lo
	v_add_nc_u32_e32 v55, 16, v50
	s_delay_alu instid0(VALU_DEP_2) | instskip(SKIP_2) | instid1(VALU_DEP_1)
	v_lshlrev_b32_e32 v10, 2, v3
	ds_bpermute_b32 v6, v10, v4
	v_and_b32_e32 v3, 0xff, v5
	v_cmp_eq_u16_e32 vcc_lo, 2, v3
	v_and_or_b32 v3, vcc_lo, v11, 0x80000000
	v_cmp_gt_u32_e32 vcc_lo, 30, v50
	s_delay_alu instid0(VALU_DEP_2) | instskip(SKIP_1) | instid1(VALU_DEP_2)
	v_ctz_i32_b32_e32 v3, v3
	v_cndmask_b32_e64 v7, 0, 1, vcc_lo
	v_cmp_lt_u32_e32 vcc_lo, v50, v3
	s_waitcnt lgkmcnt(0)
	s_delay_alu instid0(VALU_DEP_2) | instskip(NEXT) | instid1(VALU_DEP_1)
	v_dual_cndmask_b32 v6, 0, v6 :: v_dual_lshlrev_b32 v7, 1, v7
	v_add_lshl_u32 v12, v7, v50, 2
	v_cmp_gt_u32_e32 vcc_lo, 28, v50
	s_delay_alu instid0(VALU_DEP_3) | instskip(SKIP_4) | instid1(VALU_DEP_1)
	v_add_nc_u32_e32 v4, v6, v4
	v_cndmask_b32_e64 v7, 0, 1, vcc_lo
	v_cmp_le_u32_e32 vcc_lo, v13, v3
	ds_bpermute_b32 v6, v12, v4
	v_lshlrev_b32_e32 v7, 2, v7
	v_add_lshl_u32 v14, v7, v50, 2
	s_waitcnt lgkmcnt(0)
	v_cndmask_b32_e32 v6, 0, v6, vcc_lo
	v_cmp_gt_u32_e32 vcc_lo, 24, v50
	s_delay_alu instid0(VALU_DEP_2) | instskip(SKIP_4) | instid1(VALU_DEP_1)
	v_add_nc_u32_e32 v4, v4, v6
	v_cndmask_b32_e64 v7, 0, 1, vcc_lo
	v_cmp_le_u32_e32 vcc_lo, v16, v3
	ds_bpermute_b32 v6, v14, v4
	v_lshlrev_b32_e32 v7, 3, v7
	v_add_lshl_u32 v17, v7, v50, 2
	s_waitcnt lgkmcnt(0)
	v_cndmask_b32_e32 v6, 0, v6, vcc_lo
	v_cmp_gt_u32_e32 vcc_lo, 16, v50
	s_delay_alu instid0(VALU_DEP_2) | instskip(SKIP_4) | instid1(VALU_DEP_1)
	v_add_nc_u32_e32 v4, v4, v6
	v_cndmask_b32_e64 v7, 0, 1, vcc_lo
	v_cmp_le_u32_e32 vcc_lo, v53, v3
	ds_bpermute_b32 v6, v17, v4
	v_lshlrev_b32_e32 v7, 4, v7
	v_add_lshl_u32 v54, v7, v50, 2
	s_waitcnt lgkmcnt(0)
	v_cndmask_b32_e32 v6, 0, v6, vcc_lo
	v_cmp_le_u32_e32 vcc_lo, v55, v3
	s_delay_alu instid0(VALU_DEP_2) | instskip(SKIP_3) | instid1(VALU_DEP_1)
	v_add_nc_u32_e32 v4, v4, v6
	ds_bpermute_b32 v6, v54, v4
	s_waitcnt lgkmcnt(0)
	v_cndmask_b32_e32 v3, 0, v6, vcc_lo
	v_dual_mov_b32 v3, 0 :: v_dual_add_nc_u32 v4, v4, v3
	s_branch .LBB54_50
.LBB54_49:                              ;   in Loop: Header=BB54_50 Depth=1
	s_or_b32 exec_lo, exec_lo, s24
	ds_bpermute_b32 v7, v10, v4
	v_and_b32_e32 v6, 0xff, v5
	v_subrev_nc_u32_e32 v2, 32, v2
	s_delay_alu instid0(VALU_DEP_2) | instskip(SKIP_1) | instid1(VALU_DEP_1)
	v_cmp_eq_u16_e32 vcc_lo, 2, v6
	v_and_or_b32 v6, vcc_lo, v11, 0x80000000
	v_ctz_i32_b32_e32 v6, v6
	s_delay_alu instid0(VALU_DEP_1) | instskip(SKIP_3) | instid1(VALU_DEP_2)
	v_cmp_lt_u32_e32 vcc_lo, v50, v6
	s_waitcnt lgkmcnt(0)
	v_cndmask_b32_e32 v7, 0, v7, vcc_lo
	v_cmp_le_u32_e32 vcc_lo, v13, v6
	v_add_nc_u32_e32 v4, v7, v4
	ds_bpermute_b32 v7, v12, v4
	s_waitcnt lgkmcnt(0)
	v_cndmask_b32_e32 v7, 0, v7, vcc_lo
	v_cmp_le_u32_e32 vcc_lo, v16, v6
	s_delay_alu instid0(VALU_DEP_2) | instskip(SKIP_4) | instid1(VALU_DEP_2)
	v_add_nc_u32_e32 v4, v4, v7
	ds_bpermute_b32 v7, v14, v4
	s_waitcnt lgkmcnt(0)
	v_cndmask_b32_e32 v7, 0, v7, vcc_lo
	v_cmp_le_u32_e32 vcc_lo, v53, v6
	v_add_nc_u32_e32 v4, v4, v7
	ds_bpermute_b32 v7, v17, v4
	s_waitcnt lgkmcnt(0)
	v_cndmask_b32_e32 v7, 0, v7, vcc_lo
	v_cmp_le_u32_e32 vcc_lo, v55, v6
	s_delay_alu instid0(VALU_DEP_2) | instskip(SKIP_3) | instid1(VALU_DEP_1)
	v_add_nc_u32_e32 v4, v4, v7
	ds_bpermute_b32 v7, v54, v4
	s_waitcnt lgkmcnt(0)
	v_cndmask_b32_e32 v6, 0, v7, vcc_lo
	v_add3_u32 v4, v6, v15, v4
.LBB54_50:                              ; =>This Loop Header: Depth=1
                                        ;     Child Loop BB54_53 Depth 2
	v_and_b32_e32 v5, 0xff, v5
	s_delay_alu instid0(VALU_DEP_2) | instskip(NEXT) | instid1(VALU_DEP_2)
	v_mov_b32_e32 v15, v4
	v_cmp_ne_u16_e32 vcc_lo, 2, v5
	v_cndmask_b32_e64 v5, 0, 1, vcc_lo
	;;#ASMSTART
	;;#ASMEND
	s_delay_alu instid0(VALU_DEP_1)
	v_cmp_ne_u32_e32 vcc_lo, 0, v5
	s_cmp_lg_u32 vcc_lo, exec_lo
	s_cbranch_scc1 .LBB54_55
; %bb.51:                               ;   in Loop: Header=BB54_50 Depth=1
	v_lshlrev_b64 v[4:5], 3, v[2:3]
	s_mov_b32 s24, exec_lo
	s_delay_alu instid0(VALU_DEP_1) | instskip(NEXT) | instid1(VALU_DEP_2)
	v_add_co_u32 v6, vcc_lo, s20, v4
	v_add_co_ci_u32_e32 v7, vcc_lo, s21, v5, vcc_lo
	global_load_b64 v[4:5], v[6:7], off glc
	s_waitcnt vmcnt(0)
	v_and_b32_e32 v56, 0xff, v5
	s_delay_alu instid0(VALU_DEP_1)
	v_cmpx_eq_u16_e32 0, v56
	s_cbranch_execz .LBB54_49
; %bb.52:                               ;   in Loop: Header=BB54_50 Depth=1
	s_mov_b32 s25, 0
.LBB54_53:                              ;   Parent Loop BB54_50 Depth=1
                                        ; =>  This Inner Loop Header: Depth=2
	global_load_b64 v[4:5], v[6:7], off glc
	s_waitcnt vmcnt(0)
	v_and_b32_e32 v56, 0xff, v5
	s_delay_alu instid0(VALU_DEP_1) | instskip(SKIP_1) | instid1(SALU_CYCLE_1)
	v_cmp_ne_u16_e32 vcc_lo, 0, v56
	s_or_b32 s25, vcc_lo, s25
	s_and_not1_b32 exec_lo, exec_lo, s25
	s_cbranch_execnz .LBB54_53
; %bb.54:                               ;   in Loop: Header=BB54_50 Depth=1
	s_or_b32 exec_lo, exec_lo, s25
	s_branch .LBB54_49
.LBB54_55:                              ;   in Loop: Header=BB54_50 Depth=1
                                        ; implicit-def: $vgpr4
                                        ; implicit-def: $vgpr5
	s_cbranch_execz .LBB54_50
; %bb.56:
	s_and_saveexec_b32 s24, s6
	s_cbranch_execz .LBB54_58
; %bb.57:
	s_add_i32 s26, s15, 32
	s_mov_b32 s27, 0
	v_dual_mov_b32 v3, 2 :: v_dual_add_nc_u32 v2, v15, v1
	s_lshl_b64 s[26:27], s[26:27], 3
	v_mov_b32_e32 v4, 0
	v_add_nc_u32_e64 v5, 0x3400, 0
	s_add_u32 s26, s20, s26
	s_addc_u32 s27, s21, s27
	global_store_b64 v4, v[2:3], s[26:27]
	ds_store_2addr_b32 v5, v1, v15 offset1:2
.LBB54_58:
	s_or_b32 exec_lo, exec_lo, s24
	v_cmp_eq_u32_e32 vcc_lo, 0, v0
	s_and_b32 exec_lo, exec_lo, vcc_lo
	s_cbranch_execz .LBB54_60
; %bb.59:
	v_mov_b32_e32 v1, 0
	ds_store_b32 v1, v15 offset:28
.LBB54_60:
	s_or_b32 exec_lo, exec_lo, s7
	s_waitcnt lgkmcnt(0)
	v_cndmask_b32_e64 v2, v9, v8, s6
	v_cmp_ne_u32_e32 vcc_lo, 0, v0
	v_mov_b32_e32 v1, 0
	s_waitcnt_vscnt null, 0x0
	s_barrier
	buffer_gl0_inv
	v_cndmask_b32_e32 v2, 0, v2, vcc_lo
	ds_load_b32 v1, v1 offset:28
	v_add_nc_u32_e64 v11, 0x3400, 0
	s_waitcnt lgkmcnt(0)
	s_barrier
	buffer_gl0_inv
	ds_load_2addr_b32 v[16:17], v11 offset1:2
	v_add_nc_u32_e32 v1, v1, v2
	s_delay_alu instid0(VALU_DEP_1) | instskip(NEXT) | instid1(VALU_DEP_1)
	v_add_nc_u32_e32 v2, v1, v41
	v_add_nc_u32_e32 v3, v2, v42
	s_delay_alu instid0(VALU_DEP_1) | instskip(NEXT) | instid1(VALU_DEP_1)
	v_add_nc_u32_e32 v4, v3, v43
	;; [unrolled: 3-line block ×6, first 2 shown]
	v_add_nc_u32_e32 v13, v12, v36
	s_branch .LBB54_71
.LBB54_61:
                                        ; implicit-def: $vgpr17
                                        ; implicit-def: $vgpr1_vgpr2_vgpr3_vgpr4_vgpr5_vgpr6_vgpr7_vgpr8_vgpr9_vgpr10_vgpr11_vgpr12_vgpr13_vgpr14_vgpr15_vgpr16
	s_and_b32 vcc_lo, exec_lo, s6
	s_cbranch_vccz .LBB54_71
; %bb.62:
	s_delay_alu instid0(VALU_DEP_1) | instskip(NEXT) | instid1(VALU_DEP_1)
	v_mov_b32_dpp v1, v52 row_shr:1 row_mask:0xf bank_mask:0xf
	v_cndmask_b32_e64 v1, v1, 0, s5
	s_delay_alu instid0(VALU_DEP_1) | instskip(NEXT) | instid1(VALU_DEP_1)
	v_add_nc_u32_e32 v1, v1, v52
	v_mov_b32_dpp v2, v1 row_shr:2 row_mask:0xf bank_mask:0xf
	s_delay_alu instid0(VALU_DEP_1) | instskip(NEXT) | instid1(VALU_DEP_1)
	v_cndmask_b32_e64 v2, 0, v2, s4
	v_add_nc_u32_e32 v1, v1, v2
	s_delay_alu instid0(VALU_DEP_1) | instskip(NEXT) | instid1(VALU_DEP_1)
	v_mov_b32_dpp v2, v1 row_shr:4 row_mask:0xf bank_mask:0xf
	v_cndmask_b32_e64 v2, 0, v2, s3
	s_delay_alu instid0(VALU_DEP_1) | instskip(NEXT) | instid1(VALU_DEP_1)
	v_add_nc_u32_e32 v1, v1, v2
	v_mov_b32_dpp v2, v1 row_shr:8 row_mask:0xf bank_mask:0xf
	s_delay_alu instid0(VALU_DEP_1) | instskip(NEXT) | instid1(VALU_DEP_1)
	v_cndmask_b32_e64 v2, 0, v2, s2
	v_add_nc_u32_e32 v1, v1, v2
	ds_swizzle_b32 v2, v1 offset:swizzle(BROADCAST,32,15)
	s_waitcnt lgkmcnt(0)
	v_cndmask_b32_e64 v2, v2, 0, s1
	s_delay_alu instid0(VALU_DEP_1)
	v_add_nc_u32_e32 v1, v1, v2
	s_and_saveexec_b32 s1, s0
	s_cbranch_execz .LBB54_64
; %bb.63:
	v_lshlrev_b32_e32 v2, 2, v51
	ds_store_b32 v2, v1
.LBB54_64:
	s_or_b32 exec_lo, exec_lo, s1
	s_delay_alu instid0(SALU_CYCLE_1)
	s_mov_b32 s0, exec_lo
	s_waitcnt lgkmcnt(0)
	s_barrier
	buffer_gl0_inv
	v_cmpx_gt_u32_e32 8, v0
	s_cbranch_execz .LBB54_66
; %bb.65:
	ds_load_b32 v2, v30
	s_waitcnt lgkmcnt(0)
	v_mov_b32_dpp v4, v2 row_shr:1 row_mask:0xf bank_mask:0xf
	v_and_b32_e32 v3, 7, v50
	s_delay_alu instid0(VALU_DEP_1) | instskip(NEXT) | instid1(VALU_DEP_3)
	v_cmp_ne_u32_e32 vcc_lo, 0, v3
	v_cndmask_b32_e32 v4, 0, v4, vcc_lo
	v_cmp_lt_u32_e32 vcc_lo, 1, v3
	s_delay_alu instid0(VALU_DEP_2) | instskip(NEXT) | instid1(VALU_DEP_1)
	v_add_nc_u32_e32 v2, v4, v2
	v_mov_b32_dpp v4, v2 row_shr:2 row_mask:0xf bank_mask:0xf
	s_delay_alu instid0(VALU_DEP_1) | instskip(SKIP_1) | instid1(VALU_DEP_2)
	v_cndmask_b32_e32 v4, 0, v4, vcc_lo
	v_cmp_lt_u32_e32 vcc_lo, 3, v3
	v_add_nc_u32_e32 v2, v2, v4
	s_delay_alu instid0(VALU_DEP_1) | instskip(NEXT) | instid1(VALU_DEP_1)
	v_mov_b32_dpp v4, v2 row_shr:4 row_mask:0xf bank_mask:0xf
	v_cndmask_b32_e32 v3, 0, v4, vcc_lo
	s_delay_alu instid0(VALU_DEP_1)
	v_add_nc_u32_e32 v2, v2, v3
	ds_store_b32 v30, v2
.LBB54_66:
	s_or_b32 exec_lo, exec_lo, s0
	v_dual_mov_b32 v3, 0 :: v_dual_mov_b32 v2, 0
	s_mov_b32 s0, exec_lo
	s_waitcnt lgkmcnt(0)
	s_barrier
	buffer_gl0_inv
	v_cmpx_lt_u32_e32 31, v0
	s_cbranch_execz .LBB54_68
; %bb.67:
	v_lshl_add_u32 v2, v51, 2, -4
	ds_load_b32 v2, v2
.LBB54_68:
	s_or_b32 exec_lo, exec_lo, s0
	v_add_nc_u32_e32 v4, -1, v50
	ds_load_b32 v16, v3 offset:28
	s_waitcnt lgkmcnt(1)
	v_add_nc_u32_e32 v1, v2, v1
	v_cmp_gt_i32_e32 vcc_lo, 0, v4
	v_cndmask_b32_e32 v4, v4, v50, vcc_lo
	v_cmp_eq_u32_e32 vcc_lo, 0, v0
	s_delay_alu instid0(VALU_DEP_2)
	v_lshlrev_b32_e32 v4, 2, v4
	ds_bpermute_b32 v1, v4, v1
	s_and_saveexec_b32 s0, vcc_lo
	s_cbranch_execz .LBB54_70
; %bb.69:
	v_mov_b32_e32 v3, 0
	v_mov_b32_e32 v17, 2
	s_waitcnt lgkmcnt(1)
	global_store_b64 v3, v[16:17], s[20:21] offset:256
.LBB54_70:
	s_or_b32 exec_lo, exec_lo, s0
	v_cmp_eq_u32_e64 s0, 0, v50
	s_waitcnt lgkmcnt(0)
	s_waitcnt_vscnt null, 0x0
	s_barrier
	buffer_gl0_inv
	v_mov_b32_e32 v17, 0
	v_cndmask_b32_e64 v1, v1, v2, s0
	s_delay_alu instid0(VALU_DEP_1) | instskip(NEXT) | instid1(VALU_DEP_1)
	v_cndmask_b32_e64 v1, v1, 0, vcc_lo
	v_add_nc_u32_e32 v2, v1, v41
	s_delay_alu instid0(VALU_DEP_1) | instskip(NEXT) | instid1(VALU_DEP_1)
	v_add_nc_u32_e32 v3, v2, v42
	v_add_nc_u32_e32 v4, v3, v43
	s_delay_alu instid0(VALU_DEP_1) | instskip(NEXT) | instid1(VALU_DEP_1)
	v_add_nc_u32_e32 v5, v4, v40
	;; [unrolled: 3-line block ×5, first 2 shown]
	v_add_nc_u32_e32 v12, v11, v49
	s_delay_alu instid0(VALU_DEP_1)
	v_add_nc_u32_e32 v13, v12, v36
.LBB54_71:
	v_lshrrev_b32_e32 v44, 8, v39
	v_lshrrev_b32_e32 v43, 16, v39
	s_waitcnt lgkmcnt(0)
	v_sub_nc_u32_e32 v1, v1, v17
	v_and_b32_e32 v39, 1, v39
	v_sub_nc_u32_e32 v3, v3, v17
	v_add_nc_u32_e32 v33, v16, v33
	v_sub_nc_u32_e32 v2, v2, v17
	v_sub_nc_u32_e32 v4, v4, v17
	v_cmp_eq_u32_e32 vcc_lo, 1, v39
	v_and_b32_e32 v39, 1, v43
	v_sub_nc_u32_e32 v45, v33, v1
	v_and_b32_e32 v44, 1, v44
	v_sub_nc_u32_e32 v43, v33, v2
	v_lshrrev_b32_e32 v42, 8, v37
	v_lshrrev_b32_e32 v41, 16, v37
	v_cndmask_b32_e32 v1, v45, v1, vcc_lo
	v_sub_nc_u32_e32 v45, v33, v3
	v_add_nc_u32_e32 v43, 1, v43
	v_cmp_eq_u32_e32 vcc_lo, 1, v44
	v_and_b32_e32 v40, 1, v40
	v_lshlrev_b32_e32 v1, 2, v1
	v_add_nc_u32_e32 v45, 2, v45
	v_lshrrev_b32_e32 v15, 8, v35
	v_lshrrev_b32_e32 v14, 16, v35
	ds_store_b32 v1, v28
	v_cndmask_b32_e32 v1, v43, v2, vcc_lo
	v_cmp_eq_u32_e32 vcc_lo, 1, v39
	v_or_b32_e32 v28, 0x500, v0
	s_delay_alu instid0(VALU_DEP_3)
	v_dual_cndmask_b32 v2, v45, v3 :: v_dual_lshlrev_b32 v1, 2, v1
	v_sub_nc_u32_e32 v46, v33, v4
	v_cmp_eq_u32_e32 vcc_lo, 1, v40
	ds_store_b32 v1, v29
	v_lshlrev_b32_e32 v2, 2, v2
	v_add_nc_u32_e32 v46, 3, v46
	v_or_b32_e32 v29, 0x400, v0
	s_delay_alu instid0(VALU_DEP_2) | instskip(SKIP_2) | instid1(VALU_DEP_3)
	v_cndmask_b32_e32 v3, v46, v4, vcc_lo
	v_sub_nc_u32_e32 v4, v5, v17
	v_sub_nc_u32_e32 v5, v6, v17
	v_lshlrev_b32_e32 v3, 2, v3
	s_delay_alu instid0(VALU_DEP_3) | instskip(NEXT) | instid1(VALU_DEP_3)
	v_sub_nc_u32_e32 v1, v33, v4
	v_sub_nc_u32_e32 v6, v33, v5
	ds_store_b32 v2, v26
	ds_store_b32 v3, v27
	v_and_b32_e32 v2, 1, v37
	v_add_nc_u32_e32 v1, 4, v1
	v_add_nc_u32_e32 v3, 5, v6
	v_sub_nc_u32_e32 v6, v7, v17
	v_and_b32_e32 v7, 1, v42
	v_cmp_eq_u32_e32 vcc_lo, 1, v2
	v_sub_nc_u32_e32 v2, v8, v17
	v_and_b32_e32 v8, 1, v38
	v_or_b32_e32 v27, 0x600, v0
	v_or_b32_e32 v26, 0x700, v0
	v_cndmask_b32_e32 v1, v1, v4, vcc_lo
	v_sub_nc_u32_e32 v4, v33, v6
	v_cmp_eq_u32_e32 vcc_lo, 1, v7
	v_and_b32_e32 v7, 1, v41
	s_delay_alu instid0(VALU_DEP_4) | instskip(NEXT) | instid1(VALU_DEP_4)
	v_lshlrev_b32_e32 v1, 2, v1
	v_dual_cndmask_b32 v3, v3, v5 :: v_dual_add_nc_u32 v4, 6, v4
	v_sub_nc_u32_e32 v5, v33, v2
	s_delay_alu instid0(VALU_DEP_4) | instskip(SKIP_1) | instid1(VALU_DEP_4)
	v_cmp_eq_u32_e32 vcc_lo, 1, v7
	v_sub_nc_u32_e32 v7, v13, v17
	v_lshlrev_b32_e32 v3, 2, v3
	s_delay_alu instid0(VALU_DEP_4)
	v_dual_cndmask_b32 v4, v4, v6 :: v_dual_add_nc_u32 v5, 7, v5
	v_cmp_eq_u32_e32 vcc_lo, 1, v8
	v_sub_nc_u32_e32 v6, v9, v17
	ds_store_b32 v1, v24
	ds_store_b32 v3, v25
	v_or_b32_e32 v25, 0x800, v0
	v_dual_cndmask_b32 v2, v5, v2 :: v_dual_lshlrev_b32 v3, 2, v4
	v_and_b32_e32 v5, 1, v35
	v_sub_nc_u32_e32 v1, v33, v6
	v_sub_nc_u32_e32 v4, v10, v17
	v_and_b32_e32 v10, 1, v36
	v_or_b32_e32 v24, 0x900, v0
	v_cmp_eq_u32_e32 vcc_lo, 1, v5
	v_sub_nc_u32_e32 v5, v12, v17
	v_add_nc_u32_e32 v1, 8, v1
	s_delay_alu instid0(VALU_DEP_2) | instskip(NEXT) | instid1(VALU_DEP_2)
	v_sub_nc_u32_e32 v9, v33, v5
	v_dual_cndmask_b32 v1, v1, v6 :: v_dual_and_b32 v6, 1, v15
	v_add_co_u32 v15, s0, s18, v17
	s_delay_alu instid0(VALU_DEP_3)
	v_add_nc_u32_e32 v9, 11, v9
	v_lshlrev_b32_e32 v2, 2, v2
	ds_store_b32 v3, v22
	ds_store_b32 v2, v23
	v_sub_nc_u32_e32 v3, v11, v17
	v_sub_nc_u32_e32 v2, v33, v4
	v_cmp_eq_u32_e32 vcc_lo, 1, v6
	v_and_b32_e32 v11, 1, v34
	v_lshlrev_b32_e32 v1, 2, v1
	v_sub_nc_u32_e32 v8, v33, v3
	v_add_nc_u32_e32 v2, 9, v2
	v_add_co_ci_u32_e64 v17, null, s19, 0, s0
	s_add_u32 s0, s16, s23
	s_delay_alu instid0(VALU_DEP_3)
	v_add_nc_u32_e32 v6, 10, v8
	v_and_b32_e32 v8, 1, v14
	v_cndmask_b32_e32 v2, v2, v4, vcc_lo
	v_sub_nc_u32_e32 v4, v33, v7
	s_addc_u32 s1, s17, 0
	s_sub_u32 s0, s12, s0
	v_cmp_eq_u32_e32 vcc_lo, 1, v8
	v_lshlrev_b32_e32 v2, 2, v2
	v_add_nc_u32_e32 v4, 12, v4
	s_subb_u32 s1, s13, s1
	v_add_co_u32 v13, s0, s0, v16
	v_cndmask_b32_e32 v3, v6, v3, vcc_lo
	v_cmp_eq_u32_e32 vcc_lo, 1, v10
	v_add_co_ci_u32_e64 v14, null, s1, 0, s0
	v_or_b32_e32 v34, 0x100, v0
	s_delay_alu instid0(VALU_DEP_4)
	v_lshlrev_b32_e32 v3, 2, v3
	v_cndmask_b32_e32 v5, v9, v5, vcc_lo
	v_cmp_eq_u32_e32 vcc_lo, 1, v11
	v_or_b32_e32 v33, 0x200, v0
	v_or_b32_e32 v23, 0xa00, v0
	;; [unrolled: 1-line block ×3, first 2 shown]
	v_dual_cndmask_b32 v4, v4, v7 :: v_dual_lshlrev_b32 v5, 2, v5
	v_cmp_ne_u32_e32 vcc_lo, 1, v31
	s_delay_alu instid0(VALU_DEP_2)
	v_lshlrev_b32_e32 v4, 2, v4
	ds_store_b32 v1, v20
	ds_store_b32 v2, v21
	;; [unrolled: 1-line block ×5, first 2 shown]
	s_waitcnt lgkmcnt(0)
	s_barrier
	buffer_gl0_inv
	ds_load_2addr_stride64_b32 v[11:12], v30 offset1:4
	ds_load_2addr_stride64_b32 v[9:10], v30 offset0:8 offset1:12
	ds_load_2addr_stride64_b32 v[7:8], v30 offset0:16 offset1:20
	;; [unrolled: 1-line block ×5, first 2 shown]
	ds_load_b32 v18, v30 offset:12288
	v_add_co_u32 v20, s0, v13, v15
	v_or_b32_e32 v32, 0x300, v0
	v_or_b32_e32 v19, 0xc00, v0
	v_add_co_ci_u32_e64 v21, s0, v14, v17, s0
	s_mov_b32 s0, 0
	s_cbranch_vccnz .LBB54_125
; %bb.72:
	s_mov_b32 s0, exec_lo
                                        ; implicit-def: $vgpr13_vgpr14
	v_cmpx_ge_u32_e64 v0, v16
	s_xor_b32 s0, exec_lo, s0
; %bb.73:
	v_not_b32_e32 v13, v0
	s_delay_alu instid0(VALU_DEP_1) | instskip(SKIP_1) | instid1(VALU_DEP_2)
	v_ashrrev_i32_e32 v14, 31, v13
	v_add_co_u32 v13, vcc_lo, v20, v13
	v_add_co_ci_u32_e32 v14, vcc_lo, v21, v14, vcc_lo
; %bb.74:
	s_and_not1_saveexec_b32 s0, s0
; %bb.75:
	v_add_co_u32 v13, vcc_lo, v15, v0
	v_add_co_ci_u32_e32 v14, vcc_lo, 0, v17, vcc_lo
; %bb.76:
	s_or_b32 exec_lo, exec_lo, s0
	s_delay_alu instid0(VALU_DEP_1) | instskip(SKIP_1) | instid1(VALU_DEP_1)
	v_lshlrev_b64 v[13:14], 2, v[13:14]
	s_mov_b32 s0, exec_lo
	v_add_co_u32 v13, vcc_lo, s10, v13
	s_delay_alu instid0(VALU_DEP_2)
	v_add_co_ci_u32_e32 v14, vcc_lo, s11, v14, vcc_lo
	s_waitcnt lgkmcnt(6)
	global_store_b32 v[13:14], v11, off
                                        ; implicit-def: $vgpr13_vgpr14
	v_cmpx_ge_u32_e64 v34, v16
	s_xor_b32 s0, exec_lo, s0
; %bb.77:
	v_xor_b32_e32 v13, 0xfffffeff, v0
	s_delay_alu instid0(VALU_DEP_1) | instskip(SKIP_1) | instid1(VALU_DEP_2)
	v_ashrrev_i32_e32 v14, 31, v13
	v_add_co_u32 v13, vcc_lo, v20, v13
	v_add_co_ci_u32_e32 v14, vcc_lo, v21, v14, vcc_lo
; %bb.78:
	s_and_not1_saveexec_b32 s0, s0
; %bb.79:
	v_add_co_u32 v13, vcc_lo, v15, v34
	v_add_co_ci_u32_e32 v14, vcc_lo, 0, v17, vcc_lo
; %bb.80:
	s_or_b32 exec_lo, exec_lo, s0
	s_delay_alu instid0(VALU_DEP_1) | instskip(SKIP_1) | instid1(VALU_DEP_1)
	v_lshlrev_b64 v[13:14], 2, v[13:14]
	s_mov_b32 s0, exec_lo
	v_add_co_u32 v13, vcc_lo, s10, v13
	s_delay_alu instid0(VALU_DEP_2)
	v_add_co_ci_u32_e32 v14, vcc_lo, s11, v14, vcc_lo
	global_store_b32 v[13:14], v12, off
                                        ; implicit-def: $vgpr13_vgpr14
	v_cmpx_ge_u32_e64 v33, v16
	s_xor_b32 s0, exec_lo, s0
; %bb.81:
	v_xor_b32_e32 v13, 0xfffffdff, v0
	s_delay_alu instid0(VALU_DEP_1) | instskip(SKIP_1) | instid1(VALU_DEP_2)
	v_ashrrev_i32_e32 v14, 31, v13
	v_add_co_u32 v13, vcc_lo, v20, v13
	v_add_co_ci_u32_e32 v14, vcc_lo, v21, v14, vcc_lo
; %bb.82:
	s_and_not1_saveexec_b32 s0, s0
; %bb.83:
	v_add_co_u32 v13, vcc_lo, v15, v33
	v_add_co_ci_u32_e32 v14, vcc_lo, 0, v17, vcc_lo
; %bb.84:
	s_or_b32 exec_lo, exec_lo, s0
	s_delay_alu instid0(VALU_DEP_1) | instskip(SKIP_1) | instid1(VALU_DEP_1)
	v_lshlrev_b64 v[13:14], 2, v[13:14]
	s_mov_b32 s0, exec_lo
	v_add_co_u32 v13, vcc_lo, s10, v13
	s_delay_alu instid0(VALU_DEP_2)
	v_add_co_ci_u32_e32 v14, vcc_lo, s11, v14, vcc_lo
	s_waitcnt lgkmcnt(5)
	global_store_b32 v[13:14], v9, off
                                        ; implicit-def: $vgpr13_vgpr14
	v_cmpx_ge_u32_e64 v32, v16
	s_xor_b32 s0, exec_lo, s0
; %bb.85:
	v_xor_b32_e32 v13, 0xfffffcff, v0
	s_delay_alu instid0(VALU_DEP_1) | instskip(SKIP_1) | instid1(VALU_DEP_2)
	v_ashrrev_i32_e32 v14, 31, v13
	v_add_co_u32 v13, vcc_lo, v20, v13
	v_add_co_ci_u32_e32 v14, vcc_lo, v21, v14, vcc_lo
; %bb.86:
	s_and_not1_saveexec_b32 s0, s0
; %bb.87:
	v_add_co_u32 v13, vcc_lo, v15, v32
	v_add_co_ci_u32_e32 v14, vcc_lo, 0, v17, vcc_lo
; %bb.88:
	s_or_b32 exec_lo, exec_lo, s0
	s_delay_alu instid0(VALU_DEP_1) | instskip(SKIP_1) | instid1(VALU_DEP_1)
	v_lshlrev_b64 v[13:14], 2, v[13:14]
	s_mov_b32 s0, exec_lo
	v_add_co_u32 v13, vcc_lo, s10, v13
	s_delay_alu instid0(VALU_DEP_2)
	v_add_co_ci_u32_e32 v14, vcc_lo, s11, v14, vcc_lo
	global_store_b32 v[13:14], v10, off
                                        ; implicit-def: $vgpr13_vgpr14
	v_cmpx_ge_u32_e64 v29, v16
	s_xor_b32 s0, exec_lo, s0
; %bb.89:
	v_xor_b32_e32 v13, 0xfffffbff, v0
	;; [unrolled: 47-line block ×6, first 2 shown]
	s_delay_alu instid0(VALU_DEP_1) | instskip(SKIP_1) | instid1(VALU_DEP_2)
	v_ashrrev_i32_e32 v14, 31, v13
	v_add_co_u32 v13, vcc_lo, v20, v13
	v_add_co_ci_u32_e32 v14, vcc_lo, v21, v14, vcc_lo
; %bb.122:
	s_and_not1_saveexec_b32 s0, s0
; %bb.123:
	v_add_co_u32 v13, vcc_lo, v15, v19
	v_add_co_ci_u32_e32 v14, vcc_lo, 0, v17, vcc_lo
; %bb.124:
	s_or_b32 exec_lo, exec_lo, s0
	s_mov_b32 s0, -1
	s_branch .LBB54_205
.LBB54_125:
                                        ; implicit-def: $vgpr13_vgpr14
	s_cbranch_execz .LBB54_205
; %bb.126:
	s_mov_b32 s1, exec_lo
	v_cmpx_gt_u32_e64 s22, v0
	s_cbranch_execz .LBB54_162
; %bb.127:
	s_mov_b32 s2, exec_lo
                                        ; implicit-def: $vgpr13_vgpr14
	v_cmpx_ge_u32_e64 v0, v16
	s_xor_b32 s2, exec_lo, s2
; %bb.128:
	v_not_b32_e32 v13, v0
	s_delay_alu instid0(VALU_DEP_1) | instskip(SKIP_1) | instid1(VALU_DEP_2)
	v_ashrrev_i32_e32 v14, 31, v13
	v_add_co_u32 v13, vcc_lo, v20, v13
	v_add_co_ci_u32_e32 v14, vcc_lo, v21, v14, vcc_lo
; %bb.129:
	s_and_not1_saveexec_b32 s2, s2
; %bb.130:
	v_add_co_u32 v13, vcc_lo, v15, v0
	v_add_co_ci_u32_e32 v14, vcc_lo, 0, v17, vcc_lo
; %bb.131:
	s_or_b32 exec_lo, exec_lo, s2
	s_delay_alu instid0(VALU_DEP_1) | instskip(NEXT) | instid1(VALU_DEP_1)
	v_lshlrev_b64 v[13:14], 2, v[13:14]
	v_add_co_u32 v13, vcc_lo, s10, v13
	s_delay_alu instid0(VALU_DEP_2) | instskip(SKIP_3) | instid1(SALU_CYCLE_1)
	v_add_co_ci_u32_e32 v14, vcc_lo, s11, v14, vcc_lo
	s_waitcnt lgkmcnt(6)
	global_store_b32 v[13:14], v11, off
	s_or_b32 exec_lo, exec_lo, s1
	s_mov_b32 s1, exec_lo
	v_cmpx_gt_u32_e64 s22, v34
	s_cbranch_execnz .LBB54_163
.LBB54_132:
	s_or_b32 exec_lo, exec_lo, s1
	s_delay_alu instid0(SALU_CYCLE_1)
	s_mov_b32 s1, exec_lo
	v_cmpx_gt_u32_e64 s22, v33
	s_cbranch_execz .LBB54_168
.LBB54_133:
	s_mov_b32 s2, exec_lo
                                        ; implicit-def: $vgpr11_vgpr12
	v_cmpx_ge_u32_e64 v33, v16
	s_xor_b32 s2, exec_lo, s2
	s_cbranch_execz .LBB54_135
; %bb.134:
	s_waitcnt lgkmcnt(6)
	v_xor_b32_e32 v11, 0xfffffdff, v0
                                        ; implicit-def: $vgpr33
	s_delay_alu instid0(VALU_DEP_1) | instskip(SKIP_1) | instid1(VALU_DEP_2)
	v_ashrrev_i32_e32 v12, 31, v11
	v_add_co_u32 v11, vcc_lo, v20, v11
	v_add_co_ci_u32_e32 v12, vcc_lo, v21, v12, vcc_lo
.LBB54_135:
	s_and_not1_saveexec_b32 s2, s2
	s_cbranch_execz .LBB54_137
; %bb.136:
	s_waitcnt lgkmcnt(6)
	v_add_co_u32 v11, vcc_lo, v15, v33
	v_add_co_ci_u32_e32 v12, vcc_lo, 0, v17, vcc_lo
.LBB54_137:
	s_or_b32 exec_lo, exec_lo, s2
	s_waitcnt lgkmcnt(6)
	s_delay_alu instid0(VALU_DEP_1) | instskip(NEXT) | instid1(VALU_DEP_1)
	v_lshlrev_b64 v[11:12], 2, v[11:12]
	v_add_co_u32 v11, vcc_lo, s10, v11
	s_delay_alu instid0(VALU_DEP_2) | instskip(SKIP_3) | instid1(SALU_CYCLE_1)
	v_add_co_ci_u32_e32 v12, vcc_lo, s11, v12, vcc_lo
	s_waitcnt lgkmcnt(5)
	global_store_b32 v[11:12], v9, off
	s_or_b32 exec_lo, exec_lo, s1
	s_mov_b32 s1, exec_lo
	v_cmpx_gt_u32_e64 s22, v32
	s_cbranch_execnz .LBB54_169
.LBB54_138:
	s_or_b32 exec_lo, exec_lo, s1
	s_delay_alu instid0(SALU_CYCLE_1)
	s_mov_b32 s1, exec_lo
	v_cmpx_gt_u32_e64 s22, v29
	s_cbranch_execz .LBB54_174
.LBB54_139:
	s_mov_b32 s2, exec_lo
                                        ; implicit-def: $vgpr9_vgpr10
	v_cmpx_ge_u32_e64 v29, v16
	s_xor_b32 s2, exec_lo, s2
	s_cbranch_execz .LBB54_141
; %bb.140:
	s_waitcnt lgkmcnt(5)
	v_xor_b32_e32 v9, 0xfffffbff, v0
                                        ; implicit-def: $vgpr29
	s_delay_alu instid0(VALU_DEP_1) | instskip(SKIP_1) | instid1(VALU_DEP_2)
	v_ashrrev_i32_e32 v10, 31, v9
	v_add_co_u32 v9, vcc_lo, v20, v9
	v_add_co_ci_u32_e32 v10, vcc_lo, v21, v10, vcc_lo
.LBB54_141:
	s_and_not1_saveexec_b32 s2, s2
	s_cbranch_execz .LBB54_143
; %bb.142:
	s_waitcnt lgkmcnt(5)
	v_add_co_u32 v9, vcc_lo, v15, v29
	v_add_co_ci_u32_e32 v10, vcc_lo, 0, v17, vcc_lo
.LBB54_143:
	s_or_b32 exec_lo, exec_lo, s2
	s_waitcnt lgkmcnt(5)
	s_delay_alu instid0(VALU_DEP_1) | instskip(NEXT) | instid1(VALU_DEP_1)
	v_lshlrev_b64 v[9:10], 2, v[9:10]
	v_add_co_u32 v9, vcc_lo, s10, v9
	s_delay_alu instid0(VALU_DEP_2) | instskip(SKIP_3) | instid1(SALU_CYCLE_1)
	v_add_co_ci_u32_e32 v10, vcc_lo, s11, v10, vcc_lo
	s_waitcnt lgkmcnt(4)
	global_store_b32 v[9:10], v7, off
	s_or_b32 exec_lo, exec_lo, s1
	s_mov_b32 s1, exec_lo
	v_cmpx_gt_u32_e64 s22, v28
	s_cbranch_execnz .LBB54_175
.LBB54_144:
	s_or_b32 exec_lo, exec_lo, s1
	s_delay_alu instid0(SALU_CYCLE_1)
	s_mov_b32 s1, exec_lo
	v_cmpx_gt_u32_e64 s22, v27
	s_cbranch_execz .LBB54_180
.LBB54_145:
	s_mov_b32 s2, exec_lo
                                        ; implicit-def: $vgpr7_vgpr8
	v_cmpx_ge_u32_e64 v27, v16
	s_xor_b32 s2, exec_lo, s2
	s_cbranch_execz .LBB54_147
; %bb.146:
	s_waitcnt lgkmcnt(4)
	v_xor_b32_e32 v7, 0xfffff9ff, v0
                                        ; implicit-def: $vgpr27
	s_delay_alu instid0(VALU_DEP_1) | instskip(SKIP_1) | instid1(VALU_DEP_2)
	v_ashrrev_i32_e32 v8, 31, v7
	v_add_co_u32 v7, vcc_lo, v20, v7
	v_add_co_ci_u32_e32 v8, vcc_lo, v21, v8, vcc_lo
.LBB54_147:
	s_and_not1_saveexec_b32 s2, s2
	s_cbranch_execz .LBB54_149
; %bb.148:
	s_waitcnt lgkmcnt(4)
	v_add_co_u32 v7, vcc_lo, v15, v27
	v_add_co_ci_u32_e32 v8, vcc_lo, 0, v17, vcc_lo
.LBB54_149:
	s_or_b32 exec_lo, exec_lo, s2
	s_waitcnt lgkmcnt(4)
	s_delay_alu instid0(VALU_DEP_1) | instskip(NEXT) | instid1(VALU_DEP_1)
	v_lshlrev_b64 v[7:8], 2, v[7:8]
	v_add_co_u32 v7, vcc_lo, s10, v7
	s_delay_alu instid0(VALU_DEP_2) | instskip(SKIP_3) | instid1(SALU_CYCLE_1)
	v_add_co_ci_u32_e32 v8, vcc_lo, s11, v8, vcc_lo
	s_waitcnt lgkmcnt(3)
	global_store_b32 v[7:8], v5, off
	s_or_b32 exec_lo, exec_lo, s1
	s_mov_b32 s1, exec_lo
	v_cmpx_gt_u32_e64 s22, v26
	s_cbranch_execnz .LBB54_181
.LBB54_150:
	s_or_b32 exec_lo, exec_lo, s1
	s_delay_alu instid0(SALU_CYCLE_1)
	s_mov_b32 s1, exec_lo
	v_cmpx_gt_u32_e64 s22, v25
	s_cbranch_execz .LBB54_186
.LBB54_151:
	s_mov_b32 s2, exec_lo
                                        ; implicit-def: $vgpr5_vgpr6
	v_cmpx_ge_u32_e64 v25, v16
	s_xor_b32 s2, exec_lo, s2
	s_cbranch_execz .LBB54_153
; %bb.152:
	s_waitcnt lgkmcnt(3)
	v_xor_b32_e32 v5, 0xfffff7ff, v0
                                        ; implicit-def: $vgpr25
	s_delay_alu instid0(VALU_DEP_1) | instskip(SKIP_1) | instid1(VALU_DEP_2)
	v_ashrrev_i32_e32 v6, 31, v5
	v_add_co_u32 v5, vcc_lo, v20, v5
	v_add_co_ci_u32_e32 v6, vcc_lo, v21, v6, vcc_lo
.LBB54_153:
	s_and_not1_saveexec_b32 s2, s2
	s_cbranch_execz .LBB54_155
; %bb.154:
	s_waitcnt lgkmcnt(3)
	v_add_co_u32 v5, vcc_lo, v15, v25
	v_add_co_ci_u32_e32 v6, vcc_lo, 0, v17, vcc_lo
.LBB54_155:
	s_or_b32 exec_lo, exec_lo, s2
	s_waitcnt lgkmcnt(3)
	s_delay_alu instid0(VALU_DEP_1) | instskip(NEXT) | instid1(VALU_DEP_1)
	v_lshlrev_b64 v[5:6], 2, v[5:6]
	v_add_co_u32 v5, vcc_lo, s10, v5
	s_delay_alu instid0(VALU_DEP_2) | instskip(SKIP_3) | instid1(SALU_CYCLE_1)
	v_add_co_ci_u32_e32 v6, vcc_lo, s11, v6, vcc_lo
	s_waitcnt lgkmcnt(2)
	global_store_b32 v[5:6], v3, off
	s_or_b32 exec_lo, exec_lo, s1
	s_mov_b32 s1, exec_lo
	v_cmpx_gt_u32_e64 s22, v24
	s_cbranch_execnz .LBB54_187
.LBB54_156:
	s_or_b32 exec_lo, exec_lo, s1
	s_delay_alu instid0(SALU_CYCLE_1)
	s_mov_b32 s1, exec_lo
	v_cmpx_gt_u32_e64 s22, v23
	s_cbranch_execz .LBB54_192
.LBB54_157:
	s_mov_b32 s2, exec_lo
                                        ; implicit-def: $vgpr3_vgpr4
	v_cmpx_ge_u32_e64 v23, v16
	s_xor_b32 s2, exec_lo, s2
	s_cbranch_execz .LBB54_159
; %bb.158:
	s_waitcnt lgkmcnt(2)
	v_xor_b32_e32 v3, 0xfffff5ff, v0
                                        ; implicit-def: $vgpr23
	s_delay_alu instid0(VALU_DEP_1) | instskip(SKIP_1) | instid1(VALU_DEP_2)
	v_ashrrev_i32_e32 v4, 31, v3
	v_add_co_u32 v3, vcc_lo, v20, v3
	v_add_co_ci_u32_e32 v4, vcc_lo, v21, v4, vcc_lo
.LBB54_159:
	s_and_not1_saveexec_b32 s2, s2
	s_cbranch_execz .LBB54_161
; %bb.160:
	s_waitcnt lgkmcnt(2)
	v_add_co_u32 v3, vcc_lo, v15, v23
	v_add_co_ci_u32_e32 v4, vcc_lo, 0, v17, vcc_lo
.LBB54_161:
	s_or_b32 exec_lo, exec_lo, s2
	s_waitcnt lgkmcnt(2)
	s_delay_alu instid0(VALU_DEP_1) | instskip(NEXT) | instid1(VALU_DEP_1)
	v_lshlrev_b64 v[3:4], 2, v[3:4]
	v_add_co_u32 v3, vcc_lo, s10, v3
	s_delay_alu instid0(VALU_DEP_2) | instskip(SKIP_3) | instid1(SALU_CYCLE_1)
	v_add_co_ci_u32_e32 v4, vcc_lo, s11, v4, vcc_lo
	s_waitcnt lgkmcnt(1)
	global_store_b32 v[3:4], v1, off
	s_or_b32 exec_lo, exec_lo, s1
	s_mov_b32 s1, exec_lo
	v_cmpx_gt_u32_e64 s22, v22
	s_cbranch_execz .LBB54_198
	s_branch .LBB54_193
.LBB54_162:
	s_or_b32 exec_lo, exec_lo, s1
	s_delay_alu instid0(SALU_CYCLE_1)
	s_mov_b32 s1, exec_lo
	v_cmpx_gt_u32_e64 s22, v34
	s_cbranch_execz .LBB54_132
.LBB54_163:
	s_mov_b32 s2, exec_lo
                                        ; implicit-def: $vgpr13_vgpr14
	v_cmpx_ge_u32_e64 v34, v16
	s_xor_b32 s2, exec_lo, s2
	s_cbranch_execz .LBB54_165
; %bb.164:
	s_waitcnt lgkmcnt(6)
	v_xor_b32_e32 v11, 0xfffffeff, v0
                                        ; implicit-def: $vgpr34
	s_delay_alu instid0(VALU_DEP_1) | instskip(SKIP_1) | instid1(VALU_DEP_2)
	v_ashrrev_i32_e32 v14, 31, v11
	v_add_co_u32 v13, vcc_lo, v20, v11
	v_add_co_ci_u32_e32 v14, vcc_lo, v21, v14, vcc_lo
.LBB54_165:
	s_and_not1_saveexec_b32 s2, s2
; %bb.166:
	v_add_co_u32 v13, vcc_lo, v15, v34
	v_add_co_ci_u32_e32 v14, vcc_lo, 0, v17, vcc_lo
; %bb.167:
	s_or_b32 exec_lo, exec_lo, s2
	s_delay_alu instid0(VALU_DEP_1) | instskip(NEXT) | instid1(VALU_DEP_1)
	v_lshlrev_b64 v[13:14], 2, v[13:14]
	v_add_co_u32 v13, vcc_lo, s10, v13
	s_delay_alu instid0(VALU_DEP_2) | instskip(SKIP_3) | instid1(SALU_CYCLE_1)
	v_add_co_ci_u32_e32 v14, vcc_lo, s11, v14, vcc_lo
	s_waitcnt lgkmcnt(6)
	global_store_b32 v[13:14], v12, off
	s_or_b32 exec_lo, exec_lo, s1
	s_mov_b32 s1, exec_lo
	v_cmpx_gt_u32_e64 s22, v33
	s_cbranch_execnz .LBB54_133
.LBB54_168:
	s_or_b32 exec_lo, exec_lo, s1
	s_delay_alu instid0(SALU_CYCLE_1)
	s_mov_b32 s1, exec_lo
	v_cmpx_gt_u32_e64 s22, v32
	s_cbranch_execz .LBB54_138
.LBB54_169:
	s_mov_b32 s2, exec_lo
                                        ; implicit-def: $vgpr11_vgpr12
	v_cmpx_ge_u32_e64 v32, v16
	s_xor_b32 s2, exec_lo, s2
	s_cbranch_execz .LBB54_171
; %bb.170:
	s_waitcnt lgkmcnt(5)
	v_xor_b32_e32 v9, 0xfffffcff, v0
                                        ; implicit-def: $vgpr32
	s_delay_alu instid0(VALU_DEP_1) | instskip(SKIP_1) | instid1(VALU_DEP_2)
	v_ashrrev_i32_e32 v12, 31, v9
	v_add_co_u32 v11, vcc_lo, v20, v9
	v_add_co_ci_u32_e32 v12, vcc_lo, v21, v12, vcc_lo
.LBB54_171:
	s_and_not1_saveexec_b32 s2, s2
	s_cbranch_execz .LBB54_173
; %bb.172:
	s_waitcnt lgkmcnt(6)
	v_add_co_u32 v11, vcc_lo, v15, v32
	v_add_co_ci_u32_e32 v12, vcc_lo, 0, v17, vcc_lo
.LBB54_173:
	s_or_b32 exec_lo, exec_lo, s2
	s_waitcnt lgkmcnt(6)
	s_delay_alu instid0(VALU_DEP_1) | instskip(NEXT) | instid1(VALU_DEP_1)
	v_lshlrev_b64 v[11:12], 2, v[11:12]
	v_add_co_u32 v11, vcc_lo, s10, v11
	s_delay_alu instid0(VALU_DEP_2) | instskip(SKIP_3) | instid1(SALU_CYCLE_1)
	v_add_co_ci_u32_e32 v12, vcc_lo, s11, v12, vcc_lo
	s_waitcnt lgkmcnt(5)
	global_store_b32 v[11:12], v10, off
	s_or_b32 exec_lo, exec_lo, s1
	s_mov_b32 s1, exec_lo
	v_cmpx_gt_u32_e64 s22, v29
	s_cbranch_execnz .LBB54_139
.LBB54_174:
	s_or_b32 exec_lo, exec_lo, s1
	s_delay_alu instid0(SALU_CYCLE_1)
	s_mov_b32 s1, exec_lo
	v_cmpx_gt_u32_e64 s22, v28
	s_cbranch_execz .LBB54_144
.LBB54_175:
	s_mov_b32 s2, exec_lo
                                        ; implicit-def: $vgpr9_vgpr10
	v_cmpx_ge_u32_e64 v28, v16
	s_xor_b32 s2, exec_lo, s2
	s_cbranch_execz .LBB54_177
; %bb.176:
	s_waitcnt lgkmcnt(4)
	v_xor_b32_e32 v7, 0xfffffaff, v0
                                        ; implicit-def: $vgpr28
	s_delay_alu instid0(VALU_DEP_1) | instskip(SKIP_1) | instid1(VALU_DEP_2)
	v_ashrrev_i32_e32 v10, 31, v7
	v_add_co_u32 v9, vcc_lo, v20, v7
	v_add_co_ci_u32_e32 v10, vcc_lo, v21, v10, vcc_lo
.LBB54_177:
	s_and_not1_saveexec_b32 s2, s2
	s_cbranch_execz .LBB54_179
; %bb.178:
	s_waitcnt lgkmcnt(5)
	v_add_co_u32 v9, vcc_lo, v15, v28
	v_add_co_ci_u32_e32 v10, vcc_lo, 0, v17, vcc_lo
.LBB54_179:
	s_or_b32 exec_lo, exec_lo, s2
	s_waitcnt lgkmcnt(5)
	s_delay_alu instid0(VALU_DEP_1) | instskip(NEXT) | instid1(VALU_DEP_1)
	v_lshlrev_b64 v[9:10], 2, v[9:10]
	v_add_co_u32 v9, vcc_lo, s10, v9
	s_delay_alu instid0(VALU_DEP_2) | instskip(SKIP_3) | instid1(SALU_CYCLE_1)
	v_add_co_ci_u32_e32 v10, vcc_lo, s11, v10, vcc_lo
	s_waitcnt lgkmcnt(4)
	global_store_b32 v[9:10], v8, off
	s_or_b32 exec_lo, exec_lo, s1
	s_mov_b32 s1, exec_lo
	v_cmpx_gt_u32_e64 s22, v27
	s_cbranch_execnz .LBB54_145
.LBB54_180:
	s_or_b32 exec_lo, exec_lo, s1
	s_delay_alu instid0(SALU_CYCLE_1)
	s_mov_b32 s1, exec_lo
	v_cmpx_gt_u32_e64 s22, v26
	s_cbranch_execz .LBB54_150
.LBB54_181:
	s_mov_b32 s2, exec_lo
                                        ; implicit-def: $vgpr7_vgpr8
	v_cmpx_ge_u32_e64 v26, v16
	s_xor_b32 s2, exec_lo, s2
	s_cbranch_execz .LBB54_183
; %bb.182:
	s_waitcnt lgkmcnt(3)
	v_xor_b32_e32 v5, 0xfffff8ff, v0
                                        ; implicit-def: $vgpr26
	s_delay_alu instid0(VALU_DEP_1) | instskip(SKIP_1) | instid1(VALU_DEP_2)
	v_ashrrev_i32_e32 v8, 31, v5
	v_add_co_u32 v7, vcc_lo, v20, v5
	v_add_co_ci_u32_e32 v8, vcc_lo, v21, v8, vcc_lo
.LBB54_183:
	s_and_not1_saveexec_b32 s2, s2
	s_cbranch_execz .LBB54_185
; %bb.184:
	s_waitcnt lgkmcnt(4)
	v_add_co_u32 v7, vcc_lo, v15, v26
	v_add_co_ci_u32_e32 v8, vcc_lo, 0, v17, vcc_lo
.LBB54_185:
	s_or_b32 exec_lo, exec_lo, s2
	s_waitcnt lgkmcnt(4)
	s_delay_alu instid0(VALU_DEP_1) | instskip(NEXT) | instid1(VALU_DEP_1)
	v_lshlrev_b64 v[7:8], 2, v[7:8]
	v_add_co_u32 v7, vcc_lo, s10, v7
	s_delay_alu instid0(VALU_DEP_2) | instskip(SKIP_3) | instid1(SALU_CYCLE_1)
	v_add_co_ci_u32_e32 v8, vcc_lo, s11, v8, vcc_lo
	s_waitcnt lgkmcnt(3)
	global_store_b32 v[7:8], v6, off
	s_or_b32 exec_lo, exec_lo, s1
	s_mov_b32 s1, exec_lo
	v_cmpx_gt_u32_e64 s22, v25
	s_cbranch_execnz .LBB54_151
.LBB54_186:
	s_or_b32 exec_lo, exec_lo, s1
	s_delay_alu instid0(SALU_CYCLE_1)
	s_mov_b32 s1, exec_lo
	v_cmpx_gt_u32_e64 s22, v24
	s_cbranch_execz .LBB54_156
.LBB54_187:
	s_mov_b32 s2, exec_lo
                                        ; implicit-def: $vgpr5_vgpr6
	v_cmpx_ge_u32_e64 v24, v16
	s_xor_b32 s2, exec_lo, s2
	s_cbranch_execz .LBB54_189
; %bb.188:
	s_waitcnt lgkmcnt(2)
	v_xor_b32_e32 v3, 0xfffff6ff, v0
                                        ; implicit-def: $vgpr24
	s_delay_alu instid0(VALU_DEP_1) | instskip(SKIP_1) | instid1(VALU_DEP_2)
	v_ashrrev_i32_e32 v6, 31, v3
	v_add_co_u32 v5, vcc_lo, v20, v3
	v_add_co_ci_u32_e32 v6, vcc_lo, v21, v6, vcc_lo
.LBB54_189:
	s_and_not1_saveexec_b32 s2, s2
	s_cbranch_execz .LBB54_191
; %bb.190:
	s_waitcnt lgkmcnt(3)
	v_add_co_u32 v5, vcc_lo, v15, v24
	v_add_co_ci_u32_e32 v6, vcc_lo, 0, v17, vcc_lo
.LBB54_191:
	s_or_b32 exec_lo, exec_lo, s2
	s_waitcnt lgkmcnt(3)
	s_delay_alu instid0(VALU_DEP_1) | instskip(NEXT) | instid1(VALU_DEP_1)
	v_lshlrev_b64 v[5:6], 2, v[5:6]
	v_add_co_u32 v5, vcc_lo, s10, v5
	s_delay_alu instid0(VALU_DEP_2) | instskip(SKIP_3) | instid1(SALU_CYCLE_1)
	v_add_co_ci_u32_e32 v6, vcc_lo, s11, v6, vcc_lo
	s_waitcnt lgkmcnt(2)
	global_store_b32 v[5:6], v4, off
	s_or_b32 exec_lo, exec_lo, s1
	s_mov_b32 s1, exec_lo
	v_cmpx_gt_u32_e64 s22, v23
	s_cbranch_execnz .LBB54_157
.LBB54_192:
	s_or_b32 exec_lo, exec_lo, s1
	s_delay_alu instid0(SALU_CYCLE_1)
	s_mov_b32 s1, exec_lo
	v_cmpx_gt_u32_e64 s22, v22
	s_cbranch_execz .LBB54_198
.LBB54_193:
	s_mov_b32 s2, exec_lo
                                        ; implicit-def: $vgpr3_vgpr4
	v_cmpx_ge_u32_e64 v22, v16
	s_xor_b32 s2, exec_lo, s2
	s_cbranch_execz .LBB54_195
; %bb.194:
	s_waitcnt lgkmcnt(1)
	v_xor_b32_e32 v1, 0xfffff4ff, v0
                                        ; implicit-def: $vgpr22
	s_delay_alu instid0(VALU_DEP_1) | instskip(SKIP_1) | instid1(VALU_DEP_2)
	v_ashrrev_i32_e32 v4, 31, v1
	v_add_co_u32 v3, vcc_lo, v20, v1
	v_add_co_ci_u32_e32 v4, vcc_lo, v21, v4, vcc_lo
.LBB54_195:
	s_and_not1_saveexec_b32 s2, s2
	s_cbranch_execz .LBB54_197
; %bb.196:
	s_waitcnt lgkmcnt(2)
	v_add_co_u32 v3, vcc_lo, v15, v22
	v_add_co_ci_u32_e32 v4, vcc_lo, 0, v17, vcc_lo
.LBB54_197:
	s_or_b32 exec_lo, exec_lo, s2
	s_waitcnt lgkmcnt(2)
	s_delay_alu instid0(VALU_DEP_1) | instskip(NEXT) | instid1(VALU_DEP_1)
	v_lshlrev_b64 v[3:4], 2, v[3:4]
	v_add_co_u32 v3, vcc_lo, s10, v3
	s_delay_alu instid0(VALU_DEP_2)
	v_add_co_ci_u32_e32 v4, vcc_lo, s11, v4, vcc_lo
	s_waitcnt lgkmcnt(1)
	global_store_b32 v[3:4], v2, off
.LBB54_198:
	s_or_b32 exec_lo, exec_lo, s1
	s_delay_alu instid0(SALU_CYCLE_1)
	s_mov_b32 s1, exec_lo
                                        ; implicit-def: $vgpr13_vgpr14
	v_cmpx_gt_u32_e64 s22, v19
	s_cbranch_execz .LBB54_204
; %bb.199:
	s_mov_b32 s2, exec_lo
                                        ; implicit-def: $vgpr13_vgpr14
	v_cmpx_ge_u32_e64 v19, v16
	s_xor_b32 s2, exec_lo, s2
	s_cbranch_execz .LBB54_201
; %bb.200:
	s_waitcnt lgkmcnt(1)
	v_xor_b32_e32 v1, 0xfffff3ff, v0
                                        ; implicit-def: $vgpr19
	s_delay_alu instid0(VALU_DEP_1) | instskip(SKIP_1) | instid1(VALU_DEP_2)
	v_ashrrev_i32_e32 v2, 31, v1
	v_add_co_u32 v13, vcc_lo, v20, v1
	v_add_co_ci_u32_e32 v14, vcc_lo, v21, v2, vcc_lo
.LBB54_201:
	s_and_not1_saveexec_b32 s2, s2
; %bb.202:
	v_add_co_u32 v13, vcc_lo, v15, v19
	v_add_co_ci_u32_e32 v14, vcc_lo, 0, v17, vcc_lo
; %bb.203:
	s_or_b32 exec_lo, exec_lo, s2
	s_delay_alu instid0(SALU_CYCLE_1)
	s_or_b32 s0, s0, exec_lo
.LBB54_204:
	s_or_b32 exec_lo, exec_lo, s1
.LBB54_205:
	s_and_saveexec_b32 s1, s0
	s_cbranch_execz .LBB54_207
; %bb.206:
	s_waitcnt lgkmcnt(1)
	v_lshlrev_b64 v[1:2], 2, v[13:14]
	s_delay_alu instid0(VALU_DEP_1) | instskip(NEXT) | instid1(VALU_DEP_2)
	v_add_co_u32 v1, vcc_lo, s10, v1
	v_add_co_ci_u32_e32 v2, vcc_lo, s11, v2, vcc_lo
	s_waitcnt lgkmcnt(0)
	global_store_b32 v[1:2], v18, off
.LBB54_207:
	s_or_b32 exec_lo, exec_lo, s1
	v_cmp_eq_u32_e32 vcc_lo, 0, v0
	s_and_b32 s0, vcc_lo, s14
	s_delay_alu instid0(SALU_CYCLE_1)
	s_and_saveexec_b32 s1, s0
	s_cbranch_execz .LBB54_209
; %bb.208:
	v_add_co_u32 v0, vcc_lo, v15, v16
	s_waitcnt lgkmcnt(1)
	v_mov_b32_e32 v2, 0
	v_add_co_ci_u32_e32 v1, vcc_lo, 0, v17, vcc_lo
	global_store_b64 v2, v[0:1], s[8:9]
.LBB54_209:
	s_nop 0
	s_sendmsg sendmsg(MSG_DEALLOC_VGPRS)
	s_endpgm
	.section	.rodata,"a",@progbits
	.p2align	6, 0x0
	.amdhsa_kernel _ZN7rocprim17ROCPRIM_400000_NS6detail17trampoline_kernelINS0_13select_configILj256ELj13ELNS0_17block_load_methodE3ELS4_3ELS4_3ELNS0_20block_scan_algorithmE0ELj4294967295EEENS1_25partition_config_selectorILNS1_17partition_subalgoE3EjNS0_10empty_typeEbEEZZNS1_14partition_implILS8_3ELb0ES6_jNS0_17counting_iteratorIjlEEPS9_SE_NS0_5tupleIJPjSE_EEENSF_IJSE_SE_EEES9_SG_JZNS1_25segmented_radix_sort_implINS0_14default_configELb1EPKhPhPKlPlN2at6native12_GLOBAL__N_18offset_tEEE10hipError_tPvRmT1_PNSt15iterator_traitsISY_E10value_typeET2_T3_PNSZ_IS14_E10value_typeET4_jRbjT5_S1A_jjP12ihipStream_tbEUljE_EEESV_SW_SX_S14_S18_S1A_T6_T7_T9_mT8_S1C_bDpT10_ENKUlT_T0_E_clISt17integral_constantIbLb0EES1P_EEDaS1K_S1L_EUlS1K_E_NS1_11comp_targetILNS1_3genE9ELNS1_11target_archE1100ELNS1_3gpuE3ELNS1_3repE0EEENS1_30default_config_static_selectorELNS0_4arch9wavefront6targetE0EEEvSY_
		.amdhsa_group_segment_fixed_size 13324
		.amdhsa_private_segment_fixed_size 0
		.amdhsa_kernarg_size 144
		.amdhsa_user_sgpr_count 15
		.amdhsa_user_sgpr_dispatch_ptr 0
		.amdhsa_user_sgpr_queue_ptr 0
		.amdhsa_user_sgpr_kernarg_segment_ptr 1
		.amdhsa_user_sgpr_dispatch_id 0
		.amdhsa_user_sgpr_private_segment_size 0
		.amdhsa_wavefront_size32 1
		.amdhsa_uses_dynamic_stack 0
		.amdhsa_enable_private_segment 0
		.amdhsa_system_sgpr_workgroup_id_x 1
		.amdhsa_system_sgpr_workgroup_id_y 0
		.amdhsa_system_sgpr_workgroup_id_z 0
		.amdhsa_system_sgpr_workgroup_info 0
		.amdhsa_system_vgpr_workitem_id 0
		.amdhsa_next_free_vgpr 57
		.amdhsa_next_free_sgpr 28
		.amdhsa_reserve_vcc 1
		.amdhsa_float_round_mode_32 0
		.amdhsa_float_round_mode_16_64 0
		.amdhsa_float_denorm_mode_32 3
		.amdhsa_float_denorm_mode_16_64 3
		.amdhsa_dx10_clamp 1
		.amdhsa_ieee_mode 1
		.amdhsa_fp16_overflow 0
		.amdhsa_workgroup_processor_mode 1
		.amdhsa_memory_ordered 1
		.amdhsa_forward_progress 0
		.amdhsa_shared_vgpr_count 0
		.amdhsa_exception_fp_ieee_invalid_op 0
		.amdhsa_exception_fp_denorm_src 0
		.amdhsa_exception_fp_ieee_div_zero 0
		.amdhsa_exception_fp_ieee_overflow 0
		.amdhsa_exception_fp_ieee_underflow 0
		.amdhsa_exception_fp_ieee_inexact 0
		.amdhsa_exception_int_div_zero 0
	.end_amdhsa_kernel
	.section	.text._ZN7rocprim17ROCPRIM_400000_NS6detail17trampoline_kernelINS0_13select_configILj256ELj13ELNS0_17block_load_methodE3ELS4_3ELS4_3ELNS0_20block_scan_algorithmE0ELj4294967295EEENS1_25partition_config_selectorILNS1_17partition_subalgoE3EjNS0_10empty_typeEbEEZZNS1_14partition_implILS8_3ELb0ES6_jNS0_17counting_iteratorIjlEEPS9_SE_NS0_5tupleIJPjSE_EEENSF_IJSE_SE_EEES9_SG_JZNS1_25segmented_radix_sort_implINS0_14default_configELb1EPKhPhPKlPlN2at6native12_GLOBAL__N_18offset_tEEE10hipError_tPvRmT1_PNSt15iterator_traitsISY_E10value_typeET2_T3_PNSZ_IS14_E10value_typeET4_jRbjT5_S1A_jjP12ihipStream_tbEUljE_EEESV_SW_SX_S14_S18_S1A_T6_T7_T9_mT8_S1C_bDpT10_ENKUlT_T0_E_clISt17integral_constantIbLb0EES1P_EEDaS1K_S1L_EUlS1K_E_NS1_11comp_targetILNS1_3genE9ELNS1_11target_archE1100ELNS1_3gpuE3ELNS1_3repE0EEENS1_30default_config_static_selectorELNS0_4arch9wavefront6targetE0EEEvSY_,"axG",@progbits,_ZN7rocprim17ROCPRIM_400000_NS6detail17trampoline_kernelINS0_13select_configILj256ELj13ELNS0_17block_load_methodE3ELS4_3ELS4_3ELNS0_20block_scan_algorithmE0ELj4294967295EEENS1_25partition_config_selectorILNS1_17partition_subalgoE3EjNS0_10empty_typeEbEEZZNS1_14partition_implILS8_3ELb0ES6_jNS0_17counting_iteratorIjlEEPS9_SE_NS0_5tupleIJPjSE_EEENSF_IJSE_SE_EEES9_SG_JZNS1_25segmented_radix_sort_implINS0_14default_configELb1EPKhPhPKlPlN2at6native12_GLOBAL__N_18offset_tEEE10hipError_tPvRmT1_PNSt15iterator_traitsISY_E10value_typeET2_T3_PNSZ_IS14_E10value_typeET4_jRbjT5_S1A_jjP12ihipStream_tbEUljE_EEESV_SW_SX_S14_S18_S1A_T6_T7_T9_mT8_S1C_bDpT10_ENKUlT_T0_E_clISt17integral_constantIbLb0EES1P_EEDaS1K_S1L_EUlS1K_E_NS1_11comp_targetILNS1_3genE9ELNS1_11target_archE1100ELNS1_3gpuE3ELNS1_3repE0EEENS1_30default_config_static_selectorELNS0_4arch9wavefront6targetE0EEEvSY_,comdat
.Lfunc_end54:
	.size	_ZN7rocprim17ROCPRIM_400000_NS6detail17trampoline_kernelINS0_13select_configILj256ELj13ELNS0_17block_load_methodE3ELS4_3ELS4_3ELNS0_20block_scan_algorithmE0ELj4294967295EEENS1_25partition_config_selectorILNS1_17partition_subalgoE3EjNS0_10empty_typeEbEEZZNS1_14partition_implILS8_3ELb0ES6_jNS0_17counting_iteratorIjlEEPS9_SE_NS0_5tupleIJPjSE_EEENSF_IJSE_SE_EEES9_SG_JZNS1_25segmented_radix_sort_implINS0_14default_configELb1EPKhPhPKlPlN2at6native12_GLOBAL__N_18offset_tEEE10hipError_tPvRmT1_PNSt15iterator_traitsISY_E10value_typeET2_T3_PNSZ_IS14_E10value_typeET4_jRbjT5_S1A_jjP12ihipStream_tbEUljE_EEESV_SW_SX_S14_S18_S1A_T6_T7_T9_mT8_S1C_bDpT10_ENKUlT_T0_E_clISt17integral_constantIbLb0EES1P_EEDaS1K_S1L_EUlS1K_E_NS1_11comp_targetILNS1_3genE9ELNS1_11target_archE1100ELNS1_3gpuE3ELNS1_3repE0EEENS1_30default_config_static_selectorELNS0_4arch9wavefront6targetE0EEEvSY_, .Lfunc_end54-_ZN7rocprim17ROCPRIM_400000_NS6detail17trampoline_kernelINS0_13select_configILj256ELj13ELNS0_17block_load_methodE3ELS4_3ELS4_3ELNS0_20block_scan_algorithmE0ELj4294967295EEENS1_25partition_config_selectorILNS1_17partition_subalgoE3EjNS0_10empty_typeEbEEZZNS1_14partition_implILS8_3ELb0ES6_jNS0_17counting_iteratorIjlEEPS9_SE_NS0_5tupleIJPjSE_EEENSF_IJSE_SE_EEES9_SG_JZNS1_25segmented_radix_sort_implINS0_14default_configELb1EPKhPhPKlPlN2at6native12_GLOBAL__N_18offset_tEEE10hipError_tPvRmT1_PNSt15iterator_traitsISY_E10value_typeET2_T3_PNSZ_IS14_E10value_typeET4_jRbjT5_S1A_jjP12ihipStream_tbEUljE_EEESV_SW_SX_S14_S18_S1A_T6_T7_T9_mT8_S1C_bDpT10_ENKUlT_T0_E_clISt17integral_constantIbLb0EES1P_EEDaS1K_S1L_EUlS1K_E_NS1_11comp_targetILNS1_3genE9ELNS1_11target_archE1100ELNS1_3gpuE3ELNS1_3repE0EEENS1_30default_config_static_selectorELNS0_4arch9wavefront6targetE0EEEvSY_
                                        ; -- End function
	.section	.AMDGPU.csdata,"",@progbits
; Kernel info:
; codeLenInByte = 8864
; NumSgprs: 30
; NumVgprs: 57
; ScratchSize: 0
; MemoryBound: 0
; FloatMode: 240
; IeeeMode: 1
; LDSByteSize: 13324 bytes/workgroup (compile time only)
; SGPRBlocks: 3
; VGPRBlocks: 7
; NumSGPRsForWavesPerEU: 30
; NumVGPRsForWavesPerEU: 57
; Occupancy: 16
; WaveLimiterHint : 0
; COMPUTE_PGM_RSRC2:SCRATCH_EN: 0
; COMPUTE_PGM_RSRC2:USER_SGPR: 15
; COMPUTE_PGM_RSRC2:TRAP_HANDLER: 0
; COMPUTE_PGM_RSRC2:TGID_X_EN: 1
; COMPUTE_PGM_RSRC2:TGID_Y_EN: 0
; COMPUTE_PGM_RSRC2:TGID_Z_EN: 0
; COMPUTE_PGM_RSRC2:TIDIG_COMP_CNT: 0
	.section	.text._ZN7rocprim17ROCPRIM_400000_NS6detail17trampoline_kernelINS0_13select_configILj256ELj13ELNS0_17block_load_methodE3ELS4_3ELS4_3ELNS0_20block_scan_algorithmE0ELj4294967295EEENS1_25partition_config_selectorILNS1_17partition_subalgoE3EjNS0_10empty_typeEbEEZZNS1_14partition_implILS8_3ELb0ES6_jNS0_17counting_iteratorIjlEEPS9_SE_NS0_5tupleIJPjSE_EEENSF_IJSE_SE_EEES9_SG_JZNS1_25segmented_radix_sort_implINS0_14default_configELb1EPKhPhPKlPlN2at6native12_GLOBAL__N_18offset_tEEE10hipError_tPvRmT1_PNSt15iterator_traitsISY_E10value_typeET2_T3_PNSZ_IS14_E10value_typeET4_jRbjT5_S1A_jjP12ihipStream_tbEUljE_EEESV_SW_SX_S14_S18_S1A_T6_T7_T9_mT8_S1C_bDpT10_ENKUlT_T0_E_clISt17integral_constantIbLb0EES1P_EEDaS1K_S1L_EUlS1K_E_NS1_11comp_targetILNS1_3genE8ELNS1_11target_archE1030ELNS1_3gpuE2ELNS1_3repE0EEENS1_30default_config_static_selectorELNS0_4arch9wavefront6targetE0EEEvSY_,"axG",@progbits,_ZN7rocprim17ROCPRIM_400000_NS6detail17trampoline_kernelINS0_13select_configILj256ELj13ELNS0_17block_load_methodE3ELS4_3ELS4_3ELNS0_20block_scan_algorithmE0ELj4294967295EEENS1_25partition_config_selectorILNS1_17partition_subalgoE3EjNS0_10empty_typeEbEEZZNS1_14partition_implILS8_3ELb0ES6_jNS0_17counting_iteratorIjlEEPS9_SE_NS0_5tupleIJPjSE_EEENSF_IJSE_SE_EEES9_SG_JZNS1_25segmented_radix_sort_implINS0_14default_configELb1EPKhPhPKlPlN2at6native12_GLOBAL__N_18offset_tEEE10hipError_tPvRmT1_PNSt15iterator_traitsISY_E10value_typeET2_T3_PNSZ_IS14_E10value_typeET4_jRbjT5_S1A_jjP12ihipStream_tbEUljE_EEESV_SW_SX_S14_S18_S1A_T6_T7_T9_mT8_S1C_bDpT10_ENKUlT_T0_E_clISt17integral_constantIbLb0EES1P_EEDaS1K_S1L_EUlS1K_E_NS1_11comp_targetILNS1_3genE8ELNS1_11target_archE1030ELNS1_3gpuE2ELNS1_3repE0EEENS1_30default_config_static_selectorELNS0_4arch9wavefront6targetE0EEEvSY_,comdat
	.globl	_ZN7rocprim17ROCPRIM_400000_NS6detail17trampoline_kernelINS0_13select_configILj256ELj13ELNS0_17block_load_methodE3ELS4_3ELS4_3ELNS0_20block_scan_algorithmE0ELj4294967295EEENS1_25partition_config_selectorILNS1_17partition_subalgoE3EjNS0_10empty_typeEbEEZZNS1_14partition_implILS8_3ELb0ES6_jNS0_17counting_iteratorIjlEEPS9_SE_NS0_5tupleIJPjSE_EEENSF_IJSE_SE_EEES9_SG_JZNS1_25segmented_radix_sort_implINS0_14default_configELb1EPKhPhPKlPlN2at6native12_GLOBAL__N_18offset_tEEE10hipError_tPvRmT1_PNSt15iterator_traitsISY_E10value_typeET2_T3_PNSZ_IS14_E10value_typeET4_jRbjT5_S1A_jjP12ihipStream_tbEUljE_EEESV_SW_SX_S14_S18_S1A_T6_T7_T9_mT8_S1C_bDpT10_ENKUlT_T0_E_clISt17integral_constantIbLb0EES1P_EEDaS1K_S1L_EUlS1K_E_NS1_11comp_targetILNS1_3genE8ELNS1_11target_archE1030ELNS1_3gpuE2ELNS1_3repE0EEENS1_30default_config_static_selectorELNS0_4arch9wavefront6targetE0EEEvSY_ ; -- Begin function _ZN7rocprim17ROCPRIM_400000_NS6detail17trampoline_kernelINS0_13select_configILj256ELj13ELNS0_17block_load_methodE3ELS4_3ELS4_3ELNS0_20block_scan_algorithmE0ELj4294967295EEENS1_25partition_config_selectorILNS1_17partition_subalgoE3EjNS0_10empty_typeEbEEZZNS1_14partition_implILS8_3ELb0ES6_jNS0_17counting_iteratorIjlEEPS9_SE_NS0_5tupleIJPjSE_EEENSF_IJSE_SE_EEES9_SG_JZNS1_25segmented_radix_sort_implINS0_14default_configELb1EPKhPhPKlPlN2at6native12_GLOBAL__N_18offset_tEEE10hipError_tPvRmT1_PNSt15iterator_traitsISY_E10value_typeET2_T3_PNSZ_IS14_E10value_typeET4_jRbjT5_S1A_jjP12ihipStream_tbEUljE_EEESV_SW_SX_S14_S18_S1A_T6_T7_T9_mT8_S1C_bDpT10_ENKUlT_T0_E_clISt17integral_constantIbLb0EES1P_EEDaS1K_S1L_EUlS1K_E_NS1_11comp_targetILNS1_3genE8ELNS1_11target_archE1030ELNS1_3gpuE2ELNS1_3repE0EEENS1_30default_config_static_selectorELNS0_4arch9wavefront6targetE0EEEvSY_
	.p2align	8
	.type	_ZN7rocprim17ROCPRIM_400000_NS6detail17trampoline_kernelINS0_13select_configILj256ELj13ELNS0_17block_load_methodE3ELS4_3ELS4_3ELNS0_20block_scan_algorithmE0ELj4294967295EEENS1_25partition_config_selectorILNS1_17partition_subalgoE3EjNS0_10empty_typeEbEEZZNS1_14partition_implILS8_3ELb0ES6_jNS0_17counting_iteratorIjlEEPS9_SE_NS0_5tupleIJPjSE_EEENSF_IJSE_SE_EEES9_SG_JZNS1_25segmented_radix_sort_implINS0_14default_configELb1EPKhPhPKlPlN2at6native12_GLOBAL__N_18offset_tEEE10hipError_tPvRmT1_PNSt15iterator_traitsISY_E10value_typeET2_T3_PNSZ_IS14_E10value_typeET4_jRbjT5_S1A_jjP12ihipStream_tbEUljE_EEESV_SW_SX_S14_S18_S1A_T6_T7_T9_mT8_S1C_bDpT10_ENKUlT_T0_E_clISt17integral_constantIbLb0EES1P_EEDaS1K_S1L_EUlS1K_E_NS1_11comp_targetILNS1_3genE8ELNS1_11target_archE1030ELNS1_3gpuE2ELNS1_3repE0EEENS1_30default_config_static_selectorELNS0_4arch9wavefront6targetE0EEEvSY_,@function
_ZN7rocprim17ROCPRIM_400000_NS6detail17trampoline_kernelINS0_13select_configILj256ELj13ELNS0_17block_load_methodE3ELS4_3ELS4_3ELNS0_20block_scan_algorithmE0ELj4294967295EEENS1_25partition_config_selectorILNS1_17partition_subalgoE3EjNS0_10empty_typeEbEEZZNS1_14partition_implILS8_3ELb0ES6_jNS0_17counting_iteratorIjlEEPS9_SE_NS0_5tupleIJPjSE_EEENSF_IJSE_SE_EEES9_SG_JZNS1_25segmented_radix_sort_implINS0_14default_configELb1EPKhPhPKlPlN2at6native12_GLOBAL__N_18offset_tEEE10hipError_tPvRmT1_PNSt15iterator_traitsISY_E10value_typeET2_T3_PNSZ_IS14_E10value_typeET4_jRbjT5_S1A_jjP12ihipStream_tbEUljE_EEESV_SW_SX_S14_S18_S1A_T6_T7_T9_mT8_S1C_bDpT10_ENKUlT_T0_E_clISt17integral_constantIbLb0EES1P_EEDaS1K_S1L_EUlS1K_E_NS1_11comp_targetILNS1_3genE8ELNS1_11target_archE1030ELNS1_3gpuE2ELNS1_3repE0EEENS1_30default_config_static_selectorELNS0_4arch9wavefront6targetE0EEEvSY_: ; @_ZN7rocprim17ROCPRIM_400000_NS6detail17trampoline_kernelINS0_13select_configILj256ELj13ELNS0_17block_load_methodE3ELS4_3ELS4_3ELNS0_20block_scan_algorithmE0ELj4294967295EEENS1_25partition_config_selectorILNS1_17partition_subalgoE3EjNS0_10empty_typeEbEEZZNS1_14partition_implILS8_3ELb0ES6_jNS0_17counting_iteratorIjlEEPS9_SE_NS0_5tupleIJPjSE_EEENSF_IJSE_SE_EEES9_SG_JZNS1_25segmented_radix_sort_implINS0_14default_configELb1EPKhPhPKlPlN2at6native12_GLOBAL__N_18offset_tEEE10hipError_tPvRmT1_PNSt15iterator_traitsISY_E10value_typeET2_T3_PNSZ_IS14_E10value_typeET4_jRbjT5_S1A_jjP12ihipStream_tbEUljE_EEESV_SW_SX_S14_S18_S1A_T6_T7_T9_mT8_S1C_bDpT10_ENKUlT_T0_E_clISt17integral_constantIbLb0EES1P_EEDaS1K_S1L_EUlS1K_E_NS1_11comp_targetILNS1_3genE8ELNS1_11target_archE1030ELNS1_3gpuE2ELNS1_3repE0EEENS1_30default_config_static_selectorELNS0_4arch9wavefront6targetE0EEEvSY_
; %bb.0:
	.section	.rodata,"a",@progbits
	.p2align	6, 0x0
	.amdhsa_kernel _ZN7rocprim17ROCPRIM_400000_NS6detail17trampoline_kernelINS0_13select_configILj256ELj13ELNS0_17block_load_methodE3ELS4_3ELS4_3ELNS0_20block_scan_algorithmE0ELj4294967295EEENS1_25partition_config_selectorILNS1_17partition_subalgoE3EjNS0_10empty_typeEbEEZZNS1_14partition_implILS8_3ELb0ES6_jNS0_17counting_iteratorIjlEEPS9_SE_NS0_5tupleIJPjSE_EEENSF_IJSE_SE_EEES9_SG_JZNS1_25segmented_radix_sort_implINS0_14default_configELb1EPKhPhPKlPlN2at6native12_GLOBAL__N_18offset_tEEE10hipError_tPvRmT1_PNSt15iterator_traitsISY_E10value_typeET2_T3_PNSZ_IS14_E10value_typeET4_jRbjT5_S1A_jjP12ihipStream_tbEUljE_EEESV_SW_SX_S14_S18_S1A_T6_T7_T9_mT8_S1C_bDpT10_ENKUlT_T0_E_clISt17integral_constantIbLb0EES1P_EEDaS1K_S1L_EUlS1K_E_NS1_11comp_targetILNS1_3genE8ELNS1_11target_archE1030ELNS1_3gpuE2ELNS1_3repE0EEENS1_30default_config_static_selectorELNS0_4arch9wavefront6targetE0EEEvSY_
		.amdhsa_group_segment_fixed_size 0
		.amdhsa_private_segment_fixed_size 0
		.amdhsa_kernarg_size 144
		.amdhsa_user_sgpr_count 15
		.amdhsa_user_sgpr_dispatch_ptr 0
		.amdhsa_user_sgpr_queue_ptr 0
		.amdhsa_user_sgpr_kernarg_segment_ptr 1
		.amdhsa_user_sgpr_dispatch_id 0
		.amdhsa_user_sgpr_private_segment_size 0
		.amdhsa_wavefront_size32 1
		.amdhsa_uses_dynamic_stack 0
		.amdhsa_enable_private_segment 0
		.amdhsa_system_sgpr_workgroup_id_x 1
		.amdhsa_system_sgpr_workgroup_id_y 0
		.amdhsa_system_sgpr_workgroup_id_z 0
		.amdhsa_system_sgpr_workgroup_info 0
		.amdhsa_system_vgpr_workitem_id 0
		.amdhsa_next_free_vgpr 1
		.amdhsa_next_free_sgpr 1
		.amdhsa_reserve_vcc 0
		.amdhsa_float_round_mode_32 0
		.amdhsa_float_round_mode_16_64 0
		.amdhsa_float_denorm_mode_32 3
		.amdhsa_float_denorm_mode_16_64 3
		.amdhsa_dx10_clamp 1
		.amdhsa_ieee_mode 1
		.amdhsa_fp16_overflow 0
		.amdhsa_workgroup_processor_mode 1
		.amdhsa_memory_ordered 1
		.amdhsa_forward_progress 0
		.amdhsa_shared_vgpr_count 0
		.amdhsa_exception_fp_ieee_invalid_op 0
		.amdhsa_exception_fp_denorm_src 0
		.amdhsa_exception_fp_ieee_div_zero 0
		.amdhsa_exception_fp_ieee_overflow 0
		.amdhsa_exception_fp_ieee_underflow 0
		.amdhsa_exception_fp_ieee_inexact 0
		.amdhsa_exception_int_div_zero 0
	.end_amdhsa_kernel
	.section	.text._ZN7rocprim17ROCPRIM_400000_NS6detail17trampoline_kernelINS0_13select_configILj256ELj13ELNS0_17block_load_methodE3ELS4_3ELS4_3ELNS0_20block_scan_algorithmE0ELj4294967295EEENS1_25partition_config_selectorILNS1_17partition_subalgoE3EjNS0_10empty_typeEbEEZZNS1_14partition_implILS8_3ELb0ES6_jNS0_17counting_iteratorIjlEEPS9_SE_NS0_5tupleIJPjSE_EEENSF_IJSE_SE_EEES9_SG_JZNS1_25segmented_radix_sort_implINS0_14default_configELb1EPKhPhPKlPlN2at6native12_GLOBAL__N_18offset_tEEE10hipError_tPvRmT1_PNSt15iterator_traitsISY_E10value_typeET2_T3_PNSZ_IS14_E10value_typeET4_jRbjT5_S1A_jjP12ihipStream_tbEUljE_EEESV_SW_SX_S14_S18_S1A_T6_T7_T9_mT8_S1C_bDpT10_ENKUlT_T0_E_clISt17integral_constantIbLb0EES1P_EEDaS1K_S1L_EUlS1K_E_NS1_11comp_targetILNS1_3genE8ELNS1_11target_archE1030ELNS1_3gpuE2ELNS1_3repE0EEENS1_30default_config_static_selectorELNS0_4arch9wavefront6targetE0EEEvSY_,"axG",@progbits,_ZN7rocprim17ROCPRIM_400000_NS6detail17trampoline_kernelINS0_13select_configILj256ELj13ELNS0_17block_load_methodE3ELS4_3ELS4_3ELNS0_20block_scan_algorithmE0ELj4294967295EEENS1_25partition_config_selectorILNS1_17partition_subalgoE3EjNS0_10empty_typeEbEEZZNS1_14partition_implILS8_3ELb0ES6_jNS0_17counting_iteratorIjlEEPS9_SE_NS0_5tupleIJPjSE_EEENSF_IJSE_SE_EEES9_SG_JZNS1_25segmented_radix_sort_implINS0_14default_configELb1EPKhPhPKlPlN2at6native12_GLOBAL__N_18offset_tEEE10hipError_tPvRmT1_PNSt15iterator_traitsISY_E10value_typeET2_T3_PNSZ_IS14_E10value_typeET4_jRbjT5_S1A_jjP12ihipStream_tbEUljE_EEESV_SW_SX_S14_S18_S1A_T6_T7_T9_mT8_S1C_bDpT10_ENKUlT_T0_E_clISt17integral_constantIbLb0EES1P_EEDaS1K_S1L_EUlS1K_E_NS1_11comp_targetILNS1_3genE8ELNS1_11target_archE1030ELNS1_3gpuE2ELNS1_3repE0EEENS1_30default_config_static_selectorELNS0_4arch9wavefront6targetE0EEEvSY_,comdat
.Lfunc_end55:
	.size	_ZN7rocprim17ROCPRIM_400000_NS6detail17trampoline_kernelINS0_13select_configILj256ELj13ELNS0_17block_load_methodE3ELS4_3ELS4_3ELNS0_20block_scan_algorithmE0ELj4294967295EEENS1_25partition_config_selectorILNS1_17partition_subalgoE3EjNS0_10empty_typeEbEEZZNS1_14partition_implILS8_3ELb0ES6_jNS0_17counting_iteratorIjlEEPS9_SE_NS0_5tupleIJPjSE_EEENSF_IJSE_SE_EEES9_SG_JZNS1_25segmented_radix_sort_implINS0_14default_configELb1EPKhPhPKlPlN2at6native12_GLOBAL__N_18offset_tEEE10hipError_tPvRmT1_PNSt15iterator_traitsISY_E10value_typeET2_T3_PNSZ_IS14_E10value_typeET4_jRbjT5_S1A_jjP12ihipStream_tbEUljE_EEESV_SW_SX_S14_S18_S1A_T6_T7_T9_mT8_S1C_bDpT10_ENKUlT_T0_E_clISt17integral_constantIbLb0EES1P_EEDaS1K_S1L_EUlS1K_E_NS1_11comp_targetILNS1_3genE8ELNS1_11target_archE1030ELNS1_3gpuE2ELNS1_3repE0EEENS1_30default_config_static_selectorELNS0_4arch9wavefront6targetE0EEEvSY_, .Lfunc_end55-_ZN7rocprim17ROCPRIM_400000_NS6detail17trampoline_kernelINS0_13select_configILj256ELj13ELNS0_17block_load_methodE3ELS4_3ELS4_3ELNS0_20block_scan_algorithmE0ELj4294967295EEENS1_25partition_config_selectorILNS1_17partition_subalgoE3EjNS0_10empty_typeEbEEZZNS1_14partition_implILS8_3ELb0ES6_jNS0_17counting_iteratorIjlEEPS9_SE_NS0_5tupleIJPjSE_EEENSF_IJSE_SE_EEES9_SG_JZNS1_25segmented_radix_sort_implINS0_14default_configELb1EPKhPhPKlPlN2at6native12_GLOBAL__N_18offset_tEEE10hipError_tPvRmT1_PNSt15iterator_traitsISY_E10value_typeET2_T3_PNSZ_IS14_E10value_typeET4_jRbjT5_S1A_jjP12ihipStream_tbEUljE_EEESV_SW_SX_S14_S18_S1A_T6_T7_T9_mT8_S1C_bDpT10_ENKUlT_T0_E_clISt17integral_constantIbLb0EES1P_EEDaS1K_S1L_EUlS1K_E_NS1_11comp_targetILNS1_3genE8ELNS1_11target_archE1030ELNS1_3gpuE2ELNS1_3repE0EEENS1_30default_config_static_selectorELNS0_4arch9wavefront6targetE0EEEvSY_
                                        ; -- End function
	.section	.AMDGPU.csdata,"",@progbits
; Kernel info:
; codeLenInByte = 0
; NumSgprs: 0
; NumVgprs: 0
; ScratchSize: 0
; MemoryBound: 0
; FloatMode: 240
; IeeeMode: 1
; LDSByteSize: 0 bytes/workgroup (compile time only)
; SGPRBlocks: 0
; VGPRBlocks: 0
; NumSGPRsForWavesPerEU: 1
; NumVGPRsForWavesPerEU: 1
; Occupancy: 16
; WaveLimiterHint : 0
; COMPUTE_PGM_RSRC2:SCRATCH_EN: 0
; COMPUTE_PGM_RSRC2:USER_SGPR: 15
; COMPUTE_PGM_RSRC2:TRAP_HANDLER: 0
; COMPUTE_PGM_RSRC2:TGID_X_EN: 1
; COMPUTE_PGM_RSRC2:TGID_Y_EN: 0
; COMPUTE_PGM_RSRC2:TGID_Z_EN: 0
; COMPUTE_PGM_RSRC2:TIDIG_COMP_CNT: 0
	.section	.text._ZN7rocprim17ROCPRIM_400000_NS6detail31init_lookback_scan_state_kernelINS1_19lookback_scan_stateIjLb1ELb1EEENS1_16block_id_wrapperIjLb1EEEEEvT_jT0_jPNS7_10value_typeE,"axG",@progbits,_ZN7rocprim17ROCPRIM_400000_NS6detail31init_lookback_scan_state_kernelINS1_19lookback_scan_stateIjLb1ELb1EEENS1_16block_id_wrapperIjLb1EEEEEvT_jT0_jPNS7_10value_typeE,comdat
	.protected	_ZN7rocprim17ROCPRIM_400000_NS6detail31init_lookback_scan_state_kernelINS1_19lookback_scan_stateIjLb1ELb1EEENS1_16block_id_wrapperIjLb1EEEEEvT_jT0_jPNS7_10value_typeE ; -- Begin function _ZN7rocprim17ROCPRIM_400000_NS6detail31init_lookback_scan_state_kernelINS1_19lookback_scan_stateIjLb1ELb1EEENS1_16block_id_wrapperIjLb1EEEEEvT_jT0_jPNS7_10value_typeE
	.globl	_ZN7rocprim17ROCPRIM_400000_NS6detail31init_lookback_scan_state_kernelINS1_19lookback_scan_stateIjLb1ELb1EEENS1_16block_id_wrapperIjLb1EEEEEvT_jT0_jPNS7_10value_typeE
	.p2align	8
	.type	_ZN7rocprim17ROCPRIM_400000_NS6detail31init_lookback_scan_state_kernelINS1_19lookback_scan_stateIjLb1ELb1EEENS1_16block_id_wrapperIjLb1EEEEEvT_jT0_jPNS7_10value_typeE,@function
_ZN7rocprim17ROCPRIM_400000_NS6detail31init_lookback_scan_state_kernelINS1_19lookback_scan_stateIjLb1ELb1EEENS1_16block_id_wrapperIjLb1EEEEEvT_jT0_jPNS7_10value_typeE: ; @_ZN7rocprim17ROCPRIM_400000_NS6detail31init_lookback_scan_state_kernelINS1_19lookback_scan_stateIjLb1ELb1EEENS1_16block_id_wrapperIjLb1EEEEEvT_jT0_jPNS7_10value_typeE
; %bb.0:
	s_clause 0x3
	s_load_b32 s6, s[0:1], 0x34
	s_load_b64 s[4:5], s[0:1], 0x20
	s_load_b64 s[2:3], s[0:1], 0x0
	s_load_b32 s8, s[0:1], 0x8
	s_waitcnt lgkmcnt(0)
	s_and_b32 s6, s6, 0xffff
	s_cmp_eq_u64 s[4:5], 0
	v_mad_u64_u32 v[1:2], null, s15, s6, v[0:1]
	s_cbranch_scc1 .LBB56_9
; %bb.1:
	s_load_b32 s6, s[0:1], 0x18
	s_waitcnt lgkmcnt(0)
	s_cmp_lt_u32 s6, s8
	s_cselect_b32 s7, s6, 0
	s_delay_alu instid0(VALU_DEP_1) | instid1(SALU_CYCLE_1)
	v_cmp_eq_u32_e32 vcc_lo, s7, v1
	s_mov_b32 s7, 0
	s_and_saveexec_b32 s9, vcc_lo
	s_cbranch_execz .LBB56_8
; %bb.2:
	s_add_i32 s6, s6, 32
	v_mov_b32_e32 v2, 0
	s_lshl_b64 s[6:7], s[6:7], 3
	s_delay_alu instid0(SALU_CYCLE_1) | instskip(SKIP_4) | instid1(VALU_DEP_1)
	s_add_u32 s6, s2, s6
	s_addc_u32 s7, s3, s7
	global_load_b64 v[4:5], v2, s[6:7] glc
	s_waitcnt vmcnt(0)
	v_and_b32_e32 v3, 0xff, v5
	v_cmp_ne_u64_e32 vcc_lo, 0, v[2:3]
	s_cbranch_vccnz .LBB56_7
; %bb.3:
	s_mov_b32 s10, 1
.LBB56_4:                               ; =>This Loop Header: Depth=1
                                        ;     Child Loop BB56_5 Depth 2
	s_delay_alu instid0(SALU_CYCLE_1)
	s_max_u32 s11, s10, 1
.LBB56_5:                               ;   Parent Loop BB56_4 Depth=1
                                        ; =>  This Inner Loop Header: Depth=2
	s_delay_alu instid0(SALU_CYCLE_1)
	s_add_i32 s11, s11, -1
	s_sleep 1
	s_cmp_eq_u32 s11, 0
	s_cbranch_scc0 .LBB56_5
; %bb.6:                                ;   in Loop: Header=BB56_4 Depth=1
	global_load_b64 v[4:5], v2, s[6:7] glc
	s_cmp_lt_u32 s10, 32
	s_cselect_b32 s11, -1, 0
	s_delay_alu instid0(SALU_CYCLE_1) | instskip(SKIP_3) | instid1(VALU_DEP_1)
	s_cmp_lg_u32 s11, 0
	s_addc_u32 s10, s10, 0
	s_waitcnt vmcnt(0)
	v_and_b32_e32 v3, 0xff, v5
	v_cmp_ne_u64_e32 vcc_lo, 0, v[2:3]
	s_cbranch_vccz .LBB56_4
.LBB56_7:
	v_mov_b32_e32 v0, 0
	global_store_b32 v0, v4, s[4:5]
.LBB56_8:
	s_or_b32 exec_lo, exec_lo, s9
.LBB56_9:
	s_delay_alu instid0(SALU_CYCLE_1) | instskip(NEXT) | instid1(VALU_DEP_1)
	s_mov_b32 s4, exec_lo
	v_cmpx_eq_u32_e32 0, v1
	s_cbranch_execz .LBB56_11
; %bb.10:
	s_load_b64 s[0:1], s[0:1], 0x10
	v_mov_b32_e32 v0, 0
	s_waitcnt lgkmcnt(0)
	global_store_b32 v0, v0, s[0:1]
.LBB56_11:
	s_or_b32 exec_lo, exec_lo, s4
	s_delay_alu instid0(SALU_CYCLE_1)
	s_mov_b32 s0, exec_lo
	v_cmpx_gt_u32_e64 s8, v1
	s_cbranch_execz .LBB56_13
; %bb.12:
	v_dual_mov_b32 v3, 0 :: v_dual_add_nc_u32 v2, 32, v1
	s_delay_alu instid0(VALU_DEP_1) | instskip(SKIP_1) | instid1(VALU_DEP_2)
	v_lshlrev_b64 v[4:5], 3, v[2:3]
	v_mov_b32_e32 v2, v3
	v_add_co_u32 v4, vcc_lo, s2, v4
	s_delay_alu instid0(VALU_DEP_3)
	v_add_co_ci_u32_e32 v5, vcc_lo, s3, v5, vcc_lo
	global_store_b64 v[4:5], v[2:3], off
.LBB56_13:
	s_or_b32 exec_lo, exec_lo, s0
	s_delay_alu instid0(SALU_CYCLE_1)
	s_mov_b32 s0, exec_lo
	v_cmpx_gt_u32_e32 32, v1
	s_cbranch_execz .LBB56_15
; %bb.14:
	v_dual_mov_b32 v2, 0 :: v_dual_mov_b32 v3, 0xff
	s_delay_alu instid0(VALU_DEP_1) | instskip(NEXT) | instid1(VALU_DEP_1)
	v_lshlrev_b64 v[0:1], 3, v[1:2]
	v_add_co_u32 v0, vcc_lo, s2, v0
	s_delay_alu instid0(VALU_DEP_2)
	v_add_co_ci_u32_e32 v1, vcc_lo, s3, v1, vcc_lo
	global_store_b64 v[0:1], v[2:3], off
.LBB56_15:
	s_nop 0
	s_sendmsg sendmsg(MSG_DEALLOC_VGPRS)
	s_endpgm
	.section	.rodata,"a",@progbits
	.p2align	6, 0x0
	.amdhsa_kernel _ZN7rocprim17ROCPRIM_400000_NS6detail31init_lookback_scan_state_kernelINS1_19lookback_scan_stateIjLb1ELb1EEENS1_16block_id_wrapperIjLb1EEEEEvT_jT0_jPNS7_10value_typeE
		.amdhsa_group_segment_fixed_size 0
		.amdhsa_private_segment_fixed_size 0
		.amdhsa_kernarg_size 296
		.amdhsa_user_sgpr_count 15
		.amdhsa_user_sgpr_dispatch_ptr 0
		.amdhsa_user_sgpr_queue_ptr 0
		.amdhsa_user_sgpr_kernarg_segment_ptr 1
		.amdhsa_user_sgpr_dispatch_id 0
		.amdhsa_user_sgpr_private_segment_size 0
		.amdhsa_wavefront_size32 1
		.amdhsa_uses_dynamic_stack 0
		.amdhsa_enable_private_segment 0
		.amdhsa_system_sgpr_workgroup_id_x 1
		.amdhsa_system_sgpr_workgroup_id_y 0
		.amdhsa_system_sgpr_workgroup_id_z 0
		.amdhsa_system_sgpr_workgroup_info 0
		.amdhsa_system_vgpr_workitem_id 0
		.amdhsa_next_free_vgpr 6
		.amdhsa_next_free_sgpr 16
		.amdhsa_reserve_vcc 1
		.amdhsa_float_round_mode_32 0
		.amdhsa_float_round_mode_16_64 0
		.amdhsa_float_denorm_mode_32 3
		.amdhsa_float_denorm_mode_16_64 3
		.amdhsa_dx10_clamp 1
		.amdhsa_ieee_mode 1
		.amdhsa_fp16_overflow 0
		.amdhsa_workgroup_processor_mode 1
		.amdhsa_memory_ordered 1
		.amdhsa_forward_progress 0
		.amdhsa_shared_vgpr_count 0
		.amdhsa_exception_fp_ieee_invalid_op 0
		.amdhsa_exception_fp_denorm_src 0
		.amdhsa_exception_fp_ieee_div_zero 0
		.amdhsa_exception_fp_ieee_overflow 0
		.amdhsa_exception_fp_ieee_underflow 0
		.amdhsa_exception_fp_ieee_inexact 0
		.amdhsa_exception_int_div_zero 0
	.end_amdhsa_kernel
	.section	.text._ZN7rocprim17ROCPRIM_400000_NS6detail31init_lookback_scan_state_kernelINS1_19lookback_scan_stateIjLb1ELb1EEENS1_16block_id_wrapperIjLb1EEEEEvT_jT0_jPNS7_10value_typeE,"axG",@progbits,_ZN7rocprim17ROCPRIM_400000_NS6detail31init_lookback_scan_state_kernelINS1_19lookback_scan_stateIjLb1ELb1EEENS1_16block_id_wrapperIjLb1EEEEEvT_jT0_jPNS7_10value_typeE,comdat
.Lfunc_end56:
	.size	_ZN7rocprim17ROCPRIM_400000_NS6detail31init_lookback_scan_state_kernelINS1_19lookback_scan_stateIjLb1ELb1EEENS1_16block_id_wrapperIjLb1EEEEEvT_jT0_jPNS7_10value_typeE, .Lfunc_end56-_ZN7rocprim17ROCPRIM_400000_NS6detail31init_lookback_scan_state_kernelINS1_19lookback_scan_stateIjLb1ELb1EEENS1_16block_id_wrapperIjLb1EEEEEvT_jT0_jPNS7_10value_typeE
                                        ; -- End function
	.section	.AMDGPU.csdata,"",@progbits
; Kernel info:
; codeLenInByte = 444
; NumSgprs: 18
; NumVgprs: 6
; ScratchSize: 0
; MemoryBound: 0
; FloatMode: 240
; IeeeMode: 1
; LDSByteSize: 0 bytes/workgroup (compile time only)
; SGPRBlocks: 2
; VGPRBlocks: 0
; NumSGPRsForWavesPerEU: 18
; NumVGPRsForWavesPerEU: 6
; Occupancy: 16
; WaveLimiterHint : 0
; COMPUTE_PGM_RSRC2:SCRATCH_EN: 0
; COMPUTE_PGM_RSRC2:USER_SGPR: 15
; COMPUTE_PGM_RSRC2:TRAP_HANDLER: 0
; COMPUTE_PGM_RSRC2:TGID_X_EN: 1
; COMPUTE_PGM_RSRC2:TGID_Y_EN: 0
; COMPUTE_PGM_RSRC2:TGID_Z_EN: 0
; COMPUTE_PGM_RSRC2:TIDIG_COMP_CNT: 0
	.section	.text._ZN7rocprim17ROCPRIM_400000_NS6detail17trampoline_kernelINS0_13select_configILj256ELj13ELNS0_17block_load_methodE3ELS4_3ELS4_3ELNS0_20block_scan_algorithmE0ELj4294967295EEENS1_25partition_config_selectorILNS1_17partition_subalgoE3EjNS0_10empty_typeEbEEZZNS1_14partition_implILS8_3ELb0ES6_jNS0_17counting_iteratorIjlEEPS9_SE_NS0_5tupleIJPjSE_EEENSF_IJSE_SE_EEES9_SG_JZNS1_25segmented_radix_sort_implINS0_14default_configELb1EPKhPhPKlPlN2at6native12_GLOBAL__N_18offset_tEEE10hipError_tPvRmT1_PNSt15iterator_traitsISY_E10value_typeET2_T3_PNSZ_IS14_E10value_typeET4_jRbjT5_S1A_jjP12ihipStream_tbEUljE_EEESV_SW_SX_S14_S18_S1A_T6_T7_T9_mT8_S1C_bDpT10_ENKUlT_T0_E_clISt17integral_constantIbLb1EES1P_EEDaS1K_S1L_EUlS1K_E_NS1_11comp_targetILNS1_3genE0ELNS1_11target_archE4294967295ELNS1_3gpuE0ELNS1_3repE0EEENS1_30default_config_static_selectorELNS0_4arch9wavefront6targetE0EEEvSY_,"axG",@progbits,_ZN7rocprim17ROCPRIM_400000_NS6detail17trampoline_kernelINS0_13select_configILj256ELj13ELNS0_17block_load_methodE3ELS4_3ELS4_3ELNS0_20block_scan_algorithmE0ELj4294967295EEENS1_25partition_config_selectorILNS1_17partition_subalgoE3EjNS0_10empty_typeEbEEZZNS1_14partition_implILS8_3ELb0ES6_jNS0_17counting_iteratorIjlEEPS9_SE_NS0_5tupleIJPjSE_EEENSF_IJSE_SE_EEES9_SG_JZNS1_25segmented_radix_sort_implINS0_14default_configELb1EPKhPhPKlPlN2at6native12_GLOBAL__N_18offset_tEEE10hipError_tPvRmT1_PNSt15iterator_traitsISY_E10value_typeET2_T3_PNSZ_IS14_E10value_typeET4_jRbjT5_S1A_jjP12ihipStream_tbEUljE_EEESV_SW_SX_S14_S18_S1A_T6_T7_T9_mT8_S1C_bDpT10_ENKUlT_T0_E_clISt17integral_constantIbLb1EES1P_EEDaS1K_S1L_EUlS1K_E_NS1_11comp_targetILNS1_3genE0ELNS1_11target_archE4294967295ELNS1_3gpuE0ELNS1_3repE0EEENS1_30default_config_static_selectorELNS0_4arch9wavefront6targetE0EEEvSY_,comdat
	.globl	_ZN7rocprim17ROCPRIM_400000_NS6detail17trampoline_kernelINS0_13select_configILj256ELj13ELNS0_17block_load_methodE3ELS4_3ELS4_3ELNS0_20block_scan_algorithmE0ELj4294967295EEENS1_25partition_config_selectorILNS1_17partition_subalgoE3EjNS0_10empty_typeEbEEZZNS1_14partition_implILS8_3ELb0ES6_jNS0_17counting_iteratorIjlEEPS9_SE_NS0_5tupleIJPjSE_EEENSF_IJSE_SE_EEES9_SG_JZNS1_25segmented_radix_sort_implINS0_14default_configELb1EPKhPhPKlPlN2at6native12_GLOBAL__N_18offset_tEEE10hipError_tPvRmT1_PNSt15iterator_traitsISY_E10value_typeET2_T3_PNSZ_IS14_E10value_typeET4_jRbjT5_S1A_jjP12ihipStream_tbEUljE_EEESV_SW_SX_S14_S18_S1A_T6_T7_T9_mT8_S1C_bDpT10_ENKUlT_T0_E_clISt17integral_constantIbLb1EES1P_EEDaS1K_S1L_EUlS1K_E_NS1_11comp_targetILNS1_3genE0ELNS1_11target_archE4294967295ELNS1_3gpuE0ELNS1_3repE0EEENS1_30default_config_static_selectorELNS0_4arch9wavefront6targetE0EEEvSY_ ; -- Begin function _ZN7rocprim17ROCPRIM_400000_NS6detail17trampoline_kernelINS0_13select_configILj256ELj13ELNS0_17block_load_methodE3ELS4_3ELS4_3ELNS0_20block_scan_algorithmE0ELj4294967295EEENS1_25partition_config_selectorILNS1_17partition_subalgoE3EjNS0_10empty_typeEbEEZZNS1_14partition_implILS8_3ELb0ES6_jNS0_17counting_iteratorIjlEEPS9_SE_NS0_5tupleIJPjSE_EEENSF_IJSE_SE_EEES9_SG_JZNS1_25segmented_radix_sort_implINS0_14default_configELb1EPKhPhPKlPlN2at6native12_GLOBAL__N_18offset_tEEE10hipError_tPvRmT1_PNSt15iterator_traitsISY_E10value_typeET2_T3_PNSZ_IS14_E10value_typeET4_jRbjT5_S1A_jjP12ihipStream_tbEUljE_EEESV_SW_SX_S14_S18_S1A_T6_T7_T9_mT8_S1C_bDpT10_ENKUlT_T0_E_clISt17integral_constantIbLb1EES1P_EEDaS1K_S1L_EUlS1K_E_NS1_11comp_targetILNS1_3genE0ELNS1_11target_archE4294967295ELNS1_3gpuE0ELNS1_3repE0EEENS1_30default_config_static_selectorELNS0_4arch9wavefront6targetE0EEEvSY_
	.p2align	8
	.type	_ZN7rocprim17ROCPRIM_400000_NS6detail17trampoline_kernelINS0_13select_configILj256ELj13ELNS0_17block_load_methodE3ELS4_3ELS4_3ELNS0_20block_scan_algorithmE0ELj4294967295EEENS1_25partition_config_selectorILNS1_17partition_subalgoE3EjNS0_10empty_typeEbEEZZNS1_14partition_implILS8_3ELb0ES6_jNS0_17counting_iteratorIjlEEPS9_SE_NS0_5tupleIJPjSE_EEENSF_IJSE_SE_EEES9_SG_JZNS1_25segmented_radix_sort_implINS0_14default_configELb1EPKhPhPKlPlN2at6native12_GLOBAL__N_18offset_tEEE10hipError_tPvRmT1_PNSt15iterator_traitsISY_E10value_typeET2_T3_PNSZ_IS14_E10value_typeET4_jRbjT5_S1A_jjP12ihipStream_tbEUljE_EEESV_SW_SX_S14_S18_S1A_T6_T7_T9_mT8_S1C_bDpT10_ENKUlT_T0_E_clISt17integral_constantIbLb1EES1P_EEDaS1K_S1L_EUlS1K_E_NS1_11comp_targetILNS1_3genE0ELNS1_11target_archE4294967295ELNS1_3gpuE0ELNS1_3repE0EEENS1_30default_config_static_selectorELNS0_4arch9wavefront6targetE0EEEvSY_,@function
_ZN7rocprim17ROCPRIM_400000_NS6detail17trampoline_kernelINS0_13select_configILj256ELj13ELNS0_17block_load_methodE3ELS4_3ELS4_3ELNS0_20block_scan_algorithmE0ELj4294967295EEENS1_25partition_config_selectorILNS1_17partition_subalgoE3EjNS0_10empty_typeEbEEZZNS1_14partition_implILS8_3ELb0ES6_jNS0_17counting_iteratorIjlEEPS9_SE_NS0_5tupleIJPjSE_EEENSF_IJSE_SE_EEES9_SG_JZNS1_25segmented_radix_sort_implINS0_14default_configELb1EPKhPhPKlPlN2at6native12_GLOBAL__N_18offset_tEEE10hipError_tPvRmT1_PNSt15iterator_traitsISY_E10value_typeET2_T3_PNSZ_IS14_E10value_typeET4_jRbjT5_S1A_jjP12ihipStream_tbEUljE_EEESV_SW_SX_S14_S18_S1A_T6_T7_T9_mT8_S1C_bDpT10_ENKUlT_T0_E_clISt17integral_constantIbLb1EES1P_EEDaS1K_S1L_EUlS1K_E_NS1_11comp_targetILNS1_3genE0ELNS1_11target_archE4294967295ELNS1_3gpuE0ELNS1_3repE0EEENS1_30default_config_static_selectorELNS0_4arch9wavefront6targetE0EEEvSY_: ; @_ZN7rocprim17ROCPRIM_400000_NS6detail17trampoline_kernelINS0_13select_configILj256ELj13ELNS0_17block_load_methodE3ELS4_3ELS4_3ELNS0_20block_scan_algorithmE0ELj4294967295EEENS1_25partition_config_selectorILNS1_17partition_subalgoE3EjNS0_10empty_typeEbEEZZNS1_14partition_implILS8_3ELb0ES6_jNS0_17counting_iteratorIjlEEPS9_SE_NS0_5tupleIJPjSE_EEENSF_IJSE_SE_EEES9_SG_JZNS1_25segmented_radix_sort_implINS0_14default_configELb1EPKhPhPKlPlN2at6native12_GLOBAL__N_18offset_tEEE10hipError_tPvRmT1_PNSt15iterator_traitsISY_E10value_typeET2_T3_PNSZ_IS14_E10value_typeET4_jRbjT5_S1A_jjP12ihipStream_tbEUljE_EEESV_SW_SX_S14_S18_S1A_T6_T7_T9_mT8_S1C_bDpT10_ENKUlT_T0_E_clISt17integral_constantIbLb1EES1P_EEDaS1K_S1L_EUlS1K_E_NS1_11comp_targetILNS1_3genE0ELNS1_11target_archE4294967295ELNS1_3gpuE0ELNS1_3repE0EEENS1_30default_config_static_selectorELNS0_4arch9wavefront6targetE0EEEvSY_
; %bb.0:
	.section	.rodata,"a",@progbits
	.p2align	6, 0x0
	.amdhsa_kernel _ZN7rocprim17ROCPRIM_400000_NS6detail17trampoline_kernelINS0_13select_configILj256ELj13ELNS0_17block_load_methodE3ELS4_3ELS4_3ELNS0_20block_scan_algorithmE0ELj4294967295EEENS1_25partition_config_selectorILNS1_17partition_subalgoE3EjNS0_10empty_typeEbEEZZNS1_14partition_implILS8_3ELb0ES6_jNS0_17counting_iteratorIjlEEPS9_SE_NS0_5tupleIJPjSE_EEENSF_IJSE_SE_EEES9_SG_JZNS1_25segmented_radix_sort_implINS0_14default_configELb1EPKhPhPKlPlN2at6native12_GLOBAL__N_18offset_tEEE10hipError_tPvRmT1_PNSt15iterator_traitsISY_E10value_typeET2_T3_PNSZ_IS14_E10value_typeET4_jRbjT5_S1A_jjP12ihipStream_tbEUljE_EEESV_SW_SX_S14_S18_S1A_T6_T7_T9_mT8_S1C_bDpT10_ENKUlT_T0_E_clISt17integral_constantIbLb1EES1P_EEDaS1K_S1L_EUlS1K_E_NS1_11comp_targetILNS1_3genE0ELNS1_11target_archE4294967295ELNS1_3gpuE0ELNS1_3repE0EEENS1_30default_config_static_selectorELNS0_4arch9wavefront6targetE0EEEvSY_
		.amdhsa_group_segment_fixed_size 0
		.amdhsa_private_segment_fixed_size 0
		.amdhsa_kernarg_size 152
		.amdhsa_user_sgpr_count 15
		.amdhsa_user_sgpr_dispatch_ptr 0
		.amdhsa_user_sgpr_queue_ptr 0
		.amdhsa_user_sgpr_kernarg_segment_ptr 1
		.amdhsa_user_sgpr_dispatch_id 0
		.amdhsa_user_sgpr_private_segment_size 0
		.amdhsa_wavefront_size32 1
		.amdhsa_uses_dynamic_stack 0
		.amdhsa_enable_private_segment 0
		.amdhsa_system_sgpr_workgroup_id_x 1
		.amdhsa_system_sgpr_workgroup_id_y 0
		.amdhsa_system_sgpr_workgroup_id_z 0
		.amdhsa_system_sgpr_workgroup_info 0
		.amdhsa_system_vgpr_workitem_id 0
		.amdhsa_next_free_vgpr 1
		.amdhsa_next_free_sgpr 1
		.amdhsa_reserve_vcc 0
		.amdhsa_float_round_mode_32 0
		.amdhsa_float_round_mode_16_64 0
		.amdhsa_float_denorm_mode_32 3
		.amdhsa_float_denorm_mode_16_64 3
		.amdhsa_dx10_clamp 1
		.amdhsa_ieee_mode 1
		.amdhsa_fp16_overflow 0
		.amdhsa_workgroup_processor_mode 1
		.amdhsa_memory_ordered 1
		.amdhsa_forward_progress 0
		.amdhsa_shared_vgpr_count 0
		.amdhsa_exception_fp_ieee_invalid_op 0
		.amdhsa_exception_fp_denorm_src 0
		.amdhsa_exception_fp_ieee_div_zero 0
		.amdhsa_exception_fp_ieee_overflow 0
		.amdhsa_exception_fp_ieee_underflow 0
		.amdhsa_exception_fp_ieee_inexact 0
		.amdhsa_exception_int_div_zero 0
	.end_amdhsa_kernel
	.section	.text._ZN7rocprim17ROCPRIM_400000_NS6detail17trampoline_kernelINS0_13select_configILj256ELj13ELNS0_17block_load_methodE3ELS4_3ELS4_3ELNS0_20block_scan_algorithmE0ELj4294967295EEENS1_25partition_config_selectorILNS1_17partition_subalgoE3EjNS0_10empty_typeEbEEZZNS1_14partition_implILS8_3ELb0ES6_jNS0_17counting_iteratorIjlEEPS9_SE_NS0_5tupleIJPjSE_EEENSF_IJSE_SE_EEES9_SG_JZNS1_25segmented_radix_sort_implINS0_14default_configELb1EPKhPhPKlPlN2at6native12_GLOBAL__N_18offset_tEEE10hipError_tPvRmT1_PNSt15iterator_traitsISY_E10value_typeET2_T3_PNSZ_IS14_E10value_typeET4_jRbjT5_S1A_jjP12ihipStream_tbEUljE_EEESV_SW_SX_S14_S18_S1A_T6_T7_T9_mT8_S1C_bDpT10_ENKUlT_T0_E_clISt17integral_constantIbLb1EES1P_EEDaS1K_S1L_EUlS1K_E_NS1_11comp_targetILNS1_3genE0ELNS1_11target_archE4294967295ELNS1_3gpuE0ELNS1_3repE0EEENS1_30default_config_static_selectorELNS0_4arch9wavefront6targetE0EEEvSY_,"axG",@progbits,_ZN7rocprim17ROCPRIM_400000_NS6detail17trampoline_kernelINS0_13select_configILj256ELj13ELNS0_17block_load_methodE3ELS4_3ELS4_3ELNS0_20block_scan_algorithmE0ELj4294967295EEENS1_25partition_config_selectorILNS1_17partition_subalgoE3EjNS0_10empty_typeEbEEZZNS1_14partition_implILS8_3ELb0ES6_jNS0_17counting_iteratorIjlEEPS9_SE_NS0_5tupleIJPjSE_EEENSF_IJSE_SE_EEES9_SG_JZNS1_25segmented_radix_sort_implINS0_14default_configELb1EPKhPhPKlPlN2at6native12_GLOBAL__N_18offset_tEEE10hipError_tPvRmT1_PNSt15iterator_traitsISY_E10value_typeET2_T3_PNSZ_IS14_E10value_typeET4_jRbjT5_S1A_jjP12ihipStream_tbEUljE_EEESV_SW_SX_S14_S18_S1A_T6_T7_T9_mT8_S1C_bDpT10_ENKUlT_T0_E_clISt17integral_constantIbLb1EES1P_EEDaS1K_S1L_EUlS1K_E_NS1_11comp_targetILNS1_3genE0ELNS1_11target_archE4294967295ELNS1_3gpuE0ELNS1_3repE0EEENS1_30default_config_static_selectorELNS0_4arch9wavefront6targetE0EEEvSY_,comdat
.Lfunc_end57:
	.size	_ZN7rocprim17ROCPRIM_400000_NS6detail17trampoline_kernelINS0_13select_configILj256ELj13ELNS0_17block_load_methodE3ELS4_3ELS4_3ELNS0_20block_scan_algorithmE0ELj4294967295EEENS1_25partition_config_selectorILNS1_17partition_subalgoE3EjNS0_10empty_typeEbEEZZNS1_14partition_implILS8_3ELb0ES6_jNS0_17counting_iteratorIjlEEPS9_SE_NS0_5tupleIJPjSE_EEENSF_IJSE_SE_EEES9_SG_JZNS1_25segmented_radix_sort_implINS0_14default_configELb1EPKhPhPKlPlN2at6native12_GLOBAL__N_18offset_tEEE10hipError_tPvRmT1_PNSt15iterator_traitsISY_E10value_typeET2_T3_PNSZ_IS14_E10value_typeET4_jRbjT5_S1A_jjP12ihipStream_tbEUljE_EEESV_SW_SX_S14_S18_S1A_T6_T7_T9_mT8_S1C_bDpT10_ENKUlT_T0_E_clISt17integral_constantIbLb1EES1P_EEDaS1K_S1L_EUlS1K_E_NS1_11comp_targetILNS1_3genE0ELNS1_11target_archE4294967295ELNS1_3gpuE0ELNS1_3repE0EEENS1_30default_config_static_selectorELNS0_4arch9wavefront6targetE0EEEvSY_, .Lfunc_end57-_ZN7rocprim17ROCPRIM_400000_NS6detail17trampoline_kernelINS0_13select_configILj256ELj13ELNS0_17block_load_methodE3ELS4_3ELS4_3ELNS0_20block_scan_algorithmE0ELj4294967295EEENS1_25partition_config_selectorILNS1_17partition_subalgoE3EjNS0_10empty_typeEbEEZZNS1_14partition_implILS8_3ELb0ES6_jNS0_17counting_iteratorIjlEEPS9_SE_NS0_5tupleIJPjSE_EEENSF_IJSE_SE_EEES9_SG_JZNS1_25segmented_radix_sort_implINS0_14default_configELb1EPKhPhPKlPlN2at6native12_GLOBAL__N_18offset_tEEE10hipError_tPvRmT1_PNSt15iterator_traitsISY_E10value_typeET2_T3_PNSZ_IS14_E10value_typeET4_jRbjT5_S1A_jjP12ihipStream_tbEUljE_EEESV_SW_SX_S14_S18_S1A_T6_T7_T9_mT8_S1C_bDpT10_ENKUlT_T0_E_clISt17integral_constantIbLb1EES1P_EEDaS1K_S1L_EUlS1K_E_NS1_11comp_targetILNS1_3genE0ELNS1_11target_archE4294967295ELNS1_3gpuE0ELNS1_3repE0EEENS1_30default_config_static_selectorELNS0_4arch9wavefront6targetE0EEEvSY_
                                        ; -- End function
	.section	.AMDGPU.csdata,"",@progbits
; Kernel info:
; codeLenInByte = 0
; NumSgprs: 0
; NumVgprs: 0
; ScratchSize: 0
; MemoryBound: 0
; FloatMode: 240
; IeeeMode: 1
; LDSByteSize: 0 bytes/workgroup (compile time only)
; SGPRBlocks: 0
; VGPRBlocks: 0
; NumSGPRsForWavesPerEU: 1
; NumVGPRsForWavesPerEU: 1
; Occupancy: 16
; WaveLimiterHint : 0
; COMPUTE_PGM_RSRC2:SCRATCH_EN: 0
; COMPUTE_PGM_RSRC2:USER_SGPR: 15
; COMPUTE_PGM_RSRC2:TRAP_HANDLER: 0
; COMPUTE_PGM_RSRC2:TGID_X_EN: 1
; COMPUTE_PGM_RSRC2:TGID_Y_EN: 0
; COMPUTE_PGM_RSRC2:TGID_Z_EN: 0
; COMPUTE_PGM_RSRC2:TIDIG_COMP_CNT: 0
	.section	.text._ZN7rocprim17ROCPRIM_400000_NS6detail17trampoline_kernelINS0_13select_configILj256ELj13ELNS0_17block_load_methodE3ELS4_3ELS4_3ELNS0_20block_scan_algorithmE0ELj4294967295EEENS1_25partition_config_selectorILNS1_17partition_subalgoE3EjNS0_10empty_typeEbEEZZNS1_14partition_implILS8_3ELb0ES6_jNS0_17counting_iteratorIjlEEPS9_SE_NS0_5tupleIJPjSE_EEENSF_IJSE_SE_EEES9_SG_JZNS1_25segmented_radix_sort_implINS0_14default_configELb1EPKhPhPKlPlN2at6native12_GLOBAL__N_18offset_tEEE10hipError_tPvRmT1_PNSt15iterator_traitsISY_E10value_typeET2_T3_PNSZ_IS14_E10value_typeET4_jRbjT5_S1A_jjP12ihipStream_tbEUljE_EEESV_SW_SX_S14_S18_S1A_T6_T7_T9_mT8_S1C_bDpT10_ENKUlT_T0_E_clISt17integral_constantIbLb1EES1P_EEDaS1K_S1L_EUlS1K_E_NS1_11comp_targetILNS1_3genE5ELNS1_11target_archE942ELNS1_3gpuE9ELNS1_3repE0EEENS1_30default_config_static_selectorELNS0_4arch9wavefront6targetE0EEEvSY_,"axG",@progbits,_ZN7rocprim17ROCPRIM_400000_NS6detail17trampoline_kernelINS0_13select_configILj256ELj13ELNS0_17block_load_methodE3ELS4_3ELS4_3ELNS0_20block_scan_algorithmE0ELj4294967295EEENS1_25partition_config_selectorILNS1_17partition_subalgoE3EjNS0_10empty_typeEbEEZZNS1_14partition_implILS8_3ELb0ES6_jNS0_17counting_iteratorIjlEEPS9_SE_NS0_5tupleIJPjSE_EEENSF_IJSE_SE_EEES9_SG_JZNS1_25segmented_radix_sort_implINS0_14default_configELb1EPKhPhPKlPlN2at6native12_GLOBAL__N_18offset_tEEE10hipError_tPvRmT1_PNSt15iterator_traitsISY_E10value_typeET2_T3_PNSZ_IS14_E10value_typeET4_jRbjT5_S1A_jjP12ihipStream_tbEUljE_EEESV_SW_SX_S14_S18_S1A_T6_T7_T9_mT8_S1C_bDpT10_ENKUlT_T0_E_clISt17integral_constantIbLb1EES1P_EEDaS1K_S1L_EUlS1K_E_NS1_11comp_targetILNS1_3genE5ELNS1_11target_archE942ELNS1_3gpuE9ELNS1_3repE0EEENS1_30default_config_static_selectorELNS0_4arch9wavefront6targetE0EEEvSY_,comdat
	.globl	_ZN7rocprim17ROCPRIM_400000_NS6detail17trampoline_kernelINS0_13select_configILj256ELj13ELNS0_17block_load_methodE3ELS4_3ELS4_3ELNS0_20block_scan_algorithmE0ELj4294967295EEENS1_25partition_config_selectorILNS1_17partition_subalgoE3EjNS0_10empty_typeEbEEZZNS1_14partition_implILS8_3ELb0ES6_jNS0_17counting_iteratorIjlEEPS9_SE_NS0_5tupleIJPjSE_EEENSF_IJSE_SE_EEES9_SG_JZNS1_25segmented_radix_sort_implINS0_14default_configELb1EPKhPhPKlPlN2at6native12_GLOBAL__N_18offset_tEEE10hipError_tPvRmT1_PNSt15iterator_traitsISY_E10value_typeET2_T3_PNSZ_IS14_E10value_typeET4_jRbjT5_S1A_jjP12ihipStream_tbEUljE_EEESV_SW_SX_S14_S18_S1A_T6_T7_T9_mT8_S1C_bDpT10_ENKUlT_T0_E_clISt17integral_constantIbLb1EES1P_EEDaS1K_S1L_EUlS1K_E_NS1_11comp_targetILNS1_3genE5ELNS1_11target_archE942ELNS1_3gpuE9ELNS1_3repE0EEENS1_30default_config_static_selectorELNS0_4arch9wavefront6targetE0EEEvSY_ ; -- Begin function _ZN7rocprim17ROCPRIM_400000_NS6detail17trampoline_kernelINS0_13select_configILj256ELj13ELNS0_17block_load_methodE3ELS4_3ELS4_3ELNS0_20block_scan_algorithmE0ELj4294967295EEENS1_25partition_config_selectorILNS1_17partition_subalgoE3EjNS0_10empty_typeEbEEZZNS1_14partition_implILS8_3ELb0ES6_jNS0_17counting_iteratorIjlEEPS9_SE_NS0_5tupleIJPjSE_EEENSF_IJSE_SE_EEES9_SG_JZNS1_25segmented_radix_sort_implINS0_14default_configELb1EPKhPhPKlPlN2at6native12_GLOBAL__N_18offset_tEEE10hipError_tPvRmT1_PNSt15iterator_traitsISY_E10value_typeET2_T3_PNSZ_IS14_E10value_typeET4_jRbjT5_S1A_jjP12ihipStream_tbEUljE_EEESV_SW_SX_S14_S18_S1A_T6_T7_T9_mT8_S1C_bDpT10_ENKUlT_T0_E_clISt17integral_constantIbLb1EES1P_EEDaS1K_S1L_EUlS1K_E_NS1_11comp_targetILNS1_3genE5ELNS1_11target_archE942ELNS1_3gpuE9ELNS1_3repE0EEENS1_30default_config_static_selectorELNS0_4arch9wavefront6targetE0EEEvSY_
	.p2align	8
	.type	_ZN7rocprim17ROCPRIM_400000_NS6detail17trampoline_kernelINS0_13select_configILj256ELj13ELNS0_17block_load_methodE3ELS4_3ELS4_3ELNS0_20block_scan_algorithmE0ELj4294967295EEENS1_25partition_config_selectorILNS1_17partition_subalgoE3EjNS0_10empty_typeEbEEZZNS1_14partition_implILS8_3ELb0ES6_jNS0_17counting_iteratorIjlEEPS9_SE_NS0_5tupleIJPjSE_EEENSF_IJSE_SE_EEES9_SG_JZNS1_25segmented_radix_sort_implINS0_14default_configELb1EPKhPhPKlPlN2at6native12_GLOBAL__N_18offset_tEEE10hipError_tPvRmT1_PNSt15iterator_traitsISY_E10value_typeET2_T3_PNSZ_IS14_E10value_typeET4_jRbjT5_S1A_jjP12ihipStream_tbEUljE_EEESV_SW_SX_S14_S18_S1A_T6_T7_T9_mT8_S1C_bDpT10_ENKUlT_T0_E_clISt17integral_constantIbLb1EES1P_EEDaS1K_S1L_EUlS1K_E_NS1_11comp_targetILNS1_3genE5ELNS1_11target_archE942ELNS1_3gpuE9ELNS1_3repE0EEENS1_30default_config_static_selectorELNS0_4arch9wavefront6targetE0EEEvSY_,@function
_ZN7rocprim17ROCPRIM_400000_NS6detail17trampoline_kernelINS0_13select_configILj256ELj13ELNS0_17block_load_methodE3ELS4_3ELS4_3ELNS0_20block_scan_algorithmE0ELj4294967295EEENS1_25partition_config_selectorILNS1_17partition_subalgoE3EjNS0_10empty_typeEbEEZZNS1_14partition_implILS8_3ELb0ES6_jNS0_17counting_iteratorIjlEEPS9_SE_NS0_5tupleIJPjSE_EEENSF_IJSE_SE_EEES9_SG_JZNS1_25segmented_radix_sort_implINS0_14default_configELb1EPKhPhPKlPlN2at6native12_GLOBAL__N_18offset_tEEE10hipError_tPvRmT1_PNSt15iterator_traitsISY_E10value_typeET2_T3_PNSZ_IS14_E10value_typeET4_jRbjT5_S1A_jjP12ihipStream_tbEUljE_EEESV_SW_SX_S14_S18_S1A_T6_T7_T9_mT8_S1C_bDpT10_ENKUlT_T0_E_clISt17integral_constantIbLb1EES1P_EEDaS1K_S1L_EUlS1K_E_NS1_11comp_targetILNS1_3genE5ELNS1_11target_archE942ELNS1_3gpuE9ELNS1_3repE0EEENS1_30default_config_static_selectorELNS0_4arch9wavefront6targetE0EEEvSY_: ; @_ZN7rocprim17ROCPRIM_400000_NS6detail17trampoline_kernelINS0_13select_configILj256ELj13ELNS0_17block_load_methodE3ELS4_3ELS4_3ELNS0_20block_scan_algorithmE0ELj4294967295EEENS1_25partition_config_selectorILNS1_17partition_subalgoE3EjNS0_10empty_typeEbEEZZNS1_14partition_implILS8_3ELb0ES6_jNS0_17counting_iteratorIjlEEPS9_SE_NS0_5tupleIJPjSE_EEENSF_IJSE_SE_EEES9_SG_JZNS1_25segmented_radix_sort_implINS0_14default_configELb1EPKhPhPKlPlN2at6native12_GLOBAL__N_18offset_tEEE10hipError_tPvRmT1_PNSt15iterator_traitsISY_E10value_typeET2_T3_PNSZ_IS14_E10value_typeET4_jRbjT5_S1A_jjP12ihipStream_tbEUljE_EEESV_SW_SX_S14_S18_S1A_T6_T7_T9_mT8_S1C_bDpT10_ENKUlT_T0_E_clISt17integral_constantIbLb1EES1P_EEDaS1K_S1L_EUlS1K_E_NS1_11comp_targetILNS1_3genE5ELNS1_11target_archE942ELNS1_3gpuE9ELNS1_3repE0EEENS1_30default_config_static_selectorELNS0_4arch9wavefront6targetE0EEEvSY_
; %bb.0:
	.section	.rodata,"a",@progbits
	.p2align	6, 0x0
	.amdhsa_kernel _ZN7rocprim17ROCPRIM_400000_NS6detail17trampoline_kernelINS0_13select_configILj256ELj13ELNS0_17block_load_methodE3ELS4_3ELS4_3ELNS0_20block_scan_algorithmE0ELj4294967295EEENS1_25partition_config_selectorILNS1_17partition_subalgoE3EjNS0_10empty_typeEbEEZZNS1_14partition_implILS8_3ELb0ES6_jNS0_17counting_iteratorIjlEEPS9_SE_NS0_5tupleIJPjSE_EEENSF_IJSE_SE_EEES9_SG_JZNS1_25segmented_radix_sort_implINS0_14default_configELb1EPKhPhPKlPlN2at6native12_GLOBAL__N_18offset_tEEE10hipError_tPvRmT1_PNSt15iterator_traitsISY_E10value_typeET2_T3_PNSZ_IS14_E10value_typeET4_jRbjT5_S1A_jjP12ihipStream_tbEUljE_EEESV_SW_SX_S14_S18_S1A_T6_T7_T9_mT8_S1C_bDpT10_ENKUlT_T0_E_clISt17integral_constantIbLb1EES1P_EEDaS1K_S1L_EUlS1K_E_NS1_11comp_targetILNS1_3genE5ELNS1_11target_archE942ELNS1_3gpuE9ELNS1_3repE0EEENS1_30default_config_static_selectorELNS0_4arch9wavefront6targetE0EEEvSY_
		.amdhsa_group_segment_fixed_size 0
		.amdhsa_private_segment_fixed_size 0
		.amdhsa_kernarg_size 152
		.amdhsa_user_sgpr_count 15
		.amdhsa_user_sgpr_dispatch_ptr 0
		.amdhsa_user_sgpr_queue_ptr 0
		.amdhsa_user_sgpr_kernarg_segment_ptr 1
		.amdhsa_user_sgpr_dispatch_id 0
		.amdhsa_user_sgpr_private_segment_size 0
		.amdhsa_wavefront_size32 1
		.amdhsa_uses_dynamic_stack 0
		.amdhsa_enable_private_segment 0
		.amdhsa_system_sgpr_workgroup_id_x 1
		.amdhsa_system_sgpr_workgroup_id_y 0
		.amdhsa_system_sgpr_workgroup_id_z 0
		.amdhsa_system_sgpr_workgroup_info 0
		.amdhsa_system_vgpr_workitem_id 0
		.amdhsa_next_free_vgpr 1
		.amdhsa_next_free_sgpr 1
		.amdhsa_reserve_vcc 0
		.amdhsa_float_round_mode_32 0
		.amdhsa_float_round_mode_16_64 0
		.amdhsa_float_denorm_mode_32 3
		.amdhsa_float_denorm_mode_16_64 3
		.amdhsa_dx10_clamp 1
		.amdhsa_ieee_mode 1
		.amdhsa_fp16_overflow 0
		.amdhsa_workgroup_processor_mode 1
		.amdhsa_memory_ordered 1
		.amdhsa_forward_progress 0
		.amdhsa_shared_vgpr_count 0
		.amdhsa_exception_fp_ieee_invalid_op 0
		.amdhsa_exception_fp_denorm_src 0
		.amdhsa_exception_fp_ieee_div_zero 0
		.amdhsa_exception_fp_ieee_overflow 0
		.amdhsa_exception_fp_ieee_underflow 0
		.amdhsa_exception_fp_ieee_inexact 0
		.amdhsa_exception_int_div_zero 0
	.end_amdhsa_kernel
	.section	.text._ZN7rocprim17ROCPRIM_400000_NS6detail17trampoline_kernelINS0_13select_configILj256ELj13ELNS0_17block_load_methodE3ELS4_3ELS4_3ELNS0_20block_scan_algorithmE0ELj4294967295EEENS1_25partition_config_selectorILNS1_17partition_subalgoE3EjNS0_10empty_typeEbEEZZNS1_14partition_implILS8_3ELb0ES6_jNS0_17counting_iteratorIjlEEPS9_SE_NS0_5tupleIJPjSE_EEENSF_IJSE_SE_EEES9_SG_JZNS1_25segmented_radix_sort_implINS0_14default_configELb1EPKhPhPKlPlN2at6native12_GLOBAL__N_18offset_tEEE10hipError_tPvRmT1_PNSt15iterator_traitsISY_E10value_typeET2_T3_PNSZ_IS14_E10value_typeET4_jRbjT5_S1A_jjP12ihipStream_tbEUljE_EEESV_SW_SX_S14_S18_S1A_T6_T7_T9_mT8_S1C_bDpT10_ENKUlT_T0_E_clISt17integral_constantIbLb1EES1P_EEDaS1K_S1L_EUlS1K_E_NS1_11comp_targetILNS1_3genE5ELNS1_11target_archE942ELNS1_3gpuE9ELNS1_3repE0EEENS1_30default_config_static_selectorELNS0_4arch9wavefront6targetE0EEEvSY_,"axG",@progbits,_ZN7rocprim17ROCPRIM_400000_NS6detail17trampoline_kernelINS0_13select_configILj256ELj13ELNS0_17block_load_methodE3ELS4_3ELS4_3ELNS0_20block_scan_algorithmE0ELj4294967295EEENS1_25partition_config_selectorILNS1_17partition_subalgoE3EjNS0_10empty_typeEbEEZZNS1_14partition_implILS8_3ELb0ES6_jNS0_17counting_iteratorIjlEEPS9_SE_NS0_5tupleIJPjSE_EEENSF_IJSE_SE_EEES9_SG_JZNS1_25segmented_radix_sort_implINS0_14default_configELb1EPKhPhPKlPlN2at6native12_GLOBAL__N_18offset_tEEE10hipError_tPvRmT1_PNSt15iterator_traitsISY_E10value_typeET2_T3_PNSZ_IS14_E10value_typeET4_jRbjT5_S1A_jjP12ihipStream_tbEUljE_EEESV_SW_SX_S14_S18_S1A_T6_T7_T9_mT8_S1C_bDpT10_ENKUlT_T0_E_clISt17integral_constantIbLb1EES1P_EEDaS1K_S1L_EUlS1K_E_NS1_11comp_targetILNS1_3genE5ELNS1_11target_archE942ELNS1_3gpuE9ELNS1_3repE0EEENS1_30default_config_static_selectorELNS0_4arch9wavefront6targetE0EEEvSY_,comdat
.Lfunc_end58:
	.size	_ZN7rocprim17ROCPRIM_400000_NS6detail17trampoline_kernelINS0_13select_configILj256ELj13ELNS0_17block_load_methodE3ELS4_3ELS4_3ELNS0_20block_scan_algorithmE0ELj4294967295EEENS1_25partition_config_selectorILNS1_17partition_subalgoE3EjNS0_10empty_typeEbEEZZNS1_14partition_implILS8_3ELb0ES6_jNS0_17counting_iteratorIjlEEPS9_SE_NS0_5tupleIJPjSE_EEENSF_IJSE_SE_EEES9_SG_JZNS1_25segmented_radix_sort_implINS0_14default_configELb1EPKhPhPKlPlN2at6native12_GLOBAL__N_18offset_tEEE10hipError_tPvRmT1_PNSt15iterator_traitsISY_E10value_typeET2_T3_PNSZ_IS14_E10value_typeET4_jRbjT5_S1A_jjP12ihipStream_tbEUljE_EEESV_SW_SX_S14_S18_S1A_T6_T7_T9_mT8_S1C_bDpT10_ENKUlT_T0_E_clISt17integral_constantIbLb1EES1P_EEDaS1K_S1L_EUlS1K_E_NS1_11comp_targetILNS1_3genE5ELNS1_11target_archE942ELNS1_3gpuE9ELNS1_3repE0EEENS1_30default_config_static_selectorELNS0_4arch9wavefront6targetE0EEEvSY_, .Lfunc_end58-_ZN7rocprim17ROCPRIM_400000_NS6detail17trampoline_kernelINS0_13select_configILj256ELj13ELNS0_17block_load_methodE3ELS4_3ELS4_3ELNS0_20block_scan_algorithmE0ELj4294967295EEENS1_25partition_config_selectorILNS1_17partition_subalgoE3EjNS0_10empty_typeEbEEZZNS1_14partition_implILS8_3ELb0ES6_jNS0_17counting_iteratorIjlEEPS9_SE_NS0_5tupleIJPjSE_EEENSF_IJSE_SE_EEES9_SG_JZNS1_25segmented_radix_sort_implINS0_14default_configELb1EPKhPhPKlPlN2at6native12_GLOBAL__N_18offset_tEEE10hipError_tPvRmT1_PNSt15iterator_traitsISY_E10value_typeET2_T3_PNSZ_IS14_E10value_typeET4_jRbjT5_S1A_jjP12ihipStream_tbEUljE_EEESV_SW_SX_S14_S18_S1A_T6_T7_T9_mT8_S1C_bDpT10_ENKUlT_T0_E_clISt17integral_constantIbLb1EES1P_EEDaS1K_S1L_EUlS1K_E_NS1_11comp_targetILNS1_3genE5ELNS1_11target_archE942ELNS1_3gpuE9ELNS1_3repE0EEENS1_30default_config_static_selectorELNS0_4arch9wavefront6targetE0EEEvSY_
                                        ; -- End function
	.section	.AMDGPU.csdata,"",@progbits
; Kernel info:
; codeLenInByte = 0
; NumSgprs: 0
; NumVgprs: 0
; ScratchSize: 0
; MemoryBound: 0
; FloatMode: 240
; IeeeMode: 1
; LDSByteSize: 0 bytes/workgroup (compile time only)
; SGPRBlocks: 0
; VGPRBlocks: 0
; NumSGPRsForWavesPerEU: 1
; NumVGPRsForWavesPerEU: 1
; Occupancy: 16
; WaveLimiterHint : 0
; COMPUTE_PGM_RSRC2:SCRATCH_EN: 0
; COMPUTE_PGM_RSRC2:USER_SGPR: 15
; COMPUTE_PGM_RSRC2:TRAP_HANDLER: 0
; COMPUTE_PGM_RSRC2:TGID_X_EN: 1
; COMPUTE_PGM_RSRC2:TGID_Y_EN: 0
; COMPUTE_PGM_RSRC2:TGID_Z_EN: 0
; COMPUTE_PGM_RSRC2:TIDIG_COMP_CNT: 0
	.section	.text._ZN7rocprim17ROCPRIM_400000_NS6detail17trampoline_kernelINS0_13select_configILj256ELj13ELNS0_17block_load_methodE3ELS4_3ELS4_3ELNS0_20block_scan_algorithmE0ELj4294967295EEENS1_25partition_config_selectorILNS1_17partition_subalgoE3EjNS0_10empty_typeEbEEZZNS1_14partition_implILS8_3ELb0ES6_jNS0_17counting_iteratorIjlEEPS9_SE_NS0_5tupleIJPjSE_EEENSF_IJSE_SE_EEES9_SG_JZNS1_25segmented_radix_sort_implINS0_14default_configELb1EPKhPhPKlPlN2at6native12_GLOBAL__N_18offset_tEEE10hipError_tPvRmT1_PNSt15iterator_traitsISY_E10value_typeET2_T3_PNSZ_IS14_E10value_typeET4_jRbjT5_S1A_jjP12ihipStream_tbEUljE_EEESV_SW_SX_S14_S18_S1A_T6_T7_T9_mT8_S1C_bDpT10_ENKUlT_T0_E_clISt17integral_constantIbLb1EES1P_EEDaS1K_S1L_EUlS1K_E_NS1_11comp_targetILNS1_3genE4ELNS1_11target_archE910ELNS1_3gpuE8ELNS1_3repE0EEENS1_30default_config_static_selectorELNS0_4arch9wavefront6targetE0EEEvSY_,"axG",@progbits,_ZN7rocprim17ROCPRIM_400000_NS6detail17trampoline_kernelINS0_13select_configILj256ELj13ELNS0_17block_load_methodE3ELS4_3ELS4_3ELNS0_20block_scan_algorithmE0ELj4294967295EEENS1_25partition_config_selectorILNS1_17partition_subalgoE3EjNS0_10empty_typeEbEEZZNS1_14partition_implILS8_3ELb0ES6_jNS0_17counting_iteratorIjlEEPS9_SE_NS0_5tupleIJPjSE_EEENSF_IJSE_SE_EEES9_SG_JZNS1_25segmented_radix_sort_implINS0_14default_configELb1EPKhPhPKlPlN2at6native12_GLOBAL__N_18offset_tEEE10hipError_tPvRmT1_PNSt15iterator_traitsISY_E10value_typeET2_T3_PNSZ_IS14_E10value_typeET4_jRbjT5_S1A_jjP12ihipStream_tbEUljE_EEESV_SW_SX_S14_S18_S1A_T6_T7_T9_mT8_S1C_bDpT10_ENKUlT_T0_E_clISt17integral_constantIbLb1EES1P_EEDaS1K_S1L_EUlS1K_E_NS1_11comp_targetILNS1_3genE4ELNS1_11target_archE910ELNS1_3gpuE8ELNS1_3repE0EEENS1_30default_config_static_selectorELNS0_4arch9wavefront6targetE0EEEvSY_,comdat
	.globl	_ZN7rocprim17ROCPRIM_400000_NS6detail17trampoline_kernelINS0_13select_configILj256ELj13ELNS0_17block_load_methodE3ELS4_3ELS4_3ELNS0_20block_scan_algorithmE0ELj4294967295EEENS1_25partition_config_selectorILNS1_17partition_subalgoE3EjNS0_10empty_typeEbEEZZNS1_14partition_implILS8_3ELb0ES6_jNS0_17counting_iteratorIjlEEPS9_SE_NS0_5tupleIJPjSE_EEENSF_IJSE_SE_EEES9_SG_JZNS1_25segmented_radix_sort_implINS0_14default_configELb1EPKhPhPKlPlN2at6native12_GLOBAL__N_18offset_tEEE10hipError_tPvRmT1_PNSt15iterator_traitsISY_E10value_typeET2_T3_PNSZ_IS14_E10value_typeET4_jRbjT5_S1A_jjP12ihipStream_tbEUljE_EEESV_SW_SX_S14_S18_S1A_T6_T7_T9_mT8_S1C_bDpT10_ENKUlT_T0_E_clISt17integral_constantIbLb1EES1P_EEDaS1K_S1L_EUlS1K_E_NS1_11comp_targetILNS1_3genE4ELNS1_11target_archE910ELNS1_3gpuE8ELNS1_3repE0EEENS1_30default_config_static_selectorELNS0_4arch9wavefront6targetE0EEEvSY_ ; -- Begin function _ZN7rocprim17ROCPRIM_400000_NS6detail17trampoline_kernelINS0_13select_configILj256ELj13ELNS0_17block_load_methodE3ELS4_3ELS4_3ELNS0_20block_scan_algorithmE0ELj4294967295EEENS1_25partition_config_selectorILNS1_17partition_subalgoE3EjNS0_10empty_typeEbEEZZNS1_14partition_implILS8_3ELb0ES6_jNS0_17counting_iteratorIjlEEPS9_SE_NS0_5tupleIJPjSE_EEENSF_IJSE_SE_EEES9_SG_JZNS1_25segmented_radix_sort_implINS0_14default_configELb1EPKhPhPKlPlN2at6native12_GLOBAL__N_18offset_tEEE10hipError_tPvRmT1_PNSt15iterator_traitsISY_E10value_typeET2_T3_PNSZ_IS14_E10value_typeET4_jRbjT5_S1A_jjP12ihipStream_tbEUljE_EEESV_SW_SX_S14_S18_S1A_T6_T7_T9_mT8_S1C_bDpT10_ENKUlT_T0_E_clISt17integral_constantIbLb1EES1P_EEDaS1K_S1L_EUlS1K_E_NS1_11comp_targetILNS1_3genE4ELNS1_11target_archE910ELNS1_3gpuE8ELNS1_3repE0EEENS1_30default_config_static_selectorELNS0_4arch9wavefront6targetE0EEEvSY_
	.p2align	8
	.type	_ZN7rocprim17ROCPRIM_400000_NS6detail17trampoline_kernelINS0_13select_configILj256ELj13ELNS0_17block_load_methodE3ELS4_3ELS4_3ELNS0_20block_scan_algorithmE0ELj4294967295EEENS1_25partition_config_selectorILNS1_17partition_subalgoE3EjNS0_10empty_typeEbEEZZNS1_14partition_implILS8_3ELb0ES6_jNS0_17counting_iteratorIjlEEPS9_SE_NS0_5tupleIJPjSE_EEENSF_IJSE_SE_EEES9_SG_JZNS1_25segmented_radix_sort_implINS0_14default_configELb1EPKhPhPKlPlN2at6native12_GLOBAL__N_18offset_tEEE10hipError_tPvRmT1_PNSt15iterator_traitsISY_E10value_typeET2_T3_PNSZ_IS14_E10value_typeET4_jRbjT5_S1A_jjP12ihipStream_tbEUljE_EEESV_SW_SX_S14_S18_S1A_T6_T7_T9_mT8_S1C_bDpT10_ENKUlT_T0_E_clISt17integral_constantIbLb1EES1P_EEDaS1K_S1L_EUlS1K_E_NS1_11comp_targetILNS1_3genE4ELNS1_11target_archE910ELNS1_3gpuE8ELNS1_3repE0EEENS1_30default_config_static_selectorELNS0_4arch9wavefront6targetE0EEEvSY_,@function
_ZN7rocprim17ROCPRIM_400000_NS6detail17trampoline_kernelINS0_13select_configILj256ELj13ELNS0_17block_load_methodE3ELS4_3ELS4_3ELNS0_20block_scan_algorithmE0ELj4294967295EEENS1_25partition_config_selectorILNS1_17partition_subalgoE3EjNS0_10empty_typeEbEEZZNS1_14partition_implILS8_3ELb0ES6_jNS0_17counting_iteratorIjlEEPS9_SE_NS0_5tupleIJPjSE_EEENSF_IJSE_SE_EEES9_SG_JZNS1_25segmented_radix_sort_implINS0_14default_configELb1EPKhPhPKlPlN2at6native12_GLOBAL__N_18offset_tEEE10hipError_tPvRmT1_PNSt15iterator_traitsISY_E10value_typeET2_T3_PNSZ_IS14_E10value_typeET4_jRbjT5_S1A_jjP12ihipStream_tbEUljE_EEESV_SW_SX_S14_S18_S1A_T6_T7_T9_mT8_S1C_bDpT10_ENKUlT_T0_E_clISt17integral_constantIbLb1EES1P_EEDaS1K_S1L_EUlS1K_E_NS1_11comp_targetILNS1_3genE4ELNS1_11target_archE910ELNS1_3gpuE8ELNS1_3repE0EEENS1_30default_config_static_selectorELNS0_4arch9wavefront6targetE0EEEvSY_: ; @_ZN7rocprim17ROCPRIM_400000_NS6detail17trampoline_kernelINS0_13select_configILj256ELj13ELNS0_17block_load_methodE3ELS4_3ELS4_3ELNS0_20block_scan_algorithmE0ELj4294967295EEENS1_25partition_config_selectorILNS1_17partition_subalgoE3EjNS0_10empty_typeEbEEZZNS1_14partition_implILS8_3ELb0ES6_jNS0_17counting_iteratorIjlEEPS9_SE_NS0_5tupleIJPjSE_EEENSF_IJSE_SE_EEES9_SG_JZNS1_25segmented_radix_sort_implINS0_14default_configELb1EPKhPhPKlPlN2at6native12_GLOBAL__N_18offset_tEEE10hipError_tPvRmT1_PNSt15iterator_traitsISY_E10value_typeET2_T3_PNSZ_IS14_E10value_typeET4_jRbjT5_S1A_jjP12ihipStream_tbEUljE_EEESV_SW_SX_S14_S18_S1A_T6_T7_T9_mT8_S1C_bDpT10_ENKUlT_T0_E_clISt17integral_constantIbLb1EES1P_EEDaS1K_S1L_EUlS1K_E_NS1_11comp_targetILNS1_3genE4ELNS1_11target_archE910ELNS1_3gpuE8ELNS1_3repE0EEENS1_30default_config_static_selectorELNS0_4arch9wavefront6targetE0EEEvSY_
; %bb.0:
	.section	.rodata,"a",@progbits
	.p2align	6, 0x0
	.amdhsa_kernel _ZN7rocprim17ROCPRIM_400000_NS6detail17trampoline_kernelINS0_13select_configILj256ELj13ELNS0_17block_load_methodE3ELS4_3ELS4_3ELNS0_20block_scan_algorithmE0ELj4294967295EEENS1_25partition_config_selectorILNS1_17partition_subalgoE3EjNS0_10empty_typeEbEEZZNS1_14partition_implILS8_3ELb0ES6_jNS0_17counting_iteratorIjlEEPS9_SE_NS0_5tupleIJPjSE_EEENSF_IJSE_SE_EEES9_SG_JZNS1_25segmented_radix_sort_implINS0_14default_configELb1EPKhPhPKlPlN2at6native12_GLOBAL__N_18offset_tEEE10hipError_tPvRmT1_PNSt15iterator_traitsISY_E10value_typeET2_T3_PNSZ_IS14_E10value_typeET4_jRbjT5_S1A_jjP12ihipStream_tbEUljE_EEESV_SW_SX_S14_S18_S1A_T6_T7_T9_mT8_S1C_bDpT10_ENKUlT_T0_E_clISt17integral_constantIbLb1EES1P_EEDaS1K_S1L_EUlS1K_E_NS1_11comp_targetILNS1_3genE4ELNS1_11target_archE910ELNS1_3gpuE8ELNS1_3repE0EEENS1_30default_config_static_selectorELNS0_4arch9wavefront6targetE0EEEvSY_
		.amdhsa_group_segment_fixed_size 0
		.amdhsa_private_segment_fixed_size 0
		.amdhsa_kernarg_size 152
		.amdhsa_user_sgpr_count 15
		.amdhsa_user_sgpr_dispatch_ptr 0
		.amdhsa_user_sgpr_queue_ptr 0
		.amdhsa_user_sgpr_kernarg_segment_ptr 1
		.amdhsa_user_sgpr_dispatch_id 0
		.amdhsa_user_sgpr_private_segment_size 0
		.amdhsa_wavefront_size32 1
		.amdhsa_uses_dynamic_stack 0
		.amdhsa_enable_private_segment 0
		.amdhsa_system_sgpr_workgroup_id_x 1
		.amdhsa_system_sgpr_workgroup_id_y 0
		.amdhsa_system_sgpr_workgroup_id_z 0
		.amdhsa_system_sgpr_workgroup_info 0
		.amdhsa_system_vgpr_workitem_id 0
		.amdhsa_next_free_vgpr 1
		.amdhsa_next_free_sgpr 1
		.amdhsa_reserve_vcc 0
		.amdhsa_float_round_mode_32 0
		.amdhsa_float_round_mode_16_64 0
		.amdhsa_float_denorm_mode_32 3
		.amdhsa_float_denorm_mode_16_64 3
		.amdhsa_dx10_clamp 1
		.amdhsa_ieee_mode 1
		.amdhsa_fp16_overflow 0
		.amdhsa_workgroup_processor_mode 1
		.amdhsa_memory_ordered 1
		.amdhsa_forward_progress 0
		.amdhsa_shared_vgpr_count 0
		.amdhsa_exception_fp_ieee_invalid_op 0
		.amdhsa_exception_fp_denorm_src 0
		.amdhsa_exception_fp_ieee_div_zero 0
		.amdhsa_exception_fp_ieee_overflow 0
		.amdhsa_exception_fp_ieee_underflow 0
		.amdhsa_exception_fp_ieee_inexact 0
		.amdhsa_exception_int_div_zero 0
	.end_amdhsa_kernel
	.section	.text._ZN7rocprim17ROCPRIM_400000_NS6detail17trampoline_kernelINS0_13select_configILj256ELj13ELNS0_17block_load_methodE3ELS4_3ELS4_3ELNS0_20block_scan_algorithmE0ELj4294967295EEENS1_25partition_config_selectorILNS1_17partition_subalgoE3EjNS0_10empty_typeEbEEZZNS1_14partition_implILS8_3ELb0ES6_jNS0_17counting_iteratorIjlEEPS9_SE_NS0_5tupleIJPjSE_EEENSF_IJSE_SE_EEES9_SG_JZNS1_25segmented_radix_sort_implINS0_14default_configELb1EPKhPhPKlPlN2at6native12_GLOBAL__N_18offset_tEEE10hipError_tPvRmT1_PNSt15iterator_traitsISY_E10value_typeET2_T3_PNSZ_IS14_E10value_typeET4_jRbjT5_S1A_jjP12ihipStream_tbEUljE_EEESV_SW_SX_S14_S18_S1A_T6_T7_T9_mT8_S1C_bDpT10_ENKUlT_T0_E_clISt17integral_constantIbLb1EES1P_EEDaS1K_S1L_EUlS1K_E_NS1_11comp_targetILNS1_3genE4ELNS1_11target_archE910ELNS1_3gpuE8ELNS1_3repE0EEENS1_30default_config_static_selectorELNS0_4arch9wavefront6targetE0EEEvSY_,"axG",@progbits,_ZN7rocprim17ROCPRIM_400000_NS6detail17trampoline_kernelINS0_13select_configILj256ELj13ELNS0_17block_load_methodE3ELS4_3ELS4_3ELNS0_20block_scan_algorithmE0ELj4294967295EEENS1_25partition_config_selectorILNS1_17partition_subalgoE3EjNS0_10empty_typeEbEEZZNS1_14partition_implILS8_3ELb0ES6_jNS0_17counting_iteratorIjlEEPS9_SE_NS0_5tupleIJPjSE_EEENSF_IJSE_SE_EEES9_SG_JZNS1_25segmented_radix_sort_implINS0_14default_configELb1EPKhPhPKlPlN2at6native12_GLOBAL__N_18offset_tEEE10hipError_tPvRmT1_PNSt15iterator_traitsISY_E10value_typeET2_T3_PNSZ_IS14_E10value_typeET4_jRbjT5_S1A_jjP12ihipStream_tbEUljE_EEESV_SW_SX_S14_S18_S1A_T6_T7_T9_mT8_S1C_bDpT10_ENKUlT_T0_E_clISt17integral_constantIbLb1EES1P_EEDaS1K_S1L_EUlS1K_E_NS1_11comp_targetILNS1_3genE4ELNS1_11target_archE910ELNS1_3gpuE8ELNS1_3repE0EEENS1_30default_config_static_selectorELNS0_4arch9wavefront6targetE0EEEvSY_,comdat
.Lfunc_end59:
	.size	_ZN7rocprim17ROCPRIM_400000_NS6detail17trampoline_kernelINS0_13select_configILj256ELj13ELNS0_17block_load_methodE3ELS4_3ELS4_3ELNS0_20block_scan_algorithmE0ELj4294967295EEENS1_25partition_config_selectorILNS1_17partition_subalgoE3EjNS0_10empty_typeEbEEZZNS1_14partition_implILS8_3ELb0ES6_jNS0_17counting_iteratorIjlEEPS9_SE_NS0_5tupleIJPjSE_EEENSF_IJSE_SE_EEES9_SG_JZNS1_25segmented_radix_sort_implINS0_14default_configELb1EPKhPhPKlPlN2at6native12_GLOBAL__N_18offset_tEEE10hipError_tPvRmT1_PNSt15iterator_traitsISY_E10value_typeET2_T3_PNSZ_IS14_E10value_typeET4_jRbjT5_S1A_jjP12ihipStream_tbEUljE_EEESV_SW_SX_S14_S18_S1A_T6_T7_T9_mT8_S1C_bDpT10_ENKUlT_T0_E_clISt17integral_constantIbLb1EES1P_EEDaS1K_S1L_EUlS1K_E_NS1_11comp_targetILNS1_3genE4ELNS1_11target_archE910ELNS1_3gpuE8ELNS1_3repE0EEENS1_30default_config_static_selectorELNS0_4arch9wavefront6targetE0EEEvSY_, .Lfunc_end59-_ZN7rocprim17ROCPRIM_400000_NS6detail17trampoline_kernelINS0_13select_configILj256ELj13ELNS0_17block_load_methodE3ELS4_3ELS4_3ELNS0_20block_scan_algorithmE0ELj4294967295EEENS1_25partition_config_selectorILNS1_17partition_subalgoE3EjNS0_10empty_typeEbEEZZNS1_14partition_implILS8_3ELb0ES6_jNS0_17counting_iteratorIjlEEPS9_SE_NS0_5tupleIJPjSE_EEENSF_IJSE_SE_EEES9_SG_JZNS1_25segmented_radix_sort_implINS0_14default_configELb1EPKhPhPKlPlN2at6native12_GLOBAL__N_18offset_tEEE10hipError_tPvRmT1_PNSt15iterator_traitsISY_E10value_typeET2_T3_PNSZ_IS14_E10value_typeET4_jRbjT5_S1A_jjP12ihipStream_tbEUljE_EEESV_SW_SX_S14_S18_S1A_T6_T7_T9_mT8_S1C_bDpT10_ENKUlT_T0_E_clISt17integral_constantIbLb1EES1P_EEDaS1K_S1L_EUlS1K_E_NS1_11comp_targetILNS1_3genE4ELNS1_11target_archE910ELNS1_3gpuE8ELNS1_3repE0EEENS1_30default_config_static_selectorELNS0_4arch9wavefront6targetE0EEEvSY_
                                        ; -- End function
	.section	.AMDGPU.csdata,"",@progbits
; Kernel info:
; codeLenInByte = 0
; NumSgprs: 0
; NumVgprs: 0
; ScratchSize: 0
; MemoryBound: 0
; FloatMode: 240
; IeeeMode: 1
; LDSByteSize: 0 bytes/workgroup (compile time only)
; SGPRBlocks: 0
; VGPRBlocks: 0
; NumSGPRsForWavesPerEU: 1
; NumVGPRsForWavesPerEU: 1
; Occupancy: 16
; WaveLimiterHint : 0
; COMPUTE_PGM_RSRC2:SCRATCH_EN: 0
; COMPUTE_PGM_RSRC2:USER_SGPR: 15
; COMPUTE_PGM_RSRC2:TRAP_HANDLER: 0
; COMPUTE_PGM_RSRC2:TGID_X_EN: 1
; COMPUTE_PGM_RSRC2:TGID_Y_EN: 0
; COMPUTE_PGM_RSRC2:TGID_Z_EN: 0
; COMPUTE_PGM_RSRC2:TIDIG_COMP_CNT: 0
	.section	.text._ZN7rocprim17ROCPRIM_400000_NS6detail17trampoline_kernelINS0_13select_configILj256ELj13ELNS0_17block_load_methodE3ELS4_3ELS4_3ELNS0_20block_scan_algorithmE0ELj4294967295EEENS1_25partition_config_selectorILNS1_17partition_subalgoE3EjNS0_10empty_typeEbEEZZNS1_14partition_implILS8_3ELb0ES6_jNS0_17counting_iteratorIjlEEPS9_SE_NS0_5tupleIJPjSE_EEENSF_IJSE_SE_EEES9_SG_JZNS1_25segmented_radix_sort_implINS0_14default_configELb1EPKhPhPKlPlN2at6native12_GLOBAL__N_18offset_tEEE10hipError_tPvRmT1_PNSt15iterator_traitsISY_E10value_typeET2_T3_PNSZ_IS14_E10value_typeET4_jRbjT5_S1A_jjP12ihipStream_tbEUljE_EEESV_SW_SX_S14_S18_S1A_T6_T7_T9_mT8_S1C_bDpT10_ENKUlT_T0_E_clISt17integral_constantIbLb1EES1P_EEDaS1K_S1L_EUlS1K_E_NS1_11comp_targetILNS1_3genE3ELNS1_11target_archE908ELNS1_3gpuE7ELNS1_3repE0EEENS1_30default_config_static_selectorELNS0_4arch9wavefront6targetE0EEEvSY_,"axG",@progbits,_ZN7rocprim17ROCPRIM_400000_NS6detail17trampoline_kernelINS0_13select_configILj256ELj13ELNS0_17block_load_methodE3ELS4_3ELS4_3ELNS0_20block_scan_algorithmE0ELj4294967295EEENS1_25partition_config_selectorILNS1_17partition_subalgoE3EjNS0_10empty_typeEbEEZZNS1_14partition_implILS8_3ELb0ES6_jNS0_17counting_iteratorIjlEEPS9_SE_NS0_5tupleIJPjSE_EEENSF_IJSE_SE_EEES9_SG_JZNS1_25segmented_radix_sort_implINS0_14default_configELb1EPKhPhPKlPlN2at6native12_GLOBAL__N_18offset_tEEE10hipError_tPvRmT1_PNSt15iterator_traitsISY_E10value_typeET2_T3_PNSZ_IS14_E10value_typeET4_jRbjT5_S1A_jjP12ihipStream_tbEUljE_EEESV_SW_SX_S14_S18_S1A_T6_T7_T9_mT8_S1C_bDpT10_ENKUlT_T0_E_clISt17integral_constantIbLb1EES1P_EEDaS1K_S1L_EUlS1K_E_NS1_11comp_targetILNS1_3genE3ELNS1_11target_archE908ELNS1_3gpuE7ELNS1_3repE0EEENS1_30default_config_static_selectorELNS0_4arch9wavefront6targetE0EEEvSY_,comdat
	.globl	_ZN7rocprim17ROCPRIM_400000_NS6detail17trampoline_kernelINS0_13select_configILj256ELj13ELNS0_17block_load_methodE3ELS4_3ELS4_3ELNS0_20block_scan_algorithmE0ELj4294967295EEENS1_25partition_config_selectorILNS1_17partition_subalgoE3EjNS0_10empty_typeEbEEZZNS1_14partition_implILS8_3ELb0ES6_jNS0_17counting_iteratorIjlEEPS9_SE_NS0_5tupleIJPjSE_EEENSF_IJSE_SE_EEES9_SG_JZNS1_25segmented_radix_sort_implINS0_14default_configELb1EPKhPhPKlPlN2at6native12_GLOBAL__N_18offset_tEEE10hipError_tPvRmT1_PNSt15iterator_traitsISY_E10value_typeET2_T3_PNSZ_IS14_E10value_typeET4_jRbjT5_S1A_jjP12ihipStream_tbEUljE_EEESV_SW_SX_S14_S18_S1A_T6_T7_T9_mT8_S1C_bDpT10_ENKUlT_T0_E_clISt17integral_constantIbLb1EES1P_EEDaS1K_S1L_EUlS1K_E_NS1_11comp_targetILNS1_3genE3ELNS1_11target_archE908ELNS1_3gpuE7ELNS1_3repE0EEENS1_30default_config_static_selectorELNS0_4arch9wavefront6targetE0EEEvSY_ ; -- Begin function _ZN7rocprim17ROCPRIM_400000_NS6detail17trampoline_kernelINS0_13select_configILj256ELj13ELNS0_17block_load_methodE3ELS4_3ELS4_3ELNS0_20block_scan_algorithmE0ELj4294967295EEENS1_25partition_config_selectorILNS1_17partition_subalgoE3EjNS0_10empty_typeEbEEZZNS1_14partition_implILS8_3ELb0ES6_jNS0_17counting_iteratorIjlEEPS9_SE_NS0_5tupleIJPjSE_EEENSF_IJSE_SE_EEES9_SG_JZNS1_25segmented_radix_sort_implINS0_14default_configELb1EPKhPhPKlPlN2at6native12_GLOBAL__N_18offset_tEEE10hipError_tPvRmT1_PNSt15iterator_traitsISY_E10value_typeET2_T3_PNSZ_IS14_E10value_typeET4_jRbjT5_S1A_jjP12ihipStream_tbEUljE_EEESV_SW_SX_S14_S18_S1A_T6_T7_T9_mT8_S1C_bDpT10_ENKUlT_T0_E_clISt17integral_constantIbLb1EES1P_EEDaS1K_S1L_EUlS1K_E_NS1_11comp_targetILNS1_3genE3ELNS1_11target_archE908ELNS1_3gpuE7ELNS1_3repE0EEENS1_30default_config_static_selectorELNS0_4arch9wavefront6targetE0EEEvSY_
	.p2align	8
	.type	_ZN7rocprim17ROCPRIM_400000_NS6detail17trampoline_kernelINS0_13select_configILj256ELj13ELNS0_17block_load_methodE3ELS4_3ELS4_3ELNS0_20block_scan_algorithmE0ELj4294967295EEENS1_25partition_config_selectorILNS1_17partition_subalgoE3EjNS0_10empty_typeEbEEZZNS1_14partition_implILS8_3ELb0ES6_jNS0_17counting_iteratorIjlEEPS9_SE_NS0_5tupleIJPjSE_EEENSF_IJSE_SE_EEES9_SG_JZNS1_25segmented_radix_sort_implINS0_14default_configELb1EPKhPhPKlPlN2at6native12_GLOBAL__N_18offset_tEEE10hipError_tPvRmT1_PNSt15iterator_traitsISY_E10value_typeET2_T3_PNSZ_IS14_E10value_typeET4_jRbjT5_S1A_jjP12ihipStream_tbEUljE_EEESV_SW_SX_S14_S18_S1A_T6_T7_T9_mT8_S1C_bDpT10_ENKUlT_T0_E_clISt17integral_constantIbLb1EES1P_EEDaS1K_S1L_EUlS1K_E_NS1_11comp_targetILNS1_3genE3ELNS1_11target_archE908ELNS1_3gpuE7ELNS1_3repE0EEENS1_30default_config_static_selectorELNS0_4arch9wavefront6targetE0EEEvSY_,@function
_ZN7rocprim17ROCPRIM_400000_NS6detail17trampoline_kernelINS0_13select_configILj256ELj13ELNS0_17block_load_methodE3ELS4_3ELS4_3ELNS0_20block_scan_algorithmE0ELj4294967295EEENS1_25partition_config_selectorILNS1_17partition_subalgoE3EjNS0_10empty_typeEbEEZZNS1_14partition_implILS8_3ELb0ES6_jNS0_17counting_iteratorIjlEEPS9_SE_NS0_5tupleIJPjSE_EEENSF_IJSE_SE_EEES9_SG_JZNS1_25segmented_radix_sort_implINS0_14default_configELb1EPKhPhPKlPlN2at6native12_GLOBAL__N_18offset_tEEE10hipError_tPvRmT1_PNSt15iterator_traitsISY_E10value_typeET2_T3_PNSZ_IS14_E10value_typeET4_jRbjT5_S1A_jjP12ihipStream_tbEUljE_EEESV_SW_SX_S14_S18_S1A_T6_T7_T9_mT8_S1C_bDpT10_ENKUlT_T0_E_clISt17integral_constantIbLb1EES1P_EEDaS1K_S1L_EUlS1K_E_NS1_11comp_targetILNS1_3genE3ELNS1_11target_archE908ELNS1_3gpuE7ELNS1_3repE0EEENS1_30default_config_static_selectorELNS0_4arch9wavefront6targetE0EEEvSY_: ; @_ZN7rocprim17ROCPRIM_400000_NS6detail17trampoline_kernelINS0_13select_configILj256ELj13ELNS0_17block_load_methodE3ELS4_3ELS4_3ELNS0_20block_scan_algorithmE0ELj4294967295EEENS1_25partition_config_selectorILNS1_17partition_subalgoE3EjNS0_10empty_typeEbEEZZNS1_14partition_implILS8_3ELb0ES6_jNS0_17counting_iteratorIjlEEPS9_SE_NS0_5tupleIJPjSE_EEENSF_IJSE_SE_EEES9_SG_JZNS1_25segmented_radix_sort_implINS0_14default_configELb1EPKhPhPKlPlN2at6native12_GLOBAL__N_18offset_tEEE10hipError_tPvRmT1_PNSt15iterator_traitsISY_E10value_typeET2_T3_PNSZ_IS14_E10value_typeET4_jRbjT5_S1A_jjP12ihipStream_tbEUljE_EEESV_SW_SX_S14_S18_S1A_T6_T7_T9_mT8_S1C_bDpT10_ENKUlT_T0_E_clISt17integral_constantIbLb1EES1P_EEDaS1K_S1L_EUlS1K_E_NS1_11comp_targetILNS1_3genE3ELNS1_11target_archE908ELNS1_3gpuE7ELNS1_3repE0EEENS1_30default_config_static_selectorELNS0_4arch9wavefront6targetE0EEEvSY_
; %bb.0:
	.section	.rodata,"a",@progbits
	.p2align	6, 0x0
	.amdhsa_kernel _ZN7rocprim17ROCPRIM_400000_NS6detail17trampoline_kernelINS0_13select_configILj256ELj13ELNS0_17block_load_methodE3ELS4_3ELS4_3ELNS0_20block_scan_algorithmE0ELj4294967295EEENS1_25partition_config_selectorILNS1_17partition_subalgoE3EjNS0_10empty_typeEbEEZZNS1_14partition_implILS8_3ELb0ES6_jNS0_17counting_iteratorIjlEEPS9_SE_NS0_5tupleIJPjSE_EEENSF_IJSE_SE_EEES9_SG_JZNS1_25segmented_radix_sort_implINS0_14default_configELb1EPKhPhPKlPlN2at6native12_GLOBAL__N_18offset_tEEE10hipError_tPvRmT1_PNSt15iterator_traitsISY_E10value_typeET2_T3_PNSZ_IS14_E10value_typeET4_jRbjT5_S1A_jjP12ihipStream_tbEUljE_EEESV_SW_SX_S14_S18_S1A_T6_T7_T9_mT8_S1C_bDpT10_ENKUlT_T0_E_clISt17integral_constantIbLb1EES1P_EEDaS1K_S1L_EUlS1K_E_NS1_11comp_targetILNS1_3genE3ELNS1_11target_archE908ELNS1_3gpuE7ELNS1_3repE0EEENS1_30default_config_static_selectorELNS0_4arch9wavefront6targetE0EEEvSY_
		.amdhsa_group_segment_fixed_size 0
		.amdhsa_private_segment_fixed_size 0
		.amdhsa_kernarg_size 152
		.amdhsa_user_sgpr_count 15
		.amdhsa_user_sgpr_dispatch_ptr 0
		.amdhsa_user_sgpr_queue_ptr 0
		.amdhsa_user_sgpr_kernarg_segment_ptr 1
		.amdhsa_user_sgpr_dispatch_id 0
		.amdhsa_user_sgpr_private_segment_size 0
		.amdhsa_wavefront_size32 1
		.amdhsa_uses_dynamic_stack 0
		.amdhsa_enable_private_segment 0
		.amdhsa_system_sgpr_workgroup_id_x 1
		.amdhsa_system_sgpr_workgroup_id_y 0
		.amdhsa_system_sgpr_workgroup_id_z 0
		.amdhsa_system_sgpr_workgroup_info 0
		.amdhsa_system_vgpr_workitem_id 0
		.amdhsa_next_free_vgpr 1
		.amdhsa_next_free_sgpr 1
		.amdhsa_reserve_vcc 0
		.amdhsa_float_round_mode_32 0
		.amdhsa_float_round_mode_16_64 0
		.amdhsa_float_denorm_mode_32 3
		.amdhsa_float_denorm_mode_16_64 3
		.amdhsa_dx10_clamp 1
		.amdhsa_ieee_mode 1
		.amdhsa_fp16_overflow 0
		.amdhsa_workgroup_processor_mode 1
		.amdhsa_memory_ordered 1
		.amdhsa_forward_progress 0
		.amdhsa_shared_vgpr_count 0
		.amdhsa_exception_fp_ieee_invalid_op 0
		.amdhsa_exception_fp_denorm_src 0
		.amdhsa_exception_fp_ieee_div_zero 0
		.amdhsa_exception_fp_ieee_overflow 0
		.amdhsa_exception_fp_ieee_underflow 0
		.amdhsa_exception_fp_ieee_inexact 0
		.amdhsa_exception_int_div_zero 0
	.end_amdhsa_kernel
	.section	.text._ZN7rocprim17ROCPRIM_400000_NS6detail17trampoline_kernelINS0_13select_configILj256ELj13ELNS0_17block_load_methodE3ELS4_3ELS4_3ELNS0_20block_scan_algorithmE0ELj4294967295EEENS1_25partition_config_selectorILNS1_17partition_subalgoE3EjNS0_10empty_typeEbEEZZNS1_14partition_implILS8_3ELb0ES6_jNS0_17counting_iteratorIjlEEPS9_SE_NS0_5tupleIJPjSE_EEENSF_IJSE_SE_EEES9_SG_JZNS1_25segmented_radix_sort_implINS0_14default_configELb1EPKhPhPKlPlN2at6native12_GLOBAL__N_18offset_tEEE10hipError_tPvRmT1_PNSt15iterator_traitsISY_E10value_typeET2_T3_PNSZ_IS14_E10value_typeET4_jRbjT5_S1A_jjP12ihipStream_tbEUljE_EEESV_SW_SX_S14_S18_S1A_T6_T7_T9_mT8_S1C_bDpT10_ENKUlT_T0_E_clISt17integral_constantIbLb1EES1P_EEDaS1K_S1L_EUlS1K_E_NS1_11comp_targetILNS1_3genE3ELNS1_11target_archE908ELNS1_3gpuE7ELNS1_3repE0EEENS1_30default_config_static_selectorELNS0_4arch9wavefront6targetE0EEEvSY_,"axG",@progbits,_ZN7rocprim17ROCPRIM_400000_NS6detail17trampoline_kernelINS0_13select_configILj256ELj13ELNS0_17block_load_methodE3ELS4_3ELS4_3ELNS0_20block_scan_algorithmE0ELj4294967295EEENS1_25partition_config_selectorILNS1_17partition_subalgoE3EjNS0_10empty_typeEbEEZZNS1_14partition_implILS8_3ELb0ES6_jNS0_17counting_iteratorIjlEEPS9_SE_NS0_5tupleIJPjSE_EEENSF_IJSE_SE_EEES9_SG_JZNS1_25segmented_radix_sort_implINS0_14default_configELb1EPKhPhPKlPlN2at6native12_GLOBAL__N_18offset_tEEE10hipError_tPvRmT1_PNSt15iterator_traitsISY_E10value_typeET2_T3_PNSZ_IS14_E10value_typeET4_jRbjT5_S1A_jjP12ihipStream_tbEUljE_EEESV_SW_SX_S14_S18_S1A_T6_T7_T9_mT8_S1C_bDpT10_ENKUlT_T0_E_clISt17integral_constantIbLb1EES1P_EEDaS1K_S1L_EUlS1K_E_NS1_11comp_targetILNS1_3genE3ELNS1_11target_archE908ELNS1_3gpuE7ELNS1_3repE0EEENS1_30default_config_static_selectorELNS0_4arch9wavefront6targetE0EEEvSY_,comdat
.Lfunc_end60:
	.size	_ZN7rocprim17ROCPRIM_400000_NS6detail17trampoline_kernelINS0_13select_configILj256ELj13ELNS0_17block_load_methodE3ELS4_3ELS4_3ELNS0_20block_scan_algorithmE0ELj4294967295EEENS1_25partition_config_selectorILNS1_17partition_subalgoE3EjNS0_10empty_typeEbEEZZNS1_14partition_implILS8_3ELb0ES6_jNS0_17counting_iteratorIjlEEPS9_SE_NS0_5tupleIJPjSE_EEENSF_IJSE_SE_EEES9_SG_JZNS1_25segmented_radix_sort_implINS0_14default_configELb1EPKhPhPKlPlN2at6native12_GLOBAL__N_18offset_tEEE10hipError_tPvRmT1_PNSt15iterator_traitsISY_E10value_typeET2_T3_PNSZ_IS14_E10value_typeET4_jRbjT5_S1A_jjP12ihipStream_tbEUljE_EEESV_SW_SX_S14_S18_S1A_T6_T7_T9_mT8_S1C_bDpT10_ENKUlT_T0_E_clISt17integral_constantIbLb1EES1P_EEDaS1K_S1L_EUlS1K_E_NS1_11comp_targetILNS1_3genE3ELNS1_11target_archE908ELNS1_3gpuE7ELNS1_3repE0EEENS1_30default_config_static_selectorELNS0_4arch9wavefront6targetE0EEEvSY_, .Lfunc_end60-_ZN7rocprim17ROCPRIM_400000_NS6detail17trampoline_kernelINS0_13select_configILj256ELj13ELNS0_17block_load_methodE3ELS4_3ELS4_3ELNS0_20block_scan_algorithmE0ELj4294967295EEENS1_25partition_config_selectorILNS1_17partition_subalgoE3EjNS0_10empty_typeEbEEZZNS1_14partition_implILS8_3ELb0ES6_jNS0_17counting_iteratorIjlEEPS9_SE_NS0_5tupleIJPjSE_EEENSF_IJSE_SE_EEES9_SG_JZNS1_25segmented_radix_sort_implINS0_14default_configELb1EPKhPhPKlPlN2at6native12_GLOBAL__N_18offset_tEEE10hipError_tPvRmT1_PNSt15iterator_traitsISY_E10value_typeET2_T3_PNSZ_IS14_E10value_typeET4_jRbjT5_S1A_jjP12ihipStream_tbEUljE_EEESV_SW_SX_S14_S18_S1A_T6_T7_T9_mT8_S1C_bDpT10_ENKUlT_T0_E_clISt17integral_constantIbLb1EES1P_EEDaS1K_S1L_EUlS1K_E_NS1_11comp_targetILNS1_3genE3ELNS1_11target_archE908ELNS1_3gpuE7ELNS1_3repE0EEENS1_30default_config_static_selectorELNS0_4arch9wavefront6targetE0EEEvSY_
                                        ; -- End function
	.section	.AMDGPU.csdata,"",@progbits
; Kernel info:
; codeLenInByte = 0
; NumSgprs: 0
; NumVgprs: 0
; ScratchSize: 0
; MemoryBound: 0
; FloatMode: 240
; IeeeMode: 1
; LDSByteSize: 0 bytes/workgroup (compile time only)
; SGPRBlocks: 0
; VGPRBlocks: 0
; NumSGPRsForWavesPerEU: 1
; NumVGPRsForWavesPerEU: 1
; Occupancy: 16
; WaveLimiterHint : 0
; COMPUTE_PGM_RSRC2:SCRATCH_EN: 0
; COMPUTE_PGM_RSRC2:USER_SGPR: 15
; COMPUTE_PGM_RSRC2:TRAP_HANDLER: 0
; COMPUTE_PGM_RSRC2:TGID_X_EN: 1
; COMPUTE_PGM_RSRC2:TGID_Y_EN: 0
; COMPUTE_PGM_RSRC2:TGID_Z_EN: 0
; COMPUTE_PGM_RSRC2:TIDIG_COMP_CNT: 0
	.section	.text._ZN7rocprim17ROCPRIM_400000_NS6detail17trampoline_kernelINS0_13select_configILj256ELj13ELNS0_17block_load_methodE3ELS4_3ELS4_3ELNS0_20block_scan_algorithmE0ELj4294967295EEENS1_25partition_config_selectorILNS1_17partition_subalgoE3EjNS0_10empty_typeEbEEZZNS1_14partition_implILS8_3ELb0ES6_jNS0_17counting_iteratorIjlEEPS9_SE_NS0_5tupleIJPjSE_EEENSF_IJSE_SE_EEES9_SG_JZNS1_25segmented_radix_sort_implINS0_14default_configELb1EPKhPhPKlPlN2at6native12_GLOBAL__N_18offset_tEEE10hipError_tPvRmT1_PNSt15iterator_traitsISY_E10value_typeET2_T3_PNSZ_IS14_E10value_typeET4_jRbjT5_S1A_jjP12ihipStream_tbEUljE_EEESV_SW_SX_S14_S18_S1A_T6_T7_T9_mT8_S1C_bDpT10_ENKUlT_T0_E_clISt17integral_constantIbLb1EES1P_EEDaS1K_S1L_EUlS1K_E_NS1_11comp_targetILNS1_3genE2ELNS1_11target_archE906ELNS1_3gpuE6ELNS1_3repE0EEENS1_30default_config_static_selectorELNS0_4arch9wavefront6targetE0EEEvSY_,"axG",@progbits,_ZN7rocprim17ROCPRIM_400000_NS6detail17trampoline_kernelINS0_13select_configILj256ELj13ELNS0_17block_load_methodE3ELS4_3ELS4_3ELNS0_20block_scan_algorithmE0ELj4294967295EEENS1_25partition_config_selectorILNS1_17partition_subalgoE3EjNS0_10empty_typeEbEEZZNS1_14partition_implILS8_3ELb0ES6_jNS0_17counting_iteratorIjlEEPS9_SE_NS0_5tupleIJPjSE_EEENSF_IJSE_SE_EEES9_SG_JZNS1_25segmented_radix_sort_implINS0_14default_configELb1EPKhPhPKlPlN2at6native12_GLOBAL__N_18offset_tEEE10hipError_tPvRmT1_PNSt15iterator_traitsISY_E10value_typeET2_T3_PNSZ_IS14_E10value_typeET4_jRbjT5_S1A_jjP12ihipStream_tbEUljE_EEESV_SW_SX_S14_S18_S1A_T6_T7_T9_mT8_S1C_bDpT10_ENKUlT_T0_E_clISt17integral_constantIbLb1EES1P_EEDaS1K_S1L_EUlS1K_E_NS1_11comp_targetILNS1_3genE2ELNS1_11target_archE906ELNS1_3gpuE6ELNS1_3repE0EEENS1_30default_config_static_selectorELNS0_4arch9wavefront6targetE0EEEvSY_,comdat
	.globl	_ZN7rocprim17ROCPRIM_400000_NS6detail17trampoline_kernelINS0_13select_configILj256ELj13ELNS0_17block_load_methodE3ELS4_3ELS4_3ELNS0_20block_scan_algorithmE0ELj4294967295EEENS1_25partition_config_selectorILNS1_17partition_subalgoE3EjNS0_10empty_typeEbEEZZNS1_14partition_implILS8_3ELb0ES6_jNS0_17counting_iteratorIjlEEPS9_SE_NS0_5tupleIJPjSE_EEENSF_IJSE_SE_EEES9_SG_JZNS1_25segmented_radix_sort_implINS0_14default_configELb1EPKhPhPKlPlN2at6native12_GLOBAL__N_18offset_tEEE10hipError_tPvRmT1_PNSt15iterator_traitsISY_E10value_typeET2_T3_PNSZ_IS14_E10value_typeET4_jRbjT5_S1A_jjP12ihipStream_tbEUljE_EEESV_SW_SX_S14_S18_S1A_T6_T7_T9_mT8_S1C_bDpT10_ENKUlT_T0_E_clISt17integral_constantIbLb1EES1P_EEDaS1K_S1L_EUlS1K_E_NS1_11comp_targetILNS1_3genE2ELNS1_11target_archE906ELNS1_3gpuE6ELNS1_3repE0EEENS1_30default_config_static_selectorELNS0_4arch9wavefront6targetE0EEEvSY_ ; -- Begin function _ZN7rocprim17ROCPRIM_400000_NS6detail17trampoline_kernelINS0_13select_configILj256ELj13ELNS0_17block_load_methodE3ELS4_3ELS4_3ELNS0_20block_scan_algorithmE0ELj4294967295EEENS1_25partition_config_selectorILNS1_17partition_subalgoE3EjNS0_10empty_typeEbEEZZNS1_14partition_implILS8_3ELb0ES6_jNS0_17counting_iteratorIjlEEPS9_SE_NS0_5tupleIJPjSE_EEENSF_IJSE_SE_EEES9_SG_JZNS1_25segmented_radix_sort_implINS0_14default_configELb1EPKhPhPKlPlN2at6native12_GLOBAL__N_18offset_tEEE10hipError_tPvRmT1_PNSt15iterator_traitsISY_E10value_typeET2_T3_PNSZ_IS14_E10value_typeET4_jRbjT5_S1A_jjP12ihipStream_tbEUljE_EEESV_SW_SX_S14_S18_S1A_T6_T7_T9_mT8_S1C_bDpT10_ENKUlT_T0_E_clISt17integral_constantIbLb1EES1P_EEDaS1K_S1L_EUlS1K_E_NS1_11comp_targetILNS1_3genE2ELNS1_11target_archE906ELNS1_3gpuE6ELNS1_3repE0EEENS1_30default_config_static_selectorELNS0_4arch9wavefront6targetE0EEEvSY_
	.p2align	8
	.type	_ZN7rocprim17ROCPRIM_400000_NS6detail17trampoline_kernelINS0_13select_configILj256ELj13ELNS0_17block_load_methodE3ELS4_3ELS4_3ELNS0_20block_scan_algorithmE0ELj4294967295EEENS1_25partition_config_selectorILNS1_17partition_subalgoE3EjNS0_10empty_typeEbEEZZNS1_14partition_implILS8_3ELb0ES6_jNS0_17counting_iteratorIjlEEPS9_SE_NS0_5tupleIJPjSE_EEENSF_IJSE_SE_EEES9_SG_JZNS1_25segmented_radix_sort_implINS0_14default_configELb1EPKhPhPKlPlN2at6native12_GLOBAL__N_18offset_tEEE10hipError_tPvRmT1_PNSt15iterator_traitsISY_E10value_typeET2_T3_PNSZ_IS14_E10value_typeET4_jRbjT5_S1A_jjP12ihipStream_tbEUljE_EEESV_SW_SX_S14_S18_S1A_T6_T7_T9_mT8_S1C_bDpT10_ENKUlT_T0_E_clISt17integral_constantIbLb1EES1P_EEDaS1K_S1L_EUlS1K_E_NS1_11comp_targetILNS1_3genE2ELNS1_11target_archE906ELNS1_3gpuE6ELNS1_3repE0EEENS1_30default_config_static_selectorELNS0_4arch9wavefront6targetE0EEEvSY_,@function
_ZN7rocprim17ROCPRIM_400000_NS6detail17trampoline_kernelINS0_13select_configILj256ELj13ELNS0_17block_load_methodE3ELS4_3ELS4_3ELNS0_20block_scan_algorithmE0ELj4294967295EEENS1_25partition_config_selectorILNS1_17partition_subalgoE3EjNS0_10empty_typeEbEEZZNS1_14partition_implILS8_3ELb0ES6_jNS0_17counting_iteratorIjlEEPS9_SE_NS0_5tupleIJPjSE_EEENSF_IJSE_SE_EEES9_SG_JZNS1_25segmented_radix_sort_implINS0_14default_configELb1EPKhPhPKlPlN2at6native12_GLOBAL__N_18offset_tEEE10hipError_tPvRmT1_PNSt15iterator_traitsISY_E10value_typeET2_T3_PNSZ_IS14_E10value_typeET4_jRbjT5_S1A_jjP12ihipStream_tbEUljE_EEESV_SW_SX_S14_S18_S1A_T6_T7_T9_mT8_S1C_bDpT10_ENKUlT_T0_E_clISt17integral_constantIbLb1EES1P_EEDaS1K_S1L_EUlS1K_E_NS1_11comp_targetILNS1_3genE2ELNS1_11target_archE906ELNS1_3gpuE6ELNS1_3repE0EEENS1_30default_config_static_selectorELNS0_4arch9wavefront6targetE0EEEvSY_: ; @_ZN7rocprim17ROCPRIM_400000_NS6detail17trampoline_kernelINS0_13select_configILj256ELj13ELNS0_17block_load_methodE3ELS4_3ELS4_3ELNS0_20block_scan_algorithmE0ELj4294967295EEENS1_25partition_config_selectorILNS1_17partition_subalgoE3EjNS0_10empty_typeEbEEZZNS1_14partition_implILS8_3ELb0ES6_jNS0_17counting_iteratorIjlEEPS9_SE_NS0_5tupleIJPjSE_EEENSF_IJSE_SE_EEES9_SG_JZNS1_25segmented_radix_sort_implINS0_14default_configELb1EPKhPhPKlPlN2at6native12_GLOBAL__N_18offset_tEEE10hipError_tPvRmT1_PNSt15iterator_traitsISY_E10value_typeET2_T3_PNSZ_IS14_E10value_typeET4_jRbjT5_S1A_jjP12ihipStream_tbEUljE_EEESV_SW_SX_S14_S18_S1A_T6_T7_T9_mT8_S1C_bDpT10_ENKUlT_T0_E_clISt17integral_constantIbLb1EES1P_EEDaS1K_S1L_EUlS1K_E_NS1_11comp_targetILNS1_3genE2ELNS1_11target_archE906ELNS1_3gpuE6ELNS1_3repE0EEENS1_30default_config_static_selectorELNS0_4arch9wavefront6targetE0EEEvSY_
; %bb.0:
	.section	.rodata,"a",@progbits
	.p2align	6, 0x0
	.amdhsa_kernel _ZN7rocprim17ROCPRIM_400000_NS6detail17trampoline_kernelINS0_13select_configILj256ELj13ELNS0_17block_load_methodE3ELS4_3ELS4_3ELNS0_20block_scan_algorithmE0ELj4294967295EEENS1_25partition_config_selectorILNS1_17partition_subalgoE3EjNS0_10empty_typeEbEEZZNS1_14partition_implILS8_3ELb0ES6_jNS0_17counting_iteratorIjlEEPS9_SE_NS0_5tupleIJPjSE_EEENSF_IJSE_SE_EEES9_SG_JZNS1_25segmented_radix_sort_implINS0_14default_configELb1EPKhPhPKlPlN2at6native12_GLOBAL__N_18offset_tEEE10hipError_tPvRmT1_PNSt15iterator_traitsISY_E10value_typeET2_T3_PNSZ_IS14_E10value_typeET4_jRbjT5_S1A_jjP12ihipStream_tbEUljE_EEESV_SW_SX_S14_S18_S1A_T6_T7_T9_mT8_S1C_bDpT10_ENKUlT_T0_E_clISt17integral_constantIbLb1EES1P_EEDaS1K_S1L_EUlS1K_E_NS1_11comp_targetILNS1_3genE2ELNS1_11target_archE906ELNS1_3gpuE6ELNS1_3repE0EEENS1_30default_config_static_selectorELNS0_4arch9wavefront6targetE0EEEvSY_
		.amdhsa_group_segment_fixed_size 0
		.amdhsa_private_segment_fixed_size 0
		.amdhsa_kernarg_size 152
		.amdhsa_user_sgpr_count 15
		.amdhsa_user_sgpr_dispatch_ptr 0
		.amdhsa_user_sgpr_queue_ptr 0
		.amdhsa_user_sgpr_kernarg_segment_ptr 1
		.amdhsa_user_sgpr_dispatch_id 0
		.amdhsa_user_sgpr_private_segment_size 0
		.amdhsa_wavefront_size32 1
		.amdhsa_uses_dynamic_stack 0
		.amdhsa_enable_private_segment 0
		.amdhsa_system_sgpr_workgroup_id_x 1
		.amdhsa_system_sgpr_workgroup_id_y 0
		.amdhsa_system_sgpr_workgroup_id_z 0
		.amdhsa_system_sgpr_workgroup_info 0
		.amdhsa_system_vgpr_workitem_id 0
		.amdhsa_next_free_vgpr 1
		.amdhsa_next_free_sgpr 1
		.amdhsa_reserve_vcc 0
		.amdhsa_float_round_mode_32 0
		.amdhsa_float_round_mode_16_64 0
		.amdhsa_float_denorm_mode_32 3
		.amdhsa_float_denorm_mode_16_64 3
		.amdhsa_dx10_clamp 1
		.amdhsa_ieee_mode 1
		.amdhsa_fp16_overflow 0
		.amdhsa_workgroup_processor_mode 1
		.amdhsa_memory_ordered 1
		.amdhsa_forward_progress 0
		.amdhsa_shared_vgpr_count 0
		.amdhsa_exception_fp_ieee_invalid_op 0
		.amdhsa_exception_fp_denorm_src 0
		.amdhsa_exception_fp_ieee_div_zero 0
		.amdhsa_exception_fp_ieee_overflow 0
		.amdhsa_exception_fp_ieee_underflow 0
		.amdhsa_exception_fp_ieee_inexact 0
		.amdhsa_exception_int_div_zero 0
	.end_amdhsa_kernel
	.section	.text._ZN7rocprim17ROCPRIM_400000_NS6detail17trampoline_kernelINS0_13select_configILj256ELj13ELNS0_17block_load_methodE3ELS4_3ELS4_3ELNS0_20block_scan_algorithmE0ELj4294967295EEENS1_25partition_config_selectorILNS1_17partition_subalgoE3EjNS0_10empty_typeEbEEZZNS1_14partition_implILS8_3ELb0ES6_jNS0_17counting_iteratorIjlEEPS9_SE_NS0_5tupleIJPjSE_EEENSF_IJSE_SE_EEES9_SG_JZNS1_25segmented_radix_sort_implINS0_14default_configELb1EPKhPhPKlPlN2at6native12_GLOBAL__N_18offset_tEEE10hipError_tPvRmT1_PNSt15iterator_traitsISY_E10value_typeET2_T3_PNSZ_IS14_E10value_typeET4_jRbjT5_S1A_jjP12ihipStream_tbEUljE_EEESV_SW_SX_S14_S18_S1A_T6_T7_T9_mT8_S1C_bDpT10_ENKUlT_T0_E_clISt17integral_constantIbLb1EES1P_EEDaS1K_S1L_EUlS1K_E_NS1_11comp_targetILNS1_3genE2ELNS1_11target_archE906ELNS1_3gpuE6ELNS1_3repE0EEENS1_30default_config_static_selectorELNS0_4arch9wavefront6targetE0EEEvSY_,"axG",@progbits,_ZN7rocprim17ROCPRIM_400000_NS6detail17trampoline_kernelINS0_13select_configILj256ELj13ELNS0_17block_load_methodE3ELS4_3ELS4_3ELNS0_20block_scan_algorithmE0ELj4294967295EEENS1_25partition_config_selectorILNS1_17partition_subalgoE3EjNS0_10empty_typeEbEEZZNS1_14partition_implILS8_3ELb0ES6_jNS0_17counting_iteratorIjlEEPS9_SE_NS0_5tupleIJPjSE_EEENSF_IJSE_SE_EEES9_SG_JZNS1_25segmented_radix_sort_implINS0_14default_configELb1EPKhPhPKlPlN2at6native12_GLOBAL__N_18offset_tEEE10hipError_tPvRmT1_PNSt15iterator_traitsISY_E10value_typeET2_T3_PNSZ_IS14_E10value_typeET4_jRbjT5_S1A_jjP12ihipStream_tbEUljE_EEESV_SW_SX_S14_S18_S1A_T6_T7_T9_mT8_S1C_bDpT10_ENKUlT_T0_E_clISt17integral_constantIbLb1EES1P_EEDaS1K_S1L_EUlS1K_E_NS1_11comp_targetILNS1_3genE2ELNS1_11target_archE906ELNS1_3gpuE6ELNS1_3repE0EEENS1_30default_config_static_selectorELNS0_4arch9wavefront6targetE0EEEvSY_,comdat
.Lfunc_end61:
	.size	_ZN7rocprim17ROCPRIM_400000_NS6detail17trampoline_kernelINS0_13select_configILj256ELj13ELNS0_17block_load_methodE3ELS4_3ELS4_3ELNS0_20block_scan_algorithmE0ELj4294967295EEENS1_25partition_config_selectorILNS1_17partition_subalgoE3EjNS0_10empty_typeEbEEZZNS1_14partition_implILS8_3ELb0ES6_jNS0_17counting_iteratorIjlEEPS9_SE_NS0_5tupleIJPjSE_EEENSF_IJSE_SE_EEES9_SG_JZNS1_25segmented_radix_sort_implINS0_14default_configELb1EPKhPhPKlPlN2at6native12_GLOBAL__N_18offset_tEEE10hipError_tPvRmT1_PNSt15iterator_traitsISY_E10value_typeET2_T3_PNSZ_IS14_E10value_typeET4_jRbjT5_S1A_jjP12ihipStream_tbEUljE_EEESV_SW_SX_S14_S18_S1A_T6_T7_T9_mT8_S1C_bDpT10_ENKUlT_T0_E_clISt17integral_constantIbLb1EES1P_EEDaS1K_S1L_EUlS1K_E_NS1_11comp_targetILNS1_3genE2ELNS1_11target_archE906ELNS1_3gpuE6ELNS1_3repE0EEENS1_30default_config_static_selectorELNS0_4arch9wavefront6targetE0EEEvSY_, .Lfunc_end61-_ZN7rocprim17ROCPRIM_400000_NS6detail17trampoline_kernelINS0_13select_configILj256ELj13ELNS0_17block_load_methodE3ELS4_3ELS4_3ELNS0_20block_scan_algorithmE0ELj4294967295EEENS1_25partition_config_selectorILNS1_17partition_subalgoE3EjNS0_10empty_typeEbEEZZNS1_14partition_implILS8_3ELb0ES6_jNS0_17counting_iteratorIjlEEPS9_SE_NS0_5tupleIJPjSE_EEENSF_IJSE_SE_EEES9_SG_JZNS1_25segmented_radix_sort_implINS0_14default_configELb1EPKhPhPKlPlN2at6native12_GLOBAL__N_18offset_tEEE10hipError_tPvRmT1_PNSt15iterator_traitsISY_E10value_typeET2_T3_PNSZ_IS14_E10value_typeET4_jRbjT5_S1A_jjP12ihipStream_tbEUljE_EEESV_SW_SX_S14_S18_S1A_T6_T7_T9_mT8_S1C_bDpT10_ENKUlT_T0_E_clISt17integral_constantIbLb1EES1P_EEDaS1K_S1L_EUlS1K_E_NS1_11comp_targetILNS1_3genE2ELNS1_11target_archE906ELNS1_3gpuE6ELNS1_3repE0EEENS1_30default_config_static_selectorELNS0_4arch9wavefront6targetE0EEEvSY_
                                        ; -- End function
	.section	.AMDGPU.csdata,"",@progbits
; Kernel info:
; codeLenInByte = 0
; NumSgprs: 0
; NumVgprs: 0
; ScratchSize: 0
; MemoryBound: 0
; FloatMode: 240
; IeeeMode: 1
; LDSByteSize: 0 bytes/workgroup (compile time only)
; SGPRBlocks: 0
; VGPRBlocks: 0
; NumSGPRsForWavesPerEU: 1
; NumVGPRsForWavesPerEU: 1
; Occupancy: 16
; WaveLimiterHint : 0
; COMPUTE_PGM_RSRC2:SCRATCH_EN: 0
; COMPUTE_PGM_RSRC2:USER_SGPR: 15
; COMPUTE_PGM_RSRC2:TRAP_HANDLER: 0
; COMPUTE_PGM_RSRC2:TGID_X_EN: 1
; COMPUTE_PGM_RSRC2:TGID_Y_EN: 0
; COMPUTE_PGM_RSRC2:TGID_Z_EN: 0
; COMPUTE_PGM_RSRC2:TIDIG_COMP_CNT: 0
	.section	.text._ZN7rocprim17ROCPRIM_400000_NS6detail17trampoline_kernelINS0_13select_configILj256ELj13ELNS0_17block_load_methodE3ELS4_3ELS4_3ELNS0_20block_scan_algorithmE0ELj4294967295EEENS1_25partition_config_selectorILNS1_17partition_subalgoE3EjNS0_10empty_typeEbEEZZNS1_14partition_implILS8_3ELb0ES6_jNS0_17counting_iteratorIjlEEPS9_SE_NS0_5tupleIJPjSE_EEENSF_IJSE_SE_EEES9_SG_JZNS1_25segmented_radix_sort_implINS0_14default_configELb1EPKhPhPKlPlN2at6native12_GLOBAL__N_18offset_tEEE10hipError_tPvRmT1_PNSt15iterator_traitsISY_E10value_typeET2_T3_PNSZ_IS14_E10value_typeET4_jRbjT5_S1A_jjP12ihipStream_tbEUljE_EEESV_SW_SX_S14_S18_S1A_T6_T7_T9_mT8_S1C_bDpT10_ENKUlT_T0_E_clISt17integral_constantIbLb1EES1P_EEDaS1K_S1L_EUlS1K_E_NS1_11comp_targetILNS1_3genE10ELNS1_11target_archE1200ELNS1_3gpuE4ELNS1_3repE0EEENS1_30default_config_static_selectorELNS0_4arch9wavefront6targetE0EEEvSY_,"axG",@progbits,_ZN7rocprim17ROCPRIM_400000_NS6detail17trampoline_kernelINS0_13select_configILj256ELj13ELNS0_17block_load_methodE3ELS4_3ELS4_3ELNS0_20block_scan_algorithmE0ELj4294967295EEENS1_25partition_config_selectorILNS1_17partition_subalgoE3EjNS0_10empty_typeEbEEZZNS1_14partition_implILS8_3ELb0ES6_jNS0_17counting_iteratorIjlEEPS9_SE_NS0_5tupleIJPjSE_EEENSF_IJSE_SE_EEES9_SG_JZNS1_25segmented_radix_sort_implINS0_14default_configELb1EPKhPhPKlPlN2at6native12_GLOBAL__N_18offset_tEEE10hipError_tPvRmT1_PNSt15iterator_traitsISY_E10value_typeET2_T3_PNSZ_IS14_E10value_typeET4_jRbjT5_S1A_jjP12ihipStream_tbEUljE_EEESV_SW_SX_S14_S18_S1A_T6_T7_T9_mT8_S1C_bDpT10_ENKUlT_T0_E_clISt17integral_constantIbLb1EES1P_EEDaS1K_S1L_EUlS1K_E_NS1_11comp_targetILNS1_3genE10ELNS1_11target_archE1200ELNS1_3gpuE4ELNS1_3repE0EEENS1_30default_config_static_selectorELNS0_4arch9wavefront6targetE0EEEvSY_,comdat
	.globl	_ZN7rocprim17ROCPRIM_400000_NS6detail17trampoline_kernelINS0_13select_configILj256ELj13ELNS0_17block_load_methodE3ELS4_3ELS4_3ELNS0_20block_scan_algorithmE0ELj4294967295EEENS1_25partition_config_selectorILNS1_17partition_subalgoE3EjNS0_10empty_typeEbEEZZNS1_14partition_implILS8_3ELb0ES6_jNS0_17counting_iteratorIjlEEPS9_SE_NS0_5tupleIJPjSE_EEENSF_IJSE_SE_EEES9_SG_JZNS1_25segmented_radix_sort_implINS0_14default_configELb1EPKhPhPKlPlN2at6native12_GLOBAL__N_18offset_tEEE10hipError_tPvRmT1_PNSt15iterator_traitsISY_E10value_typeET2_T3_PNSZ_IS14_E10value_typeET4_jRbjT5_S1A_jjP12ihipStream_tbEUljE_EEESV_SW_SX_S14_S18_S1A_T6_T7_T9_mT8_S1C_bDpT10_ENKUlT_T0_E_clISt17integral_constantIbLb1EES1P_EEDaS1K_S1L_EUlS1K_E_NS1_11comp_targetILNS1_3genE10ELNS1_11target_archE1200ELNS1_3gpuE4ELNS1_3repE0EEENS1_30default_config_static_selectorELNS0_4arch9wavefront6targetE0EEEvSY_ ; -- Begin function _ZN7rocprim17ROCPRIM_400000_NS6detail17trampoline_kernelINS0_13select_configILj256ELj13ELNS0_17block_load_methodE3ELS4_3ELS4_3ELNS0_20block_scan_algorithmE0ELj4294967295EEENS1_25partition_config_selectorILNS1_17partition_subalgoE3EjNS0_10empty_typeEbEEZZNS1_14partition_implILS8_3ELb0ES6_jNS0_17counting_iteratorIjlEEPS9_SE_NS0_5tupleIJPjSE_EEENSF_IJSE_SE_EEES9_SG_JZNS1_25segmented_radix_sort_implINS0_14default_configELb1EPKhPhPKlPlN2at6native12_GLOBAL__N_18offset_tEEE10hipError_tPvRmT1_PNSt15iterator_traitsISY_E10value_typeET2_T3_PNSZ_IS14_E10value_typeET4_jRbjT5_S1A_jjP12ihipStream_tbEUljE_EEESV_SW_SX_S14_S18_S1A_T6_T7_T9_mT8_S1C_bDpT10_ENKUlT_T0_E_clISt17integral_constantIbLb1EES1P_EEDaS1K_S1L_EUlS1K_E_NS1_11comp_targetILNS1_3genE10ELNS1_11target_archE1200ELNS1_3gpuE4ELNS1_3repE0EEENS1_30default_config_static_selectorELNS0_4arch9wavefront6targetE0EEEvSY_
	.p2align	8
	.type	_ZN7rocprim17ROCPRIM_400000_NS6detail17trampoline_kernelINS0_13select_configILj256ELj13ELNS0_17block_load_methodE3ELS4_3ELS4_3ELNS0_20block_scan_algorithmE0ELj4294967295EEENS1_25partition_config_selectorILNS1_17partition_subalgoE3EjNS0_10empty_typeEbEEZZNS1_14partition_implILS8_3ELb0ES6_jNS0_17counting_iteratorIjlEEPS9_SE_NS0_5tupleIJPjSE_EEENSF_IJSE_SE_EEES9_SG_JZNS1_25segmented_radix_sort_implINS0_14default_configELb1EPKhPhPKlPlN2at6native12_GLOBAL__N_18offset_tEEE10hipError_tPvRmT1_PNSt15iterator_traitsISY_E10value_typeET2_T3_PNSZ_IS14_E10value_typeET4_jRbjT5_S1A_jjP12ihipStream_tbEUljE_EEESV_SW_SX_S14_S18_S1A_T6_T7_T9_mT8_S1C_bDpT10_ENKUlT_T0_E_clISt17integral_constantIbLb1EES1P_EEDaS1K_S1L_EUlS1K_E_NS1_11comp_targetILNS1_3genE10ELNS1_11target_archE1200ELNS1_3gpuE4ELNS1_3repE0EEENS1_30default_config_static_selectorELNS0_4arch9wavefront6targetE0EEEvSY_,@function
_ZN7rocprim17ROCPRIM_400000_NS6detail17trampoline_kernelINS0_13select_configILj256ELj13ELNS0_17block_load_methodE3ELS4_3ELS4_3ELNS0_20block_scan_algorithmE0ELj4294967295EEENS1_25partition_config_selectorILNS1_17partition_subalgoE3EjNS0_10empty_typeEbEEZZNS1_14partition_implILS8_3ELb0ES6_jNS0_17counting_iteratorIjlEEPS9_SE_NS0_5tupleIJPjSE_EEENSF_IJSE_SE_EEES9_SG_JZNS1_25segmented_radix_sort_implINS0_14default_configELb1EPKhPhPKlPlN2at6native12_GLOBAL__N_18offset_tEEE10hipError_tPvRmT1_PNSt15iterator_traitsISY_E10value_typeET2_T3_PNSZ_IS14_E10value_typeET4_jRbjT5_S1A_jjP12ihipStream_tbEUljE_EEESV_SW_SX_S14_S18_S1A_T6_T7_T9_mT8_S1C_bDpT10_ENKUlT_T0_E_clISt17integral_constantIbLb1EES1P_EEDaS1K_S1L_EUlS1K_E_NS1_11comp_targetILNS1_3genE10ELNS1_11target_archE1200ELNS1_3gpuE4ELNS1_3repE0EEENS1_30default_config_static_selectorELNS0_4arch9wavefront6targetE0EEEvSY_: ; @_ZN7rocprim17ROCPRIM_400000_NS6detail17trampoline_kernelINS0_13select_configILj256ELj13ELNS0_17block_load_methodE3ELS4_3ELS4_3ELNS0_20block_scan_algorithmE0ELj4294967295EEENS1_25partition_config_selectorILNS1_17partition_subalgoE3EjNS0_10empty_typeEbEEZZNS1_14partition_implILS8_3ELb0ES6_jNS0_17counting_iteratorIjlEEPS9_SE_NS0_5tupleIJPjSE_EEENSF_IJSE_SE_EEES9_SG_JZNS1_25segmented_radix_sort_implINS0_14default_configELb1EPKhPhPKlPlN2at6native12_GLOBAL__N_18offset_tEEE10hipError_tPvRmT1_PNSt15iterator_traitsISY_E10value_typeET2_T3_PNSZ_IS14_E10value_typeET4_jRbjT5_S1A_jjP12ihipStream_tbEUljE_EEESV_SW_SX_S14_S18_S1A_T6_T7_T9_mT8_S1C_bDpT10_ENKUlT_T0_E_clISt17integral_constantIbLb1EES1P_EEDaS1K_S1L_EUlS1K_E_NS1_11comp_targetILNS1_3genE10ELNS1_11target_archE1200ELNS1_3gpuE4ELNS1_3repE0EEENS1_30default_config_static_selectorELNS0_4arch9wavefront6targetE0EEEvSY_
; %bb.0:
	.section	.rodata,"a",@progbits
	.p2align	6, 0x0
	.amdhsa_kernel _ZN7rocprim17ROCPRIM_400000_NS6detail17trampoline_kernelINS0_13select_configILj256ELj13ELNS0_17block_load_methodE3ELS4_3ELS4_3ELNS0_20block_scan_algorithmE0ELj4294967295EEENS1_25partition_config_selectorILNS1_17partition_subalgoE3EjNS0_10empty_typeEbEEZZNS1_14partition_implILS8_3ELb0ES6_jNS0_17counting_iteratorIjlEEPS9_SE_NS0_5tupleIJPjSE_EEENSF_IJSE_SE_EEES9_SG_JZNS1_25segmented_radix_sort_implINS0_14default_configELb1EPKhPhPKlPlN2at6native12_GLOBAL__N_18offset_tEEE10hipError_tPvRmT1_PNSt15iterator_traitsISY_E10value_typeET2_T3_PNSZ_IS14_E10value_typeET4_jRbjT5_S1A_jjP12ihipStream_tbEUljE_EEESV_SW_SX_S14_S18_S1A_T6_T7_T9_mT8_S1C_bDpT10_ENKUlT_T0_E_clISt17integral_constantIbLb1EES1P_EEDaS1K_S1L_EUlS1K_E_NS1_11comp_targetILNS1_3genE10ELNS1_11target_archE1200ELNS1_3gpuE4ELNS1_3repE0EEENS1_30default_config_static_selectorELNS0_4arch9wavefront6targetE0EEEvSY_
		.amdhsa_group_segment_fixed_size 0
		.amdhsa_private_segment_fixed_size 0
		.amdhsa_kernarg_size 152
		.amdhsa_user_sgpr_count 15
		.amdhsa_user_sgpr_dispatch_ptr 0
		.amdhsa_user_sgpr_queue_ptr 0
		.amdhsa_user_sgpr_kernarg_segment_ptr 1
		.amdhsa_user_sgpr_dispatch_id 0
		.amdhsa_user_sgpr_private_segment_size 0
		.amdhsa_wavefront_size32 1
		.amdhsa_uses_dynamic_stack 0
		.amdhsa_enable_private_segment 0
		.amdhsa_system_sgpr_workgroup_id_x 1
		.amdhsa_system_sgpr_workgroup_id_y 0
		.amdhsa_system_sgpr_workgroup_id_z 0
		.amdhsa_system_sgpr_workgroup_info 0
		.amdhsa_system_vgpr_workitem_id 0
		.amdhsa_next_free_vgpr 1
		.amdhsa_next_free_sgpr 1
		.amdhsa_reserve_vcc 0
		.amdhsa_float_round_mode_32 0
		.amdhsa_float_round_mode_16_64 0
		.amdhsa_float_denorm_mode_32 3
		.amdhsa_float_denorm_mode_16_64 3
		.amdhsa_dx10_clamp 1
		.amdhsa_ieee_mode 1
		.amdhsa_fp16_overflow 0
		.amdhsa_workgroup_processor_mode 1
		.amdhsa_memory_ordered 1
		.amdhsa_forward_progress 0
		.amdhsa_shared_vgpr_count 0
		.amdhsa_exception_fp_ieee_invalid_op 0
		.amdhsa_exception_fp_denorm_src 0
		.amdhsa_exception_fp_ieee_div_zero 0
		.amdhsa_exception_fp_ieee_overflow 0
		.amdhsa_exception_fp_ieee_underflow 0
		.amdhsa_exception_fp_ieee_inexact 0
		.amdhsa_exception_int_div_zero 0
	.end_amdhsa_kernel
	.section	.text._ZN7rocprim17ROCPRIM_400000_NS6detail17trampoline_kernelINS0_13select_configILj256ELj13ELNS0_17block_load_methodE3ELS4_3ELS4_3ELNS0_20block_scan_algorithmE0ELj4294967295EEENS1_25partition_config_selectorILNS1_17partition_subalgoE3EjNS0_10empty_typeEbEEZZNS1_14partition_implILS8_3ELb0ES6_jNS0_17counting_iteratorIjlEEPS9_SE_NS0_5tupleIJPjSE_EEENSF_IJSE_SE_EEES9_SG_JZNS1_25segmented_radix_sort_implINS0_14default_configELb1EPKhPhPKlPlN2at6native12_GLOBAL__N_18offset_tEEE10hipError_tPvRmT1_PNSt15iterator_traitsISY_E10value_typeET2_T3_PNSZ_IS14_E10value_typeET4_jRbjT5_S1A_jjP12ihipStream_tbEUljE_EEESV_SW_SX_S14_S18_S1A_T6_T7_T9_mT8_S1C_bDpT10_ENKUlT_T0_E_clISt17integral_constantIbLb1EES1P_EEDaS1K_S1L_EUlS1K_E_NS1_11comp_targetILNS1_3genE10ELNS1_11target_archE1200ELNS1_3gpuE4ELNS1_3repE0EEENS1_30default_config_static_selectorELNS0_4arch9wavefront6targetE0EEEvSY_,"axG",@progbits,_ZN7rocprim17ROCPRIM_400000_NS6detail17trampoline_kernelINS0_13select_configILj256ELj13ELNS0_17block_load_methodE3ELS4_3ELS4_3ELNS0_20block_scan_algorithmE0ELj4294967295EEENS1_25partition_config_selectorILNS1_17partition_subalgoE3EjNS0_10empty_typeEbEEZZNS1_14partition_implILS8_3ELb0ES6_jNS0_17counting_iteratorIjlEEPS9_SE_NS0_5tupleIJPjSE_EEENSF_IJSE_SE_EEES9_SG_JZNS1_25segmented_radix_sort_implINS0_14default_configELb1EPKhPhPKlPlN2at6native12_GLOBAL__N_18offset_tEEE10hipError_tPvRmT1_PNSt15iterator_traitsISY_E10value_typeET2_T3_PNSZ_IS14_E10value_typeET4_jRbjT5_S1A_jjP12ihipStream_tbEUljE_EEESV_SW_SX_S14_S18_S1A_T6_T7_T9_mT8_S1C_bDpT10_ENKUlT_T0_E_clISt17integral_constantIbLb1EES1P_EEDaS1K_S1L_EUlS1K_E_NS1_11comp_targetILNS1_3genE10ELNS1_11target_archE1200ELNS1_3gpuE4ELNS1_3repE0EEENS1_30default_config_static_selectorELNS0_4arch9wavefront6targetE0EEEvSY_,comdat
.Lfunc_end62:
	.size	_ZN7rocprim17ROCPRIM_400000_NS6detail17trampoline_kernelINS0_13select_configILj256ELj13ELNS0_17block_load_methodE3ELS4_3ELS4_3ELNS0_20block_scan_algorithmE0ELj4294967295EEENS1_25partition_config_selectorILNS1_17partition_subalgoE3EjNS0_10empty_typeEbEEZZNS1_14partition_implILS8_3ELb0ES6_jNS0_17counting_iteratorIjlEEPS9_SE_NS0_5tupleIJPjSE_EEENSF_IJSE_SE_EEES9_SG_JZNS1_25segmented_radix_sort_implINS0_14default_configELb1EPKhPhPKlPlN2at6native12_GLOBAL__N_18offset_tEEE10hipError_tPvRmT1_PNSt15iterator_traitsISY_E10value_typeET2_T3_PNSZ_IS14_E10value_typeET4_jRbjT5_S1A_jjP12ihipStream_tbEUljE_EEESV_SW_SX_S14_S18_S1A_T6_T7_T9_mT8_S1C_bDpT10_ENKUlT_T0_E_clISt17integral_constantIbLb1EES1P_EEDaS1K_S1L_EUlS1K_E_NS1_11comp_targetILNS1_3genE10ELNS1_11target_archE1200ELNS1_3gpuE4ELNS1_3repE0EEENS1_30default_config_static_selectorELNS0_4arch9wavefront6targetE0EEEvSY_, .Lfunc_end62-_ZN7rocprim17ROCPRIM_400000_NS6detail17trampoline_kernelINS0_13select_configILj256ELj13ELNS0_17block_load_methodE3ELS4_3ELS4_3ELNS0_20block_scan_algorithmE0ELj4294967295EEENS1_25partition_config_selectorILNS1_17partition_subalgoE3EjNS0_10empty_typeEbEEZZNS1_14partition_implILS8_3ELb0ES6_jNS0_17counting_iteratorIjlEEPS9_SE_NS0_5tupleIJPjSE_EEENSF_IJSE_SE_EEES9_SG_JZNS1_25segmented_radix_sort_implINS0_14default_configELb1EPKhPhPKlPlN2at6native12_GLOBAL__N_18offset_tEEE10hipError_tPvRmT1_PNSt15iterator_traitsISY_E10value_typeET2_T3_PNSZ_IS14_E10value_typeET4_jRbjT5_S1A_jjP12ihipStream_tbEUljE_EEESV_SW_SX_S14_S18_S1A_T6_T7_T9_mT8_S1C_bDpT10_ENKUlT_T0_E_clISt17integral_constantIbLb1EES1P_EEDaS1K_S1L_EUlS1K_E_NS1_11comp_targetILNS1_3genE10ELNS1_11target_archE1200ELNS1_3gpuE4ELNS1_3repE0EEENS1_30default_config_static_selectorELNS0_4arch9wavefront6targetE0EEEvSY_
                                        ; -- End function
	.section	.AMDGPU.csdata,"",@progbits
; Kernel info:
; codeLenInByte = 0
; NumSgprs: 0
; NumVgprs: 0
; ScratchSize: 0
; MemoryBound: 0
; FloatMode: 240
; IeeeMode: 1
; LDSByteSize: 0 bytes/workgroup (compile time only)
; SGPRBlocks: 0
; VGPRBlocks: 0
; NumSGPRsForWavesPerEU: 1
; NumVGPRsForWavesPerEU: 1
; Occupancy: 16
; WaveLimiterHint : 0
; COMPUTE_PGM_RSRC2:SCRATCH_EN: 0
; COMPUTE_PGM_RSRC2:USER_SGPR: 15
; COMPUTE_PGM_RSRC2:TRAP_HANDLER: 0
; COMPUTE_PGM_RSRC2:TGID_X_EN: 1
; COMPUTE_PGM_RSRC2:TGID_Y_EN: 0
; COMPUTE_PGM_RSRC2:TGID_Z_EN: 0
; COMPUTE_PGM_RSRC2:TIDIG_COMP_CNT: 0
	.section	.text._ZN7rocprim17ROCPRIM_400000_NS6detail17trampoline_kernelINS0_13select_configILj256ELj13ELNS0_17block_load_methodE3ELS4_3ELS4_3ELNS0_20block_scan_algorithmE0ELj4294967295EEENS1_25partition_config_selectorILNS1_17partition_subalgoE3EjNS0_10empty_typeEbEEZZNS1_14partition_implILS8_3ELb0ES6_jNS0_17counting_iteratorIjlEEPS9_SE_NS0_5tupleIJPjSE_EEENSF_IJSE_SE_EEES9_SG_JZNS1_25segmented_radix_sort_implINS0_14default_configELb1EPKhPhPKlPlN2at6native12_GLOBAL__N_18offset_tEEE10hipError_tPvRmT1_PNSt15iterator_traitsISY_E10value_typeET2_T3_PNSZ_IS14_E10value_typeET4_jRbjT5_S1A_jjP12ihipStream_tbEUljE_EEESV_SW_SX_S14_S18_S1A_T6_T7_T9_mT8_S1C_bDpT10_ENKUlT_T0_E_clISt17integral_constantIbLb1EES1P_EEDaS1K_S1L_EUlS1K_E_NS1_11comp_targetILNS1_3genE9ELNS1_11target_archE1100ELNS1_3gpuE3ELNS1_3repE0EEENS1_30default_config_static_selectorELNS0_4arch9wavefront6targetE0EEEvSY_,"axG",@progbits,_ZN7rocprim17ROCPRIM_400000_NS6detail17trampoline_kernelINS0_13select_configILj256ELj13ELNS0_17block_load_methodE3ELS4_3ELS4_3ELNS0_20block_scan_algorithmE0ELj4294967295EEENS1_25partition_config_selectorILNS1_17partition_subalgoE3EjNS0_10empty_typeEbEEZZNS1_14partition_implILS8_3ELb0ES6_jNS0_17counting_iteratorIjlEEPS9_SE_NS0_5tupleIJPjSE_EEENSF_IJSE_SE_EEES9_SG_JZNS1_25segmented_radix_sort_implINS0_14default_configELb1EPKhPhPKlPlN2at6native12_GLOBAL__N_18offset_tEEE10hipError_tPvRmT1_PNSt15iterator_traitsISY_E10value_typeET2_T3_PNSZ_IS14_E10value_typeET4_jRbjT5_S1A_jjP12ihipStream_tbEUljE_EEESV_SW_SX_S14_S18_S1A_T6_T7_T9_mT8_S1C_bDpT10_ENKUlT_T0_E_clISt17integral_constantIbLb1EES1P_EEDaS1K_S1L_EUlS1K_E_NS1_11comp_targetILNS1_3genE9ELNS1_11target_archE1100ELNS1_3gpuE3ELNS1_3repE0EEENS1_30default_config_static_selectorELNS0_4arch9wavefront6targetE0EEEvSY_,comdat
	.globl	_ZN7rocprim17ROCPRIM_400000_NS6detail17trampoline_kernelINS0_13select_configILj256ELj13ELNS0_17block_load_methodE3ELS4_3ELS4_3ELNS0_20block_scan_algorithmE0ELj4294967295EEENS1_25partition_config_selectorILNS1_17partition_subalgoE3EjNS0_10empty_typeEbEEZZNS1_14partition_implILS8_3ELb0ES6_jNS0_17counting_iteratorIjlEEPS9_SE_NS0_5tupleIJPjSE_EEENSF_IJSE_SE_EEES9_SG_JZNS1_25segmented_radix_sort_implINS0_14default_configELb1EPKhPhPKlPlN2at6native12_GLOBAL__N_18offset_tEEE10hipError_tPvRmT1_PNSt15iterator_traitsISY_E10value_typeET2_T3_PNSZ_IS14_E10value_typeET4_jRbjT5_S1A_jjP12ihipStream_tbEUljE_EEESV_SW_SX_S14_S18_S1A_T6_T7_T9_mT8_S1C_bDpT10_ENKUlT_T0_E_clISt17integral_constantIbLb1EES1P_EEDaS1K_S1L_EUlS1K_E_NS1_11comp_targetILNS1_3genE9ELNS1_11target_archE1100ELNS1_3gpuE3ELNS1_3repE0EEENS1_30default_config_static_selectorELNS0_4arch9wavefront6targetE0EEEvSY_ ; -- Begin function _ZN7rocprim17ROCPRIM_400000_NS6detail17trampoline_kernelINS0_13select_configILj256ELj13ELNS0_17block_load_methodE3ELS4_3ELS4_3ELNS0_20block_scan_algorithmE0ELj4294967295EEENS1_25partition_config_selectorILNS1_17partition_subalgoE3EjNS0_10empty_typeEbEEZZNS1_14partition_implILS8_3ELb0ES6_jNS0_17counting_iteratorIjlEEPS9_SE_NS0_5tupleIJPjSE_EEENSF_IJSE_SE_EEES9_SG_JZNS1_25segmented_radix_sort_implINS0_14default_configELb1EPKhPhPKlPlN2at6native12_GLOBAL__N_18offset_tEEE10hipError_tPvRmT1_PNSt15iterator_traitsISY_E10value_typeET2_T3_PNSZ_IS14_E10value_typeET4_jRbjT5_S1A_jjP12ihipStream_tbEUljE_EEESV_SW_SX_S14_S18_S1A_T6_T7_T9_mT8_S1C_bDpT10_ENKUlT_T0_E_clISt17integral_constantIbLb1EES1P_EEDaS1K_S1L_EUlS1K_E_NS1_11comp_targetILNS1_3genE9ELNS1_11target_archE1100ELNS1_3gpuE3ELNS1_3repE0EEENS1_30default_config_static_selectorELNS0_4arch9wavefront6targetE0EEEvSY_
	.p2align	8
	.type	_ZN7rocprim17ROCPRIM_400000_NS6detail17trampoline_kernelINS0_13select_configILj256ELj13ELNS0_17block_load_methodE3ELS4_3ELS4_3ELNS0_20block_scan_algorithmE0ELj4294967295EEENS1_25partition_config_selectorILNS1_17partition_subalgoE3EjNS0_10empty_typeEbEEZZNS1_14partition_implILS8_3ELb0ES6_jNS0_17counting_iteratorIjlEEPS9_SE_NS0_5tupleIJPjSE_EEENSF_IJSE_SE_EEES9_SG_JZNS1_25segmented_radix_sort_implINS0_14default_configELb1EPKhPhPKlPlN2at6native12_GLOBAL__N_18offset_tEEE10hipError_tPvRmT1_PNSt15iterator_traitsISY_E10value_typeET2_T3_PNSZ_IS14_E10value_typeET4_jRbjT5_S1A_jjP12ihipStream_tbEUljE_EEESV_SW_SX_S14_S18_S1A_T6_T7_T9_mT8_S1C_bDpT10_ENKUlT_T0_E_clISt17integral_constantIbLb1EES1P_EEDaS1K_S1L_EUlS1K_E_NS1_11comp_targetILNS1_3genE9ELNS1_11target_archE1100ELNS1_3gpuE3ELNS1_3repE0EEENS1_30default_config_static_selectorELNS0_4arch9wavefront6targetE0EEEvSY_,@function
_ZN7rocprim17ROCPRIM_400000_NS6detail17trampoline_kernelINS0_13select_configILj256ELj13ELNS0_17block_load_methodE3ELS4_3ELS4_3ELNS0_20block_scan_algorithmE0ELj4294967295EEENS1_25partition_config_selectorILNS1_17partition_subalgoE3EjNS0_10empty_typeEbEEZZNS1_14partition_implILS8_3ELb0ES6_jNS0_17counting_iteratorIjlEEPS9_SE_NS0_5tupleIJPjSE_EEENSF_IJSE_SE_EEES9_SG_JZNS1_25segmented_radix_sort_implINS0_14default_configELb1EPKhPhPKlPlN2at6native12_GLOBAL__N_18offset_tEEE10hipError_tPvRmT1_PNSt15iterator_traitsISY_E10value_typeET2_T3_PNSZ_IS14_E10value_typeET4_jRbjT5_S1A_jjP12ihipStream_tbEUljE_EEESV_SW_SX_S14_S18_S1A_T6_T7_T9_mT8_S1C_bDpT10_ENKUlT_T0_E_clISt17integral_constantIbLb1EES1P_EEDaS1K_S1L_EUlS1K_E_NS1_11comp_targetILNS1_3genE9ELNS1_11target_archE1100ELNS1_3gpuE3ELNS1_3repE0EEENS1_30default_config_static_selectorELNS0_4arch9wavefront6targetE0EEEvSY_: ; @_ZN7rocprim17ROCPRIM_400000_NS6detail17trampoline_kernelINS0_13select_configILj256ELj13ELNS0_17block_load_methodE3ELS4_3ELS4_3ELNS0_20block_scan_algorithmE0ELj4294967295EEENS1_25partition_config_selectorILNS1_17partition_subalgoE3EjNS0_10empty_typeEbEEZZNS1_14partition_implILS8_3ELb0ES6_jNS0_17counting_iteratorIjlEEPS9_SE_NS0_5tupleIJPjSE_EEENSF_IJSE_SE_EEES9_SG_JZNS1_25segmented_radix_sort_implINS0_14default_configELb1EPKhPhPKlPlN2at6native12_GLOBAL__N_18offset_tEEE10hipError_tPvRmT1_PNSt15iterator_traitsISY_E10value_typeET2_T3_PNSZ_IS14_E10value_typeET4_jRbjT5_S1A_jjP12ihipStream_tbEUljE_EEESV_SW_SX_S14_S18_S1A_T6_T7_T9_mT8_S1C_bDpT10_ENKUlT_T0_E_clISt17integral_constantIbLb1EES1P_EEDaS1K_S1L_EUlS1K_E_NS1_11comp_targetILNS1_3genE9ELNS1_11target_archE1100ELNS1_3gpuE3ELNS1_3repE0EEENS1_30default_config_static_selectorELNS0_4arch9wavefront6targetE0EEEvSY_
; %bb.0:
	s_clause 0x6
	s_load_b64 s[16:17], s[0:1], 0x10
	s_load_b64 s[12:13], s[0:1], 0x28
	;; [unrolled: 1-line block ×3, first 2 shown]
	s_load_b128 s[8:11], s[0:1], 0x48
	s_load_b32 s3, s[0:1], 0x90
	s_load_b64 s[18:19], s[0:1], 0x68
	s_load_b128 s[4:7], s[0:1], 0x80
	v_cmp_eq_u32_e64 s2, 0, v0
	s_delay_alu instid0(VALU_DEP_1)
	s_and_saveexec_b32 s20, s2
	s_cbranch_execz .LBB63_4
; %bb.1:
	s_mov_b32 s22, exec_lo
	s_mov_b32 s21, exec_lo
	v_mbcnt_lo_u32_b32 v1, s22, 0
                                        ; implicit-def: $vgpr2
	s_delay_alu instid0(VALU_DEP_1)
	v_cmpx_eq_u32_e32 0, v1
	s_cbranch_execz .LBB63_3
; %bb.2:
	s_load_b64 s[24:25], s[0:1], 0x78
	s_bcnt1_i32_b32 s22, s22
	s_delay_alu instid0(SALU_CYCLE_1)
	v_dual_mov_b32 v2, 0 :: v_dual_mov_b32 v3, s22
	s_waitcnt lgkmcnt(0)
	global_atomic_add_u32 v2, v2, v3, s[24:25] glc
.LBB63_3:
	s_or_b32 exec_lo, exec_lo, s21
	s_waitcnt vmcnt(0)
	v_readfirstlane_b32 s21, v2
	s_delay_alu instid0(VALU_DEP_1)
	v_dual_mov_b32 v2, 0 :: v_dual_add_nc_u32 v1, s21, v1
	ds_store_b32 v2, v1
.LBB63_4:
	s_or_b32 exec_lo, exec_lo, s20
	v_mov_b32_e32 v1, 0
	s_clause 0x1
	s_load_b32 s20, s[0:1], 0x8
	s_load_b32 s0, s[0:1], 0x70
	s_waitcnt lgkmcnt(0)
	s_barrier
	buffer_gl0_inv
	ds_load_b32 v2, v1
	s_waitcnt lgkmcnt(0)
	s_barrier
	buffer_gl0_inv
	global_load_b64 v[18:19], v1, s[10:11]
	v_lshlrev_b32_e32 v33, 2, v0
	s_add_i32 s21, s20, s16
	s_mul_i32 s1, s0, 0xd00
	s_add_i32 s0, s0, -1
	s_add_u32 s10, s16, s1
	s_addc_u32 s11, s17, 0
	v_mul_lo_u32 v32, 0xd00, v2
	v_readfirstlane_b32 s20, v2
	v_cmp_lt_u64_e64 s11, s[10:11], s[14:15]
	v_cmp_ne_u32_e32 vcc_lo, s0, v2
	s_delay_alu instid0(VALU_DEP_3) | instskip(SKIP_1) | instid1(VALU_DEP_4)
	s_cmp_eq_u32 s20, s0
	s_cselect_b32 s10, -1, 0
	v_add3_u32 v1, v32, s21, v0
	s_delay_alu instid0(VALU_DEP_3) | instskip(SKIP_2) | instid1(VALU_DEP_1)
	s_or_b32 s0, s11, vcc_lo
	s_mov_b32 s11, -1
	s_and_b32 vcc_lo, exec_lo, s0
	v_add_nc_u32_e32 v2, 0x100, v1
	v_add_nc_u32_e32 v3, 0x200, v1
	;; [unrolled: 1-line block ×12, first 2 shown]
	s_cbranch_vccz .LBB63_6
; %bb.5:
	ds_store_2addr_stride64_b32 v33, v1, v2 offset1:4
	ds_store_2addr_stride64_b32 v33, v3, v4 offset0:8 offset1:12
	ds_store_2addr_stride64_b32 v33, v5, v6 offset0:16 offset1:20
	;; [unrolled: 1-line block ×5, first 2 shown]
	ds_store_b32 v33, v13 offset:12288
	s_waitcnt vmcnt(0) lgkmcnt(0)
	s_mov_b32 s11, 0
	s_barrier
.LBB63_6:
	s_and_not1_b32 vcc_lo, exec_lo, s11
	s_add_i32 s1, s1, s16
	s_cbranch_vccnz .LBB63_8
; %bb.7:
	ds_store_2addr_stride64_b32 v33, v1, v2 offset1:4
	ds_store_2addr_stride64_b32 v33, v3, v4 offset0:8 offset1:12
	ds_store_2addr_stride64_b32 v33, v5, v6 offset0:16 offset1:20
	;; [unrolled: 1-line block ×5, first 2 shown]
	ds_store_b32 v33, v13 offset:12288
	s_waitcnt vmcnt(0) lgkmcnt(0)
	s_barrier
.LBB63_8:
	v_mul_u32_u24_e32 v36, 13, v0
	s_waitcnt vmcnt(0)
	buffer_gl0_inv
	v_cndmask_b32_e64 v34, 0, 1, s0
	s_sub_i32 s11, s14, s1
	s_and_not1_b32 vcc_lo, exec_lo, s0
	v_lshlrev_b32_e32 v1, 2, v36
	ds_load_2addr_b32 v[30:31], v1 offset1:1
	ds_load_2addr_b32 v[28:29], v1 offset0:2 offset1:3
	ds_load_2addr_b32 v[26:27], v1 offset0:4 offset1:5
	;; [unrolled: 1-line block ×5, first 2 shown]
	ds_load_b32 v35, v1 offset:48
	s_waitcnt lgkmcnt(0)
	s_barrier
	buffer_gl0_inv
	s_cbranch_vccnz .LBB63_10
; %bb.9:
	v_add_nc_u32_e32 v1, s5, v30
	v_add_nc_u32_e32 v2, s7, v30
	;; [unrolled: 1-line block ×5, first 2 shown]
	v_mul_lo_u32 v1, v1, s4
	v_mul_lo_u32 v2, v2, s6
	;; [unrolled: 1-line block ×4, first 2 shown]
	v_add_nc_u32_e32 v6, s7, v28
	v_add_nc_u32_e32 v7, s5, v29
	v_add_nc_u32_e32 v8, s7, v29
	v_mul_lo_u32 v5, v5, s4
	v_add_nc_u32_e32 v9, s5, v24
	v_sub_nc_u32_e32 v1, v1, v2
	v_mul_lo_u32 v2, v6, s6
	v_sub_nc_u32_e32 v3, v3, v4
	v_mul_lo_u32 v4, v7, s4
	v_mul_lo_u32 v6, v8, s6
	v_add_nc_u32_e32 v7, s5, v26
	v_cmp_lt_u32_e32 vcc_lo, s3, v1
	v_add_nc_u32_e32 v8, s5, v27
	v_add_nc_u32_e32 v10, s7, v24
	v_sub_nc_u32_e32 v2, v5, v2
	v_add_nc_u32_e32 v5, s7, v26
	v_cndmask_b32_e64 v1, 0, 1, vcc_lo
	v_sub_nc_u32_e32 v4, v4, v6
	v_mul_lo_u32 v6, v7, s4
	v_add_nc_u32_e32 v7, s7, v27
	v_cmp_lt_u32_e32 vcc_lo, s3, v3
	v_mul_lo_u32 v5, v5, s6
	v_mul_lo_u32 v8, v8, s4
	;; [unrolled: 1-line block ×4, first 2 shown]
	v_cndmask_b32_e64 v3, 0, 1, vcc_lo
	v_cmp_lt_u32_e32 vcc_lo, s3, v2
	v_mul_lo_u32 v10, v10, s6
	v_add_nc_u32_e32 v11, s5, v22
	v_sub_nc_u32_e32 v5, v6, v5
	v_add_nc_u32_e32 v12, s7, v22
	v_cndmask_b32_e64 v2, 0, 1, vcc_lo
	v_sub_nc_u32_e32 v6, v8, v7
	v_add_nc_u32_e32 v7, s5, v25
	v_add_nc_u32_e32 v8, s7, v25
	v_cmp_lt_u32_e32 vcc_lo, s3, v4
	v_sub_nc_u32_e32 v9, v9, v10
	v_mul_lo_u32 v10, v11, s4
	v_mul_lo_u32 v7, v7, s4
	;; [unrolled: 1-line block ×4, first 2 shown]
	v_cndmask_b32_e64 v4, 0, 1, vcc_lo
	v_cmp_lt_u32_e32 vcc_lo, s3, v5
	v_add_nc_u32_e32 v12, s5, v23
	v_add_nc_u32_e32 v13, s7, v20
	;; [unrolled: 1-line block ×4, first 2 shown]
	v_cndmask_b32_e64 v5, 0, 1, vcc_lo
	v_cmp_lt_u32_e32 vcc_lo, s3, v6
	v_sub_nc_u32_e32 v7, v7, v8
	v_sub_nc_u32_e32 v8, v10, v11
	v_add_nc_u32_e32 v11, s7, v23
	v_mul_lo_u32 v10, v12, s4
	v_cndmask_b32_e64 v6, 0, 1, vcc_lo
	v_cmp_lt_u32_e32 vcc_lo, s3, v9
	v_add_nc_u32_e32 v12, s5, v20
	v_mul_lo_u32 v11, v11, s6
	v_mul_lo_u32 v13, v13, s6
	;; [unrolled: 1-line block ×3, first 2 shown]
	v_cndmask_b32_e64 v9, 0, 1, vcc_lo
	v_cmp_lt_u32_e32 vcc_lo, s3, v7
	v_mul_lo_u32 v12, v12, s4
	v_mul_lo_u32 v15, v15, s6
	v_lshlrev_b16 v3, 8, v3
	v_sub_nc_u32_e32 v10, v10, v11
	v_cndmask_b32_e64 v7, 0, 1, vcc_lo
	v_cmp_lt_u32_e32 vcc_lo, s3, v8
	v_add_nc_u32_e32 v11, s5, v35
	v_or_b32_e32 v1, v1, v3
	v_sub_nc_u32_e32 v12, v12, v13
	v_sub_nc_u32_e32 v13, v14, v15
	v_cndmask_b32_e64 v8, 0, 1, vcc_lo
	v_cmp_lt_u32_e32 vcc_lo, s3, v10
	v_add_nc_u32_e32 v16, s7, v35
	v_mul_lo_u32 v11, v11, s4
	v_lshlrev_b16 v4, 8, v4
	v_lshlrev_b16 v6, 8, v6
	v_cndmask_b32_e64 v10, 0, 1, vcc_lo
	v_cmp_lt_u32_e32 vcc_lo, s3, v12
	v_mul_lo_u32 v14, v16, s6
	v_lshlrev_b16 v7, 8, v7
	v_or_b32_e32 v2, v2, v4
	v_lshlrev_b16 v10, 8, v10
	v_cndmask_b32_e64 v3, 0, 1, vcc_lo
	v_cmp_lt_u32_e32 vcc_lo, s3, v13
	v_or_b32_e32 v4, v5, v6
	v_or_b32_e32 v5, v9, v7
	v_sub_nc_u32_e32 v11, v11, v14
	v_or_b32_e32 v6, v8, v10
	v_cndmask_b32_e64 v12, 0, 1, vcc_lo
	v_and_b32_e32 v1, 0xffff, v1
	v_lshlrev_b32_e32 v2, 16, v2
	v_and_b32_e32 v4, 0xffff, v4
	v_lshlrev_b32_e32 v5, 16, v5
	v_lshlrev_b16 v12, 8, v12
	v_and_b32_e32 v6, 0xffff, v6
	v_cmp_lt_u32_e32 vcc_lo, s3, v11
	v_or_b32_e32 v42, v1, v2
	v_or_b32_e32 v40, v4, v5
	;; [unrolled: 1-line block ×3, first 2 shown]
	v_cndmask_b32_e64 v37, 0, 1, vcc_lo
	s_delay_alu instid0(VALU_DEP_2) | instskip(NEXT) | instid1(VALU_DEP_1)
	v_lshlrev_b32_e32 v3, 16, v3
	v_or_b32_e32 v38, v6, v3
	s_addk_i32 s11, 0xd00
	s_cbranch_execz .LBB63_11
	s_branch .LBB63_38
.LBB63_10:
                                        ; implicit-def: $vgpr37
                                        ; implicit-def: $vgpr38
                                        ; implicit-def: $vgpr40
                                        ; implicit-def: $vgpr42
	s_addk_i32 s11, 0xd00
.LBB63_11:
	v_dual_mov_b32 v2, 0 :: v_dual_mov_b32 v1, 0
	s_mov_b32 s0, exec_lo
	v_cmpx_gt_u32_e64 s11, v36
; %bb.12:
	v_add_nc_u32_e32 v1, s5, v30
	v_add_nc_u32_e32 v3, s7, v30
	s_delay_alu instid0(VALU_DEP_2) | instskip(NEXT) | instid1(VALU_DEP_2)
	v_mul_lo_u32 v1, v1, s4
	v_mul_lo_u32 v3, v3, s6
	s_delay_alu instid0(VALU_DEP_1) | instskip(NEXT) | instid1(VALU_DEP_1)
	v_sub_nc_u32_e32 v1, v1, v3
	v_cmp_lt_u32_e32 vcc_lo, s3, v1
	v_cndmask_b32_e64 v1, 0, 1, vcc_lo
; %bb.13:
	s_or_b32 exec_lo, exec_lo, s0
	v_add_nc_u32_e32 v3, 1, v36
	s_mov_b32 s0, exec_lo
	s_delay_alu instid0(VALU_DEP_1)
	v_cmpx_gt_u32_e64 s11, v3
; %bb.14:
	v_add_nc_u32_e32 v2, s5, v31
	v_add_nc_u32_e32 v3, s7, v31
	s_delay_alu instid0(VALU_DEP_2) | instskip(NEXT) | instid1(VALU_DEP_2)
	v_mul_lo_u32 v2, v2, s4
	v_mul_lo_u32 v3, v3, s6
	s_delay_alu instid0(VALU_DEP_1) | instskip(NEXT) | instid1(VALU_DEP_1)
	v_sub_nc_u32_e32 v2, v2, v3
	v_cmp_lt_u32_e32 vcc_lo, s3, v2
	v_cndmask_b32_e64 v2, 0, 1, vcc_lo
; %bb.15:
	s_or_b32 exec_lo, exec_lo, s0
	v_dual_mov_b32 v4, 0 :: v_dual_add_nc_u32 v3, 2, v36
	s_delay_alu instid0(VALU_DEP_1)
	v_cmp_gt_u32_e32 vcc_lo, s11, v3
	v_mov_b32_e32 v3, 0
	s_and_saveexec_b32 s0, vcc_lo
; %bb.16:
	v_add_nc_u32_e32 v3, s5, v28
	v_add_nc_u32_e32 v5, s7, v28
	s_delay_alu instid0(VALU_DEP_2) | instskip(NEXT) | instid1(VALU_DEP_2)
	v_mul_lo_u32 v3, v3, s4
	v_mul_lo_u32 v5, v5, s6
	s_delay_alu instid0(VALU_DEP_1) | instskip(NEXT) | instid1(VALU_DEP_1)
	v_sub_nc_u32_e32 v3, v3, v5
	v_cmp_lt_u32_e32 vcc_lo, s3, v3
	v_cndmask_b32_e64 v3, 0, 1, vcc_lo
; %bb.17:
	s_or_b32 exec_lo, exec_lo, s0
	v_add_nc_u32_e32 v5, 3, v36
	s_mov_b32 s0, exec_lo
	s_delay_alu instid0(VALU_DEP_1)
	v_cmpx_gt_u32_e64 s11, v5
; %bb.18:
	v_add_nc_u32_e32 v4, s5, v29
	v_add_nc_u32_e32 v5, s7, v29
	s_delay_alu instid0(VALU_DEP_2) | instskip(NEXT) | instid1(VALU_DEP_2)
	v_mul_lo_u32 v4, v4, s4
	v_mul_lo_u32 v5, v5, s6
	s_delay_alu instid0(VALU_DEP_1) | instskip(NEXT) | instid1(VALU_DEP_1)
	v_sub_nc_u32_e32 v4, v4, v5
	v_cmp_lt_u32_e32 vcc_lo, s3, v4
	v_cndmask_b32_e64 v4, 0, 1, vcc_lo
; %bb.19:
	s_or_b32 exec_lo, exec_lo, s0
	v_dual_mov_b32 v6, 0 :: v_dual_add_nc_u32 v5, 4, v36
	s_delay_alu instid0(VALU_DEP_1)
	v_cmp_gt_u32_e32 vcc_lo, s11, v5
	v_mov_b32_e32 v5, 0
	s_and_saveexec_b32 s0, vcc_lo
	;; [unrolled: 33-line block ×5, first 2 shown]
; %bb.32:
	v_add_nc_u32_e32 v11, s5, v20
	v_add_nc_u32_e32 v13, s7, v20
	s_delay_alu instid0(VALU_DEP_2) | instskip(NEXT) | instid1(VALU_DEP_2)
	v_mul_lo_u32 v11, v11, s4
	v_mul_lo_u32 v13, v13, s6
	s_delay_alu instid0(VALU_DEP_1) | instskip(NEXT) | instid1(VALU_DEP_1)
	v_sub_nc_u32_e32 v11, v11, v13
	v_cmp_lt_u32_e32 vcc_lo, s3, v11
	v_cndmask_b32_e64 v11, 0, 1, vcc_lo
; %bb.33:
	s_or_b32 exec_lo, exec_lo, s0
	v_add_nc_u32_e32 v13, 11, v36
	s_mov_b32 s0, exec_lo
	s_delay_alu instid0(VALU_DEP_1)
	v_cmpx_gt_u32_e64 s11, v13
; %bb.34:
	v_add_nc_u32_e32 v12, s5, v21
	v_add_nc_u32_e32 v13, s7, v21
	s_delay_alu instid0(VALU_DEP_2) | instskip(NEXT) | instid1(VALU_DEP_2)
	v_mul_lo_u32 v12, v12, s4
	v_mul_lo_u32 v13, v13, s6
	s_delay_alu instid0(VALU_DEP_1) | instskip(NEXT) | instid1(VALU_DEP_1)
	v_sub_nc_u32_e32 v12, v12, v13
	v_cmp_lt_u32_e32 vcc_lo, s3, v12
	v_cndmask_b32_e64 v12, 0, 1, vcc_lo
; %bb.35:
	s_or_b32 exec_lo, exec_lo, s0
	v_add_nc_u32_e32 v13, 12, v36
	v_mov_b32_e32 v37, 0
	s_mov_b32 s0, exec_lo
	s_delay_alu instid0(VALU_DEP_2)
	v_cmpx_gt_u32_e64 s11, v13
; %bb.36:
	v_add_nc_u32_e32 v13, s5, v35
	v_add_nc_u32_e32 v14, s7, v35
	s_delay_alu instid0(VALU_DEP_2) | instskip(NEXT) | instid1(VALU_DEP_2)
	v_mul_lo_u32 v13, v13, s4
	v_mul_lo_u32 v14, v14, s6
	s_delay_alu instid0(VALU_DEP_1) | instskip(NEXT) | instid1(VALU_DEP_1)
	v_sub_nc_u32_e32 v13, v13, v14
	v_cmp_lt_u32_e32 vcc_lo, s3, v13
	v_cndmask_b32_e64 v37, 0, 1, vcc_lo
; %bb.37:
	s_or_b32 exec_lo, exec_lo, s0
	v_lshlrev_b16 v2, 8, v2
	v_lshlrev_b16 v4, 8, v4
	;; [unrolled: 1-line block ×5, first 2 shown]
	v_or_b32_e32 v1, v1, v2
	v_lshlrev_b16 v2, 8, v12
	v_or_b32_e32 v3, v3, v4
	v_or_b32_e32 v4, v5, v6
	;; [unrolled: 1-line block ×5, first 2 shown]
	v_and_b32_e32 v1, 0xffff, v1
	v_lshlrev_b32_e32 v3, 16, v3
	v_and_b32_e32 v4, 0xffff, v4
	v_lshlrev_b32_e32 v5, 16, v5
	v_and_b32_e32 v6, 0xffff, v6
	v_lshlrev_b32_e32 v2, 16, v2
	v_or_b32_e32 v42, v1, v3
	s_delay_alu instid0(VALU_DEP_4) | instskip(NEXT) | instid1(VALU_DEP_3)
	v_or_b32_e32 v40, v4, v5
	v_or_b32_e32 v38, v6, v2
.LBB63_38:
	s_delay_alu instid0(VALU_DEP_3)
	v_and_b32_e32 v44, 0xff, v42
	v_bfe_u32 v45, v42, 8, 8
	v_bfe_u32 v46, v42, 16, 8
	v_lshrrev_b32_e32 v43, 24, v42
	v_and_b32_e32 v47, 0xff, v40
	v_bfe_u32 v48, v40, 8, 8
	v_bfe_u32 v49, v40, 16, 8
	v_add3_u32 v1, v45, v44, v46
	v_lshrrev_b32_e32 v41, 24, v40
	v_and_b32_e32 v50, 0xff, v38
	v_bfe_u32 v51, v38, 8, 8
	v_mbcnt_lo_u32_b32 v53, -1, 0
	v_add3_u32 v1, v1, v43, v47
	v_bfe_u32 v52, v38, 16, 8
	v_lshrrev_b32_e32 v39, 24, v38
	v_and_b32_e32 v2, 0xff, v37
	v_and_b32_e32 v3, 15, v53
	v_add3_u32 v1, v1, v48, v49
	v_or_b32_e32 v4, 31, v0
	v_and_b32_e32 v5, 16, v53
	v_lshrrev_b32_e32 v54, 5, v0
	v_cmp_eq_u32_e64 s6, 0, v3
	v_add3_u32 v1, v1, v41, v50
	v_cmp_lt_u32_e64 s5, 1, v3
	v_cmp_lt_u32_e64 s4, 3, v3
	;; [unrolled: 1-line block ×3, first 2 shown]
	v_cmp_eq_u32_e64 s1, 0, v5
	v_add3_u32 v1, v1, v51, v52
	v_cmp_eq_u32_e64 s0, v4, v0
	s_cmp_lg_u32 s20, 0
	s_mov_b32 s7, -1
	s_delay_alu instid0(VALU_DEP_2)
	v_add3_u32 v55, v1, v39, v2
	s_cbranch_scc0 .LBB63_69
; %bb.39:
	s_delay_alu instid0(VALU_DEP_1) | instskip(NEXT) | instid1(VALU_DEP_1)
	v_mov_b32_dpp v1, v55 row_shr:1 row_mask:0xf bank_mask:0xf
	v_cndmask_b32_e64 v1, v1, 0, s6
	s_delay_alu instid0(VALU_DEP_1) | instskip(NEXT) | instid1(VALU_DEP_1)
	v_add_nc_u32_e32 v1, v1, v55
	v_mov_b32_dpp v2, v1 row_shr:2 row_mask:0xf bank_mask:0xf
	s_delay_alu instid0(VALU_DEP_1) | instskip(NEXT) | instid1(VALU_DEP_1)
	v_cndmask_b32_e64 v2, 0, v2, s5
	v_add_nc_u32_e32 v1, v1, v2
	s_delay_alu instid0(VALU_DEP_1) | instskip(NEXT) | instid1(VALU_DEP_1)
	v_mov_b32_dpp v2, v1 row_shr:4 row_mask:0xf bank_mask:0xf
	v_cndmask_b32_e64 v2, 0, v2, s4
	s_delay_alu instid0(VALU_DEP_1) | instskip(NEXT) | instid1(VALU_DEP_1)
	v_add_nc_u32_e32 v1, v1, v2
	v_mov_b32_dpp v2, v1 row_shr:8 row_mask:0xf bank_mask:0xf
	s_delay_alu instid0(VALU_DEP_1) | instskip(NEXT) | instid1(VALU_DEP_1)
	v_cndmask_b32_e64 v2, 0, v2, s3
	v_add_nc_u32_e32 v1, v1, v2
	ds_swizzle_b32 v2, v1 offset:swizzle(BROADCAST,32,15)
	s_waitcnt lgkmcnt(0)
	v_cndmask_b32_e64 v2, v2, 0, s1
	s_delay_alu instid0(VALU_DEP_1)
	v_add_nc_u32_e32 v1, v1, v2
	s_and_saveexec_b32 s7, s0
	s_cbranch_execz .LBB63_41
; %bb.40:
	v_lshlrev_b32_e32 v2, 2, v54
	ds_store_b32 v2, v1
.LBB63_41:
	s_or_b32 exec_lo, exec_lo, s7
	s_delay_alu instid0(SALU_CYCLE_1)
	s_mov_b32 s7, exec_lo
	s_waitcnt lgkmcnt(0)
	s_barrier
	buffer_gl0_inv
	v_cmpx_gt_u32_e32 8, v0
	s_cbranch_execz .LBB63_43
; %bb.42:
	ds_load_b32 v2, v33
	s_waitcnt lgkmcnt(0)
	v_mov_b32_dpp v4, v2 row_shr:1 row_mask:0xf bank_mask:0xf
	v_and_b32_e32 v3, 7, v53
	s_delay_alu instid0(VALU_DEP_1) | instskip(NEXT) | instid1(VALU_DEP_3)
	v_cmp_ne_u32_e32 vcc_lo, 0, v3
	v_cndmask_b32_e32 v4, 0, v4, vcc_lo
	v_cmp_lt_u32_e32 vcc_lo, 1, v3
	s_delay_alu instid0(VALU_DEP_2) | instskip(NEXT) | instid1(VALU_DEP_1)
	v_add_nc_u32_e32 v2, v4, v2
	v_mov_b32_dpp v4, v2 row_shr:2 row_mask:0xf bank_mask:0xf
	s_delay_alu instid0(VALU_DEP_1) | instskip(SKIP_1) | instid1(VALU_DEP_2)
	v_cndmask_b32_e32 v4, 0, v4, vcc_lo
	v_cmp_lt_u32_e32 vcc_lo, 3, v3
	v_add_nc_u32_e32 v2, v2, v4
	s_delay_alu instid0(VALU_DEP_1) | instskip(NEXT) | instid1(VALU_DEP_1)
	v_mov_b32_dpp v4, v2 row_shr:4 row_mask:0xf bank_mask:0xf
	v_cndmask_b32_e32 v3, 0, v4, vcc_lo
	s_delay_alu instid0(VALU_DEP_1)
	v_add_nc_u32_e32 v2, v2, v3
	ds_store_b32 v33, v2
.LBB63_43:
	s_or_b32 exec_lo, exec_lo, s7
	v_cmp_gt_u32_e32 vcc_lo, 32, v0
	s_mov_b32 s21, exec_lo
	s_waitcnt lgkmcnt(0)
	s_barrier
	buffer_gl0_inv
                                        ; implicit-def: $vgpr8
	v_cmpx_lt_u32_e32 31, v0
	s_cbranch_execz .LBB63_45
; %bb.44:
	v_lshl_add_u32 v2, v54, 2, -4
	ds_load_b32 v8, v2
	s_waitcnt lgkmcnt(0)
	v_add_nc_u32_e32 v1, v8, v1
.LBB63_45:
	s_or_b32 exec_lo, exec_lo, s21
	v_add_nc_u32_e32 v2, -1, v53
	s_delay_alu instid0(VALU_DEP_1) | instskip(NEXT) | instid1(VALU_DEP_1)
	v_cmp_gt_i32_e64 s7, 0, v2
	v_cndmask_b32_e64 v2, v2, v53, s7
	v_cmp_eq_u32_e64 s7, 0, v53
	s_delay_alu instid0(VALU_DEP_2)
	v_lshlrev_b32_e32 v2, 2, v2
	ds_bpermute_b32 v9, v2, v1
	s_and_saveexec_b32 s21, vcc_lo
	s_cbranch_execz .LBB63_68
; %bb.46:
	v_mov_b32_e32 v4, 0
	ds_load_b32 v1, v4 offset:28
	s_and_saveexec_b32 s22, s7
	s_cbranch_execz .LBB63_48
; %bb.47:
	s_add_i32 s24, s20, 32
	s_mov_b32 s25, 0
	v_mov_b32_e32 v2, 1
	s_lshl_b64 s[24:25], s[24:25], 3
	s_delay_alu instid0(SALU_CYCLE_1)
	s_add_u32 s24, s18, s24
	s_addc_u32 s25, s19, s25
	s_waitcnt lgkmcnt(0)
	global_store_b64 v4, v[1:2], s[24:25]
.LBB63_48:
	s_or_b32 exec_lo, exec_lo, s22
	v_xad_u32 v2, v53, -1, s20
	s_mov_b32 s23, 0
	s_mov_b32 s22, exec_lo
	s_delay_alu instid0(VALU_DEP_1) | instskip(NEXT) | instid1(VALU_DEP_1)
	v_add_nc_u32_e32 v3, 32, v2
	v_lshlrev_b64 v[3:4], 3, v[3:4]
	s_delay_alu instid0(VALU_DEP_1) | instskip(NEXT) | instid1(VALU_DEP_2)
	v_add_co_u32 v6, vcc_lo, s18, v3
	v_add_co_ci_u32_e32 v7, vcc_lo, s19, v4, vcc_lo
	global_load_b64 v[4:5], v[6:7], off glc
	s_waitcnt vmcnt(0)
	v_and_b32_e32 v3, 0xff, v5
	s_delay_alu instid0(VALU_DEP_1)
	v_cmpx_eq_u16_e32 0, v3
	s_cbranch_execz .LBB63_54
; %bb.49:
	s_mov_b32 s24, 1
	.p2align	6
.LBB63_50:                              ; =>This Loop Header: Depth=1
                                        ;     Child Loop BB63_51 Depth 2
	s_delay_alu instid0(SALU_CYCLE_1)
	s_max_u32 s25, s24, 1
.LBB63_51:                              ;   Parent Loop BB63_50 Depth=1
                                        ; =>  This Inner Loop Header: Depth=2
	s_delay_alu instid0(SALU_CYCLE_1)
	s_add_i32 s25, s25, -1
	s_sleep 1
	s_cmp_eq_u32 s25, 0
	s_cbranch_scc0 .LBB63_51
; %bb.52:                               ;   in Loop: Header=BB63_50 Depth=1
	global_load_b64 v[4:5], v[6:7], off glc
	s_cmp_lt_u32 s24, 32
	s_cselect_b32 s25, -1, 0
	s_delay_alu instid0(SALU_CYCLE_1) | instskip(SKIP_3) | instid1(VALU_DEP_1)
	s_cmp_lg_u32 s25, 0
	s_addc_u32 s24, s24, 0
	s_waitcnt vmcnt(0)
	v_and_b32_e32 v3, 0xff, v5
	v_cmp_ne_u16_e32 vcc_lo, 0, v3
	s_or_b32 s23, vcc_lo, s23
	s_delay_alu instid0(SALU_CYCLE_1)
	s_and_not1_b32 exec_lo, exec_lo, s23
	s_cbranch_execnz .LBB63_50
; %bb.53:
	s_or_b32 exec_lo, exec_lo, s23
.LBB63_54:
	s_delay_alu instid0(SALU_CYCLE_1)
	s_or_b32 exec_lo, exec_lo, s22
	v_cmp_ne_u32_e32 vcc_lo, 31, v53
	v_lshlrev_b32_e64 v11, v53, -1
	v_add_nc_u32_e32 v13, 2, v53
	v_add_nc_u32_e32 v15, 4, v53
	;; [unrolled: 1-line block ×3, first 2 shown]
	v_add_co_ci_u32_e32 v3, vcc_lo, 0, v53, vcc_lo
	v_add_nc_u32_e32 v58, 16, v53
	s_delay_alu instid0(VALU_DEP_2) | instskip(SKIP_2) | instid1(VALU_DEP_1)
	v_lshlrev_b32_e32 v10, 2, v3
	ds_bpermute_b32 v6, v10, v4
	v_and_b32_e32 v3, 0xff, v5
	v_cmp_eq_u16_e32 vcc_lo, 2, v3
	v_and_or_b32 v3, vcc_lo, v11, 0x80000000
	v_cmp_gt_u32_e32 vcc_lo, 30, v53
	s_delay_alu instid0(VALU_DEP_2) | instskip(SKIP_1) | instid1(VALU_DEP_2)
	v_ctz_i32_b32_e32 v3, v3
	v_cndmask_b32_e64 v7, 0, 1, vcc_lo
	v_cmp_lt_u32_e32 vcc_lo, v53, v3
	s_waitcnt lgkmcnt(0)
	s_delay_alu instid0(VALU_DEP_2) | instskip(NEXT) | instid1(VALU_DEP_1)
	v_dual_cndmask_b32 v6, 0, v6 :: v_dual_lshlrev_b32 v7, 1, v7
	v_add_lshl_u32 v12, v7, v53, 2
	v_cmp_gt_u32_e32 vcc_lo, 28, v53
	s_delay_alu instid0(VALU_DEP_3) | instskip(SKIP_4) | instid1(VALU_DEP_1)
	v_add_nc_u32_e32 v4, v6, v4
	v_cndmask_b32_e64 v7, 0, 1, vcc_lo
	v_cmp_le_u32_e32 vcc_lo, v13, v3
	ds_bpermute_b32 v6, v12, v4
	v_lshlrev_b32_e32 v7, 2, v7
	v_add_lshl_u32 v14, v7, v53, 2
	s_waitcnt lgkmcnt(0)
	v_cndmask_b32_e32 v6, 0, v6, vcc_lo
	v_cmp_gt_u32_e32 vcc_lo, 24, v53
	s_delay_alu instid0(VALU_DEP_2) | instskip(SKIP_4) | instid1(VALU_DEP_1)
	v_add_nc_u32_e32 v4, v4, v6
	v_cndmask_b32_e64 v7, 0, 1, vcc_lo
	v_cmp_le_u32_e32 vcc_lo, v15, v3
	ds_bpermute_b32 v6, v14, v4
	v_lshlrev_b32_e32 v7, 3, v7
	v_add_lshl_u32 v17, v7, v53, 2
	s_waitcnt lgkmcnt(0)
	v_cndmask_b32_e32 v6, 0, v6, vcc_lo
	v_cmp_gt_u32_e32 vcc_lo, 16, v53
	s_delay_alu instid0(VALU_DEP_2) | instskip(SKIP_4) | instid1(VALU_DEP_1)
	v_add_nc_u32_e32 v4, v4, v6
	v_cndmask_b32_e64 v7, 0, 1, vcc_lo
	v_cmp_le_u32_e32 vcc_lo, v56, v3
	ds_bpermute_b32 v6, v17, v4
	v_lshlrev_b32_e32 v7, 4, v7
	v_add_lshl_u32 v57, v7, v53, 2
	s_waitcnt lgkmcnt(0)
	v_cndmask_b32_e32 v6, 0, v6, vcc_lo
	v_cmp_le_u32_e32 vcc_lo, v58, v3
	s_delay_alu instid0(VALU_DEP_2) | instskip(SKIP_3) | instid1(VALU_DEP_1)
	v_add_nc_u32_e32 v4, v4, v6
	ds_bpermute_b32 v6, v57, v4
	s_waitcnt lgkmcnt(0)
	v_cndmask_b32_e32 v3, 0, v6, vcc_lo
	v_dual_mov_b32 v3, 0 :: v_dual_add_nc_u32 v4, v4, v3
	s_branch .LBB63_56
.LBB63_55:                              ;   in Loop: Header=BB63_56 Depth=1
	s_or_b32 exec_lo, exec_lo, s22
	ds_bpermute_b32 v7, v10, v4
	v_and_b32_e32 v6, 0xff, v5
	v_subrev_nc_u32_e32 v2, 32, v2
	s_delay_alu instid0(VALU_DEP_2) | instskip(SKIP_1) | instid1(VALU_DEP_1)
	v_cmp_eq_u16_e32 vcc_lo, 2, v6
	v_and_or_b32 v6, vcc_lo, v11, 0x80000000
	v_ctz_i32_b32_e32 v6, v6
	s_delay_alu instid0(VALU_DEP_1) | instskip(SKIP_3) | instid1(VALU_DEP_2)
	v_cmp_lt_u32_e32 vcc_lo, v53, v6
	s_waitcnt lgkmcnt(0)
	v_cndmask_b32_e32 v7, 0, v7, vcc_lo
	v_cmp_le_u32_e32 vcc_lo, v13, v6
	v_add_nc_u32_e32 v4, v7, v4
	ds_bpermute_b32 v7, v12, v4
	s_waitcnt lgkmcnt(0)
	v_cndmask_b32_e32 v7, 0, v7, vcc_lo
	v_cmp_le_u32_e32 vcc_lo, v15, v6
	s_delay_alu instid0(VALU_DEP_2) | instskip(SKIP_4) | instid1(VALU_DEP_2)
	v_add_nc_u32_e32 v4, v4, v7
	ds_bpermute_b32 v7, v14, v4
	s_waitcnt lgkmcnt(0)
	v_cndmask_b32_e32 v7, 0, v7, vcc_lo
	v_cmp_le_u32_e32 vcc_lo, v56, v6
	v_add_nc_u32_e32 v4, v4, v7
	ds_bpermute_b32 v7, v17, v4
	s_waitcnt lgkmcnt(0)
	v_cndmask_b32_e32 v7, 0, v7, vcc_lo
	v_cmp_le_u32_e32 vcc_lo, v58, v6
	s_delay_alu instid0(VALU_DEP_2) | instskip(SKIP_3) | instid1(VALU_DEP_1)
	v_add_nc_u32_e32 v4, v4, v7
	ds_bpermute_b32 v7, v57, v4
	s_waitcnt lgkmcnt(0)
	v_cndmask_b32_e32 v6, 0, v7, vcc_lo
	v_add3_u32 v4, v6, v16, v4
.LBB63_56:                              ; =>This Loop Header: Depth=1
                                        ;     Child Loop BB63_59 Depth 2
                                        ;       Child Loop BB63_60 Depth 3
	s_delay_alu instid0(VALU_DEP_1) | instskip(NEXT) | instid1(VALU_DEP_1)
	v_dual_mov_b32 v16, v4 :: v_dual_and_b32 v5, 0xff, v5
	v_cmp_ne_u16_e32 vcc_lo, 2, v5
	v_cndmask_b32_e64 v5, 0, 1, vcc_lo
	;;#ASMSTART
	;;#ASMEND
	s_delay_alu instid0(VALU_DEP_1)
	v_cmp_ne_u32_e32 vcc_lo, 0, v5
	s_cmp_lg_u32 vcc_lo, exec_lo
	s_cbranch_scc1 .LBB63_63
; %bb.57:                               ;   in Loop: Header=BB63_56 Depth=1
	v_lshlrev_b64 v[4:5], 3, v[2:3]
	s_mov_b32 s22, exec_lo
	s_delay_alu instid0(VALU_DEP_1) | instskip(NEXT) | instid1(VALU_DEP_2)
	v_add_co_u32 v6, vcc_lo, s18, v4
	v_add_co_ci_u32_e32 v7, vcc_lo, s19, v5, vcc_lo
	global_load_b64 v[4:5], v[6:7], off glc
	s_waitcnt vmcnt(0)
	v_and_b32_e32 v59, 0xff, v5
	s_delay_alu instid0(VALU_DEP_1)
	v_cmpx_eq_u16_e32 0, v59
	s_cbranch_execz .LBB63_55
; %bb.58:                               ;   in Loop: Header=BB63_56 Depth=1
	s_mov_b32 s24, 1
	s_mov_b32 s23, 0
	.p2align	6
.LBB63_59:                              ;   Parent Loop BB63_56 Depth=1
                                        ; =>  This Loop Header: Depth=2
                                        ;       Child Loop BB63_60 Depth 3
	s_max_u32 s25, s24, 1
.LBB63_60:                              ;   Parent Loop BB63_56 Depth=1
                                        ;     Parent Loop BB63_59 Depth=2
                                        ; =>    This Inner Loop Header: Depth=3
	s_delay_alu instid0(SALU_CYCLE_1)
	s_add_i32 s25, s25, -1
	s_sleep 1
	s_cmp_eq_u32 s25, 0
	s_cbranch_scc0 .LBB63_60
; %bb.61:                               ;   in Loop: Header=BB63_59 Depth=2
	global_load_b64 v[4:5], v[6:7], off glc
	s_cmp_lt_u32 s24, 32
	s_cselect_b32 s25, -1, 0
	s_delay_alu instid0(SALU_CYCLE_1) | instskip(SKIP_3) | instid1(VALU_DEP_1)
	s_cmp_lg_u32 s25, 0
	s_addc_u32 s24, s24, 0
	s_waitcnt vmcnt(0)
	v_and_b32_e32 v59, 0xff, v5
	v_cmp_ne_u16_e32 vcc_lo, 0, v59
	s_or_b32 s23, vcc_lo, s23
	s_delay_alu instid0(SALU_CYCLE_1)
	s_and_not1_b32 exec_lo, exec_lo, s23
	s_cbranch_execnz .LBB63_59
; %bb.62:                               ;   in Loop: Header=BB63_56 Depth=1
	s_or_b32 exec_lo, exec_lo, s23
	s_branch .LBB63_55
.LBB63_63:                              ;   in Loop: Header=BB63_56 Depth=1
                                        ; implicit-def: $vgpr4
                                        ; implicit-def: $vgpr5
	s_cbranch_execz .LBB63_56
; %bb.64:
	s_and_saveexec_b32 s22, s7
	s_cbranch_execz .LBB63_66
; %bb.65:
	s_add_i32 s24, s20, 32
	s_mov_b32 s25, 0
	v_dual_mov_b32 v3, 2 :: v_dual_add_nc_u32 v2, v16, v1
	s_lshl_b64 s[24:25], s[24:25], 3
	v_mov_b32_e32 v4, 0
	v_add_nc_u32_e64 v5, 0x3400, 0
	s_add_u32 s24, s18, s24
	s_addc_u32 s25, s19, s25
	global_store_b64 v4, v[2:3], s[24:25]
	ds_store_2addr_b32 v5, v1, v16 offset1:2
.LBB63_66:
	s_or_b32 exec_lo, exec_lo, s22
	s_delay_alu instid0(SALU_CYCLE_1)
	s_and_b32 exec_lo, exec_lo, s2
	s_cbranch_execz .LBB63_68
; %bb.67:
	v_mov_b32_e32 v1, 0
	ds_store_b32 v1, v16 offset:28
.LBB63_68:
	s_or_b32 exec_lo, exec_lo, s21
	v_mov_b32_e32 v1, 0
	s_waitcnt lgkmcnt(0)
	s_waitcnt_vscnt null, 0x0
	s_barrier
	buffer_gl0_inv
	v_cndmask_b32_e64 v2, v9, v8, s7
	ds_load_b32 v1, v1 offset:28
	v_add_nc_u32_e64 v11, 0x3400, 0
	s_waitcnt lgkmcnt(0)
	s_barrier
	v_cndmask_b32_e64 v2, v2, 0, s2
	buffer_gl0_inv
	ds_load_2addr_b32 v[16:17], v11 offset1:2
	v_add_nc_u32_e32 v1, v1, v2
	s_delay_alu instid0(VALU_DEP_1) | instskip(NEXT) | instid1(VALU_DEP_1)
	v_add_nc_u32_e32 v2, v1, v44
	v_add_nc_u32_e32 v3, v2, v45
	s_delay_alu instid0(VALU_DEP_1) | instskip(NEXT) | instid1(VALU_DEP_1)
	v_add_nc_u32_e32 v4, v3, v46
	;; [unrolled: 3-line block ×6, first 2 shown]
	v_add_nc_u32_e32 v13, v12, v39
	s_branch .LBB63_79
.LBB63_69:
                                        ; implicit-def: $vgpr17
                                        ; implicit-def: $vgpr1_vgpr2_vgpr3_vgpr4_vgpr5_vgpr6_vgpr7_vgpr8_vgpr9_vgpr10_vgpr11_vgpr12_vgpr13_vgpr14_vgpr15_vgpr16
	s_and_b32 vcc_lo, exec_lo, s7
	s_cbranch_vccz .LBB63_79
; %bb.70:
	s_delay_alu instid0(VALU_DEP_1) | instskip(NEXT) | instid1(VALU_DEP_1)
	v_mov_b32_dpp v1, v55 row_shr:1 row_mask:0xf bank_mask:0xf
	v_cndmask_b32_e64 v1, v1, 0, s6
	s_delay_alu instid0(VALU_DEP_1) | instskip(NEXT) | instid1(VALU_DEP_1)
	v_add_nc_u32_e32 v1, v1, v55
	v_mov_b32_dpp v2, v1 row_shr:2 row_mask:0xf bank_mask:0xf
	s_delay_alu instid0(VALU_DEP_1) | instskip(NEXT) | instid1(VALU_DEP_1)
	v_cndmask_b32_e64 v2, 0, v2, s5
	v_add_nc_u32_e32 v1, v1, v2
	s_delay_alu instid0(VALU_DEP_1) | instskip(NEXT) | instid1(VALU_DEP_1)
	v_mov_b32_dpp v2, v1 row_shr:4 row_mask:0xf bank_mask:0xf
	v_cndmask_b32_e64 v2, 0, v2, s4
	s_delay_alu instid0(VALU_DEP_1) | instskip(NEXT) | instid1(VALU_DEP_1)
	v_add_nc_u32_e32 v1, v1, v2
	v_mov_b32_dpp v2, v1 row_shr:8 row_mask:0xf bank_mask:0xf
	s_delay_alu instid0(VALU_DEP_1) | instskip(NEXT) | instid1(VALU_DEP_1)
	v_cndmask_b32_e64 v2, 0, v2, s3
	v_add_nc_u32_e32 v1, v1, v2
	ds_swizzle_b32 v2, v1 offset:swizzle(BROADCAST,32,15)
	s_waitcnt lgkmcnt(0)
	v_cndmask_b32_e64 v2, v2, 0, s1
	s_delay_alu instid0(VALU_DEP_1)
	v_add_nc_u32_e32 v1, v1, v2
	s_and_saveexec_b32 s1, s0
	s_cbranch_execz .LBB63_72
; %bb.71:
	v_lshlrev_b32_e32 v2, 2, v54
	ds_store_b32 v2, v1
.LBB63_72:
	s_or_b32 exec_lo, exec_lo, s1
	s_delay_alu instid0(SALU_CYCLE_1)
	s_mov_b32 s0, exec_lo
	s_waitcnt lgkmcnt(0)
	s_barrier
	buffer_gl0_inv
	v_cmpx_gt_u32_e32 8, v0
	s_cbranch_execz .LBB63_74
; %bb.73:
	ds_load_b32 v2, v33
	s_waitcnt lgkmcnt(0)
	v_mov_b32_dpp v4, v2 row_shr:1 row_mask:0xf bank_mask:0xf
	v_and_b32_e32 v3, 7, v53
	s_delay_alu instid0(VALU_DEP_1) | instskip(NEXT) | instid1(VALU_DEP_3)
	v_cmp_ne_u32_e32 vcc_lo, 0, v3
	v_cndmask_b32_e32 v4, 0, v4, vcc_lo
	v_cmp_lt_u32_e32 vcc_lo, 1, v3
	s_delay_alu instid0(VALU_DEP_2) | instskip(NEXT) | instid1(VALU_DEP_1)
	v_add_nc_u32_e32 v2, v4, v2
	v_mov_b32_dpp v4, v2 row_shr:2 row_mask:0xf bank_mask:0xf
	s_delay_alu instid0(VALU_DEP_1) | instskip(SKIP_1) | instid1(VALU_DEP_2)
	v_cndmask_b32_e32 v4, 0, v4, vcc_lo
	v_cmp_lt_u32_e32 vcc_lo, 3, v3
	v_add_nc_u32_e32 v2, v2, v4
	s_delay_alu instid0(VALU_DEP_1) | instskip(NEXT) | instid1(VALU_DEP_1)
	v_mov_b32_dpp v4, v2 row_shr:4 row_mask:0xf bank_mask:0xf
	v_cndmask_b32_e32 v3, 0, v4, vcc_lo
	s_delay_alu instid0(VALU_DEP_1)
	v_add_nc_u32_e32 v2, v2, v3
	ds_store_b32 v33, v2
.LBB63_74:
	s_or_b32 exec_lo, exec_lo, s0
	v_dual_mov_b32 v3, 0 :: v_dual_mov_b32 v2, 0
	s_mov_b32 s0, exec_lo
	s_waitcnt lgkmcnt(0)
	s_barrier
	buffer_gl0_inv
	v_cmpx_lt_u32_e32 31, v0
	s_cbranch_execz .LBB63_76
; %bb.75:
	v_lshl_add_u32 v2, v54, 2, -4
	ds_load_b32 v2, v2
.LBB63_76:
	s_or_b32 exec_lo, exec_lo, s0
	v_add_nc_u32_e32 v4, -1, v53
	s_waitcnt lgkmcnt(0)
	v_add_nc_u32_e32 v1, v2, v1
	ds_load_b32 v16, v3 offset:28
	v_cmp_gt_i32_e32 vcc_lo, 0, v4
	v_cndmask_b32_e32 v4, v4, v53, vcc_lo
	s_delay_alu instid0(VALU_DEP_1)
	v_lshlrev_b32_e32 v4, 2, v4
	ds_bpermute_b32 v1, v4, v1
	s_and_saveexec_b32 s0, s2
	s_cbranch_execz .LBB63_78
; %bb.77:
	v_mov_b32_e32 v3, 0
	v_mov_b32_e32 v17, 2
	s_waitcnt lgkmcnt(1)
	global_store_b64 v3, v[16:17], s[18:19] offset:256
.LBB63_78:
	s_or_b32 exec_lo, exec_lo, s0
	v_cmp_eq_u32_e32 vcc_lo, 0, v53
	s_waitcnt lgkmcnt(0)
	s_waitcnt_vscnt null, 0x0
	s_barrier
	buffer_gl0_inv
	v_mov_b32_e32 v17, 0
	v_cndmask_b32_e32 v1, v1, v2, vcc_lo
	s_delay_alu instid0(VALU_DEP_1) | instskip(NEXT) | instid1(VALU_DEP_1)
	v_cndmask_b32_e64 v1, v1, 0, s2
	v_add_nc_u32_e32 v2, v1, v44
	s_delay_alu instid0(VALU_DEP_1) | instskip(NEXT) | instid1(VALU_DEP_1)
	v_add_nc_u32_e32 v3, v2, v45
	v_add_nc_u32_e32 v4, v3, v46
	s_delay_alu instid0(VALU_DEP_1) | instskip(NEXT) | instid1(VALU_DEP_1)
	v_add_nc_u32_e32 v5, v4, v43
	;; [unrolled: 3-line block ×5, first 2 shown]
	v_add_nc_u32_e32 v12, v11, v52
	s_delay_alu instid0(VALU_DEP_1)
	v_add_nc_u32_e32 v13, v12, v39
.LBB63_79:
	s_waitcnt lgkmcnt(0)
	v_sub_nc_u32_e32 v1, v1, v17
	v_sub_nc_u32_e32 v2, v2, v17
	v_add_nc_u32_e32 v36, v16, v36
	v_lshrrev_b32_e32 v47, 8, v42
	v_lshrrev_b32_e32 v46, 16, v42
	v_sub_nc_u32_e32 v4, v4, v17
	v_sub_nc_u32_e32 v3, v3, v17
	;; [unrolled: 1-line block ×3, first 2 shown]
	v_and_b32_e32 v42, 1, v42
	v_and_b32_e32 v47, 1, v47
	;; [unrolled: 1-line block ×3, first 2 shown]
	v_lshrrev_b32_e32 v45, 8, v40
	v_lshrrev_b32_e32 v44, 16, v40
	v_cmp_eq_u32_e32 vcc_lo, 1, v42
	v_and_b32_e32 v42, 1, v46
	v_sub_nc_u32_e32 v46, v36, v2
	v_lshrrev_b32_e32 v15, 8, v38
	v_lshrrev_b32_e32 v14, 16, v38
	v_cndmask_b32_e32 v1, v48, v1, vcc_lo
	v_cmp_eq_u32_e32 vcc_lo, 1, v47
	v_add_nc_u32_e32 v46, 1, v46
	s_delay_alu instid0(VALU_DEP_3)
	v_lshlrev_b32_e32 v1, 2, v1
	ds_store_b32 v1, v30
	v_cndmask_b32_e32 v1, v46, v2, vcc_lo
	v_sub_nc_u32_e32 v48, v36, v3
	v_sub_nc_u32_e32 v49, v36, v4
	v_cmp_eq_u32_e32 vcc_lo, 1, v42
	v_or_b32_e32 v30, 0x300, v0
	v_lshlrev_b32_e32 v1, 2, v1
	v_add_nc_u32_e32 v48, 2, v48
	v_add_nc_u32_e32 v49, 3, v49
	ds_store_b32 v1, v31
	v_cndmask_b32_e32 v2, v48, v3, vcc_lo
	v_cmp_eq_u32_e32 vcc_lo, 1, v43
	v_or_b32_e32 v31, 0x200, v0
	s_delay_alu instid0(VALU_DEP_3) | instskip(SKIP_2) | instid1(VALU_DEP_3)
	v_dual_cndmask_b32 v3, v49, v4 :: v_dual_lshlrev_b32 v2, 2, v2
	v_sub_nc_u32_e32 v4, v5, v17
	v_sub_nc_u32_e32 v5, v6, v17
	v_lshlrev_b32_e32 v3, 2, v3
	s_delay_alu instid0(VALU_DEP_3) | instskip(NEXT) | instid1(VALU_DEP_3)
	v_sub_nc_u32_e32 v1, v36, v4
	v_sub_nc_u32_e32 v6, v36, v5
	ds_store_b32 v2, v28
	ds_store_b32 v3, v29
	v_and_b32_e32 v2, 1, v40
	v_add_nc_u32_e32 v1, 4, v1
	v_add_nc_u32_e32 v3, 5, v6
	v_sub_nc_u32_e32 v6, v7, v17
	v_and_b32_e32 v7, 1, v45
	v_cmp_eq_u32_e32 vcc_lo, 1, v2
	v_sub_nc_u32_e32 v2, v8, v17
	v_and_b32_e32 v8, 1, v41
	v_or_b32_e32 v29, 0x400, v0
	v_or_b32_e32 v28, 0x500, v0
	v_cndmask_b32_e32 v1, v1, v4, vcc_lo
	v_sub_nc_u32_e32 v4, v36, v6
	v_cmp_eq_u32_e32 vcc_lo, 1, v7
	v_and_b32_e32 v7, 1, v44
	s_delay_alu instid0(VALU_DEP_4) | instskip(NEXT) | instid1(VALU_DEP_4)
	v_lshlrev_b32_e32 v1, 2, v1
	v_dual_cndmask_b32 v3, v3, v5 :: v_dual_add_nc_u32 v4, 6, v4
	v_sub_nc_u32_e32 v5, v36, v2
	s_delay_alu instid0(VALU_DEP_4) | instskip(SKIP_2) | instid1(VALU_DEP_4)
	v_cmp_eq_u32_e32 vcc_lo, 1, v7
	v_sub_nc_u32_e32 v7, v13, v17
	v_add_co_u32 v13, s0, s16, v32
	v_dual_cndmask_b32 v4, v4, v6 :: v_dual_add_nc_u32 v5, 7, v5
	v_cmp_eq_u32_e32 vcc_lo, 1, v8
	v_sub_nc_u32_e32 v6, v9, v17
	v_lshlrev_b32_e32 v3, 2, v3
	ds_store_b32 v1, v26
	ds_store_b32 v3, v27
	v_cndmask_b32_e32 v2, v5, v2, vcc_lo
	v_sub_nc_u32_e32 v1, v36, v6
	v_lshlrev_b32_e32 v3, 2, v4
	v_and_b32_e32 v5, 1, v38
	v_sub_nc_u32_e32 v4, v10, v17
	v_lshlrev_b32_e32 v2, 2, v2
	v_add_nc_u32_e32 v1, 8, v1
	ds_store_b32 v3, v24
	ds_store_b32 v2, v25
	v_cmp_eq_u32_e32 vcc_lo, 1, v5
	v_sub_nc_u32_e32 v3, v11, v17
	v_sub_nc_u32_e32 v2, v36, v4
	;; [unrolled: 1-line block ×3, first 2 shown]
	v_dual_cndmask_b32 v1, v1, v6 :: v_dual_and_b32 v10, 1, v39
	v_and_b32_e32 v6, 1, v15
	v_sub_nc_u32_e32 v8, v36, v3
	v_add_nc_u32_e32 v2, 9, v2
	v_sub_nc_u32_e32 v9, v36, v5
	v_and_b32_e32 v11, 1, v37
	v_cmp_eq_u32_e32 vcc_lo, 1, v6
	v_add_nc_u32_e32 v6, 10, v8
	v_and_b32_e32 v8, 1, v14
	v_add_nc_u32_e32 v9, 11, v9
	v_dual_cndmask_b32 v2, v2, v4 :: v_dual_lshlrev_b32 v1, 2, v1
	v_sub_nc_u32_e32 v4, v36, v7
	s_delay_alu instid0(VALU_DEP_4) | instskip(SKIP_1) | instid1(VALU_DEP_4)
	v_cmp_eq_u32_e32 vcc_lo, 1, v8
	v_add_co_ci_u32_e64 v14, null, s17, 0, s0
	v_lshlrev_b32_e32 v2, 2, v2
	s_delay_alu instid0(VALU_DEP_4)
	v_dual_cndmask_b32 v3, v6, v3 :: v_dual_add_nc_u32 v4, 12, v4
	v_cmp_eq_u32_e32 vcc_lo, 1, v10
	v_or_b32_e32 v27, 0x600, v0
	v_or_b32_e32 v26, 0x700, v0
	;; [unrolled: 1-line block ×3, first 2 shown]
	v_lshlrev_b32_e32 v3, 2, v3
	v_cndmask_b32_e32 v5, v9, v5, vcc_lo
	v_cmp_eq_u32_e32 vcc_lo, 1, v11
	v_or_b32_e32 v24, 0x900, v0
	s_delay_alu instid0(VALU_DEP_3) | instskip(SKIP_2) | instid1(VALU_DEP_3)
	v_dual_cndmask_b32 v4, v4, v7 :: v_dual_lshlrev_b32 v5, 2, v5
	v_sub_co_u32 v13, vcc_lo, s14, v13
	v_sub_co_ci_u32_e32 v14, vcc_lo, s15, v14, vcc_lo
	v_lshlrev_b32_e32 v4, 2, v4
	ds_store_b32 v1, v22
	ds_store_b32 v2, v23
	;; [unrolled: 1-line block ×5, first 2 shown]
	s_waitcnt lgkmcnt(0)
	s_barrier
	buffer_gl0_inv
	ds_load_2addr_stride64_b32 v[11:12], v33 offset1:4
	ds_load_2addr_stride64_b32 v[9:10], v33 offset0:8 offset1:12
	ds_load_2addr_stride64_b32 v[7:8], v33 offset0:16 offset1:20
	ds_load_2addr_stride64_b32 v[5:6], v33 offset0:24 offset1:28
	ds_load_2addr_stride64_b32 v[3:4], v33 offset0:32 offset1:36
	ds_load_2addr_stride64_b32 v[1:2], v33 offset0:40 offset1:44
	ds_load_b32 v20, v33 offset:12288
	v_add_co_u32 v15, vcc_lo, v18, v17
	v_add_co_ci_u32_e32 v17, vcc_lo, 0, v19, vcc_lo
	v_add_co_u32 v13, vcc_lo, v13, v16
	v_add_co_ci_u32_e32 v14, vcc_lo, 0, v14, vcc_lo
	v_cmp_ne_u32_e32 vcc_lo, 1, v34
	s_delay_alu instid0(VALU_DEP_3)
	v_add_co_u32 v18, s0, v13, v15
	v_or_b32_e32 v35, 0x100, v0
	v_or_b32_e32 v23, 0xa00, v0
	;; [unrolled: 1-line block ×4, first 2 shown]
	v_add_co_ci_u32_e64 v19, s0, v14, v17, s0
	s_mov_b32 s0, 0
	s_cbranch_vccnz .LBB63_136
; %bb.80:
	s_mov_b32 s0, exec_lo
                                        ; implicit-def: $vgpr13_vgpr14
	v_cmpx_ge_u32_e64 v0, v16
	s_xor_b32 s0, exec_lo, s0
; %bb.81:
	v_not_b32_e32 v13, v0
	s_delay_alu instid0(VALU_DEP_1) | instskip(SKIP_1) | instid1(VALU_DEP_2)
	v_ashrrev_i32_e32 v14, 31, v13
	v_add_co_u32 v13, vcc_lo, v18, v13
	v_add_co_ci_u32_e32 v14, vcc_lo, v19, v14, vcc_lo
; %bb.82:
	s_and_not1_saveexec_b32 s0, s0
; %bb.83:
	v_add_co_u32 v13, vcc_lo, v15, v0
	v_add_co_ci_u32_e32 v14, vcc_lo, 0, v17, vcc_lo
; %bb.84:
	s_or_b32 exec_lo, exec_lo, s0
	s_delay_alu instid0(VALU_DEP_1) | instskip(SKIP_1) | instid1(VALU_DEP_1)
	v_lshlrev_b64 v[13:14], 2, v[13:14]
	s_mov_b32 s0, exec_lo
	v_add_co_u32 v13, vcc_lo, s12, v13
	s_delay_alu instid0(VALU_DEP_2)
	v_add_co_ci_u32_e32 v14, vcc_lo, s13, v14, vcc_lo
	s_waitcnt lgkmcnt(6)
	global_store_b32 v[13:14], v11, off
                                        ; implicit-def: $vgpr13_vgpr14
	v_cmpx_ge_u32_e64 v35, v16
	s_xor_b32 s0, exec_lo, s0
; %bb.85:
	v_xor_b32_e32 v13, 0xfffffeff, v0
	s_delay_alu instid0(VALU_DEP_1) | instskip(SKIP_1) | instid1(VALU_DEP_2)
	v_ashrrev_i32_e32 v14, 31, v13
	v_add_co_u32 v13, vcc_lo, v18, v13
	v_add_co_ci_u32_e32 v14, vcc_lo, v19, v14, vcc_lo
; %bb.86:
	s_and_not1_saveexec_b32 s0, s0
; %bb.87:
	v_add_co_u32 v13, vcc_lo, v15, v35
	v_add_co_ci_u32_e32 v14, vcc_lo, 0, v17, vcc_lo
; %bb.88:
	s_or_b32 exec_lo, exec_lo, s0
	s_delay_alu instid0(VALU_DEP_1) | instskip(SKIP_1) | instid1(VALU_DEP_1)
	v_lshlrev_b64 v[13:14], 2, v[13:14]
	s_mov_b32 s0, exec_lo
	v_add_co_u32 v13, vcc_lo, s12, v13
	s_delay_alu instid0(VALU_DEP_2)
	v_add_co_ci_u32_e32 v14, vcc_lo, s13, v14, vcc_lo
	global_store_b32 v[13:14], v12, off
                                        ; implicit-def: $vgpr13_vgpr14
	v_cmpx_ge_u32_e64 v31, v16
	s_xor_b32 s0, exec_lo, s0
; %bb.89:
	v_xor_b32_e32 v13, 0xfffffdff, v0
	s_delay_alu instid0(VALU_DEP_1) | instskip(SKIP_1) | instid1(VALU_DEP_2)
	v_ashrrev_i32_e32 v14, 31, v13
	v_add_co_u32 v13, vcc_lo, v18, v13
	v_add_co_ci_u32_e32 v14, vcc_lo, v19, v14, vcc_lo
; %bb.90:
	s_and_not1_saveexec_b32 s0, s0
; %bb.91:
	v_add_co_u32 v13, vcc_lo, v15, v31
	v_add_co_ci_u32_e32 v14, vcc_lo, 0, v17, vcc_lo
; %bb.92:
	s_or_b32 exec_lo, exec_lo, s0
	s_delay_alu instid0(VALU_DEP_1) | instskip(SKIP_1) | instid1(VALU_DEP_1)
	v_lshlrev_b64 v[13:14], 2, v[13:14]
	s_mov_b32 s0, exec_lo
	v_add_co_u32 v13, vcc_lo, s12, v13
	s_delay_alu instid0(VALU_DEP_2)
	v_add_co_ci_u32_e32 v14, vcc_lo, s13, v14, vcc_lo
	s_waitcnt lgkmcnt(5)
	global_store_b32 v[13:14], v9, off
                                        ; implicit-def: $vgpr13_vgpr14
	v_cmpx_ge_u32_e64 v30, v16
	s_xor_b32 s0, exec_lo, s0
; %bb.93:
	v_xor_b32_e32 v13, 0xfffffcff, v0
	s_delay_alu instid0(VALU_DEP_1) | instskip(SKIP_1) | instid1(VALU_DEP_2)
	v_ashrrev_i32_e32 v14, 31, v13
	v_add_co_u32 v13, vcc_lo, v18, v13
	v_add_co_ci_u32_e32 v14, vcc_lo, v19, v14, vcc_lo
; %bb.94:
	s_and_not1_saveexec_b32 s0, s0
; %bb.95:
	v_add_co_u32 v13, vcc_lo, v15, v30
	v_add_co_ci_u32_e32 v14, vcc_lo, 0, v17, vcc_lo
; %bb.96:
	s_or_b32 exec_lo, exec_lo, s0
	s_delay_alu instid0(VALU_DEP_1) | instskip(SKIP_1) | instid1(VALU_DEP_1)
	v_lshlrev_b64 v[13:14], 2, v[13:14]
	s_mov_b32 s0, exec_lo
	v_add_co_u32 v13, vcc_lo, s12, v13
	s_delay_alu instid0(VALU_DEP_2)
	v_add_co_ci_u32_e32 v14, vcc_lo, s13, v14, vcc_lo
	global_store_b32 v[13:14], v10, off
                                        ; implicit-def: $vgpr13_vgpr14
	v_cmpx_ge_u32_e64 v29, v16
	s_xor_b32 s0, exec_lo, s0
; %bb.97:
	v_xor_b32_e32 v13, 0xfffffbff, v0
	;; [unrolled: 47-line block ×6, first 2 shown]
	s_delay_alu instid0(VALU_DEP_1) | instskip(SKIP_1) | instid1(VALU_DEP_2)
	v_ashrrev_i32_e32 v14, 31, v13
	v_add_co_u32 v13, vcc_lo, v18, v13
	v_add_co_ci_u32_e32 v14, vcc_lo, v19, v14, vcc_lo
; %bb.130:
	s_and_not1_saveexec_b32 s0, s0
; %bb.131:
	v_add_co_u32 v13, vcc_lo, v15, v21
	v_add_co_ci_u32_e32 v14, vcc_lo, 0, v17, vcc_lo
; %bb.132:
	s_or_b32 exec_lo, exec_lo, s0
	s_mov_b32 s0, -1
.LBB63_133:
	s_delay_alu instid0(SALU_CYCLE_1)
	s_and_saveexec_b32 s1, s0
	s_cbranch_execz .LBB63_216
.LBB63_134:
	s_waitcnt lgkmcnt(1)
	v_lshlrev_b64 v[0:1], 2, v[13:14]
	s_delay_alu instid0(VALU_DEP_1) | instskip(NEXT) | instid1(VALU_DEP_2)
	v_add_co_u32 v0, vcc_lo, s12, v0
	v_add_co_ci_u32_e32 v1, vcc_lo, s13, v1, vcc_lo
	s_waitcnt lgkmcnt(0)
	global_store_b32 v[0:1], v20, off
	s_or_b32 exec_lo, exec_lo, s1
	s_and_b32 s0, s2, s10
	s_delay_alu instid0(SALU_CYCLE_1)
	s_and_saveexec_b32 s1, s0
	s_cbranch_execnz .LBB63_217
.LBB63_135:
	s_nop 0
	s_sendmsg sendmsg(MSG_DEALLOC_VGPRS)
	s_endpgm
.LBB63_136:
                                        ; implicit-def: $vgpr13_vgpr14
	s_cbranch_execz .LBB63_133
; %bb.137:
	s_mov_b32 s1, exec_lo
	v_cmpx_gt_u32_e64 s11, v0
	s_cbranch_execz .LBB63_173
; %bb.138:
	s_mov_b32 s3, exec_lo
                                        ; implicit-def: $vgpr13_vgpr14
	v_cmpx_ge_u32_e64 v0, v16
	s_xor_b32 s3, exec_lo, s3
; %bb.139:
	v_not_b32_e32 v13, v0
	s_delay_alu instid0(VALU_DEP_1) | instskip(SKIP_1) | instid1(VALU_DEP_2)
	v_ashrrev_i32_e32 v14, 31, v13
	v_add_co_u32 v13, vcc_lo, v18, v13
	v_add_co_ci_u32_e32 v14, vcc_lo, v19, v14, vcc_lo
; %bb.140:
	s_and_not1_saveexec_b32 s3, s3
; %bb.141:
	v_add_co_u32 v13, vcc_lo, v15, v0
	v_add_co_ci_u32_e32 v14, vcc_lo, 0, v17, vcc_lo
; %bb.142:
	s_or_b32 exec_lo, exec_lo, s3
	s_delay_alu instid0(VALU_DEP_1) | instskip(NEXT) | instid1(VALU_DEP_1)
	v_lshlrev_b64 v[13:14], 2, v[13:14]
	v_add_co_u32 v13, vcc_lo, s12, v13
	s_delay_alu instid0(VALU_DEP_2) | instskip(SKIP_3) | instid1(SALU_CYCLE_1)
	v_add_co_ci_u32_e32 v14, vcc_lo, s13, v14, vcc_lo
	s_waitcnt lgkmcnt(6)
	global_store_b32 v[13:14], v11, off
	s_or_b32 exec_lo, exec_lo, s1
	s_mov_b32 s1, exec_lo
	v_cmpx_gt_u32_e64 s11, v35
	s_cbranch_execnz .LBB63_174
.LBB63_143:
	s_or_b32 exec_lo, exec_lo, s1
	s_delay_alu instid0(SALU_CYCLE_1)
	s_mov_b32 s1, exec_lo
	v_cmpx_gt_u32_e64 s11, v31
	s_cbranch_execz .LBB63_179
.LBB63_144:
	s_mov_b32 s3, exec_lo
                                        ; implicit-def: $vgpr11_vgpr12
	v_cmpx_ge_u32_e64 v31, v16
	s_xor_b32 s3, exec_lo, s3
	s_cbranch_execz .LBB63_146
; %bb.145:
	s_waitcnt lgkmcnt(6)
	v_xor_b32_e32 v11, 0xfffffdff, v0
                                        ; implicit-def: $vgpr31
	s_delay_alu instid0(VALU_DEP_1) | instskip(SKIP_1) | instid1(VALU_DEP_2)
	v_ashrrev_i32_e32 v12, 31, v11
	v_add_co_u32 v11, vcc_lo, v18, v11
	v_add_co_ci_u32_e32 v12, vcc_lo, v19, v12, vcc_lo
.LBB63_146:
	s_and_not1_saveexec_b32 s3, s3
	s_cbranch_execz .LBB63_148
; %bb.147:
	s_waitcnt lgkmcnt(6)
	v_add_co_u32 v11, vcc_lo, v15, v31
	v_add_co_ci_u32_e32 v12, vcc_lo, 0, v17, vcc_lo
.LBB63_148:
	s_or_b32 exec_lo, exec_lo, s3
	s_waitcnt lgkmcnt(6)
	s_delay_alu instid0(VALU_DEP_1) | instskip(NEXT) | instid1(VALU_DEP_1)
	v_lshlrev_b64 v[11:12], 2, v[11:12]
	v_add_co_u32 v11, vcc_lo, s12, v11
	s_delay_alu instid0(VALU_DEP_2) | instskip(SKIP_3) | instid1(SALU_CYCLE_1)
	v_add_co_ci_u32_e32 v12, vcc_lo, s13, v12, vcc_lo
	s_waitcnt lgkmcnt(5)
	global_store_b32 v[11:12], v9, off
	s_or_b32 exec_lo, exec_lo, s1
	s_mov_b32 s1, exec_lo
	v_cmpx_gt_u32_e64 s11, v30
	s_cbranch_execnz .LBB63_180
.LBB63_149:
	s_or_b32 exec_lo, exec_lo, s1
	s_delay_alu instid0(SALU_CYCLE_1)
	s_mov_b32 s1, exec_lo
	v_cmpx_gt_u32_e64 s11, v29
	s_cbranch_execz .LBB63_185
.LBB63_150:
	s_mov_b32 s3, exec_lo
                                        ; implicit-def: $vgpr9_vgpr10
	v_cmpx_ge_u32_e64 v29, v16
	s_xor_b32 s3, exec_lo, s3
	s_cbranch_execz .LBB63_152
; %bb.151:
	s_waitcnt lgkmcnt(5)
	v_xor_b32_e32 v9, 0xfffffbff, v0
                                        ; implicit-def: $vgpr29
	s_delay_alu instid0(VALU_DEP_1) | instskip(SKIP_1) | instid1(VALU_DEP_2)
	v_ashrrev_i32_e32 v10, 31, v9
	v_add_co_u32 v9, vcc_lo, v18, v9
	v_add_co_ci_u32_e32 v10, vcc_lo, v19, v10, vcc_lo
.LBB63_152:
	s_and_not1_saveexec_b32 s3, s3
	s_cbranch_execz .LBB63_154
; %bb.153:
	s_waitcnt lgkmcnt(5)
	v_add_co_u32 v9, vcc_lo, v15, v29
	v_add_co_ci_u32_e32 v10, vcc_lo, 0, v17, vcc_lo
.LBB63_154:
	s_or_b32 exec_lo, exec_lo, s3
	s_waitcnt lgkmcnt(5)
	s_delay_alu instid0(VALU_DEP_1) | instskip(NEXT) | instid1(VALU_DEP_1)
	v_lshlrev_b64 v[9:10], 2, v[9:10]
	v_add_co_u32 v9, vcc_lo, s12, v9
	s_delay_alu instid0(VALU_DEP_2) | instskip(SKIP_3) | instid1(SALU_CYCLE_1)
	v_add_co_ci_u32_e32 v10, vcc_lo, s13, v10, vcc_lo
	s_waitcnt lgkmcnt(4)
	global_store_b32 v[9:10], v7, off
	s_or_b32 exec_lo, exec_lo, s1
	s_mov_b32 s1, exec_lo
	v_cmpx_gt_u32_e64 s11, v28
	s_cbranch_execnz .LBB63_186
.LBB63_155:
	s_or_b32 exec_lo, exec_lo, s1
	s_delay_alu instid0(SALU_CYCLE_1)
	s_mov_b32 s1, exec_lo
	v_cmpx_gt_u32_e64 s11, v27
	s_cbranch_execz .LBB63_191
.LBB63_156:
	s_mov_b32 s3, exec_lo
                                        ; implicit-def: $vgpr7_vgpr8
	v_cmpx_ge_u32_e64 v27, v16
	s_xor_b32 s3, exec_lo, s3
	s_cbranch_execz .LBB63_158
; %bb.157:
	s_waitcnt lgkmcnt(4)
	v_xor_b32_e32 v7, 0xfffff9ff, v0
                                        ; implicit-def: $vgpr27
	s_delay_alu instid0(VALU_DEP_1) | instskip(SKIP_1) | instid1(VALU_DEP_2)
	v_ashrrev_i32_e32 v8, 31, v7
	v_add_co_u32 v7, vcc_lo, v18, v7
	v_add_co_ci_u32_e32 v8, vcc_lo, v19, v8, vcc_lo
.LBB63_158:
	s_and_not1_saveexec_b32 s3, s3
	s_cbranch_execz .LBB63_160
; %bb.159:
	s_waitcnt lgkmcnt(4)
	v_add_co_u32 v7, vcc_lo, v15, v27
	v_add_co_ci_u32_e32 v8, vcc_lo, 0, v17, vcc_lo
.LBB63_160:
	s_or_b32 exec_lo, exec_lo, s3
	s_waitcnt lgkmcnt(4)
	s_delay_alu instid0(VALU_DEP_1) | instskip(NEXT) | instid1(VALU_DEP_1)
	v_lshlrev_b64 v[7:8], 2, v[7:8]
	v_add_co_u32 v7, vcc_lo, s12, v7
	s_delay_alu instid0(VALU_DEP_2) | instskip(SKIP_3) | instid1(SALU_CYCLE_1)
	v_add_co_ci_u32_e32 v8, vcc_lo, s13, v8, vcc_lo
	s_waitcnt lgkmcnt(3)
	global_store_b32 v[7:8], v5, off
	s_or_b32 exec_lo, exec_lo, s1
	s_mov_b32 s1, exec_lo
	v_cmpx_gt_u32_e64 s11, v26
	s_cbranch_execnz .LBB63_192
.LBB63_161:
	s_or_b32 exec_lo, exec_lo, s1
	s_delay_alu instid0(SALU_CYCLE_1)
	s_mov_b32 s1, exec_lo
	v_cmpx_gt_u32_e64 s11, v25
	s_cbranch_execz .LBB63_197
.LBB63_162:
	s_mov_b32 s3, exec_lo
                                        ; implicit-def: $vgpr5_vgpr6
	v_cmpx_ge_u32_e64 v25, v16
	s_xor_b32 s3, exec_lo, s3
	s_cbranch_execz .LBB63_164
; %bb.163:
	s_waitcnt lgkmcnt(3)
	v_xor_b32_e32 v5, 0xfffff7ff, v0
                                        ; implicit-def: $vgpr25
	s_delay_alu instid0(VALU_DEP_1) | instskip(SKIP_1) | instid1(VALU_DEP_2)
	v_ashrrev_i32_e32 v6, 31, v5
	v_add_co_u32 v5, vcc_lo, v18, v5
	v_add_co_ci_u32_e32 v6, vcc_lo, v19, v6, vcc_lo
.LBB63_164:
	s_and_not1_saveexec_b32 s3, s3
	s_cbranch_execz .LBB63_166
; %bb.165:
	s_waitcnt lgkmcnt(3)
	v_add_co_u32 v5, vcc_lo, v15, v25
	v_add_co_ci_u32_e32 v6, vcc_lo, 0, v17, vcc_lo
.LBB63_166:
	s_or_b32 exec_lo, exec_lo, s3
	s_waitcnt lgkmcnt(3)
	s_delay_alu instid0(VALU_DEP_1) | instskip(NEXT) | instid1(VALU_DEP_1)
	v_lshlrev_b64 v[5:6], 2, v[5:6]
	v_add_co_u32 v5, vcc_lo, s12, v5
	s_delay_alu instid0(VALU_DEP_2) | instskip(SKIP_3) | instid1(SALU_CYCLE_1)
	v_add_co_ci_u32_e32 v6, vcc_lo, s13, v6, vcc_lo
	s_waitcnt lgkmcnt(2)
	global_store_b32 v[5:6], v3, off
	s_or_b32 exec_lo, exec_lo, s1
	s_mov_b32 s1, exec_lo
	v_cmpx_gt_u32_e64 s11, v24
	s_cbranch_execnz .LBB63_198
.LBB63_167:
	s_or_b32 exec_lo, exec_lo, s1
	s_delay_alu instid0(SALU_CYCLE_1)
	s_mov_b32 s1, exec_lo
	v_cmpx_gt_u32_e64 s11, v23
	s_cbranch_execz .LBB63_203
.LBB63_168:
	s_mov_b32 s3, exec_lo
                                        ; implicit-def: $vgpr3_vgpr4
	v_cmpx_ge_u32_e64 v23, v16
	s_xor_b32 s3, exec_lo, s3
	s_cbranch_execz .LBB63_170
; %bb.169:
	s_waitcnt lgkmcnt(2)
	v_xor_b32_e32 v3, 0xfffff5ff, v0
                                        ; implicit-def: $vgpr23
	s_delay_alu instid0(VALU_DEP_1) | instskip(SKIP_1) | instid1(VALU_DEP_2)
	v_ashrrev_i32_e32 v4, 31, v3
	v_add_co_u32 v3, vcc_lo, v18, v3
	v_add_co_ci_u32_e32 v4, vcc_lo, v19, v4, vcc_lo
.LBB63_170:
	s_and_not1_saveexec_b32 s3, s3
	s_cbranch_execz .LBB63_172
; %bb.171:
	s_waitcnt lgkmcnt(2)
	v_add_co_u32 v3, vcc_lo, v15, v23
	v_add_co_ci_u32_e32 v4, vcc_lo, 0, v17, vcc_lo
.LBB63_172:
	s_or_b32 exec_lo, exec_lo, s3
	s_waitcnt lgkmcnt(2)
	s_delay_alu instid0(VALU_DEP_1) | instskip(NEXT) | instid1(VALU_DEP_1)
	v_lshlrev_b64 v[3:4], 2, v[3:4]
	v_add_co_u32 v3, vcc_lo, s12, v3
	s_delay_alu instid0(VALU_DEP_2) | instskip(SKIP_3) | instid1(SALU_CYCLE_1)
	v_add_co_ci_u32_e32 v4, vcc_lo, s13, v4, vcc_lo
	s_waitcnt lgkmcnt(1)
	global_store_b32 v[3:4], v1, off
	s_or_b32 exec_lo, exec_lo, s1
	s_mov_b32 s1, exec_lo
	v_cmpx_gt_u32_e64 s11, v22
	s_cbranch_execz .LBB63_209
	s_branch .LBB63_204
.LBB63_173:
	s_or_b32 exec_lo, exec_lo, s1
	s_delay_alu instid0(SALU_CYCLE_1)
	s_mov_b32 s1, exec_lo
	v_cmpx_gt_u32_e64 s11, v35
	s_cbranch_execz .LBB63_143
.LBB63_174:
	s_mov_b32 s3, exec_lo
                                        ; implicit-def: $vgpr13_vgpr14
	v_cmpx_ge_u32_e64 v35, v16
	s_xor_b32 s3, exec_lo, s3
	s_cbranch_execz .LBB63_176
; %bb.175:
	s_waitcnt lgkmcnt(6)
	v_xor_b32_e32 v11, 0xfffffeff, v0
                                        ; implicit-def: $vgpr35
	s_delay_alu instid0(VALU_DEP_1) | instskip(SKIP_1) | instid1(VALU_DEP_2)
	v_ashrrev_i32_e32 v14, 31, v11
	v_add_co_u32 v13, vcc_lo, v18, v11
	v_add_co_ci_u32_e32 v14, vcc_lo, v19, v14, vcc_lo
.LBB63_176:
	s_and_not1_saveexec_b32 s3, s3
; %bb.177:
	v_add_co_u32 v13, vcc_lo, v15, v35
	v_add_co_ci_u32_e32 v14, vcc_lo, 0, v17, vcc_lo
; %bb.178:
	s_or_b32 exec_lo, exec_lo, s3
	s_delay_alu instid0(VALU_DEP_1) | instskip(NEXT) | instid1(VALU_DEP_1)
	v_lshlrev_b64 v[13:14], 2, v[13:14]
	v_add_co_u32 v13, vcc_lo, s12, v13
	s_delay_alu instid0(VALU_DEP_2) | instskip(SKIP_3) | instid1(SALU_CYCLE_1)
	v_add_co_ci_u32_e32 v14, vcc_lo, s13, v14, vcc_lo
	s_waitcnt lgkmcnt(6)
	global_store_b32 v[13:14], v12, off
	s_or_b32 exec_lo, exec_lo, s1
	s_mov_b32 s1, exec_lo
	v_cmpx_gt_u32_e64 s11, v31
	s_cbranch_execnz .LBB63_144
.LBB63_179:
	s_or_b32 exec_lo, exec_lo, s1
	s_delay_alu instid0(SALU_CYCLE_1)
	s_mov_b32 s1, exec_lo
	v_cmpx_gt_u32_e64 s11, v30
	s_cbranch_execz .LBB63_149
.LBB63_180:
	s_mov_b32 s3, exec_lo
                                        ; implicit-def: $vgpr11_vgpr12
	v_cmpx_ge_u32_e64 v30, v16
	s_xor_b32 s3, exec_lo, s3
	s_cbranch_execz .LBB63_182
; %bb.181:
	s_waitcnt lgkmcnt(5)
	v_xor_b32_e32 v9, 0xfffffcff, v0
                                        ; implicit-def: $vgpr30
	s_delay_alu instid0(VALU_DEP_1) | instskip(SKIP_1) | instid1(VALU_DEP_2)
	v_ashrrev_i32_e32 v12, 31, v9
	v_add_co_u32 v11, vcc_lo, v18, v9
	v_add_co_ci_u32_e32 v12, vcc_lo, v19, v12, vcc_lo
.LBB63_182:
	s_and_not1_saveexec_b32 s3, s3
	s_cbranch_execz .LBB63_184
; %bb.183:
	s_waitcnt lgkmcnt(6)
	v_add_co_u32 v11, vcc_lo, v15, v30
	v_add_co_ci_u32_e32 v12, vcc_lo, 0, v17, vcc_lo
.LBB63_184:
	s_or_b32 exec_lo, exec_lo, s3
	s_waitcnt lgkmcnt(6)
	s_delay_alu instid0(VALU_DEP_1) | instskip(NEXT) | instid1(VALU_DEP_1)
	v_lshlrev_b64 v[11:12], 2, v[11:12]
	v_add_co_u32 v11, vcc_lo, s12, v11
	s_delay_alu instid0(VALU_DEP_2) | instskip(SKIP_3) | instid1(SALU_CYCLE_1)
	v_add_co_ci_u32_e32 v12, vcc_lo, s13, v12, vcc_lo
	s_waitcnt lgkmcnt(5)
	global_store_b32 v[11:12], v10, off
	s_or_b32 exec_lo, exec_lo, s1
	s_mov_b32 s1, exec_lo
	v_cmpx_gt_u32_e64 s11, v29
	s_cbranch_execnz .LBB63_150
.LBB63_185:
	s_or_b32 exec_lo, exec_lo, s1
	s_delay_alu instid0(SALU_CYCLE_1)
	s_mov_b32 s1, exec_lo
	v_cmpx_gt_u32_e64 s11, v28
	s_cbranch_execz .LBB63_155
.LBB63_186:
	s_mov_b32 s3, exec_lo
                                        ; implicit-def: $vgpr9_vgpr10
	v_cmpx_ge_u32_e64 v28, v16
	s_xor_b32 s3, exec_lo, s3
	s_cbranch_execz .LBB63_188
; %bb.187:
	s_waitcnt lgkmcnt(4)
	v_xor_b32_e32 v7, 0xfffffaff, v0
                                        ; implicit-def: $vgpr28
	s_delay_alu instid0(VALU_DEP_1) | instskip(SKIP_1) | instid1(VALU_DEP_2)
	v_ashrrev_i32_e32 v10, 31, v7
	v_add_co_u32 v9, vcc_lo, v18, v7
	v_add_co_ci_u32_e32 v10, vcc_lo, v19, v10, vcc_lo
.LBB63_188:
	s_and_not1_saveexec_b32 s3, s3
	s_cbranch_execz .LBB63_190
; %bb.189:
	s_waitcnt lgkmcnt(5)
	v_add_co_u32 v9, vcc_lo, v15, v28
	v_add_co_ci_u32_e32 v10, vcc_lo, 0, v17, vcc_lo
.LBB63_190:
	s_or_b32 exec_lo, exec_lo, s3
	s_waitcnt lgkmcnt(5)
	s_delay_alu instid0(VALU_DEP_1) | instskip(NEXT) | instid1(VALU_DEP_1)
	v_lshlrev_b64 v[9:10], 2, v[9:10]
	v_add_co_u32 v9, vcc_lo, s12, v9
	s_delay_alu instid0(VALU_DEP_2) | instskip(SKIP_3) | instid1(SALU_CYCLE_1)
	v_add_co_ci_u32_e32 v10, vcc_lo, s13, v10, vcc_lo
	s_waitcnt lgkmcnt(4)
	global_store_b32 v[9:10], v8, off
	s_or_b32 exec_lo, exec_lo, s1
	s_mov_b32 s1, exec_lo
	v_cmpx_gt_u32_e64 s11, v27
	s_cbranch_execnz .LBB63_156
.LBB63_191:
	s_or_b32 exec_lo, exec_lo, s1
	s_delay_alu instid0(SALU_CYCLE_1)
	s_mov_b32 s1, exec_lo
	v_cmpx_gt_u32_e64 s11, v26
	s_cbranch_execz .LBB63_161
.LBB63_192:
	s_mov_b32 s3, exec_lo
                                        ; implicit-def: $vgpr7_vgpr8
	v_cmpx_ge_u32_e64 v26, v16
	s_xor_b32 s3, exec_lo, s3
	s_cbranch_execz .LBB63_194
; %bb.193:
	s_waitcnt lgkmcnt(3)
	v_xor_b32_e32 v5, 0xfffff8ff, v0
                                        ; implicit-def: $vgpr26
	s_delay_alu instid0(VALU_DEP_1) | instskip(SKIP_1) | instid1(VALU_DEP_2)
	v_ashrrev_i32_e32 v8, 31, v5
	v_add_co_u32 v7, vcc_lo, v18, v5
	v_add_co_ci_u32_e32 v8, vcc_lo, v19, v8, vcc_lo
.LBB63_194:
	s_and_not1_saveexec_b32 s3, s3
	s_cbranch_execz .LBB63_196
; %bb.195:
	s_waitcnt lgkmcnt(4)
	v_add_co_u32 v7, vcc_lo, v15, v26
	v_add_co_ci_u32_e32 v8, vcc_lo, 0, v17, vcc_lo
.LBB63_196:
	s_or_b32 exec_lo, exec_lo, s3
	s_waitcnt lgkmcnt(4)
	s_delay_alu instid0(VALU_DEP_1) | instskip(NEXT) | instid1(VALU_DEP_1)
	v_lshlrev_b64 v[7:8], 2, v[7:8]
	v_add_co_u32 v7, vcc_lo, s12, v7
	s_delay_alu instid0(VALU_DEP_2) | instskip(SKIP_3) | instid1(SALU_CYCLE_1)
	v_add_co_ci_u32_e32 v8, vcc_lo, s13, v8, vcc_lo
	s_waitcnt lgkmcnt(3)
	global_store_b32 v[7:8], v6, off
	s_or_b32 exec_lo, exec_lo, s1
	s_mov_b32 s1, exec_lo
	v_cmpx_gt_u32_e64 s11, v25
	s_cbranch_execnz .LBB63_162
.LBB63_197:
	s_or_b32 exec_lo, exec_lo, s1
	s_delay_alu instid0(SALU_CYCLE_1)
	s_mov_b32 s1, exec_lo
	v_cmpx_gt_u32_e64 s11, v24
	s_cbranch_execz .LBB63_167
.LBB63_198:
	s_mov_b32 s3, exec_lo
                                        ; implicit-def: $vgpr5_vgpr6
	v_cmpx_ge_u32_e64 v24, v16
	s_xor_b32 s3, exec_lo, s3
	s_cbranch_execz .LBB63_200
; %bb.199:
	s_waitcnt lgkmcnt(2)
	v_xor_b32_e32 v3, 0xfffff6ff, v0
                                        ; implicit-def: $vgpr24
	s_delay_alu instid0(VALU_DEP_1) | instskip(SKIP_1) | instid1(VALU_DEP_2)
	v_ashrrev_i32_e32 v6, 31, v3
	v_add_co_u32 v5, vcc_lo, v18, v3
	v_add_co_ci_u32_e32 v6, vcc_lo, v19, v6, vcc_lo
.LBB63_200:
	s_and_not1_saveexec_b32 s3, s3
	s_cbranch_execz .LBB63_202
; %bb.201:
	s_waitcnt lgkmcnt(3)
	v_add_co_u32 v5, vcc_lo, v15, v24
	v_add_co_ci_u32_e32 v6, vcc_lo, 0, v17, vcc_lo
.LBB63_202:
	s_or_b32 exec_lo, exec_lo, s3
	s_waitcnt lgkmcnt(3)
	s_delay_alu instid0(VALU_DEP_1) | instskip(NEXT) | instid1(VALU_DEP_1)
	v_lshlrev_b64 v[5:6], 2, v[5:6]
	v_add_co_u32 v5, vcc_lo, s12, v5
	s_delay_alu instid0(VALU_DEP_2) | instskip(SKIP_3) | instid1(SALU_CYCLE_1)
	v_add_co_ci_u32_e32 v6, vcc_lo, s13, v6, vcc_lo
	s_waitcnt lgkmcnt(2)
	global_store_b32 v[5:6], v4, off
	s_or_b32 exec_lo, exec_lo, s1
	s_mov_b32 s1, exec_lo
	v_cmpx_gt_u32_e64 s11, v23
	s_cbranch_execnz .LBB63_168
.LBB63_203:
	s_or_b32 exec_lo, exec_lo, s1
	s_delay_alu instid0(SALU_CYCLE_1)
	s_mov_b32 s1, exec_lo
	v_cmpx_gt_u32_e64 s11, v22
	s_cbranch_execz .LBB63_209
.LBB63_204:
	s_mov_b32 s3, exec_lo
                                        ; implicit-def: $vgpr3_vgpr4
	v_cmpx_ge_u32_e64 v22, v16
	s_xor_b32 s3, exec_lo, s3
	s_cbranch_execz .LBB63_206
; %bb.205:
	s_waitcnt lgkmcnt(1)
	v_xor_b32_e32 v1, 0xfffff4ff, v0
                                        ; implicit-def: $vgpr22
	s_delay_alu instid0(VALU_DEP_1) | instskip(SKIP_1) | instid1(VALU_DEP_2)
	v_ashrrev_i32_e32 v4, 31, v1
	v_add_co_u32 v3, vcc_lo, v18, v1
	v_add_co_ci_u32_e32 v4, vcc_lo, v19, v4, vcc_lo
.LBB63_206:
	s_and_not1_saveexec_b32 s3, s3
	s_cbranch_execz .LBB63_208
; %bb.207:
	s_waitcnt lgkmcnt(2)
	v_add_co_u32 v3, vcc_lo, v15, v22
	v_add_co_ci_u32_e32 v4, vcc_lo, 0, v17, vcc_lo
.LBB63_208:
	s_or_b32 exec_lo, exec_lo, s3
	s_waitcnt lgkmcnt(2)
	s_delay_alu instid0(VALU_DEP_1) | instskip(NEXT) | instid1(VALU_DEP_1)
	v_lshlrev_b64 v[3:4], 2, v[3:4]
	v_add_co_u32 v3, vcc_lo, s12, v3
	s_delay_alu instid0(VALU_DEP_2)
	v_add_co_ci_u32_e32 v4, vcc_lo, s13, v4, vcc_lo
	s_waitcnt lgkmcnt(1)
	global_store_b32 v[3:4], v2, off
.LBB63_209:
	s_or_b32 exec_lo, exec_lo, s1
	s_delay_alu instid0(SALU_CYCLE_1)
	s_mov_b32 s1, exec_lo
                                        ; implicit-def: $vgpr13_vgpr14
	v_cmpx_gt_u32_e64 s11, v21
	s_cbranch_execz .LBB63_215
; %bb.210:
	s_mov_b32 s3, exec_lo
                                        ; implicit-def: $vgpr13_vgpr14
	v_cmpx_ge_u32_e64 v21, v16
	s_xor_b32 s3, exec_lo, s3
	s_cbranch_execz .LBB63_212
; %bb.211:
	v_xor_b32_e32 v0, 0xfffff3ff, v0
                                        ; implicit-def: $vgpr21
	s_waitcnt lgkmcnt(1)
	s_delay_alu instid0(VALU_DEP_1) | instskip(SKIP_1) | instid1(VALU_DEP_2)
	v_ashrrev_i32_e32 v1, 31, v0
	v_add_co_u32 v13, vcc_lo, v18, v0
	v_add_co_ci_u32_e32 v14, vcc_lo, v19, v1, vcc_lo
.LBB63_212:
	s_and_not1_saveexec_b32 s3, s3
; %bb.213:
	v_add_co_u32 v13, vcc_lo, v15, v21
	v_add_co_ci_u32_e32 v14, vcc_lo, 0, v17, vcc_lo
; %bb.214:
	s_or_b32 exec_lo, exec_lo, s3
	s_delay_alu instid0(SALU_CYCLE_1)
	s_or_b32 s0, s0, exec_lo
.LBB63_215:
	s_or_b32 exec_lo, exec_lo, s1
	s_and_saveexec_b32 s1, s0
	s_cbranch_execnz .LBB63_134
.LBB63_216:
	s_or_b32 exec_lo, exec_lo, s1
	s_and_b32 s0, s2, s10
	s_delay_alu instid0(SALU_CYCLE_1)
	s_and_saveexec_b32 s1, s0
	s_cbranch_execz .LBB63_135
.LBB63_217:
	v_add_co_u32 v0, vcc_lo, v15, v16
	s_waitcnt lgkmcnt(1)
	v_mov_b32_e32 v2, 0
	v_add_co_ci_u32_e32 v1, vcc_lo, 0, v17, vcc_lo
	global_store_b64 v2, v[0:1], s[8:9]
	s_nop 0
	s_sendmsg sendmsg(MSG_DEALLOC_VGPRS)
	s_endpgm
	.section	.rodata,"a",@progbits
	.p2align	6, 0x0
	.amdhsa_kernel _ZN7rocprim17ROCPRIM_400000_NS6detail17trampoline_kernelINS0_13select_configILj256ELj13ELNS0_17block_load_methodE3ELS4_3ELS4_3ELNS0_20block_scan_algorithmE0ELj4294967295EEENS1_25partition_config_selectorILNS1_17partition_subalgoE3EjNS0_10empty_typeEbEEZZNS1_14partition_implILS8_3ELb0ES6_jNS0_17counting_iteratorIjlEEPS9_SE_NS0_5tupleIJPjSE_EEENSF_IJSE_SE_EEES9_SG_JZNS1_25segmented_radix_sort_implINS0_14default_configELb1EPKhPhPKlPlN2at6native12_GLOBAL__N_18offset_tEEE10hipError_tPvRmT1_PNSt15iterator_traitsISY_E10value_typeET2_T3_PNSZ_IS14_E10value_typeET4_jRbjT5_S1A_jjP12ihipStream_tbEUljE_EEESV_SW_SX_S14_S18_S1A_T6_T7_T9_mT8_S1C_bDpT10_ENKUlT_T0_E_clISt17integral_constantIbLb1EES1P_EEDaS1K_S1L_EUlS1K_E_NS1_11comp_targetILNS1_3genE9ELNS1_11target_archE1100ELNS1_3gpuE3ELNS1_3repE0EEENS1_30default_config_static_selectorELNS0_4arch9wavefront6targetE0EEEvSY_
		.amdhsa_group_segment_fixed_size 13324
		.amdhsa_private_segment_fixed_size 0
		.amdhsa_kernarg_size 152
		.amdhsa_user_sgpr_count 15
		.amdhsa_user_sgpr_dispatch_ptr 0
		.amdhsa_user_sgpr_queue_ptr 0
		.amdhsa_user_sgpr_kernarg_segment_ptr 1
		.amdhsa_user_sgpr_dispatch_id 0
		.amdhsa_user_sgpr_private_segment_size 0
		.amdhsa_wavefront_size32 1
		.amdhsa_uses_dynamic_stack 0
		.amdhsa_enable_private_segment 0
		.amdhsa_system_sgpr_workgroup_id_x 1
		.amdhsa_system_sgpr_workgroup_id_y 0
		.amdhsa_system_sgpr_workgroup_id_z 0
		.amdhsa_system_sgpr_workgroup_info 0
		.amdhsa_system_vgpr_workitem_id 0
		.amdhsa_next_free_vgpr 60
		.amdhsa_next_free_sgpr 26
		.amdhsa_reserve_vcc 1
		.amdhsa_float_round_mode_32 0
		.amdhsa_float_round_mode_16_64 0
		.amdhsa_float_denorm_mode_32 3
		.amdhsa_float_denorm_mode_16_64 3
		.amdhsa_dx10_clamp 1
		.amdhsa_ieee_mode 1
		.amdhsa_fp16_overflow 0
		.amdhsa_workgroup_processor_mode 1
		.amdhsa_memory_ordered 1
		.amdhsa_forward_progress 0
		.amdhsa_shared_vgpr_count 0
		.amdhsa_exception_fp_ieee_invalid_op 0
		.amdhsa_exception_fp_denorm_src 0
		.amdhsa_exception_fp_ieee_div_zero 0
		.amdhsa_exception_fp_ieee_overflow 0
		.amdhsa_exception_fp_ieee_underflow 0
		.amdhsa_exception_fp_ieee_inexact 0
		.amdhsa_exception_int_div_zero 0
	.end_amdhsa_kernel
	.section	.text._ZN7rocprim17ROCPRIM_400000_NS6detail17trampoline_kernelINS0_13select_configILj256ELj13ELNS0_17block_load_methodE3ELS4_3ELS4_3ELNS0_20block_scan_algorithmE0ELj4294967295EEENS1_25partition_config_selectorILNS1_17partition_subalgoE3EjNS0_10empty_typeEbEEZZNS1_14partition_implILS8_3ELb0ES6_jNS0_17counting_iteratorIjlEEPS9_SE_NS0_5tupleIJPjSE_EEENSF_IJSE_SE_EEES9_SG_JZNS1_25segmented_radix_sort_implINS0_14default_configELb1EPKhPhPKlPlN2at6native12_GLOBAL__N_18offset_tEEE10hipError_tPvRmT1_PNSt15iterator_traitsISY_E10value_typeET2_T3_PNSZ_IS14_E10value_typeET4_jRbjT5_S1A_jjP12ihipStream_tbEUljE_EEESV_SW_SX_S14_S18_S1A_T6_T7_T9_mT8_S1C_bDpT10_ENKUlT_T0_E_clISt17integral_constantIbLb1EES1P_EEDaS1K_S1L_EUlS1K_E_NS1_11comp_targetILNS1_3genE9ELNS1_11target_archE1100ELNS1_3gpuE3ELNS1_3repE0EEENS1_30default_config_static_selectorELNS0_4arch9wavefront6targetE0EEEvSY_,"axG",@progbits,_ZN7rocprim17ROCPRIM_400000_NS6detail17trampoline_kernelINS0_13select_configILj256ELj13ELNS0_17block_load_methodE3ELS4_3ELS4_3ELNS0_20block_scan_algorithmE0ELj4294967295EEENS1_25partition_config_selectorILNS1_17partition_subalgoE3EjNS0_10empty_typeEbEEZZNS1_14partition_implILS8_3ELb0ES6_jNS0_17counting_iteratorIjlEEPS9_SE_NS0_5tupleIJPjSE_EEENSF_IJSE_SE_EEES9_SG_JZNS1_25segmented_radix_sort_implINS0_14default_configELb1EPKhPhPKlPlN2at6native12_GLOBAL__N_18offset_tEEE10hipError_tPvRmT1_PNSt15iterator_traitsISY_E10value_typeET2_T3_PNSZ_IS14_E10value_typeET4_jRbjT5_S1A_jjP12ihipStream_tbEUljE_EEESV_SW_SX_S14_S18_S1A_T6_T7_T9_mT8_S1C_bDpT10_ENKUlT_T0_E_clISt17integral_constantIbLb1EES1P_EEDaS1K_S1L_EUlS1K_E_NS1_11comp_targetILNS1_3genE9ELNS1_11target_archE1100ELNS1_3gpuE3ELNS1_3repE0EEENS1_30default_config_static_selectorELNS0_4arch9wavefront6targetE0EEEvSY_,comdat
.Lfunc_end63:
	.size	_ZN7rocprim17ROCPRIM_400000_NS6detail17trampoline_kernelINS0_13select_configILj256ELj13ELNS0_17block_load_methodE3ELS4_3ELS4_3ELNS0_20block_scan_algorithmE0ELj4294967295EEENS1_25partition_config_selectorILNS1_17partition_subalgoE3EjNS0_10empty_typeEbEEZZNS1_14partition_implILS8_3ELb0ES6_jNS0_17counting_iteratorIjlEEPS9_SE_NS0_5tupleIJPjSE_EEENSF_IJSE_SE_EEES9_SG_JZNS1_25segmented_radix_sort_implINS0_14default_configELb1EPKhPhPKlPlN2at6native12_GLOBAL__N_18offset_tEEE10hipError_tPvRmT1_PNSt15iterator_traitsISY_E10value_typeET2_T3_PNSZ_IS14_E10value_typeET4_jRbjT5_S1A_jjP12ihipStream_tbEUljE_EEESV_SW_SX_S14_S18_S1A_T6_T7_T9_mT8_S1C_bDpT10_ENKUlT_T0_E_clISt17integral_constantIbLb1EES1P_EEDaS1K_S1L_EUlS1K_E_NS1_11comp_targetILNS1_3genE9ELNS1_11target_archE1100ELNS1_3gpuE3ELNS1_3repE0EEENS1_30default_config_static_selectorELNS0_4arch9wavefront6targetE0EEEvSY_, .Lfunc_end63-_ZN7rocprim17ROCPRIM_400000_NS6detail17trampoline_kernelINS0_13select_configILj256ELj13ELNS0_17block_load_methodE3ELS4_3ELS4_3ELNS0_20block_scan_algorithmE0ELj4294967295EEENS1_25partition_config_selectorILNS1_17partition_subalgoE3EjNS0_10empty_typeEbEEZZNS1_14partition_implILS8_3ELb0ES6_jNS0_17counting_iteratorIjlEEPS9_SE_NS0_5tupleIJPjSE_EEENSF_IJSE_SE_EEES9_SG_JZNS1_25segmented_radix_sort_implINS0_14default_configELb1EPKhPhPKlPlN2at6native12_GLOBAL__N_18offset_tEEE10hipError_tPvRmT1_PNSt15iterator_traitsISY_E10value_typeET2_T3_PNSZ_IS14_E10value_typeET4_jRbjT5_S1A_jjP12ihipStream_tbEUljE_EEESV_SW_SX_S14_S18_S1A_T6_T7_T9_mT8_S1C_bDpT10_ENKUlT_T0_E_clISt17integral_constantIbLb1EES1P_EEDaS1K_S1L_EUlS1K_E_NS1_11comp_targetILNS1_3genE9ELNS1_11target_archE1100ELNS1_3gpuE3ELNS1_3repE0EEENS1_30default_config_static_selectorELNS0_4arch9wavefront6targetE0EEEvSY_
                                        ; -- End function
	.section	.AMDGPU.csdata,"",@progbits
; Kernel info:
; codeLenInByte = 9140
; NumSgprs: 28
; NumVgprs: 60
; ScratchSize: 0
; MemoryBound: 0
; FloatMode: 240
; IeeeMode: 1
; LDSByteSize: 13324 bytes/workgroup (compile time only)
; SGPRBlocks: 3
; VGPRBlocks: 7
; NumSGPRsForWavesPerEU: 28
; NumVGPRsForWavesPerEU: 60
; Occupancy: 16
; WaveLimiterHint : 0
; COMPUTE_PGM_RSRC2:SCRATCH_EN: 0
; COMPUTE_PGM_RSRC2:USER_SGPR: 15
; COMPUTE_PGM_RSRC2:TRAP_HANDLER: 0
; COMPUTE_PGM_RSRC2:TGID_X_EN: 1
; COMPUTE_PGM_RSRC2:TGID_Y_EN: 0
; COMPUTE_PGM_RSRC2:TGID_Z_EN: 0
; COMPUTE_PGM_RSRC2:TIDIG_COMP_CNT: 0
	.section	.text._ZN7rocprim17ROCPRIM_400000_NS6detail17trampoline_kernelINS0_13select_configILj256ELj13ELNS0_17block_load_methodE3ELS4_3ELS4_3ELNS0_20block_scan_algorithmE0ELj4294967295EEENS1_25partition_config_selectorILNS1_17partition_subalgoE3EjNS0_10empty_typeEbEEZZNS1_14partition_implILS8_3ELb0ES6_jNS0_17counting_iteratorIjlEEPS9_SE_NS0_5tupleIJPjSE_EEENSF_IJSE_SE_EEES9_SG_JZNS1_25segmented_radix_sort_implINS0_14default_configELb1EPKhPhPKlPlN2at6native12_GLOBAL__N_18offset_tEEE10hipError_tPvRmT1_PNSt15iterator_traitsISY_E10value_typeET2_T3_PNSZ_IS14_E10value_typeET4_jRbjT5_S1A_jjP12ihipStream_tbEUljE_EEESV_SW_SX_S14_S18_S1A_T6_T7_T9_mT8_S1C_bDpT10_ENKUlT_T0_E_clISt17integral_constantIbLb1EES1P_EEDaS1K_S1L_EUlS1K_E_NS1_11comp_targetILNS1_3genE8ELNS1_11target_archE1030ELNS1_3gpuE2ELNS1_3repE0EEENS1_30default_config_static_selectorELNS0_4arch9wavefront6targetE0EEEvSY_,"axG",@progbits,_ZN7rocprim17ROCPRIM_400000_NS6detail17trampoline_kernelINS0_13select_configILj256ELj13ELNS0_17block_load_methodE3ELS4_3ELS4_3ELNS0_20block_scan_algorithmE0ELj4294967295EEENS1_25partition_config_selectorILNS1_17partition_subalgoE3EjNS0_10empty_typeEbEEZZNS1_14partition_implILS8_3ELb0ES6_jNS0_17counting_iteratorIjlEEPS9_SE_NS0_5tupleIJPjSE_EEENSF_IJSE_SE_EEES9_SG_JZNS1_25segmented_radix_sort_implINS0_14default_configELb1EPKhPhPKlPlN2at6native12_GLOBAL__N_18offset_tEEE10hipError_tPvRmT1_PNSt15iterator_traitsISY_E10value_typeET2_T3_PNSZ_IS14_E10value_typeET4_jRbjT5_S1A_jjP12ihipStream_tbEUljE_EEESV_SW_SX_S14_S18_S1A_T6_T7_T9_mT8_S1C_bDpT10_ENKUlT_T0_E_clISt17integral_constantIbLb1EES1P_EEDaS1K_S1L_EUlS1K_E_NS1_11comp_targetILNS1_3genE8ELNS1_11target_archE1030ELNS1_3gpuE2ELNS1_3repE0EEENS1_30default_config_static_selectorELNS0_4arch9wavefront6targetE0EEEvSY_,comdat
	.globl	_ZN7rocprim17ROCPRIM_400000_NS6detail17trampoline_kernelINS0_13select_configILj256ELj13ELNS0_17block_load_methodE3ELS4_3ELS4_3ELNS0_20block_scan_algorithmE0ELj4294967295EEENS1_25partition_config_selectorILNS1_17partition_subalgoE3EjNS0_10empty_typeEbEEZZNS1_14partition_implILS8_3ELb0ES6_jNS0_17counting_iteratorIjlEEPS9_SE_NS0_5tupleIJPjSE_EEENSF_IJSE_SE_EEES9_SG_JZNS1_25segmented_radix_sort_implINS0_14default_configELb1EPKhPhPKlPlN2at6native12_GLOBAL__N_18offset_tEEE10hipError_tPvRmT1_PNSt15iterator_traitsISY_E10value_typeET2_T3_PNSZ_IS14_E10value_typeET4_jRbjT5_S1A_jjP12ihipStream_tbEUljE_EEESV_SW_SX_S14_S18_S1A_T6_T7_T9_mT8_S1C_bDpT10_ENKUlT_T0_E_clISt17integral_constantIbLb1EES1P_EEDaS1K_S1L_EUlS1K_E_NS1_11comp_targetILNS1_3genE8ELNS1_11target_archE1030ELNS1_3gpuE2ELNS1_3repE0EEENS1_30default_config_static_selectorELNS0_4arch9wavefront6targetE0EEEvSY_ ; -- Begin function _ZN7rocprim17ROCPRIM_400000_NS6detail17trampoline_kernelINS0_13select_configILj256ELj13ELNS0_17block_load_methodE3ELS4_3ELS4_3ELNS0_20block_scan_algorithmE0ELj4294967295EEENS1_25partition_config_selectorILNS1_17partition_subalgoE3EjNS0_10empty_typeEbEEZZNS1_14partition_implILS8_3ELb0ES6_jNS0_17counting_iteratorIjlEEPS9_SE_NS0_5tupleIJPjSE_EEENSF_IJSE_SE_EEES9_SG_JZNS1_25segmented_radix_sort_implINS0_14default_configELb1EPKhPhPKlPlN2at6native12_GLOBAL__N_18offset_tEEE10hipError_tPvRmT1_PNSt15iterator_traitsISY_E10value_typeET2_T3_PNSZ_IS14_E10value_typeET4_jRbjT5_S1A_jjP12ihipStream_tbEUljE_EEESV_SW_SX_S14_S18_S1A_T6_T7_T9_mT8_S1C_bDpT10_ENKUlT_T0_E_clISt17integral_constantIbLb1EES1P_EEDaS1K_S1L_EUlS1K_E_NS1_11comp_targetILNS1_3genE8ELNS1_11target_archE1030ELNS1_3gpuE2ELNS1_3repE0EEENS1_30default_config_static_selectorELNS0_4arch9wavefront6targetE0EEEvSY_
	.p2align	8
	.type	_ZN7rocprim17ROCPRIM_400000_NS6detail17trampoline_kernelINS0_13select_configILj256ELj13ELNS0_17block_load_methodE3ELS4_3ELS4_3ELNS0_20block_scan_algorithmE0ELj4294967295EEENS1_25partition_config_selectorILNS1_17partition_subalgoE3EjNS0_10empty_typeEbEEZZNS1_14partition_implILS8_3ELb0ES6_jNS0_17counting_iteratorIjlEEPS9_SE_NS0_5tupleIJPjSE_EEENSF_IJSE_SE_EEES9_SG_JZNS1_25segmented_radix_sort_implINS0_14default_configELb1EPKhPhPKlPlN2at6native12_GLOBAL__N_18offset_tEEE10hipError_tPvRmT1_PNSt15iterator_traitsISY_E10value_typeET2_T3_PNSZ_IS14_E10value_typeET4_jRbjT5_S1A_jjP12ihipStream_tbEUljE_EEESV_SW_SX_S14_S18_S1A_T6_T7_T9_mT8_S1C_bDpT10_ENKUlT_T0_E_clISt17integral_constantIbLb1EES1P_EEDaS1K_S1L_EUlS1K_E_NS1_11comp_targetILNS1_3genE8ELNS1_11target_archE1030ELNS1_3gpuE2ELNS1_3repE0EEENS1_30default_config_static_selectorELNS0_4arch9wavefront6targetE0EEEvSY_,@function
_ZN7rocprim17ROCPRIM_400000_NS6detail17trampoline_kernelINS0_13select_configILj256ELj13ELNS0_17block_load_methodE3ELS4_3ELS4_3ELNS0_20block_scan_algorithmE0ELj4294967295EEENS1_25partition_config_selectorILNS1_17partition_subalgoE3EjNS0_10empty_typeEbEEZZNS1_14partition_implILS8_3ELb0ES6_jNS0_17counting_iteratorIjlEEPS9_SE_NS0_5tupleIJPjSE_EEENSF_IJSE_SE_EEES9_SG_JZNS1_25segmented_radix_sort_implINS0_14default_configELb1EPKhPhPKlPlN2at6native12_GLOBAL__N_18offset_tEEE10hipError_tPvRmT1_PNSt15iterator_traitsISY_E10value_typeET2_T3_PNSZ_IS14_E10value_typeET4_jRbjT5_S1A_jjP12ihipStream_tbEUljE_EEESV_SW_SX_S14_S18_S1A_T6_T7_T9_mT8_S1C_bDpT10_ENKUlT_T0_E_clISt17integral_constantIbLb1EES1P_EEDaS1K_S1L_EUlS1K_E_NS1_11comp_targetILNS1_3genE8ELNS1_11target_archE1030ELNS1_3gpuE2ELNS1_3repE0EEENS1_30default_config_static_selectorELNS0_4arch9wavefront6targetE0EEEvSY_: ; @_ZN7rocprim17ROCPRIM_400000_NS6detail17trampoline_kernelINS0_13select_configILj256ELj13ELNS0_17block_load_methodE3ELS4_3ELS4_3ELNS0_20block_scan_algorithmE0ELj4294967295EEENS1_25partition_config_selectorILNS1_17partition_subalgoE3EjNS0_10empty_typeEbEEZZNS1_14partition_implILS8_3ELb0ES6_jNS0_17counting_iteratorIjlEEPS9_SE_NS0_5tupleIJPjSE_EEENSF_IJSE_SE_EEES9_SG_JZNS1_25segmented_radix_sort_implINS0_14default_configELb1EPKhPhPKlPlN2at6native12_GLOBAL__N_18offset_tEEE10hipError_tPvRmT1_PNSt15iterator_traitsISY_E10value_typeET2_T3_PNSZ_IS14_E10value_typeET4_jRbjT5_S1A_jjP12ihipStream_tbEUljE_EEESV_SW_SX_S14_S18_S1A_T6_T7_T9_mT8_S1C_bDpT10_ENKUlT_T0_E_clISt17integral_constantIbLb1EES1P_EEDaS1K_S1L_EUlS1K_E_NS1_11comp_targetILNS1_3genE8ELNS1_11target_archE1030ELNS1_3gpuE2ELNS1_3repE0EEENS1_30default_config_static_selectorELNS0_4arch9wavefront6targetE0EEEvSY_
; %bb.0:
	.section	.rodata,"a",@progbits
	.p2align	6, 0x0
	.amdhsa_kernel _ZN7rocprim17ROCPRIM_400000_NS6detail17trampoline_kernelINS0_13select_configILj256ELj13ELNS0_17block_load_methodE3ELS4_3ELS4_3ELNS0_20block_scan_algorithmE0ELj4294967295EEENS1_25partition_config_selectorILNS1_17partition_subalgoE3EjNS0_10empty_typeEbEEZZNS1_14partition_implILS8_3ELb0ES6_jNS0_17counting_iteratorIjlEEPS9_SE_NS0_5tupleIJPjSE_EEENSF_IJSE_SE_EEES9_SG_JZNS1_25segmented_radix_sort_implINS0_14default_configELb1EPKhPhPKlPlN2at6native12_GLOBAL__N_18offset_tEEE10hipError_tPvRmT1_PNSt15iterator_traitsISY_E10value_typeET2_T3_PNSZ_IS14_E10value_typeET4_jRbjT5_S1A_jjP12ihipStream_tbEUljE_EEESV_SW_SX_S14_S18_S1A_T6_T7_T9_mT8_S1C_bDpT10_ENKUlT_T0_E_clISt17integral_constantIbLb1EES1P_EEDaS1K_S1L_EUlS1K_E_NS1_11comp_targetILNS1_3genE8ELNS1_11target_archE1030ELNS1_3gpuE2ELNS1_3repE0EEENS1_30default_config_static_selectorELNS0_4arch9wavefront6targetE0EEEvSY_
		.amdhsa_group_segment_fixed_size 0
		.amdhsa_private_segment_fixed_size 0
		.amdhsa_kernarg_size 152
		.amdhsa_user_sgpr_count 15
		.amdhsa_user_sgpr_dispatch_ptr 0
		.amdhsa_user_sgpr_queue_ptr 0
		.amdhsa_user_sgpr_kernarg_segment_ptr 1
		.amdhsa_user_sgpr_dispatch_id 0
		.amdhsa_user_sgpr_private_segment_size 0
		.amdhsa_wavefront_size32 1
		.amdhsa_uses_dynamic_stack 0
		.amdhsa_enable_private_segment 0
		.amdhsa_system_sgpr_workgroup_id_x 1
		.amdhsa_system_sgpr_workgroup_id_y 0
		.amdhsa_system_sgpr_workgroup_id_z 0
		.amdhsa_system_sgpr_workgroup_info 0
		.amdhsa_system_vgpr_workitem_id 0
		.amdhsa_next_free_vgpr 1
		.amdhsa_next_free_sgpr 1
		.amdhsa_reserve_vcc 0
		.amdhsa_float_round_mode_32 0
		.amdhsa_float_round_mode_16_64 0
		.amdhsa_float_denorm_mode_32 3
		.amdhsa_float_denorm_mode_16_64 3
		.amdhsa_dx10_clamp 1
		.amdhsa_ieee_mode 1
		.amdhsa_fp16_overflow 0
		.amdhsa_workgroup_processor_mode 1
		.amdhsa_memory_ordered 1
		.amdhsa_forward_progress 0
		.amdhsa_shared_vgpr_count 0
		.amdhsa_exception_fp_ieee_invalid_op 0
		.amdhsa_exception_fp_denorm_src 0
		.amdhsa_exception_fp_ieee_div_zero 0
		.amdhsa_exception_fp_ieee_overflow 0
		.amdhsa_exception_fp_ieee_underflow 0
		.amdhsa_exception_fp_ieee_inexact 0
		.amdhsa_exception_int_div_zero 0
	.end_amdhsa_kernel
	.section	.text._ZN7rocprim17ROCPRIM_400000_NS6detail17trampoline_kernelINS0_13select_configILj256ELj13ELNS0_17block_load_methodE3ELS4_3ELS4_3ELNS0_20block_scan_algorithmE0ELj4294967295EEENS1_25partition_config_selectorILNS1_17partition_subalgoE3EjNS0_10empty_typeEbEEZZNS1_14partition_implILS8_3ELb0ES6_jNS0_17counting_iteratorIjlEEPS9_SE_NS0_5tupleIJPjSE_EEENSF_IJSE_SE_EEES9_SG_JZNS1_25segmented_radix_sort_implINS0_14default_configELb1EPKhPhPKlPlN2at6native12_GLOBAL__N_18offset_tEEE10hipError_tPvRmT1_PNSt15iterator_traitsISY_E10value_typeET2_T3_PNSZ_IS14_E10value_typeET4_jRbjT5_S1A_jjP12ihipStream_tbEUljE_EEESV_SW_SX_S14_S18_S1A_T6_T7_T9_mT8_S1C_bDpT10_ENKUlT_T0_E_clISt17integral_constantIbLb1EES1P_EEDaS1K_S1L_EUlS1K_E_NS1_11comp_targetILNS1_3genE8ELNS1_11target_archE1030ELNS1_3gpuE2ELNS1_3repE0EEENS1_30default_config_static_selectorELNS0_4arch9wavefront6targetE0EEEvSY_,"axG",@progbits,_ZN7rocprim17ROCPRIM_400000_NS6detail17trampoline_kernelINS0_13select_configILj256ELj13ELNS0_17block_load_methodE3ELS4_3ELS4_3ELNS0_20block_scan_algorithmE0ELj4294967295EEENS1_25partition_config_selectorILNS1_17partition_subalgoE3EjNS0_10empty_typeEbEEZZNS1_14partition_implILS8_3ELb0ES6_jNS0_17counting_iteratorIjlEEPS9_SE_NS0_5tupleIJPjSE_EEENSF_IJSE_SE_EEES9_SG_JZNS1_25segmented_radix_sort_implINS0_14default_configELb1EPKhPhPKlPlN2at6native12_GLOBAL__N_18offset_tEEE10hipError_tPvRmT1_PNSt15iterator_traitsISY_E10value_typeET2_T3_PNSZ_IS14_E10value_typeET4_jRbjT5_S1A_jjP12ihipStream_tbEUljE_EEESV_SW_SX_S14_S18_S1A_T6_T7_T9_mT8_S1C_bDpT10_ENKUlT_T0_E_clISt17integral_constantIbLb1EES1P_EEDaS1K_S1L_EUlS1K_E_NS1_11comp_targetILNS1_3genE8ELNS1_11target_archE1030ELNS1_3gpuE2ELNS1_3repE0EEENS1_30default_config_static_selectorELNS0_4arch9wavefront6targetE0EEEvSY_,comdat
.Lfunc_end64:
	.size	_ZN7rocprim17ROCPRIM_400000_NS6detail17trampoline_kernelINS0_13select_configILj256ELj13ELNS0_17block_load_methodE3ELS4_3ELS4_3ELNS0_20block_scan_algorithmE0ELj4294967295EEENS1_25partition_config_selectorILNS1_17partition_subalgoE3EjNS0_10empty_typeEbEEZZNS1_14partition_implILS8_3ELb0ES6_jNS0_17counting_iteratorIjlEEPS9_SE_NS0_5tupleIJPjSE_EEENSF_IJSE_SE_EEES9_SG_JZNS1_25segmented_radix_sort_implINS0_14default_configELb1EPKhPhPKlPlN2at6native12_GLOBAL__N_18offset_tEEE10hipError_tPvRmT1_PNSt15iterator_traitsISY_E10value_typeET2_T3_PNSZ_IS14_E10value_typeET4_jRbjT5_S1A_jjP12ihipStream_tbEUljE_EEESV_SW_SX_S14_S18_S1A_T6_T7_T9_mT8_S1C_bDpT10_ENKUlT_T0_E_clISt17integral_constantIbLb1EES1P_EEDaS1K_S1L_EUlS1K_E_NS1_11comp_targetILNS1_3genE8ELNS1_11target_archE1030ELNS1_3gpuE2ELNS1_3repE0EEENS1_30default_config_static_selectorELNS0_4arch9wavefront6targetE0EEEvSY_, .Lfunc_end64-_ZN7rocprim17ROCPRIM_400000_NS6detail17trampoline_kernelINS0_13select_configILj256ELj13ELNS0_17block_load_methodE3ELS4_3ELS4_3ELNS0_20block_scan_algorithmE0ELj4294967295EEENS1_25partition_config_selectorILNS1_17partition_subalgoE3EjNS0_10empty_typeEbEEZZNS1_14partition_implILS8_3ELb0ES6_jNS0_17counting_iteratorIjlEEPS9_SE_NS0_5tupleIJPjSE_EEENSF_IJSE_SE_EEES9_SG_JZNS1_25segmented_radix_sort_implINS0_14default_configELb1EPKhPhPKlPlN2at6native12_GLOBAL__N_18offset_tEEE10hipError_tPvRmT1_PNSt15iterator_traitsISY_E10value_typeET2_T3_PNSZ_IS14_E10value_typeET4_jRbjT5_S1A_jjP12ihipStream_tbEUljE_EEESV_SW_SX_S14_S18_S1A_T6_T7_T9_mT8_S1C_bDpT10_ENKUlT_T0_E_clISt17integral_constantIbLb1EES1P_EEDaS1K_S1L_EUlS1K_E_NS1_11comp_targetILNS1_3genE8ELNS1_11target_archE1030ELNS1_3gpuE2ELNS1_3repE0EEENS1_30default_config_static_selectorELNS0_4arch9wavefront6targetE0EEEvSY_
                                        ; -- End function
	.section	.AMDGPU.csdata,"",@progbits
; Kernel info:
; codeLenInByte = 0
; NumSgprs: 0
; NumVgprs: 0
; ScratchSize: 0
; MemoryBound: 0
; FloatMode: 240
; IeeeMode: 1
; LDSByteSize: 0 bytes/workgroup (compile time only)
; SGPRBlocks: 0
; VGPRBlocks: 0
; NumSGPRsForWavesPerEU: 1
; NumVGPRsForWavesPerEU: 1
; Occupancy: 16
; WaveLimiterHint : 0
; COMPUTE_PGM_RSRC2:SCRATCH_EN: 0
; COMPUTE_PGM_RSRC2:USER_SGPR: 15
; COMPUTE_PGM_RSRC2:TRAP_HANDLER: 0
; COMPUTE_PGM_RSRC2:TGID_X_EN: 1
; COMPUTE_PGM_RSRC2:TGID_Y_EN: 0
; COMPUTE_PGM_RSRC2:TGID_Z_EN: 0
; COMPUTE_PGM_RSRC2:TIDIG_COMP_CNT: 0
	.section	.text._ZN7rocprim17ROCPRIM_400000_NS6detail31init_lookback_scan_state_kernelINS1_19lookback_scan_stateIjLb1ELb1EEENS1_16block_id_wrapperIjLb0EEEEEvT_jT0_jPNS7_10value_typeE,"axG",@progbits,_ZN7rocprim17ROCPRIM_400000_NS6detail31init_lookback_scan_state_kernelINS1_19lookback_scan_stateIjLb1ELb1EEENS1_16block_id_wrapperIjLb0EEEEEvT_jT0_jPNS7_10value_typeE,comdat
	.protected	_ZN7rocprim17ROCPRIM_400000_NS6detail31init_lookback_scan_state_kernelINS1_19lookback_scan_stateIjLb1ELb1EEENS1_16block_id_wrapperIjLb0EEEEEvT_jT0_jPNS7_10value_typeE ; -- Begin function _ZN7rocprim17ROCPRIM_400000_NS6detail31init_lookback_scan_state_kernelINS1_19lookback_scan_stateIjLb1ELb1EEENS1_16block_id_wrapperIjLb0EEEEEvT_jT0_jPNS7_10value_typeE
	.globl	_ZN7rocprim17ROCPRIM_400000_NS6detail31init_lookback_scan_state_kernelINS1_19lookback_scan_stateIjLb1ELb1EEENS1_16block_id_wrapperIjLb0EEEEEvT_jT0_jPNS7_10value_typeE
	.p2align	8
	.type	_ZN7rocprim17ROCPRIM_400000_NS6detail31init_lookback_scan_state_kernelINS1_19lookback_scan_stateIjLb1ELb1EEENS1_16block_id_wrapperIjLb0EEEEEvT_jT0_jPNS7_10value_typeE,@function
_ZN7rocprim17ROCPRIM_400000_NS6detail31init_lookback_scan_state_kernelINS1_19lookback_scan_stateIjLb1ELb1EEENS1_16block_id_wrapperIjLb0EEEEEvT_jT0_jPNS7_10value_typeE: ; @_ZN7rocprim17ROCPRIM_400000_NS6detail31init_lookback_scan_state_kernelINS1_19lookback_scan_stateIjLb1ELb1EEENS1_16block_id_wrapperIjLb0EEEEEvT_jT0_jPNS7_10value_typeE
; %bb.0:
	s_clause 0x3
	s_load_b32 s7, s[0:1], 0x2c
	s_load_b64 s[4:5], s[0:1], 0x18
	s_load_b64 s[2:3], s[0:1], 0x0
	s_load_b32 s6, s[0:1], 0x8
	s_waitcnt lgkmcnt(0)
	s_and_b32 s7, s7, 0xffff
	s_cmp_eq_u64 s[4:5], 0
	v_mad_u64_u32 v[1:2], null, s15, s7, v[0:1]
	s_cbranch_scc1 .LBB65_9
; %bb.1:
	s_load_b32 s0, s[0:1], 0x10
	s_waitcnt lgkmcnt(0)
	s_cmp_lt_u32 s0, s6
	s_cselect_b32 s1, s0, 0
	s_delay_alu instid0(VALU_DEP_1) | instid1(SALU_CYCLE_1)
	v_cmp_eq_u32_e32 vcc_lo, s1, v1
	s_mov_b32 s1, 0
	s_and_saveexec_b32 s7, vcc_lo
	s_cbranch_execz .LBB65_8
; %bb.2:
	s_add_i32 s0, s0, 32
	v_mov_b32_e32 v2, 0
	s_lshl_b64 s[0:1], s[0:1], 3
	s_delay_alu instid0(SALU_CYCLE_1) | instskip(SKIP_4) | instid1(VALU_DEP_1)
	s_add_u32 s0, s2, s0
	s_addc_u32 s1, s3, s1
	global_load_b64 v[4:5], v2, s[0:1] glc
	s_waitcnt vmcnt(0)
	v_and_b32_e32 v3, 0xff, v5
	v_cmp_ne_u64_e32 vcc_lo, 0, v[2:3]
	s_cbranch_vccnz .LBB65_7
; %bb.3:
	s_mov_b32 s8, 1
.LBB65_4:                               ; =>This Loop Header: Depth=1
                                        ;     Child Loop BB65_5 Depth 2
	s_delay_alu instid0(SALU_CYCLE_1)
	s_max_u32 s9, s8, 1
.LBB65_5:                               ;   Parent Loop BB65_4 Depth=1
                                        ; =>  This Inner Loop Header: Depth=2
	s_delay_alu instid0(SALU_CYCLE_1)
	s_add_i32 s9, s9, -1
	s_sleep 1
	s_cmp_eq_u32 s9, 0
	s_cbranch_scc0 .LBB65_5
; %bb.6:                                ;   in Loop: Header=BB65_4 Depth=1
	global_load_b64 v[4:5], v2, s[0:1] glc
	s_cmp_lt_u32 s8, 32
	s_cselect_b32 s9, -1, 0
	s_delay_alu instid0(SALU_CYCLE_1) | instskip(SKIP_3) | instid1(VALU_DEP_1)
	s_cmp_lg_u32 s9, 0
	s_addc_u32 s8, s8, 0
	s_waitcnt vmcnt(0)
	v_and_b32_e32 v3, 0xff, v5
	v_cmp_ne_u64_e32 vcc_lo, 0, v[2:3]
	s_cbranch_vccz .LBB65_4
.LBB65_7:
	v_mov_b32_e32 v0, 0
	global_store_b32 v0, v4, s[4:5]
.LBB65_8:
	s_or_b32 exec_lo, exec_lo, s7
.LBB65_9:
	s_delay_alu instid0(SALU_CYCLE_1) | instskip(NEXT) | instid1(VALU_DEP_1)
	s_mov_b32 s0, exec_lo
	v_cmpx_gt_u32_e64 s6, v1
	s_cbranch_execz .LBB65_11
; %bb.10:
	v_dual_mov_b32 v3, 0 :: v_dual_add_nc_u32 v2, 32, v1
	s_delay_alu instid0(VALU_DEP_1) | instskip(SKIP_1) | instid1(VALU_DEP_2)
	v_lshlrev_b64 v[4:5], 3, v[2:3]
	v_mov_b32_e32 v2, v3
	v_add_co_u32 v4, vcc_lo, s2, v4
	s_delay_alu instid0(VALU_DEP_3)
	v_add_co_ci_u32_e32 v5, vcc_lo, s3, v5, vcc_lo
	global_store_b64 v[4:5], v[2:3], off
.LBB65_11:
	s_or_b32 exec_lo, exec_lo, s0
	s_delay_alu instid0(SALU_CYCLE_1)
	s_mov_b32 s0, exec_lo
	v_cmpx_gt_u32_e32 32, v1
	s_cbranch_execz .LBB65_13
; %bb.12:
	v_dual_mov_b32 v2, 0 :: v_dual_mov_b32 v3, 0xff
	s_delay_alu instid0(VALU_DEP_1) | instskip(NEXT) | instid1(VALU_DEP_1)
	v_lshlrev_b64 v[0:1], 3, v[1:2]
	v_add_co_u32 v0, vcc_lo, s2, v0
	s_delay_alu instid0(VALU_DEP_2)
	v_add_co_ci_u32_e32 v1, vcc_lo, s3, v1, vcc_lo
	global_store_b64 v[0:1], v[2:3], off
.LBB65_13:
	s_nop 0
	s_sendmsg sendmsg(MSG_DEALLOC_VGPRS)
	s_endpgm
	.section	.rodata,"a",@progbits
	.p2align	6, 0x0
	.amdhsa_kernel _ZN7rocprim17ROCPRIM_400000_NS6detail31init_lookback_scan_state_kernelINS1_19lookback_scan_stateIjLb1ELb1EEENS1_16block_id_wrapperIjLb0EEEEEvT_jT0_jPNS7_10value_typeE
		.amdhsa_group_segment_fixed_size 0
		.amdhsa_private_segment_fixed_size 0
		.amdhsa_kernarg_size 288
		.amdhsa_user_sgpr_count 15
		.amdhsa_user_sgpr_dispatch_ptr 0
		.amdhsa_user_sgpr_queue_ptr 0
		.amdhsa_user_sgpr_kernarg_segment_ptr 1
		.amdhsa_user_sgpr_dispatch_id 0
		.amdhsa_user_sgpr_private_segment_size 0
		.amdhsa_wavefront_size32 1
		.amdhsa_uses_dynamic_stack 0
		.amdhsa_enable_private_segment 0
		.amdhsa_system_sgpr_workgroup_id_x 1
		.amdhsa_system_sgpr_workgroup_id_y 0
		.amdhsa_system_sgpr_workgroup_id_z 0
		.amdhsa_system_sgpr_workgroup_info 0
		.amdhsa_system_vgpr_workitem_id 0
		.amdhsa_next_free_vgpr 6
		.amdhsa_next_free_sgpr 16
		.amdhsa_reserve_vcc 1
		.amdhsa_float_round_mode_32 0
		.amdhsa_float_round_mode_16_64 0
		.amdhsa_float_denorm_mode_32 3
		.amdhsa_float_denorm_mode_16_64 3
		.amdhsa_dx10_clamp 1
		.amdhsa_ieee_mode 1
		.amdhsa_fp16_overflow 0
		.amdhsa_workgroup_processor_mode 1
		.amdhsa_memory_ordered 1
		.amdhsa_forward_progress 0
		.amdhsa_shared_vgpr_count 0
		.amdhsa_exception_fp_ieee_invalid_op 0
		.amdhsa_exception_fp_denorm_src 0
		.amdhsa_exception_fp_ieee_div_zero 0
		.amdhsa_exception_fp_ieee_overflow 0
		.amdhsa_exception_fp_ieee_underflow 0
		.amdhsa_exception_fp_ieee_inexact 0
		.amdhsa_exception_int_div_zero 0
	.end_amdhsa_kernel
	.section	.text._ZN7rocprim17ROCPRIM_400000_NS6detail31init_lookback_scan_state_kernelINS1_19lookback_scan_stateIjLb1ELb1EEENS1_16block_id_wrapperIjLb0EEEEEvT_jT0_jPNS7_10value_typeE,"axG",@progbits,_ZN7rocprim17ROCPRIM_400000_NS6detail31init_lookback_scan_state_kernelINS1_19lookback_scan_stateIjLb1ELb1EEENS1_16block_id_wrapperIjLb0EEEEEvT_jT0_jPNS7_10value_typeE,comdat
.Lfunc_end65:
	.size	_ZN7rocprim17ROCPRIM_400000_NS6detail31init_lookback_scan_state_kernelINS1_19lookback_scan_stateIjLb1ELb1EEENS1_16block_id_wrapperIjLb0EEEEEvT_jT0_jPNS7_10value_typeE, .Lfunc_end65-_ZN7rocprim17ROCPRIM_400000_NS6detail31init_lookback_scan_state_kernelINS1_19lookback_scan_stateIjLb1ELb1EEENS1_16block_id_wrapperIjLb0EEEEEvT_jT0_jPNS7_10value_typeE
                                        ; -- End function
	.section	.AMDGPU.csdata,"",@progbits
; Kernel info:
; codeLenInByte = 400
; NumSgprs: 18
; NumVgprs: 6
; ScratchSize: 0
; MemoryBound: 0
; FloatMode: 240
; IeeeMode: 1
; LDSByteSize: 0 bytes/workgroup (compile time only)
; SGPRBlocks: 2
; VGPRBlocks: 0
; NumSGPRsForWavesPerEU: 18
; NumVGPRsForWavesPerEU: 6
; Occupancy: 16
; WaveLimiterHint : 0
; COMPUTE_PGM_RSRC2:SCRATCH_EN: 0
; COMPUTE_PGM_RSRC2:USER_SGPR: 15
; COMPUTE_PGM_RSRC2:TRAP_HANDLER: 0
; COMPUTE_PGM_RSRC2:TGID_X_EN: 1
; COMPUTE_PGM_RSRC2:TGID_Y_EN: 0
; COMPUTE_PGM_RSRC2:TGID_Z_EN: 0
; COMPUTE_PGM_RSRC2:TIDIG_COMP_CNT: 0
	.section	.text._ZN7rocprim17ROCPRIM_400000_NS6detail17trampoline_kernelINS0_13select_configILj256ELj13ELNS0_17block_load_methodE3ELS4_3ELS4_3ELNS0_20block_scan_algorithmE0ELj4294967295EEENS1_25partition_config_selectorILNS1_17partition_subalgoE3EjNS0_10empty_typeEbEEZZNS1_14partition_implILS8_3ELb0ES6_jNS0_17counting_iteratorIjlEEPS9_SE_NS0_5tupleIJPjSE_EEENSF_IJSE_SE_EEES9_SG_JZNS1_25segmented_radix_sort_implINS0_14default_configELb1EPKhPhPKlPlN2at6native12_GLOBAL__N_18offset_tEEE10hipError_tPvRmT1_PNSt15iterator_traitsISY_E10value_typeET2_T3_PNSZ_IS14_E10value_typeET4_jRbjT5_S1A_jjP12ihipStream_tbEUljE_EEESV_SW_SX_S14_S18_S1A_T6_T7_T9_mT8_S1C_bDpT10_ENKUlT_T0_E_clISt17integral_constantIbLb1EES1O_IbLb0EEEEDaS1K_S1L_EUlS1K_E_NS1_11comp_targetILNS1_3genE0ELNS1_11target_archE4294967295ELNS1_3gpuE0ELNS1_3repE0EEENS1_30default_config_static_selectorELNS0_4arch9wavefront6targetE0EEEvSY_,"axG",@progbits,_ZN7rocprim17ROCPRIM_400000_NS6detail17trampoline_kernelINS0_13select_configILj256ELj13ELNS0_17block_load_methodE3ELS4_3ELS4_3ELNS0_20block_scan_algorithmE0ELj4294967295EEENS1_25partition_config_selectorILNS1_17partition_subalgoE3EjNS0_10empty_typeEbEEZZNS1_14partition_implILS8_3ELb0ES6_jNS0_17counting_iteratorIjlEEPS9_SE_NS0_5tupleIJPjSE_EEENSF_IJSE_SE_EEES9_SG_JZNS1_25segmented_radix_sort_implINS0_14default_configELb1EPKhPhPKlPlN2at6native12_GLOBAL__N_18offset_tEEE10hipError_tPvRmT1_PNSt15iterator_traitsISY_E10value_typeET2_T3_PNSZ_IS14_E10value_typeET4_jRbjT5_S1A_jjP12ihipStream_tbEUljE_EEESV_SW_SX_S14_S18_S1A_T6_T7_T9_mT8_S1C_bDpT10_ENKUlT_T0_E_clISt17integral_constantIbLb1EES1O_IbLb0EEEEDaS1K_S1L_EUlS1K_E_NS1_11comp_targetILNS1_3genE0ELNS1_11target_archE4294967295ELNS1_3gpuE0ELNS1_3repE0EEENS1_30default_config_static_selectorELNS0_4arch9wavefront6targetE0EEEvSY_,comdat
	.globl	_ZN7rocprim17ROCPRIM_400000_NS6detail17trampoline_kernelINS0_13select_configILj256ELj13ELNS0_17block_load_methodE3ELS4_3ELS4_3ELNS0_20block_scan_algorithmE0ELj4294967295EEENS1_25partition_config_selectorILNS1_17partition_subalgoE3EjNS0_10empty_typeEbEEZZNS1_14partition_implILS8_3ELb0ES6_jNS0_17counting_iteratorIjlEEPS9_SE_NS0_5tupleIJPjSE_EEENSF_IJSE_SE_EEES9_SG_JZNS1_25segmented_radix_sort_implINS0_14default_configELb1EPKhPhPKlPlN2at6native12_GLOBAL__N_18offset_tEEE10hipError_tPvRmT1_PNSt15iterator_traitsISY_E10value_typeET2_T3_PNSZ_IS14_E10value_typeET4_jRbjT5_S1A_jjP12ihipStream_tbEUljE_EEESV_SW_SX_S14_S18_S1A_T6_T7_T9_mT8_S1C_bDpT10_ENKUlT_T0_E_clISt17integral_constantIbLb1EES1O_IbLb0EEEEDaS1K_S1L_EUlS1K_E_NS1_11comp_targetILNS1_3genE0ELNS1_11target_archE4294967295ELNS1_3gpuE0ELNS1_3repE0EEENS1_30default_config_static_selectorELNS0_4arch9wavefront6targetE0EEEvSY_ ; -- Begin function _ZN7rocprim17ROCPRIM_400000_NS6detail17trampoline_kernelINS0_13select_configILj256ELj13ELNS0_17block_load_methodE3ELS4_3ELS4_3ELNS0_20block_scan_algorithmE0ELj4294967295EEENS1_25partition_config_selectorILNS1_17partition_subalgoE3EjNS0_10empty_typeEbEEZZNS1_14partition_implILS8_3ELb0ES6_jNS0_17counting_iteratorIjlEEPS9_SE_NS0_5tupleIJPjSE_EEENSF_IJSE_SE_EEES9_SG_JZNS1_25segmented_radix_sort_implINS0_14default_configELb1EPKhPhPKlPlN2at6native12_GLOBAL__N_18offset_tEEE10hipError_tPvRmT1_PNSt15iterator_traitsISY_E10value_typeET2_T3_PNSZ_IS14_E10value_typeET4_jRbjT5_S1A_jjP12ihipStream_tbEUljE_EEESV_SW_SX_S14_S18_S1A_T6_T7_T9_mT8_S1C_bDpT10_ENKUlT_T0_E_clISt17integral_constantIbLb1EES1O_IbLb0EEEEDaS1K_S1L_EUlS1K_E_NS1_11comp_targetILNS1_3genE0ELNS1_11target_archE4294967295ELNS1_3gpuE0ELNS1_3repE0EEENS1_30default_config_static_selectorELNS0_4arch9wavefront6targetE0EEEvSY_
	.p2align	8
	.type	_ZN7rocprim17ROCPRIM_400000_NS6detail17trampoline_kernelINS0_13select_configILj256ELj13ELNS0_17block_load_methodE3ELS4_3ELS4_3ELNS0_20block_scan_algorithmE0ELj4294967295EEENS1_25partition_config_selectorILNS1_17partition_subalgoE3EjNS0_10empty_typeEbEEZZNS1_14partition_implILS8_3ELb0ES6_jNS0_17counting_iteratorIjlEEPS9_SE_NS0_5tupleIJPjSE_EEENSF_IJSE_SE_EEES9_SG_JZNS1_25segmented_radix_sort_implINS0_14default_configELb1EPKhPhPKlPlN2at6native12_GLOBAL__N_18offset_tEEE10hipError_tPvRmT1_PNSt15iterator_traitsISY_E10value_typeET2_T3_PNSZ_IS14_E10value_typeET4_jRbjT5_S1A_jjP12ihipStream_tbEUljE_EEESV_SW_SX_S14_S18_S1A_T6_T7_T9_mT8_S1C_bDpT10_ENKUlT_T0_E_clISt17integral_constantIbLb1EES1O_IbLb0EEEEDaS1K_S1L_EUlS1K_E_NS1_11comp_targetILNS1_3genE0ELNS1_11target_archE4294967295ELNS1_3gpuE0ELNS1_3repE0EEENS1_30default_config_static_selectorELNS0_4arch9wavefront6targetE0EEEvSY_,@function
_ZN7rocprim17ROCPRIM_400000_NS6detail17trampoline_kernelINS0_13select_configILj256ELj13ELNS0_17block_load_methodE3ELS4_3ELS4_3ELNS0_20block_scan_algorithmE0ELj4294967295EEENS1_25partition_config_selectorILNS1_17partition_subalgoE3EjNS0_10empty_typeEbEEZZNS1_14partition_implILS8_3ELb0ES6_jNS0_17counting_iteratorIjlEEPS9_SE_NS0_5tupleIJPjSE_EEENSF_IJSE_SE_EEES9_SG_JZNS1_25segmented_radix_sort_implINS0_14default_configELb1EPKhPhPKlPlN2at6native12_GLOBAL__N_18offset_tEEE10hipError_tPvRmT1_PNSt15iterator_traitsISY_E10value_typeET2_T3_PNSZ_IS14_E10value_typeET4_jRbjT5_S1A_jjP12ihipStream_tbEUljE_EEESV_SW_SX_S14_S18_S1A_T6_T7_T9_mT8_S1C_bDpT10_ENKUlT_T0_E_clISt17integral_constantIbLb1EES1O_IbLb0EEEEDaS1K_S1L_EUlS1K_E_NS1_11comp_targetILNS1_3genE0ELNS1_11target_archE4294967295ELNS1_3gpuE0ELNS1_3repE0EEENS1_30default_config_static_selectorELNS0_4arch9wavefront6targetE0EEEvSY_: ; @_ZN7rocprim17ROCPRIM_400000_NS6detail17trampoline_kernelINS0_13select_configILj256ELj13ELNS0_17block_load_methodE3ELS4_3ELS4_3ELNS0_20block_scan_algorithmE0ELj4294967295EEENS1_25partition_config_selectorILNS1_17partition_subalgoE3EjNS0_10empty_typeEbEEZZNS1_14partition_implILS8_3ELb0ES6_jNS0_17counting_iteratorIjlEEPS9_SE_NS0_5tupleIJPjSE_EEENSF_IJSE_SE_EEES9_SG_JZNS1_25segmented_radix_sort_implINS0_14default_configELb1EPKhPhPKlPlN2at6native12_GLOBAL__N_18offset_tEEE10hipError_tPvRmT1_PNSt15iterator_traitsISY_E10value_typeET2_T3_PNSZ_IS14_E10value_typeET4_jRbjT5_S1A_jjP12ihipStream_tbEUljE_EEESV_SW_SX_S14_S18_S1A_T6_T7_T9_mT8_S1C_bDpT10_ENKUlT_T0_E_clISt17integral_constantIbLb1EES1O_IbLb0EEEEDaS1K_S1L_EUlS1K_E_NS1_11comp_targetILNS1_3genE0ELNS1_11target_archE4294967295ELNS1_3gpuE0ELNS1_3repE0EEENS1_30default_config_static_selectorELNS0_4arch9wavefront6targetE0EEEvSY_
; %bb.0:
	.section	.rodata,"a",@progbits
	.p2align	6, 0x0
	.amdhsa_kernel _ZN7rocprim17ROCPRIM_400000_NS6detail17trampoline_kernelINS0_13select_configILj256ELj13ELNS0_17block_load_methodE3ELS4_3ELS4_3ELNS0_20block_scan_algorithmE0ELj4294967295EEENS1_25partition_config_selectorILNS1_17partition_subalgoE3EjNS0_10empty_typeEbEEZZNS1_14partition_implILS8_3ELb0ES6_jNS0_17counting_iteratorIjlEEPS9_SE_NS0_5tupleIJPjSE_EEENSF_IJSE_SE_EEES9_SG_JZNS1_25segmented_radix_sort_implINS0_14default_configELb1EPKhPhPKlPlN2at6native12_GLOBAL__N_18offset_tEEE10hipError_tPvRmT1_PNSt15iterator_traitsISY_E10value_typeET2_T3_PNSZ_IS14_E10value_typeET4_jRbjT5_S1A_jjP12ihipStream_tbEUljE_EEESV_SW_SX_S14_S18_S1A_T6_T7_T9_mT8_S1C_bDpT10_ENKUlT_T0_E_clISt17integral_constantIbLb1EES1O_IbLb0EEEEDaS1K_S1L_EUlS1K_E_NS1_11comp_targetILNS1_3genE0ELNS1_11target_archE4294967295ELNS1_3gpuE0ELNS1_3repE0EEENS1_30default_config_static_selectorELNS0_4arch9wavefront6targetE0EEEvSY_
		.amdhsa_group_segment_fixed_size 0
		.amdhsa_private_segment_fixed_size 0
		.amdhsa_kernarg_size 144
		.amdhsa_user_sgpr_count 15
		.amdhsa_user_sgpr_dispatch_ptr 0
		.amdhsa_user_sgpr_queue_ptr 0
		.amdhsa_user_sgpr_kernarg_segment_ptr 1
		.amdhsa_user_sgpr_dispatch_id 0
		.amdhsa_user_sgpr_private_segment_size 0
		.amdhsa_wavefront_size32 1
		.amdhsa_uses_dynamic_stack 0
		.amdhsa_enable_private_segment 0
		.amdhsa_system_sgpr_workgroup_id_x 1
		.amdhsa_system_sgpr_workgroup_id_y 0
		.amdhsa_system_sgpr_workgroup_id_z 0
		.amdhsa_system_sgpr_workgroup_info 0
		.amdhsa_system_vgpr_workitem_id 0
		.amdhsa_next_free_vgpr 1
		.amdhsa_next_free_sgpr 1
		.amdhsa_reserve_vcc 0
		.amdhsa_float_round_mode_32 0
		.amdhsa_float_round_mode_16_64 0
		.amdhsa_float_denorm_mode_32 3
		.amdhsa_float_denorm_mode_16_64 3
		.amdhsa_dx10_clamp 1
		.amdhsa_ieee_mode 1
		.amdhsa_fp16_overflow 0
		.amdhsa_workgroup_processor_mode 1
		.amdhsa_memory_ordered 1
		.amdhsa_forward_progress 0
		.amdhsa_shared_vgpr_count 0
		.amdhsa_exception_fp_ieee_invalid_op 0
		.amdhsa_exception_fp_denorm_src 0
		.amdhsa_exception_fp_ieee_div_zero 0
		.amdhsa_exception_fp_ieee_overflow 0
		.amdhsa_exception_fp_ieee_underflow 0
		.amdhsa_exception_fp_ieee_inexact 0
		.amdhsa_exception_int_div_zero 0
	.end_amdhsa_kernel
	.section	.text._ZN7rocprim17ROCPRIM_400000_NS6detail17trampoline_kernelINS0_13select_configILj256ELj13ELNS0_17block_load_methodE3ELS4_3ELS4_3ELNS0_20block_scan_algorithmE0ELj4294967295EEENS1_25partition_config_selectorILNS1_17partition_subalgoE3EjNS0_10empty_typeEbEEZZNS1_14partition_implILS8_3ELb0ES6_jNS0_17counting_iteratorIjlEEPS9_SE_NS0_5tupleIJPjSE_EEENSF_IJSE_SE_EEES9_SG_JZNS1_25segmented_radix_sort_implINS0_14default_configELb1EPKhPhPKlPlN2at6native12_GLOBAL__N_18offset_tEEE10hipError_tPvRmT1_PNSt15iterator_traitsISY_E10value_typeET2_T3_PNSZ_IS14_E10value_typeET4_jRbjT5_S1A_jjP12ihipStream_tbEUljE_EEESV_SW_SX_S14_S18_S1A_T6_T7_T9_mT8_S1C_bDpT10_ENKUlT_T0_E_clISt17integral_constantIbLb1EES1O_IbLb0EEEEDaS1K_S1L_EUlS1K_E_NS1_11comp_targetILNS1_3genE0ELNS1_11target_archE4294967295ELNS1_3gpuE0ELNS1_3repE0EEENS1_30default_config_static_selectorELNS0_4arch9wavefront6targetE0EEEvSY_,"axG",@progbits,_ZN7rocprim17ROCPRIM_400000_NS6detail17trampoline_kernelINS0_13select_configILj256ELj13ELNS0_17block_load_methodE3ELS4_3ELS4_3ELNS0_20block_scan_algorithmE0ELj4294967295EEENS1_25partition_config_selectorILNS1_17partition_subalgoE3EjNS0_10empty_typeEbEEZZNS1_14partition_implILS8_3ELb0ES6_jNS0_17counting_iteratorIjlEEPS9_SE_NS0_5tupleIJPjSE_EEENSF_IJSE_SE_EEES9_SG_JZNS1_25segmented_radix_sort_implINS0_14default_configELb1EPKhPhPKlPlN2at6native12_GLOBAL__N_18offset_tEEE10hipError_tPvRmT1_PNSt15iterator_traitsISY_E10value_typeET2_T3_PNSZ_IS14_E10value_typeET4_jRbjT5_S1A_jjP12ihipStream_tbEUljE_EEESV_SW_SX_S14_S18_S1A_T6_T7_T9_mT8_S1C_bDpT10_ENKUlT_T0_E_clISt17integral_constantIbLb1EES1O_IbLb0EEEEDaS1K_S1L_EUlS1K_E_NS1_11comp_targetILNS1_3genE0ELNS1_11target_archE4294967295ELNS1_3gpuE0ELNS1_3repE0EEENS1_30default_config_static_selectorELNS0_4arch9wavefront6targetE0EEEvSY_,comdat
.Lfunc_end66:
	.size	_ZN7rocprim17ROCPRIM_400000_NS6detail17trampoline_kernelINS0_13select_configILj256ELj13ELNS0_17block_load_methodE3ELS4_3ELS4_3ELNS0_20block_scan_algorithmE0ELj4294967295EEENS1_25partition_config_selectorILNS1_17partition_subalgoE3EjNS0_10empty_typeEbEEZZNS1_14partition_implILS8_3ELb0ES6_jNS0_17counting_iteratorIjlEEPS9_SE_NS0_5tupleIJPjSE_EEENSF_IJSE_SE_EEES9_SG_JZNS1_25segmented_radix_sort_implINS0_14default_configELb1EPKhPhPKlPlN2at6native12_GLOBAL__N_18offset_tEEE10hipError_tPvRmT1_PNSt15iterator_traitsISY_E10value_typeET2_T3_PNSZ_IS14_E10value_typeET4_jRbjT5_S1A_jjP12ihipStream_tbEUljE_EEESV_SW_SX_S14_S18_S1A_T6_T7_T9_mT8_S1C_bDpT10_ENKUlT_T0_E_clISt17integral_constantIbLb1EES1O_IbLb0EEEEDaS1K_S1L_EUlS1K_E_NS1_11comp_targetILNS1_3genE0ELNS1_11target_archE4294967295ELNS1_3gpuE0ELNS1_3repE0EEENS1_30default_config_static_selectorELNS0_4arch9wavefront6targetE0EEEvSY_, .Lfunc_end66-_ZN7rocprim17ROCPRIM_400000_NS6detail17trampoline_kernelINS0_13select_configILj256ELj13ELNS0_17block_load_methodE3ELS4_3ELS4_3ELNS0_20block_scan_algorithmE0ELj4294967295EEENS1_25partition_config_selectorILNS1_17partition_subalgoE3EjNS0_10empty_typeEbEEZZNS1_14partition_implILS8_3ELb0ES6_jNS0_17counting_iteratorIjlEEPS9_SE_NS0_5tupleIJPjSE_EEENSF_IJSE_SE_EEES9_SG_JZNS1_25segmented_radix_sort_implINS0_14default_configELb1EPKhPhPKlPlN2at6native12_GLOBAL__N_18offset_tEEE10hipError_tPvRmT1_PNSt15iterator_traitsISY_E10value_typeET2_T3_PNSZ_IS14_E10value_typeET4_jRbjT5_S1A_jjP12ihipStream_tbEUljE_EEESV_SW_SX_S14_S18_S1A_T6_T7_T9_mT8_S1C_bDpT10_ENKUlT_T0_E_clISt17integral_constantIbLb1EES1O_IbLb0EEEEDaS1K_S1L_EUlS1K_E_NS1_11comp_targetILNS1_3genE0ELNS1_11target_archE4294967295ELNS1_3gpuE0ELNS1_3repE0EEENS1_30default_config_static_selectorELNS0_4arch9wavefront6targetE0EEEvSY_
                                        ; -- End function
	.section	.AMDGPU.csdata,"",@progbits
; Kernel info:
; codeLenInByte = 0
; NumSgprs: 0
; NumVgprs: 0
; ScratchSize: 0
; MemoryBound: 0
; FloatMode: 240
; IeeeMode: 1
; LDSByteSize: 0 bytes/workgroup (compile time only)
; SGPRBlocks: 0
; VGPRBlocks: 0
; NumSGPRsForWavesPerEU: 1
; NumVGPRsForWavesPerEU: 1
; Occupancy: 16
; WaveLimiterHint : 0
; COMPUTE_PGM_RSRC2:SCRATCH_EN: 0
; COMPUTE_PGM_RSRC2:USER_SGPR: 15
; COMPUTE_PGM_RSRC2:TRAP_HANDLER: 0
; COMPUTE_PGM_RSRC2:TGID_X_EN: 1
; COMPUTE_PGM_RSRC2:TGID_Y_EN: 0
; COMPUTE_PGM_RSRC2:TGID_Z_EN: 0
; COMPUTE_PGM_RSRC2:TIDIG_COMP_CNT: 0
	.section	.text._ZN7rocprim17ROCPRIM_400000_NS6detail17trampoline_kernelINS0_13select_configILj256ELj13ELNS0_17block_load_methodE3ELS4_3ELS4_3ELNS0_20block_scan_algorithmE0ELj4294967295EEENS1_25partition_config_selectorILNS1_17partition_subalgoE3EjNS0_10empty_typeEbEEZZNS1_14partition_implILS8_3ELb0ES6_jNS0_17counting_iteratorIjlEEPS9_SE_NS0_5tupleIJPjSE_EEENSF_IJSE_SE_EEES9_SG_JZNS1_25segmented_radix_sort_implINS0_14default_configELb1EPKhPhPKlPlN2at6native12_GLOBAL__N_18offset_tEEE10hipError_tPvRmT1_PNSt15iterator_traitsISY_E10value_typeET2_T3_PNSZ_IS14_E10value_typeET4_jRbjT5_S1A_jjP12ihipStream_tbEUljE_EEESV_SW_SX_S14_S18_S1A_T6_T7_T9_mT8_S1C_bDpT10_ENKUlT_T0_E_clISt17integral_constantIbLb1EES1O_IbLb0EEEEDaS1K_S1L_EUlS1K_E_NS1_11comp_targetILNS1_3genE5ELNS1_11target_archE942ELNS1_3gpuE9ELNS1_3repE0EEENS1_30default_config_static_selectorELNS0_4arch9wavefront6targetE0EEEvSY_,"axG",@progbits,_ZN7rocprim17ROCPRIM_400000_NS6detail17trampoline_kernelINS0_13select_configILj256ELj13ELNS0_17block_load_methodE3ELS4_3ELS4_3ELNS0_20block_scan_algorithmE0ELj4294967295EEENS1_25partition_config_selectorILNS1_17partition_subalgoE3EjNS0_10empty_typeEbEEZZNS1_14partition_implILS8_3ELb0ES6_jNS0_17counting_iteratorIjlEEPS9_SE_NS0_5tupleIJPjSE_EEENSF_IJSE_SE_EEES9_SG_JZNS1_25segmented_radix_sort_implINS0_14default_configELb1EPKhPhPKlPlN2at6native12_GLOBAL__N_18offset_tEEE10hipError_tPvRmT1_PNSt15iterator_traitsISY_E10value_typeET2_T3_PNSZ_IS14_E10value_typeET4_jRbjT5_S1A_jjP12ihipStream_tbEUljE_EEESV_SW_SX_S14_S18_S1A_T6_T7_T9_mT8_S1C_bDpT10_ENKUlT_T0_E_clISt17integral_constantIbLb1EES1O_IbLb0EEEEDaS1K_S1L_EUlS1K_E_NS1_11comp_targetILNS1_3genE5ELNS1_11target_archE942ELNS1_3gpuE9ELNS1_3repE0EEENS1_30default_config_static_selectorELNS0_4arch9wavefront6targetE0EEEvSY_,comdat
	.globl	_ZN7rocprim17ROCPRIM_400000_NS6detail17trampoline_kernelINS0_13select_configILj256ELj13ELNS0_17block_load_methodE3ELS4_3ELS4_3ELNS0_20block_scan_algorithmE0ELj4294967295EEENS1_25partition_config_selectorILNS1_17partition_subalgoE3EjNS0_10empty_typeEbEEZZNS1_14partition_implILS8_3ELb0ES6_jNS0_17counting_iteratorIjlEEPS9_SE_NS0_5tupleIJPjSE_EEENSF_IJSE_SE_EEES9_SG_JZNS1_25segmented_radix_sort_implINS0_14default_configELb1EPKhPhPKlPlN2at6native12_GLOBAL__N_18offset_tEEE10hipError_tPvRmT1_PNSt15iterator_traitsISY_E10value_typeET2_T3_PNSZ_IS14_E10value_typeET4_jRbjT5_S1A_jjP12ihipStream_tbEUljE_EEESV_SW_SX_S14_S18_S1A_T6_T7_T9_mT8_S1C_bDpT10_ENKUlT_T0_E_clISt17integral_constantIbLb1EES1O_IbLb0EEEEDaS1K_S1L_EUlS1K_E_NS1_11comp_targetILNS1_3genE5ELNS1_11target_archE942ELNS1_3gpuE9ELNS1_3repE0EEENS1_30default_config_static_selectorELNS0_4arch9wavefront6targetE0EEEvSY_ ; -- Begin function _ZN7rocprim17ROCPRIM_400000_NS6detail17trampoline_kernelINS0_13select_configILj256ELj13ELNS0_17block_load_methodE3ELS4_3ELS4_3ELNS0_20block_scan_algorithmE0ELj4294967295EEENS1_25partition_config_selectorILNS1_17partition_subalgoE3EjNS0_10empty_typeEbEEZZNS1_14partition_implILS8_3ELb0ES6_jNS0_17counting_iteratorIjlEEPS9_SE_NS0_5tupleIJPjSE_EEENSF_IJSE_SE_EEES9_SG_JZNS1_25segmented_radix_sort_implINS0_14default_configELb1EPKhPhPKlPlN2at6native12_GLOBAL__N_18offset_tEEE10hipError_tPvRmT1_PNSt15iterator_traitsISY_E10value_typeET2_T3_PNSZ_IS14_E10value_typeET4_jRbjT5_S1A_jjP12ihipStream_tbEUljE_EEESV_SW_SX_S14_S18_S1A_T6_T7_T9_mT8_S1C_bDpT10_ENKUlT_T0_E_clISt17integral_constantIbLb1EES1O_IbLb0EEEEDaS1K_S1L_EUlS1K_E_NS1_11comp_targetILNS1_3genE5ELNS1_11target_archE942ELNS1_3gpuE9ELNS1_3repE0EEENS1_30default_config_static_selectorELNS0_4arch9wavefront6targetE0EEEvSY_
	.p2align	8
	.type	_ZN7rocprim17ROCPRIM_400000_NS6detail17trampoline_kernelINS0_13select_configILj256ELj13ELNS0_17block_load_methodE3ELS4_3ELS4_3ELNS0_20block_scan_algorithmE0ELj4294967295EEENS1_25partition_config_selectorILNS1_17partition_subalgoE3EjNS0_10empty_typeEbEEZZNS1_14partition_implILS8_3ELb0ES6_jNS0_17counting_iteratorIjlEEPS9_SE_NS0_5tupleIJPjSE_EEENSF_IJSE_SE_EEES9_SG_JZNS1_25segmented_radix_sort_implINS0_14default_configELb1EPKhPhPKlPlN2at6native12_GLOBAL__N_18offset_tEEE10hipError_tPvRmT1_PNSt15iterator_traitsISY_E10value_typeET2_T3_PNSZ_IS14_E10value_typeET4_jRbjT5_S1A_jjP12ihipStream_tbEUljE_EEESV_SW_SX_S14_S18_S1A_T6_T7_T9_mT8_S1C_bDpT10_ENKUlT_T0_E_clISt17integral_constantIbLb1EES1O_IbLb0EEEEDaS1K_S1L_EUlS1K_E_NS1_11comp_targetILNS1_3genE5ELNS1_11target_archE942ELNS1_3gpuE9ELNS1_3repE0EEENS1_30default_config_static_selectorELNS0_4arch9wavefront6targetE0EEEvSY_,@function
_ZN7rocprim17ROCPRIM_400000_NS6detail17trampoline_kernelINS0_13select_configILj256ELj13ELNS0_17block_load_methodE3ELS4_3ELS4_3ELNS0_20block_scan_algorithmE0ELj4294967295EEENS1_25partition_config_selectorILNS1_17partition_subalgoE3EjNS0_10empty_typeEbEEZZNS1_14partition_implILS8_3ELb0ES6_jNS0_17counting_iteratorIjlEEPS9_SE_NS0_5tupleIJPjSE_EEENSF_IJSE_SE_EEES9_SG_JZNS1_25segmented_radix_sort_implINS0_14default_configELb1EPKhPhPKlPlN2at6native12_GLOBAL__N_18offset_tEEE10hipError_tPvRmT1_PNSt15iterator_traitsISY_E10value_typeET2_T3_PNSZ_IS14_E10value_typeET4_jRbjT5_S1A_jjP12ihipStream_tbEUljE_EEESV_SW_SX_S14_S18_S1A_T6_T7_T9_mT8_S1C_bDpT10_ENKUlT_T0_E_clISt17integral_constantIbLb1EES1O_IbLb0EEEEDaS1K_S1L_EUlS1K_E_NS1_11comp_targetILNS1_3genE5ELNS1_11target_archE942ELNS1_3gpuE9ELNS1_3repE0EEENS1_30default_config_static_selectorELNS0_4arch9wavefront6targetE0EEEvSY_: ; @_ZN7rocprim17ROCPRIM_400000_NS6detail17trampoline_kernelINS0_13select_configILj256ELj13ELNS0_17block_load_methodE3ELS4_3ELS4_3ELNS0_20block_scan_algorithmE0ELj4294967295EEENS1_25partition_config_selectorILNS1_17partition_subalgoE3EjNS0_10empty_typeEbEEZZNS1_14partition_implILS8_3ELb0ES6_jNS0_17counting_iteratorIjlEEPS9_SE_NS0_5tupleIJPjSE_EEENSF_IJSE_SE_EEES9_SG_JZNS1_25segmented_radix_sort_implINS0_14default_configELb1EPKhPhPKlPlN2at6native12_GLOBAL__N_18offset_tEEE10hipError_tPvRmT1_PNSt15iterator_traitsISY_E10value_typeET2_T3_PNSZ_IS14_E10value_typeET4_jRbjT5_S1A_jjP12ihipStream_tbEUljE_EEESV_SW_SX_S14_S18_S1A_T6_T7_T9_mT8_S1C_bDpT10_ENKUlT_T0_E_clISt17integral_constantIbLb1EES1O_IbLb0EEEEDaS1K_S1L_EUlS1K_E_NS1_11comp_targetILNS1_3genE5ELNS1_11target_archE942ELNS1_3gpuE9ELNS1_3repE0EEENS1_30default_config_static_selectorELNS0_4arch9wavefront6targetE0EEEvSY_
; %bb.0:
	.section	.rodata,"a",@progbits
	.p2align	6, 0x0
	.amdhsa_kernel _ZN7rocprim17ROCPRIM_400000_NS6detail17trampoline_kernelINS0_13select_configILj256ELj13ELNS0_17block_load_methodE3ELS4_3ELS4_3ELNS0_20block_scan_algorithmE0ELj4294967295EEENS1_25partition_config_selectorILNS1_17partition_subalgoE3EjNS0_10empty_typeEbEEZZNS1_14partition_implILS8_3ELb0ES6_jNS0_17counting_iteratorIjlEEPS9_SE_NS0_5tupleIJPjSE_EEENSF_IJSE_SE_EEES9_SG_JZNS1_25segmented_radix_sort_implINS0_14default_configELb1EPKhPhPKlPlN2at6native12_GLOBAL__N_18offset_tEEE10hipError_tPvRmT1_PNSt15iterator_traitsISY_E10value_typeET2_T3_PNSZ_IS14_E10value_typeET4_jRbjT5_S1A_jjP12ihipStream_tbEUljE_EEESV_SW_SX_S14_S18_S1A_T6_T7_T9_mT8_S1C_bDpT10_ENKUlT_T0_E_clISt17integral_constantIbLb1EES1O_IbLb0EEEEDaS1K_S1L_EUlS1K_E_NS1_11comp_targetILNS1_3genE5ELNS1_11target_archE942ELNS1_3gpuE9ELNS1_3repE0EEENS1_30default_config_static_selectorELNS0_4arch9wavefront6targetE0EEEvSY_
		.amdhsa_group_segment_fixed_size 0
		.amdhsa_private_segment_fixed_size 0
		.amdhsa_kernarg_size 144
		.amdhsa_user_sgpr_count 15
		.amdhsa_user_sgpr_dispatch_ptr 0
		.amdhsa_user_sgpr_queue_ptr 0
		.amdhsa_user_sgpr_kernarg_segment_ptr 1
		.amdhsa_user_sgpr_dispatch_id 0
		.amdhsa_user_sgpr_private_segment_size 0
		.amdhsa_wavefront_size32 1
		.amdhsa_uses_dynamic_stack 0
		.amdhsa_enable_private_segment 0
		.amdhsa_system_sgpr_workgroup_id_x 1
		.amdhsa_system_sgpr_workgroup_id_y 0
		.amdhsa_system_sgpr_workgroup_id_z 0
		.amdhsa_system_sgpr_workgroup_info 0
		.amdhsa_system_vgpr_workitem_id 0
		.amdhsa_next_free_vgpr 1
		.amdhsa_next_free_sgpr 1
		.amdhsa_reserve_vcc 0
		.amdhsa_float_round_mode_32 0
		.amdhsa_float_round_mode_16_64 0
		.amdhsa_float_denorm_mode_32 3
		.amdhsa_float_denorm_mode_16_64 3
		.amdhsa_dx10_clamp 1
		.amdhsa_ieee_mode 1
		.amdhsa_fp16_overflow 0
		.amdhsa_workgroup_processor_mode 1
		.amdhsa_memory_ordered 1
		.amdhsa_forward_progress 0
		.amdhsa_shared_vgpr_count 0
		.amdhsa_exception_fp_ieee_invalid_op 0
		.amdhsa_exception_fp_denorm_src 0
		.amdhsa_exception_fp_ieee_div_zero 0
		.amdhsa_exception_fp_ieee_overflow 0
		.amdhsa_exception_fp_ieee_underflow 0
		.amdhsa_exception_fp_ieee_inexact 0
		.amdhsa_exception_int_div_zero 0
	.end_amdhsa_kernel
	.section	.text._ZN7rocprim17ROCPRIM_400000_NS6detail17trampoline_kernelINS0_13select_configILj256ELj13ELNS0_17block_load_methodE3ELS4_3ELS4_3ELNS0_20block_scan_algorithmE0ELj4294967295EEENS1_25partition_config_selectorILNS1_17partition_subalgoE3EjNS0_10empty_typeEbEEZZNS1_14partition_implILS8_3ELb0ES6_jNS0_17counting_iteratorIjlEEPS9_SE_NS0_5tupleIJPjSE_EEENSF_IJSE_SE_EEES9_SG_JZNS1_25segmented_radix_sort_implINS0_14default_configELb1EPKhPhPKlPlN2at6native12_GLOBAL__N_18offset_tEEE10hipError_tPvRmT1_PNSt15iterator_traitsISY_E10value_typeET2_T3_PNSZ_IS14_E10value_typeET4_jRbjT5_S1A_jjP12ihipStream_tbEUljE_EEESV_SW_SX_S14_S18_S1A_T6_T7_T9_mT8_S1C_bDpT10_ENKUlT_T0_E_clISt17integral_constantIbLb1EES1O_IbLb0EEEEDaS1K_S1L_EUlS1K_E_NS1_11comp_targetILNS1_3genE5ELNS1_11target_archE942ELNS1_3gpuE9ELNS1_3repE0EEENS1_30default_config_static_selectorELNS0_4arch9wavefront6targetE0EEEvSY_,"axG",@progbits,_ZN7rocprim17ROCPRIM_400000_NS6detail17trampoline_kernelINS0_13select_configILj256ELj13ELNS0_17block_load_methodE3ELS4_3ELS4_3ELNS0_20block_scan_algorithmE0ELj4294967295EEENS1_25partition_config_selectorILNS1_17partition_subalgoE3EjNS0_10empty_typeEbEEZZNS1_14partition_implILS8_3ELb0ES6_jNS0_17counting_iteratorIjlEEPS9_SE_NS0_5tupleIJPjSE_EEENSF_IJSE_SE_EEES9_SG_JZNS1_25segmented_radix_sort_implINS0_14default_configELb1EPKhPhPKlPlN2at6native12_GLOBAL__N_18offset_tEEE10hipError_tPvRmT1_PNSt15iterator_traitsISY_E10value_typeET2_T3_PNSZ_IS14_E10value_typeET4_jRbjT5_S1A_jjP12ihipStream_tbEUljE_EEESV_SW_SX_S14_S18_S1A_T6_T7_T9_mT8_S1C_bDpT10_ENKUlT_T0_E_clISt17integral_constantIbLb1EES1O_IbLb0EEEEDaS1K_S1L_EUlS1K_E_NS1_11comp_targetILNS1_3genE5ELNS1_11target_archE942ELNS1_3gpuE9ELNS1_3repE0EEENS1_30default_config_static_selectorELNS0_4arch9wavefront6targetE0EEEvSY_,comdat
.Lfunc_end67:
	.size	_ZN7rocprim17ROCPRIM_400000_NS6detail17trampoline_kernelINS0_13select_configILj256ELj13ELNS0_17block_load_methodE3ELS4_3ELS4_3ELNS0_20block_scan_algorithmE0ELj4294967295EEENS1_25partition_config_selectorILNS1_17partition_subalgoE3EjNS0_10empty_typeEbEEZZNS1_14partition_implILS8_3ELb0ES6_jNS0_17counting_iteratorIjlEEPS9_SE_NS0_5tupleIJPjSE_EEENSF_IJSE_SE_EEES9_SG_JZNS1_25segmented_radix_sort_implINS0_14default_configELb1EPKhPhPKlPlN2at6native12_GLOBAL__N_18offset_tEEE10hipError_tPvRmT1_PNSt15iterator_traitsISY_E10value_typeET2_T3_PNSZ_IS14_E10value_typeET4_jRbjT5_S1A_jjP12ihipStream_tbEUljE_EEESV_SW_SX_S14_S18_S1A_T6_T7_T9_mT8_S1C_bDpT10_ENKUlT_T0_E_clISt17integral_constantIbLb1EES1O_IbLb0EEEEDaS1K_S1L_EUlS1K_E_NS1_11comp_targetILNS1_3genE5ELNS1_11target_archE942ELNS1_3gpuE9ELNS1_3repE0EEENS1_30default_config_static_selectorELNS0_4arch9wavefront6targetE0EEEvSY_, .Lfunc_end67-_ZN7rocprim17ROCPRIM_400000_NS6detail17trampoline_kernelINS0_13select_configILj256ELj13ELNS0_17block_load_methodE3ELS4_3ELS4_3ELNS0_20block_scan_algorithmE0ELj4294967295EEENS1_25partition_config_selectorILNS1_17partition_subalgoE3EjNS0_10empty_typeEbEEZZNS1_14partition_implILS8_3ELb0ES6_jNS0_17counting_iteratorIjlEEPS9_SE_NS0_5tupleIJPjSE_EEENSF_IJSE_SE_EEES9_SG_JZNS1_25segmented_radix_sort_implINS0_14default_configELb1EPKhPhPKlPlN2at6native12_GLOBAL__N_18offset_tEEE10hipError_tPvRmT1_PNSt15iterator_traitsISY_E10value_typeET2_T3_PNSZ_IS14_E10value_typeET4_jRbjT5_S1A_jjP12ihipStream_tbEUljE_EEESV_SW_SX_S14_S18_S1A_T6_T7_T9_mT8_S1C_bDpT10_ENKUlT_T0_E_clISt17integral_constantIbLb1EES1O_IbLb0EEEEDaS1K_S1L_EUlS1K_E_NS1_11comp_targetILNS1_3genE5ELNS1_11target_archE942ELNS1_3gpuE9ELNS1_3repE0EEENS1_30default_config_static_selectorELNS0_4arch9wavefront6targetE0EEEvSY_
                                        ; -- End function
	.section	.AMDGPU.csdata,"",@progbits
; Kernel info:
; codeLenInByte = 0
; NumSgprs: 0
; NumVgprs: 0
; ScratchSize: 0
; MemoryBound: 0
; FloatMode: 240
; IeeeMode: 1
; LDSByteSize: 0 bytes/workgroup (compile time only)
; SGPRBlocks: 0
; VGPRBlocks: 0
; NumSGPRsForWavesPerEU: 1
; NumVGPRsForWavesPerEU: 1
; Occupancy: 16
; WaveLimiterHint : 0
; COMPUTE_PGM_RSRC2:SCRATCH_EN: 0
; COMPUTE_PGM_RSRC2:USER_SGPR: 15
; COMPUTE_PGM_RSRC2:TRAP_HANDLER: 0
; COMPUTE_PGM_RSRC2:TGID_X_EN: 1
; COMPUTE_PGM_RSRC2:TGID_Y_EN: 0
; COMPUTE_PGM_RSRC2:TGID_Z_EN: 0
; COMPUTE_PGM_RSRC2:TIDIG_COMP_CNT: 0
	.section	.text._ZN7rocprim17ROCPRIM_400000_NS6detail17trampoline_kernelINS0_13select_configILj256ELj13ELNS0_17block_load_methodE3ELS4_3ELS4_3ELNS0_20block_scan_algorithmE0ELj4294967295EEENS1_25partition_config_selectorILNS1_17partition_subalgoE3EjNS0_10empty_typeEbEEZZNS1_14partition_implILS8_3ELb0ES6_jNS0_17counting_iteratorIjlEEPS9_SE_NS0_5tupleIJPjSE_EEENSF_IJSE_SE_EEES9_SG_JZNS1_25segmented_radix_sort_implINS0_14default_configELb1EPKhPhPKlPlN2at6native12_GLOBAL__N_18offset_tEEE10hipError_tPvRmT1_PNSt15iterator_traitsISY_E10value_typeET2_T3_PNSZ_IS14_E10value_typeET4_jRbjT5_S1A_jjP12ihipStream_tbEUljE_EEESV_SW_SX_S14_S18_S1A_T6_T7_T9_mT8_S1C_bDpT10_ENKUlT_T0_E_clISt17integral_constantIbLb1EES1O_IbLb0EEEEDaS1K_S1L_EUlS1K_E_NS1_11comp_targetILNS1_3genE4ELNS1_11target_archE910ELNS1_3gpuE8ELNS1_3repE0EEENS1_30default_config_static_selectorELNS0_4arch9wavefront6targetE0EEEvSY_,"axG",@progbits,_ZN7rocprim17ROCPRIM_400000_NS6detail17trampoline_kernelINS0_13select_configILj256ELj13ELNS0_17block_load_methodE3ELS4_3ELS4_3ELNS0_20block_scan_algorithmE0ELj4294967295EEENS1_25partition_config_selectorILNS1_17partition_subalgoE3EjNS0_10empty_typeEbEEZZNS1_14partition_implILS8_3ELb0ES6_jNS0_17counting_iteratorIjlEEPS9_SE_NS0_5tupleIJPjSE_EEENSF_IJSE_SE_EEES9_SG_JZNS1_25segmented_radix_sort_implINS0_14default_configELb1EPKhPhPKlPlN2at6native12_GLOBAL__N_18offset_tEEE10hipError_tPvRmT1_PNSt15iterator_traitsISY_E10value_typeET2_T3_PNSZ_IS14_E10value_typeET4_jRbjT5_S1A_jjP12ihipStream_tbEUljE_EEESV_SW_SX_S14_S18_S1A_T6_T7_T9_mT8_S1C_bDpT10_ENKUlT_T0_E_clISt17integral_constantIbLb1EES1O_IbLb0EEEEDaS1K_S1L_EUlS1K_E_NS1_11comp_targetILNS1_3genE4ELNS1_11target_archE910ELNS1_3gpuE8ELNS1_3repE0EEENS1_30default_config_static_selectorELNS0_4arch9wavefront6targetE0EEEvSY_,comdat
	.globl	_ZN7rocprim17ROCPRIM_400000_NS6detail17trampoline_kernelINS0_13select_configILj256ELj13ELNS0_17block_load_methodE3ELS4_3ELS4_3ELNS0_20block_scan_algorithmE0ELj4294967295EEENS1_25partition_config_selectorILNS1_17partition_subalgoE3EjNS0_10empty_typeEbEEZZNS1_14partition_implILS8_3ELb0ES6_jNS0_17counting_iteratorIjlEEPS9_SE_NS0_5tupleIJPjSE_EEENSF_IJSE_SE_EEES9_SG_JZNS1_25segmented_radix_sort_implINS0_14default_configELb1EPKhPhPKlPlN2at6native12_GLOBAL__N_18offset_tEEE10hipError_tPvRmT1_PNSt15iterator_traitsISY_E10value_typeET2_T3_PNSZ_IS14_E10value_typeET4_jRbjT5_S1A_jjP12ihipStream_tbEUljE_EEESV_SW_SX_S14_S18_S1A_T6_T7_T9_mT8_S1C_bDpT10_ENKUlT_T0_E_clISt17integral_constantIbLb1EES1O_IbLb0EEEEDaS1K_S1L_EUlS1K_E_NS1_11comp_targetILNS1_3genE4ELNS1_11target_archE910ELNS1_3gpuE8ELNS1_3repE0EEENS1_30default_config_static_selectorELNS0_4arch9wavefront6targetE0EEEvSY_ ; -- Begin function _ZN7rocprim17ROCPRIM_400000_NS6detail17trampoline_kernelINS0_13select_configILj256ELj13ELNS0_17block_load_methodE3ELS4_3ELS4_3ELNS0_20block_scan_algorithmE0ELj4294967295EEENS1_25partition_config_selectorILNS1_17partition_subalgoE3EjNS0_10empty_typeEbEEZZNS1_14partition_implILS8_3ELb0ES6_jNS0_17counting_iteratorIjlEEPS9_SE_NS0_5tupleIJPjSE_EEENSF_IJSE_SE_EEES9_SG_JZNS1_25segmented_radix_sort_implINS0_14default_configELb1EPKhPhPKlPlN2at6native12_GLOBAL__N_18offset_tEEE10hipError_tPvRmT1_PNSt15iterator_traitsISY_E10value_typeET2_T3_PNSZ_IS14_E10value_typeET4_jRbjT5_S1A_jjP12ihipStream_tbEUljE_EEESV_SW_SX_S14_S18_S1A_T6_T7_T9_mT8_S1C_bDpT10_ENKUlT_T0_E_clISt17integral_constantIbLb1EES1O_IbLb0EEEEDaS1K_S1L_EUlS1K_E_NS1_11comp_targetILNS1_3genE4ELNS1_11target_archE910ELNS1_3gpuE8ELNS1_3repE0EEENS1_30default_config_static_selectorELNS0_4arch9wavefront6targetE0EEEvSY_
	.p2align	8
	.type	_ZN7rocprim17ROCPRIM_400000_NS6detail17trampoline_kernelINS0_13select_configILj256ELj13ELNS0_17block_load_methodE3ELS4_3ELS4_3ELNS0_20block_scan_algorithmE0ELj4294967295EEENS1_25partition_config_selectorILNS1_17partition_subalgoE3EjNS0_10empty_typeEbEEZZNS1_14partition_implILS8_3ELb0ES6_jNS0_17counting_iteratorIjlEEPS9_SE_NS0_5tupleIJPjSE_EEENSF_IJSE_SE_EEES9_SG_JZNS1_25segmented_radix_sort_implINS0_14default_configELb1EPKhPhPKlPlN2at6native12_GLOBAL__N_18offset_tEEE10hipError_tPvRmT1_PNSt15iterator_traitsISY_E10value_typeET2_T3_PNSZ_IS14_E10value_typeET4_jRbjT5_S1A_jjP12ihipStream_tbEUljE_EEESV_SW_SX_S14_S18_S1A_T6_T7_T9_mT8_S1C_bDpT10_ENKUlT_T0_E_clISt17integral_constantIbLb1EES1O_IbLb0EEEEDaS1K_S1L_EUlS1K_E_NS1_11comp_targetILNS1_3genE4ELNS1_11target_archE910ELNS1_3gpuE8ELNS1_3repE0EEENS1_30default_config_static_selectorELNS0_4arch9wavefront6targetE0EEEvSY_,@function
_ZN7rocprim17ROCPRIM_400000_NS6detail17trampoline_kernelINS0_13select_configILj256ELj13ELNS0_17block_load_methodE3ELS4_3ELS4_3ELNS0_20block_scan_algorithmE0ELj4294967295EEENS1_25partition_config_selectorILNS1_17partition_subalgoE3EjNS0_10empty_typeEbEEZZNS1_14partition_implILS8_3ELb0ES6_jNS0_17counting_iteratorIjlEEPS9_SE_NS0_5tupleIJPjSE_EEENSF_IJSE_SE_EEES9_SG_JZNS1_25segmented_radix_sort_implINS0_14default_configELb1EPKhPhPKlPlN2at6native12_GLOBAL__N_18offset_tEEE10hipError_tPvRmT1_PNSt15iterator_traitsISY_E10value_typeET2_T3_PNSZ_IS14_E10value_typeET4_jRbjT5_S1A_jjP12ihipStream_tbEUljE_EEESV_SW_SX_S14_S18_S1A_T6_T7_T9_mT8_S1C_bDpT10_ENKUlT_T0_E_clISt17integral_constantIbLb1EES1O_IbLb0EEEEDaS1K_S1L_EUlS1K_E_NS1_11comp_targetILNS1_3genE4ELNS1_11target_archE910ELNS1_3gpuE8ELNS1_3repE0EEENS1_30default_config_static_selectorELNS0_4arch9wavefront6targetE0EEEvSY_: ; @_ZN7rocprim17ROCPRIM_400000_NS6detail17trampoline_kernelINS0_13select_configILj256ELj13ELNS0_17block_load_methodE3ELS4_3ELS4_3ELNS0_20block_scan_algorithmE0ELj4294967295EEENS1_25partition_config_selectorILNS1_17partition_subalgoE3EjNS0_10empty_typeEbEEZZNS1_14partition_implILS8_3ELb0ES6_jNS0_17counting_iteratorIjlEEPS9_SE_NS0_5tupleIJPjSE_EEENSF_IJSE_SE_EEES9_SG_JZNS1_25segmented_radix_sort_implINS0_14default_configELb1EPKhPhPKlPlN2at6native12_GLOBAL__N_18offset_tEEE10hipError_tPvRmT1_PNSt15iterator_traitsISY_E10value_typeET2_T3_PNSZ_IS14_E10value_typeET4_jRbjT5_S1A_jjP12ihipStream_tbEUljE_EEESV_SW_SX_S14_S18_S1A_T6_T7_T9_mT8_S1C_bDpT10_ENKUlT_T0_E_clISt17integral_constantIbLb1EES1O_IbLb0EEEEDaS1K_S1L_EUlS1K_E_NS1_11comp_targetILNS1_3genE4ELNS1_11target_archE910ELNS1_3gpuE8ELNS1_3repE0EEENS1_30default_config_static_selectorELNS0_4arch9wavefront6targetE0EEEvSY_
; %bb.0:
	.section	.rodata,"a",@progbits
	.p2align	6, 0x0
	.amdhsa_kernel _ZN7rocprim17ROCPRIM_400000_NS6detail17trampoline_kernelINS0_13select_configILj256ELj13ELNS0_17block_load_methodE3ELS4_3ELS4_3ELNS0_20block_scan_algorithmE0ELj4294967295EEENS1_25partition_config_selectorILNS1_17partition_subalgoE3EjNS0_10empty_typeEbEEZZNS1_14partition_implILS8_3ELb0ES6_jNS0_17counting_iteratorIjlEEPS9_SE_NS0_5tupleIJPjSE_EEENSF_IJSE_SE_EEES9_SG_JZNS1_25segmented_radix_sort_implINS0_14default_configELb1EPKhPhPKlPlN2at6native12_GLOBAL__N_18offset_tEEE10hipError_tPvRmT1_PNSt15iterator_traitsISY_E10value_typeET2_T3_PNSZ_IS14_E10value_typeET4_jRbjT5_S1A_jjP12ihipStream_tbEUljE_EEESV_SW_SX_S14_S18_S1A_T6_T7_T9_mT8_S1C_bDpT10_ENKUlT_T0_E_clISt17integral_constantIbLb1EES1O_IbLb0EEEEDaS1K_S1L_EUlS1K_E_NS1_11comp_targetILNS1_3genE4ELNS1_11target_archE910ELNS1_3gpuE8ELNS1_3repE0EEENS1_30default_config_static_selectorELNS0_4arch9wavefront6targetE0EEEvSY_
		.amdhsa_group_segment_fixed_size 0
		.amdhsa_private_segment_fixed_size 0
		.amdhsa_kernarg_size 144
		.amdhsa_user_sgpr_count 15
		.amdhsa_user_sgpr_dispatch_ptr 0
		.amdhsa_user_sgpr_queue_ptr 0
		.amdhsa_user_sgpr_kernarg_segment_ptr 1
		.amdhsa_user_sgpr_dispatch_id 0
		.amdhsa_user_sgpr_private_segment_size 0
		.amdhsa_wavefront_size32 1
		.amdhsa_uses_dynamic_stack 0
		.amdhsa_enable_private_segment 0
		.amdhsa_system_sgpr_workgroup_id_x 1
		.amdhsa_system_sgpr_workgroup_id_y 0
		.amdhsa_system_sgpr_workgroup_id_z 0
		.amdhsa_system_sgpr_workgroup_info 0
		.amdhsa_system_vgpr_workitem_id 0
		.amdhsa_next_free_vgpr 1
		.amdhsa_next_free_sgpr 1
		.amdhsa_reserve_vcc 0
		.amdhsa_float_round_mode_32 0
		.amdhsa_float_round_mode_16_64 0
		.amdhsa_float_denorm_mode_32 3
		.amdhsa_float_denorm_mode_16_64 3
		.amdhsa_dx10_clamp 1
		.amdhsa_ieee_mode 1
		.amdhsa_fp16_overflow 0
		.amdhsa_workgroup_processor_mode 1
		.amdhsa_memory_ordered 1
		.amdhsa_forward_progress 0
		.amdhsa_shared_vgpr_count 0
		.amdhsa_exception_fp_ieee_invalid_op 0
		.amdhsa_exception_fp_denorm_src 0
		.amdhsa_exception_fp_ieee_div_zero 0
		.amdhsa_exception_fp_ieee_overflow 0
		.amdhsa_exception_fp_ieee_underflow 0
		.amdhsa_exception_fp_ieee_inexact 0
		.amdhsa_exception_int_div_zero 0
	.end_amdhsa_kernel
	.section	.text._ZN7rocprim17ROCPRIM_400000_NS6detail17trampoline_kernelINS0_13select_configILj256ELj13ELNS0_17block_load_methodE3ELS4_3ELS4_3ELNS0_20block_scan_algorithmE0ELj4294967295EEENS1_25partition_config_selectorILNS1_17partition_subalgoE3EjNS0_10empty_typeEbEEZZNS1_14partition_implILS8_3ELb0ES6_jNS0_17counting_iteratorIjlEEPS9_SE_NS0_5tupleIJPjSE_EEENSF_IJSE_SE_EEES9_SG_JZNS1_25segmented_radix_sort_implINS0_14default_configELb1EPKhPhPKlPlN2at6native12_GLOBAL__N_18offset_tEEE10hipError_tPvRmT1_PNSt15iterator_traitsISY_E10value_typeET2_T3_PNSZ_IS14_E10value_typeET4_jRbjT5_S1A_jjP12ihipStream_tbEUljE_EEESV_SW_SX_S14_S18_S1A_T6_T7_T9_mT8_S1C_bDpT10_ENKUlT_T0_E_clISt17integral_constantIbLb1EES1O_IbLb0EEEEDaS1K_S1L_EUlS1K_E_NS1_11comp_targetILNS1_3genE4ELNS1_11target_archE910ELNS1_3gpuE8ELNS1_3repE0EEENS1_30default_config_static_selectorELNS0_4arch9wavefront6targetE0EEEvSY_,"axG",@progbits,_ZN7rocprim17ROCPRIM_400000_NS6detail17trampoline_kernelINS0_13select_configILj256ELj13ELNS0_17block_load_methodE3ELS4_3ELS4_3ELNS0_20block_scan_algorithmE0ELj4294967295EEENS1_25partition_config_selectorILNS1_17partition_subalgoE3EjNS0_10empty_typeEbEEZZNS1_14partition_implILS8_3ELb0ES6_jNS0_17counting_iteratorIjlEEPS9_SE_NS0_5tupleIJPjSE_EEENSF_IJSE_SE_EEES9_SG_JZNS1_25segmented_radix_sort_implINS0_14default_configELb1EPKhPhPKlPlN2at6native12_GLOBAL__N_18offset_tEEE10hipError_tPvRmT1_PNSt15iterator_traitsISY_E10value_typeET2_T3_PNSZ_IS14_E10value_typeET4_jRbjT5_S1A_jjP12ihipStream_tbEUljE_EEESV_SW_SX_S14_S18_S1A_T6_T7_T9_mT8_S1C_bDpT10_ENKUlT_T0_E_clISt17integral_constantIbLb1EES1O_IbLb0EEEEDaS1K_S1L_EUlS1K_E_NS1_11comp_targetILNS1_3genE4ELNS1_11target_archE910ELNS1_3gpuE8ELNS1_3repE0EEENS1_30default_config_static_selectorELNS0_4arch9wavefront6targetE0EEEvSY_,comdat
.Lfunc_end68:
	.size	_ZN7rocprim17ROCPRIM_400000_NS6detail17trampoline_kernelINS0_13select_configILj256ELj13ELNS0_17block_load_methodE3ELS4_3ELS4_3ELNS0_20block_scan_algorithmE0ELj4294967295EEENS1_25partition_config_selectorILNS1_17partition_subalgoE3EjNS0_10empty_typeEbEEZZNS1_14partition_implILS8_3ELb0ES6_jNS0_17counting_iteratorIjlEEPS9_SE_NS0_5tupleIJPjSE_EEENSF_IJSE_SE_EEES9_SG_JZNS1_25segmented_radix_sort_implINS0_14default_configELb1EPKhPhPKlPlN2at6native12_GLOBAL__N_18offset_tEEE10hipError_tPvRmT1_PNSt15iterator_traitsISY_E10value_typeET2_T3_PNSZ_IS14_E10value_typeET4_jRbjT5_S1A_jjP12ihipStream_tbEUljE_EEESV_SW_SX_S14_S18_S1A_T6_T7_T9_mT8_S1C_bDpT10_ENKUlT_T0_E_clISt17integral_constantIbLb1EES1O_IbLb0EEEEDaS1K_S1L_EUlS1K_E_NS1_11comp_targetILNS1_3genE4ELNS1_11target_archE910ELNS1_3gpuE8ELNS1_3repE0EEENS1_30default_config_static_selectorELNS0_4arch9wavefront6targetE0EEEvSY_, .Lfunc_end68-_ZN7rocprim17ROCPRIM_400000_NS6detail17trampoline_kernelINS0_13select_configILj256ELj13ELNS0_17block_load_methodE3ELS4_3ELS4_3ELNS0_20block_scan_algorithmE0ELj4294967295EEENS1_25partition_config_selectorILNS1_17partition_subalgoE3EjNS0_10empty_typeEbEEZZNS1_14partition_implILS8_3ELb0ES6_jNS0_17counting_iteratorIjlEEPS9_SE_NS0_5tupleIJPjSE_EEENSF_IJSE_SE_EEES9_SG_JZNS1_25segmented_radix_sort_implINS0_14default_configELb1EPKhPhPKlPlN2at6native12_GLOBAL__N_18offset_tEEE10hipError_tPvRmT1_PNSt15iterator_traitsISY_E10value_typeET2_T3_PNSZ_IS14_E10value_typeET4_jRbjT5_S1A_jjP12ihipStream_tbEUljE_EEESV_SW_SX_S14_S18_S1A_T6_T7_T9_mT8_S1C_bDpT10_ENKUlT_T0_E_clISt17integral_constantIbLb1EES1O_IbLb0EEEEDaS1K_S1L_EUlS1K_E_NS1_11comp_targetILNS1_3genE4ELNS1_11target_archE910ELNS1_3gpuE8ELNS1_3repE0EEENS1_30default_config_static_selectorELNS0_4arch9wavefront6targetE0EEEvSY_
                                        ; -- End function
	.section	.AMDGPU.csdata,"",@progbits
; Kernel info:
; codeLenInByte = 0
; NumSgprs: 0
; NumVgprs: 0
; ScratchSize: 0
; MemoryBound: 0
; FloatMode: 240
; IeeeMode: 1
; LDSByteSize: 0 bytes/workgroup (compile time only)
; SGPRBlocks: 0
; VGPRBlocks: 0
; NumSGPRsForWavesPerEU: 1
; NumVGPRsForWavesPerEU: 1
; Occupancy: 16
; WaveLimiterHint : 0
; COMPUTE_PGM_RSRC2:SCRATCH_EN: 0
; COMPUTE_PGM_RSRC2:USER_SGPR: 15
; COMPUTE_PGM_RSRC2:TRAP_HANDLER: 0
; COMPUTE_PGM_RSRC2:TGID_X_EN: 1
; COMPUTE_PGM_RSRC2:TGID_Y_EN: 0
; COMPUTE_PGM_RSRC2:TGID_Z_EN: 0
; COMPUTE_PGM_RSRC2:TIDIG_COMP_CNT: 0
	.section	.text._ZN7rocprim17ROCPRIM_400000_NS6detail17trampoline_kernelINS0_13select_configILj256ELj13ELNS0_17block_load_methodE3ELS4_3ELS4_3ELNS0_20block_scan_algorithmE0ELj4294967295EEENS1_25partition_config_selectorILNS1_17partition_subalgoE3EjNS0_10empty_typeEbEEZZNS1_14partition_implILS8_3ELb0ES6_jNS0_17counting_iteratorIjlEEPS9_SE_NS0_5tupleIJPjSE_EEENSF_IJSE_SE_EEES9_SG_JZNS1_25segmented_radix_sort_implINS0_14default_configELb1EPKhPhPKlPlN2at6native12_GLOBAL__N_18offset_tEEE10hipError_tPvRmT1_PNSt15iterator_traitsISY_E10value_typeET2_T3_PNSZ_IS14_E10value_typeET4_jRbjT5_S1A_jjP12ihipStream_tbEUljE_EEESV_SW_SX_S14_S18_S1A_T6_T7_T9_mT8_S1C_bDpT10_ENKUlT_T0_E_clISt17integral_constantIbLb1EES1O_IbLb0EEEEDaS1K_S1L_EUlS1K_E_NS1_11comp_targetILNS1_3genE3ELNS1_11target_archE908ELNS1_3gpuE7ELNS1_3repE0EEENS1_30default_config_static_selectorELNS0_4arch9wavefront6targetE0EEEvSY_,"axG",@progbits,_ZN7rocprim17ROCPRIM_400000_NS6detail17trampoline_kernelINS0_13select_configILj256ELj13ELNS0_17block_load_methodE3ELS4_3ELS4_3ELNS0_20block_scan_algorithmE0ELj4294967295EEENS1_25partition_config_selectorILNS1_17partition_subalgoE3EjNS0_10empty_typeEbEEZZNS1_14partition_implILS8_3ELb0ES6_jNS0_17counting_iteratorIjlEEPS9_SE_NS0_5tupleIJPjSE_EEENSF_IJSE_SE_EEES9_SG_JZNS1_25segmented_radix_sort_implINS0_14default_configELb1EPKhPhPKlPlN2at6native12_GLOBAL__N_18offset_tEEE10hipError_tPvRmT1_PNSt15iterator_traitsISY_E10value_typeET2_T3_PNSZ_IS14_E10value_typeET4_jRbjT5_S1A_jjP12ihipStream_tbEUljE_EEESV_SW_SX_S14_S18_S1A_T6_T7_T9_mT8_S1C_bDpT10_ENKUlT_T0_E_clISt17integral_constantIbLb1EES1O_IbLb0EEEEDaS1K_S1L_EUlS1K_E_NS1_11comp_targetILNS1_3genE3ELNS1_11target_archE908ELNS1_3gpuE7ELNS1_3repE0EEENS1_30default_config_static_selectorELNS0_4arch9wavefront6targetE0EEEvSY_,comdat
	.globl	_ZN7rocprim17ROCPRIM_400000_NS6detail17trampoline_kernelINS0_13select_configILj256ELj13ELNS0_17block_load_methodE3ELS4_3ELS4_3ELNS0_20block_scan_algorithmE0ELj4294967295EEENS1_25partition_config_selectorILNS1_17partition_subalgoE3EjNS0_10empty_typeEbEEZZNS1_14partition_implILS8_3ELb0ES6_jNS0_17counting_iteratorIjlEEPS9_SE_NS0_5tupleIJPjSE_EEENSF_IJSE_SE_EEES9_SG_JZNS1_25segmented_radix_sort_implINS0_14default_configELb1EPKhPhPKlPlN2at6native12_GLOBAL__N_18offset_tEEE10hipError_tPvRmT1_PNSt15iterator_traitsISY_E10value_typeET2_T3_PNSZ_IS14_E10value_typeET4_jRbjT5_S1A_jjP12ihipStream_tbEUljE_EEESV_SW_SX_S14_S18_S1A_T6_T7_T9_mT8_S1C_bDpT10_ENKUlT_T0_E_clISt17integral_constantIbLb1EES1O_IbLb0EEEEDaS1K_S1L_EUlS1K_E_NS1_11comp_targetILNS1_3genE3ELNS1_11target_archE908ELNS1_3gpuE7ELNS1_3repE0EEENS1_30default_config_static_selectorELNS0_4arch9wavefront6targetE0EEEvSY_ ; -- Begin function _ZN7rocprim17ROCPRIM_400000_NS6detail17trampoline_kernelINS0_13select_configILj256ELj13ELNS0_17block_load_methodE3ELS4_3ELS4_3ELNS0_20block_scan_algorithmE0ELj4294967295EEENS1_25partition_config_selectorILNS1_17partition_subalgoE3EjNS0_10empty_typeEbEEZZNS1_14partition_implILS8_3ELb0ES6_jNS0_17counting_iteratorIjlEEPS9_SE_NS0_5tupleIJPjSE_EEENSF_IJSE_SE_EEES9_SG_JZNS1_25segmented_radix_sort_implINS0_14default_configELb1EPKhPhPKlPlN2at6native12_GLOBAL__N_18offset_tEEE10hipError_tPvRmT1_PNSt15iterator_traitsISY_E10value_typeET2_T3_PNSZ_IS14_E10value_typeET4_jRbjT5_S1A_jjP12ihipStream_tbEUljE_EEESV_SW_SX_S14_S18_S1A_T6_T7_T9_mT8_S1C_bDpT10_ENKUlT_T0_E_clISt17integral_constantIbLb1EES1O_IbLb0EEEEDaS1K_S1L_EUlS1K_E_NS1_11comp_targetILNS1_3genE3ELNS1_11target_archE908ELNS1_3gpuE7ELNS1_3repE0EEENS1_30default_config_static_selectorELNS0_4arch9wavefront6targetE0EEEvSY_
	.p2align	8
	.type	_ZN7rocprim17ROCPRIM_400000_NS6detail17trampoline_kernelINS0_13select_configILj256ELj13ELNS0_17block_load_methodE3ELS4_3ELS4_3ELNS0_20block_scan_algorithmE0ELj4294967295EEENS1_25partition_config_selectorILNS1_17partition_subalgoE3EjNS0_10empty_typeEbEEZZNS1_14partition_implILS8_3ELb0ES6_jNS0_17counting_iteratorIjlEEPS9_SE_NS0_5tupleIJPjSE_EEENSF_IJSE_SE_EEES9_SG_JZNS1_25segmented_radix_sort_implINS0_14default_configELb1EPKhPhPKlPlN2at6native12_GLOBAL__N_18offset_tEEE10hipError_tPvRmT1_PNSt15iterator_traitsISY_E10value_typeET2_T3_PNSZ_IS14_E10value_typeET4_jRbjT5_S1A_jjP12ihipStream_tbEUljE_EEESV_SW_SX_S14_S18_S1A_T6_T7_T9_mT8_S1C_bDpT10_ENKUlT_T0_E_clISt17integral_constantIbLb1EES1O_IbLb0EEEEDaS1K_S1L_EUlS1K_E_NS1_11comp_targetILNS1_3genE3ELNS1_11target_archE908ELNS1_3gpuE7ELNS1_3repE0EEENS1_30default_config_static_selectorELNS0_4arch9wavefront6targetE0EEEvSY_,@function
_ZN7rocprim17ROCPRIM_400000_NS6detail17trampoline_kernelINS0_13select_configILj256ELj13ELNS0_17block_load_methodE3ELS4_3ELS4_3ELNS0_20block_scan_algorithmE0ELj4294967295EEENS1_25partition_config_selectorILNS1_17partition_subalgoE3EjNS0_10empty_typeEbEEZZNS1_14partition_implILS8_3ELb0ES6_jNS0_17counting_iteratorIjlEEPS9_SE_NS0_5tupleIJPjSE_EEENSF_IJSE_SE_EEES9_SG_JZNS1_25segmented_radix_sort_implINS0_14default_configELb1EPKhPhPKlPlN2at6native12_GLOBAL__N_18offset_tEEE10hipError_tPvRmT1_PNSt15iterator_traitsISY_E10value_typeET2_T3_PNSZ_IS14_E10value_typeET4_jRbjT5_S1A_jjP12ihipStream_tbEUljE_EEESV_SW_SX_S14_S18_S1A_T6_T7_T9_mT8_S1C_bDpT10_ENKUlT_T0_E_clISt17integral_constantIbLb1EES1O_IbLb0EEEEDaS1K_S1L_EUlS1K_E_NS1_11comp_targetILNS1_3genE3ELNS1_11target_archE908ELNS1_3gpuE7ELNS1_3repE0EEENS1_30default_config_static_selectorELNS0_4arch9wavefront6targetE0EEEvSY_: ; @_ZN7rocprim17ROCPRIM_400000_NS6detail17trampoline_kernelINS0_13select_configILj256ELj13ELNS0_17block_load_methodE3ELS4_3ELS4_3ELNS0_20block_scan_algorithmE0ELj4294967295EEENS1_25partition_config_selectorILNS1_17partition_subalgoE3EjNS0_10empty_typeEbEEZZNS1_14partition_implILS8_3ELb0ES6_jNS0_17counting_iteratorIjlEEPS9_SE_NS0_5tupleIJPjSE_EEENSF_IJSE_SE_EEES9_SG_JZNS1_25segmented_radix_sort_implINS0_14default_configELb1EPKhPhPKlPlN2at6native12_GLOBAL__N_18offset_tEEE10hipError_tPvRmT1_PNSt15iterator_traitsISY_E10value_typeET2_T3_PNSZ_IS14_E10value_typeET4_jRbjT5_S1A_jjP12ihipStream_tbEUljE_EEESV_SW_SX_S14_S18_S1A_T6_T7_T9_mT8_S1C_bDpT10_ENKUlT_T0_E_clISt17integral_constantIbLb1EES1O_IbLb0EEEEDaS1K_S1L_EUlS1K_E_NS1_11comp_targetILNS1_3genE3ELNS1_11target_archE908ELNS1_3gpuE7ELNS1_3repE0EEENS1_30default_config_static_selectorELNS0_4arch9wavefront6targetE0EEEvSY_
; %bb.0:
	.section	.rodata,"a",@progbits
	.p2align	6, 0x0
	.amdhsa_kernel _ZN7rocprim17ROCPRIM_400000_NS6detail17trampoline_kernelINS0_13select_configILj256ELj13ELNS0_17block_load_methodE3ELS4_3ELS4_3ELNS0_20block_scan_algorithmE0ELj4294967295EEENS1_25partition_config_selectorILNS1_17partition_subalgoE3EjNS0_10empty_typeEbEEZZNS1_14partition_implILS8_3ELb0ES6_jNS0_17counting_iteratorIjlEEPS9_SE_NS0_5tupleIJPjSE_EEENSF_IJSE_SE_EEES9_SG_JZNS1_25segmented_radix_sort_implINS0_14default_configELb1EPKhPhPKlPlN2at6native12_GLOBAL__N_18offset_tEEE10hipError_tPvRmT1_PNSt15iterator_traitsISY_E10value_typeET2_T3_PNSZ_IS14_E10value_typeET4_jRbjT5_S1A_jjP12ihipStream_tbEUljE_EEESV_SW_SX_S14_S18_S1A_T6_T7_T9_mT8_S1C_bDpT10_ENKUlT_T0_E_clISt17integral_constantIbLb1EES1O_IbLb0EEEEDaS1K_S1L_EUlS1K_E_NS1_11comp_targetILNS1_3genE3ELNS1_11target_archE908ELNS1_3gpuE7ELNS1_3repE0EEENS1_30default_config_static_selectorELNS0_4arch9wavefront6targetE0EEEvSY_
		.amdhsa_group_segment_fixed_size 0
		.amdhsa_private_segment_fixed_size 0
		.amdhsa_kernarg_size 144
		.amdhsa_user_sgpr_count 15
		.amdhsa_user_sgpr_dispatch_ptr 0
		.amdhsa_user_sgpr_queue_ptr 0
		.amdhsa_user_sgpr_kernarg_segment_ptr 1
		.amdhsa_user_sgpr_dispatch_id 0
		.amdhsa_user_sgpr_private_segment_size 0
		.amdhsa_wavefront_size32 1
		.amdhsa_uses_dynamic_stack 0
		.amdhsa_enable_private_segment 0
		.amdhsa_system_sgpr_workgroup_id_x 1
		.amdhsa_system_sgpr_workgroup_id_y 0
		.amdhsa_system_sgpr_workgroup_id_z 0
		.amdhsa_system_sgpr_workgroup_info 0
		.amdhsa_system_vgpr_workitem_id 0
		.amdhsa_next_free_vgpr 1
		.amdhsa_next_free_sgpr 1
		.amdhsa_reserve_vcc 0
		.amdhsa_float_round_mode_32 0
		.amdhsa_float_round_mode_16_64 0
		.amdhsa_float_denorm_mode_32 3
		.amdhsa_float_denorm_mode_16_64 3
		.amdhsa_dx10_clamp 1
		.amdhsa_ieee_mode 1
		.amdhsa_fp16_overflow 0
		.amdhsa_workgroup_processor_mode 1
		.amdhsa_memory_ordered 1
		.amdhsa_forward_progress 0
		.amdhsa_shared_vgpr_count 0
		.amdhsa_exception_fp_ieee_invalid_op 0
		.amdhsa_exception_fp_denorm_src 0
		.amdhsa_exception_fp_ieee_div_zero 0
		.amdhsa_exception_fp_ieee_overflow 0
		.amdhsa_exception_fp_ieee_underflow 0
		.amdhsa_exception_fp_ieee_inexact 0
		.amdhsa_exception_int_div_zero 0
	.end_amdhsa_kernel
	.section	.text._ZN7rocprim17ROCPRIM_400000_NS6detail17trampoline_kernelINS0_13select_configILj256ELj13ELNS0_17block_load_methodE3ELS4_3ELS4_3ELNS0_20block_scan_algorithmE0ELj4294967295EEENS1_25partition_config_selectorILNS1_17partition_subalgoE3EjNS0_10empty_typeEbEEZZNS1_14partition_implILS8_3ELb0ES6_jNS0_17counting_iteratorIjlEEPS9_SE_NS0_5tupleIJPjSE_EEENSF_IJSE_SE_EEES9_SG_JZNS1_25segmented_radix_sort_implINS0_14default_configELb1EPKhPhPKlPlN2at6native12_GLOBAL__N_18offset_tEEE10hipError_tPvRmT1_PNSt15iterator_traitsISY_E10value_typeET2_T3_PNSZ_IS14_E10value_typeET4_jRbjT5_S1A_jjP12ihipStream_tbEUljE_EEESV_SW_SX_S14_S18_S1A_T6_T7_T9_mT8_S1C_bDpT10_ENKUlT_T0_E_clISt17integral_constantIbLb1EES1O_IbLb0EEEEDaS1K_S1L_EUlS1K_E_NS1_11comp_targetILNS1_3genE3ELNS1_11target_archE908ELNS1_3gpuE7ELNS1_3repE0EEENS1_30default_config_static_selectorELNS0_4arch9wavefront6targetE0EEEvSY_,"axG",@progbits,_ZN7rocprim17ROCPRIM_400000_NS6detail17trampoline_kernelINS0_13select_configILj256ELj13ELNS0_17block_load_methodE3ELS4_3ELS4_3ELNS0_20block_scan_algorithmE0ELj4294967295EEENS1_25partition_config_selectorILNS1_17partition_subalgoE3EjNS0_10empty_typeEbEEZZNS1_14partition_implILS8_3ELb0ES6_jNS0_17counting_iteratorIjlEEPS9_SE_NS0_5tupleIJPjSE_EEENSF_IJSE_SE_EEES9_SG_JZNS1_25segmented_radix_sort_implINS0_14default_configELb1EPKhPhPKlPlN2at6native12_GLOBAL__N_18offset_tEEE10hipError_tPvRmT1_PNSt15iterator_traitsISY_E10value_typeET2_T3_PNSZ_IS14_E10value_typeET4_jRbjT5_S1A_jjP12ihipStream_tbEUljE_EEESV_SW_SX_S14_S18_S1A_T6_T7_T9_mT8_S1C_bDpT10_ENKUlT_T0_E_clISt17integral_constantIbLb1EES1O_IbLb0EEEEDaS1K_S1L_EUlS1K_E_NS1_11comp_targetILNS1_3genE3ELNS1_11target_archE908ELNS1_3gpuE7ELNS1_3repE0EEENS1_30default_config_static_selectorELNS0_4arch9wavefront6targetE0EEEvSY_,comdat
.Lfunc_end69:
	.size	_ZN7rocprim17ROCPRIM_400000_NS6detail17trampoline_kernelINS0_13select_configILj256ELj13ELNS0_17block_load_methodE3ELS4_3ELS4_3ELNS0_20block_scan_algorithmE0ELj4294967295EEENS1_25partition_config_selectorILNS1_17partition_subalgoE3EjNS0_10empty_typeEbEEZZNS1_14partition_implILS8_3ELb0ES6_jNS0_17counting_iteratorIjlEEPS9_SE_NS0_5tupleIJPjSE_EEENSF_IJSE_SE_EEES9_SG_JZNS1_25segmented_radix_sort_implINS0_14default_configELb1EPKhPhPKlPlN2at6native12_GLOBAL__N_18offset_tEEE10hipError_tPvRmT1_PNSt15iterator_traitsISY_E10value_typeET2_T3_PNSZ_IS14_E10value_typeET4_jRbjT5_S1A_jjP12ihipStream_tbEUljE_EEESV_SW_SX_S14_S18_S1A_T6_T7_T9_mT8_S1C_bDpT10_ENKUlT_T0_E_clISt17integral_constantIbLb1EES1O_IbLb0EEEEDaS1K_S1L_EUlS1K_E_NS1_11comp_targetILNS1_3genE3ELNS1_11target_archE908ELNS1_3gpuE7ELNS1_3repE0EEENS1_30default_config_static_selectorELNS0_4arch9wavefront6targetE0EEEvSY_, .Lfunc_end69-_ZN7rocprim17ROCPRIM_400000_NS6detail17trampoline_kernelINS0_13select_configILj256ELj13ELNS0_17block_load_methodE3ELS4_3ELS4_3ELNS0_20block_scan_algorithmE0ELj4294967295EEENS1_25partition_config_selectorILNS1_17partition_subalgoE3EjNS0_10empty_typeEbEEZZNS1_14partition_implILS8_3ELb0ES6_jNS0_17counting_iteratorIjlEEPS9_SE_NS0_5tupleIJPjSE_EEENSF_IJSE_SE_EEES9_SG_JZNS1_25segmented_radix_sort_implINS0_14default_configELb1EPKhPhPKlPlN2at6native12_GLOBAL__N_18offset_tEEE10hipError_tPvRmT1_PNSt15iterator_traitsISY_E10value_typeET2_T3_PNSZ_IS14_E10value_typeET4_jRbjT5_S1A_jjP12ihipStream_tbEUljE_EEESV_SW_SX_S14_S18_S1A_T6_T7_T9_mT8_S1C_bDpT10_ENKUlT_T0_E_clISt17integral_constantIbLb1EES1O_IbLb0EEEEDaS1K_S1L_EUlS1K_E_NS1_11comp_targetILNS1_3genE3ELNS1_11target_archE908ELNS1_3gpuE7ELNS1_3repE0EEENS1_30default_config_static_selectorELNS0_4arch9wavefront6targetE0EEEvSY_
                                        ; -- End function
	.section	.AMDGPU.csdata,"",@progbits
; Kernel info:
; codeLenInByte = 0
; NumSgprs: 0
; NumVgprs: 0
; ScratchSize: 0
; MemoryBound: 0
; FloatMode: 240
; IeeeMode: 1
; LDSByteSize: 0 bytes/workgroup (compile time only)
; SGPRBlocks: 0
; VGPRBlocks: 0
; NumSGPRsForWavesPerEU: 1
; NumVGPRsForWavesPerEU: 1
; Occupancy: 16
; WaveLimiterHint : 0
; COMPUTE_PGM_RSRC2:SCRATCH_EN: 0
; COMPUTE_PGM_RSRC2:USER_SGPR: 15
; COMPUTE_PGM_RSRC2:TRAP_HANDLER: 0
; COMPUTE_PGM_RSRC2:TGID_X_EN: 1
; COMPUTE_PGM_RSRC2:TGID_Y_EN: 0
; COMPUTE_PGM_RSRC2:TGID_Z_EN: 0
; COMPUTE_PGM_RSRC2:TIDIG_COMP_CNT: 0
	.section	.text._ZN7rocprim17ROCPRIM_400000_NS6detail17trampoline_kernelINS0_13select_configILj256ELj13ELNS0_17block_load_methodE3ELS4_3ELS4_3ELNS0_20block_scan_algorithmE0ELj4294967295EEENS1_25partition_config_selectorILNS1_17partition_subalgoE3EjNS0_10empty_typeEbEEZZNS1_14partition_implILS8_3ELb0ES6_jNS0_17counting_iteratorIjlEEPS9_SE_NS0_5tupleIJPjSE_EEENSF_IJSE_SE_EEES9_SG_JZNS1_25segmented_radix_sort_implINS0_14default_configELb1EPKhPhPKlPlN2at6native12_GLOBAL__N_18offset_tEEE10hipError_tPvRmT1_PNSt15iterator_traitsISY_E10value_typeET2_T3_PNSZ_IS14_E10value_typeET4_jRbjT5_S1A_jjP12ihipStream_tbEUljE_EEESV_SW_SX_S14_S18_S1A_T6_T7_T9_mT8_S1C_bDpT10_ENKUlT_T0_E_clISt17integral_constantIbLb1EES1O_IbLb0EEEEDaS1K_S1L_EUlS1K_E_NS1_11comp_targetILNS1_3genE2ELNS1_11target_archE906ELNS1_3gpuE6ELNS1_3repE0EEENS1_30default_config_static_selectorELNS0_4arch9wavefront6targetE0EEEvSY_,"axG",@progbits,_ZN7rocprim17ROCPRIM_400000_NS6detail17trampoline_kernelINS0_13select_configILj256ELj13ELNS0_17block_load_methodE3ELS4_3ELS4_3ELNS0_20block_scan_algorithmE0ELj4294967295EEENS1_25partition_config_selectorILNS1_17partition_subalgoE3EjNS0_10empty_typeEbEEZZNS1_14partition_implILS8_3ELb0ES6_jNS0_17counting_iteratorIjlEEPS9_SE_NS0_5tupleIJPjSE_EEENSF_IJSE_SE_EEES9_SG_JZNS1_25segmented_radix_sort_implINS0_14default_configELb1EPKhPhPKlPlN2at6native12_GLOBAL__N_18offset_tEEE10hipError_tPvRmT1_PNSt15iterator_traitsISY_E10value_typeET2_T3_PNSZ_IS14_E10value_typeET4_jRbjT5_S1A_jjP12ihipStream_tbEUljE_EEESV_SW_SX_S14_S18_S1A_T6_T7_T9_mT8_S1C_bDpT10_ENKUlT_T0_E_clISt17integral_constantIbLb1EES1O_IbLb0EEEEDaS1K_S1L_EUlS1K_E_NS1_11comp_targetILNS1_3genE2ELNS1_11target_archE906ELNS1_3gpuE6ELNS1_3repE0EEENS1_30default_config_static_selectorELNS0_4arch9wavefront6targetE0EEEvSY_,comdat
	.globl	_ZN7rocprim17ROCPRIM_400000_NS6detail17trampoline_kernelINS0_13select_configILj256ELj13ELNS0_17block_load_methodE3ELS4_3ELS4_3ELNS0_20block_scan_algorithmE0ELj4294967295EEENS1_25partition_config_selectorILNS1_17partition_subalgoE3EjNS0_10empty_typeEbEEZZNS1_14partition_implILS8_3ELb0ES6_jNS0_17counting_iteratorIjlEEPS9_SE_NS0_5tupleIJPjSE_EEENSF_IJSE_SE_EEES9_SG_JZNS1_25segmented_radix_sort_implINS0_14default_configELb1EPKhPhPKlPlN2at6native12_GLOBAL__N_18offset_tEEE10hipError_tPvRmT1_PNSt15iterator_traitsISY_E10value_typeET2_T3_PNSZ_IS14_E10value_typeET4_jRbjT5_S1A_jjP12ihipStream_tbEUljE_EEESV_SW_SX_S14_S18_S1A_T6_T7_T9_mT8_S1C_bDpT10_ENKUlT_T0_E_clISt17integral_constantIbLb1EES1O_IbLb0EEEEDaS1K_S1L_EUlS1K_E_NS1_11comp_targetILNS1_3genE2ELNS1_11target_archE906ELNS1_3gpuE6ELNS1_3repE0EEENS1_30default_config_static_selectorELNS0_4arch9wavefront6targetE0EEEvSY_ ; -- Begin function _ZN7rocprim17ROCPRIM_400000_NS6detail17trampoline_kernelINS0_13select_configILj256ELj13ELNS0_17block_load_methodE3ELS4_3ELS4_3ELNS0_20block_scan_algorithmE0ELj4294967295EEENS1_25partition_config_selectorILNS1_17partition_subalgoE3EjNS0_10empty_typeEbEEZZNS1_14partition_implILS8_3ELb0ES6_jNS0_17counting_iteratorIjlEEPS9_SE_NS0_5tupleIJPjSE_EEENSF_IJSE_SE_EEES9_SG_JZNS1_25segmented_radix_sort_implINS0_14default_configELb1EPKhPhPKlPlN2at6native12_GLOBAL__N_18offset_tEEE10hipError_tPvRmT1_PNSt15iterator_traitsISY_E10value_typeET2_T3_PNSZ_IS14_E10value_typeET4_jRbjT5_S1A_jjP12ihipStream_tbEUljE_EEESV_SW_SX_S14_S18_S1A_T6_T7_T9_mT8_S1C_bDpT10_ENKUlT_T0_E_clISt17integral_constantIbLb1EES1O_IbLb0EEEEDaS1K_S1L_EUlS1K_E_NS1_11comp_targetILNS1_3genE2ELNS1_11target_archE906ELNS1_3gpuE6ELNS1_3repE0EEENS1_30default_config_static_selectorELNS0_4arch9wavefront6targetE0EEEvSY_
	.p2align	8
	.type	_ZN7rocprim17ROCPRIM_400000_NS6detail17trampoline_kernelINS0_13select_configILj256ELj13ELNS0_17block_load_methodE3ELS4_3ELS4_3ELNS0_20block_scan_algorithmE0ELj4294967295EEENS1_25partition_config_selectorILNS1_17partition_subalgoE3EjNS0_10empty_typeEbEEZZNS1_14partition_implILS8_3ELb0ES6_jNS0_17counting_iteratorIjlEEPS9_SE_NS0_5tupleIJPjSE_EEENSF_IJSE_SE_EEES9_SG_JZNS1_25segmented_radix_sort_implINS0_14default_configELb1EPKhPhPKlPlN2at6native12_GLOBAL__N_18offset_tEEE10hipError_tPvRmT1_PNSt15iterator_traitsISY_E10value_typeET2_T3_PNSZ_IS14_E10value_typeET4_jRbjT5_S1A_jjP12ihipStream_tbEUljE_EEESV_SW_SX_S14_S18_S1A_T6_T7_T9_mT8_S1C_bDpT10_ENKUlT_T0_E_clISt17integral_constantIbLb1EES1O_IbLb0EEEEDaS1K_S1L_EUlS1K_E_NS1_11comp_targetILNS1_3genE2ELNS1_11target_archE906ELNS1_3gpuE6ELNS1_3repE0EEENS1_30default_config_static_selectorELNS0_4arch9wavefront6targetE0EEEvSY_,@function
_ZN7rocprim17ROCPRIM_400000_NS6detail17trampoline_kernelINS0_13select_configILj256ELj13ELNS0_17block_load_methodE3ELS4_3ELS4_3ELNS0_20block_scan_algorithmE0ELj4294967295EEENS1_25partition_config_selectorILNS1_17partition_subalgoE3EjNS0_10empty_typeEbEEZZNS1_14partition_implILS8_3ELb0ES6_jNS0_17counting_iteratorIjlEEPS9_SE_NS0_5tupleIJPjSE_EEENSF_IJSE_SE_EEES9_SG_JZNS1_25segmented_radix_sort_implINS0_14default_configELb1EPKhPhPKlPlN2at6native12_GLOBAL__N_18offset_tEEE10hipError_tPvRmT1_PNSt15iterator_traitsISY_E10value_typeET2_T3_PNSZ_IS14_E10value_typeET4_jRbjT5_S1A_jjP12ihipStream_tbEUljE_EEESV_SW_SX_S14_S18_S1A_T6_T7_T9_mT8_S1C_bDpT10_ENKUlT_T0_E_clISt17integral_constantIbLb1EES1O_IbLb0EEEEDaS1K_S1L_EUlS1K_E_NS1_11comp_targetILNS1_3genE2ELNS1_11target_archE906ELNS1_3gpuE6ELNS1_3repE0EEENS1_30default_config_static_selectorELNS0_4arch9wavefront6targetE0EEEvSY_: ; @_ZN7rocprim17ROCPRIM_400000_NS6detail17trampoline_kernelINS0_13select_configILj256ELj13ELNS0_17block_load_methodE3ELS4_3ELS4_3ELNS0_20block_scan_algorithmE0ELj4294967295EEENS1_25partition_config_selectorILNS1_17partition_subalgoE3EjNS0_10empty_typeEbEEZZNS1_14partition_implILS8_3ELb0ES6_jNS0_17counting_iteratorIjlEEPS9_SE_NS0_5tupleIJPjSE_EEENSF_IJSE_SE_EEES9_SG_JZNS1_25segmented_radix_sort_implINS0_14default_configELb1EPKhPhPKlPlN2at6native12_GLOBAL__N_18offset_tEEE10hipError_tPvRmT1_PNSt15iterator_traitsISY_E10value_typeET2_T3_PNSZ_IS14_E10value_typeET4_jRbjT5_S1A_jjP12ihipStream_tbEUljE_EEESV_SW_SX_S14_S18_S1A_T6_T7_T9_mT8_S1C_bDpT10_ENKUlT_T0_E_clISt17integral_constantIbLb1EES1O_IbLb0EEEEDaS1K_S1L_EUlS1K_E_NS1_11comp_targetILNS1_3genE2ELNS1_11target_archE906ELNS1_3gpuE6ELNS1_3repE0EEENS1_30default_config_static_selectorELNS0_4arch9wavefront6targetE0EEEvSY_
; %bb.0:
	.section	.rodata,"a",@progbits
	.p2align	6, 0x0
	.amdhsa_kernel _ZN7rocprim17ROCPRIM_400000_NS6detail17trampoline_kernelINS0_13select_configILj256ELj13ELNS0_17block_load_methodE3ELS4_3ELS4_3ELNS0_20block_scan_algorithmE0ELj4294967295EEENS1_25partition_config_selectorILNS1_17partition_subalgoE3EjNS0_10empty_typeEbEEZZNS1_14partition_implILS8_3ELb0ES6_jNS0_17counting_iteratorIjlEEPS9_SE_NS0_5tupleIJPjSE_EEENSF_IJSE_SE_EEES9_SG_JZNS1_25segmented_radix_sort_implINS0_14default_configELb1EPKhPhPKlPlN2at6native12_GLOBAL__N_18offset_tEEE10hipError_tPvRmT1_PNSt15iterator_traitsISY_E10value_typeET2_T3_PNSZ_IS14_E10value_typeET4_jRbjT5_S1A_jjP12ihipStream_tbEUljE_EEESV_SW_SX_S14_S18_S1A_T6_T7_T9_mT8_S1C_bDpT10_ENKUlT_T0_E_clISt17integral_constantIbLb1EES1O_IbLb0EEEEDaS1K_S1L_EUlS1K_E_NS1_11comp_targetILNS1_3genE2ELNS1_11target_archE906ELNS1_3gpuE6ELNS1_3repE0EEENS1_30default_config_static_selectorELNS0_4arch9wavefront6targetE0EEEvSY_
		.amdhsa_group_segment_fixed_size 0
		.amdhsa_private_segment_fixed_size 0
		.amdhsa_kernarg_size 144
		.amdhsa_user_sgpr_count 15
		.amdhsa_user_sgpr_dispatch_ptr 0
		.amdhsa_user_sgpr_queue_ptr 0
		.amdhsa_user_sgpr_kernarg_segment_ptr 1
		.amdhsa_user_sgpr_dispatch_id 0
		.amdhsa_user_sgpr_private_segment_size 0
		.amdhsa_wavefront_size32 1
		.amdhsa_uses_dynamic_stack 0
		.amdhsa_enable_private_segment 0
		.amdhsa_system_sgpr_workgroup_id_x 1
		.amdhsa_system_sgpr_workgroup_id_y 0
		.amdhsa_system_sgpr_workgroup_id_z 0
		.amdhsa_system_sgpr_workgroup_info 0
		.amdhsa_system_vgpr_workitem_id 0
		.amdhsa_next_free_vgpr 1
		.amdhsa_next_free_sgpr 1
		.amdhsa_reserve_vcc 0
		.amdhsa_float_round_mode_32 0
		.amdhsa_float_round_mode_16_64 0
		.amdhsa_float_denorm_mode_32 3
		.amdhsa_float_denorm_mode_16_64 3
		.amdhsa_dx10_clamp 1
		.amdhsa_ieee_mode 1
		.amdhsa_fp16_overflow 0
		.amdhsa_workgroup_processor_mode 1
		.amdhsa_memory_ordered 1
		.amdhsa_forward_progress 0
		.amdhsa_shared_vgpr_count 0
		.amdhsa_exception_fp_ieee_invalid_op 0
		.amdhsa_exception_fp_denorm_src 0
		.amdhsa_exception_fp_ieee_div_zero 0
		.amdhsa_exception_fp_ieee_overflow 0
		.amdhsa_exception_fp_ieee_underflow 0
		.amdhsa_exception_fp_ieee_inexact 0
		.amdhsa_exception_int_div_zero 0
	.end_amdhsa_kernel
	.section	.text._ZN7rocprim17ROCPRIM_400000_NS6detail17trampoline_kernelINS0_13select_configILj256ELj13ELNS0_17block_load_methodE3ELS4_3ELS4_3ELNS0_20block_scan_algorithmE0ELj4294967295EEENS1_25partition_config_selectorILNS1_17partition_subalgoE3EjNS0_10empty_typeEbEEZZNS1_14partition_implILS8_3ELb0ES6_jNS0_17counting_iteratorIjlEEPS9_SE_NS0_5tupleIJPjSE_EEENSF_IJSE_SE_EEES9_SG_JZNS1_25segmented_radix_sort_implINS0_14default_configELb1EPKhPhPKlPlN2at6native12_GLOBAL__N_18offset_tEEE10hipError_tPvRmT1_PNSt15iterator_traitsISY_E10value_typeET2_T3_PNSZ_IS14_E10value_typeET4_jRbjT5_S1A_jjP12ihipStream_tbEUljE_EEESV_SW_SX_S14_S18_S1A_T6_T7_T9_mT8_S1C_bDpT10_ENKUlT_T0_E_clISt17integral_constantIbLb1EES1O_IbLb0EEEEDaS1K_S1L_EUlS1K_E_NS1_11comp_targetILNS1_3genE2ELNS1_11target_archE906ELNS1_3gpuE6ELNS1_3repE0EEENS1_30default_config_static_selectorELNS0_4arch9wavefront6targetE0EEEvSY_,"axG",@progbits,_ZN7rocprim17ROCPRIM_400000_NS6detail17trampoline_kernelINS0_13select_configILj256ELj13ELNS0_17block_load_methodE3ELS4_3ELS4_3ELNS0_20block_scan_algorithmE0ELj4294967295EEENS1_25partition_config_selectorILNS1_17partition_subalgoE3EjNS0_10empty_typeEbEEZZNS1_14partition_implILS8_3ELb0ES6_jNS0_17counting_iteratorIjlEEPS9_SE_NS0_5tupleIJPjSE_EEENSF_IJSE_SE_EEES9_SG_JZNS1_25segmented_radix_sort_implINS0_14default_configELb1EPKhPhPKlPlN2at6native12_GLOBAL__N_18offset_tEEE10hipError_tPvRmT1_PNSt15iterator_traitsISY_E10value_typeET2_T3_PNSZ_IS14_E10value_typeET4_jRbjT5_S1A_jjP12ihipStream_tbEUljE_EEESV_SW_SX_S14_S18_S1A_T6_T7_T9_mT8_S1C_bDpT10_ENKUlT_T0_E_clISt17integral_constantIbLb1EES1O_IbLb0EEEEDaS1K_S1L_EUlS1K_E_NS1_11comp_targetILNS1_3genE2ELNS1_11target_archE906ELNS1_3gpuE6ELNS1_3repE0EEENS1_30default_config_static_selectorELNS0_4arch9wavefront6targetE0EEEvSY_,comdat
.Lfunc_end70:
	.size	_ZN7rocprim17ROCPRIM_400000_NS6detail17trampoline_kernelINS0_13select_configILj256ELj13ELNS0_17block_load_methodE3ELS4_3ELS4_3ELNS0_20block_scan_algorithmE0ELj4294967295EEENS1_25partition_config_selectorILNS1_17partition_subalgoE3EjNS0_10empty_typeEbEEZZNS1_14partition_implILS8_3ELb0ES6_jNS0_17counting_iteratorIjlEEPS9_SE_NS0_5tupleIJPjSE_EEENSF_IJSE_SE_EEES9_SG_JZNS1_25segmented_radix_sort_implINS0_14default_configELb1EPKhPhPKlPlN2at6native12_GLOBAL__N_18offset_tEEE10hipError_tPvRmT1_PNSt15iterator_traitsISY_E10value_typeET2_T3_PNSZ_IS14_E10value_typeET4_jRbjT5_S1A_jjP12ihipStream_tbEUljE_EEESV_SW_SX_S14_S18_S1A_T6_T7_T9_mT8_S1C_bDpT10_ENKUlT_T0_E_clISt17integral_constantIbLb1EES1O_IbLb0EEEEDaS1K_S1L_EUlS1K_E_NS1_11comp_targetILNS1_3genE2ELNS1_11target_archE906ELNS1_3gpuE6ELNS1_3repE0EEENS1_30default_config_static_selectorELNS0_4arch9wavefront6targetE0EEEvSY_, .Lfunc_end70-_ZN7rocprim17ROCPRIM_400000_NS6detail17trampoline_kernelINS0_13select_configILj256ELj13ELNS0_17block_load_methodE3ELS4_3ELS4_3ELNS0_20block_scan_algorithmE0ELj4294967295EEENS1_25partition_config_selectorILNS1_17partition_subalgoE3EjNS0_10empty_typeEbEEZZNS1_14partition_implILS8_3ELb0ES6_jNS0_17counting_iteratorIjlEEPS9_SE_NS0_5tupleIJPjSE_EEENSF_IJSE_SE_EEES9_SG_JZNS1_25segmented_radix_sort_implINS0_14default_configELb1EPKhPhPKlPlN2at6native12_GLOBAL__N_18offset_tEEE10hipError_tPvRmT1_PNSt15iterator_traitsISY_E10value_typeET2_T3_PNSZ_IS14_E10value_typeET4_jRbjT5_S1A_jjP12ihipStream_tbEUljE_EEESV_SW_SX_S14_S18_S1A_T6_T7_T9_mT8_S1C_bDpT10_ENKUlT_T0_E_clISt17integral_constantIbLb1EES1O_IbLb0EEEEDaS1K_S1L_EUlS1K_E_NS1_11comp_targetILNS1_3genE2ELNS1_11target_archE906ELNS1_3gpuE6ELNS1_3repE0EEENS1_30default_config_static_selectorELNS0_4arch9wavefront6targetE0EEEvSY_
                                        ; -- End function
	.section	.AMDGPU.csdata,"",@progbits
; Kernel info:
; codeLenInByte = 0
; NumSgprs: 0
; NumVgprs: 0
; ScratchSize: 0
; MemoryBound: 0
; FloatMode: 240
; IeeeMode: 1
; LDSByteSize: 0 bytes/workgroup (compile time only)
; SGPRBlocks: 0
; VGPRBlocks: 0
; NumSGPRsForWavesPerEU: 1
; NumVGPRsForWavesPerEU: 1
; Occupancy: 16
; WaveLimiterHint : 0
; COMPUTE_PGM_RSRC2:SCRATCH_EN: 0
; COMPUTE_PGM_RSRC2:USER_SGPR: 15
; COMPUTE_PGM_RSRC2:TRAP_HANDLER: 0
; COMPUTE_PGM_RSRC2:TGID_X_EN: 1
; COMPUTE_PGM_RSRC2:TGID_Y_EN: 0
; COMPUTE_PGM_RSRC2:TGID_Z_EN: 0
; COMPUTE_PGM_RSRC2:TIDIG_COMP_CNT: 0
	.section	.text._ZN7rocprim17ROCPRIM_400000_NS6detail17trampoline_kernelINS0_13select_configILj256ELj13ELNS0_17block_load_methodE3ELS4_3ELS4_3ELNS0_20block_scan_algorithmE0ELj4294967295EEENS1_25partition_config_selectorILNS1_17partition_subalgoE3EjNS0_10empty_typeEbEEZZNS1_14partition_implILS8_3ELb0ES6_jNS0_17counting_iteratorIjlEEPS9_SE_NS0_5tupleIJPjSE_EEENSF_IJSE_SE_EEES9_SG_JZNS1_25segmented_radix_sort_implINS0_14default_configELb1EPKhPhPKlPlN2at6native12_GLOBAL__N_18offset_tEEE10hipError_tPvRmT1_PNSt15iterator_traitsISY_E10value_typeET2_T3_PNSZ_IS14_E10value_typeET4_jRbjT5_S1A_jjP12ihipStream_tbEUljE_EEESV_SW_SX_S14_S18_S1A_T6_T7_T9_mT8_S1C_bDpT10_ENKUlT_T0_E_clISt17integral_constantIbLb1EES1O_IbLb0EEEEDaS1K_S1L_EUlS1K_E_NS1_11comp_targetILNS1_3genE10ELNS1_11target_archE1200ELNS1_3gpuE4ELNS1_3repE0EEENS1_30default_config_static_selectorELNS0_4arch9wavefront6targetE0EEEvSY_,"axG",@progbits,_ZN7rocprim17ROCPRIM_400000_NS6detail17trampoline_kernelINS0_13select_configILj256ELj13ELNS0_17block_load_methodE3ELS4_3ELS4_3ELNS0_20block_scan_algorithmE0ELj4294967295EEENS1_25partition_config_selectorILNS1_17partition_subalgoE3EjNS0_10empty_typeEbEEZZNS1_14partition_implILS8_3ELb0ES6_jNS0_17counting_iteratorIjlEEPS9_SE_NS0_5tupleIJPjSE_EEENSF_IJSE_SE_EEES9_SG_JZNS1_25segmented_radix_sort_implINS0_14default_configELb1EPKhPhPKlPlN2at6native12_GLOBAL__N_18offset_tEEE10hipError_tPvRmT1_PNSt15iterator_traitsISY_E10value_typeET2_T3_PNSZ_IS14_E10value_typeET4_jRbjT5_S1A_jjP12ihipStream_tbEUljE_EEESV_SW_SX_S14_S18_S1A_T6_T7_T9_mT8_S1C_bDpT10_ENKUlT_T0_E_clISt17integral_constantIbLb1EES1O_IbLb0EEEEDaS1K_S1L_EUlS1K_E_NS1_11comp_targetILNS1_3genE10ELNS1_11target_archE1200ELNS1_3gpuE4ELNS1_3repE0EEENS1_30default_config_static_selectorELNS0_4arch9wavefront6targetE0EEEvSY_,comdat
	.globl	_ZN7rocprim17ROCPRIM_400000_NS6detail17trampoline_kernelINS0_13select_configILj256ELj13ELNS0_17block_load_methodE3ELS4_3ELS4_3ELNS0_20block_scan_algorithmE0ELj4294967295EEENS1_25partition_config_selectorILNS1_17partition_subalgoE3EjNS0_10empty_typeEbEEZZNS1_14partition_implILS8_3ELb0ES6_jNS0_17counting_iteratorIjlEEPS9_SE_NS0_5tupleIJPjSE_EEENSF_IJSE_SE_EEES9_SG_JZNS1_25segmented_radix_sort_implINS0_14default_configELb1EPKhPhPKlPlN2at6native12_GLOBAL__N_18offset_tEEE10hipError_tPvRmT1_PNSt15iterator_traitsISY_E10value_typeET2_T3_PNSZ_IS14_E10value_typeET4_jRbjT5_S1A_jjP12ihipStream_tbEUljE_EEESV_SW_SX_S14_S18_S1A_T6_T7_T9_mT8_S1C_bDpT10_ENKUlT_T0_E_clISt17integral_constantIbLb1EES1O_IbLb0EEEEDaS1K_S1L_EUlS1K_E_NS1_11comp_targetILNS1_3genE10ELNS1_11target_archE1200ELNS1_3gpuE4ELNS1_3repE0EEENS1_30default_config_static_selectorELNS0_4arch9wavefront6targetE0EEEvSY_ ; -- Begin function _ZN7rocprim17ROCPRIM_400000_NS6detail17trampoline_kernelINS0_13select_configILj256ELj13ELNS0_17block_load_methodE3ELS4_3ELS4_3ELNS0_20block_scan_algorithmE0ELj4294967295EEENS1_25partition_config_selectorILNS1_17partition_subalgoE3EjNS0_10empty_typeEbEEZZNS1_14partition_implILS8_3ELb0ES6_jNS0_17counting_iteratorIjlEEPS9_SE_NS0_5tupleIJPjSE_EEENSF_IJSE_SE_EEES9_SG_JZNS1_25segmented_radix_sort_implINS0_14default_configELb1EPKhPhPKlPlN2at6native12_GLOBAL__N_18offset_tEEE10hipError_tPvRmT1_PNSt15iterator_traitsISY_E10value_typeET2_T3_PNSZ_IS14_E10value_typeET4_jRbjT5_S1A_jjP12ihipStream_tbEUljE_EEESV_SW_SX_S14_S18_S1A_T6_T7_T9_mT8_S1C_bDpT10_ENKUlT_T0_E_clISt17integral_constantIbLb1EES1O_IbLb0EEEEDaS1K_S1L_EUlS1K_E_NS1_11comp_targetILNS1_3genE10ELNS1_11target_archE1200ELNS1_3gpuE4ELNS1_3repE0EEENS1_30default_config_static_selectorELNS0_4arch9wavefront6targetE0EEEvSY_
	.p2align	8
	.type	_ZN7rocprim17ROCPRIM_400000_NS6detail17trampoline_kernelINS0_13select_configILj256ELj13ELNS0_17block_load_methodE3ELS4_3ELS4_3ELNS0_20block_scan_algorithmE0ELj4294967295EEENS1_25partition_config_selectorILNS1_17partition_subalgoE3EjNS0_10empty_typeEbEEZZNS1_14partition_implILS8_3ELb0ES6_jNS0_17counting_iteratorIjlEEPS9_SE_NS0_5tupleIJPjSE_EEENSF_IJSE_SE_EEES9_SG_JZNS1_25segmented_radix_sort_implINS0_14default_configELb1EPKhPhPKlPlN2at6native12_GLOBAL__N_18offset_tEEE10hipError_tPvRmT1_PNSt15iterator_traitsISY_E10value_typeET2_T3_PNSZ_IS14_E10value_typeET4_jRbjT5_S1A_jjP12ihipStream_tbEUljE_EEESV_SW_SX_S14_S18_S1A_T6_T7_T9_mT8_S1C_bDpT10_ENKUlT_T0_E_clISt17integral_constantIbLb1EES1O_IbLb0EEEEDaS1K_S1L_EUlS1K_E_NS1_11comp_targetILNS1_3genE10ELNS1_11target_archE1200ELNS1_3gpuE4ELNS1_3repE0EEENS1_30default_config_static_selectorELNS0_4arch9wavefront6targetE0EEEvSY_,@function
_ZN7rocprim17ROCPRIM_400000_NS6detail17trampoline_kernelINS0_13select_configILj256ELj13ELNS0_17block_load_methodE3ELS4_3ELS4_3ELNS0_20block_scan_algorithmE0ELj4294967295EEENS1_25partition_config_selectorILNS1_17partition_subalgoE3EjNS0_10empty_typeEbEEZZNS1_14partition_implILS8_3ELb0ES6_jNS0_17counting_iteratorIjlEEPS9_SE_NS0_5tupleIJPjSE_EEENSF_IJSE_SE_EEES9_SG_JZNS1_25segmented_radix_sort_implINS0_14default_configELb1EPKhPhPKlPlN2at6native12_GLOBAL__N_18offset_tEEE10hipError_tPvRmT1_PNSt15iterator_traitsISY_E10value_typeET2_T3_PNSZ_IS14_E10value_typeET4_jRbjT5_S1A_jjP12ihipStream_tbEUljE_EEESV_SW_SX_S14_S18_S1A_T6_T7_T9_mT8_S1C_bDpT10_ENKUlT_T0_E_clISt17integral_constantIbLb1EES1O_IbLb0EEEEDaS1K_S1L_EUlS1K_E_NS1_11comp_targetILNS1_3genE10ELNS1_11target_archE1200ELNS1_3gpuE4ELNS1_3repE0EEENS1_30default_config_static_selectorELNS0_4arch9wavefront6targetE0EEEvSY_: ; @_ZN7rocprim17ROCPRIM_400000_NS6detail17trampoline_kernelINS0_13select_configILj256ELj13ELNS0_17block_load_methodE3ELS4_3ELS4_3ELNS0_20block_scan_algorithmE0ELj4294967295EEENS1_25partition_config_selectorILNS1_17partition_subalgoE3EjNS0_10empty_typeEbEEZZNS1_14partition_implILS8_3ELb0ES6_jNS0_17counting_iteratorIjlEEPS9_SE_NS0_5tupleIJPjSE_EEENSF_IJSE_SE_EEES9_SG_JZNS1_25segmented_radix_sort_implINS0_14default_configELb1EPKhPhPKlPlN2at6native12_GLOBAL__N_18offset_tEEE10hipError_tPvRmT1_PNSt15iterator_traitsISY_E10value_typeET2_T3_PNSZ_IS14_E10value_typeET4_jRbjT5_S1A_jjP12ihipStream_tbEUljE_EEESV_SW_SX_S14_S18_S1A_T6_T7_T9_mT8_S1C_bDpT10_ENKUlT_T0_E_clISt17integral_constantIbLb1EES1O_IbLb0EEEEDaS1K_S1L_EUlS1K_E_NS1_11comp_targetILNS1_3genE10ELNS1_11target_archE1200ELNS1_3gpuE4ELNS1_3repE0EEENS1_30default_config_static_selectorELNS0_4arch9wavefront6targetE0EEEvSY_
; %bb.0:
	.section	.rodata,"a",@progbits
	.p2align	6, 0x0
	.amdhsa_kernel _ZN7rocprim17ROCPRIM_400000_NS6detail17trampoline_kernelINS0_13select_configILj256ELj13ELNS0_17block_load_methodE3ELS4_3ELS4_3ELNS0_20block_scan_algorithmE0ELj4294967295EEENS1_25partition_config_selectorILNS1_17partition_subalgoE3EjNS0_10empty_typeEbEEZZNS1_14partition_implILS8_3ELb0ES6_jNS0_17counting_iteratorIjlEEPS9_SE_NS0_5tupleIJPjSE_EEENSF_IJSE_SE_EEES9_SG_JZNS1_25segmented_radix_sort_implINS0_14default_configELb1EPKhPhPKlPlN2at6native12_GLOBAL__N_18offset_tEEE10hipError_tPvRmT1_PNSt15iterator_traitsISY_E10value_typeET2_T3_PNSZ_IS14_E10value_typeET4_jRbjT5_S1A_jjP12ihipStream_tbEUljE_EEESV_SW_SX_S14_S18_S1A_T6_T7_T9_mT8_S1C_bDpT10_ENKUlT_T0_E_clISt17integral_constantIbLb1EES1O_IbLb0EEEEDaS1K_S1L_EUlS1K_E_NS1_11comp_targetILNS1_3genE10ELNS1_11target_archE1200ELNS1_3gpuE4ELNS1_3repE0EEENS1_30default_config_static_selectorELNS0_4arch9wavefront6targetE0EEEvSY_
		.amdhsa_group_segment_fixed_size 0
		.amdhsa_private_segment_fixed_size 0
		.amdhsa_kernarg_size 144
		.amdhsa_user_sgpr_count 15
		.amdhsa_user_sgpr_dispatch_ptr 0
		.amdhsa_user_sgpr_queue_ptr 0
		.amdhsa_user_sgpr_kernarg_segment_ptr 1
		.amdhsa_user_sgpr_dispatch_id 0
		.amdhsa_user_sgpr_private_segment_size 0
		.amdhsa_wavefront_size32 1
		.amdhsa_uses_dynamic_stack 0
		.amdhsa_enable_private_segment 0
		.amdhsa_system_sgpr_workgroup_id_x 1
		.amdhsa_system_sgpr_workgroup_id_y 0
		.amdhsa_system_sgpr_workgroup_id_z 0
		.amdhsa_system_sgpr_workgroup_info 0
		.amdhsa_system_vgpr_workitem_id 0
		.amdhsa_next_free_vgpr 1
		.amdhsa_next_free_sgpr 1
		.amdhsa_reserve_vcc 0
		.amdhsa_float_round_mode_32 0
		.amdhsa_float_round_mode_16_64 0
		.amdhsa_float_denorm_mode_32 3
		.amdhsa_float_denorm_mode_16_64 3
		.amdhsa_dx10_clamp 1
		.amdhsa_ieee_mode 1
		.amdhsa_fp16_overflow 0
		.amdhsa_workgroup_processor_mode 1
		.amdhsa_memory_ordered 1
		.amdhsa_forward_progress 0
		.amdhsa_shared_vgpr_count 0
		.amdhsa_exception_fp_ieee_invalid_op 0
		.amdhsa_exception_fp_denorm_src 0
		.amdhsa_exception_fp_ieee_div_zero 0
		.amdhsa_exception_fp_ieee_overflow 0
		.amdhsa_exception_fp_ieee_underflow 0
		.amdhsa_exception_fp_ieee_inexact 0
		.amdhsa_exception_int_div_zero 0
	.end_amdhsa_kernel
	.section	.text._ZN7rocprim17ROCPRIM_400000_NS6detail17trampoline_kernelINS0_13select_configILj256ELj13ELNS0_17block_load_methodE3ELS4_3ELS4_3ELNS0_20block_scan_algorithmE0ELj4294967295EEENS1_25partition_config_selectorILNS1_17partition_subalgoE3EjNS0_10empty_typeEbEEZZNS1_14partition_implILS8_3ELb0ES6_jNS0_17counting_iteratorIjlEEPS9_SE_NS0_5tupleIJPjSE_EEENSF_IJSE_SE_EEES9_SG_JZNS1_25segmented_radix_sort_implINS0_14default_configELb1EPKhPhPKlPlN2at6native12_GLOBAL__N_18offset_tEEE10hipError_tPvRmT1_PNSt15iterator_traitsISY_E10value_typeET2_T3_PNSZ_IS14_E10value_typeET4_jRbjT5_S1A_jjP12ihipStream_tbEUljE_EEESV_SW_SX_S14_S18_S1A_T6_T7_T9_mT8_S1C_bDpT10_ENKUlT_T0_E_clISt17integral_constantIbLb1EES1O_IbLb0EEEEDaS1K_S1L_EUlS1K_E_NS1_11comp_targetILNS1_3genE10ELNS1_11target_archE1200ELNS1_3gpuE4ELNS1_3repE0EEENS1_30default_config_static_selectorELNS0_4arch9wavefront6targetE0EEEvSY_,"axG",@progbits,_ZN7rocprim17ROCPRIM_400000_NS6detail17trampoline_kernelINS0_13select_configILj256ELj13ELNS0_17block_load_methodE3ELS4_3ELS4_3ELNS0_20block_scan_algorithmE0ELj4294967295EEENS1_25partition_config_selectorILNS1_17partition_subalgoE3EjNS0_10empty_typeEbEEZZNS1_14partition_implILS8_3ELb0ES6_jNS0_17counting_iteratorIjlEEPS9_SE_NS0_5tupleIJPjSE_EEENSF_IJSE_SE_EEES9_SG_JZNS1_25segmented_radix_sort_implINS0_14default_configELb1EPKhPhPKlPlN2at6native12_GLOBAL__N_18offset_tEEE10hipError_tPvRmT1_PNSt15iterator_traitsISY_E10value_typeET2_T3_PNSZ_IS14_E10value_typeET4_jRbjT5_S1A_jjP12ihipStream_tbEUljE_EEESV_SW_SX_S14_S18_S1A_T6_T7_T9_mT8_S1C_bDpT10_ENKUlT_T0_E_clISt17integral_constantIbLb1EES1O_IbLb0EEEEDaS1K_S1L_EUlS1K_E_NS1_11comp_targetILNS1_3genE10ELNS1_11target_archE1200ELNS1_3gpuE4ELNS1_3repE0EEENS1_30default_config_static_selectorELNS0_4arch9wavefront6targetE0EEEvSY_,comdat
.Lfunc_end71:
	.size	_ZN7rocprim17ROCPRIM_400000_NS6detail17trampoline_kernelINS0_13select_configILj256ELj13ELNS0_17block_load_methodE3ELS4_3ELS4_3ELNS0_20block_scan_algorithmE0ELj4294967295EEENS1_25partition_config_selectorILNS1_17partition_subalgoE3EjNS0_10empty_typeEbEEZZNS1_14partition_implILS8_3ELb0ES6_jNS0_17counting_iteratorIjlEEPS9_SE_NS0_5tupleIJPjSE_EEENSF_IJSE_SE_EEES9_SG_JZNS1_25segmented_radix_sort_implINS0_14default_configELb1EPKhPhPKlPlN2at6native12_GLOBAL__N_18offset_tEEE10hipError_tPvRmT1_PNSt15iterator_traitsISY_E10value_typeET2_T3_PNSZ_IS14_E10value_typeET4_jRbjT5_S1A_jjP12ihipStream_tbEUljE_EEESV_SW_SX_S14_S18_S1A_T6_T7_T9_mT8_S1C_bDpT10_ENKUlT_T0_E_clISt17integral_constantIbLb1EES1O_IbLb0EEEEDaS1K_S1L_EUlS1K_E_NS1_11comp_targetILNS1_3genE10ELNS1_11target_archE1200ELNS1_3gpuE4ELNS1_3repE0EEENS1_30default_config_static_selectorELNS0_4arch9wavefront6targetE0EEEvSY_, .Lfunc_end71-_ZN7rocprim17ROCPRIM_400000_NS6detail17trampoline_kernelINS0_13select_configILj256ELj13ELNS0_17block_load_methodE3ELS4_3ELS4_3ELNS0_20block_scan_algorithmE0ELj4294967295EEENS1_25partition_config_selectorILNS1_17partition_subalgoE3EjNS0_10empty_typeEbEEZZNS1_14partition_implILS8_3ELb0ES6_jNS0_17counting_iteratorIjlEEPS9_SE_NS0_5tupleIJPjSE_EEENSF_IJSE_SE_EEES9_SG_JZNS1_25segmented_radix_sort_implINS0_14default_configELb1EPKhPhPKlPlN2at6native12_GLOBAL__N_18offset_tEEE10hipError_tPvRmT1_PNSt15iterator_traitsISY_E10value_typeET2_T3_PNSZ_IS14_E10value_typeET4_jRbjT5_S1A_jjP12ihipStream_tbEUljE_EEESV_SW_SX_S14_S18_S1A_T6_T7_T9_mT8_S1C_bDpT10_ENKUlT_T0_E_clISt17integral_constantIbLb1EES1O_IbLb0EEEEDaS1K_S1L_EUlS1K_E_NS1_11comp_targetILNS1_3genE10ELNS1_11target_archE1200ELNS1_3gpuE4ELNS1_3repE0EEENS1_30default_config_static_selectorELNS0_4arch9wavefront6targetE0EEEvSY_
                                        ; -- End function
	.section	.AMDGPU.csdata,"",@progbits
; Kernel info:
; codeLenInByte = 0
; NumSgprs: 0
; NumVgprs: 0
; ScratchSize: 0
; MemoryBound: 0
; FloatMode: 240
; IeeeMode: 1
; LDSByteSize: 0 bytes/workgroup (compile time only)
; SGPRBlocks: 0
; VGPRBlocks: 0
; NumSGPRsForWavesPerEU: 1
; NumVGPRsForWavesPerEU: 1
; Occupancy: 16
; WaveLimiterHint : 0
; COMPUTE_PGM_RSRC2:SCRATCH_EN: 0
; COMPUTE_PGM_RSRC2:USER_SGPR: 15
; COMPUTE_PGM_RSRC2:TRAP_HANDLER: 0
; COMPUTE_PGM_RSRC2:TGID_X_EN: 1
; COMPUTE_PGM_RSRC2:TGID_Y_EN: 0
; COMPUTE_PGM_RSRC2:TGID_Z_EN: 0
; COMPUTE_PGM_RSRC2:TIDIG_COMP_CNT: 0
	.section	.text._ZN7rocprim17ROCPRIM_400000_NS6detail17trampoline_kernelINS0_13select_configILj256ELj13ELNS0_17block_load_methodE3ELS4_3ELS4_3ELNS0_20block_scan_algorithmE0ELj4294967295EEENS1_25partition_config_selectorILNS1_17partition_subalgoE3EjNS0_10empty_typeEbEEZZNS1_14partition_implILS8_3ELb0ES6_jNS0_17counting_iteratorIjlEEPS9_SE_NS0_5tupleIJPjSE_EEENSF_IJSE_SE_EEES9_SG_JZNS1_25segmented_radix_sort_implINS0_14default_configELb1EPKhPhPKlPlN2at6native12_GLOBAL__N_18offset_tEEE10hipError_tPvRmT1_PNSt15iterator_traitsISY_E10value_typeET2_T3_PNSZ_IS14_E10value_typeET4_jRbjT5_S1A_jjP12ihipStream_tbEUljE_EEESV_SW_SX_S14_S18_S1A_T6_T7_T9_mT8_S1C_bDpT10_ENKUlT_T0_E_clISt17integral_constantIbLb1EES1O_IbLb0EEEEDaS1K_S1L_EUlS1K_E_NS1_11comp_targetILNS1_3genE9ELNS1_11target_archE1100ELNS1_3gpuE3ELNS1_3repE0EEENS1_30default_config_static_selectorELNS0_4arch9wavefront6targetE0EEEvSY_,"axG",@progbits,_ZN7rocprim17ROCPRIM_400000_NS6detail17trampoline_kernelINS0_13select_configILj256ELj13ELNS0_17block_load_methodE3ELS4_3ELS4_3ELNS0_20block_scan_algorithmE0ELj4294967295EEENS1_25partition_config_selectorILNS1_17partition_subalgoE3EjNS0_10empty_typeEbEEZZNS1_14partition_implILS8_3ELb0ES6_jNS0_17counting_iteratorIjlEEPS9_SE_NS0_5tupleIJPjSE_EEENSF_IJSE_SE_EEES9_SG_JZNS1_25segmented_radix_sort_implINS0_14default_configELb1EPKhPhPKlPlN2at6native12_GLOBAL__N_18offset_tEEE10hipError_tPvRmT1_PNSt15iterator_traitsISY_E10value_typeET2_T3_PNSZ_IS14_E10value_typeET4_jRbjT5_S1A_jjP12ihipStream_tbEUljE_EEESV_SW_SX_S14_S18_S1A_T6_T7_T9_mT8_S1C_bDpT10_ENKUlT_T0_E_clISt17integral_constantIbLb1EES1O_IbLb0EEEEDaS1K_S1L_EUlS1K_E_NS1_11comp_targetILNS1_3genE9ELNS1_11target_archE1100ELNS1_3gpuE3ELNS1_3repE0EEENS1_30default_config_static_selectorELNS0_4arch9wavefront6targetE0EEEvSY_,comdat
	.globl	_ZN7rocprim17ROCPRIM_400000_NS6detail17trampoline_kernelINS0_13select_configILj256ELj13ELNS0_17block_load_methodE3ELS4_3ELS4_3ELNS0_20block_scan_algorithmE0ELj4294967295EEENS1_25partition_config_selectorILNS1_17partition_subalgoE3EjNS0_10empty_typeEbEEZZNS1_14partition_implILS8_3ELb0ES6_jNS0_17counting_iteratorIjlEEPS9_SE_NS0_5tupleIJPjSE_EEENSF_IJSE_SE_EEES9_SG_JZNS1_25segmented_radix_sort_implINS0_14default_configELb1EPKhPhPKlPlN2at6native12_GLOBAL__N_18offset_tEEE10hipError_tPvRmT1_PNSt15iterator_traitsISY_E10value_typeET2_T3_PNSZ_IS14_E10value_typeET4_jRbjT5_S1A_jjP12ihipStream_tbEUljE_EEESV_SW_SX_S14_S18_S1A_T6_T7_T9_mT8_S1C_bDpT10_ENKUlT_T0_E_clISt17integral_constantIbLb1EES1O_IbLb0EEEEDaS1K_S1L_EUlS1K_E_NS1_11comp_targetILNS1_3genE9ELNS1_11target_archE1100ELNS1_3gpuE3ELNS1_3repE0EEENS1_30default_config_static_selectorELNS0_4arch9wavefront6targetE0EEEvSY_ ; -- Begin function _ZN7rocprim17ROCPRIM_400000_NS6detail17trampoline_kernelINS0_13select_configILj256ELj13ELNS0_17block_load_methodE3ELS4_3ELS4_3ELNS0_20block_scan_algorithmE0ELj4294967295EEENS1_25partition_config_selectorILNS1_17partition_subalgoE3EjNS0_10empty_typeEbEEZZNS1_14partition_implILS8_3ELb0ES6_jNS0_17counting_iteratorIjlEEPS9_SE_NS0_5tupleIJPjSE_EEENSF_IJSE_SE_EEES9_SG_JZNS1_25segmented_radix_sort_implINS0_14default_configELb1EPKhPhPKlPlN2at6native12_GLOBAL__N_18offset_tEEE10hipError_tPvRmT1_PNSt15iterator_traitsISY_E10value_typeET2_T3_PNSZ_IS14_E10value_typeET4_jRbjT5_S1A_jjP12ihipStream_tbEUljE_EEESV_SW_SX_S14_S18_S1A_T6_T7_T9_mT8_S1C_bDpT10_ENKUlT_T0_E_clISt17integral_constantIbLb1EES1O_IbLb0EEEEDaS1K_S1L_EUlS1K_E_NS1_11comp_targetILNS1_3genE9ELNS1_11target_archE1100ELNS1_3gpuE3ELNS1_3repE0EEENS1_30default_config_static_selectorELNS0_4arch9wavefront6targetE0EEEvSY_
	.p2align	8
	.type	_ZN7rocprim17ROCPRIM_400000_NS6detail17trampoline_kernelINS0_13select_configILj256ELj13ELNS0_17block_load_methodE3ELS4_3ELS4_3ELNS0_20block_scan_algorithmE0ELj4294967295EEENS1_25partition_config_selectorILNS1_17partition_subalgoE3EjNS0_10empty_typeEbEEZZNS1_14partition_implILS8_3ELb0ES6_jNS0_17counting_iteratorIjlEEPS9_SE_NS0_5tupleIJPjSE_EEENSF_IJSE_SE_EEES9_SG_JZNS1_25segmented_radix_sort_implINS0_14default_configELb1EPKhPhPKlPlN2at6native12_GLOBAL__N_18offset_tEEE10hipError_tPvRmT1_PNSt15iterator_traitsISY_E10value_typeET2_T3_PNSZ_IS14_E10value_typeET4_jRbjT5_S1A_jjP12ihipStream_tbEUljE_EEESV_SW_SX_S14_S18_S1A_T6_T7_T9_mT8_S1C_bDpT10_ENKUlT_T0_E_clISt17integral_constantIbLb1EES1O_IbLb0EEEEDaS1K_S1L_EUlS1K_E_NS1_11comp_targetILNS1_3genE9ELNS1_11target_archE1100ELNS1_3gpuE3ELNS1_3repE0EEENS1_30default_config_static_selectorELNS0_4arch9wavefront6targetE0EEEvSY_,@function
_ZN7rocprim17ROCPRIM_400000_NS6detail17trampoline_kernelINS0_13select_configILj256ELj13ELNS0_17block_load_methodE3ELS4_3ELS4_3ELNS0_20block_scan_algorithmE0ELj4294967295EEENS1_25partition_config_selectorILNS1_17partition_subalgoE3EjNS0_10empty_typeEbEEZZNS1_14partition_implILS8_3ELb0ES6_jNS0_17counting_iteratorIjlEEPS9_SE_NS0_5tupleIJPjSE_EEENSF_IJSE_SE_EEES9_SG_JZNS1_25segmented_radix_sort_implINS0_14default_configELb1EPKhPhPKlPlN2at6native12_GLOBAL__N_18offset_tEEE10hipError_tPvRmT1_PNSt15iterator_traitsISY_E10value_typeET2_T3_PNSZ_IS14_E10value_typeET4_jRbjT5_S1A_jjP12ihipStream_tbEUljE_EEESV_SW_SX_S14_S18_S1A_T6_T7_T9_mT8_S1C_bDpT10_ENKUlT_T0_E_clISt17integral_constantIbLb1EES1O_IbLb0EEEEDaS1K_S1L_EUlS1K_E_NS1_11comp_targetILNS1_3genE9ELNS1_11target_archE1100ELNS1_3gpuE3ELNS1_3repE0EEENS1_30default_config_static_selectorELNS0_4arch9wavefront6targetE0EEEvSY_: ; @_ZN7rocprim17ROCPRIM_400000_NS6detail17trampoline_kernelINS0_13select_configILj256ELj13ELNS0_17block_load_methodE3ELS4_3ELS4_3ELNS0_20block_scan_algorithmE0ELj4294967295EEENS1_25partition_config_selectorILNS1_17partition_subalgoE3EjNS0_10empty_typeEbEEZZNS1_14partition_implILS8_3ELb0ES6_jNS0_17counting_iteratorIjlEEPS9_SE_NS0_5tupleIJPjSE_EEENSF_IJSE_SE_EEES9_SG_JZNS1_25segmented_radix_sort_implINS0_14default_configELb1EPKhPhPKlPlN2at6native12_GLOBAL__N_18offset_tEEE10hipError_tPvRmT1_PNSt15iterator_traitsISY_E10value_typeET2_T3_PNSZ_IS14_E10value_typeET4_jRbjT5_S1A_jjP12ihipStream_tbEUljE_EEESV_SW_SX_S14_S18_S1A_T6_T7_T9_mT8_S1C_bDpT10_ENKUlT_T0_E_clISt17integral_constantIbLb1EES1O_IbLb0EEEEDaS1K_S1L_EUlS1K_E_NS1_11comp_targetILNS1_3genE9ELNS1_11target_archE1100ELNS1_3gpuE3ELNS1_3repE0EEENS1_30default_config_static_selectorELNS0_4arch9wavefront6targetE0EEEvSY_
; %bb.0:
	s_clause 0x5
	s_load_b32 s2, s[0:1], 0x70
	s_load_b64 s[16:17], s[0:1], 0x10
	s_load_b64 s[12:13], s[0:1], 0x58
	s_load_b32 s18, s[0:1], 0x8
	s_load_b128 s[8:11], s[0:1], 0x48
	s_load_b128 s[4:7], s[0:1], 0x78
	s_mul_i32 s23, s15, 0xd00
	v_lshlrev_b32_e32 v30, 2, v0
	s_waitcnt lgkmcnt(0)
	s_mul_i32 s20, s2, 0xd00
	s_add_i32 s19, s2, -1
	s_add_u32 s2, s16, s20
	s_addc_u32 s3, s17, 0
	s_cmp_eq_u32 s15, s19
	v_cmp_lt_u64_e64 s3, s[2:3], s[12:13]
	s_cselect_b32 s14, -1, 0
	s_cmp_lg_u32 s15, s19
	s_cselect_b32 s21, -1, 0
	s_add_i32 s2, s18, s23
	s_delay_alu instid0(VALU_DEP_1)
	s_or_b32 s3, s21, s3
	s_add_i32 s18, s2, s16
	s_load_b32 s2, s[0:1], 0x88
	v_add_nc_u32_e32 v1, s18, v0
	s_load_b64 s[18:19], s[10:11], 0x0
	s_and_b32 vcc_lo, exec_lo, s3
	s_mov_b32 s10, -1
	s_delay_alu instid0(VALU_DEP_1)
	v_add_nc_u32_e32 v2, 0x100, v1
	v_add_nc_u32_e32 v3, 0x200, v1
	;; [unrolled: 1-line block ×12, first 2 shown]
	s_cbranch_vccz .LBB72_2
; %bb.1:
	ds_store_2addr_stride64_b32 v30, v1, v2 offset1:4
	ds_store_2addr_stride64_b32 v30, v3, v4 offset0:8 offset1:12
	ds_store_2addr_stride64_b32 v30, v5, v6 offset0:16 offset1:20
	;; [unrolled: 1-line block ×5, first 2 shown]
	ds_store_b32 v30, v13 offset:12288
	s_waitcnt lgkmcnt(0)
	s_mov_b32 s10, 0
	s_barrier
.LBB72_2:
	s_and_not1_b32 vcc_lo, exec_lo, s10
	s_add_i32 s20, s20, s16
	s_cbranch_vccnz .LBB72_4
; %bb.3:
	ds_store_2addr_stride64_b32 v30, v1, v2 offset1:4
	ds_store_2addr_stride64_b32 v30, v3, v4 offset0:8 offset1:12
	ds_store_2addr_stride64_b32 v30, v5, v6 offset0:16 offset1:20
	;; [unrolled: 1-line block ×5, first 2 shown]
	ds_store_b32 v30, v13 offset:12288
	s_waitcnt lgkmcnt(0)
	s_barrier
.LBB72_4:
	v_mul_u32_u24_e32 v33, 13, v0
	s_waitcnt lgkmcnt(0)
	buffer_gl0_inv
	v_cndmask_b32_e64 v31, 0, 1, s3
	s_sub_i32 s22, s12, s20
	s_and_not1_b32 vcc_lo, exec_lo, s3
	v_lshlrev_b32_e32 v1, 2, v33
	ds_load_2addr_b32 v[28:29], v1 offset1:1
	ds_load_2addr_b32 v[26:27], v1 offset0:2 offset1:3
	ds_load_2addr_b32 v[24:25], v1 offset0:4 offset1:5
	;; [unrolled: 1-line block ×5, first 2 shown]
	ds_load_b32 v32, v1 offset:48
	s_waitcnt lgkmcnt(0)
	s_barrier
	buffer_gl0_inv
	s_cbranch_vccnz .LBB72_6
; %bb.5:
	v_add_nc_u32_e32 v1, s5, v28
	v_add_nc_u32_e32 v2, s7, v28
	;; [unrolled: 1-line block ×5, first 2 shown]
	v_mul_lo_u32 v1, v1, s4
	v_mul_lo_u32 v2, v2, s6
	;; [unrolled: 1-line block ×4, first 2 shown]
	v_add_nc_u32_e32 v6, s7, v26
	v_add_nc_u32_e32 v7, s5, v27
	;; [unrolled: 1-line block ×3, first 2 shown]
	v_mul_lo_u32 v5, v5, s4
	v_add_nc_u32_e32 v9, s5, v22
	v_sub_nc_u32_e32 v1, v1, v2
	v_mul_lo_u32 v2, v6, s6
	v_sub_nc_u32_e32 v3, v3, v4
	v_mul_lo_u32 v4, v7, s4
	v_mul_lo_u32 v6, v8, s6
	v_add_nc_u32_e32 v7, s5, v24
	v_cmp_lt_u32_e32 vcc_lo, s2, v1
	v_add_nc_u32_e32 v8, s5, v25
	v_add_nc_u32_e32 v10, s7, v22
	v_sub_nc_u32_e32 v2, v5, v2
	v_add_nc_u32_e32 v5, s7, v24
	v_cndmask_b32_e64 v1, 0, 1, vcc_lo
	v_sub_nc_u32_e32 v4, v4, v6
	v_mul_lo_u32 v6, v7, s4
	v_add_nc_u32_e32 v7, s7, v25
	v_cmp_lt_u32_e32 vcc_lo, s2, v3
	v_mul_lo_u32 v5, v5, s6
	v_mul_lo_u32 v8, v8, s4
	;; [unrolled: 1-line block ×4, first 2 shown]
	v_cndmask_b32_e64 v3, 0, 1, vcc_lo
	v_cmp_lt_u32_e32 vcc_lo, s2, v2
	v_mul_lo_u32 v10, v10, s6
	v_add_nc_u32_e32 v11, s5, v20
	v_sub_nc_u32_e32 v5, v6, v5
	v_add_nc_u32_e32 v12, s7, v20
	v_cndmask_b32_e64 v2, 0, 1, vcc_lo
	v_sub_nc_u32_e32 v6, v8, v7
	v_add_nc_u32_e32 v7, s5, v23
	v_add_nc_u32_e32 v8, s7, v23
	v_cmp_lt_u32_e32 vcc_lo, s2, v4
	v_sub_nc_u32_e32 v9, v9, v10
	v_mul_lo_u32 v10, v11, s4
	v_mul_lo_u32 v7, v7, s4
	;; [unrolled: 1-line block ×4, first 2 shown]
	v_cndmask_b32_e64 v4, 0, 1, vcc_lo
	v_cmp_lt_u32_e32 vcc_lo, s2, v5
	v_add_nc_u32_e32 v12, s5, v21
	v_add_nc_u32_e32 v13, s7, v18
	;; [unrolled: 1-line block ×4, first 2 shown]
	v_cndmask_b32_e64 v5, 0, 1, vcc_lo
	v_cmp_lt_u32_e32 vcc_lo, s2, v6
	v_sub_nc_u32_e32 v7, v7, v8
	v_sub_nc_u32_e32 v8, v10, v11
	v_add_nc_u32_e32 v11, s7, v21
	v_mul_lo_u32 v10, v12, s4
	v_cndmask_b32_e64 v6, 0, 1, vcc_lo
	v_cmp_lt_u32_e32 vcc_lo, s2, v9
	v_add_nc_u32_e32 v12, s5, v18
	v_mul_lo_u32 v11, v11, s6
	v_mul_lo_u32 v13, v13, s6
	;; [unrolled: 1-line block ×3, first 2 shown]
	v_cndmask_b32_e64 v9, 0, 1, vcc_lo
	v_cmp_lt_u32_e32 vcc_lo, s2, v7
	v_mul_lo_u32 v12, v12, s4
	v_mul_lo_u32 v15, v15, s6
	v_lshlrev_b16 v3, 8, v3
	v_sub_nc_u32_e32 v10, v10, v11
	v_cndmask_b32_e64 v7, 0, 1, vcc_lo
	v_cmp_lt_u32_e32 vcc_lo, s2, v8
	v_add_nc_u32_e32 v11, s5, v32
	v_or_b32_e32 v1, v1, v3
	v_sub_nc_u32_e32 v12, v12, v13
	v_sub_nc_u32_e32 v13, v14, v15
	v_cndmask_b32_e64 v8, 0, 1, vcc_lo
	v_cmp_lt_u32_e32 vcc_lo, s2, v10
	v_add_nc_u32_e32 v16, s7, v32
	v_mul_lo_u32 v11, v11, s4
	v_lshlrev_b16 v4, 8, v4
	v_lshlrev_b16 v6, 8, v6
	v_cndmask_b32_e64 v10, 0, 1, vcc_lo
	v_cmp_lt_u32_e32 vcc_lo, s2, v12
	v_mul_lo_u32 v14, v16, s6
	v_lshlrev_b16 v7, 8, v7
	v_or_b32_e32 v2, v2, v4
	v_lshlrev_b16 v10, 8, v10
	v_cndmask_b32_e64 v3, 0, 1, vcc_lo
	v_cmp_lt_u32_e32 vcc_lo, s2, v13
	v_or_b32_e32 v4, v5, v6
	v_or_b32_e32 v5, v9, v7
	v_sub_nc_u32_e32 v11, v11, v14
	v_or_b32_e32 v6, v8, v10
	v_cndmask_b32_e64 v12, 0, 1, vcc_lo
	v_and_b32_e32 v1, 0xffff, v1
	v_lshlrev_b32_e32 v2, 16, v2
	v_and_b32_e32 v4, 0xffff, v4
	v_lshlrev_b32_e32 v5, 16, v5
	v_lshlrev_b16 v12, 8, v12
	v_and_b32_e32 v6, 0xffff, v6
	v_cmp_lt_u32_e32 vcc_lo, s2, v11
	v_or_b32_e32 v39, v1, v2
	v_or_b32_e32 v37, v4, v5
	;; [unrolled: 1-line block ×3, first 2 shown]
	s_mov_b32 s3, 0
	v_cndmask_b32_e64 v34, 0, 1, vcc_lo
	s_delay_alu instid0(VALU_DEP_2) | instskip(NEXT) | instid1(VALU_DEP_1)
	v_lshlrev_b32_e32 v3, 16, v3
	v_or_b32_e32 v35, v6, v3
	s_branch .LBB72_7
.LBB72_6:
	s_mov_b32 s3, -1
                                        ; implicit-def: $vgpr34
                                        ; implicit-def: $vgpr35
                                        ; implicit-def: $vgpr37
                                        ; implicit-def: $vgpr39
.LBB72_7:
	s_clause 0x1
	s_load_b64 s[10:11], s[0:1], 0x28
	s_load_b64 s[20:21], s[0:1], 0x68
	s_and_not1_b32 vcc_lo, exec_lo, s3
	s_addk_i32 s22, 0xd00
	s_cbranch_vccnz .LBB72_35
; %bb.8:
	v_dual_mov_b32 v2, 0 :: v_dual_mov_b32 v1, 0
	s_mov_b32 s0, exec_lo
	v_cmpx_gt_u32_e64 s22, v33
; %bb.9:
	v_add_nc_u32_e32 v1, s5, v28
	v_add_nc_u32_e32 v3, s7, v28
	s_delay_alu instid0(VALU_DEP_2) | instskip(NEXT) | instid1(VALU_DEP_2)
	v_mul_lo_u32 v1, v1, s4
	v_mul_lo_u32 v3, v3, s6
	s_delay_alu instid0(VALU_DEP_1) | instskip(NEXT) | instid1(VALU_DEP_1)
	v_sub_nc_u32_e32 v1, v1, v3
	v_cmp_lt_u32_e32 vcc_lo, s2, v1
	v_cndmask_b32_e64 v1, 0, 1, vcc_lo
; %bb.10:
	s_or_b32 exec_lo, exec_lo, s0
	v_add_nc_u32_e32 v3, 1, v33
	s_mov_b32 s0, exec_lo
	s_delay_alu instid0(VALU_DEP_1)
	v_cmpx_gt_u32_e64 s22, v3
; %bb.11:
	v_add_nc_u32_e32 v2, s5, v29
	v_add_nc_u32_e32 v3, s7, v29
	s_delay_alu instid0(VALU_DEP_2) | instskip(NEXT) | instid1(VALU_DEP_2)
	v_mul_lo_u32 v2, v2, s4
	v_mul_lo_u32 v3, v3, s6
	s_delay_alu instid0(VALU_DEP_1) | instskip(NEXT) | instid1(VALU_DEP_1)
	v_sub_nc_u32_e32 v2, v2, v3
	v_cmp_lt_u32_e32 vcc_lo, s2, v2
	v_cndmask_b32_e64 v2, 0, 1, vcc_lo
; %bb.12:
	s_or_b32 exec_lo, exec_lo, s0
	v_dual_mov_b32 v4, 0 :: v_dual_add_nc_u32 v3, 2, v33
	s_delay_alu instid0(VALU_DEP_1)
	v_cmp_gt_u32_e32 vcc_lo, s22, v3
	v_mov_b32_e32 v3, 0
	s_and_saveexec_b32 s0, vcc_lo
; %bb.13:
	v_add_nc_u32_e32 v3, s5, v26
	v_add_nc_u32_e32 v5, s7, v26
	s_delay_alu instid0(VALU_DEP_2) | instskip(NEXT) | instid1(VALU_DEP_2)
	v_mul_lo_u32 v3, v3, s4
	v_mul_lo_u32 v5, v5, s6
	s_delay_alu instid0(VALU_DEP_1) | instskip(NEXT) | instid1(VALU_DEP_1)
	v_sub_nc_u32_e32 v3, v3, v5
	v_cmp_lt_u32_e32 vcc_lo, s2, v3
	v_cndmask_b32_e64 v3, 0, 1, vcc_lo
; %bb.14:
	s_or_b32 exec_lo, exec_lo, s0
	v_add_nc_u32_e32 v5, 3, v33
	s_mov_b32 s0, exec_lo
	s_delay_alu instid0(VALU_DEP_1)
	v_cmpx_gt_u32_e64 s22, v5
; %bb.15:
	v_add_nc_u32_e32 v4, s5, v27
	v_add_nc_u32_e32 v5, s7, v27
	s_delay_alu instid0(VALU_DEP_2) | instskip(NEXT) | instid1(VALU_DEP_2)
	v_mul_lo_u32 v4, v4, s4
	v_mul_lo_u32 v5, v5, s6
	s_delay_alu instid0(VALU_DEP_1) | instskip(NEXT) | instid1(VALU_DEP_1)
	v_sub_nc_u32_e32 v4, v4, v5
	v_cmp_lt_u32_e32 vcc_lo, s2, v4
	v_cndmask_b32_e64 v4, 0, 1, vcc_lo
; %bb.16:
	s_or_b32 exec_lo, exec_lo, s0
	v_dual_mov_b32 v6, 0 :: v_dual_add_nc_u32 v5, 4, v33
	s_delay_alu instid0(VALU_DEP_1)
	v_cmp_gt_u32_e32 vcc_lo, s22, v5
	v_mov_b32_e32 v5, 0
	s_and_saveexec_b32 s0, vcc_lo
	;; [unrolled: 33-line block ×5, first 2 shown]
; %bb.29:
	v_add_nc_u32_e32 v11, s5, v18
	v_add_nc_u32_e32 v13, s7, v18
	s_delay_alu instid0(VALU_DEP_2) | instskip(NEXT) | instid1(VALU_DEP_2)
	v_mul_lo_u32 v11, v11, s4
	v_mul_lo_u32 v13, v13, s6
	s_delay_alu instid0(VALU_DEP_1) | instskip(NEXT) | instid1(VALU_DEP_1)
	v_sub_nc_u32_e32 v11, v11, v13
	v_cmp_lt_u32_e32 vcc_lo, s2, v11
	v_cndmask_b32_e64 v11, 0, 1, vcc_lo
; %bb.30:
	s_or_b32 exec_lo, exec_lo, s0
	v_add_nc_u32_e32 v13, 11, v33
	s_mov_b32 s0, exec_lo
	s_delay_alu instid0(VALU_DEP_1)
	v_cmpx_gt_u32_e64 s22, v13
; %bb.31:
	v_add_nc_u32_e32 v12, s5, v19
	v_add_nc_u32_e32 v13, s7, v19
	s_delay_alu instid0(VALU_DEP_2) | instskip(NEXT) | instid1(VALU_DEP_2)
	v_mul_lo_u32 v12, v12, s4
	v_mul_lo_u32 v13, v13, s6
	s_delay_alu instid0(VALU_DEP_1) | instskip(NEXT) | instid1(VALU_DEP_1)
	v_sub_nc_u32_e32 v12, v12, v13
	v_cmp_lt_u32_e32 vcc_lo, s2, v12
	v_cndmask_b32_e64 v12, 0, 1, vcc_lo
; %bb.32:
	s_or_b32 exec_lo, exec_lo, s0
	v_dual_mov_b32 v34, 0 :: v_dual_add_nc_u32 v13, 12, v33
	s_mov_b32 s0, exec_lo
	s_delay_alu instid0(VALU_DEP_1)
	v_cmpx_gt_u32_e64 s22, v13
; %bb.33:
	v_add_nc_u32_e32 v13, s5, v32
	v_add_nc_u32_e32 v14, s7, v32
	s_delay_alu instid0(VALU_DEP_2) | instskip(NEXT) | instid1(VALU_DEP_2)
	v_mul_lo_u32 v13, v13, s4
	v_mul_lo_u32 v14, v14, s6
	s_delay_alu instid0(VALU_DEP_1) | instskip(NEXT) | instid1(VALU_DEP_1)
	v_sub_nc_u32_e32 v13, v13, v14
	v_cmp_lt_u32_e32 vcc_lo, s2, v13
	v_cndmask_b32_e64 v34, 0, 1, vcc_lo
; %bb.34:
	s_or_b32 exec_lo, exec_lo, s0
	v_lshlrev_b16 v2, 8, v2
	v_lshlrev_b16 v4, 8, v4
	;; [unrolled: 1-line block ×5, first 2 shown]
	v_or_b32_e32 v1, v1, v2
	v_lshlrev_b16 v2, 8, v12
	v_or_b32_e32 v3, v3, v4
	v_or_b32_e32 v4, v5, v6
	;; [unrolled: 1-line block ×5, first 2 shown]
	v_and_b32_e32 v1, 0xffff, v1
	v_lshlrev_b32_e32 v3, 16, v3
	v_and_b32_e32 v4, 0xffff, v4
	v_lshlrev_b32_e32 v5, 16, v5
	;; [unrolled: 2-line block ×3, first 2 shown]
	v_or_b32_e32 v39, v1, v3
	s_delay_alu instid0(VALU_DEP_4) | instskip(NEXT) | instid1(VALU_DEP_3)
	v_or_b32_e32 v37, v4, v5
	v_or_b32_e32 v35, v6, v2
.LBB72_35:
	s_delay_alu instid0(VALU_DEP_3)
	v_and_b32_e32 v41, 0xff, v39
	v_bfe_u32 v42, v39, 8, 8
	v_bfe_u32 v43, v39, 16, 8
	v_lshrrev_b32_e32 v40, 24, v39
	v_and_b32_e32 v44, 0xff, v37
	v_bfe_u32 v45, v37, 8, 8
	v_bfe_u32 v46, v37, 16, 8
	v_add3_u32 v1, v42, v41, v43
	v_lshrrev_b32_e32 v38, 24, v37
	v_and_b32_e32 v47, 0xff, v35
	v_bfe_u32 v48, v35, 8, 8
	v_mbcnt_lo_u32_b32 v50, -1, 0
	v_add3_u32 v1, v1, v40, v44
	v_bfe_u32 v49, v35, 16, 8
	v_lshrrev_b32_e32 v36, 24, v35
	v_and_b32_e32 v2, 0xff, v34
	v_and_b32_e32 v3, 15, v50
	v_add3_u32 v1, v1, v45, v46
	v_or_b32_e32 v4, 31, v0
	v_and_b32_e32 v5, 16, v50
	v_lshrrev_b32_e32 v51, 5, v0
	v_cmp_eq_u32_e64 s5, 0, v3
	v_add3_u32 v1, v1, v38, v47
	v_cmp_lt_u32_e64 s4, 1, v3
	v_cmp_lt_u32_e64 s3, 3, v3
	;; [unrolled: 1-line block ×3, first 2 shown]
	v_cmp_eq_u32_e64 s1, 0, v5
	v_add3_u32 v1, v1, v48, v49
	v_cmp_eq_u32_e64 s0, v4, v0
	s_cmp_lg_u32 s15, 0
	s_mov_b32 s6, -1
	s_delay_alu instid0(VALU_DEP_2)
	v_add3_u32 v52, v1, v36, v2
	s_cbranch_scc0 .LBB72_66
; %bb.36:
	s_delay_alu instid0(VALU_DEP_1) | instskip(NEXT) | instid1(VALU_DEP_1)
	v_mov_b32_dpp v1, v52 row_shr:1 row_mask:0xf bank_mask:0xf
	v_cndmask_b32_e64 v1, v1, 0, s5
	s_delay_alu instid0(VALU_DEP_1) | instskip(NEXT) | instid1(VALU_DEP_1)
	v_add_nc_u32_e32 v1, v1, v52
	v_mov_b32_dpp v2, v1 row_shr:2 row_mask:0xf bank_mask:0xf
	s_delay_alu instid0(VALU_DEP_1) | instskip(NEXT) | instid1(VALU_DEP_1)
	v_cndmask_b32_e64 v2, 0, v2, s4
	v_add_nc_u32_e32 v1, v1, v2
	s_delay_alu instid0(VALU_DEP_1) | instskip(NEXT) | instid1(VALU_DEP_1)
	v_mov_b32_dpp v2, v1 row_shr:4 row_mask:0xf bank_mask:0xf
	v_cndmask_b32_e64 v2, 0, v2, s3
	s_delay_alu instid0(VALU_DEP_1) | instskip(NEXT) | instid1(VALU_DEP_1)
	v_add_nc_u32_e32 v1, v1, v2
	v_mov_b32_dpp v2, v1 row_shr:8 row_mask:0xf bank_mask:0xf
	s_delay_alu instid0(VALU_DEP_1) | instskip(NEXT) | instid1(VALU_DEP_1)
	v_cndmask_b32_e64 v2, 0, v2, s2
	v_add_nc_u32_e32 v1, v1, v2
	ds_swizzle_b32 v2, v1 offset:swizzle(BROADCAST,32,15)
	s_waitcnt lgkmcnt(0)
	v_cndmask_b32_e64 v2, v2, 0, s1
	s_delay_alu instid0(VALU_DEP_1)
	v_add_nc_u32_e32 v1, v1, v2
	s_and_saveexec_b32 s6, s0
	s_cbranch_execz .LBB72_38
; %bb.37:
	v_lshlrev_b32_e32 v2, 2, v51
	ds_store_b32 v2, v1
.LBB72_38:
	s_or_b32 exec_lo, exec_lo, s6
	s_delay_alu instid0(SALU_CYCLE_1)
	s_mov_b32 s6, exec_lo
	s_waitcnt lgkmcnt(0)
	s_barrier
	buffer_gl0_inv
	v_cmpx_gt_u32_e32 8, v0
	s_cbranch_execz .LBB72_40
; %bb.39:
	ds_load_b32 v2, v30
	s_waitcnt lgkmcnt(0)
	v_mov_b32_dpp v4, v2 row_shr:1 row_mask:0xf bank_mask:0xf
	v_and_b32_e32 v3, 7, v50
	s_delay_alu instid0(VALU_DEP_1) | instskip(NEXT) | instid1(VALU_DEP_3)
	v_cmp_ne_u32_e32 vcc_lo, 0, v3
	v_cndmask_b32_e32 v4, 0, v4, vcc_lo
	v_cmp_lt_u32_e32 vcc_lo, 1, v3
	s_delay_alu instid0(VALU_DEP_2) | instskip(NEXT) | instid1(VALU_DEP_1)
	v_add_nc_u32_e32 v2, v4, v2
	v_mov_b32_dpp v4, v2 row_shr:2 row_mask:0xf bank_mask:0xf
	s_delay_alu instid0(VALU_DEP_1) | instskip(SKIP_1) | instid1(VALU_DEP_2)
	v_cndmask_b32_e32 v4, 0, v4, vcc_lo
	v_cmp_lt_u32_e32 vcc_lo, 3, v3
	v_add_nc_u32_e32 v2, v2, v4
	s_delay_alu instid0(VALU_DEP_1) | instskip(NEXT) | instid1(VALU_DEP_1)
	v_mov_b32_dpp v4, v2 row_shr:4 row_mask:0xf bank_mask:0xf
	v_cndmask_b32_e32 v3, 0, v4, vcc_lo
	s_delay_alu instid0(VALU_DEP_1)
	v_add_nc_u32_e32 v2, v2, v3
	ds_store_b32 v30, v2
.LBB72_40:
	s_or_b32 exec_lo, exec_lo, s6
	v_cmp_gt_u32_e32 vcc_lo, 32, v0
	s_mov_b32 s7, exec_lo
	s_waitcnt lgkmcnt(0)
	s_barrier
	buffer_gl0_inv
                                        ; implicit-def: $vgpr8
	v_cmpx_lt_u32_e32 31, v0
	s_cbranch_execz .LBB72_42
; %bb.41:
	v_lshl_add_u32 v2, v51, 2, -4
	ds_load_b32 v8, v2
	s_waitcnt lgkmcnt(0)
	v_add_nc_u32_e32 v1, v8, v1
.LBB72_42:
	s_or_b32 exec_lo, exec_lo, s7
	v_add_nc_u32_e32 v2, -1, v50
	s_delay_alu instid0(VALU_DEP_1) | instskip(NEXT) | instid1(VALU_DEP_1)
	v_cmp_gt_i32_e64 s6, 0, v2
	v_cndmask_b32_e64 v2, v2, v50, s6
	v_cmp_eq_u32_e64 s6, 0, v50
	s_delay_alu instid0(VALU_DEP_2)
	v_lshlrev_b32_e32 v2, 2, v2
	ds_bpermute_b32 v9, v2, v1
	s_and_saveexec_b32 s7, vcc_lo
	s_cbranch_execz .LBB72_65
; %bb.43:
	v_mov_b32_e32 v4, 0
	ds_load_b32 v1, v4 offset:28
	s_and_saveexec_b32 s24, s6
	s_cbranch_execz .LBB72_45
; %bb.44:
	s_add_i32 s26, s15, 32
	s_mov_b32 s27, 0
	v_mov_b32_e32 v2, 1
	s_lshl_b64 s[26:27], s[26:27], 3
	s_delay_alu instid0(SALU_CYCLE_1)
	s_add_u32 s26, s20, s26
	s_addc_u32 s27, s21, s27
	s_waitcnt lgkmcnt(0)
	global_store_b64 v4, v[1:2], s[26:27]
.LBB72_45:
	s_or_b32 exec_lo, exec_lo, s24
	v_xad_u32 v2, v50, -1, s15
	s_mov_b32 s25, 0
	s_mov_b32 s24, exec_lo
	s_delay_alu instid0(VALU_DEP_1) | instskip(NEXT) | instid1(VALU_DEP_1)
	v_add_nc_u32_e32 v3, 32, v2
	v_lshlrev_b64 v[3:4], 3, v[3:4]
	s_delay_alu instid0(VALU_DEP_1) | instskip(NEXT) | instid1(VALU_DEP_2)
	v_add_co_u32 v6, vcc_lo, s20, v3
	v_add_co_ci_u32_e32 v7, vcc_lo, s21, v4, vcc_lo
	global_load_b64 v[4:5], v[6:7], off glc
	s_waitcnt vmcnt(0)
	v_and_b32_e32 v3, 0xff, v5
	s_delay_alu instid0(VALU_DEP_1)
	v_cmpx_eq_u16_e32 0, v3
	s_cbranch_execz .LBB72_51
; %bb.46:
	s_mov_b32 s26, 1
	.p2align	6
.LBB72_47:                              ; =>This Loop Header: Depth=1
                                        ;     Child Loop BB72_48 Depth 2
	s_delay_alu instid0(SALU_CYCLE_1)
	s_max_u32 s27, s26, 1
.LBB72_48:                              ;   Parent Loop BB72_47 Depth=1
                                        ; =>  This Inner Loop Header: Depth=2
	s_delay_alu instid0(SALU_CYCLE_1)
	s_add_i32 s27, s27, -1
	s_sleep 1
	s_cmp_eq_u32 s27, 0
	s_cbranch_scc0 .LBB72_48
; %bb.49:                               ;   in Loop: Header=BB72_47 Depth=1
	global_load_b64 v[4:5], v[6:7], off glc
	s_cmp_lt_u32 s26, 32
	s_cselect_b32 s27, -1, 0
	s_delay_alu instid0(SALU_CYCLE_1) | instskip(SKIP_3) | instid1(VALU_DEP_1)
	s_cmp_lg_u32 s27, 0
	s_addc_u32 s26, s26, 0
	s_waitcnt vmcnt(0)
	v_and_b32_e32 v3, 0xff, v5
	v_cmp_ne_u16_e32 vcc_lo, 0, v3
	s_or_b32 s25, vcc_lo, s25
	s_delay_alu instid0(SALU_CYCLE_1)
	s_and_not1_b32 exec_lo, exec_lo, s25
	s_cbranch_execnz .LBB72_47
; %bb.50:
	s_or_b32 exec_lo, exec_lo, s25
.LBB72_51:
	s_delay_alu instid0(SALU_CYCLE_1)
	s_or_b32 exec_lo, exec_lo, s24
	v_cmp_ne_u32_e32 vcc_lo, 31, v50
	v_lshlrev_b32_e64 v11, v50, -1
	v_add_nc_u32_e32 v13, 2, v50
	v_add_nc_u32_e32 v16, 4, v50
	;; [unrolled: 1-line block ×3, first 2 shown]
	v_add_co_ci_u32_e32 v3, vcc_lo, 0, v50, vcc_lo
	v_add_nc_u32_e32 v55, 16, v50
	s_delay_alu instid0(VALU_DEP_2) | instskip(SKIP_2) | instid1(VALU_DEP_1)
	v_lshlrev_b32_e32 v10, 2, v3
	ds_bpermute_b32 v6, v10, v4
	v_and_b32_e32 v3, 0xff, v5
	v_cmp_eq_u16_e32 vcc_lo, 2, v3
	v_and_or_b32 v3, vcc_lo, v11, 0x80000000
	v_cmp_gt_u32_e32 vcc_lo, 30, v50
	s_delay_alu instid0(VALU_DEP_2) | instskip(SKIP_1) | instid1(VALU_DEP_2)
	v_ctz_i32_b32_e32 v3, v3
	v_cndmask_b32_e64 v7, 0, 1, vcc_lo
	v_cmp_lt_u32_e32 vcc_lo, v50, v3
	s_waitcnt lgkmcnt(0)
	s_delay_alu instid0(VALU_DEP_2) | instskip(NEXT) | instid1(VALU_DEP_1)
	v_dual_cndmask_b32 v6, 0, v6 :: v_dual_lshlrev_b32 v7, 1, v7
	v_add_lshl_u32 v12, v7, v50, 2
	v_cmp_gt_u32_e32 vcc_lo, 28, v50
	s_delay_alu instid0(VALU_DEP_3) | instskip(SKIP_4) | instid1(VALU_DEP_1)
	v_add_nc_u32_e32 v4, v6, v4
	v_cndmask_b32_e64 v7, 0, 1, vcc_lo
	v_cmp_le_u32_e32 vcc_lo, v13, v3
	ds_bpermute_b32 v6, v12, v4
	v_lshlrev_b32_e32 v7, 2, v7
	v_add_lshl_u32 v14, v7, v50, 2
	s_waitcnt lgkmcnt(0)
	v_cndmask_b32_e32 v6, 0, v6, vcc_lo
	v_cmp_gt_u32_e32 vcc_lo, 24, v50
	s_delay_alu instid0(VALU_DEP_2) | instskip(SKIP_4) | instid1(VALU_DEP_1)
	v_add_nc_u32_e32 v4, v4, v6
	v_cndmask_b32_e64 v7, 0, 1, vcc_lo
	v_cmp_le_u32_e32 vcc_lo, v16, v3
	ds_bpermute_b32 v6, v14, v4
	v_lshlrev_b32_e32 v7, 3, v7
	v_add_lshl_u32 v17, v7, v50, 2
	s_waitcnt lgkmcnt(0)
	v_cndmask_b32_e32 v6, 0, v6, vcc_lo
	v_cmp_gt_u32_e32 vcc_lo, 16, v50
	s_delay_alu instid0(VALU_DEP_2) | instskip(SKIP_4) | instid1(VALU_DEP_1)
	v_add_nc_u32_e32 v4, v4, v6
	v_cndmask_b32_e64 v7, 0, 1, vcc_lo
	v_cmp_le_u32_e32 vcc_lo, v53, v3
	ds_bpermute_b32 v6, v17, v4
	v_lshlrev_b32_e32 v7, 4, v7
	v_add_lshl_u32 v54, v7, v50, 2
	s_waitcnt lgkmcnt(0)
	v_cndmask_b32_e32 v6, 0, v6, vcc_lo
	v_cmp_le_u32_e32 vcc_lo, v55, v3
	s_delay_alu instid0(VALU_DEP_2) | instskip(SKIP_3) | instid1(VALU_DEP_1)
	v_add_nc_u32_e32 v4, v4, v6
	ds_bpermute_b32 v6, v54, v4
	s_waitcnt lgkmcnt(0)
	v_cndmask_b32_e32 v3, 0, v6, vcc_lo
	v_dual_mov_b32 v3, 0 :: v_dual_add_nc_u32 v4, v4, v3
	s_branch .LBB72_53
.LBB72_52:                              ;   in Loop: Header=BB72_53 Depth=1
	s_or_b32 exec_lo, exec_lo, s24
	ds_bpermute_b32 v7, v10, v4
	v_and_b32_e32 v6, 0xff, v5
	v_subrev_nc_u32_e32 v2, 32, v2
	s_delay_alu instid0(VALU_DEP_2) | instskip(SKIP_1) | instid1(VALU_DEP_1)
	v_cmp_eq_u16_e32 vcc_lo, 2, v6
	v_and_or_b32 v6, vcc_lo, v11, 0x80000000
	v_ctz_i32_b32_e32 v6, v6
	s_delay_alu instid0(VALU_DEP_1) | instskip(SKIP_3) | instid1(VALU_DEP_2)
	v_cmp_lt_u32_e32 vcc_lo, v50, v6
	s_waitcnt lgkmcnt(0)
	v_cndmask_b32_e32 v7, 0, v7, vcc_lo
	v_cmp_le_u32_e32 vcc_lo, v13, v6
	v_add_nc_u32_e32 v4, v7, v4
	ds_bpermute_b32 v7, v12, v4
	s_waitcnt lgkmcnt(0)
	v_cndmask_b32_e32 v7, 0, v7, vcc_lo
	v_cmp_le_u32_e32 vcc_lo, v16, v6
	s_delay_alu instid0(VALU_DEP_2) | instskip(SKIP_4) | instid1(VALU_DEP_2)
	v_add_nc_u32_e32 v4, v4, v7
	ds_bpermute_b32 v7, v14, v4
	s_waitcnt lgkmcnt(0)
	v_cndmask_b32_e32 v7, 0, v7, vcc_lo
	v_cmp_le_u32_e32 vcc_lo, v53, v6
	v_add_nc_u32_e32 v4, v4, v7
	ds_bpermute_b32 v7, v17, v4
	s_waitcnt lgkmcnt(0)
	v_cndmask_b32_e32 v7, 0, v7, vcc_lo
	v_cmp_le_u32_e32 vcc_lo, v55, v6
	s_delay_alu instid0(VALU_DEP_2) | instskip(SKIP_3) | instid1(VALU_DEP_1)
	v_add_nc_u32_e32 v4, v4, v7
	ds_bpermute_b32 v7, v54, v4
	s_waitcnt lgkmcnt(0)
	v_cndmask_b32_e32 v6, 0, v7, vcc_lo
	v_add3_u32 v4, v6, v15, v4
.LBB72_53:                              ; =>This Loop Header: Depth=1
                                        ;     Child Loop BB72_56 Depth 2
                                        ;       Child Loop BB72_57 Depth 3
	v_and_b32_e32 v5, 0xff, v5
	s_delay_alu instid0(VALU_DEP_2) | instskip(NEXT) | instid1(VALU_DEP_2)
	v_mov_b32_e32 v15, v4
	v_cmp_ne_u16_e32 vcc_lo, 2, v5
	v_cndmask_b32_e64 v5, 0, 1, vcc_lo
	;;#ASMSTART
	;;#ASMEND
	s_delay_alu instid0(VALU_DEP_1)
	v_cmp_ne_u32_e32 vcc_lo, 0, v5
	s_cmp_lg_u32 vcc_lo, exec_lo
	s_cbranch_scc1 .LBB72_60
; %bb.54:                               ;   in Loop: Header=BB72_53 Depth=1
	v_lshlrev_b64 v[4:5], 3, v[2:3]
	s_mov_b32 s24, exec_lo
	s_delay_alu instid0(VALU_DEP_1) | instskip(NEXT) | instid1(VALU_DEP_2)
	v_add_co_u32 v6, vcc_lo, s20, v4
	v_add_co_ci_u32_e32 v7, vcc_lo, s21, v5, vcc_lo
	global_load_b64 v[4:5], v[6:7], off glc
	s_waitcnt vmcnt(0)
	v_and_b32_e32 v56, 0xff, v5
	s_delay_alu instid0(VALU_DEP_1)
	v_cmpx_eq_u16_e32 0, v56
	s_cbranch_execz .LBB72_52
; %bb.55:                               ;   in Loop: Header=BB72_53 Depth=1
	s_mov_b32 s26, 1
	s_mov_b32 s25, 0
	.p2align	6
.LBB72_56:                              ;   Parent Loop BB72_53 Depth=1
                                        ; =>  This Loop Header: Depth=2
                                        ;       Child Loop BB72_57 Depth 3
	s_max_u32 s27, s26, 1
.LBB72_57:                              ;   Parent Loop BB72_53 Depth=1
                                        ;     Parent Loop BB72_56 Depth=2
                                        ; =>    This Inner Loop Header: Depth=3
	s_delay_alu instid0(SALU_CYCLE_1)
	s_add_i32 s27, s27, -1
	s_sleep 1
	s_cmp_eq_u32 s27, 0
	s_cbranch_scc0 .LBB72_57
; %bb.58:                               ;   in Loop: Header=BB72_56 Depth=2
	global_load_b64 v[4:5], v[6:7], off glc
	s_cmp_lt_u32 s26, 32
	s_cselect_b32 s27, -1, 0
	s_delay_alu instid0(SALU_CYCLE_1) | instskip(SKIP_3) | instid1(VALU_DEP_1)
	s_cmp_lg_u32 s27, 0
	s_addc_u32 s26, s26, 0
	s_waitcnt vmcnt(0)
	v_and_b32_e32 v56, 0xff, v5
	v_cmp_ne_u16_e32 vcc_lo, 0, v56
	s_or_b32 s25, vcc_lo, s25
	s_delay_alu instid0(SALU_CYCLE_1)
	s_and_not1_b32 exec_lo, exec_lo, s25
	s_cbranch_execnz .LBB72_56
; %bb.59:                               ;   in Loop: Header=BB72_53 Depth=1
	s_or_b32 exec_lo, exec_lo, s25
	s_branch .LBB72_52
.LBB72_60:                              ;   in Loop: Header=BB72_53 Depth=1
                                        ; implicit-def: $vgpr4
                                        ; implicit-def: $vgpr5
	s_cbranch_execz .LBB72_53
; %bb.61:
	s_and_saveexec_b32 s24, s6
	s_cbranch_execz .LBB72_63
; %bb.62:
	s_add_i32 s26, s15, 32
	s_mov_b32 s27, 0
	v_dual_mov_b32 v3, 2 :: v_dual_add_nc_u32 v2, v15, v1
	s_lshl_b64 s[26:27], s[26:27], 3
	v_mov_b32_e32 v4, 0
	v_add_nc_u32_e64 v5, 0x3400, 0
	s_add_u32 s26, s20, s26
	s_addc_u32 s27, s21, s27
	global_store_b64 v4, v[2:3], s[26:27]
	ds_store_2addr_b32 v5, v1, v15 offset1:2
.LBB72_63:
	s_or_b32 exec_lo, exec_lo, s24
	v_cmp_eq_u32_e32 vcc_lo, 0, v0
	s_and_b32 exec_lo, exec_lo, vcc_lo
	s_cbranch_execz .LBB72_65
; %bb.64:
	v_mov_b32_e32 v1, 0
	ds_store_b32 v1, v15 offset:28
.LBB72_65:
	s_or_b32 exec_lo, exec_lo, s7
	s_waitcnt lgkmcnt(0)
	v_cndmask_b32_e64 v2, v9, v8, s6
	v_cmp_ne_u32_e32 vcc_lo, 0, v0
	v_mov_b32_e32 v1, 0
	s_waitcnt_vscnt null, 0x0
	s_barrier
	buffer_gl0_inv
	v_cndmask_b32_e32 v2, 0, v2, vcc_lo
	ds_load_b32 v1, v1 offset:28
	v_add_nc_u32_e64 v11, 0x3400, 0
	s_waitcnt lgkmcnt(0)
	s_barrier
	buffer_gl0_inv
	ds_load_2addr_b32 v[16:17], v11 offset1:2
	v_add_nc_u32_e32 v1, v1, v2
	s_delay_alu instid0(VALU_DEP_1) | instskip(NEXT) | instid1(VALU_DEP_1)
	v_add_nc_u32_e32 v2, v1, v41
	v_add_nc_u32_e32 v3, v2, v42
	s_delay_alu instid0(VALU_DEP_1) | instskip(NEXT) | instid1(VALU_DEP_1)
	v_add_nc_u32_e32 v4, v3, v43
	;; [unrolled: 3-line block ×6, first 2 shown]
	v_add_nc_u32_e32 v13, v12, v36
	s_branch .LBB72_76
.LBB72_66:
                                        ; implicit-def: $vgpr17
                                        ; implicit-def: $vgpr1_vgpr2_vgpr3_vgpr4_vgpr5_vgpr6_vgpr7_vgpr8_vgpr9_vgpr10_vgpr11_vgpr12_vgpr13_vgpr14_vgpr15_vgpr16
	s_and_b32 vcc_lo, exec_lo, s6
	s_cbranch_vccz .LBB72_76
; %bb.67:
	s_delay_alu instid0(VALU_DEP_1) | instskip(NEXT) | instid1(VALU_DEP_1)
	v_mov_b32_dpp v1, v52 row_shr:1 row_mask:0xf bank_mask:0xf
	v_cndmask_b32_e64 v1, v1, 0, s5
	s_delay_alu instid0(VALU_DEP_1) | instskip(NEXT) | instid1(VALU_DEP_1)
	v_add_nc_u32_e32 v1, v1, v52
	v_mov_b32_dpp v2, v1 row_shr:2 row_mask:0xf bank_mask:0xf
	s_delay_alu instid0(VALU_DEP_1) | instskip(NEXT) | instid1(VALU_DEP_1)
	v_cndmask_b32_e64 v2, 0, v2, s4
	v_add_nc_u32_e32 v1, v1, v2
	s_delay_alu instid0(VALU_DEP_1) | instskip(NEXT) | instid1(VALU_DEP_1)
	v_mov_b32_dpp v2, v1 row_shr:4 row_mask:0xf bank_mask:0xf
	v_cndmask_b32_e64 v2, 0, v2, s3
	s_delay_alu instid0(VALU_DEP_1) | instskip(NEXT) | instid1(VALU_DEP_1)
	v_add_nc_u32_e32 v1, v1, v2
	v_mov_b32_dpp v2, v1 row_shr:8 row_mask:0xf bank_mask:0xf
	s_delay_alu instid0(VALU_DEP_1) | instskip(NEXT) | instid1(VALU_DEP_1)
	v_cndmask_b32_e64 v2, 0, v2, s2
	v_add_nc_u32_e32 v1, v1, v2
	ds_swizzle_b32 v2, v1 offset:swizzle(BROADCAST,32,15)
	s_waitcnt lgkmcnt(0)
	v_cndmask_b32_e64 v2, v2, 0, s1
	s_delay_alu instid0(VALU_DEP_1)
	v_add_nc_u32_e32 v1, v1, v2
	s_and_saveexec_b32 s1, s0
	s_cbranch_execz .LBB72_69
; %bb.68:
	v_lshlrev_b32_e32 v2, 2, v51
	ds_store_b32 v2, v1
.LBB72_69:
	s_or_b32 exec_lo, exec_lo, s1
	s_delay_alu instid0(SALU_CYCLE_1)
	s_mov_b32 s0, exec_lo
	s_waitcnt lgkmcnt(0)
	s_barrier
	buffer_gl0_inv
	v_cmpx_gt_u32_e32 8, v0
	s_cbranch_execz .LBB72_71
; %bb.70:
	ds_load_b32 v2, v30
	s_waitcnt lgkmcnt(0)
	v_mov_b32_dpp v4, v2 row_shr:1 row_mask:0xf bank_mask:0xf
	v_and_b32_e32 v3, 7, v50
	s_delay_alu instid0(VALU_DEP_1) | instskip(NEXT) | instid1(VALU_DEP_3)
	v_cmp_ne_u32_e32 vcc_lo, 0, v3
	v_cndmask_b32_e32 v4, 0, v4, vcc_lo
	v_cmp_lt_u32_e32 vcc_lo, 1, v3
	s_delay_alu instid0(VALU_DEP_2) | instskip(NEXT) | instid1(VALU_DEP_1)
	v_add_nc_u32_e32 v2, v4, v2
	v_mov_b32_dpp v4, v2 row_shr:2 row_mask:0xf bank_mask:0xf
	s_delay_alu instid0(VALU_DEP_1) | instskip(SKIP_1) | instid1(VALU_DEP_2)
	v_cndmask_b32_e32 v4, 0, v4, vcc_lo
	v_cmp_lt_u32_e32 vcc_lo, 3, v3
	v_add_nc_u32_e32 v2, v2, v4
	s_delay_alu instid0(VALU_DEP_1) | instskip(NEXT) | instid1(VALU_DEP_1)
	v_mov_b32_dpp v4, v2 row_shr:4 row_mask:0xf bank_mask:0xf
	v_cndmask_b32_e32 v3, 0, v4, vcc_lo
	s_delay_alu instid0(VALU_DEP_1)
	v_add_nc_u32_e32 v2, v2, v3
	ds_store_b32 v30, v2
.LBB72_71:
	s_or_b32 exec_lo, exec_lo, s0
	v_dual_mov_b32 v3, 0 :: v_dual_mov_b32 v2, 0
	s_mov_b32 s0, exec_lo
	s_waitcnt lgkmcnt(0)
	s_barrier
	buffer_gl0_inv
	v_cmpx_lt_u32_e32 31, v0
	s_cbranch_execz .LBB72_73
; %bb.72:
	v_lshl_add_u32 v2, v51, 2, -4
	ds_load_b32 v2, v2
.LBB72_73:
	s_or_b32 exec_lo, exec_lo, s0
	v_add_nc_u32_e32 v4, -1, v50
	ds_load_b32 v16, v3 offset:28
	s_waitcnt lgkmcnt(1)
	v_add_nc_u32_e32 v1, v2, v1
	v_cmp_gt_i32_e32 vcc_lo, 0, v4
	v_cndmask_b32_e32 v4, v4, v50, vcc_lo
	v_cmp_eq_u32_e32 vcc_lo, 0, v0
	s_delay_alu instid0(VALU_DEP_2)
	v_lshlrev_b32_e32 v4, 2, v4
	ds_bpermute_b32 v1, v4, v1
	s_and_saveexec_b32 s0, vcc_lo
	s_cbranch_execz .LBB72_75
; %bb.74:
	v_mov_b32_e32 v3, 0
	v_mov_b32_e32 v17, 2
	s_waitcnt lgkmcnt(1)
	global_store_b64 v3, v[16:17], s[20:21] offset:256
.LBB72_75:
	s_or_b32 exec_lo, exec_lo, s0
	v_cmp_eq_u32_e64 s0, 0, v50
	s_waitcnt lgkmcnt(0)
	s_waitcnt_vscnt null, 0x0
	s_barrier
	buffer_gl0_inv
	v_mov_b32_e32 v17, 0
	v_cndmask_b32_e64 v1, v1, v2, s0
	s_delay_alu instid0(VALU_DEP_1) | instskip(NEXT) | instid1(VALU_DEP_1)
	v_cndmask_b32_e64 v1, v1, 0, vcc_lo
	v_add_nc_u32_e32 v2, v1, v41
	s_delay_alu instid0(VALU_DEP_1) | instskip(NEXT) | instid1(VALU_DEP_1)
	v_add_nc_u32_e32 v3, v2, v42
	v_add_nc_u32_e32 v4, v3, v43
	s_delay_alu instid0(VALU_DEP_1) | instskip(NEXT) | instid1(VALU_DEP_1)
	v_add_nc_u32_e32 v5, v4, v40
	;; [unrolled: 3-line block ×5, first 2 shown]
	v_add_nc_u32_e32 v12, v11, v49
	s_delay_alu instid0(VALU_DEP_1)
	v_add_nc_u32_e32 v13, v12, v36
.LBB72_76:
	v_lshrrev_b32_e32 v44, 8, v39
	v_lshrrev_b32_e32 v43, 16, v39
	s_waitcnt lgkmcnt(0)
	v_sub_nc_u32_e32 v1, v1, v17
	v_and_b32_e32 v39, 1, v39
	v_sub_nc_u32_e32 v3, v3, v17
	v_add_nc_u32_e32 v33, v16, v33
	v_sub_nc_u32_e32 v2, v2, v17
	v_sub_nc_u32_e32 v4, v4, v17
	v_cmp_eq_u32_e32 vcc_lo, 1, v39
	v_and_b32_e32 v39, 1, v43
	v_sub_nc_u32_e32 v45, v33, v1
	v_and_b32_e32 v44, 1, v44
	v_sub_nc_u32_e32 v43, v33, v2
	v_lshrrev_b32_e32 v42, 8, v37
	v_lshrrev_b32_e32 v41, 16, v37
	v_cndmask_b32_e32 v1, v45, v1, vcc_lo
	v_sub_nc_u32_e32 v45, v33, v3
	v_add_nc_u32_e32 v43, 1, v43
	v_cmp_eq_u32_e32 vcc_lo, 1, v44
	v_and_b32_e32 v40, 1, v40
	v_lshlrev_b32_e32 v1, 2, v1
	v_add_nc_u32_e32 v45, 2, v45
	v_lshrrev_b32_e32 v15, 8, v35
	v_lshrrev_b32_e32 v14, 16, v35
	ds_store_b32 v1, v28
	v_cndmask_b32_e32 v1, v43, v2, vcc_lo
	v_cmp_eq_u32_e32 vcc_lo, 1, v39
	v_or_b32_e32 v28, 0x500, v0
	s_delay_alu instid0(VALU_DEP_3)
	v_dual_cndmask_b32 v2, v45, v3 :: v_dual_lshlrev_b32 v1, 2, v1
	v_sub_nc_u32_e32 v46, v33, v4
	v_cmp_eq_u32_e32 vcc_lo, 1, v40
	ds_store_b32 v1, v29
	v_lshlrev_b32_e32 v2, 2, v2
	v_add_nc_u32_e32 v46, 3, v46
	v_or_b32_e32 v29, 0x400, v0
	s_delay_alu instid0(VALU_DEP_2) | instskip(SKIP_2) | instid1(VALU_DEP_3)
	v_cndmask_b32_e32 v3, v46, v4, vcc_lo
	v_sub_nc_u32_e32 v4, v5, v17
	v_sub_nc_u32_e32 v5, v6, v17
	v_lshlrev_b32_e32 v3, 2, v3
	s_delay_alu instid0(VALU_DEP_3) | instskip(NEXT) | instid1(VALU_DEP_3)
	v_sub_nc_u32_e32 v1, v33, v4
	v_sub_nc_u32_e32 v6, v33, v5
	ds_store_b32 v2, v26
	ds_store_b32 v3, v27
	v_and_b32_e32 v2, 1, v37
	v_add_nc_u32_e32 v1, 4, v1
	v_add_nc_u32_e32 v3, 5, v6
	v_sub_nc_u32_e32 v6, v7, v17
	v_and_b32_e32 v7, 1, v42
	v_cmp_eq_u32_e32 vcc_lo, 1, v2
	v_sub_nc_u32_e32 v2, v8, v17
	v_and_b32_e32 v8, 1, v38
	v_or_b32_e32 v27, 0x600, v0
	v_or_b32_e32 v26, 0x700, v0
	v_cndmask_b32_e32 v1, v1, v4, vcc_lo
	v_sub_nc_u32_e32 v4, v33, v6
	v_cmp_eq_u32_e32 vcc_lo, 1, v7
	v_and_b32_e32 v7, 1, v41
	s_delay_alu instid0(VALU_DEP_4) | instskip(NEXT) | instid1(VALU_DEP_4)
	v_lshlrev_b32_e32 v1, 2, v1
	v_dual_cndmask_b32 v3, v3, v5 :: v_dual_add_nc_u32 v4, 6, v4
	v_sub_nc_u32_e32 v5, v33, v2
	s_delay_alu instid0(VALU_DEP_4) | instskip(SKIP_1) | instid1(VALU_DEP_4)
	v_cmp_eq_u32_e32 vcc_lo, 1, v7
	v_sub_nc_u32_e32 v7, v13, v17
	v_lshlrev_b32_e32 v3, 2, v3
	s_delay_alu instid0(VALU_DEP_4)
	v_dual_cndmask_b32 v4, v4, v6 :: v_dual_add_nc_u32 v5, 7, v5
	v_cmp_eq_u32_e32 vcc_lo, 1, v8
	v_sub_nc_u32_e32 v6, v9, v17
	ds_store_b32 v1, v24
	ds_store_b32 v3, v25
	v_or_b32_e32 v25, 0x800, v0
	v_dual_cndmask_b32 v2, v5, v2 :: v_dual_lshlrev_b32 v3, 2, v4
	v_and_b32_e32 v5, 1, v35
	v_sub_nc_u32_e32 v1, v33, v6
	v_sub_nc_u32_e32 v4, v10, v17
	v_and_b32_e32 v10, 1, v36
	v_or_b32_e32 v24, 0x900, v0
	v_cmp_eq_u32_e32 vcc_lo, 1, v5
	v_sub_nc_u32_e32 v5, v12, v17
	v_add_nc_u32_e32 v1, 8, v1
	s_delay_alu instid0(VALU_DEP_2) | instskip(NEXT) | instid1(VALU_DEP_2)
	v_sub_nc_u32_e32 v9, v33, v5
	v_dual_cndmask_b32 v1, v1, v6 :: v_dual_and_b32 v6, 1, v15
	v_add_co_u32 v15, s0, s18, v17
	s_delay_alu instid0(VALU_DEP_3)
	v_add_nc_u32_e32 v9, 11, v9
	v_lshlrev_b32_e32 v2, 2, v2
	ds_store_b32 v3, v22
	ds_store_b32 v2, v23
	v_sub_nc_u32_e32 v3, v11, v17
	v_sub_nc_u32_e32 v2, v33, v4
	v_cmp_eq_u32_e32 vcc_lo, 1, v6
	v_and_b32_e32 v11, 1, v34
	v_lshlrev_b32_e32 v1, 2, v1
	v_sub_nc_u32_e32 v8, v33, v3
	v_add_nc_u32_e32 v2, 9, v2
	v_add_co_ci_u32_e64 v17, null, s19, 0, s0
	s_add_u32 s0, s16, s23
	s_delay_alu instid0(VALU_DEP_3)
	v_add_nc_u32_e32 v6, 10, v8
	v_and_b32_e32 v8, 1, v14
	v_cndmask_b32_e32 v2, v2, v4, vcc_lo
	v_sub_nc_u32_e32 v4, v33, v7
	s_addc_u32 s1, s17, 0
	s_sub_u32 s0, s12, s0
	v_cmp_eq_u32_e32 vcc_lo, 1, v8
	v_lshlrev_b32_e32 v2, 2, v2
	v_add_nc_u32_e32 v4, 12, v4
	s_subb_u32 s1, s13, s1
	v_add_co_u32 v13, s0, s0, v16
	v_cndmask_b32_e32 v3, v6, v3, vcc_lo
	v_cmp_eq_u32_e32 vcc_lo, 1, v10
	v_add_co_ci_u32_e64 v14, null, s1, 0, s0
	v_or_b32_e32 v34, 0x100, v0
	s_delay_alu instid0(VALU_DEP_4)
	v_lshlrev_b32_e32 v3, 2, v3
	v_cndmask_b32_e32 v5, v9, v5, vcc_lo
	v_cmp_eq_u32_e32 vcc_lo, 1, v11
	v_or_b32_e32 v33, 0x200, v0
	v_or_b32_e32 v23, 0xa00, v0
	;; [unrolled: 1-line block ×3, first 2 shown]
	v_dual_cndmask_b32 v4, v4, v7 :: v_dual_lshlrev_b32 v5, 2, v5
	v_cmp_ne_u32_e32 vcc_lo, 1, v31
	s_delay_alu instid0(VALU_DEP_2)
	v_lshlrev_b32_e32 v4, 2, v4
	ds_store_b32 v1, v20
	ds_store_b32 v2, v21
	;; [unrolled: 1-line block ×5, first 2 shown]
	s_waitcnt lgkmcnt(0)
	s_barrier
	buffer_gl0_inv
	ds_load_2addr_stride64_b32 v[11:12], v30 offset1:4
	ds_load_2addr_stride64_b32 v[9:10], v30 offset0:8 offset1:12
	ds_load_2addr_stride64_b32 v[7:8], v30 offset0:16 offset1:20
	;; [unrolled: 1-line block ×5, first 2 shown]
	ds_load_b32 v18, v30 offset:12288
	v_add_co_u32 v20, s0, v13, v15
	v_or_b32_e32 v32, 0x300, v0
	v_or_b32_e32 v19, 0xc00, v0
	v_add_co_ci_u32_e64 v21, s0, v14, v17, s0
	s_mov_b32 s0, 0
	s_cbranch_vccnz .LBB72_130
; %bb.77:
	s_mov_b32 s0, exec_lo
                                        ; implicit-def: $vgpr13_vgpr14
	v_cmpx_ge_u32_e64 v0, v16
	s_xor_b32 s0, exec_lo, s0
; %bb.78:
	v_not_b32_e32 v13, v0
	s_delay_alu instid0(VALU_DEP_1) | instskip(SKIP_1) | instid1(VALU_DEP_2)
	v_ashrrev_i32_e32 v14, 31, v13
	v_add_co_u32 v13, vcc_lo, v20, v13
	v_add_co_ci_u32_e32 v14, vcc_lo, v21, v14, vcc_lo
; %bb.79:
	s_and_not1_saveexec_b32 s0, s0
; %bb.80:
	v_add_co_u32 v13, vcc_lo, v15, v0
	v_add_co_ci_u32_e32 v14, vcc_lo, 0, v17, vcc_lo
; %bb.81:
	s_or_b32 exec_lo, exec_lo, s0
	s_delay_alu instid0(VALU_DEP_1) | instskip(SKIP_1) | instid1(VALU_DEP_1)
	v_lshlrev_b64 v[13:14], 2, v[13:14]
	s_mov_b32 s0, exec_lo
	v_add_co_u32 v13, vcc_lo, s10, v13
	s_delay_alu instid0(VALU_DEP_2)
	v_add_co_ci_u32_e32 v14, vcc_lo, s11, v14, vcc_lo
	s_waitcnt lgkmcnt(6)
	global_store_b32 v[13:14], v11, off
                                        ; implicit-def: $vgpr13_vgpr14
	v_cmpx_ge_u32_e64 v34, v16
	s_xor_b32 s0, exec_lo, s0
; %bb.82:
	v_xor_b32_e32 v13, 0xfffffeff, v0
	s_delay_alu instid0(VALU_DEP_1) | instskip(SKIP_1) | instid1(VALU_DEP_2)
	v_ashrrev_i32_e32 v14, 31, v13
	v_add_co_u32 v13, vcc_lo, v20, v13
	v_add_co_ci_u32_e32 v14, vcc_lo, v21, v14, vcc_lo
; %bb.83:
	s_and_not1_saveexec_b32 s0, s0
; %bb.84:
	v_add_co_u32 v13, vcc_lo, v15, v34
	v_add_co_ci_u32_e32 v14, vcc_lo, 0, v17, vcc_lo
; %bb.85:
	s_or_b32 exec_lo, exec_lo, s0
	s_delay_alu instid0(VALU_DEP_1) | instskip(SKIP_1) | instid1(VALU_DEP_1)
	v_lshlrev_b64 v[13:14], 2, v[13:14]
	s_mov_b32 s0, exec_lo
	v_add_co_u32 v13, vcc_lo, s10, v13
	s_delay_alu instid0(VALU_DEP_2)
	v_add_co_ci_u32_e32 v14, vcc_lo, s11, v14, vcc_lo
	global_store_b32 v[13:14], v12, off
                                        ; implicit-def: $vgpr13_vgpr14
	v_cmpx_ge_u32_e64 v33, v16
	s_xor_b32 s0, exec_lo, s0
; %bb.86:
	v_xor_b32_e32 v13, 0xfffffdff, v0
	s_delay_alu instid0(VALU_DEP_1) | instskip(SKIP_1) | instid1(VALU_DEP_2)
	v_ashrrev_i32_e32 v14, 31, v13
	v_add_co_u32 v13, vcc_lo, v20, v13
	v_add_co_ci_u32_e32 v14, vcc_lo, v21, v14, vcc_lo
; %bb.87:
	s_and_not1_saveexec_b32 s0, s0
; %bb.88:
	v_add_co_u32 v13, vcc_lo, v15, v33
	v_add_co_ci_u32_e32 v14, vcc_lo, 0, v17, vcc_lo
; %bb.89:
	s_or_b32 exec_lo, exec_lo, s0
	s_delay_alu instid0(VALU_DEP_1) | instskip(SKIP_1) | instid1(VALU_DEP_1)
	v_lshlrev_b64 v[13:14], 2, v[13:14]
	s_mov_b32 s0, exec_lo
	v_add_co_u32 v13, vcc_lo, s10, v13
	s_delay_alu instid0(VALU_DEP_2)
	v_add_co_ci_u32_e32 v14, vcc_lo, s11, v14, vcc_lo
	s_waitcnt lgkmcnt(5)
	global_store_b32 v[13:14], v9, off
                                        ; implicit-def: $vgpr13_vgpr14
	v_cmpx_ge_u32_e64 v32, v16
	s_xor_b32 s0, exec_lo, s0
; %bb.90:
	v_xor_b32_e32 v13, 0xfffffcff, v0
	s_delay_alu instid0(VALU_DEP_1) | instskip(SKIP_1) | instid1(VALU_DEP_2)
	v_ashrrev_i32_e32 v14, 31, v13
	v_add_co_u32 v13, vcc_lo, v20, v13
	v_add_co_ci_u32_e32 v14, vcc_lo, v21, v14, vcc_lo
; %bb.91:
	s_and_not1_saveexec_b32 s0, s0
; %bb.92:
	v_add_co_u32 v13, vcc_lo, v15, v32
	v_add_co_ci_u32_e32 v14, vcc_lo, 0, v17, vcc_lo
; %bb.93:
	s_or_b32 exec_lo, exec_lo, s0
	s_delay_alu instid0(VALU_DEP_1) | instskip(SKIP_1) | instid1(VALU_DEP_1)
	v_lshlrev_b64 v[13:14], 2, v[13:14]
	s_mov_b32 s0, exec_lo
	v_add_co_u32 v13, vcc_lo, s10, v13
	s_delay_alu instid0(VALU_DEP_2)
	v_add_co_ci_u32_e32 v14, vcc_lo, s11, v14, vcc_lo
	global_store_b32 v[13:14], v10, off
                                        ; implicit-def: $vgpr13_vgpr14
	v_cmpx_ge_u32_e64 v29, v16
	s_xor_b32 s0, exec_lo, s0
; %bb.94:
	v_xor_b32_e32 v13, 0xfffffbff, v0
	;; [unrolled: 47-line block ×6, first 2 shown]
	s_delay_alu instid0(VALU_DEP_1) | instskip(SKIP_1) | instid1(VALU_DEP_2)
	v_ashrrev_i32_e32 v14, 31, v13
	v_add_co_u32 v13, vcc_lo, v20, v13
	v_add_co_ci_u32_e32 v14, vcc_lo, v21, v14, vcc_lo
; %bb.127:
	s_and_not1_saveexec_b32 s0, s0
; %bb.128:
	v_add_co_u32 v13, vcc_lo, v15, v19
	v_add_co_ci_u32_e32 v14, vcc_lo, 0, v17, vcc_lo
; %bb.129:
	s_or_b32 exec_lo, exec_lo, s0
	s_mov_b32 s0, -1
	s_branch .LBB72_210
.LBB72_130:
                                        ; implicit-def: $vgpr13_vgpr14
	s_cbranch_execz .LBB72_210
; %bb.131:
	s_mov_b32 s1, exec_lo
	v_cmpx_gt_u32_e64 s22, v0
	s_cbranch_execz .LBB72_167
; %bb.132:
	s_mov_b32 s2, exec_lo
                                        ; implicit-def: $vgpr13_vgpr14
	v_cmpx_ge_u32_e64 v0, v16
	s_xor_b32 s2, exec_lo, s2
; %bb.133:
	v_not_b32_e32 v13, v0
	s_delay_alu instid0(VALU_DEP_1) | instskip(SKIP_1) | instid1(VALU_DEP_2)
	v_ashrrev_i32_e32 v14, 31, v13
	v_add_co_u32 v13, vcc_lo, v20, v13
	v_add_co_ci_u32_e32 v14, vcc_lo, v21, v14, vcc_lo
; %bb.134:
	s_and_not1_saveexec_b32 s2, s2
; %bb.135:
	v_add_co_u32 v13, vcc_lo, v15, v0
	v_add_co_ci_u32_e32 v14, vcc_lo, 0, v17, vcc_lo
; %bb.136:
	s_or_b32 exec_lo, exec_lo, s2
	s_delay_alu instid0(VALU_DEP_1) | instskip(NEXT) | instid1(VALU_DEP_1)
	v_lshlrev_b64 v[13:14], 2, v[13:14]
	v_add_co_u32 v13, vcc_lo, s10, v13
	s_delay_alu instid0(VALU_DEP_2) | instskip(SKIP_3) | instid1(SALU_CYCLE_1)
	v_add_co_ci_u32_e32 v14, vcc_lo, s11, v14, vcc_lo
	s_waitcnt lgkmcnt(6)
	global_store_b32 v[13:14], v11, off
	s_or_b32 exec_lo, exec_lo, s1
	s_mov_b32 s1, exec_lo
	v_cmpx_gt_u32_e64 s22, v34
	s_cbranch_execnz .LBB72_168
.LBB72_137:
	s_or_b32 exec_lo, exec_lo, s1
	s_delay_alu instid0(SALU_CYCLE_1)
	s_mov_b32 s1, exec_lo
	v_cmpx_gt_u32_e64 s22, v33
	s_cbranch_execz .LBB72_173
.LBB72_138:
	s_mov_b32 s2, exec_lo
                                        ; implicit-def: $vgpr11_vgpr12
	v_cmpx_ge_u32_e64 v33, v16
	s_xor_b32 s2, exec_lo, s2
	s_cbranch_execz .LBB72_140
; %bb.139:
	s_waitcnt lgkmcnt(6)
	v_xor_b32_e32 v11, 0xfffffdff, v0
                                        ; implicit-def: $vgpr33
	s_delay_alu instid0(VALU_DEP_1) | instskip(SKIP_1) | instid1(VALU_DEP_2)
	v_ashrrev_i32_e32 v12, 31, v11
	v_add_co_u32 v11, vcc_lo, v20, v11
	v_add_co_ci_u32_e32 v12, vcc_lo, v21, v12, vcc_lo
.LBB72_140:
	s_and_not1_saveexec_b32 s2, s2
	s_cbranch_execz .LBB72_142
; %bb.141:
	s_waitcnt lgkmcnt(6)
	v_add_co_u32 v11, vcc_lo, v15, v33
	v_add_co_ci_u32_e32 v12, vcc_lo, 0, v17, vcc_lo
.LBB72_142:
	s_or_b32 exec_lo, exec_lo, s2
	s_waitcnt lgkmcnt(6)
	s_delay_alu instid0(VALU_DEP_1) | instskip(NEXT) | instid1(VALU_DEP_1)
	v_lshlrev_b64 v[11:12], 2, v[11:12]
	v_add_co_u32 v11, vcc_lo, s10, v11
	s_delay_alu instid0(VALU_DEP_2) | instskip(SKIP_3) | instid1(SALU_CYCLE_1)
	v_add_co_ci_u32_e32 v12, vcc_lo, s11, v12, vcc_lo
	s_waitcnt lgkmcnt(5)
	global_store_b32 v[11:12], v9, off
	s_or_b32 exec_lo, exec_lo, s1
	s_mov_b32 s1, exec_lo
	v_cmpx_gt_u32_e64 s22, v32
	s_cbranch_execnz .LBB72_174
.LBB72_143:
	s_or_b32 exec_lo, exec_lo, s1
	s_delay_alu instid0(SALU_CYCLE_1)
	s_mov_b32 s1, exec_lo
	v_cmpx_gt_u32_e64 s22, v29
	s_cbranch_execz .LBB72_179
.LBB72_144:
	s_mov_b32 s2, exec_lo
                                        ; implicit-def: $vgpr9_vgpr10
	v_cmpx_ge_u32_e64 v29, v16
	s_xor_b32 s2, exec_lo, s2
	s_cbranch_execz .LBB72_146
; %bb.145:
	s_waitcnt lgkmcnt(5)
	v_xor_b32_e32 v9, 0xfffffbff, v0
                                        ; implicit-def: $vgpr29
	s_delay_alu instid0(VALU_DEP_1) | instskip(SKIP_1) | instid1(VALU_DEP_2)
	v_ashrrev_i32_e32 v10, 31, v9
	v_add_co_u32 v9, vcc_lo, v20, v9
	v_add_co_ci_u32_e32 v10, vcc_lo, v21, v10, vcc_lo
.LBB72_146:
	s_and_not1_saveexec_b32 s2, s2
	s_cbranch_execz .LBB72_148
; %bb.147:
	s_waitcnt lgkmcnt(5)
	v_add_co_u32 v9, vcc_lo, v15, v29
	v_add_co_ci_u32_e32 v10, vcc_lo, 0, v17, vcc_lo
.LBB72_148:
	s_or_b32 exec_lo, exec_lo, s2
	s_waitcnt lgkmcnt(5)
	s_delay_alu instid0(VALU_DEP_1) | instskip(NEXT) | instid1(VALU_DEP_1)
	v_lshlrev_b64 v[9:10], 2, v[9:10]
	v_add_co_u32 v9, vcc_lo, s10, v9
	s_delay_alu instid0(VALU_DEP_2) | instskip(SKIP_3) | instid1(SALU_CYCLE_1)
	v_add_co_ci_u32_e32 v10, vcc_lo, s11, v10, vcc_lo
	s_waitcnt lgkmcnt(4)
	global_store_b32 v[9:10], v7, off
	s_or_b32 exec_lo, exec_lo, s1
	s_mov_b32 s1, exec_lo
	v_cmpx_gt_u32_e64 s22, v28
	s_cbranch_execnz .LBB72_180
.LBB72_149:
	s_or_b32 exec_lo, exec_lo, s1
	s_delay_alu instid0(SALU_CYCLE_1)
	s_mov_b32 s1, exec_lo
	v_cmpx_gt_u32_e64 s22, v27
	s_cbranch_execz .LBB72_185
.LBB72_150:
	s_mov_b32 s2, exec_lo
                                        ; implicit-def: $vgpr7_vgpr8
	v_cmpx_ge_u32_e64 v27, v16
	s_xor_b32 s2, exec_lo, s2
	s_cbranch_execz .LBB72_152
; %bb.151:
	s_waitcnt lgkmcnt(4)
	v_xor_b32_e32 v7, 0xfffff9ff, v0
                                        ; implicit-def: $vgpr27
	s_delay_alu instid0(VALU_DEP_1) | instskip(SKIP_1) | instid1(VALU_DEP_2)
	v_ashrrev_i32_e32 v8, 31, v7
	v_add_co_u32 v7, vcc_lo, v20, v7
	v_add_co_ci_u32_e32 v8, vcc_lo, v21, v8, vcc_lo
.LBB72_152:
	s_and_not1_saveexec_b32 s2, s2
	s_cbranch_execz .LBB72_154
; %bb.153:
	s_waitcnt lgkmcnt(4)
	v_add_co_u32 v7, vcc_lo, v15, v27
	v_add_co_ci_u32_e32 v8, vcc_lo, 0, v17, vcc_lo
.LBB72_154:
	s_or_b32 exec_lo, exec_lo, s2
	s_waitcnt lgkmcnt(4)
	s_delay_alu instid0(VALU_DEP_1) | instskip(NEXT) | instid1(VALU_DEP_1)
	v_lshlrev_b64 v[7:8], 2, v[7:8]
	v_add_co_u32 v7, vcc_lo, s10, v7
	s_delay_alu instid0(VALU_DEP_2) | instskip(SKIP_3) | instid1(SALU_CYCLE_1)
	v_add_co_ci_u32_e32 v8, vcc_lo, s11, v8, vcc_lo
	s_waitcnt lgkmcnt(3)
	global_store_b32 v[7:8], v5, off
	s_or_b32 exec_lo, exec_lo, s1
	s_mov_b32 s1, exec_lo
	v_cmpx_gt_u32_e64 s22, v26
	s_cbranch_execnz .LBB72_186
.LBB72_155:
	s_or_b32 exec_lo, exec_lo, s1
	s_delay_alu instid0(SALU_CYCLE_1)
	s_mov_b32 s1, exec_lo
	v_cmpx_gt_u32_e64 s22, v25
	s_cbranch_execz .LBB72_191
.LBB72_156:
	s_mov_b32 s2, exec_lo
                                        ; implicit-def: $vgpr5_vgpr6
	v_cmpx_ge_u32_e64 v25, v16
	s_xor_b32 s2, exec_lo, s2
	s_cbranch_execz .LBB72_158
; %bb.157:
	s_waitcnt lgkmcnt(3)
	v_xor_b32_e32 v5, 0xfffff7ff, v0
                                        ; implicit-def: $vgpr25
	s_delay_alu instid0(VALU_DEP_1) | instskip(SKIP_1) | instid1(VALU_DEP_2)
	v_ashrrev_i32_e32 v6, 31, v5
	v_add_co_u32 v5, vcc_lo, v20, v5
	v_add_co_ci_u32_e32 v6, vcc_lo, v21, v6, vcc_lo
.LBB72_158:
	s_and_not1_saveexec_b32 s2, s2
	s_cbranch_execz .LBB72_160
; %bb.159:
	s_waitcnt lgkmcnt(3)
	v_add_co_u32 v5, vcc_lo, v15, v25
	v_add_co_ci_u32_e32 v6, vcc_lo, 0, v17, vcc_lo
.LBB72_160:
	s_or_b32 exec_lo, exec_lo, s2
	s_waitcnt lgkmcnt(3)
	s_delay_alu instid0(VALU_DEP_1) | instskip(NEXT) | instid1(VALU_DEP_1)
	v_lshlrev_b64 v[5:6], 2, v[5:6]
	v_add_co_u32 v5, vcc_lo, s10, v5
	s_delay_alu instid0(VALU_DEP_2) | instskip(SKIP_3) | instid1(SALU_CYCLE_1)
	v_add_co_ci_u32_e32 v6, vcc_lo, s11, v6, vcc_lo
	s_waitcnt lgkmcnt(2)
	global_store_b32 v[5:6], v3, off
	s_or_b32 exec_lo, exec_lo, s1
	s_mov_b32 s1, exec_lo
	v_cmpx_gt_u32_e64 s22, v24
	s_cbranch_execnz .LBB72_192
.LBB72_161:
	s_or_b32 exec_lo, exec_lo, s1
	s_delay_alu instid0(SALU_CYCLE_1)
	s_mov_b32 s1, exec_lo
	v_cmpx_gt_u32_e64 s22, v23
	s_cbranch_execz .LBB72_197
.LBB72_162:
	s_mov_b32 s2, exec_lo
                                        ; implicit-def: $vgpr3_vgpr4
	v_cmpx_ge_u32_e64 v23, v16
	s_xor_b32 s2, exec_lo, s2
	s_cbranch_execz .LBB72_164
; %bb.163:
	s_waitcnt lgkmcnt(2)
	v_xor_b32_e32 v3, 0xfffff5ff, v0
                                        ; implicit-def: $vgpr23
	s_delay_alu instid0(VALU_DEP_1) | instskip(SKIP_1) | instid1(VALU_DEP_2)
	v_ashrrev_i32_e32 v4, 31, v3
	v_add_co_u32 v3, vcc_lo, v20, v3
	v_add_co_ci_u32_e32 v4, vcc_lo, v21, v4, vcc_lo
.LBB72_164:
	s_and_not1_saveexec_b32 s2, s2
	s_cbranch_execz .LBB72_166
; %bb.165:
	s_waitcnt lgkmcnt(2)
	v_add_co_u32 v3, vcc_lo, v15, v23
	v_add_co_ci_u32_e32 v4, vcc_lo, 0, v17, vcc_lo
.LBB72_166:
	s_or_b32 exec_lo, exec_lo, s2
	s_waitcnt lgkmcnt(2)
	s_delay_alu instid0(VALU_DEP_1) | instskip(NEXT) | instid1(VALU_DEP_1)
	v_lshlrev_b64 v[3:4], 2, v[3:4]
	v_add_co_u32 v3, vcc_lo, s10, v3
	s_delay_alu instid0(VALU_DEP_2) | instskip(SKIP_3) | instid1(SALU_CYCLE_1)
	v_add_co_ci_u32_e32 v4, vcc_lo, s11, v4, vcc_lo
	s_waitcnt lgkmcnt(1)
	global_store_b32 v[3:4], v1, off
	s_or_b32 exec_lo, exec_lo, s1
	s_mov_b32 s1, exec_lo
	v_cmpx_gt_u32_e64 s22, v22
	s_cbranch_execz .LBB72_203
	s_branch .LBB72_198
.LBB72_167:
	s_or_b32 exec_lo, exec_lo, s1
	s_delay_alu instid0(SALU_CYCLE_1)
	s_mov_b32 s1, exec_lo
	v_cmpx_gt_u32_e64 s22, v34
	s_cbranch_execz .LBB72_137
.LBB72_168:
	s_mov_b32 s2, exec_lo
                                        ; implicit-def: $vgpr13_vgpr14
	v_cmpx_ge_u32_e64 v34, v16
	s_xor_b32 s2, exec_lo, s2
	s_cbranch_execz .LBB72_170
; %bb.169:
	s_waitcnt lgkmcnt(6)
	v_xor_b32_e32 v11, 0xfffffeff, v0
                                        ; implicit-def: $vgpr34
	s_delay_alu instid0(VALU_DEP_1) | instskip(SKIP_1) | instid1(VALU_DEP_2)
	v_ashrrev_i32_e32 v14, 31, v11
	v_add_co_u32 v13, vcc_lo, v20, v11
	v_add_co_ci_u32_e32 v14, vcc_lo, v21, v14, vcc_lo
.LBB72_170:
	s_and_not1_saveexec_b32 s2, s2
; %bb.171:
	v_add_co_u32 v13, vcc_lo, v15, v34
	v_add_co_ci_u32_e32 v14, vcc_lo, 0, v17, vcc_lo
; %bb.172:
	s_or_b32 exec_lo, exec_lo, s2
	s_delay_alu instid0(VALU_DEP_1) | instskip(NEXT) | instid1(VALU_DEP_1)
	v_lshlrev_b64 v[13:14], 2, v[13:14]
	v_add_co_u32 v13, vcc_lo, s10, v13
	s_delay_alu instid0(VALU_DEP_2) | instskip(SKIP_3) | instid1(SALU_CYCLE_1)
	v_add_co_ci_u32_e32 v14, vcc_lo, s11, v14, vcc_lo
	s_waitcnt lgkmcnt(6)
	global_store_b32 v[13:14], v12, off
	s_or_b32 exec_lo, exec_lo, s1
	s_mov_b32 s1, exec_lo
	v_cmpx_gt_u32_e64 s22, v33
	s_cbranch_execnz .LBB72_138
.LBB72_173:
	s_or_b32 exec_lo, exec_lo, s1
	s_delay_alu instid0(SALU_CYCLE_1)
	s_mov_b32 s1, exec_lo
	v_cmpx_gt_u32_e64 s22, v32
	s_cbranch_execz .LBB72_143
.LBB72_174:
	s_mov_b32 s2, exec_lo
                                        ; implicit-def: $vgpr11_vgpr12
	v_cmpx_ge_u32_e64 v32, v16
	s_xor_b32 s2, exec_lo, s2
	s_cbranch_execz .LBB72_176
; %bb.175:
	s_waitcnt lgkmcnt(5)
	v_xor_b32_e32 v9, 0xfffffcff, v0
                                        ; implicit-def: $vgpr32
	s_delay_alu instid0(VALU_DEP_1) | instskip(SKIP_1) | instid1(VALU_DEP_2)
	v_ashrrev_i32_e32 v12, 31, v9
	v_add_co_u32 v11, vcc_lo, v20, v9
	v_add_co_ci_u32_e32 v12, vcc_lo, v21, v12, vcc_lo
.LBB72_176:
	s_and_not1_saveexec_b32 s2, s2
	s_cbranch_execz .LBB72_178
; %bb.177:
	s_waitcnt lgkmcnt(6)
	v_add_co_u32 v11, vcc_lo, v15, v32
	v_add_co_ci_u32_e32 v12, vcc_lo, 0, v17, vcc_lo
.LBB72_178:
	s_or_b32 exec_lo, exec_lo, s2
	s_waitcnt lgkmcnt(6)
	s_delay_alu instid0(VALU_DEP_1) | instskip(NEXT) | instid1(VALU_DEP_1)
	v_lshlrev_b64 v[11:12], 2, v[11:12]
	v_add_co_u32 v11, vcc_lo, s10, v11
	s_delay_alu instid0(VALU_DEP_2) | instskip(SKIP_3) | instid1(SALU_CYCLE_1)
	v_add_co_ci_u32_e32 v12, vcc_lo, s11, v12, vcc_lo
	s_waitcnt lgkmcnt(5)
	global_store_b32 v[11:12], v10, off
	s_or_b32 exec_lo, exec_lo, s1
	s_mov_b32 s1, exec_lo
	v_cmpx_gt_u32_e64 s22, v29
	s_cbranch_execnz .LBB72_144
.LBB72_179:
	s_or_b32 exec_lo, exec_lo, s1
	s_delay_alu instid0(SALU_CYCLE_1)
	s_mov_b32 s1, exec_lo
	v_cmpx_gt_u32_e64 s22, v28
	s_cbranch_execz .LBB72_149
.LBB72_180:
	s_mov_b32 s2, exec_lo
                                        ; implicit-def: $vgpr9_vgpr10
	v_cmpx_ge_u32_e64 v28, v16
	s_xor_b32 s2, exec_lo, s2
	s_cbranch_execz .LBB72_182
; %bb.181:
	s_waitcnt lgkmcnt(4)
	v_xor_b32_e32 v7, 0xfffffaff, v0
                                        ; implicit-def: $vgpr28
	s_delay_alu instid0(VALU_DEP_1) | instskip(SKIP_1) | instid1(VALU_DEP_2)
	v_ashrrev_i32_e32 v10, 31, v7
	v_add_co_u32 v9, vcc_lo, v20, v7
	v_add_co_ci_u32_e32 v10, vcc_lo, v21, v10, vcc_lo
.LBB72_182:
	s_and_not1_saveexec_b32 s2, s2
	s_cbranch_execz .LBB72_184
; %bb.183:
	s_waitcnt lgkmcnt(5)
	v_add_co_u32 v9, vcc_lo, v15, v28
	v_add_co_ci_u32_e32 v10, vcc_lo, 0, v17, vcc_lo
.LBB72_184:
	s_or_b32 exec_lo, exec_lo, s2
	s_waitcnt lgkmcnt(5)
	s_delay_alu instid0(VALU_DEP_1) | instskip(NEXT) | instid1(VALU_DEP_1)
	v_lshlrev_b64 v[9:10], 2, v[9:10]
	v_add_co_u32 v9, vcc_lo, s10, v9
	s_delay_alu instid0(VALU_DEP_2) | instskip(SKIP_3) | instid1(SALU_CYCLE_1)
	v_add_co_ci_u32_e32 v10, vcc_lo, s11, v10, vcc_lo
	s_waitcnt lgkmcnt(4)
	global_store_b32 v[9:10], v8, off
	s_or_b32 exec_lo, exec_lo, s1
	s_mov_b32 s1, exec_lo
	v_cmpx_gt_u32_e64 s22, v27
	s_cbranch_execnz .LBB72_150
.LBB72_185:
	s_or_b32 exec_lo, exec_lo, s1
	s_delay_alu instid0(SALU_CYCLE_1)
	s_mov_b32 s1, exec_lo
	v_cmpx_gt_u32_e64 s22, v26
	s_cbranch_execz .LBB72_155
.LBB72_186:
	s_mov_b32 s2, exec_lo
                                        ; implicit-def: $vgpr7_vgpr8
	v_cmpx_ge_u32_e64 v26, v16
	s_xor_b32 s2, exec_lo, s2
	s_cbranch_execz .LBB72_188
; %bb.187:
	s_waitcnt lgkmcnt(3)
	v_xor_b32_e32 v5, 0xfffff8ff, v0
                                        ; implicit-def: $vgpr26
	s_delay_alu instid0(VALU_DEP_1) | instskip(SKIP_1) | instid1(VALU_DEP_2)
	v_ashrrev_i32_e32 v8, 31, v5
	v_add_co_u32 v7, vcc_lo, v20, v5
	v_add_co_ci_u32_e32 v8, vcc_lo, v21, v8, vcc_lo
.LBB72_188:
	s_and_not1_saveexec_b32 s2, s2
	s_cbranch_execz .LBB72_190
; %bb.189:
	s_waitcnt lgkmcnt(4)
	v_add_co_u32 v7, vcc_lo, v15, v26
	v_add_co_ci_u32_e32 v8, vcc_lo, 0, v17, vcc_lo
.LBB72_190:
	s_or_b32 exec_lo, exec_lo, s2
	s_waitcnt lgkmcnt(4)
	s_delay_alu instid0(VALU_DEP_1) | instskip(NEXT) | instid1(VALU_DEP_1)
	v_lshlrev_b64 v[7:8], 2, v[7:8]
	v_add_co_u32 v7, vcc_lo, s10, v7
	s_delay_alu instid0(VALU_DEP_2) | instskip(SKIP_3) | instid1(SALU_CYCLE_1)
	v_add_co_ci_u32_e32 v8, vcc_lo, s11, v8, vcc_lo
	s_waitcnt lgkmcnt(3)
	global_store_b32 v[7:8], v6, off
	s_or_b32 exec_lo, exec_lo, s1
	s_mov_b32 s1, exec_lo
	v_cmpx_gt_u32_e64 s22, v25
	s_cbranch_execnz .LBB72_156
.LBB72_191:
	s_or_b32 exec_lo, exec_lo, s1
	s_delay_alu instid0(SALU_CYCLE_1)
	s_mov_b32 s1, exec_lo
	v_cmpx_gt_u32_e64 s22, v24
	s_cbranch_execz .LBB72_161
.LBB72_192:
	s_mov_b32 s2, exec_lo
                                        ; implicit-def: $vgpr5_vgpr6
	v_cmpx_ge_u32_e64 v24, v16
	s_xor_b32 s2, exec_lo, s2
	s_cbranch_execz .LBB72_194
; %bb.193:
	s_waitcnt lgkmcnt(2)
	v_xor_b32_e32 v3, 0xfffff6ff, v0
                                        ; implicit-def: $vgpr24
	s_delay_alu instid0(VALU_DEP_1) | instskip(SKIP_1) | instid1(VALU_DEP_2)
	v_ashrrev_i32_e32 v6, 31, v3
	v_add_co_u32 v5, vcc_lo, v20, v3
	v_add_co_ci_u32_e32 v6, vcc_lo, v21, v6, vcc_lo
.LBB72_194:
	s_and_not1_saveexec_b32 s2, s2
	s_cbranch_execz .LBB72_196
; %bb.195:
	s_waitcnt lgkmcnt(3)
	v_add_co_u32 v5, vcc_lo, v15, v24
	v_add_co_ci_u32_e32 v6, vcc_lo, 0, v17, vcc_lo
.LBB72_196:
	s_or_b32 exec_lo, exec_lo, s2
	s_waitcnt lgkmcnt(3)
	s_delay_alu instid0(VALU_DEP_1) | instskip(NEXT) | instid1(VALU_DEP_1)
	v_lshlrev_b64 v[5:6], 2, v[5:6]
	v_add_co_u32 v5, vcc_lo, s10, v5
	s_delay_alu instid0(VALU_DEP_2) | instskip(SKIP_3) | instid1(SALU_CYCLE_1)
	v_add_co_ci_u32_e32 v6, vcc_lo, s11, v6, vcc_lo
	s_waitcnt lgkmcnt(2)
	global_store_b32 v[5:6], v4, off
	s_or_b32 exec_lo, exec_lo, s1
	s_mov_b32 s1, exec_lo
	v_cmpx_gt_u32_e64 s22, v23
	s_cbranch_execnz .LBB72_162
.LBB72_197:
	s_or_b32 exec_lo, exec_lo, s1
	s_delay_alu instid0(SALU_CYCLE_1)
	s_mov_b32 s1, exec_lo
	v_cmpx_gt_u32_e64 s22, v22
	s_cbranch_execz .LBB72_203
.LBB72_198:
	s_mov_b32 s2, exec_lo
                                        ; implicit-def: $vgpr3_vgpr4
	v_cmpx_ge_u32_e64 v22, v16
	s_xor_b32 s2, exec_lo, s2
	s_cbranch_execz .LBB72_200
; %bb.199:
	s_waitcnt lgkmcnt(1)
	v_xor_b32_e32 v1, 0xfffff4ff, v0
                                        ; implicit-def: $vgpr22
	s_delay_alu instid0(VALU_DEP_1) | instskip(SKIP_1) | instid1(VALU_DEP_2)
	v_ashrrev_i32_e32 v4, 31, v1
	v_add_co_u32 v3, vcc_lo, v20, v1
	v_add_co_ci_u32_e32 v4, vcc_lo, v21, v4, vcc_lo
.LBB72_200:
	s_and_not1_saveexec_b32 s2, s2
	s_cbranch_execz .LBB72_202
; %bb.201:
	s_waitcnt lgkmcnt(2)
	v_add_co_u32 v3, vcc_lo, v15, v22
	v_add_co_ci_u32_e32 v4, vcc_lo, 0, v17, vcc_lo
.LBB72_202:
	s_or_b32 exec_lo, exec_lo, s2
	s_waitcnt lgkmcnt(2)
	s_delay_alu instid0(VALU_DEP_1) | instskip(NEXT) | instid1(VALU_DEP_1)
	v_lshlrev_b64 v[3:4], 2, v[3:4]
	v_add_co_u32 v3, vcc_lo, s10, v3
	s_delay_alu instid0(VALU_DEP_2)
	v_add_co_ci_u32_e32 v4, vcc_lo, s11, v4, vcc_lo
	s_waitcnt lgkmcnt(1)
	global_store_b32 v[3:4], v2, off
.LBB72_203:
	s_or_b32 exec_lo, exec_lo, s1
	s_delay_alu instid0(SALU_CYCLE_1)
	s_mov_b32 s1, exec_lo
                                        ; implicit-def: $vgpr13_vgpr14
	v_cmpx_gt_u32_e64 s22, v19
	s_cbranch_execz .LBB72_209
; %bb.204:
	s_mov_b32 s2, exec_lo
                                        ; implicit-def: $vgpr13_vgpr14
	v_cmpx_ge_u32_e64 v19, v16
	s_xor_b32 s2, exec_lo, s2
	s_cbranch_execz .LBB72_206
; %bb.205:
	s_waitcnt lgkmcnt(1)
	v_xor_b32_e32 v1, 0xfffff3ff, v0
                                        ; implicit-def: $vgpr19
	s_delay_alu instid0(VALU_DEP_1) | instskip(SKIP_1) | instid1(VALU_DEP_2)
	v_ashrrev_i32_e32 v2, 31, v1
	v_add_co_u32 v13, vcc_lo, v20, v1
	v_add_co_ci_u32_e32 v14, vcc_lo, v21, v2, vcc_lo
.LBB72_206:
	s_and_not1_saveexec_b32 s2, s2
; %bb.207:
	v_add_co_u32 v13, vcc_lo, v15, v19
	v_add_co_ci_u32_e32 v14, vcc_lo, 0, v17, vcc_lo
; %bb.208:
	s_or_b32 exec_lo, exec_lo, s2
	s_delay_alu instid0(SALU_CYCLE_1)
	s_or_b32 s0, s0, exec_lo
.LBB72_209:
	s_or_b32 exec_lo, exec_lo, s1
.LBB72_210:
	s_and_saveexec_b32 s1, s0
	s_cbranch_execz .LBB72_212
; %bb.211:
	s_waitcnt lgkmcnt(1)
	v_lshlrev_b64 v[1:2], 2, v[13:14]
	s_delay_alu instid0(VALU_DEP_1) | instskip(NEXT) | instid1(VALU_DEP_2)
	v_add_co_u32 v1, vcc_lo, s10, v1
	v_add_co_ci_u32_e32 v2, vcc_lo, s11, v2, vcc_lo
	s_waitcnt lgkmcnt(0)
	global_store_b32 v[1:2], v18, off
.LBB72_212:
	s_or_b32 exec_lo, exec_lo, s1
	v_cmp_eq_u32_e32 vcc_lo, 0, v0
	s_and_b32 s0, vcc_lo, s14
	s_delay_alu instid0(SALU_CYCLE_1)
	s_and_saveexec_b32 s1, s0
	s_cbranch_execz .LBB72_214
; %bb.213:
	v_add_co_u32 v0, vcc_lo, v15, v16
	s_waitcnt lgkmcnt(1)
	v_mov_b32_e32 v2, 0
	v_add_co_ci_u32_e32 v1, vcc_lo, 0, v17, vcc_lo
	global_store_b64 v2, v[0:1], s[8:9]
.LBB72_214:
	s_nop 0
	s_sendmsg sendmsg(MSG_DEALLOC_VGPRS)
	s_endpgm
	.section	.rodata,"a",@progbits
	.p2align	6, 0x0
	.amdhsa_kernel _ZN7rocprim17ROCPRIM_400000_NS6detail17trampoline_kernelINS0_13select_configILj256ELj13ELNS0_17block_load_methodE3ELS4_3ELS4_3ELNS0_20block_scan_algorithmE0ELj4294967295EEENS1_25partition_config_selectorILNS1_17partition_subalgoE3EjNS0_10empty_typeEbEEZZNS1_14partition_implILS8_3ELb0ES6_jNS0_17counting_iteratorIjlEEPS9_SE_NS0_5tupleIJPjSE_EEENSF_IJSE_SE_EEES9_SG_JZNS1_25segmented_radix_sort_implINS0_14default_configELb1EPKhPhPKlPlN2at6native12_GLOBAL__N_18offset_tEEE10hipError_tPvRmT1_PNSt15iterator_traitsISY_E10value_typeET2_T3_PNSZ_IS14_E10value_typeET4_jRbjT5_S1A_jjP12ihipStream_tbEUljE_EEESV_SW_SX_S14_S18_S1A_T6_T7_T9_mT8_S1C_bDpT10_ENKUlT_T0_E_clISt17integral_constantIbLb1EES1O_IbLb0EEEEDaS1K_S1L_EUlS1K_E_NS1_11comp_targetILNS1_3genE9ELNS1_11target_archE1100ELNS1_3gpuE3ELNS1_3repE0EEENS1_30default_config_static_selectorELNS0_4arch9wavefront6targetE0EEEvSY_
		.amdhsa_group_segment_fixed_size 13324
		.amdhsa_private_segment_fixed_size 0
		.amdhsa_kernarg_size 144
		.amdhsa_user_sgpr_count 15
		.amdhsa_user_sgpr_dispatch_ptr 0
		.amdhsa_user_sgpr_queue_ptr 0
		.amdhsa_user_sgpr_kernarg_segment_ptr 1
		.amdhsa_user_sgpr_dispatch_id 0
		.amdhsa_user_sgpr_private_segment_size 0
		.amdhsa_wavefront_size32 1
		.amdhsa_uses_dynamic_stack 0
		.amdhsa_enable_private_segment 0
		.amdhsa_system_sgpr_workgroup_id_x 1
		.amdhsa_system_sgpr_workgroup_id_y 0
		.amdhsa_system_sgpr_workgroup_id_z 0
		.amdhsa_system_sgpr_workgroup_info 0
		.amdhsa_system_vgpr_workitem_id 0
		.amdhsa_next_free_vgpr 57
		.amdhsa_next_free_sgpr 28
		.amdhsa_reserve_vcc 1
		.amdhsa_float_round_mode_32 0
		.amdhsa_float_round_mode_16_64 0
		.amdhsa_float_denorm_mode_32 3
		.amdhsa_float_denorm_mode_16_64 3
		.amdhsa_dx10_clamp 1
		.amdhsa_ieee_mode 1
		.amdhsa_fp16_overflow 0
		.amdhsa_workgroup_processor_mode 1
		.amdhsa_memory_ordered 1
		.amdhsa_forward_progress 0
		.amdhsa_shared_vgpr_count 0
		.amdhsa_exception_fp_ieee_invalid_op 0
		.amdhsa_exception_fp_denorm_src 0
		.amdhsa_exception_fp_ieee_div_zero 0
		.amdhsa_exception_fp_ieee_overflow 0
		.amdhsa_exception_fp_ieee_underflow 0
		.amdhsa_exception_fp_ieee_inexact 0
		.amdhsa_exception_int_div_zero 0
	.end_amdhsa_kernel
	.section	.text._ZN7rocprim17ROCPRIM_400000_NS6detail17trampoline_kernelINS0_13select_configILj256ELj13ELNS0_17block_load_methodE3ELS4_3ELS4_3ELNS0_20block_scan_algorithmE0ELj4294967295EEENS1_25partition_config_selectorILNS1_17partition_subalgoE3EjNS0_10empty_typeEbEEZZNS1_14partition_implILS8_3ELb0ES6_jNS0_17counting_iteratorIjlEEPS9_SE_NS0_5tupleIJPjSE_EEENSF_IJSE_SE_EEES9_SG_JZNS1_25segmented_radix_sort_implINS0_14default_configELb1EPKhPhPKlPlN2at6native12_GLOBAL__N_18offset_tEEE10hipError_tPvRmT1_PNSt15iterator_traitsISY_E10value_typeET2_T3_PNSZ_IS14_E10value_typeET4_jRbjT5_S1A_jjP12ihipStream_tbEUljE_EEESV_SW_SX_S14_S18_S1A_T6_T7_T9_mT8_S1C_bDpT10_ENKUlT_T0_E_clISt17integral_constantIbLb1EES1O_IbLb0EEEEDaS1K_S1L_EUlS1K_E_NS1_11comp_targetILNS1_3genE9ELNS1_11target_archE1100ELNS1_3gpuE3ELNS1_3repE0EEENS1_30default_config_static_selectorELNS0_4arch9wavefront6targetE0EEEvSY_,"axG",@progbits,_ZN7rocprim17ROCPRIM_400000_NS6detail17trampoline_kernelINS0_13select_configILj256ELj13ELNS0_17block_load_methodE3ELS4_3ELS4_3ELNS0_20block_scan_algorithmE0ELj4294967295EEENS1_25partition_config_selectorILNS1_17partition_subalgoE3EjNS0_10empty_typeEbEEZZNS1_14partition_implILS8_3ELb0ES6_jNS0_17counting_iteratorIjlEEPS9_SE_NS0_5tupleIJPjSE_EEENSF_IJSE_SE_EEES9_SG_JZNS1_25segmented_radix_sort_implINS0_14default_configELb1EPKhPhPKlPlN2at6native12_GLOBAL__N_18offset_tEEE10hipError_tPvRmT1_PNSt15iterator_traitsISY_E10value_typeET2_T3_PNSZ_IS14_E10value_typeET4_jRbjT5_S1A_jjP12ihipStream_tbEUljE_EEESV_SW_SX_S14_S18_S1A_T6_T7_T9_mT8_S1C_bDpT10_ENKUlT_T0_E_clISt17integral_constantIbLb1EES1O_IbLb0EEEEDaS1K_S1L_EUlS1K_E_NS1_11comp_targetILNS1_3genE9ELNS1_11target_archE1100ELNS1_3gpuE3ELNS1_3repE0EEENS1_30default_config_static_selectorELNS0_4arch9wavefront6targetE0EEEvSY_,comdat
.Lfunc_end72:
	.size	_ZN7rocprim17ROCPRIM_400000_NS6detail17trampoline_kernelINS0_13select_configILj256ELj13ELNS0_17block_load_methodE3ELS4_3ELS4_3ELNS0_20block_scan_algorithmE0ELj4294967295EEENS1_25partition_config_selectorILNS1_17partition_subalgoE3EjNS0_10empty_typeEbEEZZNS1_14partition_implILS8_3ELb0ES6_jNS0_17counting_iteratorIjlEEPS9_SE_NS0_5tupleIJPjSE_EEENSF_IJSE_SE_EEES9_SG_JZNS1_25segmented_radix_sort_implINS0_14default_configELb1EPKhPhPKlPlN2at6native12_GLOBAL__N_18offset_tEEE10hipError_tPvRmT1_PNSt15iterator_traitsISY_E10value_typeET2_T3_PNSZ_IS14_E10value_typeET4_jRbjT5_S1A_jjP12ihipStream_tbEUljE_EEESV_SW_SX_S14_S18_S1A_T6_T7_T9_mT8_S1C_bDpT10_ENKUlT_T0_E_clISt17integral_constantIbLb1EES1O_IbLb0EEEEDaS1K_S1L_EUlS1K_E_NS1_11comp_targetILNS1_3genE9ELNS1_11target_archE1100ELNS1_3gpuE3ELNS1_3repE0EEENS1_30default_config_static_selectorELNS0_4arch9wavefront6targetE0EEEvSY_, .Lfunc_end72-_ZN7rocprim17ROCPRIM_400000_NS6detail17trampoline_kernelINS0_13select_configILj256ELj13ELNS0_17block_load_methodE3ELS4_3ELS4_3ELNS0_20block_scan_algorithmE0ELj4294967295EEENS1_25partition_config_selectorILNS1_17partition_subalgoE3EjNS0_10empty_typeEbEEZZNS1_14partition_implILS8_3ELb0ES6_jNS0_17counting_iteratorIjlEEPS9_SE_NS0_5tupleIJPjSE_EEENSF_IJSE_SE_EEES9_SG_JZNS1_25segmented_radix_sort_implINS0_14default_configELb1EPKhPhPKlPlN2at6native12_GLOBAL__N_18offset_tEEE10hipError_tPvRmT1_PNSt15iterator_traitsISY_E10value_typeET2_T3_PNSZ_IS14_E10value_typeET4_jRbjT5_S1A_jjP12ihipStream_tbEUljE_EEESV_SW_SX_S14_S18_S1A_T6_T7_T9_mT8_S1C_bDpT10_ENKUlT_T0_E_clISt17integral_constantIbLb1EES1O_IbLb0EEEEDaS1K_S1L_EUlS1K_E_NS1_11comp_targetILNS1_3genE9ELNS1_11target_archE1100ELNS1_3gpuE3ELNS1_3repE0EEENS1_30default_config_static_selectorELNS0_4arch9wavefront6targetE0EEEvSY_
                                        ; -- End function
	.section	.AMDGPU.csdata,"",@progbits
; Kernel info:
; codeLenInByte = 8964
; NumSgprs: 30
; NumVgprs: 57
; ScratchSize: 0
; MemoryBound: 0
; FloatMode: 240
; IeeeMode: 1
; LDSByteSize: 13324 bytes/workgroup (compile time only)
; SGPRBlocks: 3
; VGPRBlocks: 7
; NumSGPRsForWavesPerEU: 30
; NumVGPRsForWavesPerEU: 57
; Occupancy: 16
; WaveLimiterHint : 0
; COMPUTE_PGM_RSRC2:SCRATCH_EN: 0
; COMPUTE_PGM_RSRC2:USER_SGPR: 15
; COMPUTE_PGM_RSRC2:TRAP_HANDLER: 0
; COMPUTE_PGM_RSRC2:TGID_X_EN: 1
; COMPUTE_PGM_RSRC2:TGID_Y_EN: 0
; COMPUTE_PGM_RSRC2:TGID_Z_EN: 0
; COMPUTE_PGM_RSRC2:TIDIG_COMP_CNT: 0
	.section	.text._ZN7rocprim17ROCPRIM_400000_NS6detail17trampoline_kernelINS0_13select_configILj256ELj13ELNS0_17block_load_methodE3ELS4_3ELS4_3ELNS0_20block_scan_algorithmE0ELj4294967295EEENS1_25partition_config_selectorILNS1_17partition_subalgoE3EjNS0_10empty_typeEbEEZZNS1_14partition_implILS8_3ELb0ES6_jNS0_17counting_iteratorIjlEEPS9_SE_NS0_5tupleIJPjSE_EEENSF_IJSE_SE_EEES9_SG_JZNS1_25segmented_radix_sort_implINS0_14default_configELb1EPKhPhPKlPlN2at6native12_GLOBAL__N_18offset_tEEE10hipError_tPvRmT1_PNSt15iterator_traitsISY_E10value_typeET2_T3_PNSZ_IS14_E10value_typeET4_jRbjT5_S1A_jjP12ihipStream_tbEUljE_EEESV_SW_SX_S14_S18_S1A_T6_T7_T9_mT8_S1C_bDpT10_ENKUlT_T0_E_clISt17integral_constantIbLb1EES1O_IbLb0EEEEDaS1K_S1L_EUlS1K_E_NS1_11comp_targetILNS1_3genE8ELNS1_11target_archE1030ELNS1_3gpuE2ELNS1_3repE0EEENS1_30default_config_static_selectorELNS0_4arch9wavefront6targetE0EEEvSY_,"axG",@progbits,_ZN7rocprim17ROCPRIM_400000_NS6detail17trampoline_kernelINS0_13select_configILj256ELj13ELNS0_17block_load_methodE3ELS4_3ELS4_3ELNS0_20block_scan_algorithmE0ELj4294967295EEENS1_25partition_config_selectorILNS1_17partition_subalgoE3EjNS0_10empty_typeEbEEZZNS1_14partition_implILS8_3ELb0ES6_jNS0_17counting_iteratorIjlEEPS9_SE_NS0_5tupleIJPjSE_EEENSF_IJSE_SE_EEES9_SG_JZNS1_25segmented_radix_sort_implINS0_14default_configELb1EPKhPhPKlPlN2at6native12_GLOBAL__N_18offset_tEEE10hipError_tPvRmT1_PNSt15iterator_traitsISY_E10value_typeET2_T3_PNSZ_IS14_E10value_typeET4_jRbjT5_S1A_jjP12ihipStream_tbEUljE_EEESV_SW_SX_S14_S18_S1A_T6_T7_T9_mT8_S1C_bDpT10_ENKUlT_T0_E_clISt17integral_constantIbLb1EES1O_IbLb0EEEEDaS1K_S1L_EUlS1K_E_NS1_11comp_targetILNS1_3genE8ELNS1_11target_archE1030ELNS1_3gpuE2ELNS1_3repE0EEENS1_30default_config_static_selectorELNS0_4arch9wavefront6targetE0EEEvSY_,comdat
	.globl	_ZN7rocprim17ROCPRIM_400000_NS6detail17trampoline_kernelINS0_13select_configILj256ELj13ELNS0_17block_load_methodE3ELS4_3ELS4_3ELNS0_20block_scan_algorithmE0ELj4294967295EEENS1_25partition_config_selectorILNS1_17partition_subalgoE3EjNS0_10empty_typeEbEEZZNS1_14partition_implILS8_3ELb0ES6_jNS0_17counting_iteratorIjlEEPS9_SE_NS0_5tupleIJPjSE_EEENSF_IJSE_SE_EEES9_SG_JZNS1_25segmented_radix_sort_implINS0_14default_configELb1EPKhPhPKlPlN2at6native12_GLOBAL__N_18offset_tEEE10hipError_tPvRmT1_PNSt15iterator_traitsISY_E10value_typeET2_T3_PNSZ_IS14_E10value_typeET4_jRbjT5_S1A_jjP12ihipStream_tbEUljE_EEESV_SW_SX_S14_S18_S1A_T6_T7_T9_mT8_S1C_bDpT10_ENKUlT_T0_E_clISt17integral_constantIbLb1EES1O_IbLb0EEEEDaS1K_S1L_EUlS1K_E_NS1_11comp_targetILNS1_3genE8ELNS1_11target_archE1030ELNS1_3gpuE2ELNS1_3repE0EEENS1_30default_config_static_selectorELNS0_4arch9wavefront6targetE0EEEvSY_ ; -- Begin function _ZN7rocprim17ROCPRIM_400000_NS6detail17trampoline_kernelINS0_13select_configILj256ELj13ELNS0_17block_load_methodE3ELS4_3ELS4_3ELNS0_20block_scan_algorithmE0ELj4294967295EEENS1_25partition_config_selectorILNS1_17partition_subalgoE3EjNS0_10empty_typeEbEEZZNS1_14partition_implILS8_3ELb0ES6_jNS0_17counting_iteratorIjlEEPS9_SE_NS0_5tupleIJPjSE_EEENSF_IJSE_SE_EEES9_SG_JZNS1_25segmented_radix_sort_implINS0_14default_configELb1EPKhPhPKlPlN2at6native12_GLOBAL__N_18offset_tEEE10hipError_tPvRmT1_PNSt15iterator_traitsISY_E10value_typeET2_T3_PNSZ_IS14_E10value_typeET4_jRbjT5_S1A_jjP12ihipStream_tbEUljE_EEESV_SW_SX_S14_S18_S1A_T6_T7_T9_mT8_S1C_bDpT10_ENKUlT_T0_E_clISt17integral_constantIbLb1EES1O_IbLb0EEEEDaS1K_S1L_EUlS1K_E_NS1_11comp_targetILNS1_3genE8ELNS1_11target_archE1030ELNS1_3gpuE2ELNS1_3repE0EEENS1_30default_config_static_selectorELNS0_4arch9wavefront6targetE0EEEvSY_
	.p2align	8
	.type	_ZN7rocprim17ROCPRIM_400000_NS6detail17trampoline_kernelINS0_13select_configILj256ELj13ELNS0_17block_load_methodE3ELS4_3ELS4_3ELNS0_20block_scan_algorithmE0ELj4294967295EEENS1_25partition_config_selectorILNS1_17partition_subalgoE3EjNS0_10empty_typeEbEEZZNS1_14partition_implILS8_3ELb0ES6_jNS0_17counting_iteratorIjlEEPS9_SE_NS0_5tupleIJPjSE_EEENSF_IJSE_SE_EEES9_SG_JZNS1_25segmented_radix_sort_implINS0_14default_configELb1EPKhPhPKlPlN2at6native12_GLOBAL__N_18offset_tEEE10hipError_tPvRmT1_PNSt15iterator_traitsISY_E10value_typeET2_T3_PNSZ_IS14_E10value_typeET4_jRbjT5_S1A_jjP12ihipStream_tbEUljE_EEESV_SW_SX_S14_S18_S1A_T6_T7_T9_mT8_S1C_bDpT10_ENKUlT_T0_E_clISt17integral_constantIbLb1EES1O_IbLb0EEEEDaS1K_S1L_EUlS1K_E_NS1_11comp_targetILNS1_3genE8ELNS1_11target_archE1030ELNS1_3gpuE2ELNS1_3repE0EEENS1_30default_config_static_selectorELNS0_4arch9wavefront6targetE0EEEvSY_,@function
_ZN7rocprim17ROCPRIM_400000_NS6detail17trampoline_kernelINS0_13select_configILj256ELj13ELNS0_17block_load_methodE3ELS4_3ELS4_3ELNS0_20block_scan_algorithmE0ELj4294967295EEENS1_25partition_config_selectorILNS1_17partition_subalgoE3EjNS0_10empty_typeEbEEZZNS1_14partition_implILS8_3ELb0ES6_jNS0_17counting_iteratorIjlEEPS9_SE_NS0_5tupleIJPjSE_EEENSF_IJSE_SE_EEES9_SG_JZNS1_25segmented_radix_sort_implINS0_14default_configELb1EPKhPhPKlPlN2at6native12_GLOBAL__N_18offset_tEEE10hipError_tPvRmT1_PNSt15iterator_traitsISY_E10value_typeET2_T3_PNSZ_IS14_E10value_typeET4_jRbjT5_S1A_jjP12ihipStream_tbEUljE_EEESV_SW_SX_S14_S18_S1A_T6_T7_T9_mT8_S1C_bDpT10_ENKUlT_T0_E_clISt17integral_constantIbLb1EES1O_IbLb0EEEEDaS1K_S1L_EUlS1K_E_NS1_11comp_targetILNS1_3genE8ELNS1_11target_archE1030ELNS1_3gpuE2ELNS1_3repE0EEENS1_30default_config_static_selectorELNS0_4arch9wavefront6targetE0EEEvSY_: ; @_ZN7rocprim17ROCPRIM_400000_NS6detail17trampoline_kernelINS0_13select_configILj256ELj13ELNS0_17block_load_methodE3ELS4_3ELS4_3ELNS0_20block_scan_algorithmE0ELj4294967295EEENS1_25partition_config_selectorILNS1_17partition_subalgoE3EjNS0_10empty_typeEbEEZZNS1_14partition_implILS8_3ELb0ES6_jNS0_17counting_iteratorIjlEEPS9_SE_NS0_5tupleIJPjSE_EEENSF_IJSE_SE_EEES9_SG_JZNS1_25segmented_radix_sort_implINS0_14default_configELb1EPKhPhPKlPlN2at6native12_GLOBAL__N_18offset_tEEE10hipError_tPvRmT1_PNSt15iterator_traitsISY_E10value_typeET2_T3_PNSZ_IS14_E10value_typeET4_jRbjT5_S1A_jjP12ihipStream_tbEUljE_EEESV_SW_SX_S14_S18_S1A_T6_T7_T9_mT8_S1C_bDpT10_ENKUlT_T0_E_clISt17integral_constantIbLb1EES1O_IbLb0EEEEDaS1K_S1L_EUlS1K_E_NS1_11comp_targetILNS1_3genE8ELNS1_11target_archE1030ELNS1_3gpuE2ELNS1_3repE0EEENS1_30default_config_static_selectorELNS0_4arch9wavefront6targetE0EEEvSY_
; %bb.0:
	.section	.rodata,"a",@progbits
	.p2align	6, 0x0
	.amdhsa_kernel _ZN7rocprim17ROCPRIM_400000_NS6detail17trampoline_kernelINS0_13select_configILj256ELj13ELNS0_17block_load_methodE3ELS4_3ELS4_3ELNS0_20block_scan_algorithmE0ELj4294967295EEENS1_25partition_config_selectorILNS1_17partition_subalgoE3EjNS0_10empty_typeEbEEZZNS1_14partition_implILS8_3ELb0ES6_jNS0_17counting_iteratorIjlEEPS9_SE_NS0_5tupleIJPjSE_EEENSF_IJSE_SE_EEES9_SG_JZNS1_25segmented_radix_sort_implINS0_14default_configELb1EPKhPhPKlPlN2at6native12_GLOBAL__N_18offset_tEEE10hipError_tPvRmT1_PNSt15iterator_traitsISY_E10value_typeET2_T3_PNSZ_IS14_E10value_typeET4_jRbjT5_S1A_jjP12ihipStream_tbEUljE_EEESV_SW_SX_S14_S18_S1A_T6_T7_T9_mT8_S1C_bDpT10_ENKUlT_T0_E_clISt17integral_constantIbLb1EES1O_IbLb0EEEEDaS1K_S1L_EUlS1K_E_NS1_11comp_targetILNS1_3genE8ELNS1_11target_archE1030ELNS1_3gpuE2ELNS1_3repE0EEENS1_30default_config_static_selectorELNS0_4arch9wavefront6targetE0EEEvSY_
		.amdhsa_group_segment_fixed_size 0
		.amdhsa_private_segment_fixed_size 0
		.amdhsa_kernarg_size 144
		.amdhsa_user_sgpr_count 15
		.amdhsa_user_sgpr_dispatch_ptr 0
		.amdhsa_user_sgpr_queue_ptr 0
		.amdhsa_user_sgpr_kernarg_segment_ptr 1
		.amdhsa_user_sgpr_dispatch_id 0
		.amdhsa_user_sgpr_private_segment_size 0
		.amdhsa_wavefront_size32 1
		.amdhsa_uses_dynamic_stack 0
		.amdhsa_enable_private_segment 0
		.amdhsa_system_sgpr_workgroup_id_x 1
		.amdhsa_system_sgpr_workgroup_id_y 0
		.amdhsa_system_sgpr_workgroup_id_z 0
		.amdhsa_system_sgpr_workgroup_info 0
		.amdhsa_system_vgpr_workitem_id 0
		.amdhsa_next_free_vgpr 1
		.amdhsa_next_free_sgpr 1
		.amdhsa_reserve_vcc 0
		.amdhsa_float_round_mode_32 0
		.amdhsa_float_round_mode_16_64 0
		.amdhsa_float_denorm_mode_32 3
		.amdhsa_float_denorm_mode_16_64 3
		.amdhsa_dx10_clamp 1
		.amdhsa_ieee_mode 1
		.amdhsa_fp16_overflow 0
		.amdhsa_workgroup_processor_mode 1
		.amdhsa_memory_ordered 1
		.amdhsa_forward_progress 0
		.amdhsa_shared_vgpr_count 0
		.amdhsa_exception_fp_ieee_invalid_op 0
		.amdhsa_exception_fp_denorm_src 0
		.amdhsa_exception_fp_ieee_div_zero 0
		.amdhsa_exception_fp_ieee_overflow 0
		.amdhsa_exception_fp_ieee_underflow 0
		.amdhsa_exception_fp_ieee_inexact 0
		.amdhsa_exception_int_div_zero 0
	.end_amdhsa_kernel
	.section	.text._ZN7rocprim17ROCPRIM_400000_NS6detail17trampoline_kernelINS0_13select_configILj256ELj13ELNS0_17block_load_methodE3ELS4_3ELS4_3ELNS0_20block_scan_algorithmE0ELj4294967295EEENS1_25partition_config_selectorILNS1_17partition_subalgoE3EjNS0_10empty_typeEbEEZZNS1_14partition_implILS8_3ELb0ES6_jNS0_17counting_iteratorIjlEEPS9_SE_NS0_5tupleIJPjSE_EEENSF_IJSE_SE_EEES9_SG_JZNS1_25segmented_radix_sort_implINS0_14default_configELb1EPKhPhPKlPlN2at6native12_GLOBAL__N_18offset_tEEE10hipError_tPvRmT1_PNSt15iterator_traitsISY_E10value_typeET2_T3_PNSZ_IS14_E10value_typeET4_jRbjT5_S1A_jjP12ihipStream_tbEUljE_EEESV_SW_SX_S14_S18_S1A_T6_T7_T9_mT8_S1C_bDpT10_ENKUlT_T0_E_clISt17integral_constantIbLb1EES1O_IbLb0EEEEDaS1K_S1L_EUlS1K_E_NS1_11comp_targetILNS1_3genE8ELNS1_11target_archE1030ELNS1_3gpuE2ELNS1_3repE0EEENS1_30default_config_static_selectorELNS0_4arch9wavefront6targetE0EEEvSY_,"axG",@progbits,_ZN7rocprim17ROCPRIM_400000_NS6detail17trampoline_kernelINS0_13select_configILj256ELj13ELNS0_17block_load_methodE3ELS4_3ELS4_3ELNS0_20block_scan_algorithmE0ELj4294967295EEENS1_25partition_config_selectorILNS1_17partition_subalgoE3EjNS0_10empty_typeEbEEZZNS1_14partition_implILS8_3ELb0ES6_jNS0_17counting_iteratorIjlEEPS9_SE_NS0_5tupleIJPjSE_EEENSF_IJSE_SE_EEES9_SG_JZNS1_25segmented_radix_sort_implINS0_14default_configELb1EPKhPhPKlPlN2at6native12_GLOBAL__N_18offset_tEEE10hipError_tPvRmT1_PNSt15iterator_traitsISY_E10value_typeET2_T3_PNSZ_IS14_E10value_typeET4_jRbjT5_S1A_jjP12ihipStream_tbEUljE_EEESV_SW_SX_S14_S18_S1A_T6_T7_T9_mT8_S1C_bDpT10_ENKUlT_T0_E_clISt17integral_constantIbLb1EES1O_IbLb0EEEEDaS1K_S1L_EUlS1K_E_NS1_11comp_targetILNS1_3genE8ELNS1_11target_archE1030ELNS1_3gpuE2ELNS1_3repE0EEENS1_30default_config_static_selectorELNS0_4arch9wavefront6targetE0EEEvSY_,comdat
.Lfunc_end73:
	.size	_ZN7rocprim17ROCPRIM_400000_NS6detail17trampoline_kernelINS0_13select_configILj256ELj13ELNS0_17block_load_methodE3ELS4_3ELS4_3ELNS0_20block_scan_algorithmE0ELj4294967295EEENS1_25partition_config_selectorILNS1_17partition_subalgoE3EjNS0_10empty_typeEbEEZZNS1_14partition_implILS8_3ELb0ES6_jNS0_17counting_iteratorIjlEEPS9_SE_NS0_5tupleIJPjSE_EEENSF_IJSE_SE_EEES9_SG_JZNS1_25segmented_radix_sort_implINS0_14default_configELb1EPKhPhPKlPlN2at6native12_GLOBAL__N_18offset_tEEE10hipError_tPvRmT1_PNSt15iterator_traitsISY_E10value_typeET2_T3_PNSZ_IS14_E10value_typeET4_jRbjT5_S1A_jjP12ihipStream_tbEUljE_EEESV_SW_SX_S14_S18_S1A_T6_T7_T9_mT8_S1C_bDpT10_ENKUlT_T0_E_clISt17integral_constantIbLb1EES1O_IbLb0EEEEDaS1K_S1L_EUlS1K_E_NS1_11comp_targetILNS1_3genE8ELNS1_11target_archE1030ELNS1_3gpuE2ELNS1_3repE0EEENS1_30default_config_static_selectorELNS0_4arch9wavefront6targetE0EEEvSY_, .Lfunc_end73-_ZN7rocprim17ROCPRIM_400000_NS6detail17trampoline_kernelINS0_13select_configILj256ELj13ELNS0_17block_load_methodE3ELS4_3ELS4_3ELNS0_20block_scan_algorithmE0ELj4294967295EEENS1_25partition_config_selectorILNS1_17partition_subalgoE3EjNS0_10empty_typeEbEEZZNS1_14partition_implILS8_3ELb0ES6_jNS0_17counting_iteratorIjlEEPS9_SE_NS0_5tupleIJPjSE_EEENSF_IJSE_SE_EEES9_SG_JZNS1_25segmented_radix_sort_implINS0_14default_configELb1EPKhPhPKlPlN2at6native12_GLOBAL__N_18offset_tEEE10hipError_tPvRmT1_PNSt15iterator_traitsISY_E10value_typeET2_T3_PNSZ_IS14_E10value_typeET4_jRbjT5_S1A_jjP12ihipStream_tbEUljE_EEESV_SW_SX_S14_S18_S1A_T6_T7_T9_mT8_S1C_bDpT10_ENKUlT_T0_E_clISt17integral_constantIbLb1EES1O_IbLb0EEEEDaS1K_S1L_EUlS1K_E_NS1_11comp_targetILNS1_3genE8ELNS1_11target_archE1030ELNS1_3gpuE2ELNS1_3repE0EEENS1_30default_config_static_selectorELNS0_4arch9wavefront6targetE0EEEvSY_
                                        ; -- End function
	.section	.AMDGPU.csdata,"",@progbits
; Kernel info:
; codeLenInByte = 0
; NumSgprs: 0
; NumVgprs: 0
; ScratchSize: 0
; MemoryBound: 0
; FloatMode: 240
; IeeeMode: 1
; LDSByteSize: 0 bytes/workgroup (compile time only)
; SGPRBlocks: 0
; VGPRBlocks: 0
; NumSGPRsForWavesPerEU: 1
; NumVGPRsForWavesPerEU: 1
; Occupancy: 16
; WaveLimiterHint : 0
; COMPUTE_PGM_RSRC2:SCRATCH_EN: 0
; COMPUTE_PGM_RSRC2:USER_SGPR: 15
; COMPUTE_PGM_RSRC2:TRAP_HANDLER: 0
; COMPUTE_PGM_RSRC2:TGID_X_EN: 1
; COMPUTE_PGM_RSRC2:TGID_Y_EN: 0
; COMPUTE_PGM_RSRC2:TGID_Z_EN: 0
; COMPUTE_PGM_RSRC2:TIDIG_COMP_CNT: 0
	.section	.text._ZN7rocprim17ROCPRIM_400000_NS6detail31init_lookback_scan_state_kernelINS1_19lookback_scan_stateIjLb0ELb1EEENS1_16block_id_wrapperIjLb1EEEEEvT_jT0_jPNS7_10value_typeE,"axG",@progbits,_ZN7rocprim17ROCPRIM_400000_NS6detail31init_lookback_scan_state_kernelINS1_19lookback_scan_stateIjLb0ELb1EEENS1_16block_id_wrapperIjLb1EEEEEvT_jT0_jPNS7_10value_typeE,comdat
	.protected	_ZN7rocprim17ROCPRIM_400000_NS6detail31init_lookback_scan_state_kernelINS1_19lookback_scan_stateIjLb0ELb1EEENS1_16block_id_wrapperIjLb1EEEEEvT_jT0_jPNS7_10value_typeE ; -- Begin function _ZN7rocprim17ROCPRIM_400000_NS6detail31init_lookback_scan_state_kernelINS1_19lookback_scan_stateIjLb0ELb1EEENS1_16block_id_wrapperIjLb1EEEEEvT_jT0_jPNS7_10value_typeE
	.globl	_ZN7rocprim17ROCPRIM_400000_NS6detail31init_lookback_scan_state_kernelINS1_19lookback_scan_stateIjLb0ELb1EEENS1_16block_id_wrapperIjLb1EEEEEvT_jT0_jPNS7_10value_typeE
	.p2align	8
	.type	_ZN7rocprim17ROCPRIM_400000_NS6detail31init_lookback_scan_state_kernelINS1_19lookback_scan_stateIjLb0ELb1EEENS1_16block_id_wrapperIjLb1EEEEEvT_jT0_jPNS7_10value_typeE,@function
_ZN7rocprim17ROCPRIM_400000_NS6detail31init_lookback_scan_state_kernelINS1_19lookback_scan_stateIjLb0ELb1EEENS1_16block_id_wrapperIjLb1EEEEEvT_jT0_jPNS7_10value_typeE: ; @_ZN7rocprim17ROCPRIM_400000_NS6detail31init_lookback_scan_state_kernelINS1_19lookback_scan_stateIjLb0ELb1EEENS1_16block_id_wrapperIjLb1EEEEEvT_jT0_jPNS7_10value_typeE
; %bb.0:
	s_clause 0x3
	s_load_b32 s6, s[0:1], 0x34
	s_load_b64 s[4:5], s[0:1], 0x20
	s_load_b64 s[2:3], s[0:1], 0x0
	s_load_b32 s8, s[0:1], 0x8
	s_waitcnt lgkmcnt(0)
	s_and_b32 s6, s6, 0xffff
	s_cmp_eq_u64 s[4:5], 0
	v_mad_u64_u32 v[1:2], null, s15, s6, v[0:1]
	s_cbranch_scc1 .LBB74_6
; %bb.1:
	s_load_b32 s6, s[0:1], 0x18
	s_waitcnt lgkmcnt(0)
	s_cmp_lt_u32 s6, s8
	s_cselect_b32 s7, s6, 0
	s_delay_alu instid0(VALU_DEP_1) | instid1(SALU_CYCLE_1)
	v_cmp_eq_u32_e32 vcc_lo, s7, v1
	s_mov_b32 s7, 0
	s_and_saveexec_b32 s9, vcc_lo
	s_cbranch_execz .LBB74_5
; %bb.2:
	s_add_i32 s6, s6, 32
	v_mov_b32_e32 v4, 0
	s_lshl_b64 s[6:7], s[6:7], 3
	s_delay_alu instid0(SALU_CYCLE_1) | instskip(SKIP_4) | instid1(VALU_DEP_1)
	s_add_u32 s6, s2, s6
	s_addc_u32 s7, s3, s7
	global_load_b64 v[2:3], v4, s[6:7] glc
	s_waitcnt vmcnt(0)
	v_and_b32_e32 v5, 0xff, v3
	v_cmp_ne_u64_e32 vcc_lo, 0, v[4:5]
	s_cbranch_vccnz .LBB74_4
.LBB74_3:                               ; =>This Inner Loop Header: Depth=1
	global_load_b64 v[2:3], v4, s[6:7] glc
	s_waitcnt vmcnt(0)
	v_and_b32_e32 v5, 0xff, v3
	s_delay_alu instid0(VALU_DEP_1)
	v_cmp_eq_u64_e32 vcc_lo, 0, v[4:5]
	s_cbranch_vccnz .LBB74_3
.LBB74_4:
	v_mov_b32_e32 v0, 0
	global_store_b32 v0, v2, s[4:5]
.LBB74_5:
	s_or_b32 exec_lo, exec_lo, s9
.LBB74_6:
	s_delay_alu instid0(SALU_CYCLE_1) | instskip(NEXT) | instid1(VALU_DEP_1)
	s_mov_b32 s4, exec_lo
	v_cmpx_eq_u32_e32 0, v1
	s_cbranch_execz .LBB74_8
; %bb.7:
	s_load_b64 s[0:1], s[0:1], 0x10
	v_mov_b32_e32 v0, 0
	s_waitcnt lgkmcnt(0)
	global_store_b32 v0, v0, s[0:1]
.LBB74_8:
	s_or_b32 exec_lo, exec_lo, s4
	s_delay_alu instid0(SALU_CYCLE_1)
	s_mov_b32 s0, exec_lo
	v_cmpx_gt_u32_e64 s8, v1
	s_cbranch_execz .LBB74_10
; %bb.9:
	v_dual_mov_b32 v3, 0 :: v_dual_add_nc_u32 v2, 32, v1
	s_delay_alu instid0(VALU_DEP_1) | instskip(SKIP_1) | instid1(VALU_DEP_2)
	v_lshlrev_b64 v[4:5], 3, v[2:3]
	v_mov_b32_e32 v2, v3
	v_add_co_u32 v4, vcc_lo, s2, v4
	s_delay_alu instid0(VALU_DEP_3)
	v_add_co_ci_u32_e32 v5, vcc_lo, s3, v5, vcc_lo
	global_store_b64 v[4:5], v[2:3], off
.LBB74_10:
	s_or_b32 exec_lo, exec_lo, s0
	s_delay_alu instid0(SALU_CYCLE_1)
	s_mov_b32 s0, exec_lo
	v_cmpx_gt_u32_e32 32, v1
	s_cbranch_execz .LBB74_12
; %bb.11:
	v_dual_mov_b32 v2, 0 :: v_dual_mov_b32 v3, 0xff
	s_delay_alu instid0(VALU_DEP_1) | instskip(NEXT) | instid1(VALU_DEP_1)
	v_lshlrev_b64 v[0:1], 3, v[1:2]
	v_add_co_u32 v0, vcc_lo, s2, v0
	s_delay_alu instid0(VALU_DEP_2)
	v_add_co_ci_u32_e32 v1, vcc_lo, s3, v1, vcc_lo
	global_store_b64 v[0:1], v[2:3], off
.LBB74_12:
	s_nop 0
	s_sendmsg sendmsg(MSG_DEALLOC_VGPRS)
	s_endpgm
	.section	.rodata,"a",@progbits
	.p2align	6, 0x0
	.amdhsa_kernel _ZN7rocprim17ROCPRIM_400000_NS6detail31init_lookback_scan_state_kernelINS1_19lookback_scan_stateIjLb0ELb1EEENS1_16block_id_wrapperIjLb1EEEEEvT_jT0_jPNS7_10value_typeE
		.amdhsa_group_segment_fixed_size 0
		.amdhsa_private_segment_fixed_size 0
		.amdhsa_kernarg_size 296
		.amdhsa_user_sgpr_count 15
		.amdhsa_user_sgpr_dispatch_ptr 0
		.amdhsa_user_sgpr_queue_ptr 0
		.amdhsa_user_sgpr_kernarg_segment_ptr 1
		.amdhsa_user_sgpr_dispatch_id 0
		.amdhsa_user_sgpr_private_segment_size 0
		.amdhsa_wavefront_size32 1
		.amdhsa_uses_dynamic_stack 0
		.amdhsa_enable_private_segment 0
		.amdhsa_system_sgpr_workgroup_id_x 1
		.amdhsa_system_sgpr_workgroup_id_y 0
		.amdhsa_system_sgpr_workgroup_id_z 0
		.amdhsa_system_sgpr_workgroup_info 0
		.amdhsa_system_vgpr_workitem_id 0
		.amdhsa_next_free_vgpr 6
		.amdhsa_next_free_sgpr 16
		.amdhsa_reserve_vcc 1
		.amdhsa_float_round_mode_32 0
		.amdhsa_float_round_mode_16_64 0
		.amdhsa_float_denorm_mode_32 3
		.amdhsa_float_denorm_mode_16_64 3
		.amdhsa_dx10_clamp 1
		.amdhsa_ieee_mode 1
		.amdhsa_fp16_overflow 0
		.amdhsa_workgroup_processor_mode 1
		.amdhsa_memory_ordered 1
		.amdhsa_forward_progress 0
		.amdhsa_shared_vgpr_count 0
		.amdhsa_exception_fp_ieee_invalid_op 0
		.amdhsa_exception_fp_denorm_src 0
		.amdhsa_exception_fp_ieee_div_zero 0
		.amdhsa_exception_fp_ieee_overflow 0
		.amdhsa_exception_fp_ieee_underflow 0
		.amdhsa_exception_fp_ieee_inexact 0
		.amdhsa_exception_int_div_zero 0
	.end_amdhsa_kernel
	.section	.text._ZN7rocprim17ROCPRIM_400000_NS6detail31init_lookback_scan_state_kernelINS1_19lookback_scan_stateIjLb0ELb1EEENS1_16block_id_wrapperIjLb1EEEEEvT_jT0_jPNS7_10value_typeE,"axG",@progbits,_ZN7rocprim17ROCPRIM_400000_NS6detail31init_lookback_scan_state_kernelINS1_19lookback_scan_stateIjLb0ELb1EEENS1_16block_id_wrapperIjLb1EEEEEvT_jT0_jPNS7_10value_typeE,comdat
.Lfunc_end74:
	.size	_ZN7rocprim17ROCPRIM_400000_NS6detail31init_lookback_scan_state_kernelINS1_19lookback_scan_stateIjLb0ELb1EEENS1_16block_id_wrapperIjLb1EEEEEvT_jT0_jPNS7_10value_typeE, .Lfunc_end74-_ZN7rocprim17ROCPRIM_400000_NS6detail31init_lookback_scan_state_kernelINS1_19lookback_scan_stateIjLb0ELb1EEENS1_16block_id_wrapperIjLb1EEEEEvT_jT0_jPNS7_10value_typeE
                                        ; -- End function
	.section	.AMDGPU.csdata,"",@progbits
; Kernel info:
; codeLenInByte = 396
; NumSgprs: 18
; NumVgprs: 6
; ScratchSize: 0
; MemoryBound: 0
; FloatMode: 240
; IeeeMode: 1
; LDSByteSize: 0 bytes/workgroup (compile time only)
; SGPRBlocks: 2
; VGPRBlocks: 0
; NumSGPRsForWavesPerEU: 18
; NumVGPRsForWavesPerEU: 6
; Occupancy: 16
; WaveLimiterHint : 0
; COMPUTE_PGM_RSRC2:SCRATCH_EN: 0
; COMPUTE_PGM_RSRC2:USER_SGPR: 15
; COMPUTE_PGM_RSRC2:TRAP_HANDLER: 0
; COMPUTE_PGM_RSRC2:TGID_X_EN: 1
; COMPUTE_PGM_RSRC2:TGID_Y_EN: 0
; COMPUTE_PGM_RSRC2:TGID_Z_EN: 0
; COMPUTE_PGM_RSRC2:TIDIG_COMP_CNT: 0
	.section	.text._ZN7rocprim17ROCPRIM_400000_NS6detail17trampoline_kernelINS0_13select_configILj256ELj13ELNS0_17block_load_methodE3ELS4_3ELS4_3ELNS0_20block_scan_algorithmE0ELj4294967295EEENS1_25partition_config_selectorILNS1_17partition_subalgoE3EjNS0_10empty_typeEbEEZZNS1_14partition_implILS8_3ELb0ES6_jNS0_17counting_iteratorIjlEEPS9_SE_NS0_5tupleIJPjSE_EEENSF_IJSE_SE_EEES9_SG_JZNS1_25segmented_radix_sort_implINS0_14default_configELb1EPKhPhPKlPlN2at6native12_GLOBAL__N_18offset_tEEE10hipError_tPvRmT1_PNSt15iterator_traitsISY_E10value_typeET2_T3_PNSZ_IS14_E10value_typeET4_jRbjT5_S1A_jjP12ihipStream_tbEUljE_EEESV_SW_SX_S14_S18_S1A_T6_T7_T9_mT8_S1C_bDpT10_ENKUlT_T0_E_clISt17integral_constantIbLb0EES1O_IbLb1EEEEDaS1K_S1L_EUlS1K_E_NS1_11comp_targetILNS1_3genE0ELNS1_11target_archE4294967295ELNS1_3gpuE0ELNS1_3repE0EEENS1_30default_config_static_selectorELNS0_4arch9wavefront6targetE0EEEvSY_,"axG",@progbits,_ZN7rocprim17ROCPRIM_400000_NS6detail17trampoline_kernelINS0_13select_configILj256ELj13ELNS0_17block_load_methodE3ELS4_3ELS4_3ELNS0_20block_scan_algorithmE0ELj4294967295EEENS1_25partition_config_selectorILNS1_17partition_subalgoE3EjNS0_10empty_typeEbEEZZNS1_14partition_implILS8_3ELb0ES6_jNS0_17counting_iteratorIjlEEPS9_SE_NS0_5tupleIJPjSE_EEENSF_IJSE_SE_EEES9_SG_JZNS1_25segmented_radix_sort_implINS0_14default_configELb1EPKhPhPKlPlN2at6native12_GLOBAL__N_18offset_tEEE10hipError_tPvRmT1_PNSt15iterator_traitsISY_E10value_typeET2_T3_PNSZ_IS14_E10value_typeET4_jRbjT5_S1A_jjP12ihipStream_tbEUljE_EEESV_SW_SX_S14_S18_S1A_T6_T7_T9_mT8_S1C_bDpT10_ENKUlT_T0_E_clISt17integral_constantIbLb0EES1O_IbLb1EEEEDaS1K_S1L_EUlS1K_E_NS1_11comp_targetILNS1_3genE0ELNS1_11target_archE4294967295ELNS1_3gpuE0ELNS1_3repE0EEENS1_30default_config_static_selectorELNS0_4arch9wavefront6targetE0EEEvSY_,comdat
	.globl	_ZN7rocprim17ROCPRIM_400000_NS6detail17trampoline_kernelINS0_13select_configILj256ELj13ELNS0_17block_load_methodE3ELS4_3ELS4_3ELNS0_20block_scan_algorithmE0ELj4294967295EEENS1_25partition_config_selectorILNS1_17partition_subalgoE3EjNS0_10empty_typeEbEEZZNS1_14partition_implILS8_3ELb0ES6_jNS0_17counting_iteratorIjlEEPS9_SE_NS0_5tupleIJPjSE_EEENSF_IJSE_SE_EEES9_SG_JZNS1_25segmented_radix_sort_implINS0_14default_configELb1EPKhPhPKlPlN2at6native12_GLOBAL__N_18offset_tEEE10hipError_tPvRmT1_PNSt15iterator_traitsISY_E10value_typeET2_T3_PNSZ_IS14_E10value_typeET4_jRbjT5_S1A_jjP12ihipStream_tbEUljE_EEESV_SW_SX_S14_S18_S1A_T6_T7_T9_mT8_S1C_bDpT10_ENKUlT_T0_E_clISt17integral_constantIbLb0EES1O_IbLb1EEEEDaS1K_S1L_EUlS1K_E_NS1_11comp_targetILNS1_3genE0ELNS1_11target_archE4294967295ELNS1_3gpuE0ELNS1_3repE0EEENS1_30default_config_static_selectorELNS0_4arch9wavefront6targetE0EEEvSY_ ; -- Begin function _ZN7rocprim17ROCPRIM_400000_NS6detail17trampoline_kernelINS0_13select_configILj256ELj13ELNS0_17block_load_methodE3ELS4_3ELS4_3ELNS0_20block_scan_algorithmE0ELj4294967295EEENS1_25partition_config_selectorILNS1_17partition_subalgoE3EjNS0_10empty_typeEbEEZZNS1_14partition_implILS8_3ELb0ES6_jNS0_17counting_iteratorIjlEEPS9_SE_NS0_5tupleIJPjSE_EEENSF_IJSE_SE_EEES9_SG_JZNS1_25segmented_radix_sort_implINS0_14default_configELb1EPKhPhPKlPlN2at6native12_GLOBAL__N_18offset_tEEE10hipError_tPvRmT1_PNSt15iterator_traitsISY_E10value_typeET2_T3_PNSZ_IS14_E10value_typeET4_jRbjT5_S1A_jjP12ihipStream_tbEUljE_EEESV_SW_SX_S14_S18_S1A_T6_T7_T9_mT8_S1C_bDpT10_ENKUlT_T0_E_clISt17integral_constantIbLb0EES1O_IbLb1EEEEDaS1K_S1L_EUlS1K_E_NS1_11comp_targetILNS1_3genE0ELNS1_11target_archE4294967295ELNS1_3gpuE0ELNS1_3repE0EEENS1_30default_config_static_selectorELNS0_4arch9wavefront6targetE0EEEvSY_
	.p2align	8
	.type	_ZN7rocprim17ROCPRIM_400000_NS6detail17trampoline_kernelINS0_13select_configILj256ELj13ELNS0_17block_load_methodE3ELS4_3ELS4_3ELNS0_20block_scan_algorithmE0ELj4294967295EEENS1_25partition_config_selectorILNS1_17partition_subalgoE3EjNS0_10empty_typeEbEEZZNS1_14partition_implILS8_3ELb0ES6_jNS0_17counting_iteratorIjlEEPS9_SE_NS0_5tupleIJPjSE_EEENSF_IJSE_SE_EEES9_SG_JZNS1_25segmented_radix_sort_implINS0_14default_configELb1EPKhPhPKlPlN2at6native12_GLOBAL__N_18offset_tEEE10hipError_tPvRmT1_PNSt15iterator_traitsISY_E10value_typeET2_T3_PNSZ_IS14_E10value_typeET4_jRbjT5_S1A_jjP12ihipStream_tbEUljE_EEESV_SW_SX_S14_S18_S1A_T6_T7_T9_mT8_S1C_bDpT10_ENKUlT_T0_E_clISt17integral_constantIbLb0EES1O_IbLb1EEEEDaS1K_S1L_EUlS1K_E_NS1_11comp_targetILNS1_3genE0ELNS1_11target_archE4294967295ELNS1_3gpuE0ELNS1_3repE0EEENS1_30default_config_static_selectorELNS0_4arch9wavefront6targetE0EEEvSY_,@function
_ZN7rocprim17ROCPRIM_400000_NS6detail17trampoline_kernelINS0_13select_configILj256ELj13ELNS0_17block_load_methodE3ELS4_3ELS4_3ELNS0_20block_scan_algorithmE0ELj4294967295EEENS1_25partition_config_selectorILNS1_17partition_subalgoE3EjNS0_10empty_typeEbEEZZNS1_14partition_implILS8_3ELb0ES6_jNS0_17counting_iteratorIjlEEPS9_SE_NS0_5tupleIJPjSE_EEENSF_IJSE_SE_EEES9_SG_JZNS1_25segmented_radix_sort_implINS0_14default_configELb1EPKhPhPKlPlN2at6native12_GLOBAL__N_18offset_tEEE10hipError_tPvRmT1_PNSt15iterator_traitsISY_E10value_typeET2_T3_PNSZ_IS14_E10value_typeET4_jRbjT5_S1A_jjP12ihipStream_tbEUljE_EEESV_SW_SX_S14_S18_S1A_T6_T7_T9_mT8_S1C_bDpT10_ENKUlT_T0_E_clISt17integral_constantIbLb0EES1O_IbLb1EEEEDaS1K_S1L_EUlS1K_E_NS1_11comp_targetILNS1_3genE0ELNS1_11target_archE4294967295ELNS1_3gpuE0ELNS1_3repE0EEENS1_30default_config_static_selectorELNS0_4arch9wavefront6targetE0EEEvSY_: ; @_ZN7rocprim17ROCPRIM_400000_NS6detail17trampoline_kernelINS0_13select_configILj256ELj13ELNS0_17block_load_methodE3ELS4_3ELS4_3ELNS0_20block_scan_algorithmE0ELj4294967295EEENS1_25partition_config_selectorILNS1_17partition_subalgoE3EjNS0_10empty_typeEbEEZZNS1_14partition_implILS8_3ELb0ES6_jNS0_17counting_iteratorIjlEEPS9_SE_NS0_5tupleIJPjSE_EEENSF_IJSE_SE_EEES9_SG_JZNS1_25segmented_radix_sort_implINS0_14default_configELb1EPKhPhPKlPlN2at6native12_GLOBAL__N_18offset_tEEE10hipError_tPvRmT1_PNSt15iterator_traitsISY_E10value_typeET2_T3_PNSZ_IS14_E10value_typeET4_jRbjT5_S1A_jjP12ihipStream_tbEUljE_EEESV_SW_SX_S14_S18_S1A_T6_T7_T9_mT8_S1C_bDpT10_ENKUlT_T0_E_clISt17integral_constantIbLb0EES1O_IbLb1EEEEDaS1K_S1L_EUlS1K_E_NS1_11comp_targetILNS1_3genE0ELNS1_11target_archE4294967295ELNS1_3gpuE0ELNS1_3repE0EEENS1_30default_config_static_selectorELNS0_4arch9wavefront6targetE0EEEvSY_
; %bb.0:
	.section	.rodata,"a",@progbits
	.p2align	6, 0x0
	.amdhsa_kernel _ZN7rocprim17ROCPRIM_400000_NS6detail17trampoline_kernelINS0_13select_configILj256ELj13ELNS0_17block_load_methodE3ELS4_3ELS4_3ELNS0_20block_scan_algorithmE0ELj4294967295EEENS1_25partition_config_selectorILNS1_17partition_subalgoE3EjNS0_10empty_typeEbEEZZNS1_14partition_implILS8_3ELb0ES6_jNS0_17counting_iteratorIjlEEPS9_SE_NS0_5tupleIJPjSE_EEENSF_IJSE_SE_EEES9_SG_JZNS1_25segmented_radix_sort_implINS0_14default_configELb1EPKhPhPKlPlN2at6native12_GLOBAL__N_18offset_tEEE10hipError_tPvRmT1_PNSt15iterator_traitsISY_E10value_typeET2_T3_PNSZ_IS14_E10value_typeET4_jRbjT5_S1A_jjP12ihipStream_tbEUljE_EEESV_SW_SX_S14_S18_S1A_T6_T7_T9_mT8_S1C_bDpT10_ENKUlT_T0_E_clISt17integral_constantIbLb0EES1O_IbLb1EEEEDaS1K_S1L_EUlS1K_E_NS1_11comp_targetILNS1_3genE0ELNS1_11target_archE4294967295ELNS1_3gpuE0ELNS1_3repE0EEENS1_30default_config_static_selectorELNS0_4arch9wavefront6targetE0EEEvSY_
		.amdhsa_group_segment_fixed_size 0
		.amdhsa_private_segment_fixed_size 0
		.amdhsa_kernarg_size 152
		.amdhsa_user_sgpr_count 15
		.amdhsa_user_sgpr_dispatch_ptr 0
		.amdhsa_user_sgpr_queue_ptr 0
		.amdhsa_user_sgpr_kernarg_segment_ptr 1
		.amdhsa_user_sgpr_dispatch_id 0
		.amdhsa_user_sgpr_private_segment_size 0
		.amdhsa_wavefront_size32 1
		.amdhsa_uses_dynamic_stack 0
		.amdhsa_enable_private_segment 0
		.amdhsa_system_sgpr_workgroup_id_x 1
		.amdhsa_system_sgpr_workgroup_id_y 0
		.amdhsa_system_sgpr_workgroup_id_z 0
		.amdhsa_system_sgpr_workgroup_info 0
		.amdhsa_system_vgpr_workitem_id 0
		.amdhsa_next_free_vgpr 1
		.amdhsa_next_free_sgpr 1
		.amdhsa_reserve_vcc 0
		.amdhsa_float_round_mode_32 0
		.amdhsa_float_round_mode_16_64 0
		.amdhsa_float_denorm_mode_32 3
		.amdhsa_float_denorm_mode_16_64 3
		.amdhsa_dx10_clamp 1
		.amdhsa_ieee_mode 1
		.amdhsa_fp16_overflow 0
		.amdhsa_workgroup_processor_mode 1
		.amdhsa_memory_ordered 1
		.amdhsa_forward_progress 0
		.amdhsa_shared_vgpr_count 0
		.amdhsa_exception_fp_ieee_invalid_op 0
		.amdhsa_exception_fp_denorm_src 0
		.amdhsa_exception_fp_ieee_div_zero 0
		.amdhsa_exception_fp_ieee_overflow 0
		.amdhsa_exception_fp_ieee_underflow 0
		.amdhsa_exception_fp_ieee_inexact 0
		.amdhsa_exception_int_div_zero 0
	.end_amdhsa_kernel
	.section	.text._ZN7rocprim17ROCPRIM_400000_NS6detail17trampoline_kernelINS0_13select_configILj256ELj13ELNS0_17block_load_methodE3ELS4_3ELS4_3ELNS0_20block_scan_algorithmE0ELj4294967295EEENS1_25partition_config_selectorILNS1_17partition_subalgoE3EjNS0_10empty_typeEbEEZZNS1_14partition_implILS8_3ELb0ES6_jNS0_17counting_iteratorIjlEEPS9_SE_NS0_5tupleIJPjSE_EEENSF_IJSE_SE_EEES9_SG_JZNS1_25segmented_radix_sort_implINS0_14default_configELb1EPKhPhPKlPlN2at6native12_GLOBAL__N_18offset_tEEE10hipError_tPvRmT1_PNSt15iterator_traitsISY_E10value_typeET2_T3_PNSZ_IS14_E10value_typeET4_jRbjT5_S1A_jjP12ihipStream_tbEUljE_EEESV_SW_SX_S14_S18_S1A_T6_T7_T9_mT8_S1C_bDpT10_ENKUlT_T0_E_clISt17integral_constantIbLb0EES1O_IbLb1EEEEDaS1K_S1L_EUlS1K_E_NS1_11comp_targetILNS1_3genE0ELNS1_11target_archE4294967295ELNS1_3gpuE0ELNS1_3repE0EEENS1_30default_config_static_selectorELNS0_4arch9wavefront6targetE0EEEvSY_,"axG",@progbits,_ZN7rocprim17ROCPRIM_400000_NS6detail17trampoline_kernelINS0_13select_configILj256ELj13ELNS0_17block_load_methodE3ELS4_3ELS4_3ELNS0_20block_scan_algorithmE0ELj4294967295EEENS1_25partition_config_selectorILNS1_17partition_subalgoE3EjNS0_10empty_typeEbEEZZNS1_14partition_implILS8_3ELb0ES6_jNS0_17counting_iteratorIjlEEPS9_SE_NS0_5tupleIJPjSE_EEENSF_IJSE_SE_EEES9_SG_JZNS1_25segmented_radix_sort_implINS0_14default_configELb1EPKhPhPKlPlN2at6native12_GLOBAL__N_18offset_tEEE10hipError_tPvRmT1_PNSt15iterator_traitsISY_E10value_typeET2_T3_PNSZ_IS14_E10value_typeET4_jRbjT5_S1A_jjP12ihipStream_tbEUljE_EEESV_SW_SX_S14_S18_S1A_T6_T7_T9_mT8_S1C_bDpT10_ENKUlT_T0_E_clISt17integral_constantIbLb0EES1O_IbLb1EEEEDaS1K_S1L_EUlS1K_E_NS1_11comp_targetILNS1_3genE0ELNS1_11target_archE4294967295ELNS1_3gpuE0ELNS1_3repE0EEENS1_30default_config_static_selectorELNS0_4arch9wavefront6targetE0EEEvSY_,comdat
.Lfunc_end75:
	.size	_ZN7rocprim17ROCPRIM_400000_NS6detail17trampoline_kernelINS0_13select_configILj256ELj13ELNS0_17block_load_methodE3ELS4_3ELS4_3ELNS0_20block_scan_algorithmE0ELj4294967295EEENS1_25partition_config_selectorILNS1_17partition_subalgoE3EjNS0_10empty_typeEbEEZZNS1_14partition_implILS8_3ELb0ES6_jNS0_17counting_iteratorIjlEEPS9_SE_NS0_5tupleIJPjSE_EEENSF_IJSE_SE_EEES9_SG_JZNS1_25segmented_radix_sort_implINS0_14default_configELb1EPKhPhPKlPlN2at6native12_GLOBAL__N_18offset_tEEE10hipError_tPvRmT1_PNSt15iterator_traitsISY_E10value_typeET2_T3_PNSZ_IS14_E10value_typeET4_jRbjT5_S1A_jjP12ihipStream_tbEUljE_EEESV_SW_SX_S14_S18_S1A_T6_T7_T9_mT8_S1C_bDpT10_ENKUlT_T0_E_clISt17integral_constantIbLb0EES1O_IbLb1EEEEDaS1K_S1L_EUlS1K_E_NS1_11comp_targetILNS1_3genE0ELNS1_11target_archE4294967295ELNS1_3gpuE0ELNS1_3repE0EEENS1_30default_config_static_selectorELNS0_4arch9wavefront6targetE0EEEvSY_, .Lfunc_end75-_ZN7rocprim17ROCPRIM_400000_NS6detail17trampoline_kernelINS0_13select_configILj256ELj13ELNS0_17block_load_methodE3ELS4_3ELS4_3ELNS0_20block_scan_algorithmE0ELj4294967295EEENS1_25partition_config_selectorILNS1_17partition_subalgoE3EjNS0_10empty_typeEbEEZZNS1_14partition_implILS8_3ELb0ES6_jNS0_17counting_iteratorIjlEEPS9_SE_NS0_5tupleIJPjSE_EEENSF_IJSE_SE_EEES9_SG_JZNS1_25segmented_radix_sort_implINS0_14default_configELb1EPKhPhPKlPlN2at6native12_GLOBAL__N_18offset_tEEE10hipError_tPvRmT1_PNSt15iterator_traitsISY_E10value_typeET2_T3_PNSZ_IS14_E10value_typeET4_jRbjT5_S1A_jjP12ihipStream_tbEUljE_EEESV_SW_SX_S14_S18_S1A_T6_T7_T9_mT8_S1C_bDpT10_ENKUlT_T0_E_clISt17integral_constantIbLb0EES1O_IbLb1EEEEDaS1K_S1L_EUlS1K_E_NS1_11comp_targetILNS1_3genE0ELNS1_11target_archE4294967295ELNS1_3gpuE0ELNS1_3repE0EEENS1_30default_config_static_selectorELNS0_4arch9wavefront6targetE0EEEvSY_
                                        ; -- End function
	.section	.AMDGPU.csdata,"",@progbits
; Kernel info:
; codeLenInByte = 0
; NumSgprs: 0
; NumVgprs: 0
; ScratchSize: 0
; MemoryBound: 0
; FloatMode: 240
; IeeeMode: 1
; LDSByteSize: 0 bytes/workgroup (compile time only)
; SGPRBlocks: 0
; VGPRBlocks: 0
; NumSGPRsForWavesPerEU: 1
; NumVGPRsForWavesPerEU: 1
; Occupancy: 16
; WaveLimiterHint : 0
; COMPUTE_PGM_RSRC2:SCRATCH_EN: 0
; COMPUTE_PGM_RSRC2:USER_SGPR: 15
; COMPUTE_PGM_RSRC2:TRAP_HANDLER: 0
; COMPUTE_PGM_RSRC2:TGID_X_EN: 1
; COMPUTE_PGM_RSRC2:TGID_Y_EN: 0
; COMPUTE_PGM_RSRC2:TGID_Z_EN: 0
; COMPUTE_PGM_RSRC2:TIDIG_COMP_CNT: 0
	.section	.text._ZN7rocprim17ROCPRIM_400000_NS6detail17trampoline_kernelINS0_13select_configILj256ELj13ELNS0_17block_load_methodE3ELS4_3ELS4_3ELNS0_20block_scan_algorithmE0ELj4294967295EEENS1_25partition_config_selectorILNS1_17partition_subalgoE3EjNS0_10empty_typeEbEEZZNS1_14partition_implILS8_3ELb0ES6_jNS0_17counting_iteratorIjlEEPS9_SE_NS0_5tupleIJPjSE_EEENSF_IJSE_SE_EEES9_SG_JZNS1_25segmented_radix_sort_implINS0_14default_configELb1EPKhPhPKlPlN2at6native12_GLOBAL__N_18offset_tEEE10hipError_tPvRmT1_PNSt15iterator_traitsISY_E10value_typeET2_T3_PNSZ_IS14_E10value_typeET4_jRbjT5_S1A_jjP12ihipStream_tbEUljE_EEESV_SW_SX_S14_S18_S1A_T6_T7_T9_mT8_S1C_bDpT10_ENKUlT_T0_E_clISt17integral_constantIbLb0EES1O_IbLb1EEEEDaS1K_S1L_EUlS1K_E_NS1_11comp_targetILNS1_3genE5ELNS1_11target_archE942ELNS1_3gpuE9ELNS1_3repE0EEENS1_30default_config_static_selectorELNS0_4arch9wavefront6targetE0EEEvSY_,"axG",@progbits,_ZN7rocprim17ROCPRIM_400000_NS6detail17trampoline_kernelINS0_13select_configILj256ELj13ELNS0_17block_load_methodE3ELS4_3ELS4_3ELNS0_20block_scan_algorithmE0ELj4294967295EEENS1_25partition_config_selectorILNS1_17partition_subalgoE3EjNS0_10empty_typeEbEEZZNS1_14partition_implILS8_3ELb0ES6_jNS0_17counting_iteratorIjlEEPS9_SE_NS0_5tupleIJPjSE_EEENSF_IJSE_SE_EEES9_SG_JZNS1_25segmented_radix_sort_implINS0_14default_configELb1EPKhPhPKlPlN2at6native12_GLOBAL__N_18offset_tEEE10hipError_tPvRmT1_PNSt15iterator_traitsISY_E10value_typeET2_T3_PNSZ_IS14_E10value_typeET4_jRbjT5_S1A_jjP12ihipStream_tbEUljE_EEESV_SW_SX_S14_S18_S1A_T6_T7_T9_mT8_S1C_bDpT10_ENKUlT_T0_E_clISt17integral_constantIbLb0EES1O_IbLb1EEEEDaS1K_S1L_EUlS1K_E_NS1_11comp_targetILNS1_3genE5ELNS1_11target_archE942ELNS1_3gpuE9ELNS1_3repE0EEENS1_30default_config_static_selectorELNS0_4arch9wavefront6targetE0EEEvSY_,comdat
	.globl	_ZN7rocprim17ROCPRIM_400000_NS6detail17trampoline_kernelINS0_13select_configILj256ELj13ELNS0_17block_load_methodE3ELS4_3ELS4_3ELNS0_20block_scan_algorithmE0ELj4294967295EEENS1_25partition_config_selectorILNS1_17partition_subalgoE3EjNS0_10empty_typeEbEEZZNS1_14partition_implILS8_3ELb0ES6_jNS0_17counting_iteratorIjlEEPS9_SE_NS0_5tupleIJPjSE_EEENSF_IJSE_SE_EEES9_SG_JZNS1_25segmented_radix_sort_implINS0_14default_configELb1EPKhPhPKlPlN2at6native12_GLOBAL__N_18offset_tEEE10hipError_tPvRmT1_PNSt15iterator_traitsISY_E10value_typeET2_T3_PNSZ_IS14_E10value_typeET4_jRbjT5_S1A_jjP12ihipStream_tbEUljE_EEESV_SW_SX_S14_S18_S1A_T6_T7_T9_mT8_S1C_bDpT10_ENKUlT_T0_E_clISt17integral_constantIbLb0EES1O_IbLb1EEEEDaS1K_S1L_EUlS1K_E_NS1_11comp_targetILNS1_3genE5ELNS1_11target_archE942ELNS1_3gpuE9ELNS1_3repE0EEENS1_30default_config_static_selectorELNS0_4arch9wavefront6targetE0EEEvSY_ ; -- Begin function _ZN7rocprim17ROCPRIM_400000_NS6detail17trampoline_kernelINS0_13select_configILj256ELj13ELNS0_17block_load_methodE3ELS4_3ELS4_3ELNS0_20block_scan_algorithmE0ELj4294967295EEENS1_25partition_config_selectorILNS1_17partition_subalgoE3EjNS0_10empty_typeEbEEZZNS1_14partition_implILS8_3ELb0ES6_jNS0_17counting_iteratorIjlEEPS9_SE_NS0_5tupleIJPjSE_EEENSF_IJSE_SE_EEES9_SG_JZNS1_25segmented_radix_sort_implINS0_14default_configELb1EPKhPhPKlPlN2at6native12_GLOBAL__N_18offset_tEEE10hipError_tPvRmT1_PNSt15iterator_traitsISY_E10value_typeET2_T3_PNSZ_IS14_E10value_typeET4_jRbjT5_S1A_jjP12ihipStream_tbEUljE_EEESV_SW_SX_S14_S18_S1A_T6_T7_T9_mT8_S1C_bDpT10_ENKUlT_T0_E_clISt17integral_constantIbLb0EES1O_IbLb1EEEEDaS1K_S1L_EUlS1K_E_NS1_11comp_targetILNS1_3genE5ELNS1_11target_archE942ELNS1_3gpuE9ELNS1_3repE0EEENS1_30default_config_static_selectorELNS0_4arch9wavefront6targetE0EEEvSY_
	.p2align	8
	.type	_ZN7rocprim17ROCPRIM_400000_NS6detail17trampoline_kernelINS0_13select_configILj256ELj13ELNS0_17block_load_methodE3ELS4_3ELS4_3ELNS0_20block_scan_algorithmE0ELj4294967295EEENS1_25partition_config_selectorILNS1_17partition_subalgoE3EjNS0_10empty_typeEbEEZZNS1_14partition_implILS8_3ELb0ES6_jNS0_17counting_iteratorIjlEEPS9_SE_NS0_5tupleIJPjSE_EEENSF_IJSE_SE_EEES9_SG_JZNS1_25segmented_radix_sort_implINS0_14default_configELb1EPKhPhPKlPlN2at6native12_GLOBAL__N_18offset_tEEE10hipError_tPvRmT1_PNSt15iterator_traitsISY_E10value_typeET2_T3_PNSZ_IS14_E10value_typeET4_jRbjT5_S1A_jjP12ihipStream_tbEUljE_EEESV_SW_SX_S14_S18_S1A_T6_T7_T9_mT8_S1C_bDpT10_ENKUlT_T0_E_clISt17integral_constantIbLb0EES1O_IbLb1EEEEDaS1K_S1L_EUlS1K_E_NS1_11comp_targetILNS1_3genE5ELNS1_11target_archE942ELNS1_3gpuE9ELNS1_3repE0EEENS1_30default_config_static_selectorELNS0_4arch9wavefront6targetE0EEEvSY_,@function
_ZN7rocprim17ROCPRIM_400000_NS6detail17trampoline_kernelINS0_13select_configILj256ELj13ELNS0_17block_load_methodE3ELS4_3ELS4_3ELNS0_20block_scan_algorithmE0ELj4294967295EEENS1_25partition_config_selectorILNS1_17partition_subalgoE3EjNS0_10empty_typeEbEEZZNS1_14partition_implILS8_3ELb0ES6_jNS0_17counting_iteratorIjlEEPS9_SE_NS0_5tupleIJPjSE_EEENSF_IJSE_SE_EEES9_SG_JZNS1_25segmented_radix_sort_implINS0_14default_configELb1EPKhPhPKlPlN2at6native12_GLOBAL__N_18offset_tEEE10hipError_tPvRmT1_PNSt15iterator_traitsISY_E10value_typeET2_T3_PNSZ_IS14_E10value_typeET4_jRbjT5_S1A_jjP12ihipStream_tbEUljE_EEESV_SW_SX_S14_S18_S1A_T6_T7_T9_mT8_S1C_bDpT10_ENKUlT_T0_E_clISt17integral_constantIbLb0EES1O_IbLb1EEEEDaS1K_S1L_EUlS1K_E_NS1_11comp_targetILNS1_3genE5ELNS1_11target_archE942ELNS1_3gpuE9ELNS1_3repE0EEENS1_30default_config_static_selectorELNS0_4arch9wavefront6targetE0EEEvSY_: ; @_ZN7rocprim17ROCPRIM_400000_NS6detail17trampoline_kernelINS0_13select_configILj256ELj13ELNS0_17block_load_methodE3ELS4_3ELS4_3ELNS0_20block_scan_algorithmE0ELj4294967295EEENS1_25partition_config_selectorILNS1_17partition_subalgoE3EjNS0_10empty_typeEbEEZZNS1_14partition_implILS8_3ELb0ES6_jNS0_17counting_iteratorIjlEEPS9_SE_NS0_5tupleIJPjSE_EEENSF_IJSE_SE_EEES9_SG_JZNS1_25segmented_radix_sort_implINS0_14default_configELb1EPKhPhPKlPlN2at6native12_GLOBAL__N_18offset_tEEE10hipError_tPvRmT1_PNSt15iterator_traitsISY_E10value_typeET2_T3_PNSZ_IS14_E10value_typeET4_jRbjT5_S1A_jjP12ihipStream_tbEUljE_EEESV_SW_SX_S14_S18_S1A_T6_T7_T9_mT8_S1C_bDpT10_ENKUlT_T0_E_clISt17integral_constantIbLb0EES1O_IbLb1EEEEDaS1K_S1L_EUlS1K_E_NS1_11comp_targetILNS1_3genE5ELNS1_11target_archE942ELNS1_3gpuE9ELNS1_3repE0EEENS1_30default_config_static_selectorELNS0_4arch9wavefront6targetE0EEEvSY_
; %bb.0:
	.section	.rodata,"a",@progbits
	.p2align	6, 0x0
	.amdhsa_kernel _ZN7rocprim17ROCPRIM_400000_NS6detail17trampoline_kernelINS0_13select_configILj256ELj13ELNS0_17block_load_methodE3ELS4_3ELS4_3ELNS0_20block_scan_algorithmE0ELj4294967295EEENS1_25partition_config_selectorILNS1_17partition_subalgoE3EjNS0_10empty_typeEbEEZZNS1_14partition_implILS8_3ELb0ES6_jNS0_17counting_iteratorIjlEEPS9_SE_NS0_5tupleIJPjSE_EEENSF_IJSE_SE_EEES9_SG_JZNS1_25segmented_radix_sort_implINS0_14default_configELb1EPKhPhPKlPlN2at6native12_GLOBAL__N_18offset_tEEE10hipError_tPvRmT1_PNSt15iterator_traitsISY_E10value_typeET2_T3_PNSZ_IS14_E10value_typeET4_jRbjT5_S1A_jjP12ihipStream_tbEUljE_EEESV_SW_SX_S14_S18_S1A_T6_T7_T9_mT8_S1C_bDpT10_ENKUlT_T0_E_clISt17integral_constantIbLb0EES1O_IbLb1EEEEDaS1K_S1L_EUlS1K_E_NS1_11comp_targetILNS1_3genE5ELNS1_11target_archE942ELNS1_3gpuE9ELNS1_3repE0EEENS1_30default_config_static_selectorELNS0_4arch9wavefront6targetE0EEEvSY_
		.amdhsa_group_segment_fixed_size 0
		.amdhsa_private_segment_fixed_size 0
		.amdhsa_kernarg_size 152
		.amdhsa_user_sgpr_count 15
		.amdhsa_user_sgpr_dispatch_ptr 0
		.amdhsa_user_sgpr_queue_ptr 0
		.amdhsa_user_sgpr_kernarg_segment_ptr 1
		.amdhsa_user_sgpr_dispatch_id 0
		.amdhsa_user_sgpr_private_segment_size 0
		.amdhsa_wavefront_size32 1
		.amdhsa_uses_dynamic_stack 0
		.amdhsa_enable_private_segment 0
		.amdhsa_system_sgpr_workgroup_id_x 1
		.amdhsa_system_sgpr_workgroup_id_y 0
		.amdhsa_system_sgpr_workgroup_id_z 0
		.amdhsa_system_sgpr_workgroup_info 0
		.amdhsa_system_vgpr_workitem_id 0
		.amdhsa_next_free_vgpr 1
		.amdhsa_next_free_sgpr 1
		.amdhsa_reserve_vcc 0
		.amdhsa_float_round_mode_32 0
		.amdhsa_float_round_mode_16_64 0
		.amdhsa_float_denorm_mode_32 3
		.amdhsa_float_denorm_mode_16_64 3
		.amdhsa_dx10_clamp 1
		.amdhsa_ieee_mode 1
		.amdhsa_fp16_overflow 0
		.amdhsa_workgroup_processor_mode 1
		.amdhsa_memory_ordered 1
		.amdhsa_forward_progress 0
		.amdhsa_shared_vgpr_count 0
		.amdhsa_exception_fp_ieee_invalid_op 0
		.amdhsa_exception_fp_denorm_src 0
		.amdhsa_exception_fp_ieee_div_zero 0
		.amdhsa_exception_fp_ieee_overflow 0
		.amdhsa_exception_fp_ieee_underflow 0
		.amdhsa_exception_fp_ieee_inexact 0
		.amdhsa_exception_int_div_zero 0
	.end_amdhsa_kernel
	.section	.text._ZN7rocprim17ROCPRIM_400000_NS6detail17trampoline_kernelINS0_13select_configILj256ELj13ELNS0_17block_load_methodE3ELS4_3ELS4_3ELNS0_20block_scan_algorithmE0ELj4294967295EEENS1_25partition_config_selectorILNS1_17partition_subalgoE3EjNS0_10empty_typeEbEEZZNS1_14partition_implILS8_3ELb0ES6_jNS0_17counting_iteratorIjlEEPS9_SE_NS0_5tupleIJPjSE_EEENSF_IJSE_SE_EEES9_SG_JZNS1_25segmented_radix_sort_implINS0_14default_configELb1EPKhPhPKlPlN2at6native12_GLOBAL__N_18offset_tEEE10hipError_tPvRmT1_PNSt15iterator_traitsISY_E10value_typeET2_T3_PNSZ_IS14_E10value_typeET4_jRbjT5_S1A_jjP12ihipStream_tbEUljE_EEESV_SW_SX_S14_S18_S1A_T6_T7_T9_mT8_S1C_bDpT10_ENKUlT_T0_E_clISt17integral_constantIbLb0EES1O_IbLb1EEEEDaS1K_S1L_EUlS1K_E_NS1_11comp_targetILNS1_3genE5ELNS1_11target_archE942ELNS1_3gpuE9ELNS1_3repE0EEENS1_30default_config_static_selectorELNS0_4arch9wavefront6targetE0EEEvSY_,"axG",@progbits,_ZN7rocprim17ROCPRIM_400000_NS6detail17trampoline_kernelINS0_13select_configILj256ELj13ELNS0_17block_load_methodE3ELS4_3ELS4_3ELNS0_20block_scan_algorithmE0ELj4294967295EEENS1_25partition_config_selectorILNS1_17partition_subalgoE3EjNS0_10empty_typeEbEEZZNS1_14partition_implILS8_3ELb0ES6_jNS0_17counting_iteratorIjlEEPS9_SE_NS0_5tupleIJPjSE_EEENSF_IJSE_SE_EEES9_SG_JZNS1_25segmented_radix_sort_implINS0_14default_configELb1EPKhPhPKlPlN2at6native12_GLOBAL__N_18offset_tEEE10hipError_tPvRmT1_PNSt15iterator_traitsISY_E10value_typeET2_T3_PNSZ_IS14_E10value_typeET4_jRbjT5_S1A_jjP12ihipStream_tbEUljE_EEESV_SW_SX_S14_S18_S1A_T6_T7_T9_mT8_S1C_bDpT10_ENKUlT_T0_E_clISt17integral_constantIbLb0EES1O_IbLb1EEEEDaS1K_S1L_EUlS1K_E_NS1_11comp_targetILNS1_3genE5ELNS1_11target_archE942ELNS1_3gpuE9ELNS1_3repE0EEENS1_30default_config_static_selectorELNS0_4arch9wavefront6targetE0EEEvSY_,comdat
.Lfunc_end76:
	.size	_ZN7rocprim17ROCPRIM_400000_NS6detail17trampoline_kernelINS0_13select_configILj256ELj13ELNS0_17block_load_methodE3ELS4_3ELS4_3ELNS0_20block_scan_algorithmE0ELj4294967295EEENS1_25partition_config_selectorILNS1_17partition_subalgoE3EjNS0_10empty_typeEbEEZZNS1_14partition_implILS8_3ELb0ES6_jNS0_17counting_iteratorIjlEEPS9_SE_NS0_5tupleIJPjSE_EEENSF_IJSE_SE_EEES9_SG_JZNS1_25segmented_radix_sort_implINS0_14default_configELb1EPKhPhPKlPlN2at6native12_GLOBAL__N_18offset_tEEE10hipError_tPvRmT1_PNSt15iterator_traitsISY_E10value_typeET2_T3_PNSZ_IS14_E10value_typeET4_jRbjT5_S1A_jjP12ihipStream_tbEUljE_EEESV_SW_SX_S14_S18_S1A_T6_T7_T9_mT8_S1C_bDpT10_ENKUlT_T0_E_clISt17integral_constantIbLb0EES1O_IbLb1EEEEDaS1K_S1L_EUlS1K_E_NS1_11comp_targetILNS1_3genE5ELNS1_11target_archE942ELNS1_3gpuE9ELNS1_3repE0EEENS1_30default_config_static_selectorELNS0_4arch9wavefront6targetE0EEEvSY_, .Lfunc_end76-_ZN7rocprim17ROCPRIM_400000_NS6detail17trampoline_kernelINS0_13select_configILj256ELj13ELNS0_17block_load_methodE3ELS4_3ELS4_3ELNS0_20block_scan_algorithmE0ELj4294967295EEENS1_25partition_config_selectorILNS1_17partition_subalgoE3EjNS0_10empty_typeEbEEZZNS1_14partition_implILS8_3ELb0ES6_jNS0_17counting_iteratorIjlEEPS9_SE_NS0_5tupleIJPjSE_EEENSF_IJSE_SE_EEES9_SG_JZNS1_25segmented_radix_sort_implINS0_14default_configELb1EPKhPhPKlPlN2at6native12_GLOBAL__N_18offset_tEEE10hipError_tPvRmT1_PNSt15iterator_traitsISY_E10value_typeET2_T3_PNSZ_IS14_E10value_typeET4_jRbjT5_S1A_jjP12ihipStream_tbEUljE_EEESV_SW_SX_S14_S18_S1A_T6_T7_T9_mT8_S1C_bDpT10_ENKUlT_T0_E_clISt17integral_constantIbLb0EES1O_IbLb1EEEEDaS1K_S1L_EUlS1K_E_NS1_11comp_targetILNS1_3genE5ELNS1_11target_archE942ELNS1_3gpuE9ELNS1_3repE0EEENS1_30default_config_static_selectorELNS0_4arch9wavefront6targetE0EEEvSY_
                                        ; -- End function
	.section	.AMDGPU.csdata,"",@progbits
; Kernel info:
; codeLenInByte = 0
; NumSgprs: 0
; NumVgprs: 0
; ScratchSize: 0
; MemoryBound: 0
; FloatMode: 240
; IeeeMode: 1
; LDSByteSize: 0 bytes/workgroup (compile time only)
; SGPRBlocks: 0
; VGPRBlocks: 0
; NumSGPRsForWavesPerEU: 1
; NumVGPRsForWavesPerEU: 1
; Occupancy: 16
; WaveLimiterHint : 0
; COMPUTE_PGM_RSRC2:SCRATCH_EN: 0
; COMPUTE_PGM_RSRC2:USER_SGPR: 15
; COMPUTE_PGM_RSRC2:TRAP_HANDLER: 0
; COMPUTE_PGM_RSRC2:TGID_X_EN: 1
; COMPUTE_PGM_RSRC2:TGID_Y_EN: 0
; COMPUTE_PGM_RSRC2:TGID_Z_EN: 0
; COMPUTE_PGM_RSRC2:TIDIG_COMP_CNT: 0
	.section	.text._ZN7rocprim17ROCPRIM_400000_NS6detail17trampoline_kernelINS0_13select_configILj256ELj13ELNS0_17block_load_methodE3ELS4_3ELS4_3ELNS0_20block_scan_algorithmE0ELj4294967295EEENS1_25partition_config_selectorILNS1_17partition_subalgoE3EjNS0_10empty_typeEbEEZZNS1_14partition_implILS8_3ELb0ES6_jNS0_17counting_iteratorIjlEEPS9_SE_NS0_5tupleIJPjSE_EEENSF_IJSE_SE_EEES9_SG_JZNS1_25segmented_radix_sort_implINS0_14default_configELb1EPKhPhPKlPlN2at6native12_GLOBAL__N_18offset_tEEE10hipError_tPvRmT1_PNSt15iterator_traitsISY_E10value_typeET2_T3_PNSZ_IS14_E10value_typeET4_jRbjT5_S1A_jjP12ihipStream_tbEUljE_EEESV_SW_SX_S14_S18_S1A_T6_T7_T9_mT8_S1C_bDpT10_ENKUlT_T0_E_clISt17integral_constantIbLb0EES1O_IbLb1EEEEDaS1K_S1L_EUlS1K_E_NS1_11comp_targetILNS1_3genE4ELNS1_11target_archE910ELNS1_3gpuE8ELNS1_3repE0EEENS1_30default_config_static_selectorELNS0_4arch9wavefront6targetE0EEEvSY_,"axG",@progbits,_ZN7rocprim17ROCPRIM_400000_NS6detail17trampoline_kernelINS0_13select_configILj256ELj13ELNS0_17block_load_methodE3ELS4_3ELS4_3ELNS0_20block_scan_algorithmE0ELj4294967295EEENS1_25partition_config_selectorILNS1_17partition_subalgoE3EjNS0_10empty_typeEbEEZZNS1_14partition_implILS8_3ELb0ES6_jNS0_17counting_iteratorIjlEEPS9_SE_NS0_5tupleIJPjSE_EEENSF_IJSE_SE_EEES9_SG_JZNS1_25segmented_radix_sort_implINS0_14default_configELb1EPKhPhPKlPlN2at6native12_GLOBAL__N_18offset_tEEE10hipError_tPvRmT1_PNSt15iterator_traitsISY_E10value_typeET2_T3_PNSZ_IS14_E10value_typeET4_jRbjT5_S1A_jjP12ihipStream_tbEUljE_EEESV_SW_SX_S14_S18_S1A_T6_T7_T9_mT8_S1C_bDpT10_ENKUlT_T0_E_clISt17integral_constantIbLb0EES1O_IbLb1EEEEDaS1K_S1L_EUlS1K_E_NS1_11comp_targetILNS1_3genE4ELNS1_11target_archE910ELNS1_3gpuE8ELNS1_3repE0EEENS1_30default_config_static_selectorELNS0_4arch9wavefront6targetE0EEEvSY_,comdat
	.globl	_ZN7rocprim17ROCPRIM_400000_NS6detail17trampoline_kernelINS0_13select_configILj256ELj13ELNS0_17block_load_methodE3ELS4_3ELS4_3ELNS0_20block_scan_algorithmE0ELj4294967295EEENS1_25partition_config_selectorILNS1_17partition_subalgoE3EjNS0_10empty_typeEbEEZZNS1_14partition_implILS8_3ELb0ES6_jNS0_17counting_iteratorIjlEEPS9_SE_NS0_5tupleIJPjSE_EEENSF_IJSE_SE_EEES9_SG_JZNS1_25segmented_radix_sort_implINS0_14default_configELb1EPKhPhPKlPlN2at6native12_GLOBAL__N_18offset_tEEE10hipError_tPvRmT1_PNSt15iterator_traitsISY_E10value_typeET2_T3_PNSZ_IS14_E10value_typeET4_jRbjT5_S1A_jjP12ihipStream_tbEUljE_EEESV_SW_SX_S14_S18_S1A_T6_T7_T9_mT8_S1C_bDpT10_ENKUlT_T0_E_clISt17integral_constantIbLb0EES1O_IbLb1EEEEDaS1K_S1L_EUlS1K_E_NS1_11comp_targetILNS1_3genE4ELNS1_11target_archE910ELNS1_3gpuE8ELNS1_3repE0EEENS1_30default_config_static_selectorELNS0_4arch9wavefront6targetE0EEEvSY_ ; -- Begin function _ZN7rocprim17ROCPRIM_400000_NS6detail17trampoline_kernelINS0_13select_configILj256ELj13ELNS0_17block_load_methodE3ELS4_3ELS4_3ELNS0_20block_scan_algorithmE0ELj4294967295EEENS1_25partition_config_selectorILNS1_17partition_subalgoE3EjNS0_10empty_typeEbEEZZNS1_14partition_implILS8_3ELb0ES6_jNS0_17counting_iteratorIjlEEPS9_SE_NS0_5tupleIJPjSE_EEENSF_IJSE_SE_EEES9_SG_JZNS1_25segmented_radix_sort_implINS0_14default_configELb1EPKhPhPKlPlN2at6native12_GLOBAL__N_18offset_tEEE10hipError_tPvRmT1_PNSt15iterator_traitsISY_E10value_typeET2_T3_PNSZ_IS14_E10value_typeET4_jRbjT5_S1A_jjP12ihipStream_tbEUljE_EEESV_SW_SX_S14_S18_S1A_T6_T7_T9_mT8_S1C_bDpT10_ENKUlT_T0_E_clISt17integral_constantIbLb0EES1O_IbLb1EEEEDaS1K_S1L_EUlS1K_E_NS1_11comp_targetILNS1_3genE4ELNS1_11target_archE910ELNS1_3gpuE8ELNS1_3repE0EEENS1_30default_config_static_selectorELNS0_4arch9wavefront6targetE0EEEvSY_
	.p2align	8
	.type	_ZN7rocprim17ROCPRIM_400000_NS6detail17trampoline_kernelINS0_13select_configILj256ELj13ELNS0_17block_load_methodE3ELS4_3ELS4_3ELNS0_20block_scan_algorithmE0ELj4294967295EEENS1_25partition_config_selectorILNS1_17partition_subalgoE3EjNS0_10empty_typeEbEEZZNS1_14partition_implILS8_3ELb0ES6_jNS0_17counting_iteratorIjlEEPS9_SE_NS0_5tupleIJPjSE_EEENSF_IJSE_SE_EEES9_SG_JZNS1_25segmented_radix_sort_implINS0_14default_configELb1EPKhPhPKlPlN2at6native12_GLOBAL__N_18offset_tEEE10hipError_tPvRmT1_PNSt15iterator_traitsISY_E10value_typeET2_T3_PNSZ_IS14_E10value_typeET4_jRbjT5_S1A_jjP12ihipStream_tbEUljE_EEESV_SW_SX_S14_S18_S1A_T6_T7_T9_mT8_S1C_bDpT10_ENKUlT_T0_E_clISt17integral_constantIbLb0EES1O_IbLb1EEEEDaS1K_S1L_EUlS1K_E_NS1_11comp_targetILNS1_3genE4ELNS1_11target_archE910ELNS1_3gpuE8ELNS1_3repE0EEENS1_30default_config_static_selectorELNS0_4arch9wavefront6targetE0EEEvSY_,@function
_ZN7rocprim17ROCPRIM_400000_NS6detail17trampoline_kernelINS0_13select_configILj256ELj13ELNS0_17block_load_methodE3ELS4_3ELS4_3ELNS0_20block_scan_algorithmE0ELj4294967295EEENS1_25partition_config_selectorILNS1_17partition_subalgoE3EjNS0_10empty_typeEbEEZZNS1_14partition_implILS8_3ELb0ES6_jNS0_17counting_iteratorIjlEEPS9_SE_NS0_5tupleIJPjSE_EEENSF_IJSE_SE_EEES9_SG_JZNS1_25segmented_radix_sort_implINS0_14default_configELb1EPKhPhPKlPlN2at6native12_GLOBAL__N_18offset_tEEE10hipError_tPvRmT1_PNSt15iterator_traitsISY_E10value_typeET2_T3_PNSZ_IS14_E10value_typeET4_jRbjT5_S1A_jjP12ihipStream_tbEUljE_EEESV_SW_SX_S14_S18_S1A_T6_T7_T9_mT8_S1C_bDpT10_ENKUlT_T0_E_clISt17integral_constantIbLb0EES1O_IbLb1EEEEDaS1K_S1L_EUlS1K_E_NS1_11comp_targetILNS1_3genE4ELNS1_11target_archE910ELNS1_3gpuE8ELNS1_3repE0EEENS1_30default_config_static_selectorELNS0_4arch9wavefront6targetE0EEEvSY_: ; @_ZN7rocprim17ROCPRIM_400000_NS6detail17trampoline_kernelINS0_13select_configILj256ELj13ELNS0_17block_load_methodE3ELS4_3ELS4_3ELNS0_20block_scan_algorithmE0ELj4294967295EEENS1_25partition_config_selectorILNS1_17partition_subalgoE3EjNS0_10empty_typeEbEEZZNS1_14partition_implILS8_3ELb0ES6_jNS0_17counting_iteratorIjlEEPS9_SE_NS0_5tupleIJPjSE_EEENSF_IJSE_SE_EEES9_SG_JZNS1_25segmented_radix_sort_implINS0_14default_configELb1EPKhPhPKlPlN2at6native12_GLOBAL__N_18offset_tEEE10hipError_tPvRmT1_PNSt15iterator_traitsISY_E10value_typeET2_T3_PNSZ_IS14_E10value_typeET4_jRbjT5_S1A_jjP12ihipStream_tbEUljE_EEESV_SW_SX_S14_S18_S1A_T6_T7_T9_mT8_S1C_bDpT10_ENKUlT_T0_E_clISt17integral_constantIbLb0EES1O_IbLb1EEEEDaS1K_S1L_EUlS1K_E_NS1_11comp_targetILNS1_3genE4ELNS1_11target_archE910ELNS1_3gpuE8ELNS1_3repE0EEENS1_30default_config_static_selectorELNS0_4arch9wavefront6targetE0EEEvSY_
; %bb.0:
	.section	.rodata,"a",@progbits
	.p2align	6, 0x0
	.amdhsa_kernel _ZN7rocprim17ROCPRIM_400000_NS6detail17trampoline_kernelINS0_13select_configILj256ELj13ELNS0_17block_load_methodE3ELS4_3ELS4_3ELNS0_20block_scan_algorithmE0ELj4294967295EEENS1_25partition_config_selectorILNS1_17partition_subalgoE3EjNS0_10empty_typeEbEEZZNS1_14partition_implILS8_3ELb0ES6_jNS0_17counting_iteratorIjlEEPS9_SE_NS0_5tupleIJPjSE_EEENSF_IJSE_SE_EEES9_SG_JZNS1_25segmented_radix_sort_implINS0_14default_configELb1EPKhPhPKlPlN2at6native12_GLOBAL__N_18offset_tEEE10hipError_tPvRmT1_PNSt15iterator_traitsISY_E10value_typeET2_T3_PNSZ_IS14_E10value_typeET4_jRbjT5_S1A_jjP12ihipStream_tbEUljE_EEESV_SW_SX_S14_S18_S1A_T6_T7_T9_mT8_S1C_bDpT10_ENKUlT_T0_E_clISt17integral_constantIbLb0EES1O_IbLb1EEEEDaS1K_S1L_EUlS1K_E_NS1_11comp_targetILNS1_3genE4ELNS1_11target_archE910ELNS1_3gpuE8ELNS1_3repE0EEENS1_30default_config_static_selectorELNS0_4arch9wavefront6targetE0EEEvSY_
		.amdhsa_group_segment_fixed_size 0
		.amdhsa_private_segment_fixed_size 0
		.amdhsa_kernarg_size 152
		.amdhsa_user_sgpr_count 15
		.amdhsa_user_sgpr_dispatch_ptr 0
		.amdhsa_user_sgpr_queue_ptr 0
		.amdhsa_user_sgpr_kernarg_segment_ptr 1
		.amdhsa_user_sgpr_dispatch_id 0
		.amdhsa_user_sgpr_private_segment_size 0
		.amdhsa_wavefront_size32 1
		.amdhsa_uses_dynamic_stack 0
		.amdhsa_enable_private_segment 0
		.amdhsa_system_sgpr_workgroup_id_x 1
		.amdhsa_system_sgpr_workgroup_id_y 0
		.amdhsa_system_sgpr_workgroup_id_z 0
		.amdhsa_system_sgpr_workgroup_info 0
		.amdhsa_system_vgpr_workitem_id 0
		.amdhsa_next_free_vgpr 1
		.amdhsa_next_free_sgpr 1
		.amdhsa_reserve_vcc 0
		.amdhsa_float_round_mode_32 0
		.amdhsa_float_round_mode_16_64 0
		.amdhsa_float_denorm_mode_32 3
		.amdhsa_float_denorm_mode_16_64 3
		.amdhsa_dx10_clamp 1
		.amdhsa_ieee_mode 1
		.amdhsa_fp16_overflow 0
		.amdhsa_workgroup_processor_mode 1
		.amdhsa_memory_ordered 1
		.amdhsa_forward_progress 0
		.amdhsa_shared_vgpr_count 0
		.amdhsa_exception_fp_ieee_invalid_op 0
		.amdhsa_exception_fp_denorm_src 0
		.amdhsa_exception_fp_ieee_div_zero 0
		.amdhsa_exception_fp_ieee_overflow 0
		.amdhsa_exception_fp_ieee_underflow 0
		.amdhsa_exception_fp_ieee_inexact 0
		.amdhsa_exception_int_div_zero 0
	.end_amdhsa_kernel
	.section	.text._ZN7rocprim17ROCPRIM_400000_NS6detail17trampoline_kernelINS0_13select_configILj256ELj13ELNS0_17block_load_methodE3ELS4_3ELS4_3ELNS0_20block_scan_algorithmE0ELj4294967295EEENS1_25partition_config_selectorILNS1_17partition_subalgoE3EjNS0_10empty_typeEbEEZZNS1_14partition_implILS8_3ELb0ES6_jNS0_17counting_iteratorIjlEEPS9_SE_NS0_5tupleIJPjSE_EEENSF_IJSE_SE_EEES9_SG_JZNS1_25segmented_radix_sort_implINS0_14default_configELb1EPKhPhPKlPlN2at6native12_GLOBAL__N_18offset_tEEE10hipError_tPvRmT1_PNSt15iterator_traitsISY_E10value_typeET2_T3_PNSZ_IS14_E10value_typeET4_jRbjT5_S1A_jjP12ihipStream_tbEUljE_EEESV_SW_SX_S14_S18_S1A_T6_T7_T9_mT8_S1C_bDpT10_ENKUlT_T0_E_clISt17integral_constantIbLb0EES1O_IbLb1EEEEDaS1K_S1L_EUlS1K_E_NS1_11comp_targetILNS1_3genE4ELNS1_11target_archE910ELNS1_3gpuE8ELNS1_3repE0EEENS1_30default_config_static_selectorELNS0_4arch9wavefront6targetE0EEEvSY_,"axG",@progbits,_ZN7rocprim17ROCPRIM_400000_NS6detail17trampoline_kernelINS0_13select_configILj256ELj13ELNS0_17block_load_methodE3ELS4_3ELS4_3ELNS0_20block_scan_algorithmE0ELj4294967295EEENS1_25partition_config_selectorILNS1_17partition_subalgoE3EjNS0_10empty_typeEbEEZZNS1_14partition_implILS8_3ELb0ES6_jNS0_17counting_iteratorIjlEEPS9_SE_NS0_5tupleIJPjSE_EEENSF_IJSE_SE_EEES9_SG_JZNS1_25segmented_radix_sort_implINS0_14default_configELb1EPKhPhPKlPlN2at6native12_GLOBAL__N_18offset_tEEE10hipError_tPvRmT1_PNSt15iterator_traitsISY_E10value_typeET2_T3_PNSZ_IS14_E10value_typeET4_jRbjT5_S1A_jjP12ihipStream_tbEUljE_EEESV_SW_SX_S14_S18_S1A_T6_T7_T9_mT8_S1C_bDpT10_ENKUlT_T0_E_clISt17integral_constantIbLb0EES1O_IbLb1EEEEDaS1K_S1L_EUlS1K_E_NS1_11comp_targetILNS1_3genE4ELNS1_11target_archE910ELNS1_3gpuE8ELNS1_3repE0EEENS1_30default_config_static_selectorELNS0_4arch9wavefront6targetE0EEEvSY_,comdat
.Lfunc_end77:
	.size	_ZN7rocprim17ROCPRIM_400000_NS6detail17trampoline_kernelINS0_13select_configILj256ELj13ELNS0_17block_load_methodE3ELS4_3ELS4_3ELNS0_20block_scan_algorithmE0ELj4294967295EEENS1_25partition_config_selectorILNS1_17partition_subalgoE3EjNS0_10empty_typeEbEEZZNS1_14partition_implILS8_3ELb0ES6_jNS0_17counting_iteratorIjlEEPS9_SE_NS0_5tupleIJPjSE_EEENSF_IJSE_SE_EEES9_SG_JZNS1_25segmented_radix_sort_implINS0_14default_configELb1EPKhPhPKlPlN2at6native12_GLOBAL__N_18offset_tEEE10hipError_tPvRmT1_PNSt15iterator_traitsISY_E10value_typeET2_T3_PNSZ_IS14_E10value_typeET4_jRbjT5_S1A_jjP12ihipStream_tbEUljE_EEESV_SW_SX_S14_S18_S1A_T6_T7_T9_mT8_S1C_bDpT10_ENKUlT_T0_E_clISt17integral_constantIbLb0EES1O_IbLb1EEEEDaS1K_S1L_EUlS1K_E_NS1_11comp_targetILNS1_3genE4ELNS1_11target_archE910ELNS1_3gpuE8ELNS1_3repE0EEENS1_30default_config_static_selectorELNS0_4arch9wavefront6targetE0EEEvSY_, .Lfunc_end77-_ZN7rocprim17ROCPRIM_400000_NS6detail17trampoline_kernelINS0_13select_configILj256ELj13ELNS0_17block_load_methodE3ELS4_3ELS4_3ELNS0_20block_scan_algorithmE0ELj4294967295EEENS1_25partition_config_selectorILNS1_17partition_subalgoE3EjNS0_10empty_typeEbEEZZNS1_14partition_implILS8_3ELb0ES6_jNS0_17counting_iteratorIjlEEPS9_SE_NS0_5tupleIJPjSE_EEENSF_IJSE_SE_EEES9_SG_JZNS1_25segmented_radix_sort_implINS0_14default_configELb1EPKhPhPKlPlN2at6native12_GLOBAL__N_18offset_tEEE10hipError_tPvRmT1_PNSt15iterator_traitsISY_E10value_typeET2_T3_PNSZ_IS14_E10value_typeET4_jRbjT5_S1A_jjP12ihipStream_tbEUljE_EEESV_SW_SX_S14_S18_S1A_T6_T7_T9_mT8_S1C_bDpT10_ENKUlT_T0_E_clISt17integral_constantIbLb0EES1O_IbLb1EEEEDaS1K_S1L_EUlS1K_E_NS1_11comp_targetILNS1_3genE4ELNS1_11target_archE910ELNS1_3gpuE8ELNS1_3repE0EEENS1_30default_config_static_selectorELNS0_4arch9wavefront6targetE0EEEvSY_
                                        ; -- End function
	.section	.AMDGPU.csdata,"",@progbits
; Kernel info:
; codeLenInByte = 0
; NumSgprs: 0
; NumVgprs: 0
; ScratchSize: 0
; MemoryBound: 0
; FloatMode: 240
; IeeeMode: 1
; LDSByteSize: 0 bytes/workgroup (compile time only)
; SGPRBlocks: 0
; VGPRBlocks: 0
; NumSGPRsForWavesPerEU: 1
; NumVGPRsForWavesPerEU: 1
; Occupancy: 16
; WaveLimiterHint : 0
; COMPUTE_PGM_RSRC2:SCRATCH_EN: 0
; COMPUTE_PGM_RSRC2:USER_SGPR: 15
; COMPUTE_PGM_RSRC2:TRAP_HANDLER: 0
; COMPUTE_PGM_RSRC2:TGID_X_EN: 1
; COMPUTE_PGM_RSRC2:TGID_Y_EN: 0
; COMPUTE_PGM_RSRC2:TGID_Z_EN: 0
; COMPUTE_PGM_RSRC2:TIDIG_COMP_CNT: 0
	.section	.text._ZN7rocprim17ROCPRIM_400000_NS6detail17trampoline_kernelINS0_13select_configILj256ELj13ELNS0_17block_load_methodE3ELS4_3ELS4_3ELNS0_20block_scan_algorithmE0ELj4294967295EEENS1_25partition_config_selectorILNS1_17partition_subalgoE3EjNS0_10empty_typeEbEEZZNS1_14partition_implILS8_3ELb0ES6_jNS0_17counting_iteratorIjlEEPS9_SE_NS0_5tupleIJPjSE_EEENSF_IJSE_SE_EEES9_SG_JZNS1_25segmented_radix_sort_implINS0_14default_configELb1EPKhPhPKlPlN2at6native12_GLOBAL__N_18offset_tEEE10hipError_tPvRmT1_PNSt15iterator_traitsISY_E10value_typeET2_T3_PNSZ_IS14_E10value_typeET4_jRbjT5_S1A_jjP12ihipStream_tbEUljE_EEESV_SW_SX_S14_S18_S1A_T6_T7_T9_mT8_S1C_bDpT10_ENKUlT_T0_E_clISt17integral_constantIbLb0EES1O_IbLb1EEEEDaS1K_S1L_EUlS1K_E_NS1_11comp_targetILNS1_3genE3ELNS1_11target_archE908ELNS1_3gpuE7ELNS1_3repE0EEENS1_30default_config_static_selectorELNS0_4arch9wavefront6targetE0EEEvSY_,"axG",@progbits,_ZN7rocprim17ROCPRIM_400000_NS6detail17trampoline_kernelINS0_13select_configILj256ELj13ELNS0_17block_load_methodE3ELS4_3ELS4_3ELNS0_20block_scan_algorithmE0ELj4294967295EEENS1_25partition_config_selectorILNS1_17partition_subalgoE3EjNS0_10empty_typeEbEEZZNS1_14partition_implILS8_3ELb0ES6_jNS0_17counting_iteratorIjlEEPS9_SE_NS0_5tupleIJPjSE_EEENSF_IJSE_SE_EEES9_SG_JZNS1_25segmented_radix_sort_implINS0_14default_configELb1EPKhPhPKlPlN2at6native12_GLOBAL__N_18offset_tEEE10hipError_tPvRmT1_PNSt15iterator_traitsISY_E10value_typeET2_T3_PNSZ_IS14_E10value_typeET4_jRbjT5_S1A_jjP12ihipStream_tbEUljE_EEESV_SW_SX_S14_S18_S1A_T6_T7_T9_mT8_S1C_bDpT10_ENKUlT_T0_E_clISt17integral_constantIbLb0EES1O_IbLb1EEEEDaS1K_S1L_EUlS1K_E_NS1_11comp_targetILNS1_3genE3ELNS1_11target_archE908ELNS1_3gpuE7ELNS1_3repE0EEENS1_30default_config_static_selectorELNS0_4arch9wavefront6targetE0EEEvSY_,comdat
	.globl	_ZN7rocprim17ROCPRIM_400000_NS6detail17trampoline_kernelINS0_13select_configILj256ELj13ELNS0_17block_load_methodE3ELS4_3ELS4_3ELNS0_20block_scan_algorithmE0ELj4294967295EEENS1_25partition_config_selectorILNS1_17partition_subalgoE3EjNS0_10empty_typeEbEEZZNS1_14partition_implILS8_3ELb0ES6_jNS0_17counting_iteratorIjlEEPS9_SE_NS0_5tupleIJPjSE_EEENSF_IJSE_SE_EEES9_SG_JZNS1_25segmented_radix_sort_implINS0_14default_configELb1EPKhPhPKlPlN2at6native12_GLOBAL__N_18offset_tEEE10hipError_tPvRmT1_PNSt15iterator_traitsISY_E10value_typeET2_T3_PNSZ_IS14_E10value_typeET4_jRbjT5_S1A_jjP12ihipStream_tbEUljE_EEESV_SW_SX_S14_S18_S1A_T6_T7_T9_mT8_S1C_bDpT10_ENKUlT_T0_E_clISt17integral_constantIbLb0EES1O_IbLb1EEEEDaS1K_S1L_EUlS1K_E_NS1_11comp_targetILNS1_3genE3ELNS1_11target_archE908ELNS1_3gpuE7ELNS1_3repE0EEENS1_30default_config_static_selectorELNS0_4arch9wavefront6targetE0EEEvSY_ ; -- Begin function _ZN7rocprim17ROCPRIM_400000_NS6detail17trampoline_kernelINS0_13select_configILj256ELj13ELNS0_17block_load_methodE3ELS4_3ELS4_3ELNS0_20block_scan_algorithmE0ELj4294967295EEENS1_25partition_config_selectorILNS1_17partition_subalgoE3EjNS0_10empty_typeEbEEZZNS1_14partition_implILS8_3ELb0ES6_jNS0_17counting_iteratorIjlEEPS9_SE_NS0_5tupleIJPjSE_EEENSF_IJSE_SE_EEES9_SG_JZNS1_25segmented_radix_sort_implINS0_14default_configELb1EPKhPhPKlPlN2at6native12_GLOBAL__N_18offset_tEEE10hipError_tPvRmT1_PNSt15iterator_traitsISY_E10value_typeET2_T3_PNSZ_IS14_E10value_typeET4_jRbjT5_S1A_jjP12ihipStream_tbEUljE_EEESV_SW_SX_S14_S18_S1A_T6_T7_T9_mT8_S1C_bDpT10_ENKUlT_T0_E_clISt17integral_constantIbLb0EES1O_IbLb1EEEEDaS1K_S1L_EUlS1K_E_NS1_11comp_targetILNS1_3genE3ELNS1_11target_archE908ELNS1_3gpuE7ELNS1_3repE0EEENS1_30default_config_static_selectorELNS0_4arch9wavefront6targetE0EEEvSY_
	.p2align	8
	.type	_ZN7rocprim17ROCPRIM_400000_NS6detail17trampoline_kernelINS0_13select_configILj256ELj13ELNS0_17block_load_methodE3ELS4_3ELS4_3ELNS0_20block_scan_algorithmE0ELj4294967295EEENS1_25partition_config_selectorILNS1_17partition_subalgoE3EjNS0_10empty_typeEbEEZZNS1_14partition_implILS8_3ELb0ES6_jNS0_17counting_iteratorIjlEEPS9_SE_NS0_5tupleIJPjSE_EEENSF_IJSE_SE_EEES9_SG_JZNS1_25segmented_radix_sort_implINS0_14default_configELb1EPKhPhPKlPlN2at6native12_GLOBAL__N_18offset_tEEE10hipError_tPvRmT1_PNSt15iterator_traitsISY_E10value_typeET2_T3_PNSZ_IS14_E10value_typeET4_jRbjT5_S1A_jjP12ihipStream_tbEUljE_EEESV_SW_SX_S14_S18_S1A_T6_T7_T9_mT8_S1C_bDpT10_ENKUlT_T0_E_clISt17integral_constantIbLb0EES1O_IbLb1EEEEDaS1K_S1L_EUlS1K_E_NS1_11comp_targetILNS1_3genE3ELNS1_11target_archE908ELNS1_3gpuE7ELNS1_3repE0EEENS1_30default_config_static_selectorELNS0_4arch9wavefront6targetE0EEEvSY_,@function
_ZN7rocprim17ROCPRIM_400000_NS6detail17trampoline_kernelINS0_13select_configILj256ELj13ELNS0_17block_load_methodE3ELS4_3ELS4_3ELNS0_20block_scan_algorithmE0ELj4294967295EEENS1_25partition_config_selectorILNS1_17partition_subalgoE3EjNS0_10empty_typeEbEEZZNS1_14partition_implILS8_3ELb0ES6_jNS0_17counting_iteratorIjlEEPS9_SE_NS0_5tupleIJPjSE_EEENSF_IJSE_SE_EEES9_SG_JZNS1_25segmented_radix_sort_implINS0_14default_configELb1EPKhPhPKlPlN2at6native12_GLOBAL__N_18offset_tEEE10hipError_tPvRmT1_PNSt15iterator_traitsISY_E10value_typeET2_T3_PNSZ_IS14_E10value_typeET4_jRbjT5_S1A_jjP12ihipStream_tbEUljE_EEESV_SW_SX_S14_S18_S1A_T6_T7_T9_mT8_S1C_bDpT10_ENKUlT_T0_E_clISt17integral_constantIbLb0EES1O_IbLb1EEEEDaS1K_S1L_EUlS1K_E_NS1_11comp_targetILNS1_3genE3ELNS1_11target_archE908ELNS1_3gpuE7ELNS1_3repE0EEENS1_30default_config_static_selectorELNS0_4arch9wavefront6targetE0EEEvSY_: ; @_ZN7rocprim17ROCPRIM_400000_NS6detail17trampoline_kernelINS0_13select_configILj256ELj13ELNS0_17block_load_methodE3ELS4_3ELS4_3ELNS0_20block_scan_algorithmE0ELj4294967295EEENS1_25partition_config_selectorILNS1_17partition_subalgoE3EjNS0_10empty_typeEbEEZZNS1_14partition_implILS8_3ELb0ES6_jNS0_17counting_iteratorIjlEEPS9_SE_NS0_5tupleIJPjSE_EEENSF_IJSE_SE_EEES9_SG_JZNS1_25segmented_radix_sort_implINS0_14default_configELb1EPKhPhPKlPlN2at6native12_GLOBAL__N_18offset_tEEE10hipError_tPvRmT1_PNSt15iterator_traitsISY_E10value_typeET2_T3_PNSZ_IS14_E10value_typeET4_jRbjT5_S1A_jjP12ihipStream_tbEUljE_EEESV_SW_SX_S14_S18_S1A_T6_T7_T9_mT8_S1C_bDpT10_ENKUlT_T0_E_clISt17integral_constantIbLb0EES1O_IbLb1EEEEDaS1K_S1L_EUlS1K_E_NS1_11comp_targetILNS1_3genE3ELNS1_11target_archE908ELNS1_3gpuE7ELNS1_3repE0EEENS1_30default_config_static_selectorELNS0_4arch9wavefront6targetE0EEEvSY_
; %bb.0:
	.section	.rodata,"a",@progbits
	.p2align	6, 0x0
	.amdhsa_kernel _ZN7rocprim17ROCPRIM_400000_NS6detail17trampoline_kernelINS0_13select_configILj256ELj13ELNS0_17block_load_methodE3ELS4_3ELS4_3ELNS0_20block_scan_algorithmE0ELj4294967295EEENS1_25partition_config_selectorILNS1_17partition_subalgoE3EjNS0_10empty_typeEbEEZZNS1_14partition_implILS8_3ELb0ES6_jNS0_17counting_iteratorIjlEEPS9_SE_NS0_5tupleIJPjSE_EEENSF_IJSE_SE_EEES9_SG_JZNS1_25segmented_radix_sort_implINS0_14default_configELb1EPKhPhPKlPlN2at6native12_GLOBAL__N_18offset_tEEE10hipError_tPvRmT1_PNSt15iterator_traitsISY_E10value_typeET2_T3_PNSZ_IS14_E10value_typeET4_jRbjT5_S1A_jjP12ihipStream_tbEUljE_EEESV_SW_SX_S14_S18_S1A_T6_T7_T9_mT8_S1C_bDpT10_ENKUlT_T0_E_clISt17integral_constantIbLb0EES1O_IbLb1EEEEDaS1K_S1L_EUlS1K_E_NS1_11comp_targetILNS1_3genE3ELNS1_11target_archE908ELNS1_3gpuE7ELNS1_3repE0EEENS1_30default_config_static_selectorELNS0_4arch9wavefront6targetE0EEEvSY_
		.amdhsa_group_segment_fixed_size 0
		.amdhsa_private_segment_fixed_size 0
		.amdhsa_kernarg_size 152
		.amdhsa_user_sgpr_count 15
		.amdhsa_user_sgpr_dispatch_ptr 0
		.amdhsa_user_sgpr_queue_ptr 0
		.amdhsa_user_sgpr_kernarg_segment_ptr 1
		.amdhsa_user_sgpr_dispatch_id 0
		.amdhsa_user_sgpr_private_segment_size 0
		.amdhsa_wavefront_size32 1
		.amdhsa_uses_dynamic_stack 0
		.amdhsa_enable_private_segment 0
		.amdhsa_system_sgpr_workgroup_id_x 1
		.amdhsa_system_sgpr_workgroup_id_y 0
		.amdhsa_system_sgpr_workgroup_id_z 0
		.amdhsa_system_sgpr_workgroup_info 0
		.amdhsa_system_vgpr_workitem_id 0
		.amdhsa_next_free_vgpr 1
		.amdhsa_next_free_sgpr 1
		.amdhsa_reserve_vcc 0
		.amdhsa_float_round_mode_32 0
		.amdhsa_float_round_mode_16_64 0
		.amdhsa_float_denorm_mode_32 3
		.amdhsa_float_denorm_mode_16_64 3
		.amdhsa_dx10_clamp 1
		.amdhsa_ieee_mode 1
		.amdhsa_fp16_overflow 0
		.amdhsa_workgroup_processor_mode 1
		.amdhsa_memory_ordered 1
		.amdhsa_forward_progress 0
		.amdhsa_shared_vgpr_count 0
		.amdhsa_exception_fp_ieee_invalid_op 0
		.amdhsa_exception_fp_denorm_src 0
		.amdhsa_exception_fp_ieee_div_zero 0
		.amdhsa_exception_fp_ieee_overflow 0
		.amdhsa_exception_fp_ieee_underflow 0
		.amdhsa_exception_fp_ieee_inexact 0
		.amdhsa_exception_int_div_zero 0
	.end_amdhsa_kernel
	.section	.text._ZN7rocprim17ROCPRIM_400000_NS6detail17trampoline_kernelINS0_13select_configILj256ELj13ELNS0_17block_load_methodE3ELS4_3ELS4_3ELNS0_20block_scan_algorithmE0ELj4294967295EEENS1_25partition_config_selectorILNS1_17partition_subalgoE3EjNS0_10empty_typeEbEEZZNS1_14partition_implILS8_3ELb0ES6_jNS0_17counting_iteratorIjlEEPS9_SE_NS0_5tupleIJPjSE_EEENSF_IJSE_SE_EEES9_SG_JZNS1_25segmented_radix_sort_implINS0_14default_configELb1EPKhPhPKlPlN2at6native12_GLOBAL__N_18offset_tEEE10hipError_tPvRmT1_PNSt15iterator_traitsISY_E10value_typeET2_T3_PNSZ_IS14_E10value_typeET4_jRbjT5_S1A_jjP12ihipStream_tbEUljE_EEESV_SW_SX_S14_S18_S1A_T6_T7_T9_mT8_S1C_bDpT10_ENKUlT_T0_E_clISt17integral_constantIbLb0EES1O_IbLb1EEEEDaS1K_S1L_EUlS1K_E_NS1_11comp_targetILNS1_3genE3ELNS1_11target_archE908ELNS1_3gpuE7ELNS1_3repE0EEENS1_30default_config_static_selectorELNS0_4arch9wavefront6targetE0EEEvSY_,"axG",@progbits,_ZN7rocprim17ROCPRIM_400000_NS6detail17trampoline_kernelINS0_13select_configILj256ELj13ELNS0_17block_load_methodE3ELS4_3ELS4_3ELNS0_20block_scan_algorithmE0ELj4294967295EEENS1_25partition_config_selectorILNS1_17partition_subalgoE3EjNS0_10empty_typeEbEEZZNS1_14partition_implILS8_3ELb0ES6_jNS0_17counting_iteratorIjlEEPS9_SE_NS0_5tupleIJPjSE_EEENSF_IJSE_SE_EEES9_SG_JZNS1_25segmented_radix_sort_implINS0_14default_configELb1EPKhPhPKlPlN2at6native12_GLOBAL__N_18offset_tEEE10hipError_tPvRmT1_PNSt15iterator_traitsISY_E10value_typeET2_T3_PNSZ_IS14_E10value_typeET4_jRbjT5_S1A_jjP12ihipStream_tbEUljE_EEESV_SW_SX_S14_S18_S1A_T6_T7_T9_mT8_S1C_bDpT10_ENKUlT_T0_E_clISt17integral_constantIbLb0EES1O_IbLb1EEEEDaS1K_S1L_EUlS1K_E_NS1_11comp_targetILNS1_3genE3ELNS1_11target_archE908ELNS1_3gpuE7ELNS1_3repE0EEENS1_30default_config_static_selectorELNS0_4arch9wavefront6targetE0EEEvSY_,comdat
.Lfunc_end78:
	.size	_ZN7rocprim17ROCPRIM_400000_NS6detail17trampoline_kernelINS0_13select_configILj256ELj13ELNS0_17block_load_methodE3ELS4_3ELS4_3ELNS0_20block_scan_algorithmE0ELj4294967295EEENS1_25partition_config_selectorILNS1_17partition_subalgoE3EjNS0_10empty_typeEbEEZZNS1_14partition_implILS8_3ELb0ES6_jNS0_17counting_iteratorIjlEEPS9_SE_NS0_5tupleIJPjSE_EEENSF_IJSE_SE_EEES9_SG_JZNS1_25segmented_radix_sort_implINS0_14default_configELb1EPKhPhPKlPlN2at6native12_GLOBAL__N_18offset_tEEE10hipError_tPvRmT1_PNSt15iterator_traitsISY_E10value_typeET2_T3_PNSZ_IS14_E10value_typeET4_jRbjT5_S1A_jjP12ihipStream_tbEUljE_EEESV_SW_SX_S14_S18_S1A_T6_T7_T9_mT8_S1C_bDpT10_ENKUlT_T0_E_clISt17integral_constantIbLb0EES1O_IbLb1EEEEDaS1K_S1L_EUlS1K_E_NS1_11comp_targetILNS1_3genE3ELNS1_11target_archE908ELNS1_3gpuE7ELNS1_3repE0EEENS1_30default_config_static_selectorELNS0_4arch9wavefront6targetE0EEEvSY_, .Lfunc_end78-_ZN7rocprim17ROCPRIM_400000_NS6detail17trampoline_kernelINS0_13select_configILj256ELj13ELNS0_17block_load_methodE3ELS4_3ELS4_3ELNS0_20block_scan_algorithmE0ELj4294967295EEENS1_25partition_config_selectorILNS1_17partition_subalgoE3EjNS0_10empty_typeEbEEZZNS1_14partition_implILS8_3ELb0ES6_jNS0_17counting_iteratorIjlEEPS9_SE_NS0_5tupleIJPjSE_EEENSF_IJSE_SE_EEES9_SG_JZNS1_25segmented_radix_sort_implINS0_14default_configELb1EPKhPhPKlPlN2at6native12_GLOBAL__N_18offset_tEEE10hipError_tPvRmT1_PNSt15iterator_traitsISY_E10value_typeET2_T3_PNSZ_IS14_E10value_typeET4_jRbjT5_S1A_jjP12ihipStream_tbEUljE_EEESV_SW_SX_S14_S18_S1A_T6_T7_T9_mT8_S1C_bDpT10_ENKUlT_T0_E_clISt17integral_constantIbLb0EES1O_IbLb1EEEEDaS1K_S1L_EUlS1K_E_NS1_11comp_targetILNS1_3genE3ELNS1_11target_archE908ELNS1_3gpuE7ELNS1_3repE0EEENS1_30default_config_static_selectorELNS0_4arch9wavefront6targetE0EEEvSY_
                                        ; -- End function
	.section	.AMDGPU.csdata,"",@progbits
; Kernel info:
; codeLenInByte = 0
; NumSgprs: 0
; NumVgprs: 0
; ScratchSize: 0
; MemoryBound: 0
; FloatMode: 240
; IeeeMode: 1
; LDSByteSize: 0 bytes/workgroup (compile time only)
; SGPRBlocks: 0
; VGPRBlocks: 0
; NumSGPRsForWavesPerEU: 1
; NumVGPRsForWavesPerEU: 1
; Occupancy: 16
; WaveLimiterHint : 0
; COMPUTE_PGM_RSRC2:SCRATCH_EN: 0
; COMPUTE_PGM_RSRC2:USER_SGPR: 15
; COMPUTE_PGM_RSRC2:TRAP_HANDLER: 0
; COMPUTE_PGM_RSRC2:TGID_X_EN: 1
; COMPUTE_PGM_RSRC2:TGID_Y_EN: 0
; COMPUTE_PGM_RSRC2:TGID_Z_EN: 0
; COMPUTE_PGM_RSRC2:TIDIG_COMP_CNT: 0
	.section	.text._ZN7rocprim17ROCPRIM_400000_NS6detail17trampoline_kernelINS0_13select_configILj256ELj13ELNS0_17block_load_methodE3ELS4_3ELS4_3ELNS0_20block_scan_algorithmE0ELj4294967295EEENS1_25partition_config_selectorILNS1_17partition_subalgoE3EjNS0_10empty_typeEbEEZZNS1_14partition_implILS8_3ELb0ES6_jNS0_17counting_iteratorIjlEEPS9_SE_NS0_5tupleIJPjSE_EEENSF_IJSE_SE_EEES9_SG_JZNS1_25segmented_radix_sort_implINS0_14default_configELb1EPKhPhPKlPlN2at6native12_GLOBAL__N_18offset_tEEE10hipError_tPvRmT1_PNSt15iterator_traitsISY_E10value_typeET2_T3_PNSZ_IS14_E10value_typeET4_jRbjT5_S1A_jjP12ihipStream_tbEUljE_EEESV_SW_SX_S14_S18_S1A_T6_T7_T9_mT8_S1C_bDpT10_ENKUlT_T0_E_clISt17integral_constantIbLb0EES1O_IbLb1EEEEDaS1K_S1L_EUlS1K_E_NS1_11comp_targetILNS1_3genE2ELNS1_11target_archE906ELNS1_3gpuE6ELNS1_3repE0EEENS1_30default_config_static_selectorELNS0_4arch9wavefront6targetE0EEEvSY_,"axG",@progbits,_ZN7rocprim17ROCPRIM_400000_NS6detail17trampoline_kernelINS0_13select_configILj256ELj13ELNS0_17block_load_methodE3ELS4_3ELS4_3ELNS0_20block_scan_algorithmE0ELj4294967295EEENS1_25partition_config_selectorILNS1_17partition_subalgoE3EjNS0_10empty_typeEbEEZZNS1_14partition_implILS8_3ELb0ES6_jNS0_17counting_iteratorIjlEEPS9_SE_NS0_5tupleIJPjSE_EEENSF_IJSE_SE_EEES9_SG_JZNS1_25segmented_radix_sort_implINS0_14default_configELb1EPKhPhPKlPlN2at6native12_GLOBAL__N_18offset_tEEE10hipError_tPvRmT1_PNSt15iterator_traitsISY_E10value_typeET2_T3_PNSZ_IS14_E10value_typeET4_jRbjT5_S1A_jjP12ihipStream_tbEUljE_EEESV_SW_SX_S14_S18_S1A_T6_T7_T9_mT8_S1C_bDpT10_ENKUlT_T0_E_clISt17integral_constantIbLb0EES1O_IbLb1EEEEDaS1K_S1L_EUlS1K_E_NS1_11comp_targetILNS1_3genE2ELNS1_11target_archE906ELNS1_3gpuE6ELNS1_3repE0EEENS1_30default_config_static_selectorELNS0_4arch9wavefront6targetE0EEEvSY_,comdat
	.globl	_ZN7rocprim17ROCPRIM_400000_NS6detail17trampoline_kernelINS0_13select_configILj256ELj13ELNS0_17block_load_methodE3ELS4_3ELS4_3ELNS0_20block_scan_algorithmE0ELj4294967295EEENS1_25partition_config_selectorILNS1_17partition_subalgoE3EjNS0_10empty_typeEbEEZZNS1_14partition_implILS8_3ELb0ES6_jNS0_17counting_iteratorIjlEEPS9_SE_NS0_5tupleIJPjSE_EEENSF_IJSE_SE_EEES9_SG_JZNS1_25segmented_radix_sort_implINS0_14default_configELb1EPKhPhPKlPlN2at6native12_GLOBAL__N_18offset_tEEE10hipError_tPvRmT1_PNSt15iterator_traitsISY_E10value_typeET2_T3_PNSZ_IS14_E10value_typeET4_jRbjT5_S1A_jjP12ihipStream_tbEUljE_EEESV_SW_SX_S14_S18_S1A_T6_T7_T9_mT8_S1C_bDpT10_ENKUlT_T0_E_clISt17integral_constantIbLb0EES1O_IbLb1EEEEDaS1K_S1L_EUlS1K_E_NS1_11comp_targetILNS1_3genE2ELNS1_11target_archE906ELNS1_3gpuE6ELNS1_3repE0EEENS1_30default_config_static_selectorELNS0_4arch9wavefront6targetE0EEEvSY_ ; -- Begin function _ZN7rocprim17ROCPRIM_400000_NS6detail17trampoline_kernelINS0_13select_configILj256ELj13ELNS0_17block_load_methodE3ELS4_3ELS4_3ELNS0_20block_scan_algorithmE0ELj4294967295EEENS1_25partition_config_selectorILNS1_17partition_subalgoE3EjNS0_10empty_typeEbEEZZNS1_14partition_implILS8_3ELb0ES6_jNS0_17counting_iteratorIjlEEPS9_SE_NS0_5tupleIJPjSE_EEENSF_IJSE_SE_EEES9_SG_JZNS1_25segmented_radix_sort_implINS0_14default_configELb1EPKhPhPKlPlN2at6native12_GLOBAL__N_18offset_tEEE10hipError_tPvRmT1_PNSt15iterator_traitsISY_E10value_typeET2_T3_PNSZ_IS14_E10value_typeET4_jRbjT5_S1A_jjP12ihipStream_tbEUljE_EEESV_SW_SX_S14_S18_S1A_T6_T7_T9_mT8_S1C_bDpT10_ENKUlT_T0_E_clISt17integral_constantIbLb0EES1O_IbLb1EEEEDaS1K_S1L_EUlS1K_E_NS1_11comp_targetILNS1_3genE2ELNS1_11target_archE906ELNS1_3gpuE6ELNS1_3repE0EEENS1_30default_config_static_selectorELNS0_4arch9wavefront6targetE0EEEvSY_
	.p2align	8
	.type	_ZN7rocprim17ROCPRIM_400000_NS6detail17trampoline_kernelINS0_13select_configILj256ELj13ELNS0_17block_load_methodE3ELS4_3ELS4_3ELNS0_20block_scan_algorithmE0ELj4294967295EEENS1_25partition_config_selectorILNS1_17partition_subalgoE3EjNS0_10empty_typeEbEEZZNS1_14partition_implILS8_3ELb0ES6_jNS0_17counting_iteratorIjlEEPS9_SE_NS0_5tupleIJPjSE_EEENSF_IJSE_SE_EEES9_SG_JZNS1_25segmented_radix_sort_implINS0_14default_configELb1EPKhPhPKlPlN2at6native12_GLOBAL__N_18offset_tEEE10hipError_tPvRmT1_PNSt15iterator_traitsISY_E10value_typeET2_T3_PNSZ_IS14_E10value_typeET4_jRbjT5_S1A_jjP12ihipStream_tbEUljE_EEESV_SW_SX_S14_S18_S1A_T6_T7_T9_mT8_S1C_bDpT10_ENKUlT_T0_E_clISt17integral_constantIbLb0EES1O_IbLb1EEEEDaS1K_S1L_EUlS1K_E_NS1_11comp_targetILNS1_3genE2ELNS1_11target_archE906ELNS1_3gpuE6ELNS1_3repE0EEENS1_30default_config_static_selectorELNS0_4arch9wavefront6targetE0EEEvSY_,@function
_ZN7rocprim17ROCPRIM_400000_NS6detail17trampoline_kernelINS0_13select_configILj256ELj13ELNS0_17block_load_methodE3ELS4_3ELS4_3ELNS0_20block_scan_algorithmE0ELj4294967295EEENS1_25partition_config_selectorILNS1_17partition_subalgoE3EjNS0_10empty_typeEbEEZZNS1_14partition_implILS8_3ELb0ES6_jNS0_17counting_iteratorIjlEEPS9_SE_NS0_5tupleIJPjSE_EEENSF_IJSE_SE_EEES9_SG_JZNS1_25segmented_radix_sort_implINS0_14default_configELb1EPKhPhPKlPlN2at6native12_GLOBAL__N_18offset_tEEE10hipError_tPvRmT1_PNSt15iterator_traitsISY_E10value_typeET2_T3_PNSZ_IS14_E10value_typeET4_jRbjT5_S1A_jjP12ihipStream_tbEUljE_EEESV_SW_SX_S14_S18_S1A_T6_T7_T9_mT8_S1C_bDpT10_ENKUlT_T0_E_clISt17integral_constantIbLb0EES1O_IbLb1EEEEDaS1K_S1L_EUlS1K_E_NS1_11comp_targetILNS1_3genE2ELNS1_11target_archE906ELNS1_3gpuE6ELNS1_3repE0EEENS1_30default_config_static_selectorELNS0_4arch9wavefront6targetE0EEEvSY_: ; @_ZN7rocprim17ROCPRIM_400000_NS6detail17trampoline_kernelINS0_13select_configILj256ELj13ELNS0_17block_load_methodE3ELS4_3ELS4_3ELNS0_20block_scan_algorithmE0ELj4294967295EEENS1_25partition_config_selectorILNS1_17partition_subalgoE3EjNS0_10empty_typeEbEEZZNS1_14partition_implILS8_3ELb0ES6_jNS0_17counting_iteratorIjlEEPS9_SE_NS0_5tupleIJPjSE_EEENSF_IJSE_SE_EEES9_SG_JZNS1_25segmented_radix_sort_implINS0_14default_configELb1EPKhPhPKlPlN2at6native12_GLOBAL__N_18offset_tEEE10hipError_tPvRmT1_PNSt15iterator_traitsISY_E10value_typeET2_T3_PNSZ_IS14_E10value_typeET4_jRbjT5_S1A_jjP12ihipStream_tbEUljE_EEESV_SW_SX_S14_S18_S1A_T6_T7_T9_mT8_S1C_bDpT10_ENKUlT_T0_E_clISt17integral_constantIbLb0EES1O_IbLb1EEEEDaS1K_S1L_EUlS1K_E_NS1_11comp_targetILNS1_3genE2ELNS1_11target_archE906ELNS1_3gpuE6ELNS1_3repE0EEENS1_30default_config_static_selectorELNS0_4arch9wavefront6targetE0EEEvSY_
; %bb.0:
	.section	.rodata,"a",@progbits
	.p2align	6, 0x0
	.amdhsa_kernel _ZN7rocprim17ROCPRIM_400000_NS6detail17trampoline_kernelINS0_13select_configILj256ELj13ELNS0_17block_load_methodE3ELS4_3ELS4_3ELNS0_20block_scan_algorithmE0ELj4294967295EEENS1_25partition_config_selectorILNS1_17partition_subalgoE3EjNS0_10empty_typeEbEEZZNS1_14partition_implILS8_3ELb0ES6_jNS0_17counting_iteratorIjlEEPS9_SE_NS0_5tupleIJPjSE_EEENSF_IJSE_SE_EEES9_SG_JZNS1_25segmented_radix_sort_implINS0_14default_configELb1EPKhPhPKlPlN2at6native12_GLOBAL__N_18offset_tEEE10hipError_tPvRmT1_PNSt15iterator_traitsISY_E10value_typeET2_T3_PNSZ_IS14_E10value_typeET4_jRbjT5_S1A_jjP12ihipStream_tbEUljE_EEESV_SW_SX_S14_S18_S1A_T6_T7_T9_mT8_S1C_bDpT10_ENKUlT_T0_E_clISt17integral_constantIbLb0EES1O_IbLb1EEEEDaS1K_S1L_EUlS1K_E_NS1_11comp_targetILNS1_3genE2ELNS1_11target_archE906ELNS1_3gpuE6ELNS1_3repE0EEENS1_30default_config_static_selectorELNS0_4arch9wavefront6targetE0EEEvSY_
		.amdhsa_group_segment_fixed_size 0
		.amdhsa_private_segment_fixed_size 0
		.amdhsa_kernarg_size 152
		.amdhsa_user_sgpr_count 15
		.amdhsa_user_sgpr_dispatch_ptr 0
		.amdhsa_user_sgpr_queue_ptr 0
		.amdhsa_user_sgpr_kernarg_segment_ptr 1
		.amdhsa_user_sgpr_dispatch_id 0
		.amdhsa_user_sgpr_private_segment_size 0
		.amdhsa_wavefront_size32 1
		.amdhsa_uses_dynamic_stack 0
		.amdhsa_enable_private_segment 0
		.amdhsa_system_sgpr_workgroup_id_x 1
		.amdhsa_system_sgpr_workgroup_id_y 0
		.amdhsa_system_sgpr_workgroup_id_z 0
		.amdhsa_system_sgpr_workgroup_info 0
		.amdhsa_system_vgpr_workitem_id 0
		.amdhsa_next_free_vgpr 1
		.amdhsa_next_free_sgpr 1
		.amdhsa_reserve_vcc 0
		.amdhsa_float_round_mode_32 0
		.amdhsa_float_round_mode_16_64 0
		.amdhsa_float_denorm_mode_32 3
		.amdhsa_float_denorm_mode_16_64 3
		.amdhsa_dx10_clamp 1
		.amdhsa_ieee_mode 1
		.amdhsa_fp16_overflow 0
		.amdhsa_workgroup_processor_mode 1
		.amdhsa_memory_ordered 1
		.amdhsa_forward_progress 0
		.amdhsa_shared_vgpr_count 0
		.amdhsa_exception_fp_ieee_invalid_op 0
		.amdhsa_exception_fp_denorm_src 0
		.amdhsa_exception_fp_ieee_div_zero 0
		.amdhsa_exception_fp_ieee_overflow 0
		.amdhsa_exception_fp_ieee_underflow 0
		.amdhsa_exception_fp_ieee_inexact 0
		.amdhsa_exception_int_div_zero 0
	.end_amdhsa_kernel
	.section	.text._ZN7rocprim17ROCPRIM_400000_NS6detail17trampoline_kernelINS0_13select_configILj256ELj13ELNS0_17block_load_methodE3ELS4_3ELS4_3ELNS0_20block_scan_algorithmE0ELj4294967295EEENS1_25partition_config_selectorILNS1_17partition_subalgoE3EjNS0_10empty_typeEbEEZZNS1_14partition_implILS8_3ELb0ES6_jNS0_17counting_iteratorIjlEEPS9_SE_NS0_5tupleIJPjSE_EEENSF_IJSE_SE_EEES9_SG_JZNS1_25segmented_radix_sort_implINS0_14default_configELb1EPKhPhPKlPlN2at6native12_GLOBAL__N_18offset_tEEE10hipError_tPvRmT1_PNSt15iterator_traitsISY_E10value_typeET2_T3_PNSZ_IS14_E10value_typeET4_jRbjT5_S1A_jjP12ihipStream_tbEUljE_EEESV_SW_SX_S14_S18_S1A_T6_T7_T9_mT8_S1C_bDpT10_ENKUlT_T0_E_clISt17integral_constantIbLb0EES1O_IbLb1EEEEDaS1K_S1L_EUlS1K_E_NS1_11comp_targetILNS1_3genE2ELNS1_11target_archE906ELNS1_3gpuE6ELNS1_3repE0EEENS1_30default_config_static_selectorELNS0_4arch9wavefront6targetE0EEEvSY_,"axG",@progbits,_ZN7rocprim17ROCPRIM_400000_NS6detail17trampoline_kernelINS0_13select_configILj256ELj13ELNS0_17block_load_methodE3ELS4_3ELS4_3ELNS0_20block_scan_algorithmE0ELj4294967295EEENS1_25partition_config_selectorILNS1_17partition_subalgoE3EjNS0_10empty_typeEbEEZZNS1_14partition_implILS8_3ELb0ES6_jNS0_17counting_iteratorIjlEEPS9_SE_NS0_5tupleIJPjSE_EEENSF_IJSE_SE_EEES9_SG_JZNS1_25segmented_radix_sort_implINS0_14default_configELb1EPKhPhPKlPlN2at6native12_GLOBAL__N_18offset_tEEE10hipError_tPvRmT1_PNSt15iterator_traitsISY_E10value_typeET2_T3_PNSZ_IS14_E10value_typeET4_jRbjT5_S1A_jjP12ihipStream_tbEUljE_EEESV_SW_SX_S14_S18_S1A_T6_T7_T9_mT8_S1C_bDpT10_ENKUlT_T0_E_clISt17integral_constantIbLb0EES1O_IbLb1EEEEDaS1K_S1L_EUlS1K_E_NS1_11comp_targetILNS1_3genE2ELNS1_11target_archE906ELNS1_3gpuE6ELNS1_3repE0EEENS1_30default_config_static_selectorELNS0_4arch9wavefront6targetE0EEEvSY_,comdat
.Lfunc_end79:
	.size	_ZN7rocprim17ROCPRIM_400000_NS6detail17trampoline_kernelINS0_13select_configILj256ELj13ELNS0_17block_load_methodE3ELS4_3ELS4_3ELNS0_20block_scan_algorithmE0ELj4294967295EEENS1_25partition_config_selectorILNS1_17partition_subalgoE3EjNS0_10empty_typeEbEEZZNS1_14partition_implILS8_3ELb0ES6_jNS0_17counting_iteratorIjlEEPS9_SE_NS0_5tupleIJPjSE_EEENSF_IJSE_SE_EEES9_SG_JZNS1_25segmented_radix_sort_implINS0_14default_configELb1EPKhPhPKlPlN2at6native12_GLOBAL__N_18offset_tEEE10hipError_tPvRmT1_PNSt15iterator_traitsISY_E10value_typeET2_T3_PNSZ_IS14_E10value_typeET4_jRbjT5_S1A_jjP12ihipStream_tbEUljE_EEESV_SW_SX_S14_S18_S1A_T6_T7_T9_mT8_S1C_bDpT10_ENKUlT_T0_E_clISt17integral_constantIbLb0EES1O_IbLb1EEEEDaS1K_S1L_EUlS1K_E_NS1_11comp_targetILNS1_3genE2ELNS1_11target_archE906ELNS1_3gpuE6ELNS1_3repE0EEENS1_30default_config_static_selectorELNS0_4arch9wavefront6targetE0EEEvSY_, .Lfunc_end79-_ZN7rocprim17ROCPRIM_400000_NS6detail17trampoline_kernelINS0_13select_configILj256ELj13ELNS0_17block_load_methodE3ELS4_3ELS4_3ELNS0_20block_scan_algorithmE0ELj4294967295EEENS1_25partition_config_selectorILNS1_17partition_subalgoE3EjNS0_10empty_typeEbEEZZNS1_14partition_implILS8_3ELb0ES6_jNS0_17counting_iteratorIjlEEPS9_SE_NS0_5tupleIJPjSE_EEENSF_IJSE_SE_EEES9_SG_JZNS1_25segmented_radix_sort_implINS0_14default_configELb1EPKhPhPKlPlN2at6native12_GLOBAL__N_18offset_tEEE10hipError_tPvRmT1_PNSt15iterator_traitsISY_E10value_typeET2_T3_PNSZ_IS14_E10value_typeET4_jRbjT5_S1A_jjP12ihipStream_tbEUljE_EEESV_SW_SX_S14_S18_S1A_T6_T7_T9_mT8_S1C_bDpT10_ENKUlT_T0_E_clISt17integral_constantIbLb0EES1O_IbLb1EEEEDaS1K_S1L_EUlS1K_E_NS1_11comp_targetILNS1_3genE2ELNS1_11target_archE906ELNS1_3gpuE6ELNS1_3repE0EEENS1_30default_config_static_selectorELNS0_4arch9wavefront6targetE0EEEvSY_
                                        ; -- End function
	.section	.AMDGPU.csdata,"",@progbits
; Kernel info:
; codeLenInByte = 0
; NumSgprs: 0
; NumVgprs: 0
; ScratchSize: 0
; MemoryBound: 0
; FloatMode: 240
; IeeeMode: 1
; LDSByteSize: 0 bytes/workgroup (compile time only)
; SGPRBlocks: 0
; VGPRBlocks: 0
; NumSGPRsForWavesPerEU: 1
; NumVGPRsForWavesPerEU: 1
; Occupancy: 16
; WaveLimiterHint : 0
; COMPUTE_PGM_RSRC2:SCRATCH_EN: 0
; COMPUTE_PGM_RSRC2:USER_SGPR: 15
; COMPUTE_PGM_RSRC2:TRAP_HANDLER: 0
; COMPUTE_PGM_RSRC2:TGID_X_EN: 1
; COMPUTE_PGM_RSRC2:TGID_Y_EN: 0
; COMPUTE_PGM_RSRC2:TGID_Z_EN: 0
; COMPUTE_PGM_RSRC2:TIDIG_COMP_CNT: 0
	.section	.text._ZN7rocprim17ROCPRIM_400000_NS6detail17trampoline_kernelINS0_13select_configILj256ELj13ELNS0_17block_load_methodE3ELS4_3ELS4_3ELNS0_20block_scan_algorithmE0ELj4294967295EEENS1_25partition_config_selectorILNS1_17partition_subalgoE3EjNS0_10empty_typeEbEEZZNS1_14partition_implILS8_3ELb0ES6_jNS0_17counting_iteratorIjlEEPS9_SE_NS0_5tupleIJPjSE_EEENSF_IJSE_SE_EEES9_SG_JZNS1_25segmented_radix_sort_implINS0_14default_configELb1EPKhPhPKlPlN2at6native12_GLOBAL__N_18offset_tEEE10hipError_tPvRmT1_PNSt15iterator_traitsISY_E10value_typeET2_T3_PNSZ_IS14_E10value_typeET4_jRbjT5_S1A_jjP12ihipStream_tbEUljE_EEESV_SW_SX_S14_S18_S1A_T6_T7_T9_mT8_S1C_bDpT10_ENKUlT_T0_E_clISt17integral_constantIbLb0EES1O_IbLb1EEEEDaS1K_S1L_EUlS1K_E_NS1_11comp_targetILNS1_3genE10ELNS1_11target_archE1200ELNS1_3gpuE4ELNS1_3repE0EEENS1_30default_config_static_selectorELNS0_4arch9wavefront6targetE0EEEvSY_,"axG",@progbits,_ZN7rocprim17ROCPRIM_400000_NS6detail17trampoline_kernelINS0_13select_configILj256ELj13ELNS0_17block_load_methodE3ELS4_3ELS4_3ELNS0_20block_scan_algorithmE0ELj4294967295EEENS1_25partition_config_selectorILNS1_17partition_subalgoE3EjNS0_10empty_typeEbEEZZNS1_14partition_implILS8_3ELb0ES6_jNS0_17counting_iteratorIjlEEPS9_SE_NS0_5tupleIJPjSE_EEENSF_IJSE_SE_EEES9_SG_JZNS1_25segmented_radix_sort_implINS0_14default_configELb1EPKhPhPKlPlN2at6native12_GLOBAL__N_18offset_tEEE10hipError_tPvRmT1_PNSt15iterator_traitsISY_E10value_typeET2_T3_PNSZ_IS14_E10value_typeET4_jRbjT5_S1A_jjP12ihipStream_tbEUljE_EEESV_SW_SX_S14_S18_S1A_T6_T7_T9_mT8_S1C_bDpT10_ENKUlT_T0_E_clISt17integral_constantIbLb0EES1O_IbLb1EEEEDaS1K_S1L_EUlS1K_E_NS1_11comp_targetILNS1_3genE10ELNS1_11target_archE1200ELNS1_3gpuE4ELNS1_3repE0EEENS1_30default_config_static_selectorELNS0_4arch9wavefront6targetE0EEEvSY_,comdat
	.globl	_ZN7rocprim17ROCPRIM_400000_NS6detail17trampoline_kernelINS0_13select_configILj256ELj13ELNS0_17block_load_methodE3ELS4_3ELS4_3ELNS0_20block_scan_algorithmE0ELj4294967295EEENS1_25partition_config_selectorILNS1_17partition_subalgoE3EjNS0_10empty_typeEbEEZZNS1_14partition_implILS8_3ELb0ES6_jNS0_17counting_iteratorIjlEEPS9_SE_NS0_5tupleIJPjSE_EEENSF_IJSE_SE_EEES9_SG_JZNS1_25segmented_radix_sort_implINS0_14default_configELb1EPKhPhPKlPlN2at6native12_GLOBAL__N_18offset_tEEE10hipError_tPvRmT1_PNSt15iterator_traitsISY_E10value_typeET2_T3_PNSZ_IS14_E10value_typeET4_jRbjT5_S1A_jjP12ihipStream_tbEUljE_EEESV_SW_SX_S14_S18_S1A_T6_T7_T9_mT8_S1C_bDpT10_ENKUlT_T0_E_clISt17integral_constantIbLb0EES1O_IbLb1EEEEDaS1K_S1L_EUlS1K_E_NS1_11comp_targetILNS1_3genE10ELNS1_11target_archE1200ELNS1_3gpuE4ELNS1_3repE0EEENS1_30default_config_static_selectorELNS0_4arch9wavefront6targetE0EEEvSY_ ; -- Begin function _ZN7rocprim17ROCPRIM_400000_NS6detail17trampoline_kernelINS0_13select_configILj256ELj13ELNS0_17block_load_methodE3ELS4_3ELS4_3ELNS0_20block_scan_algorithmE0ELj4294967295EEENS1_25partition_config_selectorILNS1_17partition_subalgoE3EjNS0_10empty_typeEbEEZZNS1_14partition_implILS8_3ELb0ES6_jNS0_17counting_iteratorIjlEEPS9_SE_NS0_5tupleIJPjSE_EEENSF_IJSE_SE_EEES9_SG_JZNS1_25segmented_radix_sort_implINS0_14default_configELb1EPKhPhPKlPlN2at6native12_GLOBAL__N_18offset_tEEE10hipError_tPvRmT1_PNSt15iterator_traitsISY_E10value_typeET2_T3_PNSZ_IS14_E10value_typeET4_jRbjT5_S1A_jjP12ihipStream_tbEUljE_EEESV_SW_SX_S14_S18_S1A_T6_T7_T9_mT8_S1C_bDpT10_ENKUlT_T0_E_clISt17integral_constantIbLb0EES1O_IbLb1EEEEDaS1K_S1L_EUlS1K_E_NS1_11comp_targetILNS1_3genE10ELNS1_11target_archE1200ELNS1_3gpuE4ELNS1_3repE0EEENS1_30default_config_static_selectorELNS0_4arch9wavefront6targetE0EEEvSY_
	.p2align	8
	.type	_ZN7rocprim17ROCPRIM_400000_NS6detail17trampoline_kernelINS0_13select_configILj256ELj13ELNS0_17block_load_methodE3ELS4_3ELS4_3ELNS0_20block_scan_algorithmE0ELj4294967295EEENS1_25partition_config_selectorILNS1_17partition_subalgoE3EjNS0_10empty_typeEbEEZZNS1_14partition_implILS8_3ELb0ES6_jNS0_17counting_iteratorIjlEEPS9_SE_NS0_5tupleIJPjSE_EEENSF_IJSE_SE_EEES9_SG_JZNS1_25segmented_radix_sort_implINS0_14default_configELb1EPKhPhPKlPlN2at6native12_GLOBAL__N_18offset_tEEE10hipError_tPvRmT1_PNSt15iterator_traitsISY_E10value_typeET2_T3_PNSZ_IS14_E10value_typeET4_jRbjT5_S1A_jjP12ihipStream_tbEUljE_EEESV_SW_SX_S14_S18_S1A_T6_T7_T9_mT8_S1C_bDpT10_ENKUlT_T0_E_clISt17integral_constantIbLb0EES1O_IbLb1EEEEDaS1K_S1L_EUlS1K_E_NS1_11comp_targetILNS1_3genE10ELNS1_11target_archE1200ELNS1_3gpuE4ELNS1_3repE0EEENS1_30default_config_static_selectorELNS0_4arch9wavefront6targetE0EEEvSY_,@function
_ZN7rocprim17ROCPRIM_400000_NS6detail17trampoline_kernelINS0_13select_configILj256ELj13ELNS0_17block_load_methodE3ELS4_3ELS4_3ELNS0_20block_scan_algorithmE0ELj4294967295EEENS1_25partition_config_selectorILNS1_17partition_subalgoE3EjNS0_10empty_typeEbEEZZNS1_14partition_implILS8_3ELb0ES6_jNS0_17counting_iteratorIjlEEPS9_SE_NS0_5tupleIJPjSE_EEENSF_IJSE_SE_EEES9_SG_JZNS1_25segmented_radix_sort_implINS0_14default_configELb1EPKhPhPKlPlN2at6native12_GLOBAL__N_18offset_tEEE10hipError_tPvRmT1_PNSt15iterator_traitsISY_E10value_typeET2_T3_PNSZ_IS14_E10value_typeET4_jRbjT5_S1A_jjP12ihipStream_tbEUljE_EEESV_SW_SX_S14_S18_S1A_T6_T7_T9_mT8_S1C_bDpT10_ENKUlT_T0_E_clISt17integral_constantIbLb0EES1O_IbLb1EEEEDaS1K_S1L_EUlS1K_E_NS1_11comp_targetILNS1_3genE10ELNS1_11target_archE1200ELNS1_3gpuE4ELNS1_3repE0EEENS1_30default_config_static_selectorELNS0_4arch9wavefront6targetE0EEEvSY_: ; @_ZN7rocprim17ROCPRIM_400000_NS6detail17trampoline_kernelINS0_13select_configILj256ELj13ELNS0_17block_load_methodE3ELS4_3ELS4_3ELNS0_20block_scan_algorithmE0ELj4294967295EEENS1_25partition_config_selectorILNS1_17partition_subalgoE3EjNS0_10empty_typeEbEEZZNS1_14partition_implILS8_3ELb0ES6_jNS0_17counting_iteratorIjlEEPS9_SE_NS0_5tupleIJPjSE_EEENSF_IJSE_SE_EEES9_SG_JZNS1_25segmented_radix_sort_implINS0_14default_configELb1EPKhPhPKlPlN2at6native12_GLOBAL__N_18offset_tEEE10hipError_tPvRmT1_PNSt15iterator_traitsISY_E10value_typeET2_T3_PNSZ_IS14_E10value_typeET4_jRbjT5_S1A_jjP12ihipStream_tbEUljE_EEESV_SW_SX_S14_S18_S1A_T6_T7_T9_mT8_S1C_bDpT10_ENKUlT_T0_E_clISt17integral_constantIbLb0EES1O_IbLb1EEEEDaS1K_S1L_EUlS1K_E_NS1_11comp_targetILNS1_3genE10ELNS1_11target_archE1200ELNS1_3gpuE4ELNS1_3repE0EEENS1_30default_config_static_selectorELNS0_4arch9wavefront6targetE0EEEvSY_
; %bb.0:
	.section	.rodata,"a",@progbits
	.p2align	6, 0x0
	.amdhsa_kernel _ZN7rocprim17ROCPRIM_400000_NS6detail17trampoline_kernelINS0_13select_configILj256ELj13ELNS0_17block_load_methodE3ELS4_3ELS4_3ELNS0_20block_scan_algorithmE0ELj4294967295EEENS1_25partition_config_selectorILNS1_17partition_subalgoE3EjNS0_10empty_typeEbEEZZNS1_14partition_implILS8_3ELb0ES6_jNS0_17counting_iteratorIjlEEPS9_SE_NS0_5tupleIJPjSE_EEENSF_IJSE_SE_EEES9_SG_JZNS1_25segmented_radix_sort_implINS0_14default_configELb1EPKhPhPKlPlN2at6native12_GLOBAL__N_18offset_tEEE10hipError_tPvRmT1_PNSt15iterator_traitsISY_E10value_typeET2_T3_PNSZ_IS14_E10value_typeET4_jRbjT5_S1A_jjP12ihipStream_tbEUljE_EEESV_SW_SX_S14_S18_S1A_T6_T7_T9_mT8_S1C_bDpT10_ENKUlT_T0_E_clISt17integral_constantIbLb0EES1O_IbLb1EEEEDaS1K_S1L_EUlS1K_E_NS1_11comp_targetILNS1_3genE10ELNS1_11target_archE1200ELNS1_3gpuE4ELNS1_3repE0EEENS1_30default_config_static_selectorELNS0_4arch9wavefront6targetE0EEEvSY_
		.amdhsa_group_segment_fixed_size 0
		.amdhsa_private_segment_fixed_size 0
		.amdhsa_kernarg_size 152
		.amdhsa_user_sgpr_count 15
		.amdhsa_user_sgpr_dispatch_ptr 0
		.amdhsa_user_sgpr_queue_ptr 0
		.amdhsa_user_sgpr_kernarg_segment_ptr 1
		.amdhsa_user_sgpr_dispatch_id 0
		.amdhsa_user_sgpr_private_segment_size 0
		.amdhsa_wavefront_size32 1
		.amdhsa_uses_dynamic_stack 0
		.amdhsa_enable_private_segment 0
		.amdhsa_system_sgpr_workgroup_id_x 1
		.amdhsa_system_sgpr_workgroup_id_y 0
		.amdhsa_system_sgpr_workgroup_id_z 0
		.amdhsa_system_sgpr_workgroup_info 0
		.amdhsa_system_vgpr_workitem_id 0
		.amdhsa_next_free_vgpr 1
		.amdhsa_next_free_sgpr 1
		.amdhsa_reserve_vcc 0
		.amdhsa_float_round_mode_32 0
		.amdhsa_float_round_mode_16_64 0
		.amdhsa_float_denorm_mode_32 3
		.amdhsa_float_denorm_mode_16_64 3
		.amdhsa_dx10_clamp 1
		.amdhsa_ieee_mode 1
		.amdhsa_fp16_overflow 0
		.amdhsa_workgroup_processor_mode 1
		.amdhsa_memory_ordered 1
		.amdhsa_forward_progress 0
		.amdhsa_shared_vgpr_count 0
		.amdhsa_exception_fp_ieee_invalid_op 0
		.amdhsa_exception_fp_denorm_src 0
		.amdhsa_exception_fp_ieee_div_zero 0
		.amdhsa_exception_fp_ieee_overflow 0
		.amdhsa_exception_fp_ieee_underflow 0
		.amdhsa_exception_fp_ieee_inexact 0
		.amdhsa_exception_int_div_zero 0
	.end_amdhsa_kernel
	.section	.text._ZN7rocprim17ROCPRIM_400000_NS6detail17trampoline_kernelINS0_13select_configILj256ELj13ELNS0_17block_load_methodE3ELS4_3ELS4_3ELNS0_20block_scan_algorithmE0ELj4294967295EEENS1_25partition_config_selectorILNS1_17partition_subalgoE3EjNS0_10empty_typeEbEEZZNS1_14partition_implILS8_3ELb0ES6_jNS0_17counting_iteratorIjlEEPS9_SE_NS0_5tupleIJPjSE_EEENSF_IJSE_SE_EEES9_SG_JZNS1_25segmented_radix_sort_implINS0_14default_configELb1EPKhPhPKlPlN2at6native12_GLOBAL__N_18offset_tEEE10hipError_tPvRmT1_PNSt15iterator_traitsISY_E10value_typeET2_T3_PNSZ_IS14_E10value_typeET4_jRbjT5_S1A_jjP12ihipStream_tbEUljE_EEESV_SW_SX_S14_S18_S1A_T6_T7_T9_mT8_S1C_bDpT10_ENKUlT_T0_E_clISt17integral_constantIbLb0EES1O_IbLb1EEEEDaS1K_S1L_EUlS1K_E_NS1_11comp_targetILNS1_3genE10ELNS1_11target_archE1200ELNS1_3gpuE4ELNS1_3repE0EEENS1_30default_config_static_selectorELNS0_4arch9wavefront6targetE0EEEvSY_,"axG",@progbits,_ZN7rocprim17ROCPRIM_400000_NS6detail17trampoline_kernelINS0_13select_configILj256ELj13ELNS0_17block_load_methodE3ELS4_3ELS4_3ELNS0_20block_scan_algorithmE0ELj4294967295EEENS1_25partition_config_selectorILNS1_17partition_subalgoE3EjNS0_10empty_typeEbEEZZNS1_14partition_implILS8_3ELb0ES6_jNS0_17counting_iteratorIjlEEPS9_SE_NS0_5tupleIJPjSE_EEENSF_IJSE_SE_EEES9_SG_JZNS1_25segmented_radix_sort_implINS0_14default_configELb1EPKhPhPKlPlN2at6native12_GLOBAL__N_18offset_tEEE10hipError_tPvRmT1_PNSt15iterator_traitsISY_E10value_typeET2_T3_PNSZ_IS14_E10value_typeET4_jRbjT5_S1A_jjP12ihipStream_tbEUljE_EEESV_SW_SX_S14_S18_S1A_T6_T7_T9_mT8_S1C_bDpT10_ENKUlT_T0_E_clISt17integral_constantIbLb0EES1O_IbLb1EEEEDaS1K_S1L_EUlS1K_E_NS1_11comp_targetILNS1_3genE10ELNS1_11target_archE1200ELNS1_3gpuE4ELNS1_3repE0EEENS1_30default_config_static_selectorELNS0_4arch9wavefront6targetE0EEEvSY_,comdat
.Lfunc_end80:
	.size	_ZN7rocprim17ROCPRIM_400000_NS6detail17trampoline_kernelINS0_13select_configILj256ELj13ELNS0_17block_load_methodE3ELS4_3ELS4_3ELNS0_20block_scan_algorithmE0ELj4294967295EEENS1_25partition_config_selectorILNS1_17partition_subalgoE3EjNS0_10empty_typeEbEEZZNS1_14partition_implILS8_3ELb0ES6_jNS0_17counting_iteratorIjlEEPS9_SE_NS0_5tupleIJPjSE_EEENSF_IJSE_SE_EEES9_SG_JZNS1_25segmented_radix_sort_implINS0_14default_configELb1EPKhPhPKlPlN2at6native12_GLOBAL__N_18offset_tEEE10hipError_tPvRmT1_PNSt15iterator_traitsISY_E10value_typeET2_T3_PNSZ_IS14_E10value_typeET4_jRbjT5_S1A_jjP12ihipStream_tbEUljE_EEESV_SW_SX_S14_S18_S1A_T6_T7_T9_mT8_S1C_bDpT10_ENKUlT_T0_E_clISt17integral_constantIbLb0EES1O_IbLb1EEEEDaS1K_S1L_EUlS1K_E_NS1_11comp_targetILNS1_3genE10ELNS1_11target_archE1200ELNS1_3gpuE4ELNS1_3repE0EEENS1_30default_config_static_selectorELNS0_4arch9wavefront6targetE0EEEvSY_, .Lfunc_end80-_ZN7rocprim17ROCPRIM_400000_NS6detail17trampoline_kernelINS0_13select_configILj256ELj13ELNS0_17block_load_methodE3ELS4_3ELS4_3ELNS0_20block_scan_algorithmE0ELj4294967295EEENS1_25partition_config_selectorILNS1_17partition_subalgoE3EjNS0_10empty_typeEbEEZZNS1_14partition_implILS8_3ELb0ES6_jNS0_17counting_iteratorIjlEEPS9_SE_NS0_5tupleIJPjSE_EEENSF_IJSE_SE_EEES9_SG_JZNS1_25segmented_radix_sort_implINS0_14default_configELb1EPKhPhPKlPlN2at6native12_GLOBAL__N_18offset_tEEE10hipError_tPvRmT1_PNSt15iterator_traitsISY_E10value_typeET2_T3_PNSZ_IS14_E10value_typeET4_jRbjT5_S1A_jjP12ihipStream_tbEUljE_EEESV_SW_SX_S14_S18_S1A_T6_T7_T9_mT8_S1C_bDpT10_ENKUlT_T0_E_clISt17integral_constantIbLb0EES1O_IbLb1EEEEDaS1K_S1L_EUlS1K_E_NS1_11comp_targetILNS1_3genE10ELNS1_11target_archE1200ELNS1_3gpuE4ELNS1_3repE0EEENS1_30default_config_static_selectorELNS0_4arch9wavefront6targetE0EEEvSY_
                                        ; -- End function
	.section	.AMDGPU.csdata,"",@progbits
; Kernel info:
; codeLenInByte = 0
; NumSgprs: 0
; NumVgprs: 0
; ScratchSize: 0
; MemoryBound: 0
; FloatMode: 240
; IeeeMode: 1
; LDSByteSize: 0 bytes/workgroup (compile time only)
; SGPRBlocks: 0
; VGPRBlocks: 0
; NumSGPRsForWavesPerEU: 1
; NumVGPRsForWavesPerEU: 1
; Occupancy: 16
; WaveLimiterHint : 0
; COMPUTE_PGM_RSRC2:SCRATCH_EN: 0
; COMPUTE_PGM_RSRC2:USER_SGPR: 15
; COMPUTE_PGM_RSRC2:TRAP_HANDLER: 0
; COMPUTE_PGM_RSRC2:TGID_X_EN: 1
; COMPUTE_PGM_RSRC2:TGID_Y_EN: 0
; COMPUTE_PGM_RSRC2:TGID_Z_EN: 0
; COMPUTE_PGM_RSRC2:TIDIG_COMP_CNT: 0
	.section	.text._ZN7rocprim17ROCPRIM_400000_NS6detail17trampoline_kernelINS0_13select_configILj256ELj13ELNS0_17block_load_methodE3ELS4_3ELS4_3ELNS0_20block_scan_algorithmE0ELj4294967295EEENS1_25partition_config_selectorILNS1_17partition_subalgoE3EjNS0_10empty_typeEbEEZZNS1_14partition_implILS8_3ELb0ES6_jNS0_17counting_iteratorIjlEEPS9_SE_NS0_5tupleIJPjSE_EEENSF_IJSE_SE_EEES9_SG_JZNS1_25segmented_radix_sort_implINS0_14default_configELb1EPKhPhPKlPlN2at6native12_GLOBAL__N_18offset_tEEE10hipError_tPvRmT1_PNSt15iterator_traitsISY_E10value_typeET2_T3_PNSZ_IS14_E10value_typeET4_jRbjT5_S1A_jjP12ihipStream_tbEUljE_EEESV_SW_SX_S14_S18_S1A_T6_T7_T9_mT8_S1C_bDpT10_ENKUlT_T0_E_clISt17integral_constantIbLb0EES1O_IbLb1EEEEDaS1K_S1L_EUlS1K_E_NS1_11comp_targetILNS1_3genE9ELNS1_11target_archE1100ELNS1_3gpuE3ELNS1_3repE0EEENS1_30default_config_static_selectorELNS0_4arch9wavefront6targetE0EEEvSY_,"axG",@progbits,_ZN7rocprim17ROCPRIM_400000_NS6detail17trampoline_kernelINS0_13select_configILj256ELj13ELNS0_17block_load_methodE3ELS4_3ELS4_3ELNS0_20block_scan_algorithmE0ELj4294967295EEENS1_25partition_config_selectorILNS1_17partition_subalgoE3EjNS0_10empty_typeEbEEZZNS1_14partition_implILS8_3ELb0ES6_jNS0_17counting_iteratorIjlEEPS9_SE_NS0_5tupleIJPjSE_EEENSF_IJSE_SE_EEES9_SG_JZNS1_25segmented_radix_sort_implINS0_14default_configELb1EPKhPhPKlPlN2at6native12_GLOBAL__N_18offset_tEEE10hipError_tPvRmT1_PNSt15iterator_traitsISY_E10value_typeET2_T3_PNSZ_IS14_E10value_typeET4_jRbjT5_S1A_jjP12ihipStream_tbEUljE_EEESV_SW_SX_S14_S18_S1A_T6_T7_T9_mT8_S1C_bDpT10_ENKUlT_T0_E_clISt17integral_constantIbLb0EES1O_IbLb1EEEEDaS1K_S1L_EUlS1K_E_NS1_11comp_targetILNS1_3genE9ELNS1_11target_archE1100ELNS1_3gpuE3ELNS1_3repE0EEENS1_30default_config_static_selectorELNS0_4arch9wavefront6targetE0EEEvSY_,comdat
	.globl	_ZN7rocprim17ROCPRIM_400000_NS6detail17trampoline_kernelINS0_13select_configILj256ELj13ELNS0_17block_load_methodE3ELS4_3ELS4_3ELNS0_20block_scan_algorithmE0ELj4294967295EEENS1_25partition_config_selectorILNS1_17partition_subalgoE3EjNS0_10empty_typeEbEEZZNS1_14partition_implILS8_3ELb0ES6_jNS0_17counting_iteratorIjlEEPS9_SE_NS0_5tupleIJPjSE_EEENSF_IJSE_SE_EEES9_SG_JZNS1_25segmented_radix_sort_implINS0_14default_configELb1EPKhPhPKlPlN2at6native12_GLOBAL__N_18offset_tEEE10hipError_tPvRmT1_PNSt15iterator_traitsISY_E10value_typeET2_T3_PNSZ_IS14_E10value_typeET4_jRbjT5_S1A_jjP12ihipStream_tbEUljE_EEESV_SW_SX_S14_S18_S1A_T6_T7_T9_mT8_S1C_bDpT10_ENKUlT_T0_E_clISt17integral_constantIbLb0EES1O_IbLb1EEEEDaS1K_S1L_EUlS1K_E_NS1_11comp_targetILNS1_3genE9ELNS1_11target_archE1100ELNS1_3gpuE3ELNS1_3repE0EEENS1_30default_config_static_selectorELNS0_4arch9wavefront6targetE0EEEvSY_ ; -- Begin function _ZN7rocprim17ROCPRIM_400000_NS6detail17trampoline_kernelINS0_13select_configILj256ELj13ELNS0_17block_load_methodE3ELS4_3ELS4_3ELNS0_20block_scan_algorithmE0ELj4294967295EEENS1_25partition_config_selectorILNS1_17partition_subalgoE3EjNS0_10empty_typeEbEEZZNS1_14partition_implILS8_3ELb0ES6_jNS0_17counting_iteratorIjlEEPS9_SE_NS0_5tupleIJPjSE_EEENSF_IJSE_SE_EEES9_SG_JZNS1_25segmented_radix_sort_implINS0_14default_configELb1EPKhPhPKlPlN2at6native12_GLOBAL__N_18offset_tEEE10hipError_tPvRmT1_PNSt15iterator_traitsISY_E10value_typeET2_T3_PNSZ_IS14_E10value_typeET4_jRbjT5_S1A_jjP12ihipStream_tbEUljE_EEESV_SW_SX_S14_S18_S1A_T6_T7_T9_mT8_S1C_bDpT10_ENKUlT_T0_E_clISt17integral_constantIbLb0EES1O_IbLb1EEEEDaS1K_S1L_EUlS1K_E_NS1_11comp_targetILNS1_3genE9ELNS1_11target_archE1100ELNS1_3gpuE3ELNS1_3repE0EEENS1_30default_config_static_selectorELNS0_4arch9wavefront6targetE0EEEvSY_
	.p2align	8
	.type	_ZN7rocprim17ROCPRIM_400000_NS6detail17trampoline_kernelINS0_13select_configILj256ELj13ELNS0_17block_load_methodE3ELS4_3ELS4_3ELNS0_20block_scan_algorithmE0ELj4294967295EEENS1_25partition_config_selectorILNS1_17partition_subalgoE3EjNS0_10empty_typeEbEEZZNS1_14partition_implILS8_3ELb0ES6_jNS0_17counting_iteratorIjlEEPS9_SE_NS0_5tupleIJPjSE_EEENSF_IJSE_SE_EEES9_SG_JZNS1_25segmented_radix_sort_implINS0_14default_configELb1EPKhPhPKlPlN2at6native12_GLOBAL__N_18offset_tEEE10hipError_tPvRmT1_PNSt15iterator_traitsISY_E10value_typeET2_T3_PNSZ_IS14_E10value_typeET4_jRbjT5_S1A_jjP12ihipStream_tbEUljE_EEESV_SW_SX_S14_S18_S1A_T6_T7_T9_mT8_S1C_bDpT10_ENKUlT_T0_E_clISt17integral_constantIbLb0EES1O_IbLb1EEEEDaS1K_S1L_EUlS1K_E_NS1_11comp_targetILNS1_3genE9ELNS1_11target_archE1100ELNS1_3gpuE3ELNS1_3repE0EEENS1_30default_config_static_selectorELNS0_4arch9wavefront6targetE0EEEvSY_,@function
_ZN7rocprim17ROCPRIM_400000_NS6detail17trampoline_kernelINS0_13select_configILj256ELj13ELNS0_17block_load_methodE3ELS4_3ELS4_3ELNS0_20block_scan_algorithmE0ELj4294967295EEENS1_25partition_config_selectorILNS1_17partition_subalgoE3EjNS0_10empty_typeEbEEZZNS1_14partition_implILS8_3ELb0ES6_jNS0_17counting_iteratorIjlEEPS9_SE_NS0_5tupleIJPjSE_EEENSF_IJSE_SE_EEES9_SG_JZNS1_25segmented_radix_sort_implINS0_14default_configELb1EPKhPhPKlPlN2at6native12_GLOBAL__N_18offset_tEEE10hipError_tPvRmT1_PNSt15iterator_traitsISY_E10value_typeET2_T3_PNSZ_IS14_E10value_typeET4_jRbjT5_S1A_jjP12ihipStream_tbEUljE_EEESV_SW_SX_S14_S18_S1A_T6_T7_T9_mT8_S1C_bDpT10_ENKUlT_T0_E_clISt17integral_constantIbLb0EES1O_IbLb1EEEEDaS1K_S1L_EUlS1K_E_NS1_11comp_targetILNS1_3genE9ELNS1_11target_archE1100ELNS1_3gpuE3ELNS1_3repE0EEENS1_30default_config_static_selectorELNS0_4arch9wavefront6targetE0EEEvSY_: ; @_ZN7rocprim17ROCPRIM_400000_NS6detail17trampoline_kernelINS0_13select_configILj256ELj13ELNS0_17block_load_methodE3ELS4_3ELS4_3ELNS0_20block_scan_algorithmE0ELj4294967295EEENS1_25partition_config_selectorILNS1_17partition_subalgoE3EjNS0_10empty_typeEbEEZZNS1_14partition_implILS8_3ELb0ES6_jNS0_17counting_iteratorIjlEEPS9_SE_NS0_5tupleIJPjSE_EEENSF_IJSE_SE_EEES9_SG_JZNS1_25segmented_radix_sort_implINS0_14default_configELb1EPKhPhPKlPlN2at6native12_GLOBAL__N_18offset_tEEE10hipError_tPvRmT1_PNSt15iterator_traitsISY_E10value_typeET2_T3_PNSZ_IS14_E10value_typeET4_jRbjT5_S1A_jjP12ihipStream_tbEUljE_EEESV_SW_SX_S14_S18_S1A_T6_T7_T9_mT8_S1C_bDpT10_ENKUlT_T0_E_clISt17integral_constantIbLb0EES1O_IbLb1EEEEDaS1K_S1L_EUlS1K_E_NS1_11comp_targetILNS1_3genE9ELNS1_11target_archE1100ELNS1_3gpuE3ELNS1_3repE0EEENS1_30default_config_static_selectorELNS0_4arch9wavefront6targetE0EEEvSY_
; %bb.0:
	s_clause 0x6
	s_load_b64 s[16:17], s[0:1], 0x10
	s_load_b64 s[12:13], s[0:1], 0x28
	;; [unrolled: 1-line block ×3, first 2 shown]
	s_load_b128 s[8:11], s[0:1], 0x48
	s_load_b32 s3, s[0:1], 0x90
	s_load_b64 s[18:19], s[0:1], 0x68
	s_load_b128 s[4:7], s[0:1], 0x80
	v_cmp_eq_u32_e64 s2, 0, v0
	s_delay_alu instid0(VALU_DEP_1)
	s_and_saveexec_b32 s20, s2
	s_cbranch_execz .LBB81_4
; %bb.1:
	s_mov_b32 s22, exec_lo
	s_mov_b32 s21, exec_lo
	v_mbcnt_lo_u32_b32 v1, s22, 0
                                        ; implicit-def: $vgpr2
	s_delay_alu instid0(VALU_DEP_1)
	v_cmpx_eq_u32_e32 0, v1
	s_cbranch_execz .LBB81_3
; %bb.2:
	s_load_b64 s[24:25], s[0:1], 0x78
	s_bcnt1_i32_b32 s22, s22
	s_delay_alu instid0(SALU_CYCLE_1)
	v_dual_mov_b32 v2, 0 :: v_dual_mov_b32 v3, s22
	s_waitcnt lgkmcnt(0)
	global_atomic_add_u32 v2, v2, v3, s[24:25] glc
.LBB81_3:
	s_or_b32 exec_lo, exec_lo, s21
	s_waitcnt vmcnt(0)
	v_readfirstlane_b32 s21, v2
	s_delay_alu instid0(VALU_DEP_1)
	v_dual_mov_b32 v2, 0 :: v_dual_add_nc_u32 v1, s21, v1
	ds_store_b32 v2, v1
.LBB81_4:
	s_or_b32 exec_lo, exec_lo, s20
	v_mov_b32_e32 v1, 0
	s_clause 0x1
	s_load_b32 s20, s[0:1], 0x8
	s_load_b32 s0, s[0:1], 0x70
	s_waitcnt lgkmcnt(0)
	s_barrier
	buffer_gl0_inv
	ds_load_b32 v2, v1
	s_waitcnt lgkmcnt(0)
	s_barrier
	buffer_gl0_inv
	global_load_b64 v[18:19], v1, s[10:11]
	v_lshlrev_b32_e32 v33, 2, v0
	s_add_i32 s21, s20, s16
	s_mul_i32 s1, s0, 0xd00
	s_add_i32 s0, s0, -1
	s_add_u32 s10, s16, s1
	s_addc_u32 s11, s17, 0
	v_mul_lo_u32 v32, 0xd00, v2
	v_readfirstlane_b32 s20, v2
	v_cmp_lt_u64_e64 s11, s[10:11], s[14:15]
	v_cmp_ne_u32_e32 vcc_lo, s0, v2
	s_delay_alu instid0(VALU_DEP_3) | instskip(SKIP_1) | instid1(VALU_DEP_4)
	s_cmp_eq_u32 s20, s0
	s_cselect_b32 s10, -1, 0
	v_add3_u32 v1, v32, s21, v0
	s_delay_alu instid0(VALU_DEP_3) | instskip(SKIP_2) | instid1(VALU_DEP_1)
	s_or_b32 s0, s11, vcc_lo
	s_mov_b32 s11, -1
	s_and_b32 vcc_lo, exec_lo, s0
	v_add_nc_u32_e32 v2, 0x100, v1
	v_add_nc_u32_e32 v3, 0x200, v1
	;; [unrolled: 1-line block ×12, first 2 shown]
	s_cbranch_vccz .LBB81_6
; %bb.5:
	ds_store_2addr_stride64_b32 v33, v1, v2 offset1:4
	ds_store_2addr_stride64_b32 v33, v3, v4 offset0:8 offset1:12
	ds_store_2addr_stride64_b32 v33, v5, v6 offset0:16 offset1:20
	;; [unrolled: 1-line block ×5, first 2 shown]
	ds_store_b32 v33, v13 offset:12288
	s_waitcnt vmcnt(0) lgkmcnt(0)
	s_mov_b32 s11, 0
	s_barrier
.LBB81_6:
	s_and_not1_b32 vcc_lo, exec_lo, s11
	s_add_i32 s1, s1, s16
	s_cbranch_vccnz .LBB81_8
; %bb.7:
	ds_store_2addr_stride64_b32 v33, v1, v2 offset1:4
	ds_store_2addr_stride64_b32 v33, v3, v4 offset0:8 offset1:12
	ds_store_2addr_stride64_b32 v33, v5, v6 offset0:16 offset1:20
	;; [unrolled: 1-line block ×5, first 2 shown]
	ds_store_b32 v33, v13 offset:12288
	s_waitcnt vmcnt(0) lgkmcnt(0)
	s_barrier
.LBB81_8:
	v_mul_u32_u24_e32 v36, 13, v0
	s_waitcnt vmcnt(0)
	buffer_gl0_inv
	v_cndmask_b32_e64 v34, 0, 1, s0
	s_sub_i32 s11, s14, s1
	s_and_not1_b32 vcc_lo, exec_lo, s0
	v_lshlrev_b32_e32 v1, 2, v36
	ds_load_2addr_b32 v[30:31], v1 offset1:1
	ds_load_2addr_b32 v[28:29], v1 offset0:2 offset1:3
	ds_load_2addr_b32 v[26:27], v1 offset0:4 offset1:5
	;; [unrolled: 1-line block ×5, first 2 shown]
	ds_load_b32 v35, v1 offset:48
	s_waitcnt lgkmcnt(0)
	s_barrier
	buffer_gl0_inv
	s_cbranch_vccnz .LBB81_10
; %bb.9:
	v_add_nc_u32_e32 v1, s5, v30
	v_add_nc_u32_e32 v2, s7, v30
	;; [unrolled: 1-line block ×5, first 2 shown]
	v_mul_lo_u32 v1, v1, s4
	v_mul_lo_u32 v2, v2, s6
	;; [unrolled: 1-line block ×4, first 2 shown]
	v_add_nc_u32_e32 v6, s7, v28
	v_add_nc_u32_e32 v7, s5, v29
	;; [unrolled: 1-line block ×3, first 2 shown]
	v_mul_lo_u32 v5, v5, s4
	v_add_nc_u32_e32 v9, s5, v24
	v_sub_nc_u32_e32 v1, v1, v2
	v_mul_lo_u32 v2, v6, s6
	v_sub_nc_u32_e32 v3, v3, v4
	v_mul_lo_u32 v4, v7, s4
	v_mul_lo_u32 v6, v8, s6
	v_add_nc_u32_e32 v7, s5, v26
	v_cmp_lt_u32_e32 vcc_lo, s3, v1
	v_add_nc_u32_e32 v8, s5, v27
	v_add_nc_u32_e32 v10, s7, v24
	v_sub_nc_u32_e32 v2, v5, v2
	v_add_nc_u32_e32 v5, s7, v26
	v_cndmask_b32_e64 v1, 0, 1, vcc_lo
	v_sub_nc_u32_e32 v4, v4, v6
	v_mul_lo_u32 v6, v7, s4
	v_add_nc_u32_e32 v7, s7, v27
	v_cmp_lt_u32_e32 vcc_lo, s3, v3
	v_mul_lo_u32 v5, v5, s6
	v_mul_lo_u32 v8, v8, s4
	;; [unrolled: 1-line block ×4, first 2 shown]
	v_cndmask_b32_e64 v3, 0, 1, vcc_lo
	v_cmp_lt_u32_e32 vcc_lo, s3, v2
	v_mul_lo_u32 v10, v10, s6
	v_add_nc_u32_e32 v11, s5, v22
	v_sub_nc_u32_e32 v5, v6, v5
	v_add_nc_u32_e32 v12, s7, v22
	v_cndmask_b32_e64 v2, 0, 1, vcc_lo
	v_sub_nc_u32_e32 v6, v8, v7
	v_add_nc_u32_e32 v7, s5, v25
	v_add_nc_u32_e32 v8, s7, v25
	v_cmp_lt_u32_e32 vcc_lo, s3, v4
	v_sub_nc_u32_e32 v9, v9, v10
	v_mul_lo_u32 v10, v11, s4
	v_mul_lo_u32 v7, v7, s4
	;; [unrolled: 1-line block ×4, first 2 shown]
	v_cndmask_b32_e64 v4, 0, 1, vcc_lo
	v_cmp_lt_u32_e32 vcc_lo, s3, v5
	v_add_nc_u32_e32 v12, s5, v23
	v_add_nc_u32_e32 v13, s7, v20
	;; [unrolled: 1-line block ×4, first 2 shown]
	v_cndmask_b32_e64 v5, 0, 1, vcc_lo
	v_cmp_lt_u32_e32 vcc_lo, s3, v6
	v_sub_nc_u32_e32 v7, v7, v8
	v_sub_nc_u32_e32 v8, v10, v11
	v_add_nc_u32_e32 v11, s7, v23
	v_mul_lo_u32 v10, v12, s4
	v_cndmask_b32_e64 v6, 0, 1, vcc_lo
	v_cmp_lt_u32_e32 vcc_lo, s3, v9
	v_add_nc_u32_e32 v12, s5, v20
	v_mul_lo_u32 v11, v11, s6
	v_mul_lo_u32 v13, v13, s6
	;; [unrolled: 1-line block ×3, first 2 shown]
	v_cndmask_b32_e64 v9, 0, 1, vcc_lo
	v_cmp_lt_u32_e32 vcc_lo, s3, v7
	v_mul_lo_u32 v12, v12, s4
	v_mul_lo_u32 v15, v15, s6
	v_lshlrev_b16 v3, 8, v3
	v_sub_nc_u32_e32 v10, v10, v11
	v_cndmask_b32_e64 v7, 0, 1, vcc_lo
	v_cmp_lt_u32_e32 vcc_lo, s3, v8
	v_add_nc_u32_e32 v11, s5, v35
	v_or_b32_e32 v1, v1, v3
	v_sub_nc_u32_e32 v12, v12, v13
	v_sub_nc_u32_e32 v13, v14, v15
	v_cndmask_b32_e64 v8, 0, 1, vcc_lo
	v_cmp_lt_u32_e32 vcc_lo, s3, v10
	v_add_nc_u32_e32 v16, s7, v35
	v_mul_lo_u32 v11, v11, s4
	v_lshlrev_b16 v4, 8, v4
	v_lshlrev_b16 v6, 8, v6
	v_cndmask_b32_e64 v10, 0, 1, vcc_lo
	v_cmp_lt_u32_e32 vcc_lo, s3, v12
	v_mul_lo_u32 v14, v16, s6
	v_lshlrev_b16 v7, 8, v7
	v_or_b32_e32 v2, v2, v4
	v_lshlrev_b16 v10, 8, v10
	v_cndmask_b32_e64 v3, 0, 1, vcc_lo
	v_cmp_lt_u32_e32 vcc_lo, s3, v13
	v_or_b32_e32 v4, v5, v6
	v_or_b32_e32 v5, v9, v7
	v_sub_nc_u32_e32 v11, v11, v14
	v_or_b32_e32 v6, v8, v10
	v_cndmask_b32_e64 v12, 0, 1, vcc_lo
	v_and_b32_e32 v1, 0xffff, v1
	v_lshlrev_b32_e32 v2, 16, v2
	v_and_b32_e32 v4, 0xffff, v4
	v_lshlrev_b32_e32 v5, 16, v5
	v_lshlrev_b16 v12, 8, v12
	v_and_b32_e32 v6, 0xffff, v6
	v_cmp_lt_u32_e32 vcc_lo, s3, v11
	v_or_b32_e32 v42, v1, v2
	v_or_b32_e32 v40, v4, v5
	;; [unrolled: 1-line block ×3, first 2 shown]
	v_cndmask_b32_e64 v37, 0, 1, vcc_lo
	s_delay_alu instid0(VALU_DEP_2) | instskip(NEXT) | instid1(VALU_DEP_1)
	v_lshlrev_b32_e32 v3, 16, v3
	v_or_b32_e32 v38, v6, v3
	s_addk_i32 s11, 0xd00
	s_cbranch_execz .LBB81_11
	s_branch .LBB81_38
.LBB81_10:
                                        ; implicit-def: $vgpr37
                                        ; implicit-def: $vgpr38
                                        ; implicit-def: $vgpr40
                                        ; implicit-def: $vgpr42
	s_addk_i32 s11, 0xd00
.LBB81_11:
	v_dual_mov_b32 v2, 0 :: v_dual_mov_b32 v1, 0
	s_mov_b32 s0, exec_lo
	v_cmpx_gt_u32_e64 s11, v36
; %bb.12:
	v_add_nc_u32_e32 v1, s5, v30
	v_add_nc_u32_e32 v3, s7, v30
	s_delay_alu instid0(VALU_DEP_2) | instskip(NEXT) | instid1(VALU_DEP_2)
	v_mul_lo_u32 v1, v1, s4
	v_mul_lo_u32 v3, v3, s6
	s_delay_alu instid0(VALU_DEP_1) | instskip(NEXT) | instid1(VALU_DEP_1)
	v_sub_nc_u32_e32 v1, v1, v3
	v_cmp_lt_u32_e32 vcc_lo, s3, v1
	v_cndmask_b32_e64 v1, 0, 1, vcc_lo
; %bb.13:
	s_or_b32 exec_lo, exec_lo, s0
	v_add_nc_u32_e32 v3, 1, v36
	s_mov_b32 s0, exec_lo
	s_delay_alu instid0(VALU_DEP_1)
	v_cmpx_gt_u32_e64 s11, v3
; %bb.14:
	v_add_nc_u32_e32 v2, s5, v31
	v_add_nc_u32_e32 v3, s7, v31
	s_delay_alu instid0(VALU_DEP_2) | instskip(NEXT) | instid1(VALU_DEP_2)
	v_mul_lo_u32 v2, v2, s4
	v_mul_lo_u32 v3, v3, s6
	s_delay_alu instid0(VALU_DEP_1) | instskip(NEXT) | instid1(VALU_DEP_1)
	v_sub_nc_u32_e32 v2, v2, v3
	v_cmp_lt_u32_e32 vcc_lo, s3, v2
	v_cndmask_b32_e64 v2, 0, 1, vcc_lo
; %bb.15:
	s_or_b32 exec_lo, exec_lo, s0
	v_dual_mov_b32 v4, 0 :: v_dual_add_nc_u32 v3, 2, v36
	s_delay_alu instid0(VALU_DEP_1)
	v_cmp_gt_u32_e32 vcc_lo, s11, v3
	v_mov_b32_e32 v3, 0
	s_and_saveexec_b32 s0, vcc_lo
; %bb.16:
	v_add_nc_u32_e32 v3, s5, v28
	v_add_nc_u32_e32 v5, s7, v28
	s_delay_alu instid0(VALU_DEP_2) | instskip(NEXT) | instid1(VALU_DEP_2)
	v_mul_lo_u32 v3, v3, s4
	v_mul_lo_u32 v5, v5, s6
	s_delay_alu instid0(VALU_DEP_1) | instskip(NEXT) | instid1(VALU_DEP_1)
	v_sub_nc_u32_e32 v3, v3, v5
	v_cmp_lt_u32_e32 vcc_lo, s3, v3
	v_cndmask_b32_e64 v3, 0, 1, vcc_lo
; %bb.17:
	s_or_b32 exec_lo, exec_lo, s0
	v_add_nc_u32_e32 v5, 3, v36
	s_mov_b32 s0, exec_lo
	s_delay_alu instid0(VALU_DEP_1)
	v_cmpx_gt_u32_e64 s11, v5
; %bb.18:
	v_add_nc_u32_e32 v4, s5, v29
	v_add_nc_u32_e32 v5, s7, v29
	s_delay_alu instid0(VALU_DEP_2) | instskip(NEXT) | instid1(VALU_DEP_2)
	v_mul_lo_u32 v4, v4, s4
	v_mul_lo_u32 v5, v5, s6
	s_delay_alu instid0(VALU_DEP_1) | instskip(NEXT) | instid1(VALU_DEP_1)
	v_sub_nc_u32_e32 v4, v4, v5
	v_cmp_lt_u32_e32 vcc_lo, s3, v4
	v_cndmask_b32_e64 v4, 0, 1, vcc_lo
; %bb.19:
	s_or_b32 exec_lo, exec_lo, s0
	v_dual_mov_b32 v6, 0 :: v_dual_add_nc_u32 v5, 4, v36
	s_delay_alu instid0(VALU_DEP_1)
	v_cmp_gt_u32_e32 vcc_lo, s11, v5
	v_mov_b32_e32 v5, 0
	s_and_saveexec_b32 s0, vcc_lo
; %bb.20:
	v_add_nc_u32_e32 v5, s5, v26
	v_add_nc_u32_e32 v7, s7, v26
	s_delay_alu instid0(VALU_DEP_2) | instskip(NEXT) | instid1(VALU_DEP_2)
	v_mul_lo_u32 v5, v5, s4
	v_mul_lo_u32 v7, v7, s6
	s_delay_alu instid0(VALU_DEP_1) | instskip(NEXT) | instid1(VALU_DEP_1)
	v_sub_nc_u32_e32 v5, v5, v7
	v_cmp_lt_u32_e32 vcc_lo, s3, v5
	v_cndmask_b32_e64 v5, 0, 1, vcc_lo
; %bb.21:
	s_or_b32 exec_lo, exec_lo, s0
	v_add_nc_u32_e32 v7, 5, v36
	s_mov_b32 s0, exec_lo
	s_delay_alu instid0(VALU_DEP_1)
	v_cmpx_gt_u32_e64 s11, v7
; %bb.22:
	v_add_nc_u32_e32 v6, s5, v27
	v_add_nc_u32_e32 v7, s7, v27
	s_delay_alu instid0(VALU_DEP_2) | instskip(NEXT) | instid1(VALU_DEP_2)
	v_mul_lo_u32 v6, v6, s4
	v_mul_lo_u32 v7, v7, s6
	s_delay_alu instid0(VALU_DEP_1) | instskip(NEXT) | instid1(VALU_DEP_1)
	v_sub_nc_u32_e32 v6, v6, v7
	v_cmp_lt_u32_e32 vcc_lo, s3, v6
	v_cndmask_b32_e64 v6, 0, 1, vcc_lo
; %bb.23:
	s_or_b32 exec_lo, exec_lo, s0
	v_dual_mov_b32 v8, 0 :: v_dual_add_nc_u32 v7, 6, v36
	s_delay_alu instid0(VALU_DEP_1)
	v_cmp_gt_u32_e32 vcc_lo, s11, v7
	v_mov_b32_e32 v7, 0
	s_and_saveexec_b32 s0, vcc_lo
; %bb.24:
	v_add_nc_u32_e32 v7, s5, v24
	v_add_nc_u32_e32 v9, s7, v24
	s_delay_alu instid0(VALU_DEP_2) | instskip(NEXT) | instid1(VALU_DEP_2)
	v_mul_lo_u32 v7, v7, s4
	v_mul_lo_u32 v9, v9, s6
	s_delay_alu instid0(VALU_DEP_1) | instskip(NEXT) | instid1(VALU_DEP_1)
	v_sub_nc_u32_e32 v7, v7, v9
	v_cmp_lt_u32_e32 vcc_lo, s3, v7
	v_cndmask_b32_e64 v7, 0, 1, vcc_lo
; %bb.25:
	s_or_b32 exec_lo, exec_lo, s0
	v_add_nc_u32_e32 v9, 7, v36
	s_mov_b32 s0, exec_lo
	s_delay_alu instid0(VALU_DEP_1)
	v_cmpx_gt_u32_e64 s11, v9
; %bb.26:
	v_add_nc_u32_e32 v8, s5, v25
	v_add_nc_u32_e32 v9, s7, v25
	s_delay_alu instid0(VALU_DEP_2) | instskip(NEXT) | instid1(VALU_DEP_2)
	v_mul_lo_u32 v8, v8, s4
	v_mul_lo_u32 v9, v9, s6
	s_delay_alu instid0(VALU_DEP_1) | instskip(NEXT) | instid1(VALU_DEP_1)
	v_sub_nc_u32_e32 v8, v8, v9
	v_cmp_lt_u32_e32 vcc_lo, s3, v8
	v_cndmask_b32_e64 v8, 0, 1, vcc_lo
; %bb.27:
	s_or_b32 exec_lo, exec_lo, s0
	v_dual_mov_b32 v10, 0 :: v_dual_add_nc_u32 v9, 8, v36
	s_delay_alu instid0(VALU_DEP_1)
	v_cmp_gt_u32_e32 vcc_lo, s11, v9
	v_mov_b32_e32 v9, 0
	s_and_saveexec_b32 s0, vcc_lo
; %bb.28:
	v_add_nc_u32_e32 v9, s5, v22
	v_add_nc_u32_e32 v11, s7, v22
	s_delay_alu instid0(VALU_DEP_2) | instskip(NEXT) | instid1(VALU_DEP_2)
	v_mul_lo_u32 v9, v9, s4
	v_mul_lo_u32 v11, v11, s6
	s_delay_alu instid0(VALU_DEP_1) | instskip(NEXT) | instid1(VALU_DEP_1)
	v_sub_nc_u32_e32 v9, v9, v11
	v_cmp_lt_u32_e32 vcc_lo, s3, v9
	v_cndmask_b32_e64 v9, 0, 1, vcc_lo
; %bb.29:
	s_or_b32 exec_lo, exec_lo, s0
	v_add_nc_u32_e32 v11, 9, v36
	s_mov_b32 s0, exec_lo
	s_delay_alu instid0(VALU_DEP_1)
	v_cmpx_gt_u32_e64 s11, v11
; %bb.30:
	v_add_nc_u32_e32 v10, s5, v23
	v_add_nc_u32_e32 v11, s7, v23
	s_delay_alu instid0(VALU_DEP_2) | instskip(NEXT) | instid1(VALU_DEP_2)
	v_mul_lo_u32 v10, v10, s4
	v_mul_lo_u32 v11, v11, s6
	s_delay_alu instid0(VALU_DEP_1) | instskip(NEXT) | instid1(VALU_DEP_1)
	v_sub_nc_u32_e32 v10, v10, v11
	v_cmp_lt_u32_e32 vcc_lo, s3, v10
	v_cndmask_b32_e64 v10, 0, 1, vcc_lo
; %bb.31:
	s_or_b32 exec_lo, exec_lo, s0
	v_dual_mov_b32 v12, 0 :: v_dual_add_nc_u32 v11, 10, v36
	s_delay_alu instid0(VALU_DEP_1)
	v_cmp_gt_u32_e32 vcc_lo, s11, v11
	v_mov_b32_e32 v11, 0
	s_and_saveexec_b32 s0, vcc_lo
; %bb.32:
	v_add_nc_u32_e32 v11, s5, v20
	v_add_nc_u32_e32 v13, s7, v20
	s_delay_alu instid0(VALU_DEP_2) | instskip(NEXT) | instid1(VALU_DEP_2)
	v_mul_lo_u32 v11, v11, s4
	v_mul_lo_u32 v13, v13, s6
	s_delay_alu instid0(VALU_DEP_1) | instskip(NEXT) | instid1(VALU_DEP_1)
	v_sub_nc_u32_e32 v11, v11, v13
	v_cmp_lt_u32_e32 vcc_lo, s3, v11
	v_cndmask_b32_e64 v11, 0, 1, vcc_lo
; %bb.33:
	s_or_b32 exec_lo, exec_lo, s0
	v_add_nc_u32_e32 v13, 11, v36
	s_mov_b32 s0, exec_lo
	s_delay_alu instid0(VALU_DEP_1)
	v_cmpx_gt_u32_e64 s11, v13
; %bb.34:
	v_add_nc_u32_e32 v12, s5, v21
	v_add_nc_u32_e32 v13, s7, v21
	s_delay_alu instid0(VALU_DEP_2) | instskip(NEXT) | instid1(VALU_DEP_2)
	v_mul_lo_u32 v12, v12, s4
	v_mul_lo_u32 v13, v13, s6
	s_delay_alu instid0(VALU_DEP_1) | instskip(NEXT) | instid1(VALU_DEP_1)
	v_sub_nc_u32_e32 v12, v12, v13
	v_cmp_lt_u32_e32 vcc_lo, s3, v12
	v_cndmask_b32_e64 v12, 0, 1, vcc_lo
; %bb.35:
	s_or_b32 exec_lo, exec_lo, s0
	v_add_nc_u32_e32 v13, 12, v36
	v_mov_b32_e32 v37, 0
	s_mov_b32 s0, exec_lo
	s_delay_alu instid0(VALU_DEP_2)
	v_cmpx_gt_u32_e64 s11, v13
; %bb.36:
	v_add_nc_u32_e32 v13, s5, v35
	v_add_nc_u32_e32 v14, s7, v35
	s_delay_alu instid0(VALU_DEP_2) | instskip(NEXT) | instid1(VALU_DEP_2)
	v_mul_lo_u32 v13, v13, s4
	v_mul_lo_u32 v14, v14, s6
	s_delay_alu instid0(VALU_DEP_1) | instskip(NEXT) | instid1(VALU_DEP_1)
	v_sub_nc_u32_e32 v13, v13, v14
	v_cmp_lt_u32_e32 vcc_lo, s3, v13
	v_cndmask_b32_e64 v37, 0, 1, vcc_lo
; %bb.37:
	s_or_b32 exec_lo, exec_lo, s0
	v_lshlrev_b16 v2, 8, v2
	v_lshlrev_b16 v4, 8, v4
	;; [unrolled: 1-line block ×5, first 2 shown]
	v_or_b32_e32 v1, v1, v2
	v_lshlrev_b16 v2, 8, v12
	v_or_b32_e32 v3, v3, v4
	v_or_b32_e32 v4, v5, v6
	;; [unrolled: 1-line block ×5, first 2 shown]
	v_and_b32_e32 v1, 0xffff, v1
	v_lshlrev_b32_e32 v3, 16, v3
	v_and_b32_e32 v4, 0xffff, v4
	v_lshlrev_b32_e32 v5, 16, v5
	;; [unrolled: 2-line block ×3, first 2 shown]
	v_or_b32_e32 v42, v1, v3
	s_delay_alu instid0(VALU_DEP_4) | instskip(NEXT) | instid1(VALU_DEP_3)
	v_or_b32_e32 v40, v4, v5
	v_or_b32_e32 v38, v6, v2
.LBB81_38:
	s_delay_alu instid0(VALU_DEP_3)
	v_and_b32_e32 v44, 0xff, v42
	v_bfe_u32 v45, v42, 8, 8
	v_bfe_u32 v46, v42, 16, 8
	v_lshrrev_b32_e32 v43, 24, v42
	v_and_b32_e32 v47, 0xff, v40
	v_bfe_u32 v48, v40, 8, 8
	v_bfe_u32 v49, v40, 16, 8
	v_add3_u32 v1, v45, v44, v46
	v_lshrrev_b32_e32 v41, 24, v40
	v_and_b32_e32 v50, 0xff, v38
	v_bfe_u32 v51, v38, 8, 8
	v_mbcnt_lo_u32_b32 v53, -1, 0
	v_add3_u32 v1, v1, v43, v47
	v_bfe_u32 v52, v38, 16, 8
	v_lshrrev_b32_e32 v39, 24, v38
	v_and_b32_e32 v2, 0xff, v37
	v_and_b32_e32 v3, 15, v53
	v_add3_u32 v1, v1, v48, v49
	v_or_b32_e32 v4, 31, v0
	v_and_b32_e32 v5, 16, v53
	v_lshrrev_b32_e32 v54, 5, v0
	v_cmp_eq_u32_e64 s6, 0, v3
	v_add3_u32 v1, v1, v41, v50
	v_cmp_lt_u32_e64 s5, 1, v3
	v_cmp_lt_u32_e64 s4, 3, v3
	;; [unrolled: 1-line block ×3, first 2 shown]
	v_cmp_eq_u32_e64 s1, 0, v5
	v_add3_u32 v1, v1, v51, v52
	v_cmp_eq_u32_e64 s0, v4, v0
	s_cmp_lg_u32 s20, 0
	s_mov_b32 s7, -1
	s_delay_alu instid0(VALU_DEP_2)
	v_add3_u32 v55, v1, v39, v2
	s_cbranch_scc0 .LBB81_64
; %bb.39:
	s_delay_alu instid0(VALU_DEP_1) | instskip(NEXT) | instid1(VALU_DEP_1)
	v_mov_b32_dpp v1, v55 row_shr:1 row_mask:0xf bank_mask:0xf
	v_cndmask_b32_e64 v1, v1, 0, s6
	s_delay_alu instid0(VALU_DEP_1) | instskip(NEXT) | instid1(VALU_DEP_1)
	v_add_nc_u32_e32 v1, v1, v55
	v_mov_b32_dpp v2, v1 row_shr:2 row_mask:0xf bank_mask:0xf
	s_delay_alu instid0(VALU_DEP_1) | instskip(NEXT) | instid1(VALU_DEP_1)
	v_cndmask_b32_e64 v2, 0, v2, s5
	v_add_nc_u32_e32 v1, v1, v2
	s_delay_alu instid0(VALU_DEP_1) | instskip(NEXT) | instid1(VALU_DEP_1)
	v_mov_b32_dpp v2, v1 row_shr:4 row_mask:0xf bank_mask:0xf
	v_cndmask_b32_e64 v2, 0, v2, s4
	s_delay_alu instid0(VALU_DEP_1) | instskip(NEXT) | instid1(VALU_DEP_1)
	v_add_nc_u32_e32 v1, v1, v2
	v_mov_b32_dpp v2, v1 row_shr:8 row_mask:0xf bank_mask:0xf
	s_delay_alu instid0(VALU_DEP_1) | instskip(NEXT) | instid1(VALU_DEP_1)
	v_cndmask_b32_e64 v2, 0, v2, s3
	v_add_nc_u32_e32 v1, v1, v2
	ds_swizzle_b32 v2, v1 offset:swizzle(BROADCAST,32,15)
	s_waitcnt lgkmcnt(0)
	v_cndmask_b32_e64 v2, v2, 0, s1
	s_delay_alu instid0(VALU_DEP_1)
	v_add_nc_u32_e32 v1, v1, v2
	s_and_saveexec_b32 s7, s0
	s_cbranch_execz .LBB81_41
; %bb.40:
	v_lshlrev_b32_e32 v2, 2, v54
	ds_store_b32 v2, v1
.LBB81_41:
	s_or_b32 exec_lo, exec_lo, s7
	s_delay_alu instid0(SALU_CYCLE_1)
	s_mov_b32 s7, exec_lo
	s_waitcnt lgkmcnt(0)
	s_barrier
	buffer_gl0_inv
	v_cmpx_gt_u32_e32 8, v0
	s_cbranch_execz .LBB81_43
; %bb.42:
	ds_load_b32 v2, v33
	s_waitcnt lgkmcnt(0)
	v_mov_b32_dpp v4, v2 row_shr:1 row_mask:0xf bank_mask:0xf
	v_and_b32_e32 v3, 7, v53
	s_delay_alu instid0(VALU_DEP_1) | instskip(NEXT) | instid1(VALU_DEP_3)
	v_cmp_ne_u32_e32 vcc_lo, 0, v3
	v_cndmask_b32_e32 v4, 0, v4, vcc_lo
	v_cmp_lt_u32_e32 vcc_lo, 1, v3
	s_delay_alu instid0(VALU_DEP_2) | instskip(NEXT) | instid1(VALU_DEP_1)
	v_add_nc_u32_e32 v2, v4, v2
	v_mov_b32_dpp v4, v2 row_shr:2 row_mask:0xf bank_mask:0xf
	s_delay_alu instid0(VALU_DEP_1) | instskip(SKIP_1) | instid1(VALU_DEP_2)
	v_cndmask_b32_e32 v4, 0, v4, vcc_lo
	v_cmp_lt_u32_e32 vcc_lo, 3, v3
	v_add_nc_u32_e32 v2, v2, v4
	s_delay_alu instid0(VALU_DEP_1) | instskip(NEXT) | instid1(VALU_DEP_1)
	v_mov_b32_dpp v4, v2 row_shr:4 row_mask:0xf bank_mask:0xf
	v_cndmask_b32_e32 v3, 0, v4, vcc_lo
	s_delay_alu instid0(VALU_DEP_1)
	v_add_nc_u32_e32 v2, v2, v3
	ds_store_b32 v33, v2
.LBB81_43:
	s_or_b32 exec_lo, exec_lo, s7
	v_cmp_gt_u32_e32 vcc_lo, 32, v0
	s_mov_b32 s21, exec_lo
	s_waitcnt lgkmcnt(0)
	s_barrier
	buffer_gl0_inv
                                        ; implicit-def: $vgpr8
	v_cmpx_lt_u32_e32 31, v0
	s_cbranch_execz .LBB81_45
; %bb.44:
	v_lshl_add_u32 v2, v54, 2, -4
	ds_load_b32 v8, v2
	s_waitcnt lgkmcnt(0)
	v_add_nc_u32_e32 v1, v8, v1
.LBB81_45:
	s_or_b32 exec_lo, exec_lo, s21
	v_add_nc_u32_e32 v2, -1, v53
	s_delay_alu instid0(VALU_DEP_1) | instskip(NEXT) | instid1(VALU_DEP_1)
	v_cmp_gt_i32_e64 s7, 0, v2
	v_cndmask_b32_e64 v2, v2, v53, s7
	v_cmp_eq_u32_e64 s7, 0, v53
	s_delay_alu instid0(VALU_DEP_2)
	v_lshlrev_b32_e32 v2, 2, v2
	ds_bpermute_b32 v9, v2, v1
	s_and_saveexec_b32 s21, vcc_lo
	s_cbranch_execz .LBB81_63
; %bb.46:
	v_mov_b32_e32 v4, 0
	ds_load_b32 v1, v4 offset:28
	s_and_saveexec_b32 s22, s7
	s_cbranch_execz .LBB81_48
; %bb.47:
	s_add_i32 s24, s20, 32
	s_mov_b32 s25, 0
	v_mov_b32_e32 v2, 1
	s_lshl_b64 s[24:25], s[24:25], 3
	s_delay_alu instid0(SALU_CYCLE_1)
	s_add_u32 s24, s18, s24
	s_addc_u32 s25, s19, s25
	s_waitcnt lgkmcnt(0)
	global_store_b64 v4, v[1:2], s[24:25]
.LBB81_48:
	s_or_b32 exec_lo, exec_lo, s22
	v_xad_u32 v2, v53, -1, s20
	s_mov_b32 s23, 0
	s_mov_b32 s22, exec_lo
	s_delay_alu instid0(VALU_DEP_1) | instskip(NEXT) | instid1(VALU_DEP_1)
	v_add_nc_u32_e32 v3, 32, v2
	v_lshlrev_b64 v[3:4], 3, v[3:4]
	s_delay_alu instid0(VALU_DEP_1) | instskip(NEXT) | instid1(VALU_DEP_2)
	v_add_co_u32 v6, vcc_lo, s18, v3
	v_add_co_ci_u32_e32 v7, vcc_lo, s19, v4, vcc_lo
	global_load_b64 v[4:5], v[6:7], off glc
	s_waitcnt vmcnt(0)
	v_and_b32_e32 v3, 0xff, v5
	s_delay_alu instid0(VALU_DEP_1)
	v_cmpx_eq_u16_e32 0, v3
	s_cbranch_execz .LBB81_51
.LBB81_49:                              ; =>This Inner Loop Header: Depth=1
	global_load_b64 v[4:5], v[6:7], off glc
	s_waitcnt vmcnt(0)
	v_and_b32_e32 v3, 0xff, v5
	s_delay_alu instid0(VALU_DEP_1) | instskip(SKIP_1) | instid1(SALU_CYCLE_1)
	v_cmp_ne_u16_e32 vcc_lo, 0, v3
	s_or_b32 s23, vcc_lo, s23
	s_and_not1_b32 exec_lo, exec_lo, s23
	s_cbranch_execnz .LBB81_49
; %bb.50:
	s_or_b32 exec_lo, exec_lo, s23
.LBB81_51:
	s_delay_alu instid0(SALU_CYCLE_1)
	s_or_b32 exec_lo, exec_lo, s22
	v_cmp_ne_u32_e32 vcc_lo, 31, v53
	v_lshlrev_b32_e64 v11, v53, -1
	v_add_nc_u32_e32 v13, 2, v53
	v_add_nc_u32_e32 v15, 4, v53
	;; [unrolled: 1-line block ×3, first 2 shown]
	v_add_co_ci_u32_e32 v3, vcc_lo, 0, v53, vcc_lo
	v_add_nc_u32_e32 v58, 16, v53
	s_delay_alu instid0(VALU_DEP_2) | instskip(SKIP_2) | instid1(VALU_DEP_1)
	v_lshlrev_b32_e32 v10, 2, v3
	ds_bpermute_b32 v6, v10, v4
	v_and_b32_e32 v3, 0xff, v5
	v_cmp_eq_u16_e32 vcc_lo, 2, v3
	v_and_or_b32 v3, vcc_lo, v11, 0x80000000
	v_cmp_gt_u32_e32 vcc_lo, 30, v53
	s_delay_alu instid0(VALU_DEP_2) | instskip(SKIP_1) | instid1(VALU_DEP_2)
	v_ctz_i32_b32_e32 v3, v3
	v_cndmask_b32_e64 v7, 0, 1, vcc_lo
	v_cmp_lt_u32_e32 vcc_lo, v53, v3
	s_waitcnt lgkmcnt(0)
	s_delay_alu instid0(VALU_DEP_2) | instskip(NEXT) | instid1(VALU_DEP_1)
	v_dual_cndmask_b32 v6, 0, v6 :: v_dual_lshlrev_b32 v7, 1, v7
	v_add_lshl_u32 v12, v7, v53, 2
	v_cmp_gt_u32_e32 vcc_lo, 28, v53
	s_delay_alu instid0(VALU_DEP_3) | instskip(SKIP_4) | instid1(VALU_DEP_1)
	v_add_nc_u32_e32 v4, v6, v4
	v_cndmask_b32_e64 v7, 0, 1, vcc_lo
	v_cmp_le_u32_e32 vcc_lo, v13, v3
	ds_bpermute_b32 v6, v12, v4
	v_lshlrev_b32_e32 v7, 2, v7
	v_add_lshl_u32 v14, v7, v53, 2
	s_waitcnt lgkmcnt(0)
	v_cndmask_b32_e32 v6, 0, v6, vcc_lo
	v_cmp_gt_u32_e32 vcc_lo, 24, v53
	s_delay_alu instid0(VALU_DEP_2) | instskip(SKIP_4) | instid1(VALU_DEP_1)
	v_add_nc_u32_e32 v4, v4, v6
	v_cndmask_b32_e64 v7, 0, 1, vcc_lo
	v_cmp_le_u32_e32 vcc_lo, v15, v3
	ds_bpermute_b32 v6, v14, v4
	v_lshlrev_b32_e32 v7, 3, v7
	v_add_lshl_u32 v17, v7, v53, 2
	s_waitcnt lgkmcnt(0)
	v_cndmask_b32_e32 v6, 0, v6, vcc_lo
	v_cmp_gt_u32_e32 vcc_lo, 16, v53
	s_delay_alu instid0(VALU_DEP_2) | instskip(SKIP_4) | instid1(VALU_DEP_1)
	v_add_nc_u32_e32 v4, v4, v6
	v_cndmask_b32_e64 v7, 0, 1, vcc_lo
	v_cmp_le_u32_e32 vcc_lo, v56, v3
	ds_bpermute_b32 v6, v17, v4
	v_lshlrev_b32_e32 v7, 4, v7
	v_add_lshl_u32 v57, v7, v53, 2
	s_waitcnt lgkmcnt(0)
	v_cndmask_b32_e32 v6, 0, v6, vcc_lo
	v_cmp_le_u32_e32 vcc_lo, v58, v3
	s_delay_alu instid0(VALU_DEP_2) | instskip(SKIP_3) | instid1(VALU_DEP_1)
	v_add_nc_u32_e32 v4, v4, v6
	ds_bpermute_b32 v6, v57, v4
	s_waitcnt lgkmcnt(0)
	v_cndmask_b32_e32 v3, 0, v6, vcc_lo
	v_dual_mov_b32 v3, 0 :: v_dual_add_nc_u32 v4, v4, v3
	s_branch .LBB81_53
.LBB81_52:                              ;   in Loop: Header=BB81_53 Depth=1
	s_or_b32 exec_lo, exec_lo, s22
	ds_bpermute_b32 v7, v10, v4
	v_and_b32_e32 v6, 0xff, v5
	v_subrev_nc_u32_e32 v2, 32, v2
	s_delay_alu instid0(VALU_DEP_2) | instskip(SKIP_1) | instid1(VALU_DEP_1)
	v_cmp_eq_u16_e32 vcc_lo, 2, v6
	v_and_or_b32 v6, vcc_lo, v11, 0x80000000
	v_ctz_i32_b32_e32 v6, v6
	s_delay_alu instid0(VALU_DEP_1) | instskip(SKIP_3) | instid1(VALU_DEP_2)
	v_cmp_lt_u32_e32 vcc_lo, v53, v6
	s_waitcnt lgkmcnt(0)
	v_cndmask_b32_e32 v7, 0, v7, vcc_lo
	v_cmp_le_u32_e32 vcc_lo, v13, v6
	v_add_nc_u32_e32 v4, v7, v4
	ds_bpermute_b32 v7, v12, v4
	s_waitcnt lgkmcnt(0)
	v_cndmask_b32_e32 v7, 0, v7, vcc_lo
	v_cmp_le_u32_e32 vcc_lo, v15, v6
	s_delay_alu instid0(VALU_DEP_2) | instskip(SKIP_4) | instid1(VALU_DEP_2)
	v_add_nc_u32_e32 v4, v4, v7
	ds_bpermute_b32 v7, v14, v4
	s_waitcnt lgkmcnt(0)
	v_cndmask_b32_e32 v7, 0, v7, vcc_lo
	v_cmp_le_u32_e32 vcc_lo, v56, v6
	v_add_nc_u32_e32 v4, v4, v7
	ds_bpermute_b32 v7, v17, v4
	s_waitcnt lgkmcnt(0)
	v_cndmask_b32_e32 v7, 0, v7, vcc_lo
	v_cmp_le_u32_e32 vcc_lo, v58, v6
	s_delay_alu instid0(VALU_DEP_2) | instskip(SKIP_3) | instid1(VALU_DEP_1)
	v_add_nc_u32_e32 v4, v4, v7
	ds_bpermute_b32 v7, v57, v4
	s_waitcnt lgkmcnt(0)
	v_cndmask_b32_e32 v6, 0, v7, vcc_lo
	v_add3_u32 v4, v6, v16, v4
.LBB81_53:                              ; =>This Loop Header: Depth=1
                                        ;     Child Loop BB81_56 Depth 2
	s_delay_alu instid0(VALU_DEP_1) | instskip(NEXT) | instid1(VALU_DEP_1)
	v_dual_mov_b32 v16, v4 :: v_dual_and_b32 v5, 0xff, v5
	v_cmp_ne_u16_e32 vcc_lo, 2, v5
	v_cndmask_b32_e64 v5, 0, 1, vcc_lo
	;;#ASMSTART
	;;#ASMEND
	s_delay_alu instid0(VALU_DEP_1)
	v_cmp_ne_u32_e32 vcc_lo, 0, v5
	s_cmp_lg_u32 vcc_lo, exec_lo
	s_cbranch_scc1 .LBB81_58
; %bb.54:                               ;   in Loop: Header=BB81_53 Depth=1
	v_lshlrev_b64 v[4:5], 3, v[2:3]
	s_mov_b32 s22, exec_lo
	s_delay_alu instid0(VALU_DEP_1) | instskip(NEXT) | instid1(VALU_DEP_2)
	v_add_co_u32 v6, vcc_lo, s18, v4
	v_add_co_ci_u32_e32 v7, vcc_lo, s19, v5, vcc_lo
	global_load_b64 v[4:5], v[6:7], off glc
	s_waitcnt vmcnt(0)
	v_and_b32_e32 v59, 0xff, v5
	s_delay_alu instid0(VALU_DEP_1)
	v_cmpx_eq_u16_e32 0, v59
	s_cbranch_execz .LBB81_52
; %bb.55:                               ;   in Loop: Header=BB81_53 Depth=1
	s_mov_b32 s23, 0
.LBB81_56:                              ;   Parent Loop BB81_53 Depth=1
                                        ; =>  This Inner Loop Header: Depth=2
	global_load_b64 v[4:5], v[6:7], off glc
	s_waitcnt vmcnt(0)
	v_and_b32_e32 v59, 0xff, v5
	s_delay_alu instid0(VALU_DEP_1) | instskip(SKIP_1) | instid1(SALU_CYCLE_1)
	v_cmp_ne_u16_e32 vcc_lo, 0, v59
	s_or_b32 s23, vcc_lo, s23
	s_and_not1_b32 exec_lo, exec_lo, s23
	s_cbranch_execnz .LBB81_56
; %bb.57:                               ;   in Loop: Header=BB81_53 Depth=1
	s_or_b32 exec_lo, exec_lo, s23
	s_branch .LBB81_52
.LBB81_58:                              ;   in Loop: Header=BB81_53 Depth=1
                                        ; implicit-def: $vgpr4
                                        ; implicit-def: $vgpr5
	s_cbranch_execz .LBB81_53
; %bb.59:
	s_and_saveexec_b32 s22, s7
	s_cbranch_execz .LBB81_61
; %bb.60:
	s_add_i32 s24, s20, 32
	s_mov_b32 s25, 0
	v_dual_mov_b32 v3, 2 :: v_dual_add_nc_u32 v2, v16, v1
	s_lshl_b64 s[24:25], s[24:25], 3
	v_mov_b32_e32 v4, 0
	v_add_nc_u32_e64 v5, 0x3400, 0
	s_add_u32 s24, s18, s24
	s_addc_u32 s25, s19, s25
	global_store_b64 v4, v[2:3], s[24:25]
	ds_store_2addr_b32 v5, v1, v16 offset1:2
.LBB81_61:
	s_or_b32 exec_lo, exec_lo, s22
	s_delay_alu instid0(SALU_CYCLE_1)
	s_and_b32 exec_lo, exec_lo, s2
	s_cbranch_execz .LBB81_63
; %bb.62:
	v_mov_b32_e32 v1, 0
	ds_store_b32 v1, v16 offset:28
.LBB81_63:
	s_or_b32 exec_lo, exec_lo, s21
	v_mov_b32_e32 v1, 0
	s_waitcnt lgkmcnt(0)
	s_waitcnt_vscnt null, 0x0
	s_barrier
	buffer_gl0_inv
	v_cndmask_b32_e64 v2, v9, v8, s7
	ds_load_b32 v1, v1 offset:28
	v_add_nc_u32_e64 v11, 0x3400, 0
	s_waitcnt lgkmcnt(0)
	s_barrier
	v_cndmask_b32_e64 v2, v2, 0, s2
	buffer_gl0_inv
	ds_load_2addr_b32 v[16:17], v11 offset1:2
	v_add_nc_u32_e32 v1, v1, v2
	s_delay_alu instid0(VALU_DEP_1) | instskip(NEXT) | instid1(VALU_DEP_1)
	v_add_nc_u32_e32 v2, v1, v44
	v_add_nc_u32_e32 v3, v2, v45
	s_delay_alu instid0(VALU_DEP_1) | instskip(NEXT) | instid1(VALU_DEP_1)
	v_add_nc_u32_e32 v4, v3, v46
	;; [unrolled: 3-line block ×6, first 2 shown]
	v_add_nc_u32_e32 v13, v12, v39
	s_branch .LBB81_74
.LBB81_64:
                                        ; implicit-def: $vgpr17
                                        ; implicit-def: $vgpr1_vgpr2_vgpr3_vgpr4_vgpr5_vgpr6_vgpr7_vgpr8_vgpr9_vgpr10_vgpr11_vgpr12_vgpr13_vgpr14_vgpr15_vgpr16
	s_and_b32 vcc_lo, exec_lo, s7
	s_cbranch_vccz .LBB81_74
; %bb.65:
	s_delay_alu instid0(VALU_DEP_1) | instskip(NEXT) | instid1(VALU_DEP_1)
	v_mov_b32_dpp v1, v55 row_shr:1 row_mask:0xf bank_mask:0xf
	v_cndmask_b32_e64 v1, v1, 0, s6
	s_delay_alu instid0(VALU_DEP_1) | instskip(NEXT) | instid1(VALU_DEP_1)
	v_add_nc_u32_e32 v1, v1, v55
	v_mov_b32_dpp v2, v1 row_shr:2 row_mask:0xf bank_mask:0xf
	s_delay_alu instid0(VALU_DEP_1) | instskip(NEXT) | instid1(VALU_DEP_1)
	v_cndmask_b32_e64 v2, 0, v2, s5
	v_add_nc_u32_e32 v1, v1, v2
	s_delay_alu instid0(VALU_DEP_1) | instskip(NEXT) | instid1(VALU_DEP_1)
	v_mov_b32_dpp v2, v1 row_shr:4 row_mask:0xf bank_mask:0xf
	v_cndmask_b32_e64 v2, 0, v2, s4
	s_delay_alu instid0(VALU_DEP_1) | instskip(NEXT) | instid1(VALU_DEP_1)
	v_add_nc_u32_e32 v1, v1, v2
	v_mov_b32_dpp v2, v1 row_shr:8 row_mask:0xf bank_mask:0xf
	s_delay_alu instid0(VALU_DEP_1) | instskip(NEXT) | instid1(VALU_DEP_1)
	v_cndmask_b32_e64 v2, 0, v2, s3
	v_add_nc_u32_e32 v1, v1, v2
	ds_swizzle_b32 v2, v1 offset:swizzle(BROADCAST,32,15)
	s_waitcnt lgkmcnt(0)
	v_cndmask_b32_e64 v2, v2, 0, s1
	s_delay_alu instid0(VALU_DEP_1)
	v_add_nc_u32_e32 v1, v1, v2
	s_and_saveexec_b32 s1, s0
	s_cbranch_execz .LBB81_67
; %bb.66:
	v_lshlrev_b32_e32 v2, 2, v54
	ds_store_b32 v2, v1
.LBB81_67:
	s_or_b32 exec_lo, exec_lo, s1
	s_delay_alu instid0(SALU_CYCLE_1)
	s_mov_b32 s0, exec_lo
	s_waitcnt lgkmcnt(0)
	s_barrier
	buffer_gl0_inv
	v_cmpx_gt_u32_e32 8, v0
	s_cbranch_execz .LBB81_69
; %bb.68:
	ds_load_b32 v2, v33
	s_waitcnt lgkmcnt(0)
	v_mov_b32_dpp v4, v2 row_shr:1 row_mask:0xf bank_mask:0xf
	v_and_b32_e32 v3, 7, v53
	s_delay_alu instid0(VALU_DEP_1) | instskip(NEXT) | instid1(VALU_DEP_3)
	v_cmp_ne_u32_e32 vcc_lo, 0, v3
	v_cndmask_b32_e32 v4, 0, v4, vcc_lo
	v_cmp_lt_u32_e32 vcc_lo, 1, v3
	s_delay_alu instid0(VALU_DEP_2) | instskip(NEXT) | instid1(VALU_DEP_1)
	v_add_nc_u32_e32 v2, v4, v2
	v_mov_b32_dpp v4, v2 row_shr:2 row_mask:0xf bank_mask:0xf
	s_delay_alu instid0(VALU_DEP_1) | instskip(SKIP_1) | instid1(VALU_DEP_2)
	v_cndmask_b32_e32 v4, 0, v4, vcc_lo
	v_cmp_lt_u32_e32 vcc_lo, 3, v3
	v_add_nc_u32_e32 v2, v2, v4
	s_delay_alu instid0(VALU_DEP_1) | instskip(NEXT) | instid1(VALU_DEP_1)
	v_mov_b32_dpp v4, v2 row_shr:4 row_mask:0xf bank_mask:0xf
	v_cndmask_b32_e32 v3, 0, v4, vcc_lo
	s_delay_alu instid0(VALU_DEP_1)
	v_add_nc_u32_e32 v2, v2, v3
	ds_store_b32 v33, v2
.LBB81_69:
	s_or_b32 exec_lo, exec_lo, s0
	v_dual_mov_b32 v3, 0 :: v_dual_mov_b32 v2, 0
	s_mov_b32 s0, exec_lo
	s_waitcnt lgkmcnt(0)
	s_barrier
	buffer_gl0_inv
	v_cmpx_lt_u32_e32 31, v0
	s_cbranch_execz .LBB81_71
; %bb.70:
	v_lshl_add_u32 v2, v54, 2, -4
	ds_load_b32 v2, v2
.LBB81_71:
	s_or_b32 exec_lo, exec_lo, s0
	v_add_nc_u32_e32 v4, -1, v53
	s_waitcnt lgkmcnt(0)
	v_add_nc_u32_e32 v1, v2, v1
	ds_load_b32 v16, v3 offset:28
	v_cmp_gt_i32_e32 vcc_lo, 0, v4
	v_cndmask_b32_e32 v4, v4, v53, vcc_lo
	s_delay_alu instid0(VALU_DEP_1)
	v_lshlrev_b32_e32 v4, 2, v4
	ds_bpermute_b32 v1, v4, v1
	s_and_saveexec_b32 s0, s2
	s_cbranch_execz .LBB81_73
; %bb.72:
	v_mov_b32_e32 v3, 0
	v_mov_b32_e32 v17, 2
	s_waitcnt lgkmcnt(1)
	global_store_b64 v3, v[16:17], s[18:19] offset:256
.LBB81_73:
	s_or_b32 exec_lo, exec_lo, s0
	v_cmp_eq_u32_e32 vcc_lo, 0, v53
	s_waitcnt lgkmcnt(0)
	s_waitcnt_vscnt null, 0x0
	s_barrier
	buffer_gl0_inv
	v_mov_b32_e32 v17, 0
	v_cndmask_b32_e32 v1, v1, v2, vcc_lo
	s_delay_alu instid0(VALU_DEP_1) | instskip(NEXT) | instid1(VALU_DEP_1)
	v_cndmask_b32_e64 v1, v1, 0, s2
	v_add_nc_u32_e32 v2, v1, v44
	s_delay_alu instid0(VALU_DEP_1) | instskip(NEXT) | instid1(VALU_DEP_1)
	v_add_nc_u32_e32 v3, v2, v45
	v_add_nc_u32_e32 v4, v3, v46
	s_delay_alu instid0(VALU_DEP_1) | instskip(NEXT) | instid1(VALU_DEP_1)
	v_add_nc_u32_e32 v5, v4, v43
	;; [unrolled: 3-line block ×5, first 2 shown]
	v_add_nc_u32_e32 v12, v11, v52
	s_delay_alu instid0(VALU_DEP_1)
	v_add_nc_u32_e32 v13, v12, v39
.LBB81_74:
	s_waitcnt lgkmcnt(0)
	v_sub_nc_u32_e32 v1, v1, v17
	v_sub_nc_u32_e32 v2, v2, v17
	v_add_nc_u32_e32 v36, v16, v36
	v_lshrrev_b32_e32 v47, 8, v42
	v_lshrrev_b32_e32 v46, 16, v42
	v_sub_nc_u32_e32 v4, v4, v17
	v_sub_nc_u32_e32 v3, v3, v17
	;; [unrolled: 1-line block ×3, first 2 shown]
	v_and_b32_e32 v42, 1, v42
	v_and_b32_e32 v47, 1, v47
	;; [unrolled: 1-line block ×3, first 2 shown]
	v_lshrrev_b32_e32 v45, 8, v40
	v_lshrrev_b32_e32 v44, 16, v40
	v_cmp_eq_u32_e32 vcc_lo, 1, v42
	v_and_b32_e32 v42, 1, v46
	v_sub_nc_u32_e32 v46, v36, v2
	v_lshrrev_b32_e32 v15, 8, v38
	v_lshrrev_b32_e32 v14, 16, v38
	v_cndmask_b32_e32 v1, v48, v1, vcc_lo
	v_cmp_eq_u32_e32 vcc_lo, 1, v47
	v_add_nc_u32_e32 v46, 1, v46
	s_delay_alu instid0(VALU_DEP_3)
	v_lshlrev_b32_e32 v1, 2, v1
	ds_store_b32 v1, v30
	v_cndmask_b32_e32 v1, v46, v2, vcc_lo
	v_sub_nc_u32_e32 v48, v36, v3
	v_sub_nc_u32_e32 v49, v36, v4
	v_cmp_eq_u32_e32 vcc_lo, 1, v42
	v_or_b32_e32 v30, 0x300, v0
	v_lshlrev_b32_e32 v1, 2, v1
	v_add_nc_u32_e32 v48, 2, v48
	v_add_nc_u32_e32 v49, 3, v49
	ds_store_b32 v1, v31
	v_cndmask_b32_e32 v2, v48, v3, vcc_lo
	v_cmp_eq_u32_e32 vcc_lo, 1, v43
	v_or_b32_e32 v31, 0x200, v0
	s_delay_alu instid0(VALU_DEP_3) | instskip(SKIP_2) | instid1(VALU_DEP_3)
	v_dual_cndmask_b32 v3, v49, v4 :: v_dual_lshlrev_b32 v2, 2, v2
	v_sub_nc_u32_e32 v4, v5, v17
	v_sub_nc_u32_e32 v5, v6, v17
	v_lshlrev_b32_e32 v3, 2, v3
	s_delay_alu instid0(VALU_DEP_3) | instskip(NEXT) | instid1(VALU_DEP_3)
	v_sub_nc_u32_e32 v1, v36, v4
	v_sub_nc_u32_e32 v6, v36, v5
	ds_store_b32 v2, v28
	ds_store_b32 v3, v29
	v_and_b32_e32 v2, 1, v40
	v_add_nc_u32_e32 v1, 4, v1
	v_add_nc_u32_e32 v3, 5, v6
	v_sub_nc_u32_e32 v6, v7, v17
	v_and_b32_e32 v7, 1, v45
	v_cmp_eq_u32_e32 vcc_lo, 1, v2
	v_sub_nc_u32_e32 v2, v8, v17
	v_and_b32_e32 v8, 1, v41
	v_or_b32_e32 v29, 0x400, v0
	v_or_b32_e32 v28, 0x500, v0
	v_cndmask_b32_e32 v1, v1, v4, vcc_lo
	v_sub_nc_u32_e32 v4, v36, v6
	v_cmp_eq_u32_e32 vcc_lo, 1, v7
	v_and_b32_e32 v7, 1, v44
	s_delay_alu instid0(VALU_DEP_4) | instskip(NEXT) | instid1(VALU_DEP_4)
	v_lshlrev_b32_e32 v1, 2, v1
	v_dual_cndmask_b32 v3, v3, v5 :: v_dual_add_nc_u32 v4, 6, v4
	v_sub_nc_u32_e32 v5, v36, v2
	s_delay_alu instid0(VALU_DEP_4) | instskip(SKIP_2) | instid1(VALU_DEP_4)
	v_cmp_eq_u32_e32 vcc_lo, 1, v7
	v_sub_nc_u32_e32 v7, v13, v17
	v_add_co_u32 v13, s0, s16, v32
	v_dual_cndmask_b32 v4, v4, v6 :: v_dual_add_nc_u32 v5, 7, v5
	v_cmp_eq_u32_e32 vcc_lo, 1, v8
	v_sub_nc_u32_e32 v6, v9, v17
	v_lshlrev_b32_e32 v3, 2, v3
	ds_store_b32 v1, v26
	ds_store_b32 v3, v27
	v_cndmask_b32_e32 v2, v5, v2, vcc_lo
	v_sub_nc_u32_e32 v1, v36, v6
	v_lshlrev_b32_e32 v3, 2, v4
	v_and_b32_e32 v5, 1, v38
	v_sub_nc_u32_e32 v4, v10, v17
	v_lshlrev_b32_e32 v2, 2, v2
	v_add_nc_u32_e32 v1, 8, v1
	ds_store_b32 v3, v24
	ds_store_b32 v2, v25
	v_cmp_eq_u32_e32 vcc_lo, 1, v5
	v_sub_nc_u32_e32 v3, v11, v17
	v_sub_nc_u32_e32 v2, v36, v4
	;; [unrolled: 1-line block ×3, first 2 shown]
	v_dual_cndmask_b32 v1, v1, v6 :: v_dual_and_b32 v10, 1, v39
	v_and_b32_e32 v6, 1, v15
	v_sub_nc_u32_e32 v8, v36, v3
	v_add_nc_u32_e32 v2, 9, v2
	v_sub_nc_u32_e32 v9, v36, v5
	v_and_b32_e32 v11, 1, v37
	v_cmp_eq_u32_e32 vcc_lo, 1, v6
	v_add_nc_u32_e32 v6, 10, v8
	v_and_b32_e32 v8, 1, v14
	v_add_nc_u32_e32 v9, 11, v9
	v_dual_cndmask_b32 v2, v2, v4 :: v_dual_lshlrev_b32 v1, 2, v1
	v_sub_nc_u32_e32 v4, v36, v7
	s_delay_alu instid0(VALU_DEP_4) | instskip(SKIP_1) | instid1(VALU_DEP_4)
	v_cmp_eq_u32_e32 vcc_lo, 1, v8
	v_add_co_ci_u32_e64 v14, null, s17, 0, s0
	v_lshlrev_b32_e32 v2, 2, v2
	s_delay_alu instid0(VALU_DEP_4)
	v_dual_cndmask_b32 v3, v6, v3 :: v_dual_add_nc_u32 v4, 12, v4
	v_cmp_eq_u32_e32 vcc_lo, 1, v10
	v_or_b32_e32 v27, 0x600, v0
	v_or_b32_e32 v26, 0x700, v0
	;; [unrolled: 1-line block ×3, first 2 shown]
	v_lshlrev_b32_e32 v3, 2, v3
	v_cndmask_b32_e32 v5, v9, v5, vcc_lo
	v_cmp_eq_u32_e32 vcc_lo, 1, v11
	v_or_b32_e32 v24, 0x900, v0
	s_delay_alu instid0(VALU_DEP_3) | instskip(SKIP_2) | instid1(VALU_DEP_3)
	v_dual_cndmask_b32 v4, v4, v7 :: v_dual_lshlrev_b32 v5, 2, v5
	v_sub_co_u32 v13, vcc_lo, s14, v13
	v_sub_co_ci_u32_e32 v14, vcc_lo, s15, v14, vcc_lo
	v_lshlrev_b32_e32 v4, 2, v4
	ds_store_b32 v1, v22
	ds_store_b32 v2, v23
	;; [unrolled: 1-line block ×5, first 2 shown]
	s_waitcnt lgkmcnt(0)
	s_barrier
	buffer_gl0_inv
	ds_load_2addr_stride64_b32 v[11:12], v33 offset1:4
	ds_load_2addr_stride64_b32 v[9:10], v33 offset0:8 offset1:12
	ds_load_2addr_stride64_b32 v[7:8], v33 offset0:16 offset1:20
	;; [unrolled: 1-line block ×5, first 2 shown]
	ds_load_b32 v20, v33 offset:12288
	v_add_co_u32 v15, vcc_lo, v18, v17
	v_add_co_ci_u32_e32 v17, vcc_lo, 0, v19, vcc_lo
	v_add_co_u32 v13, vcc_lo, v13, v16
	v_add_co_ci_u32_e32 v14, vcc_lo, 0, v14, vcc_lo
	v_cmp_ne_u32_e32 vcc_lo, 1, v34
	s_delay_alu instid0(VALU_DEP_3)
	v_add_co_u32 v18, s0, v13, v15
	v_or_b32_e32 v35, 0x100, v0
	v_or_b32_e32 v23, 0xa00, v0
	;; [unrolled: 1-line block ×4, first 2 shown]
	v_add_co_ci_u32_e64 v19, s0, v14, v17, s0
	s_mov_b32 s0, 0
	s_cbranch_vccnz .LBB81_131
; %bb.75:
	s_mov_b32 s0, exec_lo
                                        ; implicit-def: $vgpr13_vgpr14
	v_cmpx_ge_u32_e64 v0, v16
	s_xor_b32 s0, exec_lo, s0
; %bb.76:
	v_not_b32_e32 v13, v0
	s_delay_alu instid0(VALU_DEP_1) | instskip(SKIP_1) | instid1(VALU_DEP_2)
	v_ashrrev_i32_e32 v14, 31, v13
	v_add_co_u32 v13, vcc_lo, v18, v13
	v_add_co_ci_u32_e32 v14, vcc_lo, v19, v14, vcc_lo
; %bb.77:
	s_and_not1_saveexec_b32 s0, s0
; %bb.78:
	v_add_co_u32 v13, vcc_lo, v15, v0
	v_add_co_ci_u32_e32 v14, vcc_lo, 0, v17, vcc_lo
; %bb.79:
	s_or_b32 exec_lo, exec_lo, s0
	s_delay_alu instid0(VALU_DEP_1) | instskip(SKIP_1) | instid1(VALU_DEP_1)
	v_lshlrev_b64 v[13:14], 2, v[13:14]
	s_mov_b32 s0, exec_lo
	v_add_co_u32 v13, vcc_lo, s12, v13
	s_delay_alu instid0(VALU_DEP_2)
	v_add_co_ci_u32_e32 v14, vcc_lo, s13, v14, vcc_lo
	s_waitcnt lgkmcnt(6)
	global_store_b32 v[13:14], v11, off
                                        ; implicit-def: $vgpr13_vgpr14
	v_cmpx_ge_u32_e64 v35, v16
	s_xor_b32 s0, exec_lo, s0
; %bb.80:
	v_xor_b32_e32 v13, 0xfffffeff, v0
	s_delay_alu instid0(VALU_DEP_1) | instskip(SKIP_1) | instid1(VALU_DEP_2)
	v_ashrrev_i32_e32 v14, 31, v13
	v_add_co_u32 v13, vcc_lo, v18, v13
	v_add_co_ci_u32_e32 v14, vcc_lo, v19, v14, vcc_lo
; %bb.81:
	s_and_not1_saveexec_b32 s0, s0
; %bb.82:
	v_add_co_u32 v13, vcc_lo, v15, v35
	v_add_co_ci_u32_e32 v14, vcc_lo, 0, v17, vcc_lo
; %bb.83:
	s_or_b32 exec_lo, exec_lo, s0
	s_delay_alu instid0(VALU_DEP_1) | instskip(SKIP_1) | instid1(VALU_DEP_1)
	v_lshlrev_b64 v[13:14], 2, v[13:14]
	s_mov_b32 s0, exec_lo
	v_add_co_u32 v13, vcc_lo, s12, v13
	s_delay_alu instid0(VALU_DEP_2)
	v_add_co_ci_u32_e32 v14, vcc_lo, s13, v14, vcc_lo
	global_store_b32 v[13:14], v12, off
                                        ; implicit-def: $vgpr13_vgpr14
	v_cmpx_ge_u32_e64 v31, v16
	s_xor_b32 s0, exec_lo, s0
; %bb.84:
	v_xor_b32_e32 v13, 0xfffffdff, v0
	s_delay_alu instid0(VALU_DEP_1) | instskip(SKIP_1) | instid1(VALU_DEP_2)
	v_ashrrev_i32_e32 v14, 31, v13
	v_add_co_u32 v13, vcc_lo, v18, v13
	v_add_co_ci_u32_e32 v14, vcc_lo, v19, v14, vcc_lo
; %bb.85:
	s_and_not1_saveexec_b32 s0, s0
; %bb.86:
	v_add_co_u32 v13, vcc_lo, v15, v31
	v_add_co_ci_u32_e32 v14, vcc_lo, 0, v17, vcc_lo
; %bb.87:
	s_or_b32 exec_lo, exec_lo, s0
	s_delay_alu instid0(VALU_DEP_1) | instskip(SKIP_1) | instid1(VALU_DEP_1)
	v_lshlrev_b64 v[13:14], 2, v[13:14]
	s_mov_b32 s0, exec_lo
	v_add_co_u32 v13, vcc_lo, s12, v13
	s_delay_alu instid0(VALU_DEP_2)
	v_add_co_ci_u32_e32 v14, vcc_lo, s13, v14, vcc_lo
	s_waitcnt lgkmcnt(5)
	global_store_b32 v[13:14], v9, off
                                        ; implicit-def: $vgpr13_vgpr14
	v_cmpx_ge_u32_e64 v30, v16
	s_xor_b32 s0, exec_lo, s0
; %bb.88:
	v_xor_b32_e32 v13, 0xfffffcff, v0
	s_delay_alu instid0(VALU_DEP_1) | instskip(SKIP_1) | instid1(VALU_DEP_2)
	v_ashrrev_i32_e32 v14, 31, v13
	v_add_co_u32 v13, vcc_lo, v18, v13
	v_add_co_ci_u32_e32 v14, vcc_lo, v19, v14, vcc_lo
; %bb.89:
	s_and_not1_saveexec_b32 s0, s0
; %bb.90:
	v_add_co_u32 v13, vcc_lo, v15, v30
	v_add_co_ci_u32_e32 v14, vcc_lo, 0, v17, vcc_lo
; %bb.91:
	s_or_b32 exec_lo, exec_lo, s0
	s_delay_alu instid0(VALU_DEP_1) | instskip(SKIP_1) | instid1(VALU_DEP_1)
	v_lshlrev_b64 v[13:14], 2, v[13:14]
	s_mov_b32 s0, exec_lo
	v_add_co_u32 v13, vcc_lo, s12, v13
	s_delay_alu instid0(VALU_DEP_2)
	v_add_co_ci_u32_e32 v14, vcc_lo, s13, v14, vcc_lo
	global_store_b32 v[13:14], v10, off
                                        ; implicit-def: $vgpr13_vgpr14
	v_cmpx_ge_u32_e64 v29, v16
	s_xor_b32 s0, exec_lo, s0
; %bb.92:
	v_xor_b32_e32 v13, 0xfffffbff, v0
	;; [unrolled: 47-line block ×6, first 2 shown]
	s_delay_alu instid0(VALU_DEP_1) | instskip(SKIP_1) | instid1(VALU_DEP_2)
	v_ashrrev_i32_e32 v14, 31, v13
	v_add_co_u32 v13, vcc_lo, v18, v13
	v_add_co_ci_u32_e32 v14, vcc_lo, v19, v14, vcc_lo
; %bb.125:
	s_and_not1_saveexec_b32 s0, s0
; %bb.126:
	v_add_co_u32 v13, vcc_lo, v15, v21
	v_add_co_ci_u32_e32 v14, vcc_lo, 0, v17, vcc_lo
; %bb.127:
	s_or_b32 exec_lo, exec_lo, s0
	s_mov_b32 s0, -1
.LBB81_128:
	s_delay_alu instid0(SALU_CYCLE_1)
	s_and_saveexec_b32 s1, s0
	s_cbranch_execz .LBB81_211
.LBB81_129:
	s_waitcnt lgkmcnt(1)
	v_lshlrev_b64 v[0:1], 2, v[13:14]
	s_delay_alu instid0(VALU_DEP_1) | instskip(NEXT) | instid1(VALU_DEP_2)
	v_add_co_u32 v0, vcc_lo, s12, v0
	v_add_co_ci_u32_e32 v1, vcc_lo, s13, v1, vcc_lo
	s_waitcnt lgkmcnt(0)
	global_store_b32 v[0:1], v20, off
	s_or_b32 exec_lo, exec_lo, s1
	s_and_b32 s0, s2, s10
	s_delay_alu instid0(SALU_CYCLE_1)
	s_and_saveexec_b32 s1, s0
	s_cbranch_execnz .LBB81_212
.LBB81_130:
	s_nop 0
	s_sendmsg sendmsg(MSG_DEALLOC_VGPRS)
	s_endpgm
.LBB81_131:
                                        ; implicit-def: $vgpr13_vgpr14
	s_cbranch_execz .LBB81_128
; %bb.132:
	s_mov_b32 s1, exec_lo
	v_cmpx_gt_u32_e64 s11, v0
	s_cbranch_execz .LBB81_168
; %bb.133:
	s_mov_b32 s3, exec_lo
                                        ; implicit-def: $vgpr13_vgpr14
	v_cmpx_ge_u32_e64 v0, v16
	s_xor_b32 s3, exec_lo, s3
; %bb.134:
	v_not_b32_e32 v13, v0
	s_delay_alu instid0(VALU_DEP_1) | instskip(SKIP_1) | instid1(VALU_DEP_2)
	v_ashrrev_i32_e32 v14, 31, v13
	v_add_co_u32 v13, vcc_lo, v18, v13
	v_add_co_ci_u32_e32 v14, vcc_lo, v19, v14, vcc_lo
; %bb.135:
	s_and_not1_saveexec_b32 s3, s3
; %bb.136:
	v_add_co_u32 v13, vcc_lo, v15, v0
	v_add_co_ci_u32_e32 v14, vcc_lo, 0, v17, vcc_lo
; %bb.137:
	s_or_b32 exec_lo, exec_lo, s3
	s_delay_alu instid0(VALU_DEP_1) | instskip(NEXT) | instid1(VALU_DEP_1)
	v_lshlrev_b64 v[13:14], 2, v[13:14]
	v_add_co_u32 v13, vcc_lo, s12, v13
	s_delay_alu instid0(VALU_DEP_2) | instskip(SKIP_3) | instid1(SALU_CYCLE_1)
	v_add_co_ci_u32_e32 v14, vcc_lo, s13, v14, vcc_lo
	s_waitcnt lgkmcnt(6)
	global_store_b32 v[13:14], v11, off
	s_or_b32 exec_lo, exec_lo, s1
	s_mov_b32 s1, exec_lo
	v_cmpx_gt_u32_e64 s11, v35
	s_cbranch_execnz .LBB81_169
.LBB81_138:
	s_or_b32 exec_lo, exec_lo, s1
	s_delay_alu instid0(SALU_CYCLE_1)
	s_mov_b32 s1, exec_lo
	v_cmpx_gt_u32_e64 s11, v31
	s_cbranch_execz .LBB81_174
.LBB81_139:
	s_mov_b32 s3, exec_lo
                                        ; implicit-def: $vgpr11_vgpr12
	v_cmpx_ge_u32_e64 v31, v16
	s_xor_b32 s3, exec_lo, s3
	s_cbranch_execz .LBB81_141
; %bb.140:
	s_waitcnt lgkmcnt(6)
	v_xor_b32_e32 v11, 0xfffffdff, v0
                                        ; implicit-def: $vgpr31
	s_delay_alu instid0(VALU_DEP_1) | instskip(SKIP_1) | instid1(VALU_DEP_2)
	v_ashrrev_i32_e32 v12, 31, v11
	v_add_co_u32 v11, vcc_lo, v18, v11
	v_add_co_ci_u32_e32 v12, vcc_lo, v19, v12, vcc_lo
.LBB81_141:
	s_and_not1_saveexec_b32 s3, s3
	s_cbranch_execz .LBB81_143
; %bb.142:
	s_waitcnt lgkmcnt(6)
	v_add_co_u32 v11, vcc_lo, v15, v31
	v_add_co_ci_u32_e32 v12, vcc_lo, 0, v17, vcc_lo
.LBB81_143:
	s_or_b32 exec_lo, exec_lo, s3
	s_waitcnt lgkmcnt(6)
	s_delay_alu instid0(VALU_DEP_1) | instskip(NEXT) | instid1(VALU_DEP_1)
	v_lshlrev_b64 v[11:12], 2, v[11:12]
	v_add_co_u32 v11, vcc_lo, s12, v11
	s_delay_alu instid0(VALU_DEP_2) | instskip(SKIP_3) | instid1(SALU_CYCLE_1)
	v_add_co_ci_u32_e32 v12, vcc_lo, s13, v12, vcc_lo
	s_waitcnt lgkmcnt(5)
	global_store_b32 v[11:12], v9, off
	s_or_b32 exec_lo, exec_lo, s1
	s_mov_b32 s1, exec_lo
	v_cmpx_gt_u32_e64 s11, v30
	s_cbranch_execnz .LBB81_175
.LBB81_144:
	s_or_b32 exec_lo, exec_lo, s1
	s_delay_alu instid0(SALU_CYCLE_1)
	s_mov_b32 s1, exec_lo
	v_cmpx_gt_u32_e64 s11, v29
	s_cbranch_execz .LBB81_180
.LBB81_145:
	s_mov_b32 s3, exec_lo
                                        ; implicit-def: $vgpr9_vgpr10
	v_cmpx_ge_u32_e64 v29, v16
	s_xor_b32 s3, exec_lo, s3
	s_cbranch_execz .LBB81_147
; %bb.146:
	s_waitcnt lgkmcnt(5)
	v_xor_b32_e32 v9, 0xfffffbff, v0
                                        ; implicit-def: $vgpr29
	s_delay_alu instid0(VALU_DEP_1) | instskip(SKIP_1) | instid1(VALU_DEP_2)
	v_ashrrev_i32_e32 v10, 31, v9
	v_add_co_u32 v9, vcc_lo, v18, v9
	v_add_co_ci_u32_e32 v10, vcc_lo, v19, v10, vcc_lo
.LBB81_147:
	s_and_not1_saveexec_b32 s3, s3
	s_cbranch_execz .LBB81_149
; %bb.148:
	s_waitcnt lgkmcnt(5)
	v_add_co_u32 v9, vcc_lo, v15, v29
	v_add_co_ci_u32_e32 v10, vcc_lo, 0, v17, vcc_lo
.LBB81_149:
	s_or_b32 exec_lo, exec_lo, s3
	s_waitcnt lgkmcnt(5)
	s_delay_alu instid0(VALU_DEP_1) | instskip(NEXT) | instid1(VALU_DEP_1)
	v_lshlrev_b64 v[9:10], 2, v[9:10]
	v_add_co_u32 v9, vcc_lo, s12, v9
	s_delay_alu instid0(VALU_DEP_2) | instskip(SKIP_3) | instid1(SALU_CYCLE_1)
	v_add_co_ci_u32_e32 v10, vcc_lo, s13, v10, vcc_lo
	s_waitcnt lgkmcnt(4)
	global_store_b32 v[9:10], v7, off
	s_or_b32 exec_lo, exec_lo, s1
	s_mov_b32 s1, exec_lo
	v_cmpx_gt_u32_e64 s11, v28
	s_cbranch_execnz .LBB81_181
.LBB81_150:
	s_or_b32 exec_lo, exec_lo, s1
	s_delay_alu instid0(SALU_CYCLE_1)
	s_mov_b32 s1, exec_lo
	v_cmpx_gt_u32_e64 s11, v27
	s_cbranch_execz .LBB81_186
.LBB81_151:
	s_mov_b32 s3, exec_lo
                                        ; implicit-def: $vgpr7_vgpr8
	v_cmpx_ge_u32_e64 v27, v16
	s_xor_b32 s3, exec_lo, s3
	s_cbranch_execz .LBB81_153
; %bb.152:
	s_waitcnt lgkmcnt(4)
	v_xor_b32_e32 v7, 0xfffff9ff, v0
                                        ; implicit-def: $vgpr27
	s_delay_alu instid0(VALU_DEP_1) | instskip(SKIP_1) | instid1(VALU_DEP_2)
	v_ashrrev_i32_e32 v8, 31, v7
	v_add_co_u32 v7, vcc_lo, v18, v7
	v_add_co_ci_u32_e32 v8, vcc_lo, v19, v8, vcc_lo
.LBB81_153:
	s_and_not1_saveexec_b32 s3, s3
	s_cbranch_execz .LBB81_155
; %bb.154:
	s_waitcnt lgkmcnt(4)
	v_add_co_u32 v7, vcc_lo, v15, v27
	v_add_co_ci_u32_e32 v8, vcc_lo, 0, v17, vcc_lo
.LBB81_155:
	s_or_b32 exec_lo, exec_lo, s3
	s_waitcnt lgkmcnt(4)
	s_delay_alu instid0(VALU_DEP_1) | instskip(NEXT) | instid1(VALU_DEP_1)
	v_lshlrev_b64 v[7:8], 2, v[7:8]
	v_add_co_u32 v7, vcc_lo, s12, v7
	s_delay_alu instid0(VALU_DEP_2) | instskip(SKIP_3) | instid1(SALU_CYCLE_1)
	v_add_co_ci_u32_e32 v8, vcc_lo, s13, v8, vcc_lo
	s_waitcnt lgkmcnt(3)
	global_store_b32 v[7:8], v5, off
	s_or_b32 exec_lo, exec_lo, s1
	s_mov_b32 s1, exec_lo
	v_cmpx_gt_u32_e64 s11, v26
	s_cbranch_execnz .LBB81_187
.LBB81_156:
	s_or_b32 exec_lo, exec_lo, s1
	s_delay_alu instid0(SALU_CYCLE_1)
	s_mov_b32 s1, exec_lo
	v_cmpx_gt_u32_e64 s11, v25
	s_cbranch_execz .LBB81_192
.LBB81_157:
	s_mov_b32 s3, exec_lo
                                        ; implicit-def: $vgpr5_vgpr6
	v_cmpx_ge_u32_e64 v25, v16
	s_xor_b32 s3, exec_lo, s3
	s_cbranch_execz .LBB81_159
; %bb.158:
	s_waitcnt lgkmcnt(3)
	v_xor_b32_e32 v5, 0xfffff7ff, v0
                                        ; implicit-def: $vgpr25
	s_delay_alu instid0(VALU_DEP_1) | instskip(SKIP_1) | instid1(VALU_DEP_2)
	v_ashrrev_i32_e32 v6, 31, v5
	v_add_co_u32 v5, vcc_lo, v18, v5
	v_add_co_ci_u32_e32 v6, vcc_lo, v19, v6, vcc_lo
.LBB81_159:
	s_and_not1_saveexec_b32 s3, s3
	s_cbranch_execz .LBB81_161
; %bb.160:
	s_waitcnt lgkmcnt(3)
	v_add_co_u32 v5, vcc_lo, v15, v25
	v_add_co_ci_u32_e32 v6, vcc_lo, 0, v17, vcc_lo
.LBB81_161:
	s_or_b32 exec_lo, exec_lo, s3
	s_waitcnt lgkmcnt(3)
	s_delay_alu instid0(VALU_DEP_1) | instskip(NEXT) | instid1(VALU_DEP_1)
	v_lshlrev_b64 v[5:6], 2, v[5:6]
	v_add_co_u32 v5, vcc_lo, s12, v5
	s_delay_alu instid0(VALU_DEP_2) | instskip(SKIP_3) | instid1(SALU_CYCLE_1)
	v_add_co_ci_u32_e32 v6, vcc_lo, s13, v6, vcc_lo
	s_waitcnt lgkmcnt(2)
	global_store_b32 v[5:6], v3, off
	s_or_b32 exec_lo, exec_lo, s1
	s_mov_b32 s1, exec_lo
	v_cmpx_gt_u32_e64 s11, v24
	s_cbranch_execnz .LBB81_193
.LBB81_162:
	s_or_b32 exec_lo, exec_lo, s1
	s_delay_alu instid0(SALU_CYCLE_1)
	s_mov_b32 s1, exec_lo
	v_cmpx_gt_u32_e64 s11, v23
	s_cbranch_execz .LBB81_198
.LBB81_163:
	s_mov_b32 s3, exec_lo
                                        ; implicit-def: $vgpr3_vgpr4
	v_cmpx_ge_u32_e64 v23, v16
	s_xor_b32 s3, exec_lo, s3
	s_cbranch_execz .LBB81_165
; %bb.164:
	s_waitcnt lgkmcnt(2)
	v_xor_b32_e32 v3, 0xfffff5ff, v0
                                        ; implicit-def: $vgpr23
	s_delay_alu instid0(VALU_DEP_1) | instskip(SKIP_1) | instid1(VALU_DEP_2)
	v_ashrrev_i32_e32 v4, 31, v3
	v_add_co_u32 v3, vcc_lo, v18, v3
	v_add_co_ci_u32_e32 v4, vcc_lo, v19, v4, vcc_lo
.LBB81_165:
	s_and_not1_saveexec_b32 s3, s3
	s_cbranch_execz .LBB81_167
; %bb.166:
	s_waitcnt lgkmcnt(2)
	v_add_co_u32 v3, vcc_lo, v15, v23
	v_add_co_ci_u32_e32 v4, vcc_lo, 0, v17, vcc_lo
.LBB81_167:
	s_or_b32 exec_lo, exec_lo, s3
	s_waitcnt lgkmcnt(2)
	s_delay_alu instid0(VALU_DEP_1) | instskip(NEXT) | instid1(VALU_DEP_1)
	v_lshlrev_b64 v[3:4], 2, v[3:4]
	v_add_co_u32 v3, vcc_lo, s12, v3
	s_delay_alu instid0(VALU_DEP_2) | instskip(SKIP_3) | instid1(SALU_CYCLE_1)
	v_add_co_ci_u32_e32 v4, vcc_lo, s13, v4, vcc_lo
	s_waitcnt lgkmcnt(1)
	global_store_b32 v[3:4], v1, off
	s_or_b32 exec_lo, exec_lo, s1
	s_mov_b32 s1, exec_lo
	v_cmpx_gt_u32_e64 s11, v22
	s_cbranch_execz .LBB81_204
	s_branch .LBB81_199
.LBB81_168:
	s_or_b32 exec_lo, exec_lo, s1
	s_delay_alu instid0(SALU_CYCLE_1)
	s_mov_b32 s1, exec_lo
	v_cmpx_gt_u32_e64 s11, v35
	s_cbranch_execz .LBB81_138
.LBB81_169:
	s_mov_b32 s3, exec_lo
                                        ; implicit-def: $vgpr13_vgpr14
	v_cmpx_ge_u32_e64 v35, v16
	s_xor_b32 s3, exec_lo, s3
	s_cbranch_execz .LBB81_171
; %bb.170:
	s_waitcnt lgkmcnt(6)
	v_xor_b32_e32 v11, 0xfffffeff, v0
                                        ; implicit-def: $vgpr35
	s_delay_alu instid0(VALU_DEP_1) | instskip(SKIP_1) | instid1(VALU_DEP_2)
	v_ashrrev_i32_e32 v14, 31, v11
	v_add_co_u32 v13, vcc_lo, v18, v11
	v_add_co_ci_u32_e32 v14, vcc_lo, v19, v14, vcc_lo
.LBB81_171:
	s_and_not1_saveexec_b32 s3, s3
; %bb.172:
	v_add_co_u32 v13, vcc_lo, v15, v35
	v_add_co_ci_u32_e32 v14, vcc_lo, 0, v17, vcc_lo
; %bb.173:
	s_or_b32 exec_lo, exec_lo, s3
	s_delay_alu instid0(VALU_DEP_1) | instskip(NEXT) | instid1(VALU_DEP_1)
	v_lshlrev_b64 v[13:14], 2, v[13:14]
	v_add_co_u32 v13, vcc_lo, s12, v13
	s_delay_alu instid0(VALU_DEP_2) | instskip(SKIP_3) | instid1(SALU_CYCLE_1)
	v_add_co_ci_u32_e32 v14, vcc_lo, s13, v14, vcc_lo
	s_waitcnt lgkmcnt(6)
	global_store_b32 v[13:14], v12, off
	s_or_b32 exec_lo, exec_lo, s1
	s_mov_b32 s1, exec_lo
	v_cmpx_gt_u32_e64 s11, v31
	s_cbranch_execnz .LBB81_139
.LBB81_174:
	s_or_b32 exec_lo, exec_lo, s1
	s_delay_alu instid0(SALU_CYCLE_1)
	s_mov_b32 s1, exec_lo
	v_cmpx_gt_u32_e64 s11, v30
	s_cbranch_execz .LBB81_144
.LBB81_175:
	s_mov_b32 s3, exec_lo
                                        ; implicit-def: $vgpr11_vgpr12
	v_cmpx_ge_u32_e64 v30, v16
	s_xor_b32 s3, exec_lo, s3
	s_cbranch_execz .LBB81_177
; %bb.176:
	s_waitcnt lgkmcnt(5)
	v_xor_b32_e32 v9, 0xfffffcff, v0
                                        ; implicit-def: $vgpr30
	s_delay_alu instid0(VALU_DEP_1) | instskip(SKIP_1) | instid1(VALU_DEP_2)
	v_ashrrev_i32_e32 v12, 31, v9
	v_add_co_u32 v11, vcc_lo, v18, v9
	v_add_co_ci_u32_e32 v12, vcc_lo, v19, v12, vcc_lo
.LBB81_177:
	s_and_not1_saveexec_b32 s3, s3
	s_cbranch_execz .LBB81_179
; %bb.178:
	s_waitcnt lgkmcnt(6)
	v_add_co_u32 v11, vcc_lo, v15, v30
	v_add_co_ci_u32_e32 v12, vcc_lo, 0, v17, vcc_lo
.LBB81_179:
	s_or_b32 exec_lo, exec_lo, s3
	s_waitcnt lgkmcnt(6)
	s_delay_alu instid0(VALU_DEP_1) | instskip(NEXT) | instid1(VALU_DEP_1)
	v_lshlrev_b64 v[11:12], 2, v[11:12]
	v_add_co_u32 v11, vcc_lo, s12, v11
	s_delay_alu instid0(VALU_DEP_2) | instskip(SKIP_3) | instid1(SALU_CYCLE_1)
	v_add_co_ci_u32_e32 v12, vcc_lo, s13, v12, vcc_lo
	s_waitcnt lgkmcnt(5)
	global_store_b32 v[11:12], v10, off
	s_or_b32 exec_lo, exec_lo, s1
	s_mov_b32 s1, exec_lo
	v_cmpx_gt_u32_e64 s11, v29
	s_cbranch_execnz .LBB81_145
.LBB81_180:
	s_or_b32 exec_lo, exec_lo, s1
	s_delay_alu instid0(SALU_CYCLE_1)
	s_mov_b32 s1, exec_lo
	v_cmpx_gt_u32_e64 s11, v28
	s_cbranch_execz .LBB81_150
.LBB81_181:
	s_mov_b32 s3, exec_lo
                                        ; implicit-def: $vgpr9_vgpr10
	v_cmpx_ge_u32_e64 v28, v16
	s_xor_b32 s3, exec_lo, s3
	s_cbranch_execz .LBB81_183
; %bb.182:
	s_waitcnt lgkmcnt(4)
	v_xor_b32_e32 v7, 0xfffffaff, v0
                                        ; implicit-def: $vgpr28
	s_delay_alu instid0(VALU_DEP_1) | instskip(SKIP_1) | instid1(VALU_DEP_2)
	v_ashrrev_i32_e32 v10, 31, v7
	v_add_co_u32 v9, vcc_lo, v18, v7
	v_add_co_ci_u32_e32 v10, vcc_lo, v19, v10, vcc_lo
.LBB81_183:
	s_and_not1_saveexec_b32 s3, s3
	s_cbranch_execz .LBB81_185
; %bb.184:
	s_waitcnt lgkmcnt(5)
	v_add_co_u32 v9, vcc_lo, v15, v28
	v_add_co_ci_u32_e32 v10, vcc_lo, 0, v17, vcc_lo
.LBB81_185:
	s_or_b32 exec_lo, exec_lo, s3
	s_waitcnt lgkmcnt(5)
	s_delay_alu instid0(VALU_DEP_1) | instskip(NEXT) | instid1(VALU_DEP_1)
	v_lshlrev_b64 v[9:10], 2, v[9:10]
	v_add_co_u32 v9, vcc_lo, s12, v9
	s_delay_alu instid0(VALU_DEP_2) | instskip(SKIP_3) | instid1(SALU_CYCLE_1)
	v_add_co_ci_u32_e32 v10, vcc_lo, s13, v10, vcc_lo
	s_waitcnt lgkmcnt(4)
	global_store_b32 v[9:10], v8, off
	s_or_b32 exec_lo, exec_lo, s1
	s_mov_b32 s1, exec_lo
	v_cmpx_gt_u32_e64 s11, v27
	s_cbranch_execnz .LBB81_151
.LBB81_186:
	s_or_b32 exec_lo, exec_lo, s1
	s_delay_alu instid0(SALU_CYCLE_1)
	s_mov_b32 s1, exec_lo
	v_cmpx_gt_u32_e64 s11, v26
	s_cbranch_execz .LBB81_156
.LBB81_187:
	s_mov_b32 s3, exec_lo
                                        ; implicit-def: $vgpr7_vgpr8
	v_cmpx_ge_u32_e64 v26, v16
	s_xor_b32 s3, exec_lo, s3
	s_cbranch_execz .LBB81_189
; %bb.188:
	s_waitcnt lgkmcnt(3)
	v_xor_b32_e32 v5, 0xfffff8ff, v0
                                        ; implicit-def: $vgpr26
	s_delay_alu instid0(VALU_DEP_1) | instskip(SKIP_1) | instid1(VALU_DEP_2)
	v_ashrrev_i32_e32 v8, 31, v5
	v_add_co_u32 v7, vcc_lo, v18, v5
	v_add_co_ci_u32_e32 v8, vcc_lo, v19, v8, vcc_lo
.LBB81_189:
	s_and_not1_saveexec_b32 s3, s3
	s_cbranch_execz .LBB81_191
; %bb.190:
	s_waitcnt lgkmcnt(4)
	v_add_co_u32 v7, vcc_lo, v15, v26
	v_add_co_ci_u32_e32 v8, vcc_lo, 0, v17, vcc_lo
.LBB81_191:
	s_or_b32 exec_lo, exec_lo, s3
	s_waitcnt lgkmcnt(4)
	s_delay_alu instid0(VALU_DEP_1) | instskip(NEXT) | instid1(VALU_DEP_1)
	v_lshlrev_b64 v[7:8], 2, v[7:8]
	v_add_co_u32 v7, vcc_lo, s12, v7
	s_delay_alu instid0(VALU_DEP_2) | instskip(SKIP_3) | instid1(SALU_CYCLE_1)
	v_add_co_ci_u32_e32 v8, vcc_lo, s13, v8, vcc_lo
	s_waitcnt lgkmcnt(3)
	global_store_b32 v[7:8], v6, off
	s_or_b32 exec_lo, exec_lo, s1
	s_mov_b32 s1, exec_lo
	v_cmpx_gt_u32_e64 s11, v25
	s_cbranch_execnz .LBB81_157
.LBB81_192:
	s_or_b32 exec_lo, exec_lo, s1
	s_delay_alu instid0(SALU_CYCLE_1)
	s_mov_b32 s1, exec_lo
	v_cmpx_gt_u32_e64 s11, v24
	s_cbranch_execz .LBB81_162
.LBB81_193:
	s_mov_b32 s3, exec_lo
                                        ; implicit-def: $vgpr5_vgpr6
	v_cmpx_ge_u32_e64 v24, v16
	s_xor_b32 s3, exec_lo, s3
	s_cbranch_execz .LBB81_195
; %bb.194:
	s_waitcnt lgkmcnt(2)
	v_xor_b32_e32 v3, 0xfffff6ff, v0
                                        ; implicit-def: $vgpr24
	s_delay_alu instid0(VALU_DEP_1) | instskip(SKIP_1) | instid1(VALU_DEP_2)
	v_ashrrev_i32_e32 v6, 31, v3
	v_add_co_u32 v5, vcc_lo, v18, v3
	v_add_co_ci_u32_e32 v6, vcc_lo, v19, v6, vcc_lo
.LBB81_195:
	s_and_not1_saveexec_b32 s3, s3
	s_cbranch_execz .LBB81_197
; %bb.196:
	s_waitcnt lgkmcnt(3)
	v_add_co_u32 v5, vcc_lo, v15, v24
	v_add_co_ci_u32_e32 v6, vcc_lo, 0, v17, vcc_lo
.LBB81_197:
	s_or_b32 exec_lo, exec_lo, s3
	s_waitcnt lgkmcnt(3)
	s_delay_alu instid0(VALU_DEP_1) | instskip(NEXT) | instid1(VALU_DEP_1)
	v_lshlrev_b64 v[5:6], 2, v[5:6]
	v_add_co_u32 v5, vcc_lo, s12, v5
	s_delay_alu instid0(VALU_DEP_2) | instskip(SKIP_3) | instid1(SALU_CYCLE_1)
	v_add_co_ci_u32_e32 v6, vcc_lo, s13, v6, vcc_lo
	s_waitcnt lgkmcnt(2)
	global_store_b32 v[5:6], v4, off
	s_or_b32 exec_lo, exec_lo, s1
	s_mov_b32 s1, exec_lo
	v_cmpx_gt_u32_e64 s11, v23
	s_cbranch_execnz .LBB81_163
.LBB81_198:
	s_or_b32 exec_lo, exec_lo, s1
	s_delay_alu instid0(SALU_CYCLE_1)
	s_mov_b32 s1, exec_lo
	v_cmpx_gt_u32_e64 s11, v22
	s_cbranch_execz .LBB81_204
.LBB81_199:
	s_mov_b32 s3, exec_lo
                                        ; implicit-def: $vgpr3_vgpr4
	v_cmpx_ge_u32_e64 v22, v16
	s_xor_b32 s3, exec_lo, s3
	s_cbranch_execz .LBB81_201
; %bb.200:
	s_waitcnt lgkmcnt(1)
	v_xor_b32_e32 v1, 0xfffff4ff, v0
                                        ; implicit-def: $vgpr22
	s_delay_alu instid0(VALU_DEP_1) | instskip(SKIP_1) | instid1(VALU_DEP_2)
	v_ashrrev_i32_e32 v4, 31, v1
	v_add_co_u32 v3, vcc_lo, v18, v1
	v_add_co_ci_u32_e32 v4, vcc_lo, v19, v4, vcc_lo
.LBB81_201:
	s_and_not1_saveexec_b32 s3, s3
	s_cbranch_execz .LBB81_203
; %bb.202:
	s_waitcnt lgkmcnt(2)
	v_add_co_u32 v3, vcc_lo, v15, v22
	v_add_co_ci_u32_e32 v4, vcc_lo, 0, v17, vcc_lo
.LBB81_203:
	s_or_b32 exec_lo, exec_lo, s3
	s_waitcnt lgkmcnt(2)
	s_delay_alu instid0(VALU_DEP_1) | instskip(NEXT) | instid1(VALU_DEP_1)
	v_lshlrev_b64 v[3:4], 2, v[3:4]
	v_add_co_u32 v3, vcc_lo, s12, v3
	s_delay_alu instid0(VALU_DEP_2)
	v_add_co_ci_u32_e32 v4, vcc_lo, s13, v4, vcc_lo
	s_waitcnt lgkmcnt(1)
	global_store_b32 v[3:4], v2, off
.LBB81_204:
	s_or_b32 exec_lo, exec_lo, s1
	s_delay_alu instid0(SALU_CYCLE_1)
	s_mov_b32 s1, exec_lo
                                        ; implicit-def: $vgpr13_vgpr14
	v_cmpx_gt_u32_e64 s11, v21
	s_cbranch_execz .LBB81_210
; %bb.205:
	s_mov_b32 s3, exec_lo
                                        ; implicit-def: $vgpr13_vgpr14
	v_cmpx_ge_u32_e64 v21, v16
	s_xor_b32 s3, exec_lo, s3
	s_cbranch_execz .LBB81_207
; %bb.206:
	v_xor_b32_e32 v0, 0xfffff3ff, v0
                                        ; implicit-def: $vgpr21
	s_waitcnt lgkmcnt(1)
	s_delay_alu instid0(VALU_DEP_1) | instskip(SKIP_1) | instid1(VALU_DEP_2)
	v_ashrrev_i32_e32 v1, 31, v0
	v_add_co_u32 v13, vcc_lo, v18, v0
	v_add_co_ci_u32_e32 v14, vcc_lo, v19, v1, vcc_lo
.LBB81_207:
	s_and_not1_saveexec_b32 s3, s3
; %bb.208:
	v_add_co_u32 v13, vcc_lo, v15, v21
	v_add_co_ci_u32_e32 v14, vcc_lo, 0, v17, vcc_lo
; %bb.209:
	s_or_b32 exec_lo, exec_lo, s3
	s_delay_alu instid0(SALU_CYCLE_1)
	s_or_b32 s0, s0, exec_lo
.LBB81_210:
	s_or_b32 exec_lo, exec_lo, s1
	s_and_saveexec_b32 s1, s0
	s_cbranch_execnz .LBB81_129
.LBB81_211:
	s_or_b32 exec_lo, exec_lo, s1
	s_and_b32 s0, s2, s10
	s_delay_alu instid0(SALU_CYCLE_1)
	s_and_saveexec_b32 s1, s0
	s_cbranch_execz .LBB81_130
.LBB81_212:
	v_add_co_u32 v0, vcc_lo, v15, v16
	s_waitcnt lgkmcnt(1)
	v_mov_b32_e32 v2, 0
	v_add_co_ci_u32_e32 v1, vcc_lo, 0, v17, vcc_lo
	global_store_b64 v2, v[0:1], s[8:9]
	s_nop 0
	s_sendmsg sendmsg(MSG_DEALLOC_VGPRS)
	s_endpgm
	.section	.rodata,"a",@progbits
	.p2align	6, 0x0
	.amdhsa_kernel _ZN7rocprim17ROCPRIM_400000_NS6detail17trampoline_kernelINS0_13select_configILj256ELj13ELNS0_17block_load_methodE3ELS4_3ELS4_3ELNS0_20block_scan_algorithmE0ELj4294967295EEENS1_25partition_config_selectorILNS1_17partition_subalgoE3EjNS0_10empty_typeEbEEZZNS1_14partition_implILS8_3ELb0ES6_jNS0_17counting_iteratorIjlEEPS9_SE_NS0_5tupleIJPjSE_EEENSF_IJSE_SE_EEES9_SG_JZNS1_25segmented_radix_sort_implINS0_14default_configELb1EPKhPhPKlPlN2at6native12_GLOBAL__N_18offset_tEEE10hipError_tPvRmT1_PNSt15iterator_traitsISY_E10value_typeET2_T3_PNSZ_IS14_E10value_typeET4_jRbjT5_S1A_jjP12ihipStream_tbEUljE_EEESV_SW_SX_S14_S18_S1A_T6_T7_T9_mT8_S1C_bDpT10_ENKUlT_T0_E_clISt17integral_constantIbLb0EES1O_IbLb1EEEEDaS1K_S1L_EUlS1K_E_NS1_11comp_targetILNS1_3genE9ELNS1_11target_archE1100ELNS1_3gpuE3ELNS1_3repE0EEENS1_30default_config_static_selectorELNS0_4arch9wavefront6targetE0EEEvSY_
		.amdhsa_group_segment_fixed_size 13324
		.amdhsa_private_segment_fixed_size 0
		.amdhsa_kernarg_size 152
		.amdhsa_user_sgpr_count 15
		.amdhsa_user_sgpr_dispatch_ptr 0
		.amdhsa_user_sgpr_queue_ptr 0
		.amdhsa_user_sgpr_kernarg_segment_ptr 1
		.amdhsa_user_sgpr_dispatch_id 0
		.amdhsa_user_sgpr_private_segment_size 0
		.amdhsa_wavefront_size32 1
		.amdhsa_uses_dynamic_stack 0
		.amdhsa_enable_private_segment 0
		.amdhsa_system_sgpr_workgroup_id_x 1
		.amdhsa_system_sgpr_workgroup_id_y 0
		.amdhsa_system_sgpr_workgroup_id_z 0
		.amdhsa_system_sgpr_workgroup_info 0
		.amdhsa_system_vgpr_workitem_id 0
		.amdhsa_next_free_vgpr 60
		.amdhsa_next_free_sgpr 26
		.amdhsa_reserve_vcc 1
		.amdhsa_float_round_mode_32 0
		.amdhsa_float_round_mode_16_64 0
		.amdhsa_float_denorm_mode_32 3
		.amdhsa_float_denorm_mode_16_64 3
		.amdhsa_dx10_clamp 1
		.amdhsa_ieee_mode 1
		.amdhsa_fp16_overflow 0
		.amdhsa_workgroup_processor_mode 1
		.amdhsa_memory_ordered 1
		.amdhsa_forward_progress 0
		.amdhsa_shared_vgpr_count 0
		.amdhsa_exception_fp_ieee_invalid_op 0
		.amdhsa_exception_fp_denorm_src 0
		.amdhsa_exception_fp_ieee_div_zero 0
		.amdhsa_exception_fp_ieee_overflow 0
		.amdhsa_exception_fp_ieee_underflow 0
		.amdhsa_exception_fp_ieee_inexact 0
		.amdhsa_exception_int_div_zero 0
	.end_amdhsa_kernel
	.section	.text._ZN7rocprim17ROCPRIM_400000_NS6detail17trampoline_kernelINS0_13select_configILj256ELj13ELNS0_17block_load_methodE3ELS4_3ELS4_3ELNS0_20block_scan_algorithmE0ELj4294967295EEENS1_25partition_config_selectorILNS1_17partition_subalgoE3EjNS0_10empty_typeEbEEZZNS1_14partition_implILS8_3ELb0ES6_jNS0_17counting_iteratorIjlEEPS9_SE_NS0_5tupleIJPjSE_EEENSF_IJSE_SE_EEES9_SG_JZNS1_25segmented_radix_sort_implINS0_14default_configELb1EPKhPhPKlPlN2at6native12_GLOBAL__N_18offset_tEEE10hipError_tPvRmT1_PNSt15iterator_traitsISY_E10value_typeET2_T3_PNSZ_IS14_E10value_typeET4_jRbjT5_S1A_jjP12ihipStream_tbEUljE_EEESV_SW_SX_S14_S18_S1A_T6_T7_T9_mT8_S1C_bDpT10_ENKUlT_T0_E_clISt17integral_constantIbLb0EES1O_IbLb1EEEEDaS1K_S1L_EUlS1K_E_NS1_11comp_targetILNS1_3genE9ELNS1_11target_archE1100ELNS1_3gpuE3ELNS1_3repE0EEENS1_30default_config_static_selectorELNS0_4arch9wavefront6targetE0EEEvSY_,"axG",@progbits,_ZN7rocprim17ROCPRIM_400000_NS6detail17trampoline_kernelINS0_13select_configILj256ELj13ELNS0_17block_load_methodE3ELS4_3ELS4_3ELNS0_20block_scan_algorithmE0ELj4294967295EEENS1_25partition_config_selectorILNS1_17partition_subalgoE3EjNS0_10empty_typeEbEEZZNS1_14partition_implILS8_3ELb0ES6_jNS0_17counting_iteratorIjlEEPS9_SE_NS0_5tupleIJPjSE_EEENSF_IJSE_SE_EEES9_SG_JZNS1_25segmented_radix_sort_implINS0_14default_configELb1EPKhPhPKlPlN2at6native12_GLOBAL__N_18offset_tEEE10hipError_tPvRmT1_PNSt15iterator_traitsISY_E10value_typeET2_T3_PNSZ_IS14_E10value_typeET4_jRbjT5_S1A_jjP12ihipStream_tbEUljE_EEESV_SW_SX_S14_S18_S1A_T6_T7_T9_mT8_S1C_bDpT10_ENKUlT_T0_E_clISt17integral_constantIbLb0EES1O_IbLb1EEEEDaS1K_S1L_EUlS1K_E_NS1_11comp_targetILNS1_3genE9ELNS1_11target_archE1100ELNS1_3gpuE3ELNS1_3repE0EEENS1_30default_config_static_selectorELNS0_4arch9wavefront6targetE0EEEvSY_,comdat
.Lfunc_end81:
	.size	_ZN7rocprim17ROCPRIM_400000_NS6detail17trampoline_kernelINS0_13select_configILj256ELj13ELNS0_17block_load_methodE3ELS4_3ELS4_3ELNS0_20block_scan_algorithmE0ELj4294967295EEENS1_25partition_config_selectorILNS1_17partition_subalgoE3EjNS0_10empty_typeEbEEZZNS1_14partition_implILS8_3ELb0ES6_jNS0_17counting_iteratorIjlEEPS9_SE_NS0_5tupleIJPjSE_EEENSF_IJSE_SE_EEES9_SG_JZNS1_25segmented_radix_sort_implINS0_14default_configELb1EPKhPhPKlPlN2at6native12_GLOBAL__N_18offset_tEEE10hipError_tPvRmT1_PNSt15iterator_traitsISY_E10value_typeET2_T3_PNSZ_IS14_E10value_typeET4_jRbjT5_S1A_jjP12ihipStream_tbEUljE_EEESV_SW_SX_S14_S18_S1A_T6_T7_T9_mT8_S1C_bDpT10_ENKUlT_T0_E_clISt17integral_constantIbLb0EES1O_IbLb1EEEEDaS1K_S1L_EUlS1K_E_NS1_11comp_targetILNS1_3genE9ELNS1_11target_archE1100ELNS1_3gpuE3ELNS1_3repE0EEENS1_30default_config_static_selectorELNS0_4arch9wavefront6targetE0EEEvSY_, .Lfunc_end81-_ZN7rocprim17ROCPRIM_400000_NS6detail17trampoline_kernelINS0_13select_configILj256ELj13ELNS0_17block_load_methodE3ELS4_3ELS4_3ELNS0_20block_scan_algorithmE0ELj4294967295EEENS1_25partition_config_selectorILNS1_17partition_subalgoE3EjNS0_10empty_typeEbEEZZNS1_14partition_implILS8_3ELb0ES6_jNS0_17counting_iteratorIjlEEPS9_SE_NS0_5tupleIJPjSE_EEENSF_IJSE_SE_EEES9_SG_JZNS1_25segmented_radix_sort_implINS0_14default_configELb1EPKhPhPKlPlN2at6native12_GLOBAL__N_18offset_tEEE10hipError_tPvRmT1_PNSt15iterator_traitsISY_E10value_typeET2_T3_PNSZ_IS14_E10value_typeET4_jRbjT5_S1A_jjP12ihipStream_tbEUljE_EEESV_SW_SX_S14_S18_S1A_T6_T7_T9_mT8_S1C_bDpT10_ENKUlT_T0_E_clISt17integral_constantIbLb0EES1O_IbLb1EEEEDaS1K_S1L_EUlS1K_E_NS1_11comp_targetILNS1_3genE9ELNS1_11target_archE1100ELNS1_3gpuE3ELNS1_3repE0EEENS1_30default_config_static_selectorELNS0_4arch9wavefront6targetE0EEEvSY_
                                        ; -- End function
	.section	.AMDGPU.csdata,"",@progbits
; Kernel info:
; codeLenInByte = 9040
; NumSgprs: 28
; NumVgprs: 60
; ScratchSize: 0
; MemoryBound: 0
; FloatMode: 240
; IeeeMode: 1
; LDSByteSize: 13324 bytes/workgroup (compile time only)
; SGPRBlocks: 3
; VGPRBlocks: 7
; NumSGPRsForWavesPerEU: 28
; NumVGPRsForWavesPerEU: 60
; Occupancy: 16
; WaveLimiterHint : 0
; COMPUTE_PGM_RSRC2:SCRATCH_EN: 0
; COMPUTE_PGM_RSRC2:USER_SGPR: 15
; COMPUTE_PGM_RSRC2:TRAP_HANDLER: 0
; COMPUTE_PGM_RSRC2:TGID_X_EN: 1
; COMPUTE_PGM_RSRC2:TGID_Y_EN: 0
; COMPUTE_PGM_RSRC2:TGID_Z_EN: 0
; COMPUTE_PGM_RSRC2:TIDIG_COMP_CNT: 0
	.section	.text._ZN7rocprim17ROCPRIM_400000_NS6detail17trampoline_kernelINS0_13select_configILj256ELj13ELNS0_17block_load_methodE3ELS4_3ELS4_3ELNS0_20block_scan_algorithmE0ELj4294967295EEENS1_25partition_config_selectorILNS1_17partition_subalgoE3EjNS0_10empty_typeEbEEZZNS1_14partition_implILS8_3ELb0ES6_jNS0_17counting_iteratorIjlEEPS9_SE_NS0_5tupleIJPjSE_EEENSF_IJSE_SE_EEES9_SG_JZNS1_25segmented_radix_sort_implINS0_14default_configELb1EPKhPhPKlPlN2at6native12_GLOBAL__N_18offset_tEEE10hipError_tPvRmT1_PNSt15iterator_traitsISY_E10value_typeET2_T3_PNSZ_IS14_E10value_typeET4_jRbjT5_S1A_jjP12ihipStream_tbEUljE_EEESV_SW_SX_S14_S18_S1A_T6_T7_T9_mT8_S1C_bDpT10_ENKUlT_T0_E_clISt17integral_constantIbLb0EES1O_IbLb1EEEEDaS1K_S1L_EUlS1K_E_NS1_11comp_targetILNS1_3genE8ELNS1_11target_archE1030ELNS1_3gpuE2ELNS1_3repE0EEENS1_30default_config_static_selectorELNS0_4arch9wavefront6targetE0EEEvSY_,"axG",@progbits,_ZN7rocprim17ROCPRIM_400000_NS6detail17trampoline_kernelINS0_13select_configILj256ELj13ELNS0_17block_load_methodE3ELS4_3ELS4_3ELNS0_20block_scan_algorithmE0ELj4294967295EEENS1_25partition_config_selectorILNS1_17partition_subalgoE3EjNS0_10empty_typeEbEEZZNS1_14partition_implILS8_3ELb0ES6_jNS0_17counting_iteratorIjlEEPS9_SE_NS0_5tupleIJPjSE_EEENSF_IJSE_SE_EEES9_SG_JZNS1_25segmented_radix_sort_implINS0_14default_configELb1EPKhPhPKlPlN2at6native12_GLOBAL__N_18offset_tEEE10hipError_tPvRmT1_PNSt15iterator_traitsISY_E10value_typeET2_T3_PNSZ_IS14_E10value_typeET4_jRbjT5_S1A_jjP12ihipStream_tbEUljE_EEESV_SW_SX_S14_S18_S1A_T6_T7_T9_mT8_S1C_bDpT10_ENKUlT_T0_E_clISt17integral_constantIbLb0EES1O_IbLb1EEEEDaS1K_S1L_EUlS1K_E_NS1_11comp_targetILNS1_3genE8ELNS1_11target_archE1030ELNS1_3gpuE2ELNS1_3repE0EEENS1_30default_config_static_selectorELNS0_4arch9wavefront6targetE0EEEvSY_,comdat
	.globl	_ZN7rocprim17ROCPRIM_400000_NS6detail17trampoline_kernelINS0_13select_configILj256ELj13ELNS0_17block_load_methodE3ELS4_3ELS4_3ELNS0_20block_scan_algorithmE0ELj4294967295EEENS1_25partition_config_selectorILNS1_17partition_subalgoE3EjNS0_10empty_typeEbEEZZNS1_14partition_implILS8_3ELb0ES6_jNS0_17counting_iteratorIjlEEPS9_SE_NS0_5tupleIJPjSE_EEENSF_IJSE_SE_EEES9_SG_JZNS1_25segmented_radix_sort_implINS0_14default_configELb1EPKhPhPKlPlN2at6native12_GLOBAL__N_18offset_tEEE10hipError_tPvRmT1_PNSt15iterator_traitsISY_E10value_typeET2_T3_PNSZ_IS14_E10value_typeET4_jRbjT5_S1A_jjP12ihipStream_tbEUljE_EEESV_SW_SX_S14_S18_S1A_T6_T7_T9_mT8_S1C_bDpT10_ENKUlT_T0_E_clISt17integral_constantIbLb0EES1O_IbLb1EEEEDaS1K_S1L_EUlS1K_E_NS1_11comp_targetILNS1_3genE8ELNS1_11target_archE1030ELNS1_3gpuE2ELNS1_3repE0EEENS1_30default_config_static_selectorELNS0_4arch9wavefront6targetE0EEEvSY_ ; -- Begin function _ZN7rocprim17ROCPRIM_400000_NS6detail17trampoline_kernelINS0_13select_configILj256ELj13ELNS0_17block_load_methodE3ELS4_3ELS4_3ELNS0_20block_scan_algorithmE0ELj4294967295EEENS1_25partition_config_selectorILNS1_17partition_subalgoE3EjNS0_10empty_typeEbEEZZNS1_14partition_implILS8_3ELb0ES6_jNS0_17counting_iteratorIjlEEPS9_SE_NS0_5tupleIJPjSE_EEENSF_IJSE_SE_EEES9_SG_JZNS1_25segmented_radix_sort_implINS0_14default_configELb1EPKhPhPKlPlN2at6native12_GLOBAL__N_18offset_tEEE10hipError_tPvRmT1_PNSt15iterator_traitsISY_E10value_typeET2_T3_PNSZ_IS14_E10value_typeET4_jRbjT5_S1A_jjP12ihipStream_tbEUljE_EEESV_SW_SX_S14_S18_S1A_T6_T7_T9_mT8_S1C_bDpT10_ENKUlT_T0_E_clISt17integral_constantIbLb0EES1O_IbLb1EEEEDaS1K_S1L_EUlS1K_E_NS1_11comp_targetILNS1_3genE8ELNS1_11target_archE1030ELNS1_3gpuE2ELNS1_3repE0EEENS1_30default_config_static_selectorELNS0_4arch9wavefront6targetE0EEEvSY_
	.p2align	8
	.type	_ZN7rocprim17ROCPRIM_400000_NS6detail17trampoline_kernelINS0_13select_configILj256ELj13ELNS0_17block_load_methodE3ELS4_3ELS4_3ELNS0_20block_scan_algorithmE0ELj4294967295EEENS1_25partition_config_selectorILNS1_17partition_subalgoE3EjNS0_10empty_typeEbEEZZNS1_14partition_implILS8_3ELb0ES6_jNS0_17counting_iteratorIjlEEPS9_SE_NS0_5tupleIJPjSE_EEENSF_IJSE_SE_EEES9_SG_JZNS1_25segmented_radix_sort_implINS0_14default_configELb1EPKhPhPKlPlN2at6native12_GLOBAL__N_18offset_tEEE10hipError_tPvRmT1_PNSt15iterator_traitsISY_E10value_typeET2_T3_PNSZ_IS14_E10value_typeET4_jRbjT5_S1A_jjP12ihipStream_tbEUljE_EEESV_SW_SX_S14_S18_S1A_T6_T7_T9_mT8_S1C_bDpT10_ENKUlT_T0_E_clISt17integral_constantIbLb0EES1O_IbLb1EEEEDaS1K_S1L_EUlS1K_E_NS1_11comp_targetILNS1_3genE8ELNS1_11target_archE1030ELNS1_3gpuE2ELNS1_3repE0EEENS1_30default_config_static_selectorELNS0_4arch9wavefront6targetE0EEEvSY_,@function
_ZN7rocprim17ROCPRIM_400000_NS6detail17trampoline_kernelINS0_13select_configILj256ELj13ELNS0_17block_load_methodE3ELS4_3ELS4_3ELNS0_20block_scan_algorithmE0ELj4294967295EEENS1_25partition_config_selectorILNS1_17partition_subalgoE3EjNS0_10empty_typeEbEEZZNS1_14partition_implILS8_3ELb0ES6_jNS0_17counting_iteratorIjlEEPS9_SE_NS0_5tupleIJPjSE_EEENSF_IJSE_SE_EEES9_SG_JZNS1_25segmented_radix_sort_implINS0_14default_configELb1EPKhPhPKlPlN2at6native12_GLOBAL__N_18offset_tEEE10hipError_tPvRmT1_PNSt15iterator_traitsISY_E10value_typeET2_T3_PNSZ_IS14_E10value_typeET4_jRbjT5_S1A_jjP12ihipStream_tbEUljE_EEESV_SW_SX_S14_S18_S1A_T6_T7_T9_mT8_S1C_bDpT10_ENKUlT_T0_E_clISt17integral_constantIbLb0EES1O_IbLb1EEEEDaS1K_S1L_EUlS1K_E_NS1_11comp_targetILNS1_3genE8ELNS1_11target_archE1030ELNS1_3gpuE2ELNS1_3repE0EEENS1_30default_config_static_selectorELNS0_4arch9wavefront6targetE0EEEvSY_: ; @_ZN7rocprim17ROCPRIM_400000_NS6detail17trampoline_kernelINS0_13select_configILj256ELj13ELNS0_17block_load_methodE3ELS4_3ELS4_3ELNS0_20block_scan_algorithmE0ELj4294967295EEENS1_25partition_config_selectorILNS1_17partition_subalgoE3EjNS0_10empty_typeEbEEZZNS1_14partition_implILS8_3ELb0ES6_jNS0_17counting_iteratorIjlEEPS9_SE_NS0_5tupleIJPjSE_EEENSF_IJSE_SE_EEES9_SG_JZNS1_25segmented_radix_sort_implINS0_14default_configELb1EPKhPhPKlPlN2at6native12_GLOBAL__N_18offset_tEEE10hipError_tPvRmT1_PNSt15iterator_traitsISY_E10value_typeET2_T3_PNSZ_IS14_E10value_typeET4_jRbjT5_S1A_jjP12ihipStream_tbEUljE_EEESV_SW_SX_S14_S18_S1A_T6_T7_T9_mT8_S1C_bDpT10_ENKUlT_T0_E_clISt17integral_constantIbLb0EES1O_IbLb1EEEEDaS1K_S1L_EUlS1K_E_NS1_11comp_targetILNS1_3genE8ELNS1_11target_archE1030ELNS1_3gpuE2ELNS1_3repE0EEENS1_30default_config_static_selectorELNS0_4arch9wavefront6targetE0EEEvSY_
; %bb.0:
	.section	.rodata,"a",@progbits
	.p2align	6, 0x0
	.amdhsa_kernel _ZN7rocprim17ROCPRIM_400000_NS6detail17trampoline_kernelINS0_13select_configILj256ELj13ELNS0_17block_load_methodE3ELS4_3ELS4_3ELNS0_20block_scan_algorithmE0ELj4294967295EEENS1_25partition_config_selectorILNS1_17partition_subalgoE3EjNS0_10empty_typeEbEEZZNS1_14partition_implILS8_3ELb0ES6_jNS0_17counting_iteratorIjlEEPS9_SE_NS0_5tupleIJPjSE_EEENSF_IJSE_SE_EEES9_SG_JZNS1_25segmented_radix_sort_implINS0_14default_configELb1EPKhPhPKlPlN2at6native12_GLOBAL__N_18offset_tEEE10hipError_tPvRmT1_PNSt15iterator_traitsISY_E10value_typeET2_T3_PNSZ_IS14_E10value_typeET4_jRbjT5_S1A_jjP12ihipStream_tbEUljE_EEESV_SW_SX_S14_S18_S1A_T6_T7_T9_mT8_S1C_bDpT10_ENKUlT_T0_E_clISt17integral_constantIbLb0EES1O_IbLb1EEEEDaS1K_S1L_EUlS1K_E_NS1_11comp_targetILNS1_3genE8ELNS1_11target_archE1030ELNS1_3gpuE2ELNS1_3repE0EEENS1_30default_config_static_selectorELNS0_4arch9wavefront6targetE0EEEvSY_
		.amdhsa_group_segment_fixed_size 0
		.amdhsa_private_segment_fixed_size 0
		.amdhsa_kernarg_size 152
		.amdhsa_user_sgpr_count 15
		.amdhsa_user_sgpr_dispatch_ptr 0
		.amdhsa_user_sgpr_queue_ptr 0
		.amdhsa_user_sgpr_kernarg_segment_ptr 1
		.amdhsa_user_sgpr_dispatch_id 0
		.amdhsa_user_sgpr_private_segment_size 0
		.amdhsa_wavefront_size32 1
		.amdhsa_uses_dynamic_stack 0
		.amdhsa_enable_private_segment 0
		.amdhsa_system_sgpr_workgroup_id_x 1
		.amdhsa_system_sgpr_workgroup_id_y 0
		.amdhsa_system_sgpr_workgroup_id_z 0
		.amdhsa_system_sgpr_workgroup_info 0
		.amdhsa_system_vgpr_workitem_id 0
		.amdhsa_next_free_vgpr 1
		.amdhsa_next_free_sgpr 1
		.amdhsa_reserve_vcc 0
		.amdhsa_float_round_mode_32 0
		.amdhsa_float_round_mode_16_64 0
		.amdhsa_float_denorm_mode_32 3
		.amdhsa_float_denorm_mode_16_64 3
		.amdhsa_dx10_clamp 1
		.amdhsa_ieee_mode 1
		.amdhsa_fp16_overflow 0
		.amdhsa_workgroup_processor_mode 1
		.amdhsa_memory_ordered 1
		.amdhsa_forward_progress 0
		.amdhsa_shared_vgpr_count 0
		.amdhsa_exception_fp_ieee_invalid_op 0
		.amdhsa_exception_fp_denorm_src 0
		.amdhsa_exception_fp_ieee_div_zero 0
		.amdhsa_exception_fp_ieee_overflow 0
		.amdhsa_exception_fp_ieee_underflow 0
		.amdhsa_exception_fp_ieee_inexact 0
		.amdhsa_exception_int_div_zero 0
	.end_amdhsa_kernel
	.section	.text._ZN7rocprim17ROCPRIM_400000_NS6detail17trampoline_kernelINS0_13select_configILj256ELj13ELNS0_17block_load_methodE3ELS4_3ELS4_3ELNS0_20block_scan_algorithmE0ELj4294967295EEENS1_25partition_config_selectorILNS1_17partition_subalgoE3EjNS0_10empty_typeEbEEZZNS1_14partition_implILS8_3ELb0ES6_jNS0_17counting_iteratorIjlEEPS9_SE_NS0_5tupleIJPjSE_EEENSF_IJSE_SE_EEES9_SG_JZNS1_25segmented_radix_sort_implINS0_14default_configELb1EPKhPhPKlPlN2at6native12_GLOBAL__N_18offset_tEEE10hipError_tPvRmT1_PNSt15iterator_traitsISY_E10value_typeET2_T3_PNSZ_IS14_E10value_typeET4_jRbjT5_S1A_jjP12ihipStream_tbEUljE_EEESV_SW_SX_S14_S18_S1A_T6_T7_T9_mT8_S1C_bDpT10_ENKUlT_T0_E_clISt17integral_constantIbLb0EES1O_IbLb1EEEEDaS1K_S1L_EUlS1K_E_NS1_11comp_targetILNS1_3genE8ELNS1_11target_archE1030ELNS1_3gpuE2ELNS1_3repE0EEENS1_30default_config_static_selectorELNS0_4arch9wavefront6targetE0EEEvSY_,"axG",@progbits,_ZN7rocprim17ROCPRIM_400000_NS6detail17trampoline_kernelINS0_13select_configILj256ELj13ELNS0_17block_load_methodE3ELS4_3ELS4_3ELNS0_20block_scan_algorithmE0ELj4294967295EEENS1_25partition_config_selectorILNS1_17partition_subalgoE3EjNS0_10empty_typeEbEEZZNS1_14partition_implILS8_3ELb0ES6_jNS0_17counting_iteratorIjlEEPS9_SE_NS0_5tupleIJPjSE_EEENSF_IJSE_SE_EEES9_SG_JZNS1_25segmented_radix_sort_implINS0_14default_configELb1EPKhPhPKlPlN2at6native12_GLOBAL__N_18offset_tEEE10hipError_tPvRmT1_PNSt15iterator_traitsISY_E10value_typeET2_T3_PNSZ_IS14_E10value_typeET4_jRbjT5_S1A_jjP12ihipStream_tbEUljE_EEESV_SW_SX_S14_S18_S1A_T6_T7_T9_mT8_S1C_bDpT10_ENKUlT_T0_E_clISt17integral_constantIbLb0EES1O_IbLb1EEEEDaS1K_S1L_EUlS1K_E_NS1_11comp_targetILNS1_3genE8ELNS1_11target_archE1030ELNS1_3gpuE2ELNS1_3repE0EEENS1_30default_config_static_selectorELNS0_4arch9wavefront6targetE0EEEvSY_,comdat
.Lfunc_end82:
	.size	_ZN7rocprim17ROCPRIM_400000_NS6detail17trampoline_kernelINS0_13select_configILj256ELj13ELNS0_17block_load_methodE3ELS4_3ELS4_3ELNS0_20block_scan_algorithmE0ELj4294967295EEENS1_25partition_config_selectorILNS1_17partition_subalgoE3EjNS0_10empty_typeEbEEZZNS1_14partition_implILS8_3ELb0ES6_jNS0_17counting_iteratorIjlEEPS9_SE_NS0_5tupleIJPjSE_EEENSF_IJSE_SE_EEES9_SG_JZNS1_25segmented_radix_sort_implINS0_14default_configELb1EPKhPhPKlPlN2at6native12_GLOBAL__N_18offset_tEEE10hipError_tPvRmT1_PNSt15iterator_traitsISY_E10value_typeET2_T3_PNSZ_IS14_E10value_typeET4_jRbjT5_S1A_jjP12ihipStream_tbEUljE_EEESV_SW_SX_S14_S18_S1A_T6_T7_T9_mT8_S1C_bDpT10_ENKUlT_T0_E_clISt17integral_constantIbLb0EES1O_IbLb1EEEEDaS1K_S1L_EUlS1K_E_NS1_11comp_targetILNS1_3genE8ELNS1_11target_archE1030ELNS1_3gpuE2ELNS1_3repE0EEENS1_30default_config_static_selectorELNS0_4arch9wavefront6targetE0EEEvSY_, .Lfunc_end82-_ZN7rocprim17ROCPRIM_400000_NS6detail17trampoline_kernelINS0_13select_configILj256ELj13ELNS0_17block_load_methodE3ELS4_3ELS4_3ELNS0_20block_scan_algorithmE0ELj4294967295EEENS1_25partition_config_selectorILNS1_17partition_subalgoE3EjNS0_10empty_typeEbEEZZNS1_14partition_implILS8_3ELb0ES6_jNS0_17counting_iteratorIjlEEPS9_SE_NS0_5tupleIJPjSE_EEENSF_IJSE_SE_EEES9_SG_JZNS1_25segmented_radix_sort_implINS0_14default_configELb1EPKhPhPKlPlN2at6native12_GLOBAL__N_18offset_tEEE10hipError_tPvRmT1_PNSt15iterator_traitsISY_E10value_typeET2_T3_PNSZ_IS14_E10value_typeET4_jRbjT5_S1A_jjP12ihipStream_tbEUljE_EEESV_SW_SX_S14_S18_S1A_T6_T7_T9_mT8_S1C_bDpT10_ENKUlT_T0_E_clISt17integral_constantIbLb0EES1O_IbLb1EEEEDaS1K_S1L_EUlS1K_E_NS1_11comp_targetILNS1_3genE8ELNS1_11target_archE1030ELNS1_3gpuE2ELNS1_3repE0EEENS1_30default_config_static_selectorELNS0_4arch9wavefront6targetE0EEEvSY_
                                        ; -- End function
	.section	.AMDGPU.csdata,"",@progbits
; Kernel info:
; codeLenInByte = 0
; NumSgprs: 0
; NumVgprs: 0
; ScratchSize: 0
; MemoryBound: 0
; FloatMode: 240
; IeeeMode: 1
; LDSByteSize: 0 bytes/workgroup (compile time only)
; SGPRBlocks: 0
; VGPRBlocks: 0
; NumSGPRsForWavesPerEU: 1
; NumVGPRsForWavesPerEU: 1
; Occupancy: 16
; WaveLimiterHint : 0
; COMPUTE_PGM_RSRC2:SCRATCH_EN: 0
; COMPUTE_PGM_RSRC2:USER_SGPR: 15
; COMPUTE_PGM_RSRC2:TRAP_HANDLER: 0
; COMPUTE_PGM_RSRC2:TGID_X_EN: 1
; COMPUTE_PGM_RSRC2:TGID_Y_EN: 0
; COMPUTE_PGM_RSRC2:TGID_Z_EN: 0
; COMPUTE_PGM_RSRC2:TIDIG_COMP_CNT: 0
	.section	.text._ZN7rocprim17ROCPRIM_400000_NS6detail17trampoline_kernelINS0_14default_configENS1_36segmented_radix_sort_config_selectorIhlEEZNS1_25segmented_radix_sort_implIS3_Lb1EPKhPhPKlPlN2at6native12_GLOBAL__N_18offset_tEEE10hipError_tPvRmT1_PNSt15iterator_traitsISK_E10value_typeET2_T3_PNSL_ISQ_E10value_typeET4_jRbjT5_SW_jjP12ihipStream_tbEUlT_E_NS1_11comp_targetILNS1_3genE0ELNS1_11target_archE4294967295ELNS1_3gpuE0ELNS1_3repE0EEENS1_30default_config_static_selectorELNS0_4arch9wavefront6targetE0EEEvSK_,"axG",@progbits,_ZN7rocprim17ROCPRIM_400000_NS6detail17trampoline_kernelINS0_14default_configENS1_36segmented_radix_sort_config_selectorIhlEEZNS1_25segmented_radix_sort_implIS3_Lb1EPKhPhPKlPlN2at6native12_GLOBAL__N_18offset_tEEE10hipError_tPvRmT1_PNSt15iterator_traitsISK_E10value_typeET2_T3_PNSL_ISQ_E10value_typeET4_jRbjT5_SW_jjP12ihipStream_tbEUlT_E_NS1_11comp_targetILNS1_3genE0ELNS1_11target_archE4294967295ELNS1_3gpuE0ELNS1_3repE0EEENS1_30default_config_static_selectorELNS0_4arch9wavefront6targetE0EEEvSK_,comdat
	.globl	_ZN7rocprim17ROCPRIM_400000_NS6detail17trampoline_kernelINS0_14default_configENS1_36segmented_radix_sort_config_selectorIhlEEZNS1_25segmented_radix_sort_implIS3_Lb1EPKhPhPKlPlN2at6native12_GLOBAL__N_18offset_tEEE10hipError_tPvRmT1_PNSt15iterator_traitsISK_E10value_typeET2_T3_PNSL_ISQ_E10value_typeET4_jRbjT5_SW_jjP12ihipStream_tbEUlT_E_NS1_11comp_targetILNS1_3genE0ELNS1_11target_archE4294967295ELNS1_3gpuE0ELNS1_3repE0EEENS1_30default_config_static_selectorELNS0_4arch9wavefront6targetE0EEEvSK_ ; -- Begin function _ZN7rocprim17ROCPRIM_400000_NS6detail17trampoline_kernelINS0_14default_configENS1_36segmented_radix_sort_config_selectorIhlEEZNS1_25segmented_radix_sort_implIS3_Lb1EPKhPhPKlPlN2at6native12_GLOBAL__N_18offset_tEEE10hipError_tPvRmT1_PNSt15iterator_traitsISK_E10value_typeET2_T3_PNSL_ISQ_E10value_typeET4_jRbjT5_SW_jjP12ihipStream_tbEUlT_E_NS1_11comp_targetILNS1_3genE0ELNS1_11target_archE4294967295ELNS1_3gpuE0ELNS1_3repE0EEENS1_30default_config_static_selectorELNS0_4arch9wavefront6targetE0EEEvSK_
	.p2align	8
	.type	_ZN7rocprim17ROCPRIM_400000_NS6detail17trampoline_kernelINS0_14default_configENS1_36segmented_radix_sort_config_selectorIhlEEZNS1_25segmented_radix_sort_implIS3_Lb1EPKhPhPKlPlN2at6native12_GLOBAL__N_18offset_tEEE10hipError_tPvRmT1_PNSt15iterator_traitsISK_E10value_typeET2_T3_PNSL_ISQ_E10value_typeET4_jRbjT5_SW_jjP12ihipStream_tbEUlT_E_NS1_11comp_targetILNS1_3genE0ELNS1_11target_archE4294967295ELNS1_3gpuE0ELNS1_3repE0EEENS1_30default_config_static_selectorELNS0_4arch9wavefront6targetE0EEEvSK_,@function
_ZN7rocprim17ROCPRIM_400000_NS6detail17trampoline_kernelINS0_14default_configENS1_36segmented_radix_sort_config_selectorIhlEEZNS1_25segmented_radix_sort_implIS3_Lb1EPKhPhPKlPlN2at6native12_GLOBAL__N_18offset_tEEE10hipError_tPvRmT1_PNSt15iterator_traitsISK_E10value_typeET2_T3_PNSL_ISQ_E10value_typeET4_jRbjT5_SW_jjP12ihipStream_tbEUlT_E_NS1_11comp_targetILNS1_3genE0ELNS1_11target_archE4294967295ELNS1_3gpuE0ELNS1_3repE0EEENS1_30default_config_static_selectorELNS0_4arch9wavefront6targetE0EEEvSK_: ; @_ZN7rocprim17ROCPRIM_400000_NS6detail17trampoline_kernelINS0_14default_configENS1_36segmented_radix_sort_config_selectorIhlEEZNS1_25segmented_radix_sort_implIS3_Lb1EPKhPhPKlPlN2at6native12_GLOBAL__N_18offset_tEEE10hipError_tPvRmT1_PNSt15iterator_traitsISK_E10value_typeET2_T3_PNSL_ISQ_E10value_typeET4_jRbjT5_SW_jjP12ihipStream_tbEUlT_E_NS1_11comp_targetILNS1_3genE0ELNS1_11target_archE4294967295ELNS1_3gpuE0ELNS1_3repE0EEENS1_30default_config_static_selectorELNS0_4arch9wavefront6targetE0EEEvSK_
; %bb.0:
	.section	.rodata,"a",@progbits
	.p2align	6, 0x0
	.amdhsa_kernel _ZN7rocprim17ROCPRIM_400000_NS6detail17trampoline_kernelINS0_14default_configENS1_36segmented_radix_sort_config_selectorIhlEEZNS1_25segmented_radix_sort_implIS3_Lb1EPKhPhPKlPlN2at6native12_GLOBAL__N_18offset_tEEE10hipError_tPvRmT1_PNSt15iterator_traitsISK_E10value_typeET2_T3_PNSL_ISQ_E10value_typeET4_jRbjT5_SW_jjP12ihipStream_tbEUlT_E_NS1_11comp_targetILNS1_3genE0ELNS1_11target_archE4294967295ELNS1_3gpuE0ELNS1_3repE0EEENS1_30default_config_static_selectorELNS0_4arch9wavefront6targetE0EEEvSK_
		.amdhsa_group_segment_fixed_size 0
		.amdhsa_private_segment_fixed_size 0
		.amdhsa_kernarg_size 96
		.amdhsa_user_sgpr_count 15
		.amdhsa_user_sgpr_dispatch_ptr 0
		.amdhsa_user_sgpr_queue_ptr 0
		.amdhsa_user_sgpr_kernarg_segment_ptr 1
		.amdhsa_user_sgpr_dispatch_id 0
		.amdhsa_user_sgpr_private_segment_size 0
		.amdhsa_wavefront_size32 1
		.amdhsa_uses_dynamic_stack 0
		.amdhsa_enable_private_segment 0
		.amdhsa_system_sgpr_workgroup_id_x 1
		.amdhsa_system_sgpr_workgroup_id_y 0
		.amdhsa_system_sgpr_workgroup_id_z 0
		.amdhsa_system_sgpr_workgroup_info 0
		.amdhsa_system_vgpr_workitem_id 0
		.amdhsa_next_free_vgpr 1
		.amdhsa_next_free_sgpr 1
		.amdhsa_reserve_vcc 0
		.amdhsa_float_round_mode_32 0
		.amdhsa_float_round_mode_16_64 0
		.amdhsa_float_denorm_mode_32 3
		.amdhsa_float_denorm_mode_16_64 3
		.amdhsa_dx10_clamp 1
		.amdhsa_ieee_mode 1
		.amdhsa_fp16_overflow 0
		.amdhsa_workgroup_processor_mode 1
		.amdhsa_memory_ordered 1
		.amdhsa_forward_progress 0
		.amdhsa_shared_vgpr_count 0
		.amdhsa_exception_fp_ieee_invalid_op 0
		.amdhsa_exception_fp_denorm_src 0
		.amdhsa_exception_fp_ieee_div_zero 0
		.amdhsa_exception_fp_ieee_overflow 0
		.amdhsa_exception_fp_ieee_underflow 0
		.amdhsa_exception_fp_ieee_inexact 0
		.amdhsa_exception_int_div_zero 0
	.end_amdhsa_kernel
	.section	.text._ZN7rocprim17ROCPRIM_400000_NS6detail17trampoline_kernelINS0_14default_configENS1_36segmented_radix_sort_config_selectorIhlEEZNS1_25segmented_radix_sort_implIS3_Lb1EPKhPhPKlPlN2at6native12_GLOBAL__N_18offset_tEEE10hipError_tPvRmT1_PNSt15iterator_traitsISK_E10value_typeET2_T3_PNSL_ISQ_E10value_typeET4_jRbjT5_SW_jjP12ihipStream_tbEUlT_E_NS1_11comp_targetILNS1_3genE0ELNS1_11target_archE4294967295ELNS1_3gpuE0ELNS1_3repE0EEENS1_30default_config_static_selectorELNS0_4arch9wavefront6targetE0EEEvSK_,"axG",@progbits,_ZN7rocprim17ROCPRIM_400000_NS6detail17trampoline_kernelINS0_14default_configENS1_36segmented_radix_sort_config_selectorIhlEEZNS1_25segmented_radix_sort_implIS3_Lb1EPKhPhPKlPlN2at6native12_GLOBAL__N_18offset_tEEE10hipError_tPvRmT1_PNSt15iterator_traitsISK_E10value_typeET2_T3_PNSL_ISQ_E10value_typeET4_jRbjT5_SW_jjP12ihipStream_tbEUlT_E_NS1_11comp_targetILNS1_3genE0ELNS1_11target_archE4294967295ELNS1_3gpuE0ELNS1_3repE0EEENS1_30default_config_static_selectorELNS0_4arch9wavefront6targetE0EEEvSK_,comdat
.Lfunc_end83:
	.size	_ZN7rocprim17ROCPRIM_400000_NS6detail17trampoline_kernelINS0_14default_configENS1_36segmented_radix_sort_config_selectorIhlEEZNS1_25segmented_radix_sort_implIS3_Lb1EPKhPhPKlPlN2at6native12_GLOBAL__N_18offset_tEEE10hipError_tPvRmT1_PNSt15iterator_traitsISK_E10value_typeET2_T3_PNSL_ISQ_E10value_typeET4_jRbjT5_SW_jjP12ihipStream_tbEUlT_E_NS1_11comp_targetILNS1_3genE0ELNS1_11target_archE4294967295ELNS1_3gpuE0ELNS1_3repE0EEENS1_30default_config_static_selectorELNS0_4arch9wavefront6targetE0EEEvSK_, .Lfunc_end83-_ZN7rocprim17ROCPRIM_400000_NS6detail17trampoline_kernelINS0_14default_configENS1_36segmented_radix_sort_config_selectorIhlEEZNS1_25segmented_radix_sort_implIS3_Lb1EPKhPhPKlPlN2at6native12_GLOBAL__N_18offset_tEEE10hipError_tPvRmT1_PNSt15iterator_traitsISK_E10value_typeET2_T3_PNSL_ISQ_E10value_typeET4_jRbjT5_SW_jjP12ihipStream_tbEUlT_E_NS1_11comp_targetILNS1_3genE0ELNS1_11target_archE4294967295ELNS1_3gpuE0ELNS1_3repE0EEENS1_30default_config_static_selectorELNS0_4arch9wavefront6targetE0EEEvSK_
                                        ; -- End function
	.section	.AMDGPU.csdata,"",@progbits
; Kernel info:
; codeLenInByte = 0
; NumSgprs: 0
; NumVgprs: 0
; ScratchSize: 0
; MemoryBound: 0
; FloatMode: 240
; IeeeMode: 1
; LDSByteSize: 0 bytes/workgroup (compile time only)
; SGPRBlocks: 0
; VGPRBlocks: 0
; NumSGPRsForWavesPerEU: 1
; NumVGPRsForWavesPerEU: 1
; Occupancy: 16
; WaveLimiterHint : 0
; COMPUTE_PGM_RSRC2:SCRATCH_EN: 0
; COMPUTE_PGM_RSRC2:USER_SGPR: 15
; COMPUTE_PGM_RSRC2:TRAP_HANDLER: 0
; COMPUTE_PGM_RSRC2:TGID_X_EN: 1
; COMPUTE_PGM_RSRC2:TGID_Y_EN: 0
; COMPUTE_PGM_RSRC2:TGID_Z_EN: 0
; COMPUTE_PGM_RSRC2:TIDIG_COMP_CNT: 0
	.section	.text._ZN7rocprim17ROCPRIM_400000_NS6detail17trampoline_kernelINS0_14default_configENS1_36segmented_radix_sort_config_selectorIhlEEZNS1_25segmented_radix_sort_implIS3_Lb1EPKhPhPKlPlN2at6native12_GLOBAL__N_18offset_tEEE10hipError_tPvRmT1_PNSt15iterator_traitsISK_E10value_typeET2_T3_PNSL_ISQ_E10value_typeET4_jRbjT5_SW_jjP12ihipStream_tbEUlT_E_NS1_11comp_targetILNS1_3genE5ELNS1_11target_archE942ELNS1_3gpuE9ELNS1_3repE0EEENS1_30default_config_static_selectorELNS0_4arch9wavefront6targetE0EEEvSK_,"axG",@progbits,_ZN7rocprim17ROCPRIM_400000_NS6detail17trampoline_kernelINS0_14default_configENS1_36segmented_radix_sort_config_selectorIhlEEZNS1_25segmented_radix_sort_implIS3_Lb1EPKhPhPKlPlN2at6native12_GLOBAL__N_18offset_tEEE10hipError_tPvRmT1_PNSt15iterator_traitsISK_E10value_typeET2_T3_PNSL_ISQ_E10value_typeET4_jRbjT5_SW_jjP12ihipStream_tbEUlT_E_NS1_11comp_targetILNS1_3genE5ELNS1_11target_archE942ELNS1_3gpuE9ELNS1_3repE0EEENS1_30default_config_static_selectorELNS0_4arch9wavefront6targetE0EEEvSK_,comdat
	.globl	_ZN7rocprim17ROCPRIM_400000_NS6detail17trampoline_kernelINS0_14default_configENS1_36segmented_radix_sort_config_selectorIhlEEZNS1_25segmented_radix_sort_implIS3_Lb1EPKhPhPKlPlN2at6native12_GLOBAL__N_18offset_tEEE10hipError_tPvRmT1_PNSt15iterator_traitsISK_E10value_typeET2_T3_PNSL_ISQ_E10value_typeET4_jRbjT5_SW_jjP12ihipStream_tbEUlT_E_NS1_11comp_targetILNS1_3genE5ELNS1_11target_archE942ELNS1_3gpuE9ELNS1_3repE0EEENS1_30default_config_static_selectorELNS0_4arch9wavefront6targetE0EEEvSK_ ; -- Begin function _ZN7rocprim17ROCPRIM_400000_NS6detail17trampoline_kernelINS0_14default_configENS1_36segmented_radix_sort_config_selectorIhlEEZNS1_25segmented_radix_sort_implIS3_Lb1EPKhPhPKlPlN2at6native12_GLOBAL__N_18offset_tEEE10hipError_tPvRmT1_PNSt15iterator_traitsISK_E10value_typeET2_T3_PNSL_ISQ_E10value_typeET4_jRbjT5_SW_jjP12ihipStream_tbEUlT_E_NS1_11comp_targetILNS1_3genE5ELNS1_11target_archE942ELNS1_3gpuE9ELNS1_3repE0EEENS1_30default_config_static_selectorELNS0_4arch9wavefront6targetE0EEEvSK_
	.p2align	8
	.type	_ZN7rocprim17ROCPRIM_400000_NS6detail17trampoline_kernelINS0_14default_configENS1_36segmented_radix_sort_config_selectorIhlEEZNS1_25segmented_radix_sort_implIS3_Lb1EPKhPhPKlPlN2at6native12_GLOBAL__N_18offset_tEEE10hipError_tPvRmT1_PNSt15iterator_traitsISK_E10value_typeET2_T3_PNSL_ISQ_E10value_typeET4_jRbjT5_SW_jjP12ihipStream_tbEUlT_E_NS1_11comp_targetILNS1_3genE5ELNS1_11target_archE942ELNS1_3gpuE9ELNS1_3repE0EEENS1_30default_config_static_selectorELNS0_4arch9wavefront6targetE0EEEvSK_,@function
_ZN7rocprim17ROCPRIM_400000_NS6detail17trampoline_kernelINS0_14default_configENS1_36segmented_radix_sort_config_selectorIhlEEZNS1_25segmented_radix_sort_implIS3_Lb1EPKhPhPKlPlN2at6native12_GLOBAL__N_18offset_tEEE10hipError_tPvRmT1_PNSt15iterator_traitsISK_E10value_typeET2_T3_PNSL_ISQ_E10value_typeET4_jRbjT5_SW_jjP12ihipStream_tbEUlT_E_NS1_11comp_targetILNS1_3genE5ELNS1_11target_archE942ELNS1_3gpuE9ELNS1_3repE0EEENS1_30default_config_static_selectorELNS0_4arch9wavefront6targetE0EEEvSK_: ; @_ZN7rocprim17ROCPRIM_400000_NS6detail17trampoline_kernelINS0_14default_configENS1_36segmented_radix_sort_config_selectorIhlEEZNS1_25segmented_radix_sort_implIS3_Lb1EPKhPhPKlPlN2at6native12_GLOBAL__N_18offset_tEEE10hipError_tPvRmT1_PNSt15iterator_traitsISK_E10value_typeET2_T3_PNSL_ISQ_E10value_typeET4_jRbjT5_SW_jjP12ihipStream_tbEUlT_E_NS1_11comp_targetILNS1_3genE5ELNS1_11target_archE942ELNS1_3gpuE9ELNS1_3repE0EEENS1_30default_config_static_selectorELNS0_4arch9wavefront6targetE0EEEvSK_
; %bb.0:
	.section	.rodata,"a",@progbits
	.p2align	6, 0x0
	.amdhsa_kernel _ZN7rocprim17ROCPRIM_400000_NS6detail17trampoline_kernelINS0_14default_configENS1_36segmented_radix_sort_config_selectorIhlEEZNS1_25segmented_radix_sort_implIS3_Lb1EPKhPhPKlPlN2at6native12_GLOBAL__N_18offset_tEEE10hipError_tPvRmT1_PNSt15iterator_traitsISK_E10value_typeET2_T3_PNSL_ISQ_E10value_typeET4_jRbjT5_SW_jjP12ihipStream_tbEUlT_E_NS1_11comp_targetILNS1_3genE5ELNS1_11target_archE942ELNS1_3gpuE9ELNS1_3repE0EEENS1_30default_config_static_selectorELNS0_4arch9wavefront6targetE0EEEvSK_
		.amdhsa_group_segment_fixed_size 0
		.amdhsa_private_segment_fixed_size 0
		.amdhsa_kernarg_size 96
		.amdhsa_user_sgpr_count 15
		.amdhsa_user_sgpr_dispatch_ptr 0
		.amdhsa_user_sgpr_queue_ptr 0
		.amdhsa_user_sgpr_kernarg_segment_ptr 1
		.amdhsa_user_sgpr_dispatch_id 0
		.amdhsa_user_sgpr_private_segment_size 0
		.amdhsa_wavefront_size32 1
		.amdhsa_uses_dynamic_stack 0
		.amdhsa_enable_private_segment 0
		.amdhsa_system_sgpr_workgroup_id_x 1
		.amdhsa_system_sgpr_workgroup_id_y 0
		.amdhsa_system_sgpr_workgroup_id_z 0
		.amdhsa_system_sgpr_workgroup_info 0
		.amdhsa_system_vgpr_workitem_id 0
		.amdhsa_next_free_vgpr 1
		.amdhsa_next_free_sgpr 1
		.amdhsa_reserve_vcc 0
		.amdhsa_float_round_mode_32 0
		.amdhsa_float_round_mode_16_64 0
		.amdhsa_float_denorm_mode_32 3
		.amdhsa_float_denorm_mode_16_64 3
		.amdhsa_dx10_clamp 1
		.amdhsa_ieee_mode 1
		.amdhsa_fp16_overflow 0
		.amdhsa_workgroup_processor_mode 1
		.amdhsa_memory_ordered 1
		.amdhsa_forward_progress 0
		.amdhsa_shared_vgpr_count 0
		.amdhsa_exception_fp_ieee_invalid_op 0
		.amdhsa_exception_fp_denorm_src 0
		.amdhsa_exception_fp_ieee_div_zero 0
		.amdhsa_exception_fp_ieee_overflow 0
		.amdhsa_exception_fp_ieee_underflow 0
		.amdhsa_exception_fp_ieee_inexact 0
		.amdhsa_exception_int_div_zero 0
	.end_amdhsa_kernel
	.section	.text._ZN7rocprim17ROCPRIM_400000_NS6detail17trampoline_kernelINS0_14default_configENS1_36segmented_radix_sort_config_selectorIhlEEZNS1_25segmented_radix_sort_implIS3_Lb1EPKhPhPKlPlN2at6native12_GLOBAL__N_18offset_tEEE10hipError_tPvRmT1_PNSt15iterator_traitsISK_E10value_typeET2_T3_PNSL_ISQ_E10value_typeET4_jRbjT5_SW_jjP12ihipStream_tbEUlT_E_NS1_11comp_targetILNS1_3genE5ELNS1_11target_archE942ELNS1_3gpuE9ELNS1_3repE0EEENS1_30default_config_static_selectorELNS0_4arch9wavefront6targetE0EEEvSK_,"axG",@progbits,_ZN7rocprim17ROCPRIM_400000_NS6detail17trampoline_kernelINS0_14default_configENS1_36segmented_radix_sort_config_selectorIhlEEZNS1_25segmented_radix_sort_implIS3_Lb1EPKhPhPKlPlN2at6native12_GLOBAL__N_18offset_tEEE10hipError_tPvRmT1_PNSt15iterator_traitsISK_E10value_typeET2_T3_PNSL_ISQ_E10value_typeET4_jRbjT5_SW_jjP12ihipStream_tbEUlT_E_NS1_11comp_targetILNS1_3genE5ELNS1_11target_archE942ELNS1_3gpuE9ELNS1_3repE0EEENS1_30default_config_static_selectorELNS0_4arch9wavefront6targetE0EEEvSK_,comdat
.Lfunc_end84:
	.size	_ZN7rocprim17ROCPRIM_400000_NS6detail17trampoline_kernelINS0_14default_configENS1_36segmented_radix_sort_config_selectorIhlEEZNS1_25segmented_radix_sort_implIS3_Lb1EPKhPhPKlPlN2at6native12_GLOBAL__N_18offset_tEEE10hipError_tPvRmT1_PNSt15iterator_traitsISK_E10value_typeET2_T3_PNSL_ISQ_E10value_typeET4_jRbjT5_SW_jjP12ihipStream_tbEUlT_E_NS1_11comp_targetILNS1_3genE5ELNS1_11target_archE942ELNS1_3gpuE9ELNS1_3repE0EEENS1_30default_config_static_selectorELNS0_4arch9wavefront6targetE0EEEvSK_, .Lfunc_end84-_ZN7rocprim17ROCPRIM_400000_NS6detail17trampoline_kernelINS0_14default_configENS1_36segmented_radix_sort_config_selectorIhlEEZNS1_25segmented_radix_sort_implIS3_Lb1EPKhPhPKlPlN2at6native12_GLOBAL__N_18offset_tEEE10hipError_tPvRmT1_PNSt15iterator_traitsISK_E10value_typeET2_T3_PNSL_ISQ_E10value_typeET4_jRbjT5_SW_jjP12ihipStream_tbEUlT_E_NS1_11comp_targetILNS1_3genE5ELNS1_11target_archE942ELNS1_3gpuE9ELNS1_3repE0EEENS1_30default_config_static_selectorELNS0_4arch9wavefront6targetE0EEEvSK_
                                        ; -- End function
	.section	.AMDGPU.csdata,"",@progbits
; Kernel info:
; codeLenInByte = 0
; NumSgprs: 0
; NumVgprs: 0
; ScratchSize: 0
; MemoryBound: 0
; FloatMode: 240
; IeeeMode: 1
; LDSByteSize: 0 bytes/workgroup (compile time only)
; SGPRBlocks: 0
; VGPRBlocks: 0
; NumSGPRsForWavesPerEU: 1
; NumVGPRsForWavesPerEU: 1
; Occupancy: 16
; WaveLimiterHint : 0
; COMPUTE_PGM_RSRC2:SCRATCH_EN: 0
; COMPUTE_PGM_RSRC2:USER_SGPR: 15
; COMPUTE_PGM_RSRC2:TRAP_HANDLER: 0
; COMPUTE_PGM_RSRC2:TGID_X_EN: 1
; COMPUTE_PGM_RSRC2:TGID_Y_EN: 0
; COMPUTE_PGM_RSRC2:TGID_Z_EN: 0
; COMPUTE_PGM_RSRC2:TIDIG_COMP_CNT: 0
	.section	.text._ZN7rocprim17ROCPRIM_400000_NS6detail17trampoline_kernelINS0_14default_configENS1_36segmented_radix_sort_config_selectorIhlEEZNS1_25segmented_radix_sort_implIS3_Lb1EPKhPhPKlPlN2at6native12_GLOBAL__N_18offset_tEEE10hipError_tPvRmT1_PNSt15iterator_traitsISK_E10value_typeET2_T3_PNSL_ISQ_E10value_typeET4_jRbjT5_SW_jjP12ihipStream_tbEUlT_E_NS1_11comp_targetILNS1_3genE4ELNS1_11target_archE910ELNS1_3gpuE8ELNS1_3repE0EEENS1_30default_config_static_selectorELNS0_4arch9wavefront6targetE0EEEvSK_,"axG",@progbits,_ZN7rocprim17ROCPRIM_400000_NS6detail17trampoline_kernelINS0_14default_configENS1_36segmented_radix_sort_config_selectorIhlEEZNS1_25segmented_radix_sort_implIS3_Lb1EPKhPhPKlPlN2at6native12_GLOBAL__N_18offset_tEEE10hipError_tPvRmT1_PNSt15iterator_traitsISK_E10value_typeET2_T3_PNSL_ISQ_E10value_typeET4_jRbjT5_SW_jjP12ihipStream_tbEUlT_E_NS1_11comp_targetILNS1_3genE4ELNS1_11target_archE910ELNS1_3gpuE8ELNS1_3repE0EEENS1_30default_config_static_selectorELNS0_4arch9wavefront6targetE0EEEvSK_,comdat
	.globl	_ZN7rocprim17ROCPRIM_400000_NS6detail17trampoline_kernelINS0_14default_configENS1_36segmented_radix_sort_config_selectorIhlEEZNS1_25segmented_radix_sort_implIS3_Lb1EPKhPhPKlPlN2at6native12_GLOBAL__N_18offset_tEEE10hipError_tPvRmT1_PNSt15iterator_traitsISK_E10value_typeET2_T3_PNSL_ISQ_E10value_typeET4_jRbjT5_SW_jjP12ihipStream_tbEUlT_E_NS1_11comp_targetILNS1_3genE4ELNS1_11target_archE910ELNS1_3gpuE8ELNS1_3repE0EEENS1_30default_config_static_selectorELNS0_4arch9wavefront6targetE0EEEvSK_ ; -- Begin function _ZN7rocprim17ROCPRIM_400000_NS6detail17trampoline_kernelINS0_14default_configENS1_36segmented_radix_sort_config_selectorIhlEEZNS1_25segmented_radix_sort_implIS3_Lb1EPKhPhPKlPlN2at6native12_GLOBAL__N_18offset_tEEE10hipError_tPvRmT1_PNSt15iterator_traitsISK_E10value_typeET2_T3_PNSL_ISQ_E10value_typeET4_jRbjT5_SW_jjP12ihipStream_tbEUlT_E_NS1_11comp_targetILNS1_3genE4ELNS1_11target_archE910ELNS1_3gpuE8ELNS1_3repE0EEENS1_30default_config_static_selectorELNS0_4arch9wavefront6targetE0EEEvSK_
	.p2align	8
	.type	_ZN7rocprim17ROCPRIM_400000_NS6detail17trampoline_kernelINS0_14default_configENS1_36segmented_radix_sort_config_selectorIhlEEZNS1_25segmented_radix_sort_implIS3_Lb1EPKhPhPKlPlN2at6native12_GLOBAL__N_18offset_tEEE10hipError_tPvRmT1_PNSt15iterator_traitsISK_E10value_typeET2_T3_PNSL_ISQ_E10value_typeET4_jRbjT5_SW_jjP12ihipStream_tbEUlT_E_NS1_11comp_targetILNS1_3genE4ELNS1_11target_archE910ELNS1_3gpuE8ELNS1_3repE0EEENS1_30default_config_static_selectorELNS0_4arch9wavefront6targetE0EEEvSK_,@function
_ZN7rocprim17ROCPRIM_400000_NS6detail17trampoline_kernelINS0_14default_configENS1_36segmented_radix_sort_config_selectorIhlEEZNS1_25segmented_radix_sort_implIS3_Lb1EPKhPhPKlPlN2at6native12_GLOBAL__N_18offset_tEEE10hipError_tPvRmT1_PNSt15iterator_traitsISK_E10value_typeET2_T3_PNSL_ISQ_E10value_typeET4_jRbjT5_SW_jjP12ihipStream_tbEUlT_E_NS1_11comp_targetILNS1_3genE4ELNS1_11target_archE910ELNS1_3gpuE8ELNS1_3repE0EEENS1_30default_config_static_selectorELNS0_4arch9wavefront6targetE0EEEvSK_: ; @_ZN7rocprim17ROCPRIM_400000_NS6detail17trampoline_kernelINS0_14default_configENS1_36segmented_radix_sort_config_selectorIhlEEZNS1_25segmented_radix_sort_implIS3_Lb1EPKhPhPKlPlN2at6native12_GLOBAL__N_18offset_tEEE10hipError_tPvRmT1_PNSt15iterator_traitsISK_E10value_typeET2_T3_PNSL_ISQ_E10value_typeET4_jRbjT5_SW_jjP12ihipStream_tbEUlT_E_NS1_11comp_targetILNS1_3genE4ELNS1_11target_archE910ELNS1_3gpuE8ELNS1_3repE0EEENS1_30default_config_static_selectorELNS0_4arch9wavefront6targetE0EEEvSK_
; %bb.0:
	.section	.rodata,"a",@progbits
	.p2align	6, 0x0
	.amdhsa_kernel _ZN7rocprim17ROCPRIM_400000_NS6detail17trampoline_kernelINS0_14default_configENS1_36segmented_radix_sort_config_selectorIhlEEZNS1_25segmented_radix_sort_implIS3_Lb1EPKhPhPKlPlN2at6native12_GLOBAL__N_18offset_tEEE10hipError_tPvRmT1_PNSt15iterator_traitsISK_E10value_typeET2_T3_PNSL_ISQ_E10value_typeET4_jRbjT5_SW_jjP12ihipStream_tbEUlT_E_NS1_11comp_targetILNS1_3genE4ELNS1_11target_archE910ELNS1_3gpuE8ELNS1_3repE0EEENS1_30default_config_static_selectorELNS0_4arch9wavefront6targetE0EEEvSK_
		.amdhsa_group_segment_fixed_size 0
		.amdhsa_private_segment_fixed_size 0
		.amdhsa_kernarg_size 96
		.amdhsa_user_sgpr_count 15
		.amdhsa_user_sgpr_dispatch_ptr 0
		.amdhsa_user_sgpr_queue_ptr 0
		.amdhsa_user_sgpr_kernarg_segment_ptr 1
		.amdhsa_user_sgpr_dispatch_id 0
		.amdhsa_user_sgpr_private_segment_size 0
		.amdhsa_wavefront_size32 1
		.amdhsa_uses_dynamic_stack 0
		.amdhsa_enable_private_segment 0
		.amdhsa_system_sgpr_workgroup_id_x 1
		.amdhsa_system_sgpr_workgroup_id_y 0
		.amdhsa_system_sgpr_workgroup_id_z 0
		.amdhsa_system_sgpr_workgroup_info 0
		.amdhsa_system_vgpr_workitem_id 0
		.amdhsa_next_free_vgpr 1
		.amdhsa_next_free_sgpr 1
		.amdhsa_reserve_vcc 0
		.amdhsa_float_round_mode_32 0
		.amdhsa_float_round_mode_16_64 0
		.amdhsa_float_denorm_mode_32 3
		.amdhsa_float_denorm_mode_16_64 3
		.amdhsa_dx10_clamp 1
		.amdhsa_ieee_mode 1
		.amdhsa_fp16_overflow 0
		.amdhsa_workgroup_processor_mode 1
		.amdhsa_memory_ordered 1
		.amdhsa_forward_progress 0
		.amdhsa_shared_vgpr_count 0
		.amdhsa_exception_fp_ieee_invalid_op 0
		.amdhsa_exception_fp_denorm_src 0
		.amdhsa_exception_fp_ieee_div_zero 0
		.amdhsa_exception_fp_ieee_overflow 0
		.amdhsa_exception_fp_ieee_underflow 0
		.amdhsa_exception_fp_ieee_inexact 0
		.amdhsa_exception_int_div_zero 0
	.end_amdhsa_kernel
	.section	.text._ZN7rocprim17ROCPRIM_400000_NS6detail17trampoline_kernelINS0_14default_configENS1_36segmented_radix_sort_config_selectorIhlEEZNS1_25segmented_radix_sort_implIS3_Lb1EPKhPhPKlPlN2at6native12_GLOBAL__N_18offset_tEEE10hipError_tPvRmT1_PNSt15iterator_traitsISK_E10value_typeET2_T3_PNSL_ISQ_E10value_typeET4_jRbjT5_SW_jjP12ihipStream_tbEUlT_E_NS1_11comp_targetILNS1_3genE4ELNS1_11target_archE910ELNS1_3gpuE8ELNS1_3repE0EEENS1_30default_config_static_selectorELNS0_4arch9wavefront6targetE0EEEvSK_,"axG",@progbits,_ZN7rocprim17ROCPRIM_400000_NS6detail17trampoline_kernelINS0_14default_configENS1_36segmented_radix_sort_config_selectorIhlEEZNS1_25segmented_radix_sort_implIS3_Lb1EPKhPhPKlPlN2at6native12_GLOBAL__N_18offset_tEEE10hipError_tPvRmT1_PNSt15iterator_traitsISK_E10value_typeET2_T3_PNSL_ISQ_E10value_typeET4_jRbjT5_SW_jjP12ihipStream_tbEUlT_E_NS1_11comp_targetILNS1_3genE4ELNS1_11target_archE910ELNS1_3gpuE8ELNS1_3repE0EEENS1_30default_config_static_selectorELNS0_4arch9wavefront6targetE0EEEvSK_,comdat
.Lfunc_end85:
	.size	_ZN7rocprim17ROCPRIM_400000_NS6detail17trampoline_kernelINS0_14default_configENS1_36segmented_radix_sort_config_selectorIhlEEZNS1_25segmented_radix_sort_implIS3_Lb1EPKhPhPKlPlN2at6native12_GLOBAL__N_18offset_tEEE10hipError_tPvRmT1_PNSt15iterator_traitsISK_E10value_typeET2_T3_PNSL_ISQ_E10value_typeET4_jRbjT5_SW_jjP12ihipStream_tbEUlT_E_NS1_11comp_targetILNS1_3genE4ELNS1_11target_archE910ELNS1_3gpuE8ELNS1_3repE0EEENS1_30default_config_static_selectorELNS0_4arch9wavefront6targetE0EEEvSK_, .Lfunc_end85-_ZN7rocprim17ROCPRIM_400000_NS6detail17trampoline_kernelINS0_14default_configENS1_36segmented_radix_sort_config_selectorIhlEEZNS1_25segmented_radix_sort_implIS3_Lb1EPKhPhPKlPlN2at6native12_GLOBAL__N_18offset_tEEE10hipError_tPvRmT1_PNSt15iterator_traitsISK_E10value_typeET2_T3_PNSL_ISQ_E10value_typeET4_jRbjT5_SW_jjP12ihipStream_tbEUlT_E_NS1_11comp_targetILNS1_3genE4ELNS1_11target_archE910ELNS1_3gpuE8ELNS1_3repE0EEENS1_30default_config_static_selectorELNS0_4arch9wavefront6targetE0EEEvSK_
                                        ; -- End function
	.section	.AMDGPU.csdata,"",@progbits
; Kernel info:
; codeLenInByte = 0
; NumSgprs: 0
; NumVgprs: 0
; ScratchSize: 0
; MemoryBound: 0
; FloatMode: 240
; IeeeMode: 1
; LDSByteSize: 0 bytes/workgroup (compile time only)
; SGPRBlocks: 0
; VGPRBlocks: 0
; NumSGPRsForWavesPerEU: 1
; NumVGPRsForWavesPerEU: 1
; Occupancy: 16
; WaveLimiterHint : 0
; COMPUTE_PGM_RSRC2:SCRATCH_EN: 0
; COMPUTE_PGM_RSRC2:USER_SGPR: 15
; COMPUTE_PGM_RSRC2:TRAP_HANDLER: 0
; COMPUTE_PGM_RSRC2:TGID_X_EN: 1
; COMPUTE_PGM_RSRC2:TGID_Y_EN: 0
; COMPUTE_PGM_RSRC2:TGID_Z_EN: 0
; COMPUTE_PGM_RSRC2:TIDIG_COMP_CNT: 0
	.section	.text._ZN7rocprim17ROCPRIM_400000_NS6detail17trampoline_kernelINS0_14default_configENS1_36segmented_radix_sort_config_selectorIhlEEZNS1_25segmented_radix_sort_implIS3_Lb1EPKhPhPKlPlN2at6native12_GLOBAL__N_18offset_tEEE10hipError_tPvRmT1_PNSt15iterator_traitsISK_E10value_typeET2_T3_PNSL_ISQ_E10value_typeET4_jRbjT5_SW_jjP12ihipStream_tbEUlT_E_NS1_11comp_targetILNS1_3genE3ELNS1_11target_archE908ELNS1_3gpuE7ELNS1_3repE0EEENS1_30default_config_static_selectorELNS0_4arch9wavefront6targetE0EEEvSK_,"axG",@progbits,_ZN7rocprim17ROCPRIM_400000_NS6detail17trampoline_kernelINS0_14default_configENS1_36segmented_radix_sort_config_selectorIhlEEZNS1_25segmented_radix_sort_implIS3_Lb1EPKhPhPKlPlN2at6native12_GLOBAL__N_18offset_tEEE10hipError_tPvRmT1_PNSt15iterator_traitsISK_E10value_typeET2_T3_PNSL_ISQ_E10value_typeET4_jRbjT5_SW_jjP12ihipStream_tbEUlT_E_NS1_11comp_targetILNS1_3genE3ELNS1_11target_archE908ELNS1_3gpuE7ELNS1_3repE0EEENS1_30default_config_static_selectorELNS0_4arch9wavefront6targetE0EEEvSK_,comdat
	.globl	_ZN7rocprim17ROCPRIM_400000_NS6detail17trampoline_kernelINS0_14default_configENS1_36segmented_radix_sort_config_selectorIhlEEZNS1_25segmented_radix_sort_implIS3_Lb1EPKhPhPKlPlN2at6native12_GLOBAL__N_18offset_tEEE10hipError_tPvRmT1_PNSt15iterator_traitsISK_E10value_typeET2_T3_PNSL_ISQ_E10value_typeET4_jRbjT5_SW_jjP12ihipStream_tbEUlT_E_NS1_11comp_targetILNS1_3genE3ELNS1_11target_archE908ELNS1_3gpuE7ELNS1_3repE0EEENS1_30default_config_static_selectorELNS0_4arch9wavefront6targetE0EEEvSK_ ; -- Begin function _ZN7rocprim17ROCPRIM_400000_NS6detail17trampoline_kernelINS0_14default_configENS1_36segmented_radix_sort_config_selectorIhlEEZNS1_25segmented_radix_sort_implIS3_Lb1EPKhPhPKlPlN2at6native12_GLOBAL__N_18offset_tEEE10hipError_tPvRmT1_PNSt15iterator_traitsISK_E10value_typeET2_T3_PNSL_ISQ_E10value_typeET4_jRbjT5_SW_jjP12ihipStream_tbEUlT_E_NS1_11comp_targetILNS1_3genE3ELNS1_11target_archE908ELNS1_3gpuE7ELNS1_3repE0EEENS1_30default_config_static_selectorELNS0_4arch9wavefront6targetE0EEEvSK_
	.p2align	8
	.type	_ZN7rocprim17ROCPRIM_400000_NS6detail17trampoline_kernelINS0_14default_configENS1_36segmented_radix_sort_config_selectorIhlEEZNS1_25segmented_radix_sort_implIS3_Lb1EPKhPhPKlPlN2at6native12_GLOBAL__N_18offset_tEEE10hipError_tPvRmT1_PNSt15iterator_traitsISK_E10value_typeET2_T3_PNSL_ISQ_E10value_typeET4_jRbjT5_SW_jjP12ihipStream_tbEUlT_E_NS1_11comp_targetILNS1_3genE3ELNS1_11target_archE908ELNS1_3gpuE7ELNS1_3repE0EEENS1_30default_config_static_selectorELNS0_4arch9wavefront6targetE0EEEvSK_,@function
_ZN7rocprim17ROCPRIM_400000_NS6detail17trampoline_kernelINS0_14default_configENS1_36segmented_radix_sort_config_selectorIhlEEZNS1_25segmented_radix_sort_implIS3_Lb1EPKhPhPKlPlN2at6native12_GLOBAL__N_18offset_tEEE10hipError_tPvRmT1_PNSt15iterator_traitsISK_E10value_typeET2_T3_PNSL_ISQ_E10value_typeET4_jRbjT5_SW_jjP12ihipStream_tbEUlT_E_NS1_11comp_targetILNS1_3genE3ELNS1_11target_archE908ELNS1_3gpuE7ELNS1_3repE0EEENS1_30default_config_static_selectorELNS0_4arch9wavefront6targetE0EEEvSK_: ; @_ZN7rocprim17ROCPRIM_400000_NS6detail17trampoline_kernelINS0_14default_configENS1_36segmented_radix_sort_config_selectorIhlEEZNS1_25segmented_radix_sort_implIS3_Lb1EPKhPhPKlPlN2at6native12_GLOBAL__N_18offset_tEEE10hipError_tPvRmT1_PNSt15iterator_traitsISK_E10value_typeET2_T3_PNSL_ISQ_E10value_typeET4_jRbjT5_SW_jjP12ihipStream_tbEUlT_E_NS1_11comp_targetILNS1_3genE3ELNS1_11target_archE908ELNS1_3gpuE7ELNS1_3repE0EEENS1_30default_config_static_selectorELNS0_4arch9wavefront6targetE0EEEvSK_
; %bb.0:
	.section	.rodata,"a",@progbits
	.p2align	6, 0x0
	.amdhsa_kernel _ZN7rocprim17ROCPRIM_400000_NS6detail17trampoline_kernelINS0_14default_configENS1_36segmented_radix_sort_config_selectorIhlEEZNS1_25segmented_radix_sort_implIS3_Lb1EPKhPhPKlPlN2at6native12_GLOBAL__N_18offset_tEEE10hipError_tPvRmT1_PNSt15iterator_traitsISK_E10value_typeET2_T3_PNSL_ISQ_E10value_typeET4_jRbjT5_SW_jjP12ihipStream_tbEUlT_E_NS1_11comp_targetILNS1_3genE3ELNS1_11target_archE908ELNS1_3gpuE7ELNS1_3repE0EEENS1_30default_config_static_selectorELNS0_4arch9wavefront6targetE0EEEvSK_
		.amdhsa_group_segment_fixed_size 0
		.amdhsa_private_segment_fixed_size 0
		.amdhsa_kernarg_size 96
		.amdhsa_user_sgpr_count 15
		.amdhsa_user_sgpr_dispatch_ptr 0
		.amdhsa_user_sgpr_queue_ptr 0
		.amdhsa_user_sgpr_kernarg_segment_ptr 1
		.amdhsa_user_sgpr_dispatch_id 0
		.amdhsa_user_sgpr_private_segment_size 0
		.amdhsa_wavefront_size32 1
		.amdhsa_uses_dynamic_stack 0
		.amdhsa_enable_private_segment 0
		.amdhsa_system_sgpr_workgroup_id_x 1
		.amdhsa_system_sgpr_workgroup_id_y 0
		.amdhsa_system_sgpr_workgroup_id_z 0
		.amdhsa_system_sgpr_workgroup_info 0
		.amdhsa_system_vgpr_workitem_id 0
		.amdhsa_next_free_vgpr 1
		.amdhsa_next_free_sgpr 1
		.amdhsa_reserve_vcc 0
		.amdhsa_float_round_mode_32 0
		.amdhsa_float_round_mode_16_64 0
		.amdhsa_float_denorm_mode_32 3
		.amdhsa_float_denorm_mode_16_64 3
		.amdhsa_dx10_clamp 1
		.amdhsa_ieee_mode 1
		.amdhsa_fp16_overflow 0
		.amdhsa_workgroup_processor_mode 1
		.amdhsa_memory_ordered 1
		.amdhsa_forward_progress 0
		.amdhsa_shared_vgpr_count 0
		.amdhsa_exception_fp_ieee_invalid_op 0
		.amdhsa_exception_fp_denorm_src 0
		.amdhsa_exception_fp_ieee_div_zero 0
		.amdhsa_exception_fp_ieee_overflow 0
		.amdhsa_exception_fp_ieee_underflow 0
		.amdhsa_exception_fp_ieee_inexact 0
		.amdhsa_exception_int_div_zero 0
	.end_amdhsa_kernel
	.section	.text._ZN7rocprim17ROCPRIM_400000_NS6detail17trampoline_kernelINS0_14default_configENS1_36segmented_radix_sort_config_selectorIhlEEZNS1_25segmented_radix_sort_implIS3_Lb1EPKhPhPKlPlN2at6native12_GLOBAL__N_18offset_tEEE10hipError_tPvRmT1_PNSt15iterator_traitsISK_E10value_typeET2_T3_PNSL_ISQ_E10value_typeET4_jRbjT5_SW_jjP12ihipStream_tbEUlT_E_NS1_11comp_targetILNS1_3genE3ELNS1_11target_archE908ELNS1_3gpuE7ELNS1_3repE0EEENS1_30default_config_static_selectorELNS0_4arch9wavefront6targetE0EEEvSK_,"axG",@progbits,_ZN7rocprim17ROCPRIM_400000_NS6detail17trampoline_kernelINS0_14default_configENS1_36segmented_radix_sort_config_selectorIhlEEZNS1_25segmented_radix_sort_implIS3_Lb1EPKhPhPKlPlN2at6native12_GLOBAL__N_18offset_tEEE10hipError_tPvRmT1_PNSt15iterator_traitsISK_E10value_typeET2_T3_PNSL_ISQ_E10value_typeET4_jRbjT5_SW_jjP12ihipStream_tbEUlT_E_NS1_11comp_targetILNS1_3genE3ELNS1_11target_archE908ELNS1_3gpuE7ELNS1_3repE0EEENS1_30default_config_static_selectorELNS0_4arch9wavefront6targetE0EEEvSK_,comdat
.Lfunc_end86:
	.size	_ZN7rocprim17ROCPRIM_400000_NS6detail17trampoline_kernelINS0_14default_configENS1_36segmented_radix_sort_config_selectorIhlEEZNS1_25segmented_radix_sort_implIS3_Lb1EPKhPhPKlPlN2at6native12_GLOBAL__N_18offset_tEEE10hipError_tPvRmT1_PNSt15iterator_traitsISK_E10value_typeET2_T3_PNSL_ISQ_E10value_typeET4_jRbjT5_SW_jjP12ihipStream_tbEUlT_E_NS1_11comp_targetILNS1_3genE3ELNS1_11target_archE908ELNS1_3gpuE7ELNS1_3repE0EEENS1_30default_config_static_selectorELNS0_4arch9wavefront6targetE0EEEvSK_, .Lfunc_end86-_ZN7rocprim17ROCPRIM_400000_NS6detail17trampoline_kernelINS0_14default_configENS1_36segmented_radix_sort_config_selectorIhlEEZNS1_25segmented_radix_sort_implIS3_Lb1EPKhPhPKlPlN2at6native12_GLOBAL__N_18offset_tEEE10hipError_tPvRmT1_PNSt15iterator_traitsISK_E10value_typeET2_T3_PNSL_ISQ_E10value_typeET4_jRbjT5_SW_jjP12ihipStream_tbEUlT_E_NS1_11comp_targetILNS1_3genE3ELNS1_11target_archE908ELNS1_3gpuE7ELNS1_3repE0EEENS1_30default_config_static_selectorELNS0_4arch9wavefront6targetE0EEEvSK_
                                        ; -- End function
	.section	.AMDGPU.csdata,"",@progbits
; Kernel info:
; codeLenInByte = 0
; NumSgprs: 0
; NumVgprs: 0
; ScratchSize: 0
; MemoryBound: 0
; FloatMode: 240
; IeeeMode: 1
; LDSByteSize: 0 bytes/workgroup (compile time only)
; SGPRBlocks: 0
; VGPRBlocks: 0
; NumSGPRsForWavesPerEU: 1
; NumVGPRsForWavesPerEU: 1
; Occupancy: 16
; WaveLimiterHint : 0
; COMPUTE_PGM_RSRC2:SCRATCH_EN: 0
; COMPUTE_PGM_RSRC2:USER_SGPR: 15
; COMPUTE_PGM_RSRC2:TRAP_HANDLER: 0
; COMPUTE_PGM_RSRC2:TGID_X_EN: 1
; COMPUTE_PGM_RSRC2:TGID_Y_EN: 0
; COMPUTE_PGM_RSRC2:TGID_Z_EN: 0
; COMPUTE_PGM_RSRC2:TIDIG_COMP_CNT: 0
	.section	.text._ZN7rocprim17ROCPRIM_400000_NS6detail17trampoline_kernelINS0_14default_configENS1_36segmented_radix_sort_config_selectorIhlEEZNS1_25segmented_radix_sort_implIS3_Lb1EPKhPhPKlPlN2at6native12_GLOBAL__N_18offset_tEEE10hipError_tPvRmT1_PNSt15iterator_traitsISK_E10value_typeET2_T3_PNSL_ISQ_E10value_typeET4_jRbjT5_SW_jjP12ihipStream_tbEUlT_E_NS1_11comp_targetILNS1_3genE2ELNS1_11target_archE906ELNS1_3gpuE6ELNS1_3repE0EEENS1_30default_config_static_selectorELNS0_4arch9wavefront6targetE0EEEvSK_,"axG",@progbits,_ZN7rocprim17ROCPRIM_400000_NS6detail17trampoline_kernelINS0_14default_configENS1_36segmented_radix_sort_config_selectorIhlEEZNS1_25segmented_radix_sort_implIS3_Lb1EPKhPhPKlPlN2at6native12_GLOBAL__N_18offset_tEEE10hipError_tPvRmT1_PNSt15iterator_traitsISK_E10value_typeET2_T3_PNSL_ISQ_E10value_typeET4_jRbjT5_SW_jjP12ihipStream_tbEUlT_E_NS1_11comp_targetILNS1_3genE2ELNS1_11target_archE906ELNS1_3gpuE6ELNS1_3repE0EEENS1_30default_config_static_selectorELNS0_4arch9wavefront6targetE0EEEvSK_,comdat
	.globl	_ZN7rocprim17ROCPRIM_400000_NS6detail17trampoline_kernelINS0_14default_configENS1_36segmented_radix_sort_config_selectorIhlEEZNS1_25segmented_radix_sort_implIS3_Lb1EPKhPhPKlPlN2at6native12_GLOBAL__N_18offset_tEEE10hipError_tPvRmT1_PNSt15iterator_traitsISK_E10value_typeET2_T3_PNSL_ISQ_E10value_typeET4_jRbjT5_SW_jjP12ihipStream_tbEUlT_E_NS1_11comp_targetILNS1_3genE2ELNS1_11target_archE906ELNS1_3gpuE6ELNS1_3repE0EEENS1_30default_config_static_selectorELNS0_4arch9wavefront6targetE0EEEvSK_ ; -- Begin function _ZN7rocprim17ROCPRIM_400000_NS6detail17trampoline_kernelINS0_14default_configENS1_36segmented_radix_sort_config_selectorIhlEEZNS1_25segmented_radix_sort_implIS3_Lb1EPKhPhPKlPlN2at6native12_GLOBAL__N_18offset_tEEE10hipError_tPvRmT1_PNSt15iterator_traitsISK_E10value_typeET2_T3_PNSL_ISQ_E10value_typeET4_jRbjT5_SW_jjP12ihipStream_tbEUlT_E_NS1_11comp_targetILNS1_3genE2ELNS1_11target_archE906ELNS1_3gpuE6ELNS1_3repE0EEENS1_30default_config_static_selectorELNS0_4arch9wavefront6targetE0EEEvSK_
	.p2align	8
	.type	_ZN7rocprim17ROCPRIM_400000_NS6detail17trampoline_kernelINS0_14default_configENS1_36segmented_radix_sort_config_selectorIhlEEZNS1_25segmented_radix_sort_implIS3_Lb1EPKhPhPKlPlN2at6native12_GLOBAL__N_18offset_tEEE10hipError_tPvRmT1_PNSt15iterator_traitsISK_E10value_typeET2_T3_PNSL_ISQ_E10value_typeET4_jRbjT5_SW_jjP12ihipStream_tbEUlT_E_NS1_11comp_targetILNS1_3genE2ELNS1_11target_archE906ELNS1_3gpuE6ELNS1_3repE0EEENS1_30default_config_static_selectorELNS0_4arch9wavefront6targetE0EEEvSK_,@function
_ZN7rocprim17ROCPRIM_400000_NS6detail17trampoline_kernelINS0_14default_configENS1_36segmented_radix_sort_config_selectorIhlEEZNS1_25segmented_radix_sort_implIS3_Lb1EPKhPhPKlPlN2at6native12_GLOBAL__N_18offset_tEEE10hipError_tPvRmT1_PNSt15iterator_traitsISK_E10value_typeET2_T3_PNSL_ISQ_E10value_typeET4_jRbjT5_SW_jjP12ihipStream_tbEUlT_E_NS1_11comp_targetILNS1_3genE2ELNS1_11target_archE906ELNS1_3gpuE6ELNS1_3repE0EEENS1_30default_config_static_selectorELNS0_4arch9wavefront6targetE0EEEvSK_: ; @_ZN7rocprim17ROCPRIM_400000_NS6detail17trampoline_kernelINS0_14default_configENS1_36segmented_radix_sort_config_selectorIhlEEZNS1_25segmented_radix_sort_implIS3_Lb1EPKhPhPKlPlN2at6native12_GLOBAL__N_18offset_tEEE10hipError_tPvRmT1_PNSt15iterator_traitsISK_E10value_typeET2_T3_PNSL_ISQ_E10value_typeET4_jRbjT5_SW_jjP12ihipStream_tbEUlT_E_NS1_11comp_targetILNS1_3genE2ELNS1_11target_archE906ELNS1_3gpuE6ELNS1_3repE0EEENS1_30default_config_static_selectorELNS0_4arch9wavefront6targetE0EEEvSK_
; %bb.0:
	.section	.rodata,"a",@progbits
	.p2align	6, 0x0
	.amdhsa_kernel _ZN7rocprim17ROCPRIM_400000_NS6detail17trampoline_kernelINS0_14default_configENS1_36segmented_radix_sort_config_selectorIhlEEZNS1_25segmented_radix_sort_implIS3_Lb1EPKhPhPKlPlN2at6native12_GLOBAL__N_18offset_tEEE10hipError_tPvRmT1_PNSt15iterator_traitsISK_E10value_typeET2_T3_PNSL_ISQ_E10value_typeET4_jRbjT5_SW_jjP12ihipStream_tbEUlT_E_NS1_11comp_targetILNS1_3genE2ELNS1_11target_archE906ELNS1_3gpuE6ELNS1_3repE0EEENS1_30default_config_static_selectorELNS0_4arch9wavefront6targetE0EEEvSK_
		.amdhsa_group_segment_fixed_size 0
		.amdhsa_private_segment_fixed_size 0
		.amdhsa_kernarg_size 96
		.amdhsa_user_sgpr_count 15
		.amdhsa_user_sgpr_dispatch_ptr 0
		.amdhsa_user_sgpr_queue_ptr 0
		.amdhsa_user_sgpr_kernarg_segment_ptr 1
		.amdhsa_user_sgpr_dispatch_id 0
		.amdhsa_user_sgpr_private_segment_size 0
		.amdhsa_wavefront_size32 1
		.amdhsa_uses_dynamic_stack 0
		.amdhsa_enable_private_segment 0
		.amdhsa_system_sgpr_workgroup_id_x 1
		.amdhsa_system_sgpr_workgroup_id_y 0
		.amdhsa_system_sgpr_workgroup_id_z 0
		.amdhsa_system_sgpr_workgroup_info 0
		.amdhsa_system_vgpr_workitem_id 0
		.amdhsa_next_free_vgpr 1
		.amdhsa_next_free_sgpr 1
		.amdhsa_reserve_vcc 0
		.amdhsa_float_round_mode_32 0
		.amdhsa_float_round_mode_16_64 0
		.amdhsa_float_denorm_mode_32 3
		.amdhsa_float_denorm_mode_16_64 3
		.amdhsa_dx10_clamp 1
		.amdhsa_ieee_mode 1
		.amdhsa_fp16_overflow 0
		.amdhsa_workgroup_processor_mode 1
		.amdhsa_memory_ordered 1
		.amdhsa_forward_progress 0
		.amdhsa_shared_vgpr_count 0
		.amdhsa_exception_fp_ieee_invalid_op 0
		.amdhsa_exception_fp_denorm_src 0
		.amdhsa_exception_fp_ieee_div_zero 0
		.amdhsa_exception_fp_ieee_overflow 0
		.amdhsa_exception_fp_ieee_underflow 0
		.amdhsa_exception_fp_ieee_inexact 0
		.amdhsa_exception_int_div_zero 0
	.end_amdhsa_kernel
	.section	.text._ZN7rocprim17ROCPRIM_400000_NS6detail17trampoline_kernelINS0_14default_configENS1_36segmented_radix_sort_config_selectorIhlEEZNS1_25segmented_radix_sort_implIS3_Lb1EPKhPhPKlPlN2at6native12_GLOBAL__N_18offset_tEEE10hipError_tPvRmT1_PNSt15iterator_traitsISK_E10value_typeET2_T3_PNSL_ISQ_E10value_typeET4_jRbjT5_SW_jjP12ihipStream_tbEUlT_E_NS1_11comp_targetILNS1_3genE2ELNS1_11target_archE906ELNS1_3gpuE6ELNS1_3repE0EEENS1_30default_config_static_selectorELNS0_4arch9wavefront6targetE0EEEvSK_,"axG",@progbits,_ZN7rocprim17ROCPRIM_400000_NS6detail17trampoline_kernelINS0_14default_configENS1_36segmented_radix_sort_config_selectorIhlEEZNS1_25segmented_radix_sort_implIS3_Lb1EPKhPhPKlPlN2at6native12_GLOBAL__N_18offset_tEEE10hipError_tPvRmT1_PNSt15iterator_traitsISK_E10value_typeET2_T3_PNSL_ISQ_E10value_typeET4_jRbjT5_SW_jjP12ihipStream_tbEUlT_E_NS1_11comp_targetILNS1_3genE2ELNS1_11target_archE906ELNS1_3gpuE6ELNS1_3repE0EEENS1_30default_config_static_selectorELNS0_4arch9wavefront6targetE0EEEvSK_,comdat
.Lfunc_end87:
	.size	_ZN7rocprim17ROCPRIM_400000_NS6detail17trampoline_kernelINS0_14default_configENS1_36segmented_radix_sort_config_selectorIhlEEZNS1_25segmented_radix_sort_implIS3_Lb1EPKhPhPKlPlN2at6native12_GLOBAL__N_18offset_tEEE10hipError_tPvRmT1_PNSt15iterator_traitsISK_E10value_typeET2_T3_PNSL_ISQ_E10value_typeET4_jRbjT5_SW_jjP12ihipStream_tbEUlT_E_NS1_11comp_targetILNS1_3genE2ELNS1_11target_archE906ELNS1_3gpuE6ELNS1_3repE0EEENS1_30default_config_static_selectorELNS0_4arch9wavefront6targetE0EEEvSK_, .Lfunc_end87-_ZN7rocprim17ROCPRIM_400000_NS6detail17trampoline_kernelINS0_14default_configENS1_36segmented_radix_sort_config_selectorIhlEEZNS1_25segmented_radix_sort_implIS3_Lb1EPKhPhPKlPlN2at6native12_GLOBAL__N_18offset_tEEE10hipError_tPvRmT1_PNSt15iterator_traitsISK_E10value_typeET2_T3_PNSL_ISQ_E10value_typeET4_jRbjT5_SW_jjP12ihipStream_tbEUlT_E_NS1_11comp_targetILNS1_3genE2ELNS1_11target_archE906ELNS1_3gpuE6ELNS1_3repE0EEENS1_30default_config_static_selectorELNS0_4arch9wavefront6targetE0EEEvSK_
                                        ; -- End function
	.section	.AMDGPU.csdata,"",@progbits
; Kernel info:
; codeLenInByte = 0
; NumSgprs: 0
; NumVgprs: 0
; ScratchSize: 0
; MemoryBound: 0
; FloatMode: 240
; IeeeMode: 1
; LDSByteSize: 0 bytes/workgroup (compile time only)
; SGPRBlocks: 0
; VGPRBlocks: 0
; NumSGPRsForWavesPerEU: 1
; NumVGPRsForWavesPerEU: 1
; Occupancy: 16
; WaveLimiterHint : 0
; COMPUTE_PGM_RSRC2:SCRATCH_EN: 0
; COMPUTE_PGM_RSRC2:USER_SGPR: 15
; COMPUTE_PGM_RSRC2:TRAP_HANDLER: 0
; COMPUTE_PGM_RSRC2:TGID_X_EN: 1
; COMPUTE_PGM_RSRC2:TGID_Y_EN: 0
; COMPUTE_PGM_RSRC2:TGID_Z_EN: 0
; COMPUTE_PGM_RSRC2:TIDIG_COMP_CNT: 0
	.section	.text._ZN7rocprim17ROCPRIM_400000_NS6detail17trampoline_kernelINS0_14default_configENS1_36segmented_radix_sort_config_selectorIhlEEZNS1_25segmented_radix_sort_implIS3_Lb1EPKhPhPKlPlN2at6native12_GLOBAL__N_18offset_tEEE10hipError_tPvRmT1_PNSt15iterator_traitsISK_E10value_typeET2_T3_PNSL_ISQ_E10value_typeET4_jRbjT5_SW_jjP12ihipStream_tbEUlT_E_NS1_11comp_targetILNS1_3genE10ELNS1_11target_archE1201ELNS1_3gpuE5ELNS1_3repE0EEENS1_30default_config_static_selectorELNS0_4arch9wavefront6targetE0EEEvSK_,"axG",@progbits,_ZN7rocprim17ROCPRIM_400000_NS6detail17trampoline_kernelINS0_14default_configENS1_36segmented_radix_sort_config_selectorIhlEEZNS1_25segmented_radix_sort_implIS3_Lb1EPKhPhPKlPlN2at6native12_GLOBAL__N_18offset_tEEE10hipError_tPvRmT1_PNSt15iterator_traitsISK_E10value_typeET2_T3_PNSL_ISQ_E10value_typeET4_jRbjT5_SW_jjP12ihipStream_tbEUlT_E_NS1_11comp_targetILNS1_3genE10ELNS1_11target_archE1201ELNS1_3gpuE5ELNS1_3repE0EEENS1_30default_config_static_selectorELNS0_4arch9wavefront6targetE0EEEvSK_,comdat
	.globl	_ZN7rocprim17ROCPRIM_400000_NS6detail17trampoline_kernelINS0_14default_configENS1_36segmented_radix_sort_config_selectorIhlEEZNS1_25segmented_radix_sort_implIS3_Lb1EPKhPhPKlPlN2at6native12_GLOBAL__N_18offset_tEEE10hipError_tPvRmT1_PNSt15iterator_traitsISK_E10value_typeET2_T3_PNSL_ISQ_E10value_typeET4_jRbjT5_SW_jjP12ihipStream_tbEUlT_E_NS1_11comp_targetILNS1_3genE10ELNS1_11target_archE1201ELNS1_3gpuE5ELNS1_3repE0EEENS1_30default_config_static_selectorELNS0_4arch9wavefront6targetE0EEEvSK_ ; -- Begin function _ZN7rocprim17ROCPRIM_400000_NS6detail17trampoline_kernelINS0_14default_configENS1_36segmented_radix_sort_config_selectorIhlEEZNS1_25segmented_radix_sort_implIS3_Lb1EPKhPhPKlPlN2at6native12_GLOBAL__N_18offset_tEEE10hipError_tPvRmT1_PNSt15iterator_traitsISK_E10value_typeET2_T3_PNSL_ISQ_E10value_typeET4_jRbjT5_SW_jjP12ihipStream_tbEUlT_E_NS1_11comp_targetILNS1_3genE10ELNS1_11target_archE1201ELNS1_3gpuE5ELNS1_3repE0EEENS1_30default_config_static_selectorELNS0_4arch9wavefront6targetE0EEEvSK_
	.p2align	8
	.type	_ZN7rocprim17ROCPRIM_400000_NS6detail17trampoline_kernelINS0_14default_configENS1_36segmented_radix_sort_config_selectorIhlEEZNS1_25segmented_radix_sort_implIS3_Lb1EPKhPhPKlPlN2at6native12_GLOBAL__N_18offset_tEEE10hipError_tPvRmT1_PNSt15iterator_traitsISK_E10value_typeET2_T3_PNSL_ISQ_E10value_typeET4_jRbjT5_SW_jjP12ihipStream_tbEUlT_E_NS1_11comp_targetILNS1_3genE10ELNS1_11target_archE1201ELNS1_3gpuE5ELNS1_3repE0EEENS1_30default_config_static_selectorELNS0_4arch9wavefront6targetE0EEEvSK_,@function
_ZN7rocprim17ROCPRIM_400000_NS6detail17trampoline_kernelINS0_14default_configENS1_36segmented_radix_sort_config_selectorIhlEEZNS1_25segmented_radix_sort_implIS3_Lb1EPKhPhPKlPlN2at6native12_GLOBAL__N_18offset_tEEE10hipError_tPvRmT1_PNSt15iterator_traitsISK_E10value_typeET2_T3_PNSL_ISQ_E10value_typeET4_jRbjT5_SW_jjP12ihipStream_tbEUlT_E_NS1_11comp_targetILNS1_3genE10ELNS1_11target_archE1201ELNS1_3gpuE5ELNS1_3repE0EEENS1_30default_config_static_selectorELNS0_4arch9wavefront6targetE0EEEvSK_: ; @_ZN7rocprim17ROCPRIM_400000_NS6detail17trampoline_kernelINS0_14default_configENS1_36segmented_radix_sort_config_selectorIhlEEZNS1_25segmented_radix_sort_implIS3_Lb1EPKhPhPKlPlN2at6native12_GLOBAL__N_18offset_tEEE10hipError_tPvRmT1_PNSt15iterator_traitsISK_E10value_typeET2_T3_PNSL_ISQ_E10value_typeET4_jRbjT5_SW_jjP12ihipStream_tbEUlT_E_NS1_11comp_targetILNS1_3genE10ELNS1_11target_archE1201ELNS1_3gpuE5ELNS1_3repE0EEENS1_30default_config_static_selectorELNS0_4arch9wavefront6targetE0EEEvSK_
; %bb.0:
	.section	.rodata,"a",@progbits
	.p2align	6, 0x0
	.amdhsa_kernel _ZN7rocprim17ROCPRIM_400000_NS6detail17trampoline_kernelINS0_14default_configENS1_36segmented_radix_sort_config_selectorIhlEEZNS1_25segmented_radix_sort_implIS3_Lb1EPKhPhPKlPlN2at6native12_GLOBAL__N_18offset_tEEE10hipError_tPvRmT1_PNSt15iterator_traitsISK_E10value_typeET2_T3_PNSL_ISQ_E10value_typeET4_jRbjT5_SW_jjP12ihipStream_tbEUlT_E_NS1_11comp_targetILNS1_3genE10ELNS1_11target_archE1201ELNS1_3gpuE5ELNS1_3repE0EEENS1_30default_config_static_selectorELNS0_4arch9wavefront6targetE0EEEvSK_
		.amdhsa_group_segment_fixed_size 0
		.amdhsa_private_segment_fixed_size 0
		.amdhsa_kernarg_size 96
		.amdhsa_user_sgpr_count 15
		.amdhsa_user_sgpr_dispatch_ptr 0
		.amdhsa_user_sgpr_queue_ptr 0
		.amdhsa_user_sgpr_kernarg_segment_ptr 1
		.amdhsa_user_sgpr_dispatch_id 0
		.amdhsa_user_sgpr_private_segment_size 0
		.amdhsa_wavefront_size32 1
		.amdhsa_uses_dynamic_stack 0
		.amdhsa_enable_private_segment 0
		.amdhsa_system_sgpr_workgroup_id_x 1
		.amdhsa_system_sgpr_workgroup_id_y 0
		.amdhsa_system_sgpr_workgroup_id_z 0
		.amdhsa_system_sgpr_workgroup_info 0
		.amdhsa_system_vgpr_workitem_id 0
		.amdhsa_next_free_vgpr 1
		.amdhsa_next_free_sgpr 1
		.amdhsa_reserve_vcc 0
		.amdhsa_float_round_mode_32 0
		.amdhsa_float_round_mode_16_64 0
		.amdhsa_float_denorm_mode_32 3
		.amdhsa_float_denorm_mode_16_64 3
		.amdhsa_dx10_clamp 1
		.amdhsa_ieee_mode 1
		.amdhsa_fp16_overflow 0
		.amdhsa_workgroup_processor_mode 1
		.amdhsa_memory_ordered 1
		.amdhsa_forward_progress 0
		.amdhsa_shared_vgpr_count 0
		.amdhsa_exception_fp_ieee_invalid_op 0
		.amdhsa_exception_fp_denorm_src 0
		.amdhsa_exception_fp_ieee_div_zero 0
		.amdhsa_exception_fp_ieee_overflow 0
		.amdhsa_exception_fp_ieee_underflow 0
		.amdhsa_exception_fp_ieee_inexact 0
		.amdhsa_exception_int_div_zero 0
	.end_amdhsa_kernel
	.section	.text._ZN7rocprim17ROCPRIM_400000_NS6detail17trampoline_kernelINS0_14default_configENS1_36segmented_radix_sort_config_selectorIhlEEZNS1_25segmented_radix_sort_implIS3_Lb1EPKhPhPKlPlN2at6native12_GLOBAL__N_18offset_tEEE10hipError_tPvRmT1_PNSt15iterator_traitsISK_E10value_typeET2_T3_PNSL_ISQ_E10value_typeET4_jRbjT5_SW_jjP12ihipStream_tbEUlT_E_NS1_11comp_targetILNS1_3genE10ELNS1_11target_archE1201ELNS1_3gpuE5ELNS1_3repE0EEENS1_30default_config_static_selectorELNS0_4arch9wavefront6targetE0EEEvSK_,"axG",@progbits,_ZN7rocprim17ROCPRIM_400000_NS6detail17trampoline_kernelINS0_14default_configENS1_36segmented_radix_sort_config_selectorIhlEEZNS1_25segmented_radix_sort_implIS3_Lb1EPKhPhPKlPlN2at6native12_GLOBAL__N_18offset_tEEE10hipError_tPvRmT1_PNSt15iterator_traitsISK_E10value_typeET2_T3_PNSL_ISQ_E10value_typeET4_jRbjT5_SW_jjP12ihipStream_tbEUlT_E_NS1_11comp_targetILNS1_3genE10ELNS1_11target_archE1201ELNS1_3gpuE5ELNS1_3repE0EEENS1_30default_config_static_selectorELNS0_4arch9wavefront6targetE0EEEvSK_,comdat
.Lfunc_end88:
	.size	_ZN7rocprim17ROCPRIM_400000_NS6detail17trampoline_kernelINS0_14default_configENS1_36segmented_radix_sort_config_selectorIhlEEZNS1_25segmented_radix_sort_implIS3_Lb1EPKhPhPKlPlN2at6native12_GLOBAL__N_18offset_tEEE10hipError_tPvRmT1_PNSt15iterator_traitsISK_E10value_typeET2_T3_PNSL_ISQ_E10value_typeET4_jRbjT5_SW_jjP12ihipStream_tbEUlT_E_NS1_11comp_targetILNS1_3genE10ELNS1_11target_archE1201ELNS1_3gpuE5ELNS1_3repE0EEENS1_30default_config_static_selectorELNS0_4arch9wavefront6targetE0EEEvSK_, .Lfunc_end88-_ZN7rocprim17ROCPRIM_400000_NS6detail17trampoline_kernelINS0_14default_configENS1_36segmented_radix_sort_config_selectorIhlEEZNS1_25segmented_radix_sort_implIS3_Lb1EPKhPhPKlPlN2at6native12_GLOBAL__N_18offset_tEEE10hipError_tPvRmT1_PNSt15iterator_traitsISK_E10value_typeET2_T3_PNSL_ISQ_E10value_typeET4_jRbjT5_SW_jjP12ihipStream_tbEUlT_E_NS1_11comp_targetILNS1_3genE10ELNS1_11target_archE1201ELNS1_3gpuE5ELNS1_3repE0EEENS1_30default_config_static_selectorELNS0_4arch9wavefront6targetE0EEEvSK_
                                        ; -- End function
	.section	.AMDGPU.csdata,"",@progbits
; Kernel info:
; codeLenInByte = 0
; NumSgprs: 0
; NumVgprs: 0
; ScratchSize: 0
; MemoryBound: 0
; FloatMode: 240
; IeeeMode: 1
; LDSByteSize: 0 bytes/workgroup (compile time only)
; SGPRBlocks: 0
; VGPRBlocks: 0
; NumSGPRsForWavesPerEU: 1
; NumVGPRsForWavesPerEU: 1
; Occupancy: 16
; WaveLimiterHint : 0
; COMPUTE_PGM_RSRC2:SCRATCH_EN: 0
; COMPUTE_PGM_RSRC2:USER_SGPR: 15
; COMPUTE_PGM_RSRC2:TRAP_HANDLER: 0
; COMPUTE_PGM_RSRC2:TGID_X_EN: 1
; COMPUTE_PGM_RSRC2:TGID_Y_EN: 0
; COMPUTE_PGM_RSRC2:TGID_Z_EN: 0
; COMPUTE_PGM_RSRC2:TIDIG_COMP_CNT: 0
	.section	.text._ZN7rocprim17ROCPRIM_400000_NS6detail17trampoline_kernelINS0_14default_configENS1_36segmented_radix_sort_config_selectorIhlEEZNS1_25segmented_radix_sort_implIS3_Lb1EPKhPhPKlPlN2at6native12_GLOBAL__N_18offset_tEEE10hipError_tPvRmT1_PNSt15iterator_traitsISK_E10value_typeET2_T3_PNSL_ISQ_E10value_typeET4_jRbjT5_SW_jjP12ihipStream_tbEUlT_E_NS1_11comp_targetILNS1_3genE10ELNS1_11target_archE1200ELNS1_3gpuE4ELNS1_3repE0EEENS1_30default_config_static_selectorELNS0_4arch9wavefront6targetE0EEEvSK_,"axG",@progbits,_ZN7rocprim17ROCPRIM_400000_NS6detail17trampoline_kernelINS0_14default_configENS1_36segmented_radix_sort_config_selectorIhlEEZNS1_25segmented_radix_sort_implIS3_Lb1EPKhPhPKlPlN2at6native12_GLOBAL__N_18offset_tEEE10hipError_tPvRmT1_PNSt15iterator_traitsISK_E10value_typeET2_T3_PNSL_ISQ_E10value_typeET4_jRbjT5_SW_jjP12ihipStream_tbEUlT_E_NS1_11comp_targetILNS1_3genE10ELNS1_11target_archE1200ELNS1_3gpuE4ELNS1_3repE0EEENS1_30default_config_static_selectorELNS0_4arch9wavefront6targetE0EEEvSK_,comdat
	.globl	_ZN7rocprim17ROCPRIM_400000_NS6detail17trampoline_kernelINS0_14default_configENS1_36segmented_radix_sort_config_selectorIhlEEZNS1_25segmented_radix_sort_implIS3_Lb1EPKhPhPKlPlN2at6native12_GLOBAL__N_18offset_tEEE10hipError_tPvRmT1_PNSt15iterator_traitsISK_E10value_typeET2_T3_PNSL_ISQ_E10value_typeET4_jRbjT5_SW_jjP12ihipStream_tbEUlT_E_NS1_11comp_targetILNS1_3genE10ELNS1_11target_archE1200ELNS1_3gpuE4ELNS1_3repE0EEENS1_30default_config_static_selectorELNS0_4arch9wavefront6targetE0EEEvSK_ ; -- Begin function _ZN7rocprim17ROCPRIM_400000_NS6detail17trampoline_kernelINS0_14default_configENS1_36segmented_radix_sort_config_selectorIhlEEZNS1_25segmented_radix_sort_implIS3_Lb1EPKhPhPKlPlN2at6native12_GLOBAL__N_18offset_tEEE10hipError_tPvRmT1_PNSt15iterator_traitsISK_E10value_typeET2_T3_PNSL_ISQ_E10value_typeET4_jRbjT5_SW_jjP12ihipStream_tbEUlT_E_NS1_11comp_targetILNS1_3genE10ELNS1_11target_archE1200ELNS1_3gpuE4ELNS1_3repE0EEENS1_30default_config_static_selectorELNS0_4arch9wavefront6targetE0EEEvSK_
	.p2align	8
	.type	_ZN7rocprim17ROCPRIM_400000_NS6detail17trampoline_kernelINS0_14default_configENS1_36segmented_radix_sort_config_selectorIhlEEZNS1_25segmented_radix_sort_implIS3_Lb1EPKhPhPKlPlN2at6native12_GLOBAL__N_18offset_tEEE10hipError_tPvRmT1_PNSt15iterator_traitsISK_E10value_typeET2_T3_PNSL_ISQ_E10value_typeET4_jRbjT5_SW_jjP12ihipStream_tbEUlT_E_NS1_11comp_targetILNS1_3genE10ELNS1_11target_archE1200ELNS1_3gpuE4ELNS1_3repE0EEENS1_30default_config_static_selectorELNS0_4arch9wavefront6targetE0EEEvSK_,@function
_ZN7rocprim17ROCPRIM_400000_NS6detail17trampoline_kernelINS0_14default_configENS1_36segmented_radix_sort_config_selectorIhlEEZNS1_25segmented_radix_sort_implIS3_Lb1EPKhPhPKlPlN2at6native12_GLOBAL__N_18offset_tEEE10hipError_tPvRmT1_PNSt15iterator_traitsISK_E10value_typeET2_T3_PNSL_ISQ_E10value_typeET4_jRbjT5_SW_jjP12ihipStream_tbEUlT_E_NS1_11comp_targetILNS1_3genE10ELNS1_11target_archE1200ELNS1_3gpuE4ELNS1_3repE0EEENS1_30default_config_static_selectorELNS0_4arch9wavefront6targetE0EEEvSK_: ; @_ZN7rocprim17ROCPRIM_400000_NS6detail17trampoline_kernelINS0_14default_configENS1_36segmented_radix_sort_config_selectorIhlEEZNS1_25segmented_radix_sort_implIS3_Lb1EPKhPhPKlPlN2at6native12_GLOBAL__N_18offset_tEEE10hipError_tPvRmT1_PNSt15iterator_traitsISK_E10value_typeET2_T3_PNSL_ISQ_E10value_typeET4_jRbjT5_SW_jjP12ihipStream_tbEUlT_E_NS1_11comp_targetILNS1_3genE10ELNS1_11target_archE1200ELNS1_3gpuE4ELNS1_3repE0EEENS1_30default_config_static_selectorELNS0_4arch9wavefront6targetE0EEEvSK_
; %bb.0:
	.section	.rodata,"a",@progbits
	.p2align	6, 0x0
	.amdhsa_kernel _ZN7rocprim17ROCPRIM_400000_NS6detail17trampoline_kernelINS0_14default_configENS1_36segmented_radix_sort_config_selectorIhlEEZNS1_25segmented_radix_sort_implIS3_Lb1EPKhPhPKlPlN2at6native12_GLOBAL__N_18offset_tEEE10hipError_tPvRmT1_PNSt15iterator_traitsISK_E10value_typeET2_T3_PNSL_ISQ_E10value_typeET4_jRbjT5_SW_jjP12ihipStream_tbEUlT_E_NS1_11comp_targetILNS1_3genE10ELNS1_11target_archE1200ELNS1_3gpuE4ELNS1_3repE0EEENS1_30default_config_static_selectorELNS0_4arch9wavefront6targetE0EEEvSK_
		.amdhsa_group_segment_fixed_size 0
		.amdhsa_private_segment_fixed_size 0
		.amdhsa_kernarg_size 96
		.amdhsa_user_sgpr_count 15
		.amdhsa_user_sgpr_dispatch_ptr 0
		.amdhsa_user_sgpr_queue_ptr 0
		.amdhsa_user_sgpr_kernarg_segment_ptr 1
		.amdhsa_user_sgpr_dispatch_id 0
		.amdhsa_user_sgpr_private_segment_size 0
		.amdhsa_wavefront_size32 1
		.amdhsa_uses_dynamic_stack 0
		.amdhsa_enable_private_segment 0
		.amdhsa_system_sgpr_workgroup_id_x 1
		.amdhsa_system_sgpr_workgroup_id_y 0
		.amdhsa_system_sgpr_workgroup_id_z 0
		.amdhsa_system_sgpr_workgroup_info 0
		.amdhsa_system_vgpr_workitem_id 0
		.amdhsa_next_free_vgpr 1
		.amdhsa_next_free_sgpr 1
		.amdhsa_reserve_vcc 0
		.amdhsa_float_round_mode_32 0
		.amdhsa_float_round_mode_16_64 0
		.amdhsa_float_denorm_mode_32 3
		.amdhsa_float_denorm_mode_16_64 3
		.amdhsa_dx10_clamp 1
		.amdhsa_ieee_mode 1
		.amdhsa_fp16_overflow 0
		.amdhsa_workgroup_processor_mode 1
		.amdhsa_memory_ordered 1
		.amdhsa_forward_progress 0
		.amdhsa_shared_vgpr_count 0
		.amdhsa_exception_fp_ieee_invalid_op 0
		.amdhsa_exception_fp_denorm_src 0
		.amdhsa_exception_fp_ieee_div_zero 0
		.amdhsa_exception_fp_ieee_overflow 0
		.amdhsa_exception_fp_ieee_underflow 0
		.amdhsa_exception_fp_ieee_inexact 0
		.amdhsa_exception_int_div_zero 0
	.end_amdhsa_kernel
	.section	.text._ZN7rocprim17ROCPRIM_400000_NS6detail17trampoline_kernelINS0_14default_configENS1_36segmented_radix_sort_config_selectorIhlEEZNS1_25segmented_radix_sort_implIS3_Lb1EPKhPhPKlPlN2at6native12_GLOBAL__N_18offset_tEEE10hipError_tPvRmT1_PNSt15iterator_traitsISK_E10value_typeET2_T3_PNSL_ISQ_E10value_typeET4_jRbjT5_SW_jjP12ihipStream_tbEUlT_E_NS1_11comp_targetILNS1_3genE10ELNS1_11target_archE1200ELNS1_3gpuE4ELNS1_3repE0EEENS1_30default_config_static_selectorELNS0_4arch9wavefront6targetE0EEEvSK_,"axG",@progbits,_ZN7rocprim17ROCPRIM_400000_NS6detail17trampoline_kernelINS0_14default_configENS1_36segmented_radix_sort_config_selectorIhlEEZNS1_25segmented_radix_sort_implIS3_Lb1EPKhPhPKlPlN2at6native12_GLOBAL__N_18offset_tEEE10hipError_tPvRmT1_PNSt15iterator_traitsISK_E10value_typeET2_T3_PNSL_ISQ_E10value_typeET4_jRbjT5_SW_jjP12ihipStream_tbEUlT_E_NS1_11comp_targetILNS1_3genE10ELNS1_11target_archE1200ELNS1_3gpuE4ELNS1_3repE0EEENS1_30default_config_static_selectorELNS0_4arch9wavefront6targetE0EEEvSK_,comdat
.Lfunc_end89:
	.size	_ZN7rocprim17ROCPRIM_400000_NS6detail17trampoline_kernelINS0_14default_configENS1_36segmented_radix_sort_config_selectorIhlEEZNS1_25segmented_radix_sort_implIS3_Lb1EPKhPhPKlPlN2at6native12_GLOBAL__N_18offset_tEEE10hipError_tPvRmT1_PNSt15iterator_traitsISK_E10value_typeET2_T3_PNSL_ISQ_E10value_typeET4_jRbjT5_SW_jjP12ihipStream_tbEUlT_E_NS1_11comp_targetILNS1_3genE10ELNS1_11target_archE1200ELNS1_3gpuE4ELNS1_3repE0EEENS1_30default_config_static_selectorELNS0_4arch9wavefront6targetE0EEEvSK_, .Lfunc_end89-_ZN7rocprim17ROCPRIM_400000_NS6detail17trampoline_kernelINS0_14default_configENS1_36segmented_radix_sort_config_selectorIhlEEZNS1_25segmented_radix_sort_implIS3_Lb1EPKhPhPKlPlN2at6native12_GLOBAL__N_18offset_tEEE10hipError_tPvRmT1_PNSt15iterator_traitsISK_E10value_typeET2_T3_PNSL_ISQ_E10value_typeET4_jRbjT5_SW_jjP12ihipStream_tbEUlT_E_NS1_11comp_targetILNS1_3genE10ELNS1_11target_archE1200ELNS1_3gpuE4ELNS1_3repE0EEENS1_30default_config_static_selectorELNS0_4arch9wavefront6targetE0EEEvSK_
                                        ; -- End function
	.section	.AMDGPU.csdata,"",@progbits
; Kernel info:
; codeLenInByte = 0
; NumSgprs: 0
; NumVgprs: 0
; ScratchSize: 0
; MemoryBound: 0
; FloatMode: 240
; IeeeMode: 1
; LDSByteSize: 0 bytes/workgroup (compile time only)
; SGPRBlocks: 0
; VGPRBlocks: 0
; NumSGPRsForWavesPerEU: 1
; NumVGPRsForWavesPerEU: 1
; Occupancy: 16
; WaveLimiterHint : 0
; COMPUTE_PGM_RSRC2:SCRATCH_EN: 0
; COMPUTE_PGM_RSRC2:USER_SGPR: 15
; COMPUTE_PGM_RSRC2:TRAP_HANDLER: 0
; COMPUTE_PGM_RSRC2:TGID_X_EN: 1
; COMPUTE_PGM_RSRC2:TGID_Y_EN: 0
; COMPUTE_PGM_RSRC2:TGID_Z_EN: 0
; COMPUTE_PGM_RSRC2:TIDIG_COMP_CNT: 0
	.text
	.p2align	2                               ; -- Begin function _ZN7rocprim17ROCPRIM_400000_NS6detail40segmented_radix_sort_single_block_helperIhlLj256ELj8ELb1EE4sortIPKhPhPKlPlEEbT_T0_T1_T2_jjjjRNS3_12storage_typeE
	.type	_ZN7rocprim17ROCPRIM_400000_NS6detail40segmented_radix_sort_single_block_helperIhlLj256ELj8ELb1EE4sortIPKhPhPKlPlEEbT_T0_T1_T2_jjjjRNS3_12storage_typeE,@function
_ZN7rocprim17ROCPRIM_400000_NS6detail40segmented_radix_sort_single_block_helperIhlLj256ELj8ELb1EE4sortIPKhPhPKlPlEEbT_T0_T1_T2_jjjjRNS3_12storage_typeE: ; @_ZN7rocprim17ROCPRIM_400000_NS6detail40segmented_radix_sort_single_block_helperIhlLj256ELj8ELb1EE4sortIPKhPhPKlPlEEbT_T0_T1_T2_jjjjRNS3_12storage_typeE
; %bb.0:
	s_waitcnt vmcnt(0) expcnt(0) lgkmcnt(0)
	v_sub_nc_u32_e32 v134, v9, v8
	s_mov_b32 s24, exec_lo
	s_delay_alu instid0(VALU_DEP_1)
	v_cmpx_gt_u32_e32 0x801, v134
	s_cbranch_execz .LBB90_199
; %bb.1:
	v_bfe_u32 v14, v31, 10, 10
	v_bfe_u32 v15, v31, 20, 10
	v_and_b32_e32 v26, 0x3ff, v31
	v_mbcnt_lo_u32_b32 v34, -1, 0
	s_mov_b32 s0, exec_lo
	v_cmpx_lt_u32_e32 0x400, v134
	s_xor_b32 s19, exec_lo, s0
	s_cbranch_execz .LBB90_79
; %bb.2:
	s_load_b64 s[0:1], s[8:9], 0x0
	v_mov_b32_e32 v9, 0
	v_add_co_u32 v0, vcc_lo, v0, v8
	v_add_co_ci_u32_e32 v1, vcc_lo, 0, v1, vcc_lo
	s_delay_alu instid0(VALU_DEP_2) | instskip(NEXT) | instid1(VALU_DEP_2)
	v_add_co_u32 v0, vcc_lo, v0, v34
	v_add_co_ci_u32_e32 v1, vcc_lo, 0, v1, vcc_lo
	s_waitcnt lgkmcnt(0)
	s_cmp_lt_u32 s13, s1
	s_cselect_b32 s1, 14, 20
	s_delay_alu instid0(SALU_CYCLE_1) | instskip(SKIP_4) | instid1(SALU_CYCLE_1)
	s_add_u32 s2, s8, s1
	s_addc_u32 s3, s9, 0
	s_cmp_lt_u32 s12, s0
	global_load_u16 v16, v9, s[2:3]
	s_cselect_b32 s0, 12, 18
	s_add_u32 s0, s8, s0
	s_addc_u32 s1, s9, 0
	global_load_u16 v17, v9, s[0:1]
	s_mov_b32 s0, 0
	s_delay_alu instid0(SALU_CYCLE_1) | instskip(SKIP_3) | instid1(VALU_DEP_1)
	s_mov_b32 s1, s0
	s_waitcnt vmcnt(1)
	v_mad_u32_u24 v14, v15, v16, v14
	s_waitcnt vmcnt(0)
	v_mad_u64_u32 v[27:28], null, v14, v17, v[26:27]
	s_delay_alu instid0(VALU_DEP_1) | instskip(NEXT) | instid1(VALU_DEP_1)
	v_dual_mov_b32 v17, v9 :: v_dual_lshlrev_b32 v14, 3, v27
	v_dual_mov_b32 v15, s1 :: v_dual_and_b32 v16, 0xffffff00, v14
	v_mov_b32_e32 v14, s0
	s_delay_alu instid0(VALU_DEP_2) | instskip(SKIP_2) | instid1(VALU_DEP_3)
	v_or_b32_e32 v18, v16, v34
	v_add_co_u32 v0, vcc_lo, v0, v16
	v_add_co_ci_u32_e32 v1, vcc_lo, 0, v1, vcc_lo
	v_cmp_lt_u32_e32 vcc_lo, v18, v134
	s_and_saveexec_b32 s1, vcc_lo
	s_cbranch_execz .LBB90_4
; %bb.3:
	flat_load_u8 v14, v[0:1]
	s_waitcnt vmcnt(0) lgkmcnt(0)
	v_dual_mov_b32 v15, s0 :: v_dual_and_b32 v14, 0xffff, v14
.LBB90_4:
	s_or_b32 exec_lo, exec_lo, s1
	v_or_b32_e32 v19, 32, v18
	s_delay_alu instid0(VALU_DEP_1) | instskip(NEXT) | instid1(VALU_DEP_1)
	v_cmp_lt_u32_e64 s0, v19, v134
	s_and_saveexec_b32 s1, s0
	s_cbranch_execz .LBB90_6
; %bb.5:
	flat_load_u8 v19, v[0:1] offset:32
	s_waitcnt vmcnt(0) lgkmcnt(0)
	v_perm_b32 v14, v14, v19, 0x7060004
.LBB90_6:
	s_or_b32 exec_lo, exec_lo, s1
	v_or_b32_e32 v19, 64, v18
	s_delay_alu instid0(VALU_DEP_1) | instskip(NEXT) | instid1(VALU_DEP_1)
	v_cmp_lt_u32_e64 s1, v19, v134
	s_and_saveexec_b32 s2, s1
	s_cbranch_execz .LBB90_8
; %bb.7:
	flat_load_u8 v19, v[0:1] offset:64
	v_lshrrev_b32_e32 v20, 16, v14
	s_delay_alu instid0(VALU_DEP_1) | instskip(SKIP_1) | instid1(VALU_DEP_1)
	v_and_b32_e32 v20, 0xffffff00, v20
	s_waitcnt vmcnt(0) lgkmcnt(0)
	v_or_b32_e32 v19, v19, v20
	s_delay_alu instid0(VALU_DEP_1) | instskip(NEXT) | instid1(VALU_DEP_1)
	v_lshlrev_b32_e32 v19, 16, v19
	v_and_or_b32 v14, 0xffff, v14, v19
.LBB90_8:
	s_or_b32 exec_lo, exec_lo, s2
	v_or_b32_e32 v19, 0x60, v18
	s_delay_alu instid0(VALU_DEP_1) | instskip(NEXT) | instid1(VALU_DEP_1)
	v_cmp_lt_u32_e64 s2, v19, v134
	s_and_saveexec_b32 s3, s2
	s_cbranch_execz .LBB90_10
; %bb.9:
	flat_load_u8 v19, v[0:1] offset:96
	v_lshrrev_b32_e32 v20, 16, v14
	s_delay_alu instid0(VALU_DEP_1) | instskip(SKIP_2) | instid1(VALU_DEP_1)
	v_and_b32_e32 v20, 0xff, v20
	s_waitcnt vmcnt(0) lgkmcnt(0)
	v_lshlrev_b16 v19, 8, v19
	v_or_b32_e32 v19, v20, v19
	s_delay_alu instid0(VALU_DEP_1) | instskip(NEXT) | instid1(VALU_DEP_1)
	v_lshlrev_b32_e32 v19, 16, v19
	v_and_or_b32 v14, 0xffff, v14, v19
.LBB90_10:
	s_or_b32 exec_lo, exec_lo, s3
	v_or_b32_e32 v19, 0x80, v18
	s_delay_alu instid0(VALU_DEP_1) | instskip(NEXT) | instid1(VALU_DEP_1)
	v_cmp_lt_u32_e64 s3, v19, v134
	s_and_saveexec_b32 s4, s3
	s_cbranch_execz .LBB90_12
; %bb.11:
	flat_load_u8 v19, v[0:1] offset:128
	s_waitcnt vmcnt(0) lgkmcnt(0)
	v_perm_b32 v15, v19, v15, 0x3020104
.LBB90_12:
	s_or_b32 exec_lo, exec_lo, s4
	v_or_b32_e32 v19, 0xa0, v18
	s_delay_alu instid0(VALU_DEP_1) | instskip(NEXT) | instid1(VALU_DEP_1)
	v_cmp_lt_u32_e64 s4, v19, v134
	s_and_saveexec_b32 s5, s4
	s_cbranch_execz .LBB90_14
; %bb.13:
	flat_load_u8 v19, v[0:1] offset:160
	s_waitcnt vmcnt(0) lgkmcnt(0)
	v_perm_b32 v15, v15, v19, 0x7060004
.LBB90_14:
	;; [unrolled: 11-line block ×4, first 2 shown]
	s_or_b32 exec_lo, exec_lo, s7
	v_lshlrev_b64 v[0:1], 3, v[8:9]
	v_lshlrev_b32_e32 v9, 3, v34
	s_delay_alu instid0(VALU_DEP_2) | instskip(NEXT) | instid1(VALU_DEP_1)
	v_add_co_u32 v18, s7, v4, v0
	v_add_co_ci_u32_e64 v19, s7, v5, v1, s7
	v_lshlrev_b64 v[4:5], 3, v[16:17]
	s_delay_alu instid0(VALU_DEP_3) | instskip(NEXT) | instid1(VALU_DEP_1)
	v_add_co_u32 v9, s7, v18, v9
	v_add_co_ci_u32_e64 v16, s7, 0, v19, s7
                                        ; implicit-def: $vgpr18_vgpr19
	s_delay_alu instid0(VALU_DEP_2) | instskip(NEXT) | instid1(VALU_DEP_1)
	v_add_co_u32 v4, s7, v9, v4
	v_add_co_ci_u32_e64 v5, s7, v16, v5, s7
	s_and_saveexec_b32 s7, vcc_lo
	s_cbranch_execnz .LBB90_112
; %bb.19:
	s_or_b32 exec_lo, exec_lo, s7
                                        ; implicit-def: $vgpr20_vgpr21
	s_and_saveexec_b32 s7, s0
	s_cbranch_execnz .LBB90_113
.LBB90_20:
	s_or_b32 exec_lo, exec_lo, s7
                                        ; implicit-def: $vgpr22_vgpr23
	s_and_saveexec_b32 s0, s1
	s_cbranch_execnz .LBB90_114
.LBB90_21:
	s_or_b32 exec_lo, exec_lo, s0
                                        ; implicit-def: $vgpr24_vgpr25
	s_and_saveexec_b32 s0, s2
	s_cbranch_execnz .LBB90_115
.LBB90_22:
	s_or_b32 exec_lo, exec_lo, s0
                                        ; implicit-def: $vgpr84_vgpr85
	s_and_saveexec_b32 s0, s3
	s_cbranch_execnz .LBB90_116
.LBB90_23:
	s_or_b32 exec_lo, exec_lo, s0
                                        ; implicit-def: $vgpr86_vgpr87
	s_and_saveexec_b32 s0, s4
	s_cbranch_execnz .LBB90_117
.LBB90_24:
	s_or_b32 exec_lo, exec_lo, s0
                                        ; implicit-def: $vgpr96_vgpr97
	s_and_saveexec_b32 s0, s5
	s_cbranch_execnz .LBB90_118
.LBB90_25:
	s_or_b32 exec_lo, exec_lo, s0
                                        ; implicit-def: $vgpr98_vgpr99
	s_and_saveexec_b32 s0, s6
	s_cbranch_execz .LBB90_27
.LBB90_26:
	flat_load_b64 v[98:99], v[4:5] offset:1792
.LBB90_27:
	s_or_b32 exec_lo, exec_lo, s0
	v_lshrrev_b32_e32 v9, 24, v14
	v_lshrrev_b32_e32 v4, 8, v14
	;; [unrolled: 1-line block ×3, first 2 shown]
	v_xor_b32_e32 v16, -1, v14
	v_lshlrev_b32_e32 v14, 5, v26
	v_xor_b32_e32 v36, -1, v9
	v_lshrrev_b32_e32 v9, 24, v15
	v_xor_b32_e32 v17, -1, v4
	v_lshrrev_b32_e32 v4, 8, v15
	s_mov_b32 s20, 0
	v_xor_b32_e32 v35, -1, v5
	v_lshrrev_b32_e32 v5, 16, v15
	v_xor_b32_e32 v48, -1, v9
	v_add_co_u32 v9, vcc_lo, v12, 32
	s_mov_b32 s21, s20
	s_mov_b32 s22, s20
	;; [unrolled: 1-line block ×3, first 2 shown]
	v_and_b32_e32 v31, 0x3e0, v26
	v_add_nc_u32_e32 v32, -1, v34
	v_add_co_ci_u32_e32 v135, vcc_lo, 0, v13, vcc_lo
	v_xor_b32_e32 v37, -1, v15
	v_xor_b32_e32 v38, -1, v4
	v_mov_b32_e32 v15, 0
	v_add_co_u32 v4, vcc_lo, v12, v14
	v_xor_b32_e32 v39, -1, v5
	v_add_co_ci_u32_e32 v5, vcc_lo, 0, v13, vcc_lo
	v_and_b32_e32 v30, 15, v34
	v_add_co_u32 v28, vcc_lo, v9, v14
	v_min_u32_e32 v14, 0xe0, v31
	v_cmp_gt_i32_e64 s4, 0, v32
	s_getpc_b64 s[0:1]
	s_add_u32 s0, s0, _ZN7rocprim17ROCPRIM_400000_NS16block_radix_sortIhLj256ELj8ElLj1ELj1ELj8ELNS0_26block_radix_rank_algorithmE2ELNS0_18block_padding_hintE2ELNS0_4arch9wavefront6targetE0EE19radix_bits_per_passE@rel32@lo+4
	s_addc_u32 s1, s1, _ZN7rocprim17ROCPRIM_400000_NS16block_radix_sortIhLj256ELj8ElLj1ELj1ELj8ELNS0_26block_radix_rank_algorithmE2ELNS0_18block_padding_hintE2ELNS0_4arch9wavefront6targetE0EE19radix_bits_per_passE@rel32@hi+12
	v_add_co_ci_u32_e32 v29, vcc_lo, 0, v135, vcc_lo
	s_load_b32 s25, s[0:1], 0x0
	v_cmp_eq_u32_e32 vcc_lo, 0, v30
	v_cmp_lt_u32_e64 s0, 1, v30
	v_cmp_lt_u32_e64 s1, 3, v30
	v_cmp_lt_u32_e64 s2, 7, v30
	v_or_b32_e32 v14, 31, v14
	v_cndmask_b32_e64 v30, v32, v34, s4
	v_lshrrev_b32_e32 v32, 5, v26
	v_lshlrev_b32_e32 v49, 3, v26
	v_and_b32_e32 v16, 0xff, v16
	v_cmp_eq_u32_e64 s4, v14, v26
	v_lshlrev_b16 v17, 8, v17
	v_lshlrev_b32_e32 v14, 2, v32
	v_lshlrev_b16 v36, 8, v36
	v_and_b32_e32 v35, 0xff, v35
	v_and_b32_e32 v37, 0xff, v37
	v_lshlrev_b16 v38, 8, v38
	v_lshlrev_b16 v48, 8, v48
	v_and_b32_e32 v39, 0xff, v39
	v_and_or_b32 v49, 0x1f00, v49, v34
	v_and_b32_e32 v31, 16, v34
	v_lshlrev_b32_e32 v145, 2, v30
	v_add_co_u32 v30, s11, v12, v14
	v_add_nc_u32_e32 v14, -1, v32
	v_lshlrev_b32_e32 v33, 2, v26
	v_or_b32_e32 v16, v16, v17
	v_or_b32_e32 v17, v35, v36
	v_cmp_eq_u32_e64 s7, 0, v34
	v_and_b32_e32 v50, 7, v34
	v_or_b32_e32 v36, v37, v38
	v_or_b32_e32 v37, v39, v48
	v_add_co_u32 v34, s16, v12, v49
	v_cmp_eq_u32_e64 s3, 0, v31
	v_add_co_ci_u32_e64 v31, s11, 0, v13, s11
	v_lshlrev_b64 v[14:15], 2, v[14:15]
	v_add_co_u32 v32, s11, v12, v33
	v_add_co_ci_u32_e64 v35, s16, 0, v13, s16
	v_add_co_ci_u32_e64 v33, s11, 0, v13, s11
	v_and_b32_e32 v16, 0xffff, v16
	v_lshlrev_b32_e32 v17, 16, v17
	v_cmp_eq_u32_e64 s11, 0, v50
	v_cmp_lt_u32_e64 s14, 1, v50
	v_cmp_lt_u32_e64 s15, 3, v50
	v_and_b32_e32 v50, 0xffff, v36
	v_lshlrev_b32_e32 v51, 16, v37
	v_add_co_u32 v36, s16, v12, v14
	v_mad_u64_u32 v[38:39], null, v49, 7, v[34:35]
	v_add_co_ci_u32_e64 v37, s16, v13, v15, s16
	v_or_b32_e32 v48, v16, v17
	v_mov_b32_e32 v14, s20
	v_lshrrev_b32_e32 v144, 5, v27
	v_cmp_gt_u32_e64 s5, 8, v26
	v_cmp_lt_u32_e64 s6, 31, v26
	v_cmp_eq_u32_e64 s10, 0, v26
	v_or_b32_e32 v49, v50, v51
	v_sub_nc_u32_e32 v146, v11, v10
	v_dual_mov_b32 v15, s21 :: v_dual_mov_b32 v16, s22
	v_mov_b32_e32 v17, s23
	s_waitcnt vmcnt(0) lgkmcnt(0)
	s_waitcnt_vscnt null, 0x0
	s_barrier
	buffer_gl0_inv
	s_branch .LBB90_29
.LBB90_28:                              ;   in Loop: Header=BB90_29 Depth=1
	s_or_b32 exec_lo, exec_lo, s17
	s_delay_alu instid0(SALU_CYCLE_1) | instskip(NEXT) | instid1(SALU_CYCLE_1)
	s_and_b32 s16, exec_lo, s18
	s_or_b32 s20, s16, s20
	s_delay_alu instid0(SALU_CYCLE_1)
	s_and_not1_b32 exec_lo, exec_lo, s20
	s_cbranch_execz .LBB90_53
.LBB90_29:                              ; =>This Inner Loop Header: Depth=1
	v_min_u32_e32 v50, s25, v146
	v_and_b32_e32 v51, 0xff, v48
	v_dual_mov_b32 v81, v19 :: v_dual_mov_b32 v80, v18
	s_clause 0x1
	flat_store_b128 v[4:5], v[14:17] offset:32
	flat_store_b128 v[28:29], v[14:17] offset:16
	v_lshlrev_b32_e64 v50, v50, -1
	v_lshrrev_b32_e32 v51, v10, v51
	s_waitcnt lgkmcnt(0)
	s_waitcnt_vscnt null, 0x0
	s_barrier
	buffer_gl0_inv
	v_not_b32_e32 v114, v50
	; wave barrier
	v_dual_mov_b32 v71, v21 :: v_dual_mov_b32 v70, v20
	s_delay_alu instid0(VALU_DEP_2) | instskip(SKIP_1) | instid1(VALU_DEP_2)
	v_dual_mov_b32 v69, v25 :: v_dual_and_b32 v82, v51, v114
	v_mov_b32_e32 v68, v24
	v_and_b32_e32 v50, 1, v82
	v_lshlrev_b32_e32 v51, 30, v82
	v_lshlrev_b32_e32 v52, 29, v82
	;; [unrolled: 1-line block ×4, first 2 shown]
	v_add_co_u32 v50, s16, v50, -1
	s_delay_alu instid0(VALU_DEP_1)
	v_cndmask_b32_e64 v54, 0, 1, s16
	v_not_b32_e32 v66, v51
	v_cmp_gt_i32_e64 s17, 0, v51
	v_not_b32_e32 v51, v52
	v_lshlrev_b32_e32 v64, 26, v82
	v_cmp_ne_u32_e64 s16, 0, v54
	v_ashrrev_i32_e32 v66, 31, v66
	v_lshlrev_b32_e32 v65, 25, v82
	v_ashrrev_i32_e32 v51, 31, v51
	v_lshlrev_b32_e32 v54, 24, v82
	v_xor_b32_e32 v50, s16, v50
	v_cmp_gt_i32_e64 s16, 0, v52
	v_not_b32_e32 v52, v53
	v_xor_b32_e32 v66, s17, v66
	v_cmp_gt_i32_e64 s17, 0, v53
	v_and_b32_e32 v50, exec_lo, v50
	v_not_b32_e32 v53, v55
	v_ashrrev_i32_e32 v52, 31, v52
	v_xor_b32_e32 v51, s16, v51
	v_cmp_gt_i32_e64 s16, 0, v55
	v_and_b32_e32 v50, v50, v66
	v_mov_b32_e32 v66, v84
	v_ashrrev_i32_e32 v53, 31, v53
	v_xor_b32_e32 v52, s17, v52
	v_mov_b32_e32 v67, v85
	v_not_b32_e32 v55, v64
	v_and_b32_e32 v50, v50, v51
	v_cmp_gt_i32_e64 s17, 0, v64
	v_not_b32_e32 v51, v65
	v_xor_b32_e32 v53, s16, v53
	v_ashrrev_i32_e32 v55, 31, v55
	v_and_b32_e32 v50, v50, v52
	v_cmp_gt_i32_e64 s16, 0, v65
	v_mov_b32_e32 v64, v86
	v_ashrrev_i32_e32 v51, 31, v51
	v_xor_b32_e32 v55, s17, v55
	v_dual_mov_b32 v65, v87 :: v_dual_and_b32 v50, v50, v53
	v_not_b32_e32 v52, v54
	v_cmp_gt_i32_e64 s17, 0, v54
	v_xor_b32_e32 v51, s16, v51
	s_delay_alu instid0(VALU_DEP_4) | instskip(NEXT) | instid1(VALU_DEP_4)
	v_dual_mov_b32 v55, v23 :: v_dual_and_b32 v50, v50, v55
	v_ashrrev_i32_e32 v52, 31, v52
	v_mov_b32_e32 v54, v22
	s_delay_alu instid0(VALU_DEP_3) | instskip(NEXT) | instid1(VALU_DEP_3)
	v_dual_mov_b32 v50, v96 :: v_dual_and_b32 v19, v50, v51
	v_xor_b32_e32 v18, s17, v52
	v_dual_mov_b32 v52, v98 :: v_dual_mov_b32 v51, v97
	v_mov_b32_e32 v53, v99
	s_delay_alu instid0(VALU_DEP_3) | instskip(SKIP_1) | instid1(VALU_DEP_2)
	v_and_b32_e32 v18, v19, v18
	v_lshlrev_b32_e32 v19, 3, v82
	v_mbcnt_lo_u32_b32 v116, v18, 0
	s_delay_alu instid0(VALU_DEP_2) | instskip(SKIP_1) | instid1(VALU_DEP_3)
	v_add_lshl_u32 v19, v19, v144, 2
	v_cmp_ne_u32_e64 s16, 0, v18
	v_cmp_eq_u32_e64 s17, 0, v116
	s_delay_alu instid0(VALU_DEP_3) | instskip(NEXT) | instid1(VALU_DEP_1)
	v_add_co_u32 v84, s18, v9, v19
	v_add_co_ci_u32_e64 v85, s18, 0, v135, s18
	s_delay_alu instid0(VALU_DEP_3) | instskip(NEXT) | instid1(SALU_CYCLE_1)
	s_and_b32 s17, s16, s17
	s_and_saveexec_b32 s16, s17
	s_cbranch_execz .LBB90_31
; %bb.30:                               ;   in Loop: Header=BB90_29 Depth=1
	v_bcnt_u32_b32 v18, v18, 0
	flat_store_b32 v[84:85], v18
.LBB90_31:                              ;   in Loop: Header=BB90_29 Depth=1
	s_or_b32 exec_lo, exec_lo, s16
	v_bfe_u32 v18, v48, 8, 8
	; wave barrier
	v_dual_mov_b32 v83, v49 :: v_dual_mov_b32 v82, v48
	s_delay_alu instid0(VALU_DEP_2) | instskip(NEXT) | instid1(VALU_DEP_1)
	v_lshrrev_b32_e32 v18, v10, v18
	v_and_b32_e32 v18, v18, v114
	s_delay_alu instid0(VALU_DEP_1) | instskip(SKIP_3) | instid1(VALU_DEP_4)
	v_lshlrev_b32_e32 v19, 3, v18
	v_lshlrev_b32_e32 v21, 30, v18
	;; [unrolled: 1-line block ×4, first 2 shown]
	v_add_lshl_u32 v19, v19, v144, 2
	s_delay_alu instid0(VALU_DEP_1) | instskip(NEXT) | instid1(VALU_DEP_1)
	v_add_co_u32 v86, s16, v9, v19
	v_add_co_ci_u32_e64 v87, s16, 0, v135, s16
	v_and_b32_e32 v19, 1, v18
	flat_load_b32 v117, v[86:87]
	v_add_co_u32 v19, s16, v19, -1
	s_delay_alu instid0(VALU_DEP_1) | instskip(NEXT) | instid1(VALU_DEP_1)
	v_cndmask_b32_e64 v20, 0, 1, s16
	; wave barrier
	v_cmp_ne_u32_e64 s16, 0, v20
	v_not_b32_e32 v20, v21
	s_delay_alu instid0(VALU_DEP_2) | instskip(SKIP_1) | instid1(VALU_DEP_3)
	v_xor_b32_e32 v19, s16, v19
	v_cmp_gt_i32_e64 s16, 0, v21
	v_ashrrev_i32_e32 v20, 31, v20
	v_not_b32_e32 v21, v22
	s_delay_alu instid0(VALU_DEP_4) | instskip(NEXT) | instid1(VALU_DEP_3)
	v_and_b32_e32 v19, exec_lo, v19
	v_xor_b32_e32 v20, s16, v20
	v_cmp_gt_i32_e64 s16, 0, v22
	s_delay_alu instid0(VALU_DEP_4) | instskip(SKIP_1) | instid1(VALU_DEP_4)
	v_ashrrev_i32_e32 v21, 31, v21
	v_not_b32_e32 v22, v23
	v_and_b32_e32 v19, v19, v20
	v_lshlrev_b32_e32 v20, 27, v18
	s_delay_alu instid0(VALU_DEP_4) | instskip(SKIP_2) | instid1(VALU_DEP_4)
	v_xor_b32_e32 v21, s16, v21
	v_cmp_gt_i32_e64 s16, 0, v23
	v_ashrrev_i32_e32 v22, 31, v22
	v_not_b32_e32 v23, v20
	s_delay_alu instid0(VALU_DEP_4) | instskip(SKIP_1) | instid1(VALU_DEP_4)
	v_and_b32_e32 v19, v19, v21
	v_lshlrev_b32_e32 v21, 26, v18
	v_xor_b32_e32 v22, s16, v22
	v_cmp_gt_i32_e64 s16, 0, v20
	v_ashrrev_i32_e32 v20, 31, v23
	s_delay_alu instid0(VALU_DEP_4) | instskip(NEXT) | instid1(VALU_DEP_4)
	v_not_b32_e32 v23, v21
	v_and_b32_e32 v19, v19, v22
	v_lshlrev_b32_e32 v22, 25, v18
	s_delay_alu instid0(VALU_DEP_4)
	v_xor_b32_e32 v20, s16, v20
	v_cmp_gt_i32_e64 s16, 0, v21
	v_ashrrev_i32_e32 v21, 31, v23
	v_lshlrev_b32_e32 v18, 24, v18
	v_not_b32_e32 v23, v22
	v_and_b32_e32 v19, v19, v20
	s_delay_alu instid0(VALU_DEP_4) | instskip(SKIP_1) | instid1(VALU_DEP_4)
	v_xor_b32_e32 v20, s16, v21
	v_cmp_gt_i32_e64 s16, 0, v22
	v_ashrrev_i32_e32 v21, 31, v23
	v_not_b32_e32 v22, v18
	s_delay_alu instid0(VALU_DEP_4) | instskip(NEXT) | instid1(VALU_DEP_3)
	v_and_b32_e32 v19, v19, v20
	v_xor_b32_e32 v20, s16, v21
	v_cmp_gt_i32_e64 s16, 0, v18
	s_delay_alu instid0(VALU_DEP_4) | instskip(NEXT) | instid1(VALU_DEP_3)
	v_ashrrev_i32_e32 v18, 31, v22
	v_and_b32_e32 v19, v19, v20
	s_delay_alu instid0(VALU_DEP_2) | instskip(NEXT) | instid1(VALU_DEP_1)
	v_xor_b32_e32 v18, s16, v18
	v_and_b32_e32 v18, v19, v18
	s_delay_alu instid0(VALU_DEP_1) | instskip(SKIP_1) | instid1(VALU_DEP_2)
	v_mbcnt_lo_u32_b32 v118, v18, 0
	v_cmp_ne_u32_e64 s17, 0, v18
	v_cmp_eq_u32_e64 s16, 0, v118
	s_delay_alu instid0(VALU_DEP_1) | instskip(NEXT) | instid1(SALU_CYCLE_1)
	s_and_b32 s17, s17, s16
	s_and_saveexec_b32 s16, s17
	s_cbranch_execz .LBB90_33
; %bb.32:                               ;   in Loop: Header=BB90_29 Depth=1
	s_waitcnt vmcnt(0) lgkmcnt(0)
	v_bcnt_u32_b32 v18, v18, v117
	flat_store_b32 v[86:87], v18
.LBB90_33:                              ;   in Loop: Header=BB90_29 Depth=1
	s_or_b32 exec_lo, exec_lo, s16
	v_bfe_u32 v18, v48, 16, 8
	; wave barrier
	s_delay_alu instid0(VALU_DEP_1) | instskip(NEXT) | instid1(VALU_DEP_1)
	v_lshrrev_b32_e32 v18, v10, v18
	v_and_b32_e32 v18, v18, v114
	s_delay_alu instid0(VALU_DEP_1) | instskip(SKIP_3) | instid1(VALU_DEP_4)
	v_lshlrev_b32_e32 v19, 3, v18
	v_lshlrev_b32_e32 v21, 30, v18
	;; [unrolled: 1-line block ×4, first 2 shown]
	v_add_lshl_u32 v19, v19, v144, 2
	s_delay_alu instid0(VALU_DEP_1) | instskip(NEXT) | instid1(VALU_DEP_1)
	v_add_co_u32 v96, s16, v9, v19
	v_add_co_ci_u32_e64 v97, s16, 0, v135, s16
	v_and_b32_e32 v19, 1, v18
	flat_load_b32 v82, v[96:97]
	v_add_co_u32 v19, s16, v19, -1
	s_delay_alu instid0(VALU_DEP_1) | instskip(NEXT) | instid1(VALU_DEP_1)
	v_cndmask_b32_e64 v20, 0, 1, s16
	; wave barrier
	v_cmp_ne_u32_e64 s16, 0, v20
	v_not_b32_e32 v20, v21
	s_delay_alu instid0(VALU_DEP_2) | instskip(SKIP_1) | instid1(VALU_DEP_3)
	v_xor_b32_e32 v19, s16, v19
	v_cmp_gt_i32_e64 s16, 0, v21
	v_ashrrev_i32_e32 v20, 31, v20
	v_not_b32_e32 v21, v22
	s_delay_alu instid0(VALU_DEP_4) | instskip(NEXT) | instid1(VALU_DEP_3)
	v_and_b32_e32 v19, exec_lo, v19
	v_xor_b32_e32 v20, s16, v20
	v_cmp_gt_i32_e64 s16, 0, v22
	s_delay_alu instid0(VALU_DEP_4) | instskip(SKIP_1) | instid1(VALU_DEP_4)
	v_ashrrev_i32_e32 v21, 31, v21
	v_not_b32_e32 v22, v23
	v_and_b32_e32 v19, v19, v20
	v_lshlrev_b32_e32 v20, 27, v18
	s_delay_alu instid0(VALU_DEP_4) | instskip(SKIP_2) | instid1(VALU_DEP_4)
	v_xor_b32_e32 v21, s16, v21
	v_cmp_gt_i32_e64 s16, 0, v23
	v_ashrrev_i32_e32 v22, 31, v22
	v_not_b32_e32 v23, v20
	s_delay_alu instid0(VALU_DEP_4) | instskip(SKIP_1) | instid1(VALU_DEP_4)
	v_and_b32_e32 v19, v19, v21
	v_lshlrev_b32_e32 v21, 26, v18
	v_xor_b32_e32 v22, s16, v22
	v_cmp_gt_i32_e64 s16, 0, v20
	v_ashrrev_i32_e32 v20, 31, v23
	s_delay_alu instid0(VALU_DEP_4) | instskip(NEXT) | instid1(VALU_DEP_4)
	v_not_b32_e32 v23, v21
	v_and_b32_e32 v19, v19, v22
	v_lshlrev_b32_e32 v22, 25, v18
	s_delay_alu instid0(VALU_DEP_4)
	v_xor_b32_e32 v20, s16, v20
	v_cmp_gt_i32_e64 s16, 0, v21
	v_ashrrev_i32_e32 v21, 31, v23
	v_lshlrev_b32_e32 v18, 24, v18
	v_not_b32_e32 v23, v22
	v_and_b32_e32 v19, v19, v20
	s_delay_alu instid0(VALU_DEP_4) | instskip(SKIP_1) | instid1(VALU_DEP_4)
	v_xor_b32_e32 v20, s16, v21
	v_cmp_gt_i32_e64 s16, 0, v22
	v_ashrrev_i32_e32 v21, 31, v23
	v_not_b32_e32 v22, v18
	s_delay_alu instid0(VALU_DEP_4) | instskip(NEXT) | instid1(VALU_DEP_3)
	v_and_b32_e32 v19, v19, v20
	v_xor_b32_e32 v20, s16, v21
	v_cmp_gt_i32_e64 s16, 0, v18
	s_delay_alu instid0(VALU_DEP_4) | instskip(NEXT) | instid1(VALU_DEP_3)
	v_ashrrev_i32_e32 v18, 31, v22
	v_and_b32_e32 v19, v19, v20
	s_delay_alu instid0(VALU_DEP_2) | instskip(NEXT) | instid1(VALU_DEP_1)
	v_xor_b32_e32 v18, s16, v18
	v_and_b32_e32 v18, v19, v18
	s_delay_alu instid0(VALU_DEP_1) | instskip(SKIP_1) | instid1(VALU_DEP_2)
	v_mbcnt_lo_u32_b32 v119, v18, 0
	v_cmp_ne_u32_e64 s17, 0, v18
	v_cmp_eq_u32_e64 s16, 0, v119
	s_delay_alu instid0(VALU_DEP_1) | instskip(NEXT) | instid1(SALU_CYCLE_1)
	s_and_b32 s17, s17, s16
	s_and_saveexec_b32 s16, s17
	s_cbranch_execz .LBB90_35
; %bb.34:                               ;   in Loop: Header=BB90_29 Depth=1
	s_waitcnt vmcnt(0) lgkmcnt(0)
	v_bcnt_u32_b32 v18, v18, v82
	flat_store_b32 v[96:97], v18
.LBB90_35:                              ;   in Loop: Header=BB90_29 Depth=1
	s_or_b32 exec_lo, exec_lo, s16
	v_alignbit_b32 v18, v49, v48, 24
	; wave barrier
	s_delay_alu instid0(VALU_DEP_1) | instskip(NEXT) | instid1(VALU_DEP_1)
	v_and_b32_e32 v18, 0xff, v18
	v_lshrrev_b32_e32 v18, v10, v18
	s_delay_alu instid0(VALU_DEP_1) | instskip(NEXT) | instid1(VALU_DEP_1)
	v_and_b32_e32 v18, v18, v114
	v_lshlrev_b32_e32 v19, 3, v18
	v_lshlrev_b32_e32 v21, 30, v18
	;; [unrolled: 1-line block ×4, first 2 shown]
	s_delay_alu instid0(VALU_DEP_4) | instskip(NEXT) | instid1(VALU_DEP_1)
	v_add_lshl_u32 v19, v19, v144, 2
	v_add_co_u32 v98, s16, v9, v19
	s_delay_alu instid0(VALU_DEP_1) | instskip(SKIP_3) | instid1(VALU_DEP_1)
	v_add_co_ci_u32_e64 v99, s16, 0, v135, s16
	v_and_b32_e32 v19, 1, v18
	flat_load_b32 v128, v[98:99]
	v_add_co_u32 v19, s16, v19, -1
	v_cndmask_b32_e64 v20, 0, 1, s16
	; wave barrier
	s_delay_alu instid0(VALU_DEP_1) | instskip(SKIP_1) | instid1(VALU_DEP_2)
	v_cmp_ne_u32_e64 s16, 0, v20
	v_not_b32_e32 v20, v21
	v_xor_b32_e32 v19, s16, v19
	v_cmp_gt_i32_e64 s16, 0, v21
	s_delay_alu instid0(VALU_DEP_3) | instskip(SKIP_1) | instid1(VALU_DEP_4)
	v_ashrrev_i32_e32 v20, 31, v20
	v_not_b32_e32 v21, v22
	v_and_b32_e32 v19, exec_lo, v19
	s_delay_alu instid0(VALU_DEP_3) | instskip(SKIP_1) | instid1(VALU_DEP_4)
	v_xor_b32_e32 v20, s16, v20
	v_cmp_gt_i32_e64 s16, 0, v22
	v_ashrrev_i32_e32 v21, 31, v21
	v_not_b32_e32 v22, v23
	s_delay_alu instid0(VALU_DEP_4) | instskip(SKIP_1) | instid1(VALU_DEP_4)
	v_and_b32_e32 v19, v19, v20
	v_lshlrev_b32_e32 v20, 27, v18
	v_xor_b32_e32 v21, s16, v21
	v_cmp_gt_i32_e64 s16, 0, v23
	v_ashrrev_i32_e32 v22, 31, v22
	s_delay_alu instid0(VALU_DEP_4) | instskip(NEXT) | instid1(VALU_DEP_4)
	v_not_b32_e32 v23, v20
	v_and_b32_e32 v19, v19, v21
	v_lshlrev_b32_e32 v21, 26, v18
	s_delay_alu instid0(VALU_DEP_4) | instskip(SKIP_2) | instid1(VALU_DEP_4)
	v_xor_b32_e32 v22, s16, v22
	v_cmp_gt_i32_e64 s16, 0, v20
	v_ashrrev_i32_e32 v20, 31, v23
	v_not_b32_e32 v23, v21
	s_delay_alu instid0(VALU_DEP_4) | instskip(SKIP_1) | instid1(VALU_DEP_4)
	v_and_b32_e32 v19, v19, v22
	v_lshlrev_b32_e32 v22, 25, v18
	v_xor_b32_e32 v20, s16, v20
	v_cmp_gt_i32_e64 s16, 0, v21
	v_ashrrev_i32_e32 v21, 31, v23
	v_lshlrev_b32_e32 v18, 24, v18
	v_not_b32_e32 v23, v22
	v_and_b32_e32 v19, v19, v20
	s_delay_alu instid0(VALU_DEP_4) | instskip(SKIP_1) | instid1(VALU_DEP_4)
	v_xor_b32_e32 v20, s16, v21
	v_cmp_gt_i32_e64 s16, 0, v22
	v_ashrrev_i32_e32 v21, 31, v23
	v_not_b32_e32 v22, v18
	s_delay_alu instid0(VALU_DEP_4) | instskip(NEXT) | instid1(VALU_DEP_3)
	v_and_b32_e32 v19, v19, v20
	v_xor_b32_e32 v20, s16, v21
	v_cmp_gt_i32_e64 s16, 0, v18
	s_delay_alu instid0(VALU_DEP_4) | instskip(NEXT) | instid1(VALU_DEP_3)
	v_ashrrev_i32_e32 v18, 31, v22
	v_and_b32_e32 v19, v19, v20
	s_delay_alu instid0(VALU_DEP_2) | instskip(NEXT) | instid1(VALU_DEP_1)
	v_xor_b32_e32 v18, s16, v18
	v_and_b32_e32 v18, v19, v18
	s_delay_alu instid0(VALU_DEP_1) | instskip(SKIP_1) | instid1(VALU_DEP_2)
	v_mbcnt_lo_u32_b32 v129, v18, 0
	v_cmp_ne_u32_e64 s17, 0, v18
	v_cmp_eq_u32_e64 s16, 0, v129
	s_delay_alu instid0(VALU_DEP_1) | instskip(NEXT) | instid1(SALU_CYCLE_1)
	s_and_b32 s17, s17, s16
	s_and_saveexec_b32 s16, s17
	s_cbranch_execz .LBB90_37
; %bb.36:                               ;   in Loop: Header=BB90_29 Depth=1
	s_waitcnt vmcnt(0) lgkmcnt(0)
	v_bcnt_u32_b32 v18, v18, v128
	flat_store_b32 v[98:99], v18
.LBB90_37:                              ;   in Loop: Header=BB90_29 Depth=1
	s_or_b32 exec_lo, exec_lo, s16
	v_and_b32_e32 v18, 0xff, v49
	; wave barrier
	s_delay_alu instid0(VALU_DEP_1) | instskip(NEXT) | instid1(VALU_DEP_1)
	v_lshrrev_b32_e32 v18, v10, v18
	v_and_b32_e32 v18, v18, v114
	s_delay_alu instid0(VALU_DEP_1) | instskip(SKIP_3) | instid1(VALU_DEP_4)
	v_lshlrev_b32_e32 v19, 3, v18
	v_lshlrev_b32_e32 v21, 30, v18
	;; [unrolled: 1-line block ×4, first 2 shown]
	v_add_lshl_u32 v19, v19, v144, 2
	s_delay_alu instid0(VALU_DEP_1) | instskip(NEXT) | instid1(VALU_DEP_1)
	v_add_co_u32 v100, s16, v9, v19
	v_add_co_ci_u32_e64 v101, s16, 0, v135, s16
	v_and_b32_e32 v19, 1, v18
	flat_load_b32 v130, v[100:101]
	v_add_co_u32 v19, s16, v19, -1
	s_delay_alu instid0(VALU_DEP_1) | instskip(NEXT) | instid1(VALU_DEP_1)
	v_cndmask_b32_e64 v20, 0, 1, s16
	; wave barrier
	v_cmp_ne_u32_e64 s16, 0, v20
	v_not_b32_e32 v20, v21
	s_delay_alu instid0(VALU_DEP_2) | instskip(SKIP_1) | instid1(VALU_DEP_3)
	v_xor_b32_e32 v19, s16, v19
	v_cmp_gt_i32_e64 s16, 0, v21
	v_ashrrev_i32_e32 v20, 31, v20
	v_not_b32_e32 v21, v22
	s_delay_alu instid0(VALU_DEP_4) | instskip(NEXT) | instid1(VALU_DEP_3)
	v_and_b32_e32 v19, exec_lo, v19
	v_xor_b32_e32 v20, s16, v20
	v_cmp_gt_i32_e64 s16, 0, v22
	s_delay_alu instid0(VALU_DEP_4) | instskip(SKIP_1) | instid1(VALU_DEP_4)
	v_ashrrev_i32_e32 v21, 31, v21
	v_not_b32_e32 v22, v23
	v_and_b32_e32 v19, v19, v20
	v_lshlrev_b32_e32 v20, 27, v18
	s_delay_alu instid0(VALU_DEP_4) | instskip(SKIP_2) | instid1(VALU_DEP_4)
	v_xor_b32_e32 v21, s16, v21
	v_cmp_gt_i32_e64 s16, 0, v23
	v_ashrrev_i32_e32 v22, 31, v22
	v_not_b32_e32 v23, v20
	s_delay_alu instid0(VALU_DEP_4) | instskip(SKIP_1) | instid1(VALU_DEP_4)
	v_and_b32_e32 v19, v19, v21
	v_lshlrev_b32_e32 v21, 26, v18
	v_xor_b32_e32 v22, s16, v22
	v_cmp_gt_i32_e64 s16, 0, v20
	v_ashrrev_i32_e32 v20, 31, v23
	s_delay_alu instid0(VALU_DEP_4) | instskip(NEXT) | instid1(VALU_DEP_4)
	v_not_b32_e32 v23, v21
	v_and_b32_e32 v19, v19, v22
	v_lshlrev_b32_e32 v22, 25, v18
	s_delay_alu instid0(VALU_DEP_4)
	v_xor_b32_e32 v20, s16, v20
	v_cmp_gt_i32_e64 s16, 0, v21
	v_ashrrev_i32_e32 v21, 31, v23
	v_lshlrev_b32_e32 v18, 24, v18
	v_not_b32_e32 v23, v22
	v_and_b32_e32 v19, v19, v20
	s_delay_alu instid0(VALU_DEP_4) | instskip(SKIP_1) | instid1(VALU_DEP_4)
	v_xor_b32_e32 v20, s16, v21
	v_cmp_gt_i32_e64 s16, 0, v22
	v_ashrrev_i32_e32 v21, 31, v23
	v_not_b32_e32 v22, v18
	s_delay_alu instid0(VALU_DEP_4) | instskip(NEXT) | instid1(VALU_DEP_3)
	v_and_b32_e32 v19, v19, v20
	v_xor_b32_e32 v20, s16, v21
	v_cmp_gt_i32_e64 s16, 0, v18
	s_delay_alu instid0(VALU_DEP_4) | instskip(NEXT) | instid1(VALU_DEP_3)
	v_ashrrev_i32_e32 v18, 31, v22
	v_and_b32_e32 v19, v19, v20
	s_delay_alu instid0(VALU_DEP_2) | instskip(NEXT) | instid1(VALU_DEP_1)
	v_xor_b32_e32 v18, s16, v18
	v_and_b32_e32 v18, v19, v18
	s_delay_alu instid0(VALU_DEP_1) | instskip(SKIP_1) | instid1(VALU_DEP_2)
	v_mbcnt_lo_u32_b32 v131, v18, 0
	v_cmp_ne_u32_e64 s17, 0, v18
	v_cmp_eq_u32_e64 s16, 0, v131
	s_delay_alu instid0(VALU_DEP_1) | instskip(NEXT) | instid1(SALU_CYCLE_1)
	s_and_b32 s17, s17, s16
	s_and_saveexec_b32 s16, s17
	s_cbranch_execz .LBB90_39
; %bb.38:                               ;   in Loop: Header=BB90_29 Depth=1
	s_waitcnt vmcnt(0) lgkmcnt(0)
	v_bcnt_u32_b32 v18, v18, v130
	flat_store_b32 v[100:101], v18
.LBB90_39:                              ;   in Loop: Header=BB90_29 Depth=1
	s_or_b32 exec_lo, exec_lo, s16
	v_bfe_u32 v18, v49, 8, 8
	; wave barrier
	s_delay_alu instid0(VALU_DEP_1) | instskip(NEXT) | instid1(VALU_DEP_1)
	v_lshrrev_b32_e32 v18, v10, v18
	v_and_b32_e32 v18, v18, v114
	s_delay_alu instid0(VALU_DEP_1) | instskip(SKIP_3) | instid1(VALU_DEP_4)
	v_lshlrev_b32_e32 v19, 3, v18
	v_lshlrev_b32_e32 v21, 30, v18
	;; [unrolled: 1-line block ×4, first 2 shown]
	v_add_lshl_u32 v19, v19, v144, 2
	s_delay_alu instid0(VALU_DEP_1) | instskip(NEXT) | instid1(VALU_DEP_1)
	v_add_co_u32 v102, s16, v9, v19
	v_add_co_ci_u32_e64 v103, s16, 0, v135, s16
	v_and_b32_e32 v19, 1, v18
	flat_load_b32 v147, v[102:103]
	v_add_co_u32 v19, s16, v19, -1
	s_delay_alu instid0(VALU_DEP_1) | instskip(NEXT) | instid1(VALU_DEP_1)
	v_cndmask_b32_e64 v20, 0, 1, s16
	; wave barrier
	v_cmp_ne_u32_e64 s16, 0, v20
	v_not_b32_e32 v20, v21
	s_delay_alu instid0(VALU_DEP_2) | instskip(SKIP_1) | instid1(VALU_DEP_3)
	v_xor_b32_e32 v19, s16, v19
	v_cmp_gt_i32_e64 s16, 0, v21
	v_ashrrev_i32_e32 v20, 31, v20
	v_not_b32_e32 v21, v22
	s_delay_alu instid0(VALU_DEP_4) | instskip(NEXT) | instid1(VALU_DEP_3)
	v_and_b32_e32 v19, exec_lo, v19
	v_xor_b32_e32 v20, s16, v20
	v_cmp_gt_i32_e64 s16, 0, v22
	s_delay_alu instid0(VALU_DEP_4) | instskip(SKIP_1) | instid1(VALU_DEP_4)
	v_ashrrev_i32_e32 v21, 31, v21
	v_not_b32_e32 v22, v23
	v_and_b32_e32 v19, v19, v20
	v_lshlrev_b32_e32 v20, 27, v18
	s_delay_alu instid0(VALU_DEP_4) | instskip(SKIP_2) | instid1(VALU_DEP_4)
	v_xor_b32_e32 v21, s16, v21
	v_cmp_gt_i32_e64 s16, 0, v23
	v_ashrrev_i32_e32 v22, 31, v22
	v_not_b32_e32 v23, v20
	s_delay_alu instid0(VALU_DEP_4) | instskip(SKIP_1) | instid1(VALU_DEP_4)
	v_and_b32_e32 v19, v19, v21
	v_lshlrev_b32_e32 v21, 26, v18
	v_xor_b32_e32 v22, s16, v22
	v_cmp_gt_i32_e64 s16, 0, v20
	v_ashrrev_i32_e32 v20, 31, v23
	s_delay_alu instid0(VALU_DEP_4) | instskip(NEXT) | instid1(VALU_DEP_4)
	v_not_b32_e32 v23, v21
	v_and_b32_e32 v19, v19, v22
	v_lshlrev_b32_e32 v22, 25, v18
	s_delay_alu instid0(VALU_DEP_4)
	v_xor_b32_e32 v20, s16, v20
	v_cmp_gt_i32_e64 s16, 0, v21
	v_ashrrev_i32_e32 v21, 31, v23
	v_lshlrev_b32_e32 v18, 24, v18
	v_not_b32_e32 v23, v22
	v_and_b32_e32 v19, v19, v20
	s_delay_alu instid0(VALU_DEP_4) | instskip(SKIP_1) | instid1(VALU_DEP_4)
	v_xor_b32_e32 v20, s16, v21
	v_cmp_gt_i32_e64 s16, 0, v22
	v_ashrrev_i32_e32 v21, 31, v23
	v_not_b32_e32 v22, v18
	s_delay_alu instid0(VALU_DEP_4) | instskip(NEXT) | instid1(VALU_DEP_3)
	v_and_b32_e32 v19, v19, v20
	v_xor_b32_e32 v20, s16, v21
	v_cmp_gt_i32_e64 s16, 0, v18
	s_delay_alu instid0(VALU_DEP_4) | instskip(NEXT) | instid1(VALU_DEP_3)
	v_ashrrev_i32_e32 v18, 31, v22
	v_and_b32_e32 v19, v19, v20
	s_delay_alu instid0(VALU_DEP_2) | instskip(NEXT) | instid1(VALU_DEP_1)
	v_xor_b32_e32 v18, s16, v18
	v_and_b32_e32 v18, v19, v18
	s_delay_alu instid0(VALU_DEP_1) | instskip(SKIP_1) | instid1(VALU_DEP_2)
	v_mbcnt_lo_u32_b32 v149, v18, 0
	v_cmp_ne_u32_e64 s17, 0, v18
	v_cmp_eq_u32_e64 s16, 0, v149
	s_delay_alu instid0(VALU_DEP_1) | instskip(NEXT) | instid1(SALU_CYCLE_1)
	s_and_b32 s17, s17, s16
	s_and_saveexec_b32 s16, s17
	s_cbranch_execz .LBB90_41
; %bb.40:                               ;   in Loop: Header=BB90_29 Depth=1
	s_waitcnt vmcnt(0) lgkmcnt(0)
	v_bcnt_u32_b32 v18, v18, v147
	flat_store_b32 v[102:103], v18
.LBB90_41:                              ;   in Loop: Header=BB90_29 Depth=1
	s_or_b32 exec_lo, exec_lo, s16
	v_bfe_u32 v18, v49, 16, 8
	; wave barrier
	s_delay_alu instid0(VALU_DEP_1) | instskip(NEXT) | instid1(VALU_DEP_1)
	v_lshrrev_b32_e32 v18, v10, v18
	v_and_b32_e32 v18, v18, v114
	s_delay_alu instid0(VALU_DEP_1) | instskip(SKIP_3) | instid1(VALU_DEP_4)
	v_lshlrev_b32_e32 v19, 3, v18
	v_lshlrev_b32_e32 v21, 30, v18
	;; [unrolled: 1-line block ×4, first 2 shown]
	v_add_lshl_u32 v19, v19, v144, 2
	s_delay_alu instid0(VALU_DEP_1) | instskip(NEXT) | instid1(VALU_DEP_1)
	v_add_co_u32 v112, s16, v9, v19
	v_add_co_ci_u32_e64 v113, s16, 0, v135, s16
	v_and_b32_e32 v19, 1, v18
	flat_load_b32 v150, v[112:113]
	v_add_co_u32 v19, s16, v19, -1
	s_delay_alu instid0(VALU_DEP_1) | instskip(NEXT) | instid1(VALU_DEP_1)
	v_cndmask_b32_e64 v20, 0, 1, s16
	; wave barrier
	v_cmp_ne_u32_e64 s16, 0, v20
	v_not_b32_e32 v20, v21
	s_delay_alu instid0(VALU_DEP_2) | instskip(SKIP_1) | instid1(VALU_DEP_3)
	v_xor_b32_e32 v19, s16, v19
	v_cmp_gt_i32_e64 s16, 0, v21
	v_ashrrev_i32_e32 v20, 31, v20
	v_not_b32_e32 v21, v22
	s_delay_alu instid0(VALU_DEP_4) | instskip(NEXT) | instid1(VALU_DEP_3)
	v_and_b32_e32 v19, exec_lo, v19
	v_xor_b32_e32 v20, s16, v20
	v_cmp_gt_i32_e64 s16, 0, v22
	s_delay_alu instid0(VALU_DEP_4) | instskip(SKIP_1) | instid1(VALU_DEP_4)
	v_ashrrev_i32_e32 v21, 31, v21
	v_not_b32_e32 v22, v23
	v_and_b32_e32 v19, v19, v20
	v_lshlrev_b32_e32 v20, 27, v18
	s_delay_alu instid0(VALU_DEP_4) | instskip(SKIP_2) | instid1(VALU_DEP_4)
	v_xor_b32_e32 v21, s16, v21
	v_cmp_gt_i32_e64 s16, 0, v23
	v_ashrrev_i32_e32 v22, 31, v22
	v_not_b32_e32 v23, v20
	s_delay_alu instid0(VALU_DEP_4) | instskip(SKIP_1) | instid1(VALU_DEP_4)
	v_and_b32_e32 v19, v19, v21
	v_lshlrev_b32_e32 v21, 26, v18
	v_xor_b32_e32 v22, s16, v22
	v_cmp_gt_i32_e64 s16, 0, v20
	v_ashrrev_i32_e32 v20, 31, v23
	s_delay_alu instid0(VALU_DEP_4) | instskip(NEXT) | instid1(VALU_DEP_4)
	v_not_b32_e32 v23, v21
	v_and_b32_e32 v19, v19, v22
	v_lshlrev_b32_e32 v22, 25, v18
	s_delay_alu instid0(VALU_DEP_4)
	v_xor_b32_e32 v20, s16, v20
	v_cmp_gt_i32_e64 s16, 0, v21
	v_ashrrev_i32_e32 v21, 31, v23
	v_lshlrev_b32_e32 v18, 24, v18
	v_not_b32_e32 v23, v22
	v_and_b32_e32 v19, v19, v20
	s_delay_alu instid0(VALU_DEP_4) | instskip(SKIP_1) | instid1(VALU_DEP_4)
	v_xor_b32_e32 v20, s16, v21
	v_cmp_gt_i32_e64 s16, 0, v22
	v_ashrrev_i32_e32 v21, 31, v23
	v_not_b32_e32 v22, v18
	s_delay_alu instid0(VALU_DEP_4) | instskip(NEXT) | instid1(VALU_DEP_3)
	v_and_b32_e32 v19, v19, v20
	v_xor_b32_e32 v20, s16, v21
	v_cmp_gt_i32_e64 s16, 0, v18
	s_delay_alu instid0(VALU_DEP_4) | instskip(NEXT) | instid1(VALU_DEP_3)
	v_ashrrev_i32_e32 v18, 31, v22
	v_and_b32_e32 v19, v19, v20
	s_delay_alu instid0(VALU_DEP_2) | instskip(NEXT) | instid1(VALU_DEP_1)
	v_xor_b32_e32 v18, s16, v18
	v_and_b32_e32 v18, v19, v18
	s_delay_alu instid0(VALU_DEP_1) | instskip(SKIP_1) | instid1(VALU_DEP_2)
	v_mbcnt_lo_u32_b32 v151, v18, 0
	v_cmp_ne_u32_e64 s17, 0, v18
	v_cmp_eq_u32_e64 s16, 0, v151
	s_delay_alu instid0(VALU_DEP_1) | instskip(NEXT) | instid1(SALU_CYCLE_1)
	s_and_b32 s17, s17, s16
	s_and_saveexec_b32 s16, s17
	s_cbranch_execz .LBB90_43
; %bb.42:                               ;   in Loop: Header=BB90_29 Depth=1
	s_waitcnt vmcnt(0) lgkmcnt(0)
	v_bcnt_u32_b32 v18, v18, v150
	flat_store_b32 v[112:113], v18
.LBB90_43:                              ;   in Loop: Header=BB90_29 Depth=1
	s_or_b32 exec_lo, exec_lo, s16
	v_lshrrev_b32_e32 v148, 24, v49
	; wave barrier
	s_delay_alu instid0(VALU_DEP_1) | instskip(NEXT) | instid1(VALU_DEP_1)
	v_lshrrev_b32_e32 v18, v10, v148
	v_and_b32_e32 v18, v18, v114
	s_delay_alu instid0(VALU_DEP_1) | instskip(SKIP_3) | instid1(VALU_DEP_4)
	v_lshlrev_b32_e32 v19, 3, v18
	v_lshlrev_b32_e32 v21, 30, v18
	;; [unrolled: 1-line block ×4, first 2 shown]
	v_add_lshl_u32 v19, v19, v144, 2
	s_delay_alu instid0(VALU_DEP_1) | instskip(NEXT) | instid1(VALU_DEP_1)
	v_add_co_u32 v114, s16, v9, v19
	v_add_co_ci_u32_e64 v115, s16, 0, v135, s16
	v_and_b32_e32 v19, 1, v18
	flat_load_b32 v163, v[114:115]
	v_add_co_u32 v19, s16, v19, -1
	s_delay_alu instid0(VALU_DEP_1) | instskip(NEXT) | instid1(VALU_DEP_1)
	v_cndmask_b32_e64 v20, 0, 1, s16
	; wave barrier
	v_cmp_ne_u32_e64 s16, 0, v20
	v_not_b32_e32 v20, v21
	s_delay_alu instid0(VALU_DEP_2) | instskip(SKIP_1) | instid1(VALU_DEP_3)
	v_xor_b32_e32 v19, s16, v19
	v_cmp_gt_i32_e64 s16, 0, v21
	v_ashrrev_i32_e32 v20, 31, v20
	v_not_b32_e32 v21, v22
	s_delay_alu instid0(VALU_DEP_4) | instskip(NEXT) | instid1(VALU_DEP_3)
	v_and_b32_e32 v19, exec_lo, v19
	v_xor_b32_e32 v20, s16, v20
	v_cmp_gt_i32_e64 s16, 0, v22
	s_delay_alu instid0(VALU_DEP_4) | instskip(SKIP_1) | instid1(VALU_DEP_4)
	v_ashrrev_i32_e32 v21, 31, v21
	v_not_b32_e32 v22, v23
	v_and_b32_e32 v19, v19, v20
	v_lshlrev_b32_e32 v20, 27, v18
	s_delay_alu instid0(VALU_DEP_4) | instskip(SKIP_2) | instid1(VALU_DEP_4)
	v_xor_b32_e32 v21, s16, v21
	v_cmp_gt_i32_e64 s16, 0, v23
	v_ashrrev_i32_e32 v22, 31, v22
	v_not_b32_e32 v23, v20
	s_delay_alu instid0(VALU_DEP_4) | instskip(SKIP_1) | instid1(VALU_DEP_4)
	v_and_b32_e32 v19, v19, v21
	v_lshlrev_b32_e32 v21, 26, v18
	v_xor_b32_e32 v22, s16, v22
	v_cmp_gt_i32_e64 s16, 0, v20
	v_ashrrev_i32_e32 v20, 31, v23
	s_delay_alu instid0(VALU_DEP_4) | instskip(NEXT) | instid1(VALU_DEP_4)
	v_not_b32_e32 v23, v21
	v_and_b32_e32 v19, v19, v22
	v_lshlrev_b32_e32 v22, 25, v18
	s_delay_alu instid0(VALU_DEP_4)
	v_xor_b32_e32 v20, s16, v20
	v_cmp_gt_i32_e64 s16, 0, v21
	v_ashrrev_i32_e32 v21, 31, v23
	v_lshlrev_b32_e32 v18, 24, v18
	v_not_b32_e32 v23, v22
	v_and_b32_e32 v19, v19, v20
	s_delay_alu instid0(VALU_DEP_4) | instskip(SKIP_1) | instid1(VALU_DEP_4)
	v_xor_b32_e32 v20, s16, v21
	v_cmp_gt_i32_e64 s16, 0, v22
	v_ashrrev_i32_e32 v21, 31, v23
	v_not_b32_e32 v22, v18
	s_delay_alu instid0(VALU_DEP_4) | instskip(NEXT) | instid1(VALU_DEP_3)
	v_and_b32_e32 v19, v19, v20
	v_xor_b32_e32 v20, s16, v21
	v_cmp_gt_i32_e64 s16, 0, v18
	s_delay_alu instid0(VALU_DEP_4) | instskip(NEXT) | instid1(VALU_DEP_3)
	v_ashrrev_i32_e32 v18, 31, v22
	v_and_b32_e32 v19, v19, v20
	s_delay_alu instid0(VALU_DEP_2) | instskip(NEXT) | instid1(VALU_DEP_1)
	v_xor_b32_e32 v18, s16, v18
	v_and_b32_e32 v18, v19, v18
	s_delay_alu instid0(VALU_DEP_1) | instskip(SKIP_1) | instid1(VALU_DEP_2)
	v_mbcnt_lo_u32_b32 v179, v18, 0
	v_cmp_ne_u32_e64 s17, 0, v18
	v_cmp_eq_u32_e64 s16, 0, v179
	s_delay_alu instid0(VALU_DEP_1) | instskip(NEXT) | instid1(SALU_CYCLE_1)
	s_and_b32 s17, s17, s16
	s_and_saveexec_b32 s16, s17
	s_cbranch_execz .LBB90_45
; %bb.44:                               ;   in Loop: Header=BB90_29 Depth=1
	s_waitcnt vmcnt(0) lgkmcnt(0)
	v_bcnt_u32_b32 v18, v18, v163
	flat_store_b32 v[114:115], v18
.LBB90_45:                              ;   in Loop: Header=BB90_29 Depth=1
	s_or_b32 exec_lo, exec_lo, s16
	; wave barrier
	s_waitcnt vmcnt(0) lgkmcnt(0)
	s_waitcnt_vscnt null, 0x0
	s_barrier
	buffer_gl0_inv
	s_clause 0x1
	flat_load_b128 v[22:25], v[4:5] offset:32
	flat_load_b128 v[18:21], v[28:29] offset:16
	s_waitcnt vmcnt(1) lgkmcnt(1)
	v_add_nc_u32_e32 v132, v23, v22
	s_delay_alu instid0(VALU_DEP_1) | instskip(SKIP_1) | instid1(VALU_DEP_1)
	v_add3_u32 v132, v132, v24, v25
	s_waitcnt vmcnt(0) lgkmcnt(0)
	v_add3_u32 v132, v132, v18, v19
	s_delay_alu instid0(VALU_DEP_1) | instskip(NEXT) | instid1(VALU_DEP_1)
	v_add3_u32 v21, v132, v20, v21
	v_mov_b32_dpp v132, v21 row_shr:1 row_mask:0xf bank_mask:0xf
	s_delay_alu instid0(VALU_DEP_1) | instskip(NEXT) | instid1(VALU_DEP_1)
	v_cndmask_b32_e64 v132, v132, 0, vcc_lo
	v_add_nc_u32_e32 v21, v132, v21
	s_delay_alu instid0(VALU_DEP_1) | instskip(NEXT) | instid1(VALU_DEP_1)
	v_mov_b32_dpp v132, v21 row_shr:2 row_mask:0xf bank_mask:0xf
	v_cndmask_b32_e64 v132, 0, v132, s0
	s_delay_alu instid0(VALU_DEP_1) | instskip(NEXT) | instid1(VALU_DEP_1)
	v_add_nc_u32_e32 v21, v21, v132
	v_mov_b32_dpp v132, v21 row_shr:4 row_mask:0xf bank_mask:0xf
	s_delay_alu instid0(VALU_DEP_1) | instskip(NEXT) | instid1(VALU_DEP_1)
	v_cndmask_b32_e64 v132, 0, v132, s1
	v_add_nc_u32_e32 v21, v21, v132
	s_delay_alu instid0(VALU_DEP_1) | instskip(NEXT) | instid1(VALU_DEP_1)
	v_mov_b32_dpp v132, v21 row_shr:8 row_mask:0xf bank_mask:0xf
	v_cndmask_b32_e64 v132, 0, v132, s2
	s_delay_alu instid0(VALU_DEP_1) | instskip(SKIP_3) | instid1(VALU_DEP_1)
	v_add_nc_u32_e32 v21, v21, v132
	ds_swizzle_b32 v132, v21 offset:swizzle(BROADCAST,32,15)
	s_waitcnt lgkmcnt(0)
	v_cndmask_b32_e64 v132, v132, 0, s3
	v_add_nc_u32_e32 v21, v21, v132
	s_and_saveexec_b32 s16, s4
	s_cbranch_execz .LBB90_47
; %bb.46:                               ;   in Loop: Header=BB90_29 Depth=1
	flat_store_b32 v[30:31], v21
.LBB90_47:                              ;   in Loop: Header=BB90_29 Depth=1
	s_or_b32 exec_lo, exec_lo, s16
	s_waitcnt lgkmcnt(0)
	s_waitcnt_vscnt null, 0x0
	s_barrier
	buffer_gl0_inv
	s_and_saveexec_b32 s16, s5
	s_cbranch_execz .LBB90_49
; %bb.48:                               ;   in Loop: Header=BB90_29 Depth=1
	flat_load_b32 v132, v[32:33]
	s_waitcnt vmcnt(0) lgkmcnt(0)
	v_mov_b32_dpp v133, v132 row_shr:1 row_mask:0xf bank_mask:0xf
	s_delay_alu instid0(VALU_DEP_1) | instskip(NEXT) | instid1(VALU_DEP_1)
	v_cndmask_b32_e64 v133, v133, 0, s11
	v_add_nc_u32_e32 v132, v133, v132
	s_delay_alu instid0(VALU_DEP_1) | instskip(NEXT) | instid1(VALU_DEP_1)
	v_mov_b32_dpp v133, v132 row_shr:2 row_mask:0xf bank_mask:0xf
	v_cndmask_b32_e64 v133, 0, v133, s14
	s_delay_alu instid0(VALU_DEP_1) | instskip(NEXT) | instid1(VALU_DEP_1)
	v_add_nc_u32_e32 v132, v132, v133
	v_mov_b32_dpp v133, v132 row_shr:4 row_mask:0xf bank_mask:0xf
	s_delay_alu instid0(VALU_DEP_1) | instskip(NEXT) | instid1(VALU_DEP_1)
	v_cndmask_b32_e64 v133, 0, v133, s15
	v_add_nc_u32_e32 v132, v132, v133
	flat_store_b32 v[32:33], v132
.LBB90_49:                              ;   in Loop: Header=BB90_29 Depth=1
	s_or_b32 exec_lo, exec_lo, s16
	v_mov_b32_e32 v132, 0
	s_waitcnt lgkmcnt(0)
	s_waitcnt_vscnt null, 0x0
	s_barrier
	buffer_gl0_inv
	s_and_saveexec_b32 s16, s6
	s_cbranch_execz .LBB90_51
; %bb.50:                               ;   in Loop: Header=BB90_29 Depth=1
	flat_load_b32 v132, v[36:37]
.LBB90_51:                              ;   in Loop: Header=BB90_29 Depth=1
	s_or_b32 exec_lo, exec_lo, s16
	s_waitcnt vmcnt(0) lgkmcnt(0)
	v_add_nc_u32_e32 v21, v132, v21
	v_add_nc_u32_e32 v10, 8, v10
	v_lshrrev_b32_e32 v178, 16, v48
	v_lshrrev_b32_e32 v176, 8, v49
	;; [unrolled: 1-line block ×3, first 2 shown]
	ds_bpermute_b32 v21, v145, v21
	v_cmp_lt_u32_e64 s16, v10, v11
	s_mov_b32 s18, -1
	s_waitcnt lgkmcnt(0)
	v_cndmask_b32_e64 v21, v21, v132, s7
	v_lshrrev_b64 v[132:133], 24, v[48:49]
	s_delay_alu instid0(VALU_DEP_2) | instskip(NEXT) | instid1(VALU_DEP_1)
	v_cndmask_b32_e64 v21, v21, 0, s10
	v_add_nc_u32_e32 v22, v21, v22
	s_delay_alu instid0(VALU_DEP_1) | instskip(NEXT) | instid1(VALU_DEP_1)
	v_add_nc_u32_e32 v23, v22, v23
	v_add_nc_u32_e32 v24, v23, v24
	s_delay_alu instid0(VALU_DEP_1) | instskip(NEXT) | instid1(VALU_DEP_1)
	v_add_nc_u32_e32 v164, v24, v25
	v_add_nc_u32_e32 v165, v164, v18
	s_delay_alu instid0(VALU_DEP_1) | instskip(NEXT) | instid1(VALU_DEP_1)
	v_add_nc_u32_e32 v166, v165, v19
	v_add_nc_u32_e32 v167, v166, v20
	s_clause 0x1
	flat_store_b128 v[4:5], v[21:24] offset:32
	flat_store_b128 v[28:29], v[164:167] offset:16
	v_mov_b32_e32 v166, v48
	s_waitcnt lgkmcnt(0)
	s_waitcnt_vscnt null, 0x0
	s_barrier
	buffer_gl0_inv
	s_clause 0x7
	flat_load_b32 v18, v[84:85]
	flat_load_b32 v19, v[86:87]
	;; [unrolled: 1-line block ×8, first 2 shown]
	v_lshrrev_b32_e32 v167, 8, v48
	s_waitcnt vmcnt(0) lgkmcnt(0)
	s_waitcnt_vscnt null, 0x0
                                        ; implicit-def: $vgpr84_vgpr85
                                        ; implicit-def: $vgpr86_vgpr87
                                        ; implicit-def: $vgpr96_vgpr97
                                        ; implicit-def: $vgpr98_vgpr99
	s_waitcnt vmcnt(7) lgkmcnt(7)
	v_add_nc_u32_e32 v165, v18, v116
	s_waitcnt vmcnt(6) lgkmcnt(6)
	v_add3_u32 v164, v118, v117, v19
	s_waitcnt vmcnt(5) lgkmcnt(5)
	v_add3_u32 v162, v119, v82, v20
	;; [unrolled: 2-line block ×4, first 2 shown]
	v_add_co_u32 v112, s17, v12, v165
	s_delay_alu instid0(VALU_DEP_1) | instskip(SKIP_1) | instid1(VALU_DEP_1)
	v_add_co_ci_u32_e64 v113, s17, 0, v13, s17
	v_add_co_u32 v116, s17, v12, v164
	v_add_co_ci_u32_e64 v117, s17, 0, v13, s17
	v_add_co_u32 v100, s17, v12, v162
	s_delay_alu instid0(VALU_DEP_1)
	v_add_co_ci_u32_e64 v101, s17, 0, v13, s17
	v_add_co_u32 v102, s17, v12, v161
	s_waitcnt vmcnt(2) lgkmcnt(2)
	v_add3_u32 v147, v149, v147, v23
	v_add_co_ci_u32_e64 v103, s17, 0, v13, s17
	v_add_co_u32 v114, s17, v12, v160
	s_waitcnt vmcnt(1) lgkmcnt(1)
	v_add3_u32 v133, v151, v150, v24
	;; [unrolled: 4-line block ×3, first 2 shown]
	v_add_co_ci_u32_e64 v119, s17, 0, v13, s17
	v_add_co_u32 v128, s17, v12, v133
	s_delay_alu instid0(VALU_DEP_1) | instskip(NEXT) | instid1(VALU_DEP_4)
	v_add_co_ci_u32_e64 v129, s17, 0, v13, s17
	v_add_co_u32 v130, s17, v12, v82
	s_delay_alu instid0(VALU_DEP_1)
	v_add_co_ci_u32_e64 v131, s17, 0, v13, s17
                                        ; implicit-def: $vgpr18_vgpr19
                                        ; implicit-def: $vgpr20_vgpr21
                                        ; implicit-def: $vgpr22_vgpr23
                                        ; implicit-def: $vgpr24_vgpr25
	s_and_saveexec_b32 s17, s16
	s_cbranch_execz .LBB90_28
; %bb.52:                               ;   in Loop: Header=BB90_29 Depth=1
	s_barrier
	buffer_gl0_inv
	s_clause 0x7
	flat_store_b8 v[112:113], v48
	flat_store_b8 v[116:117], v167
	;; [unrolled: 1-line block ×8, first 2 shown]
	s_waitcnt lgkmcnt(0)
	s_waitcnt_vscnt null, 0x0
	s_barrier
	buffer_gl0_inv
	s_clause 0x7
	flat_load_u8 v149, v[34:35]
	flat_load_u8 v150, v[34:35] offset:32
	flat_load_u8 v151, v[34:35] offset:64
	;; [unrolled: 1-line block ×7, first 2 shown]
	v_mad_u64_u32 v[18:19], null, v165, 7, v[112:113]
	v_mad_u64_u32 v[20:21], null, v164, 7, v[116:117]
	;; [unrolled: 1-line block ×8, first 2 shown]
	s_waitcnt vmcnt(0) lgkmcnt(0)
	s_barrier
	buffer_gl0_inv
	s_clause 0x7
	flat_store_b64 v[18:19], v[80:81]
	flat_store_b64 v[20:21], v[70:71]
	;; [unrolled: 1-line block ×8, first 2 shown]
	s_waitcnt lgkmcnt(0)
	s_waitcnt_vscnt null, 0x0
	s_barrier
	buffer_gl0_inv
	s_clause 0x7
	flat_load_b64 v[18:19], v[38:39]
	flat_load_b64 v[20:21], v[38:39] offset:256
	flat_load_b64 v[22:23], v[38:39] offset:512
	;; [unrolled: 1-line block ×7, first 2 shown]
	v_add_nc_u32_e32 v146, -8, v146
	s_xor_b32 s18, exec_lo, -1
	s_waitcnt vmcnt(0) lgkmcnt(0)
	s_barrier
	buffer_gl0_inv
	v_lshlrev_b16 v48, 8, v150
	v_lshlrev_b16 v49, 8, v163
	;; [unrolled: 1-line block ×3, first 2 shown]
	s_delay_alu instid0(VALU_DEP_3) | instskip(SKIP_1) | instid1(VALU_DEP_4)
	v_or_b32_e32 v48, v149, v48
	v_lshlrev_b16 v163, 8, v182
	v_or_b32_e32 v49, v151, v49
	s_delay_alu instid0(VALU_DEP_4) | instskip(NEXT) | instid1(VALU_DEP_4)
	v_or_b32_e32 v149, v179, v150
	v_and_b32_e32 v48, 0xffff, v48
	s_delay_alu instid0(VALU_DEP_4) | instskip(NEXT) | instid1(VALU_DEP_4)
	v_or_b32_e32 v150, v181, v163
	v_lshlrev_b32_e32 v49, 16, v49
	s_delay_alu instid0(VALU_DEP_4) | instskip(NEXT) | instid1(VALU_DEP_3)
	v_and_b32_e32 v149, 0xffff, v149
	v_lshlrev_b32_e32 v150, 16, v150
	s_delay_alu instid0(VALU_DEP_3) | instskip(NEXT) | instid1(VALU_DEP_2)
	v_or_b32_e32 v48, v48, v49
	v_or_b32_e32 v49, v149, v150
	s_branch .LBB90_28
.LBB90_53:
	s_or_b32 exec_lo, exec_lo, s20
	v_mad_u64_u32 v[9:10], null, v165, 7, v[112:113]
	v_add_co_u32 v4, vcc_lo, v12, v26
	v_mad_u64_u32 v[14:15], null, v164, 7, v[116:117]
	v_add_co_ci_u32_e32 v5, vcc_lo, 0, v13, vcc_lo
	s_barrier
	buffer_gl0_inv
	s_clause 0x7
	flat_store_b8 v[112:113], v166
	flat_store_b8 v[116:117], v167
	;; [unrolled: 1-line block ×8, first 2 shown]
	s_waitcnt lgkmcnt(0)
	s_waitcnt_vscnt null, 0x0
	s_barrier
	buffer_gl0_inv
	s_clause 0x7
	flat_load_u8 v33, v[4:5]
	flat_load_u8 v32, v[4:5] offset:256
	flat_load_u8 v31, v[4:5] offset:512
	;; [unrolled: 1-line block ×7, first 2 shown]
	s_waitcnt vmcnt(0) lgkmcnt(0)
	s_barrier
	buffer_gl0_inv
	s_clause 0x1
	flat_store_b64 v[9:10], v[80:81]
	flat_store_b64 v[14:15], v[70:71]
	v_mad_u64_u32 v[9:10], null, v162, 7, v[100:101]
	v_mad_u64_u32 v[14:15], null, v161, 7, v[102:103]
	;; [unrolled: 1-line block ×4, first 2 shown]
	s_clause 0x3
	flat_store_b64 v[9:10], v[54:55]
	flat_store_b64 v[14:15], v[68:69]
	;; [unrolled: 1-line block ×4, first 2 shown]
	v_mad_u64_u32 v[9:10], null, v26, 7, v[4:5]
	v_mad_u64_u32 v[20:21], null, v133, 7, v[128:129]
	v_lshl_or_b32 v11, v26, 3, 0x2000
	v_mad_u64_u32 v[34:35], null, v82, 7, v[130:131]
	s_clause 0x1
	flat_store_b64 v[20:21], v[50:51]
	flat_store_b64 v[34:35], v[52:53]
	v_add_co_u32 v4, vcc_lo, 0x1000, v9
	v_add_co_ci_u32_e32 v5, vcc_lo, 0, v10, vcc_lo
	v_add_co_u32 v11, vcc_lo, v12, v11
	v_add_co_ci_u32_e32 v12, vcc_lo, 0, v13, vcc_lo
	;; [unrolled: 2-line block ×3, first 2 shown]
	v_add_co_u32 v36, vcc_lo, 0x3000, v9
	s_waitcnt lgkmcnt(0)
	s_waitcnt_vscnt null, 0x0
	s_barrier
	buffer_gl0_inv
	v_add_co_ci_u32_e32 v37, vcc_lo, 0, v10, vcc_lo
	s_clause 0x7
	flat_load_b64 v[21:22], v[9:10]
	flat_load_b64 v[19:20], v[9:10] offset:2048
	flat_load_b64 v[17:18], v[4:5]
	flat_load_b64 v[15:16], v[4:5] offset:2048
	;; [unrolled: 2-line block ×4, first 2 shown]
	v_add_co_u32 v2, vcc_lo, v2, v8
	v_add_co_ci_u32_e32 v3, vcc_lo, 0, v3, vcc_lo
	v_mov_b32_e32 v28, 0
	s_delay_alu instid0(VALU_DEP_3) | instskip(NEXT) | instid1(VALU_DEP_3)
	v_add_co_u32 v2, vcc_lo, v2, v27
	v_add_co_ci_u32_e32 v3, vcc_lo, 0, v3, vcc_lo
	v_cmp_lt_u32_e32 vcc_lo, v27, v134
	s_waitcnt vmcnt(0) lgkmcnt(0)
	s_barrier
	buffer_gl0_inv
	s_and_saveexec_b32 s0, vcc_lo
	s_cbranch_execz .LBB90_55
; %bb.54:
	v_xor_b32_e32 v8, -1, v33
	flat_store_b8 v[2:3], v8
.LBB90_55:
	s_or_b32 exec_lo, exec_lo, s0
	v_add_nc_u32_e32 v8, 0x100, v27
	s_delay_alu instid0(VALU_DEP_1) | instskip(NEXT) | instid1(VALU_DEP_1)
	v_cmp_lt_u32_e64 s2, v8, v134
	s_and_saveexec_b32 s0, s2
	s_cbranch_execz .LBB90_57
; %bb.56:
	v_xor_b32_e32 v8, -1, v32
	flat_store_b8 v[2:3], v8 offset:256
.LBB90_57:
	s_or_b32 exec_lo, exec_lo, s0
	v_add_nc_u32_e32 v8, 0x200, v27
	s_delay_alu instid0(VALU_DEP_1) | instskip(NEXT) | instid1(VALU_DEP_1)
	v_cmp_lt_u32_e64 s6, v8, v134
	s_and_saveexec_b32 s0, s6
	s_cbranch_execz .LBB90_59
; %bb.58:
	v_xor_b32_e32 v8, -1, v31
	flat_store_b8 v[2:3], v8 offset:512
.LBB90_59:
	;; [unrolled: 10-line block ×7, first 2 shown]
	s_or_b32 exec_lo, exec_lo, s7
	v_lshlrev_b64 v[2:3], 3, v[27:28]
	v_add_co_u32 v0, s7, v6, v0
	s_delay_alu instid0(VALU_DEP_1) | instskip(NEXT) | instid1(VALU_DEP_2)
	v_add_co_ci_u32_e64 v1, s7, v7, v1, s7
	v_add_co_u32 v0, s7, v0, v2
	s_delay_alu instid0(VALU_DEP_1)
	v_add_co_ci_u32_e64 v1, s7, v1, v3, s7
	s_and_saveexec_b32 s7, vcc_lo
	s_cbranch_execnz .LBB90_119
; %bb.70:
	s_or_b32 exec_lo, exec_lo, s7
	s_and_saveexec_b32 s7, s2
	s_cbranch_execnz .LBB90_120
.LBB90_71:
	s_or_b32 exec_lo, exec_lo, s7
	s_and_saveexec_b32 s2, s6
	s_cbranch_execnz .LBB90_121
.LBB90_72:
	s_or_b32 exec_lo, exec_lo, s2
	s_and_saveexec_b32 s2, s5
	s_cbranch_execnz .LBB90_122
.LBB90_73:
	s_or_b32 exec_lo, exec_lo, s2
	s_and_saveexec_b32 s2, s4
	s_cbranch_execnz .LBB90_123
.LBB90_74:
	s_or_b32 exec_lo, exec_lo, s2
	s_and_saveexec_b32 s2, s3
	s_cbranch_execnz .LBB90_124
.LBB90_75:
	s_or_b32 exec_lo, exec_lo, s2
	s_and_saveexec_b32 s2, s1
	s_cbranch_execnz .LBB90_125
.LBB90_76:
	s_or_b32 exec_lo, exec_lo, s2
	s_and_saveexec_b32 s1, s0
	s_cbranch_execz .LBB90_78
.LBB90_77:
	v_add_co_u32 v0, vcc_lo, 0x3000, v0
	v_add_co_ci_u32_e32 v1, vcc_lo, 0, v1, vcc_lo
	flat_store_b64 v[0:1], v[4:5] offset:2048
.LBB90_78:
	s_or_b32 exec_lo, exec_lo, s1
                                        ; implicit-def: $vgpr134
                                        ; implicit-def: $vgpr0
                                        ; implicit-def: $vgpr1
                                        ; implicit-def: $vgpr2
                                        ; implicit-def: $vgpr3
                                        ; implicit-def: $vgpr4
                                        ; implicit-def: $vgpr5
                                        ; implicit-def: $vgpr6
                                        ; implicit-def: $vgpr7
                                        ; implicit-def: $vgpr8
                                        ; implicit-def: $vgpr10
                                        ; implicit-def: $vgpr11
                                        ; implicit-def: $vgpr12
                                        ; implicit-def: $vgpr13
                                        ; implicit-def: $vgpr14
                                        ; implicit-def: $vgpr15
                                        ; implicit-def: $vgpr26
                                        ; implicit-def: $vgpr34
.LBB90_79:
	s_and_not1_saveexec_b32 s0, s19
	s_cbranch_execz .LBB90_199
; %bb.80:
	s_mov_b32 s0, exec_lo
	v_cmpx_lt_u32_e32 0x200, v134
	s_xor_b32 s19, exec_lo, s0
	s_cbranch_execz .LBB90_140
; %bb.81:
	s_load_b64 s[0:1], s[8:9], 0x0
	v_mov_b32_e32 v9, 0
	v_add_co_u32 v0, vcc_lo, v0, v8
	v_add_co_ci_u32_e32 v1, vcc_lo, 0, v1, vcc_lo
	s_delay_alu instid0(VALU_DEP_2) | instskip(NEXT) | instid1(VALU_DEP_2)
	v_add_co_u32 v0, vcc_lo, v0, v34
	v_add_co_ci_u32_e32 v1, vcc_lo, 0, v1, vcc_lo
	s_waitcnt lgkmcnt(0)
	s_cmp_lt_u32 s13, s1
	s_cselect_b32 s1, 14, 20
	s_delay_alu instid0(SALU_CYCLE_1) | instskip(SKIP_4) | instid1(SALU_CYCLE_1)
	s_add_u32 s2, s8, s1
	s_addc_u32 s3, s9, 0
	s_cmp_lt_u32 s12, s0
	global_load_u16 v16, v9, s[2:3]
	s_cselect_b32 s0, 12, 18
	s_add_u32 s0, s8, s0
	s_addc_u32 s1, s9, 0
	global_load_u16 v17, v9, s[0:1]
	s_waitcnt vmcnt(1)
	v_mad_u32_u24 v14, v15, v16, v14
	s_waitcnt vmcnt(0)
	s_delay_alu instid0(VALU_DEP_1) | instskip(NEXT) | instid1(VALU_DEP_1)
	v_mad_u64_u32 v[27:28], null, v14, v17, v[26:27]
	v_lshlrev_b32_e32 v14, 2, v27
	v_mov_b32_e32 v16, v9
	s_delay_alu instid0(VALU_DEP_2) | instskip(NEXT) | instid1(VALU_DEP_1)
	v_dual_mov_b32 v15, v9 :: v_dual_and_b32 v14, 0xffffff80, v14
	v_or_b32_e32 v17, v14, v34
	v_add_co_u32 v0, vcc_lo, v0, v14
	v_add_co_ci_u32_e32 v1, vcc_lo, 0, v1, vcc_lo
	s_delay_alu instid0(VALU_DEP_3)
	v_cmp_lt_u32_e32 vcc_lo, v17, v134
	s_and_saveexec_b32 s0, vcc_lo
	s_cbranch_execz .LBB90_83
; %bb.82:
	flat_load_u8 v16, v[0:1]
.LBB90_83:
	s_or_b32 exec_lo, exec_lo, s0
	v_or_b32_e32 v18, 32, v17
	s_delay_alu instid0(VALU_DEP_1) | instskip(NEXT) | instid1(VALU_DEP_1)
	v_cmp_lt_u32_e64 s0, v18, v134
	s_and_saveexec_b32 s1, s0
	s_cbranch_execz .LBB90_85
; %bb.84:
	flat_load_u8 v18, v[0:1] offset:32
	s_waitcnt vmcnt(0) lgkmcnt(0)
	v_lshlrev_b16 v18, 8, v18
	s_delay_alu instid0(VALU_DEP_1) | instskip(NEXT) | instid1(VALU_DEP_1)
	v_or_b32_e32 v16, v16, v18
	v_and_b32_e32 v16, 0xffff, v16
.LBB90_85:
	s_or_b32 exec_lo, exec_lo, s1
	v_or_b32_e32 v18, 64, v17
	s_delay_alu instid0(VALU_DEP_1) | instskip(NEXT) | instid1(VALU_DEP_1)
	v_cmp_lt_u32_e64 s1, v18, v134
	s_and_saveexec_b32 s2, s1
	s_cbranch_execz .LBB90_87
; %bb.86:
	flat_load_u8 v18, v[0:1] offset:64
	s_waitcnt vmcnt(0) lgkmcnt(0)
	v_lshl_or_b32 v16, v18, 16, v16
.LBB90_87:
	s_or_b32 exec_lo, exec_lo, s2
	v_or_b32_e32 v17, 0x60, v17
	s_delay_alu instid0(VALU_DEP_1) | instskip(NEXT) | instid1(VALU_DEP_1)
	v_cmp_lt_u32_e64 s2, v17, v134
	s_and_saveexec_b32 s3, s2
	s_cbranch_execz .LBB90_89
; %bb.88:
	flat_load_u8 v0, v[0:1] offset:96
	s_waitcnt vmcnt(1) lgkmcnt(1)
	v_lshrrev_b32_e32 v1, 16, v16
	s_waitcnt vmcnt(0) lgkmcnt(0)
	v_lshlrev_b16 v0, 8, v0
	s_delay_alu instid0(VALU_DEP_1) | instskip(NEXT) | instid1(VALU_DEP_1)
	v_or_b32_e32 v0, v1, v0
	v_lshlrev_b32_e32 v0, 16, v0
	s_delay_alu instid0(VALU_DEP_1)
	v_and_or_b32 v16, 0xffff, v16, v0
.LBB90_89:
	s_or_b32 exec_lo, exec_lo, s3
	v_lshlrev_b64 v[0:1], 3, v[8:9]
	v_lshlrev_b32_e32 v9, 3, v34
	s_delay_alu instid0(VALU_DEP_2) | instskip(NEXT) | instid1(VALU_DEP_1)
	v_add_co_u32 v17, s3, v4, v0
	v_add_co_ci_u32_e64 v18, s3, v5, v1, s3
	v_lshlrev_b64 v[4:5], 3, v[14:15]
	s_delay_alu instid0(VALU_DEP_3) | instskip(NEXT) | instid1(VALU_DEP_1)
	v_add_co_u32 v9, s3, v17, v9
	v_add_co_ci_u32_e64 v14, s3, 0, v18, s3
                                        ; implicit-def: $vgpr18_vgpr19
	s_delay_alu instid0(VALU_DEP_2) | instskip(NEXT) | instid1(VALU_DEP_1)
	v_add_co_u32 v4, s3, v9, v4
	v_add_co_ci_u32_e64 v5, s3, v14, v5, s3
	s_and_saveexec_b32 s3, vcc_lo
	s_cbranch_execnz .LBB90_164
; %bb.90:
	s_or_b32 exec_lo, exec_lo, s3
                                        ; implicit-def: $vgpr20_vgpr21
	s_and_saveexec_b32 s3, s0
	s_cbranch_execnz .LBB90_165
.LBB90_91:
	s_or_b32 exec_lo, exec_lo, s3
                                        ; implicit-def: $vgpr22_vgpr23
	s_and_saveexec_b32 s0, s1
	s_cbranch_execnz .LBB90_166
.LBB90_92:
	s_or_b32 exec_lo, exec_lo, s0
                                        ; implicit-def: $vgpr24_vgpr25
	s_and_saveexec_b32 s0, s2
	s_cbranch_execz .LBB90_94
.LBB90_93:
	flat_load_b64 v[24:25], v[4:5] offset:768
.LBB90_94:
	s_or_b32 exec_lo, exec_lo, s0
	s_waitcnt vmcnt(0) lgkmcnt(0)
	v_lshrrev_b32_e32 v4, 8, v16
	v_lshrrev_b32_e32 v5, 24, v16
	;; [unrolled: 1-line block ×3, first 2 shown]
	v_xor_b32_e32 v14, -1, v16
	s_mov_b32 s20, 0
	v_xor_b32_e32 v4, -1, v4
	v_xor_b32_e32 v5, -1, v5
	;; [unrolled: 1-line block ×3, first 2 shown]
	v_dual_mov_b32 v15, 0 :: v_dual_and_b32 v14, 0xff, v14
	s_delay_alu instid0(VALU_DEP_4) | instskip(NEXT) | instid1(VALU_DEP_4)
	v_lshlrev_b16 v4, 8, v4
	v_lshlrev_b16 v5, 8, v5
	s_mov_b32 s21, s20
	s_mov_b32 s22, s20
	;; [unrolled: 1-line block ×3, first 2 shown]
	v_and_b32_e32 v9, 0xff, v9
	v_or_b32_e32 v4, v14, v4
	v_lshlrev_b32_e32 v14, 5, v26
	v_and_b32_e32 v17, 0x3e0, v26
	v_add_nc_u32_e32 v30, -1, v34
	v_or_b32_e32 v5, v9, v5
	v_and_b32_e32 v4, 0xffff, v4
	v_add_co_u32 v9, vcc_lo, v12, 32
	v_add_co_ci_u32_e32 v80, vcc_lo, 0, v13, vcc_lo
	s_delay_alu instid0(VALU_DEP_4)
	v_lshlrev_b32_e32 v5, 16, v5
	v_and_b32_e32 v16, 15, v34
	v_cmp_gt_i32_e64 s4, 0, v30
	s_getpc_b64 s[0:1]
	s_add_u32 s0, s0, _ZN7rocprim17ROCPRIM_400000_NS16block_radix_sortIhLj256ELj4ElLj1ELj1ELj8ELNS0_26block_radix_rank_algorithmE2ELNS0_18block_padding_hintE2ELNS0_4arch9wavefront6targetE0EE19radix_bits_per_passE@rel32@lo+4
	s_addc_u32 s1, s1, _ZN7rocprim17ROCPRIM_400000_NS16block_radix_sortIhLj256ELj4ElLj1ELj1ELj8ELNS0_26block_radix_rank_algorithmE2ELNS0_18block_padding_hintE2ELNS0_4arch9wavefront6targetE0EE19radix_bits_per_passE@rel32@hi+12
	v_and_b32_e32 v35, 7, v34
	v_or_b32_e32 v83, v4, v5
	v_add_co_u32 v4, vcc_lo, v12, v14
	v_add_co_ci_u32_e32 v5, vcc_lo, 0, v13, vcc_lo
	v_add_co_u32 v28, vcc_lo, v9, v14
	v_min_u32_e32 v14, 0xe0, v17
	v_and_b32_e32 v17, 16, v34
	v_add_co_ci_u32_e32 v29, vcc_lo, 0, v80, vcc_lo
	s_load_b32 s25, s[0:1], 0x0
	s_delay_alu instid0(VALU_DEP_3) | instskip(NEXT) | instid1(VALU_DEP_3)
	v_or_b32_e32 v14, 31, v14
	v_cmp_eq_u32_e64 s3, 0, v17
	v_lshrrev_b32_e32 v17, 5, v26
	v_cmp_eq_u32_e32 vcc_lo, 0, v16
	v_cmp_lt_u32_e64 s0, 1, v16
	v_cmp_lt_u32_e64 s1, 3, v16
	v_cmp_lt_u32_e64 s2, 7, v16
	v_cndmask_b32_e64 v16, v30, v34, s4
	v_cmp_eq_u32_e64 s4, v14, v26
	v_lshlrev_b32_e32 v14, 2, v17
	v_cmp_eq_u32_e64 s7, 0, v34
	v_cmp_lt_u32_e64 s14, 1, v35
	v_lshlrev_b32_e32 v82, 2, v16
	v_lshlrev_b32_e32 v16, 2, v26
	v_add_co_u32 v30, s11, v12, v14
	s_delay_alu instid0(VALU_DEP_1) | instskip(NEXT) | instid1(VALU_DEP_3)
	v_add_co_ci_u32_e64 v31, s11, 0, v13, s11
	v_add_co_u32 v32, s11, v12, v16
	v_and_or_b32 v16, 0xf80, v16, v34
	v_add_nc_u32_e32 v14, -1, v17
	v_add_co_ci_u32_e64 v33, s11, 0, v13, s11
	v_cmp_eq_u32_e64 s11, 0, v35
	s_delay_alu instid0(VALU_DEP_4) | instskip(NEXT) | instid1(VALU_DEP_4)
	v_add_co_u32 v34, s16, v12, v16
	v_lshlrev_b64 v[14:15], 2, v[14:15]
	v_cmp_lt_u32_e64 s15, 3, v35
	v_add_co_ci_u32_e64 v35, s16, 0, v13, s16
	v_lshrrev_b32_e32 v81, 5, v27
	v_cmp_gt_u32_e64 s5, 8, v26
	v_add_co_u32 v36, s16, v12, v14
	s_delay_alu instid0(VALU_DEP_4)
	v_mad_u64_u32 v[38:39], null, v16, 7, v[34:35]
	v_add_co_ci_u32_e64 v37, s16, v13, v15, s16
	v_mov_b32_e32 v14, s20
	v_mov_b32_e32 v16, s22
	v_cmp_lt_u32_e64 s6, 31, v26
	v_cmp_eq_u32_e64 s10, 0, v26
	v_sub_nc_u32_e32 v84, v11, v10
	v_mov_b32_e32 v15, s21
	v_mov_b32_e32 v17, s23
	s_waitcnt lgkmcnt(0)
	s_waitcnt_vscnt null, 0x0
	s_barrier
	buffer_gl0_inv
	s_branch .LBB90_96
.LBB90_95:                              ;   in Loop: Header=BB90_96 Depth=1
	s_or_b32 exec_lo, exec_lo, s17
	s_delay_alu instid0(SALU_CYCLE_1) | instskip(NEXT) | instid1(SALU_CYCLE_1)
	s_and_b32 s16, exec_lo, s18
	s_or_b32 s20, s16, s20
	s_delay_alu instid0(SALU_CYCLE_1)
	s_and_not1_b32 exec_lo, exec_lo, s20
	s_cbranch_execz .LBB90_126
.LBB90_96:                              ; =>This Inner Loop Header: Depth=1
	v_min_u32_e32 v48, s25, v84
	v_and_b32_e32 v49, 0xff, v83
	s_clause 0x1
	flat_store_b128 v[4:5], v[14:17] offset:32
	flat_store_b128 v[28:29], v[14:17] offset:16
	s_waitcnt lgkmcnt(0)
	s_waitcnt_vscnt null, 0x0
	s_barrier
	v_lshlrev_b32_e64 v48, v48, -1
	v_lshrrev_b32_e32 v49, v10, v49
	buffer_gl0_inv
	; wave barrier
	v_not_b32_e32 v70, v48
	s_delay_alu instid0(VALU_DEP_1) | instskip(NEXT) | instid1(VALU_DEP_1)
	v_and_b32_e32 v64, v49, v70
	v_and_b32_e32 v48, 1, v64
	v_lshlrev_b32_e32 v49, 30, v64
	v_lshlrev_b32_e32 v50, 29, v64
	;; [unrolled: 1-line block ×4, first 2 shown]
	v_add_co_u32 v48, s16, v48, -1
	s_delay_alu instid0(VALU_DEP_1)
	v_cndmask_b32_e64 v52, 0, 1, s16
	v_not_b32_e32 v65, v49
	v_cmp_gt_i32_e64 s17, 0, v49
	v_not_b32_e32 v49, v50
	v_lshlrev_b32_e32 v54, 26, v64
	v_cmp_ne_u32_e64 s16, 0, v52
	v_ashrrev_i32_e32 v65, 31, v65
	v_lshlrev_b32_e32 v52, 24, v64
	v_ashrrev_i32_e32 v49, 31, v49
	s_delay_alu instid0(VALU_DEP_4)
	v_xor_b32_e32 v48, s16, v48
	v_cmp_gt_i32_e64 s16, 0, v50
	v_not_b32_e32 v50, v51
	v_xor_b32_e32 v65, s17, v65
	v_cmp_gt_i32_e64 s17, 0, v51
	v_and_b32_e32 v48, exec_lo, v48
	v_not_b32_e32 v51, v53
	v_ashrrev_i32_e32 v50, 31, v50
	v_xor_b32_e32 v49, s16, v49
	v_cmp_gt_i32_e64 s16, 0, v53
	v_and_b32_e32 v48, v48, v65
	v_not_b32_e32 v53, v54
	v_ashrrev_i32_e32 v51, 31, v51
	v_xor_b32_e32 v50, s17, v50
	v_cmp_gt_i32_e64 s17, 0, v54
	v_and_b32_e32 v48, v48, v49
	v_ashrrev_i32_e32 v53, 31, v53
	v_xor_b32_e32 v51, s16, v51
	s_delay_alu instid0(VALU_DEP_3) | instskip(NEXT) | instid1(VALU_DEP_3)
	v_and_b32_e32 v48, v48, v50
	v_xor_b32_e32 v53, s17, v53
	v_not_b32_e32 v50, v52
	v_cmp_gt_i32_e64 s17, 0, v52
	s_delay_alu instid0(VALU_DEP_4) | instskip(NEXT) | instid1(VALU_DEP_3)
	v_and_b32_e32 v48, v48, v51
	v_ashrrev_i32_e32 v50, 31, v50
	s_delay_alu instid0(VALU_DEP_2) | instskip(SKIP_1) | instid1(VALU_DEP_3)
	v_dual_mov_b32 v53, v19 :: v_dual_and_b32 v48, v48, v53
	v_lshlrev_b32_e32 v55, 25, v64
	v_xor_b32_e32 v54, s17, v50
	v_dual_mov_b32 v52, v18 :: v_dual_lshlrev_b32 v19, 3, v64
	v_mov_b32_e32 v51, v21
	s_delay_alu instid0(VALU_DEP_4) | instskip(SKIP_3) | instid1(VALU_DEP_4)
	v_not_b32_e32 v49, v55
	v_cmp_gt_i32_e64 s16, 0, v55
	v_mov_b32_e32 v50, v20
	v_add_lshl_u32 v19, v19, v81, 2
	v_ashrrev_i32_e32 v49, 31, v49
	s_delay_alu instid0(VALU_DEP_2) | instskip(NEXT) | instid1(VALU_DEP_2)
	v_add_co_u32 v64, s18, v9, v19
	v_xor_b32_e32 v49, s16, v49
	v_add_co_ci_u32_e64 v65, s18, 0, v80, s18
	s_delay_alu instid0(VALU_DEP_2) | instskip(SKIP_1) | instid1(VALU_DEP_2)
	v_and_b32_e32 v55, v48, v49
	v_dual_mov_b32 v49, v23 :: v_dual_mov_b32 v48, v22
	v_dual_mov_b32 v55, v25 :: v_dual_and_b32 v18, v55, v54
	v_mov_b32_e32 v54, v24
	s_delay_alu instid0(VALU_DEP_2) | instskip(SKIP_1) | instid1(VALU_DEP_2)
	v_mbcnt_lo_u32_b32 v85, v18, 0
	v_cmp_ne_u32_e64 s16, 0, v18
	v_cmp_eq_u32_e64 s17, 0, v85
	s_delay_alu instid0(VALU_DEP_1) | instskip(NEXT) | instid1(SALU_CYCLE_1)
	s_and_b32 s17, s16, s17
	s_and_saveexec_b32 s16, s17
	s_cbranch_execz .LBB90_98
; %bb.97:                               ;   in Loop: Header=BB90_96 Depth=1
	v_bcnt_u32_b32 v18, v18, 0
	flat_store_b32 v[64:65], v18
.LBB90_98:                              ;   in Loop: Header=BB90_96 Depth=1
	s_or_b32 exec_lo, exec_lo, s16
	v_bfe_u32 v18, v83, 8, 8
	; wave barrier
	s_delay_alu instid0(VALU_DEP_1) | instskip(NEXT) | instid1(VALU_DEP_1)
	v_lshrrev_b32_e32 v18, v10, v18
	v_and_b32_e32 v18, v18, v70
	s_delay_alu instid0(VALU_DEP_1) | instskip(SKIP_3) | instid1(VALU_DEP_4)
	v_lshlrev_b32_e32 v19, 3, v18
	v_lshlrev_b32_e32 v21, 30, v18
	;; [unrolled: 1-line block ×4, first 2 shown]
	v_add_lshl_u32 v19, v19, v81, 2
	s_delay_alu instid0(VALU_DEP_1) | instskip(NEXT) | instid1(VALU_DEP_1)
	v_add_co_u32 v66, s16, v9, v19
	v_add_co_ci_u32_e64 v67, s16, 0, v80, s16
	v_and_b32_e32 v19, 1, v18
	flat_load_b32 v86, v[66:67]
	v_add_co_u32 v19, s16, v19, -1
	s_delay_alu instid0(VALU_DEP_1) | instskip(NEXT) | instid1(VALU_DEP_1)
	v_cndmask_b32_e64 v20, 0, 1, s16
	; wave barrier
	v_cmp_ne_u32_e64 s16, 0, v20
	v_not_b32_e32 v20, v21
	s_delay_alu instid0(VALU_DEP_2) | instskip(SKIP_1) | instid1(VALU_DEP_3)
	v_xor_b32_e32 v19, s16, v19
	v_cmp_gt_i32_e64 s16, 0, v21
	v_ashrrev_i32_e32 v20, 31, v20
	v_not_b32_e32 v21, v22
	s_delay_alu instid0(VALU_DEP_4) | instskip(NEXT) | instid1(VALU_DEP_3)
	v_and_b32_e32 v19, exec_lo, v19
	v_xor_b32_e32 v20, s16, v20
	v_cmp_gt_i32_e64 s16, 0, v22
	s_delay_alu instid0(VALU_DEP_4) | instskip(SKIP_1) | instid1(VALU_DEP_4)
	v_ashrrev_i32_e32 v21, 31, v21
	v_not_b32_e32 v22, v23
	v_and_b32_e32 v19, v19, v20
	v_lshlrev_b32_e32 v20, 27, v18
	s_delay_alu instid0(VALU_DEP_4) | instskip(SKIP_2) | instid1(VALU_DEP_4)
	v_xor_b32_e32 v21, s16, v21
	v_cmp_gt_i32_e64 s16, 0, v23
	v_ashrrev_i32_e32 v22, 31, v22
	v_not_b32_e32 v23, v20
	s_delay_alu instid0(VALU_DEP_4) | instskip(SKIP_1) | instid1(VALU_DEP_4)
	v_and_b32_e32 v19, v19, v21
	v_lshlrev_b32_e32 v21, 26, v18
	v_xor_b32_e32 v22, s16, v22
	v_cmp_gt_i32_e64 s16, 0, v20
	v_ashrrev_i32_e32 v20, 31, v23
	s_delay_alu instid0(VALU_DEP_4) | instskip(NEXT) | instid1(VALU_DEP_4)
	v_not_b32_e32 v23, v21
	v_and_b32_e32 v19, v19, v22
	v_lshlrev_b32_e32 v22, 25, v18
	s_delay_alu instid0(VALU_DEP_4)
	v_xor_b32_e32 v20, s16, v20
	v_cmp_gt_i32_e64 s16, 0, v21
	v_ashrrev_i32_e32 v21, 31, v23
	v_lshlrev_b32_e32 v18, 24, v18
	v_not_b32_e32 v23, v22
	v_and_b32_e32 v19, v19, v20
	s_delay_alu instid0(VALU_DEP_4) | instskip(SKIP_1) | instid1(VALU_DEP_4)
	v_xor_b32_e32 v20, s16, v21
	v_cmp_gt_i32_e64 s16, 0, v22
	v_ashrrev_i32_e32 v21, 31, v23
	v_not_b32_e32 v22, v18
	s_delay_alu instid0(VALU_DEP_4) | instskip(NEXT) | instid1(VALU_DEP_3)
	v_and_b32_e32 v19, v19, v20
	v_xor_b32_e32 v20, s16, v21
	v_cmp_gt_i32_e64 s16, 0, v18
	s_delay_alu instid0(VALU_DEP_4) | instskip(NEXT) | instid1(VALU_DEP_3)
	v_ashrrev_i32_e32 v18, 31, v22
	v_and_b32_e32 v19, v19, v20
	s_delay_alu instid0(VALU_DEP_2) | instskip(NEXT) | instid1(VALU_DEP_1)
	v_xor_b32_e32 v18, s16, v18
	v_and_b32_e32 v18, v19, v18
	s_delay_alu instid0(VALU_DEP_1) | instskip(SKIP_1) | instid1(VALU_DEP_2)
	v_mbcnt_lo_u32_b32 v96, v18, 0
	v_cmp_ne_u32_e64 s17, 0, v18
	v_cmp_eq_u32_e64 s16, 0, v96
	s_delay_alu instid0(VALU_DEP_1) | instskip(NEXT) | instid1(SALU_CYCLE_1)
	s_and_b32 s17, s17, s16
	s_and_saveexec_b32 s16, s17
	s_cbranch_execz .LBB90_100
; %bb.99:                               ;   in Loop: Header=BB90_96 Depth=1
	s_waitcnt vmcnt(0) lgkmcnt(0)
	v_bcnt_u32_b32 v18, v18, v86
	flat_store_b32 v[66:67], v18
.LBB90_100:                             ;   in Loop: Header=BB90_96 Depth=1
	s_or_b32 exec_lo, exec_lo, s16
	v_bfe_u32 v18, v83, 16, 8
	; wave barrier
	s_delay_alu instid0(VALU_DEP_1) | instskip(NEXT) | instid1(VALU_DEP_1)
	v_lshrrev_b32_e32 v18, v10, v18
	v_and_b32_e32 v18, v18, v70
	s_delay_alu instid0(VALU_DEP_1) | instskip(SKIP_3) | instid1(VALU_DEP_4)
	v_lshlrev_b32_e32 v19, 3, v18
	v_lshlrev_b32_e32 v21, 30, v18
	;; [unrolled: 1-line block ×4, first 2 shown]
	v_add_lshl_u32 v19, v19, v81, 2
	s_delay_alu instid0(VALU_DEP_1) | instskip(NEXT) | instid1(VALU_DEP_1)
	v_add_co_u32 v68, s16, v9, v19
	v_add_co_ci_u32_e64 v69, s16, 0, v80, s16
	v_and_b32_e32 v19, 1, v18
	flat_load_b32 v97, v[68:69]
	v_add_co_u32 v19, s16, v19, -1
	s_delay_alu instid0(VALU_DEP_1) | instskip(NEXT) | instid1(VALU_DEP_1)
	v_cndmask_b32_e64 v20, 0, 1, s16
	; wave barrier
	v_cmp_ne_u32_e64 s16, 0, v20
	v_not_b32_e32 v20, v21
	s_delay_alu instid0(VALU_DEP_2) | instskip(SKIP_1) | instid1(VALU_DEP_3)
	v_xor_b32_e32 v19, s16, v19
	v_cmp_gt_i32_e64 s16, 0, v21
	v_ashrrev_i32_e32 v20, 31, v20
	v_not_b32_e32 v21, v22
	s_delay_alu instid0(VALU_DEP_4) | instskip(NEXT) | instid1(VALU_DEP_3)
	v_and_b32_e32 v19, exec_lo, v19
	v_xor_b32_e32 v20, s16, v20
	v_cmp_gt_i32_e64 s16, 0, v22
	s_delay_alu instid0(VALU_DEP_4) | instskip(SKIP_1) | instid1(VALU_DEP_4)
	v_ashrrev_i32_e32 v21, 31, v21
	v_not_b32_e32 v22, v23
	v_and_b32_e32 v19, v19, v20
	v_lshlrev_b32_e32 v20, 27, v18
	s_delay_alu instid0(VALU_DEP_4) | instskip(SKIP_2) | instid1(VALU_DEP_4)
	v_xor_b32_e32 v21, s16, v21
	v_cmp_gt_i32_e64 s16, 0, v23
	v_ashrrev_i32_e32 v22, 31, v22
	v_not_b32_e32 v23, v20
	s_delay_alu instid0(VALU_DEP_4) | instskip(SKIP_1) | instid1(VALU_DEP_4)
	v_and_b32_e32 v19, v19, v21
	v_lshlrev_b32_e32 v21, 26, v18
	v_xor_b32_e32 v22, s16, v22
	v_cmp_gt_i32_e64 s16, 0, v20
	v_ashrrev_i32_e32 v20, 31, v23
	s_delay_alu instid0(VALU_DEP_4) | instskip(NEXT) | instid1(VALU_DEP_4)
	v_not_b32_e32 v23, v21
	v_and_b32_e32 v19, v19, v22
	v_lshlrev_b32_e32 v22, 25, v18
	s_delay_alu instid0(VALU_DEP_4)
	v_xor_b32_e32 v20, s16, v20
	v_cmp_gt_i32_e64 s16, 0, v21
	v_ashrrev_i32_e32 v21, 31, v23
	v_lshlrev_b32_e32 v18, 24, v18
	v_not_b32_e32 v23, v22
	v_and_b32_e32 v19, v19, v20
	s_delay_alu instid0(VALU_DEP_4) | instskip(SKIP_1) | instid1(VALU_DEP_4)
	v_xor_b32_e32 v20, s16, v21
	v_cmp_gt_i32_e64 s16, 0, v22
	v_ashrrev_i32_e32 v21, 31, v23
	v_not_b32_e32 v22, v18
	s_delay_alu instid0(VALU_DEP_4) | instskip(NEXT) | instid1(VALU_DEP_3)
	v_and_b32_e32 v19, v19, v20
	v_xor_b32_e32 v20, s16, v21
	v_cmp_gt_i32_e64 s16, 0, v18
	s_delay_alu instid0(VALU_DEP_4) | instskip(NEXT) | instid1(VALU_DEP_3)
	v_ashrrev_i32_e32 v18, 31, v22
	v_and_b32_e32 v19, v19, v20
	s_delay_alu instid0(VALU_DEP_2) | instskip(NEXT) | instid1(VALU_DEP_1)
	v_xor_b32_e32 v18, s16, v18
	v_and_b32_e32 v18, v19, v18
	s_delay_alu instid0(VALU_DEP_1) | instskip(SKIP_1) | instid1(VALU_DEP_2)
	v_mbcnt_lo_u32_b32 v98, v18, 0
	v_cmp_ne_u32_e64 s17, 0, v18
	v_cmp_eq_u32_e64 s16, 0, v98
	s_delay_alu instid0(VALU_DEP_1) | instskip(NEXT) | instid1(SALU_CYCLE_1)
	s_and_b32 s17, s17, s16
	s_and_saveexec_b32 s16, s17
	s_cbranch_execz .LBB90_102
; %bb.101:                              ;   in Loop: Header=BB90_96 Depth=1
	s_waitcnt vmcnt(0) lgkmcnt(0)
	v_bcnt_u32_b32 v18, v18, v97
	flat_store_b32 v[68:69], v18
.LBB90_102:                             ;   in Loop: Header=BB90_96 Depth=1
	s_or_b32 exec_lo, exec_lo, s16
	v_lshrrev_b32_e32 v87, 24, v83
	; wave barrier
	s_delay_alu instid0(VALU_DEP_1) | instskip(NEXT) | instid1(VALU_DEP_1)
	v_lshrrev_b32_e32 v18, v10, v87
	v_and_b32_e32 v18, v18, v70
	s_delay_alu instid0(VALU_DEP_1) | instskip(SKIP_3) | instid1(VALU_DEP_4)
	v_lshlrev_b32_e32 v19, 3, v18
	v_lshlrev_b32_e32 v21, 30, v18
	;; [unrolled: 1-line block ×4, first 2 shown]
	v_add_lshl_u32 v19, v19, v81, 2
	s_delay_alu instid0(VALU_DEP_1) | instskip(NEXT) | instid1(VALU_DEP_1)
	v_add_co_u32 v70, s16, v9, v19
	v_add_co_ci_u32_e64 v71, s16, 0, v80, s16
	v_and_b32_e32 v19, 1, v18
	flat_load_b32 v99, v[70:71]
	v_add_co_u32 v19, s16, v19, -1
	s_delay_alu instid0(VALU_DEP_1) | instskip(NEXT) | instid1(VALU_DEP_1)
	v_cndmask_b32_e64 v20, 0, 1, s16
	; wave barrier
	v_cmp_ne_u32_e64 s16, 0, v20
	v_not_b32_e32 v20, v21
	s_delay_alu instid0(VALU_DEP_2) | instskip(SKIP_1) | instid1(VALU_DEP_3)
	v_xor_b32_e32 v19, s16, v19
	v_cmp_gt_i32_e64 s16, 0, v21
	v_ashrrev_i32_e32 v20, 31, v20
	v_not_b32_e32 v21, v22
	s_delay_alu instid0(VALU_DEP_4) | instskip(NEXT) | instid1(VALU_DEP_3)
	v_and_b32_e32 v19, exec_lo, v19
	v_xor_b32_e32 v20, s16, v20
	v_cmp_gt_i32_e64 s16, 0, v22
	s_delay_alu instid0(VALU_DEP_4) | instskip(SKIP_1) | instid1(VALU_DEP_4)
	v_ashrrev_i32_e32 v21, 31, v21
	v_not_b32_e32 v22, v23
	v_and_b32_e32 v19, v19, v20
	v_lshlrev_b32_e32 v20, 27, v18
	s_delay_alu instid0(VALU_DEP_4) | instskip(SKIP_2) | instid1(VALU_DEP_4)
	v_xor_b32_e32 v21, s16, v21
	v_cmp_gt_i32_e64 s16, 0, v23
	v_ashrrev_i32_e32 v22, 31, v22
	v_not_b32_e32 v23, v20
	s_delay_alu instid0(VALU_DEP_4) | instskip(SKIP_1) | instid1(VALU_DEP_4)
	v_and_b32_e32 v19, v19, v21
	v_lshlrev_b32_e32 v21, 26, v18
	v_xor_b32_e32 v22, s16, v22
	v_cmp_gt_i32_e64 s16, 0, v20
	v_ashrrev_i32_e32 v20, 31, v23
	s_delay_alu instid0(VALU_DEP_4) | instskip(NEXT) | instid1(VALU_DEP_4)
	v_not_b32_e32 v23, v21
	v_and_b32_e32 v19, v19, v22
	v_lshlrev_b32_e32 v22, 25, v18
	s_delay_alu instid0(VALU_DEP_4)
	v_xor_b32_e32 v20, s16, v20
	v_cmp_gt_i32_e64 s16, 0, v21
	v_ashrrev_i32_e32 v21, 31, v23
	v_lshlrev_b32_e32 v18, 24, v18
	v_not_b32_e32 v23, v22
	v_and_b32_e32 v19, v19, v20
	s_delay_alu instid0(VALU_DEP_4) | instskip(SKIP_1) | instid1(VALU_DEP_4)
	v_xor_b32_e32 v20, s16, v21
	v_cmp_gt_i32_e64 s16, 0, v22
	v_ashrrev_i32_e32 v21, 31, v23
	v_not_b32_e32 v22, v18
	s_delay_alu instid0(VALU_DEP_4) | instskip(NEXT) | instid1(VALU_DEP_3)
	v_and_b32_e32 v19, v19, v20
	v_xor_b32_e32 v20, s16, v21
	v_cmp_gt_i32_e64 s16, 0, v18
	s_delay_alu instid0(VALU_DEP_4) | instskip(NEXT) | instid1(VALU_DEP_3)
	v_ashrrev_i32_e32 v18, 31, v22
	v_and_b32_e32 v19, v19, v20
	s_delay_alu instid0(VALU_DEP_2) | instskip(NEXT) | instid1(VALU_DEP_1)
	v_xor_b32_e32 v18, s16, v18
	v_and_b32_e32 v18, v19, v18
	s_delay_alu instid0(VALU_DEP_1) | instskip(SKIP_1) | instid1(VALU_DEP_2)
	v_mbcnt_lo_u32_b32 v112, v18, 0
	v_cmp_ne_u32_e64 s17, 0, v18
	v_cmp_eq_u32_e64 s16, 0, v112
	s_delay_alu instid0(VALU_DEP_1) | instskip(NEXT) | instid1(SALU_CYCLE_1)
	s_and_b32 s17, s17, s16
	s_and_saveexec_b32 s16, s17
	s_cbranch_execz .LBB90_104
; %bb.103:                              ;   in Loop: Header=BB90_96 Depth=1
	s_waitcnt vmcnt(0) lgkmcnt(0)
	v_bcnt_u32_b32 v18, v18, v99
	flat_store_b32 v[70:71], v18
.LBB90_104:                             ;   in Loop: Header=BB90_96 Depth=1
	s_or_b32 exec_lo, exec_lo, s16
	; wave barrier
	s_waitcnt vmcnt(0) lgkmcnt(0)
	s_waitcnt_vscnt null, 0x0
	s_barrier
	buffer_gl0_inv
	s_clause 0x1
	flat_load_b128 v[22:25], v[4:5] offset:32
	flat_load_b128 v[18:21], v[28:29] offset:16
	s_waitcnt vmcnt(1) lgkmcnt(1)
	v_add_nc_u32_e32 v100, v23, v22
	s_delay_alu instid0(VALU_DEP_1) | instskip(SKIP_1) | instid1(VALU_DEP_1)
	v_add3_u32 v100, v100, v24, v25
	s_waitcnt vmcnt(0) lgkmcnt(0)
	v_add3_u32 v100, v100, v18, v19
	s_delay_alu instid0(VALU_DEP_1) | instskip(NEXT) | instid1(VALU_DEP_1)
	v_add3_u32 v21, v100, v20, v21
	v_mov_b32_dpp v100, v21 row_shr:1 row_mask:0xf bank_mask:0xf
	s_delay_alu instid0(VALU_DEP_1) | instskip(NEXT) | instid1(VALU_DEP_1)
	v_cndmask_b32_e64 v100, v100, 0, vcc_lo
	v_add_nc_u32_e32 v21, v100, v21
	s_delay_alu instid0(VALU_DEP_1) | instskip(NEXT) | instid1(VALU_DEP_1)
	v_mov_b32_dpp v100, v21 row_shr:2 row_mask:0xf bank_mask:0xf
	v_cndmask_b32_e64 v100, 0, v100, s0
	s_delay_alu instid0(VALU_DEP_1) | instskip(NEXT) | instid1(VALU_DEP_1)
	v_add_nc_u32_e32 v21, v21, v100
	v_mov_b32_dpp v100, v21 row_shr:4 row_mask:0xf bank_mask:0xf
	s_delay_alu instid0(VALU_DEP_1) | instskip(NEXT) | instid1(VALU_DEP_1)
	v_cndmask_b32_e64 v100, 0, v100, s1
	v_add_nc_u32_e32 v21, v21, v100
	s_delay_alu instid0(VALU_DEP_1) | instskip(NEXT) | instid1(VALU_DEP_1)
	v_mov_b32_dpp v100, v21 row_shr:8 row_mask:0xf bank_mask:0xf
	v_cndmask_b32_e64 v100, 0, v100, s2
	s_delay_alu instid0(VALU_DEP_1) | instskip(SKIP_3) | instid1(VALU_DEP_1)
	v_add_nc_u32_e32 v21, v21, v100
	ds_swizzle_b32 v100, v21 offset:swizzle(BROADCAST,32,15)
	s_waitcnt lgkmcnt(0)
	v_cndmask_b32_e64 v100, v100, 0, s3
	v_add_nc_u32_e32 v21, v21, v100
	s_and_saveexec_b32 s16, s4
	s_cbranch_execz .LBB90_106
; %bb.105:                              ;   in Loop: Header=BB90_96 Depth=1
	flat_store_b32 v[30:31], v21
.LBB90_106:                             ;   in Loop: Header=BB90_96 Depth=1
	s_or_b32 exec_lo, exec_lo, s16
	s_waitcnt lgkmcnt(0)
	s_waitcnt_vscnt null, 0x0
	s_barrier
	buffer_gl0_inv
	s_and_saveexec_b32 s16, s5
	s_cbranch_execz .LBB90_108
; %bb.107:                              ;   in Loop: Header=BB90_96 Depth=1
	flat_load_b32 v100, v[32:33]
	s_waitcnt vmcnt(0) lgkmcnt(0)
	v_mov_b32_dpp v101, v100 row_shr:1 row_mask:0xf bank_mask:0xf
	s_delay_alu instid0(VALU_DEP_1) | instskip(NEXT) | instid1(VALU_DEP_1)
	v_cndmask_b32_e64 v101, v101, 0, s11
	v_add_nc_u32_e32 v100, v101, v100
	s_delay_alu instid0(VALU_DEP_1) | instskip(NEXT) | instid1(VALU_DEP_1)
	v_mov_b32_dpp v101, v100 row_shr:2 row_mask:0xf bank_mask:0xf
	v_cndmask_b32_e64 v101, 0, v101, s14
	s_delay_alu instid0(VALU_DEP_1) | instskip(NEXT) | instid1(VALU_DEP_1)
	v_add_nc_u32_e32 v100, v100, v101
	v_mov_b32_dpp v101, v100 row_shr:4 row_mask:0xf bank_mask:0xf
	s_delay_alu instid0(VALU_DEP_1) | instskip(NEXT) | instid1(VALU_DEP_1)
	v_cndmask_b32_e64 v101, 0, v101, s15
	v_add_nc_u32_e32 v100, v100, v101
	flat_store_b32 v[32:33], v100
.LBB90_108:                             ;   in Loop: Header=BB90_96 Depth=1
	s_or_b32 exec_lo, exec_lo, s16
	v_mov_b32_e32 v100, 0
	s_waitcnt lgkmcnt(0)
	s_waitcnt_vscnt null, 0x0
	s_barrier
	buffer_gl0_inv
	s_and_saveexec_b32 s16, s6
	s_cbranch_execz .LBB90_110
; %bb.109:                              ;   in Loop: Header=BB90_96 Depth=1
	flat_load_b32 v100, v[36:37]
.LBB90_110:                             ;   in Loop: Header=BB90_96 Depth=1
	s_or_b32 exec_lo, exec_lo, s16
	s_waitcnt vmcnt(0) lgkmcnt(0)
	v_add_nc_u32_e32 v21, v100, v21
	v_add_nc_u32_e32 v10, 8, v10
	s_mov_b32 s18, -1
	ds_bpermute_b32 v21, v82, v21
	s_waitcnt lgkmcnt(0)
	v_cndmask_b32_e64 v21, v21, v100, s7
	s_delay_alu instid0(VALU_DEP_1) | instskip(NEXT) | instid1(VALU_DEP_1)
	v_cndmask_b32_e64 v21, v21, 0, s10
	v_add_nc_u32_e32 v22, v21, v22
	s_delay_alu instid0(VALU_DEP_1) | instskip(NEXT) | instid1(VALU_DEP_1)
	v_add_nc_u32_e32 v23, v22, v23
	v_add_nc_u32_e32 v24, v23, v24
	s_delay_alu instid0(VALU_DEP_1) | instskip(NEXT) | instid1(VALU_DEP_1)
	v_add_nc_u32_e32 v100, v24, v25
	;; [unrolled: 3-line block ×3, first 2 shown]
	v_add_nc_u32_e32 v103, v102, v20
	s_clause 0x1
	flat_store_b128 v[4:5], v[21:24] offset:32
	flat_store_b128 v[28:29], v[100:103] offset:16
	v_mov_b32_e32 v101, v83
	s_waitcnt lgkmcnt(0)
	s_waitcnt_vscnt null, 0x0
	s_barrier
	buffer_gl0_inv
	s_clause 0x3
	flat_load_b32 v18, v[64:65]
	flat_load_b32 v19, v[66:67]
	;; [unrolled: 1-line block ×4, first 2 shown]
	v_lshrrev_b32_e32 v102, 8, v83
	v_lshrrev_b32_e32 v103, 16, v83
	s_waitcnt vmcnt(0) lgkmcnt(0)
	s_waitcnt_vscnt null, 0x0
                                        ; implicit-def: $vgpr22_vgpr23
                                        ; implicit-def: $vgpr24_vgpr25
	s_waitcnt vmcnt(3) lgkmcnt(3)
	v_add_nc_u32_e32 v100, v18, v85
	s_waitcnt vmcnt(2) lgkmcnt(2)
	v_add3_u32 v96, v96, v86, v19
	s_waitcnt vmcnt(1) lgkmcnt(1)
	v_add3_u32 v86, v98, v97, v20
	;; [unrolled: 2-line block ×3, first 2 shown]
                                        ; implicit-def: $vgpr18_vgpr19
                                        ; implicit-def: $vgpr20_vgpr21
	v_add_co_u32 v64, s17, v12, v100
	s_delay_alu instid0(VALU_DEP_1) | instskip(SKIP_1) | instid1(VALU_DEP_1)
	v_add_co_ci_u32_e64 v65, s17, 0, v13, s17
	v_add_co_u32 v66, s17, v12, v96
	v_add_co_ci_u32_e64 v67, s17, 0, v13, s17
	v_add_co_u32 v68, s17, v12, v86
	s_delay_alu instid0(VALU_DEP_1) | instskip(SKIP_1) | instid1(VALU_DEP_1)
	v_add_co_ci_u32_e64 v69, s17, 0, v13, s17
	v_add_co_u32 v70, s17, v12, v85
	v_add_co_ci_u32_e64 v71, s17, 0, v13, s17
	s_mov_b32 s17, exec_lo
	v_cmpx_lt_u32_e64 v10, v11
	s_cbranch_execz .LBB90_95
; %bb.111:                              ;   in Loop: Header=BB90_96 Depth=1
	s_barrier
	buffer_gl0_inv
	s_clause 0x3
	flat_store_b8 v[64:65], v83
	flat_store_b8 v[66:67], v102
	;; [unrolled: 1-line block ×4, first 2 shown]
	s_waitcnt lgkmcnt(0)
	s_waitcnt_vscnt null, 0x0
	s_barrier
	buffer_gl0_inv
	s_clause 0x3
	flat_load_u8 v83, v[34:35]
	flat_load_u8 v97, v[34:35] offset:32
	flat_load_u8 v98, v[34:35] offset:64
	;; [unrolled: 1-line block ×3, first 2 shown]
	v_mad_u64_u32 v[18:19], null, v100, 7, v[64:65]
	v_mad_u64_u32 v[20:21], null, v96, 7, v[66:67]
	;; [unrolled: 1-line block ×4, first 2 shown]
	s_waitcnt vmcnt(0) lgkmcnt(0)
	s_barrier
	buffer_gl0_inv
	s_clause 0x3
	flat_store_b64 v[18:19], v[52:53]
	flat_store_b64 v[20:21], v[50:51]
	;; [unrolled: 1-line block ×4, first 2 shown]
	s_waitcnt lgkmcnt(0)
	s_waitcnt_vscnt null, 0x0
	s_barrier
	buffer_gl0_inv
	s_clause 0x3
	flat_load_b64 v[18:19], v[38:39]
	flat_load_b64 v[20:21], v[38:39] offset:256
	flat_load_b64 v[22:23], v[38:39] offset:512
	;; [unrolled: 1-line block ×3, first 2 shown]
	v_add_nc_u32_e32 v84, -8, v84
	s_xor_b32 s18, exec_lo, -1
	s_waitcnt vmcnt(0) lgkmcnt(0)
	s_barrier
	buffer_gl0_inv
	v_lshlrev_b16 v97, 8, v97
	v_lshlrev_b16 v99, 8, v99
	s_delay_alu instid0(VALU_DEP_2) | instskip(NEXT) | instid1(VALU_DEP_2)
	v_or_b32_e32 v83, v83, v97
	v_or_b32_e32 v97, v98, v99
	s_delay_alu instid0(VALU_DEP_2) | instskip(NEXT) | instid1(VALU_DEP_2)
	v_and_b32_e32 v83, 0xffff, v83
	v_lshlrev_b32_e32 v97, 16, v97
	s_delay_alu instid0(VALU_DEP_1)
	v_or_b32_e32 v83, v83, v97
	s_branch .LBB90_95
.LBB90_112:
	flat_load_b64 v[18:19], v[4:5]
	s_or_b32 exec_lo, exec_lo, s7
                                        ; implicit-def: $vgpr20_vgpr21
	s_and_saveexec_b32 s7, s0
	s_cbranch_execz .LBB90_20
.LBB90_113:
	flat_load_b64 v[20:21], v[4:5] offset:256
	s_or_b32 exec_lo, exec_lo, s7
                                        ; implicit-def: $vgpr22_vgpr23
	s_and_saveexec_b32 s0, s1
	s_cbranch_execz .LBB90_21
.LBB90_114:
	flat_load_b64 v[22:23], v[4:5] offset:512
	s_or_b32 exec_lo, exec_lo, s0
                                        ; implicit-def: $vgpr24_vgpr25
	s_and_saveexec_b32 s0, s2
	s_cbranch_execz .LBB90_22
.LBB90_115:
	flat_load_b64 v[24:25], v[4:5] offset:768
	s_or_b32 exec_lo, exec_lo, s0
                                        ; implicit-def: $vgpr84_vgpr85
	s_and_saveexec_b32 s0, s3
	s_cbranch_execz .LBB90_23
.LBB90_116:
	flat_load_b64 v[84:85], v[4:5] offset:1024
	s_or_b32 exec_lo, exec_lo, s0
                                        ; implicit-def: $vgpr86_vgpr87
	s_and_saveexec_b32 s0, s4
	s_cbranch_execz .LBB90_24
.LBB90_117:
	flat_load_b64 v[86:87], v[4:5] offset:1280
	s_or_b32 exec_lo, exec_lo, s0
                                        ; implicit-def: $vgpr96_vgpr97
	s_and_saveexec_b32 s0, s5
	s_cbranch_execz .LBB90_25
.LBB90_118:
	flat_load_b64 v[96:97], v[4:5] offset:1536
	s_or_b32 exec_lo, exec_lo, s0
                                        ; implicit-def: $vgpr98_vgpr99
	s_and_saveexec_b32 s0, s6
	s_cbranch_execnz .LBB90_26
	s_branch .LBB90_27
.LBB90_119:
	flat_store_b64 v[0:1], v[21:22]
	s_or_b32 exec_lo, exec_lo, s7
	s_and_saveexec_b32 s7, s2
	s_cbranch_execz .LBB90_71
.LBB90_120:
	flat_store_b64 v[0:1], v[19:20] offset:2048
	s_or_b32 exec_lo, exec_lo, s7
	s_and_saveexec_b32 s2, s6
	s_cbranch_execz .LBB90_72
.LBB90_121:
	v_add_co_u32 v2, vcc_lo, 0x1000, v0
	v_add_co_ci_u32_e32 v3, vcc_lo, 0, v1, vcc_lo
	flat_store_b64 v[2:3], v[17:18]
	s_or_b32 exec_lo, exec_lo, s2
	s_and_saveexec_b32 s2, s5
	s_cbranch_execz .LBB90_73
.LBB90_122:
	v_add_co_u32 v2, vcc_lo, 0x1000, v0
	v_add_co_ci_u32_e32 v3, vcc_lo, 0, v1, vcc_lo
	flat_store_b64 v[2:3], v[15:16] offset:2048
	s_or_b32 exec_lo, exec_lo, s2
	s_and_saveexec_b32 s2, s4
	s_cbranch_execz .LBB90_74
.LBB90_123:
	v_add_co_u32 v2, vcc_lo, 0x2000, v0
	v_add_co_ci_u32_e32 v3, vcc_lo, 0, v1, vcc_lo
	flat_store_b64 v[2:3], v[13:14]
	s_or_b32 exec_lo, exec_lo, s2
	s_and_saveexec_b32 s2, s3
	s_cbranch_execz .LBB90_75
.LBB90_124:
	v_add_co_u32 v2, vcc_lo, 0x2000, v0
	v_add_co_ci_u32_e32 v3, vcc_lo, 0, v1, vcc_lo
	flat_store_b64 v[2:3], v[11:12] offset:2048
	s_or_b32 exec_lo, exec_lo, s2
	s_and_saveexec_b32 s2, s1
	s_cbranch_execz .LBB90_76
.LBB90_125:
	v_add_co_u32 v2, vcc_lo, 0x3000, v0
	v_add_co_ci_u32_e32 v3, vcc_lo, 0, v1, vcc_lo
	flat_store_b64 v[2:3], v[9:10]
	s_or_b32 exec_lo, exec_lo, s2
	s_and_saveexec_b32 s1, s0
	s_cbranch_execnz .LBB90_77
	s_branch .LBB90_78
.LBB90_126:
	s_or_b32 exec_lo, exec_lo, s20
	v_add_co_u32 v4, vcc_lo, v12, v26
	v_add_co_ci_u32_e32 v5, vcc_lo, 0, v13, vcc_lo
	v_mad_u64_u32 v[9:10], null, v100, 7, v[64:65]
	v_mad_u64_u32 v[11:12], null, v96, 7, v[66:67]
	s_delay_alu instid0(VALU_DEP_3)
	v_mad_u64_u32 v[21:22], null, v26, 7, v[4:5]
	v_mad_u64_u32 v[13:14], null, v86, 7, v[68:69]
	s_barrier
	buffer_gl0_inv
	s_clause 0x3
	flat_store_b8 v[64:65], v101
	flat_store_b8 v[66:67], v102
	;; [unrolled: 1-line block ×4, first 2 shown]
	s_waitcnt lgkmcnt(0)
	s_waitcnt_vscnt null, 0x0
	s_barrier
	buffer_gl0_inv
	s_clause 0x3
	flat_load_u8 v18, v[4:5]
	flat_load_u8 v17, v[4:5] offset:256
	flat_load_u8 v16, v[4:5] offset:512
	;; [unrolled: 1-line block ×3, first 2 shown]
	v_mad_u64_u32 v[19:20], null, v85, 7, v[70:71]
	v_add_co_u32 v4, vcc_lo, 0x1000, v21
	v_add_co_ci_u32_e32 v5, vcc_lo, 0, v22, vcc_lo
	s_waitcnt vmcnt(0) lgkmcnt(0)
	s_barrier
	buffer_gl0_inv
	s_clause 0x3
	flat_store_b64 v[9:10], v[52:53]
	flat_store_b64 v[11:12], v[50:51]
	flat_store_b64 v[13:14], v[48:49]
	flat_store_b64 v[19:20], v[54:55]
	s_waitcnt lgkmcnt(0)
	s_waitcnt_vscnt null, 0x0
	s_barrier
	buffer_gl0_inv
	s_clause 0x3
	flat_load_b64 v[13:14], v[21:22]
	flat_load_b64 v[11:12], v[21:22] offset:2048
	flat_load_b64 v[9:10], v[4:5]
	flat_load_b64 v[4:5], v[4:5] offset:2048
	v_add_co_u32 v2, vcc_lo, v2, v8
	v_add_co_ci_u32_e32 v3, vcc_lo, 0, v3, vcc_lo
	v_mov_b32_e32 v28, 0
	s_delay_alu instid0(VALU_DEP_3) | instskip(NEXT) | instid1(VALU_DEP_3)
	v_add_co_u32 v2, vcc_lo, v2, v27
	v_add_co_ci_u32_e32 v3, vcc_lo, 0, v3, vcc_lo
	v_cmp_lt_u32_e32 vcc_lo, v27, v134
	s_waitcnt vmcnt(0) lgkmcnt(0)
	s_barrier
	buffer_gl0_inv
	s_and_saveexec_b32 s0, vcc_lo
	s_cbranch_execz .LBB90_128
; %bb.127:
	v_xor_b32_e32 v8, -1, v18
	flat_store_b8 v[2:3], v8
.LBB90_128:
	s_or_b32 exec_lo, exec_lo, s0
	v_add_nc_u32_e32 v8, 0x100, v27
	s_delay_alu instid0(VALU_DEP_1) | instskip(NEXT) | instid1(VALU_DEP_1)
	v_cmp_lt_u32_e64 s0, v8, v134
	s_and_saveexec_b32 s1, s0
	s_cbranch_execz .LBB90_130
; %bb.129:
	v_xor_b32_e32 v8, -1, v17
	flat_store_b8 v[2:3], v8 offset:256
.LBB90_130:
	s_or_b32 exec_lo, exec_lo, s1
	v_add_nc_u32_e32 v8, 0x200, v27
	s_delay_alu instid0(VALU_DEP_1) | instskip(NEXT) | instid1(VALU_DEP_1)
	v_cmp_lt_u32_e64 s2, v8, v134
	s_and_saveexec_b32 s1, s2
	s_cbranch_execz .LBB90_132
; %bb.131:
	v_xor_b32_e32 v8, -1, v16
	flat_store_b8 v[2:3], v8 offset:512
.LBB90_132:
	;; [unrolled: 10-line block ×3, first 2 shown]
	s_or_b32 exec_lo, exec_lo, s3
	v_lshlrev_b64 v[2:3], 3, v[27:28]
	v_add_co_u32 v0, s3, v6, v0
	s_delay_alu instid0(VALU_DEP_1) | instskip(NEXT) | instid1(VALU_DEP_2)
	v_add_co_ci_u32_e64 v1, s3, v7, v1, s3
	v_add_co_u32 v0, s3, v0, v2
	s_delay_alu instid0(VALU_DEP_1)
	v_add_co_ci_u32_e64 v1, s3, v1, v3, s3
	s_and_saveexec_b32 s3, vcc_lo
	s_cbranch_execnz .LBB90_167
; %bb.135:
	s_or_b32 exec_lo, exec_lo, s3
	s_and_saveexec_b32 s3, s0
	s_cbranch_execnz .LBB90_168
.LBB90_136:
	s_or_b32 exec_lo, exec_lo, s3
	s_and_saveexec_b32 s0, s2
	s_cbranch_execnz .LBB90_169
.LBB90_137:
	s_or_b32 exec_lo, exec_lo, s0
	s_and_saveexec_b32 s0, s1
	s_cbranch_execz .LBB90_139
.LBB90_138:
	v_add_co_u32 v0, vcc_lo, 0x1000, v0
	v_add_co_ci_u32_e32 v1, vcc_lo, 0, v1, vcc_lo
	flat_store_b64 v[0:1], v[4:5] offset:2048
.LBB90_139:
	s_or_b32 exec_lo, exec_lo, s0
                                        ; implicit-def: $vgpr134
                                        ; implicit-def: $vgpr0
                                        ; implicit-def: $vgpr1
                                        ; implicit-def: $vgpr2
                                        ; implicit-def: $vgpr3
                                        ; implicit-def: $vgpr4
                                        ; implicit-def: $vgpr5
                                        ; implicit-def: $vgpr6
                                        ; implicit-def: $vgpr7
                                        ; implicit-def: $vgpr8
                                        ; implicit-def: $vgpr10
                                        ; implicit-def: $vgpr11
                                        ; implicit-def: $vgpr12
                                        ; implicit-def: $vgpr13
                                        ; implicit-def: $vgpr14
                                        ; implicit-def: $vgpr15
                                        ; implicit-def: $vgpr26
                                        ; implicit-def: $vgpr34
.LBB90_140:
	s_and_not1_saveexec_b32 s0, s19
	s_cbranch_execz .LBB90_199
; %bb.141:
	s_load_b64 s[0:1], s[8:9], 0x0
	v_mov_b32_e32 v9, 0
	s_waitcnt lgkmcnt(0)
	s_cmp_lt_u32 s13, s1
	s_cselect_b32 s1, 14, 20
	s_delay_alu instid0(SALU_CYCLE_1) | instskip(SKIP_4) | instid1(SALU_CYCLE_1)
	s_add_u32 s2, s8, s1
	s_addc_u32 s3, s9, 0
	s_cmp_lt_u32 s12, s0
	global_load_u16 v16, v9, s[2:3]
	s_cselect_b32 s0, 12, 18
	s_add_u32 s0, s8, s0
	s_addc_u32 s1, s9, 0
	global_load_u16 v17, v9, s[0:1]
	s_mov_b32 s0, exec_lo
	s_waitcnt vmcnt(1)
	v_mad_u32_u24 v14, v15, v16, v14
	s_waitcnt vmcnt(0)
	s_delay_alu instid0(VALU_DEP_1)
	v_mad_u64_u32 v[27:28], null, v14, v17, v[26:27]
	v_cmpx_lt_u32_e32 0x100, v134
	s_xor_b32 s15, exec_lo, s0
	s_cbranch_execz .LBB90_179
; %bb.142:
	s_delay_alu instid0(VALU_DEP_2) | instskip(SKIP_2) | instid1(VALU_DEP_3)
	v_dual_mov_b32 v15, v9 :: v_dual_lshlrev_b32 v14, 1, v27
	v_add_co_u32 v0, vcc_lo, v0, v8
	v_add_co_ci_u32_e32 v1, vcc_lo, 0, v1, vcc_lo
	v_and_b32_e32 v14, 0xffffffc0, v14
	s_delay_alu instid0(VALU_DEP_3) | instskip(NEXT) | instid1(VALU_DEP_3)
	v_add_co_u32 v0, vcc_lo, v0, v34
	v_add_co_ci_u32_e32 v1, vcc_lo, 0, v1, vcc_lo
	s_delay_alu instid0(VALU_DEP_3) | instskip(NEXT) | instid1(VALU_DEP_3)
	v_or_b32_e32 v17, v34, v14
	v_add_co_u32 v0, vcc_lo, v0, v14
	s_delay_alu instid0(VALU_DEP_3) | instskip(NEXT) | instid1(VALU_DEP_3)
	v_add_co_ci_u32_e32 v1, vcc_lo, 0, v1, vcc_lo
	v_cmp_lt_u32_e32 vcc_lo, v17, v134
	v_mov_b32_e32 v16, v9
	s_and_saveexec_b32 s0, vcc_lo
	s_cbranch_execz .LBB90_144
; %bb.143:
	flat_load_u8 v16, v[0:1]
.LBB90_144:
	s_or_b32 exec_lo, exec_lo, s0
	v_or_b32_e32 v17, 32, v17
	s_delay_alu instid0(VALU_DEP_1) | instskip(NEXT) | instid1(VALU_DEP_1)
	v_cmp_lt_u32_e64 s0, v17, v134
	s_and_saveexec_b32 s1, s0
	s_cbranch_execz .LBB90_146
; %bb.145:
	flat_load_u8 v0, v[0:1] offset:32
	s_waitcnt vmcnt(0) lgkmcnt(0)
	v_lshlrev_b16 v0, 8, v0
	s_delay_alu instid0(VALU_DEP_1) | instskip(NEXT) | instid1(VALU_DEP_1)
	v_or_b32_e32 v0, v16, v0
	v_and_b32_e32 v16, 0xffff, v0
.LBB90_146:
	s_or_b32 exec_lo, exec_lo, s1
	v_lshlrev_b64 v[0:1], 3, v[8:9]
	v_lshlrev_b32_e32 v9, 3, v34
	s_delay_alu instid0(VALU_DEP_2) | instskip(NEXT) | instid1(VALU_DEP_1)
	v_add_co_u32 v17, s1, v4, v0
	v_add_co_ci_u32_e64 v18, s1, v5, v1, s1
	v_lshlrev_b64 v[4:5], 3, v[14:15]
	s_delay_alu instid0(VALU_DEP_3) | instskip(NEXT) | instid1(VALU_DEP_1)
	v_add_co_u32 v9, s1, v17, v9
	v_add_co_ci_u32_e64 v14, s1, 0, v18, s1
                                        ; implicit-def: $vgpr18_vgpr19
	s_delay_alu instid0(VALU_DEP_2) | instskip(NEXT) | instid1(VALU_DEP_1)
	v_add_co_u32 v4, s1, v9, v4
	v_add_co_ci_u32_e64 v5, s1, v14, v5, s1
	s_and_saveexec_b32 s1, vcc_lo
	s_cbranch_execz .LBB90_148
; %bb.147:
	flat_load_b64 v[18:19], v[4:5]
.LBB90_148:
	s_or_b32 exec_lo, exec_lo, s1
                                        ; implicit-def: $vgpr20_vgpr21
	s_and_saveexec_b32 s1, s0
	s_cbranch_execz .LBB90_150
; %bb.149:
	flat_load_b64 v[20:21], v[4:5] offset:256
.LBB90_150:
	s_or_b32 exec_lo, exec_lo, s1
	s_waitcnt vmcnt(0) lgkmcnt(0)
	v_xor_b32_e32 v4, -1, v16
	v_dual_mov_b32 v15, 0 :: v_dual_lshlrev_b32 v14, 5, v26
	s_mov_b32 s16, 0
	v_add_co_u32 v9, vcc_lo, v12, 32
	s_mov_b32 s17, s16
	s_mov_b32 s18, s16
	;; [unrolled: 1-line block ×3, first 2 shown]
	v_and_b32_e32 v17, 0x3e0, v26
	v_add_co_ci_u32_e32 v64, vcc_lo, 0, v13, vcc_lo
	v_and_b32_e32 v66, 0xffff, v4
	v_add_co_u32 v4, vcc_lo, v12, v14
	v_add_nc_u32_e32 v22, -1, v34
	v_add_co_ci_u32_e32 v5, vcc_lo, 0, v13, vcc_lo
	v_add_co_u32 v28, vcc_lo, v9, v14
	v_min_u32_e32 v14, 0xe0, v17
	v_and_b32_e32 v17, 16, v34
	v_and_b32_e32 v16, 15, v34
	v_cmp_gt_i32_e64 s4, 0, v22
	s_getpc_b64 s[0:1]
	s_add_u32 s0, s0, _ZN7rocprim17ROCPRIM_400000_NS16block_radix_sortIhLj256ELj2ElLj1ELj1ELj8ELNS0_26block_radix_rank_algorithmE2ELNS0_18block_padding_hintE2ELNS0_4arch9wavefront6targetE0EE19radix_bits_per_passE@rel32@lo+4
	s_addc_u32 s1, s1, _ZN7rocprim17ROCPRIM_400000_NS16block_radix_sortIhLj256ELj2ElLj1ELj1ELj8ELNS0_26block_radix_rank_algorithmE2ELNS0_18block_padding_hintE2ELNS0_4arch9wavefront6targetE0EE19radix_bits_per_passE@rel32@hi+12
	v_or_b32_e32 v14, 31, v14
	v_cmp_eq_u32_e64 s3, 0, v17
	v_lshrrev_b32_e32 v17, 5, v26
	v_add_co_ci_u32_e32 v29, vcc_lo, 0, v64, vcc_lo
	s_load_b32 s20, s[0:1], 0x0
	v_cmp_eq_u32_e32 vcc_lo, 0, v16
	v_cmp_lt_u32_e64 s0, 1, v16
	v_cmp_lt_u32_e64 s1, 3, v16
	;; [unrolled: 1-line block ×3, first 2 shown]
	v_cndmask_b32_e64 v16, v22, v34, s4
	v_cmp_eq_u32_e64 s4, v14, v26
	v_lshlrev_b32_e32 v14, 2, v17
	v_lshlrev_b32_e32 v23, 1, v26
	v_cmp_eq_u32_e64 s7, 0, v34
	v_lshlrev_b32_e32 v67, 2, v16
	v_lshlrev_b32_e32 v16, 2, v26
	v_add_co_u32 v30, s9, v12, v14
	s_delay_alu instid0(VALU_DEP_1) | instskip(NEXT) | instid1(VALU_DEP_3)
	v_add_co_ci_u32_e64 v31, s9, 0, v13, s9
	v_add_co_u32 v32, s9, v12, v16
	v_and_or_b32 v16, 0x7c0, v23, v34
	v_add_nc_u32_e32 v14, -1, v17
	v_and_b32_e32 v22, 7, v34
	v_add_co_ci_u32_e64 v33, s9, 0, v13, s9
	s_delay_alu instid0(VALU_DEP_4) | instskip(NEXT) | instid1(VALU_DEP_4)
	v_add_co_u32 v34, s12, v12, v16
	v_lshlrev_b64 v[14:15], 2, v[14:15]
	v_add_co_ci_u32_e64 v35, s12, 0, v13, s12
	v_lshrrev_b32_e32 v65, 5, v27
	v_cmp_gt_u32_e64 s5, 8, v26
	v_cmp_lt_u32_e64 s6, 31, v26
	v_add_co_u32 v36, s12, v12, v14
	v_mad_u64_u32 v[38:39], null, v16, 7, v[34:35]
	v_add_co_ci_u32_e64 v37, s12, v13, v15, s12
	v_mov_b32_e32 v14, s16
	v_cmp_eq_u32_e64 s8, 0, v26
	v_cmp_eq_u32_e64 s9, 0, v22
	v_cmp_lt_u32_e64 s10, 1, v22
	v_cmp_lt_u32_e64 s11, 3, v22
	v_sub_nc_u32_e32 v68, v11, v10
	v_dual_mov_b32 v15, s17 :: v_dual_mov_b32 v16, s18
	v_mov_b32_e32 v17, s19
	s_waitcnt lgkmcnt(0)
	s_waitcnt_vscnt null, 0x0
	s_barrier
	buffer_gl0_inv
	s_branch .LBB90_152
.LBB90_151:                             ;   in Loop: Header=BB90_152 Depth=1
	s_or_b32 exec_lo, exec_lo, s13
	s_delay_alu instid0(SALU_CYCLE_1) | instskip(NEXT) | instid1(SALU_CYCLE_1)
	s_and_b32 s12, exec_lo, s14
	s_or_b32 s16, s12, s16
	s_delay_alu instid0(SALU_CYCLE_1)
	s_and_not1_b32 exec_lo, exec_lo, s16
	s_cbranch_execz .LBB90_170
.LBB90_152:                             ; =>This Inner Loop Header: Depth=1
	v_min_u32_e32 v22, s20, v68
	v_and_b32_e32 v23, 0xff, v66
	s_clause 0x1
	flat_store_b128 v[4:5], v[14:17] offset:32
	flat_store_b128 v[28:29], v[14:17] offset:16
	s_waitcnt lgkmcnt(0)
	s_waitcnt_vscnt null, 0x0
	s_barrier
	v_lshlrev_b32_e64 v22, v22, -1
	v_lshrrev_b32_e32 v23, v10, v23
	buffer_gl0_inv
	; wave barrier
	v_not_b32_e32 v22, v22
	s_delay_alu instid0(VALU_DEP_1) | instskip(NEXT) | instid1(VALU_DEP_1)
	v_and_b32_e32 v23, v23, v22
	v_and_b32_e32 v24, 1, v23
	v_lshlrev_b32_e32 v25, 30, v23
	v_lshlrev_b32_e32 v48, 29, v23
	;; [unrolled: 1-line block ×4, first 2 shown]
	v_add_co_u32 v24, s12, v24, -1
	s_delay_alu instid0(VALU_DEP_1)
	v_cndmask_b32_e64 v50, 0, 1, s12
	v_not_b32_e32 v54, v25
	v_cmp_gt_i32_e64 s13, 0, v25
	v_not_b32_e32 v25, v48
	v_lshlrev_b32_e32 v52, 26, v23
	v_cmp_ne_u32_e64 s12, 0, v50
	v_ashrrev_i32_e32 v54, 31, v54
	v_lshlrev_b32_e32 v53, 25, v23
	v_ashrrev_i32_e32 v25, 31, v25
	v_lshlrev_b32_e32 v50, 24, v23
	v_xor_b32_e32 v24, s12, v24
	v_cmp_gt_i32_e64 s12, 0, v48
	v_not_b32_e32 v48, v49
	v_xor_b32_e32 v54, s13, v54
	v_cmp_gt_i32_e64 s13, 0, v49
	v_and_b32_e32 v24, exec_lo, v24
	v_not_b32_e32 v49, v51
	v_ashrrev_i32_e32 v48, 31, v48
	v_xor_b32_e32 v25, s12, v25
	v_cmp_gt_i32_e64 s12, 0, v51
	v_and_b32_e32 v24, v24, v54
	v_not_b32_e32 v51, v52
	v_ashrrev_i32_e32 v49, 31, v49
	v_xor_b32_e32 v48, s13, v48
	v_cmp_gt_i32_e64 s13, 0, v52
	v_and_b32_e32 v24, v24, v25
	;; [unrolled: 5-line block ×4, first 2 shown]
	v_ashrrev_i32_e32 v48, 31, v48
	v_xor_b32_e32 v25, s12, v25
	s_delay_alu instid0(VALU_DEP_3) | instskip(NEXT) | instid1(VALU_DEP_3)
	v_and_b32_e32 v24, v24, v51
	v_xor_b32_e32 v50, s13, v48
	v_dual_mov_b32 v49, v21 :: v_dual_mov_b32 v48, v20
	s_delay_alu instid0(VALU_DEP_3) | instskip(NEXT) | instid1(VALU_DEP_1)
	v_and_b32_e32 v24, v24, v25
	v_dual_mov_b32 v51, v19 :: v_dual_and_b32 v20, v24, v50
	v_mov_b32_e32 v50, v18
	v_lshlrev_b32_e32 v18, 3, v23
	s_delay_alu instid0(VALU_DEP_3) | instskip(SKIP_1) | instid1(VALU_DEP_3)
	v_mbcnt_lo_u32_b32 v70, v20, 0
	v_cmp_ne_u32_e64 s12, 0, v20
	v_add_lshl_u32 v18, v18, v65, 2
	s_delay_alu instid0(VALU_DEP_3) | instskip(NEXT) | instid1(VALU_DEP_2)
	v_cmp_eq_u32_e64 s13, 0, v70
	v_add_co_u32 v52, s14, v9, v18
	s_delay_alu instid0(VALU_DEP_1) | instskip(NEXT) | instid1(VALU_DEP_3)
	v_add_co_ci_u32_e64 v53, s14, 0, v64, s14
	s_and_b32 s13, s12, s13
	s_delay_alu instid0(SALU_CYCLE_1)
	s_and_saveexec_b32 s12, s13
	s_cbranch_execz .LBB90_154
; %bb.153:                              ;   in Loop: Header=BB90_152 Depth=1
	v_bcnt_u32_b32 v18, v20, 0
	flat_store_b32 v[52:53], v18
.LBB90_154:                             ;   in Loop: Header=BB90_152 Depth=1
	s_or_b32 exec_lo, exec_lo, s12
	v_lshrrev_b16 v69, 8, v66
	; wave barrier
	s_delay_alu instid0(VALU_DEP_1) | instskip(NEXT) | instid1(VALU_DEP_1)
	v_and_b32_e32 v18, 0xffff, v69
	v_lshrrev_b32_e32 v18, v10, v18
	s_delay_alu instid0(VALU_DEP_1) | instskip(NEXT) | instid1(VALU_DEP_1)
	v_and_b32_e32 v18, v18, v22
	v_lshlrev_b32_e32 v19, 3, v18
	v_lshlrev_b32_e32 v21, 30, v18
	;; [unrolled: 1-line block ×4, first 2 shown]
	s_delay_alu instid0(VALU_DEP_4) | instskip(NEXT) | instid1(VALU_DEP_1)
	v_add_lshl_u32 v19, v19, v65, 2
	v_add_co_u32 v54, s12, v9, v19
	s_delay_alu instid0(VALU_DEP_1) | instskip(SKIP_3) | instid1(VALU_DEP_1)
	v_add_co_ci_u32_e64 v55, s12, 0, v64, s12
	v_and_b32_e32 v19, 1, v18
	flat_load_b32 v71, v[54:55]
	v_add_co_u32 v19, s12, v19, -1
	v_cndmask_b32_e64 v20, 0, 1, s12
	; wave barrier
	s_delay_alu instid0(VALU_DEP_1) | instskip(SKIP_1) | instid1(VALU_DEP_2)
	v_cmp_ne_u32_e64 s12, 0, v20
	v_not_b32_e32 v20, v21
	v_xor_b32_e32 v19, s12, v19
	v_cmp_gt_i32_e64 s12, 0, v21
	s_delay_alu instid0(VALU_DEP_3) | instskip(SKIP_1) | instid1(VALU_DEP_4)
	v_ashrrev_i32_e32 v20, 31, v20
	v_not_b32_e32 v21, v22
	v_and_b32_e32 v19, exec_lo, v19
	s_delay_alu instid0(VALU_DEP_3) | instskip(SKIP_1) | instid1(VALU_DEP_4)
	v_xor_b32_e32 v20, s12, v20
	v_cmp_gt_i32_e64 s12, 0, v22
	v_ashrrev_i32_e32 v21, 31, v21
	v_not_b32_e32 v22, v23
	s_delay_alu instid0(VALU_DEP_4) | instskip(SKIP_1) | instid1(VALU_DEP_4)
	v_and_b32_e32 v19, v19, v20
	v_lshlrev_b32_e32 v20, 27, v18
	v_xor_b32_e32 v21, s12, v21
	v_cmp_gt_i32_e64 s12, 0, v23
	v_ashrrev_i32_e32 v22, 31, v22
	s_delay_alu instid0(VALU_DEP_4) | instskip(NEXT) | instid1(VALU_DEP_4)
	v_not_b32_e32 v23, v20
	v_and_b32_e32 v19, v19, v21
	v_lshlrev_b32_e32 v21, 26, v18
	s_delay_alu instid0(VALU_DEP_4) | instskip(SKIP_2) | instid1(VALU_DEP_4)
	v_xor_b32_e32 v22, s12, v22
	v_cmp_gt_i32_e64 s12, 0, v20
	v_ashrrev_i32_e32 v20, 31, v23
	v_not_b32_e32 v23, v21
	s_delay_alu instid0(VALU_DEP_4) | instskip(SKIP_1) | instid1(VALU_DEP_4)
	v_and_b32_e32 v19, v19, v22
	v_lshlrev_b32_e32 v22, 25, v18
	v_xor_b32_e32 v20, s12, v20
	v_cmp_gt_i32_e64 s12, 0, v21
	v_ashrrev_i32_e32 v21, 31, v23
	v_lshlrev_b32_e32 v18, 24, v18
	v_not_b32_e32 v23, v22
	v_and_b32_e32 v19, v19, v20
	s_delay_alu instid0(VALU_DEP_4) | instskip(SKIP_1) | instid1(VALU_DEP_4)
	v_xor_b32_e32 v20, s12, v21
	v_cmp_gt_i32_e64 s12, 0, v22
	v_ashrrev_i32_e32 v21, 31, v23
	v_not_b32_e32 v22, v18
	s_delay_alu instid0(VALU_DEP_4) | instskip(NEXT) | instid1(VALU_DEP_3)
	v_and_b32_e32 v19, v19, v20
	v_xor_b32_e32 v20, s12, v21
	v_cmp_gt_i32_e64 s12, 0, v18
	s_delay_alu instid0(VALU_DEP_4) | instskip(NEXT) | instid1(VALU_DEP_3)
	v_ashrrev_i32_e32 v18, 31, v22
	v_and_b32_e32 v19, v19, v20
	s_delay_alu instid0(VALU_DEP_2) | instskip(NEXT) | instid1(VALU_DEP_1)
	v_xor_b32_e32 v18, s12, v18
	v_and_b32_e32 v18, v19, v18
	s_delay_alu instid0(VALU_DEP_1) | instskip(SKIP_1) | instid1(VALU_DEP_2)
	v_mbcnt_lo_u32_b32 v80, v18, 0
	v_cmp_ne_u32_e64 s13, 0, v18
	v_cmp_eq_u32_e64 s12, 0, v80
	s_delay_alu instid0(VALU_DEP_1) | instskip(NEXT) | instid1(SALU_CYCLE_1)
	s_and_b32 s13, s13, s12
	s_and_saveexec_b32 s12, s13
	s_cbranch_execz .LBB90_156
; %bb.155:                              ;   in Loop: Header=BB90_152 Depth=1
	s_waitcnt vmcnt(0) lgkmcnt(0)
	v_bcnt_u32_b32 v18, v18, v71
	flat_store_b32 v[54:55], v18
.LBB90_156:                             ;   in Loop: Header=BB90_152 Depth=1
	s_or_b32 exec_lo, exec_lo, s12
	; wave barrier
	s_waitcnt vmcnt(0) lgkmcnt(0)
	s_waitcnt_vscnt null, 0x0
	s_barrier
	buffer_gl0_inv
	s_clause 0x1
	flat_load_b128 v[22:25], v[4:5] offset:32
	flat_load_b128 v[18:21], v[28:29] offset:16
	s_waitcnt vmcnt(1) lgkmcnt(1)
	v_add_nc_u32_e32 v81, v23, v22
	s_delay_alu instid0(VALU_DEP_1) | instskip(SKIP_1) | instid1(VALU_DEP_1)
	v_add3_u32 v81, v81, v24, v25
	s_waitcnt vmcnt(0) lgkmcnt(0)
	v_add3_u32 v81, v81, v18, v19
	s_delay_alu instid0(VALU_DEP_1) | instskip(NEXT) | instid1(VALU_DEP_1)
	v_add3_u32 v21, v81, v20, v21
	v_mov_b32_dpp v81, v21 row_shr:1 row_mask:0xf bank_mask:0xf
	s_delay_alu instid0(VALU_DEP_1) | instskip(NEXT) | instid1(VALU_DEP_1)
	v_cndmask_b32_e64 v81, v81, 0, vcc_lo
	v_add_nc_u32_e32 v21, v81, v21
	s_delay_alu instid0(VALU_DEP_1) | instskip(NEXT) | instid1(VALU_DEP_1)
	v_mov_b32_dpp v81, v21 row_shr:2 row_mask:0xf bank_mask:0xf
	v_cndmask_b32_e64 v81, 0, v81, s0
	s_delay_alu instid0(VALU_DEP_1) | instskip(NEXT) | instid1(VALU_DEP_1)
	v_add_nc_u32_e32 v21, v21, v81
	v_mov_b32_dpp v81, v21 row_shr:4 row_mask:0xf bank_mask:0xf
	s_delay_alu instid0(VALU_DEP_1) | instskip(NEXT) | instid1(VALU_DEP_1)
	v_cndmask_b32_e64 v81, 0, v81, s1
	v_add_nc_u32_e32 v21, v21, v81
	s_delay_alu instid0(VALU_DEP_1) | instskip(NEXT) | instid1(VALU_DEP_1)
	v_mov_b32_dpp v81, v21 row_shr:8 row_mask:0xf bank_mask:0xf
	v_cndmask_b32_e64 v81, 0, v81, s2
	s_delay_alu instid0(VALU_DEP_1) | instskip(SKIP_3) | instid1(VALU_DEP_1)
	v_add_nc_u32_e32 v21, v21, v81
	ds_swizzle_b32 v81, v21 offset:swizzle(BROADCAST,32,15)
	s_waitcnt lgkmcnt(0)
	v_cndmask_b32_e64 v81, v81, 0, s3
	v_add_nc_u32_e32 v21, v21, v81
	s_and_saveexec_b32 s12, s4
	s_cbranch_execz .LBB90_158
; %bb.157:                              ;   in Loop: Header=BB90_152 Depth=1
	flat_store_b32 v[30:31], v21
.LBB90_158:                             ;   in Loop: Header=BB90_152 Depth=1
	s_or_b32 exec_lo, exec_lo, s12
	s_waitcnt lgkmcnt(0)
	s_waitcnt_vscnt null, 0x0
	s_barrier
	buffer_gl0_inv
	s_and_saveexec_b32 s12, s5
	s_cbranch_execz .LBB90_160
; %bb.159:                              ;   in Loop: Header=BB90_152 Depth=1
	flat_load_b32 v81, v[32:33]
	s_waitcnt vmcnt(0) lgkmcnt(0)
	v_mov_b32_dpp v82, v81 row_shr:1 row_mask:0xf bank_mask:0xf
	s_delay_alu instid0(VALU_DEP_1) | instskip(NEXT) | instid1(VALU_DEP_1)
	v_cndmask_b32_e64 v82, v82, 0, s9
	v_add_nc_u32_e32 v81, v82, v81
	s_delay_alu instid0(VALU_DEP_1) | instskip(NEXT) | instid1(VALU_DEP_1)
	v_mov_b32_dpp v82, v81 row_shr:2 row_mask:0xf bank_mask:0xf
	v_cndmask_b32_e64 v82, 0, v82, s10
	s_delay_alu instid0(VALU_DEP_1) | instskip(NEXT) | instid1(VALU_DEP_1)
	v_add_nc_u32_e32 v81, v81, v82
	v_mov_b32_dpp v82, v81 row_shr:4 row_mask:0xf bank_mask:0xf
	s_delay_alu instid0(VALU_DEP_1) | instskip(NEXT) | instid1(VALU_DEP_1)
	v_cndmask_b32_e64 v82, 0, v82, s11
	v_add_nc_u32_e32 v81, v81, v82
	flat_store_b32 v[32:33], v81
.LBB90_160:                             ;   in Loop: Header=BB90_152 Depth=1
	s_or_b32 exec_lo, exec_lo, s12
	v_mov_b32_e32 v81, 0
	s_waitcnt lgkmcnt(0)
	s_waitcnt_vscnt null, 0x0
	s_barrier
	buffer_gl0_inv
	s_and_saveexec_b32 s12, s6
	s_cbranch_execz .LBB90_162
; %bb.161:                              ;   in Loop: Header=BB90_152 Depth=1
	flat_load_b32 v81, v[36:37]
.LBB90_162:                             ;   in Loop: Header=BB90_152 Depth=1
	s_or_b32 exec_lo, exec_lo, s12
	s_waitcnt vmcnt(0) lgkmcnt(0)
	v_add_nc_u32_e32 v21, v81, v21
	v_add_nc_u32_e32 v10, 8, v10
	s_mov_b32 s14, -1
	ds_bpermute_b32 v21, v67, v21
	s_waitcnt lgkmcnt(0)
	v_cndmask_b32_e64 v21, v21, v81, s7
	s_delay_alu instid0(VALU_DEP_1) | instskip(NEXT) | instid1(VALU_DEP_1)
	v_cndmask_b32_e64 v21, v21, 0, s8
	v_add_nc_u32_e32 v22, v21, v22
	s_delay_alu instid0(VALU_DEP_1) | instskip(NEXT) | instid1(VALU_DEP_1)
	v_add_nc_u32_e32 v23, v22, v23
	v_add_nc_u32_e32 v24, v23, v24
	s_delay_alu instid0(VALU_DEP_1) | instskip(NEXT) | instid1(VALU_DEP_1)
	v_add_nc_u32_e32 v81, v24, v25
	;; [unrolled: 3-line block ×3, first 2 shown]
	v_add_nc_u32_e32 v84, v83, v20
	s_clause 0x1
	flat_store_b128 v[4:5], v[21:24] offset:32
	flat_store_b128 v[28:29], v[81:84] offset:16
	s_waitcnt lgkmcnt(0)
	s_waitcnt_vscnt null, 0x0
	s_barrier
	buffer_gl0_inv
	s_clause 0x1
	flat_load_b32 v18, v[52:53]
	flat_load_b32 v19, v[54:55]
	v_mov_b32_e32 v54, v66
	s_waitcnt vmcnt(0) lgkmcnt(0)
	s_waitcnt_vscnt null, 0x0
                                        ; implicit-def: $vgpr20_vgpr21
	s_waitcnt vmcnt(1) lgkmcnt(1)
	v_add_nc_u32_e32 v52, v18, v70
	s_waitcnt vmcnt(0) lgkmcnt(0)
	v_add3_u32 v53, v80, v71, v19
                                        ; implicit-def: $vgpr18_vgpr19
	s_delay_alu instid0(VALU_DEP_2) | instskip(NEXT) | instid1(VALU_DEP_1)
	v_add_co_u32 v22, s13, v12, v52
	v_add_co_ci_u32_e64 v23, s13, 0, v13, s13
	s_delay_alu instid0(VALU_DEP_3) | instskip(NEXT) | instid1(VALU_DEP_1)
	v_add_co_u32 v24, s13, v12, v53
	v_add_co_ci_u32_e64 v25, s13, 0, v13, s13
	s_mov_b32 s13, exec_lo
	v_cmpx_lt_u32_e64 v10, v11
	s_cbranch_execz .LBB90_151
; %bb.163:                              ;   in Loop: Header=BB90_152 Depth=1
	s_barrier
	buffer_gl0_inv
	s_clause 0x1
	flat_store_b8 v[22:23], v66
	flat_store_b8 v[24:25], v69
	s_waitcnt lgkmcnt(0)
	s_waitcnt_vscnt null, 0x0
	s_barrier
	buffer_gl0_inv
	s_clause 0x1
	flat_load_u8 v55, v[34:35] offset:32
	flat_load_u8 v66, v[34:35]
	v_mad_u64_u32 v[18:19], null, v52, 7, v[22:23]
	v_mad_u64_u32 v[20:21], null, v53, 7, v[24:25]
	s_waitcnt vmcnt(0) lgkmcnt(0)
	s_barrier
	buffer_gl0_inv
	s_clause 0x1
	flat_store_b64 v[18:19], v[50:51]
	flat_store_b64 v[20:21], v[48:49]
	s_waitcnt lgkmcnt(0)
	s_waitcnt_vscnt null, 0x0
	s_barrier
	buffer_gl0_inv
	s_clause 0x1
	flat_load_b64 v[18:19], v[38:39]
	flat_load_b64 v[20:21], v[38:39] offset:256
	v_add_nc_u32_e32 v68, -8, v68
	s_xor_b32 s14, exec_lo, -1
	s_waitcnt vmcnt(0) lgkmcnt(0)
	s_barrier
	buffer_gl0_inv
	v_lshlrev_b16 v55, 8, v55
	s_delay_alu instid0(VALU_DEP_1) | instskip(NEXT) | instid1(VALU_DEP_1)
	v_or_b32_e32 v55, v66, v55
	v_and_b32_e32 v66, 0xffff, v55
	s_branch .LBB90_151
.LBB90_164:
	flat_load_b64 v[18:19], v[4:5]
	s_or_b32 exec_lo, exec_lo, s3
                                        ; implicit-def: $vgpr20_vgpr21
	s_and_saveexec_b32 s3, s0
	s_cbranch_execz .LBB90_91
.LBB90_165:
	flat_load_b64 v[20:21], v[4:5] offset:256
	s_or_b32 exec_lo, exec_lo, s3
                                        ; implicit-def: $vgpr22_vgpr23
	s_and_saveexec_b32 s0, s1
	s_cbranch_execz .LBB90_92
.LBB90_166:
	flat_load_b64 v[22:23], v[4:5] offset:512
	s_or_b32 exec_lo, exec_lo, s0
                                        ; implicit-def: $vgpr24_vgpr25
	s_and_saveexec_b32 s0, s2
	s_cbranch_execnz .LBB90_93
	s_branch .LBB90_94
.LBB90_167:
	flat_store_b64 v[0:1], v[13:14]
	s_or_b32 exec_lo, exec_lo, s3
	s_and_saveexec_b32 s3, s0
	s_cbranch_execz .LBB90_136
.LBB90_168:
	flat_store_b64 v[0:1], v[11:12] offset:2048
	s_or_b32 exec_lo, exec_lo, s3
	s_and_saveexec_b32 s0, s2
	s_cbranch_execz .LBB90_137
.LBB90_169:
	v_add_co_u32 v2, vcc_lo, 0x1000, v0
	v_add_co_ci_u32_e32 v3, vcc_lo, 0, v1, vcc_lo
	flat_store_b64 v[2:3], v[9:10]
	s_or_b32 exec_lo, exec_lo, s0
	s_and_saveexec_b32 s0, s1
	s_cbranch_execnz .LBB90_138
	s_branch .LBB90_139
.LBB90_170:
	s_or_b32 exec_lo, exec_lo, s16
	v_add_co_u32 v4, vcc_lo, v12, v26
	v_add_co_ci_u32_e32 v5, vcc_lo, 0, v13, vcc_lo
	v_mad_u64_u32 v[9:10], null, v52, 7, v[22:23]
	v_mad_u64_u32 v[13:14], null, v53, 7, v[24:25]
	s_delay_alu instid0(VALU_DEP_3)
	v_mad_u64_u32 v[15:16], null, v26, 7, v[4:5]
	s_barrier
	buffer_gl0_inv
	s_clause 0x1
	flat_store_b8 v[22:23], v54
	flat_store_b8 v[24:25], v69
	s_waitcnt lgkmcnt(0)
	s_waitcnt_vscnt null, 0x0
	s_barrier
	buffer_gl0_inv
	s_clause 0x1
	flat_load_u8 v12, v[4:5]
	flat_load_u8 v11, v[4:5] offset:256
	s_waitcnt vmcnt(0) lgkmcnt(0)
	s_barrier
	buffer_gl0_inv
	s_clause 0x1
	flat_store_b64 v[9:10], v[50:51]
	flat_store_b64 v[13:14], v[48:49]
	s_waitcnt lgkmcnt(0)
	s_waitcnt_vscnt null, 0x0
	s_barrier
	buffer_gl0_inv
	s_clause 0x1
	flat_load_b64 v[9:10], v[15:16]
	flat_load_b64 v[4:5], v[15:16] offset:2048
	v_add_co_u32 v2, vcc_lo, v2, v8
	v_add_co_ci_u32_e32 v3, vcc_lo, 0, v3, vcc_lo
	v_mov_b32_e32 v28, 0
	s_delay_alu instid0(VALU_DEP_3) | instskip(NEXT) | instid1(VALU_DEP_3)
	v_add_co_u32 v2, vcc_lo, v2, v27
	v_add_co_ci_u32_e32 v3, vcc_lo, 0, v3, vcc_lo
	v_cmp_lt_u32_e32 vcc_lo, v27, v134
	s_waitcnt vmcnt(0) lgkmcnt(0)
	s_barrier
	buffer_gl0_inv
	s_and_saveexec_b32 s0, vcc_lo
	s_cbranch_execz .LBB90_172
; %bb.171:
	v_xor_b32_e32 v8, -1, v12
	flat_store_b8 v[2:3], v8
.LBB90_172:
	s_or_b32 exec_lo, exec_lo, s0
	v_add_nc_u32_e32 v8, 0x100, v27
	s_delay_alu instid0(VALU_DEP_1) | instskip(NEXT) | instid1(VALU_DEP_1)
	v_cmp_lt_u32_e64 s0, v8, v134
	s_and_saveexec_b32 s1, s0
	s_cbranch_execz .LBB90_174
; %bb.173:
	v_xor_b32_e32 v8, -1, v11
	flat_store_b8 v[2:3], v8 offset:256
.LBB90_174:
	s_or_b32 exec_lo, exec_lo, s1
	v_lshlrev_b64 v[2:3], 3, v[27:28]
	v_add_co_u32 v0, s1, v6, v0
	s_delay_alu instid0(VALU_DEP_1) | instskip(NEXT) | instid1(VALU_DEP_2)
	v_add_co_ci_u32_e64 v1, s1, v7, v1, s1
	v_add_co_u32 v0, s1, v0, v2
	s_delay_alu instid0(VALU_DEP_1)
	v_add_co_ci_u32_e64 v1, s1, v1, v3, s1
	s_and_saveexec_b32 s1, vcc_lo
	s_cbranch_execz .LBB90_176
; %bb.175:
	flat_store_b64 v[0:1], v[9:10]
.LBB90_176:
	s_or_b32 exec_lo, exec_lo, s1
	s_and_saveexec_b32 s1, s0
	s_cbranch_execz .LBB90_178
; %bb.177:
	flat_store_b64 v[0:1], v[4:5] offset:2048
.LBB90_178:
	s_or_b32 exec_lo, exec_lo, s1
                                        ; implicit-def: $vgpr27_vgpr28
                                        ; implicit-def: $vgpr8_vgpr9
                                        ; implicit-def: $vgpr134
                                        ; implicit-def: $vgpr0
                                        ; implicit-def: $vgpr1
                                        ; implicit-def: $vgpr2
                                        ; implicit-def: $vgpr3
                                        ; implicit-def: $vgpr4
                                        ; implicit-def: $vgpr5
                                        ; implicit-def: $vgpr6
                                        ; implicit-def: $vgpr7
                                        ; implicit-def: $vgpr10
                                        ; implicit-def: $vgpr11
                                        ; implicit-def: $vgpr12
                                        ; implicit-def: $vgpr13
                                        ; implicit-def: $vgpr26
                                        ; implicit-def: $vgpr34
.LBB90_179:
	s_and_not1_saveexec_b32 s0, s15
	s_cbranch_execz .LBB90_199
; %bb.180:
	s_delay_alu instid0(VALU_DEP_2) | instskip(SKIP_1) | instid1(VALU_DEP_2)
	v_and_b32_e32 v14, 0xffffffe0, v27
	v_mov_b32_e32 v22, 0xff
	v_or_b32_e32 v15, v34, v14
	s_delay_alu instid0(VALU_DEP_1)
	v_cmp_lt_u32_e32 vcc_lo, v15, v134
	s_and_saveexec_b32 s1, vcc_lo
	s_cbranch_execz .LBB90_182
; %bb.181:
	v_add_co_u32 v0, s0, v0, v8
	s_delay_alu instid0(VALU_DEP_1) | instskip(NEXT) | instid1(VALU_DEP_2)
	v_add_co_ci_u32_e64 v1, s0, 0, v1, s0
	v_add_co_u32 v0, s0, v0, v34
	s_delay_alu instid0(VALU_DEP_1) | instskip(NEXT) | instid1(VALU_DEP_2)
	v_add_co_ci_u32_e64 v1, s0, 0, v1, s0
	v_add_co_u32 v0, s0, v0, v14
	s_delay_alu instid0(VALU_DEP_1)
	v_add_co_ci_u32_e64 v1, s0, 0, v1, s0
	flat_load_u8 v0, v[0:1]
	s_waitcnt vmcnt(0) lgkmcnt(0)
	v_xor_b32_e32 v22, -1, v0
.LBB90_182:
	s_or_b32 exec_lo, exec_lo, s1
	v_lshlrev_b64 v[0:1], 3, v[8:9]
                                        ; implicit-def: $vgpr18_vgpr19
	s_and_saveexec_b32 s0, vcc_lo
	s_cbranch_execz .LBB90_184
; %bb.183:
	v_mov_b32_e32 v15, 0
	v_lshlrev_b32_e32 v9, 3, v34
	s_delay_alu instid0(VALU_DEP_3) | instskip(SKIP_1) | instid1(VALU_DEP_4)
	v_add_co_u32 v16, vcc_lo, v4, v0
	v_add_co_ci_u32_e32 v17, vcc_lo, v5, v1, vcc_lo
	v_lshlrev_b64 v[4:5], 3, v[14:15]
	s_delay_alu instid0(VALU_DEP_3) | instskip(NEXT) | instid1(VALU_DEP_3)
	v_add_co_u32 v9, vcc_lo, v16, v9
	v_add_co_ci_u32_e32 v14, vcc_lo, 0, v17, vcc_lo
	s_delay_alu instid0(VALU_DEP_2) | instskip(NEXT) | instid1(VALU_DEP_2)
	v_add_co_u32 v4, vcc_lo, v9, v4
	v_add_co_ci_u32_e32 v5, vcc_lo, v14, v5, vcc_lo
	flat_load_b64 v[18:19], v[4:5]
.LBB90_184:
	s_or_b32 exec_lo, exec_lo, s0
	v_dual_mov_b32 v15, 0 :: v_dual_lshlrev_b32 v14, 5, v26
	s_mov_b32 s16, 0
	v_add_co_u32 v9, vcc_lo, v12, 32
	s_mov_b32 s17, s16
	s_mov_b32 s18, s16
	;; [unrolled: 1-line block ×3, first 2 shown]
	v_and_b32_e32 v17, 0x3e0, v26
	v_add_co_ci_u32_e32 v52, vcc_lo, 0, v13, vcc_lo
	v_add_co_u32 v4, vcc_lo, v12, v14
	v_add_nc_u32_e32 v21, -1, v34
	v_add_co_ci_u32_e32 v5, vcc_lo, 0, v13, vcc_lo
	v_add_co_u32 v28, vcc_lo, v9, v14
	v_min_u32_e32 v14, 0xe0, v17
	v_and_b32_e32 v20, 16, v34
	v_and_b32_e32 v16, 15, v34
	v_cmp_gt_i32_e64 s4, 0, v21
	s_getpc_b64 s[0:1]
	s_add_u32 s0, s0, _ZN7rocprim17ROCPRIM_400000_NS16block_radix_sortIhLj256ELj1ElLj1ELj1ELj8ELNS0_26block_radix_rank_algorithmE2ELNS0_18block_padding_hintE2ELNS0_4arch9wavefront6targetE0EE19radix_bits_per_passE@rel32@lo+4
	s_addc_u32 s1, s1, _ZN7rocprim17ROCPRIM_400000_NS16block_radix_sortIhLj256ELj1ElLj1ELj1ELj8ELNS0_26block_radix_rank_algorithmE2ELNS0_18block_padding_hintE2ELNS0_4arch9wavefront6targetE0EE19radix_bits_per_passE@rel32@hi+12
	v_or_b32_e32 v14, 31, v14
	v_cmp_eq_u32_e64 s3, 0, v20
	v_lshrrev_b32_e32 v20, 5, v26
	v_add_co_ci_u32_e32 v29, vcc_lo, 0, v52, vcc_lo
	s_load_b32 s15, s[0:1], 0x0
	v_cmp_eq_u32_e32 vcc_lo, 0, v16
	v_cmp_lt_u32_e64 s0, 1, v16
	v_cmp_lt_u32_e64 s1, 3, v16
	;; [unrolled: 1-line block ×3, first 2 shown]
	v_cndmask_b32_e64 v16, v21, v34, s4
	v_cmp_eq_u32_e64 s4, v14, v26
	v_lshlrev_b32_e32 v14, 2, v20
	v_cmp_eq_u32_e64 s7, 0, v34
	v_and_b32_e32 v21, 7, v34
	v_lshlrev_b32_e32 v54, 2, v16
	v_lshlrev_b32_e32 v16, 2, v26
	v_add_co_u32 v30, s9, v12, v14
	s_delay_alu instid0(VALU_DEP_1) | instskip(NEXT) | instid1(VALU_DEP_3)
	v_add_co_ci_u32_e64 v31, s9, 0, v13, s9
	v_add_co_u32 v32, s9, v12, v16
	v_or_b32_e32 v16, v34, v17
	v_add_nc_u32_e32 v14, -1, v20
	v_add_co_ci_u32_e64 v33, s9, 0, v13, s9
	v_lshrrev_b32_e32 v53, 5, v27
	s_delay_alu instid0(VALU_DEP_4) | instskip(NEXT) | instid1(VALU_DEP_4)
	v_add_co_u32 v34, s12, v12, v16
	v_lshlrev_b64 v[14:15], 2, v[14:15]
	v_add_co_ci_u32_e64 v35, s12, 0, v13, s12
	v_cmp_gt_u32_e64 s5, 8, v26
	v_cmp_lt_u32_e64 s6, 31, v26
	v_cmp_eq_u32_e64 s8, 0, v26
	v_add_co_u32 v36, s12, v12, v14
	v_mad_u64_u32 v[38:39], null, v16, 7, v[34:35]
	v_add_co_ci_u32_e64 v37, s12, v13, v15, s12
	v_dual_mov_b32 v14, s16 :: v_dual_mov_b32 v15, s17
	v_cmp_eq_u32_e64 s9, 0, v21
	v_cmp_lt_u32_e64 s10, 1, v21
	v_cmp_lt_u32_e64 s11, 3, v21
	v_sub_nc_u32_e32 v55, v11, v10
	v_dual_mov_b32 v16, s18 :: v_dual_mov_b32 v17, s19
	s_waitcnt vmcnt(0) lgkmcnt(0)
	s_waitcnt_vscnt null, 0x0
	s_barrier
	buffer_gl0_inv
	s_branch .LBB90_186
.LBB90_185:                             ;   in Loop: Header=BB90_186 Depth=1
	s_or_b32 exec_lo, exec_lo, s13
	s_delay_alu instid0(SALU_CYCLE_1) | instskip(NEXT) | instid1(SALU_CYCLE_1)
	s_and_b32 s12, exec_lo, s14
	s_or_b32 s16, s12, s16
	s_delay_alu instid0(SALU_CYCLE_1)
	s_and_not1_b32 exec_lo, exec_lo, s16
	s_cbranch_execz .LBB90_196
.LBB90_186:                             ; =>This Inner Loop Header: Depth=1
	v_mov_b32_e32 v64, v22
	v_min_u32_e32 v21, s15, v55
	s_clause 0x1
	flat_store_b128 v[4:5], v[14:17] offset:32
	flat_store_b128 v[28:29], v[14:17] offset:16
	s_waitcnt lgkmcnt(0)
	s_waitcnt_vscnt null, 0x0
	s_barrier
	v_and_b32_e32 v20, 0xff, v64
	buffer_gl0_inv
	; wave barrier
	v_lshrrev_b32_e32 v20, v10, v20
	s_delay_alu instid0(VALU_DEP_1) | instskip(NEXT) | instid1(VALU_DEP_1)
	v_bfe_u32 v21, v20, 0, v21
	v_and_b32_e32 v20, 1, v21
	v_lshlrev_b32_e32 v22, 30, v21
	v_lshlrev_b32_e32 v23, 29, v21
	;; [unrolled: 1-line block ×4, first 2 shown]
	v_add_co_u32 v20, s12, v20, -1
	s_delay_alu instid0(VALU_DEP_1)
	v_cndmask_b32_e64 v25, 0, 1, s12
	v_not_b32_e32 v51, v22
	v_cmp_gt_i32_e64 s13, 0, v22
	v_not_b32_e32 v22, v23
	v_lshlrev_b32_e32 v49, 26, v21
	v_cmp_ne_u32_e64 s12, 0, v25
	v_ashrrev_i32_e32 v51, 31, v51
	v_lshlrev_b32_e32 v50, 25, v21
	v_ashrrev_i32_e32 v22, 31, v22
	v_lshlrev_b32_e32 v25, 24, v21
	v_xor_b32_e32 v20, s12, v20
	v_cmp_gt_i32_e64 s12, 0, v23
	v_not_b32_e32 v23, v24
	v_xor_b32_e32 v51, s13, v51
	v_cmp_gt_i32_e64 s13, 0, v24
	v_and_b32_e32 v20, exec_lo, v20
	v_not_b32_e32 v24, v48
	v_ashrrev_i32_e32 v23, 31, v23
	v_xor_b32_e32 v22, s12, v22
	v_cmp_gt_i32_e64 s12, 0, v48
	v_and_b32_e32 v20, v20, v51
	v_not_b32_e32 v48, v49
	v_ashrrev_i32_e32 v24, 31, v24
	v_xor_b32_e32 v23, s13, v23
	v_cmp_gt_i32_e64 s13, 0, v49
	v_and_b32_e32 v20, v20, v22
	;; [unrolled: 5-line block ×4, first 2 shown]
	v_ashrrev_i32_e32 v23, 31, v23
	v_xor_b32_e32 v22, s12, v22
	s_delay_alu instid0(VALU_DEP_3) | instskip(NEXT) | instid1(VALU_DEP_3)
	v_and_b32_e32 v20, v20, v48
	v_xor_b32_e32 v23, s13, v23
	v_dual_mov_b32 v49, v19 :: v_dual_mov_b32 v48, v18
	v_lshlrev_b32_e32 v18, 3, v21
	s_delay_alu instid0(VALU_DEP_4) | instskip(NEXT) | instid1(VALU_DEP_2)
	v_and_b32_e32 v20, v20, v22
	v_add_lshl_u32 v18, v18, v53, 2
	s_delay_alu instid0(VALU_DEP_2) | instskip(NEXT) | instid1(VALU_DEP_2)
	v_and_b32_e32 v20, v20, v23
	v_add_co_u32 v50, s14, v9, v18
	s_delay_alu instid0(VALU_DEP_2) | instskip(SKIP_2) | instid1(VALU_DEP_3)
	v_mbcnt_lo_u32_b32 v65, v20, 0
	v_cmp_ne_u32_e64 s12, 0, v20
	v_add_co_ci_u32_e64 v51, s14, 0, v52, s14
	v_cmp_eq_u32_e64 s13, 0, v65
	s_delay_alu instid0(VALU_DEP_1) | instskip(NEXT) | instid1(SALU_CYCLE_1)
	s_and_b32 s13, s12, s13
	s_and_saveexec_b32 s12, s13
	s_cbranch_execz .LBB90_188
; %bb.187:                              ;   in Loop: Header=BB90_186 Depth=1
	v_bcnt_u32_b32 v18, v20, 0
	flat_store_b32 v[50:51], v18
.LBB90_188:                             ;   in Loop: Header=BB90_186 Depth=1
	s_or_b32 exec_lo, exec_lo, s12
	; wave barrier
	s_waitcnt lgkmcnt(0)
	s_waitcnt_vscnt null, 0x0
	s_barrier
	buffer_gl0_inv
	s_clause 0x1
	flat_load_b128 v[22:25], v[4:5] offset:32
	flat_load_b128 v[18:21], v[28:29] offset:16
	s_waitcnt vmcnt(1) lgkmcnt(1)
	v_add_nc_u32_e32 v66, v23, v22
	s_delay_alu instid0(VALU_DEP_1) | instskip(SKIP_1) | instid1(VALU_DEP_1)
	v_add3_u32 v66, v66, v24, v25
	s_waitcnt vmcnt(0) lgkmcnt(0)
	v_add3_u32 v66, v66, v18, v19
	s_delay_alu instid0(VALU_DEP_1) | instskip(NEXT) | instid1(VALU_DEP_1)
	v_add3_u32 v21, v66, v20, v21
	v_mov_b32_dpp v66, v21 row_shr:1 row_mask:0xf bank_mask:0xf
	s_delay_alu instid0(VALU_DEP_1) | instskip(NEXT) | instid1(VALU_DEP_1)
	v_cndmask_b32_e64 v66, v66, 0, vcc_lo
	v_add_nc_u32_e32 v21, v66, v21
	s_delay_alu instid0(VALU_DEP_1) | instskip(NEXT) | instid1(VALU_DEP_1)
	v_mov_b32_dpp v66, v21 row_shr:2 row_mask:0xf bank_mask:0xf
	v_cndmask_b32_e64 v66, 0, v66, s0
	s_delay_alu instid0(VALU_DEP_1) | instskip(NEXT) | instid1(VALU_DEP_1)
	v_add_nc_u32_e32 v21, v21, v66
	v_mov_b32_dpp v66, v21 row_shr:4 row_mask:0xf bank_mask:0xf
	s_delay_alu instid0(VALU_DEP_1) | instskip(NEXT) | instid1(VALU_DEP_1)
	v_cndmask_b32_e64 v66, 0, v66, s1
	v_add_nc_u32_e32 v21, v21, v66
	s_delay_alu instid0(VALU_DEP_1) | instskip(NEXT) | instid1(VALU_DEP_1)
	v_mov_b32_dpp v66, v21 row_shr:8 row_mask:0xf bank_mask:0xf
	v_cndmask_b32_e64 v66, 0, v66, s2
	s_delay_alu instid0(VALU_DEP_1) | instskip(SKIP_3) | instid1(VALU_DEP_1)
	v_add_nc_u32_e32 v21, v21, v66
	ds_swizzle_b32 v66, v21 offset:swizzle(BROADCAST,32,15)
	s_waitcnt lgkmcnt(0)
	v_cndmask_b32_e64 v66, v66, 0, s3
	v_add_nc_u32_e32 v21, v21, v66
	s_and_saveexec_b32 s12, s4
	s_cbranch_execz .LBB90_190
; %bb.189:                              ;   in Loop: Header=BB90_186 Depth=1
	flat_store_b32 v[30:31], v21
.LBB90_190:                             ;   in Loop: Header=BB90_186 Depth=1
	s_or_b32 exec_lo, exec_lo, s12
	s_waitcnt lgkmcnt(0)
	s_waitcnt_vscnt null, 0x0
	s_barrier
	buffer_gl0_inv
	s_and_saveexec_b32 s12, s5
	s_cbranch_execz .LBB90_192
; %bb.191:                              ;   in Loop: Header=BB90_186 Depth=1
	flat_load_b32 v66, v[32:33]
	s_waitcnt vmcnt(0) lgkmcnt(0)
	v_mov_b32_dpp v67, v66 row_shr:1 row_mask:0xf bank_mask:0xf
	s_delay_alu instid0(VALU_DEP_1) | instskip(NEXT) | instid1(VALU_DEP_1)
	v_cndmask_b32_e64 v67, v67, 0, s9
	v_add_nc_u32_e32 v66, v67, v66
	s_delay_alu instid0(VALU_DEP_1) | instskip(NEXT) | instid1(VALU_DEP_1)
	v_mov_b32_dpp v67, v66 row_shr:2 row_mask:0xf bank_mask:0xf
	v_cndmask_b32_e64 v67, 0, v67, s10
	s_delay_alu instid0(VALU_DEP_1) | instskip(NEXT) | instid1(VALU_DEP_1)
	v_add_nc_u32_e32 v66, v66, v67
	v_mov_b32_dpp v67, v66 row_shr:4 row_mask:0xf bank_mask:0xf
	s_delay_alu instid0(VALU_DEP_1) | instskip(NEXT) | instid1(VALU_DEP_1)
	v_cndmask_b32_e64 v67, 0, v67, s11
	v_add_nc_u32_e32 v66, v66, v67
	flat_store_b32 v[32:33], v66
.LBB90_192:                             ;   in Loop: Header=BB90_186 Depth=1
	s_or_b32 exec_lo, exec_lo, s12
	v_mov_b32_e32 v66, 0
	s_waitcnt lgkmcnt(0)
	s_waitcnt_vscnt null, 0x0
	s_barrier
	buffer_gl0_inv
	s_and_saveexec_b32 s12, s6
	s_cbranch_execz .LBB90_194
; %bb.193:                              ;   in Loop: Header=BB90_186 Depth=1
	flat_load_b32 v66, v[36:37]
.LBB90_194:                             ;   in Loop: Header=BB90_186 Depth=1
	s_or_b32 exec_lo, exec_lo, s12
	s_waitcnt vmcnt(0) lgkmcnt(0)
	v_add_nc_u32_e32 v21, v66, v21
	v_add_nc_u32_e32 v10, 8, v10
	s_mov_b32 s14, -1
	ds_bpermute_b32 v21, v54, v21
	s_waitcnt lgkmcnt(0)
	v_cndmask_b32_e64 v21, v21, v66, s7
	s_delay_alu instid0(VALU_DEP_1) | instskip(NEXT) | instid1(VALU_DEP_1)
	v_cndmask_b32_e64 v21, v21, 0, s8
	v_add_nc_u32_e32 v22, v21, v22
	s_delay_alu instid0(VALU_DEP_1) | instskip(NEXT) | instid1(VALU_DEP_1)
	v_add_nc_u32_e32 v23, v22, v23
	v_add_nc_u32_e32 v24, v23, v24
	s_delay_alu instid0(VALU_DEP_1) | instskip(NEXT) | instid1(VALU_DEP_1)
	v_add_nc_u32_e32 v66, v24, v25
	;; [unrolled: 3-line block ×3, first 2 shown]
	v_add_nc_u32_e32 v69, v68, v20
	s_clause 0x1
	flat_store_b128 v[4:5], v[21:24] offset:32
	flat_store_b128 v[28:29], v[66:69] offset:16
	s_waitcnt lgkmcnt(0)
	s_waitcnt_vscnt null, 0x0
	s_barrier
	buffer_gl0_inv
	flat_load_b32 v18, v[50:51]
	s_waitcnt vmcnt(0) lgkmcnt(0)
	s_waitcnt_vscnt null, 0x0
                                        ; implicit-def: $vgpr22
	s_waitcnt vmcnt(0) lgkmcnt(0)
	v_add_nc_u32_e32 v23, v18, v65
                                        ; implicit-def: $vgpr18_vgpr19
	s_delay_alu instid0(VALU_DEP_1) | instskip(NEXT) | instid1(VALU_DEP_1)
	v_add_co_u32 v20, s13, v12, v23
	v_add_co_ci_u32_e64 v21, s13, 0, v13, s13
	s_mov_b32 s13, exec_lo
	v_cmpx_lt_u32_e64 v10, v11
	s_cbranch_execz .LBB90_185
; %bb.195:                              ;   in Loop: Header=BB90_186 Depth=1
	s_delay_alu instid0(VALU_DEP_2)
	v_mad_u64_u32 v[18:19], null, v23, 7, v[20:21]
	s_barrier
	buffer_gl0_inv
	flat_store_b8 v[20:21], v64
	s_waitcnt lgkmcnt(0)
	s_waitcnt_vscnt null, 0x0
	s_barrier
	buffer_gl0_inv
	flat_load_u8 v22, v[34:35]
	s_waitcnt vmcnt(0) lgkmcnt(0)
	s_barrier
	buffer_gl0_inv
	flat_store_b64 v[18:19], v[48:49]
	s_waitcnt lgkmcnt(0)
	s_waitcnt_vscnt null, 0x0
	s_barrier
	buffer_gl0_inv
	flat_load_b64 v[18:19], v[38:39]
	v_add_nc_u32_e32 v55, -8, v55
	s_xor_b32 s14, exec_lo, -1
	s_waitcnt vmcnt(0) lgkmcnt(0)
	s_barrier
	buffer_gl0_inv
	s_branch .LBB90_185
.LBB90_196:
	s_or_b32 exec_lo, exec_lo, s16
	v_add_co_u32 v4, vcc_lo, v12, v26
	v_add_co_ci_u32_e32 v5, vcc_lo, 0, v13, vcc_lo
	v_mad_u64_u32 v[10:11], null, v23, 7, v[20:21]
	s_barrier
	s_delay_alu instid0(VALU_DEP_2)
	v_mad_u64_u32 v[12:13], null, v26, 7, v[4:5]
	buffer_gl0_inv
	flat_store_b8 v[20:21], v64
	s_waitcnt lgkmcnt(0)
	s_waitcnt_vscnt null, 0x0
	s_barrier
	buffer_gl0_inv
	flat_load_u8 v9, v[4:5]
	s_waitcnt vmcnt(0) lgkmcnt(0)
	s_barrier
	buffer_gl0_inv
	flat_store_b64 v[10:11], v[48:49]
	s_waitcnt lgkmcnt(0)
	s_waitcnt_vscnt null, 0x0
	s_barrier
	buffer_gl0_inv
	flat_load_b64 v[4:5], v[12:13]
	s_mov_b32 s0, exec_lo
	s_waitcnt vmcnt(0) lgkmcnt(0)
	s_barrier
	buffer_gl0_inv
	v_cmpx_lt_u32_e64 v27, v134
	s_cbranch_execz .LBB90_198
; %bb.197:
	v_mov_b32_e32 v28, 0
	v_add_co_u32 v6, vcc_lo, v6, v0
	v_add_co_ci_u32_e32 v7, vcc_lo, v7, v1, vcc_lo
	v_add_co_u32 v2, vcc_lo, v2, v8
	s_delay_alu instid0(VALU_DEP_4) | instskip(SKIP_1) | instid1(VALU_DEP_3)
	v_lshlrev_b64 v[0:1], 3, v[27:28]
	v_add_co_ci_u32_e32 v3, vcc_lo, 0, v3, vcc_lo
	v_add_co_u32 v2, vcc_lo, v2, v27
	v_xor_b32_e32 v8, -1, v9
	s_delay_alu instid0(VALU_DEP_3)
	v_add_co_ci_u32_e32 v3, vcc_lo, 0, v3, vcc_lo
	v_add_co_u32 v0, vcc_lo, v6, v0
	v_add_co_ci_u32_e32 v1, vcc_lo, v7, v1, vcc_lo
	flat_store_b8 v[2:3], v8
	flat_store_b64 v[0:1], v[4:5]
.LBB90_198:
	s_or_b32 exec_lo, exec_lo, s0
.LBB90_199:
	s_delay_alu instid0(SALU_CYCLE_1)
	s_or_b32 exec_lo, exec_lo, s24
	s_waitcnt lgkmcnt(0)
	s_setpc_b64 s[30:31]
.Lfunc_end90:
	.size	_ZN7rocprim17ROCPRIM_400000_NS6detail40segmented_radix_sort_single_block_helperIhlLj256ELj8ELb1EE4sortIPKhPhPKlPlEEbT_T0_T1_T2_jjjjRNS3_12storage_typeE, .Lfunc_end90-_ZN7rocprim17ROCPRIM_400000_NS6detail40segmented_radix_sort_single_block_helperIhlLj256ELj8ELb1EE4sortIPKhPhPKlPlEEbT_T0_T1_T2_jjjjRNS3_12storage_typeE
                                        ; -- End function
	.section	.AMDGPU.csdata,"",@progbits
; Function info:
; codeLenInByte = 17408
; NumSgprs: 34
; NumVgprs: 183
; ScratchSize: 0
; MemoryBound: 1
	.section	.text._ZN7rocprim17ROCPRIM_400000_NS6detail17trampoline_kernelINS0_14default_configENS1_36segmented_radix_sort_config_selectorIhlEEZNS1_25segmented_radix_sort_implIS3_Lb1EPKhPhPKlPlN2at6native12_GLOBAL__N_18offset_tEEE10hipError_tPvRmT1_PNSt15iterator_traitsISK_E10value_typeET2_T3_PNSL_ISQ_E10value_typeET4_jRbjT5_SW_jjP12ihipStream_tbEUlT_E_NS1_11comp_targetILNS1_3genE9ELNS1_11target_archE1100ELNS1_3gpuE3ELNS1_3repE0EEENS1_30default_config_static_selectorELNS0_4arch9wavefront6targetE0EEEvSK_,"axG",@progbits,_ZN7rocprim17ROCPRIM_400000_NS6detail17trampoline_kernelINS0_14default_configENS1_36segmented_radix_sort_config_selectorIhlEEZNS1_25segmented_radix_sort_implIS3_Lb1EPKhPhPKlPlN2at6native12_GLOBAL__N_18offset_tEEE10hipError_tPvRmT1_PNSt15iterator_traitsISK_E10value_typeET2_T3_PNSL_ISQ_E10value_typeET4_jRbjT5_SW_jjP12ihipStream_tbEUlT_E_NS1_11comp_targetILNS1_3genE9ELNS1_11target_archE1100ELNS1_3gpuE3ELNS1_3repE0EEENS1_30default_config_static_selectorELNS0_4arch9wavefront6targetE0EEEvSK_,comdat
	.globl	_ZN7rocprim17ROCPRIM_400000_NS6detail17trampoline_kernelINS0_14default_configENS1_36segmented_radix_sort_config_selectorIhlEEZNS1_25segmented_radix_sort_implIS3_Lb1EPKhPhPKlPlN2at6native12_GLOBAL__N_18offset_tEEE10hipError_tPvRmT1_PNSt15iterator_traitsISK_E10value_typeET2_T3_PNSL_ISQ_E10value_typeET4_jRbjT5_SW_jjP12ihipStream_tbEUlT_E_NS1_11comp_targetILNS1_3genE9ELNS1_11target_archE1100ELNS1_3gpuE3ELNS1_3repE0EEENS1_30default_config_static_selectorELNS0_4arch9wavefront6targetE0EEEvSK_ ; -- Begin function _ZN7rocprim17ROCPRIM_400000_NS6detail17trampoline_kernelINS0_14default_configENS1_36segmented_radix_sort_config_selectorIhlEEZNS1_25segmented_radix_sort_implIS3_Lb1EPKhPhPKlPlN2at6native12_GLOBAL__N_18offset_tEEE10hipError_tPvRmT1_PNSt15iterator_traitsISK_E10value_typeET2_T3_PNSL_ISQ_E10value_typeET4_jRbjT5_SW_jjP12ihipStream_tbEUlT_E_NS1_11comp_targetILNS1_3genE9ELNS1_11target_archE1100ELNS1_3gpuE3ELNS1_3repE0EEENS1_30default_config_static_selectorELNS0_4arch9wavefront6targetE0EEEvSK_
	.p2align	8
	.type	_ZN7rocprim17ROCPRIM_400000_NS6detail17trampoline_kernelINS0_14default_configENS1_36segmented_radix_sort_config_selectorIhlEEZNS1_25segmented_radix_sort_implIS3_Lb1EPKhPhPKlPlN2at6native12_GLOBAL__N_18offset_tEEE10hipError_tPvRmT1_PNSt15iterator_traitsISK_E10value_typeET2_T3_PNSL_ISQ_E10value_typeET4_jRbjT5_SW_jjP12ihipStream_tbEUlT_E_NS1_11comp_targetILNS1_3genE9ELNS1_11target_archE1100ELNS1_3gpuE3ELNS1_3repE0EEENS1_30default_config_static_selectorELNS0_4arch9wavefront6targetE0EEEvSK_,@function
_ZN7rocprim17ROCPRIM_400000_NS6detail17trampoline_kernelINS0_14default_configENS1_36segmented_radix_sort_config_selectorIhlEEZNS1_25segmented_radix_sort_implIS3_Lb1EPKhPhPKlPlN2at6native12_GLOBAL__N_18offset_tEEE10hipError_tPvRmT1_PNSt15iterator_traitsISK_E10value_typeET2_T3_PNSL_ISQ_E10value_typeET4_jRbjT5_SW_jjP12ihipStream_tbEUlT_E_NS1_11comp_targetILNS1_3genE9ELNS1_11target_archE1100ELNS1_3gpuE3ELNS1_3repE0EEENS1_30default_config_static_selectorELNS0_4arch9wavefront6targetE0EEEvSK_: ; @_ZN7rocprim17ROCPRIM_400000_NS6detail17trampoline_kernelINS0_14default_configENS1_36segmented_radix_sort_config_selectorIhlEEZNS1_25segmented_radix_sort_implIS3_Lb1EPKhPhPKlPlN2at6native12_GLOBAL__N_18offset_tEEE10hipError_tPvRmT1_PNSt15iterator_traitsISK_E10value_typeET2_T3_PNSL_ISQ_E10value_typeET4_jRbjT5_SW_jjP12ihipStream_tbEUlT_E_NS1_11comp_targetILNS1_3genE9ELNS1_11target_archE1100ELNS1_3gpuE3ELNS1_3repE0EEENS1_30default_config_static_selectorELNS0_4arch9wavefront6targetE0EEEvSK_
; %bb.0:
	s_clause 0x1
	s_load_b64 s[2:3], s[0:1], 0x38
	s_load_b128 s[4:7], s[0:1], 0x40
	s_mov_b32 s26, s14
	s_mov_b32 s27, 0
	s_mov_b32 s32, 0
	s_lshl_b64 s[8:9], s[26:27], 2
	s_waitcnt lgkmcnt(0)
	s_add_u32 s2, s2, s8
	s_addc_u32 s3, s3, s9
	s_load_b32 s2, s[2:3], 0x0
	s_waitcnt lgkmcnt(0)
	s_add_i32 s27, s2, s5
	s_add_i32 s33, s2, s7
	s_mul_i32 s27, s27, s4
	s_mul_i32 s33, s33, s6
	s_delay_alu instid0(SALU_CYCLE_1)
	s_cmp_le_u32 s33, s27
	s_cbranch_scc1 .LBB91_678
; %bb.1:
	s_clause 0x3
	s_load_b32 s2, s[0:1], 0x30
	s_load_b128 s[44:47], s[0:1], 0x20
	s_load_b128 s[48:51], s[0:1], 0x50
	s_load_b256 s[36:43], s[0:1], 0x0
	s_waitcnt lgkmcnt(0)
	s_bitcmp1_b32 s2, 0
	s_mov_b32 s2, -1
	s_cselect_b32 s34, -1, 0
	s_sub_i32 s35, s33, s27
	s_delay_alu instid0(SALU_CYCLE_1)
	s_cmpk_lt_u32 s35, 0x801
	s_cbranch_scc0 .LBB91_7
; %bb.2:
	v_cndmask_b32_e64 v1, 0, 1, s34
	s_and_b32 s2, s48, 1
	s_delay_alu instid0(VALU_DEP_1) | instid1(SALU_CYCLE_1)
	v_cmp_ne_u32_e32 vcc_lo, s2, v1
	s_mov_b32 s2, -1
	s_cbranch_vccnz .LBB91_4
; %bb.3:
	s_mov_b64 s[2:3], src_shared_base
	v_mov_b32_e32 v31, v0
	v_dual_mov_b32 v40, v0 :: v_dual_mov_b32 v1, s37
	v_mov_b32_e32 v0, s36
	v_dual_mov_b32 v2, s40 :: v_dual_mov_b32 v3, s41
	v_dual_mov_b32 v4, s42 :: v_dual_mov_b32 v5, s43
	v_dual_mov_b32 v6, s46 :: v_dual_mov_b32 v7, s47
	v_dual_mov_b32 v8, s27 :: v_dual_mov_b32 v9, s33
	v_dual_mov_b32 v10, s49 :: v_dual_mov_b32 v11, s50
	v_dual_mov_b32 v12, 0 :: v_dual_mov_b32 v13, s3
	s_add_u32 s8, s0, 0x60
	s_addc_u32 s9, s1, 0
	s_mov_b32 s12, s26
	s_mov_b32 s13, s15
	s_getpc_b64 s[4:5]
	s_add_u32 s4, s4, _ZN7rocprim17ROCPRIM_400000_NS6detail40segmented_radix_sort_single_block_helperIhlLj256ELj8ELb1EE4sortIPKhPhPKlPlEEbT_T0_T1_T2_jjjjRNS3_12storage_typeE@rel32@lo+4
	s_addc_u32 s5, s5, _ZN7rocprim17ROCPRIM_400000_NS6detail40segmented_radix_sort_single_block_helperIhlLj256ELj8ELb1EE4sortIPKhPhPKlPlEEbT_T0_T1_T2_jjjjRNS3_12storage_typeE@rel32@hi+12
	s_mov_b64 s[28:29], s[0:1]
	s_mov_b32 s48, s15
	s_swappc_b64 s[30:31], s[4:5]
	v_mov_b32_e32 v0, v40
	s_mov_b32 s15, s48
	s_mov_b64 s[0:1], s[28:29]
	s_mov_b32 s2, 0
.LBB91_4:
	s_delay_alu instid0(SALU_CYCLE_1)
	s_and_not1_b32 vcc_lo, exec_lo, s2
	s_cbranch_vccnz .LBB91_6
; %bb.5:
	s_mov_b64 s[2:3], src_shared_base
	v_mov_b32_e32 v31, v0
	v_dual_mov_b32 v40, v0 :: v_dual_mov_b32 v1, s37
	v_mov_b32_e32 v0, s36
	v_dual_mov_b32 v2, s38 :: v_dual_mov_b32 v3, s39
	v_dual_mov_b32 v4, s42 :: v_dual_mov_b32 v5, s43
	v_dual_mov_b32 v6, s44 :: v_dual_mov_b32 v7, s45
	v_dual_mov_b32 v8, s27 :: v_dual_mov_b32 v9, s33
	v_dual_mov_b32 v10, s49 :: v_dual_mov_b32 v11, s50
	v_dual_mov_b32 v12, 0 :: v_dual_mov_b32 v13, s3
	s_add_u32 s8, s0, 0x60
	s_addc_u32 s9, s1, 0
	s_mov_b32 s12, s26
	s_mov_b32 s13, s15
	s_getpc_b64 s[4:5]
	s_add_u32 s4, s4, _ZN7rocprim17ROCPRIM_400000_NS6detail40segmented_radix_sort_single_block_helperIhlLj256ELj8ELb1EE4sortIPKhPhPKlPlEEbT_T0_T1_T2_jjjjRNS3_12storage_typeE@rel32@lo+4
	s_addc_u32 s5, s5, _ZN7rocprim17ROCPRIM_400000_NS6detail40segmented_radix_sort_single_block_helperIhlLj256ELj8ELb1EE4sortIPKhPhPKlPlEEbT_T0_T1_T2_jjjjRNS3_12storage_typeE@rel32@hi+12
	s_mov_b64 s[28:29], s[0:1]
	s_mov_b32 s48, s15
	s_swappc_b64 s[30:31], s[4:5]
	v_mov_b32_e32 v0, v40
	s_mov_b32 s15, s48
	s_mov_b64 s[0:1], s[28:29]
.LBB91_6:
	s_mov_b32 s2, 0
.LBB91_7:
	s_delay_alu instid0(SALU_CYCLE_1)
	s_and_not1_b32 vcc_lo, exec_lo, s2
	s_cbranch_vccnz .LBB91_678
; %bb.8:
	s_cmp_ge_u32 s49, s50
	s_cbranch_scc1 .LBB91_678
; %bb.9:
	v_dual_mov_b32 v66, 1 :: v_dual_and_b32 v1, 0x3ff, v0
	v_mov_b32_e32 v3, 0
	v_mbcnt_lo_u32_b32 v63, -1, 0
	v_bfe_u32 v45, v0, 20, 10
	s_delay_alu instid0(VALU_DEP_4) | instskip(SKIP_4) | instid1(VALU_DEP_4)
	v_lshlrev_b32_e32 v28, 2, v1
	v_lshrrev_b32_e32 v2, 3, v1
	v_or_b32_e32 v4, 31, v1
	v_lshlrev_b32_e32 v5, 5, v1
	v_add_co_u32 v33, s2, s40, v1
	v_and_b32_e32 v38, 28, v2
	v_lshlrev_b32_e32 v2, 3, v1
	v_cmp_eq_u32_e64 s3, v4, v1
	v_add_nc_u32_e32 v4, 1, v1
	v_sub_nc_u32_e32 v48, 0, v5
	v_mad_u32_u24 v40, v1, 12, v28
	v_and_b32_e32 v44, 0x700, v2
	v_mul_u32_u24_e32 v2, 9, v1
	v_cmp_ne_u32_e64 s7, 0x100, v4
	v_or_b32_e32 v29, 0x100, v1
	v_or_b32_e32 v30, 0x200, v1
	v_lshlrev_b32_e32 v5, 3, v44
	v_lshl_add_u32 v47, v2, 2, 0x420
	v_mul_u32_u24_e32 v2, 9, v4
	v_or_b32_e32 v31, 0x300, v1
	v_and_b32_e32 v32, 3, v1
	v_add_co_u32 v50, s8, s46, v5
	s_delay_alu instid0(VALU_DEP_4) | instskip(SKIP_2) | instid1(VALU_DEP_1)
	v_lshlrev_b32_e32 v49, 2, v2
	v_add_co_ci_u32_e64 v51, null, s47, 0, s8
	v_add_co_u32 v2, s8, s40, v44
	v_add_co_ci_u32_e64 v4, null, s41, 0, s8
	v_add_co_u32 v53, s8, s38, v1
	s_delay_alu instid0(VALU_DEP_1) | instskip(SKIP_1) | instid1(VALU_DEP_1)
	v_add_co_ci_u32_e64 v54, null, s39, 0, s8
	v_add_co_u32 v55, s8, s44, v5
	v_add_co_ci_u32_e64 v56, null, s45, 0, s8
	v_add_co_u32 v57, s8, s38, v44
	s_delay_alu instid0(VALU_DEP_1) | instskip(SKIP_1) | instid1(VALU_DEP_1)
	v_add_co_ci_u32_e64 v58, null, s39, 0, s8
	v_add_co_u32 v59, s8, s36, v1
	v_add_co_ci_u32_e64 v60, null, s37, 0, s8
	v_add_co_u32 v61, s8, s42, v5
	s_delay_alu instid0(VALU_DEP_1)
	v_add_co_ci_u32_e64 v62, null, s43, 0, s8
	v_add_co_u32 v64, s8, s36, v44
	v_add_co_u32 v67, vcc_lo, v2, v63
	v_add_co_ci_u32_e64 v34, null, s41, 0, s2
	v_or_b32_e32 v35, 0x400, v1
	v_or_b32_e32 v36, 0x500, v1
	;; [unrolled: 1-line block ×4, first 2 shown]
	v_cmp_gt_u32_e64 s2, 0x100, v1
	v_or_b32_e32 v41, 0x4400, v38
	v_cmp_gt_u32_e64 s4, 8, v1
	v_add_nc_u32_e32 v42, 0x4400, v28
	v_cmp_lt_u32_e64 s5, 31, v1
	v_add_nc_u32_e32 v43, 0x43fc, v38
	v_bfe_u32 v0, v0, 10, 10
	v_mad_u32_u24 v46, v1, 20, v40
	v_cmp_eq_u32_e64 s6, 0, v1
	v_mul_u32_u24_e32 v52, 7, v1
	v_add_co_ci_u32_e64 v65, null, s37, 0, s8
	v_add_co_ci_u32_e32 v68, vcc_lo, 0, v4, vcc_lo
	s_add_u32 s28, s0, 0x60
	s_mov_b32 s25, 0
	s_addc_u32 s29, s1, 0
	s_mov_b32 s30, s49
	s_branch .LBB91_12
.LBB91_10:                              ;   in Loop: Header=BB91_12 Depth=1
	s_waitcnt lgkmcnt(0)
	s_barrier
.LBB91_11:                              ;   in Loop: Header=BB91_12 Depth=1
	s_add_i32 s30, s30, 8
	buffer_gl0_inv
	s_cmp_ge_u32 s30, s50
	s_cbranch_scc1 .LBB91_678
.LBB91_12:                              ; =>This Loop Header: Depth=1
                                        ;     Child Loop BB91_16 Depth 2
                                        ;     Child Loop BB91_66 Depth 2
	;; [unrolled: 1-line block ×8, first 2 shown]
	s_sub_i32 s0, s50, s30
	s_xor_b32 s34, s34, -1
	s_min_u32 s0, s0, 8
	ds_store_2addr_stride64_b32 v28, v3, v3 offset1:4
	s_lshl_b32 s0, -1, s0
	ds_store_2addr_stride64_b32 v28, v3, v3 offset0:8 offset1:12
	s_not_b32 s31, s0
	s_cmp_lg_u32 s30, s49
	s_mov_b32 s0, -1
	s_waitcnt lgkmcnt(0)
	s_waitcnt_vscnt null, 0x0
	s_cbranch_scc0 .LBB91_346
; %bb.13:                               ;   in Loop: Header=BB91_12 Depth=1
	s_and_b32 vcc_lo, exec_lo, s34
	s_cbranch_vccz .LBB91_179
; %bb.14:                               ;   in Loop: Header=BB91_12 Depth=1
	s_mov_b32 s0, s35
	s_mov_b32 s9, s27
	s_barrier
	buffer_gl0_inv
                                        ; implicit-def: $vgpr2
                                        ; implicit-def: $vgpr6
                                        ; implicit-def: $vgpr7
                                        ; implicit-def: $vgpr8
                                        ; implicit-def: $vgpr9
                                        ; implicit-def: $vgpr10
                                        ; implicit-def: $vgpr11
                                        ; implicit-def: $vgpr12
	s_branch .LBB91_16
.LBB91_15:                              ;   in Loop: Header=BB91_16 Depth=2
	s_or_b32 exec_lo, exec_lo, s8
	s_addk_i32 s0, 0xf800
	s_cmp_ge_u32 s1, s33
	s_mov_b32 s9, s1
	s_cbranch_scc1 .LBB91_54
.LBB91_16:                              ;   Parent Loop BB91_12 Depth=1
                                        ; =>  This Inner Loop Header: Depth=2
	s_add_i32 s1, s9, 0x800
	s_delay_alu instid0(SALU_CYCLE_1)
	s_cmp_gt_u32 s1, s33
	s_cbranch_scc1 .LBB91_19
; %bb.17:                               ;   in Loop: Header=BB91_16 Depth=2
	v_add_co_u32 v4, vcc_lo, v33, s9
	v_add_co_ci_u32_e32 v5, vcc_lo, 0, v34, vcc_lo
	s_mov_b32 s8, -1
	s_movk_i32 s12, 0x800
	s_clause 0x6
	global_load_u8 v20, v[4:5], off offset:1536
	global_load_u8 v19, v[4:5], off offset:1280
	;; [unrolled: 1-line block ×6, first 2 shown]
	global_load_u8 v14, v[4:5], off
	v_add_co_u32 v4, vcc_lo, 0x700, v4
	v_add_co_ci_u32_e32 v5, vcc_lo, 0, v5, vcc_lo
	s_cbranch_execz .LBB91_20
; %bb.18:                               ;   in Loop: Header=BB91_16 Depth=2
                                        ; implicit-def: $vgpr2
                                        ; implicit-def: $vgpr6
                                        ; implicit-def: $vgpr7
                                        ; implicit-def: $vgpr8
                                        ; implicit-def: $vgpr9
                                        ; implicit-def: $vgpr10
                                        ; implicit-def: $vgpr11
                                        ; implicit-def: $vgpr12
	v_mov_b32_e32 v13, s0
	s_and_saveexec_b32 s9, s8
	s_cbranch_execnz .LBB91_31
	s_branch .LBB91_32
.LBB91_19:                              ;   in Loop: Header=BB91_16 Depth=2
	s_mov_b32 s8, 0
                                        ; implicit-def: $sgpr12
                                        ; implicit-def: $vgpr14
                                        ; implicit-def: $vgpr15
                                        ; implicit-def: $vgpr16
                                        ; implicit-def: $vgpr17
                                        ; implicit-def: $vgpr18
                                        ; implicit-def: $vgpr19
                                        ; implicit-def: $vgpr20
                                        ; implicit-def: $vgpr4_vgpr5
.LBB91_20:                              ;   in Loop: Header=BB91_16 Depth=2
	s_add_u32 s10, s40, s9
	s_addc_u32 s11, s41, 0
	s_mov_b32 s12, exec_lo
	v_cmpx_gt_u32_e64 s0, v1
	s_cbranch_execz .LBB91_48
; %bb.21:                               ;   in Loop: Header=BB91_16 Depth=2
	v_add_co_u32 v4, s13, s10, v1
	s_delay_alu instid0(VALU_DEP_1) | instskip(SKIP_2) | instid1(SALU_CYCLE_1)
	v_add_co_ci_u32_e64 v5, null, s11, 0, s13
	global_load_u8 v2, v[4:5], off
	s_or_b32 exec_lo, exec_lo, s12
	s_mov_b32 s12, exec_lo
	v_cmpx_gt_u32_e64 s0, v29
	s_cbranch_execnz .LBB91_49
.LBB91_22:                              ;   in Loop: Header=BB91_16 Depth=2
	s_or_b32 exec_lo, exec_lo, s12
	s_delay_alu instid0(SALU_CYCLE_1)
	s_mov_b32 s12, exec_lo
	v_cmpx_gt_u32_e64 s0, v30
	s_cbranch_execz .LBB91_50
.LBB91_23:                              ;   in Loop: Header=BB91_16 Depth=2
	v_add_co_u32 v4, s13, s10, v1
	s_delay_alu instid0(VALU_DEP_1) | instskip(SKIP_2) | instid1(SALU_CYCLE_1)
	v_add_co_ci_u32_e64 v5, null, s11, 0, s13
	global_load_u8 v7, v[4:5], off offset:512
	s_or_b32 exec_lo, exec_lo, s12
	s_mov_b32 s12, exec_lo
	v_cmpx_gt_u32_e64 s0, v31
	s_cbranch_execnz .LBB91_51
.LBB91_24:                              ;   in Loop: Header=BB91_16 Depth=2
	s_or_b32 exec_lo, exec_lo, s12
	s_delay_alu instid0(SALU_CYCLE_1)
	s_mov_b32 s12, exec_lo
	v_cmpx_gt_u32_e64 s0, v35
	s_cbranch_execz .LBB91_52
.LBB91_25:                              ;   in Loop: Header=BB91_16 Depth=2
	v_add_co_u32 v4, s13, s10, v1
	s_delay_alu instid0(VALU_DEP_1) | instskip(SKIP_2) | instid1(SALU_CYCLE_1)
	v_add_co_ci_u32_e64 v5, null, s11, 0, s13
	global_load_u8 v9, v[4:5], off offset:1024
	s_or_b32 exec_lo, exec_lo, s12
	s_mov_b32 s12, exec_lo
	v_cmpx_gt_u32_e64 s0, v36
	s_cbranch_execnz .LBB91_53
.LBB91_26:                              ;   in Loop: Header=BB91_16 Depth=2
	s_or_b32 exec_lo, exec_lo, s12
	s_delay_alu instid0(SALU_CYCLE_1)
	s_mov_b32 s12, exec_lo
	v_cmpx_gt_u32_e64 s0, v37
	s_cbranch_execz .LBB91_28
.LBB91_27:                              ;   in Loop: Header=BB91_16 Depth=2
	v_add_co_u32 v4, s13, s10, v1
	s_delay_alu instid0(VALU_DEP_1)
	v_add_co_ci_u32_e64 v5, null, s11, 0, s13
	global_load_u8 v11, v[4:5], off offset:1536
.LBB91_28:                              ;   in Loop: Header=BB91_16 Depth=2
	s_or_b32 exec_lo, exec_lo, s12
	s_delay_alu instid0(SALU_CYCLE_1)
	s_mov_b32 s13, exec_lo
                                        ; implicit-def: $sgpr12
                                        ; implicit-def: $vgpr4_vgpr5
	v_cmpx_gt_u32_e64 s0, v39
; %bb.29:                               ;   in Loop: Header=BB91_16 Depth=2
	v_add_co_u32 v4, s10, s10, v1
	s_delay_alu instid0(VALU_DEP_1) | instskip(SKIP_1) | instid1(VALU_DEP_2)
	v_add_co_ci_u32_e64 v5, null, s11, 0, s10
	s_sub_i32 s12, s33, s9
	v_add_co_u32 v4, vcc_lo, 0x700, v4
	s_delay_alu instid0(VALU_DEP_2)
	v_add_co_ci_u32_e32 v5, vcc_lo, 0, v5, vcc_lo
	s_or_b32 s8, s8, exec_lo
                                        ; implicit-def: $vgpr12
; %bb.30:                               ;   in Loop: Header=BB91_16 Depth=2
	s_or_b32 exec_lo, exec_lo, s13
	s_waitcnt vmcnt(0)
	v_dual_mov_b32 v14, v2 :: v_dual_mov_b32 v17, v8
	v_dual_mov_b32 v15, v6 :: v_dual_mov_b32 v16, v7
	;; [unrolled: 1-line block ×4, first 2 shown]
	s_and_saveexec_b32 s9, s8
	s_cbranch_execz .LBB91_32
.LBB91_31:                              ;   in Loop: Header=BB91_16 Depth=2
	global_load_u8 v12, v[4:5], off
	s_waitcnt vmcnt(1)
	v_dual_mov_b32 v13, s12 :: v_dual_mov_b32 v2, v14
	v_dual_mov_b32 v6, v15 :: v_dual_mov_b32 v7, v16
	;; [unrolled: 1-line block ×4, first 2 shown]
.LBB91_32:                              ;   in Loop: Header=BB91_16 Depth=2
	s_or_b32 exec_lo, exec_lo, s9
	s_delay_alu instid0(SALU_CYCLE_1)
	s_mov_b32 s8, exec_lo
	v_cmpx_lt_u32_e64 v1, v13
	s_cbranch_execz .LBB91_40
; %bb.33:                               ;   in Loop: Header=BB91_16 Depth=2
	v_xor_b32_e32 v4, -1, v2
	v_lshlrev_b32_e32 v5, 2, v32
	s_delay_alu instid0(VALU_DEP_2) | instskip(NEXT) | instid1(VALU_DEP_1)
	v_and_b32_e32 v4, 0xff, v4
	v_lshrrev_b32_e32 v4, s30, v4
	s_delay_alu instid0(VALU_DEP_1) | instskip(NEXT) | instid1(VALU_DEP_1)
	v_and_b32_e32 v4, s31, v4
	v_lshl_or_b32 v4, v4, 4, v5
	ds_add_u32 v4, v66
	s_or_b32 exec_lo, exec_lo, s8
	s_delay_alu instid0(SALU_CYCLE_1)
	s_mov_b32 s8, exec_lo
	v_cmpx_lt_u32_e64 v29, v13
	s_cbranch_execnz .LBB91_41
.LBB91_34:                              ;   in Loop: Header=BB91_16 Depth=2
	s_or_b32 exec_lo, exec_lo, s8
	s_delay_alu instid0(SALU_CYCLE_1)
	s_mov_b32 s8, exec_lo
	v_cmpx_lt_u32_e64 v30, v13
	s_cbranch_execz .LBB91_42
.LBB91_35:                              ;   in Loop: Header=BB91_16 Depth=2
	v_xor_b32_e32 v4, -1, v7
	v_lshlrev_b32_e32 v5, 2, v32
	s_delay_alu instid0(VALU_DEP_2) | instskip(NEXT) | instid1(VALU_DEP_1)
	v_and_b32_e32 v4, 0xff, v4
	v_lshrrev_b32_e32 v4, s30, v4
	s_delay_alu instid0(VALU_DEP_1) | instskip(NEXT) | instid1(VALU_DEP_1)
	v_and_b32_e32 v4, s31, v4
	v_lshl_or_b32 v4, v4, 4, v5
	ds_add_u32 v4, v66
	s_or_b32 exec_lo, exec_lo, s8
	s_delay_alu instid0(SALU_CYCLE_1)
	s_mov_b32 s8, exec_lo
	v_cmpx_lt_u32_e64 v31, v13
	s_cbranch_execnz .LBB91_43
.LBB91_36:                              ;   in Loop: Header=BB91_16 Depth=2
	s_or_b32 exec_lo, exec_lo, s8
	s_delay_alu instid0(SALU_CYCLE_1)
	s_mov_b32 s8, exec_lo
	v_cmpx_lt_u32_e64 v35, v13
	s_cbranch_execz .LBB91_44
.LBB91_37:                              ;   in Loop: Header=BB91_16 Depth=2
	v_xor_b32_e32 v4, -1, v9
	v_lshlrev_b32_e32 v5, 2, v32
	s_delay_alu instid0(VALU_DEP_2) | instskip(NEXT) | instid1(VALU_DEP_1)
	v_and_b32_e32 v4, 0xff, v4
	v_lshrrev_b32_e32 v4, s30, v4
	s_delay_alu instid0(VALU_DEP_1) | instskip(NEXT) | instid1(VALU_DEP_1)
	v_and_b32_e32 v4, s31, v4
	v_lshl_or_b32 v4, v4, 4, v5
	ds_add_u32 v4, v66
	s_or_b32 exec_lo, exec_lo, s8
	s_delay_alu instid0(SALU_CYCLE_1)
	s_mov_b32 s8, exec_lo
	v_cmpx_lt_u32_e64 v36, v13
	s_cbranch_execnz .LBB91_45
.LBB91_38:                              ;   in Loop: Header=BB91_16 Depth=2
	s_or_b32 exec_lo, exec_lo, s8
	s_delay_alu instid0(SALU_CYCLE_1)
	s_mov_b32 s8, exec_lo
	v_cmpx_lt_u32_e64 v37, v13
	s_cbranch_execz .LBB91_46
.LBB91_39:                              ;   in Loop: Header=BB91_16 Depth=2
	v_xor_b32_e32 v4, -1, v11
	v_lshlrev_b32_e32 v5, 2, v32
	s_delay_alu instid0(VALU_DEP_2) | instskip(NEXT) | instid1(VALU_DEP_1)
	v_and_b32_e32 v4, 0xff, v4
	v_lshrrev_b32_e32 v4, s30, v4
	s_delay_alu instid0(VALU_DEP_1) | instskip(NEXT) | instid1(VALU_DEP_1)
	v_and_b32_e32 v4, s31, v4
	v_lshl_or_b32 v4, v4, 4, v5
	ds_add_u32 v4, v66
	s_or_b32 exec_lo, exec_lo, s8
	s_delay_alu instid0(SALU_CYCLE_1)
	s_mov_b32 s8, exec_lo
	v_cmpx_lt_u32_e64 v39, v13
	s_cbranch_execz .LBB91_15
	s_branch .LBB91_47
.LBB91_40:                              ;   in Loop: Header=BB91_16 Depth=2
	s_or_b32 exec_lo, exec_lo, s8
	s_delay_alu instid0(SALU_CYCLE_1)
	s_mov_b32 s8, exec_lo
	v_cmpx_lt_u32_e64 v29, v13
	s_cbranch_execz .LBB91_34
.LBB91_41:                              ;   in Loop: Header=BB91_16 Depth=2
	v_xor_b32_e32 v4, -1, v6
	v_lshlrev_b32_e32 v5, 2, v32
	s_delay_alu instid0(VALU_DEP_2) | instskip(NEXT) | instid1(VALU_DEP_1)
	v_and_b32_e32 v4, 0xff, v4
	v_lshrrev_b32_e32 v4, s30, v4
	s_delay_alu instid0(VALU_DEP_1) | instskip(NEXT) | instid1(VALU_DEP_1)
	v_and_b32_e32 v4, s31, v4
	v_lshl_or_b32 v4, v4, 4, v5
	ds_add_u32 v4, v66
	s_or_b32 exec_lo, exec_lo, s8
	s_delay_alu instid0(SALU_CYCLE_1)
	s_mov_b32 s8, exec_lo
	v_cmpx_lt_u32_e64 v30, v13
	s_cbranch_execnz .LBB91_35
.LBB91_42:                              ;   in Loop: Header=BB91_16 Depth=2
	s_or_b32 exec_lo, exec_lo, s8
	s_delay_alu instid0(SALU_CYCLE_1)
	s_mov_b32 s8, exec_lo
	v_cmpx_lt_u32_e64 v31, v13
	s_cbranch_execz .LBB91_36
.LBB91_43:                              ;   in Loop: Header=BB91_16 Depth=2
	v_xor_b32_e32 v4, -1, v8
	v_lshlrev_b32_e32 v5, 2, v32
	s_delay_alu instid0(VALU_DEP_2) | instskip(NEXT) | instid1(VALU_DEP_1)
	v_and_b32_e32 v4, 0xff, v4
	v_lshrrev_b32_e32 v4, s30, v4
	s_delay_alu instid0(VALU_DEP_1) | instskip(NEXT) | instid1(VALU_DEP_1)
	v_and_b32_e32 v4, s31, v4
	v_lshl_or_b32 v4, v4, 4, v5
	ds_add_u32 v4, v66
	s_or_b32 exec_lo, exec_lo, s8
	s_delay_alu instid0(SALU_CYCLE_1)
	s_mov_b32 s8, exec_lo
	v_cmpx_lt_u32_e64 v35, v13
	s_cbranch_execnz .LBB91_37
.LBB91_44:                              ;   in Loop: Header=BB91_16 Depth=2
	s_or_b32 exec_lo, exec_lo, s8
	s_delay_alu instid0(SALU_CYCLE_1)
	s_mov_b32 s8, exec_lo
	v_cmpx_lt_u32_e64 v36, v13
	s_cbranch_execz .LBB91_38
.LBB91_45:                              ;   in Loop: Header=BB91_16 Depth=2
	v_xor_b32_e32 v4, -1, v10
	v_lshlrev_b32_e32 v5, 2, v32
	s_delay_alu instid0(VALU_DEP_2) | instskip(NEXT) | instid1(VALU_DEP_1)
	v_and_b32_e32 v4, 0xff, v4
	v_lshrrev_b32_e32 v4, s30, v4
	s_delay_alu instid0(VALU_DEP_1) | instskip(NEXT) | instid1(VALU_DEP_1)
	v_and_b32_e32 v4, s31, v4
	v_lshl_or_b32 v4, v4, 4, v5
	ds_add_u32 v4, v66
	s_or_b32 exec_lo, exec_lo, s8
	s_delay_alu instid0(SALU_CYCLE_1)
	s_mov_b32 s8, exec_lo
	v_cmpx_lt_u32_e64 v37, v13
	s_cbranch_execnz .LBB91_39
.LBB91_46:                              ;   in Loop: Header=BB91_16 Depth=2
	s_or_b32 exec_lo, exec_lo, s8
	s_delay_alu instid0(SALU_CYCLE_1)
	s_mov_b32 s8, exec_lo
	v_cmpx_lt_u32_e64 v39, v13
	s_cbranch_execz .LBB91_15
.LBB91_47:                              ;   in Loop: Header=BB91_16 Depth=2
	s_waitcnt vmcnt(0)
	v_xor_b32_e32 v4, -1, v12
	v_lshlrev_b32_e32 v5, 2, v32
	s_delay_alu instid0(VALU_DEP_2) | instskip(NEXT) | instid1(VALU_DEP_1)
	v_and_b32_e32 v4, 0xff, v4
	v_lshrrev_b32_e32 v4, s30, v4
	s_delay_alu instid0(VALU_DEP_1) | instskip(NEXT) | instid1(VALU_DEP_1)
	v_and_b32_e32 v4, s31, v4
	v_lshl_or_b32 v4, v4, 4, v5
	ds_add_u32 v4, v66
	s_branch .LBB91_15
.LBB91_48:                              ;   in Loop: Header=BB91_16 Depth=2
	s_or_b32 exec_lo, exec_lo, s12
	s_delay_alu instid0(SALU_CYCLE_1)
	s_mov_b32 s12, exec_lo
	v_cmpx_gt_u32_e64 s0, v29
	s_cbranch_execz .LBB91_22
.LBB91_49:                              ;   in Loop: Header=BB91_16 Depth=2
	v_add_co_u32 v4, s13, s10, v1
	s_delay_alu instid0(VALU_DEP_1) | instskip(SKIP_2) | instid1(SALU_CYCLE_1)
	v_add_co_ci_u32_e64 v5, null, s11, 0, s13
	global_load_u8 v6, v[4:5], off offset:256
	s_or_b32 exec_lo, exec_lo, s12
	s_mov_b32 s12, exec_lo
	v_cmpx_gt_u32_e64 s0, v30
	s_cbranch_execnz .LBB91_23
.LBB91_50:                              ;   in Loop: Header=BB91_16 Depth=2
	s_or_b32 exec_lo, exec_lo, s12
	s_delay_alu instid0(SALU_CYCLE_1)
	s_mov_b32 s12, exec_lo
	v_cmpx_gt_u32_e64 s0, v31
	s_cbranch_execz .LBB91_24
.LBB91_51:                              ;   in Loop: Header=BB91_16 Depth=2
	v_add_co_u32 v4, s13, s10, v1
	s_delay_alu instid0(VALU_DEP_1) | instskip(SKIP_2) | instid1(SALU_CYCLE_1)
	v_add_co_ci_u32_e64 v5, null, s11, 0, s13
	global_load_u8 v8, v[4:5], off offset:768
	s_or_b32 exec_lo, exec_lo, s12
	s_mov_b32 s12, exec_lo
	v_cmpx_gt_u32_e64 s0, v35
	s_cbranch_execnz .LBB91_25
.LBB91_52:                              ;   in Loop: Header=BB91_16 Depth=2
	s_or_b32 exec_lo, exec_lo, s12
	s_delay_alu instid0(SALU_CYCLE_1)
	s_mov_b32 s12, exec_lo
	v_cmpx_gt_u32_e64 s0, v36
	s_cbranch_execz .LBB91_26
.LBB91_53:                              ;   in Loop: Header=BB91_16 Depth=2
	v_add_co_u32 v4, s13, s10, v1
	s_delay_alu instid0(VALU_DEP_1) | instskip(SKIP_2) | instid1(SALU_CYCLE_1)
	v_add_co_ci_u32_e64 v5, null, s11, 0, s13
	global_load_u8 v10, v[4:5], off offset:1280
	s_or_b32 exec_lo, exec_lo, s12
	s_mov_b32 s12, exec_lo
	v_cmpx_gt_u32_e64 s0, v37
	s_cbranch_execz .LBB91_28
	s_branch .LBB91_27
.LBB91_54:                              ;   in Loop: Header=BB91_12 Depth=1
	v_mov_b32_e32 v2, 0
	s_waitcnt vmcnt(0) lgkmcnt(0)
	s_barrier
	buffer_gl0_inv
	s_and_saveexec_b32 s0, s2
	s_cbranch_execz .LBB91_56
; %bb.55:                               ;   in Loop: Header=BB91_12 Depth=1
	ds_load_2addr_b64 v[4:7], v40 offset1:1
	s_waitcnt lgkmcnt(0)
	v_add_nc_u32_e32 v2, v5, v4
	s_delay_alu instid0(VALU_DEP_1)
	v_add3_u32 v2, v2, v6, v7
.LBB91_56:                              ;   in Loop: Header=BB91_12 Depth=1
	s_or_b32 exec_lo, exec_lo, s0
	v_and_b32_e32 v4, 15, v63
	s_delay_alu instid0(VALU_DEP_2) | instskip(SKIP_1) | instid1(VALU_DEP_3)
	v_mov_b32_dpp v5, v2 row_shr:1 row_mask:0xf bank_mask:0xf
	v_and_b32_e32 v6, 16, v63
	v_cmp_eq_u32_e64 s0, 0, v4
	v_cmp_lt_u32_e64 s1, 1, v4
	v_cmp_lt_u32_e64 s8, 3, v4
	;; [unrolled: 1-line block ×3, first 2 shown]
	v_cmp_eq_u32_e64 s10, 0, v6
	v_cndmask_b32_e64 v5, v5, 0, s0
	s_delay_alu instid0(VALU_DEP_1) | instskip(NEXT) | instid1(VALU_DEP_1)
	v_add_nc_u32_e32 v2, v5, v2
	v_mov_b32_dpp v5, v2 row_shr:2 row_mask:0xf bank_mask:0xf
	s_delay_alu instid0(VALU_DEP_1) | instskip(NEXT) | instid1(VALU_DEP_1)
	v_cndmask_b32_e64 v5, 0, v5, s1
	v_add_nc_u32_e32 v2, v2, v5
	s_delay_alu instid0(VALU_DEP_1) | instskip(NEXT) | instid1(VALU_DEP_1)
	v_mov_b32_dpp v5, v2 row_shr:4 row_mask:0xf bank_mask:0xf
	v_cndmask_b32_e64 v5, 0, v5, s8
	s_delay_alu instid0(VALU_DEP_1) | instskip(NEXT) | instid1(VALU_DEP_1)
	v_add_nc_u32_e32 v2, v2, v5
	v_mov_b32_dpp v5, v2 row_shr:8 row_mask:0xf bank_mask:0xf
	s_delay_alu instid0(VALU_DEP_1) | instskip(SKIP_1) | instid1(VALU_DEP_2)
	v_cndmask_b32_e64 v4, 0, v5, s9
	v_bfe_i32 v5, v63, 4, 1
	v_add_nc_u32_e32 v2, v2, v4
	ds_swizzle_b32 v4, v2 offset:swizzle(BROADCAST,32,15)
	s_waitcnt lgkmcnt(0)
	v_and_b32_e32 v4, v5, v4
	s_delay_alu instid0(VALU_DEP_1)
	v_add_nc_u32_e32 v4, v2, v4
	s_and_saveexec_b32 s11, s3
	s_cbranch_execz .LBB91_58
; %bb.57:                               ;   in Loop: Header=BB91_12 Depth=1
	ds_store_b32 v41, v4
.LBB91_58:                              ;   in Loop: Header=BB91_12 Depth=1
	s_or_b32 exec_lo, exec_lo, s11
	v_and_b32_e32 v2, 7, v63
	s_waitcnt lgkmcnt(0)
	s_barrier
	buffer_gl0_inv
	s_and_saveexec_b32 s11, s4
	s_cbranch_execz .LBB91_60
; %bb.59:                               ;   in Loop: Header=BB91_12 Depth=1
	ds_load_b32 v5, v42
	v_cmp_ne_u32_e32 vcc_lo, 0, v2
	s_waitcnt lgkmcnt(0)
	v_mov_b32_dpp v6, v5 row_shr:1 row_mask:0xf bank_mask:0xf
	s_delay_alu instid0(VALU_DEP_1) | instskip(SKIP_1) | instid1(VALU_DEP_2)
	v_cndmask_b32_e32 v6, 0, v6, vcc_lo
	v_cmp_lt_u32_e32 vcc_lo, 1, v2
	v_add_nc_u32_e32 v5, v6, v5
	s_delay_alu instid0(VALU_DEP_1) | instskip(NEXT) | instid1(VALU_DEP_1)
	v_mov_b32_dpp v6, v5 row_shr:2 row_mask:0xf bank_mask:0xf
	v_cndmask_b32_e32 v6, 0, v6, vcc_lo
	v_cmp_lt_u32_e32 vcc_lo, 3, v2
	s_delay_alu instid0(VALU_DEP_2) | instskip(NEXT) | instid1(VALU_DEP_1)
	v_add_nc_u32_e32 v5, v5, v6
	v_mov_b32_dpp v6, v5 row_shr:4 row_mask:0xf bank_mask:0xf
	s_delay_alu instid0(VALU_DEP_1) | instskip(NEXT) | instid1(VALU_DEP_1)
	v_cndmask_b32_e32 v6, 0, v6, vcc_lo
	v_add_nc_u32_e32 v5, v5, v6
	ds_store_b32 v42, v5
.LBB91_60:                              ;   in Loop: Header=BB91_12 Depth=1
	s_or_b32 exec_lo, exec_lo, s11
	v_mov_b32_e32 v5, 0
	s_waitcnt lgkmcnt(0)
	s_barrier
	buffer_gl0_inv
	s_and_saveexec_b32 s11, s5
	s_cbranch_execz .LBB91_62
; %bb.61:                               ;   in Loop: Header=BB91_12 Depth=1
	ds_load_b32 v5, v43
.LBB91_62:                              ;   in Loop: Header=BB91_12 Depth=1
	s_or_b32 exec_lo, exec_lo, s11
	v_add_nc_u32_e32 v6, -1, v63
	s_waitcnt lgkmcnt(0)
	v_add_nc_u32_e32 v4, v5, v4
	v_cmp_eq_u32_e64 s11, 0, v63
	s_barrier
	v_cmp_gt_i32_e32 vcc_lo, 0, v6
	buffer_gl0_inv
	v_cndmask_b32_e32 v6, v6, v63, vcc_lo
	s_delay_alu instid0(VALU_DEP_1)
	v_lshlrev_b32_e32 v69, 2, v6
	ds_bpermute_b32 v4, v69, v4
	s_and_saveexec_b32 s12, s2
	s_cbranch_execz .LBB91_64
; %bb.63:                               ;   in Loop: Header=BB91_12 Depth=1
	s_waitcnt lgkmcnt(0)
	v_cndmask_b32_e64 v4, v4, v5, s11
	s_delay_alu instid0(VALU_DEP_1)
	v_add_nc_u32_e32 v4, s27, v4
	ds_store_b32 v28, v4
.LBB91_64:                              ;   in Loop: Header=BB91_12 Depth=1
	s_or_b32 exec_lo, exec_lo, s12
	s_clause 0x1
	s_load_b32 s12, s[28:29], 0x4
	s_load_b32 s16, s[28:29], 0xc
	v_lshlrev_b32_e32 v5, 3, v63
	v_cmp_lt_u32_e64 s14, 3, v2
	v_or_b32_e32 v70, v63, v44
	s_mov_b32 s42, s35
	s_mov_b32 s24, s27
	v_add_co_u32 v71, vcc_lo, v50, v5
	v_add_co_ci_u32_e32 v72, vcc_lo, 0, v51, vcc_lo
	v_add_co_u32 v81, vcc_lo, 0xe0, v67
	v_or_b32_e32 v73, 32, v70
	v_or_b32_e32 v74, 64, v70
	v_or_b32_e32 v75, 0x60, v70
	v_or_b32_e32 v76, 0x80, v70
	v_or_b32_e32 v77, 0xa0, v70
	v_or_b32_e32 v78, 0xc0, v70
	v_or_b32_e32 v79, 0xe0, v70
	s_waitcnt lgkmcnt(0)
	s_cmp_lt_u32 s15, s12
	v_add_co_ci_u32_e32 v82, vcc_lo, 0, v68, vcc_lo
	s_cselect_b32 s12, 14, 20
                                        ; implicit-def: $vgpr6_vgpr7
                                        ; implicit-def: $vgpr8_vgpr9
                                        ; implicit-def: $vgpr10_vgpr11
                                        ; implicit-def: $vgpr12_vgpr13
                                        ; implicit-def: $vgpr14_vgpr15
                                        ; implicit-def: $vgpr16_vgpr17
                                        ; implicit-def: $vgpr18_vgpr19
                                        ; implicit-def: $vgpr83
                                        ; implicit-def: $vgpr84
                                        ; implicit-def: $vgpr85
                                        ; implicit-def: $vgpr86
                                        ; implicit-def: $vgpr87
                                        ; implicit-def: $vgpr88
                                        ; implicit-def: $vgpr89
                                        ; implicit-def: $vgpr90
	s_delay_alu instid0(SALU_CYCLE_1)
	s_add_u32 s12, s28, s12
	s_addc_u32 s13, s29, 0
	s_and_b32 s16, s16, 0xffff
	global_load_u16 v4, v3, s[12:13]
	v_cmp_eq_u32_e64 s12, 0, v2
	v_cmp_lt_u32_e64 s13, 1, v2
	s_waitcnt vmcnt(0)
	v_mad_u32_u24 v2, v45, v4, v0
	s_delay_alu instid0(VALU_DEP_1) | instskip(NEXT) | instid1(VALU_DEP_1)
	v_mad_u64_u32 v[4:5], null, v2, s16, v[1:2]
	v_lshrrev_b32_e32 v80, 5, v4
                                        ; implicit-def: $vgpr4_vgpr5
	s_branch .LBB91_66
.LBB91_65:                              ;   in Loop: Header=BB91_66 Depth=2
	s_or_b32 exec_lo, exec_lo, s16
	s_addk_i32 s42, 0xf800
	s_cmp_lt_u32 s43, s33
	s_mov_b32 s24, s43
	s_cbranch_scc0 .LBB91_178
.LBB91_66:                              ;   Parent Loop BB91_12 Depth=1
                                        ; =>  This Inner Loop Header: Depth=2
	s_add_i32 s43, s24, 0x800
	s_delay_alu instid0(SALU_CYCLE_1)
	s_cmp_gt_u32 s43, s33
	s_cbranch_scc1 .LBB91_68
; %bb.67:                               ;   in Loop: Header=BB91_66 Depth=2
	v_add_co_u32 v20, vcc_lo, v67, s24
	v_add_co_ci_u32_e32 v21, vcc_lo, 0, v68, vcc_lo
	s_mov_b32 s17, 0
	s_mov_b32 s16, s24
	s_mov_b32 s19, -1
	s_clause 0x6
	global_load_u8 v2, v[20:21], off offset:32
	global_load_u8 v22, v[20:21], off offset:96
	global_load_u8 v23, v[20:21], off offset:160
	global_load_u8 v24, v[20:21], off
	global_load_u8 v25, v[20:21], off offset:64
	global_load_u8 v26, v[20:21], off offset:128
	;; [unrolled: 1-line block ×3, first 2 shown]
	s_movk_i32 s18, 0x800
	s_waitcnt vmcnt(6)
	v_lshlrev_b16 v2, 8, v2
	s_waitcnt vmcnt(5)
	v_lshlrev_b16 v20, 8, v22
	;; [unrolled: 2-line block ×3, first 2 shown]
	s_waitcnt vmcnt(3)
	v_or_b32_e32 v2, v24, v2
	s_waitcnt vmcnt(2)
	v_or_b32_e32 v20, v25, v20
	;; [unrolled: 2-line block ×3, first 2 shown]
	v_and_b32_e32 v2, 0xffff, v2
	s_delay_alu instid0(VALU_DEP_3) | instskip(NEXT) | instid1(VALU_DEP_3)
	v_lshlrev_b32_e32 v20, 16, v20
	v_and_b32_e32 v22, 0xffff, v22
	s_delay_alu instid0(VALU_DEP_2) | instskip(SKIP_1) | instid1(VALU_DEP_2)
	v_or_b32_e32 v20, v2, v20
	s_waitcnt vmcnt(0)
	v_lshl_or_b32 v21, v21, 16, v22
	s_cbranch_execz .LBB91_69
	s_branch .LBB91_78
.LBB91_68:                              ;   in Loop: Header=BB91_66 Depth=2
	s_mov_b32 s17, -1
	s_mov_b32 s19, 0
                                        ; implicit-def: $sgpr18
                                        ; implicit-def: $vgpr20_vgpr21
.LBB91_69:                              ;   in Loop: Header=BB91_66 Depth=2
	v_add_co_u32 v22, vcc_lo, v67, s24
	s_mov_b32 s16, s25
	s_mov_b32 s17, s25
	v_add_co_ci_u32_e32 v23, vcc_lo, 0, v68, vcc_lo
	v_dual_mov_b32 v21, s17 :: v_dual_mov_b32 v20, s16
	s_mov_b32 s16, exec_lo
	v_cmpx_gt_u32_e64 s42, v70
	s_cbranch_execz .LBB91_172
; %bb.70:                               ;   in Loop: Header=BB91_66 Depth=2
	global_load_u8 v2, v[22:23], off
	s_waitcnt vmcnt(0)
	v_dual_mov_b32 v21, s25 :: v_dual_and_b32 v20, 0xffff, v2
	s_or_b32 exec_lo, exec_lo, s16
	s_delay_alu instid0(SALU_CYCLE_1)
	s_mov_b32 s16, exec_lo
	v_cmpx_gt_u32_e64 s42, v73
	s_cbranch_execnz .LBB91_173
.LBB91_71:                              ;   in Loop: Header=BB91_66 Depth=2
	s_or_b32 exec_lo, exec_lo, s16
	s_delay_alu instid0(SALU_CYCLE_1)
	s_mov_b32 s16, exec_lo
	v_cmpx_gt_u32_e64 s42, v74
	s_cbranch_execz .LBB91_174
.LBB91_72:                              ;   in Loop: Header=BB91_66 Depth=2
	global_load_u8 v2, v[22:23], off offset:64
	v_lshrrev_b32_e32 v24, 16, v20
	s_delay_alu instid0(VALU_DEP_1) | instskip(SKIP_1) | instid1(VALU_DEP_1)
	v_and_b32_e32 v24, 0xffffff00, v24
	s_waitcnt vmcnt(0)
	v_or_b32_e32 v2, v2, v24
	s_delay_alu instid0(VALU_DEP_1) | instskip(NEXT) | instid1(VALU_DEP_1)
	v_lshlrev_b32_e32 v2, 16, v2
	v_and_or_b32 v20, 0xffff, v20, v2
	s_or_b32 exec_lo, exec_lo, s16
	s_delay_alu instid0(SALU_CYCLE_1)
	s_mov_b32 s16, exec_lo
	v_cmpx_gt_u32_e64 s42, v75
	s_cbranch_execnz .LBB91_175
.LBB91_73:                              ;   in Loop: Header=BB91_66 Depth=2
	s_or_b32 exec_lo, exec_lo, s16
	s_delay_alu instid0(SALU_CYCLE_1)
	s_mov_b32 s16, exec_lo
	v_cmpx_gt_u32_e64 s42, v76
	s_cbranch_execz .LBB91_176
.LBB91_74:                              ;   in Loop: Header=BB91_66 Depth=2
	global_load_u8 v2, v[22:23], off offset:128
	s_waitcnt vmcnt(0)
	v_perm_b32 v21, v2, v21, 0x3020104
	s_or_b32 exec_lo, exec_lo, s16
	s_delay_alu instid0(SALU_CYCLE_1)
	s_mov_b32 s16, exec_lo
	v_cmpx_gt_u32_e64 s42, v77
	s_cbranch_execnz .LBB91_177
.LBB91_75:                              ;   in Loop: Header=BB91_66 Depth=2
	s_or_b32 exec_lo, exec_lo, s16
	s_delay_alu instid0(SALU_CYCLE_1)
	s_mov_b32 s16, exec_lo
	v_cmpx_gt_u32_e64 s42, v78
	s_cbranch_execz .LBB91_77
.LBB91_76:                              ;   in Loop: Header=BB91_66 Depth=2
	global_load_u8 v2, v[22:23], off offset:192
	s_waitcnt vmcnt(0)
	v_perm_b32 v21, v21, v2, 0x7000504
.LBB91_77:                              ;   in Loop: Header=BB91_66 Depth=2
	s_or_b32 exec_lo, exec_lo, s16
	v_cmp_gt_u32_e64 s19, s42, v79
	s_sub_i32 s18, s33, s24
	s_mov_b64 s[16:17], s[24:25]
.LBB91_78:                              ;   in Loop: Header=BB91_66 Depth=2
	v_mov_b32_e32 v2, s42
	s_delay_alu instid0(VALU_DEP_2)
	s_and_saveexec_b32 s20, s19
	s_cbranch_execz .LBB91_80
; %bb.79:                               ;   in Loop: Header=BB91_66 Depth=2
	v_add_co_u32 v22, vcc_lo, v81, s16
	v_add_co_ci_u32_e32 v23, vcc_lo, s17, v82, vcc_lo
	global_load_u8 v2, v[22:23], off
	s_waitcnt vmcnt(0)
	v_perm_b32 v21, v21, v2, 0x60504
	v_mov_b32_e32 v2, s18
.LBB91_80:                              ;   in Loop: Header=BB91_66 Depth=2
	s_or_b32 exec_lo, exec_lo, s20
	v_xor_b32_e32 v91, -1, v20
	ds_store_b32 v46, v3 offset:1056
	ds_store_2addr_b32 v47, v3, v3 offset0:1 offset1:2
	ds_store_2addr_b32 v47, v3, v3 offset0:3 offset1:4
	;; [unrolled: 1-line block ×4, first 2 shown]
	s_waitcnt lgkmcnt(0)
	s_barrier
	v_and_b32_e32 v22, 0xff, v91
	buffer_gl0_inv
	; wave barrier
	v_lshrrev_b32_e32 v22, s30, v22
	s_delay_alu instid0(VALU_DEP_1) | instskip(NEXT) | instid1(VALU_DEP_1)
	v_and_b32_e32 v23, s31, v22
	v_and_b32_e32 v22, 1, v23
	v_lshlrev_b32_e32 v24, 30, v23
	v_lshlrev_b32_e32 v25, 29, v23
	;; [unrolled: 1-line block ×4, first 2 shown]
	v_add_co_u32 v22, s16, v22, -1
	s_delay_alu instid0(VALU_DEP_1)
	v_cndmask_b32_e64 v27, 0, 1, s16
	v_not_b32_e32 v95, v24
	v_cmp_gt_i32_e64 s16, 0, v24
	v_not_b32_e32 v24, v25
	v_lshlrev_b32_e32 v93, 26, v23
	v_cmp_ne_u32_e32 vcc_lo, 0, v27
	v_ashrrev_i32_e32 v95, 31, v95
	v_lshlrev_b32_e32 v94, 25, v23
	v_ashrrev_i32_e32 v24, 31, v24
	v_lshlrev_b32_e32 v27, 24, v23
	v_xor_b32_e32 v22, vcc_lo, v22
	v_cmp_gt_i32_e32 vcc_lo, 0, v25
	v_not_b32_e32 v25, v26
	v_xor_b32_e32 v95, s16, v95
	v_cmp_gt_i32_e64 s16, 0, v26
	v_and_b32_e32 v22, exec_lo, v22
	v_not_b32_e32 v26, v92
	v_ashrrev_i32_e32 v25, 31, v25
	v_xor_b32_e32 v24, vcc_lo, v24
	v_cmp_gt_i32_e32 vcc_lo, 0, v92
	v_and_b32_e32 v22, v22, v95
	v_not_b32_e32 v92, v93
	v_ashrrev_i32_e32 v26, 31, v26
	v_xor_b32_e32 v25, s16, v25
	v_cmp_gt_i32_e64 s16, 0, v93
	v_and_b32_e32 v22, v22, v24
	v_not_b32_e32 v24, v94
	v_ashrrev_i32_e32 v92, 31, v92
	v_xor_b32_e32 v26, vcc_lo, v26
	v_cmp_gt_i32_e32 vcc_lo, 0, v94
	v_and_b32_e32 v22, v22, v25
	v_not_b32_e32 v25, v27
	v_ashrrev_i32_e32 v24, 31, v24
	v_xor_b32_e32 v92, s16, v92
	v_cmp_gt_i32_e64 s16, 0, v27
	v_and_b32_e32 v22, v22, v26
	v_ashrrev_i32_e32 v25, 31, v25
	v_xor_b32_e32 v24, vcc_lo, v24
	v_mad_u32_u24 v23, v23, 9, v80
	s_delay_alu instid0(VALU_DEP_4) | instskip(NEXT) | instid1(VALU_DEP_4)
	v_and_b32_e32 v22, v22, v92
	v_xor_b32_e32 v25, s16, v25
	s_delay_alu instid0(VALU_DEP_3) | instskip(NEXT) | instid1(VALU_DEP_3)
	v_lshl_add_u32 v94, v23, 2, 0x420
	v_and_b32_e32 v22, v22, v24
	s_delay_alu instid0(VALU_DEP_1) | instskip(NEXT) | instid1(VALU_DEP_1)
	v_and_b32_e32 v22, v22, v25
	v_mbcnt_lo_u32_b32 v92, v22, 0
	v_cmp_ne_u32_e64 s16, 0, v22
	s_delay_alu instid0(VALU_DEP_2) | instskip(NEXT) | instid1(VALU_DEP_2)
	v_cmp_eq_u32_e32 vcc_lo, 0, v92
	s_and_b32 s17, s16, vcc_lo
	s_delay_alu instid0(SALU_CYCLE_1)
	s_and_saveexec_b32 s16, s17
	s_cbranch_execz .LBB91_82
; %bb.81:                               ;   in Loop: Header=BB91_66 Depth=2
	v_bcnt_u32_b32 v22, v22, 0
	ds_store_b32 v94, v22
.LBB91_82:                              ;   in Loop: Header=BB91_66 Depth=2
	s_or_b32 exec_lo, exec_lo, s16
	v_lshrrev_b32_e32 v22, 8, v20
	; wave barrier
	s_delay_alu instid0(VALU_DEP_1) | instskip(NEXT) | instid1(VALU_DEP_1)
	v_xor_b32_e32 v93, -1, v22
	v_and_b32_e32 v22, 0xff, v93
	s_delay_alu instid0(VALU_DEP_1) | instskip(NEXT) | instid1(VALU_DEP_1)
	v_lshrrev_b32_e32 v22, s30, v22
	v_and_b32_e32 v22, s31, v22
	s_delay_alu instid0(VALU_DEP_1)
	v_and_b32_e32 v23, 1, v22
	v_lshlrev_b32_e32 v24, 30, v22
	v_lshlrev_b32_e32 v25, 29, v22
	;; [unrolled: 1-line block ×4, first 2 shown]
	v_add_co_u32 v23, s16, v23, -1
	s_delay_alu instid0(VALU_DEP_1)
	v_cndmask_b32_e64 v27, 0, 1, s16
	v_not_b32_e32 v98, v24
	v_cmp_gt_i32_e64 s16, 0, v24
	v_not_b32_e32 v24, v25
	v_lshlrev_b32_e32 v96, 26, v22
	v_cmp_ne_u32_e32 vcc_lo, 0, v27
	v_ashrrev_i32_e32 v98, 31, v98
	v_lshlrev_b32_e32 v97, 25, v22
	v_ashrrev_i32_e32 v24, 31, v24
	v_lshlrev_b32_e32 v27, 24, v22
	v_xor_b32_e32 v23, vcc_lo, v23
	v_cmp_gt_i32_e32 vcc_lo, 0, v25
	v_not_b32_e32 v25, v26
	v_xor_b32_e32 v98, s16, v98
	v_cmp_gt_i32_e64 s16, 0, v26
	v_and_b32_e32 v23, exec_lo, v23
	v_not_b32_e32 v26, v95
	v_ashrrev_i32_e32 v25, 31, v25
	v_xor_b32_e32 v24, vcc_lo, v24
	v_cmp_gt_i32_e32 vcc_lo, 0, v95
	v_and_b32_e32 v23, v23, v98
	v_not_b32_e32 v95, v96
	v_ashrrev_i32_e32 v26, 31, v26
	v_xor_b32_e32 v25, s16, v25
	v_cmp_gt_i32_e64 s16, 0, v96
	v_and_b32_e32 v23, v23, v24
	v_not_b32_e32 v24, v97
	v_ashrrev_i32_e32 v95, 31, v95
	v_xor_b32_e32 v26, vcc_lo, v26
	v_cmp_gt_i32_e32 vcc_lo, 0, v97
	v_and_b32_e32 v23, v23, v25
	v_not_b32_e32 v25, v27
	v_ashrrev_i32_e32 v24, 31, v24
	v_xor_b32_e32 v95, s16, v95
	v_mul_u32_u24_e32 v22, 9, v22
	v_and_b32_e32 v23, v23, v26
	v_cmp_gt_i32_e64 s16, 0, v27
	v_ashrrev_i32_e32 v25, 31, v25
	v_xor_b32_e32 v24, vcc_lo, v24
	v_add_lshl_u32 v26, v22, v80, 2
	v_and_b32_e32 v23, v23, v95
	s_delay_alu instid0(VALU_DEP_4) | instskip(SKIP_3) | instid1(VALU_DEP_2)
	v_xor_b32_e32 v22, s16, v25
	ds_load_b32 v95, v26 offset:1056
	v_and_b32_e32 v23, v23, v24
	v_add_nc_u32_e32 v98, 0x420, v26
	; wave barrier
	v_and_b32_e32 v22, v23, v22
	s_delay_alu instid0(VALU_DEP_1) | instskip(SKIP_1) | instid1(VALU_DEP_2)
	v_mbcnt_lo_u32_b32 v96, v22, 0
	v_cmp_ne_u32_e64 s16, 0, v22
	v_cmp_eq_u32_e32 vcc_lo, 0, v96
	s_delay_alu instid0(VALU_DEP_2) | instskip(NEXT) | instid1(SALU_CYCLE_1)
	s_and_b32 s17, s16, vcc_lo
	s_and_saveexec_b32 s16, s17
	s_cbranch_execz .LBB91_84
; %bb.83:                               ;   in Loop: Header=BB91_66 Depth=2
	s_waitcnt lgkmcnt(0)
	v_bcnt_u32_b32 v22, v22, v95
	ds_store_b32 v98, v22
.LBB91_84:                              ;   in Loop: Header=BB91_66 Depth=2
	s_or_b32 exec_lo, exec_lo, s16
	v_lshrrev_b32_e32 v22, 16, v20
	; wave barrier
	s_delay_alu instid0(VALU_DEP_1) | instskip(NEXT) | instid1(VALU_DEP_1)
	v_xor_b32_e32 v97, -1, v22
	v_and_b32_e32 v22, 0xff, v97
	s_delay_alu instid0(VALU_DEP_1) | instskip(NEXT) | instid1(VALU_DEP_1)
	v_lshrrev_b32_e32 v22, s30, v22
	v_and_b32_e32 v22, s31, v22
	s_delay_alu instid0(VALU_DEP_1)
	v_and_b32_e32 v23, 1, v22
	v_lshlrev_b32_e32 v24, 30, v22
	v_lshlrev_b32_e32 v25, 29, v22
	;; [unrolled: 1-line block ×4, first 2 shown]
	v_add_co_u32 v23, s16, v23, -1
	s_delay_alu instid0(VALU_DEP_1)
	v_cndmask_b32_e64 v27, 0, 1, s16
	v_not_b32_e32 v102, v24
	v_cmp_gt_i32_e64 s16, 0, v24
	v_not_b32_e32 v24, v25
	v_lshlrev_b32_e32 v100, 26, v22
	v_cmp_ne_u32_e32 vcc_lo, 0, v27
	v_ashrrev_i32_e32 v102, 31, v102
	v_lshlrev_b32_e32 v101, 25, v22
	v_ashrrev_i32_e32 v24, 31, v24
	v_lshlrev_b32_e32 v27, 24, v22
	v_xor_b32_e32 v23, vcc_lo, v23
	v_cmp_gt_i32_e32 vcc_lo, 0, v25
	v_not_b32_e32 v25, v26
	v_xor_b32_e32 v102, s16, v102
	v_cmp_gt_i32_e64 s16, 0, v26
	v_and_b32_e32 v23, exec_lo, v23
	v_not_b32_e32 v26, v99
	v_ashrrev_i32_e32 v25, 31, v25
	v_xor_b32_e32 v24, vcc_lo, v24
	v_cmp_gt_i32_e32 vcc_lo, 0, v99
	v_and_b32_e32 v23, v23, v102
	v_not_b32_e32 v99, v100
	v_ashrrev_i32_e32 v26, 31, v26
	v_xor_b32_e32 v25, s16, v25
	v_cmp_gt_i32_e64 s16, 0, v100
	v_and_b32_e32 v23, v23, v24
	v_not_b32_e32 v24, v101
	v_ashrrev_i32_e32 v99, 31, v99
	v_xor_b32_e32 v26, vcc_lo, v26
	v_cmp_gt_i32_e32 vcc_lo, 0, v101
	v_and_b32_e32 v23, v23, v25
	v_not_b32_e32 v25, v27
	v_ashrrev_i32_e32 v24, 31, v24
	v_xor_b32_e32 v99, s16, v99
	v_mul_u32_u24_e32 v22, 9, v22
	v_and_b32_e32 v23, v23, v26
	v_cmp_gt_i32_e64 s16, 0, v27
	v_ashrrev_i32_e32 v25, 31, v25
	v_xor_b32_e32 v24, vcc_lo, v24
	v_add_lshl_u32 v26, v22, v80, 2
	v_and_b32_e32 v23, v23, v99
	s_delay_alu instid0(VALU_DEP_4) | instskip(SKIP_3) | instid1(VALU_DEP_2)
	v_xor_b32_e32 v22, s16, v25
	ds_load_b32 v99, v26 offset:1056
	v_and_b32_e32 v23, v23, v24
	v_add_nc_u32_e32 v102, 0x420, v26
	; wave barrier
	v_and_b32_e32 v22, v23, v22
	s_delay_alu instid0(VALU_DEP_1) | instskip(SKIP_1) | instid1(VALU_DEP_2)
	v_mbcnt_lo_u32_b32 v100, v22, 0
	v_cmp_ne_u32_e64 s16, 0, v22
	v_cmp_eq_u32_e32 vcc_lo, 0, v100
	s_delay_alu instid0(VALU_DEP_2) | instskip(NEXT) | instid1(SALU_CYCLE_1)
	s_and_b32 s17, s16, vcc_lo
	s_and_saveexec_b32 s16, s17
	s_cbranch_execz .LBB91_86
; %bb.85:                               ;   in Loop: Header=BB91_66 Depth=2
	s_waitcnt lgkmcnt(0)
	v_bcnt_u32_b32 v22, v22, v99
	ds_store_b32 v102, v22
.LBB91_86:                              ;   in Loop: Header=BB91_66 Depth=2
	s_or_b32 exec_lo, exec_lo, s16
	v_lshrrev_b64 v[22:23], 24, v[20:21]
	; wave barrier
	s_delay_alu instid0(VALU_DEP_1) | instskip(NEXT) | instid1(VALU_DEP_1)
	v_xor_b32_e32 v101, -1, v22
	v_and_b32_e32 v20, 0xff, v101
	s_delay_alu instid0(VALU_DEP_1) | instskip(NEXT) | instid1(VALU_DEP_1)
	v_lshrrev_b32_e32 v20, s30, v20
	v_and_b32_e32 v20, s31, v20
	s_delay_alu instid0(VALU_DEP_1)
	v_and_b32_e32 v22, 1, v20
	v_lshlrev_b32_e32 v23, 30, v20
	v_lshlrev_b32_e32 v24, 29, v20
	;; [unrolled: 1-line block ×4, first 2 shown]
	v_add_co_u32 v22, s16, v22, -1
	s_delay_alu instid0(VALU_DEP_1)
	v_cndmask_b32_e64 v26, 0, 1, s16
	v_not_b32_e32 v105, v23
	v_cmp_gt_i32_e64 s16, 0, v23
	v_not_b32_e32 v23, v24
	v_lshlrev_b32_e32 v103, 26, v20
	v_cmp_ne_u32_e32 vcc_lo, 0, v26
	v_ashrrev_i32_e32 v105, 31, v105
	v_lshlrev_b32_e32 v104, 25, v20
	v_ashrrev_i32_e32 v23, 31, v23
	v_lshlrev_b32_e32 v26, 24, v20
	v_xor_b32_e32 v22, vcc_lo, v22
	v_cmp_gt_i32_e32 vcc_lo, 0, v24
	v_not_b32_e32 v24, v25
	v_xor_b32_e32 v105, s16, v105
	v_cmp_gt_i32_e64 s16, 0, v25
	v_and_b32_e32 v22, exec_lo, v22
	v_not_b32_e32 v25, v27
	v_ashrrev_i32_e32 v24, 31, v24
	v_xor_b32_e32 v23, vcc_lo, v23
	v_cmp_gt_i32_e32 vcc_lo, 0, v27
	v_and_b32_e32 v22, v22, v105
	v_not_b32_e32 v27, v103
	v_ashrrev_i32_e32 v25, 31, v25
	v_xor_b32_e32 v24, s16, v24
	v_cmp_gt_i32_e64 s16, 0, v103
	v_and_b32_e32 v22, v22, v23
	v_not_b32_e32 v23, v104
	v_ashrrev_i32_e32 v27, 31, v27
	v_xor_b32_e32 v25, vcc_lo, v25
	v_cmp_gt_i32_e32 vcc_lo, 0, v104
	v_and_b32_e32 v22, v22, v24
	v_not_b32_e32 v24, v26
	v_ashrrev_i32_e32 v23, 31, v23
	v_xor_b32_e32 v27, s16, v27
	v_mul_u32_u24_e32 v20, 9, v20
	v_and_b32_e32 v22, v22, v25
	v_cmp_gt_i32_e64 s16, 0, v26
	v_ashrrev_i32_e32 v24, 31, v24
	v_xor_b32_e32 v23, vcc_lo, v23
	v_add_lshl_u32 v25, v20, v80, 2
	v_and_b32_e32 v22, v22, v27
	s_delay_alu instid0(VALU_DEP_4) | instskip(SKIP_3) | instid1(VALU_DEP_2)
	v_xor_b32_e32 v20, s16, v24
	ds_load_b32 v103, v25 offset:1056
	v_and_b32_e32 v22, v22, v23
	v_add_nc_u32_e32 v106, 0x420, v25
	; wave barrier
	v_and_b32_e32 v20, v22, v20
	s_delay_alu instid0(VALU_DEP_1) | instskip(SKIP_1) | instid1(VALU_DEP_2)
	v_mbcnt_lo_u32_b32 v104, v20, 0
	v_cmp_ne_u32_e64 s16, 0, v20
	v_cmp_eq_u32_e32 vcc_lo, 0, v104
	s_delay_alu instid0(VALU_DEP_2) | instskip(NEXT) | instid1(SALU_CYCLE_1)
	s_and_b32 s17, s16, vcc_lo
	s_and_saveexec_b32 s16, s17
	s_cbranch_execz .LBB91_88
; %bb.87:                               ;   in Loop: Header=BB91_66 Depth=2
	s_waitcnt lgkmcnt(0)
	v_bcnt_u32_b32 v20, v20, v103
	ds_store_b32 v106, v20
.LBB91_88:                              ;   in Loop: Header=BB91_66 Depth=2
	s_or_b32 exec_lo, exec_lo, s16
	v_xor_b32_e32 v105, -1, v21
	; wave barrier
	s_delay_alu instid0(VALU_DEP_1) | instskip(NEXT) | instid1(VALU_DEP_1)
	v_and_b32_e32 v20, 0xff, v105
	v_lshrrev_b32_e32 v20, s30, v20
	s_delay_alu instid0(VALU_DEP_1) | instskip(NEXT) | instid1(VALU_DEP_1)
	v_and_b32_e32 v20, s31, v20
	v_and_b32_e32 v22, 1, v20
	v_lshlrev_b32_e32 v23, 30, v20
	v_lshlrev_b32_e32 v24, 29, v20
	;; [unrolled: 1-line block ×4, first 2 shown]
	v_add_co_u32 v22, s16, v22, -1
	s_delay_alu instid0(VALU_DEP_1)
	v_cndmask_b32_e64 v26, 0, 1, s16
	v_not_b32_e32 v109, v23
	v_cmp_gt_i32_e64 s16, 0, v23
	v_not_b32_e32 v23, v24
	v_lshlrev_b32_e32 v107, 26, v20
	v_cmp_ne_u32_e32 vcc_lo, 0, v26
	v_ashrrev_i32_e32 v109, 31, v109
	v_lshlrev_b32_e32 v108, 25, v20
	v_ashrrev_i32_e32 v23, 31, v23
	v_lshlrev_b32_e32 v26, 24, v20
	v_xor_b32_e32 v22, vcc_lo, v22
	v_cmp_gt_i32_e32 vcc_lo, 0, v24
	v_not_b32_e32 v24, v25
	v_xor_b32_e32 v109, s16, v109
	v_cmp_gt_i32_e64 s16, 0, v25
	v_and_b32_e32 v22, exec_lo, v22
	v_not_b32_e32 v25, v27
	v_ashrrev_i32_e32 v24, 31, v24
	v_xor_b32_e32 v23, vcc_lo, v23
	v_cmp_gt_i32_e32 vcc_lo, 0, v27
	v_and_b32_e32 v22, v22, v109
	v_not_b32_e32 v27, v107
	v_ashrrev_i32_e32 v25, 31, v25
	v_xor_b32_e32 v24, s16, v24
	v_cmp_gt_i32_e64 s16, 0, v107
	v_and_b32_e32 v22, v22, v23
	v_not_b32_e32 v23, v108
	v_ashrrev_i32_e32 v27, 31, v27
	v_xor_b32_e32 v25, vcc_lo, v25
	v_cmp_gt_i32_e32 vcc_lo, 0, v108
	v_and_b32_e32 v22, v22, v24
	v_not_b32_e32 v24, v26
	v_ashrrev_i32_e32 v23, 31, v23
	v_xor_b32_e32 v27, s16, v27
	v_mul_u32_u24_e32 v20, 9, v20
	v_and_b32_e32 v22, v22, v25
	v_cmp_gt_i32_e64 s16, 0, v26
	v_ashrrev_i32_e32 v24, 31, v24
	v_xor_b32_e32 v23, vcc_lo, v23
	v_add_lshl_u32 v25, v20, v80, 2
	v_and_b32_e32 v22, v22, v27
	s_delay_alu instid0(VALU_DEP_4) | instskip(SKIP_3) | instid1(VALU_DEP_2)
	v_xor_b32_e32 v20, s16, v24
	ds_load_b32 v107, v25 offset:1056
	v_and_b32_e32 v22, v22, v23
	v_add_nc_u32_e32 v110, 0x420, v25
	; wave barrier
	v_and_b32_e32 v20, v22, v20
	s_delay_alu instid0(VALU_DEP_1) | instskip(SKIP_1) | instid1(VALU_DEP_2)
	v_mbcnt_lo_u32_b32 v108, v20, 0
	v_cmp_ne_u32_e64 s16, 0, v20
	v_cmp_eq_u32_e32 vcc_lo, 0, v108
	s_delay_alu instid0(VALU_DEP_2) | instskip(NEXT) | instid1(SALU_CYCLE_1)
	s_and_b32 s17, s16, vcc_lo
	s_and_saveexec_b32 s16, s17
	s_cbranch_execz .LBB91_90
; %bb.89:                               ;   in Loop: Header=BB91_66 Depth=2
	s_waitcnt lgkmcnt(0)
	v_bcnt_u32_b32 v20, v20, v107
	ds_store_b32 v110, v20
.LBB91_90:                              ;   in Loop: Header=BB91_66 Depth=2
	s_or_b32 exec_lo, exec_lo, s16
	v_lshrrev_b32_e32 v20, 8, v21
	; wave barrier
	s_delay_alu instid0(VALU_DEP_1) | instskip(NEXT) | instid1(VALU_DEP_1)
	v_xor_b32_e32 v109, -1, v20
	v_and_b32_e32 v20, 0xff, v109
	s_delay_alu instid0(VALU_DEP_1) | instskip(NEXT) | instid1(VALU_DEP_1)
	v_lshrrev_b32_e32 v20, s30, v20
	v_and_b32_e32 v20, s31, v20
	s_delay_alu instid0(VALU_DEP_1)
	v_and_b32_e32 v22, 1, v20
	v_lshlrev_b32_e32 v23, 30, v20
	v_lshlrev_b32_e32 v24, 29, v20
	;; [unrolled: 1-line block ×4, first 2 shown]
	v_add_co_u32 v22, s16, v22, -1
	s_delay_alu instid0(VALU_DEP_1)
	v_cndmask_b32_e64 v26, 0, 1, s16
	v_not_b32_e32 v113, v23
	v_cmp_gt_i32_e64 s16, 0, v23
	v_not_b32_e32 v23, v24
	v_lshlrev_b32_e32 v111, 26, v20
	v_cmp_ne_u32_e32 vcc_lo, 0, v26
	v_ashrrev_i32_e32 v113, 31, v113
	v_lshlrev_b32_e32 v112, 25, v20
	v_ashrrev_i32_e32 v23, 31, v23
	v_lshlrev_b32_e32 v26, 24, v20
	v_xor_b32_e32 v22, vcc_lo, v22
	v_cmp_gt_i32_e32 vcc_lo, 0, v24
	v_not_b32_e32 v24, v25
	v_xor_b32_e32 v113, s16, v113
	v_cmp_gt_i32_e64 s16, 0, v25
	v_and_b32_e32 v22, exec_lo, v22
	v_not_b32_e32 v25, v27
	v_ashrrev_i32_e32 v24, 31, v24
	v_xor_b32_e32 v23, vcc_lo, v23
	v_cmp_gt_i32_e32 vcc_lo, 0, v27
	v_and_b32_e32 v22, v22, v113
	v_not_b32_e32 v27, v111
	v_ashrrev_i32_e32 v25, 31, v25
	v_xor_b32_e32 v24, s16, v24
	v_cmp_gt_i32_e64 s16, 0, v111
	v_and_b32_e32 v22, v22, v23
	v_not_b32_e32 v23, v112
	v_ashrrev_i32_e32 v27, 31, v27
	v_xor_b32_e32 v25, vcc_lo, v25
	v_cmp_gt_i32_e32 vcc_lo, 0, v112
	v_and_b32_e32 v22, v22, v24
	v_not_b32_e32 v24, v26
	v_ashrrev_i32_e32 v23, 31, v23
	v_xor_b32_e32 v27, s16, v27
	v_mul_u32_u24_e32 v20, 9, v20
	v_and_b32_e32 v22, v22, v25
	v_cmp_gt_i32_e64 s16, 0, v26
	v_ashrrev_i32_e32 v24, 31, v24
	v_xor_b32_e32 v23, vcc_lo, v23
	v_add_lshl_u32 v25, v20, v80, 2
	v_and_b32_e32 v22, v22, v27
	s_delay_alu instid0(VALU_DEP_4) | instskip(SKIP_3) | instid1(VALU_DEP_2)
	v_xor_b32_e32 v20, s16, v24
	ds_load_b32 v111, v25 offset:1056
	v_and_b32_e32 v22, v22, v23
	v_add_nc_u32_e32 v114, 0x420, v25
	; wave barrier
	v_and_b32_e32 v20, v22, v20
	s_delay_alu instid0(VALU_DEP_1) | instskip(SKIP_1) | instid1(VALU_DEP_2)
	v_mbcnt_lo_u32_b32 v112, v20, 0
	v_cmp_ne_u32_e64 s16, 0, v20
	v_cmp_eq_u32_e32 vcc_lo, 0, v112
	s_delay_alu instid0(VALU_DEP_2) | instskip(NEXT) | instid1(SALU_CYCLE_1)
	s_and_b32 s17, s16, vcc_lo
	s_and_saveexec_b32 s16, s17
	s_cbranch_execz .LBB91_92
; %bb.91:                               ;   in Loop: Header=BB91_66 Depth=2
	s_waitcnt lgkmcnt(0)
	v_bcnt_u32_b32 v20, v20, v111
	ds_store_b32 v114, v20
.LBB91_92:                              ;   in Loop: Header=BB91_66 Depth=2
	s_or_b32 exec_lo, exec_lo, s16
	v_lshrrev_b32_e32 v20, 16, v21
	; wave barrier
	s_delay_alu instid0(VALU_DEP_1) | instskip(NEXT) | instid1(VALU_DEP_1)
	v_xor_b32_e32 v113, -1, v20
	v_and_b32_e32 v20, 0xff, v113
	s_delay_alu instid0(VALU_DEP_1) | instskip(NEXT) | instid1(VALU_DEP_1)
	v_lshrrev_b32_e32 v20, s30, v20
	v_and_b32_e32 v20, s31, v20
	s_delay_alu instid0(VALU_DEP_1)
	v_and_b32_e32 v22, 1, v20
	v_lshlrev_b32_e32 v23, 30, v20
	v_lshlrev_b32_e32 v24, 29, v20
	;; [unrolled: 1-line block ×4, first 2 shown]
	v_add_co_u32 v22, s16, v22, -1
	s_delay_alu instid0(VALU_DEP_1)
	v_cndmask_b32_e64 v26, 0, 1, s16
	v_not_b32_e32 v117, v23
	v_cmp_gt_i32_e64 s16, 0, v23
	v_not_b32_e32 v23, v24
	v_lshlrev_b32_e32 v115, 26, v20
	v_cmp_ne_u32_e32 vcc_lo, 0, v26
	v_ashrrev_i32_e32 v117, 31, v117
	v_lshlrev_b32_e32 v116, 25, v20
	v_ashrrev_i32_e32 v23, 31, v23
	v_lshlrev_b32_e32 v26, 24, v20
	v_xor_b32_e32 v22, vcc_lo, v22
	v_cmp_gt_i32_e32 vcc_lo, 0, v24
	v_not_b32_e32 v24, v25
	v_xor_b32_e32 v117, s16, v117
	v_cmp_gt_i32_e64 s16, 0, v25
	v_and_b32_e32 v22, exec_lo, v22
	v_not_b32_e32 v25, v27
	v_ashrrev_i32_e32 v24, 31, v24
	v_xor_b32_e32 v23, vcc_lo, v23
	v_cmp_gt_i32_e32 vcc_lo, 0, v27
	v_and_b32_e32 v22, v22, v117
	v_not_b32_e32 v27, v115
	v_ashrrev_i32_e32 v25, 31, v25
	v_xor_b32_e32 v24, s16, v24
	v_cmp_gt_i32_e64 s16, 0, v115
	v_and_b32_e32 v22, v22, v23
	v_not_b32_e32 v23, v116
	v_ashrrev_i32_e32 v27, 31, v27
	v_xor_b32_e32 v25, vcc_lo, v25
	v_cmp_gt_i32_e32 vcc_lo, 0, v116
	v_and_b32_e32 v22, v22, v24
	v_not_b32_e32 v24, v26
	v_ashrrev_i32_e32 v23, 31, v23
	v_xor_b32_e32 v27, s16, v27
	v_mul_u32_u24_e32 v20, 9, v20
	v_and_b32_e32 v22, v22, v25
	v_cmp_gt_i32_e64 s16, 0, v26
	v_ashrrev_i32_e32 v24, 31, v24
	v_xor_b32_e32 v23, vcc_lo, v23
	v_add_lshl_u32 v25, v20, v80, 2
	v_and_b32_e32 v22, v22, v27
	s_delay_alu instid0(VALU_DEP_4) | instskip(SKIP_3) | instid1(VALU_DEP_2)
	v_xor_b32_e32 v20, s16, v24
	ds_load_b32 v115, v25 offset:1056
	v_and_b32_e32 v22, v22, v23
	v_add_nc_u32_e32 v118, 0x420, v25
	; wave barrier
	v_and_b32_e32 v20, v22, v20
	s_delay_alu instid0(VALU_DEP_1) | instskip(SKIP_1) | instid1(VALU_DEP_2)
	v_mbcnt_lo_u32_b32 v116, v20, 0
	v_cmp_ne_u32_e64 s16, 0, v20
	v_cmp_eq_u32_e32 vcc_lo, 0, v116
	s_delay_alu instid0(VALU_DEP_2) | instskip(NEXT) | instid1(SALU_CYCLE_1)
	s_and_b32 s17, s16, vcc_lo
	s_and_saveexec_b32 s16, s17
	s_cbranch_execz .LBB91_94
; %bb.93:                               ;   in Loop: Header=BB91_66 Depth=2
	s_waitcnt lgkmcnt(0)
	v_bcnt_u32_b32 v20, v20, v115
	ds_store_b32 v118, v20
.LBB91_94:                              ;   in Loop: Header=BB91_66 Depth=2
	s_or_b32 exec_lo, exec_lo, s16
	v_lshrrev_b32_e32 v20, 24, v21
	; wave barrier
	s_delay_alu instid0(VALU_DEP_1) | instskip(NEXT) | instid1(VALU_DEP_1)
	v_xor_b32_e32 v117, -1, v20
	v_and_b32_e32 v20, 0xff, v117
	s_delay_alu instid0(VALU_DEP_1) | instskip(NEXT) | instid1(VALU_DEP_1)
	v_lshrrev_b32_e32 v20, s30, v20
	v_and_b32_e32 v20, s31, v20
	s_delay_alu instid0(VALU_DEP_1)
	v_and_b32_e32 v21, 1, v20
	v_lshlrev_b32_e32 v22, 30, v20
	v_lshlrev_b32_e32 v23, 29, v20
	;; [unrolled: 1-line block ×4, first 2 shown]
	v_add_co_u32 v21, s16, v21, -1
	s_delay_alu instid0(VALU_DEP_1)
	v_cndmask_b32_e64 v25, 0, 1, s16
	v_not_b32_e32 v120, v22
	v_cmp_gt_i32_e64 s16, 0, v22
	v_not_b32_e32 v22, v23
	v_lshlrev_b32_e32 v27, 26, v20
	v_cmp_ne_u32_e32 vcc_lo, 0, v25
	v_ashrrev_i32_e32 v120, 31, v120
	v_lshlrev_b32_e32 v119, 25, v20
	v_ashrrev_i32_e32 v22, 31, v22
	v_lshlrev_b32_e32 v25, 24, v20
	v_xor_b32_e32 v21, vcc_lo, v21
	v_cmp_gt_i32_e32 vcc_lo, 0, v23
	v_not_b32_e32 v23, v24
	v_xor_b32_e32 v120, s16, v120
	v_cmp_gt_i32_e64 s16, 0, v24
	v_and_b32_e32 v21, exec_lo, v21
	v_not_b32_e32 v24, v26
	v_ashrrev_i32_e32 v23, 31, v23
	v_xor_b32_e32 v22, vcc_lo, v22
	v_cmp_gt_i32_e32 vcc_lo, 0, v26
	v_and_b32_e32 v21, v21, v120
	v_not_b32_e32 v26, v27
	v_ashrrev_i32_e32 v24, 31, v24
	v_xor_b32_e32 v23, s16, v23
	v_cmp_gt_i32_e64 s16, 0, v27
	v_and_b32_e32 v21, v21, v22
	v_not_b32_e32 v22, v119
	v_ashrrev_i32_e32 v26, 31, v26
	v_xor_b32_e32 v24, vcc_lo, v24
	v_cmp_gt_i32_e32 vcc_lo, 0, v119
	v_and_b32_e32 v21, v21, v23
	v_not_b32_e32 v23, v25
	v_ashrrev_i32_e32 v22, 31, v22
	v_xor_b32_e32 v26, s16, v26
	v_mul_u32_u24_e32 v20, 9, v20
	v_and_b32_e32 v21, v21, v24
	v_cmp_gt_i32_e64 s16, 0, v25
	v_ashrrev_i32_e32 v23, 31, v23
	v_xor_b32_e32 v22, vcc_lo, v22
	v_add_lshl_u32 v24, v20, v80, 2
	v_and_b32_e32 v21, v21, v26
	s_delay_alu instid0(VALU_DEP_4) | instskip(SKIP_3) | instid1(VALU_DEP_2)
	v_xor_b32_e32 v20, s16, v23
	ds_load_b32 v119, v24 offset:1056
	v_and_b32_e32 v21, v21, v22
	v_add_nc_u32_e32 v121, 0x420, v24
	; wave barrier
	v_and_b32_e32 v20, v21, v20
	s_delay_alu instid0(VALU_DEP_1) | instskip(SKIP_1) | instid1(VALU_DEP_2)
	v_mbcnt_lo_u32_b32 v120, v20, 0
	v_cmp_ne_u32_e64 s16, 0, v20
	v_cmp_eq_u32_e32 vcc_lo, 0, v120
	s_delay_alu instid0(VALU_DEP_2) | instskip(NEXT) | instid1(SALU_CYCLE_1)
	s_and_b32 s17, s16, vcc_lo
	s_and_saveexec_b32 s16, s17
	s_cbranch_execz .LBB91_96
; %bb.95:                               ;   in Loop: Header=BB91_66 Depth=2
	s_waitcnt lgkmcnt(0)
	v_bcnt_u32_b32 v20, v20, v119
	ds_store_b32 v121, v20
.LBB91_96:                              ;   in Loop: Header=BB91_66 Depth=2
	s_or_b32 exec_lo, exec_lo, s16
	; wave barrier
	s_waitcnt lgkmcnt(0)
	s_barrier
	buffer_gl0_inv
	ds_load_b32 v122, v46 offset:1056
	ds_load_2addr_b32 v[26:27], v47 offset0:1 offset1:2
	ds_load_2addr_b32 v[24:25], v47 offset0:3 offset1:4
	ds_load_2addr_b32 v[20:21], v47 offset0:5 offset1:6
	ds_load_2addr_b32 v[22:23], v47 offset0:7 offset1:8
	s_waitcnt lgkmcnt(3)
	v_add3_u32 v123, v26, v122, v27
	s_waitcnt lgkmcnt(2)
	s_delay_alu instid0(VALU_DEP_1) | instskip(SKIP_1) | instid1(VALU_DEP_1)
	v_add3_u32 v123, v123, v24, v25
	s_waitcnt lgkmcnt(1)
	v_add3_u32 v123, v123, v20, v21
	s_waitcnt lgkmcnt(0)
	s_delay_alu instid0(VALU_DEP_1) | instskip(NEXT) | instid1(VALU_DEP_1)
	v_add3_u32 v23, v123, v22, v23
	v_mov_b32_dpp v123, v23 row_shr:1 row_mask:0xf bank_mask:0xf
	s_delay_alu instid0(VALU_DEP_1) | instskip(NEXT) | instid1(VALU_DEP_1)
	v_cndmask_b32_e64 v123, v123, 0, s0
	v_add_nc_u32_e32 v23, v123, v23
	s_delay_alu instid0(VALU_DEP_1) | instskip(NEXT) | instid1(VALU_DEP_1)
	v_mov_b32_dpp v123, v23 row_shr:2 row_mask:0xf bank_mask:0xf
	v_cndmask_b32_e64 v123, 0, v123, s1
	s_delay_alu instid0(VALU_DEP_1) | instskip(NEXT) | instid1(VALU_DEP_1)
	v_add_nc_u32_e32 v23, v23, v123
	v_mov_b32_dpp v123, v23 row_shr:4 row_mask:0xf bank_mask:0xf
	s_delay_alu instid0(VALU_DEP_1) | instskip(NEXT) | instid1(VALU_DEP_1)
	v_cndmask_b32_e64 v123, 0, v123, s8
	v_add_nc_u32_e32 v23, v23, v123
	s_delay_alu instid0(VALU_DEP_1) | instskip(NEXT) | instid1(VALU_DEP_1)
	v_mov_b32_dpp v123, v23 row_shr:8 row_mask:0xf bank_mask:0xf
	v_cndmask_b32_e64 v123, 0, v123, s9
	s_delay_alu instid0(VALU_DEP_1) | instskip(SKIP_3) | instid1(VALU_DEP_1)
	v_add_nc_u32_e32 v23, v23, v123
	ds_swizzle_b32 v123, v23 offset:swizzle(BROADCAST,32,15)
	s_waitcnt lgkmcnt(0)
	v_cndmask_b32_e64 v123, v123, 0, s10
	v_add_nc_u32_e32 v23, v23, v123
	s_and_saveexec_b32 s16, s3
	s_cbranch_execz .LBB91_98
; %bb.97:                               ;   in Loop: Header=BB91_66 Depth=2
	ds_store_b32 v38, v23 offset:1024
.LBB91_98:                              ;   in Loop: Header=BB91_66 Depth=2
	s_or_b32 exec_lo, exec_lo, s16
	s_waitcnt lgkmcnt(0)
	s_barrier
	buffer_gl0_inv
	s_and_saveexec_b32 s16, s4
	s_cbranch_execz .LBB91_100
; %bb.99:                               ;   in Loop: Header=BB91_66 Depth=2
	v_add_nc_u32_e32 v123, v46, v48
	ds_load_b32 v124, v123 offset:1024
	s_waitcnt lgkmcnt(0)
	v_mov_b32_dpp v125, v124 row_shr:1 row_mask:0xf bank_mask:0xf
	s_delay_alu instid0(VALU_DEP_1) | instskip(NEXT) | instid1(VALU_DEP_1)
	v_cndmask_b32_e64 v125, v125, 0, s12
	v_add_nc_u32_e32 v124, v125, v124
	s_delay_alu instid0(VALU_DEP_1) | instskip(NEXT) | instid1(VALU_DEP_1)
	v_mov_b32_dpp v125, v124 row_shr:2 row_mask:0xf bank_mask:0xf
	v_cndmask_b32_e64 v125, 0, v125, s13
	s_delay_alu instid0(VALU_DEP_1) | instskip(NEXT) | instid1(VALU_DEP_1)
	v_add_nc_u32_e32 v124, v124, v125
	v_mov_b32_dpp v125, v124 row_shr:4 row_mask:0xf bank_mask:0xf
	s_delay_alu instid0(VALU_DEP_1) | instskip(NEXT) | instid1(VALU_DEP_1)
	v_cndmask_b32_e64 v125, 0, v125, s14
	v_add_nc_u32_e32 v124, v124, v125
	ds_store_b32 v123, v124 offset:1024
.LBB91_100:                             ;   in Loop: Header=BB91_66 Depth=2
	s_or_b32 exec_lo, exec_lo, s16
	v_mov_b32_e32 v123, 0
	s_waitcnt lgkmcnt(0)
	s_barrier
	buffer_gl0_inv
	s_and_saveexec_b32 s16, s5
	s_cbranch_execz .LBB91_102
; %bb.101:                              ;   in Loop: Header=BB91_66 Depth=2
	ds_load_b32 v123, v38 offset:1020
.LBB91_102:                             ;   in Loop: Header=BB91_66 Depth=2
	s_or_b32 exec_lo, exec_lo, s16
	s_waitcnt lgkmcnt(0)
	v_add_nc_u32_e32 v23, v123, v23
	ds_bpermute_b32 v23, v69, v23
	s_waitcnt lgkmcnt(0)
	v_cndmask_b32_e64 v23, v23, v123, s11
	s_delay_alu instid0(VALU_DEP_1) | instskip(NEXT) | instid1(VALU_DEP_1)
	v_cndmask_b32_e64 v23, v23, 0, s6
	v_add_nc_u32_e32 v122, v23, v122
	s_delay_alu instid0(VALU_DEP_1) | instskip(NEXT) | instid1(VALU_DEP_1)
	v_add_nc_u32_e32 v26, v122, v26
	v_add_nc_u32_e32 v27, v26, v27
	s_delay_alu instid0(VALU_DEP_1) | instskip(NEXT) | instid1(VALU_DEP_1)
	v_add_nc_u32_e32 v24, v27, v24
	;; [unrolled: 3-line block ×3, first 2 shown]
	v_add_nc_u32_e32 v21, v20, v21
	s_delay_alu instid0(VALU_DEP_1)
	v_add_nc_u32_e32 v22, v21, v22
	ds_store_b32 v46, v23 offset:1056
	ds_store_2addr_b32 v47, v122, v26 offset0:1 offset1:2
	ds_store_2addr_b32 v47, v27, v24 offset0:3 offset1:4
	;; [unrolled: 1-line block ×4, first 2 shown]
	v_mov_b32_e32 v22, 0x800
	s_waitcnt lgkmcnt(0)
	s_barrier
	buffer_gl0_inv
	ds_load_b32 v20, v98
	ds_load_b32 v21, v102
	;; [unrolled: 1-line block ×8, first 2 shown]
	ds_load_b32 v27, v46 offset:1056
	s_and_saveexec_b32 s16, s7
	s_cbranch_execz .LBB91_104
; %bb.103:                              ;   in Loop: Header=BB91_66 Depth=2
	ds_load_b32 v22, v49 offset:1056
.LBB91_104:                             ;   in Loop: Header=BB91_66 Depth=2
	s_or_b32 exec_lo, exec_lo, s16
	s_waitcnt lgkmcnt(0)
	s_barrier
	buffer_gl0_inv
	s_and_saveexec_b32 s16, s2
	s_cbranch_execz .LBB91_106
; %bb.105:                              ;   in Loop: Header=BB91_66 Depth=2
	ds_load_b32 v94, v28
	s_waitcnt lgkmcnt(0)
	v_sub_nc_u32_e32 v27, v94, v27
	ds_store_b32 v28, v27
.LBB91_106:                             ;   in Loop: Header=BB91_66 Depth=2
	s_or_b32 exec_lo, exec_lo, s16
	v_add_nc_u32_e32 v98, v26, v92
	v_add3_u32 v94, v96, v95, v20
	v_add3_u32 v92, v100, v99, v21
	v_add3_u32 v27, v104, v103, v23
	v_add3_u32 v26, v108, v107, v24
	v_add3_u32 v25, v112, v111, v25
	v_add3_u32 v24, v116, v115, v102
	v_add3_u32 v23, v120, v119, v106
	v_cmp_lt_u32_e64 s21, v1, v2
	ds_store_b8 v98, v91 offset:1024
	ds_store_b8 v94, v93 offset:1024
	ds_store_b8 v92, v97 offset:1024
	ds_store_b8 v27, v101 offset:1024
	ds_store_b8 v26, v105 offset:1024
	ds_store_b8 v25, v109 offset:1024
	ds_store_b8 v24, v113 offset:1024
	ds_store_b8 v23, v117 offset:1024
	s_waitcnt lgkmcnt(0)
	s_barrier
	buffer_gl0_inv
	s_and_saveexec_b32 s16, s21
	s_cbranch_execz .LBB91_114
; %bb.107:                              ;   in Loop: Header=BB91_66 Depth=2
	ds_load_u8 v20, v1 offset:1024
	s_waitcnt lgkmcnt(0)
	v_and_b32_e32 v21, 0xff, v20
	v_xor_b32_e32 v20, -1, v20
	s_delay_alu instid0(VALU_DEP_2) | instskip(NEXT) | instid1(VALU_DEP_1)
	v_lshrrev_b32_e32 v21, s30, v21
	v_and_b32_e32 v21, s31, v21
	s_delay_alu instid0(VALU_DEP_1)
	v_lshlrev_b32_e32 v21, 2, v21
	ds_load_b32 v21, v21
	s_waitcnt lgkmcnt(0)
	v_add_nc_u32_e32 v21, v21, v1
	global_store_b8 v21, v20, s[38:39]
	s_or_b32 exec_lo, exec_lo, s16
	v_cmp_lt_u32_e64 s22, v29, v2
	s_delay_alu instid0(VALU_DEP_1)
	s_and_saveexec_b32 s16, s22
	s_cbranch_execnz .LBB91_115
.LBB91_108:                             ;   in Loop: Header=BB91_66 Depth=2
	s_or_b32 exec_lo, exec_lo, s16
	v_cmp_lt_u32_e64 s20, v30, v2
	s_delay_alu instid0(VALU_DEP_1)
	s_and_saveexec_b32 s16, s20
	s_cbranch_execz .LBB91_116
.LBB91_109:                             ;   in Loop: Header=BB91_66 Depth=2
	ds_load_u8 v20, v35 offset:512
	s_waitcnt lgkmcnt(0)
	v_and_b32_e32 v21, 0xff, v20
	v_xor_b32_e32 v20, -1, v20
	s_delay_alu instid0(VALU_DEP_2) | instskip(NEXT) | instid1(VALU_DEP_1)
	v_lshrrev_b32_e32 v21, s30, v21
	v_and_b32_e32 v21, s31, v21
	s_delay_alu instid0(VALU_DEP_1)
	v_lshlrev_b32_e32 v21, 2, v21
	ds_load_b32 v21, v21
	s_waitcnt lgkmcnt(0)
	v_add_nc_u32_e32 v21, v21, v30
	global_store_b8 v21, v20, s[38:39]
	s_or_b32 exec_lo, exec_lo, s16
	v_cmp_lt_u32_e64 s19, v31, v2
	s_delay_alu instid0(VALU_DEP_1)
	s_and_saveexec_b32 s16, s19
	s_cbranch_execnz .LBB91_117
.LBB91_110:                             ;   in Loop: Header=BB91_66 Depth=2
	s_or_b32 exec_lo, exec_lo, s16
	v_cmp_lt_u32_e64 s18, v35, v2
	s_delay_alu instid0(VALU_DEP_1)
	s_and_saveexec_b32 s16, s18
	s_cbranch_execz .LBB91_118
.LBB91_111:                             ;   in Loop: Header=BB91_66 Depth=2
	ds_load_u8 v20, v35 offset:1024
	s_waitcnt lgkmcnt(0)
	v_and_b32_e32 v21, 0xff, v20
	v_xor_b32_e32 v20, -1, v20
	s_delay_alu instid0(VALU_DEP_2) | instskip(NEXT) | instid1(VALU_DEP_1)
	v_lshrrev_b32_e32 v21, s30, v21
	v_and_b32_e32 v21, s31, v21
	s_delay_alu instid0(VALU_DEP_1)
	v_lshlrev_b32_e32 v21, 2, v21
	ds_load_b32 v21, v21
	s_waitcnt lgkmcnt(0)
	v_add_nc_u32_e32 v21, v21, v35
	global_store_b8 v21, v20, s[38:39]
	s_or_b32 exec_lo, exec_lo, s16
	v_cmp_lt_u32_e64 s17, v36, v2
	s_delay_alu instid0(VALU_DEP_1)
	s_and_saveexec_b32 s16, s17
	s_cbranch_execnz .LBB91_119
.LBB91_112:                             ;   in Loop: Header=BB91_66 Depth=2
	s_or_b32 exec_lo, exec_lo, s16
	v_cmp_lt_u32_e64 s16, v37, v2
	s_delay_alu instid0(VALU_DEP_1)
	s_and_saveexec_b32 s23, s16
	s_cbranch_execz .LBB91_120
.LBB91_113:                             ;   in Loop: Header=BB91_66 Depth=2
	ds_load_u8 v20, v35 offset:1536
	s_waitcnt lgkmcnt(0)
	v_and_b32_e32 v21, 0xff, v20
	v_xor_b32_e32 v20, -1, v20
	s_delay_alu instid0(VALU_DEP_2) | instskip(NEXT) | instid1(VALU_DEP_1)
	v_lshrrev_b32_e32 v21, s30, v21
	v_and_b32_e32 v21, s31, v21
	s_delay_alu instid0(VALU_DEP_1)
	v_lshlrev_b32_e32 v21, 2, v21
	ds_load_b32 v21, v21
	s_waitcnt lgkmcnt(0)
	v_add_nc_u32_e32 v21, v21, v37
	global_store_b8 v21, v20, s[38:39]
	s_or_b32 exec_lo, exec_lo, s23
	v_cmp_lt_u32_e32 vcc_lo, v39, v2
	s_and_saveexec_b32 s23, vcc_lo
	s_cbranch_execnz .LBB91_121
	s_branch .LBB91_122
.LBB91_114:                             ;   in Loop: Header=BB91_66 Depth=2
	s_or_b32 exec_lo, exec_lo, s16
	v_cmp_lt_u32_e64 s22, v29, v2
	s_delay_alu instid0(VALU_DEP_1)
	s_and_saveexec_b32 s16, s22
	s_cbranch_execz .LBB91_108
.LBB91_115:                             ;   in Loop: Header=BB91_66 Depth=2
	ds_load_u8 v20, v35 offset:256
	s_waitcnt lgkmcnt(0)
	v_and_b32_e32 v21, 0xff, v20
	v_xor_b32_e32 v20, -1, v20
	s_delay_alu instid0(VALU_DEP_2) | instskip(NEXT) | instid1(VALU_DEP_1)
	v_lshrrev_b32_e32 v21, s30, v21
	v_and_b32_e32 v21, s31, v21
	s_delay_alu instid0(VALU_DEP_1)
	v_lshlrev_b32_e32 v21, 2, v21
	ds_load_b32 v21, v21
	s_waitcnt lgkmcnt(0)
	v_add_nc_u32_e32 v21, v21, v29
	global_store_b8 v21, v20, s[38:39]
	s_or_b32 exec_lo, exec_lo, s16
	v_cmp_lt_u32_e64 s20, v30, v2
	s_delay_alu instid0(VALU_DEP_1)
	s_and_saveexec_b32 s16, s20
	s_cbranch_execnz .LBB91_109
.LBB91_116:                             ;   in Loop: Header=BB91_66 Depth=2
	s_or_b32 exec_lo, exec_lo, s16
	v_cmp_lt_u32_e64 s19, v31, v2
	s_delay_alu instid0(VALU_DEP_1)
	s_and_saveexec_b32 s16, s19
	s_cbranch_execz .LBB91_110
.LBB91_117:                             ;   in Loop: Header=BB91_66 Depth=2
	ds_load_u8 v20, v35 offset:768
	s_waitcnt lgkmcnt(0)
	v_and_b32_e32 v21, 0xff, v20
	v_xor_b32_e32 v20, -1, v20
	s_delay_alu instid0(VALU_DEP_2) | instskip(NEXT) | instid1(VALU_DEP_1)
	v_lshrrev_b32_e32 v21, s30, v21
	v_and_b32_e32 v21, s31, v21
	s_delay_alu instid0(VALU_DEP_1)
	v_lshlrev_b32_e32 v21, 2, v21
	ds_load_b32 v21, v21
	s_waitcnt lgkmcnt(0)
	v_add_nc_u32_e32 v21, v21, v31
	global_store_b8 v21, v20, s[38:39]
	s_or_b32 exec_lo, exec_lo, s16
	v_cmp_lt_u32_e64 s18, v35, v2
	s_delay_alu instid0(VALU_DEP_1)
	s_and_saveexec_b32 s16, s18
	s_cbranch_execnz .LBB91_111
.LBB91_118:                             ;   in Loop: Header=BB91_66 Depth=2
	s_or_b32 exec_lo, exec_lo, s16
	v_cmp_lt_u32_e64 s17, v36, v2
	s_delay_alu instid0(VALU_DEP_1)
	s_and_saveexec_b32 s16, s17
	s_cbranch_execz .LBB91_112
.LBB91_119:                             ;   in Loop: Header=BB91_66 Depth=2
	ds_load_u8 v20, v35 offset:1280
	s_waitcnt lgkmcnt(0)
	v_and_b32_e32 v21, 0xff, v20
	v_xor_b32_e32 v20, -1, v20
	s_delay_alu instid0(VALU_DEP_2) | instskip(NEXT) | instid1(VALU_DEP_1)
	v_lshrrev_b32_e32 v21, s30, v21
	v_and_b32_e32 v21, s31, v21
	s_delay_alu instid0(VALU_DEP_1)
	v_lshlrev_b32_e32 v21, 2, v21
	ds_load_b32 v21, v21
	s_waitcnt lgkmcnt(0)
	v_add_nc_u32_e32 v21, v21, v36
	global_store_b8 v21, v20, s[38:39]
	s_or_b32 exec_lo, exec_lo, s16
	v_cmp_lt_u32_e64 s16, v37, v2
	s_delay_alu instid0(VALU_DEP_1)
	s_and_saveexec_b32 s23, s16
	s_cbranch_execnz .LBB91_113
.LBB91_120:                             ;   in Loop: Header=BB91_66 Depth=2
	s_or_b32 exec_lo, exec_lo, s23
	v_cmp_lt_u32_e32 vcc_lo, v39, v2
	s_and_saveexec_b32 s23, vcc_lo
	s_cbranch_execz .LBB91_122
.LBB91_121:                             ;   in Loop: Header=BB91_66 Depth=2
	ds_load_u8 v20, v35 offset:1792
	s_waitcnt lgkmcnt(0)
	v_and_b32_e32 v21, 0xff, v20
	v_xor_b32_e32 v20, -1, v20
	s_delay_alu instid0(VALU_DEP_2) | instskip(NEXT) | instid1(VALU_DEP_1)
	v_lshrrev_b32_e32 v21, s30, v21
	v_and_b32_e32 v21, s31, v21
	s_delay_alu instid0(VALU_DEP_1)
	v_lshlrev_b32_e32 v21, 2, v21
	ds_load_b32 v21, v21
	s_waitcnt lgkmcnt(0)
	v_add_nc_u32_e32 v21, v21, v39
	global_store_b8 v21, v20, s[38:39]
.LBB91_122:                             ;   in Loop: Header=BB91_66 Depth=2
	s_or_b32 exec_lo, exec_lo, s23
	s_lshl_b64 s[52:53], s[24:25], 3
	s_delay_alu instid0(SALU_CYCLE_1) | instskip(NEXT) | instid1(VALU_DEP_1)
	v_add_co_u32 v20, s23, v71, s52
	v_add_co_ci_u32_e64 v21, s23, s53, v72, s23
	v_cmp_lt_u32_e64 s23, v70, v2
	s_delay_alu instid0(VALU_DEP_1) | instskip(NEXT) | instid1(SALU_CYCLE_1)
	s_and_saveexec_b32 s24, s23
	s_xor_b32 s23, exec_lo, s24
	s_cbranch_execz .LBB91_138
; %bb.123:                              ;   in Loop: Header=BB91_66 Depth=2
	global_load_b64 v[18:19], v[20:21], off
	s_or_b32 exec_lo, exec_lo, s23
	s_delay_alu instid0(SALU_CYCLE_1)
	s_mov_b32 s24, exec_lo
	v_cmpx_lt_u32_e64 v73, v2
	s_cbranch_execnz .LBB91_139
.LBB91_124:                             ;   in Loop: Header=BB91_66 Depth=2
	s_or_b32 exec_lo, exec_lo, s24
	s_delay_alu instid0(SALU_CYCLE_1)
	s_mov_b32 s24, exec_lo
	v_cmpx_lt_u32_e64 v74, v2
	s_cbranch_execz .LBB91_140
.LBB91_125:                             ;   in Loop: Header=BB91_66 Depth=2
	global_load_b64 v[14:15], v[20:21], off offset:512
	s_or_b32 exec_lo, exec_lo, s24
	s_delay_alu instid0(SALU_CYCLE_1)
	s_mov_b32 s24, exec_lo
	v_cmpx_lt_u32_e64 v75, v2
	s_cbranch_execnz .LBB91_141
.LBB91_126:                             ;   in Loop: Header=BB91_66 Depth=2
	s_or_b32 exec_lo, exec_lo, s24
	s_delay_alu instid0(SALU_CYCLE_1)
	s_mov_b32 s24, exec_lo
	v_cmpx_lt_u32_e64 v76, v2
	s_cbranch_execz .LBB91_142
.LBB91_127:                             ;   in Loop: Header=BB91_66 Depth=2
	global_load_b64 v[10:11], v[20:21], off offset:1024
	s_or_b32 exec_lo, exec_lo, s24
	s_delay_alu instid0(SALU_CYCLE_1)
	s_mov_b32 s24, exec_lo
	v_cmpx_lt_u32_e64 v77, v2
	s_cbranch_execnz .LBB91_143
.LBB91_128:                             ;   in Loop: Header=BB91_66 Depth=2
	s_or_b32 exec_lo, exec_lo, s24
	s_delay_alu instid0(SALU_CYCLE_1)
	s_mov_b32 s24, exec_lo
	v_cmpx_lt_u32_e64 v78, v2
	s_cbranch_execz .LBB91_144
.LBB91_129:                             ;   in Loop: Header=BB91_66 Depth=2
	global_load_b64 v[6:7], v[20:21], off offset:1536
	s_or_b32 exec_lo, exec_lo, s24
	s_delay_alu instid0(SALU_CYCLE_1)
	s_mov_b32 s24, exec_lo
	v_cmpx_lt_u32_e64 v79, v2
	s_cbranch_execnz .LBB91_145
.LBB91_130:                             ;   in Loop: Header=BB91_66 Depth=2
	s_or_b32 exec_lo, exec_lo, s24
	s_and_saveexec_b32 s23, s21
	s_cbranch_execz .LBB91_146
.LBB91_131:                             ;   in Loop: Header=BB91_66 Depth=2
	ds_load_u8 v2, v1 offset:1024
	s_waitcnt lgkmcnt(0)
	v_lshrrev_b32_e32 v2, s30, v2
	s_delay_alu instid0(VALU_DEP_1)
	v_and_b32_e32 v90, s31, v2
	s_or_b32 exec_lo, exec_lo, s23
	s_and_saveexec_b32 s23, s22
	s_cbranch_execnz .LBB91_147
.LBB91_132:                             ;   in Loop: Header=BB91_66 Depth=2
	s_or_b32 exec_lo, exec_lo, s23
	s_and_saveexec_b32 s23, s20
	s_cbranch_execz .LBB91_148
.LBB91_133:                             ;   in Loop: Header=BB91_66 Depth=2
	ds_load_u8 v2, v35 offset:512
	s_waitcnt lgkmcnt(0)
	v_lshrrev_b32_e32 v2, s30, v2
	s_delay_alu instid0(VALU_DEP_1)
	v_and_b32_e32 v88, s31, v2
	s_or_b32 exec_lo, exec_lo, s23
	s_and_saveexec_b32 s23, s19
	s_cbranch_execnz .LBB91_149
.LBB91_134:                             ;   in Loop: Header=BB91_66 Depth=2
	s_or_b32 exec_lo, exec_lo, s23
	s_and_saveexec_b32 s23, s18
	s_cbranch_execz .LBB91_150
.LBB91_135:                             ;   in Loop: Header=BB91_66 Depth=2
	ds_load_u8 v2, v35 offset:1024
	s_waitcnt lgkmcnt(0)
	v_lshrrev_b32_e32 v2, s30, v2
	s_delay_alu instid0(VALU_DEP_1)
	v_and_b32_e32 v86, s31, v2
	s_or_b32 exec_lo, exec_lo, s23
	s_and_saveexec_b32 s23, s17
	s_cbranch_execnz .LBB91_151
.LBB91_136:                             ;   in Loop: Header=BB91_66 Depth=2
	s_or_b32 exec_lo, exec_lo, s23
	s_and_saveexec_b32 s23, s16
	s_cbranch_execz .LBB91_152
.LBB91_137:                             ;   in Loop: Header=BB91_66 Depth=2
	ds_load_u8 v2, v35 offset:1536
	s_waitcnt lgkmcnt(0)
	v_lshrrev_b32_e32 v2, s30, v2
	s_delay_alu instid0(VALU_DEP_1)
	v_and_b32_e32 v84, s31, v2
	s_or_b32 exec_lo, exec_lo, s23
	s_and_saveexec_b32 s23, vcc_lo
	s_cbranch_execnz .LBB91_153
	s_branch .LBB91_154
.LBB91_138:                             ;   in Loop: Header=BB91_66 Depth=2
	s_or_b32 exec_lo, exec_lo, s23
	s_delay_alu instid0(SALU_CYCLE_1)
	s_mov_b32 s24, exec_lo
	v_cmpx_lt_u32_e64 v73, v2
	s_cbranch_execz .LBB91_124
.LBB91_139:                             ;   in Loop: Header=BB91_66 Depth=2
	global_load_b64 v[16:17], v[20:21], off offset:256
	s_or_b32 exec_lo, exec_lo, s24
	s_delay_alu instid0(SALU_CYCLE_1)
	s_mov_b32 s24, exec_lo
	v_cmpx_lt_u32_e64 v74, v2
	s_cbranch_execnz .LBB91_125
.LBB91_140:                             ;   in Loop: Header=BB91_66 Depth=2
	s_or_b32 exec_lo, exec_lo, s24
	s_delay_alu instid0(SALU_CYCLE_1)
	s_mov_b32 s24, exec_lo
	v_cmpx_lt_u32_e64 v75, v2
	s_cbranch_execz .LBB91_126
.LBB91_141:                             ;   in Loop: Header=BB91_66 Depth=2
	global_load_b64 v[12:13], v[20:21], off offset:768
	s_or_b32 exec_lo, exec_lo, s24
	s_delay_alu instid0(SALU_CYCLE_1)
	s_mov_b32 s24, exec_lo
	v_cmpx_lt_u32_e64 v76, v2
	s_cbranch_execnz .LBB91_127
.LBB91_142:                             ;   in Loop: Header=BB91_66 Depth=2
	s_or_b32 exec_lo, exec_lo, s24
	s_delay_alu instid0(SALU_CYCLE_1)
	s_mov_b32 s24, exec_lo
	v_cmpx_lt_u32_e64 v77, v2
	s_cbranch_execz .LBB91_128
.LBB91_143:                             ;   in Loop: Header=BB91_66 Depth=2
	global_load_b64 v[8:9], v[20:21], off offset:1280
	s_or_b32 exec_lo, exec_lo, s24
	s_delay_alu instid0(SALU_CYCLE_1)
	s_mov_b32 s24, exec_lo
	v_cmpx_lt_u32_e64 v78, v2
	s_cbranch_execnz .LBB91_129
.LBB91_144:                             ;   in Loop: Header=BB91_66 Depth=2
	s_or_b32 exec_lo, exec_lo, s24
	s_delay_alu instid0(SALU_CYCLE_1)
	s_mov_b32 s24, exec_lo
	v_cmpx_lt_u32_e64 v79, v2
	s_cbranch_execz .LBB91_130
.LBB91_145:                             ;   in Loop: Header=BB91_66 Depth=2
	global_load_b64 v[4:5], v[20:21], off offset:1792
	s_or_b32 exec_lo, exec_lo, s24
	s_and_saveexec_b32 s23, s21
	s_cbranch_execnz .LBB91_131
.LBB91_146:                             ;   in Loop: Header=BB91_66 Depth=2
	s_or_b32 exec_lo, exec_lo, s23
	s_and_saveexec_b32 s23, s22
	s_cbranch_execz .LBB91_132
.LBB91_147:                             ;   in Loop: Header=BB91_66 Depth=2
	ds_load_u8 v2, v35 offset:256
	s_waitcnt lgkmcnt(0)
	v_lshrrev_b32_e32 v2, s30, v2
	s_delay_alu instid0(VALU_DEP_1)
	v_and_b32_e32 v89, s31, v2
	s_or_b32 exec_lo, exec_lo, s23
	s_and_saveexec_b32 s23, s20
	s_cbranch_execnz .LBB91_133
.LBB91_148:                             ;   in Loop: Header=BB91_66 Depth=2
	s_or_b32 exec_lo, exec_lo, s23
	s_and_saveexec_b32 s23, s19
	s_cbranch_execz .LBB91_134
.LBB91_149:                             ;   in Loop: Header=BB91_66 Depth=2
	ds_load_u8 v2, v35 offset:768
	s_waitcnt lgkmcnt(0)
	v_lshrrev_b32_e32 v2, s30, v2
	s_delay_alu instid0(VALU_DEP_1)
	v_and_b32_e32 v87, s31, v2
	s_or_b32 exec_lo, exec_lo, s23
	s_and_saveexec_b32 s23, s18
	s_cbranch_execnz .LBB91_135
.LBB91_150:                             ;   in Loop: Header=BB91_66 Depth=2
	s_or_b32 exec_lo, exec_lo, s23
	s_and_saveexec_b32 s23, s17
	s_cbranch_execz .LBB91_136
.LBB91_151:                             ;   in Loop: Header=BB91_66 Depth=2
	ds_load_u8 v2, v35 offset:1280
	s_waitcnt lgkmcnt(0)
	v_lshrrev_b32_e32 v2, s30, v2
	s_delay_alu instid0(VALU_DEP_1)
	v_and_b32_e32 v85, s31, v2
	s_or_b32 exec_lo, exec_lo, s23
	s_and_saveexec_b32 s23, s16
	s_cbranch_execnz .LBB91_137
.LBB91_152:                             ;   in Loop: Header=BB91_66 Depth=2
	s_or_b32 exec_lo, exec_lo, s23
	s_and_saveexec_b32 s23, vcc_lo
	s_cbranch_execz .LBB91_154
.LBB91_153:                             ;   in Loop: Header=BB91_66 Depth=2
	ds_load_u8 v2, v35 offset:1792
	s_waitcnt lgkmcnt(0)
	v_lshrrev_b32_e32 v2, s30, v2
	s_delay_alu instid0(VALU_DEP_1)
	v_and_b32_e32 v83, s31, v2
.LBB91_154:                             ;   in Loop: Header=BB91_66 Depth=2
	s_or_b32 exec_lo, exec_lo, s23
	v_lshlrev_b32_e32 v2, 3, v98
	v_lshlrev_b32_e32 v20, 3, v94
	;; [unrolled: 1-line block ×3, first 2 shown]
	s_waitcnt vmcnt(0)
	s_waitcnt_vscnt null, 0x0
	s_barrier
	buffer_gl0_inv
	ds_store_b64 v2, v[18:19] offset:1024
	ds_store_b64 v20, v[16:17] offset:1024
	;; [unrolled: 1-line block ×3, first 2 shown]
	v_lshlrev_b32_e32 v2, 3, v27
	v_lshlrev_b32_e32 v20, 3, v26
	;; [unrolled: 1-line block ×5, first 2 shown]
	ds_store_b64 v2, v[12:13] offset:1024
	ds_store_b64 v20, v[10:11] offset:1024
	;; [unrolled: 1-line block ×5, first 2 shown]
	s_waitcnt lgkmcnt(0)
	s_barrier
	buffer_gl0_inv
	s_and_saveexec_b32 s23, s21
	s_cbranch_execz .LBB91_162
; %bb.155:                              ;   in Loop: Header=BB91_66 Depth=2
	v_lshlrev_b32_e32 v2, 2, v90
	v_add_nc_u32_e32 v20, v1, v52
	ds_load_b32 v2, v2
	ds_load_b64 v[20:21], v20 offset:1024
	s_waitcnt lgkmcnt(1)
	v_add_nc_u32_e32 v2, v2, v1
	s_delay_alu instid0(VALU_DEP_1) | instskip(NEXT) | instid1(VALU_DEP_1)
	v_lshlrev_b64 v[23:24], 3, v[2:3]
	v_add_co_u32 v23, s21, s44, v23
	s_delay_alu instid0(VALU_DEP_1)
	v_add_co_ci_u32_e64 v24, s21, s45, v24, s21
	s_waitcnt lgkmcnt(0)
	global_store_b64 v[23:24], v[20:21], off
	s_or_b32 exec_lo, exec_lo, s23
	s_and_saveexec_b32 s23, s22
	s_cbranch_execnz .LBB91_163
.LBB91_156:                             ;   in Loop: Header=BB91_66 Depth=2
	s_or_b32 exec_lo, exec_lo, s23
	s_and_saveexec_b32 s21, s20
	s_cbranch_execz .LBB91_164
.LBB91_157:                             ;   in Loop: Header=BB91_66 Depth=2
	v_lshlrev_b32_e32 v2, 2, v88
	v_add_nc_u32_e32 v20, v35, v52
	ds_load_b32 v2, v2
	ds_load_b64 v[20:21], v20 offset:4096
	s_waitcnt lgkmcnt(1)
	v_add_nc_u32_e32 v2, v2, v30
	s_delay_alu instid0(VALU_DEP_1) | instskip(NEXT) | instid1(VALU_DEP_1)
	v_lshlrev_b64 v[23:24], 3, v[2:3]
	v_add_co_u32 v23, s20, s44, v23
	s_delay_alu instid0(VALU_DEP_1)
	v_add_co_ci_u32_e64 v24, s20, s45, v24, s20
	s_waitcnt lgkmcnt(0)
	global_store_b64 v[23:24], v[20:21], off
	s_or_b32 exec_lo, exec_lo, s21
	s_and_saveexec_b32 s20, s19
	s_cbranch_execnz .LBB91_165
.LBB91_158:                             ;   in Loop: Header=BB91_66 Depth=2
	s_or_b32 exec_lo, exec_lo, s20
	s_and_saveexec_b32 s19, s18
	s_cbranch_execz .LBB91_166
.LBB91_159:                             ;   in Loop: Header=BB91_66 Depth=2
	v_lshlrev_b32_e32 v2, 2, v86
	v_add_nc_u32_e32 v20, v35, v52
	ds_load_b32 v2, v2
	ds_load_b64 v[20:21], v20 offset:8192
	s_waitcnt lgkmcnt(1)
	v_add_nc_u32_e32 v2, v2, v35
	s_delay_alu instid0(VALU_DEP_1) | instskip(NEXT) | instid1(VALU_DEP_1)
	v_lshlrev_b64 v[23:24], 3, v[2:3]
	v_add_co_u32 v23, s18, s44, v23
	s_delay_alu instid0(VALU_DEP_1)
	v_add_co_ci_u32_e64 v24, s18, s45, v24, s18
	s_waitcnt lgkmcnt(0)
	global_store_b64 v[23:24], v[20:21], off
	s_or_b32 exec_lo, exec_lo, s19
	s_and_saveexec_b32 s18, s17
	s_cbranch_execnz .LBB91_167
.LBB91_160:                             ;   in Loop: Header=BB91_66 Depth=2
	s_or_b32 exec_lo, exec_lo, s18
	s_and_saveexec_b32 s17, s16
	s_cbranch_execz .LBB91_168
.LBB91_161:                             ;   in Loop: Header=BB91_66 Depth=2
	v_lshlrev_b32_e32 v2, 2, v84
	v_add_nc_u32_e32 v20, v35, v52
	ds_load_b32 v2, v2
	ds_load_b64 v[20:21], v20 offset:12288
	s_waitcnt lgkmcnt(1)
	v_add_nc_u32_e32 v2, v2, v37
	s_delay_alu instid0(VALU_DEP_1) | instskip(NEXT) | instid1(VALU_DEP_1)
	v_lshlrev_b64 v[23:24], 3, v[2:3]
	v_add_co_u32 v23, s16, s44, v23
	s_delay_alu instid0(VALU_DEP_1)
	v_add_co_ci_u32_e64 v24, s16, s45, v24, s16
	s_waitcnt lgkmcnt(0)
	global_store_b64 v[23:24], v[20:21], off
	s_or_b32 exec_lo, exec_lo, s17
	s_and_saveexec_b32 s16, vcc_lo
	s_cbranch_execnz .LBB91_169
	s_branch .LBB91_170
.LBB91_162:                             ;   in Loop: Header=BB91_66 Depth=2
	s_or_b32 exec_lo, exec_lo, s23
	s_and_saveexec_b32 s23, s22
	s_cbranch_execz .LBB91_156
.LBB91_163:                             ;   in Loop: Header=BB91_66 Depth=2
	v_lshlrev_b32_e32 v2, 2, v89
	v_add_nc_u32_e32 v20, v35, v52
	ds_load_b32 v2, v2
	ds_load_b64 v[20:21], v20 offset:2048
	s_waitcnt lgkmcnt(1)
	v_add_nc_u32_e32 v2, v2, v29
	s_delay_alu instid0(VALU_DEP_1) | instskip(NEXT) | instid1(VALU_DEP_1)
	v_lshlrev_b64 v[23:24], 3, v[2:3]
	v_add_co_u32 v23, s21, s44, v23
	s_delay_alu instid0(VALU_DEP_1)
	v_add_co_ci_u32_e64 v24, s21, s45, v24, s21
	s_waitcnt lgkmcnt(0)
	global_store_b64 v[23:24], v[20:21], off
	s_or_b32 exec_lo, exec_lo, s23
	s_and_saveexec_b32 s21, s20
	s_cbranch_execnz .LBB91_157
.LBB91_164:                             ;   in Loop: Header=BB91_66 Depth=2
	s_or_b32 exec_lo, exec_lo, s21
	s_and_saveexec_b32 s20, s19
	s_cbranch_execz .LBB91_158
.LBB91_165:                             ;   in Loop: Header=BB91_66 Depth=2
	v_lshlrev_b32_e32 v2, 2, v87
	v_add_nc_u32_e32 v20, v35, v52
	ds_load_b32 v2, v2
	ds_load_b64 v[20:21], v20 offset:6144
	s_waitcnt lgkmcnt(1)
	v_add_nc_u32_e32 v2, v2, v31
	s_delay_alu instid0(VALU_DEP_1) | instskip(NEXT) | instid1(VALU_DEP_1)
	v_lshlrev_b64 v[23:24], 3, v[2:3]
	v_add_co_u32 v23, s19, s44, v23
	s_delay_alu instid0(VALU_DEP_1)
	v_add_co_ci_u32_e64 v24, s19, s45, v24, s19
	s_waitcnt lgkmcnt(0)
	global_store_b64 v[23:24], v[20:21], off
	s_or_b32 exec_lo, exec_lo, s20
	s_and_saveexec_b32 s19, s18
	s_cbranch_execnz .LBB91_159
.LBB91_166:                             ;   in Loop: Header=BB91_66 Depth=2
	s_or_b32 exec_lo, exec_lo, s19
	s_and_saveexec_b32 s18, s17
	s_cbranch_execz .LBB91_160
.LBB91_167:                             ;   in Loop: Header=BB91_66 Depth=2
	v_lshlrev_b32_e32 v2, 2, v85
	v_add_nc_u32_e32 v20, v35, v52
	ds_load_b32 v2, v2
	ds_load_b64 v[20:21], v20 offset:10240
	s_waitcnt lgkmcnt(1)
	v_add_nc_u32_e32 v2, v2, v36
	s_delay_alu instid0(VALU_DEP_1) | instskip(NEXT) | instid1(VALU_DEP_1)
	v_lshlrev_b64 v[23:24], 3, v[2:3]
	v_add_co_u32 v23, s17, s44, v23
	s_delay_alu instid0(VALU_DEP_1)
	v_add_co_ci_u32_e64 v24, s17, s45, v24, s17
	s_waitcnt lgkmcnt(0)
	global_store_b64 v[23:24], v[20:21], off
	s_or_b32 exec_lo, exec_lo, s18
	s_and_saveexec_b32 s17, s16
	s_cbranch_execnz .LBB91_161
.LBB91_168:                             ;   in Loop: Header=BB91_66 Depth=2
	s_or_b32 exec_lo, exec_lo, s17
	s_and_saveexec_b32 s16, vcc_lo
	s_cbranch_execz .LBB91_170
.LBB91_169:                             ;   in Loop: Header=BB91_66 Depth=2
	v_lshlrev_b32_e32 v2, 2, v83
	v_add_nc_u32_e32 v20, v35, v52
	ds_load_b32 v2, v2
	ds_load_b64 v[20:21], v20 offset:14336
	s_waitcnt lgkmcnt(1)
	v_add_nc_u32_e32 v2, v2, v39
	s_delay_alu instid0(VALU_DEP_1) | instskip(NEXT) | instid1(VALU_DEP_1)
	v_lshlrev_b64 v[23:24], 3, v[2:3]
	v_add_co_u32 v23, vcc_lo, s44, v23
	s_delay_alu instid0(VALU_DEP_2)
	v_add_co_ci_u32_e32 v24, vcc_lo, s45, v24, vcc_lo
	s_waitcnt lgkmcnt(0)
	global_store_b64 v[23:24], v[20:21], off
.LBB91_170:                             ;   in Loop: Header=BB91_66 Depth=2
	s_or_b32 exec_lo, exec_lo, s16
	s_waitcnt_vscnt null, 0x0
	s_barrier
	buffer_gl0_inv
	s_and_saveexec_b32 s16, s2
	s_cbranch_execz .LBB91_65
; %bb.171:                              ;   in Loop: Header=BB91_66 Depth=2
	ds_load_b32 v2, v28
	s_waitcnt lgkmcnt(0)
	v_add_nc_u32_e32 v2, v2, v22
	ds_store_b32 v28, v2
	s_branch .LBB91_65
.LBB91_172:                             ;   in Loop: Header=BB91_66 Depth=2
	s_or_b32 exec_lo, exec_lo, s16
	s_delay_alu instid0(SALU_CYCLE_1)
	s_mov_b32 s16, exec_lo
	v_cmpx_gt_u32_e64 s42, v73
	s_cbranch_execz .LBB91_71
.LBB91_173:                             ;   in Loop: Header=BB91_66 Depth=2
	global_load_u8 v2, v[22:23], off offset:32
	s_waitcnt vmcnt(0)
	v_perm_b32 v20, v20, v2, 0x7060004
	s_or_b32 exec_lo, exec_lo, s16
	s_delay_alu instid0(SALU_CYCLE_1)
	s_mov_b32 s16, exec_lo
	v_cmpx_gt_u32_e64 s42, v74
	s_cbranch_execnz .LBB91_72
.LBB91_174:                             ;   in Loop: Header=BB91_66 Depth=2
	s_or_b32 exec_lo, exec_lo, s16
	s_delay_alu instid0(SALU_CYCLE_1)
	s_mov_b32 s16, exec_lo
	v_cmpx_gt_u32_e64 s42, v75
	s_cbranch_execz .LBB91_73
.LBB91_175:                             ;   in Loop: Header=BB91_66 Depth=2
	global_load_u8 v2, v[22:23], off offset:96
	v_lshrrev_b32_e32 v24, 16, v20
	s_delay_alu instid0(VALU_DEP_1) | instskip(SKIP_2) | instid1(VALU_DEP_1)
	v_and_b32_e32 v24, 0xff, v24
	s_waitcnt vmcnt(0)
	v_lshlrev_b16 v2, 8, v2
	v_or_b32_e32 v2, v24, v2
	s_delay_alu instid0(VALU_DEP_1) | instskip(NEXT) | instid1(VALU_DEP_1)
	v_lshlrev_b32_e32 v2, 16, v2
	v_and_or_b32 v20, 0xffff, v20, v2
	s_or_b32 exec_lo, exec_lo, s16
	s_delay_alu instid0(SALU_CYCLE_1)
	s_mov_b32 s16, exec_lo
	v_cmpx_gt_u32_e64 s42, v76
	s_cbranch_execnz .LBB91_74
.LBB91_176:                             ;   in Loop: Header=BB91_66 Depth=2
	s_or_b32 exec_lo, exec_lo, s16
	s_delay_alu instid0(SALU_CYCLE_1)
	s_mov_b32 s16, exec_lo
	v_cmpx_gt_u32_e64 s42, v77
	s_cbranch_execz .LBB91_75
.LBB91_177:                             ;   in Loop: Header=BB91_66 Depth=2
	global_load_u8 v2, v[22:23], off offset:160
	s_waitcnt vmcnt(0)
	v_perm_b32 v21, v21, v2, 0x7060004
	s_or_b32 exec_lo, exec_lo, s16
	s_delay_alu instid0(SALU_CYCLE_1)
	s_mov_b32 s16, exec_lo
	v_cmpx_gt_u32_e64 s42, v78
	s_cbranch_execnz .LBB91_76
	s_branch .LBB91_77
.LBB91_178:                             ;   in Loop: Header=BB91_12 Depth=1
	s_waitcnt lgkmcnt(0)
	s_mov_b32 s0, 0
	s_barrier
.LBB91_179:                             ;   in Loop: Header=BB91_12 Depth=1
	s_and_b32 vcc_lo, exec_lo, s0
	s_cbranch_vccz .LBB91_345
; %bb.180:                              ;   in Loop: Header=BB91_12 Depth=1
	s_mov_b32 s0, s35
	s_mov_b32 s9, s27
	s_barrier
	buffer_gl0_inv
                                        ; implicit-def: $vgpr2
                                        ; implicit-def: $vgpr6
                                        ; implicit-def: $vgpr7
                                        ; implicit-def: $vgpr8
                                        ; implicit-def: $vgpr9
                                        ; implicit-def: $vgpr10
                                        ; implicit-def: $vgpr11
                                        ; implicit-def: $vgpr12
	s_branch .LBB91_182
.LBB91_181:                             ;   in Loop: Header=BB91_182 Depth=2
	s_or_b32 exec_lo, exec_lo, s8
	s_addk_i32 s0, 0xf800
	s_cmp_ge_u32 s1, s33
	s_mov_b32 s9, s1
	s_cbranch_scc1 .LBB91_220
.LBB91_182:                             ;   Parent Loop BB91_12 Depth=1
                                        ; =>  This Inner Loop Header: Depth=2
	s_add_i32 s1, s9, 0x800
	s_delay_alu instid0(SALU_CYCLE_1)
	s_cmp_gt_u32 s1, s33
	s_cbranch_scc1 .LBB91_185
; %bb.183:                              ;   in Loop: Header=BB91_182 Depth=2
	v_add_co_u32 v4, vcc_lo, v53, s9
	v_add_co_ci_u32_e32 v5, vcc_lo, 0, v54, vcc_lo
	s_mov_b32 s8, -1
	s_movk_i32 s12, 0x800
	s_clause 0x6
	global_load_u8 v20, v[4:5], off offset:1536
	global_load_u8 v19, v[4:5], off offset:1280
	;; [unrolled: 1-line block ×6, first 2 shown]
	global_load_u8 v14, v[4:5], off
	v_add_co_u32 v4, vcc_lo, 0x700, v4
	v_add_co_ci_u32_e32 v5, vcc_lo, 0, v5, vcc_lo
	s_cbranch_execz .LBB91_186
; %bb.184:                              ;   in Loop: Header=BB91_182 Depth=2
                                        ; implicit-def: $vgpr2
                                        ; implicit-def: $vgpr6
                                        ; implicit-def: $vgpr7
                                        ; implicit-def: $vgpr8
                                        ; implicit-def: $vgpr9
                                        ; implicit-def: $vgpr10
                                        ; implicit-def: $vgpr11
                                        ; implicit-def: $vgpr12
	v_mov_b32_e32 v13, s0
	s_and_saveexec_b32 s9, s8
	s_cbranch_execnz .LBB91_197
	s_branch .LBB91_198
.LBB91_185:                             ;   in Loop: Header=BB91_182 Depth=2
	s_mov_b32 s8, 0
                                        ; implicit-def: $sgpr12
                                        ; implicit-def: $vgpr14
                                        ; implicit-def: $vgpr15
                                        ; implicit-def: $vgpr16
                                        ; implicit-def: $vgpr17
                                        ; implicit-def: $vgpr18
                                        ; implicit-def: $vgpr19
                                        ; implicit-def: $vgpr20
                                        ; implicit-def: $vgpr4_vgpr5
.LBB91_186:                             ;   in Loop: Header=BB91_182 Depth=2
	s_add_u32 s10, s38, s9
	s_addc_u32 s11, s39, 0
	s_mov_b32 s12, exec_lo
	v_cmpx_gt_u32_e64 s0, v1
	s_cbranch_execz .LBB91_214
; %bb.187:                              ;   in Loop: Header=BB91_182 Depth=2
	v_add_co_u32 v4, s13, s10, v1
	s_delay_alu instid0(VALU_DEP_1) | instskip(SKIP_2) | instid1(SALU_CYCLE_1)
	v_add_co_ci_u32_e64 v5, null, s11, 0, s13
	global_load_u8 v2, v[4:5], off
	s_or_b32 exec_lo, exec_lo, s12
	s_mov_b32 s12, exec_lo
	v_cmpx_gt_u32_e64 s0, v29
	s_cbranch_execnz .LBB91_215
.LBB91_188:                             ;   in Loop: Header=BB91_182 Depth=2
	s_or_b32 exec_lo, exec_lo, s12
	s_delay_alu instid0(SALU_CYCLE_1)
	s_mov_b32 s12, exec_lo
	v_cmpx_gt_u32_e64 s0, v30
	s_cbranch_execz .LBB91_216
.LBB91_189:                             ;   in Loop: Header=BB91_182 Depth=2
	v_add_co_u32 v4, s13, s10, v1
	s_delay_alu instid0(VALU_DEP_1) | instskip(SKIP_2) | instid1(SALU_CYCLE_1)
	v_add_co_ci_u32_e64 v5, null, s11, 0, s13
	global_load_u8 v7, v[4:5], off offset:512
	s_or_b32 exec_lo, exec_lo, s12
	s_mov_b32 s12, exec_lo
	v_cmpx_gt_u32_e64 s0, v31
	s_cbranch_execnz .LBB91_217
.LBB91_190:                             ;   in Loop: Header=BB91_182 Depth=2
	s_or_b32 exec_lo, exec_lo, s12
	s_delay_alu instid0(SALU_CYCLE_1)
	s_mov_b32 s12, exec_lo
	v_cmpx_gt_u32_e64 s0, v35
	s_cbranch_execz .LBB91_218
.LBB91_191:                             ;   in Loop: Header=BB91_182 Depth=2
	v_add_co_u32 v4, s13, s10, v1
	s_delay_alu instid0(VALU_DEP_1) | instskip(SKIP_2) | instid1(SALU_CYCLE_1)
	v_add_co_ci_u32_e64 v5, null, s11, 0, s13
	global_load_u8 v9, v[4:5], off offset:1024
	s_or_b32 exec_lo, exec_lo, s12
	s_mov_b32 s12, exec_lo
	v_cmpx_gt_u32_e64 s0, v36
	s_cbranch_execnz .LBB91_219
.LBB91_192:                             ;   in Loop: Header=BB91_182 Depth=2
	s_or_b32 exec_lo, exec_lo, s12
	s_delay_alu instid0(SALU_CYCLE_1)
	s_mov_b32 s12, exec_lo
	v_cmpx_gt_u32_e64 s0, v37
	s_cbranch_execz .LBB91_194
.LBB91_193:                             ;   in Loop: Header=BB91_182 Depth=2
	v_add_co_u32 v4, s13, s10, v1
	s_delay_alu instid0(VALU_DEP_1)
	v_add_co_ci_u32_e64 v5, null, s11, 0, s13
	global_load_u8 v11, v[4:5], off offset:1536
.LBB91_194:                             ;   in Loop: Header=BB91_182 Depth=2
	s_or_b32 exec_lo, exec_lo, s12
	s_delay_alu instid0(SALU_CYCLE_1)
	s_mov_b32 s13, exec_lo
                                        ; implicit-def: $sgpr12
                                        ; implicit-def: $vgpr4_vgpr5
	v_cmpx_gt_u32_e64 s0, v39
; %bb.195:                              ;   in Loop: Header=BB91_182 Depth=2
	v_add_co_u32 v4, s10, s10, v1
	s_delay_alu instid0(VALU_DEP_1) | instskip(SKIP_1) | instid1(VALU_DEP_2)
	v_add_co_ci_u32_e64 v5, null, s11, 0, s10
	s_sub_i32 s12, s33, s9
	v_add_co_u32 v4, vcc_lo, 0x700, v4
	s_delay_alu instid0(VALU_DEP_2)
	v_add_co_ci_u32_e32 v5, vcc_lo, 0, v5, vcc_lo
	s_or_b32 s8, s8, exec_lo
                                        ; implicit-def: $vgpr12
; %bb.196:                              ;   in Loop: Header=BB91_182 Depth=2
	s_or_b32 exec_lo, exec_lo, s13
	s_waitcnt vmcnt(0)
	v_dual_mov_b32 v14, v2 :: v_dual_mov_b32 v17, v8
	v_dual_mov_b32 v15, v6 :: v_dual_mov_b32 v16, v7
	;; [unrolled: 1-line block ×4, first 2 shown]
	s_and_saveexec_b32 s9, s8
	s_cbranch_execz .LBB91_198
.LBB91_197:                             ;   in Loop: Header=BB91_182 Depth=2
	global_load_u8 v12, v[4:5], off
	s_waitcnt vmcnt(1)
	v_dual_mov_b32 v13, s12 :: v_dual_mov_b32 v2, v14
	v_dual_mov_b32 v6, v15 :: v_dual_mov_b32 v7, v16
	;; [unrolled: 1-line block ×4, first 2 shown]
.LBB91_198:                             ;   in Loop: Header=BB91_182 Depth=2
	s_or_b32 exec_lo, exec_lo, s9
	s_delay_alu instid0(SALU_CYCLE_1)
	s_mov_b32 s8, exec_lo
	v_cmpx_lt_u32_e64 v1, v13
	s_cbranch_execz .LBB91_206
; %bb.199:                              ;   in Loop: Header=BB91_182 Depth=2
	v_xor_b32_e32 v4, -1, v2
	v_lshlrev_b32_e32 v5, 2, v32
	s_delay_alu instid0(VALU_DEP_2) | instskip(NEXT) | instid1(VALU_DEP_1)
	v_and_b32_e32 v4, 0xff, v4
	v_lshrrev_b32_e32 v4, s30, v4
	s_delay_alu instid0(VALU_DEP_1) | instskip(NEXT) | instid1(VALU_DEP_1)
	v_and_b32_e32 v4, s31, v4
	v_lshl_or_b32 v4, v4, 4, v5
	ds_add_u32 v4, v66
	s_or_b32 exec_lo, exec_lo, s8
	s_delay_alu instid0(SALU_CYCLE_1)
	s_mov_b32 s8, exec_lo
	v_cmpx_lt_u32_e64 v29, v13
	s_cbranch_execnz .LBB91_207
.LBB91_200:                             ;   in Loop: Header=BB91_182 Depth=2
	s_or_b32 exec_lo, exec_lo, s8
	s_delay_alu instid0(SALU_CYCLE_1)
	s_mov_b32 s8, exec_lo
	v_cmpx_lt_u32_e64 v30, v13
	s_cbranch_execz .LBB91_208
.LBB91_201:                             ;   in Loop: Header=BB91_182 Depth=2
	v_xor_b32_e32 v4, -1, v7
	v_lshlrev_b32_e32 v5, 2, v32
	s_delay_alu instid0(VALU_DEP_2) | instskip(NEXT) | instid1(VALU_DEP_1)
	v_and_b32_e32 v4, 0xff, v4
	v_lshrrev_b32_e32 v4, s30, v4
	s_delay_alu instid0(VALU_DEP_1) | instskip(NEXT) | instid1(VALU_DEP_1)
	v_and_b32_e32 v4, s31, v4
	v_lshl_or_b32 v4, v4, 4, v5
	ds_add_u32 v4, v66
	s_or_b32 exec_lo, exec_lo, s8
	s_delay_alu instid0(SALU_CYCLE_1)
	s_mov_b32 s8, exec_lo
	v_cmpx_lt_u32_e64 v31, v13
	s_cbranch_execnz .LBB91_209
.LBB91_202:                             ;   in Loop: Header=BB91_182 Depth=2
	s_or_b32 exec_lo, exec_lo, s8
	s_delay_alu instid0(SALU_CYCLE_1)
	s_mov_b32 s8, exec_lo
	v_cmpx_lt_u32_e64 v35, v13
	s_cbranch_execz .LBB91_210
.LBB91_203:                             ;   in Loop: Header=BB91_182 Depth=2
	v_xor_b32_e32 v4, -1, v9
	v_lshlrev_b32_e32 v5, 2, v32
	s_delay_alu instid0(VALU_DEP_2) | instskip(NEXT) | instid1(VALU_DEP_1)
	v_and_b32_e32 v4, 0xff, v4
	v_lshrrev_b32_e32 v4, s30, v4
	s_delay_alu instid0(VALU_DEP_1) | instskip(NEXT) | instid1(VALU_DEP_1)
	v_and_b32_e32 v4, s31, v4
	v_lshl_or_b32 v4, v4, 4, v5
	ds_add_u32 v4, v66
	s_or_b32 exec_lo, exec_lo, s8
	s_delay_alu instid0(SALU_CYCLE_1)
	s_mov_b32 s8, exec_lo
	v_cmpx_lt_u32_e64 v36, v13
	s_cbranch_execnz .LBB91_211
.LBB91_204:                             ;   in Loop: Header=BB91_182 Depth=2
	s_or_b32 exec_lo, exec_lo, s8
	s_delay_alu instid0(SALU_CYCLE_1)
	s_mov_b32 s8, exec_lo
	v_cmpx_lt_u32_e64 v37, v13
	s_cbranch_execz .LBB91_212
.LBB91_205:                             ;   in Loop: Header=BB91_182 Depth=2
	v_xor_b32_e32 v4, -1, v11
	v_lshlrev_b32_e32 v5, 2, v32
	s_delay_alu instid0(VALU_DEP_2) | instskip(NEXT) | instid1(VALU_DEP_1)
	v_and_b32_e32 v4, 0xff, v4
	v_lshrrev_b32_e32 v4, s30, v4
	s_delay_alu instid0(VALU_DEP_1) | instskip(NEXT) | instid1(VALU_DEP_1)
	v_and_b32_e32 v4, s31, v4
	v_lshl_or_b32 v4, v4, 4, v5
	ds_add_u32 v4, v66
	s_or_b32 exec_lo, exec_lo, s8
	s_delay_alu instid0(SALU_CYCLE_1)
	s_mov_b32 s8, exec_lo
	v_cmpx_lt_u32_e64 v39, v13
	s_cbranch_execz .LBB91_181
	s_branch .LBB91_213
.LBB91_206:                             ;   in Loop: Header=BB91_182 Depth=2
	s_or_b32 exec_lo, exec_lo, s8
	s_delay_alu instid0(SALU_CYCLE_1)
	s_mov_b32 s8, exec_lo
	v_cmpx_lt_u32_e64 v29, v13
	s_cbranch_execz .LBB91_200
.LBB91_207:                             ;   in Loop: Header=BB91_182 Depth=2
	v_xor_b32_e32 v4, -1, v6
	v_lshlrev_b32_e32 v5, 2, v32
	s_delay_alu instid0(VALU_DEP_2) | instskip(NEXT) | instid1(VALU_DEP_1)
	v_and_b32_e32 v4, 0xff, v4
	v_lshrrev_b32_e32 v4, s30, v4
	s_delay_alu instid0(VALU_DEP_1) | instskip(NEXT) | instid1(VALU_DEP_1)
	v_and_b32_e32 v4, s31, v4
	v_lshl_or_b32 v4, v4, 4, v5
	ds_add_u32 v4, v66
	s_or_b32 exec_lo, exec_lo, s8
	s_delay_alu instid0(SALU_CYCLE_1)
	s_mov_b32 s8, exec_lo
	v_cmpx_lt_u32_e64 v30, v13
	s_cbranch_execnz .LBB91_201
.LBB91_208:                             ;   in Loop: Header=BB91_182 Depth=2
	s_or_b32 exec_lo, exec_lo, s8
	s_delay_alu instid0(SALU_CYCLE_1)
	s_mov_b32 s8, exec_lo
	v_cmpx_lt_u32_e64 v31, v13
	s_cbranch_execz .LBB91_202
.LBB91_209:                             ;   in Loop: Header=BB91_182 Depth=2
	v_xor_b32_e32 v4, -1, v8
	v_lshlrev_b32_e32 v5, 2, v32
	s_delay_alu instid0(VALU_DEP_2) | instskip(NEXT) | instid1(VALU_DEP_1)
	v_and_b32_e32 v4, 0xff, v4
	v_lshrrev_b32_e32 v4, s30, v4
	s_delay_alu instid0(VALU_DEP_1) | instskip(NEXT) | instid1(VALU_DEP_1)
	v_and_b32_e32 v4, s31, v4
	v_lshl_or_b32 v4, v4, 4, v5
	ds_add_u32 v4, v66
	s_or_b32 exec_lo, exec_lo, s8
	s_delay_alu instid0(SALU_CYCLE_1)
	s_mov_b32 s8, exec_lo
	v_cmpx_lt_u32_e64 v35, v13
	s_cbranch_execnz .LBB91_203
.LBB91_210:                             ;   in Loop: Header=BB91_182 Depth=2
	s_or_b32 exec_lo, exec_lo, s8
	s_delay_alu instid0(SALU_CYCLE_1)
	s_mov_b32 s8, exec_lo
	v_cmpx_lt_u32_e64 v36, v13
	s_cbranch_execz .LBB91_204
.LBB91_211:                             ;   in Loop: Header=BB91_182 Depth=2
	v_xor_b32_e32 v4, -1, v10
	v_lshlrev_b32_e32 v5, 2, v32
	s_delay_alu instid0(VALU_DEP_2) | instskip(NEXT) | instid1(VALU_DEP_1)
	v_and_b32_e32 v4, 0xff, v4
	v_lshrrev_b32_e32 v4, s30, v4
	s_delay_alu instid0(VALU_DEP_1) | instskip(NEXT) | instid1(VALU_DEP_1)
	v_and_b32_e32 v4, s31, v4
	v_lshl_or_b32 v4, v4, 4, v5
	ds_add_u32 v4, v66
	s_or_b32 exec_lo, exec_lo, s8
	s_delay_alu instid0(SALU_CYCLE_1)
	s_mov_b32 s8, exec_lo
	v_cmpx_lt_u32_e64 v37, v13
	s_cbranch_execnz .LBB91_205
.LBB91_212:                             ;   in Loop: Header=BB91_182 Depth=2
	s_or_b32 exec_lo, exec_lo, s8
	s_delay_alu instid0(SALU_CYCLE_1)
	s_mov_b32 s8, exec_lo
	v_cmpx_lt_u32_e64 v39, v13
	s_cbranch_execz .LBB91_181
.LBB91_213:                             ;   in Loop: Header=BB91_182 Depth=2
	s_waitcnt vmcnt(0)
	v_xor_b32_e32 v4, -1, v12
	v_lshlrev_b32_e32 v5, 2, v32
	s_delay_alu instid0(VALU_DEP_2) | instskip(NEXT) | instid1(VALU_DEP_1)
	v_and_b32_e32 v4, 0xff, v4
	v_lshrrev_b32_e32 v4, s30, v4
	s_delay_alu instid0(VALU_DEP_1) | instskip(NEXT) | instid1(VALU_DEP_1)
	v_and_b32_e32 v4, s31, v4
	v_lshl_or_b32 v4, v4, 4, v5
	ds_add_u32 v4, v66
	s_branch .LBB91_181
.LBB91_214:                             ;   in Loop: Header=BB91_182 Depth=2
	s_or_b32 exec_lo, exec_lo, s12
	s_delay_alu instid0(SALU_CYCLE_1)
	s_mov_b32 s12, exec_lo
	v_cmpx_gt_u32_e64 s0, v29
	s_cbranch_execz .LBB91_188
.LBB91_215:                             ;   in Loop: Header=BB91_182 Depth=2
	v_add_co_u32 v4, s13, s10, v1
	s_delay_alu instid0(VALU_DEP_1) | instskip(SKIP_2) | instid1(SALU_CYCLE_1)
	v_add_co_ci_u32_e64 v5, null, s11, 0, s13
	global_load_u8 v6, v[4:5], off offset:256
	s_or_b32 exec_lo, exec_lo, s12
	s_mov_b32 s12, exec_lo
	v_cmpx_gt_u32_e64 s0, v30
	s_cbranch_execnz .LBB91_189
.LBB91_216:                             ;   in Loop: Header=BB91_182 Depth=2
	s_or_b32 exec_lo, exec_lo, s12
	s_delay_alu instid0(SALU_CYCLE_1)
	s_mov_b32 s12, exec_lo
	v_cmpx_gt_u32_e64 s0, v31
	s_cbranch_execz .LBB91_190
.LBB91_217:                             ;   in Loop: Header=BB91_182 Depth=2
	v_add_co_u32 v4, s13, s10, v1
	s_delay_alu instid0(VALU_DEP_1) | instskip(SKIP_2) | instid1(SALU_CYCLE_1)
	v_add_co_ci_u32_e64 v5, null, s11, 0, s13
	global_load_u8 v8, v[4:5], off offset:768
	s_or_b32 exec_lo, exec_lo, s12
	s_mov_b32 s12, exec_lo
	v_cmpx_gt_u32_e64 s0, v35
	s_cbranch_execnz .LBB91_191
.LBB91_218:                             ;   in Loop: Header=BB91_182 Depth=2
	s_or_b32 exec_lo, exec_lo, s12
	s_delay_alu instid0(SALU_CYCLE_1)
	s_mov_b32 s12, exec_lo
	v_cmpx_gt_u32_e64 s0, v36
	s_cbranch_execz .LBB91_192
.LBB91_219:                             ;   in Loop: Header=BB91_182 Depth=2
	v_add_co_u32 v4, s13, s10, v1
	s_delay_alu instid0(VALU_DEP_1) | instskip(SKIP_2) | instid1(SALU_CYCLE_1)
	v_add_co_ci_u32_e64 v5, null, s11, 0, s13
	global_load_u8 v10, v[4:5], off offset:1280
	s_or_b32 exec_lo, exec_lo, s12
	s_mov_b32 s12, exec_lo
	v_cmpx_gt_u32_e64 s0, v37
	s_cbranch_execz .LBB91_194
	s_branch .LBB91_193
.LBB91_220:                             ;   in Loop: Header=BB91_12 Depth=1
	v_mov_b32_e32 v2, 0
	s_waitcnt vmcnt(0) lgkmcnt(0)
	s_barrier
	buffer_gl0_inv
	s_and_saveexec_b32 s0, s2
	s_cbranch_execz .LBB91_222
; %bb.221:                              ;   in Loop: Header=BB91_12 Depth=1
	ds_load_2addr_b64 v[4:7], v40 offset1:1
	s_waitcnt lgkmcnt(0)
	v_add_nc_u32_e32 v2, v5, v4
	s_delay_alu instid0(VALU_DEP_1)
	v_add3_u32 v2, v2, v6, v7
.LBB91_222:                             ;   in Loop: Header=BB91_12 Depth=1
	s_or_b32 exec_lo, exec_lo, s0
	v_and_b32_e32 v4, 15, v63
	s_delay_alu instid0(VALU_DEP_2) | instskip(SKIP_1) | instid1(VALU_DEP_3)
	v_mov_b32_dpp v5, v2 row_shr:1 row_mask:0xf bank_mask:0xf
	v_and_b32_e32 v6, 16, v63
	v_cmp_eq_u32_e64 s0, 0, v4
	v_cmp_lt_u32_e64 s1, 1, v4
	v_cmp_lt_u32_e64 s8, 3, v4
	;; [unrolled: 1-line block ×3, first 2 shown]
	v_cmp_eq_u32_e64 s10, 0, v6
	v_cndmask_b32_e64 v5, v5, 0, s0
	s_delay_alu instid0(VALU_DEP_1) | instskip(NEXT) | instid1(VALU_DEP_1)
	v_add_nc_u32_e32 v2, v5, v2
	v_mov_b32_dpp v5, v2 row_shr:2 row_mask:0xf bank_mask:0xf
	s_delay_alu instid0(VALU_DEP_1) | instskip(NEXT) | instid1(VALU_DEP_1)
	v_cndmask_b32_e64 v5, 0, v5, s1
	v_add_nc_u32_e32 v2, v2, v5
	s_delay_alu instid0(VALU_DEP_1) | instskip(NEXT) | instid1(VALU_DEP_1)
	v_mov_b32_dpp v5, v2 row_shr:4 row_mask:0xf bank_mask:0xf
	v_cndmask_b32_e64 v5, 0, v5, s8
	s_delay_alu instid0(VALU_DEP_1) | instskip(NEXT) | instid1(VALU_DEP_1)
	v_add_nc_u32_e32 v2, v2, v5
	v_mov_b32_dpp v5, v2 row_shr:8 row_mask:0xf bank_mask:0xf
	s_delay_alu instid0(VALU_DEP_1) | instskip(SKIP_1) | instid1(VALU_DEP_2)
	v_cndmask_b32_e64 v4, 0, v5, s9
	v_bfe_i32 v5, v63, 4, 1
	v_add_nc_u32_e32 v2, v2, v4
	ds_swizzle_b32 v4, v2 offset:swizzle(BROADCAST,32,15)
	s_waitcnt lgkmcnt(0)
	v_and_b32_e32 v4, v5, v4
	s_delay_alu instid0(VALU_DEP_1)
	v_add_nc_u32_e32 v4, v2, v4
	s_and_saveexec_b32 s11, s3
	s_cbranch_execz .LBB91_224
; %bb.223:                              ;   in Loop: Header=BB91_12 Depth=1
	ds_store_b32 v41, v4
.LBB91_224:                             ;   in Loop: Header=BB91_12 Depth=1
	s_or_b32 exec_lo, exec_lo, s11
	v_and_b32_e32 v2, 7, v63
	s_waitcnt lgkmcnt(0)
	s_barrier
	buffer_gl0_inv
	s_and_saveexec_b32 s11, s4
	s_cbranch_execz .LBB91_226
; %bb.225:                              ;   in Loop: Header=BB91_12 Depth=1
	ds_load_b32 v5, v42
	v_cmp_ne_u32_e32 vcc_lo, 0, v2
	s_waitcnt lgkmcnt(0)
	v_mov_b32_dpp v6, v5 row_shr:1 row_mask:0xf bank_mask:0xf
	s_delay_alu instid0(VALU_DEP_1) | instskip(SKIP_1) | instid1(VALU_DEP_2)
	v_cndmask_b32_e32 v6, 0, v6, vcc_lo
	v_cmp_lt_u32_e32 vcc_lo, 1, v2
	v_add_nc_u32_e32 v5, v6, v5
	s_delay_alu instid0(VALU_DEP_1) | instskip(NEXT) | instid1(VALU_DEP_1)
	v_mov_b32_dpp v6, v5 row_shr:2 row_mask:0xf bank_mask:0xf
	v_cndmask_b32_e32 v6, 0, v6, vcc_lo
	v_cmp_lt_u32_e32 vcc_lo, 3, v2
	s_delay_alu instid0(VALU_DEP_2) | instskip(NEXT) | instid1(VALU_DEP_1)
	v_add_nc_u32_e32 v5, v5, v6
	v_mov_b32_dpp v6, v5 row_shr:4 row_mask:0xf bank_mask:0xf
	s_delay_alu instid0(VALU_DEP_1) | instskip(NEXT) | instid1(VALU_DEP_1)
	v_cndmask_b32_e32 v6, 0, v6, vcc_lo
	v_add_nc_u32_e32 v5, v5, v6
	ds_store_b32 v42, v5
.LBB91_226:                             ;   in Loop: Header=BB91_12 Depth=1
	s_or_b32 exec_lo, exec_lo, s11
	v_mov_b32_e32 v5, 0
	s_waitcnt lgkmcnt(0)
	s_barrier
	buffer_gl0_inv
	s_and_saveexec_b32 s11, s5
	s_cbranch_execz .LBB91_228
; %bb.227:                              ;   in Loop: Header=BB91_12 Depth=1
	ds_load_b32 v5, v43
.LBB91_228:                             ;   in Loop: Header=BB91_12 Depth=1
	s_or_b32 exec_lo, exec_lo, s11
	v_add_nc_u32_e32 v6, -1, v63
	s_waitcnt lgkmcnt(0)
	v_add_nc_u32_e32 v4, v5, v4
	v_cmp_eq_u32_e64 s11, 0, v63
	s_barrier
	v_cmp_gt_i32_e32 vcc_lo, 0, v6
	buffer_gl0_inv
	v_cndmask_b32_e32 v6, v6, v63, vcc_lo
	s_delay_alu instid0(VALU_DEP_1)
	v_lshlrev_b32_e32 v69, 2, v6
	ds_bpermute_b32 v4, v69, v4
	s_and_saveexec_b32 s12, s2
	s_cbranch_execz .LBB91_230
; %bb.229:                              ;   in Loop: Header=BB91_12 Depth=1
	s_waitcnt lgkmcnt(0)
	v_cndmask_b32_e64 v4, v4, v5, s11
	s_delay_alu instid0(VALU_DEP_1)
	v_add_nc_u32_e32 v4, s27, v4
	ds_store_b32 v28, v4
.LBB91_230:                             ;   in Loop: Header=BB91_12 Depth=1
	s_or_b32 exec_lo, exec_lo, s12
	s_load_b64 s[12:13], s[28:29], 0x0
	v_cmp_lt_u32_e64 s14, 3, v2
	v_add_co_u32 v71, vcc_lo, v57, v63
	v_add_co_ci_u32_e32 v72, vcc_lo, 0, v58, vcc_lo
	v_or_b32_e32 v70, v63, v44
	s_mov_b32 s42, s35
	s_mov_b32 s24, s27
                                        ; implicit-def: $vgpr8_vgpr9
                                        ; implicit-def: $vgpr10_vgpr11
                                        ; implicit-def: $vgpr12_vgpr13
                                        ; implicit-def: $vgpr14_vgpr15
                                        ; implicit-def: $vgpr16_vgpr17
                                        ; implicit-def: $vgpr18_vgpr19
                                        ; implicit-def: $vgpr85
                                        ; implicit-def: $vgpr86
                                        ; implicit-def: $vgpr87
                                        ; implicit-def: $vgpr88
                                        ; implicit-def: $vgpr89
                                        ; implicit-def: $vgpr90
                                        ; implicit-def: $vgpr91
                                        ; implicit-def: $vgpr92
	s_delay_alu instid0(VALU_DEP_1)
	v_or_b32_e32 v75, 32, v70
	v_or_b32_e32 v76, 64, v70
	;; [unrolled: 1-line block ×7, first 2 shown]
	s_waitcnt lgkmcnt(0)
	s_cmp_lt_u32 s15, s13
	s_cselect_b32 s13, 14, 20
	s_delay_alu instid0(SALU_CYCLE_1) | instskip(SKIP_4) | instid1(SALU_CYCLE_1)
	s_add_u32 s16, s28, s13
	s_addc_u32 s17, s29, 0
	s_cmp_lt_u32 s26, s12
	global_load_u16 v4, v3, s[16:17]
	s_cselect_b32 s12, 12, 18
	s_add_u32 s12, s28, s12
	s_addc_u32 s13, s29, 0
	global_load_u16 v6, v3, s[12:13]
	v_cmp_eq_u32_e64 s12, 0, v2
	v_cmp_lt_u32_e64 s13, 1, v2
	v_lshlrev_b32_e32 v2, 3, v63
	s_delay_alu instid0(VALU_DEP_1)
	v_add_co_u32 v73, vcc_lo, v55, v2
	v_add_co_ci_u32_e32 v74, vcc_lo, 0, v56, vcc_lo
	v_add_co_u32 v83, vcc_lo, 0xe0, v71
	v_add_co_ci_u32_e32 v84, vcc_lo, 0, v72, vcc_lo
	s_waitcnt vmcnt(1)
	v_mad_u32_u24 v7, v45, v4, v0
	s_waitcnt vmcnt(0)
	s_delay_alu instid0(VALU_DEP_1) | instskip(NEXT) | instid1(VALU_DEP_1)
	v_mad_u64_u32 v[4:5], null, v7, v6, v[1:2]
                                        ; implicit-def: $vgpr6_vgpr7
	v_lshrrev_b32_e32 v82, 5, v4
                                        ; implicit-def: $vgpr4_vgpr5
	s_branch .LBB91_232
.LBB91_231:                             ;   in Loop: Header=BB91_232 Depth=2
	s_or_b32 exec_lo, exec_lo, s16
	s_addk_i32 s42, 0xf800
	s_cmp_lt_u32 s43, s33
	s_mov_b32 s24, s43
	s_cbranch_scc0 .LBB91_344
.LBB91_232:                             ;   Parent Loop BB91_12 Depth=1
                                        ; =>  This Inner Loop Header: Depth=2
	s_add_i32 s43, s24, 0x800
	s_delay_alu instid0(SALU_CYCLE_1)
	s_cmp_gt_u32 s43, s33
	s_cbranch_scc1 .LBB91_234
; %bb.233:                              ;   in Loop: Header=BB91_232 Depth=2
	v_add_co_u32 v20, vcc_lo, v71, s24
	v_add_co_ci_u32_e32 v21, vcc_lo, 0, v72, vcc_lo
	s_mov_b32 s17, 0
	s_mov_b32 s16, s24
	s_mov_b32 s19, -1
	s_clause 0x6
	global_load_u8 v2, v[20:21], off offset:32
	global_load_u8 v22, v[20:21], off offset:96
	;; [unrolled: 1-line block ×3, first 2 shown]
	global_load_u8 v24, v[20:21], off
	global_load_u8 v25, v[20:21], off offset:64
	global_load_u8 v26, v[20:21], off offset:128
	global_load_u8 v21, v[20:21], off offset:192
	s_movk_i32 s18, 0x800
	s_waitcnt vmcnt(6)
	v_lshlrev_b16 v2, 8, v2
	s_waitcnt vmcnt(5)
	v_lshlrev_b16 v20, 8, v22
	;; [unrolled: 2-line block ×3, first 2 shown]
	s_waitcnt vmcnt(3)
	v_or_b32_e32 v2, v24, v2
	s_waitcnt vmcnt(2)
	v_or_b32_e32 v20, v25, v20
	;; [unrolled: 2-line block ×3, first 2 shown]
	v_and_b32_e32 v2, 0xffff, v2
	s_delay_alu instid0(VALU_DEP_3) | instskip(NEXT) | instid1(VALU_DEP_3)
	v_lshlrev_b32_e32 v20, 16, v20
	v_and_b32_e32 v22, 0xffff, v22
	s_delay_alu instid0(VALU_DEP_2) | instskip(SKIP_1) | instid1(VALU_DEP_2)
	v_or_b32_e32 v20, v2, v20
	s_waitcnt vmcnt(0)
	v_lshl_or_b32 v21, v21, 16, v22
	s_cbranch_execz .LBB91_235
	s_branch .LBB91_244
.LBB91_234:                             ;   in Loop: Header=BB91_232 Depth=2
	s_mov_b32 s17, -1
	s_mov_b32 s19, 0
                                        ; implicit-def: $sgpr18
                                        ; implicit-def: $vgpr20_vgpr21
.LBB91_235:                             ;   in Loop: Header=BB91_232 Depth=2
	v_add_co_u32 v22, vcc_lo, v71, s24
	s_mov_b32 s16, s25
	s_mov_b32 s17, s25
	v_add_co_ci_u32_e32 v23, vcc_lo, 0, v72, vcc_lo
	v_dual_mov_b32 v21, s17 :: v_dual_mov_b32 v20, s16
	s_mov_b32 s16, exec_lo
	v_cmpx_gt_u32_e64 s42, v70
	s_cbranch_execz .LBB91_338
; %bb.236:                              ;   in Loop: Header=BB91_232 Depth=2
	global_load_u8 v2, v[22:23], off
	s_waitcnt vmcnt(0)
	v_dual_mov_b32 v21, s25 :: v_dual_and_b32 v20, 0xffff, v2
	s_or_b32 exec_lo, exec_lo, s16
	s_delay_alu instid0(SALU_CYCLE_1)
	s_mov_b32 s16, exec_lo
	v_cmpx_gt_u32_e64 s42, v75
	s_cbranch_execnz .LBB91_339
.LBB91_237:                             ;   in Loop: Header=BB91_232 Depth=2
	s_or_b32 exec_lo, exec_lo, s16
	s_delay_alu instid0(SALU_CYCLE_1)
	s_mov_b32 s16, exec_lo
	v_cmpx_gt_u32_e64 s42, v76
	s_cbranch_execz .LBB91_340
.LBB91_238:                             ;   in Loop: Header=BB91_232 Depth=2
	global_load_u8 v2, v[22:23], off offset:64
	v_lshrrev_b32_e32 v24, 16, v20
	s_delay_alu instid0(VALU_DEP_1) | instskip(SKIP_1) | instid1(VALU_DEP_1)
	v_and_b32_e32 v24, 0xffffff00, v24
	s_waitcnt vmcnt(0)
	v_or_b32_e32 v2, v2, v24
	s_delay_alu instid0(VALU_DEP_1) | instskip(NEXT) | instid1(VALU_DEP_1)
	v_lshlrev_b32_e32 v2, 16, v2
	v_and_or_b32 v20, 0xffff, v20, v2
	s_or_b32 exec_lo, exec_lo, s16
	s_delay_alu instid0(SALU_CYCLE_1)
	s_mov_b32 s16, exec_lo
	v_cmpx_gt_u32_e64 s42, v77
	s_cbranch_execnz .LBB91_341
.LBB91_239:                             ;   in Loop: Header=BB91_232 Depth=2
	s_or_b32 exec_lo, exec_lo, s16
	s_delay_alu instid0(SALU_CYCLE_1)
	s_mov_b32 s16, exec_lo
	v_cmpx_gt_u32_e64 s42, v78
	s_cbranch_execz .LBB91_342
.LBB91_240:                             ;   in Loop: Header=BB91_232 Depth=2
	global_load_u8 v2, v[22:23], off offset:128
	s_waitcnt vmcnt(0)
	v_perm_b32 v21, v2, v21, 0x3020104
	s_or_b32 exec_lo, exec_lo, s16
	s_delay_alu instid0(SALU_CYCLE_1)
	s_mov_b32 s16, exec_lo
	v_cmpx_gt_u32_e64 s42, v79
	s_cbranch_execnz .LBB91_343
.LBB91_241:                             ;   in Loop: Header=BB91_232 Depth=2
	s_or_b32 exec_lo, exec_lo, s16
	s_delay_alu instid0(SALU_CYCLE_1)
	s_mov_b32 s16, exec_lo
	v_cmpx_gt_u32_e64 s42, v80
	s_cbranch_execz .LBB91_243
.LBB91_242:                             ;   in Loop: Header=BB91_232 Depth=2
	global_load_u8 v2, v[22:23], off offset:192
	s_waitcnt vmcnt(0)
	v_perm_b32 v21, v21, v2, 0x7000504
.LBB91_243:                             ;   in Loop: Header=BB91_232 Depth=2
	s_or_b32 exec_lo, exec_lo, s16
	v_cmp_gt_u32_e64 s19, s42, v81
	s_sub_i32 s18, s33, s24
	s_mov_b64 s[16:17], s[24:25]
.LBB91_244:                             ;   in Loop: Header=BB91_232 Depth=2
	v_mov_b32_e32 v2, s42
	s_delay_alu instid0(VALU_DEP_2)
	s_and_saveexec_b32 s20, s19
	s_cbranch_execz .LBB91_246
; %bb.245:                              ;   in Loop: Header=BB91_232 Depth=2
	v_add_co_u32 v22, vcc_lo, v83, s16
	v_add_co_ci_u32_e32 v23, vcc_lo, s17, v84, vcc_lo
	global_load_u8 v2, v[22:23], off
	s_waitcnt vmcnt(0)
	v_perm_b32 v21, v21, v2, 0x60504
	v_mov_b32_e32 v2, s18
.LBB91_246:                             ;   in Loop: Header=BB91_232 Depth=2
	s_or_b32 exec_lo, exec_lo, s20
	v_xor_b32_e32 v93, -1, v20
	ds_store_b32 v46, v3 offset:1056
	ds_store_2addr_b32 v47, v3, v3 offset0:1 offset1:2
	ds_store_2addr_b32 v47, v3, v3 offset0:3 offset1:4
	;; [unrolled: 1-line block ×4, first 2 shown]
	s_waitcnt lgkmcnt(0)
	s_barrier
	v_and_b32_e32 v22, 0xff, v93
	buffer_gl0_inv
	; wave barrier
	v_lshrrev_b32_e32 v22, s30, v22
	s_delay_alu instid0(VALU_DEP_1) | instskip(NEXT) | instid1(VALU_DEP_1)
	v_and_b32_e32 v23, s31, v22
	v_and_b32_e32 v22, 1, v23
	v_lshlrev_b32_e32 v24, 30, v23
	v_lshlrev_b32_e32 v25, 29, v23
	;; [unrolled: 1-line block ×4, first 2 shown]
	v_add_co_u32 v22, s16, v22, -1
	s_delay_alu instid0(VALU_DEP_1)
	v_cndmask_b32_e64 v27, 0, 1, s16
	v_not_b32_e32 v97, v24
	v_cmp_gt_i32_e64 s16, 0, v24
	v_not_b32_e32 v24, v25
	v_lshlrev_b32_e32 v95, 26, v23
	v_cmp_ne_u32_e32 vcc_lo, 0, v27
	v_ashrrev_i32_e32 v97, 31, v97
	v_lshlrev_b32_e32 v96, 25, v23
	v_ashrrev_i32_e32 v24, 31, v24
	v_lshlrev_b32_e32 v27, 24, v23
	v_xor_b32_e32 v22, vcc_lo, v22
	v_cmp_gt_i32_e32 vcc_lo, 0, v25
	v_not_b32_e32 v25, v26
	v_xor_b32_e32 v97, s16, v97
	v_cmp_gt_i32_e64 s16, 0, v26
	v_and_b32_e32 v22, exec_lo, v22
	v_not_b32_e32 v26, v94
	v_ashrrev_i32_e32 v25, 31, v25
	v_xor_b32_e32 v24, vcc_lo, v24
	v_cmp_gt_i32_e32 vcc_lo, 0, v94
	v_and_b32_e32 v22, v22, v97
	v_not_b32_e32 v94, v95
	v_ashrrev_i32_e32 v26, 31, v26
	v_xor_b32_e32 v25, s16, v25
	v_cmp_gt_i32_e64 s16, 0, v95
	v_and_b32_e32 v22, v22, v24
	v_not_b32_e32 v24, v96
	v_ashrrev_i32_e32 v94, 31, v94
	v_xor_b32_e32 v26, vcc_lo, v26
	v_cmp_gt_i32_e32 vcc_lo, 0, v96
	v_and_b32_e32 v22, v22, v25
	v_not_b32_e32 v25, v27
	v_ashrrev_i32_e32 v24, 31, v24
	v_xor_b32_e32 v94, s16, v94
	v_cmp_gt_i32_e64 s16, 0, v27
	v_and_b32_e32 v22, v22, v26
	v_ashrrev_i32_e32 v25, 31, v25
	v_xor_b32_e32 v24, vcc_lo, v24
	v_mad_u32_u24 v23, v23, 9, v82
	s_delay_alu instid0(VALU_DEP_4) | instskip(NEXT) | instid1(VALU_DEP_4)
	v_and_b32_e32 v22, v22, v94
	v_xor_b32_e32 v25, s16, v25
	s_delay_alu instid0(VALU_DEP_3) | instskip(NEXT) | instid1(VALU_DEP_3)
	v_lshl_add_u32 v96, v23, 2, 0x420
	v_and_b32_e32 v22, v22, v24
	s_delay_alu instid0(VALU_DEP_1) | instskip(NEXT) | instid1(VALU_DEP_1)
	v_and_b32_e32 v22, v22, v25
	v_mbcnt_lo_u32_b32 v94, v22, 0
	v_cmp_ne_u32_e64 s16, 0, v22
	s_delay_alu instid0(VALU_DEP_2) | instskip(NEXT) | instid1(VALU_DEP_2)
	v_cmp_eq_u32_e32 vcc_lo, 0, v94
	s_and_b32 s17, s16, vcc_lo
	s_delay_alu instid0(SALU_CYCLE_1)
	s_and_saveexec_b32 s16, s17
	s_cbranch_execz .LBB91_248
; %bb.247:                              ;   in Loop: Header=BB91_232 Depth=2
	v_bcnt_u32_b32 v22, v22, 0
	ds_store_b32 v96, v22
.LBB91_248:                             ;   in Loop: Header=BB91_232 Depth=2
	s_or_b32 exec_lo, exec_lo, s16
	v_lshrrev_b32_e32 v22, 8, v20
	; wave barrier
	s_delay_alu instid0(VALU_DEP_1) | instskip(NEXT) | instid1(VALU_DEP_1)
	v_xor_b32_e32 v95, -1, v22
	v_and_b32_e32 v22, 0xff, v95
	s_delay_alu instid0(VALU_DEP_1) | instskip(NEXT) | instid1(VALU_DEP_1)
	v_lshrrev_b32_e32 v22, s30, v22
	v_and_b32_e32 v22, s31, v22
	s_delay_alu instid0(VALU_DEP_1)
	v_and_b32_e32 v23, 1, v22
	v_lshlrev_b32_e32 v24, 30, v22
	v_lshlrev_b32_e32 v25, 29, v22
	;; [unrolled: 1-line block ×4, first 2 shown]
	v_add_co_u32 v23, s16, v23, -1
	s_delay_alu instid0(VALU_DEP_1)
	v_cndmask_b32_e64 v27, 0, 1, s16
	v_not_b32_e32 v100, v24
	v_cmp_gt_i32_e64 s16, 0, v24
	v_not_b32_e32 v24, v25
	v_lshlrev_b32_e32 v98, 26, v22
	v_cmp_ne_u32_e32 vcc_lo, 0, v27
	v_ashrrev_i32_e32 v100, 31, v100
	v_lshlrev_b32_e32 v99, 25, v22
	v_ashrrev_i32_e32 v24, 31, v24
	v_lshlrev_b32_e32 v27, 24, v22
	v_xor_b32_e32 v23, vcc_lo, v23
	v_cmp_gt_i32_e32 vcc_lo, 0, v25
	v_not_b32_e32 v25, v26
	v_xor_b32_e32 v100, s16, v100
	v_cmp_gt_i32_e64 s16, 0, v26
	v_and_b32_e32 v23, exec_lo, v23
	v_not_b32_e32 v26, v97
	v_ashrrev_i32_e32 v25, 31, v25
	v_xor_b32_e32 v24, vcc_lo, v24
	v_cmp_gt_i32_e32 vcc_lo, 0, v97
	v_and_b32_e32 v23, v23, v100
	v_not_b32_e32 v97, v98
	v_ashrrev_i32_e32 v26, 31, v26
	v_xor_b32_e32 v25, s16, v25
	v_cmp_gt_i32_e64 s16, 0, v98
	v_and_b32_e32 v23, v23, v24
	v_not_b32_e32 v24, v99
	v_ashrrev_i32_e32 v97, 31, v97
	v_xor_b32_e32 v26, vcc_lo, v26
	v_cmp_gt_i32_e32 vcc_lo, 0, v99
	v_and_b32_e32 v23, v23, v25
	v_not_b32_e32 v25, v27
	v_ashrrev_i32_e32 v24, 31, v24
	v_xor_b32_e32 v97, s16, v97
	v_mul_u32_u24_e32 v22, 9, v22
	v_and_b32_e32 v23, v23, v26
	v_cmp_gt_i32_e64 s16, 0, v27
	v_ashrrev_i32_e32 v25, 31, v25
	v_xor_b32_e32 v24, vcc_lo, v24
	v_add_lshl_u32 v26, v22, v82, 2
	v_and_b32_e32 v23, v23, v97
	s_delay_alu instid0(VALU_DEP_4) | instskip(SKIP_3) | instid1(VALU_DEP_2)
	v_xor_b32_e32 v22, s16, v25
	ds_load_b32 v97, v26 offset:1056
	v_and_b32_e32 v23, v23, v24
	v_add_nc_u32_e32 v100, 0x420, v26
	; wave barrier
	v_and_b32_e32 v22, v23, v22
	s_delay_alu instid0(VALU_DEP_1) | instskip(SKIP_1) | instid1(VALU_DEP_2)
	v_mbcnt_lo_u32_b32 v98, v22, 0
	v_cmp_ne_u32_e64 s16, 0, v22
	v_cmp_eq_u32_e32 vcc_lo, 0, v98
	s_delay_alu instid0(VALU_DEP_2) | instskip(NEXT) | instid1(SALU_CYCLE_1)
	s_and_b32 s17, s16, vcc_lo
	s_and_saveexec_b32 s16, s17
	s_cbranch_execz .LBB91_250
; %bb.249:                              ;   in Loop: Header=BB91_232 Depth=2
	s_waitcnt lgkmcnt(0)
	v_bcnt_u32_b32 v22, v22, v97
	ds_store_b32 v100, v22
.LBB91_250:                             ;   in Loop: Header=BB91_232 Depth=2
	s_or_b32 exec_lo, exec_lo, s16
	v_lshrrev_b32_e32 v22, 16, v20
	; wave barrier
	s_delay_alu instid0(VALU_DEP_1) | instskip(NEXT) | instid1(VALU_DEP_1)
	v_xor_b32_e32 v99, -1, v22
	v_and_b32_e32 v22, 0xff, v99
	s_delay_alu instid0(VALU_DEP_1) | instskip(NEXT) | instid1(VALU_DEP_1)
	v_lshrrev_b32_e32 v22, s30, v22
	v_and_b32_e32 v22, s31, v22
	s_delay_alu instid0(VALU_DEP_1)
	v_and_b32_e32 v23, 1, v22
	v_lshlrev_b32_e32 v24, 30, v22
	v_lshlrev_b32_e32 v25, 29, v22
	;; [unrolled: 1-line block ×4, first 2 shown]
	v_add_co_u32 v23, s16, v23, -1
	s_delay_alu instid0(VALU_DEP_1)
	v_cndmask_b32_e64 v27, 0, 1, s16
	v_not_b32_e32 v104, v24
	v_cmp_gt_i32_e64 s16, 0, v24
	v_not_b32_e32 v24, v25
	v_lshlrev_b32_e32 v102, 26, v22
	v_cmp_ne_u32_e32 vcc_lo, 0, v27
	v_ashrrev_i32_e32 v104, 31, v104
	v_lshlrev_b32_e32 v103, 25, v22
	v_ashrrev_i32_e32 v24, 31, v24
	v_lshlrev_b32_e32 v27, 24, v22
	v_xor_b32_e32 v23, vcc_lo, v23
	v_cmp_gt_i32_e32 vcc_lo, 0, v25
	v_not_b32_e32 v25, v26
	v_xor_b32_e32 v104, s16, v104
	v_cmp_gt_i32_e64 s16, 0, v26
	v_and_b32_e32 v23, exec_lo, v23
	v_not_b32_e32 v26, v101
	v_ashrrev_i32_e32 v25, 31, v25
	v_xor_b32_e32 v24, vcc_lo, v24
	v_cmp_gt_i32_e32 vcc_lo, 0, v101
	v_and_b32_e32 v23, v23, v104
	v_not_b32_e32 v101, v102
	v_ashrrev_i32_e32 v26, 31, v26
	v_xor_b32_e32 v25, s16, v25
	v_cmp_gt_i32_e64 s16, 0, v102
	v_and_b32_e32 v23, v23, v24
	v_not_b32_e32 v24, v103
	v_ashrrev_i32_e32 v101, 31, v101
	v_xor_b32_e32 v26, vcc_lo, v26
	v_cmp_gt_i32_e32 vcc_lo, 0, v103
	v_and_b32_e32 v23, v23, v25
	v_not_b32_e32 v25, v27
	v_ashrrev_i32_e32 v24, 31, v24
	v_xor_b32_e32 v101, s16, v101
	v_mul_u32_u24_e32 v22, 9, v22
	v_and_b32_e32 v23, v23, v26
	v_cmp_gt_i32_e64 s16, 0, v27
	v_ashrrev_i32_e32 v25, 31, v25
	v_xor_b32_e32 v24, vcc_lo, v24
	v_add_lshl_u32 v26, v22, v82, 2
	v_and_b32_e32 v23, v23, v101
	s_delay_alu instid0(VALU_DEP_4) | instskip(SKIP_3) | instid1(VALU_DEP_2)
	v_xor_b32_e32 v22, s16, v25
	ds_load_b32 v101, v26 offset:1056
	v_and_b32_e32 v23, v23, v24
	v_add_nc_u32_e32 v104, 0x420, v26
	; wave barrier
	v_and_b32_e32 v22, v23, v22
	s_delay_alu instid0(VALU_DEP_1) | instskip(SKIP_1) | instid1(VALU_DEP_2)
	v_mbcnt_lo_u32_b32 v102, v22, 0
	v_cmp_ne_u32_e64 s16, 0, v22
	v_cmp_eq_u32_e32 vcc_lo, 0, v102
	s_delay_alu instid0(VALU_DEP_2) | instskip(NEXT) | instid1(SALU_CYCLE_1)
	s_and_b32 s17, s16, vcc_lo
	s_and_saveexec_b32 s16, s17
	s_cbranch_execz .LBB91_252
; %bb.251:                              ;   in Loop: Header=BB91_232 Depth=2
	s_waitcnt lgkmcnt(0)
	v_bcnt_u32_b32 v22, v22, v101
	ds_store_b32 v104, v22
.LBB91_252:                             ;   in Loop: Header=BB91_232 Depth=2
	s_or_b32 exec_lo, exec_lo, s16
	v_lshrrev_b64 v[22:23], 24, v[20:21]
	; wave barrier
	s_delay_alu instid0(VALU_DEP_1) | instskip(NEXT) | instid1(VALU_DEP_1)
	v_xor_b32_e32 v103, -1, v22
	v_and_b32_e32 v20, 0xff, v103
	s_delay_alu instid0(VALU_DEP_1) | instskip(NEXT) | instid1(VALU_DEP_1)
	v_lshrrev_b32_e32 v20, s30, v20
	v_and_b32_e32 v20, s31, v20
	s_delay_alu instid0(VALU_DEP_1)
	v_and_b32_e32 v22, 1, v20
	v_lshlrev_b32_e32 v23, 30, v20
	v_lshlrev_b32_e32 v24, 29, v20
	;; [unrolled: 1-line block ×4, first 2 shown]
	v_add_co_u32 v22, s16, v22, -1
	s_delay_alu instid0(VALU_DEP_1)
	v_cndmask_b32_e64 v26, 0, 1, s16
	v_not_b32_e32 v107, v23
	v_cmp_gt_i32_e64 s16, 0, v23
	v_not_b32_e32 v23, v24
	v_lshlrev_b32_e32 v105, 26, v20
	v_cmp_ne_u32_e32 vcc_lo, 0, v26
	v_ashrrev_i32_e32 v107, 31, v107
	v_lshlrev_b32_e32 v106, 25, v20
	v_ashrrev_i32_e32 v23, 31, v23
	v_lshlrev_b32_e32 v26, 24, v20
	v_xor_b32_e32 v22, vcc_lo, v22
	v_cmp_gt_i32_e32 vcc_lo, 0, v24
	v_not_b32_e32 v24, v25
	v_xor_b32_e32 v107, s16, v107
	v_cmp_gt_i32_e64 s16, 0, v25
	v_and_b32_e32 v22, exec_lo, v22
	v_not_b32_e32 v25, v27
	v_ashrrev_i32_e32 v24, 31, v24
	v_xor_b32_e32 v23, vcc_lo, v23
	v_cmp_gt_i32_e32 vcc_lo, 0, v27
	v_and_b32_e32 v22, v22, v107
	v_not_b32_e32 v27, v105
	v_ashrrev_i32_e32 v25, 31, v25
	v_xor_b32_e32 v24, s16, v24
	v_cmp_gt_i32_e64 s16, 0, v105
	v_and_b32_e32 v22, v22, v23
	v_not_b32_e32 v23, v106
	v_ashrrev_i32_e32 v27, 31, v27
	v_xor_b32_e32 v25, vcc_lo, v25
	v_cmp_gt_i32_e32 vcc_lo, 0, v106
	v_and_b32_e32 v22, v22, v24
	v_not_b32_e32 v24, v26
	v_ashrrev_i32_e32 v23, 31, v23
	v_xor_b32_e32 v27, s16, v27
	v_mul_u32_u24_e32 v20, 9, v20
	v_and_b32_e32 v22, v22, v25
	v_cmp_gt_i32_e64 s16, 0, v26
	v_ashrrev_i32_e32 v24, 31, v24
	v_xor_b32_e32 v23, vcc_lo, v23
	v_add_lshl_u32 v25, v20, v82, 2
	v_and_b32_e32 v22, v22, v27
	s_delay_alu instid0(VALU_DEP_4) | instskip(SKIP_3) | instid1(VALU_DEP_2)
	v_xor_b32_e32 v20, s16, v24
	ds_load_b32 v105, v25 offset:1056
	v_and_b32_e32 v22, v22, v23
	v_add_nc_u32_e32 v108, 0x420, v25
	; wave barrier
	v_and_b32_e32 v20, v22, v20
	s_delay_alu instid0(VALU_DEP_1) | instskip(SKIP_1) | instid1(VALU_DEP_2)
	v_mbcnt_lo_u32_b32 v106, v20, 0
	v_cmp_ne_u32_e64 s16, 0, v20
	v_cmp_eq_u32_e32 vcc_lo, 0, v106
	s_delay_alu instid0(VALU_DEP_2) | instskip(NEXT) | instid1(SALU_CYCLE_1)
	s_and_b32 s17, s16, vcc_lo
	s_and_saveexec_b32 s16, s17
	s_cbranch_execz .LBB91_254
; %bb.253:                              ;   in Loop: Header=BB91_232 Depth=2
	s_waitcnt lgkmcnt(0)
	v_bcnt_u32_b32 v20, v20, v105
	ds_store_b32 v108, v20
.LBB91_254:                             ;   in Loop: Header=BB91_232 Depth=2
	s_or_b32 exec_lo, exec_lo, s16
	v_xor_b32_e32 v107, -1, v21
	; wave barrier
	s_delay_alu instid0(VALU_DEP_1) | instskip(NEXT) | instid1(VALU_DEP_1)
	v_and_b32_e32 v20, 0xff, v107
	v_lshrrev_b32_e32 v20, s30, v20
	s_delay_alu instid0(VALU_DEP_1) | instskip(NEXT) | instid1(VALU_DEP_1)
	v_and_b32_e32 v20, s31, v20
	v_and_b32_e32 v22, 1, v20
	v_lshlrev_b32_e32 v23, 30, v20
	v_lshlrev_b32_e32 v24, 29, v20
	;; [unrolled: 1-line block ×4, first 2 shown]
	v_add_co_u32 v22, s16, v22, -1
	s_delay_alu instid0(VALU_DEP_1)
	v_cndmask_b32_e64 v26, 0, 1, s16
	v_not_b32_e32 v111, v23
	v_cmp_gt_i32_e64 s16, 0, v23
	v_not_b32_e32 v23, v24
	v_lshlrev_b32_e32 v109, 26, v20
	v_cmp_ne_u32_e32 vcc_lo, 0, v26
	v_ashrrev_i32_e32 v111, 31, v111
	v_lshlrev_b32_e32 v110, 25, v20
	v_ashrrev_i32_e32 v23, 31, v23
	v_lshlrev_b32_e32 v26, 24, v20
	v_xor_b32_e32 v22, vcc_lo, v22
	v_cmp_gt_i32_e32 vcc_lo, 0, v24
	v_not_b32_e32 v24, v25
	v_xor_b32_e32 v111, s16, v111
	v_cmp_gt_i32_e64 s16, 0, v25
	v_and_b32_e32 v22, exec_lo, v22
	v_not_b32_e32 v25, v27
	v_ashrrev_i32_e32 v24, 31, v24
	v_xor_b32_e32 v23, vcc_lo, v23
	v_cmp_gt_i32_e32 vcc_lo, 0, v27
	v_and_b32_e32 v22, v22, v111
	v_not_b32_e32 v27, v109
	v_ashrrev_i32_e32 v25, 31, v25
	v_xor_b32_e32 v24, s16, v24
	v_cmp_gt_i32_e64 s16, 0, v109
	v_and_b32_e32 v22, v22, v23
	v_not_b32_e32 v23, v110
	v_ashrrev_i32_e32 v27, 31, v27
	v_xor_b32_e32 v25, vcc_lo, v25
	v_cmp_gt_i32_e32 vcc_lo, 0, v110
	v_and_b32_e32 v22, v22, v24
	v_not_b32_e32 v24, v26
	v_ashrrev_i32_e32 v23, 31, v23
	v_xor_b32_e32 v27, s16, v27
	v_mul_u32_u24_e32 v20, 9, v20
	v_and_b32_e32 v22, v22, v25
	v_cmp_gt_i32_e64 s16, 0, v26
	v_ashrrev_i32_e32 v24, 31, v24
	v_xor_b32_e32 v23, vcc_lo, v23
	v_add_lshl_u32 v25, v20, v82, 2
	v_and_b32_e32 v22, v22, v27
	s_delay_alu instid0(VALU_DEP_4) | instskip(SKIP_3) | instid1(VALU_DEP_2)
	v_xor_b32_e32 v20, s16, v24
	ds_load_b32 v109, v25 offset:1056
	v_and_b32_e32 v22, v22, v23
	v_add_nc_u32_e32 v112, 0x420, v25
	; wave barrier
	v_and_b32_e32 v20, v22, v20
	s_delay_alu instid0(VALU_DEP_1) | instskip(SKIP_1) | instid1(VALU_DEP_2)
	v_mbcnt_lo_u32_b32 v110, v20, 0
	v_cmp_ne_u32_e64 s16, 0, v20
	v_cmp_eq_u32_e32 vcc_lo, 0, v110
	s_delay_alu instid0(VALU_DEP_2) | instskip(NEXT) | instid1(SALU_CYCLE_1)
	s_and_b32 s17, s16, vcc_lo
	s_and_saveexec_b32 s16, s17
	s_cbranch_execz .LBB91_256
; %bb.255:                              ;   in Loop: Header=BB91_232 Depth=2
	s_waitcnt lgkmcnt(0)
	v_bcnt_u32_b32 v20, v20, v109
	ds_store_b32 v112, v20
.LBB91_256:                             ;   in Loop: Header=BB91_232 Depth=2
	s_or_b32 exec_lo, exec_lo, s16
	v_lshrrev_b32_e32 v20, 8, v21
	; wave barrier
	s_delay_alu instid0(VALU_DEP_1) | instskip(NEXT) | instid1(VALU_DEP_1)
	v_xor_b32_e32 v111, -1, v20
	v_and_b32_e32 v20, 0xff, v111
	s_delay_alu instid0(VALU_DEP_1) | instskip(NEXT) | instid1(VALU_DEP_1)
	v_lshrrev_b32_e32 v20, s30, v20
	v_and_b32_e32 v20, s31, v20
	s_delay_alu instid0(VALU_DEP_1)
	v_and_b32_e32 v22, 1, v20
	v_lshlrev_b32_e32 v23, 30, v20
	v_lshlrev_b32_e32 v24, 29, v20
	;; [unrolled: 1-line block ×4, first 2 shown]
	v_add_co_u32 v22, s16, v22, -1
	s_delay_alu instid0(VALU_DEP_1)
	v_cndmask_b32_e64 v26, 0, 1, s16
	v_not_b32_e32 v115, v23
	v_cmp_gt_i32_e64 s16, 0, v23
	v_not_b32_e32 v23, v24
	v_lshlrev_b32_e32 v113, 26, v20
	v_cmp_ne_u32_e32 vcc_lo, 0, v26
	v_ashrrev_i32_e32 v115, 31, v115
	v_lshlrev_b32_e32 v114, 25, v20
	v_ashrrev_i32_e32 v23, 31, v23
	v_lshlrev_b32_e32 v26, 24, v20
	v_xor_b32_e32 v22, vcc_lo, v22
	v_cmp_gt_i32_e32 vcc_lo, 0, v24
	v_not_b32_e32 v24, v25
	v_xor_b32_e32 v115, s16, v115
	v_cmp_gt_i32_e64 s16, 0, v25
	v_and_b32_e32 v22, exec_lo, v22
	v_not_b32_e32 v25, v27
	v_ashrrev_i32_e32 v24, 31, v24
	v_xor_b32_e32 v23, vcc_lo, v23
	v_cmp_gt_i32_e32 vcc_lo, 0, v27
	v_and_b32_e32 v22, v22, v115
	v_not_b32_e32 v27, v113
	v_ashrrev_i32_e32 v25, 31, v25
	v_xor_b32_e32 v24, s16, v24
	v_cmp_gt_i32_e64 s16, 0, v113
	v_and_b32_e32 v22, v22, v23
	v_not_b32_e32 v23, v114
	v_ashrrev_i32_e32 v27, 31, v27
	v_xor_b32_e32 v25, vcc_lo, v25
	v_cmp_gt_i32_e32 vcc_lo, 0, v114
	v_and_b32_e32 v22, v22, v24
	v_not_b32_e32 v24, v26
	v_ashrrev_i32_e32 v23, 31, v23
	v_xor_b32_e32 v27, s16, v27
	v_mul_u32_u24_e32 v20, 9, v20
	v_and_b32_e32 v22, v22, v25
	v_cmp_gt_i32_e64 s16, 0, v26
	v_ashrrev_i32_e32 v24, 31, v24
	v_xor_b32_e32 v23, vcc_lo, v23
	v_add_lshl_u32 v25, v20, v82, 2
	v_and_b32_e32 v22, v22, v27
	s_delay_alu instid0(VALU_DEP_4) | instskip(SKIP_3) | instid1(VALU_DEP_2)
	v_xor_b32_e32 v20, s16, v24
	ds_load_b32 v113, v25 offset:1056
	v_and_b32_e32 v22, v22, v23
	v_add_nc_u32_e32 v116, 0x420, v25
	; wave barrier
	v_and_b32_e32 v20, v22, v20
	s_delay_alu instid0(VALU_DEP_1) | instskip(SKIP_1) | instid1(VALU_DEP_2)
	v_mbcnt_lo_u32_b32 v114, v20, 0
	v_cmp_ne_u32_e64 s16, 0, v20
	v_cmp_eq_u32_e32 vcc_lo, 0, v114
	s_delay_alu instid0(VALU_DEP_2) | instskip(NEXT) | instid1(SALU_CYCLE_1)
	s_and_b32 s17, s16, vcc_lo
	s_and_saveexec_b32 s16, s17
	s_cbranch_execz .LBB91_258
; %bb.257:                              ;   in Loop: Header=BB91_232 Depth=2
	s_waitcnt lgkmcnt(0)
	v_bcnt_u32_b32 v20, v20, v113
	ds_store_b32 v116, v20
.LBB91_258:                             ;   in Loop: Header=BB91_232 Depth=2
	s_or_b32 exec_lo, exec_lo, s16
	v_lshrrev_b32_e32 v20, 16, v21
	; wave barrier
	s_delay_alu instid0(VALU_DEP_1) | instskip(NEXT) | instid1(VALU_DEP_1)
	v_xor_b32_e32 v115, -1, v20
	v_and_b32_e32 v20, 0xff, v115
	s_delay_alu instid0(VALU_DEP_1) | instskip(NEXT) | instid1(VALU_DEP_1)
	v_lshrrev_b32_e32 v20, s30, v20
	v_and_b32_e32 v20, s31, v20
	s_delay_alu instid0(VALU_DEP_1)
	v_and_b32_e32 v22, 1, v20
	v_lshlrev_b32_e32 v23, 30, v20
	v_lshlrev_b32_e32 v24, 29, v20
	;; [unrolled: 1-line block ×4, first 2 shown]
	v_add_co_u32 v22, s16, v22, -1
	s_delay_alu instid0(VALU_DEP_1)
	v_cndmask_b32_e64 v26, 0, 1, s16
	v_not_b32_e32 v119, v23
	v_cmp_gt_i32_e64 s16, 0, v23
	v_not_b32_e32 v23, v24
	v_lshlrev_b32_e32 v117, 26, v20
	v_cmp_ne_u32_e32 vcc_lo, 0, v26
	v_ashrrev_i32_e32 v119, 31, v119
	v_lshlrev_b32_e32 v118, 25, v20
	v_ashrrev_i32_e32 v23, 31, v23
	v_lshlrev_b32_e32 v26, 24, v20
	v_xor_b32_e32 v22, vcc_lo, v22
	v_cmp_gt_i32_e32 vcc_lo, 0, v24
	v_not_b32_e32 v24, v25
	v_xor_b32_e32 v119, s16, v119
	v_cmp_gt_i32_e64 s16, 0, v25
	v_and_b32_e32 v22, exec_lo, v22
	v_not_b32_e32 v25, v27
	v_ashrrev_i32_e32 v24, 31, v24
	v_xor_b32_e32 v23, vcc_lo, v23
	v_cmp_gt_i32_e32 vcc_lo, 0, v27
	v_and_b32_e32 v22, v22, v119
	v_not_b32_e32 v27, v117
	v_ashrrev_i32_e32 v25, 31, v25
	v_xor_b32_e32 v24, s16, v24
	v_cmp_gt_i32_e64 s16, 0, v117
	v_and_b32_e32 v22, v22, v23
	v_not_b32_e32 v23, v118
	v_ashrrev_i32_e32 v27, 31, v27
	v_xor_b32_e32 v25, vcc_lo, v25
	v_cmp_gt_i32_e32 vcc_lo, 0, v118
	v_and_b32_e32 v22, v22, v24
	v_not_b32_e32 v24, v26
	v_ashrrev_i32_e32 v23, 31, v23
	v_xor_b32_e32 v27, s16, v27
	v_mul_u32_u24_e32 v20, 9, v20
	v_and_b32_e32 v22, v22, v25
	v_cmp_gt_i32_e64 s16, 0, v26
	v_ashrrev_i32_e32 v24, 31, v24
	v_xor_b32_e32 v23, vcc_lo, v23
	v_add_lshl_u32 v25, v20, v82, 2
	v_and_b32_e32 v22, v22, v27
	s_delay_alu instid0(VALU_DEP_4) | instskip(SKIP_3) | instid1(VALU_DEP_2)
	v_xor_b32_e32 v20, s16, v24
	ds_load_b32 v117, v25 offset:1056
	v_and_b32_e32 v22, v22, v23
	v_add_nc_u32_e32 v120, 0x420, v25
	; wave barrier
	v_and_b32_e32 v20, v22, v20
	s_delay_alu instid0(VALU_DEP_1) | instskip(SKIP_1) | instid1(VALU_DEP_2)
	v_mbcnt_lo_u32_b32 v118, v20, 0
	v_cmp_ne_u32_e64 s16, 0, v20
	v_cmp_eq_u32_e32 vcc_lo, 0, v118
	s_delay_alu instid0(VALU_DEP_2) | instskip(NEXT) | instid1(SALU_CYCLE_1)
	s_and_b32 s17, s16, vcc_lo
	s_and_saveexec_b32 s16, s17
	s_cbranch_execz .LBB91_260
; %bb.259:                              ;   in Loop: Header=BB91_232 Depth=2
	s_waitcnt lgkmcnt(0)
	v_bcnt_u32_b32 v20, v20, v117
	ds_store_b32 v120, v20
.LBB91_260:                             ;   in Loop: Header=BB91_232 Depth=2
	s_or_b32 exec_lo, exec_lo, s16
	v_lshrrev_b32_e32 v20, 24, v21
	; wave barrier
	s_delay_alu instid0(VALU_DEP_1) | instskip(NEXT) | instid1(VALU_DEP_1)
	v_xor_b32_e32 v119, -1, v20
	v_and_b32_e32 v20, 0xff, v119
	s_delay_alu instid0(VALU_DEP_1) | instskip(NEXT) | instid1(VALU_DEP_1)
	v_lshrrev_b32_e32 v20, s30, v20
	v_and_b32_e32 v20, s31, v20
	s_delay_alu instid0(VALU_DEP_1)
	v_and_b32_e32 v21, 1, v20
	v_lshlrev_b32_e32 v22, 30, v20
	v_lshlrev_b32_e32 v23, 29, v20
	;; [unrolled: 1-line block ×4, first 2 shown]
	v_add_co_u32 v21, s16, v21, -1
	s_delay_alu instid0(VALU_DEP_1)
	v_cndmask_b32_e64 v25, 0, 1, s16
	v_not_b32_e32 v122, v22
	v_cmp_gt_i32_e64 s16, 0, v22
	v_not_b32_e32 v22, v23
	v_lshlrev_b32_e32 v27, 26, v20
	v_cmp_ne_u32_e32 vcc_lo, 0, v25
	v_ashrrev_i32_e32 v122, 31, v122
	v_lshlrev_b32_e32 v121, 25, v20
	v_ashrrev_i32_e32 v22, 31, v22
	v_lshlrev_b32_e32 v25, 24, v20
	v_xor_b32_e32 v21, vcc_lo, v21
	v_cmp_gt_i32_e32 vcc_lo, 0, v23
	v_not_b32_e32 v23, v24
	v_xor_b32_e32 v122, s16, v122
	v_cmp_gt_i32_e64 s16, 0, v24
	v_and_b32_e32 v21, exec_lo, v21
	v_not_b32_e32 v24, v26
	v_ashrrev_i32_e32 v23, 31, v23
	v_xor_b32_e32 v22, vcc_lo, v22
	v_cmp_gt_i32_e32 vcc_lo, 0, v26
	v_and_b32_e32 v21, v21, v122
	v_not_b32_e32 v26, v27
	v_ashrrev_i32_e32 v24, 31, v24
	v_xor_b32_e32 v23, s16, v23
	v_cmp_gt_i32_e64 s16, 0, v27
	v_and_b32_e32 v21, v21, v22
	v_not_b32_e32 v22, v121
	v_ashrrev_i32_e32 v26, 31, v26
	v_xor_b32_e32 v24, vcc_lo, v24
	v_cmp_gt_i32_e32 vcc_lo, 0, v121
	v_and_b32_e32 v21, v21, v23
	v_not_b32_e32 v23, v25
	v_ashrrev_i32_e32 v22, 31, v22
	v_xor_b32_e32 v26, s16, v26
	v_mul_u32_u24_e32 v20, 9, v20
	v_and_b32_e32 v21, v21, v24
	v_cmp_gt_i32_e64 s16, 0, v25
	v_ashrrev_i32_e32 v23, 31, v23
	v_xor_b32_e32 v22, vcc_lo, v22
	v_add_lshl_u32 v24, v20, v82, 2
	v_and_b32_e32 v21, v21, v26
	s_delay_alu instid0(VALU_DEP_4) | instskip(SKIP_3) | instid1(VALU_DEP_2)
	v_xor_b32_e32 v20, s16, v23
	ds_load_b32 v121, v24 offset:1056
	v_and_b32_e32 v21, v21, v22
	v_add_nc_u32_e32 v123, 0x420, v24
	; wave barrier
	v_and_b32_e32 v20, v21, v20
	s_delay_alu instid0(VALU_DEP_1) | instskip(SKIP_1) | instid1(VALU_DEP_2)
	v_mbcnt_lo_u32_b32 v122, v20, 0
	v_cmp_ne_u32_e64 s16, 0, v20
	v_cmp_eq_u32_e32 vcc_lo, 0, v122
	s_delay_alu instid0(VALU_DEP_2) | instskip(NEXT) | instid1(SALU_CYCLE_1)
	s_and_b32 s17, s16, vcc_lo
	s_and_saveexec_b32 s16, s17
	s_cbranch_execz .LBB91_262
; %bb.261:                              ;   in Loop: Header=BB91_232 Depth=2
	s_waitcnt lgkmcnt(0)
	v_bcnt_u32_b32 v20, v20, v121
	ds_store_b32 v123, v20
.LBB91_262:                             ;   in Loop: Header=BB91_232 Depth=2
	s_or_b32 exec_lo, exec_lo, s16
	; wave barrier
	s_waitcnt lgkmcnt(0)
	s_barrier
	buffer_gl0_inv
	ds_load_b32 v124, v46 offset:1056
	ds_load_2addr_b32 v[26:27], v47 offset0:1 offset1:2
	ds_load_2addr_b32 v[24:25], v47 offset0:3 offset1:4
	ds_load_2addr_b32 v[20:21], v47 offset0:5 offset1:6
	ds_load_2addr_b32 v[22:23], v47 offset0:7 offset1:8
	s_waitcnt lgkmcnt(3)
	v_add3_u32 v125, v26, v124, v27
	s_waitcnt lgkmcnt(2)
	s_delay_alu instid0(VALU_DEP_1) | instskip(SKIP_1) | instid1(VALU_DEP_1)
	v_add3_u32 v125, v125, v24, v25
	s_waitcnt lgkmcnt(1)
	v_add3_u32 v125, v125, v20, v21
	s_waitcnt lgkmcnt(0)
	s_delay_alu instid0(VALU_DEP_1) | instskip(NEXT) | instid1(VALU_DEP_1)
	v_add3_u32 v23, v125, v22, v23
	v_mov_b32_dpp v125, v23 row_shr:1 row_mask:0xf bank_mask:0xf
	s_delay_alu instid0(VALU_DEP_1) | instskip(NEXT) | instid1(VALU_DEP_1)
	v_cndmask_b32_e64 v125, v125, 0, s0
	v_add_nc_u32_e32 v23, v125, v23
	s_delay_alu instid0(VALU_DEP_1) | instskip(NEXT) | instid1(VALU_DEP_1)
	v_mov_b32_dpp v125, v23 row_shr:2 row_mask:0xf bank_mask:0xf
	v_cndmask_b32_e64 v125, 0, v125, s1
	s_delay_alu instid0(VALU_DEP_1) | instskip(NEXT) | instid1(VALU_DEP_1)
	v_add_nc_u32_e32 v23, v23, v125
	v_mov_b32_dpp v125, v23 row_shr:4 row_mask:0xf bank_mask:0xf
	s_delay_alu instid0(VALU_DEP_1) | instskip(NEXT) | instid1(VALU_DEP_1)
	v_cndmask_b32_e64 v125, 0, v125, s8
	v_add_nc_u32_e32 v23, v23, v125
	s_delay_alu instid0(VALU_DEP_1) | instskip(NEXT) | instid1(VALU_DEP_1)
	v_mov_b32_dpp v125, v23 row_shr:8 row_mask:0xf bank_mask:0xf
	v_cndmask_b32_e64 v125, 0, v125, s9
	s_delay_alu instid0(VALU_DEP_1) | instskip(SKIP_3) | instid1(VALU_DEP_1)
	v_add_nc_u32_e32 v23, v23, v125
	ds_swizzle_b32 v125, v23 offset:swizzle(BROADCAST,32,15)
	s_waitcnt lgkmcnt(0)
	v_cndmask_b32_e64 v125, v125, 0, s10
	v_add_nc_u32_e32 v23, v23, v125
	s_and_saveexec_b32 s16, s3
	s_cbranch_execz .LBB91_264
; %bb.263:                              ;   in Loop: Header=BB91_232 Depth=2
	ds_store_b32 v38, v23 offset:1024
.LBB91_264:                             ;   in Loop: Header=BB91_232 Depth=2
	s_or_b32 exec_lo, exec_lo, s16
	s_waitcnt lgkmcnt(0)
	s_barrier
	buffer_gl0_inv
	s_and_saveexec_b32 s16, s4
	s_cbranch_execz .LBB91_266
; %bb.265:                              ;   in Loop: Header=BB91_232 Depth=2
	v_add_nc_u32_e32 v125, v46, v48
	ds_load_b32 v126, v125 offset:1024
	s_waitcnt lgkmcnt(0)
	v_mov_b32_dpp v127, v126 row_shr:1 row_mask:0xf bank_mask:0xf
	s_delay_alu instid0(VALU_DEP_1) | instskip(NEXT) | instid1(VALU_DEP_1)
	v_cndmask_b32_e64 v127, v127, 0, s12
	v_add_nc_u32_e32 v126, v127, v126
	s_delay_alu instid0(VALU_DEP_1) | instskip(NEXT) | instid1(VALU_DEP_1)
	v_mov_b32_dpp v127, v126 row_shr:2 row_mask:0xf bank_mask:0xf
	v_cndmask_b32_e64 v127, 0, v127, s13
	s_delay_alu instid0(VALU_DEP_1) | instskip(NEXT) | instid1(VALU_DEP_1)
	v_add_nc_u32_e32 v126, v126, v127
	v_mov_b32_dpp v127, v126 row_shr:4 row_mask:0xf bank_mask:0xf
	s_delay_alu instid0(VALU_DEP_1) | instskip(NEXT) | instid1(VALU_DEP_1)
	v_cndmask_b32_e64 v127, 0, v127, s14
	v_add_nc_u32_e32 v126, v126, v127
	ds_store_b32 v125, v126 offset:1024
.LBB91_266:                             ;   in Loop: Header=BB91_232 Depth=2
	s_or_b32 exec_lo, exec_lo, s16
	v_mov_b32_e32 v125, 0
	s_waitcnt lgkmcnt(0)
	s_barrier
	buffer_gl0_inv
	s_and_saveexec_b32 s16, s5
	s_cbranch_execz .LBB91_268
; %bb.267:                              ;   in Loop: Header=BB91_232 Depth=2
	ds_load_b32 v125, v38 offset:1020
.LBB91_268:                             ;   in Loop: Header=BB91_232 Depth=2
	s_or_b32 exec_lo, exec_lo, s16
	s_waitcnt lgkmcnt(0)
	v_add_nc_u32_e32 v23, v125, v23
	ds_bpermute_b32 v23, v69, v23
	s_waitcnt lgkmcnt(0)
	v_cndmask_b32_e64 v23, v23, v125, s11
	s_delay_alu instid0(VALU_DEP_1) | instskip(NEXT) | instid1(VALU_DEP_1)
	v_cndmask_b32_e64 v23, v23, 0, s6
	v_add_nc_u32_e32 v124, v23, v124
	s_delay_alu instid0(VALU_DEP_1) | instskip(NEXT) | instid1(VALU_DEP_1)
	v_add_nc_u32_e32 v26, v124, v26
	v_add_nc_u32_e32 v27, v26, v27
	s_delay_alu instid0(VALU_DEP_1) | instskip(NEXT) | instid1(VALU_DEP_1)
	v_add_nc_u32_e32 v24, v27, v24
	;; [unrolled: 3-line block ×3, first 2 shown]
	v_add_nc_u32_e32 v21, v20, v21
	s_delay_alu instid0(VALU_DEP_1)
	v_add_nc_u32_e32 v22, v21, v22
	ds_store_b32 v46, v23 offset:1056
	ds_store_2addr_b32 v47, v124, v26 offset0:1 offset1:2
	ds_store_2addr_b32 v47, v27, v24 offset0:3 offset1:4
	;; [unrolled: 1-line block ×4, first 2 shown]
	v_mov_b32_e32 v22, 0x800
	s_waitcnt lgkmcnt(0)
	s_barrier
	buffer_gl0_inv
	ds_load_b32 v20, v100
	ds_load_b32 v21, v104
	;; [unrolled: 1-line block ×8, first 2 shown]
	ds_load_b32 v27, v46 offset:1056
	s_and_saveexec_b32 s16, s7
	s_cbranch_execz .LBB91_270
; %bb.269:                              ;   in Loop: Header=BB91_232 Depth=2
	ds_load_b32 v22, v49 offset:1056
.LBB91_270:                             ;   in Loop: Header=BB91_232 Depth=2
	s_or_b32 exec_lo, exec_lo, s16
	s_waitcnt lgkmcnt(0)
	s_barrier
	buffer_gl0_inv
	s_and_saveexec_b32 s16, s2
	s_cbranch_execz .LBB91_272
; %bb.271:                              ;   in Loop: Header=BB91_232 Depth=2
	ds_load_b32 v96, v28
	s_waitcnt lgkmcnt(0)
	v_sub_nc_u32_e32 v27, v96, v27
	ds_store_b32 v28, v27
.LBB91_272:                             ;   in Loop: Header=BB91_232 Depth=2
	s_or_b32 exec_lo, exec_lo, s16
	v_add_nc_u32_e32 v100, v26, v94
	v_add3_u32 v96, v98, v97, v20
	v_add3_u32 v94, v102, v101, v21
	;; [unrolled: 1-line block ×7, first 2 shown]
	v_cmp_lt_u32_e64 s21, v1, v2
	ds_store_b8 v100, v93 offset:1024
	ds_store_b8 v96, v95 offset:1024
	;; [unrolled: 1-line block ×8, first 2 shown]
	s_waitcnt lgkmcnt(0)
	s_barrier
	buffer_gl0_inv
	s_and_saveexec_b32 s16, s21
	s_cbranch_execz .LBB91_280
; %bb.273:                              ;   in Loop: Header=BB91_232 Depth=2
	ds_load_u8 v20, v1 offset:1024
	s_waitcnt lgkmcnt(0)
	v_and_b32_e32 v21, 0xff, v20
	v_xor_b32_e32 v20, -1, v20
	s_delay_alu instid0(VALU_DEP_2) | instskip(NEXT) | instid1(VALU_DEP_1)
	v_lshrrev_b32_e32 v21, s30, v21
	v_and_b32_e32 v21, s31, v21
	s_delay_alu instid0(VALU_DEP_1)
	v_lshlrev_b32_e32 v21, 2, v21
	ds_load_b32 v21, v21
	s_waitcnt lgkmcnt(0)
	v_add_nc_u32_e32 v21, v21, v1
	global_store_b8 v21, v20, s[40:41]
	s_or_b32 exec_lo, exec_lo, s16
	v_cmp_lt_u32_e64 s22, v29, v2
	s_delay_alu instid0(VALU_DEP_1)
	s_and_saveexec_b32 s16, s22
	s_cbranch_execnz .LBB91_281
.LBB91_274:                             ;   in Loop: Header=BB91_232 Depth=2
	s_or_b32 exec_lo, exec_lo, s16
	v_cmp_lt_u32_e64 s20, v30, v2
	s_delay_alu instid0(VALU_DEP_1)
	s_and_saveexec_b32 s16, s20
	s_cbranch_execz .LBB91_282
.LBB91_275:                             ;   in Loop: Header=BB91_232 Depth=2
	ds_load_u8 v20, v35 offset:512
	s_waitcnt lgkmcnt(0)
	v_and_b32_e32 v21, 0xff, v20
	v_xor_b32_e32 v20, -1, v20
	s_delay_alu instid0(VALU_DEP_2) | instskip(NEXT) | instid1(VALU_DEP_1)
	v_lshrrev_b32_e32 v21, s30, v21
	v_and_b32_e32 v21, s31, v21
	s_delay_alu instid0(VALU_DEP_1)
	v_lshlrev_b32_e32 v21, 2, v21
	ds_load_b32 v21, v21
	s_waitcnt lgkmcnt(0)
	v_add_nc_u32_e32 v21, v21, v30
	global_store_b8 v21, v20, s[40:41]
	s_or_b32 exec_lo, exec_lo, s16
	v_cmp_lt_u32_e64 s19, v31, v2
	s_delay_alu instid0(VALU_DEP_1)
	s_and_saveexec_b32 s16, s19
	s_cbranch_execnz .LBB91_283
.LBB91_276:                             ;   in Loop: Header=BB91_232 Depth=2
	s_or_b32 exec_lo, exec_lo, s16
	v_cmp_lt_u32_e64 s18, v35, v2
	s_delay_alu instid0(VALU_DEP_1)
	s_and_saveexec_b32 s16, s18
	s_cbranch_execz .LBB91_284
.LBB91_277:                             ;   in Loop: Header=BB91_232 Depth=2
	ds_load_u8 v20, v35 offset:1024
	s_waitcnt lgkmcnt(0)
	v_and_b32_e32 v21, 0xff, v20
	v_xor_b32_e32 v20, -1, v20
	s_delay_alu instid0(VALU_DEP_2) | instskip(NEXT) | instid1(VALU_DEP_1)
	v_lshrrev_b32_e32 v21, s30, v21
	v_and_b32_e32 v21, s31, v21
	s_delay_alu instid0(VALU_DEP_1)
	v_lshlrev_b32_e32 v21, 2, v21
	ds_load_b32 v21, v21
	s_waitcnt lgkmcnt(0)
	v_add_nc_u32_e32 v21, v21, v35
	global_store_b8 v21, v20, s[40:41]
	s_or_b32 exec_lo, exec_lo, s16
	v_cmp_lt_u32_e64 s17, v36, v2
	s_delay_alu instid0(VALU_DEP_1)
	s_and_saveexec_b32 s16, s17
	s_cbranch_execnz .LBB91_285
.LBB91_278:                             ;   in Loop: Header=BB91_232 Depth=2
	s_or_b32 exec_lo, exec_lo, s16
	v_cmp_lt_u32_e64 s16, v37, v2
	s_delay_alu instid0(VALU_DEP_1)
	s_and_saveexec_b32 s23, s16
	s_cbranch_execz .LBB91_286
.LBB91_279:                             ;   in Loop: Header=BB91_232 Depth=2
	ds_load_u8 v20, v35 offset:1536
	s_waitcnt lgkmcnt(0)
	v_and_b32_e32 v21, 0xff, v20
	v_xor_b32_e32 v20, -1, v20
	s_delay_alu instid0(VALU_DEP_2) | instskip(NEXT) | instid1(VALU_DEP_1)
	v_lshrrev_b32_e32 v21, s30, v21
	v_and_b32_e32 v21, s31, v21
	s_delay_alu instid0(VALU_DEP_1)
	v_lshlrev_b32_e32 v21, 2, v21
	ds_load_b32 v21, v21
	s_waitcnt lgkmcnt(0)
	v_add_nc_u32_e32 v21, v21, v37
	global_store_b8 v21, v20, s[40:41]
	s_or_b32 exec_lo, exec_lo, s23
	v_cmp_lt_u32_e32 vcc_lo, v39, v2
	s_and_saveexec_b32 s23, vcc_lo
	s_cbranch_execnz .LBB91_287
	s_branch .LBB91_288
.LBB91_280:                             ;   in Loop: Header=BB91_232 Depth=2
	s_or_b32 exec_lo, exec_lo, s16
	v_cmp_lt_u32_e64 s22, v29, v2
	s_delay_alu instid0(VALU_DEP_1)
	s_and_saveexec_b32 s16, s22
	s_cbranch_execz .LBB91_274
.LBB91_281:                             ;   in Loop: Header=BB91_232 Depth=2
	ds_load_u8 v20, v35 offset:256
	s_waitcnt lgkmcnt(0)
	v_and_b32_e32 v21, 0xff, v20
	v_xor_b32_e32 v20, -1, v20
	s_delay_alu instid0(VALU_DEP_2) | instskip(NEXT) | instid1(VALU_DEP_1)
	v_lshrrev_b32_e32 v21, s30, v21
	v_and_b32_e32 v21, s31, v21
	s_delay_alu instid0(VALU_DEP_1)
	v_lshlrev_b32_e32 v21, 2, v21
	ds_load_b32 v21, v21
	s_waitcnt lgkmcnt(0)
	v_add_nc_u32_e32 v21, v21, v29
	global_store_b8 v21, v20, s[40:41]
	s_or_b32 exec_lo, exec_lo, s16
	v_cmp_lt_u32_e64 s20, v30, v2
	s_delay_alu instid0(VALU_DEP_1)
	s_and_saveexec_b32 s16, s20
	s_cbranch_execnz .LBB91_275
.LBB91_282:                             ;   in Loop: Header=BB91_232 Depth=2
	s_or_b32 exec_lo, exec_lo, s16
	v_cmp_lt_u32_e64 s19, v31, v2
	s_delay_alu instid0(VALU_DEP_1)
	s_and_saveexec_b32 s16, s19
	s_cbranch_execz .LBB91_276
.LBB91_283:                             ;   in Loop: Header=BB91_232 Depth=2
	ds_load_u8 v20, v35 offset:768
	s_waitcnt lgkmcnt(0)
	v_and_b32_e32 v21, 0xff, v20
	v_xor_b32_e32 v20, -1, v20
	s_delay_alu instid0(VALU_DEP_2) | instskip(NEXT) | instid1(VALU_DEP_1)
	v_lshrrev_b32_e32 v21, s30, v21
	v_and_b32_e32 v21, s31, v21
	s_delay_alu instid0(VALU_DEP_1)
	v_lshlrev_b32_e32 v21, 2, v21
	ds_load_b32 v21, v21
	s_waitcnt lgkmcnt(0)
	v_add_nc_u32_e32 v21, v21, v31
	global_store_b8 v21, v20, s[40:41]
	s_or_b32 exec_lo, exec_lo, s16
	v_cmp_lt_u32_e64 s18, v35, v2
	s_delay_alu instid0(VALU_DEP_1)
	s_and_saveexec_b32 s16, s18
	s_cbranch_execnz .LBB91_277
.LBB91_284:                             ;   in Loop: Header=BB91_232 Depth=2
	s_or_b32 exec_lo, exec_lo, s16
	v_cmp_lt_u32_e64 s17, v36, v2
	s_delay_alu instid0(VALU_DEP_1)
	s_and_saveexec_b32 s16, s17
	s_cbranch_execz .LBB91_278
.LBB91_285:                             ;   in Loop: Header=BB91_232 Depth=2
	ds_load_u8 v20, v35 offset:1280
	s_waitcnt lgkmcnt(0)
	v_and_b32_e32 v21, 0xff, v20
	v_xor_b32_e32 v20, -1, v20
	s_delay_alu instid0(VALU_DEP_2) | instskip(NEXT) | instid1(VALU_DEP_1)
	v_lshrrev_b32_e32 v21, s30, v21
	v_and_b32_e32 v21, s31, v21
	s_delay_alu instid0(VALU_DEP_1)
	v_lshlrev_b32_e32 v21, 2, v21
	ds_load_b32 v21, v21
	s_waitcnt lgkmcnt(0)
	v_add_nc_u32_e32 v21, v21, v36
	global_store_b8 v21, v20, s[40:41]
	s_or_b32 exec_lo, exec_lo, s16
	v_cmp_lt_u32_e64 s16, v37, v2
	s_delay_alu instid0(VALU_DEP_1)
	s_and_saveexec_b32 s23, s16
	s_cbranch_execnz .LBB91_279
.LBB91_286:                             ;   in Loop: Header=BB91_232 Depth=2
	s_or_b32 exec_lo, exec_lo, s23
	v_cmp_lt_u32_e32 vcc_lo, v39, v2
	s_and_saveexec_b32 s23, vcc_lo
	s_cbranch_execz .LBB91_288
.LBB91_287:                             ;   in Loop: Header=BB91_232 Depth=2
	ds_load_u8 v20, v35 offset:1792
	s_waitcnt lgkmcnt(0)
	v_and_b32_e32 v21, 0xff, v20
	v_xor_b32_e32 v20, -1, v20
	s_delay_alu instid0(VALU_DEP_2) | instskip(NEXT) | instid1(VALU_DEP_1)
	v_lshrrev_b32_e32 v21, s30, v21
	v_and_b32_e32 v21, s31, v21
	s_delay_alu instid0(VALU_DEP_1)
	v_lshlrev_b32_e32 v21, 2, v21
	ds_load_b32 v21, v21
	s_waitcnt lgkmcnt(0)
	v_add_nc_u32_e32 v21, v21, v39
	global_store_b8 v21, v20, s[40:41]
.LBB91_288:                             ;   in Loop: Header=BB91_232 Depth=2
	s_or_b32 exec_lo, exec_lo, s23
	s_lshl_b64 s[52:53], s[24:25], 3
	s_delay_alu instid0(SALU_CYCLE_1) | instskip(NEXT) | instid1(VALU_DEP_1)
	v_add_co_u32 v20, s23, v73, s52
	v_add_co_ci_u32_e64 v21, s23, s53, v74, s23
	v_cmp_lt_u32_e64 s23, v70, v2
	s_delay_alu instid0(VALU_DEP_1) | instskip(NEXT) | instid1(SALU_CYCLE_1)
	s_and_saveexec_b32 s24, s23
	s_xor_b32 s23, exec_lo, s24
	s_cbranch_execz .LBB91_304
; %bb.289:                              ;   in Loop: Header=BB91_232 Depth=2
	global_load_b64 v[18:19], v[20:21], off
	s_or_b32 exec_lo, exec_lo, s23
	s_delay_alu instid0(SALU_CYCLE_1)
	s_mov_b32 s24, exec_lo
	v_cmpx_lt_u32_e64 v75, v2
	s_cbranch_execnz .LBB91_305
.LBB91_290:                             ;   in Loop: Header=BB91_232 Depth=2
	s_or_b32 exec_lo, exec_lo, s24
	s_delay_alu instid0(SALU_CYCLE_1)
	s_mov_b32 s24, exec_lo
	v_cmpx_lt_u32_e64 v76, v2
	s_cbranch_execz .LBB91_306
.LBB91_291:                             ;   in Loop: Header=BB91_232 Depth=2
	global_load_b64 v[14:15], v[20:21], off offset:512
	s_or_b32 exec_lo, exec_lo, s24
	s_delay_alu instid0(SALU_CYCLE_1)
	s_mov_b32 s24, exec_lo
	v_cmpx_lt_u32_e64 v77, v2
	s_cbranch_execnz .LBB91_307
.LBB91_292:                             ;   in Loop: Header=BB91_232 Depth=2
	s_or_b32 exec_lo, exec_lo, s24
	s_delay_alu instid0(SALU_CYCLE_1)
	s_mov_b32 s24, exec_lo
	v_cmpx_lt_u32_e64 v78, v2
	s_cbranch_execz .LBB91_308
.LBB91_293:                             ;   in Loop: Header=BB91_232 Depth=2
	global_load_b64 v[10:11], v[20:21], off offset:1024
	s_or_b32 exec_lo, exec_lo, s24
	s_delay_alu instid0(SALU_CYCLE_1)
	s_mov_b32 s24, exec_lo
	v_cmpx_lt_u32_e64 v79, v2
	s_cbranch_execnz .LBB91_309
.LBB91_294:                             ;   in Loop: Header=BB91_232 Depth=2
	s_or_b32 exec_lo, exec_lo, s24
	s_delay_alu instid0(SALU_CYCLE_1)
	s_mov_b32 s24, exec_lo
	v_cmpx_lt_u32_e64 v80, v2
	s_cbranch_execz .LBB91_310
.LBB91_295:                             ;   in Loop: Header=BB91_232 Depth=2
	global_load_b64 v[6:7], v[20:21], off offset:1536
	s_or_b32 exec_lo, exec_lo, s24
	s_delay_alu instid0(SALU_CYCLE_1)
	s_mov_b32 s24, exec_lo
	v_cmpx_lt_u32_e64 v81, v2
	s_cbranch_execnz .LBB91_311
.LBB91_296:                             ;   in Loop: Header=BB91_232 Depth=2
	s_or_b32 exec_lo, exec_lo, s24
	s_and_saveexec_b32 s23, s21
	s_cbranch_execz .LBB91_312
.LBB91_297:                             ;   in Loop: Header=BB91_232 Depth=2
	ds_load_u8 v2, v1 offset:1024
	s_waitcnt lgkmcnt(0)
	v_lshrrev_b32_e32 v2, s30, v2
	s_delay_alu instid0(VALU_DEP_1)
	v_and_b32_e32 v92, s31, v2
	s_or_b32 exec_lo, exec_lo, s23
	s_and_saveexec_b32 s23, s22
	s_cbranch_execnz .LBB91_313
.LBB91_298:                             ;   in Loop: Header=BB91_232 Depth=2
	s_or_b32 exec_lo, exec_lo, s23
	s_and_saveexec_b32 s23, s20
	s_cbranch_execz .LBB91_314
.LBB91_299:                             ;   in Loop: Header=BB91_232 Depth=2
	ds_load_u8 v2, v35 offset:512
	s_waitcnt lgkmcnt(0)
	v_lshrrev_b32_e32 v2, s30, v2
	s_delay_alu instid0(VALU_DEP_1)
	v_and_b32_e32 v90, s31, v2
	s_or_b32 exec_lo, exec_lo, s23
	s_and_saveexec_b32 s23, s19
	s_cbranch_execnz .LBB91_315
.LBB91_300:                             ;   in Loop: Header=BB91_232 Depth=2
	s_or_b32 exec_lo, exec_lo, s23
	s_and_saveexec_b32 s23, s18
	s_cbranch_execz .LBB91_316
.LBB91_301:                             ;   in Loop: Header=BB91_232 Depth=2
	ds_load_u8 v2, v35 offset:1024
	s_waitcnt lgkmcnt(0)
	v_lshrrev_b32_e32 v2, s30, v2
	s_delay_alu instid0(VALU_DEP_1)
	v_and_b32_e32 v88, s31, v2
	s_or_b32 exec_lo, exec_lo, s23
	s_and_saveexec_b32 s23, s17
	s_cbranch_execnz .LBB91_317
.LBB91_302:                             ;   in Loop: Header=BB91_232 Depth=2
	s_or_b32 exec_lo, exec_lo, s23
	s_and_saveexec_b32 s23, s16
	s_cbranch_execz .LBB91_318
.LBB91_303:                             ;   in Loop: Header=BB91_232 Depth=2
	ds_load_u8 v2, v35 offset:1536
	s_waitcnt lgkmcnt(0)
	v_lshrrev_b32_e32 v2, s30, v2
	s_delay_alu instid0(VALU_DEP_1)
	v_and_b32_e32 v86, s31, v2
	s_or_b32 exec_lo, exec_lo, s23
	s_and_saveexec_b32 s23, vcc_lo
	s_cbranch_execnz .LBB91_319
	s_branch .LBB91_320
.LBB91_304:                             ;   in Loop: Header=BB91_232 Depth=2
	s_or_b32 exec_lo, exec_lo, s23
	s_delay_alu instid0(SALU_CYCLE_1)
	s_mov_b32 s24, exec_lo
	v_cmpx_lt_u32_e64 v75, v2
	s_cbranch_execz .LBB91_290
.LBB91_305:                             ;   in Loop: Header=BB91_232 Depth=2
	global_load_b64 v[16:17], v[20:21], off offset:256
	s_or_b32 exec_lo, exec_lo, s24
	s_delay_alu instid0(SALU_CYCLE_1)
	s_mov_b32 s24, exec_lo
	v_cmpx_lt_u32_e64 v76, v2
	s_cbranch_execnz .LBB91_291
.LBB91_306:                             ;   in Loop: Header=BB91_232 Depth=2
	s_or_b32 exec_lo, exec_lo, s24
	s_delay_alu instid0(SALU_CYCLE_1)
	s_mov_b32 s24, exec_lo
	v_cmpx_lt_u32_e64 v77, v2
	s_cbranch_execz .LBB91_292
.LBB91_307:                             ;   in Loop: Header=BB91_232 Depth=2
	global_load_b64 v[12:13], v[20:21], off offset:768
	s_or_b32 exec_lo, exec_lo, s24
	s_delay_alu instid0(SALU_CYCLE_1)
	s_mov_b32 s24, exec_lo
	v_cmpx_lt_u32_e64 v78, v2
	s_cbranch_execnz .LBB91_293
.LBB91_308:                             ;   in Loop: Header=BB91_232 Depth=2
	s_or_b32 exec_lo, exec_lo, s24
	s_delay_alu instid0(SALU_CYCLE_1)
	s_mov_b32 s24, exec_lo
	v_cmpx_lt_u32_e64 v79, v2
	s_cbranch_execz .LBB91_294
.LBB91_309:                             ;   in Loop: Header=BB91_232 Depth=2
	global_load_b64 v[8:9], v[20:21], off offset:1280
	s_or_b32 exec_lo, exec_lo, s24
	s_delay_alu instid0(SALU_CYCLE_1)
	s_mov_b32 s24, exec_lo
	v_cmpx_lt_u32_e64 v80, v2
	s_cbranch_execnz .LBB91_295
.LBB91_310:                             ;   in Loop: Header=BB91_232 Depth=2
	s_or_b32 exec_lo, exec_lo, s24
	s_delay_alu instid0(SALU_CYCLE_1)
	s_mov_b32 s24, exec_lo
	v_cmpx_lt_u32_e64 v81, v2
	s_cbranch_execz .LBB91_296
.LBB91_311:                             ;   in Loop: Header=BB91_232 Depth=2
	global_load_b64 v[4:5], v[20:21], off offset:1792
	s_or_b32 exec_lo, exec_lo, s24
	s_and_saveexec_b32 s23, s21
	s_cbranch_execnz .LBB91_297
.LBB91_312:                             ;   in Loop: Header=BB91_232 Depth=2
	s_or_b32 exec_lo, exec_lo, s23
	s_and_saveexec_b32 s23, s22
	s_cbranch_execz .LBB91_298
.LBB91_313:                             ;   in Loop: Header=BB91_232 Depth=2
	ds_load_u8 v2, v35 offset:256
	s_waitcnt lgkmcnt(0)
	v_lshrrev_b32_e32 v2, s30, v2
	s_delay_alu instid0(VALU_DEP_1)
	v_and_b32_e32 v91, s31, v2
	s_or_b32 exec_lo, exec_lo, s23
	s_and_saveexec_b32 s23, s20
	s_cbranch_execnz .LBB91_299
.LBB91_314:                             ;   in Loop: Header=BB91_232 Depth=2
	s_or_b32 exec_lo, exec_lo, s23
	s_and_saveexec_b32 s23, s19
	s_cbranch_execz .LBB91_300
.LBB91_315:                             ;   in Loop: Header=BB91_232 Depth=2
	ds_load_u8 v2, v35 offset:768
	s_waitcnt lgkmcnt(0)
	v_lshrrev_b32_e32 v2, s30, v2
	s_delay_alu instid0(VALU_DEP_1)
	v_and_b32_e32 v89, s31, v2
	s_or_b32 exec_lo, exec_lo, s23
	s_and_saveexec_b32 s23, s18
	s_cbranch_execnz .LBB91_301
.LBB91_316:                             ;   in Loop: Header=BB91_232 Depth=2
	s_or_b32 exec_lo, exec_lo, s23
	s_and_saveexec_b32 s23, s17
	s_cbranch_execz .LBB91_302
.LBB91_317:                             ;   in Loop: Header=BB91_232 Depth=2
	ds_load_u8 v2, v35 offset:1280
	s_waitcnt lgkmcnt(0)
	v_lshrrev_b32_e32 v2, s30, v2
	s_delay_alu instid0(VALU_DEP_1)
	v_and_b32_e32 v87, s31, v2
	s_or_b32 exec_lo, exec_lo, s23
	s_and_saveexec_b32 s23, s16
	s_cbranch_execnz .LBB91_303
.LBB91_318:                             ;   in Loop: Header=BB91_232 Depth=2
	s_or_b32 exec_lo, exec_lo, s23
	s_and_saveexec_b32 s23, vcc_lo
	s_cbranch_execz .LBB91_320
.LBB91_319:                             ;   in Loop: Header=BB91_232 Depth=2
	ds_load_u8 v2, v35 offset:1792
	s_waitcnt lgkmcnt(0)
	v_lshrrev_b32_e32 v2, s30, v2
	s_delay_alu instid0(VALU_DEP_1)
	v_and_b32_e32 v85, s31, v2
.LBB91_320:                             ;   in Loop: Header=BB91_232 Depth=2
	s_or_b32 exec_lo, exec_lo, s23
	v_lshlrev_b32_e32 v2, 3, v100
	v_lshlrev_b32_e32 v20, 3, v96
	;; [unrolled: 1-line block ×3, first 2 shown]
	s_waitcnt vmcnt(0)
	s_waitcnt_vscnt null, 0x0
	s_barrier
	buffer_gl0_inv
	ds_store_b64 v2, v[18:19] offset:1024
	ds_store_b64 v20, v[16:17] offset:1024
	;; [unrolled: 1-line block ×3, first 2 shown]
	v_lshlrev_b32_e32 v2, 3, v27
	v_lshlrev_b32_e32 v20, 3, v26
	;; [unrolled: 1-line block ×5, first 2 shown]
	ds_store_b64 v2, v[12:13] offset:1024
	ds_store_b64 v20, v[10:11] offset:1024
	;; [unrolled: 1-line block ×5, first 2 shown]
	s_waitcnt lgkmcnt(0)
	s_barrier
	buffer_gl0_inv
	s_and_saveexec_b32 s23, s21
	s_cbranch_execz .LBB91_328
; %bb.321:                              ;   in Loop: Header=BB91_232 Depth=2
	v_lshlrev_b32_e32 v2, 2, v92
	v_add_nc_u32_e32 v20, v1, v52
	ds_load_b32 v2, v2
	ds_load_b64 v[20:21], v20 offset:1024
	s_waitcnt lgkmcnt(1)
	v_add_nc_u32_e32 v2, v2, v1
	s_delay_alu instid0(VALU_DEP_1) | instskip(NEXT) | instid1(VALU_DEP_1)
	v_lshlrev_b64 v[23:24], 3, v[2:3]
	v_add_co_u32 v23, s21, s46, v23
	s_delay_alu instid0(VALU_DEP_1)
	v_add_co_ci_u32_e64 v24, s21, s47, v24, s21
	s_waitcnt lgkmcnt(0)
	global_store_b64 v[23:24], v[20:21], off
	s_or_b32 exec_lo, exec_lo, s23
	s_and_saveexec_b32 s23, s22
	s_cbranch_execnz .LBB91_329
.LBB91_322:                             ;   in Loop: Header=BB91_232 Depth=2
	s_or_b32 exec_lo, exec_lo, s23
	s_and_saveexec_b32 s21, s20
	s_cbranch_execz .LBB91_330
.LBB91_323:                             ;   in Loop: Header=BB91_232 Depth=2
	v_lshlrev_b32_e32 v2, 2, v90
	v_add_nc_u32_e32 v20, v35, v52
	ds_load_b32 v2, v2
	ds_load_b64 v[20:21], v20 offset:4096
	s_waitcnt lgkmcnt(1)
	v_add_nc_u32_e32 v2, v2, v30
	s_delay_alu instid0(VALU_DEP_1) | instskip(NEXT) | instid1(VALU_DEP_1)
	v_lshlrev_b64 v[23:24], 3, v[2:3]
	v_add_co_u32 v23, s20, s46, v23
	s_delay_alu instid0(VALU_DEP_1)
	v_add_co_ci_u32_e64 v24, s20, s47, v24, s20
	s_waitcnt lgkmcnt(0)
	global_store_b64 v[23:24], v[20:21], off
	s_or_b32 exec_lo, exec_lo, s21
	s_and_saveexec_b32 s20, s19
	s_cbranch_execnz .LBB91_331
.LBB91_324:                             ;   in Loop: Header=BB91_232 Depth=2
	s_or_b32 exec_lo, exec_lo, s20
	s_and_saveexec_b32 s19, s18
	s_cbranch_execz .LBB91_332
.LBB91_325:                             ;   in Loop: Header=BB91_232 Depth=2
	v_lshlrev_b32_e32 v2, 2, v88
	v_add_nc_u32_e32 v20, v35, v52
	ds_load_b32 v2, v2
	ds_load_b64 v[20:21], v20 offset:8192
	s_waitcnt lgkmcnt(1)
	v_add_nc_u32_e32 v2, v2, v35
	s_delay_alu instid0(VALU_DEP_1) | instskip(NEXT) | instid1(VALU_DEP_1)
	v_lshlrev_b64 v[23:24], 3, v[2:3]
	v_add_co_u32 v23, s18, s46, v23
	s_delay_alu instid0(VALU_DEP_1)
	v_add_co_ci_u32_e64 v24, s18, s47, v24, s18
	s_waitcnt lgkmcnt(0)
	global_store_b64 v[23:24], v[20:21], off
	s_or_b32 exec_lo, exec_lo, s19
	s_and_saveexec_b32 s18, s17
	s_cbranch_execnz .LBB91_333
.LBB91_326:                             ;   in Loop: Header=BB91_232 Depth=2
	s_or_b32 exec_lo, exec_lo, s18
	s_and_saveexec_b32 s17, s16
	s_cbranch_execz .LBB91_334
.LBB91_327:                             ;   in Loop: Header=BB91_232 Depth=2
	v_lshlrev_b32_e32 v2, 2, v86
	v_add_nc_u32_e32 v20, v35, v52
	ds_load_b32 v2, v2
	ds_load_b64 v[20:21], v20 offset:12288
	s_waitcnt lgkmcnt(1)
	v_add_nc_u32_e32 v2, v2, v37
	s_delay_alu instid0(VALU_DEP_1) | instskip(NEXT) | instid1(VALU_DEP_1)
	v_lshlrev_b64 v[23:24], 3, v[2:3]
	v_add_co_u32 v23, s16, s46, v23
	s_delay_alu instid0(VALU_DEP_1)
	v_add_co_ci_u32_e64 v24, s16, s47, v24, s16
	s_waitcnt lgkmcnt(0)
	global_store_b64 v[23:24], v[20:21], off
	s_or_b32 exec_lo, exec_lo, s17
	s_and_saveexec_b32 s16, vcc_lo
	s_cbranch_execnz .LBB91_335
	s_branch .LBB91_336
.LBB91_328:                             ;   in Loop: Header=BB91_232 Depth=2
	s_or_b32 exec_lo, exec_lo, s23
	s_and_saveexec_b32 s23, s22
	s_cbranch_execz .LBB91_322
.LBB91_329:                             ;   in Loop: Header=BB91_232 Depth=2
	v_lshlrev_b32_e32 v2, 2, v91
	v_add_nc_u32_e32 v20, v35, v52
	ds_load_b32 v2, v2
	ds_load_b64 v[20:21], v20 offset:2048
	s_waitcnt lgkmcnt(1)
	v_add_nc_u32_e32 v2, v2, v29
	s_delay_alu instid0(VALU_DEP_1) | instskip(NEXT) | instid1(VALU_DEP_1)
	v_lshlrev_b64 v[23:24], 3, v[2:3]
	v_add_co_u32 v23, s21, s46, v23
	s_delay_alu instid0(VALU_DEP_1)
	v_add_co_ci_u32_e64 v24, s21, s47, v24, s21
	s_waitcnt lgkmcnt(0)
	global_store_b64 v[23:24], v[20:21], off
	s_or_b32 exec_lo, exec_lo, s23
	s_and_saveexec_b32 s21, s20
	s_cbranch_execnz .LBB91_323
.LBB91_330:                             ;   in Loop: Header=BB91_232 Depth=2
	s_or_b32 exec_lo, exec_lo, s21
	s_and_saveexec_b32 s20, s19
	s_cbranch_execz .LBB91_324
.LBB91_331:                             ;   in Loop: Header=BB91_232 Depth=2
	v_lshlrev_b32_e32 v2, 2, v89
	v_add_nc_u32_e32 v20, v35, v52
	ds_load_b32 v2, v2
	ds_load_b64 v[20:21], v20 offset:6144
	s_waitcnt lgkmcnt(1)
	v_add_nc_u32_e32 v2, v2, v31
	s_delay_alu instid0(VALU_DEP_1) | instskip(NEXT) | instid1(VALU_DEP_1)
	v_lshlrev_b64 v[23:24], 3, v[2:3]
	v_add_co_u32 v23, s19, s46, v23
	s_delay_alu instid0(VALU_DEP_1)
	v_add_co_ci_u32_e64 v24, s19, s47, v24, s19
	s_waitcnt lgkmcnt(0)
	global_store_b64 v[23:24], v[20:21], off
	s_or_b32 exec_lo, exec_lo, s20
	s_and_saveexec_b32 s19, s18
	s_cbranch_execnz .LBB91_325
.LBB91_332:                             ;   in Loop: Header=BB91_232 Depth=2
	s_or_b32 exec_lo, exec_lo, s19
	s_and_saveexec_b32 s18, s17
	s_cbranch_execz .LBB91_326
.LBB91_333:                             ;   in Loop: Header=BB91_232 Depth=2
	v_lshlrev_b32_e32 v2, 2, v87
	v_add_nc_u32_e32 v20, v35, v52
	ds_load_b32 v2, v2
	ds_load_b64 v[20:21], v20 offset:10240
	s_waitcnt lgkmcnt(1)
	v_add_nc_u32_e32 v2, v2, v36
	s_delay_alu instid0(VALU_DEP_1) | instskip(NEXT) | instid1(VALU_DEP_1)
	v_lshlrev_b64 v[23:24], 3, v[2:3]
	v_add_co_u32 v23, s17, s46, v23
	s_delay_alu instid0(VALU_DEP_1)
	v_add_co_ci_u32_e64 v24, s17, s47, v24, s17
	s_waitcnt lgkmcnt(0)
	global_store_b64 v[23:24], v[20:21], off
	s_or_b32 exec_lo, exec_lo, s18
	s_and_saveexec_b32 s17, s16
	s_cbranch_execnz .LBB91_327
.LBB91_334:                             ;   in Loop: Header=BB91_232 Depth=2
	s_or_b32 exec_lo, exec_lo, s17
	s_and_saveexec_b32 s16, vcc_lo
	s_cbranch_execz .LBB91_336
.LBB91_335:                             ;   in Loop: Header=BB91_232 Depth=2
	v_lshlrev_b32_e32 v2, 2, v85
	v_add_nc_u32_e32 v20, v35, v52
	ds_load_b32 v2, v2
	ds_load_b64 v[20:21], v20 offset:14336
	s_waitcnt lgkmcnt(1)
	v_add_nc_u32_e32 v2, v2, v39
	s_delay_alu instid0(VALU_DEP_1) | instskip(NEXT) | instid1(VALU_DEP_1)
	v_lshlrev_b64 v[23:24], 3, v[2:3]
	v_add_co_u32 v23, vcc_lo, s46, v23
	s_delay_alu instid0(VALU_DEP_2)
	v_add_co_ci_u32_e32 v24, vcc_lo, s47, v24, vcc_lo
	s_waitcnt lgkmcnt(0)
	global_store_b64 v[23:24], v[20:21], off
.LBB91_336:                             ;   in Loop: Header=BB91_232 Depth=2
	s_or_b32 exec_lo, exec_lo, s16
	s_waitcnt_vscnt null, 0x0
	s_barrier
	buffer_gl0_inv
	s_and_saveexec_b32 s16, s2
	s_cbranch_execz .LBB91_231
; %bb.337:                              ;   in Loop: Header=BB91_232 Depth=2
	ds_load_b32 v2, v28
	s_waitcnt lgkmcnt(0)
	v_add_nc_u32_e32 v2, v2, v22
	ds_store_b32 v28, v2
	s_branch .LBB91_231
.LBB91_338:                             ;   in Loop: Header=BB91_232 Depth=2
	s_or_b32 exec_lo, exec_lo, s16
	s_delay_alu instid0(SALU_CYCLE_1)
	s_mov_b32 s16, exec_lo
	v_cmpx_gt_u32_e64 s42, v75
	s_cbranch_execz .LBB91_237
.LBB91_339:                             ;   in Loop: Header=BB91_232 Depth=2
	global_load_u8 v2, v[22:23], off offset:32
	s_waitcnt vmcnt(0)
	v_perm_b32 v20, v20, v2, 0x7060004
	s_or_b32 exec_lo, exec_lo, s16
	s_delay_alu instid0(SALU_CYCLE_1)
	s_mov_b32 s16, exec_lo
	v_cmpx_gt_u32_e64 s42, v76
	s_cbranch_execnz .LBB91_238
.LBB91_340:                             ;   in Loop: Header=BB91_232 Depth=2
	s_or_b32 exec_lo, exec_lo, s16
	s_delay_alu instid0(SALU_CYCLE_1)
	s_mov_b32 s16, exec_lo
	v_cmpx_gt_u32_e64 s42, v77
	s_cbranch_execz .LBB91_239
.LBB91_341:                             ;   in Loop: Header=BB91_232 Depth=2
	global_load_u8 v2, v[22:23], off offset:96
	v_lshrrev_b32_e32 v24, 16, v20
	s_delay_alu instid0(VALU_DEP_1) | instskip(SKIP_2) | instid1(VALU_DEP_1)
	v_and_b32_e32 v24, 0xff, v24
	s_waitcnt vmcnt(0)
	v_lshlrev_b16 v2, 8, v2
	v_or_b32_e32 v2, v24, v2
	s_delay_alu instid0(VALU_DEP_1) | instskip(NEXT) | instid1(VALU_DEP_1)
	v_lshlrev_b32_e32 v2, 16, v2
	v_and_or_b32 v20, 0xffff, v20, v2
	s_or_b32 exec_lo, exec_lo, s16
	s_delay_alu instid0(SALU_CYCLE_1)
	s_mov_b32 s16, exec_lo
	v_cmpx_gt_u32_e64 s42, v78
	s_cbranch_execnz .LBB91_240
.LBB91_342:                             ;   in Loop: Header=BB91_232 Depth=2
	s_or_b32 exec_lo, exec_lo, s16
	s_delay_alu instid0(SALU_CYCLE_1)
	s_mov_b32 s16, exec_lo
	v_cmpx_gt_u32_e64 s42, v79
	s_cbranch_execz .LBB91_241
.LBB91_343:                             ;   in Loop: Header=BB91_232 Depth=2
	global_load_u8 v2, v[22:23], off offset:160
	s_waitcnt vmcnt(0)
	v_perm_b32 v21, v21, v2, 0x7060004
	s_or_b32 exec_lo, exec_lo, s16
	s_delay_alu instid0(SALU_CYCLE_1)
	s_mov_b32 s16, exec_lo
	v_cmpx_gt_u32_e64 s42, v80
	s_cbranch_execnz .LBB91_242
	s_branch .LBB91_243
.LBB91_344:                             ;   in Loop: Header=BB91_12 Depth=1
	s_waitcnt lgkmcnt(0)
	s_barrier
.LBB91_345:                             ;   in Loop: Header=BB91_12 Depth=1
	s_mov_b32 s0, 0
.LBB91_346:                             ;   in Loop: Header=BB91_12 Depth=1
	s_delay_alu instid0(SALU_CYCLE_1)
	s_and_not1_b32 vcc_lo, exec_lo, s0
	s_cbranch_vccnz .LBB91_11
; %bb.347:                              ;   in Loop: Header=BB91_12 Depth=1
	s_and_b32 vcc_lo, exec_lo, s34
	s_mov_b32 s0, -1
	s_cbranch_vccz .LBB91_513
; %bb.348:                              ;   in Loop: Header=BB91_12 Depth=1
	s_mov_b32 s0, s35
	s_mov_b32 s9, s27
	s_barrier
	buffer_gl0_inv
                                        ; implicit-def: $vgpr2
                                        ; implicit-def: $vgpr6
                                        ; implicit-def: $vgpr7
                                        ; implicit-def: $vgpr8
                                        ; implicit-def: $vgpr9
                                        ; implicit-def: $vgpr10
                                        ; implicit-def: $vgpr11
                                        ; implicit-def: $vgpr12
	s_branch .LBB91_350
.LBB91_349:                             ;   in Loop: Header=BB91_350 Depth=2
	s_or_b32 exec_lo, exec_lo, s8
	s_addk_i32 s0, 0xf800
	s_cmp_ge_u32 s1, s33
	s_mov_b32 s9, s1
	s_cbranch_scc1 .LBB91_388
.LBB91_350:                             ;   Parent Loop BB91_12 Depth=1
                                        ; =>  This Inner Loop Header: Depth=2
	s_add_i32 s1, s9, 0x800
	s_delay_alu instid0(SALU_CYCLE_1)
	s_cmp_gt_u32 s1, s33
	s_cbranch_scc1 .LBB91_353
; %bb.351:                              ;   in Loop: Header=BB91_350 Depth=2
	v_add_co_u32 v4, vcc_lo, v59, s9
	v_add_co_ci_u32_e32 v5, vcc_lo, 0, v60, vcc_lo
	s_mov_b32 s8, -1
	s_movk_i32 s12, 0x800
	s_clause 0x6
	global_load_u8 v20, v[4:5], off offset:1536
	global_load_u8 v19, v[4:5], off offset:1280
	;; [unrolled: 1-line block ×6, first 2 shown]
	global_load_u8 v14, v[4:5], off
	v_add_co_u32 v4, vcc_lo, 0x700, v4
	v_add_co_ci_u32_e32 v5, vcc_lo, 0, v5, vcc_lo
	s_cbranch_execz .LBB91_354
; %bb.352:                              ;   in Loop: Header=BB91_350 Depth=2
                                        ; implicit-def: $vgpr2
                                        ; implicit-def: $vgpr6
                                        ; implicit-def: $vgpr7
                                        ; implicit-def: $vgpr8
                                        ; implicit-def: $vgpr9
                                        ; implicit-def: $vgpr10
                                        ; implicit-def: $vgpr11
                                        ; implicit-def: $vgpr12
	v_mov_b32_e32 v13, s0
	s_and_saveexec_b32 s9, s8
	s_cbranch_execnz .LBB91_365
	s_branch .LBB91_366
.LBB91_353:                             ;   in Loop: Header=BB91_350 Depth=2
	s_mov_b32 s8, 0
                                        ; implicit-def: $sgpr12
                                        ; implicit-def: $vgpr14
                                        ; implicit-def: $vgpr15
                                        ; implicit-def: $vgpr16
                                        ; implicit-def: $vgpr17
                                        ; implicit-def: $vgpr18
                                        ; implicit-def: $vgpr19
                                        ; implicit-def: $vgpr20
                                        ; implicit-def: $vgpr4_vgpr5
.LBB91_354:                             ;   in Loop: Header=BB91_350 Depth=2
	s_add_u32 s10, s36, s9
	s_addc_u32 s11, s37, 0
	s_mov_b32 s12, exec_lo
	v_cmpx_gt_u32_e64 s0, v1
	s_cbranch_execz .LBB91_382
; %bb.355:                              ;   in Loop: Header=BB91_350 Depth=2
	v_add_co_u32 v4, s13, s10, v1
	s_delay_alu instid0(VALU_DEP_1) | instskip(SKIP_2) | instid1(SALU_CYCLE_1)
	v_add_co_ci_u32_e64 v5, null, s11, 0, s13
	global_load_u8 v2, v[4:5], off
	s_or_b32 exec_lo, exec_lo, s12
	s_mov_b32 s12, exec_lo
	v_cmpx_gt_u32_e64 s0, v29
	s_cbranch_execnz .LBB91_383
.LBB91_356:                             ;   in Loop: Header=BB91_350 Depth=2
	s_or_b32 exec_lo, exec_lo, s12
	s_delay_alu instid0(SALU_CYCLE_1)
	s_mov_b32 s12, exec_lo
	v_cmpx_gt_u32_e64 s0, v30
	s_cbranch_execz .LBB91_384
.LBB91_357:                             ;   in Loop: Header=BB91_350 Depth=2
	v_add_co_u32 v4, s13, s10, v1
	s_delay_alu instid0(VALU_DEP_1) | instskip(SKIP_2) | instid1(SALU_CYCLE_1)
	v_add_co_ci_u32_e64 v5, null, s11, 0, s13
	global_load_u8 v7, v[4:5], off offset:512
	s_or_b32 exec_lo, exec_lo, s12
	s_mov_b32 s12, exec_lo
	v_cmpx_gt_u32_e64 s0, v31
	s_cbranch_execnz .LBB91_385
.LBB91_358:                             ;   in Loop: Header=BB91_350 Depth=2
	s_or_b32 exec_lo, exec_lo, s12
	s_delay_alu instid0(SALU_CYCLE_1)
	s_mov_b32 s12, exec_lo
	v_cmpx_gt_u32_e64 s0, v35
	s_cbranch_execz .LBB91_386
.LBB91_359:                             ;   in Loop: Header=BB91_350 Depth=2
	v_add_co_u32 v4, s13, s10, v1
	s_delay_alu instid0(VALU_DEP_1) | instskip(SKIP_2) | instid1(SALU_CYCLE_1)
	v_add_co_ci_u32_e64 v5, null, s11, 0, s13
	global_load_u8 v9, v[4:5], off offset:1024
	s_or_b32 exec_lo, exec_lo, s12
	s_mov_b32 s12, exec_lo
	v_cmpx_gt_u32_e64 s0, v36
	s_cbranch_execnz .LBB91_387
.LBB91_360:                             ;   in Loop: Header=BB91_350 Depth=2
	s_or_b32 exec_lo, exec_lo, s12
	s_delay_alu instid0(SALU_CYCLE_1)
	s_mov_b32 s12, exec_lo
	v_cmpx_gt_u32_e64 s0, v37
	s_cbranch_execz .LBB91_362
.LBB91_361:                             ;   in Loop: Header=BB91_350 Depth=2
	v_add_co_u32 v4, s13, s10, v1
	s_delay_alu instid0(VALU_DEP_1)
	v_add_co_ci_u32_e64 v5, null, s11, 0, s13
	global_load_u8 v11, v[4:5], off offset:1536
.LBB91_362:                             ;   in Loop: Header=BB91_350 Depth=2
	s_or_b32 exec_lo, exec_lo, s12
	s_delay_alu instid0(SALU_CYCLE_1)
	s_mov_b32 s13, exec_lo
                                        ; implicit-def: $sgpr12
                                        ; implicit-def: $vgpr4_vgpr5
	v_cmpx_gt_u32_e64 s0, v39
; %bb.363:                              ;   in Loop: Header=BB91_350 Depth=2
	v_add_co_u32 v4, s10, s10, v1
	s_delay_alu instid0(VALU_DEP_1) | instskip(SKIP_1) | instid1(VALU_DEP_2)
	v_add_co_ci_u32_e64 v5, null, s11, 0, s10
	s_sub_i32 s12, s33, s9
	v_add_co_u32 v4, vcc_lo, 0x700, v4
	s_delay_alu instid0(VALU_DEP_2)
	v_add_co_ci_u32_e32 v5, vcc_lo, 0, v5, vcc_lo
	s_or_b32 s8, s8, exec_lo
                                        ; implicit-def: $vgpr12
; %bb.364:                              ;   in Loop: Header=BB91_350 Depth=2
	s_or_b32 exec_lo, exec_lo, s13
	s_waitcnt vmcnt(0)
	v_dual_mov_b32 v14, v2 :: v_dual_mov_b32 v17, v8
	v_dual_mov_b32 v15, v6 :: v_dual_mov_b32 v16, v7
	;; [unrolled: 1-line block ×4, first 2 shown]
	s_and_saveexec_b32 s9, s8
	s_cbranch_execz .LBB91_366
.LBB91_365:                             ;   in Loop: Header=BB91_350 Depth=2
	global_load_u8 v12, v[4:5], off
	s_waitcnt vmcnt(1)
	v_dual_mov_b32 v13, s12 :: v_dual_mov_b32 v2, v14
	v_dual_mov_b32 v6, v15 :: v_dual_mov_b32 v7, v16
	;; [unrolled: 1-line block ×4, first 2 shown]
.LBB91_366:                             ;   in Loop: Header=BB91_350 Depth=2
	s_or_b32 exec_lo, exec_lo, s9
	s_delay_alu instid0(SALU_CYCLE_1)
	s_mov_b32 s8, exec_lo
	v_cmpx_lt_u32_e64 v1, v13
	s_cbranch_execz .LBB91_374
; %bb.367:                              ;   in Loop: Header=BB91_350 Depth=2
	v_xor_b32_e32 v4, -1, v2
	v_lshlrev_b32_e32 v5, 2, v32
	s_delay_alu instid0(VALU_DEP_2) | instskip(NEXT) | instid1(VALU_DEP_1)
	v_and_b32_e32 v4, 0xff, v4
	v_lshrrev_b32_e32 v4, s49, v4
	s_delay_alu instid0(VALU_DEP_1) | instskip(NEXT) | instid1(VALU_DEP_1)
	v_and_b32_e32 v4, s31, v4
	v_lshl_or_b32 v4, v4, 4, v5
	ds_add_u32 v4, v66
	s_or_b32 exec_lo, exec_lo, s8
	s_delay_alu instid0(SALU_CYCLE_1)
	s_mov_b32 s8, exec_lo
	v_cmpx_lt_u32_e64 v29, v13
	s_cbranch_execnz .LBB91_375
.LBB91_368:                             ;   in Loop: Header=BB91_350 Depth=2
	s_or_b32 exec_lo, exec_lo, s8
	s_delay_alu instid0(SALU_CYCLE_1)
	s_mov_b32 s8, exec_lo
	v_cmpx_lt_u32_e64 v30, v13
	s_cbranch_execz .LBB91_376
.LBB91_369:                             ;   in Loop: Header=BB91_350 Depth=2
	v_xor_b32_e32 v4, -1, v7
	v_lshlrev_b32_e32 v5, 2, v32
	s_delay_alu instid0(VALU_DEP_2) | instskip(NEXT) | instid1(VALU_DEP_1)
	v_and_b32_e32 v4, 0xff, v4
	v_lshrrev_b32_e32 v4, s49, v4
	s_delay_alu instid0(VALU_DEP_1) | instskip(NEXT) | instid1(VALU_DEP_1)
	v_and_b32_e32 v4, s31, v4
	v_lshl_or_b32 v4, v4, 4, v5
	ds_add_u32 v4, v66
	s_or_b32 exec_lo, exec_lo, s8
	s_delay_alu instid0(SALU_CYCLE_1)
	s_mov_b32 s8, exec_lo
	v_cmpx_lt_u32_e64 v31, v13
	s_cbranch_execnz .LBB91_377
.LBB91_370:                             ;   in Loop: Header=BB91_350 Depth=2
	s_or_b32 exec_lo, exec_lo, s8
	s_delay_alu instid0(SALU_CYCLE_1)
	s_mov_b32 s8, exec_lo
	v_cmpx_lt_u32_e64 v35, v13
	s_cbranch_execz .LBB91_378
.LBB91_371:                             ;   in Loop: Header=BB91_350 Depth=2
	v_xor_b32_e32 v4, -1, v9
	v_lshlrev_b32_e32 v5, 2, v32
	s_delay_alu instid0(VALU_DEP_2) | instskip(NEXT) | instid1(VALU_DEP_1)
	v_and_b32_e32 v4, 0xff, v4
	v_lshrrev_b32_e32 v4, s49, v4
	s_delay_alu instid0(VALU_DEP_1) | instskip(NEXT) | instid1(VALU_DEP_1)
	v_and_b32_e32 v4, s31, v4
	v_lshl_or_b32 v4, v4, 4, v5
	ds_add_u32 v4, v66
	s_or_b32 exec_lo, exec_lo, s8
	s_delay_alu instid0(SALU_CYCLE_1)
	s_mov_b32 s8, exec_lo
	v_cmpx_lt_u32_e64 v36, v13
	s_cbranch_execnz .LBB91_379
.LBB91_372:                             ;   in Loop: Header=BB91_350 Depth=2
	s_or_b32 exec_lo, exec_lo, s8
	s_delay_alu instid0(SALU_CYCLE_1)
	s_mov_b32 s8, exec_lo
	v_cmpx_lt_u32_e64 v37, v13
	s_cbranch_execz .LBB91_380
.LBB91_373:                             ;   in Loop: Header=BB91_350 Depth=2
	v_xor_b32_e32 v4, -1, v11
	v_lshlrev_b32_e32 v5, 2, v32
	s_delay_alu instid0(VALU_DEP_2) | instskip(NEXT) | instid1(VALU_DEP_1)
	v_and_b32_e32 v4, 0xff, v4
	v_lshrrev_b32_e32 v4, s49, v4
	s_delay_alu instid0(VALU_DEP_1) | instskip(NEXT) | instid1(VALU_DEP_1)
	v_and_b32_e32 v4, s31, v4
	v_lshl_or_b32 v4, v4, 4, v5
	ds_add_u32 v4, v66
	s_or_b32 exec_lo, exec_lo, s8
	s_delay_alu instid0(SALU_CYCLE_1)
	s_mov_b32 s8, exec_lo
	v_cmpx_lt_u32_e64 v39, v13
	s_cbranch_execz .LBB91_349
	s_branch .LBB91_381
.LBB91_374:                             ;   in Loop: Header=BB91_350 Depth=2
	s_or_b32 exec_lo, exec_lo, s8
	s_delay_alu instid0(SALU_CYCLE_1)
	s_mov_b32 s8, exec_lo
	v_cmpx_lt_u32_e64 v29, v13
	s_cbranch_execz .LBB91_368
.LBB91_375:                             ;   in Loop: Header=BB91_350 Depth=2
	v_xor_b32_e32 v4, -1, v6
	v_lshlrev_b32_e32 v5, 2, v32
	s_delay_alu instid0(VALU_DEP_2) | instskip(NEXT) | instid1(VALU_DEP_1)
	v_and_b32_e32 v4, 0xff, v4
	v_lshrrev_b32_e32 v4, s49, v4
	s_delay_alu instid0(VALU_DEP_1) | instskip(NEXT) | instid1(VALU_DEP_1)
	v_and_b32_e32 v4, s31, v4
	v_lshl_or_b32 v4, v4, 4, v5
	ds_add_u32 v4, v66
	s_or_b32 exec_lo, exec_lo, s8
	s_delay_alu instid0(SALU_CYCLE_1)
	s_mov_b32 s8, exec_lo
	v_cmpx_lt_u32_e64 v30, v13
	s_cbranch_execnz .LBB91_369
.LBB91_376:                             ;   in Loop: Header=BB91_350 Depth=2
	s_or_b32 exec_lo, exec_lo, s8
	s_delay_alu instid0(SALU_CYCLE_1)
	s_mov_b32 s8, exec_lo
	v_cmpx_lt_u32_e64 v31, v13
	s_cbranch_execz .LBB91_370
.LBB91_377:                             ;   in Loop: Header=BB91_350 Depth=2
	v_xor_b32_e32 v4, -1, v8
	v_lshlrev_b32_e32 v5, 2, v32
	s_delay_alu instid0(VALU_DEP_2) | instskip(NEXT) | instid1(VALU_DEP_1)
	v_and_b32_e32 v4, 0xff, v4
	v_lshrrev_b32_e32 v4, s49, v4
	s_delay_alu instid0(VALU_DEP_1) | instskip(NEXT) | instid1(VALU_DEP_1)
	v_and_b32_e32 v4, s31, v4
	v_lshl_or_b32 v4, v4, 4, v5
	ds_add_u32 v4, v66
	s_or_b32 exec_lo, exec_lo, s8
	s_delay_alu instid0(SALU_CYCLE_1)
	s_mov_b32 s8, exec_lo
	v_cmpx_lt_u32_e64 v35, v13
	s_cbranch_execnz .LBB91_371
.LBB91_378:                             ;   in Loop: Header=BB91_350 Depth=2
	s_or_b32 exec_lo, exec_lo, s8
	s_delay_alu instid0(SALU_CYCLE_1)
	s_mov_b32 s8, exec_lo
	v_cmpx_lt_u32_e64 v36, v13
	s_cbranch_execz .LBB91_372
.LBB91_379:                             ;   in Loop: Header=BB91_350 Depth=2
	v_xor_b32_e32 v4, -1, v10
	v_lshlrev_b32_e32 v5, 2, v32
	s_delay_alu instid0(VALU_DEP_2) | instskip(NEXT) | instid1(VALU_DEP_1)
	v_and_b32_e32 v4, 0xff, v4
	v_lshrrev_b32_e32 v4, s49, v4
	s_delay_alu instid0(VALU_DEP_1) | instskip(NEXT) | instid1(VALU_DEP_1)
	v_and_b32_e32 v4, s31, v4
	v_lshl_or_b32 v4, v4, 4, v5
	ds_add_u32 v4, v66
	s_or_b32 exec_lo, exec_lo, s8
	s_delay_alu instid0(SALU_CYCLE_1)
	s_mov_b32 s8, exec_lo
	v_cmpx_lt_u32_e64 v37, v13
	s_cbranch_execnz .LBB91_373
.LBB91_380:                             ;   in Loop: Header=BB91_350 Depth=2
	s_or_b32 exec_lo, exec_lo, s8
	s_delay_alu instid0(SALU_CYCLE_1)
	s_mov_b32 s8, exec_lo
	v_cmpx_lt_u32_e64 v39, v13
	s_cbranch_execz .LBB91_349
.LBB91_381:                             ;   in Loop: Header=BB91_350 Depth=2
	s_waitcnt vmcnt(0)
	v_xor_b32_e32 v4, -1, v12
	v_lshlrev_b32_e32 v5, 2, v32
	s_delay_alu instid0(VALU_DEP_2) | instskip(NEXT) | instid1(VALU_DEP_1)
	v_and_b32_e32 v4, 0xff, v4
	v_lshrrev_b32_e32 v4, s49, v4
	s_delay_alu instid0(VALU_DEP_1) | instskip(NEXT) | instid1(VALU_DEP_1)
	v_and_b32_e32 v4, s31, v4
	v_lshl_or_b32 v4, v4, 4, v5
	ds_add_u32 v4, v66
	s_branch .LBB91_349
.LBB91_382:                             ;   in Loop: Header=BB91_350 Depth=2
	s_or_b32 exec_lo, exec_lo, s12
	s_delay_alu instid0(SALU_CYCLE_1)
	s_mov_b32 s12, exec_lo
	v_cmpx_gt_u32_e64 s0, v29
	s_cbranch_execz .LBB91_356
.LBB91_383:                             ;   in Loop: Header=BB91_350 Depth=2
	v_add_co_u32 v4, s13, s10, v1
	s_delay_alu instid0(VALU_DEP_1) | instskip(SKIP_2) | instid1(SALU_CYCLE_1)
	v_add_co_ci_u32_e64 v5, null, s11, 0, s13
	global_load_u8 v6, v[4:5], off offset:256
	s_or_b32 exec_lo, exec_lo, s12
	s_mov_b32 s12, exec_lo
	v_cmpx_gt_u32_e64 s0, v30
	s_cbranch_execnz .LBB91_357
.LBB91_384:                             ;   in Loop: Header=BB91_350 Depth=2
	s_or_b32 exec_lo, exec_lo, s12
	s_delay_alu instid0(SALU_CYCLE_1)
	s_mov_b32 s12, exec_lo
	v_cmpx_gt_u32_e64 s0, v31
	s_cbranch_execz .LBB91_358
.LBB91_385:                             ;   in Loop: Header=BB91_350 Depth=2
	v_add_co_u32 v4, s13, s10, v1
	s_delay_alu instid0(VALU_DEP_1) | instskip(SKIP_2) | instid1(SALU_CYCLE_1)
	v_add_co_ci_u32_e64 v5, null, s11, 0, s13
	global_load_u8 v8, v[4:5], off offset:768
	s_or_b32 exec_lo, exec_lo, s12
	s_mov_b32 s12, exec_lo
	v_cmpx_gt_u32_e64 s0, v35
	s_cbranch_execnz .LBB91_359
.LBB91_386:                             ;   in Loop: Header=BB91_350 Depth=2
	s_or_b32 exec_lo, exec_lo, s12
	s_delay_alu instid0(SALU_CYCLE_1)
	s_mov_b32 s12, exec_lo
	v_cmpx_gt_u32_e64 s0, v36
	s_cbranch_execz .LBB91_360
.LBB91_387:                             ;   in Loop: Header=BB91_350 Depth=2
	v_add_co_u32 v4, s13, s10, v1
	s_delay_alu instid0(VALU_DEP_1) | instskip(SKIP_2) | instid1(SALU_CYCLE_1)
	v_add_co_ci_u32_e64 v5, null, s11, 0, s13
	global_load_u8 v10, v[4:5], off offset:1280
	s_or_b32 exec_lo, exec_lo, s12
	s_mov_b32 s12, exec_lo
	v_cmpx_gt_u32_e64 s0, v37
	s_cbranch_execz .LBB91_362
	s_branch .LBB91_361
.LBB91_388:                             ;   in Loop: Header=BB91_12 Depth=1
	v_mov_b32_e32 v2, 0
	s_waitcnt vmcnt(0) lgkmcnt(0)
	s_barrier
	buffer_gl0_inv
	s_and_saveexec_b32 s0, s2
	s_cbranch_execz .LBB91_390
; %bb.389:                              ;   in Loop: Header=BB91_12 Depth=1
	ds_load_2addr_b64 v[4:7], v40 offset1:1
	s_waitcnt lgkmcnt(0)
	v_add_nc_u32_e32 v2, v5, v4
	s_delay_alu instid0(VALU_DEP_1)
	v_add3_u32 v2, v2, v6, v7
.LBB91_390:                             ;   in Loop: Header=BB91_12 Depth=1
	s_or_b32 exec_lo, exec_lo, s0
	v_and_b32_e32 v4, 15, v63
	s_delay_alu instid0(VALU_DEP_2) | instskip(SKIP_1) | instid1(VALU_DEP_3)
	v_mov_b32_dpp v5, v2 row_shr:1 row_mask:0xf bank_mask:0xf
	v_and_b32_e32 v6, 16, v63
	v_cmp_eq_u32_e64 s0, 0, v4
	v_cmp_lt_u32_e64 s1, 1, v4
	v_cmp_lt_u32_e64 s8, 3, v4
	;; [unrolled: 1-line block ×3, first 2 shown]
	v_cmp_eq_u32_e64 s10, 0, v6
	v_cndmask_b32_e64 v5, v5, 0, s0
	s_delay_alu instid0(VALU_DEP_1) | instskip(NEXT) | instid1(VALU_DEP_1)
	v_add_nc_u32_e32 v2, v5, v2
	v_mov_b32_dpp v5, v2 row_shr:2 row_mask:0xf bank_mask:0xf
	s_delay_alu instid0(VALU_DEP_1) | instskip(NEXT) | instid1(VALU_DEP_1)
	v_cndmask_b32_e64 v5, 0, v5, s1
	v_add_nc_u32_e32 v2, v2, v5
	s_delay_alu instid0(VALU_DEP_1) | instskip(NEXT) | instid1(VALU_DEP_1)
	v_mov_b32_dpp v5, v2 row_shr:4 row_mask:0xf bank_mask:0xf
	v_cndmask_b32_e64 v5, 0, v5, s8
	s_delay_alu instid0(VALU_DEP_1) | instskip(NEXT) | instid1(VALU_DEP_1)
	v_add_nc_u32_e32 v2, v2, v5
	v_mov_b32_dpp v5, v2 row_shr:8 row_mask:0xf bank_mask:0xf
	s_delay_alu instid0(VALU_DEP_1) | instskip(SKIP_1) | instid1(VALU_DEP_2)
	v_cndmask_b32_e64 v4, 0, v5, s9
	v_bfe_i32 v5, v63, 4, 1
	v_add_nc_u32_e32 v2, v2, v4
	ds_swizzle_b32 v4, v2 offset:swizzle(BROADCAST,32,15)
	s_waitcnt lgkmcnt(0)
	v_and_b32_e32 v4, v5, v4
	s_delay_alu instid0(VALU_DEP_1)
	v_add_nc_u32_e32 v4, v2, v4
	s_and_saveexec_b32 s11, s3
	s_cbranch_execz .LBB91_392
; %bb.391:                              ;   in Loop: Header=BB91_12 Depth=1
	ds_store_b32 v41, v4
.LBB91_392:                             ;   in Loop: Header=BB91_12 Depth=1
	s_or_b32 exec_lo, exec_lo, s11
	v_and_b32_e32 v2, 7, v63
	s_waitcnt lgkmcnt(0)
	s_barrier
	buffer_gl0_inv
	s_and_saveexec_b32 s11, s4
	s_cbranch_execz .LBB91_394
; %bb.393:                              ;   in Loop: Header=BB91_12 Depth=1
	ds_load_b32 v5, v42
	v_cmp_ne_u32_e32 vcc_lo, 0, v2
	s_waitcnt lgkmcnt(0)
	v_mov_b32_dpp v6, v5 row_shr:1 row_mask:0xf bank_mask:0xf
	s_delay_alu instid0(VALU_DEP_1) | instskip(SKIP_1) | instid1(VALU_DEP_2)
	v_cndmask_b32_e32 v6, 0, v6, vcc_lo
	v_cmp_lt_u32_e32 vcc_lo, 1, v2
	v_add_nc_u32_e32 v5, v6, v5
	s_delay_alu instid0(VALU_DEP_1) | instskip(NEXT) | instid1(VALU_DEP_1)
	v_mov_b32_dpp v6, v5 row_shr:2 row_mask:0xf bank_mask:0xf
	v_cndmask_b32_e32 v6, 0, v6, vcc_lo
	v_cmp_lt_u32_e32 vcc_lo, 3, v2
	s_delay_alu instid0(VALU_DEP_2) | instskip(NEXT) | instid1(VALU_DEP_1)
	v_add_nc_u32_e32 v5, v5, v6
	v_mov_b32_dpp v6, v5 row_shr:4 row_mask:0xf bank_mask:0xf
	s_delay_alu instid0(VALU_DEP_1) | instskip(NEXT) | instid1(VALU_DEP_1)
	v_cndmask_b32_e32 v6, 0, v6, vcc_lo
	v_add_nc_u32_e32 v5, v5, v6
	ds_store_b32 v42, v5
.LBB91_394:                             ;   in Loop: Header=BB91_12 Depth=1
	s_or_b32 exec_lo, exec_lo, s11
	v_mov_b32_e32 v5, 0
	s_waitcnt lgkmcnt(0)
	s_barrier
	buffer_gl0_inv
	s_and_saveexec_b32 s11, s5
	s_cbranch_execz .LBB91_396
; %bb.395:                              ;   in Loop: Header=BB91_12 Depth=1
	ds_load_b32 v5, v43
.LBB91_396:                             ;   in Loop: Header=BB91_12 Depth=1
	s_or_b32 exec_lo, exec_lo, s11
	v_add_nc_u32_e32 v6, -1, v63
	s_waitcnt lgkmcnt(0)
	v_add_nc_u32_e32 v4, v5, v4
	v_cmp_eq_u32_e64 s11, 0, v63
	s_barrier
	v_cmp_gt_i32_e32 vcc_lo, 0, v6
	buffer_gl0_inv
	v_cndmask_b32_e32 v6, v6, v63, vcc_lo
	s_delay_alu instid0(VALU_DEP_1)
	v_lshlrev_b32_e32 v69, 2, v6
	ds_bpermute_b32 v4, v69, v4
	s_and_saveexec_b32 s12, s2
	s_cbranch_execz .LBB91_398
; %bb.397:                              ;   in Loop: Header=BB91_12 Depth=1
	s_waitcnt lgkmcnt(0)
	v_cndmask_b32_e64 v4, v4, v5, s11
	s_delay_alu instid0(VALU_DEP_1)
	v_add_nc_u32_e32 v4, s27, v4
	ds_store_b32 v28, v4
.LBB91_398:                             ;   in Loop: Header=BB91_12 Depth=1
	s_or_b32 exec_lo, exec_lo, s12
	s_load_b64 s[12:13], s[28:29], 0x0
	v_cmp_lt_u32_e64 s14, 3, v2
	v_add_co_u32 v71, vcc_lo, v64, v63
	v_add_co_ci_u32_e32 v72, vcc_lo, 0, v65, vcc_lo
	v_or_b32_e32 v70, v63, v44
	s_mov_b32 s42, s35
	s_mov_b32 s24, s27
                                        ; implicit-def: $vgpr8_vgpr9
                                        ; implicit-def: $vgpr10_vgpr11
                                        ; implicit-def: $vgpr12_vgpr13
                                        ; implicit-def: $vgpr14_vgpr15
                                        ; implicit-def: $vgpr16_vgpr17
                                        ; implicit-def: $vgpr18_vgpr19
                                        ; implicit-def: $vgpr85
                                        ; implicit-def: $vgpr86
                                        ; implicit-def: $vgpr87
                                        ; implicit-def: $vgpr88
                                        ; implicit-def: $vgpr89
                                        ; implicit-def: $vgpr90
                                        ; implicit-def: $vgpr91
                                        ; implicit-def: $vgpr92
	s_delay_alu instid0(VALU_DEP_1)
	v_or_b32_e32 v75, 32, v70
	v_or_b32_e32 v76, 64, v70
	;; [unrolled: 1-line block ×7, first 2 shown]
	s_waitcnt lgkmcnt(0)
	s_cmp_lt_u32 s15, s13
	s_cselect_b32 s13, 14, 20
	s_delay_alu instid0(SALU_CYCLE_1) | instskip(SKIP_4) | instid1(SALU_CYCLE_1)
	s_add_u32 s16, s28, s13
	s_addc_u32 s17, s29, 0
	s_cmp_lt_u32 s26, s12
	global_load_u16 v4, v3, s[16:17]
	s_cselect_b32 s12, 12, 18
	s_add_u32 s12, s28, s12
	s_addc_u32 s13, s29, 0
	global_load_u16 v6, v3, s[12:13]
	v_cmp_eq_u32_e64 s12, 0, v2
	v_cmp_lt_u32_e64 s13, 1, v2
	v_lshlrev_b32_e32 v2, 3, v63
	s_delay_alu instid0(VALU_DEP_1)
	v_add_co_u32 v73, vcc_lo, v61, v2
	v_add_co_ci_u32_e32 v74, vcc_lo, 0, v62, vcc_lo
	v_add_co_u32 v83, vcc_lo, 0xe0, v71
	v_add_co_ci_u32_e32 v84, vcc_lo, 0, v72, vcc_lo
	s_waitcnt vmcnt(1)
	v_mad_u32_u24 v7, v45, v4, v0
	s_waitcnt vmcnt(0)
	s_delay_alu instid0(VALU_DEP_1) | instskip(NEXT) | instid1(VALU_DEP_1)
	v_mad_u64_u32 v[4:5], null, v7, v6, v[1:2]
                                        ; implicit-def: $vgpr6_vgpr7
	v_lshrrev_b32_e32 v82, 5, v4
                                        ; implicit-def: $vgpr4_vgpr5
	s_branch .LBB91_400
.LBB91_399:                             ;   in Loop: Header=BB91_400 Depth=2
	s_or_b32 exec_lo, exec_lo, s16
	s_addk_i32 s42, 0xf800
	s_cmp_lt_u32 s43, s33
	s_mov_b32 s24, s43
	s_cbranch_scc0 .LBB91_512
.LBB91_400:                             ;   Parent Loop BB91_12 Depth=1
                                        ; =>  This Inner Loop Header: Depth=2
	s_add_i32 s43, s24, 0x800
	s_delay_alu instid0(SALU_CYCLE_1)
	s_cmp_gt_u32 s43, s33
	s_cbranch_scc1 .LBB91_402
; %bb.401:                              ;   in Loop: Header=BB91_400 Depth=2
	v_add_co_u32 v20, vcc_lo, v71, s24
	v_add_co_ci_u32_e32 v21, vcc_lo, 0, v72, vcc_lo
	s_mov_b32 s17, 0
	s_mov_b32 s16, s24
	s_mov_b32 s19, -1
	s_clause 0x6
	global_load_u8 v2, v[20:21], off offset:32
	global_load_u8 v22, v[20:21], off offset:96
	;; [unrolled: 1-line block ×3, first 2 shown]
	global_load_u8 v24, v[20:21], off
	global_load_u8 v25, v[20:21], off offset:64
	global_load_u8 v26, v[20:21], off offset:128
	;; [unrolled: 1-line block ×3, first 2 shown]
	s_movk_i32 s18, 0x800
	s_waitcnt vmcnt(6)
	v_lshlrev_b16 v2, 8, v2
	s_waitcnt vmcnt(5)
	v_lshlrev_b16 v20, 8, v22
	;; [unrolled: 2-line block ×3, first 2 shown]
	s_waitcnt vmcnt(3)
	v_or_b32_e32 v2, v24, v2
	s_waitcnt vmcnt(2)
	v_or_b32_e32 v20, v25, v20
	s_waitcnt vmcnt(1)
	v_or_b32_e32 v22, v26, v22
	v_and_b32_e32 v2, 0xffff, v2
	s_delay_alu instid0(VALU_DEP_3) | instskip(NEXT) | instid1(VALU_DEP_3)
	v_lshlrev_b32_e32 v20, 16, v20
	v_and_b32_e32 v22, 0xffff, v22
	s_delay_alu instid0(VALU_DEP_2) | instskip(SKIP_1) | instid1(VALU_DEP_2)
	v_or_b32_e32 v20, v2, v20
	s_waitcnt vmcnt(0)
	v_lshl_or_b32 v21, v21, 16, v22
	s_cbranch_execz .LBB91_403
	s_branch .LBB91_412
.LBB91_402:                             ;   in Loop: Header=BB91_400 Depth=2
	s_mov_b32 s17, -1
	s_mov_b32 s19, 0
                                        ; implicit-def: $sgpr18
                                        ; implicit-def: $vgpr20_vgpr21
.LBB91_403:                             ;   in Loop: Header=BB91_400 Depth=2
	v_add_co_u32 v22, vcc_lo, v71, s24
	s_mov_b32 s16, s25
	s_mov_b32 s17, s25
	v_add_co_ci_u32_e32 v23, vcc_lo, 0, v72, vcc_lo
	v_dual_mov_b32 v21, s17 :: v_dual_mov_b32 v20, s16
	s_mov_b32 s16, exec_lo
	v_cmpx_gt_u32_e64 s42, v70
	s_cbranch_execz .LBB91_506
; %bb.404:                              ;   in Loop: Header=BB91_400 Depth=2
	global_load_u8 v2, v[22:23], off
	s_waitcnt vmcnt(0)
	v_dual_mov_b32 v21, s25 :: v_dual_and_b32 v20, 0xffff, v2
	s_or_b32 exec_lo, exec_lo, s16
	s_delay_alu instid0(SALU_CYCLE_1)
	s_mov_b32 s16, exec_lo
	v_cmpx_gt_u32_e64 s42, v75
	s_cbranch_execnz .LBB91_507
.LBB91_405:                             ;   in Loop: Header=BB91_400 Depth=2
	s_or_b32 exec_lo, exec_lo, s16
	s_delay_alu instid0(SALU_CYCLE_1)
	s_mov_b32 s16, exec_lo
	v_cmpx_gt_u32_e64 s42, v76
	s_cbranch_execz .LBB91_508
.LBB91_406:                             ;   in Loop: Header=BB91_400 Depth=2
	global_load_u8 v2, v[22:23], off offset:64
	v_lshrrev_b32_e32 v24, 16, v20
	s_delay_alu instid0(VALU_DEP_1) | instskip(SKIP_1) | instid1(VALU_DEP_1)
	v_and_b32_e32 v24, 0xffffff00, v24
	s_waitcnt vmcnt(0)
	v_or_b32_e32 v2, v2, v24
	s_delay_alu instid0(VALU_DEP_1) | instskip(NEXT) | instid1(VALU_DEP_1)
	v_lshlrev_b32_e32 v2, 16, v2
	v_and_or_b32 v20, 0xffff, v20, v2
	s_or_b32 exec_lo, exec_lo, s16
	s_delay_alu instid0(SALU_CYCLE_1)
	s_mov_b32 s16, exec_lo
	v_cmpx_gt_u32_e64 s42, v77
	s_cbranch_execnz .LBB91_509
.LBB91_407:                             ;   in Loop: Header=BB91_400 Depth=2
	s_or_b32 exec_lo, exec_lo, s16
	s_delay_alu instid0(SALU_CYCLE_1)
	s_mov_b32 s16, exec_lo
	v_cmpx_gt_u32_e64 s42, v78
	s_cbranch_execz .LBB91_510
.LBB91_408:                             ;   in Loop: Header=BB91_400 Depth=2
	global_load_u8 v2, v[22:23], off offset:128
	s_waitcnt vmcnt(0)
	v_perm_b32 v21, v2, v21, 0x3020104
	s_or_b32 exec_lo, exec_lo, s16
	s_delay_alu instid0(SALU_CYCLE_1)
	s_mov_b32 s16, exec_lo
	v_cmpx_gt_u32_e64 s42, v79
	s_cbranch_execnz .LBB91_511
.LBB91_409:                             ;   in Loop: Header=BB91_400 Depth=2
	s_or_b32 exec_lo, exec_lo, s16
	s_delay_alu instid0(SALU_CYCLE_1)
	s_mov_b32 s16, exec_lo
	v_cmpx_gt_u32_e64 s42, v80
	s_cbranch_execz .LBB91_411
.LBB91_410:                             ;   in Loop: Header=BB91_400 Depth=2
	global_load_u8 v2, v[22:23], off offset:192
	s_waitcnt vmcnt(0)
	v_perm_b32 v21, v21, v2, 0x7000504
.LBB91_411:                             ;   in Loop: Header=BB91_400 Depth=2
	s_or_b32 exec_lo, exec_lo, s16
	v_cmp_gt_u32_e64 s19, s42, v81
	s_sub_i32 s18, s33, s24
	s_mov_b64 s[16:17], s[24:25]
.LBB91_412:                             ;   in Loop: Header=BB91_400 Depth=2
	v_mov_b32_e32 v2, s42
	s_delay_alu instid0(VALU_DEP_2)
	s_and_saveexec_b32 s20, s19
	s_cbranch_execz .LBB91_414
; %bb.413:                              ;   in Loop: Header=BB91_400 Depth=2
	v_add_co_u32 v22, vcc_lo, v83, s16
	v_add_co_ci_u32_e32 v23, vcc_lo, s17, v84, vcc_lo
	global_load_u8 v2, v[22:23], off
	s_waitcnt vmcnt(0)
	v_perm_b32 v21, v21, v2, 0x60504
	v_mov_b32_e32 v2, s18
.LBB91_414:                             ;   in Loop: Header=BB91_400 Depth=2
	s_or_b32 exec_lo, exec_lo, s20
	v_xor_b32_e32 v93, -1, v20
	ds_store_b32 v46, v3 offset:1056
	ds_store_2addr_b32 v47, v3, v3 offset0:1 offset1:2
	ds_store_2addr_b32 v47, v3, v3 offset0:3 offset1:4
	;; [unrolled: 1-line block ×4, first 2 shown]
	s_waitcnt lgkmcnt(0)
	s_barrier
	v_and_b32_e32 v22, 0xff, v93
	buffer_gl0_inv
	; wave barrier
	v_lshrrev_b32_e32 v22, s49, v22
	s_delay_alu instid0(VALU_DEP_1) | instskip(NEXT) | instid1(VALU_DEP_1)
	v_and_b32_e32 v23, s31, v22
	v_and_b32_e32 v22, 1, v23
	v_lshlrev_b32_e32 v24, 30, v23
	v_lshlrev_b32_e32 v25, 29, v23
	;; [unrolled: 1-line block ×4, first 2 shown]
	v_add_co_u32 v22, s16, v22, -1
	s_delay_alu instid0(VALU_DEP_1)
	v_cndmask_b32_e64 v27, 0, 1, s16
	v_not_b32_e32 v97, v24
	v_cmp_gt_i32_e64 s16, 0, v24
	v_not_b32_e32 v24, v25
	v_lshlrev_b32_e32 v95, 26, v23
	v_cmp_ne_u32_e32 vcc_lo, 0, v27
	v_ashrrev_i32_e32 v97, 31, v97
	v_lshlrev_b32_e32 v96, 25, v23
	v_ashrrev_i32_e32 v24, 31, v24
	v_lshlrev_b32_e32 v27, 24, v23
	v_xor_b32_e32 v22, vcc_lo, v22
	v_cmp_gt_i32_e32 vcc_lo, 0, v25
	v_not_b32_e32 v25, v26
	v_xor_b32_e32 v97, s16, v97
	v_cmp_gt_i32_e64 s16, 0, v26
	v_and_b32_e32 v22, exec_lo, v22
	v_not_b32_e32 v26, v94
	v_ashrrev_i32_e32 v25, 31, v25
	v_xor_b32_e32 v24, vcc_lo, v24
	v_cmp_gt_i32_e32 vcc_lo, 0, v94
	v_and_b32_e32 v22, v22, v97
	v_not_b32_e32 v94, v95
	v_ashrrev_i32_e32 v26, 31, v26
	v_xor_b32_e32 v25, s16, v25
	v_cmp_gt_i32_e64 s16, 0, v95
	v_and_b32_e32 v22, v22, v24
	v_not_b32_e32 v24, v96
	v_ashrrev_i32_e32 v94, 31, v94
	v_xor_b32_e32 v26, vcc_lo, v26
	v_cmp_gt_i32_e32 vcc_lo, 0, v96
	v_and_b32_e32 v22, v22, v25
	v_not_b32_e32 v25, v27
	v_ashrrev_i32_e32 v24, 31, v24
	v_xor_b32_e32 v94, s16, v94
	v_cmp_gt_i32_e64 s16, 0, v27
	v_and_b32_e32 v22, v22, v26
	v_ashrrev_i32_e32 v25, 31, v25
	v_xor_b32_e32 v24, vcc_lo, v24
	v_mad_u32_u24 v23, v23, 9, v82
	s_delay_alu instid0(VALU_DEP_4) | instskip(NEXT) | instid1(VALU_DEP_4)
	v_and_b32_e32 v22, v22, v94
	v_xor_b32_e32 v25, s16, v25
	s_delay_alu instid0(VALU_DEP_3) | instskip(NEXT) | instid1(VALU_DEP_3)
	v_lshl_add_u32 v96, v23, 2, 0x420
	v_and_b32_e32 v22, v22, v24
	s_delay_alu instid0(VALU_DEP_1) | instskip(NEXT) | instid1(VALU_DEP_1)
	v_and_b32_e32 v22, v22, v25
	v_mbcnt_lo_u32_b32 v94, v22, 0
	v_cmp_ne_u32_e64 s16, 0, v22
	s_delay_alu instid0(VALU_DEP_2) | instskip(NEXT) | instid1(VALU_DEP_2)
	v_cmp_eq_u32_e32 vcc_lo, 0, v94
	s_and_b32 s17, s16, vcc_lo
	s_delay_alu instid0(SALU_CYCLE_1)
	s_and_saveexec_b32 s16, s17
	s_cbranch_execz .LBB91_416
; %bb.415:                              ;   in Loop: Header=BB91_400 Depth=2
	v_bcnt_u32_b32 v22, v22, 0
	ds_store_b32 v96, v22
.LBB91_416:                             ;   in Loop: Header=BB91_400 Depth=2
	s_or_b32 exec_lo, exec_lo, s16
	v_lshrrev_b32_e32 v22, 8, v20
	; wave barrier
	s_delay_alu instid0(VALU_DEP_1) | instskip(NEXT) | instid1(VALU_DEP_1)
	v_xor_b32_e32 v95, -1, v22
	v_and_b32_e32 v22, 0xff, v95
	s_delay_alu instid0(VALU_DEP_1) | instskip(NEXT) | instid1(VALU_DEP_1)
	v_lshrrev_b32_e32 v22, s49, v22
	v_and_b32_e32 v22, s31, v22
	s_delay_alu instid0(VALU_DEP_1)
	v_and_b32_e32 v23, 1, v22
	v_lshlrev_b32_e32 v24, 30, v22
	v_lshlrev_b32_e32 v25, 29, v22
	;; [unrolled: 1-line block ×4, first 2 shown]
	v_add_co_u32 v23, s16, v23, -1
	s_delay_alu instid0(VALU_DEP_1)
	v_cndmask_b32_e64 v27, 0, 1, s16
	v_not_b32_e32 v100, v24
	v_cmp_gt_i32_e64 s16, 0, v24
	v_not_b32_e32 v24, v25
	v_lshlrev_b32_e32 v98, 26, v22
	v_cmp_ne_u32_e32 vcc_lo, 0, v27
	v_ashrrev_i32_e32 v100, 31, v100
	v_lshlrev_b32_e32 v99, 25, v22
	v_ashrrev_i32_e32 v24, 31, v24
	v_lshlrev_b32_e32 v27, 24, v22
	v_xor_b32_e32 v23, vcc_lo, v23
	v_cmp_gt_i32_e32 vcc_lo, 0, v25
	v_not_b32_e32 v25, v26
	v_xor_b32_e32 v100, s16, v100
	v_cmp_gt_i32_e64 s16, 0, v26
	v_and_b32_e32 v23, exec_lo, v23
	v_not_b32_e32 v26, v97
	v_ashrrev_i32_e32 v25, 31, v25
	v_xor_b32_e32 v24, vcc_lo, v24
	v_cmp_gt_i32_e32 vcc_lo, 0, v97
	v_and_b32_e32 v23, v23, v100
	v_not_b32_e32 v97, v98
	v_ashrrev_i32_e32 v26, 31, v26
	v_xor_b32_e32 v25, s16, v25
	v_cmp_gt_i32_e64 s16, 0, v98
	v_and_b32_e32 v23, v23, v24
	v_not_b32_e32 v24, v99
	v_ashrrev_i32_e32 v97, 31, v97
	v_xor_b32_e32 v26, vcc_lo, v26
	v_cmp_gt_i32_e32 vcc_lo, 0, v99
	v_and_b32_e32 v23, v23, v25
	v_not_b32_e32 v25, v27
	v_ashrrev_i32_e32 v24, 31, v24
	v_xor_b32_e32 v97, s16, v97
	v_mul_u32_u24_e32 v22, 9, v22
	v_and_b32_e32 v23, v23, v26
	v_cmp_gt_i32_e64 s16, 0, v27
	v_ashrrev_i32_e32 v25, 31, v25
	v_xor_b32_e32 v24, vcc_lo, v24
	v_add_lshl_u32 v26, v22, v82, 2
	v_and_b32_e32 v23, v23, v97
	s_delay_alu instid0(VALU_DEP_4) | instskip(SKIP_3) | instid1(VALU_DEP_2)
	v_xor_b32_e32 v22, s16, v25
	ds_load_b32 v97, v26 offset:1056
	v_and_b32_e32 v23, v23, v24
	v_add_nc_u32_e32 v100, 0x420, v26
	; wave barrier
	v_and_b32_e32 v22, v23, v22
	s_delay_alu instid0(VALU_DEP_1) | instskip(SKIP_1) | instid1(VALU_DEP_2)
	v_mbcnt_lo_u32_b32 v98, v22, 0
	v_cmp_ne_u32_e64 s16, 0, v22
	v_cmp_eq_u32_e32 vcc_lo, 0, v98
	s_delay_alu instid0(VALU_DEP_2) | instskip(NEXT) | instid1(SALU_CYCLE_1)
	s_and_b32 s17, s16, vcc_lo
	s_and_saveexec_b32 s16, s17
	s_cbranch_execz .LBB91_418
; %bb.417:                              ;   in Loop: Header=BB91_400 Depth=2
	s_waitcnt lgkmcnt(0)
	v_bcnt_u32_b32 v22, v22, v97
	ds_store_b32 v100, v22
.LBB91_418:                             ;   in Loop: Header=BB91_400 Depth=2
	s_or_b32 exec_lo, exec_lo, s16
	v_lshrrev_b32_e32 v22, 16, v20
	; wave barrier
	s_delay_alu instid0(VALU_DEP_1) | instskip(NEXT) | instid1(VALU_DEP_1)
	v_xor_b32_e32 v99, -1, v22
	v_and_b32_e32 v22, 0xff, v99
	s_delay_alu instid0(VALU_DEP_1) | instskip(NEXT) | instid1(VALU_DEP_1)
	v_lshrrev_b32_e32 v22, s49, v22
	v_and_b32_e32 v22, s31, v22
	s_delay_alu instid0(VALU_DEP_1)
	v_and_b32_e32 v23, 1, v22
	v_lshlrev_b32_e32 v24, 30, v22
	v_lshlrev_b32_e32 v25, 29, v22
	;; [unrolled: 1-line block ×4, first 2 shown]
	v_add_co_u32 v23, s16, v23, -1
	s_delay_alu instid0(VALU_DEP_1)
	v_cndmask_b32_e64 v27, 0, 1, s16
	v_not_b32_e32 v104, v24
	v_cmp_gt_i32_e64 s16, 0, v24
	v_not_b32_e32 v24, v25
	v_lshlrev_b32_e32 v102, 26, v22
	v_cmp_ne_u32_e32 vcc_lo, 0, v27
	v_ashrrev_i32_e32 v104, 31, v104
	v_lshlrev_b32_e32 v103, 25, v22
	v_ashrrev_i32_e32 v24, 31, v24
	v_lshlrev_b32_e32 v27, 24, v22
	v_xor_b32_e32 v23, vcc_lo, v23
	v_cmp_gt_i32_e32 vcc_lo, 0, v25
	v_not_b32_e32 v25, v26
	v_xor_b32_e32 v104, s16, v104
	v_cmp_gt_i32_e64 s16, 0, v26
	v_and_b32_e32 v23, exec_lo, v23
	v_not_b32_e32 v26, v101
	v_ashrrev_i32_e32 v25, 31, v25
	v_xor_b32_e32 v24, vcc_lo, v24
	v_cmp_gt_i32_e32 vcc_lo, 0, v101
	v_and_b32_e32 v23, v23, v104
	v_not_b32_e32 v101, v102
	v_ashrrev_i32_e32 v26, 31, v26
	v_xor_b32_e32 v25, s16, v25
	v_cmp_gt_i32_e64 s16, 0, v102
	v_and_b32_e32 v23, v23, v24
	v_not_b32_e32 v24, v103
	v_ashrrev_i32_e32 v101, 31, v101
	v_xor_b32_e32 v26, vcc_lo, v26
	v_cmp_gt_i32_e32 vcc_lo, 0, v103
	v_and_b32_e32 v23, v23, v25
	v_not_b32_e32 v25, v27
	v_ashrrev_i32_e32 v24, 31, v24
	v_xor_b32_e32 v101, s16, v101
	v_mul_u32_u24_e32 v22, 9, v22
	v_and_b32_e32 v23, v23, v26
	v_cmp_gt_i32_e64 s16, 0, v27
	v_ashrrev_i32_e32 v25, 31, v25
	v_xor_b32_e32 v24, vcc_lo, v24
	v_add_lshl_u32 v26, v22, v82, 2
	v_and_b32_e32 v23, v23, v101
	s_delay_alu instid0(VALU_DEP_4) | instskip(SKIP_3) | instid1(VALU_DEP_2)
	v_xor_b32_e32 v22, s16, v25
	ds_load_b32 v101, v26 offset:1056
	v_and_b32_e32 v23, v23, v24
	v_add_nc_u32_e32 v104, 0x420, v26
	; wave barrier
	v_and_b32_e32 v22, v23, v22
	s_delay_alu instid0(VALU_DEP_1) | instskip(SKIP_1) | instid1(VALU_DEP_2)
	v_mbcnt_lo_u32_b32 v102, v22, 0
	v_cmp_ne_u32_e64 s16, 0, v22
	v_cmp_eq_u32_e32 vcc_lo, 0, v102
	s_delay_alu instid0(VALU_DEP_2) | instskip(NEXT) | instid1(SALU_CYCLE_1)
	s_and_b32 s17, s16, vcc_lo
	s_and_saveexec_b32 s16, s17
	s_cbranch_execz .LBB91_420
; %bb.419:                              ;   in Loop: Header=BB91_400 Depth=2
	s_waitcnt lgkmcnt(0)
	v_bcnt_u32_b32 v22, v22, v101
	ds_store_b32 v104, v22
.LBB91_420:                             ;   in Loop: Header=BB91_400 Depth=2
	s_or_b32 exec_lo, exec_lo, s16
	v_lshrrev_b64 v[22:23], 24, v[20:21]
	; wave barrier
	s_delay_alu instid0(VALU_DEP_1) | instskip(NEXT) | instid1(VALU_DEP_1)
	v_xor_b32_e32 v103, -1, v22
	v_and_b32_e32 v20, 0xff, v103
	s_delay_alu instid0(VALU_DEP_1) | instskip(NEXT) | instid1(VALU_DEP_1)
	v_lshrrev_b32_e32 v20, s49, v20
	v_and_b32_e32 v20, s31, v20
	s_delay_alu instid0(VALU_DEP_1)
	v_and_b32_e32 v22, 1, v20
	v_lshlrev_b32_e32 v23, 30, v20
	v_lshlrev_b32_e32 v24, 29, v20
	;; [unrolled: 1-line block ×4, first 2 shown]
	v_add_co_u32 v22, s16, v22, -1
	s_delay_alu instid0(VALU_DEP_1)
	v_cndmask_b32_e64 v26, 0, 1, s16
	v_not_b32_e32 v107, v23
	v_cmp_gt_i32_e64 s16, 0, v23
	v_not_b32_e32 v23, v24
	v_lshlrev_b32_e32 v105, 26, v20
	v_cmp_ne_u32_e32 vcc_lo, 0, v26
	v_ashrrev_i32_e32 v107, 31, v107
	v_lshlrev_b32_e32 v106, 25, v20
	v_ashrrev_i32_e32 v23, 31, v23
	v_lshlrev_b32_e32 v26, 24, v20
	v_xor_b32_e32 v22, vcc_lo, v22
	v_cmp_gt_i32_e32 vcc_lo, 0, v24
	v_not_b32_e32 v24, v25
	v_xor_b32_e32 v107, s16, v107
	v_cmp_gt_i32_e64 s16, 0, v25
	v_and_b32_e32 v22, exec_lo, v22
	v_not_b32_e32 v25, v27
	v_ashrrev_i32_e32 v24, 31, v24
	v_xor_b32_e32 v23, vcc_lo, v23
	v_cmp_gt_i32_e32 vcc_lo, 0, v27
	v_and_b32_e32 v22, v22, v107
	v_not_b32_e32 v27, v105
	v_ashrrev_i32_e32 v25, 31, v25
	v_xor_b32_e32 v24, s16, v24
	v_cmp_gt_i32_e64 s16, 0, v105
	v_and_b32_e32 v22, v22, v23
	v_not_b32_e32 v23, v106
	v_ashrrev_i32_e32 v27, 31, v27
	v_xor_b32_e32 v25, vcc_lo, v25
	v_cmp_gt_i32_e32 vcc_lo, 0, v106
	v_and_b32_e32 v22, v22, v24
	v_not_b32_e32 v24, v26
	v_ashrrev_i32_e32 v23, 31, v23
	v_xor_b32_e32 v27, s16, v27
	v_mul_u32_u24_e32 v20, 9, v20
	v_and_b32_e32 v22, v22, v25
	v_cmp_gt_i32_e64 s16, 0, v26
	v_ashrrev_i32_e32 v24, 31, v24
	v_xor_b32_e32 v23, vcc_lo, v23
	v_add_lshl_u32 v25, v20, v82, 2
	v_and_b32_e32 v22, v22, v27
	s_delay_alu instid0(VALU_DEP_4) | instskip(SKIP_3) | instid1(VALU_DEP_2)
	v_xor_b32_e32 v20, s16, v24
	ds_load_b32 v105, v25 offset:1056
	v_and_b32_e32 v22, v22, v23
	v_add_nc_u32_e32 v108, 0x420, v25
	; wave barrier
	v_and_b32_e32 v20, v22, v20
	s_delay_alu instid0(VALU_DEP_1) | instskip(SKIP_1) | instid1(VALU_DEP_2)
	v_mbcnt_lo_u32_b32 v106, v20, 0
	v_cmp_ne_u32_e64 s16, 0, v20
	v_cmp_eq_u32_e32 vcc_lo, 0, v106
	s_delay_alu instid0(VALU_DEP_2) | instskip(NEXT) | instid1(SALU_CYCLE_1)
	s_and_b32 s17, s16, vcc_lo
	s_and_saveexec_b32 s16, s17
	s_cbranch_execz .LBB91_422
; %bb.421:                              ;   in Loop: Header=BB91_400 Depth=2
	s_waitcnt lgkmcnt(0)
	v_bcnt_u32_b32 v20, v20, v105
	ds_store_b32 v108, v20
.LBB91_422:                             ;   in Loop: Header=BB91_400 Depth=2
	s_or_b32 exec_lo, exec_lo, s16
	v_xor_b32_e32 v107, -1, v21
	; wave barrier
	s_delay_alu instid0(VALU_DEP_1) | instskip(NEXT) | instid1(VALU_DEP_1)
	v_and_b32_e32 v20, 0xff, v107
	v_lshrrev_b32_e32 v20, s49, v20
	s_delay_alu instid0(VALU_DEP_1) | instskip(NEXT) | instid1(VALU_DEP_1)
	v_and_b32_e32 v20, s31, v20
	v_and_b32_e32 v22, 1, v20
	v_lshlrev_b32_e32 v23, 30, v20
	v_lshlrev_b32_e32 v24, 29, v20
	;; [unrolled: 1-line block ×4, first 2 shown]
	v_add_co_u32 v22, s16, v22, -1
	s_delay_alu instid0(VALU_DEP_1)
	v_cndmask_b32_e64 v26, 0, 1, s16
	v_not_b32_e32 v111, v23
	v_cmp_gt_i32_e64 s16, 0, v23
	v_not_b32_e32 v23, v24
	v_lshlrev_b32_e32 v109, 26, v20
	v_cmp_ne_u32_e32 vcc_lo, 0, v26
	v_ashrrev_i32_e32 v111, 31, v111
	v_lshlrev_b32_e32 v110, 25, v20
	v_ashrrev_i32_e32 v23, 31, v23
	v_lshlrev_b32_e32 v26, 24, v20
	v_xor_b32_e32 v22, vcc_lo, v22
	v_cmp_gt_i32_e32 vcc_lo, 0, v24
	v_not_b32_e32 v24, v25
	v_xor_b32_e32 v111, s16, v111
	v_cmp_gt_i32_e64 s16, 0, v25
	v_and_b32_e32 v22, exec_lo, v22
	v_not_b32_e32 v25, v27
	v_ashrrev_i32_e32 v24, 31, v24
	v_xor_b32_e32 v23, vcc_lo, v23
	v_cmp_gt_i32_e32 vcc_lo, 0, v27
	v_and_b32_e32 v22, v22, v111
	v_not_b32_e32 v27, v109
	v_ashrrev_i32_e32 v25, 31, v25
	v_xor_b32_e32 v24, s16, v24
	v_cmp_gt_i32_e64 s16, 0, v109
	v_and_b32_e32 v22, v22, v23
	v_not_b32_e32 v23, v110
	v_ashrrev_i32_e32 v27, 31, v27
	v_xor_b32_e32 v25, vcc_lo, v25
	v_cmp_gt_i32_e32 vcc_lo, 0, v110
	v_and_b32_e32 v22, v22, v24
	v_not_b32_e32 v24, v26
	v_ashrrev_i32_e32 v23, 31, v23
	v_xor_b32_e32 v27, s16, v27
	v_mul_u32_u24_e32 v20, 9, v20
	v_and_b32_e32 v22, v22, v25
	v_cmp_gt_i32_e64 s16, 0, v26
	v_ashrrev_i32_e32 v24, 31, v24
	v_xor_b32_e32 v23, vcc_lo, v23
	v_add_lshl_u32 v25, v20, v82, 2
	v_and_b32_e32 v22, v22, v27
	s_delay_alu instid0(VALU_DEP_4) | instskip(SKIP_3) | instid1(VALU_DEP_2)
	v_xor_b32_e32 v20, s16, v24
	ds_load_b32 v109, v25 offset:1056
	v_and_b32_e32 v22, v22, v23
	v_add_nc_u32_e32 v112, 0x420, v25
	; wave barrier
	v_and_b32_e32 v20, v22, v20
	s_delay_alu instid0(VALU_DEP_1) | instskip(SKIP_1) | instid1(VALU_DEP_2)
	v_mbcnt_lo_u32_b32 v110, v20, 0
	v_cmp_ne_u32_e64 s16, 0, v20
	v_cmp_eq_u32_e32 vcc_lo, 0, v110
	s_delay_alu instid0(VALU_DEP_2) | instskip(NEXT) | instid1(SALU_CYCLE_1)
	s_and_b32 s17, s16, vcc_lo
	s_and_saveexec_b32 s16, s17
	s_cbranch_execz .LBB91_424
; %bb.423:                              ;   in Loop: Header=BB91_400 Depth=2
	s_waitcnt lgkmcnt(0)
	v_bcnt_u32_b32 v20, v20, v109
	ds_store_b32 v112, v20
.LBB91_424:                             ;   in Loop: Header=BB91_400 Depth=2
	s_or_b32 exec_lo, exec_lo, s16
	v_lshrrev_b32_e32 v20, 8, v21
	; wave barrier
	s_delay_alu instid0(VALU_DEP_1) | instskip(NEXT) | instid1(VALU_DEP_1)
	v_xor_b32_e32 v111, -1, v20
	v_and_b32_e32 v20, 0xff, v111
	s_delay_alu instid0(VALU_DEP_1) | instskip(NEXT) | instid1(VALU_DEP_1)
	v_lshrrev_b32_e32 v20, s49, v20
	v_and_b32_e32 v20, s31, v20
	s_delay_alu instid0(VALU_DEP_1)
	v_and_b32_e32 v22, 1, v20
	v_lshlrev_b32_e32 v23, 30, v20
	v_lshlrev_b32_e32 v24, 29, v20
	v_lshlrev_b32_e32 v25, 28, v20
	v_lshlrev_b32_e32 v27, 27, v20
	v_add_co_u32 v22, s16, v22, -1
	s_delay_alu instid0(VALU_DEP_1)
	v_cndmask_b32_e64 v26, 0, 1, s16
	v_not_b32_e32 v115, v23
	v_cmp_gt_i32_e64 s16, 0, v23
	v_not_b32_e32 v23, v24
	v_lshlrev_b32_e32 v113, 26, v20
	v_cmp_ne_u32_e32 vcc_lo, 0, v26
	v_ashrrev_i32_e32 v115, 31, v115
	v_lshlrev_b32_e32 v114, 25, v20
	v_ashrrev_i32_e32 v23, 31, v23
	v_lshlrev_b32_e32 v26, 24, v20
	v_xor_b32_e32 v22, vcc_lo, v22
	v_cmp_gt_i32_e32 vcc_lo, 0, v24
	v_not_b32_e32 v24, v25
	v_xor_b32_e32 v115, s16, v115
	v_cmp_gt_i32_e64 s16, 0, v25
	v_and_b32_e32 v22, exec_lo, v22
	v_not_b32_e32 v25, v27
	v_ashrrev_i32_e32 v24, 31, v24
	v_xor_b32_e32 v23, vcc_lo, v23
	v_cmp_gt_i32_e32 vcc_lo, 0, v27
	v_and_b32_e32 v22, v22, v115
	v_not_b32_e32 v27, v113
	v_ashrrev_i32_e32 v25, 31, v25
	v_xor_b32_e32 v24, s16, v24
	v_cmp_gt_i32_e64 s16, 0, v113
	v_and_b32_e32 v22, v22, v23
	v_not_b32_e32 v23, v114
	v_ashrrev_i32_e32 v27, 31, v27
	v_xor_b32_e32 v25, vcc_lo, v25
	v_cmp_gt_i32_e32 vcc_lo, 0, v114
	v_and_b32_e32 v22, v22, v24
	v_not_b32_e32 v24, v26
	v_ashrrev_i32_e32 v23, 31, v23
	v_xor_b32_e32 v27, s16, v27
	v_mul_u32_u24_e32 v20, 9, v20
	v_and_b32_e32 v22, v22, v25
	v_cmp_gt_i32_e64 s16, 0, v26
	v_ashrrev_i32_e32 v24, 31, v24
	v_xor_b32_e32 v23, vcc_lo, v23
	v_add_lshl_u32 v25, v20, v82, 2
	v_and_b32_e32 v22, v22, v27
	s_delay_alu instid0(VALU_DEP_4) | instskip(SKIP_3) | instid1(VALU_DEP_2)
	v_xor_b32_e32 v20, s16, v24
	ds_load_b32 v113, v25 offset:1056
	v_and_b32_e32 v22, v22, v23
	v_add_nc_u32_e32 v116, 0x420, v25
	; wave barrier
	v_and_b32_e32 v20, v22, v20
	s_delay_alu instid0(VALU_DEP_1) | instskip(SKIP_1) | instid1(VALU_DEP_2)
	v_mbcnt_lo_u32_b32 v114, v20, 0
	v_cmp_ne_u32_e64 s16, 0, v20
	v_cmp_eq_u32_e32 vcc_lo, 0, v114
	s_delay_alu instid0(VALU_DEP_2) | instskip(NEXT) | instid1(SALU_CYCLE_1)
	s_and_b32 s17, s16, vcc_lo
	s_and_saveexec_b32 s16, s17
	s_cbranch_execz .LBB91_426
; %bb.425:                              ;   in Loop: Header=BB91_400 Depth=2
	s_waitcnt lgkmcnt(0)
	v_bcnt_u32_b32 v20, v20, v113
	ds_store_b32 v116, v20
.LBB91_426:                             ;   in Loop: Header=BB91_400 Depth=2
	s_or_b32 exec_lo, exec_lo, s16
	v_lshrrev_b32_e32 v20, 16, v21
	; wave barrier
	s_delay_alu instid0(VALU_DEP_1) | instskip(NEXT) | instid1(VALU_DEP_1)
	v_xor_b32_e32 v115, -1, v20
	v_and_b32_e32 v20, 0xff, v115
	s_delay_alu instid0(VALU_DEP_1) | instskip(NEXT) | instid1(VALU_DEP_1)
	v_lshrrev_b32_e32 v20, s49, v20
	v_and_b32_e32 v20, s31, v20
	s_delay_alu instid0(VALU_DEP_1)
	v_and_b32_e32 v22, 1, v20
	v_lshlrev_b32_e32 v23, 30, v20
	v_lshlrev_b32_e32 v24, 29, v20
	v_lshlrev_b32_e32 v25, 28, v20
	v_lshlrev_b32_e32 v27, 27, v20
	v_add_co_u32 v22, s16, v22, -1
	s_delay_alu instid0(VALU_DEP_1)
	v_cndmask_b32_e64 v26, 0, 1, s16
	v_not_b32_e32 v119, v23
	v_cmp_gt_i32_e64 s16, 0, v23
	v_not_b32_e32 v23, v24
	v_lshlrev_b32_e32 v117, 26, v20
	v_cmp_ne_u32_e32 vcc_lo, 0, v26
	v_ashrrev_i32_e32 v119, 31, v119
	v_lshlrev_b32_e32 v118, 25, v20
	v_ashrrev_i32_e32 v23, 31, v23
	v_lshlrev_b32_e32 v26, 24, v20
	v_xor_b32_e32 v22, vcc_lo, v22
	v_cmp_gt_i32_e32 vcc_lo, 0, v24
	v_not_b32_e32 v24, v25
	v_xor_b32_e32 v119, s16, v119
	v_cmp_gt_i32_e64 s16, 0, v25
	v_and_b32_e32 v22, exec_lo, v22
	v_not_b32_e32 v25, v27
	v_ashrrev_i32_e32 v24, 31, v24
	v_xor_b32_e32 v23, vcc_lo, v23
	v_cmp_gt_i32_e32 vcc_lo, 0, v27
	v_and_b32_e32 v22, v22, v119
	v_not_b32_e32 v27, v117
	v_ashrrev_i32_e32 v25, 31, v25
	v_xor_b32_e32 v24, s16, v24
	v_cmp_gt_i32_e64 s16, 0, v117
	v_and_b32_e32 v22, v22, v23
	v_not_b32_e32 v23, v118
	v_ashrrev_i32_e32 v27, 31, v27
	v_xor_b32_e32 v25, vcc_lo, v25
	v_cmp_gt_i32_e32 vcc_lo, 0, v118
	v_and_b32_e32 v22, v22, v24
	v_not_b32_e32 v24, v26
	v_ashrrev_i32_e32 v23, 31, v23
	v_xor_b32_e32 v27, s16, v27
	v_mul_u32_u24_e32 v20, 9, v20
	v_and_b32_e32 v22, v22, v25
	v_cmp_gt_i32_e64 s16, 0, v26
	v_ashrrev_i32_e32 v24, 31, v24
	v_xor_b32_e32 v23, vcc_lo, v23
	v_add_lshl_u32 v25, v20, v82, 2
	v_and_b32_e32 v22, v22, v27
	s_delay_alu instid0(VALU_DEP_4) | instskip(SKIP_3) | instid1(VALU_DEP_2)
	v_xor_b32_e32 v20, s16, v24
	ds_load_b32 v117, v25 offset:1056
	v_and_b32_e32 v22, v22, v23
	v_add_nc_u32_e32 v120, 0x420, v25
	; wave barrier
	v_and_b32_e32 v20, v22, v20
	s_delay_alu instid0(VALU_DEP_1) | instskip(SKIP_1) | instid1(VALU_DEP_2)
	v_mbcnt_lo_u32_b32 v118, v20, 0
	v_cmp_ne_u32_e64 s16, 0, v20
	v_cmp_eq_u32_e32 vcc_lo, 0, v118
	s_delay_alu instid0(VALU_DEP_2) | instskip(NEXT) | instid1(SALU_CYCLE_1)
	s_and_b32 s17, s16, vcc_lo
	s_and_saveexec_b32 s16, s17
	s_cbranch_execz .LBB91_428
; %bb.427:                              ;   in Loop: Header=BB91_400 Depth=2
	s_waitcnt lgkmcnt(0)
	v_bcnt_u32_b32 v20, v20, v117
	ds_store_b32 v120, v20
.LBB91_428:                             ;   in Loop: Header=BB91_400 Depth=2
	s_or_b32 exec_lo, exec_lo, s16
	v_lshrrev_b32_e32 v20, 24, v21
	; wave barrier
	s_delay_alu instid0(VALU_DEP_1) | instskip(NEXT) | instid1(VALU_DEP_1)
	v_xor_b32_e32 v119, -1, v20
	v_and_b32_e32 v20, 0xff, v119
	s_delay_alu instid0(VALU_DEP_1) | instskip(NEXT) | instid1(VALU_DEP_1)
	v_lshrrev_b32_e32 v20, s49, v20
	v_and_b32_e32 v20, s31, v20
	s_delay_alu instid0(VALU_DEP_1)
	v_and_b32_e32 v21, 1, v20
	v_lshlrev_b32_e32 v22, 30, v20
	v_lshlrev_b32_e32 v23, 29, v20
	;; [unrolled: 1-line block ×4, first 2 shown]
	v_add_co_u32 v21, s16, v21, -1
	s_delay_alu instid0(VALU_DEP_1)
	v_cndmask_b32_e64 v25, 0, 1, s16
	v_not_b32_e32 v122, v22
	v_cmp_gt_i32_e64 s16, 0, v22
	v_not_b32_e32 v22, v23
	v_lshlrev_b32_e32 v27, 26, v20
	v_cmp_ne_u32_e32 vcc_lo, 0, v25
	v_ashrrev_i32_e32 v122, 31, v122
	v_lshlrev_b32_e32 v121, 25, v20
	v_ashrrev_i32_e32 v22, 31, v22
	v_lshlrev_b32_e32 v25, 24, v20
	v_xor_b32_e32 v21, vcc_lo, v21
	v_cmp_gt_i32_e32 vcc_lo, 0, v23
	v_not_b32_e32 v23, v24
	v_xor_b32_e32 v122, s16, v122
	v_cmp_gt_i32_e64 s16, 0, v24
	v_and_b32_e32 v21, exec_lo, v21
	v_not_b32_e32 v24, v26
	v_ashrrev_i32_e32 v23, 31, v23
	v_xor_b32_e32 v22, vcc_lo, v22
	v_cmp_gt_i32_e32 vcc_lo, 0, v26
	v_and_b32_e32 v21, v21, v122
	v_not_b32_e32 v26, v27
	v_ashrrev_i32_e32 v24, 31, v24
	v_xor_b32_e32 v23, s16, v23
	v_cmp_gt_i32_e64 s16, 0, v27
	v_and_b32_e32 v21, v21, v22
	v_not_b32_e32 v22, v121
	v_ashrrev_i32_e32 v26, 31, v26
	v_xor_b32_e32 v24, vcc_lo, v24
	v_cmp_gt_i32_e32 vcc_lo, 0, v121
	v_and_b32_e32 v21, v21, v23
	v_not_b32_e32 v23, v25
	v_ashrrev_i32_e32 v22, 31, v22
	v_xor_b32_e32 v26, s16, v26
	v_mul_u32_u24_e32 v20, 9, v20
	v_and_b32_e32 v21, v21, v24
	v_cmp_gt_i32_e64 s16, 0, v25
	v_ashrrev_i32_e32 v23, 31, v23
	v_xor_b32_e32 v22, vcc_lo, v22
	v_add_lshl_u32 v24, v20, v82, 2
	v_and_b32_e32 v21, v21, v26
	s_delay_alu instid0(VALU_DEP_4) | instskip(SKIP_3) | instid1(VALU_DEP_2)
	v_xor_b32_e32 v20, s16, v23
	ds_load_b32 v121, v24 offset:1056
	v_and_b32_e32 v21, v21, v22
	v_add_nc_u32_e32 v123, 0x420, v24
	; wave barrier
	v_and_b32_e32 v20, v21, v20
	s_delay_alu instid0(VALU_DEP_1) | instskip(SKIP_1) | instid1(VALU_DEP_2)
	v_mbcnt_lo_u32_b32 v122, v20, 0
	v_cmp_ne_u32_e64 s16, 0, v20
	v_cmp_eq_u32_e32 vcc_lo, 0, v122
	s_delay_alu instid0(VALU_DEP_2) | instskip(NEXT) | instid1(SALU_CYCLE_1)
	s_and_b32 s17, s16, vcc_lo
	s_and_saveexec_b32 s16, s17
	s_cbranch_execz .LBB91_430
; %bb.429:                              ;   in Loop: Header=BB91_400 Depth=2
	s_waitcnt lgkmcnt(0)
	v_bcnt_u32_b32 v20, v20, v121
	ds_store_b32 v123, v20
.LBB91_430:                             ;   in Loop: Header=BB91_400 Depth=2
	s_or_b32 exec_lo, exec_lo, s16
	; wave barrier
	s_waitcnt lgkmcnt(0)
	s_barrier
	buffer_gl0_inv
	ds_load_b32 v124, v46 offset:1056
	ds_load_2addr_b32 v[26:27], v47 offset0:1 offset1:2
	ds_load_2addr_b32 v[24:25], v47 offset0:3 offset1:4
	;; [unrolled: 1-line block ×4, first 2 shown]
	s_waitcnt lgkmcnt(3)
	v_add3_u32 v125, v26, v124, v27
	s_waitcnt lgkmcnt(2)
	s_delay_alu instid0(VALU_DEP_1) | instskip(SKIP_1) | instid1(VALU_DEP_1)
	v_add3_u32 v125, v125, v24, v25
	s_waitcnt lgkmcnt(1)
	v_add3_u32 v125, v125, v20, v21
	s_waitcnt lgkmcnt(0)
	s_delay_alu instid0(VALU_DEP_1) | instskip(NEXT) | instid1(VALU_DEP_1)
	v_add3_u32 v23, v125, v22, v23
	v_mov_b32_dpp v125, v23 row_shr:1 row_mask:0xf bank_mask:0xf
	s_delay_alu instid0(VALU_DEP_1) | instskip(NEXT) | instid1(VALU_DEP_1)
	v_cndmask_b32_e64 v125, v125, 0, s0
	v_add_nc_u32_e32 v23, v125, v23
	s_delay_alu instid0(VALU_DEP_1) | instskip(NEXT) | instid1(VALU_DEP_1)
	v_mov_b32_dpp v125, v23 row_shr:2 row_mask:0xf bank_mask:0xf
	v_cndmask_b32_e64 v125, 0, v125, s1
	s_delay_alu instid0(VALU_DEP_1) | instskip(NEXT) | instid1(VALU_DEP_1)
	v_add_nc_u32_e32 v23, v23, v125
	v_mov_b32_dpp v125, v23 row_shr:4 row_mask:0xf bank_mask:0xf
	s_delay_alu instid0(VALU_DEP_1) | instskip(NEXT) | instid1(VALU_DEP_1)
	v_cndmask_b32_e64 v125, 0, v125, s8
	v_add_nc_u32_e32 v23, v23, v125
	s_delay_alu instid0(VALU_DEP_1) | instskip(NEXT) | instid1(VALU_DEP_1)
	v_mov_b32_dpp v125, v23 row_shr:8 row_mask:0xf bank_mask:0xf
	v_cndmask_b32_e64 v125, 0, v125, s9
	s_delay_alu instid0(VALU_DEP_1) | instskip(SKIP_3) | instid1(VALU_DEP_1)
	v_add_nc_u32_e32 v23, v23, v125
	ds_swizzle_b32 v125, v23 offset:swizzle(BROADCAST,32,15)
	s_waitcnt lgkmcnt(0)
	v_cndmask_b32_e64 v125, v125, 0, s10
	v_add_nc_u32_e32 v23, v23, v125
	s_and_saveexec_b32 s16, s3
	s_cbranch_execz .LBB91_432
; %bb.431:                              ;   in Loop: Header=BB91_400 Depth=2
	ds_store_b32 v38, v23 offset:1024
.LBB91_432:                             ;   in Loop: Header=BB91_400 Depth=2
	s_or_b32 exec_lo, exec_lo, s16
	s_waitcnt lgkmcnt(0)
	s_barrier
	buffer_gl0_inv
	s_and_saveexec_b32 s16, s4
	s_cbranch_execz .LBB91_434
; %bb.433:                              ;   in Loop: Header=BB91_400 Depth=2
	v_add_nc_u32_e32 v125, v46, v48
	ds_load_b32 v126, v125 offset:1024
	s_waitcnt lgkmcnt(0)
	v_mov_b32_dpp v127, v126 row_shr:1 row_mask:0xf bank_mask:0xf
	s_delay_alu instid0(VALU_DEP_1) | instskip(NEXT) | instid1(VALU_DEP_1)
	v_cndmask_b32_e64 v127, v127, 0, s12
	v_add_nc_u32_e32 v126, v127, v126
	s_delay_alu instid0(VALU_DEP_1) | instskip(NEXT) | instid1(VALU_DEP_1)
	v_mov_b32_dpp v127, v126 row_shr:2 row_mask:0xf bank_mask:0xf
	v_cndmask_b32_e64 v127, 0, v127, s13
	s_delay_alu instid0(VALU_DEP_1) | instskip(NEXT) | instid1(VALU_DEP_1)
	v_add_nc_u32_e32 v126, v126, v127
	v_mov_b32_dpp v127, v126 row_shr:4 row_mask:0xf bank_mask:0xf
	s_delay_alu instid0(VALU_DEP_1) | instskip(NEXT) | instid1(VALU_DEP_1)
	v_cndmask_b32_e64 v127, 0, v127, s14
	v_add_nc_u32_e32 v126, v126, v127
	ds_store_b32 v125, v126 offset:1024
.LBB91_434:                             ;   in Loop: Header=BB91_400 Depth=2
	s_or_b32 exec_lo, exec_lo, s16
	v_mov_b32_e32 v125, 0
	s_waitcnt lgkmcnt(0)
	s_barrier
	buffer_gl0_inv
	s_and_saveexec_b32 s16, s5
	s_cbranch_execz .LBB91_436
; %bb.435:                              ;   in Loop: Header=BB91_400 Depth=2
	ds_load_b32 v125, v38 offset:1020
.LBB91_436:                             ;   in Loop: Header=BB91_400 Depth=2
	s_or_b32 exec_lo, exec_lo, s16
	s_waitcnt lgkmcnt(0)
	v_add_nc_u32_e32 v23, v125, v23
	ds_bpermute_b32 v23, v69, v23
	s_waitcnt lgkmcnt(0)
	v_cndmask_b32_e64 v23, v23, v125, s11
	s_delay_alu instid0(VALU_DEP_1) | instskip(NEXT) | instid1(VALU_DEP_1)
	v_cndmask_b32_e64 v23, v23, 0, s6
	v_add_nc_u32_e32 v124, v23, v124
	s_delay_alu instid0(VALU_DEP_1) | instskip(NEXT) | instid1(VALU_DEP_1)
	v_add_nc_u32_e32 v26, v124, v26
	v_add_nc_u32_e32 v27, v26, v27
	s_delay_alu instid0(VALU_DEP_1) | instskip(NEXT) | instid1(VALU_DEP_1)
	v_add_nc_u32_e32 v24, v27, v24
	;; [unrolled: 3-line block ×3, first 2 shown]
	v_add_nc_u32_e32 v21, v20, v21
	s_delay_alu instid0(VALU_DEP_1)
	v_add_nc_u32_e32 v22, v21, v22
	ds_store_b32 v46, v23 offset:1056
	ds_store_2addr_b32 v47, v124, v26 offset0:1 offset1:2
	ds_store_2addr_b32 v47, v27, v24 offset0:3 offset1:4
	;; [unrolled: 1-line block ×4, first 2 shown]
	v_mov_b32_e32 v22, 0x800
	s_waitcnt lgkmcnt(0)
	s_barrier
	buffer_gl0_inv
	ds_load_b32 v20, v100
	ds_load_b32 v21, v104
	;; [unrolled: 1-line block ×8, first 2 shown]
	ds_load_b32 v27, v46 offset:1056
	s_and_saveexec_b32 s16, s7
	s_cbranch_execz .LBB91_438
; %bb.437:                              ;   in Loop: Header=BB91_400 Depth=2
	ds_load_b32 v22, v49 offset:1056
.LBB91_438:                             ;   in Loop: Header=BB91_400 Depth=2
	s_or_b32 exec_lo, exec_lo, s16
	s_waitcnt lgkmcnt(0)
	s_barrier
	buffer_gl0_inv
	s_and_saveexec_b32 s16, s2
	s_cbranch_execz .LBB91_440
; %bb.439:                              ;   in Loop: Header=BB91_400 Depth=2
	ds_load_b32 v96, v28
	s_waitcnt lgkmcnt(0)
	v_sub_nc_u32_e32 v27, v96, v27
	ds_store_b32 v28, v27
.LBB91_440:                             ;   in Loop: Header=BB91_400 Depth=2
	s_or_b32 exec_lo, exec_lo, s16
	v_add_nc_u32_e32 v100, v26, v94
	v_add3_u32 v96, v98, v97, v20
	v_add3_u32 v94, v102, v101, v21
	;; [unrolled: 1-line block ×7, first 2 shown]
	v_cmp_lt_u32_e64 s21, v1, v2
	ds_store_b8 v100, v93 offset:1024
	ds_store_b8 v96, v95 offset:1024
	;; [unrolled: 1-line block ×8, first 2 shown]
	s_waitcnt lgkmcnt(0)
	s_barrier
	buffer_gl0_inv
	s_and_saveexec_b32 s16, s21
	s_cbranch_execz .LBB91_448
; %bb.441:                              ;   in Loop: Header=BB91_400 Depth=2
	ds_load_u8 v20, v1 offset:1024
	s_waitcnt lgkmcnt(0)
	v_and_b32_e32 v21, 0xff, v20
	v_xor_b32_e32 v20, -1, v20
	s_delay_alu instid0(VALU_DEP_2) | instskip(NEXT) | instid1(VALU_DEP_1)
	v_lshrrev_b32_e32 v21, s49, v21
	v_and_b32_e32 v21, s31, v21
	s_delay_alu instid0(VALU_DEP_1)
	v_lshlrev_b32_e32 v21, 2, v21
	ds_load_b32 v21, v21
	s_waitcnt lgkmcnt(0)
	v_add_nc_u32_e32 v21, v21, v1
	global_store_b8 v21, v20, s[38:39]
	s_or_b32 exec_lo, exec_lo, s16
	v_cmp_lt_u32_e64 s22, v29, v2
	s_delay_alu instid0(VALU_DEP_1)
	s_and_saveexec_b32 s16, s22
	s_cbranch_execnz .LBB91_449
.LBB91_442:                             ;   in Loop: Header=BB91_400 Depth=2
	s_or_b32 exec_lo, exec_lo, s16
	v_cmp_lt_u32_e64 s20, v30, v2
	s_delay_alu instid0(VALU_DEP_1)
	s_and_saveexec_b32 s16, s20
	s_cbranch_execz .LBB91_450
.LBB91_443:                             ;   in Loop: Header=BB91_400 Depth=2
	ds_load_u8 v20, v35 offset:512
	s_waitcnt lgkmcnt(0)
	v_and_b32_e32 v21, 0xff, v20
	v_xor_b32_e32 v20, -1, v20
	s_delay_alu instid0(VALU_DEP_2) | instskip(NEXT) | instid1(VALU_DEP_1)
	v_lshrrev_b32_e32 v21, s49, v21
	v_and_b32_e32 v21, s31, v21
	s_delay_alu instid0(VALU_DEP_1)
	v_lshlrev_b32_e32 v21, 2, v21
	ds_load_b32 v21, v21
	s_waitcnt lgkmcnt(0)
	v_add_nc_u32_e32 v21, v21, v30
	global_store_b8 v21, v20, s[38:39]
	s_or_b32 exec_lo, exec_lo, s16
	v_cmp_lt_u32_e64 s19, v31, v2
	s_delay_alu instid0(VALU_DEP_1)
	s_and_saveexec_b32 s16, s19
	s_cbranch_execnz .LBB91_451
.LBB91_444:                             ;   in Loop: Header=BB91_400 Depth=2
	s_or_b32 exec_lo, exec_lo, s16
	v_cmp_lt_u32_e64 s18, v35, v2
	s_delay_alu instid0(VALU_DEP_1)
	s_and_saveexec_b32 s16, s18
	s_cbranch_execz .LBB91_452
.LBB91_445:                             ;   in Loop: Header=BB91_400 Depth=2
	ds_load_u8 v20, v35 offset:1024
	s_waitcnt lgkmcnt(0)
	v_and_b32_e32 v21, 0xff, v20
	v_xor_b32_e32 v20, -1, v20
	s_delay_alu instid0(VALU_DEP_2) | instskip(NEXT) | instid1(VALU_DEP_1)
	v_lshrrev_b32_e32 v21, s49, v21
	v_and_b32_e32 v21, s31, v21
	s_delay_alu instid0(VALU_DEP_1)
	v_lshlrev_b32_e32 v21, 2, v21
	ds_load_b32 v21, v21
	s_waitcnt lgkmcnt(0)
	v_add_nc_u32_e32 v21, v21, v35
	global_store_b8 v21, v20, s[38:39]
	s_or_b32 exec_lo, exec_lo, s16
	v_cmp_lt_u32_e64 s17, v36, v2
	s_delay_alu instid0(VALU_DEP_1)
	s_and_saveexec_b32 s16, s17
	s_cbranch_execnz .LBB91_453
.LBB91_446:                             ;   in Loop: Header=BB91_400 Depth=2
	s_or_b32 exec_lo, exec_lo, s16
	v_cmp_lt_u32_e64 s16, v37, v2
	s_delay_alu instid0(VALU_DEP_1)
	s_and_saveexec_b32 s23, s16
	s_cbranch_execz .LBB91_454
.LBB91_447:                             ;   in Loop: Header=BB91_400 Depth=2
	ds_load_u8 v20, v35 offset:1536
	s_waitcnt lgkmcnt(0)
	v_and_b32_e32 v21, 0xff, v20
	v_xor_b32_e32 v20, -1, v20
	s_delay_alu instid0(VALU_DEP_2) | instskip(NEXT) | instid1(VALU_DEP_1)
	v_lshrrev_b32_e32 v21, s49, v21
	v_and_b32_e32 v21, s31, v21
	s_delay_alu instid0(VALU_DEP_1)
	v_lshlrev_b32_e32 v21, 2, v21
	ds_load_b32 v21, v21
	s_waitcnt lgkmcnt(0)
	v_add_nc_u32_e32 v21, v21, v37
	global_store_b8 v21, v20, s[38:39]
	s_or_b32 exec_lo, exec_lo, s23
	v_cmp_lt_u32_e32 vcc_lo, v39, v2
	s_and_saveexec_b32 s23, vcc_lo
	s_cbranch_execnz .LBB91_455
	s_branch .LBB91_456
.LBB91_448:                             ;   in Loop: Header=BB91_400 Depth=2
	s_or_b32 exec_lo, exec_lo, s16
	v_cmp_lt_u32_e64 s22, v29, v2
	s_delay_alu instid0(VALU_DEP_1)
	s_and_saveexec_b32 s16, s22
	s_cbranch_execz .LBB91_442
.LBB91_449:                             ;   in Loop: Header=BB91_400 Depth=2
	ds_load_u8 v20, v35 offset:256
	s_waitcnt lgkmcnt(0)
	v_and_b32_e32 v21, 0xff, v20
	v_xor_b32_e32 v20, -1, v20
	s_delay_alu instid0(VALU_DEP_2) | instskip(NEXT) | instid1(VALU_DEP_1)
	v_lshrrev_b32_e32 v21, s49, v21
	v_and_b32_e32 v21, s31, v21
	s_delay_alu instid0(VALU_DEP_1)
	v_lshlrev_b32_e32 v21, 2, v21
	ds_load_b32 v21, v21
	s_waitcnt lgkmcnt(0)
	v_add_nc_u32_e32 v21, v21, v29
	global_store_b8 v21, v20, s[38:39]
	s_or_b32 exec_lo, exec_lo, s16
	v_cmp_lt_u32_e64 s20, v30, v2
	s_delay_alu instid0(VALU_DEP_1)
	s_and_saveexec_b32 s16, s20
	s_cbranch_execnz .LBB91_443
.LBB91_450:                             ;   in Loop: Header=BB91_400 Depth=2
	s_or_b32 exec_lo, exec_lo, s16
	v_cmp_lt_u32_e64 s19, v31, v2
	s_delay_alu instid0(VALU_DEP_1)
	s_and_saveexec_b32 s16, s19
	s_cbranch_execz .LBB91_444
.LBB91_451:                             ;   in Loop: Header=BB91_400 Depth=2
	ds_load_u8 v20, v35 offset:768
	s_waitcnt lgkmcnt(0)
	v_and_b32_e32 v21, 0xff, v20
	v_xor_b32_e32 v20, -1, v20
	s_delay_alu instid0(VALU_DEP_2) | instskip(NEXT) | instid1(VALU_DEP_1)
	v_lshrrev_b32_e32 v21, s49, v21
	v_and_b32_e32 v21, s31, v21
	s_delay_alu instid0(VALU_DEP_1)
	v_lshlrev_b32_e32 v21, 2, v21
	ds_load_b32 v21, v21
	s_waitcnt lgkmcnt(0)
	v_add_nc_u32_e32 v21, v21, v31
	global_store_b8 v21, v20, s[38:39]
	s_or_b32 exec_lo, exec_lo, s16
	v_cmp_lt_u32_e64 s18, v35, v2
	s_delay_alu instid0(VALU_DEP_1)
	s_and_saveexec_b32 s16, s18
	s_cbranch_execnz .LBB91_445
.LBB91_452:                             ;   in Loop: Header=BB91_400 Depth=2
	s_or_b32 exec_lo, exec_lo, s16
	v_cmp_lt_u32_e64 s17, v36, v2
	s_delay_alu instid0(VALU_DEP_1)
	s_and_saveexec_b32 s16, s17
	s_cbranch_execz .LBB91_446
.LBB91_453:                             ;   in Loop: Header=BB91_400 Depth=2
	ds_load_u8 v20, v35 offset:1280
	s_waitcnt lgkmcnt(0)
	v_and_b32_e32 v21, 0xff, v20
	v_xor_b32_e32 v20, -1, v20
	s_delay_alu instid0(VALU_DEP_2) | instskip(NEXT) | instid1(VALU_DEP_1)
	v_lshrrev_b32_e32 v21, s49, v21
	v_and_b32_e32 v21, s31, v21
	s_delay_alu instid0(VALU_DEP_1)
	v_lshlrev_b32_e32 v21, 2, v21
	ds_load_b32 v21, v21
	s_waitcnt lgkmcnt(0)
	v_add_nc_u32_e32 v21, v21, v36
	global_store_b8 v21, v20, s[38:39]
	s_or_b32 exec_lo, exec_lo, s16
	v_cmp_lt_u32_e64 s16, v37, v2
	s_delay_alu instid0(VALU_DEP_1)
	s_and_saveexec_b32 s23, s16
	s_cbranch_execnz .LBB91_447
.LBB91_454:                             ;   in Loop: Header=BB91_400 Depth=2
	s_or_b32 exec_lo, exec_lo, s23
	v_cmp_lt_u32_e32 vcc_lo, v39, v2
	s_and_saveexec_b32 s23, vcc_lo
	s_cbranch_execz .LBB91_456
.LBB91_455:                             ;   in Loop: Header=BB91_400 Depth=2
	ds_load_u8 v20, v35 offset:1792
	s_waitcnt lgkmcnt(0)
	v_and_b32_e32 v21, 0xff, v20
	v_xor_b32_e32 v20, -1, v20
	s_delay_alu instid0(VALU_DEP_2) | instskip(NEXT) | instid1(VALU_DEP_1)
	v_lshrrev_b32_e32 v21, s49, v21
	v_and_b32_e32 v21, s31, v21
	s_delay_alu instid0(VALU_DEP_1)
	v_lshlrev_b32_e32 v21, 2, v21
	ds_load_b32 v21, v21
	s_waitcnt lgkmcnt(0)
	v_add_nc_u32_e32 v21, v21, v39
	global_store_b8 v21, v20, s[38:39]
.LBB91_456:                             ;   in Loop: Header=BB91_400 Depth=2
	s_or_b32 exec_lo, exec_lo, s23
	s_lshl_b64 s[52:53], s[24:25], 3
	s_delay_alu instid0(SALU_CYCLE_1) | instskip(NEXT) | instid1(VALU_DEP_1)
	v_add_co_u32 v20, s23, v73, s52
	v_add_co_ci_u32_e64 v21, s23, s53, v74, s23
	v_cmp_lt_u32_e64 s23, v70, v2
	s_delay_alu instid0(VALU_DEP_1) | instskip(NEXT) | instid1(SALU_CYCLE_1)
	s_and_saveexec_b32 s24, s23
	s_xor_b32 s23, exec_lo, s24
	s_cbranch_execz .LBB91_472
; %bb.457:                              ;   in Loop: Header=BB91_400 Depth=2
	global_load_b64 v[18:19], v[20:21], off
	s_or_b32 exec_lo, exec_lo, s23
	s_delay_alu instid0(SALU_CYCLE_1)
	s_mov_b32 s24, exec_lo
	v_cmpx_lt_u32_e64 v75, v2
	s_cbranch_execnz .LBB91_473
.LBB91_458:                             ;   in Loop: Header=BB91_400 Depth=2
	s_or_b32 exec_lo, exec_lo, s24
	s_delay_alu instid0(SALU_CYCLE_1)
	s_mov_b32 s24, exec_lo
	v_cmpx_lt_u32_e64 v76, v2
	s_cbranch_execz .LBB91_474
.LBB91_459:                             ;   in Loop: Header=BB91_400 Depth=2
	global_load_b64 v[14:15], v[20:21], off offset:512
	s_or_b32 exec_lo, exec_lo, s24
	s_delay_alu instid0(SALU_CYCLE_1)
	s_mov_b32 s24, exec_lo
	v_cmpx_lt_u32_e64 v77, v2
	s_cbranch_execnz .LBB91_475
.LBB91_460:                             ;   in Loop: Header=BB91_400 Depth=2
	s_or_b32 exec_lo, exec_lo, s24
	s_delay_alu instid0(SALU_CYCLE_1)
	s_mov_b32 s24, exec_lo
	v_cmpx_lt_u32_e64 v78, v2
	s_cbranch_execz .LBB91_476
.LBB91_461:                             ;   in Loop: Header=BB91_400 Depth=2
	global_load_b64 v[10:11], v[20:21], off offset:1024
	s_or_b32 exec_lo, exec_lo, s24
	s_delay_alu instid0(SALU_CYCLE_1)
	s_mov_b32 s24, exec_lo
	v_cmpx_lt_u32_e64 v79, v2
	s_cbranch_execnz .LBB91_477
.LBB91_462:                             ;   in Loop: Header=BB91_400 Depth=2
	s_or_b32 exec_lo, exec_lo, s24
	s_delay_alu instid0(SALU_CYCLE_1)
	s_mov_b32 s24, exec_lo
	v_cmpx_lt_u32_e64 v80, v2
	s_cbranch_execz .LBB91_478
.LBB91_463:                             ;   in Loop: Header=BB91_400 Depth=2
	global_load_b64 v[6:7], v[20:21], off offset:1536
	s_or_b32 exec_lo, exec_lo, s24
	s_delay_alu instid0(SALU_CYCLE_1)
	s_mov_b32 s24, exec_lo
	v_cmpx_lt_u32_e64 v81, v2
	s_cbranch_execnz .LBB91_479
.LBB91_464:                             ;   in Loop: Header=BB91_400 Depth=2
	s_or_b32 exec_lo, exec_lo, s24
	s_and_saveexec_b32 s23, s21
	s_cbranch_execz .LBB91_480
.LBB91_465:                             ;   in Loop: Header=BB91_400 Depth=2
	ds_load_u8 v2, v1 offset:1024
	s_waitcnt lgkmcnt(0)
	v_lshrrev_b32_e32 v2, s49, v2
	s_delay_alu instid0(VALU_DEP_1)
	v_and_b32_e32 v92, s31, v2
	s_or_b32 exec_lo, exec_lo, s23
	s_and_saveexec_b32 s23, s22
	s_cbranch_execnz .LBB91_481
.LBB91_466:                             ;   in Loop: Header=BB91_400 Depth=2
	s_or_b32 exec_lo, exec_lo, s23
	s_and_saveexec_b32 s23, s20
	s_cbranch_execz .LBB91_482
.LBB91_467:                             ;   in Loop: Header=BB91_400 Depth=2
	ds_load_u8 v2, v35 offset:512
	s_waitcnt lgkmcnt(0)
	v_lshrrev_b32_e32 v2, s49, v2
	s_delay_alu instid0(VALU_DEP_1)
	v_and_b32_e32 v90, s31, v2
	s_or_b32 exec_lo, exec_lo, s23
	s_and_saveexec_b32 s23, s19
	s_cbranch_execnz .LBB91_483
.LBB91_468:                             ;   in Loop: Header=BB91_400 Depth=2
	s_or_b32 exec_lo, exec_lo, s23
	s_and_saveexec_b32 s23, s18
	s_cbranch_execz .LBB91_484
.LBB91_469:                             ;   in Loop: Header=BB91_400 Depth=2
	ds_load_u8 v2, v35 offset:1024
	s_waitcnt lgkmcnt(0)
	v_lshrrev_b32_e32 v2, s49, v2
	s_delay_alu instid0(VALU_DEP_1)
	v_and_b32_e32 v88, s31, v2
	s_or_b32 exec_lo, exec_lo, s23
	s_and_saveexec_b32 s23, s17
	s_cbranch_execnz .LBB91_485
.LBB91_470:                             ;   in Loop: Header=BB91_400 Depth=2
	s_or_b32 exec_lo, exec_lo, s23
	s_and_saveexec_b32 s23, s16
	s_cbranch_execz .LBB91_486
.LBB91_471:                             ;   in Loop: Header=BB91_400 Depth=2
	ds_load_u8 v2, v35 offset:1536
	s_waitcnt lgkmcnt(0)
	v_lshrrev_b32_e32 v2, s49, v2
	s_delay_alu instid0(VALU_DEP_1)
	v_and_b32_e32 v86, s31, v2
	s_or_b32 exec_lo, exec_lo, s23
	s_and_saveexec_b32 s23, vcc_lo
	s_cbranch_execnz .LBB91_487
	s_branch .LBB91_488
.LBB91_472:                             ;   in Loop: Header=BB91_400 Depth=2
	s_or_b32 exec_lo, exec_lo, s23
	s_delay_alu instid0(SALU_CYCLE_1)
	s_mov_b32 s24, exec_lo
	v_cmpx_lt_u32_e64 v75, v2
	s_cbranch_execz .LBB91_458
.LBB91_473:                             ;   in Loop: Header=BB91_400 Depth=2
	global_load_b64 v[16:17], v[20:21], off offset:256
	s_or_b32 exec_lo, exec_lo, s24
	s_delay_alu instid0(SALU_CYCLE_1)
	s_mov_b32 s24, exec_lo
	v_cmpx_lt_u32_e64 v76, v2
	s_cbranch_execnz .LBB91_459
.LBB91_474:                             ;   in Loop: Header=BB91_400 Depth=2
	s_or_b32 exec_lo, exec_lo, s24
	s_delay_alu instid0(SALU_CYCLE_1)
	s_mov_b32 s24, exec_lo
	v_cmpx_lt_u32_e64 v77, v2
	s_cbranch_execz .LBB91_460
.LBB91_475:                             ;   in Loop: Header=BB91_400 Depth=2
	global_load_b64 v[12:13], v[20:21], off offset:768
	s_or_b32 exec_lo, exec_lo, s24
	s_delay_alu instid0(SALU_CYCLE_1)
	s_mov_b32 s24, exec_lo
	v_cmpx_lt_u32_e64 v78, v2
	s_cbranch_execnz .LBB91_461
.LBB91_476:                             ;   in Loop: Header=BB91_400 Depth=2
	s_or_b32 exec_lo, exec_lo, s24
	s_delay_alu instid0(SALU_CYCLE_1)
	s_mov_b32 s24, exec_lo
	v_cmpx_lt_u32_e64 v79, v2
	s_cbranch_execz .LBB91_462
.LBB91_477:                             ;   in Loop: Header=BB91_400 Depth=2
	global_load_b64 v[8:9], v[20:21], off offset:1280
	s_or_b32 exec_lo, exec_lo, s24
	s_delay_alu instid0(SALU_CYCLE_1)
	s_mov_b32 s24, exec_lo
	v_cmpx_lt_u32_e64 v80, v2
	s_cbranch_execnz .LBB91_463
.LBB91_478:                             ;   in Loop: Header=BB91_400 Depth=2
	s_or_b32 exec_lo, exec_lo, s24
	s_delay_alu instid0(SALU_CYCLE_1)
	s_mov_b32 s24, exec_lo
	v_cmpx_lt_u32_e64 v81, v2
	s_cbranch_execz .LBB91_464
.LBB91_479:                             ;   in Loop: Header=BB91_400 Depth=2
	global_load_b64 v[4:5], v[20:21], off offset:1792
	s_or_b32 exec_lo, exec_lo, s24
	s_and_saveexec_b32 s23, s21
	s_cbranch_execnz .LBB91_465
.LBB91_480:                             ;   in Loop: Header=BB91_400 Depth=2
	s_or_b32 exec_lo, exec_lo, s23
	s_and_saveexec_b32 s23, s22
	s_cbranch_execz .LBB91_466
.LBB91_481:                             ;   in Loop: Header=BB91_400 Depth=2
	ds_load_u8 v2, v35 offset:256
	s_waitcnt lgkmcnt(0)
	v_lshrrev_b32_e32 v2, s49, v2
	s_delay_alu instid0(VALU_DEP_1)
	v_and_b32_e32 v91, s31, v2
	s_or_b32 exec_lo, exec_lo, s23
	s_and_saveexec_b32 s23, s20
	s_cbranch_execnz .LBB91_467
.LBB91_482:                             ;   in Loop: Header=BB91_400 Depth=2
	s_or_b32 exec_lo, exec_lo, s23
	s_and_saveexec_b32 s23, s19
	s_cbranch_execz .LBB91_468
.LBB91_483:                             ;   in Loop: Header=BB91_400 Depth=2
	ds_load_u8 v2, v35 offset:768
	s_waitcnt lgkmcnt(0)
	v_lshrrev_b32_e32 v2, s49, v2
	s_delay_alu instid0(VALU_DEP_1)
	v_and_b32_e32 v89, s31, v2
	s_or_b32 exec_lo, exec_lo, s23
	s_and_saveexec_b32 s23, s18
	s_cbranch_execnz .LBB91_469
.LBB91_484:                             ;   in Loop: Header=BB91_400 Depth=2
	s_or_b32 exec_lo, exec_lo, s23
	s_and_saveexec_b32 s23, s17
	s_cbranch_execz .LBB91_470
.LBB91_485:                             ;   in Loop: Header=BB91_400 Depth=2
	ds_load_u8 v2, v35 offset:1280
	s_waitcnt lgkmcnt(0)
	v_lshrrev_b32_e32 v2, s49, v2
	s_delay_alu instid0(VALU_DEP_1)
	v_and_b32_e32 v87, s31, v2
	s_or_b32 exec_lo, exec_lo, s23
	s_and_saveexec_b32 s23, s16
	s_cbranch_execnz .LBB91_471
.LBB91_486:                             ;   in Loop: Header=BB91_400 Depth=2
	s_or_b32 exec_lo, exec_lo, s23
	s_and_saveexec_b32 s23, vcc_lo
	s_cbranch_execz .LBB91_488
.LBB91_487:                             ;   in Loop: Header=BB91_400 Depth=2
	ds_load_u8 v2, v35 offset:1792
	s_waitcnt lgkmcnt(0)
	v_lshrrev_b32_e32 v2, s49, v2
	s_delay_alu instid0(VALU_DEP_1)
	v_and_b32_e32 v85, s31, v2
.LBB91_488:                             ;   in Loop: Header=BB91_400 Depth=2
	s_or_b32 exec_lo, exec_lo, s23
	v_lshlrev_b32_e32 v2, 3, v100
	v_lshlrev_b32_e32 v20, 3, v96
	;; [unrolled: 1-line block ×3, first 2 shown]
	s_waitcnt vmcnt(0)
	s_waitcnt_vscnt null, 0x0
	s_barrier
	buffer_gl0_inv
	ds_store_b64 v2, v[18:19] offset:1024
	ds_store_b64 v20, v[16:17] offset:1024
	ds_store_b64 v21, v[14:15] offset:1024
	v_lshlrev_b32_e32 v2, 3, v27
	v_lshlrev_b32_e32 v20, 3, v26
	;; [unrolled: 1-line block ×5, first 2 shown]
	ds_store_b64 v2, v[12:13] offset:1024
	ds_store_b64 v20, v[10:11] offset:1024
	;; [unrolled: 1-line block ×5, first 2 shown]
	s_waitcnt lgkmcnt(0)
	s_barrier
	buffer_gl0_inv
	s_and_saveexec_b32 s23, s21
	s_cbranch_execz .LBB91_496
; %bb.489:                              ;   in Loop: Header=BB91_400 Depth=2
	v_lshlrev_b32_e32 v2, 2, v92
	v_add_nc_u32_e32 v20, v1, v52
	ds_load_b32 v2, v2
	ds_load_b64 v[20:21], v20 offset:1024
	s_waitcnt lgkmcnt(1)
	v_add_nc_u32_e32 v2, v2, v1
	s_delay_alu instid0(VALU_DEP_1) | instskip(NEXT) | instid1(VALU_DEP_1)
	v_lshlrev_b64 v[23:24], 3, v[2:3]
	v_add_co_u32 v23, s21, s44, v23
	s_delay_alu instid0(VALU_DEP_1)
	v_add_co_ci_u32_e64 v24, s21, s45, v24, s21
	s_waitcnt lgkmcnt(0)
	global_store_b64 v[23:24], v[20:21], off
	s_or_b32 exec_lo, exec_lo, s23
	s_and_saveexec_b32 s23, s22
	s_cbranch_execnz .LBB91_497
.LBB91_490:                             ;   in Loop: Header=BB91_400 Depth=2
	s_or_b32 exec_lo, exec_lo, s23
	s_and_saveexec_b32 s21, s20
	s_cbranch_execz .LBB91_498
.LBB91_491:                             ;   in Loop: Header=BB91_400 Depth=2
	v_lshlrev_b32_e32 v2, 2, v90
	v_add_nc_u32_e32 v20, v35, v52
	ds_load_b32 v2, v2
	ds_load_b64 v[20:21], v20 offset:4096
	s_waitcnt lgkmcnt(1)
	v_add_nc_u32_e32 v2, v2, v30
	s_delay_alu instid0(VALU_DEP_1) | instskip(NEXT) | instid1(VALU_DEP_1)
	v_lshlrev_b64 v[23:24], 3, v[2:3]
	v_add_co_u32 v23, s20, s44, v23
	s_delay_alu instid0(VALU_DEP_1)
	v_add_co_ci_u32_e64 v24, s20, s45, v24, s20
	s_waitcnt lgkmcnt(0)
	global_store_b64 v[23:24], v[20:21], off
	s_or_b32 exec_lo, exec_lo, s21
	s_and_saveexec_b32 s20, s19
	s_cbranch_execnz .LBB91_499
.LBB91_492:                             ;   in Loop: Header=BB91_400 Depth=2
	s_or_b32 exec_lo, exec_lo, s20
	s_and_saveexec_b32 s19, s18
	s_cbranch_execz .LBB91_500
.LBB91_493:                             ;   in Loop: Header=BB91_400 Depth=2
	v_lshlrev_b32_e32 v2, 2, v88
	v_add_nc_u32_e32 v20, v35, v52
	ds_load_b32 v2, v2
	ds_load_b64 v[20:21], v20 offset:8192
	s_waitcnt lgkmcnt(1)
	v_add_nc_u32_e32 v2, v2, v35
	s_delay_alu instid0(VALU_DEP_1) | instskip(NEXT) | instid1(VALU_DEP_1)
	v_lshlrev_b64 v[23:24], 3, v[2:3]
	v_add_co_u32 v23, s18, s44, v23
	s_delay_alu instid0(VALU_DEP_1)
	v_add_co_ci_u32_e64 v24, s18, s45, v24, s18
	s_waitcnt lgkmcnt(0)
	global_store_b64 v[23:24], v[20:21], off
	s_or_b32 exec_lo, exec_lo, s19
	s_and_saveexec_b32 s18, s17
	s_cbranch_execnz .LBB91_501
.LBB91_494:                             ;   in Loop: Header=BB91_400 Depth=2
	s_or_b32 exec_lo, exec_lo, s18
	s_and_saveexec_b32 s17, s16
	s_cbranch_execz .LBB91_502
.LBB91_495:                             ;   in Loop: Header=BB91_400 Depth=2
	v_lshlrev_b32_e32 v2, 2, v86
	v_add_nc_u32_e32 v20, v35, v52
	ds_load_b32 v2, v2
	ds_load_b64 v[20:21], v20 offset:12288
	s_waitcnt lgkmcnt(1)
	v_add_nc_u32_e32 v2, v2, v37
	s_delay_alu instid0(VALU_DEP_1) | instskip(NEXT) | instid1(VALU_DEP_1)
	v_lshlrev_b64 v[23:24], 3, v[2:3]
	v_add_co_u32 v23, s16, s44, v23
	s_delay_alu instid0(VALU_DEP_1)
	v_add_co_ci_u32_e64 v24, s16, s45, v24, s16
	s_waitcnt lgkmcnt(0)
	global_store_b64 v[23:24], v[20:21], off
	s_or_b32 exec_lo, exec_lo, s17
	s_and_saveexec_b32 s16, vcc_lo
	s_cbranch_execnz .LBB91_503
	s_branch .LBB91_504
.LBB91_496:                             ;   in Loop: Header=BB91_400 Depth=2
	s_or_b32 exec_lo, exec_lo, s23
	s_and_saveexec_b32 s23, s22
	s_cbranch_execz .LBB91_490
.LBB91_497:                             ;   in Loop: Header=BB91_400 Depth=2
	v_lshlrev_b32_e32 v2, 2, v91
	v_add_nc_u32_e32 v20, v35, v52
	ds_load_b32 v2, v2
	ds_load_b64 v[20:21], v20 offset:2048
	s_waitcnt lgkmcnt(1)
	v_add_nc_u32_e32 v2, v2, v29
	s_delay_alu instid0(VALU_DEP_1) | instskip(NEXT) | instid1(VALU_DEP_1)
	v_lshlrev_b64 v[23:24], 3, v[2:3]
	v_add_co_u32 v23, s21, s44, v23
	s_delay_alu instid0(VALU_DEP_1)
	v_add_co_ci_u32_e64 v24, s21, s45, v24, s21
	s_waitcnt lgkmcnt(0)
	global_store_b64 v[23:24], v[20:21], off
	s_or_b32 exec_lo, exec_lo, s23
	s_and_saveexec_b32 s21, s20
	s_cbranch_execnz .LBB91_491
.LBB91_498:                             ;   in Loop: Header=BB91_400 Depth=2
	s_or_b32 exec_lo, exec_lo, s21
	s_and_saveexec_b32 s20, s19
	s_cbranch_execz .LBB91_492
.LBB91_499:                             ;   in Loop: Header=BB91_400 Depth=2
	v_lshlrev_b32_e32 v2, 2, v89
	v_add_nc_u32_e32 v20, v35, v52
	ds_load_b32 v2, v2
	ds_load_b64 v[20:21], v20 offset:6144
	s_waitcnt lgkmcnt(1)
	v_add_nc_u32_e32 v2, v2, v31
	s_delay_alu instid0(VALU_DEP_1) | instskip(NEXT) | instid1(VALU_DEP_1)
	v_lshlrev_b64 v[23:24], 3, v[2:3]
	v_add_co_u32 v23, s19, s44, v23
	s_delay_alu instid0(VALU_DEP_1)
	v_add_co_ci_u32_e64 v24, s19, s45, v24, s19
	s_waitcnt lgkmcnt(0)
	global_store_b64 v[23:24], v[20:21], off
	s_or_b32 exec_lo, exec_lo, s20
	s_and_saveexec_b32 s19, s18
	s_cbranch_execnz .LBB91_493
.LBB91_500:                             ;   in Loop: Header=BB91_400 Depth=2
	s_or_b32 exec_lo, exec_lo, s19
	s_and_saveexec_b32 s18, s17
	s_cbranch_execz .LBB91_494
.LBB91_501:                             ;   in Loop: Header=BB91_400 Depth=2
	v_lshlrev_b32_e32 v2, 2, v87
	v_add_nc_u32_e32 v20, v35, v52
	ds_load_b32 v2, v2
	ds_load_b64 v[20:21], v20 offset:10240
	s_waitcnt lgkmcnt(1)
	v_add_nc_u32_e32 v2, v2, v36
	s_delay_alu instid0(VALU_DEP_1) | instskip(NEXT) | instid1(VALU_DEP_1)
	v_lshlrev_b64 v[23:24], 3, v[2:3]
	v_add_co_u32 v23, s17, s44, v23
	s_delay_alu instid0(VALU_DEP_1)
	v_add_co_ci_u32_e64 v24, s17, s45, v24, s17
	s_waitcnt lgkmcnt(0)
	global_store_b64 v[23:24], v[20:21], off
	s_or_b32 exec_lo, exec_lo, s18
	s_and_saveexec_b32 s17, s16
	s_cbranch_execnz .LBB91_495
.LBB91_502:                             ;   in Loop: Header=BB91_400 Depth=2
	s_or_b32 exec_lo, exec_lo, s17
	s_and_saveexec_b32 s16, vcc_lo
	s_cbranch_execz .LBB91_504
.LBB91_503:                             ;   in Loop: Header=BB91_400 Depth=2
	v_lshlrev_b32_e32 v2, 2, v85
	v_add_nc_u32_e32 v20, v35, v52
	ds_load_b32 v2, v2
	ds_load_b64 v[20:21], v20 offset:14336
	s_waitcnt lgkmcnt(1)
	v_add_nc_u32_e32 v2, v2, v39
	s_delay_alu instid0(VALU_DEP_1) | instskip(NEXT) | instid1(VALU_DEP_1)
	v_lshlrev_b64 v[23:24], 3, v[2:3]
	v_add_co_u32 v23, vcc_lo, s44, v23
	s_delay_alu instid0(VALU_DEP_2)
	v_add_co_ci_u32_e32 v24, vcc_lo, s45, v24, vcc_lo
	s_waitcnt lgkmcnt(0)
	global_store_b64 v[23:24], v[20:21], off
.LBB91_504:                             ;   in Loop: Header=BB91_400 Depth=2
	s_or_b32 exec_lo, exec_lo, s16
	s_waitcnt_vscnt null, 0x0
	s_barrier
	buffer_gl0_inv
	s_and_saveexec_b32 s16, s2
	s_cbranch_execz .LBB91_399
; %bb.505:                              ;   in Loop: Header=BB91_400 Depth=2
	ds_load_b32 v2, v28
	s_waitcnt lgkmcnt(0)
	v_add_nc_u32_e32 v2, v2, v22
	ds_store_b32 v28, v2
	s_branch .LBB91_399
.LBB91_506:                             ;   in Loop: Header=BB91_400 Depth=2
	s_or_b32 exec_lo, exec_lo, s16
	s_delay_alu instid0(SALU_CYCLE_1)
	s_mov_b32 s16, exec_lo
	v_cmpx_gt_u32_e64 s42, v75
	s_cbranch_execz .LBB91_405
.LBB91_507:                             ;   in Loop: Header=BB91_400 Depth=2
	global_load_u8 v2, v[22:23], off offset:32
	s_waitcnt vmcnt(0)
	v_perm_b32 v20, v20, v2, 0x7060004
	s_or_b32 exec_lo, exec_lo, s16
	s_delay_alu instid0(SALU_CYCLE_1)
	s_mov_b32 s16, exec_lo
	v_cmpx_gt_u32_e64 s42, v76
	s_cbranch_execnz .LBB91_406
.LBB91_508:                             ;   in Loop: Header=BB91_400 Depth=2
	s_or_b32 exec_lo, exec_lo, s16
	s_delay_alu instid0(SALU_CYCLE_1)
	s_mov_b32 s16, exec_lo
	v_cmpx_gt_u32_e64 s42, v77
	s_cbranch_execz .LBB91_407
.LBB91_509:                             ;   in Loop: Header=BB91_400 Depth=2
	global_load_u8 v2, v[22:23], off offset:96
	v_lshrrev_b32_e32 v24, 16, v20
	s_delay_alu instid0(VALU_DEP_1) | instskip(SKIP_2) | instid1(VALU_DEP_1)
	v_and_b32_e32 v24, 0xff, v24
	s_waitcnt vmcnt(0)
	v_lshlrev_b16 v2, 8, v2
	v_or_b32_e32 v2, v24, v2
	s_delay_alu instid0(VALU_DEP_1) | instskip(NEXT) | instid1(VALU_DEP_1)
	v_lshlrev_b32_e32 v2, 16, v2
	v_and_or_b32 v20, 0xffff, v20, v2
	s_or_b32 exec_lo, exec_lo, s16
	s_delay_alu instid0(SALU_CYCLE_1)
	s_mov_b32 s16, exec_lo
	v_cmpx_gt_u32_e64 s42, v78
	s_cbranch_execnz .LBB91_408
.LBB91_510:                             ;   in Loop: Header=BB91_400 Depth=2
	s_or_b32 exec_lo, exec_lo, s16
	s_delay_alu instid0(SALU_CYCLE_1)
	s_mov_b32 s16, exec_lo
	v_cmpx_gt_u32_e64 s42, v79
	s_cbranch_execz .LBB91_409
.LBB91_511:                             ;   in Loop: Header=BB91_400 Depth=2
	global_load_u8 v2, v[22:23], off offset:160
	s_waitcnt vmcnt(0)
	v_perm_b32 v21, v21, v2, 0x7060004
	s_or_b32 exec_lo, exec_lo, s16
	s_delay_alu instid0(SALU_CYCLE_1)
	s_mov_b32 s16, exec_lo
	v_cmpx_gt_u32_e64 s42, v80
	s_cbranch_execnz .LBB91_410
	s_branch .LBB91_411
.LBB91_512:                             ;   in Loop: Header=BB91_12 Depth=1
	s_waitcnt lgkmcnt(0)
	s_mov_b32 s0, 0
	s_barrier
.LBB91_513:                             ;   in Loop: Header=BB91_12 Depth=1
	s_and_b32 vcc_lo, exec_lo, s0
	s_cbranch_vccz .LBB91_11
; %bb.514:                              ;   in Loop: Header=BB91_12 Depth=1
	s_mov_b32 s0, s35
	s_mov_b32 s9, s27
	s_barrier
	buffer_gl0_inv
                                        ; implicit-def: $vgpr2
                                        ; implicit-def: $vgpr6
                                        ; implicit-def: $vgpr7
                                        ; implicit-def: $vgpr8
                                        ; implicit-def: $vgpr9
                                        ; implicit-def: $vgpr10
                                        ; implicit-def: $vgpr11
                                        ; implicit-def: $vgpr12
	s_branch .LBB91_516
.LBB91_515:                             ;   in Loop: Header=BB91_516 Depth=2
	s_or_b32 exec_lo, exec_lo, s8
	s_addk_i32 s0, 0xf800
	s_cmp_ge_u32 s1, s33
	s_mov_b32 s9, s1
	s_cbranch_scc1 .LBB91_554
.LBB91_516:                             ;   Parent Loop BB91_12 Depth=1
                                        ; =>  This Inner Loop Header: Depth=2
	s_add_i32 s1, s9, 0x800
	s_delay_alu instid0(SALU_CYCLE_1)
	s_cmp_gt_u32 s1, s33
	s_cbranch_scc1 .LBB91_519
; %bb.517:                              ;   in Loop: Header=BB91_516 Depth=2
	v_add_co_u32 v4, vcc_lo, v59, s9
	v_add_co_ci_u32_e32 v5, vcc_lo, 0, v60, vcc_lo
	s_mov_b32 s8, -1
	s_movk_i32 s12, 0x800
	s_clause 0x6
	global_load_u8 v20, v[4:5], off offset:1536
	global_load_u8 v19, v[4:5], off offset:1280
	;; [unrolled: 1-line block ×6, first 2 shown]
	global_load_u8 v14, v[4:5], off
	v_add_co_u32 v4, vcc_lo, 0x700, v4
	v_add_co_ci_u32_e32 v5, vcc_lo, 0, v5, vcc_lo
	s_cbranch_execz .LBB91_520
; %bb.518:                              ;   in Loop: Header=BB91_516 Depth=2
                                        ; implicit-def: $vgpr2
                                        ; implicit-def: $vgpr6
                                        ; implicit-def: $vgpr7
                                        ; implicit-def: $vgpr8
                                        ; implicit-def: $vgpr9
                                        ; implicit-def: $vgpr10
                                        ; implicit-def: $vgpr11
                                        ; implicit-def: $vgpr12
	v_mov_b32_e32 v13, s0
	s_and_saveexec_b32 s9, s8
	s_cbranch_execnz .LBB91_531
	s_branch .LBB91_532
.LBB91_519:                             ;   in Loop: Header=BB91_516 Depth=2
	s_mov_b32 s8, 0
                                        ; implicit-def: $sgpr12
                                        ; implicit-def: $vgpr14
                                        ; implicit-def: $vgpr15
                                        ; implicit-def: $vgpr16
                                        ; implicit-def: $vgpr17
                                        ; implicit-def: $vgpr18
                                        ; implicit-def: $vgpr19
                                        ; implicit-def: $vgpr20
                                        ; implicit-def: $vgpr4_vgpr5
.LBB91_520:                             ;   in Loop: Header=BB91_516 Depth=2
	s_add_u32 s10, s36, s9
	s_addc_u32 s11, s37, 0
	s_mov_b32 s12, exec_lo
	v_cmpx_gt_u32_e64 s0, v1
	s_cbranch_execz .LBB91_548
; %bb.521:                              ;   in Loop: Header=BB91_516 Depth=2
	v_add_co_u32 v4, s13, s10, v1
	s_delay_alu instid0(VALU_DEP_1) | instskip(SKIP_2) | instid1(SALU_CYCLE_1)
	v_add_co_ci_u32_e64 v5, null, s11, 0, s13
	global_load_u8 v2, v[4:5], off
	s_or_b32 exec_lo, exec_lo, s12
	s_mov_b32 s12, exec_lo
	v_cmpx_gt_u32_e64 s0, v29
	s_cbranch_execnz .LBB91_549
.LBB91_522:                             ;   in Loop: Header=BB91_516 Depth=2
	s_or_b32 exec_lo, exec_lo, s12
	s_delay_alu instid0(SALU_CYCLE_1)
	s_mov_b32 s12, exec_lo
	v_cmpx_gt_u32_e64 s0, v30
	s_cbranch_execz .LBB91_550
.LBB91_523:                             ;   in Loop: Header=BB91_516 Depth=2
	v_add_co_u32 v4, s13, s10, v1
	s_delay_alu instid0(VALU_DEP_1) | instskip(SKIP_2) | instid1(SALU_CYCLE_1)
	v_add_co_ci_u32_e64 v5, null, s11, 0, s13
	global_load_u8 v7, v[4:5], off offset:512
	s_or_b32 exec_lo, exec_lo, s12
	s_mov_b32 s12, exec_lo
	v_cmpx_gt_u32_e64 s0, v31
	s_cbranch_execnz .LBB91_551
.LBB91_524:                             ;   in Loop: Header=BB91_516 Depth=2
	s_or_b32 exec_lo, exec_lo, s12
	s_delay_alu instid0(SALU_CYCLE_1)
	s_mov_b32 s12, exec_lo
	v_cmpx_gt_u32_e64 s0, v35
	s_cbranch_execz .LBB91_552
.LBB91_525:                             ;   in Loop: Header=BB91_516 Depth=2
	v_add_co_u32 v4, s13, s10, v1
	s_delay_alu instid0(VALU_DEP_1) | instskip(SKIP_2) | instid1(SALU_CYCLE_1)
	v_add_co_ci_u32_e64 v5, null, s11, 0, s13
	global_load_u8 v9, v[4:5], off offset:1024
	s_or_b32 exec_lo, exec_lo, s12
	s_mov_b32 s12, exec_lo
	v_cmpx_gt_u32_e64 s0, v36
	s_cbranch_execnz .LBB91_553
.LBB91_526:                             ;   in Loop: Header=BB91_516 Depth=2
	s_or_b32 exec_lo, exec_lo, s12
	s_delay_alu instid0(SALU_CYCLE_1)
	s_mov_b32 s12, exec_lo
	v_cmpx_gt_u32_e64 s0, v37
	s_cbranch_execz .LBB91_528
.LBB91_527:                             ;   in Loop: Header=BB91_516 Depth=2
	v_add_co_u32 v4, s13, s10, v1
	s_delay_alu instid0(VALU_DEP_1)
	v_add_co_ci_u32_e64 v5, null, s11, 0, s13
	global_load_u8 v11, v[4:5], off offset:1536
.LBB91_528:                             ;   in Loop: Header=BB91_516 Depth=2
	s_or_b32 exec_lo, exec_lo, s12
	s_delay_alu instid0(SALU_CYCLE_1)
	s_mov_b32 s13, exec_lo
                                        ; implicit-def: $sgpr12
                                        ; implicit-def: $vgpr4_vgpr5
	v_cmpx_gt_u32_e64 s0, v39
; %bb.529:                              ;   in Loop: Header=BB91_516 Depth=2
	v_add_co_u32 v4, s10, s10, v1
	s_delay_alu instid0(VALU_DEP_1) | instskip(SKIP_1) | instid1(VALU_DEP_2)
	v_add_co_ci_u32_e64 v5, null, s11, 0, s10
	s_sub_i32 s12, s33, s9
	v_add_co_u32 v4, vcc_lo, 0x700, v4
	s_delay_alu instid0(VALU_DEP_2)
	v_add_co_ci_u32_e32 v5, vcc_lo, 0, v5, vcc_lo
	s_or_b32 s8, s8, exec_lo
                                        ; implicit-def: $vgpr12
; %bb.530:                              ;   in Loop: Header=BB91_516 Depth=2
	s_or_b32 exec_lo, exec_lo, s13
	s_waitcnt vmcnt(0)
	v_dual_mov_b32 v14, v2 :: v_dual_mov_b32 v17, v8
	v_dual_mov_b32 v15, v6 :: v_dual_mov_b32 v16, v7
	;; [unrolled: 1-line block ×4, first 2 shown]
	s_and_saveexec_b32 s9, s8
	s_cbranch_execz .LBB91_532
.LBB91_531:                             ;   in Loop: Header=BB91_516 Depth=2
	global_load_u8 v12, v[4:5], off
	s_waitcnt vmcnt(1)
	v_dual_mov_b32 v13, s12 :: v_dual_mov_b32 v2, v14
	v_dual_mov_b32 v6, v15 :: v_dual_mov_b32 v7, v16
	;; [unrolled: 1-line block ×4, first 2 shown]
.LBB91_532:                             ;   in Loop: Header=BB91_516 Depth=2
	s_or_b32 exec_lo, exec_lo, s9
	v_lshlrev_b32_e32 v4, 2, v32
	s_mov_b32 s8, exec_lo
	v_cmpx_lt_u32_e64 v1, v13
	s_cbranch_execz .LBB91_540
; %bb.533:                              ;   in Loop: Header=BB91_516 Depth=2
	v_xor_b32_e32 v5, -1, v2
	s_delay_alu instid0(VALU_DEP_1) | instskip(NEXT) | instid1(VALU_DEP_1)
	v_and_b32_e32 v5, 0xff, v5
	v_lshrrev_b32_e32 v5, s49, v5
	s_delay_alu instid0(VALU_DEP_1) | instskip(NEXT) | instid1(VALU_DEP_1)
	v_and_b32_e32 v5, s31, v5
	v_lshl_or_b32 v5, v5, 4, v4
	ds_add_u32 v5, v66
	s_or_b32 exec_lo, exec_lo, s8
	s_delay_alu instid0(SALU_CYCLE_1)
	s_mov_b32 s8, exec_lo
	v_cmpx_lt_u32_e64 v29, v13
	s_cbranch_execnz .LBB91_541
.LBB91_534:                             ;   in Loop: Header=BB91_516 Depth=2
	s_or_b32 exec_lo, exec_lo, s8
	s_delay_alu instid0(SALU_CYCLE_1)
	s_mov_b32 s8, exec_lo
	v_cmpx_lt_u32_e64 v30, v13
	s_cbranch_execz .LBB91_542
.LBB91_535:                             ;   in Loop: Header=BB91_516 Depth=2
	v_xor_b32_e32 v5, -1, v7
	s_delay_alu instid0(VALU_DEP_1) | instskip(NEXT) | instid1(VALU_DEP_1)
	v_and_b32_e32 v5, 0xff, v5
	v_lshrrev_b32_e32 v5, s49, v5
	s_delay_alu instid0(VALU_DEP_1) | instskip(NEXT) | instid1(VALU_DEP_1)
	v_and_b32_e32 v5, s31, v5
	v_lshl_or_b32 v5, v5, 4, v4
	ds_add_u32 v5, v66
	s_or_b32 exec_lo, exec_lo, s8
	s_delay_alu instid0(SALU_CYCLE_1)
	s_mov_b32 s8, exec_lo
	v_cmpx_lt_u32_e64 v31, v13
	s_cbranch_execnz .LBB91_543
.LBB91_536:                             ;   in Loop: Header=BB91_516 Depth=2
	s_or_b32 exec_lo, exec_lo, s8
	s_delay_alu instid0(SALU_CYCLE_1)
	s_mov_b32 s8, exec_lo
	v_cmpx_lt_u32_e64 v35, v13
	s_cbranch_execz .LBB91_544
.LBB91_537:                             ;   in Loop: Header=BB91_516 Depth=2
	v_xor_b32_e32 v5, -1, v9
	s_delay_alu instid0(VALU_DEP_1) | instskip(NEXT) | instid1(VALU_DEP_1)
	v_and_b32_e32 v5, 0xff, v5
	v_lshrrev_b32_e32 v5, s49, v5
	s_delay_alu instid0(VALU_DEP_1) | instskip(NEXT) | instid1(VALU_DEP_1)
	v_and_b32_e32 v5, s31, v5
	v_lshl_or_b32 v5, v5, 4, v4
	ds_add_u32 v5, v66
	s_or_b32 exec_lo, exec_lo, s8
	s_delay_alu instid0(SALU_CYCLE_1)
	s_mov_b32 s8, exec_lo
	v_cmpx_lt_u32_e64 v36, v13
	s_cbranch_execnz .LBB91_545
.LBB91_538:                             ;   in Loop: Header=BB91_516 Depth=2
	s_or_b32 exec_lo, exec_lo, s8
	s_delay_alu instid0(SALU_CYCLE_1)
	s_mov_b32 s8, exec_lo
	v_cmpx_lt_u32_e64 v37, v13
	s_cbranch_execz .LBB91_546
.LBB91_539:                             ;   in Loop: Header=BB91_516 Depth=2
	v_xor_b32_e32 v5, -1, v11
	s_delay_alu instid0(VALU_DEP_1) | instskip(NEXT) | instid1(VALU_DEP_1)
	v_and_b32_e32 v5, 0xff, v5
	v_lshrrev_b32_e32 v5, s49, v5
	s_delay_alu instid0(VALU_DEP_1) | instskip(NEXT) | instid1(VALU_DEP_1)
	v_and_b32_e32 v5, s31, v5
	v_lshl_or_b32 v5, v5, 4, v4
	ds_add_u32 v5, v66
	s_or_b32 exec_lo, exec_lo, s8
	s_delay_alu instid0(SALU_CYCLE_1)
	s_mov_b32 s8, exec_lo
	v_cmpx_lt_u32_e64 v39, v13
	s_cbranch_execz .LBB91_515
	s_branch .LBB91_547
.LBB91_540:                             ;   in Loop: Header=BB91_516 Depth=2
	s_or_b32 exec_lo, exec_lo, s8
	s_delay_alu instid0(SALU_CYCLE_1)
	s_mov_b32 s8, exec_lo
	v_cmpx_lt_u32_e64 v29, v13
	s_cbranch_execz .LBB91_534
.LBB91_541:                             ;   in Loop: Header=BB91_516 Depth=2
	v_xor_b32_e32 v5, -1, v6
	s_delay_alu instid0(VALU_DEP_1) | instskip(NEXT) | instid1(VALU_DEP_1)
	v_and_b32_e32 v5, 0xff, v5
	v_lshrrev_b32_e32 v5, s49, v5
	s_delay_alu instid0(VALU_DEP_1) | instskip(NEXT) | instid1(VALU_DEP_1)
	v_and_b32_e32 v5, s31, v5
	v_lshl_or_b32 v5, v5, 4, v4
	ds_add_u32 v5, v66
	s_or_b32 exec_lo, exec_lo, s8
	s_delay_alu instid0(SALU_CYCLE_1)
	s_mov_b32 s8, exec_lo
	v_cmpx_lt_u32_e64 v30, v13
	s_cbranch_execnz .LBB91_535
.LBB91_542:                             ;   in Loop: Header=BB91_516 Depth=2
	s_or_b32 exec_lo, exec_lo, s8
	s_delay_alu instid0(SALU_CYCLE_1)
	s_mov_b32 s8, exec_lo
	v_cmpx_lt_u32_e64 v31, v13
	s_cbranch_execz .LBB91_536
.LBB91_543:                             ;   in Loop: Header=BB91_516 Depth=2
	v_xor_b32_e32 v5, -1, v8
	s_delay_alu instid0(VALU_DEP_1) | instskip(NEXT) | instid1(VALU_DEP_1)
	v_and_b32_e32 v5, 0xff, v5
	v_lshrrev_b32_e32 v5, s49, v5
	s_delay_alu instid0(VALU_DEP_1) | instskip(NEXT) | instid1(VALU_DEP_1)
	v_and_b32_e32 v5, s31, v5
	v_lshl_or_b32 v5, v5, 4, v4
	ds_add_u32 v5, v66
	s_or_b32 exec_lo, exec_lo, s8
	s_delay_alu instid0(SALU_CYCLE_1)
	s_mov_b32 s8, exec_lo
	v_cmpx_lt_u32_e64 v35, v13
	s_cbranch_execnz .LBB91_537
.LBB91_544:                             ;   in Loop: Header=BB91_516 Depth=2
	s_or_b32 exec_lo, exec_lo, s8
	s_delay_alu instid0(SALU_CYCLE_1)
	s_mov_b32 s8, exec_lo
	v_cmpx_lt_u32_e64 v36, v13
	s_cbranch_execz .LBB91_538
.LBB91_545:                             ;   in Loop: Header=BB91_516 Depth=2
	v_xor_b32_e32 v5, -1, v10
	s_delay_alu instid0(VALU_DEP_1) | instskip(NEXT) | instid1(VALU_DEP_1)
	v_and_b32_e32 v5, 0xff, v5
	v_lshrrev_b32_e32 v5, s49, v5
	s_delay_alu instid0(VALU_DEP_1) | instskip(NEXT) | instid1(VALU_DEP_1)
	v_and_b32_e32 v5, s31, v5
	v_lshl_or_b32 v5, v5, 4, v4
	ds_add_u32 v5, v66
	s_or_b32 exec_lo, exec_lo, s8
	s_delay_alu instid0(SALU_CYCLE_1)
	s_mov_b32 s8, exec_lo
	v_cmpx_lt_u32_e64 v37, v13
	s_cbranch_execnz .LBB91_539
.LBB91_546:                             ;   in Loop: Header=BB91_516 Depth=2
	s_or_b32 exec_lo, exec_lo, s8
	s_delay_alu instid0(SALU_CYCLE_1)
	s_mov_b32 s8, exec_lo
	v_cmpx_lt_u32_e64 v39, v13
	s_cbranch_execz .LBB91_515
.LBB91_547:                             ;   in Loop: Header=BB91_516 Depth=2
	s_waitcnt vmcnt(0)
	v_xor_b32_e32 v5, -1, v12
	s_delay_alu instid0(VALU_DEP_1) | instskip(NEXT) | instid1(VALU_DEP_1)
	v_and_b32_e32 v5, 0xff, v5
	v_lshrrev_b32_e32 v5, s49, v5
	s_delay_alu instid0(VALU_DEP_1) | instskip(NEXT) | instid1(VALU_DEP_1)
	v_and_b32_e32 v5, s31, v5
	v_lshl_or_b32 v4, v5, 4, v4
	ds_add_u32 v4, v66
	s_branch .LBB91_515
.LBB91_548:                             ;   in Loop: Header=BB91_516 Depth=2
	s_or_b32 exec_lo, exec_lo, s12
	s_delay_alu instid0(SALU_CYCLE_1)
	s_mov_b32 s12, exec_lo
	v_cmpx_gt_u32_e64 s0, v29
	s_cbranch_execz .LBB91_522
.LBB91_549:                             ;   in Loop: Header=BB91_516 Depth=2
	v_add_co_u32 v4, s13, s10, v1
	s_delay_alu instid0(VALU_DEP_1) | instskip(SKIP_2) | instid1(SALU_CYCLE_1)
	v_add_co_ci_u32_e64 v5, null, s11, 0, s13
	global_load_u8 v6, v[4:5], off offset:256
	s_or_b32 exec_lo, exec_lo, s12
	s_mov_b32 s12, exec_lo
	v_cmpx_gt_u32_e64 s0, v30
	s_cbranch_execnz .LBB91_523
.LBB91_550:                             ;   in Loop: Header=BB91_516 Depth=2
	s_or_b32 exec_lo, exec_lo, s12
	s_delay_alu instid0(SALU_CYCLE_1)
	s_mov_b32 s12, exec_lo
	v_cmpx_gt_u32_e64 s0, v31
	s_cbranch_execz .LBB91_524
.LBB91_551:                             ;   in Loop: Header=BB91_516 Depth=2
	v_add_co_u32 v4, s13, s10, v1
	s_delay_alu instid0(VALU_DEP_1) | instskip(SKIP_2) | instid1(SALU_CYCLE_1)
	v_add_co_ci_u32_e64 v5, null, s11, 0, s13
	global_load_u8 v8, v[4:5], off offset:768
	s_or_b32 exec_lo, exec_lo, s12
	s_mov_b32 s12, exec_lo
	v_cmpx_gt_u32_e64 s0, v35
	s_cbranch_execnz .LBB91_525
.LBB91_552:                             ;   in Loop: Header=BB91_516 Depth=2
	s_or_b32 exec_lo, exec_lo, s12
	s_delay_alu instid0(SALU_CYCLE_1)
	s_mov_b32 s12, exec_lo
	v_cmpx_gt_u32_e64 s0, v36
	s_cbranch_execz .LBB91_526
.LBB91_553:                             ;   in Loop: Header=BB91_516 Depth=2
	v_add_co_u32 v4, s13, s10, v1
	s_delay_alu instid0(VALU_DEP_1) | instskip(SKIP_2) | instid1(SALU_CYCLE_1)
	v_add_co_ci_u32_e64 v5, null, s11, 0, s13
	global_load_u8 v10, v[4:5], off offset:1280
	s_or_b32 exec_lo, exec_lo, s12
	s_mov_b32 s12, exec_lo
	v_cmpx_gt_u32_e64 s0, v37
	s_cbranch_execz .LBB91_528
	s_branch .LBB91_527
.LBB91_554:                             ;   in Loop: Header=BB91_12 Depth=1
	v_mov_b32_e32 v2, 0
	s_waitcnt vmcnt(0) lgkmcnt(0)
	s_barrier
	buffer_gl0_inv
	s_and_saveexec_b32 s0, s2
	s_cbranch_execz .LBB91_556
; %bb.555:                              ;   in Loop: Header=BB91_12 Depth=1
	ds_load_2addr_b64 v[4:7], v40 offset1:1
	s_waitcnt lgkmcnt(0)
	v_add_nc_u32_e32 v2, v5, v4
	s_delay_alu instid0(VALU_DEP_1)
	v_add3_u32 v2, v2, v6, v7
.LBB91_556:                             ;   in Loop: Header=BB91_12 Depth=1
	s_or_b32 exec_lo, exec_lo, s0
	v_and_b32_e32 v4, 15, v63
	s_delay_alu instid0(VALU_DEP_2) | instskip(SKIP_1) | instid1(VALU_DEP_3)
	v_mov_b32_dpp v5, v2 row_shr:1 row_mask:0xf bank_mask:0xf
	v_and_b32_e32 v6, 16, v63
	v_cmp_eq_u32_e64 s0, 0, v4
	v_cmp_lt_u32_e64 s1, 1, v4
	v_cmp_lt_u32_e64 s8, 3, v4
	;; [unrolled: 1-line block ×3, first 2 shown]
	v_cmp_eq_u32_e64 s10, 0, v6
	v_cndmask_b32_e64 v5, v5, 0, s0
	s_delay_alu instid0(VALU_DEP_1) | instskip(NEXT) | instid1(VALU_DEP_1)
	v_add_nc_u32_e32 v2, v5, v2
	v_mov_b32_dpp v5, v2 row_shr:2 row_mask:0xf bank_mask:0xf
	s_delay_alu instid0(VALU_DEP_1) | instskip(NEXT) | instid1(VALU_DEP_1)
	v_cndmask_b32_e64 v5, 0, v5, s1
	v_add_nc_u32_e32 v2, v2, v5
	s_delay_alu instid0(VALU_DEP_1) | instskip(NEXT) | instid1(VALU_DEP_1)
	v_mov_b32_dpp v5, v2 row_shr:4 row_mask:0xf bank_mask:0xf
	v_cndmask_b32_e64 v5, 0, v5, s8
	s_delay_alu instid0(VALU_DEP_1) | instskip(NEXT) | instid1(VALU_DEP_1)
	v_add_nc_u32_e32 v2, v2, v5
	v_mov_b32_dpp v5, v2 row_shr:8 row_mask:0xf bank_mask:0xf
	s_delay_alu instid0(VALU_DEP_1) | instskip(SKIP_1) | instid1(VALU_DEP_2)
	v_cndmask_b32_e64 v4, 0, v5, s9
	v_bfe_i32 v5, v63, 4, 1
	v_add_nc_u32_e32 v2, v2, v4
	ds_swizzle_b32 v4, v2 offset:swizzle(BROADCAST,32,15)
	s_waitcnt lgkmcnt(0)
	v_and_b32_e32 v4, v5, v4
	s_delay_alu instid0(VALU_DEP_1)
	v_add_nc_u32_e32 v4, v2, v4
	s_and_saveexec_b32 s11, s3
	s_cbranch_execz .LBB91_558
; %bb.557:                              ;   in Loop: Header=BB91_12 Depth=1
	ds_store_b32 v41, v4
.LBB91_558:                             ;   in Loop: Header=BB91_12 Depth=1
	s_or_b32 exec_lo, exec_lo, s11
	v_and_b32_e32 v2, 7, v63
	s_waitcnt lgkmcnt(0)
	s_barrier
	buffer_gl0_inv
	s_and_saveexec_b32 s11, s4
	s_cbranch_execz .LBB91_560
; %bb.559:                              ;   in Loop: Header=BB91_12 Depth=1
	ds_load_b32 v5, v42
	v_cmp_ne_u32_e32 vcc_lo, 0, v2
	s_waitcnt lgkmcnt(0)
	v_mov_b32_dpp v6, v5 row_shr:1 row_mask:0xf bank_mask:0xf
	s_delay_alu instid0(VALU_DEP_1) | instskip(SKIP_1) | instid1(VALU_DEP_2)
	v_cndmask_b32_e32 v6, 0, v6, vcc_lo
	v_cmp_lt_u32_e32 vcc_lo, 1, v2
	v_add_nc_u32_e32 v5, v6, v5
	s_delay_alu instid0(VALU_DEP_1) | instskip(NEXT) | instid1(VALU_DEP_1)
	v_mov_b32_dpp v6, v5 row_shr:2 row_mask:0xf bank_mask:0xf
	v_cndmask_b32_e32 v6, 0, v6, vcc_lo
	v_cmp_lt_u32_e32 vcc_lo, 3, v2
	s_delay_alu instid0(VALU_DEP_2) | instskip(NEXT) | instid1(VALU_DEP_1)
	v_add_nc_u32_e32 v5, v5, v6
	v_mov_b32_dpp v6, v5 row_shr:4 row_mask:0xf bank_mask:0xf
	s_delay_alu instid0(VALU_DEP_1) | instskip(NEXT) | instid1(VALU_DEP_1)
	v_cndmask_b32_e32 v6, 0, v6, vcc_lo
	v_add_nc_u32_e32 v5, v5, v6
	ds_store_b32 v42, v5
.LBB91_560:                             ;   in Loop: Header=BB91_12 Depth=1
	s_or_b32 exec_lo, exec_lo, s11
	v_mov_b32_e32 v5, 0
	s_waitcnt lgkmcnt(0)
	s_barrier
	buffer_gl0_inv
	s_and_saveexec_b32 s11, s5
	s_cbranch_execz .LBB91_562
; %bb.561:                              ;   in Loop: Header=BB91_12 Depth=1
	ds_load_b32 v5, v43
.LBB91_562:                             ;   in Loop: Header=BB91_12 Depth=1
	s_or_b32 exec_lo, exec_lo, s11
	v_add_nc_u32_e32 v6, -1, v63
	s_waitcnt lgkmcnt(0)
	v_add_nc_u32_e32 v4, v5, v4
	v_cmp_eq_u32_e64 s11, 0, v63
	s_barrier
	v_cmp_gt_i32_e32 vcc_lo, 0, v6
	buffer_gl0_inv
	v_cndmask_b32_e32 v6, v6, v63, vcc_lo
	s_delay_alu instid0(VALU_DEP_1)
	v_lshlrev_b32_e32 v69, 2, v6
	ds_bpermute_b32 v4, v69, v4
	s_and_saveexec_b32 s12, s2
	s_cbranch_execz .LBB91_564
; %bb.563:                              ;   in Loop: Header=BB91_12 Depth=1
	s_waitcnt lgkmcnt(0)
	v_cndmask_b32_e64 v4, v4, v5, s11
	s_delay_alu instid0(VALU_DEP_1)
	v_add_nc_u32_e32 v4, s27, v4
	ds_store_b32 v28, v4
.LBB91_564:                             ;   in Loop: Header=BB91_12 Depth=1
	s_or_b32 exec_lo, exec_lo, s12
	s_load_b64 s[12:13], s[28:29], 0x0
	v_cmp_lt_u32_e64 s14, 3, v2
	v_add_co_u32 v71, vcc_lo, v64, v63
	v_add_co_ci_u32_e32 v72, vcc_lo, 0, v65, vcc_lo
	v_or_b32_e32 v70, v63, v44
	s_mov_b32 s42, s35
	s_mov_b32 s24, s27
                                        ; implicit-def: $vgpr8_vgpr9
                                        ; implicit-def: $vgpr10_vgpr11
                                        ; implicit-def: $vgpr12_vgpr13
                                        ; implicit-def: $vgpr14_vgpr15
                                        ; implicit-def: $vgpr16_vgpr17
                                        ; implicit-def: $vgpr18_vgpr19
                                        ; implicit-def: $vgpr85
                                        ; implicit-def: $vgpr86
                                        ; implicit-def: $vgpr87
                                        ; implicit-def: $vgpr88
                                        ; implicit-def: $vgpr89
                                        ; implicit-def: $vgpr90
                                        ; implicit-def: $vgpr91
                                        ; implicit-def: $vgpr92
	s_delay_alu instid0(VALU_DEP_1)
	v_or_b32_e32 v75, 32, v70
	v_or_b32_e32 v76, 64, v70
	;; [unrolled: 1-line block ×7, first 2 shown]
	s_waitcnt lgkmcnt(0)
	s_cmp_lt_u32 s15, s13
	s_cselect_b32 s13, 14, 20
	s_delay_alu instid0(SALU_CYCLE_1) | instskip(SKIP_4) | instid1(SALU_CYCLE_1)
	s_add_u32 s16, s28, s13
	s_addc_u32 s17, s29, 0
	s_cmp_lt_u32 s26, s12
	global_load_u16 v4, v3, s[16:17]
	s_cselect_b32 s12, 12, 18
	s_add_u32 s12, s28, s12
	s_addc_u32 s13, s29, 0
	global_load_u16 v6, v3, s[12:13]
	v_cmp_eq_u32_e64 s12, 0, v2
	v_cmp_lt_u32_e64 s13, 1, v2
	v_lshlrev_b32_e32 v2, 3, v63
	s_delay_alu instid0(VALU_DEP_1)
	v_add_co_u32 v73, vcc_lo, v61, v2
	v_add_co_ci_u32_e32 v74, vcc_lo, 0, v62, vcc_lo
	v_add_co_u32 v83, vcc_lo, 0xe0, v71
	v_add_co_ci_u32_e32 v84, vcc_lo, 0, v72, vcc_lo
	s_waitcnt vmcnt(1)
	v_mad_u32_u24 v7, v45, v4, v0
	s_waitcnt vmcnt(0)
	s_delay_alu instid0(VALU_DEP_1) | instskip(NEXT) | instid1(VALU_DEP_1)
	v_mad_u64_u32 v[4:5], null, v7, v6, v[1:2]
                                        ; implicit-def: $vgpr6_vgpr7
	v_lshrrev_b32_e32 v82, 5, v4
                                        ; implicit-def: $vgpr4_vgpr5
	s_branch .LBB91_566
.LBB91_565:                             ;   in Loop: Header=BB91_566 Depth=2
	s_or_b32 exec_lo, exec_lo, s16
	s_addk_i32 s42, 0xf800
	s_cmp_lt_u32 s43, s33
	s_mov_b32 s24, s43
	s_cbranch_scc0 .LBB91_10
.LBB91_566:                             ;   Parent Loop BB91_12 Depth=1
                                        ; =>  This Inner Loop Header: Depth=2
	s_add_i32 s43, s24, 0x800
	s_delay_alu instid0(SALU_CYCLE_1)
	s_cmp_gt_u32 s43, s33
	s_cbranch_scc1 .LBB91_568
; %bb.567:                              ;   in Loop: Header=BB91_566 Depth=2
	v_add_co_u32 v20, vcc_lo, v71, s24
	v_add_co_ci_u32_e32 v21, vcc_lo, 0, v72, vcc_lo
	s_mov_b32 s17, 0
	s_mov_b32 s16, s24
	s_mov_b32 s19, -1
	s_clause 0x6
	global_load_u8 v2, v[20:21], off offset:32
	global_load_u8 v22, v[20:21], off offset:96
	;; [unrolled: 1-line block ×3, first 2 shown]
	global_load_u8 v24, v[20:21], off
	global_load_u8 v25, v[20:21], off offset:64
	global_load_u8 v26, v[20:21], off offset:128
	;; [unrolled: 1-line block ×3, first 2 shown]
	s_movk_i32 s18, 0x800
	s_waitcnt vmcnt(6)
	v_lshlrev_b16 v2, 8, v2
	s_waitcnt vmcnt(5)
	v_lshlrev_b16 v20, 8, v22
	;; [unrolled: 2-line block ×3, first 2 shown]
	s_waitcnt vmcnt(3)
	v_or_b32_e32 v2, v24, v2
	s_waitcnt vmcnt(2)
	v_or_b32_e32 v20, v25, v20
	;; [unrolled: 2-line block ×3, first 2 shown]
	v_and_b32_e32 v2, 0xffff, v2
	s_delay_alu instid0(VALU_DEP_3) | instskip(NEXT) | instid1(VALU_DEP_3)
	v_lshlrev_b32_e32 v20, 16, v20
	v_and_b32_e32 v22, 0xffff, v22
	s_delay_alu instid0(VALU_DEP_2) | instskip(SKIP_1) | instid1(VALU_DEP_2)
	v_or_b32_e32 v20, v2, v20
	s_waitcnt vmcnt(0)
	v_lshl_or_b32 v21, v21, 16, v22
	s_cbranch_execz .LBB91_569
	s_branch .LBB91_578
.LBB91_568:                             ;   in Loop: Header=BB91_566 Depth=2
	s_mov_b32 s17, -1
	s_mov_b32 s19, 0
                                        ; implicit-def: $sgpr18
                                        ; implicit-def: $vgpr20_vgpr21
.LBB91_569:                             ;   in Loop: Header=BB91_566 Depth=2
	v_add_co_u32 v22, vcc_lo, v71, s24
	s_mov_b32 s16, s25
	s_mov_b32 s17, s25
	v_add_co_ci_u32_e32 v23, vcc_lo, 0, v72, vcc_lo
	v_dual_mov_b32 v21, s17 :: v_dual_mov_b32 v20, s16
	s_mov_b32 s16, exec_lo
	v_cmpx_gt_u32_e64 s42, v70
	s_cbranch_execz .LBB91_672
; %bb.570:                              ;   in Loop: Header=BB91_566 Depth=2
	global_load_u8 v2, v[22:23], off
	s_waitcnt vmcnt(0)
	v_dual_mov_b32 v21, s25 :: v_dual_and_b32 v20, 0xffff, v2
	s_or_b32 exec_lo, exec_lo, s16
	s_delay_alu instid0(SALU_CYCLE_1)
	s_mov_b32 s16, exec_lo
	v_cmpx_gt_u32_e64 s42, v75
	s_cbranch_execnz .LBB91_673
.LBB91_571:                             ;   in Loop: Header=BB91_566 Depth=2
	s_or_b32 exec_lo, exec_lo, s16
	s_delay_alu instid0(SALU_CYCLE_1)
	s_mov_b32 s16, exec_lo
	v_cmpx_gt_u32_e64 s42, v76
	s_cbranch_execz .LBB91_674
.LBB91_572:                             ;   in Loop: Header=BB91_566 Depth=2
	global_load_u8 v2, v[22:23], off offset:64
	v_lshrrev_b32_e32 v24, 16, v20
	s_delay_alu instid0(VALU_DEP_1) | instskip(SKIP_1) | instid1(VALU_DEP_1)
	v_and_b32_e32 v24, 0xffffff00, v24
	s_waitcnt vmcnt(0)
	v_or_b32_e32 v2, v2, v24
	s_delay_alu instid0(VALU_DEP_1) | instskip(NEXT) | instid1(VALU_DEP_1)
	v_lshlrev_b32_e32 v2, 16, v2
	v_and_or_b32 v20, 0xffff, v20, v2
	s_or_b32 exec_lo, exec_lo, s16
	s_delay_alu instid0(SALU_CYCLE_1)
	s_mov_b32 s16, exec_lo
	v_cmpx_gt_u32_e64 s42, v77
	s_cbranch_execnz .LBB91_675
.LBB91_573:                             ;   in Loop: Header=BB91_566 Depth=2
	s_or_b32 exec_lo, exec_lo, s16
	s_delay_alu instid0(SALU_CYCLE_1)
	s_mov_b32 s16, exec_lo
	v_cmpx_gt_u32_e64 s42, v78
	s_cbranch_execz .LBB91_676
.LBB91_574:                             ;   in Loop: Header=BB91_566 Depth=2
	global_load_u8 v2, v[22:23], off offset:128
	s_waitcnt vmcnt(0)
	v_perm_b32 v21, v2, v21, 0x3020104
	s_or_b32 exec_lo, exec_lo, s16
	s_delay_alu instid0(SALU_CYCLE_1)
	s_mov_b32 s16, exec_lo
	v_cmpx_gt_u32_e64 s42, v79
	s_cbranch_execnz .LBB91_677
.LBB91_575:                             ;   in Loop: Header=BB91_566 Depth=2
	s_or_b32 exec_lo, exec_lo, s16
	s_delay_alu instid0(SALU_CYCLE_1)
	s_mov_b32 s16, exec_lo
	v_cmpx_gt_u32_e64 s42, v80
	s_cbranch_execz .LBB91_577
.LBB91_576:                             ;   in Loop: Header=BB91_566 Depth=2
	global_load_u8 v2, v[22:23], off offset:192
	s_waitcnt vmcnt(0)
	v_perm_b32 v21, v21, v2, 0x7000504
.LBB91_577:                             ;   in Loop: Header=BB91_566 Depth=2
	s_or_b32 exec_lo, exec_lo, s16
	v_cmp_gt_u32_e64 s19, s42, v81
	s_sub_i32 s18, s33, s24
	s_mov_b64 s[16:17], s[24:25]
.LBB91_578:                             ;   in Loop: Header=BB91_566 Depth=2
	v_mov_b32_e32 v2, s42
	s_delay_alu instid0(VALU_DEP_2)
	s_and_saveexec_b32 s20, s19
	s_cbranch_execz .LBB91_580
; %bb.579:                              ;   in Loop: Header=BB91_566 Depth=2
	v_add_co_u32 v22, vcc_lo, v83, s16
	v_add_co_ci_u32_e32 v23, vcc_lo, s17, v84, vcc_lo
	global_load_u8 v2, v[22:23], off
	s_waitcnt vmcnt(0)
	v_perm_b32 v21, v21, v2, 0x60504
	v_mov_b32_e32 v2, s18
.LBB91_580:                             ;   in Loop: Header=BB91_566 Depth=2
	s_or_b32 exec_lo, exec_lo, s20
	v_xor_b32_e32 v93, -1, v20
	ds_store_b32 v46, v3 offset:1056
	ds_store_2addr_b32 v47, v3, v3 offset0:1 offset1:2
	ds_store_2addr_b32 v47, v3, v3 offset0:3 offset1:4
	;; [unrolled: 1-line block ×4, first 2 shown]
	s_waitcnt lgkmcnt(0)
	s_barrier
	v_and_b32_e32 v22, 0xff, v93
	buffer_gl0_inv
	; wave barrier
	v_lshrrev_b32_e32 v22, s49, v22
	s_delay_alu instid0(VALU_DEP_1) | instskip(NEXT) | instid1(VALU_DEP_1)
	v_and_b32_e32 v23, s31, v22
	v_and_b32_e32 v22, 1, v23
	v_lshlrev_b32_e32 v24, 30, v23
	v_lshlrev_b32_e32 v25, 29, v23
	;; [unrolled: 1-line block ×4, first 2 shown]
	v_add_co_u32 v22, s16, v22, -1
	s_delay_alu instid0(VALU_DEP_1)
	v_cndmask_b32_e64 v27, 0, 1, s16
	v_not_b32_e32 v97, v24
	v_cmp_gt_i32_e64 s16, 0, v24
	v_not_b32_e32 v24, v25
	v_lshlrev_b32_e32 v95, 26, v23
	v_cmp_ne_u32_e32 vcc_lo, 0, v27
	v_ashrrev_i32_e32 v97, 31, v97
	v_lshlrev_b32_e32 v96, 25, v23
	v_ashrrev_i32_e32 v24, 31, v24
	v_lshlrev_b32_e32 v27, 24, v23
	v_xor_b32_e32 v22, vcc_lo, v22
	v_cmp_gt_i32_e32 vcc_lo, 0, v25
	v_not_b32_e32 v25, v26
	v_xor_b32_e32 v97, s16, v97
	v_cmp_gt_i32_e64 s16, 0, v26
	v_and_b32_e32 v22, exec_lo, v22
	v_not_b32_e32 v26, v94
	v_ashrrev_i32_e32 v25, 31, v25
	v_xor_b32_e32 v24, vcc_lo, v24
	v_cmp_gt_i32_e32 vcc_lo, 0, v94
	v_and_b32_e32 v22, v22, v97
	v_not_b32_e32 v94, v95
	v_ashrrev_i32_e32 v26, 31, v26
	v_xor_b32_e32 v25, s16, v25
	v_cmp_gt_i32_e64 s16, 0, v95
	v_and_b32_e32 v22, v22, v24
	v_not_b32_e32 v24, v96
	v_ashrrev_i32_e32 v94, 31, v94
	v_xor_b32_e32 v26, vcc_lo, v26
	v_cmp_gt_i32_e32 vcc_lo, 0, v96
	v_and_b32_e32 v22, v22, v25
	v_not_b32_e32 v25, v27
	v_ashrrev_i32_e32 v24, 31, v24
	v_xor_b32_e32 v94, s16, v94
	v_cmp_gt_i32_e64 s16, 0, v27
	v_and_b32_e32 v22, v22, v26
	v_ashrrev_i32_e32 v25, 31, v25
	v_xor_b32_e32 v24, vcc_lo, v24
	v_mad_u32_u24 v23, v23, 9, v82
	s_delay_alu instid0(VALU_DEP_4) | instskip(NEXT) | instid1(VALU_DEP_4)
	v_and_b32_e32 v22, v22, v94
	v_xor_b32_e32 v25, s16, v25
	s_delay_alu instid0(VALU_DEP_3) | instskip(NEXT) | instid1(VALU_DEP_3)
	v_lshl_add_u32 v96, v23, 2, 0x420
	v_and_b32_e32 v22, v22, v24
	s_delay_alu instid0(VALU_DEP_1) | instskip(NEXT) | instid1(VALU_DEP_1)
	v_and_b32_e32 v22, v22, v25
	v_mbcnt_lo_u32_b32 v94, v22, 0
	v_cmp_ne_u32_e64 s16, 0, v22
	s_delay_alu instid0(VALU_DEP_2) | instskip(NEXT) | instid1(VALU_DEP_2)
	v_cmp_eq_u32_e32 vcc_lo, 0, v94
	s_and_b32 s17, s16, vcc_lo
	s_delay_alu instid0(SALU_CYCLE_1)
	s_and_saveexec_b32 s16, s17
	s_cbranch_execz .LBB91_582
; %bb.581:                              ;   in Loop: Header=BB91_566 Depth=2
	v_bcnt_u32_b32 v22, v22, 0
	ds_store_b32 v96, v22
.LBB91_582:                             ;   in Loop: Header=BB91_566 Depth=2
	s_or_b32 exec_lo, exec_lo, s16
	v_lshrrev_b32_e32 v22, 8, v20
	; wave barrier
	s_delay_alu instid0(VALU_DEP_1) | instskip(NEXT) | instid1(VALU_DEP_1)
	v_xor_b32_e32 v95, -1, v22
	v_and_b32_e32 v22, 0xff, v95
	s_delay_alu instid0(VALU_DEP_1) | instskip(NEXT) | instid1(VALU_DEP_1)
	v_lshrrev_b32_e32 v22, s49, v22
	v_and_b32_e32 v22, s31, v22
	s_delay_alu instid0(VALU_DEP_1)
	v_and_b32_e32 v23, 1, v22
	v_lshlrev_b32_e32 v24, 30, v22
	v_lshlrev_b32_e32 v25, 29, v22
	;; [unrolled: 1-line block ×4, first 2 shown]
	v_add_co_u32 v23, s16, v23, -1
	s_delay_alu instid0(VALU_DEP_1)
	v_cndmask_b32_e64 v27, 0, 1, s16
	v_not_b32_e32 v100, v24
	v_cmp_gt_i32_e64 s16, 0, v24
	v_not_b32_e32 v24, v25
	v_lshlrev_b32_e32 v98, 26, v22
	v_cmp_ne_u32_e32 vcc_lo, 0, v27
	v_ashrrev_i32_e32 v100, 31, v100
	v_lshlrev_b32_e32 v99, 25, v22
	v_ashrrev_i32_e32 v24, 31, v24
	v_lshlrev_b32_e32 v27, 24, v22
	v_xor_b32_e32 v23, vcc_lo, v23
	v_cmp_gt_i32_e32 vcc_lo, 0, v25
	v_not_b32_e32 v25, v26
	v_xor_b32_e32 v100, s16, v100
	v_cmp_gt_i32_e64 s16, 0, v26
	v_and_b32_e32 v23, exec_lo, v23
	v_not_b32_e32 v26, v97
	v_ashrrev_i32_e32 v25, 31, v25
	v_xor_b32_e32 v24, vcc_lo, v24
	v_cmp_gt_i32_e32 vcc_lo, 0, v97
	v_and_b32_e32 v23, v23, v100
	v_not_b32_e32 v97, v98
	v_ashrrev_i32_e32 v26, 31, v26
	v_xor_b32_e32 v25, s16, v25
	v_cmp_gt_i32_e64 s16, 0, v98
	v_and_b32_e32 v23, v23, v24
	v_not_b32_e32 v24, v99
	v_ashrrev_i32_e32 v97, 31, v97
	v_xor_b32_e32 v26, vcc_lo, v26
	v_cmp_gt_i32_e32 vcc_lo, 0, v99
	v_and_b32_e32 v23, v23, v25
	v_not_b32_e32 v25, v27
	v_ashrrev_i32_e32 v24, 31, v24
	v_xor_b32_e32 v97, s16, v97
	v_mul_u32_u24_e32 v22, 9, v22
	v_and_b32_e32 v23, v23, v26
	v_cmp_gt_i32_e64 s16, 0, v27
	v_ashrrev_i32_e32 v25, 31, v25
	v_xor_b32_e32 v24, vcc_lo, v24
	v_add_lshl_u32 v26, v22, v82, 2
	v_and_b32_e32 v23, v23, v97
	s_delay_alu instid0(VALU_DEP_4) | instskip(SKIP_3) | instid1(VALU_DEP_2)
	v_xor_b32_e32 v22, s16, v25
	ds_load_b32 v97, v26 offset:1056
	v_and_b32_e32 v23, v23, v24
	v_add_nc_u32_e32 v100, 0x420, v26
	; wave barrier
	v_and_b32_e32 v22, v23, v22
	s_delay_alu instid0(VALU_DEP_1) | instskip(SKIP_1) | instid1(VALU_DEP_2)
	v_mbcnt_lo_u32_b32 v98, v22, 0
	v_cmp_ne_u32_e64 s16, 0, v22
	v_cmp_eq_u32_e32 vcc_lo, 0, v98
	s_delay_alu instid0(VALU_DEP_2) | instskip(NEXT) | instid1(SALU_CYCLE_1)
	s_and_b32 s17, s16, vcc_lo
	s_and_saveexec_b32 s16, s17
	s_cbranch_execz .LBB91_584
; %bb.583:                              ;   in Loop: Header=BB91_566 Depth=2
	s_waitcnt lgkmcnt(0)
	v_bcnt_u32_b32 v22, v22, v97
	ds_store_b32 v100, v22
.LBB91_584:                             ;   in Loop: Header=BB91_566 Depth=2
	s_or_b32 exec_lo, exec_lo, s16
	v_lshrrev_b32_e32 v22, 16, v20
	; wave barrier
	s_delay_alu instid0(VALU_DEP_1) | instskip(NEXT) | instid1(VALU_DEP_1)
	v_xor_b32_e32 v99, -1, v22
	v_and_b32_e32 v22, 0xff, v99
	s_delay_alu instid0(VALU_DEP_1) | instskip(NEXT) | instid1(VALU_DEP_1)
	v_lshrrev_b32_e32 v22, s49, v22
	v_and_b32_e32 v22, s31, v22
	s_delay_alu instid0(VALU_DEP_1)
	v_and_b32_e32 v23, 1, v22
	v_lshlrev_b32_e32 v24, 30, v22
	v_lshlrev_b32_e32 v25, 29, v22
	;; [unrolled: 1-line block ×4, first 2 shown]
	v_add_co_u32 v23, s16, v23, -1
	s_delay_alu instid0(VALU_DEP_1)
	v_cndmask_b32_e64 v27, 0, 1, s16
	v_not_b32_e32 v104, v24
	v_cmp_gt_i32_e64 s16, 0, v24
	v_not_b32_e32 v24, v25
	v_lshlrev_b32_e32 v102, 26, v22
	v_cmp_ne_u32_e32 vcc_lo, 0, v27
	v_ashrrev_i32_e32 v104, 31, v104
	v_lshlrev_b32_e32 v103, 25, v22
	v_ashrrev_i32_e32 v24, 31, v24
	v_lshlrev_b32_e32 v27, 24, v22
	v_xor_b32_e32 v23, vcc_lo, v23
	v_cmp_gt_i32_e32 vcc_lo, 0, v25
	v_not_b32_e32 v25, v26
	v_xor_b32_e32 v104, s16, v104
	v_cmp_gt_i32_e64 s16, 0, v26
	v_and_b32_e32 v23, exec_lo, v23
	v_not_b32_e32 v26, v101
	v_ashrrev_i32_e32 v25, 31, v25
	v_xor_b32_e32 v24, vcc_lo, v24
	v_cmp_gt_i32_e32 vcc_lo, 0, v101
	v_and_b32_e32 v23, v23, v104
	v_not_b32_e32 v101, v102
	v_ashrrev_i32_e32 v26, 31, v26
	v_xor_b32_e32 v25, s16, v25
	v_cmp_gt_i32_e64 s16, 0, v102
	v_and_b32_e32 v23, v23, v24
	v_not_b32_e32 v24, v103
	v_ashrrev_i32_e32 v101, 31, v101
	v_xor_b32_e32 v26, vcc_lo, v26
	v_cmp_gt_i32_e32 vcc_lo, 0, v103
	v_and_b32_e32 v23, v23, v25
	v_not_b32_e32 v25, v27
	v_ashrrev_i32_e32 v24, 31, v24
	v_xor_b32_e32 v101, s16, v101
	v_mul_u32_u24_e32 v22, 9, v22
	v_and_b32_e32 v23, v23, v26
	v_cmp_gt_i32_e64 s16, 0, v27
	v_ashrrev_i32_e32 v25, 31, v25
	v_xor_b32_e32 v24, vcc_lo, v24
	v_add_lshl_u32 v26, v22, v82, 2
	v_and_b32_e32 v23, v23, v101
	s_delay_alu instid0(VALU_DEP_4) | instskip(SKIP_3) | instid1(VALU_DEP_2)
	v_xor_b32_e32 v22, s16, v25
	ds_load_b32 v101, v26 offset:1056
	v_and_b32_e32 v23, v23, v24
	v_add_nc_u32_e32 v104, 0x420, v26
	; wave barrier
	v_and_b32_e32 v22, v23, v22
	s_delay_alu instid0(VALU_DEP_1) | instskip(SKIP_1) | instid1(VALU_DEP_2)
	v_mbcnt_lo_u32_b32 v102, v22, 0
	v_cmp_ne_u32_e64 s16, 0, v22
	v_cmp_eq_u32_e32 vcc_lo, 0, v102
	s_delay_alu instid0(VALU_DEP_2) | instskip(NEXT) | instid1(SALU_CYCLE_1)
	s_and_b32 s17, s16, vcc_lo
	s_and_saveexec_b32 s16, s17
	s_cbranch_execz .LBB91_586
; %bb.585:                              ;   in Loop: Header=BB91_566 Depth=2
	s_waitcnt lgkmcnt(0)
	v_bcnt_u32_b32 v22, v22, v101
	ds_store_b32 v104, v22
.LBB91_586:                             ;   in Loop: Header=BB91_566 Depth=2
	s_or_b32 exec_lo, exec_lo, s16
	v_lshrrev_b64 v[22:23], 24, v[20:21]
	; wave barrier
	s_delay_alu instid0(VALU_DEP_1) | instskip(NEXT) | instid1(VALU_DEP_1)
	v_xor_b32_e32 v103, -1, v22
	v_and_b32_e32 v20, 0xff, v103
	s_delay_alu instid0(VALU_DEP_1) | instskip(NEXT) | instid1(VALU_DEP_1)
	v_lshrrev_b32_e32 v20, s49, v20
	v_and_b32_e32 v20, s31, v20
	s_delay_alu instid0(VALU_DEP_1)
	v_and_b32_e32 v22, 1, v20
	v_lshlrev_b32_e32 v23, 30, v20
	v_lshlrev_b32_e32 v24, 29, v20
	;; [unrolled: 1-line block ×4, first 2 shown]
	v_add_co_u32 v22, s16, v22, -1
	s_delay_alu instid0(VALU_DEP_1)
	v_cndmask_b32_e64 v26, 0, 1, s16
	v_not_b32_e32 v107, v23
	v_cmp_gt_i32_e64 s16, 0, v23
	v_not_b32_e32 v23, v24
	v_lshlrev_b32_e32 v105, 26, v20
	v_cmp_ne_u32_e32 vcc_lo, 0, v26
	v_ashrrev_i32_e32 v107, 31, v107
	v_lshlrev_b32_e32 v106, 25, v20
	v_ashrrev_i32_e32 v23, 31, v23
	v_lshlrev_b32_e32 v26, 24, v20
	v_xor_b32_e32 v22, vcc_lo, v22
	v_cmp_gt_i32_e32 vcc_lo, 0, v24
	v_not_b32_e32 v24, v25
	v_xor_b32_e32 v107, s16, v107
	v_cmp_gt_i32_e64 s16, 0, v25
	v_and_b32_e32 v22, exec_lo, v22
	v_not_b32_e32 v25, v27
	v_ashrrev_i32_e32 v24, 31, v24
	v_xor_b32_e32 v23, vcc_lo, v23
	v_cmp_gt_i32_e32 vcc_lo, 0, v27
	v_and_b32_e32 v22, v22, v107
	v_not_b32_e32 v27, v105
	v_ashrrev_i32_e32 v25, 31, v25
	v_xor_b32_e32 v24, s16, v24
	v_cmp_gt_i32_e64 s16, 0, v105
	v_and_b32_e32 v22, v22, v23
	v_not_b32_e32 v23, v106
	v_ashrrev_i32_e32 v27, 31, v27
	v_xor_b32_e32 v25, vcc_lo, v25
	v_cmp_gt_i32_e32 vcc_lo, 0, v106
	v_and_b32_e32 v22, v22, v24
	v_not_b32_e32 v24, v26
	v_ashrrev_i32_e32 v23, 31, v23
	v_xor_b32_e32 v27, s16, v27
	v_mul_u32_u24_e32 v20, 9, v20
	v_and_b32_e32 v22, v22, v25
	v_cmp_gt_i32_e64 s16, 0, v26
	v_ashrrev_i32_e32 v24, 31, v24
	v_xor_b32_e32 v23, vcc_lo, v23
	v_add_lshl_u32 v25, v20, v82, 2
	v_and_b32_e32 v22, v22, v27
	s_delay_alu instid0(VALU_DEP_4) | instskip(SKIP_3) | instid1(VALU_DEP_2)
	v_xor_b32_e32 v20, s16, v24
	ds_load_b32 v105, v25 offset:1056
	v_and_b32_e32 v22, v22, v23
	v_add_nc_u32_e32 v108, 0x420, v25
	; wave barrier
	v_and_b32_e32 v20, v22, v20
	s_delay_alu instid0(VALU_DEP_1) | instskip(SKIP_1) | instid1(VALU_DEP_2)
	v_mbcnt_lo_u32_b32 v106, v20, 0
	v_cmp_ne_u32_e64 s16, 0, v20
	v_cmp_eq_u32_e32 vcc_lo, 0, v106
	s_delay_alu instid0(VALU_DEP_2) | instskip(NEXT) | instid1(SALU_CYCLE_1)
	s_and_b32 s17, s16, vcc_lo
	s_and_saveexec_b32 s16, s17
	s_cbranch_execz .LBB91_588
; %bb.587:                              ;   in Loop: Header=BB91_566 Depth=2
	s_waitcnt lgkmcnt(0)
	v_bcnt_u32_b32 v20, v20, v105
	ds_store_b32 v108, v20
.LBB91_588:                             ;   in Loop: Header=BB91_566 Depth=2
	s_or_b32 exec_lo, exec_lo, s16
	v_xor_b32_e32 v107, -1, v21
	; wave barrier
	s_delay_alu instid0(VALU_DEP_1) | instskip(NEXT) | instid1(VALU_DEP_1)
	v_and_b32_e32 v20, 0xff, v107
	v_lshrrev_b32_e32 v20, s49, v20
	s_delay_alu instid0(VALU_DEP_1) | instskip(NEXT) | instid1(VALU_DEP_1)
	v_and_b32_e32 v20, s31, v20
	v_and_b32_e32 v22, 1, v20
	v_lshlrev_b32_e32 v23, 30, v20
	v_lshlrev_b32_e32 v24, 29, v20
	;; [unrolled: 1-line block ×4, first 2 shown]
	v_add_co_u32 v22, s16, v22, -1
	s_delay_alu instid0(VALU_DEP_1)
	v_cndmask_b32_e64 v26, 0, 1, s16
	v_not_b32_e32 v111, v23
	v_cmp_gt_i32_e64 s16, 0, v23
	v_not_b32_e32 v23, v24
	v_lshlrev_b32_e32 v109, 26, v20
	v_cmp_ne_u32_e32 vcc_lo, 0, v26
	v_ashrrev_i32_e32 v111, 31, v111
	v_lshlrev_b32_e32 v110, 25, v20
	v_ashrrev_i32_e32 v23, 31, v23
	v_lshlrev_b32_e32 v26, 24, v20
	v_xor_b32_e32 v22, vcc_lo, v22
	v_cmp_gt_i32_e32 vcc_lo, 0, v24
	v_not_b32_e32 v24, v25
	v_xor_b32_e32 v111, s16, v111
	v_cmp_gt_i32_e64 s16, 0, v25
	v_and_b32_e32 v22, exec_lo, v22
	v_not_b32_e32 v25, v27
	v_ashrrev_i32_e32 v24, 31, v24
	v_xor_b32_e32 v23, vcc_lo, v23
	v_cmp_gt_i32_e32 vcc_lo, 0, v27
	v_and_b32_e32 v22, v22, v111
	v_not_b32_e32 v27, v109
	v_ashrrev_i32_e32 v25, 31, v25
	v_xor_b32_e32 v24, s16, v24
	v_cmp_gt_i32_e64 s16, 0, v109
	v_and_b32_e32 v22, v22, v23
	v_not_b32_e32 v23, v110
	v_ashrrev_i32_e32 v27, 31, v27
	v_xor_b32_e32 v25, vcc_lo, v25
	v_cmp_gt_i32_e32 vcc_lo, 0, v110
	v_and_b32_e32 v22, v22, v24
	v_not_b32_e32 v24, v26
	v_ashrrev_i32_e32 v23, 31, v23
	v_xor_b32_e32 v27, s16, v27
	v_mul_u32_u24_e32 v20, 9, v20
	v_and_b32_e32 v22, v22, v25
	v_cmp_gt_i32_e64 s16, 0, v26
	v_ashrrev_i32_e32 v24, 31, v24
	v_xor_b32_e32 v23, vcc_lo, v23
	v_add_lshl_u32 v25, v20, v82, 2
	v_and_b32_e32 v22, v22, v27
	s_delay_alu instid0(VALU_DEP_4) | instskip(SKIP_3) | instid1(VALU_DEP_2)
	v_xor_b32_e32 v20, s16, v24
	ds_load_b32 v109, v25 offset:1056
	v_and_b32_e32 v22, v22, v23
	v_add_nc_u32_e32 v112, 0x420, v25
	; wave barrier
	v_and_b32_e32 v20, v22, v20
	s_delay_alu instid0(VALU_DEP_1) | instskip(SKIP_1) | instid1(VALU_DEP_2)
	v_mbcnt_lo_u32_b32 v110, v20, 0
	v_cmp_ne_u32_e64 s16, 0, v20
	v_cmp_eq_u32_e32 vcc_lo, 0, v110
	s_delay_alu instid0(VALU_DEP_2) | instskip(NEXT) | instid1(SALU_CYCLE_1)
	s_and_b32 s17, s16, vcc_lo
	s_and_saveexec_b32 s16, s17
	s_cbranch_execz .LBB91_590
; %bb.589:                              ;   in Loop: Header=BB91_566 Depth=2
	s_waitcnt lgkmcnt(0)
	v_bcnt_u32_b32 v20, v20, v109
	ds_store_b32 v112, v20
.LBB91_590:                             ;   in Loop: Header=BB91_566 Depth=2
	s_or_b32 exec_lo, exec_lo, s16
	v_lshrrev_b32_e32 v20, 8, v21
	; wave barrier
	s_delay_alu instid0(VALU_DEP_1) | instskip(NEXT) | instid1(VALU_DEP_1)
	v_xor_b32_e32 v111, -1, v20
	v_and_b32_e32 v20, 0xff, v111
	s_delay_alu instid0(VALU_DEP_1) | instskip(NEXT) | instid1(VALU_DEP_1)
	v_lshrrev_b32_e32 v20, s49, v20
	v_and_b32_e32 v20, s31, v20
	s_delay_alu instid0(VALU_DEP_1)
	v_and_b32_e32 v22, 1, v20
	v_lshlrev_b32_e32 v23, 30, v20
	v_lshlrev_b32_e32 v24, 29, v20
	;; [unrolled: 1-line block ×4, first 2 shown]
	v_add_co_u32 v22, s16, v22, -1
	s_delay_alu instid0(VALU_DEP_1)
	v_cndmask_b32_e64 v26, 0, 1, s16
	v_not_b32_e32 v115, v23
	v_cmp_gt_i32_e64 s16, 0, v23
	v_not_b32_e32 v23, v24
	v_lshlrev_b32_e32 v113, 26, v20
	v_cmp_ne_u32_e32 vcc_lo, 0, v26
	v_ashrrev_i32_e32 v115, 31, v115
	v_lshlrev_b32_e32 v114, 25, v20
	v_ashrrev_i32_e32 v23, 31, v23
	v_lshlrev_b32_e32 v26, 24, v20
	v_xor_b32_e32 v22, vcc_lo, v22
	v_cmp_gt_i32_e32 vcc_lo, 0, v24
	v_not_b32_e32 v24, v25
	v_xor_b32_e32 v115, s16, v115
	v_cmp_gt_i32_e64 s16, 0, v25
	v_and_b32_e32 v22, exec_lo, v22
	v_not_b32_e32 v25, v27
	v_ashrrev_i32_e32 v24, 31, v24
	v_xor_b32_e32 v23, vcc_lo, v23
	v_cmp_gt_i32_e32 vcc_lo, 0, v27
	v_and_b32_e32 v22, v22, v115
	v_not_b32_e32 v27, v113
	v_ashrrev_i32_e32 v25, 31, v25
	v_xor_b32_e32 v24, s16, v24
	v_cmp_gt_i32_e64 s16, 0, v113
	v_and_b32_e32 v22, v22, v23
	v_not_b32_e32 v23, v114
	v_ashrrev_i32_e32 v27, 31, v27
	v_xor_b32_e32 v25, vcc_lo, v25
	v_cmp_gt_i32_e32 vcc_lo, 0, v114
	v_and_b32_e32 v22, v22, v24
	v_not_b32_e32 v24, v26
	v_ashrrev_i32_e32 v23, 31, v23
	v_xor_b32_e32 v27, s16, v27
	v_mul_u32_u24_e32 v20, 9, v20
	v_and_b32_e32 v22, v22, v25
	v_cmp_gt_i32_e64 s16, 0, v26
	v_ashrrev_i32_e32 v24, 31, v24
	v_xor_b32_e32 v23, vcc_lo, v23
	v_add_lshl_u32 v25, v20, v82, 2
	v_and_b32_e32 v22, v22, v27
	s_delay_alu instid0(VALU_DEP_4) | instskip(SKIP_3) | instid1(VALU_DEP_2)
	v_xor_b32_e32 v20, s16, v24
	ds_load_b32 v113, v25 offset:1056
	v_and_b32_e32 v22, v22, v23
	v_add_nc_u32_e32 v116, 0x420, v25
	; wave barrier
	v_and_b32_e32 v20, v22, v20
	s_delay_alu instid0(VALU_DEP_1) | instskip(SKIP_1) | instid1(VALU_DEP_2)
	v_mbcnt_lo_u32_b32 v114, v20, 0
	v_cmp_ne_u32_e64 s16, 0, v20
	v_cmp_eq_u32_e32 vcc_lo, 0, v114
	s_delay_alu instid0(VALU_DEP_2) | instskip(NEXT) | instid1(SALU_CYCLE_1)
	s_and_b32 s17, s16, vcc_lo
	s_and_saveexec_b32 s16, s17
	s_cbranch_execz .LBB91_592
; %bb.591:                              ;   in Loop: Header=BB91_566 Depth=2
	s_waitcnt lgkmcnt(0)
	v_bcnt_u32_b32 v20, v20, v113
	ds_store_b32 v116, v20
.LBB91_592:                             ;   in Loop: Header=BB91_566 Depth=2
	s_or_b32 exec_lo, exec_lo, s16
	v_lshrrev_b32_e32 v20, 16, v21
	; wave barrier
	s_delay_alu instid0(VALU_DEP_1) | instskip(NEXT) | instid1(VALU_DEP_1)
	v_xor_b32_e32 v115, -1, v20
	v_and_b32_e32 v20, 0xff, v115
	s_delay_alu instid0(VALU_DEP_1) | instskip(NEXT) | instid1(VALU_DEP_1)
	v_lshrrev_b32_e32 v20, s49, v20
	v_and_b32_e32 v20, s31, v20
	s_delay_alu instid0(VALU_DEP_1)
	v_and_b32_e32 v22, 1, v20
	v_lshlrev_b32_e32 v23, 30, v20
	v_lshlrev_b32_e32 v24, 29, v20
	v_lshlrev_b32_e32 v25, 28, v20
	v_lshlrev_b32_e32 v27, 27, v20
	v_add_co_u32 v22, s16, v22, -1
	s_delay_alu instid0(VALU_DEP_1)
	v_cndmask_b32_e64 v26, 0, 1, s16
	v_not_b32_e32 v119, v23
	v_cmp_gt_i32_e64 s16, 0, v23
	v_not_b32_e32 v23, v24
	v_lshlrev_b32_e32 v117, 26, v20
	v_cmp_ne_u32_e32 vcc_lo, 0, v26
	v_ashrrev_i32_e32 v119, 31, v119
	v_lshlrev_b32_e32 v118, 25, v20
	v_ashrrev_i32_e32 v23, 31, v23
	v_lshlrev_b32_e32 v26, 24, v20
	v_xor_b32_e32 v22, vcc_lo, v22
	v_cmp_gt_i32_e32 vcc_lo, 0, v24
	v_not_b32_e32 v24, v25
	v_xor_b32_e32 v119, s16, v119
	v_cmp_gt_i32_e64 s16, 0, v25
	v_and_b32_e32 v22, exec_lo, v22
	v_not_b32_e32 v25, v27
	v_ashrrev_i32_e32 v24, 31, v24
	v_xor_b32_e32 v23, vcc_lo, v23
	v_cmp_gt_i32_e32 vcc_lo, 0, v27
	v_and_b32_e32 v22, v22, v119
	v_not_b32_e32 v27, v117
	v_ashrrev_i32_e32 v25, 31, v25
	v_xor_b32_e32 v24, s16, v24
	v_cmp_gt_i32_e64 s16, 0, v117
	v_and_b32_e32 v22, v22, v23
	v_not_b32_e32 v23, v118
	v_ashrrev_i32_e32 v27, 31, v27
	v_xor_b32_e32 v25, vcc_lo, v25
	v_cmp_gt_i32_e32 vcc_lo, 0, v118
	v_and_b32_e32 v22, v22, v24
	v_not_b32_e32 v24, v26
	v_ashrrev_i32_e32 v23, 31, v23
	v_xor_b32_e32 v27, s16, v27
	v_mul_u32_u24_e32 v20, 9, v20
	v_and_b32_e32 v22, v22, v25
	v_cmp_gt_i32_e64 s16, 0, v26
	v_ashrrev_i32_e32 v24, 31, v24
	v_xor_b32_e32 v23, vcc_lo, v23
	v_add_lshl_u32 v25, v20, v82, 2
	v_and_b32_e32 v22, v22, v27
	s_delay_alu instid0(VALU_DEP_4) | instskip(SKIP_3) | instid1(VALU_DEP_2)
	v_xor_b32_e32 v20, s16, v24
	ds_load_b32 v117, v25 offset:1056
	v_and_b32_e32 v22, v22, v23
	v_add_nc_u32_e32 v120, 0x420, v25
	; wave barrier
	v_and_b32_e32 v20, v22, v20
	s_delay_alu instid0(VALU_DEP_1) | instskip(SKIP_1) | instid1(VALU_DEP_2)
	v_mbcnt_lo_u32_b32 v118, v20, 0
	v_cmp_ne_u32_e64 s16, 0, v20
	v_cmp_eq_u32_e32 vcc_lo, 0, v118
	s_delay_alu instid0(VALU_DEP_2) | instskip(NEXT) | instid1(SALU_CYCLE_1)
	s_and_b32 s17, s16, vcc_lo
	s_and_saveexec_b32 s16, s17
	s_cbranch_execz .LBB91_594
; %bb.593:                              ;   in Loop: Header=BB91_566 Depth=2
	s_waitcnt lgkmcnt(0)
	v_bcnt_u32_b32 v20, v20, v117
	ds_store_b32 v120, v20
.LBB91_594:                             ;   in Loop: Header=BB91_566 Depth=2
	s_or_b32 exec_lo, exec_lo, s16
	v_lshrrev_b32_e32 v20, 24, v21
	; wave barrier
	s_delay_alu instid0(VALU_DEP_1) | instskip(NEXT) | instid1(VALU_DEP_1)
	v_xor_b32_e32 v119, -1, v20
	v_and_b32_e32 v20, 0xff, v119
	s_delay_alu instid0(VALU_DEP_1) | instskip(NEXT) | instid1(VALU_DEP_1)
	v_lshrrev_b32_e32 v20, s49, v20
	v_and_b32_e32 v20, s31, v20
	s_delay_alu instid0(VALU_DEP_1)
	v_and_b32_e32 v21, 1, v20
	v_lshlrev_b32_e32 v22, 30, v20
	v_lshlrev_b32_e32 v23, 29, v20
	;; [unrolled: 1-line block ×4, first 2 shown]
	v_add_co_u32 v21, s16, v21, -1
	s_delay_alu instid0(VALU_DEP_1)
	v_cndmask_b32_e64 v25, 0, 1, s16
	v_not_b32_e32 v122, v22
	v_cmp_gt_i32_e64 s16, 0, v22
	v_not_b32_e32 v22, v23
	v_lshlrev_b32_e32 v27, 26, v20
	v_cmp_ne_u32_e32 vcc_lo, 0, v25
	v_ashrrev_i32_e32 v122, 31, v122
	v_lshlrev_b32_e32 v121, 25, v20
	v_ashrrev_i32_e32 v22, 31, v22
	v_lshlrev_b32_e32 v25, 24, v20
	v_xor_b32_e32 v21, vcc_lo, v21
	v_cmp_gt_i32_e32 vcc_lo, 0, v23
	v_not_b32_e32 v23, v24
	v_xor_b32_e32 v122, s16, v122
	v_cmp_gt_i32_e64 s16, 0, v24
	v_and_b32_e32 v21, exec_lo, v21
	v_not_b32_e32 v24, v26
	v_ashrrev_i32_e32 v23, 31, v23
	v_xor_b32_e32 v22, vcc_lo, v22
	v_cmp_gt_i32_e32 vcc_lo, 0, v26
	v_and_b32_e32 v21, v21, v122
	v_not_b32_e32 v26, v27
	v_ashrrev_i32_e32 v24, 31, v24
	v_xor_b32_e32 v23, s16, v23
	v_cmp_gt_i32_e64 s16, 0, v27
	v_and_b32_e32 v21, v21, v22
	v_not_b32_e32 v22, v121
	v_ashrrev_i32_e32 v26, 31, v26
	v_xor_b32_e32 v24, vcc_lo, v24
	v_cmp_gt_i32_e32 vcc_lo, 0, v121
	v_and_b32_e32 v21, v21, v23
	v_not_b32_e32 v23, v25
	v_ashrrev_i32_e32 v22, 31, v22
	v_xor_b32_e32 v26, s16, v26
	v_mul_u32_u24_e32 v20, 9, v20
	v_and_b32_e32 v21, v21, v24
	v_cmp_gt_i32_e64 s16, 0, v25
	v_ashrrev_i32_e32 v23, 31, v23
	v_xor_b32_e32 v22, vcc_lo, v22
	v_add_lshl_u32 v24, v20, v82, 2
	v_and_b32_e32 v21, v21, v26
	s_delay_alu instid0(VALU_DEP_4) | instskip(SKIP_3) | instid1(VALU_DEP_2)
	v_xor_b32_e32 v20, s16, v23
	ds_load_b32 v121, v24 offset:1056
	v_and_b32_e32 v21, v21, v22
	v_add_nc_u32_e32 v123, 0x420, v24
	; wave barrier
	v_and_b32_e32 v20, v21, v20
	s_delay_alu instid0(VALU_DEP_1) | instskip(SKIP_1) | instid1(VALU_DEP_2)
	v_mbcnt_lo_u32_b32 v122, v20, 0
	v_cmp_ne_u32_e64 s16, 0, v20
	v_cmp_eq_u32_e32 vcc_lo, 0, v122
	s_delay_alu instid0(VALU_DEP_2) | instskip(NEXT) | instid1(SALU_CYCLE_1)
	s_and_b32 s17, s16, vcc_lo
	s_and_saveexec_b32 s16, s17
	s_cbranch_execz .LBB91_596
; %bb.595:                              ;   in Loop: Header=BB91_566 Depth=2
	s_waitcnt lgkmcnt(0)
	v_bcnt_u32_b32 v20, v20, v121
	ds_store_b32 v123, v20
.LBB91_596:                             ;   in Loop: Header=BB91_566 Depth=2
	s_or_b32 exec_lo, exec_lo, s16
	; wave barrier
	s_waitcnt lgkmcnt(0)
	s_barrier
	buffer_gl0_inv
	ds_load_b32 v124, v46 offset:1056
	ds_load_2addr_b32 v[26:27], v47 offset0:1 offset1:2
	ds_load_2addr_b32 v[24:25], v47 offset0:3 offset1:4
	;; [unrolled: 1-line block ×4, first 2 shown]
	s_waitcnt lgkmcnt(3)
	v_add3_u32 v125, v26, v124, v27
	s_waitcnt lgkmcnt(2)
	s_delay_alu instid0(VALU_DEP_1) | instskip(SKIP_1) | instid1(VALU_DEP_1)
	v_add3_u32 v125, v125, v24, v25
	s_waitcnt lgkmcnt(1)
	v_add3_u32 v125, v125, v20, v21
	s_waitcnt lgkmcnt(0)
	s_delay_alu instid0(VALU_DEP_1) | instskip(NEXT) | instid1(VALU_DEP_1)
	v_add3_u32 v23, v125, v22, v23
	v_mov_b32_dpp v125, v23 row_shr:1 row_mask:0xf bank_mask:0xf
	s_delay_alu instid0(VALU_DEP_1) | instskip(NEXT) | instid1(VALU_DEP_1)
	v_cndmask_b32_e64 v125, v125, 0, s0
	v_add_nc_u32_e32 v23, v125, v23
	s_delay_alu instid0(VALU_DEP_1) | instskip(NEXT) | instid1(VALU_DEP_1)
	v_mov_b32_dpp v125, v23 row_shr:2 row_mask:0xf bank_mask:0xf
	v_cndmask_b32_e64 v125, 0, v125, s1
	s_delay_alu instid0(VALU_DEP_1) | instskip(NEXT) | instid1(VALU_DEP_1)
	v_add_nc_u32_e32 v23, v23, v125
	v_mov_b32_dpp v125, v23 row_shr:4 row_mask:0xf bank_mask:0xf
	s_delay_alu instid0(VALU_DEP_1) | instskip(NEXT) | instid1(VALU_DEP_1)
	v_cndmask_b32_e64 v125, 0, v125, s8
	v_add_nc_u32_e32 v23, v23, v125
	s_delay_alu instid0(VALU_DEP_1) | instskip(NEXT) | instid1(VALU_DEP_1)
	v_mov_b32_dpp v125, v23 row_shr:8 row_mask:0xf bank_mask:0xf
	v_cndmask_b32_e64 v125, 0, v125, s9
	s_delay_alu instid0(VALU_DEP_1) | instskip(SKIP_3) | instid1(VALU_DEP_1)
	v_add_nc_u32_e32 v23, v23, v125
	ds_swizzle_b32 v125, v23 offset:swizzle(BROADCAST,32,15)
	s_waitcnt lgkmcnt(0)
	v_cndmask_b32_e64 v125, v125, 0, s10
	v_add_nc_u32_e32 v23, v23, v125
	s_and_saveexec_b32 s16, s3
	s_cbranch_execz .LBB91_598
; %bb.597:                              ;   in Loop: Header=BB91_566 Depth=2
	ds_store_b32 v38, v23 offset:1024
.LBB91_598:                             ;   in Loop: Header=BB91_566 Depth=2
	s_or_b32 exec_lo, exec_lo, s16
	s_waitcnt lgkmcnt(0)
	s_barrier
	buffer_gl0_inv
	s_and_saveexec_b32 s16, s4
	s_cbranch_execz .LBB91_600
; %bb.599:                              ;   in Loop: Header=BB91_566 Depth=2
	v_add_nc_u32_e32 v125, v46, v48
	ds_load_b32 v126, v125 offset:1024
	s_waitcnt lgkmcnt(0)
	v_mov_b32_dpp v127, v126 row_shr:1 row_mask:0xf bank_mask:0xf
	s_delay_alu instid0(VALU_DEP_1) | instskip(NEXT) | instid1(VALU_DEP_1)
	v_cndmask_b32_e64 v127, v127, 0, s12
	v_add_nc_u32_e32 v126, v127, v126
	s_delay_alu instid0(VALU_DEP_1) | instskip(NEXT) | instid1(VALU_DEP_1)
	v_mov_b32_dpp v127, v126 row_shr:2 row_mask:0xf bank_mask:0xf
	v_cndmask_b32_e64 v127, 0, v127, s13
	s_delay_alu instid0(VALU_DEP_1) | instskip(NEXT) | instid1(VALU_DEP_1)
	v_add_nc_u32_e32 v126, v126, v127
	v_mov_b32_dpp v127, v126 row_shr:4 row_mask:0xf bank_mask:0xf
	s_delay_alu instid0(VALU_DEP_1) | instskip(NEXT) | instid1(VALU_DEP_1)
	v_cndmask_b32_e64 v127, 0, v127, s14
	v_add_nc_u32_e32 v126, v126, v127
	ds_store_b32 v125, v126 offset:1024
.LBB91_600:                             ;   in Loop: Header=BB91_566 Depth=2
	s_or_b32 exec_lo, exec_lo, s16
	v_mov_b32_e32 v125, 0
	s_waitcnt lgkmcnt(0)
	s_barrier
	buffer_gl0_inv
	s_and_saveexec_b32 s16, s5
	s_cbranch_execz .LBB91_602
; %bb.601:                              ;   in Loop: Header=BB91_566 Depth=2
	ds_load_b32 v125, v38 offset:1020
.LBB91_602:                             ;   in Loop: Header=BB91_566 Depth=2
	s_or_b32 exec_lo, exec_lo, s16
	s_waitcnt lgkmcnt(0)
	v_add_nc_u32_e32 v23, v125, v23
	ds_bpermute_b32 v23, v69, v23
	s_waitcnt lgkmcnt(0)
	v_cndmask_b32_e64 v23, v23, v125, s11
	s_delay_alu instid0(VALU_DEP_1) | instskip(NEXT) | instid1(VALU_DEP_1)
	v_cndmask_b32_e64 v23, v23, 0, s6
	v_add_nc_u32_e32 v124, v23, v124
	s_delay_alu instid0(VALU_DEP_1) | instskip(NEXT) | instid1(VALU_DEP_1)
	v_add_nc_u32_e32 v26, v124, v26
	v_add_nc_u32_e32 v27, v26, v27
	s_delay_alu instid0(VALU_DEP_1) | instskip(NEXT) | instid1(VALU_DEP_1)
	v_add_nc_u32_e32 v24, v27, v24
	;; [unrolled: 3-line block ×3, first 2 shown]
	v_add_nc_u32_e32 v21, v20, v21
	s_delay_alu instid0(VALU_DEP_1)
	v_add_nc_u32_e32 v22, v21, v22
	ds_store_b32 v46, v23 offset:1056
	ds_store_2addr_b32 v47, v124, v26 offset0:1 offset1:2
	ds_store_2addr_b32 v47, v27, v24 offset0:3 offset1:4
	;; [unrolled: 1-line block ×4, first 2 shown]
	v_mov_b32_e32 v22, 0x800
	s_waitcnt lgkmcnt(0)
	s_barrier
	buffer_gl0_inv
	ds_load_b32 v20, v100
	ds_load_b32 v21, v104
	;; [unrolled: 1-line block ×8, first 2 shown]
	ds_load_b32 v27, v46 offset:1056
	s_and_saveexec_b32 s16, s7
	s_cbranch_execz .LBB91_604
; %bb.603:                              ;   in Loop: Header=BB91_566 Depth=2
	ds_load_b32 v22, v49 offset:1056
.LBB91_604:                             ;   in Loop: Header=BB91_566 Depth=2
	s_or_b32 exec_lo, exec_lo, s16
	s_waitcnt lgkmcnt(0)
	s_barrier
	buffer_gl0_inv
	s_and_saveexec_b32 s16, s2
	s_cbranch_execz .LBB91_606
; %bb.605:                              ;   in Loop: Header=BB91_566 Depth=2
	ds_load_b32 v96, v28
	s_waitcnt lgkmcnt(0)
	v_sub_nc_u32_e32 v27, v96, v27
	ds_store_b32 v28, v27
.LBB91_606:                             ;   in Loop: Header=BB91_566 Depth=2
	s_or_b32 exec_lo, exec_lo, s16
	v_add_nc_u32_e32 v100, v26, v94
	v_add3_u32 v96, v98, v97, v20
	v_add3_u32 v94, v102, v101, v21
	;; [unrolled: 1-line block ×7, first 2 shown]
	v_cmp_lt_u32_e64 s22, v1, v2
	ds_store_b8 v100, v93 offset:1024
	ds_store_b8 v96, v95 offset:1024
	;; [unrolled: 1-line block ×8, first 2 shown]
	s_waitcnt lgkmcnt(0)
	s_barrier
	buffer_gl0_inv
	s_and_saveexec_b32 s16, s22
	s_cbranch_execz .LBB91_614
; %bb.607:                              ;   in Loop: Header=BB91_566 Depth=2
	ds_load_u8 v20, v1 offset:1024
	s_waitcnt lgkmcnt(0)
	v_and_b32_e32 v21, 0xff, v20
	v_xor_b32_e32 v20, -1, v20
	s_delay_alu instid0(VALU_DEP_2) | instskip(NEXT) | instid1(VALU_DEP_1)
	v_lshrrev_b32_e32 v21, s49, v21
	v_and_b32_e32 v21, s31, v21
	s_delay_alu instid0(VALU_DEP_1)
	v_lshlrev_b32_e32 v21, 2, v21
	ds_load_b32 v21, v21
	s_waitcnt lgkmcnt(0)
	v_add_nc_u32_e32 v21, v21, v1
	global_store_b8 v21, v20, s[40:41]
	s_or_b32 exec_lo, exec_lo, s16
	v_cmp_lt_u32_e64 s21, v29, v2
	s_delay_alu instid0(VALU_DEP_1)
	s_and_saveexec_b32 s16, s21
	s_cbranch_execnz .LBB91_615
.LBB91_608:                             ;   in Loop: Header=BB91_566 Depth=2
	s_or_b32 exec_lo, exec_lo, s16
	v_cmp_lt_u32_e64 s20, v30, v2
	s_delay_alu instid0(VALU_DEP_1)
	s_and_saveexec_b32 s16, s20
	s_cbranch_execz .LBB91_616
.LBB91_609:                             ;   in Loop: Header=BB91_566 Depth=2
	ds_load_u8 v20, v35 offset:512
	s_waitcnt lgkmcnt(0)
	v_and_b32_e32 v21, 0xff, v20
	v_xor_b32_e32 v20, -1, v20
	s_delay_alu instid0(VALU_DEP_2) | instskip(NEXT) | instid1(VALU_DEP_1)
	v_lshrrev_b32_e32 v21, s49, v21
	v_and_b32_e32 v21, s31, v21
	s_delay_alu instid0(VALU_DEP_1)
	v_lshlrev_b32_e32 v21, 2, v21
	ds_load_b32 v21, v21
	s_waitcnt lgkmcnt(0)
	v_add_nc_u32_e32 v21, v21, v30
	global_store_b8 v21, v20, s[40:41]
	s_or_b32 exec_lo, exec_lo, s16
	v_cmp_lt_u32_e64 s19, v31, v2
	s_delay_alu instid0(VALU_DEP_1)
	s_and_saveexec_b32 s16, s19
	s_cbranch_execnz .LBB91_617
.LBB91_610:                             ;   in Loop: Header=BB91_566 Depth=2
	s_or_b32 exec_lo, exec_lo, s16
	v_cmp_lt_u32_e64 s18, v35, v2
	s_delay_alu instid0(VALU_DEP_1)
	s_and_saveexec_b32 s16, s18
	s_cbranch_execz .LBB91_618
.LBB91_611:                             ;   in Loop: Header=BB91_566 Depth=2
	ds_load_u8 v20, v35 offset:1024
	s_waitcnt lgkmcnt(0)
	v_and_b32_e32 v21, 0xff, v20
	v_xor_b32_e32 v20, -1, v20
	s_delay_alu instid0(VALU_DEP_2) | instskip(NEXT) | instid1(VALU_DEP_1)
	v_lshrrev_b32_e32 v21, s49, v21
	v_and_b32_e32 v21, s31, v21
	s_delay_alu instid0(VALU_DEP_1)
	v_lshlrev_b32_e32 v21, 2, v21
	ds_load_b32 v21, v21
	s_waitcnt lgkmcnt(0)
	v_add_nc_u32_e32 v21, v21, v35
	global_store_b8 v21, v20, s[40:41]
	s_or_b32 exec_lo, exec_lo, s16
	v_cmp_lt_u32_e64 s17, v36, v2
	s_delay_alu instid0(VALU_DEP_1)
	s_and_saveexec_b32 s16, s17
	s_cbranch_execnz .LBB91_619
.LBB91_612:                             ;   in Loop: Header=BB91_566 Depth=2
	s_or_b32 exec_lo, exec_lo, s16
	v_cmp_lt_u32_e64 s16, v37, v2
	s_delay_alu instid0(VALU_DEP_1)
	s_and_saveexec_b32 s23, s16
	s_cbranch_execz .LBB91_620
.LBB91_613:                             ;   in Loop: Header=BB91_566 Depth=2
	ds_load_u8 v20, v35 offset:1536
	s_waitcnt lgkmcnt(0)
	v_and_b32_e32 v21, 0xff, v20
	v_xor_b32_e32 v20, -1, v20
	s_delay_alu instid0(VALU_DEP_2) | instskip(NEXT) | instid1(VALU_DEP_1)
	v_lshrrev_b32_e32 v21, s49, v21
	v_and_b32_e32 v21, s31, v21
	s_delay_alu instid0(VALU_DEP_1)
	v_lshlrev_b32_e32 v21, 2, v21
	ds_load_b32 v21, v21
	s_waitcnt lgkmcnt(0)
	v_add_nc_u32_e32 v21, v21, v37
	global_store_b8 v21, v20, s[40:41]
	s_or_b32 exec_lo, exec_lo, s23
	v_cmp_lt_u32_e32 vcc_lo, v39, v2
	s_and_saveexec_b32 s23, vcc_lo
	s_cbranch_execnz .LBB91_621
	s_branch .LBB91_622
.LBB91_614:                             ;   in Loop: Header=BB91_566 Depth=2
	s_or_b32 exec_lo, exec_lo, s16
	v_cmp_lt_u32_e64 s21, v29, v2
	s_delay_alu instid0(VALU_DEP_1)
	s_and_saveexec_b32 s16, s21
	s_cbranch_execz .LBB91_608
.LBB91_615:                             ;   in Loop: Header=BB91_566 Depth=2
	ds_load_u8 v20, v35 offset:256
	s_waitcnt lgkmcnt(0)
	v_and_b32_e32 v21, 0xff, v20
	v_xor_b32_e32 v20, -1, v20
	s_delay_alu instid0(VALU_DEP_2) | instskip(NEXT) | instid1(VALU_DEP_1)
	v_lshrrev_b32_e32 v21, s49, v21
	v_and_b32_e32 v21, s31, v21
	s_delay_alu instid0(VALU_DEP_1)
	v_lshlrev_b32_e32 v21, 2, v21
	ds_load_b32 v21, v21
	s_waitcnt lgkmcnt(0)
	v_add_nc_u32_e32 v21, v21, v29
	global_store_b8 v21, v20, s[40:41]
	s_or_b32 exec_lo, exec_lo, s16
	v_cmp_lt_u32_e64 s20, v30, v2
	s_delay_alu instid0(VALU_DEP_1)
	s_and_saveexec_b32 s16, s20
	s_cbranch_execnz .LBB91_609
.LBB91_616:                             ;   in Loop: Header=BB91_566 Depth=2
	s_or_b32 exec_lo, exec_lo, s16
	v_cmp_lt_u32_e64 s19, v31, v2
	s_delay_alu instid0(VALU_DEP_1)
	s_and_saveexec_b32 s16, s19
	s_cbranch_execz .LBB91_610
.LBB91_617:                             ;   in Loop: Header=BB91_566 Depth=2
	ds_load_u8 v20, v35 offset:768
	s_waitcnt lgkmcnt(0)
	v_and_b32_e32 v21, 0xff, v20
	v_xor_b32_e32 v20, -1, v20
	s_delay_alu instid0(VALU_DEP_2) | instskip(NEXT) | instid1(VALU_DEP_1)
	v_lshrrev_b32_e32 v21, s49, v21
	v_and_b32_e32 v21, s31, v21
	s_delay_alu instid0(VALU_DEP_1)
	v_lshlrev_b32_e32 v21, 2, v21
	ds_load_b32 v21, v21
	s_waitcnt lgkmcnt(0)
	v_add_nc_u32_e32 v21, v21, v31
	global_store_b8 v21, v20, s[40:41]
	s_or_b32 exec_lo, exec_lo, s16
	v_cmp_lt_u32_e64 s18, v35, v2
	s_delay_alu instid0(VALU_DEP_1)
	s_and_saveexec_b32 s16, s18
	s_cbranch_execnz .LBB91_611
.LBB91_618:                             ;   in Loop: Header=BB91_566 Depth=2
	s_or_b32 exec_lo, exec_lo, s16
	v_cmp_lt_u32_e64 s17, v36, v2
	s_delay_alu instid0(VALU_DEP_1)
	s_and_saveexec_b32 s16, s17
	s_cbranch_execz .LBB91_612
.LBB91_619:                             ;   in Loop: Header=BB91_566 Depth=2
	ds_load_u8 v20, v35 offset:1280
	s_waitcnt lgkmcnt(0)
	v_and_b32_e32 v21, 0xff, v20
	v_xor_b32_e32 v20, -1, v20
	s_delay_alu instid0(VALU_DEP_2) | instskip(NEXT) | instid1(VALU_DEP_1)
	v_lshrrev_b32_e32 v21, s49, v21
	v_and_b32_e32 v21, s31, v21
	s_delay_alu instid0(VALU_DEP_1)
	v_lshlrev_b32_e32 v21, 2, v21
	ds_load_b32 v21, v21
	s_waitcnt lgkmcnt(0)
	v_add_nc_u32_e32 v21, v21, v36
	global_store_b8 v21, v20, s[40:41]
	s_or_b32 exec_lo, exec_lo, s16
	v_cmp_lt_u32_e64 s16, v37, v2
	s_delay_alu instid0(VALU_DEP_1)
	s_and_saveexec_b32 s23, s16
	s_cbranch_execnz .LBB91_613
.LBB91_620:                             ;   in Loop: Header=BB91_566 Depth=2
	s_or_b32 exec_lo, exec_lo, s23
	v_cmp_lt_u32_e32 vcc_lo, v39, v2
	s_and_saveexec_b32 s23, vcc_lo
	s_cbranch_execz .LBB91_622
.LBB91_621:                             ;   in Loop: Header=BB91_566 Depth=2
	ds_load_u8 v20, v35 offset:1792
	s_waitcnt lgkmcnt(0)
	v_and_b32_e32 v21, 0xff, v20
	v_xor_b32_e32 v20, -1, v20
	s_delay_alu instid0(VALU_DEP_2) | instskip(NEXT) | instid1(VALU_DEP_1)
	v_lshrrev_b32_e32 v21, s49, v21
	v_and_b32_e32 v21, s31, v21
	s_delay_alu instid0(VALU_DEP_1)
	v_lshlrev_b32_e32 v21, 2, v21
	ds_load_b32 v21, v21
	s_waitcnt lgkmcnt(0)
	v_add_nc_u32_e32 v21, v21, v39
	global_store_b8 v21, v20, s[40:41]
.LBB91_622:                             ;   in Loop: Header=BB91_566 Depth=2
	s_or_b32 exec_lo, exec_lo, s23
	s_lshl_b64 s[52:53], s[24:25], 3
	s_delay_alu instid0(SALU_CYCLE_1) | instskip(NEXT) | instid1(VALU_DEP_1)
	v_add_co_u32 v20, s23, v73, s52
	v_add_co_ci_u32_e64 v21, s23, s53, v74, s23
	v_cmp_lt_u32_e64 s23, v70, v2
	s_delay_alu instid0(VALU_DEP_1) | instskip(NEXT) | instid1(SALU_CYCLE_1)
	s_and_saveexec_b32 s24, s23
	s_xor_b32 s23, exec_lo, s24
	s_cbranch_execz .LBB91_638
; %bb.623:                              ;   in Loop: Header=BB91_566 Depth=2
	global_load_b64 v[18:19], v[20:21], off
	s_or_b32 exec_lo, exec_lo, s23
	s_delay_alu instid0(SALU_CYCLE_1)
	s_mov_b32 s24, exec_lo
	v_cmpx_lt_u32_e64 v75, v2
	s_cbranch_execnz .LBB91_639
.LBB91_624:                             ;   in Loop: Header=BB91_566 Depth=2
	s_or_b32 exec_lo, exec_lo, s24
	s_delay_alu instid0(SALU_CYCLE_1)
	s_mov_b32 s24, exec_lo
	v_cmpx_lt_u32_e64 v76, v2
	s_cbranch_execz .LBB91_640
.LBB91_625:                             ;   in Loop: Header=BB91_566 Depth=2
	global_load_b64 v[14:15], v[20:21], off offset:512
	s_or_b32 exec_lo, exec_lo, s24
	s_delay_alu instid0(SALU_CYCLE_1)
	s_mov_b32 s24, exec_lo
	v_cmpx_lt_u32_e64 v77, v2
	s_cbranch_execnz .LBB91_641
.LBB91_626:                             ;   in Loop: Header=BB91_566 Depth=2
	s_or_b32 exec_lo, exec_lo, s24
	s_delay_alu instid0(SALU_CYCLE_1)
	s_mov_b32 s24, exec_lo
	v_cmpx_lt_u32_e64 v78, v2
	s_cbranch_execz .LBB91_642
.LBB91_627:                             ;   in Loop: Header=BB91_566 Depth=2
	global_load_b64 v[10:11], v[20:21], off offset:1024
	s_or_b32 exec_lo, exec_lo, s24
	s_delay_alu instid0(SALU_CYCLE_1)
	s_mov_b32 s24, exec_lo
	v_cmpx_lt_u32_e64 v79, v2
	s_cbranch_execnz .LBB91_643
.LBB91_628:                             ;   in Loop: Header=BB91_566 Depth=2
	s_or_b32 exec_lo, exec_lo, s24
	s_delay_alu instid0(SALU_CYCLE_1)
	s_mov_b32 s24, exec_lo
	v_cmpx_lt_u32_e64 v80, v2
	s_cbranch_execz .LBB91_644
.LBB91_629:                             ;   in Loop: Header=BB91_566 Depth=2
	global_load_b64 v[6:7], v[20:21], off offset:1536
	s_or_b32 exec_lo, exec_lo, s24
	s_delay_alu instid0(SALU_CYCLE_1)
	s_mov_b32 s24, exec_lo
	v_cmpx_lt_u32_e64 v81, v2
	s_cbranch_execnz .LBB91_645
.LBB91_630:                             ;   in Loop: Header=BB91_566 Depth=2
	s_or_b32 exec_lo, exec_lo, s24
	s_and_saveexec_b32 s23, s22
	s_cbranch_execz .LBB91_646
.LBB91_631:                             ;   in Loop: Header=BB91_566 Depth=2
	ds_load_u8 v2, v1 offset:1024
	s_waitcnt lgkmcnt(0)
	v_lshrrev_b32_e32 v2, s49, v2
	s_delay_alu instid0(VALU_DEP_1)
	v_and_b32_e32 v92, s31, v2
	s_or_b32 exec_lo, exec_lo, s23
	s_and_saveexec_b32 s23, s21
	s_cbranch_execnz .LBB91_647
.LBB91_632:                             ;   in Loop: Header=BB91_566 Depth=2
	s_or_b32 exec_lo, exec_lo, s23
	s_and_saveexec_b32 s23, s20
	s_cbranch_execz .LBB91_648
.LBB91_633:                             ;   in Loop: Header=BB91_566 Depth=2
	ds_load_u8 v2, v35 offset:512
	s_waitcnt lgkmcnt(0)
	v_lshrrev_b32_e32 v2, s49, v2
	s_delay_alu instid0(VALU_DEP_1)
	v_and_b32_e32 v90, s31, v2
	s_or_b32 exec_lo, exec_lo, s23
	s_and_saveexec_b32 s23, s19
	s_cbranch_execnz .LBB91_649
.LBB91_634:                             ;   in Loop: Header=BB91_566 Depth=2
	s_or_b32 exec_lo, exec_lo, s23
	s_and_saveexec_b32 s23, s18
	s_cbranch_execz .LBB91_650
.LBB91_635:                             ;   in Loop: Header=BB91_566 Depth=2
	ds_load_u8 v2, v35 offset:1024
	s_waitcnt lgkmcnt(0)
	v_lshrrev_b32_e32 v2, s49, v2
	s_delay_alu instid0(VALU_DEP_1)
	v_and_b32_e32 v88, s31, v2
	s_or_b32 exec_lo, exec_lo, s23
	s_and_saveexec_b32 s23, s17
	s_cbranch_execnz .LBB91_651
.LBB91_636:                             ;   in Loop: Header=BB91_566 Depth=2
	s_or_b32 exec_lo, exec_lo, s23
	s_and_saveexec_b32 s23, s16
	s_cbranch_execz .LBB91_652
.LBB91_637:                             ;   in Loop: Header=BB91_566 Depth=2
	ds_load_u8 v2, v35 offset:1536
	s_waitcnt lgkmcnt(0)
	v_lshrrev_b32_e32 v2, s49, v2
	s_delay_alu instid0(VALU_DEP_1)
	v_and_b32_e32 v86, s31, v2
	s_or_b32 exec_lo, exec_lo, s23
	s_and_saveexec_b32 s23, vcc_lo
	s_cbranch_execnz .LBB91_653
	s_branch .LBB91_654
.LBB91_638:                             ;   in Loop: Header=BB91_566 Depth=2
	s_or_b32 exec_lo, exec_lo, s23
	s_delay_alu instid0(SALU_CYCLE_1)
	s_mov_b32 s24, exec_lo
	v_cmpx_lt_u32_e64 v75, v2
	s_cbranch_execz .LBB91_624
.LBB91_639:                             ;   in Loop: Header=BB91_566 Depth=2
	global_load_b64 v[16:17], v[20:21], off offset:256
	s_or_b32 exec_lo, exec_lo, s24
	s_delay_alu instid0(SALU_CYCLE_1)
	s_mov_b32 s24, exec_lo
	v_cmpx_lt_u32_e64 v76, v2
	s_cbranch_execnz .LBB91_625
.LBB91_640:                             ;   in Loop: Header=BB91_566 Depth=2
	s_or_b32 exec_lo, exec_lo, s24
	s_delay_alu instid0(SALU_CYCLE_1)
	s_mov_b32 s24, exec_lo
	v_cmpx_lt_u32_e64 v77, v2
	s_cbranch_execz .LBB91_626
.LBB91_641:                             ;   in Loop: Header=BB91_566 Depth=2
	global_load_b64 v[12:13], v[20:21], off offset:768
	s_or_b32 exec_lo, exec_lo, s24
	s_delay_alu instid0(SALU_CYCLE_1)
	s_mov_b32 s24, exec_lo
	v_cmpx_lt_u32_e64 v78, v2
	s_cbranch_execnz .LBB91_627
.LBB91_642:                             ;   in Loop: Header=BB91_566 Depth=2
	s_or_b32 exec_lo, exec_lo, s24
	s_delay_alu instid0(SALU_CYCLE_1)
	s_mov_b32 s24, exec_lo
	v_cmpx_lt_u32_e64 v79, v2
	s_cbranch_execz .LBB91_628
.LBB91_643:                             ;   in Loop: Header=BB91_566 Depth=2
	global_load_b64 v[8:9], v[20:21], off offset:1280
	s_or_b32 exec_lo, exec_lo, s24
	s_delay_alu instid0(SALU_CYCLE_1)
	s_mov_b32 s24, exec_lo
	v_cmpx_lt_u32_e64 v80, v2
	s_cbranch_execnz .LBB91_629
.LBB91_644:                             ;   in Loop: Header=BB91_566 Depth=2
	s_or_b32 exec_lo, exec_lo, s24
	s_delay_alu instid0(SALU_CYCLE_1)
	s_mov_b32 s24, exec_lo
	v_cmpx_lt_u32_e64 v81, v2
	s_cbranch_execz .LBB91_630
.LBB91_645:                             ;   in Loop: Header=BB91_566 Depth=2
	global_load_b64 v[4:5], v[20:21], off offset:1792
	s_or_b32 exec_lo, exec_lo, s24
	s_and_saveexec_b32 s23, s22
	s_cbranch_execnz .LBB91_631
.LBB91_646:                             ;   in Loop: Header=BB91_566 Depth=2
	s_or_b32 exec_lo, exec_lo, s23
	s_and_saveexec_b32 s23, s21
	s_cbranch_execz .LBB91_632
.LBB91_647:                             ;   in Loop: Header=BB91_566 Depth=2
	ds_load_u8 v2, v35 offset:256
	s_waitcnt lgkmcnt(0)
	v_lshrrev_b32_e32 v2, s49, v2
	s_delay_alu instid0(VALU_DEP_1)
	v_and_b32_e32 v91, s31, v2
	s_or_b32 exec_lo, exec_lo, s23
	s_and_saveexec_b32 s23, s20
	s_cbranch_execnz .LBB91_633
.LBB91_648:                             ;   in Loop: Header=BB91_566 Depth=2
	s_or_b32 exec_lo, exec_lo, s23
	s_and_saveexec_b32 s23, s19
	s_cbranch_execz .LBB91_634
.LBB91_649:                             ;   in Loop: Header=BB91_566 Depth=2
	ds_load_u8 v2, v35 offset:768
	s_waitcnt lgkmcnt(0)
	v_lshrrev_b32_e32 v2, s49, v2
	s_delay_alu instid0(VALU_DEP_1)
	v_and_b32_e32 v89, s31, v2
	s_or_b32 exec_lo, exec_lo, s23
	s_and_saveexec_b32 s23, s18
	s_cbranch_execnz .LBB91_635
.LBB91_650:                             ;   in Loop: Header=BB91_566 Depth=2
	s_or_b32 exec_lo, exec_lo, s23
	s_and_saveexec_b32 s23, s17
	s_cbranch_execz .LBB91_636
.LBB91_651:                             ;   in Loop: Header=BB91_566 Depth=2
	ds_load_u8 v2, v35 offset:1280
	s_waitcnt lgkmcnt(0)
	v_lshrrev_b32_e32 v2, s49, v2
	s_delay_alu instid0(VALU_DEP_1)
	v_and_b32_e32 v87, s31, v2
	s_or_b32 exec_lo, exec_lo, s23
	s_and_saveexec_b32 s23, s16
	s_cbranch_execnz .LBB91_637
.LBB91_652:                             ;   in Loop: Header=BB91_566 Depth=2
	s_or_b32 exec_lo, exec_lo, s23
	s_and_saveexec_b32 s23, vcc_lo
	s_cbranch_execz .LBB91_654
.LBB91_653:                             ;   in Loop: Header=BB91_566 Depth=2
	ds_load_u8 v2, v35 offset:1792
	s_waitcnt lgkmcnt(0)
	v_lshrrev_b32_e32 v2, s49, v2
	s_delay_alu instid0(VALU_DEP_1)
	v_and_b32_e32 v85, s31, v2
.LBB91_654:                             ;   in Loop: Header=BB91_566 Depth=2
	s_or_b32 exec_lo, exec_lo, s23
	v_lshlrev_b32_e32 v2, 3, v100
	v_lshlrev_b32_e32 v20, 3, v96
	;; [unrolled: 1-line block ×3, first 2 shown]
	s_waitcnt vmcnt(0)
	s_waitcnt_vscnt null, 0x0
	s_barrier
	buffer_gl0_inv
	ds_store_b64 v2, v[18:19] offset:1024
	ds_store_b64 v20, v[16:17] offset:1024
	;; [unrolled: 1-line block ×3, first 2 shown]
	v_lshlrev_b32_e32 v2, 3, v27
	v_lshlrev_b32_e32 v20, 3, v26
	;; [unrolled: 1-line block ×5, first 2 shown]
	ds_store_b64 v2, v[12:13] offset:1024
	ds_store_b64 v20, v[10:11] offset:1024
	;; [unrolled: 1-line block ×5, first 2 shown]
	s_waitcnt lgkmcnt(0)
	s_barrier
	buffer_gl0_inv
	s_and_saveexec_b32 s23, s22
	s_cbranch_execz .LBB91_662
; %bb.655:                              ;   in Loop: Header=BB91_566 Depth=2
	v_lshlrev_b32_e32 v2, 2, v92
	v_add_nc_u32_e32 v20, v1, v52
	ds_load_b32 v2, v2
	ds_load_b64 v[20:21], v20 offset:1024
	s_waitcnt lgkmcnt(1)
	v_add_nc_u32_e32 v2, v2, v1
	s_delay_alu instid0(VALU_DEP_1) | instskip(NEXT) | instid1(VALU_DEP_1)
	v_lshlrev_b64 v[23:24], 3, v[2:3]
	v_add_co_u32 v23, s22, s46, v23
	s_delay_alu instid0(VALU_DEP_1)
	v_add_co_ci_u32_e64 v24, s22, s47, v24, s22
	s_waitcnt lgkmcnt(0)
	global_store_b64 v[23:24], v[20:21], off
	s_or_b32 exec_lo, exec_lo, s23
	v_add_nc_u32_e32 v20, v35, v52
	s_and_saveexec_b32 s22, s21
	s_cbranch_execnz .LBB91_663
.LBB91_656:                             ;   in Loop: Header=BB91_566 Depth=2
	s_or_b32 exec_lo, exec_lo, s22
	s_and_saveexec_b32 s21, s20
	s_cbranch_execz .LBB91_664
.LBB91_657:                             ;   in Loop: Header=BB91_566 Depth=2
	v_lshlrev_b32_e32 v2, 2, v90
	ds_load_b32 v2, v2
	ds_load_b64 v[23:24], v20 offset:4096
	s_waitcnt lgkmcnt(1)
	v_add_nc_u32_e32 v2, v2, v30
	s_delay_alu instid0(VALU_DEP_1) | instskip(NEXT) | instid1(VALU_DEP_1)
	v_lshlrev_b64 v[25:26], 3, v[2:3]
	v_add_co_u32 v25, s20, s46, v25
	s_delay_alu instid0(VALU_DEP_1)
	v_add_co_ci_u32_e64 v26, s20, s47, v26, s20
	s_waitcnt lgkmcnt(0)
	global_store_b64 v[25:26], v[23:24], off
	s_or_b32 exec_lo, exec_lo, s21
	s_and_saveexec_b32 s20, s19
	s_cbranch_execnz .LBB91_665
.LBB91_658:                             ;   in Loop: Header=BB91_566 Depth=2
	s_or_b32 exec_lo, exec_lo, s20
	s_and_saveexec_b32 s19, s18
	s_cbranch_execz .LBB91_666
.LBB91_659:                             ;   in Loop: Header=BB91_566 Depth=2
	v_lshlrev_b32_e32 v2, 2, v88
	ds_load_b32 v2, v2
	ds_load_b64 v[23:24], v20 offset:8192
	s_waitcnt lgkmcnt(1)
	v_add_nc_u32_e32 v2, v2, v35
	s_delay_alu instid0(VALU_DEP_1) | instskip(NEXT) | instid1(VALU_DEP_1)
	v_lshlrev_b64 v[25:26], 3, v[2:3]
	v_add_co_u32 v25, s18, s46, v25
	s_delay_alu instid0(VALU_DEP_1)
	v_add_co_ci_u32_e64 v26, s18, s47, v26, s18
	s_waitcnt lgkmcnt(0)
	global_store_b64 v[25:26], v[23:24], off
	s_or_b32 exec_lo, exec_lo, s19
	s_and_saveexec_b32 s18, s17
	s_cbranch_execnz .LBB91_667
.LBB91_660:                             ;   in Loop: Header=BB91_566 Depth=2
	s_or_b32 exec_lo, exec_lo, s18
	s_and_saveexec_b32 s17, s16
	s_cbranch_execz .LBB91_668
.LBB91_661:                             ;   in Loop: Header=BB91_566 Depth=2
	v_lshlrev_b32_e32 v2, 2, v86
	ds_load_b32 v2, v2
	ds_load_b64 v[23:24], v20 offset:12288
	s_waitcnt lgkmcnt(1)
	v_add_nc_u32_e32 v2, v2, v37
	s_delay_alu instid0(VALU_DEP_1) | instskip(NEXT) | instid1(VALU_DEP_1)
	v_lshlrev_b64 v[25:26], 3, v[2:3]
	v_add_co_u32 v25, s16, s46, v25
	s_delay_alu instid0(VALU_DEP_1)
	v_add_co_ci_u32_e64 v26, s16, s47, v26, s16
	s_waitcnt lgkmcnt(0)
	global_store_b64 v[25:26], v[23:24], off
	s_or_b32 exec_lo, exec_lo, s17
	s_and_saveexec_b32 s16, vcc_lo
	s_cbranch_execnz .LBB91_669
	s_branch .LBB91_670
.LBB91_662:                             ;   in Loop: Header=BB91_566 Depth=2
	s_or_b32 exec_lo, exec_lo, s23
	v_add_nc_u32_e32 v20, v35, v52
	s_and_saveexec_b32 s22, s21
	s_cbranch_execz .LBB91_656
.LBB91_663:                             ;   in Loop: Header=BB91_566 Depth=2
	v_lshlrev_b32_e32 v2, 2, v91
	ds_load_b32 v2, v2
	ds_load_b64 v[23:24], v20 offset:2048
	s_waitcnt lgkmcnt(1)
	v_add_nc_u32_e32 v2, v2, v29
	s_delay_alu instid0(VALU_DEP_1) | instskip(NEXT) | instid1(VALU_DEP_1)
	v_lshlrev_b64 v[25:26], 3, v[2:3]
	v_add_co_u32 v25, s21, s46, v25
	s_delay_alu instid0(VALU_DEP_1)
	v_add_co_ci_u32_e64 v26, s21, s47, v26, s21
	s_waitcnt lgkmcnt(0)
	global_store_b64 v[25:26], v[23:24], off
	s_or_b32 exec_lo, exec_lo, s22
	s_and_saveexec_b32 s21, s20
	s_cbranch_execnz .LBB91_657
.LBB91_664:                             ;   in Loop: Header=BB91_566 Depth=2
	s_or_b32 exec_lo, exec_lo, s21
	s_and_saveexec_b32 s20, s19
	s_cbranch_execz .LBB91_658
.LBB91_665:                             ;   in Loop: Header=BB91_566 Depth=2
	v_lshlrev_b32_e32 v2, 2, v89
	ds_load_b32 v2, v2
	ds_load_b64 v[23:24], v20 offset:6144
	s_waitcnt lgkmcnt(1)
	v_add_nc_u32_e32 v2, v2, v31
	s_delay_alu instid0(VALU_DEP_1) | instskip(NEXT) | instid1(VALU_DEP_1)
	v_lshlrev_b64 v[25:26], 3, v[2:3]
	v_add_co_u32 v25, s19, s46, v25
	s_delay_alu instid0(VALU_DEP_1)
	v_add_co_ci_u32_e64 v26, s19, s47, v26, s19
	s_waitcnt lgkmcnt(0)
	global_store_b64 v[25:26], v[23:24], off
	s_or_b32 exec_lo, exec_lo, s20
	s_and_saveexec_b32 s19, s18
	s_cbranch_execnz .LBB91_659
.LBB91_666:                             ;   in Loop: Header=BB91_566 Depth=2
	s_or_b32 exec_lo, exec_lo, s19
	s_and_saveexec_b32 s18, s17
	s_cbranch_execz .LBB91_660
.LBB91_667:                             ;   in Loop: Header=BB91_566 Depth=2
	v_lshlrev_b32_e32 v2, 2, v87
	ds_load_b32 v2, v2
	ds_load_b64 v[23:24], v20 offset:10240
	s_waitcnt lgkmcnt(1)
	v_add_nc_u32_e32 v2, v2, v36
	s_delay_alu instid0(VALU_DEP_1) | instskip(NEXT) | instid1(VALU_DEP_1)
	v_lshlrev_b64 v[25:26], 3, v[2:3]
	v_add_co_u32 v25, s17, s46, v25
	s_delay_alu instid0(VALU_DEP_1)
	v_add_co_ci_u32_e64 v26, s17, s47, v26, s17
	s_waitcnt lgkmcnt(0)
	global_store_b64 v[25:26], v[23:24], off
	s_or_b32 exec_lo, exec_lo, s18
	s_and_saveexec_b32 s17, s16
	s_cbranch_execnz .LBB91_661
.LBB91_668:                             ;   in Loop: Header=BB91_566 Depth=2
	s_or_b32 exec_lo, exec_lo, s17
	s_and_saveexec_b32 s16, vcc_lo
	s_cbranch_execz .LBB91_670
.LBB91_669:                             ;   in Loop: Header=BB91_566 Depth=2
	v_lshlrev_b32_e32 v2, 2, v85
	ds_load_b32 v2, v2
	ds_load_b64 v[20:21], v20 offset:14336
	s_waitcnt lgkmcnt(1)
	v_add_nc_u32_e32 v2, v2, v39
	s_delay_alu instid0(VALU_DEP_1) | instskip(NEXT) | instid1(VALU_DEP_1)
	v_lshlrev_b64 v[23:24], 3, v[2:3]
	v_add_co_u32 v23, vcc_lo, s46, v23
	s_delay_alu instid0(VALU_DEP_2)
	v_add_co_ci_u32_e32 v24, vcc_lo, s47, v24, vcc_lo
	s_waitcnt lgkmcnt(0)
	global_store_b64 v[23:24], v[20:21], off
.LBB91_670:                             ;   in Loop: Header=BB91_566 Depth=2
	s_or_b32 exec_lo, exec_lo, s16
	s_waitcnt_vscnt null, 0x0
	s_barrier
	buffer_gl0_inv
	s_and_saveexec_b32 s16, s2
	s_cbranch_execz .LBB91_565
; %bb.671:                              ;   in Loop: Header=BB91_566 Depth=2
	ds_load_b32 v2, v28
	s_waitcnt lgkmcnt(0)
	v_add_nc_u32_e32 v2, v2, v22
	ds_store_b32 v28, v2
	s_branch .LBB91_565
.LBB91_672:                             ;   in Loop: Header=BB91_566 Depth=2
	s_or_b32 exec_lo, exec_lo, s16
	s_delay_alu instid0(SALU_CYCLE_1)
	s_mov_b32 s16, exec_lo
	v_cmpx_gt_u32_e64 s42, v75
	s_cbranch_execz .LBB91_571
.LBB91_673:                             ;   in Loop: Header=BB91_566 Depth=2
	global_load_u8 v2, v[22:23], off offset:32
	s_waitcnt vmcnt(0)
	v_perm_b32 v20, v20, v2, 0x7060004
	s_or_b32 exec_lo, exec_lo, s16
	s_delay_alu instid0(SALU_CYCLE_1)
	s_mov_b32 s16, exec_lo
	v_cmpx_gt_u32_e64 s42, v76
	s_cbranch_execnz .LBB91_572
.LBB91_674:                             ;   in Loop: Header=BB91_566 Depth=2
	s_or_b32 exec_lo, exec_lo, s16
	s_delay_alu instid0(SALU_CYCLE_1)
	s_mov_b32 s16, exec_lo
	v_cmpx_gt_u32_e64 s42, v77
	s_cbranch_execz .LBB91_573
.LBB91_675:                             ;   in Loop: Header=BB91_566 Depth=2
	global_load_u8 v2, v[22:23], off offset:96
	v_lshrrev_b32_e32 v24, 16, v20
	s_delay_alu instid0(VALU_DEP_1) | instskip(SKIP_2) | instid1(VALU_DEP_1)
	v_and_b32_e32 v24, 0xff, v24
	s_waitcnt vmcnt(0)
	v_lshlrev_b16 v2, 8, v2
	v_or_b32_e32 v2, v24, v2
	s_delay_alu instid0(VALU_DEP_1) | instskip(NEXT) | instid1(VALU_DEP_1)
	v_lshlrev_b32_e32 v2, 16, v2
	v_and_or_b32 v20, 0xffff, v20, v2
	s_or_b32 exec_lo, exec_lo, s16
	s_delay_alu instid0(SALU_CYCLE_1)
	s_mov_b32 s16, exec_lo
	v_cmpx_gt_u32_e64 s42, v78
	s_cbranch_execnz .LBB91_574
.LBB91_676:                             ;   in Loop: Header=BB91_566 Depth=2
	s_or_b32 exec_lo, exec_lo, s16
	s_delay_alu instid0(SALU_CYCLE_1)
	s_mov_b32 s16, exec_lo
	v_cmpx_gt_u32_e64 s42, v79
	s_cbranch_execz .LBB91_575
.LBB91_677:                             ;   in Loop: Header=BB91_566 Depth=2
	global_load_u8 v2, v[22:23], off offset:160
	s_waitcnt vmcnt(0)
	v_perm_b32 v21, v21, v2, 0x7060004
	s_or_b32 exec_lo, exec_lo, s16
	s_delay_alu instid0(SALU_CYCLE_1)
	s_mov_b32 s16, exec_lo
	v_cmpx_gt_u32_e64 s42, v80
	s_cbranch_execnz .LBB91_576
	s_branch .LBB91_577
.LBB91_678:
	s_endpgm
	.section	.rodata,"a",@progbits
	.p2align	6, 0x0
	.amdhsa_kernel _ZN7rocprim17ROCPRIM_400000_NS6detail17trampoline_kernelINS0_14default_configENS1_36segmented_radix_sort_config_selectorIhlEEZNS1_25segmented_radix_sort_implIS3_Lb1EPKhPhPKlPlN2at6native12_GLOBAL__N_18offset_tEEE10hipError_tPvRmT1_PNSt15iterator_traitsISK_E10value_typeET2_T3_PNSL_ISQ_E10value_typeET4_jRbjT5_SW_jjP12ihipStream_tbEUlT_E_NS1_11comp_targetILNS1_3genE9ELNS1_11target_archE1100ELNS1_3gpuE3ELNS1_3repE0EEENS1_30default_config_static_selectorELNS0_4arch9wavefront6targetE0EEEvSK_
		.amdhsa_group_segment_fixed_size 17440
		.amdhsa_private_segment_fixed_size 0
		.amdhsa_kernarg_size 352
		.amdhsa_user_sgpr_count 14
		.amdhsa_user_sgpr_dispatch_ptr 0
		.amdhsa_user_sgpr_queue_ptr 0
		.amdhsa_user_sgpr_kernarg_segment_ptr 1
		.amdhsa_user_sgpr_dispatch_id 0
		.amdhsa_user_sgpr_private_segment_size 0
		.amdhsa_wavefront_size32 1
		.amdhsa_uses_dynamic_stack 0
		.amdhsa_enable_private_segment 0
		.amdhsa_system_sgpr_workgroup_id_x 1
		.amdhsa_system_sgpr_workgroup_id_y 1
		.amdhsa_system_sgpr_workgroup_id_z 0
		.amdhsa_system_sgpr_workgroup_info 0
		.amdhsa_system_vgpr_workitem_id 2
		.amdhsa_next_free_vgpr 183
		.amdhsa_next_free_sgpr 54
		.amdhsa_reserve_vcc 1
		.amdhsa_float_round_mode_32 0
		.amdhsa_float_round_mode_16_64 0
		.amdhsa_float_denorm_mode_32 3
		.amdhsa_float_denorm_mode_16_64 3
		.amdhsa_dx10_clamp 1
		.amdhsa_ieee_mode 1
		.amdhsa_fp16_overflow 0
		.amdhsa_workgroup_processor_mode 1
		.amdhsa_memory_ordered 1
		.amdhsa_forward_progress 0
		.amdhsa_shared_vgpr_count 0
		.amdhsa_exception_fp_ieee_invalid_op 0
		.amdhsa_exception_fp_denorm_src 0
		.amdhsa_exception_fp_ieee_div_zero 0
		.amdhsa_exception_fp_ieee_overflow 0
		.amdhsa_exception_fp_ieee_underflow 0
		.amdhsa_exception_fp_ieee_inexact 0
		.amdhsa_exception_int_div_zero 0
	.end_amdhsa_kernel
	.section	.text._ZN7rocprim17ROCPRIM_400000_NS6detail17trampoline_kernelINS0_14default_configENS1_36segmented_radix_sort_config_selectorIhlEEZNS1_25segmented_radix_sort_implIS3_Lb1EPKhPhPKlPlN2at6native12_GLOBAL__N_18offset_tEEE10hipError_tPvRmT1_PNSt15iterator_traitsISK_E10value_typeET2_T3_PNSL_ISQ_E10value_typeET4_jRbjT5_SW_jjP12ihipStream_tbEUlT_E_NS1_11comp_targetILNS1_3genE9ELNS1_11target_archE1100ELNS1_3gpuE3ELNS1_3repE0EEENS1_30default_config_static_selectorELNS0_4arch9wavefront6targetE0EEEvSK_,"axG",@progbits,_ZN7rocprim17ROCPRIM_400000_NS6detail17trampoline_kernelINS0_14default_configENS1_36segmented_radix_sort_config_selectorIhlEEZNS1_25segmented_radix_sort_implIS3_Lb1EPKhPhPKlPlN2at6native12_GLOBAL__N_18offset_tEEE10hipError_tPvRmT1_PNSt15iterator_traitsISK_E10value_typeET2_T3_PNSL_ISQ_E10value_typeET4_jRbjT5_SW_jjP12ihipStream_tbEUlT_E_NS1_11comp_targetILNS1_3genE9ELNS1_11target_archE1100ELNS1_3gpuE3ELNS1_3repE0EEENS1_30default_config_static_selectorELNS0_4arch9wavefront6targetE0EEEvSK_,comdat
.Lfunc_end91:
	.size	_ZN7rocprim17ROCPRIM_400000_NS6detail17trampoline_kernelINS0_14default_configENS1_36segmented_radix_sort_config_selectorIhlEEZNS1_25segmented_radix_sort_implIS3_Lb1EPKhPhPKlPlN2at6native12_GLOBAL__N_18offset_tEEE10hipError_tPvRmT1_PNSt15iterator_traitsISK_E10value_typeET2_T3_PNSL_ISQ_E10value_typeET4_jRbjT5_SW_jjP12ihipStream_tbEUlT_E_NS1_11comp_targetILNS1_3genE9ELNS1_11target_archE1100ELNS1_3gpuE3ELNS1_3repE0EEENS1_30default_config_static_selectorELNS0_4arch9wavefront6targetE0EEEvSK_, .Lfunc_end91-_ZN7rocprim17ROCPRIM_400000_NS6detail17trampoline_kernelINS0_14default_configENS1_36segmented_radix_sort_config_selectorIhlEEZNS1_25segmented_radix_sort_implIS3_Lb1EPKhPhPKlPlN2at6native12_GLOBAL__N_18offset_tEEE10hipError_tPvRmT1_PNSt15iterator_traitsISK_E10value_typeET2_T3_PNSL_ISQ_E10value_typeET4_jRbjT5_SW_jjP12ihipStream_tbEUlT_E_NS1_11comp_targetILNS1_3genE9ELNS1_11target_archE1100ELNS1_3gpuE3ELNS1_3repE0EEENS1_30default_config_static_selectorELNS0_4arch9wavefront6targetE0EEEvSK_
                                        ; -- End function
	.section	.AMDGPU.csdata,"",@progbits
; Kernel info:
; codeLenInByte = 39704
; NumSgprs: 56
; NumVgprs: 183
; ScratchSize: 0
; MemoryBound: 0
; FloatMode: 240
; IeeeMode: 1
; LDSByteSize: 17440 bytes/workgroup (compile time only)
; SGPRBlocks: 6
; VGPRBlocks: 22
; NumSGPRsForWavesPerEU: 56
; NumVGPRsForWavesPerEU: 183
; Occupancy: 8
; WaveLimiterHint : 1
; COMPUTE_PGM_RSRC2:SCRATCH_EN: 0
; COMPUTE_PGM_RSRC2:USER_SGPR: 14
; COMPUTE_PGM_RSRC2:TRAP_HANDLER: 0
; COMPUTE_PGM_RSRC2:TGID_X_EN: 1
; COMPUTE_PGM_RSRC2:TGID_Y_EN: 1
; COMPUTE_PGM_RSRC2:TGID_Z_EN: 0
; COMPUTE_PGM_RSRC2:TIDIG_COMP_CNT: 2
	.section	.text._ZN7rocprim17ROCPRIM_400000_NS6detail17trampoline_kernelINS0_14default_configENS1_36segmented_radix_sort_config_selectorIhlEEZNS1_25segmented_radix_sort_implIS3_Lb1EPKhPhPKlPlN2at6native12_GLOBAL__N_18offset_tEEE10hipError_tPvRmT1_PNSt15iterator_traitsISK_E10value_typeET2_T3_PNSL_ISQ_E10value_typeET4_jRbjT5_SW_jjP12ihipStream_tbEUlT_E_NS1_11comp_targetILNS1_3genE8ELNS1_11target_archE1030ELNS1_3gpuE2ELNS1_3repE0EEENS1_30default_config_static_selectorELNS0_4arch9wavefront6targetE0EEEvSK_,"axG",@progbits,_ZN7rocprim17ROCPRIM_400000_NS6detail17trampoline_kernelINS0_14default_configENS1_36segmented_radix_sort_config_selectorIhlEEZNS1_25segmented_radix_sort_implIS3_Lb1EPKhPhPKlPlN2at6native12_GLOBAL__N_18offset_tEEE10hipError_tPvRmT1_PNSt15iterator_traitsISK_E10value_typeET2_T3_PNSL_ISQ_E10value_typeET4_jRbjT5_SW_jjP12ihipStream_tbEUlT_E_NS1_11comp_targetILNS1_3genE8ELNS1_11target_archE1030ELNS1_3gpuE2ELNS1_3repE0EEENS1_30default_config_static_selectorELNS0_4arch9wavefront6targetE0EEEvSK_,comdat
	.globl	_ZN7rocprim17ROCPRIM_400000_NS6detail17trampoline_kernelINS0_14default_configENS1_36segmented_radix_sort_config_selectorIhlEEZNS1_25segmented_radix_sort_implIS3_Lb1EPKhPhPKlPlN2at6native12_GLOBAL__N_18offset_tEEE10hipError_tPvRmT1_PNSt15iterator_traitsISK_E10value_typeET2_T3_PNSL_ISQ_E10value_typeET4_jRbjT5_SW_jjP12ihipStream_tbEUlT_E_NS1_11comp_targetILNS1_3genE8ELNS1_11target_archE1030ELNS1_3gpuE2ELNS1_3repE0EEENS1_30default_config_static_selectorELNS0_4arch9wavefront6targetE0EEEvSK_ ; -- Begin function _ZN7rocprim17ROCPRIM_400000_NS6detail17trampoline_kernelINS0_14default_configENS1_36segmented_radix_sort_config_selectorIhlEEZNS1_25segmented_radix_sort_implIS3_Lb1EPKhPhPKlPlN2at6native12_GLOBAL__N_18offset_tEEE10hipError_tPvRmT1_PNSt15iterator_traitsISK_E10value_typeET2_T3_PNSL_ISQ_E10value_typeET4_jRbjT5_SW_jjP12ihipStream_tbEUlT_E_NS1_11comp_targetILNS1_3genE8ELNS1_11target_archE1030ELNS1_3gpuE2ELNS1_3repE0EEENS1_30default_config_static_selectorELNS0_4arch9wavefront6targetE0EEEvSK_
	.p2align	8
	.type	_ZN7rocprim17ROCPRIM_400000_NS6detail17trampoline_kernelINS0_14default_configENS1_36segmented_radix_sort_config_selectorIhlEEZNS1_25segmented_radix_sort_implIS3_Lb1EPKhPhPKlPlN2at6native12_GLOBAL__N_18offset_tEEE10hipError_tPvRmT1_PNSt15iterator_traitsISK_E10value_typeET2_T3_PNSL_ISQ_E10value_typeET4_jRbjT5_SW_jjP12ihipStream_tbEUlT_E_NS1_11comp_targetILNS1_3genE8ELNS1_11target_archE1030ELNS1_3gpuE2ELNS1_3repE0EEENS1_30default_config_static_selectorELNS0_4arch9wavefront6targetE0EEEvSK_,@function
_ZN7rocprim17ROCPRIM_400000_NS6detail17trampoline_kernelINS0_14default_configENS1_36segmented_radix_sort_config_selectorIhlEEZNS1_25segmented_radix_sort_implIS3_Lb1EPKhPhPKlPlN2at6native12_GLOBAL__N_18offset_tEEE10hipError_tPvRmT1_PNSt15iterator_traitsISK_E10value_typeET2_T3_PNSL_ISQ_E10value_typeET4_jRbjT5_SW_jjP12ihipStream_tbEUlT_E_NS1_11comp_targetILNS1_3genE8ELNS1_11target_archE1030ELNS1_3gpuE2ELNS1_3repE0EEENS1_30default_config_static_selectorELNS0_4arch9wavefront6targetE0EEEvSK_: ; @_ZN7rocprim17ROCPRIM_400000_NS6detail17trampoline_kernelINS0_14default_configENS1_36segmented_radix_sort_config_selectorIhlEEZNS1_25segmented_radix_sort_implIS3_Lb1EPKhPhPKlPlN2at6native12_GLOBAL__N_18offset_tEEE10hipError_tPvRmT1_PNSt15iterator_traitsISK_E10value_typeET2_T3_PNSL_ISQ_E10value_typeET4_jRbjT5_SW_jjP12ihipStream_tbEUlT_E_NS1_11comp_targetILNS1_3genE8ELNS1_11target_archE1030ELNS1_3gpuE2ELNS1_3repE0EEENS1_30default_config_static_selectorELNS0_4arch9wavefront6targetE0EEEvSK_
; %bb.0:
	.section	.rodata,"a",@progbits
	.p2align	6, 0x0
	.amdhsa_kernel _ZN7rocprim17ROCPRIM_400000_NS6detail17trampoline_kernelINS0_14default_configENS1_36segmented_radix_sort_config_selectorIhlEEZNS1_25segmented_radix_sort_implIS3_Lb1EPKhPhPKlPlN2at6native12_GLOBAL__N_18offset_tEEE10hipError_tPvRmT1_PNSt15iterator_traitsISK_E10value_typeET2_T3_PNSL_ISQ_E10value_typeET4_jRbjT5_SW_jjP12ihipStream_tbEUlT_E_NS1_11comp_targetILNS1_3genE8ELNS1_11target_archE1030ELNS1_3gpuE2ELNS1_3repE0EEENS1_30default_config_static_selectorELNS0_4arch9wavefront6targetE0EEEvSK_
		.amdhsa_group_segment_fixed_size 0
		.amdhsa_private_segment_fixed_size 0
		.amdhsa_kernarg_size 96
		.amdhsa_user_sgpr_count 15
		.amdhsa_user_sgpr_dispatch_ptr 0
		.amdhsa_user_sgpr_queue_ptr 0
		.amdhsa_user_sgpr_kernarg_segment_ptr 1
		.amdhsa_user_sgpr_dispatch_id 0
		.amdhsa_user_sgpr_private_segment_size 0
		.amdhsa_wavefront_size32 1
		.amdhsa_uses_dynamic_stack 0
		.amdhsa_enable_private_segment 0
		.amdhsa_system_sgpr_workgroup_id_x 1
		.amdhsa_system_sgpr_workgroup_id_y 0
		.amdhsa_system_sgpr_workgroup_id_z 0
		.amdhsa_system_sgpr_workgroup_info 0
		.amdhsa_system_vgpr_workitem_id 0
		.amdhsa_next_free_vgpr 1
		.amdhsa_next_free_sgpr 1
		.amdhsa_reserve_vcc 0
		.amdhsa_float_round_mode_32 0
		.amdhsa_float_round_mode_16_64 0
		.amdhsa_float_denorm_mode_32 3
		.amdhsa_float_denorm_mode_16_64 3
		.amdhsa_dx10_clamp 1
		.amdhsa_ieee_mode 1
		.amdhsa_fp16_overflow 0
		.amdhsa_workgroup_processor_mode 1
		.amdhsa_memory_ordered 1
		.amdhsa_forward_progress 0
		.amdhsa_shared_vgpr_count 0
		.amdhsa_exception_fp_ieee_invalid_op 0
		.amdhsa_exception_fp_denorm_src 0
		.amdhsa_exception_fp_ieee_div_zero 0
		.amdhsa_exception_fp_ieee_overflow 0
		.amdhsa_exception_fp_ieee_underflow 0
		.amdhsa_exception_fp_ieee_inexact 0
		.amdhsa_exception_int_div_zero 0
	.end_amdhsa_kernel
	.section	.text._ZN7rocprim17ROCPRIM_400000_NS6detail17trampoline_kernelINS0_14default_configENS1_36segmented_radix_sort_config_selectorIhlEEZNS1_25segmented_radix_sort_implIS3_Lb1EPKhPhPKlPlN2at6native12_GLOBAL__N_18offset_tEEE10hipError_tPvRmT1_PNSt15iterator_traitsISK_E10value_typeET2_T3_PNSL_ISQ_E10value_typeET4_jRbjT5_SW_jjP12ihipStream_tbEUlT_E_NS1_11comp_targetILNS1_3genE8ELNS1_11target_archE1030ELNS1_3gpuE2ELNS1_3repE0EEENS1_30default_config_static_selectorELNS0_4arch9wavefront6targetE0EEEvSK_,"axG",@progbits,_ZN7rocprim17ROCPRIM_400000_NS6detail17trampoline_kernelINS0_14default_configENS1_36segmented_radix_sort_config_selectorIhlEEZNS1_25segmented_radix_sort_implIS3_Lb1EPKhPhPKlPlN2at6native12_GLOBAL__N_18offset_tEEE10hipError_tPvRmT1_PNSt15iterator_traitsISK_E10value_typeET2_T3_PNSL_ISQ_E10value_typeET4_jRbjT5_SW_jjP12ihipStream_tbEUlT_E_NS1_11comp_targetILNS1_3genE8ELNS1_11target_archE1030ELNS1_3gpuE2ELNS1_3repE0EEENS1_30default_config_static_selectorELNS0_4arch9wavefront6targetE0EEEvSK_,comdat
.Lfunc_end92:
	.size	_ZN7rocprim17ROCPRIM_400000_NS6detail17trampoline_kernelINS0_14default_configENS1_36segmented_radix_sort_config_selectorIhlEEZNS1_25segmented_radix_sort_implIS3_Lb1EPKhPhPKlPlN2at6native12_GLOBAL__N_18offset_tEEE10hipError_tPvRmT1_PNSt15iterator_traitsISK_E10value_typeET2_T3_PNSL_ISQ_E10value_typeET4_jRbjT5_SW_jjP12ihipStream_tbEUlT_E_NS1_11comp_targetILNS1_3genE8ELNS1_11target_archE1030ELNS1_3gpuE2ELNS1_3repE0EEENS1_30default_config_static_selectorELNS0_4arch9wavefront6targetE0EEEvSK_, .Lfunc_end92-_ZN7rocprim17ROCPRIM_400000_NS6detail17trampoline_kernelINS0_14default_configENS1_36segmented_radix_sort_config_selectorIhlEEZNS1_25segmented_radix_sort_implIS3_Lb1EPKhPhPKlPlN2at6native12_GLOBAL__N_18offset_tEEE10hipError_tPvRmT1_PNSt15iterator_traitsISK_E10value_typeET2_T3_PNSL_ISQ_E10value_typeET4_jRbjT5_SW_jjP12ihipStream_tbEUlT_E_NS1_11comp_targetILNS1_3genE8ELNS1_11target_archE1030ELNS1_3gpuE2ELNS1_3repE0EEENS1_30default_config_static_selectorELNS0_4arch9wavefront6targetE0EEEvSK_
                                        ; -- End function
	.section	.AMDGPU.csdata,"",@progbits
; Kernel info:
; codeLenInByte = 0
; NumSgprs: 0
; NumVgprs: 0
; ScratchSize: 0
; MemoryBound: 0
; FloatMode: 240
; IeeeMode: 1
; LDSByteSize: 0 bytes/workgroup (compile time only)
; SGPRBlocks: 0
; VGPRBlocks: 0
; NumSGPRsForWavesPerEU: 1
; NumVGPRsForWavesPerEU: 1
; Occupancy: 16
; WaveLimiterHint : 0
; COMPUTE_PGM_RSRC2:SCRATCH_EN: 0
; COMPUTE_PGM_RSRC2:USER_SGPR: 15
; COMPUTE_PGM_RSRC2:TRAP_HANDLER: 0
; COMPUTE_PGM_RSRC2:TGID_X_EN: 1
; COMPUTE_PGM_RSRC2:TGID_Y_EN: 0
; COMPUTE_PGM_RSRC2:TGID_Z_EN: 0
; COMPUTE_PGM_RSRC2:TIDIG_COMP_CNT: 0
	.section	.text._ZN7rocprim17ROCPRIM_400000_NS6detail17trampoline_kernelINS0_14default_configENS1_36segmented_radix_sort_config_selectorIhlEEZNS1_25segmented_radix_sort_implIS3_Lb1EPKhPhPKlPlN2at6native12_GLOBAL__N_18offset_tEEE10hipError_tPvRmT1_PNSt15iterator_traitsISK_E10value_typeET2_T3_PNSL_ISQ_E10value_typeET4_jRbjT5_SW_jjP12ihipStream_tbEUlT_E0_NS1_11comp_targetILNS1_3genE0ELNS1_11target_archE4294967295ELNS1_3gpuE0ELNS1_3repE0EEENS1_60segmented_radix_sort_warp_sort_medium_config_static_selectorELNS0_4arch9wavefront6targetE0EEEvSK_,"axG",@progbits,_ZN7rocprim17ROCPRIM_400000_NS6detail17trampoline_kernelINS0_14default_configENS1_36segmented_radix_sort_config_selectorIhlEEZNS1_25segmented_radix_sort_implIS3_Lb1EPKhPhPKlPlN2at6native12_GLOBAL__N_18offset_tEEE10hipError_tPvRmT1_PNSt15iterator_traitsISK_E10value_typeET2_T3_PNSL_ISQ_E10value_typeET4_jRbjT5_SW_jjP12ihipStream_tbEUlT_E0_NS1_11comp_targetILNS1_3genE0ELNS1_11target_archE4294967295ELNS1_3gpuE0ELNS1_3repE0EEENS1_60segmented_radix_sort_warp_sort_medium_config_static_selectorELNS0_4arch9wavefront6targetE0EEEvSK_,comdat
	.globl	_ZN7rocprim17ROCPRIM_400000_NS6detail17trampoline_kernelINS0_14default_configENS1_36segmented_radix_sort_config_selectorIhlEEZNS1_25segmented_radix_sort_implIS3_Lb1EPKhPhPKlPlN2at6native12_GLOBAL__N_18offset_tEEE10hipError_tPvRmT1_PNSt15iterator_traitsISK_E10value_typeET2_T3_PNSL_ISQ_E10value_typeET4_jRbjT5_SW_jjP12ihipStream_tbEUlT_E0_NS1_11comp_targetILNS1_3genE0ELNS1_11target_archE4294967295ELNS1_3gpuE0ELNS1_3repE0EEENS1_60segmented_radix_sort_warp_sort_medium_config_static_selectorELNS0_4arch9wavefront6targetE0EEEvSK_ ; -- Begin function _ZN7rocprim17ROCPRIM_400000_NS6detail17trampoline_kernelINS0_14default_configENS1_36segmented_radix_sort_config_selectorIhlEEZNS1_25segmented_radix_sort_implIS3_Lb1EPKhPhPKlPlN2at6native12_GLOBAL__N_18offset_tEEE10hipError_tPvRmT1_PNSt15iterator_traitsISK_E10value_typeET2_T3_PNSL_ISQ_E10value_typeET4_jRbjT5_SW_jjP12ihipStream_tbEUlT_E0_NS1_11comp_targetILNS1_3genE0ELNS1_11target_archE4294967295ELNS1_3gpuE0ELNS1_3repE0EEENS1_60segmented_radix_sort_warp_sort_medium_config_static_selectorELNS0_4arch9wavefront6targetE0EEEvSK_
	.p2align	8
	.type	_ZN7rocprim17ROCPRIM_400000_NS6detail17trampoline_kernelINS0_14default_configENS1_36segmented_radix_sort_config_selectorIhlEEZNS1_25segmented_radix_sort_implIS3_Lb1EPKhPhPKlPlN2at6native12_GLOBAL__N_18offset_tEEE10hipError_tPvRmT1_PNSt15iterator_traitsISK_E10value_typeET2_T3_PNSL_ISQ_E10value_typeET4_jRbjT5_SW_jjP12ihipStream_tbEUlT_E0_NS1_11comp_targetILNS1_3genE0ELNS1_11target_archE4294967295ELNS1_3gpuE0ELNS1_3repE0EEENS1_60segmented_radix_sort_warp_sort_medium_config_static_selectorELNS0_4arch9wavefront6targetE0EEEvSK_,@function
_ZN7rocprim17ROCPRIM_400000_NS6detail17trampoline_kernelINS0_14default_configENS1_36segmented_radix_sort_config_selectorIhlEEZNS1_25segmented_radix_sort_implIS3_Lb1EPKhPhPKlPlN2at6native12_GLOBAL__N_18offset_tEEE10hipError_tPvRmT1_PNSt15iterator_traitsISK_E10value_typeET2_T3_PNSL_ISQ_E10value_typeET4_jRbjT5_SW_jjP12ihipStream_tbEUlT_E0_NS1_11comp_targetILNS1_3genE0ELNS1_11target_archE4294967295ELNS1_3gpuE0ELNS1_3repE0EEENS1_60segmented_radix_sort_warp_sort_medium_config_static_selectorELNS0_4arch9wavefront6targetE0EEEvSK_: ; @_ZN7rocprim17ROCPRIM_400000_NS6detail17trampoline_kernelINS0_14default_configENS1_36segmented_radix_sort_config_selectorIhlEEZNS1_25segmented_radix_sort_implIS3_Lb1EPKhPhPKlPlN2at6native12_GLOBAL__N_18offset_tEEE10hipError_tPvRmT1_PNSt15iterator_traitsISK_E10value_typeET2_T3_PNSL_ISQ_E10value_typeET4_jRbjT5_SW_jjP12ihipStream_tbEUlT_E0_NS1_11comp_targetILNS1_3genE0ELNS1_11target_archE4294967295ELNS1_3gpuE0ELNS1_3repE0EEENS1_60segmented_radix_sort_warp_sort_medium_config_static_selectorELNS0_4arch9wavefront6targetE0EEEvSK_
; %bb.0:
	.section	.rodata,"a",@progbits
	.p2align	6, 0x0
	.amdhsa_kernel _ZN7rocprim17ROCPRIM_400000_NS6detail17trampoline_kernelINS0_14default_configENS1_36segmented_radix_sort_config_selectorIhlEEZNS1_25segmented_radix_sort_implIS3_Lb1EPKhPhPKlPlN2at6native12_GLOBAL__N_18offset_tEEE10hipError_tPvRmT1_PNSt15iterator_traitsISK_E10value_typeET2_T3_PNSL_ISQ_E10value_typeET4_jRbjT5_SW_jjP12ihipStream_tbEUlT_E0_NS1_11comp_targetILNS1_3genE0ELNS1_11target_archE4294967295ELNS1_3gpuE0ELNS1_3repE0EEENS1_60segmented_radix_sort_warp_sort_medium_config_static_selectorELNS0_4arch9wavefront6targetE0EEEvSK_
		.amdhsa_group_segment_fixed_size 0
		.amdhsa_private_segment_fixed_size 0
		.amdhsa_kernarg_size 88
		.amdhsa_user_sgpr_count 15
		.amdhsa_user_sgpr_dispatch_ptr 0
		.amdhsa_user_sgpr_queue_ptr 0
		.amdhsa_user_sgpr_kernarg_segment_ptr 1
		.amdhsa_user_sgpr_dispatch_id 0
		.amdhsa_user_sgpr_private_segment_size 0
		.amdhsa_wavefront_size32 1
		.amdhsa_uses_dynamic_stack 0
		.amdhsa_enable_private_segment 0
		.amdhsa_system_sgpr_workgroup_id_x 1
		.amdhsa_system_sgpr_workgroup_id_y 0
		.amdhsa_system_sgpr_workgroup_id_z 0
		.amdhsa_system_sgpr_workgroup_info 0
		.amdhsa_system_vgpr_workitem_id 0
		.amdhsa_next_free_vgpr 1
		.amdhsa_next_free_sgpr 1
		.amdhsa_reserve_vcc 0
		.amdhsa_float_round_mode_32 0
		.amdhsa_float_round_mode_16_64 0
		.amdhsa_float_denorm_mode_32 3
		.amdhsa_float_denorm_mode_16_64 3
		.amdhsa_dx10_clamp 1
		.amdhsa_ieee_mode 1
		.amdhsa_fp16_overflow 0
		.amdhsa_workgroup_processor_mode 1
		.amdhsa_memory_ordered 1
		.amdhsa_forward_progress 0
		.amdhsa_shared_vgpr_count 0
		.amdhsa_exception_fp_ieee_invalid_op 0
		.amdhsa_exception_fp_denorm_src 0
		.amdhsa_exception_fp_ieee_div_zero 0
		.amdhsa_exception_fp_ieee_overflow 0
		.amdhsa_exception_fp_ieee_underflow 0
		.amdhsa_exception_fp_ieee_inexact 0
		.amdhsa_exception_int_div_zero 0
	.end_amdhsa_kernel
	.section	.text._ZN7rocprim17ROCPRIM_400000_NS6detail17trampoline_kernelINS0_14default_configENS1_36segmented_radix_sort_config_selectorIhlEEZNS1_25segmented_radix_sort_implIS3_Lb1EPKhPhPKlPlN2at6native12_GLOBAL__N_18offset_tEEE10hipError_tPvRmT1_PNSt15iterator_traitsISK_E10value_typeET2_T3_PNSL_ISQ_E10value_typeET4_jRbjT5_SW_jjP12ihipStream_tbEUlT_E0_NS1_11comp_targetILNS1_3genE0ELNS1_11target_archE4294967295ELNS1_3gpuE0ELNS1_3repE0EEENS1_60segmented_radix_sort_warp_sort_medium_config_static_selectorELNS0_4arch9wavefront6targetE0EEEvSK_,"axG",@progbits,_ZN7rocprim17ROCPRIM_400000_NS6detail17trampoline_kernelINS0_14default_configENS1_36segmented_radix_sort_config_selectorIhlEEZNS1_25segmented_radix_sort_implIS3_Lb1EPKhPhPKlPlN2at6native12_GLOBAL__N_18offset_tEEE10hipError_tPvRmT1_PNSt15iterator_traitsISK_E10value_typeET2_T3_PNSL_ISQ_E10value_typeET4_jRbjT5_SW_jjP12ihipStream_tbEUlT_E0_NS1_11comp_targetILNS1_3genE0ELNS1_11target_archE4294967295ELNS1_3gpuE0ELNS1_3repE0EEENS1_60segmented_radix_sort_warp_sort_medium_config_static_selectorELNS0_4arch9wavefront6targetE0EEEvSK_,comdat
.Lfunc_end93:
	.size	_ZN7rocprim17ROCPRIM_400000_NS6detail17trampoline_kernelINS0_14default_configENS1_36segmented_radix_sort_config_selectorIhlEEZNS1_25segmented_radix_sort_implIS3_Lb1EPKhPhPKlPlN2at6native12_GLOBAL__N_18offset_tEEE10hipError_tPvRmT1_PNSt15iterator_traitsISK_E10value_typeET2_T3_PNSL_ISQ_E10value_typeET4_jRbjT5_SW_jjP12ihipStream_tbEUlT_E0_NS1_11comp_targetILNS1_3genE0ELNS1_11target_archE4294967295ELNS1_3gpuE0ELNS1_3repE0EEENS1_60segmented_radix_sort_warp_sort_medium_config_static_selectorELNS0_4arch9wavefront6targetE0EEEvSK_, .Lfunc_end93-_ZN7rocprim17ROCPRIM_400000_NS6detail17trampoline_kernelINS0_14default_configENS1_36segmented_radix_sort_config_selectorIhlEEZNS1_25segmented_radix_sort_implIS3_Lb1EPKhPhPKlPlN2at6native12_GLOBAL__N_18offset_tEEE10hipError_tPvRmT1_PNSt15iterator_traitsISK_E10value_typeET2_T3_PNSL_ISQ_E10value_typeET4_jRbjT5_SW_jjP12ihipStream_tbEUlT_E0_NS1_11comp_targetILNS1_3genE0ELNS1_11target_archE4294967295ELNS1_3gpuE0ELNS1_3repE0EEENS1_60segmented_radix_sort_warp_sort_medium_config_static_selectorELNS0_4arch9wavefront6targetE0EEEvSK_
                                        ; -- End function
	.section	.AMDGPU.csdata,"",@progbits
; Kernel info:
; codeLenInByte = 0
; NumSgprs: 0
; NumVgprs: 0
; ScratchSize: 0
; MemoryBound: 0
; FloatMode: 240
; IeeeMode: 1
; LDSByteSize: 0 bytes/workgroup (compile time only)
; SGPRBlocks: 0
; VGPRBlocks: 0
; NumSGPRsForWavesPerEU: 1
; NumVGPRsForWavesPerEU: 1
; Occupancy: 16
; WaveLimiterHint : 0
; COMPUTE_PGM_RSRC2:SCRATCH_EN: 0
; COMPUTE_PGM_RSRC2:USER_SGPR: 15
; COMPUTE_PGM_RSRC2:TRAP_HANDLER: 0
; COMPUTE_PGM_RSRC2:TGID_X_EN: 1
; COMPUTE_PGM_RSRC2:TGID_Y_EN: 0
; COMPUTE_PGM_RSRC2:TGID_Z_EN: 0
; COMPUTE_PGM_RSRC2:TIDIG_COMP_CNT: 0
	.section	.text._ZN7rocprim17ROCPRIM_400000_NS6detail17trampoline_kernelINS0_14default_configENS1_36segmented_radix_sort_config_selectorIhlEEZNS1_25segmented_radix_sort_implIS3_Lb1EPKhPhPKlPlN2at6native12_GLOBAL__N_18offset_tEEE10hipError_tPvRmT1_PNSt15iterator_traitsISK_E10value_typeET2_T3_PNSL_ISQ_E10value_typeET4_jRbjT5_SW_jjP12ihipStream_tbEUlT_E0_NS1_11comp_targetILNS1_3genE5ELNS1_11target_archE942ELNS1_3gpuE9ELNS1_3repE0EEENS1_60segmented_radix_sort_warp_sort_medium_config_static_selectorELNS0_4arch9wavefront6targetE0EEEvSK_,"axG",@progbits,_ZN7rocprim17ROCPRIM_400000_NS6detail17trampoline_kernelINS0_14default_configENS1_36segmented_radix_sort_config_selectorIhlEEZNS1_25segmented_radix_sort_implIS3_Lb1EPKhPhPKlPlN2at6native12_GLOBAL__N_18offset_tEEE10hipError_tPvRmT1_PNSt15iterator_traitsISK_E10value_typeET2_T3_PNSL_ISQ_E10value_typeET4_jRbjT5_SW_jjP12ihipStream_tbEUlT_E0_NS1_11comp_targetILNS1_3genE5ELNS1_11target_archE942ELNS1_3gpuE9ELNS1_3repE0EEENS1_60segmented_radix_sort_warp_sort_medium_config_static_selectorELNS0_4arch9wavefront6targetE0EEEvSK_,comdat
	.globl	_ZN7rocprim17ROCPRIM_400000_NS6detail17trampoline_kernelINS0_14default_configENS1_36segmented_radix_sort_config_selectorIhlEEZNS1_25segmented_radix_sort_implIS3_Lb1EPKhPhPKlPlN2at6native12_GLOBAL__N_18offset_tEEE10hipError_tPvRmT1_PNSt15iterator_traitsISK_E10value_typeET2_T3_PNSL_ISQ_E10value_typeET4_jRbjT5_SW_jjP12ihipStream_tbEUlT_E0_NS1_11comp_targetILNS1_3genE5ELNS1_11target_archE942ELNS1_3gpuE9ELNS1_3repE0EEENS1_60segmented_radix_sort_warp_sort_medium_config_static_selectorELNS0_4arch9wavefront6targetE0EEEvSK_ ; -- Begin function _ZN7rocprim17ROCPRIM_400000_NS6detail17trampoline_kernelINS0_14default_configENS1_36segmented_radix_sort_config_selectorIhlEEZNS1_25segmented_radix_sort_implIS3_Lb1EPKhPhPKlPlN2at6native12_GLOBAL__N_18offset_tEEE10hipError_tPvRmT1_PNSt15iterator_traitsISK_E10value_typeET2_T3_PNSL_ISQ_E10value_typeET4_jRbjT5_SW_jjP12ihipStream_tbEUlT_E0_NS1_11comp_targetILNS1_3genE5ELNS1_11target_archE942ELNS1_3gpuE9ELNS1_3repE0EEENS1_60segmented_radix_sort_warp_sort_medium_config_static_selectorELNS0_4arch9wavefront6targetE0EEEvSK_
	.p2align	8
	.type	_ZN7rocprim17ROCPRIM_400000_NS6detail17trampoline_kernelINS0_14default_configENS1_36segmented_radix_sort_config_selectorIhlEEZNS1_25segmented_radix_sort_implIS3_Lb1EPKhPhPKlPlN2at6native12_GLOBAL__N_18offset_tEEE10hipError_tPvRmT1_PNSt15iterator_traitsISK_E10value_typeET2_T3_PNSL_ISQ_E10value_typeET4_jRbjT5_SW_jjP12ihipStream_tbEUlT_E0_NS1_11comp_targetILNS1_3genE5ELNS1_11target_archE942ELNS1_3gpuE9ELNS1_3repE0EEENS1_60segmented_radix_sort_warp_sort_medium_config_static_selectorELNS0_4arch9wavefront6targetE0EEEvSK_,@function
_ZN7rocprim17ROCPRIM_400000_NS6detail17trampoline_kernelINS0_14default_configENS1_36segmented_radix_sort_config_selectorIhlEEZNS1_25segmented_radix_sort_implIS3_Lb1EPKhPhPKlPlN2at6native12_GLOBAL__N_18offset_tEEE10hipError_tPvRmT1_PNSt15iterator_traitsISK_E10value_typeET2_T3_PNSL_ISQ_E10value_typeET4_jRbjT5_SW_jjP12ihipStream_tbEUlT_E0_NS1_11comp_targetILNS1_3genE5ELNS1_11target_archE942ELNS1_3gpuE9ELNS1_3repE0EEENS1_60segmented_radix_sort_warp_sort_medium_config_static_selectorELNS0_4arch9wavefront6targetE0EEEvSK_: ; @_ZN7rocprim17ROCPRIM_400000_NS6detail17trampoline_kernelINS0_14default_configENS1_36segmented_radix_sort_config_selectorIhlEEZNS1_25segmented_radix_sort_implIS3_Lb1EPKhPhPKlPlN2at6native12_GLOBAL__N_18offset_tEEE10hipError_tPvRmT1_PNSt15iterator_traitsISK_E10value_typeET2_T3_PNSL_ISQ_E10value_typeET4_jRbjT5_SW_jjP12ihipStream_tbEUlT_E0_NS1_11comp_targetILNS1_3genE5ELNS1_11target_archE942ELNS1_3gpuE9ELNS1_3repE0EEENS1_60segmented_radix_sort_warp_sort_medium_config_static_selectorELNS0_4arch9wavefront6targetE0EEEvSK_
; %bb.0:
	.section	.rodata,"a",@progbits
	.p2align	6, 0x0
	.amdhsa_kernel _ZN7rocprim17ROCPRIM_400000_NS6detail17trampoline_kernelINS0_14default_configENS1_36segmented_radix_sort_config_selectorIhlEEZNS1_25segmented_radix_sort_implIS3_Lb1EPKhPhPKlPlN2at6native12_GLOBAL__N_18offset_tEEE10hipError_tPvRmT1_PNSt15iterator_traitsISK_E10value_typeET2_T3_PNSL_ISQ_E10value_typeET4_jRbjT5_SW_jjP12ihipStream_tbEUlT_E0_NS1_11comp_targetILNS1_3genE5ELNS1_11target_archE942ELNS1_3gpuE9ELNS1_3repE0EEENS1_60segmented_radix_sort_warp_sort_medium_config_static_selectorELNS0_4arch9wavefront6targetE0EEEvSK_
		.amdhsa_group_segment_fixed_size 0
		.amdhsa_private_segment_fixed_size 0
		.amdhsa_kernarg_size 88
		.amdhsa_user_sgpr_count 15
		.amdhsa_user_sgpr_dispatch_ptr 0
		.amdhsa_user_sgpr_queue_ptr 0
		.amdhsa_user_sgpr_kernarg_segment_ptr 1
		.amdhsa_user_sgpr_dispatch_id 0
		.amdhsa_user_sgpr_private_segment_size 0
		.amdhsa_wavefront_size32 1
		.amdhsa_uses_dynamic_stack 0
		.amdhsa_enable_private_segment 0
		.amdhsa_system_sgpr_workgroup_id_x 1
		.amdhsa_system_sgpr_workgroup_id_y 0
		.amdhsa_system_sgpr_workgroup_id_z 0
		.amdhsa_system_sgpr_workgroup_info 0
		.amdhsa_system_vgpr_workitem_id 0
		.amdhsa_next_free_vgpr 1
		.amdhsa_next_free_sgpr 1
		.amdhsa_reserve_vcc 0
		.amdhsa_float_round_mode_32 0
		.amdhsa_float_round_mode_16_64 0
		.amdhsa_float_denorm_mode_32 3
		.amdhsa_float_denorm_mode_16_64 3
		.amdhsa_dx10_clamp 1
		.amdhsa_ieee_mode 1
		.amdhsa_fp16_overflow 0
		.amdhsa_workgroup_processor_mode 1
		.amdhsa_memory_ordered 1
		.amdhsa_forward_progress 0
		.amdhsa_shared_vgpr_count 0
		.amdhsa_exception_fp_ieee_invalid_op 0
		.amdhsa_exception_fp_denorm_src 0
		.amdhsa_exception_fp_ieee_div_zero 0
		.amdhsa_exception_fp_ieee_overflow 0
		.amdhsa_exception_fp_ieee_underflow 0
		.amdhsa_exception_fp_ieee_inexact 0
		.amdhsa_exception_int_div_zero 0
	.end_amdhsa_kernel
	.section	.text._ZN7rocprim17ROCPRIM_400000_NS6detail17trampoline_kernelINS0_14default_configENS1_36segmented_radix_sort_config_selectorIhlEEZNS1_25segmented_radix_sort_implIS3_Lb1EPKhPhPKlPlN2at6native12_GLOBAL__N_18offset_tEEE10hipError_tPvRmT1_PNSt15iterator_traitsISK_E10value_typeET2_T3_PNSL_ISQ_E10value_typeET4_jRbjT5_SW_jjP12ihipStream_tbEUlT_E0_NS1_11comp_targetILNS1_3genE5ELNS1_11target_archE942ELNS1_3gpuE9ELNS1_3repE0EEENS1_60segmented_radix_sort_warp_sort_medium_config_static_selectorELNS0_4arch9wavefront6targetE0EEEvSK_,"axG",@progbits,_ZN7rocprim17ROCPRIM_400000_NS6detail17trampoline_kernelINS0_14default_configENS1_36segmented_radix_sort_config_selectorIhlEEZNS1_25segmented_radix_sort_implIS3_Lb1EPKhPhPKlPlN2at6native12_GLOBAL__N_18offset_tEEE10hipError_tPvRmT1_PNSt15iterator_traitsISK_E10value_typeET2_T3_PNSL_ISQ_E10value_typeET4_jRbjT5_SW_jjP12ihipStream_tbEUlT_E0_NS1_11comp_targetILNS1_3genE5ELNS1_11target_archE942ELNS1_3gpuE9ELNS1_3repE0EEENS1_60segmented_radix_sort_warp_sort_medium_config_static_selectorELNS0_4arch9wavefront6targetE0EEEvSK_,comdat
.Lfunc_end94:
	.size	_ZN7rocprim17ROCPRIM_400000_NS6detail17trampoline_kernelINS0_14default_configENS1_36segmented_radix_sort_config_selectorIhlEEZNS1_25segmented_radix_sort_implIS3_Lb1EPKhPhPKlPlN2at6native12_GLOBAL__N_18offset_tEEE10hipError_tPvRmT1_PNSt15iterator_traitsISK_E10value_typeET2_T3_PNSL_ISQ_E10value_typeET4_jRbjT5_SW_jjP12ihipStream_tbEUlT_E0_NS1_11comp_targetILNS1_3genE5ELNS1_11target_archE942ELNS1_3gpuE9ELNS1_3repE0EEENS1_60segmented_radix_sort_warp_sort_medium_config_static_selectorELNS0_4arch9wavefront6targetE0EEEvSK_, .Lfunc_end94-_ZN7rocprim17ROCPRIM_400000_NS6detail17trampoline_kernelINS0_14default_configENS1_36segmented_radix_sort_config_selectorIhlEEZNS1_25segmented_radix_sort_implIS3_Lb1EPKhPhPKlPlN2at6native12_GLOBAL__N_18offset_tEEE10hipError_tPvRmT1_PNSt15iterator_traitsISK_E10value_typeET2_T3_PNSL_ISQ_E10value_typeET4_jRbjT5_SW_jjP12ihipStream_tbEUlT_E0_NS1_11comp_targetILNS1_3genE5ELNS1_11target_archE942ELNS1_3gpuE9ELNS1_3repE0EEENS1_60segmented_radix_sort_warp_sort_medium_config_static_selectorELNS0_4arch9wavefront6targetE0EEEvSK_
                                        ; -- End function
	.section	.AMDGPU.csdata,"",@progbits
; Kernel info:
; codeLenInByte = 0
; NumSgprs: 0
; NumVgprs: 0
; ScratchSize: 0
; MemoryBound: 0
; FloatMode: 240
; IeeeMode: 1
; LDSByteSize: 0 bytes/workgroup (compile time only)
; SGPRBlocks: 0
; VGPRBlocks: 0
; NumSGPRsForWavesPerEU: 1
; NumVGPRsForWavesPerEU: 1
; Occupancy: 16
; WaveLimiterHint : 0
; COMPUTE_PGM_RSRC2:SCRATCH_EN: 0
; COMPUTE_PGM_RSRC2:USER_SGPR: 15
; COMPUTE_PGM_RSRC2:TRAP_HANDLER: 0
; COMPUTE_PGM_RSRC2:TGID_X_EN: 1
; COMPUTE_PGM_RSRC2:TGID_Y_EN: 0
; COMPUTE_PGM_RSRC2:TGID_Z_EN: 0
; COMPUTE_PGM_RSRC2:TIDIG_COMP_CNT: 0
	.section	.text._ZN7rocprim17ROCPRIM_400000_NS6detail17trampoline_kernelINS0_14default_configENS1_36segmented_radix_sort_config_selectorIhlEEZNS1_25segmented_radix_sort_implIS3_Lb1EPKhPhPKlPlN2at6native12_GLOBAL__N_18offset_tEEE10hipError_tPvRmT1_PNSt15iterator_traitsISK_E10value_typeET2_T3_PNSL_ISQ_E10value_typeET4_jRbjT5_SW_jjP12ihipStream_tbEUlT_E0_NS1_11comp_targetILNS1_3genE4ELNS1_11target_archE910ELNS1_3gpuE8ELNS1_3repE0EEENS1_60segmented_radix_sort_warp_sort_medium_config_static_selectorELNS0_4arch9wavefront6targetE0EEEvSK_,"axG",@progbits,_ZN7rocprim17ROCPRIM_400000_NS6detail17trampoline_kernelINS0_14default_configENS1_36segmented_radix_sort_config_selectorIhlEEZNS1_25segmented_radix_sort_implIS3_Lb1EPKhPhPKlPlN2at6native12_GLOBAL__N_18offset_tEEE10hipError_tPvRmT1_PNSt15iterator_traitsISK_E10value_typeET2_T3_PNSL_ISQ_E10value_typeET4_jRbjT5_SW_jjP12ihipStream_tbEUlT_E0_NS1_11comp_targetILNS1_3genE4ELNS1_11target_archE910ELNS1_3gpuE8ELNS1_3repE0EEENS1_60segmented_radix_sort_warp_sort_medium_config_static_selectorELNS0_4arch9wavefront6targetE0EEEvSK_,comdat
	.globl	_ZN7rocprim17ROCPRIM_400000_NS6detail17trampoline_kernelINS0_14default_configENS1_36segmented_radix_sort_config_selectorIhlEEZNS1_25segmented_radix_sort_implIS3_Lb1EPKhPhPKlPlN2at6native12_GLOBAL__N_18offset_tEEE10hipError_tPvRmT1_PNSt15iterator_traitsISK_E10value_typeET2_T3_PNSL_ISQ_E10value_typeET4_jRbjT5_SW_jjP12ihipStream_tbEUlT_E0_NS1_11comp_targetILNS1_3genE4ELNS1_11target_archE910ELNS1_3gpuE8ELNS1_3repE0EEENS1_60segmented_radix_sort_warp_sort_medium_config_static_selectorELNS0_4arch9wavefront6targetE0EEEvSK_ ; -- Begin function _ZN7rocprim17ROCPRIM_400000_NS6detail17trampoline_kernelINS0_14default_configENS1_36segmented_radix_sort_config_selectorIhlEEZNS1_25segmented_radix_sort_implIS3_Lb1EPKhPhPKlPlN2at6native12_GLOBAL__N_18offset_tEEE10hipError_tPvRmT1_PNSt15iterator_traitsISK_E10value_typeET2_T3_PNSL_ISQ_E10value_typeET4_jRbjT5_SW_jjP12ihipStream_tbEUlT_E0_NS1_11comp_targetILNS1_3genE4ELNS1_11target_archE910ELNS1_3gpuE8ELNS1_3repE0EEENS1_60segmented_radix_sort_warp_sort_medium_config_static_selectorELNS0_4arch9wavefront6targetE0EEEvSK_
	.p2align	8
	.type	_ZN7rocprim17ROCPRIM_400000_NS6detail17trampoline_kernelINS0_14default_configENS1_36segmented_radix_sort_config_selectorIhlEEZNS1_25segmented_radix_sort_implIS3_Lb1EPKhPhPKlPlN2at6native12_GLOBAL__N_18offset_tEEE10hipError_tPvRmT1_PNSt15iterator_traitsISK_E10value_typeET2_T3_PNSL_ISQ_E10value_typeET4_jRbjT5_SW_jjP12ihipStream_tbEUlT_E0_NS1_11comp_targetILNS1_3genE4ELNS1_11target_archE910ELNS1_3gpuE8ELNS1_3repE0EEENS1_60segmented_radix_sort_warp_sort_medium_config_static_selectorELNS0_4arch9wavefront6targetE0EEEvSK_,@function
_ZN7rocprim17ROCPRIM_400000_NS6detail17trampoline_kernelINS0_14default_configENS1_36segmented_radix_sort_config_selectorIhlEEZNS1_25segmented_radix_sort_implIS3_Lb1EPKhPhPKlPlN2at6native12_GLOBAL__N_18offset_tEEE10hipError_tPvRmT1_PNSt15iterator_traitsISK_E10value_typeET2_T3_PNSL_ISQ_E10value_typeET4_jRbjT5_SW_jjP12ihipStream_tbEUlT_E0_NS1_11comp_targetILNS1_3genE4ELNS1_11target_archE910ELNS1_3gpuE8ELNS1_3repE0EEENS1_60segmented_radix_sort_warp_sort_medium_config_static_selectorELNS0_4arch9wavefront6targetE0EEEvSK_: ; @_ZN7rocprim17ROCPRIM_400000_NS6detail17trampoline_kernelINS0_14default_configENS1_36segmented_radix_sort_config_selectorIhlEEZNS1_25segmented_radix_sort_implIS3_Lb1EPKhPhPKlPlN2at6native12_GLOBAL__N_18offset_tEEE10hipError_tPvRmT1_PNSt15iterator_traitsISK_E10value_typeET2_T3_PNSL_ISQ_E10value_typeET4_jRbjT5_SW_jjP12ihipStream_tbEUlT_E0_NS1_11comp_targetILNS1_3genE4ELNS1_11target_archE910ELNS1_3gpuE8ELNS1_3repE0EEENS1_60segmented_radix_sort_warp_sort_medium_config_static_selectorELNS0_4arch9wavefront6targetE0EEEvSK_
; %bb.0:
	.section	.rodata,"a",@progbits
	.p2align	6, 0x0
	.amdhsa_kernel _ZN7rocprim17ROCPRIM_400000_NS6detail17trampoline_kernelINS0_14default_configENS1_36segmented_radix_sort_config_selectorIhlEEZNS1_25segmented_radix_sort_implIS3_Lb1EPKhPhPKlPlN2at6native12_GLOBAL__N_18offset_tEEE10hipError_tPvRmT1_PNSt15iterator_traitsISK_E10value_typeET2_T3_PNSL_ISQ_E10value_typeET4_jRbjT5_SW_jjP12ihipStream_tbEUlT_E0_NS1_11comp_targetILNS1_3genE4ELNS1_11target_archE910ELNS1_3gpuE8ELNS1_3repE0EEENS1_60segmented_radix_sort_warp_sort_medium_config_static_selectorELNS0_4arch9wavefront6targetE0EEEvSK_
		.amdhsa_group_segment_fixed_size 0
		.amdhsa_private_segment_fixed_size 0
		.amdhsa_kernarg_size 88
		.amdhsa_user_sgpr_count 15
		.amdhsa_user_sgpr_dispatch_ptr 0
		.amdhsa_user_sgpr_queue_ptr 0
		.amdhsa_user_sgpr_kernarg_segment_ptr 1
		.amdhsa_user_sgpr_dispatch_id 0
		.amdhsa_user_sgpr_private_segment_size 0
		.amdhsa_wavefront_size32 1
		.amdhsa_uses_dynamic_stack 0
		.amdhsa_enable_private_segment 0
		.amdhsa_system_sgpr_workgroup_id_x 1
		.amdhsa_system_sgpr_workgroup_id_y 0
		.amdhsa_system_sgpr_workgroup_id_z 0
		.amdhsa_system_sgpr_workgroup_info 0
		.amdhsa_system_vgpr_workitem_id 0
		.amdhsa_next_free_vgpr 1
		.amdhsa_next_free_sgpr 1
		.amdhsa_reserve_vcc 0
		.amdhsa_float_round_mode_32 0
		.amdhsa_float_round_mode_16_64 0
		.amdhsa_float_denorm_mode_32 3
		.amdhsa_float_denorm_mode_16_64 3
		.amdhsa_dx10_clamp 1
		.amdhsa_ieee_mode 1
		.amdhsa_fp16_overflow 0
		.amdhsa_workgroup_processor_mode 1
		.amdhsa_memory_ordered 1
		.amdhsa_forward_progress 0
		.amdhsa_shared_vgpr_count 0
		.amdhsa_exception_fp_ieee_invalid_op 0
		.amdhsa_exception_fp_denorm_src 0
		.amdhsa_exception_fp_ieee_div_zero 0
		.amdhsa_exception_fp_ieee_overflow 0
		.amdhsa_exception_fp_ieee_underflow 0
		.amdhsa_exception_fp_ieee_inexact 0
		.amdhsa_exception_int_div_zero 0
	.end_amdhsa_kernel
	.section	.text._ZN7rocprim17ROCPRIM_400000_NS6detail17trampoline_kernelINS0_14default_configENS1_36segmented_radix_sort_config_selectorIhlEEZNS1_25segmented_radix_sort_implIS3_Lb1EPKhPhPKlPlN2at6native12_GLOBAL__N_18offset_tEEE10hipError_tPvRmT1_PNSt15iterator_traitsISK_E10value_typeET2_T3_PNSL_ISQ_E10value_typeET4_jRbjT5_SW_jjP12ihipStream_tbEUlT_E0_NS1_11comp_targetILNS1_3genE4ELNS1_11target_archE910ELNS1_3gpuE8ELNS1_3repE0EEENS1_60segmented_radix_sort_warp_sort_medium_config_static_selectorELNS0_4arch9wavefront6targetE0EEEvSK_,"axG",@progbits,_ZN7rocprim17ROCPRIM_400000_NS6detail17trampoline_kernelINS0_14default_configENS1_36segmented_radix_sort_config_selectorIhlEEZNS1_25segmented_radix_sort_implIS3_Lb1EPKhPhPKlPlN2at6native12_GLOBAL__N_18offset_tEEE10hipError_tPvRmT1_PNSt15iterator_traitsISK_E10value_typeET2_T3_PNSL_ISQ_E10value_typeET4_jRbjT5_SW_jjP12ihipStream_tbEUlT_E0_NS1_11comp_targetILNS1_3genE4ELNS1_11target_archE910ELNS1_3gpuE8ELNS1_3repE0EEENS1_60segmented_radix_sort_warp_sort_medium_config_static_selectorELNS0_4arch9wavefront6targetE0EEEvSK_,comdat
.Lfunc_end95:
	.size	_ZN7rocprim17ROCPRIM_400000_NS6detail17trampoline_kernelINS0_14default_configENS1_36segmented_radix_sort_config_selectorIhlEEZNS1_25segmented_radix_sort_implIS3_Lb1EPKhPhPKlPlN2at6native12_GLOBAL__N_18offset_tEEE10hipError_tPvRmT1_PNSt15iterator_traitsISK_E10value_typeET2_T3_PNSL_ISQ_E10value_typeET4_jRbjT5_SW_jjP12ihipStream_tbEUlT_E0_NS1_11comp_targetILNS1_3genE4ELNS1_11target_archE910ELNS1_3gpuE8ELNS1_3repE0EEENS1_60segmented_radix_sort_warp_sort_medium_config_static_selectorELNS0_4arch9wavefront6targetE0EEEvSK_, .Lfunc_end95-_ZN7rocprim17ROCPRIM_400000_NS6detail17trampoline_kernelINS0_14default_configENS1_36segmented_radix_sort_config_selectorIhlEEZNS1_25segmented_radix_sort_implIS3_Lb1EPKhPhPKlPlN2at6native12_GLOBAL__N_18offset_tEEE10hipError_tPvRmT1_PNSt15iterator_traitsISK_E10value_typeET2_T3_PNSL_ISQ_E10value_typeET4_jRbjT5_SW_jjP12ihipStream_tbEUlT_E0_NS1_11comp_targetILNS1_3genE4ELNS1_11target_archE910ELNS1_3gpuE8ELNS1_3repE0EEENS1_60segmented_radix_sort_warp_sort_medium_config_static_selectorELNS0_4arch9wavefront6targetE0EEEvSK_
                                        ; -- End function
	.section	.AMDGPU.csdata,"",@progbits
; Kernel info:
; codeLenInByte = 0
; NumSgprs: 0
; NumVgprs: 0
; ScratchSize: 0
; MemoryBound: 0
; FloatMode: 240
; IeeeMode: 1
; LDSByteSize: 0 bytes/workgroup (compile time only)
; SGPRBlocks: 0
; VGPRBlocks: 0
; NumSGPRsForWavesPerEU: 1
; NumVGPRsForWavesPerEU: 1
; Occupancy: 16
; WaveLimiterHint : 0
; COMPUTE_PGM_RSRC2:SCRATCH_EN: 0
; COMPUTE_PGM_RSRC2:USER_SGPR: 15
; COMPUTE_PGM_RSRC2:TRAP_HANDLER: 0
; COMPUTE_PGM_RSRC2:TGID_X_EN: 1
; COMPUTE_PGM_RSRC2:TGID_Y_EN: 0
; COMPUTE_PGM_RSRC2:TGID_Z_EN: 0
; COMPUTE_PGM_RSRC2:TIDIG_COMP_CNT: 0
	.section	.text._ZN7rocprim17ROCPRIM_400000_NS6detail17trampoline_kernelINS0_14default_configENS1_36segmented_radix_sort_config_selectorIhlEEZNS1_25segmented_radix_sort_implIS3_Lb1EPKhPhPKlPlN2at6native12_GLOBAL__N_18offset_tEEE10hipError_tPvRmT1_PNSt15iterator_traitsISK_E10value_typeET2_T3_PNSL_ISQ_E10value_typeET4_jRbjT5_SW_jjP12ihipStream_tbEUlT_E0_NS1_11comp_targetILNS1_3genE3ELNS1_11target_archE908ELNS1_3gpuE7ELNS1_3repE0EEENS1_60segmented_radix_sort_warp_sort_medium_config_static_selectorELNS0_4arch9wavefront6targetE0EEEvSK_,"axG",@progbits,_ZN7rocprim17ROCPRIM_400000_NS6detail17trampoline_kernelINS0_14default_configENS1_36segmented_radix_sort_config_selectorIhlEEZNS1_25segmented_radix_sort_implIS3_Lb1EPKhPhPKlPlN2at6native12_GLOBAL__N_18offset_tEEE10hipError_tPvRmT1_PNSt15iterator_traitsISK_E10value_typeET2_T3_PNSL_ISQ_E10value_typeET4_jRbjT5_SW_jjP12ihipStream_tbEUlT_E0_NS1_11comp_targetILNS1_3genE3ELNS1_11target_archE908ELNS1_3gpuE7ELNS1_3repE0EEENS1_60segmented_radix_sort_warp_sort_medium_config_static_selectorELNS0_4arch9wavefront6targetE0EEEvSK_,comdat
	.globl	_ZN7rocprim17ROCPRIM_400000_NS6detail17trampoline_kernelINS0_14default_configENS1_36segmented_radix_sort_config_selectorIhlEEZNS1_25segmented_radix_sort_implIS3_Lb1EPKhPhPKlPlN2at6native12_GLOBAL__N_18offset_tEEE10hipError_tPvRmT1_PNSt15iterator_traitsISK_E10value_typeET2_T3_PNSL_ISQ_E10value_typeET4_jRbjT5_SW_jjP12ihipStream_tbEUlT_E0_NS1_11comp_targetILNS1_3genE3ELNS1_11target_archE908ELNS1_3gpuE7ELNS1_3repE0EEENS1_60segmented_radix_sort_warp_sort_medium_config_static_selectorELNS0_4arch9wavefront6targetE0EEEvSK_ ; -- Begin function _ZN7rocprim17ROCPRIM_400000_NS6detail17trampoline_kernelINS0_14default_configENS1_36segmented_radix_sort_config_selectorIhlEEZNS1_25segmented_radix_sort_implIS3_Lb1EPKhPhPKlPlN2at6native12_GLOBAL__N_18offset_tEEE10hipError_tPvRmT1_PNSt15iterator_traitsISK_E10value_typeET2_T3_PNSL_ISQ_E10value_typeET4_jRbjT5_SW_jjP12ihipStream_tbEUlT_E0_NS1_11comp_targetILNS1_3genE3ELNS1_11target_archE908ELNS1_3gpuE7ELNS1_3repE0EEENS1_60segmented_radix_sort_warp_sort_medium_config_static_selectorELNS0_4arch9wavefront6targetE0EEEvSK_
	.p2align	8
	.type	_ZN7rocprim17ROCPRIM_400000_NS6detail17trampoline_kernelINS0_14default_configENS1_36segmented_radix_sort_config_selectorIhlEEZNS1_25segmented_radix_sort_implIS3_Lb1EPKhPhPKlPlN2at6native12_GLOBAL__N_18offset_tEEE10hipError_tPvRmT1_PNSt15iterator_traitsISK_E10value_typeET2_T3_PNSL_ISQ_E10value_typeET4_jRbjT5_SW_jjP12ihipStream_tbEUlT_E0_NS1_11comp_targetILNS1_3genE3ELNS1_11target_archE908ELNS1_3gpuE7ELNS1_3repE0EEENS1_60segmented_radix_sort_warp_sort_medium_config_static_selectorELNS0_4arch9wavefront6targetE0EEEvSK_,@function
_ZN7rocprim17ROCPRIM_400000_NS6detail17trampoline_kernelINS0_14default_configENS1_36segmented_radix_sort_config_selectorIhlEEZNS1_25segmented_radix_sort_implIS3_Lb1EPKhPhPKlPlN2at6native12_GLOBAL__N_18offset_tEEE10hipError_tPvRmT1_PNSt15iterator_traitsISK_E10value_typeET2_T3_PNSL_ISQ_E10value_typeET4_jRbjT5_SW_jjP12ihipStream_tbEUlT_E0_NS1_11comp_targetILNS1_3genE3ELNS1_11target_archE908ELNS1_3gpuE7ELNS1_3repE0EEENS1_60segmented_radix_sort_warp_sort_medium_config_static_selectorELNS0_4arch9wavefront6targetE0EEEvSK_: ; @_ZN7rocprim17ROCPRIM_400000_NS6detail17trampoline_kernelINS0_14default_configENS1_36segmented_radix_sort_config_selectorIhlEEZNS1_25segmented_radix_sort_implIS3_Lb1EPKhPhPKlPlN2at6native12_GLOBAL__N_18offset_tEEE10hipError_tPvRmT1_PNSt15iterator_traitsISK_E10value_typeET2_T3_PNSL_ISQ_E10value_typeET4_jRbjT5_SW_jjP12ihipStream_tbEUlT_E0_NS1_11comp_targetILNS1_3genE3ELNS1_11target_archE908ELNS1_3gpuE7ELNS1_3repE0EEENS1_60segmented_radix_sort_warp_sort_medium_config_static_selectorELNS0_4arch9wavefront6targetE0EEEvSK_
; %bb.0:
	.section	.rodata,"a",@progbits
	.p2align	6, 0x0
	.amdhsa_kernel _ZN7rocprim17ROCPRIM_400000_NS6detail17trampoline_kernelINS0_14default_configENS1_36segmented_radix_sort_config_selectorIhlEEZNS1_25segmented_radix_sort_implIS3_Lb1EPKhPhPKlPlN2at6native12_GLOBAL__N_18offset_tEEE10hipError_tPvRmT1_PNSt15iterator_traitsISK_E10value_typeET2_T3_PNSL_ISQ_E10value_typeET4_jRbjT5_SW_jjP12ihipStream_tbEUlT_E0_NS1_11comp_targetILNS1_3genE3ELNS1_11target_archE908ELNS1_3gpuE7ELNS1_3repE0EEENS1_60segmented_radix_sort_warp_sort_medium_config_static_selectorELNS0_4arch9wavefront6targetE0EEEvSK_
		.amdhsa_group_segment_fixed_size 0
		.amdhsa_private_segment_fixed_size 0
		.amdhsa_kernarg_size 88
		.amdhsa_user_sgpr_count 15
		.amdhsa_user_sgpr_dispatch_ptr 0
		.amdhsa_user_sgpr_queue_ptr 0
		.amdhsa_user_sgpr_kernarg_segment_ptr 1
		.amdhsa_user_sgpr_dispatch_id 0
		.amdhsa_user_sgpr_private_segment_size 0
		.amdhsa_wavefront_size32 1
		.amdhsa_uses_dynamic_stack 0
		.amdhsa_enable_private_segment 0
		.amdhsa_system_sgpr_workgroup_id_x 1
		.amdhsa_system_sgpr_workgroup_id_y 0
		.amdhsa_system_sgpr_workgroup_id_z 0
		.amdhsa_system_sgpr_workgroup_info 0
		.amdhsa_system_vgpr_workitem_id 0
		.amdhsa_next_free_vgpr 1
		.amdhsa_next_free_sgpr 1
		.amdhsa_reserve_vcc 0
		.amdhsa_float_round_mode_32 0
		.amdhsa_float_round_mode_16_64 0
		.amdhsa_float_denorm_mode_32 3
		.amdhsa_float_denorm_mode_16_64 3
		.amdhsa_dx10_clamp 1
		.amdhsa_ieee_mode 1
		.amdhsa_fp16_overflow 0
		.amdhsa_workgroup_processor_mode 1
		.amdhsa_memory_ordered 1
		.amdhsa_forward_progress 0
		.amdhsa_shared_vgpr_count 0
		.amdhsa_exception_fp_ieee_invalid_op 0
		.amdhsa_exception_fp_denorm_src 0
		.amdhsa_exception_fp_ieee_div_zero 0
		.amdhsa_exception_fp_ieee_overflow 0
		.amdhsa_exception_fp_ieee_underflow 0
		.amdhsa_exception_fp_ieee_inexact 0
		.amdhsa_exception_int_div_zero 0
	.end_amdhsa_kernel
	.section	.text._ZN7rocprim17ROCPRIM_400000_NS6detail17trampoline_kernelINS0_14default_configENS1_36segmented_radix_sort_config_selectorIhlEEZNS1_25segmented_radix_sort_implIS3_Lb1EPKhPhPKlPlN2at6native12_GLOBAL__N_18offset_tEEE10hipError_tPvRmT1_PNSt15iterator_traitsISK_E10value_typeET2_T3_PNSL_ISQ_E10value_typeET4_jRbjT5_SW_jjP12ihipStream_tbEUlT_E0_NS1_11comp_targetILNS1_3genE3ELNS1_11target_archE908ELNS1_3gpuE7ELNS1_3repE0EEENS1_60segmented_radix_sort_warp_sort_medium_config_static_selectorELNS0_4arch9wavefront6targetE0EEEvSK_,"axG",@progbits,_ZN7rocprim17ROCPRIM_400000_NS6detail17trampoline_kernelINS0_14default_configENS1_36segmented_radix_sort_config_selectorIhlEEZNS1_25segmented_radix_sort_implIS3_Lb1EPKhPhPKlPlN2at6native12_GLOBAL__N_18offset_tEEE10hipError_tPvRmT1_PNSt15iterator_traitsISK_E10value_typeET2_T3_PNSL_ISQ_E10value_typeET4_jRbjT5_SW_jjP12ihipStream_tbEUlT_E0_NS1_11comp_targetILNS1_3genE3ELNS1_11target_archE908ELNS1_3gpuE7ELNS1_3repE0EEENS1_60segmented_radix_sort_warp_sort_medium_config_static_selectorELNS0_4arch9wavefront6targetE0EEEvSK_,comdat
.Lfunc_end96:
	.size	_ZN7rocprim17ROCPRIM_400000_NS6detail17trampoline_kernelINS0_14default_configENS1_36segmented_radix_sort_config_selectorIhlEEZNS1_25segmented_radix_sort_implIS3_Lb1EPKhPhPKlPlN2at6native12_GLOBAL__N_18offset_tEEE10hipError_tPvRmT1_PNSt15iterator_traitsISK_E10value_typeET2_T3_PNSL_ISQ_E10value_typeET4_jRbjT5_SW_jjP12ihipStream_tbEUlT_E0_NS1_11comp_targetILNS1_3genE3ELNS1_11target_archE908ELNS1_3gpuE7ELNS1_3repE0EEENS1_60segmented_radix_sort_warp_sort_medium_config_static_selectorELNS0_4arch9wavefront6targetE0EEEvSK_, .Lfunc_end96-_ZN7rocprim17ROCPRIM_400000_NS6detail17trampoline_kernelINS0_14default_configENS1_36segmented_radix_sort_config_selectorIhlEEZNS1_25segmented_radix_sort_implIS3_Lb1EPKhPhPKlPlN2at6native12_GLOBAL__N_18offset_tEEE10hipError_tPvRmT1_PNSt15iterator_traitsISK_E10value_typeET2_T3_PNSL_ISQ_E10value_typeET4_jRbjT5_SW_jjP12ihipStream_tbEUlT_E0_NS1_11comp_targetILNS1_3genE3ELNS1_11target_archE908ELNS1_3gpuE7ELNS1_3repE0EEENS1_60segmented_radix_sort_warp_sort_medium_config_static_selectorELNS0_4arch9wavefront6targetE0EEEvSK_
                                        ; -- End function
	.section	.AMDGPU.csdata,"",@progbits
; Kernel info:
; codeLenInByte = 0
; NumSgprs: 0
; NumVgprs: 0
; ScratchSize: 0
; MemoryBound: 0
; FloatMode: 240
; IeeeMode: 1
; LDSByteSize: 0 bytes/workgroup (compile time only)
; SGPRBlocks: 0
; VGPRBlocks: 0
; NumSGPRsForWavesPerEU: 1
; NumVGPRsForWavesPerEU: 1
; Occupancy: 16
; WaveLimiterHint : 0
; COMPUTE_PGM_RSRC2:SCRATCH_EN: 0
; COMPUTE_PGM_RSRC2:USER_SGPR: 15
; COMPUTE_PGM_RSRC2:TRAP_HANDLER: 0
; COMPUTE_PGM_RSRC2:TGID_X_EN: 1
; COMPUTE_PGM_RSRC2:TGID_Y_EN: 0
; COMPUTE_PGM_RSRC2:TGID_Z_EN: 0
; COMPUTE_PGM_RSRC2:TIDIG_COMP_CNT: 0
	.section	.text._ZN7rocprim17ROCPRIM_400000_NS6detail17trampoline_kernelINS0_14default_configENS1_36segmented_radix_sort_config_selectorIhlEEZNS1_25segmented_radix_sort_implIS3_Lb1EPKhPhPKlPlN2at6native12_GLOBAL__N_18offset_tEEE10hipError_tPvRmT1_PNSt15iterator_traitsISK_E10value_typeET2_T3_PNSL_ISQ_E10value_typeET4_jRbjT5_SW_jjP12ihipStream_tbEUlT_E0_NS1_11comp_targetILNS1_3genE2ELNS1_11target_archE906ELNS1_3gpuE6ELNS1_3repE0EEENS1_60segmented_radix_sort_warp_sort_medium_config_static_selectorELNS0_4arch9wavefront6targetE0EEEvSK_,"axG",@progbits,_ZN7rocprim17ROCPRIM_400000_NS6detail17trampoline_kernelINS0_14default_configENS1_36segmented_radix_sort_config_selectorIhlEEZNS1_25segmented_radix_sort_implIS3_Lb1EPKhPhPKlPlN2at6native12_GLOBAL__N_18offset_tEEE10hipError_tPvRmT1_PNSt15iterator_traitsISK_E10value_typeET2_T3_PNSL_ISQ_E10value_typeET4_jRbjT5_SW_jjP12ihipStream_tbEUlT_E0_NS1_11comp_targetILNS1_3genE2ELNS1_11target_archE906ELNS1_3gpuE6ELNS1_3repE0EEENS1_60segmented_radix_sort_warp_sort_medium_config_static_selectorELNS0_4arch9wavefront6targetE0EEEvSK_,comdat
	.globl	_ZN7rocprim17ROCPRIM_400000_NS6detail17trampoline_kernelINS0_14default_configENS1_36segmented_radix_sort_config_selectorIhlEEZNS1_25segmented_radix_sort_implIS3_Lb1EPKhPhPKlPlN2at6native12_GLOBAL__N_18offset_tEEE10hipError_tPvRmT1_PNSt15iterator_traitsISK_E10value_typeET2_T3_PNSL_ISQ_E10value_typeET4_jRbjT5_SW_jjP12ihipStream_tbEUlT_E0_NS1_11comp_targetILNS1_3genE2ELNS1_11target_archE906ELNS1_3gpuE6ELNS1_3repE0EEENS1_60segmented_radix_sort_warp_sort_medium_config_static_selectorELNS0_4arch9wavefront6targetE0EEEvSK_ ; -- Begin function _ZN7rocprim17ROCPRIM_400000_NS6detail17trampoline_kernelINS0_14default_configENS1_36segmented_radix_sort_config_selectorIhlEEZNS1_25segmented_radix_sort_implIS3_Lb1EPKhPhPKlPlN2at6native12_GLOBAL__N_18offset_tEEE10hipError_tPvRmT1_PNSt15iterator_traitsISK_E10value_typeET2_T3_PNSL_ISQ_E10value_typeET4_jRbjT5_SW_jjP12ihipStream_tbEUlT_E0_NS1_11comp_targetILNS1_3genE2ELNS1_11target_archE906ELNS1_3gpuE6ELNS1_3repE0EEENS1_60segmented_radix_sort_warp_sort_medium_config_static_selectorELNS0_4arch9wavefront6targetE0EEEvSK_
	.p2align	8
	.type	_ZN7rocprim17ROCPRIM_400000_NS6detail17trampoline_kernelINS0_14default_configENS1_36segmented_radix_sort_config_selectorIhlEEZNS1_25segmented_radix_sort_implIS3_Lb1EPKhPhPKlPlN2at6native12_GLOBAL__N_18offset_tEEE10hipError_tPvRmT1_PNSt15iterator_traitsISK_E10value_typeET2_T3_PNSL_ISQ_E10value_typeET4_jRbjT5_SW_jjP12ihipStream_tbEUlT_E0_NS1_11comp_targetILNS1_3genE2ELNS1_11target_archE906ELNS1_3gpuE6ELNS1_3repE0EEENS1_60segmented_radix_sort_warp_sort_medium_config_static_selectorELNS0_4arch9wavefront6targetE0EEEvSK_,@function
_ZN7rocprim17ROCPRIM_400000_NS6detail17trampoline_kernelINS0_14default_configENS1_36segmented_radix_sort_config_selectorIhlEEZNS1_25segmented_radix_sort_implIS3_Lb1EPKhPhPKlPlN2at6native12_GLOBAL__N_18offset_tEEE10hipError_tPvRmT1_PNSt15iterator_traitsISK_E10value_typeET2_T3_PNSL_ISQ_E10value_typeET4_jRbjT5_SW_jjP12ihipStream_tbEUlT_E0_NS1_11comp_targetILNS1_3genE2ELNS1_11target_archE906ELNS1_3gpuE6ELNS1_3repE0EEENS1_60segmented_radix_sort_warp_sort_medium_config_static_selectorELNS0_4arch9wavefront6targetE0EEEvSK_: ; @_ZN7rocprim17ROCPRIM_400000_NS6detail17trampoline_kernelINS0_14default_configENS1_36segmented_radix_sort_config_selectorIhlEEZNS1_25segmented_radix_sort_implIS3_Lb1EPKhPhPKlPlN2at6native12_GLOBAL__N_18offset_tEEE10hipError_tPvRmT1_PNSt15iterator_traitsISK_E10value_typeET2_T3_PNSL_ISQ_E10value_typeET4_jRbjT5_SW_jjP12ihipStream_tbEUlT_E0_NS1_11comp_targetILNS1_3genE2ELNS1_11target_archE906ELNS1_3gpuE6ELNS1_3repE0EEENS1_60segmented_radix_sort_warp_sort_medium_config_static_selectorELNS0_4arch9wavefront6targetE0EEEvSK_
; %bb.0:
	.section	.rodata,"a",@progbits
	.p2align	6, 0x0
	.amdhsa_kernel _ZN7rocprim17ROCPRIM_400000_NS6detail17trampoline_kernelINS0_14default_configENS1_36segmented_radix_sort_config_selectorIhlEEZNS1_25segmented_radix_sort_implIS3_Lb1EPKhPhPKlPlN2at6native12_GLOBAL__N_18offset_tEEE10hipError_tPvRmT1_PNSt15iterator_traitsISK_E10value_typeET2_T3_PNSL_ISQ_E10value_typeET4_jRbjT5_SW_jjP12ihipStream_tbEUlT_E0_NS1_11comp_targetILNS1_3genE2ELNS1_11target_archE906ELNS1_3gpuE6ELNS1_3repE0EEENS1_60segmented_radix_sort_warp_sort_medium_config_static_selectorELNS0_4arch9wavefront6targetE0EEEvSK_
		.amdhsa_group_segment_fixed_size 0
		.amdhsa_private_segment_fixed_size 0
		.amdhsa_kernarg_size 88
		.amdhsa_user_sgpr_count 15
		.amdhsa_user_sgpr_dispatch_ptr 0
		.amdhsa_user_sgpr_queue_ptr 0
		.amdhsa_user_sgpr_kernarg_segment_ptr 1
		.amdhsa_user_sgpr_dispatch_id 0
		.amdhsa_user_sgpr_private_segment_size 0
		.amdhsa_wavefront_size32 1
		.amdhsa_uses_dynamic_stack 0
		.amdhsa_enable_private_segment 0
		.amdhsa_system_sgpr_workgroup_id_x 1
		.amdhsa_system_sgpr_workgroup_id_y 0
		.amdhsa_system_sgpr_workgroup_id_z 0
		.amdhsa_system_sgpr_workgroup_info 0
		.amdhsa_system_vgpr_workitem_id 0
		.amdhsa_next_free_vgpr 1
		.amdhsa_next_free_sgpr 1
		.amdhsa_reserve_vcc 0
		.amdhsa_float_round_mode_32 0
		.amdhsa_float_round_mode_16_64 0
		.amdhsa_float_denorm_mode_32 3
		.amdhsa_float_denorm_mode_16_64 3
		.amdhsa_dx10_clamp 1
		.amdhsa_ieee_mode 1
		.amdhsa_fp16_overflow 0
		.amdhsa_workgroup_processor_mode 1
		.amdhsa_memory_ordered 1
		.amdhsa_forward_progress 0
		.amdhsa_shared_vgpr_count 0
		.amdhsa_exception_fp_ieee_invalid_op 0
		.amdhsa_exception_fp_denorm_src 0
		.amdhsa_exception_fp_ieee_div_zero 0
		.amdhsa_exception_fp_ieee_overflow 0
		.amdhsa_exception_fp_ieee_underflow 0
		.amdhsa_exception_fp_ieee_inexact 0
		.amdhsa_exception_int_div_zero 0
	.end_amdhsa_kernel
	.section	.text._ZN7rocprim17ROCPRIM_400000_NS6detail17trampoline_kernelINS0_14default_configENS1_36segmented_radix_sort_config_selectorIhlEEZNS1_25segmented_radix_sort_implIS3_Lb1EPKhPhPKlPlN2at6native12_GLOBAL__N_18offset_tEEE10hipError_tPvRmT1_PNSt15iterator_traitsISK_E10value_typeET2_T3_PNSL_ISQ_E10value_typeET4_jRbjT5_SW_jjP12ihipStream_tbEUlT_E0_NS1_11comp_targetILNS1_3genE2ELNS1_11target_archE906ELNS1_3gpuE6ELNS1_3repE0EEENS1_60segmented_radix_sort_warp_sort_medium_config_static_selectorELNS0_4arch9wavefront6targetE0EEEvSK_,"axG",@progbits,_ZN7rocprim17ROCPRIM_400000_NS6detail17trampoline_kernelINS0_14default_configENS1_36segmented_radix_sort_config_selectorIhlEEZNS1_25segmented_radix_sort_implIS3_Lb1EPKhPhPKlPlN2at6native12_GLOBAL__N_18offset_tEEE10hipError_tPvRmT1_PNSt15iterator_traitsISK_E10value_typeET2_T3_PNSL_ISQ_E10value_typeET4_jRbjT5_SW_jjP12ihipStream_tbEUlT_E0_NS1_11comp_targetILNS1_3genE2ELNS1_11target_archE906ELNS1_3gpuE6ELNS1_3repE0EEENS1_60segmented_radix_sort_warp_sort_medium_config_static_selectorELNS0_4arch9wavefront6targetE0EEEvSK_,comdat
.Lfunc_end97:
	.size	_ZN7rocprim17ROCPRIM_400000_NS6detail17trampoline_kernelINS0_14default_configENS1_36segmented_radix_sort_config_selectorIhlEEZNS1_25segmented_radix_sort_implIS3_Lb1EPKhPhPKlPlN2at6native12_GLOBAL__N_18offset_tEEE10hipError_tPvRmT1_PNSt15iterator_traitsISK_E10value_typeET2_T3_PNSL_ISQ_E10value_typeET4_jRbjT5_SW_jjP12ihipStream_tbEUlT_E0_NS1_11comp_targetILNS1_3genE2ELNS1_11target_archE906ELNS1_3gpuE6ELNS1_3repE0EEENS1_60segmented_radix_sort_warp_sort_medium_config_static_selectorELNS0_4arch9wavefront6targetE0EEEvSK_, .Lfunc_end97-_ZN7rocprim17ROCPRIM_400000_NS6detail17trampoline_kernelINS0_14default_configENS1_36segmented_radix_sort_config_selectorIhlEEZNS1_25segmented_radix_sort_implIS3_Lb1EPKhPhPKlPlN2at6native12_GLOBAL__N_18offset_tEEE10hipError_tPvRmT1_PNSt15iterator_traitsISK_E10value_typeET2_T3_PNSL_ISQ_E10value_typeET4_jRbjT5_SW_jjP12ihipStream_tbEUlT_E0_NS1_11comp_targetILNS1_3genE2ELNS1_11target_archE906ELNS1_3gpuE6ELNS1_3repE0EEENS1_60segmented_radix_sort_warp_sort_medium_config_static_selectorELNS0_4arch9wavefront6targetE0EEEvSK_
                                        ; -- End function
	.section	.AMDGPU.csdata,"",@progbits
; Kernel info:
; codeLenInByte = 0
; NumSgprs: 0
; NumVgprs: 0
; ScratchSize: 0
; MemoryBound: 0
; FloatMode: 240
; IeeeMode: 1
; LDSByteSize: 0 bytes/workgroup (compile time only)
; SGPRBlocks: 0
; VGPRBlocks: 0
; NumSGPRsForWavesPerEU: 1
; NumVGPRsForWavesPerEU: 1
; Occupancy: 16
; WaveLimiterHint : 0
; COMPUTE_PGM_RSRC2:SCRATCH_EN: 0
; COMPUTE_PGM_RSRC2:USER_SGPR: 15
; COMPUTE_PGM_RSRC2:TRAP_HANDLER: 0
; COMPUTE_PGM_RSRC2:TGID_X_EN: 1
; COMPUTE_PGM_RSRC2:TGID_Y_EN: 0
; COMPUTE_PGM_RSRC2:TGID_Z_EN: 0
; COMPUTE_PGM_RSRC2:TIDIG_COMP_CNT: 0
	.section	.text._ZN7rocprim17ROCPRIM_400000_NS6detail17trampoline_kernelINS0_14default_configENS1_36segmented_radix_sort_config_selectorIhlEEZNS1_25segmented_radix_sort_implIS3_Lb1EPKhPhPKlPlN2at6native12_GLOBAL__N_18offset_tEEE10hipError_tPvRmT1_PNSt15iterator_traitsISK_E10value_typeET2_T3_PNSL_ISQ_E10value_typeET4_jRbjT5_SW_jjP12ihipStream_tbEUlT_E0_NS1_11comp_targetILNS1_3genE10ELNS1_11target_archE1201ELNS1_3gpuE5ELNS1_3repE0EEENS1_60segmented_radix_sort_warp_sort_medium_config_static_selectorELNS0_4arch9wavefront6targetE0EEEvSK_,"axG",@progbits,_ZN7rocprim17ROCPRIM_400000_NS6detail17trampoline_kernelINS0_14default_configENS1_36segmented_radix_sort_config_selectorIhlEEZNS1_25segmented_radix_sort_implIS3_Lb1EPKhPhPKlPlN2at6native12_GLOBAL__N_18offset_tEEE10hipError_tPvRmT1_PNSt15iterator_traitsISK_E10value_typeET2_T3_PNSL_ISQ_E10value_typeET4_jRbjT5_SW_jjP12ihipStream_tbEUlT_E0_NS1_11comp_targetILNS1_3genE10ELNS1_11target_archE1201ELNS1_3gpuE5ELNS1_3repE0EEENS1_60segmented_radix_sort_warp_sort_medium_config_static_selectorELNS0_4arch9wavefront6targetE0EEEvSK_,comdat
	.globl	_ZN7rocprim17ROCPRIM_400000_NS6detail17trampoline_kernelINS0_14default_configENS1_36segmented_radix_sort_config_selectorIhlEEZNS1_25segmented_radix_sort_implIS3_Lb1EPKhPhPKlPlN2at6native12_GLOBAL__N_18offset_tEEE10hipError_tPvRmT1_PNSt15iterator_traitsISK_E10value_typeET2_T3_PNSL_ISQ_E10value_typeET4_jRbjT5_SW_jjP12ihipStream_tbEUlT_E0_NS1_11comp_targetILNS1_3genE10ELNS1_11target_archE1201ELNS1_3gpuE5ELNS1_3repE0EEENS1_60segmented_radix_sort_warp_sort_medium_config_static_selectorELNS0_4arch9wavefront6targetE0EEEvSK_ ; -- Begin function _ZN7rocprim17ROCPRIM_400000_NS6detail17trampoline_kernelINS0_14default_configENS1_36segmented_radix_sort_config_selectorIhlEEZNS1_25segmented_radix_sort_implIS3_Lb1EPKhPhPKlPlN2at6native12_GLOBAL__N_18offset_tEEE10hipError_tPvRmT1_PNSt15iterator_traitsISK_E10value_typeET2_T3_PNSL_ISQ_E10value_typeET4_jRbjT5_SW_jjP12ihipStream_tbEUlT_E0_NS1_11comp_targetILNS1_3genE10ELNS1_11target_archE1201ELNS1_3gpuE5ELNS1_3repE0EEENS1_60segmented_radix_sort_warp_sort_medium_config_static_selectorELNS0_4arch9wavefront6targetE0EEEvSK_
	.p2align	8
	.type	_ZN7rocprim17ROCPRIM_400000_NS6detail17trampoline_kernelINS0_14default_configENS1_36segmented_radix_sort_config_selectorIhlEEZNS1_25segmented_radix_sort_implIS3_Lb1EPKhPhPKlPlN2at6native12_GLOBAL__N_18offset_tEEE10hipError_tPvRmT1_PNSt15iterator_traitsISK_E10value_typeET2_T3_PNSL_ISQ_E10value_typeET4_jRbjT5_SW_jjP12ihipStream_tbEUlT_E0_NS1_11comp_targetILNS1_3genE10ELNS1_11target_archE1201ELNS1_3gpuE5ELNS1_3repE0EEENS1_60segmented_radix_sort_warp_sort_medium_config_static_selectorELNS0_4arch9wavefront6targetE0EEEvSK_,@function
_ZN7rocprim17ROCPRIM_400000_NS6detail17trampoline_kernelINS0_14default_configENS1_36segmented_radix_sort_config_selectorIhlEEZNS1_25segmented_radix_sort_implIS3_Lb1EPKhPhPKlPlN2at6native12_GLOBAL__N_18offset_tEEE10hipError_tPvRmT1_PNSt15iterator_traitsISK_E10value_typeET2_T3_PNSL_ISQ_E10value_typeET4_jRbjT5_SW_jjP12ihipStream_tbEUlT_E0_NS1_11comp_targetILNS1_3genE10ELNS1_11target_archE1201ELNS1_3gpuE5ELNS1_3repE0EEENS1_60segmented_radix_sort_warp_sort_medium_config_static_selectorELNS0_4arch9wavefront6targetE0EEEvSK_: ; @_ZN7rocprim17ROCPRIM_400000_NS6detail17trampoline_kernelINS0_14default_configENS1_36segmented_radix_sort_config_selectorIhlEEZNS1_25segmented_radix_sort_implIS3_Lb1EPKhPhPKlPlN2at6native12_GLOBAL__N_18offset_tEEE10hipError_tPvRmT1_PNSt15iterator_traitsISK_E10value_typeET2_T3_PNSL_ISQ_E10value_typeET4_jRbjT5_SW_jjP12ihipStream_tbEUlT_E0_NS1_11comp_targetILNS1_3genE10ELNS1_11target_archE1201ELNS1_3gpuE5ELNS1_3repE0EEENS1_60segmented_radix_sort_warp_sort_medium_config_static_selectorELNS0_4arch9wavefront6targetE0EEEvSK_
; %bb.0:
	.section	.rodata,"a",@progbits
	.p2align	6, 0x0
	.amdhsa_kernel _ZN7rocprim17ROCPRIM_400000_NS6detail17trampoline_kernelINS0_14default_configENS1_36segmented_radix_sort_config_selectorIhlEEZNS1_25segmented_radix_sort_implIS3_Lb1EPKhPhPKlPlN2at6native12_GLOBAL__N_18offset_tEEE10hipError_tPvRmT1_PNSt15iterator_traitsISK_E10value_typeET2_T3_PNSL_ISQ_E10value_typeET4_jRbjT5_SW_jjP12ihipStream_tbEUlT_E0_NS1_11comp_targetILNS1_3genE10ELNS1_11target_archE1201ELNS1_3gpuE5ELNS1_3repE0EEENS1_60segmented_radix_sort_warp_sort_medium_config_static_selectorELNS0_4arch9wavefront6targetE0EEEvSK_
		.amdhsa_group_segment_fixed_size 0
		.amdhsa_private_segment_fixed_size 0
		.amdhsa_kernarg_size 88
		.amdhsa_user_sgpr_count 15
		.amdhsa_user_sgpr_dispatch_ptr 0
		.amdhsa_user_sgpr_queue_ptr 0
		.amdhsa_user_sgpr_kernarg_segment_ptr 1
		.amdhsa_user_sgpr_dispatch_id 0
		.amdhsa_user_sgpr_private_segment_size 0
		.amdhsa_wavefront_size32 1
		.amdhsa_uses_dynamic_stack 0
		.amdhsa_enable_private_segment 0
		.amdhsa_system_sgpr_workgroup_id_x 1
		.amdhsa_system_sgpr_workgroup_id_y 0
		.amdhsa_system_sgpr_workgroup_id_z 0
		.amdhsa_system_sgpr_workgroup_info 0
		.amdhsa_system_vgpr_workitem_id 0
		.amdhsa_next_free_vgpr 1
		.amdhsa_next_free_sgpr 1
		.amdhsa_reserve_vcc 0
		.amdhsa_float_round_mode_32 0
		.amdhsa_float_round_mode_16_64 0
		.amdhsa_float_denorm_mode_32 3
		.amdhsa_float_denorm_mode_16_64 3
		.amdhsa_dx10_clamp 1
		.amdhsa_ieee_mode 1
		.amdhsa_fp16_overflow 0
		.amdhsa_workgroup_processor_mode 1
		.amdhsa_memory_ordered 1
		.amdhsa_forward_progress 0
		.amdhsa_shared_vgpr_count 0
		.amdhsa_exception_fp_ieee_invalid_op 0
		.amdhsa_exception_fp_denorm_src 0
		.amdhsa_exception_fp_ieee_div_zero 0
		.amdhsa_exception_fp_ieee_overflow 0
		.amdhsa_exception_fp_ieee_underflow 0
		.amdhsa_exception_fp_ieee_inexact 0
		.amdhsa_exception_int_div_zero 0
	.end_amdhsa_kernel
	.section	.text._ZN7rocprim17ROCPRIM_400000_NS6detail17trampoline_kernelINS0_14default_configENS1_36segmented_radix_sort_config_selectorIhlEEZNS1_25segmented_radix_sort_implIS3_Lb1EPKhPhPKlPlN2at6native12_GLOBAL__N_18offset_tEEE10hipError_tPvRmT1_PNSt15iterator_traitsISK_E10value_typeET2_T3_PNSL_ISQ_E10value_typeET4_jRbjT5_SW_jjP12ihipStream_tbEUlT_E0_NS1_11comp_targetILNS1_3genE10ELNS1_11target_archE1201ELNS1_3gpuE5ELNS1_3repE0EEENS1_60segmented_radix_sort_warp_sort_medium_config_static_selectorELNS0_4arch9wavefront6targetE0EEEvSK_,"axG",@progbits,_ZN7rocprim17ROCPRIM_400000_NS6detail17trampoline_kernelINS0_14default_configENS1_36segmented_radix_sort_config_selectorIhlEEZNS1_25segmented_radix_sort_implIS3_Lb1EPKhPhPKlPlN2at6native12_GLOBAL__N_18offset_tEEE10hipError_tPvRmT1_PNSt15iterator_traitsISK_E10value_typeET2_T3_PNSL_ISQ_E10value_typeET4_jRbjT5_SW_jjP12ihipStream_tbEUlT_E0_NS1_11comp_targetILNS1_3genE10ELNS1_11target_archE1201ELNS1_3gpuE5ELNS1_3repE0EEENS1_60segmented_radix_sort_warp_sort_medium_config_static_selectorELNS0_4arch9wavefront6targetE0EEEvSK_,comdat
.Lfunc_end98:
	.size	_ZN7rocprim17ROCPRIM_400000_NS6detail17trampoline_kernelINS0_14default_configENS1_36segmented_radix_sort_config_selectorIhlEEZNS1_25segmented_radix_sort_implIS3_Lb1EPKhPhPKlPlN2at6native12_GLOBAL__N_18offset_tEEE10hipError_tPvRmT1_PNSt15iterator_traitsISK_E10value_typeET2_T3_PNSL_ISQ_E10value_typeET4_jRbjT5_SW_jjP12ihipStream_tbEUlT_E0_NS1_11comp_targetILNS1_3genE10ELNS1_11target_archE1201ELNS1_3gpuE5ELNS1_3repE0EEENS1_60segmented_radix_sort_warp_sort_medium_config_static_selectorELNS0_4arch9wavefront6targetE0EEEvSK_, .Lfunc_end98-_ZN7rocprim17ROCPRIM_400000_NS6detail17trampoline_kernelINS0_14default_configENS1_36segmented_radix_sort_config_selectorIhlEEZNS1_25segmented_radix_sort_implIS3_Lb1EPKhPhPKlPlN2at6native12_GLOBAL__N_18offset_tEEE10hipError_tPvRmT1_PNSt15iterator_traitsISK_E10value_typeET2_T3_PNSL_ISQ_E10value_typeET4_jRbjT5_SW_jjP12ihipStream_tbEUlT_E0_NS1_11comp_targetILNS1_3genE10ELNS1_11target_archE1201ELNS1_3gpuE5ELNS1_3repE0EEENS1_60segmented_radix_sort_warp_sort_medium_config_static_selectorELNS0_4arch9wavefront6targetE0EEEvSK_
                                        ; -- End function
	.section	.AMDGPU.csdata,"",@progbits
; Kernel info:
; codeLenInByte = 0
; NumSgprs: 0
; NumVgprs: 0
; ScratchSize: 0
; MemoryBound: 0
; FloatMode: 240
; IeeeMode: 1
; LDSByteSize: 0 bytes/workgroup (compile time only)
; SGPRBlocks: 0
; VGPRBlocks: 0
; NumSGPRsForWavesPerEU: 1
; NumVGPRsForWavesPerEU: 1
; Occupancy: 16
; WaveLimiterHint : 0
; COMPUTE_PGM_RSRC2:SCRATCH_EN: 0
; COMPUTE_PGM_RSRC2:USER_SGPR: 15
; COMPUTE_PGM_RSRC2:TRAP_HANDLER: 0
; COMPUTE_PGM_RSRC2:TGID_X_EN: 1
; COMPUTE_PGM_RSRC2:TGID_Y_EN: 0
; COMPUTE_PGM_RSRC2:TGID_Z_EN: 0
; COMPUTE_PGM_RSRC2:TIDIG_COMP_CNT: 0
	.section	.text._ZN7rocprim17ROCPRIM_400000_NS6detail17trampoline_kernelINS0_14default_configENS1_36segmented_radix_sort_config_selectorIhlEEZNS1_25segmented_radix_sort_implIS3_Lb1EPKhPhPKlPlN2at6native12_GLOBAL__N_18offset_tEEE10hipError_tPvRmT1_PNSt15iterator_traitsISK_E10value_typeET2_T3_PNSL_ISQ_E10value_typeET4_jRbjT5_SW_jjP12ihipStream_tbEUlT_E0_NS1_11comp_targetILNS1_3genE10ELNS1_11target_archE1200ELNS1_3gpuE4ELNS1_3repE0EEENS1_60segmented_radix_sort_warp_sort_medium_config_static_selectorELNS0_4arch9wavefront6targetE0EEEvSK_,"axG",@progbits,_ZN7rocprim17ROCPRIM_400000_NS6detail17trampoline_kernelINS0_14default_configENS1_36segmented_radix_sort_config_selectorIhlEEZNS1_25segmented_radix_sort_implIS3_Lb1EPKhPhPKlPlN2at6native12_GLOBAL__N_18offset_tEEE10hipError_tPvRmT1_PNSt15iterator_traitsISK_E10value_typeET2_T3_PNSL_ISQ_E10value_typeET4_jRbjT5_SW_jjP12ihipStream_tbEUlT_E0_NS1_11comp_targetILNS1_3genE10ELNS1_11target_archE1200ELNS1_3gpuE4ELNS1_3repE0EEENS1_60segmented_radix_sort_warp_sort_medium_config_static_selectorELNS0_4arch9wavefront6targetE0EEEvSK_,comdat
	.globl	_ZN7rocprim17ROCPRIM_400000_NS6detail17trampoline_kernelINS0_14default_configENS1_36segmented_radix_sort_config_selectorIhlEEZNS1_25segmented_radix_sort_implIS3_Lb1EPKhPhPKlPlN2at6native12_GLOBAL__N_18offset_tEEE10hipError_tPvRmT1_PNSt15iterator_traitsISK_E10value_typeET2_T3_PNSL_ISQ_E10value_typeET4_jRbjT5_SW_jjP12ihipStream_tbEUlT_E0_NS1_11comp_targetILNS1_3genE10ELNS1_11target_archE1200ELNS1_3gpuE4ELNS1_3repE0EEENS1_60segmented_radix_sort_warp_sort_medium_config_static_selectorELNS0_4arch9wavefront6targetE0EEEvSK_ ; -- Begin function _ZN7rocprim17ROCPRIM_400000_NS6detail17trampoline_kernelINS0_14default_configENS1_36segmented_radix_sort_config_selectorIhlEEZNS1_25segmented_radix_sort_implIS3_Lb1EPKhPhPKlPlN2at6native12_GLOBAL__N_18offset_tEEE10hipError_tPvRmT1_PNSt15iterator_traitsISK_E10value_typeET2_T3_PNSL_ISQ_E10value_typeET4_jRbjT5_SW_jjP12ihipStream_tbEUlT_E0_NS1_11comp_targetILNS1_3genE10ELNS1_11target_archE1200ELNS1_3gpuE4ELNS1_3repE0EEENS1_60segmented_radix_sort_warp_sort_medium_config_static_selectorELNS0_4arch9wavefront6targetE0EEEvSK_
	.p2align	8
	.type	_ZN7rocprim17ROCPRIM_400000_NS6detail17trampoline_kernelINS0_14default_configENS1_36segmented_radix_sort_config_selectorIhlEEZNS1_25segmented_radix_sort_implIS3_Lb1EPKhPhPKlPlN2at6native12_GLOBAL__N_18offset_tEEE10hipError_tPvRmT1_PNSt15iterator_traitsISK_E10value_typeET2_T3_PNSL_ISQ_E10value_typeET4_jRbjT5_SW_jjP12ihipStream_tbEUlT_E0_NS1_11comp_targetILNS1_3genE10ELNS1_11target_archE1200ELNS1_3gpuE4ELNS1_3repE0EEENS1_60segmented_radix_sort_warp_sort_medium_config_static_selectorELNS0_4arch9wavefront6targetE0EEEvSK_,@function
_ZN7rocprim17ROCPRIM_400000_NS6detail17trampoline_kernelINS0_14default_configENS1_36segmented_radix_sort_config_selectorIhlEEZNS1_25segmented_radix_sort_implIS3_Lb1EPKhPhPKlPlN2at6native12_GLOBAL__N_18offset_tEEE10hipError_tPvRmT1_PNSt15iterator_traitsISK_E10value_typeET2_T3_PNSL_ISQ_E10value_typeET4_jRbjT5_SW_jjP12ihipStream_tbEUlT_E0_NS1_11comp_targetILNS1_3genE10ELNS1_11target_archE1200ELNS1_3gpuE4ELNS1_3repE0EEENS1_60segmented_radix_sort_warp_sort_medium_config_static_selectorELNS0_4arch9wavefront6targetE0EEEvSK_: ; @_ZN7rocprim17ROCPRIM_400000_NS6detail17trampoline_kernelINS0_14default_configENS1_36segmented_radix_sort_config_selectorIhlEEZNS1_25segmented_radix_sort_implIS3_Lb1EPKhPhPKlPlN2at6native12_GLOBAL__N_18offset_tEEE10hipError_tPvRmT1_PNSt15iterator_traitsISK_E10value_typeET2_T3_PNSL_ISQ_E10value_typeET4_jRbjT5_SW_jjP12ihipStream_tbEUlT_E0_NS1_11comp_targetILNS1_3genE10ELNS1_11target_archE1200ELNS1_3gpuE4ELNS1_3repE0EEENS1_60segmented_radix_sort_warp_sort_medium_config_static_selectorELNS0_4arch9wavefront6targetE0EEEvSK_
; %bb.0:
	.section	.rodata,"a",@progbits
	.p2align	6, 0x0
	.amdhsa_kernel _ZN7rocprim17ROCPRIM_400000_NS6detail17trampoline_kernelINS0_14default_configENS1_36segmented_radix_sort_config_selectorIhlEEZNS1_25segmented_radix_sort_implIS3_Lb1EPKhPhPKlPlN2at6native12_GLOBAL__N_18offset_tEEE10hipError_tPvRmT1_PNSt15iterator_traitsISK_E10value_typeET2_T3_PNSL_ISQ_E10value_typeET4_jRbjT5_SW_jjP12ihipStream_tbEUlT_E0_NS1_11comp_targetILNS1_3genE10ELNS1_11target_archE1200ELNS1_3gpuE4ELNS1_3repE0EEENS1_60segmented_radix_sort_warp_sort_medium_config_static_selectorELNS0_4arch9wavefront6targetE0EEEvSK_
		.amdhsa_group_segment_fixed_size 0
		.amdhsa_private_segment_fixed_size 0
		.amdhsa_kernarg_size 88
		.amdhsa_user_sgpr_count 15
		.amdhsa_user_sgpr_dispatch_ptr 0
		.amdhsa_user_sgpr_queue_ptr 0
		.amdhsa_user_sgpr_kernarg_segment_ptr 1
		.amdhsa_user_sgpr_dispatch_id 0
		.amdhsa_user_sgpr_private_segment_size 0
		.amdhsa_wavefront_size32 1
		.amdhsa_uses_dynamic_stack 0
		.amdhsa_enable_private_segment 0
		.amdhsa_system_sgpr_workgroup_id_x 1
		.amdhsa_system_sgpr_workgroup_id_y 0
		.amdhsa_system_sgpr_workgroup_id_z 0
		.amdhsa_system_sgpr_workgroup_info 0
		.amdhsa_system_vgpr_workitem_id 0
		.amdhsa_next_free_vgpr 1
		.amdhsa_next_free_sgpr 1
		.amdhsa_reserve_vcc 0
		.amdhsa_float_round_mode_32 0
		.amdhsa_float_round_mode_16_64 0
		.amdhsa_float_denorm_mode_32 3
		.amdhsa_float_denorm_mode_16_64 3
		.amdhsa_dx10_clamp 1
		.amdhsa_ieee_mode 1
		.amdhsa_fp16_overflow 0
		.amdhsa_workgroup_processor_mode 1
		.amdhsa_memory_ordered 1
		.amdhsa_forward_progress 0
		.amdhsa_shared_vgpr_count 0
		.amdhsa_exception_fp_ieee_invalid_op 0
		.amdhsa_exception_fp_denorm_src 0
		.amdhsa_exception_fp_ieee_div_zero 0
		.amdhsa_exception_fp_ieee_overflow 0
		.amdhsa_exception_fp_ieee_underflow 0
		.amdhsa_exception_fp_ieee_inexact 0
		.amdhsa_exception_int_div_zero 0
	.end_amdhsa_kernel
	.section	.text._ZN7rocprim17ROCPRIM_400000_NS6detail17trampoline_kernelINS0_14default_configENS1_36segmented_radix_sort_config_selectorIhlEEZNS1_25segmented_radix_sort_implIS3_Lb1EPKhPhPKlPlN2at6native12_GLOBAL__N_18offset_tEEE10hipError_tPvRmT1_PNSt15iterator_traitsISK_E10value_typeET2_T3_PNSL_ISQ_E10value_typeET4_jRbjT5_SW_jjP12ihipStream_tbEUlT_E0_NS1_11comp_targetILNS1_3genE10ELNS1_11target_archE1200ELNS1_3gpuE4ELNS1_3repE0EEENS1_60segmented_radix_sort_warp_sort_medium_config_static_selectorELNS0_4arch9wavefront6targetE0EEEvSK_,"axG",@progbits,_ZN7rocprim17ROCPRIM_400000_NS6detail17trampoline_kernelINS0_14default_configENS1_36segmented_radix_sort_config_selectorIhlEEZNS1_25segmented_radix_sort_implIS3_Lb1EPKhPhPKlPlN2at6native12_GLOBAL__N_18offset_tEEE10hipError_tPvRmT1_PNSt15iterator_traitsISK_E10value_typeET2_T3_PNSL_ISQ_E10value_typeET4_jRbjT5_SW_jjP12ihipStream_tbEUlT_E0_NS1_11comp_targetILNS1_3genE10ELNS1_11target_archE1200ELNS1_3gpuE4ELNS1_3repE0EEENS1_60segmented_radix_sort_warp_sort_medium_config_static_selectorELNS0_4arch9wavefront6targetE0EEEvSK_,comdat
.Lfunc_end99:
	.size	_ZN7rocprim17ROCPRIM_400000_NS6detail17trampoline_kernelINS0_14default_configENS1_36segmented_radix_sort_config_selectorIhlEEZNS1_25segmented_radix_sort_implIS3_Lb1EPKhPhPKlPlN2at6native12_GLOBAL__N_18offset_tEEE10hipError_tPvRmT1_PNSt15iterator_traitsISK_E10value_typeET2_T3_PNSL_ISQ_E10value_typeET4_jRbjT5_SW_jjP12ihipStream_tbEUlT_E0_NS1_11comp_targetILNS1_3genE10ELNS1_11target_archE1200ELNS1_3gpuE4ELNS1_3repE0EEENS1_60segmented_radix_sort_warp_sort_medium_config_static_selectorELNS0_4arch9wavefront6targetE0EEEvSK_, .Lfunc_end99-_ZN7rocprim17ROCPRIM_400000_NS6detail17trampoline_kernelINS0_14default_configENS1_36segmented_radix_sort_config_selectorIhlEEZNS1_25segmented_radix_sort_implIS3_Lb1EPKhPhPKlPlN2at6native12_GLOBAL__N_18offset_tEEE10hipError_tPvRmT1_PNSt15iterator_traitsISK_E10value_typeET2_T3_PNSL_ISQ_E10value_typeET4_jRbjT5_SW_jjP12ihipStream_tbEUlT_E0_NS1_11comp_targetILNS1_3genE10ELNS1_11target_archE1200ELNS1_3gpuE4ELNS1_3repE0EEENS1_60segmented_radix_sort_warp_sort_medium_config_static_selectorELNS0_4arch9wavefront6targetE0EEEvSK_
                                        ; -- End function
	.section	.AMDGPU.csdata,"",@progbits
; Kernel info:
; codeLenInByte = 0
; NumSgprs: 0
; NumVgprs: 0
; ScratchSize: 0
; MemoryBound: 0
; FloatMode: 240
; IeeeMode: 1
; LDSByteSize: 0 bytes/workgroup (compile time only)
; SGPRBlocks: 0
; VGPRBlocks: 0
; NumSGPRsForWavesPerEU: 1
; NumVGPRsForWavesPerEU: 1
; Occupancy: 16
; WaveLimiterHint : 0
; COMPUTE_PGM_RSRC2:SCRATCH_EN: 0
; COMPUTE_PGM_RSRC2:USER_SGPR: 15
; COMPUTE_PGM_RSRC2:TRAP_HANDLER: 0
; COMPUTE_PGM_RSRC2:TGID_X_EN: 1
; COMPUTE_PGM_RSRC2:TGID_Y_EN: 0
; COMPUTE_PGM_RSRC2:TGID_Z_EN: 0
; COMPUTE_PGM_RSRC2:TIDIG_COMP_CNT: 0
	.text
	.p2align	2                               ; -- Begin function _ZN7rocprim17ROCPRIM_400000_NS6detail26segmented_warp_sort_helperINS1_20WarpSortHelperConfigILj16ELj8ELj256EEEhlLi256ELb1EvE4sortIPKhPhPKlPlEEvT_T0_T1_T2_jjjjRNS5_12storage_typeE
	.type	_ZN7rocprim17ROCPRIM_400000_NS6detail26segmented_warp_sort_helperINS1_20WarpSortHelperConfigILj16ELj8ELj256EEEhlLi256ELb1EvE4sortIPKhPhPKlPlEEvT_T0_T1_T2_jjjjRNS5_12storage_typeE,@function
_ZN7rocprim17ROCPRIM_400000_NS6detail26segmented_warp_sort_helperINS1_20WarpSortHelperConfigILj16ELj8ELj256EEEhlLi256ELb1EvE4sortIPKhPhPKlPlEEvT_T0_T1_T2_jjjjRNS5_12storage_typeE: ; @_ZN7rocprim17ROCPRIM_400000_NS6detail26segmented_warp_sort_helperINS1_20WarpSortHelperConfigILj16ELj8ELj256EEEhlLi256ELb1EvE4sortIPKhPhPKlPlEEvT_T0_T1_T2_jjjjRNS5_12storage_typeE
; %bb.0:
	s_waitcnt vmcnt(0) expcnt(0) lgkmcnt(0)
	v_mbcnt_lo_u32_b32 v12, -1, 0
	s_mov_b32 s0, 0
	v_add_co_u32 v0, vcc_lo, v0, v8
	s_mov_b32 s1, s0
	s_delay_alu instid0(VALU_DEP_2) | instskip(SKIP_2) | instid1(VALU_DEP_3)
	v_lshlrev_b32_e32 v33, 3, v12
	v_dual_mov_b32 v27, s1 :: v_dual_mov_b32 v26, s0
	v_add_co_ci_u32_e32 v1, vcc_lo, 0, v1, vcc_lo
	v_and_b32_e32 v30, 0x78, v33
	v_sub_nc_u32_e32 v12, v9, v8
	v_mov_b32_e32 v9, 0
	s_delay_alu instid0(VALU_DEP_3) | instskip(SKIP_1) | instid1(VALU_DEP_4)
	v_add_co_u32 v0, vcc_lo, v0, v30
	v_add_co_ci_u32_e32 v1, vcc_lo, 0, v1, vcc_lo
	v_cmp_lt_u32_e32 vcc_lo, v30, v12
	s_and_saveexec_b32 s1, vcc_lo
	s_cbranch_execz .LBB100_2
; %bb.1:
	flat_load_u8 v13, v[0:1]
	s_waitcnt vmcnt(0) lgkmcnt(0)
	v_dual_mov_b32 v27, s0 :: v_dual_and_b32 v26, 0xffff, v13
.LBB100_2:
	s_or_b32 exec_lo, exec_lo, s1
	v_or_b32_e32 v13, 1, v30
	s_delay_alu instid0(VALU_DEP_1) | instskip(NEXT) | instid1(VALU_DEP_1)
	v_cmp_lt_u32_e64 s0, v13, v12
	s_and_saveexec_b32 s1, s0
	s_cbranch_execz .LBB100_4
; %bb.3:
	flat_load_u8 v13, v[0:1] offset:1
	s_waitcnt vmcnt(0) lgkmcnt(0)
	v_perm_b32 v26, v26, v13, 0x7060004
.LBB100_4:
	s_or_b32 exec_lo, exec_lo, s1
	v_or_b32_e32 v13, 2, v30
	s_delay_alu instid0(VALU_DEP_1) | instskip(NEXT) | instid1(VALU_DEP_1)
	v_cmp_lt_u32_e64 s1, v13, v12
	s_and_saveexec_b32 s2, s1
	s_cbranch_execz .LBB100_6
; %bb.5:
	flat_load_u8 v13, v[0:1] offset:2
	v_lshrrev_b32_e32 v14, 16, v26
	s_delay_alu instid0(VALU_DEP_1) | instskip(SKIP_1) | instid1(VALU_DEP_1)
	v_and_b32_e32 v14, 0xffffff00, v14
	s_waitcnt vmcnt(0) lgkmcnt(0)
	v_or_b32_e32 v13, v13, v14
	s_delay_alu instid0(VALU_DEP_1) | instskip(NEXT) | instid1(VALU_DEP_1)
	v_lshlrev_b32_e32 v13, 16, v13
	v_and_or_b32 v26, 0xffff, v26, v13
.LBB100_6:
	s_or_b32 exec_lo, exec_lo, s2
	v_or_b32_e32 v13, 3, v30
	s_delay_alu instid0(VALU_DEP_1) | instskip(NEXT) | instid1(VALU_DEP_1)
	v_cmp_lt_u32_e64 s2, v13, v12
	s_and_saveexec_b32 s3, s2
	s_cbranch_execz .LBB100_8
; %bb.7:
	flat_load_u8 v13, v[0:1] offset:3
	v_lshrrev_b32_e32 v14, 16, v26
	s_delay_alu instid0(VALU_DEP_1) | instskip(SKIP_2) | instid1(VALU_DEP_1)
	v_and_b32_e32 v14, 0xff, v14
	s_waitcnt vmcnt(0) lgkmcnt(0)
	v_lshlrev_b16 v13, 8, v13
	v_or_b32_e32 v13, v14, v13
	s_delay_alu instid0(VALU_DEP_1) | instskip(NEXT) | instid1(VALU_DEP_1)
	v_lshlrev_b32_e32 v13, 16, v13
	v_and_or_b32 v26, 0xffff, v26, v13
.LBB100_8:
	s_or_b32 exec_lo, exec_lo, s3
	v_or_b32_e32 v13, 4, v30
	s_delay_alu instid0(VALU_DEP_1) | instskip(NEXT) | instid1(VALU_DEP_1)
	v_cmp_lt_u32_e64 s3, v13, v12
	s_and_saveexec_b32 s4, s3
	s_cbranch_execz .LBB100_10
; %bb.9:
	flat_load_u8 v13, v[0:1] offset:4
	s_waitcnt vmcnt(0) lgkmcnt(0)
	v_perm_b32 v27, v13, v27, 0x3020104
.LBB100_10:
	s_or_b32 exec_lo, exec_lo, s4
	v_or_b32_e32 v13, 5, v30
	s_delay_alu instid0(VALU_DEP_1) | instskip(NEXT) | instid1(VALU_DEP_1)
	v_cmp_lt_u32_e64 s4, v13, v12
	s_and_saveexec_b32 s5, s4
	s_cbranch_execz .LBB100_12
; %bb.11:
	flat_load_u8 v13, v[0:1] offset:5
	s_waitcnt vmcnt(0) lgkmcnt(0)
	v_perm_b32 v27, v27, v13, 0x7060004
.LBB100_12:
	;; [unrolled: 11-line block ×4, first 2 shown]
	s_or_b32 exec_lo, exec_lo, s7
	v_lshlrev_b64 v[0:1], 3, v[8:9]
	v_lshlrev_b32_e32 v32, 3, v30
	; wave barrier
	s_delay_alu instid0(VALU_DEP_2) | instskip(NEXT) | instid1(VALU_DEP_1)
	v_add_co_u32 v4, s7, v4, v0
	v_add_co_ci_u32_e64 v5, s7, v5, v1, s7
	s_delay_alu instid0(VALU_DEP_2) | instskip(NEXT) | instid1(VALU_DEP_1)
	v_add_co_u32 v28, s7, v4, v32
	v_add_co_ci_u32_e64 v29, s7, 0, v5, s7
                                        ; implicit-def: $vgpr4_vgpr5
	s_and_saveexec_b32 s7, vcc_lo
	s_cbranch_execnz .LBB100_135
; %bb.17:
	s_or_b32 exec_lo, exec_lo, s7
                                        ; implicit-def: $vgpr14_vgpr15
	s_and_saveexec_b32 s7, s0
	s_cbranch_execnz .LBB100_136
.LBB100_18:
	s_or_b32 exec_lo, exec_lo, s7
                                        ; implicit-def: $vgpr16_vgpr17
	s_and_saveexec_b32 s7, s1
	s_cbranch_execnz .LBB100_137
.LBB100_19:
	s_or_b32 exec_lo, exec_lo, s7
                                        ; implicit-def: $vgpr20_vgpr21
	s_and_saveexec_b32 s7, s2
	s_cbranch_execnz .LBB100_138
.LBB100_20:
	s_or_b32 exec_lo, exec_lo, s7
                                        ; implicit-def: $vgpr22_vgpr23
	s_and_saveexec_b32 s7, s3
	s_cbranch_execnz .LBB100_139
.LBB100_21:
	s_or_b32 exec_lo, exec_lo, s7
                                        ; implicit-def: $vgpr18_vgpr19
	s_and_saveexec_b32 s7, s4
	s_cbranch_execnz .LBB100_140
.LBB100_22:
	s_or_b32 exec_lo, exec_lo, s7
                                        ; implicit-def: $vgpr12_vgpr13
	s_and_saveexec_b32 s7, s5
	s_cbranch_execnz .LBB100_141
.LBB100_23:
	s_or_b32 exec_lo, exec_lo, s7
                                        ; implicit-def: $vgpr24_vgpr25
	s_and_saveexec_b32 s7, s6
	s_cbranch_execz .LBB100_25
.LBB100_24:
	flat_load_b64 v[24:25], v[28:29] offset:56
.LBB100_25:
	s_or_b32 exec_lo, exec_lo, s7
	v_cmp_ne_u32_e64 s7, 0, v10
	v_cmp_ne_u32_e64 s10, 8, v11
	v_bfe_u32 v28, v31, 10, 10
	v_bfe_u32 v29, v31, 20, 10
	v_and_b32_e32 v9, 0x3ff, v31
	s_delay_alu instid0(VALU_DEP_4) | instskip(NEXT) | instid1(SALU_CYCLE_1)
	s_or_b32 s7, s7, s10
	; wave barrier
	s_and_saveexec_b32 s10, s7
	s_delay_alu instid0(SALU_CYCLE_1)
	s_xor_b32 s20, exec_lo, s10
	s_cbranch_execz .LBB100_71
; %bb.26:
	s_load_b64 s[10:11], s[8:9], 0x0
	v_mov_b32_e32 v31, 0
	v_lshlrev_b32_e64 v11, v11, -1
	v_lshlrev_b32_e64 v10, v10, -1
	s_mov_b32 s21, exec_lo
	s_delay_alu instid0(VALU_DEP_1) | instskip(SKIP_3) | instid1(SALU_CYCLE_1)
	v_xor_b32_e32 v11, v11, v10
	s_waitcnt lgkmcnt(0)
	s_cmp_lt_u32 s13, s11
	s_cselect_b32 s7, 14, 20
	s_add_u32 s14, s8, s7
	s_addc_u32 s15, s9, 0
	s_cmp_lt_u32 s12, s10
	global_load_u16 v34, v31, s[14:15]
	s_cselect_b32 s7, 12, 18
	s_delay_alu instid0(SALU_CYCLE_1)
	s_add_u32 s10, s8, s7
	s_addc_u32 s11, s9, 0
	global_load_u16 v31, v31, s[10:11]
	s_waitcnt vmcnt(1)
	v_mad_u32_u24 v28, v29, v34, v28
	s_waitcnt vmcnt(0)
	s_delay_alu instid0(VALU_DEP_1) | instskip(NEXT) | instid1(VALU_DEP_1)
	v_mul_lo_u32 v28, v28, v31
	v_add_lshl_u32 v28, v28, v9, 3
	s_delay_alu instid0(VALU_DEP_1)
	v_cmpx_gt_u32_e32 0x800, v28
	s_cbranch_execz .LBB100_30
; %bb.27:
	v_lshrrev_b32_e32 v9, 8, v26
	v_and_b32_e32 v10, v26, v11
	v_perm_b32 v29, 0, v26, 0xc0c0001
	v_and_b32_e32 v35, v27, v11
	s_delay_alu instid0(VALU_DEP_4) | instskip(NEXT) | instid1(VALU_DEP_4)
	v_and_b32_e32 v9, v9, v11
	v_and_b32_e32 v10, 0xff, v10
	s_delay_alu instid0(VALU_DEP_4) | instskip(NEXT) | instid1(VALU_DEP_4)
	v_and_or_b32 v29, 0xffff0000, v26, v29
	v_and_b32_e32 v35, 0xff, v35
	s_delay_alu instid0(VALU_DEP_4) | instskip(NEXT) | instid1(VALU_DEP_1)
	v_and_b32_e32 v9, 0xff, v9
	v_cmp_gt_u16_e64 s7, v9, v10
	s_delay_alu instid0(VALU_DEP_1)
	v_cndmask_b32_e64 v10, v26, v29, s7
	v_lshrrev_b32_e32 v29, 8, v27
	v_cndmask_b32_e64 v9, v14, v4, s7
	v_cndmask_b32_e64 v4, v4, v14, s7
	;; [unrolled: 1-line block ×3, first 2 shown]
	v_lshrrev_b32_e32 v26, 16, v10
	v_lshrrev_b32_e32 v31, 24, v10
	v_and_b32_e32 v29, v29, v11
	v_cndmask_b32_e64 v5, v5, v15, s7
	s_delay_alu instid0(VALU_DEP_4) | instskip(SKIP_3) | instid1(VALU_DEP_4)
	v_perm_b32 v34, 0, v26, 0xc0c0001
	v_and_b32_e32 v26, v26, v11
	v_and_b32_e32 v31, v31, v11
	;; [unrolled: 1-line block ×3, first 2 shown]
	v_lshlrev_b32_e32 v34, 16, v34
	s_delay_alu instid0(VALU_DEP_4) | instskip(NEXT) | instid1(VALU_DEP_3)
	v_and_b32_e32 v26, 0xff, v26
	v_cmp_gt_u16_e64 s11, v29, v35
	s_delay_alu instid0(VALU_DEP_3) | instskip(NEXT) | instid1(VALU_DEP_3)
	v_and_or_b32 v34, 0xffff, v10, v34
	v_cmp_gt_u16_e64 s10, v31, v26
	v_perm_b32 v26, v27, v27, 0x7060405
	s_delay_alu instid0(VALU_DEP_4)
	v_cndmask_b32_e64 v48, v23, v19, s11
	v_cndmask_b32_e64 v14, v19, v23, s11
	;; [unrolled: 1-line block ×8, first 2 shown]
	v_lshrrev_b32_e32 v27, 16, v10
	v_lshrrev_b32_e32 v34, 8, v10
	;; [unrolled: 1-line block ×4, first 2 shown]
	v_perm_b32 v39, v10, v10, 0x7050604
	v_and_b32_e32 v27, v27, v11
	v_and_b32_e32 v34, v34, v11
	;; [unrolled: 1-line block ×4, first 2 shown]
	v_cndmask_b32_e64 v16, v16, v20, s10
	v_and_b32_e32 v27, 0xff, v27
	v_and_b32_e32 v34, 0xff, v34
	;; [unrolled: 1-line block ×3, first 2 shown]
	v_cndmask_b32_e64 v18, v18, v22, s11
	s_delay_alu instid0(VALU_DEP_3) | instskip(SKIP_1) | instid1(VALU_DEP_4)
	v_cmp_gt_u16_e64 s14, v27, v34
	v_perm_b32 v27, v26, v26, 0x6070504
	v_cmp_gt_u16_e64 s15, v36, v35
	s_delay_alu instid0(VALU_DEP_3) | instskip(SKIP_1) | instid1(VALU_DEP_3)
	v_cndmask_b32_e64 v10, v10, v39, s14
	v_cndmask_b32_e64 v34, v38, v37, s14
	;; [unrolled: 1-line block ×5, first 2 shown]
	v_lshrrev_b32_e32 v27, 16, v10
	s_delay_alu instid0(VALU_DEP_4) | instskip(SKIP_1) | instid1(VALU_DEP_3)
	v_lshlrev_b16 v36, 8, v26
	v_and_b32_e32 v39, v26, v11
	v_and_b32_e32 v27, 0xff, v27
	s_delay_alu instid0(VALU_DEP_2) | instskip(NEXT) | instid1(VALU_DEP_2)
	v_and_b32_e32 v39, 0xff, v39
	v_or_b32_e32 v27, v27, v36
	v_lshrrev_b32_e32 v36, 24, v10
	s_delay_alu instid0(VALU_DEP_2) | instskip(NEXT) | instid1(VALU_DEP_2)
	v_lshlrev_b32_e32 v27, 16, v27
	v_and_b32_e32 v36, v36, v11
	s_delay_alu instid0(VALU_DEP_2) | instskip(NEXT) | instid1(VALU_DEP_2)
	v_and_or_b32 v21, 0xffff, v10, v27
	v_cmp_gt_u16_e64 s16, v39, v36
	v_perm_b32 v27, v10, v26, 0x3020107
	v_cndmask_b32_e64 v39, v9, v16, s14
	v_cndmask_b32_e64 v9, v16, v9, s14
	s_delay_alu instid0(VALU_DEP_4) | instskip(NEXT) | instid1(VALU_DEP_4)
	v_cndmask_b32_e64 v10, v10, v21, s16
	v_cndmask_b32_e64 v21, v26, v27, s16
	;; [unrolled: 1-line block ×5, first 2 shown]
	v_lshrrev_b32_e32 v19, 8, v10
	v_lshrrev_b32_e32 v23, 16, v21
	;; [unrolled: 1-line block ×3, first 2 shown]
	v_and_b32_e32 v20, v10, v11
	v_perm_b32 v27, 0, v10, 0xc0c0001
	v_and_b32_e32 v19, v19, v11
	v_and_b32_e32 v23, v23, v11
	;; [unrolled: 1-line block ×4, first 2 shown]
	v_and_or_b32 v27, 0xffff0000, v10, v27
	v_and_b32_e32 v19, 0xff, v19
	v_and_b32_e32 v23, 0xff, v23
	;; [unrolled: 1-line block ×3, first 2 shown]
	v_cndmask_b32_e64 v17, v48, v17, s16
	s_delay_alu instid0(VALU_DEP_4) | instskip(SKIP_1) | instid1(VALU_DEP_4)
	v_cmp_gt_u16_e64 s10, v19, v20
	v_perm_b32 v20, v21, v21, 0x7050604
	v_cmp_gt_u16_e64 s17, v23, v26
	v_cndmask_b32_e64 v19, v13, v25, s15
	v_cndmask_b32_e64 v13, v25, v13, s15
	;; [unrolled: 1-line block ×7, first 2 shown]
	v_lshrrev_b32_e32 v21, 16, v10
	v_lshrrev_b32_e32 v27, 24, v10
	;; [unrolled: 1-line block ×3, first 2 shown]
	v_and_b32_e32 v50, v20, v11
	v_cndmask_b32_e64 v4, v4, v39, s10
	v_perm_b32 v49, 0, v21, 0xc0c0001
	v_and_b32_e32 v21, v21, v11
	v_and_b32_e32 v22, v22, v11
	;; [unrolled: 1-line block ×4, first 2 shown]
	v_lshlrev_b32_e32 v49, 16, v49
	v_and_b32_e32 v21, 0xff, v21
	v_and_b32_e32 v22, 0xff, v22
	s_delay_alu instid0(VALU_DEP_3) | instskip(NEXT) | instid1(VALU_DEP_3)
	v_and_or_b32 v49, 0xffff, v10, v49
	v_cmp_gt_u16_e64 s11, v27, v21
	v_perm_b32 v27, v20, v20, 0x7060405
	s_delay_alu instid0(VALU_DEP_4)
	v_cmp_gt_u16_e64 s18, v22, v31
	v_cndmask_b32_e64 v31, v37, v38, s14
	v_cndmask_b32_e64 v21, v18, v35, s17
	;; [unrolled: 1-line block ×7, first 2 shown]
	v_lshrrev_b32_e32 v22, 16, v10
	v_lshrrev_b32_e32 v27, 8, v10
	;; [unrolled: 1-line block ×4, first 2 shown]
	v_perm_b32 v51, v10, v10, 0x7050604
	v_and_b32_e32 v22, v22, v11
	v_and_b32_e32 v27, v27, v11
	;; [unrolled: 1-line block ×4, first 2 shown]
	v_cndmask_b32_e64 v17, v26, v17, s18
	v_and_b32_e32 v22, 0xff, v22
	v_and_b32_e32 v27, 0xff, v27
	;; [unrolled: 1-line block ×3, first 2 shown]
	v_cndmask_b32_e64 v9, v9, v16, s11
	v_cndmask_b32_e64 v49, v34, v36, s11
	;; [unrolled: 1-line block ×3, first 2 shown]
	v_cmp_gt_u16_e64 s14, v22, v27
	v_perm_b32 v22, v20, v20, 0x6070504
	v_cmp_gt_u16_e64 s19, v38, v24
	v_cndmask_b32_e64 v15, v29, v21, s18
	v_cndmask_b32_e64 v37, v31, v5, s10
	;; [unrolled: 1-line block ×7, first 2 shown]
	v_lshrrev_b32_e32 v22, 16, v10
	v_cndmask_b32_e64 v27, v49, v37, s14
	v_lshlrev_b16 v35, 8, v20
	v_and_b32_e32 v38, v20, v11
	v_cndmask_b32_e64 v36, v23, v9, s14
	v_and_b32_e32 v22, 0xff, v22
	v_cndmask_b32_e64 v9, v9, v23, s14
	v_cndmask_b32_e64 v37, v37, v49, s14
	v_and_b32_e32 v38, 0xff, v38
	s_delay_alu instid0(VALU_DEP_4) | instskip(SKIP_1) | instid1(VALU_DEP_2)
	v_or_b32_e32 v22, v22, v35
	v_lshrrev_b32_e32 v35, 24, v10
	v_lshlrev_b32_e32 v22, 16, v22
	s_delay_alu instid0(VALU_DEP_2) | instskip(NEXT) | instid1(VALU_DEP_2)
	v_and_b32_e32 v35, v35, v11
	v_and_or_b32 v22, 0xffff, v10, v22
	s_delay_alu instid0(VALU_DEP_2) | instskip(SKIP_1) | instid1(VALU_DEP_2)
	v_cmp_gt_u16_e64 s16, v38, v35
	v_perm_b32 v35, v10, v20, 0x3020107
	v_cndmask_b32_e64 v10, v10, v22, s16
	s_delay_alu instid0(VALU_DEP_2)
	v_cndmask_b32_e64 v20, v20, v35, s16
	v_cndmask_b32_e64 v25, v34, v48, s16
	;; [unrolled: 1-line block ×4, first 2 shown]
	v_lshrrev_b32_e32 v19, 8, v10
	v_lshrrev_b32_e32 v22, 16, v20
	;; [unrolled: 1-line block ×3, first 2 shown]
	v_and_b32_e32 v16, v10, v11
	v_perm_b32 v35, 0, v10, 0xc0c0001
	v_and_b32_e32 v19, v19, v11
	v_and_b32_e32 v22, v22, v11
	;; [unrolled: 1-line block ×4, first 2 shown]
	v_and_or_b32 v35, 0xffff0000, v10, v35
	v_and_b32_e32 v19, 0xff, v19
	v_and_b32_e32 v22, 0xff, v22
	;; [unrolled: 1-line block ×3, first 2 shown]
	v_cndmask_b32_e64 v34, v48, v34, s16
	s_delay_alu instid0(VALU_DEP_4) | instskip(SKIP_1) | instid1(VALU_DEP_4)
	v_cmp_gt_u16_e64 s7, v19, v16
	v_perm_b32 v19, v20, v20, 0x7050604
	v_cmp_gt_u16_e64 s11, v22, v26
	v_cndmask_b32_e64 v16, v14, v13, s19
	v_cndmask_b32_e64 v13, v13, v14, s19
	;; [unrolled: 1-line block ×7, first 2 shown]
	v_lshrrev_b32_e32 v21, 16, v10
	v_lshrrev_b32_e32 v35, 24, v10
	;; [unrolled: 1-line block ×3, first 2 shown]
	v_and_b32_e32 v39, v19, v11
	v_cndmask_b32_e64 v14, v16, v17, s11
	v_perm_b32 v38, 0, v21, 0xc0c0001
	v_and_b32_e32 v21, v21, v11
	v_and_b32_e32 v29, v29, v11
	;; [unrolled: 1-line block ×4, first 2 shown]
	v_lshlrev_b32_e32 v38, 16, v38
	v_and_b32_e32 v21, 0xff, v21
	v_and_b32_e32 v29, 0xff, v29
	v_cndmask_b32_e64 v4, v4, v36, s7
	s_delay_alu instid0(VALU_DEP_4) | instskip(NEXT) | instid1(VALU_DEP_4)
	v_and_or_b32 v38, 0xffff, v10, v38
	v_cmp_gt_u16_e64 s15, v35, v21
	v_perm_b32 v35, v19, v19, 0x7060405
	v_cmp_gt_u16_e64 s17, v29, v39
	v_cndmask_b32_e64 v21, v20, v24, s11
	v_cndmask_b32_e64 v20, v24, v20, s11
	;; [unrolled: 1-line block ×7, first 2 shown]
	v_lshrrev_b32_e32 v31, 16, v10
	v_lshrrev_b32_e32 v35, 8, v10
	v_lshrrev_b32_e32 v18, 16, v19
	v_lshrrev_b32_e32 v39, 24, v19
	v_perm_b32 v51, v10, v10, 0x7050604
	v_and_b32_e32 v31, v31, v11
	v_and_b32_e32 v35, v35, v11
	;; [unrolled: 1-line block ×4, first 2 shown]
	v_perm_b32 v24, v19, v19, 0x6070504
	v_and_b32_e32 v31, 0xff, v31
	v_and_b32_e32 v35, 0xff, v35
	;; [unrolled: 1-line block ×3, first 2 shown]
	v_cndmask_b32_e64 v9, v9, v23, s15
	v_cndmask_b32_e64 v48, v34, v26, s17
	;; [unrolled: 1-line block ×3, first 2 shown]
	v_cmp_gt_u16_e64 s10, v31, v35
	v_cmp_gt_u16_e64 s14, v39, v18
	v_cndmask_b32_e64 v15, v21, v15, s17
	v_cndmask_b32_e64 v38, v37, v5, s7
	;; [unrolled: 1-line block ×8, first 2 shown]
	v_lshrrev_b32_e32 v24, 16, v10
	v_lshlrev_b16 v35, 8, v19
	v_and_b32_e32 v39, v19, v11
	v_lshrrev_b32_e32 v51, 24, v10
	v_perm_b32 v27, v10, v19, 0x3020107
	v_and_b32_e32 v24, 0xff, v24
	v_cndmask_b32_e64 v31, v20, v12, s14
	v_and_b32_e32 v39, 0xff, v39
	v_cndmask_b32_e64 v12, v12, v20, s14
	s_delay_alu instid0(VALU_DEP_4) | instskip(SKIP_1) | instid1(VALU_DEP_2)
	v_or_b32_e32 v24, v24, v35
	v_and_b32_e32 v35, v51, v11
	v_lshlrev_b32_e32 v24, 16, v24
	s_delay_alu instid0(VALU_DEP_2) | instskip(NEXT) | instid1(VALU_DEP_2)
	v_cmp_gt_u16_e64 s16, v39, v35
	v_and_or_b32 v24, 0xffff, v10, v24
	s_delay_alu instid0(VALU_DEP_2)
	v_cndmask_b32_e64 v19, v19, v27, s16
	v_cndmask_b32_e64 v22, v50, v29, s16
	;; [unrolled: 1-line block ×5, first 2 shown]
	v_lshrrev_b32_e32 v16, 16, v19
	v_lshrrev_b32_e32 v17, 8, v19
	v_cndmask_b32_e64 v24, v26, v34, s17
	v_perm_b32 v39, v19, v19, 0x7050604
	v_lshrrev_b32_e32 v23, 8, v10
	v_and_b32_e32 v16, v16, v11
	v_and_b32_e32 v17, v17, v11
	;; [unrolled: 1-line block ×3, first 2 shown]
	v_perm_b32 v34, 0, v10, 0xc0c0001
	v_and_b32_e32 v23, v23, v11
	v_and_b32_e32 v16, 0xff, v16
	;; [unrolled: 1-line block ×4, first 2 shown]
	v_cndmask_b32_e64 v26, v14, v13, s14
	v_and_b32_e32 v23, 0xff, v23
	v_cndmask_b32_e64 v13, v13, v14, s14
	v_cmp_gt_u16_e64 s11, v16, v17
	v_and_or_b32 v16, 0xffff0000, v10, v34
	v_cndmask_b32_e64 v14, v38, v49, s10
	v_cmp_gt_u16_e64 s15, v23, v27
	s_delay_alu instid0(VALU_DEP_4) | instskip(SKIP_2) | instid1(VALU_DEP_4)
	v_cndmask_b32_e64 v17, v19, v39, s11
	v_cndmask_b32_e64 v23, v24, v26, s11
	;; [unrolled: 1-line block ×5, first 2 shown]
	v_lshrrev_b32_e32 v16, 8, v17
	v_and_b32_e32 v27, v17, v11
	v_perm_b32 v51, v17, v17, 0x7060405
	v_lshrrev_b32_e32 v19, 16, v10
	v_lshrrev_b32_e32 v29, 24, v10
	v_and_b32_e32 v16, v16, v11
	v_and_b32_e32 v27, 0xff, v27
	v_cndmask_b32_e64 v5, v5, v14, s15
	v_and_b32_e32 v39, v19, v11
	v_perm_b32 v19, 0, v19, 0xc0c0001
	v_and_b32_e32 v16, 0xff, v16
	v_and_b32_e32 v29, v29, v11
	v_cndmask_b32_e64 v50, v15, v31, s11
	v_and_b32_e32 v39, 0xff, v39
	v_lshlrev_b32_e32 v19, 16, v19
	v_cmp_gt_u16_e64 s17, v16, v27
	v_cndmask_b32_e64 v15, v31, v15, s11
	v_cndmask_b32_e64 v34, v36, v4, s15
	v_cmp_gt_u16_e64 s18, v29, v39
	v_and_or_b32 v16, 0xffff, v10, v19
	v_cndmask_b32_e64 v17, v17, v51, s17
	v_cndmask_b32_e64 v29, v21, v50, s17
	;; [unrolled: 1-line block ×5, first 2 shown]
	v_lshrrev_b32_e32 v10, 16, v17
	v_lshrrev_b32_e32 v26, 24, v17
	v_perm_b32 v38, v17, v17, 0x6070504
	v_cndmask_b32_e64 v49, v18, v35, s18
	v_lshrrev_b32_e32 v19, 16, v16
	v_lshrrev_b32_e32 v27, 8, v16
	v_and_b32_e32 v10, v10, v11
	v_and_b32_e32 v26, v26, v11
	s_delay_alu instid0(VALU_DEP_4) | instskip(NEXT) | instid1(VALU_DEP_4)
	v_and_b32_e32 v19, v19, v11
	v_and_b32_e32 v27, v27, v11
	s_delay_alu instid0(VALU_DEP_4) | instskip(NEXT) | instid1(VALU_DEP_3)
	v_and_b32_e32 v10, 0xff, v10
	v_and_b32_e32 v19, 0xff, v19
	s_delay_alu instid0(VALU_DEP_3) | instskip(NEXT) | instid1(VALU_DEP_3)
	v_and_b32_e32 v27, 0xff, v27
	v_cmp_gt_u16_e64 s7, v26, v10
	v_perm_b32 v26, v16, v16, 0x7050604
	s_delay_alu instid0(VALU_DEP_3) | instskip(NEXT) | instid1(VALU_DEP_3)
	v_cmp_gt_u16_e64 s10, v19, v27
	v_cndmask_b32_e64 v27, v17, v38, s7
	v_cndmask_b32_e64 v10, v24, v13, s7
	s_delay_alu instid0(VALU_DEP_3) | instskip(NEXT) | instid1(VALU_DEP_3)
	v_cndmask_b32_e64 v26, v16, v26, s10
	v_and_b32_e32 v19, v27, v11
	v_cndmask_b32_e64 v16, v48, v25, s16
	v_cndmask_b32_e64 v17, v49, v37, s10
	s_delay_alu instid0(VALU_DEP_4) | instskip(NEXT) | instid1(VALU_DEP_4)
	v_lshrrev_b32_e32 v20, 24, v26
	v_and_b32_e32 v14, 0xff, v19
	s_delay_alu instid0(VALU_DEP_4)
	v_cndmask_b32_e64 v31, v16, v23, s17
	v_cndmask_b32_e64 v19, v23, v16, s17
	v_lshrrev_b32_e32 v16, 16, v26
	v_and_b32_e32 v20, v20, v11
	v_perm_b32 v25, v26, v27, 0x3020107
	v_cndmask_b32_e64 v23, v35, v18, s18
	v_cndmask_b32_e64 v18, v50, v21, s17
	v_and_b32_e32 v16, 0xff, v16
	v_cmp_gt_u16_e64 s11, v14, v20
	v_lshlrev_b16 v14, 8, v27
	v_cndmask_b32_e64 v20, v9, v22, s18
	v_cndmask_b32_e64 v9, v15, v12, s7
	s_delay_alu instid0(VALU_DEP_4)
	v_cndmask_b32_e64 v27, v27, v25, s11
	v_cndmask_b32_e64 v25, v13, v24, s7
	v_or_b32_e32 v13, v16, v14
	v_cndmask_b32_e64 v24, v12, v15, s7
	v_cndmask_b32_e64 v16, v20, v34, s10
	v_lshrrev_b32_e32 v14, 16, v27
	v_lshrrev_b32_e32 v22, 8, v27
	v_lshlrev_b32_e32 v12, 16, v13
	v_cndmask_b32_e64 v21, v23, v31, s11
	v_cndmask_b32_e64 v15, v37, v49, s10
	v_and_b32_e32 v13, v14, v11
	v_and_b32_e32 v22, v22, v11
	v_cndmask_b32_e64 v14, v34, v20, s10
	v_and_or_b32 v12, 0xffff, v26, v12
	v_cndmask_b32_e64 v20, v39, v29, s11
	v_and_b32_e32 v13, 0xff, v13
	v_and_b32_e32 v34, 0xff, v22
	v_cndmask_b32_e64 v23, v31, v23, s11
	v_cndmask_b32_e64 v26, v26, v12, s11
	;; [unrolled: 1-line block ×3, first 2 shown]
	s_delay_alu instid0(VALU_DEP_4) | instskip(SKIP_1) | instid1(VALU_DEP_2)
	v_cmp_gt_u16_e64 s7, v13, v34
	v_dual_mov_b32 v13, v10 :: v_dual_mov_b32 v12, v9
	s_and_saveexec_b32 s10, s7
; %bb.28:
	v_perm_b32 v27, v27, v27, 0x7050604
	v_dual_mov_b32 v12, v18 :: v_dual_mov_b32 v13, v19
	v_dual_mov_b32 v19, v10 :: v_dual_mov_b32 v18, v9
; %bb.29:
	s_or_b32 exec_lo, exec_lo, s10
.LBB100_30:
	s_delay_alu instid0(SALU_CYCLE_1)
	s_or_b32 exec_lo, exec_lo, s21
	v_and_b32_e32 v28, 0xffffff00, v28
	v_or_b32_e32 v31, 8, v33
	v_and_b32_e32 v34, 8, v33
	v_and_b32_e32 v49, 0xf0, v33
	v_lshrrev_b64 v[9:10], 24, v[26:27]
	v_sub_nc_u32_e64 v29, 0x800, v28 clamp
	v_lshlrev_b32_e32 v10, 3, v28
	v_lshrrev_b32_e32 v36, 8, v26
	v_lshrrev_b32_e32 v37, 16, v26
	;; [unrolled: 1-line block ×3, first 2 shown]
	v_min_u32_e32 v51, v29, v31
	v_min_u32_e32 v50, v29, v34
	v_lshrrev_b32_e32 v39, 16, v27
	v_or_b32_e32 v53, v28, v33
	v_lshl_or_b32 v31, v33, 3, v10
	v_add_nc_u32_e32 v35, 8, v51
	v_sub_nc_u32_e32 v48, v51, v49
	s_mov_b32 s10, exec_lo
	ds_store_b8 v53, v26
	ds_store_b64 v31, v[4:5] offset:2048
	ds_store_b8 v53, v36 offset:1
	ds_store_b64 v31, v[14:15] offset:2056
	v_min_u32_e32 v35, v29, v35
	ds_store_b8 v53, v37 offset:2
	ds_store_b64 v31, v[16:17] offset:2064
	ds_store_b8 v53, v9 offset:3
	ds_store_b64 v31, v[20:21] offset:2072
	;; [unrolled: 2-line block ×3, first 2 shown]
	ds_store_b8 v53, v38 offset:5
	v_sub_nc_u32_e32 v34, v35, v51
	s_delay_alu instid0(VALU_DEP_1)
	v_sub_nc_u32_e64 v52, v50, v34 clamp
	v_min_u32_e32 v34, v50, v48
	v_lshrrev_b32_e32 v48, 24, v27
	ds_store_b64 v31, v[18:19] offset:2088
	ds_store_b8 v53, v39 offset:6
	ds_store_b64 v31, v[12:13] offset:2096
	ds_store_b8 v53, v48 offset:7
	ds_store_b64 v31, v[24:25] offset:2104
	; wave barrier
	v_cmpx_lt_u32_e64 v52, v34
	s_cbranch_execz .LBB100_34
; %bb.31:
	v_add_nc_u32_e32 v53, v28, v49
	v_add3_u32 v54, v28, v51, v50
	s_mov_b32 s11, 0
	.p2align	6
.LBB100_32:                             ; =>This Inner Loop Header: Depth=1
	v_add_nc_u32_e32 v55, v34, v52
	s_delay_alu instid0(VALU_DEP_1) | instskip(NEXT) | instid1(VALU_DEP_1)
	v_lshrrev_b32_e32 v55, 1, v55
	v_xad_u32 v64, v55, -1, v54
	v_add_nc_u32_e32 v65, v53, v55
	v_add_nc_u32_e32 v66, 1, v55
	ds_load_u8 v64, v64
	ds_load_u8 v65, v65
	s_waitcnt lgkmcnt(1)
	v_and_b32_e32 v64, v64, v11
	s_waitcnt lgkmcnt(0)
	v_and_b32_e32 v65, v65, v11
	s_delay_alu instid0(VALU_DEP_2) | instskip(NEXT) | instid1(VALU_DEP_2)
	v_and_b32_e32 v64, 0xff, v64
	v_and_b32_e32 v65, 0xff, v65
	s_delay_alu instid0(VALU_DEP_1) | instskip(NEXT) | instid1(VALU_DEP_1)
	v_cmp_gt_u16_e64 s7, v64, v65
	v_cndmask_b32_e64 v34, v34, v55, s7
	v_cndmask_b32_e64 v52, v66, v52, s7
	s_delay_alu instid0(VALU_DEP_1) | instskip(NEXT) | instid1(VALU_DEP_1)
	v_cmp_ge_u32_e64 s7, v52, v34
	s_or_b32 s11, s7, s11
	s_delay_alu instid0(SALU_CYCLE_1)
	s_and_not1_b32 exec_lo, exec_lo, s11
	s_cbranch_execnz .LBB100_32
; %bb.33:
	s_or_b32 exec_lo, exec_lo, s11
.LBB100_34:
	s_delay_alu instid0(SALU_CYCLE_1) | instskip(SKIP_3) | instid1(VALU_DEP_3)
	s_or_b32 exec_lo, exec_lo, s10
	v_add_nc_u32_e32 v50, v51, v50
	v_add_nc_u32_e32 v53, v52, v49
	v_dual_mov_b32 v49, v26 :: v_dual_add_nc_u32 v34, 0x800, v31
	v_sub_nc_u32_e32 v52, v50, v52
	v_mov_b32_e32 v50, v27
	s_delay_alu instid0(VALU_DEP_4) | instskip(NEXT) | instid1(VALU_DEP_3)
	v_cmp_le_u32_e64 s7, v53, v51
	v_cmp_le_u32_e64 s10, v52, v35
	s_delay_alu instid0(VALU_DEP_1) | instskip(NEXT) | instid1(SALU_CYCLE_1)
	s_or_b32 s7, s7, s10
	s_and_saveexec_b32 s21, s7
	s_cbranch_execz .LBB100_40
; %bb.35:
	v_cmp_lt_u32_e64 s7, v53, v51
                                        ; implicit-def: $vgpr9
	s_delay_alu instid0(VALU_DEP_1)
	s_and_saveexec_b32 s10, s7
	s_cbranch_execz .LBB100_37
; %bb.36:
	v_add_nc_u32_e32 v4, v28, v53
	ds_load_u8 v9, v4
.LBB100_37:
	s_or_b32 exec_lo, exec_lo, s10
	v_cmp_ge_u32_e64 s10, v52, v35
	s_mov_b32 s14, exec_lo
                                        ; implicit-def: $vgpr24
	v_cmpx_lt_u32_e64 v52, v35
	s_cbranch_execz .LBB100_39
; %bb.38:
	v_add_nc_u32_e32 v4, v28, v52
	ds_load_u8 v24, v4
.LBB100_39:
	s_or_b32 exec_lo, exec_lo, s14
	s_waitcnt lgkmcnt(0)
	v_and_b32_e32 v4, v24, v11
	v_and_b32_e32 v5, v9, v11
	s_delay_alu instid0(VALU_DEP_2) | instskip(NEXT) | instid1(VALU_DEP_2)
	v_and_b32_e32 v4, 0xff, v4
	v_and_b32_e32 v5, 0xff, v5
	s_delay_alu instid0(VALU_DEP_1) | instskip(NEXT) | instid1(VALU_DEP_1)
	v_cmp_le_u16_e64 s11, v4, v5
	s_and_b32 s7, s7, s11
	s_delay_alu instid0(SALU_CYCLE_1) | instskip(NEXT) | instid1(SALU_CYCLE_1)
	s_or_b32 s7, s10, s7
	v_cndmask_b32_e64 v4, v52, v53, s7
	v_cndmask_b32_e64 v5, v35, v51, s7
	;; [unrolled: 1-line block ×3, first 2 shown]
	s_delay_alu instid0(VALU_DEP_3) | instskip(NEXT) | instid1(VALU_DEP_3)
	v_add_nc_u32_e32 v12, 1, v4
	v_add_nc_u32_e32 v5, -1, v5
	v_lshl_add_u32 v4, v4, 3, v10
	s_delay_alu instid0(VALU_DEP_3) | instskip(NEXT) | instid1(VALU_DEP_3)
	v_cndmask_b32_e64 v14, v53, v12, s7
	v_min_u32_e32 v5, v12, v5
	v_cndmask_b32_e64 v12, v12, v52, s7
	s_delay_alu instid0(VALU_DEP_3) | instskip(NEXT) | instid1(VALU_DEP_3)
	v_cmp_lt_u32_e64 s10, v14, v51
	v_add_nc_u32_e32 v5, v28, v5
	s_delay_alu instid0(VALU_DEP_3) | instskip(SKIP_4) | instid1(VALU_DEP_2)
	v_cmp_ge_u32_e64 s14, v12, v35
	ds_load_u8 v5, v5
	s_waitcnt lgkmcnt(0)
	v_cndmask_b32_e64 v25, v5, v24, s7
	v_cndmask_b32_e64 v26, v9, v5, s7
	v_and_b32_e32 v5, v25, v11
	s_delay_alu instid0(VALU_DEP_2) | instskip(NEXT) | instid1(VALU_DEP_2)
	v_and_b32_e32 v13, v26, v11
	v_and_b32_e32 v5, 0xff, v5
	s_delay_alu instid0(VALU_DEP_2) | instskip(NEXT) | instid1(VALU_DEP_1)
	v_and_b32_e32 v13, 0xff, v13
	v_cmp_le_u16_e64 s11, v5, v13
	s_delay_alu instid0(VALU_DEP_1) | instskip(NEXT) | instid1(SALU_CYCLE_1)
	s_and_b32 s10, s10, s11
	s_or_b32 s10, s14, s10
	s_delay_alu instid0(SALU_CYCLE_1) | instskip(SKIP_2) | instid1(VALU_DEP_3)
	v_cndmask_b32_e64 v5, v12, v14, s10
	v_cndmask_b32_e64 v13, v35, v51, s10
	;; [unrolled: 1-line block ×3, first 2 shown]
	v_add_nc_u32_e32 v15, 1, v5
	s_delay_alu instid0(VALU_DEP_3) | instskip(NEXT) | instid1(VALU_DEP_2)
	v_add_nc_u32_e32 v13, -1, v13
	v_cndmask_b32_e64 v14, v14, v15, s10
	s_delay_alu instid0(VALU_DEP_2) | instskip(SKIP_1) | instid1(VALU_DEP_3)
	v_min_u32_e32 v13, v15, v13
	v_cndmask_b32_e64 v12, v15, v12, s10
	v_cmp_lt_u32_e64 s11, v14, v51
	s_delay_alu instid0(VALU_DEP_3) | instskip(NEXT) | instid1(VALU_DEP_3)
	v_add_nc_u32_e32 v13, v28, v13
	v_cmp_ge_u32_e64 s15, v12, v35
	ds_load_u8 v13, v13
	s_waitcnt lgkmcnt(0)
	v_cndmask_b32_e64 v27, v13, v25, s10
	v_cndmask_b32_e64 v37, v26, v13, s10
	s_delay_alu instid0(VALU_DEP_2) | instskip(NEXT) | instid1(VALU_DEP_2)
	v_and_b32_e32 v13, v27, v11
	v_and_b32_e32 v16, v37, v11
	s_delay_alu instid0(VALU_DEP_2) | instskip(NEXT) | instid1(VALU_DEP_2)
	v_and_b32_e32 v13, 0xff, v13
	v_and_b32_e32 v16, 0xff, v16
	s_delay_alu instid0(VALU_DEP_1) | instskip(NEXT) | instid1(VALU_DEP_1)
	v_cmp_le_u16_e64 s14, v13, v16
	s_and_b32 s11, s11, s14
	s_delay_alu instid0(SALU_CYCLE_1) | instskip(NEXT) | instid1(SALU_CYCLE_1)
	s_or_b32 s11, s15, s11
	v_cndmask_b32_e64 v13, v12, v14, s11
	v_cndmask_b32_e64 v15, v35, v51, s11
	s_delay_alu instid0(VALU_DEP_2) | instskip(NEXT) | instid1(VALU_DEP_2)
	v_add_nc_u32_e32 v16, 1, v13
	v_add_nc_u32_e32 v15, -1, v15
	v_lshl_add_u32 v13, v13, 3, v10
	s_delay_alu instid0(VALU_DEP_3) | instskip(NEXT) | instid1(VALU_DEP_3)
	v_cndmask_b32_e64 v14, v14, v16, s11
	v_min_u32_e32 v15, v16, v15
	v_cndmask_b32_e64 v12, v16, v12, s11
	s_delay_alu instid0(VALU_DEP_3) | instskip(NEXT) | instid1(VALU_DEP_3)
	v_cmp_lt_u32_e64 s14, v14, v51
	v_add_nc_u32_e32 v15, v28, v15
	s_delay_alu instid0(VALU_DEP_3)
	v_cmp_ge_u32_e64 s16, v12, v35
	ds_load_u8 v15, v15
	s_waitcnt lgkmcnt(0)
	v_cndmask_b32_e64 v38, v15, v27, s11
	v_cndmask_b32_e64 v39, v37, v15, s11
	v_cndmask_b32_e64 v37, v27, v37, s11
	s_delay_alu instid0(VALU_DEP_3) | instskip(NEXT) | instid1(VALU_DEP_3)
	v_and_b32_e32 v15, v38, v11
	v_and_b32_e32 v17, v39, v11
	s_delay_alu instid0(VALU_DEP_2) | instskip(NEXT) | instid1(VALU_DEP_2)
	v_and_b32_e32 v15, 0xff, v15
	v_and_b32_e32 v17, 0xff, v17
	s_delay_alu instid0(VALU_DEP_1) | instskip(NEXT) | instid1(VALU_DEP_1)
	v_cmp_le_u16_e64 s15, v15, v17
	s_and_b32 s14, s14, s15
	s_delay_alu instid0(SALU_CYCLE_1) | instskip(NEXT) | instid1(SALU_CYCLE_1)
	s_or_b32 s14, s16, s14
	v_cndmask_b32_e64 v15, v12, v14, s14
	v_cndmask_b32_e64 v16, v35, v51, s14
	;; [unrolled: 1-line block ×3, first 2 shown]
	s_delay_alu instid0(VALU_DEP_3) | instskip(NEXT) | instid1(VALU_DEP_3)
	v_add_nc_u32_e32 v17, 1, v15
	v_add_nc_u32_e32 v16, -1, v16
	s_delay_alu instid0(VALU_DEP_2) | instskip(NEXT) | instid1(VALU_DEP_2)
	v_cndmask_b32_e64 v14, v14, v17, s14
	v_min_u32_e32 v16, v17, v16
	v_cndmask_b32_e64 v12, v17, v12, s14
	s_delay_alu instid0(VALU_DEP_3) | instskip(NEXT) | instid1(VALU_DEP_3)
	v_cmp_lt_u32_e64 s15, v14, v51
	v_add_nc_u32_e32 v16, v28, v16
	s_delay_alu instid0(VALU_DEP_3) | instskip(SKIP_4) | instid1(VALU_DEP_2)
	v_cmp_ge_u32_e64 s17, v12, v35
	ds_load_u8 v16, v16
	s_waitcnt lgkmcnt(0)
	v_cndmask_b32_e64 v48, v16, v38, s14
	v_cndmask_b32_e64 v50, v39, v16, s14
	v_and_b32_e32 v16, v48, v11
	s_delay_alu instid0(VALU_DEP_2) | instskip(NEXT) | instid1(VALU_DEP_2)
	v_and_b32_e32 v18, v50, v11
	v_and_b32_e32 v16, 0xff, v16
	s_delay_alu instid0(VALU_DEP_2) | instskip(NEXT) | instid1(VALU_DEP_1)
	v_and_b32_e32 v18, 0xff, v18
	v_cmp_le_u16_e64 s16, v16, v18
	s_delay_alu instid0(VALU_DEP_1) | instskip(NEXT) | instid1(SALU_CYCLE_1)
	s_and_b32 s15, s15, s16
	s_or_b32 s15, s17, s15
	s_delay_alu instid0(SALU_CYCLE_1) | instskip(SKIP_1) | instid1(VALU_DEP_2)
	v_cndmask_b32_e64 v18, v12, v14, s15
	v_cndmask_b32_e64 v16, v35, v51, s15
	v_add_nc_u32_e32 v17, 1, v18
	s_delay_alu instid0(VALU_DEP_2) | instskip(NEXT) | instid1(VALU_DEP_2)
	v_add_nc_u32_e32 v16, -1, v16
	v_cndmask_b32_e64 v14, v14, v17, s15
	s_delay_alu instid0(VALU_DEP_2) | instskip(SKIP_1) | instid1(VALU_DEP_3)
	v_min_u32_e32 v16, v17, v16
	v_cndmask_b32_e64 v12, v17, v12, s15
	v_cmp_lt_u32_e64 s16, v14, v51
	s_delay_alu instid0(VALU_DEP_3) | instskip(NEXT) | instid1(VALU_DEP_3)
	v_add_nc_u32_e32 v16, v28, v16
	v_cmp_ge_u32_e64 s18, v12, v35
	ds_load_u8 v16, v16
	s_waitcnt lgkmcnt(0)
	v_cndmask_b32_e64 v52, v16, v48, s15
	v_cndmask_b32_e64 v53, v50, v16, s15
	;; [unrolled: 1-line block ×3, first 2 shown]
	s_delay_alu instid0(VALU_DEP_3) | instskip(NEXT) | instid1(VALU_DEP_3)
	v_and_b32_e32 v16, v52, v11
	v_and_b32_e32 v19, v53, v11
	s_delay_alu instid0(VALU_DEP_3) | instskip(NEXT) | instid1(VALU_DEP_3)
	v_and_b32_e32 v27, 0xff, v50
	v_and_b32_e32 v16, 0xff, v16
	s_delay_alu instid0(VALU_DEP_3) | instskip(NEXT) | instid1(VALU_DEP_1)
	v_and_b32_e32 v19, 0xff, v19
	v_cmp_le_u16_e64 s17, v16, v19
	s_delay_alu instid0(VALU_DEP_1) | instskip(NEXT) | instid1(SALU_CYCLE_1)
	s_and_b32 s16, s16, s17
	s_or_b32 s16, s18, s16
	s_delay_alu instid0(SALU_CYCLE_1) | instskip(SKIP_2) | instid1(VALU_DEP_3)
	v_cndmask_b32_e64 v19, v12, v14, s16
	v_cndmask_b32_e64 v16, v35, v51, s16
	;; [unrolled: 1-line block ×3, first 2 shown]
	v_add_nc_u32_e32 v17, 1, v19
	s_delay_alu instid0(VALU_DEP_3) | instskip(NEXT) | instid1(VALU_DEP_2)
	v_add_nc_u32_e32 v16, -1, v16
	v_cndmask_b32_e64 v64, v14, v17, s16
	s_delay_alu instid0(VALU_DEP_2) | instskip(SKIP_1) | instid1(VALU_DEP_3)
	v_min_u32_e32 v16, v17, v16
	v_cndmask_b32_e64 v65, v17, v12, s16
	v_cmp_lt_u32_e64 s17, v64, v51
	s_delay_alu instid0(VALU_DEP_3) | instskip(NEXT) | instid1(VALU_DEP_3)
	v_add_nc_u32_e32 v16, v28, v16
	v_cmp_ge_u32_e64 s19, v65, v35
	ds_load_u8 v16, v16
	s_waitcnt lgkmcnt(0)
	v_cndmask_b32_e64 v54, v16, v52, s16
	v_cndmask_b32_e64 v55, v53, v16, s16
	v_and_b32_e32 v53, 0xff, v37
	s_delay_alu instid0(VALU_DEP_3) | instskip(NEXT) | instid1(VALU_DEP_3)
	v_and_b32_e32 v16, v54, v11
	v_and_b32_e32 v20, v55, v11
	s_delay_alu instid0(VALU_DEP_2) | instskip(NEXT) | instid1(VALU_DEP_2)
	v_and_b32_e32 v14, 0xff, v16
	v_and_b32_e32 v16, 0xff, v20
	v_lshl_add_u32 v20, v15, 3, v10
	s_delay_alu instid0(VALU_DEP_2) | instskip(NEXT) | instid1(VALU_DEP_1)
	v_cmp_le_u16_e64 s18, v14, v16
	s_and_b32 s17, s17, s18
	s_delay_alu instid0(SALU_CYCLE_1) | instskip(NEXT) | instid1(SALU_CYCLE_1)
	s_or_b32 s17, s19, s17
	v_cndmask_b32_e64 v12, v65, v64, s17
	v_cndmask_b32_e64 v14, v35, v51, s17
	;; [unrolled: 1-line block ×3, first 2 shown]
	s_delay_alu instid0(VALU_DEP_3) | instskip(NEXT) | instid1(VALU_DEP_3)
	v_add_nc_u32_e32 v66, 1, v12
	v_add_nc_u32_e32 v14, -1, v14
	v_lshl_add_u32 v12, v12, 3, v10
	s_delay_alu instid0(VALU_DEP_3) | instskip(NEXT) | instid1(VALU_DEP_3)
	v_cndmask_b32_e64 v24, v64, v66, s17
	v_min_u32_e32 v14, v66, v14
	v_cndmask_b32_e64 v64, v66, v65, s17
	s_delay_alu instid0(VALU_DEP_3) | instskip(NEXT) | instid1(VALU_DEP_3)
	v_cmp_lt_u32_e64 s7, v24, v51
	v_add_nc_u32_e32 v14, v28, v14
	s_delay_alu instid0(VALU_DEP_3)
	v_cmp_ge_u32_e64 s11, v64, v35
	v_lshlrev_b16 v35, 8, v38
	v_and_b32_e32 v51, 0xff, v39
	ds_load_u8 v22, v14
	v_lshl_add_u32 v14, v5, 3, v10
	ds_load_b64 v[4:5], v4 offset:2048
	ds_load_b64 v[14:15], v14 offset:2048
	;; [unrolled: 1-line block ×4, first 2 shown]
	v_lshl_add_u32 v13, v18, 3, v10
	v_lshl_add_u32 v18, v19, 3, v10
	v_or_b32_e32 v27, v27, v35
	s_delay_alu instid0(VALU_DEP_1)
	v_and_b32_e32 v27, 0xffff, v27
	s_waitcnt lgkmcnt(4)
	v_cndmask_b32_e64 v67, v22, v54, s17
	v_cndmask_b32_e64 v68, v55, v22, s17
	ds_load_b64 v[22:23], v13 offset:2048
	ds_load_b64 v[18:19], v18 offset:2048
	;; [unrolled: 1-line block ×3, first 2 shown]
	v_lshlrev_b16 v54, 8, v36
	v_and_b32_e32 v55, 0xff, v49
	v_and_b32_e32 v69, v67, v11
	;; [unrolled: 1-line block ×3, first 2 shown]
	s_delay_alu instid0(VALU_DEP_3) | instskip(NEXT) | instid1(VALU_DEP_3)
	v_or_b32_e32 v35, v55, v54
	v_and_b32_e32 v25, 0xff, v69
	s_delay_alu instid0(VALU_DEP_3) | instskip(NEXT) | instid1(VALU_DEP_3)
	v_and_b32_e32 v26, 0xff, v70
	v_and_b32_e32 v35, 0xffff, v35
	s_delay_alu instid0(VALU_DEP_2) | instskip(SKIP_1) | instid1(VALU_DEP_2)
	v_cmp_le_u16_e64 s10, v25, v26
	v_lshlrev_b16 v26, 8, v9
	s_and_b32 s7, s7, s10
	s_delay_alu instid0(VALU_DEP_1) | instskip(SKIP_1) | instid1(SALU_CYCLE_1)
	v_or_b32_e32 v26, v53, v26
	s_or_b32 s7, s11, s7
	v_cndmask_b32_e64 v24, v64, v24, s7
	v_cndmask_b32_e64 v48, v67, v68, s7
	s_delay_alu instid0(VALU_DEP_3) | instskip(NEXT) | instid1(VALU_DEP_3)
	v_lshlrev_b32_e32 v26, 16, v26
	v_lshl_add_u32 v24, v24, 3, v10
	s_delay_alu instid0(VALU_DEP_3) | instskip(NEXT) | instid1(VALU_DEP_3)
	v_lshlrev_b16 v52, 8, v48
	v_or_b32_e32 v26, v35, v26
	ds_load_b64 v[24:25], v24 offset:2048
	v_or_b32_e32 v51, v51, v52
	s_delay_alu instid0(VALU_DEP_1) | instskip(NEXT) | instid1(VALU_DEP_1)
	v_lshlrev_b32_e32 v51, 16, v51
	v_or_b32_e32 v27, v27, v51
.LBB100_40:
	s_or_b32 exec_lo, exec_lo, s21
	v_and_b32_e32 v53, 0xe0, v33
	v_and_b32_e32 v54, 24, v33
	s_mov_b32 s10, exec_lo
	; wave barrier
	s_delay_alu instid0(VALU_DEP_2) | instskip(NEXT) | instid1(VALU_DEP_2)
	v_or_b32_e32 v35, 16, v53
	v_min_u32_e32 v54, v29, v54
	s_delay_alu instid0(VALU_DEP_2)
	v_min_u32_e32 v52, v29, v35
	v_add_nc_u32_e32 v35, v28, v33
	ds_store_b8 v35, v49
	s_waitcnt lgkmcnt(8)
	ds_store_b64 v31, v[4:5] offset:2048
	ds_store_b8 v35, v36 offset:1
	s_waitcnt lgkmcnt(9)
	ds_store_b64 v34, v[14:15] offset:8
	v_add_nc_u32_e32 v51, 16, v52
	v_sub_nc_u32_e32 v64, v52, v53
	ds_store_b8 v35, v37 offset:2
	s_waitcnt lgkmcnt(10)
	ds_store_b64 v34, v[16:17] offset:16
	ds_store_b8 v35, v9 offset:3
	s_waitcnt lgkmcnt(11)
	ds_store_b64 v34, v[20:21] offset:24
	;; [unrolled: 3-line block ×6, first 2 shown]
	v_min_u32_e32 v51, v29, v51
	v_min_u32_e32 v64, v54, v64
	; wave barrier
	s_delay_alu instid0(VALU_DEP_2) | instskip(NEXT) | instid1(VALU_DEP_1)
	v_sub_nc_u32_e32 v55, v51, v52
	v_sub_nc_u32_e64 v55, v54, v55 clamp
	s_delay_alu instid0(VALU_DEP_1)
	v_cmpx_lt_u32_e64 v55, v64
	s_cbranch_execz .LBB100_44
; %bb.41:
	v_add_nc_u32_e32 v65, v28, v53
	v_add3_u32 v66, v28, v52, v54
	s_mov_b32 s11, 0
	.p2align	6
.LBB100_42:                             ; =>This Inner Loop Header: Depth=1
	v_add_nc_u32_e32 v67, v64, v55
	s_delay_alu instid0(VALU_DEP_1) | instskip(NEXT) | instid1(VALU_DEP_1)
	v_lshrrev_b32_e32 v67, 1, v67
	v_xad_u32 v68, v67, -1, v66
	v_add_nc_u32_e32 v69, v65, v67
	v_add_nc_u32_e32 v70, 1, v67
	ds_load_u8 v68, v68
	ds_load_u8 v69, v69
	s_waitcnt lgkmcnt(1)
	v_and_b32_e32 v68, v68, v11
	s_waitcnt lgkmcnt(0)
	v_and_b32_e32 v69, v69, v11
	s_delay_alu instid0(VALU_DEP_2) | instskip(NEXT) | instid1(VALU_DEP_2)
	v_and_b32_e32 v68, 0xff, v68
	v_and_b32_e32 v69, 0xff, v69
	s_delay_alu instid0(VALU_DEP_1) | instskip(NEXT) | instid1(VALU_DEP_1)
	v_cmp_gt_u16_e64 s7, v68, v69
	v_cndmask_b32_e64 v64, v64, v67, s7
	v_cndmask_b32_e64 v55, v70, v55, s7
	s_delay_alu instid0(VALU_DEP_1) | instskip(NEXT) | instid1(VALU_DEP_1)
	v_cmp_ge_u32_e64 s7, v55, v64
	s_or_b32 s11, s7, s11
	s_delay_alu instid0(SALU_CYCLE_1)
	s_and_not1_b32 exec_lo, exec_lo, s11
	s_cbranch_execnz .LBB100_42
; %bb.43:
	s_or_b32 exec_lo, exec_lo, s11
.LBB100_44:
	s_delay_alu instid0(SALU_CYCLE_1) | instskip(SKIP_2) | instid1(VALU_DEP_2)
	s_or_b32 exec_lo, exec_lo, s10
	v_add_nc_u32_e32 v64, v52, v54
	v_add_nc_u32_e32 v54, v55, v53
	v_sub_nc_u32_e32 v53, v64, v55
	s_delay_alu instid0(VALU_DEP_2) | instskip(NEXT) | instid1(VALU_DEP_2)
	v_cmp_le_u32_e64 s7, v54, v52
	v_cmp_le_u32_e64 s10, v53, v51
	s_delay_alu instid0(VALU_DEP_1) | instskip(NEXT) | instid1(SALU_CYCLE_1)
	s_or_b32 s7, s7, s10
	s_and_saveexec_b32 s21, s7
	s_cbranch_execz .LBB100_50
; %bb.45:
	v_cmp_lt_u32_e64 s7, v54, v52
                                        ; implicit-def: $vgpr9
	s_delay_alu instid0(VALU_DEP_1)
	s_and_saveexec_b32 s10, s7
	s_cbranch_execz .LBB100_47
; %bb.46:
	v_add_nc_u32_e32 v4, v28, v54
	ds_load_u8 v9, v4
.LBB100_47:
	s_or_b32 exec_lo, exec_lo, s10
	v_cmp_ge_u32_e64 s10, v53, v51
	s_mov_b32 s14, exec_lo
                                        ; implicit-def: $vgpr24
	v_cmpx_lt_u32_e64 v53, v51
	s_cbranch_execz .LBB100_49
; %bb.48:
	v_add_nc_u32_e32 v4, v28, v53
	ds_load_u8 v24, v4
.LBB100_49:
	s_or_b32 exec_lo, exec_lo, s14
	s_waitcnt lgkmcnt(0)
	v_and_b32_e32 v4, v24, v11
	v_and_b32_e32 v5, v9, v11
	s_delay_alu instid0(VALU_DEP_2) | instskip(NEXT) | instid1(VALU_DEP_2)
	v_and_b32_e32 v4, 0xff, v4
	v_and_b32_e32 v5, 0xff, v5
	s_delay_alu instid0(VALU_DEP_1) | instskip(NEXT) | instid1(VALU_DEP_1)
	v_cmp_le_u16_e64 s11, v4, v5
	s_and_b32 s7, s7, s11
	s_delay_alu instid0(SALU_CYCLE_1) | instskip(NEXT) | instid1(SALU_CYCLE_1)
	s_or_b32 s7, s10, s7
	v_cndmask_b32_e64 v4, v53, v54, s7
	v_cndmask_b32_e64 v5, v51, v52, s7
	;; [unrolled: 1-line block ×3, first 2 shown]
	s_delay_alu instid0(VALU_DEP_3) | instskip(NEXT) | instid1(VALU_DEP_3)
	v_add_nc_u32_e32 v12, 1, v4
	v_add_nc_u32_e32 v5, -1, v5
	v_lshl_add_u32 v4, v4, 3, v10
	s_delay_alu instid0(VALU_DEP_3) | instskip(NEXT) | instid1(VALU_DEP_3)
	v_cndmask_b32_e64 v14, v54, v12, s7
	v_min_u32_e32 v5, v12, v5
	v_cndmask_b32_e64 v12, v12, v53, s7
	s_delay_alu instid0(VALU_DEP_3) | instskip(NEXT) | instid1(VALU_DEP_3)
	v_cmp_lt_u32_e64 s10, v14, v52
	v_add_nc_u32_e32 v5, v28, v5
	s_delay_alu instid0(VALU_DEP_3) | instskip(SKIP_4) | instid1(VALU_DEP_2)
	v_cmp_ge_u32_e64 s14, v12, v51
	ds_load_u8 v5, v5
	s_waitcnt lgkmcnt(0)
	v_cndmask_b32_e64 v25, v5, v24, s7
	v_cndmask_b32_e64 v26, v9, v5, s7
	v_and_b32_e32 v5, v25, v11
	s_delay_alu instid0(VALU_DEP_2) | instskip(NEXT) | instid1(VALU_DEP_2)
	v_and_b32_e32 v13, v26, v11
	v_and_b32_e32 v5, 0xff, v5
	s_delay_alu instid0(VALU_DEP_2) | instskip(NEXT) | instid1(VALU_DEP_1)
	v_and_b32_e32 v13, 0xff, v13
	v_cmp_le_u16_e64 s11, v5, v13
	s_delay_alu instid0(VALU_DEP_1) | instskip(NEXT) | instid1(SALU_CYCLE_1)
	s_and_b32 s10, s10, s11
	s_or_b32 s10, s14, s10
	s_delay_alu instid0(SALU_CYCLE_1) | instskip(SKIP_2) | instid1(VALU_DEP_3)
	v_cndmask_b32_e64 v5, v12, v14, s10
	v_cndmask_b32_e64 v13, v51, v52, s10
	;; [unrolled: 1-line block ×3, first 2 shown]
	v_add_nc_u32_e32 v15, 1, v5
	s_delay_alu instid0(VALU_DEP_3) | instskip(NEXT) | instid1(VALU_DEP_2)
	v_add_nc_u32_e32 v13, -1, v13
	v_cndmask_b32_e64 v14, v14, v15, s10
	s_delay_alu instid0(VALU_DEP_2) | instskip(SKIP_1) | instid1(VALU_DEP_3)
	v_min_u32_e32 v13, v15, v13
	v_cndmask_b32_e64 v12, v15, v12, s10
	v_cmp_lt_u32_e64 s11, v14, v52
	s_delay_alu instid0(VALU_DEP_3) | instskip(NEXT) | instid1(VALU_DEP_3)
	v_add_nc_u32_e32 v13, v28, v13
	v_cmp_ge_u32_e64 s15, v12, v51
	ds_load_u8 v13, v13
	s_waitcnt lgkmcnt(0)
	v_cndmask_b32_e64 v27, v13, v25, s10
	v_cndmask_b32_e64 v37, v26, v13, s10
	s_delay_alu instid0(VALU_DEP_2) | instskip(NEXT) | instid1(VALU_DEP_2)
	v_and_b32_e32 v13, v27, v11
	v_and_b32_e32 v16, v37, v11
	s_delay_alu instid0(VALU_DEP_2) | instskip(NEXT) | instid1(VALU_DEP_2)
	v_and_b32_e32 v13, 0xff, v13
	v_and_b32_e32 v16, 0xff, v16
	s_delay_alu instid0(VALU_DEP_1) | instskip(NEXT) | instid1(VALU_DEP_1)
	v_cmp_le_u16_e64 s14, v13, v16
	s_and_b32 s11, s11, s14
	s_delay_alu instid0(SALU_CYCLE_1) | instskip(NEXT) | instid1(SALU_CYCLE_1)
	s_or_b32 s11, s15, s11
	v_cndmask_b32_e64 v13, v12, v14, s11
	v_cndmask_b32_e64 v15, v51, v52, s11
	s_delay_alu instid0(VALU_DEP_2) | instskip(NEXT) | instid1(VALU_DEP_2)
	v_add_nc_u32_e32 v16, 1, v13
	v_add_nc_u32_e32 v15, -1, v15
	v_lshl_add_u32 v13, v13, 3, v10
	s_delay_alu instid0(VALU_DEP_3) | instskip(NEXT) | instid1(VALU_DEP_3)
	v_cndmask_b32_e64 v14, v14, v16, s11
	v_min_u32_e32 v15, v16, v15
	v_cndmask_b32_e64 v12, v16, v12, s11
	s_delay_alu instid0(VALU_DEP_3) | instskip(NEXT) | instid1(VALU_DEP_3)
	v_cmp_lt_u32_e64 s14, v14, v52
	v_add_nc_u32_e32 v15, v28, v15
	s_delay_alu instid0(VALU_DEP_3)
	v_cmp_ge_u32_e64 s16, v12, v51
	ds_load_u8 v15, v15
	s_waitcnt lgkmcnt(0)
	v_cndmask_b32_e64 v38, v15, v27, s11
	v_cndmask_b32_e64 v39, v37, v15, s11
	;; [unrolled: 1-line block ×3, first 2 shown]
	s_delay_alu instid0(VALU_DEP_3) | instskip(NEXT) | instid1(VALU_DEP_3)
	v_and_b32_e32 v15, v38, v11
	v_and_b32_e32 v17, v39, v11
	s_delay_alu instid0(VALU_DEP_2) | instskip(NEXT) | instid1(VALU_DEP_2)
	v_and_b32_e32 v15, 0xff, v15
	v_and_b32_e32 v17, 0xff, v17
	s_delay_alu instid0(VALU_DEP_1) | instskip(NEXT) | instid1(VALU_DEP_1)
	v_cmp_le_u16_e64 s15, v15, v17
	s_and_b32 s14, s14, s15
	s_delay_alu instid0(SALU_CYCLE_1) | instskip(NEXT) | instid1(SALU_CYCLE_1)
	s_or_b32 s14, s16, s14
	v_cndmask_b32_e64 v15, v12, v14, s14
	v_cndmask_b32_e64 v16, v51, v52, s14
	;; [unrolled: 1-line block ×3, first 2 shown]
	s_delay_alu instid0(VALU_DEP_3) | instskip(NEXT) | instid1(VALU_DEP_3)
	v_add_nc_u32_e32 v17, 1, v15
	v_add_nc_u32_e32 v16, -1, v16
	s_delay_alu instid0(VALU_DEP_2) | instskip(NEXT) | instid1(VALU_DEP_2)
	v_cndmask_b32_e64 v14, v14, v17, s14
	v_min_u32_e32 v16, v17, v16
	v_cndmask_b32_e64 v12, v17, v12, s14
	s_delay_alu instid0(VALU_DEP_3) | instskip(NEXT) | instid1(VALU_DEP_3)
	v_cmp_lt_u32_e64 s15, v14, v52
	v_add_nc_u32_e32 v16, v28, v16
	s_delay_alu instid0(VALU_DEP_3) | instskip(SKIP_4) | instid1(VALU_DEP_2)
	v_cmp_ge_u32_e64 s17, v12, v51
	ds_load_u8 v16, v16
	s_waitcnt lgkmcnt(0)
	v_cndmask_b32_e64 v48, v16, v38, s14
	v_cndmask_b32_e64 v50, v39, v16, s14
	v_and_b32_e32 v16, v48, v11
	s_delay_alu instid0(VALU_DEP_2) | instskip(NEXT) | instid1(VALU_DEP_2)
	v_and_b32_e32 v18, v50, v11
	v_and_b32_e32 v16, 0xff, v16
	s_delay_alu instid0(VALU_DEP_2) | instskip(NEXT) | instid1(VALU_DEP_1)
	v_and_b32_e32 v18, 0xff, v18
	v_cmp_le_u16_e64 s16, v16, v18
	s_delay_alu instid0(VALU_DEP_1) | instskip(NEXT) | instid1(SALU_CYCLE_1)
	s_and_b32 s15, s15, s16
	s_or_b32 s15, s17, s15
	s_delay_alu instid0(SALU_CYCLE_1) | instskip(SKIP_1) | instid1(VALU_DEP_2)
	v_cndmask_b32_e64 v18, v12, v14, s15
	v_cndmask_b32_e64 v16, v51, v52, s15
	v_add_nc_u32_e32 v17, 1, v18
	s_delay_alu instid0(VALU_DEP_2) | instskip(NEXT) | instid1(VALU_DEP_2)
	v_add_nc_u32_e32 v16, -1, v16
	v_cndmask_b32_e64 v14, v14, v17, s15
	s_delay_alu instid0(VALU_DEP_2) | instskip(SKIP_1) | instid1(VALU_DEP_3)
	v_min_u32_e32 v16, v17, v16
	v_cndmask_b32_e64 v12, v17, v12, s15
	v_cmp_lt_u32_e64 s16, v14, v52
	s_delay_alu instid0(VALU_DEP_3) | instskip(NEXT) | instid1(VALU_DEP_3)
	v_add_nc_u32_e32 v16, v28, v16
	v_cmp_ge_u32_e64 s18, v12, v51
	ds_load_u8 v16, v16
	s_waitcnt lgkmcnt(0)
	v_cndmask_b32_e64 v53, v16, v48, s15
	v_cndmask_b32_e64 v54, v50, v16, s15
	;; [unrolled: 1-line block ×3, first 2 shown]
	s_delay_alu instid0(VALU_DEP_3) | instskip(NEXT) | instid1(VALU_DEP_3)
	v_and_b32_e32 v16, v53, v11
	v_and_b32_e32 v19, v54, v11
	s_delay_alu instid0(VALU_DEP_3) | instskip(NEXT) | instid1(VALU_DEP_3)
	v_and_b32_e32 v27, 0xff, v50
	v_and_b32_e32 v16, 0xff, v16
	s_delay_alu instid0(VALU_DEP_3) | instskip(NEXT) | instid1(VALU_DEP_1)
	v_and_b32_e32 v19, 0xff, v19
	v_cmp_le_u16_e64 s17, v16, v19
	s_delay_alu instid0(VALU_DEP_1) | instskip(NEXT) | instid1(SALU_CYCLE_1)
	s_and_b32 s16, s16, s17
	s_or_b32 s16, s18, s16
	s_delay_alu instid0(SALU_CYCLE_1) | instskip(SKIP_2) | instid1(VALU_DEP_3)
	v_cndmask_b32_e64 v19, v12, v14, s16
	v_cndmask_b32_e64 v16, v51, v52, s16
	v_cndmask_b32_e64 v38, v53, v54, s16
	v_add_nc_u32_e32 v17, 1, v19
	s_delay_alu instid0(VALU_DEP_3) | instskip(NEXT) | instid1(VALU_DEP_2)
	v_add_nc_u32_e32 v16, -1, v16
	v_cndmask_b32_e64 v65, v14, v17, s16
	s_delay_alu instid0(VALU_DEP_2) | instskip(SKIP_1) | instid1(VALU_DEP_3)
	v_min_u32_e32 v16, v17, v16
	v_cndmask_b32_e64 v66, v17, v12, s16
	v_cmp_lt_u32_e64 s17, v65, v52
	s_delay_alu instid0(VALU_DEP_3) | instskip(NEXT) | instid1(VALU_DEP_3)
	v_add_nc_u32_e32 v16, v28, v16
	v_cmp_ge_u32_e64 s19, v66, v51
	ds_load_u8 v16, v16
	s_waitcnt lgkmcnt(0)
	v_cndmask_b32_e64 v55, v16, v53, s16
	v_cndmask_b32_e64 v64, v54, v16, s16
	v_and_b32_e32 v54, 0xff, v37
	s_delay_alu instid0(VALU_DEP_3) | instskip(NEXT) | instid1(VALU_DEP_3)
	v_and_b32_e32 v16, v55, v11
	v_and_b32_e32 v20, v64, v11
	s_delay_alu instid0(VALU_DEP_2) | instskip(NEXT) | instid1(VALU_DEP_2)
	v_and_b32_e32 v14, 0xff, v16
	v_and_b32_e32 v16, 0xff, v20
	v_lshl_add_u32 v20, v15, 3, v10
	s_delay_alu instid0(VALU_DEP_2) | instskip(NEXT) | instid1(VALU_DEP_1)
	v_cmp_le_u16_e64 s18, v14, v16
	s_and_b32 s17, s17, s18
	s_delay_alu instid0(SALU_CYCLE_1) | instskip(NEXT) | instid1(SALU_CYCLE_1)
	s_or_b32 s17, s19, s17
	v_cndmask_b32_e64 v12, v66, v65, s17
	v_cndmask_b32_e64 v14, v51, v52, s17
	;; [unrolled: 1-line block ×3, first 2 shown]
	s_delay_alu instid0(VALU_DEP_3) | instskip(NEXT) | instid1(VALU_DEP_3)
	v_add_nc_u32_e32 v67, 1, v12
	v_add_nc_u32_e32 v14, -1, v14
	v_lshl_add_u32 v12, v12, 3, v10
	s_delay_alu instid0(VALU_DEP_3) | instskip(NEXT) | instid1(VALU_DEP_3)
	v_cndmask_b32_e64 v24, v65, v67, s17
	v_min_u32_e32 v14, v67, v14
	v_cndmask_b32_e64 v65, v67, v66, s17
	s_delay_alu instid0(VALU_DEP_3) | instskip(NEXT) | instid1(VALU_DEP_3)
	v_cmp_lt_u32_e64 s7, v24, v52
	v_add_nc_u32_e32 v14, v28, v14
	s_delay_alu instid0(VALU_DEP_3)
	v_cmp_ge_u32_e64 s11, v65, v51
	v_lshlrev_b16 v51, 8, v38
	v_and_b32_e32 v52, 0xff, v39
	ds_load_u8 v22, v14
	v_lshl_add_u32 v14, v5, 3, v10
	ds_load_b64 v[4:5], v4 offset:2048
	ds_load_b64 v[14:15], v14 offset:2048
	;; [unrolled: 1-line block ×4, first 2 shown]
	v_lshl_add_u32 v13, v18, 3, v10
	v_lshl_add_u32 v18, v19, 3, v10
	v_or_b32_e32 v27, v27, v51
	s_delay_alu instid0(VALU_DEP_1)
	v_and_b32_e32 v27, 0xffff, v27
	s_waitcnt lgkmcnt(4)
	v_cndmask_b32_e64 v68, v22, v55, s17
	v_cndmask_b32_e64 v69, v64, v22, s17
	ds_load_b64 v[22:23], v13 offset:2048
	ds_load_b64 v[18:19], v18 offset:2048
	;; [unrolled: 1-line block ×3, first 2 shown]
	v_lshlrev_b16 v55, 8, v36
	v_and_b32_e32 v64, 0xff, v49
	v_and_b32_e32 v70, v68, v11
	;; [unrolled: 1-line block ×3, first 2 shown]
	s_delay_alu instid0(VALU_DEP_3) | instskip(NEXT) | instid1(VALU_DEP_3)
	v_or_b32_e32 v51, v64, v55
	v_and_b32_e32 v25, 0xff, v70
	s_delay_alu instid0(VALU_DEP_3) | instskip(NEXT) | instid1(VALU_DEP_3)
	v_and_b32_e32 v26, 0xff, v71
	v_and_b32_e32 v51, 0xffff, v51
	s_delay_alu instid0(VALU_DEP_2) | instskip(SKIP_1) | instid1(VALU_DEP_2)
	v_cmp_le_u16_e64 s10, v25, v26
	v_lshlrev_b16 v26, 8, v9
	s_and_b32 s7, s7, s10
	s_delay_alu instid0(VALU_DEP_1) | instskip(SKIP_1) | instid1(SALU_CYCLE_1)
	v_or_b32_e32 v26, v54, v26
	s_or_b32 s7, s11, s7
	v_cndmask_b32_e64 v24, v65, v24, s7
	v_cndmask_b32_e64 v48, v68, v69, s7
	s_delay_alu instid0(VALU_DEP_3) | instskip(NEXT) | instid1(VALU_DEP_3)
	v_lshlrev_b32_e32 v26, 16, v26
	v_lshl_add_u32 v24, v24, 3, v10
	s_delay_alu instid0(VALU_DEP_3) | instskip(NEXT) | instid1(VALU_DEP_3)
	v_lshlrev_b16 v53, 8, v48
	v_or_b32_e32 v26, v51, v26
	ds_load_b64 v[24:25], v24 offset:2048
	v_or_b32_e32 v52, v52, v53
	s_delay_alu instid0(VALU_DEP_1) | instskip(NEXT) | instid1(VALU_DEP_1)
	v_lshlrev_b32_e32 v52, 16, v52
	v_or_b32_e32 v27, v27, v52
.LBB100_50:
	s_or_b32 exec_lo, exec_lo, s21
	v_and_b32_e32 v53, 0xc0, v33
	v_and_b32_e32 v54, 56, v33
	s_mov_b32 s10, exec_lo
	; wave barrier
	s_delay_alu instid0(VALU_DEP_2) | instskip(NEXT) | instid1(VALU_DEP_2)
	v_or_b32_e32 v51, 32, v53
	v_min_u32_e32 v54, v29, v54
	ds_store_b8 v35, v49
	s_waitcnt lgkmcnt(8)
	ds_store_b64 v31, v[4:5] offset:2048
	ds_store_b8 v35, v36 offset:1
	s_waitcnt lgkmcnt(9)
	ds_store_b64 v34, v[14:15] offset:8
	ds_store_b8 v35, v37 offset:2
	;; [unrolled: 3-line block ×3, first 2 shown]
	v_min_u32_e32 v52, v29, v51
	s_waitcnt lgkmcnt(11)
	ds_store_b64 v34, v[20:21] offset:24
	ds_store_b8 v35, v50 offset:4
	s_waitcnt lgkmcnt(12)
	ds_store_b64 v34, v[22:23] offset:32
	ds_store_b8 v35, v38 offset:5
	;; [unrolled: 3-line block ×4, first 2 shown]
	s_waitcnt lgkmcnt(15)
	ds_store_b64 v34, v[24:25] offset:56
	; wave barrier
	v_add_nc_u32_e32 v51, 32, v52
	v_sub_nc_u32_e32 v64, v52, v53
	s_delay_alu instid0(VALU_DEP_2) | instskip(NEXT) | instid1(VALU_DEP_2)
	v_min_u32_e32 v51, v29, v51
	v_min_u32_e32 v64, v54, v64
	s_delay_alu instid0(VALU_DEP_2) | instskip(NEXT) | instid1(VALU_DEP_1)
	v_sub_nc_u32_e32 v55, v51, v52
	v_sub_nc_u32_e64 v55, v54, v55 clamp
	s_delay_alu instid0(VALU_DEP_1)
	v_cmpx_lt_u32_e64 v55, v64
	s_cbranch_execz .LBB100_54
; %bb.51:
	v_add_nc_u32_e32 v65, v28, v53
	v_add3_u32 v66, v28, v52, v54
	s_mov_b32 s11, 0
	.p2align	6
.LBB100_52:                             ; =>This Inner Loop Header: Depth=1
	v_add_nc_u32_e32 v67, v64, v55
	s_delay_alu instid0(VALU_DEP_1) | instskip(NEXT) | instid1(VALU_DEP_1)
	v_lshrrev_b32_e32 v67, 1, v67
	v_xad_u32 v68, v67, -1, v66
	v_add_nc_u32_e32 v69, v65, v67
	v_add_nc_u32_e32 v70, 1, v67
	ds_load_u8 v68, v68
	ds_load_u8 v69, v69
	s_waitcnt lgkmcnt(1)
	v_and_b32_e32 v68, v68, v11
	s_waitcnt lgkmcnt(0)
	v_and_b32_e32 v69, v69, v11
	s_delay_alu instid0(VALU_DEP_2) | instskip(NEXT) | instid1(VALU_DEP_2)
	v_and_b32_e32 v68, 0xff, v68
	v_and_b32_e32 v69, 0xff, v69
	s_delay_alu instid0(VALU_DEP_1) | instskip(NEXT) | instid1(VALU_DEP_1)
	v_cmp_gt_u16_e64 s7, v68, v69
	v_cndmask_b32_e64 v64, v64, v67, s7
	v_cndmask_b32_e64 v55, v70, v55, s7
	s_delay_alu instid0(VALU_DEP_1) | instskip(NEXT) | instid1(VALU_DEP_1)
	v_cmp_ge_u32_e64 s7, v55, v64
	s_or_b32 s11, s7, s11
	s_delay_alu instid0(SALU_CYCLE_1)
	s_and_not1_b32 exec_lo, exec_lo, s11
	s_cbranch_execnz .LBB100_52
; %bb.53:
	s_or_b32 exec_lo, exec_lo, s11
.LBB100_54:
	s_delay_alu instid0(SALU_CYCLE_1) | instskip(SKIP_2) | instid1(VALU_DEP_2)
	s_or_b32 exec_lo, exec_lo, s10
	v_add_nc_u32_e32 v64, v52, v54
	v_add_nc_u32_e32 v54, v55, v53
	v_sub_nc_u32_e32 v53, v64, v55
	s_delay_alu instid0(VALU_DEP_2) | instskip(NEXT) | instid1(VALU_DEP_2)
	v_cmp_le_u32_e64 s7, v54, v52
	v_cmp_le_u32_e64 s10, v53, v51
	s_delay_alu instid0(VALU_DEP_1) | instskip(NEXT) | instid1(SALU_CYCLE_1)
	s_or_b32 s7, s7, s10
	s_and_saveexec_b32 s21, s7
	s_cbranch_execz .LBB100_60
; %bb.55:
	v_cmp_lt_u32_e64 s7, v54, v52
                                        ; implicit-def: $vgpr9
	s_delay_alu instid0(VALU_DEP_1)
	s_and_saveexec_b32 s10, s7
	s_cbranch_execz .LBB100_57
; %bb.56:
	v_add_nc_u32_e32 v4, v28, v54
	ds_load_u8 v9, v4
.LBB100_57:
	s_or_b32 exec_lo, exec_lo, s10
	v_cmp_ge_u32_e64 s10, v53, v51
	s_mov_b32 s14, exec_lo
                                        ; implicit-def: $vgpr24
	v_cmpx_lt_u32_e64 v53, v51
	s_cbranch_execz .LBB100_59
; %bb.58:
	v_add_nc_u32_e32 v4, v28, v53
	ds_load_u8 v24, v4
.LBB100_59:
	s_or_b32 exec_lo, exec_lo, s14
	s_waitcnt lgkmcnt(0)
	v_and_b32_e32 v4, v24, v11
	v_and_b32_e32 v5, v9, v11
	s_delay_alu instid0(VALU_DEP_2) | instskip(NEXT) | instid1(VALU_DEP_2)
	v_and_b32_e32 v4, 0xff, v4
	v_and_b32_e32 v5, 0xff, v5
	s_delay_alu instid0(VALU_DEP_1) | instskip(NEXT) | instid1(VALU_DEP_1)
	v_cmp_le_u16_e64 s11, v4, v5
	s_and_b32 s7, s7, s11
	s_delay_alu instid0(SALU_CYCLE_1) | instskip(NEXT) | instid1(SALU_CYCLE_1)
	s_or_b32 s7, s10, s7
	v_cndmask_b32_e64 v4, v53, v54, s7
	v_cndmask_b32_e64 v5, v51, v52, s7
	v_cndmask_b32_e64 v49, v24, v9, s7
	s_delay_alu instid0(VALU_DEP_3) | instskip(NEXT) | instid1(VALU_DEP_3)
	v_add_nc_u32_e32 v12, 1, v4
	v_add_nc_u32_e32 v5, -1, v5
	v_lshl_add_u32 v4, v4, 3, v10
	s_delay_alu instid0(VALU_DEP_3) | instskip(NEXT) | instid1(VALU_DEP_3)
	v_cndmask_b32_e64 v14, v54, v12, s7
	v_min_u32_e32 v5, v12, v5
	v_cndmask_b32_e64 v12, v12, v53, s7
	s_delay_alu instid0(VALU_DEP_3) | instskip(NEXT) | instid1(VALU_DEP_3)
	v_cmp_lt_u32_e64 s10, v14, v52
	v_add_nc_u32_e32 v5, v28, v5
	s_delay_alu instid0(VALU_DEP_3) | instskip(SKIP_4) | instid1(VALU_DEP_2)
	v_cmp_ge_u32_e64 s14, v12, v51
	ds_load_u8 v5, v5
	s_waitcnt lgkmcnt(0)
	v_cndmask_b32_e64 v25, v5, v24, s7
	v_cndmask_b32_e64 v26, v9, v5, s7
	v_and_b32_e32 v5, v25, v11
	s_delay_alu instid0(VALU_DEP_2) | instskip(NEXT) | instid1(VALU_DEP_2)
	v_and_b32_e32 v13, v26, v11
	v_and_b32_e32 v5, 0xff, v5
	s_delay_alu instid0(VALU_DEP_2) | instskip(NEXT) | instid1(VALU_DEP_1)
	v_and_b32_e32 v13, 0xff, v13
	v_cmp_le_u16_e64 s11, v5, v13
	s_delay_alu instid0(VALU_DEP_1) | instskip(NEXT) | instid1(SALU_CYCLE_1)
	s_and_b32 s10, s10, s11
	s_or_b32 s10, s14, s10
	s_delay_alu instid0(SALU_CYCLE_1) | instskip(SKIP_2) | instid1(VALU_DEP_3)
	v_cndmask_b32_e64 v5, v12, v14, s10
	v_cndmask_b32_e64 v13, v51, v52, s10
	;; [unrolled: 1-line block ×3, first 2 shown]
	v_add_nc_u32_e32 v15, 1, v5
	s_delay_alu instid0(VALU_DEP_3) | instskip(NEXT) | instid1(VALU_DEP_2)
	v_add_nc_u32_e32 v13, -1, v13
	v_cndmask_b32_e64 v14, v14, v15, s10
	s_delay_alu instid0(VALU_DEP_2) | instskip(SKIP_1) | instid1(VALU_DEP_3)
	v_min_u32_e32 v13, v15, v13
	v_cndmask_b32_e64 v12, v15, v12, s10
	v_cmp_lt_u32_e64 s11, v14, v52
	s_delay_alu instid0(VALU_DEP_3) | instskip(NEXT) | instid1(VALU_DEP_3)
	v_add_nc_u32_e32 v13, v28, v13
	v_cmp_ge_u32_e64 s15, v12, v51
	ds_load_u8 v13, v13
	s_waitcnt lgkmcnt(0)
	v_cndmask_b32_e64 v27, v13, v25, s10
	v_cndmask_b32_e64 v37, v26, v13, s10
	s_delay_alu instid0(VALU_DEP_2) | instskip(NEXT) | instid1(VALU_DEP_2)
	v_and_b32_e32 v13, v27, v11
	v_and_b32_e32 v16, v37, v11
	s_delay_alu instid0(VALU_DEP_2) | instskip(NEXT) | instid1(VALU_DEP_2)
	v_and_b32_e32 v13, 0xff, v13
	v_and_b32_e32 v16, 0xff, v16
	s_delay_alu instid0(VALU_DEP_1) | instskip(NEXT) | instid1(VALU_DEP_1)
	v_cmp_le_u16_e64 s14, v13, v16
	s_and_b32 s11, s11, s14
	s_delay_alu instid0(SALU_CYCLE_1) | instskip(NEXT) | instid1(SALU_CYCLE_1)
	s_or_b32 s11, s15, s11
	v_cndmask_b32_e64 v13, v12, v14, s11
	v_cndmask_b32_e64 v15, v51, v52, s11
	s_delay_alu instid0(VALU_DEP_2) | instskip(NEXT) | instid1(VALU_DEP_2)
	v_add_nc_u32_e32 v16, 1, v13
	v_add_nc_u32_e32 v15, -1, v15
	v_lshl_add_u32 v13, v13, 3, v10
	s_delay_alu instid0(VALU_DEP_3) | instskip(NEXT) | instid1(VALU_DEP_3)
	v_cndmask_b32_e64 v14, v14, v16, s11
	v_min_u32_e32 v15, v16, v15
	v_cndmask_b32_e64 v12, v16, v12, s11
	s_delay_alu instid0(VALU_DEP_3) | instskip(NEXT) | instid1(VALU_DEP_3)
	v_cmp_lt_u32_e64 s14, v14, v52
	v_add_nc_u32_e32 v15, v28, v15
	s_delay_alu instid0(VALU_DEP_3)
	v_cmp_ge_u32_e64 s16, v12, v51
	ds_load_u8 v15, v15
	s_waitcnt lgkmcnt(0)
	v_cndmask_b32_e64 v38, v15, v27, s11
	v_cndmask_b32_e64 v39, v37, v15, s11
	;; [unrolled: 1-line block ×3, first 2 shown]
	s_delay_alu instid0(VALU_DEP_3) | instskip(NEXT) | instid1(VALU_DEP_3)
	v_and_b32_e32 v15, v38, v11
	v_and_b32_e32 v17, v39, v11
	s_delay_alu instid0(VALU_DEP_2) | instskip(NEXT) | instid1(VALU_DEP_2)
	v_and_b32_e32 v15, 0xff, v15
	v_and_b32_e32 v17, 0xff, v17
	s_delay_alu instid0(VALU_DEP_1) | instskip(NEXT) | instid1(VALU_DEP_1)
	v_cmp_le_u16_e64 s15, v15, v17
	s_and_b32 s14, s14, s15
	s_delay_alu instid0(SALU_CYCLE_1) | instskip(NEXT) | instid1(SALU_CYCLE_1)
	s_or_b32 s14, s16, s14
	v_cndmask_b32_e64 v15, v12, v14, s14
	v_cndmask_b32_e64 v16, v51, v52, s14
	;; [unrolled: 1-line block ×3, first 2 shown]
	s_delay_alu instid0(VALU_DEP_3) | instskip(NEXT) | instid1(VALU_DEP_3)
	v_add_nc_u32_e32 v17, 1, v15
	v_add_nc_u32_e32 v16, -1, v16
	s_delay_alu instid0(VALU_DEP_2) | instskip(NEXT) | instid1(VALU_DEP_2)
	v_cndmask_b32_e64 v14, v14, v17, s14
	v_min_u32_e32 v16, v17, v16
	v_cndmask_b32_e64 v12, v17, v12, s14
	s_delay_alu instid0(VALU_DEP_3) | instskip(NEXT) | instid1(VALU_DEP_3)
	v_cmp_lt_u32_e64 s15, v14, v52
	v_add_nc_u32_e32 v16, v28, v16
	s_delay_alu instid0(VALU_DEP_3) | instskip(SKIP_4) | instid1(VALU_DEP_2)
	v_cmp_ge_u32_e64 s17, v12, v51
	ds_load_u8 v16, v16
	s_waitcnt lgkmcnt(0)
	v_cndmask_b32_e64 v48, v16, v38, s14
	v_cndmask_b32_e64 v50, v39, v16, s14
	v_and_b32_e32 v16, v48, v11
	s_delay_alu instid0(VALU_DEP_2) | instskip(NEXT) | instid1(VALU_DEP_2)
	v_and_b32_e32 v18, v50, v11
	v_and_b32_e32 v16, 0xff, v16
	s_delay_alu instid0(VALU_DEP_2) | instskip(NEXT) | instid1(VALU_DEP_1)
	v_and_b32_e32 v18, 0xff, v18
	v_cmp_le_u16_e64 s16, v16, v18
	s_delay_alu instid0(VALU_DEP_1) | instskip(NEXT) | instid1(SALU_CYCLE_1)
	s_and_b32 s15, s15, s16
	s_or_b32 s15, s17, s15
	s_delay_alu instid0(SALU_CYCLE_1) | instskip(SKIP_1) | instid1(VALU_DEP_2)
	v_cndmask_b32_e64 v18, v12, v14, s15
	v_cndmask_b32_e64 v16, v51, v52, s15
	v_add_nc_u32_e32 v17, 1, v18
	s_delay_alu instid0(VALU_DEP_2) | instskip(NEXT) | instid1(VALU_DEP_2)
	v_add_nc_u32_e32 v16, -1, v16
	v_cndmask_b32_e64 v14, v14, v17, s15
	s_delay_alu instid0(VALU_DEP_2) | instskip(SKIP_1) | instid1(VALU_DEP_3)
	v_min_u32_e32 v16, v17, v16
	v_cndmask_b32_e64 v12, v17, v12, s15
	v_cmp_lt_u32_e64 s16, v14, v52
	s_delay_alu instid0(VALU_DEP_3) | instskip(NEXT) | instid1(VALU_DEP_3)
	v_add_nc_u32_e32 v16, v28, v16
	v_cmp_ge_u32_e64 s18, v12, v51
	ds_load_u8 v16, v16
	s_waitcnt lgkmcnt(0)
	v_cndmask_b32_e64 v53, v16, v48, s15
	v_cndmask_b32_e64 v54, v50, v16, s15
	;; [unrolled: 1-line block ×3, first 2 shown]
	s_delay_alu instid0(VALU_DEP_3) | instskip(NEXT) | instid1(VALU_DEP_3)
	v_and_b32_e32 v16, v53, v11
	v_and_b32_e32 v19, v54, v11
	s_delay_alu instid0(VALU_DEP_3) | instskip(NEXT) | instid1(VALU_DEP_3)
	v_and_b32_e32 v27, 0xff, v50
	v_and_b32_e32 v16, 0xff, v16
	s_delay_alu instid0(VALU_DEP_3) | instskip(NEXT) | instid1(VALU_DEP_1)
	v_and_b32_e32 v19, 0xff, v19
	v_cmp_le_u16_e64 s17, v16, v19
	s_delay_alu instid0(VALU_DEP_1) | instskip(NEXT) | instid1(SALU_CYCLE_1)
	s_and_b32 s16, s16, s17
	s_or_b32 s16, s18, s16
	s_delay_alu instid0(SALU_CYCLE_1) | instskip(SKIP_2) | instid1(VALU_DEP_3)
	v_cndmask_b32_e64 v19, v12, v14, s16
	v_cndmask_b32_e64 v16, v51, v52, s16
	;; [unrolled: 1-line block ×3, first 2 shown]
	v_add_nc_u32_e32 v17, 1, v19
	s_delay_alu instid0(VALU_DEP_3) | instskip(NEXT) | instid1(VALU_DEP_2)
	v_add_nc_u32_e32 v16, -1, v16
	v_cndmask_b32_e64 v65, v14, v17, s16
	s_delay_alu instid0(VALU_DEP_2) | instskip(SKIP_1) | instid1(VALU_DEP_3)
	v_min_u32_e32 v16, v17, v16
	v_cndmask_b32_e64 v66, v17, v12, s16
	v_cmp_lt_u32_e64 s17, v65, v52
	s_delay_alu instid0(VALU_DEP_3) | instskip(NEXT) | instid1(VALU_DEP_3)
	v_add_nc_u32_e32 v16, v28, v16
	v_cmp_ge_u32_e64 s19, v66, v51
	ds_load_u8 v16, v16
	s_waitcnt lgkmcnt(0)
	v_cndmask_b32_e64 v55, v16, v53, s16
	v_cndmask_b32_e64 v64, v54, v16, s16
	v_and_b32_e32 v54, 0xff, v37
	s_delay_alu instid0(VALU_DEP_3) | instskip(NEXT) | instid1(VALU_DEP_3)
	v_and_b32_e32 v16, v55, v11
	v_and_b32_e32 v20, v64, v11
	s_delay_alu instid0(VALU_DEP_2) | instskip(NEXT) | instid1(VALU_DEP_2)
	v_and_b32_e32 v14, 0xff, v16
	v_and_b32_e32 v16, 0xff, v20
	v_lshl_add_u32 v20, v15, 3, v10
	s_delay_alu instid0(VALU_DEP_2) | instskip(NEXT) | instid1(VALU_DEP_1)
	v_cmp_le_u16_e64 s18, v14, v16
	s_and_b32 s17, s17, s18
	s_delay_alu instid0(SALU_CYCLE_1) | instskip(NEXT) | instid1(SALU_CYCLE_1)
	s_or_b32 s17, s19, s17
	v_cndmask_b32_e64 v12, v66, v65, s17
	v_cndmask_b32_e64 v14, v51, v52, s17
	;; [unrolled: 1-line block ×3, first 2 shown]
	s_delay_alu instid0(VALU_DEP_3) | instskip(NEXT) | instid1(VALU_DEP_3)
	v_add_nc_u32_e32 v67, 1, v12
	v_add_nc_u32_e32 v14, -1, v14
	v_lshl_add_u32 v12, v12, 3, v10
	s_delay_alu instid0(VALU_DEP_3) | instskip(NEXT) | instid1(VALU_DEP_3)
	v_cndmask_b32_e64 v24, v65, v67, s17
	v_min_u32_e32 v14, v67, v14
	v_cndmask_b32_e64 v65, v67, v66, s17
	s_delay_alu instid0(VALU_DEP_3) | instskip(NEXT) | instid1(VALU_DEP_3)
	v_cmp_lt_u32_e64 s7, v24, v52
	v_add_nc_u32_e32 v14, v28, v14
	s_delay_alu instid0(VALU_DEP_3)
	v_cmp_ge_u32_e64 s11, v65, v51
	v_lshlrev_b16 v51, 8, v38
	v_and_b32_e32 v52, 0xff, v39
	ds_load_u8 v22, v14
	v_lshl_add_u32 v14, v5, 3, v10
	ds_load_b64 v[4:5], v4 offset:2048
	ds_load_b64 v[14:15], v14 offset:2048
	;; [unrolled: 1-line block ×4, first 2 shown]
	v_lshl_add_u32 v13, v18, 3, v10
	v_lshl_add_u32 v18, v19, 3, v10
	v_or_b32_e32 v27, v27, v51
	s_delay_alu instid0(VALU_DEP_1)
	v_and_b32_e32 v27, 0xffff, v27
	s_waitcnt lgkmcnt(4)
	v_cndmask_b32_e64 v68, v22, v55, s17
	v_cndmask_b32_e64 v69, v64, v22, s17
	ds_load_b64 v[22:23], v13 offset:2048
	ds_load_b64 v[18:19], v18 offset:2048
	;; [unrolled: 1-line block ×3, first 2 shown]
	v_lshlrev_b16 v55, 8, v36
	v_and_b32_e32 v64, 0xff, v49
	v_and_b32_e32 v70, v68, v11
	;; [unrolled: 1-line block ×3, first 2 shown]
	s_delay_alu instid0(VALU_DEP_3) | instskip(NEXT) | instid1(VALU_DEP_3)
	v_or_b32_e32 v51, v64, v55
	v_and_b32_e32 v25, 0xff, v70
	s_delay_alu instid0(VALU_DEP_3) | instskip(NEXT) | instid1(VALU_DEP_3)
	v_and_b32_e32 v26, 0xff, v71
	v_and_b32_e32 v51, 0xffff, v51
	s_delay_alu instid0(VALU_DEP_2) | instskip(SKIP_1) | instid1(VALU_DEP_2)
	v_cmp_le_u16_e64 s10, v25, v26
	v_lshlrev_b16 v26, 8, v9
	s_and_b32 s7, s7, s10
	s_delay_alu instid0(VALU_DEP_1) | instskip(SKIP_1) | instid1(SALU_CYCLE_1)
	v_or_b32_e32 v26, v54, v26
	s_or_b32 s7, s11, s7
	v_cndmask_b32_e64 v24, v65, v24, s7
	v_cndmask_b32_e64 v48, v68, v69, s7
	s_delay_alu instid0(VALU_DEP_3) | instskip(NEXT) | instid1(VALU_DEP_3)
	v_lshlrev_b32_e32 v26, 16, v26
	v_lshl_add_u32 v24, v24, 3, v10
	s_delay_alu instid0(VALU_DEP_3) | instskip(NEXT) | instid1(VALU_DEP_3)
	v_lshlrev_b16 v53, 8, v48
	v_or_b32_e32 v26, v51, v26
	ds_load_b64 v[24:25], v24 offset:2048
	v_or_b32_e32 v52, v52, v53
	s_delay_alu instid0(VALU_DEP_1) | instskip(NEXT) | instid1(VALU_DEP_1)
	v_lshlrev_b32_e32 v52, 16, v52
	v_or_b32_e32 v27, v27, v52
.LBB100_60:
	s_or_b32 exec_lo, exec_lo, s21
	v_and_b32_e32 v51, 0x80, v33
	; wave barrier
	ds_store_b8 v35, v49
	s_waitcnt lgkmcnt(8)
	ds_store_b64 v31, v[4:5] offset:2048
	ds_store_b8 v35, v36 offset:1
	s_waitcnt lgkmcnt(9)
	ds_store_b64 v34, v[14:15] offset:8
	ds_store_b8 v35, v37 offset:2
	;; [unrolled: 3-line block ×3, first 2 shown]
	v_or_b32_e32 v33, 64, v51
	v_min_u32_e32 v9, v29, v30
	s_mov_b32 s10, exec_lo
	s_waitcnt lgkmcnt(11)
	ds_store_b64 v34, v[20:21] offset:24
	ds_store_b8 v35, v50 offset:4
	s_waitcnt lgkmcnt(12)
	ds_store_b64 v34, v[22:23] offset:32
	ds_store_b8 v35, v38 offset:5
	;; [unrolled: 3-line block ×4, first 2 shown]
	s_waitcnt lgkmcnt(15)
	ds_store_b64 v34, v[24:25] offset:56
	v_min_u32_e32 v33, v29, v33
	; wave barrier
	s_delay_alu instid0(VALU_DEP_1) | instskip(SKIP_1) | instid1(VALU_DEP_2)
	v_add_nc_u32_e32 v52, 64, v33
	v_sub_nc_u32_e32 v36, v33, v51
	v_min_u32_e32 v31, v29, v52
	s_delay_alu instid0(VALU_DEP_2) | instskip(NEXT) | instid1(VALU_DEP_2)
	v_min_u32_e32 v36, v9, v36
	v_sub_nc_u32_e32 v29, v31, v33
	s_delay_alu instid0(VALU_DEP_1) | instskip(NEXT) | instid1(VALU_DEP_1)
	v_sub_nc_u32_e64 v29, v9, v29 clamp
	v_cmpx_lt_u32_e64 v29, v36
	s_cbranch_execz .LBB100_64
; %bb.61:
	v_add_nc_u32_e32 v34, v28, v51
	v_add3_u32 v35, v28, v33, v9
	s_mov_b32 s11, 0
	.p2align	6
.LBB100_62:                             ; =>This Inner Loop Header: Depth=1
	v_add_nc_u32_e32 v37, v36, v29
	s_delay_alu instid0(VALU_DEP_1) | instskip(NEXT) | instid1(VALU_DEP_1)
	v_lshrrev_b32_e32 v37, 1, v37
	v_xad_u32 v38, v37, -1, v35
	v_add_nc_u32_e32 v39, v34, v37
	v_add_nc_u32_e32 v48, 1, v37
	ds_load_u8 v38, v38
	ds_load_u8 v39, v39
	s_waitcnt lgkmcnt(1)
	v_and_b32_e32 v38, v38, v11
	s_waitcnt lgkmcnt(0)
	v_and_b32_e32 v39, v39, v11
	s_delay_alu instid0(VALU_DEP_2) | instskip(NEXT) | instid1(VALU_DEP_2)
	v_and_b32_e32 v38, 0xff, v38
	v_and_b32_e32 v39, 0xff, v39
	s_delay_alu instid0(VALU_DEP_1) | instskip(NEXT) | instid1(VALU_DEP_1)
	v_cmp_gt_u16_e64 s7, v38, v39
	v_cndmask_b32_e64 v36, v36, v37, s7
	v_cndmask_b32_e64 v29, v48, v29, s7
	s_delay_alu instid0(VALU_DEP_1) | instskip(NEXT) | instid1(VALU_DEP_1)
	v_cmp_ge_u32_e64 s7, v29, v36
	s_or_b32 s11, s7, s11
	s_delay_alu instid0(SALU_CYCLE_1)
	s_and_not1_b32 exec_lo, exec_lo, s11
	s_cbranch_execnz .LBB100_62
; %bb.63:
	s_or_b32 exec_lo, exec_lo, s11
.LBB100_64:
	s_delay_alu instid0(SALU_CYCLE_1) | instskip(SKIP_2) | instid1(VALU_DEP_2)
	s_or_b32 exec_lo, exec_lo, s10
	v_add_nc_u32_e32 v9, v33, v9
	v_add_nc_u32_e32 v34, v29, v51
	v_sub_nc_u32_e32 v29, v9, v29
	s_delay_alu instid0(VALU_DEP_2) | instskip(NEXT) | instid1(VALU_DEP_2)
	v_cmp_le_u32_e64 s7, v34, v33
	v_cmp_le_u32_e64 s10, v29, v31
	s_delay_alu instid0(VALU_DEP_1) | instskip(NEXT) | instid1(SALU_CYCLE_1)
	s_or_b32 s7, s7, s10
	s_and_saveexec_b32 s21, s7
	s_cbranch_execz .LBB100_70
; %bb.65:
	v_cmp_lt_u32_e64 s7, v34, v33
                                        ; implicit-def: $vgpr9
	s_delay_alu instid0(VALU_DEP_1)
	s_and_saveexec_b32 s10, s7
	s_cbranch_execz .LBB100_67
; %bb.66:
	v_add_nc_u32_e32 v4, v28, v34
	ds_load_u8 v9, v4
.LBB100_67:
	s_or_b32 exec_lo, exec_lo, s10
	v_cmp_ge_u32_e64 s10, v29, v31
	s_mov_b32 s14, exec_lo
                                        ; implicit-def: $vgpr24
	v_cmpx_lt_u32_e64 v29, v31
	s_cbranch_execz .LBB100_69
; %bb.68:
	v_add_nc_u32_e32 v4, v28, v29
	ds_load_u8 v24, v4
.LBB100_69:
	s_or_b32 exec_lo, exec_lo, s14
	s_waitcnt lgkmcnt(0)
	v_and_b32_e32 v4, v24, v11
	v_and_b32_e32 v5, v9, v11
	s_delay_alu instid0(VALU_DEP_2) | instskip(NEXT) | instid1(VALU_DEP_2)
	v_and_b32_e32 v4, 0xff, v4
	v_and_b32_e32 v5, 0xff, v5
	s_delay_alu instid0(VALU_DEP_1) | instskip(NEXT) | instid1(VALU_DEP_1)
	v_cmp_le_u16_e64 s11, v4, v5
	s_and_b32 s7, s7, s11
	s_delay_alu instid0(SALU_CYCLE_1) | instskip(NEXT) | instid1(SALU_CYCLE_1)
	s_or_b32 s7, s10, s7
	v_cndmask_b32_e64 v4, v29, v34, s7
	v_cndmask_b32_e64 v5, v31, v33, s7
	s_delay_alu instid0(VALU_DEP_2) | instskip(NEXT) | instid1(VALU_DEP_2)
	v_add_nc_u32_e32 v12, 1, v4
	v_add_nc_u32_e32 v5, -1, v5
	v_lshl_add_u32 v4, v4, 3, v10
	s_delay_alu instid0(VALU_DEP_3) | instskip(NEXT) | instid1(VALU_DEP_3)
	v_cndmask_b32_e64 v14, v34, v12, s7
	v_min_u32_e32 v5, v12, v5
	v_cndmask_b32_e64 v12, v12, v29, s7
	s_delay_alu instid0(VALU_DEP_3) | instskip(NEXT) | instid1(VALU_DEP_3)
	v_cmp_lt_u32_e64 s10, v14, v33
	v_add_nc_u32_e32 v5, v28, v5
	s_delay_alu instid0(VALU_DEP_3)
	v_cmp_ge_u32_e64 s14, v12, v31
	ds_load_u8 v5, v5
	s_waitcnt lgkmcnt(0)
	v_cndmask_b32_e64 v25, v5, v24, s7
	v_cndmask_b32_e64 v26, v9, v5, s7
	;; [unrolled: 1-line block ×3, first 2 shown]
	s_delay_alu instid0(VALU_DEP_3) | instskip(NEXT) | instid1(VALU_DEP_3)
	v_and_b32_e32 v5, v25, v11
	v_and_b32_e32 v13, v26, v11
	s_delay_alu instid0(VALU_DEP_3) | instskip(NEXT) | instid1(VALU_DEP_3)
	v_and_b32_e32 v9, 0xff, v9
	v_and_b32_e32 v5, 0xff, v5
	s_delay_alu instid0(VALU_DEP_3) | instskip(NEXT) | instid1(VALU_DEP_1)
	v_and_b32_e32 v13, 0xff, v13
	v_cmp_le_u16_e64 s11, v5, v13
	s_delay_alu instid0(VALU_DEP_1) | instskip(NEXT) | instid1(SALU_CYCLE_1)
	s_and_b32 s10, s10, s11
	s_or_b32 s10, s14, s10
	s_delay_alu instid0(SALU_CYCLE_1) | instskip(SKIP_2) | instid1(VALU_DEP_3)
	v_cndmask_b32_e64 v5, v12, v14, s10
	v_cndmask_b32_e64 v13, v31, v33, s10
	;; [unrolled: 1-line block ×3, first 2 shown]
	v_add_nc_u32_e32 v15, 1, v5
	s_delay_alu instid0(VALU_DEP_3) | instskip(NEXT) | instid1(VALU_DEP_2)
	v_add_nc_u32_e32 v13, -1, v13
	v_cndmask_b32_e64 v14, v14, v15, s10
	s_delay_alu instid0(VALU_DEP_2) | instskip(SKIP_1) | instid1(VALU_DEP_3)
	v_min_u32_e32 v13, v15, v13
	v_cndmask_b32_e64 v12, v15, v12, s10
	v_cmp_lt_u32_e64 s11, v14, v33
	s_delay_alu instid0(VALU_DEP_3) | instskip(NEXT) | instid1(VALU_DEP_3)
	v_add_nc_u32_e32 v13, v28, v13
	v_cmp_ge_u32_e64 s15, v12, v31
	ds_load_u8 v13, v13
	s_waitcnt lgkmcnt(0)
	v_cndmask_b32_e64 v27, v13, v25, s10
	v_cndmask_b32_e64 v29, v26, v13, s10
	s_delay_alu instid0(VALU_DEP_2) | instskip(NEXT) | instid1(VALU_DEP_2)
	v_and_b32_e32 v13, v27, v11
	v_and_b32_e32 v16, v29, v11
	s_delay_alu instid0(VALU_DEP_2) | instskip(NEXT) | instid1(VALU_DEP_2)
	v_and_b32_e32 v13, 0xff, v13
	v_and_b32_e32 v16, 0xff, v16
	s_delay_alu instid0(VALU_DEP_1) | instskip(NEXT) | instid1(VALU_DEP_1)
	v_cmp_le_u16_e64 s14, v13, v16
	s_and_b32 s11, s11, s14
	s_delay_alu instid0(SALU_CYCLE_1) | instskip(NEXT) | instid1(SALU_CYCLE_1)
	s_or_b32 s11, s15, s11
	v_cndmask_b32_e64 v13, v12, v14, s11
	v_cndmask_b32_e64 v15, v31, v33, s11
	s_delay_alu instid0(VALU_DEP_2) | instskip(NEXT) | instid1(VALU_DEP_2)
	v_add_nc_u32_e32 v16, 1, v13
	v_add_nc_u32_e32 v15, -1, v15
	v_lshl_add_u32 v13, v13, 3, v10
	s_delay_alu instid0(VALU_DEP_3) | instskip(NEXT) | instid1(VALU_DEP_3)
	v_cndmask_b32_e64 v14, v14, v16, s11
	v_min_u32_e32 v15, v16, v15
	v_cndmask_b32_e64 v12, v16, v12, s11
	s_delay_alu instid0(VALU_DEP_3) | instskip(NEXT) | instid1(VALU_DEP_3)
	v_cmp_lt_u32_e64 s14, v14, v33
	v_add_nc_u32_e32 v15, v28, v15
	s_delay_alu instid0(VALU_DEP_3)
	v_cmp_ge_u32_e64 s16, v12, v31
	ds_load_u8 v15, v15
	s_waitcnt lgkmcnt(0)
	v_cndmask_b32_e64 v34, v15, v27, s11
	v_cndmask_b32_e64 v35, v29, v15, s11
	;; [unrolled: 1-line block ×3, first 2 shown]
	s_delay_alu instid0(VALU_DEP_3) | instskip(NEXT) | instid1(VALU_DEP_3)
	v_and_b32_e32 v15, v34, v11
	v_and_b32_e32 v17, v35, v11
	s_delay_alu instid0(VALU_DEP_3) | instskip(NEXT) | instid1(VALU_DEP_3)
	v_and_b32_e32 v27, 0xff, v27
	v_and_b32_e32 v15, 0xff, v15
	s_delay_alu instid0(VALU_DEP_3) | instskip(NEXT) | instid1(VALU_DEP_1)
	v_and_b32_e32 v17, 0xff, v17
	v_cmp_le_u16_e64 s15, v15, v17
	s_delay_alu instid0(VALU_DEP_1) | instskip(NEXT) | instid1(SALU_CYCLE_1)
	s_and_b32 s14, s14, s15
	s_or_b32 s14, s16, s14
	s_delay_alu instid0(SALU_CYCLE_1) | instskip(SKIP_1) | instid1(VALU_DEP_2)
	v_cndmask_b32_e64 v15, v12, v14, s14
	v_cndmask_b32_e64 v16, v31, v33, s14
	v_add_nc_u32_e32 v17, 1, v15
	s_delay_alu instid0(VALU_DEP_2) | instskip(NEXT) | instid1(VALU_DEP_2)
	v_add_nc_u32_e32 v16, -1, v16
	v_cndmask_b32_e64 v14, v14, v17, s14
	s_delay_alu instid0(VALU_DEP_2) | instskip(SKIP_1) | instid1(VALU_DEP_3)
	v_min_u32_e32 v16, v17, v16
	v_cndmask_b32_e64 v12, v17, v12, s14
	v_cmp_lt_u32_e64 s15, v14, v33
	s_delay_alu instid0(VALU_DEP_3) | instskip(NEXT) | instid1(VALU_DEP_3)
	v_add_nc_u32_e32 v16, v28, v16
	v_cmp_ge_u32_e64 s17, v12, v31
	ds_load_u8 v16, v16
	s_waitcnt lgkmcnt(0)
	v_cndmask_b32_e64 v36, v16, v34, s14
	v_cndmask_b32_e64 v37, v35, v16, s14
	;; [unrolled: 1-line block ×3, first 2 shown]
	s_delay_alu instid0(VALU_DEP_3) | instskip(NEXT) | instid1(VALU_DEP_3)
	v_and_b32_e32 v16, v36, v11
	v_and_b32_e32 v18, v37, v11
	s_delay_alu instid0(VALU_DEP_2) | instskip(NEXT) | instid1(VALU_DEP_2)
	v_and_b32_e32 v16, 0xff, v16
	v_and_b32_e32 v18, 0xff, v18
	s_delay_alu instid0(VALU_DEP_1) | instskip(NEXT) | instid1(VALU_DEP_1)
	v_cmp_le_u16_e64 s16, v16, v18
	s_and_b32 s15, s15, s16
	s_delay_alu instid0(SALU_CYCLE_1) | instskip(NEXT) | instid1(SALU_CYCLE_1)
	s_or_b32 s15, s17, s15
	v_cndmask_b32_e64 v18, v12, v14, s15
	v_cndmask_b32_e64 v16, v31, v33, s15
	s_delay_alu instid0(VALU_DEP_2) | instskip(NEXT) | instid1(VALU_DEP_2)
	v_add_nc_u32_e32 v17, 1, v18
	v_add_nc_u32_e32 v16, -1, v16
	s_delay_alu instid0(VALU_DEP_2) | instskip(NEXT) | instid1(VALU_DEP_2)
	v_cndmask_b32_e64 v14, v14, v17, s15
	v_min_u32_e32 v16, v17, v16
	v_cndmask_b32_e64 v12, v17, v12, s15
	s_delay_alu instid0(VALU_DEP_3) | instskip(NEXT) | instid1(VALU_DEP_3)
	v_cmp_lt_u32_e64 s16, v14, v33
	v_add_nc_u32_e32 v16, v28, v16
	s_delay_alu instid0(VALU_DEP_3) | instskip(SKIP_4) | instid1(VALU_DEP_2)
	v_cmp_ge_u32_e64 s18, v12, v31
	ds_load_u8 v16, v16
	s_waitcnt lgkmcnt(0)
	v_cndmask_b32_e64 v38, v16, v36, s15
	v_cndmask_b32_e64 v39, v37, v16, s15
	v_and_b32_e32 v16, v38, v11
	s_delay_alu instid0(VALU_DEP_2) | instskip(NEXT) | instid1(VALU_DEP_2)
	v_and_b32_e32 v19, v39, v11
	v_and_b32_e32 v16, 0xff, v16
	s_delay_alu instid0(VALU_DEP_2) | instskip(NEXT) | instid1(VALU_DEP_1)
	v_and_b32_e32 v19, 0xff, v19
	v_cmp_le_u16_e64 s17, v16, v19
	s_delay_alu instid0(VALU_DEP_1) | instskip(NEXT) | instid1(SALU_CYCLE_1)
	s_and_b32 s16, s16, s17
	s_or_b32 s16, s18, s16
	s_delay_alu instid0(SALU_CYCLE_1) | instskip(SKIP_2) | instid1(VALU_DEP_3)
	v_cndmask_b32_e64 v19, v12, v14, s16
	v_cndmask_b32_e64 v16, v31, v33, s16
	;; [unrolled: 1-line block ×3, first 2 shown]
	v_add_nc_u32_e32 v17, 1, v19
	s_delay_alu instid0(VALU_DEP_3) | instskip(NEXT) | instid1(VALU_DEP_3)
	v_add_nc_u32_e32 v16, -1, v16
	v_lshlrev_b16 v29, 8, v29
	s_delay_alu instid0(VALU_DEP_3) | instskip(NEXT) | instid1(VALU_DEP_3)
	v_cndmask_b32_e64 v50, v14, v17, s16
	v_min_u32_e32 v16, v17, v16
	v_cndmask_b32_e64 v51, v17, v12, s16
	s_delay_alu instid0(VALU_DEP_3) | instskip(NEXT) | instid1(VALU_DEP_3)
	v_cmp_lt_u32_e64 s17, v50, v33
	v_add_nc_u32_e32 v16, v28, v16
	s_delay_alu instid0(VALU_DEP_3) | instskip(SKIP_4) | instid1(VALU_DEP_2)
	v_cmp_ge_u32_e64 s19, v51, v31
	ds_load_u8 v16, v16
	s_waitcnt lgkmcnt(0)
	v_cndmask_b32_e64 v48, v16, v38, s16
	v_cndmask_b32_e64 v49, v39, v16, s16
	v_and_b32_e32 v16, v48, v11
	s_delay_alu instid0(VALU_DEP_2) | instskip(NEXT) | instid1(VALU_DEP_2)
	v_and_b32_e32 v20, v49, v11
	v_and_b32_e32 v14, 0xff, v16
	s_delay_alu instid0(VALU_DEP_2) | instskip(SKIP_1) | instid1(VALU_DEP_2)
	v_and_b32_e32 v16, 0xff, v20
	v_lshl_add_u32 v20, v15, 3, v10
	v_cmp_le_u16_e64 s18, v14, v16
	s_delay_alu instid0(VALU_DEP_1) | instskip(NEXT) | instid1(SALU_CYCLE_1)
	s_and_b32 s17, s17, s18
	s_or_b32 s17, s19, s17
	s_delay_alu instid0(SALU_CYCLE_1) | instskip(SKIP_1) | instid1(VALU_DEP_2)
	v_cndmask_b32_e64 v12, v51, v50, s17
	v_cndmask_b32_e64 v14, v31, v33, s17
	v_add_nc_u32_e32 v52, 1, v12
	s_delay_alu instid0(VALU_DEP_2) | instskip(SKIP_1) | instid1(VALU_DEP_3)
	v_add_nc_u32_e32 v14, -1, v14
	v_lshl_add_u32 v12, v12, 3, v10
	v_cndmask_b32_e64 v25, v50, v52, s17
	s_delay_alu instid0(VALU_DEP_3) | instskip(SKIP_1) | instid1(VALU_DEP_3)
	v_min_u32_e32 v14, v52, v14
	v_cndmask_b32_e64 v35, v52, v51, s17
	v_cmp_lt_u32_e64 s7, v25, v33
	s_delay_alu instid0(VALU_DEP_3) | instskip(NEXT) | instid1(VALU_DEP_3)
	v_add_nc_u32_e32 v14, v28, v14
	v_cmp_ge_u32_e64 s11, v35, v31
	v_cndmask_b32_e64 v31, v48, v49, s17
	v_lshlrev_b16 v33, 8, v24
	ds_load_u8 v22, v14
	v_lshl_add_u32 v14, v5, 3, v10
	ds_load_b64 v[4:5], v4 offset:2048
	ds_load_b64 v[14:15], v14 offset:2048
	;; [unrolled: 1-line block ×4, first 2 shown]
	v_lshl_add_u32 v13, v18, 3, v10
	v_lshl_add_u32 v18, v19, 3, v10
	v_and_b32_e32 v31, 0xff, v31
	v_or_b32_e32 v9, v9, v33
	s_delay_alu instid0(VALU_DEP_1)
	v_and_b32_e32 v9, 0xffff, v9
	s_waitcnt lgkmcnt(4)
	v_cndmask_b32_e64 v28, v22, v48, s17
	v_cndmask_b32_e64 v53, v49, v22, s17
	ds_load_b64 v[22:23], v13 offset:2048
	ds_load_b64 v[18:19], v18 offset:2048
	;; [unrolled: 1-line block ×3, first 2 shown]
	v_and_b32_e32 v54, v28, v11
	v_and_b32_e32 v11, v53, v11
	s_delay_alu instid0(VALU_DEP_2) | instskip(NEXT) | instid1(VALU_DEP_2)
	v_and_b32_e32 v26, 0xff, v54
	v_and_b32_e32 v11, 0xff, v11
	s_delay_alu instid0(VALU_DEP_1) | instskip(SKIP_2) | instid1(VALU_DEP_3)
	v_cmp_le_u16_e64 s10, v26, v11
	v_cndmask_b32_e64 v26, v36, v37, s15
	v_lshlrev_b16 v11, 8, v34
	s_and_b32 s7, s7, s10
	s_delay_alu instid0(VALU_DEP_2) | instskip(SKIP_1) | instid1(VALU_DEP_2)
	v_and_b32_e32 v26, 0xff, v26
	s_or_b32 s7, s11, s7
	v_or_b32_e32 v11, v27, v11
	v_cndmask_b32_e64 v25, v35, v25, s7
	v_cndmask_b32_e64 v28, v28, v53, s7
	v_or_b32_e32 v26, v26, v29
	s_delay_alu instid0(VALU_DEP_4) | instskip(NEXT) | instid1(VALU_DEP_4)
	v_lshlrev_b32_e32 v11, 16, v11
	v_lshl_add_u32 v10, v25, 3, v10
	s_delay_alu instid0(VALU_DEP_4) | instskip(NEXT) | instid1(VALU_DEP_4)
	v_lshlrev_b16 v28, 8, v28
	v_and_b32_e32 v26, 0xffff, v26
	ds_load_b64 v[24:25], v10 offset:2048
	v_or_b32_e32 v10, v31, v28
	s_delay_alu instid0(VALU_DEP_1) | instskip(NEXT) | instid1(VALU_DEP_1)
	v_lshlrev_b32_e32 v10, 16, v10
	v_or_b32_e32 v27, v26, v10
	v_or_b32_e32 v26, v9, v11
.LBB100_70:
	s_or_b32 exec_lo, exec_lo, s21
	; wave barrier
	s_waitcnt lgkmcnt(0)
	s_waitcnt_vscnt null, 0x0
	s_barrier
                                        ; implicit-def: $vgpr33
                                        ; implicit-def: $vgpr28
                                        ; implicit-def: $vgpr29
                                        ; implicit-def: $vgpr9
.LBB100_71:
	s_and_not1_saveexec_b32 s16, s20
	s_cbranch_execz .LBB100_117
; %bb.72:
	s_load_b64 s[10:11], s[8:9], 0x0
	v_mov_b32_e32 v10, 0
	s_waitcnt lgkmcnt(0)
	s_cmp_lt_u32 s13, s11
	s_cselect_b32 s7, 14, 20
	s_delay_alu instid0(SALU_CYCLE_1)
	s_add_u32 s14, s8, s7
	s_addc_u32 s15, s9, 0
	s_cmp_lt_u32 s12, s10
	global_load_u16 v11, v10, s[14:15]
	s_cselect_b32 s7, 12, 18
	s_mov_b32 s15, exec_lo
	s_add_u32 s8, s8, s7
	s_addc_u32 s9, s9, 0
	global_load_u16 v10, v10, s[8:9]
	s_waitcnt vmcnt(1)
	v_mad_u32_u24 v11, v29, v11, v28
	s_waitcnt vmcnt(0)
	s_delay_alu instid0(VALU_DEP_1) | instskip(NEXT) | instid1(VALU_DEP_1)
	v_mul_lo_u32 v10, v11, v10
	v_add_lshl_u32 v11, v10, v9, 3
	s_delay_alu instid0(VALU_DEP_1)
	v_cmpx_gt_u32_e32 0x800, v11
	s_cbranch_execz .LBB100_76
; %bb.73:
	v_lshrrev_b32_e32 v9, 8, v26
	v_perm_b32 v10, 0, v26, 0xc0c0001
	v_and_b32_e32 v28, 0xff, v26
	v_lshrrev_b32_e32 v29, 8, v27
	v_and_b32_e32 v34, 0xff, v27
	v_and_b32_e32 v9, 0xff, v9
	v_and_or_b32 v10, 0xffff0000, v26, v10
	s_delay_alu instid0(VALU_DEP_4) | instskip(NEXT) | instid1(VALU_DEP_3)
	v_and_b32_e32 v29, 0xff, v29
	v_cmp_gt_u16_e64 s7, v9, v28
	s_delay_alu instid0(VALU_DEP_2) | instskip(NEXT) | instid1(VALU_DEP_2)
	v_cmp_gt_u16_e64 s9, v29, v34
	v_cndmask_b32_e64 v10, v26, v10, s7
	v_cndmask_b32_e64 v9, v14, v4, s7
	v_cndmask_b32_e64 v4, v4, v14, s7
	s_delay_alu instid0(VALU_DEP_4) | instskip(SKIP_4) | instid1(VALU_DEP_3)
	v_cndmask_b32_e64 v39, v23, v19, s9
	v_cndmask_b32_e64 v35, v15, v5, s7
	v_lshrrev_b32_e32 v26, 16, v10
	v_lshrrev_b32_e32 v31, 24, v10
	v_cndmask_b32_e64 v5, v5, v15, s7
	v_perm_b32 v28, 0, v26, 0xc0c0001
	v_and_b32_e32 v26, 0xff, v26
	s_delay_alu instid0(VALU_DEP_2) | instskip(NEXT) | instid1(VALU_DEP_2)
	v_lshlrev_b32_e32 v28, 16, v28
	v_cmp_gt_u16_e64 s8, v31, v26
	v_perm_b32 v26, v27, v27, 0x7060405
	s_delay_alu instid0(VALU_DEP_3) | instskip(NEXT) | instid1(VALU_DEP_3)
	v_and_or_b32 v28, 0xffff, v10, v28
	v_cndmask_b32_e64 v37, v17, v21, s8
	s_delay_alu instid0(VALU_DEP_3)
	v_cndmask_b32_e64 v26, v27, v26, s9
	v_cndmask_b32_e64 v17, v21, v17, s8
	;; [unrolled: 1-line block ×5, first 2 shown]
	v_lshrrev_b32_e32 v34, 16, v26
	v_lshrrev_b32_e32 v36, 24, v26
	v_cndmask_b32_e64 v28, v22, v18, s9
	v_lshrrev_b32_e32 v27, 16, v10
	v_lshrrev_b32_e32 v31, 8, v10
	v_and_b32_e32 v34, 0xff, v34
	v_perm_b32 v38, v10, v10, 0x7050604
	v_cndmask_b32_e64 v18, v18, v22, s9
	v_and_b32_e32 v27, 0xff, v27
	v_and_b32_e32 v31, 0xff, v31
	v_cmp_gt_u16_e64 s11, v36, v34
	s_delay_alu instid0(VALU_DEP_2) | instskip(SKIP_1) | instid1(VALU_DEP_3)
	v_cmp_gt_u16_e64 s10, v27, v31
	v_perm_b32 v27, v26, v26, 0x6070504
	v_cndmask_b32_e64 v34, v12, v24, s11
	v_cndmask_b32_e64 v12, v24, v12, s11
	s_delay_alu instid0(VALU_DEP_4) | instskip(NEXT) | instid1(VALU_DEP_4)
	v_cndmask_b32_e64 v10, v10, v38, s10
	v_cndmask_b32_e64 v26, v26, v27, s11
	;; [unrolled: 1-line block ×3, first 2 shown]
	s_delay_alu instid0(VALU_DEP_3) | instskip(NEXT) | instid1(VALU_DEP_3)
	v_lshrrev_b32_e32 v27, 16, v10
	v_lshlrev_b16 v36, 8, v26
	v_lshrrev_b32_e32 v38, 24, v10
	s_delay_alu instid0(VALU_DEP_3) | instskip(NEXT) | instid1(VALU_DEP_1)
	v_and_b32_e32 v27, 0xff, v27
	v_or_b32_e32 v27, v27, v36
	v_and_b32_e32 v36, 0xff, v26
	s_delay_alu instid0(VALU_DEP_2) | instskip(NEXT) | instid1(VALU_DEP_2)
	v_lshlrev_b32_e32 v27, 16, v27
	v_cmp_gt_u16_e64 s12, v36, v38
	v_cndmask_b32_e64 v36, v9, v16, s10
	v_cndmask_b32_e64 v9, v16, v9, s10
	s_delay_alu instid0(VALU_DEP_4) | instskip(NEXT) | instid1(VALU_DEP_4)
	v_and_or_b32 v21, 0xffff, v10, v27
	v_cndmask_b32_e64 v16, v29, v28, s12
	v_cndmask_b32_e64 v28, v28, v29, s12
	;; [unrolled: 1-line block ×5, first 2 shown]
	v_perm_b32 v10, v10, v26, 0x3020107
	s_delay_alu instid0(VALU_DEP_2) | instskip(NEXT) | instid1(VALU_DEP_2)
	v_lshrrev_b32_e32 v14, 8, v21
	v_cndmask_b32_e64 v10, v26, v10, s12
	v_perm_b32 v20, 0, v21, 0xc0c0001
	v_and_b32_e32 v26, 0xff, v21
	s_delay_alu instid0(VALU_DEP_4) | instskip(NEXT) | instid1(VALU_DEP_4)
	v_and_b32_e32 v14, 0xff, v14
	v_lshrrev_b32_e32 v38, 16, v10
	v_lshrrev_b32_e32 v48, 8, v10
	v_and_or_b32 v20, 0xffff0000, v21, v20
	s_delay_alu instid0(VALU_DEP_4)
	v_cmp_gt_u16_e64 s8, v14, v26
	v_cndmask_b32_e64 v14, v19, v23, s9
	v_and_b32_e32 v19, 0xff, v38
	v_and_b32_e32 v23, 0xff, v48
	v_perm_b32 v38, v10, v10, 0x7050604
	v_cndmask_b32_e64 v20, v21, v20, s8
	v_cndmask_b32_e64 v21, v13, v25, s11
	v_cndmask_b32_e64 v26, v36, v4, s8
	v_cmp_gt_u16_e64 s13, v19, v23
	v_cndmask_b32_e64 v4, v4, v36, s8
	v_lshrrev_b32_e32 v19, 16, v20
	v_lshrrev_b32_e32 v48, 24, v20
	v_cndmask_b32_e64 v13, v25, v13, s11
	v_cndmask_b32_e64 v10, v10, v38, s13
	;; [unrolled: 1-line block ×3, first 2 shown]
	v_perm_b32 v22, 0, v19, 0xc0c0001
	v_and_b32_e32 v19, 0xff, v19
	v_cndmask_b32_e64 v14, v21, v14, s13
	v_lshrrev_b32_e32 v38, 8, v10
	v_and_b32_e32 v29, 0xff, v10
	v_lshlrev_b32_e32 v22, 16, v22
	v_cmp_gt_u16_e64 s9, v48, v19
	v_perm_b32 v48, v10, v10, 0x7060405
	v_and_b32_e32 v38, 0xff, v38
	v_cndmask_b32_e64 v19, v18, v34, s13
	v_and_or_b32 v22, 0xffff, v20, v22
	v_cndmask_b32_e64 v18, v34, v18, s13
	v_cndmask_b32_e64 v49, v31, v27, s9
	v_cmp_gt_u16_e64 s14, v38, v29
	v_cndmask_b32_e64 v27, v27, v31, s9
	v_cndmask_b32_e64 v20, v20, v22, s9
	;; [unrolled: 1-line block ×6, first 2 shown]
	v_lshrrev_b32_e32 v35, 16, v20
	v_lshrrev_b32_e32 v37, 8, v20
	v_perm_b32 v50, v20, v20, 0x7050604
	v_lshrrev_b32_e32 v24, 16, v10
	v_lshrrev_b32_e32 v48, 24, v10
	v_and_b32_e32 v35, 0xff, v35
	v_and_b32_e32 v37, 0xff, v37
	v_perm_b32 v34, v10, v10, 0x6070504
	v_and_b32_e32 v24, 0xff, v24
	v_cndmask_b32_e64 v15, v28, v19, s14
	v_cndmask_b32_e64 v19, v19, v28, s14
	v_cmp_gt_u16_e64 s7, v35, v37
	v_cndmask_b32_e64 v38, v22, v5, s8
	v_cmp_gt_u16_e64 s10, v48, v24
	v_cndmask_b32_e64 v48, v17, v23, s14
	v_cndmask_b32_e64 v17, v23, v17, s14
	;; [unrolled: 1-line block ×7, first 2 shown]
	v_lshrrev_b32_e32 v34, 16, v20
	v_lshrrev_b32_e32 v39, 24, v20
	v_lshlrev_b16 v37, 8, v10
	v_cndmask_b32_e64 v12, v12, v18, s10
	v_cndmask_b32_e64 v35, v49, v38, s7
	v_and_b32_e32 v34, 0xff, v34
	v_cndmask_b32_e64 v5, v5, v22, s8
	s_delay_alu instid0(VALU_DEP_2) | instskip(SKIP_1) | instid1(VALU_DEP_2)
	v_or_b32_e32 v34, v34, v37
	v_and_b32_e32 v37, 0xff, v10
	v_lshlrev_b32_e32 v34, 16, v34
	s_delay_alu instid0(VALU_DEP_2) | instskip(NEXT) | instid1(VALU_DEP_2)
	v_cmp_gt_u16_e64 s12, v37, v39
	v_and_or_b32 v31, 0xffff, v20, v34
	s_delay_alu instid0(VALU_DEP_2) | instskip(SKIP_2) | instid1(VALU_DEP_4)
	v_cndmask_b32_e64 v26, v29, v15, s12
	v_cndmask_b32_e64 v15, v15, v29, s12
	;; [unrolled: 1-line block ×4, first 2 shown]
	v_perm_b32 v20, v20, v10, 0x3020107
	s_delay_alu instid0(VALU_DEP_2) | instskip(NEXT) | instid1(VALU_DEP_2)
	v_lshrrev_b32_e32 v21, 8, v31
	v_cndmask_b32_e64 v10, v10, v20, s12
	v_perm_b32 v16, 0, v31, 0xc0c0001
	v_and_b32_e32 v20, 0xff, v31
	s_delay_alu instid0(VALU_DEP_4) | instskip(NEXT) | instid1(VALU_DEP_4)
	v_and_b32_e32 v21, 0xff, v21
	v_lshrrev_b32_e32 v36, 16, v10
	v_lshrrev_b32_e32 v37, 8, v10
	v_and_or_b32 v16, 0xffff0000, v31, v16
	s_delay_alu instid0(VALU_DEP_4) | instskip(NEXT) | instid1(VALU_DEP_4)
	v_cmp_gt_u16_e64 s9, v21, v20
	v_and_b32_e32 v20, 0xff, v36
	s_delay_alu instid0(VALU_DEP_4) | instskip(SKIP_1) | instid1(VALU_DEP_4)
	v_and_b32_e32 v21, 0xff, v37
	v_perm_b32 v36, v10, v10, 0x7050604
	v_cndmask_b32_e64 v16, v31, v16, s9
	v_cndmask_b32_e64 v31, v14, v13, s10
	s_delay_alu instid0(VALU_DEP_4)
	v_cmp_gt_u16_e64 s11, v20, v21
	v_cndmask_b32_e64 v13, v13, v14, s10
	v_cndmask_b32_e64 v14, v48, v27, s12
	v_lshrrev_b32_e32 v20, 16, v16
	v_lshrrev_b32_e32 v37, 24, v16
	v_cndmask_b32_e64 v10, v10, v36, s11
	v_cndmask_b32_e64 v21, v17, v31, s11
	;; [unrolled: 1-line block ×3, first 2 shown]
	v_perm_b32 v28, 0, v20, 0xc0c0001
	v_and_b32_e32 v20, 0xff, v20
	v_lshrrev_b32_e32 v36, 8, v10
	v_and_b32_e32 v29, 0xff, v10
	v_cndmask_b32_e64 v23, v25, v4, s9
	v_lshlrev_b32_e32 v28, 16, v28
	v_cmp_gt_u16_e64 s13, v37, v20
	v_and_b32_e32 v36, 0xff, v36
	v_perm_b32 v37, v10, v10, 0x7060405
	v_cndmask_b32_e64 v20, v19, v24, s11
	v_and_or_b32 v28, 0xffff, v16, v28
	v_cndmask_b32_e64 v19, v24, v19, s11
	v_cmp_gt_u16_e64 s14, v36, v29
	v_cndmask_b32_e64 v29, v26, v9, s13
	v_cndmask_b32_e64 v4, v4, v25, s9
	;; [unrolled: 1-line block ×7, first 2 shown]
	v_lshrrev_b32_e32 v36, 16, v16
	v_lshrrev_b32_e32 v37, 8, v16
	;; [unrolled: 1-line block ×4, first 2 shown]
	v_perm_b32 v50, v16, v16, 0x7050604
	v_and_b32_e32 v36, 0xff, v36
	v_and_b32_e32 v37, 0xff, v37
	;; [unrolled: 1-line block ×3, first 2 shown]
	v_perm_b32 v24, v10, v10, 0x6070504
	v_cndmask_b32_e64 v38, v28, v5, s9
	v_cndmask_b32_e64 v5, v5, v28, s9
	v_cmp_gt_u16_e64 s7, v36, v37
	v_cmp_gt_u16_e64 s8, v39, v18
	v_cndmask_b32_e64 v28, v14, v21, s14
	v_cndmask_b32_e64 v14, v21, v14, s14
	;; [unrolled: 1-line block ×8, first 2 shown]
	v_lshrrev_b32_e32 v24, 16, v16
	v_lshlrev_b16 v37, 8, v10
	v_and_b32_e32 v27, 0xff, v10
	v_lshrrev_b32_e32 v31, 24, v16
	v_cndmask_b32_e64 v18, v19, v12, s8
	v_and_b32_e32 v24, 0xff, v24
	v_cndmask_b32_e64 v34, v34, v35, s13
	v_cndmask_b32_e64 v35, v23, v9, s7
	v_cmp_gt_u16_e64 s10, v27, v31
	v_perm_b32 v27, v16, v10, 0x3020107
	v_or_b32_e32 v24, v24, v37
	v_cndmask_b32_e64 v12, v12, v19, s8
	v_cndmask_b32_e64 v9, v9, v23, s7
	;; [unrolled: 1-line block ×4, first 2 shown]
	v_lshlrev_b32_e32 v24, 16, v24
	v_cndmask_b32_e64 v15, v20, v15, s14
	v_cndmask_b32_e64 v20, v34, v28, s10
	s_delay_alu instid0(VALU_DEP_4) | instskip(NEXT) | instid1(VALU_DEP_4)
	v_lshrrev_b32_e32 v25, 16, v10
	v_and_or_b32 v24, 0xffff, v16, v24
	v_lshrrev_b32_e32 v26, 8, v10
	s_delay_alu instid0(VALU_DEP_3) | instskip(NEXT) | instid1(VALU_DEP_3)
	v_and_b32_e32 v25, 0xff, v25
	v_cndmask_b32_e64 v16, v16, v24, s10
	s_delay_alu instid0(VALU_DEP_3) | instskip(NEXT) | instid1(VALU_DEP_2)
	v_and_b32_e32 v26, 0xff, v26
	v_lshrrev_b32_e32 v24, 8, v16
	v_perm_b32 v27, 0, v16, 0xc0c0001
	v_and_b32_e32 v31, 0xff, v16
	s_delay_alu instid0(VALU_DEP_4)
	v_cmp_gt_u16_e64 s11, v25, v26
	v_cndmask_b32_e64 v25, v29, v22, s10
	v_and_b32_e32 v24, 0xff, v24
	v_and_or_b32 v27, 0xffff0000, v16, v27
	v_cndmask_b32_e64 v22, v22, v29, s10
	v_cndmask_b32_e64 v37, v15, v18, s11
	;; [unrolled: 1-line block ×3, first 2 shown]
	v_cmp_gt_u16_e64 s9, v24, v31
	v_perm_b32 v24, v10, v10, 0x7050604
	v_cndmask_b32_e64 v19, v14, v21, s11
	v_cndmask_b32_e64 v14, v21, v14, s11
	s_delay_alu instid0(VALU_DEP_4) | instskip(NEXT) | instid1(VALU_DEP_4)
	v_cndmask_b32_e64 v16, v16, v27, s9
	v_cndmask_b32_e64 v10, v10, v24, s11
	;; [unrolled: 1-line block ×4, first 2 shown]
	s_delay_alu instid0(VALU_DEP_4) | instskip(NEXT) | instid1(VALU_DEP_4)
	v_lshrrev_b32_e32 v17, 16, v16
	v_lshrrev_b32_e32 v24, 8, v10
	v_and_b32_e32 v29, 0xff, v10
	v_lshrrev_b32_e32 v31, 24, v16
	v_perm_b32 v38, v10, v10, 0x7060405
	v_perm_b32 v27, 0, v17, 0xc0c0001
	v_and_b32_e32 v24, 0xff, v24
	v_and_b32_e32 v17, 0xff, v17
	s_delay_alu instid0(VALU_DEP_3) | instskip(NEXT) | instid1(VALU_DEP_3)
	v_lshlrev_b32_e32 v27, 16, v27
	v_cmp_gt_u16_e64 s7, v24, v29
	s_delay_alu instid0(VALU_DEP_3)
	v_cmp_gt_u16_e64 s8, v31, v17
	v_cndmask_b32_e64 v24, v28, v34, s10
	v_cndmask_b32_e64 v31, v23, v5, s9
	v_and_or_b32 v17, 0xffff, v16, v27
	v_cndmask_b32_e64 v27, v10, v38, s7
	v_cndmask_b32_e64 v5, v5, v23, s9
	;; [unrolled: 1-line block ×5, first 2 shown]
	v_lshrrev_b32_e32 v10, 16, v27
	v_lshrrev_b32_e32 v21, 24, v27
	v_perm_b32 v23, v27, v27, 0x6070504
	v_cndmask_b32_e64 v38, v24, v19, s7
	v_lshrrev_b32_e32 v17, 16, v16
	v_lshrrev_b32_e32 v18, 8, v16
	v_and_b32_e32 v10, 0xff, v10
	v_cndmask_b32_e64 v19, v19, v24, s7
	v_cndmask_b32_e64 v36, v20, v36, s8
	v_and_b32_e32 v17, 0xff, v17
	v_and_b32_e32 v18, 0xff, v18
	v_cmp_gt_u16_e64 s10, v21, v10
	v_perm_b32 v21, v16, v16, 0x7050604
	v_cndmask_b32_e64 v29, v25, v9, s8
	s_delay_alu instid0(VALU_DEP_4) | instskip(NEXT) | instid1(VALU_DEP_4)
	v_cmp_gt_u16_e64 s11, v17, v18
	v_cndmask_b32_e64 v23, v27, v23, s10
	v_cndmask_b32_e64 v18, v37, v22, s7
	;; [unrolled: 1-line block ×3, first 2 shown]
	s_delay_alu instid0(VALU_DEP_4) | instskip(NEXT) | instid1(VALU_DEP_4)
	v_cndmask_b32_e64 v35, v16, v21, s11
	v_and_b32_e32 v16, 0xff, v23
	v_lshlrev_b16 v20, 8, v23
	v_cndmask_b32_e64 v17, v34, v31, s11
	s_delay_alu instid0(VALU_DEP_4) | instskip(SKIP_2) | instid1(VALU_DEP_3)
	v_lshrrev_b32_e32 v21, 16, v35
	v_lshrrev_b32_e32 v22, 24, v35
	v_perm_b32 v24, v35, v23, 0x3020107
	v_and_b32_e32 v27, 0xff, v21
	s_delay_alu instid0(VALU_DEP_3)
	v_cmp_gt_u16_e64 s7, v16, v22
	v_cndmask_b32_e64 v22, v9, v25, s8
	v_cndmask_b32_e64 v9, v15, v12, s10
	;; [unrolled: 1-line block ×3, first 2 shown]
	v_or_b32_e32 v20, v27, v20
	v_cndmask_b32_e64 v27, v23, v24, s7
	v_cndmask_b32_e64 v24, v12, v15, s10
	;; [unrolled: 1-line block ×4, first 2 shown]
	v_lshlrev_b32_e32 v12, 16, v20
	v_lshrrev_b32_e32 v13, 16, v27
	v_lshrrev_b32_e32 v20, 8, v27
	v_cndmask_b32_e64 v16, v22, v26, s11
	v_cndmask_b32_e64 v14, v26, v22, s11
	v_and_or_b32 v12, 0xffff, v35, v12
	v_and_b32_e32 v13, 0xff, v13
	v_and_b32_e32 v31, 0xff, v20
	v_cndmask_b32_e64 v20, v29, v28, s7
	v_cndmask_b32_e64 v23, v38, v36, s7
	;; [unrolled: 1-line block ×4, first 2 shown]
	v_cmp_gt_u16_e64 s7, v13, v31
	v_dual_mov_b32 v13, v10 :: v_dual_mov_b32 v12, v9
	s_delay_alu instid0(VALU_DEP_2)
	s_and_saveexec_b32 s8, s7
; %bb.74:
	v_perm_b32 v27, v27, v27, 0x7050604
	v_dual_mov_b32 v12, v18 :: v_dual_mov_b32 v13, v19
	v_dual_mov_b32 v19, v10 :: v_dual_mov_b32 v18, v9
; %bb.75:
	s_or_b32 exec_lo, exec_lo, s8
.LBB100_76:
	s_delay_alu instid0(SALU_CYCLE_1)
	s_or_b32 exec_lo, exec_lo, s15
	v_and_b32_e32 v11, 0xffffff00, v11
	v_or_b32_e32 v29, 8, v33
	v_and_b32_e32 v31, 8, v33
	v_and_b32_e32 v39, 0xf0, v33
	v_lshrrev_b64 v[9:10], 24, v[26:27]
	v_sub_nc_u32_e64 v28, 0x800, v11 clamp
	v_lshlrev_b32_e32 v10, 3, v11
	v_lshrrev_b32_e32 v35, 8, v26
	v_lshrrev_b32_e32 v36, 16, v26
	;; [unrolled: 1-line block ×3, first 2 shown]
	v_min_u32_e32 v50, v28, v29
	v_min_u32_e32 v49, v28, v31
	v_lshrrev_b32_e32 v38, 16, v27
	v_or_b32_e32 v52, v11, v33
	v_lshl_or_b32 v29, v33, 3, v10
	v_add_nc_u32_e32 v34, 8, v50
	v_sub_nc_u32_e32 v48, v50, v39
	s_mov_b32 s8, exec_lo
	ds_store_b8 v52, v26
	ds_store_b64 v29, v[4:5] offset:2048
	ds_store_b8 v52, v35 offset:1
	ds_store_b64 v29, v[14:15] offset:2056
	v_min_u32_e32 v34, v28, v34
	ds_store_b8 v52, v36 offset:2
	ds_store_b64 v29, v[16:17] offset:2064
	ds_store_b8 v52, v9 offset:3
	ds_store_b64 v29, v[20:21] offset:2072
	ds_store_b8 v52, v27 offset:4
	ds_store_b64 v29, v[22:23] offset:2080
	ds_store_b8 v52, v37 offset:5
	v_sub_nc_u32_e32 v31, v34, v50
	s_delay_alu instid0(VALU_DEP_1)
	v_sub_nc_u32_e64 v51, v49, v31 clamp
	v_min_u32_e32 v31, v49, v48
	v_lshrrev_b32_e32 v48, 24, v27
	ds_store_b64 v29, v[18:19] offset:2088
	ds_store_b8 v52, v38 offset:6
	ds_store_b64 v29, v[12:13] offset:2096
	ds_store_b8 v52, v48 offset:7
	ds_store_b64 v29, v[24:25] offset:2104
	; wave barrier
	v_cmpx_lt_u32_e64 v51, v31
	s_cbranch_execz .LBB100_80
; %bb.77:
	v_add_nc_u32_e32 v52, v11, v39
	v_add3_u32 v53, v11, v50, v49
	s_mov_b32 s9, 0
	.p2align	6
.LBB100_78:                             ; =>This Inner Loop Header: Depth=1
	v_add_nc_u32_e32 v54, v31, v51
	s_delay_alu instid0(VALU_DEP_1) | instskip(NEXT) | instid1(VALU_DEP_1)
	v_lshrrev_b32_e32 v54, 1, v54
	v_add_nc_u32_e32 v55, v52, v54
	v_xad_u32 v64, v54, -1, v53
	v_add_nc_u32_e32 v65, 1, v54
	ds_load_u8 v55, v55
	ds_load_u8 v64, v64
	s_waitcnt lgkmcnt(0)
	v_cmp_gt_u16_e64 s7, v64, v55
	s_delay_alu instid0(VALU_DEP_1) | instskip(SKIP_1) | instid1(VALU_DEP_1)
	v_cndmask_b32_e64 v31, v31, v54, s7
	v_cndmask_b32_e64 v51, v65, v51, s7
	v_cmp_ge_u32_e64 s7, v51, v31
	s_delay_alu instid0(VALU_DEP_1) | instskip(NEXT) | instid1(SALU_CYCLE_1)
	s_or_b32 s9, s7, s9
	s_and_not1_b32 exec_lo, exec_lo, s9
	s_cbranch_execnz .LBB100_78
; %bb.79:
	s_or_b32 exec_lo, exec_lo, s9
.LBB100_80:
	s_delay_alu instid0(SALU_CYCLE_1) | instskip(SKIP_3) | instid1(VALU_DEP_3)
	s_or_b32 exec_lo, exec_lo, s8
	v_add_nc_u32_e32 v49, v50, v49
	v_dual_mov_b32 v39, v26 :: v_dual_add_nc_u32 v52, v51, v39
	v_add_nc_u32_e32 v31, 0x800, v29
	v_sub_nc_u32_e32 v51, v49, v51
	s_delay_alu instid0(VALU_DEP_3) | instskip(SKIP_1) | instid1(VALU_DEP_3)
	v_cmp_le_u32_e64 s7, v52, v50
	v_mov_b32_e32 v49, v27
	v_cmp_le_u32_e64 s8, v51, v34
	s_delay_alu instid0(VALU_DEP_1) | instskip(NEXT) | instid1(SALU_CYCLE_1)
	s_or_b32 s7, s7, s8
	s_and_saveexec_b32 s17, s7
	s_cbranch_execz .LBB100_86
; %bb.81:
	v_cmp_lt_u32_e64 s7, v52, v50
                                        ; implicit-def: $vgpr9
	s_delay_alu instid0(VALU_DEP_1)
	s_and_saveexec_b32 s8, s7
	s_cbranch_execz .LBB100_83
; %bb.82:
	v_add_nc_u32_e32 v4, v11, v52
	ds_load_u8 v9, v4
.LBB100_83:
	s_or_b32 exec_lo, exec_lo, s8
	v_cmp_ge_u32_e64 s8, v51, v34
	s_mov_b32 s10, exec_lo
                                        ; implicit-def: $vgpr24
	v_cmpx_lt_u32_e64 v51, v34
	s_cbranch_execz .LBB100_85
; %bb.84:
	v_add_nc_u32_e32 v4, v11, v51
	ds_load_u8 v24, v4
.LBB100_85:
	s_or_b32 exec_lo, exec_lo, s10
	s_waitcnt lgkmcnt(0)
	v_and_b32_e32 v4, 0xff, v9
	v_and_b32_e32 v5, 0xff, v24
	s_delay_alu instid0(VALU_DEP_1) | instskip(NEXT) | instid1(VALU_DEP_1)
	v_cmp_le_u16_e64 s9, v5, v4
	s_and_b32 s7, s7, s9
	s_delay_alu instid0(SALU_CYCLE_1) | instskip(NEXT) | instid1(SALU_CYCLE_1)
	s_or_b32 s7, s8, s7
	v_cndmask_b32_e64 v4, v51, v52, s7
	v_cndmask_b32_e64 v5, v34, v50, s7
	;; [unrolled: 1-line block ×3, first 2 shown]
	s_delay_alu instid0(VALU_DEP_3) | instskip(NEXT) | instid1(VALU_DEP_3)
	v_add_nc_u32_e32 v12, 1, v4
	v_add_nc_u32_e32 v5, -1, v5
	v_lshl_add_u32 v4, v4, 3, v10
	s_delay_alu instid0(VALU_DEP_2) | instskip(NEXT) | instid1(VALU_DEP_1)
	v_min_u32_e32 v5, v12, v5
	v_add_nc_u32_e32 v5, v11, v5
	ds_load_u8 v5, v5
	s_waitcnt lgkmcnt(0)
	v_cndmask_b32_e64 v25, v5, v24, s7
	v_cndmask_b32_e64 v26, v9, v5, s7
	;; [unrolled: 1-line block ×4, first 2 shown]
	s_delay_alu instid0(VALU_DEP_4) | instskip(NEXT) | instid1(VALU_DEP_4)
	v_and_b32_e32 v13, 0xff, v25
	v_and_b32_e32 v14, 0xff, v26
	s_delay_alu instid0(VALU_DEP_4) | instskip(NEXT) | instid1(VALU_DEP_4)
	v_cmp_lt_u32_e64 s8, v5, v50
	v_cmp_ge_u32_e64 s10, v12, v34
	s_delay_alu instid0(VALU_DEP_3) | instskip(NEXT) | instid1(VALU_DEP_1)
	v_cmp_le_u16_e64 s9, v13, v14
	s_and_b32 s8, s8, s9
	s_delay_alu instid0(VALU_DEP_2) | instid1(SALU_CYCLE_1)
	s_or_b32 s8, s10, s8
	s_delay_alu instid0(SALU_CYCLE_1) | instskip(SKIP_1) | instid1(VALU_DEP_2)
	v_cndmask_b32_e64 v13, v12, v5, s8
	v_cndmask_b32_e64 v14, v34, v50, s8
	v_add_nc_u32_e32 v15, 1, v13
	s_delay_alu instid0(VALU_DEP_2) | instskip(SKIP_1) | instid1(VALU_DEP_3)
	v_add_nc_u32_e32 v14, -1, v14
	v_lshl_add_u32 v13, v13, 3, v10
	v_cndmask_b32_e64 v5, v5, v15, s8
	s_delay_alu instid0(VALU_DEP_3) | instskip(SKIP_1) | instid1(VALU_DEP_3)
	v_min_u32_e32 v14, v15, v14
	v_cndmask_b32_e64 v12, v15, v12, s8
	v_cmp_lt_u32_e64 s9, v5, v50
	s_delay_alu instid0(VALU_DEP_3) | instskip(NEXT) | instid1(VALU_DEP_3)
	v_add_nc_u32_e32 v14, v11, v14
	v_cmp_ge_u32_e64 s11, v12, v34
	ds_load_u8 v14, v14
	s_waitcnt lgkmcnt(0)
	v_cndmask_b32_e64 v27, v14, v25, s8
	v_cndmask_b32_e64 v36, v26, v14, s8
	s_delay_alu instid0(VALU_DEP_2) | instskip(NEXT) | instid1(VALU_DEP_2)
	v_and_b32_e32 v14, 0xff, v27
	v_and_b32_e32 v16, 0xff, v36
	s_delay_alu instid0(VALU_DEP_1) | instskip(NEXT) | instid1(VALU_DEP_1)
	v_cmp_le_u16_e64 s10, v14, v16
	s_and_b32 s9, s9, s10
	s_delay_alu instid0(SALU_CYCLE_1) | instskip(NEXT) | instid1(SALU_CYCLE_1)
	s_or_b32 s9, s11, s9
	v_cndmask_b32_e64 v16, v12, v5, s9
	v_cndmask_b32_e64 v14, v34, v50, s9
	s_delay_alu instid0(VALU_DEP_2) | instskip(NEXT) | instid1(VALU_DEP_2)
	v_add_nc_u32_e32 v15, 1, v16
	v_add_nc_u32_e32 v14, -1, v14
	s_delay_alu instid0(VALU_DEP_2) | instskip(NEXT) | instid1(VALU_DEP_2)
	v_cndmask_b32_e64 v5, v5, v15, s9
	v_min_u32_e32 v14, v15, v14
	v_cndmask_b32_e64 v12, v15, v12, s9
	s_delay_alu instid0(VALU_DEP_3) | instskip(NEXT) | instid1(VALU_DEP_3)
	v_cmp_lt_u32_e64 s10, v5, v50
	v_add_nc_u32_e32 v14, v11, v14
	s_delay_alu instid0(VALU_DEP_3)
	v_cmp_ge_u32_e64 s12, v12, v34
	ds_load_u8 v14, v14
	s_waitcnt lgkmcnt(0)
	v_cndmask_b32_e64 v37, v14, v27, s9
	v_cndmask_b32_e64 v38, v36, v14, s9
	;; [unrolled: 1-line block ×3, first 2 shown]
	s_delay_alu instid0(VALU_DEP_3) | instskip(NEXT) | instid1(VALU_DEP_3)
	v_and_b32_e32 v14, 0xff, v37
	v_and_b32_e32 v17, 0xff, v38
	s_delay_alu instid0(VALU_DEP_1) | instskip(NEXT) | instid1(VALU_DEP_1)
	v_cmp_le_u16_e64 s11, v14, v17
	s_and_b32 s10, s10, s11
	s_delay_alu instid0(SALU_CYCLE_1) | instskip(NEXT) | instid1(SALU_CYCLE_1)
	s_or_b32 s10, s12, s10
	v_cndmask_b32_e64 v17, v12, v5, s10
	v_cndmask_b32_e64 v14, v34, v50, s10
	;; [unrolled: 1-line block ×3, first 2 shown]
	s_delay_alu instid0(VALU_DEP_3) | instskip(NEXT) | instid1(VALU_DEP_3)
	v_add_nc_u32_e32 v15, 1, v17
	v_add_nc_u32_e32 v14, -1, v14
	v_lshl_add_u32 v20, v17, 3, v10
	s_delay_alu instid0(VALU_DEP_3) | instskip(NEXT) | instid1(VALU_DEP_3)
	v_cndmask_b32_e64 v5, v5, v15, s10
	v_min_u32_e32 v14, v15, v14
	v_cndmask_b32_e64 v12, v15, v12, s10
	s_delay_alu instid0(VALU_DEP_3) | instskip(NEXT) | instid1(VALU_DEP_3)
	v_cmp_lt_u32_e64 s11, v5, v50
	v_add_nc_u32_e32 v14, v11, v14
	s_delay_alu instid0(VALU_DEP_3) | instskip(SKIP_4) | instid1(VALU_DEP_2)
	v_cmp_ge_u32_e64 s13, v12, v34
	ds_load_u8 v14, v14
	s_waitcnt lgkmcnt(0)
	v_cndmask_b32_e64 v48, v14, v37, s10
	v_cndmask_b32_e64 v49, v38, v14, s10
	v_and_b32_e32 v14, 0xff, v48
	s_delay_alu instid0(VALU_DEP_2) | instskip(NEXT) | instid1(VALU_DEP_1)
	v_and_b32_e32 v18, 0xff, v49
	v_cmp_le_u16_e64 s12, v14, v18
	s_delay_alu instid0(VALU_DEP_1) | instskip(NEXT) | instid1(SALU_CYCLE_1)
	s_and_b32 s11, s11, s12
	s_or_b32 s11, s13, s11
	s_delay_alu instid0(SALU_CYCLE_1) | instskip(SKIP_1) | instid1(VALU_DEP_2)
	v_cndmask_b32_e64 v18, v12, v5, s11
	v_cndmask_b32_e64 v14, v34, v50, s11
	v_add_nc_u32_e32 v15, 1, v18
	s_delay_alu instid0(VALU_DEP_2) | instskip(SKIP_1) | instid1(VALU_DEP_3)
	v_add_nc_u32_e32 v14, -1, v14
	v_lshl_add_u32 v18, v18, 3, v10
	v_cndmask_b32_e64 v5, v5, v15, s11
	s_delay_alu instid0(VALU_DEP_3) | instskip(SKIP_1) | instid1(VALU_DEP_3)
	v_min_u32_e32 v14, v15, v14
	v_cndmask_b32_e64 v12, v15, v12, s11
	v_cmp_lt_u32_e64 s12, v5, v50
	s_delay_alu instid0(VALU_DEP_3) | instskip(NEXT) | instid1(VALU_DEP_3)
	v_add_nc_u32_e32 v14, v11, v14
	v_cmp_ge_u32_e64 s14, v12, v34
	ds_load_u8 v14, v14
	s_waitcnt lgkmcnt(0)
	v_cndmask_b32_e64 v51, v14, v48, s11
	v_cndmask_b32_e64 v52, v49, v14, s11
	;; [unrolled: 1-line block ×3, first 2 shown]
	s_delay_alu instid0(VALU_DEP_3) | instskip(NEXT) | instid1(VALU_DEP_3)
	v_and_b32_e32 v14, 0xff, v51
	v_and_b32_e32 v19, 0xff, v52
	s_delay_alu instid0(VALU_DEP_3) | instskip(NEXT) | instid1(VALU_DEP_2)
	v_and_b32_e32 v27, 0xff, v49
	v_cmp_le_u16_e64 s13, v14, v19
	s_delay_alu instid0(VALU_DEP_1) | instskip(NEXT) | instid1(SALU_CYCLE_1)
	s_and_b32 s12, s12, s13
	s_or_b32 s12, s14, s12
	s_delay_alu instid0(SALU_CYCLE_1) | instskip(SKIP_2) | instid1(VALU_DEP_3)
	v_cndmask_b32_e64 v19, v12, v5, s12
	v_cndmask_b32_e64 v14, v34, v50, s12
	;; [unrolled: 1-line block ×3, first 2 shown]
	v_add_nc_u32_e32 v15, 1, v19
	s_delay_alu instid0(VALU_DEP_3) | instskip(SKIP_1) | instid1(VALU_DEP_3)
	v_add_nc_u32_e32 v14, -1, v14
	v_lshl_add_u32 v19, v19, 3, v10
	v_cndmask_b32_e64 v55, v5, v15, s12
	s_delay_alu instid0(VALU_DEP_3) | instskip(SKIP_1) | instid1(VALU_DEP_3)
	v_min_u32_e32 v14, v15, v14
	v_cndmask_b32_e64 v64, v15, v12, s12
	v_cmp_lt_u32_e64 s13, v55, v50
	s_delay_alu instid0(VALU_DEP_3) | instskip(NEXT) | instid1(VALU_DEP_3)
	v_add_nc_u32_e32 v14, v11, v14
	v_cmp_ge_u32_e64 s15, v64, v34
	ds_load_u8 v14, v14
	s_waitcnt lgkmcnt(0)
	v_cndmask_b32_e64 v53, v14, v51, s12
	v_cndmask_b32_e64 v54, v52, v14, s12
	v_and_b32_e32 v52, 0xff, v36
	s_delay_alu instid0(VALU_DEP_3) | instskip(NEXT) | instid1(VALU_DEP_3)
	v_and_b32_e32 v5, 0xff, v53
	v_and_b32_e32 v14, 0xff, v54
	s_delay_alu instid0(VALU_DEP_1) | instskip(NEXT) | instid1(VALU_DEP_1)
	v_cmp_le_u16_e64 s14, v5, v14
	s_and_b32 s13, s13, s14
	s_delay_alu instid0(SALU_CYCLE_1) | instskip(NEXT) | instid1(SALU_CYCLE_1)
	s_or_b32 s13, s15, s13
	v_cndmask_b32_e64 v12, v64, v55, s13
	v_cndmask_b32_e64 v5, v34, v50, s13
	;; [unrolled: 1-line block ×3, first 2 shown]
	s_delay_alu instid0(VALU_DEP_3) | instskip(NEXT) | instid1(VALU_DEP_3)
	v_add_nc_u32_e32 v65, 1, v12
	v_add_nc_u32_e32 v5, -1, v5
	v_lshl_add_u32 v12, v12, 3, v10
	s_delay_alu instid0(VALU_DEP_3) | instskip(NEXT) | instid1(VALU_DEP_3)
	v_cndmask_b32_e64 v24, v55, v65, s13
	v_min_u32_e32 v5, v65, v5
	v_cndmask_b32_e64 v55, v65, v64, s13
	s_delay_alu instid0(VALU_DEP_3) | instskip(NEXT) | instid1(VALU_DEP_3)
	v_cmp_lt_u32_e64 s7, v24, v50
	v_add_nc_u32_e32 v5, v11, v5
	s_delay_alu instid0(VALU_DEP_3)
	v_cmp_ge_u32_e64 s9, v55, v34
	v_lshlrev_b16 v34, 8, v37
	v_and_b32_e32 v50, 0xff, v38
	ds_load_u8 v35, v5
	ds_load_b64 v[4:5], v4 offset:2048
	ds_load_b64 v[14:15], v13 offset:2048
	v_lshl_add_u32 v13, v16, 3, v10
	ds_load_b64 v[16:17], v13 offset:2048
	ds_load_b64 v[20:21], v20 offset:2048
	;; [unrolled: 1-line block ×5, first 2 shown]
	v_or_b32_e32 v27, v27, v34
	s_delay_alu instid0(VALU_DEP_1)
	v_and_b32_e32 v27, 0xffff, v27
	s_waitcnt lgkmcnt(7)
	v_cndmask_b32_e64 v66, v35, v53, s13
	v_cndmask_b32_e64 v67, v54, v35, s13
	;; [unrolled: 1-line block ×3, first 2 shown]
	v_and_b32_e32 v54, 0xff, v39
	s_delay_alu instid0(VALU_DEP_4) | instskip(NEXT) | instid1(VALU_DEP_4)
	v_and_b32_e32 v25, 0xff, v66
	v_and_b32_e32 v26, 0xff, v67
	s_delay_alu instid0(VALU_DEP_4) | instskip(NEXT) | instid1(VALU_DEP_2)
	v_lshlrev_b16 v53, 8, v35
	v_cmp_le_u16_e64 s8, v25, v26
	v_lshlrev_b16 v26, 8, v9
	s_delay_alu instid0(VALU_DEP_3) | instskip(NEXT) | instid1(VALU_DEP_3)
	v_or_b32_e32 v34, v54, v53
	s_and_b32 s7, s7, s8
	s_delay_alu instid0(VALU_DEP_2) | instskip(SKIP_1) | instid1(VALU_DEP_2)
	v_or_b32_e32 v26, v52, v26
	s_or_b32 s7, s9, s7
	v_and_b32_e32 v34, 0xffff, v34
	v_cndmask_b32_e64 v24, v55, v24, s7
	v_cndmask_b32_e64 v48, v66, v67, s7
	v_lshlrev_b32_e32 v26, 16, v26
	s_delay_alu instid0(VALU_DEP_3) | instskip(NEXT) | instid1(VALU_DEP_3)
	v_lshl_add_u32 v24, v24, 3, v10
	v_lshlrev_b16 v51, 8, v48
	s_delay_alu instid0(VALU_DEP_3) | instskip(SKIP_2) | instid1(VALU_DEP_1)
	v_or_b32_e32 v26, v34, v26
	ds_load_b64 v[24:25], v24 offset:2048
	v_or_b32_e32 v50, v50, v51
	v_lshlrev_b32_e32 v50, 16, v50
	s_delay_alu instid0(VALU_DEP_1)
	v_or_b32_e32 v27, v27, v50
.LBB100_86:
	s_or_b32 exec_lo, exec_lo, s17
	v_and_b32_e32 v52, 0xe0, v33
	v_and_b32_e32 v53, 24, v33
	s_mov_b32 s8, exec_lo
	; wave barrier
	s_delay_alu instid0(VALU_DEP_2) | instskip(NEXT) | instid1(VALU_DEP_2)
	v_or_b32_e32 v34, 16, v52
	v_min_u32_e32 v53, v28, v53
	s_delay_alu instid0(VALU_DEP_2)
	v_min_u32_e32 v51, v28, v34
	v_add_nc_u32_e32 v34, v11, v33
	ds_store_b8 v34, v39
	s_waitcnt lgkmcnt(8)
	ds_store_b64 v29, v[4:5] offset:2048
	ds_store_b8 v34, v35 offset:1
	s_waitcnt lgkmcnt(9)
	ds_store_b64 v31, v[14:15] offset:8
	v_add_nc_u32_e32 v50, 16, v51
	v_sub_nc_u32_e32 v55, v51, v52
	ds_store_b8 v34, v36 offset:2
	s_waitcnt lgkmcnt(10)
	ds_store_b64 v31, v[16:17] offset:16
	ds_store_b8 v34, v9 offset:3
	s_waitcnt lgkmcnt(11)
	ds_store_b64 v31, v[20:21] offset:24
	;; [unrolled: 3-line block ×6, first 2 shown]
	v_min_u32_e32 v50, v28, v50
	v_min_u32_e32 v55, v53, v55
	; wave barrier
	s_delay_alu instid0(VALU_DEP_2) | instskip(NEXT) | instid1(VALU_DEP_1)
	v_sub_nc_u32_e32 v54, v50, v51
	v_sub_nc_u32_e64 v54, v53, v54 clamp
	s_delay_alu instid0(VALU_DEP_1)
	v_cmpx_lt_u32_e64 v54, v55
	s_cbranch_execz .LBB100_90
; %bb.87:
	v_add_nc_u32_e32 v64, v11, v52
	v_add3_u32 v65, v11, v51, v53
	s_mov_b32 s9, 0
	.p2align	6
.LBB100_88:                             ; =>This Inner Loop Header: Depth=1
	v_add_nc_u32_e32 v66, v55, v54
	s_delay_alu instid0(VALU_DEP_1) | instskip(NEXT) | instid1(VALU_DEP_1)
	v_lshrrev_b32_e32 v66, 1, v66
	v_add_nc_u32_e32 v67, v64, v66
	v_xad_u32 v68, v66, -1, v65
	v_add_nc_u32_e32 v69, 1, v66
	ds_load_u8 v67, v67
	ds_load_u8 v68, v68
	s_waitcnt lgkmcnt(0)
	v_cmp_gt_u16_e64 s7, v68, v67
	s_delay_alu instid0(VALU_DEP_1) | instskip(SKIP_1) | instid1(VALU_DEP_1)
	v_cndmask_b32_e64 v55, v55, v66, s7
	v_cndmask_b32_e64 v54, v69, v54, s7
	v_cmp_ge_u32_e64 s7, v54, v55
	s_delay_alu instid0(VALU_DEP_1) | instskip(NEXT) | instid1(SALU_CYCLE_1)
	s_or_b32 s9, s7, s9
	s_and_not1_b32 exec_lo, exec_lo, s9
	s_cbranch_execnz .LBB100_88
; %bb.89:
	s_or_b32 exec_lo, exec_lo, s9
.LBB100_90:
	s_delay_alu instid0(SALU_CYCLE_1) | instskip(SKIP_2) | instid1(VALU_DEP_2)
	s_or_b32 exec_lo, exec_lo, s8
	v_add_nc_u32_e32 v55, v51, v53
	v_add_nc_u32_e32 v53, v54, v52
	v_sub_nc_u32_e32 v52, v55, v54
	s_delay_alu instid0(VALU_DEP_2) | instskip(NEXT) | instid1(VALU_DEP_2)
	v_cmp_le_u32_e64 s7, v53, v51
	v_cmp_le_u32_e64 s8, v52, v50
	s_delay_alu instid0(VALU_DEP_1) | instskip(NEXT) | instid1(SALU_CYCLE_1)
	s_or_b32 s7, s7, s8
	s_and_saveexec_b32 s17, s7
	s_cbranch_execz .LBB100_96
; %bb.91:
	v_cmp_lt_u32_e64 s7, v53, v51
                                        ; implicit-def: $vgpr9
	s_delay_alu instid0(VALU_DEP_1)
	s_and_saveexec_b32 s8, s7
	s_cbranch_execz .LBB100_93
; %bb.92:
	v_add_nc_u32_e32 v4, v11, v53
	ds_load_u8 v9, v4
.LBB100_93:
	s_or_b32 exec_lo, exec_lo, s8
	v_cmp_ge_u32_e64 s8, v52, v50
	s_mov_b32 s10, exec_lo
                                        ; implicit-def: $vgpr24
	v_cmpx_lt_u32_e64 v52, v50
	s_cbranch_execz .LBB100_95
; %bb.94:
	v_add_nc_u32_e32 v4, v11, v52
	ds_load_u8 v24, v4
.LBB100_95:
	s_or_b32 exec_lo, exec_lo, s10
	s_waitcnt lgkmcnt(0)
	v_and_b32_e32 v4, 0xff, v9
	v_and_b32_e32 v5, 0xff, v24
	s_delay_alu instid0(VALU_DEP_1) | instskip(NEXT) | instid1(VALU_DEP_1)
	v_cmp_le_u16_e64 s9, v5, v4
	s_and_b32 s7, s7, s9
	s_delay_alu instid0(SALU_CYCLE_1) | instskip(NEXT) | instid1(SALU_CYCLE_1)
	s_or_b32 s7, s8, s7
	v_cndmask_b32_e64 v4, v52, v53, s7
	v_cndmask_b32_e64 v5, v50, v51, s7
	;; [unrolled: 1-line block ×3, first 2 shown]
	s_delay_alu instid0(VALU_DEP_3) | instskip(NEXT) | instid1(VALU_DEP_3)
	v_add_nc_u32_e32 v12, 1, v4
	v_add_nc_u32_e32 v5, -1, v5
	v_lshl_add_u32 v4, v4, 3, v10
	s_delay_alu instid0(VALU_DEP_2) | instskip(NEXT) | instid1(VALU_DEP_1)
	v_min_u32_e32 v5, v12, v5
	v_add_nc_u32_e32 v5, v11, v5
	ds_load_u8 v5, v5
	s_waitcnt lgkmcnt(0)
	v_cndmask_b32_e64 v25, v5, v24, s7
	v_cndmask_b32_e64 v26, v9, v5, s7
	;; [unrolled: 1-line block ×4, first 2 shown]
	s_delay_alu instid0(VALU_DEP_4) | instskip(NEXT) | instid1(VALU_DEP_4)
	v_and_b32_e32 v13, 0xff, v25
	v_and_b32_e32 v14, 0xff, v26
	s_delay_alu instid0(VALU_DEP_4) | instskip(NEXT) | instid1(VALU_DEP_4)
	v_cmp_lt_u32_e64 s8, v5, v51
	v_cmp_ge_u32_e64 s10, v12, v50
	s_delay_alu instid0(VALU_DEP_3) | instskip(NEXT) | instid1(VALU_DEP_1)
	v_cmp_le_u16_e64 s9, v13, v14
	s_and_b32 s8, s8, s9
	s_delay_alu instid0(VALU_DEP_2) | instid1(SALU_CYCLE_1)
	s_or_b32 s8, s10, s8
	s_delay_alu instid0(SALU_CYCLE_1) | instskip(SKIP_1) | instid1(VALU_DEP_2)
	v_cndmask_b32_e64 v13, v12, v5, s8
	v_cndmask_b32_e64 v14, v50, v51, s8
	v_add_nc_u32_e32 v15, 1, v13
	s_delay_alu instid0(VALU_DEP_2) | instskip(SKIP_1) | instid1(VALU_DEP_3)
	v_add_nc_u32_e32 v14, -1, v14
	v_lshl_add_u32 v13, v13, 3, v10
	v_cndmask_b32_e64 v5, v5, v15, s8
	s_delay_alu instid0(VALU_DEP_3) | instskip(SKIP_1) | instid1(VALU_DEP_3)
	v_min_u32_e32 v14, v15, v14
	v_cndmask_b32_e64 v12, v15, v12, s8
	v_cmp_lt_u32_e64 s9, v5, v51
	s_delay_alu instid0(VALU_DEP_3) | instskip(NEXT) | instid1(VALU_DEP_3)
	v_add_nc_u32_e32 v14, v11, v14
	v_cmp_ge_u32_e64 s11, v12, v50
	ds_load_u8 v14, v14
	s_waitcnt lgkmcnt(0)
	v_cndmask_b32_e64 v27, v14, v25, s8
	v_cndmask_b32_e64 v36, v26, v14, s8
	s_delay_alu instid0(VALU_DEP_2) | instskip(NEXT) | instid1(VALU_DEP_2)
	v_and_b32_e32 v14, 0xff, v27
	v_and_b32_e32 v16, 0xff, v36
	s_delay_alu instid0(VALU_DEP_1) | instskip(NEXT) | instid1(VALU_DEP_1)
	v_cmp_le_u16_e64 s10, v14, v16
	s_and_b32 s9, s9, s10
	s_delay_alu instid0(SALU_CYCLE_1) | instskip(NEXT) | instid1(SALU_CYCLE_1)
	s_or_b32 s9, s11, s9
	v_cndmask_b32_e64 v16, v12, v5, s9
	v_cndmask_b32_e64 v14, v50, v51, s9
	s_delay_alu instid0(VALU_DEP_2) | instskip(NEXT) | instid1(VALU_DEP_2)
	v_add_nc_u32_e32 v15, 1, v16
	v_add_nc_u32_e32 v14, -1, v14
	s_delay_alu instid0(VALU_DEP_2) | instskip(NEXT) | instid1(VALU_DEP_2)
	v_cndmask_b32_e64 v5, v5, v15, s9
	v_min_u32_e32 v14, v15, v14
	v_cndmask_b32_e64 v12, v15, v12, s9
	s_delay_alu instid0(VALU_DEP_3) | instskip(NEXT) | instid1(VALU_DEP_3)
	v_cmp_lt_u32_e64 s10, v5, v51
	v_add_nc_u32_e32 v14, v11, v14
	s_delay_alu instid0(VALU_DEP_3)
	v_cmp_ge_u32_e64 s12, v12, v50
	ds_load_u8 v14, v14
	s_waitcnt lgkmcnt(0)
	v_cndmask_b32_e64 v37, v14, v27, s9
	v_cndmask_b32_e64 v38, v36, v14, s9
	;; [unrolled: 1-line block ×3, first 2 shown]
	s_delay_alu instid0(VALU_DEP_3) | instskip(NEXT) | instid1(VALU_DEP_3)
	v_and_b32_e32 v14, 0xff, v37
	v_and_b32_e32 v17, 0xff, v38
	s_delay_alu instid0(VALU_DEP_1) | instskip(NEXT) | instid1(VALU_DEP_1)
	v_cmp_le_u16_e64 s11, v14, v17
	s_and_b32 s10, s10, s11
	s_delay_alu instid0(SALU_CYCLE_1) | instskip(NEXT) | instid1(SALU_CYCLE_1)
	s_or_b32 s10, s12, s10
	v_cndmask_b32_e64 v17, v12, v5, s10
	v_cndmask_b32_e64 v14, v50, v51, s10
	;; [unrolled: 1-line block ×3, first 2 shown]
	s_delay_alu instid0(VALU_DEP_3) | instskip(NEXT) | instid1(VALU_DEP_3)
	v_add_nc_u32_e32 v15, 1, v17
	v_add_nc_u32_e32 v14, -1, v14
	v_lshl_add_u32 v20, v17, 3, v10
	s_delay_alu instid0(VALU_DEP_3) | instskip(NEXT) | instid1(VALU_DEP_3)
	v_cndmask_b32_e64 v5, v5, v15, s10
	v_min_u32_e32 v14, v15, v14
	v_cndmask_b32_e64 v12, v15, v12, s10
	s_delay_alu instid0(VALU_DEP_3) | instskip(NEXT) | instid1(VALU_DEP_3)
	v_cmp_lt_u32_e64 s11, v5, v51
	v_add_nc_u32_e32 v14, v11, v14
	s_delay_alu instid0(VALU_DEP_3) | instskip(SKIP_4) | instid1(VALU_DEP_2)
	v_cmp_ge_u32_e64 s13, v12, v50
	ds_load_u8 v14, v14
	s_waitcnt lgkmcnt(0)
	v_cndmask_b32_e64 v48, v14, v37, s10
	v_cndmask_b32_e64 v49, v38, v14, s10
	v_and_b32_e32 v14, 0xff, v48
	s_delay_alu instid0(VALU_DEP_2) | instskip(NEXT) | instid1(VALU_DEP_1)
	v_and_b32_e32 v18, 0xff, v49
	v_cmp_le_u16_e64 s12, v14, v18
	s_delay_alu instid0(VALU_DEP_1) | instskip(NEXT) | instid1(SALU_CYCLE_1)
	s_and_b32 s11, s11, s12
	s_or_b32 s11, s13, s11
	s_delay_alu instid0(SALU_CYCLE_1) | instskip(SKIP_1) | instid1(VALU_DEP_2)
	v_cndmask_b32_e64 v18, v12, v5, s11
	v_cndmask_b32_e64 v14, v50, v51, s11
	v_add_nc_u32_e32 v15, 1, v18
	s_delay_alu instid0(VALU_DEP_2) | instskip(SKIP_1) | instid1(VALU_DEP_3)
	v_add_nc_u32_e32 v14, -1, v14
	v_lshl_add_u32 v18, v18, 3, v10
	v_cndmask_b32_e64 v5, v5, v15, s11
	s_delay_alu instid0(VALU_DEP_3) | instskip(SKIP_1) | instid1(VALU_DEP_3)
	v_min_u32_e32 v14, v15, v14
	v_cndmask_b32_e64 v12, v15, v12, s11
	v_cmp_lt_u32_e64 s12, v5, v51
	s_delay_alu instid0(VALU_DEP_3) | instskip(NEXT) | instid1(VALU_DEP_3)
	v_add_nc_u32_e32 v14, v11, v14
	v_cmp_ge_u32_e64 s14, v12, v50
	ds_load_u8 v14, v14
	s_waitcnt lgkmcnt(0)
	v_cndmask_b32_e64 v52, v14, v48, s11
	v_cndmask_b32_e64 v53, v49, v14, s11
	;; [unrolled: 1-line block ×3, first 2 shown]
	s_delay_alu instid0(VALU_DEP_3) | instskip(NEXT) | instid1(VALU_DEP_3)
	v_and_b32_e32 v14, 0xff, v52
	v_and_b32_e32 v19, 0xff, v53
	s_delay_alu instid0(VALU_DEP_3) | instskip(NEXT) | instid1(VALU_DEP_2)
	v_and_b32_e32 v27, 0xff, v49
	v_cmp_le_u16_e64 s13, v14, v19
	s_delay_alu instid0(VALU_DEP_1) | instskip(NEXT) | instid1(SALU_CYCLE_1)
	s_and_b32 s12, s12, s13
	s_or_b32 s12, s14, s12
	s_delay_alu instid0(SALU_CYCLE_1) | instskip(SKIP_2) | instid1(VALU_DEP_3)
	v_cndmask_b32_e64 v19, v12, v5, s12
	v_cndmask_b32_e64 v14, v50, v51, s12
	;; [unrolled: 1-line block ×3, first 2 shown]
	v_add_nc_u32_e32 v15, 1, v19
	s_delay_alu instid0(VALU_DEP_3) | instskip(SKIP_1) | instid1(VALU_DEP_3)
	v_add_nc_u32_e32 v14, -1, v14
	v_lshl_add_u32 v19, v19, 3, v10
	v_cndmask_b32_e64 v64, v5, v15, s12
	s_delay_alu instid0(VALU_DEP_3) | instskip(SKIP_1) | instid1(VALU_DEP_3)
	v_min_u32_e32 v14, v15, v14
	v_cndmask_b32_e64 v65, v15, v12, s12
	v_cmp_lt_u32_e64 s13, v64, v51
	s_delay_alu instid0(VALU_DEP_3) | instskip(NEXT) | instid1(VALU_DEP_3)
	v_add_nc_u32_e32 v14, v11, v14
	v_cmp_ge_u32_e64 s15, v65, v50
	ds_load_u8 v14, v14
	s_waitcnt lgkmcnt(0)
	v_cndmask_b32_e64 v54, v14, v52, s12
	v_cndmask_b32_e64 v55, v53, v14, s12
	v_and_b32_e32 v53, 0xff, v36
	s_delay_alu instid0(VALU_DEP_3) | instskip(NEXT) | instid1(VALU_DEP_3)
	v_and_b32_e32 v5, 0xff, v54
	v_and_b32_e32 v14, 0xff, v55
	s_delay_alu instid0(VALU_DEP_1) | instskip(NEXT) | instid1(VALU_DEP_1)
	v_cmp_le_u16_e64 s14, v5, v14
	s_and_b32 s13, s13, s14
	s_delay_alu instid0(SALU_CYCLE_1) | instskip(NEXT) | instid1(SALU_CYCLE_1)
	s_or_b32 s13, s15, s13
	v_cndmask_b32_e64 v12, v65, v64, s13
	v_cndmask_b32_e64 v5, v50, v51, s13
	;; [unrolled: 1-line block ×3, first 2 shown]
	s_delay_alu instid0(VALU_DEP_3) | instskip(NEXT) | instid1(VALU_DEP_3)
	v_add_nc_u32_e32 v66, 1, v12
	v_add_nc_u32_e32 v5, -1, v5
	v_lshl_add_u32 v12, v12, 3, v10
	s_delay_alu instid0(VALU_DEP_3) | instskip(NEXT) | instid1(VALU_DEP_3)
	v_cndmask_b32_e64 v24, v64, v66, s13
	v_min_u32_e32 v5, v66, v5
	v_cndmask_b32_e64 v64, v66, v65, s13
	s_delay_alu instid0(VALU_DEP_3) | instskip(NEXT) | instid1(VALU_DEP_3)
	v_cmp_lt_u32_e64 s7, v24, v51
	v_add_nc_u32_e32 v5, v11, v5
	s_delay_alu instid0(VALU_DEP_3)
	v_cmp_ge_u32_e64 s9, v64, v50
	v_lshlrev_b16 v50, 8, v37
	v_and_b32_e32 v51, 0xff, v38
	ds_load_u8 v35, v5
	ds_load_b64 v[4:5], v4 offset:2048
	ds_load_b64 v[14:15], v13 offset:2048
	v_lshl_add_u32 v13, v16, 3, v10
	ds_load_b64 v[16:17], v13 offset:2048
	ds_load_b64 v[20:21], v20 offset:2048
	;; [unrolled: 1-line block ×5, first 2 shown]
	v_or_b32_e32 v27, v27, v50
	s_delay_alu instid0(VALU_DEP_1)
	v_and_b32_e32 v27, 0xffff, v27
	s_waitcnt lgkmcnt(7)
	v_cndmask_b32_e64 v67, v35, v54, s13
	v_cndmask_b32_e64 v68, v55, v35, s13
	;; [unrolled: 1-line block ×3, first 2 shown]
	v_and_b32_e32 v55, 0xff, v39
	s_delay_alu instid0(VALU_DEP_4) | instskip(NEXT) | instid1(VALU_DEP_4)
	v_and_b32_e32 v25, 0xff, v67
	v_and_b32_e32 v26, 0xff, v68
	s_delay_alu instid0(VALU_DEP_4) | instskip(NEXT) | instid1(VALU_DEP_2)
	v_lshlrev_b16 v54, 8, v35
	v_cmp_le_u16_e64 s8, v25, v26
	v_lshlrev_b16 v26, 8, v9
	s_delay_alu instid0(VALU_DEP_3) | instskip(NEXT) | instid1(VALU_DEP_3)
	v_or_b32_e32 v50, v55, v54
	s_and_b32 s7, s7, s8
	s_delay_alu instid0(VALU_DEP_2) | instskip(SKIP_1) | instid1(VALU_DEP_2)
	v_or_b32_e32 v26, v53, v26
	s_or_b32 s7, s9, s7
	v_and_b32_e32 v50, 0xffff, v50
	v_cndmask_b32_e64 v24, v64, v24, s7
	v_cndmask_b32_e64 v48, v67, v68, s7
	v_lshlrev_b32_e32 v26, 16, v26
	s_delay_alu instid0(VALU_DEP_3) | instskip(NEXT) | instid1(VALU_DEP_3)
	v_lshl_add_u32 v24, v24, 3, v10
	v_lshlrev_b16 v52, 8, v48
	s_delay_alu instid0(VALU_DEP_3) | instskip(SKIP_2) | instid1(VALU_DEP_1)
	v_or_b32_e32 v26, v50, v26
	ds_load_b64 v[24:25], v24 offset:2048
	v_or_b32_e32 v51, v51, v52
	v_lshlrev_b32_e32 v51, 16, v51
	s_delay_alu instid0(VALU_DEP_1)
	v_or_b32_e32 v27, v27, v51
.LBB100_96:
	s_or_b32 exec_lo, exec_lo, s17
	v_and_b32_e32 v52, 0xc0, v33
	v_and_b32_e32 v53, 56, v33
	s_mov_b32 s8, exec_lo
	; wave barrier
	s_delay_alu instid0(VALU_DEP_2) | instskip(NEXT) | instid1(VALU_DEP_2)
	v_or_b32_e32 v50, 32, v52
	v_min_u32_e32 v53, v28, v53
	ds_store_b8 v34, v39
	s_waitcnt lgkmcnt(8)
	ds_store_b64 v29, v[4:5] offset:2048
	ds_store_b8 v34, v35 offset:1
	s_waitcnt lgkmcnt(9)
	ds_store_b64 v31, v[14:15] offset:8
	ds_store_b8 v34, v36 offset:2
	;; [unrolled: 3-line block ×3, first 2 shown]
	v_min_u32_e32 v51, v28, v50
	s_waitcnt lgkmcnt(11)
	ds_store_b64 v31, v[20:21] offset:24
	ds_store_b8 v34, v49 offset:4
	s_waitcnt lgkmcnt(12)
	ds_store_b64 v31, v[22:23] offset:32
	ds_store_b8 v34, v37 offset:5
	;; [unrolled: 3-line block ×4, first 2 shown]
	s_waitcnt lgkmcnt(15)
	ds_store_b64 v31, v[24:25] offset:56
	; wave barrier
	v_add_nc_u32_e32 v50, 32, v51
	v_sub_nc_u32_e32 v55, v51, v52
	s_delay_alu instid0(VALU_DEP_2) | instskip(NEXT) | instid1(VALU_DEP_2)
	v_min_u32_e32 v50, v28, v50
	v_min_u32_e32 v55, v53, v55
	s_delay_alu instid0(VALU_DEP_2) | instskip(NEXT) | instid1(VALU_DEP_1)
	v_sub_nc_u32_e32 v54, v50, v51
	v_sub_nc_u32_e64 v54, v53, v54 clamp
	s_delay_alu instid0(VALU_DEP_1)
	v_cmpx_lt_u32_e64 v54, v55
	s_cbranch_execz .LBB100_100
; %bb.97:
	v_add_nc_u32_e32 v64, v11, v52
	v_add3_u32 v65, v11, v51, v53
	s_mov_b32 s9, 0
	.p2align	6
.LBB100_98:                             ; =>This Inner Loop Header: Depth=1
	v_add_nc_u32_e32 v66, v55, v54
	s_delay_alu instid0(VALU_DEP_1) | instskip(NEXT) | instid1(VALU_DEP_1)
	v_lshrrev_b32_e32 v66, 1, v66
	v_add_nc_u32_e32 v67, v64, v66
	v_xad_u32 v68, v66, -1, v65
	v_add_nc_u32_e32 v69, 1, v66
	ds_load_u8 v67, v67
	ds_load_u8 v68, v68
	s_waitcnt lgkmcnt(0)
	v_cmp_gt_u16_e64 s7, v68, v67
	s_delay_alu instid0(VALU_DEP_1) | instskip(SKIP_1) | instid1(VALU_DEP_1)
	v_cndmask_b32_e64 v55, v55, v66, s7
	v_cndmask_b32_e64 v54, v69, v54, s7
	v_cmp_ge_u32_e64 s7, v54, v55
	s_delay_alu instid0(VALU_DEP_1) | instskip(NEXT) | instid1(SALU_CYCLE_1)
	s_or_b32 s9, s7, s9
	s_and_not1_b32 exec_lo, exec_lo, s9
	s_cbranch_execnz .LBB100_98
; %bb.99:
	s_or_b32 exec_lo, exec_lo, s9
.LBB100_100:
	s_delay_alu instid0(SALU_CYCLE_1) | instskip(SKIP_2) | instid1(VALU_DEP_2)
	s_or_b32 exec_lo, exec_lo, s8
	v_add_nc_u32_e32 v55, v51, v53
	v_add_nc_u32_e32 v53, v54, v52
	v_sub_nc_u32_e32 v52, v55, v54
	s_delay_alu instid0(VALU_DEP_2) | instskip(NEXT) | instid1(VALU_DEP_2)
	v_cmp_le_u32_e64 s7, v53, v51
	v_cmp_le_u32_e64 s8, v52, v50
	s_delay_alu instid0(VALU_DEP_1) | instskip(NEXT) | instid1(SALU_CYCLE_1)
	s_or_b32 s7, s7, s8
	s_and_saveexec_b32 s17, s7
	s_cbranch_execz .LBB100_106
; %bb.101:
	v_cmp_lt_u32_e64 s7, v53, v51
                                        ; implicit-def: $vgpr9
	s_delay_alu instid0(VALU_DEP_1)
	s_and_saveexec_b32 s8, s7
	s_cbranch_execz .LBB100_103
; %bb.102:
	v_add_nc_u32_e32 v4, v11, v53
	ds_load_u8 v9, v4
.LBB100_103:
	s_or_b32 exec_lo, exec_lo, s8
	v_cmp_ge_u32_e64 s8, v52, v50
	s_mov_b32 s10, exec_lo
                                        ; implicit-def: $vgpr24
	v_cmpx_lt_u32_e64 v52, v50
	s_cbranch_execz .LBB100_105
; %bb.104:
	v_add_nc_u32_e32 v4, v11, v52
	ds_load_u8 v24, v4
.LBB100_105:
	s_or_b32 exec_lo, exec_lo, s10
	s_waitcnt lgkmcnt(0)
	v_and_b32_e32 v4, 0xff, v9
	v_and_b32_e32 v5, 0xff, v24
	s_delay_alu instid0(VALU_DEP_1) | instskip(NEXT) | instid1(VALU_DEP_1)
	v_cmp_le_u16_e64 s9, v5, v4
	s_and_b32 s7, s7, s9
	s_delay_alu instid0(SALU_CYCLE_1) | instskip(NEXT) | instid1(SALU_CYCLE_1)
	s_or_b32 s7, s8, s7
	v_cndmask_b32_e64 v4, v52, v53, s7
	v_cndmask_b32_e64 v5, v50, v51, s7
	;; [unrolled: 1-line block ×3, first 2 shown]
	s_delay_alu instid0(VALU_DEP_3) | instskip(NEXT) | instid1(VALU_DEP_3)
	v_add_nc_u32_e32 v12, 1, v4
	v_add_nc_u32_e32 v5, -1, v5
	v_lshl_add_u32 v4, v4, 3, v10
	s_delay_alu instid0(VALU_DEP_2) | instskip(NEXT) | instid1(VALU_DEP_1)
	v_min_u32_e32 v5, v12, v5
	v_add_nc_u32_e32 v5, v11, v5
	ds_load_u8 v5, v5
	s_waitcnt lgkmcnt(0)
	v_cndmask_b32_e64 v25, v5, v24, s7
	v_cndmask_b32_e64 v26, v9, v5, s7
	;; [unrolled: 1-line block ×4, first 2 shown]
	s_delay_alu instid0(VALU_DEP_4) | instskip(NEXT) | instid1(VALU_DEP_4)
	v_and_b32_e32 v13, 0xff, v25
	v_and_b32_e32 v14, 0xff, v26
	s_delay_alu instid0(VALU_DEP_4) | instskip(NEXT) | instid1(VALU_DEP_4)
	v_cmp_lt_u32_e64 s8, v5, v51
	v_cmp_ge_u32_e64 s10, v12, v50
	s_delay_alu instid0(VALU_DEP_3) | instskip(NEXT) | instid1(VALU_DEP_1)
	v_cmp_le_u16_e64 s9, v13, v14
	s_and_b32 s8, s8, s9
	s_delay_alu instid0(VALU_DEP_2) | instid1(SALU_CYCLE_1)
	s_or_b32 s8, s10, s8
	s_delay_alu instid0(SALU_CYCLE_1) | instskip(SKIP_1) | instid1(VALU_DEP_2)
	v_cndmask_b32_e64 v13, v12, v5, s8
	v_cndmask_b32_e64 v14, v50, v51, s8
	v_add_nc_u32_e32 v15, 1, v13
	s_delay_alu instid0(VALU_DEP_2) | instskip(SKIP_1) | instid1(VALU_DEP_3)
	v_add_nc_u32_e32 v14, -1, v14
	v_lshl_add_u32 v13, v13, 3, v10
	v_cndmask_b32_e64 v5, v5, v15, s8
	s_delay_alu instid0(VALU_DEP_3) | instskip(SKIP_1) | instid1(VALU_DEP_3)
	v_min_u32_e32 v14, v15, v14
	v_cndmask_b32_e64 v12, v15, v12, s8
	v_cmp_lt_u32_e64 s9, v5, v51
	s_delay_alu instid0(VALU_DEP_3) | instskip(NEXT) | instid1(VALU_DEP_3)
	v_add_nc_u32_e32 v14, v11, v14
	v_cmp_ge_u32_e64 s11, v12, v50
	ds_load_u8 v14, v14
	s_waitcnt lgkmcnt(0)
	v_cndmask_b32_e64 v27, v14, v25, s8
	v_cndmask_b32_e64 v36, v26, v14, s8
	s_delay_alu instid0(VALU_DEP_2) | instskip(NEXT) | instid1(VALU_DEP_2)
	v_and_b32_e32 v14, 0xff, v27
	v_and_b32_e32 v16, 0xff, v36
	s_delay_alu instid0(VALU_DEP_1) | instskip(NEXT) | instid1(VALU_DEP_1)
	v_cmp_le_u16_e64 s10, v14, v16
	s_and_b32 s9, s9, s10
	s_delay_alu instid0(SALU_CYCLE_1) | instskip(NEXT) | instid1(SALU_CYCLE_1)
	s_or_b32 s9, s11, s9
	v_cndmask_b32_e64 v16, v12, v5, s9
	v_cndmask_b32_e64 v14, v50, v51, s9
	s_delay_alu instid0(VALU_DEP_2) | instskip(NEXT) | instid1(VALU_DEP_2)
	v_add_nc_u32_e32 v15, 1, v16
	v_add_nc_u32_e32 v14, -1, v14
	s_delay_alu instid0(VALU_DEP_2) | instskip(NEXT) | instid1(VALU_DEP_2)
	v_cndmask_b32_e64 v5, v5, v15, s9
	v_min_u32_e32 v14, v15, v14
	v_cndmask_b32_e64 v12, v15, v12, s9
	s_delay_alu instid0(VALU_DEP_3) | instskip(NEXT) | instid1(VALU_DEP_3)
	v_cmp_lt_u32_e64 s10, v5, v51
	v_add_nc_u32_e32 v14, v11, v14
	s_delay_alu instid0(VALU_DEP_3)
	v_cmp_ge_u32_e64 s12, v12, v50
	ds_load_u8 v14, v14
	s_waitcnt lgkmcnt(0)
	v_cndmask_b32_e64 v37, v14, v27, s9
	v_cndmask_b32_e64 v38, v36, v14, s9
	;; [unrolled: 1-line block ×3, first 2 shown]
	s_delay_alu instid0(VALU_DEP_3) | instskip(NEXT) | instid1(VALU_DEP_3)
	v_and_b32_e32 v14, 0xff, v37
	v_and_b32_e32 v17, 0xff, v38
	s_delay_alu instid0(VALU_DEP_1) | instskip(NEXT) | instid1(VALU_DEP_1)
	v_cmp_le_u16_e64 s11, v14, v17
	s_and_b32 s10, s10, s11
	s_delay_alu instid0(SALU_CYCLE_1) | instskip(NEXT) | instid1(SALU_CYCLE_1)
	s_or_b32 s10, s12, s10
	v_cndmask_b32_e64 v17, v12, v5, s10
	v_cndmask_b32_e64 v14, v50, v51, s10
	;; [unrolled: 1-line block ×3, first 2 shown]
	s_delay_alu instid0(VALU_DEP_3) | instskip(NEXT) | instid1(VALU_DEP_3)
	v_add_nc_u32_e32 v15, 1, v17
	v_add_nc_u32_e32 v14, -1, v14
	v_lshl_add_u32 v20, v17, 3, v10
	s_delay_alu instid0(VALU_DEP_3) | instskip(NEXT) | instid1(VALU_DEP_3)
	v_cndmask_b32_e64 v5, v5, v15, s10
	v_min_u32_e32 v14, v15, v14
	v_cndmask_b32_e64 v12, v15, v12, s10
	s_delay_alu instid0(VALU_DEP_3) | instskip(NEXT) | instid1(VALU_DEP_3)
	v_cmp_lt_u32_e64 s11, v5, v51
	v_add_nc_u32_e32 v14, v11, v14
	s_delay_alu instid0(VALU_DEP_3) | instskip(SKIP_4) | instid1(VALU_DEP_2)
	v_cmp_ge_u32_e64 s13, v12, v50
	ds_load_u8 v14, v14
	s_waitcnt lgkmcnt(0)
	v_cndmask_b32_e64 v48, v14, v37, s10
	v_cndmask_b32_e64 v49, v38, v14, s10
	v_and_b32_e32 v14, 0xff, v48
	s_delay_alu instid0(VALU_DEP_2) | instskip(NEXT) | instid1(VALU_DEP_1)
	v_and_b32_e32 v18, 0xff, v49
	v_cmp_le_u16_e64 s12, v14, v18
	s_delay_alu instid0(VALU_DEP_1) | instskip(NEXT) | instid1(SALU_CYCLE_1)
	s_and_b32 s11, s11, s12
	s_or_b32 s11, s13, s11
	s_delay_alu instid0(SALU_CYCLE_1) | instskip(SKIP_1) | instid1(VALU_DEP_2)
	v_cndmask_b32_e64 v18, v12, v5, s11
	v_cndmask_b32_e64 v14, v50, v51, s11
	v_add_nc_u32_e32 v15, 1, v18
	s_delay_alu instid0(VALU_DEP_2) | instskip(SKIP_1) | instid1(VALU_DEP_3)
	v_add_nc_u32_e32 v14, -1, v14
	v_lshl_add_u32 v18, v18, 3, v10
	v_cndmask_b32_e64 v5, v5, v15, s11
	s_delay_alu instid0(VALU_DEP_3) | instskip(SKIP_1) | instid1(VALU_DEP_3)
	v_min_u32_e32 v14, v15, v14
	v_cndmask_b32_e64 v12, v15, v12, s11
	v_cmp_lt_u32_e64 s12, v5, v51
	s_delay_alu instid0(VALU_DEP_3) | instskip(NEXT) | instid1(VALU_DEP_3)
	v_add_nc_u32_e32 v14, v11, v14
	v_cmp_ge_u32_e64 s14, v12, v50
	ds_load_u8 v14, v14
	s_waitcnt lgkmcnt(0)
	v_cndmask_b32_e64 v52, v14, v48, s11
	v_cndmask_b32_e64 v53, v49, v14, s11
	;; [unrolled: 1-line block ×3, first 2 shown]
	s_delay_alu instid0(VALU_DEP_3) | instskip(NEXT) | instid1(VALU_DEP_3)
	v_and_b32_e32 v14, 0xff, v52
	v_and_b32_e32 v19, 0xff, v53
	s_delay_alu instid0(VALU_DEP_3) | instskip(NEXT) | instid1(VALU_DEP_2)
	v_and_b32_e32 v27, 0xff, v49
	v_cmp_le_u16_e64 s13, v14, v19
	s_delay_alu instid0(VALU_DEP_1) | instskip(NEXT) | instid1(SALU_CYCLE_1)
	s_and_b32 s12, s12, s13
	s_or_b32 s12, s14, s12
	s_delay_alu instid0(SALU_CYCLE_1) | instskip(SKIP_2) | instid1(VALU_DEP_3)
	v_cndmask_b32_e64 v19, v12, v5, s12
	v_cndmask_b32_e64 v14, v50, v51, s12
	;; [unrolled: 1-line block ×3, first 2 shown]
	v_add_nc_u32_e32 v15, 1, v19
	s_delay_alu instid0(VALU_DEP_3) | instskip(SKIP_1) | instid1(VALU_DEP_3)
	v_add_nc_u32_e32 v14, -1, v14
	v_lshl_add_u32 v19, v19, 3, v10
	v_cndmask_b32_e64 v64, v5, v15, s12
	s_delay_alu instid0(VALU_DEP_3) | instskip(SKIP_1) | instid1(VALU_DEP_3)
	v_min_u32_e32 v14, v15, v14
	v_cndmask_b32_e64 v65, v15, v12, s12
	v_cmp_lt_u32_e64 s13, v64, v51
	s_delay_alu instid0(VALU_DEP_3) | instskip(NEXT) | instid1(VALU_DEP_3)
	v_add_nc_u32_e32 v14, v11, v14
	v_cmp_ge_u32_e64 s15, v65, v50
	ds_load_u8 v14, v14
	s_waitcnt lgkmcnt(0)
	v_cndmask_b32_e64 v54, v14, v52, s12
	v_cndmask_b32_e64 v55, v53, v14, s12
	v_and_b32_e32 v53, 0xff, v36
	s_delay_alu instid0(VALU_DEP_3) | instskip(NEXT) | instid1(VALU_DEP_3)
	v_and_b32_e32 v5, 0xff, v54
	v_and_b32_e32 v14, 0xff, v55
	s_delay_alu instid0(VALU_DEP_1) | instskip(NEXT) | instid1(VALU_DEP_1)
	v_cmp_le_u16_e64 s14, v5, v14
	s_and_b32 s13, s13, s14
	s_delay_alu instid0(SALU_CYCLE_1) | instskip(NEXT) | instid1(SALU_CYCLE_1)
	s_or_b32 s13, s15, s13
	v_cndmask_b32_e64 v12, v65, v64, s13
	v_cndmask_b32_e64 v5, v50, v51, s13
	v_cndmask_b32_e64 v38, v54, v55, s13
	s_delay_alu instid0(VALU_DEP_3) | instskip(NEXT) | instid1(VALU_DEP_3)
	v_add_nc_u32_e32 v66, 1, v12
	v_add_nc_u32_e32 v5, -1, v5
	v_lshl_add_u32 v12, v12, 3, v10
	s_delay_alu instid0(VALU_DEP_3) | instskip(NEXT) | instid1(VALU_DEP_3)
	v_cndmask_b32_e64 v24, v64, v66, s13
	v_min_u32_e32 v5, v66, v5
	v_cndmask_b32_e64 v64, v66, v65, s13
	s_delay_alu instid0(VALU_DEP_3) | instskip(NEXT) | instid1(VALU_DEP_3)
	v_cmp_lt_u32_e64 s7, v24, v51
	v_add_nc_u32_e32 v5, v11, v5
	s_delay_alu instid0(VALU_DEP_3)
	v_cmp_ge_u32_e64 s9, v64, v50
	v_lshlrev_b16 v50, 8, v37
	v_and_b32_e32 v51, 0xff, v38
	ds_load_u8 v35, v5
	ds_load_b64 v[4:5], v4 offset:2048
	ds_load_b64 v[14:15], v13 offset:2048
	v_lshl_add_u32 v13, v16, 3, v10
	ds_load_b64 v[16:17], v13 offset:2048
	ds_load_b64 v[20:21], v20 offset:2048
	;; [unrolled: 1-line block ×5, first 2 shown]
	v_or_b32_e32 v27, v27, v50
	s_delay_alu instid0(VALU_DEP_1)
	v_and_b32_e32 v27, 0xffff, v27
	s_waitcnt lgkmcnt(7)
	v_cndmask_b32_e64 v67, v35, v54, s13
	v_cndmask_b32_e64 v68, v55, v35, s13
	;; [unrolled: 1-line block ×3, first 2 shown]
	v_and_b32_e32 v55, 0xff, v39
	s_delay_alu instid0(VALU_DEP_4) | instskip(NEXT) | instid1(VALU_DEP_4)
	v_and_b32_e32 v25, 0xff, v67
	v_and_b32_e32 v26, 0xff, v68
	s_delay_alu instid0(VALU_DEP_4) | instskip(NEXT) | instid1(VALU_DEP_2)
	v_lshlrev_b16 v54, 8, v35
	v_cmp_le_u16_e64 s8, v25, v26
	v_lshlrev_b16 v26, 8, v9
	s_delay_alu instid0(VALU_DEP_3) | instskip(NEXT) | instid1(VALU_DEP_3)
	v_or_b32_e32 v50, v55, v54
	s_and_b32 s7, s7, s8
	s_delay_alu instid0(VALU_DEP_2) | instskip(SKIP_1) | instid1(VALU_DEP_2)
	v_or_b32_e32 v26, v53, v26
	s_or_b32 s7, s9, s7
	v_and_b32_e32 v50, 0xffff, v50
	v_cndmask_b32_e64 v24, v64, v24, s7
	v_cndmask_b32_e64 v48, v67, v68, s7
	v_lshlrev_b32_e32 v26, 16, v26
	s_delay_alu instid0(VALU_DEP_3) | instskip(NEXT) | instid1(VALU_DEP_3)
	v_lshl_add_u32 v24, v24, 3, v10
	v_lshlrev_b16 v52, 8, v48
	s_delay_alu instid0(VALU_DEP_3) | instskip(SKIP_2) | instid1(VALU_DEP_1)
	v_or_b32_e32 v26, v50, v26
	ds_load_b64 v[24:25], v24 offset:2048
	v_or_b32_e32 v51, v51, v52
	v_lshlrev_b32_e32 v51, 16, v51
	s_delay_alu instid0(VALU_DEP_1)
	v_or_b32_e32 v27, v27, v51
.LBB100_106:
	s_or_b32 exec_lo, exec_lo, s17
	v_and_b32_e32 v50, 0x80, v33
	; wave barrier
	ds_store_b8 v34, v39
	s_waitcnt lgkmcnt(8)
	ds_store_b64 v29, v[4:5] offset:2048
	ds_store_b8 v34, v35 offset:1
	s_waitcnt lgkmcnt(9)
	ds_store_b64 v31, v[14:15] offset:8
	ds_store_b8 v34, v36 offset:2
	;; [unrolled: 3-line block ×3, first 2 shown]
	v_or_b32_e32 v33, 64, v50
	v_min_u32_e32 v9, v28, v30
	s_mov_b32 s8, exec_lo
	s_waitcnt lgkmcnt(11)
	ds_store_b64 v31, v[20:21] offset:24
	ds_store_b8 v34, v49 offset:4
	s_waitcnt lgkmcnt(12)
	ds_store_b64 v31, v[22:23] offset:32
	ds_store_b8 v34, v37 offset:5
	;; [unrolled: 3-line block ×4, first 2 shown]
	s_waitcnt lgkmcnt(15)
	ds_store_b64 v31, v[24:25] offset:56
	v_min_u32_e32 v33, v28, v33
	; wave barrier
	s_delay_alu instid0(VALU_DEP_1) | instskip(SKIP_1) | instid1(VALU_DEP_2)
	v_add_nc_u32_e32 v51, 64, v33
	v_sub_nc_u32_e32 v35, v33, v50
	v_min_u32_e32 v29, v28, v51
	s_delay_alu instid0(VALU_DEP_2) | instskip(NEXT) | instid1(VALU_DEP_2)
	v_min_u32_e32 v35, v9, v35
	v_sub_nc_u32_e32 v28, v29, v33
	s_delay_alu instid0(VALU_DEP_1) | instskip(NEXT) | instid1(VALU_DEP_1)
	v_sub_nc_u32_e64 v28, v9, v28 clamp
	v_cmpx_lt_u32_e64 v28, v35
	s_cbranch_execz .LBB100_110
; %bb.107:
	v_add_nc_u32_e32 v31, v11, v50
	v_add3_u32 v34, v11, v33, v9
	s_mov_b32 s9, 0
	.p2align	6
.LBB100_108:                            ; =>This Inner Loop Header: Depth=1
	v_add_nc_u32_e32 v36, v35, v28
	s_delay_alu instid0(VALU_DEP_1) | instskip(NEXT) | instid1(VALU_DEP_1)
	v_lshrrev_b32_e32 v36, 1, v36
	v_add_nc_u32_e32 v37, v31, v36
	v_xad_u32 v38, v36, -1, v34
	v_add_nc_u32_e32 v39, 1, v36
	ds_load_u8 v37, v37
	ds_load_u8 v38, v38
	s_waitcnt lgkmcnt(0)
	v_cmp_gt_u16_e64 s7, v38, v37
	s_delay_alu instid0(VALU_DEP_1) | instskip(SKIP_1) | instid1(VALU_DEP_1)
	v_cndmask_b32_e64 v35, v35, v36, s7
	v_cndmask_b32_e64 v28, v39, v28, s7
	v_cmp_ge_u32_e64 s7, v28, v35
	s_delay_alu instid0(VALU_DEP_1) | instskip(NEXT) | instid1(SALU_CYCLE_1)
	s_or_b32 s9, s7, s9
	s_and_not1_b32 exec_lo, exec_lo, s9
	s_cbranch_execnz .LBB100_108
; %bb.109:
	s_or_b32 exec_lo, exec_lo, s9
.LBB100_110:
	s_delay_alu instid0(SALU_CYCLE_1) | instskip(SKIP_2) | instid1(VALU_DEP_2)
	s_or_b32 exec_lo, exec_lo, s8
	v_add_nc_u32_e32 v9, v33, v9
	v_add_nc_u32_e32 v31, v28, v50
	v_sub_nc_u32_e32 v28, v9, v28
	s_delay_alu instid0(VALU_DEP_2) | instskip(NEXT) | instid1(VALU_DEP_2)
	v_cmp_le_u32_e64 s7, v31, v33
	v_cmp_le_u32_e64 s8, v28, v29
	s_delay_alu instid0(VALU_DEP_1) | instskip(NEXT) | instid1(SALU_CYCLE_1)
	s_or_b32 s7, s7, s8
	s_and_saveexec_b32 s17, s7
	s_cbranch_execz .LBB100_116
; %bb.111:
	v_cmp_lt_u32_e64 s7, v31, v33
                                        ; implicit-def: $vgpr9
	s_delay_alu instid0(VALU_DEP_1)
	s_and_saveexec_b32 s8, s7
	s_cbranch_execz .LBB100_113
; %bb.112:
	v_add_nc_u32_e32 v4, v11, v31
	ds_load_u8 v9, v4
.LBB100_113:
	s_or_b32 exec_lo, exec_lo, s8
	v_cmp_ge_u32_e64 s8, v28, v29
	s_mov_b32 s10, exec_lo
                                        ; implicit-def: $vgpr24
	v_cmpx_lt_u32_e64 v28, v29
	s_cbranch_execz .LBB100_115
; %bb.114:
	v_add_nc_u32_e32 v4, v11, v28
	ds_load_u8 v24, v4
.LBB100_115:
	s_or_b32 exec_lo, exec_lo, s10
	s_waitcnt lgkmcnt(0)
	v_and_b32_e32 v4, 0xff, v9
	v_and_b32_e32 v5, 0xff, v24
	s_delay_alu instid0(VALU_DEP_1) | instskip(NEXT) | instid1(VALU_DEP_1)
	v_cmp_le_u16_e64 s9, v5, v4
	s_and_b32 s7, s7, s9
	s_delay_alu instid0(SALU_CYCLE_1) | instskip(NEXT) | instid1(SALU_CYCLE_1)
	s_or_b32 s7, s8, s7
	v_cndmask_b32_e64 v4, v28, v31, s7
	v_cndmask_b32_e64 v5, v29, v33, s7
	s_delay_alu instid0(VALU_DEP_2) | instskip(NEXT) | instid1(VALU_DEP_2)
	v_add_nc_u32_e32 v12, 1, v4
	v_add_nc_u32_e32 v5, -1, v5
	v_lshl_add_u32 v4, v4, 3, v10
	s_delay_alu instid0(VALU_DEP_2) | instskip(NEXT) | instid1(VALU_DEP_1)
	v_min_u32_e32 v5, v12, v5
	v_add_nc_u32_e32 v5, v11, v5
	ds_load_u8 v5, v5
	s_waitcnt lgkmcnt(0)
	v_cndmask_b32_e64 v25, v5, v24, s7
	v_cndmask_b32_e64 v26, v9, v5, s7
	v_cndmask_b32_e64 v5, v31, v12, s7
	v_cndmask_b32_e64 v12, v12, v28, s7
	v_cndmask_b32_e64 v9, v24, v9, s7
	v_and_b32_e32 v13, 0xff, v25
	v_and_b32_e32 v14, 0xff, v26
	v_cmp_lt_u32_e64 s8, v5, v33
	v_cmp_ge_u32_e64 s10, v12, v29
	v_and_b32_e32 v9, 0xff, v9
	s_delay_alu instid0(VALU_DEP_4) | instskip(NEXT) | instid1(VALU_DEP_1)
	v_cmp_le_u16_e64 s9, v13, v14
	s_and_b32 s8, s8, s9
	s_delay_alu instid0(VALU_DEP_3) | instid1(SALU_CYCLE_1)
	s_or_b32 s8, s10, s8
	s_delay_alu instid0(SALU_CYCLE_1) | instskip(SKIP_2) | instid1(VALU_DEP_3)
	v_cndmask_b32_e64 v13, v12, v5, s8
	v_cndmask_b32_e64 v14, v29, v33, s8
	;; [unrolled: 1-line block ×3, first 2 shown]
	v_add_nc_u32_e32 v15, 1, v13
	s_delay_alu instid0(VALU_DEP_3) | instskip(SKIP_1) | instid1(VALU_DEP_3)
	v_add_nc_u32_e32 v14, -1, v14
	v_lshl_add_u32 v13, v13, 3, v10
	v_cndmask_b32_e64 v5, v5, v15, s8
	s_delay_alu instid0(VALU_DEP_3) | instskip(SKIP_1) | instid1(VALU_DEP_3)
	v_min_u32_e32 v14, v15, v14
	v_cndmask_b32_e64 v12, v15, v12, s8
	v_cmp_lt_u32_e64 s9, v5, v33
	s_delay_alu instid0(VALU_DEP_3) | instskip(NEXT) | instid1(VALU_DEP_3)
	v_add_nc_u32_e32 v14, v11, v14
	v_cmp_ge_u32_e64 s11, v12, v29
	ds_load_u8 v14, v14
	s_waitcnt lgkmcnt(0)
	v_cndmask_b32_e64 v27, v14, v25, s8
	v_cndmask_b32_e64 v28, v26, v14, s8
	s_delay_alu instid0(VALU_DEP_2) | instskip(NEXT) | instid1(VALU_DEP_2)
	v_and_b32_e32 v14, 0xff, v27
	v_and_b32_e32 v16, 0xff, v28
	s_delay_alu instid0(VALU_DEP_1) | instskip(NEXT) | instid1(VALU_DEP_1)
	v_cmp_le_u16_e64 s10, v14, v16
	s_and_b32 s9, s9, s10
	s_delay_alu instid0(SALU_CYCLE_1) | instskip(NEXT) | instid1(SALU_CYCLE_1)
	s_or_b32 s9, s11, s9
	v_cndmask_b32_e64 v16, v12, v5, s9
	v_cndmask_b32_e64 v14, v29, v33, s9
	s_delay_alu instid0(VALU_DEP_2) | instskip(NEXT) | instid1(VALU_DEP_2)
	v_add_nc_u32_e32 v15, 1, v16
	v_add_nc_u32_e32 v14, -1, v14
	s_delay_alu instid0(VALU_DEP_2) | instskip(NEXT) | instid1(VALU_DEP_2)
	v_cndmask_b32_e64 v5, v5, v15, s9
	v_min_u32_e32 v14, v15, v14
	v_cndmask_b32_e64 v12, v15, v12, s9
	s_delay_alu instid0(VALU_DEP_3) | instskip(NEXT) | instid1(VALU_DEP_3)
	v_cmp_lt_u32_e64 s10, v5, v33
	v_add_nc_u32_e32 v14, v11, v14
	s_delay_alu instid0(VALU_DEP_3)
	v_cmp_ge_u32_e64 s12, v12, v29
	ds_load_u8 v14, v14
	s_waitcnt lgkmcnt(0)
	v_cndmask_b32_e64 v31, v14, v27, s9
	v_cndmask_b32_e64 v34, v28, v14, s9
	;; [unrolled: 1-line block ×3, first 2 shown]
	s_delay_alu instid0(VALU_DEP_3) | instskip(NEXT) | instid1(VALU_DEP_3)
	v_and_b32_e32 v14, 0xff, v31
	v_and_b32_e32 v17, 0xff, v34
	s_delay_alu instid0(VALU_DEP_3) | instskip(NEXT) | instid1(VALU_DEP_2)
	v_and_b32_e32 v27, 0xff, v27
	v_cmp_le_u16_e64 s11, v14, v17
	s_delay_alu instid0(VALU_DEP_1) | instskip(NEXT) | instid1(SALU_CYCLE_1)
	s_and_b32 s10, s10, s11
	s_or_b32 s10, s12, s10
	s_delay_alu instid0(SALU_CYCLE_1) | instskip(SKIP_1) | instid1(VALU_DEP_2)
	v_cndmask_b32_e64 v17, v12, v5, s10
	v_cndmask_b32_e64 v14, v29, v33, s10
	v_add_nc_u32_e32 v15, 1, v17
	s_delay_alu instid0(VALU_DEP_2) | instskip(SKIP_1) | instid1(VALU_DEP_3)
	v_add_nc_u32_e32 v14, -1, v14
	v_lshl_add_u32 v20, v17, 3, v10
	v_cndmask_b32_e64 v5, v5, v15, s10
	s_delay_alu instid0(VALU_DEP_3) | instskip(SKIP_1) | instid1(VALU_DEP_3)
	v_min_u32_e32 v14, v15, v14
	v_cndmask_b32_e64 v12, v15, v12, s10
	v_cmp_lt_u32_e64 s11, v5, v33
	s_delay_alu instid0(VALU_DEP_3) | instskip(NEXT) | instid1(VALU_DEP_3)
	v_add_nc_u32_e32 v14, v11, v14
	v_cmp_ge_u32_e64 s13, v12, v29
	ds_load_u8 v14, v14
	s_waitcnt lgkmcnt(0)
	v_cndmask_b32_e64 v35, v14, v31, s10
	v_cndmask_b32_e64 v36, v34, v14, s10
	;; [unrolled: 1-line block ×3, first 2 shown]
	s_delay_alu instid0(VALU_DEP_3) | instskip(NEXT) | instid1(VALU_DEP_3)
	v_and_b32_e32 v14, 0xff, v35
	v_and_b32_e32 v18, 0xff, v36
	s_delay_alu instid0(VALU_DEP_1) | instskip(NEXT) | instid1(VALU_DEP_1)
	v_cmp_le_u16_e64 s12, v14, v18
	s_and_b32 s11, s11, s12
	s_delay_alu instid0(SALU_CYCLE_1) | instskip(NEXT) | instid1(SALU_CYCLE_1)
	s_or_b32 s11, s13, s11
	v_cndmask_b32_e64 v18, v12, v5, s11
	v_cndmask_b32_e64 v14, v29, v33, s11
	;; [unrolled: 1-line block ×3, first 2 shown]
	s_delay_alu instid0(VALU_DEP_3) | instskip(NEXT) | instid1(VALU_DEP_3)
	v_add_nc_u32_e32 v15, 1, v18
	v_add_nc_u32_e32 v14, -1, v14
	v_lshl_add_u32 v18, v18, 3, v10
	s_delay_alu instid0(VALU_DEP_4) | instskip(NEXT) | instid1(VALU_DEP_4)
	v_and_b32_e32 v28, 0xff, v28
	v_cndmask_b32_e64 v5, v5, v15, s11
	s_delay_alu instid0(VALU_DEP_4) | instskip(SKIP_1) | instid1(VALU_DEP_3)
	v_min_u32_e32 v14, v15, v14
	v_cndmask_b32_e64 v12, v15, v12, s11
	v_cmp_lt_u32_e64 s12, v5, v33
	s_delay_alu instid0(VALU_DEP_3) | instskip(NEXT) | instid1(VALU_DEP_3)
	v_add_nc_u32_e32 v14, v11, v14
	v_cmp_ge_u32_e64 s14, v12, v29
	ds_load_u8 v14, v14
	s_waitcnt lgkmcnt(0)
	v_cndmask_b32_e64 v37, v14, v35, s11
	v_cndmask_b32_e64 v38, v36, v14, s11
	s_delay_alu instid0(VALU_DEP_2) | instskip(NEXT) | instid1(VALU_DEP_2)
	v_and_b32_e32 v14, 0xff, v37
	v_and_b32_e32 v19, 0xff, v38
	s_delay_alu instid0(VALU_DEP_1) | instskip(NEXT) | instid1(VALU_DEP_1)
	v_cmp_le_u16_e64 s13, v14, v19
	s_and_b32 s12, s12, s13
	s_delay_alu instid0(SALU_CYCLE_1) | instskip(NEXT) | instid1(SALU_CYCLE_1)
	s_or_b32 s12, s14, s12
	v_cndmask_b32_e64 v19, v12, v5, s12
	v_cndmask_b32_e64 v14, v29, v33, s12
	s_delay_alu instid0(VALU_DEP_2) | instskip(NEXT) | instid1(VALU_DEP_2)
	v_add_nc_u32_e32 v15, 1, v19
	v_add_nc_u32_e32 v14, -1, v14
	v_lshl_add_u32 v19, v19, 3, v10
	s_delay_alu instid0(VALU_DEP_3) | instskip(NEXT) | instid1(VALU_DEP_3)
	v_cndmask_b32_e64 v49, v5, v15, s12
	v_min_u32_e32 v14, v15, v14
	v_cndmask_b32_e64 v50, v15, v12, s12
	s_delay_alu instid0(VALU_DEP_3) | instskip(NEXT) | instid1(VALU_DEP_3)
	v_cmp_lt_u32_e64 s13, v49, v33
	v_add_nc_u32_e32 v14, v11, v14
	s_delay_alu instid0(VALU_DEP_3) | instskip(SKIP_4) | instid1(VALU_DEP_2)
	v_cmp_ge_u32_e64 s15, v50, v29
	ds_load_u8 v14, v14
	s_waitcnt lgkmcnt(0)
	v_cndmask_b32_e64 v39, v14, v37, s12
	v_cndmask_b32_e64 v48, v38, v14, s12
	v_and_b32_e32 v5, 0xff, v39
	s_delay_alu instid0(VALU_DEP_2) | instskip(NEXT) | instid1(VALU_DEP_1)
	v_and_b32_e32 v14, 0xff, v48
	v_cmp_le_u16_e64 s14, v5, v14
	s_delay_alu instid0(VALU_DEP_1) | instskip(NEXT) | instid1(SALU_CYCLE_1)
	s_and_b32 s13, s13, s14
	s_or_b32 s13, s15, s13
	s_delay_alu instid0(SALU_CYCLE_1) | instskip(SKIP_1) | instid1(VALU_DEP_2)
	v_cndmask_b32_e64 v12, v50, v49, s13
	v_cndmask_b32_e64 v5, v29, v33, s13
	v_add_nc_u32_e32 v51, 1, v12
	s_delay_alu instid0(VALU_DEP_2) | instskip(SKIP_1) | instid1(VALU_DEP_3)
	v_add_nc_u32_e32 v5, -1, v5
	v_lshl_add_u32 v12, v12, 3, v10
	v_cndmask_b32_e64 v25, v49, v51, s13
	s_delay_alu instid0(VALU_DEP_3) | instskip(SKIP_1) | instid1(VALU_DEP_3)
	v_min_u32_e32 v5, v51, v5
	v_cndmask_b32_e64 v34, v51, v50, s13
	v_cmp_lt_u32_e64 s7, v25, v33
	s_delay_alu instid0(VALU_DEP_3) | instskip(NEXT) | instid1(VALU_DEP_3)
	v_add_nc_u32_e32 v5, v11, v5
	v_cmp_ge_u32_e64 s9, v34, v29
	v_cndmask_b32_e64 v29, v37, v38, s12
	v_lshlrev_b16 v33, 8, v24
	ds_load_u8 v11, v5
	ds_load_b64 v[4:5], v4 offset:2048
	ds_load_b64 v[14:15], v13 offset:2048
	v_lshl_add_u32 v13, v16, 3, v10
	ds_load_b64 v[16:17], v13 offset:2048
	ds_load_b64 v[20:21], v20 offset:2048
	;; [unrolled: 1-line block ×5, first 2 shown]
	v_lshlrev_b16 v29, 8, v29
	v_or_b32_e32 v9, v9, v33
	s_delay_alu instid0(VALU_DEP_1) | instskip(SKIP_3) | instid1(VALU_DEP_2)
	v_and_b32_e32 v9, 0xffff, v9
	s_waitcnt lgkmcnt(7)
	v_cndmask_b32_e64 v52, v11, v39, s13
	v_cndmask_b32_e64 v11, v48, v11, s13
	v_and_b32_e32 v26, 0xff, v52
	s_delay_alu instid0(VALU_DEP_2) | instskip(NEXT) | instid1(VALU_DEP_1)
	v_and_b32_e32 v49, 0xff, v11
	v_cmp_le_u16_e64 s8, v26, v49
	v_lshlrev_b16 v26, 8, v31
	v_cndmask_b32_e64 v31, v39, v48, s13
	s_delay_alu instid0(VALU_DEP_3) | instskip(NEXT) | instid1(VALU_DEP_2)
	s_and_b32 s7, s7, s8
	v_or_b32_e32 v26, v27, v26
	s_or_b32 s7, s9, s7
	s_delay_alu instid0(VALU_DEP_2) | instskip(SKIP_3) | instid1(VALU_DEP_3)
	v_and_b32_e32 v31, 0xff, v31
	v_cndmask_b32_e64 v25, v34, v25, s7
	v_cndmask_b32_e64 v11, v52, v11, s7
	v_lshlrev_b32_e32 v26, 16, v26
	v_lshl_add_u32 v10, v25, 3, v10
	s_delay_alu instid0(VALU_DEP_3) | instskip(NEXT) | instid1(VALU_DEP_3)
	v_lshlrev_b16 v11, 8, v11
	v_or_b32_e32 v26, v9, v26
	ds_load_b64 v[24:25], v10 offset:2048
	v_or_b32_e32 v10, v31, v11
	v_or_b32_e32 v11, v28, v29
	s_delay_alu instid0(VALU_DEP_2) | instskip(NEXT) | instid1(VALU_DEP_2)
	v_lshlrev_b32_e32 v10, 16, v10
	v_and_b32_e32 v11, 0xffff, v11
	s_delay_alu instid0(VALU_DEP_1)
	v_or_b32_e32 v27, v11, v10
.LBB100_116:
	s_or_b32 exec_lo, exec_lo, s17
	; wave barrier
	s_waitcnt lgkmcnt(0)
	s_waitcnt_vscnt null, 0x0
	s_barrier
.LBB100_117:
	s_or_b32 exec_lo, exec_lo, s16
	v_add_co_u32 v2, s7, v2, v8
	s_delay_alu instid0(VALU_DEP_1) | instskip(SKIP_4) | instid1(VALU_DEP_1)
	v_add_co_ci_u32_e64 v3, s7, 0, v3, s7
	s_waitcnt vmcnt(0) lgkmcnt(0)
	s_waitcnt_vscnt null, 0x0
	buffer_gl0_inv
	v_add_co_u32 v2, s7, v2, v30
	v_add_co_ci_u32_e64 v3, s7, 0, v3, s7
	; wave barrier
	s_and_saveexec_b32 s7, vcc_lo
	s_cbranch_execnz .LBB100_142
; %bb.118:
	s_or_b32 exec_lo, exec_lo, s7
	s_and_saveexec_b32 s7, s0
	s_cbranch_execnz .LBB100_143
.LBB100_119:
	s_or_b32 exec_lo, exec_lo, s7
	s_and_saveexec_b32 s7, s1
	s_cbranch_execnz .LBB100_144
.LBB100_120:
	s_or_b32 exec_lo, exec_lo, s7
	s_and_saveexec_b32 s7, s2
	s_cbranch_execnz .LBB100_145
.LBB100_121:
	s_or_b32 exec_lo, exec_lo, s7
	s_and_saveexec_b32 s7, s3
	s_cbranch_execnz .LBB100_146
.LBB100_122:
	s_or_b32 exec_lo, exec_lo, s7
	s_and_saveexec_b32 s7, s4
	s_cbranch_execnz .LBB100_147
.LBB100_123:
	s_or_b32 exec_lo, exec_lo, s7
	s_and_saveexec_b32 s7, s5
	s_cbranch_execnz .LBB100_148
.LBB100_124:
	s_or_b32 exec_lo, exec_lo, s7
	s_and_saveexec_b32 s7, s6
	s_cbranch_execz .LBB100_126
.LBB100_125:
	v_lshrrev_b32_e32 v8, 24, v27
	flat_store_b8 v[2:3], v8 offset:7
.LBB100_126:
	s_or_b32 exec_lo, exec_lo, s7
	v_add_co_u32 v0, s7, v6, v0
	s_delay_alu instid0(VALU_DEP_1) | instskip(NEXT) | instid1(VALU_DEP_2)
	v_add_co_ci_u32_e64 v1, s7, v7, v1, s7
	v_add_co_u32 v0, s7, v0, v32
	s_delay_alu instid0(VALU_DEP_1)
	v_add_co_ci_u32_e64 v1, s7, 0, v1, s7
	; wave barrier
	s_and_saveexec_b32 s7, vcc_lo
	s_cbranch_execnz .LBB100_149
; %bb.127:
	s_or_b32 exec_lo, exec_lo, s7
	s_and_saveexec_b32 s7, s0
	s_cbranch_execnz .LBB100_150
.LBB100_128:
	s_or_b32 exec_lo, exec_lo, s7
	s_and_saveexec_b32 s0, s1
	s_cbranch_execnz .LBB100_151
.LBB100_129:
	s_or_b32 exec_lo, exec_lo, s0
	s_and_saveexec_b32 s0, s2
	s_cbranch_execnz .LBB100_152
.LBB100_130:
	s_or_b32 exec_lo, exec_lo, s0
	s_and_saveexec_b32 s0, s3
	s_cbranch_execnz .LBB100_153
.LBB100_131:
	s_or_b32 exec_lo, exec_lo, s0
	s_and_saveexec_b32 s0, s4
	s_cbranch_execnz .LBB100_154
.LBB100_132:
	s_or_b32 exec_lo, exec_lo, s0
	s_and_saveexec_b32 s0, s5
	s_cbranch_execnz .LBB100_155
.LBB100_133:
	s_or_b32 exec_lo, exec_lo, s0
	s_and_saveexec_b32 s0, s6
	s_cbranch_execnz .LBB100_156
.LBB100_134:
	s_or_b32 exec_lo, exec_lo, s0
	s_waitcnt lgkmcnt(0)
	s_setpc_b64 s[30:31]
.LBB100_135:
	flat_load_b64 v[4:5], v[28:29]
	s_or_b32 exec_lo, exec_lo, s7
                                        ; implicit-def: $vgpr14_vgpr15
	s_and_saveexec_b32 s7, s0
	s_cbranch_execz .LBB100_18
.LBB100_136:
	flat_load_b64 v[14:15], v[28:29] offset:8
	s_or_b32 exec_lo, exec_lo, s7
                                        ; implicit-def: $vgpr16_vgpr17
	s_and_saveexec_b32 s7, s1
	s_cbranch_execz .LBB100_19
.LBB100_137:
	flat_load_b64 v[16:17], v[28:29] offset:16
	s_or_b32 exec_lo, exec_lo, s7
                                        ; implicit-def: $vgpr20_vgpr21
	s_and_saveexec_b32 s7, s2
	s_cbranch_execz .LBB100_20
.LBB100_138:
	flat_load_b64 v[20:21], v[28:29] offset:24
	s_or_b32 exec_lo, exec_lo, s7
                                        ; implicit-def: $vgpr22_vgpr23
	s_and_saveexec_b32 s7, s3
	s_cbranch_execz .LBB100_21
.LBB100_139:
	flat_load_b64 v[22:23], v[28:29] offset:32
	s_or_b32 exec_lo, exec_lo, s7
                                        ; implicit-def: $vgpr18_vgpr19
	s_and_saveexec_b32 s7, s4
	s_cbranch_execz .LBB100_22
.LBB100_140:
	flat_load_b64 v[18:19], v[28:29] offset:40
	s_or_b32 exec_lo, exec_lo, s7
                                        ; implicit-def: $vgpr12_vgpr13
	s_and_saveexec_b32 s7, s5
	s_cbranch_execz .LBB100_23
.LBB100_141:
	flat_load_b64 v[12:13], v[28:29] offset:48
	s_or_b32 exec_lo, exec_lo, s7
                                        ; implicit-def: $vgpr24_vgpr25
	s_and_saveexec_b32 s7, s6
	s_cbranch_execnz .LBB100_24
	s_branch .LBB100_25
.LBB100_142:
	flat_store_b8 v[2:3], v26
	s_or_b32 exec_lo, exec_lo, s7
	s_and_saveexec_b32 s7, s0
	s_cbranch_execz .LBB100_119
.LBB100_143:
	v_lshrrev_b32_e32 v8, 8, v26
	flat_store_b8 v[2:3], v8 offset:1
	s_or_b32 exec_lo, exec_lo, s7
	s_and_saveexec_b32 s7, s1
	s_cbranch_execz .LBB100_120
.LBB100_144:
	flat_store_d16_hi_b8 v[2:3], v26 offset:2
	s_or_b32 exec_lo, exec_lo, s7
	s_and_saveexec_b32 s7, s2
	s_cbranch_execz .LBB100_121
.LBB100_145:
	v_lshrrev_b32_e32 v8, 24, v26
	flat_store_b8 v[2:3], v8 offset:3
	s_or_b32 exec_lo, exec_lo, s7
	s_and_saveexec_b32 s7, s3
	s_cbranch_execz .LBB100_122
.LBB100_146:
	flat_store_b8 v[2:3], v27 offset:4
	s_or_b32 exec_lo, exec_lo, s7
	s_and_saveexec_b32 s7, s4
	s_cbranch_execz .LBB100_123
.LBB100_147:
	v_lshrrev_b32_e32 v8, 8, v27
	flat_store_b8 v[2:3], v8 offset:5
	s_or_b32 exec_lo, exec_lo, s7
	s_and_saveexec_b32 s7, s5
	s_cbranch_execz .LBB100_124
.LBB100_148:
	flat_store_d16_hi_b8 v[2:3], v27 offset:6
	s_or_b32 exec_lo, exec_lo, s7
	s_and_saveexec_b32 s7, s6
	s_cbranch_execnz .LBB100_125
	s_branch .LBB100_126
.LBB100_149:
	flat_store_b64 v[0:1], v[4:5]
	s_or_b32 exec_lo, exec_lo, s7
	s_and_saveexec_b32 s7, s0
	s_cbranch_execz .LBB100_128
.LBB100_150:
	flat_store_b64 v[0:1], v[14:15] offset:8
	s_or_b32 exec_lo, exec_lo, s7
	s_and_saveexec_b32 s0, s1
	s_cbranch_execz .LBB100_129
.LBB100_151:
	flat_store_b64 v[0:1], v[16:17] offset:16
	s_or_b32 exec_lo, exec_lo, s0
	s_and_saveexec_b32 s0, s2
	s_cbranch_execz .LBB100_130
.LBB100_152:
	flat_store_b64 v[0:1], v[20:21] offset:24
	s_or_b32 exec_lo, exec_lo, s0
	s_and_saveexec_b32 s0, s3
	s_cbranch_execz .LBB100_131
.LBB100_153:
	flat_store_b64 v[0:1], v[22:23] offset:32
	s_or_b32 exec_lo, exec_lo, s0
	s_and_saveexec_b32 s0, s4
	s_cbranch_execz .LBB100_132
.LBB100_154:
	flat_store_b64 v[0:1], v[18:19] offset:40
	s_or_b32 exec_lo, exec_lo, s0
	s_and_saveexec_b32 s0, s5
	s_cbranch_execz .LBB100_133
.LBB100_155:
	flat_store_b64 v[0:1], v[12:13] offset:48
	s_or_b32 exec_lo, exec_lo, s0
	s_and_saveexec_b32 s0, s6
	s_cbranch_execz .LBB100_134
.LBB100_156:
	flat_store_b64 v[0:1], v[24:25] offset:56
	s_or_b32 exec_lo, exec_lo, s0
	s_waitcnt lgkmcnt(0)
	s_setpc_b64 s[30:31]
.Lfunc_end100:
	.size	_ZN7rocprim17ROCPRIM_400000_NS6detail26segmented_warp_sort_helperINS1_20WarpSortHelperConfigILj16ELj8ELj256EEEhlLi256ELb1EvE4sortIPKhPhPKlPlEEvT_T0_T1_T2_jjjjRNS5_12storage_typeE, .Lfunc_end100-_ZN7rocprim17ROCPRIM_400000_NS6detail26segmented_warp_sort_helperINS1_20WarpSortHelperConfigILj16ELj8ELj256EEEhlLi256ELb1EvE4sortIPKhPhPKlPlEEvT_T0_T1_T2_jjjjRNS5_12storage_typeE
                                        ; -- End function
	.section	.AMDGPU.csdata,"",@progbits
; Function info:
; codeLenInByte = 23400
; NumSgprs: 34
; NumVgprs: 72
; ScratchSize: 0
; MemoryBound: 0
	.section	.text._ZN7rocprim17ROCPRIM_400000_NS6detail17trampoline_kernelINS0_14default_configENS1_36segmented_radix_sort_config_selectorIhlEEZNS1_25segmented_radix_sort_implIS3_Lb1EPKhPhPKlPlN2at6native12_GLOBAL__N_18offset_tEEE10hipError_tPvRmT1_PNSt15iterator_traitsISK_E10value_typeET2_T3_PNSL_ISQ_E10value_typeET4_jRbjT5_SW_jjP12ihipStream_tbEUlT_E0_NS1_11comp_targetILNS1_3genE9ELNS1_11target_archE1100ELNS1_3gpuE3ELNS1_3repE0EEENS1_60segmented_radix_sort_warp_sort_medium_config_static_selectorELNS0_4arch9wavefront6targetE0EEEvSK_,"axG",@progbits,_ZN7rocprim17ROCPRIM_400000_NS6detail17trampoline_kernelINS0_14default_configENS1_36segmented_radix_sort_config_selectorIhlEEZNS1_25segmented_radix_sort_implIS3_Lb1EPKhPhPKlPlN2at6native12_GLOBAL__N_18offset_tEEE10hipError_tPvRmT1_PNSt15iterator_traitsISK_E10value_typeET2_T3_PNSL_ISQ_E10value_typeET4_jRbjT5_SW_jjP12ihipStream_tbEUlT_E0_NS1_11comp_targetILNS1_3genE9ELNS1_11target_archE1100ELNS1_3gpuE3ELNS1_3repE0EEENS1_60segmented_radix_sort_warp_sort_medium_config_static_selectorELNS0_4arch9wavefront6targetE0EEEvSK_,comdat
	.globl	_ZN7rocprim17ROCPRIM_400000_NS6detail17trampoline_kernelINS0_14default_configENS1_36segmented_radix_sort_config_selectorIhlEEZNS1_25segmented_radix_sort_implIS3_Lb1EPKhPhPKlPlN2at6native12_GLOBAL__N_18offset_tEEE10hipError_tPvRmT1_PNSt15iterator_traitsISK_E10value_typeET2_T3_PNSL_ISQ_E10value_typeET4_jRbjT5_SW_jjP12ihipStream_tbEUlT_E0_NS1_11comp_targetILNS1_3genE9ELNS1_11target_archE1100ELNS1_3gpuE3ELNS1_3repE0EEENS1_60segmented_radix_sort_warp_sort_medium_config_static_selectorELNS0_4arch9wavefront6targetE0EEEvSK_ ; -- Begin function _ZN7rocprim17ROCPRIM_400000_NS6detail17trampoline_kernelINS0_14default_configENS1_36segmented_radix_sort_config_selectorIhlEEZNS1_25segmented_radix_sort_implIS3_Lb1EPKhPhPKlPlN2at6native12_GLOBAL__N_18offset_tEEE10hipError_tPvRmT1_PNSt15iterator_traitsISK_E10value_typeET2_T3_PNSL_ISQ_E10value_typeET4_jRbjT5_SW_jjP12ihipStream_tbEUlT_E0_NS1_11comp_targetILNS1_3genE9ELNS1_11target_archE1100ELNS1_3gpuE3ELNS1_3repE0EEENS1_60segmented_radix_sort_warp_sort_medium_config_static_selectorELNS0_4arch9wavefront6targetE0EEEvSK_
	.p2align	8
	.type	_ZN7rocprim17ROCPRIM_400000_NS6detail17trampoline_kernelINS0_14default_configENS1_36segmented_radix_sort_config_selectorIhlEEZNS1_25segmented_radix_sort_implIS3_Lb1EPKhPhPKlPlN2at6native12_GLOBAL__N_18offset_tEEE10hipError_tPvRmT1_PNSt15iterator_traitsISK_E10value_typeET2_T3_PNSL_ISQ_E10value_typeET4_jRbjT5_SW_jjP12ihipStream_tbEUlT_E0_NS1_11comp_targetILNS1_3genE9ELNS1_11target_archE1100ELNS1_3gpuE3ELNS1_3repE0EEENS1_60segmented_radix_sort_warp_sort_medium_config_static_selectorELNS0_4arch9wavefront6targetE0EEEvSK_,@function
_ZN7rocprim17ROCPRIM_400000_NS6detail17trampoline_kernelINS0_14default_configENS1_36segmented_radix_sort_config_selectorIhlEEZNS1_25segmented_radix_sort_implIS3_Lb1EPKhPhPKlPlN2at6native12_GLOBAL__N_18offset_tEEE10hipError_tPvRmT1_PNSt15iterator_traitsISK_E10value_typeET2_T3_PNSL_ISQ_E10value_typeET4_jRbjT5_SW_jjP12ihipStream_tbEUlT_E0_NS1_11comp_targetILNS1_3genE9ELNS1_11target_archE1100ELNS1_3gpuE3ELNS1_3repE0EEENS1_60segmented_radix_sort_warp_sort_medium_config_static_selectorELNS0_4arch9wavefront6targetE0EEEvSK_: ; @_ZN7rocprim17ROCPRIM_400000_NS6detail17trampoline_kernelINS0_14default_configENS1_36segmented_radix_sort_config_selectorIhlEEZNS1_25segmented_radix_sort_implIS3_Lb1EPKhPhPKlPlN2at6native12_GLOBAL__N_18offset_tEEE10hipError_tPvRmT1_PNSt15iterator_traitsISK_E10value_typeET2_T3_PNSL_ISQ_E10value_typeET4_jRbjT5_SW_jjP12ihipStream_tbEUlT_E0_NS1_11comp_targetILNS1_3genE9ELNS1_11target_archE1100ELNS1_3gpuE3ELNS1_3repE0EEENS1_60segmented_radix_sort_warp_sort_medium_config_static_selectorELNS0_4arch9wavefront6targetE0EEEvSK_
; %bb.0:
	s_load_b32 s2, s[0:1], 0x64
	v_bfe_u32 v1, v0, 10, 10
	v_bfe_u32 v2, v0, 20, 10
	s_mov_b32 s32, 0
	s_waitcnt lgkmcnt(0)
	s_lshr_b32 s3, s2, 16
	s_and_b32 s2, s2, 0xffff
	v_mad_u32_u24 v4, v2, s3, v1
	v_and_b32_e32 v1, 0x3ff, v0
	s_load_b32 s3, s[0:1], 0x34
	s_delay_alu instid0(VALU_DEP_1) | instskip(SKIP_1) | instid1(VALU_DEP_1)
	v_mad_u64_u32 v[2:3], null, v4, s2, v[1:2]
	s_mov_b32 s2, exec_lo
	v_lshrrev_b32_e32 v1, 4, v2
	s_delay_alu instid0(VALU_DEP_1) | instskip(SKIP_1) | instid1(VALU_DEP_1)
	v_lshl_add_u32 v1, s14, 4, v1
	s_waitcnt lgkmcnt(0)
	v_cmpx_gt_u32_e64 s3, v1
	s_cbranch_execz .LBB101_6
; %bb.1:
	s_clause 0x1
	s_load_b64 s[2:3], s[0:1], 0x38
	s_load_b128 s[4:7], s[0:1], 0x40
	v_mov_b32_e32 v2, 0
	s_delay_alu instid0(VALU_DEP_1) | instskip(SKIP_1) | instid1(VALU_DEP_1)
	v_lshlrev_b64 v[1:2], 2, v[1:2]
	s_waitcnt lgkmcnt(0)
	v_add_co_u32 v1, vcc_lo, s2, v1
	s_delay_alu instid0(VALU_DEP_2) | instskip(SKIP_4) | instid1(VALU_DEP_2)
	v_add_co_ci_u32_e32 v2, vcc_lo, s3, v2, vcc_lo
	global_load_b32 v1, v[1:2], off
	s_waitcnt vmcnt(0)
	v_add_nc_u32_e32 v2, s5, v1
	v_add_nc_u32_e32 v1, s7, v1
	v_mul_lo_u32 v40, v2, s4
	s_delay_alu instid0(VALU_DEP_2) | instskip(NEXT) | instid1(VALU_DEP_1)
	v_mul_lo_u32 v41, v1, s6
	v_cmp_gt_u32_e32 vcc_lo, v41, v40
	s_and_b32 exec_lo, exec_lo, vcc_lo
	s_cbranch_execz .LBB101_6
; %bb.2:
	s_clause 0x3
	s_load_b32 s2, s[0:1], 0x30
	s_load_b128 s[24:27], s[0:1], 0x20
	s_load_b256 s[36:43], s[0:1], 0x0
	s_load_b64 s[22:23], s[0:1], 0x50
	s_waitcnt lgkmcnt(0)
	s_bitcmp0_b32 s2, 0
	s_mov_b32 s2, -1
	s_cbranch_scc0 .LBB101_4
; %bb.3:
	v_mov_b32_e32 v31, v0
	v_dual_mov_b32 v42, v0 :: v_dual_mov_b32 v1, s37
	v_mov_b32_e32 v0, s36
	v_dual_mov_b32 v2, s38 :: v_dual_mov_b32 v3, s39
	v_dual_mov_b32 v4, s42 :: v_dual_mov_b32 v5, s43
	;; [unrolled: 1-line block ×5, first 2 shown]
	s_add_u32 s8, s0, 0x58
	s_addc_u32 s9, s1, 0
	s_mov_b32 s12, s14
	s_mov_b32 s13, s15
	s_getpc_b64 s[2:3]
	s_add_u32 s2, s2, _ZN7rocprim17ROCPRIM_400000_NS6detail26segmented_warp_sort_helperINS1_20WarpSortHelperConfigILj16ELj8ELj256EEEhlLi256ELb1EvE4sortIPKhPhPKlPlEEvT_T0_T1_T2_jjjjRNS5_12storage_typeE@rel32@lo+4
	s_addc_u32 s3, s3, _ZN7rocprim17ROCPRIM_400000_NS6detail26segmented_warp_sort_helperINS1_20WarpSortHelperConfigILj16ELj8ELj256EEEhlLi256ELb1EvE4sortIPKhPhPKlPlEEvT_T0_T1_T2_jjjjRNS5_12storage_typeE@rel32@hi+12
	s_mov_b64 s[24:25], s[0:1]
	s_mov_b32 s28, s15
	s_mov_b32 s29, s14
	s_swappc_b64 s[30:31], s[2:3]
	v_mov_b32_e32 v0, v42
	s_mov_b32 s14, s29
	s_mov_b32 s15, s28
	s_mov_b64 s[0:1], s[24:25]
	s_mov_b32 s2, 0
.LBB101_4:
	s_delay_alu instid0(SALU_CYCLE_1)
	s_and_not1_b32 vcc_lo, exec_lo, s2
	s_cbranch_vccnz .LBB101_6
; %bb.5:
	v_dual_mov_b32 v31, v0 :: v_dual_mov_b32 v0, s36
	v_dual_mov_b32 v1, s37 :: v_dual_mov_b32 v2, s40
	;; [unrolled: 1-line block ×6, first 2 shown]
	v_mov_b32_e32 v11, s23
	s_add_u32 s8, s0, 0x58
	s_addc_u32 s9, s1, 0
	s_mov_b32 s12, s14
	s_mov_b32 s13, s15
	s_getpc_b64 s[0:1]
	s_add_u32 s0, s0, _ZN7rocprim17ROCPRIM_400000_NS6detail26segmented_warp_sort_helperINS1_20WarpSortHelperConfigILj16ELj8ELj256EEEhlLi256ELb1EvE4sortIPKhPhPKlPlEEvT_T0_T1_T2_jjjjRNS5_12storage_typeE@rel32@lo+4
	s_addc_u32 s1, s1, _ZN7rocprim17ROCPRIM_400000_NS6detail26segmented_warp_sort_helperINS1_20WarpSortHelperConfigILj16ELj8ELj256EEEhlLi256ELb1EvE4sortIPKhPhPKlPlEEvT_T0_T1_T2_jjjjRNS5_12storage_typeE@rel32@hi+12
	s_delay_alu instid0(SALU_CYCLE_1)
	s_swappc_b64 s[30:31], s[0:1]
.LBB101_6:
	s_endpgm
	.section	.rodata,"a",@progbits
	.p2align	6, 0x0
	.amdhsa_kernel _ZN7rocprim17ROCPRIM_400000_NS6detail17trampoline_kernelINS0_14default_configENS1_36segmented_radix_sort_config_selectorIhlEEZNS1_25segmented_radix_sort_implIS3_Lb1EPKhPhPKlPlN2at6native12_GLOBAL__N_18offset_tEEE10hipError_tPvRmT1_PNSt15iterator_traitsISK_E10value_typeET2_T3_PNSL_ISQ_E10value_typeET4_jRbjT5_SW_jjP12ihipStream_tbEUlT_E0_NS1_11comp_targetILNS1_3genE9ELNS1_11target_archE1100ELNS1_3gpuE3ELNS1_3repE0EEENS1_60segmented_radix_sort_warp_sort_medium_config_static_selectorELNS0_4arch9wavefront6targetE0EEEvSK_
		.amdhsa_group_segment_fixed_size 18432
		.amdhsa_private_segment_fixed_size 0
		.amdhsa_kernarg_size 344
		.amdhsa_user_sgpr_count 14
		.amdhsa_user_sgpr_dispatch_ptr 0
		.amdhsa_user_sgpr_queue_ptr 0
		.amdhsa_user_sgpr_kernarg_segment_ptr 1
		.amdhsa_user_sgpr_dispatch_id 0
		.amdhsa_user_sgpr_private_segment_size 0
		.amdhsa_wavefront_size32 1
		.amdhsa_uses_dynamic_stack 0
		.amdhsa_enable_private_segment 0
		.amdhsa_system_sgpr_workgroup_id_x 1
		.amdhsa_system_sgpr_workgroup_id_y 1
		.amdhsa_system_sgpr_workgroup_id_z 0
		.amdhsa_system_sgpr_workgroup_info 0
		.amdhsa_system_vgpr_workitem_id 2
		.amdhsa_next_free_vgpr 72
		.amdhsa_next_free_sgpr 44
		.amdhsa_reserve_vcc 1
		.amdhsa_float_round_mode_32 0
		.amdhsa_float_round_mode_16_64 0
		.amdhsa_float_denorm_mode_32 3
		.amdhsa_float_denorm_mode_16_64 3
		.amdhsa_dx10_clamp 1
		.amdhsa_ieee_mode 1
		.amdhsa_fp16_overflow 0
		.amdhsa_workgroup_processor_mode 1
		.amdhsa_memory_ordered 1
		.amdhsa_forward_progress 0
		.amdhsa_shared_vgpr_count 0
		.amdhsa_exception_fp_ieee_invalid_op 0
		.amdhsa_exception_fp_denorm_src 0
		.amdhsa_exception_fp_ieee_div_zero 0
		.amdhsa_exception_fp_ieee_overflow 0
		.amdhsa_exception_fp_ieee_underflow 0
		.amdhsa_exception_fp_ieee_inexact 0
		.amdhsa_exception_int_div_zero 0
	.end_amdhsa_kernel
	.section	.text._ZN7rocprim17ROCPRIM_400000_NS6detail17trampoline_kernelINS0_14default_configENS1_36segmented_radix_sort_config_selectorIhlEEZNS1_25segmented_radix_sort_implIS3_Lb1EPKhPhPKlPlN2at6native12_GLOBAL__N_18offset_tEEE10hipError_tPvRmT1_PNSt15iterator_traitsISK_E10value_typeET2_T3_PNSL_ISQ_E10value_typeET4_jRbjT5_SW_jjP12ihipStream_tbEUlT_E0_NS1_11comp_targetILNS1_3genE9ELNS1_11target_archE1100ELNS1_3gpuE3ELNS1_3repE0EEENS1_60segmented_radix_sort_warp_sort_medium_config_static_selectorELNS0_4arch9wavefront6targetE0EEEvSK_,"axG",@progbits,_ZN7rocprim17ROCPRIM_400000_NS6detail17trampoline_kernelINS0_14default_configENS1_36segmented_radix_sort_config_selectorIhlEEZNS1_25segmented_radix_sort_implIS3_Lb1EPKhPhPKlPlN2at6native12_GLOBAL__N_18offset_tEEE10hipError_tPvRmT1_PNSt15iterator_traitsISK_E10value_typeET2_T3_PNSL_ISQ_E10value_typeET4_jRbjT5_SW_jjP12ihipStream_tbEUlT_E0_NS1_11comp_targetILNS1_3genE9ELNS1_11target_archE1100ELNS1_3gpuE3ELNS1_3repE0EEENS1_60segmented_radix_sort_warp_sort_medium_config_static_selectorELNS0_4arch9wavefront6targetE0EEEvSK_,comdat
.Lfunc_end101:
	.size	_ZN7rocprim17ROCPRIM_400000_NS6detail17trampoline_kernelINS0_14default_configENS1_36segmented_radix_sort_config_selectorIhlEEZNS1_25segmented_radix_sort_implIS3_Lb1EPKhPhPKlPlN2at6native12_GLOBAL__N_18offset_tEEE10hipError_tPvRmT1_PNSt15iterator_traitsISK_E10value_typeET2_T3_PNSL_ISQ_E10value_typeET4_jRbjT5_SW_jjP12ihipStream_tbEUlT_E0_NS1_11comp_targetILNS1_3genE9ELNS1_11target_archE1100ELNS1_3gpuE3ELNS1_3repE0EEENS1_60segmented_radix_sort_warp_sort_medium_config_static_selectorELNS0_4arch9wavefront6targetE0EEEvSK_, .Lfunc_end101-_ZN7rocprim17ROCPRIM_400000_NS6detail17trampoline_kernelINS0_14default_configENS1_36segmented_radix_sort_config_selectorIhlEEZNS1_25segmented_radix_sort_implIS3_Lb1EPKhPhPKlPlN2at6native12_GLOBAL__N_18offset_tEEE10hipError_tPvRmT1_PNSt15iterator_traitsISK_E10value_typeET2_T3_PNSL_ISQ_E10value_typeET4_jRbjT5_SW_jjP12ihipStream_tbEUlT_E0_NS1_11comp_targetILNS1_3genE9ELNS1_11target_archE1100ELNS1_3gpuE3ELNS1_3repE0EEENS1_60segmented_radix_sort_warp_sort_medium_config_static_selectorELNS0_4arch9wavefront6targetE0EEEvSK_
                                        ; -- End function
	.section	.AMDGPU.csdata,"",@progbits
; Kernel info:
; codeLenInByte = 524
; NumSgprs: 46
; NumVgprs: 72
; ScratchSize: 0
; MemoryBound: 0
; FloatMode: 240
; IeeeMode: 1
; LDSByteSize: 18432 bytes/workgroup (compile time only)
; SGPRBlocks: 5
; VGPRBlocks: 8
; NumSGPRsForWavesPerEU: 46
; NumVGPRsForWavesPerEU: 72
; Occupancy: 14
; WaveLimiterHint : 0
; COMPUTE_PGM_RSRC2:SCRATCH_EN: 0
; COMPUTE_PGM_RSRC2:USER_SGPR: 14
; COMPUTE_PGM_RSRC2:TRAP_HANDLER: 0
; COMPUTE_PGM_RSRC2:TGID_X_EN: 1
; COMPUTE_PGM_RSRC2:TGID_Y_EN: 1
; COMPUTE_PGM_RSRC2:TGID_Z_EN: 0
; COMPUTE_PGM_RSRC2:TIDIG_COMP_CNT: 2
	.section	.text._ZN7rocprim17ROCPRIM_400000_NS6detail17trampoline_kernelINS0_14default_configENS1_36segmented_radix_sort_config_selectorIhlEEZNS1_25segmented_radix_sort_implIS3_Lb1EPKhPhPKlPlN2at6native12_GLOBAL__N_18offset_tEEE10hipError_tPvRmT1_PNSt15iterator_traitsISK_E10value_typeET2_T3_PNSL_ISQ_E10value_typeET4_jRbjT5_SW_jjP12ihipStream_tbEUlT_E0_NS1_11comp_targetILNS1_3genE8ELNS1_11target_archE1030ELNS1_3gpuE2ELNS1_3repE0EEENS1_60segmented_radix_sort_warp_sort_medium_config_static_selectorELNS0_4arch9wavefront6targetE0EEEvSK_,"axG",@progbits,_ZN7rocprim17ROCPRIM_400000_NS6detail17trampoline_kernelINS0_14default_configENS1_36segmented_radix_sort_config_selectorIhlEEZNS1_25segmented_radix_sort_implIS3_Lb1EPKhPhPKlPlN2at6native12_GLOBAL__N_18offset_tEEE10hipError_tPvRmT1_PNSt15iterator_traitsISK_E10value_typeET2_T3_PNSL_ISQ_E10value_typeET4_jRbjT5_SW_jjP12ihipStream_tbEUlT_E0_NS1_11comp_targetILNS1_3genE8ELNS1_11target_archE1030ELNS1_3gpuE2ELNS1_3repE0EEENS1_60segmented_radix_sort_warp_sort_medium_config_static_selectorELNS0_4arch9wavefront6targetE0EEEvSK_,comdat
	.globl	_ZN7rocprim17ROCPRIM_400000_NS6detail17trampoline_kernelINS0_14default_configENS1_36segmented_radix_sort_config_selectorIhlEEZNS1_25segmented_radix_sort_implIS3_Lb1EPKhPhPKlPlN2at6native12_GLOBAL__N_18offset_tEEE10hipError_tPvRmT1_PNSt15iterator_traitsISK_E10value_typeET2_T3_PNSL_ISQ_E10value_typeET4_jRbjT5_SW_jjP12ihipStream_tbEUlT_E0_NS1_11comp_targetILNS1_3genE8ELNS1_11target_archE1030ELNS1_3gpuE2ELNS1_3repE0EEENS1_60segmented_radix_sort_warp_sort_medium_config_static_selectorELNS0_4arch9wavefront6targetE0EEEvSK_ ; -- Begin function _ZN7rocprim17ROCPRIM_400000_NS6detail17trampoline_kernelINS0_14default_configENS1_36segmented_radix_sort_config_selectorIhlEEZNS1_25segmented_radix_sort_implIS3_Lb1EPKhPhPKlPlN2at6native12_GLOBAL__N_18offset_tEEE10hipError_tPvRmT1_PNSt15iterator_traitsISK_E10value_typeET2_T3_PNSL_ISQ_E10value_typeET4_jRbjT5_SW_jjP12ihipStream_tbEUlT_E0_NS1_11comp_targetILNS1_3genE8ELNS1_11target_archE1030ELNS1_3gpuE2ELNS1_3repE0EEENS1_60segmented_radix_sort_warp_sort_medium_config_static_selectorELNS0_4arch9wavefront6targetE0EEEvSK_
	.p2align	8
	.type	_ZN7rocprim17ROCPRIM_400000_NS6detail17trampoline_kernelINS0_14default_configENS1_36segmented_radix_sort_config_selectorIhlEEZNS1_25segmented_radix_sort_implIS3_Lb1EPKhPhPKlPlN2at6native12_GLOBAL__N_18offset_tEEE10hipError_tPvRmT1_PNSt15iterator_traitsISK_E10value_typeET2_T3_PNSL_ISQ_E10value_typeET4_jRbjT5_SW_jjP12ihipStream_tbEUlT_E0_NS1_11comp_targetILNS1_3genE8ELNS1_11target_archE1030ELNS1_3gpuE2ELNS1_3repE0EEENS1_60segmented_radix_sort_warp_sort_medium_config_static_selectorELNS0_4arch9wavefront6targetE0EEEvSK_,@function
_ZN7rocprim17ROCPRIM_400000_NS6detail17trampoline_kernelINS0_14default_configENS1_36segmented_radix_sort_config_selectorIhlEEZNS1_25segmented_radix_sort_implIS3_Lb1EPKhPhPKlPlN2at6native12_GLOBAL__N_18offset_tEEE10hipError_tPvRmT1_PNSt15iterator_traitsISK_E10value_typeET2_T3_PNSL_ISQ_E10value_typeET4_jRbjT5_SW_jjP12ihipStream_tbEUlT_E0_NS1_11comp_targetILNS1_3genE8ELNS1_11target_archE1030ELNS1_3gpuE2ELNS1_3repE0EEENS1_60segmented_radix_sort_warp_sort_medium_config_static_selectorELNS0_4arch9wavefront6targetE0EEEvSK_: ; @_ZN7rocprim17ROCPRIM_400000_NS6detail17trampoline_kernelINS0_14default_configENS1_36segmented_radix_sort_config_selectorIhlEEZNS1_25segmented_radix_sort_implIS3_Lb1EPKhPhPKlPlN2at6native12_GLOBAL__N_18offset_tEEE10hipError_tPvRmT1_PNSt15iterator_traitsISK_E10value_typeET2_T3_PNSL_ISQ_E10value_typeET4_jRbjT5_SW_jjP12ihipStream_tbEUlT_E0_NS1_11comp_targetILNS1_3genE8ELNS1_11target_archE1030ELNS1_3gpuE2ELNS1_3repE0EEENS1_60segmented_radix_sort_warp_sort_medium_config_static_selectorELNS0_4arch9wavefront6targetE0EEEvSK_
; %bb.0:
	.section	.rodata,"a",@progbits
	.p2align	6, 0x0
	.amdhsa_kernel _ZN7rocprim17ROCPRIM_400000_NS6detail17trampoline_kernelINS0_14default_configENS1_36segmented_radix_sort_config_selectorIhlEEZNS1_25segmented_radix_sort_implIS3_Lb1EPKhPhPKlPlN2at6native12_GLOBAL__N_18offset_tEEE10hipError_tPvRmT1_PNSt15iterator_traitsISK_E10value_typeET2_T3_PNSL_ISQ_E10value_typeET4_jRbjT5_SW_jjP12ihipStream_tbEUlT_E0_NS1_11comp_targetILNS1_3genE8ELNS1_11target_archE1030ELNS1_3gpuE2ELNS1_3repE0EEENS1_60segmented_radix_sort_warp_sort_medium_config_static_selectorELNS0_4arch9wavefront6targetE0EEEvSK_
		.amdhsa_group_segment_fixed_size 0
		.amdhsa_private_segment_fixed_size 0
		.amdhsa_kernarg_size 88
		.amdhsa_user_sgpr_count 15
		.amdhsa_user_sgpr_dispatch_ptr 0
		.amdhsa_user_sgpr_queue_ptr 0
		.amdhsa_user_sgpr_kernarg_segment_ptr 1
		.amdhsa_user_sgpr_dispatch_id 0
		.amdhsa_user_sgpr_private_segment_size 0
		.amdhsa_wavefront_size32 1
		.amdhsa_uses_dynamic_stack 0
		.amdhsa_enable_private_segment 0
		.amdhsa_system_sgpr_workgroup_id_x 1
		.amdhsa_system_sgpr_workgroup_id_y 0
		.amdhsa_system_sgpr_workgroup_id_z 0
		.amdhsa_system_sgpr_workgroup_info 0
		.amdhsa_system_vgpr_workitem_id 0
		.amdhsa_next_free_vgpr 1
		.amdhsa_next_free_sgpr 1
		.amdhsa_reserve_vcc 0
		.amdhsa_float_round_mode_32 0
		.amdhsa_float_round_mode_16_64 0
		.amdhsa_float_denorm_mode_32 3
		.amdhsa_float_denorm_mode_16_64 3
		.amdhsa_dx10_clamp 1
		.amdhsa_ieee_mode 1
		.amdhsa_fp16_overflow 0
		.amdhsa_workgroup_processor_mode 1
		.amdhsa_memory_ordered 1
		.amdhsa_forward_progress 0
		.amdhsa_shared_vgpr_count 0
		.amdhsa_exception_fp_ieee_invalid_op 0
		.amdhsa_exception_fp_denorm_src 0
		.amdhsa_exception_fp_ieee_div_zero 0
		.amdhsa_exception_fp_ieee_overflow 0
		.amdhsa_exception_fp_ieee_underflow 0
		.amdhsa_exception_fp_ieee_inexact 0
		.amdhsa_exception_int_div_zero 0
	.end_amdhsa_kernel
	.section	.text._ZN7rocprim17ROCPRIM_400000_NS6detail17trampoline_kernelINS0_14default_configENS1_36segmented_radix_sort_config_selectorIhlEEZNS1_25segmented_radix_sort_implIS3_Lb1EPKhPhPKlPlN2at6native12_GLOBAL__N_18offset_tEEE10hipError_tPvRmT1_PNSt15iterator_traitsISK_E10value_typeET2_T3_PNSL_ISQ_E10value_typeET4_jRbjT5_SW_jjP12ihipStream_tbEUlT_E0_NS1_11comp_targetILNS1_3genE8ELNS1_11target_archE1030ELNS1_3gpuE2ELNS1_3repE0EEENS1_60segmented_radix_sort_warp_sort_medium_config_static_selectorELNS0_4arch9wavefront6targetE0EEEvSK_,"axG",@progbits,_ZN7rocprim17ROCPRIM_400000_NS6detail17trampoline_kernelINS0_14default_configENS1_36segmented_radix_sort_config_selectorIhlEEZNS1_25segmented_radix_sort_implIS3_Lb1EPKhPhPKlPlN2at6native12_GLOBAL__N_18offset_tEEE10hipError_tPvRmT1_PNSt15iterator_traitsISK_E10value_typeET2_T3_PNSL_ISQ_E10value_typeET4_jRbjT5_SW_jjP12ihipStream_tbEUlT_E0_NS1_11comp_targetILNS1_3genE8ELNS1_11target_archE1030ELNS1_3gpuE2ELNS1_3repE0EEENS1_60segmented_radix_sort_warp_sort_medium_config_static_selectorELNS0_4arch9wavefront6targetE0EEEvSK_,comdat
.Lfunc_end102:
	.size	_ZN7rocprim17ROCPRIM_400000_NS6detail17trampoline_kernelINS0_14default_configENS1_36segmented_radix_sort_config_selectorIhlEEZNS1_25segmented_radix_sort_implIS3_Lb1EPKhPhPKlPlN2at6native12_GLOBAL__N_18offset_tEEE10hipError_tPvRmT1_PNSt15iterator_traitsISK_E10value_typeET2_T3_PNSL_ISQ_E10value_typeET4_jRbjT5_SW_jjP12ihipStream_tbEUlT_E0_NS1_11comp_targetILNS1_3genE8ELNS1_11target_archE1030ELNS1_3gpuE2ELNS1_3repE0EEENS1_60segmented_radix_sort_warp_sort_medium_config_static_selectorELNS0_4arch9wavefront6targetE0EEEvSK_, .Lfunc_end102-_ZN7rocprim17ROCPRIM_400000_NS6detail17trampoline_kernelINS0_14default_configENS1_36segmented_radix_sort_config_selectorIhlEEZNS1_25segmented_radix_sort_implIS3_Lb1EPKhPhPKlPlN2at6native12_GLOBAL__N_18offset_tEEE10hipError_tPvRmT1_PNSt15iterator_traitsISK_E10value_typeET2_T3_PNSL_ISQ_E10value_typeET4_jRbjT5_SW_jjP12ihipStream_tbEUlT_E0_NS1_11comp_targetILNS1_3genE8ELNS1_11target_archE1030ELNS1_3gpuE2ELNS1_3repE0EEENS1_60segmented_radix_sort_warp_sort_medium_config_static_selectorELNS0_4arch9wavefront6targetE0EEEvSK_
                                        ; -- End function
	.section	.AMDGPU.csdata,"",@progbits
; Kernel info:
; codeLenInByte = 0
; NumSgprs: 0
; NumVgprs: 0
; ScratchSize: 0
; MemoryBound: 0
; FloatMode: 240
; IeeeMode: 1
; LDSByteSize: 0 bytes/workgroup (compile time only)
; SGPRBlocks: 0
; VGPRBlocks: 0
; NumSGPRsForWavesPerEU: 1
; NumVGPRsForWavesPerEU: 1
; Occupancy: 16
; WaveLimiterHint : 0
; COMPUTE_PGM_RSRC2:SCRATCH_EN: 0
; COMPUTE_PGM_RSRC2:USER_SGPR: 15
; COMPUTE_PGM_RSRC2:TRAP_HANDLER: 0
; COMPUTE_PGM_RSRC2:TGID_X_EN: 1
; COMPUTE_PGM_RSRC2:TGID_Y_EN: 0
; COMPUTE_PGM_RSRC2:TGID_Z_EN: 0
; COMPUTE_PGM_RSRC2:TIDIG_COMP_CNT: 0
	.section	.text._ZN7rocprim17ROCPRIM_400000_NS6detail17trampoline_kernelINS0_14default_configENS1_36segmented_radix_sort_config_selectorIhlEEZNS1_25segmented_radix_sort_implIS3_Lb1EPKhPhPKlPlN2at6native12_GLOBAL__N_18offset_tEEE10hipError_tPvRmT1_PNSt15iterator_traitsISK_E10value_typeET2_T3_PNSL_ISQ_E10value_typeET4_jRbjT5_SW_jjP12ihipStream_tbEUlT_E1_NS1_11comp_targetILNS1_3genE0ELNS1_11target_archE4294967295ELNS1_3gpuE0ELNS1_3repE0EEENS1_59segmented_radix_sort_warp_sort_small_config_static_selectorELNS0_4arch9wavefront6targetE0EEEvSK_,"axG",@progbits,_ZN7rocprim17ROCPRIM_400000_NS6detail17trampoline_kernelINS0_14default_configENS1_36segmented_radix_sort_config_selectorIhlEEZNS1_25segmented_radix_sort_implIS3_Lb1EPKhPhPKlPlN2at6native12_GLOBAL__N_18offset_tEEE10hipError_tPvRmT1_PNSt15iterator_traitsISK_E10value_typeET2_T3_PNSL_ISQ_E10value_typeET4_jRbjT5_SW_jjP12ihipStream_tbEUlT_E1_NS1_11comp_targetILNS1_3genE0ELNS1_11target_archE4294967295ELNS1_3gpuE0ELNS1_3repE0EEENS1_59segmented_radix_sort_warp_sort_small_config_static_selectorELNS0_4arch9wavefront6targetE0EEEvSK_,comdat
	.globl	_ZN7rocprim17ROCPRIM_400000_NS6detail17trampoline_kernelINS0_14default_configENS1_36segmented_radix_sort_config_selectorIhlEEZNS1_25segmented_radix_sort_implIS3_Lb1EPKhPhPKlPlN2at6native12_GLOBAL__N_18offset_tEEE10hipError_tPvRmT1_PNSt15iterator_traitsISK_E10value_typeET2_T3_PNSL_ISQ_E10value_typeET4_jRbjT5_SW_jjP12ihipStream_tbEUlT_E1_NS1_11comp_targetILNS1_3genE0ELNS1_11target_archE4294967295ELNS1_3gpuE0ELNS1_3repE0EEENS1_59segmented_radix_sort_warp_sort_small_config_static_selectorELNS0_4arch9wavefront6targetE0EEEvSK_ ; -- Begin function _ZN7rocprim17ROCPRIM_400000_NS6detail17trampoline_kernelINS0_14default_configENS1_36segmented_radix_sort_config_selectorIhlEEZNS1_25segmented_radix_sort_implIS3_Lb1EPKhPhPKlPlN2at6native12_GLOBAL__N_18offset_tEEE10hipError_tPvRmT1_PNSt15iterator_traitsISK_E10value_typeET2_T3_PNSL_ISQ_E10value_typeET4_jRbjT5_SW_jjP12ihipStream_tbEUlT_E1_NS1_11comp_targetILNS1_3genE0ELNS1_11target_archE4294967295ELNS1_3gpuE0ELNS1_3repE0EEENS1_59segmented_radix_sort_warp_sort_small_config_static_selectorELNS0_4arch9wavefront6targetE0EEEvSK_
	.p2align	8
	.type	_ZN7rocprim17ROCPRIM_400000_NS6detail17trampoline_kernelINS0_14default_configENS1_36segmented_radix_sort_config_selectorIhlEEZNS1_25segmented_radix_sort_implIS3_Lb1EPKhPhPKlPlN2at6native12_GLOBAL__N_18offset_tEEE10hipError_tPvRmT1_PNSt15iterator_traitsISK_E10value_typeET2_T3_PNSL_ISQ_E10value_typeET4_jRbjT5_SW_jjP12ihipStream_tbEUlT_E1_NS1_11comp_targetILNS1_3genE0ELNS1_11target_archE4294967295ELNS1_3gpuE0ELNS1_3repE0EEENS1_59segmented_radix_sort_warp_sort_small_config_static_selectorELNS0_4arch9wavefront6targetE0EEEvSK_,@function
_ZN7rocprim17ROCPRIM_400000_NS6detail17trampoline_kernelINS0_14default_configENS1_36segmented_radix_sort_config_selectorIhlEEZNS1_25segmented_radix_sort_implIS3_Lb1EPKhPhPKlPlN2at6native12_GLOBAL__N_18offset_tEEE10hipError_tPvRmT1_PNSt15iterator_traitsISK_E10value_typeET2_T3_PNSL_ISQ_E10value_typeET4_jRbjT5_SW_jjP12ihipStream_tbEUlT_E1_NS1_11comp_targetILNS1_3genE0ELNS1_11target_archE4294967295ELNS1_3gpuE0ELNS1_3repE0EEENS1_59segmented_radix_sort_warp_sort_small_config_static_selectorELNS0_4arch9wavefront6targetE0EEEvSK_: ; @_ZN7rocprim17ROCPRIM_400000_NS6detail17trampoline_kernelINS0_14default_configENS1_36segmented_radix_sort_config_selectorIhlEEZNS1_25segmented_radix_sort_implIS3_Lb1EPKhPhPKlPlN2at6native12_GLOBAL__N_18offset_tEEE10hipError_tPvRmT1_PNSt15iterator_traitsISK_E10value_typeET2_T3_PNSL_ISQ_E10value_typeET4_jRbjT5_SW_jjP12ihipStream_tbEUlT_E1_NS1_11comp_targetILNS1_3genE0ELNS1_11target_archE4294967295ELNS1_3gpuE0ELNS1_3repE0EEENS1_59segmented_radix_sort_warp_sort_small_config_static_selectorELNS0_4arch9wavefront6targetE0EEEvSK_
; %bb.0:
	.section	.rodata,"a",@progbits
	.p2align	6, 0x0
	.amdhsa_kernel _ZN7rocprim17ROCPRIM_400000_NS6detail17trampoline_kernelINS0_14default_configENS1_36segmented_radix_sort_config_selectorIhlEEZNS1_25segmented_radix_sort_implIS3_Lb1EPKhPhPKlPlN2at6native12_GLOBAL__N_18offset_tEEE10hipError_tPvRmT1_PNSt15iterator_traitsISK_E10value_typeET2_T3_PNSL_ISQ_E10value_typeET4_jRbjT5_SW_jjP12ihipStream_tbEUlT_E1_NS1_11comp_targetILNS1_3genE0ELNS1_11target_archE4294967295ELNS1_3gpuE0ELNS1_3repE0EEENS1_59segmented_radix_sort_warp_sort_small_config_static_selectorELNS0_4arch9wavefront6targetE0EEEvSK_
		.amdhsa_group_segment_fixed_size 0
		.amdhsa_private_segment_fixed_size 0
		.amdhsa_kernarg_size 88
		.amdhsa_user_sgpr_count 15
		.amdhsa_user_sgpr_dispatch_ptr 0
		.amdhsa_user_sgpr_queue_ptr 0
		.amdhsa_user_sgpr_kernarg_segment_ptr 1
		.amdhsa_user_sgpr_dispatch_id 0
		.amdhsa_user_sgpr_private_segment_size 0
		.amdhsa_wavefront_size32 1
		.amdhsa_uses_dynamic_stack 0
		.amdhsa_enable_private_segment 0
		.amdhsa_system_sgpr_workgroup_id_x 1
		.amdhsa_system_sgpr_workgroup_id_y 0
		.amdhsa_system_sgpr_workgroup_id_z 0
		.amdhsa_system_sgpr_workgroup_info 0
		.amdhsa_system_vgpr_workitem_id 0
		.amdhsa_next_free_vgpr 1
		.amdhsa_next_free_sgpr 1
		.amdhsa_reserve_vcc 0
		.amdhsa_float_round_mode_32 0
		.amdhsa_float_round_mode_16_64 0
		.amdhsa_float_denorm_mode_32 3
		.amdhsa_float_denorm_mode_16_64 3
		.amdhsa_dx10_clamp 1
		.amdhsa_ieee_mode 1
		.amdhsa_fp16_overflow 0
		.amdhsa_workgroup_processor_mode 1
		.amdhsa_memory_ordered 1
		.amdhsa_forward_progress 0
		.amdhsa_shared_vgpr_count 0
		.amdhsa_exception_fp_ieee_invalid_op 0
		.amdhsa_exception_fp_denorm_src 0
		.amdhsa_exception_fp_ieee_div_zero 0
		.amdhsa_exception_fp_ieee_overflow 0
		.amdhsa_exception_fp_ieee_underflow 0
		.amdhsa_exception_fp_ieee_inexact 0
		.amdhsa_exception_int_div_zero 0
	.end_amdhsa_kernel
	.section	.text._ZN7rocprim17ROCPRIM_400000_NS6detail17trampoline_kernelINS0_14default_configENS1_36segmented_radix_sort_config_selectorIhlEEZNS1_25segmented_radix_sort_implIS3_Lb1EPKhPhPKlPlN2at6native12_GLOBAL__N_18offset_tEEE10hipError_tPvRmT1_PNSt15iterator_traitsISK_E10value_typeET2_T3_PNSL_ISQ_E10value_typeET4_jRbjT5_SW_jjP12ihipStream_tbEUlT_E1_NS1_11comp_targetILNS1_3genE0ELNS1_11target_archE4294967295ELNS1_3gpuE0ELNS1_3repE0EEENS1_59segmented_radix_sort_warp_sort_small_config_static_selectorELNS0_4arch9wavefront6targetE0EEEvSK_,"axG",@progbits,_ZN7rocprim17ROCPRIM_400000_NS6detail17trampoline_kernelINS0_14default_configENS1_36segmented_radix_sort_config_selectorIhlEEZNS1_25segmented_radix_sort_implIS3_Lb1EPKhPhPKlPlN2at6native12_GLOBAL__N_18offset_tEEE10hipError_tPvRmT1_PNSt15iterator_traitsISK_E10value_typeET2_T3_PNSL_ISQ_E10value_typeET4_jRbjT5_SW_jjP12ihipStream_tbEUlT_E1_NS1_11comp_targetILNS1_3genE0ELNS1_11target_archE4294967295ELNS1_3gpuE0ELNS1_3repE0EEENS1_59segmented_radix_sort_warp_sort_small_config_static_selectorELNS0_4arch9wavefront6targetE0EEEvSK_,comdat
.Lfunc_end103:
	.size	_ZN7rocprim17ROCPRIM_400000_NS6detail17trampoline_kernelINS0_14default_configENS1_36segmented_radix_sort_config_selectorIhlEEZNS1_25segmented_radix_sort_implIS3_Lb1EPKhPhPKlPlN2at6native12_GLOBAL__N_18offset_tEEE10hipError_tPvRmT1_PNSt15iterator_traitsISK_E10value_typeET2_T3_PNSL_ISQ_E10value_typeET4_jRbjT5_SW_jjP12ihipStream_tbEUlT_E1_NS1_11comp_targetILNS1_3genE0ELNS1_11target_archE4294967295ELNS1_3gpuE0ELNS1_3repE0EEENS1_59segmented_radix_sort_warp_sort_small_config_static_selectorELNS0_4arch9wavefront6targetE0EEEvSK_, .Lfunc_end103-_ZN7rocprim17ROCPRIM_400000_NS6detail17trampoline_kernelINS0_14default_configENS1_36segmented_radix_sort_config_selectorIhlEEZNS1_25segmented_radix_sort_implIS3_Lb1EPKhPhPKlPlN2at6native12_GLOBAL__N_18offset_tEEE10hipError_tPvRmT1_PNSt15iterator_traitsISK_E10value_typeET2_T3_PNSL_ISQ_E10value_typeET4_jRbjT5_SW_jjP12ihipStream_tbEUlT_E1_NS1_11comp_targetILNS1_3genE0ELNS1_11target_archE4294967295ELNS1_3gpuE0ELNS1_3repE0EEENS1_59segmented_radix_sort_warp_sort_small_config_static_selectorELNS0_4arch9wavefront6targetE0EEEvSK_
                                        ; -- End function
	.section	.AMDGPU.csdata,"",@progbits
; Kernel info:
; codeLenInByte = 0
; NumSgprs: 0
; NumVgprs: 0
; ScratchSize: 0
; MemoryBound: 0
; FloatMode: 240
; IeeeMode: 1
; LDSByteSize: 0 bytes/workgroup (compile time only)
; SGPRBlocks: 0
; VGPRBlocks: 0
; NumSGPRsForWavesPerEU: 1
; NumVGPRsForWavesPerEU: 1
; Occupancy: 16
; WaveLimiterHint : 0
; COMPUTE_PGM_RSRC2:SCRATCH_EN: 0
; COMPUTE_PGM_RSRC2:USER_SGPR: 15
; COMPUTE_PGM_RSRC2:TRAP_HANDLER: 0
; COMPUTE_PGM_RSRC2:TGID_X_EN: 1
; COMPUTE_PGM_RSRC2:TGID_Y_EN: 0
; COMPUTE_PGM_RSRC2:TGID_Z_EN: 0
; COMPUTE_PGM_RSRC2:TIDIG_COMP_CNT: 0
	.section	.text._ZN7rocprim17ROCPRIM_400000_NS6detail17trampoline_kernelINS0_14default_configENS1_36segmented_radix_sort_config_selectorIhlEEZNS1_25segmented_radix_sort_implIS3_Lb1EPKhPhPKlPlN2at6native12_GLOBAL__N_18offset_tEEE10hipError_tPvRmT1_PNSt15iterator_traitsISK_E10value_typeET2_T3_PNSL_ISQ_E10value_typeET4_jRbjT5_SW_jjP12ihipStream_tbEUlT_E1_NS1_11comp_targetILNS1_3genE5ELNS1_11target_archE942ELNS1_3gpuE9ELNS1_3repE0EEENS1_59segmented_radix_sort_warp_sort_small_config_static_selectorELNS0_4arch9wavefront6targetE0EEEvSK_,"axG",@progbits,_ZN7rocprim17ROCPRIM_400000_NS6detail17trampoline_kernelINS0_14default_configENS1_36segmented_radix_sort_config_selectorIhlEEZNS1_25segmented_radix_sort_implIS3_Lb1EPKhPhPKlPlN2at6native12_GLOBAL__N_18offset_tEEE10hipError_tPvRmT1_PNSt15iterator_traitsISK_E10value_typeET2_T3_PNSL_ISQ_E10value_typeET4_jRbjT5_SW_jjP12ihipStream_tbEUlT_E1_NS1_11comp_targetILNS1_3genE5ELNS1_11target_archE942ELNS1_3gpuE9ELNS1_3repE0EEENS1_59segmented_radix_sort_warp_sort_small_config_static_selectorELNS0_4arch9wavefront6targetE0EEEvSK_,comdat
	.globl	_ZN7rocprim17ROCPRIM_400000_NS6detail17trampoline_kernelINS0_14default_configENS1_36segmented_radix_sort_config_selectorIhlEEZNS1_25segmented_radix_sort_implIS3_Lb1EPKhPhPKlPlN2at6native12_GLOBAL__N_18offset_tEEE10hipError_tPvRmT1_PNSt15iterator_traitsISK_E10value_typeET2_T3_PNSL_ISQ_E10value_typeET4_jRbjT5_SW_jjP12ihipStream_tbEUlT_E1_NS1_11comp_targetILNS1_3genE5ELNS1_11target_archE942ELNS1_3gpuE9ELNS1_3repE0EEENS1_59segmented_radix_sort_warp_sort_small_config_static_selectorELNS0_4arch9wavefront6targetE0EEEvSK_ ; -- Begin function _ZN7rocprim17ROCPRIM_400000_NS6detail17trampoline_kernelINS0_14default_configENS1_36segmented_radix_sort_config_selectorIhlEEZNS1_25segmented_radix_sort_implIS3_Lb1EPKhPhPKlPlN2at6native12_GLOBAL__N_18offset_tEEE10hipError_tPvRmT1_PNSt15iterator_traitsISK_E10value_typeET2_T3_PNSL_ISQ_E10value_typeET4_jRbjT5_SW_jjP12ihipStream_tbEUlT_E1_NS1_11comp_targetILNS1_3genE5ELNS1_11target_archE942ELNS1_3gpuE9ELNS1_3repE0EEENS1_59segmented_radix_sort_warp_sort_small_config_static_selectorELNS0_4arch9wavefront6targetE0EEEvSK_
	.p2align	8
	.type	_ZN7rocprim17ROCPRIM_400000_NS6detail17trampoline_kernelINS0_14default_configENS1_36segmented_radix_sort_config_selectorIhlEEZNS1_25segmented_radix_sort_implIS3_Lb1EPKhPhPKlPlN2at6native12_GLOBAL__N_18offset_tEEE10hipError_tPvRmT1_PNSt15iterator_traitsISK_E10value_typeET2_T3_PNSL_ISQ_E10value_typeET4_jRbjT5_SW_jjP12ihipStream_tbEUlT_E1_NS1_11comp_targetILNS1_3genE5ELNS1_11target_archE942ELNS1_3gpuE9ELNS1_3repE0EEENS1_59segmented_radix_sort_warp_sort_small_config_static_selectorELNS0_4arch9wavefront6targetE0EEEvSK_,@function
_ZN7rocprim17ROCPRIM_400000_NS6detail17trampoline_kernelINS0_14default_configENS1_36segmented_radix_sort_config_selectorIhlEEZNS1_25segmented_radix_sort_implIS3_Lb1EPKhPhPKlPlN2at6native12_GLOBAL__N_18offset_tEEE10hipError_tPvRmT1_PNSt15iterator_traitsISK_E10value_typeET2_T3_PNSL_ISQ_E10value_typeET4_jRbjT5_SW_jjP12ihipStream_tbEUlT_E1_NS1_11comp_targetILNS1_3genE5ELNS1_11target_archE942ELNS1_3gpuE9ELNS1_3repE0EEENS1_59segmented_radix_sort_warp_sort_small_config_static_selectorELNS0_4arch9wavefront6targetE0EEEvSK_: ; @_ZN7rocprim17ROCPRIM_400000_NS6detail17trampoline_kernelINS0_14default_configENS1_36segmented_radix_sort_config_selectorIhlEEZNS1_25segmented_radix_sort_implIS3_Lb1EPKhPhPKlPlN2at6native12_GLOBAL__N_18offset_tEEE10hipError_tPvRmT1_PNSt15iterator_traitsISK_E10value_typeET2_T3_PNSL_ISQ_E10value_typeET4_jRbjT5_SW_jjP12ihipStream_tbEUlT_E1_NS1_11comp_targetILNS1_3genE5ELNS1_11target_archE942ELNS1_3gpuE9ELNS1_3repE0EEENS1_59segmented_radix_sort_warp_sort_small_config_static_selectorELNS0_4arch9wavefront6targetE0EEEvSK_
; %bb.0:
	.section	.rodata,"a",@progbits
	.p2align	6, 0x0
	.amdhsa_kernel _ZN7rocprim17ROCPRIM_400000_NS6detail17trampoline_kernelINS0_14default_configENS1_36segmented_radix_sort_config_selectorIhlEEZNS1_25segmented_radix_sort_implIS3_Lb1EPKhPhPKlPlN2at6native12_GLOBAL__N_18offset_tEEE10hipError_tPvRmT1_PNSt15iterator_traitsISK_E10value_typeET2_T3_PNSL_ISQ_E10value_typeET4_jRbjT5_SW_jjP12ihipStream_tbEUlT_E1_NS1_11comp_targetILNS1_3genE5ELNS1_11target_archE942ELNS1_3gpuE9ELNS1_3repE0EEENS1_59segmented_radix_sort_warp_sort_small_config_static_selectorELNS0_4arch9wavefront6targetE0EEEvSK_
		.amdhsa_group_segment_fixed_size 0
		.amdhsa_private_segment_fixed_size 0
		.amdhsa_kernarg_size 88
		.amdhsa_user_sgpr_count 15
		.amdhsa_user_sgpr_dispatch_ptr 0
		.amdhsa_user_sgpr_queue_ptr 0
		.amdhsa_user_sgpr_kernarg_segment_ptr 1
		.amdhsa_user_sgpr_dispatch_id 0
		.amdhsa_user_sgpr_private_segment_size 0
		.amdhsa_wavefront_size32 1
		.amdhsa_uses_dynamic_stack 0
		.amdhsa_enable_private_segment 0
		.amdhsa_system_sgpr_workgroup_id_x 1
		.amdhsa_system_sgpr_workgroup_id_y 0
		.amdhsa_system_sgpr_workgroup_id_z 0
		.amdhsa_system_sgpr_workgroup_info 0
		.amdhsa_system_vgpr_workitem_id 0
		.amdhsa_next_free_vgpr 1
		.amdhsa_next_free_sgpr 1
		.amdhsa_reserve_vcc 0
		.amdhsa_float_round_mode_32 0
		.amdhsa_float_round_mode_16_64 0
		.amdhsa_float_denorm_mode_32 3
		.amdhsa_float_denorm_mode_16_64 3
		.amdhsa_dx10_clamp 1
		.amdhsa_ieee_mode 1
		.amdhsa_fp16_overflow 0
		.amdhsa_workgroup_processor_mode 1
		.amdhsa_memory_ordered 1
		.amdhsa_forward_progress 0
		.amdhsa_shared_vgpr_count 0
		.amdhsa_exception_fp_ieee_invalid_op 0
		.amdhsa_exception_fp_denorm_src 0
		.amdhsa_exception_fp_ieee_div_zero 0
		.amdhsa_exception_fp_ieee_overflow 0
		.amdhsa_exception_fp_ieee_underflow 0
		.amdhsa_exception_fp_ieee_inexact 0
		.amdhsa_exception_int_div_zero 0
	.end_amdhsa_kernel
	.section	.text._ZN7rocprim17ROCPRIM_400000_NS6detail17trampoline_kernelINS0_14default_configENS1_36segmented_radix_sort_config_selectorIhlEEZNS1_25segmented_radix_sort_implIS3_Lb1EPKhPhPKlPlN2at6native12_GLOBAL__N_18offset_tEEE10hipError_tPvRmT1_PNSt15iterator_traitsISK_E10value_typeET2_T3_PNSL_ISQ_E10value_typeET4_jRbjT5_SW_jjP12ihipStream_tbEUlT_E1_NS1_11comp_targetILNS1_3genE5ELNS1_11target_archE942ELNS1_3gpuE9ELNS1_3repE0EEENS1_59segmented_radix_sort_warp_sort_small_config_static_selectorELNS0_4arch9wavefront6targetE0EEEvSK_,"axG",@progbits,_ZN7rocprim17ROCPRIM_400000_NS6detail17trampoline_kernelINS0_14default_configENS1_36segmented_radix_sort_config_selectorIhlEEZNS1_25segmented_radix_sort_implIS3_Lb1EPKhPhPKlPlN2at6native12_GLOBAL__N_18offset_tEEE10hipError_tPvRmT1_PNSt15iterator_traitsISK_E10value_typeET2_T3_PNSL_ISQ_E10value_typeET4_jRbjT5_SW_jjP12ihipStream_tbEUlT_E1_NS1_11comp_targetILNS1_3genE5ELNS1_11target_archE942ELNS1_3gpuE9ELNS1_3repE0EEENS1_59segmented_radix_sort_warp_sort_small_config_static_selectorELNS0_4arch9wavefront6targetE0EEEvSK_,comdat
.Lfunc_end104:
	.size	_ZN7rocprim17ROCPRIM_400000_NS6detail17trampoline_kernelINS0_14default_configENS1_36segmented_radix_sort_config_selectorIhlEEZNS1_25segmented_radix_sort_implIS3_Lb1EPKhPhPKlPlN2at6native12_GLOBAL__N_18offset_tEEE10hipError_tPvRmT1_PNSt15iterator_traitsISK_E10value_typeET2_T3_PNSL_ISQ_E10value_typeET4_jRbjT5_SW_jjP12ihipStream_tbEUlT_E1_NS1_11comp_targetILNS1_3genE5ELNS1_11target_archE942ELNS1_3gpuE9ELNS1_3repE0EEENS1_59segmented_radix_sort_warp_sort_small_config_static_selectorELNS0_4arch9wavefront6targetE0EEEvSK_, .Lfunc_end104-_ZN7rocprim17ROCPRIM_400000_NS6detail17trampoline_kernelINS0_14default_configENS1_36segmented_radix_sort_config_selectorIhlEEZNS1_25segmented_radix_sort_implIS3_Lb1EPKhPhPKlPlN2at6native12_GLOBAL__N_18offset_tEEE10hipError_tPvRmT1_PNSt15iterator_traitsISK_E10value_typeET2_T3_PNSL_ISQ_E10value_typeET4_jRbjT5_SW_jjP12ihipStream_tbEUlT_E1_NS1_11comp_targetILNS1_3genE5ELNS1_11target_archE942ELNS1_3gpuE9ELNS1_3repE0EEENS1_59segmented_radix_sort_warp_sort_small_config_static_selectorELNS0_4arch9wavefront6targetE0EEEvSK_
                                        ; -- End function
	.section	.AMDGPU.csdata,"",@progbits
; Kernel info:
; codeLenInByte = 0
; NumSgprs: 0
; NumVgprs: 0
; ScratchSize: 0
; MemoryBound: 0
; FloatMode: 240
; IeeeMode: 1
; LDSByteSize: 0 bytes/workgroup (compile time only)
; SGPRBlocks: 0
; VGPRBlocks: 0
; NumSGPRsForWavesPerEU: 1
; NumVGPRsForWavesPerEU: 1
; Occupancy: 16
; WaveLimiterHint : 0
; COMPUTE_PGM_RSRC2:SCRATCH_EN: 0
; COMPUTE_PGM_RSRC2:USER_SGPR: 15
; COMPUTE_PGM_RSRC2:TRAP_HANDLER: 0
; COMPUTE_PGM_RSRC2:TGID_X_EN: 1
; COMPUTE_PGM_RSRC2:TGID_Y_EN: 0
; COMPUTE_PGM_RSRC2:TGID_Z_EN: 0
; COMPUTE_PGM_RSRC2:TIDIG_COMP_CNT: 0
	.section	.text._ZN7rocprim17ROCPRIM_400000_NS6detail17trampoline_kernelINS0_14default_configENS1_36segmented_radix_sort_config_selectorIhlEEZNS1_25segmented_radix_sort_implIS3_Lb1EPKhPhPKlPlN2at6native12_GLOBAL__N_18offset_tEEE10hipError_tPvRmT1_PNSt15iterator_traitsISK_E10value_typeET2_T3_PNSL_ISQ_E10value_typeET4_jRbjT5_SW_jjP12ihipStream_tbEUlT_E1_NS1_11comp_targetILNS1_3genE4ELNS1_11target_archE910ELNS1_3gpuE8ELNS1_3repE0EEENS1_59segmented_radix_sort_warp_sort_small_config_static_selectorELNS0_4arch9wavefront6targetE0EEEvSK_,"axG",@progbits,_ZN7rocprim17ROCPRIM_400000_NS6detail17trampoline_kernelINS0_14default_configENS1_36segmented_radix_sort_config_selectorIhlEEZNS1_25segmented_radix_sort_implIS3_Lb1EPKhPhPKlPlN2at6native12_GLOBAL__N_18offset_tEEE10hipError_tPvRmT1_PNSt15iterator_traitsISK_E10value_typeET2_T3_PNSL_ISQ_E10value_typeET4_jRbjT5_SW_jjP12ihipStream_tbEUlT_E1_NS1_11comp_targetILNS1_3genE4ELNS1_11target_archE910ELNS1_3gpuE8ELNS1_3repE0EEENS1_59segmented_radix_sort_warp_sort_small_config_static_selectorELNS0_4arch9wavefront6targetE0EEEvSK_,comdat
	.globl	_ZN7rocprim17ROCPRIM_400000_NS6detail17trampoline_kernelINS0_14default_configENS1_36segmented_radix_sort_config_selectorIhlEEZNS1_25segmented_radix_sort_implIS3_Lb1EPKhPhPKlPlN2at6native12_GLOBAL__N_18offset_tEEE10hipError_tPvRmT1_PNSt15iterator_traitsISK_E10value_typeET2_T3_PNSL_ISQ_E10value_typeET4_jRbjT5_SW_jjP12ihipStream_tbEUlT_E1_NS1_11comp_targetILNS1_3genE4ELNS1_11target_archE910ELNS1_3gpuE8ELNS1_3repE0EEENS1_59segmented_radix_sort_warp_sort_small_config_static_selectorELNS0_4arch9wavefront6targetE0EEEvSK_ ; -- Begin function _ZN7rocprim17ROCPRIM_400000_NS6detail17trampoline_kernelINS0_14default_configENS1_36segmented_radix_sort_config_selectorIhlEEZNS1_25segmented_radix_sort_implIS3_Lb1EPKhPhPKlPlN2at6native12_GLOBAL__N_18offset_tEEE10hipError_tPvRmT1_PNSt15iterator_traitsISK_E10value_typeET2_T3_PNSL_ISQ_E10value_typeET4_jRbjT5_SW_jjP12ihipStream_tbEUlT_E1_NS1_11comp_targetILNS1_3genE4ELNS1_11target_archE910ELNS1_3gpuE8ELNS1_3repE0EEENS1_59segmented_radix_sort_warp_sort_small_config_static_selectorELNS0_4arch9wavefront6targetE0EEEvSK_
	.p2align	8
	.type	_ZN7rocprim17ROCPRIM_400000_NS6detail17trampoline_kernelINS0_14default_configENS1_36segmented_radix_sort_config_selectorIhlEEZNS1_25segmented_radix_sort_implIS3_Lb1EPKhPhPKlPlN2at6native12_GLOBAL__N_18offset_tEEE10hipError_tPvRmT1_PNSt15iterator_traitsISK_E10value_typeET2_T3_PNSL_ISQ_E10value_typeET4_jRbjT5_SW_jjP12ihipStream_tbEUlT_E1_NS1_11comp_targetILNS1_3genE4ELNS1_11target_archE910ELNS1_3gpuE8ELNS1_3repE0EEENS1_59segmented_radix_sort_warp_sort_small_config_static_selectorELNS0_4arch9wavefront6targetE0EEEvSK_,@function
_ZN7rocprim17ROCPRIM_400000_NS6detail17trampoline_kernelINS0_14default_configENS1_36segmented_radix_sort_config_selectorIhlEEZNS1_25segmented_radix_sort_implIS3_Lb1EPKhPhPKlPlN2at6native12_GLOBAL__N_18offset_tEEE10hipError_tPvRmT1_PNSt15iterator_traitsISK_E10value_typeET2_T3_PNSL_ISQ_E10value_typeET4_jRbjT5_SW_jjP12ihipStream_tbEUlT_E1_NS1_11comp_targetILNS1_3genE4ELNS1_11target_archE910ELNS1_3gpuE8ELNS1_3repE0EEENS1_59segmented_radix_sort_warp_sort_small_config_static_selectorELNS0_4arch9wavefront6targetE0EEEvSK_: ; @_ZN7rocprim17ROCPRIM_400000_NS6detail17trampoline_kernelINS0_14default_configENS1_36segmented_radix_sort_config_selectorIhlEEZNS1_25segmented_radix_sort_implIS3_Lb1EPKhPhPKlPlN2at6native12_GLOBAL__N_18offset_tEEE10hipError_tPvRmT1_PNSt15iterator_traitsISK_E10value_typeET2_T3_PNSL_ISQ_E10value_typeET4_jRbjT5_SW_jjP12ihipStream_tbEUlT_E1_NS1_11comp_targetILNS1_3genE4ELNS1_11target_archE910ELNS1_3gpuE8ELNS1_3repE0EEENS1_59segmented_radix_sort_warp_sort_small_config_static_selectorELNS0_4arch9wavefront6targetE0EEEvSK_
; %bb.0:
	.section	.rodata,"a",@progbits
	.p2align	6, 0x0
	.amdhsa_kernel _ZN7rocprim17ROCPRIM_400000_NS6detail17trampoline_kernelINS0_14default_configENS1_36segmented_radix_sort_config_selectorIhlEEZNS1_25segmented_radix_sort_implIS3_Lb1EPKhPhPKlPlN2at6native12_GLOBAL__N_18offset_tEEE10hipError_tPvRmT1_PNSt15iterator_traitsISK_E10value_typeET2_T3_PNSL_ISQ_E10value_typeET4_jRbjT5_SW_jjP12ihipStream_tbEUlT_E1_NS1_11comp_targetILNS1_3genE4ELNS1_11target_archE910ELNS1_3gpuE8ELNS1_3repE0EEENS1_59segmented_radix_sort_warp_sort_small_config_static_selectorELNS0_4arch9wavefront6targetE0EEEvSK_
		.amdhsa_group_segment_fixed_size 0
		.amdhsa_private_segment_fixed_size 0
		.amdhsa_kernarg_size 88
		.amdhsa_user_sgpr_count 15
		.amdhsa_user_sgpr_dispatch_ptr 0
		.amdhsa_user_sgpr_queue_ptr 0
		.amdhsa_user_sgpr_kernarg_segment_ptr 1
		.amdhsa_user_sgpr_dispatch_id 0
		.amdhsa_user_sgpr_private_segment_size 0
		.amdhsa_wavefront_size32 1
		.amdhsa_uses_dynamic_stack 0
		.amdhsa_enable_private_segment 0
		.amdhsa_system_sgpr_workgroup_id_x 1
		.amdhsa_system_sgpr_workgroup_id_y 0
		.amdhsa_system_sgpr_workgroup_id_z 0
		.amdhsa_system_sgpr_workgroup_info 0
		.amdhsa_system_vgpr_workitem_id 0
		.amdhsa_next_free_vgpr 1
		.amdhsa_next_free_sgpr 1
		.amdhsa_reserve_vcc 0
		.amdhsa_float_round_mode_32 0
		.amdhsa_float_round_mode_16_64 0
		.amdhsa_float_denorm_mode_32 3
		.amdhsa_float_denorm_mode_16_64 3
		.amdhsa_dx10_clamp 1
		.amdhsa_ieee_mode 1
		.amdhsa_fp16_overflow 0
		.amdhsa_workgroup_processor_mode 1
		.amdhsa_memory_ordered 1
		.amdhsa_forward_progress 0
		.amdhsa_shared_vgpr_count 0
		.amdhsa_exception_fp_ieee_invalid_op 0
		.amdhsa_exception_fp_denorm_src 0
		.amdhsa_exception_fp_ieee_div_zero 0
		.amdhsa_exception_fp_ieee_overflow 0
		.amdhsa_exception_fp_ieee_underflow 0
		.amdhsa_exception_fp_ieee_inexact 0
		.amdhsa_exception_int_div_zero 0
	.end_amdhsa_kernel
	.section	.text._ZN7rocprim17ROCPRIM_400000_NS6detail17trampoline_kernelINS0_14default_configENS1_36segmented_radix_sort_config_selectorIhlEEZNS1_25segmented_radix_sort_implIS3_Lb1EPKhPhPKlPlN2at6native12_GLOBAL__N_18offset_tEEE10hipError_tPvRmT1_PNSt15iterator_traitsISK_E10value_typeET2_T3_PNSL_ISQ_E10value_typeET4_jRbjT5_SW_jjP12ihipStream_tbEUlT_E1_NS1_11comp_targetILNS1_3genE4ELNS1_11target_archE910ELNS1_3gpuE8ELNS1_3repE0EEENS1_59segmented_radix_sort_warp_sort_small_config_static_selectorELNS0_4arch9wavefront6targetE0EEEvSK_,"axG",@progbits,_ZN7rocprim17ROCPRIM_400000_NS6detail17trampoline_kernelINS0_14default_configENS1_36segmented_radix_sort_config_selectorIhlEEZNS1_25segmented_radix_sort_implIS3_Lb1EPKhPhPKlPlN2at6native12_GLOBAL__N_18offset_tEEE10hipError_tPvRmT1_PNSt15iterator_traitsISK_E10value_typeET2_T3_PNSL_ISQ_E10value_typeET4_jRbjT5_SW_jjP12ihipStream_tbEUlT_E1_NS1_11comp_targetILNS1_3genE4ELNS1_11target_archE910ELNS1_3gpuE8ELNS1_3repE0EEENS1_59segmented_radix_sort_warp_sort_small_config_static_selectorELNS0_4arch9wavefront6targetE0EEEvSK_,comdat
.Lfunc_end105:
	.size	_ZN7rocprim17ROCPRIM_400000_NS6detail17trampoline_kernelINS0_14default_configENS1_36segmented_radix_sort_config_selectorIhlEEZNS1_25segmented_radix_sort_implIS3_Lb1EPKhPhPKlPlN2at6native12_GLOBAL__N_18offset_tEEE10hipError_tPvRmT1_PNSt15iterator_traitsISK_E10value_typeET2_T3_PNSL_ISQ_E10value_typeET4_jRbjT5_SW_jjP12ihipStream_tbEUlT_E1_NS1_11comp_targetILNS1_3genE4ELNS1_11target_archE910ELNS1_3gpuE8ELNS1_3repE0EEENS1_59segmented_radix_sort_warp_sort_small_config_static_selectorELNS0_4arch9wavefront6targetE0EEEvSK_, .Lfunc_end105-_ZN7rocprim17ROCPRIM_400000_NS6detail17trampoline_kernelINS0_14default_configENS1_36segmented_radix_sort_config_selectorIhlEEZNS1_25segmented_radix_sort_implIS3_Lb1EPKhPhPKlPlN2at6native12_GLOBAL__N_18offset_tEEE10hipError_tPvRmT1_PNSt15iterator_traitsISK_E10value_typeET2_T3_PNSL_ISQ_E10value_typeET4_jRbjT5_SW_jjP12ihipStream_tbEUlT_E1_NS1_11comp_targetILNS1_3genE4ELNS1_11target_archE910ELNS1_3gpuE8ELNS1_3repE0EEENS1_59segmented_radix_sort_warp_sort_small_config_static_selectorELNS0_4arch9wavefront6targetE0EEEvSK_
                                        ; -- End function
	.section	.AMDGPU.csdata,"",@progbits
; Kernel info:
; codeLenInByte = 0
; NumSgprs: 0
; NumVgprs: 0
; ScratchSize: 0
; MemoryBound: 0
; FloatMode: 240
; IeeeMode: 1
; LDSByteSize: 0 bytes/workgroup (compile time only)
; SGPRBlocks: 0
; VGPRBlocks: 0
; NumSGPRsForWavesPerEU: 1
; NumVGPRsForWavesPerEU: 1
; Occupancy: 16
; WaveLimiterHint : 0
; COMPUTE_PGM_RSRC2:SCRATCH_EN: 0
; COMPUTE_PGM_RSRC2:USER_SGPR: 15
; COMPUTE_PGM_RSRC2:TRAP_HANDLER: 0
; COMPUTE_PGM_RSRC2:TGID_X_EN: 1
; COMPUTE_PGM_RSRC2:TGID_Y_EN: 0
; COMPUTE_PGM_RSRC2:TGID_Z_EN: 0
; COMPUTE_PGM_RSRC2:TIDIG_COMP_CNT: 0
	.section	.text._ZN7rocprim17ROCPRIM_400000_NS6detail17trampoline_kernelINS0_14default_configENS1_36segmented_radix_sort_config_selectorIhlEEZNS1_25segmented_radix_sort_implIS3_Lb1EPKhPhPKlPlN2at6native12_GLOBAL__N_18offset_tEEE10hipError_tPvRmT1_PNSt15iterator_traitsISK_E10value_typeET2_T3_PNSL_ISQ_E10value_typeET4_jRbjT5_SW_jjP12ihipStream_tbEUlT_E1_NS1_11comp_targetILNS1_3genE3ELNS1_11target_archE908ELNS1_3gpuE7ELNS1_3repE0EEENS1_59segmented_radix_sort_warp_sort_small_config_static_selectorELNS0_4arch9wavefront6targetE0EEEvSK_,"axG",@progbits,_ZN7rocprim17ROCPRIM_400000_NS6detail17trampoline_kernelINS0_14default_configENS1_36segmented_radix_sort_config_selectorIhlEEZNS1_25segmented_radix_sort_implIS3_Lb1EPKhPhPKlPlN2at6native12_GLOBAL__N_18offset_tEEE10hipError_tPvRmT1_PNSt15iterator_traitsISK_E10value_typeET2_T3_PNSL_ISQ_E10value_typeET4_jRbjT5_SW_jjP12ihipStream_tbEUlT_E1_NS1_11comp_targetILNS1_3genE3ELNS1_11target_archE908ELNS1_3gpuE7ELNS1_3repE0EEENS1_59segmented_radix_sort_warp_sort_small_config_static_selectorELNS0_4arch9wavefront6targetE0EEEvSK_,comdat
	.globl	_ZN7rocprim17ROCPRIM_400000_NS6detail17trampoline_kernelINS0_14default_configENS1_36segmented_radix_sort_config_selectorIhlEEZNS1_25segmented_radix_sort_implIS3_Lb1EPKhPhPKlPlN2at6native12_GLOBAL__N_18offset_tEEE10hipError_tPvRmT1_PNSt15iterator_traitsISK_E10value_typeET2_T3_PNSL_ISQ_E10value_typeET4_jRbjT5_SW_jjP12ihipStream_tbEUlT_E1_NS1_11comp_targetILNS1_3genE3ELNS1_11target_archE908ELNS1_3gpuE7ELNS1_3repE0EEENS1_59segmented_radix_sort_warp_sort_small_config_static_selectorELNS0_4arch9wavefront6targetE0EEEvSK_ ; -- Begin function _ZN7rocprim17ROCPRIM_400000_NS6detail17trampoline_kernelINS0_14default_configENS1_36segmented_radix_sort_config_selectorIhlEEZNS1_25segmented_radix_sort_implIS3_Lb1EPKhPhPKlPlN2at6native12_GLOBAL__N_18offset_tEEE10hipError_tPvRmT1_PNSt15iterator_traitsISK_E10value_typeET2_T3_PNSL_ISQ_E10value_typeET4_jRbjT5_SW_jjP12ihipStream_tbEUlT_E1_NS1_11comp_targetILNS1_3genE3ELNS1_11target_archE908ELNS1_3gpuE7ELNS1_3repE0EEENS1_59segmented_radix_sort_warp_sort_small_config_static_selectorELNS0_4arch9wavefront6targetE0EEEvSK_
	.p2align	8
	.type	_ZN7rocprim17ROCPRIM_400000_NS6detail17trampoline_kernelINS0_14default_configENS1_36segmented_radix_sort_config_selectorIhlEEZNS1_25segmented_radix_sort_implIS3_Lb1EPKhPhPKlPlN2at6native12_GLOBAL__N_18offset_tEEE10hipError_tPvRmT1_PNSt15iterator_traitsISK_E10value_typeET2_T3_PNSL_ISQ_E10value_typeET4_jRbjT5_SW_jjP12ihipStream_tbEUlT_E1_NS1_11comp_targetILNS1_3genE3ELNS1_11target_archE908ELNS1_3gpuE7ELNS1_3repE0EEENS1_59segmented_radix_sort_warp_sort_small_config_static_selectorELNS0_4arch9wavefront6targetE0EEEvSK_,@function
_ZN7rocprim17ROCPRIM_400000_NS6detail17trampoline_kernelINS0_14default_configENS1_36segmented_radix_sort_config_selectorIhlEEZNS1_25segmented_radix_sort_implIS3_Lb1EPKhPhPKlPlN2at6native12_GLOBAL__N_18offset_tEEE10hipError_tPvRmT1_PNSt15iterator_traitsISK_E10value_typeET2_T3_PNSL_ISQ_E10value_typeET4_jRbjT5_SW_jjP12ihipStream_tbEUlT_E1_NS1_11comp_targetILNS1_3genE3ELNS1_11target_archE908ELNS1_3gpuE7ELNS1_3repE0EEENS1_59segmented_radix_sort_warp_sort_small_config_static_selectorELNS0_4arch9wavefront6targetE0EEEvSK_: ; @_ZN7rocprim17ROCPRIM_400000_NS6detail17trampoline_kernelINS0_14default_configENS1_36segmented_radix_sort_config_selectorIhlEEZNS1_25segmented_radix_sort_implIS3_Lb1EPKhPhPKlPlN2at6native12_GLOBAL__N_18offset_tEEE10hipError_tPvRmT1_PNSt15iterator_traitsISK_E10value_typeET2_T3_PNSL_ISQ_E10value_typeET4_jRbjT5_SW_jjP12ihipStream_tbEUlT_E1_NS1_11comp_targetILNS1_3genE3ELNS1_11target_archE908ELNS1_3gpuE7ELNS1_3repE0EEENS1_59segmented_radix_sort_warp_sort_small_config_static_selectorELNS0_4arch9wavefront6targetE0EEEvSK_
; %bb.0:
	.section	.rodata,"a",@progbits
	.p2align	6, 0x0
	.amdhsa_kernel _ZN7rocprim17ROCPRIM_400000_NS6detail17trampoline_kernelINS0_14default_configENS1_36segmented_radix_sort_config_selectorIhlEEZNS1_25segmented_radix_sort_implIS3_Lb1EPKhPhPKlPlN2at6native12_GLOBAL__N_18offset_tEEE10hipError_tPvRmT1_PNSt15iterator_traitsISK_E10value_typeET2_T3_PNSL_ISQ_E10value_typeET4_jRbjT5_SW_jjP12ihipStream_tbEUlT_E1_NS1_11comp_targetILNS1_3genE3ELNS1_11target_archE908ELNS1_3gpuE7ELNS1_3repE0EEENS1_59segmented_radix_sort_warp_sort_small_config_static_selectorELNS0_4arch9wavefront6targetE0EEEvSK_
		.amdhsa_group_segment_fixed_size 0
		.amdhsa_private_segment_fixed_size 0
		.amdhsa_kernarg_size 88
		.amdhsa_user_sgpr_count 15
		.amdhsa_user_sgpr_dispatch_ptr 0
		.amdhsa_user_sgpr_queue_ptr 0
		.amdhsa_user_sgpr_kernarg_segment_ptr 1
		.amdhsa_user_sgpr_dispatch_id 0
		.amdhsa_user_sgpr_private_segment_size 0
		.amdhsa_wavefront_size32 1
		.amdhsa_uses_dynamic_stack 0
		.amdhsa_enable_private_segment 0
		.amdhsa_system_sgpr_workgroup_id_x 1
		.amdhsa_system_sgpr_workgroup_id_y 0
		.amdhsa_system_sgpr_workgroup_id_z 0
		.amdhsa_system_sgpr_workgroup_info 0
		.amdhsa_system_vgpr_workitem_id 0
		.amdhsa_next_free_vgpr 1
		.amdhsa_next_free_sgpr 1
		.amdhsa_reserve_vcc 0
		.amdhsa_float_round_mode_32 0
		.amdhsa_float_round_mode_16_64 0
		.amdhsa_float_denorm_mode_32 3
		.amdhsa_float_denorm_mode_16_64 3
		.amdhsa_dx10_clamp 1
		.amdhsa_ieee_mode 1
		.amdhsa_fp16_overflow 0
		.amdhsa_workgroup_processor_mode 1
		.amdhsa_memory_ordered 1
		.amdhsa_forward_progress 0
		.amdhsa_shared_vgpr_count 0
		.amdhsa_exception_fp_ieee_invalid_op 0
		.amdhsa_exception_fp_denorm_src 0
		.amdhsa_exception_fp_ieee_div_zero 0
		.amdhsa_exception_fp_ieee_overflow 0
		.amdhsa_exception_fp_ieee_underflow 0
		.amdhsa_exception_fp_ieee_inexact 0
		.amdhsa_exception_int_div_zero 0
	.end_amdhsa_kernel
	.section	.text._ZN7rocprim17ROCPRIM_400000_NS6detail17trampoline_kernelINS0_14default_configENS1_36segmented_radix_sort_config_selectorIhlEEZNS1_25segmented_radix_sort_implIS3_Lb1EPKhPhPKlPlN2at6native12_GLOBAL__N_18offset_tEEE10hipError_tPvRmT1_PNSt15iterator_traitsISK_E10value_typeET2_T3_PNSL_ISQ_E10value_typeET4_jRbjT5_SW_jjP12ihipStream_tbEUlT_E1_NS1_11comp_targetILNS1_3genE3ELNS1_11target_archE908ELNS1_3gpuE7ELNS1_3repE0EEENS1_59segmented_radix_sort_warp_sort_small_config_static_selectorELNS0_4arch9wavefront6targetE0EEEvSK_,"axG",@progbits,_ZN7rocprim17ROCPRIM_400000_NS6detail17trampoline_kernelINS0_14default_configENS1_36segmented_radix_sort_config_selectorIhlEEZNS1_25segmented_radix_sort_implIS3_Lb1EPKhPhPKlPlN2at6native12_GLOBAL__N_18offset_tEEE10hipError_tPvRmT1_PNSt15iterator_traitsISK_E10value_typeET2_T3_PNSL_ISQ_E10value_typeET4_jRbjT5_SW_jjP12ihipStream_tbEUlT_E1_NS1_11comp_targetILNS1_3genE3ELNS1_11target_archE908ELNS1_3gpuE7ELNS1_3repE0EEENS1_59segmented_radix_sort_warp_sort_small_config_static_selectorELNS0_4arch9wavefront6targetE0EEEvSK_,comdat
.Lfunc_end106:
	.size	_ZN7rocprim17ROCPRIM_400000_NS6detail17trampoline_kernelINS0_14default_configENS1_36segmented_radix_sort_config_selectorIhlEEZNS1_25segmented_radix_sort_implIS3_Lb1EPKhPhPKlPlN2at6native12_GLOBAL__N_18offset_tEEE10hipError_tPvRmT1_PNSt15iterator_traitsISK_E10value_typeET2_T3_PNSL_ISQ_E10value_typeET4_jRbjT5_SW_jjP12ihipStream_tbEUlT_E1_NS1_11comp_targetILNS1_3genE3ELNS1_11target_archE908ELNS1_3gpuE7ELNS1_3repE0EEENS1_59segmented_radix_sort_warp_sort_small_config_static_selectorELNS0_4arch9wavefront6targetE0EEEvSK_, .Lfunc_end106-_ZN7rocprim17ROCPRIM_400000_NS6detail17trampoline_kernelINS0_14default_configENS1_36segmented_radix_sort_config_selectorIhlEEZNS1_25segmented_radix_sort_implIS3_Lb1EPKhPhPKlPlN2at6native12_GLOBAL__N_18offset_tEEE10hipError_tPvRmT1_PNSt15iterator_traitsISK_E10value_typeET2_T3_PNSL_ISQ_E10value_typeET4_jRbjT5_SW_jjP12ihipStream_tbEUlT_E1_NS1_11comp_targetILNS1_3genE3ELNS1_11target_archE908ELNS1_3gpuE7ELNS1_3repE0EEENS1_59segmented_radix_sort_warp_sort_small_config_static_selectorELNS0_4arch9wavefront6targetE0EEEvSK_
                                        ; -- End function
	.section	.AMDGPU.csdata,"",@progbits
; Kernel info:
; codeLenInByte = 0
; NumSgprs: 0
; NumVgprs: 0
; ScratchSize: 0
; MemoryBound: 0
; FloatMode: 240
; IeeeMode: 1
; LDSByteSize: 0 bytes/workgroup (compile time only)
; SGPRBlocks: 0
; VGPRBlocks: 0
; NumSGPRsForWavesPerEU: 1
; NumVGPRsForWavesPerEU: 1
; Occupancy: 16
; WaveLimiterHint : 0
; COMPUTE_PGM_RSRC2:SCRATCH_EN: 0
; COMPUTE_PGM_RSRC2:USER_SGPR: 15
; COMPUTE_PGM_RSRC2:TRAP_HANDLER: 0
; COMPUTE_PGM_RSRC2:TGID_X_EN: 1
; COMPUTE_PGM_RSRC2:TGID_Y_EN: 0
; COMPUTE_PGM_RSRC2:TGID_Z_EN: 0
; COMPUTE_PGM_RSRC2:TIDIG_COMP_CNT: 0
	.section	.text._ZN7rocprim17ROCPRIM_400000_NS6detail17trampoline_kernelINS0_14default_configENS1_36segmented_radix_sort_config_selectorIhlEEZNS1_25segmented_radix_sort_implIS3_Lb1EPKhPhPKlPlN2at6native12_GLOBAL__N_18offset_tEEE10hipError_tPvRmT1_PNSt15iterator_traitsISK_E10value_typeET2_T3_PNSL_ISQ_E10value_typeET4_jRbjT5_SW_jjP12ihipStream_tbEUlT_E1_NS1_11comp_targetILNS1_3genE2ELNS1_11target_archE906ELNS1_3gpuE6ELNS1_3repE0EEENS1_59segmented_radix_sort_warp_sort_small_config_static_selectorELNS0_4arch9wavefront6targetE0EEEvSK_,"axG",@progbits,_ZN7rocprim17ROCPRIM_400000_NS6detail17trampoline_kernelINS0_14default_configENS1_36segmented_radix_sort_config_selectorIhlEEZNS1_25segmented_radix_sort_implIS3_Lb1EPKhPhPKlPlN2at6native12_GLOBAL__N_18offset_tEEE10hipError_tPvRmT1_PNSt15iterator_traitsISK_E10value_typeET2_T3_PNSL_ISQ_E10value_typeET4_jRbjT5_SW_jjP12ihipStream_tbEUlT_E1_NS1_11comp_targetILNS1_3genE2ELNS1_11target_archE906ELNS1_3gpuE6ELNS1_3repE0EEENS1_59segmented_radix_sort_warp_sort_small_config_static_selectorELNS0_4arch9wavefront6targetE0EEEvSK_,comdat
	.globl	_ZN7rocprim17ROCPRIM_400000_NS6detail17trampoline_kernelINS0_14default_configENS1_36segmented_radix_sort_config_selectorIhlEEZNS1_25segmented_radix_sort_implIS3_Lb1EPKhPhPKlPlN2at6native12_GLOBAL__N_18offset_tEEE10hipError_tPvRmT1_PNSt15iterator_traitsISK_E10value_typeET2_T3_PNSL_ISQ_E10value_typeET4_jRbjT5_SW_jjP12ihipStream_tbEUlT_E1_NS1_11comp_targetILNS1_3genE2ELNS1_11target_archE906ELNS1_3gpuE6ELNS1_3repE0EEENS1_59segmented_radix_sort_warp_sort_small_config_static_selectorELNS0_4arch9wavefront6targetE0EEEvSK_ ; -- Begin function _ZN7rocprim17ROCPRIM_400000_NS6detail17trampoline_kernelINS0_14default_configENS1_36segmented_radix_sort_config_selectorIhlEEZNS1_25segmented_radix_sort_implIS3_Lb1EPKhPhPKlPlN2at6native12_GLOBAL__N_18offset_tEEE10hipError_tPvRmT1_PNSt15iterator_traitsISK_E10value_typeET2_T3_PNSL_ISQ_E10value_typeET4_jRbjT5_SW_jjP12ihipStream_tbEUlT_E1_NS1_11comp_targetILNS1_3genE2ELNS1_11target_archE906ELNS1_3gpuE6ELNS1_3repE0EEENS1_59segmented_radix_sort_warp_sort_small_config_static_selectorELNS0_4arch9wavefront6targetE0EEEvSK_
	.p2align	8
	.type	_ZN7rocprim17ROCPRIM_400000_NS6detail17trampoline_kernelINS0_14default_configENS1_36segmented_radix_sort_config_selectorIhlEEZNS1_25segmented_radix_sort_implIS3_Lb1EPKhPhPKlPlN2at6native12_GLOBAL__N_18offset_tEEE10hipError_tPvRmT1_PNSt15iterator_traitsISK_E10value_typeET2_T3_PNSL_ISQ_E10value_typeET4_jRbjT5_SW_jjP12ihipStream_tbEUlT_E1_NS1_11comp_targetILNS1_3genE2ELNS1_11target_archE906ELNS1_3gpuE6ELNS1_3repE0EEENS1_59segmented_radix_sort_warp_sort_small_config_static_selectorELNS0_4arch9wavefront6targetE0EEEvSK_,@function
_ZN7rocprim17ROCPRIM_400000_NS6detail17trampoline_kernelINS0_14default_configENS1_36segmented_radix_sort_config_selectorIhlEEZNS1_25segmented_radix_sort_implIS3_Lb1EPKhPhPKlPlN2at6native12_GLOBAL__N_18offset_tEEE10hipError_tPvRmT1_PNSt15iterator_traitsISK_E10value_typeET2_T3_PNSL_ISQ_E10value_typeET4_jRbjT5_SW_jjP12ihipStream_tbEUlT_E1_NS1_11comp_targetILNS1_3genE2ELNS1_11target_archE906ELNS1_3gpuE6ELNS1_3repE0EEENS1_59segmented_radix_sort_warp_sort_small_config_static_selectorELNS0_4arch9wavefront6targetE0EEEvSK_: ; @_ZN7rocprim17ROCPRIM_400000_NS6detail17trampoline_kernelINS0_14default_configENS1_36segmented_radix_sort_config_selectorIhlEEZNS1_25segmented_radix_sort_implIS3_Lb1EPKhPhPKlPlN2at6native12_GLOBAL__N_18offset_tEEE10hipError_tPvRmT1_PNSt15iterator_traitsISK_E10value_typeET2_T3_PNSL_ISQ_E10value_typeET4_jRbjT5_SW_jjP12ihipStream_tbEUlT_E1_NS1_11comp_targetILNS1_3genE2ELNS1_11target_archE906ELNS1_3gpuE6ELNS1_3repE0EEENS1_59segmented_radix_sort_warp_sort_small_config_static_selectorELNS0_4arch9wavefront6targetE0EEEvSK_
; %bb.0:
	.section	.rodata,"a",@progbits
	.p2align	6, 0x0
	.amdhsa_kernel _ZN7rocprim17ROCPRIM_400000_NS6detail17trampoline_kernelINS0_14default_configENS1_36segmented_radix_sort_config_selectorIhlEEZNS1_25segmented_radix_sort_implIS3_Lb1EPKhPhPKlPlN2at6native12_GLOBAL__N_18offset_tEEE10hipError_tPvRmT1_PNSt15iterator_traitsISK_E10value_typeET2_T3_PNSL_ISQ_E10value_typeET4_jRbjT5_SW_jjP12ihipStream_tbEUlT_E1_NS1_11comp_targetILNS1_3genE2ELNS1_11target_archE906ELNS1_3gpuE6ELNS1_3repE0EEENS1_59segmented_radix_sort_warp_sort_small_config_static_selectorELNS0_4arch9wavefront6targetE0EEEvSK_
		.amdhsa_group_segment_fixed_size 0
		.amdhsa_private_segment_fixed_size 0
		.amdhsa_kernarg_size 88
		.amdhsa_user_sgpr_count 15
		.amdhsa_user_sgpr_dispatch_ptr 0
		.amdhsa_user_sgpr_queue_ptr 0
		.amdhsa_user_sgpr_kernarg_segment_ptr 1
		.amdhsa_user_sgpr_dispatch_id 0
		.amdhsa_user_sgpr_private_segment_size 0
		.amdhsa_wavefront_size32 1
		.amdhsa_uses_dynamic_stack 0
		.amdhsa_enable_private_segment 0
		.amdhsa_system_sgpr_workgroup_id_x 1
		.amdhsa_system_sgpr_workgroup_id_y 0
		.amdhsa_system_sgpr_workgroup_id_z 0
		.amdhsa_system_sgpr_workgroup_info 0
		.amdhsa_system_vgpr_workitem_id 0
		.amdhsa_next_free_vgpr 1
		.amdhsa_next_free_sgpr 1
		.amdhsa_reserve_vcc 0
		.amdhsa_float_round_mode_32 0
		.amdhsa_float_round_mode_16_64 0
		.amdhsa_float_denorm_mode_32 3
		.amdhsa_float_denorm_mode_16_64 3
		.amdhsa_dx10_clamp 1
		.amdhsa_ieee_mode 1
		.amdhsa_fp16_overflow 0
		.amdhsa_workgroup_processor_mode 1
		.amdhsa_memory_ordered 1
		.amdhsa_forward_progress 0
		.amdhsa_shared_vgpr_count 0
		.amdhsa_exception_fp_ieee_invalid_op 0
		.amdhsa_exception_fp_denorm_src 0
		.amdhsa_exception_fp_ieee_div_zero 0
		.amdhsa_exception_fp_ieee_overflow 0
		.amdhsa_exception_fp_ieee_underflow 0
		.amdhsa_exception_fp_ieee_inexact 0
		.amdhsa_exception_int_div_zero 0
	.end_amdhsa_kernel
	.section	.text._ZN7rocprim17ROCPRIM_400000_NS6detail17trampoline_kernelINS0_14default_configENS1_36segmented_radix_sort_config_selectorIhlEEZNS1_25segmented_radix_sort_implIS3_Lb1EPKhPhPKlPlN2at6native12_GLOBAL__N_18offset_tEEE10hipError_tPvRmT1_PNSt15iterator_traitsISK_E10value_typeET2_T3_PNSL_ISQ_E10value_typeET4_jRbjT5_SW_jjP12ihipStream_tbEUlT_E1_NS1_11comp_targetILNS1_3genE2ELNS1_11target_archE906ELNS1_3gpuE6ELNS1_3repE0EEENS1_59segmented_radix_sort_warp_sort_small_config_static_selectorELNS0_4arch9wavefront6targetE0EEEvSK_,"axG",@progbits,_ZN7rocprim17ROCPRIM_400000_NS6detail17trampoline_kernelINS0_14default_configENS1_36segmented_radix_sort_config_selectorIhlEEZNS1_25segmented_radix_sort_implIS3_Lb1EPKhPhPKlPlN2at6native12_GLOBAL__N_18offset_tEEE10hipError_tPvRmT1_PNSt15iterator_traitsISK_E10value_typeET2_T3_PNSL_ISQ_E10value_typeET4_jRbjT5_SW_jjP12ihipStream_tbEUlT_E1_NS1_11comp_targetILNS1_3genE2ELNS1_11target_archE906ELNS1_3gpuE6ELNS1_3repE0EEENS1_59segmented_radix_sort_warp_sort_small_config_static_selectorELNS0_4arch9wavefront6targetE0EEEvSK_,comdat
.Lfunc_end107:
	.size	_ZN7rocprim17ROCPRIM_400000_NS6detail17trampoline_kernelINS0_14default_configENS1_36segmented_radix_sort_config_selectorIhlEEZNS1_25segmented_radix_sort_implIS3_Lb1EPKhPhPKlPlN2at6native12_GLOBAL__N_18offset_tEEE10hipError_tPvRmT1_PNSt15iterator_traitsISK_E10value_typeET2_T3_PNSL_ISQ_E10value_typeET4_jRbjT5_SW_jjP12ihipStream_tbEUlT_E1_NS1_11comp_targetILNS1_3genE2ELNS1_11target_archE906ELNS1_3gpuE6ELNS1_3repE0EEENS1_59segmented_radix_sort_warp_sort_small_config_static_selectorELNS0_4arch9wavefront6targetE0EEEvSK_, .Lfunc_end107-_ZN7rocprim17ROCPRIM_400000_NS6detail17trampoline_kernelINS0_14default_configENS1_36segmented_radix_sort_config_selectorIhlEEZNS1_25segmented_radix_sort_implIS3_Lb1EPKhPhPKlPlN2at6native12_GLOBAL__N_18offset_tEEE10hipError_tPvRmT1_PNSt15iterator_traitsISK_E10value_typeET2_T3_PNSL_ISQ_E10value_typeET4_jRbjT5_SW_jjP12ihipStream_tbEUlT_E1_NS1_11comp_targetILNS1_3genE2ELNS1_11target_archE906ELNS1_3gpuE6ELNS1_3repE0EEENS1_59segmented_radix_sort_warp_sort_small_config_static_selectorELNS0_4arch9wavefront6targetE0EEEvSK_
                                        ; -- End function
	.section	.AMDGPU.csdata,"",@progbits
; Kernel info:
; codeLenInByte = 0
; NumSgprs: 0
; NumVgprs: 0
; ScratchSize: 0
; MemoryBound: 0
; FloatMode: 240
; IeeeMode: 1
; LDSByteSize: 0 bytes/workgroup (compile time only)
; SGPRBlocks: 0
; VGPRBlocks: 0
; NumSGPRsForWavesPerEU: 1
; NumVGPRsForWavesPerEU: 1
; Occupancy: 16
; WaveLimiterHint : 0
; COMPUTE_PGM_RSRC2:SCRATCH_EN: 0
; COMPUTE_PGM_RSRC2:USER_SGPR: 15
; COMPUTE_PGM_RSRC2:TRAP_HANDLER: 0
; COMPUTE_PGM_RSRC2:TGID_X_EN: 1
; COMPUTE_PGM_RSRC2:TGID_Y_EN: 0
; COMPUTE_PGM_RSRC2:TGID_Z_EN: 0
; COMPUTE_PGM_RSRC2:TIDIG_COMP_CNT: 0
	.section	.text._ZN7rocprim17ROCPRIM_400000_NS6detail17trampoline_kernelINS0_14default_configENS1_36segmented_radix_sort_config_selectorIhlEEZNS1_25segmented_radix_sort_implIS3_Lb1EPKhPhPKlPlN2at6native12_GLOBAL__N_18offset_tEEE10hipError_tPvRmT1_PNSt15iterator_traitsISK_E10value_typeET2_T3_PNSL_ISQ_E10value_typeET4_jRbjT5_SW_jjP12ihipStream_tbEUlT_E1_NS1_11comp_targetILNS1_3genE10ELNS1_11target_archE1201ELNS1_3gpuE5ELNS1_3repE0EEENS1_59segmented_radix_sort_warp_sort_small_config_static_selectorELNS0_4arch9wavefront6targetE0EEEvSK_,"axG",@progbits,_ZN7rocprim17ROCPRIM_400000_NS6detail17trampoline_kernelINS0_14default_configENS1_36segmented_radix_sort_config_selectorIhlEEZNS1_25segmented_radix_sort_implIS3_Lb1EPKhPhPKlPlN2at6native12_GLOBAL__N_18offset_tEEE10hipError_tPvRmT1_PNSt15iterator_traitsISK_E10value_typeET2_T3_PNSL_ISQ_E10value_typeET4_jRbjT5_SW_jjP12ihipStream_tbEUlT_E1_NS1_11comp_targetILNS1_3genE10ELNS1_11target_archE1201ELNS1_3gpuE5ELNS1_3repE0EEENS1_59segmented_radix_sort_warp_sort_small_config_static_selectorELNS0_4arch9wavefront6targetE0EEEvSK_,comdat
	.globl	_ZN7rocprim17ROCPRIM_400000_NS6detail17trampoline_kernelINS0_14default_configENS1_36segmented_radix_sort_config_selectorIhlEEZNS1_25segmented_radix_sort_implIS3_Lb1EPKhPhPKlPlN2at6native12_GLOBAL__N_18offset_tEEE10hipError_tPvRmT1_PNSt15iterator_traitsISK_E10value_typeET2_T3_PNSL_ISQ_E10value_typeET4_jRbjT5_SW_jjP12ihipStream_tbEUlT_E1_NS1_11comp_targetILNS1_3genE10ELNS1_11target_archE1201ELNS1_3gpuE5ELNS1_3repE0EEENS1_59segmented_radix_sort_warp_sort_small_config_static_selectorELNS0_4arch9wavefront6targetE0EEEvSK_ ; -- Begin function _ZN7rocprim17ROCPRIM_400000_NS6detail17trampoline_kernelINS0_14default_configENS1_36segmented_radix_sort_config_selectorIhlEEZNS1_25segmented_radix_sort_implIS3_Lb1EPKhPhPKlPlN2at6native12_GLOBAL__N_18offset_tEEE10hipError_tPvRmT1_PNSt15iterator_traitsISK_E10value_typeET2_T3_PNSL_ISQ_E10value_typeET4_jRbjT5_SW_jjP12ihipStream_tbEUlT_E1_NS1_11comp_targetILNS1_3genE10ELNS1_11target_archE1201ELNS1_3gpuE5ELNS1_3repE0EEENS1_59segmented_radix_sort_warp_sort_small_config_static_selectorELNS0_4arch9wavefront6targetE0EEEvSK_
	.p2align	8
	.type	_ZN7rocprim17ROCPRIM_400000_NS6detail17trampoline_kernelINS0_14default_configENS1_36segmented_radix_sort_config_selectorIhlEEZNS1_25segmented_radix_sort_implIS3_Lb1EPKhPhPKlPlN2at6native12_GLOBAL__N_18offset_tEEE10hipError_tPvRmT1_PNSt15iterator_traitsISK_E10value_typeET2_T3_PNSL_ISQ_E10value_typeET4_jRbjT5_SW_jjP12ihipStream_tbEUlT_E1_NS1_11comp_targetILNS1_3genE10ELNS1_11target_archE1201ELNS1_3gpuE5ELNS1_3repE0EEENS1_59segmented_radix_sort_warp_sort_small_config_static_selectorELNS0_4arch9wavefront6targetE0EEEvSK_,@function
_ZN7rocprim17ROCPRIM_400000_NS6detail17trampoline_kernelINS0_14default_configENS1_36segmented_radix_sort_config_selectorIhlEEZNS1_25segmented_radix_sort_implIS3_Lb1EPKhPhPKlPlN2at6native12_GLOBAL__N_18offset_tEEE10hipError_tPvRmT1_PNSt15iterator_traitsISK_E10value_typeET2_T3_PNSL_ISQ_E10value_typeET4_jRbjT5_SW_jjP12ihipStream_tbEUlT_E1_NS1_11comp_targetILNS1_3genE10ELNS1_11target_archE1201ELNS1_3gpuE5ELNS1_3repE0EEENS1_59segmented_radix_sort_warp_sort_small_config_static_selectorELNS0_4arch9wavefront6targetE0EEEvSK_: ; @_ZN7rocprim17ROCPRIM_400000_NS6detail17trampoline_kernelINS0_14default_configENS1_36segmented_radix_sort_config_selectorIhlEEZNS1_25segmented_radix_sort_implIS3_Lb1EPKhPhPKlPlN2at6native12_GLOBAL__N_18offset_tEEE10hipError_tPvRmT1_PNSt15iterator_traitsISK_E10value_typeET2_T3_PNSL_ISQ_E10value_typeET4_jRbjT5_SW_jjP12ihipStream_tbEUlT_E1_NS1_11comp_targetILNS1_3genE10ELNS1_11target_archE1201ELNS1_3gpuE5ELNS1_3repE0EEENS1_59segmented_radix_sort_warp_sort_small_config_static_selectorELNS0_4arch9wavefront6targetE0EEEvSK_
; %bb.0:
	.section	.rodata,"a",@progbits
	.p2align	6, 0x0
	.amdhsa_kernel _ZN7rocprim17ROCPRIM_400000_NS6detail17trampoline_kernelINS0_14default_configENS1_36segmented_radix_sort_config_selectorIhlEEZNS1_25segmented_radix_sort_implIS3_Lb1EPKhPhPKlPlN2at6native12_GLOBAL__N_18offset_tEEE10hipError_tPvRmT1_PNSt15iterator_traitsISK_E10value_typeET2_T3_PNSL_ISQ_E10value_typeET4_jRbjT5_SW_jjP12ihipStream_tbEUlT_E1_NS1_11comp_targetILNS1_3genE10ELNS1_11target_archE1201ELNS1_3gpuE5ELNS1_3repE0EEENS1_59segmented_radix_sort_warp_sort_small_config_static_selectorELNS0_4arch9wavefront6targetE0EEEvSK_
		.amdhsa_group_segment_fixed_size 0
		.amdhsa_private_segment_fixed_size 0
		.amdhsa_kernarg_size 88
		.amdhsa_user_sgpr_count 15
		.amdhsa_user_sgpr_dispatch_ptr 0
		.amdhsa_user_sgpr_queue_ptr 0
		.amdhsa_user_sgpr_kernarg_segment_ptr 1
		.amdhsa_user_sgpr_dispatch_id 0
		.amdhsa_user_sgpr_private_segment_size 0
		.amdhsa_wavefront_size32 1
		.amdhsa_uses_dynamic_stack 0
		.amdhsa_enable_private_segment 0
		.amdhsa_system_sgpr_workgroup_id_x 1
		.amdhsa_system_sgpr_workgroup_id_y 0
		.amdhsa_system_sgpr_workgroup_id_z 0
		.amdhsa_system_sgpr_workgroup_info 0
		.amdhsa_system_vgpr_workitem_id 0
		.amdhsa_next_free_vgpr 1
		.amdhsa_next_free_sgpr 1
		.amdhsa_reserve_vcc 0
		.amdhsa_float_round_mode_32 0
		.amdhsa_float_round_mode_16_64 0
		.amdhsa_float_denorm_mode_32 3
		.amdhsa_float_denorm_mode_16_64 3
		.amdhsa_dx10_clamp 1
		.amdhsa_ieee_mode 1
		.amdhsa_fp16_overflow 0
		.amdhsa_workgroup_processor_mode 1
		.amdhsa_memory_ordered 1
		.amdhsa_forward_progress 0
		.amdhsa_shared_vgpr_count 0
		.amdhsa_exception_fp_ieee_invalid_op 0
		.amdhsa_exception_fp_denorm_src 0
		.amdhsa_exception_fp_ieee_div_zero 0
		.amdhsa_exception_fp_ieee_overflow 0
		.amdhsa_exception_fp_ieee_underflow 0
		.amdhsa_exception_fp_ieee_inexact 0
		.amdhsa_exception_int_div_zero 0
	.end_amdhsa_kernel
	.section	.text._ZN7rocprim17ROCPRIM_400000_NS6detail17trampoline_kernelINS0_14default_configENS1_36segmented_radix_sort_config_selectorIhlEEZNS1_25segmented_radix_sort_implIS3_Lb1EPKhPhPKlPlN2at6native12_GLOBAL__N_18offset_tEEE10hipError_tPvRmT1_PNSt15iterator_traitsISK_E10value_typeET2_T3_PNSL_ISQ_E10value_typeET4_jRbjT5_SW_jjP12ihipStream_tbEUlT_E1_NS1_11comp_targetILNS1_3genE10ELNS1_11target_archE1201ELNS1_3gpuE5ELNS1_3repE0EEENS1_59segmented_radix_sort_warp_sort_small_config_static_selectorELNS0_4arch9wavefront6targetE0EEEvSK_,"axG",@progbits,_ZN7rocprim17ROCPRIM_400000_NS6detail17trampoline_kernelINS0_14default_configENS1_36segmented_radix_sort_config_selectorIhlEEZNS1_25segmented_radix_sort_implIS3_Lb1EPKhPhPKlPlN2at6native12_GLOBAL__N_18offset_tEEE10hipError_tPvRmT1_PNSt15iterator_traitsISK_E10value_typeET2_T3_PNSL_ISQ_E10value_typeET4_jRbjT5_SW_jjP12ihipStream_tbEUlT_E1_NS1_11comp_targetILNS1_3genE10ELNS1_11target_archE1201ELNS1_3gpuE5ELNS1_3repE0EEENS1_59segmented_radix_sort_warp_sort_small_config_static_selectorELNS0_4arch9wavefront6targetE0EEEvSK_,comdat
.Lfunc_end108:
	.size	_ZN7rocprim17ROCPRIM_400000_NS6detail17trampoline_kernelINS0_14default_configENS1_36segmented_radix_sort_config_selectorIhlEEZNS1_25segmented_radix_sort_implIS3_Lb1EPKhPhPKlPlN2at6native12_GLOBAL__N_18offset_tEEE10hipError_tPvRmT1_PNSt15iterator_traitsISK_E10value_typeET2_T3_PNSL_ISQ_E10value_typeET4_jRbjT5_SW_jjP12ihipStream_tbEUlT_E1_NS1_11comp_targetILNS1_3genE10ELNS1_11target_archE1201ELNS1_3gpuE5ELNS1_3repE0EEENS1_59segmented_radix_sort_warp_sort_small_config_static_selectorELNS0_4arch9wavefront6targetE0EEEvSK_, .Lfunc_end108-_ZN7rocprim17ROCPRIM_400000_NS6detail17trampoline_kernelINS0_14default_configENS1_36segmented_radix_sort_config_selectorIhlEEZNS1_25segmented_radix_sort_implIS3_Lb1EPKhPhPKlPlN2at6native12_GLOBAL__N_18offset_tEEE10hipError_tPvRmT1_PNSt15iterator_traitsISK_E10value_typeET2_T3_PNSL_ISQ_E10value_typeET4_jRbjT5_SW_jjP12ihipStream_tbEUlT_E1_NS1_11comp_targetILNS1_3genE10ELNS1_11target_archE1201ELNS1_3gpuE5ELNS1_3repE0EEENS1_59segmented_radix_sort_warp_sort_small_config_static_selectorELNS0_4arch9wavefront6targetE0EEEvSK_
                                        ; -- End function
	.section	.AMDGPU.csdata,"",@progbits
; Kernel info:
; codeLenInByte = 0
; NumSgprs: 0
; NumVgprs: 0
; ScratchSize: 0
; MemoryBound: 0
; FloatMode: 240
; IeeeMode: 1
; LDSByteSize: 0 bytes/workgroup (compile time only)
; SGPRBlocks: 0
; VGPRBlocks: 0
; NumSGPRsForWavesPerEU: 1
; NumVGPRsForWavesPerEU: 1
; Occupancy: 16
; WaveLimiterHint : 0
; COMPUTE_PGM_RSRC2:SCRATCH_EN: 0
; COMPUTE_PGM_RSRC2:USER_SGPR: 15
; COMPUTE_PGM_RSRC2:TRAP_HANDLER: 0
; COMPUTE_PGM_RSRC2:TGID_X_EN: 1
; COMPUTE_PGM_RSRC2:TGID_Y_EN: 0
; COMPUTE_PGM_RSRC2:TGID_Z_EN: 0
; COMPUTE_PGM_RSRC2:TIDIG_COMP_CNT: 0
	.section	.text._ZN7rocprim17ROCPRIM_400000_NS6detail17trampoline_kernelINS0_14default_configENS1_36segmented_radix_sort_config_selectorIhlEEZNS1_25segmented_radix_sort_implIS3_Lb1EPKhPhPKlPlN2at6native12_GLOBAL__N_18offset_tEEE10hipError_tPvRmT1_PNSt15iterator_traitsISK_E10value_typeET2_T3_PNSL_ISQ_E10value_typeET4_jRbjT5_SW_jjP12ihipStream_tbEUlT_E1_NS1_11comp_targetILNS1_3genE10ELNS1_11target_archE1200ELNS1_3gpuE4ELNS1_3repE0EEENS1_59segmented_radix_sort_warp_sort_small_config_static_selectorELNS0_4arch9wavefront6targetE0EEEvSK_,"axG",@progbits,_ZN7rocprim17ROCPRIM_400000_NS6detail17trampoline_kernelINS0_14default_configENS1_36segmented_radix_sort_config_selectorIhlEEZNS1_25segmented_radix_sort_implIS3_Lb1EPKhPhPKlPlN2at6native12_GLOBAL__N_18offset_tEEE10hipError_tPvRmT1_PNSt15iterator_traitsISK_E10value_typeET2_T3_PNSL_ISQ_E10value_typeET4_jRbjT5_SW_jjP12ihipStream_tbEUlT_E1_NS1_11comp_targetILNS1_3genE10ELNS1_11target_archE1200ELNS1_3gpuE4ELNS1_3repE0EEENS1_59segmented_radix_sort_warp_sort_small_config_static_selectorELNS0_4arch9wavefront6targetE0EEEvSK_,comdat
	.globl	_ZN7rocprim17ROCPRIM_400000_NS6detail17trampoline_kernelINS0_14default_configENS1_36segmented_radix_sort_config_selectorIhlEEZNS1_25segmented_radix_sort_implIS3_Lb1EPKhPhPKlPlN2at6native12_GLOBAL__N_18offset_tEEE10hipError_tPvRmT1_PNSt15iterator_traitsISK_E10value_typeET2_T3_PNSL_ISQ_E10value_typeET4_jRbjT5_SW_jjP12ihipStream_tbEUlT_E1_NS1_11comp_targetILNS1_3genE10ELNS1_11target_archE1200ELNS1_3gpuE4ELNS1_3repE0EEENS1_59segmented_radix_sort_warp_sort_small_config_static_selectorELNS0_4arch9wavefront6targetE0EEEvSK_ ; -- Begin function _ZN7rocprim17ROCPRIM_400000_NS6detail17trampoline_kernelINS0_14default_configENS1_36segmented_radix_sort_config_selectorIhlEEZNS1_25segmented_radix_sort_implIS3_Lb1EPKhPhPKlPlN2at6native12_GLOBAL__N_18offset_tEEE10hipError_tPvRmT1_PNSt15iterator_traitsISK_E10value_typeET2_T3_PNSL_ISQ_E10value_typeET4_jRbjT5_SW_jjP12ihipStream_tbEUlT_E1_NS1_11comp_targetILNS1_3genE10ELNS1_11target_archE1200ELNS1_3gpuE4ELNS1_3repE0EEENS1_59segmented_radix_sort_warp_sort_small_config_static_selectorELNS0_4arch9wavefront6targetE0EEEvSK_
	.p2align	8
	.type	_ZN7rocprim17ROCPRIM_400000_NS6detail17trampoline_kernelINS0_14default_configENS1_36segmented_radix_sort_config_selectorIhlEEZNS1_25segmented_radix_sort_implIS3_Lb1EPKhPhPKlPlN2at6native12_GLOBAL__N_18offset_tEEE10hipError_tPvRmT1_PNSt15iterator_traitsISK_E10value_typeET2_T3_PNSL_ISQ_E10value_typeET4_jRbjT5_SW_jjP12ihipStream_tbEUlT_E1_NS1_11comp_targetILNS1_3genE10ELNS1_11target_archE1200ELNS1_3gpuE4ELNS1_3repE0EEENS1_59segmented_radix_sort_warp_sort_small_config_static_selectorELNS0_4arch9wavefront6targetE0EEEvSK_,@function
_ZN7rocprim17ROCPRIM_400000_NS6detail17trampoline_kernelINS0_14default_configENS1_36segmented_radix_sort_config_selectorIhlEEZNS1_25segmented_radix_sort_implIS3_Lb1EPKhPhPKlPlN2at6native12_GLOBAL__N_18offset_tEEE10hipError_tPvRmT1_PNSt15iterator_traitsISK_E10value_typeET2_T3_PNSL_ISQ_E10value_typeET4_jRbjT5_SW_jjP12ihipStream_tbEUlT_E1_NS1_11comp_targetILNS1_3genE10ELNS1_11target_archE1200ELNS1_3gpuE4ELNS1_3repE0EEENS1_59segmented_radix_sort_warp_sort_small_config_static_selectorELNS0_4arch9wavefront6targetE0EEEvSK_: ; @_ZN7rocprim17ROCPRIM_400000_NS6detail17trampoline_kernelINS0_14default_configENS1_36segmented_radix_sort_config_selectorIhlEEZNS1_25segmented_radix_sort_implIS3_Lb1EPKhPhPKlPlN2at6native12_GLOBAL__N_18offset_tEEE10hipError_tPvRmT1_PNSt15iterator_traitsISK_E10value_typeET2_T3_PNSL_ISQ_E10value_typeET4_jRbjT5_SW_jjP12ihipStream_tbEUlT_E1_NS1_11comp_targetILNS1_3genE10ELNS1_11target_archE1200ELNS1_3gpuE4ELNS1_3repE0EEENS1_59segmented_radix_sort_warp_sort_small_config_static_selectorELNS0_4arch9wavefront6targetE0EEEvSK_
; %bb.0:
	.section	.rodata,"a",@progbits
	.p2align	6, 0x0
	.amdhsa_kernel _ZN7rocprim17ROCPRIM_400000_NS6detail17trampoline_kernelINS0_14default_configENS1_36segmented_radix_sort_config_selectorIhlEEZNS1_25segmented_radix_sort_implIS3_Lb1EPKhPhPKlPlN2at6native12_GLOBAL__N_18offset_tEEE10hipError_tPvRmT1_PNSt15iterator_traitsISK_E10value_typeET2_T3_PNSL_ISQ_E10value_typeET4_jRbjT5_SW_jjP12ihipStream_tbEUlT_E1_NS1_11comp_targetILNS1_3genE10ELNS1_11target_archE1200ELNS1_3gpuE4ELNS1_3repE0EEENS1_59segmented_radix_sort_warp_sort_small_config_static_selectorELNS0_4arch9wavefront6targetE0EEEvSK_
		.amdhsa_group_segment_fixed_size 0
		.amdhsa_private_segment_fixed_size 0
		.amdhsa_kernarg_size 88
		.amdhsa_user_sgpr_count 15
		.amdhsa_user_sgpr_dispatch_ptr 0
		.amdhsa_user_sgpr_queue_ptr 0
		.amdhsa_user_sgpr_kernarg_segment_ptr 1
		.amdhsa_user_sgpr_dispatch_id 0
		.amdhsa_user_sgpr_private_segment_size 0
		.amdhsa_wavefront_size32 1
		.amdhsa_uses_dynamic_stack 0
		.amdhsa_enable_private_segment 0
		.amdhsa_system_sgpr_workgroup_id_x 1
		.amdhsa_system_sgpr_workgroup_id_y 0
		.amdhsa_system_sgpr_workgroup_id_z 0
		.amdhsa_system_sgpr_workgroup_info 0
		.amdhsa_system_vgpr_workitem_id 0
		.amdhsa_next_free_vgpr 1
		.amdhsa_next_free_sgpr 1
		.amdhsa_reserve_vcc 0
		.amdhsa_float_round_mode_32 0
		.amdhsa_float_round_mode_16_64 0
		.amdhsa_float_denorm_mode_32 3
		.amdhsa_float_denorm_mode_16_64 3
		.amdhsa_dx10_clamp 1
		.amdhsa_ieee_mode 1
		.amdhsa_fp16_overflow 0
		.amdhsa_workgroup_processor_mode 1
		.amdhsa_memory_ordered 1
		.amdhsa_forward_progress 0
		.amdhsa_shared_vgpr_count 0
		.amdhsa_exception_fp_ieee_invalid_op 0
		.amdhsa_exception_fp_denorm_src 0
		.amdhsa_exception_fp_ieee_div_zero 0
		.amdhsa_exception_fp_ieee_overflow 0
		.amdhsa_exception_fp_ieee_underflow 0
		.amdhsa_exception_fp_ieee_inexact 0
		.amdhsa_exception_int_div_zero 0
	.end_amdhsa_kernel
	.section	.text._ZN7rocprim17ROCPRIM_400000_NS6detail17trampoline_kernelINS0_14default_configENS1_36segmented_radix_sort_config_selectorIhlEEZNS1_25segmented_radix_sort_implIS3_Lb1EPKhPhPKlPlN2at6native12_GLOBAL__N_18offset_tEEE10hipError_tPvRmT1_PNSt15iterator_traitsISK_E10value_typeET2_T3_PNSL_ISQ_E10value_typeET4_jRbjT5_SW_jjP12ihipStream_tbEUlT_E1_NS1_11comp_targetILNS1_3genE10ELNS1_11target_archE1200ELNS1_3gpuE4ELNS1_3repE0EEENS1_59segmented_radix_sort_warp_sort_small_config_static_selectorELNS0_4arch9wavefront6targetE0EEEvSK_,"axG",@progbits,_ZN7rocprim17ROCPRIM_400000_NS6detail17trampoline_kernelINS0_14default_configENS1_36segmented_radix_sort_config_selectorIhlEEZNS1_25segmented_radix_sort_implIS3_Lb1EPKhPhPKlPlN2at6native12_GLOBAL__N_18offset_tEEE10hipError_tPvRmT1_PNSt15iterator_traitsISK_E10value_typeET2_T3_PNSL_ISQ_E10value_typeET4_jRbjT5_SW_jjP12ihipStream_tbEUlT_E1_NS1_11comp_targetILNS1_3genE10ELNS1_11target_archE1200ELNS1_3gpuE4ELNS1_3repE0EEENS1_59segmented_radix_sort_warp_sort_small_config_static_selectorELNS0_4arch9wavefront6targetE0EEEvSK_,comdat
.Lfunc_end109:
	.size	_ZN7rocprim17ROCPRIM_400000_NS6detail17trampoline_kernelINS0_14default_configENS1_36segmented_radix_sort_config_selectorIhlEEZNS1_25segmented_radix_sort_implIS3_Lb1EPKhPhPKlPlN2at6native12_GLOBAL__N_18offset_tEEE10hipError_tPvRmT1_PNSt15iterator_traitsISK_E10value_typeET2_T3_PNSL_ISQ_E10value_typeET4_jRbjT5_SW_jjP12ihipStream_tbEUlT_E1_NS1_11comp_targetILNS1_3genE10ELNS1_11target_archE1200ELNS1_3gpuE4ELNS1_3repE0EEENS1_59segmented_radix_sort_warp_sort_small_config_static_selectorELNS0_4arch9wavefront6targetE0EEEvSK_, .Lfunc_end109-_ZN7rocprim17ROCPRIM_400000_NS6detail17trampoline_kernelINS0_14default_configENS1_36segmented_radix_sort_config_selectorIhlEEZNS1_25segmented_radix_sort_implIS3_Lb1EPKhPhPKlPlN2at6native12_GLOBAL__N_18offset_tEEE10hipError_tPvRmT1_PNSt15iterator_traitsISK_E10value_typeET2_T3_PNSL_ISQ_E10value_typeET4_jRbjT5_SW_jjP12ihipStream_tbEUlT_E1_NS1_11comp_targetILNS1_3genE10ELNS1_11target_archE1200ELNS1_3gpuE4ELNS1_3repE0EEENS1_59segmented_radix_sort_warp_sort_small_config_static_selectorELNS0_4arch9wavefront6targetE0EEEvSK_
                                        ; -- End function
	.section	.AMDGPU.csdata,"",@progbits
; Kernel info:
; codeLenInByte = 0
; NumSgprs: 0
; NumVgprs: 0
; ScratchSize: 0
; MemoryBound: 0
; FloatMode: 240
; IeeeMode: 1
; LDSByteSize: 0 bytes/workgroup (compile time only)
; SGPRBlocks: 0
; VGPRBlocks: 0
; NumSGPRsForWavesPerEU: 1
; NumVGPRsForWavesPerEU: 1
; Occupancy: 16
; WaveLimiterHint : 0
; COMPUTE_PGM_RSRC2:SCRATCH_EN: 0
; COMPUTE_PGM_RSRC2:USER_SGPR: 15
; COMPUTE_PGM_RSRC2:TRAP_HANDLER: 0
; COMPUTE_PGM_RSRC2:TGID_X_EN: 1
; COMPUTE_PGM_RSRC2:TGID_Y_EN: 0
; COMPUTE_PGM_RSRC2:TGID_Z_EN: 0
; COMPUTE_PGM_RSRC2:TIDIG_COMP_CNT: 0
	.text
	.p2align	2                               ; -- Begin function _ZN7rocprim17ROCPRIM_400000_NS6detail26segmented_warp_sort_helperINS1_20WarpSortHelperConfigILj8ELj4ELj256EEEhlLi256ELb1EvE4sortIPKhPhPKlPlEEvT_T0_T1_T2_jjjjRNS5_12storage_typeE
	.type	_ZN7rocprim17ROCPRIM_400000_NS6detail26segmented_warp_sort_helperINS1_20WarpSortHelperConfigILj8ELj4ELj256EEEhlLi256ELb1EvE4sortIPKhPhPKlPlEEvT_T0_T1_T2_jjjjRNS5_12storage_typeE,@function
_ZN7rocprim17ROCPRIM_400000_NS6detail26segmented_warp_sort_helperINS1_20WarpSortHelperConfigILj8ELj4ELj256EEEhlLi256ELb1EvE4sortIPKhPhPKlPlEEvT_T0_T1_T2_jjjjRNS5_12storage_typeE: ; @_ZN7rocprim17ROCPRIM_400000_NS6detail26segmented_warp_sort_helperINS1_20WarpSortHelperConfigILj8ELj4ELj256EEEhlLi256ELb1EvE4sortIPKhPhPKlPlEEvT_T0_T1_T2_jjjjRNS5_12storage_typeE
; %bb.0:
	s_waitcnt vmcnt(0) expcnt(0) lgkmcnt(0)
	v_mbcnt_lo_u32_b32 v14, -1, 0
	v_add_co_u32 v0, vcc_lo, v0, v8
	v_add_co_ci_u32_e32 v1, vcc_lo, 0, v1, vcc_lo
	s_delay_alu instid0(VALU_DEP_3) | instskip(SKIP_1) | instid1(VALU_DEP_2)
	v_lshlrev_b32_e32 v28, 2, v14
	v_sub_nc_u32_e32 v14, v9, v8
	v_dual_mov_b32 v9, 0 :: v_dual_and_b32 v26, 28, v28
	s_delay_alu instid0(VALU_DEP_1) | instskip(NEXT) | instid1(VALU_DEP_2)
	v_mov_b32_e32 v29, v9
	v_add_co_u32 v0, vcc_lo, v0, v26
	v_add_co_ci_u32_e32 v1, vcc_lo, 0, v1, vcc_lo
	v_cmp_lt_u32_e32 vcc_lo, v26, v14
	s_and_saveexec_b32 s0, vcc_lo
	s_cbranch_execz .LBB110_2
; %bb.1:
	flat_load_u8 v29, v[0:1]
.LBB110_2:
	s_or_b32 exec_lo, exec_lo, s0
	v_or_b32_e32 v15, 1, v26
	s_delay_alu instid0(VALU_DEP_1) | instskip(NEXT) | instid1(VALU_DEP_1)
	v_cmp_lt_u32_e64 s0, v15, v14
	s_and_saveexec_b32 s1, s0
	s_cbranch_execz .LBB110_4
; %bb.3:
	flat_load_u8 v15, v[0:1] offset:1
	s_waitcnt vmcnt(0) lgkmcnt(0)
	v_lshlrev_b16 v15, 8, v15
	s_delay_alu instid0(VALU_DEP_1) | instskip(NEXT) | instid1(VALU_DEP_1)
	v_or_b32_e32 v15, v29, v15
	v_and_b32_e32 v29, 0xffff, v15
.LBB110_4:
	s_or_b32 exec_lo, exec_lo, s1
	v_or_b32_e32 v15, 2, v26
	s_delay_alu instid0(VALU_DEP_1) | instskip(NEXT) | instid1(VALU_DEP_1)
	v_cmp_lt_u32_e64 s1, v15, v14
	s_and_saveexec_b32 s2, s1
	s_cbranch_execz .LBB110_6
; %bb.5:
	flat_load_u8 v15, v[0:1] offset:2
	s_waitcnt vmcnt(0) lgkmcnt(0)
	v_lshl_or_b32 v29, v15, 16, v29
.LBB110_6:
	s_or_b32 exec_lo, exec_lo, s2
	v_or_b32_e32 v15, 3, v26
	s_delay_alu instid0(VALU_DEP_1) | instskip(NEXT) | instid1(VALU_DEP_1)
	v_cmp_lt_u32_e64 s2, v15, v14
	s_and_saveexec_b32 s3, s2
	s_cbranch_execz .LBB110_8
; %bb.7:
	flat_load_u8 v0, v[0:1] offset:3
	s_waitcnt vmcnt(1) lgkmcnt(1)
	v_lshrrev_b32_e32 v1, 16, v29
	s_waitcnt vmcnt(0) lgkmcnt(0)
	v_lshlrev_b16 v0, 8, v0
	s_delay_alu instid0(VALU_DEP_1) | instskip(NEXT) | instid1(VALU_DEP_1)
	v_or_b32_e32 v0, v1, v0
	v_lshlrev_b32_e32 v0, 16, v0
	s_delay_alu instid0(VALU_DEP_1)
	v_and_or_b32 v29, 0xffff, v29, v0
.LBB110_8:
	s_or_b32 exec_lo, exec_lo, s3
	v_lshlrev_b64 v[0:1], 3, v[8:9]
	v_lshlrev_b32_e32 v27, 3, v26
	; wave barrier
                                        ; implicit-def: $vgpr14_vgpr15
	s_delay_alu instid0(VALU_DEP_2) | instskip(NEXT) | instid1(VALU_DEP_1)
	v_add_co_u32 v4, s3, v4, v0
	v_add_co_ci_u32_e64 v5, s3, v5, v1, s3
	s_delay_alu instid0(VALU_DEP_2) | instskip(NEXT) | instid1(VALU_DEP_1)
	v_add_co_u32 v4, s3, v4, v27
	v_add_co_ci_u32_e64 v5, s3, 0, v5, s3
	s_and_saveexec_b32 s3, vcc_lo
	s_cbranch_execnz .LBB110_107
; %bb.9:
	s_or_b32 exec_lo, exec_lo, s3
	s_and_saveexec_b32 s3, s0
	s_cbranch_execnz .LBB110_108
.LBB110_10:
	s_or_b32 exec_lo, exec_lo, s3
                                        ; implicit-def: $vgpr18_vgpr19
	s_and_saveexec_b32 s3, s1
	s_cbranch_execnz .LBB110_109
.LBB110_11:
	s_or_b32 exec_lo, exec_lo, s3
	s_and_saveexec_b32 s3, s2
	s_cbranch_execz .LBB110_13
.LBB110_12:
	flat_load_b64 v[20:21], v[4:5] offset:24
.LBB110_13:
	s_or_b32 exec_lo, exec_lo, s3
	v_cmp_ne_u32_e64 s3, 0, v10
	v_cmp_ne_u32_e64 s4, 8, v11
	v_bfe_u32 v5, v31, 10, 10
	v_bfe_u32 v9, v31, 20, 10
	v_and_b32_e32 v4, 0x3ff, v31
	s_delay_alu instid0(VALU_DEP_4) | instskip(NEXT) | instid1(SALU_CYCLE_1)
	s_or_b32 s3, s3, s4
	; wave barrier
	s_and_saveexec_b32 s4, s3
	s_delay_alu instid0(SALU_CYCLE_1)
	s_xor_b32 s14, exec_lo, s4
	s_cbranch_execz .LBB110_55
; %bb.14:
	s_load_b64 s[4:5], s[8:9], 0x0
	v_mov_b32_e32 v22, 0
	v_lshlrev_b32_e64 v10, v10, -1
	s_waitcnt lgkmcnt(0)
	s_cmp_lt_u32 s13, s5
	s_cselect_b32 s3, 14, 20
	s_delay_alu instid0(SALU_CYCLE_1)
	s_add_u32 s6, s8, s3
	s_addc_u32 s7, s9, 0
	s_cmp_lt_u32 s12, s4
	global_load_u16 v23, v22, s[6:7]
	s_cselect_b32 s3, 12, 18
	s_mov_b32 s6, exec_lo
	s_add_u32 s4, s8, s3
	s_addc_u32 s5, s9, 0
	global_load_u16 v22, v22, s[4:5]
	s_waitcnt vmcnt(1)
	v_mad_u32_u24 v5, v9, v23, v5
	v_lshlrev_b32_e64 v9, v11, -1
	s_delay_alu instid0(VALU_DEP_1) | instskip(SKIP_1) | instid1(VALU_DEP_3)
	v_xor_b32_e32 v30, v9, v10
	s_waitcnt vmcnt(0)
	v_mul_lo_u32 v5, v5, v22
	s_delay_alu instid0(VALU_DEP_1) | instskip(NEXT) | instid1(VALU_DEP_1)
	v_add_lshl_u32 v11, v5, v4, 2
	v_cmpx_gt_u32_e32 0x400, v11
	s_cbranch_execz .LBB110_24
; %bb.15:
	v_lshrrev_b32_e32 v4, 8, v29
	v_and_b32_e32 v5, v29, v30
	v_perm_b32 v9, v29, v29, 0x7060405
	s_delay_alu instid0(VALU_DEP_3) | instskip(NEXT) | instid1(VALU_DEP_3)
	v_and_b32_e32 v4, v4, v30
	v_and_b32_e32 v5, 0xff, v5
	s_delay_alu instid0(VALU_DEP_2) | instskip(NEXT) | instid1(VALU_DEP_1)
	v_and_b32_e32 v4, 0xff, v4
	v_cmp_gt_u16_e64 s3, v4, v5
	s_delay_alu instid0(VALU_DEP_1) | instskip(NEXT) | instid1(VALU_DEP_1)
	v_cndmask_b32_e64 v22, v29, v9, s3
	v_lshrrev_b32_e32 v23, 16, v22
	v_lshrrev_b32_e32 v10, 24, v22
	s_delay_alu instid0(VALU_DEP_2) | instskip(NEXT) | instid1(VALU_DEP_2)
	v_and_b32_e32 v9, v23, v30
	v_and_b32_e32 v24, v10, v30
	s_delay_alu instid0(VALU_DEP_2) | instskip(NEXT) | instid1(VALU_DEP_1)
	v_and_b32_e32 v4, 0xff, v9
	v_cmp_gt_u16_e64 s4, v24, v4
	v_dual_mov_b32 v4, v18 :: v_dual_mov_b32 v5, v19
	s_delay_alu instid0(VALU_DEP_2)
	s_and_saveexec_b32 s5, s4
; %bb.16:
	v_perm_b32 v22, v22, v22, 0x6070504
	v_dual_mov_b32 v4, v20 :: v_dual_mov_b32 v5, v21
	v_dual_mov_b32 v21, v19 :: v_dual_mov_b32 v20, v18
	v_mov_b32_e32 v9, v24
	v_mov_b32_e32 v23, v10
; %bb.17:
	s_or_b32 exec_lo, exec_lo, s5
	v_lshrrev_b32_e32 v25, 8, v22
	v_cndmask_b32_e64 v19, v17, v15, s3
	v_cndmask_b32_e64 v18, v16, v14, s3
	v_and_b32_e32 v9, 0xff, v9
	s_delay_alu instid0(VALU_DEP_4) | instskip(NEXT) | instid1(VALU_DEP_1)
	v_and_b32_e32 v24, v25, v30
	v_and_b32_e32 v10, 0xff, v24
	s_delay_alu instid0(VALU_DEP_1) | instskip(SKIP_1) | instid1(VALU_DEP_2)
	v_cmp_gt_u16_e64 s4, v9, v10
	v_dual_mov_b32 v9, v18 :: v_dual_mov_b32 v10, v19
	s_and_saveexec_b32 s5, s4
	s_delay_alu instid0(SALU_CYCLE_1)
	s_xor_b32 s4, exec_lo, s5
; %bb.18:
	v_mov_b32_e32 v10, v5
	v_dual_mov_b32 v9, v4 :: v_dual_and_b32 v24, v23, v30
	v_dual_mov_b32 v4, v18 :: v_dual_mov_b32 v25, v23
	v_perm_b32 v22, v22, v23, 0x7050004
	v_mov_b32_e32 v5, v19
; %bb.19:
	s_or_b32 exec_lo, exec_lo, s4
	s_delay_alu instid0(VALU_DEP_2) | instskip(SKIP_2) | instid1(VALU_DEP_3)
	v_and_b32_e32 v18, v22, v30
	v_and_b32_e32 v19, 0xff, v24
	v_perm_b32 v23, v25, v22, 0x3020004
	v_and_b32_e32 v18, 0xff, v18
	s_delay_alu instid0(VALU_DEP_1) | instskip(NEXT) | instid1(VALU_DEP_1)
	v_cmp_gt_u16_e64 s4, v19, v18
	v_cndmask_b32_e64 v29, v22, v23, s4
	s_delay_alu instid0(VALU_DEP_1) | instskip(SKIP_1) | instid1(VALU_DEP_2)
	v_lshrrev_b32_e32 v24, 16, v29
	v_lshrrev_b32_e32 v19, 24, v29
	v_and_b32_e32 v18, v24, v30
	s_delay_alu instid0(VALU_DEP_2) | instskip(NEXT) | instid1(VALU_DEP_2)
	v_and_b32_e32 v25, v19, v30
	v_and_b32_e32 v22, 0xff, v18
	s_delay_alu instid0(VALU_DEP_1) | instskip(SKIP_1) | instid1(VALU_DEP_2)
	v_cmp_gt_u16_e64 s5, v25, v22
	v_dual_mov_b32 v23, v5 :: v_dual_mov_b32 v22, v4
	s_and_saveexec_b32 s7, s5
; %bb.20:
	v_perm_b32 v29, v29, v29, 0x6070504
	v_dual_mov_b32 v23, v21 :: v_dual_mov_b32 v22, v20
	v_dual_mov_b32 v21, v5 :: v_dual_mov_b32 v20, v4
	v_mov_b32_e32 v18, v25
	v_mov_b32_e32 v24, v19
; %bb.21:
	s_or_b32 exec_lo, exec_lo, s7
	v_lshrrev_b32_e32 v4, 8, v29
	s_delay_alu instid0(VALU_DEP_3) | instskip(SKIP_2) | instid1(VALU_DEP_4)
	v_and_b32_e32 v18, 0xff, v18
	v_cndmask_b32_e64 v5, v15, v17, s3
	v_cndmask_b32_e64 v16, v14, v16, s3
	v_and_b32_e32 v4, v4, v30
	s_delay_alu instid0(VALU_DEP_3) | instskip(NEXT) | instid1(VALU_DEP_3)
	v_cndmask_b32_e64 v15, v5, v10, s4
	v_cndmask_b32_e64 v14, v16, v9, s4
	v_cndmask_b32_e64 v17, v10, v5, s4
	s_delay_alu instid0(VALU_DEP_4) | instskip(SKIP_1) | instid1(VALU_DEP_2)
	v_and_b32_e32 v4, 0xff, v4
	v_cndmask_b32_e64 v16, v9, v16, s4
	v_cmp_gt_u16_e64 s3, v18, v4
	v_dual_mov_b32 v18, v22 :: v_dual_mov_b32 v19, v23
	s_delay_alu instid0(VALU_DEP_2)
	s_and_saveexec_b32 s4, s3
; %bb.22:
	v_perm_b32 v29, v29, v24, 0x7050004
	v_dual_mov_b32 v19, v17 :: v_dual_mov_b32 v18, v16
	v_dual_mov_b32 v16, v22 :: v_dual_mov_b32 v17, v23
; %bb.23:
	s_or_b32 exec_lo, exec_lo, s4
.LBB110_24:
	s_delay_alu instid0(SALU_CYCLE_1)
	s_or_b32 exec_lo, exec_lo, s6
	v_and_b32_e32 v11, 0xffffff80, v11
	v_or_b32_e32 v4, 4, v28
	v_lshlrev_b32_e32 v22, 3, v28
	v_and_b32_e32 v36, 0x78, v28
	s_mov_b32 s4, exec_lo
	v_sub_nc_u32_e64 v31, 0x400, v11 clamp
	v_add_co_u32 v9, s3, v12, v11
	s_delay_alu instid0(VALU_DEP_1) | instskip(NEXT) | instid1(VALU_DEP_3)
	v_add_co_ci_u32_e64 v10, s3, 0, v13, s3
	v_min_u32_e32 v34, v31, v4
	v_and_b32_e32 v13, 4, v28
	s_delay_alu instid0(VALU_DEP_3) | instskip(NEXT) | instid1(VALU_DEP_3)
	v_mad_u64_u32 v[4:5], null, v11, 7, v[9:10]
	v_add_nc_u32_e32 v12, 4, v34
	v_add_co_u32 v11, s3, v9, v28
	s_delay_alu instid0(VALU_DEP_4) | instskip(SKIP_1) | instid1(VALU_DEP_4)
	v_min_u32_e32 v37, v31, v13
	v_sub_nc_u32_e32 v13, v34, v36
	v_min_u32_e32 v35, v31, v12
	v_add_co_ci_u32_e64 v12, s3, 0, v10, s3
	v_add_co_u32 v22, s3, v4, v22
	s_delay_alu instid0(VALU_DEP_3)
	v_sub_nc_u32_e32 v24, v35, v34
	v_add_co_ci_u32_e64 v23, s3, 0, v5, s3
	v_min_u32_e32 v13, v37, v13
	s_clause 0x2
	flat_store_b128 v[22:23], v[14:17] offset:1024
	flat_store_b32 v[11:12], v29
	flat_store_b128 v[22:23], v[18:21] offset:1040
	v_sub_nc_u32_e64 v39, v37, v24 clamp
	v_add_co_u32 v24, s3, 0x400, v22
	s_delay_alu instid0(VALU_DEP_1) | instskip(NEXT) | instid1(VALU_DEP_3)
	v_add_co_ci_u32_e64 v25, s3, 0, v23, s3
	; wave barrier
	v_cmpx_lt_u32_e64 v39, v13
	s_cbranch_execz .LBB110_28
; %bb.25:
	v_add_co_u32 v32, s3, v9, v36
	s_delay_alu instid0(VALU_DEP_1) | instskip(SKIP_1) | instid1(VALU_DEP_1)
	v_add_co_ci_u32_e64 v33, s3, 0, v10, s3
	v_add_co_u32 v38, s3, v9, v34
	v_add_co_ci_u32_e64 v48, s3, 0, v10, s3
	s_mov_b32 s5, 0
	s_set_inst_prefetch_distance 0x1
	.p2align	6
.LBB110_26:                             ; =>This Inner Loop Header: Depth=1
	v_add_nc_u32_e32 v49, v13, v39
	s_delay_alu instid0(VALU_DEP_1) | instskip(NEXT) | instid1(VALU_DEP_1)
	v_lshrrev_b32_e32 v53, 1, v49
	v_xad_u32 v51, v53, -1, v37
	v_add_co_u32 v49, s3, v32, v53
	s_delay_alu instid0(VALU_DEP_1) | instskip(NEXT) | instid1(VALU_DEP_3)
	v_add_co_ci_u32_e64 v50, s3, 0, v33, s3
	v_add_co_u32 v51, s3, v38, v51
	s_delay_alu instid0(VALU_DEP_1)
	v_add_co_ci_u32_e64 v52, s3, 0, v48, s3
	s_clause 0x1
	flat_load_u8 v49, v[49:50]
	flat_load_u8 v50, v[51:52]
	v_add_nc_u32_e32 v51, 1, v53
	s_waitcnt vmcnt(1) lgkmcnt(1)
	v_and_b32_e32 v49, v49, v30
	s_waitcnt vmcnt(0) lgkmcnt(0)
	v_and_b32_e32 v50, v50, v30
	s_delay_alu instid0(VALU_DEP_2) | instskip(NEXT) | instid1(VALU_DEP_2)
	v_and_b32_e32 v49, 0xff, v49
	v_and_b32_e32 v50, 0xff, v50
	s_delay_alu instid0(VALU_DEP_1) | instskip(NEXT) | instid1(VALU_DEP_1)
	v_cmp_gt_u16_e64 s3, v50, v49
	v_cndmask_b32_e64 v13, v13, v53, s3
	v_cndmask_b32_e64 v39, v51, v39, s3
	s_delay_alu instid0(VALU_DEP_1) | instskip(NEXT) | instid1(VALU_DEP_1)
	v_cmp_ge_u32_e64 s3, v39, v13
	s_or_b32 s5, s3, s5
	s_delay_alu instid0(SALU_CYCLE_1)
	s_and_not1_b32 exec_lo, exec_lo, s5
	s_cbranch_execnz .LBB110_26
; %bb.27:
	s_set_inst_prefetch_distance 0x2
	s_or_b32 exec_lo, exec_lo, s5
.LBB110_28:
	s_delay_alu instid0(SALU_CYCLE_1)
	s_or_b32 exec_lo, exec_lo, s4
	v_add_nc_u32_e32 v37, v34, v37
	v_add_nc_u32_e32 v38, v39, v36
	v_mov_b32_e32 v36, v29
	v_lshrrev_b32_e32 v13, 16, v29
	v_lshrrev_b32_e32 v33, 8, v29
	v_sub_nc_u32_e32 v37, v37, v39
	v_cmp_le_u32_e64 s3, v38, v34
	v_lshrrev_b32_e32 v32, 24, v29
	s_delay_alu instid0(VALU_DEP_3) | instskip(NEXT) | instid1(VALU_DEP_1)
	v_cmp_le_u32_e64 s4, v37, v35
	s_or_b32 s3, s3, s4
	s_delay_alu instid0(SALU_CYCLE_1)
	s_and_saveexec_b32 s15, s3
	s_cbranch_execz .LBB110_34
; %bb.29:
	v_cmp_lt_u32_e64 s3, v38, v34
                                        ; implicit-def: $vgpr29
	s_delay_alu instid0(VALU_DEP_1)
	s_and_saveexec_b32 s5, s3
	s_cbranch_execz .LBB110_31
; %bb.30:
	v_add_co_u32 v13, s4, v9, v38
	s_delay_alu instid0(VALU_DEP_1)
	v_add_co_ci_u32_e64 v14, s4, 0, v10, s4
	flat_load_u8 v29, v[13:14]
.LBB110_31:
	s_or_b32 exec_lo, exec_lo, s5
	v_cmp_ge_u32_e64 s4, v37, v35
	s_mov_b32 s6, exec_lo
                                        ; implicit-def: $vgpr36
	v_cmpx_lt_u32_e64 v37, v35
	s_cbranch_execz .LBB110_33
; %bb.32:
	v_add_co_u32 v13, s5, v9, v37
	s_delay_alu instid0(VALU_DEP_1)
	v_add_co_ci_u32_e64 v14, s5, 0, v10, s5
	flat_load_u8 v36, v[13:14]
.LBB110_33:
	s_or_b32 exec_lo, exec_lo, s6
	s_waitcnt vmcnt(0) lgkmcnt(0)
	v_and_b32_e32 v13, v36, v30
	v_and_b32_e32 v14, v29, v30
	s_delay_alu instid0(VALU_DEP_2) | instskip(NEXT) | instid1(VALU_DEP_2)
	v_and_b32_e32 v13, 0xff, v13
	v_and_b32_e32 v14, 0xff, v14
	s_delay_alu instid0(VALU_DEP_1) | instskip(NEXT) | instid1(VALU_DEP_1)
	v_cmp_le_u16_e64 s5, v13, v14
	s_and_b32 s3, s3, s5
	s_delay_alu instid0(SALU_CYCLE_1) | instskip(NEXT) | instid1(SALU_CYCLE_1)
	s_or_b32 s3, s4, s3
	v_cndmask_b32_e64 v13, v37, v38, s3
	v_cndmask_b32_e64 v14, v35, v34, s3
	s_delay_alu instid0(VALU_DEP_2) | instskip(NEXT) | instid1(VALU_DEP_2)
	v_add_nc_u32_e32 v16, 1, v13
	v_add_nc_u32_e32 v14, -1, v14
	s_delay_alu instid0(VALU_DEP_2) | instskip(NEXT) | instid1(VALU_DEP_2)
	v_cndmask_b32_e64 v19, v38, v16, s3
	v_min_u32_e32 v14, v16, v14
	v_cndmask_b32_e64 v20, v16, v37, s3
	s_delay_alu instid0(VALU_DEP_2) | instskip(NEXT) | instid1(VALU_DEP_1)
	v_add_co_u32 v14, s4, v9, v14
	v_add_co_ci_u32_e64 v15, s4, 0, v10, s4
	v_cmp_lt_u32_e64 s4, v19, v34
	s_delay_alu instid0(VALU_DEP_4)
	v_cmp_ge_u32_e64 s6, v20, v35
	flat_load_u8 v14, v[14:15]
	s_waitcnt vmcnt(0) lgkmcnt(0)
	v_cndmask_b32_e64 v39, v14, v36, s3
	v_cndmask_b32_e64 v48, v29, v14, s3
	;; [unrolled: 1-line block ×3, first 2 shown]
	s_delay_alu instid0(VALU_DEP_3) | instskip(NEXT) | instid1(VALU_DEP_3)
	v_and_b32_e32 v14, v39, v30
	v_and_b32_e32 v15, v48, v30
	s_delay_alu instid0(VALU_DEP_2) | instskip(NEXT) | instid1(VALU_DEP_2)
	v_and_b32_e32 v14, 0xff, v14
	v_and_b32_e32 v15, 0xff, v15
	s_delay_alu instid0(VALU_DEP_1) | instskip(SKIP_1) | instid1(VALU_DEP_2)
	v_cmp_le_u16_e64 s5, v14, v15
	v_mov_b32_e32 v14, 0
	s_and_b32 s4, s4, s5
	s_delay_alu instid0(VALU_DEP_1) | instskip(SKIP_1) | instid1(SALU_CYCLE_1)
	v_lshlrev_b64 v[15:16], 3, v[13:14]
	s_or_b32 s4, s6, s4
	v_cndmask_b32_e64 v13, v20, v19, s4
	v_cndmask_b32_e64 v17, v35, v34, s4
	s_delay_alu instid0(VALU_DEP_3) | instskip(NEXT) | instid1(VALU_DEP_3)
	v_add_co_u32 v15, s11, v4, v15
	v_add_nc_u32_e32 v21, 1, v13
	s_delay_alu instid0(VALU_DEP_3) | instskip(SKIP_1) | instid1(VALU_DEP_3)
	v_add_nc_u32_e32 v17, -1, v17
	v_add_co_ci_u32_e64 v16, s11, v5, v16, s11
	v_cndmask_b32_e64 v32, v19, v21, s4
	s_delay_alu instid0(VALU_DEP_3) | instskip(SKIP_1) | instid1(VALU_DEP_2)
	v_min_u32_e32 v17, v21, v17
	v_cndmask_b32_e64 v21, v21, v20, s4
	v_add_co_u32 v17, s5, v9, v17
	s_delay_alu instid0(VALU_DEP_1) | instskip(SKIP_1) | instid1(VALU_DEP_4)
	v_add_co_ci_u32_e64 v18, s5, 0, v10, s5
	v_cmp_lt_u32_e64 s5, v32, v34
	v_cmp_ge_u32_e64 s7, v21, v35
	flat_load_u8 v17, v[17:18]
	s_waitcnt vmcnt(0) lgkmcnt(0)
	v_cndmask_b32_e64 v37, v17, v39, s4
	v_cndmask_b32_e64 v38, v48, v17, s4
	s_delay_alu instid0(VALU_DEP_2) | instskip(NEXT) | instid1(VALU_DEP_2)
	v_and_b32_e32 v17, v37, v30
	v_and_b32_e32 v18, v38, v30
	s_delay_alu instid0(VALU_DEP_2) | instskip(NEXT) | instid1(VALU_DEP_2)
	v_and_b32_e32 v17, 0xff, v17
	v_and_b32_e32 v18, 0xff, v18
	s_delay_alu instid0(VALU_DEP_1) | instskip(SKIP_1) | instid1(VALU_DEP_2)
	v_cmp_le_u16_e64 s6, v17, v18
	v_lshlrev_b64 v[17:18], 3, v[13:14]
	s_and_b32 s5, s5, s6
	s_delay_alu instid0(SALU_CYCLE_1) | instskip(NEXT) | instid1(SALU_CYCLE_1)
	s_or_b32 s5, s7, s5
	v_cndmask_b32_e64 v13, v21, v32, s5
	v_cndmask_b32_e64 v19, v35, v34, s5
	s_delay_alu instid0(VALU_DEP_2) | instskip(NEXT) | instid1(VALU_DEP_2)
	v_add_nc_u32_e32 v33, 1, v13
	v_add_nc_u32_e32 v19, -1, v19
	s_delay_alu instid0(VALU_DEP_2) | instskip(NEXT) | instid1(VALU_DEP_2)
	v_cndmask_b32_e64 v32, v32, v33, s5
	v_min_u32_e32 v19, v33, v19
	v_cndmask_b32_e64 v21, v33, v21, s5
	s_delay_alu instid0(VALU_DEP_3) | instskip(NEXT) | instid1(VALU_DEP_3)
	v_cmp_lt_u32_e64 s7, v32, v34
	v_add_co_u32 v19, s6, v9, v19
	s_delay_alu instid0(VALU_DEP_1) | instskip(NEXT) | instid1(VALU_DEP_4)
	v_add_co_ci_u32_e64 v20, s6, 0, v10, s6
	v_cmp_ge_u32_e64 s6, v21, v35
	flat_load_u8 v19, v[19:20]
	s_waitcnt vmcnt(0) lgkmcnt(0)
	v_cndmask_b32_e64 v49, v19, v37, s5
	v_cndmask_b32_e64 v50, v38, v19, s5
	s_delay_alu instid0(VALU_DEP_2) | instskip(NEXT) | instid1(VALU_DEP_2)
	v_and_b32_e32 v19, v49, v30
	v_and_b32_e32 v20, v50, v30
	s_delay_alu instid0(VALU_DEP_2) | instskip(NEXT) | instid1(VALU_DEP_2)
	v_and_b32_e32 v19, 0xff, v19
	v_and_b32_e32 v20, 0xff, v20
	s_delay_alu instid0(VALU_DEP_1) | instskip(SKIP_1) | instid1(VALU_DEP_2)
	v_cmp_le_u16_e64 s10, v19, v20
	v_lshlrev_b64 v[19:20], 3, v[13:14]
	s_and_b32 s7, s7, s10
	s_delay_alu instid0(SALU_CYCLE_1) | instskip(SKIP_4) | instid1(VALU_DEP_3)
	s_or_b32 s6, s6, s7
	v_add_co_u32 v17, s7, v4, v17
	v_cndmask_b32_e64 v13, v21, v32, s6
	v_add_co_ci_u32_e64 v18, s7, v5, v18, s7
	v_add_co_u32 v19, s7, v4, v19
	v_lshlrev_b64 v[13:14], 3, v[13:14]
	v_add_co_ci_u32_e64 v20, s7, v5, v20, s7
	s_delay_alu instid0(VALU_DEP_2) | instskip(NEXT) | instid1(VALU_DEP_1)
	v_add_co_u32 v32, s7, v4, v13
	v_add_co_ci_u32_e64 v33, s7, v5, v14, s7
	s_clause 0x3
	flat_load_b64 v[14:15], v[15:16] offset:1024
	flat_load_b64 v[16:17], v[17:18] offset:1024
	;; [unrolled: 1-line block ×4, first 2 shown]
	v_cndmask_b32_e64 v32, v49, v50, s6
	v_cndmask_b32_e64 v13, v37, v38, s5
	;; [unrolled: 1-line block ×3, first 2 shown]
	v_and_b32_e32 v37, 0xff, v36
	s_delay_alu instid0(VALU_DEP_4) | instskip(NEXT) | instid1(VALU_DEP_4)
	v_lshlrev_b16 v29, 8, v32
	v_and_b32_e32 v34, 0xff, v13
	s_delay_alu instid0(VALU_DEP_4) | instskip(NEXT) | instid1(VALU_DEP_2)
	v_lshlrev_b16 v35, 8, v33
	v_or_b32_e32 v29, v34, v29
	s_delay_alu instid0(VALU_DEP_2) | instskip(NEXT) | instid1(VALU_DEP_2)
	v_or_b32_e32 v34, v37, v35
	v_lshlrev_b32_e32 v29, 16, v29
	s_delay_alu instid0(VALU_DEP_2) | instskip(NEXT) | instid1(VALU_DEP_1)
	v_and_b32_e32 v34, 0xffff, v34
	v_or_b32_e32 v29, v34, v29
.LBB110_34:
	s_or_b32 exec_lo, exec_lo, s15
	v_and_b32_e32 v37, 0x70, v28
	v_lshlrev_b16 v38, 8, v33
	v_and_b32_e32 v39, 0xff, v36
	v_lshlrev_b16 v48, 8, v32
	v_and_b32_e32 v49, 0xff, v13
	v_or_b32_e32 v34, 8, v37
	v_and_b32_e32 v50, 12, v28
	v_or_b32_e32 v39, v39, v38
	s_mov_b32 s4, exec_lo
	v_or_b32_e32 v48, v49, v48
	v_min_u32_e32 v34, v31, v34
	v_min_u32_e32 v38, v31, v50
	v_and_b32_e32 v51, 0xffff, v39
	s_delay_alu instid0(VALU_DEP_4) | instskip(NEXT) | instid1(VALU_DEP_4)
	v_lshlrev_b32_e32 v52, 16, v48
	v_add_nc_u32_e32 v35, 8, v34
	v_sub_nc_u32_e32 v49, v34, v37
	; wave barrier
	s_delay_alu instid0(VALU_DEP_2) | instskip(NEXT) | instid1(VALU_DEP_2)
	v_min_u32_e32 v35, v31, v35
	v_min_u32_e32 v48, v38, v49
	v_or_b32_e32 v49, v51, v52
	s_waitcnt vmcnt(2) lgkmcnt(2)
	s_clause 0x1
	flat_store_b128 v[22:23], v[14:17] offset:1024
	flat_store_b32 v[11:12], v49
	s_waitcnt vmcnt(0) lgkmcnt(2)
	flat_store_b128 v[24:25], v[18:21] offset:16
	v_sub_nc_u32_e32 v50, v35, v34
	; wave barrier
	s_delay_alu instid0(VALU_DEP_1) | instskip(NEXT) | instid1(VALU_DEP_1)
	v_sub_nc_u32_e64 v39, v38, v50 clamp
	v_cmpx_lt_u32_e64 v39, v48
	s_cbranch_execz .LBB110_38
; %bb.35:
	v_add_co_u32 v49, s3, v9, v37
	s_delay_alu instid0(VALU_DEP_1) | instskip(SKIP_1) | instid1(VALU_DEP_1)
	v_add_co_ci_u32_e64 v50, s3, 0, v10, s3
	v_add_co_u32 v51, s3, v9, v34
	v_add_co_ci_u32_e64 v52, s3, 0, v10, s3
	s_mov_b32 s5, 0
	s_set_inst_prefetch_distance 0x1
	.p2align	6
.LBB110_36:                             ; =>This Inner Loop Header: Depth=1
	v_add_nc_u32_e32 v53, v48, v39
	s_delay_alu instid0(VALU_DEP_1) | instskip(NEXT) | instid1(VALU_DEP_1)
	v_lshrrev_b32_e32 v55, 1, v53
	v_xad_u32 v64, v55, -1, v38
	v_add_co_u32 v53, s3, v49, v55
	s_delay_alu instid0(VALU_DEP_1) | instskip(NEXT) | instid1(VALU_DEP_3)
	v_add_co_ci_u32_e64 v54, s3, 0, v50, s3
	v_add_co_u32 v64, s3, v51, v64
	s_delay_alu instid0(VALU_DEP_1)
	v_add_co_ci_u32_e64 v65, s3, 0, v52, s3
	s_clause 0x1
	flat_load_u8 v53, v[53:54]
	flat_load_u8 v54, v[64:65]
	v_add_nc_u32_e32 v64, 1, v55
	s_waitcnt vmcnt(1) lgkmcnt(1)
	v_and_b32_e32 v53, v53, v30
	s_waitcnt vmcnt(0) lgkmcnt(0)
	v_and_b32_e32 v54, v54, v30
	s_delay_alu instid0(VALU_DEP_2) | instskip(NEXT) | instid1(VALU_DEP_2)
	v_and_b32_e32 v53, 0xff, v53
	v_and_b32_e32 v54, 0xff, v54
	s_delay_alu instid0(VALU_DEP_1) | instskip(NEXT) | instid1(VALU_DEP_1)
	v_cmp_gt_u16_e64 s3, v54, v53
	v_cndmask_b32_e64 v48, v48, v55, s3
	v_cndmask_b32_e64 v39, v64, v39, s3
	s_delay_alu instid0(VALU_DEP_1) | instskip(NEXT) | instid1(VALU_DEP_1)
	v_cmp_ge_u32_e64 s3, v39, v48
	s_or_b32 s5, s3, s5
	s_delay_alu instid0(SALU_CYCLE_1)
	s_and_not1_b32 exec_lo, exec_lo, s5
	s_cbranch_execnz .LBB110_36
; %bb.37:
	s_set_inst_prefetch_distance 0x2
	s_or_b32 exec_lo, exec_lo, s5
.LBB110_38:
	s_delay_alu instid0(SALU_CYCLE_1) | instskip(SKIP_2) | instid1(VALU_DEP_2)
	s_or_b32 exec_lo, exec_lo, s4
	v_add_nc_u32_e32 v48, v34, v38
	v_add_nc_u32_e32 v38, v39, v37
	v_sub_nc_u32_e32 v37, v48, v39
	s_delay_alu instid0(VALU_DEP_2) | instskip(NEXT) | instid1(VALU_DEP_2)
	v_cmp_le_u32_e64 s3, v38, v34
	v_cmp_le_u32_e64 s4, v37, v35
	s_delay_alu instid0(VALU_DEP_1) | instskip(NEXT) | instid1(SALU_CYCLE_1)
	s_or_b32 s3, s3, s4
	s_and_saveexec_b32 s15, s3
	s_cbranch_execz .LBB110_44
; %bb.39:
	v_cmp_lt_u32_e64 s3, v38, v34
                                        ; implicit-def: $vgpr29
	s_delay_alu instid0(VALU_DEP_1)
	s_and_saveexec_b32 s5, s3
	s_cbranch_execz .LBB110_41
; %bb.40:
	v_add_co_u32 v13, s4, v9, v38
	s_delay_alu instid0(VALU_DEP_1)
	v_add_co_ci_u32_e64 v14, s4, 0, v10, s4
	flat_load_u8 v29, v[13:14]
.LBB110_41:
	s_or_b32 exec_lo, exec_lo, s5
	v_cmp_ge_u32_e64 s4, v37, v35
	s_mov_b32 s6, exec_lo
                                        ; implicit-def: $vgpr36
	v_cmpx_lt_u32_e64 v37, v35
	s_cbranch_execz .LBB110_43
; %bb.42:
	v_add_co_u32 v13, s5, v9, v37
	s_delay_alu instid0(VALU_DEP_1)
	v_add_co_ci_u32_e64 v14, s5, 0, v10, s5
	flat_load_u8 v36, v[13:14]
.LBB110_43:
	s_or_b32 exec_lo, exec_lo, s6
	s_waitcnt vmcnt(0) lgkmcnt(0)
	v_and_b32_e32 v13, v36, v30
	v_and_b32_e32 v14, v29, v30
	s_delay_alu instid0(VALU_DEP_2) | instskip(NEXT) | instid1(VALU_DEP_2)
	v_and_b32_e32 v13, 0xff, v13
	v_and_b32_e32 v14, 0xff, v14
	s_delay_alu instid0(VALU_DEP_1) | instskip(NEXT) | instid1(VALU_DEP_1)
	v_cmp_le_u16_e64 s5, v13, v14
	s_and_b32 s3, s3, s5
	s_delay_alu instid0(SALU_CYCLE_1) | instskip(NEXT) | instid1(SALU_CYCLE_1)
	s_or_b32 s3, s4, s3
	v_cndmask_b32_e64 v13, v37, v38, s3
	v_cndmask_b32_e64 v14, v35, v34, s3
	s_delay_alu instid0(VALU_DEP_2) | instskip(NEXT) | instid1(VALU_DEP_2)
	v_add_nc_u32_e32 v16, 1, v13
	v_add_nc_u32_e32 v14, -1, v14
	s_delay_alu instid0(VALU_DEP_2) | instskip(NEXT) | instid1(VALU_DEP_2)
	v_cndmask_b32_e64 v19, v38, v16, s3
	v_min_u32_e32 v14, v16, v14
	v_cndmask_b32_e64 v20, v16, v37, s3
	s_delay_alu instid0(VALU_DEP_2) | instskip(NEXT) | instid1(VALU_DEP_1)
	v_add_co_u32 v14, s4, v9, v14
	v_add_co_ci_u32_e64 v15, s4, 0, v10, s4
	v_cmp_lt_u32_e64 s4, v19, v34
	s_delay_alu instid0(VALU_DEP_4)
	v_cmp_ge_u32_e64 s6, v20, v35
	flat_load_u8 v14, v[14:15]
	s_waitcnt vmcnt(0) lgkmcnt(0)
	v_cndmask_b32_e64 v39, v14, v36, s3
	v_cndmask_b32_e64 v48, v29, v14, s3
	;; [unrolled: 1-line block ×3, first 2 shown]
	s_delay_alu instid0(VALU_DEP_3) | instskip(NEXT) | instid1(VALU_DEP_3)
	v_and_b32_e32 v14, v39, v30
	v_and_b32_e32 v15, v48, v30
	s_delay_alu instid0(VALU_DEP_2) | instskip(NEXT) | instid1(VALU_DEP_2)
	v_and_b32_e32 v14, 0xff, v14
	v_and_b32_e32 v15, 0xff, v15
	s_delay_alu instid0(VALU_DEP_1) | instskip(SKIP_1) | instid1(VALU_DEP_2)
	v_cmp_le_u16_e64 s5, v14, v15
	v_mov_b32_e32 v14, 0
	s_and_b32 s4, s4, s5
	s_delay_alu instid0(VALU_DEP_1) | instskip(SKIP_1) | instid1(SALU_CYCLE_1)
	v_lshlrev_b64 v[15:16], 3, v[13:14]
	s_or_b32 s4, s6, s4
	v_cndmask_b32_e64 v13, v20, v19, s4
	v_cndmask_b32_e64 v17, v35, v34, s4
	s_delay_alu instid0(VALU_DEP_3) | instskip(NEXT) | instid1(VALU_DEP_3)
	v_add_co_u32 v15, s11, v4, v15
	v_add_nc_u32_e32 v21, 1, v13
	s_delay_alu instid0(VALU_DEP_3) | instskip(SKIP_1) | instid1(VALU_DEP_3)
	v_add_nc_u32_e32 v17, -1, v17
	v_add_co_ci_u32_e64 v16, s11, v5, v16, s11
	v_cndmask_b32_e64 v32, v19, v21, s4
	s_delay_alu instid0(VALU_DEP_3) | instskip(SKIP_1) | instid1(VALU_DEP_2)
	v_min_u32_e32 v17, v21, v17
	v_cndmask_b32_e64 v21, v21, v20, s4
	v_add_co_u32 v17, s5, v9, v17
	s_delay_alu instid0(VALU_DEP_1) | instskip(SKIP_1) | instid1(VALU_DEP_4)
	v_add_co_ci_u32_e64 v18, s5, 0, v10, s5
	v_cmp_lt_u32_e64 s5, v32, v34
	v_cmp_ge_u32_e64 s7, v21, v35
	flat_load_u8 v17, v[17:18]
	s_waitcnt vmcnt(0) lgkmcnt(0)
	v_cndmask_b32_e64 v37, v17, v39, s4
	v_cndmask_b32_e64 v38, v48, v17, s4
	s_delay_alu instid0(VALU_DEP_2) | instskip(NEXT) | instid1(VALU_DEP_2)
	v_and_b32_e32 v17, v37, v30
	v_and_b32_e32 v18, v38, v30
	s_delay_alu instid0(VALU_DEP_2) | instskip(NEXT) | instid1(VALU_DEP_2)
	v_and_b32_e32 v17, 0xff, v17
	v_and_b32_e32 v18, 0xff, v18
	s_delay_alu instid0(VALU_DEP_1) | instskip(SKIP_1) | instid1(VALU_DEP_2)
	v_cmp_le_u16_e64 s6, v17, v18
	v_lshlrev_b64 v[17:18], 3, v[13:14]
	s_and_b32 s5, s5, s6
	s_delay_alu instid0(SALU_CYCLE_1) | instskip(NEXT) | instid1(SALU_CYCLE_1)
	s_or_b32 s5, s7, s5
	v_cndmask_b32_e64 v13, v21, v32, s5
	v_cndmask_b32_e64 v19, v35, v34, s5
	s_delay_alu instid0(VALU_DEP_2) | instskip(NEXT) | instid1(VALU_DEP_2)
	v_add_nc_u32_e32 v33, 1, v13
	v_add_nc_u32_e32 v19, -1, v19
	s_delay_alu instid0(VALU_DEP_2) | instskip(NEXT) | instid1(VALU_DEP_2)
	v_cndmask_b32_e64 v32, v32, v33, s5
	v_min_u32_e32 v19, v33, v19
	v_cndmask_b32_e64 v21, v33, v21, s5
	s_delay_alu instid0(VALU_DEP_3) | instskip(NEXT) | instid1(VALU_DEP_3)
	v_cmp_lt_u32_e64 s7, v32, v34
	v_add_co_u32 v19, s6, v9, v19
	s_delay_alu instid0(VALU_DEP_1) | instskip(NEXT) | instid1(VALU_DEP_4)
	v_add_co_ci_u32_e64 v20, s6, 0, v10, s6
	v_cmp_ge_u32_e64 s6, v21, v35
	flat_load_u8 v19, v[19:20]
	s_waitcnt vmcnt(0) lgkmcnt(0)
	v_cndmask_b32_e64 v49, v19, v37, s5
	v_cndmask_b32_e64 v50, v38, v19, s5
	s_delay_alu instid0(VALU_DEP_2) | instskip(NEXT) | instid1(VALU_DEP_2)
	v_and_b32_e32 v19, v49, v30
	v_and_b32_e32 v20, v50, v30
	s_delay_alu instid0(VALU_DEP_2) | instskip(NEXT) | instid1(VALU_DEP_2)
	v_and_b32_e32 v19, 0xff, v19
	v_and_b32_e32 v20, 0xff, v20
	s_delay_alu instid0(VALU_DEP_1) | instskip(SKIP_1) | instid1(VALU_DEP_2)
	v_cmp_le_u16_e64 s10, v19, v20
	v_lshlrev_b64 v[19:20], 3, v[13:14]
	s_and_b32 s7, s7, s10
	s_delay_alu instid0(SALU_CYCLE_1) | instskip(SKIP_4) | instid1(VALU_DEP_3)
	s_or_b32 s6, s6, s7
	v_add_co_u32 v17, s7, v4, v17
	v_cndmask_b32_e64 v13, v21, v32, s6
	v_add_co_ci_u32_e64 v18, s7, v5, v18, s7
	v_add_co_u32 v19, s7, v4, v19
	v_lshlrev_b64 v[13:14], 3, v[13:14]
	v_add_co_ci_u32_e64 v20, s7, v5, v20, s7
	s_delay_alu instid0(VALU_DEP_2) | instskip(NEXT) | instid1(VALU_DEP_1)
	v_add_co_u32 v32, s7, v4, v13
	v_add_co_ci_u32_e64 v33, s7, v5, v14, s7
	s_clause 0x3
	flat_load_b64 v[14:15], v[15:16] offset:1024
	flat_load_b64 v[16:17], v[17:18] offset:1024
	;; [unrolled: 1-line block ×4, first 2 shown]
	v_cndmask_b32_e64 v32, v49, v50, s6
	v_cndmask_b32_e64 v13, v37, v38, s5
	;; [unrolled: 1-line block ×3, first 2 shown]
	v_and_b32_e32 v37, 0xff, v36
	s_delay_alu instid0(VALU_DEP_4) | instskip(NEXT) | instid1(VALU_DEP_4)
	v_lshlrev_b16 v29, 8, v32
	v_and_b32_e32 v34, 0xff, v13
	s_delay_alu instid0(VALU_DEP_4) | instskip(NEXT) | instid1(VALU_DEP_2)
	v_lshlrev_b16 v35, 8, v33
	v_or_b32_e32 v29, v34, v29
	s_delay_alu instid0(VALU_DEP_2) | instskip(NEXT) | instid1(VALU_DEP_2)
	v_or_b32_e32 v34, v37, v35
	v_lshlrev_b32_e32 v29, 16, v29
	s_delay_alu instid0(VALU_DEP_2) | instskip(NEXT) | instid1(VALU_DEP_1)
	v_and_b32_e32 v34, 0xffff, v34
	v_or_b32_e32 v29, v34, v29
.LBB110_44:
	s_or_b32 exec_lo, exec_lo, s15
	v_and_b32_e32 v34, 0x60, v28
	v_and_b32_e32 v35, 0xff, v36
	v_lshlrev_b16 v33, 8, v33
	v_lshlrev_b16 v32, 8, v32
	v_and_b32_e32 v37, 0xff, v13
	v_or_b32_e32 v28, 16, v34
	s_mov_b32 s4, exec_lo
	v_or_b32_e32 v33, v35, v33
	s_delay_alu instid0(VALU_DEP_3) | instskip(NEXT) | instid1(VALU_DEP_3)
	v_or_b32_e32 v32, v37, v32
	v_min_u32_e32 v28, v31, v28
	; wave barrier
	s_delay_alu instid0(VALU_DEP_3) | instskip(NEXT) | instid1(VALU_DEP_3)
	v_and_b32_e32 v37, 0xffff, v33
	v_lshlrev_b32_e32 v38, 16, v32
	s_delay_alu instid0(VALU_DEP_3) | instskip(SKIP_1) | instid1(VALU_DEP_2)
	v_add_nc_u32_e32 v36, 16, v28
	v_sub_nc_u32_e32 v35, v28, v34
	v_min_u32_e32 v13, v31, v36
	v_min_u32_e32 v31, v31, v26
	s_delay_alu instid0(VALU_DEP_2) | instskip(NEXT) | instid1(VALU_DEP_2)
	v_sub_nc_u32_e32 v36, v13, v28
	v_min_u32_e32 v33, v31, v35
	v_or_b32_e32 v35, v37, v38
	s_waitcnt vmcnt(2) lgkmcnt(2)
	s_clause 0x1
	flat_store_b128 v[22:23], v[14:17] offset:1024
	flat_store_b32 v[11:12], v35
	s_waitcnt vmcnt(0) lgkmcnt(2)
	flat_store_b128 v[24:25], v[18:21] offset:16
	v_sub_nc_u32_e64 v32, v31, v36 clamp
	; wave barrier
	s_delay_alu instid0(VALU_DEP_1)
	v_cmpx_lt_u32_e64 v32, v33
	s_cbranch_execz .LBB110_48
; %bb.45:
	v_add_co_u32 v11, s3, v9, v34
	s_delay_alu instid0(VALU_DEP_1) | instskip(SKIP_1) | instid1(VALU_DEP_1)
	v_add_co_ci_u32_e64 v12, s3, 0, v10, s3
	v_add_co_u32 v22, s3, v9, v28
	v_add_co_ci_u32_e64 v23, s3, 0, v10, s3
	s_mov_b32 s5, 0
	s_set_inst_prefetch_distance 0x1
	.p2align	6
.LBB110_46:                             ; =>This Inner Loop Header: Depth=1
	v_add_nc_u32_e32 v24, v33, v32
	s_delay_alu instid0(VALU_DEP_1) | instskip(NEXT) | instid1(VALU_DEP_1)
	v_lshrrev_b32_e32 v37, 1, v24
	v_xad_u32 v35, v37, -1, v31
	v_add_co_u32 v24, s3, v11, v37
	s_delay_alu instid0(VALU_DEP_1) | instskip(NEXT) | instid1(VALU_DEP_3)
	v_add_co_ci_u32_e64 v25, s3, 0, v12, s3
	v_add_co_u32 v35, s3, v22, v35
	s_delay_alu instid0(VALU_DEP_1)
	v_add_co_ci_u32_e64 v36, s3, 0, v23, s3
	s_clause 0x1
	flat_load_u8 v24, v[24:25]
	flat_load_u8 v25, v[35:36]
	v_add_nc_u32_e32 v35, 1, v37
	s_waitcnt vmcnt(1) lgkmcnt(1)
	v_and_b32_e32 v24, v24, v30
	s_waitcnt vmcnt(0) lgkmcnt(0)
	v_and_b32_e32 v25, v25, v30
	s_delay_alu instid0(VALU_DEP_2) | instskip(NEXT) | instid1(VALU_DEP_2)
	v_and_b32_e32 v24, 0xff, v24
	v_and_b32_e32 v25, 0xff, v25
	s_delay_alu instid0(VALU_DEP_1) | instskip(NEXT) | instid1(VALU_DEP_1)
	v_cmp_gt_u16_e64 s3, v25, v24
	v_cndmask_b32_e64 v33, v33, v37, s3
	v_cndmask_b32_e64 v32, v35, v32, s3
	s_delay_alu instid0(VALU_DEP_1) | instskip(NEXT) | instid1(VALU_DEP_1)
	v_cmp_ge_u32_e64 s3, v32, v33
	s_or_b32 s5, s3, s5
	s_delay_alu instid0(SALU_CYCLE_1)
	s_and_not1_b32 exec_lo, exec_lo, s5
	s_cbranch_execnz .LBB110_46
; %bb.47:
	s_set_inst_prefetch_distance 0x2
	s_or_b32 exec_lo, exec_lo, s5
.LBB110_48:
	s_delay_alu instid0(SALU_CYCLE_1) | instskip(SKIP_2) | instid1(VALU_DEP_2)
	s_or_b32 exec_lo, exec_lo, s4
	v_add_nc_u32_e32 v11, v28, v31
	v_add_nc_u32_e32 v23, v32, v34
	v_sub_nc_u32_e32 v22, v11, v32
	s_delay_alu instid0(VALU_DEP_2) | instskip(NEXT) | instid1(VALU_DEP_2)
	v_cmp_le_u32_e64 s3, v23, v28
	v_cmp_le_u32_e64 s4, v22, v13
	s_delay_alu instid0(VALU_DEP_1) | instskip(NEXT) | instid1(SALU_CYCLE_1)
	s_or_b32 s3, s3, s4
	s_and_saveexec_b32 s15, s3
	s_cbranch_execz .LBB110_54
; %bb.49:
	v_cmp_lt_u32_e64 s3, v23, v28
                                        ; implicit-def: $vgpr11
	s_delay_alu instid0(VALU_DEP_1)
	s_and_saveexec_b32 s5, s3
	s_cbranch_execz .LBB110_51
; %bb.50:
	v_add_co_u32 v11, s4, v9, v23
	s_delay_alu instid0(VALU_DEP_1)
	v_add_co_ci_u32_e64 v12, s4, 0, v10, s4
	flat_load_u8 v11, v[11:12]
.LBB110_51:
	s_or_b32 exec_lo, exec_lo, s5
	v_cmp_ge_u32_e64 s4, v22, v13
	s_mov_b32 s6, exec_lo
                                        ; implicit-def: $vgpr12
	v_cmpx_lt_u32_e64 v22, v13
	s_cbranch_execz .LBB110_53
; %bb.52:
	v_add_co_u32 v14, s5, v9, v22
	s_delay_alu instid0(VALU_DEP_1)
	v_add_co_ci_u32_e64 v15, s5, 0, v10, s5
	flat_load_u8 v12, v[14:15]
.LBB110_53:
	s_or_b32 exec_lo, exec_lo, s6
	s_waitcnt vmcnt(0) lgkmcnt(0)
	v_and_b32_e32 v14, v12, v30
	v_and_b32_e32 v15, v11, v30
	s_delay_alu instid0(VALU_DEP_2) | instskip(NEXT) | instid1(VALU_DEP_2)
	v_and_b32_e32 v14, 0xff, v14
	v_and_b32_e32 v15, 0xff, v15
	s_delay_alu instid0(VALU_DEP_1) | instskip(NEXT) | instid1(VALU_DEP_1)
	v_cmp_le_u16_e64 s5, v14, v15
	s_and_b32 s3, s3, s5
	s_delay_alu instid0(SALU_CYCLE_1) | instskip(NEXT) | instid1(SALU_CYCLE_1)
	s_or_b32 s3, s4, s3
	v_cndmask_b32_e64 v14, v22, v23, s3
	v_cndmask_b32_e64 v15, v13, v28, s3
	s_delay_alu instid0(VALU_DEP_2) | instskip(NEXT) | instid1(VALU_DEP_2)
	v_add_nc_u32_e32 v17, 1, v14
	v_add_nc_u32_e32 v15, -1, v15
	s_delay_alu instid0(VALU_DEP_2) | instskip(NEXT) | instid1(VALU_DEP_2)
	v_cndmask_b32_e64 v20, v23, v17, s3
	v_min_u32_e32 v15, v17, v15
	v_cndmask_b32_e64 v21, v17, v22, s3
	s_delay_alu instid0(VALU_DEP_2) | instskip(NEXT) | instid1(VALU_DEP_1)
	v_add_co_u32 v15, s4, v9, v15
	v_add_co_ci_u32_e64 v16, s4, 0, v10, s4
	v_cmp_lt_u32_e64 s4, v20, v28
	s_delay_alu instid0(VALU_DEP_4) | instskip(SKIP_4) | instid1(VALU_DEP_2)
	v_cmp_ge_u32_e64 s6, v21, v13
	flat_load_u8 v15, v[15:16]
	s_waitcnt vmcnt(0) lgkmcnt(0)
	v_cndmask_b32_e64 v24, v15, v12, s3
	v_cndmask_b32_e64 v25, v11, v15, s3
	v_and_b32_e32 v15, v24, v30
	s_delay_alu instid0(VALU_DEP_2) | instskip(NEXT) | instid1(VALU_DEP_2)
	v_and_b32_e32 v16, v25, v30
	v_and_b32_e32 v15, 0xff, v15
	s_delay_alu instid0(VALU_DEP_2) | instskip(NEXT) | instid1(VALU_DEP_1)
	v_and_b32_e32 v16, 0xff, v16
	v_cmp_le_u16_e64 s5, v15, v16
	v_mov_b32_e32 v15, 0
	s_delay_alu instid0(VALU_DEP_2) | instskip(NEXT) | instid1(VALU_DEP_1)
	s_and_b32 s4, s4, s5
	v_lshlrev_b64 v[16:17], 3, v[14:15]
	s_or_b32 s4, s6, s4
	s_delay_alu instid0(SALU_CYCLE_1) | instskip(SKIP_1) | instid1(VALU_DEP_2)
	v_cndmask_b32_e64 v14, v21, v20, s4
	v_cndmask_b32_e64 v18, v13, v28, s4
	v_add_nc_u32_e32 v22, 1, v14
	s_delay_alu instid0(VALU_DEP_2) | instskip(NEXT) | instid1(VALU_DEP_2)
	v_add_nc_u32_e32 v18, -1, v18
	v_cndmask_b32_e64 v20, v20, v22, s4
	s_delay_alu instid0(VALU_DEP_2) | instskip(SKIP_1) | instid1(VALU_DEP_2)
	v_min_u32_e32 v18, v22, v18
	v_cndmask_b32_e64 v21, v22, v21, s4
	v_add_co_u32 v18, s5, v9, v18
	s_delay_alu instid0(VALU_DEP_1) | instskip(SKIP_1) | instid1(VALU_DEP_4)
	v_add_co_ci_u32_e64 v19, s5, 0, v10, s5
	v_cmp_lt_u32_e64 s5, v20, v28
	v_cmp_ge_u32_e64 s7, v21, v13
	flat_load_u8 v18, v[18:19]
	s_waitcnt vmcnt(0) lgkmcnt(0)
	v_cndmask_b32_e64 v23, v18, v24, s4
	v_cndmask_b32_e64 v29, v25, v18, s4
	s_delay_alu instid0(VALU_DEP_2) | instskip(NEXT) | instid1(VALU_DEP_2)
	v_and_b32_e32 v18, v23, v30
	v_and_b32_e32 v19, v29, v30
	s_delay_alu instid0(VALU_DEP_2) | instskip(NEXT) | instid1(VALU_DEP_2)
	v_and_b32_e32 v18, 0xff, v18
	v_and_b32_e32 v19, 0xff, v19
	s_delay_alu instid0(VALU_DEP_1) | instskip(SKIP_1) | instid1(VALU_DEP_2)
	v_cmp_le_u16_e64 s6, v18, v19
	v_lshlrev_b64 v[18:19], 3, v[14:15]
	s_and_b32 s5, s5, s6
	s_delay_alu instid0(SALU_CYCLE_1) | instskip(NEXT) | instid1(SALU_CYCLE_1)
	s_or_b32 s5, s7, s5
	v_cndmask_b32_e64 v14, v21, v20, s5
	v_cndmask_b32_e64 v22, v13, v28, s5
	s_delay_alu instid0(VALU_DEP_2) | instskip(NEXT) | instid1(VALU_DEP_2)
	v_add_nc_u32_e32 v31, 1, v14
	v_add_nc_u32_e32 v22, -1, v22
	s_delay_alu instid0(VALU_DEP_2) | instskip(NEXT) | instid1(VALU_DEP_2)
	v_cndmask_b32_e64 v20, v20, v31, s5
	v_min_u32_e32 v22, v31, v22
	v_cndmask_b32_e64 v21, v31, v21, s5
	s_delay_alu instid0(VALU_DEP_3) | instskip(NEXT) | instid1(VALU_DEP_3)
	v_cmp_lt_u32_e64 s7, v20, v28
	v_add_co_u32 v9, s6, v9, v22
	s_delay_alu instid0(VALU_DEP_1) | instskip(NEXT) | instid1(VALU_DEP_4)
	v_add_co_ci_u32_e64 v10, s6, 0, v10, s6
	v_cmp_ge_u32_e64 s6, v21, v13
	flat_load_u8 v9, v[9:10]
	s_waitcnt vmcnt(0) lgkmcnt(0)
	v_cndmask_b32_e64 v22, v9, v23, s5
	v_cndmask_b32_e64 v32, v29, v9, s5
	s_delay_alu instid0(VALU_DEP_2) | instskip(NEXT) | instid1(VALU_DEP_2)
	v_and_b32_e32 v9, v22, v30
	v_and_b32_e32 v10, v32, v30
	s_delay_alu instid0(VALU_DEP_2) | instskip(NEXT) | instid1(VALU_DEP_2)
	v_and_b32_e32 v9, 0xff, v9
	v_and_b32_e32 v10, 0xff, v10
	s_delay_alu instid0(VALU_DEP_1) | instskip(SKIP_1) | instid1(VALU_DEP_1)
	v_cmp_le_u16_e64 s10, v9, v10
	v_add_co_u32 v9, s11, v4, v16
	v_add_co_ci_u32_e64 v10, s11, v5, v17, s11
	s_delay_alu instid0(VALU_DEP_3)
	s_and_b32 s7, s7, s10
	v_lshlrev_b64 v[16:17], 3, v[14:15]
	s_or_b32 s6, s6, s7
	v_add_co_u32 v18, s7, v4, v18
	v_cndmask_b32_e64 v14, v21, v20, s6
	v_add_co_ci_u32_e64 v19, s7, v5, v19, s7
	s_delay_alu instid0(VALU_DEP_4) | instskip(NEXT) | instid1(VALU_DEP_3)
	v_add_co_u32 v20, s7, v4, v16
	v_lshlrev_b64 v[13:14], 3, v[14:15]
	v_add_co_ci_u32_e64 v21, s7, v5, v17, s7
	s_delay_alu instid0(VALU_DEP_2) | instskip(NEXT) | instid1(VALU_DEP_1)
	v_add_co_u32 v4, s7, v4, v13
	v_add_co_ci_u32_e64 v5, s7, v5, v14, s7
	s_clause 0x3
	flat_load_b64 v[14:15], v[9:10] offset:1024
	flat_load_b64 v[16:17], v[18:19] offset:1024
	;; [unrolled: 1-line block ×4, first 2 shown]
	v_cndmask_b32_e64 v4, v22, v32, s6
	v_cndmask_b32_e64 v5, v23, v29, s5
	;; [unrolled: 1-line block ×4, first 2 shown]
	s_delay_alu instid0(VALU_DEP_4) | instskip(NEXT) | instid1(VALU_DEP_4)
	v_lshlrev_b16 v4, 8, v4
	v_and_b32_e32 v5, 0xff, v5
	s_delay_alu instid0(VALU_DEP_4) | instskip(NEXT) | instid1(VALU_DEP_4)
	v_lshlrev_b16 v9, 8, v9
	v_and_b32_e32 v10, 0xff, v10
	s_delay_alu instid0(VALU_DEP_3) | instskip(NEXT) | instid1(VALU_DEP_2)
	v_or_b32_e32 v4, v5, v4
	v_or_b32_e32 v5, v10, v9
	s_delay_alu instid0(VALU_DEP_2) | instskip(NEXT) | instid1(VALU_DEP_2)
	v_lshlrev_b32_e32 v4, 16, v4
	v_and_b32_e32 v5, 0xffff, v5
	s_delay_alu instid0(VALU_DEP_1)
	v_or_b32_e32 v29, v5, v4
.LBB110_54:
	s_or_b32 exec_lo, exec_lo, s15
	; wave barrier
	s_waitcnt vmcnt(0) lgkmcnt(0)
	s_waitcnt_vscnt null, 0x0
	s_barrier
                                        ; implicit-def: $vgpr28
                                        ; implicit-def: $vgpr12
                                        ; implicit-def: $vgpr13
                                        ; implicit-def: $vgpr5
                                        ; implicit-def: $vgpr9
                                        ; implicit-def: $vgpr4
.LBB110_55:
	s_and_not1_saveexec_b32 s10, s14
	s_cbranch_execz .LBB110_97
; %bb.56:
	s_load_b64 s[4:5], s[8:9], 0x0
	v_mov_b32_e32 v10, 0
	s_waitcnt lgkmcnt(0)
	s_cmp_lt_u32 s13, s5
	s_cselect_b32 s3, 14, 20
	s_delay_alu instid0(SALU_CYCLE_1)
	s_add_u32 s6, s8, s3
	s_addc_u32 s7, s9, 0
	s_cmp_lt_u32 s12, s4
	global_load_u16 v11, v10, s[6:7]
	s_cselect_b32 s3, 12, 18
	s_mov_b32 s6, exec_lo
	s_add_u32 s4, s8, s3
	s_addc_u32 s5, s9, 0
	global_load_u16 v10, v10, s[4:5]
	s_waitcnt vmcnt(1)
	v_mad_u32_u24 v5, v9, v11, v5
	s_waitcnt vmcnt(0)
	s_delay_alu instid0(VALU_DEP_1) | instskip(NEXT) | instid1(VALU_DEP_1)
	v_mul_lo_u32 v5, v5, v10
	v_add_lshl_u32 v11, v5, v4, 2
	s_delay_alu instid0(VALU_DEP_1)
	v_cmpx_gt_u32_e32 0x400, v11
	s_cbranch_execz .LBB110_66
; %bb.57:
	v_lshrrev_b32_e32 v4, 8, v29
	v_and_b32_e32 v5, 0xff, v29
	v_perm_b32 v9, v29, v29, 0x7060405
	s_delay_alu instid0(VALU_DEP_3) | instskip(NEXT) | instid1(VALU_DEP_1)
	v_and_b32_e32 v4, 0xff, v4
	v_cmp_gt_u16_e64 s3, v4, v5
	s_delay_alu instid0(VALU_DEP_1) | instskip(NEXT) | instid1(VALU_DEP_1)
	v_cndmask_b32_e64 v22, v29, v9, s3
	v_lshrrev_b32_e32 v23, 16, v22
	v_lshrrev_b32_e32 v9, 24, v22
	s_delay_alu instid0(VALU_DEP_2) | instskip(NEXT) | instid1(VALU_DEP_1)
	v_and_b32_e32 v4, 0xff, v23
	v_cmp_gt_u16_e64 s4, v9, v4
	v_dual_mov_b32 v4, v18 :: v_dual_mov_b32 v5, v19
	s_delay_alu instid0(VALU_DEP_2)
	s_and_saveexec_b32 s5, s4
; %bb.58:
	v_perm_b32 v22, v22, v22, 0x6070504
	v_dual_mov_b32 v4, v20 :: v_dual_mov_b32 v5, v21
	v_dual_mov_b32 v21, v19 :: v_dual_mov_b32 v20, v18
	v_mov_b32_e32 v23, v9
; %bb.59:
	s_or_b32 exec_lo, exec_lo, s5
	v_lshrrev_b32_e32 v24, 8, v22
	v_cndmask_b32_e64 v19, v17, v15, s3
	v_cndmask_b32_e64 v18, v16, v14, s3
	v_and_b32_e32 v9, 0xff, v23
	s_delay_alu instid0(VALU_DEP_4) | instskip(NEXT) | instid1(VALU_DEP_1)
	v_and_b32_e32 v10, 0xff, v24
	v_cmp_gt_u16_e64 s4, v9, v10
	s_delay_alu instid0(VALU_DEP_4) | instskip(NEXT) | instid1(VALU_DEP_2)
	v_dual_mov_b32 v9, v18 :: v_dual_mov_b32 v10, v19
	s_and_saveexec_b32 s5, s4
	s_delay_alu instid0(SALU_CYCLE_1)
	s_xor_b32 s4, exec_lo, s5
; %bb.60:
	v_perm_b32 v22, v22, v23, 0x7050004
	v_dual_mov_b32 v10, v5 :: v_dual_mov_b32 v9, v4
	v_dual_mov_b32 v4, v18 :: v_dual_mov_b32 v5, v19
	v_mov_b32_e32 v24, v23
; %bb.61:
	s_or_b32 exec_lo, exec_lo, s4
	v_and_b32_e32 v18, 0xff, v22
	s_delay_alu instid0(VALU_DEP_2) | instskip(SKIP_2) | instid1(VALU_DEP_2)
	v_and_b32_e32 v19, 0xff, v24
	v_perm_b32 v23, v24, v22, 0x3020004
	s_mov_b32 s7, exec_lo
	v_cmp_gt_u16_e64 s4, v19, v18
	s_delay_alu instid0(VALU_DEP_1) | instskip(SKIP_1) | instid1(VALU_DEP_2)
	v_cndmask_b32_e64 v29, v22, v23, s4
	v_dual_mov_b32 v23, v5 :: v_dual_mov_b32 v22, v4
	v_lshrrev_b32_e32 v24, 16, v29
	v_lshrrev_b32_e32 v18, 24, v29
	s_delay_alu instid0(VALU_DEP_2) | instskip(NEXT) | instid1(VALU_DEP_1)
	v_and_b32_e32 v19, 0xff, v24
	v_cmpx_gt_u16_e64 v18, v19
; %bb.62:
	v_perm_b32 v29, v29, v29, 0x6070504
	v_dual_mov_b32 v23, v21 :: v_dual_mov_b32 v22, v20
	v_dual_mov_b32 v21, v5 :: v_dual_mov_b32 v20, v4
	v_mov_b32_e32 v24, v18
; %bb.63:
	s_or_b32 exec_lo, exec_lo, s7
	v_lshrrev_b32_e32 v4, 8, v29
	s_delay_alu instid0(VALU_DEP_2) | instskip(SKIP_2) | instid1(VALU_DEP_4)
	v_and_b32_e32 v18, 0xff, v24
	v_cndmask_b32_e64 v5, v15, v17, s3
	v_cndmask_b32_e64 v16, v14, v16, s3
	v_and_b32_e32 v4, 0xff, v4
	s_delay_alu instid0(VALU_DEP_3) | instskip(NEXT) | instid1(VALU_DEP_3)
	v_cndmask_b32_e64 v15, v5, v10, s4
	v_cndmask_b32_e64 v14, v16, v9, s4
	;; [unrolled: 1-line block ×3, first 2 shown]
	s_delay_alu instid0(VALU_DEP_4) | instskip(SKIP_2) | instid1(VALU_DEP_3)
	v_cmp_gt_u16_e64 s3, v18, v4
	v_dual_mov_b32 v18, v22 :: v_dual_mov_b32 v19, v23
	v_cndmask_b32_e64 v16, v9, v16, s4
	s_and_saveexec_b32 s4, s3
; %bb.64:
	v_perm_b32 v29, v29, v24, 0x7050004
	s_delay_alu instid0(VALU_DEP_2)
	v_dual_mov_b32 v19, v17 :: v_dual_mov_b32 v18, v16
	v_dual_mov_b32 v16, v22 :: v_dual_mov_b32 v17, v23
; %bb.65:
	s_or_b32 exec_lo, exec_lo, s4
.LBB110_66:
	s_delay_alu instid0(SALU_CYCLE_1)
	s_or_b32 exec_lo, exec_lo, s6
	v_and_b32_e32 v11, 0xffffff80, v11
	v_or_b32_e32 v4, 4, v28
	v_lshlrev_b32_e32 v22, 3, v28
	v_and_b32_e32 v33, 0x78, v28
	s_mov_b32 s4, exec_lo
	v_sub_nc_u32_e64 v30, 0x400, v11 clamp
	v_add_co_u32 v9, s3, v12, v11
	s_delay_alu instid0(VALU_DEP_1) | instskip(NEXT) | instid1(VALU_DEP_3)
	v_add_co_ci_u32_e64 v10, s3, 0, v13, s3
	v_min_u32_e32 v34, v30, v4
	v_and_b32_e32 v13, 4, v28
	s_delay_alu instid0(VALU_DEP_3) | instskip(NEXT) | instid1(VALU_DEP_3)
	v_mad_u64_u32 v[4:5], null, v11, 7, v[9:10]
	v_add_nc_u32_e32 v12, 4, v34
	v_add_co_u32 v11, s3, v9, v28
	s_delay_alu instid0(VALU_DEP_4) | instskip(SKIP_1) | instid1(VALU_DEP_4)
	v_min_u32_e32 v36, v30, v13
	v_sub_nc_u32_e32 v13, v34, v33
	v_min_u32_e32 v35, v30, v12
	v_add_co_ci_u32_e64 v12, s3, 0, v10, s3
	v_add_co_u32 v22, s3, v4, v22
	s_delay_alu instid0(VALU_DEP_3)
	v_sub_nc_u32_e32 v24, v35, v34
	v_add_co_ci_u32_e64 v23, s3, 0, v5, s3
	v_min_u32_e32 v13, v36, v13
	s_clause 0x2
	flat_store_b128 v[22:23], v[14:17] offset:1024
	flat_store_b32 v[11:12], v29
	flat_store_b128 v[22:23], v[18:21] offset:1040
	v_sub_nc_u32_e64 v38, v36, v24 clamp
	v_add_co_u32 v24, s3, 0x400, v22
	s_delay_alu instid0(VALU_DEP_1) | instskip(NEXT) | instid1(VALU_DEP_3)
	v_add_co_ci_u32_e64 v25, s3, 0, v23, s3
	; wave barrier
	v_cmpx_lt_u32_e64 v38, v13
	s_cbranch_execz .LBB110_70
; %bb.67:
	v_add_co_u32 v31, s3, v9, v33
	s_delay_alu instid0(VALU_DEP_1) | instskip(SKIP_1) | instid1(VALU_DEP_1)
	v_add_co_ci_u32_e64 v32, s3, 0, v10, s3
	v_add_co_u32 v37, s3, v9, v34
	v_add_co_ci_u32_e64 v39, s3, 0, v10, s3
	s_mov_b32 s5, 0
	.p2align	6
.LBB110_68:                             ; =>This Inner Loop Header: Depth=1
	v_add_nc_u32_e32 v48, v13, v38
	s_delay_alu instid0(VALU_DEP_1) | instskip(NEXT) | instid1(VALU_DEP_1)
	v_lshrrev_b32_e32 v52, 1, v48
	v_xad_u32 v50, v52, -1, v36
	v_add_co_u32 v48, s3, v31, v52
	s_delay_alu instid0(VALU_DEP_1) | instskip(NEXT) | instid1(VALU_DEP_3)
	v_add_co_ci_u32_e64 v49, s3, 0, v32, s3
	v_add_co_u32 v50, s3, v37, v50
	s_delay_alu instid0(VALU_DEP_1)
	v_add_co_ci_u32_e64 v51, s3, 0, v39, s3
	s_clause 0x1
	flat_load_u8 v48, v[48:49]
	flat_load_u8 v49, v[50:51]
	v_add_nc_u32_e32 v50, 1, v52
	s_waitcnt vmcnt(0) lgkmcnt(0)
	v_cmp_gt_u16_e64 s3, v49, v48
	s_delay_alu instid0(VALU_DEP_1) | instskip(NEXT) | instid1(VALU_DEP_3)
	v_cndmask_b32_e64 v13, v13, v52, s3
	v_cndmask_b32_e64 v38, v50, v38, s3
	s_delay_alu instid0(VALU_DEP_1) | instskip(NEXT) | instid1(VALU_DEP_1)
	v_cmp_ge_u32_e64 s3, v38, v13
	s_or_b32 s5, s3, s5
	s_delay_alu instid0(SALU_CYCLE_1)
	s_and_not1_b32 exec_lo, exec_lo, s5
	s_cbranch_execnz .LBB110_68
; %bb.69:
	s_or_b32 exec_lo, exec_lo, s5
.LBB110_70:
	s_delay_alu instid0(SALU_CYCLE_1)
	s_or_b32 exec_lo, exec_lo, s4
	v_add_nc_u32_e32 v36, v34, v36
	v_add_nc_u32_e32 v37, v38, v33
	v_mov_b32_e32 v33, v29
	v_lshrrev_b32_e32 v13, 16, v29
	v_lshrrev_b32_e32 v32, 8, v29
	v_sub_nc_u32_e32 v36, v36, v38
	v_cmp_le_u32_e64 s3, v37, v34
	v_lshrrev_b32_e32 v31, 24, v29
	s_delay_alu instid0(VALU_DEP_3) | instskip(NEXT) | instid1(VALU_DEP_1)
	v_cmp_le_u32_e64 s4, v36, v35
	s_or_b32 s3, s3, s4
	s_delay_alu instid0(SALU_CYCLE_1)
	s_and_saveexec_b32 s11, s3
	s_cbranch_execz .LBB110_76
; %bb.71:
	v_cmp_lt_u32_e64 s3, v37, v34
                                        ; implicit-def: $vgpr29
	s_delay_alu instid0(VALU_DEP_1)
	s_and_saveexec_b32 s5, s3
	s_cbranch_execz .LBB110_73
; %bb.72:
	v_add_co_u32 v13, s4, v9, v37
	s_delay_alu instid0(VALU_DEP_1)
	v_add_co_ci_u32_e64 v14, s4, 0, v10, s4
	flat_load_u8 v29, v[13:14]
.LBB110_73:
	s_or_b32 exec_lo, exec_lo, s5
	v_cmp_ge_u32_e64 s4, v36, v35
	s_mov_b32 s6, exec_lo
                                        ; implicit-def: $vgpr33
	v_cmpx_lt_u32_e64 v36, v35
	s_cbranch_execz .LBB110_75
; %bb.74:
	v_add_co_u32 v13, s5, v9, v36
	s_delay_alu instid0(VALU_DEP_1)
	v_add_co_ci_u32_e64 v14, s5, 0, v10, s5
	flat_load_u8 v33, v[13:14]
.LBB110_75:
	s_or_b32 exec_lo, exec_lo, s6
	s_waitcnt vmcnt(0) lgkmcnt(0)
	v_and_b32_e32 v13, 0xff, v29
	v_and_b32_e32 v14, 0xff, v33
	s_delay_alu instid0(VALU_DEP_1) | instskip(NEXT) | instid1(VALU_DEP_1)
	v_cmp_le_u16_e64 s5, v14, v13
	s_and_b32 s3, s3, s5
	s_delay_alu instid0(SALU_CYCLE_1) | instskip(NEXT) | instid1(SALU_CYCLE_1)
	s_or_b32 s3, s4, s3
	v_cndmask_b32_e64 v13, v36, v37, s3
	v_cndmask_b32_e64 v14, v35, v34, s3
	s_delay_alu instid0(VALU_DEP_2) | instskip(NEXT) | instid1(VALU_DEP_2)
	v_add_nc_u32_e32 v16, 1, v13
	v_add_nc_u32_e32 v14, -1, v14
	s_delay_alu instid0(VALU_DEP_2) | instskip(NEXT) | instid1(VALU_DEP_2)
	v_cndmask_b32_e64 v19, v37, v16, s3
	v_min_u32_e32 v14, v16, v14
	v_cndmask_b32_e64 v20, v16, v36, s3
	s_delay_alu instid0(VALU_DEP_2) | instskip(NEXT) | instid1(VALU_DEP_1)
	v_add_co_u32 v14, s4, v9, v14
	v_add_co_ci_u32_e64 v15, s4, 0, v10, s4
	v_cmp_lt_u32_e64 s4, v19, v34
	s_delay_alu instid0(VALU_DEP_4)
	v_cmp_ge_u32_e64 s6, v20, v35
	flat_load_u8 v14, v[14:15]
	s_waitcnt vmcnt(0) lgkmcnt(0)
	v_cndmask_b32_e64 v38, v14, v33, s3
	v_cndmask_b32_e64 v39, v29, v14, s3
	;; [unrolled: 1-line block ×3, first 2 shown]
	s_delay_alu instid0(VALU_DEP_3) | instskip(NEXT) | instid1(VALU_DEP_3)
	v_and_b32_e32 v14, 0xff, v38
	v_and_b32_e32 v15, 0xff, v39
	s_delay_alu instid0(VALU_DEP_1) | instskip(SKIP_1) | instid1(VALU_DEP_2)
	v_cmp_le_u16_e64 s5, v14, v15
	v_mov_b32_e32 v14, 0
	s_and_b32 s4, s4, s5
	s_delay_alu instid0(VALU_DEP_1) | instskip(SKIP_1) | instid1(SALU_CYCLE_1)
	v_lshlrev_b64 v[15:16], 3, v[13:14]
	s_or_b32 s4, s6, s4
	v_cndmask_b32_e64 v13, v20, v19, s4
	v_cndmask_b32_e64 v17, v35, v34, s4
	s_delay_alu instid0(VALU_DEP_3) | instskip(NEXT) | instid1(VALU_DEP_3)
	v_add_co_u32 v15, s9, v4, v15
	v_add_nc_u32_e32 v21, 1, v13
	s_delay_alu instid0(VALU_DEP_3) | instskip(SKIP_1) | instid1(VALU_DEP_3)
	v_add_nc_u32_e32 v17, -1, v17
	v_add_co_ci_u32_e64 v16, s9, v5, v16, s9
	v_cndmask_b32_e64 v31, v19, v21, s4
	s_delay_alu instid0(VALU_DEP_3) | instskip(SKIP_1) | instid1(VALU_DEP_2)
	v_min_u32_e32 v17, v21, v17
	v_cndmask_b32_e64 v21, v21, v20, s4
	v_add_co_u32 v17, s5, v9, v17
	s_delay_alu instid0(VALU_DEP_1) | instskip(SKIP_1) | instid1(VALU_DEP_4)
	v_add_co_ci_u32_e64 v18, s5, 0, v10, s5
	v_cmp_lt_u32_e64 s5, v31, v34
	v_cmp_ge_u32_e64 s7, v21, v35
	flat_load_u8 v17, v[17:18]
	s_waitcnt vmcnt(0) lgkmcnt(0)
	v_cndmask_b32_e64 v36, v17, v38, s4
	v_cndmask_b32_e64 v37, v39, v17, s4
	s_delay_alu instid0(VALU_DEP_2) | instskip(NEXT) | instid1(VALU_DEP_2)
	v_and_b32_e32 v17, 0xff, v36
	v_and_b32_e32 v18, 0xff, v37
	s_delay_alu instid0(VALU_DEP_1) | instskip(SKIP_1) | instid1(VALU_DEP_2)
	v_cmp_le_u16_e64 s6, v17, v18
	v_lshlrev_b64 v[17:18], 3, v[13:14]
	s_and_b32 s5, s5, s6
	s_delay_alu instid0(SALU_CYCLE_1) | instskip(NEXT) | instid1(SALU_CYCLE_1)
	s_or_b32 s5, s7, s5
	v_cndmask_b32_e64 v13, v21, v31, s5
	v_cndmask_b32_e64 v19, v35, v34, s5
	s_delay_alu instid0(VALU_DEP_2) | instskip(NEXT) | instid1(VALU_DEP_2)
	v_add_nc_u32_e32 v32, 1, v13
	v_add_nc_u32_e32 v19, -1, v19
	s_delay_alu instid0(VALU_DEP_2) | instskip(NEXT) | instid1(VALU_DEP_2)
	v_cndmask_b32_e64 v31, v31, v32, s5
	v_min_u32_e32 v19, v32, v19
	v_cndmask_b32_e64 v21, v32, v21, s5
	s_delay_alu instid0(VALU_DEP_3) | instskip(NEXT) | instid1(VALU_DEP_3)
	v_cmp_lt_u32_e64 s7, v31, v34
	v_add_co_u32 v19, s6, v9, v19
	s_delay_alu instid0(VALU_DEP_1) | instskip(NEXT) | instid1(VALU_DEP_4)
	v_add_co_ci_u32_e64 v20, s6, 0, v10, s6
	v_cmp_ge_u32_e64 s6, v21, v35
	flat_load_u8 v19, v[19:20]
	s_waitcnt vmcnt(0) lgkmcnt(0)
	v_cndmask_b32_e64 v48, v19, v36, s5
	v_cndmask_b32_e64 v49, v37, v19, s5
	s_delay_alu instid0(VALU_DEP_2) | instskip(NEXT) | instid1(VALU_DEP_2)
	v_and_b32_e32 v19, 0xff, v48
	v_and_b32_e32 v20, 0xff, v49
	s_delay_alu instid0(VALU_DEP_1) | instskip(SKIP_1) | instid1(VALU_DEP_2)
	v_cmp_le_u16_e64 s8, v19, v20
	v_lshlrev_b64 v[19:20], 3, v[13:14]
	s_and_b32 s7, s7, s8
	s_delay_alu instid0(SALU_CYCLE_1) | instskip(SKIP_4) | instid1(VALU_DEP_3)
	s_or_b32 s6, s6, s7
	v_add_co_u32 v17, s7, v4, v17
	v_cndmask_b32_e64 v13, v21, v31, s6
	v_add_co_ci_u32_e64 v18, s7, v5, v18, s7
	v_add_co_u32 v19, s7, v4, v19
	v_lshlrev_b64 v[13:14], 3, v[13:14]
	v_add_co_ci_u32_e64 v20, s7, v5, v20, s7
	s_delay_alu instid0(VALU_DEP_2) | instskip(NEXT) | instid1(VALU_DEP_1)
	v_add_co_u32 v31, s7, v4, v13
	v_add_co_ci_u32_e64 v32, s7, v5, v14, s7
	s_clause 0x3
	flat_load_b64 v[14:15], v[15:16] offset:1024
	flat_load_b64 v[16:17], v[17:18] offset:1024
	;; [unrolled: 1-line block ×4, first 2 shown]
	v_cndmask_b32_e64 v31, v48, v49, s6
	v_cndmask_b32_e64 v13, v36, v37, s5
	;; [unrolled: 1-line block ×3, first 2 shown]
	v_and_b32_e32 v36, 0xff, v33
	s_delay_alu instid0(VALU_DEP_4) | instskip(NEXT) | instid1(VALU_DEP_4)
	v_lshlrev_b16 v29, 8, v31
	v_and_b32_e32 v34, 0xff, v13
	s_delay_alu instid0(VALU_DEP_4) | instskip(NEXT) | instid1(VALU_DEP_2)
	v_lshlrev_b16 v35, 8, v32
	v_or_b32_e32 v29, v34, v29
	s_delay_alu instid0(VALU_DEP_2) | instskip(NEXT) | instid1(VALU_DEP_2)
	v_or_b32_e32 v34, v36, v35
	v_lshlrev_b32_e32 v29, 16, v29
	s_delay_alu instid0(VALU_DEP_2) | instskip(NEXT) | instid1(VALU_DEP_1)
	v_and_b32_e32 v34, 0xffff, v34
	v_or_b32_e32 v29, v34, v29
.LBB110_76:
	s_or_b32 exec_lo, exec_lo, s11
	v_and_b32_e32 v36, 0x70, v28
	v_lshlrev_b16 v37, 8, v32
	v_and_b32_e32 v38, 0xff, v33
	v_lshlrev_b16 v39, 8, v31
	v_and_b32_e32 v48, 0xff, v13
	v_or_b32_e32 v34, 8, v36
	v_and_b32_e32 v49, 12, v28
	v_or_b32_e32 v38, v38, v37
	s_mov_b32 s4, exec_lo
	v_or_b32_e32 v39, v48, v39
	v_min_u32_e32 v34, v30, v34
	v_min_u32_e32 v37, v30, v49
	v_and_b32_e32 v50, 0xffff, v38
	s_delay_alu instid0(VALU_DEP_4) | instskip(NEXT) | instid1(VALU_DEP_4)
	v_lshlrev_b32_e32 v51, 16, v39
	v_add_nc_u32_e32 v35, 8, v34
	v_sub_nc_u32_e32 v48, v34, v36
	; wave barrier
	s_delay_alu instid0(VALU_DEP_2) | instskip(NEXT) | instid1(VALU_DEP_2)
	v_min_u32_e32 v35, v30, v35
	v_min_u32_e32 v39, v37, v48
	v_or_b32_e32 v48, v50, v51
	s_waitcnt vmcnt(2) lgkmcnt(2)
	s_clause 0x1
	flat_store_b128 v[22:23], v[14:17] offset:1024
	flat_store_b32 v[11:12], v48
	s_waitcnt vmcnt(0) lgkmcnt(2)
	flat_store_b128 v[24:25], v[18:21] offset:16
	v_sub_nc_u32_e32 v49, v35, v34
	; wave barrier
	s_delay_alu instid0(VALU_DEP_1) | instskip(NEXT) | instid1(VALU_DEP_1)
	v_sub_nc_u32_e64 v38, v37, v49 clamp
	v_cmpx_lt_u32_e64 v38, v39
	s_cbranch_execz .LBB110_80
; %bb.77:
	v_add_co_u32 v48, s3, v9, v36
	s_delay_alu instid0(VALU_DEP_1) | instskip(SKIP_1) | instid1(VALU_DEP_1)
	v_add_co_ci_u32_e64 v49, s3, 0, v10, s3
	v_add_co_u32 v50, s3, v9, v34
	v_add_co_ci_u32_e64 v51, s3, 0, v10, s3
	s_mov_b32 s5, 0
	.p2align	6
.LBB110_78:                             ; =>This Inner Loop Header: Depth=1
	v_add_nc_u32_e32 v52, v39, v38
	s_delay_alu instid0(VALU_DEP_1) | instskip(NEXT) | instid1(VALU_DEP_1)
	v_lshrrev_b32_e32 v64, 1, v52
	v_xad_u32 v54, v64, -1, v37
	v_add_co_u32 v52, s3, v48, v64
	s_delay_alu instid0(VALU_DEP_1) | instskip(NEXT) | instid1(VALU_DEP_3)
	v_add_co_ci_u32_e64 v53, s3, 0, v49, s3
	v_add_co_u32 v54, s3, v50, v54
	s_delay_alu instid0(VALU_DEP_1)
	v_add_co_ci_u32_e64 v55, s3, 0, v51, s3
	s_clause 0x1
	flat_load_u8 v52, v[52:53]
	flat_load_u8 v53, v[54:55]
	v_add_nc_u32_e32 v54, 1, v64
	s_waitcnt vmcnt(0) lgkmcnt(0)
	v_cmp_gt_u16_e64 s3, v53, v52
	s_delay_alu instid0(VALU_DEP_1) | instskip(NEXT) | instid1(VALU_DEP_3)
	v_cndmask_b32_e64 v39, v39, v64, s3
	v_cndmask_b32_e64 v38, v54, v38, s3
	s_delay_alu instid0(VALU_DEP_1) | instskip(NEXT) | instid1(VALU_DEP_1)
	v_cmp_ge_u32_e64 s3, v38, v39
	s_or_b32 s5, s3, s5
	s_delay_alu instid0(SALU_CYCLE_1)
	s_and_not1_b32 exec_lo, exec_lo, s5
	s_cbranch_execnz .LBB110_78
; %bb.79:
	s_or_b32 exec_lo, exec_lo, s5
.LBB110_80:
	s_delay_alu instid0(SALU_CYCLE_1) | instskip(SKIP_2) | instid1(VALU_DEP_2)
	s_or_b32 exec_lo, exec_lo, s4
	v_add_nc_u32_e32 v39, v34, v37
	v_add_nc_u32_e32 v37, v38, v36
	v_sub_nc_u32_e32 v36, v39, v38
	s_delay_alu instid0(VALU_DEP_2) | instskip(NEXT) | instid1(VALU_DEP_2)
	v_cmp_le_u32_e64 s3, v37, v34
	v_cmp_le_u32_e64 s4, v36, v35
	s_delay_alu instid0(VALU_DEP_1) | instskip(NEXT) | instid1(SALU_CYCLE_1)
	s_or_b32 s3, s3, s4
	s_and_saveexec_b32 s11, s3
	s_cbranch_execz .LBB110_86
; %bb.81:
	v_cmp_lt_u32_e64 s3, v37, v34
                                        ; implicit-def: $vgpr29
	s_delay_alu instid0(VALU_DEP_1)
	s_and_saveexec_b32 s5, s3
	s_cbranch_execz .LBB110_83
; %bb.82:
	v_add_co_u32 v13, s4, v9, v37
	s_delay_alu instid0(VALU_DEP_1)
	v_add_co_ci_u32_e64 v14, s4, 0, v10, s4
	flat_load_u8 v29, v[13:14]
.LBB110_83:
	s_or_b32 exec_lo, exec_lo, s5
	v_cmp_ge_u32_e64 s4, v36, v35
	s_mov_b32 s6, exec_lo
                                        ; implicit-def: $vgpr33
	v_cmpx_lt_u32_e64 v36, v35
	s_cbranch_execz .LBB110_85
; %bb.84:
	v_add_co_u32 v13, s5, v9, v36
	s_delay_alu instid0(VALU_DEP_1)
	v_add_co_ci_u32_e64 v14, s5, 0, v10, s5
	flat_load_u8 v33, v[13:14]
.LBB110_85:
	s_or_b32 exec_lo, exec_lo, s6
	s_waitcnt vmcnt(0) lgkmcnt(0)
	v_and_b32_e32 v13, 0xff, v29
	v_and_b32_e32 v14, 0xff, v33
	s_delay_alu instid0(VALU_DEP_1) | instskip(NEXT) | instid1(VALU_DEP_1)
	v_cmp_le_u16_e64 s5, v14, v13
	s_and_b32 s3, s3, s5
	s_delay_alu instid0(SALU_CYCLE_1) | instskip(NEXT) | instid1(SALU_CYCLE_1)
	s_or_b32 s3, s4, s3
	v_cndmask_b32_e64 v13, v36, v37, s3
	v_cndmask_b32_e64 v14, v35, v34, s3
	s_delay_alu instid0(VALU_DEP_2) | instskip(NEXT) | instid1(VALU_DEP_2)
	v_add_nc_u32_e32 v16, 1, v13
	v_add_nc_u32_e32 v14, -1, v14
	s_delay_alu instid0(VALU_DEP_2) | instskip(NEXT) | instid1(VALU_DEP_2)
	v_cndmask_b32_e64 v19, v37, v16, s3
	v_min_u32_e32 v14, v16, v14
	v_cndmask_b32_e64 v20, v16, v36, s3
	s_delay_alu instid0(VALU_DEP_2) | instskip(NEXT) | instid1(VALU_DEP_1)
	v_add_co_u32 v14, s4, v9, v14
	v_add_co_ci_u32_e64 v15, s4, 0, v10, s4
	v_cmp_lt_u32_e64 s4, v19, v34
	s_delay_alu instid0(VALU_DEP_4)
	v_cmp_ge_u32_e64 s6, v20, v35
	flat_load_u8 v14, v[14:15]
	s_waitcnt vmcnt(0) lgkmcnt(0)
	v_cndmask_b32_e64 v38, v14, v33, s3
	v_cndmask_b32_e64 v39, v29, v14, s3
	;; [unrolled: 1-line block ×3, first 2 shown]
	s_delay_alu instid0(VALU_DEP_3) | instskip(NEXT) | instid1(VALU_DEP_3)
	v_and_b32_e32 v14, 0xff, v38
	v_and_b32_e32 v15, 0xff, v39
	s_delay_alu instid0(VALU_DEP_1) | instskip(SKIP_1) | instid1(VALU_DEP_2)
	v_cmp_le_u16_e64 s5, v14, v15
	v_mov_b32_e32 v14, 0
	s_and_b32 s4, s4, s5
	s_delay_alu instid0(VALU_DEP_1) | instskip(SKIP_1) | instid1(SALU_CYCLE_1)
	v_lshlrev_b64 v[15:16], 3, v[13:14]
	s_or_b32 s4, s6, s4
	v_cndmask_b32_e64 v13, v20, v19, s4
	v_cndmask_b32_e64 v17, v35, v34, s4
	s_delay_alu instid0(VALU_DEP_3) | instskip(NEXT) | instid1(VALU_DEP_3)
	v_add_co_u32 v15, s9, v4, v15
	v_add_nc_u32_e32 v21, 1, v13
	s_delay_alu instid0(VALU_DEP_3) | instskip(SKIP_1) | instid1(VALU_DEP_3)
	v_add_nc_u32_e32 v17, -1, v17
	v_add_co_ci_u32_e64 v16, s9, v5, v16, s9
	v_cndmask_b32_e64 v31, v19, v21, s4
	s_delay_alu instid0(VALU_DEP_3) | instskip(SKIP_1) | instid1(VALU_DEP_2)
	v_min_u32_e32 v17, v21, v17
	v_cndmask_b32_e64 v21, v21, v20, s4
	v_add_co_u32 v17, s5, v9, v17
	s_delay_alu instid0(VALU_DEP_1) | instskip(SKIP_1) | instid1(VALU_DEP_4)
	v_add_co_ci_u32_e64 v18, s5, 0, v10, s5
	v_cmp_lt_u32_e64 s5, v31, v34
	v_cmp_ge_u32_e64 s7, v21, v35
	flat_load_u8 v17, v[17:18]
	s_waitcnt vmcnt(0) lgkmcnt(0)
	v_cndmask_b32_e64 v36, v17, v38, s4
	v_cndmask_b32_e64 v37, v39, v17, s4
	s_delay_alu instid0(VALU_DEP_2) | instskip(NEXT) | instid1(VALU_DEP_2)
	v_and_b32_e32 v17, 0xff, v36
	v_and_b32_e32 v18, 0xff, v37
	s_delay_alu instid0(VALU_DEP_1) | instskip(SKIP_1) | instid1(VALU_DEP_2)
	v_cmp_le_u16_e64 s6, v17, v18
	v_lshlrev_b64 v[17:18], 3, v[13:14]
	s_and_b32 s5, s5, s6
	s_delay_alu instid0(SALU_CYCLE_1) | instskip(NEXT) | instid1(SALU_CYCLE_1)
	s_or_b32 s5, s7, s5
	v_cndmask_b32_e64 v13, v21, v31, s5
	v_cndmask_b32_e64 v19, v35, v34, s5
	s_delay_alu instid0(VALU_DEP_2) | instskip(NEXT) | instid1(VALU_DEP_2)
	v_add_nc_u32_e32 v32, 1, v13
	v_add_nc_u32_e32 v19, -1, v19
	s_delay_alu instid0(VALU_DEP_2) | instskip(NEXT) | instid1(VALU_DEP_2)
	v_cndmask_b32_e64 v31, v31, v32, s5
	v_min_u32_e32 v19, v32, v19
	v_cndmask_b32_e64 v21, v32, v21, s5
	s_delay_alu instid0(VALU_DEP_3) | instskip(NEXT) | instid1(VALU_DEP_3)
	v_cmp_lt_u32_e64 s7, v31, v34
	v_add_co_u32 v19, s6, v9, v19
	s_delay_alu instid0(VALU_DEP_1) | instskip(NEXT) | instid1(VALU_DEP_4)
	v_add_co_ci_u32_e64 v20, s6, 0, v10, s6
	v_cmp_ge_u32_e64 s6, v21, v35
	flat_load_u8 v19, v[19:20]
	s_waitcnt vmcnt(0) lgkmcnt(0)
	v_cndmask_b32_e64 v48, v19, v36, s5
	v_cndmask_b32_e64 v49, v37, v19, s5
	s_delay_alu instid0(VALU_DEP_2) | instskip(NEXT) | instid1(VALU_DEP_2)
	v_and_b32_e32 v19, 0xff, v48
	v_and_b32_e32 v20, 0xff, v49
	s_delay_alu instid0(VALU_DEP_1) | instskip(SKIP_1) | instid1(VALU_DEP_2)
	v_cmp_le_u16_e64 s8, v19, v20
	v_lshlrev_b64 v[19:20], 3, v[13:14]
	s_and_b32 s7, s7, s8
	s_delay_alu instid0(SALU_CYCLE_1) | instskip(SKIP_4) | instid1(VALU_DEP_3)
	s_or_b32 s6, s6, s7
	v_add_co_u32 v17, s7, v4, v17
	v_cndmask_b32_e64 v13, v21, v31, s6
	v_add_co_ci_u32_e64 v18, s7, v5, v18, s7
	v_add_co_u32 v19, s7, v4, v19
	v_lshlrev_b64 v[13:14], 3, v[13:14]
	v_add_co_ci_u32_e64 v20, s7, v5, v20, s7
	s_delay_alu instid0(VALU_DEP_2) | instskip(NEXT) | instid1(VALU_DEP_1)
	v_add_co_u32 v31, s7, v4, v13
	v_add_co_ci_u32_e64 v32, s7, v5, v14, s7
	s_clause 0x3
	flat_load_b64 v[14:15], v[15:16] offset:1024
	flat_load_b64 v[16:17], v[17:18] offset:1024
	;; [unrolled: 1-line block ×4, first 2 shown]
	v_cndmask_b32_e64 v31, v48, v49, s6
	v_cndmask_b32_e64 v13, v36, v37, s5
	;; [unrolled: 1-line block ×3, first 2 shown]
	v_and_b32_e32 v36, 0xff, v33
	s_delay_alu instid0(VALU_DEP_4) | instskip(NEXT) | instid1(VALU_DEP_4)
	v_lshlrev_b16 v29, 8, v31
	v_and_b32_e32 v34, 0xff, v13
	s_delay_alu instid0(VALU_DEP_4) | instskip(NEXT) | instid1(VALU_DEP_2)
	v_lshlrev_b16 v35, 8, v32
	v_or_b32_e32 v29, v34, v29
	s_delay_alu instid0(VALU_DEP_2) | instskip(NEXT) | instid1(VALU_DEP_2)
	v_or_b32_e32 v34, v36, v35
	v_lshlrev_b32_e32 v29, 16, v29
	s_delay_alu instid0(VALU_DEP_2) | instskip(NEXT) | instid1(VALU_DEP_1)
	v_and_b32_e32 v34, 0xffff, v34
	v_or_b32_e32 v29, v34, v29
.LBB110_86:
	s_or_b32 exec_lo, exec_lo, s11
	v_and_b32_e32 v34, 0x60, v28
	v_lshlrev_b16 v32, 8, v32
	v_and_b32_e32 v33, 0xff, v33
	v_lshlrev_b16 v31, 8, v31
	v_and_b32_e32 v36, 0xff, v13
	v_or_b32_e32 v28, 16, v34
	s_mov_b32 s4, exec_lo
	v_or_b32_e32 v32, v33, v32
	s_delay_alu instid0(VALU_DEP_3) | instskip(NEXT) | instid1(VALU_DEP_3)
	v_or_b32_e32 v31, v36, v31
	v_min_u32_e32 v28, v30, v28
	; wave barrier
	s_delay_alu instid0(VALU_DEP_3) | instskip(NEXT) | instid1(VALU_DEP_3)
	v_and_b32_e32 v36, 0xffff, v32
	v_lshlrev_b32_e32 v37, 16, v31
	s_delay_alu instid0(VALU_DEP_3) | instskip(SKIP_1) | instid1(VALU_DEP_2)
	v_add_nc_u32_e32 v35, 16, v28
	v_sub_nc_u32_e32 v33, v28, v34
	v_min_u32_e32 v13, v30, v35
	v_min_u32_e32 v30, v30, v26
	s_delay_alu instid0(VALU_DEP_2) | instskip(NEXT) | instid1(VALU_DEP_2)
	v_sub_nc_u32_e32 v35, v13, v28
	v_min_u32_e32 v32, v30, v33
	v_or_b32_e32 v33, v36, v37
	s_waitcnt vmcnt(2) lgkmcnt(2)
	s_clause 0x1
	flat_store_b128 v[22:23], v[14:17] offset:1024
	flat_store_b32 v[11:12], v33
	s_waitcnt vmcnt(0) lgkmcnt(2)
	flat_store_b128 v[24:25], v[18:21] offset:16
	v_sub_nc_u32_e64 v31, v30, v35 clamp
	; wave barrier
	s_delay_alu instid0(VALU_DEP_1)
	v_cmpx_lt_u32_e64 v31, v32
	s_cbranch_execz .LBB110_90
; %bb.87:
	v_add_co_u32 v11, s3, v9, v34
	s_delay_alu instid0(VALU_DEP_1) | instskip(SKIP_1) | instid1(VALU_DEP_1)
	v_add_co_ci_u32_e64 v12, s3, 0, v10, s3
	v_add_co_u32 v22, s3, v9, v28
	v_add_co_ci_u32_e64 v23, s3, 0, v10, s3
	s_mov_b32 s5, 0
	.p2align	6
.LBB110_88:                             ; =>This Inner Loop Header: Depth=1
	v_add_nc_u32_e32 v24, v32, v31
	s_delay_alu instid0(VALU_DEP_1) | instskip(NEXT) | instid1(VALU_DEP_1)
	v_lshrrev_b32_e32 v33, 1, v24
	v_xad_u32 v35, v33, -1, v30
	v_add_co_u32 v24, s3, v11, v33
	s_delay_alu instid0(VALU_DEP_1) | instskip(NEXT) | instid1(VALU_DEP_3)
	v_add_co_ci_u32_e64 v25, s3, 0, v12, s3
	v_add_co_u32 v35, s3, v22, v35
	s_delay_alu instid0(VALU_DEP_1)
	v_add_co_ci_u32_e64 v36, s3, 0, v23, s3
	s_clause 0x1
	flat_load_u8 v24, v[24:25]
	flat_load_u8 v25, v[35:36]
	v_add_nc_u32_e32 v35, 1, v33
	s_waitcnt vmcnt(0) lgkmcnt(0)
	v_cmp_gt_u16_e64 s3, v25, v24
	s_delay_alu instid0(VALU_DEP_1) | instskip(NEXT) | instid1(VALU_DEP_3)
	v_cndmask_b32_e64 v32, v32, v33, s3
	v_cndmask_b32_e64 v31, v35, v31, s3
	s_delay_alu instid0(VALU_DEP_1) | instskip(NEXT) | instid1(VALU_DEP_1)
	v_cmp_ge_u32_e64 s3, v31, v32
	s_or_b32 s5, s3, s5
	s_delay_alu instid0(SALU_CYCLE_1)
	s_and_not1_b32 exec_lo, exec_lo, s5
	s_cbranch_execnz .LBB110_88
; %bb.89:
	s_or_b32 exec_lo, exec_lo, s5
.LBB110_90:
	s_delay_alu instid0(SALU_CYCLE_1) | instskip(SKIP_2) | instid1(VALU_DEP_2)
	s_or_b32 exec_lo, exec_lo, s4
	v_add_nc_u32_e32 v11, v28, v30
	v_add_nc_u32_e32 v23, v31, v34
	v_sub_nc_u32_e32 v22, v11, v31
	s_delay_alu instid0(VALU_DEP_2) | instskip(NEXT) | instid1(VALU_DEP_2)
	v_cmp_le_u32_e64 s3, v23, v28
	v_cmp_le_u32_e64 s4, v22, v13
	s_delay_alu instid0(VALU_DEP_1) | instskip(NEXT) | instid1(SALU_CYCLE_1)
	s_or_b32 s3, s3, s4
	s_and_saveexec_b32 s11, s3
	s_cbranch_execz .LBB110_96
; %bb.91:
	v_cmp_lt_u32_e64 s3, v23, v28
                                        ; implicit-def: $vgpr11
	s_delay_alu instid0(VALU_DEP_1)
	s_and_saveexec_b32 s5, s3
	s_cbranch_execz .LBB110_93
; %bb.92:
	v_add_co_u32 v11, s4, v9, v23
	s_delay_alu instid0(VALU_DEP_1)
	v_add_co_ci_u32_e64 v12, s4, 0, v10, s4
	flat_load_u8 v11, v[11:12]
.LBB110_93:
	s_or_b32 exec_lo, exec_lo, s5
	v_cmp_ge_u32_e64 s4, v22, v13
	s_mov_b32 s6, exec_lo
                                        ; implicit-def: $vgpr12
	v_cmpx_lt_u32_e64 v22, v13
	s_cbranch_execz .LBB110_95
; %bb.94:
	v_add_co_u32 v14, s5, v9, v22
	s_delay_alu instid0(VALU_DEP_1)
	v_add_co_ci_u32_e64 v15, s5, 0, v10, s5
	flat_load_u8 v12, v[14:15]
.LBB110_95:
	s_or_b32 exec_lo, exec_lo, s6
	s_waitcnt vmcnt(0) lgkmcnt(0)
	v_and_b32_e32 v14, 0xff, v11
	v_and_b32_e32 v15, 0xff, v12
	s_delay_alu instid0(VALU_DEP_1) | instskip(NEXT) | instid1(VALU_DEP_1)
	v_cmp_le_u16_e64 s5, v15, v14
	s_and_b32 s3, s3, s5
	s_delay_alu instid0(SALU_CYCLE_1) | instskip(NEXT) | instid1(SALU_CYCLE_1)
	s_or_b32 s3, s4, s3
	v_cndmask_b32_e64 v14, v22, v23, s3
	v_cndmask_b32_e64 v15, v13, v28, s3
	s_delay_alu instid0(VALU_DEP_2) | instskip(NEXT) | instid1(VALU_DEP_2)
	v_add_nc_u32_e32 v17, 1, v14
	v_add_nc_u32_e32 v15, -1, v15
	s_delay_alu instid0(VALU_DEP_2) | instskip(NEXT) | instid1(VALU_DEP_2)
	v_cndmask_b32_e64 v20, v23, v17, s3
	v_min_u32_e32 v15, v17, v15
	v_cndmask_b32_e64 v21, v17, v22, s3
	s_delay_alu instid0(VALU_DEP_2) | instskip(NEXT) | instid1(VALU_DEP_1)
	v_add_co_u32 v15, s4, v9, v15
	v_add_co_ci_u32_e64 v16, s4, 0, v10, s4
	v_cmp_lt_u32_e64 s4, v20, v28
	s_delay_alu instid0(VALU_DEP_4) | instskip(SKIP_4) | instid1(VALU_DEP_2)
	v_cmp_ge_u32_e64 s6, v21, v13
	flat_load_u8 v15, v[15:16]
	s_waitcnt vmcnt(0) lgkmcnt(0)
	v_cndmask_b32_e64 v24, v15, v12, s3
	v_cndmask_b32_e64 v25, v11, v15, s3
	v_and_b32_e32 v15, 0xff, v24
	s_delay_alu instid0(VALU_DEP_2) | instskip(NEXT) | instid1(VALU_DEP_1)
	v_and_b32_e32 v16, 0xff, v25
	v_cmp_le_u16_e64 s5, v15, v16
	v_mov_b32_e32 v15, 0
	s_delay_alu instid0(VALU_DEP_2) | instskip(NEXT) | instid1(VALU_DEP_1)
	s_and_b32 s4, s4, s5
	v_lshlrev_b64 v[16:17], 3, v[14:15]
	s_or_b32 s4, s6, s4
	s_delay_alu instid0(SALU_CYCLE_1) | instskip(SKIP_1) | instid1(VALU_DEP_2)
	v_cndmask_b32_e64 v14, v21, v20, s4
	v_cndmask_b32_e64 v18, v13, v28, s4
	v_add_nc_u32_e32 v22, 1, v14
	s_delay_alu instid0(VALU_DEP_2) | instskip(NEXT) | instid1(VALU_DEP_2)
	v_add_nc_u32_e32 v18, -1, v18
	v_cndmask_b32_e64 v20, v20, v22, s4
	s_delay_alu instid0(VALU_DEP_2) | instskip(SKIP_1) | instid1(VALU_DEP_2)
	v_min_u32_e32 v18, v22, v18
	v_cndmask_b32_e64 v21, v22, v21, s4
	v_add_co_u32 v18, s5, v9, v18
	s_delay_alu instid0(VALU_DEP_1) | instskip(SKIP_1) | instid1(VALU_DEP_4)
	v_add_co_ci_u32_e64 v19, s5, 0, v10, s5
	v_cmp_lt_u32_e64 s5, v20, v28
	v_cmp_ge_u32_e64 s7, v21, v13
	flat_load_u8 v18, v[18:19]
	s_waitcnt vmcnt(0) lgkmcnt(0)
	v_cndmask_b32_e64 v23, v18, v24, s4
	v_cndmask_b32_e64 v29, v25, v18, s4
	s_delay_alu instid0(VALU_DEP_2) | instskip(NEXT) | instid1(VALU_DEP_2)
	v_and_b32_e32 v18, 0xff, v23
	v_and_b32_e32 v19, 0xff, v29
	s_delay_alu instid0(VALU_DEP_1) | instskip(SKIP_1) | instid1(VALU_DEP_2)
	v_cmp_le_u16_e64 s6, v18, v19
	v_lshlrev_b64 v[18:19], 3, v[14:15]
	s_and_b32 s5, s5, s6
	s_delay_alu instid0(SALU_CYCLE_1) | instskip(NEXT) | instid1(SALU_CYCLE_1)
	s_or_b32 s5, s7, s5
	v_cndmask_b32_e64 v14, v21, v20, s5
	v_cndmask_b32_e64 v22, v13, v28, s5
	s_delay_alu instid0(VALU_DEP_2) | instskip(NEXT) | instid1(VALU_DEP_2)
	v_add_nc_u32_e32 v30, 1, v14
	v_add_nc_u32_e32 v22, -1, v22
	s_delay_alu instid0(VALU_DEP_2) | instskip(NEXT) | instid1(VALU_DEP_2)
	v_cndmask_b32_e64 v20, v20, v30, s5
	v_min_u32_e32 v22, v30, v22
	v_cndmask_b32_e64 v21, v30, v21, s5
	s_delay_alu instid0(VALU_DEP_3) | instskip(NEXT) | instid1(VALU_DEP_3)
	v_cmp_lt_u32_e64 s7, v20, v28
	v_add_co_u32 v9, s6, v9, v22
	s_delay_alu instid0(VALU_DEP_1) | instskip(NEXT) | instid1(VALU_DEP_4)
	v_add_co_ci_u32_e64 v10, s6, 0, v10, s6
	v_cmp_ge_u32_e64 s6, v21, v13
	flat_load_u8 v9, v[9:10]
	s_waitcnt vmcnt(0) lgkmcnt(0)
	v_cndmask_b32_e64 v22, v9, v23, s5
	v_cndmask_b32_e64 v31, v29, v9, s5
	s_delay_alu instid0(VALU_DEP_2) | instskip(NEXT) | instid1(VALU_DEP_2)
	v_and_b32_e32 v9, 0xff, v22
	v_and_b32_e32 v10, 0xff, v31
	s_delay_alu instid0(VALU_DEP_1) | instskip(SKIP_1) | instid1(VALU_DEP_1)
	v_cmp_le_u16_e64 s8, v9, v10
	v_add_co_u32 v9, s9, v4, v16
	v_add_co_ci_u32_e64 v10, s9, v5, v17, s9
	s_delay_alu instid0(VALU_DEP_3)
	s_and_b32 s7, s7, s8
	v_lshlrev_b64 v[16:17], 3, v[14:15]
	s_or_b32 s6, s6, s7
	v_add_co_u32 v18, s7, v4, v18
	v_cndmask_b32_e64 v14, v21, v20, s6
	v_add_co_ci_u32_e64 v19, s7, v5, v19, s7
	s_delay_alu instid0(VALU_DEP_4) | instskip(NEXT) | instid1(VALU_DEP_3)
	v_add_co_u32 v20, s7, v4, v16
	v_lshlrev_b64 v[13:14], 3, v[14:15]
	v_add_co_ci_u32_e64 v21, s7, v5, v17, s7
	s_delay_alu instid0(VALU_DEP_2) | instskip(NEXT) | instid1(VALU_DEP_1)
	v_add_co_u32 v4, s7, v4, v13
	v_add_co_ci_u32_e64 v5, s7, v5, v14, s7
	s_clause 0x3
	flat_load_b64 v[14:15], v[9:10] offset:1024
	flat_load_b64 v[16:17], v[18:19] offset:1024
	;; [unrolled: 1-line block ×4, first 2 shown]
	v_cndmask_b32_e64 v4, v22, v31, s6
	v_cndmask_b32_e64 v5, v23, v29, s5
	v_cndmask_b32_e64 v9, v24, v25, s4
	v_cndmask_b32_e64 v10, v12, v11, s3
	s_delay_alu instid0(VALU_DEP_4) | instskip(NEXT) | instid1(VALU_DEP_4)
	v_lshlrev_b16 v4, 8, v4
	v_and_b32_e32 v5, 0xff, v5
	s_delay_alu instid0(VALU_DEP_4) | instskip(NEXT) | instid1(VALU_DEP_4)
	v_lshlrev_b16 v9, 8, v9
	v_and_b32_e32 v10, 0xff, v10
	s_delay_alu instid0(VALU_DEP_3) | instskip(NEXT) | instid1(VALU_DEP_2)
	v_or_b32_e32 v4, v5, v4
	v_or_b32_e32 v5, v10, v9
	s_delay_alu instid0(VALU_DEP_2) | instskip(NEXT) | instid1(VALU_DEP_2)
	v_lshlrev_b32_e32 v4, 16, v4
	v_and_b32_e32 v5, 0xffff, v5
	s_delay_alu instid0(VALU_DEP_1)
	v_or_b32_e32 v29, v5, v4
.LBB110_96:
	s_or_b32 exec_lo, exec_lo, s11
	; wave barrier
	s_waitcnt vmcnt(0) lgkmcnt(0)
	s_waitcnt_vscnt null, 0x0
	s_barrier
.LBB110_97:
	s_or_b32 exec_lo, exec_lo, s10
	v_add_co_u32 v2, s3, v2, v8
	s_delay_alu instid0(VALU_DEP_1) | instskip(SKIP_4) | instid1(VALU_DEP_1)
	v_add_co_ci_u32_e64 v3, s3, 0, v3, s3
	s_waitcnt vmcnt(0) lgkmcnt(0)
	s_waitcnt_vscnt null, 0x0
	buffer_gl0_inv
	v_add_co_u32 v2, s3, v2, v26
	v_add_co_ci_u32_e64 v3, s3, 0, v3, s3
	; wave barrier
	s_and_saveexec_b32 s3, vcc_lo
	s_cbranch_execnz .LBB110_110
; %bb.98:
	s_or_b32 exec_lo, exec_lo, s3
	s_and_saveexec_b32 s3, s0
	s_cbranch_execnz .LBB110_111
.LBB110_99:
	s_or_b32 exec_lo, exec_lo, s3
	s_and_saveexec_b32 s3, s1
	s_cbranch_execnz .LBB110_112
.LBB110_100:
	s_or_b32 exec_lo, exec_lo, s3
	s_and_saveexec_b32 s3, s2
	s_cbranch_execz .LBB110_102
.LBB110_101:
	v_lshrrev_b32_e32 v4, 24, v29
	flat_store_b8 v[2:3], v4 offset:3
.LBB110_102:
	s_or_b32 exec_lo, exec_lo, s3
	v_add_co_u32 v0, s3, v6, v0
	s_delay_alu instid0(VALU_DEP_1) | instskip(NEXT) | instid1(VALU_DEP_2)
	v_add_co_ci_u32_e64 v1, s3, v7, v1, s3
	v_add_co_u32 v0, s3, v0, v27
	s_delay_alu instid0(VALU_DEP_1)
	v_add_co_ci_u32_e64 v1, s3, 0, v1, s3
	; wave barrier
	s_and_saveexec_b32 s3, vcc_lo
	s_cbranch_execnz .LBB110_113
; %bb.103:
	s_or_b32 exec_lo, exec_lo, s3
	s_and_saveexec_b32 s3, s0
	s_cbranch_execnz .LBB110_114
.LBB110_104:
	s_or_b32 exec_lo, exec_lo, s3
	s_and_saveexec_b32 s0, s1
	s_cbranch_execnz .LBB110_115
.LBB110_105:
	s_or_b32 exec_lo, exec_lo, s0
	s_and_saveexec_b32 s0, s2
	s_cbranch_execnz .LBB110_116
.LBB110_106:
	s_or_b32 exec_lo, exec_lo, s0
	s_waitcnt lgkmcnt(0)
	s_setpc_b64 s[30:31]
.LBB110_107:
	flat_load_b64 v[14:15], v[4:5]
	s_or_b32 exec_lo, exec_lo, s3
	s_and_saveexec_b32 s3, s0
	s_cbranch_execz .LBB110_10
.LBB110_108:
	flat_load_b64 v[16:17], v[4:5] offset:8
	s_or_b32 exec_lo, exec_lo, s3
                                        ; implicit-def: $vgpr18_vgpr19
	s_and_saveexec_b32 s3, s1
	s_cbranch_execz .LBB110_11
.LBB110_109:
	flat_load_b64 v[18:19], v[4:5] offset:16
	s_or_b32 exec_lo, exec_lo, s3
	s_and_saveexec_b32 s3, s2
	s_cbranch_execnz .LBB110_12
	s_branch .LBB110_13
.LBB110_110:
	flat_store_b8 v[2:3], v29
	s_or_b32 exec_lo, exec_lo, s3
	s_and_saveexec_b32 s3, s0
	s_cbranch_execz .LBB110_99
.LBB110_111:
	v_lshrrev_b32_e32 v4, 8, v29
	flat_store_b8 v[2:3], v4 offset:1
	s_or_b32 exec_lo, exec_lo, s3
	s_and_saveexec_b32 s3, s1
	s_cbranch_execz .LBB110_100
.LBB110_112:
	flat_store_d16_hi_b8 v[2:3], v29 offset:2
	s_or_b32 exec_lo, exec_lo, s3
	s_and_saveexec_b32 s3, s2
	s_cbranch_execnz .LBB110_101
	s_branch .LBB110_102
.LBB110_113:
	flat_store_b64 v[0:1], v[14:15]
	s_or_b32 exec_lo, exec_lo, s3
	s_and_saveexec_b32 s3, s0
	s_cbranch_execz .LBB110_104
.LBB110_114:
	flat_store_b64 v[0:1], v[16:17] offset:8
	s_or_b32 exec_lo, exec_lo, s3
	s_and_saveexec_b32 s0, s1
	s_cbranch_execz .LBB110_105
.LBB110_115:
	flat_store_b64 v[0:1], v[18:19] offset:16
	s_or_b32 exec_lo, exec_lo, s0
	s_and_saveexec_b32 s0, s2
	s_cbranch_execz .LBB110_106
.LBB110_116:
	flat_store_b64 v[0:1], v[20:21] offset:24
	s_or_b32 exec_lo, exec_lo, s0
	s_waitcnt lgkmcnt(0)
	s_setpc_b64 s[30:31]
.Lfunc_end110:
	.size	_ZN7rocprim17ROCPRIM_400000_NS6detail26segmented_warp_sort_helperINS1_20WarpSortHelperConfigILj8ELj4ELj256EEEhlLi256ELb1EvE4sortIPKhPhPKlPlEEvT_T0_T1_T2_jjjjRNS5_12storage_typeE, .Lfunc_end110-_ZN7rocprim17ROCPRIM_400000_NS6detail26segmented_warp_sort_helperINS1_20WarpSortHelperConfigILj8ELj4ELj256EEEhlLi256ELb1EvE4sortIPKhPhPKlPlEEvT_T0_T1_T2_jjjjRNS5_12storage_typeE
                                        ; -- End function
	.section	.AMDGPU.csdata,"",@progbits
; Function info:
; codeLenInByte = 10572
; NumSgprs: 34
; NumVgprs: 66
; ScratchSize: 0
; MemoryBound: 0
	.section	.text._ZN7rocprim17ROCPRIM_400000_NS6detail17trampoline_kernelINS0_14default_configENS1_36segmented_radix_sort_config_selectorIhlEEZNS1_25segmented_radix_sort_implIS3_Lb1EPKhPhPKlPlN2at6native12_GLOBAL__N_18offset_tEEE10hipError_tPvRmT1_PNSt15iterator_traitsISK_E10value_typeET2_T3_PNSL_ISQ_E10value_typeET4_jRbjT5_SW_jjP12ihipStream_tbEUlT_E1_NS1_11comp_targetILNS1_3genE9ELNS1_11target_archE1100ELNS1_3gpuE3ELNS1_3repE0EEENS1_59segmented_radix_sort_warp_sort_small_config_static_selectorELNS0_4arch9wavefront6targetE0EEEvSK_,"axG",@progbits,_ZN7rocprim17ROCPRIM_400000_NS6detail17trampoline_kernelINS0_14default_configENS1_36segmented_radix_sort_config_selectorIhlEEZNS1_25segmented_radix_sort_implIS3_Lb1EPKhPhPKlPlN2at6native12_GLOBAL__N_18offset_tEEE10hipError_tPvRmT1_PNSt15iterator_traitsISK_E10value_typeET2_T3_PNSL_ISQ_E10value_typeET4_jRbjT5_SW_jjP12ihipStream_tbEUlT_E1_NS1_11comp_targetILNS1_3genE9ELNS1_11target_archE1100ELNS1_3gpuE3ELNS1_3repE0EEENS1_59segmented_radix_sort_warp_sort_small_config_static_selectorELNS0_4arch9wavefront6targetE0EEEvSK_,comdat
	.globl	_ZN7rocprim17ROCPRIM_400000_NS6detail17trampoline_kernelINS0_14default_configENS1_36segmented_radix_sort_config_selectorIhlEEZNS1_25segmented_radix_sort_implIS3_Lb1EPKhPhPKlPlN2at6native12_GLOBAL__N_18offset_tEEE10hipError_tPvRmT1_PNSt15iterator_traitsISK_E10value_typeET2_T3_PNSL_ISQ_E10value_typeET4_jRbjT5_SW_jjP12ihipStream_tbEUlT_E1_NS1_11comp_targetILNS1_3genE9ELNS1_11target_archE1100ELNS1_3gpuE3ELNS1_3repE0EEENS1_59segmented_radix_sort_warp_sort_small_config_static_selectorELNS0_4arch9wavefront6targetE0EEEvSK_ ; -- Begin function _ZN7rocprim17ROCPRIM_400000_NS6detail17trampoline_kernelINS0_14default_configENS1_36segmented_radix_sort_config_selectorIhlEEZNS1_25segmented_radix_sort_implIS3_Lb1EPKhPhPKlPlN2at6native12_GLOBAL__N_18offset_tEEE10hipError_tPvRmT1_PNSt15iterator_traitsISK_E10value_typeET2_T3_PNSL_ISQ_E10value_typeET4_jRbjT5_SW_jjP12ihipStream_tbEUlT_E1_NS1_11comp_targetILNS1_3genE9ELNS1_11target_archE1100ELNS1_3gpuE3ELNS1_3repE0EEENS1_59segmented_radix_sort_warp_sort_small_config_static_selectorELNS0_4arch9wavefront6targetE0EEEvSK_
	.p2align	8
	.type	_ZN7rocprim17ROCPRIM_400000_NS6detail17trampoline_kernelINS0_14default_configENS1_36segmented_radix_sort_config_selectorIhlEEZNS1_25segmented_radix_sort_implIS3_Lb1EPKhPhPKlPlN2at6native12_GLOBAL__N_18offset_tEEE10hipError_tPvRmT1_PNSt15iterator_traitsISK_E10value_typeET2_T3_PNSL_ISQ_E10value_typeET4_jRbjT5_SW_jjP12ihipStream_tbEUlT_E1_NS1_11comp_targetILNS1_3genE9ELNS1_11target_archE1100ELNS1_3gpuE3ELNS1_3repE0EEENS1_59segmented_radix_sort_warp_sort_small_config_static_selectorELNS0_4arch9wavefront6targetE0EEEvSK_,@function
_ZN7rocprim17ROCPRIM_400000_NS6detail17trampoline_kernelINS0_14default_configENS1_36segmented_radix_sort_config_selectorIhlEEZNS1_25segmented_radix_sort_implIS3_Lb1EPKhPhPKlPlN2at6native12_GLOBAL__N_18offset_tEEE10hipError_tPvRmT1_PNSt15iterator_traitsISK_E10value_typeET2_T3_PNSL_ISQ_E10value_typeET4_jRbjT5_SW_jjP12ihipStream_tbEUlT_E1_NS1_11comp_targetILNS1_3genE9ELNS1_11target_archE1100ELNS1_3gpuE3ELNS1_3repE0EEENS1_59segmented_radix_sort_warp_sort_small_config_static_selectorELNS0_4arch9wavefront6targetE0EEEvSK_: ; @_ZN7rocprim17ROCPRIM_400000_NS6detail17trampoline_kernelINS0_14default_configENS1_36segmented_radix_sort_config_selectorIhlEEZNS1_25segmented_radix_sort_implIS3_Lb1EPKhPhPKlPlN2at6native12_GLOBAL__N_18offset_tEEE10hipError_tPvRmT1_PNSt15iterator_traitsISK_E10value_typeET2_T3_PNSL_ISQ_E10value_typeET4_jRbjT5_SW_jjP12ihipStream_tbEUlT_E1_NS1_11comp_targetILNS1_3genE9ELNS1_11target_archE1100ELNS1_3gpuE3ELNS1_3repE0EEENS1_59segmented_radix_sort_warp_sort_small_config_static_selectorELNS0_4arch9wavefront6targetE0EEEvSK_
; %bb.0:
	s_load_b32 s2, s[0:1], 0x64
	v_bfe_u32 v1, v0, 10, 10
	v_bfe_u32 v2, v0, 20, 10
	s_mov_b32 s12, s14
	s_mov_b32 s32, 0
	s_waitcnt lgkmcnt(0)
	s_lshr_b32 s3, s2, 16
	s_and_b32 s2, s2, 0xffff
	v_mad_u32_u24 v4, v2, s3, v1
	v_and_b32_e32 v1, 0x3ff, v0
	s_load_b32 s3, s[0:1], 0x34
	s_delay_alu instid0(VALU_DEP_1) | instskip(SKIP_1) | instid1(VALU_DEP_1)
	v_mad_u64_u32 v[2:3], null, v4, s2, v[1:2]
	s_mov_b32 s2, exec_lo
	v_lshrrev_b32_e32 v1, 3, v2
	s_delay_alu instid0(VALU_DEP_1) | instskip(SKIP_1) | instid1(VALU_DEP_1)
	v_lshl_add_u32 v1, s12, 5, v1
	s_waitcnt lgkmcnt(0)
	v_cmpx_gt_u32_e64 s3, v1
	s_cbranch_execz .LBB111_6
; %bb.1:
	s_clause 0x1
	s_load_b64 s[2:3], s[0:1], 0x38
	s_load_b128 s[4:7], s[0:1], 0x40
	v_mov_b32_e32 v2, 0
	s_delay_alu instid0(VALU_DEP_1) | instskip(SKIP_1) | instid1(VALU_DEP_1)
	v_lshlrev_b64 v[1:2], 2, v[1:2]
	s_waitcnt lgkmcnt(0)
	v_sub_co_u32 v1, vcc_lo, s2, v1
	s_delay_alu instid0(VALU_DEP_2) | instskip(SKIP_4) | instid1(VALU_DEP_2)
	v_sub_co_ci_u32_e32 v2, vcc_lo, s3, v2, vcc_lo
	global_load_b32 v1, v[1:2], off offset:-4
	s_waitcnt vmcnt(0)
	v_add_nc_u32_e32 v2, s5, v1
	v_add_nc_u32_e32 v1, s7, v1
	v_mul_lo_u32 v8, v2, s4
	s_delay_alu instid0(VALU_DEP_2) | instskip(NEXT) | instid1(VALU_DEP_1)
	v_mul_lo_u32 v40, v1, s6
	v_cmp_gt_u32_e32 vcc_lo, v40, v8
	s_and_b32 exec_lo, exec_lo, vcc_lo
	s_cbranch_execz .LBB111_6
; %bb.2:
	s_clause 0x3
	s_load_b32 s2, s[0:1], 0x30
	s_load_b128 s[24:27], s[0:1], 0x20
	s_load_b256 s[16:23], s[0:1], 0x0
	s_load_b64 s[28:29], s[0:1], 0x50
	s_mov_b32 s13, s15
	s_waitcnt lgkmcnt(0)
	s_bitcmp0_b32 s2, 0
	s_mov_b32 s2, -1
	s_cbranch_scc0 .LBB111_4
; %bb.3:
	s_mov_b64 s[2:3], src_shared_base
	v_mov_b32_e32 v31, v0
	v_dual_mov_b32 v41, v0 :: v_dual_mov_b32 v2, s18
	v_dual_mov_b32 v0, s16 :: v_dual_mov_b32 v1, s17
	;; [unrolled: 1-line block ×6, first 2 shown]
	v_mov_b32_e32 v11, s29
	v_mov_b32_e32 v13, s3
	s_add_u32 s8, s0, 0x58
	s_addc_u32 s9, s1, 0
	s_getpc_b64 s[4:5]
	s_add_u32 s4, s4, _ZN7rocprim17ROCPRIM_400000_NS6detail26segmented_warp_sort_helperINS1_20WarpSortHelperConfigILj8ELj4ELj256EEEhlLi256ELb1EvE4sortIPKhPhPKlPlEEvT_T0_T1_T2_jjjjRNS5_12storage_typeE@rel32@lo+4
	s_addc_u32 s5, s5, _ZN7rocprim17ROCPRIM_400000_NS6detail26segmented_warp_sort_helperINS1_20WarpSortHelperConfigILj8ELj4ELj256EEEhlLi256ELb1EvE4sortIPKhPhPKlPlEEvT_T0_T1_T2_jjjjRNS5_12storage_typeE@rel32@hi+12
	s_mov_b64 s[18:19], s[0:1]
	s_swappc_b64 s[30:31], s[4:5]
	v_mov_b32_e32 v0, v41
	s_mov_b64 s[0:1], s[18:19]
	s_mov_b32 s2, 0
.LBB111_4:
	s_delay_alu instid0(SALU_CYCLE_1)
	s_and_not1_b32 vcc_lo, exec_lo, s2
	s_cbranch_vccnz .LBB111_6
; %bb.5:
	s_add_u32 s8, s0, 0x58
	s_addc_u32 s9, s1, 0
	s_mov_b64 s[0:1], src_shared_base
	v_dual_mov_b32 v31, v0 :: v_dual_mov_b32 v0, s16
	v_dual_mov_b32 v1, s17 :: v_dual_mov_b32 v2, s20
	;; [unrolled: 1-line block ×6, first 2 shown]
	v_mov_b32_e32 v11, s29
	v_mov_b32_e32 v13, s1
	s_getpc_b64 s[2:3]
	s_add_u32 s2, s2, _ZN7rocprim17ROCPRIM_400000_NS6detail26segmented_warp_sort_helperINS1_20WarpSortHelperConfigILj8ELj4ELj256EEEhlLi256ELb1EvE4sortIPKhPhPKlPlEEvT_T0_T1_T2_jjjjRNS5_12storage_typeE@rel32@lo+4
	s_addc_u32 s3, s3, _ZN7rocprim17ROCPRIM_400000_NS6detail26segmented_warp_sort_helperINS1_20WarpSortHelperConfigILj8ELj4ELj256EEEhlLi256ELb1EvE4sortIPKhPhPKlPlEEvT_T0_T1_T2_jjjjRNS5_12storage_typeE@rel32@hi+12
	s_delay_alu instid0(SALU_CYCLE_1)
	s_swappc_b64 s[30:31], s[2:3]
.LBB111_6:
	s_endpgm
	.section	.rodata,"a",@progbits
	.p2align	6, 0x0
	.amdhsa_kernel _ZN7rocprim17ROCPRIM_400000_NS6detail17trampoline_kernelINS0_14default_configENS1_36segmented_radix_sort_config_selectorIhlEEZNS1_25segmented_radix_sort_implIS3_Lb1EPKhPhPKlPlN2at6native12_GLOBAL__N_18offset_tEEE10hipError_tPvRmT1_PNSt15iterator_traitsISK_E10value_typeET2_T3_PNSL_ISQ_E10value_typeET4_jRbjT5_SW_jjP12ihipStream_tbEUlT_E1_NS1_11comp_targetILNS1_3genE9ELNS1_11target_archE1100ELNS1_3gpuE3ELNS1_3repE0EEENS1_59segmented_radix_sort_warp_sort_small_config_static_selectorELNS0_4arch9wavefront6targetE0EEEvSK_
		.amdhsa_group_segment_fixed_size 9216
		.amdhsa_private_segment_fixed_size 0
		.amdhsa_kernarg_size 344
		.amdhsa_user_sgpr_count 14
		.amdhsa_user_sgpr_dispatch_ptr 0
		.amdhsa_user_sgpr_queue_ptr 0
		.amdhsa_user_sgpr_kernarg_segment_ptr 1
		.amdhsa_user_sgpr_dispatch_id 0
		.amdhsa_user_sgpr_private_segment_size 0
		.amdhsa_wavefront_size32 1
		.amdhsa_uses_dynamic_stack 0
		.amdhsa_enable_private_segment 0
		.amdhsa_system_sgpr_workgroup_id_x 1
		.amdhsa_system_sgpr_workgroup_id_y 1
		.amdhsa_system_sgpr_workgroup_id_z 0
		.amdhsa_system_sgpr_workgroup_info 0
		.amdhsa_system_vgpr_workitem_id 2
		.amdhsa_next_free_vgpr 66
		.amdhsa_next_free_sgpr 33
		.amdhsa_reserve_vcc 1
		.amdhsa_float_round_mode_32 0
		.amdhsa_float_round_mode_16_64 0
		.amdhsa_float_denorm_mode_32 3
		.amdhsa_float_denorm_mode_16_64 3
		.amdhsa_dx10_clamp 1
		.amdhsa_ieee_mode 1
		.amdhsa_fp16_overflow 0
		.amdhsa_workgroup_processor_mode 1
		.amdhsa_memory_ordered 1
		.amdhsa_forward_progress 0
		.amdhsa_shared_vgpr_count 0
		.amdhsa_exception_fp_ieee_invalid_op 0
		.amdhsa_exception_fp_denorm_src 0
		.amdhsa_exception_fp_ieee_div_zero 0
		.amdhsa_exception_fp_ieee_overflow 0
		.amdhsa_exception_fp_ieee_underflow 0
		.amdhsa_exception_fp_ieee_inexact 0
		.amdhsa_exception_int_div_zero 0
	.end_amdhsa_kernel
	.section	.text._ZN7rocprim17ROCPRIM_400000_NS6detail17trampoline_kernelINS0_14default_configENS1_36segmented_radix_sort_config_selectorIhlEEZNS1_25segmented_radix_sort_implIS3_Lb1EPKhPhPKlPlN2at6native12_GLOBAL__N_18offset_tEEE10hipError_tPvRmT1_PNSt15iterator_traitsISK_E10value_typeET2_T3_PNSL_ISQ_E10value_typeET4_jRbjT5_SW_jjP12ihipStream_tbEUlT_E1_NS1_11comp_targetILNS1_3genE9ELNS1_11target_archE1100ELNS1_3gpuE3ELNS1_3repE0EEENS1_59segmented_radix_sort_warp_sort_small_config_static_selectorELNS0_4arch9wavefront6targetE0EEEvSK_,"axG",@progbits,_ZN7rocprim17ROCPRIM_400000_NS6detail17trampoline_kernelINS0_14default_configENS1_36segmented_radix_sort_config_selectorIhlEEZNS1_25segmented_radix_sort_implIS3_Lb1EPKhPhPKlPlN2at6native12_GLOBAL__N_18offset_tEEE10hipError_tPvRmT1_PNSt15iterator_traitsISK_E10value_typeET2_T3_PNSL_ISQ_E10value_typeET4_jRbjT5_SW_jjP12ihipStream_tbEUlT_E1_NS1_11comp_targetILNS1_3genE9ELNS1_11target_archE1100ELNS1_3gpuE3ELNS1_3repE0EEENS1_59segmented_radix_sort_warp_sort_small_config_static_selectorELNS0_4arch9wavefront6targetE0EEEvSK_,comdat
.Lfunc_end111:
	.size	_ZN7rocprim17ROCPRIM_400000_NS6detail17trampoline_kernelINS0_14default_configENS1_36segmented_radix_sort_config_selectorIhlEEZNS1_25segmented_radix_sort_implIS3_Lb1EPKhPhPKlPlN2at6native12_GLOBAL__N_18offset_tEEE10hipError_tPvRmT1_PNSt15iterator_traitsISK_E10value_typeET2_T3_PNSL_ISQ_E10value_typeET4_jRbjT5_SW_jjP12ihipStream_tbEUlT_E1_NS1_11comp_targetILNS1_3genE9ELNS1_11target_archE1100ELNS1_3gpuE3ELNS1_3repE0EEENS1_59segmented_radix_sort_warp_sort_small_config_static_selectorELNS0_4arch9wavefront6targetE0EEEvSK_, .Lfunc_end111-_ZN7rocprim17ROCPRIM_400000_NS6detail17trampoline_kernelINS0_14default_configENS1_36segmented_radix_sort_config_selectorIhlEEZNS1_25segmented_radix_sort_implIS3_Lb1EPKhPhPKlPlN2at6native12_GLOBAL__N_18offset_tEEE10hipError_tPvRmT1_PNSt15iterator_traitsISK_E10value_typeET2_T3_PNSL_ISQ_E10value_typeET4_jRbjT5_SW_jjP12ihipStream_tbEUlT_E1_NS1_11comp_targetILNS1_3genE9ELNS1_11target_archE1100ELNS1_3gpuE3ELNS1_3repE0EEENS1_59segmented_radix_sort_warp_sort_small_config_static_selectorELNS0_4arch9wavefront6targetE0EEEvSK_
                                        ; -- End function
	.section	.AMDGPU.csdata,"",@progbits
; Kernel info:
; codeLenInByte = 516
; NumSgprs: 35
; NumVgprs: 66
; ScratchSize: 0
; MemoryBound: 0
; FloatMode: 240
; IeeeMode: 1
; LDSByteSize: 9216 bytes/workgroup (compile time only)
; SGPRBlocks: 4
; VGPRBlocks: 8
; NumSGPRsForWavesPerEU: 35
; NumVGPRsForWavesPerEU: 66
; Occupancy: 16
; WaveLimiterHint : 0
; COMPUTE_PGM_RSRC2:SCRATCH_EN: 0
; COMPUTE_PGM_RSRC2:USER_SGPR: 14
; COMPUTE_PGM_RSRC2:TRAP_HANDLER: 0
; COMPUTE_PGM_RSRC2:TGID_X_EN: 1
; COMPUTE_PGM_RSRC2:TGID_Y_EN: 1
; COMPUTE_PGM_RSRC2:TGID_Z_EN: 0
; COMPUTE_PGM_RSRC2:TIDIG_COMP_CNT: 2
	.section	.text._ZN7rocprim17ROCPRIM_400000_NS6detail17trampoline_kernelINS0_14default_configENS1_36segmented_radix_sort_config_selectorIhlEEZNS1_25segmented_radix_sort_implIS3_Lb1EPKhPhPKlPlN2at6native12_GLOBAL__N_18offset_tEEE10hipError_tPvRmT1_PNSt15iterator_traitsISK_E10value_typeET2_T3_PNSL_ISQ_E10value_typeET4_jRbjT5_SW_jjP12ihipStream_tbEUlT_E1_NS1_11comp_targetILNS1_3genE8ELNS1_11target_archE1030ELNS1_3gpuE2ELNS1_3repE0EEENS1_59segmented_radix_sort_warp_sort_small_config_static_selectorELNS0_4arch9wavefront6targetE0EEEvSK_,"axG",@progbits,_ZN7rocprim17ROCPRIM_400000_NS6detail17trampoline_kernelINS0_14default_configENS1_36segmented_radix_sort_config_selectorIhlEEZNS1_25segmented_radix_sort_implIS3_Lb1EPKhPhPKlPlN2at6native12_GLOBAL__N_18offset_tEEE10hipError_tPvRmT1_PNSt15iterator_traitsISK_E10value_typeET2_T3_PNSL_ISQ_E10value_typeET4_jRbjT5_SW_jjP12ihipStream_tbEUlT_E1_NS1_11comp_targetILNS1_3genE8ELNS1_11target_archE1030ELNS1_3gpuE2ELNS1_3repE0EEENS1_59segmented_radix_sort_warp_sort_small_config_static_selectorELNS0_4arch9wavefront6targetE0EEEvSK_,comdat
	.globl	_ZN7rocprim17ROCPRIM_400000_NS6detail17trampoline_kernelINS0_14default_configENS1_36segmented_radix_sort_config_selectorIhlEEZNS1_25segmented_radix_sort_implIS3_Lb1EPKhPhPKlPlN2at6native12_GLOBAL__N_18offset_tEEE10hipError_tPvRmT1_PNSt15iterator_traitsISK_E10value_typeET2_T3_PNSL_ISQ_E10value_typeET4_jRbjT5_SW_jjP12ihipStream_tbEUlT_E1_NS1_11comp_targetILNS1_3genE8ELNS1_11target_archE1030ELNS1_3gpuE2ELNS1_3repE0EEENS1_59segmented_radix_sort_warp_sort_small_config_static_selectorELNS0_4arch9wavefront6targetE0EEEvSK_ ; -- Begin function _ZN7rocprim17ROCPRIM_400000_NS6detail17trampoline_kernelINS0_14default_configENS1_36segmented_radix_sort_config_selectorIhlEEZNS1_25segmented_radix_sort_implIS3_Lb1EPKhPhPKlPlN2at6native12_GLOBAL__N_18offset_tEEE10hipError_tPvRmT1_PNSt15iterator_traitsISK_E10value_typeET2_T3_PNSL_ISQ_E10value_typeET4_jRbjT5_SW_jjP12ihipStream_tbEUlT_E1_NS1_11comp_targetILNS1_3genE8ELNS1_11target_archE1030ELNS1_3gpuE2ELNS1_3repE0EEENS1_59segmented_radix_sort_warp_sort_small_config_static_selectorELNS0_4arch9wavefront6targetE0EEEvSK_
	.p2align	8
	.type	_ZN7rocprim17ROCPRIM_400000_NS6detail17trampoline_kernelINS0_14default_configENS1_36segmented_radix_sort_config_selectorIhlEEZNS1_25segmented_radix_sort_implIS3_Lb1EPKhPhPKlPlN2at6native12_GLOBAL__N_18offset_tEEE10hipError_tPvRmT1_PNSt15iterator_traitsISK_E10value_typeET2_T3_PNSL_ISQ_E10value_typeET4_jRbjT5_SW_jjP12ihipStream_tbEUlT_E1_NS1_11comp_targetILNS1_3genE8ELNS1_11target_archE1030ELNS1_3gpuE2ELNS1_3repE0EEENS1_59segmented_radix_sort_warp_sort_small_config_static_selectorELNS0_4arch9wavefront6targetE0EEEvSK_,@function
_ZN7rocprim17ROCPRIM_400000_NS6detail17trampoline_kernelINS0_14default_configENS1_36segmented_radix_sort_config_selectorIhlEEZNS1_25segmented_radix_sort_implIS3_Lb1EPKhPhPKlPlN2at6native12_GLOBAL__N_18offset_tEEE10hipError_tPvRmT1_PNSt15iterator_traitsISK_E10value_typeET2_T3_PNSL_ISQ_E10value_typeET4_jRbjT5_SW_jjP12ihipStream_tbEUlT_E1_NS1_11comp_targetILNS1_3genE8ELNS1_11target_archE1030ELNS1_3gpuE2ELNS1_3repE0EEENS1_59segmented_radix_sort_warp_sort_small_config_static_selectorELNS0_4arch9wavefront6targetE0EEEvSK_: ; @_ZN7rocprim17ROCPRIM_400000_NS6detail17trampoline_kernelINS0_14default_configENS1_36segmented_radix_sort_config_selectorIhlEEZNS1_25segmented_radix_sort_implIS3_Lb1EPKhPhPKlPlN2at6native12_GLOBAL__N_18offset_tEEE10hipError_tPvRmT1_PNSt15iterator_traitsISK_E10value_typeET2_T3_PNSL_ISQ_E10value_typeET4_jRbjT5_SW_jjP12ihipStream_tbEUlT_E1_NS1_11comp_targetILNS1_3genE8ELNS1_11target_archE1030ELNS1_3gpuE2ELNS1_3repE0EEENS1_59segmented_radix_sort_warp_sort_small_config_static_selectorELNS0_4arch9wavefront6targetE0EEEvSK_
; %bb.0:
	.section	.rodata,"a",@progbits
	.p2align	6, 0x0
	.amdhsa_kernel _ZN7rocprim17ROCPRIM_400000_NS6detail17trampoline_kernelINS0_14default_configENS1_36segmented_radix_sort_config_selectorIhlEEZNS1_25segmented_radix_sort_implIS3_Lb1EPKhPhPKlPlN2at6native12_GLOBAL__N_18offset_tEEE10hipError_tPvRmT1_PNSt15iterator_traitsISK_E10value_typeET2_T3_PNSL_ISQ_E10value_typeET4_jRbjT5_SW_jjP12ihipStream_tbEUlT_E1_NS1_11comp_targetILNS1_3genE8ELNS1_11target_archE1030ELNS1_3gpuE2ELNS1_3repE0EEENS1_59segmented_radix_sort_warp_sort_small_config_static_selectorELNS0_4arch9wavefront6targetE0EEEvSK_
		.amdhsa_group_segment_fixed_size 0
		.amdhsa_private_segment_fixed_size 0
		.amdhsa_kernarg_size 88
		.amdhsa_user_sgpr_count 15
		.amdhsa_user_sgpr_dispatch_ptr 0
		.amdhsa_user_sgpr_queue_ptr 0
		.amdhsa_user_sgpr_kernarg_segment_ptr 1
		.amdhsa_user_sgpr_dispatch_id 0
		.amdhsa_user_sgpr_private_segment_size 0
		.amdhsa_wavefront_size32 1
		.amdhsa_uses_dynamic_stack 0
		.amdhsa_enable_private_segment 0
		.amdhsa_system_sgpr_workgroup_id_x 1
		.amdhsa_system_sgpr_workgroup_id_y 0
		.amdhsa_system_sgpr_workgroup_id_z 0
		.amdhsa_system_sgpr_workgroup_info 0
		.amdhsa_system_vgpr_workitem_id 0
		.amdhsa_next_free_vgpr 1
		.amdhsa_next_free_sgpr 1
		.amdhsa_reserve_vcc 0
		.amdhsa_float_round_mode_32 0
		.amdhsa_float_round_mode_16_64 0
		.amdhsa_float_denorm_mode_32 3
		.amdhsa_float_denorm_mode_16_64 3
		.amdhsa_dx10_clamp 1
		.amdhsa_ieee_mode 1
		.amdhsa_fp16_overflow 0
		.amdhsa_workgroup_processor_mode 1
		.amdhsa_memory_ordered 1
		.amdhsa_forward_progress 0
		.amdhsa_shared_vgpr_count 0
		.amdhsa_exception_fp_ieee_invalid_op 0
		.amdhsa_exception_fp_denorm_src 0
		.amdhsa_exception_fp_ieee_div_zero 0
		.amdhsa_exception_fp_ieee_overflow 0
		.amdhsa_exception_fp_ieee_underflow 0
		.amdhsa_exception_fp_ieee_inexact 0
		.amdhsa_exception_int_div_zero 0
	.end_amdhsa_kernel
	.section	.text._ZN7rocprim17ROCPRIM_400000_NS6detail17trampoline_kernelINS0_14default_configENS1_36segmented_radix_sort_config_selectorIhlEEZNS1_25segmented_radix_sort_implIS3_Lb1EPKhPhPKlPlN2at6native12_GLOBAL__N_18offset_tEEE10hipError_tPvRmT1_PNSt15iterator_traitsISK_E10value_typeET2_T3_PNSL_ISQ_E10value_typeET4_jRbjT5_SW_jjP12ihipStream_tbEUlT_E1_NS1_11comp_targetILNS1_3genE8ELNS1_11target_archE1030ELNS1_3gpuE2ELNS1_3repE0EEENS1_59segmented_radix_sort_warp_sort_small_config_static_selectorELNS0_4arch9wavefront6targetE0EEEvSK_,"axG",@progbits,_ZN7rocprim17ROCPRIM_400000_NS6detail17trampoline_kernelINS0_14default_configENS1_36segmented_radix_sort_config_selectorIhlEEZNS1_25segmented_radix_sort_implIS3_Lb1EPKhPhPKlPlN2at6native12_GLOBAL__N_18offset_tEEE10hipError_tPvRmT1_PNSt15iterator_traitsISK_E10value_typeET2_T3_PNSL_ISQ_E10value_typeET4_jRbjT5_SW_jjP12ihipStream_tbEUlT_E1_NS1_11comp_targetILNS1_3genE8ELNS1_11target_archE1030ELNS1_3gpuE2ELNS1_3repE0EEENS1_59segmented_radix_sort_warp_sort_small_config_static_selectorELNS0_4arch9wavefront6targetE0EEEvSK_,comdat
.Lfunc_end112:
	.size	_ZN7rocprim17ROCPRIM_400000_NS6detail17trampoline_kernelINS0_14default_configENS1_36segmented_radix_sort_config_selectorIhlEEZNS1_25segmented_radix_sort_implIS3_Lb1EPKhPhPKlPlN2at6native12_GLOBAL__N_18offset_tEEE10hipError_tPvRmT1_PNSt15iterator_traitsISK_E10value_typeET2_T3_PNSL_ISQ_E10value_typeET4_jRbjT5_SW_jjP12ihipStream_tbEUlT_E1_NS1_11comp_targetILNS1_3genE8ELNS1_11target_archE1030ELNS1_3gpuE2ELNS1_3repE0EEENS1_59segmented_radix_sort_warp_sort_small_config_static_selectorELNS0_4arch9wavefront6targetE0EEEvSK_, .Lfunc_end112-_ZN7rocprim17ROCPRIM_400000_NS6detail17trampoline_kernelINS0_14default_configENS1_36segmented_radix_sort_config_selectorIhlEEZNS1_25segmented_radix_sort_implIS3_Lb1EPKhPhPKlPlN2at6native12_GLOBAL__N_18offset_tEEE10hipError_tPvRmT1_PNSt15iterator_traitsISK_E10value_typeET2_T3_PNSL_ISQ_E10value_typeET4_jRbjT5_SW_jjP12ihipStream_tbEUlT_E1_NS1_11comp_targetILNS1_3genE8ELNS1_11target_archE1030ELNS1_3gpuE2ELNS1_3repE0EEENS1_59segmented_radix_sort_warp_sort_small_config_static_selectorELNS0_4arch9wavefront6targetE0EEEvSK_
                                        ; -- End function
	.section	.AMDGPU.csdata,"",@progbits
; Kernel info:
; codeLenInByte = 0
; NumSgprs: 0
; NumVgprs: 0
; ScratchSize: 0
; MemoryBound: 0
; FloatMode: 240
; IeeeMode: 1
; LDSByteSize: 0 bytes/workgroup (compile time only)
; SGPRBlocks: 0
; VGPRBlocks: 0
; NumSGPRsForWavesPerEU: 1
; NumVGPRsForWavesPerEU: 1
; Occupancy: 16
; WaveLimiterHint : 0
; COMPUTE_PGM_RSRC2:SCRATCH_EN: 0
; COMPUTE_PGM_RSRC2:USER_SGPR: 15
; COMPUTE_PGM_RSRC2:TRAP_HANDLER: 0
; COMPUTE_PGM_RSRC2:TGID_X_EN: 1
; COMPUTE_PGM_RSRC2:TGID_Y_EN: 0
; COMPUTE_PGM_RSRC2:TGID_Z_EN: 0
; COMPUTE_PGM_RSRC2:TIDIG_COMP_CNT: 0
	.section	.text._ZN7rocprim17ROCPRIM_400000_NS6detail17trampoline_kernelINS0_14default_configENS1_36segmented_radix_sort_config_selectorIhlEEZNS1_25segmented_radix_sort_implIS3_Lb1EPKhPhPKlPlN2at6native12_GLOBAL__N_18offset_tEEE10hipError_tPvRmT1_PNSt15iterator_traitsISK_E10value_typeET2_T3_PNSL_ISQ_E10value_typeET4_jRbjT5_SW_jjP12ihipStream_tbEUlT_E2_NS1_11comp_targetILNS1_3genE0ELNS1_11target_archE4294967295ELNS1_3gpuE0ELNS1_3repE0EEENS1_30default_config_static_selectorELNS0_4arch9wavefront6targetE0EEEvSK_,"axG",@progbits,_ZN7rocprim17ROCPRIM_400000_NS6detail17trampoline_kernelINS0_14default_configENS1_36segmented_radix_sort_config_selectorIhlEEZNS1_25segmented_radix_sort_implIS3_Lb1EPKhPhPKlPlN2at6native12_GLOBAL__N_18offset_tEEE10hipError_tPvRmT1_PNSt15iterator_traitsISK_E10value_typeET2_T3_PNSL_ISQ_E10value_typeET4_jRbjT5_SW_jjP12ihipStream_tbEUlT_E2_NS1_11comp_targetILNS1_3genE0ELNS1_11target_archE4294967295ELNS1_3gpuE0ELNS1_3repE0EEENS1_30default_config_static_selectorELNS0_4arch9wavefront6targetE0EEEvSK_,comdat
	.globl	_ZN7rocprim17ROCPRIM_400000_NS6detail17trampoline_kernelINS0_14default_configENS1_36segmented_radix_sort_config_selectorIhlEEZNS1_25segmented_radix_sort_implIS3_Lb1EPKhPhPKlPlN2at6native12_GLOBAL__N_18offset_tEEE10hipError_tPvRmT1_PNSt15iterator_traitsISK_E10value_typeET2_T3_PNSL_ISQ_E10value_typeET4_jRbjT5_SW_jjP12ihipStream_tbEUlT_E2_NS1_11comp_targetILNS1_3genE0ELNS1_11target_archE4294967295ELNS1_3gpuE0ELNS1_3repE0EEENS1_30default_config_static_selectorELNS0_4arch9wavefront6targetE0EEEvSK_ ; -- Begin function _ZN7rocprim17ROCPRIM_400000_NS6detail17trampoline_kernelINS0_14default_configENS1_36segmented_radix_sort_config_selectorIhlEEZNS1_25segmented_radix_sort_implIS3_Lb1EPKhPhPKlPlN2at6native12_GLOBAL__N_18offset_tEEE10hipError_tPvRmT1_PNSt15iterator_traitsISK_E10value_typeET2_T3_PNSL_ISQ_E10value_typeET4_jRbjT5_SW_jjP12ihipStream_tbEUlT_E2_NS1_11comp_targetILNS1_3genE0ELNS1_11target_archE4294967295ELNS1_3gpuE0ELNS1_3repE0EEENS1_30default_config_static_selectorELNS0_4arch9wavefront6targetE0EEEvSK_
	.p2align	8
	.type	_ZN7rocprim17ROCPRIM_400000_NS6detail17trampoline_kernelINS0_14default_configENS1_36segmented_radix_sort_config_selectorIhlEEZNS1_25segmented_radix_sort_implIS3_Lb1EPKhPhPKlPlN2at6native12_GLOBAL__N_18offset_tEEE10hipError_tPvRmT1_PNSt15iterator_traitsISK_E10value_typeET2_T3_PNSL_ISQ_E10value_typeET4_jRbjT5_SW_jjP12ihipStream_tbEUlT_E2_NS1_11comp_targetILNS1_3genE0ELNS1_11target_archE4294967295ELNS1_3gpuE0ELNS1_3repE0EEENS1_30default_config_static_selectorELNS0_4arch9wavefront6targetE0EEEvSK_,@function
_ZN7rocprim17ROCPRIM_400000_NS6detail17trampoline_kernelINS0_14default_configENS1_36segmented_radix_sort_config_selectorIhlEEZNS1_25segmented_radix_sort_implIS3_Lb1EPKhPhPKlPlN2at6native12_GLOBAL__N_18offset_tEEE10hipError_tPvRmT1_PNSt15iterator_traitsISK_E10value_typeET2_T3_PNSL_ISQ_E10value_typeET4_jRbjT5_SW_jjP12ihipStream_tbEUlT_E2_NS1_11comp_targetILNS1_3genE0ELNS1_11target_archE4294967295ELNS1_3gpuE0ELNS1_3repE0EEENS1_30default_config_static_selectorELNS0_4arch9wavefront6targetE0EEEvSK_: ; @_ZN7rocprim17ROCPRIM_400000_NS6detail17trampoline_kernelINS0_14default_configENS1_36segmented_radix_sort_config_selectorIhlEEZNS1_25segmented_radix_sort_implIS3_Lb1EPKhPhPKlPlN2at6native12_GLOBAL__N_18offset_tEEE10hipError_tPvRmT1_PNSt15iterator_traitsISK_E10value_typeET2_T3_PNSL_ISQ_E10value_typeET4_jRbjT5_SW_jjP12ihipStream_tbEUlT_E2_NS1_11comp_targetILNS1_3genE0ELNS1_11target_archE4294967295ELNS1_3gpuE0ELNS1_3repE0EEENS1_30default_config_static_selectorELNS0_4arch9wavefront6targetE0EEEvSK_
; %bb.0:
	.section	.rodata,"a",@progbits
	.p2align	6, 0x0
	.amdhsa_kernel _ZN7rocprim17ROCPRIM_400000_NS6detail17trampoline_kernelINS0_14default_configENS1_36segmented_radix_sort_config_selectorIhlEEZNS1_25segmented_radix_sort_implIS3_Lb1EPKhPhPKlPlN2at6native12_GLOBAL__N_18offset_tEEE10hipError_tPvRmT1_PNSt15iterator_traitsISK_E10value_typeET2_T3_PNSL_ISQ_E10value_typeET4_jRbjT5_SW_jjP12ihipStream_tbEUlT_E2_NS1_11comp_targetILNS1_3genE0ELNS1_11target_archE4294967295ELNS1_3gpuE0ELNS1_3repE0EEENS1_30default_config_static_selectorELNS0_4arch9wavefront6targetE0EEEvSK_
		.amdhsa_group_segment_fixed_size 0
		.amdhsa_private_segment_fixed_size 0
		.amdhsa_kernarg_size 80
		.amdhsa_user_sgpr_count 15
		.amdhsa_user_sgpr_dispatch_ptr 0
		.amdhsa_user_sgpr_queue_ptr 0
		.amdhsa_user_sgpr_kernarg_segment_ptr 1
		.amdhsa_user_sgpr_dispatch_id 0
		.amdhsa_user_sgpr_private_segment_size 0
		.amdhsa_wavefront_size32 1
		.amdhsa_uses_dynamic_stack 0
		.amdhsa_enable_private_segment 0
		.amdhsa_system_sgpr_workgroup_id_x 1
		.amdhsa_system_sgpr_workgroup_id_y 0
		.amdhsa_system_sgpr_workgroup_id_z 0
		.amdhsa_system_sgpr_workgroup_info 0
		.amdhsa_system_vgpr_workitem_id 0
		.amdhsa_next_free_vgpr 1
		.amdhsa_next_free_sgpr 1
		.amdhsa_reserve_vcc 0
		.amdhsa_float_round_mode_32 0
		.amdhsa_float_round_mode_16_64 0
		.amdhsa_float_denorm_mode_32 3
		.amdhsa_float_denorm_mode_16_64 3
		.amdhsa_dx10_clamp 1
		.amdhsa_ieee_mode 1
		.amdhsa_fp16_overflow 0
		.amdhsa_workgroup_processor_mode 1
		.amdhsa_memory_ordered 1
		.amdhsa_forward_progress 0
		.amdhsa_shared_vgpr_count 0
		.amdhsa_exception_fp_ieee_invalid_op 0
		.amdhsa_exception_fp_denorm_src 0
		.amdhsa_exception_fp_ieee_div_zero 0
		.amdhsa_exception_fp_ieee_overflow 0
		.amdhsa_exception_fp_ieee_underflow 0
		.amdhsa_exception_fp_ieee_inexact 0
		.amdhsa_exception_int_div_zero 0
	.end_amdhsa_kernel
	.section	.text._ZN7rocprim17ROCPRIM_400000_NS6detail17trampoline_kernelINS0_14default_configENS1_36segmented_radix_sort_config_selectorIhlEEZNS1_25segmented_radix_sort_implIS3_Lb1EPKhPhPKlPlN2at6native12_GLOBAL__N_18offset_tEEE10hipError_tPvRmT1_PNSt15iterator_traitsISK_E10value_typeET2_T3_PNSL_ISQ_E10value_typeET4_jRbjT5_SW_jjP12ihipStream_tbEUlT_E2_NS1_11comp_targetILNS1_3genE0ELNS1_11target_archE4294967295ELNS1_3gpuE0ELNS1_3repE0EEENS1_30default_config_static_selectorELNS0_4arch9wavefront6targetE0EEEvSK_,"axG",@progbits,_ZN7rocprim17ROCPRIM_400000_NS6detail17trampoline_kernelINS0_14default_configENS1_36segmented_radix_sort_config_selectorIhlEEZNS1_25segmented_radix_sort_implIS3_Lb1EPKhPhPKlPlN2at6native12_GLOBAL__N_18offset_tEEE10hipError_tPvRmT1_PNSt15iterator_traitsISK_E10value_typeET2_T3_PNSL_ISQ_E10value_typeET4_jRbjT5_SW_jjP12ihipStream_tbEUlT_E2_NS1_11comp_targetILNS1_3genE0ELNS1_11target_archE4294967295ELNS1_3gpuE0ELNS1_3repE0EEENS1_30default_config_static_selectorELNS0_4arch9wavefront6targetE0EEEvSK_,comdat
.Lfunc_end113:
	.size	_ZN7rocprim17ROCPRIM_400000_NS6detail17trampoline_kernelINS0_14default_configENS1_36segmented_radix_sort_config_selectorIhlEEZNS1_25segmented_radix_sort_implIS3_Lb1EPKhPhPKlPlN2at6native12_GLOBAL__N_18offset_tEEE10hipError_tPvRmT1_PNSt15iterator_traitsISK_E10value_typeET2_T3_PNSL_ISQ_E10value_typeET4_jRbjT5_SW_jjP12ihipStream_tbEUlT_E2_NS1_11comp_targetILNS1_3genE0ELNS1_11target_archE4294967295ELNS1_3gpuE0ELNS1_3repE0EEENS1_30default_config_static_selectorELNS0_4arch9wavefront6targetE0EEEvSK_, .Lfunc_end113-_ZN7rocprim17ROCPRIM_400000_NS6detail17trampoline_kernelINS0_14default_configENS1_36segmented_radix_sort_config_selectorIhlEEZNS1_25segmented_radix_sort_implIS3_Lb1EPKhPhPKlPlN2at6native12_GLOBAL__N_18offset_tEEE10hipError_tPvRmT1_PNSt15iterator_traitsISK_E10value_typeET2_T3_PNSL_ISQ_E10value_typeET4_jRbjT5_SW_jjP12ihipStream_tbEUlT_E2_NS1_11comp_targetILNS1_3genE0ELNS1_11target_archE4294967295ELNS1_3gpuE0ELNS1_3repE0EEENS1_30default_config_static_selectorELNS0_4arch9wavefront6targetE0EEEvSK_
                                        ; -- End function
	.section	.AMDGPU.csdata,"",@progbits
; Kernel info:
; codeLenInByte = 0
; NumSgprs: 0
; NumVgprs: 0
; ScratchSize: 0
; MemoryBound: 0
; FloatMode: 240
; IeeeMode: 1
; LDSByteSize: 0 bytes/workgroup (compile time only)
; SGPRBlocks: 0
; VGPRBlocks: 0
; NumSGPRsForWavesPerEU: 1
; NumVGPRsForWavesPerEU: 1
; Occupancy: 16
; WaveLimiterHint : 0
; COMPUTE_PGM_RSRC2:SCRATCH_EN: 0
; COMPUTE_PGM_RSRC2:USER_SGPR: 15
; COMPUTE_PGM_RSRC2:TRAP_HANDLER: 0
; COMPUTE_PGM_RSRC2:TGID_X_EN: 1
; COMPUTE_PGM_RSRC2:TGID_Y_EN: 0
; COMPUTE_PGM_RSRC2:TGID_Z_EN: 0
; COMPUTE_PGM_RSRC2:TIDIG_COMP_CNT: 0
	.section	.text._ZN7rocprim17ROCPRIM_400000_NS6detail17trampoline_kernelINS0_14default_configENS1_36segmented_radix_sort_config_selectorIhlEEZNS1_25segmented_radix_sort_implIS3_Lb1EPKhPhPKlPlN2at6native12_GLOBAL__N_18offset_tEEE10hipError_tPvRmT1_PNSt15iterator_traitsISK_E10value_typeET2_T3_PNSL_ISQ_E10value_typeET4_jRbjT5_SW_jjP12ihipStream_tbEUlT_E2_NS1_11comp_targetILNS1_3genE5ELNS1_11target_archE942ELNS1_3gpuE9ELNS1_3repE0EEENS1_30default_config_static_selectorELNS0_4arch9wavefront6targetE0EEEvSK_,"axG",@progbits,_ZN7rocprim17ROCPRIM_400000_NS6detail17trampoline_kernelINS0_14default_configENS1_36segmented_radix_sort_config_selectorIhlEEZNS1_25segmented_radix_sort_implIS3_Lb1EPKhPhPKlPlN2at6native12_GLOBAL__N_18offset_tEEE10hipError_tPvRmT1_PNSt15iterator_traitsISK_E10value_typeET2_T3_PNSL_ISQ_E10value_typeET4_jRbjT5_SW_jjP12ihipStream_tbEUlT_E2_NS1_11comp_targetILNS1_3genE5ELNS1_11target_archE942ELNS1_3gpuE9ELNS1_3repE0EEENS1_30default_config_static_selectorELNS0_4arch9wavefront6targetE0EEEvSK_,comdat
	.globl	_ZN7rocprim17ROCPRIM_400000_NS6detail17trampoline_kernelINS0_14default_configENS1_36segmented_radix_sort_config_selectorIhlEEZNS1_25segmented_radix_sort_implIS3_Lb1EPKhPhPKlPlN2at6native12_GLOBAL__N_18offset_tEEE10hipError_tPvRmT1_PNSt15iterator_traitsISK_E10value_typeET2_T3_PNSL_ISQ_E10value_typeET4_jRbjT5_SW_jjP12ihipStream_tbEUlT_E2_NS1_11comp_targetILNS1_3genE5ELNS1_11target_archE942ELNS1_3gpuE9ELNS1_3repE0EEENS1_30default_config_static_selectorELNS0_4arch9wavefront6targetE0EEEvSK_ ; -- Begin function _ZN7rocprim17ROCPRIM_400000_NS6detail17trampoline_kernelINS0_14default_configENS1_36segmented_radix_sort_config_selectorIhlEEZNS1_25segmented_radix_sort_implIS3_Lb1EPKhPhPKlPlN2at6native12_GLOBAL__N_18offset_tEEE10hipError_tPvRmT1_PNSt15iterator_traitsISK_E10value_typeET2_T3_PNSL_ISQ_E10value_typeET4_jRbjT5_SW_jjP12ihipStream_tbEUlT_E2_NS1_11comp_targetILNS1_3genE5ELNS1_11target_archE942ELNS1_3gpuE9ELNS1_3repE0EEENS1_30default_config_static_selectorELNS0_4arch9wavefront6targetE0EEEvSK_
	.p2align	8
	.type	_ZN7rocprim17ROCPRIM_400000_NS6detail17trampoline_kernelINS0_14default_configENS1_36segmented_radix_sort_config_selectorIhlEEZNS1_25segmented_radix_sort_implIS3_Lb1EPKhPhPKlPlN2at6native12_GLOBAL__N_18offset_tEEE10hipError_tPvRmT1_PNSt15iterator_traitsISK_E10value_typeET2_T3_PNSL_ISQ_E10value_typeET4_jRbjT5_SW_jjP12ihipStream_tbEUlT_E2_NS1_11comp_targetILNS1_3genE5ELNS1_11target_archE942ELNS1_3gpuE9ELNS1_3repE0EEENS1_30default_config_static_selectorELNS0_4arch9wavefront6targetE0EEEvSK_,@function
_ZN7rocprim17ROCPRIM_400000_NS6detail17trampoline_kernelINS0_14default_configENS1_36segmented_radix_sort_config_selectorIhlEEZNS1_25segmented_radix_sort_implIS3_Lb1EPKhPhPKlPlN2at6native12_GLOBAL__N_18offset_tEEE10hipError_tPvRmT1_PNSt15iterator_traitsISK_E10value_typeET2_T3_PNSL_ISQ_E10value_typeET4_jRbjT5_SW_jjP12ihipStream_tbEUlT_E2_NS1_11comp_targetILNS1_3genE5ELNS1_11target_archE942ELNS1_3gpuE9ELNS1_3repE0EEENS1_30default_config_static_selectorELNS0_4arch9wavefront6targetE0EEEvSK_: ; @_ZN7rocprim17ROCPRIM_400000_NS6detail17trampoline_kernelINS0_14default_configENS1_36segmented_radix_sort_config_selectorIhlEEZNS1_25segmented_radix_sort_implIS3_Lb1EPKhPhPKlPlN2at6native12_GLOBAL__N_18offset_tEEE10hipError_tPvRmT1_PNSt15iterator_traitsISK_E10value_typeET2_T3_PNSL_ISQ_E10value_typeET4_jRbjT5_SW_jjP12ihipStream_tbEUlT_E2_NS1_11comp_targetILNS1_3genE5ELNS1_11target_archE942ELNS1_3gpuE9ELNS1_3repE0EEENS1_30default_config_static_selectorELNS0_4arch9wavefront6targetE0EEEvSK_
; %bb.0:
	.section	.rodata,"a",@progbits
	.p2align	6, 0x0
	.amdhsa_kernel _ZN7rocprim17ROCPRIM_400000_NS6detail17trampoline_kernelINS0_14default_configENS1_36segmented_radix_sort_config_selectorIhlEEZNS1_25segmented_radix_sort_implIS3_Lb1EPKhPhPKlPlN2at6native12_GLOBAL__N_18offset_tEEE10hipError_tPvRmT1_PNSt15iterator_traitsISK_E10value_typeET2_T3_PNSL_ISQ_E10value_typeET4_jRbjT5_SW_jjP12ihipStream_tbEUlT_E2_NS1_11comp_targetILNS1_3genE5ELNS1_11target_archE942ELNS1_3gpuE9ELNS1_3repE0EEENS1_30default_config_static_selectorELNS0_4arch9wavefront6targetE0EEEvSK_
		.amdhsa_group_segment_fixed_size 0
		.amdhsa_private_segment_fixed_size 0
		.amdhsa_kernarg_size 80
		.amdhsa_user_sgpr_count 15
		.amdhsa_user_sgpr_dispatch_ptr 0
		.amdhsa_user_sgpr_queue_ptr 0
		.amdhsa_user_sgpr_kernarg_segment_ptr 1
		.amdhsa_user_sgpr_dispatch_id 0
		.amdhsa_user_sgpr_private_segment_size 0
		.amdhsa_wavefront_size32 1
		.amdhsa_uses_dynamic_stack 0
		.amdhsa_enable_private_segment 0
		.amdhsa_system_sgpr_workgroup_id_x 1
		.amdhsa_system_sgpr_workgroup_id_y 0
		.amdhsa_system_sgpr_workgroup_id_z 0
		.amdhsa_system_sgpr_workgroup_info 0
		.amdhsa_system_vgpr_workitem_id 0
		.amdhsa_next_free_vgpr 1
		.amdhsa_next_free_sgpr 1
		.amdhsa_reserve_vcc 0
		.amdhsa_float_round_mode_32 0
		.amdhsa_float_round_mode_16_64 0
		.amdhsa_float_denorm_mode_32 3
		.amdhsa_float_denorm_mode_16_64 3
		.amdhsa_dx10_clamp 1
		.amdhsa_ieee_mode 1
		.amdhsa_fp16_overflow 0
		.amdhsa_workgroup_processor_mode 1
		.amdhsa_memory_ordered 1
		.amdhsa_forward_progress 0
		.amdhsa_shared_vgpr_count 0
		.amdhsa_exception_fp_ieee_invalid_op 0
		.amdhsa_exception_fp_denorm_src 0
		.amdhsa_exception_fp_ieee_div_zero 0
		.amdhsa_exception_fp_ieee_overflow 0
		.amdhsa_exception_fp_ieee_underflow 0
		.amdhsa_exception_fp_ieee_inexact 0
		.amdhsa_exception_int_div_zero 0
	.end_amdhsa_kernel
	.section	.text._ZN7rocprim17ROCPRIM_400000_NS6detail17trampoline_kernelINS0_14default_configENS1_36segmented_radix_sort_config_selectorIhlEEZNS1_25segmented_radix_sort_implIS3_Lb1EPKhPhPKlPlN2at6native12_GLOBAL__N_18offset_tEEE10hipError_tPvRmT1_PNSt15iterator_traitsISK_E10value_typeET2_T3_PNSL_ISQ_E10value_typeET4_jRbjT5_SW_jjP12ihipStream_tbEUlT_E2_NS1_11comp_targetILNS1_3genE5ELNS1_11target_archE942ELNS1_3gpuE9ELNS1_3repE0EEENS1_30default_config_static_selectorELNS0_4arch9wavefront6targetE0EEEvSK_,"axG",@progbits,_ZN7rocprim17ROCPRIM_400000_NS6detail17trampoline_kernelINS0_14default_configENS1_36segmented_radix_sort_config_selectorIhlEEZNS1_25segmented_radix_sort_implIS3_Lb1EPKhPhPKlPlN2at6native12_GLOBAL__N_18offset_tEEE10hipError_tPvRmT1_PNSt15iterator_traitsISK_E10value_typeET2_T3_PNSL_ISQ_E10value_typeET4_jRbjT5_SW_jjP12ihipStream_tbEUlT_E2_NS1_11comp_targetILNS1_3genE5ELNS1_11target_archE942ELNS1_3gpuE9ELNS1_3repE0EEENS1_30default_config_static_selectorELNS0_4arch9wavefront6targetE0EEEvSK_,comdat
.Lfunc_end114:
	.size	_ZN7rocprim17ROCPRIM_400000_NS6detail17trampoline_kernelINS0_14default_configENS1_36segmented_radix_sort_config_selectorIhlEEZNS1_25segmented_radix_sort_implIS3_Lb1EPKhPhPKlPlN2at6native12_GLOBAL__N_18offset_tEEE10hipError_tPvRmT1_PNSt15iterator_traitsISK_E10value_typeET2_T3_PNSL_ISQ_E10value_typeET4_jRbjT5_SW_jjP12ihipStream_tbEUlT_E2_NS1_11comp_targetILNS1_3genE5ELNS1_11target_archE942ELNS1_3gpuE9ELNS1_3repE0EEENS1_30default_config_static_selectorELNS0_4arch9wavefront6targetE0EEEvSK_, .Lfunc_end114-_ZN7rocprim17ROCPRIM_400000_NS6detail17trampoline_kernelINS0_14default_configENS1_36segmented_radix_sort_config_selectorIhlEEZNS1_25segmented_radix_sort_implIS3_Lb1EPKhPhPKlPlN2at6native12_GLOBAL__N_18offset_tEEE10hipError_tPvRmT1_PNSt15iterator_traitsISK_E10value_typeET2_T3_PNSL_ISQ_E10value_typeET4_jRbjT5_SW_jjP12ihipStream_tbEUlT_E2_NS1_11comp_targetILNS1_3genE5ELNS1_11target_archE942ELNS1_3gpuE9ELNS1_3repE0EEENS1_30default_config_static_selectorELNS0_4arch9wavefront6targetE0EEEvSK_
                                        ; -- End function
	.section	.AMDGPU.csdata,"",@progbits
; Kernel info:
; codeLenInByte = 0
; NumSgprs: 0
; NumVgprs: 0
; ScratchSize: 0
; MemoryBound: 0
; FloatMode: 240
; IeeeMode: 1
; LDSByteSize: 0 bytes/workgroup (compile time only)
; SGPRBlocks: 0
; VGPRBlocks: 0
; NumSGPRsForWavesPerEU: 1
; NumVGPRsForWavesPerEU: 1
; Occupancy: 16
; WaveLimiterHint : 0
; COMPUTE_PGM_RSRC2:SCRATCH_EN: 0
; COMPUTE_PGM_RSRC2:USER_SGPR: 15
; COMPUTE_PGM_RSRC2:TRAP_HANDLER: 0
; COMPUTE_PGM_RSRC2:TGID_X_EN: 1
; COMPUTE_PGM_RSRC2:TGID_Y_EN: 0
; COMPUTE_PGM_RSRC2:TGID_Z_EN: 0
; COMPUTE_PGM_RSRC2:TIDIG_COMP_CNT: 0
	.section	.text._ZN7rocprim17ROCPRIM_400000_NS6detail17trampoline_kernelINS0_14default_configENS1_36segmented_radix_sort_config_selectorIhlEEZNS1_25segmented_radix_sort_implIS3_Lb1EPKhPhPKlPlN2at6native12_GLOBAL__N_18offset_tEEE10hipError_tPvRmT1_PNSt15iterator_traitsISK_E10value_typeET2_T3_PNSL_ISQ_E10value_typeET4_jRbjT5_SW_jjP12ihipStream_tbEUlT_E2_NS1_11comp_targetILNS1_3genE4ELNS1_11target_archE910ELNS1_3gpuE8ELNS1_3repE0EEENS1_30default_config_static_selectorELNS0_4arch9wavefront6targetE0EEEvSK_,"axG",@progbits,_ZN7rocprim17ROCPRIM_400000_NS6detail17trampoline_kernelINS0_14default_configENS1_36segmented_radix_sort_config_selectorIhlEEZNS1_25segmented_radix_sort_implIS3_Lb1EPKhPhPKlPlN2at6native12_GLOBAL__N_18offset_tEEE10hipError_tPvRmT1_PNSt15iterator_traitsISK_E10value_typeET2_T3_PNSL_ISQ_E10value_typeET4_jRbjT5_SW_jjP12ihipStream_tbEUlT_E2_NS1_11comp_targetILNS1_3genE4ELNS1_11target_archE910ELNS1_3gpuE8ELNS1_3repE0EEENS1_30default_config_static_selectorELNS0_4arch9wavefront6targetE0EEEvSK_,comdat
	.globl	_ZN7rocprim17ROCPRIM_400000_NS6detail17trampoline_kernelINS0_14default_configENS1_36segmented_radix_sort_config_selectorIhlEEZNS1_25segmented_radix_sort_implIS3_Lb1EPKhPhPKlPlN2at6native12_GLOBAL__N_18offset_tEEE10hipError_tPvRmT1_PNSt15iterator_traitsISK_E10value_typeET2_T3_PNSL_ISQ_E10value_typeET4_jRbjT5_SW_jjP12ihipStream_tbEUlT_E2_NS1_11comp_targetILNS1_3genE4ELNS1_11target_archE910ELNS1_3gpuE8ELNS1_3repE0EEENS1_30default_config_static_selectorELNS0_4arch9wavefront6targetE0EEEvSK_ ; -- Begin function _ZN7rocprim17ROCPRIM_400000_NS6detail17trampoline_kernelINS0_14default_configENS1_36segmented_radix_sort_config_selectorIhlEEZNS1_25segmented_radix_sort_implIS3_Lb1EPKhPhPKlPlN2at6native12_GLOBAL__N_18offset_tEEE10hipError_tPvRmT1_PNSt15iterator_traitsISK_E10value_typeET2_T3_PNSL_ISQ_E10value_typeET4_jRbjT5_SW_jjP12ihipStream_tbEUlT_E2_NS1_11comp_targetILNS1_3genE4ELNS1_11target_archE910ELNS1_3gpuE8ELNS1_3repE0EEENS1_30default_config_static_selectorELNS0_4arch9wavefront6targetE0EEEvSK_
	.p2align	8
	.type	_ZN7rocprim17ROCPRIM_400000_NS6detail17trampoline_kernelINS0_14default_configENS1_36segmented_radix_sort_config_selectorIhlEEZNS1_25segmented_radix_sort_implIS3_Lb1EPKhPhPKlPlN2at6native12_GLOBAL__N_18offset_tEEE10hipError_tPvRmT1_PNSt15iterator_traitsISK_E10value_typeET2_T3_PNSL_ISQ_E10value_typeET4_jRbjT5_SW_jjP12ihipStream_tbEUlT_E2_NS1_11comp_targetILNS1_3genE4ELNS1_11target_archE910ELNS1_3gpuE8ELNS1_3repE0EEENS1_30default_config_static_selectorELNS0_4arch9wavefront6targetE0EEEvSK_,@function
_ZN7rocprim17ROCPRIM_400000_NS6detail17trampoline_kernelINS0_14default_configENS1_36segmented_radix_sort_config_selectorIhlEEZNS1_25segmented_radix_sort_implIS3_Lb1EPKhPhPKlPlN2at6native12_GLOBAL__N_18offset_tEEE10hipError_tPvRmT1_PNSt15iterator_traitsISK_E10value_typeET2_T3_PNSL_ISQ_E10value_typeET4_jRbjT5_SW_jjP12ihipStream_tbEUlT_E2_NS1_11comp_targetILNS1_3genE4ELNS1_11target_archE910ELNS1_3gpuE8ELNS1_3repE0EEENS1_30default_config_static_selectorELNS0_4arch9wavefront6targetE0EEEvSK_: ; @_ZN7rocprim17ROCPRIM_400000_NS6detail17trampoline_kernelINS0_14default_configENS1_36segmented_radix_sort_config_selectorIhlEEZNS1_25segmented_radix_sort_implIS3_Lb1EPKhPhPKlPlN2at6native12_GLOBAL__N_18offset_tEEE10hipError_tPvRmT1_PNSt15iterator_traitsISK_E10value_typeET2_T3_PNSL_ISQ_E10value_typeET4_jRbjT5_SW_jjP12ihipStream_tbEUlT_E2_NS1_11comp_targetILNS1_3genE4ELNS1_11target_archE910ELNS1_3gpuE8ELNS1_3repE0EEENS1_30default_config_static_selectorELNS0_4arch9wavefront6targetE0EEEvSK_
; %bb.0:
	.section	.rodata,"a",@progbits
	.p2align	6, 0x0
	.amdhsa_kernel _ZN7rocprim17ROCPRIM_400000_NS6detail17trampoline_kernelINS0_14default_configENS1_36segmented_radix_sort_config_selectorIhlEEZNS1_25segmented_radix_sort_implIS3_Lb1EPKhPhPKlPlN2at6native12_GLOBAL__N_18offset_tEEE10hipError_tPvRmT1_PNSt15iterator_traitsISK_E10value_typeET2_T3_PNSL_ISQ_E10value_typeET4_jRbjT5_SW_jjP12ihipStream_tbEUlT_E2_NS1_11comp_targetILNS1_3genE4ELNS1_11target_archE910ELNS1_3gpuE8ELNS1_3repE0EEENS1_30default_config_static_selectorELNS0_4arch9wavefront6targetE0EEEvSK_
		.amdhsa_group_segment_fixed_size 0
		.amdhsa_private_segment_fixed_size 0
		.amdhsa_kernarg_size 80
		.amdhsa_user_sgpr_count 15
		.amdhsa_user_sgpr_dispatch_ptr 0
		.amdhsa_user_sgpr_queue_ptr 0
		.amdhsa_user_sgpr_kernarg_segment_ptr 1
		.amdhsa_user_sgpr_dispatch_id 0
		.amdhsa_user_sgpr_private_segment_size 0
		.amdhsa_wavefront_size32 1
		.amdhsa_uses_dynamic_stack 0
		.amdhsa_enable_private_segment 0
		.amdhsa_system_sgpr_workgroup_id_x 1
		.amdhsa_system_sgpr_workgroup_id_y 0
		.amdhsa_system_sgpr_workgroup_id_z 0
		.amdhsa_system_sgpr_workgroup_info 0
		.amdhsa_system_vgpr_workitem_id 0
		.amdhsa_next_free_vgpr 1
		.amdhsa_next_free_sgpr 1
		.amdhsa_reserve_vcc 0
		.amdhsa_float_round_mode_32 0
		.amdhsa_float_round_mode_16_64 0
		.amdhsa_float_denorm_mode_32 3
		.amdhsa_float_denorm_mode_16_64 3
		.amdhsa_dx10_clamp 1
		.amdhsa_ieee_mode 1
		.amdhsa_fp16_overflow 0
		.amdhsa_workgroup_processor_mode 1
		.amdhsa_memory_ordered 1
		.amdhsa_forward_progress 0
		.amdhsa_shared_vgpr_count 0
		.amdhsa_exception_fp_ieee_invalid_op 0
		.amdhsa_exception_fp_denorm_src 0
		.amdhsa_exception_fp_ieee_div_zero 0
		.amdhsa_exception_fp_ieee_overflow 0
		.amdhsa_exception_fp_ieee_underflow 0
		.amdhsa_exception_fp_ieee_inexact 0
		.amdhsa_exception_int_div_zero 0
	.end_amdhsa_kernel
	.section	.text._ZN7rocprim17ROCPRIM_400000_NS6detail17trampoline_kernelINS0_14default_configENS1_36segmented_radix_sort_config_selectorIhlEEZNS1_25segmented_radix_sort_implIS3_Lb1EPKhPhPKlPlN2at6native12_GLOBAL__N_18offset_tEEE10hipError_tPvRmT1_PNSt15iterator_traitsISK_E10value_typeET2_T3_PNSL_ISQ_E10value_typeET4_jRbjT5_SW_jjP12ihipStream_tbEUlT_E2_NS1_11comp_targetILNS1_3genE4ELNS1_11target_archE910ELNS1_3gpuE8ELNS1_3repE0EEENS1_30default_config_static_selectorELNS0_4arch9wavefront6targetE0EEEvSK_,"axG",@progbits,_ZN7rocprim17ROCPRIM_400000_NS6detail17trampoline_kernelINS0_14default_configENS1_36segmented_radix_sort_config_selectorIhlEEZNS1_25segmented_radix_sort_implIS3_Lb1EPKhPhPKlPlN2at6native12_GLOBAL__N_18offset_tEEE10hipError_tPvRmT1_PNSt15iterator_traitsISK_E10value_typeET2_T3_PNSL_ISQ_E10value_typeET4_jRbjT5_SW_jjP12ihipStream_tbEUlT_E2_NS1_11comp_targetILNS1_3genE4ELNS1_11target_archE910ELNS1_3gpuE8ELNS1_3repE0EEENS1_30default_config_static_selectorELNS0_4arch9wavefront6targetE0EEEvSK_,comdat
.Lfunc_end115:
	.size	_ZN7rocprim17ROCPRIM_400000_NS6detail17trampoline_kernelINS0_14default_configENS1_36segmented_radix_sort_config_selectorIhlEEZNS1_25segmented_radix_sort_implIS3_Lb1EPKhPhPKlPlN2at6native12_GLOBAL__N_18offset_tEEE10hipError_tPvRmT1_PNSt15iterator_traitsISK_E10value_typeET2_T3_PNSL_ISQ_E10value_typeET4_jRbjT5_SW_jjP12ihipStream_tbEUlT_E2_NS1_11comp_targetILNS1_3genE4ELNS1_11target_archE910ELNS1_3gpuE8ELNS1_3repE0EEENS1_30default_config_static_selectorELNS0_4arch9wavefront6targetE0EEEvSK_, .Lfunc_end115-_ZN7rocprim17ROCPRIM_400000_NS6detail17trampoline_kernelINS0_14default_configENS1_36segmented_radix_sort_config_selectorIhlEEZNS1_25segmented_radix_sort_implIS3_Lb1EPKhPhPKlPlN2at6native12_GLOBAL__N_18offset_tEEE10hipError_tPvRmT1_PNSt15iterator_traitsISK_E10value_typeET2_T3_PNSL_ISQ_E10value_typeET4_jRbjT5_SW_jjP12ihipStream_tbEUlT_E2_NS1_11comp_targetILNS1_3genE4ELNS1_11target_archE910ELNS1_3gpuE8ELNS1_3repE0EEENS1_30default_config_static_selectorELNS0_4arch9wavefront6targetE0EEEvSK_
                                        ; -- End function
	.section	.AMDGPU.csdata,"",@progbits
; Kernel info:
; codeLenInByte = 0
; NumSgprs: 0
; NumVgprs: 0
; ScratchSize: 0
; MemoryBound: 0
; FloatMode: 240
; IeeeMode: 1
; LDSByteSize: 0 bytes/workgroup (compile time only)
; SGPRBlocks: 0
; VGPRBlocks: 0
; NumSGPRsForWavesPerEU: 1
; NumVGPRsForWavesPerEU: 1
; Occupancy: 16
; WaveLimiterHint : 0
; COMPUTE_PGM_RSRC2:SCRATCH_EN: 0
; COMPUTE_PGM_RSRC2:USER_SGPR: 15
; COMPUTE_PGM_RSRC2:TRAP_HANDLER: 0
; COMPUTE_PGM_RSRC2:TGID_X_EN: 1
; COMPUTE_PGM_RSRC2:TGID_Y_EN: 0
; COMPUTE_PGM_RSRC2:TGID_Z_EN: 0
; COMPUTE_PGM_RSRC2:TIDIG_COMP_CNT: 0
	.section	.text._ZN7rocprim17ROCPRIM_400000_NS6detail17trampoline_kernelINS0_14default_configENS1_36segmented_radix_sort_config_selectorIhlEEZNS1_25segmented_radix_sort_implIS3_Lb1EPKhPhPKlPlN2at6native12_GLOBAL__N_18offset_tEEE10hipError_tPvRmT1_PNSt15iterator_traitsISK_E10value_typeET2_T3_PNSL_ISQ_E10value_typeET4_jRbjT5_SW_jjP12ihipStream_tbEUlT_E2_NS1_11comp_targetILNS1_3genE3ELNS1_11target_archE908ELNS1_3gpuE7ELNS1_3repE0EEENS1_30default_config_static_selectorELNS0_4arch9wavefront6targetE0EEEvSK_,"axG",@progbits,_ZN7rocprim17ROCPRIM_400000_NS6detail17trampoline_kernelINS0_14default_configENS1_36segmented_radix_sort_config_selectorIhlEEZNS1_25segmented_radix_sort_implIS3_Lb1EPKhPhPKlPlN2at6native12_GLOBAL__N_18offset_tEEE10hipError_tPvRmT1_PNSt15iterator_traitsISK_E10value_typeET2_T3_PNSL_ISQ_E10value_typeET4_jRbjT5_SW_jjP12ihipStream_tbEUlT_E2_NS1_11comp_targetILNS1_3genE3ELNS1_11target_archE908ELNS1_3gpuE7ELNS1_3repE0EEENS1_30default_config_static_selectorELNS0_4arch9wavefront6targetE0EEEvSK_,comdat
	.globl	_ZN7rocprim17ROCPRIM_400000_NS6detail17trampoline_kernelINS0_14default_configENS1_36segmented_radix_sort_config_selectorIhlEEZNS1_25segmented_radix_sort_implIS3_Lb1EPKhPhPKlPlN2at6native12_GLOBAL__N_18offset_tEEE10hipError_tPvRmT1_PNSt15iterator_traitsISK_E10value_typeET2_T3_PNSL_ISQ_E10value_typeET4_jRbjT5_SW_jjP12ihipStream_tbEUlT_E2_NS1_11comp_targetILNS1_3genE3ELNS1_11target_archE908ELNS1_3gpuE7ELNS1_3repE0EEENS1_30default_config_static_selectorELNS0_4arch9wavefront6targetE0EEEvSK_ ; -- Begin function _ZN7rocprim17ROCPRIM_400000_NS6detail17trampoline_kernelINS0_14default_configENS1_36segmented_radix_sort_config_selectorIhlEEZNS1_25segmented_radix_sort_implIS3_Lb1EPKhPhPKlPlN2at6native12_GLOBAL__N_18offset_tEEE10hipError_tPvRmT1_PNSt15iterator_traitsISK_E10value_typeET2_T3_PNSL_ISQ_E10value_typeET4_jRbjT5_SW_jjP12ihipStream_tbEUlT_E2_NS1_11comp_targetILNS1_3genE3ELNS1_11target_archE908ELNS1_3gpuE7ELNS1_3repE0EEENS1_30default_config_static_selectorELNS0_4arch9wavefront6targetE0EEEvSK_
	.p2align	8
	.type	_ZN7rocprim17ROCPRIM_400000_NS6detail17trampoline_kernelINS0_14default_configENS1_36segmented_radix_sort_config_selectorIhlEEZNS1_25segmented_radix_sort_implIS3_Lb1EPKhPhPKlPlN2at6native12_GLOBAL__N_18offset_tEEE10hipError_tPvRmT1_PNSt15iterator_traitsISK_E10value_typeET2_T3_PNSL_ISQ_E10value_typeET4_jRbjT5_SW_jjP12ihipStream_tbEUlT_E2_NS1_11comp_targetILNS1_3genE3ELNS1_11target_archE908ELNS1_3gpuE7ELNS1_3repE0EEENS1_30default_config_static_selectorELNS0_4arch9wavefront6targetE0EEEvSK_,@function
_ZN7rocprim17ROCPRIM_400000_NS6detail17trampoline_kernelINS0_14default_configENS1_36segmented_radix_sort_config_selectorIhlEEZNS1_25segmented_radix_sort_implIS3_Lb1EPKhPhPKlPlN2at6native12_GLOBAL__N_18offset_tEEE10hipError_tPvRmT1_PNSt15iterator_traitsISK_E10value_typeET2_T3_PNSL_ISQ_E10value_typeET4_jRbjT5_SW_jjP12ihipStream_tbEUlT_E2_NS1_11comp_targetILNS1_3genE3ELNS1_11target_archE908ELNS1_3gpuE7ELNS1_3repE0EEENS1_30default_config_static_selectorELNS0_4arch9wavefront6targetE0EEEvSK_: ; @_ZN7rocprim17ROCPRIM_400000_NS6detail17trampoline_kernelINS0_14default_configENS1_36segmented_radix_sort_config_selectorIhlEEZNS1_25segmented_radix_sort_implIS3_Lb1EPKhPhPKlPlN2at6native12_GLOBAL__N_18offset_tEEE10hipError_tPvRmT1_PNSt15iterator_traitsISK_E10value_typeET2_T3_PNSL_ISQ_E10value_typeET4_jRbjT5_SW_jjP12ihipStream_tbEUlT_E2_NS1_11comp_targetILNS1_3genE3ELNS1_11target_archE908ELNS1_3gpuE7ELNS1_3repE0EEENS1_30default_config_static_selectorELNS0_4arch9wavefront6targetE0EEEvSK_
; %bb.0:
	.section	.rodata,"a",@progbits
	.p2align	6, 0x0
	.amdhsa_kernel _ZN7rocprim17ROCPRIM_400000_NS6detail17trampoline_kernelINS0_14default_configENS1_36segmented_radix_sort_config_selectorIhlEEZNS1_25segmented_radix_sort_implIS3_Lb1EPKhPhPKlPlN2at6native12_GLOBAL__N_18offset_tEEE10hipError_tPvRmT1_PNSt15iterator_traitsISK_E10value_typeET2_T3_PNSL_ISQ_E10value_typeET4_jRbjT5_SW_jjP12ihipStream_tbEUlT_E2_NS1_11comp_targetILNS1_3genE3ELNS1_11target_archE908ELNS1_3gpuE7ELNS1_3repE0EEENS1_30default_config_static_selectorELNS0_4arch9wavefront6targetE0EEEvSK_
		.amdhsa_group_segment_fixed_size 0
		.amdhsa_private_segment_fixed_size 0
		.amdhsa_kernarg_size 80
		.amdhsa_user_sgpr_count 15
		.amdhsa_user_sgpr_dispatch_ptr 0
		.amdhsa_user_sgpr_queue_ptr 0
		.amdhsa_user_sgpr_kernarg_segment_ptr 1
		.amdhsa_user_sgpr_dispatch_id 0
		.amdhsa_user_sgpr_private_segment_size 0
		.amdhsa_wavefront_size32 1
		.amdhsa_uses_dynamic_stack 0
		.amdhsa_enable_private_segment 0
		.amdhsa_system_sgpr_workgroup_id_x 1
		.amdhsa_system_sgpr_workgroup_id_y 0
		.amdhsa_system_sgpr_workgroup_id_z 0
		.amdhsa_system_sgpr_workgroup_info 0
		.amdhsa_system_vgpr_workitem_id 0
		.amdhsa_next_free_vgpr 1
		.amdhsa_next_free_sgpr 1
		.amdhsa_reserve_vcc 0
		.amdhsa_float_round_mode_32 0
		.amdhsa_float_round_mode_16_64 0
		.amdhsa_float_denorm_mode_32 3
		.amdhsa_float_denorm_mode_16_64 3
		.amdhsa_dx10_clamp 1
		.amdhsa_ieee_mode 1
		.amdhsa_fp16_overflow 0
		.amdhsa_workgroup_processor_mode 1
		.amdhsa_memory_ordered 1
		.amdhsa_forward_progress 0
		.amdhsa_shared_vgpr_count 0
		.amdhsa_exception_fp_ieee_invalid_op 0
		.amdhsa_exception_fp_denorm_src 0
		.amdhsa_exception_fp_ieee_div_zero 0
		.amdhsa_exception_fp_ieee_overflow 0
		.amdhsa_exception_fp_ieee_underflow 0
		.amdhsa_exception_fp_ieee_inexact 0
		.amdhsa_exception_int_div_zero 0
	.end_amdhsa_kernel
	.section	.text._ZN7rocprim17ROCPRIM_400000_NS6detail17trampoline_kernelINS0_14default_configENS1_36segmented_radix_sort_config_selectorIhlEEZNS1_25segmented_radix_sort_implIS3_Lb1EPKhPhPKlPlN2at6native12_GLOBAL__N_18offset_tEEE10hipError_tPvRmT1_PNSt15iterator_traitsISK_E10value_typeET2_T3_PNSL_ISQ_E10value_typeET4_jRbjT5_SW_jjP12ihipStream_tbEUlT_E2_NS1_11comp_targetILNS1_3genE3ELNS1_11target_archE908ELNS1_3gpuE7ELNS1_3repE0EEENS1_30default_config_static_selectorELNS0_4arch9wavefront6targetE0EEEvSK_,"axG",@progbits,_ZN7rocprim17ROCPRIM_400000_NS6detail17trampoline_kernelINS0_14default_configENS1_36segmented_radix_sort_config_selectorIhlEEZNS1_25segmented_radix_sort_implIS3_Lb1EPKhPhPKlPlN2at6native12_GLOBAL__N_18offset_tEEE10hipError_tPvRmT1_PNSt15iterator_traitsISK_E10value_typeET2_T3_PNSL_ISQ_E10value_typeET4_jRbjT5_SW_jjP12ihipStream_tbEUlT_E2_NS1_11comp_targetILNS1_3genE3ELNS1_11target_archE908ELNS1_3gpuE7ELNS1_3repE0EEENS1_30default_config_static_selectorELNS0_4arch9wavefront6targetE0EEEvSK_,comdat
.Lfunc_end116:
	.size	_ZN7rocprim17ROCPRIM_400000_NS6detail17trampoline_kernelINS0_14default_configENS1_36segmented_radix_sort_config_selectorIhlEEZNS1_25segmented_radix_sort_implIS3_Lb1EPKhPhPKlPlN2at6native12_GLOBAL__N_18offset_tEEE10hipError_tPvRmT1_PNSt15iterator_traitsISK_E10value_typeET2_T3_PNSL_ISQ_E10value_typeET4_jRbjT5_SW_jjP12ihipStream_tbEUlT_E2_NS1_11comp_targetILNS1_3genE3ELNS1_11target_archE908ELNS1_3gpuE7ELNS1_3repE0EEENS1_30default_config_static_selectorELNS0_4arch9wavefront6targetE0EEEvSK_, .Lfunc_end116-_ZN7rocprim17ROCPRIM_400000_NS6detail17trampoline_kernelINS0_14default_configENS1_36segmented_radix_sort_config_selectorIhlEEZNS1_25segmented_radix_sort_implIS3_Lb1EPKhPhPKlPlN2at6native12_GLOBAL__N_18offset_tEEE10hipError_tPvRmT1_PNSt15iterator_traitsISK_E10value_typeET2_T3_PNSL_ISQ_E10value_typeET4_jRbjT5_SW_jjP12ihipStream_tbEUlT_E2_NS1_11comp_targetILNS1_3genE3ELNS1_11target_archE908ELNS1_3gpuE7ELNS1_3repE0EEENS1_30default_config_static_selectorELNS0_4arch9wavefront6targetE0EEEvSK_
                                        ; -- End function
	.section	.AMDGPU.csdata,"",@progbits
; Kernel info:
; codeLenInByte = 0
; NumSgprs: 0
; NumVgprs: 0
; ScratchSize: 0
; MemoryBound: 0
; FloatMode: 240
; IeeeMode: 1
; LDSByteSize: 0 bytes/workgroup (compile time only)
; SGPRBlocks: 0
; VGPRBlocks: 0
; NumSGPRsForWavesPerEU: 1
; NumVGPRsForWavesPerEU: 1
; Occupancy: 16
; WaveLimiterHint : 0
; COMPUTE_PGM_RSRC2:SCRATCH_EN: 0
; COMPUTE_PGM_RSRC2:USER_SGPR: 15
; COMPUTE_PGM_RSRC2:TRAP_HANDLER: 0
; COMPUTE_PGM_RSRC2:TGID_X_EN: 1
; COMPUTE_PGM_RSRC2:TGID_Y_EN: 0
; COMPUTE_PGM_RSRC2:TGID_Z_EN: 0
; COMPUTE_PGM_RSRC2:TIDIG_COMP_CNT: 0
	.section	.text._ZN7rocprim17ROCPRIM_400000_NS6detail17trampoline_kernelINS0_14default_configENS1_36segmented_radix_sort_config_selectorIhlEEZNS1_25segmented_radix_sort_implIS3_Lb1EPKhPhPKlPlN2at6native12_GLOBAL__N_18offset_tEEE10hipError_tPvRmT1_PNSt15iterator_traitsISK_E10value_typeET2_T3_PNSL_ISQ_E10value_typeET4_jRbjT5_SW_jjP12ihipStream_tbEUlT_E2_NS1_11comp_targetILNS1_3genE2ELNS1_11target_archE906ELNS1_3gpuE6ELNS1_3repE0EEENS1_30default_config_static_selectorELNS0_4arch9wavefront6targetE0EEEvSK_,"axG",@progbits,_ZN7rocprim17ROCPRIM_400000_NS6detail17trampoline_kernelINS0_14default_configENS1_36segmented_radix_sort_config_selectorIhlEEZNS1_25segmented_radix_sort_implIS3_Lb1EPKhPhPKlPlN2at6native12_GLOBAL__N_18offset_tEEE10hipError_tPvRmT1_PNSt15iterator_traitsISK_E10value_typeET2_T3_PNSL_ISQ_E10value_typeET4_jRbjT5_SW_jjP12ihipStream_tbEUlT_E2_NS1_11comp_targetILNS1_3genE2ELNS1_11target_archE906ELNS1_3gpuE6ELNS1_3repE0EEENS1_30default_config_static_selectorELNS0_4arch9wavefront6targetE0EEEvSK_,comdat
	.globl	_ZN7rocprim17ROCPRIM_400000_NS6detail17trampoline_kernelINS0_14default_configENS1_36segmented_radix_sort_config_selectorIhlEEZNS1_25segmented_radix_sort_implIS3_Lb1EPKhPhPKlPlN2at6native12_GLOBAL__N_18offset_tEEE10hipError_tPvRmT1_PNSt15iterator_traitsISK_E10value_typeET2_T3_PNSL_ISQ_E10value_typeET4_jRbjT5_SW_jjP12ihipStream_tbEUlT_E2_NS1_11comp_targetILNS1_3genE2ELNS1_11target_archE906ELNS1_3gpuE6ELNS1_3repE0EEENS1_30default_config_static_selectorELNS0_4arch9wavefront6targetE0EEEvSK_ ; -- Begin function _ZN7rocprim17ROCPRIM_400000_NS6detail17trampoline_kernelINS0_14default_configENS1_36segmented_radix_sort_config_selectorIhlEEZNS1_25segmented_radix_sort_implIS3_Lb1EPKhPhPKlPlN2at6native12_GLOBAL__N_18offset_tEEE10hipError_tPvRmT1_PNSt15iterator_traitsISK_E10value_typeET2_T3_PNSL_ISQ_E10value_typeET4_jRbjT5_SW_jjP12ihipStream_tbEUlT_E2_NS1_11comp_targetILNS1_3genE2ELNS1_11target_archE906ELNS1_3gpuE6ELNS1_3repE0EEENS1_30default_config_static_selectorELNS0_4arch9wavefront6targetE0EEEvSK_
	.p2align	8
	.type	_ZN7rocprim17ROCPRIM_400000_NS6detail17trampoline_kernelINS0_14default_configENS1_36segmented_radix_sort_config_selectorIhlEEZNS1_25segmented_radix_sort_implIS3_Lb1EPKhPhPKlPlN2at6native12_GLOBAL__N_18offset_tEEE10hipError_tPvRmT1_PNSt15iterator_traitsISK_E10value_typeET2_T3_PNSL_ISQ_E10value_typeET4_jRbjT5_SW_jjP12ihipStream_tbEUlT_E2_NS1_11comp_targetILNS1_3genE2ELNS1_11target_archE906ELNS1_3gpuE6ELNS1_3repE0EEENS1_30default_config_static_selectorELNS0_4arch9wavefront6targetE0EEEvSK_,@function
_ZN7rocprim17ROCPRIM_400000_NS6detail17trampoline_kernelINS0_14default_configENS1_36segmented_radix_sort_config_selectorIhlEEZNS1_25segmented_radix_sort_implIS3_Lb1EPKhPhPKlPlN2at6native12_GLOBAL__N_18offset_tEEE10hipError_tPvRmT1_PNSt15iterator_traitsISK_E10value_typeET2_T3_PNSL_ISQ_E10value_typeET4_jRbjT5_SW_jjP12ihipStream_tbEUlT_E2_NS1_11comp_targetILNS1_3genE2ELNS1_11target_archE906ELNS1_3gpuE6ELNS1_3repE0EEENS1_30default_config_static_selectorELNS0_4arch9wavefront6targetE0EEEvSK_: ; @_ZN7rocprim17ROCPRIM_400000_NS6detail17trampoline_kernelINS0_14default_configENS1_36segmented_radix_sort_config_selectorIhlEEZNS1_25segmented_radix_sort_implIS3_Lb1EPKhPhPKlPlN2at6native12_GLOBAL__N_18offset_tEEE10hipError_tPvRmT1_PNSt15iterator_traitsISK_E10value_typeET2_T3_PNSL_ISQ_E10value_typeET4_jRbjT5_SW_jjP12ihipStream_tbEUlT_E2_NS1_11comp_targetILNS1_3genE2ELNS1_11target_archE906ELNS1_3gpuE6ELNS1_3repE0EEENS1_30default_config_static_selectorELNS0_4arch9wavefront6targetE0EEEvSK_
; %bb.0:
	.section	.rodata,"a",@progbits
	.p2align	6, 0x0
	.amdhsa_kernel _ZN7rocprim17ROCPRIM_400000_NS6detail17trampoline_kernelINS0_14default_configENS1_36segmented_radix_sort_config_selectorIhlEEZNS1_25segmented_radix_sort_implIS3_Lb1EPKhPhPKlPlN2at6native12_GLOBAL__N_18offset_tEEE10hipError_tPvRmT1_PNSt15iterator_traitsISK_E10value_typeET2_T3_PNSL_ISQ_E10value_typeET4_jRbjT5_SW_jjP12ihipStream_tbEUlT_E2_NS1_11comp_targetILNS1_3genE2ELNS1_11target_archE906ELNS1_3gpuE6ELNS1_3repE0EEENS1_30default_config_static_selectorELNS0_4arch9wavefront6targetE0EEEvSK_
		.amdhsa_group_segment_fixed_size 0
		.amdhsa_private_segment_fixed_size 0
		.amdhsa_kernarg_size 80
		.amdhsa_user_sgpr_count 15
		.amdhsa_user_sgpr_dispatch_ptr 0
		.amdhsa_user_sgpr_queue_ptr 0
		.amdhsa_user_sgpr_kernarg_segment_ptr 1
		.amdhsa_user_sgpr_dispatch_id 0
		.amdhsa_user_sgpr_private_segment_size 0
		.amdhsa_wavefront_size32 1
		.amdhsa_uses_dynamic_stack 0
		.amdhsa_enable_private_segment 0
		.amdhsa_system_sgpr_workgroup_id_x 1
		.amdhsa_system_sgpr_workgroup_id_y 0
		.amdhsa_system_sgpr_workgroup_id_z 0
		.amdhsa_system_sgpr_workgroup_info 0
		.amdhsa_system_vgpr_workitem_id 0
		.amdhsa_next_free_vgpr 1
		.amdhsa_next_free_sgpr 1
		.amdhsa_reserve_vcc 0
		.amdhsa_float_round_mode_32 0
		.amdhsa_float_round_mode_16_64 0
		.amdhsa_float_denorm_mode_32 3
		.amdhsa_float_denorm_mode_16_64 3
		.amdhsa_dx10_clamp 1
		.amdhsa_ieee_mode 1
		.amdhsa_fp16_overflow 0
		.amdhsa_workgroup_processor_mode 1
		.amdhsa_memory_ordered 1
		.amdhsa_forward_progress 0
		.amdhsa_shared_vgpr_count 0
		.amdhsa_exception_fp_ieee_invalid_op 0
		.amdhsa_exception_fp_denorm_src 0
		.amdhsa_exception_fp_ieee_div_zero 0
		.amdhsa_exception_fp_ieee_overflow 0
		.amdhsa_exception_fp_ieee_underflow 0
		.amdhsa_exception_fp_ieee_inexact 0
		.amdhsa_exception_int_div_zero 0
	.end_amdhsa_kernel
	.section	.text._ZN7rocprim17ROCPRIM_400000_NS6detail17trampoline_kernelINS0_14default_configENS1_36segmented_radix_sort_config_selectorIhlEEZNS1_25segmented_radix_sort_implIS3_Lb1EPKhPhPKlPlN2at6native12_GLOBAL__N_18offset_tEEE10hipError_tPvRmT1_PNSt15iterator_traitsISK_E10value_typeET2_T3_PNSL_ISQ_E10value_typeET4_jRbjT5_SW_jjP12ihipStream_tbEUlT_E2_NS1_11comp_targetILNS1_3genE2ELNS1_11target_archE906ELNS1_3gpuE6ELNS1_3repE0EEENS1_30default_config_static_selectorELNS0_4arch9wavefront6targetE0EEEvSK_,"axG",@progbits,_ZN7rocprim17ROCPRIM_400000_NS6detail17trampoline_kernelINS0_14default_configENS1_36segmented_radix_sort_config_selectorIhlEEZNS1_25segmented_radix_sort_implIS3_Lb1EPKhPhPKlPlN2at6native12_GLOBAL__N_18offset_tEEE10hipError_tPvRmT1_PNSt15iterator_traitsISK_E10value_typeET2_T3_PNSL_ISQ_E10value_typeET4_jRbjT5_SW_jjP12ihipStream_tbEUlT_E2_NS1_11comp_targetILNS1_3genE2ELNS1_11target_archE906ELNS1_3gpuE6ELNS1_3repE0EEENS1_30default_config_static_selectorELNS0_4arch9wavefront6targetE0EEEvSK_,comdat
.Lfunc_end117:
	.size	_ZN7rocprim17ROCPRIM_400000_NS6detail17trampoline_kernelINS0_14default_configENS1_36segmented_radix_sort_config_selectorIhlEEZNS1_25segmented_radix_sort_implIS3_Lb1EPKhPhPKlPlN2at6native12_GLOBAL__N_18offset_tEEE10hipError_tPvRmT1_PNSt15iterator_traitsISK_E10value_typeET2_T3_PNSL_ISQ_E10value_typeET4_jRbjT5_SW_jjP12ihipStream_tbEUlT_E2_NS1_11comp_targetILNS1_3genE2ELNS1_11target_archE906ELNS1_3gpuE6ELNS1_3repE0EEENS1_30default_config_static_selectorELNS0_4arch9wavefront6targetE0EEEvSK_, .Lfunc_end117-_ZN7rocprim17ROCPRIM_400000_NS6detail17trampoline_kernelINS0_14default_configENS1_36segmented_radix_sort_config_selectorIhlEEZNS1_25segmented_radix_sort_implIS3_Lb1EPKhPhPKlPlN2at6native12_GLOBAL__N_18offset_tEEE10hipError_tPvRmT1_PNSt15iterator_traitsISK_E10value_typeET2_T3_PNSL_ISQ_E10value_typeET4_jRbjT5_SW_jjP12ihipStream_tbEUlT_E2_NS1_11comp_targetILNS1_3genE2ELNS1_11target_archE906ELNS1_3gpuE6ELNS1_3repE0EEENS1_30default_config_static_selectorELNS0_4arch9wavefront6targetE0EEEvSK_
                                        ; -- End function
	.section	.AMDGPU.csdata,"",@progbits
; Kernel info:
; codeLenInByte = 0
; NumSgprs: 0
; NumVgprs: 0
; ScratchSize: 0
; MemoryBound: 0
; FloatMode: 240
; IeeeMode: 1
; LDSByteSize: 0 bytes/workgroup (compile time only)
; SGPRBlocks: 0
; VGPRBlocks: 0
; NumSGPRsForWavesPerEU: 1
; NumVGPRsForWavesPerEU: 1
; Occupancy: 16
; WaveLimiterHint : 0
; COMPUTE_PGM_RSRC2:SCRATCH_EN: 0
; COMPUTE_PGM_RSRC2:USER_SGPR: 15
; COMPUTE_PGM_RSRC2:TRAP_HANDLER: 0
; COMPUTE_PGM_RSRC2:TGID_X_EN: 1
; COMPUTE_PGM_RSRC2:TGID_Y_EN: 0
; COMPUTE_PGM_RSRC2:TGID_Z_EN: 0
; COMPUTE_PGM_RSRC2:TIDIG_COMP_CNT: 0
	.section	.text._ZN7rocprim17ROCPRIM_400000_NS6detail17trampoline_kernelINS0_14default_configENS1_36segmented_radix_sort_config_selectorIhlEEZNS1_25segmented_radix_sort_implIS3_Lb1EPKhPhPKlPlN2at6native12_GLOBAL__N_18offset_tEEE10hipError_tPvRmT1_PNSt15iterator_traitsISK_E10value_typeET2_T3_PNSL_ISQ_E10value_typeET4_jRbjT5_SW_jjP12ihipStream_tbEUlT_E2_NS1_11comp_targetILNS1_3genE10ELNS1_11target_archE1201ELNS1_3gpuE5ELNS1_3repE0EEENS1_30default_config_static_selectorELNS0_4arch9wavefront6targetE0EEEvSK_,"axG",@progbits,_ZN7rocprim17ROCPRIM_400000_NS6detail17trampoline_kernelINS0_14default_configENS1_36segmented_radix_sort_config_selectorIhlEEZNS1_25segmented_radix_sort_implIS3_Lb1EPKhPhPKlPlN2at6native12_GLOBAL__N_18offset_tEEE10hipError_tPvRmT1_PNSt15iterator_traitsISK_E10value_typeET2_T3_PNSL_ISQ_E10value_typeET4_jRbjT5_SW_jjP12ihipStream_tbEUlT_E2_NS1_11comp_targetILNS1_3genE10ELNS1_11target_archE1201ELNS1_3gpuE5ELNS1_3repE0EEENS1_30default_config_static_selectorELNS0_4arch9wavefront6targetE0EEEvSK_,comdat
	.globl	_ZN7rocprim17ROCPRIM_400000_NS6detail17trampoline_kernelINS0_14default_configENS1_36segmented_radix_sort_config_selectorIhlEEZNS1_25segmented_radix_sort_implIS3_Lb1EPKhPhPKlPlN2at6native12_GLOBAL__N_18offset_tEEE10hipError_tPvRmT1_PNSt15iterator_traitsISK_E10value_typeET2_T3_PNSL_ISQ_E10value_typeET4_jRbjT5_SW_jjP12ihipStream_tbEUlT_E2_NS1_11comp_targetILNS1_3genE10ELNS1_11target_archE1201ELNS1_3gpuE5ELNS1_3repE0EEENS1_30default_config_static_selectorELNS0_4arch9wavefront6targetE0EEEvSK_ ; -- Begin function _ZN7rocprim17ROCPRIM_400000_NS6detail17trampoline_kernelINS0_14default_configENS1_36segmented_radix_sort_config_selectorIhlEEZNS1_25segmented_radix_sort_implIS3_Lb1EPKhPhPKlPlN2at6native12_GLOBAL__N_18offset_tEEE10hipError_tPvRmT1_PNSt15iterator_traitsISK_E10value_typeET2_T3_PNSL_ISQ_E10value_typeET4_jRbjT5_SW_jjP12ihipStream_tbEUlT_E2_NS1_11comp_targetILNS1_3genE10ELNS1_11target_archE1201ELNS1_3gpuE5ELNS1_3repE0EEENS1_30default_config_static_selectorELNS0_4arch9wavefront6targetE0EEEvSK_
	.p2align	8
	.type	_ZN7rocprim17ROCPRIM_400000_NS6detail17trampoline_kernelINS0_14default_configENS1_36segmented_radix_sort_config_selectorIhlEEZNS1_25segmented_radix_sort_implIS3_Lb1EPKhPhPKlPlN2at6native12_GLOBAL__N_18offset_tEEE10hipError_tPvRmT1_PNSt15iterator_traitsISK_E10value_typeET2_T3_PNSL_ISQ_E10value_typeET4_jRbjT5_SW_jjP12ihipStream_tbEUlT_E2_NS1_11comp_targetILNS1_3genE10ELNS1_11target_archE1201ELNS1_3gpuE5ELNS1_3repE0EEENS1_30default_config_static_selectorELNS0_4arch9wavefront6targetE0EEEvSK_,@function
_ZN7rocprim17ROCPRIM_400000_NS6detail17trampoline_kernelINS0_14default_configENS1_36segmented_radix_sort_config_selectorIhlEEZNS1_25segmented_radix_sort_implIS3_Lb1EPKhPhPKlPlN2at6native12_GLOBAL__N_18offset_tEEE10hipError_tPvRmT1_PNSt15iterator_traitsISK_E10value_typeET2_T3_PNSL_ISQ_E10value_typeET4_jRbjT5_SW_jjP12ihipStream_tbEUlT_E2_NS1_11comp_targetILNS1_3genE10ELNS1_11target_archE1201ELNS1_3gpuE5ELNS1_3repE0EEENS1_30default_config_static_selectorELNS0_4arch9wavefront6targetE0EEEvSK_: ; @_ZN7rocprim17ROCPRIM_400000_NS6detail17trampoline_kernelINS0_14default_configENS1_36segmented_radix_sort_config_selectorIhlEEZNS1_25segmented_radix_sort_implIS3_Lb1EPKhPhPKlPlN2at6native12_GLOBAL__N_18offset_tEEE10hipError_tPvRmT1_PNSt15iterator_traitsISK_E10value_typeET2_T3_PNSL_ISQ_E10value_typeET4_jRbjT5_SW_jjP12ihipStream_tbEUlT_E2_NS1_11comp_targetILNS1_3genE10ELNS1_11target_archE1201ELNS1_3gpuE5ELNS1_3repE0EEENS1_30default_config_static_selectorELNS0_4arch9wavefront6targetE0EEEvSK_
; %bb.0:
	.section	.rodata,"a",@progbits
	.p2align	6, 0x0
	.amdhsa_kernel _ZN7rocprim17ROCPRIM_400000_NS6detail17trampoline_kernelINS0_14default_configENS1_36segmented_radix_sort_config_selectorIhlEEZNS1_25segmented_radix_sort_implIS3_Lb1EPKhPhPKlPlN2at6native12_GLOBAL__N_18offset_tEEE10hipError_tPvRmT1_PNSt15iterator_traitsISK_E10value_typeET2_T3_PNSL_ISQ_E10value_typeET4_jRbjT5_SW_jjP12ihipStream_tbEUlT_E2_NS1_11comp_targetILNS1_3genE10ELNS1_11target_archE1201ELNS1_3gpuE5ELNS1_3repE0EEENS1_30default_config_static_selectorELNS0_4arch9wavefront6targetE0EEEvSK_
		.amdhsa_group_segment_fixed_size 0
		.amdhsa_private_segment_fixed_size 0
		.amdhsa_kernarg_size 80
		.amdhsa_user_sgpr_count 15
		.amdhsa_user_sgpr_dispatch_ptr 0
		.amdhsa_user_sgpr_queue_ptr 0
		.amdhsa_user_sgpr_kernarg_segment_ptr 1
		.amdhsa_user_sgpr_dispatch_id 0
		.amdhsa_user_sgpr_private_segment_size 0
		.amdhsa_wavefront_size32 1
		.amdhsa_uses_dynamic_stack 0
		.amdhsa_enable_private_segment 0
		.amdhsa_system_sgpr_workgroup_id_x 1
		.amdhsa_system_sgpr_workgroup_id_y 0
		.amdhsa_system_sgpr_workgroup_id_z 0
		.amdhsa_system_sgpr_workgroup_info 0
		.amdhsa_system_vgpr_workitem_id 0
		.amdhsa_next_free_vgpr 1
		.amdhsa_next_free_sgpr 1
		.amdhsa_reserve_vcc 0
		.amdhsa_float_round_mode_32 0
		.amdhsa_float_round_mode_16_64 0
		.amdhsa_float_denorm_mode_32 3
		.amdhsa_float_denorm_mode_16_64 3
		.amdhsa_dx10_clamp 1
		.amdhsa_ieee_mode 1
		.amdhsa_fp16_overflow 0
		.amdhsa_workgroup_processor_mode 1
		.amdhsa_memory_ordered 1
		.amdhsa_forward_progress 0
		.amdhsa_shared_vgpr_count 0
		.amdhsa_exception_fp_ieee_invalid_op 0
		.amdhsa_exception_fp_denorm_src 0
		.amdhsa_exception_fp_ieee_div_zero 0
		.amdhsa_exception_fp_ieee_overflow 0
		.amdhsa_exception_fp_ieee_underflow 0
		.amdhsa_exception_fp_ieee_inexact 0
		.amdhsa_exception_int_div_zero 0
	.end_amdhsa_kernel
	.section	.text._ZN7rocprim17ROCPRIM_400000_NS6detail17trampoline_kernelINS0_14default_configENS1_36segmented_radix_sort_config_selectorIhlEEZNS1_25segmented_radix_sort_implIS3_Lb1EPKhPhPKlPlN2at6native12_GLOBAL__N_18offset_tEEE10hipError_tPvRmT1_PNSt15iterator_traitsISK_E10value_typeET2_T3_PNSL_ISQ_E10value_typeET4_jRbjT5_SW_jjP12ihipStream_tbEUlT_E2_NS1_11comp_targetILNS1_3genE10ELNS1_11target_archE1201ELNS1_3gpuE5ELNS1_3repE0EEENS1_30default_config_static_selectorELNS0_4arch9wavefront6targetE0EEEvSK_,"axG",@progbits,_ZN7rocprim17ROCPRIM_400000_NS6detail17trampoline_kernelINS0_14default_configENS1_36segmented_radix_sort_config_selectorIhlEEZNS1_25segmented_radix_sort_implIS3_Lb1EPKhPhPKlPlN2at6native12_GLOBAL__N_18offset_tEEE10hipError_tPvRmT1_PNSt15iterator_traitsISK_E10value_typeET2_T3_PNSL_ISQ_E10value_typeET4_jRbjT5_SW_jjP12ihipStream_tbEUlT_E2_NS1_11comp_targetILNS1_3genE10ELNS1_11target_archE1201ELNS1_3gpuE5ELNS1_3repE0EEENS1_30default_config_static_selectorELNS0_4arch9wavefront6targetE0EEEvSK_,comdat
.Lfunc_end118:
	.size	_ZN7rocprim17ROCPRIM_400000_NS6detail17trampoline_kernelINS0_14default_configENS1_36segmented_radix_sort_config_selectorIhlEEZNS1_25segmented_radix_sort_implIS3_Lb1EPKhPhPKlPlN2at6native12_GLOBAL__N_18offset_tEEE10hipError_tPvRmT1_PNSt15iterator_traitsISK_E10value_typeET2_T3_PNSL_ISQ_E10value_typeET4_jRbjT5_SW_jjP12ihipStream_tbEUlT_E2_NS1_11comp_targetILNS1_3genE10ELNS1_11target_archE1201ELNS1_3gpuE5ELNS1_3repE0EEENS1_30default_config_static_selectorELNS0_4arch9wavefront6targetE0EEEvSK_, .Lfunc_end118-_ZN7rocprim17ROCPRIM_400000_NS6detail17trampoline_kernelINS0_14default_configENS1_36segmented_radix_sort_config_selectorIhlEEZNS1_25segmented_radix_sort_implIS3_Lb1EPKhPhPKlPlN2at6native12_GLOBAL__N_18offset_tEEE10hipError_tPvRmT1_PNSt15iterator_traitsISK_E10value_typeET2_T3_PNSL_ISQ_E10value_typeET4_jRbjT5_SW_jjP12ihipStream_tbEUlT_E2_NS1_11comp_targetILNS1_3genE10ELNS1_11target_archE1201ELNS1_3gpuE5ELNS1_3repE0EEENS1_30default_config_static_selectorELNS0_4arch9wavefront6targetE0EEEvSK_
                                        ; -- End function
	.section	.AMDGPU.csdata,"",@progbits
; Kernel info:
; codeLenInByte = 0
; NumSgprs: 0
; NumVgprs: 0
; ScratchSize: 0
; MemoryBound: 0
; FloatMode: 240
; IeeeMode: 1
; LDSByteSize: 0 bytes/workgroup (compile time only)
; SGPRBlocks: 0
; VGPRBlocks: 0
; NumSGPRsForWavesPerEU: 1
; NumVGPRsForWavesPerEU: 1
; Occupancy: 16
; WaveLimiterHint : 0
; COMPUTE_PGM_RSRC2:SCRATCH_EN: 0
; COMPUTE_PGM_RSRC2:USER_SGPR: 15
; COMPUTE_PGM_RSRC2:TRAP_HANDLER: 0
; COMPUTE_PGM_RSRC2:TGID_X_EN: 1
; COMPUTE_PGM_RSRC2:TGID_Y_EN: 0
; COMPUTE_PGM_RSRC2:TGID_Z_EN: 0
; COMPUTE_PGM_RSRC2:TIDIG_COMP_CNT: 0
	.section	.text._ZN7rocprim17ROCPRIM_400000_NS6detail17trampoline_kernelINS0_14default_configENS1_36segmented_radix_sort_config_selectorIhlEEZNS1_25segmented_radix_sort_implIS3_Lb1EPKhPhPKlPlN2at6native12_GLOBAL__N_18offset_tEEE10hipError_tPvRmT1_PNSt15iterator_traitsISK_E10value_typeET2_T3_PNSL_ISQ_E10value_typeET4_jRbjT5_SW_jjP12ihipStream_tbEUlT_E2_NS1_11comp_targetILNS1_3genE10ELNS1_11target_archE1200ELNS1_3gpuE4ELNS1_3repE0EEENS1_30default_config_static_selectorELNS0_4arch9wavefront6targetE0EEEvSK_,"axG",@progbits,_ZN7rocprim17ROCPRIM_400000_NS6detail17trampoline_kernelINS0_14default_configENS1_36segmented_radix_sort_config_selectorIhlEEZNS1_25segmented_radix_sort_implIS3_Lb1EPKhPhPKlPlN2at6native12_GLOBAL__N_18offset_tEEE10hipError_tPvRmT1_PNSt15iterator_traitsISK_E10value_typeET2_T3_PNSL_ISQ_E10value_typeET4_jRbjT5_SW_jjP12ihipStream_tbEUlT_E2_NS1_11comp_targetILNS1_3genE10ELNS1_11target_archE1200ELNS1_3gpuE4ELNS1_3repE0EEENS1_30default_config_static_selectorELNS0_4arch9wavefront6targetE0EEEvSK_,comdat
	.globl	_ZN7rocprim17ROCPRIM_400000_NS6detail17trampoline_kernelINS0_14default_configENS1_36segmented_radix_sort_config_selectorIhlEEZNS1_25segmented_radix_sort_implIS3_Lb1EPKhPhPKlPlN2at6native12_GLOBAL__N_18offset_tEEE10hipError_tPvRmT1_PNSt15iterator_traitsISK_E10value_typeET2_T3_PNSL_ISQ_E10value_typeET4_jRbjT5_SW_jjP12ihipStream_tbEUlT_E2_NS1_11comp_targetILNS1_3genE10ELNS1_11target_archE1200ELNS1_3gpuE4ELNS1_3repE0EEENS1_30default_config_static_selectorELNS0_4arch9wavefront6targetE0EEEvSK_ ; -- Begin function _ZN7rocprim17ROCPRIM_400000_NS6detail17trampoline_kernelINS0_14default_configENS1_36segmented_radix_sort_config_selectorIhlEEZNS1_25segmented_radix_sort_implIS3_Lb1EPKhPhPKlPlN2at6native12_GLOBAL__N_18offset_tEEE10hipError_tPvRmT1_PNSt15iterator_traitsISK_E10value_typeET2_T3_PNSL_ISQ_E10value_typeET4_jRbjT5_SW_jjP12ihipStream_tbEUlT_E2_NS1_11comp_targetILNS1_3genE10ELNS1_11target_archE1200ELNS1_3gpuE4ELNS1_3repE0EEENS1_30default_config_static_selectorELNS0_4arch9wavefront6targetE0EEEvSK_
	.p2align	8
	.type	_ZN7rocprim17ROCPRIM_400000_NS6detail17trampoline_kernelINS0_14default_configENS1_36segmented_radix_sort_config_selectorIhlEEZNS1_25segmented_radix_sort_implIS3_Lb1EPKhPhPKlPlN2at6native12_GLOBAL__N_18offset_tEEE10hipError_tPvRmT1_PNSt15iterator_traitsISK_E10value_typeET2_T3_PNSL_ISQ_E10value_typeET4_jRbjT5_SW_jjP12ihipStream_tbEUlT_E2_NS1_11comp_targetILNS1_3genE10ELNS1_11target_archE1200ELNS1_3gpuE4ELNS1_3repE0EEENS1_30default_config_static_selectorELNS0_4arch9wavefront6targetE0EEEvSK_,@function
_ZN7rocprim17ROCPRIM_400000_NS6detail17trampoline_kernelINS0_14default_configENS1_36segmented_radix_sort_config_selectorIhlEEZNS1_25segmented_radix_sort_implIS3_Lb1EPKhPhPKlPlN2at6native12_GLOBAL__N_18offset_tEEE10hipError_tPvRmT1_PNSt15iterator_traitsISK_E10value_typeET2_T3_PNSL_ISQ_E10value_typeET4_jRbjT5_SW_jjP12ihipStream_tbEUlT_E2_NS1_11comp_targetILNS1_3genE10ELNS1_11target_archE1200ELNS1_3gpuE4ELNS1_3repE0EEENS1_30default_config_static_selectorELNS0_4arch9wavefront6targetE0EEEvSK_: ; @_ZN7rocprim17ROCPRIM_400000_NS6detail17trampoline_kernelINS0_14default_configENS1_36segmented_radix_sort_config_selectorIhlEEZNS1_25segmented_radix_sort_implIS3_Lb1EPKhPhPKlPlN2at6native12_GLOBAL__N_18offset_tEEE10hipError_tPvRmT1_PNSt15iterator_traitsISK_E10value_typeET2_T3_PNSL_ISQ_E10value_typeET4_jRbjT5_SW_jjP12ihipStream_tbEUlT_E2_NS1_11comp_targetILNS1_3genE10ELNS1_11target_archE1200ELNS1_3gpuE4ELNS1_3repE0EEENS1_30default_config_static_selectorELNS0_4arch9wavefront6targetE0EEEvSK_
; %bb.0:
	.section	.rodata,"a",@progbits
	.p2align	6, 0x0
	.amdhsa_kernel _ZN7rocprim17ROCPRIM_400000_NS6detail17trampoline_kernelINS0_14default_configENS1_36segmented_radix_sort_config_selectorIhlEEZNS1_25segmented_radix_sort_implIS3_Lb1EPKhPhPKlPlN2at6native12_GLOBAL__N_18offset_tEEE10hipError_tPvRmT1_PNSt15iterator_traitsISK_E10value_typeET2_T3_PNSL_ISQ_E10value_typeET4_jRbjT5_SW_jjP12ihipStream_tbEUlT_E2_NS1_11comp_targetILNS1_3genE10ELNS1_11target_archE1200ELNS1_3gpuE4ELNS1_3repE0EEENS1_30default_config_static_selectorELNS0_4arch9wavefront6targetE0EEEvSK_
		.amdhsa_group_segment_fixed_size 0
		.amdhsa_private_segment_fixed_size 0
		.amdhsa_kernarg_size 80
		.amdhsa_user_sgpr_count 15
		.amdhsa_user_sgpr_dispatch_ptr 0
		.amdhsa_user_sgpr_queue_ptr 0
		.amdhsa_user_sgpr_kernarg_segment_ptr 1
		.amdhsa_user_sgpr_dispatch_id 0
		.amdhsa_user_sgpr_private_segment_size 0
		.amdhsa_wavefront_size32 1
		.amdhsa_uses_dynamic_stack 0
		.amdhsa_enable_private_segment 0
		.amdhsa_system_sgpr_workgroup_id_x 1
		.amdhsa_system_sgpr_workgroup_id_y 0
		.amdhsa_system_sgpr_workgroup_id_z 0
		.amdhsa_system_sgpr_workgroup_info 0
		.amdhsa_system_vgpr_workitem_id 0
		.amdhsa_next_free_vgpr 1
		.amdhsa_next_free_sgpr 1
		.amdhsa_reserve_vcc 0
		.amdhsa_float_round_mode_32 0
		.amdhsa_float_round_mode_16_64 0
		.amdhsa_float_denorm_mode_32 3
		.amdhsa_float_denorm_mode_16_64 3
		.amdhsa_dx10_clamp 1
		.amdhsa_ieee_mode 1
		.amdhsa_fp16_overflow 0
		.amdhsa_workgroup_processor_mode 1
		.amdhsa_memory_ordered 1
		.amdhsa_forward_progress 0
		.amdhsa_shared_vgpr_count 0
		.amdhsa_exception_fp_ieee_invalid_op 0
		.amdhsa_exception_fp_denorm_src 0
		.amdhsa_exception_fp_ieee_div_zero 0
		.amdhsa_exception_fp_ieee_overflow 0
		.amdhsa_exception_fp_ieee_underflow 0
		.amdhsa_exception_fp_ieee_inexact 0
		.amdhsa_exception_int_div_zero 0
	.end_amdhsa_kernel
	.section	.text._ZN7rocprim17ROCPRIM_400000_NS6detail17trampoline_kernelINS0_14default_configENS1_36segmented_radix_sort_config_selectorIhlEEZNS1_25segmented_radix_sort_implIS3_Lb1EPKhPhPKlPlN2at6native12_GLOBAL__N_18offset_tEEE10hipError_tPvRmT1_PNSt15iterator_traitsISK_E10value_typeET2_T3_PNSL_ISQ_E10value_typeET4_jRbjT5_SW_jjP12ihipStream_tbEUlT_E2_NS1_11comp_targetILNS1_3genE10ELNS1_11target_archE1200ELNS1_3gpuE4ELNS1_3repE0EEENS1_30default_config_static_selectorELNS0_4arch9wavefront6targetE0EEEvSK_,"axG",@progbits,_ZN7rocprim17ROCPRIM_400000_NS6detail17trampoline_kernelINS0_14default_configENS1_36segmented_radix_sort_config_selectorIhlEEZNS1_25segmented_radix_sort_implIS3_Lb1EPKhPhPKlPlN2at6native12_GLOBAL__N_18offset_tEEE10hipError_tPvRmT1_PNSt15iterator_traitsISK_E10value_typeET2_T3_PNSL_ISQ_E10value_typeET4_jRbjT5_SW_jjP12ihipStream_tbEUlT_E2_NS1_11comp_targetILNS1_3genE10ELNS1_11target_archE1200ELNS1_3gpuE4ELNS1_3repE0EEENS1_30default_config_static_selectorELNS0_4arch9wavefront6targetE0EEEvSK_,comdat
.Lfunc_end119:
	.size	_ZN7rocprim17ROCPRIM_400000_NS6detail17trampoline_kernelINS0_14default_configENS1_36segmented_radix_sort_config_selectorIhlEEZNS1_25segmented_radix_sort_implIS3_Lb1EPKhPhPKlPlN2at6native12_GLOBAL__N_18offset_tEEE10hipError_tPvRmT1_PNSt15iterator_traitsISK_E10value_typeET2_T3_PNSL_ISQ_E10value_typeET4_jRbjT5_SW_jjP12ihipStream_tbEUlT_E2_NS1_11comp_targetILNS1_3genE10ELNS1_11target_archE1200ELNS1_3gpuE4ELNS1_3repE0EEENS1_30default_config_static_selectorELNS0_4arch9wavefront6targetE0EEEvSK_, .Lfunc_end119-_ZN7rocprim17ROCPRIM_400000_NS6detail17trampoline_kernelINS0_14default_configENS1_36segmented_radix_sort_config_selectorIhlEEZNS1_25segmented_radix_sort_implIS3_Lb1EPKhPhPKlPlN2at6native12_GLOBAL__N_18offset_tEEE10hipError_tPvRmT1_PNSt15iterator_traitsISK_E10value_typeET2_T3_PNSL_ISQ_E10value_typeET4_jRbjT5_SW_jjP12ihipStream_tbEUlT_E2_NS1_11comp_targetILNS1_3genE10ELNS1_11target_archE1200ELNS1_3gpuE4ELNS1_3repE0EEENS1_30default_config_static_selectorELNS0_4arch9wavefront6targetE0EEEvSK_
                                        ; -- End function
	.section	.AMDGPU.csdata,"",@progbits
; Kernel info:
; codeLenInByte = 0
; NumSgprs: 0
; NumVgprs: 0
; ScratchSize: 0
; MemoryBound: 0
; FloatMode: 240
; IeeeMode: 1
; LDSByteSize: 0 bytes/workgroup (compile time only)
; SGPRBlocks: 0
; VGPRBlocks: 0
; NumSGPRsForWavesPerEU: 1
; NumVGPRsForWavesPerEU: 1
; Occupancy: 16
; WaveLimiterHint : 0
; COMPUTE_PGM_RSRC2:SCRATCH_EN: 0
; COMPUTE_PGM_RSRC2:USER_SGPR: 15
; COMPUTE_PGM_RSRC2:TRAP_HANDLER: 0
; COMPUTE_PGM_RSRC2:TGID_X_EN: 1
; COMPUTE_PGM_RSRC2:TGID_Y_EN: 0
; COMPUTE_PGM_RSRC2:TGID_Z_EN: 0
; COMPUTE_PGM_RSRC2:TIDIG_COMP_CNT: 0
	.section	.text._ZN7rocprim17ROCPRIM_400000_NS6detail17trampoline_kernelINS0_14default_configENS1_36segmented_radix_sort_config_selectorIhlEEZNS1_25segmented_radix_sort_implIS3_Lb1EPKhPhPKlPlN2at6native12_GLOBAL__N_18offset_tEEE10hipError_tPvRmT1_PNSt15iterator_traitsISK_E10value_typeET2_T3_PNSL_ISQ_E10value_typeET4_jRbjT5_SW_jjP12ihipStream_tbEUlT_E2_NS1_11comp_targetILNS1_3genE9ELNS1_11target_archE1100ELNS1_3gpuE3ELNS1_3repE0EEENS1_30default_config_static_selectorELNS0_4arch9wavefront6targetE0EEEvSK_,"axG",@progbits,_ZN7rocprim17ROCPRIM_400000_NS6detail17trampoline_kernelINS0_14default_configENS1_36segmented_radix_sort_config_selectorIhlEEZNS1_25segmented_radix_sort_implIS3_Lb1EPKhPhPKlPlN2at6native12_GLOBAL__N_18offset_tEEE10hipError_tPvRmT1_PNSt15iterator_traitsISK_E10value_typeET2_T3_PNSL_ISQ_E10value_typeET4_jRbjT5_SW_jjP12ihipStream_tbEUlT_E2_NS1_11comp_targetILNS1_3genE9ELNS1_11target_archE1100ELNS1_3gpuE3ELNS1_3repE0EEENS1_30default_config_static_selectorELNS0_4arch9wavefront6targetE0EEEvSK_,comdat
	.globl	_ZN7rocprim17ROCPRIM_400000_NS6detail17trampoline_kernelINS0_14default_configENS1_36segmented_radix_sort_config_selectorIhlEEZNS1_25segmented_radix_sort_implIS3_Lb1EPKhPhPKlPlN2at6native12_GLOBAL__N_18offset_tEEE10hipError_tPvRmT1_PNSt15iterator_traitsISK_E10value_typeET2_T3_PNSL_ISQ_E10value_typeET4_jRbjT5_SW_jjP12ihipStream_tbEUlT_E2_NS1_11comp_targetILNS1_3genE9ELNS1_11target_archE1100ELNS1_3gpuE3ELNS1_3repE0EEENS1_30default_config_static_selectorELNS0_4arch9wavefront6targetE0EEEvSK_ ; -- Begin function _ZN7rocprim17ROCPRIM_400000_NS6detail17trampoline_kernelINS0_14default_configENS1_36segmented_radix_sort_config_selectorIhlEEZNS1_25segmented_radix_sort_implIS3_Lb1EPKhPhPKlPlN2at6native12_GLOBAL__N_18offset_tEEE10hipError_tPvRmT1_PNSt15iterator_traitsISK_E10value_typeET2_T3_PNSL_ISQ_E10value_typeET4_jRbjT5_SW_jjP12ihipStream_tbEUlT_E2_NS1_11comp_targetILNS1_3genE9ELNS1_11target_archE1100ELNS1_3gpuE3ELNS1_3repE0EEENS1_30default_config_static_selectorELNS0_4arch9wavefront6targetE0EEEvSK_
	.p2align	8
	.type	_ZN7rocprim17ROCPRIM_400000_NS6detail17trampoline_kernelINS0_14default_configENS1_36segmented_radix_sort_config_selectorIhlEEZNS1_25segmented_radix_sort_implIS3_Lb1EPKhPhPKlPlN2at6native12_GLOBAL__N_18offset_tEEE10hipError_tPvRmT1_PNSt15iterator_traitsISK_E10value_typeET2_T3_PNSL_ISQ_E10value_typeET4_jRbjT5_SW_jjP12ihipStream_tbEUlT_E2_NS1_11comp_targetILNS1_3genE9ELNS1_11target_archE1100ELNS1_3gpuE3ELNS1_3repE0EEENS1_30default_config_static_selectorELNS0_4arch9wavefront6targetE0EEEvSK_,@function
_ZN7rocprim17ROCPRIM_400000_NS6detail17trampoline_kernelINS0_14default_configENS1_36segmented_radix_sort_config_selectorIhlEEZNS1_25segmented_radix_sort_implIS3_Lb1EPKhPhPKlPlN2at6native12_GLOBAL__N_18offset_tEEE10hipError_tPvRmT1_PNSt15iterator_traitsISK_E10value_typeET2_T3_PNSL_ISQ_E10value_typeET4_jRbjT5_SW_jjP12ihipStream_tbEUlT_E2_NS1_11comp_targetILNS1_3genE9ELNS1_11target_archE1100ELNS1_3gpuE3ELNS1_3repE0EEENS1_30default_config_static_selectorELNS0_4arch9wavefront6targetE0EEEvSK_: ; @_ZN7rocprim17ROCPRIM_400000_NS6detail17trampoline_kernelINS0_14default_configENS1_36segmented_radix_sort_config_selectorIhlEEZNS1_25segmented_radix_sort_implIS3_Lb1EPKhPhPKlPlN2at6native12_GLOBAL__N_18offset_tEEE10hipError_tPvRmT1_PNSt15iterator_traitsISK_E10value_typeET2_T3_PNSL_ISQ_E10value_typeET4_jRbjT5_SW_jjP12ihipStream_tbEUlT_E2_NS1_11comp_targetILNS1_3genE9ELNS1_11target_archE1100ELNS1_3gpuE3ELNS1_3repE0EEENS1_30default_config_static_selectorELNS0_4arch9wavefront6targetE0EEEvSK_
; %bb.0:
	s_load_b128 s[4:7], s[0:1], 0x34
	s_mov_b32 s32, 0
	s_waitcnt lgkmcnt(0)
	s_add_i32 s28, s5, s14
	s_add_i32 s29, s7, s14
	s_mul_i32 s28, s28, s4
	s_mul_i32 s29, s29, s6
	s_delay_alu instid0(SALU_CYCLE_1)
	s_cmp_le_u32 s29, s28
	s_cbranch_scc1 .LBB120_686
; %bb.1:
	s_clause 0x3
	s_load_b32 s2, s[0:1], 0x30
	s_load_b128 s[44:47], s[0:1], 0x20
	s_load_b128 s[48:51], s[0:1], 0x44
	s_load_b256 s[36:43], s[0:1], 0x0
	s_waitcnt lgkmcnt(0)
	s_bitcmp1_b32 s2, 0
	s_mov_b32 s2, -1
	s_cselect_b32 s33, -1, 0
	s_sub_i32 s34, s29, s28
	s_delay_alu instid0(SALU_CYCLE_1)
	s_cmpk_lt_u32 s34, 0x801
	s_cbranch_scc0 .LBB120_15
; %bb.2:
	s_cmp_lt_u32 s34, 33
	s_cbranch_scc0 .LBB120_9
; %bb.3:
	s_load_b32 s2, s[0:1], 0x5c
	v_bfe_u32 v1, v0, 10, 10
	v_bfe_u32 v2, v0, 20, 10
	s_mov_b32 s18, exec_lo
	s_waitcnt lgkmcnt(0)
	s_lshr_b32 s3, s2, 16
	s_and_b32 s2, s2, 0xffff
	v_mad_u32_u24 v4, v2, s3, v1
	v_and_b32_e32 v1, 0x3ff, v0
	s_delay_alu instid0(VALU_DEP_1) | instskip(NEXT) | instid1(VALU_DEP_1)
	v_mad_u64_u32 v[2:3], null, v4, s2, v[1:2]
	v_cmpx_gt_u32_e32 8, v2
	s_cbranch_execz .LBB120_8
; %bb.4:
	v_cndmask_b32_e64 v1, 0, 1, s33
	s_and_b32 s2, s48, 1
	s_delay_alu instid0(VALU_DEP_1) | instid1(SALU_CYCLE_1)
	v_cmp_ne_u32_e32 vcc_lo, s2, v1
	s_mov_b32 s2, -1
	s_cbranch_vccnz .LBB120_6
; %bb.5:
	s_mov_b64 s[2:3], src_shared_base
	v_mov_b32_e32 v31, v0
	v_dual_mov_b32 v40, v0 :: v_dual_mov_b32 v1, s37
	v_mov_b32_e32 v0, s36
	v_dual_mov_b32 v2, s40 :: v_dual_mov_b32 v3, s41
	v_dual_mov_b32 v4, s42 :: v_dual_mov_b32 v5, s43
	;; [unrolled: 1-line block ×6, first 2 shown]
	s_add_u32 s8, s0, 0x50
	s_addc_u32 s9, s1, 0
	s_mov_b32 s12, s14
	s_mov_b32 s13, s15
	s_getpc_b64 s[4:5]
	s_add_u32 s4, s4, _ZN7rocprim17ROCPRIM_400000_NS6detail26segmented_warp_sort_helperINS1_20WarpSortHelperConfigILj8ELj4ELj256EEEhlLi256ELb1EvE4sortIPKhPhPKlPlEEvT_T0_T1_T2_jjjjRNS5_12storage_typeE@rel32@lo+4
	s_addc_u32 s5, s5, _ZN7rocprim17ROCPRIM_400000_NS6detail26segmented_warp_sort_helperINS1_20WarpSortHelperConfigILj8ELj4ELj256EEEhlLi256ELb1EvE4sortIPKhPhPKlPlEEvT_T0_T1_T2_jjjjRNS5_12storage_typeE@rel32@hi+12
	s_mov_b64 s[16:17], s[0:1]
	s_mov_b32 s19, s15
	s_mov_b32 s20, s14
	s_swappc_b64 s[30:31], s[4:5]
	v_mov_b32_e32 v0, v40
	s_mov_b32 s14, s20
	s_mov_b32 s15, s19
	s_mov_b64 s[0:1], s[16:17]
	s_mov_b32 s2, 0
.LBB120_6:
	s_delay_alu instid0(SALU_CYCLE_1)
	s_and_not1_b32 vcc_lo, exec_lo, s2
	s_cbranch_vccnz .LBB120_8
; %bb.7:
	s_mov_b64 s[2:3], src_shared_base
	v_mov_b32_e32 v31, v0
	v_dual_mov_b32 v40, v0 :: v_dual_mov_b32 v1, s37
	v_mov_b32_e32 v0, s36
	v_dual_mov_b32 v2, s38 :: v_dual_mov_b32 v3, s39
	v_dual_mov_b32 v4, s42 :: v_dual_mov_b32 v5, s43
	v_dual_mov_b32 v6, s44 :: v_dual_mov_b32 v7, s45
	v_dual_mov_b32 v8, s28 :: v_dual_mov_b32 v9, s29
	v_dual_mov_b32 v10, s49 :: v_dual_mov_b32 v11, s50
	v_dual_mov_b32 v12, 0 :: v_dual_mov_b32 v13, s3
	s_add_u32 s8, s0, 0x50
	s_addc_u32 s9, s1, 0
	s_mov_b32 s12, s14
	s_mov_b32 s13, s15
	s_getpc_b64 s[4:5]
	s_add_u32 s4, s4, _ZN7rocprim17ROCPRIM_400000_NS6detail26segmented_warp_sort_helperINS1_20WarpSortHelperConfigILj8ELj4ELj256EEEhlLi256ELb1EvE4sortIPKhPhPKlPlEEvT_T0_T1_T2_jjjjRNS5_12storage_typeE@rel32@lo+4
	s_addc_u32 s5, s5, _ZN7rocprim17ROCPRIM_400000_NS6detail26segmented_warp_sort_helperINS1_20WarpSortHelperConfigILj8ELj4ELj256EEEhlLi256ELb1EvE4sortIPKhPhPKlPlEEvT_T0_T1_T2_jjjjRNS5_12storage_typeE@rel32@hi+12
	s_mov_b64 s[16:17], s[0:1]
	s_mov_b32 s20, s15
	s_mov_b32 s19, s14
	s_swappc_b64 s[30:31], s[4:5]
	v_mov_b32_e32 v0, v40
	s_mov_b32 s14, s19
	s_mov_b32 s15, s20
	s_mov_b64 s[0:1], s[16:17]
.LBB120_8:
	s_or_b32 exec_lo, exec_lo, s18
	s_mov_b32 s2, 0
.LBB120_9:
	s_delay_alu instid0(SALU_CYCLE_1)
	s_and_not1_b32 vcc_lo, exec_lo, s2
	s_cbranch_vccnz .LBB120_14
; %bb.10:
	v_cndmask_b32_e64 v1, 0, 1, s33
	s_and_b32 s2, s48, 1
	s_delay_alu instid0(VALU_DEP_1) | instid1(SALU_CYCLE_1)
	v_cmp_ne_u32_e32 vcc_lo, s2, v1
	s_mov_b32 s2, -1
	s_cbranch_vccnz .LBB120_12
; %bb.11:
	s_mov_b64 s[2:3], src_shared_base
	v_mov_b32_e32 v31, v0
	v_dual_mov_b32 v40, v0 :: v_dual_mov_b32 v1, s37
	v_mov_b32_e32 v0, s36
	v_dual_mov_b32 v2, s40 :: v_dual_mov_b32 v3, s41
	v_dual_mov_b32 v4, s42 :: v_dual_mov_b32 v5, s43
	;; [unrolled: 1-line block ×6, first 2 shown]
	s_add_u32 s8, s0, 0x50
	s_addc_u32 s9, s1, 0
	s_mov_b32 s12, s14
	s_mov_b32 s13, s15
	s_getpc_b64 s[4:5]
	s_add_u32 s4, s4, _ZN7rocprim17ROCPRIM_400000_NS6detail40segmented_radix_sort_single_block_helperIhlLj256ELj8ELb1EE4sortIPKhPhPKlPlEEbT_T0_T1_T2_jjjjRNS3_12storage_typeE@rel32@lo+4
	s_addc_u32 s5, s5, _ZN7rocprim17ROCPRIM_400000_NS6detail40segmented_radix_sort_single_block_helperIhlLj256ELj8ELb1EE4sortIPKhPhPKlPlEEbT_T0_T1_T2_jjjjRNS3_12storage_typeE@rel32@hi+12
	s_mov_b64 s[26:27], s[0:1]
	s_mov_b32 s35, s15
	s_mov_b32 s48, s14
	s_swappc_b64 s[30:31], s[4:5]
	v_mov_b32_e32 v0, v40
	s_mov_b32 s14, s48
	s_mov_b32 s15, s35
	s_mov_b64 s[0:1], s[26:27]
	s_mov_b32 s2, 0
.LBB120_12:
	s_delay_alu instid0(SALU_CYCLE_1)
	s_and_not1_b32 vcc_lo, exec_lo, s2
	s_cbranch_vccnz .LBB120_14
; %bb.13:
	s_mov_b64 s[2:3], src_shared_base
	v_mov_b32_e32 v31, v0
	v_dual_mov_b32 v40, v0 :: v_dual_mov_b32 v1, s37
	v_mov_b32_e32 v0, s36
	v_dual_mov_b32 v2, s38 :: v_dual_mov_b32 v3, s39
	v_dual_mov_b32 v4, s42 :: v_dual_mov_b32 v5, s43
	;; [unrolled: 1-line block ×6, first 2 shown]
	s_add_u32 s8, s0, 0x50
	s_addc_u32 s9, s1, 0
	s_mov_b32 s12, s14
	s_mov_b32 s13, s15
	s_getpc_b64 s[4:5]
	s_add_u32 s4, s4, _ZN7rocprim17ROCPRIM_400000_NS6detail40segmented_radix_sort_single_block_helperIhlLj256ELj8ELb1EE4sortIPKhPhPKlPlEEbT_T0_T1_T2_jjjjRNS3_12storage_typeE@rel32@lo+4
	s_addc_u32 s5, s5, _ZN7rocprim17ROCPRIM_400000_NS6detail40segmented_radix_sort_single_block_helperIhlLj256ELj8ELb1EE4sortIPKhPhPKlPlEEbT_T0_T1_T2_jjjjRNS3_12storage_typeE@rel32@hi+12
	s_mov_b64 s[26:27], s[0:1]
	s_mov_b32 s48, s15
	s_mov_b32 s35, s14
	s_swappc_b64 s[30:31], s[4:5]
	v_mov_b32_e32 v0, v40
	s_mov_b32 s14, s35
	s_mov_b32 s15, s48
	s_mov_b64 s[0:1], s[26:27]
.LBB120_14:
	s_mov_b32 s2, 0
.LBB120_15:
	s_delay_alu instid0(SALU_CYCLE_1)
	s_and_not1_b32 vcc_lo, exec_lo, s2
	s_cbranch_vccnz .LBB120_686
; %bb.16:
	s_cmp_ge_u32 s49, s50
	s_cbranch_scc1 .LBB120_686
; %bb.17:
	v_dual_mov_b32 v66, 1 :: v_dual_and_b32 v1, 0x3ff, v0
	v_mov_b32_e32 v3, 0
	v_mbcnt_lo_u32_b32 v63, -1, 0
	v_bfe_u32 v45, v0, 20, 10
	s_delay_alu instid0(VALU_DEP_4) | instskip(SKIP_4) | instid1(VALU_DEP_4)
	v_lshlrev_b32_e32 v28, 2, v1
	v_lshrrev_b32_e32 v2, 3, v1
	v_or_b32_e32 v4, 31, v1
	v_lshlrev_b32_e32 v5, 5, v1
	v_add_co_u32 v33, s2, s40, v1
	v_and_b32_e32 v38, 28, v2
	v_lshlrev_b32_e32 v2, 3, v1
	v_cmp_eq_u32_e64 s3, v4, v1
	v_add_nc_u32_e32 v4, 1, v1
	v_sub_nc_u32_e32 v48, 0, v5
	v_mad_u32_u24 v40, v1, 12, v28
	v_and_b32_e32 v44, 0x700, v2
	v_mul_u32_u24_e32 v2, 9, v1
	v_cmp_ne_u32_e64 s7, 0x100, v4
	v_or_b32_e32 v29, 0x100, v1
	v_or_b32_e32 v30, 0x200, v1
	v_lshlrev_b32_e32 v5, 3, v44
	v_lshl_add_u32 v47, v2, 2, 0x420
	v_mul_u32_u24_e32 v2, 9, v4
	v_or_b32_e32 v31, 0x300, v1
	v_and_b32_e32 v32, 3, v1
	v_add_co_u32 v50, s8, s46, v5
	s_delay_alu instid0(VALU_DEP_4) | instskip(SKIP_2) | instid1(VALU_DEP_1)
	v_lshlrev_b32_e32 v49, 2, v2
	v_add_co_ci_u32_e64 v51, null, s47, 0, s8
	v_add_co_u32 v2, s8, s40, v44
	v_add_co_ci_u32_e64 v4, null, s41, 0, s8
	v_add_co_u32 v53, s8, s38, v1
	s_delay_alu instid0(VALU_DEP_1) | instskip(SKIP_1) | instid1(VALU_DEP_1)
	v_add_co_ci_u32_e64 v54, null, s39, 0, s8
	v_add_co_u32 v55, s8, s44, v5
	v_add_co_ci_u32_e64 v56, null, s45, 0, s8
	v_add_co_u32 v57, s8, s38, v44
	s_delay_alu instid0(VALU_DEP_1) | instskip(SKIP_1) | instid1(VALU_DEP_1)
	v_add_co_ci_u32_e64 v58, null, s39, 0, s8
	v_add_co_u32 v59, s8, s36, v1
	v_add_co_ci_u32_e64 v60, null, s37, 0, s8
	v_add_co_u32 v61, s8, s42, v5
	s_delay_alu instid0(VALU_DEP_1)
	v_add_co_ci_u32_e64 v62, null, s43, 0, s8
	v_add_co_u32 v64, s8, s36, v44
	v_add_co_u32 v67, vcc_lo, v2, v63
	v_add_co_ci_u32_e64 v34, null, s41, 0, s2
	v_or_b32_e32 v35, 0x400, v1
	v_or_b32_e32 v36, 0x500, v1
	;; [unrolled: 1-line block ×4, first 2 shown]
	v_cmp_gt_u32_e64 s2, 0x100, v1
	v_or_b32_e32 v41, 0x4400, v38
	v_cmp_gt_u32_e64 s4, 8, v1
	v_add_nc_u32_e32 v42, 0x4400, v28
	v_cmp_lt_u32_e64 s5, 31, v1
	v_add_nc_u32_e32 v43, 0x43fc, v38
	v_bfe_u32 v0, v0, 10, 10
	v_mad_u32_u24 v46, v1, 20, v40
	v_cmp_eq_u32_e64 s6, 0, v1
	v_mul_u32_u24_e32 v52, 7, v1
	v_add_co_ci_u32_e64 v65, null, s37, 0, s8
	v_add_co_ci_u32_e32 v68, vcc_lo, 0, v4, vcc_lo
	s_add_u32 s26, s0, 0x50
	s_mov_b32 s25, 0
	s_addc_u32 s27, s1, 0
	s_mov_b32 s30, s49
	s_branch .LBB120_20
.LBB120_18:                             ;   in Loop: Header=BB120_20 Depth=1
	s_waitcnt lgkmcnt(0)
	s_barrier
.LBB120_19:                             ;   in Loop: Header=BB120_20 Depth=1
	s_add_i32 s30, s30, 8
	buffer_gl0_inv
	s_cmp_ge_u32 s30, s50
	s_cbranch_scc1 .LBB120_686
.LBB120_20:                             ; =>This Loop Header: Depth=1
                                        ;     Child Loop BB120_24 Depth 2
                                        ;     Child Loop BB120_74 Depth 2
                                        ;     Child Loop BB120_190 Depth 2
                                        ;     Child Loop BB120_240 Depth 2
                                        ;     Child Loop BB120_358 Depth 2
                                        ;     Child Loop BB120_408 Depth 2
                                        ;     Child Loop BB120_524 Depth 2
                                        ;     Child Loop BB120_574 Depth 2
	s_sub_i32 s0, s50, s30
	s_xor_b32 s33, s33, -1
	s_min_u32 s0, s0, 8
	ds_store_2addr_stride64_b32 v28, v3, v3 offset1:4
	s_lshl_b32 s0, -1, s0
	ds_store_2addr_stride64_b32 v28, v3, v3 offset0:8 offset1:12
	s_not_b32 s31, s0
	s_cmp_lg_u32 s30, s49
	s_mov_b32 s0, -1
	s_waitcnt lgkmcnt(0)
	s_waitcnt_vscnt null, 0x0
	s_cbranch_scc0 .LBB120_354
; %bb.21:                               ;   in Loop: Header=BB120_20 Depth=1
	s_and_b32 vcc_lo, exec_lo, s33
	s_cbranch_vccz .LBB120_187
; %bb.22:                               ;   in Loop: Header=BB120_20 Depth=1
	s_mov_b32 s0, s34
	s_mov_b32 s9, s28
	s_barrier
	buffer_gl0_inv
                                        ; implicit-def: $vgpr2
                                        ; implicit-def: $vgpr6
                                        ; implicit-def: $vgpr7
                                        ; implicit-def: $vgpr8
                                        ; implicit-def: $vgpr9
                                        ; implicit-def: $vgpr10
                                        ; implicit-def: $vgpr11
                                        ; implicit-def: $vgpr12
	s_branch .LBB120_24
.LBB120_23:                             ;   in Loop: Header=BB120_24 Depth=2
	s_or_b32 exec_lo, exec_lo, s8
	s_addk_i32 s0, 0xf800
	s_cmp_ge_u32 s1, s29
	s_mov_b32 s9, s1
	s_cbranch_scc1 .LBB120_62
.LBB120_24:                             ;   Parent Loop BB120_20 Depth=1
                                        ; =>  This Inner Loop Header: Depth=2
	s_add_i32 s1, s9, 0x800
	s_delay_alu instid0(SALU_CYCLE_1)
	s_cmp_gt_u32 s1, s29
	s_cbranch_scc1 .LBB120_27
; %bb.25:                               ;   in Loop: Header=BB120_24 Depth=2
	v_add_co_u32 v4, vcc_lo, v33, s9
	v_add_co_ci_u32_e32 v5, vcc_lo, 0, v34, vcc_lo
	s_mov_b32 s8, -1
	s_movk_i32 s12, 0x800
	s_clause 0x6
	global_load_u8 v20, v[4:5], off offset:1536
	global_load_u8 v19, v[4:5], off offset:1280
	;; [unrolled: 1-line block ×6, first 2 shown]
	global_load_u8 v14, v[4:5], off
	v_add_co_u32 v4, vcc_lo, 0x700, v4
	v_add_co_ci_u32_e32 v5, vcc_lo, 0, v5, vcc_lo
	s_cbranch_execz .LBB120_28
; %bb.26:                               ;   in Loop: Header=BB120_24 Depth=2
                                        ; implicit-def: $vgpr2
                                        ; implicit-def: $vgpr6
                                        ; implicit-def: $vgpr7
                                        ; implicit-def: $vgpr8
                                        ; implicit-def: $vgpr9
                                        ; implicit-def: $vgpr10
                                        ; implicit-def: $vgpr11
                                        ; implicit-def: $vgpr12
	v_mov_b32_e32 v13, s0
	s_and_saveexec_b32 s9, s8
	s_cbranch_execnz .LBB120_39
	s_branch .LBB120_40
.LBB120_27:                             ;   in Loop: Header=BB120_24 Depth=2
	s_mov_b32 s8, 0
                                        ; implicit-def: $sgpr12
                                        ; implicit-def: $vgpr14
                                        ; implicit-def: $vgpr15
                                        ; implicit-def: $vgpr16
                                        ; implicit-def: $vgpr17
                                        ; implicit-def: $vgpr18
                                        ; implicit-def: $vgpr19
                                        ; implicit-def: $vgpr20
                                        ; implicit-def: $vgpr4_vgpr5
.LBB120_28:                             ;   in Loop: Header=BB120_24 Depth=2
	s_add_u32 s10, s40, s9
	s_addc_u32 s11, s41, 0
	s_mov_b32 s12, exec_lo
	v_cmpx_gt_u32_e64 s0, v1
	s_cbranch_execz .LBB120_56
; %bb.29:                               ;   in Loop: Header=BB120_24 Depth=2
	v_add_co_u32 v4, s13, s10, v1
	s_delay_alu instid0(VALU_DEP_1) | instskip(SKIP_2) | instid1(SALU_CYCLE_1)
	v_add_co_ci_u32_e64 v5, null, s11, 0, s13
	global_load_u8 v2, v[4:5], off
	s_or_b32 exec_lo, exec_lo, s12
	s_mov_b32 s12, exec_lo
	v_cmpx_gt_u32_e64 s0, v29
	s_cbranch_execnz .LBB120_57
.LBB120_30:                             ;   in Loop: Header=BB120_24 Depth=2
	s_or_b32 exec_lo, exec_lo, s12
	s_delay_alu instid0(SALU_CYCLE_1)
	s_mov_b32 s12, exec_lo
	v_cmpx_gt_u32_e64 s0, v30
	s_cbranch_execz .LBB120_58
.LBB120_31:                             ;   in Loop: Header=BB120_24 Depth=2
	v_add_co_u32 v4, s13, s10, v1
	s_delay_alu instid0(VALU_DEP_1) | instskip(SKIP_2) | instid1(SALU_CYCLE_1)
	v_add_co_ci_u32_e64 v5, null, s11, 0, s13
	global_load_u8 v7, v[4:5], off offset:512
	s_or_b32 exec_lo, exec_lo, s12
	s_mov_b32 s12, exec_lo
	v_cmpx_gt_u32_e64 s0, v31
	s_cbranch_execnz .LBB120_59
.LBB120_32:                             ;   in Loop: Header=BB120_24 Depth=2
	s_or_b32 exec_lo, exec_lo, s12
	s_delay_alu instid0(SALU_CYCLE_1)
	s_mov_b32 s12, exec_lo
	v_cmpx_gt_u32_e64 s0, v35
	s_cbranch_execz .LBB120_60
.LBB120_33:                             ;   in Loop: Header=BB120_24 Depth=2
	v_add_co_u32 v4, s13, s10, v1
	s_delay_alu instid0(VALU_DEP_1) | instskip(SKIP_2) | instid1(SALU_CYCLE_1)
	v_add_co_ci_u32_e64 v5, null, s11, 0, s13
	global_load_u8 v9, v[4:5], off offset:1024
	s_or_b32 exec_lo, exec_lo, s12
	s_mov_b32 s12, exec_lo
	v_cmpx_gt_u32_e64 s0, v36
	s_cbranch_execnz .LBB120_61
.LBB120_34:                             ;   in Loop: Header=BB120_24 Depth=2
	s_or_b32 exec_lo, exec_lo, s12
	s_delay_alu instid0(SALU_CYCLE_1)
	s_mov_b32 s12, exec_lo
	v_cmpx_gt_u32_e64 s0, v37
	s_cbranch_execz .LBB120_36
.LBB120_35:                             ;   in Loop: Header=BB120_24 Depth=2
	v_add_co_u32 v4, s13, s10, v1
	s_delay_alu instid0(VALU_DEP_1)
	v_add_co_ci_u32_e64 v5, null, s11, 0, s13
	global_load_u8 v11, v[4:5], off offset:1536
.LBB120_36:                             ;   in Loop: Header=BB120_24 Depth=2
	s_or_b32 exec_lo, exec_lo, s12
	s_delay_alu instid0(SALU_CYCLE_1)
	s_mov_b32 s13, exec_lo
                                        ; implicit-def: $sgpr12
                                        ; implicit-def: $vgpr4_vgpr5
	v_cmpx_gt_u32_e64 s0, v39
; %bb.37:                               ;   in Loop: Header=BB120_24 Depth=2
	v_add_co_u32 v4, s10, s10, v1
	s_delay_alu instid0(VALU_DEP_1) | instskip(SKIP_1) | instid1(VALU_DEP_2)
	v_add_co_ci_u32_e64 v5, null, s11, 0, s10
	s_sub_i32 s12, s29, s9
	v_add_co_u32 v4, vcc_lo, 0x700, v4
	s_delay_alu instid0(VALU_DEP_2)
	v_add_co_ci_u32_e32 v5, vcc_lo, 0, v5, vcc_lo
	s_or_b32 s8, s8, exec_lo
                                        ; implicit-def: $vgpr12
; %bb.38:                               ;   in Loop: Header=BB120_24 Depth=2
	s_or_b32 exec_lo, exec_lo, s13
	s_waitcnt vmcnt(0)
	v_dual_mov_b32 v14, v2 :: v_dual_mov_b32 v17, v8
	v_dual_mov_b32 v15, v6 :: v_dual_mov_b32 v16, v7
	;; [unrolled: 1-line block ×4, first 2 shown]
	s_and_saveexec_b32 s9, s8
	s_cbranch_execz .LBB120_40
.LBB120_39:                             ;   in Loop: Header=BB120_24 Depth=2
	global_load_u8 v12, v[4:5], off
	s_waitcnt vmcnt(1)
	v_dual_mov_b32 v13, s12 :: v_dual_mov_b32 v2, v14
	v_dual_mov_b32 v6, v15 :: v_dual_mov_b32 v7, v16
	;; [unrolled: 1-line block ×4, first 2 shown]
.LBB120_40:                             ;   in Loop: Header=BB120_24 Depth=2
	s_or_b32 exec_lo, exec_lo, s9
	s_delay_alu instid0(SALU_CYCLE_1)
	s_mov_b32 s8, exec_lo
	v_cmpx_lt_u32_e64 v1, v13
	s_cbranch_execz .LBB120_48
; %bb.41:                               ;   in Loop: Header=BB120_24 Depth=2
	v_xor_b32_e32 v4, -1, v2
	v_lshlrev_b32_e32 v5, 2, v32
	s_delay_alu instid0(VALU_DEP_2) | instskip(NEXT) | instid1(VALU_DEP_1)
	v_and_b32_e32 v4, 0xff, v4
	v_lshrrev_b32_e32 v4, s30, v4
	s_delay_alu instid0(VALU_DEP_1) | instskip(NEXT) | instid1(VALU_DEP_1)
	v_and_b32_e32 v4, s31, v4
	v_lshl_or_b32 v4, v4, 4, v5
	ds_add_u32 v4, v66
	s_or_b32 exec_lo, exec_lo, s8
	s_delay_alu instid0(SALU_CYCLE_1)
	s_mov_b32 s8, exec_lo
	v_cmpx_lt_u32_e64 v29, v13
	s_cbranch_execnz .LBB120_49
.LBB120_42:                             ;   in Loop: Header=BB120_24 Depth=2
	s_or_b32 exec_lo, exec_lo, s8
	s_delay_alu instid0(SALU_CYCLE_1)
	s_mov_b32 s8, exec_lo
	v_cmpx_lt_u32_e64 v30, v13
	s_cbranch_execz .LBB120_50
.LBB120_43:                             ;   in Loop: Header=BB120_24 Depth=2
	v_xor_b32_e32 v4, -1, v7
	v_lshlrev_b32_e32 v5, 2, v32
	s_delay_alu instid0(VALU_DEP_2) | instskip(NEXT) | instid1(VALU_DEP_1)
	v_and_b32_e32 v4, 0xff, v4
	v_lshrrev_b32_e32 v4, s30, v4
	s_delay_alu instid0(VALU_DEP_1) | instskip(NEXT) | instid1(VALU_DEP_1)
	v_and_b32_e32 v4, s31, v4
	v_lshl_or_b32 v4, v4, 4, v5
	ds_add_u32 v4, v66
	s_or_b32 exec_lo, exec_lo, s8
	s_delay_alu instid0(SALU_CYCLE_1)
	s_mov_b32 s8, exec_lo
	v_cmpx_lt_u32_e64 v31, v13
	s_cbranch_execnz .LBB120_51
.LBB120_44:                             ;   in Loop: Header=BB120_24 Depth=2
	s_or_b32 exec_lo, exec_lo, s8
	s_delay_alu instid0(SALU_CYCLE_1)
	s_mov_b32 s8, exec_lo
	v_cmpx_lt_u32_e64 v35, v13
	s_cbranch_execz .LBB120_52
.LBB120_45:                             ;   in Loop: Header=BB120_24 Depth=2
	v_xor_b32_e32 v4, -1, v9
	v_lshlrev_b32_e32 v5, 2, v32
	s_delay_alu instid0(VALU_DEP_2) | instskip(NEXT) | instid1(VALU_DEP_1)
	v_and_b32_e32 v4, 0xff, v4
	v_lshrrev_b32_e32 v4, s30, v4
	s_delay_alu instid0(VALU_DEP_1) | instskip(NEXT) | instid1(VALU_DEP_1)
	v_and_b32_e32 v4, s31, v4
	v_lshl_or_b32 v4, v4, 4, v5
	ds_add_u32 v4, v66
	s_or_b32 exec_lo, exec_lo, s8
	s_delay_alu instid0(SALU_CYCLE_1)
	s_mov_b32 s8, exec_lo
	v_cmpx_lt_u32_e64 v36, v13
	s_cbranch_execnz .LBB120_53
.LBB120_46:                             ;   in Loop: Header=BB120_24 Depth=2
	s_or_b32 exec_lo, exec_lo, s8
	s_delay_alu instid0(SALU_CYCLE_1)
	s_mov_b32 s8, exec_lo
	v_cmpx_lt_u32_e64 v37, v13
	s_cbranch_execz .LBB120_54
.LBB120_47:                             ;   in Loop: Header=BB120_24 Depth=2
	v_xor_b32_e32 v4, -1, v11
	v_lshlrev_b32_e32 v5, 2, v32
	s_delay_alu instid0(VALU_DEP_2) | instskip(NEXT) | instid1(VALU_DEP_1)
	v_and_b32_e32 v4, 0xff, v4
	v_lshrrev_b32_e32 v4, s30, v4
	s_delay_alu instid0(VALU_DEP_1) | instskip(NEXT) | instid1(VALU_DEP_1)
	v_and_b32_e32 v4, s31, v4
	v_lshl_or_b32 v4, v4, 4, v5
	ds_add_u32 v4, v66
	s_or_b32 exec_lo, exec_lo, s8
	s_delay_alu instid0(SALU_CYCLE_1)
	s_mov_b32 s8, exec_lo
	v_cmpx_lt_u32_e64 v39, v13
	s_cbranch_execz .LBB120_23
	s_branch .LBB120_55
.LBB120_48:                             ;   in Loop: Header=BB120_24 Depth=2
	s_or_b32 exec_lo, exec_lo, s8
	s_delay_alu instid0(SALU_CYCLE_1)
	s_mov_b32 s8, exec_lo
	v_cmpx_lt_u32_e64 v29, v13
	s_cbranch_execz .LBB120_42
.LBB120_49:                             ;   in Loop: Header=BB120_24 Depth=2
	v_xor_b32_e32 v4, -1, v6
	v_lshlrev_b32_e32 v5, 2, v32
	s_delay_alu instid0(VALU_DEP_2) | instskip(NEXT) | instid1(VALU_DEP_1)
	v_and_b32_e32 v4, 0xff, v4
	v_lshrrev_b32_e32 v4, s30, v4
	s_delay_alu instid0(VALU_DEP_1) | instskip(NEXT) | instid1(VALU_DEP_1)
	v_and_b32_e32 v4, s31, v4
	v_lshl_or_b32 v4, v4, 4, v5
	ds_add_u32 v4, v66
	s_or_b32 exec_lo, exec_lo, s8
	s_delay_alu instid0(SALU_CYCLE_1)
	s_mov_b32 s8, exec_lo
	v_cmpx_lt_u32_e64 v30, v13
	s_cbranch_execnz .LBB120_43
.LBB120_50:                             ;   in Loop: Header=BB120_24 Depth=2
	s_or_b32 exec_lo, exec_lo, s8
	s_delay_alu instid0(SALU_CYCLE_1)
	s_mov_b32 s8, exec_lo
	v_cmpx_lt_u32_e64 v31, v13
	s_cbranch_execz .LBB120_44
.LBB120_51:                             ;   in Loop: Header=BB120_24 Depth=2
	v_xor_b32_e32 v4, -1, v8
	v_lshlrev_b32_e32 v5, 2, v32
	s_delay_alu instid0(VALU_DEP_2) | instskip(NEXT) | instid1(VALU_DEP_1)
	v_and_b32_e32 v4, 0xff, v4
	v_lshrrev_b32_e32 v4, s30, v4
	s_delay_alu instid0(VALU_DEP_1) | instskip(NEXT) | instid1(VALU_DEP_1)
	v_and_b32_e32 v4, s31, v4
	v_lshl_or_b32 v4, v4, 4, v5
	ds_add_u32 v4, v66
	s_or_b32 exec_lo, exec_lo, s8
	s_delay_alu instid0(SALU_CYCLE_1)
	s_mov_b32 s8, exec_lo
	v_cmpx_lt_u32_e64 v35, v13
	s_cbranch_execnz .LBB120_45
.LBB120_52:                             ;   in Loop: Header=BB120_24 Depth=2
	s_or_b32 exec_lo, exec_lo, s8
	s_delay_alu instid0(SALU_CYCLE_1)
	s_mov_b32 s8, exec_lo
	v_cmpx_lt_u32_e64 v36, v13
	s_cbranch_execz .LBB120_46
.LBB120_53:                             ;   in Loop: Header=BB120_24 Depth=2
	v_xor_b32_e32 v4, -1, v10
	v_lshlrev_b32_e32 v5, 2, v32
	s_delay_alu instid0(VALU_DEP_2) | instskip(NEXT) | instid1(VALU_DEP_1)
	v_and_b32_e32 v4, 0xff, v4
	v_lshrrev_b32_e32 v4, s30, v4
	s_delay_alu instid0(VALU_DEP_1) | instskip(NEXT) | instid1(VALU_DEP_1)
	v_and_b32_e32 v4, s31, v4
	v_lshl_or_b32 v4, v4, 4, v5
	ds_add_u32 v4, v66
	s_or_b32 exec_lo, exec_lo, s8
	s_delay_alu instid0(SALU_CYCLE_1)
	s_mov_b32 s8, exec_lo
	v_cmpx_lt_u32_e64 v37, v13
	s_cbranch_execnz .LBB120_47
.LBB120_54:                             ;   in Loop: Header=BB120_24 Depth=2
	s_or_b32 exec_lo, exec_lo, s8
	s_delay_alu instid0(SALU_CYCLE_1)
	s_mov_b32 s8, exec_lo
	v_cmpx_lt_u32_e64 v39, v13
	s_cbranch_execz .LBB120_23
.LBB120_55:                             ;   in Loop: Header=BB120_24 Depth=2
	s_waitcnt vmcnt(0)
	v_xor_b32_e32 v4, -1, v12
	v_lshlrev_b32_e32 v5, 2, v32
	s_delay_alu instid0(VALU_DEP_2) | instskip(NEXT) | instid1(VALU_DEP_1)
	v_and_b32_e32 v4, 0xff, v4
	v_lshrrev_b32_e32 v4, s30, v4
	s_delay_alu instid0(VALU_DEP_1) | instskip(NEXT) | instid1(VALU_DEP_1)
	v_and_b32_e32 v4, s31, v4
	v_lshl_or_b32 v4, v4, 4, v5
	ds_add_u32 v4, v66
	s_branch .LBB120_23
.LBB120_56:                             ;   in Loop: Header=BB120_24 Depth=2
	s_or_b32 exec_lo, exec_lo, s12
	s_delay_alu instid0(SALU_CYCLE_1)
	s_mov_b32 s12, exec_lo
	v_cmpx_gt_u32_e64 s0, v29
	s_cbranch_execz .LBB120_30
.LBB120_57:                             ;   in Loop: Header=BB120_24 Depth=2
	v_add_co_u32 v4, s13, s10, v1
	s_delay_alu instid0(VALU_DEP_1) | instskip(SKIP_2) | instid1(SALU_CYCLE_1)
	v_add_co_ci_u32_e64 v5, null, s11, 0, s13
	global_load_u8 v6, v[4:5], off offset:256
	s_or_b32 exec_lo, exec_lo, s12
	s_mov_b32 s12, exec_lo
	v_cmpx_gt_u32_e64 s0, v30
	s_cbranch_execnz .LBB120_31
.LBB120_58:                             ;   in Loop: Header=BB120_24 Depth=2
	s_or_b32 exec_lo, exec_lo, s12
	s_delay_alu instid0(SALU_CYCLE_1)
	s_mov_b32 s12, exec_lo
	v_cmpx_gt_u32_e64 s0, v31
	s_cbranch_execz .LBB120_32
.LBB120_59:                             ;   in Loop: Header=BB120_24 Depth=2
	v_add_co_u32 v4, s13, s10, v1
	s_delay_alu instid0(VALU_DEP_1) | instskip(SKIP_2) | instid1(SALU_CYCLE_1)
	v_add_co_ci_u32_e64 v5, null, s11, 0, s13
	global_load_u8 v8, v[4:5], off offset:768
	s_or_b32 exec_lo, exec_lo, s12
	s_mov_b32 s12, exec_lo
	v_cmpx_gt_u32_e64 s0, v35
	s_cbranch_execnz .LBB120_33
.LBB120_60:                             ;   in Loop: Header=BB120_24 Depth=2
	s_or_b32 exec_lo, exec_lo, s12
	s_delay_alu instid0(SALU_CYCLE_1)
	s_mov_b32 s12, exec_lo
	v_cmpx_gt_u32_e64 s0, v36
	s_cbranch_execz .LBB120_34
.LBB120_61:                             ;   in Loop: Header=BB120_24 Depth=2
	v_add_co_u32 v4, s13, s10, v1
	s_delay_alu instid0(VALU_DEP_1) | instskip(SKIP_2) | instid1(SALU_CYCLE_1)
	v_add_co_ci_u32_e64 v5, null, s11, 0, s13
	global_load_u8 v10, v[4:5], off offset:1280
	s_or_b32 exec_lo, exec_lo, s12
	s_mov_b32 s12, exec_lo
	v_cmpx_gt_u32_e64 s0, v37
	s_cbranch_execz .LBB120_36
	s_branch .LBB120_35
.LBB120_62:                             ;   in Loop: Header=BB120_20 Depth=1
	v_mov_b32_e32 v2, 0
	s_waitcnt vmcnt(0) lgkmcnt(0)
	s_barrier
	buffer_gl0_inv
	s_and_saveexec_b32 s0, s2
	s_cbranch_execz .LBB120_64
; %bb.63:                               ;   in Loop: Header=BB120_20 Depth=1
	ds_load_2addr_b64 v[4:7], v40 offset1:1
	s_waitcnt lgkmcnt(0)
	v_add_nc_u32_e32 v2, v5, v4
	s_delay_alu instid0(VALU_DEP_1)
	v_add3_u32 v2, v2, v6, v7
.LBB120_64:                             ;   in Loop: Header=BB120_20 Depth=1
	s_or_b32 exec_lo, exec_lo, s0
	v_and_b32_e32 v4, 15, v63
	s_delay_alu instid0(VALU_DEP_2) | instskip(SKIP_1) | instid1(VALU_DEP_3)
	v_mov_b32_dpp v5, v2 row_shr:1 row_mask:0xf bank_mask:0xf
	v_and_b32_e32 v6, 16, v63
	v_cmp_eq_u32_e64 s0, 0, v4
	v_cmp_lt_u32_e64 s1, 1, v4
	v_cmp_lt_u32_e64 s8, 3, v4
	;; [unrolled: 1-line block ×3, first 2 shown]
	v_cmp_eq_u32_e64 s10, 0, v6
	v_cndmask_b32_e64 v5, v5, 0, s0
	s_delay_alu instid0(VALU_DEP_1) | instskip(NEXT) | instid1(VALU_DEP_1)
	v_add_nc_u32_e32 v2, v5, v2
	v_mov_b32_dpp v5, v2 row_shr:2 row_mask:0xf bank_mask:0xf
	s_delay_alu instid0(VALU_DEP_1) | instskip(NEXT) | instid1(VALU_DEP_1)
	v_cndmask_b32_e64 v5, 0, v5, s1
	v_add_nc_u32_e32 v2, v2, v5
	s_delay_alu instid0(VALU_DEP_1) | instskip(NEXT) | instid1(VALU_DEP_1)
	v_mov_b32_dpp v5, v2 row_shr:4 row_mask:0xf bank_mask:0xf
	v_cndmask_b32_e64 v5, 0, v5, s8
	s_delay_alu instid0(VALU_DEP_1) | instskip(NEXT) | instid1(VALU_DEP_1)
	v_add_nc_u32_e32 v2, v2, v5
	v_mov_b32_dpp v5, v2 row_shr:8 row_mask:0xf bank_mask:0xf
	s_delay_alu instid0(VALU_DEP_1) | instskip(SKIP_1) | instid1(VALU_DEP_2)
	v_cndmask_b32_e64 v4, 0, v5, s9
	v_bfe_i32 v5, v63, 4, 1
	v_add_nc_u32_e32 v2, v2, v4
	ds_swizzle_b32 v4, v2 offset:swizzle(BROADCAST,32,15)
	s_waitcnt lgkmcnt(0)
	v_and_b32_e32 v4, v5, v4
	s_delay_alu instid0(VALU_DEP_1)
	v_add_nc_u32_e32 v4, v2, v4
	s_and_saveexec_b32 s11, s3
	s_cbranch_execz .LBB120_66
; %bb.65:                               ;   in Loop: Header=BB120_20 Depth=1
	ds_store_b32 v41, v4
.LBB120_66:                             ;   in Loop: Header=BB120_20 Depth=1
	s_or_b32 exec_lo, exec_lo, s11
	v_and_b32_e32 v2, 7, v63
	s_waitcnt lgkmcnt(0)
	s_barrier
	buffer_gl0_inv
	s_and_saveexec_b32 s11, s4
	s_cbranch_execz .LBB120_68
; %bb.67:                               ;   in Loop: Header=BB120_20 Depth=1
	ds_load_b32 v5, v42
	v_cmp_ne_u32_e32 vcc_lo, 0, v2
	s_waitcnt lgkmcnt(0)
	v_mov_b32_dpp v6, v5 row_shr:1 row_mask:0xf bank_mask:0xf
	s_delay_alu instid0(VALU_DEP_1) | instskip(SKIP_1) | instid1(VALU_DEP_2)
	v_cndmask_b32_e32 v6, 0, v6, vcc_lo
	v_cmp_lt_u32_e32 vcc_lo, 1, v2
	v_add_nc_u32_e32 v5, v6, v5
	s_delay_alu instid0(VALU_DEP_1) | instskip(NEXT) | instid1(VALU_DEP_1)
	v_mov_b32_dpp v6, v5 row_shr:2 row_mask:0xf bank_mask:0xf
	v_cndmask_b32_e32 v6, 0, v6, vcc_lo
	v_cmp_lt_u32_e32 vcc_lo, 3, v2
	s_delay_alu instid0(VALU_DEP_2) | instskip(NEXT) | instid1(VALU_DEP_1)
	v_add_nc_u32_e32 v5, v5, v6
	v_mov_b32_dpp v6, v5 row_shr:4 row_mask:0xf bank_mask:0xf
	s_delay_alu instid0(VALU_DEP_1) | instskip(NEXT) | instid1(VALU_DEP_1)
	v_cndmask_b32_e32 v6, 0, v6, vcc_lo
	v_add_nc_u32_e32 v5, v5, v6
	ds_store_b32 v42, v5
.LBB120_68:                             ;   in Loop: Header=BB120_20 Depth=1
	s_or_b32 exec_lo, exec_lo, s11
	v_mov_b32_e32 v5, 0
	s_waitcnt lgkmcnt(0)
	s_barrier
	buffer_gl0_inv
	s_and_saveexec_b32 s11, s5
	s_cbranch_execz .LBB120_70
; %bb.69:                               ;   in Loop: Header=BB120_20 Depth=1
	ds_load_b32 v5, v43
.LBB120_70:                             ;   in Loop: Header=BB120_20 Depth=1
	s_or_b32 exec_lo, exec_lo, s11
	v_add_nc_u32_e32 v6, -1, v63
	s_waitcnt lgkmcnt(0)
	v_add_nc_u32_e32 v4, v5, v4
	v_cmp_eq_u32_e64 s11, 0, v63
	s_barrier
	v_cmp_gt_i32_e32 vcc_lo, 0, v6
	buffer_gl0_inv
	v_cndmask_b32_e32 v6, v6, v63, vcc_lo
	s_delay_alu instid0(VALU_DEP_1)
	v_lshlrev_b32_e32 v69, 2, v6
	ds_bpermute_b32 v4, v69, v4
	s_and_saveexec_b32 s12, s2
	s_cbranch_execz .LBB120_72
; %bb.71:                               ;   in Loop: Header=BB120_20 Depth=1
	s_waitcnt lgkmcnt(0)
	v_cndmask_b32_e64 v4, v4, v5, s11
	s_delay_alu instid0(VALU_DEP_1)
	v_add_nc_u32_e32 v4, s28, v4
	ds_store_b32 v28, v4
.LBB120_72:                             ;   in Loop: Header=BB120_20 Depth=1
	s_or_b32 exec_lo, exec_lo, s12
	s_clause 0x1
	s_load_b32 s12, s[26:27], 0x4
	s_load_b32 s17, s[26:27], 0xc
	v_lshlrev_b32_e32 v5, 3, v63
	v_cmp_lt_u32_e64 s16, 3, v2
	v_or_b32_e32 v70, v63, v44
	s_mov_b32 s35, s34
	s_mov_b32 s24, s28
	v_add_co_u32 v71, vcc_lo, v50, v5
	v_add_co_ci_u32_e32 v72, vcc_lo, 0, v51, vcc_lo
	v_add_co_u32 v81, vcc_lo, 0xe0, v67
	v_or_b32_e32 v73, 32, v70
	v_or_b32_e32 v74, 64, v70
	;; [unrolled: 1-line block ×7, first 2 shown]
	s_waitcnt lgkmcnt(0)
	s_cmp_lt_u32 s15, s12
	v_add_co_ci_u32_e32 v82, vcc_lo, 0, v68, vcc_lo
	s_cselect_b32 s12, 14, 20
                                        ; implicit-def: $vgpr6_vgpr7
                                        ; implicit-def: $vgpr8_vgpr9
                                        ; implicit-def: $vgpr10_vgpr11
                                        ; implicit-def: $vgpr12_vgpr13
                                        ; implicit-def: $vgpr14_vgpr15
                                        ; implicit-def: $vgpr16_vgpr17
                                        ; implicit-def: $vgpr18_vgpr19
                                        ; implicit-def: $vgpr83
                                        ; implicit-def: $vgpr84
                                        ; implicit-def: $vgpr85
                                        ; implicit-def: $vgpr86
                                        ; implicit-def: $vgpr87
                                        ; implicit-def: $vgpr88
                                        ; implicit-def: $vgpr89
                                        ; implicit-def: $vgpr90
	s_delay_alu instid0(SALU_CYCLE_1)
	s_add_u32 s12, s26, s12
	s_addc_u32 s13, s27, 0
	s_and_b32 s17, s17, 0xffff
	global_load_u16 v4, v3, s[12:13]
	v_cmp_eq_u32_e64 s12, 0, v2
	v_cmp_lt_u32_e64 s13, 1, v2
	s_waitcnt vmcnt(0)
	v_mad_u32_u24 v2, v45, v4, v0
	s_delay_alu instid0(VALU_DEP_1) | instskip(NEXT) | instid1(VALU_DEP_1)
	v_mad_u64_u32 v[4:5], null, v2, s17, v[1:2]
	v_lshrrev_b32_e32 v80, 5, v4
                                        ; implicit-def: $vgpr4_vgpr5
	s_branch .LBB120_74
.LBB120_73:                             ;   in Loop: Header=BB120_74 Depth=2
	s_or_b32 exec_lo, exec_lo, s17
	s_addk_i32 s35, 0xf800
	s_cmp_lt_u32 s42, s29
	s_mov_b32 s24, s42
	s_cbranch_scc0 .LBB120_186
.LBB120_74:                             ;   Parent Loop BB120_20 Depth=1
                                        ; =>  This Inner Loop Header: Depth=2
	s_add_i32 s42, s24, 0x800
	s_delay_alu instid0(SALU_CYCLE_1)
	s_cmp_gt_u32 s42, s29
	s_cbranch_scc1 .LBB120_76
; %bb.75:                               ;   in Loop: Header=BB120_74 Depth=2
	v_add_co_u32 v20, vcc_lo, v67, s24
	v_add_co_ci_u32_e32 v21, vcc_lo, 0, v68, vcc_lo
	s_mov_b32 s19, 0
	s_mov_b32 s18, s24
	s_mov_b32 s20, -1
	s_clause 0x6
	global_load_u8 v2, v[20:21], off offset:32
	global_load_u8 v22, v[20:21], off offset:96
	;; [unrolled: 1-line block ×3, first 2 shown]
	global_load_u8 v24, v[20:21], off
	global_load_u8 v25, v[20:21], off offset:64
	global_load_u8 v26, v[20:21], off offset:128
	;; [unrolled: 1-line block ×3, first 2 shown]
	s_movk_i32 s17, 0x800
	s_waitcnt vmcnt(6)
	v_lshlrev_b16 v2, 8, v2
	s_waitcnt vmcnt(5)
	v_lshlrev_b16 v20, 8, v22
	;; [unrolled: 2-line block ×3, first 2 shown]
	s_waitcnt vmcnt(3)
	v_or_b32_e32 v2, v24, v2
	s_waitcnt vmcnt(2)
	v_or_b32_e32 v20, v25, v20
	;; [unrolled: 2-line block ×3, first 2 shown]
	v_and_b32_e32 v2, 0xffff, v2
	s_delay_alu instid0(VALU_DEP_3) | instskip(NEXT) | instid1(VALU_DEP_3)
	v_lshlrev_b32_e32 v20, 16, v20
	v_and_b32_e32 v22, 0xffff, v22
	s_delay_alu instid0(VALU_DEP_2) | instskip(SKIP_1) | instid1(VALU_DEP_2)
	v_or_b32_e32 v20, v2, v20
	s_waitcnt vmcnt(0)
	v_lshl_or_b32 v21, v21, 16, v22
	s_cbranch_execz .LBB120_77
	s_branch .LBB120_86
.LBB120_76:                             ;   in Loop: Header=BB120_74 Depth=2
	s_mov_b32 s19, -1
	s_mov_b32 s20, 0
                                        ; implicit-def: $sgpr17
                                        ; implicit-def: $vgpr20_vgpr21
.LBB120_77:                             ;   in Loop: Header=BB120_74 Depth=2
	v_add_co_u32 v22, vcc_lo, v67, s24
	s_mov_b32 s18, s25
	s_mov_b32 s19, s25
	v_add_co_ci_u32_e32 v23, vcc_lo, 0, v68, vcc_lo
	v_dual_mov_b32 v21, s19 :: v_dual_mov_b32 v20, s18
	s_mov_b32 s17, exec_lo
	v_cmpx_gt_u32_e64 s35, v70
	s_cbranch_execz .LBB120_180
; %bb.78:                               ;   in Loop: Header=BB120_74 Depth=2
	global_load_u8 v2, v[22:23], off
	s_waitcnt vmcnt(0)
	v_dual_mov_b32 v21, s25 :: v_dual_and_b32 v20, 0xffff, v2
	s_or_b32 exec_lo, exec_lo, s17
	s_delay_alu instid0(SALU_CYCLE_1)
	s_mov_b32 s17, exec_lo
	v_cmpx_gt_u32_e64 s35, v73
	s_cbranch_execnz .LBB120_181
.LBB120_79:                             ;   in Loop: Header=BB120_74 Depth=2
	s_or_b32 exec_lo, exec_lo, s17
	s_delay_alu instid0(SALU_CYCLE_1)
	s_mov_b32 s17, exec_lo
	v_cmpx_gt_u32_e64 s35, v74
	s_cbranch_execz .LBB120_182
.LBB120_80:                             ;   in Loop: Header=BB120_74 Depth=2
	global_load_u8 v2, v[22:23], off offset:64
	v_lshrrev_b32_e32 v24, 16, v20
	s_delay_alu instid0(VALU_DEP_1) | instskip(SKIP_1) | instid1(VALU_DEP_1)
	v_and_b32_e32 v24, 0xffffff00, v24
	s_waitcnt vmcnt(0)
	v_or_b32_e32 v2, v2, v24
	s_delay_alu instid0(VALU_DEP_1) | instskip(NEXT) | instid1(VALU_DEP_1)
	v_lshlrev_b32_e32 v2, 16, v2
	v_and_or_b32 v20, 0xffff, v20, v2
	s_or_b32 exec_lo, exec_lo, s17
	s_delay_alu instid0(SALU_CYCLE_1)
	s_mov_b32 s17, exec_lo
	v_cmpx_gt_u32_e64 s35, v75
	s_cbranch_execnz .LBB120_183
.LBB120_81:                             ;   in Loop: Header=BB120_74 Depth=2
	s_or_b32 exec_lo, exec_lo, s17
	s_delay_alu instid0(SALU_CYCLE_1)
	s_mov_b32 s17, exec_lo
	v_cmpx_gt_u32_e64 s35, v76
	s_cbranch_execz .LBB120_184
.LBB120_82:                             ;   in Loop: Header=BB120_74 Depth=2
	global_load_u8 v2, v[22:23], off offset:128
	s_waitcnt vmcnt(0)
	v_perm_b32 v21, v2, v21, 0x3020104
	s_or_b32 exec_lo, exec_lo, s17
	s_delay_alu instid0(SALU_CYCLE_1)
	s_mov_b32 s17, exec_lo
	v_cmpx_gt_u32_e64 s35, v77
	s_cbranch_execnz .LBB120_185
.LBB120_83:                             ;   in Loop: Header=BB120_74 Depth=2
	s_or_b32 exec_lo, exec_lo, s17
	s_delay_alu instid0(SALU_CYCLE_1)
	s_mov_b32 s17, exec_lo
	v_cmpx_gt_u32_e64 s35, v78
	s_cbranch_execz .LBB120_85
.LBB120_84:                             ;   in Loop: Header=BB120_74 Depth=2
	global_load_u8 v2, v[22:23], off offset:192
	s_waitcnt vmcnt(0)
	v_perm_b32 v21, v21, v2, 0x7000504
.LBB120_85:                             ;   in Loop: Header=BB120_74 Depth=2
	s_or_b32 exec_lo, exec_lo, s17
	v_cmp_gt_u32_e64 s20, s35, v79
	s_sub_i32 s17, s29, s24
	s_mov_b64 s[18:19], s[24:25]
.LBB120_86:                             ;   in Loop: Header=BB120_74 Depth=2
	v_mov_b32_e32 v2, s35
	s_delay_alu instid0(VALU_DEP_2)
	s_and_saveexec_b32 s21, s20
	s_cbranch_execz .LBB120_88
; %bb.87:                               ;   in Loop: Header=BB120_74 Depth=2
	v_add_co_u32 v22, vcc_lo, v81, s18
	v_add_co_ci_u32_e32 v23, vcc_lo, s19, v82, vcc_lo
	global_load_u8 v2, v[22:23], off
	s_waitcnt vmcnt(0)
	v_perm_b32 v21, v21, v2, 0x60504
	v_mov_b32_e32 v2, s17
.LBB120_88:                             ;   in Loop: Header=BB120_74 Depth=2
	s_or_b32 exec_lo, exec_lo, s21
	v_xor_b32_e32 v91, -1, v20
	ds_store_b32 v46, v3 offset:1056
	ds_store_2addr_b32 v47, v3, v3 offset0:1 offset1:2
	ds_store_2addr_b32 v47, v3, v3 offset0:3 offset1:4
	;; [unrolled: 1-line block ×4, first 2 shown]
	s_waitcnt lgkmcnt(0)
	s_barrier
	v_and_b32_e32 v22, 0xff, v91
	buffer_gl0_inv
	; wave barrier
	v_lshrrev_b32_e32 v22, s30, v22
	s_delay_alu instid0(VALU_DEP_1) | instskip(NEXT) | instid1(VALU_DEP_1)
	v_and_b32_e32 v23, s31, v22
	v_and_b32_e32 v22, 1, v23
	v_lshlrev_b32_e32 v24, 30, v23
	v_lshlrev_b32_e32 v25, 29, v23
	;; [unrolled: 1-line block ×4, first 2 shown]
	v_add_co_u32 v22, s17, v22, -1
	s_delay_alu instid0(VALU_DEP_1)
	v_cndmask_b32_e64 v27, 0, 1, s17
	v_not_b32_e32 v95, v24
	v_cmp_gt_i32_e64 s17, 0, v24
	v_not_b32_e32 v24, v25
	v_lshlrev_b32_e32 v93, 26, v23
	v_cmp_ne_u32_e32 vcc_lo, 0, v27
	v_ashrrev_i32_e32 v95, 31, v95
	v_lshlrev_b32_e32 v94, 25, v23
	v_ashrrev_i32_e32 v24, 31, v24
	v_lshlrev_b32_e32 v27, 24, v23
	v_xor_b32_e32 v22, vcc_lo, v22
	v_cmp_gt_i32_e32 vcc_lo, 0, v25
	v_not_b32_e32 v25, v26
	v_xor_b32_e32 v95, s17, v95
	v_cmp_gt_i32_e64 s17, 0, v26
	v_and_b32_e32 v22, exec_lo, v22
	v_not_b32_e32 v26, v92
	v_ashrrev_i32_e32 v25, 31, v25
	v_xor_b32_e32 v24, vcc_lo, v24
	v_cmp_gt_i32_e32 vcc_lo, 0, v92
	v_and_b32_e32 v22, v22, v95
	v_not_b32_e32 v92, v93
	v_ashrrev_i32_e32 v26, 31, v26
	v_xor_b32_e32 v25, s17, v25
	v_cmp_gt_i32_e64 s17, 0, v93
	v_and_b32_e32 v22, v22, v24
	v_not_b32_e32 v24, v94
	v_ashrrev_i32_e32 v92, 31, v92
	v_xor_b32_e32 v26, vcc_lo, v26
	v_cmp_gt_i32_e32 vcc_lo, 0, v94
	v_and_b32_e32 v22, v22, v25
	v_not_b32_e32 v25, v27
	v_ashrrev_i32_e32 v24, 31, v24
	v_xor_b32_e32 v92, s17, v92
	v_cmp_gt_i32_e64 s17, 0, v27
	v_and_b32_e32 v22, v22, v26
	v_ashrrev_i32_e32 v25, 31, v25
	v_xor_b32_e32 v24, vcc_lo, v24
	v_mad_u32_u24 v23, v23, 9, v80
	s_delay_alu instid0(VALU_DEP_4) | instskip(NEXT) | instid1(VALU_DEP_4)
	v_and_b32_e32 v22, v22, v92
	v_xor_b32_e32 v25, s17, v25
	s_delay_alu instid0(VALU_DEP_3) | instskip(NEXT) | instid1(VALU_DEP_3)
	v_lshl_add_u32 v94, v23, 2, 0x420
	v_and_b32_e32 v22, v22, v24
	s_delay_alu instid0(VALU_DEP_1) | instskip(NEXT) | instid1(VALU_DEP_1)
	v_and_b32_e32 v22, v22, v25
	v_mbcnt_lo_u32_b32 v92, v22, 0
	v_cmp_ne_u32_e64 s17, 0, v22
	s_delay_alu instid0(VALU_DEP_2) | instskip(NEXT) | instid1(VALU_DEP_2)
	v_cmp_eq_u32_e32 vcc_lo, 0, v92
	s_and_b32 s18, s17, vcc_lo
	s_delay_alu instid0(SALU_CYCLE_1)
	s_and_saveexec_b32 s17, s18
	s_cbranch_execz .LBB120_90
; %bb.89:                               ;   in Loop: Header=BB120_74 Depth=2
	v_bcnt_u32_b32 v22, v22, 0
	ds_store_b32 v94, v22
.LBB120_90:                             ;   in Loop: Header=BB120_74 Depth=2
	s_or_b32 exec_lo, exec_lo, s17
	v_lshrrev_b32_e32 v22, 8, v20
	; wave barrier
	s_delay_alu instid0(VALU_DEP_1) | instskip(NEXT) | instid1(VALU_DEP_1)
	v_xor_b32_e32 v93, -1, v22
	v_and_b32_e32 v22, 0xff, v93
	s_delay_alu instid0(VALU_DEP_1) | instskip(NEXT) | instid1(VALU_DEP_1)
	v_lshrrev_b32_e32 v22, s30, v22
	v_and_b32_e32 v22, s31, v22
	s_delay_alu instid0(VALU_DEP_1)
	v_and_b32_e32 v23, 1, v22
	v_lshlrev_b32_e32 v24, 30, v22
	v_lshlrev_b32_e32 v25, 29, v22
	;; [unrolled: 1-line block ×4, first 2 shown]
	v_add_co_u32 v23, s17, v23, -1
	s_delay_alu instid0(VALU_DEP_1)
	v_cndmask_b32_e64 v27, 0, 1, s17
	v_not_b32_e32 v98, v24
	v_cmp_gt_i32_e64 s17, 0, v24
	v_not_b32_e32 v24, v25
	v_lshlrev_b32_e32 v96, 26, v22
	v_cmp_ne_u32_e32 vcc_lo, 0, v27
	v_ashrrev_i32_e32 v98, 31, v98
	v_lshlrev_b32_e32 v97, 25, v22
	v_ashrrev_i32_e32 v24, 31, v24
	v_lshlrev_b32_e32 v27, 24, v22
	v_xor_b32_e32 v23, vcc_lo, v23
	v_cmp_gt_i32_e32 vcc_lo, 0, v25
	v_not_b32_e32 v25, v26
	v_xor_b32_e32 v98, s17, v98
	v_cmp_gt_i32_e64 s17, 0, v26
	v_and_b32_e32 v23, exec_lo, v23
	v_not_b32_e32 v26, v95
	v_ashrrev_i32_e32 v25, 31, v25
	v_xor_b32_e32 v24, vcc_lo, v24
	v_cmp_gt_i32_e32 vcc_lo, 0, v95
	v_and_b32_e32 v23, v23, v98
	v_not_b32_e32 v95, v96
	v_ashrrev_i32_e32 v26, 31, v26
	v_xor_b32_e32 v25, s17, v25
	v_cmp_gt_i32_e64 s17, 0, v96
	v_and_b32_e32 v23, v23, v24
	v_not_b32_e32 v24, v97
	v_ashrrev_i32_e32 v95, 31, v95
	v_xor_b32_e32 v26, vcc_lo, v26
	v_cmp_gt_i32_e32 vcc_lo, 0, v97
	v_and_b32_e32 v23, v23, v25
	v_not_b32_e32 v25, v27
	v_ashrrev_i32_e32 v24, 31, v24
	v_xor_b32_e32 v95, s17, v95
	v_mul_u32_u24_e32 v22, 9, v22
	v_and_b32_e32 v23, v23, v26
	v_cmp_gt_i32_e64 s17, 0, v27
	v_ashrrev_i32_e32 v25, 31, v25
	v_xor_b32_e32 v24, vcc_lo, v24
	v_add_lshl_u32 v26, v22, v80, 2
	v_and_b32_e32 v23, v23, v95
	s_delay_alu instid0(VALU_DEP_4) | instskip(SKIP_3) | instid1(VALU_DEP_2)
	v_xor_b32_e32 v22, s17, v25
	ds_load_b32 v95, v26 offset:1056
	v_and_b32_e32 v23, v23, v24
	v_add_nc_u32_e32 v98, 0x420, v26
	; wave barrier
	v_and_b32_e32 v22, v23, v22
	s_delay_alu instid0(VALU_DEP_1) | instskip(SKIP_1) | instid1(VALU_DEP_2)
	v_mbcnt_lo_u32_b32 v96, v22, 0
	v_cmp_ne_u32_e64 s17, 0, v22
	v_cmp_eq_u32_e32 vcc_lo, 0, v96
	s_delay_alu instid0(VALU_DEP_2) | instskip(NEXT) | instid1(SALU_CYCLE_1)
	s_and_b32 s18, s17, vcc_lo
	s_and_saveexec_b32 s17, s18
	s_cbranch_execz .LBB120_92
; %bb.91:                               ;   in Loop: Header=BB120_74 Depth=2
	s_waitcnt lgkmcnt(0)
	v_bcnt_u32_b32 v22, v22, v95
	ds_store_b32 v98, v22
.LBB120_92:                             ;   in Loop: Header=BB120_74 Depth=2
	s_or_b32 exec_lo, exec_lo, s17
	v_lshrrev_b32_e32 v22, 16, v20
	; wave barrier
	s_delay_alu instid0(VALU_DEP_1) | instskip(NEXT) | instid1(VALU_DEP_1)
	v_xor_b32_e32 v97, -1, v22
	v_and_b32_e32 v22, 0xff, v97
	s_delay_alu instid0(VALU_DEP_1) | instskip(NEXT) | instid1(VALU_DEP_1)
	v_lshrrev_b32_e32 v22, s30, v22
	v_and_b32_e32 v22, s31, v22
	s_delay_alu instid0(VALU_DEP_1)
	v_and_b32_e32 v23, 1, v22
	v_lshlrev_b32_e32 v24, 30, v22
	v_lshlrev_b32_e32 v25, 29, v22
	;; [unrolled: 1-line block ×4, first 2 shown]
	v_add_co_u32 v23, s17, v23, -1
	s_delay_alu instid0(VALU_DEP_1)
	v_cndmask_b32_e64 v27, 0, 1, s17
	v_not_b32_e32 v102, v24
	v_cmp_gt_i32_e64 s17, 0, v24
	v_not_b32_e32 v24, v25
	v_lshlrev_b32_e32 v100, 26, v22
	v_cmp_ne_u32_e32 vcc_lo, 0, v27
	v_ashrrev_i32_e32 v102, 31, v102
	v_lshlrev_b32_e32 v101, 25, v22
	v_ashrrev_i32_e32 v24, 31, v24
	v_lshlrev_b32_e32 v27, 24, v22
	v_xor_b32_e32 v23, vcc_lo, v23
	v_cmp_gt_i32_e32 vcc_lo, 0, v25
	v_not_b32_e32 v25, v26
	v_xor_b32_e32 v102, s17, v102
	v_cmp_gt_i32_e64 s17, 0, v26
	v_and_b32_e32 v23, exec_lo, v23
	v_not_b32_e32 v26, v99
	v_ashrrev_i32_e32 v25, 31, v25
	v_xor_b32_e32 v24, vcc_lo, v24
	v_cmp_gt_i32_e32 vcc_lo, 0, v99
	v_and_b32_e32 v23, v23, v102
	v_not_b32_e32 v99, v100
	v_ashrrev_i32_e32 v26, 31, v26
	v_xor_b32_e32 v25, s17, v25
	v_cmp_gt_i32_e64 s17, 0, v100
	v_and_b32_e32 v23, v23, v24
	v_not_b32_e32 v24, v101
	v_ashrrev_i32_e32 v99, 31, v99
	v_xor_b32_e32 v26, vcc_lo, v26
	v_cmp_gt_i32_e32 vcc_lo, 0, v101
	v_and_b32_e32 v23, v23, v25
	v_not_b32_e32 v25, v27
	v_ashrrev_i32_e32 v24, 31, v24
	v_xor_b32_e32 v99, s17, v99
	v_mul_u32_u24_e32 v22, 9, v22
	v_and_b32_e32 v23, v23, v26
	v_cmp_gt_i32_e64 s17, 0, v27
	v_ashrrev_i32_e32 v25, 31, v25
	v_xor_b32_e32 v24, vcc_lo, v24
	v_add_lshl_u32 v26, v22, v80, 2
	v_and_b32_e32 v23, v23, v99
	s_delay_alu instid0(VALU_DEP_4) | instskip(SKIP_3) | instid1(VALU_DEP_2)
	v_xor_b32_e32 v22, s17, v25
	ds_load_b32 v99, v26 offset:1056
	v_and_b32_e32 v23, v23, v24
	v_add_nc_u32_e32 v102, 0x420, v26
	; wave barrier
	v_and_b32_e32 v22, v23, v22
	s_delay_alu instid0(VALU_DEP_1) | instskip(SKIP_1) | instid1(VALU_DEP_2)
	v_mbcnt_lo_u32_b32 v100, v22, 0
	v_cmp_ne_u32_e64 s17, 0, v22
	v_cmp_eq_u32_e32 vcc_lo, 0, v100
	s_delay_alu instid0(VALU_DEP_2) | instskip(NEXT) | instid1(SALU_CYCLE_1)
	s_and_b32 s18, s17, vcc_lo
	s_and_saveexec_b32 s17, s18
	s_cbranch_execz .LBB120_94
; %bb.93:                               ;   in Loop: Header=BB120_74 Depth=2
	s_waitcnt lgkmcnt(0)
	v_bcnt_u32_b32 v22, v22, v99
	ds_store_b32 v102, v22
.LBB120_94:                             ;   in Loop: Header=BB120_74 Depth=2
	s_or_b32 exec_lo, exec_lo, s17
	v_lshrrev_b64 v[22:23], 24, v[20:21]
	; wave barrier
	s_delay_alu instid0(VALU_DEP_1) | instskip(NEXT) | instid1(VALU_DEP_1)
	v_xor_b32_e32 v101, -1, v22
	v_and_b32_e32 v20, 0xff, v101
	s_delay_alu instid0(VALU_DEP_1) | instskip(NEXT) | instid1(VALU_DEP_1)
	v_lshrrev_b32_e32 v20, s30, v20
	v_and_b32_e32 v20, s31, v20
	s_delay_alu instid0(VALU_DEP_1)
	v_and_b32_e32 v22, 1, v20
	v_lshlrev_b32_e32 v23, 30, v20
	v_lshlrev_b32_e32 v24, 29, v20
	;; [unrolled: 1-line block ×4, first 2 shown]
	v_add_co_u32 v22, s17, v22, -1
	s_delay_alu instid0(VALU_DEP_1)
	v_cndmask_b32_e64 v26, 0, 1, s17
	v_not_b32_e32 v105, v23
	v_cmp_gt_i32_e64 s17, 0, v23
	v_not_b32_e32 v23, v24
	v_lshlrev_b32_e32 v103, 26, v20
	v_cmp_ne_u32_e32 vcc_lo, 0, v26
	v_ashrrev_i32_e32 v105, 31, v105
	v_lshlrev_b32_e32 v104, 25, v20
	v_ashrrev_i32_e32 v23, 31, v23
	v_lshlrev_b32_e32 v26, 24, v20
	v_xor_b32_e32 v22, vcc_lo, v22
	v_cmp_gt_i32_e32 vcc_lo, 0, v24
	v_not_b32_e32 v24, v25
	v_xor_b32_e32 v105, s17, v105
	v_cmp_gt_i32_e64 s17, 0, v25
	v_and_b32_e32 v22, exec_lo, v22
	v_not_b32_e32 v25, v27
	v_ashrrev_i32_e32 v24, 31, v24
	v_xor_b32_e32 v23, vcc_lo, v23
	v_cmp_gt_i32_e32 vcc_lo, 0, v27
	v_and_b32_e32 v22, v22, v105
	v_not_b32_e32 v27, v103
	v_ashrrev_i32_e32 v25, 31, v25
	v_xor_b32_e32 v24, s17, v24
	v_cmp_gt_i32_e64 s17, 0, v103
	v_and_b32_e32 v22, v22, v23
	v_not_b32_e32 v23, v104
	v_ashrrev_i32_e32 v27, 31, v27
	v_xor_b32_e32 v25, vcc_lo, v25
	v_cmp_gt_i32_e32 vcc_lo, 0, v104
	v_and_b32_e32 v22, v22, v24
	v_not_b32_e32 v24, v26
	v_ashrrev_i32_e32 v23, 31, v23
	v_xor_b32_e32 v27, s17, v27
	v_mul_u32_u24_e32 v20, 9, v20
	v_and_b32_e32 v22, v22, v25
	v_cmp_gt_i32_e64 s17, 0, v26
	v_ashrrev_i32_e32 v24, 31, v24
	v_xor_b32_e32 v23, vcc_lo, v23
	v_add_lshl_u32 v25, v20, v80, 2
	v_and_b32_e32 v22, v22, v27
	s_delay_alu instid0(VALU_DEP_4) | instskip(SKIP_3) | instid1(VALU_DEP_2)
	v_xor_b32_e32 v20, s17, v24
	ds_load_b32 v103, v25 offset:1056
	v_and_b32_e32 v22, v22, v23
	v_add_nc_u32_e32 v106, 0x420, v25
	; wave barrier
	v_and_b32_e32 v20, v22, v20
	s_delay_alu instid0(VALU_DEP_1) | instskip(SKIP_1) | instid1(VALU_DEP_2)
	v_mbcnt_lo_u32_b32 v104, v20, 0
	v_cmp_ne_u32_e64 s17, 0, v20
	v_cmp_eq_u32_e32 vcc_lo, 0, v104
	s_delay_alu instid0(VALU_DEP_2) | instskip(NEXT) | instid1(SALU_CYCLE_1)
	s_and_b32 s18, s17, vcc_lo
	s_and_saveexec_b32 s17, s18
	s_cbranch_execz .LBB120_96
; %bb.95:                               ;   in Loop: Header=BB120_74 Depth=2
	s_waitcnt lgkmcnt(0)
	v_bcnt_u32_b32 v20, v20, v103
	ds_store_b32 v106, v20
.LBB120_96:                             ;   in Loop: Header=BB120_74 Depth=2
	s_or_b32 exec_lo, exec_lo, s17
	v_xor_b32_e32 v105, -1, v21
	; wave barrier
	s_delay_alu instid0(VALU_DEP_1) | instskip(NEXT) | instid1(VALU_DEP_1)
	v_and_b32_e32 v20, 0xff, v105
	v_lshrrev_b32_e32 v20, s30, v20
	s_delay_alu instid0(VALU_DEP_1) | instskip(NEXT) | instid1(VALU_DEP_1)
	v_and_b32_e32 v20, s31, v20
	v_and_b32_e32 v22, 1, v20
	v_lshlrev_b32_e32 v23, 30, v20
	v_lshlrev_b32_e32 v24, 29, v20
	;; [unrolled: 1-line block ×4, first 2 shown]
	v_add_co_u32 v22, s17, v22, -1
	s_delay_alu instid0(VALU_DEP_1)
	v_cndmask_b32_e64 v26, 0, 1, s17
	v_not_b32_e32 v109, v23
	v_cmp_gt_i32_e64 s17, 0, v23
	v_not_b32_e32 v23, v24
	v_lshlrev_b32_e32 v107, 26, v20
	v_cmp_ne_u32_e32 vcc_lo, 0, v26
	v_ashrrev_i32_e32 v109, 31, v109
	v_lshlrev_b32_e32 v108, 25, v20
	v_ashrrev_i32_e32 v23, 31, v23
	v_lshlrev_b32_e32 v26, 24, v20
	v_xor_b32_e32 v22, vcc_lo, v22
	v_cmp_gt_i32_e32 vcc_lo, 0, v24
	v_not_b32_e32 v24, v25
	v_xor_b32_e32 v109, s17, v109
	v_cmp_gt_i32_e64 s17, 0, v25
	v_and_b32_e32 v22, exec_lo, v22
	v_not_b32_e32 v25, v27
	v_ashrrev_i32_e32 v24, 31, v24
	v_xor_b32_e32 v23, vcc_lo, v23
	v_cmp_gt_i32_e32 vcc_lo, 0, v27
	v_and_b32_e32 v22, v22, v109
	v_not_b32_e32 v27, v107
	v_ashrrev_i32_e32 v25, 31, v25
	v_xor_b32_e32 v24, s17, v24
	v_cmp_gt_i32_e64 s17, 0, v107
	v_and_b32_e32 v22, v22, v23
	v_not_b32_e32 v23, v108
	v_ashrrev_i32_e32 v27, 31, v27
	v_xor_b32_e32 v25, vcc_lo, v25
	v_cmp_gt_i32_e32 vcc_lo, 0, v108
	v_and_b32_e32 v22, v22, v24
	v_not_b32_e32 v24, v26
	v_ashrrev_i32_e32 v23, 31, v23
	v_xor_b32_e32 v27, s17, v27
	v_mul_u32_u24_e32 v20, 9, v20
	v_and_b32_e32 v22, v22, v25
	v_cmp_gt_i32_e64 s17, 0, v26
	v_ashrrev_i32_e32 v24, 31, v24
	v_xor_b32_e32 v23, vcc_lo, v23
	v_add_lshl_u32 v25, v20, v80, 2
	v_and_b32_e32 v22, v22, v27
	s_delay_alu instid0(VALU_DEP_4) | instskip(SKIP_3) | instid1(VALU_DEP_2)
	v_xor_b32_e32 v20, s17, v24
	ds_load_b32 v107, v25 offset:1056
	v_and_b32_e32 v22, v22, v23
	v_add_nc_u32_e32 v110, 0x420, v25
	; wave barrier
	v_and_b32_e32 v20, v22, v20
	s_delay_alu instid0(VALU_DEP_1) | instskip(SKIP_1) | instid1(VALU_DEP_2)
	v_mbcnt_lo_u32_b32 v108, v20, 0
	v_cmp_ne_u32_e64 s17, 0, v20
	v_cmp_eq_u32_e32 vcc_lo, 0, v108
	s_delay_alu instid0(VALU_DEP_2) | instskip(NEXT) | instid1(SALU_CYCLE_1)
	s_and_b32 s18, s17, vcc_lo
	s_and_saveexec_b32 s17, s18
	s_cbranch_execz .LBB120_98
; %bb.97:                               ;   in Loop: Header=BB120_74 Depth=2
	s_waitcnt lgkmcnt(0)
	v_bcnt_u32_b32 v20, v20, v107
	ds_store_b32 v110, v20
.LBB120_98:                             ;   in Loop: Header=BB120_74 Depth=2
	s_or_b32 exec_lo, exec_lo, s17
	v_lshrrev_b32_e32 v20, 8, v21
	; wave barrier
	s_delay_alu instid0(VALU_DEP_1) | instskip(NEXT) | instid1(VALU_DEP_1)
	v_xor_b32_e32 v109, -1, v20
	v_and_b32_e32 v20, 0xff, v109
	s_delay_alu instid0(VALU_DEP_1) | instskip(NEXT) | instid1(VALU_DEP_1)
	v_lshrrev_b32_e32 v20, s30, v20
	v_and_b32_e32 v20, s31, v20
	s_delay_alu instid0(VALU_DEP_1)
	v_and_b32_e32 v22, 1, v20
	v_lshlrev_b32_e32 v23, 30, v20
	v_lshlrev_b32_e32 v24, 29, v20
	;; [unrolled: 1-line block ×4, first 2 shown]
	v_add_co_u32 v22, s17, v22, -1
	s_delay_alu instid0(VALU_DEP_1)
	v_cndmask_b32_e64 v26, 0, 1, s17
	v_not_b32_e32 v113, v23
	v_cmp_gt_i32_e64 s17, 0, v23
	v_not_b32_e32 v23, v24
	v_lshlrev_b32_e32 v111, 26, v20
	v_cmp_ne_u32_e32 vcc_lo, 0, v26
	v_ashrrev_i32_e32 v113, 31, v113
	v_lshlrev_b32_e32 v112, 25, v20
	v_ashrrev_i32_e32 v23, 31, v23
	v_lshlrev_b32_e32 v26, 24, v20
	v_xor_b32_e32 v22, vcc_lo, v22
	v_cmp_gt_i32_e32 vcc_lo, 0, v24
	v_not_b32_e32 v24, v25
	v_xor_b32_e32 v113, s17, v113
	v_cmp_gt_i32_e64 s17, 0, v25
	v_and_b32_e32 v22, exec_lo, v22
	v_not_b32_e32 v25, v27
	v_ashrrev_i32_e32 v24, 31, v24
	v_xor_b32_e32 v23, vcc_lo, v23
	v_cmp_gt_i32_e32 vcc_lo, 0, v27
	v_and_b32_e32 v22, v22, v113
	v_not_b32_e32 v27, v111
	v_ashrrev_i32_e32 v25, 31, v25
	v_xor_b32_e32 v24, s17, v24
	v_cmp_gt_i32_e64 s17, 0, v111
	v_and_b32_e32 v22, v22, v23
	v_not_b32_e32 v23, v112
	v_ashrrev_i32_e32 v27, 31, v27
	v_xor_b32_e32 v25, vcc_lo, v25
	v_cmp_gt_i32_e32 vcc_lo, 0, v112
	v_and_b32_e32 v22, v22, v24
	v_not_b32_e32 v24, v26
	v_ashrrev_i32_e32 v23, 31, v23
	v_xor_b32_e32 v27, s17, v27
	v_mul_u32_u24_e32 v20, 9, v20
	v_and_b32_e32 v22, v22, v25
	v_cmp_gt_i32_e64 s17, 0, v26
	v_ashrrev_i32_e32 v24, 31, v24
	v_xor_b32_e32 v23, vcc_lo, v23
	v_add_lshl_u32 v25, v20, v80, 2
	v_and_b32_e32 v22, v22, v27
	s_delay_alu instid0(VALU_DEP_4) | instskip(SKIP_3) | instid1(VALU_DEP_2)
	v_xor_b32_e32 v20, s17, v24
	ds_load_b32 v111, v25 offset:1056
	v_and_b32_e32 v22, v22, v23
	v_add_nc_u32_e32 v114, 0x420, v25
	; wave barrier
	v_and_b32_e32 v20, v22, v20
	s_delay_alu instid0(VALU_DEP_1) | instskip(SKIP_1) | instid1(VALU_DEP_2)
	v_mbcnt_lo_u32_b32 v112, v20, 0
	v_cmp_ne_u32_e64 s17, 0, v20
	v_cmp_eq_u32_e32 vcc_lo, 0, v112
	s_delay_alu instid0(VALU_DEP_2) | instskip(NEXT) | instid1(SALU_CYCLE_1)
	s_and_b32 s18, s17, vcc_lo
	s_and_saveexec_b32 s17, s18
	s_cbranch_execz .LBB120_100
; %bb.99:                               ;   in Loop: Header=BB120_74 Depth=2
	s_waitcnt lgkmcnt(0)
	v_bcnt_u32_b32 v20, v20, v111
	ds_store_b32 v114, v20
.LBB120_100:                            ;   in Loop: Header=BB120_74 Depth=2
	s_or_b32 exec_lo, exec_lo, s17
	v_lshrrev_b32_e32 v20, 16, v21
	; wave barrier
	s_delay_alu instid0(VALU_DEP_1) | instskip(NEXT) | instid1(VALU_DEP_1)
	v_xor_b32_e32 v113, -1, v20
	v_and_b32_e32 v20, 0xff, v113
	s_delay_alu instid0(VALU_DEP_1) | instskip(NEXT) | instid1(VALU_DEP_1)
	v_lshrrev_b32_e32 v20, s30, v20
	v_and_b32_e32 v20, s31, v20
	s_delay_alu instid0(VALU_DEP_1)
	v_and_b32_e32 v22, 1, v20
	v_lshlrev_b32_e32 v23, 30, v20
	v_lshlrev_b32_e32 v24, 29, v20
	;; [unrolled: 1-line block ×4, first 2 shown]
	v_add_co_u32 v22, s17, v22, -1
	s_delay_alu instid0(VALU_DEP_1)
	v_cndmask_b32_e64 v26, 0, 1, s17
	v_not_b32_e32 v117, v23
	v_cmp_gt_i32_e64 s17, 0, v23
	v_not_b32_e32 v23, v24
	v_lshlrev_b32_e32 v115, 26, v20
	v_cmp_ne_u32_e32 vcc_lo, 0, v26
	v_ashrrev_i32_e32 v117, 31, v117
	v_lshlrev_b32_e32 v116, 25, v20
	v_ashrrev_i32_e32 v23, 31, v23
	v_lshlrev_b32_e32 v26, 24, v20
	v_xor_b32_e32 v22, vcc_lo, v22
	v_cmp_gt_i32_e32 vcc_lo, 0, v24
	v_not_b32_e32 v24, v25
	v_xor_b32_e32 v117, s17, v117
	v_cmp_gt_i32_e64 s17, 0, v25
	v_and_b32_e32 v22, exec_lo, v22
	v_not_b32_e32 v25, v27
	v_ashrrev_i32_e32 v24, 31, v24
	v_xor_b32_e32 v23, vcc_lo, v23
	v_cmp_gt_i32_e32 vcc_lo, 0, v27
	v_and_b32_e32 v22, v22, v117
	v_not_b32_e32 v27, v115
	v_ashrrev_i32_e32 v25, 31, v25
	v_xor_b32_e32 v24, s17, v24
	v_cmp_gt_i32_e64 s17, 0, v115
	v_and_b32_e32 v22, v22, v23
	v_not_b32_e32 v23, v116
	v_ashrrev_i32_e32 v27, 31, v27
	v_xor_b32_e32 v25, vcc_lo, v25
	v_cmp_gt_i32_e32 vcc_lo, 0, v116
	v_and_b32_e32 v22, v22, v24
	v_not_b32_e32 v24, v26
	v_ashrrev_i32_e32 v23, 31, v23
	v_xor_b32_e32 v27, s17, v27
	v_mul_u32_u24_e32 v20, 9, v20
	v_and_b32_e32 v22, v22, v25
	v_cmp_gt_i32_e64 s17, 0, v26
	v_ashrrev_i32_e32 v24, 31, v24
	v_xor_b32_e32 v23, vcc_lo, v23
	v_add_lshl_u32 v25, v20, v80, 2
	v_and_b32_e32 v22, v22, v27
	s_delay_alu instid0(VALU_DEP_4) | instskip(SKIP_3) | instid1(VALU_DEP_2)
	v_xor_b32_e32 v20, s17, v24
	ds_load_b32 v115, v25 offset:1056
	v_and_b32_e32 v22, v22, v23
	v_add_nc_u32_e32 v118, 0x420, v25
	; wave barrier
	v_and_b32_e32 v20, v22, v20
	s_delay_alu instid0(VALU_DEP_1) | instskip(SKIP_1) | instid1(VALU_DEP_2)
	v_mbcnt_lo_u32_b32 v116, v20, 0
	v_cmp_ne_u32_e64 s17, 0, v20
	v_cmp_eq_u32_e32 vcc_lo, 0, v116
	s_delay_alu instid0(VALU_DEP_2) | instskip(NEXT) | instid1(SALU_CYCLE_1)
	s_and_b32 s18, s17, vcc_lo
	s_and_saveexec_b32 s17, s18
	s_cbranch_execz .LBB120_102
; %bb.101:                              ;   in Loop: Header=BB120_74 Depth=2
	s_waitcnt lgkmcnt(0)
	v_bcnt_u32_b32 v20, v20, v115
	ds_store_b32 v118, v20
.LBB120_102:                            ;   in Loop: Header=BB120_74 Depth=2
	s_or_b32 exec_lo, exec_lo, s17
	v_lshrrev_b32_e32 v20, 24, v21
	; wave barrier
	s_delay_alu instid0(VALU_DEP_1) | instskip(NEXT) | instid1(VALU_DEP_1)
	v_xor_b32_e32 v117, -1, v20
	v_and_b32_e32 v20, 0xff, v117
	s_delay_alu instid0(VALU_DEP_1) | instskip(NEXT) | instid1(VALU_DEP_1)
	v_lshrrev_b32_e32 v20, s30, v20
	v_and_b32_e32 v20, s31, v20
	s_delay_alu instid0(VALU_DEP_1)
	v_and_b32_e32 v21, 1, v20
	v_lshlrev_b32_e32 v22, 30, v20
	v_lshlrev_b32_e32 v23, 29, v20
	;; [unrolled: 1-line block ×4, first 2 shown]
	v_add_co_u32 v21, s17, v21, -1
	s_delay_alu instid0(VALU_DEP_1)
	v_cndmask_b32_e64 v25, 0, 1, s17
	v_not_b32_e32 v120, v22
	v_cmp_gt_i32_e64 s17, 0, v22
	v_not_b32_e32 v22, v23
	v_lshlrev_b32_e32 v27, 26, v20
	v_cmp_ne_u32_e32 vcc_lo, 0, v25
	v_ashrrev_i32_e32 v120, 31, v120
	v_lshlrev_b32_e32 v119, 25, v20
	v_ashrrev_i32_e32 v22, 31, v22
	v_lshlrev_b32_e32 v25, 24, v20
	v_xor_b32_e32 v21, vcc_lo, v21
	v_cmp_gt_i32_e32 vcc_lo, 0, v23
	v_not_b32_e32 v23, v24
	v_xor_b32_e32 v120, s17, v120
	v_cmp_gt_i32_e64 s17, 0, v24
	v_and_b32_e32 v21, exec_lo, v21
	v_not_b32_e32 v24, v26
	v_ashrrev_i32_e32 v23, 31, v23
	v_xor_b32_e32 v22, vcc_lo, v22
	v_cmp_gt_i32_e32 vcc_lo, 0, v26
	v_and_b32_e32 v21, v21, v120
	v_not_b32_e32 v26, v27
	v_ashrrev_i32_e32 v24, 31, v24
	v_xor_b32_e32 v23, s17, v23
	v_cmp_gt_i32_e64 s17, 0, v27
	v_and_b32_e32 v21, v21, v22
	v_not_b32_e32 v22, v119
	v_ashrrev_i32_e32 v26, 31, v26
	v_xor_b32_e32 v24, vcc_lo, v24
	v_cmp_gt_i32_e32 vcc_lo, 0, v119
	v_and_b32_e32 v21, v21, v23
	v_not_b32_e32 v23, v25
	v_ashrrev_i32_e32 v22, 31, v22
	v_xor_b32_e32 v26, s17, v26
	v_mul_u32_u24_e32 v20, 9, v20
	v_and_b32_e32 v21, v21, v24
	v_cmp_gt_i32_e64 s17, 0, v25
	v_ashrrev_i32_e32 v23, 31, v23
	v_xor_b32_e32 v22, vcc_lo, v22
	v_add_lshl_u32 v24, v20, v80, 2
	v_and_b32_e32 v21, v21, v26
	s_delay_alu instid0(VALU_DEP_4) | instskip(SKIP_3) | instid1(VALU_DEP_2)
	v_xor_b32_e32 v20, s17, v23
	ds_load_b32 v119, v24 offset:1056
	v_and_b32_e32 v21, v21, v22
	v_add_nc_u32_e32 v121, 0x420, v24
	; wave barrier
	v_and_b32_e32 v20, v21, v20
	s_delay_alu instid0(VALU_DEP_1) | instskip(SKIP_1) | instid1(VALU_DEP_2)
	v_mbcnt_lo_u32_b32 v120, v20, 0
	v_cmp_ne_u32_e64 s17, 0, v20
	v_cmp_eq_u32_e32 vcc_lo, 0, v120
	s_delay_alu instid0(VALU_DEP_2) | instskip(NEXT) | instid1(SALU_CYCLE_1)
	s_and_b32 s18, s17, vcc_lo
	s_and_saveexec_b32 s17, s18
	s_cbranch_execz .LBB120_104
; %bb.103:                              ;   in Loop: Header=BB120_74 Depth=2
	s_waitcnt lgkmcnt(0)
	v_bcnt_u32_b32 v20, v20, v119
	ds_store_b32 v121, v20
.LBB120_104:                            ;   in Loop: Header=BB120_74 Depth=2
	s_or_b32 exec_lo, exec_lo, s17
	; wave barrier
	s_waitcnt lgkmcnt(0)
	s_barrier
	buffer_gl0_inv
	ds_load_b32 v122, v46 offset:1056
	ds_load_2addr_b32 v[26:27], v47 offset0:1 offset1:2
	ds_load_2addr_b32 v[24:25], v47 offset0:3 offset1:4
	;; [unrolled: 1-line block ×4, first 2 shown]
	s_waitcnt lgkmcnt(3)
	v_add3_u32 v123, v26, v122, v27
	s_waitcnt lgkmcnt(2)
	s_delay_alu instid0(VALU_DEP_1) | instskip(SKIP_1) | instid1(VALU_DEP_1)
	v_add3_u32 v123, v123, v24, v25
	s_waitcnt lgkmcnt(1)
	v_add3_u32 v123, v123, v20, v21
	s_waitcnt lgkmcnt(0)
	s_delay_alu instid0(VALU_DEP_1) | instskip(NEXT) | instid1(VALU_DEP_1)
	v_add3_u32 v23, v123, v22, v23
	v_mov_b32_dpp v123, v23 row_shr:1 row_mask:0xf bank_mask:0xf
	s_delay_alu instid0(VALU_DEP_1) | instskip(NEXT) | instid1(VALU_DEP_1)
	v_cndmask_b32_e64 v123, v123, 0, s0
	v_add_nc_u32_e32 v23, v123, v23
	s_delay_alu instid0(VALU_DEP_1) | instskip(NEXT) | instid1(VALU_DEP_1)
	v_mov_b32_dpp v123, v23 row_shr:2 row_mask:0xf bank_mask:0xf
	v_cndmask_b32_e64 v123, 0, v123, s1
	s_delay_alu instid0(VALU_DEP_1) | instskip(NEXT) | instid1(VALU_DEP_1)
	v_add_nc_u32_e32 v23, v23, v123
	v_mov_b32_dpp v123, v23 row_shr:4 row_mask:0xf bank_mask:0xf
	s_delay_alu instid0(VALU_DEP_1) | instskip(NEXT) | instid1(VALU_DEP_1)
	v_cndmask_b32_e64 v123, 0, v123, s8
	v_add_nc_u32_e32 v23, v23, v123
	s_delay_alu instid0(VALU_DEP_1) | instskip(NEXT) | instid1(VALU_DEP_1)
	v_mov_b32_dpp v123, v23 row_shr:8 row_mask:0xf bank_mask:0xf
	v_cndmask_b32_e64 v123, 0, v123, s9
	s_delay_alu instid0(VALU_DEP_1) | instskip(SKIP_3) | instid1(VALU_DEP_1)
	v_add_nc_u32_e32 v23, v23, v123
	ds_swizzle_b32 v123, v23 offset:swizzle(BROADCAST,32,15)
	s_waitcnt lgkmcnt(0)
	v_cndmask_b32_e64 v123, v123, 0, s10
	v_add_nc_u32_e32 v23, v23, v123
	s_and_saveexec_b32 s17, s3
	s_cbranch_execz .LBB120_106
; %bb.105:                              ;   in Loop: Header=BB120_74 Depth=2
	ds_store_b32 v38, v23 offset:1024
.LBB120_106:                            ;   in Loop: Header=BB120_74 Depth=2
	s_or_b32 exec_lo, exec_lo, s17
	s_waitcnt lgkmcnt(0)
	s_barrier
	buffer_gl0_inv
	s_and_saveexec_b32 s17, s4
	s_cbranch_execz .LBB120_108
; %bb.107:                              ;   in Loop: Header=BB120_74 Depth=2
	v_add_nc_u32_e32 v123, v46, v48
	ds_load_b32 v124, v123 offset:1024
	s_waitcnt lgkmcnt(0)
	v_mov_b32_dpp v125, v124 row_shr:1 row_mask:0xf bank_mask:0xf
	s_delay_alu instid0(VALU_DEP_1) | instskip(NEXT) | instid1(VALU_DEP_1)
	v_cndmask_b32_e64 v125, v125, 0, s12
	v_add_nc_u32_e32 v124, v125, v124
	s_delay_alu instid0(VALU_DEP_1) | instskip(NEXT) | instid1(VALU_DEP_1)
	v_mov_b32_dpp v125, v124 row_shr:2 row_mask:0xf bank_mask:0xf
	v_cndmask_b32_e64 v125, 0, v125, s13
	s_delay_alu instid0(VALU_DEP_1) | instskip(NEXT) | instid1(VALU_DEP_1)
	v_add_nc_u32_e32 v124, v124, v125
	v_mov_b32_dpp v125, v124 row_shr:4 row_mask:0xf bank_mask:0xf
	s_delay_alu instid0(VALU_DEP_1) | instskip(NEXT) | instid1(VALU_DEP_1)
	v_cndmask_b32_e64 v125, 0, v125, s16
	v_add_nc_u32_e32 v124, v124, v125
	ds_store_b32 v123, v124 offset:1024
.LBB120_108:                            ;   in Loop: Header=BB120_74 Depth=2
	s_or_b32 exec_lo, exec_lo, s17
	v_mov_b32_e32 v123, 0
	s_waitcnt lgkmcnt(0)
	s_barrier
	buffer_gl0_inv
	s_and_saveexec_b32 s17, s5
	s_cbranch_execz .LBB120_110
; %bb.109:                              ;   in Loop: Header=BB120_74 Depth=2
	ds_load_b32 v123, v38 offset:1020
.LBB120_110:                            ;   in Loop: Header=BB120_74 Depth=2
	s_or_b32 exec_lo, exec_lo, s17
	s_waitcnt lgkmcnt(0)
	v_add_nc_u32_e32 v23, v123, v23
	ds_bpermute_b32 v23, v69, v23
	s_waitcnt lgkmcnt(0)
	v_cndmask_b32_e64 v23, v23, v123, s11
	s_delay_alu instid0(VALU_DEP_1) | instskip(NEXT) | instid1(VALU_DEP_1)
	v_cndmask_b32_e64 v23, v23, 0, s6
	v_add_nc_u32_e32 v122, v23, v122
	s_delay_alu instid0(VALU_DEP_1) | instskip(NEXT) | instid1(VALU_DEP_1)
	v_add_nc_u32_e32 v26, v122, v26
	v_add_nc_u32_e32 v27, v26, v27
	s_delay_alu instid0(VALU_DEP_1) | instskip(NEXT) | instid1(VALU_DEP_1)
	v_add_nc_u32_e32 v24, v27, v24
	;; [unrolled: 3-line block ×3, first 2 shown]
	v_add_nc_u32_e32 v21, v20, v21
	s_delay_alu instid0(VALU_DEP_1)
	v_add_nc_u32_e32 v22, v21, v22
	ds_store_b32 v46, v23 offset:1056
	ds_store_2addr_b32 v47, v122, v26 offset0:1 offset1:2
	ds_store_2addr_b32 v47, v27, v24 offset0:3 offset1:4
	;; [unrolled: 1-line block ×4, first 2 shown]
	v_mov_b32_e32 v22, 0x800
	s_waitcnt lgkmcnt(0)
	s_barrier
	buffer_gl0_inv
	ds_load_b32 v20, v98
	ds_load_b32 v21, v102
	ds_load_b32 v23, v106
	ds_load_b32 v24, v110
	ds_load_b32 v25, v114
	ds_load_b32 v102, v118
	ds_load_b32 v106, v121
	ds_load_b32 v26, v94
	ds_load_b32 v27, v46 offset:1056
	s_and_saveexec_b32 s17, s7
	s_cbranch_execz .LBB120_112
; %bb.111:                              ;   in Loop: Header=BB120_74 Depth=2
	ds_load_b32 v22, v49 offset:1056
.LBB120_112:                            ;   in Loop: Header=BB120_74 Depth=2
	s_or_b32 exec_lo, exec_lo, s17
	s_waitcnt lgkmcnt(0)
	s_barrier
	buffer_gl0_inv
	s_and_saveexec_b32 s17, s2
	s_cbranch_execz .LBB120_114
; %bb.113:                              ;   in Loop: Header=BB120_74 Depth=2
	ds_load_b32 v94, v28
	s_waitcnt lgkmcnt(0)
	v_sub_nc_u32_e32 v27, v94, v27
	ds_store_b32 v28, v27
.LBB120_114:                            ;   in Loop: Header=BB120_74 Depth=2
	s_or_b32 exec_lo, exec_lo, s17
	v_add_nc_u32_e32 v98, v26, v92
	v_add3_u32 v94, v96, v95, v20
	v_add3_u32 v92, v100, v99, v21
	;; [unrolled: 1-line block ×7, first 2 shown]
	v_cmp_lt_u32_e64 s22, v1, v2
	ds_store_b8 v98, v91 offset:1024
	ds_store_b8 v94, v93 offset:1024
	;; [unrolled: 1-line block ×8, first 2 shown]
	s_waitcnt lgkmcnt(0)
	s_barrier
	buffer_gl0_inv
	s_and_saveexec_b32 s17, s22
	s_cbranch_execz .LBB120_122
; %bb.115:                              ;   in Loop: Header=BB120_74 Depth=2
	ds_load_u8 v20, v1 offset:1024
	s_waitcnt lgkmcnt(0)
	v_and_b32_e32 v21, 0xff, v20
	v_xor_b32_e32 v20, -1, v20
	s_delay_alu instid0(VALU_DEP_2) | instskip(NEXT) | instid1(VALU_DEP_1)
	v_lshrrev_b32_e32 v21, s30, v21
	v_and_b32_e32 v21, s31, v21
	s_delay_alu instid0(VALU_DEP_1)
	v_lshlrev_b32_e32 v21, 2, v21
	ds_load_b32 v21, v21
	s_waitcnt lgkmcnt(0)
	v_add_nc_u32_e32 v21, v21, v1
	global_store_b8 v21, v20, s[38:39]
	s_or_b32 exec_lo, exec_lo, s17
	v_cmp_lt_u32_e64 s23, v29, v2
	s_delay_alu instid0(VALU_DEP_1)
	s_and_saveexec_b32 s17, s23
	s_cbranch_execnz .LBB120_123
.LBB120_116:                            ;   in Loop: Header=BB120_74 Depth=2
	s_or_b32 exec_lo, exec_lo, s17
	v_cmp_lt_u32_e64 s21, v30, v2
	s_delay_alu instid0(VALU_DEP_1)
	s_and_saveexec_b32 s17, s21
	s_cbranch_execz .LBB120_124
.LBB120_117:                            ;   in Loop: Header=BB120_74 Depth=2
	ds_load_u8 v20, v35 offset:512
	s_waitcnt lgkmcnt(0)
	v_and_b32_e32 v21, 0xff, v20
	v_xor_b32_e32 v20, -1, v20
	s_delay_alu instid0(VALU_DEP_2) | instskip(NEXT) | instid1(VALU_DEP_1)
	v_lshrrev_b32_e32 v21, s30, v21
	v_and_b32_e32 v21, s31, v21
	s_delay_alu instid0(VALU_DEP_1)
	v_lshlrev_b32_e32 v21, 2, v21
	ds_load_b32 v21, v21
	s_waitcnt lgkmcnt(0)
	v_add_nc_u32_e32 v21, v21, v30
	global_store_b8 v21, v20, s[38:39]
	s_or_b32 exec_lo, exec_lo, s17
	v_cmp_lt_u32_e64 s20, v31, v2
	s_delay_alu instid0(VALU_DEP_1)
	s_and_saveexec_b32 s17, s20
	s_cbranch_execnz .LBB120_125
.LBB120_118:                            ;   in Loop: Header=BB120_74 Depth=2
	s_or_b32 exec_lo, exec_lo, s17
	v_cmp_lt_u32_e64 s19, v35, v2
	s_delay_alu instid0(VALU_DEP_1)
	s_and_saveexec_b32 s17, s19
	s_cbranch_execz .LBB120_126
.LBB120_119:                            ;   in Loop: Header=BB120_74 Depth=2
	ds_load_u8 v20, v35 offset:1024
	s_waitcnt lgkmcnt(0)
	v_and_b32_e32 v21, 0xff, v20
	v_xor_b32_e32 v20, -1, v20
	s_delay_alu instid0(VALU_DEP_2) | instskip(NEXT) | instid1(VALU_DEP_1)
	v_lshrrev_b32_e32 v21, s30, v21
	v_and_b32_e32 v21, s31, v21
	s_delay_alu instid0(VALU_DEP_1)
	v_lshlrev_b32_e32 v21, 2, v21
	ds_load_b32 v21, v21
	s_waitcnt lgkmcnt(0)
	v_add_nc_u32_e32 v21, v21, v35
	global_store_b8 v21, v20, s[38:39]
	s_or_b32 exec_lo, exec_lo, s17
	v_cmp_lt_u32_e64 s18, v36, v2
	s_delay_alu instid0(VALU_DEP_1)
	s_and_saveexec_b32 s17, s18
	s_cbranch_execnz .LBB120_127
.LBB120_120:                            ;   in Loop: Header=BB120_74 Depth=2
	s_or_b32 exec_lo, exec_lo, s17
	v_cmp_lt_u32_e64 s17, v37, v2
	s_delay_alu instid0(VALU_DEP_1)
	s_and_saveexec_b32 s43, s17
	s_cbranch_execz .LBB120_128
.LBB120_121:                            ;   in Loop: Header=BB120_74 Depth=2
	ds_load_u8 v20, v35 offset:1536
	s_waitcnt lgkmcnt(0)
	v_and_b32_e32 v21, 0xff, v20
	v_xor_b32_e32 v20, -1, v20
	s_delay_alu instid0(VALU_DEP_2) | instskip(NEXT) | instid1(VALU_DEP_1)
	v_lshrrev_b32_e32 v21, s30, v21
	v_and_b32_e32 v21, s31, v21
	s_delay_alu instid0(VALU_DEP_1)
	v_lshlrev_b32_e32 v21, 2, v21
	ds_load_b32 v21, v21
	s_waitcnt lgkmcnt(0)
	v_add_nc_u32_e32 v21, v21, v37
	global_store_b8 v21, v20, s[38:39]
	s_or_b32 exec_lo, exec_lo, s43
	v_cmp_lt_u32_e32 vcc_lo, v39, v2
	s_and_saveexec_b32 s43, vcc_lo
	s_cbranch_execnz .LBB120_129
	s_branch .LBB120_130
.LBB120_122:                            ;   in Loop: Header=BB120_74 Depth=2
	s_or_b32 exec_lo, exec_lo, s17
	v_cmp_lt_u32_e64 s23, v29, v2
	s_delay_alu instid0(VALU_DEP_1)
	s_and_saveexec_b32 s17, s23
	s_cbranch_execz .LBB120_116
.LBB120_123:                            ;   in Loop: Header=BB120_74 Depth=2
	ds_load_u8 v20, v35 offset:256
	s_waitcnt lgkmcnt(0)
	v_and_b32_e32 v21, 0xff, v20
	v_xor_b32_e32 v20, -1, v20
	s_delay_alu instid0(VALU_DEP_2) | instskip(NEXT) | instid1(VALU_DEP_1)
	v_lshrrev_b32_e32 v21, s30, v21
	v_and_b32_e32 v21, s31, v21
	s_delay_alu instid0(VALU_DEP_1)
	v_lshlrev_b32_e32 v21, 2, v21
	ds_load_b32 v21, v21
	s_waitcnt lgkmcnt(0)
	v_add_nc_u32_e32 v21, v21, v29
	global_store_b8 v21, v20, s[38:39]
	s_or_b32 exec_lo, exec_lo, s17
	v_cmp_lt_u32_e64 s21, v30, v2
	s_delay_alu instid0(VALU_DEP_1)
	s_and_saveexec_b32 s17, s21
	s_cbranch_execnz .LBB120_117
.LBB120_124:                            ;   in Loop: Header=BB120_74 Depth=2
	s_or_b32 exec_lo, exec_lo, s17
	v_cmp_lt_u32_e64 s20, v31, v2
	s_delay_alu instid0(VALU_DEP_1)
	s_and_saveexec_b32 s17, s20
	s_cbranch_execz .LBB120_118
.LBB120_125:                            ;   in Loop: Header=BB120_74 Depth=2
	ds_load_u8 v20, v35 offset:768
	s_waitcnt lgkmcnt(0)
	v_and_b32_e32 v21, 0xff, v20
	v_xor_b32_e32 v20, -1, v20
	s_delay_alu instid0(VALU_DEP_2) | instskip(NEXT) | instid1(VALU_DEP_1)
	v_lshrrev_b32_e32 v21, s30, v21
	v_and_b32_e32 v21, s31, v21
	s_delay_alu instid0(VALU_DEP_1)
	v_lshlrev_b32_e32 v21, 2, v21
	ds_load_b32 v21, v21
	s_waitcnt lgkmcnt(0)
	v_add_nc_u32_e32 v21, v21, v31
	global_store_b8 v21, v20, s[38:39]
	s_or_b32 exec_lo, exec_lo, s17
	v_cmp_lt_u32_e64 s19, v35, v2
	s_delay_alu instid0(VALU_DEP_1)
	s_and_saveexec_b32 s17, s19
	s_cbranch_execnz .LBB120_119
.LBB120_126:                            ;   in Loop: Header=BB120_74 Depth=2
	s_or_b32 exec_lo, exec_lo, s17
	v_cmp_lt_u32_e64 s18, v36, v2
	s_delay_alu instid0(VALU_DEP_1)
	s_and_saveexec_b32 s17, s18
	s_cbranch_execz .LBB120_120
.LBB120_127:                            ;   in Loop: Header=BB120_74 Depth=2
	ds_load_u8 v20, v35 offset:1280
	s_waitcnt lgkmcnt(0)
	v_and_b32_e32 v21, 0xff, v20
	v_xor_b32_e32 v20, -1, v20
	s_delay_alu instid0(VALU_DEP_2) | instskip(NEXT) | instid1(VALU_DEP_1)
	v_lshrrev_b32_e32 v21, s30, v21
	v_and_b32_e32 v21, s31, v21
	s_delay_alu instid0(VALU_DEP_1)
	v_lshlrev_b32_e32 v21, 2, v21
	ds_load_b32 v21, v21
	s_waitcnt lgkmcnt(0)
	v_add_nc_u32_e32 v21, v21, v36
	global_store_b8 v21, v20, s[38:39]
	s_or_b32 exec_lo, exec_lo, s17
	v_cmp_lt_u32_e64 s17, v37, v2
	s_delay_alu instid0(VALU_DEP_1)
	s_and_saveexec_b32 s43, s17
	s_cbranch_execnz .LBB120_121
.LBB120_128:                            ;   in Loop: Header=BB120_74 Depth=2
	s_or_b32 exec_lo, exec_lo, s43
	v_cmp_lt_u32_e32 vcc_lo, v39, v2
	s_and_saveexec_b32 s43, vcc_lo
	s_cbranch_execz .LBB120_130
.LBB120_129:                            ;   in Loop: Header=BB120_74 Depth=2
	ds_load_u8 v20, v35 offset:1792
	s_waitcnt lgkmcnt(0)
	v_and_b32_e32 v21, 0xff, v20
	v_xor_b32_e32 v20, -1, v20
	s_delay_alu instid0(VALU_DEP_2) | instskip(NEXT) | instid1(VALU_DEP_1)
	v_lshrrev_b32_e32 v21, s30, v21
	v_and_b32_e32 v21, s31, v21
	s_delay_alu instid0(VALU_DEP_1)
	v_lshlrev_b32_e32 v21, 2, v21
	ds_load_b32 v21, v21
	s_waitcnt lgkmcnt(0)
	v_add_nc_u32_e32 v21, v21, v39
	global_store_b8 v21, v20, s[38:39]
.LBB120_130:                            ;   in Loop: Header=BB120_74 Depth=2
	s_or_b32 exec_lo, exec_lo, s43
	s_lshl_b64 s[52:53], s[24:25], 3
	s_delay_alu instid0(SALU_CYCLE_1) | instskip(NEXT) | instid1(VALU_DEP_1)
	v_add_co_u32 v20, s24, v71, s52
	v_add_co_ci_u32_e64 v21, s24, s53, v72, s24
	v_cmp_lt_u32_e64 s24, v70, v2
	s_delay_alu instid0(VALU_DEP_1) | instskip(NEXT) | instid1(SALU_CYCLE_1)
	s_and_saveexec_b32 s43, s24
	s_xor_b32 s24, exec_lo, s43
	s_cbranch_execz .LBB120_146
; %bb.131:                              ;   in Loop: Header=BB120_74 Depth=2
	global_load_b64 v[18:19], v[20:21], off
	s_or_b32 exec_lo, exec_lo, s24
	s_delay_alu instid0(SALU_CYCLE_1)
	s_mov_b32 s43, exec_lo
	v_cmpx_lt_u32_e64 v73, v2
	s_cbranch_execnz .LBB120_147
.LBB120_132:                            ;   in Loop: Header=BB120_74 Depth=2
	s_or_b32 exec_lo, exec_lo, s43
	s_delay_alu instid0(SALU_CYCLE_1)
	s_mov_b32 s43, exec_lo
	v_cmpx_lt_u32_e64 v74, v2
	s_cbranch_execz .LBB120_148
.LBB120_133:                            ;   in Loop: Header=BB120_74 Depth=2
	global_load_b64 v[14:15], v[20:21], off offset:512
	s_or_b32 exec_lo, exec_lo, s43
	s_delay_alu instid0(SALU_CYCLE_1)
	s_mov_b32 s43, exec_lo
	v_cmpx_lt_u32_e64 v75, v2
	s_cbranch_execnz .LBB120_149
.LBB120_134:                            ;   in Loop: Header=BB120_74 Depth=2
	s_or_b32 exec_lo, exec_lo, s43
	s_delay_alu instid0(SALU_CYCLE_1)
	s_mov_b32 s43, exec_lo
	v_cmpx_lt_u32_e64 v76, v2
	s_cbranch_execz .LBB120_150
.LBB120_135:                            ;   in Loop: Header=BB120_74 Depth=2
	global_load_b64 v[10:11], v[20:21], off offset:1024
	s_or_b32 exec_lo, exec_lo, s43
	s_delay_alu instid0(SALU_CYCLE_1)
	s_mov_b32 s43, exec_lo
	v_cmpx_lt_u32_e64 v77, v2
	s_cbranch_execnz .LBB120_151
.LBB120_136:                            ;   in Loop: Header=BB120_74 Depth=2
	s_or_b32 exec_lo, exec_lo, s43
	s_delay_alu instid0(SALU_CYCLE_1)
	s_mov_b32 s43, exec_lo
	v_cmpx_lt_u32_e64 v78, v2
	s_cbranch_execz .LBB120_152
.LBB120_137:                            ;   in Loop: Header=BB120_74 Depth=2
	global_load_b64 v[6:7], v[20:21], off offset:1536
	s_or_b32 exec_lo, exec_lo, s43
	s_delay_alu instid0(SALU_CYCLE_1)
	s_mov_b32 s43, exec_lo
	v_cmpx_lt_u32_e64 v79, v2
	s_cbranch_execnz .LBB120_153
.LBB120_138:                            ;   in Loop: Header=BB120_74 Depth=2
	s_or_b32 exec_lo, exec_lo, s43
	s_and_saveexec_b32 s24, s22
	s_cbranch_execz .LBB120_154
.LBB120_139:                            ;   in Loop: Header=BB120_74 Depth=2
	ds_load_u8 v2, v1 offset:1024
	s_waitcnt lgkmcnt(0)
	v_lshrrev_b32_e32 v2, s30, v2
	s_delay_alu instid0(VALU_DEP_1)
	v_and_b32_e32 v90, s31, v2
	s_or_b32 exec_lo, exec_lo, s24
	s_and_saveexec_b32 s24, s23
	s_cbranch_execnz .LBB120_155
.LBB120_140:                            ;   in Loop: Header=BB120_74 Depth=2
	s_or_b32 exec_lo, exec_lo, s24
	s_and_saveexec_b32 s24, s21
	s_cbranch_execz .LBB120_156
.LBB120_141:                            ;   in Loop: Header=BB120_74 Depth=2
	ds_load_u8 v2, v35 offset:512
	s_waitcnt lgkmcnt(0)
	v_lshrrev_b32_e32 v2, s30, v2
	s_delay_alu instid0(VALU_DEP_1)
	v_and_b32_e32 v88, s31, v2
	s_or_b32 exec_lo, exec_lo, s24
	s_and_saveexec_b32 s24, s20
	s_cbranch_execnz .LBB120_157
.LBB120_142:                            ;   in Loop: Header=BB120_74 Depth=2
	s_or_b32 exec_lo, exec_lo, s24
	s_and_saveexec_b32 s24, s19
	s_cbranch_execz .LBB120_158
.LBB120_143:                            ;   in Loop: Header=BB120_74 Depth=2
	ds_load_u8 v2, v35 offset:1024
	s_waitcnt lgkmcnt(0)
	v_lshrrev_b32_e32 v2, s30, v2
	s_delay_alu instid0(VALU_DEP_1)
	v_and_b32_e32 v86, s31, v2
	s_or_b32 exec_lo, exec_lo, s24
	s_and_saveexec_b32 s24, s18
	s_cbranch_execnz .LBB120_159
.LBB120_144:                            ;   in Loop: Header=BB120_74 Depth=2
	s_or_b32 exec_lo, exec_lo, s24
	s_and_saveexec_b32 s24, s17
	s_cbranch_execz .LBB120_160
.LBB120_145:                            ;   in Loop: Header=BB120_74 Depth=2
	ds_load_u8 v2, v35 offset:1536
	s_waitcnt lgkmcnt(0)
	v_lshrrev_b32_e32 v2, s30, v2
	s_delay_alu instid0(VALU_DEP_1)
	v_and_b32_e32 v84, s31, v2
	s_or_b32 exec_lo, exec_lo, s24
	s_and_saveexec_b32 s24, vcc_lo
	s_cbranch_execnz .LBB120_161
	s_branch .LBB120_162
.LBB120_146:                            ;   in Loop: Header=BB120_74 Depth=2
	s_or_b32 exec_lo, exec_lo, s24
	s_delay_alu instid0(SALU_CYCLE_1)
	s_mov_b32 s43, exec_lo
	v_cmpx_lt_u32_e64 v73, v2
	s_cbranch_execz .LBB120_132
.LBB120_147:                            ;   in Loop: Header=BB120_74 Depth=2
	global_load_b64 v[16:17], v[20:21], off offset:256
	s_or_b32 exec_lo, exec_lo, s43
	s_delay_alu instid0(SALU_CYCLE_1)
	s_mov_b32 s43, exec_lo
	v_cmpx_lt_u32_e64 v74, v2
	s_cbranch_execnz .LBB120_133
.LBB120_148:                            ;   in Loop: Header=BB120_74 Depth=2
	s_or_b32 exec_lo, exec_lo, s43
	s_delay_alu instid0(SALU_CYCLE_1)
	s_mov_b32 s43, exec_lo
	v_cmpx_lt_u32_e64 v75, v2
	s_cbranch_execz .LBB120_134
.LBB120_149:                            ;   in Loop: Header=BB120_74 Depth=2
	global_load_b64 v[12:13], v[20:21], off offset:768
	s_or_b32 exec_lo, exec_lo, s43
	s_delay_alu instid0(SALU_CYCLE_1)
	s_mov_b32 s43, exec_lo
	v_cmpx_lt_u32_e64 v76, v2
	s_cbranch_execnz .LBB120_135
.LBB120_150:                            ;   in Loop: Header=BB120_74 Depth=2
	s_or_b32 exec_lo, exec_lo, s43
	s_delay_alu instid0(SALU_CYCLE_1)
	s_mov_b32 s43, exec_lo
	v_cmpx_lt_u32_e64 v77, v2
	s_cbranch_execz .LBB120_136
.LBB120_151:                            ;   in Loop: Header=BB120_74 Depth=2
	global_load_b64 v[8:9], v[20:21], off offset:1280
	s_or_b32 exec_lo, exec_lo, s43
	s_delay_alu instid0(SALU_CYCLE_1)
	s_mov_b32 s43, exec_lo
	v_cmpx_lt_u32_e64 v78, v2
	s_cbranch_execnz .LBB120_137
.LBB120_152:                            ;   in Loop: Header=BB120_74 Depth=2
	s_or_b32 exec_lo, exec_lo, s43
	s_delay_alu instid0(SALU_CYCLE_1)
	s_mov_b32 s43, exec_lo
	v_cmpx_lt_u32_e64 v79, v2
	s_cbranch_execz .LBB120_138
.LBB120_153:                            ;   in Loop: Header=BB120_74 Depth=2
	global_load_b64 v[4:5], v[20:21], off offset:1792
	s_or_b32 exec_lo, exec_lo, s43
	s_and_saveexec_b32 s24, s22
	s_cbranch_execnz .LBB120_139
.LBB120_154:                            ;   in Loop: Header=BB120_74 Depth=2
	s_or_b32 exec_lo, exec_lo, s24
	s_and_saveexec_b32 s24, s23
	s_cbranch_execz .LBB120_140
.LBB120_155:                            ;   in Loop: Header=BB120_74 Depth=2
	ds_load_u8 v2, v35 offset:256
	s_waitcnt lgkmcnt(0)
	v_lshrrev_b32_e32 v2, s30, v2
	s_delay_alu instid0(VALU_DEP_1)
	v_and_b32_e32 v89, s31, v2
	s_or_b32 exec_lo, exec_lo, s24
	s_and_saveexec_b32 s24, s21
	s_cbranch_execnz .LBB120_141
.LBB120_156:                            ;   in Loop: Header=BB120_74 Depth=2
	s_or_b32 exec_lo, exec_lo, s24
	s_and_saveexec_b32 s24, s20
	s_cbranch_execz .LBB120_142
.LBB120_157:                            ;   in Loop: Header=BB120_74 Depth=2
	ds_load_u8 v2, v35 offset:768
	s_waitcnt lgkmcnt(0)
	v_lshrrev_b32_e32 v2, s30, v2
	s_delay_alu instid0(VALU_DEP_1)
	v_and_b32_e32 v87, s31, v2
	s_or_b32 exec_lo, exec_lo, s24
	s_and_saveexec_b32 s24, s19
	s_cbranch_execnz .LBB120_143
.LBB120_158:                            ;   in Loop: Header=BB120_74 Depth=2
	s_or_b32 exec_lo, exec_lo, s24
	s_and_saveexec_b32 s24, s18
	s_cbranch_execz .LBB120_144
.LBB120_159:                            ;   in Loop: Header=BB120_74 Depth=2
	ds_load_u8 v2, v35 offset:1280
	s_waitcnt lgkmcnt(0)
	v_lshrrev_b32_e32 v2, s30, v2
	s_delay_alu instid0(VALU_DEP_1)
	v_and_b32_e32 v85, s31, v2
	s_or_b32 exec_lo, exec_lo, s24
	s_and_saveexec_b32 s24, s17
	s_cbranch_execnz .LBB120_145
.LBB120_160:                            ;   in Loop: Header=BB120_74 Depth=2
	s_or_b32 exec_lo, exec_lo, s24
	s_and_saveexec_b32 s24, vcc_lo
	s_cbranch_execz .LBB120_162
.LBB120_161:                            ;   in Loop: Header=BB120_74 Depth=2
	ds_load_u8 v2, v35 offset:1792
	s_waitcnt lgkmcnt(0)
	v_lshrrev_b32_e32 v2, s30, v2
	s_delay_alu instid0(VALU_DEP_1)
	v_and_b32_e32 v83, s31, v2
.LBB120_162:                            ;   in Loop: Header=BB120_74 Depth=2
	s_or_b32 exec_lo, exec_lo, s24
	v_lshlrev_b32_e32 v2, 3, v98
	v_lshlrev_b32_e32 v20, 3, v94
	v_lshlrev_b32_e32 v21, 3, v92
	s_waitcnt vmcnt(0)
	s_waitcnt_vscnt null, 0x0
	s_barrier
	buffer_gl0_inv
	ds_store_b64 v2, v[18:19] offset:1024
	ds_store_b64 v20, v[16:17] offset:1024
	;; [unrolled: 1-line block ×3, first 2 shown]
	v_lshlrev_b32_e32 v2, 3, v27
	v_lshlrev_b32_e32 v20, 3, v26
	;; [unrolled: 1-line block ×5, first 2 shown]
	ds_store_b64 v2, v[12:13] offset:1024
	ds_store_b64 v20, v[10:11] offset:1024
	ds_store_b64 v21, v[8:9] offset:1024
	ds_store_b64 v24, v[6:7] offset:1024
	ds_store_b64 v23, v[4:5] offset:1024
	s_waitcnt lgkmcnt(0)
	s_barrier
	buffer_gl0_inv
	s_and_saveexec_b32 s24, s22
	s_cbranch_execz .LBB120_170
; %bb.163:                              ;   in Loop: Header=BB120_74 Depth=2
	v_lshlrev_b32_e32 v2, 2, v90
	v_add_nc_u32_e32 v20, v1, v52
	ds_load_b32 v2, v2
	ds_load_b64 v[20:21], v20 offset:1024
	s_waitcnt lgkmcnt(1)
	v_add_nc_u32_e32 v2, v2, v1
	s_delay_alu instid0(VALU_DEP_1) | instskip(NEXT) | instid1(VALU_DEP_1)
	v_lshlrev_b64 v[23:24], 3, v[2:3]
	v_add_co_u32 v23, s22, s44, v23
	s_delay_alu instid0(VALU_DEP_1)
	v_add_co_ci_u32_e64 v24, s22, s45, v24, s22
	s_waitcnt lgkmcnt(0)
	global_store_b64 v[23:24], v[20:21], off
	s_or_b32 exec_lo, exec_lo, s24
	s_and_saveexec_b32 s24, s23
	s_cbranch_execnz .LBB120_171
.LBB120_164:                            ;   in Loop: Header=BB120_74 Depth=2
	s_or_b32 exec_lo, exec_lo, s24
	s_and_saveexec_b32 s22, s21
	s_cbranch_execz .LBB120_172
.LBB120_165:                            ;   in Loop: Header=BB120_74 Depth=2
	v_lshlrev_b32_e32 v2, 2, v88
	v_add_nc_u32_e32 v20, v35, v52
	ds_load_b32 v2, v2
	ds_load_b64 v[20:21], v20 offset:4096
	s_waitcnt lgkmcnt(1)
	v_add_nc_u32_e32 v2, v2, v30
	s_delay_alu instid0(VALU_DEP_1) | instskip(NEXT) | instid1(VALU_DEP_1)
	v_lshlrev_b64 v[23:24], 3, v[2:3]
	v_add_co_u32 v23, s21, s44, v23
	s_delay_alu instid0(VALU_DEP_1)
	v_add_co_ci_u32_e64 v24, s21, s45, v24, s21
	s_waitcnt lgkmcnt(0)
	global_store_b64 v[23:24], v[20:21], off
	s_or_b32 exec_lo, exec_lo, s22
	s_and_saveexec_b32 s21, s20
	s_cbranch_execnz .LBB120_173
.LBB120_166:                            ;   in Loop: Header=BB120_74 Depth=2
	s_or_b32 exec_lo, exec_lo, s21
	s_and_saveexec_b32 s20, s19
	s_cbranch_execz .LBB120_174
.LBB120_167:                            ;   in Loop: Header=BB120_74 Depth=2
	v_lshlrev_b32_e32 v2, 2, v86
	v_add_nc_u32_e32 v20, v35, v52
	ds_load_b32 v2, v2
	ds_load_b64 v[20:21], v20 offset:8192
	s_waitcnt lgkmcnt(1)
	v_add_nc_u32_e32 v2, v2, v35
	s_delay_alu instid0(VALU_DEP_1) | instskip(NEXT) | instid1(VALU_DEP_1)
	v_lshlrev_b64 v[23:24], 3, v[2:3]
	v_add_co_u32 v23, s19, s44, v23
	s_delay_alu instid0(VALU_DEP_1)
	v_add_co_ci_u32_e64 v24, s19, s45, v24, s19
	s_waitcnt lgkmcnt(0)
	global_store_b64 v[23:24], v[20:21], off
	s_or_b32 exec_lo, exec_lo, s20
	s_and_saveexec_b32 s19, s18
	s_cbranch_execnz .LBB120_175
.LBB120_168:                            ;   in Loop: Header=BB120_74 Depth=2
	s_or_b32 exec_lo, exec_lo, s19
	s_and_saveexec_b32 s18, s17
	s_cbranch_execz .LBB120_176
.LBB120_169:                            ;   in Loop: Header=BB120_74 Depth=2
	v_lshlrev_b32_e32 v2, 2, v84
	v_add_nc_u32_e32 v20, v35, v52
	ds_load_b32 v2, v2
	ds_load_b64 v[20:21], v20 offset:12288
	s_waitcnt lgkmcnt(1)
	v_add_nc_u32_e32 v2, v2, v37
	s_delay_alu instid0(VALU_DEP_1) | instskip(NEXT) | instid1(VALU_DEP_1)
	v_lshlrev_b64 v[23:24], 3, v[2:3]
	v_add_co_u32 v23, s17, s44, v23
	s_delay_alu instid0(VALU_DEP_1)
	v_add_co_ci_u32_e64 v24, s17, s45, v24, s17
	s_waitcnt lgkmcnt(0)
	global_store_b64 v[23:24], v[20:21], off
	s_or_b32 exec_lo, exec_lo, s18
	s_and_saveexec_b32 s17, vcc_lo
	s_cbranch_execnz .LBB120_177
	s_branch .LBB120_178
.LBB120_170:                            ;   in Loop: Header=BB120_74 Depth=2
	s_or_b32 exec_lo, exec_lo, s24
	s_and_saveexec_b32 s24, s23
	s_cbranch_execz .LBB120_164
.LBB120_171:                            ;   in Loop: Header=BB120_74 Depth=2
	v_lshlrev_b32_e32 v2, 2, v89
	v_add_nc_u32_e32 v20, v35, v52
	ds_load_b32 v2, v2
	ds_load_b64 v[20:21], v20 offset:2048
	s_waitcnt lgkmcnt(1)
	v_add_nc_u32_e32 v2, v2, v29
	s_delay_alu instid0(VALU_DEP_1) | instskip(NEXT) | instid1(VALU_DEP_1)
	v_lshlrev_b64 v[23:24], 3, v[2:3]
	v_add_co_u32 v23, s22, s44, v23
	s_delay_alu instid0(VALU_DEP_1)
	v_add_co_ci_u32_e64 v24, s22, s45, v24, s22
	s_waitcnt lgkmcnt(0)
	global_store_b64 v[23:24], v[20:21], off
	s_or_b32 exec_lo, exec_lo, s24
	s_and_saveexec_b32 s22, s21
	s_cbranch_execnz .LBB120_165
.LBB120_172:                            ;   in Loop: Header=BB120_74 Depth=2
	s_or_b32 exec_lo, exec_lo, s22
	s_and_saveexec_b32 s21, s20
	s_cbranch_execz .LBB120_166
.LBB120_173:                            ;   in Loop: Header=BB120_74 Depth=2
	v_lshlrev_b32_e32 v2, 2, v87
	v_add_nc_u32_e32 v20, v35, v52
	ds_load_b32 v2, v2
	ds_load_b64 v[20:21], v20 offset:6144
	s_waitcnt lgkmcnt(1)
	v_add_nc_u32_e32 v2, v2, v31
	s_delay_alu instid0(VALU_DEP_1) | instskip(NEXT) | instid1(VALU_DEP_1)
	v_lshlrev_b64 v[23:24], 3, v[2:3]
	v_add_co_u32 v23, s20, s44, v23
	s_delay_alu instid0(VALU_DEP_1)
	v_add_co_ci_u32_e64 v24, s20, s45, v24, s20
	s_waitcnt lgkmcnt(0)
	global_store_b64 v[23:24], v[20:21], off
	s_or_b32 exec_lo, exec_lo, s21
	s_and_saveexec_b32 s20, s19
	s_cbranch_execnz .LBB120_167
.LBB120_174:                            ;   in Loop: Header=BB120_74 Depth=2
	s_or_b32 exec_lo, exec_lo, s20
	s_and_saveexec_b32 s19, s18
	s_cbranch_execz .LBB120_168
.LBB120_175:                            ;   in Loop: Header=BB120_74 Depth=2
	v_lshlrev_b32_e32 v2, 2, v85
	v_add_nc_u32_e32 v20, v35, v52
	ds_load_b32 v2, v2
	ds_load_b64 v[20:21], v20 offset:10240
	s_waitcnt lgkmcnt(1)
	v_add_nc_u32_e32 v2, v2, v36
	s_delay_alu instid0(VALU_DEP_1) | instskip(NEXT) | instid1(VALU_DEP_1)
	v_lshlrev_b64 v[23:24], 3, v[2:3]
	v_add_co_u32 v23, s18, s44, v23
	s_delay_alu instid0(VALU_DEP_1)
	v_add_co_ci_u32_e64 v24, s18, s45, v24, s18
	s_waitcnt lgkmcnt(0)
	global_store_b64 v[23:24], v[20:21], off
	s_or_b32 exec_lo, exec_lo, s19
	s_and_saveexec_b32 s18, s17
	s_cbranch_execnz .LBB120_169
.LBB120_176:                            ;   in Loop: Header=BB120_74 Depth=2
	s_or_b32 exec_lo, exec_lo, s18
	s_and_saveexec_b32 s17, vcc_lo
	s_cbranch_execz .LBB120_178
.LBB120_177:                            ;   in Loop: Header=BB120_74 Depth=2
	v_lshlrev_b32_e32 v2, 2, v83
	v_add_nc_u32_e32 v20, v35, v52
	ds_load_b32 v2, v2
	ds_load_b64 v[20:21], v20 offset:14336
	s_waitcnt lgkmcnt(1)
	v_add_nc_u32_e32 v2, v2, v39
	s_delay_alu instid0(VALU_DEP_1) | instskip(NEXT) | instid1(VALU_DEP_1)
	v_lshlrev_b64 v[23:24], 3, v[2:3]
	v_add_co_u32 v23, vcc_lo, s44, v23
	s_delay_alu instid0(VALU_DEP_2)
	v_add_co_ci_u32_e32 v24, vcc_lo, s45, v24, vcc_lo
	s_waitcnt lgkmcnt(0)
	global_store_b64 v[23:24], v[20:21], off
.LBB120_178:                            ;   in Loop: Header=BB120_74 Depth=2
	s_or_b32 exec_lo, exec_lo, s17
	s_waitcnt_vscnt null, 0x0
	s_barrier
	buffer_gl0_inv
	s_and_saveexec_b32 s17, s2
	s_cbranch_execz .LBB120_73
; %bb.179:                              ;   in Loop: Header=BB120_74 Depth=2
	ds_load_b32 v2, v28
	s_waitcnt lgkmcnt(0)
	v_add_nc_u32_e32 v2, v2, v22
	ds_store_b32 v28, v2
	s_branch .LBB120_73
.LBB120_180:                            ;   in Loop: Header=BB120_74 Depth=2
	s_or_b32 exec_lo, exec_lo, s17
	s_delay_alu instid0(SALU_CYCLE_1)
	s_mov_b32 s17, exec_lo
	v_cmpx_gt_u32_e64 s35, v73
	s_cbranch_execz .LBB120_79
.LBB120_181:                            ;   in Loop: Header=BB120_74 Depth=2
	global_load_u8 v2, v[22:23], off offset:32
	s_waitcnt vmcnt(0)
	v_perm_b32 v20, v20, v2, 0x7060004
	s_or_b32 exec_lo, exec_lo, s17
	s_delay_alu instid0(SALU_CYCLE_1)
	s_mov_b32 s17, exec_lo
	v_cmpx_gt_u32_e64 s35, v74
	s_cbranch_execnz .LBB120_80
.LBB120_182:                            ;   in Loop: Header=BB120_74 Depth=2
	s_or_b32 exec_lo, exec_lo, s17
	s_delay_alu instid0(SALU_CYCLE_1)
	s_mov_b32 s17, exec_lo
	v_cmpx_gt_u32_e64 s35, v75
	s_cbranch_execz .LBB120_81
.LBB120_183:                            ;   in Loop: Header=BB120_74 Depth=2
	global_load_u8 v2, v[22:23], off offset:96
	v_lshrrev_b32_e32 v24, 16, v20
	s_delay_alu instid0(VALU_DEP_1) | instskip(SKIP_2) | instid1(VALU_DEP_1)
	v_and_b32_e32 v24, 0xff, v24
	s_waitcnt vmcnt(0)
	v_lshlrev_b16 v2, 8, v2
	v_or_b32_e32 v2, v24, v2
	s_delay_alu instid0(VALU_DEP_1) | instskip(NEXT) | instid1(VALU_DEP_1)
	v_lshlrev_b32_e32 v2, 16, v2
	v_and_or_b32 v20, 0xffff, v20, v2
	s_or_b32 exec_lo, exec_lo, s17
	s_delay_alu instid0(SALU_CYCLE_1)
	s_mov_b32 s17, exec_lo
	v_cmpx_gt_u32_e64 s35, v76
	s_cbranch_execnz .LBB120_82
.LBB120_184:                            ;   in Loop: Header=BB120_74 Depth=2
	s_or_b32 exec_lo, exec_lo, s17
	s_delay_alu instid0(SALU_CYCLE_1)
	s_mov_b32 s17, exec_lo
	v_cmpx_gt_u32_e64 s35, v77
	s_cbranch_execz .LBB120_83
.LBB120_185:                            ;   in Loop: Header=BB120_74 Depth=2
	global_load_u8 v2, v[22:23], off offset:160
	s_waitcnt vmcnt(0)
	v_perm_b32 v21, v21, v2, 0x7060004
	s_or_b32 exec_lo, exec_lo, s17
	s_delay_alu instid0(SALU_CYCLE_1)
	s_mov_b32 s17, exec_lo
	v_cmpx_gt_u32_e64 s35, v78
	s_cbranch_execnz .LBB120_84
	s_branch .LBB120_85
.LBB120_186:                            ;   in Loop: Header=BB120_20 Depth=1
	s_waitcnt lgkmcnt(0)
	s_mov_b32 s0, 0
	s_barrier
.LBB120_187:                            ;   in Loop: Header=BB120_20 Depth=1
	s_and_b32 vcc_lo, exec_lo, s0
	s_cbranch_vccz .LBB120_353
; %bb.188:                              ;   in Loop: Header=BB120_20 Depth=1
	s_mov_b32 s0, s34
	s_mov_b32 s9, s28
	s_barrier
	buffer_gl0_inv
                                        ; implicit-def: $vgpr2
                                        ; implicit-def: $vgpr6
                                        ; implicit-def: $vgpr7
                                        ; implicit-def: $vgpr8
                                        ; implicit-def: $vgpr9
                                        ; implicit-def: $vgpr10
                                        ; implicit-def: $vgpr11
                                        ; implicit-def: $vgpr12
	s_branch .LBB120_190
.LBB120_189:                            ;   in Loop: Header=BB120_190 Depth=2
	s_or_b32 exec_lo, exec_lo, s8
	s_addk_i32 s0, 0xf800
	s_cmp_ge_u32 s1, s29
	s_mov_b32 s9, s1
	s_cbranch_scc1 .LBB120_228
.LBB120_190:                            ;   Parent Loop BB120_20 Depth=1
                                        ; =>  This Inner Loop Header: Depth=2
	s_add_i32 s1, s9, 0x800
	s_delay_alu instid0(SALU_CYCLE_1)
	s_cmp_gt_u32 s1, s29
	s_cbranch_scc1 .LBB120_193
; %bb.191:                              ;   in Loop: Header=BB120_190 Depth=2
	v_add_co_u32 v4, vcc_lo, v53, s9
	v_add_co_ci_u32_e32 v5, vcc_lo, 0, v54, vcc_lo
	s_mov_b32 s8, -1
	s_movk_i32 s12, 0x800
	s_clause 0x6
	global_load_u8 v20, v[4:5], off offset:1536
	global_load_u8 v19, v[4:5], off offset:1280
	;; [unrolled: 1-line block ×6, first 2 shown]
	global_load_u8 v14, v[4:5], off
	v_add_co_u32 v4, vcc_lo, 0x700, v4
	v_add_co_ci_u32_e32 v5, vcc_lo, 0, v5, vcc_lo
	s_cbranch_execz .LBB120_194
; %bb.192:                              ;   in Loop: Header=BB120_190 Depth=2
                                        ; implicit-def: $vgpr2
                                        ; implicit-def: $vgpr6
                                        ; implicit-def: $vgpr7
                                        ; implicit-def: $vgpr8
                                        ; implicit-def: $vgpr9
                                        ; implicit-def: $vgpr10
                                        ; implicit-def: $vgpr11
                                        ; implicit-def: $vgpr12
	v_mov_b32_e32 v13, s0
	s_and_saveexec_b32 s9, s8
	s_cbranch_execnz .LBB120_205
	s_branch .LBB120_206
.LBB120_193:                            ;   in Loop: Header=BB120_190 Depth=2
	s_mov_b32 s8, 0
                                        ; implicit-def: $sgpr12
                                        ; implicit-def: $vgpr14
                                        ; implicit-def: $vgpr15
                                        ; implicit-def: $vgpr16
                                        ; implicit-def: $vgpr17
                                        ; implicit-def: $vgpr18
                                        ; implicit-def: $vgpr19
                                        ; implicit-def: $vgpr20
                                        ; implicit-def: $vgpr4_vgpr5
.LBB120_194:                            ;   in Loop: Header=BB120_190 Depth=2
	s_add_u32 s10, s38, s9
	s_addc_u32 s11, s39, 0
	s_mov_b32 s12, exec_lo
	v_cmpx_gt_u32_e64 s0, v1
	s_cbranch_execz .LBB120_222
; %bb.195:                              ;   in Loop: Header=BB120_190 Depth=2
	v_add_co_u32 v4, s13, s10, v1
	s_delay_alu instid0(VALU_DEP_1) | instskip(SKIP_2) | instid1(SALU_CYCLE_1)
	v_add_co_ci_u32_e64 v5, null, s11, 0, s13
	global_load_u8 v2, v[4:5], off
	s_or_b32 exec_lo, exec_lo, s12
	s_mov_b32 s12, exec_lo
	v_cmpx_gt_u32_e64 s0, v29
	s_cbranch_execnz .LBB120_223
.LBB120_196:                            ;   in Loop: Header=BB120_190 Depth=2
	s_or_b32 exec_lo, exec_lo, s12
	s_delay_alu instid0(SALU_CYCLE_1)
	s_mov_b32 s12, exec_lo
	v_cmpx_gt_u32_e64 s0, v30
	s_cbranch_execz .LBB120_224
.LBB120_197:                            ;   in Loop: Header=BB120_190 Depth=2
	v_add_co_u32 v4, s13, s10, v1
	s_delay_alu instid0(VALU_DEP_1) | instskip(SKIP_2) | instid1(SALU_CYCLE_1)
	v_add_co_ci_u32_e64 v5, null, s11, 0, s13
	global_load_u8 v7, v[4:5], off offset:512
	s_or_b32 exec_lo, exec_lo, s12
	s_mov_b32 s12, exec_lo
	v_cmpx_gt_u32_e64 s0, v31
	s_cbranch_execnz .LBB120_225
.LBB120_198:                            ;   in Loop: Header=BB120_190 Depth=2
	s_or_b32 exec_lo, exec_lo, s12
	s_delay_alu instid0(SALU_CYCLE_1)
	s_mov_b32 s12, exec_lo
	v_cmpx_gt_u32_e64 s0, v35
	s_cbranch_execz .LBB120_226
.LBB120_199:                            ;   in Loop: Header=BB120_190 Depth=2
	v_add_co_u32 v4, s13, s10, v1
	s_delay_alu instid0(VALU_DEP_1) | instskip(SKIP_2) | instid1(SALU_CYCLE_1)
	v_add_co_ci_u32_e64 v5, null, s11, 0, s13
	global_load_u8 v9, v[4:5], off offset:1024
	s_or_b32 exec_lo, exec_lo, s12
	s_mov_b32 s12, exec_lo
	v_cmpx_gt_u32_e64 s0, v36
	s_cbranch_execnz .LBB120_227
.LBB120_200:                            ;   in Loop: Header=BB120_190 Depth=2
	s_or_b32 exec_lo, exec_lo, s12
	s_delay_alu instid0(SALU_CYCLE_1)
	s_mov_b32 s12, exec_lo
	v_cmpx_gt_u32_e64 s0, v37
	s_cbranch_execz .LBB120_202
.LBB120_201:                            ;   in Loop: Header=BB120_190 Depth=2
	v_add_co_u32 v4, s13, s10, v1
	s_delay_alu instid0(VALU_DEP_1)
	v_add_co_ci_u32_e64 v5, null, s11, 0, s13
	global_load_u8 v11, v[4:5], off offset:1536
.LBB120_202:                            ;   in Loop: Header=BB120_190 Depth=2
	s_or_b32 exec_lo, exec_lo, s12
	s_delay_alu instid0(SALU_CYCLE_1)
	s_mov_b32 s13, exec_lo
                                        ; implicit-def: $sgpr12
                                        ; implicit-def: $vgpr4_vgpr5
	v_cmpx_gt_u32_e64 s0, v39
; %bb.203:                              ;   in Loop: Header=BB120_190 Depth=2
	v_add_co_u32 v4, s10, s10, v1
	s_delay_alu instid0(VALU_DEP_1) | instskip(SKIP_1) | instid1(VALU_DEP_2)
	v_add_co_ci_u32_e64 v5, null, s11, 0, s10
	s_sub_i32 s12, s29, s9
	v_add_co_u32 v4, vcc_lo, 0x700, v4
	s_delay_alu instid0(VALU_DEP_2)
	v_add_co_ci_u32_e32 v5, vcc_lo, 0, v5, vcc_lo
	s_or_b32 s8, s8, exec_lo
                                        ; implicit-def: $vgpr12
; %bb.204:                              ;   in Loop: Header=BB120_190 Depth=2
	s_or_b32 exec_lo, exec_lo, s13
	s_waitcnt vmcnt(0)
	v_dual_mov_b32 v14, v2 :: v_dual_mov_b32 v17, v8
	v_dual_mov_b32 v15, v6 :: v_dual_mov_b32 v16, v7
	;; [unrolled: 1-line block ×4, first 2 shown]
	s_and_saveexec_b32 s9, s8
	s_cbranch_execz .LBB120_206
.LBB120_205:                            ;   in Loop: Header=BB120_190 Depth=2
	global_load_u8 v12, v[4:5], off
	s_waitcnt vmcnt(1)
	v_dual_mov_b32 v13, s12 :: v_dual_mov_b32 v2, v14
	v_dual_mov_b32 v6, v15 :: v_dual_mov_b32 v7, v16
	;; [unrolled: 1-line block ×4, first 2 shown]
.LBB120_206:                            ;   in Loop: Header=BB120_190 Depth=2
	s_or_b32 exec_lo, exec_lo, s9
	s_delay_alu instid0(SALU_CYCLE_1)
	s_mov_b32 s8, exec_lo
	v_cmpx_lt_u32_e64 v1, v13
	s_cbranch_execz .LBB120_214
; %bb.207:                              ;   in Loop: Header=BB120_190 Depth=2
	v_xor_b32_e32 v4, -1, v2
	v_lshlrev_b32_e32 v5, 2, v32
	s_delay_alu instid0(VALU_DEP_2) | instskip(NEXT) | instid1(VALU_DEP_1)
	v_and_b32_e32 v4, 0xff, v4
	v_lshrrev_b32_e32 v4, s30, v4
	s_delay_alu instid0(VALU_DEP_1) | instskip(NEXT) | instid1(VALU_DEP_1)
	v_and_b32_e32 v4, s31, v4
	v_lshl_or_b32 v4, v4, 4, v5
	ds_add_u32 v4, v66
	s_or_b32 exec_lo, exec_lo, s8
	s_delay_alu instid0(SALU_CYCLE_1)
	s_mov_b32 s8, exec_lo
	v_cmpx_lt_u32_e64 v29, v13
	s_cbranch_execnz .LBB120_215
.LBB120_208:                            ;   in Loop: Header=BB120_190 Depth=2
	s_or_b32 exec_lo, exec_lo, s8
	s_delay_alu instid0(SALU_CYCLE_1)
	s_mov_b32 s8, exec_lo
	v_cmpx_lt_u32_e64 v30, v13
	s_cbranch_execz .LBB120_216
.LBB120_209:                            ;   in Loop: Header=BB120_190 Depth=2
	v_xor_b32_e32 v4, -1, v7
	v_lshlrev_b32_e32 v5, 2, v32
	s_delay_alu instid0(VALU_DEP_2) | instskip(NEXT) | instid1(VALU_DEP_1)
	v_and_b32_e32 v4, 0xff, v4
	v_lshrrev_b32_e32 v4, s30, v4
	s_delay_alu instid0(VALU_DEP_1) | instskip(NEXT) | instid1(VALU_DEP_1)
	v_and_b32_e32 v4, s31, v4
	v_lshl_or_b32 v4, v4, 4, v5
	ds_add_u32 v4, v66
	s_or_b32 exec_lo, exec_lo, s8
	s_delay_alu instid0(SALU_CYCLE_1)
	s_mov_b32 s8, exec_lo
	v_cmpx_lt_u32_e64 v31, v13
	s_cbranch_execnz .LBB120_217
.LBB120_210:                            ;   in Loop: Header=BB120_190 Depth=2
	s_or_b32 exec_lo, exec_lo, s8
	s_delay_alu instid0(SALU_CYCLE_1)
	s_mov_b32 s8, exec_lo
	v_cmpx_lt_u32_e64 v35, v13
	s_cbranch_execz .LBB120_218
.LBB120_211:                            ;   in Loop: Header=BB120_190 Depth=2
	v_xor_b32_e32 v4, -1, v9
	v_lshlrev_b32_e32 v5, 2, v32
	s_delay_alu instid0(VALU_DEP_2) | instskip(NEXT) | instid1(VALU_DEP_1)
	v_and_b32_e32 v4, 0xff, v4
	v_lshrrev_b32_e32 v4, s30, v4
	s_delay_alu instid0(VALU_DEP_1) | instskip(NEXT) | instid1(VALU_DEP_1)
	v_and_b32_e32 v4, s31, v4
	v_lshl_or_b32 v4, v4, 4, v5
	ds_add_u32 v4, v66
	s_or_b32 exec_lo, exec_lo, s8
	s_delay_alu instid0(SALU_CYCLE_1)
	s_mov_b32 s8, exec_lo
	v_cmpx_lt_u32_e64 v36, v13
	s_cbranch_execnz .LBB120_219
.LBB120_212:                            ;   in Loop: Header=BB120_190 Depth=2
	s_or_b32 exec_lo, exec_lo, s8
	s_delay_alu instid0(SALU_CYCLE_1)
	s_mov_b32 s8, exec_lo
	v_cmpx_lt_u32_e64 v37, v13
	s_cbranch_execz .LBB120_220
.LBB120_213:                            ;   in Loop: Header=BB120_190 Depth=2
	v_xor_b32_e32 v4, -1, v11
	v_lshlrev_b32_e32 v5, 2, v32
	s_delay_alu instid0(VALU_DEP_2) | instskip(NEXT) | instid1(VALU_DEP_1)
	v_and_b32_e32 v4, 0xff, v4
	v_lshrrev_b32_e32 v4, s30, v4
	s_delay_alu instid0(VALU_DEP_1) | instskip(NEXT) | instid1(VALU_DEP_1)
	v_and_b32_e32 v4, s31, v4
	v_lshl_or_b32 v4, v4, 4, v5
	ds_add_u32 v4, v66
	s_or_b32 exec_lo, exec_lo, s8
	s_delay_alu instid0(SALU_CYCLE_1)
	s_mov_b32 s8, exec_lo
	v_cmpx_lt_u32_e64 v39, v13
	s_cbranch_execz .LBB120_189
	s_branch .LBB120_221
.LBB120_214:                            ;   in Loop: Header=BB120_190 Depth=2
	s_or_b32 exec_lo, exec_lo, s8
	s_delay_alu instid0(SALU_CYCLE_1)
	s_mov_b32 s8, exec_lo
	v_cmpx_lt_u32_e64 v29, v13
	s_cbranch_execz .LBB120_208
.LBB120_215:                            ;   in Loop: Header=BB120_190 Depth=2
	v_xor_b32_e32 v4, -1, v6
	v_lshlrev_b32_e32 v5, 2, v32
	s_delay_alu instid0(VALU_DEP_2) | instskip(NEXT) | instid1(VALU_DEP_1)
	v_and_b32_e32 v4, 0xff, v4
	v_lshrrev_b32_e32 v4, s30, v4
	s_delay_alu instid0(VALU_DEP_1) | instskip(NEXT) | instid1(VALU_DEP_1)
	v_and_b32_e32 v4, s31, v4
	v_lshl_or_b32 v4, v4, 4, v5
	ds_add_u32 v4, v66
	s_or_b32 exec_lo, exec_lo, s8
	s_delay_alu instid0(SALU_CYCLE_1)
	s_mov_b32 s8, exec_lo
	v_cmpx_lt_u32_e64 v30, v13
	s_cbranch_execnz .LBB120_209
.LBB120_216:                            ;   in Loop: Header=BB120_190 Depth=2
	s_or_b32 exec_lo, exec_lo, s8
	s_delay_alu instid0(SALU_CYCLE_1)
	s_mov_b32 s8, exec_lo
	v_cmpx_lt_u32_e64 v31, v13
	s_cbranch_execz .LBB120_210
.LBB120_217:                            ;   in Loop: Header=BB120_190 Depth=2
	v_xor_b32_e32 v4, -1, v8
	v_lshlrev_b32_e32 v5, 2, v32
	s_delay_alu instid0(VALU_DEP_2) | instskip(NEXT) | instid1(VALU_DEP_1)
	v_and_b32_e32 v4, 0xff, v4
	v_lshrrev_b32_e32 v4, s30, v4
	s_delay_alu instid0(VALU_DEP_1) | instskip(NEXT) | instid1(VALU_DEP_1)
	v_and_b32_e32 v4, s31, v4
	v_lshl_or_b32 v4, v4, 4, v5
	ds_add_u32 v4, v66
	s_or_b32 exec_lo, exec_lo, s8
	s_delay_alu instid0(SALU_CYCLE_1)
	s_mov_b32 s8, exec_lo
	v_cmpx_lt_u32_e64 v35, v13
	s_cbranch_execnz .LBB120_211
.LBB120_218:                            ;   in Loop: Header=BB120_190 Depth=2
	s_or_b32 exec_lo, exec_lo, s8
	s_delay_alu instid0(SALU_CYCLE_1)
	s_mov_b32 s8, exec_lo
	v_cmpx_lt_u32_e64 v36, v13
	s_cbranch_execz .LBB120_212
.LBB120_219:                            ;   in Loop: Header=BB120_190 Depth=2
	v_xor_b32_e32 v4, -1, v10
	v_lshlrev_b32_e32 v5, 2, v32
	s_delay_alu instid0(VALU_DEP_2) | instskip(NEXT) | instid1(VALU_DEP_1)
	v_and_b32_e32 v4, 0xff, v4
	v_lshrrev_b32_e32 v4, s30, v4
	s_delay_alu instid0(VALU_DEP_1) | instskip(NEXT) | instid1(VALU_DEP_1)
	v_and_b32_e32 v4, s31, v4
	v_lshl_or_b32 v4, v4, 4, v5
	ds_add_u32 v4, v66
	s_or_b32 exec_lo, exec_lo, s8
	s_delay_alu instid0(SALU_CYCLE_1)
	s_mov_b32 s8, exec_lo
	v_cmpx_lt_u32_e64 v37, v13
	s_cbranch_execnz .LBB120_213
.LBB120_220:                            ;   in Loop: Header=BB120_190 Depth=2
	s_or_b32 exec_lo, exec_lo, s8
	s_delay_alu instid0(SALU_CYCLE_1)
	s_mov_b32 s8, exec_lo
	v_cmpx_lt_u32_e64 v39, v13
	s_cbranch_execz .LBB120_189
.LBB120_221:                            ;   in Loop: Header=BB120_190 Depth=2
	s_waitcnt vmcnt(0)
	v_xor_b32_e32 v4, -1, v12
	v_lshlrev_b32_e32 v5, 2, v32
	s_delay_alu instid0(VALU_DEP_2) | instskip(NEXT) | instid1(VALU_DEP_1)
	v_and_b32_e32 v4, 0xff, v4
	v_lshrrev_b32_e32 v4, s30, v4
	s_delay_alu instid0(VALU_DEP_1) | instskip(NEXT) | instid1(VALU_DEP_1)
	v_and_b32_e32 v4, s31, v4
	v_lshl_or_b32 v4, v4, 4, v5
	ds_add_u32 v4, v66
	s_branch .LBB120_189
.LBB120_222:                            ;   in Loop: Header=BB120_190 Depth=2
	s_or_b32 exec_lo, exec_lo, s12
	s_delay_alu instid0(SALU_CYCLE_1)
	s_mov_b32 s12, exec_lo
	v_cmpx_gt_u32_e64 s0, v29
	s_cbranch_execz .LBB120_196
.LBB120_223:                            ;   in Loop: Header=BB120_190 Depth=2
	v_add_co_u32 v4, s13, s10, v1
	s_delay_alu instid0(VALU_DEP_1) | instskip(SKIP_2) | instid1(SALU_CYCLE_1)
	v_add_co_ci_u32_e64 v5, null, s11, 0, s13
	global_load_u8 v6, v[4:5], off offset:256
	s_or_b32 exec_lo, exec_lo, s12
	s_mov_b32 s12, exec_lo
	v_cmpx_gt_u32_e64 s0, v30
	s_cbranch_execnz .LBB120_197
.LBB120_224:                            ;   in Loop: Header=BB120_190 Depth=2
	s_or_b32 exec_lo, exec_lo, s12
	s_delay_alu instid0(SALU_CYCLE_1)
	s_mov_b32 s12, exec_lo
	v_cmpx_gt_u32_e64 s0, v31
	s_cbranch_execz .LBB120_198
.LBB120_225:                            ;   in Loop: Header=BB120_190 Depth=2
	v_add_co_u32 v4, s13, s10, v1
	s_delay_alu instid0(VALU_DEP_1) | instskip(SKIP_2) | instid1(SALU_CYCLE_1)
	v_add_co_ci_u32_e64 v5, null, s11, 0, s13
	global_load_u8 v8, v[4:5], off offset:768
	s_or_b32 exec_lo, exec_lo, s12
	s_mov_b32 s12, exec_lo
	v_cmpx_gt_u32_e64 s0, v35
	s_cbranch_execnz .LBB120_199
.LBB120_226:                            ;   in Loop: Header=BB120_190 Depth=2
	s_or_b32 exec_lo, exec_lo, s12
	s_delay_alu instid0(SALU_CYCLE_1)
	s_mov_b32 s12, exec_lo
	v_cmpx_gt_u32_e64 s0, v36
	s_cbranch_execz .LBB120_200
.LBB120_227:                            ;   in Loop: Header=BB120_190 Depth=2
	v_add_co_u32 v4, s13, s10, v1
	s_delay_alu instid0(VALU_DEP_1) | instskip(SKIP_2) | instid1(SALU_CYCLE_1)
	v_add_co_ci_u32_e64 v5, null, s11, 0, s13
	global_load_u8 v10, v[4:5], off offset:1280
	s_or_b32 exec_lo, exec_lo, s12
	s_mov_b32 s12, exec_lo
	v_cmpx_gt_u32_e64 s0, v37
	s_cbranch_execz .LBB120_202
	s_branch .LBB120_201
.LBB120_228:                            ;   in Loop: Header=BB120_20 Depth=1
	v_mov_b32_e32 v2, 0
	s_waitcnt vmcnt(0) lgkmcnt(0)
	s_barrier
	buffer_gl0_inv
	s_and_saveexec_b32 s0, s2
	s_cbranch_execz .LBB120_230
; %bb.229:                              ;   in Loop: Header=BB120_20 Depth=1
	ds_load_2addr_b64 v[4:7], v40 offset1:1
	s_waitcnt lgkmcnt(0)
	v_add_nc_u32_e32 v2, v5, v4
	s_delay_alu instid0(VALU_DEP_1)
	v_add3_u32 v2, v2, v6, v7
.LBB120_230:                            ;   in Loop: Header=BB120_20 Depth=1
	s_or_b32 exec_lo, exec_lo, s0
	v_and_b32_e32 v4, 15, v63
	s_delay_alu instid0(VALU_DEP_2) | instskip(SKIP_1) | instid1(VALU_DEP_3)
	v_mov_b32_dpp v5, v2 row_shr:1 row_mask:0xf bank_mask:0xf
	v_and_b32_e32 v6, 16, v63
	v_cmp_eq_u32_e64 s0, 0, v4
	v_cmp_lt_u32_e64 s1, 1, v4
	v_cmp_lt_u32_e64 s8, 3, v4
	;; [unrolled: 1-line block ×3, first 2 shown]
	v_cmp_eq_u32_e64 s10, 0, v6
	v_cndmask_b32_e64 v5, v5, 0, s0
	s_delay_alu instid0(VALU_DEP_1) | instskip(NEXT) | instid1(VALU_DEP_1)
	v_add_nc_u32_e32 v2, v5, v2
	v_mov_b32_dpp v5, v2 row_shr:2 row_mask:0xf bank_mask:0xf
	s_delay_alu instid0(VALU_DEP_1) | instskip(NEXT) | instid1(VALU_DEP_1)
	v_cndmask_b32_e64 v5, 0, v5, s1
	v_add_nc_u32_e32 v2, v2, v5
	s_delay_alu instid0(VALU_DEP_1) | instskip(NEXT) | instid1(VALU_DEP_1)
	v_mov_b32_dpp v5, v2 row_shr:4 row_mask:0xf bank_mask:0xf
	v_cndmask_b32_e64 v5, 0, v5, s8
	s_delay_alu instid0(VALU_DEP_1) | instskip(NEXT) | instid1(VALU_DEP_1)
	v_add_nc_u32_e32 v2, v2, v5
	v_mov_b32_dpp v5, v2 row_shr:8 row_mask:0xf bank_mask:0xf
	s_delay_alu instid0(VALU_DEP_1) | instskip(SKIP_1) | instid1(VALU_DEP_2)
	v_cndmask_b32_e64 v4, 0, v5, s9
	v_bfe_i32 v5, v63, 4, 1
	v_add_nc_u32_e32 v2, v2, v4
	ds_swizzle_b32 v4, v2 offset:swizzle(BROADCAST,32,15)
	s_waitcnt lgkmcnt(0)
	v_and_b32_e32 v4, v5, v4
	s_delay_alu instid0(VALU_DEP_1)
	v_add_nc_u32_e32 v4, v2, v4
	s_and_saveexec_b32 s11, s3
	s_cbranch_execz .LBB120_232
; %bb.231:                              ;   in Loop: Header=BB120_20 Depth=1
	ds_store_b32 v41, v4
.LBB120_232:                            ;   in Loop: Header=BB120_20 Depth=1
	s_or_b32 exec_lo, exec_lo, s11
	v_and_b32_e32 v2, 7, v63
	s_waitcnt lgkmcnt(0)
	s_barrier
	buffer_gl0_inv
	s_and_saveexec_b32 s11, s4
	s_cbranch_execz .LBB120_234
; %bb.233:                              ;   in Loop: Header=BB120_20 Depth=1
	ds_load_b32 v5, v42
	v_cmp_ne_u32_e32 vcc_lo, 0, v2
	s_waitcnt lgkmcnt(0)
	v_mov_b32_dpp v6, v5 row_shr:1 row_mask:0xf bank_mask:0xf
	s_delay_alu instid0(VALU_DEP_1) | instskip(SKIP_1) | instid1(VALU_DEP_2)
	v_cndmask_b32_e32 v6, 0, v6, vcc_lo
	v_cmp_lt_u32_e32 vcc_lo, 1, v2
	v_add_nc_u32_e32 v5, v6, v5
	s_delay_alu instid0(VALU_DEP_1) | instskip(NEXT) | instid1(VALU_DEP_1)
	v_mov_b32_dpp v6, v5 row_shr:2 row_mask:0xf bank_mask:0xf
	v_cndmask_b32_e32 v6, 0, v6, vcc_lo
	v_cmp_lt_u32_e32 vcc_lo, 3, v2
	s_delay_alu instid0(VALU_DEP_2) | instskip(NEXT) | instid1(VALU_DEP_1)
	v_add_nc_u32_e32 v5, v5, v6
	v_mov_b32_dpp v6, v5 row_shr:4 row_mask:0xf bank_mask:0xf
	s_delay_alu instid0(VALU_DEP_1) | instskip(NEXT) | instid1(VALU_DEP_1)
	v_cndmask_b32_e32 v6, 0, v6, vcc_lo
	v_add_nc_u32_e32 v5, v5, v6
	ds_store_b32 v42, v5
.LBB120_234:                            ;   in Loop: Header=BB120_20 Depth=1
	s_or_b32 exec_lo, exec_lo, s11
	v_mov_b32_e32 v5, 0
	s_waitcnt lgkmcnt(0)
	s_barrier
	buffer_gl0_inv
	s_and_saveexec_b32 s11, s5
	s_cbranch_execz .LBB120_236
; %bb.235:                              ;   in Loop: Header=BB120_20 Depth=1
	ds_load_b32 v5, v43
.LBB120_236:                            ;   in Loop: Header=BB120_20 Depth=1
	s_or_b32 exec_lo, exec_lo, s11
	v_add_nc_u32_e32 v6, -1, v63
	s_waitcnt lgkmcnt(0)
	v_add_nc_u32_e32 v4, v5, v4
	v_cmp_eq_u32_e64 s11, 0, v63
	s_barrier
	v_cmp_gt_i32_e32 vcc_lo, 0, v6
	buffer_gl0_inv
	v_cndmask_b32_e32 v6, v6, v63, vcc_lo
	s_delay_alu instid0(VALU_DEP_1)
	v_lshlrev_b32_e32 v69, 2, v6
	ds_bpermute_b32 v4, v69, v4
	s_and_saveexec_b32 s12, s2
	s_cbranch_execz .LBB120_238
; %bb.237:                              ;   in Loop: Header=BB120_20 Depth=1
	s_waitcnt lgkmcnt(0)
	v_cndmask_b32_e64 v4, v4, v5, s11
	s_delay_alu instid0(VALU_DEP_1)
	v_add_nc_u32_e32 v4, s28, v4
	ds_store_b32 v28, v4
.LBB120_238:                            ;   in Loop: Header=BB120_20 Depth=1
	s_or_b32 exec_lo, exec_lo, s12
	s_load_b64 s[12:13], s[26:27], 0x0
	v_add_co_u32 v71, vcc_lo, v57, v63
	v_add_co_ci_u32_e32 v72, vcc_lo, 0, v58, vcc_lo
	v_or_b32_e32 v70, v63, v44
	s_mov_b32 s35, s34
	s_mov_b32 s24, s28
                                        ; implicit-def: $vgpr8_vgpr9
                                        ; implicit-def: $vgpr10_vgpr11
                                        ; implicit-def: $vgpr12_vgpr13
                                        ; implicit-def: $vgpr14_vgpr15
                                        ; implicit-def: $vgpr16_vgpr17
                                        ; implicit-def: $vgpr18_vgpr19
                                        ; implicit-def: $vgpr85
                                        ; implicit-def: $vgpr86
                                        ; implicit-def: $vgpr87
                                        ; implicit-def: $vgpr88
                                        ; implicit-def: $vgpr89
                                        ; implicit-def: $vgpr90
                                        ; implicit-def: $vgpr91
                                        ; implicit-def: $vgpr92
	s_delay_alu instid0(VALU_DEP_1)
	v_or_b32_e32 v75, 32, v70
	v_or_b32_e32 v76, 64, v70
	;; [unrolled: 1-line block ×7, first 2 shown]
	s_waitcnt lgkmcnt(0)
	s_cmp_lt_u32 s15, s13
	s_cselect_b32 s13, 14, 20
	s_delay_alu instid0(SALU_CYCLE_1) | instskip(SKIP_4) | instid1(SALU_CYCLE_1)
	s_add_u32 s16, s26, s13
	s_addc_u32 s17, s27, 0
	s_cmp_lt_u32 s14, s12
	global_load_u16 v4, v3, s[16:17]
	s_cselect_b32 s12, 12, 18
	s_add_u32 s12, s26, s12
	s_addc_u32 s13, s27, 0
	global_load_u16 v6, v3, s[12:13]
	v_cmp_eq_u32_e64 s12, 0, v2
	v_cmp_lt_u32_e64 s13, 1, v2
	v_cmp_lt_u32_e64 s16, 3, v2
	v_lshlrev_b32_e32 v2, 3, v63
	s_delay_alu instid0(VALU_DEP_1)
	v_add_co_u32 v73, vcc_lo, v55, v2
	v_add_co_ci_u32_e32 v74, vcc_lo, 0, v56, vcc_lo
	v_add_co_u32 v83, vcc_lo, 0xe0, v71
	v_add_co_ci_u32_e32 v84, vcc_lo, 0, v72, vcc_lo
	s_waitcnt vmcnt(1)
	v_mad_u32_u24 v7, v45, v4, v0
	s_waitcnt vmcnt(0)
	s_delay_alu instid0(VALU_DEP_1) | instskip(NEXT) | instid1(VALU_DEP_1)
	v_mad_u64_u32 v[4:5], null, v7, v6, v[1:2]
                                        ; implicit-def: $vgpr6_vgpr7
	v_lshrrev_b32_e32 v82, 5, v4
                                        ; implicit-def: $vgpr4_vgpr5
	s_branch .LBB120_240
.LBB120_239:                            ;   in Loop: Header=BB120_240 Depth=2
	s_or_b32 exec_lo, exec_lo, s17
	s_addk_i32 s35, 0xf800
	s_cmp_lt_u32 s42, s29
	s_mov_b32 s24, s42
	s_cbranch_scc0 .LBB120_352
.LBB120_240:                            ;   Parent Loop BB120_20 Depth=1
                                        ; =>  This Inner Loop Header: Depth=2
	s_add_i32 s42, s24, 0x800
	s_delay_alu instid0(SALU_CYCLE_1)
	s_cmp_gt_u32 s42, s29
	s_cbranch_scc1 .LBB120_242
; %bb.241:                              ;   in Loop: Header=BB120_240 Depth=2
	v_add_co_u32 v20, vcc_lo, v71, s24
	v_add_co_ci_u32_e32 v21, vcc_lo, 0, v72, vcc_lo
	s_mov_b32 s19, 0
	s_mov_b32 s18, s24
	s_mov_b32 s20, -1
	s_clause 0x6
	global_load_u8 v2, v[20:21], off offset:32
	global_load_u8 v22, v[20:21], off offset:96
	;; [unrolled: 1-line block ×3, first 2 shown]
	global_load_u8 v24, v[20:21], off
	global_load_u8 v25, v[20:21], off offset:64
	global_load_u8 v26, v[20:21], off offset:128
	;; [unrolled: 1-line block ×3, first 2 shown]
	s_movk_i32 s17, 0x800
	s_waitcnt vmcnt(6)
	v_lshlrev_b16 v2, 8, v2
	s_waitcnt vmcnt(5)
	v_lshlrev_b16 v20, 8, v22
	;; [unrolled: 2-line block ×3, first 2 shown]
	s_waitcnt vmcnt(3)
	v_or_b32_e32 v2, v24, v2
	s_waitcnt vmcnt(2)
	v_or_b32_e32 v20, v25, v20
	;; [unrolled: 2-line block ×3, first 2 shown]
	v_and_b32_e32 v2, 0xffff, v2
	s_delay_alu instid0(VALU_DEP_3) | instskip(NEXT) | instid1(VALU_DEP_3)
	v_lshlrev_b32_e32 v20, 16, v20
	v_and_b32_e32 v22, 0xffff, v22
	s_delay_alu instid0(VALU_DEP_2) | instskip(SKIP_1) | instid1(VALU_DEP_2)
	v_or_b32_e32 v20, v2, v20
	s_waitcnt vmcnt(0)
	v_lshl_or_b32 v21, v21, 16, v22
	s_cbranch_execz .LBB120_243
	s_branch .LBB120_252
.LBB120_242:                            ;   in Loop: Header=BB120_240 Depth=2
	s_mov_b32 s19, -1
	s_mov_b32 s20, 0
                                        ; implicit-def: $sgpr17
                                        ; implicit-def: $vgpr20_vgpr21
.LBB120_243:                            ;   in Loop: Header=BB120_240 Depth=2
	v_add_co_u32 v22, vcc_lo, v71, s24
	s_mov_b32 s18, s25
	s_mov_b32 s19, s25
	v_add_co_ci_u32_e32 v23, vcc_lo, 0, v72, vcc_lo
	v_dual_mov_b32 v21, s19 :: v_dual_mov_b32 v20, s18
	s_mov_b32 s17, exec_lo
	v_cmpx_gt_u32_e64 s35, v70
	s_cbranch_execz .LBB120_346
; %bb.244:                              ;   in Loop: Header=BB120_240 Depth=2
	global_load_u8 v2, v[22:23], off
	s_waitcnt vmcnt(0)
	v_dual_mov_b32 v21, s25 :: v_dual_and_b32 v20, 0xffff, v2
	s_or_b32 exec_lo, exec_lo, s17
	s_delay_alu instid0(SALU_CYCLE_1)
	s_mov_b32 s17, exec_lo
	v_cmpx_gt_u32_e64 s35, v75
	s_cbranch_execnz .LBB120_347
.LBB120_245:                            ;   in Loop: Header=BB120_240 Depth=2
	s_or_b32 exec_lo, exec_lo, s17
	s_delay_alu instid0(SALU_CYCLE_1)
	s_mov_b32 s17, exec_lo
	v_cmpx_gt_u32_e64 s35, v76
	s_cbranch_execz .LBB120_348
.LBB120_246:                            ;   in Loop: Header=BB120_240 Depth=2
	global_load_u8 v2, v[22:23], off offset:64
	v_lshrrev_b32_e32 v24, 16, v20
	s_delay_alu instid0(VALU_DEP_1) | instskip(SKIP_1) | instid1(VALU_DEP_1)
	v_and_b32_e32 v24, 0xffffff00, v24
	s_waitcnt vmcnt(0)
	v_or_b32_e32 v2, v2, v24
	s_delay_alu instid0(VALU_DEP_1) | instskip(NEXT) | instid1(VALU_DEP_1)
	v_lshlrev_b32_e32 v2, 16, v2
	v_and_or_b32 v20, 0xffff, v20, v2
	s_or_b32 exec_lo, exec_lo, s17
	s_delay_alu instid0(SALU_CYCLE_1)
	s_mov_b32 s17, exec_lo
	v_cmpx_gt_u32_e64 s35, v77
	s_cbranch_execnz .LBB120_349
.LBB120_247:                            ;   in Loop: Header=BB120_240 Depth=2
	s_or_b32 exec_lo, exec_lo, s17
	s_delay_alu instid0(SALU_CYCLE_1)
	s_mov_b32 s17, exec_lo
	v_cmpx_gt_u32_e64 s35, v78
	s_cbranch_execz .LBB120_350
.LBB120_248:                            ;   in Loop: Header=BB120_240 Depth=2
	global_load_u8 v2, v[22:23], off offset:128
	s_waitcnt vmcnt(0)
	v_perm_b32 v21, v2, v21, 0x3020104
	s_or_b32 exec_lo, exec_lo, s17
	s_delay_alu instid0(SALU_CYCLE_1)
	s_mov_b32 s17, exec_lo
	v_cmpx_gt_u32_e64 s35, v79
	s_cbranch_execnz .LBB120_351
.LBB120_249:                            ;   in Loop: Header=BB120_240 Depth=2
	s_or_b32 exec_lo, exec_lo, s17
	s_delay_alu instid0(SALU_CYCLE_1)
	s_mov_b32 s17, exec_lo
	v_cmpx_gt_u32_e64 s35, v80
	s_cbranch_execz .LBB120_251
.LBB120_250:                            ;   in Loop: Header=BB120_240 Depth=2
	global_load_u8 v2, v[22:23], off offset:192
	s_waitcnt vmcnt(0)
	v_perm_b32 v21, v21, v2, 0x7000504
.LBB120_251:                            ;   in Loop: Header=BB120_240 Depth=2
	s_or_b32 exec_lo, exec_lo, s17
	v_cmp_gt_u32_e64 s20, s35, v81
	s_sub_i32 s17, s29, s24
	s_mov_b64 s[18:19], s[24:25]
.LBB120_252:                            ;   in Loop: Header=BB120_240 Depth=2
	v_mov_b32_e32 v2, s35
	s_delay_alu instid0(VALU_DEP_2)
	s_and_saveexec_b32 s21, s20
	s_cbranch_execz .LBB120_254
; %bb.253:                              ;   in Loop: Header=BB120_240 Depth=2
	v_add_co_u32 v22, vcc_lo, v83, s18
	v_add_co_ci_u32_e32 v23, vcc_lo, s19, v84, vcc_lo
	global_load_u8 v2, v[22:23], off
	s_waitcnt vmcnt(0)
	v_perm_b32 v21, v21, v2, 0x60504
	v_mov_b32_e32 v2, s17
.LBB120_254:                            ;   in Loop: Header=BB120_240 Depth=2
	s_or_b32 exec_lo, exec_lo, s21
	v_xor_b32_e32 v93, -1, v20
	ds_store_b32 v46, v3 offset:1056
	ds_store_2addr_b32 v47, v3, v3 offset0:1 offset1:2
	ds_store_2addr_b32 v47, v3, v3 offset0:3 offset1:4
	;; [unrolled: 1-line block ×4, first 2 shown]
	s_waitcnt lgkmcnt(0)
	s_barrier
	v_and_b32_e32 v22, 0xff, v93
	buffer_gl0_inv
	; wave barrier
	v_lshrrev_b32_e32 v22, s30, v22
	s_delay_alu instid0(VALU_DEP_1) | instskip(NEXT) | instid1(VALU_DEP_1)
	v_and_b32_e32 v23, s31, v22
	v_and_b32_e32 v22, 1, v23
	v_lshlrev_b32_e32 v24, 30, v23
	v_lshlrev_b32_e32 v25, 29, v23
	;; [unrolled: 1-line block ×4, first 2 shown]
	v_add_co_u32 v22, s17, v22, -1
	s_delay_alu instid0(VALU_DEP_1)
	v_cndmask_b32_e64 v27, 0, 1, s17
	v_not_b32_e32 v97, v24
	v_cmp_gt_i32_e64 s17, 0, v24
	v_not_b32_e32 v24, v25
	v_lshlrev_b32_e32 v95, 26, v23
	v_cmp_ne_u32_e32 vcc_lo, 0, v27
	v_ashrrev_i32_e32 v97, 31, v97
	v_lshlrev_b32_e32 v96, 25, v23
	v_ashrrev_i32_e32 v24, 31, v24
	v_lshlrev_b32_e32 v27, 24, v23
	v_xor_b32_e32 v22, vcc_lo, v22
	v_cmp_gt_i32_e32 vcc_lo, 0, v25
	v_not_b32_e32 v25, v26
	v_xor_b32_e32 v97, s17, v97
	v_cmp_gt_i32_e64 s17, 0, v26
	v_and_b32_e32 v22, exec_lo, v22
	v_not_b32_e32 v26, v94
	v_ashrrev_i32_e32 v25, 31, v25
	v_xor_b32_e32 v24, vcc_lo, v24
	v_cmp_gt_i32_e32 vcc_lo, 0, v94
	v_and_b32_e32 v22, v22, v97
	v_not_b32_e32 v94, v95
	v_ashrrev_i32_e32 v26, 31, v26
	v_xor_b32_e32 v25, s17, v25
	v_cmp_gt_i32_e64 s17, 0, v95
	v_and_b32_e32 v22, v22, v24
	v_not_b32_e32 v24, v96
	v_ashrrev_i32_e32 v94, 31, v94
	v_xor_b32_e32 v26, vcc_lo, v26
	v_cmp_gt_i32_e32 vcc_lo, 0, v96
	v_and_b32_e32 v22, v22, v25
	v_not_b32_e32 v25, v27
	v_ashrrev_i32_e32 v24, 31, v24
	v_xor_b32_e32 v94, s17, v94
	v_cmp_gt_i32_e64 s17, 0, v27
	v_and_b32_e32 v22, v22, v26
	v_ashrrev_i32_e32 v25, 31, v25
	v_xor_b32_e32 v24, vcc_lo, v24
	v_mad_u32_u24 v23, v23, 9, v82
	s_delay_alu instid0(VALU_DEP_4) | instskip(NEXT) | instid1(VALU_DEP_4)
	v_and_b32_e32 v22, v22, v94
	v_xor_b32_e32 v25, s17, v25
	s_delay_alu instid0(VALU_DEP_3) | instskip(NEXT) | instid1(VALU_DEP_3)
	v_lshl_add_u32 v96, v23, 2, 0x420
	v_and_b32_e32 v22, v22, v24
	s_delay_alu instid0(VALU_DEP_1) | instskip(NEXT) | instid1(VALU_DEP_1)
	v_and_b32_e32 v22, v22, v25
	v_mbcnt_lo_u32_b32 v94, v22, 0
	v_cmp_ne_u32_e64 s17, 0, v22
	s_delay_alu instid0(VALU_DEP_2) | instskip(NEXT) | instid1(VALU_DEP_2)
	v_cmp_eq_u32_e32 vcc_lo, 0, v94
	s_and_b32 s18, s17, vcc_lo
	s_delay_alu instid0(SALU_CYCLE_1)
	s_and_saveexec_b32 s17, s18
	s_cbranch_execz .LBB120_256
; %bb.255:                              ;   in Loop: Header=BB120_240 Depth=2
	v_bcnt_u32_b32 v22, v22, 0
	ds_store_b32 v96, v22
.LBB120_256:                            ;   in Loop: Header=BB120_240 Depth=2
	s_or_b32 exec_lo, exec_lo, s17
	v_lshrrev_b32_e32 v22, 8, v20
	; wave barrier
	s_delay_alu instid0(VALU_DEP_1) | instskip(NEXT) | instid1(VALU_DEP_1)
	v_xor_b32_e32 v95, -1, v22
	v_and_b32_e32 v22, 0xff, v95
	s_delay_alu instid0(VALU_DEP_1) | instskip(NEXT) | instid1(VALU_DEP_1)
	v_lshrrev_b32_e32 v22, s30, v22
	v_and_b32_e32 v22, s31, v22
	s_delay_alu instid0(VALU_DEP_1)
	v_and_b32_e32 v23, 1, v22
	v_lshlrev_b32_e32 v24, 30, v22
	v_lshlrev_b32_e32 v25, 29, v22
	;; [unrolled: 1-line block ×4, first 2 shown]
	v_add_co_u32 v23, s17, v23, -1
	s_delay_alu instid0(VALU_DEP_1)
	v_cndmask_b32_e64 v27, 0, 1, s17
	v_not_b32_e32 v100, v24
	v_cmp_gt_i32_e64 s17, 0, v24
	v_not_b32_e32 v24, v25
	v_lshlrev_b32_e32 v98, 26, v22
	v_cmp_ne_u32_e32 vcc_lo, 0, v27
	v_ashrrev_i32_e32 v100, 31, v100
	v_lshlrev_b32_e32 v99, 25, v22
	v_ashrrev_i32_e32 v24, 31, v24
	v_lshlrev_b32_e32 v27, 24, v22
	v_xor_b32_e32 v23, vcc_lo, v23
	v_cmp_gt_i32_e32 vcc_lo, 0, v25
	v_not_b32_e32 v25, v26
	v_xor_b32_e32 v100, s17, v100
	v_cmp_gt_i32_e64 s17, 0, v26
	v_and_b32_e32 v23, exec_lo, v23
	v_not_b32_e32 v26, v97
	v_ashrrev_i32_e32 v25, 31, v25
	v_xor_b32_e32 v24, vcc_lo, v24
	v_cmp_gt_i32_e32 vcc_lo, 0, v97
	v_and_b32_e32 v23, v23, v100
	v_not_b32_e32 v97, v98
	v_ashrrev_i32_e32 v26, 31, v26
	v_xor_b32_e32 v25, s17, v25
	v_cmp_gt_i32_e64 s17, 0, v98
	v_and_b32_e32 v23, v23, v24
	v_not_b32_e32 v24, v99
	v_ashrrev_i32_e32 v97, 31, v97
	v_xor_b32_e32 v26, vcc_lo, v26
	v_cmp_gt_i32_e32 vcc_lo, 0, v99
	v_and_b32_e32 v23, v23, v25
	v_not_b32_e32 v25, v27
	v_ashrrev_i32_e32 v24, 31, v24
	v_xor_b32_e32 v97, s17, v97
	v_mul_u32_u24_e32 v22, 9, v22
	v_and_b32_e32 v23, v23, v26
	v_cmp_gt_i32_e64 s17, 0, v27
	v_ashrrev_i32_e32 v25, 31, v25
	v_xor_b32_e32 v24, vcc_lo, v24
	v_add_lshl_u32 v26, v22, v82, 2
	v_and_b32_e32 v23, v23, v97
	s_delay_alu instid0(VALU_DEP_4) | instskip(SKIP_3) | instid1(VALU_DEP_2)
	v_xor_b32_e32 v22, s17, v25
	ds_load_b32 v97, v26 offset:1056
	v_and_b32_e32 v23, v23, v24
	v_add_nc_u32_e32 v100, 0x420, v26
	; wave barrier
	v_and_b32_e32 v22, v23, v22
	s_delay_alu instid0(VALU_DEP_1) | instskip(SKIP_1) | instid1(VALU_DEP_2)
	v_mbcnt_lo_u32_b32 v98, v22, 0
	v_cmp_ne_u32_e64 s17, 0, v22
	v_cmp_eq_u32_e32 vcc_lo, 0, v98
	s_delay_alu instid0(VALU_DEP_2) | instskip(NEXT) | instid1(SALU_CYCLE_1)
	s_and_b32 s18, s17, vcc_lo
	s_and_saveexec_b32 s17, s18
	s_cbranch_execz .LBB120_258
; %bb.257:                              ;   in Loop: Header=BB120_240 Depth=2
	s_waitcnt lgkmcnt(0)
	v_bcnt_u32_b32 v22, v22, v97
	ds_store_b32 v100, v22
.LBB120_258:                            ;   in Loop: Header=BB120_240 Depth=2
	s_or_b32 exec_lo, exec_lo, s17
	v_lshrrev_b32_e32 v22, 16, v20
	; wave barrier
	s_delay_alu instid0(VALU_DEP_1) | instskip(NEXT) | instid1(VALU_DEP_1)
	v_xor_b32_e32 v99, -1, v22
	v_and_b32_e32 v22, 0xff, v99
	s_delay_alu instid0(VALU_DEP_1) | instskip(NEXT) | instid1(VALU_DEP_1)
	v_lshrrev_b32_e32 v22, s30, v22
	v_and_b32_e32 v22, s31, v22
	s_delay_alu instid0(VALU_DEP_1)
	v_and_b32_e32 v23, 1, v22
	v_lshlrev_b32_e32 v24, 30, v22
	v_lshlrev_b32_e32 v25, 29, v22
	;; [unrolled: 1-line block ×4, first 2 shown]
	v_add_co_u32 v23, s17, v23, -1
	s_delay_alu instid0(VALU_DEP_1)
	v_cndmask_b32_e64 v27, 0, 1, s17
	v_not_b32_e32 v104, v24
	v_cmp_gt_i32_e64 s17, 0, v24
	v_not_b32_e32 v24, v25
	v_lshlrev_b32_e32 v102, 26, v22
	v_cmp_ne_u32_e32 vcc_lo, 0, v27
	v_ashrrev_i32_e32 v104, 31, v104
	v_lshlrev_b32_e32 v103, 25, v22
	v_ashrrev_i32_e32 v24, 31, v24
	v_lshlrev_b32_e32 v27, 24, v22
	v_xor_b32_e32 v23, vcc_lo, v23
	v_cmp_gt_i32_e32 vcc_lo, 0, v25
	v_not_b32_e32 v25, v26
	v_xor_b32_e32 v104, s17, v104
	v_cmp_gt_i32_e64 s17, 0, v26
	v_and_b32_e32 v23, exec_lo, v23
	v_not_b32_e32 v26, v101
	v_ashrrev_i32_e32 v25, 31, v25
	v_xor_b32_e32 v24, vcc_lo, v24
	v_cmp_gt_i32_e32 vcc_lo, 0, v101
	v_and_b32_e32 v23, v23, v104
	v_not_b32_e32 v101, v102
	v_ashrrev_i32_e32 v26, 31, v26
	v_xor_b32_e32 v25, s17, v25
	v_cmp_gt_i32_e64 s17, 0, v102
	v_and_b32_e32 v23, v23, v24
	v_not_b32_e32 v24, v103
	v_ashrrev_i32_e32 v101, 31, v101
	v_xor_b32_e32 v26, vcc_lo, v26
	v_cmp_gt_i32_e32 vcc_lo, 0, v103
	v_and_b32_e32 v23, v23, v25
	v_not_b32_e32 v25, v27
	v_ashrrev_i32_e32 v24, 31, v24
	v_xor_b32_e32 v101, s17, v101
	v_mul_u32_u24_e32 v22, 9, v22
	v_and_b32_e32 v23, v23, v26
	v_cmp_gt_i32_e64 s17, 0, v27
	v_ashrrev_i32_e32 v25, 31, v25
	v_xor_b32_e32 v24, vcc_lo, v24
	v_add_lshl_u32 v26, v22, v82, 2
	v_and_b32_e32 v23, v23, v101
	s_delay_alu instid0(VALU_DEP_4) | instskip(SKIP_3) | instid1(VALU_DEP_2)
	v_xor_b32_e32 v22, s17, v25
	ds_load_b32 v101, v26 offset:1056
	v_and_b32_e32 v23, v23, v24
	v_add_nc_u32_e32 v104, 0x420, v26
	; wave barrier
	v_and_b32_e32 v22, v23, v22
	s_delay_alu instid0(VALU_DEP_1) | instskip(SKIP_1) | instid1(VALU_DEP_2)
	v_mbcnt_lo_u32_b32 v102, v22, 0
	v_cmp_ne_u32_e64 s17, 0, v22
	v_cmp_eq_u32_e32 vcc_lo, 0, v102
	s_delay_alu instid0(VALU_DEP_2) | instskip(NEXT) | instid1(SALU_CYCLE_1)
	s_and_b32 s18, s17, vcc_lo
	s_and_saveexec_b32 s17, s18
	s_cbranch_execz .LBB120_260
; %bb.259:                              ;   in Loop: Header=BB120_240 Depth=2
	s_waitcnt lgkmcnt(0)
	v_bcnt_u32_b32 v22, v22, v101
	ds_store_b32 v104, v22
.LBB120_260:                            ;   in Loop: Header=BB120_240 Depth=2
	s_or_b32 exec_lo, exec_lo, s17
	v_lshrrev_b64 v[22:23], 24, v[20:21]
	; wave barrier
	s_delay_alu instid0(VALU_DEP_1) | instskip(NEXT) | instid1(VALU_DEP_1)
	v_xor_b32_e32 v103, -1, v22
	v_and_b32_e32 v20, 0xff, v103
	s_delay_alu instid0(VALU_DEP_1) | instskip(NEXT) | instid1(VALU_DEP_1)
	v_lshrrev_b32_e32 v20, s30, v20
	v_and_b32_e32 v20, s31, v20
	s_delay_alu instid0(VALU_DEP_1)
	v_and_b32_e32 v22, 1, v20
	v_lshlrev_b32_e32 v23, 30, v20
	v_lshlrev_b32_e32 v24, 29, v20
	;; [unrolled: 1-line block ×4, first 2 shown]
	v_add_co_u32 v22, s17, v22, -1
	s_delay_alu instid0(VALU_DEP_1)
	v_cndmask_b32_e64 v26, 0, 1, s17
	v_not_b32_e32 v107, v23
	v_cmp_gt_i32_e64 s17, 0, v23
	v_not_b32_e32 v23, v24
	v_lshlrev_b32_e32 v105, 26, v20
	v_cmp_ne_u32_e32 vcc_lo, 0, v26
	v_ashrrev_i32_e32 v107, 31, v107
	v_lshlrev_b32_e32 v106, 25, v20
	v_ashrrev_i32_e32 v23, 31, v23
	v_lshlrev_b32_e32 v26, 24, v20
	v_xor_b32_e32 v22, vcc_lo, v22
	v_cmp_gt_i32_e32 vcc_lo, 0, v24
	v_not_b32_e32 v24, v25
	v_xor_b32_e32 v107, s17, v107
	v_cmp_gt_i32_e64 s17, 0, v25
	v_and_b32_e32 v22, exec_lo, v22
	v_not_b32_e32 v25, v27
	v_ashrrev_i32_e32 v24, 31, v24
	v_xor_b32_e32 v23, vcc_lo, v23
	v_cmp_gt_i32_e32 vcc_lo, 0, v27
	v_and_b32_e32 v22, v22, v107
	v_not_b32_e32 v27, v105
	v_ashrrev_i32_e32 v25, 31, v25
	v_xor_b32_e32 v24, s17, v24
	v_cmp_gt_i32_e64 s17, 0, v105
	v_and_b32_e32 v22, v22, v23
	v_not_b32_e32 v23, v106
	v_ashrrev_i32_e32 v27, 31, v27
	v_xor_b32_e32 v25, vcc_lo, v25
	v_cmp_gt_i32_e32 vcc_lo, 0, v106
	v_and_b32_e32 v22, v22, v24
	v_not_b32_e32 v24, v26
	v_ashrrev_i32_e32 v23, 31, v23
	v_xor_b32_e32 v27, s17, v27
	v_mul_u32_u24_e32 v20, 9, v20
	v_and_b32_e32 v22, v22, v25
	v_cmp_gt_i32_e64 s17, 0, v26
	v_ashrrev_i32_e32 v24, 31, v24
	v_xor_b32_e32 v23, vcc_lo, v23
	v_add_lshl_u32 v25, v20, v82, 2
	v_and_b32_e32 v22, v22, v27
	s_delay_alu instid0(VALU_DEP_4) | instskip(SKIP_3) | instid1(VALU_DEP_2)
	v_xor_b32_e32 v20, s17, v24
	ds_load_b32 v105, v25 offset:1056
	v_and_b32_e32 v22, v22, v23
	v_add_nc_u32_e32 v108, 0x420, v25
	; wave barrier
	v_and_b32_e32 v20, v22, v20
	s_delay_alu instid0(VALU_DEP_1) | instskip(SKIP_1) | instid1(VALU_DEP_2)
	v_mbcnt_lo_u32_b32 v106, v20, 0
	v_cmp_ne_u32_e64 s17, 0, v20
	v_cmp_eq_u32_e32 vcc_lo, 0, v106
	s_delay_alu instid0(VALU_DEP_2) | instskip(NEXT) | instid1(SALU_CYCLE_1)
	s_and_b32 s18, s17, vcc_lo
	s_and_saveexec_b32 s17, s18
	s_cbranch_execz .LBB120_262
; %bb.261:                              ;   in Loop: Header=BB120_240 Depth=2
	s_waitcnt lgkmcnt(0)
	v_bcnt_u32_b32 v20, v20, v105
	ds_store_b32 v108, v20
.LBB120_262:                            ;   in Loop: Header=BB120_240 Depth=2
	s_or_b32 exec_lo, exec_lo, s17
	v_xor_b32_e32 v107, -1, v21
	; wave barrier
	s_delay_alu instid0(VALU_DEP_1) | instskip(NEXT) | instid1(VALU_DEP_1)
	v_and_b32_e32 v20, 0xff, v107
	v_lshrrev_b32_e32 v20, s30, v20
	s_delay_alu instid0(VALU_DEP_1) | instskip(NEXT) | instid1(VALU_DEP_1)
	v_and_b32_e32 v20, s31, v20
	v_and_b32_e32 v22, 1, v20
	v_lshlrev_b32_e32 v23, 30, v20
	v_lshlrev_b32_e32 v24, 29, v20
	;; [unrolled: 1-line block ×4, first 2 shown]
	v_add_co_u32 v22, s17, v22, -1
	s_delay_alu instid0(VALU_DEP_1)
	v_cndmask_b32_e64 v26, 0, 1, s17
	v_not_b32_e32 v111, v23
	v_cmp_gt_i32_e64 s17, 0, v23
	v_not_b32_e32 v23, v24
	v_lshlrev_b32_e32 v109, 26, v20
	v_cmp_ne_u32_e32 vcc_lo, 0, v26
	v_ashrrev_i32_e32 v111, 31, v111
	v_lshlrev_b32_e32 v110, 25, v20
	v_ashrrev_i32_e32 v23, 31, v23
	v_lshlrev_b32_e32 v26, 24, v20
	v_xor_b32_e32 v22, vcc_lo, v22
	v_cmp_gt_i32_e32 vcc_lo, 0, v24
	v_not_b32_e32 v24, v25
	v_xor_b32_e32 v111, s17, v111
	v_cmp_gt_i32_e64 s17, 0, v25
	v_and_b32_e32 v22, exec_lo, v22
	v_not_b32_e32 v25, v27
	v_ashrrev_i32_e32 v24, 31, v24
	v_xor_b32_e32 v23, vcc_lo, v23
	v_cmp_gt_i32_e32 vcc_lo, 0, v27
	v_and_b32_e32 v22, v22, v111
	v_not_b32_e32 v27, v109
	v_ashrrev_i32_e32 v25, 31, v25
	v_xor_b32_e32 v24, s17, v24
	v_cmp_gt_i32_e64 s17, 0, v109
	v_and_b32_e32 v22, v22, v23
	v_not_b32_e32 v23, v110
	v_ashrrev_i32_e32 v27, 31, v27
	v_xor_b32_e32 v25, vcc_lo, v25
	v_cmp_gt_i32_e32 vcc_lo, 0, v110
	v_and_b32_e32 v22, v22, v24
	v_not_b32_e32 v24, v26
	v_ashrrev_i32_e32 v23, 31, v23
	v_xor_b32_e32 v27, s17, v27
	v_mul_u32_u24_e32 v20, 9, v20
	v_and_b32_e32 v22, v22, v25
	v_cmp_gt_i32_e64 s17, 0, v26
	v_ashrrev_i32_e32 v24, 31, v24
	v_xor_b32_e32 v23, vcc_lo, v23
	v_add_lshl_u32 v25, v20, v82, 2
	v_and_b32_e32 v22, v22, v27
	s_delay_alu instid0(VALU_DEP_4) | instskip(SKIP_3) | instid1(VALU_DEP_2)
	v_xor_b32_e32 v20, s17, v24
	ds_load_b32 v109, v25 offset:1056
	v_and_b32_e32 v22, v22, v23
	v_add_nc_u32_e32 v112, 0x420, v25
	; wave barrier
	v_and_b32_e32 v20, v22, v20
	s_delay_alu instid0(VALU_DEP_1) | instskip(SKIP_1) | instid1(VALU_DEP_2)
	v_mbcnt_lo_u32_b32 v110, v20, 0
	v_cmp_ne_u32_e64 s17, 0, v20
	v_cmp_eq_u32_e32 vcc_lo, 0, v110
	s_delay_alu instid0(VALU_DEP_2) | instskip(NEXT) | instid1(SALU_CYCLE_1)
	s_and_b32 s18, s17, vcc_lo
	s_and_saveexec_b32 s17, s18
	s_cbranch_execz .LBB120_264
; %bb.263:                              ;   in Loop: Header=BB120_240 Depth=2
	s_waitcnt lgkmcnt(0)
	v_bcnt_u32_b32 v20, v20, v109
	ds_store_b32 v112, v20
.LBB120_264:                            ;   in Loop: Header=BB120_240 Depth=2
	s_or_b32 exec_lo, exec_lo, s17
	v_lshrrev_b32_e32 v20, 8, v21
	; wave barrier
	s_delay_alu instid0(VALU_DEP_1) | instskip(NEXT) | instid1(VALU_DEP_1)
	v_xor_b32_e32 v111, -1, v20
	v_and_b32_e32 v20, 0xff, v111
	s_delay_alu instid0(VALU_DEP_1) | instskip(NEXT) | instid1(VALU_DEP_1)
	v_lshrrev_b32_e32 v20, s30, v20
	v_and_b32_e32 v20, s31, v20
	s_delay_alu instid0(VALU_DEP_1)
	v_and_b32_e32 v22, 1, v20
	v_lshlrev_b32_e32 v23, 30, v20
	v_lshlrev_b32_e32 v24, 29, v20
	v_lshlrev_b32_e32 v25, 28, v20
	v_lshlrev_b32_e32 v27, 27, v20
	v_add_co_u32 v22, s17, v22, -1
	s_delay_alu instid0(VALU_DEP_1)
	v_cndmask_b32_e64 v26, 0, 1, s17
	v_not_b32_e32 v115, v23
	v_cmp_gt_i32_e64 s17, 0, v23
	v_not_b32_e32 v23, v24
	v_lshlrev_b32_e32 v113, 26, v20
	v_cmp_ne_u32_e32 vcc_lo, 0, v26
	v_ashrrev_i32_e32 v115, 31, v115
	v_lshlrev_b32_e32 v114, 25, v20
	v_ashrrev_i32_e32 v23, 31, v23
	v_lshlrev_b32_e32 v26, 24, v20
	v_xor_b32_e32 v22, vcc_lo, v22
	v_cmp_gt_i32_e32 vcc_lo, 0, v24
	v_not_b32_e32 v24, v25
	v_xor_b32_e32 v115, s17, v115
	v_cmp_gt_i32_e64 s17, 0, v25
	v_and_b32_e32 v22, exec_lo, v22
	v_not_b32_e32 v25, v27
	v_ashrrev_i32_e32 v24, 31, v24
	v_xor_b32_e32 v23, vcc_lo, v23
	v_cmp_gt_i32_e32 vcc_lo, 0, v27
	v_and_b32_e32 v22, v22, v115
	v_not_b32_e32 v27, v113
	v_ashrrev_i32_e32 v25, 31, v25
	v_xor_b32_e32 v24, s17, v24
	v_cmp_gt_i32_e64 s17, 0, v113
	v_and_b32_e32 v22, v22, v23
	v_not_b32_e32 v23, v114
	v_ashrrev_i32_e32 v27, 31, v27
	v_xor_b32_e32 v25, vcc_lo, v25
	v_cmp_gt_i32_e32 vcc_lo, 0, v114
	v_and_b32_e32 v22, v22, v24
	v_not_b32_e32 v24, v26
	v_ashrrev_i32_e32 v23, 31, v23
	v_xor_b32_e32 v27, s17, v27
	v_mul_u32_u24_e32 v20, 9, v20
	v_and_b32_e32 v22, v22, v25
	v_cmp_gt_i32_e64 s17, 0, v26
	v_ashrrev_i32_e32 v24, 31, v24
	v_xor_b32_e32 v23, vcc_lo, v23
	v_add_lshl_u32 v25, v20, v82, 2
	v_and_b32_e32 v22, v22, v27
	s_delay_alu instid0(VALU_DEP_4) | instskip(SKIP_3) | instid1(VALU_DEP_2)
	v_xor_b32_e32 v20, s17, v24
	ds_load_b32 v113, v25 offset:1056
	v_and_b32_e32 v22, v22, v23
	v_add_nc_u32_e32 v116, 0x420, v25
	; wave barrier
	v_and_b32_e32 v20, v22, v20
	s_delay_alu instid0(VALU_DEP_1) | instskip(SKIP_1) | instid1(VALU_DEP_2)
	v_mbcnt_lo_u32_b32 v114, v20, 0
	v_cmp_ne_u32_e64 s17, 0, v20
	v_cmp_eq_u32_e32 vcc_lo, 0, v114
	s_delay_alu instid0(VALU_DEP_2) | instskip(NEXT) | instid1(SALU_CYCLE_1)
	s_and_b32 s18, s17, vcc_lo
	s_and_saveexec_b32 s17, s18
	s_cbranch_execz .LBB120_266
; %bb.265:                              ;   in Loop: Header=BB120_240 Depth=2
	s_waitcnt lgkmcnt(0)
	v_bcnt_u32_b32 v20, v20, v113
	ds_store_b32 v116, v20
.LBB120_266:                            ;   in Loop: Header=BB120_240 Depth=2
	s_or_b32 exec_lo, exec_lo, s17
	v_lshrrev_b32_e32 v20, 16, v21
	; wave barrier
	s_delay_alu instid0(VALU_DEP_1) | instskip(NEXT) | instid1(VALU_DEP_1)
	v_xor_b32_e32 v115, -1, v20
	v_and_b32_e32 v20, 0xff, v115
	s_delay_alu instid0(VALU_DEP_1) | instskip(NEXT) | instid1(VALU_DEP_1)
	v_lshrrev_b32_e32 v20, s30, v20
	v_and_b32_e32 v20, s31, v20
	s_delay_alu instid0(VALU_DEP_1)
	v_and_b32_e32 v22, 1, v20
	v_lshlrev_b32_e32 v23, 30, v20
	v_lshlrev_b32_e32 v24, 29, v20
	v_lshlrev_b32_e32 v25, 28, v20
	v_lshlrev_b32_e32 v27, 27, v20
	v_add_co_u32 v22, s17, v22, -1
	s_delay_alu instid0(VALU_DEP_1)
	v_cndmask_b32_e64 v26, 0, 1, s17
	v_not_b32_e32 v119, v23
	v_cmp_gt_i32_e64 s17, 0, v23
	v_not_b32_e32 v23, v24
	v_lshlrev_b32_e32 v117, 26, v20
	v_cmp_ne_u32_e32 vcc_lo, 0, v26
	v_ashrrev_i32_e32 v119, 31, v119
	v_lshlrev_b32_e32 v118, 25, v20
	v_ashrrev_i32_e32 v23, 31, v23
	v_lshlrev_b32_e32 v26, 24, v20
	v_xor_b32_e32 v22, vcc_lo, v22
	v_cmp_gt_i32_e32 vcc_lo, 0, v24
	v_not_b32_e32 v24, v25
	v_xor_b32_e32 v119, s17, v119
	v_cmp_gt_i32_e64 s17, 0, v25
	v_and_b32_e32 v22, exec_lo, v22
	v_not_b32_e32 v25, v27
	v_ashrrev_i32_e32 v24, 31, v24
	v_xor_b32_e32 v23, vcc_lo, v23
	v_cmp_gt_i32_e32 vcc_lo, 0, v27
	v_and_b32_e32 v22, v22, v119
	v_not_b32_e32 v27, v117
	v_ashrrev_i32_e32 v25, 31, v25
	v_xor_b32_e32 v24, s17, v24
	v_cmp_gt_i32_e64 s17, 0, v117
	v_and_b32_e32 v22, v22, v23
	v_not_b32_e32 v23, v118
	v_ashrrev_i32_e32 v27, 31, v27
	v_xor_b32_e32 v25, vcc_lo, v25
	v_cmp_gt_i32_e32 vcc_lo, 0, v118
	v_and_b32_e32 v22, v22, v24
	v_not_b32_e32 v24, v26
	v_ashrrev_i32_e32 v23, 31, v23
	v_xor_b32_e32 v27, s17, v27
	v_mul_u32_u24_e32 v20, 9, v20
	v_and_b32_e32 v22, v22, v25
	v_cmp_gt_i32_e64 s17, 0, v26
	v_ashrrev_i32_e32 v24, 31, v24
	v_xor_b32_e32 v23, vcc_lo, v23
	v_add_lshl_u32 v25, v20, v82, 2
	v_and_b32_e32 v22, v22, v27
	s_delay_alu instid0(VALU_DEP_4) | instskip(SKIP_3) | instid1(VALU_DEP_2)
	v_xor_b32_e32 v20, s17, v24
	ds_load_b32 v117, v25 offset:1056
	v_and_b32_e32 v22, v22, v23
	v_add_nc_u32_e32 v120, 0x420, v25
	; wave barrier
	v_and_b32_e32 v20, v22, v20
	s_delay_alu instid0(VALU_DEP_1) | instskip(SKIP_1) | instid1(VALU_DEP_2)
	v_mbcnt_lo_u32_b32 v118, v20, 0
	v_cmp_ne_u32_e64 s17, 0, v20
	v_cmp_eq_u32_e32 vcc_lo, 0, v118
	s_delay_alu instid0(VALU_DEP_2) | instskip(NEXT) | instid1(SALU_CYCLE_1)
	s_and_b32 s18, s17, vcc_lo
	s_and_saveexec_b32 s17, s18
	s_cbranch_execz .LBB120_268
; %bb.267:                              ;   in Loop: Header=BB120_240 Depth=2
	s_waitcnt lgkmcnt(0)
	v_bcnt_u32_b32 v20, v20, v117
	ds_store_b32 v120, v20
.LBB120_268:                            ;   in Loop: Header=BB120_240 Depth=2
	s_or_b32 exec_lo, exec_lo, s17
	v_lshrrev_b32_e32 v20, 24, v21
	; wave barrier
	s_delay_alu instid0(VALU_DEP_1) | instskip(NEXT) | instid1(VALU_DEP_1)
	v_xor_b32_e32 v119, -1, v20
	v_and_b32_e32 v20, 0xff, v119
	s_delay_alu instid0(VALU_DEP_1) | instskip(NEXT) | instid1(VALU_DEP_1)
	v_lshrrev_b32_e32 v20, s30, v20
	v_and_b32_e32 v20, s31, v20
	s_delay_alu instid0(VALU_DEP_1)
	v_and_b32_e32 v21, 1, v20
	v_lshlrev_b32_e32 v22, 30, v20
	v_lshlrev_b32_e32 v23, 29, v20
	;; [unrolled: 1-line block ×4, first 2 shown]
	v_add_co_u32 v21, s17, v21, -1
	s_delay_alu instid0(VALU_DEP_1)
	v_cndmask_b32_e64 v25, 0, 1, s17
	v_not_b32_e32 v122, v22
	v_cmp_gt_i32_e64 s17, 0, v22
	v_not_b32_e32 v22, v23
	v_lshlrev_b32_e32 v27, 26, v20
	v_cmp_ne_u32_e32 vcc_lo, 0, v25
	v_ashrrev_i32_e32 v122, 31, v122
	v_lshlrev_b32_e32 v121, 25, v20
	v_ashrrev_i32_e32 v22, 31, v22
	v_lshlrev_b32_e32 v25, 24, v20
	v_xor_b32_e32 v21, vcc_lo, v21
	v_cmp_gt_i32_e32 vcc_lo, 0, v23
	v_not_b32_e32 v23, v24
	v_xor_b32_e32 v122, s17, v122
	v_cmp_gt_i32_e64 s17, 0, v24
	v_and_b32_e32 v21, exec_lo, v21
	v_not_b32_e32 v24, v26
	v_ashrrev_i32_e32 v23, 31, v23
	v_xor_b32_e32 v22, vcc_lo, v22
	v_cmp_gt_i32_e32 vcc_lo, 0, v26
	v_and_b32_e32 v21, v21, v122
	v_not_b32_e32 v26, v27
	v_ashrrev_i32_e32 v24, 31, v24
	v_xor_b32_e32 v23, s17, v23
	v_cmp_gt_i32_e64 s17, 0, v27
	v_and_b32_e32 v21, v21, v22
	v_not_b32_e32 v22, v121
	v_ashrrev_i32_e32 v26, 31, v26
	v_xor_b32_e32 v24, vcc_lo, v24
	v_cmp_gt_i32_e32 vcc_lo, 0, v121
	v_and_b32_e32 v21, v21, v23
	v_not_b32_e32 v23, v25
	v_ashrrev_i32_e32 v22, 31, v22
	v_xor_b32_e32 v26, s17, v26
	v_mul_u32_u24_e32 v20, 9, v20
	v_and_b32_e32 v21, v21, v24
	v_cmp_gt_i32_e64 s17, 0, v25
	v_ashrrev_i32_e32 v23, 31, v23
	v_xor_b32_e32 v22, vcc_lo, v22
	v_add_lshl_u32 v24, v20, v82, 2
	v_and_b32_e32 v21, v21, v26
	s_delay_alu instid0(VALU_DEP_4) | instskip(SKIP_3) | instid1(VALU_DEP_2)
	v_xor_b32_e32 v20, s17, v23
	ds_load_b32 v121, v24 offset:1056
	v_and_b32_e32 v21, v21, v22
	v_add_nc_u32_e32 v123, 0x420, v24
	; wave barrier
	v_and_b32_e32 v20, v21, v20
	s_delay_alu instid0(VALU_DEP_1) | instskip(SKIP_1) | instid1(VALU_DEP_2)
	v_mbcnt_lo_u32_b32 v122, v20, 0
	v_cmp_ne_u32_e64 s17, 0, v20
	v_cmp_eq_u32_e32 vcc_lo, 0, v122
	s_delay_alu instid0(VALU_DEP_2) | instskip(NEXT) | instid1(SALU_CYCLE_1)
	s_and_b32 s18, s17, vcc_lo
	s_and_saveexec_b32 s17, s18
	s_cbranch_execz .LBB120_270
; %bb.269:                              ;   in Loop: Header=BB120_240 Depth=2
	s_waitcnt lgkmcnt(0)
	v_bcnt_u32_b32 v20, v20, v121
	ds_store_b32 v123, v20
.LBB120_270:                            ;   in Loop: Header=BB120_240 Depth=2
	s_or_b32 exec_lo, exec_lo, s17
	; wave barrier
	s_waitcnt lgkmcnt(0)
	s_barrier
	buffer_gl0_inv
	ds_load_b32 v124, v46 offset:1056
	ds_load_2addr_b32 v[26:27], v47 offset0:1 offset1:2
	ds_load_2addr_b32 v[24:25], v47 offset0:3 offset1:4
	;; [unrolled: 1-line block ×4, first 2 shown]
	s_waitcnt lgkmcnt(3)
	v_add3_u32 v125, v26, v124, v27
	s_waitcnt lgkmcnt(2)
	s_delay_alu instid0(VALU_DEP_1) | instskip(SKIP_1) | instid1(VALU_DEP_1)
	v_add3_u32 v125, v125, v24, v25
	s_waitcnt lgkmcnt(1)
	v_add3_u32 v125, v125, v20, v21
	s_waitcnt lgkmcnt(0)
	s_delay_alu instid0(VALU_DEP_1) | instskip(NEXT) | instid1(VALU_DEP_1)
	v_add3_u32 v23, v125, v22, v23
	v_mov_b32_dpp v125, v23 row_shr:1 row_mask:0xf bank_mask:0xf
	s_delay_alu instid0(VALU_DEP_1) | instskip(NEXT) | instid1(VALU_DEP_1)
	v_cndmask_b32_e64 v125, v125, 0, s0
	v_add_nc_u32_e32 v23, v125, v23
	s_delay_alu instid0(VALU_DEP_1) | instskip(NEXT) | instid1(VALU_DEP_1)
	v_mov_b32_dpp v125, v23 row_shr:2 row_mask:0xf bank_mask:0xf
	v_cndmask_b32_e64 v125, 0, v125, s1
	s_delay_alu instid0(VALU_DEP_1) | instskip(NEXT) | instid1(VALU_DEP_1)
	v_add_nc_u32_e32 v23, v23, v125
	v_mov_b32_dpp v125, v23 row_shr:4 row_mask:0xf bank_mask:0xf
	s_delay_alu instid0(VALU_DEP_1) | instskip(NEXT) | instid1(VALU_DEP_1)
	v_cndmask_b32_e64 v125, 0, v125, s8
	v_add_nc_u32_e32 v23, v23, v125
	s_delay_alu instid0(VALU_DEP_1) | instskip(NEXT) | instid1(VALU_DEP_1)
	v_mov_b32_dpp v125, v23 row_shr:8 row_mask:0xf bank_mask:0xf
	v_cndmask_b32_e64 v125, 0, v125, s9
	s_delay_alu instid0(VALU_DEP_1) | instskip(SKIP_3) | instid1(VALU_DEP_1)
	v_add_nc_u32_e32 v23, v23, v125
	ds_swizzle_b32 v125, v23 offset:swizzle(BROADCAST,32,15)
	s_waitcnt lgkmcnt(0)
	v_cndmask_b32_e64 v125, v125, 0, s10
	v_add_nc_u32_e32 v23, v23, v125
	s_and_saveexec_b32 s17, s3
	s_cbranch_execz .LBB120_272
; %bb.271:                              ;   in Loop: Header=BB120_240 Depth=2
	ds_store_b32 v38, v23 offset:1024
.LBB120_272:                            ;   in Loop: Header=BB120_240 Depth=2
	s_or_b32 exec_lo, exec_lo, s17
	s_waitcnt lgkmcnt(0)
	s_barrier
	buffer_gl0_inv
	s_and_saveexec_b32 s17, s4
	s_cbranch_execz .LBB120_274
; %bb.273:                              ;   in Loop: Header=BB120_240 Depth=2
	v_add_nc_u32_e32 v125, v46, v48
	ds_load_b32 v126, v125 offset:1024
	s_waitcnt lgkmcnt(0)
	v_mov_b32_dpp v127, v126 row_shr:1 row_mask:0xf bank_mask:0xf
	s_delay_alu instid0(VALU_DEP_1) | instskip(NEXT) | instid1(VALU_DEP_1)
	v_cndmask_b32_e64 v127, v127, 0, s12
	v_add_nc_u32_e32 v126, v127, v126
	s_delay_alu instid0(VALU_DEP_1) | instskip(NEXT) | instid1(VALU_DEP_1)
	v_mov_b32_dpp v127, v126 row_shr:2 row_mask:0xf bank_mask:0xf
	v_cndmask_b32_e64 v127, 0, v127, s13
	s_delay_alu instid0(VALU_DEP_1) | instskip(NEXT) | instid1(VALU_DEP_1)
	v_add_nc_u32_e32 v126, v126, v127
	v_mov_b32_dpp v127, v126 row_shr:4 row_mask:0xf bank_mask:0xf
	s_delay_alu instid0(VALU_DEP_1) | instskip(NEXT) | instid1(VALU_DEP_1)
	v_cndmask_b32_e64 v127, 0, v127, s16
	v_add_nc_u32_e32 v126, v126, v127
	ds_store_b32 v125, v126 offset:1024
.LBB120_274:                            ;   in Loop: Header=BB120_240 Depth=2
	s_or_b32 exec_lo, exec_lo, s17
	v_mov_b32_e32 v125, 0
	s_waitcnt lgkmcnt(0)
	s_barrier
	buffer_gl0_inv
	s_and_saveexec_b32 s17, s5
	s_cbranch_execz .LBB120_276
; %bb.275:                              ;   in Loop: Header=BB120_240 Depth=2
	ds_load_b32 v125, v38 offset:1020
.LBB120_276:                            ;   in Loop: Header=BB120_240 Depth=2
	s_or_b32 exec_lo, exec_lo, s17
	s_waitcnt lgkmcnt(0)
	v_add_nc_u32_e32 v23, v125, v23
	ds_bpermute_b32 v23, v69, v23
	s_waitcnt lgkmcnt(0)
	v_cndmask_b32_e64 v23, v23, v125, s11
	s_delay_alu instid0(VALU_DEP_1) | instskip(NEXT) | instid1(VALU_DEP_1)
	v_cndmask_b32_e64 v23, v23, 0, s6
	v_add_nc_u32_e32 v124, v23, v124
	s_delay_alu instid0(VALU_DEP_1) | instskip(NEXT) | instid1(VALU_DEP_1)
	v_add_nc_u32_e32 v26, v124, v26
	v_add_nc_u32_e32 v27, v26, v27
	s_delay_alu instid0(VALU_DEP_1) | instskip(NEXT) | instid1(VALU_DEP_1)
	v_add_nc_u32_e32 v24, v27, v24
	;; [unrolled: 3-line block ×3, first 2 shown]
	v_add_nc_u32_e32 v21, v20, v21
	s_delay_alu instid0(VALU_DEP_1)
	v_add_nc_u32_e32 v22, v21, v22
	ds_store_b32 v46, v23 offset:1056
	ds_store_2addr_b32 v47, v124, v26 offset0:1 offset1:2
	ds_store_2addr_b32 v47, v27, v24 offset0:3 offset1:4
	;; [unrolled: 1-line block ×4, first 2 shown]
	v_mov_b32_e32 v22, 0x800
	s_waitcnt lgkmcnt(0)
	s_barrier
	buffer_gl0_inv
	ds_load_b32 v20, v100
	ds_load_b32 v21, v104
	;; [unrolled: 1-line block ×8, first 2 shown]
	ds_load_b32 v27, v46 offset:1056
	s_and_saveexec_b32 s17, s7
	s_cbranch_execz .LBB120_278
; %bb.277:                              ;   in Loop: Header=BB120_240 Depth=2
	ds_load_b32 v22, v49 offset:1056
.LBB120_278:                            ;   in Loop: Header=BB120_240 Depth=2
	s_or_b32 exec_lo, exec_lo, s17
	s_waitcnt lgkmcnt(0)
	s_barrier
	buffer_gl0_inv
	s_and_saveexec_b32 s17, s2
	s_cbranch_execz .LBB120_280
; %bb.279:                              ;   in Loop: Header=BB120_240 Depth=2
	ds_load_b32 v96, v28
	s_waitcnt lgkmcnt(0)
	v_sub_nc_u32_e32 v27, v96, v27
	ds_store_b32 v28, v27
.LBB120_280:                            ;   in Loop: Header=BB120_240 Depth=2
	s_or_b32 exec_lo, exec_lo, s17
	v_add_nc_u32_e32 v100, v26, v94
	v_add3_u32 v96, v98, v97, v20
	v_add3_u32 v94, v102, v101, v21
	;; [unrolled: 1-line block ×7, first 2 shown]
	v_cmp_lt_u32_e64 s22, v1, v2
	ds_store_b8 v100, v93 offset:1024
	ds_store_b8 v96, v95 offset:1024
	;; [unrolled: 1-line block ×8, first 2 shown]
	s_waitcnt lgkmcnt(0)
	s_barrier
	buffer_gl0_inv
	s_and_saveexec_b32 s17, s22
	s_cbranch_execz .LBB120_288
; %bb.281:                              ;   in Loop: Header=BB120_240 Depth=2
	ds_load_u8 v20, v1 offset:1024
	s_waitcnt lgkmcnt(0)
	v_and_b32_e32 v21, 0xff, v20
	v_xor_b32_e32 v20, -1, v20
	s_delay_alu instid0(VALU_DEP_2) | instskip(NEXT) | instid1(VALU_DEP_1)
	v_lshrrev_b32_e32 v21, s30, v21
	v_and_b32_e32 v21, s31, v21
	s_delay_alu instid0(VALU_DEP_1)
	v_lshlrev_b32_e32 v21, 2, v21
	ds_load_b32 v21, v21
	s_waitcnt lgkmcnt(0)
	v_add_nc_u32_e32 v21, v21, v1
	global_store_b8 v21, v20, s[40:41]
	s_or_b32 exec_lo, exec_lo, s17
	v_cmp_lt_u32_e64 s23, v29, v2
	s_delay_alu instid0(VALU_DEP_1)
	s_and_saveexec_b32 s17, s23
	s_cbranch_execnz .LBB120_289
.LBB120_282:                            ;   in Loop: Header=BB120_240 Depth=2
	s_or_b32 exec_lo, exec_lo, s17
	v_cmp_lt_u32_e64 s21, v30, v2
	s_delay_alu instid0(VALU_DEP_1)
	s_and_saveexec_b32 s17, s21
	s_cbranch_execz .LBB120_290
.LBB120_283:                            ;   in Loop: Header=BB120_240 Depth=2
	ds_load_u8 v20, v35 offset:512
	s_waitcnt lgkmcnt(0)
	v_and_b32_e32 v21, 0xff, v20
	v_xor_b32_e32 v20, -1, v20
	s_delay_alu instid0(VALU_DEP_2) | instskip(NEXT) | instid1(VALU_DEP_1)
	v_lshrrev_b32_e32 v21, s30, v21
	v_and_b32_e32 v21, s31, v21
	s_delay_alu instid0(VALU_DEP_1)
	v_lshlrev_b32_e32 v21, 2, v21
	ds_load_b32 v21, v21
	s_waitcnt lgkmcnt(0)
	v_add_nc_u32_e32 v21, v21, v30
	global_store_b8 v21, v20, s[40:41]
	s_or_b32 exec_lo, exec_lo, s17
	v_cmp_lt_u32_e64 s20, v31, v2
	s_delay_alu instid0(VALU_DEP_1)
	s_and_saveexec_b32 s17, s20
	s_cbranch_execnz .LBB120_291
.LBB120_284:                            ;   in Loop: Header=BB120_240 Depth=2
	s_or_b32 exec_lo, exec_lo, s17
	v_cmp_lt_u32_e64 s19, v35, v2
	s_delay_alu instid0(VALU_DEP_1)
	s_and_saveexec_b32 s17, s19
	s_cbranch_execz .LBB120_292
.LBB120_285:                            ;   in Loop: Header=BB120_240 Depth=2
	ds_load_u8 v20, v35 offset:1024
	s_waitcnt lgkmcnt(0)
	v_and_b32_e32 v21, 0xff, v20
	v_xor_b32_e32 v20, -1, v20
	s_delay_alu instid0(VALU_DEP_2) | instskip(NEXT) | instid1(VALU_DEP_1)
	v_lshrrev_b32_e32 v21, s30, v21
	v_and_b32_e32 v21, s31, v21
	s_delay_alu instid0(VALU_DEP_1)
	v_lshlrev_b32_e32 v21, 2, v21
	ds_load_b32 v21, v21
	s_waitcnt lgkmcnt(0)
	v_add_nc_u32_e32 v21, v21, v35
	global_store_b8 v21, v20, s[40:41]
	s_or_b32 exec_lo, exec_lo, s17
	v_cmp_lt_u32_e64 s18, v36, v2
	s_delay_alu instid0(VALU_DEP_1)
	s_and_saveexec_b32 s17, s18
	s_cbranch_execnz .LBB120_293
.LBB120_286:                            ;   in Loop: Header=BB120_240 Depth=2
	s_or_b32 exec_lo, exec_lo, s17
	v_cmp_lt_u32_e64 s17, v37, v2
	s_delay_alu instid0(VALU_DEP_1)
	s_and_saveexec_b32 s43, s17
	s_cbranch_execz .LBB120_294
.LBB120_287:                            ;   in Loop: Header=BB120_240 Depth=2
	ds_load_u8 v20, v35 offset:1536
	s_waitcnt lgkmcnt(0)
	v_and_b32_e32 v21, 0xff, v20
	v_xor_b32_e32 v20, -1, v20
	s_delay_alu instid0(VALU_DEP_2) | instskip(NEXT) | instid1(VALU_DEP_1)
	v_lshrrev_b32_e32 v21, s30, v21
	v_and_b32_e32 v21, s31, v21
	s_delay_alu instid0(VALU_DEP_1)
	v_lshlrev_b32_e32 v21, 2, v21
	ds_load_b32 v21, v21
	s_waitcnt lgkmcnt(0)
	v_add_nc_u32_e32 v21, v21, v37
	global_store_b8 v21, v20, s[40:41]
	s_or_b32 exec_lo, exec_lo, s43
	v_cmp_lt_u32_e32 vcc_lo, v39, v2
	s_and_saveexec_b32 s43, vcc_lo
	s_cbranch_execnz .LBB120_295
	s_branch .LBB120_296
.LBB120_288:                            ;   in Loop: Header=BB120_240 Depth=2
	s_or_b32 exec_lo, exec_lo, s17
	v_cmp_lt_u32_e64 s23, v29, v2
	s_delay_alu instid0(VALU_DEP_1)
	s_and_saveexec_b32 s17, s23
	s_cbranch_execz .LBB120_282
.LBB120_289:                            ;   in Loop: Header=BB120_240 Depth=2
	ds_load_u8 v20, v35 offset:256
	s_waitcnt lgkmcnt(0)
	v_and_b32_e32 v21, 0xff, v20
	v_xor_b32_e32 v20, -1, v20
	s_delay_alu instid0(VALU_DEP_2) | instskip(NEXT) | instid1(VALU_DEP_1)
	v_lshrrev_b32_e32 v21, s30, v21
	v_and_b32_e32 v21, s31, v21
	s_delay_alu instid0(VALU_DEP_1)
	v_lshlrev_b32_e32 v21, 2, v21
	ds_load_b32 v21, v21
	s_waitcnt lgkmcnt(0)
	v_add_nc_u32_e32 v21, v21, v29
	global_store_b8 v21, v20, s[40:41]
	s_or_b32 exec_lo, exec_lo, s17
	v_cmp_lt_u32_e64 s21, v30, v2
	s_delay_alu instid0(VALU_DEP_1)
	s_and_saveexec_b32 s17, s21
	s_cbranch_execnz .LBB120_283
.LBB120_290:                            ;   in Loop: Header=BB120_240 Depth=2
	s_or_b32 exec_lo, exec_lo, s17
	v_cmp_lt_u32_e64 s20, v31, v2
	s_delay_alu instid0(VALU_DEP_1)
	s_and_saveexec_b32 s17, s20
	s_cbranch_execz .LBB120_284
.LBB120_291:                            ;   in Loop: Header=BB120_240 Depth=2
	ds_load_u8 v20, v35 offset:768
	s_waitcnt lgkmcnt(0)
	v_and_b32_e32 v21, 0xff, v20
	v_xor_b32_e32 v20, -1, v20
	s_delay_alu instid0(VALU_DEP_2) | instskip(NEXT) | instid1(VALU_DEP_1)
	v_lshrrev_b32_e32 v21, s30, v21
	v_and_b32_e32 v21, s31, v21
	s_delay_alu instid0(VALU_DEP_1)
	v_lshlrev_b32_e32 v21, 2, v21
	ds_load_b32 v21, v21
	s_waitcnt lgkmcnt(0)
	v_add_nc_u32_e32 v21, v21, v31
	global_store_b8 v21, v20, s[40:41]
	s_or_b32 exec_lo, exec_lo, s17
	v_cmp_lt_u32_e64 s19, v35, v2
	s_delay_alu instid0(VALU_DEP_1)
	s_and_saveexec_b32 s17, s19
	s_cbranch_execnz .LBB120_285
.LBB120_292:                            ;   in Loop: Header=BB120_240 Depth=2
	s_or_b32 exec_lo, exec_lo, s17
	v_cmp_lt_u32_e64 s18, v36, v2
	s_delay_alu instid0(VALU_DEP_1)
	s_and_saveexec_b32 s17, s18
	s_cbranch_execz .LBB120_286
.LBB120_293:                            ;   in Loop: Header=BB120_240 Depth=2
	ds_load_u8 v20, v35 offset:1280
	s_waitcnt lgkmcnt(0)
	v_and_b32_e32 v21, 0xff, v20
	v_xor_b32_e32 v20, -1, v20
	s_delay_alu instid0(VALU_DEP_2) | instskip(NEXT) | instid1(VALU_DEP_1)
	v_lshrrev_b32_e32 v21, s30, v21
	v_and_b32_e32 v21, s31, v21
	s_delay_alu instid0(VALU_DEP_1)
	v_lshlrev_b32_e32 v21, 2, v21
	ds_load_b32 v21, v21
	s_waitcnt lgkmcnt(0)
	v_add_nc_u32_e32 v21, v21, v36
	global_store_b8 v21, v20, s[40:41]
	s_or_b32 exec_lo, exec_lo, s17
	v_cmp_lt_u32_e64 s17, v37, v2
	s_delay_alu instid0(VALU_DEP_1)
	s_and_saveexec_b32 s43, s17
	s_cbranch_execnz .LBB120_287
.LBB120_294:                            ;   in Loop: Header=BB120_240 Depth=2
	s_or_b32 exec_lo, exec_lo, s43
	v_cmp_lt_u32_e32 vcc_lo, v39, v2
	s_and_saveexec_b32 s43, vcc_lo
	s_cbranch_execz .LBB120_296
.LBB120_295:                            ;   in Loop: Header=BB120_240 Depth=2
	ds_load_u8 v20, v35 offset:1792
	s_waitcnt lgkmcnt(0)
	v_and_b32_e32 v21, 0xff, v20
	v_xor_b32_e32 v20, -1, v20
	s_delay_alu instid0(VALU_DEP_2) | instskip(NEXT) | instid1(VALU_DEP_1)
	v_lshrrev_b32_e32 v21, s30, v21
	v_and_b32_e32 v21, s31, v21
	s_delay_alu instid0(VALU_DEP_1)
	v_lshlrev_b32_e32 v21, 2, v21
	ds_load_b32 v21, v21
	s_waitcnt lgkmcnt(0)
	v_add_nc_u32_e32 v21, v21, v39
	global_store_b8 v21, v20, s[40:41]
.LBB120_296:                            ;   in Loop: Header=BB120_240 Depth=2
	s_or_b32 exec_lo, exec_lo, s43
	s_lshl_b64 s[52:53], s[24:25], 3
	s_delay_alu instid0(SALU_CYCLE_1) | instskip(NEXT) | instid1(VALU_DEP_1)
	v_add_co_u32 v20, s24, v73, s52
	v_add_co_ci_u32_e64 v21, s24, s53, v74, s24
	v_cmp_lt_u32_e64 s24, v70, v2
	s_delay_alu instid0(VALU_DEP_1) | instskip(NEXT) | instid1(SALU_CYCLE_1)
	s_and_saveexec_b32 s43, s24
	s_xor_b32 s24, exec_lo, s43
	s_cbranch_execz .LBB120_312
; %bb.297:                              ;   in Loop: Header=BB120_240 Depth=2
	global_load_b64 v[18:19], v[20:21], off
	s_or_b32 exec_lo, exec_lo, s24
	s_delay_alu instid0(SALU_CYCLE_1)
	s_mov_b32 s43, exec_lo
	v_cmpx_lt_u32_e64 v75, v2
	s_cbranch_execnz .LBB120_313
.LBB120_298:                            ;   in Loop: Header=BB120_240 Depth=2
	s_or_b32 exec_lo, exec_lo, s43
	s_delay_alu instid0(SALU_CYCLE_1)
	s_mov_b32 s43, exec_lo
	v_cmpx_lt_u32_e64 v76, v2
	s_cbranch_execz .LBB120_314
.LBB120_299:                            ;   in Loop: Header=BB120_240 Depth=2
	global_load_b64 v[14:15], v[20:21], off offset:512
	s_or_b32 exec_lo, exec_lo, s43
	s_delay_alu instid0(SALU_CYCLE_1)
	s_mov_b32 s43, exec_lo
	v_cmpx_lt_u32_e64 v77, v2
	s_cbranch_execnz .LBB120_315
.LBB120_300:                            ;   in Loop: Header=BB120_240 Depth=2
	s_or_b32 exec_lo, exec_lo, s43
	s_delay_alu instid0(SALU_CYCLE_1)
	s_mov_b32 s43, exec_lo
	v_cmpx_lt_u32_e64 v78, v2
	s_cbranch_execz .LBB120_316
.LBB120_301:                            ;   in Loop: Header=BB120_240 Depth=2
	global_load_b64 v[10:11], v[20:21], off offset:1024
	s_or_b32 exec_lo, exec_lo, s43
	s_delay_alu instid0(SALU_CYCLE_1)
	s_mov_b32 s43, exec_lo
	v_cmpx_lt_u32_e64 v79, v2
	s_cbranch_execnz .LBB120_317
.LBB120_302:                            ;   in Loop: Header=BB120_240 Depth=2
	s_or_b32 exec_lo, exec_lo, s43
	s_delay_alu instid0(SALU_CYCLE_1)
	s_mov_b32 s43, exec_lo
	v_cmpx_lt_u32_e64 v80, v2
	s_cbranch_execz .LBB120_318
.LBB120_303:                            ;   in Loop: Header=BB120_240 Depth=2
	global_load_b64 v[6:7], v[20:21], off offset:1536
	s_or_b32 exec_lo, exec_lo, s43
	s_delay_alu instid0(SALU_CYCLE_1)
	s_mov_b32 s43, exec_lo
	v_cmpx_lt_u32_e64 v81, v2
	s_cbranch_execnz .LBB120_319
.LBB120_304:                            ;   in Loop: Header=BB120_240 Depth=2
	s_or_b32 exec_lo, exec_lo, s43
	s_and_saveexec_b32 s24, s22
	s_cbranch_execz .LBB120_320
.LBB120_305:                            ;   in Loop: Header=BB120_240 Depth=2
	ds_load_u8 v2, v1 offset:1024
	s_waitcnt lgkmcnt(0)
	v_lshrrev_b32_e32 v2, s30, v2
	s_delay_alu instid0(VALU_DEP_1)
	v_and_b32_e32 v92, s31, v2
	s_or_b32 exec_lo, exec_lo, s24
	s_and_saveexec_b32 s24, s23
	s_cbranch_execnz .LBB120_321
.LBB120_306:                            ;   in Loop: Header=BB120_240 Depth=2
	s_or_b32 exec_lo, exec_lo, s24
	s_and_saveexec_b32 s24, s21
	s_cbranch_execz .LBB120_322
.LBB120_307:                            ;   in Loop: Header=BB120_240 Depth=2
	ds_load_u8 v2, v35 offset:512
	s_waitcnt lgkmcnt(0)
	v_lshrrev_b32_e32 v2, s30, v2
	s_delay_alu instid0(VALU_DEP_1)
	v_and_b32_e32 v90, s31, v2
	s_or_b32 exec_lo, exec_lo, s24
	s_and_saveexec_b32 s24, s20
	s_cbranch_execnz .LBB120_323
.LBB120_308:                            ;   in Loop: Header=BB120_240 Depth=2
	s_or_b32 exec_lo, exec_lo, s24
	s_and_saveexec_b32 s24, s19
	s_cbranch_execz .LBB120_324
.LBB120_309:                            ;   in Loop: Header=BB120_240 Depth=2
	ds_load_u8 v2, v35 offset:1024
	s_waitcnt lgkmcnt(0)
	v_lshrrev_b32_e32 v2, s30, v2
	s_delay_alu instid0(VALU_DEP_1)
	v_and_b32_e32 v88, s31, v2
	s_or_b32 exec_lo, exec_lo, s24
	s_and_saveexec_b32 s24, s18
	s_cbranch_execnz .LBB120_325
.LBB120_310:                            ;   in Loop: Header=BB120_240 Depth=2
	s_or_b32 exec_lo, exec_lo, s24
	s_and_saveexec_b32 s24, s17
	s_cbranch_execz .LBB120_326
.LBB120_311:                            ;   in Loop: Header=BB120_240 Depth=2
	ds_load_u8 v2, v35 offset:1536
	s_waitcnt lgkmcnt(0)
	v_lshrrev_b32_e32 v2, s30, v2
	s_delay_alu instid0(VALU_DEP_1)
	v_and_b32_e32 v86, s31, v2
	s_or_b32 exec_lo, exec_lo, s24
	s_and_saveexec_b32 s24, vcc_lo
	s_cbranch_execnz .LBB120_327
	s_branch .LBB120_328
.LBB120_312:                            ;   in Loop: Header=BB120_240 Depth=2
	s_or_b32 exec_lo, exec_lo, s24
	s_delay_alu instid0(SALU_CYCLE_1)
	s_mov_b32 s43, exec_lo
	v_cmpx_lt_u32_e64 v75, v2
	s_cbranch_execz .LBB120_298
.LBB120_313:                            ;   in Loop: Header=BB120_240 Depth=2
	global_load_b64 v[16:17], v[20:21], off offset:256
	s_or_b32 exec_lo, exec_lo, s43
	s_delay_alu instid0(SALU_CYCLE_1)
	s_mov_b32 s43, exec_lo
	v_cmpx_lt_u32_e64 v76, v2
	s_cbranch_execnz .LBB120_299
.LBB120_314:                            ;   in Loop: Header=BB120_240 Depth=2
	s_or_b32 exec_lo, exec_lo, s43
	s_delay_alu instid0(SALU_CYCLE_1)
	s_mov_b32 s43, exec_lo
	v_cmpx_lt_u32_e64 v77, v2
	s_cbranch_execz .LBB120_300
.LBB120_315:                            ;   in Loop: Header=BB120_240 Depth=2
	global_load_b64 v[12:13], v[20:21], off offset:768
	s_or_b32 exec_lo, exec_lo, s43
	s_delay_alu instid0(SALU_CYCLE_1)
	s_mov_b32 s43, exec_lo
	v_cmpx_lt_u32_e64 v78, v2
	s_cbranch_execnz .LBB120_301
.LBB120_316:                            ;   in Loop: Header=BB120_240 Depth=2
	s_or_b32 exec_lo, exec_lo, s43
	s_delay_alu instid0(SALU_CYCLE_1)
	s_mov_b32 s43, exec_lo
	v_cmpx_lt_u32_e64 v79, v2
	s_cbranch_execz .LBB120_302
.LBB120_317:                            ;   in Loop: Header=BB120_240 Depth=2
	global_load_b64 v[8:9], v[20:21], off offset:1280
	s_or_b32 exec_lo, exec_lo, s43
	s_delay_alu instid0(SALU_CYCLE_1)
	s_mov_b32 s43, exec_lo
	v_cmpx_lt_u32_e64 v80, v2
	s_cbranch_execnz .LBB120_303
.LBB120_318:                            ;   in Loop: Header=BB120_240 Depth=2
	s_or_b32 exec_lo, exec_lo, s43
	s_delay_alu instid0(SALU_CYCLE_1)
	s_mov_b32 s43, exec_lo
	v_cmpx_lt_u32_e64 v81, v2
	s_cbranch_execz .LBB120_304
.LBB120_319:                            ;   in Loop: Header=BB120_240 Depth=2
	global_load_b64 v[4:5], v[20:21], off offset:1792
	s_or_b32 exec_lo, exec_lo, s43
	s_and_saveexec_b32 s24, s22
	s_cbranch_execnz .LBB120_305
.LBB120_320:                            ;   in Loop: Header=BB120_240 Depth=2
	s_or_b32 exec_lo, exec_lo, s24
	s_and_saveexec_b32 s24, s23
	s_cbranch_execz .LBB120_306
.LBB120_321:                            ;   in Loop: Header=BB120_240 Depth=2
	ds_load_u8 v2, v35 offset:256
	s_waitcnt lgkmcnt(0)
	v_lshrrev_b32_e32 v2, s30, v2
	s_delay_alu instid0(VALU_DEP_1)
	v_and_b32_e32 v91, s31, v2
	s_or_b32 exec_lo, exec_lo, s24
	s_and_saveexec_b32 s24, s21
	s_cbranch_execnz .LBB120_307
.LBB120_322:                            ;   in Loop: Header=BB120_240 Depth=2
	s_or_b32 exec_lo, exec_lo, s24
	s_and_saveexec_b32 s24, s20
	s_cbranch_execz .LBB120_308
.LBB120_323:                            ;   in Loop: Header=BB120_240 Depth=2
	ds_load_u8 v2, v35 offset:768
	s_waitcnt lgkmcnt(0)
	v_lshrrev_b32_e32 v2, s30, v2
	s_delay_alu instid0(VALU_DEP_1)
	v_and_b32_e32 v89, s31, v2
	s_or_b32 exec_lo, exec_lo, s24
	s_and_saveexec_b32 s24, s19
	s_cbranch_execnz .LBB120_309
.LBB120_324:                            ;   in Loop: Header=BB120_240 Depth=2
	s_or_b32 exec_lo, exec_lo, s24
	s_and_saveexec_b32 s24, s18
	s_cbranch_execz .LBB120_310
.LBB120_325:                            ;   in Loop: Header=BB120_240 Depth=2
	ds_load_u8 v2, v35 offset:1280
	s_waitcnt lgkmcnt(0)
	v_lshrrev_b32_e32 v2, s30, v2
	s_delay_alu instid0(VALU_DEP_1)
	v_and_b32_e32 v87, s31, v2
	s_or_b32 exec_lo, exec_lo, s24
	s_and_saveexec_b32 s24, s17
	s_cbranch_execnz .LBB120_311
.LBB120_326:                            ;   in Loop: Header=BB120_240 Depth=2
	s_or_b32 exec_lo, exec_lo, s24
	s_and_saveexec_b32 s24, vcc_lo
	s_cbranch_execz .LBB120_328
.LBB120_327:                            ;   in Loop: Header=BB120_240 Depth=2
	ds_load_u8 v2, v35 offset:1792
	s_waitcnt lgkmcnt(0)
	v_lshrrev_b32_e32 v2, s30, v2
	s_delay_alu instid0(VALU_DEP_1)
	v_and_b32_e32 v85, s31, v2
.LBB120_328:                            ;   in Loop: Header=BB120_240 Depth=2
	s_or_b32 exec_lo, exec_lo, s24
	v_lshlrev_b32_e32 v2, 3, v100
	v_lshlrev_b32_e32 v20, 3, v96
	;; [unrolled: 1-line block ×3, first 2 shown]
	s_waitcnt vmcnt(0)
	s_waitcnt_vscnt null, 0x0
	s_barrier
	buffer_gl0_inv
	ds_store_b64 v2, v[18:19] offset:1024
	ds_store_b64 v20, v[16:17] offset:1024
	;; [unrolled: 1-line block ×3, first 2 shown]
	v_lshlrev_b32_e32 v2, 3, v27
	v_lshlrev_b32_e32 v20, 3, v26
	;; [unrolled: 1-line block ×5, first 2 shown]
	ds_store_b64 v2, v[12:13] offset:1024
	ds_store_b64 v20, v[10:11] offset:1024
	;; [unrolled: 1-line block ×5, first 2 shown]
	s_waitcnt lgkmcnt(0)
	s_barrier
	buffer_gl0_inv
	s_and_saveexec_b32 s24, s22
	s_cbranch_execz .LBB120_336
; %bb.329:                              ;   in Loop: Header=BB120_240 Depth=2
	v_lshlrev_b32_e32 v2, 2, v92
	v_add_nc_u32_e32 v20, v1, v52
	ds_load_b32 v2, v2
	ds_load_b64 v[20:21], v20 offset:1024
	s_waitcnt lgkmcnt(1)
	v_add_nc_u32_e32 v2, v2, v1
	s_delay_alu instid0(VALU_DEP_1) | instskip(NEXT) | instid1(VALU_DEP_1)
	v_lshlrev_b64 v[23:24], 3, v[2:3]
	v_add_co_u32 v23, s22, s46, v23
	s_delay_alu instid0(VALU_DEP_1)
	v_add_co_ci_u32_e64 v24, s22, s47, v24, s22
	s_waitcnt lgkmcnt(0)
	global_store_b64 v[23:24], v[20:21], off
	s_or_b32 exec_lo, exec_lo, s24
	s_and_saveexec_b32 s24, s23
	s_cbranch_execnz .LBB120_337
.LBB120_330:                            ;   in Loop: Header=BB120_240 Depth=2
	s_or_b32 exec_lo, exec_lo, s24
	s_and_saveexec_b32 s22, s21
	s_cbranch_execz .LBB120_338
.LBB120_331:                            ;   in Loop: Header=BB120_240 Depth=2
	v_lshlrev_b32_e32 v2, 2, v90
	v_add_nc_u32_e32 v20, v35, v52
	ds_load_b32 v2, v2
	ds_load_b64 v[20:21], v20 offset:4096
	s_waitcnt lgkmcnt(1)
	v_add_nc_u32_e32 v2, v2, v30
	s_delay_alu instid0(VALU_DEP_1) | instskip(NEXT) | instid1(VALU_DEP_1)
	v_lshlrev_b64 v[23:24], 3, v[2:3]
	v_add_co_u32 v23, s21, s46, v23
	s_delay_alu instid0(VALU_DEP_1)
	v_add_co_ci_u32_e64 v24, s21, s47, v24, s21
	s_waitcnt lgkmcnt(0)
	global_store_b64 v[23:24], v[20:21], off
	s_or_b32 exec_lo, exec_lo, s22
	s_and_saveexec_b32 s21, s20
	s_cbranch_execnz .LBB120_339
.LBB120_332:                            ;   in Loop: Header=BB120_240 Depth=2
	s_or_b32 exec_lo, exec_lo, s21
	s_and_saveexec_b32 s20, s19
	s_cbranch_execz .LBB120_340
.LBB120_333:                            ;   in Loop: Header=BB120_240 Depth=2
	v_lshlrev_b32_e32 v2, 2, v88
	v_add_nc_u32_e32 v20, v35, v52
	ds_load_b32 v2, v2
	ds_load_b64 v[20:21], v20 offset:8192
	s_waitcnt lgkmcnt(1)
	v_add_nc_u32_e32 v2, v2, v35
	s_delay_alu instid0(VALU_DEP_1) | instskip(NEXT) | instid1(VALU_DEP_1)
	v_lshlrev_b64 v[23:24], 3, v[2:3]
	v_add_co_u32 v23, s19, s46, v23
	s_delay_alu instid0(VALU_DEP_1)
	v_add_co_ci_u32_e64 v24, s19, s47, v24, s19
	s_waitcnt lgkmcnt(0)
	global_store_b64 v[23:24], v[20:21], off
	s_or_b32 exec_lo, exec_lo, s20
	s_and_saveexec_b32 s19, s18
	s_cbranch_execnz .LBB120_341
.LBB120_334:                            ;   in Loop: Header=BB120_240 Depth=2
	s_or_b32 exec_lo, exec_lo, s19
	s_and_saveexec_b32 s18, s17
	s_cbranch_execz .LBB120_342
.LBB120_335:                            ;   in Loop: Header=BB120_240 Depth=2
	v_lshlrev_b32_e32 v2, 2, v86
	v_add_nc_u32_e32 v20, v35, v52
	ds_load_b32 v2, v2
	ds_load_b64 v[20:21], v20 offset:12288
	s_waitcnt lgkmcnt(1)
	v_add_nc_u32_e32 v2, v2, v37
	s_delay_alu instid0(VALU_DEP_1) | instskip(NEXT) | instid1(VALU_DEP_1)
	v_lshlrev_b64 v[23:24], 3, v[2:3]
	v_add_co_u32 v23, s17, s46, v23
	s_delay_alu instid0(VALU_DEP_1)
	v_add_co_ci_u32_e64 v24, s17, s47, v24, s17
	s_waitcnt lgkmcnt(0)
	global_store_b64 v[23:24], v[20:21], off
	s_or_b32 exec_lo, exec_lo, s18
	s_and_saveexec_b32 s17, vcc_lo
	s_cbranch_execnz .LBB120_343
	s_branch .LBB120_344
.LBB120_336:                            ;   in Loop: Header=BB120_240 Depth=2
	s_or_b32 exec_lo, exec_lo, s24
	s_and_saveexec_b32 s24, s23
	s_cbranch_execz .LBB120_330
.LBB120_337:                            ;   in Loop: Header=BB120_240 Depth=2
	v_lshlrev_b32_e32 v2, 2, v91
	v_add_nc_u32_e32 v20, v35, v52
	ds_load_b32 v2, v2
	ds_load_b64 v[20:21], v20 offset:2048
	s_waitcnt lgkmcnt(1)
	v_add_nc_u32_e32 v2, v2, v29
	s_delay_alu instid0(VALU_DEP_1) | instskip(NEXT) | instid1(VALU_DEP_1)
	v_lshlrev_b64 v[23:24], 3, v[2:3]
	v_add_co_u32 v23, s22, s46, v23
	s_delay_alu instid0(VALU_DEP_1)
	v_add_co_ci_u32_e64 v24, s22, s47, v24, s22
	s_waitcnt lgkmcnt(0)
	global_store_b64 v[23:24], v[20:21], off
	s_or_b32 exec_lo, exec_lo, s24
	s_and_saveexec_b32 s22, s21
	s_cbranch_execnz .LBB120_331
.LBB120_338:                            ;   in Loop: Header=BB120_240 Depth=2
	s_or_b32 exec_lo, exec_lo, s22
	s_and_saveexec_b32 s21, s20
	s_cbranch_execz .LBB120_332
.LBB120_339:                            ;   in Loop: Header=BB120_240 Depth=2
	v_lshlrev_b32_e32 v2, 2, v89
	v_add_nc_u32_e32 v20, v35, v52
	ds_load_b32 v2, v2
	ds_load_b64 v[20:21], v20 offset:6144
	s_waitcnt lgkmcnt(1)
	v_add_nc_u32_e32 v2, v2, v31
	s_delay_alu instid0(VALU_DEP_1) | instskip(NEXT) | instid1(VALU_DEP_1)
	v_lshlrev_b64 v[23:24], 3, v[2:3]
	v_add_co_u32 v23, s20, s46, v23
	s_delay_alu instid0(VALU_DEP_1)
	v_add_co_ci_u32_e64 v24, s20, s47, v24, s20
	s_waitcnt lgkmcnt(0)
	global_store_b64 v[23:24], v[20:21], off
	s_or_b32 exec_lo, exec_lo, s21
	s_and_saveexec_b32 s20, s19
	s_cbranch_execnz .LBB120_333
.LBB120_340:                            ;   in Loop: Header=BB120_240 Depth=2
	s_or_b32 exec_lo, exec_lo, s20
	s_and_saveexec_b32 s19, s18
	s_cbranch_execz .LBB120_334
.LBB120_341:                            ;   in Loop: Header=BB120_240 Depth=2
	v_lshlrev_b32_e32 v2, 2, v87
	v_add_nc_u32_e32 v20, v35, v52
	ds_load_b32 v2, v2
	ds_load_b64 v[20:21], v20 offset:10240
	s_waitcnt lgkmcnt(1)
	v_add_nc_u32_e32 v2, v2, v36
	s_delay_alu instid0(VALU_DEP_1) | instskip(NEXT) | instid1(VALU_DEP_1)
	v_lshlrev_b64 v[23:24], 3, v[2:3]
	v_add_co_u32 v23, s18, s46, v23
	s_delay_alu instid0(VALU_DEP_1)
	v_add_co_ci_u32_e64 v24, s18, s47, v24, s18
	s_waitcnt lgkmcnt(0)
	global_store_b64 v[23:24], v[20:21], off
	s_or_b32 exec_lo, exec_lo, s19
	s_and_saveexec_b32 s18, s17
	s_cbranch_execnz .LBB120_335
.LBB120_342:                            ;   in Loop: Header=BB120_240 Depth=2
	s_or_b32 exec_lo, exec_lo, s18
	s_and_saveexec_b32 s17, vcc_lo
	s_cbranch_execz .LBB120_344
.LBB120_343:                            ;   in Loop: Header=BB120_240 Depth=2
	v_lshlrev_b32_e32 v2, 2, v85
	v_add_nc_u32_e32 v20, v35, v52
	ds_load_b32 v2, v2
	ds_load_b64 v[20:21], v20 offset:14336
	s_waitcnt lgkmcnt(1)
	v_add_nc_u32_e32 v2, v2, v39
	s_delay_alu instid0(VALU_DEP_1) | instskip(NEXT) | instid1(VALU_DEP_1)
	v_lshlrev_b64 v[23:24], 3, v[2:3]
	v_add_co_u32 v23, vcc_lo, s46, v23
	s_delay_alu instid0(VALU_DEP_2)
	v_add_co_ci_u32_e32 v24, vcc_lo, s47, v24, vcc_lo
	s_waitcnt lgkmcnt(0)
	global_store_b64 v[23:24], v[20:21], off
.LBB120_344:                            ;   in Loop: Header=BB120_240 Depth=2
	s_or_b32 exec_lo, exec_lo, s17
	s_waitcnt_vscnt null, 0x0
	s_barrier
	buffer_gl0_inv
	s_and_saveexec_b32 s17, s2
	s_cbranch_execz .LBB120_239
; %bb.345:                              ;   in Loop: Header=BB120_240 Depth=2
	ds_load_b32 v2, v28
	s_waitcnt lgkmcnt(0)
	v_add_nc_u32_e32 v2, v2, v22
	ds_store_b32 v28, v2
	s_branch .LBB120_239
.LBB120_346:                            ;   in Loop: Header=BB120_240 Depth=2
	s_or_b32 exec_lo, exec_lo, s17
	s_delay_alu instid0(SALU_CYCLE_1)
	s_mov_b32 s17, exec_lo
	v_cmpx_gt_u32_e64 s35, v75
	s_cbranch_execz .LBB120_245
.LBB120_347:                            ;   in Loop: Header=BB120_240 Depth=2
	global_load_u8 v2, v[22:23], off offset:32
	s_waitcnt vmcnt(0)
	v_perm_b32 v20, v20, v2, 0x7060004
	s_or_b32 exec_lo, exec_lo, s17
	s_delay_alu instid0(SALU_CYCLE_1)
	s_mov_b32 s17, exec_lo
	v_cmpx_gt_u32_e64 s35, v76
	s_cbranch_execnz .LBB120_246
.LBB120_348:                            ;   in Loop: Header=BB120_240 Depth=2
	s_or_b32 exec_lo, exec_lo, s17
	s_delay_alu instid0(SALU_CYCLE_1)
	s_mov_b32 s17, exec_lo
	v_cmpx_gt_u32_e64 s35, v77
	s_cbranch_execz .LBB120_247
.LBB120_349:                            ;   in Loop: Header=BB120_240 Depth=2
	global_load_u8 v2, v[22:23], off offset:96
	v_lshrrev_b32_e32 v24, 16, v20
	s_delay_alu instid0(VALU_DEP_1) | instskip(SKIP_2) | instid1(VALU_DEP_1)
	v_and_b32_e32 v24, 0xff, v24
	s_waitcnt vmcnt(0)
	v_lshlrev_b16 v2, 8, v2
	v_or_b32_e32 v2, v24, v2
	s_delay_alu instid0(VALU_DEP_1) | instskip(NEXT) | instid1(VALU_DEP_1)
	v_lshlrev_b32_e32 v2, 16, v2
	v_and_or_b32 v20, 0xffff, v20, v2
	s_or_b32 exec_lo, exec_lo, s17
	s_delay_alu instid0(SALU_CYCLE_1)
	s_mov_b32 s17, exec_lo
	v_cmpx_gt_u32_e64 s35, v78
	s_cbranch_execnz .LBB120_248
.LBB120_350:                            ;   in Loop: Header=BB120_240 Depth=2
	s_or_b32 exec_lo, exec_lo, s17
	s_delay_alu instid0(SALU_CYCLE_1)
	s_mov_b32 s17, exec_lo
	v_cmpx_gt_u32_e64 s35, v79
	s_cbranch_execz .LBB120_249
.LBB120_351:                            ;   in Loop: Header=BB120_240 Depth=2
	global_load_u8 v2, v[22:23], off offset:160
	s_waitcnt vmcnt(0)
	v_perm_b32 v21, v21, v2, 0x7060004
	s_or_b32 exec_lo, exec_lo, s17
	s_delay_alu instid0(SALU_CYCLE_1)
	s_mov_b32 s17, exec_lo
	v_cmpx_gt_u32_e64 s35, v80
	s_cbranch_execnz .LBB120_250
	s_branch .LBB120_251
.LBB120_352:                            ;   in Loop: Header=BB120_20 Depth=1
	s_waitcnt lgkmcnt(0)
	s_barrier
.LBB120_353:                            ;   in Loop: Header=BB120_20 Depth=1
	s_mov_b32 s0, 0
.LBB120_354:                            ;   in Loop: Header=BB120_20 Depth=1
	s_delay_alu instid0(SALU_CYCLE_1)
	s_and_not1_b32 vcc_lo, exec_lo, s0
	s_cbranch_vccnz .LBB120_19
; %bb.355:                              ;   in Loop: Header=BB120_20 Depth=1
	s_and_b32 vcc_lo, exec_lo, s33
	s_mov_b32 s0, -1
	s_cbranch_vccz .LBB120_521
; %bb.356:                              ;   in Loop: Header=BB120_20 Depth=1
	s_mov_b32 s0, s34
	s_mov_b32 s9, s28
	s_barrier
	buffer_gl0_inv
                                        ; implicit-def: $vgpr2
                                        ; implicit-def: $vgpr6
                                        ; implicit-def: $vgpr7
                                        ; implicit-def: $vgpr8
                                        ; implicit-def: $vgpr9
                                        ; implicit-def: $vgpr10
                                        ; implicit-def: $vgpr11
                                        ; implicit-def: $vgpr12
	s_branch .LBB120_358
.LBB120_357:                            ;   in Loop: Header=BB120_358 Depth=2
	s_or_b32 exec_lo, exec_lo, s8
	s_addk_i32 s0, 0xf800
	s_cmp_ge_u32 s1, s29
	s_mov_b32 s9, s1
	s_cbranch_scc1 .LBB120_396
.LBB120_358:                            ;   Parent Loop BB120_20 Depth=1
                                        ; =>  This Inner Loop Header: Depth=2
	s_add_i32 s1, s9, 0x800
	s_delay_alu instid0(SALU_CYCLE_1)
	s_cmp_gt_u32 s1, s29
	s_cbranch_scc1 .LBB120_361
; %bb.359:                              ;   in Loop: Header=BB120_358 Depth=2
	v_add_co_u32 v4, vcc_lo, v59, s9
	v_add_co_ci_u32_e32 v5, vcc_lo, 0, v60, vcc_lo
	s_mov_b32 s8, -1
	s_movk_i32 s12, 0x800
	s_clause 0x6
	global_load_u8 v20, v[4:5], off offset:1536
	global_load_u8 v19, v[4:5], off offset:1280
	;; [unrolled: 1-line block ×6, first 2 shown]
	global_load_u8 v14, v[4:5], off
	v_add_co_u32 v4, vcc_lo, 0x700, v4
	v_add_co_ci_u32_e32 v5, vcc_lo, 0, v5, vcc_lo
	s_cbranch_execz .LBB120_362
; %bb.360:                              ;   in Loop: Header=BB120_358 Depth=2
                                        ; implicit-def: $vgpr2
                                        ; implicit-def: $vgpr6
                                        ; implicit-def: $vgpr7
                                        ; implicit-def: $vgpr8
                                        ; implicit-def: $vgpr9
                                        ; implicit-def: $vgpr10
                                        ; implicit-def: $vgpr11
                                        ; implicit-def: $vgpr12
	v_mov_b32_e32 v13, s0
	s_and_saveexec_b32 s9, s8
	s_cbranch_execnz .LBB120_373
	s_branch .LBB120_374
.LBB120_361:                            ;   in Loop: Header=BB120_358 Depth=2
	s_mov_b32 s8, 0
                                        ; implicit-def: $sgpr12
                                        ; implicit-def: $vgpr14
                                        ; implicit-def: $vgpr15
                                        ; implicit-def: $vgpr16
                                        ; implicit-def: $vgpr17
                                        ; implicit-def: $vgpr18
                                        ; implicit-def: $vgpr19
                                        ; implicit-def: $vgpr20
                                        ; implicit-def: $vgpr4_vgpr5
.LBB120_362:                            ;   in Loop: Header=BB120_358 Depth=2
	s_add_u32 s10, s36, s9
	s_addc_u32 s11, s37, 0
	s_mov_b32 s12, exec_lo
	v_cmpx_gt_u32_e64 s0, v1
	s_cbranch_execz .LBB120_390
; %bb.363:                              ;   in Loop: Header=BB120_358 Depth=2
	v_add_co_u32 v4, s13, s10, v1
	s_delay_alu instid0(VALU_DEP_1) | instskip(SKIP_2) | instid1(SALU_CYCLE_1)
	v_add_co_ci_u32_e64 v5, null, s11, 0, s13
	global_load_u8 v2, v[4:5], off
	s_or_b32 exec_lo, exec_lo, s12
	s_mov_b32 s12, exec_lo
	v_cmpx_gt_u32_e64 s0, v29
	s_cbranch_execnz .LBB120_391
.LBB120_364:                            ;   in Loop: Header=BB120_358 Depth=2
	s_or_b32 exec_lo, exec_lo, s12
	s_delay_alu instid0(SALU_CYCLE_1)
	s_mov_b32 s12, exec_lo
	v_cmpx_gt_u32_e64 s0, v30
	s_cbranch_execz .LBB120_392
.LBB120_365:                            ;   in Loop: Header=BB120_358 Depth=2
	v_add_co_u32 v4, s13, s10, v1
	s_delay_alu instid0(VALU_DEP_1) | instskip(SKIP_2) | instid1(SALU_CYCLE_1)
	v_add_co_ci_u32_e64 v5, null, s11, 0, s13
	global_load_u8 v7, v[4:5], off offset:512
	s_or_b32 exec_lo, exec_lo, s12
	s_mov_b32 s12, exec_lo
	v_cmpx_gt_u32_e64 s0, v31
	s_cbranch_execnz .LBB120_393
.LBB120_366:                            ;   in Loop: Header=BB120_358 Depth=2
	s_or_b32 exec_lo, exec_lo, s12
	s_delay_alu instid0(SALU_CYCLE_1)
	s_mov_b32 s12, exec_lo
	v_cmpx_gt_u32_e64 s0, v35
	s_cbranch_execz .LBB120_394
.LBB120_367:                            ;   in Loop: Header=BB120_358 Depth=2
	v_add_co_u32 v4, s13, s10, v1
	s_delay_alu instid0(VALU_DEP_1) | instskip(SKIP_2) | instid1(SALU_CYCLE_1)
	v_add_co_ci_u32_e64 v5, null, s11, 0, s13
	global_load_u8 v9, v[4:5], off offset:1024
	s_or_b32 exec_lo, exec_lo, s12
	s_mov_b32 s12, exec_lo
	v_cmpx_gt_u32_e64 s0, v36
	s_cbranch_execnz .LBB120_395
.LBB120_368:                            ;   in Loop: Header=BB120_358 Depth=2
	s_or_b32 exec_lo, exec_lo, s12
	s_delay_alu instid0(SALU_CYCLE_1)
	s_mov_b32 s12, exec_lo
	v_cmpx_gt_u32_e64 s0, v37
	s_cbranch_execz .LBB120_370
.LBB120_369:                            ;   in Loop: Header=BB120_358 Depth=2
	v_add_co_u32 v4, s13, s10, v1
	s_delay_alu instid0(VALU_DEP_1)
	v_add_co_ci_u32_e64 v5, null, s11, 0, s13
	global_load_u8 v11, v[4:5], off offset:1536
.LBB120_370:                            ;   in Loop: Header=BB120_358 Depth=2
	s_or_b32 exec_lo, exec_lo, s12
	s_delay_alu instid0(SALU_CYCLE_1)
	s_mov_b32 s13, exec_lo
                                        ; implicit-def: $sgpr12
                                        ; implicit-def: $vgpr4_vgpr5
	v_cmpx_gt_u32_e64 s0, v39
; %bb.371:                              ;   in Loop: Header=BB120_358 Depth=2
	v_add_co_u32 v4, s10, s10, v1
	s_delay_alu instid0(VALU_DEP_1) | instskip(SKIP_1) | instid1(VALU_DEP_2)
	v_add_co_ci_u32_e64 v5, null, s11, 0, s10
	s_sub_i32 s12, s29, s9
	v_add_co_u32 v4, vcc_lo, 0x700, v4
	s_delay_alu instid0(VALU_DEP_2)
	v_add_co_ci_u32_e32 v5, vcc_lo, 0, v5, vcc_lo
	s_or_b32 s8, s8, exec_lo
                                        ; implicit-def: $vgpr12
; %bb.372:                              ;   in Loop: Header=BB120_358 Depth=2
	s_or_b32 exec_lo, exec_lo, s13
	s_waitcnt vmcnt(0)
	v_dual_mov_b32 v14, v2 :: v_dual_mov_b32 v17, v8
	v_dual_mov_b32 v15, v6 :: v_dual_mov_b32 v16, v7
	v_dual_mov_b32 v18, v9 :: v_dual_mov_b32 v19, v10
	v_dual_mov_b32 v20, v11 :: v_dual_mov_b32 v13, s0
	s_and_saveexec_b32 s9, s8
	s_cbranch_execz .LBB120_374
.LBB120_373:                            ;   in Loop: Header=BB120_358 Depth=2
	global_load_u8 v12, v[4:5], off
	s_waitcnt vmcnt(1)
	v_dual_mov_b32 v13, s12 :: v_dual_mov_b32 v2, v14
	v_dual_mov_b32 v6, v15 :: v_dual_mov_b32 v7, v16
	;; [unrolled: 1-line block ×4, first 2 shown]
.LBB120_374:                            ;   in Loop: Header=BB120_358 Depth=2
	s_or_b32 exec_lo, exec_lo, s9
	s_delay_alu instid0(SALU_CYCLE_1)
	s_mov_b32 s8, exec_lo
	v_cmpx_lt_u32_e64 v1, v13
	s_cbranch_execz .LBB120_382
; %bb.375:                              ;   in Loop: Header=BB120_358 Depth=2
	v_xor_b32_e32 v4, -1, v2
	v_lshlrev_b32_e32 v5, 2, v32
	s_delay_alu instid0(VALU_DEP_2) | instskip(NEXT) | instid1(VALU_DEP_1)
	v_and_b32_e32 v4, 0xff, v4
	v_lshrrev_b32_e32 v4, s49, v4
	s_delay_alu instid0(VALU_DEP_1) | instskip(NEXT) | instid1(VALU_DEP_1)
	v_and_b32_e32 v4, s31, v4
	v_lshl_or_b32 v4, v4, 4, v5
	ds_add_u32 v4, v66
	s_or_b32 exec_lo, exec_lo, s8
	s_delay_alu instid0(SALU_CYCLE_1)
	s_mov_b32 s8, exec_lo
	v_cmpx_lt_u32_e64 v29, v13
	s_cbranch_execnz .LBB120_383
.LBB120_376:                            ;   in Loop: Header=BB120_358 Depth=2
	s_or_b32 exec_lo, exec_lo, s8
	s_delay_alu instid0(SALU_CYCLE_1)
	s_mov_b32 s8, exec_lo
	v_cmpx_lt_u32_e64 v30, v13
	s_cbranch_execz .LBB120_384
.LBB120_377:                            ;   in Loop: Header=BB120_358 Depth=2
	v_xor_b32_e32 v4, -1, v7
	v_lshlrev_b32_e32 v5, 2, v32
	s_delay_alu instid0(VALU_DEP_2) | instskip(NEXT) | instid1(VALU_DEP_1)
	v_and_b32_e32 v4, 0xff, v4
	v_lshrrev_b32_e32 v4, s49, v4
	s_delay_alu instid0(VALU_DEP_1) | instskip(NEXT) | instid1(VALU_DEP_1)
	v_and_b32_e32 v4, s31, v4
	v_lshl_or_b32 v4, v4, 4, v5
	ds_add_u32 v4, v66
	s_or_b32 exec_lo, exec_lo, s8
	s_delay_alu instid0(SALU_CYCLE_1)
	s_mov_b32 s8, exec_lo
	v_cmpx_lt_u32_e64 v31, v13
	s_cbranch_execnz .LBB120_385
.LBB120_378:                            ;   in Loop: Header=BB120_358 Depth=2
	s_or_b32 exec_lo, exec_lo, s8
	s_delay_alu instid0(SALU_CYCLE_1)
	s_mov_b32 s8, exec_lo
	v_cmpx_lt_u32_e64 v35, v13
	s_cbranch_execz .LBB120_386
.LBB120_379:                            ;   in Loop: Header=BB120_358 Depth=2
	v_xor_b32_e32 v4, -1, v9
	v_lshlrev_b32_e32 v5, 2, v32
	s_delay_alu instid0(VALU_DEP_2) | instskip(NEXT) | instid1(VALU_DEP_1)
	v_and_b32_e32 v4, 0xff, v4
	v_lshrrev_b32_e32 v4, s49, v4
	s_delay_alu instid0(VALU_DEP_1) | instskip(NEXT) | instid1(VALU_DEP_1)
	v_and_b32_e32 v4, s31, v4
	v_lshl_or_b32 v4, v4, 4, v5
	ds_add_u32 v4, v66
	s_or_b32 exec_lo, exec_lo, s8
	s_delay_alu instid0(SALU_CYCLE_1)
	s_mov_b32 s8, exec_lo
	v_cmpx_lt_u32_e64 v36, v13
	s_cbranch_execnz .LBB120_387
.LBB120_380:                            ;   in Loop: Header=BB120_358 Depth=2
	s_or_b32 exec_lo, exec_lo, s8
	s_delay_alu instid0(SALU_CYCLE_1)
	s_mov_b32 s8, exec_lo
	v_cmpx_lt_u32_e64 v37, v13
	s_cbranch_execz .LBB120_388
.LBB120_381:                            ;   in Loop: Header=BB120_358 Depth=2
	v_xor_b32_e32 v4, -1, v11
	v_lshlrev_b32_e32 v5, 2, v32
	s_delay_alu instid0(VALU_DEP_2) | instskip(NEXT) | instid1(VALU_DEP_1)
	v_and_b32_e32 v4, 0xff, v4
	v_lshrrev_b32_e32 v4, s49, v4
	s_delay_alu instid0(VALU_DEP_1) | instskip(NEXT) | instid1(VALU_DEP_1)
	v_and_b32_e32 v4, s31, v4
	v_lshl_or_b32 v4, v4, 4, v5
	ds_add_u32 v4, v66
	s_or_b32 exec_lo, exec_lo, s8
	s_delay_alu instid0(SALU_CYCLE_1)
	s_mov_b32 s8, exec_lo
	v_cmpx_lt_u32_e64 v39, v13
	s_cbranch_execz .LBB120_357
	s_branch .LBB120_389
.LBB120_382:                            ;   in Loop: Header=BB120_358 Depth=2
	s_or_b32 exec_lo, exec_lo, s8
	s_delay_alu instid0(SALU_CYCLE_1)
	s_mov_b32 s8, exec_lo
	v_cmpx_lt_u32_e64 v29, v13
	s_cbranch_execz .LBB120_376
.LBB120_383:                            ;   in Loop: Header=BB120_358 Depth=2
	v_xor_b32_e32 v4, -1, v6
	v_lshlrev_b32_e32 v5, 2, v32
	s_delay_alu instid0(VALU_DEP_2) | instskip(NEXT) | instid1(VALU_DEP_1)
	v_and_b32_e32 v4, 0xff, v4
	v_lshrrev_b32_e32 v4, s49, v4
	s_delay_alu instid0(VALU_DEP_1) | instskip(NEXT) | instid1(VALU_DEP_1)
	v_and_b32_e32 v4, s31, v4
	v_lshl_or_b32 v4, v4, 4, v5
	ds_add_u32 v4, v66
	s_or_b32 exec_lo, exec_lo, s8
	s_delay_alu instid0(SALU_CYCLE_1)
	s_mov_b32 s8, exec_lo
	v_cmpx_lt_u32_e64 v30, v13
	s_cbranch_execnz .LBB120_377
.LBB120_384:                            ;   in Loop: Header=BB120_358 Depth=2
	s_or_b32 exec_lo, exec_lo, s8
	s_delay_alu instid0(SALU_CYCLE_1)
	s_mov_b32 s8, exec_lo
	v_cmpx_lt_u32_e64 v31, v13
	s_cbranch_execz .LBB120_378
.LBB120_385:                            ;   in Loop: Header=BB120_358 Depth=2
	v_xor_b32_e32 v4, -1, v8
	v_lshlrev_b32_e32 v5, 2, v32
	s_delay_alu instid0(VALU_DEP_2) | instskip(NEXT) | instid1(VALU_DEP_1)
	v_and_b32_e32 v4, 0xff, v4
	v_lshrrev_b32_e32 v4, s49, v4
	s_delay_alu instid0(VALU_DEP_1) | instskip(NEXT) | instid1(VALU_DEP_1)
	v_and_b32_e32 v4, s31, v4
	v_lshl_or_b32 v4, v4, 4, v5
	ds_add_u32 v4, v66
	s_or_b32 exec_lo, exec_lo, s8
	s_delay_alu instid0(SALU_CYCLE_1)
	s_mov_b32 s8, exec_lo
	v_cmpx_lt_u32_e64 v35, v13
	s_cbranch_execnz .LBB120_379
.LBB120_386:                            ;   in Loop: Header=BB120_358 Depth=2
	s_or_b32 exec_lo, exec_lo, s8
	s_delay_alu instid0(SALU_CYCLE_1)
	s_mov_b32 s8, exec_lo
	v_cmpx_lt_u32_e64 v36, v13
	s_cbranch_execz .LBB120_380
.LBB120_387:                            ;   in Loop: Header=BB120_358 Depth=2
	v_xor_b32_e32 v4, -1, v10
	v_lshlrev_b32_e32 v5, 2, v32
	s_delay_alu instid0(VALU_DEP_2) | instskip(NEXT) | instid1(VALU_DEP_1)
	v_and_b32_e32 v4, 0xff, v4
	v_lshrrev_b32_e32 v4, s49, v4
	s_delay_alu instid0(VALU_DEP_1) | instskip(NEXT) | instid1(VALU_DEP_1)
	v_and_b32_e32 v4, s31, v4
	v_lshl_or_b32 v4, v4, 4, v5
	ds_add_u32 v4, v66
	s_or_b32 exec_lo, exec_lo, s8
	s_delay_alu instid0(SALU_CYCLE_1)
	s_mov_b32 s8, exec_lo
	v_cmpx_lt_u32_e64 v37, v13
	s_cbranch_execnz .LBB120_381
.LBB120_388:                            ;   in Loop: Header=BB120_358 Depth=2
	s_or_b32 exec_lo, exec_lo, s8
	s_delay_alu instid0(SALU_CYCLE_1)
	s_mov_b32 s8, exec_lo
	v_cmpx_lt_u32_e64 v39, v13
	s_cbranch_execz .LBB120_357
.LBB120_389:                            ;   in Loop: Header=BB120_358 Depth=2
	s_waitcnt vmcnt(0)
	v_xor_b32_e32 v4, -1, v12
	v_lshlrev_b32_e32 v5, 2, v32
	s_delay_alu instid0(VALU_DEP_2) | instskip(NEXT) | instid1(VALU_DEP_1)
	v_and_b32_e32 v4, 0xff, v4
	v_lshrrev_b32_e32 v4, s49, v4
	s_delay_alu instid0(VALU_DEP_1) | instskip(NEXT) | instid1(VALU_DEP_1)
	v_and_b32_e32 v4, s31, v4
	v_lshl_or_b32 v4, v4, 4, v5
	ds_add_u32 v4, v66
	s_branch .LBB120_357
.LBB120_390:                            ;   in Loop: Header=BB120_358 Depth=2
	s_or_b32 exec_lo, exec_lo, s12
	s_delay_alu instid0(SALU_CYCLE_1)
	s_mov_b32 s12, exec_lo
	v_cmpx_gt_u32_e64 s0, v29
	s_cbranch_execz .LBB120_364
.LBB120_391:                            ;   in Loop: Header=BB120_358 Depth=2
	v_add_co_u32 v4, s13, s10, v1
	s_delay_alu instid0(VALU_DEP_1) | instskip(SKIP_2) | instid1(SALU_CYCLE_1)
	v_add_co_ci_u32_e64 v5, null, s11, 0, s13
	global_load_u8 v6, v[4:5], off offset:256
	s_or_b32 exec_lo, exec_lo, s12
	s_mov_b32 s12, exec_lo
	v_cmpx_gt_u32_e64 s0, v30
	s_cbranch_execnz .LBB120_365
.LBB120_392:                            ;   in Loop: Header=BB120_358 Depth=2
	s_or_b32 exec_lo, exec_lo, s12
	s_delay_alu instid0(SALU_CYCLE_1)
	s_mov_b32 s12, exec_lo
	v_cmpx_gt_u32_e64 s0, v31
	s_cbranch_execz .LBB120_366
.LBB120_393:                            ;   in Loop: Header=BB120_358 Depth=2
	v_add_co_u32 v4, s13, s10, v1
	s_delay_alu instid0(VALU_DEP_1) | instskip(SKIP_2) | instid1(SALU_CYCLE_1)
	v_add_co_ci_u32_e64 v5, null, s11, 0, s13
	global_load_u8 v8, v[4:5], off offset:768
	s_or_b32 exec_lo, exec_lo, s12
	s_mov_b32 s12, exec_lo
	v_cmpx_gt_u32_e64 s0, v35
	s_cbranch_execnz .LBB120_367
.LBB120_394:                            ;   in Loop: Header=BB120_358 Depth=2
	s_or_b32 exec_lo, exec_lo, s12
	s_delay_alu instid0(SALU_CYCLE_1)
	s_mov_b32 s12, exec_lo
	v_cmpx_gt_u32_e64 s0, v36
	s_cbranch_execz .LBB120_368
.LBB120_395:                            ;   in Loop: Header=BB120_358 Depth=2
	v_add_co_u32 v4, s13, s10, v1
	s_delay_alu instid0(VALU_DEP_1) | instskip(SKIP_2) | instid1(SALU_CYCLE_1)
	v_add_co_ci_u32_e64 v5, null, s11, 0, s13
	global_load_u8 v10, v[4:5], off offset:1280
	s_or_b32 exec_lo, exec_lo, s12
	s_mov_b32 s12, exec_lo
	v_cmpx_gt_u32_e64 s0, v37
	s_cbranch_execz .LBB120_370
	s_branch .LBB120_369
.LBB120_396:                            ;   in Loop: Header=BB120_20 Depth=1
	v_mov_b32_e32 v2, 0
	s_waitcnt vmcnt(0) lgkmcnt(0)
	s_barrier
	buffer_gl0_inv
	s_and_saveexec_b32 s0, s2
	s_cbranch_execz .LBB120_398
; %bb.397:                              ;   in Loop: Header=BB120_20 Depth=1
	ds_load_2addr_b64 v[4:7], v40 offset1:1
	s_waitcnt lgkmcnt(0)
	v_add_nc_u32_e32 v2, v5, v4
	s_delay_alu instid0(VALU_DEP_1)
	v_add3_u32 v2, v2, v6, v7
.LBB120_398:                            ;   in Loop: Header=BB120_20 Depth=1
	s_or_b32 exec_lo, exec_lo, s0
	v_and_b32_e32 v4, 15, v63
	s_delay_alu instid0(VALU_DEP_2) | instskip(SKIP_1) | instid1(VALU_DEP_3)
	v_mov_b32_dpp v5, v2 row_shr:1 row_mask:0xf bank_mask:0xf
	v_and_b32_e32 v6, 16, v63
	v_cmp_eq_u32_e64 s0, 0, v4
	v_cmp_lt_u32_e64 s1, 1, v4
	v_cmp_lt_u32_e64 s8, 3, v4
	;; [unrolled: 1-line block ×3, first 2 shown]
	v_cmp_eq_u32_e64 s10, 0, v6
	v_cndmask_b32_e64 v5, v5, 0, s0
	s_delay_alu instid0(VALU_DEP_1) | instskip(NEXT) | instid1(VALU_DEP_1)
	v_add_nc_u32_e32 v2, v5, v2
	v_mov_b32_dpp v5, v2 row_shr:2 row_mask:0xf bank_mask:0xf
	s_delay_alu instid0(VALU_DEP_1) | instskip(NEXT) | instid1(VALU_DEP_1)
	v_cndmask_b32_e64 v5, 0, v5, s1
	v_add_nc_u32_e32 v2, v2, v5
	s_delay_alu instid0(VALU_DEP_1) | instskip(NEXT) | instid1(VALU_DEP_1)
	v_mov_b32_dpp v5, v2 row_shr:4 row_mask:0xf bank_mask:0xf
	v_cndmask_b32_e64 v5, 0, v5, s8
	s_delay_alu instid0(VALU_DEP_1) | instskip(NEXT) | instid1(VALU_DEP_1)
	v_add_nc_u32_e32 v2, v2, v5
	v_mov_b32_dpp v5, v2 row_shr:8 row_mask:0xf bank_mask:0xf
	s_delay_alu instid0(VALU_DEP_1) | instskip(SKIP_1) | instid1(VALU_DEP_2)
	v_cndmask_b32_e64 v4, 0, v5, s9
	v_bfe_i32 v5, v63, 4, 1
	v_add_nc_u32_e32 v2, v2, v4
	ds_swizzle_b32 v4, v2 offset:swizzle(BROADCAST,32,15)
	s_waitcnt lgkmcnt(0)
	v_and_b32_e32 v4, v5, v4
	s_delay_alu instid0(VALU_DEP_1)
	v_add_nc_u32_e32 v4, v2, v4
	s_and_saveexec_b32 s11, s3
	s_cbranch_execz .LBB120_400
; %bb.399:                              ;   in Loop: Header=BB120_20 Depth=1
	ds_store_b32 v41, v4
.LBB120_400:                            ;   in Loop: Header=BB120_20 Depth=1
	s_or_b32 exec_lo, exec_lo, s11
	v_and_b32_e32 v2, 7, v63
	s_waitcnt lgkmcnt(0)
	s_barrier
	buffer_gl0_inv
	s_and_saveexec_b32 s11, s4
	s_cbranch_execz .LBB120_402
; %bb.401:                              ;   in Loop: Header=BB120_20 Depth=1
	ds_load_b32 v5, v42
	v_cmp_ne_u32_e32 vcc_lo, 0, v2
	s_waitcnt lgkmcnt(0)
	v_mov_b32_dpp v6, v5 row_shr:1 row_mask:0xf bank_mask:0xf
	s_delay_alu instid0(VALU_DEP_1) | instskip(SKIP_1) | instid1(VALU_DEP_2)
	v_cndmask_b32_e32 v6, 0, v6, vcc_lo
	v_cmp_lt_u32_e32 vcc_lo, 1, v2
	v_add_nc_u32_e32 v5, v6, v5
	s_delay_alu instid0(VALU_DEP_1) | instskip(NEXT) | instid1(VALU_DEP_1)
	v_mov_b32_dpp v6, v5 row_shr:2 row_mask:0xf bank_mask:0xf
	v_cndmask_b32_e32 v6, 0, v6, vcc_lo
	v_cmp_lt_u32_e32 vcc_lo, 3, v2
	s_delay_alu instid0(VALU_DEP_2) | instskip(NEXT) | instid1(VALU_DEP_1)
	v_add_nc_u32_e32 v5, v5, v6
	v_mov_b32_dpp v6, v5 row_shr:4 row_mask:0xf bank_mask:0xf
	s_delay_alu instid0(VALU_DEP_1) | instskip(NEXT) | instid1(VALU_DEP_1)
	v_cndmask_b32_e32 v6, 0, v6, vcc_lo
	v_add_nc_u32_e32 v5, v5, v6
	ds_store_b32 v42, v5
.LBB120_402:                            ;   in Loop: Header=BB120_20 Depth=1
	s_or_b32 exec_lo, exec_lo, s11
	v_mov_b32_e32 v5, 0
	s_waitcnt lgkmcnt(0)
	s_barrier
	buffer_gl0_inv
	s_and_saveexec_b32 s11, s5
	s_cbranch_execz .LBB120_404
; %bb.403:                              ;   in Loop: Header=BB120_20 Depth=1
	ds_load_b32 v5, v43
.LBB120_404:                            ;   in Loop: Header=BB120_20 Depth=1
	s_or_b32 exec_lo, exec_lo, s11
	v_add_nc_u32_e32 v6, -1, v63
	s_waitcnt lgkmcnt(0)
	v_add_nc_u32_e32 v4, v5, v4
	v_cmp_eq_u32_e64 s11, 0, v63
	s_barrier
	v_cmp_gt_i32_e32 vcc_lo, 0, v6
	buffer_gl0_inv
	v_cndmask_b32_e32 v6, v6, v63, vcc_lo
	s_delay_alu instid0(VALU_DEP_1)
	v_lshlrev_b32_e32 v69, 2, v6
	ds_bpermute_b32 v4, v69, v4
	s_and_saveexec_b32 s12, s2
	s_cbranch_execz .LBB120_406
; %bb.405:                              ;   in Loop: Header=BB120_20 Depth=1
	s_waitcnt lgkmcnt(0)
	v_cndmask_b32_e64 v4, v4, v5, s11
	s_delay_alu instid0(VALU_DEP_1)
	v_add_nc_u32_e32 v4, s28, v4
	ds_store_b32 v28, v4
.LBB120_406:                            ;   in Loop: Header=BB120_20 Depth=1
	s_or_b32 exec_lo, exec_lo, s12
	s_load_b64 s[12:13], s[26:27], 0x0
	v_add_co_u32 v71, vcc_lo, v64, v63
	v_add_co_ci_u32_e32 v72, vcc_lo, 0, v65, vcc_lo
	v_or_b32_e32 v70, v63, v44
	s_mov_b32 s35, s34
	s_mov_b32 s24, s28
                                        ; implicit-def: $vgpr8_vgpr9
                                        ; implicit-def: $vgpr10_vgpr11
                                        ; implicit-def: $vgpr12_vgpr13
                                        ; implicit-def: $vgpr14_vgpr15
                                        ; implicit-def: $vgpr16_vgpr17
                                        ; implicit-def: $vgpr18_vgpr19
                                        ; implicit-def: $vgpr85
                                        ; implicit-def: $vgpr86
                                        ; implicit-def: $vgpr87
                                        ; implicit-def: $vgpr88
                                        ; implicit-def: $vgpr89
                                        ; implicit-def: $vgpr90
                                        ; implicit-def: $vgpr91
                                        ; implicit-def: $vgpr92
	s_delay_alu instid0(VALU_DEP_1)
	v_or_b32_e32 v75, 32, v70
	v_or_b32_e32 v76, 64, v70
	;; [unrolled: 1-line block ×7, first 2 shown]
	s_waitcnt lgkmcnt(0)
	s_cmp_lt_u32 s15, s13
	s_cselect_b32 s13, 14, 20
	s_delay_alu instid0(SALU_CYCLE_1) | instskip(SKIP_4) | instid1(SALU_CYCLE_1)
	s_add_u32 s16, s26, s13
	s_addc_u32 s17, s27, 0
	s_cmp_lt_u32 s14, s12
	global_load_u16 v4, v3, s[16:17]
	s_cselect_b32 s12, 12, 18
	s_add_u32 s12, s26, s12
	s_addc_u32 s13, s27, 0
	global_load_u16 v6, v3, s[12:13]
	v_cmp_eq_u32_e64 s12, 0, v2
	v_cmp_lt_u32_e64 s13, 1, v2
	v_cmp_lt_u32_e64 s16, 3, v2
	v_lshlrev_b32_e32 v2, 3, v63
	s_delay_alu instid0(VALU_DEP_1)
	v_add_co_u32 v73, vcc_lo, v61, v2
	v_add_co_ci_u32_e32 v74, vcc_lo, 0, v62, vcc_lo
	v_add_co_u32 v83, vcc_lo, 0xe0, v71
	v_add_co_ci_u32_e32 v84, vcc_lo, 0, v72, vcc_lo
	s_waitcnt vmcnt(1)
	v_mad_u32_u24 v7, v45, v4, v0
	s_waitcnt vmcnt(0)
	s_delay_alu instid0(VALU_DEP_1) | instskip(NEXT) | instid1(VALU_DEP_1)
	v_mad_u64_u32 v[4:5], null, v7, v6, v[1:2]
                                        ; implicit-def: $vgpr6_vgpr7
	v_lshrrev_b32_e32 v82, 5, v4
                                        ; implicit-def: $vgpr4_vgpr5
	s_branch .LBB120_408
.LBB120_407:                            ;   in Loop: Header=BB120_408 Depth=2
	s_or_b32 exec_lo, exec_lo, s17
	s_addk_i32 s35, 0xf800
	s_cmp_lt_u32 s42, s29
	s_mov_b32 s24, s42
	s_cbranch_scc0 .LBB120_520
.LBB120_408:                            ;   Parent Loop BB120_20 Depth=1
                                        ; =>  This Inner Loop Header: Depth=2
	s_add_i32 s42, s24, 0x800
	s_delay_alu instid0(SALU_CYCLE_1)
	s_cmp_gt_u32 s42, s29
	s_cbranch_scc1 .LBB120_410
; %bb.409:                              ;   in Loop: Header=BB120_408 Depth=2
	v_add_co_u32 v20, vcc_lo, v71, s24
	v_add_co_ci_u32_e32 v21, vcc_lo, 0, v72, vcc_lo
	s_mov_b32 s19, 0
	s_mov_b32 s18, s24
	s_mov_b32 s20, -1
	s_clause 0x6
	global_load_u8 v2, v[20:21], off offset:32
	global_load_u8 v22, v[20:21], off offset:96
	;; [unrolled: 1-line block ×3, first 2 shown]
	global_load_u8 v24, v[20:21], off
	global_load_u8 v25, v[20:21], off offset:64
	global_load_u8 v26, v[20:21], off offset:128
	;; [unrolled: 1-line block ×3, first 2 shown]
	s_movk_i32 s17, 0x800
	s_waitcnt vmcnt(6)
	v_lshlrev_b16 v2, 8, v2
	s_waitcnt vmcnt(5)
	v_lshlrev_b16 v20, 8, v22
	s_waitcnt vmcnt(4)
	v_lshlrev_b16 v22, 8, v23
	s_waitcnt vmcnt(3)
	v_or_b32_e32 v2, v24, v2
	s_waitcnt vmcnt(2)
	v_or_b32_e32 v20, v25, v20
	;; [unrolled: 2-line block ×3, first 2 shown]
	v_and_b32_e32 v2, 0xffff, v2
	s_delay_alu instid0(VALU_DEP_3) | instskip(NEXT) | instid1(VALU_DEP_3)
	v_lshlrev_b32_e32 v20, 16, v20
	v_and_b32_e32 v22, 0xffff, v22
	s_delay_alu instid0(VALU_DEP_2) | instskip(SKIP_1) | instid1(VALU_DEP_2)
	v_or_b32_e32 v20, v2, v20
	s_waitcnt vmcnt(0)
	v_lshl_or_b32 v21, v21, 16, v22
	s_cbranch_execz .LBB120_411
	s_branch .LBB120_420
.LBB120_410:                            ;   in Loop: Header=BB120_408 Depth=2
	s_mov_b32 s19, -1
	s_mov_b32 s20, 0
                                        ; implicit-def: $sgpr17
                                        ; implicit-def: $vgpr20_vgpr21
.LBB120_411:                            ;   in Loop: Header=BB120_408 Depth=2
	v_add_co_u32 v22, vcc_lo, v71, s24
	s_mov_b32 s18, s25
	s_mov_b32 s19, s25
	v_add_co_ci_u32_e32 v23, vcc_lo, 0, v72, vcc_lo
	v_dual_mov_b32 v21, s19 :: v_dual_mov_b32 v20, s18
	s_mov_b32 s17, exec_lo
	v_cmpx_gt_u32_e64 s35, v70
	s_cbranch_execz .LBB120_514
; %bb.412:                              ;   in Loop: Header=BB120_408 Depth=2
	global_load_u8 v2, v[22:23], off
	s_waitcnt vmcnt(0)
	v_dual_mov_b32 v21, s25 :: v_dual_and_b32 v20, 0xffff, v2
	s_or_b32 exec_lo, exec_lo, s17
	s_delay_alu instid0(SALU_CYCLE_1)
	s_mov_b32 s17, exec_lo
	v_cmpx_gt_u32_e64 s35, v75
	s_cbranch_execnz .LBB120_515
.LBB120_413:                            ;   in Loop: Header=BB120_408 Depth=2
	s_or_b32 exec_lo, exec_lo, s17
	s_delay_alu instid0(SALU_CYCLE_1)
	s_mov_b32 s17, exec_lo
	v_cmpx_gt_u32_e64 s35, v76
	s_cbranch_execz .LBB120_516
.LBB120_414:                            ;   in Loop: Header=BB120_408 Depth=2
	global_load_u8 v2, v[22:23], off offset:64
	v_lshrrev_b32_e32 v24, 16, v20
	s_delay_alu instid0(VALU_DEP_1) | instskip(SKIP_1) | instid1(VALU_DEP_1)
	v_and_b32_e32 v24, 0xffffff00, v24
	s_waitcnt vmcnt(0)
	v_or_b32_e32 v2, v2, v24
	s_delay_alu instid0(VALU_DEP_1) | instskip(NEXT) | instid1(VALU_DEP_1)
	v_lshlrev_b32_e32 v2, 16, v2
	v_and_or_b32 v20, 0xffff, v20, v2
	s_or_b32 exec_lo, exec_lo, s17
	s_delay_alu instid0(SALU_CYCLE_1)
	s_mov_b32 s17, exec_lo
	v_cmpx_gt_u32_e64 s35, v77
	s_cbranch_execnz .LBB120_517
.LBB120_415:                            ;   in Loop: Header=BB120_408 Depth=2
	s_or_b32 exec_lo, exec_lo, s17
	s_delay_alu instid0(SALU_CYCLE_1)
	s_mov_b32 s17, exec_lo
	v_cmpx_gt_u32_e64 s35, v78
	s_cbranch_execz .LBB120_518
.LBB120_416:                            ;   in Loop: Header=BB120_408 Depth=2
	global_load_u8 v2, v[22:23], off offset:128
	s_waitcnt vmcnt(0)
	v_perm_b32 v21, v2, v21, 0x3020104
	s_or_b32 exec_lo, exec_lo, s17
	s_delay_alu instid0(SALU_CYCLE_1)
	s_mov_b32 s17, exec_lo
	v_cmpx_gt_u32_e64 s35, v79
	s_cbranch_execnz .LBB120_519
.LBB120_417:                            ;   in Loop: Header=BB120_408 Depth=2
	s_or_b32 exec_lo, exec_lo, s17
	s_delay_alu instid0(SALU_CYCLE_1)
	s_mov_b32 s17, exec_lo
	v_cmpx_gt_u32_e64 s35, v80
	s_cbranch_execz .LBB120_419
.LBB120_418:                            ;   in Loop: Header=BB120_408 Depth=2
	global_load_u8 v2, v[22:23], off offset:192
	s_waitcnt vmcnt(0)
	v_perm_b32 v21, v21, v2, 0x7000504
.LBB120_419:                            ;   in Loop: Header=BB120_408 Depth=2
	s_or_b32 exec_lo, exec_lo, s17
	v_cmp_gt_u32_e64 s20, s35, v81
	s_sub_i32 s17, s29, s24
	s_mov_b64 s[18:19], s[24:25]
.LBB120_420:                            ;   in Loop: Header=BB120_408 Depth=2
	v_mov_b32_e32 v2, s35
	s_delay_alu instid0(VALU_DEP_2)
	s_and_saveexec_b32 s21, s20
	s_cbranch_execz .LBB120_422
; %bb.421:                              ;   in Loop: Header=BB120_408 Depth=2
	v_add_co_u32 v22, vcc_lo, v83, s18
	v_add_co_ci_u32_e32 v23, vcc_lo, s19, v84, vcc_lo
	global_load_u8 v2, v[22:23], off
	s_waitcnt vmcnt(0)
	v_perm_b32 v21, v21, v2, 0x60504
	v_mov_b32_e32 v2, s17
.LBB120_422:                            ;   in Loop: Header=BB120_408 Depth=2
	s_or_b32 exec_lo, exec_lo, s21
	v_xor_b32_e32 v93, -1, v20
	ds_store_b32 v46, v3 offset:1056
	ds_store_2addr_b32 v47, v3, v3 offset0:1 offset1:2
	ds_store_2addr_b32 v47, v3, v3 offset0:3 offset1:4
	ds_store_2addr_b32 v47, v3, v3 offset0:5 offset1:6
	ds_store_2addr_b32 v47, v3, v3 offset0:7 offset1:8
	s_waitcnt lgkmcnt(0)
	s_barrier
	v_and_b32_e32 v22, 0xff, v93
	buffer_gl0_inv
	; wave barrier
	v_lshrrev_b32_e32 v22, s49, v22
	s_delay_alu instid0(VALU_DEP_1) | instskip(NEXT) | instid1(VALU_DEP_1)
	v_and_b32_e32 v23, s31, v22
	v_and_b32_e32 v22, 1, v23
	v_lshlrev_b32_e32 v24, 30, v23
	v_lshlrev_b32_e32 v25, 29, v23
	;; [unrolled: 1-line block ×4, first 2 shown]
	v_add_co_u32 v22, s17, v22, -1
	s_delay_alu instid0(VALU_DEP_1)
	v_cndmask_b32_e64 v27, 0, 1, s17
	v_not_b32_e32 v97, v24
	v_cmp_gt_i32_e64 s17, 0, v24
	v_not_b32_e32 v24, v25
	v_lshlrev_b32_e32 v95, 26, v23
	v_cmp_ne_u32_e32 vcc_lo, 0, v27
	v_ashrrev_i32_e32 v97, 31, v97
	v_lshlrev_b32_e32 v96, 25, v23
	v_ashrrev_i32_e32 v24, 31, v24
	v_lshlrev_b32_e32 v27, 24, v23
	v_xor_b32_e32 v22, vcc_lo, v22
	v_cmp_gt_i32_e32 vcc_lo, 0, v25
	v_not_b32_e32 v25, v26
	v_xor_b32_e32 v97, s17, v97
	v_cmp_gt_i32_e64 s17, 0, v26
	v_and_b32_e32 v22, exec_lo, v22
	v_not_b32_e32 v26, v94
	v_ashrrev_i32_e32 v25, 31, v25
	v_xor_b32_e32 v24, vcc_lo, v24
	v_cmp_gt_i32_e32 vcc_lo, 0, v94
	v_and_b32_e32 v22, v22, v97
	v_not_b32_e32 v94, v95
	v_ashrrev_i32_e32 v26, 31, v26
	v_xor_b32_e32 v25, s17, v25
	v_cmp_gt_i32_e64 s17, 0, v95
	v_and_b32_e32 v22, v22, v24
	v_not_b32_e32 v24, v96
	v_ashrrev_i32_e32 v94, 31, v94
	v_xor_b32_e32 v26, vcc_lo, v26
	v_cmp_gt_i32_e32 vcc_lo, 0, v96
	v_and_b32_e32 v22, v22, v25
	v_not_b32_e32 v25, v27
	v_ashrrev_i32_e32 v24, 31, v24
	v_xor_b32_e32 v94, s17, v94
	v_cmp_gt_i32_e64 s17, 0, v27
	v_and_b32_e32 v22, v22, v26
	v_ashrrev_i32_e32 v25, 31, v25
	v_xor_b32_e32 v24, vcc_lo, v24
	v_mad_u32_u24 v23, v23, 9, v82
	s_delay_alu instid0(VALU_DEP_4) | instskip(NEXT) | instid1(VALU_DEP_4)
	v_and_b32_e32 v22, v22, v94
	v_xor_b32_e32 v25, s17, v25
	s_delay_alu instid0(VALU_DEP_3) | instskip(NEXT) | instid1(VALU_DEP_3)
	v_lshl_add_u32 v96, v23, 2, 0x420
	v_and_b32_e32 v22, v22, v24
	s_delay_alu instid0(VALU_DEP_1) | instskip(NEXT) | instid1(VALU_DEP_1)
	v_and_b32_e32 v22, v22, v25
	v_mbcnt_lo_u32_b32 v94, v22, 0
	v_cmp_ne_u32_e64 s17, 0, v22
	s_delay_alu instid0(VALU_DEP_2) | instskip(NEXT) | instid1(VALU_DEP_2)
	v_cmp_eq_u32_e32 vcc_lo, 0, v94
	s_and_b32 s18, s17, vcc_lo
	s_delay_alu instid0(SALU_CYCLE_1)
	s_and_saveexec_b32 s17, s18
	s_cbranch_execz .LBB120_424
; %bb.423:                              ;   in Loop: Header=BB120_408 Depth=2
	v_bcnt_u32_b32 v22, v22, 0
	ds_store_b32 v96, v22
.LBB120_424:                            ;   in Loop: Header=BB120_408 Depth=2
	s_or_b32 exec_lo, exec_lo, s17
	v_lshrrev_b32_e32 v22, 8, v20
	; wave barrier
	s_delay_alu instid0(VALU_DEP_1) | instskip(NEXT) | instid1(VALU_DEP_1)
	v_xor_b32_e32 v95, -1, v22
	v_and_b32_e32 v22, 0xff, v95
	s_delay_alu instid0(VALU_DEP_1) | instskip(NEXT) | instid1(VALU_DEP_1)
	v_lshrrev_b32_e32 v22, s49, v22
	v_and_b32_e32 v22, s31, v22
	s_delay_alu instid0(VALU_DEP_1)
	v_and_b32_e32 v23, 1, v22
	v_lshlrev_b32_e32 v24, 30, v22
	v_lshlrev_b32_e32 v25, 29, v22
	v_lshlrev_b32_e32 v26, 28, v22
	v_lshlrev_b32_e32 v97, 27, v22
	v_add_co_u32 v23, s17, v23, -1
	s_delay_alu instid0(VALU_DEP_1)
	v_cndmask_b32_e64 v27, 0, 1, s17
	v_not_b32_e32 v100, v24
	v_cmp_gt_i32_e64 s17, 0, v24
	v_not_b32_e32 v24, v25
	v_lshlrev_b32_e32 v98, 26, v22
	v_cmp_ne_u32_e32 vcc_lo, 0, v27
	v_ashrrev_i32_e32 v100, 31, v100
	v_lshlrev_b32_e32 v99, 25, v22
	v_ashrrev_i32_e32 v24, 31, v24
	v_lshlrev_b32_e32 v27, 24, v22
	v_xor_b32_e32 v23, vcc_lo, v23
	v_cmp_gt_i32_e32 vcc_lo, 0, v25
	v_not_b32_e32 v25, v26
	v_xor_b32_e32 v100, s17, v100
	v_cmp_gt_i32_e64 s17, 0, v26
	v_and_b32_e32 v23, exec_lo, v23
	v_not_b32_e32 v26, v97
	v_ashrrev_i32_e32 v25, 31, v25
	v_xor_b32_e32 v24, vcc_lo, v24
	v_cmp_gt_i32_e32 vcc_lo, 0, v97
	v_and_b32_e32 v23, v23, v100
	v_not_b32_e32 v97, v98
	v_ashrrev_i32_e32 v26, 31, v26
	v_xor_b32_e32 v25, s17, v25
	v_cmp_gt_i32_e64 s17, 0, v98
	v_and_b32_e32 v23, v23, v24
	v_not_b32_e32 v24, v99
	v_ashrrev_i32_e32 v97, 31, v97
	v_xor_b32_e32 v26, vcc_lo, v26
	v_cmp_gt_i32_e32 vcc_lo, 0, v99
	v_and_b32_e32 v23, v23, v25
	v_not_b32_e32 v25, v27
	v_ashrrev_i32_e32 v24, 31, v24
	v_xor_b32_e32 v97, s17, v97
	v_mul_u32_u24_e32 v22, 9, v22
	v_and_b32_e32 v23, v23, v26
	v_cmp_gt_i32_e64 s17, 0, v27
	v_ashrrev_i32_e32 v25, 31, v25
	v_xor_b32_e32 v24, vcc_lo, v24
	v_add_lshl_u32 v26, v22, v82, 2
	v_and_b32_e32 v23, v23, v97
	s_delay_alu instid0(VALU_DEP_4) | instskip(SKIP_3) | instid1(VALU_DEP_2)
	v_xor_b32_e32 v22, s17, v25
	ds_load_b32 v97, v26 offset:1056
	v_and_b32_e32 v23, v23, v24
	v_add_nc_u32_e32 v100, 0x420, v26
	; wave barrier
	v_and_b32_e32 v22, v23, v22
	s_delay_alu instid0(VALU_DEP_1) | instskip(SKIP_1) | instid1(VALU_DEP_2)
	v_mbcnt_lo_u32_b32 v98, v22, 0
	v_cmp_ne_u32_e64 s17, 0, v22
	v_cmp_eq_u32_e32 vcc_lo, 0, v98
	s_delay_alu instid0(VALU_DEP_2) | instskip(NEXT) | instid1(SALU_CYCLE_1)
	s_and_b32 s18, s17, vcc_lo
	s_and_saveexec_b32 s17, s18
	s_cbranch_execz .LBB120_426
; %bb.425:                              ;   in Loop: Header=BB120_408 Depth=2
	s_waitcnt lgkmcnt(0)
	v_bcnt_u32_b32 v22, v22, v97
	ds_store_b32 v100, v22
.LBB120_426:                            ;   in Loop: Header=BB120_408 Depth=2
	s_or_b32 exec_lo, exec_lo, s17
	v_lshrrev_b32_e32 v22, 16, v20
	; wave barrier
	s_delay_alu instid0(VALU_DEP_1) | instskip(NEXT) | instid1(VALU_DEP_1)
	v_xor_b32_e32 v99, -1, v22
	v_and_b32_e32 v22, 0xff, v99
	s_delay_alu instid0(VALU_DEP_1) | instskip(NEXT) | instid1(VALU_DEP_1)
	v_lshrrev_b32_e32 v22, s49, v22
	v_and_b32_e32 v22, s31, v22
	s_delay_alu instid0(VALU_DEP_1)
	v_and_b32_e32 v23, 1, v22
	v_lshlrev_b32_e32 v24, 30, v22
	v_lshlrev_b32_e32 v25, 29, v22
	v_lshlrev_b32_e32 v26, 28, v22
	v_lshlrev_b32_e32 v101, 27, v22
	v_add_co_u32 v23, s17, v23, -1
	s_delay_alu instid0(VALU_DEP_1)
	v_cndmask_b32_e64 v27, 0, 1, s17
	v_not_b32_e32 v104, v24
	v_cmp_gt_i32_e64 s17, 0, v24
	v_not_b32_e32 v24, v25
	v_lshlrev_b32_e32 v102, 26, v22
	v_cmp_ne_u32_e32 vcc_lo, 0, v27
	v_ashrrev_i32_e32 v104, 31, v104
	v_lshlrev_b32_e32 v103, 25, v22
	v_ashrrev_i32_e32 v24, 31, v24
	v_lshlrev_b32_e32 v27, 24, v22
	v_xor_b32_e32 v23, vcc_lo, v23
	v_cmp_gt_i32_e32 vcc_lo, 0, v25
	v_not_b32_e32 v25, v26
	v_xor_b32_e32 v104, s17, v104
	v_cmp_gt_i32_e64 s17, 0, v26
	v_and_b32_e32 v23, exec_lo, v23
	v_not_b32_e32 v26, v101
	v_ashrrev_i32_e32 v25, 31, v25
	v_xor_b32_e32 v24, vcc_lo, v24
	v_cmp_gt_i32_e32 vcc_lo, 0, v101
	v_and_b32_e32 v23, v23, v104
	v_not_b32_e32 v101, v102
	v_ashrrev_i32_e32 v26, 31, v26
	v_xor_b32_e32 v25, s17, v25
	v_cmp_gt_i32_e64 s17, 0, v102
	v_and_b32_e32 v23, v23, v24
	v_not_b32_e32 v24, v103
	v_ashrrev_i32_e32 v101, 31, v101
	v_xor_b32_e32 v26, vcc_lo, v26
	v_cmp_gt_i32_e32 vcc_lo, 0, v103
	v_and_b32_e32 v23, v23, v25
	v_not_b32_e32 v25, v27
	v_ashrrev_i32_e32 v24, 31, v24
	v_xor_b32_e32 v101, s17, v101
	v_mul_u32_u24_e32 v22, 9, v22
	v_and_b32_e32 v23, v23, v26
	v_cmp_gt_i32_e64 s17, 0, v27
	v_ashrrev_i32_e32 v25, 31, v25
	v_xor_b32_e32 v24, vcc_lo, v24
	v_add_lshl_u32 v26, v22, v82, 2
	v_and_b32_e32 v23, v23, v101
	s_delay_alu instid0(VALU_DEP_4) | instskip(SKIP_3) | instid1(VALU_DEP_2)
	v_xor_b32_e32 v22, s17, v25
	ds_load_b32 v101, v26 offset:1056
	v_and_b32_e32 v23, v23, v24
	v_add_nc_u32_e32 v104, 0x420, v26
	; wave barrier
	v_and_b32_e32 v22, v23, v22
	s_delay_alu instid0(VALU_DEP_1) | instskip(SKIP_1) | instid1(VALU_DEP_2)
	v_mbcnt_lo_u32_b32 v102, v22, 0
	v_cmp_ne_u32_e64 s17, 0, v22
	v_cmp_eq_u32_e32 vcc_lo, 0, v102
	s_delay_alu instid0(VALU_DEP_2) | instskip(NEXT) | instid1(SALU_CYCLE_1)
	s_and_b32 s18, s17, vcc_lo
	s_and_saveexec_b32 s17, s18
	s_cbranch_execz .LBB120_428
; %bb.427:                              ;   in Loop: Header=BB120_408 Depth=2
	s_waitcnt lgkmcnt(0)
	v_bcnt_u32_b32 v22, v22, v101
	ds_store_b32 v104, v22
.LBB120_428:                            ;   in Loop: Header=BB120_408 Depth=2
	s_or_b32 exec_lo, exec_lo, s17
	v_lshrrev_b64 v[22:23], 24, v[20:21]
	; wave barrier
	s_delay_alu instid0(VALU_DEP_1) | instskip(NEXT) | instid1(VALU_DEP_1)
	v_xor_b32_e32 v103, -1, v22
	v_and_b32_e32 v20, 0xff, v103
	s_delay_alu instid0(VALU_DEP_1) | instskip(NEXT) | instid1(VALU_DEP_1)
	v_lshrrev_b32_e32 v20, s49, v20
	v_and_b32_e32 v20, s31, v20
	s_delay_alu instid0(VALU_DEP_1)
	v_and_b32_e32 v22, 1, v20
	v_lshlrev_b32_e32 v23, 30, v20
	v_lshlrev_b32_e32 v24, 29, v20
	;; [unrolled: 1-line block ×4, first 2 shown]
	v_add_co_u32 v22, s17, v22, -1
	s_delay_alu instid0(VALU_DEP_1)
	v_cndmask_b32_e64 v26, 0, 1, s17
	v_not_b32_e32 v107, v23
	v_cmp_gt_i32_e64 s17, 0, v23
	v_not_b32_e32 v23, v24
	v_lshlrev_b32_e32 v105, 26, v20
	v_cmp_ne_u32_e32 vcc_lo, 0, v26
	v_ashrrev_i32_e32 v107, 31, v107
	v_lshlrev_b32_e32 v106, 25, v20
	v_ashrrev_i32_e32 v23, 31, v23
	v_lshlrev_b32_e32 v26, 24, v20
	v_xor_b32_e32 v22, vcc_lo, v22
	v_cmp_gt_i32_e32 vcc_lo, 0, v24
	v_not_b32_e32 v24, v25
	v_xor_b32_e32 v107, s17, v107
	v_cmp_gt_i32_e64 s17, 0, v25
	v_and_b32_e32 v22, exec_lo, v22
	v_not_b32_e32 v25, v27
	v_ashrrev_i32_e32 v24, 31, v24
	v_xor_b32_e32 v23, vcc_lo, v23
	v_cmp_gt_i32_e32 vcc_lo, 0, v27
	v_and_b32_e32 v22, v22, v107
	v_not_b32_e32 v27, v105
	v_ashrrev_i32_e32 v25, 31, v25
	v_xor_b32_e32 v24, s17, v24
	v_cmp_gt_i32_e64 s17, 0, v105
	v_and_b32_e32 v22, v22, v23
	v_not_b32_e32 v23, v106
	v_ashrrev_i32_e32 v27, 31, v27
	v_xor_b32_e32 v25, vcc_lo, v25
	v_cmp_gt_i32_e32 vcc_lo, 0, v106
	v_and_b32_e32 v22, v22, v24
	v_not_b32_e32 v24, v26
	v_ashrrev_i32_e32 v23, 31, v23
	v_xor_b32_e32 v27, s17, v27
	v_mul_u32_u24_e32 v20, 9, v20
	v_and_b32_e32 v22, v22, v25
	v_cmp_gt_i32_e64 s17, 0, v26
	v_ashrrev_i32_e32 v24, 31, v24
	v_xor_b32_e32 v23, vcc_lo, v23
	v_add_lshl_u32 v25, v20, v82, 2
	v_and_b32_e32 v22, v22, v27
	s_delay_alu instid0(VALU_DEP_4) | instskip(SKIP_3) | instid1(VALU_DEP_2)
	v_xor_b32_e32 v20, s17, v24
	ds_load_b32 v105, v25 offset:1056
	v_and_b32_e32 v22, v22, v23
	v_add_nc_u32_e32 v108, 0x420, v25
	; wave barrier
	v_and_b32_e32 v20, v22, v20
	s_delay_alu instid0(VALU_DEP_1) | instskip(SKIP_1) | instid1(VALU_DEP_2)
	v_mbcnt_lo_u32_b32 v106, v20, 0
	v_cmp_ne_u32_e64 s17, 0, v20
	v_cmp_eq_u32_e32 vcc_lo, 0, v106
	s_delay_alu instid0(VALU_DEP_2) | instskip(NEXT) | instid1(SALU_CYCLE_1)
	s_and_b32 s18, s17, vcc_lo
	s_and_saveexec_b32 s17, s18
	s_cbranch_execz .LBB120_430
; %bb.429:                              ;   in Loop: Header=BB120_408 Depth=2
	s_waitcnt lgkmcnt(0)
	v_bcnt_u32_b32 v20, v20, v105
	ds_store_b32 v108, v20
.LBB120_430:                            ;   in Loop: Header=BB120_408 Depth=2
	s_or_b32 exec_lo, exec_lo, s17
	v_xor_b32_e32 v107, -1, v21
	; wave barrier
	s_delay_alu instid0(VALU_DEP_1) | instskip(NEXT) | instid1(VALU_DEP_1)
	v_and_b32_e32 v20, 0xff, v107
	v_lshrrev_b32_e32 v20, s49, v20
	s_delay_alu instid0(VALU_DEP_1) | instskip(NEXT) | instid1(VALU_DEP_1)
	v_and_b32_e32 v20, s31, v20
	v_and_b32_e32 v22, 1, v20
	v_lshlrev_b32_e32 v23, 30, v20
	v_lshlrev_b32_e32 v24, 29, v20
	;; [unrolled: 1-line block ×4, first 2 shown]
	v_add_co_u32 v22, s17, v22, -1
	s_delay_alu instid0(VALU_DEP_1)
	v_cndmask_b32_e64 v26, 0, 1, s17
	v_not_b32_e32 v111, v23
	v_cmp_gt_i32_e64 s17, 0, v23
	v_not_b32_e32 v23, v24
	v_lshlrev_b32_e32 v109, 26, v20
	v_cmp_ne_u32_e32 vcc_lo, 0, v26
	v_ashrrev_i32_e32 v111, 31, v111
	v_lshlrev_b32_e32 v110, 25, v20
	v_ashrrev_i32_e32 v23, 31, v23
	v_lshlrev_b32_e32 v26, 24, v20
	v_xor_b32_e32 v22, vcc_lo, v22
	v_cmp_gt_i32_e32 vcc_lo, 0, v24
	v_not_b32_e32 v24, v25
	v_xor_b32_e32 v111, s17, v111
	v_cmp_gt_i32_e64 s17, 0, v25
	v_and_b32_e32 v22, exec_lo, v22
	v_not_b32_e32 v25, v27
	v_ashrrev_i32_e32 v24, 31, v24
	v_xor_b32_e32 v23, vcc_lo, v23
	v_cmp_gt_i32_e32 vcc_lo, 0, v27
	v_and_b32_e32 v22, v22, v111
	v_not_b32_e32 v27, v109
	v_ashrrev_i32_e32 v25, 31, v25
	v_xor_b32_e32 v24, s17, v24
	v_cmp_gt_i32_e64 s17, 0, v109
	v_and_b32_e32 v22, v22, v23
	v_not_b32_e32 v23, v110
	v_ashrrev_i32_e32 v27, 31, v27
	v_xor_b32_e32 v25, vcc_lo, v25
	v_cmp_gt_i32_e32 vcc_lo, 0, v110
	v_and_b32_e32 v22, v22, v24
	v_not_b32_e32 v24, v26
	v_ashrrev_i32_e32 v23, 31, v23
	v_xor_b32_e32 v27, s17, v27
	v_mul_u32_u24_e32 v20, 9, v20
	v_and_b32_e32 v22, v22, v25
	v_cmp_gt_i32_e64 s17, 0, v26
	v_ashrrev_i32_e32 v24, 31, v24
	v_xor_b32_e32 v23, vcc_lo, v23
	v_add_lshl_u32 v25, v20, v82, 2
	v_and_b32_e32 v22, v22, v27
	s_delay_alu instid0(VALU_DEP_4) | instskip(SKIP_3) | instid1(VALU_DEP_2)
	v_xor_b32_e32 v20, s17, v24
	ds_load_b32 v109, v25 offset:1056
	v_and_b32_e32 v22, v22, v23
	v_add_nc_u32_e32 v112, 0x420, v25
	; wave barrier
	v_and_b32_e32 v20, v22, v20
	s_delay_alu instid0(VALU_DEP_1) | instskip(SKIP_1) | instid1(VALU_DEP_2)
	v_mbcnt_lo_u32_b32 v110, v20, 0
	v_cmp_ne_u32_e64 s17, 0, v20
	v_cmp_eq_u32_e32 vcc_lo, 0, v110
	s_delay_alu instid0(VALU_DEP_2) | instskip(NEXT) | instid1(SALU_CYCLE_1)
	s_and_b32 s18, s17, vcc_lo
	s_and_saveexec_b32 s17, s18
	s_cbranch_execz .LBB120_432
; %bb.431:                              ;   in Loop: Header=BB120_408 Depth=2
	s_waitcnt lgkmcnt(0)
	v_bcnt_u32_b32 v20, v20, v109
	ds_store_b32 v112, v20
.LBB120_432:                            ;   in Loop: Header=BB120_408 Depth=2
	s_or_b32 exec_lo, exec_lo, s17
	v_lshrrev_b32_e32 v20, 8, v21
	; wave barrier
	s_delay_alu instid0(VALU_DEP_1) | instskip(NEXT) | instid1(VALU_DEP_1)
	v_xor_b32_e32 v111, -1, v20
	v_and_b32_e32 v20, 0xff, v111
	s_delay_alu instid0(VALU_DEP_1) | instskip(NEXT) | instid1(VALU_DEP_1)
	v_lshrrev_b32_e32 v20, s49, v20
	v_and_b32_e32 v20, s31, v20
	s_delay_alu instid0(VALU_DEP_1)
	v_and_b32_e32 v22, 1, v20
	v_lshlrev_b32_e32 v23, 30, v20
	v_lshlrev_b32_e32 v24, 29, v20
	;; [unrolled: 1-line block ×4, first 2 shown]
	v_add_co_u32 v22, s17, v22, -1
	s_delay_alu instid0(VALU_DEP_1)
	v_cndmask_b32_e64 v26, 0, 1, s17
	v_not_b32_e32 v115, v23
	v_cmp_gt_i32_e64 s17, 0, v23
	v_not_b32_e32 v23, v24
	v_lshlrev_b32_e32 v113, 26, v20
	v_cmp_ne_u32_e32 vcc_lo, 0, v26
	v_ashrrev_i32_e32 v115, 31, v115
	v_lshlrev_b32_e32 v114, 25, v20
	v_ashrrev_i32_e32 v23, 31, v23
	v_lshlrev_b32_e32 v26, 24, v20
	v_xor_b32_e32 v22, vcc_lo, v22
	v_cmp_gt_i32_e32 vcc_lo, 0, v24
	v_not_b32_e32 v24, v25
	v_xor_b32_e32 v115, s17, v115
	v_cmp_gt_i32_e64 s17, 0, v25
	v_and_b32_e32 v22, exec_lo, v22
	v_not_b32_e32 v25, v27
	v_ashrrev_i32_e32 v24, 31, v24
	v_xor_b32_e32 v23, vcc_lo, v23
	v_cmp_gt_i32_e32 vcc_lo, 0, v27
	v_and_b32_e32 v22, v22, v115
	v_not_b32_e32 v27, v113
	v_ashrrev_i32_e32 v25, 31, v25
	v_xor_b32_e32 v24, s17, v24
	v_cmp_gt_i32_e64 s17, 0, v113
	v_and_b32_e32 v22, v22, v23
	v_not_b32_e32 v23, v114
	v_ashrrev_i32_e32 v27, 31, v27
	v_xor_b32_e32 v25, vcc_lo, v25
	v_cmp_gt_i32_e32 vcc_lo, 0, v114
	v_and_b32_e32 v22, v22, v24
	v_not_b32_e32 v24, v26
	v_ashrrev_i32_e32 v23, 31, v23
	v_xor_b32_e32 v27, s17, v27
	v_mul_u32_u24_e32 v20, 9, v20
	v_and_b32_e32 v22, v22, v25
	v_cmp_gt_i32_e64 s17, 0, v26
	v_ashrrev_i32_e32 v24, 31, v24
	v_xor_b32_e32 v23, vcc_lo, v23
	v_add_lshl_u32 v25, v20, v82, 2
	v_and_b32_e32 v22, v22, v27
	s_delay_alu instid0(VALU_DEP_4) | instskip(SKIP_3) | instid1(VALU_DEP_2)
	v_xor_b32_e32 v20, s17, v24
	ds_load_b32 v113, v25 offset:1056
	v_and_b32_e32 v22, v22, v23
	v_add_nc_u32_e32 v116, 0x420, v25
	; wave barrier
	v_and_b32_e32 v20, v22, v20
	s_delay_alu instid0(VALU_DEP_1) | instskip(SKIP_1) | instid1(VALU_DEP_2)
	v_mbcnt_lo_u32_b32 v114, v20, 0
	v_cmp_ne_u32_e64 s17, 0, v20
	v_cmp_eq_u32_e32 vcc_lo, 0, v114
	s_delay_alu instid0(VALU_DEP_2) | instskip(NEXT) | instid1(SALU_CYCLE_1)
	s_and_b32 s18, s17, vcc_lo
	s_and_saveexec_b32 s17, s18
	s_cbranch_execz .LBB120_434
; %bb.433:                              ;   in Loop: Header=BB120_408 Depth=2
	s_waitcnt lgkmcnt(0)
	v_bcnt_u32_b32 v20, v20, v113
	ds_store_b32 v116, v20
.LBB120_434:                            ;   in Loop: Header=BB120_408 Depth=2
	s_or_b32 exec_lo, exec_lo, s17
	v_lshrrev_b32_e32 v20, 16, v21
	; wave barrier
	s_delay_alu instid0(VALU_DEP_1) | instskip(NEXT) | instid1(VALU_DEP_1)
	v_xor_b32_e32 v115, -1, v20
	v_and_b32_e32 v20, 0xff, v115
	s_delay_alu instid0(VALU_DEP_1) | instskip(NEXT) | instid1(VALU_DEP_1)
	v_lshrrev_b32_e32 v20, s49, v20
	v_and_b32_e32 v20, s31, v20
	s_delay_alu instid0(VALU_DEP_1)
	v_and_b32_e32 v22, 1, v20
	v_lshlrev_b32_e32 v23, 30, v20
	v_lshlrev_b32_e32 v24, 29, v20
	;; [unrolled: 1-line block ×4, first 2 shown]
	v_add_co_u32 v22, s17, v22, -1
	s_delay_alu instid0(VALU_DEP_1)
	v_cndmask_b32_e64 v26, 0, 1, s17
	v_not_b32_e32 v119, v23
	v_cmp_gt_i32_e64 s17, 0, v23
	v_not_b32_e32 v23, v24
	v_lshlrev_b32_e32 v117, 26, v20
	v_cmp_ne_u32_e32 vcc_lo, 0, v26
	v_ashrrev_i32_e32 v119, 31, v119
	v_lshlrev_b32_e32 v118, 25, v20
	v_ashrrev_i32_e32 v23, 31, v23
	v_lshlrev_b32_e32 v26, 24, v20
	v_xor_b32_e32 v22, vcc_lo, v22
	v_cmp_gt_i32_e32 vcc_lo, 0, v24
	v_not_b32_e32 v24, v25
	v_xor_b32_e32 v119, s17, v119
	v_cmp_gt_i32_e64 s17, 0, v25
	v_and_b32_e32 v22, exec_lo, v22
	v_not_b32_e32 v25, v27
	v_ashrrev_i32_e32 v24, 31, v24
	v_xor_b32_e32 v23, vcc_lo, v23
	v_cmp_gt_i32_e32 vcc_lo, 0, v27
	v_and_b32_e32 v22, v22, v119
	v_not_b32_e32 v27, v117
	v_ashrrev_i32_e32 v25, 31, v25
	v_xor_b32_e32 v24, s17, v24
	v_cmp_gt_i32_e64 s17, 0, v117
	v_and_b32_e32 v22, v22, v23
	v_not_b32_e32 v23, v118
	v_ashrrev_i32_e32 v27, 31, v27
	v_xor_b32_e32 v25, vcc_lo, v25
	v_cmp_gt_i32_e32 vcc_lo, 0, v118
	v_and_b32_e32 v22, v22, v24
	v_not_b32_e32 v24, v26
	v_ashrrev_i32_e32 v23, 31, v23
	v_xor_b32_e32 v27, s17, v27
	v_mul_u32_u24_e32 v20, 9, v20
	v_and_b32_e32 v22, v22, v25
	v_cmp_gt_i32_e64 s17, 0, v26
	v_ashrrev_i32_e32 v24, 31, v24
	v_xor_b32_e32 v23, vcc_lo, v23
	v_add_lshl_u32 v25, v20, v82, 2
	v_and_b32_e32 v22, v22, v27
	s_delay_alu instid0(VALU_DEP_4) | instskip(SKIP_3) | instid1(VALU_DEP_2)
	v_xor_b32_e32 v20, s17, v24
	ds_load_b32 v117, v25 offset:1056
	v_and_b32_e32 v22, v22, v23
	v_add_nc_u32_e32 v120, 0x420, v25
	; wave barrier
	v_and_b32_e32 v20, v22, v20
	s_delay_alu instid0(VALU_DEP_1) | instskip(SKIP_1) | instid1(VALU_DEP_2)
	v_mbcnt_lo_u32_b32 v118, v20, 0
	v_cmp_ne_u32_e64 s17, 0, v20
	v_cmp_eq_u32_e32 vcc_lo, 0, v118
	s_delay_alu instid0(VALU_DEP_2) | instskip(NEXT) | instid1(SALU_CYCLE_1)
	s_and_b32 s18, s17, vcc_lo
	s_and_saveexec_b32 s17, s18
	s_cbranch_execz .LBB120_436
; %bb.435:                              ;   in Loop: Header=BB120_408 Depth=2
	s_waitcnt lgkmcnt(0)
	v_bcnt_u32_b32 v20, v20, v117
	ds_store_b32 v120, v20
.LBB120_436:                            ;   in Loop: Header=BB120_408 Depth=2
	s_or_b32 exec_lo, exec_lo, s17
	v_lshrrev_b32_e32 v20, 24, v21
	; wave barrier
	s_delay_alu instid0(VALU_DEP_1) | instskip(NEXT) | instid1(VALU_DEP_1)
	v_xor_b32_e32 v119, -1, v20
	v_and_b32_e32 v20, 0xff, v119
	s_delay_alu instid0(VALU_DEP_1) | instskip(NEXT) | instid1(VALU_DEP_1)
	v_lshrrev_b32_e32 v20, s49, v20
	v_and_b32_e32 v20, s31, v20
	s_delay_alu instid0(VALU_DEP_1)
	v_and_b32_e32 v21, 1, v20
	v_lshlrev_b32_e32 v22, 30, v20
	v_lshlrev_b32_e32 v23, 29, v20
	;; [unrolled: 1-line block ×4, first 2 shown]
	v_add_co_u32 v21, s17, v21, -1
	s_delay_alu instid0(VALU_DEP_1)
	v_cndmask_b32_e64 v25, 0, 1, s17
	v_not_b32_e32 v122, v22
	v_cmp_gt_i32_e64 s17, 0, v22
	v_not_b32_e32 v22, v23
	v_lshlrev_b32_e32 v27, 26, v20
	v_cmp_ne_u32_e32 vcc_lo, 0, v25
	v_ashrrev_i32_e32 v122, 31, v122
	v_lshlrev_b32_e32 v121, 25, v20
	v_ashrrev_i32_e32 v22, 31, v22
	v_lshlrev_b32_e32 v25, 24, v20
	v_xor_b32_e32 v21, vcc_lo, v21
	v_cmp_gt_i32_e32 vcc_lo, 0, v23
	v_not_b32_e32 v23, v24
	v_xor_b32_e32 v122, s17, v122
	v_cmp_gt_i32_e64 s17, 0, v24
	v_and_b32_e32 v21, exec_lo, v21
	v_not_b32_e32 v24, v26
	v_ashrrev_i32_e32 v23, 31, v23
	v_xor_b32_e32 v22, vcc_lo, v22
	v_cmp_gt_i32_e32 vcc_lo, 0, v26
	v_and_b32_e32 v21, v21, v122
	v_not_b32_e32 v26, v27
	v_ashrrev_i32_e32 v24, 31, v24
	v_xor_b32_e32 v23, s17, v23
	v_cmp_gt_i32_e64 s17, 0, v27
	v_and_b32_e32 v21, v21, v22
	v_not_b32_e32 v22, v121
	v_ashrrev_i32_e32 v26, 31, v26
	v_xor_b32_e32 v24, vcc_lo, v24
	v_cmp_gt_i32_e32 vcc_lo, 0, v121
	v_and_b32_e32 v21, v21, v23
	v_not_b32_e32 v23, v25
	v_ashrrev_i32_e32 v22, 31, v22
	v_xor_b32_e32 v26, s17, v26
	v_mul_u32_u24_e32 v20, 9, v20
	v_and_b32_e32 v21, v21, v24
	v_cmp_gt_i32_e64 s17, 0, v25
	v_ashrrev_i32_e32 v23, 31, v23
	v_xor_b32_e32 v22, vcc_lo, v22
	v_add_lshl_u32 v24, v20, v82, 2
	v_and_b32_e32 v21, v21, v26
	s_delay_alu instid0(VALU_DEP_4) | instskip(SKIP_3) | instid1(VALU_DEP_2)
	v_xor_b32_e32 v20, s17, v23
	ds_load_b32 v121, v24 offset:1056
	v_and_b32_e32 v21, v21, v22
	v_add_nc_u32_e32 v123, 0x420, v24
	; wave barrier
	v_and_b32_e32 v20, v21, v20
	s_delay_alu instid0(VALU_DEP_1) | instskip(SKIP_1) | instid1(VALU_DEP_2)
	v_mbcnt_lo_u32_b32 v122, v20, 0
	v_cmp_ne_u32_e64 s17, 0, v20
	v_cmp_eq_u32_e32 vcc_lo, 0, v122
	s_delay_alu instid0(VALU_DEP_2) | instskip(NEXT) | instid1(SALU_CYCLE_1)
	s_and_b32 s18, s17, vcc_lo
	s_and_saveexec_b32 s17, s18
	s_cbranch_execz .LBB120_438
; %bb.437:                              ;   in Loop: Header=BB120_408 Depth=2
	s_waitcnt lgkmcnt(0)
	v_bcnt_u32_b32 v20, v20, v121
	ds_store_b32 v123, v20
.LBB120_438:                            ;   in Loop: Header=BB120_408 Depth=2
	s_or_b32 exec_lo, exec_lo, s17
	; wave barrier
	s_waitcnt lgkmcnt(0)
	s_barrier
	buffer_gl0_inv
	ds_load_b32 v124, v46 offset:1056
	ds_load_2addr_b32 v[26:27], v47 offset0:1 offset1:2
	ds_load_2addr_b32 v[24:25], v47 offset0:3 offset1:4
	ds_load_2addr_b32 v[20:21], v47 offset0:5 offset1:6
	ds_load_2addr_b32 v[22:23], v47 offset0:7 offset1:8
	s_waitcnt lgkmcnt(3)
	v_add3_u32 v125, v26, v124, v27
	s_waitcnt lgkmcnt(2)
	s_delay_alu instid0(VALU_DEP_1) | instskip(SKIP_1) | instid1(VALU_DEP_1)
	v_add3_u32 v125, v125, v24, v25
	s_waitcnt lgkmcnt(1)
	v_add3_u32 v125, v125, v20, v21
	s_waitcnt lgkmcnt(0)
	s_delay_alu instid0(VALU_DEP_1) | instskip(NEXT) | instid1(VALU_DEP_1)
	v_add3_u32 v23, v125, v22, v23
	v_mov_b32_dpp v125, v23 row_shr:1 row_mask:0xf bank_mask:0xf
	s_delay_alu instid0(VALU_DEP_1) | instskip(NEXT) | instid1(VALU_DEP_1)
	v_cndmask_b32_e64 v125, v125, 0, s0
	v_add_nc_u32_e32 v23, v125, v23
	s_delay_alu instid0(VALU_DEP_1) | instskip(NEXT) | instid1(VALU_DEP_1)
	v_mov_b32_dpp v125, v23 row_shr:2 row_mask:0xf bank_mask:0xf
	v_cndmask_b32_e64 v125, 0, v125, s1
	s_delay_alu instid0(VALU_DEP_1) | instskip(NEXT) | instid1(VALU_DEP_1)
	v_add_nc_u32_e32 v23, v23, v125
	v_mov_b32_dpp v125, v23 row_shr:4 row_mask:0xf bank_mask:0xf
	s_delay_alu instid0(VALU_DEP_1) | instskip(NEXT) | instid1(VALU_DEP_1)
	v_cndmask_b32_e64 v125, 0, v125, s8
	v_add_nc_u32_e32 v23, v23, v125
	s_delay_alu instid0(VALU_DEP_1) | instskip(NEXT) | instid1(VALU_DEP_1)
	v_mov_b32_dpp v125, v23 row_shr:8 row_mask:0xf bank_mask:0xf
	v_cndmask_b32_e64 v125, 0, v125, s9
	s_delay_alu instid0(VALU_DEP_1) | instskip(SKIP_3) | instid1(VALU_DEP_1)
	v_add_nc_u32_e32 v23, v23, v125
	ds_swizzle_b32 v125, v23 offset:swizzle(BROADCAST,32,15)
	s_waitcnt lgkmcnt(0)
	v_cndmask_b32_e64 v125, v125, 0, s10
	v_add_nc_u32_e32 v23, v23, v125
	s_and_saveexec_b32 s17, s3
	s_cbranch_execz .LBB120_440
; %bb.439:                              ;   in Loop: Header=BB120_408 Depth=2
	ds_store_b32 v38, v23 offset:1024
.LBB120_440:                            ;   in Loop: Header=BB120_408 Depth=2
	s_or_b32 exec_lo, exec_lo, s17
	s_waitcnt lgkmcnt(0)
	s_barrier
	buffer_gl0_inv
	s_and_saveexec_b32 s17, s4
	s_cbranch_execz .LBB120_442
; %bb.441:                              ;   in Loop: Header=BB120_408 Depth=2
	v_add_nc_u32_e32 v125, v46, v48
	ds_load_b32 v126, v125 offset:1024
	s_waitcnt lgkmcnt(0)
	v_mov_b32_dpp v127, v126 row_shr:1 row_mask:0xf bank_mask:0xf
	s_delay_alu instid0(VALU_DEP_1) | instskip(NEXT) | instid1(VALU_DEP_1)
	v_cndmask_b32_e64 v127, v127, 0, s12
	v_add_nc_u32_e32 v126, v127, v126
	s_delay_alu instid0(VALU_DEP_1) | instskip(NEXT) | instid1(VALU_DEP_1)
	v_mov_b32_dpp v127, v126 row_shr:2 row_mask:0xf bank_mask:0xf
	v_cndmask_b32_e64 v127, 0, v127, s13
	s_delay_alu instid0(VALU_DEP_1) | instskip(NEXT) | instid1(VALU_DEP_1)
	v_add_nc_u32_e32 v126, v126, v127
	v_mov_b32_dpp v127, v126 row_shr:4 row_mask:0xf bank_mask:0xf
	s_delay_alu instid0(VALU_DEP_1) | instskip(NEXT) | instid1(VALU_DEP_1)
	v_cndmask_b32_e64 v127, 0, v127, s16
	v_add_nc_u32_e32 v126, v126, v127
	ds_store_b32 v125, v126 offset:1024
.LBB120_442:                            ;   in Loop: Header=BB120_408 Depth=2
	s_or_b32 exec_lo, exec_lo, s17
	v_mov_b32_e32 v125, 0
	s_waitcnt lgkmcnt(0)
	s_barrier
	buffer_gl0_inv
	s_and_saveexec_b32 s17, s5
	s_cbranch_execz .LBB120_444
; %bb.443:                              ;   in Loop: Header=BB120_408 Depth=2
	ds_load_b32 v125, v38 offset:1020
.LBB120_444:                            ;   in Loop: Header=BB120_408 Depth=2
	s_or_b32 exec_lo, exec_lo, s17
	s_waitcnt lgkmcnt(0)
	v_add_nc_u32_e32 v23, v125, v23
	ds_bpermute_b32 v23, v69, v23
	s_waitcnt lgkmcnt(0)
	v_cndmask_b32_e64 v23, v23, v125, s11
	s_delay_alu instid0(VALU_DEP_1) | instskip(NEXT) | instid1(VALU_DEP_1)
	v_cndmask_b32_e64 v23, v23, 0, s6
	v_add_nc_u32_e32 v124, v23, v124
	s_delay_alu instid0(VALU_DEP_1) | instskip(NEXT) | instid1(VALU_DEP_1)
	v_add_nc_u32_e32 v26, v124, v26
	v_add_nc_u32_e32 v27, v26, v27
	s_delay_alu instid0(VALU_DEP_1) | instskip(NEXT) | instid1(VALU_DEP_1)
	v_add_nc_u32_e32 v24, v27, v24
	;; [unrolled: 3-line block ×3, first 2 shown]
	v_add_nc_u32_e32 v21, v20, v21
	s_delay_alu instid0(VALU_DEP_1)
	v_add_nc_u32_e32 v22, v21, v22
	ds_store_b32 v46, v23 offset:1056
	ds_store_2addr_b32 v47, v124, v26 offset0:1 offset1:2
	ds_store_2addr_b32 v47, v27, v24 offset0:3 offset1:4
	;; [unrolled: 1-line block ×4, first 2 shown]
	v_mov_b32_e32 v22, 0x800
	s_waitcnt lgkmcnt(0)
	s_barrier
	buffer_gl0_inv
	ds_load_b32 v20, v100
	ds_load_b32 v21, v104
	;; [unrolled: 1-line block ×8, first 2 shown]
	ds_load_b32 v27, v46 offset:1056
	s_and_saveexec_b32 s17, s7
	s_cbranch_execz .LBB120_446
; %bb.445:                              ;   in Loop: Header=BB120_408 Depth=2
	ds_load_b32 v22, v49 offset:1056
.LBB120_446:                            ;   in Loop: Header=BB120_408 Depth=2
	s_or_b32 exec_lo, exec_lo, s17
	s_waitcnt lgkmcnt(0)
	s_barrier
	buffer_gl0_inv
	s_and_saveexec_b32 s17, s2
	s_cbranch_execz .LBB120_448
; %bb.447:                              ;   in Loop: Header=BB120_408 Depth=2
	ds_load_b32 v96, v28
	s_waitcnt lgkmcnt(0)
	v_sub_nc_u32_e32 v27, v96, v27
	ds_store_b32 v28, v27
.LBB120_448:                            ;   in Loop: Header=BB120_408 Depth=2
	s_or_b32 exec_lo, exec_lo, s17
	v_add_nc_u32_e32 v100, v26, v94
	v_add3_u32 v96, v98, v97, v20
	v_add3_u32 v94, v102, v101, v21
	;; [unrolled: 1-line block ×7, first 2 shown]
	v_cmp_lt_u32_e64 s22, v1, v2
	ds_store_b8 v100, v93 offset:1024
	ds_store_b8 v96, v95 offset:1024
	;; [unrolled: 1-line block ×8, first 2 shown]
	s_waitcnt lgkmcnt(0)
	s_barrier
	buffer_gl0_inv
	s_and_saveexec_b32 s17, s22
	s_cbranch_execz .LBB120_456
; %bb.449:                              ;   in Loop: Header=BB120_408 Depth=2
	ds_load_u8 v20, v1 offset:1024
	s_waitcnt lgkmcnt(0)
	v_and_b32_e32 v21, 0xff, v20
	v_xor_b32_e32 v20, -1, v20
	s_delay_alu instid0(VALU_DEP_2) | instskip(NEXT) | instid1(VALU_DEP_1)
	v_lshrrev_b32_e32 v21, s49, v21
	v_and_b32_e32 v21, s31, v21
	s_delay_alu instid0(VALU_DEP_1)
	v_lshlrev_b32_e32 v21, 2, v21
	ds_load_b32 v21, v21
	s_waitcnt lgkmcnt(0)
	v_add_nc_u32_e32 v21, v21, v1
	global_store_b8 v21, v20, s[38:39]
	s_or_b32 exec_lo, exec_lo, s17
	v_cmp_lt_u32_e64 s23, v29, v2
	s_delay_alu instid0(VALU_DEP_1)
	s_and_saveexec_b32 s17, s23
	s_cbranch_execnz .LBB120_457
.LBB120_450:                            ;   in Loop: Header=BB120_408 Depth=2
	s_or_b32 exec_lo, exec_lo, s17
	v_cmp_lt_u32_e64 s21, v30, v2
	s_delay_alu instid0(VALU_DEP_1)
	s_and_saveexec_b32 s17, s21
	s_cbranch_execz .LBB120_458
.LBB120_451:                            ;   in Loop: Header=BB120_408 Depth=2
	ds_load_u8 v20, v35 offset:512
	s_waitcnt lgkmcnt(0)
	v_and_b32_e32 v21, 0xff, v20
	v_xor_b32_e32 v20, -1, v20
	s_delay_alu instid0(VALU_DEP_2) | instskip(NEXT) | instid1(VALU_DEP_1)
	v_lshrrev_b32_e32 v21, s49, v21
	v_and_b32_e32 v21, s31, v21
	s_delay_alu instid0(VALU_DEP_1)
	v_lshlrev_b32_e32 v21, 2, v21
	ds_load_b32 v21, v21
	s_waitcnt lgkmcnt(0)
	v_add_nc_u32_e32 v21, v21, v30
	global_store_b8 v21, v20, s[38:39]
	s_or_b32 exec_lo, exec_lo, s17
	v_cmp_lt_u32_e64 s20, v31, v2
	s_delay_alu instid0(VALU_DEP_1)
	s_and_saveexec_b32 s17, s20
	s_cbranch_execnz .LBB120_459
.LBB120_452:                            ;   in Loop: Header=BB120_408 Depth=2
	s_or_b32 exec_lo, exec_lo, s17
	v_cmp_lt_u32_e64 s19, v35, v2
	s_delay_alu instid0(VALU_DEP_1)
	s_and_saveexec_b32 s17, s19
	s_cbranch_execz .LBB120_460
.LBB120_453:                            ;   in Loop: Header=BB120_408 Depth=2
	ds_load_u8 v20, v35 offset:1024
	s_waitcnt lgkmcnt(0)
	v_and_b32_e32 v21, 0xff, v20
	v_xor_b32_e32 v20, -1, v20
	s_delay_alu instid0(VALU_DEP_2) | instskip(NEXT) | instid1(VALU_DEP_1)
	v_lshrrev_b32_e32 v21, s49, v21
	v_and_b32_e32 v21, s31, v21
	s_delay_alu instid0(VALU_DEP_1)
	v_lshlrev_b32_e32 v21, 2, v21
	ds_load_b32 v21, v21
	s_waitcnt lgkmcnt(0)
	v_add_nc_u32_e32 v21, v21, v35
	global_store_b8 v21, v20, s[38:39]
	s_or_b32 exec_lo, exec_lo, s17
	v_cmp_lt_u32_e64 s18, v36, v2
	s_delay_alu instid0(VALU_DEP_1)
	s_and_saveexec_b32 s17, s18
	s_cbranch_execnz .LBB120_461
.LBB120_454:                            ;   in Loop: Header=BB120_408 Depth=2
	s_or_b32 exec_lo, exec_lo, s17
	v_cmp_lt_u32_e64 s17, v37, v2
	s_delay_alu instid0(VALU_DEP_1)
	s_and_saveexec_b32 s43, s17
	s_cbranch_execz .LBB120_462
.LBB120_455:                            ;   in Loop: Header=BB120_408 Depth=2
	ds_load_u8 v20, v35 offset:1536
	s_waitcnt lgkmcnt(0)
	v_and_b32_e32 v21, 0xff, v20
	v_xor_b32_e32 v20, -1, v20
	s_delay_alu instid0(VALU_DEP_2) | instskip(NEXT) | instid1(VALU_DEP_1)
	v_lshrrev_b32_e32 v21, s49, v21
	v_and_b32_e32 v21, s31, v21
	s_delay_alu instid0(VALU_DEP_1)
	v_lshlrev_b32_e32 v21, 2, v21
	ds_load_b32 v21, v21
	s_waitcnt lgkmcnt(0)
	v_add_nc_u32_e32 v21, v21, v37
	global_store_b8 v21, v20, s[38:39]
	s_or_b32 exec_lo, exec_lo, s43
	v_cmp_lt_u32_e32 vcc_lo, v39, v2
	s_and_saveexec_b32 s43, vcc_lo
	s_cbranch_execnz .LBB120_463
	s_branch .LBB120_464
.LBB120_456:                            ;   in Loop: Header=BB120_408 Depth=2
	s_or_b32 exec_lo, exec_lo, s17
	v_cmp_lt_u32_e64 s23, v29, v2
	s_delay_alu instid0(VALU_DEP_1)
	s_and_saveexec_b32 s17, s23
	s_cbranch_execz .LBB120_450
.LBB120_457:                            ;   in Loop: Header=BB120_408 Depth=2
	ds_load_u8 v20, v35 offset:256
	s_waitcnt lgkmcnt(0)
	v_and_b32_e32 v21, 0xff, v20
	v_xor_b32_e32 v20, -1, v20
	s_delay_alu instid0(VALU_DEP_2) | instskip(NEXT) | instid1(VALU_DEP_1)
	v_lshrrev_b32_e32 v21, s49, v21
	v_and_b32_e32 v21, s31, v21
	s_delay_alu instid0(VALU_DEP_1)
	v_lshlrev_b32_e32 v21, 2, v21
	ds_load_b32 v21, v21
	s_waitcnt lgkmcnt(0)
	v_add_nc_u32_e32 v21, v21, v29
	global_store_b8 v21, v20, s[38:39]
	s_or_b32 exec_lo, exec_lo, s17
	v_cmp_lt_u32_e64 s21, v30, v2
	s_delay_alu instid0(VALU_DEP_1)
	s_and_saveexec_b32 s17, s21
	s_cbranch_execnz .LBB120_451
.LBB120_458:                            ;   in Loop: Header=BB120_408 Depth=2
	s_or_b32 exec_lo, exec_lo, s17
	v_cmp_lt_u32_e64 s20, v31, v2
	s_delay_alu instid0(VALU_DEP_1)
	s_and_saveexec_b32 s17, s20
	s_cbranch_execz .LBB120_452
.LBB120_459:                            ;   in Loop: Header=BB120_408 Depth=2
	ds_load_u8 v20, v35 offset:768
	s_waitcnt lgkmcnt(0)
	v_and_b32_e32 v21, 0xff, v20
	v_xor_b32_e32 v20, -1, v20
	s_delay_alu instid0(VALU_DEP_2) | instskip(NEXT) | instid1(VALU_DEP_1)
	v_lshrrev_b32_e32 v21, s49, v21
	v_and_b32_e32 v21, s31, v21
	s_delay_alu instid0(VALU_DEP_1)
	v_lshlrev_b32_e32 v21, 2, v21
	ds_load_b32 v21, v21
	s_waitcnt lgkmcnt(0)
	v_add_nc_u32_e32 v21, v21, v31
	global_store_b8 v21, v20, s[38:39]
	s_or_b32 exec_lo, exec_lo, s17
	v_cmp_lt_u32_e64 s19, v35, v2
	s_delay_alu instid0(VALU_DEP_1)
	s_and_saveexec_b32 s17, s19
	s_cbranch_execnz .LBB120_453
.LBB120_460:                            ;   in Loop: Header=BB120_408 Depth=2
	s_or_b32 exec_lo, exec_lo, s17
	v_cmp_lt_u32_e64 s18, v36, v2
	s_delay_alu instid0(VALU_DEP_1)
	s_and_saveexec_b32 s17, s18
	s_cbranch_execz .LBB120_454
.LBB120_461:                            ;   in Loop: Header=BB120_408 Depth=2
	ds_load_u8 v20, v35 offset:1280
	s_waitcnt lgkmcnt(0)
	v_and_b32_e32 v21, 0xff, v20
	v_xor_b32_e32 v20, -1, v20
	s_delay_alu instid0(VALU_DEP_2) | instskip(NEXT) | instid1(VALU_DEP_1)
	v_lshrrev_b32_e32 v21, s49, v21
	v_and_b32_e32 v21, s31, v21
	s_delay_alu instid0(VALU_DEP_1)
	v_lshlrev_b32_e32 v21, 2, v21
	ds_load_b32 v21, v21
	s_waitcnt lgkmcnt(0)
	v_add_nc_u32_e32 v21, v21, v36
	global_store_b8 v21, v20, s[38:39]
	s_or_b32 exec_lo, exec_lo, s17
	v_cmp_lt_u32_e64 s17, v37, v2
	s_delay_alu instid0(VALU_DEP_1)
	s_and_saveexec_b32 s43, s17
	s_cbranch_execnz .LBB120_455
.LBB120_462:                            ;   in Loop: Header=BB120_408 Depth=2
	s_or_b32 exec_lo, exec_lo, s43
	v_cmp_lt_u32_e32 vcc_lo, v39, v2
	s_and_saveexec_b32 s43, vcc_lo
	s_cbranch_execz .LBB120_464
.LBB120_463:                            ;   in Loop: Header=BB120_408 Depth=2
	ds_load_u8 v20, v35 offset:1792
	s_waitcnt lgkmcnt(0)
	v_and_b32_e32 v21, 0xff, v20
	v_xor_b32_e32 v20, -1, v20
	s_delay_alu instid0(VALU_DEP_2) | instskip(NEXT) | instid1(VALU_DEP_1)
	v_lshrrev_b32_e32 v21, s49, v21
	v_and_b32_e32 v21, s31, v21
	s_delay_alu instid0(VALU_DEP_1)
	v_lshlrev_b32_e32 v21, 2, v21
	ds_load_b32 v21, v21
	s_waitcnt lgkmcnt(0)
	v_add_nc_u32_e32 v21, v21, v39
	global_store_b8 v21, v20, s[38:39]
.LBB120_464:                            ;   in Loop: Header=BB120_408 Depth=2
	s_or_b32 exec_lo, exec_lo, s43
	s_lshl_b64 s[52:53], s[24:25], 3
	s_delay_alu instid0(SALU_CYCLE_1) | instskip(NEXT) | instid1(VALU_DEP_1)
	v_add_co_u32 v20, s24, v73, s52
	v_add_co_ci_u32_e64 v21, s24, s53, v74, s24
	v_cmp_lt_u32_e64 s24, v70, v2
	s_delay_alu instid0(VALU_DEP_1) | instskip(NEXT) | instid1(SALU_CYCLE_1)
	s_and_saveexec_b32 s43, s24
	s_xor_b32 s24, exec_lo, s43
	s_cbranch_execz .LBB120_480
; %bb.465:                              ;   in Loop: Header=BB120_408 Depth=2
	global_load_b64 v[18:19], v[20:21], off
	s_or_b32 exec_lo, exec_lo, s24
	s_delay_alu instid0(SALU_CYCLE_1)
	s_mov_b32 s43, exec_lo
	v_cmpx_lt_u32_e64 v75, v2
	s_cbranch_execnz .LBB120_481
.LBB120_466:                            ;   in Loop: Header=BB120_408 Depth=2
	s_or_b32 exec_lo, exec_lo, s43
	s_delay_alu instid0(SALU_CYCLE_1)
	s_mov_b32 s43, exec_lo
	v_cmpx_lt_u32_e64 v76, v2
	s_cbranch_execz .LBB120_482
.LBB120_467:                            ;   in Loop: Header=BB120_408 Depth=2
	global_load_b64 v[14:15], v[20:21], off offset:512
	s_or_b32 exec_lo, exec_lo, s43
	s_delay_alu instid0(SALU_CYCLE_1)
	s_mov_b32 s43, exec_lo
	v_cmpx_lt_u32_e64 v77, v2
	s_cbranch_execnz .LBB120_483
.LBB120_468:                            ;   in Loop: Header=BB120_408 Depth=2
	s_or_b32 exec_lo, exec_lo, s43
	s_delay_alu instid0(SALU_CYCLE_1)
	s_mov_b32 s43, exec_lo
	v_cmpx_lt_u32_e64 v78, v2
	s_cbranch_execz .LBB120_484
.LBB120_469:                            ;   in Loop: Header=BB120_408 Depth=2
	global_load_b64 v[10:11], v[20:21], off offset:1024
	s_or_b32 exec_lo, exec_lo, s43
	s_delay_alu instid0(SALU_CYCLE_1)
	s_mov_b32 s43, exec_lo
	v_cmpx_lt_u32_e64 v79, v2
	s_cbranch_execnz .LBB120_485
.LBB120_470:                            ;   in Loop: Header=BB120_408 Depth=2
	s_or_b32 exec_lo, exec_lo, s43
	s_delay_alu instid0(SALU_CYCLE_1)
	s_mov_b32 s43, exec_lo
	v_cmpx_lt_u32_e64 v80, v2
	s_cbranch_execz .LBB120_486
.LBB120_471:                            ;   in Loop: Header=BB120_408 Depth=2
	global_load_b64 v[6:7], v[20:21], off offset:1536
	s_or_b32 exec_lo, exec_lo, s43
	s_delay_alu instid0(SALU_CYCLE_1)
	s_mov_b32 s43, exec_lo
	v_cmpx_lt_u32_e64 v81, v2
	s_cbranch_execnz .LBB120_487
.LBB120_472:                            ;   in Loop: Header=BB120_408 Depth=2
	s_or_b32 exec_lo, exec_lo, s43
	s_and_saveexec_b32 s24, s22
	s_cbranch_execz .LBB120_488
.LBB120_473:                            ;   in Loop: Header=BB120_408 Depth=2
	ds_load_u8 v2, v1 offset:1024
	s_waitcnt lgkmcnt(0)
	v_lshrrev_b32_e32 v2, s49, v2
	s_delay_alu instid0(VALU_DEP_1)
	v_and_b32_e32 v92, s31, v2
	s_or_b32 exec_lo, exec_lo, s24
	s_and_saveexec_b32 s24, s23
	s_cbranch_execnz .LBB120_489
.LBB120_474:                            ;   in Loop: Header=BB120_408 Depth=2
	s_or_b32 exec_lo, exec_lo, s24
	s_and_saveexec_b32 s24, s21
	s_cbranch_execz .LBB120_490
.LBB120_475:                            ;   in Loop: Header=BB120_408 Depth=2
	ds_load_u8 v2, v35 offset:512
	s_waitcnt lgkmcnt(0)
	v_lshrrev_b32_e32 v2, s49, v2
	s_delay_alu instid0(VALU_DEP_1)
	v_and_b32_e32 v90, s31, v2
	s_or_b32 exec_lo, exec_lo, s24
	s_and_saveexec_b32 s24, s20
	s_cbranch_execnz .LBB120_491
.LBB120_476:                            ;   in Loop: Header=BB120_408 Depth=2
	s_or_b32 exec_lo, exec_lo, s24
	s_and_saveexec_b32 s24, s19
	s_cbranch_execz .LBB120_492
.LBB120_477:                            ;   in Loop: Header=BB120_408 Depth=2
	ds_load_u8 v2, v35 offset:1024
	s_waitcnt lgkmcnt(0)
	v_lshrrev_b32_e32 v2, s49, v2
	s_delay_alu instid0(VALU_DEP_1)
	v_and_b32_e32 v88, s31, v2
	s_or_b32 exec_lo, exec_lo, s24
	s_and_saveexec_b32 s24, s18
	s_cbranch_execnz .LBB120_493
.LBB120_478:                            ;   in Loop: Header=BB120_408 Depth=2
	s_or_b32 exec_lo, exec_lo, s24
	s_and_saveexec_b32 s24, s17
	s_cbranch_execz .LBB120_494
.LBB120_479:                            ;   in Loop: Header=BB120_408 Depth=2
	ds_load_u8 v2, v35 offset:1536
	s_waitcnt lgkmcnt(0)
	v_lshrrev_b32_e32 v2, s49, v2
	s_delay_alu instid0(VALU_DEP_1)
	v_and_b32_e32 v86, s31, v2
	s_or_b32 exec_lo, exec_lo, s24
	s_and_saveexec_b32 s24, vcc_lo
	s_cbranch_execnz .LBB120_495
	s_branch .LBB120_496
.LBB120_480:                            ;   in Loop: Header=BB120_408 Depth=2
	s_or_b32 exec_lo, exec_lo, s24
	s_delay_alu instid0(SALU_CYCLE_1)
	s_mov_b32 s43, exec_lo
	v_cmpx_lt_u32_e64 v75, v2
	s_cbranch_execz .LBB120_466
.LBB120_481:                            ;   in Loop: Header=BB120_408 Depth=2
	global_load_b64 v[16:17], v[20:21], off offset:256
	s_or_b32 exec_lo, exec_lo, s43
	s_delay_alu instid0(SALU_CYCLE_1)
	s_mov_b32 s43, exec_lo
	v_cmpx_lt_u32_e64 v76, v2
	s_cbranch_execnz .LBB120_467
.LBB120_482:                            ;   in Loop: Header=BB120_408 Depth=2
	s_or_b32 exec_lo, exec_lo, s43
	s_delay_alu instid0(SALU_CYCLE_1)
	s_mov_b32 s43, exec_lo
	v_cmpx_lt_u32_e64 v77, v2
	s_cbranch_execz .LBB120_468
.LBB120_483:                            ;   in Loop: Header=BB120_408 Depth=2
	global_load_b64 v[12:13], v[20:21], off offset:768
	s_or_b32 exec_lo, exec_lo, s43
	s_delay_alu instid0(SALU_CYCLE_1)
	s_mov_b32 s43, exec_lo
	v_cmpx_lt_u32_e64 v78, v2
	s_cbranch_execnz .LBB120_469
.LBB120_484:                            ;   in Loop: Header=BB120_408 Depth=2
	s_or_b32 exec_lo, exec_lo, s43
	s_delay_alu instid0(SALU_CYCLE_1)
	s_mov_b32 s43, exec_lo
	v_cmpx_lt_u32_e64 v79, v2
	s_cbranch_execz .LBB120_470
.LBB120_485:                            ;   in Loop: Header=BB120_408 Depth=2
	global_load_b64 v[8:9], v[20:21], off offset:1280
	s_or_b32 exec_lo, exec_lo, s43
	s_delay_alu instid0(SALU_CYCLE_1)
	s_mov_b32 s43, exec_lo
	v_cmpx_lt_u32_e64 v80, v2
	s_cbranch_execnz .LBB120_471
.LBB120_486:                            ;   in Loop: Header=BB120_408 Depth=2
	s_or_b32 exec_lo, exec_lo, s43
	s_delay_alu instid0(SALU_CYCLE_1)
	s_mov_b32 s43, exec_lo
	v_cmpx_lt_u32_e64 v81, v2
	s_cbranch_execz .LBB120_472
.LBB120_487:                            ;   in Loop: Header=BB120_408 Depth=2
	global_load_b64 v[4:5], v[20:21], off offset:1792
	s_or_b32 exec_lo, exec_lo, s43
	s_and_saveexec_b32 s24, s22
	s_cbranch_execnz .LBB120_473
.LBB120_488:                            ;   in Loop: Header=BB120_408 Depth=2
	s_or_b32 exec_lo, exec_lo, s24
	s_and_saveexec_b32 s24, s23
	s_cbranch_execz .LBB120_474
.LBB120_489:                            ;   in Loop: Header=BB120_408 Depth=2
	ds_load_u8 v2, v35 offset:256
	s_waitcnt lgkmcnt(0)
	v_lshrrev_b32_e32 v2, s49, v2
	s_delay_alu instid0(VALU_DEP_1)
	v_and_b32_e32 v91, s31, v2
	s_or_b32 exec_lo, exec_lo, s24
	s_and_saveexec_b32 s24, s21
	s_cbranch_execnz .LBB120_475
.LBB120_490:                            ;   in Loop: Header=BB120_408 Depth=2
	s_or_b32 exec_lo, exec_lo, s24
	s_and_saveexec_b32 s24, s20
	s_cbranch_execz .LBB120_476
.LBB120_491:                            ;   in Loop: Header=BB120_408 Depth=2
	ds_load_u8 v2, v35 offset:768
	s_waitcnt lgkmcnt(0)
	v_lshrrev_b32_e32 v2, s49, v2
	s_delay_alu instid0(VALU_DEP_1)
	v_and_b32_e32 v89, s31, v2
	s_or_b32 exec_lo, exec_lo, s24
	s_and_saveexec_b32 s24, s19
	s_cbranch_execnz .LBB120_477
.LBB120_492:                            ;   in Loop: Header=BB120_408 Depth=2
	s_or_b32 exec_lo, exec_lo, s24
	s_and_saveexec_b32 s24, s18
	s_cbranch_execz .LBB120_478
.LBB120_493:                            ;   in Loop: Header=BB120_408 Depth=2
	ds_load_u8 v2, v35 offset:1280
	s_waitcnt lgkmcnt(0)
	v_lshrrev_b32_e32 v2, s49, v2
	s_delay_alu instid0(VALU_DEP_1)
	v_and_b32_e32 v87, s31, v2
	s_or_b32 exec_lo, exec_lo, s24
	s_and_saveexec_b32 s24, s17
	s_cbranch_execnz .LBB120_479
.LBB120_494:                            ;   in Loop: Header=BB120_408 Depth=2
	s_or_b32 exec_lo, exec_lo, s24
	s_and_saveexec_b32 s24, vcc_lo
	s_cbranch_execz .LBB120_496
.LBB120_495:                            ;   in Loop: Header=BB120_408 Depth=2
	ds_load_u8 v2, v35 offset:1792
	s_waitcnt lgkmcnt(0)
	v_lshrrev_b32_e32 v2, s49, v2
	s_delay_alu instid0(VALU_DEP_1)
	v_and_b32_e32 v85, s31, v2
.LBB120_496:                            ;   in Loop: Header=BB120_408 Depth=2
	s_or_b32 exec_lo, exec_lo, s24
	v_lshlrev_b32_e32 v2, 3, v100
	v_lshlrev_b32_e32 v20, 3, v96
	;; [unrolled: 1-line block ×3, first 2 shown]
	s_waitcnt vmcnt(0)
	s_waitcnt_vscnt null, 0x0
	s_barrier
	buffer_gl0_inv
	ds_store_b64 v2, v[18:19] offset:1024
	ds_store_b64 v20, v[16:17] offset:1024
	;; [unrolled: 1-line block ×3, first 2 shown]
	v_lshlrev_b32_e32 v2, 3, v27
	v_lshlrev_b32_e32 v20, 3, v26
	;; [unrolled: 1-line block ×5, first 2 shown]
	ds_store_b64 v2, v[12:13] offset:1024
	ds_store_b64 v20, v[10:11] offset:1024
	ds_store_b64 v21, v[8:9] offset:1024
	ds_store_b64 v24, v[6:7] offset:1024
	ds_store_b64 v23, v[4:5] offset:1024
	s_waitcnt lgkmcnt(0)
	s_barrier
	buffer_gl0_inv
	s_and_saveexec_b32 s24, s22
	s_cbranch_execz .LBB120_504
; %bb.497:                              ;   in Loop: Header=BB120_408 Depth=2
	v_lshlrev_b32_e32 v2, 2, v92
	v_add_nc_u32_e32 v20, v1, v52
	ds_load_b32 v2, v2
	ds_load_b64 v[20:21], v20 offset:1024
	s_waitcnt lgkmcnt(1)
	v_add_nc_u32_e32 v2, v2, v1
	s_delay_alu instid0(VALU_DEP_1) | instskip(NEXT) | instid1(VALU_DEP_1)
	v_lshlrev_b64 v[23:24], 3, v[2:3]
	v_add_co_u32 v23, s22, s44, v23
	s_delay_alu instid0(VALU_DEP_1)
	v_add_co_ci_u32_e64 v24, s22, s45, v24, s22
	s_waitcnt lgkmcnt(0)
	global_store_b64 v[23:24], v[20:21], off
	s_or_b32 exec_lo, exec_lo, s24
	s_and_saveexec_b32 s24, s23
	s_cbranch_execnz .LBB120_505
.LBB120_498:                            ;   in Loop: Header=BB120_408 Depth=2
	s_or_b32 exec_lo, exec_lo, s24
	s_and_saveexec_b32 s22, s21
	s_cbranch_execz .LBB120_506
.LBB120_499:                            ;   in Loop: Header=BB120_408 Depth=2
	v_lshlrev_b32_e32 v2, 2, v90
	v_add_nc_u32_e32 v20, v35, v52
	ds_load_b32 v2, v2
	ds_load_b64 v[20:21], v20 offset:4096
	s_waitcnt lgkmcnt(1)
	v_add_nc_u32_e32 v2, v2, v30
	s_delay_alu instid0(VALU_DEP_1) | instskip(NEXT) | instid1(VALU_DEP_1)
	v_lshlrev_b64 v[23:24], 3, v[2:3]
	v_add_co_u32 v23, s21, s44, v23
	s_delay_alu instid0(VALU_DEP_1)
	v_add_co_ci_u32_e64 v24, s21, s45, v24, s21
	s_waitcnt lgkmcnt(0)
	global_store_b64 v[23:24], v[20:21], off
	s_or_b32 exec_lo, exec_lo, s22
	s_and_saveexec_b32 s21, s20
	s_cbranch_execnz .LBB120_507
.LBB120_500:                            ;   in Loop: Header=BB120_408 Depth=2
	s_or_b32 exec_lo, exec_lo, s21
	s_and_saveexec_b32 s20, s19
	s_cbranch_execz .LBB120_508
.LBB120_501:                            ;   in Loop: Header=BB120_408 Depth=2
	v_lshlrev_b32_e32 v2, 2, v88
	v_add_nc_u32_e32 v20, v35, v52
	ds_load_b32 v2, v2
	ds_load_b64 v[20:21], v20 offset:8192
	s_waitcnt lgkmcnt(1)
	v_add_nc_u32_e32 v2, v2, v35
	s_delay_alu instid0(VALU_DEP_1) | instskip(NEXT) | instid1(VALU_DEP_1)
	v_lshlrev_b64 v[23:24], 3, v[2:3]
	v_add_co_u32 v23, s19, s44, v23
	s_delay_alu instid0(VALU_DEP_1)
	v_add_co_ci_u32_e64 v24, s19, s45, v24, s19
	s_waitcnt lgkmcnt(0)
	global_store_b64 v[23:24], v[20:21], off
	s_or_b32 exec_lo, exec_lo, s20
	s_and_saveexec_b32 s19, s18
	s_cbranch_execnz .LBB120_509
.LBB120_502:                            ;   in Loop: Header=BB120_408 Depth=2
	s_or_b32 exec_lo, exec_lo, s19
	s_and_saveexec_b32 s18, s17
	s_cbranch_execz .LBB120_510
.LBB120_503:                            ;   in Loop: Header=BB120_408 Depth=2
	v_lshlrev_b32_e32 v2, 2, v86
	v_add_nc_u32_e32 v20, v35, v52
	ds_load_b32 v2, v2
	ds_load_b64 v[20:21], v20 offset:12288
	s_waitcnt lgkmcnt(1)
	v_add_nc_u32_e32 v2, v2, v37
	s_delay_alu instid0(VALU_DEP_1) | instskip(NEXT) | instid1(VALU_DEP_1)
	v_lshlrev_b64 v[23:24], 3, v[2:3]
	v_add_co_u32 v23, s17, s44, v23
	s_delay_alu instid0(VALU_DEP_1)
	v_add_co_ci_u32_e64 v24, s17, s45, v24, s17
	s_waitcnt lgkmcnt(0)
	global_store_b64 v[23:24], v[20:21], off
	s_or_b32 exec_lo, exec_lo, s18
	s_and_saveexec_b32 s17, vcc_lo
	s_cbranch_execnz .LBB120_511
	s_branch .LBB120_512
.LBB120_504:                            ;   in Loop: Header=BB120_408 Depth=2
	s_or_b32 exec_lo, exec_lo, s24
	s_and_saveexec_b32 s24, s23
	s_cbranch_execz .LBB120_498
.LBB120_505:                            ;   in Loop: Header=BB120_408 Depth=2
	v_lshlrev_b32_e32 v2, 2, v91
	v_add_nc_u32_e32 v20, v35, v52
	ds_load_b32 v2, v2
	ds_load_b64 v[20:21], v20 offset:2048
	s_waitcnt lgkmcnt(1)
	v_add_nc_u32_e32 v2, v2, v29
	s_delay_alu instid0(VALU_DEP_1) | instskip(NEXT) | instid1(VALU_DEP_1)
	v_lshlrev_b64 v[23:24], 3, v[2:3]
	v_add_co_u32 v23, s22, s44, v23
	s_delay_alu instid0(VALU_DEP_1)
	v_add_co_ci_u32_e64 v24, s22, s45, v24, s22
	s_waitcnt lgkmcnt(0)
	global_store_b64 v[23:24], v[20:21], off
	s_or_b32 exec_lo, exec_lo, s24
	s_and_saveexec_b32 s22, s21
	s_cbranch_execnz .LBB120_499
.LBB120_506:                            ;   in Loop: Header=BB120_408 Depth=2
	s_or_b32 exec_lo, exec_lo, s22
	s_and_saveexec_b32 s21, s20
	s_cbranch_execz .LBB120_500
.LBB120_507:                            ;   in Loop: Header=BB120_408 Depth=2
	v_lshlrev_b32_e32 v2, 2, v89
	v_add_nc_u32_e32 v20, v35, v52
	ds_load_b32 v2, v2
	ds_load_b64 v[20:21], v20 offset:6144
	s_waitcnt lgkmcnt(1)
	v_add_nc_u32_e32 v2, v2, v31
	s_delay_alu instid0(VALU_DEP_1) | instskip(NEXT) | instid1(VALU_DEP_1)
	v_lshlrev_b64 v[23:24], 3, v[2:3]
	v_add_co_u32 v23, s20, s44, v23
	s_delay_alu instid0(VALU_DEP_1)
	v_add_co_ci_u32_e64 v24, s20, s45, v24, s20
	s_waitcnt lgkmcnt(0)
	global_store_b64 v[23:24], v[20:21], off
	s_or_b32 exec_lo, exec_lo, s21
	s_and_saveexec_b32 s20, s19
	s_cbranch_execnz .LBB120_501
.LBB120_508:                            ;   in Loop: Header=BB120_408 Depth=2
	s_or_b32 exec_lo, exec_lo, s20
	s_and_saveexec_b32 s19, s18
	s_cbranch_execz .LBB120_502
.LBB120_509:                            ;   in Loop: Header=BB120_408 Depth=2
	v_lshlrev_b32_e32 v2, 2, v87
	v_add_nc_u32_e32 v20, v35, v52
	ds_load_b32 v2, v2
	ds_load_b64 v[20:21], v20 offset:10240
	s_waitcnt lgkmcnt(1)
	v_add_nc_u32_e32 v2, v2, v36
	s_delay_alu instid0(VALU_DEP_1) | instskip(NEXT) | instid1(VALU_DEP_1)
	v_lshlrev_b64 v[23:24], 3, v[2:3]
	v_add_co_u32 v23, s18, s44, v23
	s_delay_alu instid0(VALU_DEP_1)
	v_add_co_ci_u32_e64 v24, s18, s45, v24, s18
	s_waitcnt lgkmcnt(0)
	global_store_b64 v[23:24], v[20:21], off
	s_or_b32 exec_lo, exec_lo, s19
	s_and_saveexec_b32 s18, s17
	s_cbranch_execnz .LBB120_503
.LBB120_510:                            ;   in Loop: Header=BB120_408 Depth=2
	s_or_b32 exec_lo, exec_lo, s18
	s_and_saveexec_b32 s17, vcc_lo
	s_cbranch_execz .LBB120_512
.LBB120_511:                            ;   in Loop: Header=BB120_408 Depth=2
	v_lshlrev_b32_e32 v2, 2, v85
	v_add_nc_u32_e32 v20, v35, v52
	ds_load_b32 v2, v2
	ds_load_b64 v[20:21], v20 offset:14336
	s_waitcnt lgkmcnt(1)
	v_add_nc_u32_e32 v2, v2, v39
	s_delay_alu instid0(VALU_DEP_1) | instskip(NEXT) | instid1(VALU_DEP_1)
	v_lshlrev_b64 v[23:24], 3, v[2:3]
	v_add_co_u32 v23, vcc_lo, s44, v23
	s_delay_alu instid0(VALU_DEP_2)
	v_add_co_ci_u32_e32 v24, vcc_lo, s45, v24, vcc_lo
	s_waitcnt lgkmcnt(0)
	global_store_b64 v[23:24], v[20:21], off
.LBB120_512:                            ;   in Loop: Header=BB120_408 Depth=2
	s_or_b32 exec_lo, exec_lo, s17
	s_waitcnt_vscnt null, 0x0
	s_barrier
	buffer_gl0_inv
	s_and_saveexec_b32 s17, s2
	s_cbranch_execz .LBB120_407
; %bb.513:                              ;   in Loop: Header=BB120_408 Depth=2
	ds_load_b32 v2, v28
	s_waitcnt lgkmcnt(0)
	v_add_nc_u32_e32 v2, v2, v22
	ds_store_b32 v28, v2
	s_branch .LBB120_407
.LBB120_514:                            ;   in Loop: Header=BB120_408 Depth=2
	s_or_b32 exec_lo, exec_lo, s17
	s_delay_alu instid0(SALU_CYCLE_1)
	s_mov_b32 s17, exec_lo
	v_cmpx_gt_u32_e64 s35, v75
	s_cbranch_execz .LBB120_413
.LBB120_515:                            ;   in Loop: Header=BB120_408 Depth=2
	global_load_u8 v2, v[22:23], off offset:32
	s_waitcnt vmcnt(0)
	v_perm_b32 v20, v20, v2, 0x7060004
	s_or_b32 exec_lo, exec_lo, s17
	s_delay_alu instid0(SALU_CYCLE_1)
	s_mov_b32 s17, exec_lo
	v_cmpx_gt_u32_e64 s35, v76
	s_cbranch_execnz .LBB120_414
.LBB120_516:                            ;   in Loop: Header=BB120_408 Depth=2
	s_or_b32 exec_lo, exec_lo, s17
	s_delay_alu instid0(SALU_CYCLE_1)
	s_mov_b32 s17, exec_lo
	v_cmpx_gt_u32_e64 s35, v77
	s_cbranch_execz .LBB120_415
.LBB120_517:                            ;   in Loop: Header=BB120_408 Depth=2
	global_load_u8 v2, v[22:23], off offset:96
	v_lshrrev_b32_e32 v24, 16, v20
	s_delay_alu instid0(VALU_DEP_1) | instskip(SKIP_2) | instid1(VALU_DEP_1)
	v_and_b32_e32 v24, 0xff, v24
	s_waitcnt vmcnt(0)
	v_lshlrev_b16 v2, 8, v2
	v_or_b32_e32 v2, v24, v2
	s_delay_alu instid0(VALU_DEP_1) | instskip(NEXT) | instid1(VALU_DEP_1)
	v_lshlrev_b32_e32 v2, 16, v2
	v_and_or_b32 v20, 0xffff, v20, v2
	s_or_b32 exec_lo, exec_lo, s17
	s_delay_alu instid0(SALU_CYCLE_1)
	s_mov_b32 s17, exec_lo
	v_cmpx_gt_u32_e64 s35, v78
	s_cbranch_execnz .LBB120_416
.LBB120_518:                            ;   in Loop: Header=BB120_408 Depth=2
	s_or_b32 exec_lo, exec_lo, s17
	s_delay_alu instid0(SALU_CYCLE_1)
	s_mov_b32 s17, exec_lo
	v_cmpx_gt_u32_e64 s35, v79
	s_cbranch_execz .LBB120_417
.LBB120_519:                            ;   in Loop: Header=BB120_408 Depth=2
	global_load_u8 v2, v[22:23], off offset:160
	s_waitcnt vmcnt(0)
	v_perm_b32 v21, v21, v2, 0x7060004
	s_or_b32 exec_lo, exec_lo, s17
	s_delay_alu instid0(SALU_CYCLE_1)
	s_mov_b32 s17, exec_lo
	v_cmpx_gt_u32_e64 s35, v80
	s_cbranch_execnz .LBB120_418
	s_branch .LBB120_419
.LBB120_520:                            ;   in Loop: Header=BB120_20 Depth=1
	s_waitcnt lgkmcnt(0)
	s_mov_b32 s0, 0
	s_barrier
.LBB120_521:                            ;   in Loop: Header=BB120_20 Depth=1
	s_and_b32 vcc_lo, exec_lo, s0
	s_cbranch_vccz .LBB120_19
; %bb.522:                              ;   in Loop: Header=BB120_20 Depth=1
	s_mov_b32 s0, s34
	s_mov_b32 s9, s28
	s_barrier
	buffer_gl0_inv
                                        ; implicit-def: $vgpr2
                                        ; implicit-def: $vgpr6
                                        ; implicit-def: $vgpr7
                                        ; implicit-def: $vgpr8
                                        ; implicit-def: $vgpr9
                                        ; implicit-def: $vgpr10
                                        ; implicit-def: $vgpr11
                                        ; implicit-def: $vgpr12
	s_branch .LBB120_524
.LBB120_523:                            ;   in Loop: Header=BB120_524 Depth=2
	s_or_b32 exec_lo, exec_lo, s8
	s_addk_i32 s0, 0xf800
	s_cmp_ge_u32 s1, s29
	s_mov_b32 s9, s1
	s_cbranch_scc1 .LBB120_562
.LBB120_524:                            ;   Parent Loop BB120_20 Depth=1
                                        ; =>  This Inner Loop Header: Depth=2
	s_add_i32 s1, s9, 0x800
	s_delay_alu instid0(SALU_CYCLE_1)
	s_cmp_gt_u32 s1, s29
	s_cbranch_scc1 .LBB120_527
; %bb.525:                              ;   in Loop: Header=BB120_524 Depth=2
	v_add_co_u32 v4, vcc_lo, v59, s9
	v_add_co_ci_u32_e32 v5, vcc_lo, 0, v60, vcc_lo
	s_mov_b32 s8, -1
	s_movk_i32 s12, 0x800
	s_clause 0x6
	global_load_u8 v20, v[4:5], off offset:1536
	global_load_u8 v19, v[4:5], off offset:1280
	global_load_u8 v18, v[4:5], off offset:1024
	global_load_u8 v17, v[4:5], off offset:768
	global_load_u8 v16, v[4:5], off offset:512
	global_load_u8 v15, v[4:5], off offset:256
	global_load_u8 v14, v[4:5], off
	v_add_co_u32 v4, vcc_lo, 0x700, v4
	v_add_co_ci_u32_e32 v5, vcc_lo, 0, v5, vcc_lo
	s_cbranch_execz .LBB120_528
; %bb.526:                              ;   in Loop: Header=BB120_524 Depth=2
                                        ; implicit-def: $vgpr2
                                        ; implicit-def: $vgpr6
                                        ; implicit-def: $vgpr7
                                        ; implicit-def: $vgpr8
                                        ; implicit-def: $vgpr9
                                        ; implicit-def: $vgpr10
                                        ; implicit-def: $vgpr11
                                        ; implicit-def: $vgpr12
	v_mov_b32_e32 v13, s0
	s_and_saveexec_b32 s9, s8
	s_cbranch_execnz .LBB120_539
	s_branch .LBB120_540
.LBB120_527:                            ;   in Loop: Header=BB120_524 Depth=2
	s_mov_b32 s8, 0
                                        ; implicit-def: $sgpr12
                                        ; implicit-def: $vgpr14
                                        ; implicit-def: $vgpr15
                                        ; implicit-def: $vgpr16
                                        ; implicit-def: $vgpr17
                                        ; implicit-def: $vgpr18
                                        ; implicit-def: $vgpr19
                                        ; implicit-def: $vgpr20
                                        ; implicit-def: $vgpr4_vgpr5
.LBB120_528:                            ;   in Loop: Header=BB120_524 Depth=2
	s_add_u32 s10, s36, s9
	s_addc_u32 s11, s37, 0
	s_mov_b32 s12, exec_lo
	v_cmpx_gt_u32_e64 s0, v1
	s_cbranch_execz .LBB120_556
; %bb.529:                              ;   in Loop: Header=BB120_524 Depth=2
	v_add_co_u32 v4, s13, s10, v1
	s_delay_alu instid0(VALU_DEP_1) | instskip(SKIP_2) | instid1(SALU_CYCLE_1)
	v_add_co_ci_u32_e64 v5, null, s11, 0, s13
	global_load_u8 v2, v[4:5], off
	s_or_b32 exec_lo, exec_lo, s12
	s_mov_b32 s12, exec_lo
	v_cmpx_gt_u32_e64 s0, v29
	s_cbranch_execnz .LBB120_557
.LBB120_530:                            ;   in Loop: Header=BB120_524 Depth=2
	s_or_b32 exec_lo, exec_lo, s12
	s_delay_alu instid0(SALU_CYCLE_1)
	s_mov_b32 s12, exec_lo
	v_cmpx_gt_u32_e64 s0, v30
	s_cbranch_execz .LBB120_558
.LBB120_531:                            ;   in Loop: Header=BB120_524 Depth=2
	v_add_co_u32 v4, s13, s10, v1
	s_delay_alu instid0(VALU_DEP_1) | instskip(SKIP_2) | instid1(SALU_CYCLE_1)
	v_add_co_ci_u32_e64 v5, null, s11, 0, s13
	global_load_u8 v7, v[4:5], off offset:512
	s_or_b32 exec_lo, exec_lo, s12
	s_mov_b32 s12, exec_lo
	v_cmpx_gt_u32_e64 s0, v31
	s_cbranch_execnz .LBB120_559
.LBB120_532:                            ;   in Loop: Header=BB120_524 Depth=2
	s_or_b32 exec_lo, exec_lo, s12
	s_delay_alu instid0(SALU_CYCLE_1)
	s_mov_b32 s12, exec_lo
	v_cmpx_gt_u32_e64 s0, v35
	s_cbranch_execz .LBB120_560
.LBB120_533:                            ;   in Loop: Header=BB120_524 Depth=2
	v_add_co_u32 v4, s13, s10, v1
	s_delay_alu instid0(VALU_DEP_1) | instskip(SKIP_2) | instid1(SALU_CYCLE_1)
	v_add_co_ci_u32_e64 v5, null, s11, 0, s13
	global_load_u8 v9, v[4:5], off offset:1024
	s_or_b32 exec_lo, exec_lo, s12
	s_mov_b32 s12, exec_lo
	v_cmpx_gt_u32_e64 s0, v36
	s_cbranch_execnz .LBB120_561
.LBB120_534:                            ;   in Loop: Header=BB120_524 Depth=2
	s_or_b32 exec_lo, exec_lo, s12
	s_delay_alu instid0(SALU_CYCLE_1)
	s_mov_b32 s12, exec_lo
	v_cmpx_gt_u32_e64 s0, v37
	s_cbranch_execz .LBB120_536
.LBB120_535:                            ;   in Loop: Header=BB120_524 Depth=2
	v_add_co_u32 v4, s13, s10, v1
	s_delay_alu instid0(VALU_DEP_1)
	v_add_co_ci_u32_e64 v5, null, s11, 0, s13
	global_load_u8 v11, v[4:5], off offset:1536
.LBB120_536:                            ;   in Loop: Header=BB120_524 Depth=2
	s_or_b32 exec_lo, exec_lo, s12
	s_delay_alu instid0(SALU_CYCLE_1)
	s_mov_b32 s13, exec_lo
                                        ; implicit-def: $sgpr12
                                        ; implicit-def: $vgpr4_vgpr5
	v_cmpx_gt_u32_e64 s0, v39
; %bb.537:                              ;   in Loop: Header=BB120_524 Depth=2
	v_add_co_u32 v4, s10, s10, v1
	s_delay_alu instid0(VALU_DEP_1) | instskip(SKIP_1) | instid1(VALU_DEP_2)
	v_add_co_ci_u32_e64 v5, null, s11, 0, s10
	s_sub_i32 s12, s29, s9
	v_add_co_u32 v4, vcc_lo, 0x700, v4
	s_delay_alu instid0(VALU_DEP_2)
	v_add_co_ci_u32_e32 v5, vcc_lo, 0, v5, vcc_lo
	s_or_b32 s8, s8, exec_lo
                                        ; implicit-def: $vgpr12
; %bb.538:                              ;   in Loop: Header=BB120_524 Depth=2
	s_or_b32 exec_lo, exec_lo, s13
	s_waitcnt vmcnt(0)
	v_dual_mov_b32 v14, v2 :: v_dual_mov_b32 v17, v8
	v_dual_mov_b32 v15, v6 :: v_dual_mov_b32 v16, v7
	;; [unrolled: 1-line block ×4, first 2 shown]
	s_and_saveexec_b32 s9, s8
	s_cbranch_execz .LBB120_540
.LBB120_539:                            ;   in Loop: Header=BB120_524 Depth=2
	global_load_u8 v12, v[4:5], off
	s_waitcnt vmcnt(1)
	v_dual_mov_b32 v13, s12 :: v_dual_mov_b32 v2, v14
	v_dual_mov_b32 v6, v15 :: v_dual_mov_b32 v7, v16
	;; [unrolled: 1-line block ×4, first 2 shown]
.LBB120_540:                            ;   in Loop: Header=BB120_524 Depth=2
	s_or_b32 exec_lo, exec_lo, s9
	v_lshlrev_b32_e32 v4, 2, v32
	s_mov_b32 s8, exec_lo
	v_cmpx_lt_u32_e64 v1, v13
	s_cbranch_execz .LBB120_548
; %bb.541:                              ;   in Loop: Header=BB120_524 Depth=2
	v_xor_b32_e32 v5, -1, v2
	s_delay_alu instid0(VALU_DEP_1) | instskip(NEXT) | instid1(VALU_DEP_1)
	v_and_b32_e32 v5, 0xff, v5
	v_lshrrev_b32_e32 v5, s49, v5
	s_delay_alu instid0(VALU_DEP_1) | instskip(NEXT) | instid1(VALU_DEP_1)
	v_and_b32_e32 v5, s31, v5
	v_lshl_or_b32 v5, v5, 4, v4
	ds_add_u32 v5, v66
	s_or_b32 exec_lo, exec_lo, s8
	s_delay_alu instid0(SALU_CYCLE_1)
	s_mov_b32 s8, exec_lo
	v_cmpx_lt_u32_e64 v29, v13
	s_cbranch_execnz .LBB120_549
.LBB120_542:                            ;   in Loop: Header=BB120_524 Depth=2
	s_or_b32 exec_lo, exec_lo, s8
	s_delay_alu instid0(SALU_CYCLE_1)
	s_mov_b32 s8, exec_lo
	v_cmpx_lt_u32_e64 v30, v13
	s_cbranch_execz .LBB120_550
.LBB120_543:                            ;   in Loop: Header=BB120_524 Depth=2
	v_xor_b32_e32 v5, -1, v7
	s_delay_alu instid0(VALU_DEP_1) | instskip(NEXT) | instid1(VALU_DEP_1)
	v_and_b32_e32 v5, 0xff, v5
	v_lshrrev_b32_e32 v5, s49, v5
	s_delay_alu instid0(VALU_DEP_1) | instskip(NEXT) | instid1(VALU_DEP_1)
	v_and_b32_e32 v5, s31, v5
	v_lshl_or_b32 v5, v5, 4, v4
	ds_add_u32 v5, v66
	s_or_b32 exec_lo, exec_lo, s8
	s_delay_alu instid0(SALU_CYCLE_1)
	s_mov_b32 s8, exec_lo
	v_cmpx_lt_u32_e64 v31, v13
	s_cbranch_execnz .LBB120_551
.LBB120_544:                            ;   in Loop: Header=BB120_524 Depth=2
	s_or_b32 exec_lo, exec_lo, s8
	s_delay_alu instid0(SALU_CYCLE_1)
	s_mov_b32 s8, exec_lo
	v_cmpx_lt_u32_e64 v35, v13
	s_cbranch_execz .LBB120_552
.LBB120_545:                            ;   in Loop: Header=BB120_524 Depth=2
	v_xor_b32_e32 v5, -1, v9
	s_delay_alu instid0(VALU_DEP_1) | instskip(NEXT) | instid1(VALU_DEP_1)
	v_and_b32_e32 v5, 0xff, v5
	v_lshrrev_b32_e32 v5, s49, v5
	s_delay_alu instid0(VALU_DEP_1) | instskip(NEXT) | instid1(VALU_DEP_1)
	v_and_b32_e32 v5, s31, v5
	v_lshl_or_b32 v5, v5, 4, v4
	ds_add_u32 v5, v66
	s_or_b32 exec_lo, exec_lo, s8
	s_delay_alu instid0(SALU_CYCLE_1)
	s_mov_b32 s8, exec_lo
	v_cmpx_lt_u32_e64 v36, v13
	s_cbranch_execnz .LBB120_553
.LBB120_546:                            ;   in Loop: Header=BB120_524 Depth=2
	s_or_b32 exec_lo, exec_lo, s8
	s_delay_alu instid0(SALU_CYCLE_1)
	s_mov_b32 s8, exec_lo
	v_cmpx_lt_u32_e64 v37, v13
	s_cbranch_execz .LBB120_554
.LBB120_547:                            ;   in Loop: Header=BB120_524 Depth=2
	v_xor_b32_e32 v5, -1, v11
	s_delay_alu instid0(VALU_DEP_1) | instskip(NEXT) | instid1(VALU_DEP_1)
	v_and_b32_e32 v5, 0xff, v5
	v_lshrrev_b32_e32 v5, s49, v5
	s_delay_alu instid0(VALU_DEP_1) | instskip(NEXT) | instid1(VALU_DEP_1)
	v_and_b32_e32 v5, s31, v5
	v_lshl_or_b32 v5, v5, 4, v4
	ds_add_u32 v5, v66
	s_or_b32 exec_lo, exec_lo, s8
	s_delay_alu instid0(SALU_CYCLE_1)
	s_mov_b32 s8, exec_lo
	v_cmpx_lt_u32_e64 v39, v13
	s_cbranch_execz .LBB120_523
	s_branch .LBB120_555
.LBB120_548:                            ;   in Loop: Header=BB120_524 Depth=2
	s_or_b32 exec_lo, exec_lo, s8
	s_delay_alu instid0(SALU_CYCLE_1)
	s_mov_b32 s8, exec_lo
	v_cmpx_lt_u32_e64 v29, v13
	s_cbranch_execz .LBB120_542
.LBB120_549:                            ;   in Loop: Header=BB120_524 Depth=2
	v_xor_b32_e32 v5, -1, v6
	s_delay_alu instid0(VALU_DEP_1) | instskip(NEXT) | instid1(VALU_DEP_1)
	v_and_b32_e32 v5, 0xff, v5
	v_lshrrev_b32_e32 v5, s49, v5
	s_delay_alu instid0(VALU_DEP_1) | instskip(NEXT) | instid1(VALU_DEP_1)
	v_and_b32_e32 v5, s31, v5
	v_lshl_or_b32 v5, v5, 4, v4
	ds_add_u32 v5, v66
	s_or_b32 exec_lo, exec_lo, s8
	s_delay_alu instid0(SALU_CYCLE_1)
	s_mov_b32 s8, exec_lo
	v_cmpx_lt_u32_e64 v30, v13
	s_cbranch_execnz .LBB120_543
.LBB120_550:                            ;   in Loop: Header=BB120_524 Depth=2
	s_or_b32 exec_lo, exec_lo, s8
	s_delay_alu instid0(SALU_CYCLE_1)
	s_mov_b32 s8, exec_lo
	v_cmpx_lt_u32_e64 v31, v13
	s_cbranch_execz .LBB120_544
.LBB120_551:                            ;   in Loop: Header=BB120_524 Depth=2
	v_xor_b32_e32 v5, -1, v8
	s_delay_alu instid0(VALU_DEP_1) | instskip(NEXT) | instid1(VALU_DEP_1)
	v_and_b32_e32 v5, 0xff, v5
	v_lshrrev_b32_e32 v5, s49, v5
	s_delay_alu instid0(VALU_DEP_1) | instskip(NEXT) | instid1(VALU_DEP_1)
	v_and_b32_e32 v5, s31, v5
	v_lshl_or_b32 v5, v5, 4, v4
	ds_add_u32 v5, v66
	s_or_b32 exec_lo, exec_lo, s8
	s_delay_alu instid0(SALU_CYCLE_1)
	s_mov_b32 s8, exec_lo
	v_cmpx_lt_u32_e64 v35, v13
	s_cbranch_execnz .LBB120_545
.LBB120_552:                            ;   in Loop: Header=BB120_524 Depth=2
	s_or_b32 exec_lo, exec_lo, s8
	s_delay_alu instid0(SALU_CYCLE_1)
	s_mov_b32 s8, exec_lo
	v_cmpx_lt_u32_e64 v36, v13
	s_cbranch_execz .LBB120_546
.LBB120_553:                            ;   in Loop: Header=BB120_524 Depth=2
	v_xor_b32_e32 v5, -1, v10
	s_delay_alu instid0(VALU_DEP_1) | instskip(NEXT) | instid1(VALU_DEP_1)
	v_and_b32_e32 v5, 0xff, v5
	v_lshrrev_b32_e32 v5, s49, v5
	s_delay_alu instid0(VALU_DEP_1) | instskip(NEXT) | instid1(VALU_DEP_1)
	v_and_b32_e32 v5, s31, v5
	v_lshl_or_b32 v5, v5, 4, v4
	ds_add_u32 v5, v66
	s_or_b32 exec_lo, exec_lo, s8
	s_delay_alu instid0(SALU_CYCLE_1)
	s_mov_b32 s8, exec_lo
	v_cmpx_lt_u32_e64 v37, v13
	s_cbranch_execnz .LBB120_547
.LBB120_554:                            ;   in Loop: Header=BB120_524 Depth=2
	s_or_b32 exec_lo, exec_lo, s8
	s_delay_alu instid0(SALU_CYCLE_1)
	s_mov_b32 s8, exec_lo
	v_cmpx_lt_u32_e64 v39, v13
	s_cbranch_execz .LBB120_523
.LBB120_555:                            ;   in Loop: Header=BB120_524 Depth=2
	s_waitcnt vmcnt(0)
	v_xor_b32_e32 v5, -1, v12
	s_delay_alu instid0(VALU_DEP_1) | instskip(NEXT) | instid1(VALU_DEP_1)
	v_and_b32_e32 v5, 0xff, v5
	v_lshrrev_b32_e32 v5, s49, v5
	s_delay_alu instid0(VALU_DEP_1) | instskip(NEXT) | instid1(VALU_DEP_1)
	v_and_b32_e32 v5, s31, v5
	v_lshl_or_b32 v4, v5, 4, v4
	ds_add_u32 v4, v66
	s_branch .LBB120_523
.LBB120_556:                            ;   in Loop: Header=BB120_524 Depth=2
	s_or_b32 exec_lo, exec_lo, s12
	s_delay_alu instid0(SALU_CYCLE_1)
	s_mov_b32 s12, exec_lo
	v_cmpx_gt_u32_e64 s0, v29
	s_cbranch_execz .LBB120_530
.LBB120_557:                            ;   in Loop: Header=BB120_524 Depth=2
	v_add_co_u32 v4, s13, s10, v1
	s_delay_alu instid0(VALU_DEP_1) | instskip(SKIP_2) | instid1(SALU_CYCLE_1)
	v_add_co_ci_u32_e64 v5, null, s11, 0, s13
	global_load_u8 v6, v[4:5], off offset:256
	s_or_b32 exec_lo, exec_lo, s12
	s_mov_b32 s12, exec_lo
	v_cmpx_gt_u32_e64 s0, v30
	s_cbranch_execnz .LBB120_531
.LBB120_558:                            ;   in Loop: Header=BB120_524 Depth=2
	s_or_b32 exec_lo, exec_lo, s12
	s_delay_alu instid0(SALU_CYCLE_1)
	s_mov_b32 s12, exec_lo
	v_cmpx_gt_u32_e64 s0, v31
	s_cbranch_execz .LBB120_532
.LBB120_559:                            ;   in Loop: Header=BB120_524 Depth=2
	v_add_co_u32 v4, s13, s10, v1
	s_delay_alu instid0(VALU_DEP_1) | instskip(SKIP_2) | instid1(SALU_CYCLE_1)
	v_add_co_ci_u32_e64 v5, null, s11, 0, s13
	global_load_u8 v8, v[4:5], off offset:768
	s_or_b32 exec_lo, exec_lo, s12
	s_mov_b32 s12, exec_lo
	v_cmpx_gt_u32_e64 s0, v35
	s_cbranch_execnz .LBB120_533
.LBB120_560:                            ;   in Loop: Header=BB120_524 Depth=2
	s_or_b32 exec_lo, exec_lo, s12
	s_delay_alu instid0(SALU_CYCLE_1)
	s_mov_b32 s12, exec_lo
	v_cmpx_gt_u32_e64 s0, v36
	s_cbranch_execz .LBB120_534
.LBB120_561:                            ;   in Loop: Header=BB120_524 Depth=2
	v_add_co_u32 v4, s13, s10, v1
	s_delay_alu instid0(VALU_DEP_1) | instskip(SKIP_2) | instid1(SALU_CYCLE_1)
	v_add_co_ci_u32_e64 v5, null, s11, 0, s13
	global_load_u8 v10, v[4:5], off offset:1280
	s_or_b32 exec_lo, exec_lo, s12
	s_mov_b32 s12, exec_lo
	v_cmpx_gt_u32_e64 s0, v37
	s_cbranch_execz .LBB120_536
	s_branch .LBB120_535
.LBB120_562:                            ;   in Loop: Header=BB120_20 Depth=1
	v_mov_b32_e32 v2, 0
	s_waitcnt vmcnt(0) lgkmcnt(0)
	s_barrier
	buffer_gl0_inv
	s_and_saveexec_b32 s0, s2
	s_cbranch_execz .LBB120_564
; %bb.563:                              ;   in Loop: Header=BB120_20 Depth=1
	ds_load_2addr_b64 v[4:7], v40 offset1:1
	s_waitcnt lgkmcnt(0)
	v_add_nc_u32_e32 v2, v5, v4
	s_delay_alu instid0(VALU_DEP_1)
	v_add3_u32 v2, v2, v6, v7
.LBB120_564:                            ;   in Loop: Header=BB120_20 Depth=1
	s_or_b32 exec_lo, exec_lo, s0
	v_and_b32_e32 v4, 15, v63
	s_delay_alu instid0(VALU_DEP_2) | instskip(SKIP_1) | instid1(VALU_DEP_3)
	v_mov_b32_dpp v5, v2 row_shr:1 row_mask:0xf bank_mask:0xf
	v_and_b32_e32 v6, 16, v63
	v_cmp_eq_u32_e64 s0, 0, v4
	v_cmp_lt_u32_e64 s1, 1, v4
	v_cmp_lt_u32_e64 s8, 3, v4
	;; [unrolled: 1-line block ×3, first 2 shown]
	v_cmp_eq_u32_e64 s10, 0, v6
	v_cndmask_b32_e64 v5, v5, 0, s0
	s_delay_alu instid0(VALU_DEP_1) | instskip(NEXT) | instid1(VALU_DEP_1)
	v_add_nc_u32_e32 v2, v5, v2
	v_mov_b32_dpp v5, v2 row_shr:2 row_mask:0xf bank_mask:0xf
	s_delay_alu instid0(VALU_DEP_1) | instskip(NEXT) | instid1(VALU_DEP_1)
	v_cndmask_b32_e64 v5, 0, v5, s1
	v_add_nc_u32_e32 v2, v2, v5
	s_delay_alu instid0(VALU_DEP_1) | instskip(NEXT) | instid1(VALU_DEP_1)
	v_mov_b32_dpp v5, v2 row_shr:4 row_mask:0xf bank_mask:0xf
	v_cndmask_b32_e64 v5, 0, v5, s8
	s_delay_alu instid0(VALU_DEP_1) | instskip(NEXT) | instid1(VALU_DEP_1)
	v_add_nc_u32_e32 v2, v2, v5
	v_mov_b32_dpp v5, v2 row_shr:8 row_mask:0xf bank_mask:0xf
	s_delay_alu instid0(VALU_DEP_1) | instskip(SKIP_1) | instid1(VALU_DEP_2)
	v_cndmask_b32_e64 v4, 0, v5, s9
	v_bfe_i32 v5, v63, 4, 1
	v_add_nc_u32_e32 v2, v2, v4
	ds_swizzle_b32 v4, v2 offset:swizzle(BROADCAST,32,15)
	s_waitcnt lgkmcnt(0)
	v_and_b32_e32 v4, v5, v4
	s_delay_alu instid0(VALU_DEP_1)
	v_add_nc_u32_e32 v4, v2, v4
	s_and_saveexec_b32 s11, s3
	s_cbranch_execz .LBB120_566
; %bb.565:                              ;   in Loop: Header=BB120_20 Depth=1
	ds_store_b32 v41, v4
.LBB120_566:                            ;   in Loop: Header=BB120_20 Depth=1
	s_or_b32 exec_lo, exec_lo, s11
	v_and_b32_e32 v2, 7, v63
	s_waitcnt lgkmcnt(0)
	s_barrier
	buffer_gl0_inv
	s_and_saveexec_b32 s11, s4
	s_cbranch_execz .LBB120_568
; %bb.567:                              ;   in Loop: Header=BB120_20 Depth=1
	ds_load_b32 v5, v42
	v_cmp_ne_u32_e32 vcc_lo, 0, v2
	s_waitcnt lgkmcnt(0)
	v_mov_b32_dpp v6, v5 row_shr:1 row_mask:0xf bank_mask:0xf
	s_delay_alu instid0(VALU_DEP_1) | instskip(SKIP_1) | instid1(VALU_DEP_2)
	v_cndmask_b32_e32 v6, 0, v6, vcc_lo
	v_cmp_lt_u32_e32 vcc_lo, 1, v2
	v_add_nc_u32_e32 v5, v6, v5
	s_delay_alu instid0(VALU_DEP_1) | instskip(NEXT) | instid1(VALU_DEP_1)
	v_mov_b32_dpp v6, v5 row_shr:2 row_mask:0xf bank_mask:0xf
	v_cndmask_b32_e32 v6, 0, v6, vcc_lo
	v_cmp_lt_u32_e32 vcc_lo, 3, v2
	s_delay_alu instid0(VALU_DEP_2) | instskip(NEXT) | instid1(VALU_DEP_1)
	v_add_nc_u32_e32 v5, v5, v6
	v_mov_b32_dpp v6, v5 row_shr:4 row_mask:0xf bank_mask:0xf
	s_delay_alu instid0(VALU_DEP_1) | instskip(NEXT) | instid1(VALU_DEP_1)
	v_cndmask_b32_e32 v6, 0, v6, vcc_lo
	v_add_nc_u32_e32 v5, v5, v6
	ds_store_b32 v42, v5
.LBB120_568:                            ;   in Loop: Header=BB120_20 Depth=1
	s_or_b32 exec_lo, exec_lo, s11
	v_mov_b32_e32 v5, 0
	s_waitcnt lgkmcnt(0)
	s_barrier
	buffer_gl0_inv
	s_and_saveexec_b32 s11, s5
	s_cbranch_execz .LBB120_570
; %bb.569:                              ;   in Loop: Header=BB120_20 Depth=1
	ds_load_b32 v5, v43
.LBB120_570:                            ;   in Loop: Header=BB120_20 Depth=1
	s_or_b32 exec_lo, exec_lo, s11
	v_add_nc_u32_e32 v6, -1, v63
	s_waitcnt lgkmcnt(0)
	v_add_nc_u32_e32 v4, v5, v4
	v_cmp_eq_u32_e64 s11, 0, v63
	s_barrier
	v_cmp_gt_i32_e32 vcc_lo, 0, v6
	buffer_gl0_inv
	v_cndmask_b32_e32 v6, v6, v63, vcc_lo
	s_delay_alu instid0(VALU_DEP_1)
	v_lshlrev_b32_e32 v69, 2, v6
	ds_bpermute_b32 v4, v69, v4
	s_and_saveexec_b32 s12, s2
	s_cbranch_execz .LBB120_572
; %bb.571:                              ;   in Loop: Header=BB120_20 Depth=1
	s_waitcnt lgkmcnt(0)
	v_cndmask_b32_e64 v4, v4, v5, s11
	s_delay_alu instid0(VALU_DEP_1)
	v_add_nc_u32_e32 v4, s28, v4
	ds_store_b32 v28, v4
.LBB120_572:                            ;   in Loop: Header=BB120_20 Depth=1
	s_or_b32 exec_lo, exec_lo, s12
	s_load_b64 s[12:13], s[26:27], 0x0
	v_add_co_u32 v71, vcc_lo, v64, v63
	v_add_co_ci_u32_e32 v72, vcc_lo, 0, v65, vcc_lo
	v_or_b32_e32 v70, v63, v44
	s_mov_b32 s35, s34
	s_mov_b32 s24, s28
                                        ; implicit-def: $vgpr8_vgpr9
                                        ; implicit-def: $vgpr10_vgpr11
                                        ; implicit-def: $vgpr12_vgpr13
                                        ; implicit-def: $vgpr14_vgpr15
                                        ; implicit-def: $vgpr16_vgpr17
                                        ; implicit-def: $vgpr18_vgpr19
                                        ; implicit-def: $vgpr85
                                        ; implicit-def: $vgpr86
                                        ; implicit-def: $vgpr87
                                        ; implicit-def: $vgpr88
                                        ; implicit-def: $vgpr89
                                        ; implicit-def: $vgpr90
                                        ; implicit-def: $vgpr91
                                        ; implicit-def: $vgpr92
	s_delay_alu instid0(VALU_DEP_1)
	v_or_b32_e32 v75, 32, v70
	v_or_b32_e32 v76, 64, v70
	;; [unrolled: 1-line block ×7, first 2 shown]
	s_waitcnt lgkmcnt(0)
	s_cmp_lt_u32 s15, s13
	s_cselect_b32 s13, 14, 20
	s_delay_alu instid0(SALU_CYCLE_1) | instskip(SKIP_4) | instid1(SALU_CYCLE_1)
	s_add_u32 s16, s26, s13
	s_addc_u32 s17, s27, 0
	s_cmp_lt_u32 s14, s12
	global_load_u16 v4, v3, s[16:17]
	s_cselect_b32 s12, 12, 18
	s_add_u32 s12, s26, s12
	s_addc_u32 s13, s27, 0
	global_load_u16 v6, v3, s[12:13]
	v_cmp_eq_u32_e64 s12, 0, v2
	v_cmp_lt_u32_e64 s13, 1, v2
	v_cmp_lt_u32_e64 s16, 3, v2
	v_lshlrev_b32_e32 v2, 3, v63
	s_delay_alu instid0(VALU_DEP_1)
	v_add_co_u32 v73, vcc_lo, v61, v2
	v_add_co_ci_u32_e32 v74, vcc_lo, 0, v62, vcc_lo
	v_add_co_u32 v83, vcc_lo, 0xe0, v71
	v_add_co_ci_u32_e32 v84, vcc_lo, 0, v72, vcc_lo
	s_waitcnt vmcnt(1)
	v_mad_u32_u24 v7, v45, v4, v0
	s_waitcnt vmcnt(0)
	s_delay_alu instid0(VALU_DEP_1) | instskip(NEXT) | instid1(VALU_DEP_1)
	v_mad_u64_u32 v[4:5], null, v7, v6, v[1:2]
                                        ; implicit-def: $vgpr6_vgpr7
	v_lshrrev_b32_e32 v82, 5, v4
                                        ; implicit-def: $vgpr4_vgpr5
	s_branch .LBB120_574
.LBB120_573:                            ;   in Loop: Header=BB120_574 Depth=2
	s_or_b32 exec_lo, exec_lo, s17
	s_addk_i32 s35, 0xf800
	s_cmp_lt_u32 s42, s29
	s_mov_b32 s24, s42
	s_cbranch_scc0 .LBB120_18
.LBB120_574:                            ;   Parent Loop BB120_20 Depth=1
                                        ; =>  This Inner Loop Header: Depth=2
	s_add_i32 s42, s24, 0x800
	s_delay_alu instid0(SALU_CYCLE_1)
	s_cmp_gt_u32 s42, s29
	s_cbranch_scc1 .LBB120_576
; %bb.575:                              ;   in Loop: Header=BB120_574 Depth=2
	v_add_co_u32 v20, vcc_lo, v71, s24
	v_add_co_ci_u32_e32 v21, vcc_lo, 0, v72, vcc_lo
	s_mov_b32 s19, 0
	s_mov_b32 s18, s24
	s_mov_b32 s20, -1
	s_clause 0x6
	global_load_u8 v2, v[20:21], off offset:32
	global_load_u8 v22, v[20:21], off offset:96
	;; [unrolled: 1-line block ×3, first 2 shown]
	global_load_u8 v24, v[20:21], off
	global_load_u8 v25, v[20:21], off offset:64
	global_load_u8 v26, v[20:21], off offset:128
	;; [unrolled: 1-line block ×3, first 2 shown]
	s_movk_i32 s17, 0x800
	s_waitcnt vmcnt(6)
	v_lshlrev_b16 v2, 8, v2
	s_waitcnt vmcnt(5)
	v_lshlrev_b16 v20, 8, v22
	;; [unrolled: 2-line block ×3, first 2 shown]
	s_waitcnt vmcnt(3)
	v_or_b32_e32 v2, v24, v2
	s_waitcnt vmcnt(2)
	v_or_b32_e32 v20, v25, v20
	;; [unrolled: 2-line block ×3, first 2 shown]
	v_and_b32_e32 v2, 0xffff, v2
	s_delay_alu instid0(VALU_DEP_3) | instskip(NEXT) | instid1(VALU_DEP_3)
	v_lshlrev_b32_e32 v20, 16, v20
	v_and_b32_e32 v22, 0xffff, v22
	s_delay_alu instid0(VALU_DEP_2) | instskip(SKIP_1) | instid1(VALU_DEP_2)
	v_or_b32_e32 v20, v2, v20
	s_waitcnt vmcnt(0)
	v_lshl_or_b32 v21, v21, 16, v22
	s_cbranch_execz .LBB120_577
	s_branch .LBB120_586
.LBB120_576:                            ;   in Loop: Header=BB120_574 Depth=2
	s_mov_b32 s19, -1
	s_mov_b32 s20, 0
                                        ; implicit-def: $sgpr17
                                        ; implicit-def: $vgpr20_vgpr21
.LBB120_577:                            ;   in Loop: Header=BB120_574 Depth=2
	v_add_co_u32 v22, vcc_lo, v71, s24
	s_mov_b32 s18, s25
	s_mov_b32 s19, s25
	v_add_co_ci_u32_e32 v23, vcc_lo, 0, v72, vcc_lo
	v_dual_mov_b32 v21, s19 :: v_dual_mov_b32 v20, s18
	s_mov_b32 s17, exec_lo
	v_cmpx_gt_u32_e64 s35, v70
	s_cbranch_execz .LBB120_680
; %bb.578:                              ;   in Loop: Header=BB120_574 Depth=2
	global_load_u8 v2, v[22:23], off
	s_waitcnt vmcnt(0)
	v_dual_mov_b32 v21, s25 :: v_dual_and_b32 v20, 0xffff, v2
	s_or_b32 exec_lo, exec_lo, s17
	s_delay_alu instid0(SALU_CYCLE_1)
	s_mov_b32 s17, exec_lo
	v_cmpx_gt_u32_e64 s35, v75
	s_cbranch_execnz .LBB120_681
.LBB120_579:                            ;   in Loop: Header=BB120_574 Depth=2
	s_or_b32 exec_lo, exec_lo, s17
	s_delay_alu instid0(SALU_CYCLE_1)
	s_mov_b32 s17, exec_lo
	v_cmpx_gt_u32_e64 s35, v76
	s_cbranch_execz .LBB120_682
.LBB120_580:                            ;   in Loop: Header=BB120_574 Depth=2
	global_load_u8 v2, v[22:23], off offset:64
	v_lshrrev_b32_e32 v24, 16, v20
	s_delay_alu instid0(VALU_DEP_1) | instskip(SKIP_1) | instid1(VALU_DEP_1)
	v_and_b32_e32 v24, 0xffffff00, v24
	s_waitcnt vmcnt(0)
	v_or_b32_e32 v2, v2, v24
	s_delay_alu instid0(VALU_DEP_1) | instskip(NEXT) | instid1(VALU_DEP_1)
	v_lshlrev_b32_e32 v2, 16, v2
	v_and_or_b32 v20, 0xffff, v20, v2
	s_or_b32 exec_lo, exec_lo, s17
	s_delay_alu instid0(SALU_CYCLE_1)
	s_mov_b32 s17, exec_lo
	v_cmpx_gt_u32_e64 s35, v77
	s_cbranch_execnz .LBB120_683
.LBB120_581:                            ;   in Loop: Header=BB120_574 Depth=2
	s_or_b32 exec_lo, exec_lo, s17
	s_delay_alu instid0(SALU_CYCLE_1)
	s_mov_b32 s17, exec_lo
	v_cmpx_gt_u32_e64 s35, v78
	s_cbranch_execz .LBB120_684
.LBB120_582:                            ;   in Loop: Header=BB120_574 Depth=2
	global_load_u8 v2, v[22:23], off offset:128
	s_waitcnt vmcnt(0)
	v_perm_b32 v21, v2, v21, 0x3020104
	s_or_b32 exec_lo, exec_lo, s17
	s_delay_alu instid0(SALU_CYCLE_1)
	s_mov_b32 s17, exec_lo
	v_cmpx_gt_u32_e64 s35, v79
	s_cbranch_execnz .LBB120_685
.LBB120_583:                            ;   in Loop: Header=BB120_574 Depth=2
	s_or_b32 exec_lo, exec_lo, s17
	s_delay_alu instid0(SALU_CYCLE_1)
	s_mov_b32 s17, exec_lo
	v_cmpx_gt_u32_e64 s35, v80
	s_cbranch_execz .LBB120_585
.LBB120_584:                            ;   in Loop: Header=BB120_574 Depth=2
	global_load_u8 v2, v[22:23], off offset:192
	s_waitcnt vmcnt(0)
	v_perm_b32 v21, v21, v2, 0x7000504
.LBB120_585:                            ;   in Loop: Header=BB120_574 Depth=2
	s_or_b32 exec_lo, exec_lo, s17
	v_cmp_gt_u32_e64 s20, s35, v81
	s_sub_i32 s17, s29, s24
	s_mov_b64 s[18:19], s[24:25]
.LBB120_586:                            ;   in Loop: Header=BB120_574 Depth=2
	v_mov_b32_e32 v2, s35
	s_delay_alu instid0(VALU_DEP_2)
	s_and_saveexec_b32 s21, s20
	s_cbranch_execz .LBB120_588
; %bb.587:                              ;   in Loop: Header=BB120_574 Depth=2
	v_add_co_u32 v22, vcc_lo, v83, s18
	v_add_co_ci_u32_e32 v23, vcc_lo, s19, v84, vcc_lo
	global_load_u8 v2, v[22:23], off
	s_waitcnt vmcnt(0)
	v_perm_b32 v21, v21, v2, 0x60504
	v_mov_b32_e32 v2, s17
.LBB120_588:                            ;   in Loop: Header=BB120_574 Depth=2
	s_or_b32 exec_lo, exec_lo, s21
	v_xor_b32_e32 v93, -1, v20
	ds_store_b32 v46, v3 offset:1056
	ds_store_2addr_b32 v47, v3, v3 offset0:1 offset1:2
	ds_store_2addr_b32 v47, v3, v3 offset0:3 offset1:4
	;; [unrolled: 1-line block ×4, first 2 shown]
	s_waitcnt lgkmcnt(0)
	s_barrier
	v_and_b32_e32 v22, 0xff, v93
	buffer_gl0_inv
	; wave barrier
	v_lshrrev_b32_e32 v22, s49, v22
	s_delay_alu instid0(VALU_DEP_1) | instskip(NEXT) | instid1(VALU_DEP_1)
	v_and_b32_e32 v23, s31, v22
	v_and_b32_e32 v22, 1, v23
	v_lshlrev_b32_e32 v24, 30, v23
	v_lshlrev_b32_e32 v25, 29, v23
	;; [unrolled: 1-line block ×4, first 2 shown]
	v_add_co_u32 v22, s17, v22, -1
	s_delay_alu instid0(VALU_DEP_1)
	v_cndmask_b32_e64 v27, 0, 1, s17
	v_not_b32_e32 v97, v24
	v_cmp_gt_i32_e64 s17, 0, v24
	v_not_b32_e32 v24, v25
	v_lshlrev_b32_e32 v95, 26, v23
	v_cmp_ne_u32_e32 vcc_lo, 0, v27
	v_ashrrev_i32_e32 v97, 31, v97
	v_lshlrev_b32_e32 v96, 25, v23
	v_ashrrev_i32_e32 v24, 31, v24
	v_lshlrev_b32_e32 v27, 24, v23
	v_xor_b32_e32 v22, vcc_lo, v22
	v_cmp_gt_i32_e32 vcc_lo, 0, v25
	v_not_b32_e32 v25, v26
	v_xor_b32_e32 v97, s17, v97
	v_cmp_gt_i32_e64 s17, 0, v26
	v_and_b32_e32 v22, exec_lo, v22
	v_not_b32_e32 v26, v94
	v_ashrrev_i32_e32 v25, 31, v25
	v_xor_b32_e32 v24, vcc_lo, v24
	v_cmp_gt_i32_e32 vcc_lo, 0, v94
	v_and_b32_e32 v22, v22, v97
	v_not_b32_e32 v94, v95
	v_ashrrev_i32_e32 v26, 31, v26
	v_xor_b32_e32 v25, s17, v25
	v_cmp_gt_i32_e64 s17, 0, v95
	v_and_b32_e32 v22, v22, v24
	v_not_b32_e32 v24, v96
	v_ashrrev_i32_e32 v94, 31, v94
	v_xor_b32_e32 v26, vcc_lo, v26
	v_cmp_gt_i32_e32 vcc_lo, 0, v96
	v_and_b32_e32 v22, v22, v25
	v_not_b32_e32 v25, v27
	v_ashrrev_i32_e32 v24, 31, v24
	v_xor_b32_e32 v94, s17, v94
	v_cmp_gt_i32_e64 s17, 0, v27
	v_and_b32_e32 v22, v22, v26
	v_ashrrev_i32_e32 v25, 31, v25
	v_xor_b32_e32 v24, vcc_lo, v24
	v_mad_u32_u24 v23, v23, 9, v82
	s_delay_alu instid0(VALU_DEP_4) | instskip(NEXT) | instid1(VALU_DEP_4)
	v_and_b32_e32 v22, v22, v94
	v_xor_b32_e32 v25, s17, v25
	s_delay_alu instid0(VALU_DEP_3) | instskip(NEXT) | instid1(VALU_DEP_3)
	v_lshl_add_u32 v96, v23, 2, 0x420
	v_and_b32_e32 v22, v22, v24
	s_delay_alu instid0(VALU_DEP_1) | instskip(NEXT) | instid1(VALU_DEP_1)
	v_and_b32_e32 v22, v22, v25
	v_mbcnt_lo_u32_b32 v94, v22, 0
	v_cmp_ne_u32_e64 s17, 0, v22
	s_delay_alu instid0(VALU_DEP_2) | instskip(NEXT) | instid1(VALU_DEP_2)
	v_cmp_eq_u32_e32 vcc_lo, 0, v94
	s_and_b32 s18, s17, vcc_lo
	s_delay_alu instid0(SALU_CYCLE_1)
	s_and_saveexec_b32 s17, s18
	s_cbranch_execz .LBB120_590
; %bb.589:                              ;   in Loop: Header=BB120_574 Depth=2
	v_bcnt_u32_b32 v22, v22, 0
	ds_store_b32 v96, v22
.LBB120_590:                            ;   in Loop: Header=BB120_574 Depth=2
	s_or_b32 exec_lo, exec_lo, s17
	v_lshrrev_b32_e32 v22, 8, v20
	; wave barrier
	s_delay_alu instid0(VALU_DEP_1) | instskip(NEXT) | instid1(VALU_DEP_1)
	v_xor_b32_e32 v95, -1, v22
	v_and_b32_e32 v22, 0xff, v95
	s_delay_alu instid0(VALU_DEP_1) | instskip(NEXT) | instid1(VALU_DEP_1)
	v_lshrrev_b32_e32 v22, s49, v22
	v_and_b32_e32 v22, s31, v22
	s_delay_alu instid0(VALU_DEP_1)
	v_and_b32_e32 v23, 1, v22
	v_lshlrev_b32_e32 v24, 30, v22
	v_lshlrev_b32_e32 v25, 29, v22
	;; [unrolled: 1-line block ×4, first 2 shown]
	v_add_co_u32 v23, s17, v23, -1
	s_delay_alu instid0(VALU_DEP_1)
	v_cndmask_b32_e64 v27, 0, 1, s17
	v_not_b32_e32 v100, v24
	v_cmp_gt_i32_e64 s17, 0, v24
	v_not_b32_e32 v24, v25
	v_lshlrev_b32_e32 v98, 26, v22
	v_cmp_ne_u32_e32 vcc_lo, 0, v27
	v_ashrrev_i32_e32 v100, 31, v100
	v_lshlrev_b32_e32 v99, 25, v22
	v_ashrrev_i32_e32 v24, 31, v24
	v_lshlrev_b32_e32 v27, 24, v22
	v_xor_b32_e32 v23, vcc_lo, v23
	v_cmp_gt_i32_e32 vcc_lo, 0, v25
	v_not_b32_e32 v25, v26
	v_xor_b32_e32 v100, s17, v100
	v_cmp_gt_i32_e64 s17, 0, v26
	v_and_b32_e32 v23, exec_lo, v23
	v_not_b32_e32 v26, v97
	v_ashrrev_i32_e32 v25, 31, v25
	v_xor_b32_e32 v24, vcc_lo, v24
	v_cmp_gt_i32_e32 vcc_lo, 0, v97
	v_and_b32_e32 v23, v23, v100
	v_not_b32_e32 v97, v98
	v_ashrrev_i32_e32 v26, 31, v26
	v_xor_b32_e32 v25, s17, v25
	v_cmp_gt_i32_e64 s17, 0, v98
	v_and_b32_e32 v23, v23, v24
	v_not_b32_e32 v24, v99
	v_ashrrev_i32_e32 v97, 31, v97
	v_xor_b32_e32 v26, vcc_lo, v26
	v_cmp_gt_i32_e32 vcc_lo, 0, v99
	v_and_b32_e32 v23, v23, v25
	v_not_b32_e32 v25, v27
	v_ashrrev_i32_e32 v24, 31, v24
	v_xor_b32_e32 v97, s17, v97
	v_mul_u32_u24_e32 v22, 9, v22
	v_and_b32_e32 v23, v23, v26
	v_cmp_gt_i32_e64 s17, 0, v27
	v_ashrrev_i32_e32 v25, 31, v25
	v_xor_b32_e32 v24, vcc_lo, v24
	v_add_lshl_u32 v26, v22, v82, 2
	v_and_b32_e32 v23, v23, v97
	s_delay_alu instid0(VALU_DEP_4) | instskip(SKIP_3) | instid1(VALU_DEP_2)
	v_xor_b32_e32 v22, s17, v25
	ds_load_b32 v97, v26 offset:1056
	v_and_b32_e32 v23, v23, v24
	v_add_nc_u32_e32 v100, 0x420, v26
	; wave barrier
	v_and_b32_e32 v22, v23, v22
	s_delay_alu instid0(VALU_DEP_1) | instskip(SKIP_1) | instid1(VALU_DEP_2)
	v_mbcnt_lo_u32_b32 v98, v22, 0
	v_cmp_ne_u32_e64 s17, 0, v22
	v_cmp_eq_u32_e32 vcc_lo, 0, v98
	s_delay_alu instid0(VALU_DEP_2) | instskip(NEXT) | instid1(SALU_CYCLE_1)
	s_and_b32 s18, s17, vcc_lo
	s_and_saveexec_b32 s17, s18
	s_cbranch_execz .LBB120_592
; %bb.591:                              ;   in Loop: Header=BB120_574 Depth=2
	s_waitcnt lgkmcnt(0)
	v_bcnt_u32_b32 v22, v22, v97
	ds_store_b32 v100, v22
.LBB120_592:                            ;   in Loop: Header=BB120_574 Depth=2
	s_or_b32 exec_lo, exec_lo, s17
	v_lshrrev_b32_e32 v22, 16, v20
	; wave barrier
	s_delay_alu instid0(VALU_DEP_1) | instskip(NEXT) | instid1(VALU_DEP_1)
	v_xor_b32_e32 v99, -1, v22
	v_and_b32_e32 v22, 0xff, v99
	s_delay_alu instid0(VALU_DEP_1) | instskip(NEXT) | instid1(VALU_DEP_1)
	v_lshrrev_b32_e32 v22, s49, v22
	v_and_b32_e32 v22, s31, v22
	s_delay_alu instid0(VALU_DEP_1)
	v_and_b32_e32 v23, 1, v22
	v_lshlrev_b32_e32 v24, 30, v22
	v_lshlrev_b32_e32 v25, 29, v22
	;; [unrolled: 1-line block ×4, first 2 shown]
	v_add_co_u32 v23, s17, v23, -1
	s_delay_alu instid0(VALU_DEP_1)
	v_cndmask_b32_e64 v27, 0, 1, s17
	v_not_b32_e32 v104, v24
	v_cmp_gt_i32_e64 s17, 0, v24
	v_not_b32_e32 v24, v25
	v_lshlrev_b32_e32 v102, 26, v22
	v_cmp_ne_u32_e32 vcc_lo, 0, v27
	v_ashrrev_i32_e32 v104, 31, v104
	v_lshlrev_b32_e32 v103, 25, v22
	v_ashrrev_i32_e32 v24, 31, v24
	v_lshlrev_b32_e32 v27, 24, v22
	v_xor_b32_e32 v23, vcc_lo, v23
	v_cmp_gt_i32_e32 vcc_lo, 0, v25
	v_not_b32_e32 v25, v26
	v_xor_b32_e32 v104, s17, v104
	v_cmp_gt_i32_e64 s17, 0, v26
	v_and_b32_e32 v23, exec_lo, v23
	v_not_b32_e32 v26, v101
	v_ashrrev_i32_e32 v25, 31, v25
	v_xor_b32_e32 v24, vcc_lo, v24
	v_cmp_gt_i32_e32 vcc_lo, 0, v101
	v_and_b32_e32 v23, v23, v104
	v_not_b32_e32 v101, v102
	v_ashrrev_i32_e32 v26, 31, v26
	v_xor_b32_e32 v25, s17, v25
	v_cmp_gt_i32_e64 s17, 0, v102
	v_and_b32_e32 v23, v23, v24
	v_not_b32_e32 v24, v103
	v_ashrrev_i32_e32 v101, 31, v101
	v_xor_b32_e32 v26, vcc_lo, v26
	v_cmp_gt_i32_e32 vcc_lo, 0, v103
	v_and_b32_e32 v23, v23, v25
	v_not_b32_e32 v25, v27
	v_ashrrev_i32_e32 v24, 31, v24
	v_xor_b32_e32 v101, s17, v101
	v_mul_u32_u24_e32 v22, 9, v22
	v_and_b32_e32 v23, v23, v26
	v_cmp_gt_i32_e64 s17, 0, v27
	v_ashrrev_i32_e32 v25, 31, v25
	v_xor_b32_e32 v24, vcc_lo, v24
	v_add_lshl_u32 v26, v22, v82, 2
	v_and_b32_e32 v23, v23, v101
	s_delay_alu instid0(VALU_DEP_4) | instskip(SKIP_3) | instid1(VALU_DEP_2)
	v_xor_b32_e32 v22, s17, v25
	ds_load_b32 v101, v26 offset:1056
	v_and_b32_e32 v23, v23, v24
	v_add_nc_u32_e32 v104, 0x420, v26
	; wave barrier
	v_and_b32_e32 v22, v23, v22
	s_delay_alu instid0(VALU_DEP_1) | instskip(SKIP_1) | instid1(VALU_DEP_2)
	v_mbcnt_lo_u32_b32 v102, v22, 0
	v_cmp_ne_u32_e64 s17, 0, v22
	v_cmp_eq_u32_e32 vcc_lo, 0, v102
	s_delay_alu instid0(VALU_DEP_2) | instskip(NEXT) | instid1(SALU_CYCLE_1)
	s_and_b32 s18, s17, vcc_lo
	s_and_saveexec_b32 s17, s18
	s_cbranch_execz .LBB120_594
; %bb.593:                              ;   in Loop: Header=BB120_574 Depth=2
	s_waitcnt lgkmcnt(0)
	v_bcnt_u32_b32 v22, v22, v101
	ds_store_b32 v104, v22
.LBB120_594:                            ;   in Loop: Header=BB120_574 Depth=2
	s_or_b32 exec_lo, exec_lo, s17
	v_lshrrev_b64 v[22:23], 24, v[20:21]
	; wave barrier
	s_delay_alu instid0(VALU_DEP_1) | instskip(NEXT) | instid1(VALU_DEP_1)
	v_xor_b32_e32 v103, -1, v22
	v_and_b32_e32 v20, 0xff, v103
	s_delay_alu instid0(VALU_DEP_1) | instskip(NEXT) | instid1(VALU_DEP_1)
	v_lshrrev_b32_e32 v20, s49, v20
	v_and_b32_e32 v20, s31, v20
	s_delay_alu instid0(VALU_DEP_1)
	v_and_b32_e32 v22, 1, v20
	v_lshlrev_b32_e32 v23, 30, v20
	v_lshlrev_b32_e32 v24, 29, v20
	;; [unrolled: 1-line block ×4, first 2 shown]
	v_add_co_u32 v22, s17, v22, -1
	s_delay_alu instid0(VALU_DEP_1)
	v_cndmask_b32_e64 v26, 0, 1, s17
	v_not_b32_e32 v107, v23
	v_cmp_gt_i32_e64 s17, 0, v23
	v_not_b32_e32 v23, v24
	v_lshlrev_b32_e32 v105, 26, v20
	v_cmp_ne_u32_e32 vcc_lo, 0, v26
	v_ashrrev_i32_e32 v107, 31, v107
	v_lshlrev_b32_e32 v106, 25, v20
	v_ashrrev_i32_e32 v23, 31, v23
	v_lshlrev_b32_e32 v26, 24, v20
	v_xor_b32_e32 v22, vcc_lo, v22
	v_cmp_gt_i32_e32 vcc_lo, 0, v24
	v_not_b32_e32 v24, v25
	v_xor_b32_e32 v107, s17, v107
	v_cmp_gt_i32_e64 s17, 0, v25
	v_and_b32_e32 v22, exec_lo, v22
	v_not_b32_e32 v25, v27
	v_ashrrev_i32_e32 v24, 31, v24
	v_xor_b32_e32 v23, vcc_lo, v23
	v_cmp_gt_i32_e32 vcc_lo, 0, v27
	v_and_b32_e32 v22, v22, v107
	v_not_b32_e32 v27, v105
	v_ashrrev_i32_e32 v25, 31, v25
	v_xor_b32_e32 v24, s17, v24
	v_cmp_gt_i32_e64 s17, 0, v105
	v_and_b32_e32 v22, v22, v23
	v_not_b32_e32 v23, v106
	v_ashrrev_i32_e32 v27, 31, v27
	v_xor_b32_e32 v25, vcc_lo, v25
	v_cmp_gt_i32_e32 vcc_lo, 0, v106
	v_and_b32_e32 v22, v22, v24
	v_not_b32_e32 v24, v26
	v_ashrrev_i32_e32 v23, 31, v23
	v_xor_b32_e32 v27, s17, v27
	v_mul_u32_u24_e32 v20, 9, v20
	v_and_b32_e32 v22, v22, v25
	v_cmp_gt_i32_e64 s17, 0, v26
	v_ashrrev_i32_e32 v24, 31, v24
	v_xor_b32_e32 v23, vcc_lo, v23
	v_add_lshl_u32 v25, v20, v82, 2
	v_and_b32_e32 v22, v22, v27
	s_delay_alu instid0(VALU_DEP_4) | instskip(SKIP_3) | instid1(VALU_DEP_2)
	v_xor_b32_e32 v20, s17, v24
	ds_load_b32 v105, v25 offset:1056
	v_and_b32_e32 v22, v22, v23
	v_add_nc_u32_e32 v108, 0x420, v25
	; wave barrier
	v_and_b32_e32 v20, v22, v20
	s_delay_alu instid0(VALU_DEP_1) | instskip(SKIP_1) | instid1(VALU_DEP_2)
	v_mbcnt_lo_u32_b32 v106, v20, 0
	v_cmp_ne_u32_e64 s17, 0, v20
	v_cmp_eq_u32_e32 vcc_lo, 0, v106
	s_delay_alu instid0(VALU_DEP_2) | instskip(NEXT) | instid1(SALU_CYCLE_1)
	s_and_b32 s18, s17, vcc_lo
	s_and_saveexec_b32 s17, s18
	s_cbranch_execz .LBB120_596
; %bb.595:                              ;   in Loop: Header=BB120_574 Depth=2
	s_waitcnt lgkmcnt(0)
	v_bcnt_u32_b32 v20, v20, v105
	ds_store_b32 v108, v20
.LBB120_596:                            ;   in Loop: Header=BB120_574 Depth=2
	s_or_b32 exec_lo, exec_lo, s17
	v_xor_b32_e32 v107, -1, v21
	; wave barrier
	s_delay_alu instid0(VALU_DEP_1) | instskip(NEXT) | instid1(VALU_DEP_1)
	v_and_b32_e32 v20, 0xff, v107
	v_lshrrev_b32_e32 v20, s49, v20
	s_delay_alu instid0(VALU_DEP_1) | instskip(NEXT) | instid1(VALU_DEP_1)
	v_and_b32_e32 v20, s31, v20
	v_and_b32_e32 v22, 1, v20
	v_lshlrev_b32_e32 v23, 30, v20
	v_lshlrev_b32_e32 v24, 29, v20
	;; [unrolled: 1-line block ×4, first 2 shown]
	v_add_co_u32 v22, s17, v22, -1
	s_delay_alu instid0(VALU_DEP_1)
	v_cndmask_b32_e64 v26, 0, 1, s17
	v_not_b32_e32 v111, v23
	v_cmp_gt_i32_e64 s17, 0, v23
	v_not_b32_e32 v23, v24
	v_lshlrev_b32_e32 v109, 26, v20
	v_cmp_ne_u32_e32 vcc_lo, 0, v26
	v_ashrrev_i32_e32 v111, 31, v111
	v_lshlrev_b32_e32 v110, 25, v20
	v_ashrrev_i32_e32 v23, 31, v23
	v_lshlrev_b32_e32 v26, 24, v20
	v_xor_b32_e32 v22, vcc_lo, v22
	v_cmp_gt_i32_e32 vcc_lo, 0, v24
	v_not_b32_e32 v24, v25
	v_xor_b32_e32 v111, s17, v111
	v_cmp_gt_i32_e64 s17, 0, v25
	v_and_b32_e32 v22, exec_lo, v22
	v_not_b32_e32 v25, v27
	v_ashrrev_i32_e32 v24, 31, v24
	v_xor_b32_e32 v23, vcc_lo, v23
	v_cmp_gt_i32_e32 vcc_lo, 0, v27
	v_and_b32_e32 v22, v22, v111
	v_not_b32_e32 v27, v109
	v_ashrrev_i32_e32 v25, 31, v25
	v_xor_b32_e32 v24, s17, v24
	v_cmp_gt_i32_e64 s17, 0, v109
	v_and_b32_e32 v22, v22, v23
	v_not_b32_e32 v23, v110
	v_ashrrev_i32_e32 v27, 31, v27
	v_xor_b32_e32 v25, vcc_lo, v25
	v_cmp_gt_i32_e32 vcc_lo, 0, v110
	v_and_b32_e32 v22, v22, v24
	v_not_b32_e32 v24, v26
	v_ashrrev_i32_e32 v23, 31, v23
	v_xor_b32_e32 v27, s17, v27
	v_mul_u32_u24_e32 v20, 9, v20
	v_and_b32_e32 v22, v22, v25
	v_cmp_gt_i32_e64 s17, 0, v26
	v_ashrrev_i32_e32 v24, 31, v24
	v_xor_b32_e32 v23, vcc_lo, v23
	v_add_lshl_u32 v25, v20, v82, 2
	v_and_b32_e32 v22, v22, v27
	s_delay_alu instid0(VALU_DEP_4) | instskip(SKIP_3) | instid1(VALU_DEP_2)
	v_xor_b32_e32 v20, s17, v24
	ds_load_b32 v109, v25 offset:1056
	v_and_b32_e32 v22, v22, v23
	v_add_nc_u32_e32 v112, 0x420, v25
	; wave barrier
	v_and_b32_e32 v20, v22, v20
	s_delay_alu instid0(VALU_DEP_1) | instskip(SKIP_1) | instid1(VALU_DEP_2)
	v_mbcnt_lo_u32_b32 v110, v20, 0
	v_cmp_ne_u32_e64 s17, 0, v20
	v_cmp_eq_u32_e32 vcc_lo, 0, v110
	s_delay_alu instid0(VALU_DEP_2) | instskip(NEXT) | instid1(SALU_CYCLE_1)
	s_and_b32 s18, s17, vcc_lo
	s_and_saveexec_b32 s17, s18
	s_cbranch_execz .LBB120_598
; %bb.597:                              ;   in Loop: Header=BB120_574 Depth=2
	s_waitcnt lgkmcnt(0)
	v_bcnt_u32_b32 v20, v20, v109
	ds_store_b32 v112, v20
.LBB120_598:                            ;   in Loop: Header=BB120_574 Depth=2
	s_or_b32 exec_lo, exec_lo, s17
	v_lshrrev_b32_e32 v20, 8, v21
	; wave barrier
	s_delay_alu instid0(VALU_DEP_1) | instskip(NEXT) | instid1(VALU_DEP_1)
	v_xor_b32_e32 v111, -1, v20
	v_and_b32_e32 v20, 0xff, v111
	s_delay_alu instid0(VALU_DEP_1) | instskip(NEXT) | instid1(VALU_DEP_1)
	v_lshrrev_b32_e32 v20, s49, v20
	v_and_b32_e32 v20, s31, v20
	s_delay_alu instid0(VALU_DEP_1)
	v_and_b32_e32 v22, 1, v20
	v_lshlrev_b32_e32 v23, 30, v20
	v_lshlrev_b32_e32 v24, 29, v20
	;; [unrolled: 1-line block ×4, first 2 shown]
	v_add_co_u32 v22, s17, v22, -1
	s_delay_alu instid0(VALU_DEP_1)
	v_cndmask_b32_e64 v26, 0, 1, s17
	v_not_b32_e32 v115, v23
	v_cmp_gt_i32_e64 s17, 0, v23
	v_not_b32_e32 v23, v24
	v_lshlrev_b32_e32 v113, 26, v20
	v_cmp_ne_u32_e32 vcc_lo, 0, v26
	v_ashrrev_i32_e32 v115, 31, v115
	v_lshlrev_b32_e32 v114, 25, v20
	v_ashrrev_i32_e32 v23, 31, v23
	v_lshlrev_b32_e32 v26, 24, v20
	v_xor_b32_e32 v22, vcc_lo, v22
	v_cmp_gt_i32_e32 vcc_lo, 0, v24
	v_not_b32_e32 v24, v25
	v_xor_b32_e32 v115, s17, v115
	v_cmp_gt_i32_e64 s17, 0, v25
	v_and_b32_e32 v22, exec_lo, v22
	v_not_b32_e32 v25, v27
	v_ashrrev_i32_e32 v24, 31, v24
	v_xor_b32_e32 v23, vcc_lo, v23
	v_cmp_gt_i32_e32 vcc_lo, 0, v27
	v_and_b32_e32 v22, v22, v115
	v_not_b32_e32 v27, v113
	v_ashrrev_i32_e32 v25, 31, v25
	v_xor_b32_e32 v24, s17, v24
	v_cmp_gt_i32_e64 s17, 0, v113
	v_and_b32_e32 v22, v22, v23
	v_not_b32_e32 v23, v114
	v_ashrrev_i32_e32 v27, 31, v27
	v_xor_b32_e32 v25, vcc_lo, v25
	v_cmp_gt_i32_e32 vcc_lo, 0, v114
	v_and_b32_e32 v22, v22, v24
	v_not_b32_e32 v24, v26
	v_ashrrev_i32_e32 v23, 31, v23
	v_xor_b32_e32 v27, s17, v27
	v_mul_u32_u24_e32 v20, 9, v20
	v_and_b32_e32 v22, v22, v25
	v_cmp_gt_i32_e64 s17, 0, v26
	v_ashrrev_i32_e32 v24, 31, v24
	v_xor_b32_e32 v23, vcc_lo, v23
	v_add_lshl_u32 v25, v20, v82, 2
	v_and_b32_e32 v22, v22, v27
	s_delay_alu instid0(VALU_DEP_4) | instskip(SKIP_3) | instid1(VALU_DEP_2)
	v_xor_b32_e32 v20, s17, v24
	ds_load_b32 v113, v25 offset:1056
	v_and_b32_e32 v22, v22, v23
	v_add_nc_u32_e32 v116, 0x420, v25
	; wave barrier
	v_and_b32_e32 v20, v22, v20
	s_delay_alu instid0(VALU_DEP_1) | instskip(SKIP_1) | instid1(VALU_DEP_2)
	v_mbcnt_lo_u32_b32 v114, v20, 0
	v_cmp_ne_u32_e64 s17, 0, v20
	v_cmp_eq_u32_e32 vcc_lo, 0, v114
	s_delay_alu instid0(VALU_DEP_2) | instskip(NEXT) | instid1(SALU_CYCLE_1)
	s_and_b32 s18, s17, vcc_lo
	s_and_saveexec_b32 s17, s18
	s_cbranch_execz .LBB120_600
; %bb.599:                              ;   in Loop: Header=BB120_574 Depth=2
	s_waitcnt lgkmcnt(0)
	v_bcnt_u32_b32 v20, v20, v113
	ds_store_b32 v116, v20
.LBB120_600:                            ;   in Loop: Header=BB120_574 Depth=2
	s_or_b32 exec_lo, exec_lo, s17
	v_lshrrev_b32_e32 v20, 16, v21
	; wave barrier
	s_delay_alu instid0(VALU_DEP_1) | instskip(NEXT) | instid1(VALU_DEP_1)
	v_xor_b32_e32 v115, -1, v20
	v_and_b32_e32 v20, 0xff, v115
	s_delay_alu instid0(VALU_DEP_1) | instskip(NEXT) | instid1(VALU_DEP_1)
	v_lshrrev_b32_e32 v20, s49, v20
	v_and_b32_e32 v20, s31, v20
	s_delay_alu instid0(VALU_DEP_1)
	v_and_b32_e32 v22, 1, v20
	v_lshlrev_b32_e32 v23, 30, v20
	v_lshlrev_b32_e32 v24, 29, v20
	v_lshlrev_b32_e32 v25, 28, v20
	v_lshlrev_b32_e32 v27, 27, v20
	v_add_co_u32 v22, s17, v22, -1
	s_delay_alu instid0(VALU_DEP_1)
	v_cndmask_b32_e64 v26, 0, 1, s17
	v_not_b32_e32 v119, v23
	v_cmp_gt_i32_e64 s17, 0, v23
	v_not_b32_e32 v23, v24
	v_lshlrev_b32_e32 v117, 26, v20
	v_cmp_ne_u32_e32 vcc_lo, 0, v26
	v_ashrrev_i32_e32 v119, 31, v119
	v_lshlrev_b32_e32 v118, 25, v20
	v_ashrrev_i32_e32 v23, 31, v23
	v_lshlrev_b32_e32 v26, 24, v20
	v_xor_b32_e32 v22, vcc_lo, v22
	v_cmp_gt_i32_e32 vcc_lo, 0, v24
	v_not_b32_e32 v24, v25
	v_xor_b32_e32 v119, s17, v119
	v_cmp_gt_i32_e64 s17, 0, v25
	v_and_b32_e32 v22, exec_lo, v22
	v_not_b32_e32 v25, v27
	v_ashrrev_i32_e32 v24, 31, v24
	v_xor_b32_e32 v23, vcc_lo, v23
	v_cmp_gt_i32_e32 vcc_lo, 0, v27
	v_and_b32_e32 v22, v22, v119
	v_not_b32_e32 v27, v117
	v_ashrrev_i32_e32 v25, 31, v25
	v_xor_b32_e32 v24, s17, v24
	v_cmp_gt_i32_e64 s17, 0, v117
	v_and_b32_e32 v22, v22, v23
	v_not_b32_e32 v23, v118
	v_ashrrev_i32_e32 v27, 31, v27
	v_xor_b32_e32 v25, vcc_lo, v25
	v_cmp_gt_i32_e32 vcc_lo, 0, v118
	v_and_b32_e32 v22, v22, v24
	v_not_b32_e32 v24, v26
	v_ashrrev_i32_e32 v23, 31, v23
	v_xor_b32_e32 v27, s17, v27
	v_mul_u32_u24_e32 v20, 9, v20
	v_and_b32_e32 v22, v22, v25
	v_cmp_gt_i32_e64 s17, 0, v26
	v_ashrrev_i32_e32 v24, 31, v24
	v_xor_b32_e32 v23, vcc_lo, v23
	v_add_lshl_u32 v25, v20, v82, 2
	v_and_b32_e32 v22, v22, v27
	s_delay_alu instid0(VALU_DEP_4) | instskip(SKIP_3) | instid1(VALU_DEP_2)
	v_xor_b32_e32 v20, s17, v24
	ds_load_b32 v117, v25 offset:1056
	v_and_b32_e32 v22, v22, v23
	v_add_nc_u32_e32 v120, 0x420, v25
	; wave barrier
	v_and_b32_e32 v20, v22, v20
	s_delay_alu instid0(VALU_DEP_1) | instskip(SKIP_1) | instid1(VALU_DEP_2)
	v_mbcnt_lo_u32_b32 v118, v20, 0
	v_cmp_ne_u32_e64 s17, 0, v20
	v_cmp_eq_u32_e32 vcc_lo, 0, v118
	s_delay_alu instid0(VALU_DEP_2) | instskip(NEXT) | instid1(SALU_CYCLE_1)
	s_and_b32 s18, s17, vcc_lo
	s_and_saveexec_b32 s17, s18
	s_cbranch_execz .LBB120_602
; %bb.601:                              ;   in Loop: Header=BB120_574 Depth=2
	s_waitcnt lgkmcnt(0)
	v_bcnt_u32_b32 v20, v20, v117
	ds_store_b32 v120, v20
.LBB120_602:                            ;   in Loop: Header=BB120_574 Depth=2
	s_or_b32 exec_lo, exec_lo, s17
	v_lshrrev_b32_e32 v20, 24, v21
	; wave barrier
	s_delay_alu instid0(VALU_DEP_1) | instskip(NEXT) | instid1(VALU_DEP_1)
	v_xor_b32_e32 v119, -1, v20
	v_and_b32_e32 v20, 0xff, v119
	s_delay_alu instid0(VALU_DEP_1) | instskip(NEXT) | instid1(VALU_DEP_1)
	v_lshrrev_b32_e32 v20, s49, v20
	v_and_b32_e32 v20, s31, v20
	s_delay_alu instid0(VALU_DEP_1)
	v_and_b32_e32 v21, 1, v20
	v_lshlrev_b32_e32 v22, 30, v20
	v_lshlrev_b32_e32 v23, 29, v20
	;; [unrolled: 1-line block ×4, first 2 shown]
	v_add_co_u32 v21, s17, v21, -1
	s_delay_alu instid0(VALU_DEP_1)
	v_cndmask_b32_e64 v25, 0, 1, s17
	v_not_b32_e32 v122, v22
	v_cmp_gt_i32_e64 s17, 0, v22
	v_not_b32_e32 v22, v23
	v_lshlrev_b32_e32 v27, 26, v20
	v_cmp_ne_u32_e32 vcc_lo, 0, v25
	v_ashrrev_i32_e32 v122, 31, v122
	v_lshlrev_b32_e32 v121, 25, v20
	v_ashrrev_i32_e32 v22, 31, v22
	v_lshlrev_b32_e32 v25, 24, v20
	v_xor_b32_e32 v21, vcc_lo, v21
	v_cmp_gt_i32_e32 vcc_lo, 0, v23
	v_not_b32_e32 v23, v24
	v_xor_b32_e32 v122, s17, v122
	v_cmp_gt_i32_e64 s17, 0, v24
	v_and_b32_e32 v21, exec_lo, v21
	v_not_b32_e32 v24, v26
	v_ashrrev_i32_e32 v23, 31, v23
	v_xor_b32_e32 v22, vcc_lo, v22
	v_cmp_gt_i32_e32 vcc_lo, 0, v26
	v_and_b32_e32 v21, v21, v122
	v_not_b32_e32 v26, v27
	v_ashrrev_i32_e32 v24, 31, v24
	v_xor_b32_e32 v23, s17, v23
	v_cmp_gt_i32_e64 s17, 0, v27
	v_and_b32_e32 v21, v21, v22
	v_not_b32_e32 v22, v121
	v_ashrrev_i32_e32 v26, 31, v26
	v_xor_b32_e32 v24, vcc_lo, v24
	v_cmp_gt_i32_e32 vcc_lo, 0, v121
	v_and_b32_e32 v21, v21, v23
	v_not_b32_e32 v23, v25
	v_ashrrev_i32_e32 v22, 31, v22
	v_xor_b32_e32 v26, s17, v26
	v_mul_u32_u24_e32 v20, 9, v20
	v_and_b32_e32 v21, v21, v24
	v_cmp_gt_i32_e64 s17, 0, v25
	v_ashrrev_i32_e32 v23, 31, v23
	v_xor_b32_e32 v22, vcc_lo, v22
	v_add_lshl_u32 v24, v20, v82, 2
	v_and_b32_e32 v21, v21, v26
	s_delay_alu instid0(VALU_DEP_4) | instskip(SKIP_3) | instid1(VALU_DEP_2)
	v_xor_b32_e32 v20, s17, v23
	ds_load_b32 v121, v24 offset:1056
	v_and_b32_e32 v21, v21, v22
	v_add_nc_u32_e32 v123, 0x420, v24
	; wave barrier
	v_and_b32_e32 v20, v21, v20
	s_delay_alu instid0(VALU_DEP_1) | instskip(SKIP_1) | instid1(VALU_DEP_2)
	v_mbcnt_lo_u32_b32 v122, v20, 0
	v_cmp_ne_u32_e64 s17, 0, v20
	v_cmp_eq_u32_e32 vcc_lo, 0, v122
	s_delay_alu instid0(VALU_DEP_2) | instskip(NEXT) | instid1(SALU_CYCLE_1)
	s_and_b32 s18, s17, vcc_lo
	s_and_saveexec_b32 s17, s18
	s_cbranch_execz .LBB120_604
; %bb.603:                              ;   in Loop: Header=BB120_574 Depth=2
	s_waitcnt lgkmcnt(0)
	v_bcnt_u32_b32 v20, v20, v121
	ds_store_b32 v123, v20
.LBB120_604:                            ;   in Loop: Header=BB120_574 Depth=2
	s_or_b32 exec_lo, exec_lo, s17
	; wave barrier
	s_waitcnt lgkmcnt(0)
	s_barrier
	buffer_gl0_inv
	ds_load_b32 v124, v46 offset:1056
	ds_load_2addr_b32 v[26:27], v47 offset0:1 offset1:2
	ds_load_2addr_b32 v[24:25], v47 offset0:3 offset1:4
	;; [unrolled: 1-line block ×4, first 2 shown]
	s_waitcnt lgkmcnt(3)
	v_add3_u32 v125, v26, v124, v27
	s_waitcnt lgkmcnt(2)
	s_delay_alu instid0(VALU_DEP_1) | instskip(SKIP_1) | instid1(VALU_DEP_1)
	v_add3_u32 v125, v125, v24, v25
	s_waitcnt lgkmcnt(1)
	v_add3_u32 v125, v125, v20, v21
	s_waitcnt lgkmcnt(0)
	s_delay_alu instid0(VALU_DEP_1) | instskip(NEXT) | instid1(VALU_DEP_1)
	v_add3_u32 v23, v125, v22, v23
	v_mov_b32_dpp v125, v23 row_shr:1 row_mask:0xf bank_mask:0xf
	s_delay_alu instid0(VALU_DEP_1) | instskip(NEXT) | instid1(VALU_DEP_1)
	v_cndmask_b32_e64 v125, v125, 0, s0
	v_add_nc_u32_e32 v23, v125, v23
	s_delay_alu instid0(VALU_DEP_1) | instskip(NEXT) | instid1(VALU_DEP_1)
	v_mov_b32_dpp v125, v23 row_shr:2 row_mask:0xf bank_mask:0xf
	v_cndmask_b32_e64 v125, 0, v125, s1
	s_delay_alu instid0(VALU_DEP_1) | instskip(NEXT) | instid1(VALU_DEP_1)
	v_add_nc_u32_e32 v23, v23, v125
	v_mov_b32_dpp v125, v23 row_shr:4 row_mask:0xf bank_mask:0xf
	s_delay_alu instid0(VALU_DEP_1) | instskip(NEXT) | instid1(VALU_DEP_1)
	v_cndmask_b32_e64 v125, 0, v125, s8
	v_add_nc_u32_e32 v23, v23, v125
	s_delay_alu instid0(VALU_DEP_1) | instskip(NEXT) | instid1(VALU_DEP_1)
	v_mov_b32_dpp v125, v23 row_shr:8 row_mask:0xf bank_mask:0xf
	v_cndmask_b32_e64 v125, 0, v125, s9
	s_delay_alu instid0(VALU_DEP_1) | instskip(SKIP_3) | instid1(VALU_DEP_1)
	v_add_nc_u32_e32 v23, v23, v125
	ds_swizzle_b32 v125, v23 offset:swizzle(BROADCAST,32,15)
	s_waitcnt lgkmcnt(0)
	v_cndmask_b32_e64 v125, v125, 0, s10
	v_add_nc_u32_e32 v23, v23, v125
	s_and_saveexec_b32 s17, s3
	s_cbranch_execz .LBB120_606
; %bb.605:                              ;   in Loop: Header=BB120_574 Depth=2
	ds_store_b32 v38, v23 offset:1024
.LBB120_606:                            ;   in Loop: Header=BB120_574 Depth=2
	s_or_b32 exec_lo, exec_lo, s17
	s_waitcnt lgkmcnt(0)
	s_barrier
	buffer_gl0_inv
	s_and_saveexec_b32 s17, s4
	s_cbranch_execz .LBB120_608
; %bb.607:                              ;   in Loop: Header=BB120_574 Depth=2
	v_add_nc_u32_e32 v125, v46, v48
	ds_load_b32 v126, v125 offset:1024
	s_waitcnt lgkmcnt(0)
	v_mov_b32_dpp v127, v126 row_shr:1 row_mask:0xf bank_mask:0xf
	s_delay_alu instid0(VALU_DEP_1) | instskip(NEXT) | instid1(VALU_DEP_1)
	v_cndmask_b32_e64 v127, v127, 0, s12
	v_add_nc_u32_e32 v126, v127, v126
	s_delay_alu instid0(VALU_DEP_1) | instskip(NEXT) | instid1(VALU_DEP_1)
	v_mov_b32_dpp v127, v126 row_shr:2 row_mask:0xf bank_mask:0xf
	v_cndmask_b32_e64 v127, 0, v127, s13
	s_delay_alu instid0(VALU_DEP_1) | instskip(NEXT) | instid1(VALU_DEP_1)
	v_add_nc_u32_e32 v126, v126, v127
	v_mov_b32_dpp v127, v126 row_shr:4 row_mask:0xf bank_mask:0xf
	s_delay_alu instid0(VALU_DEP_1) | instskip(NEXT) | instid1(VALU_DEP_1)
	v_cndmask_b32_e64 v127, 0, v127, s16
	v_add_nc_u32_e32 v126, v126, v127
	ds_store_b32 v125, v126 offset:1024
.LBB120_608:                            ;   in Loop: Header=BB120_574 Depth=2
	s_or_b32 exec_lo, exec_lo, s17
	v_mov_b32_e32 v125, 0
	s_waitcnt lgkmcnt(0)
	s_barrier
	buffer_gl0_inv
	s_and_saveexec_b32 s17, s5
	s_cbranch_execz .LBB120_610
; %bb.609:                              ;   in Loop: Header=BB120_574 Depth=2
	ds_load_b32 v125, v38 offset:1020
.LBB120_610:                            ;   in Loop: Header=BB120_574 Depth=2
	s_or_b32 exec_lo, exec_lo, s17
	s_waitcnt lgkmcnt(0)
	v_add_nc_u32_e32 v23, v125, v23
	ds_bpermute_b32 v23, v69, v23
	s_waitcnt lgkmcnt(0)
	v_cndmask_b32_e64 v23, v23, v125, s11
	s_delay_alu instid0(VALU_DEP_1) | instskip(NEXT) | instid1(VALU_DEP_1)
	v_cndmask_b32_e64 v23, v23, 0, s6
	v_add_nc_u32_e32 v124, v23, v124
	s_delay_alu instid0(VALU_DEP_1) | instskip(NEXT) | instid1(VALU_DEP_1)
	v_add_nc_u32_e32 v26, v124, v26
	v_add_nc_u32_e32 v27, v26, v27
	s_delay_alu instid0(VALU_DEP_1) | instskip(NEXT) | instid1(VALU_DEP_1)
	v_add_nc_u32_e32 v24, v27, v24
	;; [unrolled: 3-line block ×3, first 2 shown]
	v_add_nc_u32_e32 v21, v20, v21
	s_delay_alu instid0(VALU_DEP_1)
	v_add_nc_u32_e32 v22, v21, v22
	ds_store_b32 v46, v23 offset:1056
	ds_store_2addr_b32 v47, v124, v26 offset0:1 offset1:2
	ds_store_2addr_b32 v47, v27, v24 offset0:3 offset1:4
	;; [unrolled: 1-line block ×4, first 2 shown]
	v_mov_b32_e32 v22, 0x800
	s_waitcnt lgkmcnt(0)
	s_barrier
	buffer_gl0_inv
	ds_load_b32 v20, v100
	ds_load_b32 v21, v104
	;; [unrolled: 1-line block ×8, first 2 shown]
	ds_load_b32 v27, v46 offset:1056
	s_and_saveexec_b32 s17, s7
	s_cbranch_execz .LBB120_612
; %bb.611:                              ;   in Loop: Header=BB120_574 Depth=2
	ds_load_b32 v22, v49 offset:1056
.LBB120_612:                            ;   in Loop: Header=BB120_574 Depth=2
	s_or_b32 exec_lo, exec_lo, s17
	s_waitcnt lgkmcnt(0)
	s_barrier
	buffer_gl0_inv
	s_and_saveexec_b32 s17, s2
	s_cbranch_execz .LBB120_614
; %bb.613:                              ;   in Loop: Header=BB120_574 Depth=2
	ds_load_b32 v96, v28
	s_waitcnt lgkmcnt(0)
	v_sub_nc_u32_e32 v27, v96, v27
	ds_store_b32 v28, v27
.LBB120_614:                            ;   in Loop: Header=BB120_574 Depth=2
	s_or_b32 exec_lo, exec_lo, s17
	v_add_nc_u32_e32 v100, v26, v94
	v_add3_u32 v96, v98, v97, v20
	v_add3_u32 v94, v102, v101, v21
	;; [unrolled: 1-line block ×7, first 2 shown]
	v_cmp_lt_u32_e64 s23, v1, v2
	ds_store_b8 v100, v93 offset:1024
	ds_store_b8 v96, v95 offset:1024
	ds_store_b8 v94, v99 offset:1024
	ds_store_b8 v27, v103 offset:1024
	ds_store_b8 v26, v107 offset:1024
	ds_store_b8 v25, v111 offset:1024
	ds_store_b8 v24, v115 offset:1024
	ds_store_b8 v23, v119 offset:1024
	s_waitcnt lgkmcnt(0)
	s_barrier
	buffer_gl0_inv
	s_and_saveexec_b32 s17, s23
	s_cbranch_execz .LBB120_622
; %bb.615:                              ;   in Loop: Header=BB120_574 Depth=2
	ds_load_u8 v20, v1 offset:1024
	s_waitcnt lgkmcnt(0)
	v_and_b32_e32 v21, 0xff, v20
	v_xor_b32_e32 v20, -1, v20
	s_delay_alu instid0(VALU_DEP_2) | instskip(NEXT) | instid1(VALU_DEP_1)
	v_lshrrev_b32_e32 v21, s49, v21
	v_and_b32_e32 v21, s31, v21
	s_delay_alu instid0(VALU_DEP_1)
	v_lshlrev_b32_e32 v21, 2, v21
	ds_load_b32 v21, v21
	s_waitcnt lgkmcnt(0)
	v_add_nc_u32_e32 v21, v21, v1
	global_store_b8 v21, v20, s[40:41]
	s_or_b32 exec_lo, exec_lo, s17
	v_cmp_lt_u32_e64 s22, v29, v2
	s_delay_alu instid0(VALU_DEP_1)
	s_and_saveexec_b32 s17, s22
	s_cbranch_execnz .LBB120_623
.LBB120_616:                            ;   in Loop: Header=BB120_574 Depth=2
	s_or_b32 exec_lo, exec_lo, s17
	v_cmp_lt_u32_e64 s21, v30, v2
	s_delay_alu instid0(VALU_DEP_1)
	s_and_saveexec_b32 s17, s21
	s_cbranch_execz .LBB120_624
.LBB120_617:                            ;   in Loop: Header=BB120_574 Depth=2
	ds_load_u8 v20, v35 offset:512
	s_waitcnt lgkmcnt(0)
	v_and_b32_e32 v21, 0xff, v20
	v_xor_b32_e32 v20, -1, v20
	s_delay_alu instid0(VALU_DEP_2) | instskip(NEXT) | instid1(VALU_DEP_1)
	v_lshrrev_b32_e32 v21, s49, v21
	v_and_b32_e32 v21, s31, v21
	s_delay_alu instid0(VALU_DEP_1)
	v_lshlrev_b32_e32 v21, 2, v21
	ds_load_b32 v21, v21
	s_waitcnt lgkmcnt(0)
	v_add_nc_u32_e32 v21, v21, v30
	global_store_b8 v21, v20, s[40:41]
	s_or_b32 exec_lo, exec_lo, s17
	v_cmp_lt_u32_e64 s20, v31, v2
	s_delay_alu instid0(VALU_DEP_1)
	s_and_saveexec_b32 s17, s20
	s_cbranch_execnz .LBB120_625
.LBB120_618:                            ;   in Loop: Header=BB120_574 Depth=2
	s_or_b32 exec_lo, exec_lo, s17
	v_cmp_lt_u32_e64 s19, v35, v2
	s_delay_alu instid0(VALU_DEP_1)
	s_and_saveexec_b32 s17, s19
	s_cbranch_execz .LBB120_626
.LBB120_619:                            ;   in Loop: Header=BB120_574 Depth=2
	ds_load_u8 v20, v35 offset:1024
	s_waitcnt lgkmcnt(0)
	v_and_b32_e32 v21, 0xff, v20
	v_xor_b32_e32 v20, -1, v20
	s_delay_alu instid0(VALU_DEP_2) | instskip(NEXT) | instid1(VALU_DEP_1)
	v_lshrrev_b32_e32 v21, s49, v21
	v_and_b32_e32 v21, s31, v21
	s_delay_alu instid0(VALU_DEP_1)
	v_lshlrev_b32_e32 v21, 2, v21
	ds_load_b32 v21, v21
	s_waitcnt lgkmcnt(0)
	v_add_nc_u32_e32 v21, v21, v35
	global_store_b8 v21, v20, s[40:41]
	s_or_b32 exec_lo, exec_lo, s17
	v_cmp_lt_u32_e64 s18, v36, v2
	s_delay_alu instid0(VALU_DEP_1)
	s_and_saveexec_b32 s17, s18
	s_cbranch_execnz .LBB120_627
.LBB120_620:                            ;   in Loop: Header=BB120_574 Depth=2
	s_or_b32 exec_lo, exec_lo, s17
	v_cmp_lt_u32_e64 s17, v37, v2
	s_delay_alu instid0(VALU_DEP_1)
	s_and_saveexec_b32 s43, s17
	s_cbranch_execz .LBB120_628
.LBB120_621:                            ;   in Loop: Header=BB120_574 Depth=2
	ds_load_u8 v20, v35 offset:1536
	s_waitcnt lgkmcnt(0)
	v_and_b32_e32 v21, 0xff, v20
	v_xor_b32_e32 v20, -1, v20
	s_delay_alu instid0(VALU_DEP_2) | instskip(NEXT) | instid1(VALU_DEP_1)
	v_lshrrev_b32_e32 v21, s49, v21
	v_and_b32_e32 v21, s31, v21
	s_delay_alu instid0(VALU_DEP_1)
	v_lshlrev_b32_e32 v21, 2, v21
	ds_load_b32 v21, v21
	s_waitcnt lgkmcnt(0)
	v_add_nc_u32_e32 v21, v21, v37
	global_store_b8 v21, v20, s[40:41]
	s_or_b32 exec_lo, exec_lo, s43
	v_cmp_lt_u32_e32 vcc_lo, v39, v2
	s_and_saveexec_b32 s43, vcc_lo
	s_cbranch_execnz .LBB120_629
	s_branch .LBB120_630
.LBB120_622:                            ;   in Loop: Header=BB120_574 Depth=2
	s_or_b32 exec_lo, exec_lo, s17
	v_cmp_lt_u32_e64 s22, v29, v2
	s_delay_alu instid0(VALU_DEP_1)
	s_and_saveexec_b32 s17, s22
	s_cbranch_execz .LBB120_616
.LBB120_623:                            ;   in Loop: Header=BB120_574 Depth=2
	ds_load_u8 v20, v35 offset:256
	s_waitcnt lgkmcnt(0)
	v_and_b32_e32 v21, 0xff, v20
	v_xor_b32_e32 v20, -1, v20
	s_delay_alu instid0(VALU_DEP_2) | instskip(NEXT) | instid1(VALU_DEP_1)
	v_lshrrev_b32_e32 v21, s49, v21
	v_and_b32_e32 v21, s31, v21
	s_delay_alu instid0(VALU_DEP_1)
	v_lshlrev_b32_e32 v21, 2, v21
	ds_load_b32 v21, v21
	s_waitcnt lgkmcnt(0)
	v_add_nc_u32_e32 v21, v21, v29
	global_store_b8 v21, v20, s[40:41]
	s_or_b32 exec_lo, exec_lo, s17
	v_cmp_lt_u32_e64 s21, v30, v2
	s_delay_alu instid0(VALU_DEP_1)
	s_and_saveexec_b32 s17, s21
	s_cbranch_execnz .LBB120_617
.LBB120_624:                            ;   in Loop: Header=BB120_574 Depth=2
	s_or_b32 exec_lo, exec_lo, s17
	v_cmp_lt_u32_e64 s20, v31, v2
	s_delay_alu instid0(VALU_DEP_1)
	s_and_saveexec_b32 s17, s20
	s_cbranch_execz .LBB120_618
.LBB120_625:                            ;   in Loop: Header=BB120_574 Depth=2
	ds_load_u8 v20, v35 offset:768
	s_waitcnt lgkmcnt(0)
	v_and_b32_e32 v21, 0xff, v20
	v_xor_b32_e32 v20, -1, v20
	s_delay_alu instid0(VALU_DEP_2) | instskip(NEXT) | instid1(VALU_DEP_1)
	v_lshrrev_b32_e32 v21, s49, v21
	v_and_b32_e32 v21, s31, v21
	s_delay_alu instid0(VALU_DEP_1)
	v_lshlrev_b32_e32 v21, 2, v21
	ds_load_b32 v21, v21
	s_waitcnt lgkmcnt(0)
	v_add_nc_u32_e32 v21, v21, v31
	global_store_b8 v21, v20, s[40:41]
	s_or_b32 exec_lo, exec_lo, s17
	v_cmp_lt_u32_e64 s19, v35, v2
	s_delay_alu instid0(VALU_DEP_1)
	s_and_saveexec_b32 s17, s19
	s_cbranch_execnz .LBB120_619
.LBB120_626:                            ;   in Loop: Header=BB120_574 Depth=2
	s_or_b32 exec_lo, exec_lo, s17
	v_cmp_lt_u32_e64 s18, v36, v2
	s_delay_alu instid0(VALU_DEP_1)
	s_and_saveexec_b32 s17, s18
	s_cbranch_execz .LBB120_620
.LBB120_627:                            ;   in Loop: Header=BB120_574 Depth=2
	ds_load_u8 v20, v35 offset:1280
	s_waitcnt lgkmcnt(0)
	v_and_b32_e32 v21, 0xff, v20
	v_xor_b32_e32 v20, -1, v20
	s_delay_alu instid0(VALU_DEP_2) | instskip(NEXT) | instid1(VALU_DEP_1)
	v_lshrrev_b32_e32 v21, s49, v21
	v_and_b32_e32 v21, s31, v21
	s_delay_alu instid0(VALU_DEP_1)
	v_lshlrev_b32_e32 v21, 2, v21
	ds_load_b32 v21, v21
	s_waitcnt lgkmcnt(0)
	v_add_nc_u32_e32 v21, v21, v36
	global_store_b8 v21, v20, s[40:41]
	s_or_b32 exec_lo, exec_lo, s17
	v_cmp_lt_u32_e64 s17, v37, v2
	s_delay_alu instid0(VALU_DEP_1)
	s_and_saveexec_b32 s43, s17
	s_cbranch_execnz .LBB120_621
.LBB120_628:                            ;   in Loop: Header=BB120_574 Depth=2
	s_or_b32 exec_lo, exec_lo, s43
	v_cmp_lt_u32_e32 vcc_lo, v39, v2
	s_and_saveexec_b32 s43, vcc_lo
	s_cbranch_execz .LBB120_630
.LBB120_629:                            ;   in Loop: Header=BB120_574 Depth=2
	ds_load_u8 v20, v35 offset:1792
	s_waitcnt lgkmcnt(0)
	v_and_b32_e32 v21, 0xff, v20
	v_xor_b32_e32 v20, -1, v20
	s_delay_alu instid0(VALU_DEP_2) | instskip(NEXT) | instid1(VALU_DEP_1)
	v_lshrrev_b32_e32 v21, s49, v21
	v_and_b32_e32 v21, s31, v21
	s_delay_alu instid0(VALU_DEP_1)
	v_lshlrev_b32_e32 v21, 2, v21
	ds_load_b32 v21, v21
	s_waitcnt lgkmcnt(0)
	v_add_nc_u32_e32 v21, v21, v39
	global_store_b8 v21, v20, s[40:41]
.LBB120_630:                            ;   in Loop: Header=BB120_574 Depth=2
	s_or_b32 exec_lo, exec_lo, s43
	s_lshl_b64 s[52:53], s[24:25], 3
	s_delay_alu instid0(SALU_CYCLE_1) | instskip(NEXT) | instid1(VALU_DEP_1)
	v_add_co_u32 v20, s24, v73, s52
	v_add_co_ci_u32_e64 v21, s24, s53, v74, s24
	v_cmp_lt_u32_e64 s24, v70, v2
	s_delay_alu instid0(VALU_DEP_1) | instskip(NEXT) | instid1(SALU_CYCLE_1)
	s_and_saveexec_b32 s43, s24
	s_xor_b32 s24, exec_lo, s43
	s_cbranch_execz .LBB120_646
; %bb.631:                              ;   in Loop: Header=BB120_574 Depth=2
	global_load_b64 v[18:19], v[20:21], off
	s_or_b32 exec_lo, exec_lo, s24
	s_delay_alu instid0(SALU_CYCLE_1)
	s_mov_b32 s43, exec_lo
	v_cmpx_lt_u32_e64 v75, v2
	s_cbranch_execnz .LBB120_647
.LBB120_632:                            ;   in Loop: Header=BB120_574 Depth=2
	s_or_b32 exec_lo, exec_lo, s43
	s_delay_alu instid0(SALU_CYCLE_1)
	s_mov_b32 s43, exec_lo
	v_cmpx_lt_u32_e64 v76, v2
	s_cbranch_execz .LBB120_648
.LBB120_633:                            ;   in Loop: Header=BB120_574 Depth=2
	global_load_b64 v[14:15], v[20:21], off offset:512
	s_or_b32 exec_lo, exec_lo, s43
	s_delay_alu instid0(SALU_CYCLE_1)
	s_mov_b32 s43, exec_lo
	v_cmpx_lt_u32_e64 v77, v2
	s_cbranch_execnz .LBB120_649
.LBB120_634:                            ;   in Loop: Header=BB120_574 Depth=2
	s_or_b32 exec_lo, exec_lo, s43
	s_delay_alu instid0(SALU_CYCLE_1)
	s_mov_b32 s43, exec_lo
	v_cmpx_lt_u32_e64 v78, v2
	s_cbranch_execz .LBB120_650
.LBB120_635:                            ;   in Loop: Header=BB120_574 Depth=2
	global_load_b64 v[10:11], v[20:21], off offset:1024
	s_or_b32 exec_lo, exec_lo, s43
	s_delay_alu instid0(SALU_CYCLE_1)
	s_mov_b32 s43, exec_lo
	v_cmpx_lt_u32_e64 v79, v2
	s_cbranch_execnz .LBB120_651
.LBB120_636:                            ;   in Loop: Header=BB120_574 Depth=2
	s_or_b32 exec_lo, exec_lo, s43
	s_delay_alu instid0(SALU_CYCLE_1)
	s_mov_b32 s43, exec_lo
	v_cmpx_lt_u32_e64 v80, v2
	s_cbranch_execz .LBB120_652
.LBB120_637:                            ;   in Loop: Header=BB120_574 Depth=2
	global_load_b64 v[6:7], v[20:21], off offset:1536
	s_or_b32 exec_lo, exec_lo, s43
	s_delay_alu instid0(SALU_CYCLE_1)
	s_mov_b32 s43, exec_lo
	v_cmpx_lt_u32_e64 v81, v2
	s_cbranch_execnz .LBB120_653
.LBB120_638:                            ;   in Loop: Header=BB120_574 Depth=2
	s_or_b32 exec_lo, exec_lo, s43
	s_and_saveexec_b32 s24, s23
	s_cbranch_execz .LBB120_654
.LBB120_639:                            ;   in Loop: Header=BB120_574 Depth=2
	ds_load_u8 v2, v1 offset:1024
	s_waitcnt lgkmcnt(0)
	v_lshrrev_b32_e32 v2, s49, v2
	s_delay_alu instid0(VALU_DEP_1)
	v_and_b32_e32 v92, s31, v2
	s_or_b32 exec_lo, exec_lo, s24
	s_and_saveexec_b32 s24, s22
	s_cbranch_execnz .LBB120_655
.LBB120_640:                            ;   in Loop: Header=BB120_574 Depth=2
	s_or_b32 exec_lo, exec_lo, s24
	s_and_saveexec_b32 s24, s21
	s_cbranch_execz .LBB120_656
.LBB120_641:                            ;   in Loop: Header=BB120_574 Depth=2
	ds_load_u8 v2, v35 offset:512
	s_waitcnt lgkmcnt(0)
	v_lshrrev_b32_e32 v2, s49, v2
	s_delay_alu instid0(VALU_DEP_1)
	v_and_b32_e32 v90, s31, v2
	s_or_b32 exec_lo, exec_lo, s24
	s_and_saveexec_b32 s24, s20
	s_cbranch_execnz .LBB120_657
.LBB120_642:                            ;   in Loop: Header=BB120_574 Depth=2
	s_or_b32 exec_lo, exec_lo, s24
	s_and_saveexec_b32 s24, s19
	s_cbranch_execz .LBB120_658
.LBB120_643:                            ;   in Loop: Header=BB120_574 Depth=2
	ds_load_u8 v2, v35 offset:1024
	s_waitcnt lgkmcnt(0)
	v_lshrrev_b32_e32 v2, s49, v2
	s_delay_alu instid0(VALU_DEP_1)
	v_and_b32_e32 v88, s31, v2
	s_or_b32 exec_lo, exec_lo, s24
	s_and_saveexec_b32 s24, s18
	s_cbranch_execnz .LBB120_659
.LBB120_644:                            ;   in Loop: Header=BB120_574 Depth=2
	s_or_b32 exec_lo, exec_lo, s24
	s_and_saveexec_b32 s24, s17
	s_cbranch_execz .LBB120_660
.LBB120_645:                            ;   in Loop: Header=BB120_574 Depth=2
	ds_load_u8 v2, v35 offset:1536
	s_waitcnt lgkmcnt(0)
	v_lshrrev_b32_e32 v2, s49, v2
	s_delay_alu instid0(VALU_DEP_1)
	v_and_b32_e32 v86, s31, v2
	s_or_b32 exec_lo, exec_lo, s24
	s_and_saveexec_b32 s24, vcc_lo
	s_cbranch_execnz .LBB120_661
	s_branch .LBB120_662
.LBB120_646:                            ;   in Loop: Header=BB120_574 Depth=2
	s_or_b32 exec_lo, exec_lo, s24
	s_delay_alu instid0(SALU_CYCLE_1)
	s_mov_b32 s43, exec_lo
	v_cmpx_lt_u32_e64 v75, v2
	s_cbranch_execz .LBB120_632
.LBB120_647:                            ;   in Loop: Header=BB120_574 Depth=2
	global_load_b64 v[16:17], v[20:21], off offset:256
	s_or_b32 exec_lo, exec_lo, s43
	s_delay_alu instid0(SALU_CYCLE_1)
	s_mov_b32 s43, exec_lo
	v_cmpx_lt_u32_e64 v76, v2
	s_cbranch_execnz .LBB120_633
.LBB120_648:                            ;   in Loop: Header=BB120_574 Depth=2
	s_or_b32 exec_lo, exec_lo, s43
	s_delay_alu instid0(SALU_CYCLE_1)
	s_mov_b32 s43, exec_lo
	v_cmpx_lt_u32_e64 v77, v2
	s_cbranch_execz .LBB120_634
.LBB120_649:                            ;   in Loop: Header=BB120_574 Depth=2
	global_load_b64 v[12:13], v[20:21], off offset:768
	s_or_b32 exec_lo, exec_lo, s43
	s_delay_alu instid0(SALU_CYCLE_1)
	s_mov_b32 s43, exec_lo
	v_cmpx_lt_u32_e64 v78, v2
	s_cbranch_execnz .LBB120_635
.LBB120_650:                            ;   in Loop: Header=BB120_574 Depth=2
	s_or_b32 exec_lo, exec_lo, s43
	s_delay_alu instid0(SALU_CYCLE_1)
	s_mov_b32 s43, exec_lo
	v_cmpx_lt_u32_e64 v79, v2
	s_cbranch_execz .LBB120_636
.LBB120_651:                            ;   in Loop: Header=BB120_574 Depth=2
	global_load_b64 v[8:9], v[20:21], off offset:1280
	s_or_b32 exec_lo, exec_lo, s43
	s_delay_alu instid0(SALU_CYCLE_1)
	s_mov_b32 s43, exec_lo
	v_cmpx_lt_u32_e64 v80, v2
	s_cbranch_execnz .LBB120_637
.LBB120_652:                            ;   in Loop: Header=BB120_574 Depth=2
	s_or_b32 exec_lo, exec_lo, s43
	s_delay_alu instid0(SALU_CYCLE_1)
	s_mov_b32 s43, exec_lo
	v_cmpx_lt_u32_e64 v81, v2
	s_cbranch_execz .LBB120_638
.LBB120_653:                            ;   in Loop: Header=BB120_574 Depth=2
	global_load_b64 v[4:5], v[20:21], off offset:1792
	s_or_b32 exec_lo, exec_lo, s43
	s_and_saveexec_b32 s24, s23
	s_cbranch_execnz .LBB120_639
.LBB120_654:                            ;   in Loop: Header=BB120_574 Depth=2
	s_or_b32 exec_lo, exec_lo, s24
	s_and_saveexec_b32 s24, s22
	s_cbranch_execz .LBB120_640
.LBB120_655:                            ;   in Loop: Header=BB120_574 Depth=2
	ds_load_u8 v2, v35 offset:256
	s_waitcnt lgkmcnt(0)
	v_lshrrev_b32_e32 v2, s49, v2
	s_delay_alu instid0(VALU_DEP_1)
	v_and_b32_e32 v91, s31, v2
	s_or_b32 exec_lo, exec_lo, s24
	s_and_saveexec_b32 s24, s21
	s_cbranch_execnz .LBB120_641
.LBB120_656:                            ;   in Loop: Header=BB120_574 Depth=2
	s_or_b32 exec_lo, exec_lo, s24
	s_and_saveexec_b32 s24, s20
	s_cbranch_execz .LBB120_642
.LBB120_657:                            ;   in Loop: Header=BB120_574 Depth=2
	ds_load_u8 v2, v35 offset:768
	s_waitcnt lgkmcnt(0)
	v_lshrrev_b32_e32 v2, s49, v2
	s_delay_alu instid0(VALU_DEP_1)
	v_and_b32_e32 v89, s31, v2
	s_or_b32 exec_lo, exec_lo, s24
	s_and_saveexec_b32 s24, s19
	s_cbranch_execnz .LBB120_643
.LBB120_658:                            ;   in Loop: Header=BB120_574 Depth=2
	s_or_b32 exec_lo, exec_lo, s24
	s_and_saveexec_b32 s24, s18
	s_cbranch_execz .LBB120_644
.LBB120_659:                            ;   in Loop: Header=BB120_574 Depth=2
	ds_load_u8 v2, v35 offset:1280
	s_waitcnt lgkmcnt(0)
	v_lshrrev_b32_e32 v2, s49, v2
	s_delay_alu instid0(VALU_DEP_1)
	v_and_b32_e32 v87, s31, v2
	s_or_b32 exec_lo, exec_lo, s24
	s_and_saveexec_b32 s24, s17
	s_cbranch_execnz .LBB120_645
.LBB120_660:                            ;   in Loop: Header=BB120_574 Depth=2
	s_or_b32 exec_lo, exec_lo, s24
	s_and_saveexec_b32 s24, vcc_lo
	s_cbranch_execz .LBB120_662
.LBB120_661:                            ;   in Loop: Header=BB120_574 Depth=2
	ds_load_u8 v2, v35 offset:1792
	s_waitcnt lgkmcnt(0)
	v_lshrrev_b32_e32 v2, s49, v2
	s_delay_alu instid0(VALU_DEP_1)
	v_and_b32_e32 v85, s31, v2
.LBB120_662:                            ;   in Loop: Header=BB120_574 Depth=2
	s_or_b32 exec_lo, exec_lo, s24
	v_lshlrev_b32_e32 v2, 3, v100
	v_lshlrev_b32_e32 v20, 3, v96
	;; [unrolled: 1-line block ×3, first 2 shown]
	s_waitcnt vmcnt(0)
	s_waitcnt_vscnt null, 0x0
	s_barrier
	buffer_gl0_inv
	ds_store_b64 v2, v[18:19] offset:1024
	ds_store_b64 v20, v[16:17] offset:1024
	;; [unrolled: 1-line block ×3, first 2 shown]
	v_lshlrev_b32_e32 v2, 3, v27
	v_lshlrev_b32_e32 v20, 3, v26
	;; [unrolled: 1-line block ×5, first 2 shown]
	ds_store_b64 v2, v[12:13] offset:1024
	ds_store_b64 v20, v[10:11] offset:1024
	;; [unrolled: 1-line block ×5, first 2 shown]
	s_waitcnt lgkmcnt(0)
	s_barrier
	buffer_gl0_inv
	s_and_saveexec_b32 s24, s23
	s_cbranch_execz .LBB120_670
; %bb.663:                              ;   in Loop: Header=BB120_574 Depth=2
	v_lshlrev_b32_e32 v2, 2, v92
	v_add_nc_u32_e32 v20, v1, v52
	ds_load_b32 v2, v2
	ds_load_b64 v[20:21], v20 offset:1024
	s_waitcnt lgkmcnt(1)
	v_add_nc_u32_e32 v2, v2, v1
	s_delay_alu instid0(VALU_DEP_1) | instskip(NEXT) | instid1(VALU_DEP_1)
	v_lshlrev_b64 v[23:24], 3, v[2:3]
	v_add_co_u32 v23, s23, s46, v23
	s_delay_alu instid0(VALU_DEP_1)
	v_add_co_ci_u32_e64 v24, s23, s47, v24, s23
	s_waitcnt lgkmcnt(0)
	global_store_b64 v[23:24], v[20:21], off
	s_or_b32 exec_lo, exec_lo, s24
	v_add_nc_u32_e32 v20, v35, v52
	s_and_saveexec_b32 s23, s22
	s_cbranch_execnz .LBB120_671
.LBB120_664:                            ;   in Loop: Header=BB120_574 Depth=2
	s_or_b32 exec_lo, exec_lo, s23
	s_and_saveexec_b32 s22, s21
	s_cbranch_execz .LBB120_672
.LBB120_665:                            ;   in Loop: Header=BB120_574 Depth=2
	v_lshlrev_b32_e32 v2, 2, v90
	ds_load_b32 v2, v2
	ds_load_b64 v[23:24], v20 offset:4096
	s_waitcnt lgkmcnt(1)
	v_add_nc_u32_e32 v2, v2, v30
	s_delay_alu instid0(VALU_DEP_1) | instskip(NEXT) | instid1(VALU_DEP_1)
	v_lshlrev_b64 v[25:26], 3, v[2:3]
	v_add_co_u32 v25, s21, s46, v25
	s_delay_alu instid0(VALU_DEP_1)
	v_add_co_ci_u32_e64 v26, s21, s47, v26, s21
	s_waitcnt lgkmcnt(0)
	global_store_b64 v[25:26], v[23:24], off
	s_or_b32 exec_lo, exec_lo, s22
	s_and_saveexec_b32 s21, s20
	s_cbranch_execnz .LBB120_673
.LBB120_666:                            ;   in Loop: Header=BB120_574 Depth=2
	s_or_b32 exec_lo, exec_lo, s21
	s_and_saveexec_b32 s20, s19
	s_cbranch_execz .LBB120_674
.LBB120_667:                            ;   in Loop: Header=BB120_574 Depth=2
	v_lshlrev_b32_e32 v2, 2, v88
	ds_load_b32 v2, v2
	ds_load_b64 v[23:24], v20 offset:8192
	s_waitcnt lgkmcnt(1)
	v_add_nc_u32_e32 v2, v2, v35
	s_delay_alu instid0(VALU_DEP_1) | instskip(NEXT) | instid1(VALU_DEP_1)
	v_lshlrev_b64 v[25:26], 3, v[2:3]
	v_add_co_u32 v25, s19, s46, v25
	s_delay_alu instid0(VALU_DEP_1)
	v_add_co_ci_u32_e64 v26, s19, s47, v26, s19
	s_waitcnt lgkmcnt(0)
	global_store_b64 v[25:26], v[23:24], off
	s_or_b32 exec_lo, exec_lo, s20
	s_and_saveexec_b32 s19, s18
	s_cbranch_execnz .LBB120_675
.LBB120_668:                            ;   in Loop: Header=BB120_574 Depth=2
	s_or_b32 exec_lo, exec_lo, s19
	s_and_saveexec_b32 s18, s17
	s_cbranch_execz .LBB120_676
.LBB120_669:                            ;   in Loop: Header=BB120_574 Depth=2
	v_lshlrev_b32_e32 v2, 2, v86
	ds_load_b32 v2, v2
	ds_load_b64 v[23:24], v20 offset:12288
	s_waitcnt lgkmcnt(1)
	v_add_nc_u32_e32 v2, v2, v37
	s_delay_alu instid0(VALU_DEP_1) | instskip(NEXT) | instid1(VALU_DEP_1)
	v_lshlrev_b64 v[25:26], 3, v[2:3]
	v_add_co_u32 v25, s17, s46, v25
	s_delay_alu instid0(VALU_DEP_1)
	v_add_co_ci_u32_e64 v26, s17, s47, v26, s17
	s_waitcnt lgkmcnt(0)
	global_store_b64 v[25:26], v[23:24], off
	s_or_b32 exec_lo, exec_lo, s18
	s_and_saveexec_b32 s17, vcc_lo
	s_cbranch_execnz .LBB120_677
	s_branch .LBB120_678
.LBB120_670:                            ;   in Loop: Header=BB120_574 Depth=2
	s_or_b32 exec_lo, exec_lo, s24
	v_add_nc_u32_e32 v20, v35, v52
	s_and_saveexec_b32 s23, s22
	s_cbranch_execz .LBB120_664
.LBB120_671:                            ;   in Loop: Header=BB120_574 Depth=2
	v_lshlrev_b32_e32 v2, 2, v91
	ds_load_b32 v2, v2
	ds_load_b64 v[23:24], v20 offset:2048
	s_waitcnt lgkmcnt(1)
	v_add_nc_u32_e32 v2, v2, v29
	s_delay_alu instid0(VALU_DEP_1) | instskip(NEXT) | instid1(VALU_DEP_1)
	v_lshlrev_b64 v[25:26], 3, v[2:3]
	v_add_co_u32 v25, s22, s46, v25
	s_delay_alu instid0(VALU_DEP_1)
	v_add_co_ci_u32_e64 v26, s22, s47, v26, s22
	s_waitcnt lgkmcnt(0)
	global_store_b64 v[25:26], v[23:24], off
	s_or_b32 exec_lo, exec_lo, s23
	s_and_saveexec_b32 s22, s21
	s_cbranch_execnz .LBB120_665
.LBB120_672:                            ;   in Loop: Header=BB120_574 Depth=2
	s_or_b32 exec_lo, exec_lo, s22
	s_and_saveexec_b32 s21, s20
	s_cbranch_execz .LBB120_666
.LBB120_673:                            ;   in Loop: Header=BB120_574 Depth=2
	v_lshlrev_b32_e32 v2, 2, v89
	ds_load_b32 v2, v2
	ds_load_b64 v[23:24], v20 offset:6144
	s_waitcnt lgkmcnt(1)
	v_add_nc_u32_e32 v2, v2, v31
	s_delay_alu instid0(VALU_DEP_1) | instskip(NEXT) | instid1(VALU_DEP_1)
	v_lshlrev_b64 v[25:26], 3, v[2:3]
	v_add_co_u32 v25, s20, s46, v25
	s_delay_alu instid0(VALU_DEP_1)
	v_add_co_ci_u32_e64 v26, s20, s47, v26, s20
	s_waitcnt lgkmcnt(0)
	global_store_b64 v[25:26], v[23:24], off
	s_or_b32 exec_lo, exec_lo, s21
	s_and_saveexec_b32 s20, s19
	s_cbranch_execnz .LBB120_667
.LBB120_674:                            ;   in Loop: Header=BB120_574 Depth=2
	s_or_b32 exec_lo, exec_lo, s20
	s_and_saveexec_b32 s19, s18
	s_cbranch_execz .LBB120_668
.LBB120_675:                            ;   in Loop: Header=BB120_574 Depth=2
	v_lshlrev_b32_e32 v2, 2, v87
	ds_load_b32 v2, v2
	ds_load_b64 v[23:24], v20 offset:10240
	s_waitcnt lgkmcnt(1)
	v_add_nc_u32_e32 v2, v2, v36
	s_delay_alu instid0(VALU_DEP_1) | instskip(NEXT) | instid1(VALU_DEP_1)
	v_lshlrev_b64 v[25:26], 3, v[2:3]
	v_add_co_u32 v25, s18, s46, v25
	s_delay_alu instid0(VALU_DEP_1)
	v_add_co_ci_u32_e64 v26, s18, s47, v26, s18
	s_waitcnt lgkmcnt(0)
	global_store_b64 v[25:26], v[23:24], off
	s_or_b32 exec_lo, exec_lo, s19
	s_and_saveexec_b32 s18, s17
	s_cbranch_execnz .LBB120_669
.LBB120_676:                            ;   in Loop: Header=BB120_574 Depth=2
	s_or_b32 exec_lo, exec_lo, s18
	s_and_saveexec_b32 s17, vcc_lo
	s_cbranch_execz .LBB120_678
.LBB120_677:                            ;   in Loop: Header=BB120_574 Depth=2
	v_lshlrev_b32_e32 v2, 2, v85
	ds_load_b32 v2, v2
	ds_load_b64 v[20:21], v20 offset:14336
	s_waitcnt lgkmcnt(1)
	v_add_nc_u32_e32 v2, v2, v39
	s_delay_alu instid0(VALU_DEP_1) | instskip(NEXT) | instid1(VALU_DEP_1)
	v_lshlrev_b64 v[23:24], 3, v[2:3]
	v_add_co_u32 v23, vcc_lo, s46, v23
	s_delay_alu instid0(VALU_DEP_2)
	v_add_co_ci_u32_e32 v24, vcc_lo, s47, v24, vcc_lo
	s_waitcnt lgkmcnt(0)
	global_store_b64 v[23:24], v[20:21], off
.LBB120_678:                            ;   in Loop: Header=BB120_574 Depth=2
	s_or_b32 exec_lo, exec_lo, s17
	s_waitcnt_vscnt null, 0x0
	s_barrier
	buffer_gl0_inv
	s_and_saveexec_b32 s17, s2
	s_cbranch_execz .LBB120_573
; %bb.679:                              ;   in Loop: Header=BB120_574 Depth=2
	ds_load_b32 v2, v28
	s_waitcnt lgkmcnt(0)
	v_add_nc_u32_e32 v2, v2, v22
	ds_store_b32 v28, v2
	s_branch .LBB120_573
.LBB120_680:                            ;   in Loop: Header=BB120_574 Depth=2
	s_or_b32 exec_lo, exec_lo, s17
	s_delay_alu instid0(SALU_CYCLE_1)
	s_mov_b32 s17, exec_lo
	v_cmpx_gt_u32_e64 s35, v75
	s_cbranch_execz .LBB120_579
.LBB120_681:                            ;   in Loop: Header=BB120_574 Depth=2
	global_load_u8 v2, v[22:23], off offset:32
	s_waitcnt vmcnt(0)
	v_perm_b32 v20, v20, v2, 0x7060004
	s_or_b32 exec_lo, exec_lo, s17
	s_delay_alu instid0(SALU_CYCLE_1)
	s_mov_b32 s17, exec_lo
	v_cmpx_gt_u32_e64 s35, v76
	s_cbranch_execnz .LBB120_580
.LBB120_682:                            ;   in Loop: Header=BB120_574 Depth=2
	s_or_b32 exec_lo, exec_lo, s17
	s_delay_alu instid0(SALU_CYCLE_1)
	s_mov_b32 s17, exec_lo
	v_cmpx_gt_u32_e64 s35, v77
	s_cbranch_execz .LBB120_581
.LBB120_683:                            ;   in Loop: Header=BB120_574 Depth=2
	global_load_u8 v2, v[22:23], off offset:96
	v_lshrrev_b32_e32 v24, 16, v20
	s_delay_alu instid0(VALU_DEP_1) | instskip(SKIP_2) | instid1(VALU_DEP_1)
	v_and_b32_e32 v24, 0xff, v24
	s_waitcnt vmcnt(0)
	v_lshlrev_b16 v2, 8, v2
	v_or_b32_e32 v2, v24, v2
	s_delay_alu instid0(VALU_DEP_1) | instskip(NEXT) | instid1(VALU_DEP_1)
	v_lshlrev_b32_e32 v2, 16, v2
	v_and_or_b32 v20, 0xffff, v20, v2
	s_or_b32 exec_lo, exec_lo, s17
	s_delay_alu instid0(SALU_CYCLE_1)
	s_mov_b32 s17, exec_lo
	v_cmpx_gt_u32_e64 s35, v78
	s_cbranch_execnz .LBB120_582
.LBB120_684:                            ;   in Loop: Header=BB120_574 Depth=2
	s_or_b32 exec_lo, exec_lo, s17
	s_delay_alu instid0(SALU_CYCLE_1)
	s_mov_b32 s17, exec_lo
	v_cmpx_gt_u32_e64 s35, v79
	s_cbranch_execz .LBB120_583
.LBB120_685:                            ;   in Loop: Header=BB120_574 Depth=2
	global_load_u8 v2, v[22:23], off offset:160
	s_waitcnt vmcnt(0)
	v_perm_b32 v21, v21, v2, 0x7060004
	s_or_b32 exec_lo, exec_lo, s17
	s_delay_alu instid0(SALU_CYCLE_1)
	s_mov_b32 s17, exec_lo
	v_cmpx_gt_u32_e64 s35, v80
	s_cbranch_execnz .LBB120_584
	s_branch .LBB120_585
.LBB120_686:
	s_endpgm
	.section	.rodata,"a",@progbits
	.p2align	6, 0x0
	.amdhsa_kernel _ZN7rocprim17ROCPRIM_400000_NS6detail17trampoline_kernelINS0_14default_configENS1_36segmented_radix_sort_config_selectorIhlEEZNS1_25segmented_radix_sort_implIS3_Lb1EPKhPhPKlPlN2at6native12_GLOBAL__N_18offset_tEEE10hipError_tPvRmT1_PNSt15iterator_traitsISK_E10value_typeET2_T3_PNSL_ISQ_E10value_typeET4_jRbjT5_SW_jjP12ihipStream_tbEUlT_E2_NS1_11comp_targetILNS1_3genE9ELNS1_11target_archE1100ELNS1_3gpuE3ELNS1_3repE0EEENS1_30default_config_static_selectorELNS0_4arch9wavefront6targetE0EEEvSK_
		.amdhsa_group_segment_fixed_size 17440
		.amdhsa_private_segment_fixed_size 0
		.amdhsa_kernarg_size 336
		.amdhsa_user_sgpr_count 14
		.amdhsa_user_sgpr_dispatch_ptr 0
		.amdhsa_user_sgpr_queue_ptr 0
		.amdhsa_user_sgpr_kernarg_segment_ptr 1
		.amdhsa_user_sgpr_dispatch_id 0
		.amdhsa_user_sgpr_private_segment_size 0
		.amdhsa_wavefront_size32 1
		.amdhsa_uses_dynamic_stack 0
		.amdhsa_enable_private_segment 0
		.amdhsa_system_sgpr_workgroup_id_x 1
		.amdhsa_system_sgpr_workgroup_id_y 1
		.amdhsa_system_sgpr_workgroup_id_z 0
		.amdhsa_system_sgpr_workgroup_info 0
		.amdhsa_system_vgpr_workitem_id 2
		.amdhsa_next_free_vgpr 183
		.amdhsa_next_free_sgpr 54
		.amdhsa_reserve_vcc 1
		.amdhsa_float_round_mode_32 0
		.amdhsa_float_round_mode_16_64 0
		.amdhsa_float_denorm_mode_32 3
		.amdhsa_float_denorm_mode_16_64 3
		.amdhsa_dx10_clamp 1
		.amdhsa_ieee_mode 1
		.amdhsa_fp16_overflow 0
		.amdhsa_workgroup_processor_mode 1
		.amdhsa_memory_ordered 1
		.amdhsa_forward_progress 0
		.amdhsa_shared_vgpr_count 0
		.amdhsa_exception_fp_ieee_invalid_op 0
		.amdhsa_exception_fp_denorm_src 0
		.amdhsa_exception_fp_ieee_div_zero 0
		.amdhsa_exception_fp_ieee_overflow 0
		.amdhsa_exception_fp_ieee_underflow 0
		.amdhsa_exception_fp_ieee_inexact 0
		.amdhsa_exception_int_div_zero 0
	.end_amdhsa_kernel
	.section	.text._ZN7rocprim17ROCPRIM_400000_NS6detail17trampoline_kernelINS0_14default_configENS1_36segmented_radix_sort_config_selectorIhlEEZNS1_25segmented_radix_sort_implIS3_Lb1EPKhPhPKlPlN2at6native12_GLOBAL__N_18offset_tEEE10hipError_tPvRmT1_PNSt15iterator_traitsISK_E10value_typeET2_T3_PNSL_ISQ_E10value_typeET4_jRbjT5_SW_jjP12ihipStream_tbEUlT_E2_NS1_11comp_targetILNS1_3genE9ELNS1_11target_archE1100ELNS1_3gpuE3ELNS1_3repE0EEENS1_30default_config_static_selectorELNS0_4arch9wavefront6targetE0EEEvSK_,"axG",@progbits,_ZN7rocprim17ROCPRIM_400000_NS6detail17trampoline_kernelINS0_14default_configENS1_36segmented_radix_sort_config_selectorIhlEEZNS1_25segmented_radix_sort_implIS3_Lb1EPKhPhPKlPlN2at6native12_GLOBAL__N_18offset_tEEE10hipError_tPvRmT1_PNSt15iterator_traitsISK_E10value_typeET2_T3_PNSL_ISQ_E10value_typeET4_jRbjT5_SW_jjP12ihipStream_tbEUlT_E2_NS1_11comp_targetILNS1_3genE9ELNS1_11target_archE1100ELNS1_3gpuE3ELNS1_3repE0EEENS1_30default_config_static_selectorELNS0_4arch9wavefront6targetE0EEEvSK_,comdat
.Lfunc_end120:
	.size	_ZN7rocprim17ROCPRIM_400000_NS6detail17trampoline_kernelINS0_14default_configENS1_36segmented_radix_sort_config_selectorIhlEEZNS1_25segmented_radix_sort_implIS3_Lb1EPKhPhPKlPlN2at6native12_GLOBAL__N_18offset_tEEE10hipError_tPvRmT1_PNSt15iterator_traitsISK_E10value_typeET2_T3_PNSL_ISQ_E10value_typeET4_jRbjT5_SW_jjP12ihipStream_tbEUlT_E2_NS1_11comp_targetILNS1_3genE9ELNS1_11target_archE1100ELNS1_3gpuE3ELNS1_3repE0EEENS1_30default_config_static_selectorELNS0_4arch9wavefront6targetE0EEEvSK_, .Lfunc_end120-_ZN7rocprim17ROCPRIM_400000_NS6detail17trampoline_kernelINS0_14default_configENS1_36segmented_radix_sort_config_selectorIhlEEZNS1_25segmented_radix_sort_implIS3_Lb1EPKhPhPKlPlN2at6native12_GLOBAL__N_18offset_tEEE10hipError_tPvRmT1_PNSt15iterator_traitsISK_E10value_typeET2_T3_PNSL_ISQ_E10value_typeET4_jRbjT5_SW_jjP12ihipStream_tbEUlT_E2_NS1_11comp_targetILNS1_3genE9ELNS1_11target_archE1100ELNS1_3gpuE3ELNS1_3repE0EEENS1_30default_config_static_selectorELNS0_4arch9wavefront6targetE0EEEvSK_
                                        ; -- End function
	.section	.AMDGPU.csdata,"",@progbits
; Kernel info:
; codeLenInByte = 40108
; NumSgprs: 56
; NumVgprs: 183
; ScratchSize: 0
; MemoryBound: 0
; FloatMode: 240
; IeeeMode: 1
; LDSByteSize: 17440 bytes/workgroup (compile time only)
; SGPRBlocks: 6
; VGPRBlocks: 22
; NumSGPRsForWavesPerEU: 56
; NumVGPRsForWavesPerEU: 183
; Occupancy: 8
; WaveLimiterHint : 1
; COMPUTE_PGM_RSRC2:SCRATCH_EN: 0
; COMPUTE_PGM_RSRC2:USER_SGPR: 14
; COMPUTE_PGM_RSRC2:TRAP_HANDLER: 0
; COMPUTE_PGM_RSRC2:TGID_X_EN: 1
; COMPUTE_PGM_RSRC2:TGID_Y_EN: 1
; COMPUTE_PGM_RSRC2:TGID_Z_EN: 0
; COMPUTE_PGM_RSRC2:TIDIG_COMP_CNT: 2
	.section	.text._ZN7rocprim17ROCPRIM_400000_NS6detail17trampoline_kernelINS0_14default_configENS1_36segmented_radix_sort_config_selectorIhlEEZNS1_25segmented_radix_sort_implIS3_Lb1EPKhPhPKlPlN2at6native12_GLOBAL__N_18offset_tEEE10hipError_tPvRmT1_PNSt15iterator_traitsISK_E10value_typeET2_T3_PNSL_ISQ_E10value_typeET4_jRbjT5_SW_jjP12ihipStream_tbEUlT_E2_NS1_11comp_targetILNS1_3genE8ELNS1_11target_archE1030ELNS1_3gpuE2ELNS1_3repE0EEENS1_30default_config_static_selectorELNS0_4arch9wavefront6targetE0EEEvSK_,"axG",@progbits,_ZN7rocprim17ROCPRIM_400000_NS6detail17trampoline_kernelINS0_14default_configENS1_36segmented_radix_sort_config_selectorIhlEEZNS1_25segmented_radix_sort_implIS3_Lb1EPKhPhPKlPlN2at6native12_GLOBAL__N_18offset_tEEE10hipError_tPvRmT1_PNSt15iterator_traitsISK_E10value_typeET2_T3_PNSL_ISQ_E10value_typeET4_jRbjT5_SW_jjP12ihipStream_tbEUlT_E2_NS1_11comp_targetILNS1_3genE8ELNS1_11target_archE1030ELNS1_3gpuE2ELNS1_3repE0EEENS1_30default_config_static_selectorELNS0_4arch9wavefront6targetE0EEEvSK_,comdat
	.globl	_ZN7rocprim17ROCPRIM_400000_NS6detail17trampoline_kernelINS0_14default_configENS1_36segmented_radix_sort_config_selectorIhlEEZNS1_25segmented_radix_sort_implIS3_Lb1EPKhPhPKlPlN2at6native12_GLOBAL__N_18offset_tEEE10hipError_tPvRmT1_PNSt15iterator_traitsISK_E10value_typeET2_T3_PNSL_ISQ_E10value_typeET4_jRbjT5_SW_jjP12ihipStream_tbEUlT_E2_NS1_11comp_targetILNS1_3genE8ELNS1_11target_archE1030ELNS1_3gpuE2ELNS1_3repE0EEENS1_30default_config_static_selectorELNS0_4arch9wavefront6targetE0EEEvSK_ ; -- Begin function _ZN7rocprim17ROCPRIM_400000_NS6detail17trampoline_kernelINS0_14default_configENS1_36segmented_radix_sort_config_selectorIhlEEZNS1_25segmented_radix_sort_implIS3_Lb1EPKhPhPKlPlN2at6native12_GLOBAL__N_18offset_tEEE10hipError_tPvRmT1_PNSt15iterator_traitsISK_E10value_typeET2_T3_PNSL_ISQ_E10value_typeET4_jRbjT5_SW_jjP12ihipStream_tbEUlT_E2_NS1_11comp_targetILNS1_3genE8ELNS1_11target_archE1030ELNS1_3gpuE2ELNS1_3repE0EEENS1_30default_config_static_selectorELNS0_4arch9wavefront6targetE0EEEvSK_
	.p2align	8
	.type	_ZN7rocprim17ROCPRIM_400000_NS6detail17trampoline_kernelINS0_14default_configENS1_36segmented_radix_sort_config_selectorIhlEEZNS1_25segmented_radix_sort_implIS3_Lb1EPKhPhPKlPlN2at6native12_GLOBAL__N_18offset_tEEE10hipError_tPvRmT1_PNSt15iterator_traitsISK_E10value_typeET2_T3_PNSL_ISQ_E10value_typeET4_jRbjT5_SW_jjP12ihipStream_tbEUlT_E2_NS1_11comp_targetILNS1_3genE8ELNS1_11target_archE1030ELNS1_3gpuE2ELNS1_3repE0EEENS1_30default_config_static_selectorELNS0_4arch9wavefront6targetE0EEEvSK_,@function
_ZN7rocprim17ROCPRIM_400000_NS6detail17trampoline_kernelINS0_14default_configENS1_36segmented_radix_sort_config_selectorIhlEEZNS1_25segmented_radix_sort_implIS3_Lb1EPKhPhPKlPlN2at6native12_GLOBAL__N_18offset_tEEE10hipError_tPvRmT1_PNSt15iterator_traitsISK_E10value_typeET2_T3_PNSL_ISQ_E10value_typeET4_jRbjT5_SW_jjP12ihipStream_tbEUlT_E2_NS1_11comp_targetILNS1_3genE8ELNS1_11target_archE1030ELNS1_3gpuE2ELNS1_3repE0EEENS1_30default_config_static_selectorELNS0_4arch9wavefront6targetE0EEEvSK_: ; @_ZN7rocprim17ROCPRIM_400000_NS6detail17trampoline_kernelINS0_14default_configENS1_36segmented_radix_sort_config_selectorIhlEEZNS1_25segmented_radix_sort_implIS3_Lb1EPKhPhPKlPlN2at6native12_GLOBAL__N_18offset_tEEE10hipError_tPvRmT1_PNSt15iterator_traitsISK_E10value_typeET2_T3_PNSL_ISQ_E10value_typeET4_jRbjT5_SW_jjP12ihipStream_tbEUlT_E2_NS1_11comp_targetILNS1_3genE8ELNS1_11target_archE1030ELNS1_3gpuE2ELNS1_3repE0EEENS1_30default_config_static_selectorELNS0_4arch9wavefront6targetE0EEEvSK_
; %bb.0:
	.section	.rodata,"a",@progbits
	.p2align	6, 0x0
	.amdhsa_kernel _ZN7rocprim17ROCPRIM_400000_NS6detail17trampoline_kernelINS0_14default_configENS1_36segmented_radix_sort_config_selectorIhlEEZNS1_25segmented_radix_sort_implIS3_Lb1EPKhPhPKlPlN2at6native12_GLOBAL__N_18offset_tEEE10hipError_tPvRmT1_PNSt15iterator_traitsISK_E10value_typeET2_T3_PNSL_ISQ_E10value_typeET4_jRbjT5_SW_jjP12ihipStream_tbEUlT_E2_NS1_11comp_targetILNS1_3genE8ELNS1_11target_archE1030ELNS1_3gpuE2ELNS1_3repE0EEENS1_30default_config_static_selectorELNS0_4arch9wavefront6targetE0EEEvSK_
		.amdhsa_group_segment_fixed_size 0
		.amdhsa_private_segment_fixed_size 0
		.amdhsa_kernarg_size 80
		.amdhsa_user_sgpr_count 15
		.amdhsa_user_sgpr_dispatch_ptr 0
		.amdhsa_user_sgpr_queue_ptr 0
		.amdhsa_user_sgpr_kernarg_segment_ptr 1
		.amdhsa_user_sgpr_dispatch_id 0
		.amdhsa_user_sgpr_private_segment_size 0
		.amdhsa_wavefront_size32 1
		.amdhsa_uses_dynamic_stack 0
		.amdhsa_enable_private_segment 0
		.amdhsa_system_sgpr_workgroup_id_x 1
		.amdhsa_system_sgpr_workgroup_id_y 0
		.amdhsa_system_sgpr_workgroup_id_z 0
		.amdhsa_system_sgpr_workgroup_info 0
		.amdhsa_system_vgpr_workitem_id 0
		.amdhsa_next_free_vgpr 1
		.amdhsa_next_free_sgpr 1
		.amdhsa_reserve_vcc 0
		.amdhsa_float_round_mode_32 0
		.amdhsa_float_round_mode_16_64 0
		.amdhsa_float_denorm_mode_32 3
		.amdhsa_float_denorm_mode_16_64 3
		.amdhsa_dx10_clamp 1
		.amdhsa_ieee_mode 1
		.amdhsa_fp16_overflow 0
		.amdhsa_workgroup_processor_mode 1
		.amdhsa_memory_ordered 1
		.amdhsa_forward_progress 0
		.amdhsa_shared_vgpr_count 0
		.amdhsa_exception_fp_ieee_invalid_op 0
		.amdhsa_exception_fp_denorm_src 0
		.amdhsa_exception_fp_ieee_div_zero 0
		.amdhsa_exception_fp_ieee_overflow 0
		.amdhsa_exception_fp_ieee_underflow 0
		.amdhsa_exception_fp_ieee_inexact 0
		.amdhsa_exception_int_div_zero 0
	.end_amdhsa_kernel
	.section	.text._ZN7rocprim17ROCPRIM_400000_NS6detail17trampoline_kernelINS0_14default_configENS1_36segmented_radix_sort_config_selectorIhlEEZNS1_25segmented_radix_sort_implIS3_Lb1EPKhPhPKlPlN2at6native12_GLOBAL__N_18offset_tEEE10hipError_tPvRmT1_PNSt15iterator_traitsISK_E10value_typeET2_T3_PNSL_ISQ_E10value_typeET4_jRbjT5_SW_jjP12ihipStream_tbEUlT_E2_NS1_11comp_targetILNS1_3genE8ELNS1_11target_archE1030ELNS1_3gpuE2ELNS1_3repE0EEENS1_30default_config_static_selectorELNS0_4arch9wavefront6targetE0EEEvSK_,"axG",@progbits,_ZN7rocprim17ROCPRIM_400000_NS6detail17trampoline_kernelINS0_14default_configENS1_36segmented_radix_sort_config_selectorIhlEEZNS1_25segmented_radix_sort_implIS3_Lb1EPKhPhPKlPlN2at6native12_GLOBAL__N_18offset_tEEE10hipError_tPvRmT1_PNSt15iterator_traitsISK_E10value_typeET2_T3_PNSL_ISQ_E10value_typeET4_jRbjT5_SW_jjP12ihipStream_tbEUlT_E2_NS1_11comp_targetILNS1_3genE8ELNS1_11target_archE1030ELNS1_3gpuE2ELNS1_3repE0EEENS1_30default_config_static_selectorELNS0_4arch9wavefront6targetE0EEEvSK_,comdat
.Lfunc_end121:
	.size	_ZN7rocprim17ROCPRIM_400000_NS6detail17trampoline_kernelINS0_14default_configENS1_36segmented_radix_sort_config_selectorIhlEEZNS1_25segmented_radix_sort_implIS3_Lb1EPKhPhPKlPlN2at6native12_GLOBAL__N_18offset_tEEE10hipError_tPvRmT1_PNSt15iterator_traitsISK_E10value_typeET2_T3_PNSL_ISQ_E10value_typeET4_jRbjT5_SW_jjP12ihipStream_tbEUlT_E2_NS1_11comp_targetILNS1_3genE8ELNS1_11target_archE1030ELNS1_3gpuE2ELNS1_3repE0EEENS1_30default_config_static_selectorELNS0_4arch9wavefront6targetE0EEEvSK_, .Lfunc_end121-_ZN7rocprim17ROCPRIM_400000_NS6detail17trampoline_kernelINS0_14default_configENS1_36segmented_radix_sort_config_selectorIhlEEZNS1_25segmented_radix_sort_implIS3_Lb1EPKhPhPKlPlN2at6native12_GLOBAL__N_18offset_tEEE10hipError_tPvRmT1_PNSt15iterator_traitsISK_E10value_typeET2_T3_PNSL_ISQ_E10value_typeET4_jRbjT5_SW_jjP12ihipStream_tbEUlT_E2_NS1_11comp_targetILNS1_3genE8ELNS1_11target_archE1030ELNS1_3gpuE2ELNS1_3repE0EEENS1_30default_config_static_selectorELNS0_4arch9wavefront6targetE0EEEvSK_
                                        ; -- End function
	.section	.AMDGPU.csdata,"",@progbits
; Kernel info:
; codeLenInByte = 0
; NumSgprs: 0
; NumVgprs: 0
; ScratchSize: 0
; MemoryBound: 0
; FloatMode: 240
; IeeeMode: 1
; LDSByteSize: 0 bytes/workgroup (compile time only)
; SGPRBlocks: 0
; VGPRBlocks: 0
; NumSGPRsForWavesPerEU: 1
; NumVGPRsForWavesPerEU: 1
; Occupancy: 16
; WaveLimiterHint : 0
; COMPUTE_PGM_RSRC2:SCRATCH_EN: 0
; COMPUTE_PGM_RSRC2:USER_SGPR: 15
; COMPUTE_PGM_RSRC2:TRAP_HANDLER: 0
; COMPUTE_PGM_RSRC2:TGID_X_EN: 1
; COMPUTE_PGM_RSRC2:TGID_Y_EN: 0
; COMPUTE_PGM_RSRC2:TGID_Z_EN: 0
; COMPUTE_PGM_RSRC2:TIDIG_COMP_CNT: 0
	.section	.text._ZN7rocprim17ROCPRIM_400000_NS6detail17trampoline_kernelINS0_13select_configILj256ELj13ELNS0_17block_load_methodE3ELS4_3ELS4_3ELNS0_20block_scan_algorithmE0ELj4294967295EEENS1_25partition_config_selectorILNS1_17partition_subalgoE4EjNS0_10empty_typeEbEEZZNS1_14partition_implILS8_4ELb0ES6_15HIP_vector_typeIjLj2EENS0_17counting_iteratorIjlEEPS9_SG_NS0_5tupleIJPjSI_NS0_16reverse_iteratorISI_EEEEENSH_IJSG_SG_SG_EEES9_SI_JZNS1_25segmented_radix_sort_implINS0_14default_configELb0EPKhPhPKlPlN2at6native12_GLOBAL__N_18offset_tEEE10hipError_tPvRmT1_PNSt15iterator_traitsIS12_E10value_typeET2_T3_PNS13_IS18_E10value_typeET4_jRbjT5_S1E_jjP12ihipStream_tbEUljE_ZNSN_ISO_Lb0ESQ_SR_ST_SU_SY_EESZ_S10_S11_S12_S16_S17_S18_S1B_S1C_jS1D_jS1E_S1E_jjS1G_bEUljE0_EEESZ_S10_S11_S18_S1C_S1E_T6_T7_T9_mT8_S1G_bDpT10_ENKUlT_T0_E_clISt17integral_constantIbLb0EES1U_EEDaS1P_S1Q_EUlS1P_E_NS1_11comp_targetILNS1_3genE0ELNS1_11target_archE4294967295ELNS1_3gpuE0ELNS1_3repE0EEENS1_30default_config_static_selectorELNS0_4arch9wavefront6targetE0EEEvS12_,"axG",@progbits,_ZN7rocprim17ROCPRIM_400000_NS6detail17trampoline_kernelINS0_13select_configILj256ELj13ELNS0_17block_load_methodE3ELS4_3ELS4_3ELNS0_20block_scan_algorithmE0ELj4294967295EEENS1_25partition_config_selectorILNS1_17partition_subalgoE4EjNS0_10empty_typeEbEEZZNS1_14partition_implILS8_4ELb0ES6_15HIP_vector_typeIjLj2EENS0_17counting_iteratorIjlEEPS9_SG_NS0_5tupleIJPjSI_NS0_16reverse_iteratorISI_EEEEENSH_IJSG_SG_SG_EEES9_SI_JZNS1_25segmented_radix_sort_implINS0_14default_configELb0EPKhPhPKlPlN2at6native12_GLOBAL__N_18offset_tEEE10hipError_tPvRmT1_PNSt15iterator_traitsIS12_E10value_typeET2_T3_PNS13_IS18_E10value_typeET4_jRbjT5_S1E_jjP12ihipStream_tbEUljE_ZNSN_ISO_Lb0ESQ_SR_ST_SU_SY_EESZ_S10_S11_S12_S16_S17_S18_S1B_S1C_jS1D_jS1E_S1E_jjS1G_bEUljE0_EEESZ_S10_S11_S18_S1C_S1E_T6_T7_T9_mT8_S1G_bDpT10_ENKUlT_T0_E_clISt17integral_constantIbLb0EES1U_EEDaS1P_S1Q_EUlS1P_E_NS1_11comp_targetILNS1_3genE0ELNS1_11target_archE4294967295ELNS1_3gpuE0ELNS1_3repE0EEENS1_30default_config_static_selectorELNS0_4arch9wavefront6targetE0EEEvS12_,comdat
	.globl	_ZN7rocprim17ROCPRIM_400000_NS6detail17trampoline_kernelINS0_13select_configILj256ELj13ELNS0_17block_load_methodE3ELS4_3ELS4_3ELNS0_20block_scan_algorithmE0ELj4294967295EEENS1_25partition_config_selectorILNS1_17partition_subalgoE4EjNS0_10empty_typeEbEEZZNS1_14partition_implILS8_4ELb0ES6_15HIP_vector_typeIjLj2EENS0_17counting_iteratorIjlEEPS9_SG_NS0_5tupleIJPjSI_NS0_16reverse_iteratorISI_EEEEENSH_IJSG_SG_SG_EEES9_SI_JZNS1_25segmented_radix_sort_implINS0_14default_configELb0EPKhPhPKlPlN2at6native12_GLOBAL__N_18offset_tEEE10hipError_tPvRmT1_PNSt15iterator_traitsIS12_E10value_typeET2_T3_PNS13_IS18_E10value_typeET4_jRbjT5_S1E_jjP12ihipStream_tbEUljE_ZNSN_ISO_Lb0ESQ_SR_ST_SU_SY_EESZ_S10_S11_S12_S16_S17_S18_S1B_S1C_jS1D_jS1E_S1E_jjS1G_bEUljE0_EEESZ_S10_S11_S18_S1C_S1E_T6_T7_T9_mT8_S1G_bDpT10_ENKUlT_T0_E_clISt17integral_constantIbLb0EES1U_EEDaS1P_S1Q_EUlS1P_E_NS1_11comp_targetILNS1_3genE0ELNS1_11target_archE4294967295ELNS1_3gpuE0ELNS1_3repE0EEENS1_30default_config_static_selectorELNS0_4arch9wavefront6targetE0EEEvS12_ ; -- Begin function _ZN7rocprim17ROCPRIM_400000_NS6detail17trampoline_kernelINS0_13select_configILj256ELj13ELNS0_17block_load_methodE3ELS4_3ELS4_3ELNS0_20block_scan_algorithmE0ELj4294967295EEENS1_25partition_config_selectorILNS1_17partition_subalgoE4EjNS0_10empty_typeEbEEZZNS1_14partition_implILS8_4ELb0ES6_15HIP_vector_typeIjLj2EENS0_17counting_iteratorIjlEEPS9_SG_NS0_5tupleIJPjSI_NS0_16reverse_iteratorISI_EEEEENSH_IJSG_SG_SG_EEES9_SI_JZNS1_25segmented_radix_sort_implINS0_14default_configELb0EPKhPhPKlPlN2at6native12_GLOBAL__N_18offset_tEEE10hipError_tPvRmT1_PNSt15iterator_traitsIS12_E10value_typeET2_T3_PNS13_IS18_E10value_typeET4_jRbjT5_S1E_jjP12ihipStream_tbEUljE_ZNSN_ISO_Lb0ESQ_SR_ST_SU_SY_EESZ_S10_S11_S12_S16_S17_S18_S1B_S1C_jS1D_jS1E_S1E_jjS1G_bEUljE0_EEESZ_S10_S11_S18_S1C_S1E_T6_T7_T9_mT8_S1G_bDpT10_ENKUlT_T0_E_clISt17integral_constantIbLb0EES1U_EEDaS1P_S1Q_EUlS1P_E_NS1_11comp_targetILNS1_3genE0ELNS1_11target_archE4294967295ELNS1_3gpuE0ELNS1_3repE0EEENS1_30default_config_static_selectorELNS0_4arch9wavefront6targetE0EEEvS12_
	.p2align	8
	.type	_ZN7rocprim17ROCPRIM_400000_NS6detail17trampoline_kernelINS0_13select_configILj256ELj13ELNS0_17block_load_methodE3ELS4_3ELS4_3ELNS0_20block_scan_algorithmE0ELj4294967295EEENS1_25partition_config_selectorILNS1_17partition_subalgoE4EjNS0_10empty_typeEbEEZZNS1_14partition_implILS8_4ELb0ES6_15HIP_vector_typeIjLj2EENS0_17counting_iteratorIjlEEPS9_SG_NS0_5tupleIJPjSI_NS0_16reverse_iteratorISI_EEEEENSH_IJSG_SG_SG_EEES9_SI_JZNS1_25segmented_radix_sort_implINS0_14default_configELb0EPKhPhPKlPlN2at6native12_GLOBAL__N_18offset_tEEE10hipError_tPvRmT1_PNSt15iterator_traitsIS12_E10value_typeET2_T3_PNS13_IS18_E10value_typeET4_jRbjT5_S1E_jjP12ihipStream_tbEUljE_ZNSN_ISO_Lb0ESQ_SR_ST_SU_SY_EESZ_S10_S11_S12_S16_S17_S18_S1B_S1C_jS1D_jS1E_S1E_jjS1G_bEUljE0_EEESZ_S10_S11_S18_S1C_S1E_T6_T7_T9_mT8_S1G_bDpT10_ENKUlT_T0_E_clISt17integral_constantIbLb0EES1U_EEDaS1P_S1Q_EUlS1P_E_NS1_11comp_targetILNS1_3genE0ELNS1_11target_archE4294967295ELNS1_3gpuE0ELNS1_3repE0EEENS1_30default_config_static_selectorELNS0_4arch9wavefront6targetE0EEEvS12_,@function
_ZN7rocprim17ROCPRIM_400000_NS6detail17trampoline_kernelINS0_13select_configILj256ELj13ELNS0_17block_load_methodE3ELS4_3ELS4_3ELNS0_20block_scan_algorithmE0ELj4294967295EEENS1_25partition_config_selectorILNS1_17partition_subalgoE4EjNS0_10empty_typeEbEEZZNS1_14partition_implILS8_4ELb0ES6_15HIP_vector_typeIjLj2EENS0_17counting_iteratorIjlEEPS9_SG_NS0_5tupleIJPjSI_NS0_16reverse_iteratorISI_EEEEENSH_IJSG_SG_SG_EEES9_SI_JZNS1_25segmented_radix_sort_implINS0_14default_configELb0EPKhPhPKlPlN2at6native12_GLOBAL__N_18offset_tEEE10hipError_tPvRmT1_PNSt15iterator_traitsIS12_E10value_typeET2_T3_PNS13_IS18_E10value_typeET4_jRbjT5_S1E_jjP12ihipStream_tbEUljE_ZNSN_ISO_Lb0ESQ_SR_ST_SU_SY_EESZ_S10_S11_S12_S16_S17_S18_S1B_S1C_jS1D_jS1E_S1E_jjS1G_bEUljE0_EEESZ_S10_S11_S18_S1C_S1E_T6_T7_T9_mT8_S1G_bDpT10_ENKUlT_T0_E_clISt17integral_constantIbLb0EES1U_EEDaS1P_S1Q_EUlS1P_E_NS1_11comp_targetILNS1_3genE0ELNS1_11target_archE4294967295ELNS1_3gpuE0ELNS1_3repE0EEENS1_30default_config_static_selectorELNS0_4arch9wavefront6targetE0EEEvS12_: ; @_ZN7rocprim17ROCPRIM_400000_NS6detail17trampoline_kernelINS0_13select_configILj256ELj13ELNS0_17block_load_methodE3ELS4_3ELS4_3ELNS0_20block_scan_algorithmE0ELj4294967295EEENS1_25partition_config_selectorILNS1_17partition_subalgoE4EjNS0_10empty_typeEbEEZZNS1_14partition_implILS8_4ELb0ES6_15HIP_vector_typeIjLj2EENS0_17counting_iteratorIjlEEPS9_SG_NS0_5tupleIJPjSI_NS0_16reverse_iteratorISI_EEEEENSH_IJSG_SG_SG_EEES9_SI_JZNS1_25segmented_radix_sort_implINS0_14default_configELb0EPKhPhPKlPlN2at6native12_GLOBAL__N_18offset_tEEE10hipError_tPvRmT1_PNSt15iterator_traitsIS12_E10value_typeET2_T3_PNS13_IS18_E10value_typeET4_jRbjT5_S1E_jjP12ihipStream_tbEUljE_ZNSN_ISO_Lb0ESQ_SR_ST_SU_SY_EESZ_S10_S11_S12_S16_S17_S18_S1B_S1C_jS1D_jS1E_S1E_jjS1G_bEUljE0_EEESZ_S10_S11_S18_S1C_S1E_T6_T7_T9_mT8_S1G_bDpT10_ENKUlT_T0_E_clISt17integral_constantIbLb0EES1U_EEDaS1P_S1Q_EUlS1P_E_NS1_11comp_targetILNS1_3genE0ELNS1_11target_archE4294967295ELNS1_3gpuE0ELNS1_3repE0EEENS1_30default_config_static_selectorELNS0_4arch9wavefront6targetE0EEEvS12_
; %bb.0:
	.section	.rodata,"a",@progbits
	.p2align	6, 0x0
	.amdhsa_kernel _ZN7rocprim17ROCPRIM_400000_NS6detail17trampoline_kernelINS0_13select_configILj256ELj13ELNS0_17block_load_methodE3ELS4_3ELS4_3ELNS0_20block_scan_algorithmE0ELj4294967295EEENS1_25partition_config_selectorILNS1_17partition_subalgoE4EjNS0_10empty_typeEbEEZZNS1_14partition_implILS8_4ELb0ES6_15HIP_vector_typeIjLj2EENS0_17counting_iteratorIjlEEPS9_SG_NS0_5tupleIJPjSI_NS0_16reverse_iteratorISI_EEEEENSH_IJSG_SG_SG_EEES9_SI_JZNS1_25segmented_radix_sort_implINS0_14default_configELb0EPKhPhPKlPlN2at6native12_GLOBAL__N_18offset_tEEE10hipError_tPvRmT1_PNSt15iterator_traitsIS12_E10value_typeET2_T3_PNS13_IS18_E10value_typeET4_jRbjT5_S1E_jjP12ihipStream_tbEUljE_ZNSN_ISO_Lb0ESQ_SR_ST_SU_SY_EESZ_S10_S11_S12_S16_S17_S18_S1B_S1C_jS1D_jS1E_S1E_jjS1G_bEUljE0_EEESZ_S10_S11_S18_S1C_S1E_T6_T7_T9_mT8_S1G_bDpT10_ENKUlT_T0_E_clISt17integral_constantIbLb0EES1U_EEDaS1P_S1Q_EUlS1P_E_NS1_11comp_targetILNS1_3genE0ELNS1_11target_archE4294967295ELNS1_3gpuE0ELNS1_3repE0EEENS1_30default_config_static_selectorELNS0_4arch9wavefront6targetE0EEEvS12_
		.amdhsa_group_segment_fixed_size 0
		.amdhsa_private_segment_fixed_size 0
		.amdhsa_kernarg_size 176
		.amdhsa_user_sgpr_count 15
		.amdhsa_user_sgpr_dispatch_ptr 0
		.amdhsa_user_sgpr_queue_ptr 0
		.amdhsa_user_sgpr_kernarg_segment_ptr 1
		.amdhsa_user_sgpr_dispatch_id 0
		.amdhsa_user_sgpr_private_segment_size 0
		.amdhsa_wavefront_size32 1
		.amdhsa_uses_dynamic_stack 0
		.amdhsa_enable_private_segment 0
		.amdhsa_system_sgpr_workgroup_id_x 1
		.amdhsa_system_sgpr_workgroup_id_y 0
		.amdhsa_system_sgpr_workgroup_id_z 0
		.amdhsa_system_sgpr_workgroup_info 0
		.amdhsa_system_vgpr_workitem_id 0
		.amdhsa_next_free_vgpr 1
		.amdhsa_next_free_sgpr 1
		.amdhsa_reserve_vcc 0
		.amdhsa_float_round_mode_32 0
		.amdhsa_float_round_mode_16_64 0
		.amdhsa_float_denorm_mode_32 3
		.amdhsa_float_denorm_mode_16_64 3
		.amdhsa_dx10_clamp 1
		.amdhsa_ieee_mode 1
		.amdhsa_fp16_overflow 0
		.amdhsa_workgroup_processor_mode 1
		.amdhsa_memory_ordered 1
		.amdhsa_forward_progress 0
		.amdhsa_shared_vgpr_count 0
		.amdhsa_exception_fp_ieee_invalid_op 0
		.amdhsa_exception_fp_denorm_src 0
		.amdhsa_exception_fp_ieee_div_zero 0
		.amdhsa_exception_fp_ieee_overflow 0
		.amdhsa_exception_fp_ieee_underflow 0
		.amdhsa_exception_fp_ieee_inexact 0
		.amdhsa_exception_int_div_zero 0
	.end_amdhsa_kernel
	.section	.text._ZN7rocprim17ROCPRIM_400000_NS6detail17trampoline_kernelINS0_13select_configILj256ELj13ELNS0_17block_load_methodE3ELS4_3ELS4_3ELNS0_20block_scan_algorithmE0ELj4294967295EEENS1_25partition_config_selectorILNS1_17partition_subalgoE4EjNS0_10empty_typeEbEEZZNS1_14partition_implILS8_4ELb0ES6_15HIP_vector_typeIjLj2EENS0_17counting_iteratorIjlEEPS9_SG_NS0_5tupleIJPjSI_NS0_16reverse_iteratorISI_EEEEENSH_IJSG_SG_SG_EEES9_SI_JZNS1_25segmented_radix_sort_implINS0_14default_configELb0EPKhPhPKlPlN2at6native12_GLOBAL__N_18offset_tEEE10hipError_tPvRmT1_PNSt15iterator_traitsIS12_E10value_typeET2_T3_PNS13_IS18_E10value_typeET4_jRbjT5_S1E_jjP12ihipStream_tbEUljE_ZNSN_ISO_Lb0ESQ_SR_ST_SU_SY_EESZ_S10_S11_S12_S16_S17_S18_S1B_S1C_jS1D_jS1E_S1E_jjS1G_bEUljE0_EEESZ_S10_S11_S18_S1C_S1E_T6_T7_T9_mT8_S1G_bDpT10_ENKUlT_T0_E_clISt17integral_constantIbLb0EES1U_EEDaS1P_S1Q_EUlS1P_E_NS1_11comp_targetILNS1_3genE0ELNS1_11target_archE4294967295ELNS1_3gpuE0ELNS1_3repE0EEENS1_30default_config_static_selectorELNS0_4arch9wavefront6targetE0EEEvS12_,"axG",@progbits,_ZN7rocprim17ROCPRIM_400000_NS6detail17trampoline_kernelINS0_13select_configILj256ELj13ELNS0_17block_load_methodE3ELS4_3ELS4_3ELNS0_20block_scan_algorithmE0ELj4294967295EEENS1_25partition_config_selectorILNS1_17partition_subalgoE4EjNS0_10empty_typeEbEEZZNS1_14partition_implILS8_4ELb0ES6_15HIP_vector_typeIjLj2EENS0_17counting_iteratorIjlEEPS9_SG_NS0_5tupleIJPjSI_NS0_16reverse_iteratorISI_EEEEENSH_IJSG_SG_SG_EEES9_SI_JZNS1_25segmented_radix_sort_implINS0_14default_configELb0EPKhPhPKlPlN2at6native12_GLOBAL__N_18offset_tEEE10hipError_tPvRmT1_PNSt15iterator_traitsIS12_E10value_typeET2_T3_PNS13_IS18_E10value_typeET4_jRbjT5_S1E_jjP12ihipStream_tbEUljE_ZNSN_ISO_Lb0ESQ_SR_ST_SU_SY_EESZ_S10_S11_S12_S16_S17_S18_S1B_S1C_jS1D_jS1E_S1E_jjS1G_bEUljE0_EEESZ_S10_S11_S18_S1C_S1E_T6_T7_T9_mT8_S1G_bDpT10_ENKUlT_T0_E_clISt17integral_constantIbLb0EES1U_EEDaS1P_S1Q_EUlS1P_E_NS1_11comp_targetILNS1_3genE0ELNS1_11target_archE4294967295ELNS1_3gpuE0ELNS1_3repE0EEENS1_30default_config_static_selectorELNS0_4arch9wavefront6targetE0EEEvS12_,comdat
.Lfunc_end122:
	.size	_ZN7rocprim17ROCPRIM_400000_NS6detail17trampoline_kernelINS0_13select_configILj256ELj13ELNS0_17block_load_methodE3ELS4_3ELS4_3ELNS0_20block_scan_algorithmE0ELj4294967295EEENS1_25partition_config_selectorILNS1_17partition_subalgoE4EjNS0_10empty_typeEbEEZZNS1_14partition_implILS8_4ELb0ES6_15HIP_vector_typeIjLj2EENS0_17counting_iteratorIjlEEPS9_SG_NS0_5tupleIJPjSI_NS0_16reverse_iteratorISI_EEEEENSH_IJSG_SG_SG_EEES9_SI_JZNS1_25segmented_radix_sort_implINS0_14default_configELb0EPKhPhPKlPlN2at6native12_GLOBAL__N_18offset_tEEE10hipError_tPvRmT1_PNSt15iterator_traitsIS12_E10value_typeET2_T3_PNS13_IS18_E10value_typeET4_jRbjT5_S1E_jjP12ihipStream_tbEUljE_ZNSN_ISO_Lb0ESQ_SR_ST_SU_SY_EESZ_S10_S11_S12_S16_S17_S18_S1B_S1C_jS1D_jS1E_S1E_jjS1G_bEUljE0_EEESZ_S10_S11_S18_S1C_S1E_T6_T7_T9_mT8_S1G_bDpT10_ENKUlT_T0_E_clISt17integral_constantIbLb0EES1U_EEDaS1P_S1Q_EUlS1P_E_NS1_11comp_targetILNS1_3genE0ELNS1_11target_archE4294967295ELNS1_3gpuE0ELNS1_3repE0EEENS1_30default_config_static_selectorELNS0_4arch9wavefront6targetE0EEEvS12_, .Lfunc_end122-_ZN7rocprim17ROCPRIM_400000_NS6detail17trampoline_kernelINS0_13select_configILj256ELj13ELNS0_17block_load_methodE3ELS4_3ELS4_3ELNS0_20block_scan_algorithmE0ELj4294967295EEENS1_25partition_config_selectorILNS1_17partition_subalgoE4EjNS0_10empty_typeEbEEZZNS1_14partition_implILS8_4ELb0ES6_15HIP_vector_typeIjLj2EENS0_17counting_iteratorIjlEEPS9_SG_NS0_5tupleIJPjSI_NS0_16reverse_iteratorISI_EEEEENSH_IJSG_SG_SG_EEES9_SI_JZNS1_25segmented_radix_sort_implINS0_14default_configELb0EPKhPhPKlPlN2at6native12_GLOBAL__N_18offset_tEEE10hipError_tPvRmT1_PNSt15iterator_traitsIS12_E10value_typeET2_T3_PNS13_IS18_E10value_typeET4_jRbjT5_S1E_jjP12ihipStream_tbEUljE_ZNSN_ISO_Lb0ESQ_SR_ST_SU_SY_EESZ_S10_S11_S12_S16_S17_S18_S1B_S1C_jS1D_jS1E_S1E_jjS1G_bEUljE0_EEESZ_S10_S11_S18_S1C_S1E_T6_T7_T9_mT8_S1G_bDpT10_ENKUlT_T0_E_clISt17integral_constantIbLb0EES1U_EEDaS1P_S1Q_EUlS1P_E_NS1_11comp_targetILNS1_3genE0ELNS1_11target_archE4294967295ELNS1_3gpuE0ELNS1_3repE0EEENS1_30default_config_static_selectorELNS0_4arch9wavefront6targetE0EEEvS12_
                                        ; -- End function
	.section	.AMDGPU.csdata,"",@progbits
; Kernel info:
; codeLenInByte = 0
; NumSgprs: 0
; NumVgprs: 0
; ScratchSize: 0
; MemoryBound: 0
; FloatMode: 240
; IeeeMode: 1
; LDSByteSize: 0 bytes/workgroup (compile time only)
; SGPRBlocks: 0
; VGPRBlocks: 0
; NumSGPRsForWavesPerEU: 1
; NumVGPRsForWavesPerEU: 1
; Occupancy: 16
; WaveLimiterHint : 0
; COMPUTE_PGM_RSRC2:SCRATCH_EN: 0
; COMPUTE_PGM_RSRC2:USER_SGPR: 15
; COMPUTE_PGM_RSRC2:TRAP_HANDLER: 0
; COMPUTE_PGM_RSRC2:TGID_X_EN: 1
; COMPUTE_PGM_RSRC2:TGID_Y_EN: 0
; COMPUTE_PGM_RSRC2:TGID_Z_EN: 0
; COMPUTE_PGM_RSRC2:TIDIG_COMP_CNT: 0
	.section	.text._ZN7rocprim17ROCPRIM_400000_NS6detail17trampoline_kernelINS0_13select_configILj256ELj13ELNS0_17block_load_methodE3ELS4_3ELS4_3ELNS0_20block_scan_algorithmE0ELj4294967295EEENS1_25partition_config_selectorILNS1_17partition_subalgoE4EjNS0_10empty_typeEbEEZZNS1_14partition_implILS8_4ELb0ES6_15HIP_vector_typeIjLj2EENS0_17counting_iteratorIjlEEPS9_SG_NS0_5tupleIJPjSI_NS0_16reverse_iteratorISI_EEEEENSH_IJSG_SG_SG_EEES9_SI_JZNS1_25segmented_radix_sort_implINS0_14default_configELb0EPKhPhPKlPlN2at6native12_GLOBAL__N_18offset_tEEE10hipError_tPvRmT1_PNSt15iterator_traitsIS12_E10value_typeET2_T3_PNS13_IS18_E10value_typeET4_jRbjT5_S1E_jjP12ihipStream_tbEUljE_ZNSN_ISO_Lb0ESQ_SR_ST_SU_SY_EESZ_S10_S11_S12_S16_S17_S18_S1B_S1C_jS1D_jS1E_S1E_jjS1G_bEUljE0_EEESZ_S10_S11_S18_S1C_S1E_T6_T7_T9_mT8_S1G_bDpT10_ENKUlT_T0_E_clISt17integral_constantIbLb0EES1U_EEDaS1P_S1Q_EUlS1P_E_NS1_11comp_targetILNS1_3genE5ELNS1_11target_archE942ELNS1_3gpuE9ELNS1_3repE0EEENS1_30default_config_static_selectorELNS0_4arch9wavefront6targetE0EEEvS12_,"axG",@progbits,_ZN7rocprim17ROCPRIM_400000_NS6detail17trampoline_kernelINS0_13select_configILj256ELj13ELNS0_17block_load_methodE3ELS4_3ELS4_3ELNS0_20block_scan_algorithmE0ELj4294967295EEENS1_25partition_config_selectorILNS1_17partition_subalgoE4EjNS0_10empty_typeEbEEZZNS1_14partition_implILS8_4ELb0ES6_15HIP_vector_typeIjLj2EENS0_17counting_iteratorIjlEEPS9_SG_NS0_5tupleIJPjSI_NS0_16reverse_iteratorISI_EEEEENSH_IJSG_SG_SG_EEES9_SI_JZNS1_25segmented_radix_sort_implINS0_14default_configELb0EPKhPhPKlPlN2at6native12_GLOBAL__N_18offset_tEEE10hipError_tPvRmT1_PNSt15iterator_traitsIS12_E10value_typeET2_T3_PNS13_IS18_E10value_typeET4_jRbjT5_S1E_jjP12ihipStream_tbEUljE_ZNSN_ISO_Lb0ESQ_SR_ST_SU_SY_EESZ_S10_S11_S12_S16_S17_S18_S1B_S1C_jS1D_jS1E_S1E_jjS1G_bEUljE0_EEESZ_S10_S11_S18_S1C_S1E_T6_T7_T9_mT8_S1G_bDpT10_ENKUlT_T0_E_clISt17integral_constantIbLb0EES1U_EEDaS1P_S1Q_EUlS1P_E_NS1_11comp_targetILNS1_3genE5ELNS1_11target_archE942ELNS1_3gpuE9ELNS1_3repE0EEENS1_30default_config_static_selectorELNS0_4arch9wavefront6targetE0EEEvS12_,comdat
	.globl	_ZN7rocprim17ROCPRIM_400000_NS6detail17trampoline_kernelINS0_13select_configILj256ELj13ELNS0_17block_load_methodE3ELS4_3ELS4_3ELNS0_20block_scan_algorithmE0ELj4294967295EEENS1_25partition_config_selectorILNS1_17partition_subalgoE4EjNS0_10empty_typeEbEEZZNS1_14partition_implILS8_4ELb0ES6_15HIP_vector_typeIjLj2EENS0_17counting_iteratorIjlEEPS9_SG_NS0_5tupleIJPjSI_NS0_16reverse_iteratorISI_EEEEENSH_IJSG_SG_SG_EEES9_SI_JZNS1_25segmented_radix_sort_implINS0_14default_configELb0EPKhPhPKlPlN2at6native12_GLOBAL__N_18offset_tEEE10hipError_tPvRmT1_PNSt15iterator_traitsIS12_E10value_typeET2_T3_PNS13_IS18_E10value_typeET4_jRbjT5_S1E_jjP12ihipStream_tbEUljE_ZNSN_ISO_Lb0ESQ_SR_ST_SU_SY_EESZ_S10_S11_S12_S16_S17_S18_S1B_S1C_jS1D_jS1E_S1E_jjS1G_bEUljE0_EEESZ_S10_S11_S18_S1C_S1E_T6_T7_T9_mT8_S1G_bDpT10_ENKUlT_T0_E_clISt17integral_constantIbLb0EES1U_EEDaS1P_S1Q_EUlS1P_E_NS1_11comp_targetILNS1_3genE5ELNS1_11target_archE942ELNS1_3gpuE9ELNS1_3repE0EEENS1_30default_config_static_selectorELNS0_4arch9wavefront6targetE0EEEvS12_ ; -- Begin function _ZN7rocprim17ROCPRIM_400000_NS6detail17trampoline_kernelINS0_13select_configILj256ELj13ELNS0_17block_load_methodE3ELS4_3ELS4_3ELNS0_20block_scan_algorithmE0ELj4294967295EEENS1_25partition_config_selectorILNS1_17partition_subalgoE4EjNS0_10empty_typeEbEEZZNS1_14partition_implILS8_4ELb0ES6_15HIP_vector_typeIjLj2EENS0_17counting_iteratorIjlEEPS9_SG_NS0_5tupleIJPjSI_NS0_16reverse_iteratorISI_EEEEENSH_IJSG_SG_SG_EEES9_SI_JZNS1_25segmented_radix_sort_implINS0_14default_configELb0EPKhPhPKlPlN2at6native12_GLOBAL__N_18offset_tEEE10hipError_tPvRmT1_PNSt15iterator_traitsIS12_E10value_typeET2_T3_PNS13_IS18_E10value_typeET4_jRbjT5_S1E_jjP12ihipStream_tbEUljE_ZNSN_ISO_Lb0ESQ_SR_ST_SU_SY_EESZ_S10_S11_S12_S16_S17_S18_S1B_S1C_jS1D_jS1E_S1E_jjS1G_bEUljE0_EEESZ_S10_S11_S18_S1C_S1E_T6_T7_T9_mT8_S1G_bDpT10_ENKUlT_T0_E_clISt17integral_constantIbLb0EES1U_EEDaS1P_S1Q_EUlS1P_E_NS1_11comp_targetILNS1_3genE5ELNS1_11target_archE942ELNS1_3gpuE9ELNS1_3repE0EEENS1_30default_config_static_selectorELNS0_4arch9wavefront6targetE0EEEvS12_
	.p2align	8
	.type	_ZN7rocprim17ROCPRIM_400000_NS6detail17trampoline_kernelINS0_13select_configILj256ELj13ELNS0_17block_load_methodE3ELS4_3ELS4_3ELNS0_20block_scan_algorithmE0ELj4294967295EEENS1_25partition_config_selectorILNS1_17partition_subalgoE4EjNS0_10empty_typeEbEEZZNS1_14partition_implILS8_4ELb0ES6_15HIP_vector_typeIjLj2EENS0_17counting_iteratorIjlEEPS9_SG_NS0_5tupleIJPjSI_NS0_16reverse_iteratorISI_EEEEENSH_IJSG_SG_SG_EEES9_SI_JZNS1_25segmented_radix_sort_implINS0_14default_configELb0EPKhPhPKlPlN2at6native12_GLOBAL__N_18offset_tEEE10hipError_tPvRmT1_PNSt15iterator_traitsIS12_E10value_typeET2_T3_PNS13_IS18_E10value_typeET4_jRbjT5_S1E_jjP12ihipStream_tbEUljE_ZNSN_ISO_Lb0ESQ_SR_ST_SU_SY_EESZ_S10_S11_S12_S16_S17_S18_S1B_S1C_jS1D_jS1E_S1E_jjS1G_bEUljE0_EEESZ_S10_S11_S18_S1C_S1E_T6_T7_T9_mT8_S1G_bDpT10_ENKUlT_T0_E_clISt17integral_constantIbLb0EES1U_EEDaS1P_S1Q_EUlS1P_E_NS1_11comp_targetILNS1_3genE5ELNS1_11target_archE942ELNS1_3gpuE9ELNS1_3repE0EEENS1_30default_config_static_selectorELNS0_4arch9wavefront6targetE0EEEvS12_,@function
_ZN7rocprim17ROCPRIM_400000_NS6detail17trampoline_kernelINS0_13select_configILj256ELj13ELNS0_17block_load_methodE3ELS4_3ELS4_3ELNS0_20block_scan_algorithmE0ELj4294967295EEENS1_25partition_config_selectorILNS1_17partition_subalgoE4EjNS0_10empty_typeEbEEZZNS1_14partition_implILS8_4ELb0ES6_15HIP_vector_typeIjLj2EENS0_17counting_iteratorIjlEEPS9_SG_NS0_5tupleIJPjSI_NS0_16reverse_iteratorISI_EEEEENSH_IJSG_SG_SG_EEES9_SI_JZNS1_25segmented_radix_sort_implINS0_14default_configELb0EPKhPhPKlPlN2at6native12_GLOBAL__N_18offset_tEEE10hipError_tPvRmT1_PNSt15iterator_traitsIS12_E10value_typeET2_T3_PNS13_IS18_E10value_typeET4_jRbjT5_S1E_jjP12ihipStream_tbEUljE_ZNSN_ISO_Lb0ESQ_SR_ST_SU_SY_EESZ_S10_S11_S12_S16_S17_S18_S1B_S1C_jS1D_jS1E_S1E_jjS1G_bEUljE0_EEESZ_S10_S11_S18_S1C_S1E_T6_T7_T9_mT8_S1G_bDpT10_ENKUlT_T0_E_clISt17integral_constantIbLb0EES1U_EEDaS1P_S1Q_EUlS1P_E_NS1_11comp_targetILNS1_3genE5ELNS1_11target_archE942ELNS1_3gpuE9ELNS1_3repE0EEENS1_30default_config_static_selectorELNS0_4arch9wavefront6targetE0EEEvS12_: ; @_ZN7rocprim17ROCPRIM_400000_NS6detail17trampoline_kernelINS0_13select_configILj256ELj13ELNS0_17block_load_methodE3ELS4_3ELS4_3ELNS0_20block_scan_algorithmE0ELj4294967295EEENS1_25partition_config_selectorILNS1_17partition_subalgoE4EjNS0_10empty_typeEbEEZZNS1_14partition_implILS8_4ELb0ES6_15HIP_vector_typeIjLj2EENS0_17counting_iteratorIjlEEPS9_SG_NS0_5tupleIJPjSI_NS0_16reverse_iteratorISI_EEEEENSH_IJSG_SG_SG_EEES9_SI_JZNS1_25segmented_radix_sort_implINS0_14default_configELb0EPKhPhPKlPlN2at6native12_GLOBAL__N_18offset_tEEE10hipError_tPvRmT1_PNSt15iterator_traitsIS12_E10value_typeET2_T3_PNS13_IS18_E10value_typeET4_jRbjT5_S1E_jjP12ihipStream_tbEUljE_ZNSN_ISO_Lb0ESQ_SR_ST_SU_SY_EESZ_S10_S11_S12_S16_S17_S18_S1B_S1C_jS1D_jS1E_S1E_jjS1G_bEUljE0_EEESZ_S10_S11_S18_S1C_S1E_T6_T7_T9_mT8_S1G_bDpT10_ENKUlT_T0_E_clISt17integral_constantIbLb0EES1U_EEDaS1P_S1Q_EUlS1P_E_NS1_11comp_targetILNS1_3genE5ELNS1_11target_archE942ELNS1_3gpuE9ELNS1_3repE0EEENS1_30default_config_static_selectorELNS0_4arch9wavefront6targetE0EEEvS12_
; %bb.0:
	.section	.rodata,"a",@progbits
	.p2align	6, 0x0
	.amdhsa_kernel _ZN7rocprim17ROCPRIM_400000_NS6detail17trampoline_kernelINS0_13select_configILj256ELj13ELNS0_17block_load_methodE3ELS4_3ELS4_3ELNS0_20block_scan_algorithmE0ELj4294967295EEENS1_25partition_config_selectorILNS1_17partition_subalgoE4EjNS0_10empty_typeEbEEZZNS1_14partition_implILS8_4ELb0ES6_15HIP_vector_typeIjLj2EENS0_17counting_iteratorIjlEEPS9_SG_NS0_5tupleIJPjSI_NS0_16reverse_iteratorISI_EEEEENSH_IJSG_SG_SG_EEES9_SI_JZNS1_25segmented_radix_sort_implINS0_14default_configELb0EPKhPhPKlPlN2at6native12_GLOBAL__N_18offset_tEEE10hipError_tPvRmT1_PNSt15iterator_traitsIS12_E10value_typeET2_T3_PNS13_IS18_E10value_typeET4_jRbjT5_S1E_jjP12ihipStream_tbEUljE_ZNSN_ISO_Lb0ESQ_SR_ST_SU_SY_EESZ_S10_S11_S12_S16_S17_S18_S1B_S1C_jS1D_jS1E_S1E_jjS1G_bEUljE0_EEESZ_S10_S11_S18_S1C_S1E_T6_T7_T9_mT8_S1G_bDpT10_ENKUlT_T0_E_clISt17integral_constantIbLb0EES1U_EEDaS1P_S1Q_EUlS1P_E_NS1_11comp_targetILNS1_3genE5ELNS1_11target_archE942ELNS1_3gpuE9ELNS1_3repE0EEENS1_30default_config_static_selectorELNS0_4arch9wavefront6targetE0EEEvS12_
		.amdhsa_group_segment_fixed_size 0
		.amdhsa_private_segment_fixed_size 0
		.amdhsa_kernarg_size 176
		.amdhsa_user_sgpr_count 15
		.amdhsa_user_sgpr_dispatch_ptr 0
		.amdhsa_user_sgpr_queue_ptr 0
		.amdhsa_user_sgpr_kernarg_segment_ptr 1
		.amdhsa_user_sgpr_dispatch_id 0
		.amdhsa_user_sgpr_private_segment_size 0
		.amdhsa_wavefront_size32 1
		.amdhsa_uses_dynamic_stack 0
		.amdhsa_enable_private_segment 0
		.amdhsa_system_sgpr_workgroup_id_x 1
		.amdhsa_system_sgpr_workgroup_id_y 0
		.amdhsa_system_sgpr_workgroup_id_z 0
		.amdhsa_system_sgpr_workgroup_info 0
		.amdhsa_system_vgpr_workitem_id 0
		.amdhsa_next_free_vgpr 1
		.amdhsa_next_free_sgpr 1
		.amdhsa_reserve_vcc 0
		.amdhsa_float_round_mode_32 0
		.amdhsa_float_round_mode_16_64 0
		.amdhsa_float_denorm_mode_32 3
		.amdhsa_float_denorm_mode_16_64 3
		.amdhsa_dx10_clamp 1
		.amdhsa_ieee_mode 1
		.amdhsa_fp16_overflow 0
		.amdhsa_workgroup_processor_mode 1
		.amdhsa_memory_ordered 1
		.amdhsa_forward_progress 0
		.amdhsa_shared_vgpr_count 0
		.amdhsa_exception_fp_ieee_invalid_op 0
		.amdhsa_exception_fp_denorm_src 0
		.amdhsa_exception_fp_ieee_div_zero 0
		.amdhsa_exception_fp_ieee_overflow 0
		.amdhsa_exception_fp_ieee_underflow 0
		.amdhsa_exception_fp_ieee_inexact 0
		.amdhsa_exception_int_div_zero 0
	.end_amdhsa_kernel
	.section	.text._ZN7rocprim17ROCPRIM_400000_NS6detail17trampoline_kernelINS0_13select_configILj256ELj13ELNS0_17block_load_methodE3ELS4_3ELS4_3ELNS0_20block_scan_algorithmE0ELj4294967295EEENS1_25partition_config_selectorILNS1_17partition_subalgoE4EjNS0_10empty_typeEbEEZZNS1_14partition_implILS8_4ELb0ES6_15HIP_vector_typeIjLj2EENS0_17counting_iteratorIjlEEPS9_SG_NS0_5tupleIJPjSI_NS0_16reverse_iteratorISI_EEEEENSH_IJSG_SG_SG_EEES9_SI_JZNS1_25segmented_radix_sort_implINS0_14default_configELb0EPKhPhPKlPlN2at6native12_GLOBAL__N_18offset_tEEE10hipError_tPvRmT1_PNSt15iterator_traitsIS12_E10value_typeET2_T3_PNS13_IS18_E10value_typeET4_jRbjT5_S1E_jjP12ihipStream_tbEUljE_ZNSN_ISO_Lb0ESQ_SR_ST_SU_SY_EESZ_S10_S11_S12_S16_S17_S18_S1B_S1C_jS1D_jS1E_S1E_jjS1G_bEUljE0_EEESZ_S10_S11_S18_S1C_S1E_T6_T7_T9_mT8_S1G_bDpT10_ENKUlT_T0_E_clISt17integral_constantIbLb0EES1U_EEDaS1P_S1Q_EUlS1P_E_NS1_11comp_targetILNS1_3genE5ELNS1_11target_archE942ELNS1_3gpuE9ELNS1_3repE0EEENS1_30default_config_static_selectorELNS0_4arch9wavefront6targetE0EEEvS12_,"axG",@progbits,_ZN7rocprim17ROCPRIM_400000_NS6detail17trampoline_kernelINS0_13select_configILj256ELj13ELNS0_17block_load_methodE3ELS4_3ELS4_3ELNS0_20block_scan_algorithmE0ELj4294967295EEENS1_25partition_config_selectorILNS1_17partition_subalgoE4EjNS0_10empty_typeEbEEZZNS1_14partition_implILS8_4ELb0ES6_15HIP_vector_typeIjLj2EENS0_17counting_iteratorIjlEEPS9_SG_NS0_5tupleIJPjSI_NS0_16reverse_iteratorISI_EEEEENSH_IJSG_SG_SG_EEES9_SI_JZNS1_25segmented_radix_sort_implINS0_14default_configELb0EPKhPhPKlPlN2at6native12_GLOBAL__N_18offset_tEEE10hipError_tPvRmT1_PNSt15iterator_traitsIS12_E10value_typeET2_T3_PNS13_IS18_E10value_typeET4_jRbjT5_S1E_jjP12ihipStream_tbEUljE_ZNSN_ISO_Lb0ESQ_SR_ST_SU_SY_EESZ_S10_S11_S12_S16_S17_S18_S1B_S1C_jS1D_jS1E_S1E_jjS1G_bEUljE0_EEESZ_S10_S11_S18_S1C_S1E_T6_T7_T9_mT8_S1G_bDpT10_ENKUlT_T0_E_clISt17integral_constantIbLb0EES1U_EEDaS1P_S1Q_EUlS1P_E_NS1_11comp_targetILNS1_3genE5ELNS1_11target_archE942ELNS1_3gpuE9ELNS1_3repE0EEENS1_30default_config_static_selectorELNS0_4arch9wavefront6targetE0EEEvS12_,comdat
.Lfunc_end123:
	.size	_ZN7rocprim17ROCPRIM_400000_NS6detail17trampoline_kernelINS0_13select_configILj256ELj13ELNS0_17block_load_methodE3ELS4_3ELS4_3ELNS0_20block_scan_algorithmE0ELj4294967295EEENS1_25partition_config_selectorILNS1_17partition_subalgoE4EjNS0_10empty_typeEbEEZZNS1_14partition_implILS8_4ELb0ES6_15HIP_vector_typeIjLj2EENS0_17counting_iteratorIjlEEPS9_SG_NS0_5tupleIJPjSI_NS0_16reverse_iteratorISI_EEEEENSH_IJSG_SG_SG_EEES9_SI_JZNS1_25segmented_radix_sort_implINS0_14default_configELb0EPKhPhPKlPlN2at6native12_GLOBAL__N_18offset_tEEE10hipError_tPvRmT1_PNSt15iterator_traitsIS12_E10value_typeET2_T3_PNS13_IS18_E10value_typeET4_jRbjT5_S1E_jjP12ihipStream_tbEUljE_ZNSN_ISO_Lb0ESQ_SR_ST_SU_SY_EESZ_S10_S11_S12_S16_S17_S18_S1B_S1C_jS1D_jS1E_S1E_jjS1G_bEUljE0_EEESZ_S10_S11_S18_S1C_S1E_T6_T7_T9_mT8_S1G_bDpT10_ENKUlT_T0_E_clISt17integral_constantIbLb0EES1U_EEDaS1P_S1Q_EUlS1P_E_NS1_11comp_targetILNS1_3genE5ELNS1_11target_archE942ELNS1_3gpuE9ELNS1_3repE0EEENS1_30default_config_static_selectorELNS0_4arch9wavefront6targetE0EEEvS12_, .Lfunc_end123-_ZN7rocprim17ROCPRIM_400000_NS6detail17trampoline_kernelINS0_13select_configILj256ELj13ELNS0_17block_load_methodE3ELS4_3ELS4_3ELNS0_20block_scan_algorithmE0ELj4294967295EEENS1_25partition_config_selectorILNS1_17partition_subalgoE4EjNS0_10empty_typeEbEEZZNS1_14partition_implILS8_4ELb0ES6_15HIP_vector_typeIjLj2EENS0_17counting_iteratorIjlEEPS9_SG_NS0_5tupleIJPjSI_NS0_16reverse_iteratorISI_EEEEENSH_IJSG_SG_SG_EEES9_SI_JZNS1_25segmented_radix_sort_implINS0_14default_configELb0EPKhPhPKlPlN2at6native12_GLOBAL__N_18offset_tEEE10hipError_tPvRmT1_PNSt15iterator_traitsIS12_E10value_typeET2_T3_PNS13_IS18_E10value_typeET4_jRbjT5_S1E_jjP12ihipStream_tbEUljE_ZNSN_ISO_Lb0ESQ_SR_ST_SU_SY_EESZ_S10_S11_S12_S16_S17_S18_S1B_S1C_jS1D_jS1E_S1E_jjS1G_bEUljE0_EEESZ_S10_S11_S18_S1C_S1E_T6_T7_T9_mT8_S1G_bDpT10_ENKUlT_T0_E_clISt17integral_constantIbLb0EES1U_EEDaS1P_S1Q_EUlS1P_E_NS1_11comp_targetILNS1_3genE5ELNS1_11target_archE942ELNS1_3gpuE9ELNS1_3repE0EEENS1_30default_config_static_selectorELNS0_4arch9wavefront6targetE0EEEvS12_
                                        ; -- End function
	.section	.AMDGPU.csdata,"",@progbits
; Kernel info:
; codeLenInByte = 0
; NumSgprs: 0
; NumVgprs: 0
; ScratchSize: 0
; MemoryBound: 0
; FloatMode: 240
; IeeeMode: 1
; LDSByteSize: 0 bytes/workgroup (compile time only)
; SGPRBlocks: 0
; VGPRBlocks: 0
; NumSGPRsForWavesPerEU: 1
; NumVGPRsForWavesPerEU: 1
; Occupancy: 16
; WaveLimiterHint : 0
; COMPUTE_PGM_RSRC2:SCRATCH_EN: 0
; COMPUTE_PGM_RSRC2:USER_SGPR: 15
; COMPUTE_PGM_RSRC2:TRAP_HANDLER: 0
; COMPUTE_PGM_RSRC2:TGID_X_EN: 1
; COMPUTE_PGM_RSRC2:TGID_Y_EN: 0
; COMPUTE_PGM_RSRC2:TGID_Z_EN: 0
; COMPUTE_PGM_RSRC2:TIDIG_COMP_CNT: 0
	.section	.text._ZN7rocprim17ROCPRIM_400000_NS6detail17trampoline_kernelINS0_13select_configILj256ELj13ELNS0_17block_load_methodE3ELS4_3ELS4_3ELNS0_20block_scan_algorithmE0ELj4294967295EEENS1_25partition_config_selectorILNS1_17partition_subalgoE4EjNS0_10empty_typeEbEEZZNS1_14partition_implILS8_4ELb0ES6_15HIP_vector_typeIjLj2EENS0_17counting_iteratorIjlEEPS9_SG_NS0_5tupleIJPjSI_NS0_16reverse_iteratorISI_EEEEENSH_IJSG_SG_SG_EEES9_SI_JZNS1_25segmented_radix_sort_implINS0_14default_configELb0EPKhPhPKlPlN2at6native12_GLOBAL__N_18offset_tEEE10hipError_tPvRmT1_PNSt15iterator_traitsIS12_E10value_typeET2_T3_PNS13_IS18_E10value_typeET4_jRbjT5_S1E_jjP12ihipStream_tbEUljE_ZNSN_ISO_Lb0ESQ_SR_ST_SU_SY_EESZ_S10_S11_S12_S16_S17_S18_S1B_S1C_jS1D_jS1E_S1E_jjS1G_bEUljE0_EEESZ_S10_S11_S18_S1C_S1E_T6_T7_T9_mT8_S1G_bDpT10_ENKUlT_T0_E_clISt17integral_constantIbLb0EES1U_EEDaS1P_S1Q_EUlS1P_E_NS1_11comp_targetILNS1_3genE4ELNS1_11target_archE910ELNS1_3gpuE8ELNS1_3repE0EEENS1_30default_config_static_selectorELNS0_4arch9wavefront6targetE0EEEvS12_,"axG",@progbits,_ZN7rocprim17ROCPRIM_400000_NS6detail17trampoline_kernelINS0_13select_configILj256ELj13ELNS0_17block_load_methodE3ELS4_3ELS4_3ELNS0_20block_scan_algorithmE0ELj4294967295EEENS1_25partition_config_selectorILNS1_17partition_subalgoE4EjNS0_10empty_typeEbEEZZNS1_14partition_implILS8_4ELb0ES6_15HIP_vector_typeIjLj2EENS0_17counting_iteratorIjlEEPS9_SG_NS0_5tupleIJPjSI_NS0_16reverse_iteratorISI_EEEEENSH_IJSG_SG_SG_EEES9_SI_JZNS1_25segmented_radix_sort_implINS0_14default_configELb0EPKhPhPKlPlN2at6native12_GLOBAL__N_18offset_tEEE10hipError_tPvRmT1_PNSt15iterator_traitsIS12_E10value_typeET2_T3_PNS13_IS18_E10value_typeET4_jRbjT5_S1E_jjP12ihipStream_tbEUljE_ZNSN_ISO_Lb0ESQ_SR_ST_SU_SY_EESZ_S10_S11_S12_S16_S17_S18_S1B_S1C_jS1D_jS1E_S1E_jjS1G_bEUljE0_EEESZ_S10_S11_S18_S1C_S1E_T6_T7_T9_mT8_S1G_bDpT10_ENKUlT_T0_E_clISt17integral_constantIbLb0EES1U_EEDaS1P_S1Q_EUlS1P_E_NS1_11comp_targetILNS1_3genE4ELNS1_11target_archE910ELNS1_3gpuE8ELNS1_3repE0EEENS1_30default_config_static_selectorELNS0_4arch9wavefront6targetE0EEEvS12_,comdat
	.globl	_ZN7rocprim17ROCPRIM_400000_NS6detail17trampoline_kernelINS0_13select_configILj256ELj13ELNS0_17block_load_methodE3ELS4_3ELS4_3ELNS0_20block_scan_algorithmE0ELj4294967295EEENS1_25partition_config_selectorILNS1_17partition_subalgoE4EjNS0_10empty_typeEbEEZZNS1_14partition_implILS8_4ELb0ES6_15HIP_vector_typeIjLj2EENS0_17counting_iteratorIjlEEPS9_SG_NS0_5tupleIJPjSI_NS0_16reverse_iteratorISI_EEEEENSH_IJSG_SG_SG_EEES9_SI_JZNS1_25segmented_radix_sort_implINS0_14default_configELb0EPKhPhPKlPlN2at6native12_GLOBAL__N_18offset_tEEE10hipError_tPvRmT1_PNSt15iterator_traitsIS12_E10value_typeET2_T3_PNS13_IS18_E10value_typeET4_jRbjT5_S1E_jjP12ihipStream_tbEUljE_ZNSN_ISO_Lb0ESQ_SR_ST_SU_SY_EESZ_S10_S11_S12_S16_S17_S18_S1B_S1C_jS1D_jS1E_S1E_jjS1G_bEUljE0_EEESZ_S10_S11_S18_S1C_S1E_T6_T7_T9_mT8_S1G_bDpT10_ENKUlT_T0_E_clISt17integral_constantIbLb0EES1U_EEDaS1P_S1Q_EUlS1P_E_NS1_11comp_targetILNS1_3genE4ELNS1_11target_archE910ELNS1_3gpuE8ELNS1_3repE0EEENS1_30default_config_static_selectorELNS0_4arch9wavefront6targetE0EEEvS12_ ; -- Begin function _ZN7rocprim17ROCPRIM_400000_NS6detail17trampoline_kernelINS0_13select_configILj256ELj13ELNS0_17block_load_methodE3ELS4_3ELS4_3ELNS0_20block_scan_algorithmE0ELj4294967295EEENS1_25partition_config_selectorILNS1_17partition_subalgoE4EjNS0_10empty_typeEbEEZZNS1_14partition_implILS8_4ELb0ES6_15HIP_vector_typeIjLj2EENS0_17counting_iteratorIjlEEPS9_SG_NS0_5tupleIJPjSI_NS0_16reverse_iteratorISI_EEEEENSH_IJSG_SG_SG_EEES9_SI_JZNS1_25segmented_radix_sort_implINS0_14default_configELb0EPKhPhPKlPlN2at6native12_GLOBAL__N_18offset_tEEE10hipError_tPvRmT1_PNSt15iterator_traitsIS12_E10value_typeET2_T3_PNS13_IS18_E10value_typeET4_jRbjT5_S1E_jjP12ihipStream_tbEUljE_ZNSN_ISO_Lb0ESQ_SR_ST_SU_SY_EESZ_S10_S11_S12_S16_S17_S18_S1B_S1C_jS1D_jS1E_S1E_jjS1G_bEUljE0_EEESZ_S10_S11_S18_S1C_S1E_T6_T7_T9_mT8_S1G_bDpT10_ENKUlT_T0_E_clISt17integral_constantIbLb0EES1U_EEDaS1P_S1Q_EUlS1P_E_NS1_11comp_targetILNS1_3genE4ELNS1_11target_archE910ELNS1_3gpuE8ELNS1_3repE0EEENS1_30default_config_static_selectorELNS0_4arch9wavefront6targetE0EEEvS12_
	.p2align	8
	.type	_ZN7rocprim17ROCPRIM_400000_NS6detail17trampoline_kernelINS0_13select_configILj256ELj13ELNS0_17block_load_methodE3ELS4_3ELS4_3ELNS0_20block_scan_algorithmE0ELj4294967295EEENS1_25partition_config_selectorILNS1_17partition_subalgoE4EjNS0_10empty_typeEbEEZZNS1_14partition_implILS8_4ELb0ES6_15HIP_vector_typeIjLj2EENS0_17counting_iteratorIjlEEPS9_SG_NS0_5tupleIJPjSI_NS0_16reverse_iteratorISI_EEEEENSH_IJSG_SG_SG_EEES9_SI_JZNS1_25segmented_radix_sort_implINS0_14default_configELb0EPKhPhPKlPlN2at6native12_GLOBAL__N_18offset_tEEE10hipError_tPvRmT1_PNSt15iterator_traitsIS12_E10value_typeET2_T3_PNS13_IS18_E10value_typeET4_jRbjT5_S1E_jjP12ihipStream_tbEUljE_ZNSN_ISO_Lb0ESQ_SR_ST_SU_SY_EESZ_S10_S11_S12_S16_S17_S18_S1B_S1C_jS1D_jS1E_S1E_jjS1G_bEUljE0_EEESZ_S10_S11_S18_S1C_S1E_T6_T7_T9_mT8_S1G_bDpT10_ENKUlT_T0_E_clISt17integral_constantIbLb0EES1U_EEDaS1P_S1Q_EUlS1P_E_NS1_11comp_targetILNS1_3genE4ELNS1_11target_archE910ELNS1_3gpuE8ELNS1_3repE0EEENS1_30default_config_static_selectorELNS0_4arch9wavefront6targetE0EEEvS12_,@function
_ZN7rocprim17ROCPRIM_400000_NS6detail17trampoline_kernelINS0_13select_configILj256ELj13ELNS0_17block_load_methodE3ELS4_3ELS4_3ELNS0_20block_scan_algorithmE0ELj4294967295EEENS1_25partition_config_selectorILNS1_17partition_subalgoE4EjNS0_10empty_typeEbEEZZNS1_14partition_implILS8_4ELb0ES6_15HIP_vector_typeIjLj2EENS0_17counting_iteratorIjlEEPS9_SG_NS0_5tupleIJPjSI_NS0_16reverse_iteratorISI_EEEEENSH_IJSG_SG_SG_EEES9_SI_JZNS1_25segmented_radix_sort_implINS0_14default_configELb0EPKhPhPKlPlN2at6native12_GLOBAL__N_18offset_tEEE10hipError_tPvRmT1_PNSt15iterator_traitsIS12_E10value_typeET2_T3_PNS13_IS18_E10value_typeET4_jRbjT5_S1E_jjP12ihipStream_tbEUljE_ZNSN_ISO_Lb0ESQ_SR_ST_SU_SY_EESZ_S10_S11_S12_S16_S17_S18_S1B_S1C_jS1D_jS1E_S1E_jjS1G_bEUljE0_EEESZ_S10_S11_S18_S1C_S1E_T6_T7_T9_mT8_S1G_bDpT10_ENKUlT_T0_E_clISt17integral_constantIbLb0EES1U_EEDaS1P_S1Q_EUlS1P_E_NS1_11comp_targetILNS1_3genE4ELNS1_11target_archE910ELNS1_3gpuE8ELNS1_3repE0EEENS1_30default_config_static_selectorELNS0_4arch9wavefront6targetE0EEEvS12_: ; @_ZN7rocprim17ROCPRIM_400000_NS6detail17trampoline_kernelINS0_13select_configILj256ELj13ELNS0_17block_load_methodE3ELS4_3ELS4_3ELNS0_20block_scan_algorithmE0ELj4294967295EEENS1_25partition_config_selectorILNS1_17partition_subalgoE4EjNS0_10empty_typeEbEEZZNS1_14partition_implILS8_4ELb0ES6_15HIP_vector_typeIjLj2EENS0_17counting_iteratorIjlEEPS9_SG_NS0_5tupleIJPjSI_NS0_16reverse_iteratorISI_EEEEENSH_IJSG_SG_SG_EEES9_SI_JZNS1_25segmented_radix_sort_implINS0_14default_configELb0EPKhPhPKlPlN2at6native12_GLOBAL__N_18offset_tEEE10hipError_tPvRmT1_PNSt15iterator_traitsIS12_E10value_typeET2_T3_PNS13_IS18_E10value_typeET4_jRbjT5_S1E_jjP12ihipStream_tbEUljE_ZNSN_ISO_Lb0ESQ_SR_ST_SU_SY_EESZ_S10_S11_S12_S16_S17_S18_S1B_S1C_jS1D_jS1E_S1E_jjS1G_bEUljE0_EEESZ_S10_S11_S18_S1C_S1E_T6_T7_T9_mT8_S1G_bDpT10_ENKUlT_T0_E_clISt17integral_constantIbLb0EES1U_EEDaS1P_S1Q_EUlS1P_E_NS1_11comp_targetILNS1_3genE4ELNS1_11target_archE910ELNS1_3gpuE8ELNS1_3repE0EEENS1_30default_config_static_selectorELNS0_4arch9wavefront6targetE0EEEvS12_
; %bb.0:
	.section	.rodata,"a",@progbits
	.p2align	6, 0x0
	.amdhsa_kernel _ZN7rocprim17ROCPRIM_400000_NS6detail17trampoline_kernelINS0_13select_configILj256ELj13ELNS0_17block_load_methodE3ELS4_3ELS4_3ELNS0_20block_scan_algorithmE0ELj4294967295EEENS1_25partition_config_selectorILNS1_17partition_subalgoE4EjNS0_10empty_typeEbEEZZNS1_14partition_implILS8_4ELb0ES6_15HIP_vector_typeIjLj2EENS0_17counting_iteratorIjlEEPS9_SG_NS0_5tupleIJPjSI_NS0_16reverse_iteratorISI_EEEEENSH_IJSG_SG_SG_EEES9_SI_JZNS1_25segmented_radix_sort_implINS0_14default_configELb0EPKhPhPKlPlN2at6native12_GLOBAL__N_18offset_tEEE10hipError_tPvRmT1_PNSt15iterator_traitsIS12_E10value_typeET2_T3_PNS13_IS18_E10value_typeET4_jRbjT5_S1E_jjP12ihipStream_tbEUljE_ZNSN_ISO_Lb0ESQ_SR_ST_SU_SY_EESZ_S10_S11_S12_S16_S17_S18_S1B_S1C_jS1D_jS1E_S1E_jjS1G_bEUljE0_EEESZ_S10_S11_S18_S1C_S1E_T6_T7_T9_mT8_S1G_bDpT10_ENKUlT_T0_E_clISt17integral_constantIbLb0EES1U_EEDaS1P_S1Q_EUlS1P_E_NS1_11comp_targetILNS1_3genE4ELNS1_11target_archE910ELNS1_3gpuE8ELNS1_3repE0EEENS1_30default_config_static_selectorELNS0_4arch9wavefront6targetE0EEEvS12_
		.amdhsa_group_segment_fixed_size 0
		.amdhsa_private_segment_fixed_size 0
		.amdhsa_kernarg_size 176
		.amdhsa_user_sgpr_count 15
		.amdhsa_user_sgpr_dispatch_ptr 0
		.amdhsa_user_sgpr_queue_ptr 0
		.amdhsa_user_sgpr_kernarg_segment_ptr 1
		.amdhsa_user_sgpr_dispatch_id 0
		.amdhsa_user_sgpr_private_segment_size 0
		.amdhsa_wavefront_size32 1
		.amdhsa_uses_dynamic_stack 0
		.amdhsa_enable_private_segment 0
		.amdhsa_system_sgpr_workgroup_id_x 1
		.amdhsa_system_sgpr_workgroup_id_y 0
		.amdhsa_system_sgpr_workgroup_id_z 0
		.amdhsa_system_sgpr_workgroup_info 0
		.amdhsa_system_vgpr_workitem_id 0
		.amdhsa_next_free_vgpr 1
		.amdhsa_next_free_sgpr 1
		.amdhsa_reserve_vcc 0
		.amdhsa_float_round_mode_32 0
		.amdhsa_float_round_mode_16_64 0
		.amdhsa_float_denorm_mode_32 3
		.amdhsa_float_denorm_mode_16_64 3
		.amdhsa_dx10_clamp 1
		.amdhsa_ieee_mode 1
		.amdhsa_fp16_overflow 0
		.amdhsa_workgroup_processor_mode 1
		.amdhsa_memory_ordered 1
		.amdhsa_forward_progress 0
		.amdhsa_shared_vgpr_count 0
		.amdhsa_exception_fp_ieee_invalid_op 0
		.amdhsa_exception_fp_denorm_src 0
		.amdhsa_exception_fp_ieee_div_zero 0
		.amdhsa_exception_fp_ieee_overflow 0
		.amdhsa_exception_fp_ieee_underflow 0
		.amdhsa_exception_fp_ieee_inexact 0
		.amdhsa_exception_int_div_zero 0
	.end_amdhsa_kernel
	.section	.text._ZN7rocprim17ROCPRIM_400000_NS6detail17trampoline_kernelINS0_13select_configILj256ELj13ELNS0_17block_load_methodE3ELS4_3ELS4_3ELNS0_20block_scan_algorithmE0ELj4294967295EEENS1_25partition_config_selectorILNS1_17partition_subalgoE4EjNS0_10empty_typeEbEEZZNS1_14partition_implILS8_4ELb0ES6_15HIP_vector_typeIjLj2EENS0_17counting_iteratorIjlEEPS9_SG_NS0_5tupleIJPjSI_NS0_16reverse_iteratorISI_EEEEENSH_IJSG_SG_SG_EEES9_SI_JZNS1_25segmented_radix_sort_implINS0_14default_configELb0EPKhPhPKlPlN2at6native12_GLOBAL__N_18offset_tEEE10hipError_tPvRmT1_PNSt15iterator_traitsIS12_E10value_typeET2_T3_PNS13_IS18_E10value_typeET4_jRbjT5_S1E_jjP12ihipStream_tbEUljE_ZNSN_ISO_Lb0ESQ_SR_ST_SU_SY_EESZ_S10_S11_S12_S16_S17_S18_S1B_S1C_jS1D_jS1E_S1E_jjS1G_bEUljE0_EEESZ_S10_S11_S18_S1C_S1E_T6_T7_T9_mT8_S1G_bDpT10_ENKUlT_T0_E_clISt17integral_constantIbLb0EES1U_EEDaS1P_S1Q_EUlS1P_E_NS1_11comp_targetILNS1_3genE4ELNS1_11target_archE910ELNS1_3gpuE8ELNS1_3repE0EEENS1_30default_config_static_selectorELNS0_4arch9wavefront6targetE0EEEvS12_,"axG",@progbits,_ZN7rocprim17ROCPRIM_400000_NS6detail17trampoline_kernelINS0_13select_configILj256ELj13ELNS0_17block_load_methodE3ELS4_3ELS4_3ELNS0_20block_scan_algorithmE0ELj4294967295EEENS1_25partition_config_selectorILNS1_17partition_subalgoE4EjNS0_10empty_typeEbEEZZNS1_14partition_implILS8_4ELb0ES6_15HIP_vector_typeIjLj2EENS0_17counting_iteratorIjlEEPS9_SG_NS0_5tupleIJPjSI_NS0_16reverse_iteratorISI_EEEEENSH_IJSG_SG_SG_EEES9_SI_JZNS1_25segmented_radix_sort_implINS0_14default_configELb0EPKhPhPKlPlN2at6native12_GLOBAL__N_18offset_tEEE10hipError_tPvRmT1_PNSt15iterator_traitsIS12_E10value_typeET2_T3_PNS13_IS18_E10value_typeET4_jRbjT5_S1E_jjP12ihipStream_tbEUljE_ZNSN_ISO_Lb0ESQ_SR_ST_SU_SY_EESZ_S10_S11_S12_S16_S17_S18_S1B_S1C_jS1D_jS1E_S1E_jjS1G_bEUljE0_EEESZ_S10_S11_S18_S1C_S1E_T6_T7_T9_mT8_S1G_bDpT10_ENKUlT_T0_E_clISt17integral_constantIbLb0EES1U_EEDaS1P_S1Q_EUlS1P_E_NS1_11comp_targetILNS1_3genE4ELNS1_11target_archE910ELNS1_3gpuE8ELNS1_3repE0EEENS1_30default_config_static_selectorELNS0_4arch9wavefront6targetE0EEEvS12_,comdat
.Lfunc_end124:
	.size	_ZN7rocprim17ROCPRIM_400000_NS6detail17trampoline_kernelINS0_13select_configILj256ELj13ELNS0_17block_load_methodE3ELS4_3ELS4_3ELNS0_20block_scan_algorithmE0ELj4294967295EEENS1_25partition_config_selectorILNS1_17partition_subalgoE4EjNS0_10empty_typeEbEEZZNS1_14partition_implILS8_4ELb0ES6_15HIP_vector_typeIjLj2EENS0_17counting_iteratorIjlEEPS9_SG_NS0_5tupleIJPjSI_NS0_16reverse_iteratorISI_EEEEENSH_IJSG_SG_SG_EEES9_SI_JZNS1_25segmented_radix_sort_implINS0_14default_configELb0EPKhPhPKlPlN2at6native12_GLOBAL__N_18offset_tEEE10hipError_tPvRmT1_PNSt15iterator_traitsIS12_E10value_typeET2_T3_PNS13_IS18_E10value_typeET4_jRbjT5_S1E_jjP12ihipStream_tbEUljE_ZNSN_ISO_Lb0ESQ_SR_ST_SU_SY_EESZ_S10_S11_S12_S16_S17_S18_S1B_S1C_jS1D_jS1E_S1E_jjS1G_bEUljE0_EEESZ_S10_S11_S18_S1C_S1E_T6_T7_T9_mT8_S1G_bDpT10_ENKUlT_T0_E_clISt17integral_constantIbLb0EES1U_EEDaS1P_S1Q_EUlS1P_E_NS1_11comp_targetILNS1_3genE4ELNS1_11target_archE910ELNS1_3gpuE8ELNS1_3repE0EEENS1_30default_config_static_selectorELNS0_4arch9wavefront6targetE0EEEvS12_, .Lfunc_end124-_ZN7rocprim17ROCPRIM_400000_NS6detail17trampoline_kernelINS0_13select_configILj256ELj13ELNS0_17block_load_methodE3ELS4_3ELS4_3ELNS0_20block_scan_algorithmE0ELj4294967295EEENS1_25partition_config_selectorILNS1_17partition_subalgoE4EjNS0_10empty_typeEbEEZZNS1_14partition_implILS8_4ELb0ES6_15HIP_vector_typeIjLj2EENS0_17counting_iteratorIjlEEPS9_SG_NS0_5tupleIJPjSI_NS0_16reverse_iteratorISI_EEEEENSH_IJSG_SG_SG_EEES9_SI_JZNS1_25segmented_radix_sort_implINS0_14default_configELb0EPKhPhPKlPlN2at6native12_GLOBAL__N_18offset_tEEE10hipError_tPvRmT1_PNSt15iterator_traitsIS12_E10value_typeET2_T3_PNS13_IS18_E10value_typeET4_jRbjT5_S1E_jjP12ihipStream_tbEUljE_ZNSN_ISO_Lb0ESQ_SR_ST_SU_SY_EESZ_S10_S11_S12_S16_S17_S18_S1B_S1C_jS1D_jS1E_S1E_jjS1G_bEUljE0_EEESZ_S10_S11_S18_S1C_S1E_T6_T7_T9_mT8_S1G_bDpT10_ENKUlT_T0_E_clISt17integral_constantIbLb0EES1U_EEDaS1P_S1Q_EUlS1P_E_NS1_11comp_targetILNS1_3genE4ELNS1_11target_archE910ELNS1_3gpuE8ELNS1_3repE0EEENS1_30default_config_static_selectorELNS0_4arch9wavefront6targetE0EEEvS12_
                                        ; -- End function
	.section	.AMDGPU.csdata,"",@progbits
; Kernel info:
; codeLenInByte = 0
; NumSgprs: 0
; NumVgprs: 0
; ScratchSize: 0
; MemoryBound: 0
; FloatMode: 240
; IeeeMode: 1
; LDSByteSize: 0 bytes/workgroup (compile time only)
; SGPRBlocks: 0
; VGPRBlocks: 0
; NumSGPRsForWavesPerEU: 1
; NumVGPRsForWavesPerEU: 1
; Occupancy: 16
; WaveLimiterHint : 0
; COMPUTE_PGM_RSRC2:SCRATCH_EN: 0
; COMPUTE_PGM_RSRC2:USER_SGPR: 15
; COMPUTE_PGM_RSRC2:TRAP_HANDLER: 0
; COMPUTE_PGM_RSRC2:TGID_X_EN: 1
; COMPUTE_PGM_RSRC2:TGID_Y_EN: 0
; COMPUTE_PGM_RSRC2:TGID_Z_EN: 0
; COMPUTE_PGM_RSRC2:TIDIG_COMP_CNT: 0
	.section	.text._ZN7rocprim17ROCPRIM_400000_NS6detail17trampoline_kernelINS0_13select_configILj256ELj13ELNS0_17block_load_methodE3ELS4_3ELS4_3ELNS0_20block_scan_algorithmE0ELj4294967295EEENS1_25partition_config_selectorILNS1_17partition_subalgoE4EjNS0_10empty_typeEbEEZZNS1_14partition_implILS8_4ELb0ES6_15HIP_vector_typeIjLj2EENS0_17counting_iteratorIjlEEPS9_SG_NS0_5tupleIJPjSI_NS0_16reverse_iteratorISI_EEEEENSH_IJSG_SG_SG_EEES9_SI_JZNS1_25segmented_radix_sort_implINS0_14default_configELb0EPKhPhPKlPlN2at6native12_GLOBAL__N_18offset_tEEE10hipError_tPvRmT1_PNSt15iterator_traitsIS12_E10value_typeET2_T3_PNS13_IS18_E10value_typeET4_jRbjT5_S1E_jjP12ihipStream_tbEUljE_ZNSN_ISO_Lb0ESQ_SR_ST_SU_SY_EESZ_S10_S11_S12_S16_S17_S18_S1B_S1C_jS1D_jS1E_S1E_jjS1G_bEUljE0_EEESZ_S10_S11_S18_S1C_S1E_T6_T7_T9_mT8_S1G_bDpT10_ENKUlT_T0_E_clISt17integral_constantIbLb0EES1U_EEDaS1P_S1Q_EUlS1P_E_NS1_11comp_targetILNS1_3genE3ELNS1_11target_archE908ELNS1_3gpuE7ELNS1_3repE0EEENS1_30default_config_static_selectorELNS0_4arch9wavefront6targetE0EEEvS12_,"axG",@progbits,_ZN7rocprim17ROCPRIM_400000_NS6detail17trampoline_kernelINS0_13select_configILj256ELj13ELNS0_17block_load_methodE3ELS4_3ELS4_3ELNS0_20block_scan_algorithmE0ELj4294967295EEENS1_25partition_config_selectorILNS1_17partition_subalgoE4EjNS0_10empty_typeEbEEZZNS1_14partition_implILS8_4ELb0ES6_15HIP_vector_typeIjLj2EENS0_17counting_iteratorIjlEEPS9_SG_NS0_5tupleIJPjSI_NS0_16reverse_iteratorISI_EEEEENSH_IJSG_SG_SG_EEES9_SI_JZNS1_25segmented_radix_sort_implINS0_14default_configELb0EPKhPhPKlPlN2at6native12_GLOBAL__N_18offset_tEEE10hipError_tPvRmT1_PNSt15iterator_traitsIS12_E10value_typeET2_T3_PNS13_IS18_E10value_typeET4_jRbjT5_S1E_jjP12ihipStream_tbEUljE_ZNSN_ISO_Lb0ESQ_SR_ST_SU_SY_EESZ_S10_S11_S12_S16_S17_S18_S1B_S1C_jS1D_jS1E_S1E_jjS1G_bEUljE0_EEESZ_S10_S11_S18_S1C_S1E_T6_T7_T9_mT8_S1G_bDpT10_ENKUlT_T0_E_clISt17integral_constantIbLb0EES1U_EEDaS1P_S1Q_EUlS1P_E_NS1_11comp_targetILNS1_3genE3ELNS1_11target_archE908ELNS1_3gpuE7ELNS1_3repE0EEENS1_30default_config_static_selectorELNS0_4arch9wavefront6targetE0EEEvS12_,comdat
	.globl	_ZN7rocprim17ROCPRIM_400000_NS6detail17trampoline_kernelINS0_13select_configILj256ELj13ELNS0_17block_load_methodE3ELS4_3ELS4_3ELNS0_20block_scan_algorithmE0ELj4294967295EEENS1_25partition_config_selectorILNS1_17partition_subalgoE4EjNS0_10empty_typeEbEEZZNS1_14partition_implILS8_4ELb0ES6_15HIP_vector_typeIjLj2EENS0_17counting_iteratorIjlEEPS9_SG_NS0_5tupleIJPjSI_NS0_16reverse_iteratorISI_EEEEENSH_IJSG_SG_SG_EEES9_SI_JZNS1_25segmented_radix_sort_implINS0_14default_configELb0EPKhPhPKlPlN2at6native12_GLOBAL__N_18offset_tEEE10hipError_tPvRmT1_PNSt15iterator_traitsIS12_E10value_typeET2_T3_PNS13_IS18_E10value_typeET4_jRbjT5_S1E_jjP12ihipStream_tbEUljE_ZNSN_ISO_Lb0ESQ_SR_ST_SU_SY_EESZ_S10_S11_S12_S16_S17_S18_S1B_S1C_jS1D_jS1E_S1E_jjS1G_bEUljE0_EEESZ_S10_S11_S18_S1C_S1E_T6_T7_T9_mT8_S1G_bDpT10_ENKUlT_T0_E_clISt17integral_constantIbLb0EES1U_EEDaS1P_S1Q_EUlS1P_E_NS1_11comp_targetILNS1_3genE3ELNS1_11target_archE908ELNS1_3gpuE7ELNS1_3repE0EEENS1_30default_config_static_selectorELNS0_4arch9wavefront6targetE0EEEvS12_ ; -- Begin function _ZN7rocprim17ROCPRIM_400000_NS6detail17trampoline_kernelINS0_13select_configILj256ELj13ELNS0_17block_load_methodE3ELS4_3ELS4_3ELNS0_20block_scan_algorithmE0ELj4294967295EEENS1_25partition_config_selectorILNS1_17partition_subalgoE4EjNS0_10empty_typeEbEEZZNS1_14partition_implILS8_4ELb0ES6_15HIP_vector_typeIjLj2EENS0_17counting_iteratorIjlEEPS9_SG_NS0_5tupleIJPjSI_NS0_16reverse_iteratorISI_EEEEENSH_IJSG_SG_SG_EEES9_SI_JZNS1_25segmented_radix_sort_implINS0_14default_configELb0EPKhPhPKlPlN2at6native12_GLOBAL__N_18offset_tEEE10hipError_tPvRmT1_PNSt15iterator_traitsIS12_E10value_typeET2_T3_PNS13_IS18_E10value_typeET4_jRbjT5_S1E_jjP12ihipStream_tbEUljE_ZNSN_ISO_Lb0ESQ_SR_ST_SU_SY_EESZ_S10_S11_S12_S16_S17_S18_S1B_S1C_jS1D_jS1E_S1E_jjS1G_bEUljE0_EEESZ_S10_S11_S18_S1C_S1E_T6_T7_T9_mT8_S1G_bDpT10_ENKUlT_T0_E_clISt17integral_constantIbLb0EES1U_EEDaS1P_S1Q_EUlS1P_E_NS1_11comp_targetILNS1_3genE3ELNS1_11target_archE908ELNS1_3gpuE7ELNS1_3repE0EEENS1_30default_config_static_selectorELNS0_4arch9wavefront6targetE0EEEvS12_
	.p2align	8
	.type	_ZN7rocprim17ROCPRIM_400000_NS6detail17trampoline_kernelINS0_13select_configILj256ELj13ELNS0_17block_load_methodE3ELS4_3ELS4_3ELNS0_20block_scan_algorithmE0ELj4294967295EEENS1_25partition_config_selectorILNS1_17partition_subalgoE4EjNS0_10empty_typeEbEEZZNS1_14partition_implILS8_4ELb0ES6_15HIP_vector_typeIjLj2EENS0_17counting_iteratorIjlEEPS9_SG_NS0_5tupleIJPjSI_NS0_16reverse_iteratorISI_EEEEENSH_IJSG_SG_SG_EEES9_SI_JZNS1_25segmented_radix_sort_implINS0_14default_configELb0EPKhPhPKlPlN2at6native12_GLOBAL__N_18offset_tEEE10hipError_tPvRmT1_PNSt15iterator_traitsIS12_E10value_typeET2_T3_PNS13_IS18_E10value_typeET4_jRbjT5_S1E_jjP12ihipStream_tbEUljE_ZNSN_ISO_Lb0ESQ_SR_ST_SU_SY_EESZ_S10_S11_S12_S16_S17_S18_S1B_S1C_jS1D_jS1E_S1E_jjS1G_bEUljE0_EEESZ_S10_S11_S18_S1C_S1E_T6_T7_T9_mT8_S1G_bDpT10_ENKUlT_T0_E_clISt17integral_constantIbLb0EES1U_EEDaS1P_S1Q_EUlS1P_E_NS1_11comp_targetILNS1_3genE3ELNS1_11target_archE908ELNS1_3gpuE7ELNS1_3repE0EEENS1_30default_config_static_selectorELNS0_4arch9wavefront6targetE0EEEvS12_,@function
_ZN7rocprim17ROCPRIM_400000_NS6detail17trampoline_kernelINS0_13select_configILj256ELj13ELNS0_17block_load_methodE3ELS4_3ELS4_3ELNS0_20block_scan_algorithmE0ELj4294967295EEENS1_25partition_config_selectorILNS1_17partition_subalgoE4EjNS0_10empty_typeEbEEZZNS1_14partition_implILS8_4ELb0ES6_15HIP_vector_typeIjLj2EENS0_17counting_iteratorIjlEEPS9_SG_NS0_5tupleIJPjSI_NS0_16reverse_iteratorISI_EEEEENSH_IJSG_SG_SG_EEES9_SI_JZNS1_25segmented_radix_sort_implINS0_14default_configELb0EPKhPhPKlPlN2at6native12_GLOBAL__N_18offset_tEEE10hipError_tPvRmT1_PNSt15iterator_traitsIS12_E10value_typeET2_T3_PNS13_IS18_E10value_typeET4_jRbjT5_S1E_jjP12ihipStream_tbEUljE_ZNSN_ISO_Lb0ESQ_SR_ST_SU_SY_EESZ_S10_S11_S12_S16_S17_S18_S1B_S1C_jS1D_jS1E_S1E_jjS1G_bEUljE0_EEESZ_S10_S11_S18_S1C_S1E_T6_T7_T9_mT8_S1G_bDpT10_ENKUlT_T0_E_clISt17integral_constantIbLb0EES1U_EEDaS1P_S1Q_EUlS1P_E_NS1_11comp_targetILNS1_3genE3ELNS1_11target_archE908ELNS1_3gpuE7ELNS1_3repE0EEENS1_30default_config_static_selectorELNS0_4arch9wavefront6targetE0EEEvS12_: ; @_ZN7rocprim17ROCPRIM_400000_NS6detail17trampoline_kernelINS0_13select_configILj256ELj13ELNS0_17block_load_methodE3ELS4_3ELS4_3ELNS0_20block_scan_algorithmE0ELj4294967295EEENS1_25partition_config_selectorILNS1_17partition_subalgoE4EjNS0_10empty_typeEbEEZZNS1_14partition_implILS8_4ELb0ES6_15HIP_vector_typeIjLj2EENS0_17counting_iteratorIjlEEPS9_SG_NS0_5tupleIJPjSI_NS0_16reverse_iteratorISI_EEEEENSH_IJSG_SG_SG_EEES9_SI_JZNS1_25segmented_radix_sort_implINS0_14default_configELb0EPKhPhPKlPlN2at6native12_GLOBAL__N_18offset_tEEE10hipError_tPvRmT1_PNSt15iterator_traitsIS12_E10value_typeET2_T3_PNS13_IS18_E10value_typeET4_jRbjT5_S1E_jjP12ihipStream_tbEUljE_ZNSN_ISO_Lb0ESQ_SR_ST_SU_SY_EESZ_S10_S11_S12_S16_S17_S18_S1B_S1C_jS1D_jS1E_S1E_jjS1G_bEUljE0_EEESZ_S10_S11_S18_S1C_S1E_T6_T7_T9_mT8_S1G_bDpT10_ENKUlT_T0_E_clISt17integral_constantIbLb0EES1U_EEDaS1P_S1Q_EUlS1P_E_NS1_11comp_targetILNS1_3genE3ELNS1_11target_archE908ELNS1_3gpuE7ELNS1_3repE0EEENS1_30default_config_static_selectorELNS0_4arch9wavefront6targetE0EEEvS12_
; %bb.0:
	.section	.rodata,"a",@progbits
	.p2align	6, 0x0
	.amdhsa_kernel _ZN7rocprim17ROCPRIM_400000_NS6detail17trampoline_kernelINS0_13select_configILj256ELj13ELNS0_17block_load_methodE3ELS4_3ELS4_3ELNS0_20block_scan_algorithmE0ELj4294967295EEENS1_25partition_config_selectorILNS1_17partition_subalgoE4EjNS0_10empty_typeEbEEZZNS1_14partition_implILS8_4ELb0ES6_15HIP_vector_typeIjLj2EENS0_17counting_iteratorIjlEEPS9_SG_NS0_5tupleIJPjSI_NS0_16reverse_iteratorISI_EEEEENSH_IJSG_SG_SG_EEES9_SI_JZNS1_25segmented_radix_sort_implINS0_14default_configELb0EPKhPhPKlPlN2at6native12_GLOBAL__N_18offset_tEEE10hipError_tPvRmT1_PNSt15iterator_traitsIS12_E10value_typeET2_T3_PNS13_IS18_E10value_typeET4_jRbjT5_S1E_jjP12ihipStream_tbEUljE_ZNSN_ISO_Lb0ESQ_SR_ST_SU_SY_EESZ_S10_S11_S12_S16_S17_S18_S1B_S1C_jS1D_jS1E_S1E_jjS1G_bEUljE0_EEESZ_S10_S11_S18_S1C_S1E_T6_T7_T9_mT8_S1G_bDpT10_ENKUlT_T0_E_clISt17integral_constantIbLb0EES1U_EEDaS1P_S1Q_EUlS1P_E_NS1_11comp_targetILNS1_3genE3ELNS1_11target_archE908ELNS1_3gpuE7ELNS1_3repE0EEENS1_30default_config_static_selectorELNS0_4arch9wavefront6targetE0EEEvS12_
		.amdhsa_group_segment_fixed_size 0
		.amdhsa_private_segment_fixed_size 0
		.amdhsa_kernarg_size 176
		.amdhsa_user_sgpr_count 15
		.amdhsa_user_sgpr_dispatch_ptr 0
		.amdhsa_user_sgpr_queue_ptr 0
		.amdhsa_user_sgpr_kernarg_segment_ptr 1
		.amdhsa_user_sgpr_dispatch_id 0
		.amdhsa_user_sgpr_private_segment_size 0
		.amdhsa_wavefront_size32 1
		.amdhsa_uses_dynamic_stack 0
		.amdhsa_enable_private_segment 0
		.amdhsa_system_sgpr_workgroup_id_x 1
		.amdhsa_system_sgpr_workgroup_id_y 0
		.amdhsa_system_sgpr_workgroup_id_z 0
		.amdhsa_system_sgpr_workgroup_info 0
		.amdhsa_system_vgpr_workitem_id 0
		.amdhsa_next_free_vgpr 1
		.amdhsa_next_free_sgpr 1
		.amdhsa_reserve_vcc 0
		.amdhsa_float_round_mode_32 0
		.amdhsa_float_round_mode_16_64 0
		.amdhsa_float_denorm_mode_32 3
		.amdhsa_float_denorm_mode_16_64 3
		.amdhsa_dx10_clamp 1
		.amdhsa_ieee_mode 1
		.amdhsa_fp16_overflow 0
		.amdhsa_workgroup_processor_mode 1
		.amdhsa_memory_ordered 1
		.amdhsa_forward_progress 0
		.amdhsa_shared_vgpr_count 0
		.amdhsa_exception_fp_ieee_invalid_op 0
		.amdhsa_exception_fp_denorm_src 0
		.amdhsa_exception_fp_ieee_div_zero 0
		.amdhsa_exception_fp_ieee_overflow 0
		.amdhsa_exception_fp_ieee_underflow 0
		.amdhsa_exception_fp_ieee_inexact 0
		.amdhsa_exception_int_div_zero 0
	.end_amdhsa_kernel
	.section	.text._ZN7rocprim17ROCPRIM_400000_NS6detail17trampoline_kernelINS0_13select_configILj256ELj13ELNS0_17block_load_methodE3ELS4_3ELS4_3ELNS0_20block_scan_algorithmE0ELj4294967295EEENS1_25partition_config_selectorILNS1_17partition_subalgoE4EjNS0_10empty_typeEbEEZZNS1_14partition_implILS8_4ELb0ES6_15HIP_vector_typeIjLj2EENS0_17counting_iteratorIjlEEPS9_SG_NS0_5tupleIJPjSI_NS0_16reverse_iteratorISI_EEEEENSH_IJSG_SG_SG_EEES9_SI_JZNS1_25segmented_radix_sort_implINS0_14default_configELb0EPKhPhPKlPlN2at6native12_GLOBAL__N_18offset_tEEE10hipError_tPvRmT1_PNSt15iterator_traitsIS12_E10value_typeET2_T3_PNS13_IS18_E10value_typeET4_jRbjT5_S1E_jjP12ihipStream_tbEUljE_ZNSN_ISO_Lb0ESQ_SR_ST_SU_SY_EESZ_S10_S11_S12_S16_S17_S18_S1B_S1C_jS1D_jS1E_S1E_jjS1G_bEUljE0_EEESZ_S10_S11_S18_S1C_S1E_T6_T7_T9_mT8_S1G_bDpT10_ENKUlT_T0_E_clISt17integral_constantIbLb0EES1U_EEDaS1P_S1Q_EUlS1P_E_NS1_11comp_targetILNS1_3genE3ELNS1_11target_archE908ELNS1_3gpuE7ELNS1_3repE0EEENS1_30default_config_static_selectorELNS0_4arch9wavefront6targetE0EEEvS12_,"axG",@progbits,_ZN7rocprim17ROCPRIM_400000_NS6detail17trampoline_kernelINS0_13select_configILj256ELj13ELNS0_17block_load_methodE3ELS4_3ELS4_3ELNS0_20block_scan_algorithmE0ELj4294967295EEENS1_25partition_config_selectorILNS1_17partition_subalgoE4EjNS0_10empty_typeEbEEZZNS1_14partition_implILS8_4ELb0ES6_15HIP_vector_typeIjLj2EENS0_17counting_iteratorIjlEEPS9_SG_NS0_5tupleIJPjSI_NS0_16reverse_iteratorISI_EEEEENSH_IJSG_SG_SG_EEES9_SI_JZNS1_25segmented_radix_sort_implINS0_14default_configELb0EPKhPhPKlPlN2at6native12_GLOBAL__N_18offset_tEEE10hipError_tPvRmT1_PNSt15iterator_traitsIS12_E10value_typeET2_T3_PNS13_IS18_E10value_typeET4_jRbjT5_S1E_jjP12ihipStream_tbEUljE_ZNSN_ISO_Lb0ESQ_SR_ST_SU_SY_EESZ_S10_S11_S12_S16_S17_S18_S1B_S1C_jS1D_jS1E_S1E_jjS1G_bEUljE0_EEESZ_S10_S11_S18_S1C_S1E_T6_T7_T9_mT8_S1G_bDpT10_ENKUlT_T0_E_clISt17integral_constantIbLb0EES1U_EEDaS1P_S1Q_EUlS1P_E_NS1_11comp_targetILNS1_3genE3ELNS1_11target_archE908ELNS1_3gpuE7ELNS1_3repE0EEENS1_30default_config_static_selectorELNS0_4arch9wavefront6targetE0EEEvS12_,comdat
.Lfunc_end125:
	.size	_ZN7rocprim17ROCPRIM_400000_NS6detail17trampoline_kernelINS0_13select_configILj256ELj13ELNS0_17block_load_methodE3ELS4_3ELS4_3ELNS0_20block_scan_algorithmE0ELj4294967295EEENS1_25partition_config_selectorILNS1_17partition_subalgoE4EjNS0_10empty_typeEbEEZZNS1_14partition_implILS8_4ELb0ES6_15HIP_vector_typeIjLj2EENS0_17counting_iteratorIjlEEPS9_SG_NS0_5tupleIJPjSI_NS0_16reverse_iteratorISI_EEEEENSH_IJSG_SG_SG_EEES9_SI_JZNS1_25segmented_radix_sort_implINS0_14default_configELb0EPKhPhPKlPlN2at6native12_GLOBAL__N_18offset_tEEE10hipError_tPvRmT1_PNSt15iterator_traitsIS12_E10value_typeET2_T3_PNS13_IS18_E10value_typeET4_jRbjT5_S1E_jjP12ihipStream_tbEUljE_ZNSN_ISO_Lb0ESQ_SR_ST_SU_SY_EESZ_S10_S11_S12_S16_S17_S18_S1B_S1C_jS1D_jS1E_S1E_jjS1G_bEUljE0_EEESZ_S10_S11_S18_S1C_S1E_T6_T7_T9_mT8_S1G_bDpT10_ENKUlT_T0_E_clISt17integral_constantIbLb0EES1U_EEDaS1P_S1Q_EUlS1P_E_NS1_11comp_targetILNS1_3genE3ELNS1_11target_archE908ELNS1_3gpuE7ELNS1_3repE0EEENS1_30default_config_static_selectorELNS0_4arch9wavefront6targetE0EEEvS12_, .Lfunc_end125-_ZN7rocprim17ROCPRIM_400000_NS6detail17trampoline_kernelINS0_13select_configILj256ELj13ELNS0_17block_load_methodE3ELS4_3ELS4_3ELNS0_20block_scan_algorithmE0ELj4294967295EEENS1_25partition_config_selectorILNS1_17partition_subalgoE4EjNS0_10empty_typeEbEEZZNS1_14partition_implILS8_4ELb0ES6_15HIP_vector_typeIjLj2EENS0_17counting_iteratorIjlEEPS9_SG_NS0_5tupleIJPjSI_NS0_16reverse_iteratorISI_EEEEENSH_IJSG_SG_SG_EEES9_SI_JZNS1_25segmented_radix_sort_implINS0_14default_configELb0EPKhPhPKlPlN2at6native12_GLOBAL__N_18offset_tEEE10hipError_tPvRmT1_PNSt15iterator_traitsIS12_E10value_typeET2_T3_PNS13_IS18_E10value_typeET4_jRbjT5_S1E_jjP12ihipStream_tbEUljE_ZNSN_ISO_Lb0ESQ_SR_ST_SU_SY_EESZ_S10_S11_S12_S16_S17_S18_S1B_S1C_jS1D_jS1E_S1E_jjS1G_bEUljE0_EEESZ_S10_S11_S18_S1C_S1E_T6_T7_T9_mT8_S1G_bDpT10_ENKUlT_T0_E_clISt17integral_constantIbLb0EES1U_EEDaS1P_S1Q_EUlS1P_E_NS1_11comp_targetILNS1_3genE3ELNS1_11target_archE908ELNS1_3gpuE7ELNS1_3repE0EEENS1_30default_config_static_selectorELNS0_4arch9wavefront6targetE0EEEvS12_
                                        ; -- End function
	.section	.AMDGPU.csdata,"",@progbits
; Kernel info:
; codeLenInByte = 0
; NumSgprs: 0
; NumVgprs: 0
; ScratchSize: 0
; MemoryBound: 0
; FloatMode: 240
; IeeeMode: 1
; LDSByteSize: 0 bytes/workgroup (compile time only)
; SGPRBlocks: 0
; VGPRBlocks: 0
; NumSGPRsForWavesPerEU: 1
; NumVGPRsForWavesPerEU: 1
; Occupancy: 16
; WaveLimiterHint : 0
; COMPUTE_PGM_RSRC2:SCRATCH_EN: 0
; COMPUTE_PGM_RSRC2:USER_SGPR: 15
; COMPUTE_PGM_RSRC2:TRAP_HANDLER: 0
; COMPUTE_PGM_RSRC2:TGID_X_EN: 1
; COMPUTE_PGM_RSRC2:TGID_Y_EN: 0
; COMPUTE_PGM_RSRC2:TGID_Z_EN: 0
; COMPUTE_PGM_RSRC2:TIDIG_COMP_CNT: 0
	.section	.text._ZN7rocprim17ROCPRIM_400000_NS6detail17trampoline_kernelINS0_13select_configILj256ELj13ELNS0_17block_load_methodE3ELS4_3ELS4_3ELNS0_20block_scan_algorithmE0ELj4294967295EEENS1_25partition_config_selectorILNS1_17partition_subalgoE4EjNS0_10empty_typeEbEEZZNS1_14partition_implILS8_4ELb0ES6_15HIP_vector_typeIjLj2EENS0_17counting_iteratorIjlEEPS9_SG_NS0_5tupleIJPjSI_NS0_16reverse_iteratorISI_EEEEENSH_IJSG_SG_SG_EEES9_SI_JZNS1_25segmented_radix_sort_implINS0_14default_configELb0EPKhPhPKlPlN2at6native12_GLOBAL__N_18offset_tEEE10hipError_tPvRmT1_PNSt15iterator_traitsIS12_E10value_typeET2_T3_PNS13_IS18_E10value_typeET4_jRbjT5_S1E_jjP12ihipStream_tbEUljE_ZNSN_ISO_Lb0ESQ_SR_ST_SU_SY_EESZ_S10_S11_S12_S16_S17_S18_S1B_S1C_jS1D_jS1E_S1E_jjS1G_bEUljE0_EEESZ_S10_S11_S18_S1C_S1E_T6_T7_T9_mT8_S1G_bDpT10_ENKUlT_T0_E_clISt17integral_constantIbLb0EES1U_EEDaS1P_S1Q_EUlS1P_E_NS1_11comp_targetILNS1_3genE2ELNS1_11target_archE906ELNS1_3gpuE6ELNS1_3repE0EEENS1_30default_config_static_selectorELNS0_4arch9wavefront6targetE0EEEvS12_,"axG",@progbits,_ZN7rocprim17ROCPRIM_400000_NS6detail17trampoline_kernelINS0_13select_configILj256ELj13ELNS0_17block_load_methodE3ELS4_3ELS4_3ELNS0_20block_scan_algorithmE0ELj4294967295EEENS1_25partition_config_selectorILNS1_17partition_subalgoE4EjNS0_10empty_typeEbEEZZNS1_14partition_implILS8_4ELb0ES6_15HIP_vector_typeIjLj2EENS0_17counting_iteratorIjlEEPS9_SG_NS0_5tupleIJPjSI_NS0_16reverse_iteratorISI_EEEEENSH_IJSG_SG_SG_EEES9_SI_JZNS1_25segmented_radix_sort_implINS0_14default_configELb0EPKhPhPKlPlN2at6native12_GLOBAL__N_18offset_tEEE10hipError_tPvRmT1_PNSt15iterator_traitsIS12_E10value_typeET2_T3_PNS13_IS18_E10value_typeET4_jRbjT5_S1E_jjP12ihipStream_tbEUljE_ZNSN_ISO_Lb0ESQ_SR_ST_SU_SY_EESZ_S10_S11_S12_S16_S17_S18_S1B_S1C_jS1D_jS1E_S1E_jjS1G_bEUljE0_EEESZ_S10_S11_S18_S1C_S1E_T6_T7_T9_mT8_S1G_bDpT10_ENKUlT_T0_E_clISt17integral_constantIbLb0EES1U_EEDaS1P_S1Q_EUlS1P_E_NS1_11comp_targetILNS1_3genE2ELNS1_11target_archE906ELNS1_3gpuE6ELNS1_3repE0EEENS1_30default_config_static_selectorELNS0_4arch9wavefront6targetE0EEEvS12_,comdat
	.globl	_ZN7rocprim17ROCPRIM_400000_NS6detail17trampoline_kernelINS0_13select_configILj256ELj13ELNS0_17block_load_methodE3ELS4_3ELS4_3ELNS0_20block_scan_algorithmE0ELj4294967295EEENS1_25partition_config_selectorILNS1_17partition_subalgoE4EjNS0_10empty_typeEbEEZZNS1_14partition_implILS8_4ELb0ES6_15HIP_vector_typeIjLj2EENS0_17counting_iteratorIjlEEPS9_SG_NS0_5tupleIJPjSI_NS0_16reverse_iteratorISI_EEEEENSH_IJSG_SG_SG_EEES9_SI_JZNS1_25segmented_radix_sort_implINS0_14default_configELb0EPKhPhPKlPlN2at6native12_GLOBAL__N_18offset_tEEE10hipError_tPvRmT1_PNSt15iterator_traitsIS12_E10value_typeET2_T3_PNS13_IS18_E10value_typeET4_jRbjT5_S1E_jjP12ihipStream_tbEUljE_ZNSN_ISO_Lb0ESQ_SR_ST_SU_SY_EESZ_S10_S11_S12_S16_S17_S18_S1B_S1C_jS1D_jS1E_S1E_jjS1G_bEUljE0_EEESZ_S10_S11_S18_S1C_S1E_T6_T7_T9_mT8_S1G_bDpT10_ENKUlT_T0_E_clISt17integral_constantIbLb0EES1U_EEDaS1P_S1Q_EUlS1P_E_NS1_11comp_targetILNS1_3genE2ELNS1_11target_archE906ELNS1_3gpuE6ELNS1_3repE0EEENS1_30default_config_static_selectorELNS0_4arch9wavefront6targetE0EEEvS12_ ; -- Begin function _ZN7rocprim17ROCPRIM_400000_NS6detail17trampoline_kernelINS0_13select_configILj256ELj13ELNS0_17block_load_methodE3ELS4_3ELS4_3ELNS0_20block_scan_algorithmE0ELj4294967295EEENS1_25partition_config_selectorILNS1_17partition_subalgoE4EjNS0_10empty_typeEbEEZZNS1_14partition_implILS8_4ELb0ES6_15HIP_vector_typeIjLj2EENS0_17counting_iteratorIjlEEPS9_SG_NS0_5tupleIJPjSI_NS0_16reverse_iteratorISI_EEEEENSH_IJSG_SG_SG_EEES9_SI_JZNS1_25segmented_radix_sort_implINS0_14default_configELb0EPKhPhPKlPlN2at6native12_GLOBAL__N_18offset_tEEE10hipError_tPvRmT1_PNSt15iterator_traitsIS12_E10value_typeET2_T3_PNS13_IS18_E10value_typeET4_jRbjT5_S1E_jjP12ihipStream_tbEUljE_ZNSN_ISO_Lb0ESQ_SR_ST_SU_SY_EESZ_S10_S11_S12_S16_S17_S18_S1B_S1C_jS1D_jS1E_S1E_jjS1G_bEUljE0_EEESZ_S10_S11_S18_S1C_S1E_T6_T7_T9_mT8_S1G_bDpT10_ENKUlT_T0_E_clISt17integral_constantIbLb0EES1U_EEDaS1P_S1Q_EUlS1P_E_NS1_11comp_targetILNS1_3genE2ELNS1_11target_archE906ELNS1_3gpuE6ELNS1_3repE0EEENS1_30default_config_static_selectorELNS0_4arch9wavefront6targetE0EEEvS12_
	.p2align	8
	.type	_ZN7rocprim17ROCPRIM_400000_NS6detail17trampoline_kernelINS0_13select_configILj256ELj13ELNS0_17block_load_methodE3ELS4_3ELS4_3ELNS0_20block_scan_algorithmE0ELj4294967295EEENS1_25partition_config_selectorILNS1_17partition_subalgoE4EjNS0_10empty_typeEbEEZZNS1_14partition_implILS8_4ELb0ES6_15HIP_vector_typeIjLj2EENS0_17counting_iteratorIjlEEPS9_SG_NS0_5tupleIJPjSI_NS0_16reverse_iteratorISI_EEEEENSH_IJSG_SG_SG_EEES9_SI_JZNS1_25segmented_radix_sort_implINS0_14default_configELb0EPKhPhPKlPlN2at6native12_GLOBAL__N_18offset_tEEE10hipError_tPvRmT1_PNSt15iterator_traitsIS12_E10value_typeET2_T3_PNS13_IS18_E10value_typeET4_jRbjT5_S1E_jjP12ihipStream_tbEUljE_ZNSN_ISO_Lb0ESQ_SR_ST_SU_SY_EESZ_S10_S11_S12_S16_S17_S18_S1B_S1C_jS1D_jS1E_S1E_jjS1G_bEUljE0_EEESZ_S10_S11_S18_S1C_S1E_T6_T7_T9_mT8_S1G_bDpT10_ENKUlT_T0_E_clISt17integral_constantIbLb0EES1U_EEDaS1P_S1Q_EUlS1P_E_NS1_11comp_targetILNS1_3genE2ELNS1_11target_archE906ELNS1_3gpuE6ELNS1_3repE0EEENS1_30default_config_static_selectorELNS0_4arch9wavefront6targetE0EEEvS12_,@function
_ZN7rocprim17ROCPRIM_400000_NS6detail17trampoline_kernelINS0_13select_configILj256ELj13ELNS0_17block_load_methodE3ELS4_3ELS4_3ELNS0_20block_scan_algorithmE0ELj4294967295EEENS1_25partition_config_selectorILNS1_17partition_subalgoE4EjNS0_10empty_typeEbEEZZNS1_14partition_implILS8_4ELb0ES6_15HIP_vector_typeIjLj2EENS0_17counting_iteratorIjlEEPS9_SG_NS0_5tupleIJPjSI_NS0_16reverse_iteratorISI_EEEEENSH_IJSG_SG_SG_EEES9_SI_JZNS1_25segmented_radix_sort_implINS0_14default_configELb0EPKhPhPKlPlN2at6native12_GLOBAL__N_18offset_tEEE10hipError_tPvRmT1_PNSt15iterator_traitsIS12_E10value_typeET2_T3_PNS13_IS18_E10value_typeET4_jRbjT5_S1E_jjP12ihipStream_tbEUljE_ZNSN_ISO_Lb0ESQ_SR_ST_SU_SY_EESZ_S10_S11_S12_S16_S17_S18_S1B_S1C_jS1D_jS1E_S1E_jjS1G_bEUljE0_EEESZ_S10_S11_S18_S1C_S1E_T6_T7_T9_mT8_S1G_bDpT10_ENKUlT_T0_E_clISt17integral_constantIbLb0EES1U_EEDaS1P_S1Q_EUlS1P_E_NS1_11comp_targetILNS1_3genE2ELNS1_11target_archE906ELNS1_3gpuE6ELNS1_3repE0EEENS1_30default_config_static_selectorELNS0_4arch9wavefront6targetE0EEEvS12_: ; @_ZN7rocprim17ROCPRIM_400000_NS6detail17trampoline_kernelINS0_13select_configILj256ELj13ELNS0_17block_load_methodE3ELS4_3ELS4_3ELNS0_20block_scan_algorithmE0ELj4294967295EEENS1_25partition_config_selectorILNS1_17partition_subalgoE4EjNS0_10empty_typeEbEEZZNS1_14partition_implILS8_4ELb0ES6_15HIP_vector_typeIjLj2EENS0_17counting_iteratorIjlEEPS9_SG_NS0_5tupleIJPjSI_NS0_16reverse_iteratorISI_EEEEENSH_IJSG_SG_SG_EEES9_SI_JZNS1_25segmented_radix_sort_implINS0_14default_configELb0EPKhPhPKlPlN2at6native12_GLOBAL__N_18offset_tEEE10hipError_tPvRmT1_PNSt15iterator_traitsIS12_E10value_typeET2_T3_PNS13_IS18_E10value_typeET4_jRbjT5_S1E_jjP12ihipStream_tbEUljE_ZNSN_ISO_Lb0ESQ_SR_ST_SU_SY_EESZ_S10_S11_S12_S16_S17_S18_S1B_S1C_jS1D_jS1E_S1E_jjS1G_bEUljE0_EEESZ_S10_S11_S18_S1C_S1E_T6_T7_T9_mT8_S1G_bDpT10_ENKUlT_T0_E_clISt17integral_constantIbLb0EES1U_EEDaS1P_S1Q_EUlS1P_E_NS1_11comp_targetILNS1_3genE2ELNS1_11target_archE906ELNS1_3gpuE6ELNS1_3repE0EEENS1_30default_config_static_selectorELNS0_4arch9wavefront6targetE0EEEvS12_
; %bb.0:
	.section	.rodata,"a",@progbits
	.p2align	6, 0x0
	.amdhsa_kernel _ZN7rocprim17ROCPRIM_400000_NS6detail17trampoline_kernelINS0_13select_configILj256ELj13ELNS0_17block_load_methodE3ELS4_3ELS4_3ELNS0_20block_scan_algorithmE0ELj4294967295EEENS1_25partition_config_selectorILNS1_17partition_subalgoE4EjNS0_10empty_typeEbEEZZNS1_14partition_implILS8_4ELb0ES6_15HIP_vector_typeIjLj2EENS0_17counting_iteratorIjlEEPS9_SG_NS0_5tupleIJPjSI_NS0_16reverse_iteratorISI_EEEEENSH_IJSG_SG_SG_EEES9_SI_JZNS1_25segmented_radix_sort_implINS0_14default_configELb0EPKhPhPKlPlN2at6native12_GLOBAL__N_18offset_tEEE10hipError_tPvRmT1_PNSt15iterator_traitsIS12_E10value_typeET2_T3_PNS13_IS18_E10value_typeET4_jRbjT5_S1E_jjP12ihipStream_tbEUljE_ZNSN_ISO_Lb0ESQ_SR_ST_SU_SY_EESZ_S10_S11_S12_S16_S17_S18_S1B_S1C_jS1D_jS1E_S1E_jjS1G_bEUljE0_EEESZ_S10_S11_S18_S1C_S1E_T6_T7_T9_mT8_S1G_bDpT10_ENKUlT_T0_E_clISt17integral_constantIbLb0EES1U_EEDaS1P_S1Q_EUlS1P_E_NS1_11comp_targetILNS1_3genE2ELNS1_11target_archE906ELNS1_3gpuE6ELNS1_3repE0EEENS1_30default_config_static_selectorELNS0_4arch9wavefront6targetE0EEEvS12_
		.amdhsa_group_segment_fixed_size 0
		.amdhsa_private_segment_fixed_size 0
		.amdhsa_kernarg_size 176
		.amdhsa_user_sgpr_count 15
		.amdhsa_user_sgpr_dispatch_ptr 0
		.amdhsa_user_sgpr_queue_ptr 0
		.amdhsa_user_sgpr_kernarg_segment_ptr 1
		.amdhsa_user_sgpr_dispatch_id 0
		.amdhsa_user_sgpr_private_segment_size 0
		.amdhsa_wavefront_size32 1
		.amdhsa_uses_dynamic_stack 0
		.amdhsa_enable_private_segment 0
		.amdhsa_system_sgpr_workgroup_id_x 1
		.amdhsa_system_sgpr_workgroup_id_y 0
		.amdhsa_system_sgpr_workgroup_id_z 0
		.amdhsa_system_sgpr_workgroup_info 0
		.amdhsa_system_vgpr_workitem_id 0
		.amdhsa_next_free_vgpr 1
		.amdhsa_next_free_sgpr 1
		.amdhsa_reserve_vcc 0
		.amdhsa_float_round_mode_32 0
		.amdhsa_float_round_mode_16_64 0
		.amdhsa_float_denorm_mode_32 3
		.amdhsa_float_denorm_mode_16_64 3
		.amdhsa_dx10_clamp 1
		.amdhsa_ieee_mode 1
		.amdhsa_fp16_overflow 0
		.amdhsa_workgroup_processor_mode 1
		.amdhsa_memory_ordered 1
		.amdhsa_forward_progress 0
		.amdhsa_shared_vgpr_count 0
		.amdhsa_exception_fp_ieee_invalid_op 0
		.amdhsa_exception_fp_denorm_src 0
		.amdhsa_exception_fp_ieee_div_zero 0
		.amdhsa_exception_fp_ieee_overflow 0
		.amdhsa_exception_fp_ieee_underflow 0
		.amdhsa_exception_fp_ieee_inexact 0
		.amdhsa_exception_int_div_zero 0
	.end_amdhsa_kernel
	.section	.text._ZN7rocprim17ROCPRIM_400000_NS6detail17trampoline_kernelINS0_13select_configILj256ELj13ELNS0_17block_load_methodE3ELS4_3ELS4_3ELNS0_20block_scan_algorithmE0ELj4294967295EEENS1_25partition_config_selectorILNS1_17partition_subalgoE4EjNS0_10empty_typeEbEEZZNS1_14partition_implILS8_4ELb0ES6_15HIP_vector_typeIjLj2EENS0_17counting_iteratorIjlEEPS9_SG_NS0_5tupleIJPjSI_NS0_16reverse_iteratorISI_EEEEENSH_IJSG_SG_SG_EEES9_SI_JZNS1_25segmented_radix_sort_implINS0_14default_configELb0EPKhPhPKlPlN2at6native12_GLOBAL__N_18offset_tEEE10hipError_tPvRmT1_PNSt15iterator_traitsIS12_E10value_typeET2_T3_PNS13_IS18_E10value_typeET4_jRbjT5_S1E_jjP12ihipStream_tbEUljE_ZNSN_ISO_Lb0ESQ_SR_ST_SU_SY_EESZ_S10_S11_S12_S16_S17_S18_S1B_S1C_jS1D_jS1E_S1E_jjS1G_bEUljE0_EEESZ_S10_S11_S18_S1C_S1E_T6_T7_T9_mT8_S1G_bDpT10_ENKUlT_T0_E_clISt17integral_constantIbLb0EES1U_EEDaS1P_S1Q_EUlS1P_E_NS1_11comp_targetILNS1_3genE2ELNS1_11target_archE906ELNS1_3gpuE6ELNS1_3repE0EEENS1_30default_config_static_selectorELNS0_4arch9wavefront6targetE0EEEvS12_,"axG",@progbits,_ZN7rocprim17ROCPRIM_400000_NS6detail17trampoline_kernelINS0_13select_configILj256ELj13ELNS0_17block_load_methodE3ELS4_3ELS4_3ELNS0_20block_scan_algorithmE0ELj4294967295EEENS1_25partition_config_selectorILNS1_17partition_subalgoE4EjNS0_10empty_typeEbEEZZNS1_14partition_implILS8_4ELb0ES6_15HIP_vector_typeIjLj2EENS0_17counting_iteratorIjlEEPS9_SG_NS0_5tupleIJPjSI_NS0_16reverse_iteratorISI_EEEEENSH_IJSG_SG_SG_EEES9_SI_JZNS1_25segmented_radix_sort_implINS0_14default_configELb0EPKhPhPKlPlN2at6native12_GLOBAL__N_18offset_tEEE10hipError_tPvRmT1_PNSt15iterator_traitsIS12_E10value_typeET2_T3_PNS13_IS18_E10value_typeET4_jRbjT5_S1E_jjP12ihipStream_tbEUljE_ZNSN_ISO_Lb0ESQ_SR_ST_SU_SY_EESZ_S10_S11_S12_S16_S17_S18_S1B_S1C_jS1D_jS1E_S1E_jjS1G_bEUljE0_EEESZ_S10_S11_S18_S1C_S1E_T6_T7_T9_mT8_S1G_bDpT10_ENKUlT_T0_E_clISt17integral_constantIbLb0EES1U_EEDaS1P_S1Q_EUlS1P_E_NS1_11comp_targetILNS1_3genE2ELNS1_11target_archE906ELNS1_3gpuE6ELNS1_3repE0EEENS1_30default_config_static_selectorELNS0_4arch9wavefront6targetE0EEEvS12_,comdat
.Lfunc_end126:
	.size	_ZN7rocprim17ROCPRIM_400000_NS6detail17trampoline_kernelINS0_13select_configILj256ELj13ELNS0_17block_load_methodE3ELS4_3ELS4_3ELNS0_20block_scan_algorithmE0ELj4294967295EEENS1_25partition_config_selectorILNS1_17partition_subalgoE4EjNS0_10empty_typeEbEEZZNS1_14partition_implILS8_4ELb0ES6_15HIP_vector_typeIjLj2EENS0_17counting_iteratorIjlEEPS9_SG_NS0_5tupleIJPjSI_NS0_16reverse_iteratorISI_EEEEENSH_IJSG_SG_SG_EEES9_SI_JZNS1_25segmented_radix_sort_implINS0_14default_configELb0EPKhPhPKlPlN2at6native12_GLOBAL__N_18offset_tEEE10hipError_tPvRmT1_PNSt15iterator_traitsIS12_E10value_typeET2_T3_PNS13_IS18_E10value_typeET4_jRbjT5_S1E_jjP12ihipStream_tbEUljE_ZNSN_ISO_Lb0ESQ_SR_ST_SU_SY_EESZ_S10_S11_S12_S16_S17_S18_S1B_S1C_jS1D_jS1E_S1E_jjS1G_bEUljE0_EEESZ_S10_S11_S18_S1C_S1E_T6_T7_T9_mT8_S1G_bDpT10_ENKUlT_T0_E_clISt17integral_constantIbLb0EES1U_EEDaS1P_S1Q_EUlS1P_E_NS1_11comp_targetILNS1_3genE2ELNS1_11target_archE906ELNS1_3gpuE6ELNS1_3repE0EEENS1_30default_config_static_selectorELNS0_4arch9wavefront6targetE0EEEvS12_, .Lfunc_end126-_ZN7rocprim17ROCPRIM_400000_NS6detail17trampoline_kernelINS0_13select_configILj256ELj13ELNS0_17block_load_methodE3ELS4_3ELS4_3ELNS0_20block_scan_algorithmE0ELj4294967295EEENS1_25partition_config_selectorILNS1_17partition_subalgoE4EjNS0_10empty_typeEbEEZZNS1_14partition_implILS8_4ELb0ES6_15HIP_vector_typeIjLj2EENS0_17counting_iteratorIjlEEPS9_SG_NS0_5tupleIJPjSI_NS0_16reverse_iteratorISI_EEEEENSH_IJSG_SG_SG_EEES9_SI_JZNS1_25segmented_radix_sort_implINS0_14default_configELb0EPKhPhPKlPlN2at6native12_GLOBAL__N_18offset_tEEE10hipError_tPvRmT1_PNSt15iterator_traitsIS12_E10value_typeET2_T3_PNS13_IS18_E10value_typeET4_jRbjT5_S1E_jjP12ihipStream_tbEUljE_ZNSN_ISO_Lb0ESQ_SR_ST_SU_SY_EESZ_S10_S11_S12_S16_S17_S18_S1B_S1C_jS1D_jS1E_S1E_jjS1G_bEUljE0_EEESZ_S10_S11_S18_S1C_S1E_T6_T7_T9_mT8_S1G_bDpT10_ENKUlT_T0_E_clISt17integral_constantIbLb0EES1U_EEDaS1P_S1Q_EUlS1P_E_NS1_11comp_targetILNS1_3genE2ELNS1_11target_archE906ELNS1_3gpuE6ELNS1_3repE0EEENS1_30default_config_static_selectorELNS0_4arch9wavefront6targetE0EEEvS12_
                                        ; -- End function
	.section	.AMDGPU.csdata,"",@progbits
; Kernel info:
; codeLenInByte = 0
; NumSgprs: 0
; NumVgprs: 0
; ScratchSize: 0
; MemoryBound: 0
; FloatMode: 240
; IeeeMode: 1
; LDSByteSize: 0 bytes/workgroup (compile time only)
; SGPRBlocks: 0
; VGPRBlocks: 0
; NumSGPRsForWavesPerEU: 1
; NumVGPRsForWavesPerEU: 1
; Occupancy: 16
; WaveLimiterHint : 0
; COMPUTE_PGM_RSRC2:SCRATCH_EN: 0
; COMPUTE_PGM_RSRC2:USER_SGPR: 15
; COMPUTE_PGM_RSRC2:TRAP_HANDLER: 0
; COMPUTE_PGM_RSRC2:TGID_X_EN: 1
; COMPUTE_PGM_RSRC2:TGID_Y_EN: 0
; COMPUTE_PGM_RSRC2:TGID_Z_EN: 0
; COMPUTE_PGM_RSRC2:TIDIG_COMP_CNT: 0
	.section	.text._ZN7rocprim17ROCPRIM_400000_NS6detail17trampoline_kernelINS0_13select_configILj256ELj13ELNS0_17block_load_methodE3ELS4_3ELS4_3ELNS0_20block_scan_algorithmE0ELj4294967295EEENS1_25partition_config_selectorILNS1_17partition_subalgoE4EjNS0_10empty_typeEbEEZZNS1_14partition_implILS8_4ELb0ES6_15HIP_vector_typeIjLj2EENS0_17counting_iteratorIjlEEPS9_SG_NS0_5tupleIJPjSI_NS0_16reverse_iteratorISI_EEEEENSH_IJSG_SG_SG_EEES9_SI_JZNS1_25segmented_radix_sort_implINS0_14default_configELb0EPKhPhPKlPlN2at6native12_GLOBAL__N_18offset_tEEE10hipError_tPvRmT1_PNSt15iterator_traitsIS12_E10value_typeET2_T3_PNS13_IS18_E10value_typeET4_jRbjT5_S1E_jjP12ihipStream_tbEUljE_ZNSN_ISO_Lb0ESQ_SR_ST_SU_SY_EESZ_S10_S11_S12_S16_S17_S18_S1B_S1C_jS1D_jS1E_S1E_jjS1G_bEUljE0_EEESZ_S10_S11_S18_S1C_S1E_T6_T7_T9_mT8_S1G_bDpT10_ENKUlT_T0_E_clISt17integral_constantIbLb0EES1U_EEDaS1P_S1Q_EUlS1P_E_NS1_11comp_targetILNS1_3genE10ELNS1_11target_archE1200ELNS1_3gpuE4ELNS1_3repE0EEENS1_30default_config_static_selectorELNS0_4arch9wavefront6targetE0EEEvS12_,"axG",@progbits,_ZN7rocprim17ROCPRIM_400000_NS6detail17trampoline_kernelINS0_13select_configILj256ELj13ELNS0_17block_load_methodE3ELS4_3ELS4_3ELNS0_20block_scan_algorithmE0ELj4294967295EEENS1_25partition_config_selectorILNS1_17partition_subalgoE4EjNS0_10empty_typeEbEEZZNS1_14partition_implILS8_4ELb0ES6_15HIP_vector_typeIjLj2EENS0_17counting_iteratorIjlEEPS9_SG_NS0_5tupleIJPjSI_NS0_16reverse_iteratorISI_EEEEENSH_IJSG_SG_SG_EEES9_SI_JZNS1_25segmented_radix_sort_implINS0_14default_configELb0EPKhPhPKlPlN2at6native12_GLOBAL__N_18offset_tEEE10hipError_tPvRmT1_PNSt15iterator_traitsIS12_E10value_typeET2_T3_PNS13_IS18_E10value_typeET4_jRbjT5_S1E_jjP12ihipStream_tbEUljE_ZNSN_ISO_Lb0ESQ_SR_ST_SU_SY_EESZ_S10_S11_S12_S16_S17_S18_S1B_S1C_jS1D_jS1E_S1E_jjS1G_bEUljE0_EEESZ_S10_S11_S18_S1C_S1E_T6_T7_T9_mT8_S1G_bDpT10_ENKUlT_T0_E_clISt17integral_constantIbLb0EES1U_EEDaS1P_S1Q_EUlS1P_E_NS1_11comp_targetILNS1_3genE10ELNS1_11target_archE1200ELNS1_3gpuE4ELNS1_3repE0EEENS1_30default_config_static_selectorELNS0_4arch9wavefront6targetE0EEEvS12_,comdat
	.globl	_ZN7rocprim17ROCPRIM_400000_NS6detail17trampoline_kernelINS0_13select_configILj256ELj13ELNS0_17block_load_methodE3ELS4_3ELS4_3ELNS0_20block_scan_algorithmE0ELj4294967295EEENS1_25partition_config_selectorILNS1_17partition_subalgoE4EjNS0_10empty_typeEbEEZZNS1_14partition_implILS8_4ELb0ES6_15HIP_vector_typeIjLj2EENS0_17counting_iteratorIjlEEPS9_SG_NS0_5tupleIJPjSI_NS0_16reverse_iteratorISI_EEEEENSH_IJSG_SG_SG_EEES9_SI_JZNS1_25segmented_radix_sort_implINS0_14default_configELb0EPKhPhPKlPlN2at6native12_GLOBAL__N_18offset_tEEE10hipError_tPvRmT1_PNSt15iterator_traitsIS12_E10value_typeET2_T3_PNS13_IS18_E10value_typeET4_jRbjT5_S1E_jjP12ihipStream_tbEUljE_ZNSN_ISO_Lb0ESQ_SR_ST_SU_SY_EESZ_S10_S11_S12_S16_S17_S18_S1B_S1C_jS1D_jS1E_S1E_jjS1G_bEUljE0_EEESZ_S10_S11_S18_S1C_S1E_T6_T7_T9_mT8_S1G_bDpT10_ENKUlT_T0_E_clISt17integral_constantIbLb0EES1U_EEDaS1P_S1Q_EUlS1P_E_NS1_11comp_targetILNS1_3genE10ELNS1_11target_archE1200ELNS1_3gpuE4ELNS1_3repE0EEENS1_30default_config_static_selectorELNS0_4arch9wavefront6targetE0EEEvS12_ ; -- Begin function _ZN7rocprim17ROCPRIM_400000_NS6detail17trampoline_kernelINS0_13select_configILj256ELj13ELNS0_17block_load_methodE3ELS4_3ELS4_3ELNS0_20block_scan_algorithmE0ELj4294967295EEENS1_25partition_config_selectorILNS1_17partition_subalgoE4EjNS0_10empty_typeEbEEZZNS1_14partition_implILS8_4ELb0ES6_15HIP_vector_typeIjLj2EENS0_17counting_iteratorIjlEEPS9_SG_NS0_5tupleIJPjSI_NS0_16reverse_iteratorISI_EEEEENSH_IJSG_SG_SG_EEES9_SI_JZNS1_25segmented_radix_sort_implINS0_14default_configELb0EPKhPhPKlPlN2at6native12_GLOBAL__N_18offset_tEEE10hipError_tPvRmT1_PNSt15iterator_traitsIS12_E10value_typeET2_T3_PNS13_IS18_E10value_typeET4_jRbjT5_S1E_jjP12ihipStream_tbEUljE_ZNSN_ISO_Lb0ESQ_SR_ST_SU_SY_EESZ_S10_S11_S12_S16_S17_S18_S1B_S1C_jS1D_jS1E_S1E_jjS1G_bEUljE0_EEESZ_S10_S11_S18_S1C_S1E_T6_T7_T9_mT8_S1G_bDpT10_ENKUlT_T0_E_clISt17integral_constantIbLb0EES1U_EEDaS1P_S1Q_EUlS1P_E_NS1_11comp_targetILNS1_3genE10ELNS1_11target_archE1200ELNS1_3gpuE4ELNS1_3repE0EEENS1_30default_config_static_selectorELNS0_4arch9wavefront6targetE0EEEvS12_
	.p2align	8
	.type	_ZN7rocprim17ROCPRIM_400000_NS6detail17trampoline_kernelINS0_13select_configILj256ELj13ELNS0_17block_load_methodE3ELS4_3ELS4_3ELNS0_20block_scan_algorithmE0ELj4294967295EEENS1_25partition_config_selectorILNS1_17partition_subalgoE4EjNS0_10empty_typeEbEEZZNS1_14partition_implILS8_4ELb0ES6_15HIP_vector_typeIjLj2EENS0_17counting_iteratorIjlEEPS9_SG_NS0_5tupleIJPjSI_NS0_16reverse_iteratorISI_EEEEENSH_IJSG_SG_SG_EEES9_SI_JZNS1_25segmented_radix_sort_implINS0_14default_configELb0EPKhPhPKlPlN2at6native12_GLOBAL__N_18offset_tEEE10hipError_tPvRmT1_PNSt15iterator_traitsIS12_E10value_typeET2_T3_PNS13_IS18_E10value_typeET4_jRbjT5_S1E_jjP12ihipStream_tbEUljE_ZNSN_ISO_Lb0ESQ_SR_ST_SU_SY_EESZ_S10_S11_S12_S16_S17_S18_S1B_S1C_jS1D_jS1E_S1E_jjS1G_bEUljE0_EEESZ_S10_S11_S18_S1C_S1E_T6_T7_T9_mT8_S1G_bDpT10_ENKUlT_T0_E_clISt17integral_constantIbLb0EES1U_EEDaS1P_S1Q_EUlS1P_E_NS1_11comp_targetILNS1_3genE10ELNS1_11target_archE1200ELNS1_3gpuE4ELNS1_3repE0EEENS1_30default_config_static_selectorELNS0_4arch9wavefront6targetE0EEEvS12_,@function
_ZN7rocprim17ROCPRIM_400000_NS6detail17trampoline_kernelINS0_13select_configILj256ELj13ELNS0_17block_load_methodE3ELS4_3ELS4_3ELNS0_20block_scan_algorithmE0ELj4294967295EEENS1_25partition_config_selectorILNS1_17partition_subalgoE4EjNS0_10empty_typeEbEEZZNS1_14partition_implILS8_4ELb0ES6_15HIP_vector_typeIjLj2EENS0_17counting_iteratorIjlEEPS9_SG_NS0_5tupleIJPjSI_NS0_16reverse_iteratorISI_EEEEENSH_IJSG_SG_SG_EEES9_SI_JZNS1_25segmented_radix_sort_implINS0_14default_configELb0EPKhPhPKlPlN2at6native12_GLOBAL__N_18offset_tEEE10hipError_tPvRmT1_PNSt15iterator_traitsIS12_E10value_typeET2_T3_PNS13_IS18_E10value_typeET4_jRbjT5_S1E_jjP12ihipStream_tbEUljE_ZNSN_ISO_Lb0ESQ_SR_ST_SU_SY_EESZ_S10_S11_S12_S16_S17_S18_S1B_S1C_jS1D_jS1E_S1E_jjS1G_bEUljE0_EEESZ_S10_S11_S18_S1C_S1E_T6_T7_T9_mT8_S1G_bDpT10_ENKUlT_T0_E_clISt17integral_constantIbLb0EES1U_EEDaS1P_S1Q_EUlS1P_E_NS1_11comp_targetILNS1_3genE10ELNS1_11target_archE1200ELNS1_3gpuE4ELNS1_3repE0EEENS1_30default_config_static_selectorELNS0_4arch9wavefront6targetE0EEEvS12_: ; @_ZN7rocprim17ROCPRIM_400000_NS6detail17trampoline_kernelINS0_13select_configILj256ELj13ELNS0_17block_load_methodE3ELS4_3ELS4_3ELNS0_20block_scan_algorithmE0ELj4294967295EEENS1_25partition_config_selectorILNS1_17partition_subalgoE4EjNS0_10empty_typeEbEEZZNS1_14partition_implILS8_4ELb0ES6_15HIP_vector_typeIjLj2EENS0_17counting_iteratorIjlEEPS9_SG_NS0_5tupleIJPjSI_NS0_16reverse_iteratorISI_EEEEENSH_IJSG_SG_SG_EEES9_SI_JZNS1_25segmented_radix_sort_implINS0_14default_configELb0EPKhPhPKlPlN2at6native12_GLOBAL__N_18offset_tEEE10hipError_tPvRmT1_PNSt15iterator_traitsIS12_E10value_typeET2_T3_PNS13_IS18_E10value_typeET4_jRbjT5_S1E_jjP12ihipStream_tbEUljE_ZNSN_ISO_Lb0ESQ_SR_ST_SU_SY_EESZ_S10_S11_S12_S16_S17_S18_S1B_S1C_jS1D_jS1E_S1E_jjS1G_bEUljE0_EEESZ_S10_S11_S18_S1C_S1E_T6_T7_T9_mT8_S1G_bDpT10_ENKUlT_T0_E_clISt17integral_constantIbLb0EES1U_EEDaS1P_S1Q_EUlS1P_E_NS1_11comp_targetILNS1_3genE10ELNS1_11target_archE1200ELNS1_3gpuE4ELNS1_3repE0EEENS1_30default_config_static_selectorELNS0_4arch9wavefront6targetE0EEEvS12_
; %bb.0:
	.section	.rodata,"a",@progbits
	.p2align	6, 0x0
	.amdhsa_kernel _ZN7rocprim17ROCPRIM_400000_NS6detail17trampoline_kernelINS0_13select_configILj256ELj13ELNS0_17block_load_methodE3ELS4_3ELS4_3ELNS0_20block_scan_algorithmE0ELj4294967295EEENS1_25partition_config_selectorILNS1_17partition_subalgoE4EjNS0_10empty_typeEbEEZZNS1_14partition_implILS8_4ELb0ES6_15HIP_vector_typeIjLj2EENS0_17counting_iteratorIjlEEPS9_SG_NS0_5tupleIJPjSI_NS0_16reverse_iteratorISI_EEEEENSH_IJSG_SG_SG_EEES9_SI_JZNS1_25segmented_radix_sort_implINS0_14default_configELb0EPKhPhPKlPlN2at6native12_GLOBAL__N_18offset_tEEE10hipError_tPvRmT1_PNSt15iterator_traitsIS12_E10value_typeET2_T3_PNS13_IS18_E10value_typeET4_jRbjT5_S1E_jjP12ihipStream_tbEUljE_ZNSN_ISO_Lb0ESQ_SR_ST_SU_SY_EESZ_S10_S11_S12_S16_S17_S18_S1B_S1C_jS1D_jS1E_S1E_jjS1G_bEUljE0_EEESZ_S10_S11_S18_S1C_S1E_T6_T7_T9_mT8_S1G_bDpT10_ENKUlT_T0_E_clISt17integral_constantIbLb0EES1U_EEDaS1P_S1Q_EUlS1P_E_NS1_11comp_targetILNS1_3genE10ELNS1_11target_archE1200ELNS1_3gpuE4ELNS1_3repE0EEENS1_30default_config_static_selectorELNS0_4arch9wavefront6targetE0EEEvS12_
		.amdhsa_group_segment_fixed_size 0
		.amdhsa_private_segment_fixed_size 0
		.amdhsa_kernarg_size 176
		.amdhsa_user_sgpr_count 15
		.amdhsa_user_sgpr_dispatch_ptr 0
		.amdhsa_user_sgpr_queue_ptr 0
		.amdhsa_user_sgpr_kernarg_segment_ptr 1
		.amdhsa_user_sgpr_dispatch_id 0
		.amdhsa_user_sgpr_private_segment_size 0
		.amdhsa_wavefront_size32 1
		.amdhsa_uses_dynamic_stack 0
		.amdhsa_enable_private_segment 0
		.amdhsa_system_sgpr_workgroup_id_x 1
		.amdhsa_system_sgpr_workgroup_id_y 0
		.amdhsa_system_sgpr_workgroup_id_z 0
		.amdhsa_system_sgpr_workgroup_info 0
		.amdhsa_system_vgpr_workitem_id 0
		.amdhsa_next_free_vgpr 1
		.amdhsa_next_free_sgpr 1
		.amdhsa_reserve_vcc 0
		.amdhsa_float_round_mode_32 0
		.amdhsa_float_round_mode_16_64 0
		.amdhsa_float_denorm_mode_32 3
		.amdhsa_float_denorm_mode_16_64 3
		.amdhsa_dx10_clamp 1
		.amdhsa_ieee_mode 1
		.amdhsa_fp16_overflow 0
		.amdhsa_workgroup_processor_mode 1
		.amdhsa_memory_ordered 1
		.amdhsa_forward_progress 0
		.amdhsa_shared_vgpr_count 0
		.amdhsa_exception_fp_ieee_invalid_op 0
		.amdhsa_exception_fp_denorm_src 0
		.amdhsa_exception_fp_ieee_div_zero 0
		.amdhsa_exception_fp_ieee_overflow 0
		.amdhsa_exception_fp_ieee_underflow 0
		.amdhsa_exception_fp_ieee_inexact 0
		.amdhsa_exception_int_div_zero 0
	.end_amdhsa_kernel
	.section	.text._ZN7rocprim17ROCPRIM_400000_NS6detail17trampoline_kernelINS0_13select_configILj256ELj13ELNS0_17block_load_methodE3ELS4_3ELS4_3ELNS0_20block_scan_algorithmE0ELj4294967295EEENS1_25partition_config_selectorILNS1_17partition_subalgoE4EjNS0_10empty_typeEbEEZZNS1_14partition_implILS8_4ELb0ES6_15HIP_vector_typeIjLj2EENS0_17counting_iteratorIjlEEPS9_SG_NS0_5tupleIJPjSI_NS0_16reverse_iteratorISI_EEEEENSH_IJSG_SG_SG_EEES9_SI_JZNS1_25segmented_radix_sort_implINS0_14default_configELb0EPKhPhPKlPlN2at6native12_GLOBAL__N_18offset_tEEE10hipError_tPvRmT1_PNSt15iterator_traitsIS12_E10value_typeET2_T3_PNS13_IS18_E10value_typeET4_jRbjT5_S1E_jjP12ihipStream_tbEUljE_ZNSN_ISO_Lb0ESQ_SR_ST_SU_SY_EESZ_S10_S11_S12_S16_S17_S18_S1B_S1C_jS1D_jS1E_S1E_jjS1G_bEUljE0_EEESZ_S10_S11_S18_S1C_S1E_T6_T7_T9_mT8_S1G_bDpT10_ENKUlT_T0_E_clISt17integral_constantIbLb0EES1U_EEDaS1P_S1Q_EUlS1P_E_NS1_11comp_targetILNS1_3genE10ELNS1_11target_archE1200ELNS1_3gpuE4ELNS1_3repE0EEENS1_30default_config_static_selectorELNS0_4arch9wavefront6targetE0EEEvS12_,"axG",@progbits,_ZN7rocprim17ROCPRIM_400000_NS6detail17trampoline_kernelINS0_13select_configILj256ELj13ELNS0_17block_load_methodE3ELS4_3ELS4_3ELNS0_20block_scan_algorithmE0ELj4294967295EEENS1_25partition_config_selectorILNS1_17partition_subalgoE4EjNS0_10empty_typeEbEEZZNS1_14partition_implILS8_4ELb0ES6_15HIP_vector_typeIjLj2EENS0_17counting_iteratorIjlEEPS9_SG_NS0_5tupleIJPjSI_NS0_16reverse_iteratorISI_EEEEENSH_IJSG_SG_SG_EEES9_SI_JZNS1_25segmented_radix_sort_implINS0_14default_configELb0EPKhPhPKlPlN2at6native12_GLOBAL__N_18offset_tEEE10hipError_tPvRmT1_PNSt15iterator_traitsIS12_E10value_typeET2_T3_PNS13_IS18_E10value_typeET4_jRbjT5_S1E_jjP12ihipStream_tbEUljE_ZNSN_ISO_Lb0ESQ_SR_ST_SU_SY_EESZ_S10_S11_S12_S16_S17_S18_S1B_S1C_jS1D_jS1E_S1E_jjS1G_bEUljE0_EEESZ_S10_S11_S18_S1C_S1E_T6_T7_T9_mT8_S1G_bDpT10_ENKUlT_T0_E_clISt17integral_constantIbLb0EES1U_EEDaS1P_S1Q_EUlS1P_E_NS1_11comp_targetILNS1_3genE10ELNS1_11target_archE1200ELNS1_3gpuE4ELNS1_3repE0EEENS1_30default_config_static_selectorELNS0_4arch9wavefront6targetE0EEEvS12_,comdat
.Lfunc_end127:
	.size	_ZN7rocprim17ROCPRIM_400000_NS6detail17trampoline_kernelINS0_13select_configILj256ELj13ELNS0_17block_load_methodE3ELS4_3ELS4_3ELNS0_20block_scan_algorithmE0ELj4294967295EEENS1_25partition_config_selectorILNS1_17partition_subalgoE4EjNS0_10empty_typeEbEEZZNS1_14partition_implILS8_4ELb0ES6_15HIP_vector_typeIjLj2EENS0_17counting_iteratorIjlEEPS9_SG_NS0_5tupleIJPjSI_NS0_16reverse_iteratorISI_EEEEENSH_IJSG_SG_SG_EEES9_SI_JZNS1_25segmented_radix_sort_implINS0_14default_configELb0EPKhPhPKlPlN2at6native12_GLOBAL__N_18offset_tEEE10hipError_tPvRmT1_PNSt15iterator_traitsIS12_E10value_typeET2_T3_PNS13_IS18_E10value_typeET4_jRbjT5_S1E_jjP12ihipStream_tbEUljE_ZNSN_ISO_Lb0ESQ_SR_ST_SU_SY_EESZ_S10_S11_S12_S16_S17_S18_S1B_S1C_jS1D_jS1E_S1E_jjS1G_bEUljE0_EEESZ_S10_S11_S18_S1C_S1E_T6_T7_T9_mT8_S1G_bDpT10_ENKUlT_T0_E_clISt17integral_constantIbLb0EES1U_EEDaS1P_S1Q_EUlS1P_E_NS1_11comp_targetILNS1_3genE10ELNS1_11target_archE1200ELNS1_3gpuE4ELNS1_3repE0EEENS1_30default_config_static_selectorELNS0_4arch9wavefront6targetE0EEEvS12_, .Lfunc_end127-_ZN7rocprim17ROCPRIM_400000_NS6detail17trampoline_kernelINS0_13select_configILj256ELj13ELNS0_17block_load_methodE3ELS4_3ELS4_3ELNS0_20block_scan_algorithmE0ELj4294967295EEENS1_25partition_config_selectorILNS1_17partition_subalgoE4EjNS0_10empty_typeEbEEZZNS1_14partition_implILS8_4ELb0ES6_15HIP_vector_typeIjLj2EENS0_17counting_iteratorIjlEEPS9_SG_NS0_5tupleIJPjSI_NS0_16reverse_iteratorISI_EEEEENSH_IJSG_SG_SG_EEES9_SI_JZNS1_25segmented_radix_sort_implINS0_14default_configELb0EPKhPhPKlPlN2at6native12_GLOBAL__N_18offset_tEEE10hipError_tPvRmT1_PNSt15iterator_traitsIS12_E10value_typeET2_T3_PNS13_IS18_E10value_typeET4_jRbjT5_S1E_jjP12ihipStream_tbEUljE_ZNSN_ISO_Lb0ESQ_SR_ST_SU_SY_EESZ_S10_S11_S12_S16_S17_S18_S1B_S1C_jS1D_jS1E_S1E_jjS1G_bEUljE0_EEESZ_S10_S11_S18_S1C_S1E_T6_T7_T9_mT8_S1G_bDpT10_ENKUlT_T0_E_clISt17integral_constantIbLb0EES1U_EEDaS1P_S1Q_EUlS1P_E_NS1_11comp_targetILNS1_3genE10ELNS1_11target_archE1200ELNS1_3gpuE4ELNS1_3repE0EEENS1_30default_config_static_selectorELNS0_4arch9wavefront6targetE0EEEvS12_
                                        ; -- End function
	.section	.AMDGPU.csdata,"",@progbits
; Kernel info:
; codeLenInByte = 0
; NumSgprs: 0
; NumVgprs: 0
; ScratchSize: 0
; MemoryBound: 0
; FloatMode: 240
; IeeeMode: 1
; LDSByteSize: 0 bytes/workgroup (compile time only)
; SGPRBlocks: 0
; VGPRBlocks: 0
; NumSGPRsForWavesPerEU: 1
; NumVGPRsForWavesPerEU: 1
; Occupancy: 16
; WaveLimiterHint : 0
; COMPUTE_PGM_RSRC2:SCRATCH_EN: 0
; COMPUTE_PGM_RSRC2:USER_SGPR: 15
; COMPUTE_PGM_RSRC2:TRAP_HANDLER: 0
; COMPUTE_PGM_RSRC2:TGID_X_EN: 1
; COMPUTE_PGM_RSRC2:TGID_Y_EN: 0
; COMPUTE_PGM_RSRC2:TGID_Z_EN: 0
; COMPUTE_PGM_RSRC2:TIDIG_COMP_CNT: 0
	.section	.text._ZN7rocprim17ROCPRIM_400000_NS6detail17trampoline_kernelINS0_13select_configILj256ELj13ELNS0_17block_load_methodE3ELS4_3ELS4_3ELNS0_20block_scan_algorithmE0ELj4294967295EEENS1_25partition_config_selectorILNS1_17partition_subalgoE4EjNS0_10empty_typeEbEEZZNS1_14partition_implILS8_4ELb0ES6_15HIP_vector_typeIjLj2EENS0_17counting_iteratorIjlEEPS9_SG_NS0_5tupleIJPjSI_NS0_16reverse_iteratorISI_EEEEENSH_IJSG_SG_SG_EEES9_SI_JZNS1_25segmented_radix_sort_implINS0_14default_configELb0EPKhPhPKlPlN2at6native12_GLOBAL__N_18offset_tEEE10hipError_tPvRmT1_PNSt15iterator_traitsIS12_E10value_typeET2_T3_PNS13_IS18_E10value_typeET4_jRbjT5_S1E_jjP12ihipStream_tbEUljE_ZNSN_ISO_Lb0ESQ_SR_ST_SU_SY_EESZ_S10_S11_S12_S16_S17_S18_S1B_S1C_jS1D_jS1E_S1E_jjS1G_bEUljE0_EEESZ_S10_S11_S18_S1C_S1E_T6_T7_T9_mT8_S1G_bDpT10_ENKUlT_T0_E_clISt17integral_constantIbLb0EES1U_EEDaS1P_S1Q_EUlS1P_E_NS1_11comp_targetILNS1_3genE9ELNS1_11target_archE1100ELNS1_3gpuE3ELNS1_3repE0EEENS1_30default_config_static_selectorELNS0_4arch9wavefront6targetE0EEEvS12_,"axG",@progbits,_ZN7rocprim17ROCPRIM_400000_NS6detail17trampoline_kernelINS0_13select_configILj256ELj13ELNS0_17block_load_methodE3ELS4_3ELS4_3ELNS0_20block_scan_algorithmE0ELj4294967295EEENS1_25partition_config_selectorILNS1_17partition_subalgoE4EjNS0_10empty_typeEbEEZZNS1_14partition_implILS8_4ELb0ES6_15HIP_vector_typeIjLj2EENS0_17counting_iteratorIjlEEPS9_SG_NS0_5tupleIJPjSI_NS0_16reverse_iteratorISI_EEEEENSH_IJSG_SG_SG_EEES9_SI_JZNS1_25segmented_radix_sort_implINS0_14default_configELb0EPKhPhPKlPlN2at6native12_GLOBAL__N_18offset_tEEE10hipError_tPvRmT1_PNSt15iterator_traitsIS12_E10value_typeET2_T3_PNS13_IS18_E10value_typeET4_jRbjT5_S1E_jjP12ihipStream_tbEUljE_ZNSN_ISO_Lb0ESQ_SR_ST_SU_SY_EESZ_S10_S11_S12_S16_S17_S18_S1B_S1C_jS1D_jS1E_S1E_jjS1G_bEUljE0_EEESZ_S10_S11_S18_S1C_S1E_T6_T7_T9_mT8_S1G_bDpT10_ENKUlT_T0_E_clISt17integral_constantIbLb0EES1U_EEDaS1P_S1Q_EUlS1P_E_NS1_11comp_targetILNS1_3genE9ELNS1_11target_archE1100ELNS1_3gpuE3ELNS1_3repE0EEENS1_30default_config_static_selectorELNS0_4arch9wavefront6targetE0EEEvS12_,comdat
	.globl	_ZN7rocprim17ROCPRIM_400000_NS6detail17trampoline_kernelINS0_13select_configILj256ELj13ELNS0_17block_load_methodE3ELS4_3ELS4_3ELNS0_20block_scan_algorithmE0ELj4294967295EEENS1_25partition_config_selectorILNS1_17partition_subalgoE4EjNS0_10empty_typeEbEEZZNS1_14partition_implILS8_4ELb0ES6_15HIP_vector_typeIjLj2EENS0_17counting_iteratorIjlEEPS9_SG_NS0_5tupleIJPjSI_NS0_16reverse_iteratorISI_EEEEENSH_IJSG_SG_SG_EEES9_SI_JZNS1_25segmented_radix_sort_implINS0_14default_configELb0EPKhPhPKlPlN2at6native12_GLOBAL__N_18offset_tEEE10hipError_tPvRmT1_PNSt15iterator_traitsIS12_E10value_typeET2_T3_PNS13_IS18_E10value_typeET4_jRbjT5_S1E_jjP12ihipStream_tbEUljE_ZNSN_ISO_Lb0ESQ_SR_ST_SU_SY_EESZ_S10_S11_S12_S16_S17_S18_S1B_S1C_jS1D_jS1E_S1E_jjS1G_bEUljE0_EEESZ_S10_S11_S18_S1C_S1E_T6_T7_T9_mT8_S1G_bDpT10_ENKUlT_T0_E_clISt17integral_constantIbLb0EES1U_EEDaS1P_S1Q_EUlS1P_E_NS1_11comp_targetILNS1_3genE9ELNS1_11target_archE1100ELNS1_3gpuE3ELNS1_3repE0EEENS1_30default_config_static_selectorELNS0_4arch9wavefront6targetE0EEEvS12_ ; -- Begin function _ZN7rocprim17ROCPRIM_400000_NS6detail17trampoline_kernelINS0_13select_configILj256ELj13ELNS0_17block_load_methodE3ELS4_3ELS4_3ELNS0_20block_scan_algorithmE0ELj4294967295EEENS1_25partition_config_selectorILNS1_17partition_subalgoE4EjNS0_10empty_typeEbEEZZNS1_14partition_implILS8_4ELb0ES6_15HIP_vector_typeIjLj2EENS0_17counting_iteratorIjlEEPS9_SG_NS0_5tupleIJPjSI_NS0_16reverse_iteratorISI_EEEEENSH_IJSG_SG_SG_EEES9_SI_JZNS1_25segmented_radix_sort_implINS0_14default_configELb0EPKhPhPKlPlN2at6native12_GLOBAL__N_18offset_tEEE10hipError_tPvRmT1_PNSt15iterator_traitsIS12_E10value_typeET2_T3_PNS13_IS18_E10value_typeET4_jRbjT5_S1E_jjP12ihipStream_tbEUljE_ZNSN_ISO_Lb0ESQ_SR_ST_SU_SY_EESZ_S10_S11_S12_S16_S17_S18_S1B_S1C_jS1D_jS1E_S1E_jjS1G_bEUljE0_EEESZ_S10_S11_S18_S1C_S1E_T6_T7_T9_mT8_S1G_bDpT10_ENKUlT_T0_E_clISt17integral_constantIbLb0EES1U_EEDaS1P_S1Q_EUlS1P_E_NS1_11comp_targetILNS1_3genE9ELNS1_11target_archE1100ELNS1_3gpuE3ELNS1_3repE0EEENS1_30default_config_static_selectorELNS0_4arch9wavefront6targetE0EEEvS12_
	.p2align	8
	.type	_ZN7rocprim17ROCPRIM_400000_NS6detail17trampoline_kernelINS0_13select_configILj256ELj13ELNS0_17block_load_methodE3ELS4_3ELS4_3ELNS0_20block_scan_algorithmE0ELj4294967295EEENS1_25partition_config_selectorILNS1_17partition_subalgoE4EjNS0_10empty_typeEbEEZZNS1_14partition_implILS8_4ELb0ES6_15HIP_vector_typeIjLj2EENS0_17counting_iteratorIjlEEPS9_SG_NS0_5tupleIJPjSI_NS0_16reverse_iteratorISI_EEEEENSH_IJSG_SG_SG_EEES9_SI_JZNS1_25segmented_radix_sort_implINS0_14default_configELb0EPKhPhPKlPlN2at6native12_GLOBAL__N_18offset_tEEE10hipError_tPvRmT1_PNSt15iterator_traitsIS12_E10value_typeET2_T3_PNS13_IS18_E10value_typeET4_jRbjT5_S1E_jjP12ihipStream_tbEUljE_ZNSN_ISO_Lb0ESQ_SR_ST_SU_SY_EESZ_S10_S11_S12_S16_S17_S18_S1B_S1C_jS1D_jS1E_S1E_jjS1G_bEUljE0_EEESZ_S10_S11_S18_S1C_S1E_T6_T7_T9_mT8_S1G_bDpT10_ENKUlT_T0_E_clISt17integral_constantIbLb0EES1U_EEDaS1P_S1Q_EUlS1P_E_NS1_11comp_targetILNS1_3genE9ELNS1_11target_archE1100ELNS1_3gpuE3ELNS1_3repE0EEENS1_30default_config_static_selectorELNS0_4arch9wavefront6targetE0EEEvS12_,@function
_ZN7rocprim17ROCPRIM_400000_NS6detail17trampoline_kernelINS0_13select_configILj256ELj13ELNS0_17block_load_methodE3ELS4_3ELS4_3ELNS0_20block_scan_algorithmE0ELj4294967295EEENS1_25partition_config_selectorILNS1_17partition_subalgoE4EjNS0_10empty_typeEbEEZZNS1_14partition_implILS8_4ELb0ES6_15HIP_vector_typeIjLj2EENS0_17counting_iteratorIjlEEPS9_SG_NS0_5tupleIJPjSI_NS0_16reverse_iteratorISI_EEEEENSH_IJSG_SG_SG_EEES9_SI_JZNS1_25segmented_radix_sort_implINS0_14default_configELb0EPKhPhPKlPlN2at6native12_GLOBAL__N_18offset_tEEE10hipError_tPvRmT1_PNSt15iterator_traitsIS12_E10value_typeET2_T3_PNS13_IS18_E10value_typeET4_jRbjT5_S1E_jjP12ihipStream_tbEUljE_ZNSN_ISO_Lb0ESQ_SR_ST_SU_SY_EESZ_S10_S11_S12_S16_S17_S18_S1B_S1C_jS1D_jS1E_S1E_jjS1G_bEUljE0_EEESZ_S10_S11_S18_S1C_S1E_T6_T7_T9_mT8_S1G_bDpT10_ENKUlT_T0_E_clISt17integral_constantIbLb0EES1U_EEDaS1P_S1Q_EUlS1P_E_NS1_11comp_targetILNS1_3genE9ELNS1_11target_archE1100ELNS1_3gpuE3ELNS1_3repE0EEENS1_30default_config_static_selectorELNS0_4arch9wavefront6targetE0EEEvS12_: ; @_ZN7rocprim17ROCPRIM_400000_NS6detail17trampoline_kernelINS0_13select_configILj256ELj13ELNS0_17block_load_methodE3ELS4_3ELS4_3ELNS0_20block_scan_algorithmE0ELj4294967295EEENS1_25partition_config_selectorILNS1_17partition_subalgoE4EjNS0_10empty_typeEbEEZZNS1_14partition_implILS8_4ELb0ES6_15HIP_vector_typeIjLj2EENS0_17counting_iteratorIjlEEPS9_SG_NS0_5tupleIJPjSI_NS0_16reverse_iteratorISI_EEEEENSH_IJSG_SG_SG_EEES9_SI_JZNS1_25segmented_radix_sort_implINS0_14default_configELb0EPKhPhPKlPlN2at6native12_GLOBAL__N_18offset_tEEE10hipError_tPvRmT1_PNSt15iterator_traitsIS12_E10value_typeET2_T3_PNS13_IS18_E10value_typeET4_jRbjT5_S1E_jjP12ihipStream_tbEUljE_ZNSN_ISO_Lb0ESQ_SR_ST_SU_SY_EESZ_S10_S11_S12_S16_S17_S18_S1B_S1C_jS1D_jS1E_S1E_jjS1G_bEUljE0_EEESZ_S10_S11_S18_S1C_S1E_T6_T7_T9_mT8_S1G_bDpT10_ENKUlT_T0_E_clISt17integral_constantIbLb0EES1U_EEDaS1P_S1Q_EUlS1P_E_NS1_11comp_targetILNS1_3genE9ELNS1_11target_archE1100ELNS1_3gpuE3ELNS1_3repE0EEENS1_30default_config_static_selectorELNS0_4arch9wavefront6targetE0EEEvS12_
; %bb.0:
	s_clause 0x6
	s_load_b32 s5, s[0:1], 0x80
	s_load_b64 s[34:35], s[0:1], 0x10
	s_load_b64 s[2:3], s[0:1], 0x68
	s_load_b32 s8, s[0:1], 0x8
	s_load_b128 s[24:27], s[0:1], 0x58
	s_load_b64 s[40:41], s[0:1], 0xa8
	s_load_b256 s[16:23], s[0:1], 0x88
	s_mul_i32 s33, s15, 0xd00
	s_waitcnt lgkmcnt(0)
	s_mul_i32 s4, s5, 0xd00
	s_add_i32 s5, s5, -1
	s_add_u32 s6, s34, s4
	s_addc_u32 s7, s35, 0
	s_load_b128 s[28:31], s[26:27], 0x0
	s_cmp_eq_u32 s15, s5
	v_cmp_lt_u64_e64 s3, s[6:7], s[2:3]
	s_cselect_b32 s14, -1, 0
	s_cmp_lg_u32 s15, s5
	s_cselect_b32 s5, -1, 0
	s_add_i32 s6, s8, s33
	s_delay_alu instid0(VALU_DEP_1) | instskip(SKIP_4) | instid1(VALU_DEP_1)
	s_or_b32 s3, s5, s3
	s_add_i32 s6, s6, s34
	s_and_b32 vcc_lo, exec_lo, s3
	v_add_nc_u32_e32 v1, s6, v0
	s_mov_b32 s5, -1
	v_add_nc_u32_e32 v2, 0x100, v1
	v_add_nc_u32_e32 v3, 0x200, v1
	;; [unrolled: 1-line block ×12, first 2 shown]
	s_cbranch_vccz .LBB128_2
; %bb.1:
	v_lshlrev_b32_e32 v14, 2, v0
	s_mov_b32 s5, 0
	ds_store_2addr_stride64_b32 v14, v1, v2 offset1:4
	ds_store_2addr_stride64_b32 v14, v3, v4 offset0:8 offset1:12
	ds_store_2addr_stride64_b32 v14, v5, v6 offset0:16 offset1:20
	ds_store_2addr_stride64_b32 v14, v7, v8 offset0:24 offset1:28
	ds_store_2addr_stride64_b32 v14, v9, v10 offset0:32 offset1:36
	ds_store_2addr_stride64_b32 v14, v11, v12 offset0:40 offset1:44
	ds_store_b32 v14, v13 offset:12288
	s_waitcnt lgkmcnt(0)
	s_barrier
.LBB128_2:
	s_and_not1_b32 vcc_lo, exec_lo, s5
	s_add_i32 s4, s4, s34
	s_cbranch_vccnz .LBB128_4
; %bb.3:
	v_lshlrev_b32_e32 v14, 2, v0
	ds_store_2addr_stride64_b32 v14, v1, v2 offset1:4
	ds_store_2addr_stride64_b32 v14, v3, v4 offset0:8 offset1:12
	ds_store_2addr_stride64_b32 v14, v5, v6 offset0:16 offset1:20
	;; [unrolled: 1-line block ×5, first 2 shown]
	ds_store_b32 v14, v13 offset:12288
	s_waitcnt lgkmcnt(0)
	s_barrier
.LBB128_4:
	v_mul_u32_u24_e32 v28, 13, v0
	s_clause 0x1
	s_load_b128 s[36:39], s[0:1], 0x28
	s_load_b64 s[26:27], s[0:1], 0x38
	s_waitcnt lgkmcnt(0)
	buffer_gl0_inv
	v_cndmask_b32_e64 v26, 0, 1, s3
	s_sub_i32 s44, s2, s4
	v_lshlrev_b32_e32 v1, 2, v28
	s_and_not1_b32 vcc_lo, exec_lo, s3
	ds_load_2addr_b32 v[16:17], v1 offset1:1
	ds_load_2addr_b32 v[14:15], v1 offset0:2 offset1:3
	ds_load_2addr_b32 v[12:13], v1 offset0:4 offset1:5
	;; [unrolled: 1-line block ×5, first 2 shown]
	ds_load_b32 v27, v1 offset:48
	s_waitcnt lgkmcnt(0)
	s_barrier
	buffer_gl0_inv
	s_cbranch_vccnz .LBB128_32
; %bb.5:
	v_add_nc_u32_e32 v1, s17, v16
	v_add_nc_u32_e32 v2, s19, v16
	s_mov_b32 s46, 0
	s_mov_b32 s45, 0
	s_mov_b32 s3, exec_lo
	v_mul_lo_u32 v1, v1, s16
	v_mul_lo_u32 v2, v2, s18
	s_delay_alu instid0(VALU_DEP_1) | instskip(NEXT) | instid1(VALU_DEP_1)
	v_sub_nc_u32_e32 v1, v1, v2
	v_cmp_lt_u32_e32 vcc_lo, s20, v1
	v_cmpx_ge_u32_e64 s20, v1
; %bb.6:
	v_add_nc_u32_e32 v1, s22, v16
	v_add_nc_u32_e32 v2, s40, v16
	s_delay_alu instid0(VALU_DEP_2) | instskip(NEXT) | instid1(VALU_DEP_2)
	v_mul_lo_u32 v1, v1, s21
	v_mul_lo_u32 v2, v2, s23
	s_delay_alu instid0(VALU_DEP_1) | instskip(NEXT) | instid1(VALU_DEP_1)
	v_sub_nc_u32_e32 v1, v1, v2
	v_cmp_lt_u32_e64 s2, s41, v1
	s_delay_alu instid0(VALU_DEP_1)
	s_and_b32 s45, s2, exec_lo
; %bb.7:
	s_or_b32 exec_lo, exec_lo, s3
	v_add_nc_u32_e32 v1, s17, v17
	v_add_nc_u32_e32 v2, s19, v17
	s_mov_b32 s4, exec_lo
	s_delay_alu instid0(VALU_DEP_2) | instskip(NEXT) | instid1(VALU_DEP_2)
	v_mul_lo_u32 v1, v1, s16
	v_mul_lo_u32 v2, v2, s18
	s_delay_alu instid0(VALU_DEP_1) | instskip(NEXT) | instid1(VALU_DEP_1)
	v_sub_nc_u32_e32 v1, v1, v2
	v_cmp_lt_u32_e64 s2, s20, v1
	v_cmpx_ge_u32_e64 s20, v1
; %bb.8:
	v_add_nc_u32_e32 v1, s22, v17
	v_add_nc_u32_e32 v2, s40, v17
	s_delay_alu instid0(VALU_DEP_2) | instskip(NEXT) | instid1(VALU_DEP_2)
	v_mul_lo_u32 v1, v1, s21
	v_mul_lo_u32 v2, v2, s23
	s_delay_alu instid0(VALU_DEP_1) | instskip(NEXT) | instid1(VALU_DEP_1)
	v_sub_nc_u32_e32 v1, v1, v2
	v_cmp_lt_u32_e64 s3, s41, v1
	s_delay_alu instid0(VALU_DEP_1)
	s_and_b32 s46, s3, exec_lo
; %bb.9:
	s_or_b32 exec_lo, exec_lo, s4
	v_add_nc_u32_e32 v1, s17, v14
	v_add_nc_u32_e32 v2, s19, v14
	s_mov_b32 s48, 0
	s_mov_b32 s47, 0
	s_mov_b32 s5, exec_lo
	v_mul_lo_u32 v1, v1, s16
	v_mul_lo_u32 v2, v2, s18
	s_delay_alu instid0(VALU_DEP_1) | instskip(NEXT) | instid1(VALU_DEP_1)
	v_sub_nc_u32_e32 v1, v1, v2
	v_cmp_lt_u32_e64 s3, s20, v1
	v_cmpx_ge_u32_e64 s20, v1
; %bb.10:
	v_add_nc_u32_e32 v1, s22, v14
	v_add_nc_u32_e32 v2, s40, v14
	s_delay_alu instid0(VALU_DEP_2) | instskip(NEXT) | instid1(VALU_DEP_2)
	v_mul_lo_u32 v1, v1, s21
	v_mul_lo_u32 v2, v2, s23
	s_delay_alu instid0(VALU_DEP_1) | instskip(NEXT) | instid1(VALU_DEP_1)
	v_sub_nc_u32_e32 v1, v1, v2
	v_cmp_lt_u32_e64 s4, s41, v1
	s_delay_alu instid0(VALU_DEP_1)
	s_and_b32 s47, s4, exec_lo
; %bb.11:
	s_or_b32 exec_lo, exec_lo, s5
	v_add_nc_u32_e32 v1, s17, v15
	v_add_nc_u32_e32 v2, s19, v15
	s_mov_b32 s6, exec_lo
	s_delay_alu instid0(VALU_DEP_2) | instskip(NEXT) | instid1(VALU_DEP_2)
	v_mul_lo_u32 v1, v1, s16
	v_mul_lo_u32 v2, v2, s18
	s_delay_alu instid0(VALU_DEP_1) | instskip(NEXT) | instid1(VALU_DEP_1)
	v_sub_nc_u32_e32 v1, v1, v2
	v_cmp_lt_u32_e64 s4, s20, v1
	v_cmpx_ge_u32_e64 s20, v1
; %bb.12:
	v_add_nc_u32_e32 v1, s22, v15
	v_add_nc_u32_e32 v2, s40, v15
	s_delay_alu instid0(VALU_DEP_2) | instskip(NEXT) | instid1(VALU_DEP_2)
	v_mul_lo_u32 v1, v1, s21
	v_mul_lo_u32 v2, v2, s23
	s_delay_alu instid0(VALU_DEP_1) | instskip(NEXT) | instid1(VALU_DEP_1)
	v_sub_nc_u32_e32 v1, v1, v2
	v_cmp_lt_u32_e64 s5, s41, v1
	s_delay_alu instid0(VALU_DEP_1)
	s_and_b32 s48, s5, exec_lo
; %bb.13:
	s_or_b32 exec_lo, exec_lo, s6
	v_add_nc_u32_e32 v1, s17, v12
	v_add_nc_u32_e32 v2, s19, v12
	s_mov_b32 s50, 0
	s_mov_b32 s49, 0
	s_mov_b32 s7, exec_lo
	v_mul_lo_u32 v1, v1, s16
	v_mul_lo_u32 v2, v2, s18
	s_delay_alu instid0(VALU_DEP_1) | instskip(NEXT) | instid1(VALU_DEP_1)
	v_sub_nc_u32_e32 v1, v1, v2
	v_cmp_lt_u32_e64 s5, s20, v1
	;; [unrolled: 47-line block ×5, first 2 shown]
	v_cmpx_ge_u32_e64 s20, v1
; %bb.26:
	v_add_nc_u32_e32 v1, s22, v6
	v_add_nc_u32_e32 v2, s40, v6
	s_delay_alu instid0(VALU_DEP_2) | instskip(NEXT) | instid1(VALU_DEP_2)
	v_mul_lo_u32 v1, v1, s21
	v_mul_lo_u32 v2, v2, s23
	s_delay_alu instid0(VALU_DEP_1) | instskip(NEXT) | instid1(VALU_DEP_1)
	v_sub_nc_u32_e32 v1, v1, v2
	v_cmp_lt_u32_e64 s12, s41, v1
	s_delay_alu instid0(VALU_DEP_1)
	s_and_b32 s57, s12, exec_lo
; %bb.27:
	s_or_b32 exec_lo, exec_lo, s13
	v_add_nc_u32_e32 v1, s17, v7
	v_add_nc_u32_e32 v2, s19, v7
	s_mov_b32 s42, exec_lo
	s_delay_alu instid0(VALU_DEP_2) | instskip(NEXT) | instid1(VALU_DEP_2)
	v_mul_lo_u32 v1, v1, s16
	v_mul_lo_u32 v2, v2, s18
	s_delay_alu instid0(VALU_DEP_1) | instskip(NEXT) | instid1(VALU_DEP_1)
	v_sub_nc_u32_e32 v1, v1, v2
	v_cmp_lt_u32_e64 s12, s20, v1
	v_cmpx_ge_u32_e64 s20, v1
; %bb.28:
	v_add_nc_u32_e32 v1, s22, v7
	v_add_nc_u32_e32 v2, s40, v7
	s_delay_alu instid0(VALU_DEP_2) | instskip(NEXT) | instid1(VALU_DEP_2)
	v_mul_lo_u32 v1, v1, s21
	v_mul_lo_u32 v2, v2, s23
	s_delay_alu instid0(VALU_DEP_1) | instskip(NEXT) | instid1(VALU_DEP_1)
	v_sub_nc_u32_e32 v1, v1, v2
	v_cmp_lt_u32_e64 s13, s41, v1
	s_delay_alu instid0(VALU_DEP_1)
	s_and_b32 s56, s13, exec_lo
; %bb.29:
	s_or_b32 exec_lo, exec_lo, s42
	v_add_nc_u32_e32 v1, s17, v27
	v_add_nc_u32_e32 v2, s19, v27
	s_mov_b32 s42, -1
	s_mov_b32 s53, 0
	s_mov_b32 s43, 0
	v_mul_lo_u32 v1, v1, s16
	v_mul_lo_u32 v2, v2, s18
	s_mov_b32 s58, exec_lo
	s_delay_alu instid0(VALU_DEP_1) | instskip(NEXT) | instid1(VALU_DEP_1)
	v_sub_nc_u32_e32 v1, v1, v2
	v_cmpx_ge_u32_e64 s20, v1
; %bb.30:
	v_add_nc_u32_e32 v1, s22, v27
	v_add_nc_u32_e32 v2, s40, v27
	s_xor_b32 s42, exec_lo, -1
	s_delay_alu instid0(VALU_DEP_2) | instskip(NEXT) | instid1(VALU_DEP_2)
	v_mul_lo_u32 v1, v1, s21
	v_mul_lo_u32 v2, v2, s23
	s_delay_alu instid0(VALU_DEP_1) | instskip(NEXT) | instid1(VALU_DEP_1)
	v_sub_nc_u32_e32 v1, v1, v2
	v_cmp_lt_u32_e64 s13, s41, v1
	s_delay_alu instid0(VALU_DEP_1)
	s_and_b32 s43, s13, exec_lo
; %bb.31:
	s_or_b32 exec_lo, exec_lo, s58
	v_cndmask_b32_e64 v48, 0, 1, s57
	v_cndmask_b32_e64 v51, 0, 1, s12
	;; [unrolled: 1-line block ×22, first 2 shown]
	v_cndmask_b32_e64 v29, 0, 1, vcc_lo
	v_cndmask_b32_e64 v52, 0, 1, s56
	s_load_b64 s[4:5], s[0:1], 0x78
	s_and_b32 vcc_lo, exec_lo, s53
	s_add_i32 s3, s44, 0xd00
	s_cbranch_vccnz .LBB128_33
	s_branch .LBB128_86
.LBB128_32:
                                        ; implicit-def: $sgpr42
                                        ; implicit-def: $sgpr43
                                        ; implicit-def: $vgpr52
                                        ; implicit-def: $vgpr48
                                        ; implicit-def: $vgpr47
                                        ; implicit-def: $vgpr45
                                        ; implicit-def: $vgpr43
                                        ; implicit-def: $vgpr40
                                        ; implicit-def: $vgpr39
                                        ; implicit-def: $vgpr37
                                        ; implicit-def: $vgpr35
                                        ; implicit-def: $vgpr29
                                        ; implicit-def: $vgpr33
                                        ; implicit-def: $vgpr31
                                        ; implicit-def: $vgpr32
                                        ; implicit-def: $vgpr38
                                        ; implicit-def: $vgpr41
                                        ; implicit-def: $vgpr42
                                        ; implicit-def: $vgpr44
                                        ; implicit-def: $vgpr46
                                        ; implicit-def: $vgpr49
                                        ; implicit-def: $vgpr50
                                        ; implicit-def: $vgpr51
                                        ; implicit-def: $vgpr30
                                        ; implicit-def: $vgpr34
                                        ; implicit-def: $vgpr36
	s_load_b64 s[4:5], s[0:1], 0x78
	s_add_i32 s3, s44, 0xd00
	s_cbranch_execz .LBB128_86
.LBB128_33:
	v_dual_mov_b32 v30, 0 :: v_dual_mov_b32 v29, 0
	s_mov_b32 s2, 0
	s_mov_b32 s1, exec_lo
	v_cmpx_gt_u32_e64 s3, v28
	s_cbranch_execz .LBB128_37
; %bb.34:
	v_add_nc_u32_e32 v1, s17, v16
	v_add_nc_u32_e32 v2, s19, v16
	s_mov_b32 s6, exec_lo
	s_delay_alu instid0(VALU_DEP_2) | instskip(NEXT) | instid1(VALU_DEP_2)
	v_mul_lo_u32 v1, v1, s16
	v_mul_lo_u32 v2, v2, s18
	s_delay_alu instid0(VALU_DEP_1) | instskip(NEXT) | instid1(VALU_DEP_1)
	v_sub_nc_u32_e32 v1, v1, v2
	v_cmp_lt_u32_e32 vcc_lo, s20, v1
	v_cmpx_ge_u32_e64 s20, v1
; %bb.35:
	v_add_nc_u32_e32 v1, s22, v16
	v_add_nc_u32_e32 v2, s40, v16
	s_delay_alu instid0(VALU_DEP_2) | instskip(NEXT) | instid1(VALU_DEP_2)
	v_mul_lo_u32 v1, v1, s21
	v_mul_lo_u32 v2, v2, s23
	s_delay_alu instid0(VALU_DEP_1) | instskip(NEXT) | instid1(VALU_DEP_1)
	v_sub_nc_u32_e32 v1, v1, v2
	v_cmp_lt_u32_e64 s0, s41, v1
	s_delay_alu instid0(VALU_DEP_1)
	s_and_b32 s2, s0, exec_lo
; %bb.36:
	s_or_b32 exec_lo, exec_lo, s6
	v_cndmask_b32_e64 v29, 0, 1, vcc_lo
	v_cndmask_b32_e64 v30, 0, 1, s2
.LBB128_37:
	s_or_b32 exec_lo, exec_lo, s1
	v_dual_mov_b32 v34, 0 :: v_dual_add_nc_u32 v1, 1, v28
	v_mov_b32_e32 v33, 0
	s_mov_b32 s2, 0
	s_mov_b32 s1, exec_lo
	s_delay_alu instid0(VALU_DEP_2)
	v_cmpx_gt_u32_e64 s3, v1
	s_cbranch_execz .LBB128_41
; %bb.38:
	v_add_nc_u32_e32 v1, s17, v17
	v_add_nc_u32_e32 v2, s19, v17
	s_mov_b32 s6, exec_lo
	s_delay_alu instid0(VALU_DEP_2) | instskip(NEXT) | instid1(VALU_DEP_2)
	v_mul_lo_u32 v1, v1, s16
	v_mul_lo_u32 v2, v2, s18
	s_delay_alu instid0(VALU_DEP_1) | instskip(NEXT) | instid1(VALU_DEP_1)
	v_sub_nc_u32_e32 v1, v1, v2
	v_cmp_lt_u32_e32 vcc_lo, s20, v1
	v_cmpx_ge_u32_e64 s20, v1
; %bb.39:
	v_add_nc_u32_e32 v1, s22, v17
	v_add_nc_u32_e32 v2, s40, v17
	s_delay_alu instid0(VALU_DEP_2) | instskip(NEXT) | instid1(VALU_DEP_2)
	v_mul_lo_u32 v1, v1, s21
	v_mul_lo_u32 v2, v2, s23
	s_delay_alu instid0(VALU_DEP_1) | instskip(NEXT) | instid1(VALU_DEP_1)
	v_sub_nc_u32_e32 v1, v1, v2
	v_cmp_lt_u32_e64 s0, s41, v1
	s_delay_alu instid0(VALU_DEP_1)
	s_and_b32 s2, s0, exec_lo
; %bb.40:
	s_or_b32 exec_lo, exec_lo, s6
	v_cndmask_b32_e64 v33, 0, 1, vcc_lo
	v_cndmask_b32_e64 v34, 0, 1, s2
.LBB128_41:
	s_or_b32 exec_lo, exec_lo, s1
	v_dual_mov_b32 v36, 0 :: v_dual_add_nc_u32 v1, 2, v28
	v_mov_b32_e32 v31, 0
	s_mov_b32 s2, 0
	s_mov_b32 s1, exec_lo
	s_delay_alu instid0(VALU_DEP_2)
	;; [unrolled: 35-line block ×4, first 2 shown]
	v_cmpx_gt_u32_e64 s3, v1
	s_cbranch_execz .LBB128_53
; %bb.50:
	v_add_nc_u32_e32 v1, s17, v12
	v_add_nc_u32_e32 v2, s19, v12
	s_mov_b32 s6, exec_lo
	s_delay_alu instid0(VALU_DEP_2) | instskip(NEXT) | instid1(VALU_DEP_2)
	v_mul_lo_u32 v1, v1, s16
	v_mul_lo_u32 v2, v2, s18
	s_delay_alu instid0(VALU_DEP_1) | instskip(NEXT) | instid1(VALU_DEP_1)
	v_sub_nc_u32_e32 v1, v1, v2
	v_cmp_lt_u32_e32 vcc_lo, s20, v1
	v_cmpx_ge_u32_e64 s20, v1
; %bb.51:
	v_add_nc_u32_e32 v1, s22, v12
	v_add_nc_u32_e32 v2, s40, v12
	s_delay_alu instid0(VALU_DEP_2) | instskip(NEXT) | instid1(VALU_DEP_2)
	v_mul_lo_u32 v1, v1, s21
	v_mul_lo_u32 v2, v2, s23
	s_delay_alu instid0(VALU_DEP_1) | instskip(NEXT) | instid1(VALU_DEP_1)
	v_sub_nc_u32_e32 v1, v1, v2
	v_cmp_lt_u32_e64 s0, s41, v1
	s_delay_alu instid0(VALU_DEP_1)
	s_and_b32 s2, s0, exec_lo
; %bb.52:
	s_or_b32 exec_lo, exec_lo, s6
	v_cndmask_b32_e64 v38, 0, 1, vcc_lo
	v_cndmask_b32_e64 v37, 0, 1, s2
.LBB128_53:
	s_or_b32 exec_lo, exec_lo, s1
	v_add_nc_u32_e32 v1, 5, v28
	v_mov_b32_e32 v39, 0
	v_mov_b32_e32 v41, 0
	s_mov_b32 s2, 0
	s_mov_b32 s1, exec_lo
	v_cmpx_gt_u32_e64 s3, v1
	s_cbranch_execz .LBB128_57
; %bb.54:
	v_add_nc_u32_e32 v1, s17, v13
	v_add_nc_u32_e32 v2, s19, v13
	s_mov_b32 s6, exec_lo
	s_delay_alu instid0(VALU_DEP_2) | instskip(NEXT) | instid1(VALU_DEP_2)
	v_mul_lo_u32 v1, v1, s16
	v_mul_lo_u32 v2, v2, s18
	s_delay_alu instid0(VALU_DEP_1) | instskip(NEXT) | instid1(VALU_DEP_1)
	v_sub_nc_u32_e32 v1, v1, v2
	v_cmp_lt_u32_e32 vcc_lo, s20, v1
	v_cmpx_ge_u32_e64 s20, v1
; %bb.55:
	v_add_nc_u32_e32 v1, s22, v13
	v_add_nc_u32_e32 v2, s40, v13
	s_delay_alu instid0(VALU_DEP_2) | instskip(NEXT) | instid1(VALU_DEP_2)
	v_mul_lo_u32 v1, v1, s21
	v_mul_lo_u32 v2, v2, s23
	s_delay_alu instid0(VALU_DEP_1) | instskip(NEXT) | instid1(VALU_DEP_1)
	v_sub_nc_u32_e32 v1, v1, v2
	v_cmp_lt_u32_e64 s0, s41, v1
	s_delay_alu instid0(VALU_DEP_1)
	s_and_b32 s2, s0, exec_lo
; %bb.56:
	s_or_b32 exec_lo, exec_lo, s6
	v_cndmask_b32_e64 v41, 0, 1, vcc_lo
	v_cndmask_b32_e64 v39, 0, 1, s2
.LBB128_57:
	s_or_b32 exec_lo, exec_lo, s1
	v_dual_mov_b32 v40, 0 :: v_dual_add_nc_u32 v1, 6, v28
	v_mov_b32_e32 v42, 0
	s_mov_b32 s2, 0
	s_mov_b32 s1, exec_lo
	s_delay_alu instid0(VALU_DEP_2)
	v_cmpx_gt_u32_e64 s3, v1
	s_cbranch_execz .LBB128_61
; %bb.58:
	v_add_nc_u32_e32 v1, s17, v10
	v_add_nc_u32_e32 v2, s19, v10
	s_mov_b32 s6, exec_lo
	s_delay_alu instid0(VALU_DEP_2) | instskip(NEXT) | instid1(VALU_DEP_2)
	v_mul_lo_u32 v1, v1, s16
	v_mul_lo_u32 v2, v2, s18
	s_delay_alu instid0(VALU_DEP_1) | instskip(NEXT) | instid1(VALU_DEP_1)
	v_sub_nc_u32_e32 v1, v1, v2
	v_cmp_lt_u32_e32 vcc_lo, s20, v1
	v_cmpx_ge_u32_e64 s20, v1
; %bb.59:
	v_add_nc_u32_e32 v1, s22, v10
	v_add_nc_u32_e32 v2, s40, v10
	s_delay_alu instid0(VALU_DEP_2) | instskip(NEXT) | instid1(VALU_DEP_2)
	v_mul_lo_u32 v1, v1, s21
	v_mul_lo_u32 v2, v2, s23
	s_delay_alu instid0(VALU_DEP_1) | instskip(NEXT) | instid1(VALU_DEP_1)
	v_sub_nc_u32_e32 v1, v1, v2
	v_cmp_lt_u32_e64 s0, s41, v1
	s_delay_alu instid0(VALU_DEP_1)
	s_and_b32 s2, s0, exec_lo
; %bb.60:
	s_or_b32 exec_lo, exec_lo, s6
	v_cndmask_b32_e64 v42, 0, 1, vcc_lo
	v_cndmask_b32_e64 v40, 0, 1, s2
.LBB128_61:
	s_or_b32 exec_lo, exec_lo, s1
	v_dual_mov_b32 v44, 0 :: v_dual_add_nc_u32 v1, 7, v28
	v_mov_b32_e32 v43, 0
	s_mov_b32 s2, 0
	s_mov_b32 s1, exec_lo
	s_delay_alu instid0(VALU_DEP_2)
	;; [unrolled: 35-line block ×3, first 2 shown]
	v_cmpx_gt_u32_e64 s3, v1
	s_cbranch_execz .LBB128_69
; %bb.66:
	v_add_nc_u32_e32 v1, s17, v8
	v_add_nc_u32_e32 v2, s19, v8
	s_mov_b32 s6, exec_lo
	s_delay_alu instid0(VALU_DEP_2) | instskip(NEXT) | instid1(VALU_DEP_2)
	v_mul_lo_u32 v1, v1, s16
	v_mul_lo_u32 v2, v2, s18
	s_delay_alu instid0(VALU_DEP_1) | instskip(NEXT) | instid1(VALU_DEP_1)
	v_sub_nc_u32_e32 v1, v1, v2
	v_cmp_lt_u32_e32 vcc_lo, s20, v1
	v_cmpx_ge_u32_e64 s20, v1
; %bb.67:
	v_add_nc_u32_e32 v1, s22, v8
	v_add_nc_u32_e32 v2, s40, v8
	s_delay_alu instid0(VALU_DEP_2) | instskip(NEXT) | instid1(VALU_DEP_2)
	v_mul_lo_u32 v1, v1, s21
	v_mul_lo_u32 v2, v2, s23
	s_delay_alu instid0(VALU_DEP_1) | instskip(NEXT) | instid1(VALU_DEP_1)
	v_sub_nc_u32_e32 v1, v1, v2
	v_cmp_lt_u32_e64 s0, s41, v1
	s_delay_alu instid0(VALU_DEP_1)
	s_and_b32 s2, s0, exec_lo
; %bb.68:
	s_or_b32 exec_lo, exec_lo, s6
	v_cndmask_b32_e64 v46, 0, 1, vcc_lo
	v_cndmask_b32_e64 v45, 0, 1, s2
.LBB128_69:
	s_or_b32 exec_lo, exec_lo, s1
	v_add_nc_u32_e32 v1, 9, v28
	v_mov_b32_e32 v47, 0
	v_mov_b32_e32 v49, 0
	s_mov_b32 s2, 0
	s_mov_b32 s1, exec_lo
	v_cmpx_gt_u32_e64 s3, v1
	s_cbranch_execz .LBB128_73
; %bb.70:
	v_add_nc_u32_e32 v1, s17, v9
	v_add_nc_u32_e32 v2, s19, v9
	s_mov_b32 s6, exec_lo
	s_delay_alu instid0(VALU_DEP_2) | instskip(NEXT) | instid1(VALU_DEP_2)
	v_mul_lo_u32 v1, v1, s16
	v_mul_lo_u32 v2, v2, s18
	s_delay_alu instid0(VALU_DEP_1) | instskip(NEXT) | instid1(VALU_DEP_1)
	v_sub_nc_u32_e32 v1, v1, v2
	v_cmp_lt_u32_e32 vcc_lo, s20, v1
	v_cmpx_ge_u32_e64 s20, v1
; %bb.71:
	v_add_nc_u32_e32 v1, s22, v9
	v_add_nc_u32_e32 v2, s40, v9
	s_delay_alu instid0(VALU_DEP_2) | instskip(NEXT) | instid1(VALU_DEP_2)
	v_mul_lo_u32 v1, v1, s21
	v_mul_lo_u32 v2, v2, s23
	s_delay_alu instid0(VALU_DEP_1) | instskip(NEXT) | instid1(VALU_DEP_1)
	v_sub_nc_u32_e32 v1, v1, v2
	v_cmp_lt_u32_e64 s0, s41, v1
	s_delay_alu instid0(VALU_DEP_1)
	s_and_b32 s2, s0, exec_lo
; %bb.72:
	s_or_b32 exec_lo, exec_lo, s6
	v_cndmask_b32_e64 v49, 0, 1, vcc_lo
	v_cndmask_b32_e64 v47, 0, 1, s2
.LBB128_73:
	s_or_b32 exec_lo, exec_lo, s1
	v_dual_mov_b32 v48, 0 :: v_dual_add_nc_u32 v1, 10, v28
	v_mov_b32_e32 v50, 0
	s_mov_b32 s2, 0
	s_mov_b32 s1, exec_lo
	s_delay_alu instid0(VALU_DEP_2)
	v_cmpx_gt_u32_e64 s3, v1
	s_cbranch_execz .LBB128_77
; %bb.74:
	v_add_nc_u32_e32 v1, s17, v6
	v_add_nc_u32_e32 v2, s19, v6
	s_mov_b32 s6, exec_lo
	s_delay_alu instid0(VALU_DEP_2) | instskip(NEXT) | instid1(VALU_DEP_2)
	v_mul_lo_u32 v1, v1, s16
	v_mul_lo_u32 v2, v2, s18
	s_delay_alu instid0(VALU_DEP_1) | instskip(NEXT) | instid1(VALU_DEP_1)
	v_sub_nc_u32_e32 v1, v1, v2
	v_cmp_lt_u32_e32 vcc_lo, s20, v1
	v_cmpx_ge_u32_e64 s20, v1
; %bb.75:
	v_add_nc_u32_e32 v1, s22, v6
	v_add_nc_u32_e32 v2, s40, v6
	s_delay_alu instid0(VALU_DEP_2) | instskip(NEXT) | instid1(VALU_DEP_2)
	v_mul_lo_u32 v1, v1, s21
	v_mul_lo_u32 v2, v2, s23
	s_delay_alu instid0(VALU_DEP_1) | instskip(NEXT) | instid1(VALU_DEP_1)
	v_sub_nc_u32_e32 v1, v1, v2
	v_cmp_lt_u32_e64 s0, s41, v1
	s_delay_alu instid0(VALU_DEP_1)
	s_and_b32 s2, s0, exec_lo
; %bb.76:
	s_or_b32 exec_lo, exec_lo, s6
	v_cndmask_b32_e64 v50, 0, 1, vcc_lo
	v_cndmask_b32_e64 v48, 0, 1, s2
.LBB128_77:
	s_or_b32 exec_lo, exec_lo, s1
	v_dual_mov_b32 v52, 0 :: v_dual_add_nc_u32 v1, 11, v28
	v_mov_b32_e32 v51, 0
	s_mov_b32 s2, 0
	s_mov_b32 s1, exec_lo
	s_delay_alu instid0(VALU_DEP_2)
	v_cmpx_gt_u32_e64 s3, v1
	s_cbranch_execz .LBB128_81
; %bb.78:
	v_add_nc_u32_e32 v1, s17, v7
	v_add_nc_u32_e32 v2, s19, v7
	s_mov_b32 s6, exec_lo
	s_delay_alu instid0(VALU_DEP_2) | instskip(NEXT) | instid1(VALU_DEP_2)
	v_mul_lo_u32 v1, v1, s16
	v_mul_lo_u32 v2, v2, s18
	s_delay_alu instid0(VALU_DEP_1) | instskip(NEXT) | instid1(VALU_DEP_1)
	v_sub_nc_u32_e32 v1, v1, v2
	v_cmp_lt_u32_e32 vcc_lo, s20, v1
	v_cmpx_ge_u32_e64 s20, v1
; %bb.79:
	v_add_nc_u32_e32 v1, s22, v7
	v_add_nc_u32_e32 v2, s40, v7
	s_delay_alu instid0(VALU_DEP_2) | instskip(NEXT) | instid1(VALU_DEP_2)
	v_mul_lo_u32 v1, v1, s21
	v_mul_lo_u32 v2, v2, s23
	s_delay_alu instid0(VALU_DEP_1) | instskip(NEXT) | instid1(VALU_DEP_1)
	v_sub_nc_u32_e32 v1, v1, v2
	v_cmp_lt_u32_e64 s0, s41, v1
	s_delay_alu instid0(VALU_DEP_1)
	s_and_b32 s2, s0, exec_lo
; %bb.80:
	s_or_b32 exec_lo, exec_lo, s6
	v_cndmask_b32_e64 v51, 0, 1, vcc_lo
	v_cndmask_b32_e64 v52, 0, 1, s2
.LBB128_81:
	s_or_b32 exec_lo, exec_lo, s1
	v_add_nc_u32_e32 v1, 12, v28
	s_mov_b32 s42, 0
	s_mov_b32 s43, 0
	s_mov_b32 s0, exec_lo
	s_delay_alu instid0(VALU_DEP_1)
	v_cmpx_gt_u32_e64 s3, v1
	s_cbranch_execz .LBB128_85
; %bb.82:
	v_add_nc_u32_e32 v1, s17, v27
	v_add_nc_u32_e32 v2, s19, v27
	s_mov_b32 s2, -1
	s_mov_b32 s6, 0
	s_mov_b32 s1, exec_lo
	v_mul_lo_u32 v1, v1, s16
	v_mul_lo_u32 v2, v2, s18
	s_delay_alu instid0(VALU_DEP_1) | instskip(NEXT) | instid1(VALU_DEP_1)
	v_sub_nc_u32_e32 v1, v1, v2
	v_cmpx_ge_u32_e64 s20, v1
; %bb.83:
	v_add_nc_u32_e32 v1, s22, v27
	v_add_nc_u32_e32 v2, s40, v27
	s_xor_b32 s2, exec_lo, -1
	s_delay_alu instid0(VALU_DEP_2) | instskip(NEXT) | instid1(VALU_DEP_2)
	v_mul_lo_u32 v1, v1, s21
	v_mul_lo_u32 v2, v2, s23
	s_delay_alu instid0(VALU_DEP_1) | instskip(NEXT) | instid1(VALU_DEP_1)
	v_sub_nc_u32_e32 v1, v1, v2
	v_cmp_lt_u32_e32 vcc_lo, s41, v1
	s_and_b32 s6, vcc_lo, exec_lo
; %bb.84:
	s_or_b32 exec_lo, exec_lo, s1
	s_delay_alu instid0(SALU_CYCLE_1)
	s_and_b32 s43, s6, exec_lo
	s_and_b32 s42, s2, exec_lo
.LBB128_85:
	s_or_b32 exec_lo, exec_lo, s0
.LBB128_86:
	v_and_b32_e32 v75, 0xff, v29
	v_and_b32_e32 v76, 0xff, v30
	v_and_b32_e32 v71, 0xff, v33
	v_and_b32_e32 v72, 0xff, v34
	v_and_b32_e32 v73, 0xff, v31
	v_and_b32_e32 v74, 0xff, v36
	v_and_b32_e32 v69, 0xff, v32
	v_and_b32_e32 v70, 0xff, v35
	v_and_b32_e32 v67, 0xff, v38
	v_and_b32_e32 v68, 0xff, v37
	v_add3_u32 v1, v71, v73, v75
	v_add3_u32 v2, v72, v74, v76
	v_and_b32_e32 v65, 0xff, v41
	v_and_b32_e32 v66, 0xff, v39
	v_and_b32_e32 v61, 0xff, v42
	v_and_b32_e32 v62, 0xff, v40
	v_add3_u32 v1, v1, v69, v67
	v_add3_u32 v2, v2, v70, v68
	v_and_b32_e32 v63, 0xff, v44
	v_and_b32_e32 v64, 0xff, v43
	v_and_b32_e32 v59, 0xff, v46
	v_and_b32_e32 v60, 0xff, v45
	;; [unrolled: 6-line block ×3, first 2 shown]
	v_add3_u32 v1, v1, v63, v59
	v_add3_u32 v2, v2, v64, v60
	v_mbcnt_lo_u32_b32 v77, -1, 0
	v_and_b32_e32 v53, 0xff, v51
	v_and_b32_e32 v54, 0xff, v52
	v_cndmask_b32_e64 v3, 0, 1, s43
	v_add3_u32 v1, v1, v57, v55
	v_cndmask_b32_e64 v4, 0, 1, s42
	v_add3_u32 v2, v2, v58, v56
	v_and_b32_e32 v81, 15, v77
	v_and_b32_e32 v80, 16, v77
	v_lshrrev_b32_e32 v78, 5, v0
	v_add3_u32 v82, v1, v53, v4
	v_add3_u32 v83, v2, v54, v3
	v_cmp_eq_u32_e64 s1, 0, v81
	v_cmp_lt_u32_e64 s0, 1, v81
	v_cmp_lt_u32_e64 s2, 3, v81
	v_cmp_lt_u32_e32 vcc_lo, 7, v81
	v_or_b32_e32 v79, 31, v0
	s_cmp_lg_u32 s15, 0
	s_mov_b32 s6, -1
	s_cbranch_scc0 .LBB128_114
; %bb.87:
	v_mov_b32_dpp v1, v83 row_shr:1 row_mask:0xf bank_mask:0xf
	v_mov_b32_dpp v2, v82 row_shr:1 row_mask:0xf bank_mask:0xf
	s_delay_alu instid0(VALU_DEP_2) | instskip(NEXT) | instid1(VALU_DEP_1)
	v_add_nc_u32_e32 v1, v1, v83
	v_cndmask_b32_e64 v1, v1, v83, s1
	s_delay_alu instid0(VALU_DEP_1) | instskip(NEXT) | instid1(VALU_DEP_1)
	v_mov_b32_dpp v3, v1 row_shr:2 row_mask:0xf bank_mask:0xf
	v_add_nc_u32_e32 v3, v1, v3
	s_delay_alu instid0(VALU_DEP_1) | instskip(NEXT) | instid1(VALU_DEP_1)
	v_cndmask_b32_e64 v1, v1, v3, s0
	v_mov_b32_dpp v3, v1 row_shr:4 row_mask:0xf bank_mask:0xf
	s_delay_alu instid0(VALU_DEP_1) | instskip(NEXT) | instid1(VALU_DEP_1)
	v_add_nc_u32_e32 v3, v1, v3
	v_cndmask_b32_e64 v1, v1, v3, s2
	s_delay_alu instid0(VALU_DEP_1) | instskip(NEXT) | instid1(VALU_DEP_1)
	v_mov_b32_dpp v3, v1 row_shr:8 row_mask:0xf bank_mask:0xf
	v_add_nc_u32_e32 v3, v1, v3
	s_delay_alu instid0(VALU_DEP_1) | instskip(NEXT) | instid1(VALU_DEP_1)
	v_dual_cndmask_b32 v1, v1, v3 :: v_dual_add_nc_u32 v2, v2, v82
	v_cndmask_b32_e64 v2, v2, v82, s1
	s_delay_alu instid0(VALU_DEP_1) | instskip(NEXT) | instid1(VALU_DEP_1)
	v_mov_b32_dpp v4, v2 row_shr:2 row_mask:0xf bank_mask:0xf
	v_add_nc_u32_e32 v4, v2, v4
	s_delay_alu instid0(VALU_DEP_1) | instskip(NEXT) | instid1(VALU_DEP_1)
	v_cndmask_b32_e64 v2, v2, v4, s0
	v_mov_b32_dpp v4, v2 row_shr:4 row_mask:0xf bank_mask:0xf
	s_delay_alu instid0(VALU_DEP_1) | instskip(NEXT) | instid1(VALU_DEP_1)
	v_add_nc_u32_e32 v4, v2, v4
	v_cndmask_b32_e64 v2, v2, v4, s2
	s_mov_b32 s2, exec_lo
	s_delay_alu instid0(VALU_DEP_1) | instskip(NEXT) | instid1(VALU_DEP_1)
	v_mov_b32_dpp v4, v2 row_shr:8 row_mask:0xf bank_mask:0xf
	v_add_nc_u32_e32 v4, v2, v4
	s_delay_alu instid0(VALU_DEP_1)
	v_cndmask_b32_e32 v3, v2, v4, vcc_lo
	ds_swizzle_b32 v2, v1 offset:swizzle(BROADCAST,32,15)
	v_cmp_eq_u32_e32 vcc_lo, 0, v80
	s_waitcnt lgkmcnt(0)
	v_add_nc_u32_e32 v2, v1, v2
	ds_swizzle_b32 v4, v3 offset:swizzle(BROADCAST,32,15)
	v_cndmask_b32_e32 v2, v2, v1, vcc_lo
	s_waitcnt lgkmcnt(0)
	v_add_nc_u32_e32 v4, v3, v4
	s_delay_alu instid0(VALU_DEP_1)
	v_cndmask_b32_e32 v1, v4, v3, vcc_lo
	v_cmpx_eq_u32_e64 v79, v0
	s_cbranch_execz .LBB128_89
; %bb.88:
	v_lshlrev_b32_e32 v3, 3, v78
	ds_store_b64 v3, v[1:2]
.LBB128_89:
	s_or_b32 exec_lo, exec_lo, s2
	s_delay_alu instid0(SALU_CYCLE_1)
	s_mov_b32 s2, exec_lo
	s_waitcnt lgkmcnt(0)
	s_barrier
	buffer_gl0_inv
	v_cmpx_gt_u32_e32 8, v0
	s_cbranch_execz .LBB128_91
; %bb.90:
	v_lshlrev_b32_e32 v5, 3, v0
	ds_load_b64 v[3:4], v5
	s_waitcnt lgkmcnt(0)
	v_mov_b32_dpp v18, v3 row_shr:1 row_mask:0xf bank_mask:0xf
	v_mov_b32_dpp v19, v4 row_shr:1 row_mask:0xf bank_mask:0xf
	s_delay_alu instid0(VALU_DEP_2) | instskip(SKIP_1) | instid1(VALU_DEP_3)
	v_add_nc_u32_e32 v18, v18, v3
	v_and_b32_e32 v20, 7, v77
	v_add_nc_u32_e32 v19, v19, v4
	s_delay_alu instid0(VALU_DEP_2) | instskip(NEXT) | instid1(VALU_DEP_2)
	v_cmp_eq_u32_e32 vcc_lo, 0, v20
	v_dual_cndmask_b32 v4, v19, v4 :: v_dual_cndmask_b32 v3, v18, v3
	v_cmp_lt_u32_e32 vcc_lo, 1, v20
	s_delay_alu instid0(VALU_DEP_2) | instskip(NEXT) | instid1(VALU_DEP_3)
	v_mov_b32_dpp v19, v4 row_shr:2 row_mask:0xf bank_mask:0xf
	v_mov_b32_dpp v18, v3 row_shr:2 row_mask:0xf bank_mask:0xf
	s_delay_alu instid0(VALU_DEP_2) | instskip(NEXT) | instid1(VALU_DEP_2)
	v_add_nc_u32_e32 v19, v4, v19
	v_add_nc_u32_e32 v18, v3, v18
	s_delay_alu instid0(VALU_DEP_1) | instskip(SKIP_1) | instid1(VALU_DEP_2)
	v_dual_cndmask_b32 v4, v4, v19 :: v_dual_cndmask_b32 v3, v3, v18
	v_cmp_lt_u32_e32 vcc_lo, 3, v20
	v_mov_b32_dpp v19, v4 row_shr:4 row_mask:0xf bank_mask:0xf
	s_delay_alu instid0(VALU_DEP_3) | instskip(NEXT) | instid1(VALU_DEP_1)
	v_mov_b32_dpp v18, v3 row_shr:4 row_mask:0xf bank_mask:0xf
	v_dual_cndmask_b32 v19, 0, v19 :: v_dual_cndmask_b32 v18, 0, v18
	s_delay_alu instid0(VALU_DEP_1) | instskip(NEXT) | instid1(VALU_DEP_2)
	v_add_nc_u32_e32 v4, v19, v4
	v_add_nc_u32_e32 v3, v18, v3
	ds_store_b64 v5, v[3:4]
.LBB128_91:
	s_or_b32 exec_lo, exec_lo, s2
	v_cmp_gt_u32_e32 vcc_lo, 32, v0
	v_cmp_lt_u32_e64 s2, 31, v0
	s_waitcnt lgkmcnt(0)
	s_barrier
	buffer_gl0_inv
                                        ; implicit-def: $vgpr19
	s_and_saveexec_b32 s6, s2
	s_delay_alu instid0(SALU_CYCLE_1)
	s_xor_b32 s2, exec_lo, s6
	s_cbranch_execz .LBB128_93
; %bb.92:
	v_lshl_add_u32 v3, v78, 3, -8
	ds_load_b64 v[18:19], v3
	s_waitcnt lgkmcnt(0)
	v_add_nc_u32_e32 v2, v19, v2
	v_add_nc_u32_e32 v1, v18, v1
.LBB128_93:
	s_and_not1_saveexec_b32 s2, s2
; %bb.94:
                                        ; implicit-def: $vgpr18
; %bb.95:
	s_delay_alu instid0(SALU_CYCLE_1) | instskip(SKIP_1) | instid1(VALU_DEP_1)
	s_or_b32 exec_lo, exec_lo, s2
	v_add_nc_u32_e32 v3, -1, v77
	v_cmp_gt_i32_e64 s2, 0, v3
	s_delay_alu instid0(VALU_DEP_1) | instskip(SKIP_1) | instid1(VALU_DEP_2)
	v_cndmask_b32_e64 v3, v3, v77, s2
	v_cmp_eq_u32_e64 s2, 0, v77
	v_lshlrev_b32_e32 v3, 2, v3
	ds_bpermute_b32 v84, v3, v1
	ds_bpermute_b32 v85, v3, v2
	s_and_saveexec_b32 s6, vcc_lo
	s_cbranch_execz .LBB128_113
; %bb.96:
	v_mov_b32_e32 v4, 0
	ds_load_b64 v[1:2], v4 offset:56
	s_waitcnt lgkmcnt(0)
	v_readfirstlane_b32 s7, v2
	s_and_saveexec_b32 s8, s2
	s_cbranch_execz .LBB128_98
; %bb.97:
	s_add_i32 s10, s15, 32
	s_mov_b32 s11, 0
	v_mov_b32_e32 v3, 1
	s_lshl_b64 s[12:13], s[10:11], 4
	s_mov_b32 s16, s11
	s_add_u32 s12, s4, s12
	s_addc_u32 s13, s5, s13
	s_and_b32 s17, s7, 0xff000000
	s_and_b32 s19, s7, 0xff0000
	s_mov_b32 s18, s11
	v_dual_mov_b32 v21, s13 :: v_dual_mov_b32 v20, s12
	s_or_b64 s[16:17], s[18:19], s[16:17]
	s_and_b32 s19, s7, 0xff00
	s_delay_alu instid0(SALU_CYCLE_1) | instskip(SKIP_1) | instid1(SALU_CYCLE_1)
	s_or_b64 s[16:17], s[16:17], s[18:19]
	s_and_b32 s19, s7, 0xff
	s_or_b64 s[10:11], s[16:17], s[18:19]
	s_delay_alu instid0(SALU_CYCLE_1)
	v_mov_b32_e32 v2, s11
	;;#ASMSTART
	global_store_dwordx4 v[20:21], v[1:4] off	
s_waitcnt vmcnt(0)
	;;#ASMEND
.LBB128_98:
	s_or_b32 exec_lo, exec_lo, s8
	v_xad_u32 v20, v77, -1, s15
	s_mov_b32 s9, 0
	s_mov_b32 s8, exec_lo
	s_delay_alu instid0(VALU_DEP_1) | instskip(NEXT) | instid1(VALU_DEP_1)
	v_add_nc_u32_e32 v3, 32, v20
	v_lshlrev_b64 v[2:3], 4, v[3:4]
	s_delay_alu instid0(VALU_DEP_1) | instskip(NEXT) | instid1(VALU_DEP_2)
	v_add_co_u32 v21, vcc_lo, s4, v2
	v_add_co_ci_u32_e32 v22, vcc_lo, s5, v3, vcc_lo
	;;#ASMSTART
	global_load_dwordx4 v[2:5], v[21:22] off glc	
s_waitcnt vmcnt(0)
	;;#ASMEND
	v_and_b32_e32 v5, 0xff, v3
	v_and_b32_e32 v23, 0xff00, v3
	v_or3_b32 v2, v2, 0, 0
	v_and_b32_e32 v24, 0xff000000, v3
	v_and_b32_e32 v3, 0xff0000, v3
	s_delay_alu instid0(VALU_DEP_4) | instskip(SKIP_2) | instid1(VALU_DEP_3)
	v_or3_b32 v5, 0, v5, v23
	v_and_b32_e32 v23, 0xff, v4
	v_or3_b32 v2, v2, 0, 0
	v_or3_b32 v3, v5, v3, v24
	s_delay_alu instid0(VALU_DEP_3)
	v_cmpx_eq_u16_e32 0, v23
	s_cbranch_execz .LBB128_101
.LBB128_99:                             ; =>This Inner Loop Header: Depth=1
	;;#ASMSTART
	global_load_dwordx4 v[2:5], v[21:22] off glc	
s_waitcnt vmcnt(0)
	;;#ASMEND
	v_and_b32_e32 v5, 0xff, v4
	s_delay_alu instid0(VALU_DEP_1) | instskip(SKIP_1) | instid1(SALU_CYCLE_1)
	v_cmp_ne_u16_e32 vcc_lo, 0, v5
	s_or_b32 s9, vcc_lo, s9
	s_and_not1_b32 exec_lo, exec_lo, s9
	s_cbranch_execnz .LBB128_99
; %bb.100:
	s_or_b32 exec_lo, exec_lo, s9
.LBB128_101:
	s_delay_alu instid0(SALU_CYCLE_1)
	s_or_b32 exec_lo, exec_lo, s8
	v_cmp_ne_u32_e32 vcc_lo, 31, v77
	v_lshlrev_b32_e64 v87, v77, -1
	v_add_nc_u32_e32 v91, 4, v77
	v_add_nc_u32_e32 v93, 8, v77
	;; [unrolled: 1-line block ×3, first 2 shown]
	v_add_co_ci_u32_e32 v5, vcc_lo, 0, v77, vcc_lo
	s_delay_alu instid0(VALU_DEP_1)
	v_lshlrev_b32_e32 v86, 2, v5
	ds_bpermute_b32 v21, v86, v3
	ds_bpermute_b32 v5, v86, v2
	s_waitcnt lgkmcnt(1)
	v_add_nc_u32_e32 v21, v21, v3
	v_and_b32_e32 v22, 0xff, v4
	s_waitcnt lgkmcnt(0)
	v_add_nc_u32_e32 v5, v5, v2
	s_delay_alu instid0(VALU_DEP_2) | instskip(SKIP_2) | instid1(VALU_DEP_2)
	v_cmp_eq_u16_e32 vcc_lo, 2, v22
	v_and_or_b32 v22, vcc_lo, v87, 0x80000000
	v_cmp_gt_u32_e32 vcc_lo, 30, v77
	v_ctz_i32_b32_e32 v22, v22
	v_cndmask_b32_e64 v23, 0, 1, vcc_lo
	s_delay_alu instid0(VALU_DEP_2) | instskip(NEXT) | instid1(VALU_DEP_2)
	v_cmp_lt_u32_e32 vcc_lo, v77, v22
	v_dual_cndmask_b32 v2, v2, v5 :: v_dual_lshlrev_b32 v23, 1, v23
	s_delay_alu instid0(VALU_DEP_1)
	v_add_lshl_u32 v88, v23, v77, 2
	v_cndmask_b32_e32 v3, v3, v21, vcc_lo
	v_cmp_gt_u32_e32 vcc_lo, 28, v77
	ds_bpermute_b32 v5, v88, v2
	ds_bpermute_b32 v21, v88, v3
	v_cndmask_b32_e64 v23, 0, 1, vcc_lo
	s_waitcnt lgkmcnt(1)
	v_add_nc_u32_e32 v5, v2, v5
	v_add_nc_u32_e32 v89, 2, v77
	s_waitcnt lgkmcnt(0)
	v_add_nc_u32_e32 v21, v3, v21
	s_delay_alu instid0(VALU_DEP_2) | instskip(SKIP_1) | instid1(VALU_DEP_3)
	v_cmp_gt_u32_e32 vcc_lo, v89, v22
	v_dual_cndmask_b32 v2, v5, v2 :: v_dual_lshlrev_b32 v23, 2, v23
	v_cndmask_b32_e32 v3, v21, v3, vcc_lo
	v_cmp_gt_u32_e32 vcc_lo, 24, v77
	s_delay_alu instid0(VALU_DEP_3)
	v_add_lshl_u32 v90, v23, v77, 2
	v_cndmask_b32_e64 v23, 0, 1, vcc_lo
	v_cmp_gt_u32_e32 vcc_lo, v91, v22
	ds_bpermute_b32 v5, v90, v2
	ds_bpermute_b32 v21, v90, v3
	v_lshlrev_b32_e32 v23, 3, v23
	s_delay_alu instid0(VALU_DEP_1) | instskip(SKIP_3) | instid1(VALU_DEP_1)
	v_add_lshl_u32 v92, v23, v77, 2
	s_waitcnt lgkmcnt(1)
	v_add_nc_u32_e32 v5, v2, v5
	s_waitcnt lgkmcnt(0)
	v_dual_cndmask_b32 v2, v5, v2 :: v_dual_add_nc_u32 v21, v3, v21
	s_delay_alu instid0(VALU_DEP_1)
	v_cndmask_b32_e32 v3, v21, v3, vcc_lo
	v_cmp_gt_u32_e32 vcc_lo, 16, v77
	ds_bpermute_b32 v5, v92, v2
	ds_bpermute_b32 v21, v92, v3
	v_cndmask_b32_e64 v23, 0, 1, vcc_lo
	v_cmp_gt_u32_e32 vcc_lo, v93, v22
	s_delay_alu instid0(VALU_DEP_2) | instskip(NEXT) | instid1(VALU_DEP_1)
	v_lshlrev_b32_e32 v23, 4, v23
	v_add_lshl_u32 v94, v23, v77, 2
	s_waitcnt lgkmcnt(1)
	v_add_nc_u32_e32 v5, v2, v5
	s_waitcnt lgkmcnt(0)
	s_delay_alu instid0(VALU_DEP_1) | instskip(NEXT) | instid1(VALU_DEP_1)
	v_dual_cndmask_b32 v2, v5, v2 :: v_dual_add_nc_u32 v21, v3, v21
	v_cndmask_b32_e32 v3, v21, v3, vcc_lo
	v_cmp_le_u32_e32 vcc_lo, v95, v22
	ds_bpermute_b32 v5, v94, v2
	ds_bpermute_b32 v21, v94, v3
	s_waitcnt lgkmcnt(1)
	v_cndmask_b32_e32 v5, 0, v5, vcc_lo
	s_waitcnt lgkmcnt(0)
	s_delay_alu instid0(VALU_DEP_1) | instskip(NEXT) | instid1(VALU_DEP_1)
	v_dual_cndmask_b32 v21, 0, v21 :: v_dual_add_nc_u32 v2, v5, v2
	v_add_nc_u32_e32 v3, v21, v3
	v_mov_b32_e32 v21, 0
	s_branch .LBB128_103
.LBB128_102:                            ;   in Loop: Header=BB128_103 Depth=1
	s_or_b32 exec_lo, exec_lo, s8
	ds_bpermute_b32 v5, v86, v2
	ds_bpermute_b32 v24, v86, v3
	v_subrev_nc_u32_e32 v20, 32, v20
	s_waitcnt lgkmcnt(1)
	v_add_nc_u32_e32 v5, v5, v2
	v_and_b32_e32 v25, 0xff, v4
	s_waitcnt lgkmcnt(0)
	v_add_nc_u32_e32 v24, v24, v3
	s_delay_alu instid0(VALU_DEP_2) | instskip(SKIP_1) | instid1(VALU_DEP_1)
	v_cmp_eq_u16_e32 vcc_lo, 2, v25
	v_and_or_b32 v25, vcc_lo, v87, 0x80000000
	v_ctz_i32_b32_e32 v25, v25
	s_delay_alu instid0(VALU_DEP_1)
	v_cmp_lt_u32_e32 vcc_lo, v77, v25
	v_cndmask_b32_e32 v2, v2, v5, vcc_lo
	ds_bpermute_b32 v5, v88, v2
	s_waitcnt lgkmcnt(0)
	v_add_nc_u32_e32 v5, v2, v5
	v_cndmask_b32_e32 v3, v3, v24, vcc_lo
	v_cmp_gt_u32_e32 vcc_lo, v89, v25
	s_delay_alu instid0(VALU_DEP_3)
	v_cndmask_b32_e32 v2, v5, v2, vcc_lo
	ds_bpermute_b32 v24, v88, v3
	ds_bpermute_b32 v5, v90, v2
	s_waitcnt lgkmcnt(1)
	v_add_nc_u32_e32 v24, v3, v24
	s_waitcnt lgkmcnt(0)
	v_add_nc_u32_e32 v5, v2, v5
	s_delay_alu instid0(VALU_DEP_2) | instskip(SKIP_1) | instid1(VALU_DEP_3)
	v_cndmask_b32_e32 v3, v24, v3, vcc_lo
	v_cmp_gt_u32_e32 vcc_lo, v91, v25
	v_cndmask_b32_e32 v2, v5, v2, vcc_lo
	ds_bpermute_b32 v24, v90, v3
	ds_bpermute_b32 v5, v92, v2
	s_waitcnt lgkmcnt(1)
	v_add_nc_u32_e32 v24, v3, v24
	s_waitcnt lgkmcnt(0)
	v_add_nc_u32_e32 v5, v2, v5
	s_delay_alu instid0(VALU_DEP_2) | instskip(SKIP_1) | instid1(VALU_DEP_3)
	v_cndmask_b32_e32 v3, v24, v3, vcc_lo
	v_cmp_gt_u32_e32 vcc_lo, v93, v25
	v_cndmask_b32_e32 v2, v5, v2, vcc_lo
	ds_bpermute_b32 v24, v92, v3
	ds_bpermute_b32 v5, v94, v2
	s_waitcnt lgkmcnt(1)
	v_add_nc_u32_e32 v24, v3, v24
	s_delay_alu instid0(VALU_DEP_1) | instskip(SKIP_4) | instid1(VALU_DEP_1)
	v_cndmask_b32_e32 v3, v24, v3, vcc_lo
	v_cmp_le_u32_e32 vcc_lo, v95, v25
	ds_bpermute_b32 v24, v94, v3
	s_waitcnt lgkmcnt(1)
	v_cndmask_b32_e32 v5, 0, v5, vcc_lo
	v_add3_u32 v2, v2, v22, v5
	s_waitcnt lgkmcnt(0)
	v_cndmask_b32_e32 v24, 0, v24, vcc_lo
	s_delay_alu instid0(VALU_DEP_1)
	v_add3_u32 v3, v3, v23, v24
.LBB128_103:                            ; =>This Loop Header: Depth=1
                                        ;     Child Loop BB128_106 Depth 2
	s_delay_alu instid0(VALU_DEP_1) | instskip(SKIP_1) | instid1(VALU_DEP_2)
	v_dual_mov_b32 v23, v3 :: v_dual_and_b32 v4, 0xff, v4
	v_mov_b32_e32 v22, v2
	v_cmp_ne_u16_e32 vcc_lo, 2, v4
	v_cndmask_b32_e64 v4, 0, 1, vcc_lo
	;;#ASMSTART
	;;#ASMEND
	s_delay_alu instid0(VALU_DEP_1)
	v_cmp_ne_u32_e32 vcc_lo, 0, v4
	s_cmp_lg_u32 vcc_lo, exec_lo
	s_cbranch_scc1 .LBB128_108
; %bb.104:                              ;   in Loop: Header=BB128_103 Depth=1
	v_lshlrev_b64 v[2:3], 4, v[20:21]
	s_mov_b32 s8, exec_lo
	s_delay_alu instid0(VALU_DEP_1) | instskip(NEXT) | instid1(VALU_DEP_2)
	v_add_co_u32 v24, vcc_lo, s4, v2
	v_add_co_ci_u32_e32 v25, vcc_lo, s5, v3, vcc_lo
	;;#ASMSTART
	global_load_dwordx4 v[2:5], v[24:25] off glc	
s_waitcnt vmcnt(0)
	;;#ASMEND
	v_and_b32_e32 v5, 0xff, v3
	v_and_b32_e32 v96, 0xff00, v3
	v_or3_b32 v2, v2, 0, 0
	v_and_b32_e32 v97, 0xff000000, v3
	v_and_b32_e32 v3, 0xff0000, v3
	s_delay_alu instid0(VALU_DEP_4) | instskip(SKIP_2) | instid1(VALU_DEP_3)
	v_or3_b32 v5, 0, v5, v96
	v_and_b32_e32 v96, 0xff, v4
	v_or3_b32 v2, v2, 0, 0
	v_or3_b32 v3, v5, v3, v97
	s_delay_alu instid0(VALU_DEP_3)
	v_cmpx_eq_u16_e32 0, v96
	s_cbranch_execz .LBB128_102
; %bb.105:                              ;   in Loop: Header=BB128_103 Depth=1
	s_mov_b32 s9, 0
.LBB128_106:                            ;   Parent Loop BB128_103 Depth=1
                                        ; =>  This Inner Loop Header: Depth=2
	;;#ASMSTART
	global_load_dwordx4 v[2:5], v[24:25] off glc	
s_waitcnt vmcnt(0)
	;;#ASMEND
	v_and_b32_e32 v5, 0xff, v4
	s_delay_alu instid0(VALU_DEP_1) | instskip(SKIP_1) | instid1(SALU_CYCLE_1)
	v_cmp_ne_u16_e32 vcc_lo, 0, v5
	s_or_b32 s9, vcc_lo, s9
	s_and_not1_b32 exec_lo, exec_lo, s9
	s_cbranch_execnz .LBB128_106
; %bb.107:                              ;   in Loop: Header=BB128_103 Depth=1
	s_or_b32 exec_lo, exec_lo, s9
	s_branch .LBB128_102
.LBB128_108:                            ;   in Loop: Header=BB128_103 Depth=1
                                        ; implicit-def: $vgpr4
                                        ; implicit-def: $vgpr2_vgpr3
	s_cbranch_execz .LBB128_103
; %bb.109:
	s_and_saveexec_b32 s8, s2
	s_cbranch_execnz .LBB128_352
; %bb.110:
	s_or_b32 exec_lo, exec_lo, s8
	s_and_saveexec_b32 s8, s2
	s_cbranch_execnz .LBB128_353
.LBB128_111:
	s_or_b32 exec_lo, exec_lo, s8
	v_cmp_eq_u32_e32 vcc_lo, 0, v0
	s_and_b32 exec_lo, exec_lo, vcc_lo
	s_cbranch_execz .LBB128_113
.LBB128_112:
	v_mov_b32_e32 v1, 0
	ds_store_b64 v1, v[22:23] offset:56
.LBB128_113:
	s_or_b32 exec_lo, exec_lo, s6
	v_cmp_eq_u32_e32 vcc_lo, 0, v0
	v_mov_b32_e32 v1, 0
	s_waitcnt lgkmcnt(0)
	s_barrier
	buffer_gl0_inv
	v_add_nc_u32_e64 v3, 0x3400, 0
	ds_load_b64 v[20:21], v1 offset:56
	s_waitcnt lgkmcnt(0)
	s_barrier
	buffer_gl0_inv
	ds_load_2addr_b32 v[1:2], v3 offset1:2
	ds_load_2addr_b32 v[3:4], v3 offset0:4 offset1:6
	v_cndmask_b32_e64 v5, v84, v18, s2
	v_cndmask_b32_e64 v18, v85, v19, s2
	s_delay_alu instid0(VALU_DEP_2) | instskip(NEXT) | instid1(VALU_DEP_1)
	v_add_nc_u32_e32 v19, v20, v5
	v_dual_cndmask_b32 v20, v19, v20 :: v_dual_add_nc_u32 v5, v21, v18
	s_delay_alu instid0(VALU_DEP_1)
	v_cndmask_b32_e32 v5, v5, v21, vcc_lo
	s_branch .LBB128_124
.LBB128_114:
                                        ; implicit-def: $vgpr5
                                        ; implicit-def: $vgpr3
                                        ; implicit-def: $vgpr1
                                        ; implicit-def: $vgpr20_vgpr21
	s_and_b32 vcc_lo, exec_lo, s6
	s_cbranch_vccz .LBB128_124
; %bb.115:
	s_waitcnt lgkmcnt(0)
	v_mov_b32_dpp v2, v83 row_shr:1 row_mask:0xf bank_mask:0xf
	v_cmp_lt_u32_e32 vcc_lo, 3, v81
	v_mov_b32_dpp v1, v82 row_shr:1 row_mask:0xf bank_mask:0xf
	s_delay_alu instid0(VALU_DEP_3) | instskip(NEXT) | instid1(VALU_DEP_1)
	v_add_nc_u32_e32 v2, v2, v83
	v_cndmask_b32_e64 v2, v2, v83, s1
	s_delay_alu instid0(VALU_DEP_1) | instskip(NEXT) | instid1(VALU_DEP_1)
	v_mov_b32_dpp v4, v2 row_shr:2 row_mask:0xf bank_mask:0xf
	v_add_nc_u32_e32 v4, v2, v4
	s_delay_alu instid0(VALU_DEP_1) | instskip(NEXT) | instid1(VALU_DEP_1)
	v_cndmask_b32_e64 v2, v2, v4, s0
	v_mov_b32_dpp v4, v2 row_shr:4 row_mask:0xf bank_mask:0xf
	s_delay_alu instid0(VALU_DEP_1) | instskip(NEXT) | instid1(VALU_DEP_1)
	v_add_nc_u32_e32 v4, v2, v4
	v_dual_cndmask_b32 v2, v2, v4 :: v_dual_add_nc_u32 v1, v1, v82
	s_delay_alu instid0(VALU_DEP_1) | instskip(NEXT) | instid1(VALU_DEP_2)
	v_cndmask_b32_e64 v1, v1, v82, s1
	v_mov_b32_dpp v4, v2 row_shr:8 row_mask:0xf bank_mask:0xf
	s_delay_alu instid0(VALU_DEP_2) | instskip(NEXT) | instid1(VALU_DEP_2)
	v_mov_b32_dpp v3, v1 row_shr:2 row_mask:0xf bank_mask:0xf
	v_add_nc_u32_e32 v4, v2, v4
	s_delay_alu instid0(VALU_DEP_2) | instskip(NEXT) | instid1(VALU_DEP_1)
	v_add_nc_u32_e32 v3, v1, v3
	v_cndmask_b32_e64 v1, v1, v3, s0
	s_mov_b32 s0, exec_lo
	s_delay_alu instid0(VALU_DEP_1) | instskip(NEXT) | instid1(VALU_DEP_1)
	v_mov_b32_dpp v3, v1 row_shr:4 row_mask:0xf bank_mask:0xf
	v_add_nc_u32_e32 v3, v1, v3
	s_delay_alu instid0(VALU_DEP_1) | instskip(SKIP_1) | instid1(VALU_DEP_2)
	v_cndmask_b32_e32 v1, v1, v3, vcc_lo
	v_cmp_lt_u32_e32 vcc_lo, 7, v81
	v_mov_b32_dpp v3, v1 row_shr:8 row_mask:0xf bank_mask:0xf
	s_delay_alu instid0(VALU_DEP_1) | instskip(NEXT) | instid1(VALU_DEP_1)
	v_dual_cndmask_b32 v2, v2, v4 :: v_dual_add_nc_u32 v3, v1, v3
	v_cndmask_b32_e32 v1, v1, v3, vcc_lo
	ds_swizzle_b32 v3, v2 offset:swizzle(BROADCAST,32,15)
	v_cmp_eq_u32_e32 vcc_lo, 0, v80
	ds_swizzle_b32 v4, v1 offset:swizzle(BROADCAST,32,15)
	s_waitcnt lgkmcnt(1)
	v_add_nc_u32_e32 v3, v2, v3
	s_waitcnt lgkmcnt(0)
	v_add_nc_u32_e32 v4, v1, v4
	s_delay_alu instid0(VALU_DEP_1)
	v_dual_cndmask_b32 v2, v3, v2 :: v_dual_cndmask_b32 v1, v4, v1
	v_cmpx_eq_u32_e64 v79, v0
	s_cbranch_execz .LBB128_117
; %bb.116:
	v_lshlrev_b32_e32 v3, 3, v78
	ds_store_b64 v3, v[1:2]
.LBB128_117:
	s_or_b32 exec_lo, exec_lo, s0
	s_delay_alu instid0(SALU_CYCLE_1)
	s_mov_b32 s0, exec_lo
	s_waitcnt lgkmcnt(0)
	s_barrier
	buffer_gl0_inv
	v_cmpx_gt_u32_e32 8, v0
	s_cbranch_execz .LBB128_119
; %bb.118:
	v_lshlrev_b32_e32 v5, 3, v0
	ds_load_b64 v[3:4], v5
	s_waitcnt lgkmcnt(0)
	v_mov_b32_dpp v18, v3 row_shr:1 row_mask:0xf bank_mask:0xf
	v_mov_b32_dpp v19, v4 row_shr:1 row_mask:0xf bank_mask:0xf
	s_delay_alu instid0(VALU_DEP_2) | instskip(SKIP_1) | instid1(VALU_DEP_3)
	v_add_nc_u32_e32 v18, v18, v3
	v_and_b32_e32 v20, 7, v77
	v_add_nc_u32_e32 v19, v19, v4
	s_delay_alu instid0(VALU_DEP_2) | instskip(NEXT) | instid1(VALU_DEP_2)
	v_cmp_eq_u32_e32 vcc_lo, 0, v20
	v_dual_cndmask_b32 v4, v19, v4 :: v_dual_cndmask_b32 v3, v18, v3
	v_cmp_lt_u32_e32 vcc_lo, 1, v20
	s_delay_alu instid0(VALU_DEP_2) | instskip(NEXT) | instid1(VALU_DEP_3)
	v_mov_b32_dpp v19, v4 row_shr:2 row_mask:0xf bank_mask:0xf
	v_mov_b32_dpp v18, v3 row_shr:2 row_mask:0xf bank_mask:0xf
	s_delay_alu instid0(VALU_DEP_2) | instskip(NEXT) | instid1(VALU_DEP_2)
	v_add_nc_u32_e32 v19, v4, v19
	v_add_nc_u32_e32 v18, v3, v18
	s_delay_alu instid0(VALU_DEP_1) | instskip(SKIP_1) | instid1(VALU_DEP_2)
	v_dual_cndmask_b32 v4, v4, v19 :: v_dual_cndmask_b32 v3, v3, v18
	v_cmp_lt_u32_e32 vcc_lo, 3, v20
	v_mov_b32_dpp v19, v4 row_shr:4 row_mask:0xf bank_mask:0xf
	s_delay_alu instid0(VALU_DEP_3) | instskip(NEXT) | instid1(VALU_DEP_1)
	v_mov_b32_dpp v18, v3 row_shr:4 row_mask:0xf bank_mask:0xf
	v_dual_cndmask_b32 v19, 0, v19 :: v_dual_cndmask_b32 v18, 0, v18
	s_delay_alu instid0(VALU_DEP_1) | instskip(NEXT) | instid1(VALU_DEP_2)
	v_add_nc_u32_e32 v4, v19, v4
	v_add_nc_u32_e32 v3, v18, v3
	ds_store_b64 v5, v[3:4]
.LBB128_119:
	s_or_b32 exec_lo, exec_lo, s0
	v_dual_mov_b32 v3, 0 :: v_dual_mov_b32 v18, 0
	v_mov_b32_e32 v19, 0
	s_mov_b32 s0, exec_lo
	s_waitcnt lgkmcnt(0)
	s_barrier
	buffer_gl0_inv
	v_cmpx_lt_u32_e32 31, v0
	s_cbranch_execz .LBB128_121
; %bb.120:
	v_lshl_add_u32 v4, v78, 3, -8
	ds_load_b64 v[18:19], v4
.LBB128_121:
	s_or_b32 exec_lo, exec_lo, s0
	v_add_nc_u32_e32 v4, -1, v77
	s_waitcnt lgkmcnt(0)
	v_add_nc_u32_e32 v20, v19, v2
	v_add_nc_u32_e32 v5, v18, v1
	ds_load_b64 v[1:2], v3 offset:56
	v_cmp_gt_i32_e32 vcc_lo, 0, v4
	v_cndmask_b32_e32 v4, v4, v77, vcc_lo
	v_cmp_eq_u32_e32 vcc_lo, 0, v0
	s_delay_alu instid0(VALU_DEP_2)
	v_lshlrev_b32_e32 v4, 2, v4
	ds_bpermute_b32 v5, v4, v5
	ds_bpermute_b32 v20, v4, v20
	s_waitcnt lgkmcnt(2)
	v_readfirstlane_b32 s1, v2
	s_and_saveexec_b32 s0, vcc_lo
	s_cbranch_execz .LBB128_123
; %bb.122:
	s_mov_b32 s6, 0
	s_add_u32 s4, s4, 0x200
	s_addc_u32 s5, s5, 0
	s_and_b32 s7, s1, 0xff000000
	s_and_b32 s9, s1, 0xff0000
	s_mov_b32 s8, s6
	v_mov_b32_e32 v22, s5
	s_or_b64 s[8:9], s[8:9], s[6:7]
	s_and_b32 s7, s1, 0xff00
	v_dual_mov_b32 v4, 0 :: v_dual_mov_b32 v21, s4
	s_or_b64 s[8:9], s[8:9], s[6:7]
	s_and_b32 s7, s1, 0xff
	v_mov_b32_e32 v3, 2
	s_or_b64 s[6:7], s[8:9], s[6:7]
	s_delay_alu instid0(SALU_CYCLE_1)
	v_mov_b32_e32 v2, s7
	;;#ASMSTART
	global_store_dwordx4 v[21:22], v[1:4] off	
s_waitcnt vmcnt(0)
	;;#ASMEND
.LBB128_123:
	s_or_b32 exec_lo, exec_lo, s0
	v_cmp_eq_u32_e64 s0, 0, v77
	v_dual_mov_b32 v3, 0 :: v_dual_mov_b32 v2, s1
	s_waitcnt lgkmcnt(0)
	s_barrier
	s_delay_alu instid0(VALU_DEP_2)
	v_cndmask_b32_e64 v4, v5, v18, s0
	v_cndmask_b32_e64 v5, v20, v19, s0
	buffer_gl0_inv
	v_cndmask_b32_e64 v20, v4, 0, vcc_lo
	v_cndmask_b32_e64 v5, v5, 0, vcc_lo
	v_mov_b32_e32 v4, 0
.LBB128_124:
	v_and_b32_e32 v30, 1, v30
	v_and_b32_e32 v34, 1, v34
	v_and_b32_e32 v29, 1, v29
	v_and_b32_e32 v33, 1, v33
	s_waitcnt lgkmcnt(0)
	v_add_co_u32 v18, s0, s28, v3
	v_cmp_eq_u32_e32 vcc_lo, 1, v30
	v_add_nc_u32_e32 v22, v5, v76
	v_sub_nc_u32_e32 v5, v5, v4
	v_add_co_ci_u32_e64 v19, null, s29, 0, s0
	s_mov_b32 s2, -1
	s_delay_alu instid0(VALU_DEP_3) | instskip(SKIP_3) | instid1(VALU_DEP_3)
	v_add_nc_u32_e32 v24, v22, v72
	v_sub_nc_u32_e32 v22, v22, v4
	v_add_nc_u32_e32 v5, v5, v1
	v_sub_co_u32 v72, s0, s30, v1
	v_add_nc_u32_e32 v22, v22, v1
	v_add_nc_u32_e32 v21, v20, v75
	v_sub_nc_u32_e32 v20, v20, v3
	s_delay_alu instid0(VALU_DEP_2)
	v_add_nc_u32_e32 v23, v21, v71
	v_add_nc_u32_e32 v71, v24, v74
	v_lshlrev_b32_e32 v74, 1, v1
	v_sub_nc_u32_e32 v21, v21, v3
	v_add_nc_u32_e32 v75, v20, v5
	v_sub_nc_u32_e32 v24, v24, v4
	s_delay_alu instid0(VALU_DEP_4) | instskip(NEXT) | instid1(VALU_DEP_4)
	v_add3_u32 v28, v74, v2, v28
	v_add_nc_u32_e32 v76, v22, v21
	s_delay_alu instid0(VALU_DEP_3) | instskip(NEXT) | instid1(VALU_DEP_3)
	v_add_nc_u32_e32 v24, v24, v1
	v_sub_nc_u32_e32 v75, v28, v75
	s_delay_alu instid0(VALU_DEP_3) | instskip(NEXT) | instid1(VALU_DEP_1)
	v_sub_nc_u32_e32 v76, v28, v76
	v_dual_cndmask_b32 v5, v75, v5 :: v_dual_add_nc_u32 v30, 1, v76
	v_cmp_eq_u32_e32 vcc_lo, 1, v34
	s_delay_alu instid0(VALU_DEP_2) | instskip(SKIP_1) | instid1(VALU_DEP_4)
	v_cndmask_b32_e32 v22, v30, v22, vcc_lo
	v_cmp_eq_u32_e32 vcc_lo, 1, v29
	v_cndmask_b32_e32 v5, v5, v20, vcc_lo
	v_and_b32_e32 v20, 1, v36
	v_cmp_eq_u32_e32 vcc_lo, 1, v33
	s_delay_alu instid0(VALU_DEP_3) | instskip(SKIP_1) | instid1(VALU_DEP_4)
	v_lshlrev_b32_e32 v5, 2, v5
	v_cndmask_b32_e32 v21, v22, v21, vcc_lo
	v_cmp_eq_u32_e32 vcc_lo, 1, v20
	v_add_nc_u32_e32 v25, v23, v73
	v_sub_nc_u32_e32 v23, v23, v3
	v_and_b32_e32 v22, 1, v31
	v_sub_co_ci_u32_e64 v73, null, s31, 0, s0
	v_and_b32_e32 v31, 1, v32
	s_delay_alu instid0(VALU_DEP_4) | instskip(NEXT) | instid1(VALU_DEP_1)
	v_add_nc_u32_e32 v77, v24, v23
	v_sub_nc_u32_e32 v75, v28, v77
	s_delay_alu instid0(VALU_DEP_1) | instskip(NEXT) | instid1(VALU_DEP_1)
	v_add_nc_u32_e32 v29, 2, v75
	v_cndmask_b32_e32 v20, v29, v24, vcc_lo
	v_sub_nc_u32_e32 v24, v71, v4
	v_cmp_eq_u32_e32 vcc_lo, 1, v22
	v_add_nc_u32_e32 v69, v25, v69
	v_lshlrev_b32_e32 v29, 2, v21
	ds_store_b32 v5, v16
	ds_store_b32 v29, v17
	v_cndmask_b32_e32 v22, v20, v23, vcc_lo
	v_sub_nc_u32_e32 v23, v25, v3
	v_add_nc_u32_e32 v24, v24, v1
	v_add_co_u32 v20, vcc_lo, v72, v4
	s_delay_alu instid0(VALU_DEP_4) | instskip(SKIP_1) | instid1(VALU_DEP_4)
	v_lshlrev_b32_e32 v5, 2, v22
	v_and_b32_e32 v22, 1, v35
	v_add_nc_u32_e32 v25, v23, v24
	v_add_co_ci_u32_e32 v21, vcc_lo, 0, v73, vcc_lo
	ds_store_b32 v5, v14
	v_cmp_eq_u32_e32 vcc_lo, 1, v22
	v_sub_nc_u32_e32 v17, v28, v25
	v_sub_nc_u32_e32 v29, v69, v3
	v_add_nc_u32_e32 v67, v69, v67
	s_delay_alu instid0(VALU_DEP_3) | instskip(NEXT) | instid1(VALU_DEP_2)
	v_add_nc_u32_e32 v17, 3, v17
	v_sub_nc_u32_e32 v30, v67, v3
	s_delay_alu instid0(VALU_DEP_2) | instskip(SKIP_2) | instid1(VALU_DEP_3)
	v_cndmask_b32_e32 v17, v17, v24, vcc_lo
	v_cmp_eq_u32_e32 vcc_lo, 1, v31
	v_and_b32_e32 v24, 1, v39
	v_cndmask_b32_e32 v14, v17, v23, vcc_lo
	v_add_nc_u32_e32 v70, v71, v70
	v_and_b32_e32 v23, 1, v38
	s_delay_alu instid0(VALU_DEP_3) | instskip(NEXT) | instid1(VALU_DEP_3)
	v_lshlrev_b32_e32 v14, 2, v14
	v_add_nc_u32_e32 v68, v70, v68
	v_sub_nc_u32_e32 v16, v70, v4
	ds_store_b32 v14, v15
	v_sub_nc_u32_e32 v25, v68, v4
	v_add_nc_u32_e32 v16, v16, v1
	s_delay_alu instid0(VALU_DEP_2) | instskip(NEXT) | instid1(VALU_DEP_2)
	v_add_nc_u32_e32 v25, v25, v1
	v_add_nc_u32_e32 v32, v29, v16
	s_delay_alu instid0(VALU_DEP_2) | instskip(NEXT) | instid1(VALU_DEP_2)
	v_add_nc_u32_e32 v22, v30, v25
	v_sub_nc_u32_e32 v5, v28, v32
	s_delay_alu instid0(VALU_DEP_2) | instskip(SKIP_1) | instid1(VALU_DEP_3)
	v_sub_nc_u32_e32 v17, v28, v22
	v_and_b32_e32 v22, 1, v37
	v_add_nc_u32_e32 v5, 4, v5
	s_delay_alu instid0(VALU_DEP_3) | instskip(NEXT) | instid1(VALU_DEP_3)
	v_add_nc_u32_e32 v17, 5, v17
	v_cmp_eq_u32_e32 vcc_lo, 1, v22
	s_delay_alu instid0(VALU_DEP_3)
	v_cndmask_b32_e32 v5, v5, v16, vcc_lo
	v_cmp_eq_u32_e32 vcc_lo, 1, v24
	v_and_b32_e32 v16, 1, v41
	v_cndmask_b32_e32 v17, v17, v25, vcc_lo
	v_cmp_eq_u32_e32 vcc_lo, 1, v23
	v_cndmask_b32_e32 v5, v5, v29, vcc_lo
	s_delay_alu instid0(VALU_DEP_4) | instskip(SKIP_1) | instid1(VALU_DEP_3)
	v_cmp_eq_u32_e32 vcc_lo, 1, v16
	v_add_nc_u32_e32 v66, v68, v66
	v_dual_cndmask_b32 v16, v17, v30 :: v_dual_lshlrev_b32 v5, 2, v5
	s_delay_alu instid0(VALU_DEP_2) | instskip(SKIP_1) | instid1(VALU_DEP_3)
	v_sub_nc_u32_e32 v22, v66, v4
	v_add_nc_u32_e32 v62, v66, v62
	v_lshlrev_b32_e32 v16, 2, v16
	ds_store_b32 v5, v12
	ds_store_b32 v16, v13
	v_and_b32_e32 v12, 1, v40
	v_add_nc_u32_e32 v22, v22, v1
	v_add_nc_u32_e32 v64, v62, v64
	v_sub_nc_u32_e32 v17, v62, v4
	v_and_b32_e32 v16, 1, v43
	v_cmp_eq_u32_e32 vcc_lo, 1, v12
	v_add_nc_u32_e32 v65, v67, v65
	v_sub_nc_u32_e32 v15, v64, v4
	v_add_nc_u32_e32 v17, v17, v1
	s_delay_alu instid0(VALU_DEP_3) | instskip(NEXT) | instid1(VALU_DEP_3)
	v_sub_nc_u32_e32 v23, v65, v3
	v_add_nc_u32_e32 v15, v15, v1
	s_delay_alu instid0(VALU_DEP_2) | instskip(NEXT) | instid1(VALU_DEP_1)
	v_add_nc_u32_e32 v24, v23, v22
	v_sub_nc_u32_e32 v14, v28, v24
	v_and_b32_e32 v24, 1, v48
	s_delay_alu instid0(VALU_DEP_2) | instskip(SKIP_1) | instid1(VALU_DEP_2)
	v_add_nc_u32_e32 v13, 6, v14
	v_and_b32_e32 v14, 1, v42
	v_cndmask_b32_e32 v12, v13, v22, vcc_lo
	v_add_nc_u32_e32 v61, v65, v61
	s_delay_alu instid0(VALU_DEP_3) | instskip(SKIP_1) | instid1(VALU_DEP_3)
	v_cmp_eq_u32_e32 vcc_lo, 1, v14
	v_and_b32_e32 v22, 1, v44
	v_sub_nc_u32_e32 v25, v61, v3
	v_add_nc_u32_e32 v63, v61, v63
	v_cndmask_b32_e32 v12, v12, v23, vcc_lo
	v_cmp_eq_u32_e32 vcc_lo, 1, v16
	v_and_b32_e32 v23, 1, v46
	v_add_nc_u32_e32 v5, v25, v17
	v_sub_nc_u32_e32 v13, v63, v3
	v_lshlrev_b32_e32 v12, 2, v12
	v_add_nc_u32_e32 v59, v63, v59
	s_delay_alu instid0(VALU_DEP_4) | instskip(NEXT) | instid1(VALU_DEP_4)
	v_sub_nc_u32_e32 v5, v28, v5
	v_add_nc_u32_e32 v14, v13, v15
	s_delay_alu instid0(VALU_DEP_3) | instskip(NEXT) | instid1(VALU_DEP_3)
	v_add_nc_u32_e32 v57, v59, v57
	v_add_nc_u32_e32 v5, 7, v5
	s_delay_alu instid0(VALU_DEP_3) | instskip(NEXT) | instid1(VALU_DEP_3)
	v_sub_nc_u32_e32 v14, v28, v14
	v_add_nc_u32_e32 v55, v57, v55
	s_delay_alu instid0(VALU_DEP_3)
	v_cndmask_b32_e32 v5, v5, v17, vcc_lo
	v_cmp_eq_u32_e32 vcc_lo, 1, v22
	v_and_b32_e32 v17, 1, v45
	v_add_nc_u32_e32 v14, 8, v14
	v_sub_nc_u32_e32 v22, v59, v3
	v_add_nc_u32_e32 v53, v55, v53
	v_cndmask_b32_e32 v5, v5, v25, vcc_lo
	v_cmp_eq_u32_e32 vcc_lo, 1, v17
	v_sub_nc_u32_e32 v17, v55, v3
	v_and_b32_e32 v25, 1, v52
	s_delay_alu instid0(VALU_DEP_4)
	v_dual_cndmask_b32 v14, v14, v15 :: v_dual_lshlrev_b32 v5, 2, v5
	v_cmp_eq_u32_e32 vcc_lo, 1, v23
	v_add_nc_u32_e32 v60, v64, v60
	ds_store_b32 v12, v10
	ds_store_b32 v5, v11
	v_and_b32_e32 v11, 1, v49
	v_cndmask_b32_e32 v5, v14, v13, vcc_lo
	v_sub_nc_u32_e32 v16, v60, v4
	v_add_nc_u32_e32 v58, v60, v58
	v_and_b32_e32 v13, 1, v47
	s_delay_alu instid0(VALU_DEP_4) | instskip(NEXT) | instid1(VALU_DEP_4)
	v_lshlrev_b32_e32 v5, 2, v5
	v_add_nc_u32_e32 v16, v16, v1
	s_delay_alu instid0(VALU_DEP_4) | instskip(SKIP_2) | instid1(VALU_DEP_4)
	v_add_nc_u32_e32 v56, v58, v56
	v_sub_nc_u32_e32 v12, v58, v4
	v_cmp_eq_u32_e32 vcc_lo, 1, v13
	v_add_nc_u32_e32 v15, v22, v16
	s_delay_alu instid0(VALU_DEP_4) | instskip(NEXT) | instid1(VALU_DEP_4)
	v_sub_nc_u32_e32 v14, v56, v4
	v_add_nc_u32_e32 v12, v12, v1
	v_add_nc_u32_e32 v54, v56, v54
	s_delay_alu instid0(VALU_DEP_4) | instskip(SKIP_2) | instid1(VALU_DEP_4)
	v_sub_nc_u32_e32 v10, v28, v15
	v_sub_nc_u32_e32 v15, v57, v3
	v_add_nc_u32_e32 v14, v14, v1
	v_sub_nc_u32_e32 v23, v54, v4
	v_sub_nc_u32_e32 v3, v53, v3
	v_add_nc_u32_e32 v10, 9, v10
	v_add_nc_u32_e32 v13, v15, v12
	s_delay_alu instid0(VALU_DEP_2) | instskip(SKIP_2) | instid1(VALU_DEP_4)
	v_dual_cndmask_b32 v10, v10, v16 :: v_dual_add_nc_u32 v23, v23, v1
	v_add_nc_u32_e32 v16, v17, v14
	v_cmp_eq_u32_e32 vcc_lo, 1, v11
	v_sub_nc_u32_e32 v11, v28, v13
	v_and_b32_e32 v13, 1, v50
	s_delay_alu instid0(VALU_DEP_4) | instskip(NEXT) | instid1(VALU_DEP_3)
	v_sub_nc_u32_e32 v16, v28, v16
	v_dual_cndmask_b32 v10, v10, v22 :: v_dual_add_nc_u32 v11, 10, v11
	v_cmp_eq_u32_e32 vcc_lo, 1, v24
	v_add_nc_u32_e32 v22, v3, v23
	s_delay_alu instid0(VALU_DEP_4) | instskip(NEXT) | instid1(VALU_DEP_4)
	v_add_nc_u32_e32 v16, 11, v16
	v_dual_cndmask_b32 v11, v11, v12 :: v_dual_lshlrev_b32 v10, 2, v10
	v_cmp_eq_u32_e32 vcc_lo, 1, v25
	s_delay_alu instid0(VALU_DEP_4) | instskip(SKIP_3) | instid1(VALU_DEP_4)
	v_sub_nc_u32_e32 v22, v28, v22
	v_and_b32_e32 v12, 1, v51
	v_cndmask_b32_e32 v14, v16, v14, vcc_lo
	v_cmp_eq_u32_e32 vcc_lo, 1, v13
	v_dual_cndmask_b32 v11, v11, v15 :: v_dual_add_nc_u32 v16, 12, v22
	s_delay_alu instid0(VALU_DEP_4) | instskip(NEXT) | instid1(VALU_DEP_2)
	v_cmp_eq_u32_e32 vcc_lo, 1, v12
	v_cndmask_b32_e64 v13, v16, v23, s43
	s_delay_alu instid0(VALU_DEP_3) | instskip(NEXT) | instid1(VALU_DEP_2)
	v_dual_cndmask_b32 v12, v14, v17 :: v_dual_lshlrev_b32 v11, 2, v11
	v_cndmask_b32_e64 v3, v13, v3, s42
	s_delay_alu instid0(VALU_DEP_2)
	v_lshlrev_b32_e32 v12, 2, v12
	ds_store_b32 v5, v8
	ds_store_b32 v10, v9
	;; [unrolled: 1-line block ×4, first 2 shown]
	v_lshlrev_b32_e32 v3, 2, v3
	v_add_co_u32 v5, s0, v2, v74
	s_delay_alu instid0(VALU_DEP_1) | instskip(SKIP_4) | instid1(VALU_DEP_2)
	v_add_co_ci_u32_e64 v6, null, 0, 0, s0
	ds_store_b32 v3, v27
	v_add_co_u32 v3, vcc_lo, v5, v20
	v_add_co_ci_u32_e32 v5, vcc_lo, v6, v21, vcc_lo
	s_add_u32 s0, s34, s33
	v_add_co_u32 v3, vcc_lo, v3, v18
	s_delay_alu instid0(VALU_DEP_2) | instskip(SKIP_1) | instid1(VALU_DEP_2)
	v_add_co_ci_u32_e32 v5, vcc_lo, v5, v19, vcc_lo
	s_addc_u32 s1, s35, 0
	v_sub_co_u32 v3, vcc_lo, s0, v3
	s_delay_alu instid0(VALU_DEP_2)
	v_sub_co_ci_u32_e32 v9, vcc_lo, s1, v5, vcc_lo
	v_lshlrev_b64 v[5:6], 2, v[20:21]
	v_lshlrev_b64 v[7:8], 2, v[18:19]
	v_add_nc_u32_e32 v10, v1, v2
	s_add_u32 s1, s26, -4
	s_waitcnt lgkmcnt(0)
	s_barrier
	v_add_co_u32 v5, vcc_lo, s38, v5
	v_add_co_ci_u32_e32 v6, vcc_lo, s39, v6, vcc_lo
	v_cmp_ne_u32_e32 vcc_lo, 1, v26
	v_add_co_u32 v7, s0, s36, v7
	s_delay_alu instid0(VALU_DEP_1)
	v_add_co_ci_u32_e64 v8, s0, s37, v8, s0
	s_addc_u32 s0, s27, -1
	buffer_gl0_inv
	s_cbranch_vccz .LBB128_128
; %bb.125:
	s_and_b32 vcc_lo, exec_lo, s2
	s_cbranch_vccnz .LBB128_233
.LBB128_126:
	v_cmp_eq_u32_e32 vcc_lo, 0, v0
	s_and_b32 s0, vcc_lo, s14
	s_delay_alu instid0(SALU_CYCLE_1)
	s_and_saveexec_b32 s1, s0
	s_cbranch_execnz .LBB128_351
.LBB128_127:
	s_nop 0
	s_sendmsg sendmsg(MSG_DEALLOC_VGPRS)
	s_endpgm
.LBB128_128:
	s_mov_b32 s2, exec_lo
	v_cmpx_le_u32_e64 v1, v0
	s_xor_b32 s2, exec_lo, s2
	s_cbranch_execz .LBB128_134
; %bb.129:
	s_mov_b32 s4, exec_lo
	v_cmpx_le_u32_e64 v10, v0
	s_xor_b32 s4, exec_lo, s4
	s_cbranch_execz .LBB128_131
; %bb.130:
	v_lshlrev_b32_e32 v11, 2, v0
	ds_load_b32 v13, v11
	v_add_co_u32 v11, vcc_lo, v3, v0
	v_add_co_ci_u32_e32 v12, vcc_lo, 0, v9, vcc_lo
	s_delay_alu instid0(VALU_DEP_1) | instskip(NEXT) | instid1(VALU_DEP_1)
	v_lshlrev_b64 v[11:12], 2, v[11:12]
	v_sub_co_u32 v11, vcc_lo, s26, v11
	s_delay_alu instid0(VALU_DEP_2)
	v_sub_co_ci_u32_e32 v12, vcc_lo, s27, v12, vcc_lo
	s_waitcnt lgkmcnt(0)
	global_store_b32 v[11:12], v13, off offset:-4
.LBB128_131:
	s_and_not1_saveexec_b32 s4, s4
	s_cbranch_execz .LBB128_133
; %bb.132:
	v_lshlrev_b32_e32 v11, 2, v0
	v_readfirstlane_b32 s6, v5
	v_readfirstlane_b32 s7, v6
	ds_load_b32 v12, v11
	s_waitcnt lgkmcnt(0)
	global_store_b32 v11, v12, s[6:7]
.LBB128_133:
	s_or_b32 exec_lo, exec_lo, s4
.LBB128_134:
	s_and_not1_saveexec_b32 s2, s2
	s_cbranch_execz .LBB128_136
; %bb.135:
	v_lshlrev_b32_e32 v11, 2, v0
	v_readfirstlane_b32 s4, v7
	v_readfirstlane_b32 s5, v8
	ds_load_b32 v12, v11
	s_waitcnt lgkmcnt(0)
	global_store_b32 v11, v12, s[4:5]
.LBB128_136:
	s_or_b32 exec_lo, exec_lo, s2
	v_or_b32_e32 v11, 0x100, v0
	s_mov_b32 s2, exec_lo
	s_delay_alu instid0(VALU_DEP_1)
	v_cmpx_le_u32_e64 v1, v11
	s_xor_b32 s2, exec_lo, s2
	s_cbranch_execz .LBB128_142
; %bb.137:
	s_mov_b32 s4, exec_lo
	v_cmpx_le_u32_e64 v10, v11
	s_xor_b32 s4, exec_lo, s4
	s_cbranch_execz .LBB128_139
; %bb.138:
	v_lshlrev_b32_e32 v11, 2, v0
	ds_load_b32 v13, v11 offset:1024
	v_add_co_u32 v11, vcc_lo, v3, v0
	v_add_co_ci_u32_e32 v12, vcc_lo, 0, v9, vcc_lo
	s_delay_alu instid0(VALU_DEP_1) | instskip(NEXT) | instid1(VALU_DEP_1)
	v_lshlrev_b64 v[11:12], 2, v[11:12]
	v_sub_co_u32 v11, vcc_lo, s1, v11
	s_delay_alu instid0(VALU_DEP_2)
	v_sub_co_ci_u32_e32 v12, vcc_lo, s0, v12, vcc_lo
	s_waitcnt lgkmcnt(0)
	global_store_b32 v[11:12], v13, off offset:-1024
.LBB128_139:
	s_and_not1_saveexec_b32 s4, s4
	s_cbranch_execz .LBB128_141
; %bb.140:
	v_lshlrev_b32_e32 v11, 2, v0
	v_readfirstlane_b32 s6, v5
	v_readfirstlane_b32 s7, v6
	ds_load_b32 v12, v11 offset:1024
	s_waitcnt lgkmcnt(0)
	global_store_b32 v11, v12, s[6:7] offset:1024
.LBB128_141:
	s_or_b32 exec_lo, exec_lo, s4
.LBB128_142:
	s_and_not1_saveexec_b32 s2, s2
	s_cbranch_execz .LBB128_144
; %bb.143:
	v_lshlrev_b32_e32 v11, 2, v0
	v_readfirstlane_b32 s4, v7
	v_readfirstlane_b32 s5, v8
	ds_load_b32 v12, v11 offset:1024
	s_waitcnt lgkmcnt(0)
	global_store_b32 v11, v12, s[4:5] offset:1024
.LBB128_144:
	s_or_b32 exec_lo, exec_lo, s2
	v_or_b32_e32 v11, 0x200, v0
	s_mov_b32 s2, exec_lo
	s_delay_alu instid0(VALU_DEP_1)
	v_cmpx_le_u32_e64 v1, v11
	s_xor_b32 s2, exec_lo, s2
	s_cbranch_execz .LBB128_150
; %bb.145:
	s_mov_b32 s4, exec_lo
	v_cmpx_le_u32_e64 v10, v11
	s_xor_b32 s4, exec_lo, s4
	s_cbranch_execz .LBB128_147
; %bb.146:
	v_lshlrev_b32_e32 v11, 2, v0
	ds_load_b32 v13, v11 offset:2048
	v_add_co_u32 v11, vcc_lo, v3, v0
	v_add_co_ci_u32_e32 v12, vcc_lo, 0, v9, vcc_lo
	s_delay_alu instid0(VALU_DEP_1) | instskip(NEXT) | instid1(VALU_DEP_1)
	v_lshlrev_b64 v[11:12], 2, v[11:12]
	v_sub_co_u32 v11, vcc_lo, s1, v11
	s_delay_alu instid0(VALU_DEP_2)
	v_sub_co_ci_u32_e32 v12, vcc_lo, s0, v12, vcc_lo
	s_waitcnt lgkmcnt(0)
	global_store_b32 v[11:12], v13, off offset:-2048
.LBB128_147:
	s_and_not1_saveexec_b32 s4, s4
	s_cbranch_execz .LBB128_149
; %bb.148:
	v_lshlrev_b32_e32 v11, 2, v0
	v_readfirstlane_b32 s6, v5
	v_readfirstlane_b32 s7, v6
	ds_load_b32 v12, v11 offset:2048
	s_waitcnt lgkmcnt(0)
	global_store_b32 v11, v12, s[6:7] offset:2048
.LBB128_149:
	s_or_b32 exec_lo, exec_lo, s4
.LBB128_150:
	s_and_not1_saveexec_b32 s2, s2
	s_cbranch_execz .LBB128_152
; %bb.151:
	v_lshlrev_b32_e32 v11, 2, v0
	v_readfirstlane_b32 s4, v7
	v_readfirstlane_b32 s5, v8
	ds_load_b32 v12, v11 offset:2048
	s_waitcnt lgkmcnt(0)
	global_store_b32 v11, v12, s[4:5] offset:2048
.LBB128_152:
	;; [unrolled: 47-line block ×3, first 2 shown]
	s_or_b32 exec_lo, exec_lo, s2
	v_or_b32_e32 v11, 0x400, v0
	s_mov_b32 s2, exec_lo
	s_delay_alu instid0(VALU_DEP_1)
	v_cmpx_le_u32_e64 v1, v11
	s_xor_b32 s2, exec_lo, s2
	s_cbranch_execz .LBB128_166
; %bb.161:
	s_mov_b32 s4, exec_lo
	v_cmpx_le_u32_e64 v10, v11
	s_xor_b32 s4, exec_lo, s4
	s_cbranch_execz .LBB128_163
; %bb.162:
	v_lshlrev_b32_e32 v11, 2, v0
	ds_load_b32 v13, v11 offset:4096
	v_add_co_u32 v11, vcc_lo, v3, v0
	v_add_co_ci_u32_e32 v12, vcc_lo, 0, v9, vcc_lo
	s_delay_alu instid0(VALU_DEP_1) | instskip(NEXT) | instid1(VALU_DEP_1)
	v_lshlrev_b64 v[11:12], 2, v[11:12]
	v_sub_co_u32 v11, vcc_lo, s1, v11
	s_delay_alu instid0(VALU_DEP_2)
	v_sub_co_ci_u32_e32 v12, vcc_lo, s0, v12, vcc_lo
	s_waitcnt lgkmcnt(0)
	global_store_b32 v[11:12], v13, off offset:-4096
                                        ; implicit-def: $vgpr11
.LBB128_163:
	s_and_not1_saveexec_b32 s4, s4
	s_cbranch_execz .LBB128_165
; %bb.164:
	v_lshlrev_b32_e32 v12, 2, v0
	v_lshlrev_b32_e32 v11, 2, v11
	v_readfirstlane_b32 s6, v5
	v_readfirstlane_b32 s7, v6
	ds_load_b32 v12, v12 offset:4096
	s_waitcnt lgkmcnt(0)
	global_store_b32 v11, v12, s[6:7]
.LBB128_165:
	s_or_b32 exec_lo, exec_lo, s4
                                        ; implicit-def: $vgpr11
.LBB128_166:
	s_and_not1_saveexec_b32 s2, s2
	s_cbranch_execz .LBB128_168
; %bb.167:
	v_lshlrev_b32_e32 v12, 2, v0
	v_lshlrev_b32_e32 v11, 2, v11
	v_readfirstlane_b32 s4, v7
	v_readfirstlane_b32 s5, v8
	ds_load_b32 v12, v12 offset:4096
	s_waitcnt lgkmcnt(0)
	global_store_b32 v11, v12, s[4:5]
.LBB128_168:
	s_or_b32 exec_lo, exec_lo, s2
	v_or_b32_e32 v11, 0x500, v0
	s_mov_b32 s2, exec_lo
	s_delay_alu instid0(VALU_DEP_1)
	v_cmpx_le_u32_e64 v1, v11
	s_xor_b32 s2, exec_lo, s2
	s_cbranch_execz .LBB128_174
; %bb.169:
	s_mov_b32 s4, exec_lo
	v_cmpx_le_u32_e64 v10, v11
	s_xor_b32 s4, exec_lo, s4
	s_cbranch_execz .LBB128_171
; %bb.170:
	v_lshlrev_b32_e32 v12, 2, v0
	v_add_co_u32 v11, vcc_lo, v3, v11
	ds_load_b32 v13, v12 offset:5120
	v_add_co_ci_u32_e32 v12, vcc_lo, 0, v9, vcc_lo
	s_delay_alu instid0(VALU_DEP_1) | instskip(NEXT) | instid1(VALU_DEP_1)
	v_lshlrev_b64 v[11:12], 2, v[11:12]
	v_sub_co_u32 v11, vcc_lo, s1, v11
	s_delay_alu instid0(VALU_DEP_2)
	v_sub_co_ci_u32_e32 v12, vcc_lo, s0, v12, vcc_lo
	s_waitcnt lgkmcnt(0)
	global_store_b32 v[11:12], v13, off
                                        ; implicit-def: $vgpr11
.LBB128_171:
	s_and_not1_saveexec_b32 s4, s4
	s_cbranch_execz .LBB128_173
; %bb.172:
	v_lshlrev_b32_e32 v12, 2, v0
	v_lshlrev_b32_e32 v11, 2, v11
	v_readfirstlane_b32 s6, v5
	v_readfirstlane_b32 s7, v6
	ds_load_b32 v12, v12 offset:5120
	s_waitcnt lgkmcnt(0)
	global_store_b32 v11, v12, s[6:7]
.LBB128_173:
	s_or_b32 exec_lo, exec_lo, s4
                                        ; implicit-def: $vgpr11
.LBB128_174:
	s_and_not1_saveexec_b32 s2, s2
	s_cbranch_execz .LBB128_176
; %bb.175:
	v_lshlrev_b32_e32 v12, 2, v0
	v_lshlrev_b32_e32 v11, 2, v11
	v_readfirstlane_b32 s4, v7
	v_readfirstlane_b32 s5, v8
	ds_load_b32 v12, v12 offset:5120
	s_waitcnt lgkmcnt(0)
	global_store_b32 v11, v12, s[4:5]
.LBB128_176:
	s_or_b32 exec_lo, exec_lo, s2
	v_or_b32_e32 v11, 0x600, v0
	s_mov_b32 s2, exec_lo
	s_delay_alu instid0(VALU_DEP_1)
	v_cmpx_le_u32_e64 v1, v11
	s_xor_b32 s2, exec_lo, s2
	s_cbranch_execz .LBB128_182
; %bb.177:
	s_mov_b32 s4, exec_lo
	v_cmpx_le_u32_e64 v10, v11
	s_xor_b32 s4, exec_lo, s4
	s_cbranch_execz .LBB128_179
; %bb.178:
	v_lshlrev_b32_e32 v12, 2, v0
	v_add_co_u32 v11, vcc_lo, v3, v11
	ds_load_b32 v13, v12 offset:6144
	v_add_co_ci_u32_e32 v12, vcc_lo, 0, v9, vcc_lo
	s_delay_alu instid0(VALU_DEP_1) | instskip(NEXT) | instid1(VALU_DEP_1)
	v_lshlrev_b64 v[11:12], 2, v[11:12]
	v_sub_co_u32 v11, vcc_lo, s1, v11
	s_delay_alu instid0(VALU_DEP_2)
	v_sub_co_ci_u32_e32 v12, vcc_lo, s0, v12, vcc_lo
	s_waitcnt lgkmcnt(0)
	global_store_b32 v[11:12], v13, off
                                        ; implicit-def: $vgpr11
.LBB128_179:
	s_and_not1_saveexec_b32 s4, s4
	s_cbranch_execz .LBB128_181
; %bb.180:
	v_lshlrev_b32_e32 v12, 2, v0
	v_lshlrev_b32_e32 v11, 2, v11
	v_readfirstlane_b32 s6, v5
	v_readfirstlane_b32 s7, v6
	ds_load_b32 v12, v12 offset:6144
	s_waitcnt lgkmcnt(0)
	global_store_b32 v11, v12, s[6:7]
.LBB128_181:
	s_or_b32 exec_lo, exec_lo, s4
                                        ; implicit-def: $vgpr11
.LBB128_182:
	;; [unrolled: 51-line block ×8, first 2 shown]
	s_and_not1_saveexec_b32 s2, s2
	s_cbranch_execz .LBB128_232
; %bb.231:
	v_lshlrev_b32_e32 v12, 2, v0
	v_lshlrev_b32_e32 v11, 2, v11
	v_readfirstlane_b32 s4, v7
	v_readfirstlane_b32 s5, v8
	ds_load_b32 v12, v12 offset:12288
	s_waitcnt lgkmcnt(0)
	global_store_b32 v11, v12, s[4:5]
.LBB128_232:
	s_or_b32 exec_lo, exec_lo, s2
	s_branch .LBB128_126
.LBB128_233:
	s_mov_b32 s2, exec_lo
	v_cmpx_gt_u32_e64 s3, v0
	s_cbranch_execz .LBB128_242
; %bb.234:
	s_mov_b32 s4, exec_lo
	v_cmpx_le_u32_e64 v1, v0
	s_xor_b32 s4, exec_lo, s4
	s_cbranch_execz .LBB128_240
; %bb.235:
	s_mov_b32 s5, exec_lo
	v_cmpx_le_u32_e64 v10, v0
	s_xor_b32 s5, exec_lo, s5
	s_cbranch_execz .LBB128_237
; %bb.236:
	v_lshlrev_b32_e32 v11, 2, v0
	ds_load_b32 v13, v11
	v_add_co_u32 v11, vcc_lo, v3, v0
	v_add_co_ci_u32_e32 v12, vcc_lo, 0, v9, vcc_lo
	s_delay_alu instid0(VALU_DEP_1) | instskip(NEXT) | instid1(VALU_DEP_1)
	v_lshlrev_b64 v[11:12], 2, v[11:12]
	v_sub_co_u32 v11, vcc_lo, s26, v11
	s_delay_alu instid0(VALU_DEP_2)
	v_sub_co_ci_u32_e32 v12, vcc_lo, s27, v12, vcc_lo
	s_waitcnt lgkmcnt(0)
	global_store_b32 v[11:12], v13, off offset:-4
.LBB128_237:
	s_and_not1_saveexec_b32 s5, s5
	s_cbranch_execz .LBB128_239
; %bb.238:
	v_lshlrev_b32_e32 v11, 2, v0
	v_readfirstlane_b32 s6, v5
	v_readfirstlane_b32 s7, v6
	ds_load_b32 v12, v11
	s_waitcnt lgkmcnt(0)
	global_store_b32 v11, v12, s[6:7]
.LBB128_239:
	s_or_b32 exec_lo, exec_lo, s5
.LBB128_240:
	s_and_not1_saveexec_b32 s4, s4
	s_cbranch_execz .LBB128_242
; %bb.241:
	v_lshlrev_b32_e32 v11, 2, v0
	v_readfirstlane_b32 s4, v7
	v_readfirstlane_b32 s5, v8
	ds_load_b32 v12, v11
	s_waitcnt lgkmcnt(0)
	global_store_b32 v11, v12, s[4:5]
.LBB128_242:
	s_or_b32 exec_lo, exec_lo, s2
	v_or_b32_e32 v11, 0x100, v0
	s_mov_b32 s2, exec_lo
	s_delay_alu instid0(VALU_DEP_1)
	v_cmpx_gt_u32_e64 s3, v11
	s_cbranch_execz .LBB128_251
; %bb.243:
	s_mov_b32 s4, exec_lo
	v_cmpx_le_u32_e64 v1, v11
	s_xor_b32 s4, exec_lo, s4
	s_cbranch_execz .LBB128_249
; %bb.244:
	s_mov_b32 s5, exec_lo
	v_cmpx_le_u32_e64 v10, v11
	s_xor_b32 s5, exec_lo, s5
	s_cbranch_execz .LBB128_246
; %bb.245:
	v_lshlrev_b32_e32 v11, 2, v0
	ds_load_b32 v13, v11 offset:1024
	v_add_co_u32 v11, vcc_lo, v3, v0
	v_add_co_ci_u32_e32 v12, vcc_lo, 0, v9, vcc_lo
	s_delay_alu instid0(VALU_DEP_1) | instskip(NEXT) | instid1(VALU_DEP_1)
	v_lshlrev_b64 v[11:12], 2, v[11:12]
	v_sub_co_u32 v11, vcc_lo, s1, v11
	s_delay_alu instid0(VALU_DEP_2)
	v_sub_co_ci_u32_e32 v12, vcc_lo, s0, v12, vcc_lo
	s_waitcnt lgkmcnt(0)
	global_store_b32 v[11:12], v13, off offset:-1024
.LBB128_246:
	s_and_not1_saveexec_b32 s5, s5
	s_cbranch_execz .LBB128_248
; %bb.247:
	v_lshlrev_b32_e32 v11, 2, v0
	v_readfirstlane_b32 s6, v5
	v_readfirstlane_b32 s7, v6
	ds_load_b32 v12, v11 offset:1024
	s_waitcnt lgkmcnt(0)
	global_store_b32 v11, v12, s[6:7] offset:1024
.LBB128_248:
	s_or_b32 exec_lo, exec_lo, s5
.LBB128_249:
	s_and_not1_saveexec_b32 s4, s4
	s_cbranch_execz .LBB128_251
; %bb.250:
	v_lshlrev_b32_e32 v11, 2, v0
	v_readfirstlane_b32 s4, v7
	v_readfirstlane_b32 s5, v8
	ds_load_b32 v12, v11 offset:1024
	s_waitcnt lgkmcnt(0)
	global_store_b32 v11, v12, s[4:5] offset:1024
.LBB128_251:
	s_or_b32 exec_lo, exec_lo, s2
	v_or_b32_e32 v11, 0x200, v0
	s_mov_b32 s2, exec_lo
	s_delay_alu instid0(VALU_DEP_1)
	v_cmpx_gt_u32_e64 s3, v11
	s_cbranch_execz .LBB128_260
; %bb.252:
	s_mov_b32 s4, exec_lo
	v_cmpx_le_u32_e64 v1, v11
	s_xor_b32 s4, exec_lo, s4
	s_cbranch_execz .LBB128_258
; %bb.253:
	s_mov_b32 s5, exec_lo
	v_cmpx_le_u32_e64 v10, v11
	s_xor_b32 s5, exec_lo, s5
	s_cbranch_execz .LBB128_255
; %bb.254:
	v_lshlrev_b32_e32 v11, 2, v0
	ds_load_b32 v13, v11 offset:2048
	v_add_co_u32 v11, vcc_lo, v3, v0
	v_add_co_ci_u32_e32 v12, vcc_lo, 0, v9, vcc_lo
	s_delay_alu instid0(VALU_DEP_1) | instskip(NEXT) | instid1(VALU_DEP_1)
	v_lshlrev_b64 v[11:12], 2, v[11:12]
	v_sub_co_u32 v11, vcc_lo, s1, v11
	s_delay_alu instid0(VALU_DEP_2)
	v_sub_co_ci_u32_e32 v12, vcc_lo, s0, v12, vcc_lo
	s_waitcnt lgkmcnt(0)
	global_store_b32 v[11:12], v13, off offset:-2048
.LBB128_255:
	s_and_not1_saveexec_b32 s5, s5
	s_cbranch_execz .LBB128_257
; %bb.256:
	v_lshlrev_b32_e32 v11, 2, v0
	v_readfirstlane_b32 s6, v5
	v_readfirstlane_b32 s7, v6
	ds_load_b32 v12, v11 offset:2048
	s_waitcnt lgkmcnt(0)
	global_store_b32 v11, v12, s[6:7] offset:2048
.LBB128_257:
	s_or_b32 exec_lo, exec_lo, s5
.LBB128_258:
	s_and_not1_saveexec_b32 s4, s4
	s_cbranch_execz .LBB128_260
; %bb.259:
	v_lshlrev_b32_e32 v11, 2, v0
	v_readfirstlane_b32 s4, v7
	v_readfirstlane_b32 s5, v8
	ds_load_b32 v12, v11 offset:2048
	s_waitcnt lgkmcnt(0)
	global_store_b32 v11, v12, s[4:5] offset:2048
.LBB128_260:
	;; [unrolled: 51-line block ×3, first 2 shown]
	s_or_b32 exec_lo, exec_lo, s2
	v_or_b32_e32 v11, 0x400, v0
	s_mov_b32 s2, exec_lo
	s_delay_alu instid0(VALU_DEP_1)
	v_cmpx_gt_u32_e64 s3, v11
	s_cbranch_execz .LBB128_278
; %bb.270:
	s_mov_b32 s4, exec_lo
	v_cmpx_le_u32_e64 v1, v11
	s_xor_b32 s4, exec_lo, s4
	s_cbranch_execz .LBB128_276
; %bb.271:
	s_mov_b32 s5, exec_lo
	v_cmpx_le_u32_e64 v10, v11
	s_xor_b32 s5, exec_lo, s5
	s_cbranch_execz .LBB128_273
; %bb.272:
	v_lshlrev_b32_e32 v11, 2, v0
	ds_load_b32 v13, v11 offset:4096
	v_add_co_u32 v11, vcc_lo, v3, v0
	v_add_co_ci_u32_e32 v12, vcc_lo, 0, v9, vcc_lo
	s_delay_alu instid0(VALU_DEP_1) | instskip(NEXT) | instid1(VALU_DEP_1)
	v_lshlrev_b64 v[11:12], 2, v[11:12]
	v_sub_co_u32 v11, vcc_lo, s1, v11
	s_delay_alu instid0(VALU_DEP_2)
	v_sub_co_ci_u32_e32 v12, vcc_lo, s0, v12, vcc_lo
	s_waitcnt lgkmcnt(0)
	global_store_b32 v[11:12], v13, off offset:-4096
                                        ; implicit-def: $vgpr11
.LBB128_273:
	s_and_not1_saveexec_b32 s5, s5
	s_cbranch_execz .LBB128_275
; %bb.274:
	v_lshlrev_b32_e32 v12, 2, v0
	v_lshlrev_b32_e32 v11, 2, v11
	v_readfirstlane_b32 s6, v5
	v_readfirstlane_b32 s7, v6
	ds_load_b32 v12, v12 offset:4096
	s_waitcnt lgkmcnt(0)
	global_store_b32 v11, v12, s[6:7]
.LBB128_275:
	s_or_b32 exec_lo, exec_lo, s5
                                        ; implicit-def: $vgpr11
.LBB128_276:
	s_and_not1_saveexec_b32 s4, s4
	s_cbranch_execz .LBB128_278
; %bb.277:
	v_lshlrev_b32_e32 v12, 2, v0
	v_lshlrev_b32_e32 v11, 2, v11
	v_readfirstlane_b32 s4, v7
	v_readfirstlane_b32 s5, v8
	ds_load_b32 v12, v12 offset:4096
	s_waitcnt lgkmcnt(0)
	global_store_b32 v11, v12, s[4:5]
.LBB128_278:
	s_or_b32 exec_lo, exec_lo, s2
	v_or_b32_e32 v11, 0x500, v0
	s_mov_b32 s2, exec_lo
	s_delay_alu instid0(VALU_DEP_1)
	v_cmpx_gt_u32_e64 s3, v11
	s_cbranch_execz .LBB128_287
; %bb.279:
	s_mov_b32 s4, exec_lo
	v_cmpx_le_u32_e64 v1, v11
	s_xor_b32 s4, exec_lo, s4
	s_cbranch_execz .LBB128_285
; %bb.280:
	s_mov_b32 s5, exec_lo
	v_cmpx_le_u32_e64 v10, v11
	s_xor_b32 s5, exec_lo, s5
	s_cbranch_execz .LBB128_282
; %bb.281:
	v_lshlrev_b32_e32 v12, 2, v0
	v_add_co_u32 v11, vcc_lo, v3, v11
	ds_load_b32 v13, v12 offset:5120
	v_add_co_ci_u32_e32 v12, vcc_lo, 0, v9, vcc_lo
	s_delay_alu instid0(VALU_DEP_1) | instskip(NEXT) | instid1(VALU_DEP_1)
	v_lshlrev_b64 v[11:12], 2, v[11:12]
	v_sub_co_u32 v11, vcc_lo, s1, v11
	s_delay_alu instid0(VALU_DEP_2)
	v_sub_co_ci_u32_e32 v12, vcc_lo, s0, v12, vcc_lo
	s_waitcnt lgkmcnt(0)
	global_store_b32 v[11:12], v13, off
                                        ; implicit-def: $vgpr11
.LBB128_282:
	s_and_not1_saveexec_b32 s5, s5
	s_cbranch_execz .LBB128_284
; %bb.283:
	v_lshlrev_b32_e32 v12, 2, v0
	v_lshlrev_b32_e32 v11, 2, v11
	v_readfirstlane_b32 s6, v5
	v_readfirstlane_b32 s7, v6
	ds_load_b32 v12, v12 offset:5120
	s_waitcnt lgkmcnt(0)
	global_store_b32 v11, v12, s[6:7]
.LBB128_284:
	s_or_b32 exec_lo, exec_lo, s5
                                        ; implicit-def: $vgpr11
.LBB128_285:
	s_and_not1_saveexec_b32 s4, s4
	s_cbranch_execz .LBB128_287
; %bb.286:
	v_lshlrev_b32_e32 v12, 2, v0
	v_lshlrev_b32_e32 v11, 2, v11
	v_readfirstlane_b32 s4, v7
	v_readfirstlane_b32 s5, v8
	ds_load_b32 v12, v12 offset:5120
	s_waitcnt lgkmcnt(0)
	global_store_b32 v11, v12, s[4:5]
.LBB128_287:
	s_or_b32 exec_lo, exec_lo, s2
	v_or_b32_e32 v11, 0x600, v0
	s_mov_b32 s2, exec_lo
	s_delay_alu instid0(VALU_DEP_1)
	v_cmpx_gt_u32_e64 s3, v11
	s_cbranch_execz .LBB128_296
; %bb.288:
	s_mov_b32 s4, exec_lo
	v_cmpx_le_u32_e64 v1, v11
	s_xor_b32 s4, exec_lo, s4
	s_cbranch_execz .LBB128_294
; %bb.289:
	s_mov_b32 s5, exec_lo
	v_cmpx_le_u32_e64 v10, v11
	s_xor_b32 s5, exec_lo, s5
	s_cbranch_execz .LBB128_291
; %bb.290:
	v_lshlrev_b32_e32 v12, 2, v0
	v_add_co_u32 v11, vcc_lo, v3, v11
	ds_load_b32 v13, v12 offset:6144
	v_add_co_ci_u32_e32 v12, vcc_lo, 0, v9, vcc_lo
	s_delay_alu instid0(VALU_DEP_1) | instskip(NEXT) | instid1(VALU_DEP_1)
	v_lshlrev_b64 v[11:12], 2, v[11:12]
	v_sub_co_u32 v11, vcc_lo, s1, v11
	s_delay_alu instid0(VALU_DEP_2)
	v_sub_co_ci_u32_e32 v12, vcc_lo, s0, v12, vcc_lo
	s_waitcnt lgkmcnt(0)
	global_store_b32 v[11:12], v13, off
                                        ; implicit-def: $vgpr11
.LBB128_291:
	s_and_not1_saveexec_b32 s5, s5
	s_cbranch_execz .LBB128_293
; %bb.292:
	v_lshlrev_b32_e32 v12, 2, v0
	v_lshlrev_b32_e32 v11, 2, v11
	v_readfirstlane_b32 s6, v5
	v_readfirstlane_b32 s7, v6
	ds_load_b32 v12, v12 offset:6144
	s_waitcnt lgkmcnt(0)
	global_store_b32 v11, v12, s[6:7]
.LBB128_293:
	s_or_b32 exec_lo, exec_lo, s5
                                        ; implicit-def: $vgpr11
.LBB128_294:
	s_and_not1_saveexec_b32 s4, s4
	s_cbranch_execz .LBB128_296
; %bb.295:
	v_lshlrev_b32_e32 v12, 2, v0
	v_lshlrev_b32_e32 v11, 2, v11
	v_readfirstlane_b32 s4, v7
	v_readfirstlane_b32 s5, v8
	ds_load_b32 v12, v12 offset:6144
	s_waitcnt lgkmcnt(0)
	global_store_b32 v11, v12, s[4:5]
.LBB128_296:
	;; [unrolled: 55-line block ×7, first 2 shown]
	s_or_b32 exec_lo, exec_lo, s2
	v_or_b32_e32 v11, 0xc00, v0
	s_mov_b32 s2, exec_lo
	s_delay_alu instid0(VALU_DEP_1)
	v_cmpx_gt_u32_e64 s3, v11
	s_cbranch_execz .LBB128_350
; %bb.342:
	s_mov_b32 s3, exec_lo
	v_cmpx_le_u32_e64 v1, v11
	s_xor_b32 s3, exec_lo, s3
	s_cbranch_execz .LBB128_348
; %bb.343:
	s_mov_b32 s4, exec_lo
	v_cmpx_le_u32_e64 v10, v11
	s_xor_b32 s4, exec_lo, s4
	s_cbranch_execz .LBB128_345
; %bb.344:
	v_lshlrev_b32_e32 v5, 2, v0
	ds_load_b32 v7, v5 offset:12288
	v_add_co_u32 v5, vcc_lo, v3, v11
	v_add_co_ci_u32_e32 v6, vcc_lo, 0, v9, vcc_lo
                                        ; implicit-def: $vgpr11
	s_delay_alu instid0(VALU_DEP_1) | instskip(NEXT) | instid1(VALU_DEP_1)
	v_lshlrev_b64 v[5:6], 2, v[5:6]
	v_sub_co_u32 v5, vcc_lo, s1, v5
	s_delay_alu instid0(VALU_DEP_2)
	v_sub_co_ci_u32_e32 v6, vcc_lo, s0, v6, vcc_lo
	s_waitcnt lgkmcnt(0)
	global_store_b32 v[5:6], v7, off
                                        ; implicit-def: $vgpr5_vgpr6
.LBB128_345:
	s_and_not1_saveexec_b32 s0, s4
	s_cbranch_execz .LBB128_347
; %bb.346:
	v_lshlrev_b32_e32 v3, 2, v0
	v_lshlrev_b32_e32 v7, 2, v11
	v_readfirstlane_b32 s4, v5
	v_readfirstlane_b32 s5, v6
	ds_load_b32 v3, v3 offset:12288
	s_waitcnt lgkmcnt(0)
	global_store_b32 v7, v3, s[4:5]
.LBB128_347:
	s_or_b32 exec_lo, exec_lo, s0
                                        ; implicit-def: $vgpr11
                                        ; implicit-def: $vgpr7_vgpr8
.LBB128_348:
	s_and_not1_saveexec_b32 s0, s3
	s_cbranch_execz .LBB128_350
; %bb.349:
	v_lshlrev_b32_e32 v3, 2, v0
	v_lshlrev_b32_e32 v5, 2, v11
	v_readfirstlane_b32 s0, v7
	v_readfirstlane_b32 s1, v8
	ds_load_b32 v3, v3 offset:12288
	s_waitcnt lgkmcnt(0)
	global_store_b32 v5, v3, s[0:1]
.LBB128_350:
	s_or_b32 exec_lo, exec_lo, s2
	v_cmp_eq_u32_e32 vcc_lo, 0, v0
	s_and_b32 s0, vcc_lo, s14
	s_delay_alu instid0(SALU_CYCLE_1)
	s_and_saveexec_b32 s1, s0
	s_cbranch_execz .LBB128_127
.LBB128_351:
	v_add_co_u32 v2, s0, s30, v2
	s_delay_alu instid0(VALU_DEP_1) | instskip(SKIP_2) | instid1(VALU_DEP_4)
	v_add_co_ci_u32_e64 v3, null, s31, 0, s0
	v_add_co_u32 v0, vcc_lo, v18, v1
	v_add_co_ci_u32_e32 v1, vcc_lo, 0, v19, vcc_lo
	v_add_co_u32 v2, vcc_lo, v2, v4
	v_mov_b32_e32 v5, 0
	v_add_co_ci_u32_e32 v3, vcc_lo, 0, v3, vcc_lo
	global_store_b128 v5, v[0:3], s[24:25]
	s_nop 0
	s_sendmsg sendmsg(MSG_DEALLOC_VGPRS)
	s_endpgm
.LBB128_352:
	v_add_nc_u32_e32 v3, s7, v23
	s_add_i32 s10, s15, 32
	s_mov_b32 s11, 0
	v_dual_mov_b32 v5, 0 :: v_dual_add_nc_u32 v2, v22, v1
	s_lshl_b64 s[10:11], s[10:11], 4
	v_and_b32_e32 v20, 0xff0000, v3
	s_add_u32 s10, s4, s10
	s_addc_u32 s11, s5, s11
	v_and_b32_e32 v4, 0xff000000, v3
	s_delay_alu instid0(VALU_DEP_1) | instskip(SKIP_2) | instid1(VALU_DEP_1)
	v_or_b32_e32 v20, v20, v4
	v_dual_mov_b32 v4, 2 :: v_dual_and_b32 v21, 0xff00, v3
	v_and_b32_e32 v3, 0xff, v3
	v_or3_b32 v3, v20, v21, v3
	v_dual_mov_b32 v21, s11 :: v_dual_mov_b32 v20, s10
	;;#ASMSTART
	global_store_dwordx4 v[20:21], v[2:5] off	
s_waitcnt vmcnt(0)
	;;#ASMEND
	s_or_b32 exec_lo, exec_lo, s8
	s_and_saveexec_b32 s8, s2
	s_cbranch_execz .LBB128_111
.LBB128_353:
	v_mov_b32_e32 v2, s7
	v_add_nc_u32_e64 v3, 0x3400, 0
	ds_store_2addr_b32 v3, v1, v2 offset1:2
	ds_store_2addr_b32 v3, v22, v23 offset0:4 offset1:6
	s_or_b32 exec_lo, exec_lo, s8
	v_cmp_eq_u32_e32 vcc_lo, 0, v0
	s_and_b32 exec_lo, exec_lo, vcc_lo
	s_cbranch_execnz .LBB128_112
	s_branch .LBB128_113
	.section	.rodata,"a",@progbits
	.p2align	6, 0x0
	.amdhsa_kernel _ZN7rocprim17ROCPRIM_400000_NS6detail17trampoline_kernelINS0_13select_configILj256ELj13ELNS0_17block_load_methodE3ELS4_3ELS4_3ELNS0_20block_scan_algorithmE0ELj4294967295EEENS1_25partition_config_selectorILNS1_17partition_subalgoE4EjNS0_10empty_typeEbEEZZNS1_14partition_implILS8_4ELb0ES6_15HIP_vector_typeIjLj2EENS0_17counting_iteratorIjlEEPS9_SG_NS0_5tupleIJPjSI_NS0_16reverse_iteratorISI_EEEEENSH_IJSG_SG_SG_EEES9_SI_JZNS1_25segmented_radix_sort_implINS0_14default_configELb0EPKhPhPKlPlN2at6native12_GLOBAL__N_18offset_tEEE10hipError_tPvRmT1_PNSt15iterator_traitsIS12_E10value_typeET2_T3_PNS13_IS18_E10value_typeET4_jRbjT5_S1E_jjP12ihipStream_tbEUljE_ZNSN_ISO_Lb0ESQ_SR_ST_SU_SY_EESZ_S10_S11_S12_S16_S17_S18_S1B_S1C_jS1D_jS1E_S1E_jjS1G_bEUljE0_EEESZ_S10_S11_S18_S1C_S1E_T6_T7_T9_mT8_S1G_bDpT10_ENKUlT_T0_E_clISt17integral_constantIbLb0EES1U_EEDaS1P_S1Q_EUlS1P_E_NS1_11comp_targetILNS1_3genE9ELNS1_11target_archE1100ELNS1_3gpuE3ELNS1_3repE0EEENS1_30default_config_static_selectorELNS0_4arch9wavefront6targetE0EEEvS12_
		.amdhsa_group_segment_fixed_size 13340
		.amdhsa_private_segment_fixed_size 0
		.amdhsa_kernarg_size 176
		.amdhsa_user_sgpr_count 15
		.amdhsa_user_sgpr_dispatch_ptr 0
		.amdhsa_user_sgpr_queue_ptr 0
		.amdhsa_user_sgpr_kernarg_segment_ptr 1
		.amdhsa_user_sgpr_dispatch_id 0
		.amdhsa_user_sgpr_private_segment_size 0
		.amdhsa_wavefront_size32 1
		.amdhsa_uses_dynamic_stack 0
		.amdhsa_enable_private_segment 0
		.amdhsa_system_sgpr_workgroup_id_x 1
		.amdhsa_system_sgpr_workgroup_id_y 0
		.amdhsa_system_sgpr_workgroup_id_z 0
		.amdhsa_system_sgpr_workgroup_info 0
		.amdhsa_system_vgpr_workitem_id 0
		.amdhsa_next_free_vgpr 98
		.amdhsa_next_free_sgpr 59
		.amdhsa_reserve_vcc 1
		.amdhsa_float_round_mode_32 0
		.amdhsa_float_round_mode_16_64 0
		.amdhsa_float_denorm_mode_32 3
		.amdhsa_float_denorm_mode_16_64 3
		.amdhsa_dx10_clamp 1
		.amdhsa_ieee_mode 1
		.amdhsa_fp16_overflow 0
		.amdhsa_workgroup_processor_mode 1
		.amdhsa_memory_ordered 1
		.amdhsa_forward_progress 0
		.amdhsa_shared_vgpr_count 0
		.amdhsa_exception_fp_ieee_invalid_op 0
		.amdhsa_exception_fp_denorm_src 0
		.amdhsa_exception_fp_ieee_div_zero 0
		.amdhsa_exception_fp_ieee_overflow 0
		.amdhsa_exception_fp_ieee_underflow 0
		.amdhsa_exception_fp_ieee_inexact 0
		.amdhsa_exception_int_div_zero 0
	.end_amdhsa_kernel
	.section	.text._ZN7rocprim17ROCPRIM_400000_NS6detail17trampoline_kernelINS0_13select_configILj256ELj13ELNS0_17block_load_methodE3ELS4_3ELS4_3ELNS0_20block_scan_algorithmE0ELj4294967295EEENS1_25partition_config_selectorILNS1_17partition_subalgoE4EjNS0_10empty_typeEbEEZZNS1_14partition_implILS8_4ELb0ES6_15HIP_vector_typeIjLj2EENS0_17counting_iteratorIjlEEPS9_SG_NS0_5tupleIJPjSI_NS0_16reverse_iteratorISI_EEEEENSH_IJSG_SG_SG_EEES9_SI_JZNS1_25segmented_radix_sort_implINS0_14default_configELb0EPKhPhPKlPlN2at6native12_GLOBAL__N_18offset_tEEE10hipError_tPvRmT1_PNSt15iterator_traitsIS12_E10value_typeET2_T3_PNS13_IS18_E10value_typeET4_jRbjT5_S1E_jjP12ihipStream_tbEUljE_ZNSN_ISO_Lb0ESQ_SR_ST_SU_SY_EESZ_S10_S11_S12_S16_S17_S18_S1B_S1C_jS1D_jS1E_S1E_jjS1G_bEUljE0_EEESZ_S10_S11_S18_S1C_S1E_T6_T7_T9_mT8_S1G_bDpT10_ENKUlT_T0_E_clISt17integral_constantIbLb0EES1U_EEDaS1P_S1Q_EUlS1P_E_NS1_11comp_targetILNS1_3genE9ELNS1_11target_archE1100ELNS1_3gpuE3ELNS1_3repE0EEENS1_30default_config_static_selectorELNS0_4arch9wavefront6targetE0EEEvS12_,"axG",@progbits,_ZN7rocprim17ROCPRIM_400000_NS6detail17trampoline_kernelINS0_13select_configILj256ELj13ELNS0_17block_load_methodE3ELS4_3ELS4_3ELNS0_20block_scan_algorithmE0ELj4294967295EEENS1_25partition_config_selectorILNS1_17partition_subalgoE4EjNS0_10empty_typeEbEEZZNS1_14partition_implILS8_4ELb0ES6_15HIP_vector_typeIjLj2EENS0_17counting_iteratorIjlEEPS9_SG_NS0_5tupleIJPjSI_NS0_16reverse_iteratorISI_EEEEENSH_IJSG_SG_SG_EEES9_SI_JZNS1_25segmented_radix_sort_implINS0_14default_configELb0EPKhPhPKlPlN2at6native12_GLOBAL__N_18offset_tEEE10hipError_tPvRmT1_PNSt15iterator_traitsIS12_E10value_typeET2_T3_PNS13_IS18_E10value_typeET4_jRbjT5_S1E_jjP12ihipStream_tbEUljE_ZNSN_ISO_Lb0ESQ_SR_ST_SU_SY_EESZ_S10_S11_S12_S16_S17_S18_S1B_S1C_jS1D_jS1E_S1E_jjS1G_bEUljE0_EEESZ_S10_S11_S18_S1C_S1E_T6_T7_T9_mT8_S1G_bDpT10_ENKUlT_T0_E_clISt17integral_constantIbLb0EES1U_EEDaS1P_S1Q_EUlS1P_E_NS1_11comp_targetILNS1_3genE9ELNS1_11target_archE1100ELNS1_3gpuE3ELNS1_3repE0EEENS1_30default_config_static_selectorELNS0_4arch9wavefront6targetE0EEEvS12_,comdat
.Lfunc_end128:
	.size	_ZN7rocprim17ROCPRIM_400000_NS6detail17trampoline_kernelINS0_13select_configILj256ELj13ELNS0_17block_load_methodE3ELS4_3ELS4_3ELNS0_20block_scan_algorithmE0ELj4294967295EEENS1_25partition_config_selectorILNS1_17partition_subalgoE4EjNS0_10empty_typeEbEEZZNS1_14partition_implILS8_4ELb0ES6_15HIP_vector_typeIjLj2EENS0_17counting_iteratorIjlEEPS9_SG_NS0_5tupleIJPjSI_NS0_16reverse_iteratorISI_EEEEENSH_IJSG_SG_SG_EEES9_SI_JZNS1_25segmented_radix_sort_implINS0_14default_configELb0EPKhPhPKlPlN2at6native12_GLOBAL__N_18offset_tEEE10hipError_tPvRmT1_PNSt15iterator_traitsIS12_E10value_typeET2_T3_PNS13_IS18_E10value_typeET4_jRbjT5_S1E_jjP12ihipStream_tbEUljE_ZNSN_ISO_Lb0ESQ_SR_ST_SU_SY_EESZ_S10_S11_S12_S16_S17_S18_S1B_S1C_jS1D_jS1E_S1E_jjS1G_bEUljE0_EEESZ_S10_S11_S18_S1C_S1E_T6_T7_T9_mT8_S1G_bDpT10_ENKUlT_T0_E_clISt17integral_constantIbLb0EES1U_EEDaS1P_S1Q_EUlS1P_E_NS1_11comp_targetILNS1_3genE9ELNS1_11target_archE1100ELNS1_3gpuE3ELNS1_3repE0EEENS1_30default_config_static_selectorELNS0_4arch9wavefront6targetE0EEEvS12_, .Lfunc_end128-_ZN7rocprim17ROCPRIM_400000_NS6detail17trampoline_kernelINS0_13select_configILj256ELj13ELNS0_17block_load_methodE3ELS4_3ELS4_3ELNS0_20block_scan_algorithmE0ELj4294967295EEENS1_25partition_config_selectorILNS1_17partition_subalgoE4EjNS0_10empty_typeEbEEZZNS1_14partition_implILS8_4ELb0ES6_15HIP_vector_typeIjLj2EENS0_17counting_iteratorIjlEEPS9_SG_NS0_5tupleIJPjSI_NS0_16reverse_iteratorISI_EEEEENSH_IJSG_SG_SG_EEES9_SI_JZNS1_25segmented_radix_sort_implINS0_14default_configELb0EPKhPhPKlPlN2at6native12_GLOBAL__N_18offset_tEEE10hipError_tPvRmT1_PNSt15iterator_traitsIS12_E10value_typeET2_T3_PNS13_IS18_E10value_typeET4_jRbjT5_S1E_jjP12ihipStream_tbEUljE_ZNSN_ISO_Lb0ESQ_SR_ST_SU_SY_EESZ_S10_S11_S12_S16_S17_S18_S1B_S1C_jS1D_jS1E_S1E_jjS1G_bEUljE0_EEESZ_S10_S11_S18_S1C_S1E_T6_T7_T9_mT8_S1G_bDpT10_ENKUlT_T0_E_clISt17integral_constantIbLb0EES1U_EEDaS1P_S1Q_EUlS1P_E_NS1_11comp_targetILNS1_3genE9ELNS1_11target_archE1100ELNS1_3gpuE3ELNS1_3repE0EEENS1_30default_config_static_selectorELNS0_4arch9wavefront6targetE0EEEvS12_
                                        ; -- End function
	.section	.AMDGPU.csdata,"",@progbits
; Kernel info:
; codeLenInByte = 14984
; NumSgprs: 61
; NumVgprs: 98
; ScratchSize: 0
; MemoryBound: 0
; FloatMode: 240
; IeeeMode: 1
; LDSByteSize: 13340 bytes/workgroup (compile time only)
; SGPRBlocks: 7
; VGPRBlocks: 12
; NumSGPRsForWavesPerEU: 61
; NumVGPRsForWavesPerEU: 98
; Occupancy: 12
; WaveLimiterHint : 1
; COMPUTE_PGM_RSRC2:SCRATCH_EN: 0
; COMPUTE_PGM_RSRC2:USER_SGPR: 15
; COMPUTE_PGM_RSRC2:TRAP_HANDLER: 0
; COMPUTE_PGM_RSRC2:TGID_X_EN: 1
; COMPUTE_PGM_RSRC2:TGID_Y_EN: 0
; COMPUTE_PGM_RSRC2:TGID_Z_EN: 0
; COMPUTE_PGM_RSRC2:TIDIG_COMP_CNT: 0
	.section	.text._ZN7rocprim17ROCPRIM_400000_NS6detail17trampoline_kernelINS0_13select_configILj256ELj13ELNS0_17block_load_methodE3ELS4_3ELS4_3ELNS0_20block_scan_algorithmE0ELj4294967295EEENS1_25partition_config_selectorILNS1_17partition_subalgoE4EjNS0_10empty_typeEbEEZZNS1_14partition_implILS8_4ELb0ES6_15HIP_vector_typeIjLj2EENS0_17counting_iteratorIjlEEPS9_SG_NS0_5tupleIJPjSI_NS0_16reverse_iteratorISI_EEEEENSH_IJSG_SG_SG_EEES9_SI_JZNS1_25segmented_radix_sort_implINS0_14default_configELb0EPKhPhPKlPlN2at6native12_GLOBAL__N_18offset_tEEE10hipError_tPvRmT1_PNSt15iterator_traitsIS12_E10value_typeET2_T3_PNS13_IS18_E10value_typeET4_jRbjT5_S1E_jjP12ihipStream_tbEUljE_ZNSN_ISO_Lb0ESQ_SR_ST_SU_SY_EESZ_S10_S11_S12_S16_S17_S18_S1B_S1C_jS1D_jS1E_S1E_jjS1G_bEUljE0_EEESZ_S10_S11_S18_S1C_S1E_T6_T7_T9_mT8_S1G_bDpT10_ENKUlT_T0_E_clISt17integral_constantIbLb0EES1U_EEDaS1P_S1Q_EUlS1P_E_NS1_11comp_targetILNS1_3genE8ELNS1_11target_archE1030ELNS1_3gpuE2ELNS1_3repE0EEENS1_30default_config_static_selectorELNS0_4arch9wavefront6targetE0EEEvS12_,"axG",@progbits,_ZN7rocprim17ROCPRIM_400000_NS6detail17trampoline_kernelINS0_13select_configILj256ELj13ELNS0_17block_load_methodE3ELS4_3ELS4_3ELNS0_20block_scan_algorithmE0ELj4294967295EEENS1_25partition_config_selectorILNS1_17partition_subalgoE4EjNS0_10empty_typeEbEEZZNS1_14partition_implILS8_4ELb0ES6_15HIP_vector_typeIjLj2EENS0_17counting_iteratorIjlEEPS9_SG_NS0_5tupleIJPjSI_NS0_16reverse_iteratorISI_EEEEENSH_IJSG_SG_SG_EEES9_SI_JZNS1_25segmented_radix_sort_implINS0_14default_configELb0EPKhPhPKlPlN2at6native12_GLOBAL__N_18offset_tEEE10hipError_tPvRmT1_PNSt15iterator_traitsIS12_E10value_typeET2_T3_PNS13_IS18_E10value_typeET4_jRbjT5_S1E_jjP12ihipStream_tbEUljE_ZNSN_ISO_Lb0ESQ_SR_ST_SU_SY_EESZ_S10_S11_S12_S16_S17_S18_S1B_S1C_jS1D_jS1E_S1E_jjS1G_bEUljE0_EEESZ_S10_S11_S18_S1C_S1E_T6_T7_T9_mT8_S1G_bDpT10_ENKUlT_T0_E_clISt17integral_constantIbLb0EES1U_EEDaS1P_S1Q_EUlS1P_E_NS1_11comp_targetILNS1_3genE8ELNS1_11target_archE1030ELNS1_3gpuE2ELNS1_3repE0EEENS1_30default_config_static_selectorELNS0_4arch9wavefront6targetE0EEEvS12_,comdat
	.globl	_ZN7rocprim17ROCPRIM_400000_NS6detail17trampoline_kernelINS0_13select_configILj256ELj13ELNS0_17block_load_methodE3ELS4_3ELS4_3ELNS0_20block_scan_algorithmE0ELj4294967295EEENS1_25partition_config_selectorILNS1_17partition_subalgoE4EjNS0_10empty_typeEbEEZZNS1_14partition_implILS8_4ELb0ES6_15HIP_vector_typeIjLj2EENS0_17counting_iteratorIjlEEPS9_SG_NS0_5tupleIJPjSI_NS0_16reverse_iteratorISI_EEEEENSH_IJSG_SG_SG_EEES9_SI_JZNS1_25segmented_radix_sort_implINS0_14default_configELb0EPKhPhPKlPlN2at6native12_GLOBAL__N_18offset_tEEE10hipError_tPvRmT1_PNSt15iterator_traitsIS12_E10value_typeET2_T3_PNS13_IS18_E10value_typeET4_jRbjT5_S1E_jjP12ihipStream_tbEUljE_ZNSN_ISO_Lb0ESQ_SR_ST_SU_SY_EESZ_S10_S11_S12_S16_S17_S18_S1B_S1C_jS1D_jS1E_S1E_jjS1G_bEUljE0_EEESZ_S10_S11_S18_S1C_S1E_T6_T7_T9_mT8_S1G_bDpT10_ENKUlT_T0_E_clISt17integral_constantIbLb0EES1U_EEDaS1P_S1Q_EUlS1P_E_NS1_11comp_targetILNS1_3genE8ELNS1_11target_archE1030ELNS1_3gpuE2ELNS1_3repE0EEENS1_30default_config_static_selectorELNS0_4arch9wavefront6targetE0EEEvS12_ ; -- Begin function _ZN7rocprim17ROCPRIM_400000_NS6detail17trampoline_kernelINS0_13select_configILj256ELj13ELNS0_17block_load_methodE3ELS4_3ELS4_3ELNS0_20block_scan_algorithmE0ELj4294967295EEENS1_25partition_config_selectorILNS1_17partition_subalgoE4EjNS0_10empty_typeEbEEZZNS1_14partition_implILS8_4ELb0ES6_15HIP_vector_typeIjLj2EENS0_17counting_iteratorIjlEEPS9_SG_NS0_5tupleIJPjSI_NS0_16reverse_iteratorISI_EEEEENSH_IJSG_SG_SG_EEES9_SI_JZNS1_25segmented_radix_sort_implINS0_14default_configELb0EPKhPhPKlPlN2at6native12_GLOBAL__N_18offset_tEEE10hipError_tPvRmT1_PNSt15iterator_traitsIS12_E10value_typeET2_T3_PNS13_IS18_E10value_typeET4_jRbjT5_S1E_jjP12ihipStream_tbEUljE_ZNSN_ISO_Lb0ESQ_SR_ST_SU_SY_EESZ_S10_S11_S12_S16_S17_S18_S1B_S1C_jS1D_jS1E_S1E_jjS1G_bEUljE0_EEESZ_S10_S11_S18_S1C_S1E_T6_T7_T9_mT8_S1G_bDpT10_ENKUlT_T0_E_clISt17integral_constantIbLb0EES1U_EEDaS1P_S1Q_EUlS1P_E_NS1_11comp_targetILNS1_3genE8ELNS1_11target_archE1030ELNS1_3gpuE2ELNS1_3repE0EEENS1_30default_config_static_selectorELNS0_4arch9wavefront6targetE0EEEvS12_
	.p2align	8
	.type	_ZN7rocprim17ROCPRIM_400000_NS6detail17trampoline_kernelINS0_13select_configILj256ELj13ELNS0_17block_load_methodE3ELS4_3ELS4_3ELNS0_20block_scan_algorithmE0ELj4294967295EEENS1_25partition_config_selectorILNS1_17partition_subalgoE4EjNS0_10empty_typeEbEEZZNS1_14partition_implILS8_4ELb0ES6_15HIP_vector_typeIjLj2EENS0_17counting_iteratorIjlEEPS9_SG_NS0_5tupleIJPjSI_NS0_16reverse_iteratorISI_EEEEENSH_IJSG_SG_SG_EEES9_SI_JZNS1_25segmented_radix_sort_implINS0_14default_configELb0EPKhPhPKlPlN2at6native12_GLOBAL__N_18offset_tEEE10hipError_tPvRmT1_PNSt15iterator_traitsIS12_E10value_typeET2_T3_PNS13_IS18_E10value_typeET4_jRbjT5_S1E_jjP12ihipStream_tbEUljE_ZNSN_ISO_Lb0ESQ_SR_ST_SU_SY_EESZ_S10_S11_S12_S16_S17_S18_S1B_S1C_jS1D_jS1E_S1E_jjS1G_bEUljE0_EEESZ_S10_S11_S18_S1C_S1E_T6_T7_T9_mT8_S1G_bDpT10_ENKUlT_T0_E_clISt17integral_constantIbLb0EES1U_EEDaS1P_S1Q_EUlS1P_E_NS1_11comp_targetILNS1_3genE8ELNS1_11target_archE1030ELNS1_3gpuE2ELNS1_3repE0EEENS1_30default_config_static_selectorELNS0_4arch9wavefront6targetE0EEEvS12_,@function
_ZN7rocprim17ROCPRIM_400000_NS6detail17trampoline_kernelINS0_13select_configILj256ELj13ELNS0_17block_load_methodE3ELS4_3ELS4_3ELNS0_20block_scan_algorithmE0ELj4294967295EEENS1_25partition_config_selectorILNS1_17partition_subalgoE4EjNS0_10empty_typeEbEEZZNS1_14partition_implILS8_4ELb0ES6_15HIP_vector_typeIjLj2EENS0_17counting_iteratorIjlEEPS9_SG_NS0_5tupleIJPjSI_NS0_16reverse_iteratorISI_EEEEENSH_IJSG_SG_SG_EEES9_SI_JZNS1_25segmented_radix_sort_implINS0_14default_configELb0EPKhPhPKlPlN2at6native12_GLOBAL__N_18offset_tEEE10hipError_tPvRmT1_PNSt15iterator_traitsIS12_E10value_typeET2_T3_PNS13_IS18_E10value_typeET4_jRbjT5_S1E_jjP12ihipStream_tbEUljE_ZNSN_ISO_Lb0ESQ_SR_ST_SU_SY_EESZ_S10_S11_S12_S16_S17_S18_S1B_S1C_jS1D_jS1E_S1E_jjS1G_bEUljE0_EEESZ_S10_S11_S18_S1C_S1E_T6_T7_T9_mT8_S1G_bDpT10_ENKUlT_T0_E_clISt17integral_constantIbLb0EES1U_EEDaS1P_S1Q_EUlS1P_E_NS1_11comp_targetILNS1_3genE8ELNS1_11target_archE1030ELNS1_3gpuE2ELNS1_3repE0EEENS1_30default_config_static_selectorELNS0_4arch9wavefront6targetE0EEEvS12_: ; @_ZN7rocprim17ROCPRIM_400000_NS6detail17trampoline_kernelINS0_13select_configILj256ELj13ELNS0_17block_load_methodE3ELS4_3ELS4_3ELNS0_20block_scan_algorithmE0ELj4294967295EEENS1_25partition_config_selectorILNS1_17partition_subalgoE4EjNS0_10empty_typeEbEEZZNS1_14partition_implILS8_4ELb0ES6_15HIP_vector_typeIjLj2EENS0_17counting_iteratorIjlEEPS9_SG_NS0_5tupleIJPjSI_NS0_16reverse_iteratorISI_EEEEENSH_IJSG_SG_SG_EEES9_SI_JZNS1_25segmented_radix_sort_implINS0_14default_configELb0EPKhPhPKlPlN2at6native12_GLOBAL__N_18offset_tEEE10hipError_tPvRmT1_PNSt15iterator_traitsIS12_E10value_typeET2_T3_PNS13_IS18_E10value_typeET4_jRbjT5_S1E_jjP12ihipStream_tbEUljE_ZNSN_ISO_Lb0ESQ_SR_ST_SU_SY_EESZ_S10_S11_S12_S16_S17_S18_S1B_S1C_jS1D_jS1E_S1E_jjS1G_bEUljE0_EEESZ_S10_S11_S18_S1C_S1E_T6_T7_T9_mT8_S1G_bDpT10_ENKUlT_T0_E_clISt17integral_constantIbLb0EES1U_EEDaS1P_S1Q_EUlS1P_E_NS1_11comp_targetILNS1_3genE8ELNS1_11target_archE1030ELNS1_3gpuE2ELNS1_3repE0EEENS1_30default_config_static_selectorELNS0_4arch9wavefront6targetE0EEEvS12_
; %bb.0:
	.section	.rodata,"a",@progbits
	.p2align	6, 0x0
	.amdhsa_kernel _ZN7rocprim17ROCPRIM_400000_NS6detail17trampoline_kernelINS0_13select_configILj256ELj13ELNS0_17block_load_methodE3ELS4_3ELS4_3ELNS0_20block_scan_algorithmE0ELj4294967295EEENS1_25partition_config_selectorILNS1_17partition_subalgoE4EjNS0_10empty_typeEbEEZZNS1_14partition_implILS8_4ELb0ES6_15HIP_vector_typeIjLj2EENS0_17counting_iteratorIjlEEPS9_SG_NS0_5tupleIJPjSI_NS0_16reverse_iteratorISI_EEEEENSH_IJSG_SG_SG_EEES9_SI_JZNS1_25segmented_radix_sort_implINS0_14default_configELb0EPKhPhPKlPlN2at6native12_GLOBAL__N_18offset_tEEE10hipError_tPvRmT1_PNSt15iterator_traitsIS12_E10value_typeET2_T3_PNS13_IS18_E10value_typeET4_jRbjT5_S1E_jjP12ihipStream_tbEUljE_ZNSN_ISO_Lb0ESQ_SR_ST_SU_SY_EESZ_S10_S11_S12_S16_S17_S18_S1B_S1C_jS1D_jS1E_S1E_jjS1G_bEUljE0_EEESZ_S10_S11_S18_S1C_S1E_T6_T7_T9_mT8_S1G_bDpT10_ENKUlT_T0_E_clISt17integral_constantIbLb0EES1U_EEDaS1P_S1Q_EUlS1P_E_NS1_11comp_targetILNS1_3genE8ELNS1_11target_archE1030ELNS1_3gpuE2ELNS1_3repE0EEENS1_30default_config_static_selectorELNS0_4arch9wavefront6targetE0EEEvS12_
		.amdhsa_group_segment_fixed_size 0
		.amdhsa_private_segment_fixed_size 0
		.amdhsa_kernarg_size 176
		.amdhsa_user_sgpr_count 15
		.amdhsa_user_sgpr_dispatch_ptr 0
		.amdhsa_user_sgpr_queue_ptr 0
		.amdhsa_user_sgpr_kernarg_segment_ptr 1
		.amdhsa_user_sgpr_dispatch_id 0
		.amdhsa_user_sgpr_private_segment_size 0
		.amdhsa_wavefront_size32 1
		.amdhsa_uses_dynamic_stack 0
		.amdhsa_enable_private_segment 0
		.amdhsa_system_sgpr_workgroup_id_x 1
		.amdhsa_system_sgpr_workgroup_id_y 0
		.amdhsa_system_sgpr_workgroup_id_z 0
		.amdhsa_system_sgpr_workgroup_info 0
		.amdhsa_system_vgpr_workitem_id 0
		.amdhsa_next_free_vgpr 1
		.amdhsa_next_free_sgpr 1
		.amdhsa_reserve_vcc 0
		.amdhsa_float_round_mode_32 0
		.amdhsa_float_round_mode_16_64 0
		.amdhsa_float_denorm_mode_32 3
		.amdhsa_float_denorm_mode_16_64 3
		.amdhsa_dx10_clamp 1
		.amdhsa_ieee_mode 1
		.amdhsa_fp16_overflow 0
		.amdhsa_workgroup_processor_mode 1
		.amdhsa_memory_ordered 1
		.amdhsa_forward_progress 0
		.amdhsa_shared_vgpr_count 0
		.amdhsa_exception_fp_ieee_invalid_op 0
		.amdhsa_exception_fp_denorm_src 0
		.amdhsa_exception_fp_ieee_div_zero 0
		.amdhsa_exception_fp_ieee_overflow 0
		.amdhsa_exception_fp_ieee_underflow 0
		.amdhsa_exception_fp_ieee_inexact 0
		.amdhsa_exception_int_div_zero 0
	.end_amdhsa_kernel
	.section	.text._ZN7rocprim17ROCPRIM_400000_NS6detail17trampoline_kernelINS0_13select_configILj256ELj13ELNS0_17block_load_methodE3ELS4_3ELS4_3ELNS0_20block_scan_algorithmE0ELj4294967295EEENS1_25partition_config_selectorILNS1_17partition_subalgoE4EjNS0_10empty_typeEbEEZZNS1_14partition_implILS8_4ELb0ES6_15HIP_vector_typeIjLj2EENS0_17counting_iteratorIjlEEPS9_SG_NS0_5tupleIJPjSI_NS0_16reverse_iteratorISI_EEEEENSH_IJSG_SG_SG_EEES9_SI_JZNS1_25segmented_radix_sort_implINS0_14default_configELb0EPKhPhPKlPlN2at6native12_GLOBAL__N_18offset_tEEE10hipError_tPvRmT1_PNSt15iterator_traitsIS12_E10value_typeET2_T3_PNS13_IS18_E10value_typeET4_jRbjT5_S1E_jjP12ihipStream_tbEUljE_ZNSN_ISO_Lb0ESQ_SR_ST_SU_SY_EESZ_S10_S11_S12_S16_S17_S18_S1B_S1C_jS1D_jS1E_S1E_jjS1G_bEUljE0_EEESZ_S10_S11_S18_S1C_S1E_T6_T7_T9_mT8_S1G_bDpT10_ENKUlT_T0_E_clISt17integral_constantIbLb0EES1U_EEDaS1P_S1Q_EUlS1P_E_NS1_11comp_targetILNS1_3genE8ELNS1_11target_archE1030ELNS1_3gpuE2ELNS1_3repE0EEENS1_30default_config_static_selectorELNS0_4arch9wavefront6targetE0EEEvS12_,"axG",@progbits,_ZN7rocprim17ROCPRIM_400000_NS6detail17trampoline_kernelINS0_13select_configILj256ELj13ELNS0_17block_load_methodE3ELS4_3ELS4_3ELNS0_20block_scan_algorithmE0ELj4294967295EEENS1_25partition_config_selectorILNS1_17partition_subalgoE4EjNS0_10empty_typeEbEEZZNS1_14partition_implILS8_4ELb0ES6_15HIP_vector_typeIjLj2EENS0_17counting_iteratorIjlEEPS9_SG_NS0_5tupleIJPjSI_NS0_16reverse_iteratorISI_EEEEENSH_IJSG_SG_SG_EEES9_SI_JZNS1_25segmented_radix_sort_implINS0_14default_configELb0EPKhPhPKlPlN2at6native12_GLOBAL__N_18offset_tEEE10hipError_tPvRmT1_PNSt15iterator_traitsIS12_E10value_typeET2_T3_PNS13_IS18_E10value_typeET4_jRbjT5_S1E_jjP12ihipStream_tbEUljE_ZNSN_ISO_Lb0ESQ_SR_ST_SU_SY_EESZ_S10_S11_S12_S16_S17_S18_S1B_S1C_jS1D_jS1E_S1E_jjS1G_bEUljE0_EEESZ_S10_S11_S18_S1C_S1E_T6_T7_T9_mT8_S1G_bDpT10_ENKUlT_T0_E_clISt17integral_constantIbLb0EES1U_EEDaS1P_S1Q_EUlS1P_E_NS1_11comp_targetILNS1_3genE8ELNS1_11target_archE1030ELNS1_3gpuE2ELNS1_3repE0EEENS1_30default_config_static_selectorELNS0_4arch9wavefront6targetE0EEEvS12_,comdat
.Lfunc_end129:
	.size	_ZN7rocprim17ROCPRIM_400000_NS6detail17trampoline_kernelINS0_13select_configILj256ELj13ELNS0_17block_load_methodE3ELS4_3ELS4_3ELNS0_20block_scan_algorithmE0ELj4294967295EEENS1_25partition_config_selectorILNS1_17partition_subalgoE4EjNS0_10empty_typeEbEEZZNS1_14partition_implILS8_4ELb0ES6_15HIP_vector_typeIjLj2EENS0_17counting_iteratorIjlEEPS9_SG_NS0_5tupleIJPjSI_NS0_16reverse_iteratorISI_EEEEENSH_IJSG_SG_SG_EEES9_SI_JZNS1_25segmented_radix_sort_implINS0_14default_configELb0EPKhPhPKlPlN2at6native12_GLOBAL__N_18offset_tEEE10hipError_tPvRmT1_PNSt15iterator_traitsIS12_E10value_typeET2_T3_PNS13_IS18_E10value_typeET4_jRbjT5_S1E_jjP12ihipStream_tbEUljE_ZNSN_ISO_Lb0ESQ_SR_ST_SU_SY_EESZ_S10_S11_S12_S16_S17_S18_S1B_S1C_jS1D_jS1E_S1E_jjS1G_bEUljE0_EEESZ_S10_S11_S18_S1C_S1E_T6_T7_T9_mT8_S1G_bDpT10_ENKUlT_T0_E_clISt17integral_constantIbLb0EES1U_EEDaS1P_S1Q_EUlS1P_E_NS1_11comp_targetILNS1_3genE8ELNS1_11target_archE1030ELNS1_3gpuE2ELNS1_3repE0EEENS1_30default_config_static_selectorELNS0_4arch9wavefront6targetE0EEEvS12_, .Lfunc_end129-_ZN7rocprim17ROCPRIM_400000_NS6detail17trampoline_kernelINS0_13select_configILj256ELj13ELNS0_17block_load_methodE3ELS4_3ELS4_3ELNS0_20block_scan_algorithmE0ELj4294967295EEENS1_25partition_config_selectorILNS1_17partition_subalgoE4EjNS0_10empty_typeEbEEZZNS1_14partition_implILS8_4ELb0ES6_15HIP_vector_typeIjLj2EENS0_17counting_iteratorIjlEEPS9_SG_NS0_5tupleIJPjSI_NS0_16reverse_iteratorISI_EEEEENSH_IJSG_SG_SG_EEES9_SI_JZNS1_25segmented_radix_sort_implINS0_14default_configELb0EPKhPhPKlPlN2at6native12_GLOBAL__N_18offset_tEEE10hipError_tPvRmT1_PNSt15iterator_traitsIS12_E10value_typeET2_T3_PNS13_IS18_E10value_typeET4_jRbjT5_S1E_jjP12ihipStream_tbEUljE_ZNSN_ISO_Lb0ESQ_SR_ST_SU_SY_EESZ_S10_S11_S12_S16_S17_S18_S1B_S1C_jS1D_jS1E_S1E_jjS1G_bEUljE0_EEESZ_S10_S11_S18_S1C_S1E_T6_T7_T9_mT8_S1G_bDpT10_ENKUlT_T0_E_clISt17integral_constantIbLb0EES1U_EEDaS1P_S1Q_EUlS1P_E_NS1_11comp_targetILNS1_3genE8ELNS1_11target_archE1030ELNS1_3gpuE2ELNS1_3repE0EEENS1_30default_config_static_selectorELNS0_4arch9wavefront6targetE0EEEvS12_
                                        ; -- End function
	.section	.AMDGPU.csdata,"",@progbits
; Kernel info:
; codeLenInByte = 0
; NumSgprs: 0
; NumVgprs: 0
; ScratchSize: 0
; MemoryBound: 0
; FloatMode: 240
; IeeeMode: 1
; LDSByteSize: 0 bytes/workgroup (compile time only)
; SGPRBlocks: 0
; VGPRBlocks: 0
; NumSGPRsForWavesPerEU: 1
; NumVGPRsForWavesPerEU: 1
; Occupancy: 16
; WaveLimiterHint : 0
; COMPUTE_PGM_RSRC2:SCRATCH_EN: 0
; COMPUTE_PGM_RSRC2:USER_SGPR: 15
; COMPUTE_PGM_RSRC2:TRAP_HANDLER: 0
; COMPUTE_PGM_RSRC2:TGID_X_EN: 1
; COMPUTE_PGM_RSRC2:TGID_Y_EN: 0
; COMPUTE_PGM_RSRC2:TGID_Z_EN: 0
; COMPUTE_PGM_RSRC2:TIDIG_COMP_CNT: 0
	.section	.text._ZN7rocprim17ROCPRIM_400000_NS6detail17trampoline_kernelINS0_13select_configILj256ELj13ELNS0_17block_load_methodE3ELS4_3ELS4_3ELNS0_20block_scan_algorithmE0ELj4294967295EEENS1_25partition_config_selectorILNS1_17partition_subalgoE4EjNS0_10empty_typeEbEEZZNS1_14partition_implILS8_4ELb0ES6_15HIP_vector_typeIjLj2EENS0_17counting_iteratorIjlEEPS9_SG_NS0_5tupleIJPjSI_NS0_16reverse_iteratorISI_EEEEENSH_IJSG_SG_SG_EEES9_SI_JZNS1_25segmented_radix_sort_implINS0_14default_configELb0EPKhPhPKlPlN2at6native12_GLOBAL__N_18offset_tEEE10hipError_tPvRmT1_PNSt15iterator_traitsIS12_E10value_typeET2_T3_PNS13_IS18_E10value_typeET4_jRbjT5_S1E_jjP12ihipStream_tbEUljE_ZNSN_ISO_Lb0ESQ_SR_ST_SU_SY_EESZ_S10_S11_S12_S16_S17_S18_S1B_S1C_jS1D_jS1E_S1E_jjS1G_bEUljE0_EEESZ_S10_S11_S18_S1C_S1E_T6_T7_T9_mT8_S1G_bDpT10_ENKUlT_T0_E_clISt17integral_constantIbLb1EES1U_EEDaS1P_S1Q_EUlS1P_E_NS1_11comp_targetILNS1_3genE0ELNS1_11target_archE4294967295ELNS1_3gpuE0ELNS1_3repE0EEENS1_30default_config_static_selectorELNS0_4arch9wavefront6targetE0EEEvS12_,"axG",@progbits,_ZN7rocprim17ROCPRIM_400000_NS6detail17trampoline_kernelINS0_13select_configILj256ELj13ELNS0_17block_load_methodE3ELS4_3ELS4_3ELNS0_20block_scan_algorithmE0ELj4294967295EEENS1_25partition_config_selectorILNS1_17partition_subalgoE4EjNS0_10empty_typeEbEEZZNS1_14partition_implILS8_4ELb0ES6_15HIP_vector_typeIjLj2EENS0_17counting_iteratorIjlEEPS9_SG_NS0_5tupleIJPjSI_NS0_16reverse_iteratorISI_EEEEENSH_IJSG_SG_SG_EEES9_SI_JZNS1_25segmented_radix_sort_implINS0_14default_configELb0EPKhPhPKlPlN2at6native12_GLOBAL__N_18offset_tEEE10hipError_tPvRmT1_PNSt15iterator_traitsIS12_E10value_typeET2_T3_PNS13_IS18_E10value_typeET4_jRbjT5_S1E_jjP12ihipStream_tbEUljE_ZNSN_ISO_Lb0ESQ_SR_ST_SU_SY_EESZ_S10_S11_S12_S16_S17_S18_S1B_S1C_jS1D_jS1E_S1E_jjS1G_bEUljE0_EEESZ_S10_S11_S18_S1C_S1E_T6_T7_T9_mT8_S1G_bDpT10_ENKUlT_T0_E_clISt17integral_constantIbLb1EES1U_EEDaS1P_S1Q_EUlS1P_E_NS1_11comp_targetILNS1_3genE0ELNS1_11target_archE4294967295ELNS1_3gpuE0ELNS1_3repE0EEENS1_30default_config_static_selectorELNS0_4arch9wavefront6targetE0EEEvS12_,comdat
	.globl	_ZN7rocprim17ROCPRIM_400000_NS6detail17trampoline_kernelINS0_13select_configILj256ELj13ELNS0_17block_load_methodE3ELS4_3ELS4_3ELNS0_20block_scan_algorithmE0ELj4294967295EEENS1_25partition_config_selectorILNS1_17partition_subalgoE4EjNS0_10empty_typeEbEEZZNS1_14partition_implILS8_4ELb0ES6_15HIP_vector_typeIjLj2EENS0_17counting_iteratorIjlEEPS9_SG_NS0_5tupleIJPjSI_NS0_16reverse_iteratorISI_EEEEENSH_IJSG_SG_SG_EEES9_SI_JZNS1_25segmented_radix_sort_implINS0_14default_configELb0EPKhPhPKlPlN2at6native12_GLOBAL__N_18offset_tEEE10hipError_tPvRmT1_PNSt15iterator_traitsIS12_E10value_typeET2_T3_PNS13_IS18_E10value_typeET4_jRbjT5_S1E_jjP12ihipStream_tbEUljE_ZNSN_ISO_Lb0ESQ_SR_ST_SU_SY_EESZ_S10_S11_S12_S16_S17_S18_S1B_S1C_jS1D_jS1E_S1E_jjS1G_bEUljE0_EEESZ_S10_S11_S18_S1C_S1E_T6_T7_T9_mT8_S1G_bDpT10_ENKUlT_T0_E_clISt17integral_constantIbLb1EES1U_EEDaS1P_S1Q_EUlS1P_E_NS1_11comp_targetILNS1_3genE0ELNS1_11target_archE4294967295ELNS1_3gpuE0ELNS1_3repE0EEENS1_30default_config_static_selectorELNS0_4arch9wavefront6targetE0EEEvS12_ ; -- Begin function _ZN7rocprim17ROCPRIM_400000_NS6detail17trampoline_kernelINS0_13select_configILj256ELj13ELNS0_17block_load_methodE3ELS4_3ELS4_3ELNS0_20block_scan_algorithmE0ELj4294967295EEENS1_25partition_config_selectorILNS1_17partition_subalgoE4EjNS0_10empty_typeEbEEZZNS1_14partition_implILS8_4ELb0ES6_15HIP_vector_typeIjLj2EENS0_17counting_iteratorIjlEEPS9_SG_NS0_5tupleIJPjSI_NS0_16reverse_iteratorISI_EEEEENSH_IJSG_SG_SG_EEES9_SI_JZNS1_25segmented_radix_sort_implINS0_14default_configELb0EPKhPhPKlPlN2at6native12_GLOBAL__N_18offset_tEEE10hipError_tPvRmT1_PNSt15iterator_traitsIS12_E10value_typeET2_T3_PNS13_IS18_E10value_typeET4_jRbjT5_S1E_jjP12ihipStream_tbEUljE_ZNSN_ISO_Lb0ESQ_SR_ST_SU_SY_EESZ_S10_S11_S12_S16_S17_S18_S1B_S1C_jS1D_jS1E_S1E_jjS1G_bEUljE0_EEESZ_S10_S11_S18_S1C_S1E_T6_T7_T9_mT8_S1G_bDpT10_ENKUlT_T0_E_clISt17integral_constantIbLb1EES1U_EEDaS1P_S1Q_EUlS1P_E_NS1_11comp_targetILNS1_3genE0ELNS1_11target_archE4294967295ELNS1_3gpuE0ELNS1_3repE0EEENS1_30default_config_static_selectorELNS0_4arch9wavefront6targetE0EEEvS12_
	.p2align	8
	.type	_ZN7rocprim17ROCPRIM_400000_NS6detail17trampoline_kernelINS0_13select_configILj256ELj13ELNS0_17block_load_methodE3ELS4_3ELS4_3ELNS0_20block_scan_algorithmE0ELj4294967295EEENS1_25partition_config_selectorILNS1_17partition_subalgoE4EjNS0_10empty_typeEbEEZZNS1_14partition_implILS8_4ELb0ES6_15HIP_vector_typeIjLj2EENS0_17counting_iteratorIjlEEPS9_SG_NS0_5tupleIJPjSI_NS0_16reverse_iteratorISI_EEEEENSH_IJSG_SG_SG_EEES9_SI_JZNS1_25segmented_radix_sort_implINS0_14default_configELb0EPKhPhPKlPlN2at6native12_GLOBAL__N_18offset_tEEE10hipError_tPvRmT1_PNSt15iterator_traitsIS12_E10value_typeET2_T3_PNS13_IS18_E10value_typeET4_jRbjT5_S1E_jjP12ihipStream_tbEUljE_ZNSN_ISO_Lb0ESQ_SR_ST_SU_SY_EESZ_S10_S11_S12_S16_S17_S18_S1B_S1C_jS1D_jS1E_S1E_jjS1G_bEUljE0_EEESZ_S10_S11_S18_S1C_S1E_T6_T7_T9_mT8_S1G_bDpT10_ENKUlT_T0_E_clISt17integral_constantIbLb1EES1U_EEDaS1P_S1Q_EUlS1P_E_NS1_11comp_targetILNS1_3genE0ELNS1_11target_archE4294967295ELNS1_3gpuE0ELNS1_3repE0EEENS1_30default_config_static_selectorELNS0_4arch9wavefront6targetE0EEEvS12_,@function
_ZN7rocprim17ROCPRIM_400000_NS6detail17trampoline_kernelINS0_13select_configILj256ELj13ELNS0_17block_load_methodE3ELS4_3ELS4_3ELNS0_20block_scan_algorithmE0ELj4294967295EEENS1_25partition_config_selectorILNS1_17partition_subalgoE4EjNS0_10empty_typeEbEEZZNS1_14partition_implILS8_4ELb0ES6_15HIP_vector_typeIjLj2EENS0_17counting_iteratorIjlEEPS9_SG_NS0_5tupleIJPjSI_NS0_16reverse_iteratorISI_EEEEENSH_IJSG_SG_SG_EEES9_SI_JZNS1_25segmented_radix_sort_implINS0_14default_configELb0EPKhPhPKlPlN2at6native12_GLOBAL__N_18offset_tEEE10hipError_tPvRmT1_PNSt15iterator_traitsIS12_E10value_typeET2_T3_PNS13_IS18_E10value_typeET4_jRbjT5_S1E_jjP12ihipStream_tbEUljE_ZNSN_ISO_Lb0ESQ_SR_ST_SU_SY_EESZ_S10_S11_S12_S16_S17_S18_S1B_S1C_jS1D_jS1E_S1E_jjS1G_bEUljE0_EEESZ_S10_S11_S18_S1C_S1E_T6_T7_T9_mT8_S1G_bDpT10_ENKUlT_T0_E_clISt17integral_constantIbLb1EES1U_EEDaS1P_S1Q_EUlS1P_E_NS1_11comp_targetILNS1_3genE0ELNS1_11target_archE4294967295ELNS1_3gpuE0ELNS1_3repE0EEENS1_30default_config_static_selectorELNS0_4arch9wavefront6targetE0EEEvS12_: ; @_ZN7rocprim17ROCPRIM_400000_NS6detail17trampoline_kernelINS0_13select_configILj256ELj13ELNS0_17block_load_methodE3ELS4_3ELS4_3ELNS0_20block_scan_algorithmE0ELj4294967295EEENS1_25partition_config_selectorILNS1_17partition_subalgoE4EjNS0_10empty_typeEbEEZZNS1_14partition_implILS8_4ELb0ES6_15HIP_vector_typeIjLj2EENS0_17counting_iteratorIjlEEPS9_SG_NS0_5tupleIJPjSI_NS0_16reverse_iteratorISI_EEEEENSH_IJSG_SG_SG_EEES9_SI_JZNS1_25segmented_radix_sort_implINS0_14default_configELb0EPKhPhPKlPlN2at6native12_GLOBAL__N_18offset_tEEE10hipError_tPvRmT1_PNSt15iterator_traitsIS12_E10value_typeET2_T3_PNS13_IS18_E10value_typeET4_jRbjT5_S1E_jjP12ihipStream_tbEUljE_ZNSN_ISO_Lb0ESQ_SR_ST_SU_SY_EESZ_S10_S11_S12_S16_S17_S18_S1B_S1C_jS1D_jS1E_S1E_jjS1G_bEUljE0_EEESZ_S10_S11_S18_S1C_S1E_T6_T7_T9_mT8_S1G_bDpT10_ENKUlT_T0_E_clISt17integral_constantIbLb1EES1U_EEDaS1P_S1Q_EUlS1P_E_NS1_11comp_targetILNS1_3genE0ELNS1_11target_archE4294967295ELNS1_3gpuE0ELNS1_3repE0EEENS1_30default_config_static_selectorELNS0_4arch9wavefront6targetE0EEEvS12_
; %bb.0:
	.section	.rodata,"a",@progbits
	.p2align	6, 0x0
	.amdhsa_kernel _ZN7rocprim17ROCPRIM_400000_NS6detail17trampoline_kernelINS0_13select_configILj256ELj13ELNS0_17block_load_methodE3ELS4_3ELS4_3ELNS0_20block_scan_algorithmE0ELj4294967295EEENS1_25partition_config_selectorILNS1_17partition_subalgoE4EjNS0_10empty_typeEbEEZZNS1_14partition_implILS8_4ELb0ES6_15HIP_vector_typeIjLj2EENS0_17counting_iteratorIjlEEPS9_SG_NS0_5tupleIJPjSI_NS0_16reverse_iteratorISI_EEEEENSH_IJSG_SG_SG_EEES9_SI_JZNS1_25segmented_radix_sort_implINS0_14default_configELb0EPKhPhPKlPlN2at6native12_GLOBAL__N_18offset_tEEE10hipError_tPvRmT1_PNSt15iterator_traitsIS12_E10value_typeET2_T3_PNS13_IS18_E10value_typeET4_jRbjT5_S1E_jjP12ihipStream_tbEUljE_ZNSN_ISO_Lb0ESQ_SR_ST_SU_SY_EESZ_S10_S11_S12_S16_S17_S18_S1B_S1C_jS1D_jS1E_S1E_jjS1G_bEUljE0_EEESZ_S10_S11_S18_S1C_S1E_T6_T7_T9_mT8_S1G_bDpT10_ENKUlT_T0_E_clISt17integral_constantIbLb1EES1U_EEDaS1P_S1Q_EUlS1P_E_NS1_11comp_targetILNS1_3genE0ELNS1_11target_archE4294967295ELNS1_3gpuE0ELNS1_3repE0EEENS1_30default_config_static_selectorELNS0_4arch9wavefront6targetE0EEEvS12_
		.amdhsa_group_segment_fixed_size 0
		.amdhsa_private_segment_fixed_size 0
		.amdhsa_kernarg_size 184
		.amdhsa_user_sgpr_count 15
		.amdhsa_user_sgpr_dispatch_ptr 0
		.amdhsa_user_sgpr_queue_ptr 0
		.amdhsa_user_sgpr_kernarg_segment_ptr 1
		.amdhsa_user_sgpr_dispatch_id 0
		.amdhsa_user_sgpr_private_segment_size 0
		.amdhsa_wavefront_size32 1
		.amdhsa_uses_dynamic_stack 0
		.amdhsa_enable_private_segment 0
		.amdhsa_system_sgpr_workgroup_id_x 1
		.amdhsa_system_sgpr_workgroup_id_y 0
		.amdhsa_system_sgpr_workgroup_id_z 0
		.amdhsa_system_sgpr_workgroup_info 0
		.amdhsa_system_vgpr_workitem_id 0
		.amdhsa_next_free_vgpr 1
		.amdhsa_next_free_sgpr 1
		.amdhsa_reserve_vcc 0
		.amdhsa_float_round_mode_32 0
		.amdhsa_float_round_mode_16_64 0
		.amdhsa_float_denorm_mode_32 3
		.amdhsa_float_denorm_mode_16_64 3
		.amdhsa_dx10_clamp 1
		.amdhsa_ieee_mode 1
		.amdhsa_fp16_overflow 0
		.amdhsa_workgroup_processor_mode 1
		.amdhsa_memory_ordered 1
		.amdhsa_forward_progress 0
		.amdhsa_shared_vgpr_count 0
		.amdhsa_exception_fp_ieee_invalid_op 0
		.amdhsa_exception_fp_denorm_src 0
		.amdhsa_exception_fp_ieee_div_zero 0
		.amdhsa_exception_fp_ieee_overflow 0
		.amdhsa_exception_fp_ieee_underflow 0
		.amdhsa_exception_fp_ieee_inexact 0
		.amdhsa_exception_int_div_zero 0
	.end_amdhsa_kernel
	.section	.text._ZN7rocprim17ROCPRIM_400000_NS6detail17trampoline_kernelINS0_13select_configILj256ELj13ELNS0_17block_load_methodE3ELS4_3ELS4_3ELNS0_20block_scan_algorithmE0ELj4294967295EEENS1_25partition_config_selectorILNS1_17partition_subalgoE4EjNS0_10empty_typeEbEEZZNS1_14partition_implILS8_4ELb0ES6_15HIP_vector_typeIjLj2EENS0_17counting_iteratorIjlEEPS9_SG_NS0_5tupleIJPjSI_NS0_16reverse_iteratorISI_EEEEENSH_IJSG_SG_SG_EEES9_SI_JZNS1_25segmented_radix_sort_implINS0_14default_configELb0EPKhPhPKlPlN2at6native12_GLOBAL__N_18offset_tEEE10hipError_tPvRmT1_PNSt15iterator_traitsIS12_E10value_typeET2_T3_PNS13_IS18_E10value_typeET4_jRbjT5_S1E_jjP12ihipStream_tbEUljE_ZNSN_ISO_Lb0ESQ_SR_ST_SU_SY_EESZ_S10_S11_S12_S16_S17_S18_S1B_S1C_jS1D_jS1E_S1E_jjS1G_bEUljE0_EEESZ_S10_S11_S18_S1C_S1E_T6_T7_T9_mT8_S1G_bDpT10_ENKUlT_T0_E_clISt17integral_constantIbLb1EES1U_EEDaS1P_S1Q_EUlS1P_E_NS1_11comp_targetILNS1_3genE0ELNS1_11target_archE4294967295ELNS1_3gpuE0ELNS1_3repE0EEENS1_30default_config_static_selectorELNS0_4arch9wavefront6targetE0EEEvS12_,"axG",@progbits,_ZN7rocprim17ROCPRIM_400000_NS6detail17trampoline_kernelINS0_13select_configILj256ELj13ELNS0_17block_load_methodE3ELS4_3ELS4_3ELNS0_20block_scan_algorithmE0ELj4294967295EEENS1_25partition_config_selectorILNS1_17partition_subalgoE4EjNS0_10empty_typeEbEEZZNS1_14partition_implILS8_4ELb0ES6_15HIP_vector_typeIjLj2EENS0_17counting_iteratorIjlEEPS9_SG_NS0_5tupleIJPjSI_NS0_16reverse_iteratorISI_EEEEENSH_IJSG_SG_SG_EEES9_SI_JZNS1_25segmented_radix_sort_implINS0_14default_configELb0EPKhPhPKlPlN2at6native12_GLOBAL__N_18offset_tEEE10hipError_tPvRmT1_PNSt15iterator_traitsIS12_E10value_typeET2_T3_PNS13_IS18_E10value_typeET4_jRbjT5_S1E_jjP12ihipStream_tbEUljE_ZNSN_ISO_Lb0ESQ_SR_ST_SU_SY_EESZ_S10_S11_S12_S16_S17_S18_S1B_S1C_jS1D_jS1E_S1E_jjS1G_bEUljE0_EEESZ_S10_S11_S18_S1C_S1E_T6_T7_T9_mT8_S1G_bDpT10_ENKUlT_T0_E_clISt17integral_constantIbLb1EES1U_EEDaS1P_S1Q_EUlS1P_E_NS1_11comp_targetILNS1_3genE0ELNS1_11target_archE4294967295ELNS1_3gpuE0ELNS1_3repE0EEENS1_30default_config_static_selectorELNS0_4arch9wavefront6targetE0EEEvS12_,comdat
.Lfunc_end130:
	.size	_ZN7rocprim17ROCPRIM_400000_NS6detail17trampoline_kernelINS0_13select_configILj256ELj13ELNS0_17block_load_methodE3ELS4_3ELS4_3ELNS0_20block_scan_algorithmE0ELj4294967295EEENS1_25partition_config_selectorILNS1_17partition_subalgoE4EjNS0_10empty_typeEbEEZZNS1_14partition_implILS8_4ELb0ES6_15HIP_vector_typeIjLj2EENS0_17counting_iteratorIjlEEPS9_SG_NS0_5tupleIJPjSI_NS0_16reverse_iteratorISI_EEEEENSH_IJSG_SG_SG_EEES9_SI_JZNS1_25segmented_radix_sort_implINS0_14default_configELb0EPKhPhPKlPlN2at6native12_GLOBAL__N_18offset_tEEE10hipError_tPvRmT1_PNSt15iterator_traitsIS12_E10value_typeET2_T3_PNS13_IS18_E10value_typeET4_jRbjT5_S1E_jjP12ihipStream_tbEUljE_ZNSN_ISO_Lb0ESQ_SR_ST_SU_SY_EESZ_S10_S11_S12_S16_S17_S18_S1B_S1C_jS1D_jS1E_S1E_jjS1G_bEUljE0_EEESZ_S10_S11_S18_S1C_S1E_T6_T7_T9_mT8_S1G_bDpT10_ENKUlT_T0_E_clISt17integral_constantIbLb1EES1U_EEDaS1P_S1Q_EUlS1P_E_NS1_11comp_targetILNS1_3genE0ELNS1_11target_archE4294967295ELNS1_3gpuE0ELNS1_3repE0EEENS1_30default_config_static_selectorELNS0_4arch9wavefront6targetE0EEEvS12_, .Lfunc_end130-_ZN7rocprim17ROCPRIM_400000_NS6detail17trampoline_kernelINS0_13select_configILj256ELj13ELNS0_17block_load_methodE3ELS4_3ELS4_3ELNS0_20block_scan_algorithmE0ELj4294967295EEENS1_25partition_config_selectorILNS1_17partition_subalgoE4EjNS0_10empty_typeEbEEZZNS1_14partition_implILS8_4ELb0ES6_15HIP_vector_typeIjLj2EENS0_17counting_iteratorIjlEEPS9_SG_NS0_5tupleIJPjSI_NS0_16reverse_iteratorISI_EEEEENSH_IJSG_SG_SG_EEES9_SI_JZNS1_25segmented_radix_sort_implINS0_14default_configELb0EPKhPhPKlPlN2at6native12_GLOBAL__N_18offset_tEEE10hipError_tPvRmT1_PNSt15iterator_traitsIS12_E10value_typeET2_T3_PNS13_IS18_E10value_typeET4_jRbjT5_S1E_jjP12ihipStream_tbEUljE_ZNSN_ISO_Lb0ESQ_SR_ST_SU_SY_EESZ_S10_S11_S12_S16_S17_S18_S1B_S1C_jS1D_jS1E_S1E_jjS1G_bEUljE0_EEESZ_S10_S11_S18_S1C_S1E_T6_T7_T9_mT8_S1G_bDpT10_ENKUlT_T0_E_clISt17integral_constantIbLb1EES1U_EEDaS1P_S1Q_EUlS1P_E_NS1_11comp_targetILNS1_3genE0ELNS1_11target_archE4294967295ELNS1_3gpuE0ELNS1_3repE0EEENS1_30default_config_static_selectorELNS0_4arch9wavefront6targetE0EEEvS12_
                                        ; -- End function
	.section	.AMDGPU.csdata,"",@progbits
; Kernel info:
; codeLenInByte = 0
; NumSgprs: 0
; NumVgprs: 0
; ScratchSize: 0
; MemoryBound: 0
; FloatMode: 240
; IeeeMode: 1
; LDSByteSize: 0 bytes/workgroup (compile time only)
; SGPRBlocks: 0
; VGPRBlocks: 0
; NumSGPRsForWavesPerEU: 1
; NumVGPRsForWavesPerEU: 1
; Occupancy: 16
; WaveLimiterHint : 0
; COMPUTE_PGM_RSRC2:SCRATCH_EN: 0
; COMPUTE_PGM_RSRC2:USER_SGPR: 15
; COMPUTE_PGM_RSRC2:TRAP_HANDLER: 0
; COMPUTE_PGM_RSRC2:TGID_X_EN: 1
; COMPUTE_PGM_RSRC2:TGID_Y_EN: 0
; COMPUTE_PGM_RSRC2:TGID_Z_EN: 0
; COMPUTE_PGM_RSRC2:TIDIG_COMP_CNT: 0
	.section	.text._ZN7rocprim17ROCPRIM_400000_NS6detail17trampoline_kernelINS0_13select_configILj256ELj13ELNS0_17block_load_methodE3ELS4_3ELS4_3ELNS0_20block_scan_algorithmE0ELj4294967295EEENS1_25partition_config_selectorILNS1_17partition_subalgoE4EjNS0_10empty_typeEbEEZZNS1_14partition_implILS8_4ELb0ES6_15HIP_vector_typeIjLj2EENS0_17counting_iteratorIjlEEPS9_SG_NS0_5tupleIJPjSI_NS0_16reverse_iteratorISI_EEEEENSH_IJSG_SG_SG_EEES9_SI_JZNS1_25segmented_radix_sort_implINS0_14default_configELb0EPKhPhPKlPlN2at6native12_GLOBAL__N_18offset_tEEE10hipError_tPvRmT1_PNSt15iterator_traitsIS12_E10value_typeET2_T3_PNS13_IS18_E10value_typeET4_jRbjT5_S1E_jjP12ihipStream_tbEUljE_ZNSN_ISO_Lb0ESQ_SR_ST_SU_SY_EESZ_S10_S11_S12_S16_S17_S18_S1B_S1C_jS1D_jS1E_S1E_jjS1G_bEUljE0_EEESZ_S10_S11_S18_S1C_S1E_T6_T7_T9_mT8_S1G_bDpT10_ENKUlT_T0_E_clISt17integral_constantIbLb1EES1U_EEDaS1P_S1Q_EUlS1P_E_NS1_11comp_targetILNS1_3genE5ELNS1_11target_archE942ELNS1_3gpuE9ELNS1_3repE0EEENS1_30default_config_static_selectorELNS0_4arch9wavefront6targetE0EEEvS12_,"axG",@progbits,_ZN7rocprim17ROCPRIM_400000_NS6detail17trampoline_kernelINS0_13select_configILj256ELj13ELNS0_17block_load_methodE3ELS4_3ELS4_3ELNS0_20block_scan_algorithmE0ELj4294967295EEENS1_25partition_config_selectorILNS1_17partition_subalgoE4EjNS0_10empty_typeEbEEZZNS1_14partition_implILS8_4ELb0ES6_15HIP_vector_typeIjLj2EENS0_17counting_iteratorIjlEEPS9_SG_NS0_5tupleIJPjSI_NS0_16reverse_iteratorISI_EEEEENSH_IJSG_SG_SG_EEES9_SI_JZNS1_25segmented_radix_sort_implINS0_14default_configELb0EPKhPhPKlPlN2at6native12_GLOBAL__N_18offset_tEEE10hipError_tPvRmT1_PNSt15iterator_traitsIS12_E10value_typeET2_T3_PNS13_IS18_E10value_typeET4_jRbjT5_S1E_jjP12ihipStream_tbEUljE_ZNSN_ISO_Lb0ESQ_SR_ST_SU_SY_EESZ_S10_S11_S12_S16_S17_S18_S1B_S1C_jS1D_jS1E_S1E_jjS1G_bEUljE0_EEESZ_S10_S11_S18_S1C_S1E_T6_T7_T9_mT8_S1G_bDpT10_ENKUlT_T0_E_clISt17integral_constantIbLb1EES1U_EEDaS1P_S1Q_EUlS1P_E_NS1_11comp_targetILNS1_3genE5ELNS1_11target_archE942ELNS1_3gpuE9ELNS1_3repE0EEENS1_30default_config_static_selectorELNS0_4arch9wavefront6targetE0EEEvS12_,comdat
	.globl	_ZN7rocprim17ROCPRIM_400000_NS6detail17trampoline_kernelINS0_13select_configILj256ELj13ELNS0_17block_load_methodE3ELS4_3ELS4_3ELNS0_20block_scan_algorithmE0ELj4294967295EEENS1_25partition_config_selectorILNS1_17partition_subalgoE4EjNS0_10empty_typeEbEEZZNS1_14partition_implILS8_4ELb0ES6_15HIP_vector_typeIjLj2EENS0_17counting_iteratorIjlEEPS9_SG_NS0_5tupleIJPjSI_NS0_16reverse_iteratorISI_EEEEENSH_IJSG_SG_SG_EEES9_SI_JZNS1_25segmented_radix_sort_implINS0_14default_configELb0EPKhPhPKlPlN2at6native12_GLOBAL__N_18offset_tEEE10hipError_tPvRmT1_PNSt15iterator_traitsIS12_E10value_typeET2_T3_PNS13_IS18_E10value_typeET4_jRbjT5_S1E_jjP12ihipStream_tbEUljE_ZNSN_ISO_Lb0ESQ_SR_ST_SU_SY_EESZ_S10_S11_S12_S16_S17_S18_S1B_S1C_jS1D_jS1E_S1E_jjS1G_bEUljE0_EEESZ_S10_S11_S18_S1C_S1E_T6_T7_T9_mT8_S1G_bDpT10_ENKUlT_T0_E_clISt17integral_constantIbLb1EES1U_EEDaS1P_S1Q_EUlS1P_E_NS1_11comp_targetILNS1_3genE5ELNS1_11target_archE942ELNS1_3gpuE9ELNS1_3repE0EEENS1_30default_config_static_selectorELNS0_4arch9wavefront6targetE0EEEvS12_ ; -- Begin function _ZN7rocprim17ROCPRIM_400000_NS6detail17trampoline_kernelINS0_13select_configILj256ELj13ELNS0_17block_load_methodE3ELS4_3ELS4_3ELNS0_20block_scan_algorithmE0ELj4294967295EEENS1_25partition_config_selectorILNS1_17partition_subalgoE4EjNS0_10empty_typeEbEEZZNS1_14partition_implILS8_4ELb0ES6_15HIP_vector_typeIjLj2EENS0_17counting_iteratorIjlEEPS9_SG_NS0_5tupleIJPjSI_NS0_16reverse_iteratorISI_EEEEENSH_IJSG_SG_SG_EEES9_SI_JZNS1_25segmented_radix_sort_implINS0_14default_configELb0EPKhPhPKlPlN2at6native12_GLOBAL__N_18offset_tEEE10hipError_tPvRmT1_PNSt15iterator_traitsIS12_E10value_typeET2_T3_PNS13_IS18_E10value_typeET4_jRbjT5_S1E_jjP12ihipStream_tbEUljE_ZNSN_ISO_Lb0ESQ_SR_ST_SU_SY_EESZ_S10_S11_S12_S16_S17_S18_S1B_S1C_jS1D_jS1E_S1E_jjS1G_bEUljE0_EEESZ_S10_S11_S18_S1C_S1E_T6_T7_T9_mT8_S1G_bDpT10_ENKUlT_T0_E_clISt17integral_constantIbLb1EES1U_EEDaS1P_S1Q_EUlS1P_E_NS1_11comp_targetILNS1_3genE5ELNS1_11target_archE942ELNS1_3gpuE9ELNS1_3repE0EEENS1_30default_config_static_selectorELNS0_4arch9wavefront6targetE0EEEvS12_
	.p2align	8
	.type	_ZN7rocprim17ROCPRIM_400000_NS6detail17trampoline_kernelINS0_13select_configILj256ELj13ELNS0_17block_load_methodE3ELS4_3ELS4_3ELNS0_20block_scan_algorithmE0ELj4294967295EEENS1_25partition_config_selectorILNS1_17partition_subalgoE4EjNS0_10empty_typeEbEEZZNS1_14partition_implILS8_4ELb0ES6_15HIP_vector_typeIjLj2EENS0_17counting_iteratorIjlEEPS9_SG_NS0_5tupleIJPjSI_NS0_16reverse_iteratorISI_EEEEENSH_IJSG_SG_SG_EEES9_SI_JZNS1_25segmented_radix_sort_implINS0_14default_configELb0EPKhPhPKlPlN2at6native12_GLOBAL__N_18offset_tEEE10hipError_tPvRmT1_PNSt15iterator_traitsIS12_E10value_typeET2_T3_PNS13_IS18_E10value_typeET4_jRbjT5_S1E_jjP12ihipStream_tbEUljE_ZNSN_ISO_Lb0ESQ_SR_ST_SU_SY_EESZ_S10_S11_S12_S16_S17_S18_S1B_S1C_jS1D_jS1E_S1E_jjS1G_bEUljE0_EEESZ_S10_S11_S18_S1C_S1E_T6_T7_T9_mT8_S1G_bDpT10_ENKUlT_T0_E_clISt17integral_constantIbLb1EES1U_EEDaS1P_S1Q_EUlS1P_E_NS1_11comp_targetILNS1_3genE5ELNS1_11target_archE942ELNS1_3gpuE9ELNS1_3repE0EEENS1_30default_config_static_selectorELNS0_4arch9wavefront6targetE0EEEvS12_,@function
_ZN7rocprim17ROCPRIM_400000_NS6detail17trampoline_kernelINS0_13select_configILj256ELj13ELNS0_17block_load_methodE3ELS4_3ELS4_3ELNS0_20block_scan_algorithmE0ELj4294967295EEENS1_25partition_config_selectorILNS1_17partition_subalgoE4EjNS0_10empty_typeEbEEZZNS1_14partition_implILS8_4ELb0ES6_15HIP_vector_typeIjLj2EENS0_17counting_iteratorIjlEEPS9_SG_NS0_5tupleIJPjSI_NS0_16reverse_iteratorISI_EEEEENSH_IJSG_SG_SG_EEES9_SI_JZNS1_25segmented_radix_sort_implINS0_14default_configELb0EPKhPhPKlPlN2at6native12_GLOBAL__N_18offset_tEEE10hipError_tPvRmT1_PNSt15iterator_traitsIS12_E10value_typeET2_T3_PNS13_IS18_E10value_typeET4_jRbjT5_S1E_jjP12ihipStream_tbEUljE_ZNSN_ISO_Lb0ESQ_SR_ST_SU_SY_EESZ_S10_S11_S12_S16_S17_S18_S1B_S1C_jS1D_jS1E_S1E_jjS1G_bEUljE0_EEESZ_S10_S11_S18_S1C_S1E_T6_T7_T9_mT8_S1G_bDpT10_ENKUlT_T0_E_clISt17integral_constantIbLb1EES1U_EEDaS1P_S1Q_EUlS1P_E_NS1_11comp_targetILNS1_3genE5ELNS1_11target_archE942ELNS1_3gpuE9ELNS1_3repE0EEENS1_30default_config_static_selectorELNS0_4arch9wavefront6targetE0EEEvS12_: ; @_ZN7rocprim17ROCPRIM_400000_NS6detail17trampoline_kernelINS0_13select_configILj256ELj13ELNS0_17block_load_methodE3ELS4_3ELS4_3ELNS0_20block_scan_algorithmE0ELj4294967295EEENS1_25partition_config_selectorILNS1_17partition_subalgoE4EjNS0_10empty_typeEbEEZZNS1_14partition_implILS8_4ELb0ES6_15HIP_vector_typeIjLj2EENS0_17counting_iteratorIjlEEPS9_SG_NS0_5tupleIJPjSI_NS0_16reverse_iteratorISI_EEEEENSH_IJSG_SG_SG_EEES9_SI_JZNS1_25segmented_radix_sort_implINS0_14default_configELb0EPKhPhPKlPlN2at6native12_GLOBAL__N_18offset_tEEE10hipError_tPvRmT1_PNSt15iterator_traitsIS12_E10value_typeET2_T3_PNS13_IS18_E10value_typeET4_jRbjT5_S1E_jjP12ihipStream_tbEUljE_ZNSN_ISO_Lb0ESQ_SR_ST_SU_SY_EESZ_S10_S11_S12_S16_S17_S18_S1B_S1C_jS1D_jS1E_S1E_jjS1G_bEUljE0_EEESZ_S10_S11_S18_S1C_S1E_T6_T7_T9_mT8_S1G_bDpT10_ENKUlT_T0_E_clISt17integral_constantIbLb1EES1U_EEDaS1P_S1Q_EUlS1P_E_NS1_11comp_targetILNS1_3genE5ELNS1_11target_archE942ELNS1_3gpuE9ELNS1_3repE0EEENS1_30default_config_static_selectorELNS0_4arch9wavefront6targetE0EEEvS12_
; %bb.0:
	.section	.rodata,"a",@progbits
	.p2align	6, 0x0
	.amdhsa_kernel _ZN7rocprim17ROCPRIM_400000_NS6detail17trampoline_kernelINS0_13select_configILj256ELj13ELNS0_17block_load_methodE3ELS4_3ELS4_3ELNS0_20block_scan_algorithmE0ELj4294967295EEENS1_25partition_config_selectorILNS1_17partition_subalgoE4EjNS0_10empty_typeEbEEZZNS1_14partition_implILS8_4ELb0ES6_15HIP_vector_typeIjLj2EENS0_17counting_iteratorIjlEEPS9_SG_NS0_5tupleIJPjSI_NS0_16reverse_iteratorISI_EEEEENSH_IJSG_SG_SG_EEES9_SI_JZNS1_25segmented_radix_sort_implINS0_14default_configELb0EPKhPhPKlPlN2at6native12_GLOBAL__N_18offset_tEEE10hipError_tPvRmT1_PNSt15iterator_traitsIS12_E10value_typeET2_T3_PNS13_IS18_E10value_typeET4_jRbjT5_S1E_jjP12ihipStream_tbEUljE_ZNSN_ISO_Lb0ESQ_SR_ST_SU_SY_EESZ_S10_S11_S12_S16_S17_S18_S1B_S1C_jS1D_jS1E_S1E_jjS1G_bEUljE0_EEESZ_S10_S11_S18_S1C_S1E_T6_T7_T9_mT8_S1G_bDpT10_ENKUlT_T0_E_clISt17integral_constantIbLb1EES1U_EEDaS1P_S1Q_EUlS1P_E_NS1_11comp_targetILNS1_3genE5ELNS1_11target_archE942ELNS1_3gpuE9ELNS1_3repE0EEENS1_30default_config_static_selectorELNS0_4arch9wavefront6targetE0EEEvS12_
		.amdhsa_group_segment_fixed_size 0
		.amdhsa_private_segment_fixed_size 0
		.amdhsa_kernarg_size 184
		.amdhsa_user_sgpr_count 15
		.amdhsa_user_sgpr_dispatch_ptr 0
		.amdhsa_user_sgpr_queue_ptr 0
		.amdhsa_user_sgpr_kernarg_segment_ptr 1
		.amdhsa_user_sgpr_dispatch_id 0
		.amdhsa_user_sgpr_private_segment_size 0
		.amdhsa_wavefront_size32 1
		.amdhsa_uses_dynamic_stack 0
		.amdhsa_enable_private_segment 0
		.amdhsa_system_sgpr_workgroup_id_x 1
		.amdhsa_system_sgpr_workgroup_id_y 0
		.amdhsa_system_sgpr_workgroup_id_z 0
		.amdhsa_system_sgpr_workgroup_info 0
		.amdhsa_system_vgpr_workitem_id 0
		.amdhsa_next_free_vgpr 1
		.amdhsa_next_free_sgpr 1
		.amdhsa_reserve_vcc 0
		.amdhsa_float_round_mode_32 0
		.amdhsa_float_round_mode_16_64 0
		.amdhsa_float_denorm_mode_32 3
		.amdhsa_float_denorm_mode_16_64 3
		.amdhsa_dx10_clamp 1
		.amdhsa_ieee_mode 1
		.amdhsa_fp16_overflow 0
		.amdhsa_workgroup_processor_mode 1
		.amdhsa_memory_ordered 1
		.amdhsa_forward_progress 0
		.amdhsa_shared_vgpr_count 0
		.amdhsa_exception_fp_ieee_invalid_op 0
		.amdhsa_exception_fp_denorm_src 0
		.amdhsa_exception_fp_ieee_div_zero 0
		.amdhsa_exception_fp_ieee_overflow 0
		.amdhsa_exception_fp_ieee_underflow 0
		.amdhsa_exception_fp_ieee_inexact 0
		.amdhsa_exception_int_div_zero 0
	.end_amdhsa_kernel
	.section	.text._ZN7rocprim17ROCPRIM_400000_NS6detail17trampoline_kernelINS0_13select_configILj256ELj13ELNS0_17block_load_methodE3ELS4_3ELS4_3ELNS0_20block_scan_algorithmE0ELj4294967295EEENS1_25partition_config_selectorILNS1_17partition_subalgoE4EjNS0_10empty_typeEbEEZZNS1_14partition_implILS8_4ELb0ES6_15HIP_vector_typeIjLj2EENS0_17counting_iteratorIjlEEPS9_SG_NS0_5tupleIJPjSI_NS0_16reverse_iteratorISI_EEEEENSH_IJSG_SG_SG_EEES9_SI_JZNS1_25segmented_radix_sort_implINS0_14default_configELb0EPKhPhPKlPlN2at6native12_GLOBAL__N_18offset_tEEE10hipError_tPvRmT1_PNSt15iterator_traitsIS12_E10value_typeET2_T3_PNS13_IS18_E10value_typeET4_jRbjT5_S1E_jjP12ihipStream_tbEUljE_ZNSN_ISO_Lb0ESQ_SR_ST_SU_SY_EESZ_S10_S11_S12_S16_S17_S18_S1B_S1C_jS1D_jS1E_S1E_jjS1G_bEUljE0_EEESZ_S10_S11_S18_S1C_S1E_T6_T7_T9_mT8_S1G_bDpT10_ENKUlT_T0_E_clISt17integral_constantIbLb1EES1U_EEDaS1P_S1Q_EUlS1P_E_NS1_11comp_targetILNS1_3genE5ELNS1_11target_archE942ELNS1_3gpuE9ELNS1_3repE0EEENS1_30default_config_static_selectorELNS0_4arch9wavefront6targetE0EEEvS12_,"axG",@progbits,_ZN7rocprim17ROCPRIM_400000_NS6detail17trampoline_kernelINS0_13select_configILj256ELj13ELNS0_17block_load_methodE3ELS4_3ELS4_3ELNS0_20block_scan_algorithmE0ELj4294967295EEENS1_25partition_config_selectorILNS1_17partition_subalgoE4EjNS0_10empty_typeEbEEZZNS1_14partition_implILS8_4ELb0ES6_15HIP_vector_typeIjLj2EENS0_17counting_iteratorIjlEEPS9_SG_NS0_5tupleIJPjSI_NS0_16reverse_iteratorISI_EEEEENSH_IJSG_SG_SG_EEES9_SI_JZNS1_25segmented_radix_sort_implINS0_14default_configELb0EPKhPhPKlPlN2at6native12_GLOBAL__N_18offset_tEEE10hipError_tPvRmT1_PNSt15iterator_traitsIS12_E10value_typeET2_T3_PNS13_IS18_E10value_typeET4_jRbjT5_S1E_jjP12ihipStream_tbEUljE_ZNSN_ISO_Lb0ESQ_SR_ST_SU_SY_EESZ_S10_S11_S12_S16_S17_S18_S1B_S1C_jS1D_jS1E_S1E_jjS1G_bEUljE0_EEESZ_S10_S11_S18_S1C_S1E_T6_T7_T9_mT8_S1G_bDpT10_ENKUlT_T0_E_clISt17integral_constantIbLb1EES1U_EEDaS1P_S1Q_EUlS1P_E_NS1_11comp_targetILNS1_3genE5ELNS1_11target_archE942ELNS1_3gpuE9ELNS1_3repE0EEENS1_30default_config_static_selectorELNS0_4arch9wavefront6targetE0EEEvS12_,comdat
.Lfunc_end131:
	.size	_ZN7rocprim17ROCPRIM_400000_NS6detail17trampoline_kernelINS0_13select_configILj256ELj13ELNS0_17block_load_methodE3ELS4_3ELS4_3ELNS0_20block_scan_algorithmE0ELj4294967295EEENS1_25partition_config_selectorILNS1_17partition_subalgoE4EjNS0_10empty_typeEbEEZZNS1_14partition_implILS8_4ELb0ES6_15HIP_vector_typeIjLj2EENS0_17counting_iteratorIjlEEPS9_SG_NS0_5tupleIJPjSI_NS0_16reverse_iteratorISI_EEEEENSH_IJSG_SG_SG_EEES9_SI_JZNS1_25segmented_radix_sort_implINS0_14default_configELb0EPKhPhPKlPlN2at6native12_GLOBAL__N_18offset_tEEE10hipError_tPvRmT1_PNSt15iterator_traitsIS12_E10value_typeET2_T3_PNS13_IS18_E10value_typeET4_jRbjT5_S1E_jjP12ihipStream_tbEUljE_ZNSN_ISO_Lb0ESQ_SR_ST_SU_SY_EESZ_S10_S11_S12_S16_S17_S18_S1B_S1C_jS1D_jS1E_S1E_jjS1G_bEUljE0_EEESZ_S10_S11_S18_S1C_S1E_T6_T7_T9_mT8_S1G_bDpT10_ENKUlT_T0_E_clISt17integral_constantIbLb1EES1U_EEDaS1P_S1Q_EUlS1P_E_NS1_11comp_targetILNS1_3genE5ELNS1_11target_archE942ELNS1_3gpuE9ELNS1_3repE0EEENS1_30default_config_static_selectorELNS0_4arch9wavefront6targetE0EEEvS12_, .Lfunc_end131-_ZN7rocprim17ROCPRIM_400000_NS6detail17trampoline_kernelINS0_13select_configILj256ELj13ELNS0_17block_load_methodE3ELS4_3ELS4_3ELNS0_20block_scan_algorithmE0ELj4294967295EEENS1_25partition_config_selectorILNS1_17partition_subalgoE4EjNS0_10empty_typeEbEEZZNS1_14partition_implILS8_4ELb0ES6_15HIP_vector_typeIjLj2EENS0_17counting_iteratorIjlEEPS9_SG_NS0_5tupleIJPjSI_NS0_16reverse_iteratorISI_EEEEENSH_IJSG_SG_SG_EEES9_SI_JZNS1_25segmented_radix_sort_implINS0_14default_configELb0EPKhPhPKlPlN2at6native12_GLOBAL__N_18offset_tEEE10hipError_tPvRmT1_PNSt15iterator_traitsIS12_E10value_typeET2_T3_PNS13_IS18_E10value_typeET4_jRbjT5_S1E_jjP12ihipStream_tbEUljE_ZNSN_ISO_Lb0ESQ_SR_ST_SU_SY_EESZ_S10_S11_S12_S16_S17_S18_S1B_S1C_jS1D_jS1E_S1E_jjS1G_bEUljE0_EEESZ_S10_S11_S18_S1C_S1E_T6_T7_T9_mT8_S1G_bDpT10_ENKUlT_T0_E_clISt17integral_constantIbLb1EES1U_EEDaS1P_S1Q_EUlS1P_E_NS1_11comp_targetILNS1_3genE5ELNS1_11target_archE942ELNS1_3gpuE9ELNS1_3repE0EEENS1_30default_config_static_selectorELNS0_4arch9wavefront6targetE0EEEvS12_
                                        ; -- End function
	.section	.AMDGPU.csdata,"",@progbits
; Kernel info:
; codeLenInByte = 0
; NumSgprs: 0
; NumVgprs: 0
; ScratchSize: 0
; MemoryBound: 0
; FloatMode: 240
; IeeeMode: 1
; LDSByteSize: 0 bytes/workgroup (compile time only)
; SGPRBlocks: 0
; VGPRBlocks: 0
; NumSGPRsForWavesPerEU: 1
; NumVGPRsForWavesPerEU: 1
; Occupancy: 16
; WaveLimiterHint : 0
; COMPUTE_PGM_RSRC2:SCRATCH_EN: 0
; COMPUTE_PGM_RSRC2:USER_SGPR: 15
; COMPUTE_PGM_RSRC2:TRAP_HANDLER: 0
; COMPUTE_PGM_RSRC2:TGID_X_EN: 1
; COMPUTE_PGM_RSRC2:TGID_Y_EN: 0
; COMPUTE_PGM_RSRC2:TGID_Z_EN: 0
; COMPUTE_PGM_RSRC2:TIDIG_COMP_CNT: 0
	.section	.text._ZN7rocprim17ROCPRIM_400000_NS6detail17trampoline_kernelINS0_13select_configILj256ELj13ELNS0_17block_load_methodE3ELS4_3ELS4_3ELNS0_20block_scan_algorithmE0ELj4294967295EEENS1_25partition_config_selectorILNS1_17partition_subalgoE4EjNS0_10empty_typeEbEEZZNS1_14partition_implILS8_4ELb0ES6_15HIP_vector_typeIjLj2EENS0_17counting_iteratorIjlEEPS9_SG_NS0_5tupleIJPjSI_NS0_16reverse_iteratorISI_EEEEENSH_IJSG_SG_SG_EEES9_SI_JZNS1_25segmented_radix_sort_implINS0_14default_configELb0EPKhPhPKlPlN2at6native12_GLOBAL__N_18offset_tEEE10hipError_tPvRmT1_PNSt15iterator_traitsIS12_E10value_typeET2_T3_PNS13_IS18_E10value_typeET4_jRbjT5_S1E_jjP12ihipStream_tbEUljE_ZNSN_ISO_Lb0ESQ_SR_ST_SU_SY_EESZ_S10_S11_S12_S16_S17_S18_S1B_S1C_jS1D_jS1E_S1E_jjS1G_bEUljE0_EEESZ_S10_S11_S18_S1C_S1E_T6_T7_T9_mT8_S1G_bDpT10_ENKUlT_T0_E_clISt17integral_constantIbLb1EES1U_EEDaS1P_S1Q_EUlS1P_E_NS1_11comp_targetILNS1_3genE4ELNS1_11target_archE910ELNS1_3gpuE8ELNS1_3repE0EEENS1_30default_config_static_selectorELNS0_4arch9wavefront6targetE0EEEvS12_,"axG",@progbits,_ZN7rocprim17ROCPRIM_400000_NS6detail17trampoline_kernelINS0_13select_configILj256ELj13ELNS0_17block_load_methodE3ELS4_3ELS4_3ELNS0_20block_scan_algorithmE0ELj4294967295EEENS1_25partition_config_selectorILNS1_17partition_subalgoE4EjNS0_10empty_typeEbEEZZNS1_14partition_implILS8_4ELb0ES6_15HIP_vector_typeIjLj2EENS0_17counting_iteratorIjlEEPS9_SG_NS0_5tupleIJPjSI_NS0_16reverse_iteratorISI_EEEEENSH_IJSG_SG_SG_EEES9_SI_JZNS1_25segmented_radix_sort_implINS0_14default_configELb0EPKhPhPKlPlN2at6native12_GLOBAL__N_18offset_tEEE10hipError_tPvRmT1_PNSt15iterator_traitsIS12_E10value_typeET2_T3_PNS13_IS18_E10value_typeET4_jRbjT5_S1E_jjP12ihipStream_tbEUljE_ZNSN_ISO_Lb0ESQ_SR_ST_SU_SY_EESZ_S10_S11_S12_S16_S17_S18_S1B_S1C_jS1D_jS1E_S1E_jjS1G_bEUljE0_EEESZ_S10_S11_S18_S1C_S1E_T6_T7_T9_mT8_S1G_bDpT10_ENKUlT_T0_E_clISt17integral_constantIbLb1EES1U_EEDaS1P_S1Q_EUlS1P_E_NS1_11comp_targetILNS1_3genE4ELNS1_11target_archE910ELNS1_3gpuE8ELNS1_3repE0EEENS1_30default_config_static_selectorELNS0_4arch9wavefront6targetE0EEEvS12_,comdat
	.globl	_ZN7rocprim17ROCPRIM_400000_NS6detail17trampoline_kernelINS0_13select_configILj256ELj13ELNS0_17block_load_methodE3ELS4_3ELS4_3ELNS0_20block_scan_algorithmE0ELj4294967295EEENS1_25partition_config_selectorILNS1_17partition_subalgoE4EjNS0_10empty_typeEbEEZZNS1_14partition_implILS8_4ELb0ES6_15HIP_vector_typeIjLj2EENS0_17counting_iteratorIjlEEPS9_SG_NS0_5tupleIJPjSI_NS0_16reverse_iteratorISI_EEEEENSH_IJSG_SG_SG_EEES9_SI_JZNS1_25segmented_radix_sort_implINS0_14default_configELb0EPKhPhPKlPlN2at6native12_GLOBAL__N_18offset_tEEE10hipError_tPvRmT1_PNSt15iterator_traitsIS12_E10value_typeET2_T3_PNS13_IS18_E10value_typeET4_jRbjT5_S1E_jjP12ihipStream_tbEUljE_ZNSN_ISO_Lb0ESQ_SR_ST_SU_SY_EESZ_S10_S11_S12_S16_S17_S18_S1B_S1C_jS1D_jS1E_S1E_jjS1G_bEUljE0_EEESZ_S10_S11_S18_S1C_S1E_T6_T7_T9_mT8_S1G_bDpT10_ENKUlT_T0_E_clISt17integral_constantIbLb1EES1U_EEDaS1P_S1Q_EUlS1P_E_NS1_11comp_targetILNS1_3genE4ELNS1_11target_archE910ELNS1_3gpuE8ELNS1_3repE0EEENS1_30default_config_static_selectorELNS0_4arch9wavefront6targetE0EEEvS12_ ; -- Begin function _ZN7rocprim17ROCPRIM_400000_NS6detail17trampoline_kernelINS0_13select_configILj256ELj13ELNS0_17block_load_methodE3ELS4_3ELS4_3ELNS0_20block_scan_algorithmE0ELj4294967295EEENS1_25partition_config_selectorILNS1_17partition_subalgoE4EjNS0_10empty_typeEbEEZZNS1_14partition_implILS8_4ELb0ES6_15HIP_vector_typeIjLj2EENS0_17counting_iteratorIjlEEPS9_SG_NS0_5tupleIJPjSI_NS0_16reverse_iteratorISI_EEEEENSH_IJSG_SG_SG_EEES9_SI_JZNS1_25segmented_radix_sort_implINS0_14default_configELb0EPKhPhPKlPlN2at6native12_GLOBAL__N_18offset_tEEE10hipError_tPvRmT1_PNSt15iterator_traitsIS12_E10value_typeET2_T3_PNS13_IS18_E10value_typeET4_jRbjT5_S1E_jjP12ihipStream_tbEUljE_ZNSN_ISO_Lb0ESQ_SR_ST_SU_SY_EESZ_S10_S11_S12_S16_S17_S18_S1B_S1C_jS1D_jS1E_S1E_jjS1G_bEUljE0_EEESZ_S10_S11_S18_S1C_S1E_T6_T7_T9_mT8_S1G_bDpT10_ENKUlT_T0_E_clISt17integral_constantIbLb1EES1U_EEDaS1P_S1Q_EUlS1P_E_NS1_11comp_targetILNS1_3genE4ELNS1_11target_archE910ELNS1_3gpuE8ELNS1_3repE0EEENS1_30default_config_static_selectorELNS0_4arch9wavefront6targetE0EEEvS12_
	.p2align	8
	.type	_ZN7rocprim17ROCPRIM_400000_NS6detail17trampoline_kernelINS0_13select_configILj256ELj13ELNS0_17block_load_methodE3ELS4_3ELS4_3ELNS0_20block_scan_algorithmE0ELj4294967295EEENS1_25partition_config_selectorILNS1_17partition_subalgoE4EjNS0_10empty_typeEbEEZZNS1_14partition_implILS8_4ELb0ES6_15HIP_vector_typeIjLj2EENS0_17counting_iteratorIjlEEPS9_SG_NS0_5tupleIJPjSI_NS0_16reverse_iteratorISI_EEEEENSH_IJSG_SG_SG_EEES9_SI_JZNS1_25segmented_radix_sort_implINS0_14default_configELb0EPKhPhPKlPlN2at6native12_GLOBAL__N_18offset_tEEE10hipError_tPvRmT1_PNSt15iterator_traitsIS12_E10value_typeET2_T3_PNS13_IS18_E10value_typeET4_jRbjT5_S1E_jjP12ihipStream_tbEUljE_ZNSN_ISO_Lb0ESQ_SR_ST_SU_SY_EESZ_S10_S11_S12_S16_S17_S18_S1B_S1C_jS1D_jS1E_S1E_jjS1G_bEUljE0_EEESZ_S10_S11_S18_S1C_S1E_T6_T7_T9_mT8_S1G_bDpT10_ENKUlT_T0_E_clISt17integral_constantIbLb1EES1U_EEDaS1P_S1Q_EUlS1P_E_NS1_11comp_targetILNS1_3genE4ELNS1_11target_archE910ELNS1_3gpuE8ELNS1_3repE0EEENS1_30default_config_static_selectorELNS0_4arch9wavefront6targetE0EEEvS12_,@function
_ZN7rocprim17ROCPRIM_400000_NS6detail17trampoline_kernelINS0_13select_configILj256ELj13ELNS0_17block_load_methodE3ELS4_3ELS4_3ELNS0_20block_scan_algorithmE0ELj4294967295EEENS1_25partition_config_selectorILNS1_17partition_subalgoE4EjNS0_10empty_typeEbEEZZNS1_14partition_implILS8_4ELb0ES6_15HIP_vector_typeIjLj2EENS0_17counting_iteratorIjlEEPS9_SG_NS0_5tupleIJPjSI_NS0_16reverse_iteratorISI_EEEEENSH_IJSG_SG_SG_EEES9_SI_JZNS1_25segmented_radix_sort_implINS0_14default_configELb0EPKhPhPKlPlN2at6native12_GLOBAL__N_18offset_tEEE10hipError_tPvRmT1_PNSt15iterator_traitsIS12_E10value_typeET2_T3_PNS13_IS18_E10value_typeET4_jRbjT5_S1E_jjP12ihipStream_tbEUljE_ZNSN_ISO_Lb0ESQ_SR_ST_SU_SY_EESZ_S10_S11_S12_S16_S17_S18_S1B_S1C_jS1D_jS1E_S1E_jjS1G_bEUljE0_EEESZ_S10_S11_S18_S1C_S1E_T6_T7_T9_mT8_S1G_bDpT10_ENKUlT_T0_E_clISt17integral_constantIbLb1EES1U_EEDaS1P_S1Q_EUlS1P_E_NS1_11comp_targetILNS1_3genE4ELNS1_11target_archE910ELNS1_3gpuE8ELNS1_3repE0EEENS1_30default_config_static_selectorELNS0_4arch9wavefront6targetE0EEEvS12_: ; @_ZN7rocprim17ROCPRIM_400000_NS6detail17trampoline_kernelINS0_13select_configILj256ELj13ELNS0_17block_load_methodE3ELS4_3ELS4_3ELNS0_20block_scan_algorithmE0ELj4294967295EEENS1_25partition_config_selectorILNS1_17partition_subalgoE4EjNS0_10empty_typeEbEEZZNS1_14partition_implILS8_4ELb0ES6_15HIP_vector_typeIjLj2EENS0_17counting_iteratorIjlEEPS9_SG_NS0_5tupleIJPjSI_NS0_16reverse_iteratorISI_EEEEENSH_IJSG_SG_SG_EEES9_SI_JZNS1_25segmented_radix_sort_implINS0_14default_configELb0EPKhPhPKlPlN2at6native12_GLOBAL__N_18offset_tEEE10hipError_tPvRmT1_PNSt15iterator_traitsIS12_E10value_typeET2_T3_PNS13_IS18_E10value_typeET4_jRbjT5_S1E_jjP12ihipStream_tbEUljE_ZNSN_ISO_Lb0ESQ_SR_ST_SU_SY_EESZ_S10_S11_S12_S16_S17_S18_S1B_S1C_jS1D_jS1E_S1E_jjS1G_bEUljE0_EEESZ_S10_S11_S18_S1C_S1E_T6_T7_T9_mT8_S1G_bDpT10_ENKUlT_T0_E_clISt17integral_constantIbLb1EES1U_EEDaS1P_S1Q_EUlS1P_E_NS1_11comp_targetILNS1_3genE4ELNS1_11target_archE910ELNS1_3gpuE8ELNS1_3repE0EEENS1_30default_config_static_selectorELNS0_4arch9wavefront6targetE0EEEvS12_
; %bb.0:
	.section	.rodata,"a",@progbits
	.p2align	6, 0x0
	.amdhsa_kernel _ZN7rocprim17ROCPRIM_400000_NS6detail17trampoline_kernelINS0_13select_configILj256ELj13ELNS0_17block_load_methodE3ELS4_3ELS4_3ELNS0_20block_scan_algorithmE0ELj4294967295EEENS1_25partition_config_selectorILNS1_17partition_subalgoE4EjNS0_10empty_typeEbEEZZNS1_14partition_implILS8_4ELb0ES6_15HIP_vector_typeIjLj2EENS0_17counting_iteratorIjlEEPS9_SG_NS0_5tupleIJPjSI_NS0_16reverse_iteratorISI_EEEEENSH_IJSG_SG_SG_EEES9_SI_JZNS1_25segmented_radix_sort_implINS0_14default_configELb0EPKhPhPKlPlN2at6native12_GLOBAL__N_18offset_tEEE10hipError_tPvRmT1_PNSt15iterator_traitsIS12_E10value_typeET2_T3_PNS13_IS18_E10value_typeET4_jRbjT5_S1E_jjP12ihipStream_tbEUljE_ZNSN_ISO_Lb0ESQ_SR_ST_SU_SY_EESZ_S10_S11_S12_S16_S17_S18_S1B_S1C_jS1D_jS1E_S1E_jjS1G_bEUljE0_EEESZ_S10_S11_S18_S1C_S1E_T6_T7_T9_mT8_S1G_bDpT10_ENKUlT_T0_E_clISt17integral_constantIbLb1EES1U_EEDaS1P_S1Q_EUlS1P_E_NS1_11comp_targetILNS1_3genE4ELNS1_11target_archE910ELNS1_3gpuE8ELNS1_3repE0EEENS1_30default_config_static_selectorELNS0_4arch9wavefront6targetE0EEEvS12_
		.amdhsa_group_segment_fixed_size 0
		.amdhsa_private_segment_fixed_size 0
		.amdhsa_kernarg_size 184
		.amdhsa_user_sgpr_count 15
		.amdhsa_user_sgpr_dispatch_ptr 0
		.amdhsa_user_sgpr_queue_ptr 0
		.amdhsa_user_sgpr_kernarg_segment_ptr 1
		.amdhsa_user_sgpr_dispatch_id 0
		.amdhsa_user_sgpr_private_segment_size 0
		.amdhsa_wavefront_size32 1
		.amdhsa_uses_dynamic_stack 0
		.amdhsa_enable_private_segment 0
		.amdhsa_system_sgpr_workgroup_id_x 1
		.amdhsa_system_sgpr_workgroup_id_y 0
		.amdhsa_system_sgpr_workgroup_id_z 0
		.amdhsa_system_sgpr_workgroup_info 0
		.amdhsa_system_vgpr_workitem_id 0
		.amdhsa_next_free_vgpr 1
		.amdhsa_next_free_sgpr 1
		.amdhsa_reserve_vcc 0
		.amdhsa_float_round_mode_32 0
		.amdhsa_float_round_mode_16_64 0
		.amdhsa_float_denorm_mode_32 3
		.amdhsa_float_denorm_mode_16_64 3
		.amdhsa_dx10_clamp 1
		.amdhsa_ieee_mode 1
		.amdhsa_fp16_overflow 0
		.amdhsa_workgroup_processor_mode 1
		.amdhsa_memory_ordered 1
		.amdhsa_forward_progress 0
		.amdhsa_shared_vgpr_count 0
		.amdhsa_exception_fp_ieee_invalid_op 0
		.amdhsa_exception_fp_denorm_src 0
		.amdhsa_exception_fp_ieee_div_zero 0
		.amdhsa_exception_fp_ieee_overflow 0
		.amdhsa_exception_fp_ieee_underflow 0
		.amdhsa_exception_fp_ieee_inexact 0
		.amdhsa_exception_int_div_zero 0
	.end_amdhsa_kernel
	.section	.text._ZN7rocprim17ROCPRIM_400000_NS6detail17trampoline_kernelINS0_13select_configILj256ELj13ELNS0_17block_load_methodE3ELS4_3ELS4_3ELNS0_20block_scan_algorithmE0ELj4294967295EEENS1_25partition_config_selectorILNS1_17partition_subalgoE4EjNS0_10empty_typeEbEEZZNS1_14partition_implILS8_4ELb0ES6_15HIP_vector_typeIjLj2EENS0_17counting_iteratorIjlEEPS9_SG_NS0_5tupleIJPjSI_NS0_16reverse_iteratorISI_EEEEENSH_IJSG_SG_SG_EEES9_SI_JZNS1_25segmented_radix_sort_implINS0_14default_configELb0EPKhPhPKlPlN2at6native12_GLOBAL__N_18offset_tEEE10hipError_tPvRmT1_PNSt15iterator_traitsIS12_E10value_typeET2_T3_PNS13_IS18_E10value_typeET4_jRbjT5_S1E_jjP12ihipStream_tbEUljE_ZNSN_ISO_Lb0ESQ_SR_ST_SU_SY_EESZ_S10_S11_S12_S16_S17_S18_S1B_S1C_jS1D_jS1E_S1E_jjS1G_bEUljE0_EEESZ_S10_S11_S18_S1C_S1E_T6_T7_T9_mT8_S1G_bDpT10_ENKUlT_T0_E_clISt17integral_constantIbLb1EES1U_EEDaS1P_S1Q_EUlS1P_E_NS1_11comp_targetILNS1_3genE4ELNS1_11target_archE910ELNS1_3gpuE8ELNS1_3repE0EEENS1_30default_config_static_selectorELNS0_4arch9wavefront6targetE0EEEvS12_,"axG",@progbits,_ZN7rocprim17ROCPRIM_400000_NS6detail17trampoline_kernelINS0_13select_configILj256ELj13ELNS0_17block_load_methodE3ELS4_3ELS4_3ELNS0_20block_scan_algorithmE0ELj4294967295EEENS1_25partition_config_selectorILNS1_17partition_subalgoE4EjNS0_10empty_typeEbEEZZNS1_14partition_implILS8_4ELb0ES6_15HIP_vector_typeIjLj2EENS0_17counting_iteratorIjlEEPS9_SG_NS0_5tupleIJPjSI_NS0_16reverse_iteratorISI_EEEEENSH_IJSG_SG_SG_EEES9_SI_JZNS1_25segmented_radix_sort_implINS0_14default_configELb0EPKhPhPKlPlN2at6native12_GLOBAL__N_18offset_tEEE10hipError_tPvRmT1_PNSt15iterator_traitsIS12_E10value_typeET2_T3_PNS13_IS18_E10value_typeET4_jRbjT5_S1E_jjP12ihipStream_tbEUljE_ZNSN_ISO_Lb0ESQ_SR_ST_SU_SY_EESZ_S10_S11_S12_S16_S17_S18_S1B_S1C_jS1D_jS1E_S1E_jjS1G_bEUljE0_EEESZ_S10_S11_S18_S1C_S1E_T6_T7_T9_mT8_S1G_bDpT10_ENKUlT_T0_E_clISt17integral_constantIbLb1EES1U_EEDaS1P_S1Q_EUlS1P_E_NS1_11comp_targetILNS1_3genE4ELNS1_11target_archE910ELNS1_3gpuE8ELNS1_3repE0EEENS1_30default_config_static_selectorELNS0_4arch9wavefront6targetE0EEEvS12_,comdat
.Lfunc_end132:
	.size	_ZN7rocprim17ROCPRIM_400000_NS6detail17trampoline_kernelINS0_13select_configILj256ELj13ELNS0_17block_load_methodE3ELS4_3ELS4_3ELNS0_20block_scan_algorithmE0ELj4294967295EEENS1_25partition_config_selectorILNS1_17partition_subalgoE4EjNS0_10empty_typeEbEEZZNS1_14partition_implILS8_4ELb0ES6_15HIP_vector_typeIjLj2EENS0_17counting_iteratorIjlEEPS9_SG_NS0_5tupleIJPjSI_NS0_16reverse_iteratorISI_EEEEENSH_IJSG_SG_SG_EEES9_SI_JZNS1_25segmented_radix_sort_implINS0_14default_configELb0EPKhPhPKlPlN2at6native12_GLOBAL__N_18offset_tEEE10hipError_tPvRmT1_PNSt15iterator_traitsIS12_E10value_typeET2_T3_PNS13_IS18_E10value_typeET4_jRbjT5_S1E_jjP12ihipStream_tbEUljE_ZNSN_ISO_Lb0ESQ_SR_ST_SU_SY_EESZ_S10_S11_S12_S16_S17_S18_S1B_S1C_jS1D_jS1E_S1E_jjS1G_bEUljE0_EEESZ_S10_S11_S18_S1C_S1E_T6_T7_T9_mT8_S1G_bDpT10_ENKUlT_T0_E_clISt17integral_constantIbLb1EES1U_EEDaS1P_S1Q_EUlS1P_E_NS1_11comp_targetILNS1_3genE4ELNS1_11target_archE910ELNS1_3gpuE8ELNS1_3repE0EEENS1_30default_config_static_selectorELNS0_4arch9wavefront6targetE0EEEvS12_, .Lfunc_end132-_ZN7rocprim17ROCPRIM_400000_NS6detail17trampoline_kernelINS0_13select_configILj256ELj13ELNS0_17block_load_methodE3ELS4_3ELS4_3ELNS0_20block_scan_algorithmE0ELj4294967295EEENS1_25partition_config_selectorILNS1_17partition_subalgoE4EjNS0_10empty_typeEbEEZZNS1_14partition_implILS8_4ELb0ES6_15HIP_vector_typeIjLj2EENS0_17counting_iteratorIjlEEPS9_SG_NS0_5tupleIJPjSI_NS0_16reverse_iteratorISI_EEEEENSH_IJSG_SG_SG_EEES9_SI_JZNS1_25segmented_radix_sort_implINS0_14default_configELb0EPKhPhPKlPlN2at6native12_GLOBAL__N_18offset_tEEE10hipError_tPvRmT1_PNSt15iterator_traitsIS12_E10value_typeET2_T3_PNS13_IS18_E10value_typeET4_jRbjT5_S1E_jjP12ihipStream_tbEUljE_ZNSN_ISO_Lb0ESQ_SR_ST_SU_SY_EESZ_S10_S11_S12_S16_S17_S18_S1B_S1C_jS1D_jS1E_S1E_jjS1G_bEUljE0_EEESZ_S10_S11_S18_S1C_S1E_T6_T7_T9_mT8_S1G_bDpT10_ENKUlT_T0_E_clISt17integral_constantIbLb1EES1U_EEDaS1P_S1Q_EUlS1P_E_NS1_11comp_targetILNS1_3genE4ELNS1_11target_archE910ELNS1_3gpuE8ELNS1_3repE0EEENS1_30default_config_static_selectorELNS0_4arch9wavefront6targetE0EEEvS12_
                                        ; -- End function
	.section	.AMDGPU.csdata,"",@progbits
; Kernel info:
; codeLenInByte = 0
; NumSgprs: 0
; NumVgprs: 0
; ScratchSize: 0
; MemoryBound: 0
; FloatMode: 240
; IeeeMode: 1
; LDSByteSize: 0 bytes/workgroup (compile time only)
; SGPRBlocks: 0
; VGPRBlocks: 0
; NumSGPRsForWavesPerEU: 1
; NumVGPRsForWavesPerEU: 1
; Occupancy: 16
; WaveLimiterHint : 0
; COMPUTE_PGM_RSRC2:SCRATCH_EN: 0
; COMPUTE_PGM_RSRC2:USER_SGPR: 15
; COMPUTE_PGM_RSRC2:TRAP_HANDLER: 0
; COMPUTE_PGM_RSRC2:TGID_X_EN: 1
; COMPUTE_PGM_RSRC2:TGID_Y_EN: 0
; COMPUTE_PGM_RSRC2:TGID_Z_EN: 0
; COMPUTE_PGM_RSRC2:TIDIG_COMP_CNT: 0
	.section	.text._ZN7rocprim17ROCPRIM_400000_NS6detail17trampoline_kernelINS0_13select_configILj256ELj13ELNS0_17block_load_methodE3ELS4_3ELS4_3ELNS0_20block_scan_algorithmE0ELj4294967295EEENS1_25partition_config_selectorILNS1_17partition_subalgoE4EjNS0_10empty_typeEbEEZZNS1_14partition_implILS8_4ELb0ES6_15HIP_vector_typeIjLj2EENS0_17counting_iteratorIjlEEPS9_SG_NS0_5tupleIJPjSI_NS0_16reverse_iteratorISI_EEEEENSH_IJSG_SG_SG_EEES9_SI_JZNS1_25segmented_radix_sort_implINS0_14default_configELb0EPKhPhPKlPlN2at6native12_GLOBAL__N_18offset_tEEE10hipError_tPvRmT1_PNSt15iterator_traitsIS12_E10value_typeET2_T3_PNS13_IS18_E10value_typeET4_jRbjT5_S1E_jjP12ihipStream_tbEUljE_ZNSN_ISO_Lb0ESQ_SR_ST_SU_SY_EESZ_S10_S11_S12_S16_S17_S18_S1B_S1C_jS1D_jS1E_S1E_jjS1G_bEUljE0_EEESZ_S10_S11_S18_S1C_S1E_T6_T7_T9_mT8_S1G_bDpT10_ENKUlT_T0_E_clISt17integral_constantIbLb1EES1U_EEDaS1P_S1Q_EUlS1P_E_NS1_11comp_targetILNS1_3genE3ELNS1_11target_archE908ELNS1_3gpuE7ELNS1_3repE0EEENS1_30default_config_static_selectorELNS0_4arch9wavefront6targetE0EEEvS12_,"axG",@progbits,_ZN7rocprim17ROCPRIM_400000_NS6detail17trampoline_kernelINS0_13select_configILj256ELj13ELNS0_17block_load_methodE3ELS4_3ELS4_3ELNS0_20block_scan_algorithmE0ELj4294967295EEENS1_25partition_config_selectorILNS1_17partition_subalgoE4EjNS0_10empty_typeEbEEZZNS1_14partition_implILS8_4ELb0ES6_15HIP_vector_typeIjLj2EENS0_17counting_iteratorIjlEEPS9_SG_NS0_5tupleIJPjSI_NS0_16reverse_iteratorISI_EEEEENSH_IJSG_SG_SG_EEES9_SI_JZNS1_25segmented_radix_sort_implINS0_14default_configELb0EPKhPhPKlPlN2at6native12_GLOBAL__N_18offset_tEEE10hipError_tPvRmT1_PNSt15iterator_traitsIS12_E10value_typeET2_T3_PNS13_IS18_E10value_typeET4_jRbjT5_S1E_jjP12ihipStream_tbEUljE_ZNSN_ISO_Lb0ESQ_SR_ST_SU_SY_EESZ_S10_S11_S12_S16_S17_S18_S1B_S1C_jS1D_jS1E_S1E_jjS1G_bEUljE0_EEESZ_S10_S11_S18_S1C_S1E_T6_T7_T9_mT8_S1G_bDpT10_ENKUlT_T0_E_clISt17integral_constantIbLb1EES1U_EEDaS1P_S1Q_EUlS1P_E_NS1_11comp_targetILNS1_3genE3ELNS1_11target_archE908ELNS1_3gpuE7ELNS1_3repE0EEENS1_30default_config_static_selectorELNS0_4arch9wavefront6targetE0EEEvS12_,comdat
	.globl	_ZN7rocprim17ROCPRIM_400000_NS6detail17trampoline_kernelINS0_13select_configILj256ELj13ELNS0_17block_load_methodE3ELS4_3ELS4_3ELNS0_20block_scan_algorithmE0ELj4294967295EEENS1_25partition_config_selectorILNS1_17partition_subalgoE4EjNS0_10empty_typeEbEEZZNS1_14partition_implILS8_4ELb0ES6_15HIP_vector_typeIjLj2EENS0_17counting_iteratorIjlEEPS9_SG_NS0_5tupleIJPjSI_NS0_16reverse_iteratorISI_EEEEENSH_IJSG_SG_SG_EEES9_SI_JZNS1_25segmented_radix_sort_implINS0_14default_configELb0EPKhPhPKlPlN2at6native12_GLOBAL__N_18offset_tEEE10hipError_tPvRmT1_PNSt15iterator_traitsIS12_E10value_typeET2_T3_PNS13_IS18_E10value_typeET4_jRbjT5_S1E_jjP12ihipStream_tbEUljE_ZNSN_ISO_Lb0ESQ_SR_ST_SU_SY_EESZ_S10_S11_S12_S16_S17_S18_S1B_S1C_jS1D_jS1E_S1E_jjS1G_bEUljE0_EEESZ_S10_S11_S18_S1C_S1E_T6_T7_T9_mT8_S1G_bDpT10_ENKUlT_T0_E_clISt17integral_constantIbLb1EES1U_EEDaS1P_S1Q_EUlS1P_E_NS1_11comp_targetILNS1_3genE3ELNS1_11target_archE908ELNS1_3gpuE7ELNS1_3repE0EEENS1_30default_config_static_selectorELNS0_4arch9wavefront6targetE0EEEvS12_ ; -- Begin function _ZN7rocprim17ROCPRIM_400000_NS6detail17trampoline_kernelINS0_13select_configILj256ELj13ELNS0_17block_load_methodE3ELS4_3ELS4_3ELNS0_20block_scan_algorithmE0ELj4294967295EEENS1_25partition_config_selectorILNS1_17partition_subalgoE4EjNS0_10empty_typeEbEEZZNS1_14partition_implILS8_4ELb0ES6_15HIP_vector_typeIjLj2EENS0_17counting_iteratorIjlEEPS9_SG_NS0_5tupleIJPjSI_NS0_16reverse_iteratorISI_EEEEENSH_IJSG_SG_SG_EEES9_SI_JZNS1_25segmented_radix_sort_implINS0_14default_configELb0EPKhPhPKlPlN2at6native12_GLOBAL__N_18offset_tEEE10hipError_tPvRmT1_PNSt15iterator_traitsIS12_E10value_typeET2_T3_PNS13_IS18_E10value_typeET4_jRbjT5_S1E_jjP12ihipStream_tbEUljE_ZNSN_ISO_Lb0ESQ_SR_ST_SU_SY_EESZ_S10_S11_S12_S16_S17_S18_S1B_S1C_jS1D_jS1E_S1E_jjS1G_bEUljE0_EEESZ_S10_S11_S18_S1C_S1E_T6_T7_T9_mT8_S1G_bDpT10_ENKUlT_T0_E_clISt17integral_constantIbLb1EES1U_EEDaS1P_S1Q_EUlS1P_E_NS1_11comp_targetILNS1_3genE3ELNS1_11target_archE908ELNS1_3gpuE7ELNS1_3repE0EEENS1_30default_config_static_selectorELNS0_4arch9wavefront6targetE0EEEvS12_
	.p2align	8
	.type	_ZN7rocprim17ROCPRIM_400000_NS6detail17trampoline_kernelINS0_13select_configILj256ELj13ELNS0_17block_load_methodE3ELS4_3ELS4_3ELNS0_20block_scan_algorithmE0ELj4294967295EEENS1_25partition_config_selectorILNS1_17partition_subalgoE4EjNS0_10empty_typeEbEEZZNS1_14partition_implILS8_4ELb0ES6_15HIP_vector_typeIjLj2EENS0_17counting_iteratorIjlEEPS9_SG_NS0_5tupleIJPjSI_NS0_16reverse_iteratorISI_EEEEENSH_IJSG_SG_SG_EEES9_SI_JZNS1_25segmented_radix_sort_implINS0_14default_configELb0EPKhPhPKlPlN2at6native12_GLOBAL__N_18offset_tEEE10hipError_tPvRmT1_PNSt15iterator_traitsIS12_E10value_typeET2_T3_PNS13_IS18_E10value_typeET4_jRbjT5_S1E_jjP12ihipStream_tbEUljE_ZNSN_ISO_Lb0ESQ_SR_ST_SU_SY_EESZ_S10_S11_S12_S16_S17_S18_S1B_S1C_jS1D_jS1E_S1E_jjS1G_bEUljE0_EEESZ_S10_S11_S18_S1C_S1E_T6_T7_T9_mT8_S1G_bDpT10_ENKUlT_T0_E_clISt17integral_constantIbLb1EES1U_EEDaS1P_S1Q_EUlS1P_E_NS1_11comp_targetILNS1_3genE3ELNS1_11target_archE908ELNS1_3gpuE7ELNS1_3repE0EEENS1_30default_config_static_selectorELNS0_4arch9wavefront6targetE0EEEvS12_,@function
_ZN7rocprim17ROCPRIM_400000_NS6detail17trampoline_kernelINS0_13select_configILj256ELj13ELNS0_17block_load_methodE3ELS4_3ELS4_3ELNS0_20block_scan_algorithmE0ELj4294967295EEENS1_25partition_config_selectorILNS1_17partition_subalgoE4EjNS0_10empty_typeEbEEZZNS1_14partition_implILS8_4ELb0ES6_15HIP_vector_typeIjLj2EENS0_17counting_iteratorIjlEEPS9_SG_NS0_5tupleIJPjSI_NS0_16reverse_iteratorISI_EEEEENSH_IJSG_SG_SG_EEES9_SI_JZNS1_25segmented_radix_sort_implINS0_14default_configELb0EPKhPhPKlPlN2at6native12_GLOBAL__N_18offset_tEEE10hipError_tPvRmT1_PNSt15iterator_traitsIS12_E10value_typeET2_T3_PNS13_IS18_E10value_typeET4_jRbjT5_S1E_jjP12ihipStream_tbEUljE_ZNSN_ISO_Lb0ESQ_SR_ST_SU_SY_EESZ_S10_S11_S12_S16_S17_S18_S1B_S1C_jS1D_jS1E_S1E_jjS1G_bEUljE0_EEESZ_S10_S11_S18_S1C_S1E_T6_T7_T9_mT8_S1G_bDpT10_ENKUlT_T0_E_clISt17integral_constantIbLb1EES1U_EEDaS1P_S1Q_EUlS1P_E_NS1_11comp_targetILNS1_3genE3ELNS1_11target_archE908ELNS1_3gpuE7ELNS1_3repE0EEENS1_30default_config_static_selectorELNS0_4arch9wavefront6targetE0EEEvS12_: ; @_ZN7rocprim17ROCPRIM_400000_NS6detail17trampoline_kernelINS0_13select_configILj256ELj13ELNS0_17block_load_methodE3ELS4_3ELS4_3ELNS0_20block_scan_algorithmE0ELj4294967295EEENS1_25partition_config_selectorILNS1_17partition_subalgoE4EjNS0_10empty_typeEbEEZZNS1_14partition_implILS8_4ELb0ES6_15HIP_vector_typeIjLj2EENS0_17counting_iteratorIjlEEPS9_SG_NS0_5tupleIJPjSI_NS0_16reverse_iteratorISI_EEEEENSH_IJSG_SG_SG_EEES9_SI_JZNS1_25segmented_radix_sort_implINS0_14default_configELb0EPKhPhPKlPlN2at6native12_GLOBAL__N_18offset_tEEE10hipError_tPvRmT1_PNSt15iterator_traitsIS12_E10value_typeET2_T3_PNS13_IS18_E10value_typeET4_jRbjT5_S1E_jjP12ihipStream_tbEUljE_ZNSN_ISO_Lb0ESQ_SR_ST_SU_SY_EESZ_S10_S11_S12_S16_S17_S18_S1B_S1C_jS1D_jS1E_S1E_jjS1G_bEUljE0_EEESZ_S10_S11_S18_S1C_S1E_T6_T7_T9_mT8_S1G_bDpT10_ENKUlT_T0_E_clISt17integral_constantIbLb1EES1U_EEDaS1P_S1Q_EUlS1P_E_NS1_11comp_targetILNS1_3genE3ELNS1_11target_archE908ELNS1_3gpuE7ELNS1_3repE0EEENS1_30default_config_static_selectorELNS0_4arch9wavefront6targetE0EEEvS12_
; %bb.0:
	.section	.rodata,"a",@progbits
	.p2align	6, 0x0
	.amdhsa_kernel _ZN7rocprim17ROCPRIM_400000_NS6detail17trampoline_kernelINS0_13select_configILj256ELj13ELNS0_17block_load_methodE3ELS4_3ELS4_3ELNS0_20block_scan_algorithmE0ELj4294967295EEENS1_25partition_config_selectorILNS1_17partition_subalgoE4EjNS0_10empty_typeEbEEZZNS1_14partition_implILS8_4ELb0ES6_15HIP_vector_typeIjLj2EENS0_17counting_iteratorIjlEEPS9_SG_NS0_5tupleIJPjSI_NS0_16reverse_iteratorISI_EEEEENSH_IJSG_SG_SG_EEES9_SI_JZNS1_25segmented_radix_sort_implINS0_14default_configELb0EPKhPhPKlPlN2at6native12_GLOBAL__N_18offset_tEEE10hipError_tPvRmT1_PNSt15iterator_traitsIS12_E10value_typeET2_T3_PNS13_IS18_E10value_typeET4_jRbjT5_S1E_jjP12ihipStream_tbEUljE_ZNSN_ISO_Lb0ESQ_SR_ST_SU_SY_EESZ_S10_S11_S12_S16_S17_S18_S1B_S1C_jS1D_jS1E_S1E_jjS1G_bEUljE0_EEESZ_S10_S11_S18_S1C_S1E_T6_T7_T9_mT8_S1G_bDpT10_ENKUlT_T0_E_clISt17integral_constantIbLb1EES1U_EEDaS1P_S1Q_EUlS1P_E_NS1_11comp_targetILNS1_3genE3ELNS1_11target_archE908ELNS1_3gpuE7ELNS1_3repE0EEENS1_30default_config_static_selectorELNS0_4arch9wavefront6targetE0EEEvS12_
		.amdhsa_group_segment_fixed_size 0
		.amdhsa_private_segment_fixed_size 0
		.amdhsa_kernarg_size 184
		.amdhsa_user_sgpr_count 15
		.amdhsa_user_sgpr_dispatch_ptr 0
		.amdhsa_user_sgpr_queue_ptr 0
		.amdhsa_user_sgpr_kernarg_segment_ptr 1
		.amdhsa_user_sgpr_dispatch_id 0
		.amdhsa_user_sgpr_private_segment_size 0
		.amdhsa_wavefront_size32 1
		.amdhsa_uses_dynamic_stack 0
		.amdhsa_enable_private_segment 0
		.amdhsa_system_sgpr_workgroup_id_x 1
		.amdhsa_system_sgpr_workgroup_id_y 0
		.amdhsa_system_sgpr_workgroup_id_z 0
		.amdhsa_system_sgpr_workgroup_info 0
		.amdhsa_system_vgpr_workitem_id 0
		.amdhsa_next_free_vgpr 1
		.amdhsa_next_free_sgpr 1
		.amdhsa_reserve_vcc 0
		.amdhsa_float_round_mode_32 0
		.amdhsa_float_round_mode_16_64 0
		.amdhsa_float_denorm_mode_32 3
		.amdhsa_float_denorm_mode_16_64 3
		.amdhsa_dx10_clamp 1
		.amdhsa_ieee_mode 1
		.amdhsa_fp16_overflow 0
		.amdhsa_workgroup_processor_mode 1
		.amdhsa_memory_ordered 1
		.amdhsa_forward_progress 0
		.amdhsa_shared_vgpr_count 0
		.amdhsa_exception_fp_ieee_invalid_op 0
		.amdhsa_exception_fp_denorm_src 0
		.amdhsa_exception_fp_ieee_div_zero 0
		.amdhsa_exception_fp_ieee_overflow 0
		.amdhsa_exception_fp_ieee_underflow 0
		.amdhsa_exception_fp_ieee_inexact 0
		.amdhsa_exception_int_div_zero 0
	.end_amdhsa_kernel
	.section	.text._ZN7rocprim17ROCPRIM_400000_NS6detail17trampoline_kernelINS0_13select_configILj256ELj13ELNS0_17block_load_methodE3ELS4_3ELS4_3ELNS0_20block_scan_algorithmE0ELj4294967295EEENS1_25partition_config_selectorILNS1_17partition_subalgoE4EjNS0_10empty_typeEbEEZZNS1_14partition_implILS8_4ELb0ES6_15HIP_vector_typeIjLj2EENS0_17counting_iteratorIjlEEPS9_SG_NS0_5tupleIJPjSI_NS0_16reverse_iteratorISI_EEEEENSH_IJSG_SG_SG_EEES9_SI_JZNS1_25segmented_radix_sort_implINS0_14default_configELb0EPKhPhPKlPlN2at6native12_GLOBAL__N_18offset_tEEE10hipError_tPvRmT1_PNSt15iterator_traitsIS12_E10value_typeET2_T3_PNS13_IS18_E10value_typeET4_jRbjT5_S1E_jjP12ihipStream_tbEUljE_ZNSN_ISO_Lb0ESQ_SR_ST_SU_SY_EESZ_S10_S11_S12_S16_S17_S18_S1B_S1C_jS1D_jS1E_S1E_jjS1G_bEUljE0_EEESZ_S10_S11_S18_S1C_S1E_T6_T7_T9_mT8_S1G_bDpT10_ENKUlT_T0_E_clISt17integral_constantIbLb1EES1U_EEDaS1P_S1Q_EUlS1P_E_NS1_11comp_targetILNS1_3genE3ELNS1_11target_archE908ELNS1_3gpuE7ELNS1_3repE0EEENS1_30default_config_static_selectorELNS0_4arch9wavefront6targetE0EEEvS12_,"axG",@progbits,_ZN7rocprim17ROCPRIM_400000_NS6detail17trampoline_kernelINS0_13select_configILj256ELj13ELNS0_17block_load_methodE3ELS4_3ELS4_3ELNS0_20block_scan_algorithmE0ELj4294967295EEENS1_25partition_config_selectorILNS1_17partition_subalgoE4EjNS0_10empty_typeEbEEZZNS1_14partition_implILS8_4ELb0ES6_15HIP_vector_typeIjLj2EENS0_17counting_iteratorIjlEEPS9_SG_NS0_5tupleIJPjSI_NS0_16reverse_iteratorISI_EEEEENSH_IJSG_SG_SG_EEES9_SI_JZNS1_25segmented_radix_sort_implINS0_14default_configELb0EPKhPhPKlPlN2at6native12_GLOBAL__N_18offset_tEEE10hipError_tPvRmT1_PNSt15iterator_traitsIS12_E10value_typeET2_T3_PNS13_IS18_E10value_typeET4_jRbjT5_S1E_jjP12ihipStream_tbEUljE_ZNSN_ISO_Lb0ESQ_SR_ST_SU_SY_EESZ_S10_S11_S12_S16_S17_S18_S1B_S1C_jS1D_jS1E_S1E_jjS1G_bEUljE0_EEESZ_S10_S11_S18_S1C_S1E_T6_T7_T9_mT8_S1G_bDpT10_ENKUlT_T0_E_clISt17integral_constantIbLb1EES1U_EEDaS1P_S1Q_EUlS1P_E_NS1_11comp_targetILNS1_3genE3ELNS1_11target_archE908ELNS1_3gpuE7ELNS1_3repE0EEENS1_30default_config_static_selectorELNS0_4arch9wavefront6targetE0EEEvS12_,comdat
.Lfunc_end133:
	.size	_ZN7rocprim17ROCPRIM_400000_NS6detail17trampoline_kernelINS0_13select_configILj256ELj13ELNS0_17block_load_methodE3ELS4_3ELS4_3ELNS0_20block_scan_algorithmE0ELj4294967295EEENS1_25partition_config_selectorILNS1_17partition_subalgoE4EjNS0_10empty_typeEbEEZZNS1_14partition_implILS8_4ELb0ES6_15HIP_vector_typeIjLj2EENS0_17counting_iteratorIjlEEPS9_SG_NS0_5tupleIJPjSI_NS0_16reverse_iteratorISI_EEEEENSH_IJSG_SG_SG_EEES9_SI_JZNS1_25segmented_radix_sort_implINS0_14default_configELb0EPKhPhPKlPlN2at6native12_GLOBAL__N_18offset_tEEE10hipError_tPvRmT1_PNSt15iterator_traitsIS12_E10value_typeET2_T3_PNS13_IS18_E10value_typeET4_jRbjT5_S1E_jjP12ihipStream_tbEUljE_ZNSN_ISO_Lb0ESQ_SR_ST_SU_SY_EESZ_S10_S11_S12_S16_S17_S18_S1B_S1C_jS1D_jS1E_S1E_jjS1G_bEUljE0_EEESZ_S10_S11_S18_S1C_S1E_T6_T7_T9_mT8_S1G_bDpT10_ENKUlT_T0_E_clISt17integral_constantIbLb1EES1U_EEDaS1P_S1Q_EUlS1P_E_NS1_11comp_targetILNS1_3genE3ELNS1_11target_archE908ELNS1_3gpuE7ELNS1_3repE0EEENS1_30default_config_static_selectorELNS0_4arch9wavefront6targetE0EEEvS12_, .Lfunc_end133-_ZN7rocprim17ROCPRIM_400000_NS6detail17trampoline_kernelINS0_13select_configILj256ELj13ELNS0_17block_load_methodE3ELS4_3ELS4_3ELNS0_20block_scan_algorithmE0ELj4294967295EEENS1_25partition_config_selectorILNS1_17partition_subalgoE4EjNS0_10empty_typeEbEEZZNS1_14partition_implILS8_4ELb0ES6_15HIP_vector_typeIjLj2EENS0_17counting_iteratorIjlEEPS9_SG_NS0_5tupleIJPjSI_NS0_16reverse_iteratorISI_EEEEENSH_IJSG_SG_SG_EEES9_SI_JZNS1_25segmented_radix_sort_implINS0_14default_configELb0EPKhPhPKlPlN2at6native12_GLOBAL__N_18offset_tEEE10hipError_tPvRmT1_PNSt15iterator_traitsIS12_E10value_typeET2_T3_PNS13_IS18_E10value_typeET4_jRbjT5_S1E_jjP12ihipStream_tbEUljE_ZNSN_ISO_Lb0ESQ_SR_ST_SU_SY_EESZ_S10_S11_S12_S16_S17_S18_S1B_S1C_jS1D_jS1E_S1E_jjS1G_bEUljE0_EEESZ_S10_S11_S18_S1C_S1E_T6_T7_T9_mT8_S1G_bDpT10_ENKUlT_T0_E_clISt17integral_constantIbLb1EES1U_EEDaS1P_S1Q_EUlS1P_E_NS1_11comp_targetILNS1_3genE3ELNS1_11target_archE908ELNS1_3gpuE7ELNS1_3repE0EEENS1_30default_config_static_selectorELNS0_4arch9wavefront6targetE0EEEvS12_
                                        ; -- End function
	.section	.AMDGPU.csdata,"",@progbits
; Kernel info:
; codeLenInByte = 0
; NumSgprs: 0
; NumVgprs: 0
; ScratchSize: 0
; MemoryBound: 0
; FloatMode: 240
; IeeeMode: 1
; LDSByteSize: 0 bytes/workgroup (compile time only)
; SGPRBlocks: 0
; VGPRBlocks: 0
; NumSGPRsForWavesPerEU: 1
; NumVGPRsForWavesPerEU: 1
; Occupancy: 16
; WaveLimiterHint : 0
; COMPUTE_PGM_RSRC2:SCRATCH_EN: 0
; COMPUTE_PGM_RSRC2:USER_SGPR: 15
; COMPUTE_PGM_RSRC2:TRAP_HANDLER: 0
; COMPUTE_PGM_RSRC2:TGID_X_EN: 1
; COMPUTE_PGM_RSRC2:TGID_Y_EN: 0
; COMPUTE_PGM_RSRC2:TGID_Z_EN: 0
; COMPUTE_PGM_RSRC2:TIDIG_COMP_CNT: 0
	.section	.text._ZN7rocprim17ROCPRIM_400000_NS6detail17trampoline_kernelINS0_13select_configILj256ELj13ELNS0_17block_load_methodE3ELS4_3ELS4_3ELNS0_20block_scan_algorithmE0ELj4294967295EEENS1_25partition_config_selectorILNS1_17partition_subalgoE4EjNS0_10empty_typeEbEEZZNS1_14partition_implILS8_4ELb0ES6_15HIP_vector_typeIjLj2EENS0_17counting_iteratorIjlEEPS9_SG_NS0_5tupleIJPjSI_NS0_16reverse_iteratorISI_EEEEENSH_IJSG_SG_SG_EEES9_SI_JZNS1_25segmented_radix_sort_implINS0_14default_configELb0EPKhPhPKlPlN2at6native12_GLOBAL__N_18offset_tEEE10hipError_tPvRmT1_PNSt15iterator_traitsIS12_E10value_typeET2_T3_PNS13_IS18_E10value_typeET4_jRbjT5_S1E_jjP12ihipStream_tbEUljE_ZNSN_ISO_Lb0ESQ_SR_ST_SU_SY_EESZ_S10_S11_S12_S16_S17_S18_S1B_S1C_jS1D_jS1E_S1E_jjS1G_bEUljE0_EEESZ_S10_S11_S18_S1C_S1E_T6_T7_T9_mT8_S1G_bDpT10_ENKUlT_T0_E_clISt17integral_constantIbLb1EES1U_EEDaS1P_S1Q_EUlS1P_E_NS1_11comp_targetILNS1_3genE2ELNS1_11target_archE906ELNS1_3gpuE6ELNS1_3repE0EEENS1_30default_config_static_selectorELNS0_4arch9wavefront6targetE0EEEvS12_,"axG",@progbits,_ZN7rocprim17ROCPRIM_400000_NS6detail17trampoline_kernelINS0_13select_configILj256ELj13ELNS0_17block_load_methodE3ELS4_3ELS4_3ELNS0_20block_scan_algorithmE0ELj4294967295EEENS1_25partition_config_selectorILNS1_17partition_subalgoE4EjNS0_10empty_typeEbEEZZNS1_14partition_implILS8_4ELb0ES6_15HIP_vector_typeIjLj2EENS0_17counting_iteratorIjlEEPS9_SG_NS0_5tupleIJPjSI_NS0_16reverse_iteratorISI_EEEEENSH_IJSG_SG_SG_EEES9_SI_JZNS1_25segmented_radix_sort_implINS0_14default_configELb0EPKhPhPKlPlN2at6native12_GLOBAL__N_18offset_tEEE10hipError_tPvRmT1_PNSt15iterator_traitsIS12_E10value_typeET2_T3_PNS13_IS18_E10value_typeET4_jRbjT5_S1E_jjP12ihipStream_tbEUljE_ZNSN_ISO_Lb0ESQ_SR_ST_SU_SY_EESZ_S10_S11_S12_S16_S17_S18_S1B_S1C_jS1D_jS1E_S1E_jjS1G_bEUljE0_EEESZ_S10_S11_S18_S1C_S1E_T6_T7_T9_mT8_S1G_bDpT10_ENKUlT_T0_E_clISt17integral_constantIbLb1EES1U_EEDaS1P_S1Q_EUlS1P_E_NS1_11comp_targetILNS1_3genE2ELNS1_11target_archE906ELNS1_3gpuE6ELNS1_3repE0EEENS1_30default_config_static_selectorELNS0_4arch9wavefront6targetE0EEEvS12_,comdat
	.globl	_ZN7rocprim17ROCPRIM_400000_NS6detail17trampoline_kernelINS0_13select_configILj256ELj13ELNS0_17block_load_methodE3ELS4_3ELS4_3ELNS0_20block_scan_algorithmE0ELj4294967295EEENS1_25partition_config_selectorILNS1_17partition_subalgoE4EjNS0_10empty_typeEbEEZZNS1_14partition_implILS8_4ELb0ES6_15HIP_vector_typeIjLj2EENS0_17counting_iteratorIjlEEPS9_SG_NS0_5tupleIJPjSI_NS0_16reverse_iteratorISI_EEEEENSH_IJSG_SG_SG_EEES9_SI_JZNS1_25segmented_radix_sort_implINS0_14default_configELb0EPKhPhPKlPlN2at6native12_GLOBAL__N_18offset_tEEE10hipError_tPvRmT1_PNSt15iterator_traitsIS12_E10value_typeET2_T3_PNS13_IS18_E10value_typeET4_jRbjT5_S1E_jjP12ihipStream_tbEUljE_ZNSN_ISO_Lb0ESQ_SR_ST_SU_SY_EESZ_S10_S11_S12_S16_S17_S18_S1B_S1C_jS1D_jS1E_S1E_jjS1G_bEUljE0_EEESZ_S10_S11_S18_S1C_S1E_T6_T7_T9_mT8_S1G_bDpT10_ENKUlT_T0_E_clISt17integral_constantIbLb1EES1U_EEDaS1P_S1Q_EUlS1P_E_NS1_11comp_targetILNS1_3genE2ELNS1_11target_archE906ELNS1_3gpuE6ELNS1_3repE0EEENS1_30default_config_static_selectorELNS0_4arch9wavefront6targetE0EEEvS12_ ; -- Begin function _ZN7rocprim17ROCPRIM_400000_NS6detail17trampoline_kernelINS0_13select_configILj256ELj13ELNS0_17block_load_methodE3ELS4_3ELS4_3ELNS0_20block_scan_algorithmE0ELj4294967295EEENS1_25partition_config_selectorILNS1_17partition_subalgoE4EjNS0_10empty_typeEbEEZZNS1_14partition_implILS8_4ELb0ES6_15HIP_vector_typeIjLj2EENS0_17counting_iteratorIjlEEPS9_SG_NS0_5tupleIJPjSI_NS0_16reverse_iteratorISI_EEEEENSH_IJSG_SG_SG_EEES9_SI_JZNS1_25segmented_radix_sort_implINS0_14default_configELb0EPKhPhPKlPlN2at6native12_GLOBAL__N_18offset_tEEE10hipError_tPvRmT1_PNSt15iterator_traitsIS12_E10value_typeET2_T3_PNS13_IS18_E10value_typeET4_jRbjT5_S1E_jjP12ihipStream_tbEUljE_ZNSN_ISO_Lb0ESQ_SR_ST_SU_SY_EESZ_S10_S11_S12_S16_S17_S18_S1B_S1C_jS1D_jS1E_S1E_jjS1G_bEUljE0_EEESZ_S10_S11_S18_S1C_S1E_T6_T7_T9_mT8_S1G_bDpT10_ENKUlT_T0_E_clISt17integral_constantIbLb1EES1U_EEDaS1P_S1Q_EUlS1P_E_NS1_11comp_targetILNS1_3genE2ELNS1_11target_archE906ELNS1_3gpuE6ELNS1_3repE0EEENS1_30default_config_static_selectorELNS0_4arch9wavefront6targetE0EEEvS12_
	.p2align	8
	.type	_ZN7rocprim17ROCPRIM_400000_NS6detail17trampoline_kernelINS0_13select_configILj256ELj13ELNS0_17block_load_methodE3ELS4_3ELS4_3ELNS0_20block_scan_algorithmE0ELj4294967295EEENS1_25partition_config_selectorILNS1_17partition_subalgoE4EjNS0_10empty_typeEbEEZZNS1_14partition_implILS8_4ELb0ES6_15HIP_vector_typeIjLj2EENS0_17counting_iteratorIjlEEPS9_SG_NS0_5tupleIJPjSI_NS0_16reverse_iteratorISI_EEEEENSH_IJSG_SG_SG_EEES9_SI_JZNS1_25segmented_radix_sort_implINS0_14default_configELb0EPKhPhPKlPlN2at6native12_GLOBAL__N_18offset_tEEE10hipError_tPvRmT1_PNSt15iterator_traitsIS12_E10value_typeET2_T3_PNS13_IS18_E10value_typeET4_jRbjT5_S1E_jjP12ihipStream_tbEUljE_ZNSN_ISO_Lb0ESQ_SR_ST_SU_SY_EESZ_S10_S11_S12_S16_S17_S18_S1B_S1C_jS1D_jS1E_S1E_jjS1G_bEUljE0_EEESZ_S10_S11_S18_S1C_S1E_T6_T7_T9_mT8_S1G_bDpT10_ENKUlT_T0_E_clISt17integral_constantIbLb1EES1U_EEDaS1P_S1Q_EUlS1P_E_NS1_11comp_targetILNS1_3genE2ELNS1_11target_archE906ELNS1_3gpuE6ELNS1_3repE0EEENS1_30default_config_static_selectorELNS0_4arch9wavefront6targetE0EEEvS12_,@function
_ZN7rocprim17ROCPRIM_400000_NS6detail17trampoline_kernelINS0_13select_configILj256ELj13ELNS0_17block_load_methodE3ELS4_3ELS4_3ELNS0_20block_scan_algorithmE0ELj4294967295EEENS1_25partition_config_selectorILNS1_17partition_subalgoE4EjNS0_10empty_typeEbEEZZNS1_14partition_implILS8_4ELb0ES6_15HIP_vector_typeIjLj2EENS0_17counting_iteratorIjlEEPS9_SG_NS0_5tupleIJPjSI_NS0_16reverse_iteratorISI_EEEEENSH_IJSG_SG_SG_EEES9_SI_JZNS1_25segmented_radix_sort_implINS0_14default_configELb0EPKhPhPKlPlN2at6native12_GLOBAL__N_18offset_tEEE10hipError_tPvRmT1_PNSt15iterator_traitsIS12_E10value_typeET2_T3_PNS13_IS18_E10value_typeET4_jRbjT5_S1E_jjP12ihipStream_tbEUljE_ZNSN_ISO_Lb0ESQ_SR_ST_SU_SY_EESZ_S10_S11_S12_S16_S17_S18_S1B_S1C_jS1D_jS1E_S1E_jjS1G_bEUljE0_EEESZ_S10_S11_S18_S1C_S1E_T6_T7_T9_mT8_S1G_bDpT10_ENKUlT_T0_E_clISt17integral_constantIbLb1EES1U_EEDaS1P_S1Q_EUlS1P_E_NS1_11comp_targetILNS1_3genE2ELNS1_11target_archE906ELNS1_3gpuE6ELNS1_3repE0EEENS1_30default_config_static_selectorELNS0_4arch9wavefront6targetE0EEEvS12_: ; @_ZN7rocprim17ROCPRIM_400000_NS6detail17trampoline_kernelINS0_13select_configILj256ELj13ELNS0_17block_load_methodE3ELS4_3ELS4_3ELNS0_20block_scan_algorithmE0ELj4294967295EEENS1_25partition_config_selectorILNS1_17partition_subalgoE4EjNS0_10empty_typeEbEEZZNS1_14partition_implILS8_4ELb0ES6_15HIP_vector_typeIjLj2EENS0_17counting_iteratorIjlEEPS9_SG_NS0_5tupleIJPjSI_NS0_16reverse_iteratorISI_EEEEENSH_IJSG_SG_SG_EEES9_SI_JZNS1_25segmented_radix_sort_implINS0_14default_configELb0EPKhPhPKlPlN2at6native12_GLOBAL__N_18offset_tEEE10hipError_tPvRmT1_PNSt15iterator_traitsIS12_E10value_typeET2_T3_PNS13_IS18_E10value_typeET4_jRbjT5_S1E_jjP12ihipStream_tbEUljE_ZNSN_ISO_Lb0ESQ_SR_ST_SU_SY_EESZ_S10_S11_S12_S16_S17_S18_S1B_S1C_jS1D_jS1E_S1E_jjS1G_bEUljE0_EEESZ_S10_S11_S18_S1C_S1E_T6_T7_T9_mT8_S1G_bDpT10_ENKUlT_T0_E_clISt17integral_constantIbLb1EES1U_EEDaS1P_S1Q_EUlS1P_E_NS1_11comp_targetILNS1_3genE2ELNS1_11target_archE906ELNS1_3gpuE6ELNS1_3repE0EEENS1_30default_config_static_selectorELNS0_4arch9wavefront6targetE0EEEvS12_
; %bb.0:
	.section	.rodata,"a",@progbits
	.p2align	6, 0x0
	.amdhsa_kernel _ZN7rocprim17ROCPRIM_400000_NS6detail17trampoline_kernelINS0_13select_configILj256ELj13ELNS0_17block_load_methodE3ELS4_3ELS4_3ELNS0_20block_scan_algorithmE0ELj4294967295EEENS1_25partition_config_selectorILNS1_17partition_subalgoE4EjNS0_10empty_typeEbEEZZNS1_14partition_implILS8_4ELb0ES6_15HIP_vector_typeIjLj2EENS0_17counting_iteratorIjlEEPS9_SG_NS0_5tupleIJPjSI_NS0_16reverse_iteratorISI_EEEEENSH_IJSG_SG_SG_EEES9_SI_JZNS1_25segmented_radix_sort_implINS0_14default_configELb0EPKhPhPKlPlN2at6native12_GLOBAL__N_18offset_tEEE10hipError_tPvRmT1_PNSt15iterator_traitsIS12_E10value_typeET2_T3_PNS13_IS18_E10value_typeET4_jRbjT5_S1E_jjP12ihipStream_tbEUljE_ZNSN_ISO_Lb0ESQ_SR_ST_SU_SY_EESZ_S10_S11_S12_S16_S17_S18_S1B_S1C_jS1D_jS1E_S1E_jjS1G_bEUljE0_EEESZ_S10_S11_S18_S1C_S1E_T6_T7_T9_mT8_S1G_bDpT10_ENKUlT_T0_E_clISt17integral_constantIbLb1EES1U_EEDaS1P_S1Q_EUlS1P_E_NS1_11comp_targetILNS1_3genE2ELNS1_11target_archE906ELNS1_3gpuE6ELNS1_3repE0EEENS1_30default_config_static_selectorELNS0_4arch9wavefront6targetE0EEEvS12_
		.amdhsa_group_segment_fixed_size 0
		.amdhsa_private_segment_fixed_size 0
		.amdhsa_kernarg_size 184
		.amdhsa_user_sgpr_count 15
		.amdhsa_user_sgpr_dispatch_ptr 0
		.amdhsa_user_sgpr_queue_ptr 0
		.amdhsa_user_sgpr_kernarg_segment_ptr 1
		.amdhsa_user_sgpr_dispatch_id 0
		.amdhsa_user_sgpr_private_segment_size 0
		.amdhsa_wavefront_size32 1
		.amdhsa_uses_dynamic_stack 0
		.amdhsa_enable_private_segment 0
		.amdhsa_system_sgpr_workgroup_id_x 1
		.amdhsa_system_sgpr_workgroup_id_y 0
		.amdhsa_system_sgpr_workgroup_id_z 0
		.amdhsa_system_sgpr_workgroup_info 0
		.amdhsa_system_vgpr_workitem_id 0
		.amdhsa_next_free_vgpr 1
		.amdhsa_next_free_sgpr 1
		.amdhsa_reserve_vcc 0
		.amdhsa_float_round_mode_32 0
		.amdhsa_float_round_mode_16_64 0
		.amdhsa_float_denorm_mode_32 3
		.amdhsa_float_denorm_mode_16_64 3
		.amdhsa_dx10_clamp 1
		.amdhsa_ieee_mode 1
		.amdhsa_fp16_overflow 0
		.amdhsa_workgroup_processor_mode 1
		.amdhsa_memory_ordered 1
		.amdhsa_forward_progress 0
		.amdhsa_shared_vgpr_count 0
		.amdhsa_exception_fp_ieee_invalid_op 0
		.amdhsa_exception_fp_denorm_src 0
		.amdhsa_exception_fp_ieee_div_zero 0
		.amdhsa_exception_fp_ieee_overflow 0
		.amdhsa_exception_fp_ieee_underflow 0
		.amdhsa_exception_fp_ieee_inexact 0
		.amdhsa_exception_int_div_zero 0
	.end_amdhsa_kernel
	.section	.text._ZN7rocprim17ROCPRIM_400000_NS6detail17trampoline_kernelINS0_13select_configILj256ELj13ELNS0_17block_load_methodE3ELS4_3ELS4_3ELNS0_20block_scan_algorithmE0ELj4294967295EEENS1_25partition_config_selectorILNS1_17partition_subalgoE4EjNS0_10empty_typeEbEEZZNS1_14partition_implILS8_4ELb0ES6_15HIP_vector_typeIjLj2EENS0_17counting_iteratorIjlEEPS9_SG_NS0_5tupleIJPjSI_NS0_16reverse_iteratorISI_EEEEENSH_IJSG_SG_SG_EEES9_SI_JZNS1_25segmented_radix_sort_implINS0_14default_configELb0EPKhPhPKlPlN2at6native12_GLOBAL__N_18offset_tEEE10hipError_tPvRmT1_PNSt15iterator_traitsIS12_E10value_typeET2_T3_PNS13_IS18_E10value_typeET4_jRbjT5_S1E_jjP12ihipStream_tbEUljE_ZNSN_ISO_Lb0ESQ_SR_ST_SU_SY_EESZ_S10_S11_S12_S16_S17_S18_S1B_S1C_jS1D_jS1E_S1E_jjS1G_bEUljE0_EEESZ_S10_S11_S18_S1C_S1E_T6_T7_T9_mT8_S1G_bDpT10_ENKUlT_T0_E_clISt17integral_constantIbLb1EES1U_EEDaS1P_S1Q_EUlS1P_E_NS1_11comp_targetILNS1_3genE2ELNS1_11target_archE906ELNS1_3gpuE6ELNS1_3repE0EEENS1_30default_config_static_selectorELNS0_4arch9wavefront6targetE0EEEvS12_,"axG",@progbits,_ZN7rocprim17ROCPRIM_400000_NS6detail17trampoline_kernelINS0_13select_configILj256ELj13ELNS0_17block_load_methodE3ELS4_3ELS4_3ELNS0_20block_scan_algorithmE0ELj4294967295EEENS1_25partition_config_selectorILNS1_17partition_subalgoE4EjNS0_10empty_typeEbEEZZNS1_14partition_implILS8_4ELb0ES6_15HIP_vector_typeIjLj2EENS0_17counting_iteratorIjlEEPS9_SG_NS0_5tupleIJPjSI_NS0_16reverse_iteratorISI_EEEEENSH_IJSG_SG_SG_EEES9_SI_JZNS1_25segmented_radix_sort_implINS0_14default_configELb0EPKhPhPKlPlN2at6native12_GLOBAL__N_18offset_tEEE10hipError_tPvRmT1_PNSt15iterator_traitsIS12_E10value_typeET2_T3_PNS13_IS18_E10value_typeET4_jRbjT5_S1E_jjP12ihipStream_tbEUljE_ZNSN_ISO_Lb0ESQ_SR_ST_SU_SY_EESZ_S10_S11_S12_S16_S17_S18_S1B_S1C_jS1D_jS1E_S1E_jjS1G_bEUljE0_EEESZ_S10_S11_S18_S1C_S1E_T6_T7_T9_mT8_S1G_bDpT10_ENKUlT_T0_E_clISt17integral_constantIbLb1EES1U_EEDaS1P_S1Q_EUlS1P_E_NS1_11comp_targetILNS1_3genE2ELNS1_11target_archE906ELNS1_3gpuE6ELNS1_3repE0EEENS1_30default_config_static_selectorELNS0_4arch9wavefront6targetE0EEEvS12_,comdat
.Lfunc_end134:
	.size	_ZN7rocprim17ROCPRIM_400000_NS6detail17trampoline_kernelINS0_13select_configILj256ELj13ELNS0_17block_load_methodE3ELS4_3ELS4_3ELNS0_20block_scan_algorithmE0ELj4294967295EEENS1_25partition_config_selectorILNS1_17partition_subalgoE4EjNS0_10empty_typeEbEEZZNS1_14partition_implILS8_4ELb0ES6_15HIP_vector_typeIjLj2EENS0_17counting_iteratorIjlEEPS9_SG_NS0_5tupleIJPjSI_NS0_16reverse_iteratorISI_EEEEENSH_IJSG_SG_SG_EEES9_SI_JZNS1_25segmented_radix_sort_implINS0_14default_configELb0EPKhPhPKlPlN2at6native12_GLOBAL__N_18offset_tEEE10hipError_tPvRmT1_PNSt15iterator_traitsIS12_E10value_typeET2_T3_PNS13_IS18_E10value_typeET4_jRbjT5_S1E_jjP12ihipStream_tbEUljE_ZNSN_ISO_Lb0ESQ_SR_ST_SU_SY_EESZ_S10_S11_S12_S16_S17_S18_S1B_S1C_jS1D_jS1E_S1E_jjS1G_bEUljE0_EEESZ_S10_S11_S18_S1C_S1E_T6_T7_T9_mT8_S1G_bDpT10_ENKUlT_T0_E_clISt17integral_constantIbLb1EES1U_EEDaS1P_S1Q_EUlS1P_E_NS1_11comp_targetILNS1_3genE2ELNS1_11target_archE906ELNS1_3gpuE6ELNS1_3repE0EEENS1_30default_config_static_selectorELNS0_4arch9wavefront6targetE0EEEvS12_, .Lfunc_end134-_ZN7rocprim17ROCPRIM_400000_NS6detail17trampoline_kernelINS0_13select_configILj256ELj13ELNS0_17block_load_methodE3ELS4_3ELS4_3ELNS0_20block_scan_algorithmE0ELj4294967295EEENS1_25partition_config_selectorILNS1_17partition_subalgoE4EjNS0_10empty_typeEbEEZZNS1_14partition_implILS8_4ELb0ES6_15HIP_vector_typeIjLj2EENS0_17counting_iteratorIjlEEPS9_SG_NS0_5tupleIJPjSI_NS0_16reverse_iteratorISI_EEEEENSH_IJSG_SG_SG_EEES9_SI_JZNS1_25segmented_radix_sort_implINS0_14default_configELb0EPKhPhPKlPlN2at6native12_GLOBAL__N_18offset_tEEE10hipError_tPvRmT1_PNSt15iterator_traitsIS12_E10value_typeET2_T3_PNS13_IS18_E10value_typeET4_jRbjT5_S1E_jjP12ihipStream_tbEUljE_ZNSN_ISO_Lb0ESQ_SR_ST_SU_SY_EESZ_S10_S11_S12_S16_S17_S18_S1B_S1C_jS1D_jS1E_S1E_jjS1G_bEUljE0_EEESZ_S10_S11_S18_S1C_S1E_T6_T7_T9_mT8_S1G_bDpT10_ENKUlT_T0_E_clISt17integral_constantIbLb1EES1U_EEDaS1P_S1Q_EUlS1P_E_NS1_11comp_targetILNS1_3genE2ELNS1_11target_archE906ELNS1_3gpuE6ELNS1_3repE0EEENS1_30default_config_static_selectorELNS0_4arch9wavefront6targetE0EEEvS12_
                                        ; -- End function
	.section	.AMDGPU.csdata,"",@progbits
; Kernel info:
; codeLenInByte = 0
; NumSgprs: 0
; NumVgprs: 0
; ScratchSize: 0
; MemoryBound: 0
; FloatMode: 240
; IeeeMode: 1
; LDSByteSize: 0 bytes/workgroup (compile time only)
; SGPRBlocks: 0
; VGPRBlocks: 0
; NumSGPRsForWavesPerEU: 1
; NumVGPRsForWavesPerEU: 1
; Occupancy: 16
; WaveLimiterHint : 0
; COMPUTE_PGM_RSRC2:SCRATCH_EN: 0
; COMPUTE_PGM_RSRC2:USER_SGPR: 15
; COMPUTE_PGM_RSRC2:TRAP_HANDLER: 0
; COMPUTE_PGM_RSRC2:TGID_X_EN: 1
; COMPUTE_PGM_RSRC2:TGID_Y_EN: 0
; COMPUTE_PGM_RSRC2:TGID_Z_EN: 0
; COMPUTE_PGM_RSRC2:TIDIG_COMP_CNT: 0
	.section	.text._ZN7rocprim17ROCPRIM_400000_NS6detail17trampoline_kernelINS0_13select_configILj256ELj13ELNS0_17block_load_methodE3ELS4_3ELS4_3ELNS0_20block_scan_algorithmE0ELj4294967295EEENS1_25partition_config_selectorILNS1_17partition_subalgoE4EjNS0_10empty_typeEbEEZZNS1_14partition_implILS8_4ELb0ES6_15HIP_vector_typeIjLj2EENS0_17counting_iteratorIjlEEPS9_SG_NS0_5tupleIJPjSI_NS0_16reverse_iteratorISI_EEEEENSH_IJSG_SG_SG_EEES9_SI_JZNS1_25segmented_radix_sort_implINS0_14default_configELb0EPKhPhPKlPlN2at6native12_GLOBAL__N_18offset_tEEE10hipError_tPvRmT1_PNSt15iterator_traitsIS12_E10value_typeET2_T3_PNS13_IS18_E10value_typeET4_jRbjT5_S1E_jjP12ihipStream_tbEUljE_ZNSN_ISO_Lb0ESQ_SR_ST_SU_SY_EESZ_S10_S11_S12_S16_S17_S18_S1B_S1C_jS1D_jS1E_S1E_jjS1G_bEUljE0_EEESZ_S10_S11_S18_S1C_S1E_T6_T7_T9_mT8_S1G_bDpT10_ENKUlT_T0_E_clISt17integral_constantIbLb1EES1U_EEDaS1P_S1Q_EUlS1P_E_NS1_11comp_targetILNS1_3genE10ELNS1_11target_archE1200ELNS1_3gpuE4ELNS1_3repE0EEENS1_30default_config_static_selectorELNS0_4arch9wavefront6targetE0EEEvS12_,"axG",@progbits,_ZN7rocprim17ROCPRIM_400000_NS6detail17trampoline_kernelINS0_13select_configILj256ELj13ELNS0_17block_load_methodE3ELS4_3ELS4_3ELNS0_20block_scan_algorithmE0ELj4294967295EEENS1_25partition_config_selectorILNS1_17partition_subalgoE4EjNS0_10empty_typeEbEEZZNS1_14partition_implILS8_4ELb0ES6_15HIP_vector_typeIjLj2EENS0_17counting_iteratorIjlEEPS9_SG_NS0_5tupleIJPjSI_NS0_16reverse_iteratorISI_EEEEENSH_IJSG_SG_SG_EEES9_SI_JZNS1_25segmented_radix_sort_implINS0_14default_configELb0EPKhPhPKlPlN2at6native12_GLOBAL__N_18offset_tEEE10hipError_tPvRmT1_PNSt15iterator_traitsIS12_E10value_typeET2_T3_PNS13_IS18_E10value_typeET4_jRbjT5_S1E_jjP12ihipStream_tbEUljE_ZNSN_ISO_Lb0ESQ_SR_ST_SU_SY_EESZ_S10_S11_S12_S16_S17_S18_S1B_S1C_jS1D_jS1E_S1E_jjS1G_bEUljE0_EEESZ_S10_S11_S18_S1C_S1E_T6_T7_T9_mT8_S1G_bDpT10_ENKUlT_T0_E_clISt17integral_constantIbLb1EES1U_EEDaS1P_S1Q_EUlS1P_E_NS1_11comp_targetILNS1_3genE10ELNS1_11target_archE1200ELNS1_3gpuE4ELNS1_3repE0EEENS1_30default_config_static_selectorELNS0_4arch9wavefront6targetE0EEEvS12_,comdat
	.globl	_ZN7rocprim17ROCPRIM_400000_NS6detail17trampoline_kernelINS0_13select_configILj256ELj13ELNS0_17block_load_methodE3ELS4_3ELS4_3ELNS0_20block_scan_algorithmE0ELj4294967295EEENS1_25partition_config_selectorILNS1_17partition_subalgoE4EjNS0_10empty_typeEbEEZZNS1_14partition_implILS8_4ELb0ES6_15HIP_vector_typeIjLj2EENS0_17counting_iteratorIjlEEPS9_SG_NS0_5tupleIJPjSI_NS0_16reverse_iteratorISI_EEEEENSH_IJSG_SG_SG_EEES9_SI_JZNS1_25segmented_radix_sort_implINS0_14default_configELb0EPKhPhPKlPlN2at6native12_GLOBAL__N_18offset_tEEE10hipError_tPvRmT1_PNSt15iterator_traitsIS12_E10value_typeET2_T3_PNS13_IS18_E10value_typeET4_jRbjT5_S1E_jjP12ihipStream_tbEUljE_ZNSN_ISO_Lb0ESQ_SR_ST_SU_SY_EESZ_S10_S11_S12_S16_S17_S18_S1B_S1C_jS1D_jS1E_S1E_jjS1G_bEUljE0_EEESZ_S10_S11_S18_S1C_S1E_T6_T7_T9_mT8_S1G_bDpT10_ENKUlT_T0_E_clISt17integral_constantIbLb1EES1U_EEDaS1P_S1Q_EUlS1P_E_NS1_11comp_targetILNS1_3genE10ELNS1_11target_archE1200ELNS1_3gpuE4ELNS1_3repE0EEENS1_30default_config_static_selectorELNS0_4arch9wavefront6targetE0EEEvS12_ ; -- Begin function _ZN7rocprim17ROCPRIM_400000_NS6detail17trampoline_kernelINS0_13select_configILj256ELj13ELNS0_17block_load_methodE3ELS4_3ELS4_3ELNS0_20block_scan_algorithmE0ELj4294967295EEENS1_25partition_config_selectorILNS1_17partition_subalgoE4EjNS0_10empty_typeEbEEZZNS1_14partition_implILS8_4ELb0ES6_15HIP_vector_typeIjLj2EENS0_17counting_iteratorIjlEEPS9_SG_NS0_5tupleIJPjSI_NS0_16reverse_iteratorISI_EEEEENSH_IJSG_SG_SG_EEES9_SI_JZNS1_25segmented_radix_sort_implINS0_14default_configELb0EPKhPhPKlPlN2at6native12_GLOBAL__N_18offset_tEEE10hipError_tPvRmT1_PNSt15iterator_traitsIS12_E10value_typeET2_T3_PNS13_IS18_E10value_typeET4_jRbjT5_S1E_jjP12ihipStream_tbEUljE_ZNSN_ISO_Lb0ESQ_SR_ST_SU_SY_EESZ_S10_S11_S12_S16_S17_S18_S1B_S1C_jS1D_jS1E_S1E_jjS1G_bEUljE0_EEESZ_S10_S11_S18_S1C_S1E_T6_T7_T9_mT8_S1G_bDpT10_ENKUlT_T0_E_clISt17integral_constantIbLb1EES1U_EEDaS1P_S1Q_EUlS1P_E_NS1_11comp_targetILNS1_3genE10ELNS1_11target_archE1200ELNS1_3gpuE4ELNS1_3repE0EEENS1_30default_config_static_selectorELNS0_4arch9wavefront6targetE0EEEvS12_
	.p2align	8
	.type	_ZN7rocprim17ROCPRIM_400000_NS6detail17trampoline_kernelINS0_13select_configILj256ELj13ELNS0_17block_load_methodE3ELS4_3ELS4_3ELNS0_20block_scan_algorithmE0ELj4294967295EEENS1_25partition_config_selectorILNS1_17partition_subalgoE4EjNS0_10empty_typeEbEEZZNS1_14partition_implILS8_4ELb0ES6_15HIP_vector_typeIjLj2EENS0_17counting_iteratorIjlEEPS9_SG_NS0_5tupleIJPjSI_NS0_16reverse_iteratorISI_EEEEENSH_IJSG_SG_SG_EEES9_SI_JZNS1_25segmented_radix_sort_implINS0_14default_configELb0EPKhPhPKlPlN2at6native12_GLOBAL__N_18offset_tEEE10hipError_tPvRmT1_PNSt15iterator_traitsIS12_E10value_typeET2_T3_PNS13_IS18_E10value_typeET4_jRbjT5_S1E_jjP12ihipStream_tbEUljE_ZNSN_ISO_Lb0ESQ_SR_ST_SU_SY_EESZ_S10_S11_S12_S16_S17_S18_S1B_S1C_jS1D_jS1E_S1E_jjS1G_bEUljE0_EEESZ_S10_S11_S18_S1C_S1E_T6_T7_T9_mT8_S1G_bDpT10_ENKUlT_T0_E_clISt17integral_constantIbLb1EES1U_EEDaS1P_S1Q_EUlS1P_E_NS1_11comp_targetILNS1_3genE10ELNS1_11target_archE1200ELNS1_3gpuE4ELNS1_3repE0EEENS1_30default_config_static_selectorELNS0_4arch9wavefront6targetE0EEEvS12_,@function
_ZN7rocprim17ROCPRIM_400000_NS6detail17trampoline_kernelINS0_13select_configILj256ELj13ELNS0_17block_load_methodE3ELS4_3ELS4_3ELNS0_20block_scan_algorithmE0ELj4294967295EEENS1_25partition_config_selectorILNS1_17partition_subalgoE4EjNS0_10empty_typeEbEEZZNS1_14partition_implILS8_4ELb0ES6_15HIP_vector_typeIjLj2EENS0_17counting_iteratorIjlEEPS9_SG_NS0_5tupleIJPjSI_NS0_16reverse_iteratorISI_EEEEENSH_IJSG_SG_SG_EEES9_SI_JZNS1_25segmented_radix_sort_implINS0_14default_configELb0EPKhPhPKlPlN2at6native12_GLOBAL__N_18offset_tEEE10hipError_tPvRmT1_PNSt15iterator_traitsIS12_E10value_typeET2_T3_PNS13_IS18_E10value_typeET4_jRbjT5_S1E_jjP12ihipStream_tbEUljE_ZNSN_ISO_Lb0ESQ_SR_ST_SU_SY_EESZ_S10_S11_S12_S16_S17_S18_S1B_S1C_jS1D_jS1E_S1E_jjS1G_bEUljE0_EEESZ_S10_S11_S18_S1C_S1E_T6_T7_T9_mT8_S1G_bDpT10_ENKUlT_T0_E_clISt17integral_constantIbLb1EES1U_EEDaS1P_S1Q_EUlS1P_E_NS1_11comp_targetILNS1_3genE10ELNS1_11target_archE1200ELNS1_3gpuE4ELNS1_3repE0EEENS1_30default_config_static_selectorELNS0_4arch9wavefront6targetE0EEEvS12_: ; @_ZN7rocprim17ROCPRIM_400000_NS6detail17trampoline_kernelINS0_13select_configILj256ELj13ELNS0_17block_load_methodE3ELS4_3ELS4_3ELNS0_20block_scan_algorithmE0ELj4294967295EEENS1_25partition_config_selectorILNS1_17partition_subalgoE4EjNS0_10empty_typeEbEEZZNS1_14partition_implILS8_4ELb0ES6_15HIP_vector_typeIjLj2EENS0_17counting_iteratorIjlEEPS9_SG_NS0_5tupleIJPjSI_NS0_16reverse_iteratorISI_EEEEENSH_IJSG_SG_SG_EEES9_SI_JZNS1_25segmented_radix_sort_implINS0_14default_configELb0EPKhPhPKlPlN2at6native12_GLOBAL__N_18offset_tEEE10hipError_tPvRmT1_PNSt15iterator_traitsIS12_E10value_typeET2_T3_PNS13_IS18_E10value_typeET4_jRbjT5_S1E_jjP12ihipStream_tbEUljE_ZNSN_ISO_Lb0ESQ_SR_ST_SU_SY_EESZ_S10_S11_S12_S16_S17_S18_S1B_S1C_jS1D_jS1E_S1E_jjS1G_bEUljE0_EEESZ_S10_S11_S18_S1C_S1E_T6_T7_T9_mT8_S1G_bDpT10_ENKUlT_T0_E_clISt17integral_constantIbLb1EES1U_EEDaS1P_S1Q_EUlS1P_E_NS1_11comp_targetILNS1_3genE10ELNS1_11target_archE1200ELNS1_3gpuE4ELNS1_3repE0EEENS1_30default_config_static_selectorELNS0_4arch9wavefront6targetE0EEEvS12_
; %bb.0:
	.section	.rodata,"a",@progbits
	.p2align	6, 0x0
	.amdhsa_kernel _ZN7rocprim17ROCPRIM_400000_NS6detail17trampoline_kernelINS0_13select_configILj256ELj13ELNS0_17block_load_methodE3ELS4_3ELS4_3ELNS0_20block_scan_algorithmE0ELj4294967295EEENS1_25partition_config_selectorILNS1_17partition_subalgoE4EjNS0_10empty_typeEbEEZZNS1_14partition_implILS8_4ELb0ES6_15HIP_vector_typeIjLj2EENS0_17counting_iteratorIjlEEPS9_SG_NS0_5tupleIJPjSI_NS0_16reverse_iteratorISI_EEEEENSH_IJSG_SG_SG_EEES9_SI_JZNS1_25segmented_radix_sort_implINS0_14default_configELb0EPKhPhPKlPlN2at6native12_GLOBAL__N_18offset_tEEE10hipError_tPvRmT1_PNSt15iterator_traitsIS12_E10value_typeET2_T3_PNS13_IS18_E10value_typeET4_jRbjT5_S1E_jjP12ihipStream_tbEUljE_ZNSN_ISO_Lb0ESQ_SR_ST_SU_SY_EESZ_S10_S11_S12_S16_S17_S18_S1B_S1C_jS1D_jS1E_S1E_jjS1G_bEUljE0_EEESZ_S10_S11_S18_S1C_S1E_T6_T7_T9_mT8_S1G_bDpT10_ENKUlT_T0_E_clISt17integral_constantIbLb1EES1U_EEDaS1P_S1Q_EUlS1P_E_NS1_11comp_targetILNS1_3genE10ELNS1_11target_archE1200ELNS1_3gpuE4ELNS1_3repE0EEENS1_30default_config_static_selectorELNS0_4arch9wavefront6targetE0EEEvS12_
		.amdhsa_group_segment_fixed_size 0
		.amdhsa_private_segment_fixed_size 0
		.amdhsa_kernarg_size 184
		.amdhsa_user_sgpr_count 15
		.amdhsa_user_sgpr_dispatch_ptr 0
		.amdhsa_user_sgpr_queue_ptr 0
		.amdhsa_user_sgpr_kernarg_segment_ptr 1
		.amdhsa_user_sgpr_dispatch_id 0
		.amdhsa_user_sgpr_private_segment_size 0
		.amdhsa_wavefront_size32 1
		.amdhsa_uses_dynamic_stack 0
		.amdhsa_enable_private_segment 0
		.amdhsa_system_sgpr_workgroup_id_x 1
		.amdhsa_system_sgpr_workgroup_id_y 0
		.amdhsa_system_sgpr_workgroup_id_z 0
		.amdhsa_system_sgpr_workgroup_info 0
		.amdhsa_system_vgpr_workitem_id 0
		.amdhsa_next_free_vgpr 1
		.amdhsa_next_free_sgpr 1
		.amdhsa_reserve_vcc 0
		.amdhsa_float_round_mode_32 0
		.amdhsa_float_round_mode_16_64 0
		.amdhsa_float_denorm_mode_32 3
		.amdhsa_float_denorm_mode_16_64 3
		.amdhsa_dx10_clamp 1
		.amdhsa_ieee_mode 1
		.amdhsa_fp16_overflow 0
		.amdhsa_workgroup_processor_mode 1
		.amdhsa_memory_ordered 1
		.amdhsa_forward_progress 0
		.amdhsa_shared_vgpr_count 0
		.amdhsa_exception_fp_ieee_invalid_op 0
		.amdhsa_exception_fp_denorm_src 0
		.amdhsa_exception_fp_ieee_div_zero 0
		.amdhsa_exception_fp_ieee_overflow 0
		.amdhsa_exception_fp_ieee_underflow 0
		.amdhsa_exception_fp_ieee_inexact 0
		.amdhsa_exception_int_div_zero 0
	.end_amdhsa_kernel
	.section	.text._ZN7rocprim17ROCPRIM_400000_NS6detail17trampoline_kernelINS0_13select_configILj256ELj13ELNS0_17block_load_methodE3ELS4_3ELS4_3ELNS0_20block_scan_algorithmE0ELj4294967295EEENS1_25partition_config_selectorILNS1_17partition_subalgoE4EjNS0_10empty_typeEbEEZZNS1_14partition_implILS8_4ELb0ES6_15HIP_vector_typeIjLj2EENS0_17counting_iteratorIjlEEPS9_SG_NS0_5tupleIJPjSI_NS0_16reverse_iteratorISI_EEEEENSH_IJSG_SG_SG_EEES9_SI_JZNS1_25segmented_radix_sort_implINS0_14default_configELb0EPKhPhPKlPlN2at6native12_GLOBAL__N_18offset_tEEE10hipError_tPvRmT1_PNSt15iterator_traitsIS12_E10value_typeET2_T3_PNS13_IS18_E10value_typeET4_jRbjT5_S1E_jjP12ihipStream_tbEUljE_ZNSN_ISO_Lb0ESQ_SR_ST_SU_SY_EESZ_S10_S11_S12_S16_S17_S18_S1B_S1C_jS1D_jS1E_S1E_jjS1G_bEUljE0_EEESZ_S10_S11_S18_S1C_S1E_T6_T7_T9_mT8_S1G_bDpT10_ENKUlT_T0_E_clISt17integral_constantIbLb1EES1U_EEDaS1P_S1Q_EUlS1P_E_NS1_11comp_targetILNS1_3genE10ELNS1_11target_archE1200ELNS1_3gpuE4ELNS1_3repE0EEENS1_30default_config_static_selectorELNS0_4arch9wavefront6targetE0EEEvS12_,"axG",@progbits,_ZN7rocprim17ROCPRIM_400000_NS6detail17trampoline_kernelINS0_13select_configILj256ELj13ELNS0_17block_load_methodE3ELS4_3ELS4_3ELNS0_20block_scan_algorithmE0ELj4294967295EEENS1_25partition_config_selectorILNS1_17partition_subalgoE4EjNS0_10empty_typeEbEEZZNS1_14partition_implILS8_4ELb0ES6_15HIP_vector_typeIjLj2EENS0_17counting_iteratorIjlEEPS9_SG_NS0_5tupleIJPjSI_NS0_16reverse_iteratorISI_EEEEENSH_IJSG_SG_SG_EEES9_SI_JZNS1_25segmented_radix_sort_implINS0_14default_configELb0EPKhPhPKlPlN2at6native12_GLOBAL__N_18offset_tEEE10hipError_tPvRmT1_PNSt15iterator_traitsIS12_E10value_typeET2_T3_PNS13_IS18_E10value_typeET4_jRbjT5_S1E_jjP12ihipStream_tbEUljE_ZNSN_ISO_Lb0ESQ_SR_ST_SU_SY_EESZ_S10_S11_S12_S16_S17_S18_S1B_S1C_jS1D_jS1E_S1E_jjS1G_bEUljE0_EEESZ_S10_S11_S18_S1C_S1E_T6_T7_T9_mT8_S1G_bDpT10_ENKUlT_T0_E_clISt17integral_constantIbLb1EES1U_EEDaS1P_S1Q_EUlS1P_E_NS1_11comp_targetILNS1_3genE10ELNS1_11target_archE1200ELNS1_3gpuE4ELNS1_3repE0EEENS1_30default_config_static_selectorELNS0_4arch9wavefront6targetE0EEEvS12_,comdat
.Lfunc_end135:
	.size	_ZN7rocprim17ROCPRIM_400000_NS6detail17trampoline_kernelINS0_13select_configILj256ELj13ELNS0_17block_load_methodE3ELS4_3ELS4_3ELNS0_20block_scan_algorithmE0ELj4294967295EEENS1_25partition_config_selectorILNS1_17partition_subalgoE4EjNS0_10empty_typeEbEEZZNS1_14partition_implILS8_4ELb0ES6_15HIP_vector_typeIjLj2EENS0_17counting_iteratorIjlEEPS9_SG_NS0_5tupleIJPjSI_NS0_16reverse_iteratorISI_EEEEENSH_IJSG_SG_SG_EEES9_SI_JZNS1_25segmented_radix_sort_implINS0_14default_configELb0EPKhPhPKlPlN2at6native12_GLOBAL__N_18offset_tEEE10hipError_tPvRmT1_PNSt15iterator_traitsIS12_E10value_typeET2_T3_PNS13_IS18_E10value_typeET4_jRbjT5_S1E_jjP12ihipStream_tbEUljE_ZNSN_ISO_Lb0ESQ_SR_ST_SU_SY_EESZ_S10_S11_S12_S16_S17_S18_S1B_S1C_jS1D_jS1E_S1E_jjS1G_bEUljE0_EEESZ_S10_S11_S18_S1C_S1E_T6_T7_T9_mT8_S1G_bDpT10_ENKUlT_T0_E_clISt17integral_constantIbLb1EES1U_EEDaS1P_S1Q_EUlS1P_E_NS1_11comp_targetILNS1_3genE10ELNS1_11target_archE1200ELNS1_3gpuE4ELNS1_3repE0EEENS1_30default_config_static_selectorELNS0_4arch9wavefront6targetE0EEEvS12_, .Lfunc_end135-_ZN7rocprim17ROCPRIM_400000_NS6detail17trampoline_kernelINS0_13select_configILj256ELj13ELNS0_17block_load_methodE3ELS4_3ELS4_3ELNS0_20block_scan_algorithmE0ELj4294967295EEENS1_25partition_config_selectorILNS1_17partition_subalgoE4EjNS0_10empty_typeEbEEZZNS1_14partition_implILS8_4ELb0ES6_15HIP_vector_typeIjLj2EENS0_17counting_iteratorIjlEEPS9_SG_NS0_5tupleIJPjSI_NS0_16reverse_iteratorISI_EEEEENSH_IJSG_SG_SG_EEES9_SI_JZNS1_25segmented_radix_sort_implINS0_14default_configELb0EPKhPhPKlPlN2at6native12_GLOBAL__N_18offset_tEEE10hipError_tPvRmT1_PNSt15iterator_traitsIS12_E10value_typeET2_T3_PNS13_IS18_E10value_typeET4_jRbjT5_S1E_jjP12ihipStream_tbEUljE_ZNSN_ISO_Lb0ESQ_SR_ST_SU_SY_EESZ_S10_S11_S12_S16_S17_S18_S1B_S1C_jS1D_jS1E_S1E_jjS1G_bEUljE0_EEESZ_S10_S11_S18_S1C_S1E_T6_T7_T9_mT8_S1G_bDpT10_ENKUlT_T0_E_clISt17integral_constantIbLb1EES1U_EEDaS1P_S1Q_EUlS1P_E_NS1_11comp_targetILNS1_3genE10ELNS1_11target_archE1200ELNS1_3gpuE4ELNS1_3repE0EEENS1_30default_config_static_selectorELNS0_4arch9wavefront6targetE0EEEvS12_
                                        ; -- End function
	.section	.AMDGPU.csdata,"",@progbits
; Kernel info:
; codeLenInByte = 0
; NumSgprs: 0
; NumVgprs: 0
; ScratchSize: 0
; MemoryBound: 0
; FloatMode: 240
; IeeeMode: 1
; LDSByteSize: 0 bytes/workgroup (compile time only)
; SGPRBlocks: 0
; VGPRBlocks: 0
; NumSGPRsForWavesPerEU: 1
; NumVGPRsForWavesPerEU: 1
; Occupancy: 16
; WaveLimiterHint : 0
; COMPUTE_PGM_RSRC2:SCRATCH_EN: 0
; COMPUTE_PGM_RSRC2:USER_SGPR: 15
; COMPUTE_PGM_RSRC2:TRAP_HANDLER: 0
; COMPUTE_PGM_RSRC2:TGID_X_EN: 1
; COMPUTE_PGM_RSRC2:TGID_Y_EN: 0
; COMPUTE_PGM_RSRC2:TGID_Z_EN: 0
; COMPUTE_PGM_RSRC2:TIDIG_COMP_CNT: 0
	.section	.text._ZN7rocprim17ROCPRIM_400000_NS6detail17trampoline_kernelINS0_13select_configILj256ELj13ELNS0_17block_load_methodE3ELS4_3ELS4_3ELNS0_20block_scan_algorithmE0ELj4294967295EEENS1_25partition_config_selectorILNS1_17partition_subalgoE4EjNS0_10empty_typeEbEEZZNS1_14partition_implILS8_4ELb0ES6_15HIP_vector_typeIjLj2EENS0_17counting_iteratorIjlEEPS9_SG_NS0_5tupleIJPjSI_NS0_16reverse_iteratorISI_EEEEENSH_IJSG_SG_SG_EEES9_SI_JZNS1_25segmented_radix_sort_implINS0_14default_configELb0EPKhPhPKlPlN2at6native12_GLOBAL__N_18offset_tEEE10hipError_tPvRmT1_PNSt15iterator_traitsIS12_E10value_typeET2_T3_PNS13_IS18_E10value_typeET4_jRbjT5_S1E_jjP12ihipStream_tbEUljE_ZNSN_ISO_Lb0ESQ_SR_ST_SU_SY_EESZ_S10_S11_S12_S16_S17_S18_S1B_S1C_jS1D_jS1E_S1E_jjS1G_bEUljE0_EEESZ_S10_S11_S18_S1C_S1E_T6_T7_T9_mT8_S1G_bDpT10_ENKUlT_T0_E_clISt17integral_constantIbLb1EES1U_EEDaS1P_S1Q_EUlS1P_E_NS1_11comp_targetILNS1_3genE9ELNS1_11target_archE1100ELNS1_3gpuE3ELNS1_3repE0EEENS1_30default_config_static_selectorELNS0_4arch9wavefront6targetE0EEEvS12_,"axG",@progbits,_ZN7rocprim17ROCPRIM_400000_NS6detail17trampoline_kernelINS0_13select_configILj256ELj13ELNS0_17block_load_methodE3ELS4_3ELS4_3ELNS0_20block_scan_algorithmE0ELj4294967295EEENS1_25partition_config_selectorILNS1_17partition_subalgoE4EjNS0_10empty_typeEbEEZZNS1_14partition_implILS8_4ELb0ES6_15HIP_vector_typeIjLj2EENS0_17counting_iteratorIjlEEPS9_SG_NS0_5tupleIJPjSI_NS0_16reverse_iteratorISI_EEEEENSH_IJSG_SG_SG_EEES9_SI_JZNS1_25segmented_radix_sort_implINS0_14default_configELb0EPKhPhPKlPlN2at6native12_GLOBAL__N_18offset_tEEE10hipError_tPvRmT1_PNSt15iterator_traitsIS12_E10value_typeET2_T3_PNS13_IS18_E10value_typeET4_jRbjT5_S1E_jjP12ihipStream_tbEUljE_ZNSN_ISO_Lb0ESQ_SR_ST_SU_SY_EESZ_S10_S11_S12_S16_S17_S18_S1B_S1C_jS1D_jS1E_S1E_jjS1G_bEUljE0_EEESZ_S10_S11_S18_S1C_S1E_T6_T7_T9_mT8_S1G_bDpT10_ENKUlT_T0_E_clISt17integral_constantIbLb1EES1U_EEDaS1P_S1Q_EUlS1P_E_NS1_11comp_targetILNS1_3genE9ELNS1_11target_archE1100ELNS1_3gpuE3ELNS1_3repE0EEENS1_30default_config_static_selectorELNS0_4arch9wavefront6targetE0EEEvS12_,comdat
	.globl	_ZN7rocprim17ROCPRIM_400000_NS6detail17trampoline_kernelINS0_13select_configILj256ELj13ELNS0_17block_load_methodE3ELS4_3ELS4_3ELNS0_20block_scan_algorithmE0ELj4294967295EEENS1_25partition_config_selectorILNS1_17partition_subalgoE4EjNS0_10empty_typeEbEEZZNS1_14partition_implILS8_4ELb0ES6_15HIP_vector_typeIjLj2EENS0_17counting_iteratorIjlEEPS9_SG_NS0_5tupleIJPjSI_NS0_16reverse_iteratorISI_EEEEENSH_IJSG_SG_SG_EEES9_SI_JZNS1_25segmented_radix_sort_implINS0_14default_configELb0EPKhPhPKlPlN2at6native12_GLOBAL__N_18offset_tEEE10hipError_tPvRmT1_PNSt15iterator_traitsIS12_E10value_typeET2_T3_PNS13_IS18_E10value_typeET4_jRbjT5_S1E_jjP12ihipStream_tbEUljE_ZNSN_ISO_Lb0ESQ_SR_ST_SU_SY_EESZ_S10_S11_S12_S16_S17_S18_S1B_S1C_jS1D_jS1E_S1E_jjS1G_bEUljE0_EEESZ_S10_S11_S18_S1C_S1E_T6_T7_T9_mT8_S1G_bDpT10_ENKUlT_T0_E_clISt17integral_constantIbLb1EES1U_EEDaS1P_S1Q_EUlS1P_E_NS1_11comp_targetILNS1_3genE9ELNS1_11target_archE1100ELNS1_3gpuE3ELNS1_3repE0EEENS1_30default_config_static_selectorELNS0_4arch9wavefront6targetE0EEEvS12_ ; -- Begin function _ZN7rocprim17ROCPRIM_400000_NS6detail17trampoline_kernelINS0_13select_configILj256ELj13ELNS0_17block_load_methodE3ELS4_3ELS4_3ELNS0_20block_scan_algorithmE0ELj4294967295EEENS1_25partition_config_selectorILNS1_17partition_subalgoE4EjNS0_10empty_typeEbEEZZNS1_14partition_implILS8_4ELb0ES6_15HIP_vector_typeIjLj2EENS0_17counting_iteratorIjlEEPS9_SG_NS0_5tupleIJPjSI_NS0_16reverse_iteratorISI_EEEEENSH_IJSG_SG_SG_EEES9_SI_JZNS1_25segmented_radix_sort_implINS0_14default_configELb0EPKhPhPKlPlN2at6native12_GLOBAL__N_18offset_tEEE10hipError_tPvRmT1_PNSt15iterator_traitsIS12_E10value_typeET2_T3_PNS13_IS18_E10value_typeET4_jRbjT5_S1E_jjP12ihipStream_tbEUljE_ZNSN_ISO_Lb0ESQ_SR_ST_SU_SY_EESZ_S10_S11_S12_S16_S17_S18_S1B_S1C_jS1D_jS1E_S1E_jjS1G_bEUljE0_EEESZ_S10_S11_S18_S1C_S1E_T6_T7_T9_mT8_S1G_bDpT10_ENKUlT_T0_E_clISt17integral_constantIbLb1EES1U_EEDaS1P_S1Q_EUlS1P_E_NS1_11comp_targetILNS1_3genE9ELNS1_11target_archE1100ELNS1_3gpuE3ELNS1_3repE0EEENS1_30default_config_static_selectorELNS0_4arch9wavefront6targetE0EEEvS12_
	.p2align	8
	.type	_ZN7rocprim17ROCPRIM_400000_NS6detail17trampoline_kernelINS0_13select_configILj256ELj13ELNS0_17block_load_methodE3ELS4_3ELS4_3ELNS0_20block_scan_algorithmE0ELj4294967295EEENS1_25partition_config_selectorILNS1_17partition_subalgoE4EjNS0_10empty_typeEbEEZZNS1_14partition_implILS8_4ELb0ES6_15HIP_vector_typeIjLj2EENS0_17counting_iteratorIjlEEPS9_SG_NS0_5tupleIJPjSI_NS0_16reverse_iteratorISI_EEEEENSH_IJSG_SG_SG_EEES9_SI_JZNS1_25segmented_radix_sort_implINS0_14default_configELb0EPKhPhPKlPlN2at6native12_GLOBAL__N_18offset_tEEE10hipError_tPvRmT1_PNSt15iterator_traitsIS12_E10value_typeET2_T3_PNS13_IS18_E10value_typeET4_jRbjT5_S1E_jjP12ihipStream_tbEUljE_ZNSN_ISO_Lb0ESQ_SR_ST_SU_SY_EESZ_S10_S11_S12_S16_S17_S18_S1B_S1C_jS1D_jS1E_S1E_jjS1G_bEUljE0_EEESZ_S10_S11_S18_S1C_S1E_T6_T7_T9_mT8_S1G_bDpT10_ENKUlT_T0_E_clISt17integral_constantIbLb1EES1U_EEDaS1P_S1Q_EUlS1P_E_NS1_11comp_targetILNS1_3genE9ELNS1_11target_archE1100ELNS1_3gpuE3ELNS1_3repE0EEENS1_30default_config_static_selectorELNS0_4arch9wavefront6targetE0EEEvS12_,@function
_ZN7rocprim17ROCPRIM_400000_NS6detail17trampoline_kernelINS0_13select_configILj256ELj13ELNS0_17block_load_methodE3ELS4_3ELS4_3ELNS0_20block_scan_algorithmE0ELj4294967295EEENS1_25partition_config_selectorILNS1_17partition_subalgoE4EjNS0_10empty_typeEbEEZZNS1_14partition_implILS8_4ELb0ES6_15HIP_vector_typeIjLj2EENS0_17counting_iteratorIjlEEPS9_SG_NS0_5tupleIJPjSI_NS0_16reverse_iteratorISI_EEEEENSH_IJSG_SG_SG_EEES9_SI_JZNS1_25segmented_radix_sort_implINS0_14default_configELb0EPKhPhPKlPlN2at6native12_GLOBAL__N_18offset_tEEE10hipError_tPvRmT1_PNSt15iterator_traitsIS12_E10value_typeET2_T3_PNS13_IS18_E10value_typeET4_jRbjT5_S1E_jjP12ihipStream_tbEUljE_ZNSN_ISO_Lb0ESQ_SR_ST_SU_SY_EESZ_S10_S11_S12_S16_S17_S18_S1B_S1C_jS1D_jS1E_S1E_jjS1G_bEUljE0_EEESZ_S10_S11_S18_S1C_S1E_T6_T7_T9_mT8_S1G_bDpT10_ENKUlT_T0_E_clISt17integral_constantIbLb1EES1U_EEDaS1P_S1Q_EUlS1P_E_NS1_11comp_targetILNS1_3genE9ELNS1_11target_archE1100ELNS1_3gpuE3ELNS1_3repE0EEENS1_30default_config_static_selectorELNS0_4arch9wavefront6targetE0EEEvS12_: ; @_ZN7rocprim17ROCPRIM_400000_NS6detail17trampoline_kernelINS0_13select_configILj256ELj13ELNS0_17block_load_methodE3ELS4_3ELS4_3ELNS0_20block_scan_algorithmE0ELj4294967295EEENS1_25partition_config_selectorILNS1_17partition_subalgoE4EjNS0_10empty_typeEbEEZZNS1_14partition_implILS8_4ELb0ES6_15HIP_vector_typeIjLj2EENS0_17counting_iteratorIjlEEPS9_SG_NS0_5tupleIJPjSI_NS0_16reverse_iteratorISI_EEEEENSH_IJSG_SG_SG_EEES9_SI_JZNS1_25segmented_radix_sort_implINS0_14default_configELb0EPKhPhPKlPlN2at6native12_GLOBAL__N_18offset_tEEE10hipError_tPvRmT1_PNSt15iterator_traitsIS12_E10value_typeET2_T3_PNS13_IS18_E10value_typeET4_jRbjT5_S1E_jjP12ihipStream_tbEUljE_ZNSN_ISO_Lb0ESQ_SR_ST_SU_SY_EESZ_S10_S11_S12_S16_S17_S18_S1B_S1C_jS1D_jS1E_S1E_jjS1G_bEUljE0_EEESZ_S10_S11_S18_S1C_S1E_T6_T7_T9_mT8_S1G_bDpT10_ENKUlT_T0_E_clISt17integral_constantIbLb1EES1U_EEDaS1P_S1Q_EUlS1P_E_NS1_11comp_targetILNS1_3genE9ELNS1_11target_archE1100ELNS1_3gpuE3ELNS1_3repE0EEENS1_30default_config_static_selectorELNS0_4arch9wavefront6targetE0EEEvS12_
; %bb.0:
	s_clause 0x7
	s_load_b64 s[34:35], s[0:1], 0x10
	s_load_b128 s[28:31], s[0:1], 0x28
	s_load_b64 s[14:15], s[0:1], 0x38
	s_load_b128 s[24:27], s[0:1], 0x58
	s_load_b64 s[4:5], s[0:1], 0x68
	s_load_b64 s[36:37], s[0:1], 0x78
	;; [unrolled: 1-line block ×3, first 2 shown]
	s_load_b256 s[16:23], s[0:1], 0x90
	v_cmp_eq_u32_e64 s2, 0, v0
	s_delay_alu instid0(VALU_DEP_1)
	s_and_saveexec_b32 s3, s2
	s_cbranch_execz .LBB136_4
; %bb.1:
	s_mov_b32 s7, exec_lo
	s_mov_b32 s6, exec_lo
	v_mbcnt_lo_u32_b32 v1, s7, 0
                                        ; implicit-def: $vgpr2
	s_delay_alu instid0(VALU_DEP_1)
	v_cmpx_eq_u32_e32 0, v1
	s_cbranch_execz .LBB136_3
; %bb.2:
	s_load_b64 s[8:9], s[0:1], 0x88
	s_bcnt1_i32_b32 s7, s7
	s_delay_alu instid0(SALU_CYCLE_1)
	v_dual_mov_b32 v2, 0 :: v_dual_mov_b32 v3, s7
	s_waitcnt lgkmcnt(0)
	global_atomic_add_u32 v2, v2, v3, s[8:9] glc
.LBB136_3:
	s_or_b32 exec_lo, exec_lo, s6
	s_waitcnt vmcnt(0)
	v_readfirstlane_b32 s6, v2
	s_delay_alu instid0(VALU_DEP_1)
	v_dual_mov_b32 v2, 0 :: v_dual_add_nc_u32 v1, s6, v1
	ds_store_b32 v2, v1
.LBB136_4:
	s_or_b32 exec_lo, exec_lo, s3
	v_mov_b32_e32 v1, 0
	s_clause 0x1
	s_load_b32 s3, s[0:1], 0x8
	s_load_b32 s0, s[0:1], 0x80
	s_waitcnt lgkmcnt(0)
	s_barrier
	buffer_gl0_inv
	ds_load_b32 v5, v1
	s_waitcnt lgkmcnt(0)
	s_barrier
	buffer_gl0_inv
	global_load_b128 v[1:4], v1, s[26:27]
	s_add_i32 s3, s3, s34
	s_mul_i32 s1, s0, 0xd00
	s_add_i32 s0, s0, -1
	s_add_u32 s6, s34, s1
	s_addc_u32 s7, s35, 0
	v_mul_lo_u32 v30, 0xd00, v5
	v_readfirstlane_b32 s26, v5
	v_cmp_lt_u64_e64 s5, s[6:7], s[4:5]
	v_cmp_ne_u32_e32 vcc_lo, s0, v5
	s_delay_alu instid0(VALU_DEP_3) | instskip(SKIP_1) | instid1(VALU_DEP_4)
	s_cmp_eq_u32 s26, s0
	s_cselect_b32 s13, -1, 0
	v_add3_u32 v5, v30, s3, v0
	s_delay_alu instid0(VALU_DEP_3) | instskip(SKIP_2) | instid1(VALU_DEP_1)
	s_or_b32 s0, s5, vcc_lo
	s_mov_b32 s3, -1
	s_and_b32 vcc_lo, exec_lo, s0
	v_add_nc_u32_e32 v6, 0x100, v5
	v_add_nc_u32_e32 v7, 0x200, v5
	;; [unrolled: 1-line block ×12, first 2 shown]
	s_cbranch_vccz .LBB136_6
; %bb.5:
	v_lshlrev_b32_e32 v18, 2, v0
	s_mov_b32 s3, 0
	ds_store_2addr_stride64_b32 v18, v5, v6 offset1:4
	ds_store_2addr_stride64_b32 v18, v7, v8 offset0:8 offset1:12
	ds_store_2addr_stride64_b32 v18, v9, v10 offset0:16 offset1:20
	;; [unrolled: 1-line block ×5, first 2 shown]
	ds_store_b32 v18, v17 offset:12288
	s_waitcnt vmcnt(0) lgkmcnt(0)
	s_barrier
.LBB136_6:
	s_and_not1_b32 vcc_lo, exec_lo, s3
	s_add_i32 s1, s1, s34
	s_cbranch_vccnz .LBB136_8
; %bb.7:
	v_lshlrev_b32_e32 v18, 2, v0
	ds_store_2addr_stride64_b32 v18, v5, v6 offset1:4
	ds_store_2addr_stride64_b32 v18, v7, v8 offset0:8 offset1:12
	ds_store_2addr_stride64_b32 v18, v9, v10 offset0:16 offset1:20
	;; [unrolled: 1-line block ×5, first 2 shown]
	ds_store_b32 v18, v17 offset:12288
	s_waitcnt vmcnt(0) lgkmcnt(0)
	s_barrier
.LBB136_8:
	v_mul_u32_u24_e32 v33, 13, v0
	s_waitcnt vmcnt(0)
	buffer_gl0_inv
	v_cndmask_b32_e64 v31, 0, 1, s0
	s_sub_i32 s40, s4, s1
	s_and_not1_b32 vcc_lo, exec_lo, s0
	v_lshlrev_b32_e32 v5, 2, v33
	ds_load_2addr_b32 v[20:21], v5 offset1:1
	ds_load_2addr_b32 v[18:19], v5 offset0:2 offset1:3
	ds_load_2addr_b32 v[16:17], v5 offset0:4 offset1:5
	;; [unrolled: 1-line block ×5, first 2 shown]
	ds_load_b32 v32, v5 offset:48
	s_waitcnt lgkmcnt(0)
	s_barrier
	buffer_gl0_inv
	s_cbranch_vccnz .LBB136_36
; %bb.9:
	v_add_nc_u32_e32 v5, s17, v20
	v_add_nc_u32_e32 v6, s19, v20
	s_mov_b32 s42, 0
	s_mov_b32 s41, 0
	s_mov_b32 s1, exec_lo
	v_mul_lo_u32 v5, v5, s16
	v_mul_lo_u32 v6, v6, s18
	s_delay_alu instid0(VALU_DEP_1) | instskip(NEXT) | instid1(VALU_DEP_1)
	v_sub_nc_u32_e32 v5, v5, v6
	v_cmp_lt_u32_e32 vcc_lo, s20, v5
	v_cmpx_ge_u32_e64 s20, v5
; %bb.10:
	v_add_nc_u32_e32 v5, s22, v20
	v_add_nc_u32_e32 v6, s38, v20
	s_delay_alu instid0(VALU_DEP_2) | instskip(NEXT) | instid1(VALU_DEP_2)
	v_mul_lo_u32 v5, v5, s21
	v_mul_lo_u32 v6, v6, s23
	s_delay_alu instid0(VALU_DEP_1) | instskip(NEXT) | instid1(VALU_DEP_1)
	v_sub_nc_u32_e32 v5, v5, v6
	v_cmp_lt_u32_e64 s0, s39, v5
	s_delay_alu instid0(VALU_DEP_1)
	s_and_b32 s41, s0, exec_lo
; %bb.11:
	s_or_b32 exec_lo, exec_lo, s1
	v_add_nc_u32_e32 v5, s17, v21
	v_add_nc_u32_e32 v6, s19, v21
	s_mov_b32 s3, exec_lo
	s_delay_alu instid0(VALU_DEP_2) | instskip(NEXT) | instid1(VALU_DEP_2)
	v_mul_lo_u32 v5, v5, s16
	v_mul_lo_u32 v6, v6, s18
	s_delay_alu instid0(VALU_DEP_1) | instskip(NEXT) | instid1(VALU_DEP_1)
	v_sub_nc_u32_e32 v5, v5, v6
	v_cmp_lt_u32_e64 s0, s20, v5
	v_cmpx_ge_u32_e64 s20, v5
; %bb.12:
	v_add_nc_u32_e32 v5, s22, v21
	v_add_nc_u32_e32 v6, s38, v21
	s_delay_alu instid0(VALU_DEP_2) | instskip(NEXT) | instid1(VALU_DEP_2)
	v_mul_lo_u32 v5, v5, s21
	v_mul_lo_u32 v6, v6, s23
	s_delay_alu instid0(VALU_DEP_1) | instskip(NEXT) | instid1(VALU_DEP_1)
	v_sub_nc_u32_e32 v5, v5, v6
	v_cmp_lt_u32_e64 s1, s39, v5
	s_delay_alu instid0(VALU_DEP_1)
	s_and_b32 s42, s1, exec_lo
; %bb.13:
	s_or_b32 exec_lo, exec_lo, s3
	v_add_nc_u32_e32 v5, s17, v18
	v_add_nc_u32_e32 v6, s19, v18
	s_mov_b32 s44, 0
	s_mov_b32 s43, 0
	s_mov_b32 s4, exec_lo
	v_mul_lo_u32 v5, v5, s16
	v_mul_lo_u32 v6, v6, s18
	s_delay_alu instid0(VALU_DEP_1) | instskip(NEXT) | instid1(VALU_DEP_1)
	v_sub_nc_u32_e32 v5, v5, v6
	v_cmp_lt_u32_e64 s1, s20, v5
	v_cmpx_ge_u32_e64 s20, v5
; %bb.14:
	v_add_nc_u32_e32 v5, s22, v18
	v_add_nc_u32_e32 v6, s38, v18
	s_delay_alu instid0(VALU_DEP_2) | instskip(NEXT) | instid1(VALU_DEP_2)
	v_mul_lo_u32 v5, v5, s21
	v_mul_lo_u32 v6, v6, s23
	s_delay_alu instid0(VALU_DEP_1) | instskip(NEXT) | instid1(VALU_DEP_1)
	v_sub_nc_u32_e32 v5, v5, v6
	v_cmp_lt_u32_e64 s3, s39, v5
	s_delay_alu instid0(VALU_DEP_1)
	s_and_b32 s43, s3, exec_lo
; %bb.15:
	s_or_b32 exec_lo, exec_lo, s4
	v_add_nc_u32_e32 v5, s17, v19
	v_add_nc_u32_e32 v6, s19, v19
	s_mov_b32 s5, exec_lo
	s_delay_alu instid0(VALU_DEP_2) | instskip(NEXT) | instid1(VALU_DEP_2)
	v_mul_lo_u32 v5, v5, s16
	v_mul_lo_u32 v6, v6, s18
	s_delay_alu instid0(VALU_DEP_1) | instskip(NEXT) | instid1(VALU_DEP_1)
	v_sub_nc_u32_e32 v5, v5, v6
	v_cmp_lt_u32_e64 s3, s20, v5
	v_cmpx_ge_u32_e64 s20, v5
; %bb.16:
	v_add_nc_u32_e32 v5, s22, v19
	v_add_nc_u32_e32 v6, s38, v19
	s_delay_alu instid0(VALU_DEP_2) | instskip(NEXT) | instid1(VALU_DEP_2)
	v_mul_lo_u32 v5, v5, s21
	v_mul_lo_u32 v6, v6, s23
	s_delay_alu instid0(VALU_DEP_1) | instskip(NEXT) | instid1(VALU_DEP_1)
	v_sub_nc_u32_e32 v5, v5, v6
	v_cmp_lt_u32_e64 s4, s39, v5
	s_delay_alu instid0(VALU_DEP_1)
	s_and_b32 s44, s4, exec_lo
; %bb.17:
	s_or_b32 exec_lo, exec_lo, s5
	v_add_nc_u32_e32 v5, s17, v16
	v_add_nc_u32_e32 v6, s19, v16
	s_mov_b32 s46, 0
	s_mov_b32 s45, 0
	s_mov_b32 s6, exec_lo
	v_mul_lo_u32 v5, v5, s16
	v_mul_lo_u32 v6, v6, s18
	s_delay_alu instid0(VALU_DEP_1) | instskip(NEXT) | instid1(VALU_DEP_1)
	v_sub_nc_u32_e32 v5, v5, v6
	v_cmp_lt_u32_e64 s4, s20, v5
	;; [unrolled: 47-line block ×5, first 2 shown]
	v_cmpx_ge_u32_e64 s20, v5
; %bb.30:
	v_add_nc_u32_e32 v5, s22, v10
	v_add_nc_u32_e32 v6, s38, v10
	s_delay_alu instid0(VALU_DEP_2) | instskip(NEXT) | instid1(VALU_DEP_2)
	v_mul_lo_u32 v5, v5, s21
	v_mul_lo_u32 v6, v6, s23
	s_delay_alu instid0(VALU_DEP_1) | instskip(NEXT) | instid1(VALU_DEP_1)
	v_sub_nc_u32_e32 v5, v5, v6
	v_cmp_lt_u32_e64 s11, s39, v5
	s_delay_alu instid0(VALU_DEP_1)
	s_and_b32 s53, s11, exec_lo
; %bb.31:
	s_or_b32 exec_lo, exec_lo, s12
	v_add_nc_u32_e32 v5, s17, v11
	v_add_nc_u32_e32 v6, s19, v11
	s_mov_b32 s27, exec_lo
	s_delay_alu instid0(VALU_DEP_2) | instskip(NEXT) | instid1(VALU_DEP_2)
	v_mul_lo_u32 v5, v5, s16
	v_mul_lo_u32 v6, v6, s18
	s_delay_alu instid0(VALU_DEP_1) | instskip(NEXT) | instid1(VALU_DEP_1)
	v_sub_nc_u32_e32 v5, v5, v6
	v_cmp_lt_u32_e64 s11, s20, v5
	v_cmpx_ge_u32_e64 s20, v5
; %bb.32:
	v_add_nc_u32_e32 v5, s22, v11
	v_add_nc_u32_e32 v6, s38, v11
	s_delay_alu instid0(VALU_DEP_2) | instskip(NEXT) | instid1(VALU_DEP_2)
	v_mul_lo_u32 v5, v5, s21
	v_mul_lo_u32 v6, v6, s23
	s_delay_alu instid0(VALU_DEP_1) | instskip(NEXT) | instid1(VALU_DEP_1)
	v_sub_nc_u32_e32 v5, v5, v6
	v_cmp_lt_u32_e64 s12, s39, v5
	s_delay_alu instid0(VALU_DEP_1)
	s_and_b32 s52, s12, exec_lo
; %bb.33:
	s_or_b32 exec_lo, exec_lo, s27
	v_add_nc_u32_e32 v5, s17, v32
	v_add_nc_u32_e32 v6, s19, v32
	s_mov_b32 s27, -1
	s_mov_b32 s49, 0
	s_mov_b32 s33, 0
	v_mul_lo_u32 v5, v5, s16
	v_mul_lo_u32 v6, v6, s18
	s_mov_b32 s54, exec_lo
	s_delay_alu instid0(VALU_DEP_1) | instskip(NEXT) | instid1(VALU_DEP_1)
	v_sub_nc_u32_e32 v5, v5, v6
	v_cmpx_ge_u32_e64 s20, v5
; %bb.34:
	v_add_nc_u32_e32 v5, s22, v32
	v_add_nc_u32_e32 v6, s38, v32
	s_xor_b32 s27, exec_lo, -1
	s_delay_alu instid0(VALU_DEP_2) | instskip(NEXT) | instid1(VALU_DEP_2)
	v_mul_lo_u32 v5, v5, s21
	v_mul_lo_u32 v6, v6, s23
	s_delay_alu instid0(VALU_DEP_1) | instskip(NEXT) | instid1(VALU_DEP_1)
	v_sub_nc_u32_e32 v5, v5, v6
	v_cmp_lt_u32_e64 s12, s39, v5
	s_delay_alu instid0(VALU_DEP_1)
	s_and_b32 s33, s12, exec_lo
; %bb.35:
	s_or_b32 exec_lo, exec_lo, s54
	v_cndmask_b32_e64 v53, 0, 1, s53
	v_cndmask_b32_e64 v56, 0, 1, s11
	;; [unrolled: 1-line block ×22, first 2 shown]
	v_cndmask_b32_e64 v34, 0, 1, vcc_lo
	v_cndmask_b32_e64 v57, 0, 1, s52
	s_and_b32 vcc_lo, exec_lo, s49
	s_add_i32 s4, s40, 0xd00
	s_cbranch_vccnz .LBB136_37
	s_branch .LBB136_90
.LBB136_36:
                                        ; implicit-def: $sgpr27
                                        ; implicit-def: $sgpr33
                                        ; implicit-def: $vgpr57
                                        ; implicit-def: $vgpr53
                                        ; implicit-def: $vgpr52
                                        ; implicit-def: $vgpr50
                                        ; implicit-def: $vgpr48
                                        ; implicit-def: $vgpr46
                                        ; implicit-def: $vgpr44
                                        ; implicit-def: $vgpr42
                                        ; implicit-def: $vgpr39
                                        ; implicit-def: $vgpr34
                                        ; implicit-def: $vgpr37
                                        ; implicit-def: $vgpr36
                                        ; implicit-def: $vgpr41
                                        ; implicit-def: $vgpr43
                                        ; implicit-def: $vgpr45
                                        ; implicit-def: $vgpr47
                                        ; implicit-def: $vgpr49
                                        ; implicit-def: $vgpr51
                                        ; implicit-def: $vgpr54
                                        ; implicit-def: $vgpr55
                                        ; implicit-def: $vgpr56
                                        ; implicit-def: $vgpr35
                                        ; implicit-def: $vgpr40
                                        ; implicit-def: $vgpr38
	s_add_i32 s4, s40, 0xd00
	s_cbranch_execz .LBB136_90
.LBB136_37:
	v_dual_mov_b32 v35, 0 :: v_dual_mov_b32 v34, 0
	s_mov_b32 s3, 0
	s_mov_b32 s1, exec_lo
	v_cmpx_gt_u32_e64 s4, v33
	s_cbranch_execz .LBB136_41
; %bb.38:
	v_add_nc_u32_e32 v5, s17, v20
	v_add_nc_u32_e32 v6, s19, v20
	s_mov_b32 s5, exec_lo
	s_delay_alu instid0(VALU_DEP_2) | instskip(NEXT) | instid1(VALU_DEP_2)
	v_mul_lo_u32 v5, v5, s16
	v_mul_lo_u32 v6, v6, s18
	s_delay_alu instid0(VALU_DEP_1) | instskip(NEXT) | instid1(VALU_DEP_1)
	v_sub_nc_u32_e32 v5, v5, v6
	v_cmp_lt_u32_e32 vcc_lo, s20, v5
	v_cmpx_ge_u32_e64 s20, v5
; %bb.39:
	v_add_nc_u32_e32 v5, s22, v20
	v_add_nc_u32_e32 v6, s38, v20
	s_delay_alu instid0(VALU_DEP_2) | instskip(NEXT) | instid1(VALU_DEP_2)
	v_mul_lo_u32 v5, v5, s21
	v_mul_lo_u32 v6, v6, s23
	s_delay_alu instid0(VALU_DEP_1) | instskip(NEXT) | instid1(VALU_DEP_1)
	v_sub_nc_u32_e32 v5, v5, v6
	v_cmp_lt_u32_e64 s0, s39, v5
	s_delay_alu instid0(VALU_DEP_1)
	s_and_b32 s3, s0, exec_lo
; %bb.40:
	s_or_b32 exec_lo, exec_lo, s5
	v_cndmask_b32_e64 v34, 0, 1, vcc_lo
	v_cndmask_b32_e64 v35, 0, 1, s3
.LBB136_41:
	s_or_b32 exec_lo, exec_lo, s1
	v_dual_mov_b32 v40, 0 :: v_dual_add_nc_u32 v5, 1, v33
	v_mov_b32_e32 v37, 0
	s_mov_b32 s3, 0
	s_mov_b32 s1, exec_lo
	s_delay_alu instid0(VALU_DEP_2)
	v_cmpx_gt_u32_e64 s4, v5
	s_cbranch_execz .LBB136_45
; %bb.42:
	v_add_nc_u32_e32 v5, s17, v21
	v_add_nc_u32_e32 v6, s19, v21
	s_mov_b32 s5, exec_lo
	s_delay_alu instid0(VALU_DEP_2) | instskip(NEXT) | instid1(VALU_DEP_2)
	v_mul_lo_u32 v5, v5, s16
	v_mul_lo_u32 v6, v6, s18
	s_delay_alu instid0(VALU_DEP_1) | instskip(NEXT) | instid1(VALU_DEP_1)
	v_sub_nc_u32_e32 v5, v5, v6
	v_cmp_lt_u32_e32 vcc_lo, s20, v5
	v_cmpx_ge_u32_e64 s20, v5
; %bb.43:
	v_add_nc_u32_e32 v5, s22, v21
	v_add_nc_u32_e32 v6, s38, v21
	s_delay_alu instid0(VALU_DEP_2) | instskip(NEXT) | instid1(VALU_DEP_2)
	v_mul_lo_u32 v5, v5, s21
	v_mul_lo_u32 v6, v6, s23
	s_delay_alu instid0(VALU_DEP_1) | instskip(NEXT) | instid1(VALU_DEP_1)
	v_sub_nc_u32_e32 v5, v5, v6
	v_cmp_lt_u32_e64 s0, s39, v5
	s_delay_alu instid0(VALU_DEP_1)
	s_and_b32 s3, s0, exec_lo
; %bb.44:
	s_or_b32 exec_lo, exec_lo, s5
	v_cndmask_b32_e64 v37, 0, 1, vcc_lo
	v_cndmask_b32_e64 v40, 0, 1, s3
.LBB136_45:
	s_or_b32 exec_lo, exec_lo, s1
	v_dual_mov_b32 v36, 0 :: v_dual_add_nc_u32 v5, 2, v33
	v_mov_b32_e32 v38, 0
	s_mov_b32 s3, 0
	s_mov_b32 s1, exec_lo
	s_delay_alu instid0(VALU_DEP_2)
	v_cmpx_gt_u32_e64 s4, v5
	s_cbranch_execz .LBB136_49
; %bb.46:
	v_add_nc_u32_e32 v5, s17, v18
	v_add_nc_u32_e32 v6, s19, v18
	s_mov_b32 s5, exec_lo
	s_delay_alu instid0(VALU_DEP_2) | instskip(NEXT) | instid1(VALU_DEP_2)
	v_mul_lo_u32 v5, v5, s16
	v_mul_lo_u32 v6, v6, s18
	s_delay_alu instid0(VALU_DEP_1) | instskip(NEXT) | instid1(VALU_DEP_1)
	v_sub_nc_u32_e32 v5, v5, v6
	v_cmp_lt_u32_e32 vcc_lo, s20, v5
	v_cmpx_ge_u32_e64 s20, v5
; %bb.47:
	v_add_nc_u32_e32 v5, s22, v18
	v_add_nc_u32_e32 v6, s38, v18
	s_delay_alu instid0(VALU_DEP_2) | instskip(NEXT) | instid1(VALU_DEP_2)
	v_mul_lo_u32 v5, v5, s21
	v_mul_lo_u32 v6, v6, s23
	s_delay_alu instid0(VALU_DEP_1) | instskip(NEXT) | instid1(VALU_DEP_1)
	v_sub_nc_u32_e32 v5, v5, v6
	v_cmp_lt_u32_e64 s0, s39, v5
	s_delay_alu instid0(VALU_DEP_1)
	s_and_b32 s3, s0, exec_lo
; %bb.48:
	s_or_b32 exec_lo, exec_lo, s5
	v_cndmask_b32_e64 v36, 0, 1, vcc_lo
	v_cndmask_b32_e64 v38, 0, 1, s3
.LBB136_49:
	s_or_b32 exec_lo, exec_lo, s1
	v_add_nc_u32_e32 v5, 3, v33
	v_mov_b32_e32 v39, 0
	v_mov_b32_e32 v41, 0
	s_mov_b32 s3, 0
	s_mov_b32 s1, exec_lo
	v_cmpx_gt_u32_e64 s4, v5
	s_cbranch_execz .LBB136_53
; %bb.50:
	v_add_nc_u32_e32 v5, s17, v19
	v_add_nc_u32_e32 v6, s19, v19
	s_mov_b32 s5, exec_lo
	s_delay_alu instid0(VALU_DEP_2) | instskip(NEXT) | instid1(VALU_DEP_2)
	v_mul_lo_u32 v5, v5, s16
	v_mul_lo_u32 v6, v6, s18
	s_delay_alu instid0(VALU_DEP_1) | instskip(NEXT) | instid1(VALU_DEP_1)
	v_sub_nc_u32_e32 v5, v5, v6
	v_cmp_lt_u32_e32 vcc_lo, s20, v5
	v_cmpx_ge_u32_e64 s20, v5
; %bb.51:
	v_add_nc_u32_e32 v5, s22, v19
	v_add_nc_u32_e32 v6, s38, v19
	s_delay_alu instid0(VALU_DEP_2) | instskip(NEXT) | instid1(VALU_DEP_2)
	v_mul_lo_u32 v5, v5, s21
	v_mul_lo_u32 v6, v6, s23
	s_delay_alu instid0(VALU_DEP_1) | instskip(NEXT) | instid1(VALU_DEP_1)
	v_sub_nc_u32_e32 v5, v5, v6
	v_cmp_lt_u32_e64 s0, s39, v5
	s_delay_alu instid0(VALU_DEP_1)
	s_and_b32 s3, s0, exec_lo
; %bb.52:
	s_or_b32 exec_lo, exec_lo, s5
	v_cndmask_b32_e64 v41, 0, 1, vcc_lo
	v_cndmask_b32_e64 v39, 0, 1, s3
.LBB136_53:
	s_or_b32 exec_lo, exec_lo, s1
	v_dual_mov_b32 v42, 0 :: v_dual_add_nc_u32 v5, 4, v33
	v_mov_b32_e32 v43, 0
	s_mov_b32 s3, 0
	s_mov_b32 s1, exec_lo
	s_delay_alu instid0(VALU_DEP_2)
	v_cmpx_gt_u32_e64 s4, v5
	s_cbranch_execz .LBB136_57
; %bb.54:
	v_add_nc_u32_e32 v5, s17, v16
	v_add_nc_u32_e32 v6, s19, v16
	s_mov_b32 s5, exec_lo
	s_delay_alu instid0(VALU_DEP_2) | instskip(NEXT) | instid1(VALU_DEP_2)
	v_mul_lo_u32 v5, v5, s16
	v_mul_lo_u32 v6, v6, s18
	s_delay_alu instid0(VALU_DEP_1) | instskip(NEXT) | instid1(VALU_DEP_1)
	v_sub_nc_u32_e32 v5, v5, v6
	v_cmp_lt_u32_e32 vcc_lo, s20, v5
	v_cmpx_ge_u32_e64 s20, v5
; %bb.55:
	v_add_nc_u32_e32 v5, s22, v16
	v_add_nc_u32_e32 v6, s38, v16
	s_delay_alu instid0(VALU_DEP_2) | instskip(NEXT) | instid1(VALU_DEP_2)
	v_mul_lo_u32 v5, v5, s21
	v_mul_lo_u32 v6, v6, s23
	s_delay_alu instid0(VALU_DEP_1) | instskip(NEXT) | instid1(VALU_DEP_1)
	v_sub_nc_u32_e32 v5, v5, v6
	v_cmp_lt_u32_e64 s0, s39, v5
	s_delay_alu instid0(VALU_DEP_1)
	s_and_b32 s3, s0, exec_lo
; %bb.56:
	s_or_b32 exec_lo, exec_lo, s5
	v_cndmask_b32_e64 v43, 0, 1, vcc_lo
	v_cndmask_b32_e64 v42, 0, 1, s3
.LBB136_57:
	s_or_b32 exec_lo, exec_lo, s1
	v_dual_mov_b32 v44, 0 :: v_dual_add_nc_u32 v5, 5, v33
	v_mov_b32_e32 v45, 0
	s_mov_b32 s3, 0
	s_mov_b32 s1, exec_lo
	s_delay_alu instid0(VALU_DEP_2)
	;; [unrolled: 35-line block ×6, first 2 shown]
	v_cmpx_gt_u32_e64 s4, v5
	s_cbranch_execz .LBB136_77
; %bb.74:
	v_add_nc_u32_e32 v5, s17, v13
	v_add_nc_u32_e32 v6, s19, v13
	s_mov_b32 s5, exec_lo
	s_delay_alu instid0(VALU_DEP_2) | instskip(NEXT) | instid1(VALU_DEP_2)
	v_mul_lo_u32 v5, v5, s16
	v_mul_lo_u32 v6, v6, s18
	s_delay_alu instid0(VALU_DEP_1) | instskip(NEXT) | instid1(VALU_DEP_1)
	v_sub_nc_u32_e32 v5, v5, v6
	v_cmp_lt_u32_e32 vcc_lo, s20, v5
	v_cmpx_ge_u32_e64 s20, v5
; %bb.75:
	v_add_nc_u32_e32 v5, s22, v13
	v_add_nc_u32_e32 v6, s38, v13
	s_delay_alu instid0(VALU_DEP_2) | instskip(NEXT) | instid1(VALU_DEP_2)
	v_mul_lo_u32 v5, v5, s21
	v_mul_lo_u32 v6, v6, s23
	s_delay_alu instid0(VALU_DEP_1) | instskip(NEXT) | instid1(VALU_DEP_1)
	v_sub_nc_u32_e32 v5, v5, v6
	v_cmp_lt_u32_e64 s0, s39, v5
	s_delay_alu instid0(VALU_DEP_1)
	s_and_b32 s3, s0, exec_lo
; %bb.76:
	s_or_b32 exec_lo, exec_lo, s5
	v_cndmask_b32_e64 v54, 0, 1, vcc_lo
	v_cndmask_b32_e64 v52, 0, 1, s3
.LBB136_77:
	s_or_b32 exec_lo, exec_lo, s1
	v_add_nc_u32_e32 v5, 10, v33
	v_mov_b32_e32 v53, 0
	v_mov_b32_e32 v55, 0
	s_mov_b32 s3, 0
	s_mov_b32 s1, exec_lo
	v_cmpx_gt_u32_e64 s4, v5
	s_cbranch_execz .LBB136_81
; %bb.78:
	v_add_nc_u32_e32 v5, s17, v10
	v_add_nc_u32_e32 v6, s19, v10
	s_mov_b32 s5, exec_lo
	s_delay_alu instid0(VALU_DEP_2) | instskip(NEXT) | instid1(VALU_DEP_2)
	v_mul_lo_u32 v5, v5, s16
	v_mul_lo_u32 v6, v6, s18
	s_delay_alu instid0(VALU_DEP_1) | instskip(NEXT) | instid1(VALU_DEP_1)
	v_sub_nc_u32_e32 v5, v5, v6
	v_cmp_lt_u32_e32 vcc_lo, s20, v5
	v_cmpx_ge_u32_e64 s20, v5
; %bb.79:
	v_add_nc_u32_e32 v5, s22, v10
	v_add_nc_u32_e32 v6, s38, v10
	s_delay_alu instid0(VALU_DEP_2) | instskip(NEXT) | instid1(VALU_DEP_2)
	v_mul_lo_u32 v5, v5, s21
	v_mul_lo_u32 v6, v6, s23
	s_delay_alu instid0(VALU_DEP_1) | instskip(NEXT) | instid1(VALU_DEP_1)
	v_sub_nc_u32_e32 v5, v5, v6
	v_cmp_lt_u32_e64 s0, s39, v5
	s_delay_alu instid0(VALU_DEP_1)
	s_and_b32 s3, s0, exec_lo
; %bb.80:
	s_or_b32 exec_lo, exec_lo, s5
	v_cndmask_b32_e64 v55, 0, 1, vcc_lo
	v_cndmask_b32_e64 v53, 0, 1, s3
.LBB136_81:
	s_or_b32 exec_lo, exec_lo, s1
	v_dual_mov_b32 v56, 0 :: v_dual_add_nc_u32 v5, 11, v33
	v_mov_b32_e32 v57, 0
	s_mov_b32 s3, 0
	s_mov_b32 s1, exec_lo
	s_delay_alu instid0(VALU_DEP_2)
	v_cmpx_gt_u32_e64 s4, v5
	s_cbranch_execz .LBB136_85
; %bb.82:
	v_add_nc_u32_e32 v5, s17, v11
	v_add_nc_u32_e32 v6, s19, v11
	s_mov_b32 s5, exec_lo
	s_delay_alu instid0(VALU_DEP_2) | instskip(NEXT) | instid1(VALU_DEP_2)
	v_mul_lo_u32 v5, v5, s16
	v_mul_lo_u32 v6, v6, s18
	s_delay_alu instid0(VALU_DEP_1) | instskip(NEXT) | instid1(VALU_DEP_1)
	v_sub_nc_u32_e32 v5, v5, v6
	v_cmp_lt_u32_e32 vcc_lo, s20, v5
	v_cmpx_ge_u32_e64 s20, v5
; %bb.83:
	v_add_nc_u32_e32 v5, s22, v11
	v_add_nc_u32_e32 v6, s38, v11
	s_delay_alu instid0(VALU_DEP_2) | instskip(NEXT) | instid1(VALU_DEP_2)
	v_mul_lo_u32 v5, v5, s21
	v_mul_lo_u32 v6, v6, s23
	s_delay_alu instid0(VALU_DEP_1) | instskip(NEXT) | instid1(VALU_DEP_1)
	v_sub_nc_u32_e32 v5, v5, v6
	v_cmp_lt_u32_e64 s0, s39, v5
	s_delay_alu instid0(VALU_DEP_1)
	s_and_b32 s3, s0, exec_lo
; %bb.84:
	s_or_b32 exec_lo, exec_lo, s5
	v_cndmask_b32_e64 v56, 0, 1, vcc_lo
	v_cndmask_b32_e64 v57, 0, 1, s3
.LBB136_85:
	s_or_b32 exec_lo, exec_lo, s1
	v_add_nc_u32_e32 v5, 12, v33
	s_mov_b32 s27, 0
	s_mov_b32 s33, 0
	s_mov_b32 s0, exec_lo
	s_delay_alu instid0(VALU_DEP_1)
	v_cmpx_gt_u32_e64 s4, v5
	s_cbranch_execz .LBB136_89
; %bb.86:
	v_add_nc_u32_e32 v5, s17, v32
	v_add_nc_u32_e32 v6, s19, v32
	s_mov_b32 s3, -1
	s_mov_b32 s5, 0
	s_mov_b32 s1, exec_lo
	v_mul_lo_u32 v5, v5, s16
	v_mul_lo_u32 v6, v6, s18
	s_delay_alu instid0(VALU_DEP_1) | instskip(NEXT) | instid1(VALU_DEP_1)
	v_sub_nc_u32_e32 v5, v5, v6
	v_cmpx_ge_u32_e64 s20, v5
; %bb.87:
	v_add_nc_u32_e32 v5, s22, v32
	v_add_nc_u32_e32 v6, s38, v32
	s_xor_b32 s3, exec_lo, -1
	s_delay_alu instid0(VALU_DEP_2) | instskip(NEXT) | instid1(VALU_DEP_2)
	v_mul_lo_u32 v5, v5, s21
	v_mul_lo_u32 v6, v6, s23
	s_delay_alu instid0(VALU_DEP_1) | instskip(NEXT) | instid1(VALU_DEP_1)
	v_sub_nc_u32_e32 v5, v5, v6
	v_cmp_lt_u32_e32 vcc_lo, s39, v5
	s_and_b32 s5, vcc_lo, exec_lo
; %bb.88:
	s_or_b32 exec_lo, exec_lo, s1
	s_delay_alu instid0(SALU_CYCLE_1)
	s_and_b32 s33, s5, exec_lo
	s_and_b32 s27, s3, exec_lo
.LBB136_89:
	s_or_b32 exec_lo, exec_lo, s0
.LBB136_90:
	v_and_b32_e32 v80, 0xff, v34
	v_and_b32_e32 v81, 0xff, v35
	;; [unrolled: 1-line block ×10, first 2 shown]
	v_add3_u32 v5, v76, v78, v80
	v_add3_u32 v6, v77, v79, v81
	v_and_b32_e32 v70, 0xff, v45
	v_and_b32_e32 v71, 0xff, v44
	v_and_b32_e32 v64, 0xff, v47
	v_and_b32_e32 v65, 0xff, v46
	v_add3_u32 v5, v5, v74, v72
	v_add3_u32 v6, v6, v75, v73
	v_and_b32_e32 v68, 0xff, v49
	v_and_b32_e32 v69, 0xff, v48
	v_and_b32_e32 v66, 0xff, v51
	v_and_b32_e32 v67, 0xff, v50
	;; [unrolled: 6-line block ×3, first 2 shown]
	v_add3_u32 v5, v5, v68, v66
	v_add3_u32 v6, v6, v69, v67
	v_mbcnt_lo_u32_b32 v82, -1, 0
	v_and_b32_e32 v58, 0xff, v56
	v_and_b32_e32 v59, 0xff, v57
	v_cndmask_b32_e64 v7, 0, 1, s33
	v_add3_u32 v5, v5, v61, v60
	v_cndmask_b32_e64 v8, 0, 1, s27
	v_add3_u32 v6, v6, v62, v63
	v_and_b32_e32 v86, 15, v82
	v_and_b32_e32 v85, 16, v82
	v_lshrrev_b32_e32 v83, 5, v0
	v_add3_u32 v87, v5, v58, v8
	v_add3_u32 v88, v6, v59, v7
	v_cmp_eq_u32_e64 s1, 0, v86
	v_cmp_lt_u32_e64 s0, 1, v86
	v_cmp_lt_u32_e64 s3, 3, v86
	v_cmp_lt_u32_e32 vcc_lo, 7, v86
	v_or_b32_e32 v84, 31, v0
	s_cmp_lg_u32 s26, 0
	s_mov_b32 s5, -1
	s_cbranch_scc0 .LBB136_123
; %bb.91:
	v_mov_b32_dpp v5, v88 row_shr:1 row_mask:0xf bank_mask:0xf
	v_mov_b32_dpp v6, v87 row_shr:1 row_mask:0xf bank_mask:0xf
	s_delay_alu instid0(VALU_DEP_2) | instskip(NEXT) | instid1(VALU_DEP_2)
	v_add_nc_u32_e32 v5, v5, v88
	v_add_nc_u32_e32 v6, v6, v87
	s_delay_alu instid0(VALU_DEP_2) | instskip(NEXT) | instid1(VALU_DEP_2)
	v_cndmask_b32_e64 v5, v5, v88, s1
	v_cndmask_b32_e64 v6, v6, v87, s1
	s_delay_alu instid0(VALU_DEP_2) | instskip(NEXT) | instid1(VALU_DEP_2)
	v_mov_b32_dpp v7, v5 row_shr:2 row_mask:0xf bank_mask:0xf
	v_mov_b32_dpp v8, v6 row_shr:2 row_mask:0xf bank_mask:0xf
	s_delay_alu instid0(VALU_DEP_2) | instskip(NEXT) | instid1(VALU_DEP_1)
	v_add_nc_u32_e32 v7, v5, v7
	v_cndmask_b32_e64 v5, v5, v7, s0
	s_delay_alu instid0(VALU_DEP_1) | instskip(NEXT) | instid1(VALU_DEP_1)
	v_mov_b32_dpp v7, v5 row_shr:4 row_mask:0xf bank_mask:0xf
	v_add_nc_u32_e32 v7, v5, v7
	s_delay_alu instid0(VALU_DEP_1) | instskip(NEXT) | instid1(VALU_DEP_1)
	v_cndmask_b32_e64 v5, v5, v7, s3
	v_mov_b32_dpp v7, v5 row_shr:8 row_mask:0xf bank_mask:0xf
	s_delay_alu instid0(VALU_DEP_1) | instskip(NEXT) | instid1(VALU_DEP_1)
	v_add_nc_u32_e32 v7, v5, v7
	v_dual_cndmask_b32 v5, v5, v7 :: v_dual_add_nc_u32 v8, v6, v8
	s_delay_alu instid0(VALU_DEP_1) | instskip(NEXT) | instid1(VALU_DEP_1)
	v_cndmask_b32_e64 v6, v6, v8, s0
	v_mov_b32_dpp v8, v6 row_shr:4 row_mask:0xf bank_mask:0xf
	s_delay_alu instid0(VALU_DEP_1) | instskip(NEXT) | instid1(VALU_DEP_1)
	v_add_nc_u32_e32 v8, v6, v8
	v_cndmask_b32_e64 v6, v6, v8, s3
	s_mov_b32 s3, exec_lo
	s_delay_alu instid0(VALU_DEP_1) | instskip(NEXT) | instid1(VALU_DEP_1)
	v_mov_b32_dpp v8, v6 row_shr:8 row_mask:0xf bank_mask:0xf
	v_add_nc_u32_e32 v8, v6, v8
	s_delay_alu instid0(VALU_DEP_1)
	v_cndmask_b32_e32 v7, v6, v8, vcc_lo
	ds_swizzle_b32 v6, v5 offset:swizzle(BROADCAST,32,15)
	v_cmp_eq_u32_e32 vcc_lo, 0, v85
	s_waitcnt lgkmcnt(0)
	v_add_nc_u32_e32 v6, v5, v6
	ds_swizzle_b32 v8, v7 offset:swizzle(BROADCAST,32,15)
	v_cndmask_b32_e32 v6, v6, v5, vcc_lo
	s_waitcnt lgkmcnt(0)
	v_add_nc_u32_e32 v8, v7, v8
	s_delay_alu instid0(VALU_DEP_1)
	v_cndmask_b32_e32 v5, v8, v7, vcc_lo
	v_cmpx_eq_u32_e64 v84, v0
	s_cbranch_execz .LBB136_93
; %bb.92:
	v_lshlrev_b32_e32 v7, 3, v83
	ds_store_b64 v7, v[5:6]
.LBB136_93:
	s_or_b32 exec_lo, exec_lo, s3
	s_delay_alu instid0(SALU_CYCLE_1)
	s_mov_b32 s3, exec_lo
	s_waitcnt lgkmcnt(0)
	s_barrier
	buffer_gl0_inv
	v_cmpx_gt_u32_e32 8, v0
	s_cbranch_execz .LBB136_95
; %bb.94:
	v_lshlrev_b32_e32 v9, 3, v0
	ds_load_b64 v[7:8], v9
	s_waitcnt lgkmcnt(0)
	v_mov_b32_dpp v22, v7 row_shr:1 row_mask:0xf bank_mask:0xf
	v_mov_b32_dpp v23, v8 row_shr:1 row_mask:0xf bank_mask:0xf
	s_delay_alu instid0(VALU_DEP_2) | instskip(SKIP_1) | instid1(VALU_DEP_3)
	v_add_nc_u32_e32 v22, v22, v7
	v_and_b32_e32 v24, 7, v82
	v_add_nc_u32_e32 v23, v23, v8
	s_delay_alu instid0(VALU_DEP_2) | instskip(NEXT) | instid1(VALU_DEP_2)
	v_cmp_eq_u32_e32 vcc_lo, 0, v24
	v_dual_cndmask_b32 v8, v23, v8 :: v_dual_cndmask_b32 v7, v22, v7
	v_cmp_lt_u32_e32 vcc_lo, 1, v24
	s_delay_alu instid0(VALU_DEP_2) | instskip(NEXT) | instid1(VALU_DEP_3)
	v_mov_b32_dpp v23, v8 row_shr:2 row_mask:0xf bank_mask:0xf
	v_mov_b32_dpp v22, v7 row_shr:2 row_mask:0xf bank_mask:0xf
	s_delay_alu instid0(VALU_DEP_2) | instskip(NEXT) | instid1(VALU_DEP_2)
	v_add_nc_u32_e32 v23, v8, v23
	v_add_nc_u32_e32 v22, v7, v22
	s_delay_alu instid0(VALU_DEP_1) | instskip(SKIP_1) | instid1(VALU_DEP_2)
	v_dual_cndmask_b32 v8, v8, v23 :: v_dual_cndmask_b32 v7, v7, v22
	v_cmp_lt_u32_e32 vcc_lo, 3, v24
	v_mov_b32_dpp v23, v8 row_shr:4 row_mask:0xf bank_mask:0xf
	s_delay_alu instid0(VALU_DEP_3) | instskip(NEXT) | instid1(VALU_DEP_1)
	v_mov_b32_dpp v22, v7 row_shr:4 row_mask:0xf bank_mask:0xf
	v_dual_cndmask_b32 v23, 0, v23 :: v_dual_cndmask_b32 v22, 0, v22
	s_delay_alu instid0(VALU_DEP_1) | instskip(NEXT) | instid1(VALU_DEP_2)
	v_add_nc_u32_e32 v8, v23, v8
	v_add_nc_u32_e32 v7, v22, v7
	ds_store_b64 v9, v[7:8]
.LBB136_95:
	s_or_b32 exec_lo, exec_lo, s3
	v_cmp_gt_u32_e32 vcc_lo, 32, v0
	v_cmp_lt_u32_e64 s3, 31, v0
	s_waitcnt lgkmcnt(0)
	s_barrier
	buffer_gl0_inv
                                        ; implicit-def: $vgpr23
	s_and_saveexec_b32 s5, s3
	s_delay_alu instid0(SALU_CYCLE_1)
	s_xor_b32 s3, exec_lo, s5
	s_cbranch_execz .LBB136_97
; %bb.96:
	v_lshl_add_u32 v7, v83, 3, -8
	ds_load_b64 v[22:23], v7
	s_waitcnt lgkmcnt(0)
	v_add_nc_u32_e32 v6, v23, v6
	v_add_nc_u32_e32 v5, v22, v5
.LBB136_97:
	s_and_not1_saveexec_b32 s3, s3
; %bb.98:
                                        ; implicit-def: $vgpr22
; %bb.99:
	s_delay_alu instid0(SALU_CYCLE_1) | instskip(SKIP_1) | instid1(VALU_DEP_1)
	s_or_b32 exec_lo, exec_lo, s3
	v_add_nc_u32_e32 v7, -1, v82
	v_cmp_gt_i32_e64 s3, 0, v7
	s_delay_alu instid0(VALU_DEP_1) | instskip(SKIP_1) | instid1(VALU_DEP_2)
	v_cndmask_b32_e64 v7, v7, v82, s3
	v_cmp_eq_u32_e64 s3, 0, v82
	v_lshlrev_b32_e32 v7, 2, v7
	ds_bpermute_b32 v89, v7, v5
	ds_bpermute_b32 v90, v7, v6
	s_and_saveexec_b32 s5, vcc_lo
	s_cbranch_execz .LBB136_122
; %bb.100:
	v_mov_b32_e32 v8, 0
	ds_load_b64 v[5:6], v8 offset:56
	s_waitcnt lgkmcnt(0)
	v_readfirstlane_b32 s6, v6
	s_and_saveexec_b32 s7, s3
	s_cbranch_execz .LBB136_102
; %bb.101:
	s_add_i32 s8, s26, 32
	s_mov_b32 s9, 0
	v_mov_b32_e32 v7, 1
	s_lshl_b64 s[10:11], s[8:9], 4
	s_mov_b32 s16, s9
	s_add_u32 s10, s36, s10
	s_addc_u32 s11, s37, s11
	s_and_b32 s17, s6, 0xff000000
	s_and_b32 s19, s6, 0xff0000
	s_mov_b32 s18, s9
	v_dual_mov_b32 v25, s11 :: v_dual_mov_b32 v24, s10
	s_or_b64 s[16:17], s[18:19], s[16:17]
	s_and_b32 s19, s6, 0xff00
	s_delay_alu instid0(SALU_CYCLE_1) | instskip(SKIP_1) | instid1(SALU_CYCLE_1)
	s_or_b64 s[16:17], s[16:17], s[18:19]
	s_and_b32 s19, s6, 0xff
	s_or_b64 s[8:9], s[16:17], s[18:19]
	s_delay_alu instid0(SALU_CYCLE_1)
	v_mov_b32_e32 v6, s9
	;;#ASMSTART
	global_store_dwordx4 v[24:25], v[5:8] off	
s_waitcnt vmcnt(0)
	;;#ASMEND
.LBB136_102:
	s_or_b32 exec_lo, exec_lo, s7
	v_xad_u32 v24, v82, -1, s26
	s_mov_b32 s8, 0
	s_mov_b32 s7, exec_lo
	s_delay_alu instid0(VALU_DEP_1) | instskip(NEXT) | instid1(VALU_DEP_1)
	v_add_nc_u32_e32 v7, 32, v24
	v_lshlrev_b64 v[6:7], 4, v[7:8]
	s_delay_alu instid0(VALU_DEP_1) | instskip(NEXT) | instid1(VALU_DEP_2)
	v_add_co_u32 v25, vcc_lo, s36, v6
	v_add_co_ci_u32_e32 v26, vcc_lo, s37, v7, vcc_lo
	;;#ASMSTART
	global_load_dwordx4 v[6:9], v[25:26] off glc	
s_waitcnt vmcnt(0)
	;;#ASMEND
	v_and_b32_e32 v9, 0xff, v7
	v_and_b32_e32 v27, 0xff00, v7
	v_or3_b32 v6, v6, 0, 0
	v_and_b32_e32 v28, 0xff000000, v7
	v_and_b32_e32 v7, 0xff0000, v7
	s_delay_alu instid0(VALU_DEP_4) | instskip(SKIP_2) | instid1(VALU_DEP_3)
	v_or3_b32 v9, 0, v9, v27
	v_and_b32_e32 v27, 0xff, v8
	v_or3_b32 v6, v6, 0, 0
	v_or3_b32 v7, v9, v7, v28
	s_delay_alu instid0(VALU_DEP_3)
	v_cmpx_eq_u16_e32 0, v27
	s_cbranch_execz .LBB136_108
; %bb.103:
	s_mov_b32 s9, 1
	.p2align	6
.LBB136_104:                            ; =>This Loop Header: Depth=1
                                        ;     Child Loop BB136_105 Depth 2
	s_delay_alu instid0(SALU_CYCLE_1)
	s_max_u32 s10, s9, 1
.LBB136_105:                            ;   Parent Loop BB136_104 Depth=1
                                        ; =>  This Inner Loop Header: Depth=2
	s_delay_alu instid0(SALU_CYCLE_1)
	s_add_i32 s10, s10, -1
	s_sleep 1
	s_cmp_eq_u32 s10, 0
	s_cbranch_scc0 .LBB136_105
; %bb.106:                              ;   in Loop: Header=BB136_104 Depth=1
	;;#ASMSTART
	global_load_dwordx4 v[6:9], v[25:26] off glc	
s_waitcnt vmcnt(0)
	;;#ASMEND
	v_and_b32_e32 v9, 0xff, v8
	s_cmp_lt_u32 s9, 32
	s_cselect_b32 s10, -1, 0
	s_delay_alu instid0(SALU_CYCLE_1) | instskip(NEXT) | instid1(VALU_DEP_1)
	s_cmp_lg_u32 s10, 0
	v_cmp_ne_u16_e32 vcc_lo, 0, v9
	s_addc_u32 s9, s9, 0
	s_or_b32 s8, vcc_lo, s8
	s_delay_alu instid0(SALU_CYCLE_1)
	s_and_not1_b32 exec_lo, exec_lo, s8
	s_cbranch_execnz .LBB136_104
; %bb.107:
	s_or_b32 exec_lo, exec_lo, s8
.LBB136_108:
	s_delay_alu instid0(SALU_CYCLE_1) | instskip(SKIP_3) | instid1(VALU_DEP_1)
	s_or_b32 exec_lo, exec_lo, s7
	v_cmp_ne_u32_e32 vcc_lo, 31, v82
	v_lshlrev_b32_e64 v92, v82, -1
	v_add_co_ci_u32_e32 v9, vcc_lo, 0, v82, vcc_lo
	v_lshlrev_b32_e32 v91, 2, v9
	ds_bpermute_b32 v25, v91, v7
	ds_bpermute_b32 v9, v91, v6
	s_waitcnt lgkmcnt(1)
	v_add_nc_u32_e32 v25, v25, v7
	v_and_b32_e32 v26, 0xff, v8
	s_waitcnt lgkmcnt(0)
	v_add_nc_u32_e32 v9, v9, v6
	s_delay_alu instid0(VALU_DEP_2) | instskip(SKIP_2) | instid1(VALU_DEP_2)
	v_cmp_eq_u16_e32 vcc_lo, 2, v26
	v_and_or_b32 v26, vcc_lo, v92, 0x80000000
	v_cmp_gt_u32_e32 vcc_lo, 30, v82
	v_ctz_i32_b32_e32 v26, v26
	v_cndmask_b32_e64 v27, 0, 1, vcc_lo
	s_delay_alu instid0(VALU_DEP_2) | instskip(NEXT) | instid1(VALU_DEP_2)
	v_cmp_lt_u32_e32 vcc_lo, v82, v26
	v_dual_cndmask_b32 v6, v6, v9 :: v_dual_lshlrev_b32 v27, 1, v27
	s_delay_alu instid0(VALU_DEP_1)
	v_add_lshl_u32 v93, v27, v82, 2
	v_cndmask_b32_e32 v7, v7, v25, vcc_lo
	v_cmp_gt_u32_e32 vcc_lo, 28, v82
	ds_bpermute_b32 v9, v93, v6
	ds_bpermute_b32 v25, v93, v7
	v_cndmask_b32_e64 v27, 0, 1, vcc_lo
	s_waitcnt lgkmcnt(1)
	v_add_nc_u32_e32 v9, v6, v9
	s_waitcnt lgkmcnt(0)
	v_add_nc_u32_e32 v25, v7, v25
	v_add_nc_u32_e32 v94, 2, v82
	s_delay_alu instid0(VALU_DEP_1) | instskip(NEXT) | instid1(VALU_DEP_3)
	v_cmp_gt_u32_e32 vcc_lo, v94, v26
	v_cndmask_b32_e32 v7, v25, v7, vcc_lo
	v_dual_cndmask_b32 v6, v9, v6 :: v_dual_lshlrev_b32 v27, 2, v27
	v_cmp_gt_u32_e32 vcc_lo, 24, v82
	s_delay_alu instid0(VALU_DEP_2) | instskip(SKIP_4) | instid1(VALU_DEP_1)
	v_add_lshl_u32 v95, v27, v82, 2
	v_cndmask_b32_e64 v27, 0, 1, vcc_lo
	ds_bpermute_b32 v25, v95, v7
	ds_bpermute_b32 v9, v95, v6
	v_lshlrev_b32_e32 v27, 3, v27
	v_add_lshl_u32 v97, v27, v82, 2
	s_waitcnt lgkmcnt(1)
	v_add_nc_u32_e32 v25, v7, v25
	v_add_nc_u32_e32 v96, 4, v82
	s_waitcnt lgkmcnt(0)
	v_add_nc_u32_e32 v9, v6, v9
	s_delay_alu instid0(VALU_DEP_2) | instskip(SKIP_1) | instid1(VALU_DEP_3)
	v_cmp_gt_u32_e32 vcc_lo, v96, v26
	v_cndmask_b32_e32 v7, v25, v7, vcc_lo
	v_cndmask_b32_e32 v6, v9, v6, vcc_lo
	v_cmp_gt_u32_e32 vcc_lo, 16, v82
	ds_bpermute_b32 v25, v97, v7
	ds_bpermute_b32 v9, v97, v6
	v_cndmask_b32_e64 v27, 0, 1, vcc_lo
	s_delay_alu instid0(VALU_DEP_1) | instskip(NEXT) | instid1(VALU_DEP_1)
	v_lshlrev_b32_e32 v27, 4, v27
	v_add_lshl_u32 v99, v27, v82, 2
	s_waitcnt lgkmcnt(1)
	v_add_nc_u32_e32 v25, v7, v25
	v_add_nc_u32_e32 v98, 8, v82
	s_waitcnt lgkmcnt(0)
	v_add_nc_u32_e32 v9, v6, v9
	s_delay_alu instid0(VALU_DEP_2) | instskip(SKIP_1) | instid1(VALU_DEP_3)
	v_cmp_gt_u32_e32 vcc_lo, v98, v26
	v_cndmask_b32_e32 v7, v25, v7, vcc_lo
	v_cndmask_b32_e32 v6, v9, v6, vcc_lo
	ds_bpermute_b32 v25, v99, v7
	ds_bpermute_b32 v9, v99, v6
	v_add_nc_u32_e32 v100, 16, v82
	s_delay_alu instid0(VALU_DEP_1) | instskip(SKIP_2) | instid1(VALU_DEP_1)
	v_cmp_le_u32_e32 vcc_lo, v100, v26
	s_waitcnt lgkmcnt(0)
	v_cndmask_b32_e32 v9, 0, v9, vcc_lo
	v_dual_cndmask_b32 v25, 0, v25 :: v_dual_add_nc_u32 v6, v9, v6
	s_delay_alu instid0(VALU_DEP_1)
	v_add_nc_u32_e32 v7, v25, v7
	v_mov_b32_e32 v25, 0
	s_branch .LBB136_110
.LBB136_109:                            ;   in Loop: Header=BB136_110 Depth=1
	s_or_b32 exec_lo, exec_lo, s7
	ds_bpermute_b32 v9, v91, v6
	ds_bpermute_b32 v28, v91, v7
	v_subrev_nc_u32_e32 v24, 32, v24
	s_waitcnt lgkmcnt(1)
	v_add_nc_u32_e32 v9, v9, v6
	v_and_b32_e32 v29, 0xff, v8
	s_waitcnt lgkmcnt(0)
	v_add_nc_u32_e32 v28, v28, v7
	s_delay_alu instid0(VALU_DEP_2) | instskip(SKIP_1) | instid1(VALU_DEP_1)
	v_cmp_eq_u16_e32 vcc_lo, 2, v29
	v_and_or_b32 v29, vcc_lo, v92, 0x80000000
	v_ctz_i32_b32_e32 v29, v29
	s_delay_alu instid0(VALU_DEP_1)
	v_cmp_lt_u32_e32 vcc_lo, v82, v29
	v_cndmask_b32_e32 v6, v6, v9, vcc_lo
	ds_bpermute_b32 v9, v93, v6
	s_waitcnt lgkmcnt(0)
	v_add_nc_u32_e32 v9, v6, v9
	v_cndmask_b32_e32 v7, v7, v28, vcc_lo
	v_cmp_gt_u32_e32 vcc_lo, v94, v29
	s_delay_alu instid0(VALU_DEP_3)
	v_cndmask_b32_e32 v6, v9, v6, vcc_lo
	ds_bpermute_b32 v28, v93, v7
	ds_bpermute_b32 v9, v95, v6
	s_waitcnt lgkmcnt(1)
	v_add_nc_u32_e32 v28, v7, v28
	s_waitcnt lgkmcnt(0)
	v_add_nc_u32_e32 v9, v6, v9
	s_delay_alu instid0(VALU_DEP_2) | instskip(SKIP_1) | instid1(VALU_DEP_3)
	v_cndmask_b32_e32 v7, v28, v7, vcc_lo
	v_cmp_gt_u32_e32 vcc_lo, v96, v29
	v_cndmask_b32_e32 v6, v9, v6, vcc_lo
	ds_bpermute_b32 v28, v95, v7
	ds_bpermute_b32 v9, v97, v6
	s_waitcnt lgkmcnt(1)
	v_add_nc_u32_e32 v28, v7, v28
	s_waitcnt lgkmcnt(0)
	v_add_nc_u32_e32 v9, v6, v9
	s_delay_alu instid0(VALU_DEP_2) | instskip(SKIP_1) | instid1(VALU_DEP_3)
	v_cndmask_b32_e32 v7, v28, v7, vcc_lo
	v_cmp_gt_u32_e32 vcc_lo, v98, v29
	v_cndmask_b32_e32 v6, v9, v6, vcc_lo
	ds_bpermute_b32 v28, v97, v7
	ds_bpermute_b32 v9, v99, v6
	s_waitcnt lgkmcnt(1)
	v_add_nc_u32_e32 v28, v7, v28
	s_delay_alu instid0(VALU_DEP_1) | instskip(SKIP_4) | instid1(VALU_DEP_1)
	v_cndmask_b32_e32 v7, v28, v7, vcc_lo
	v_cmp_le_u32_e32 vcc_lo, v100, v29
	ds_bpermute_b32 v28, v99, v7
	s_waitcnt lgkmcnt(1)
	v_cndmask_b32_e32 v9, 0, v9, vcc_lo
	v_add3_u32 v6, v6, v26, v9
	s_waitcnt lgkmcnt(0)
	v_cndmask_b32_e32 v28, 0, v28, vcc_lo
	s_delay_alu instid0(VALU_DEP_1)
	v_add3_u32 v7, v7, v27, v28
.LBB136_110:                            ; =>This Loop Header: Depth=1
                                        ;     Child Loop BB136_113 Depth 2
                                        ;       Child Loop BB136_114 Depth 3
	s_delay_alu instid0(VALU_DEP_1) | instskip(SKIP_1) | instid1(VALU_DEP_2)
	v_dual_mov_b32 v27, v7 :: v_dual_and_b32 v8, 0xff, v8
	v_mov_b32_e32 v26, v6
	v_cmp_ne_u16_e32 vcc_lo, 2, v8
	v_cndmask_b32_e64 v8, 0, 1, vcc_lo
	;;#ASMSTART
	;;#ASMEND
	s_delay_alu instid0(VALU_DEP_1)
	v_cmp_ne_u32_e32 vcc_lo, 0, v8
	s_cmp_lg_u32 vcc_lo, exec_lo
	s_cbranch_scc1 .LBB136_117
; %bb.111:                              ;   in Loop: Header=BB136_110 Depth=1
	v_lshlrev_b64 v[6:7], 4, v[24:25]
	s_mov_b32 s7, exec_lo
	s_delay_alu instid0(VALU_DEP_1) | instskip(NEXT) | instid1(VALU_DEP_2)
	v_add_co_u32 v28, vcc_lo, s36, v6
	v_add_co_ci_u32_e32 v29, vcc_lo, s37, v7, vcc_lo
	;;#ASMSTART
	global_load_dwordx4 v[6:9], v[28:29] off glc	
s_waitcnt vmcnt(0)
	;;#ASMEND
	v_and_b32_e32 v9, 0xff, v7
	v_and_b32_e32 v101, 0xff00, v7
	v_or3_b32 v6, v6, 0, 0
	v_and_b32_e32 v102, 0xff000000, v7
	v_and_b32_e32 v7, 0xff0000, v7
	s_delay_alu instid0(VALU_DEP_4) | instskip(SKIP_2) | instid1(VALU_DEP_3)
	v_or3_b32 v9, 0, v9, v101
	v_and_b32_e32 v101, 0xff, v8
	v_or3_b32 v6, v6, 0, 0
	v_or3_b32 v7, v9, v7, v102
	s_delay_alu instid0(VALU_DEP_3)
	v_cmpx_eq_u16_e32 0, v101
	s_cbranch_execz .LBB136_109
; %bb.112:                              ;   in Loop: Header=BB136_110 Depth=1
	s_mov_b32 s9, 1
	s_mov_b32 s8, 0
	.p2align	6
.LBB136_113:                            ;   Parent Loop BB136_110 Depth=1
                                        ; =>  This Loop Header: Depth=2
                                        ;       Child Loop BB136_114 Depth 3
	s_max_u32 s10, s9, 1
.LBB136_114:                            ;   Parent Loop BB136_110 Depth=1
                                        ;     Parent Loop BB136_113 Depth=2
                                        ; =>    This Inner Loop Header: Depth=3
	s_delay_alu instid0(SALU_CYCLE_1)
	s_add_i32 s10, s10, -1
	s_sleep 1
	s_cmp_eq_u32 s10, 0
	s_cbranch_scc0 .LBB136_114
; %bb.115:                              ;   in Loop: Header=BB136_113 Depth=2
	;;#ASMSTART
	global_load_dwordx4 v[6:9], v[28:29] off glc	
s_waitcnt vmcnt(0)
	;;#ASMEND
	v_and_b32_e32 v9, 0xff, v8
	s_cmp_lt_u32 s9, 32
	s_cselect_b32 s10, -1, 0
	s_delay_alu instid0(SALU_CYCLE_1) | instskip(NEXT) | instid1(VALU_DEP_1)
	s_cmp_lg_u32 s10, 0
	v_cmp_ne_u16_e32 vcc_lo, 0, v9
	s_addc_u32 s9, s9, 0
	s_or_b32 s8, vcc_lo, s8
	s_delay_alu instid0(SALU_CYCLE_1)
	s_and_not1_b32 exec_lo, exec_lo, s8
	s_cbranch_execnz .LBB136_113
; %bb.116:                              ;   in Loop: Header=BB136_110 Depth=1
	s_or_b32 exec_lo, exec_lo, s8
	s_branch .LBB136_109
.LBB136_117:                            ;   in Loop: Header=BB136_110 Depth=1
                                        ; implicit-def: $vgpr8
                                        ; implicit-def: $vgpr6_vgpr7
	s_cbranch_execz .LBB136_110
; %bb.118:
	s_and_saveexec_b32 s7, s3
	s_cbranch_execnz .LBB136_361
; %bb.119:
	s_or_b32 exec_lo, exec_lo, s7
	s_and_saveexec_b32 s7, s3
	s_cbranch_execnz .LBB136_362
.LBB136_120:
	s_or_b32 exec_lo, exec_lo, s7
	s_delay_alu instid0(SALU_CYCLE_1)
	s_and_b32 exec_lo, exec_lo, s2
	s_cbranch_execz .LBB136_122
.LBB136_121:
	v_mov_b32_e32 v5, 0
	ds_store_b64 v5, v[26:27] offset:56
.LBB136_122:
	s_or_b32 exec_lo, exec_lo, s5
	s_waitcnt lgkmcnt(1)
	v_cndmask_b32_e64 v22, v89, v22, s3
	v_mov_b32_e32 v5, 0
	s_waitcnt lgkmcnt(0)
	s_barrier
	buffer_gl0_inv
	v_add_nc_u32_e64 v7, 0x3400, 0
	ds_load_b64 v[24:25], v5 offset:56
	s_waitcnt lgkmcnt(0)
	s_barrier
	buffer_gl0_inv
	ds_load_2addr_b32 v[5:6], v7 offset1:2
	ds_load_2addr_b32 v[7:8], v7 offset0:4 offset1:6
	v_cndmask_b32_e64 v9, v90, v23, s3
	v_add_nc_u32_e32 v22, v24, v22
	s_delay_alu instid0(VALU_DEP_2) | instskip(NEXT) | instid1(VALU_DEP_2)
	v_add_nc_u32_e32 v9, v25, v9
	v_cndmask_b32_e64 v22, v22, v24, s2
	s_delay_alu instid0(VALU_DEP_2)
	v_cndmask_b32_e64 v9, v9, v25, s2
	s_branch .LBB136_133
.LBB136_123:
                                        ; implicit-def: $vgpr9
                                        ; implicit-def: $vgpr7
                                        ; implicit-def: $vgpr5
                                        ; implicit-def: $vgpr22_vgpr23
	s_and_b32 vcc_lo, exec_lo, s5
	s_cbranch_vccz .LBB136_133
; %bb.124:
	s_waitcnt lgkmcnt(1)
	v_mov_b32_dpp v6, v88 row_shr:1 row_mask:0xf bank_mask:0xf
	v_cmp_lt_u32_e32 vcc_lo, 3, v86
	v_mov_b32_dpp v5, v87 row_shr:1 row_mask:0xf bank_mask:0xf
	s_delay_alu instid0(VALU_DEP_3) | instskip(NEXT) | instid1(VALU_DEP_1)
	v_add_nc_u32_e32 v6, v6, v88
	v_cndmask_b32_e64 v6, v6, v88, s1
	s_waitcnt lgkmcnt(0)
	s_delay_alu instid0(VALU_DEP_1) | instskip(NEXT) | instid1(VALU_DEP_1)
	v_mov_b32_dpp v8, v6 row_shr:2 row_mask:0xf bank_mask:0xf
	v_add_nc_u32_e32 v8, v6, v8
	s_delay_alu instid0(VALU_DEP_1) | instskip(NEXT) | instid1(VALU_DEP_1)
	v_cndmask_b32_e64 v6, v6, v8, s0
	v_mov_b32_dpp v8, v6 row_shr:4 row_mask:0xf bank_mask:0xf
	s_delay_alu instid0(VALU_DEP_1) | instskip(NEXT) | instid1(VALU_DEP_1)
	v_add_nc_u32_e32 v8, v6, v8
	v_dual_cndmask_b32 v6, v6, v8 :: v_dual_add_nc_u32 v5, v5, v87
	s_delay_alu instid0(VALU_DEP_1) | instskip(NEXT) | instid1(VALU_DEP_2)
	v_cndmask_b32_e64 v5, v5, v87, s1
	v_mov_b32_dpp v8, v6 row_shr:8 row_mask:0xf bank_mask:0xf
	s_delay_alu instid0(VALU_DEP_2) | instskip(NEXT) | instid1(VALU_DEP_2)
	v_mov_b32_dpp v7, v5 row_shr:2 row_mask:0xf bank_mask:0xf
	v_add_nc_u32_e32 v8, v6, v8
	s_delay_alu instid0(VALU_DEP_2) | instskip(NEXT) | instid1(VALU_DEP_1)
	v_add_nc_u32_e32 v7, v5, v7
	v_cndmask_b32_e64 v5, v5, v7, s0
	s_mov_b32 s0, exec_lo
	s_delay_alu instid0(VALU_DEP_1) | instskip(NEXT) | instid1(VALU_DEP_1)
	v_mov_b32_dpp v7, v5 row_shr:4 row_mask:0xf bank_mask:0xf
	v_add_nc_u32_e32 v7, v5, v7
	s_delay_alu instid0(VALU_DEP_1) | instskip(SKIP_1) | instid1(VALU_DEP_2)
	v_cndmask_b32_e32 v5, v5, v7, vcc_lo
	v_cmp_lt_u32_e32 vcc_lo, 7, v86
	v_mov_b32_dpp v7, v5 row_shr:8 row_mask:0xf bank_mask:0xf
	s_delay_alu instid0(VALU_DEP_1) | instskip(NEXT) | instid1(VALU_DEP_1)
	v_dual_cndmask_b32 v6, v6, v8 :: v_dual_add_nc_u32 v7, v5, v7
	v_cndmask_b32_e32 v5, v5, v7, vcc_lo
	ds_swizzle_b32 v7, v6 offset:swizzle(BROADCAST,32,15)
	v_cmp_eq_u32_e32 vcc_lo, 0, v85
	ds_swizzle_b32 v8, v5 offset:swizzle(BROADCAST,32,15)
	s_waitcnt lgkmcnt(1)
	v_add_nc_u32_e32 v7, v6, v7
	s_waitcnt lgkmcnt(0)
	v_add_nc_u32_e32 v8, v5, v8
	s_delay_alu instid0(VALU_DEP_1)
	v_dual_cndmask_b32 v6, v7, v6 :: v_dual_cndmask_b32 v5, v8, v5
	v_cmpx_eq_u32_e64 v84, v0
	s_cbranch_execz .LBB136_126
; %bb.125:
	v_lshlrev_b32_e32 v7, 3, v83
	ds_store_b64 v7, v[5:6]
.LBB136_126:
	s_or_b32 exec_lo, exec_lo, s0
	s_delay_alu instid0(SALU_CYCLE_1)
	s_mov_b32 s0, exec_lo
	s_waitcnt lgkmcnt(0)
	s_barrier
	buffer_gl0_inv
	v_cmpx_gt_u32_e32 8, v0
	s_cbranch_execz .LBB136_128
; %bb.127:
	v_lshlrev_b32_e32 v9, 3, v0
	ds_load_b64 v[7:8], v9
	s_waitcnt lgkmcnt(0)
	v_mov_b32_dpp v22, v7 row_shr:1 row_mask:0xf bank_mask:0xf
	v_mov_b32_dpp v23, v8 row_shr:1 row_mask:0xf bank_mask:0xf
	s_delay_alu instid0(VALU_DEP_2) | instskip(SKIP_1) | instid1(VALU_DEP_3)
	v_add_nc_u32_e32 v22, v22, v7
	v_and_b32_e32 v24, 7, v82
	v_add_nc_u32_e32 v23, v23, v8
	s_delay_alu instid0(VALU_DEP_2) | instskip(NEXT) | instid1(VALU_DEP_2)
	v_cmp_eq_u32_e32 vcc_lo, 0, v24
	v_dual_cndmask_b32 v8, v23, v8 :: v_dual_cndmask_b32 v7, v22, v7
	v_cmp_lt_u32_e32 vcc_lo, 1, v24
	s_delay_alu instid0(VALU_DEP_2) | instskip(NEXT) | instid1(VALU_DEP_3)
	v_mov_b32_dpp v23, v8 row_shr:2 row_mask:0xf bank_mask:0xf
	v_mov_b32_dpp v22, v7 row_shr:2 row_mask:0xf bank_mask:0xf
	s_delay_alu instid0(VALU_DEP_2) | instskip(NEXT) | instid1(VALU_DEP_2)
	v_add_nc_u32_e32 v23, v8, v23
	v_add_nc_u32_e32 v22, v7, v22
	s_delay_alu instid0(VALU_DEP_1) | instskip(SKIP_1) | instid1(VALU_DEP_2)
	v_dual_cndmask_b32 v8, v8, v23 :: v_dual_cndmask_b32 v7, v7, v22
	v_cmp_lt_u32_e32 vcc_lo, 3, v24
	v_mov_b32_dpp v23, v8 row_shr:4 row_mask:0xf bank_mask:0xf
	s_delay_alu instid0(VALU_DEP_3) | instskip(NEXT) | instid1(VALU_DEP_1)
	v_mov_b32_dpp v22, v7 row_shr:4 row_mask:0xf bank_mask:0xf
	v_dual_cndmask_b32 v23, 0, v23 :: v_dual_cndmask_b32 v22, 0, v22
	s_delay_alu instid0(VALU_DEP_1) | instskip(NEXT) | instid1(VALU_DEP_2)
	v_add_nc_u32_e32 v8, v23, v8
	v_add_nc_u32_e32 v7, v22, v7
	ds_store_b64 v9, v[7:8]
.LBB136_128:
	s_or_b32 exec_lo, exec_lo, s0
	v_dual_mov_b32 v7, 0 :: v_dual_mov_b32 v22, 0
	v_mov_b32_e32 v23, 0
	s_mov_b32 s0, exec_lo
	s_waitcnt lgkmcnt(0)
	s_barrier
	buffer_gl0_inv
	v_cmpx_lt_u32_e32 31, v0
	s_cbranch_execz .LBB136_130
; %bb.129:
	v_lshl_add_u32 v8, v83, 3, -8
	ds_load_b64 v[22:23], v8
.LBB136_130:
	s_or_b32 exec_lo, exec_lo, s0
	v_add_nc_u32_e32 v8, -1, v82
	s_waitcnt lgkmcnt(0)
	v_add_nc_u32_e32 v24, v23, v6
	v_add_nc_u32_e32 v9, v22, v5
	ds_load_b64 v[5:6], v7 offset:56
	v_cmp_gt_i32_e32 vcc_lo, 0, v8
	v_cndmask_b32_e32 v8, v8, v82, vcc_lo
	s_delay_alu instid0(VALU_DEP_1)
	v_lshlrev_b32_e32 v8, 2, v8
	ds_bpermute_b32 v9, v8, v9
	ds_bpermute_b32 v24, v8, v24
	s_waitcnt lgkmcnt(2)
	v_readfirstlane_b32 s0, v6
	s_and_saveexec_b32 s1, s2
	s_cbranch_execz .LBB136_132
; %bb.131:
	s_mov_b32 s8, 0
	s_add_u32 s6, s36, 0x200
	s_addc_u32 s7, s37, 0
	s_and_b32 s9, s0, 0xff000000
	s_and_b32 s11, s0, 0xff0000
	s_mov_b32 s10, s8
	v_mov_b32_e32 v26, s7
	s_or_b64 s[10:11], s[10:11], s[8:9]
	s_and_b32 s9, s0, 0xff00
	v_dual_mov_b32 v8, 0 :: v_dual_mov_b32 v25, s6
	s_or_b64 s[10:11], s[10:11], s[8:9]
	s_and_b32 s9, s0, 0xff
	v_mov_b32_e32 v7, 2
	s_or_b64 s[8:9], s[10:11], s[8:9]
	s_delay_alu instid0(SALU_CYCLE_1)
	v_mov_b32_e32 v6, s9
	;;#ASMSTART
	global_store_dwordx4 v[25:26], v[5:8] off	
s_waitcnt vmcnt(0)
	;;#ASMEND
.LBB136_132:
	s_or_b32 exec_lo, exec_lo, s1
	v_cmp_eq_u32_e32 vcc_lo, 0, v82
	v_dual_mov_b32 v7, 0 :: v_dual_mov_b32 v6, s0
	s_waitcnt lgkmcnt(0)
	s_barrier
	v_dual_cndmask_b32 v8, v9, v22 :: v_dual_cndmask_b32 v9, v24, v23
	buffer_gl0_inv
	v_cndmask_b32_e64 v22, v8, 0, s2
	v_cndmask_b32_e64 v9, v9, 0, s2
	v_mov_b32_e32 v8, 0
.LBB136_133:
	s_delay_alu instid0(VALU_DEP_1) | instskip(SKIP_1) | instid1(VALU_DEP_2)
	v_add_nc_u32_e32 v24, v9, v81
	s_waitcnt lgkmcnt(0)
	v_sub_nc_u32_e32 v9, v9, v8
	v_add_co_u32 v1, vcc_lo, v1, v7
	v_and_b32_e32 v35, 1, v35
	v_add_nc_u32_e32 v26, v24, v77
	v_sub_nc_u32_e32 v24, v24, v8
	v_lshlrev_b32_e32 v77, 1, v5
	v_add_nc_u32_e32 v9, v9, v5
	v_add_co_ci_u32_e32 v2, vcc_lo, 0, v2, vcc_lo
	v_add_nc_u32_e32 v28, v26, v79
	s_delay_alu instid0(VALU_DEP_4)
	v_add3_u32 v33, v77, v6, v33
	v_and_b32_e32 v40, 1, v40
	v_and_b32_e32 v37, 1, v37
	v_and_b32_e32 v36, 1, v36
	v_add_nc_u32_e32 v29, v28, v75
	v_sub_nc_u32_e32 v28, v28, v8
	v_sub_co_u32 v75, vcc_lo, v3, v5
	s_add_u32 s1, s14, -4
	s_delay_alu instid0(VALU_DEP_3) | instskip(SKIP_4) | instid1(VALU_DEP_3)
	v_add_nc_u32_e32 v73, v29, v73
	v_sub_nc_u32_e32 v29, v29, v8
	v_add_nc_u32_e32 v28, v28, v5
	v_add_nc_u32_e32 v24, v24, v5
	s_mov_b32 s3, -1
	v_add_nc_u32_e32 v29, v29, v5
	v_add_nc_u32_e32 v23, v22, v80
	v_sub_nc_u32_e32 v22, v22, v7
	s_delay_alu instid0(VALU_DEP_2) | instskip(SKIP_3) | instid1(VALU_DEP_3)
	v_add_nc_u32_e32 v25, v23, v76
	v_sub_nc_u32_e32 v23, v23, v7
	v_subrev_co_ci_u32_e32 v76, vcc_lo, 0, v4, vcc_lo
	v_cmp_eq_u32_e32 vcc_lo, 1, v35
	v_add_nc_u32_e32 v79, v24, v23
	s_delay_alu instid0(VALU_DEP_1) | instskip(NEXT) | instid1(VALU_DEP_1)
	v_sub_nc_u32_e32 v79, v33, v79
	v_add_nc_u32_e32 v79, 1, v79
	v_add_nc_u32_e32 v27, v25, v78
	;; [unrolled: 1-line block ×3, first 2 shown]
	s_delay_alu instid0(VALU_DEP_1) | instskip(NEXT) | instid1(VALU_DEP_1)
	v_sub_nc_u32_e32 v78, v33, v78
	v_dual_cndmask_b32 v9, v78, v9 :: v_dual_and_b32 v34, 1, v34
	v_cmp_eq_u32_e32 vcc_lo, 1, v40
	v_cndmask_b32_e32 v24, v79, v24, vcc_lo
	s_delay_alu instid0(VALU_DEP_3) | instskip(NEXT) | instid1(VALU_DEP_4)
	v_cmp_eq_u32_e32 vcc_lo, 1, v34
	v_cndmask_b32_e32 v9, v9, v22, vcc_lo
	v_sub_nc_u32_e32 v26, v26, v8
	v_cmp_eq_u32_e32 vcc_lo, 1, v37
	v_and_b32_e32 v37, 1, v38
	s_delay_alu instid0(VALU_DEP_4) | instskip(NEXT) | instid1(VALU_DEP_4)
	v_lshlrev_b32_e32 v9, 2, v9
	v_add_nc_u32_e32 v26, v26, v5
	v_cndmask_b32_e32 v24, v24, v23, vcc_lo
	v_sub_nc_u32_e32 v25, v25, v7
	v_add_co_u32 v22, vcc_lo, v75, v8
	v_add_co_ci_u32_e32 v23, vcc_lo, 0, v76, vcc_lo
	s_delay_alu instid0(VALU_DEP_3)
	v_add_nc_u32_e32 v34, v26, v25
	v_cmp_eq_u32_e32 vcc_lo, 1, v37
	v_lshlrev_b32_e32 v24, 2, v24
	ds_store_b32 v9, v20
	v_sub_nc_u32_e32 v34, v33, v34
	ds_store_b32 v24, v21
	v_and_b32_e32 v24, 1, v39
	v_add_nc_u32_e32 v34, 2, v34
	s_delay_alu instid0(VALU_DEP_1) | instskip(SKIP_3) | instid1(VALU_DEP_4)
	v_cndmask_b32_e32 v26, v34, v26, vcc_lo
	v_cmp_eq_u32_e32 vcc_lo, 1, v36
	v_add_nc_u32_e32 v74, v27, v74
	v_sub_nc_u32_e32 v27, v27, v7
	v_cndmask_b32_e32 v25, v26, v25, vcc_lo
	s_delay_alu instid0(VALU_DEP_3) | instskip(NEXT) | instid1(VALU_DEP_3)
	v_sub_nc_u32_e32 v37, v74, v7
	v_add_nc_u32_e32 v34, v27, v28
	v_cmp_eq_u32_e32 vcc_lo, 1, v24
	v_sub_nc_u32_e32 v26, v73, v8
	v_lshlrev_b32_e32 v21, 2, v25
	v_and_b32_e32 v25, 1, v41
	v_sub_nc_u32_e32 v9, v33, v34
	v_add_nc_u32_e32 v20, v37, v29
	v_and_b32_e32 v24, 1, v42
	v_add_nc_u32_e32 v26, v26, v5
	ds_store_b32 v21, v18
	v_add_nc_u32_e32 v9, 3, v9
	v_sub_nc_u32_e32 v20, v33, v20
	s_delay_alu instid0(VALU_DEP_2) | instskip(SKIP_2) | instid1(VALU_DEP_4)
	v_cndmask_b32_e32 v9, v9, v28, vcc_lo
	v_cmp_eq_u32_e32 vcc_lo, 1, v25
	v_add_nc_u32_e32 v72, v74, v72
	v_add_nc_u32_e32 v20, 4, v20
	v_and_b32_e32 v25, 1, v43
	v_cndmask_b32_e32 v9, v9, v27, vcc_lo
	s_delay_alu instid0(VALU_DEP_4)
	v_sub_nc_u32_e32 v28, v72, v7
	v_cmp_eq_u32_e32 vcc_lo, 1, v24
	v_and_b32_e32 v24, 1, v44
	v_add_nc_u32_e32 v70, v72, v70
	v_lshlrev_b32_e32 v9, 2, v9
	v_add_nc_u32_e32 v27, v28, v26
	v_cndmask_b32_e32 v20, v20, v29, vcc_lo
	v_cmp_eq_u32_e32 vcc_lo, 1, v25
	v_and_b32_e32 v25, 1, v45
	v_add_nc_u32_e32 v64, v70, v64
	v_sub_nc_u32_e32 v18, v33, v27
	v_sub_nc_u32_e32 v27, v70, v7
	v_cndmask_b32_e32 v20, v20, v37, vcc_lo
	v_cmp_eq_u32_e32 vcc_lo, 1, v24
	ds_store_b32 v9, v19
	v_add_nc_u32_e32 v18, 5, v18
	v_and_b32_e32 v19, 1, v46
	v_lshlrev_b32_e32 v20, 2, v20
	v_add_nc_u32_e32 v68, v64, v68
	s_delay_alu instid0(VALU_DEP_4)
	v_cndmask_b32_e32 v18, v18, v26, vcc_lo
	v_cmp_eq_u32_e32 vcc_lo, 1, v25
	v_sub_nc_u32_e32 v25, v64, v7
	ds_store_b32 v20, v16
	v_and_b32_e32 v20, 1, v49
	v_add_nc_u32_e32 v66, v68, v66
	v_dual_cndmask_b32 v18, v18, v28 :: v_dual_add_nc_u32 v71, v73, v71
	v_cmp_eq_u32_e32 vcc_lo, 1, v19
	v_and_b32_e32 v19, 1, v48
	s_delay_alu instid0(VALU_DEP_4) | instskip(NEXT) | instid1(VALU_DEP_4)
	v_add_nc_u32_e32 v61, v66, v61
	v_lshlrev_b32_e32 v18, 2, v18
	v_add_nc_u32_e32 v65, v71, v65
	v_sub_nc_u32_e32 v21, v71, v8
	s_delay_alu instid0(VALU_DEP_4)
	v_add_nc_u32_e32 v60, v61, v60
	ds_store_b32 v18, v17
	v_sub_nc_u32_e32 v24, v65, v8
	v_add_nc_u32_e32 v21, v21, v5
	v_add_nc_u32_e32 v69, v65, v69
	v_and_b32_e32 v17, 1, v47
	s_delay_alu instid0(VALU_DEP_4) | instskip(NEXT) | instid1(VALU_DEP_4)
	v_add_nc_u32_e32 v24, v24, v5
	v_add_nc_u32_e32 v26, v27, v21
	s_delay_alu instid0(VALU_DEP_4) | instskip(NEXT) | instid1(VALU_DEP_3)
	v_sub_nc_u32_e32 v18, v69, v8
	v_add_nc_u32_e32 v16, v25, v24
	s_delay_alu instid0(VALU_DEP_3) | instskip(NEXT) | instid1(VALU_DEP_3)
	v_sub_nc_u32_e32 v9, v33, v26
	v_add_nc_u32_e32 v18, v18, v5
	v_sub_nc_u32_e32 v26, v60, v7
	s_delay_alu instid0(VALU_DEP_4) | instskip(NEXT) | instid1(VALU_DEP_4)
	v_sub_nc_u32_e32 v16, v33, v16
	v_add_nc_u32_e32 v9, 6, v9
	s_delay_alu instid0(VALU_DEP_1) | instskip(SKIP_2) | instid1(VALU_DEP_3)
	v_dual_cndmask_b32 v9, v9, v21 :: v_dual_add_nc_u32 v16, 7, v16
	v_cmp_eq_u32_e32 vcc_lo, 1, v19
	v_sub_nc_u32_e32 v21, v68, v7
	v_cndmask_b32_e32 v16, v16, v24, vcc_lo
	v_cmp_eq_u32_e32 vcc_lo, 1, v17
	s_delay_alu instid0(VALU_DEP_3) | instskip(SKIP_3) | instid1(VALU_DEP_4)
	v_add_nc_u32_e32 v17, v21, v18
	v_cndmask_b32_e32 v9, v9, v27, vcc_lo
	v_cmp_eq_u32_e32 vcc_lo, 1, v20
	v_add_nc_u32_e32 v67, v69, v67
	v_sub_nc_u32_e32 v17, v33, v17
	v_sub_nc_u32_e32 v20, v66, v7
	v_lshlrev_b32_e32 v9, 2, v9
	v_cndmask_b32_e32 v16, v16, v25, vcc_lo
	v_sub_nc_u32_e32 v19, v67, v8
	v_add_nc_u32_e32 v62, v67, v62
	v_sub_nc_u32_e32 v25, v61, v7
	ds_store_b32 v9, v14
	v_and_b32_e32 v9, 1, v50
	v_add_nc_u32_e32 v19, v19, v5
	v_add_nc_u32_e32 v14, 8, v17
	v_lshlrev_b32_e32 v16, 2, v16
	v_add_nc_u32_e32 v63, v62, v63
	v_cmp_eq_u32_e32 vcc_lo, 1, v9
	v_add_nc_u32_e32 v17, v20, v19
	ds_store_b32 v16, v15
	v_and_b32_e32 v15, 1, v51
	v_cndmask_b32_e32 v9, v14, v18, vcc_lo
	v_sub_nc_u32_e32 v14, v33, v17
	v_and_b32_e32 v18, 1, v52
	v_sub_nc_u32_e32 v17, v62, v8
	v_and_b32_e32 v16, 1, v54
	v_sub_nc_u32_e32 v24, v63, v8
	v_add_nc_u32_e32 v14, 9, v14
	v_cmp_eq_u32_e32 vcc_lo, 1, v18
	v_add_nc_u32_e32 v17, v17, v5
	v_add_nc_u32_e32 v35, v63, v59
	v_add_nc_u32_e32 v24, v24, v5
	v_cndmask_b32_e32 v14, v14, v19, vcc_lo
	v_cmp_eq_u32_e32 vcc_lo, 1, v15
	v_add_nc_u32_e32 v15, v25, v17
	s_delay_alu instid0(VALU_DEP_4)
	v_add_nc_u32_e32 v18, v26, v24
	v_and_b32_e32 v19, 1, v55
	v_cndmask_b32_e32 v9, v9, v21, vcc_lo
	v_cmp_eq_u32_e32 vcc_lo, 1, v16
	v_sub_nc_u32_e32 v15, v33, v15
	v_sub_nc_u32_e32 v18, v33, v18
	v_and_b32_e32 v21, 1, v57
	v_sub_nc_u32_e32 v16, v35, v8
	v_cndmask_b32_e32 v14, v14, v20, vcc_lo
	v_and_b32_e32 v20, 1, v53
	v_add_nc_u32_e32 v15, 10, v15
	v_add_nc_u32_e32 v18, 11, v18
	;; [unrolled: 1-line block ×3, first 2 shown]
	v_lshlrev_b32_e32 v9, 2, v9
	v_cmp_eq_u32_e32 vcc_lo, 1, v20
	v_dual_cndmask_b32 v15, v15, v17 :: v_dual_lshlrev_b32 v14, 2, v14
	v_cmp_eq_u32_e32 vcc_lo, 1, v21
	v_and_b32_e32 v17, 1, v56
	v_cndmask_b32_e32 v18, v18, v24, vcc_lo
	v_cmp_eq_u32_e32 vcc_lo, 1, v19
	v_cndmask_b32_e32 v15, v15, v25, vcc_lo
	s_delay_alu instid0(VALU_DEP_4) | instskip(NEXT) | instid1(VALU_DEP_2)
	v_cmp_eq_u32_e32 vcc_lo, 1, v17
	v_lshlrev_b32_e32 v15, 2, v15
	v_cndmask_b32_e32 v17, v18, v26, vcc_lo
	v_add_nc_u32_e32 v40, v60, v58
	s_delay_alu instid0(VALU_DEP_2) | instskip(NEXT) | instid1(VALU_DEP_2)
	v_lshlrev_b32_e32 v17, 2, v17
	v_sub_nc_u32_e32 v7, v40, v7
	ds_store_b32 v9, v12
	ds_store_b32 v14, v13
	;; [unrolled: 1-line block ×4, first 2 shown]
	v_add_co_u32 v9, s0, v6, v77
	s_delay_alu instid0(VALU_DEP_1) | instskip(SKIP_1) | instid1(VALU_DEP_3)
	v_add_co_ci_u32_e64 v10, null, 0, 0, s0
	v_add_nc_u32_e32 v27, v7, v16
	v_add_co_u32 v9, vcc_lo, v9, v22
	s_delay_alu instid0(VALU_DEP_3) | instskip(NEXT) | instid1(VALU_DEP_3)
	v_add_co_ci_u32_e32 v10, vcc_lo, v10, v23, vcc_lo
	v_sub_nc_u32_e32 v20, v33, v27
	v_add_co_u32 v11, s0, s34, v30
	s_delay_alu instid0(VALU_DEP_4) | instskip(NEXT) | instid1(VALU_DEP_3)
	v_add_co_u32 v9, vcc_lo, v9, v1
	v_add_nc_u32_e32 v18, 12, v20
	v_add_co_ci_u32_e64 v12, null, s35, 0, s0
	v_add_co_ci_u32_e32 v10, vcc_lo, v10, v2, vcc_lo
	s_delay_alu instid0(VALU_DEP_3) | instskip(SKIP_1) | instid1(VALU_DEP_2)
	v_cndmask_b32_e64 v16, v18, v16, s33
	v_add_nc_u32_e32 v14, v5, v6
	v_cndmask_b32_e64 v7, v16, v7, s27
	s_delay_alu instid0(VALU_DEP_1)
	v_lshlrev_b32_e32 v7, 2, v7
	ds_store_b32 v7, v32
	v_sub_co_u32 v7, vcc_lo, v11, v9
	v_sub_co_ci_u32_e32 v13, vcc_lo, v12, v10, vcc_lo
	v_lshlrev_b64 v[9:10], 2, v[22:23]
	v_lshlrev_b64 v[11:12], 2, v[1:2]
	s_waitcnt lgkmcnt(0)
	s_barrier
	buffer_gl0_inv
	v_add_co_u32 v9, vcc_lo, s30, v9
	v_add_co_ci_u32_e32 v10, vcc_lo, s31, v10, vcc_lo
	v_cmp_ne_u32_e32 vcc_lo, 1, v31
	v_add_co_u32 v11, s0, s28, v11
	s_delay_alu instid0(VALU_DEP_1)
	v_add_co_ci_u32_e64 v12, s0, s29, v12, s0
	s_addc_u32 s0, s15, -1
	s_cbranch_vccz .LBB136_137
; %bb.134:
	s_and_b32 vcc_lo, exec_lo, s3
	s_cbranch_vccnz .LBB136_242
.LBB136_135:
	s_and_b32 s0, s2, s13
	s_delay_alu instid0(SALU_CYCLE_1)
	s_and_saveexec_b32 s1, s0
	s_cbranch_execnz .LBB136_360
.LBB136_136:
	s_nop 0
	s_sendmsg sendmsg(MSG_DEALLOC_VGPRS)
	s_endpgm
.LBB136_137:
	s_mov_b32 s3, exec_lo
	v_cmpx_le_u32_e64 v5, v0
	s_xor_b32 s3, exec_lo, s3
	s_cbranch_execz .LBB136_143
; %bb.138:
	s_mov_b32 s5, exec_lo
	v_cmpx_le_u32_e64 v14, v0
	s_xor_b32 s5, exec_lo, s5
	s_cbranch_execz .LBB136_140
; %bb.139:
	v_lshlrev_b32_e32 v15, 2, v0
	ds_load_b32 v17, v15
	v_add_co_u32 v15, vcc_lo, v7, v0
	v_add_co_ci_u32_e32 v16, vcc_lo, 0, v13, vcc_lo
	s_delay_alu instid0(VALU_DEP_1) | instskip(NEXT) | instid1(VALU_DEP_1)
	v_lshlrev_b64 v[15:16], 2, v[15:16]
	v_sub_co_u32 v15, vcc_lo, s14, v15
	s_delay_alu instid0(VALU_DEP_2)
	v_sub_co_ci_u32_e32 v16, vcc_lo, s15, v16, vcc_lo
	s_waitcnt lgkmcnt(0)
	global_store_b32 v[15:16], v17, off offset:-4
.LBB136_140:
	s_and_not1_saveexec_b32 s5, s5
	s_cbranch_execz .LBB136_142
; %bb.141:
	v_lshlrev_b32_e32 v15, 2, v0
	v_readfirstlane_b32 s6, v9
	v_readfirstlane_b32 s7, v10
	ds_load_b32 v16, v15
	s_waitcnt lgkmcnt(0)
	global_store_b32 v15, v16, s[6:7]
.LBB136_142:
	s_or_b32 exec_lo, exec_lo, s5
.LBB136_143:
	s_and_not1_saveexec_b32 s3, s3
	s_cbranch_execz .LBB136_145
; %bb.144:
	v_lshlrev_b32_e32 v15, 2, v0
	v_readfirstlane_b32 s6, v11
	v_readfirstlane_b32 s7, v12
	ds_load_b32 v16, v15
	s_waitcnt lgkmcnt(0)
	global_store_b32 v15, v16, s[6:7]
.LBB136_145:
	s_or_b32 exec_lo, exec_lo, s3
	v_or_b32_e32 v15, 0x100, v0
	s_mov_b32 s3, exec_lo
	s_delay_alu instid0(VALU_DEP_1)
	v_cmpx_le_u32_e64 v5, v15
	s_xor_b32 s3, exec_lo, s3
	s_cbranch_execz .LBB136_151
; %bb.146:
	s_mov_b32 s5, exec_lo
	v_cmpx_le_u32_e64 v14, v15
	s_xor_b32 s5, exec_lo, s5
	s_cbranch_execz .LBB136_148
; %bb.147:
	v_lshlrev_b32_e32 v15, 2, v0
	ds_load_b32 v17, v15 offset:1024
	v_add_co_u32 v15, vcc_lo, v7, v0
	v_add_co_ci_u32_e32 v16, vcc_lo, 0, v13, vcc_lo
	s_delay_alu instid0(VALU_DEP_1) | instskip(NEXT) | instid1(VALU_DEP_1)
	v_lshlrev_b64 v[15:16], 2, v[15:16]
	v_sub_co_u32 v15, vcc_lo, s1, v15
	s_delay_alu instid0(VALU_DEP_2)
	v_sub_co_ci_u32_e32 v16, vcc_lo, s0, v16, vcc_lo
	s_waitcnt lgkmcnt(0)
	global_store_b32 v[15:16], v17, off offset:-1024
.LBB136_148:
	s_and_not1_saveexec_b32 s5, s5
	s_cbranch_execz .LBB136_150
; %bb.149:
	v_lshlrev_b32_e32 v15, 2, v0
	v_readfirstlane_b32 s6, v9
	v_readfirstlane_b32 s7, v10
	ds_load_b32 v16, v15 offset:1024
	s_waitcnt lgkmcnt(0)
	global_store_b32 v15, v16, s[6:7] offset:1024
.LBB136_150:
	s_or_b32 exec_lo, exec_lo, s5
.LBB136_151:
	s_and_not1_saveexec_b32 s3, s3
	s_cbranch_execz .LBB136_153
; %bb.152:
	v_lshlrev_b32_e32 v15, 2, v0
	v_readfirstlane_b32 s6, v11
	v_readfirstlane_b32 s7, v12
	ds_load_b32 v16, v15 offset:1024
	s_waitcnt lgkmcnt(0)
	global_store_b32 v15, v16, s[6:7] offset:1024
.LBB136_153:
	s_or_b32 exec_lo, exec_lo, s3
	v_or_b32_e32 v15, 0x200, v0
	s_mov_b32 s3, exec_lo
	s_delay_alu instid0(VALU_DEP_1)
	v_cmpx_le_u32_e64 v5, v15
	s_xor_b32 s3, exec_lo, s3
	s_cbranch_execz .LBB136_159
; %bb.154:
	s_mov_b32 s5, exec_lo
	v_cmpx_le_u32_e64 v14, v15
	s_xor_b32 s5, exec_lo, s5
	s_cbranch_execz .LBB136_156
; %bb.155:
	v_lshlrev_b32_e32 v15, 2, v0
	ds_load_b32 v17, v15 offset:2048
	v_add_co_u32 v15, vcc_lo, v7, v0
	v_add_co_ci_u32_e32 v16, vcc_lo, 0, v13, vcc_lo
	s_delay_alu instid0(VALU_DEP_1) | instskip(NEXT) | instid1(VALU_DEP_1)
	v_lshlrev_b64 v[15:16], 2, v[15:16]
	v_sub_co_u32 v15, vcc_lo, s1, v15
	s_delay_alu instid0(VALU_DEP_2)
	v_sub_co_ci_u32_e32 v16, vcc_lo, s0, v16, vcc_lo
	s_waitcnt lgkmcnt(0)
	global_store_b32 v[15:16], v17, off offset:-2048
.LBB136_156:
	s_and_not1_saveexec_b32 s5, s5
	s_cbranch_execz .LBB136_158
; %bb.157:
	v_lshlrev_b32_e32 v15, 2, v0
	v_readfirstlane_b32 s6, v9
	v_readfirstlane_b32 s7, v10
	ds_load_b32 v16, v15 offset:2048
	s_waitcnt lgkmcnt(0)
	global_store_b32 v15, v16, s[6:7] offset:2048
.LBB136_158:
	s_or_b32 exec_lo, exec_lo, s5
.LBB136_159:
	s_and_not1_saveexec_b32 s3, s3
	s_cbranch_execz .LBB136_161
; %bb.160:
	v_lshlrev_b32_e32 v15, 2, v0
	v_readfirstlane_b32 s6, v11
	v_readfirstlane_b32 s7, v12
	ds_load_b32 v16, v15 offset:2048
	s_waitcnt lgkmcnt(0)
	global_store_b32 v15, v16, s[6:7] offset:2048
.LBB136_161:
	s_or_b32 exec_lo, exec_lo, s3
	v_or_b32_e32 v15, 0x300, v0
	s_mov_b32 s3, exec_lo
	s_delay_alu instid0(VALU_DEP_1)
	v_cmpx_le_u32_e64 v5, v15
	s_xor_b32 s3, exec_lo, s3
	s_cbranch_execz .LBB136_167
; %bb.162:
	s_mov_b32 s5, exec_lo
	v_cmpx_le_u32_e64 v14, v15
	s_xor_b32 s5, exec_lo, s5
	s_cbranch_execz .LBB136_164
; %bb.163:
	v_lshlrev_b32_e32 v15, 2, v0
	ds_load_b32 v17, v15 offset:3072
	v_add_co_u32 v15, vcc_lo, v7, v0
	v_add_co_ci_u32_e32 v16, vcc_lo, 0, v13, vcc_lo
	s_delay_alu instid0(VALU_DEP_1) | instskip(NEXT) | instid1(VALU_DEP_1)
	v_lshlrev_b64 v[15:16], 2, v[15:16]
	v_sub_co_u32 v15, vcc_lo, s1, v15
	s_delay_alu instid0(VALU_DEP_2)
	v_sub_co_ci_u32_e32 v16, vcc_lo, s0, v16, vcc_lo
	s_waitcnt lgkmcnt(0)
	global_store_b32 v[15:16], v17, off offset:-3072
.LBB136_164:
	s_and_not1_saveexec_b32 s5, s5
	s_cbranch_execz .LBB136_166
; %bb.165:
	v_lshlrev_b32_e32 v15, 2, v0
	v_readfirstlane_b32 s6, v9
	v_readfirstlane_b32 s7, v10
	ds_load_b32 v16, v15 offset:3072
	s_waitcnt lgkmcnt(0)
	global_store_b32 v15, v16, s[6:7] offset:3072
.LBB136_166:
	s_or_b32 exec_lo, exec_lo, s5
.LBB136_167:
	s_and_not1_saveexec_b32 s3, s3
	s_cbranch_execz .LBB136_169
; %bb.168:
	v_lshlrev_b32_e32 v15, 2, v0
	v_readfirstlane_b32 s6, v11
	v_readfirstlane_b32 s7, v12
	ds_load_b32 v16, v15 offset:3072
	s_waitcnt lgkmcnt(0)
	global_store_b32 v15, v16, s[6:7] offset:3072
.LBB136_169:
	s_or_b32 exec_lo, exec_lo, s3
	v_or_b32_e32 v15, 0x400, v0
	s_mov_b32 s3, exec_lo
	s_delay_alu instid0(VALU_DEP_1)
	v_cmpx_le_u32_e64 v5, v15
	s_xor_b32 s3, exec_lo, s3
	s_cbranch_execz .LBB136_175
; %bb.170:
	s_mov_b32 s5, exec_lo
	v_cmpx_le_u32_e64 v14, v15
	s_xor_b32 s5, exec_lo, s5
	s_cbranch_execz .LBB136_172
; %bb.171:
	v_lshlrev_b32_e32 v15, 2, v0
	ds_load_b32 v17, v15 offset:4096
	v_add_co_u32 v15, vcc_lo, v7, v0
	v_add_co_ci_u32_e32 v16, vcc_lo, 0, v13, vcc_lo
	s_delay_alu instid0(VALU_DEP_1) | instskip(NEXT) | instid1(VALU_DEP_1)
	v_lshlrev_b64 v[15:16], 2, v[15:16]
	v_sub_co_u32 v15, vcc_lo, s1, v15
	s_delay_alu instid0(VALU_DEP_2)
	v_sub_co_ci_u32_e32 v16, vcc_lo, s0, v16, vcc_lo
	s_waitcnt lgkmcnt(0)
	global_store_b32 v[15:16], v17, off offset:-4096
                                        ; implicit-def: $vgpr15
.LBB136_172:
	s_and_not1_saveexec_b32 s5, s5
	s_cbranch_execz .LBB136_174
; %bb.173:
	v_lshlrev_b32_e32 v16, 2, v0
	v_lshlrev_b32_e32 v15, 2, v15
	v_readfirstlane_b32 s6, v9
	v_readfirstlane_b32 s7, v10
	ds_load_b32 v16, v16 offset:4096
	s_waitcnt lgkmcnt(0)
	global_store_b32 v15, v16, s[6:7]
.LBB136_174:
	s_or_b32 exec_lo, exec_lo, s5
                                        ; implicit-def: $vgpr15
.LBB136_175:
	s_and_not1_saveexec_b32 s3, s3
	s_cbranch_execz .LBB136_177
; %bb.176:
	v_lshlrev_b32_e32 v16, 2, v0
	v_lshlrev_b32_e32 v15, 2, v15
	v_readfirstlane_b32 s6, v11
	v_readfirstlane_b32 s7, v12
	ds_load_b32 v16, v16 offset:4096
	s_waitcnt lgkmcnt(0)
	global_store_b32 v15, v16, s[6:7]
.LBB136_177:
	s_or_b32 exec_lo, exec_lo, s3
	v_or_b32_e32 v15, 0x500, v0
	s_mov_b32 s3, exec_lo
	s_delay_alu instid0(VALU_DEP_1)
	v_cmpx_le_u32_e64 v5, v15
	s_xor_b32 s3, exec_lo, s3
	s_cbranch_execz .LBB136_183
; %bb.178:
	s_mov_b32 s5, exec_lo
	v_cmpx_le_u32_e64 v14, v15
	s_xor_b32 s5, exec_lo, s5
	s_cbranch_execz .LBB136_180
; %bb.179:
	v_lshlrev_b32_e32 v16, 2, v0
	v_add_co_u32 v15, vcc_lo, v7, v15
	ds_load_b32 v17, v16 offset:5120
	v_add_co_ci_u32_e32 v16, vcc_lo, 0, v13, vcc_lo
	s_delay_alu instid0(VALU_DEP_1) | instskip(NEXT) | instid1(VALU_DEP_1)
	v_lshlrev_b64 v[15:16], 2, v[15:16]
	v_sub_co_u32 v15, vcc_lo, s1, v15
	s_delay_alu instid0(VALU_DEP_2)
	v_sub_co_ci_u32_e32 v16, vcc_lo, s0, v16, vcc_lo
	s_waitcnt lgkmcnt(0)
	global_store_b32 v[15:16], v17, off
                                        ; implicit-def: $vgpr15
.LBB136_180:
	s_and_not1_saveexec_b32 s5, s5
	s_cbranch_execz .LBB136_182
; %bb.181:
	v_lshlrev_b32_e32 v16, 2, v0
	v_lshlrev_b32_e32 v15, 2, v15
	v_readfirstlane_b32 s6, v9
	v_readfirstlane_b32 s7, v10
	ds_load_b32 v16, v16 offset:5120
	s_waitcnt lgkmcnt(0)
	global_store_b32 v15, v16, s[6:7]
.LBB136_182:
	s_or_b32 exec_lo, exec_lo, s5
                                        ; implicit-def: $vgpr15
.LBB136_183:
	s_and_not1_saveexec_b32 s3, s3
	s_cbranch_execz .LBB136_185
; %bb.184:
	v_lshlrev_b32_e32 v16, 2, v0
	v_lshlrev_b32_e32 v15, 2, v15
	v_readfirstlane_b32 s6, v11
	v_readfirstlane_b32 s7, v12
	ds_load_b32 v16, v16 offset:5120
	s_waitcnt lgkmcnt(0)
	global_store_b32 v15, v16, s[6:7]
.LBB136_185:
	s_or_b32 exec_lo, exec_lo, s3
	v_or_b32_e32 v15, 0x600, v0
	s_mov_b32 s3, exec_lo
	s_delay_alu instid0(VALU_DEP_1)
	v_cmpx_le_u32_e64 v5, v15
	s_xor_b32 s3, exec_lo, s3
	s_cbranch_execz .LBB136_191
; %bb.186:
	s_mov_b32 s5, exec_lo
	v_cmpx_le_u32_e64 v14, v15
	s_xor_b32 s5, exec_lo, s5
	s_cbranch_execz .LBB136_188
; %bb.187:
	v_lshlrev_b32_e32 v16, 2, v0
	v_add_co_u32 v15, vcc_lo, v7, v15
	ds_load_b32 v17, v16 offset:6144
	v_add_co_ci_u32_e32 v16, vcc_lo, 0, v13, vcc_lo
	s_delay_alu instid0(VALU_DEP_1) | instskip(NEXT) | instid1(VALU_DEP_1)
	v_lshlrev_b64 v[15:16], 2, v[15:16]
	v_sub_co_u32 v15, vcc_lo, s1, v15
	s_delay_alu instid0(VALU_DEP_2)
	v_sub_co_ci_u32_e32 v16, vcc_lo, s0, v16, vcc_lo
	s_waitcnt lgkmcnt(0)
	global_store_b32 v[15:16], v17, off
                                        ; implicit-def: $vgpr15
.LBB136_188:
	s_and_not1_saveexec_b32 s5, s5
	s_cbranch_execz .LBB136_190
; %bb.189:
	v_lshlrev_b32_e32 v16, 2, v0
	v_lshlrev_b32_e32 v15, 2, v15
	v_readfirstlane_b32 s6, v9
	v_readfirstlane_b32 s7, v10
	ds_load_b32 v16, v16 offset:6144
	s_waitcnt lgkmcnt(0)
	global_store_b32 v15, v16, s[6:7]
.LBB136_190:
	s_or_b32 exec_lo, exec_lo, s5
                                        ; implicit-def: $vgpr15
.LBB136_191:
	s_and_not1_saveexec_b32 s3, s3
	s_cbranch_execz .LBB136_193
; %bb.192:
	v_lshlrev_b32_e32 v16, 2, v0
	v_lshlrev_b32_e32 v15, 2, v15
	v_readfirstlane_b32 s6, v11
	v_readfirstlane_b32 s7, v12
	ds_load_b32 v16, v16 offset:6144
	s_waitcnt lgkmcnt(0)
	global_store_b32 v15, v16, s[6:7]
.LBB136_193:
	s_or_b32 exec_lo, exec_lo, s3
	v_or_b32_e32 v15, 0x700, v0
	s_mov_b32 s3, exec_lo
	s_delay_alu instid0(VALU_DEP_1)
	v_cmpx_le_u32_e64 v5, v15
	s_xor_b32 s3, exec_lo, s3
	s_cbranch_execz .LBB136_199
; %bb.194:
	s_mov_b32 s5, exec_lo
	v_cmpx_le_u32_e64 v14, v15
	s_xor_b32 s5, exec_lo, s5
	s_cbranch_execz .LBB136_196
; %bb.195:
	v_lshlrev_b32_e32 v16, 2, v0
	v_add_co_u32 v15, vcc_lo, v7, v15
	ds_load_b32 v17, v16 offset:7168
	v_add_co_ci_u32_e32 v16, vcc_lo, 0, v13, vcc_lo
	s_delay_alu instid0(VALU_DEP_1) | instskip(NEXT) | instid1(VALU_DEP_1)
	v_lshlrev_b64 v[15:16], 2, v[15:16]
	v_sub_co_u32 v15, vcc_lo, s1, v15
	s_delay_alu instid0(VALU_DEP_2)
	v_sub_co_ci_u32_e32 v16, vcc_lo, s0, v16, vcc_lo
	s_waitcnt lgkmcnt(0)
	global_store_b32 v[15:16], v17, off
                                        ; implicit-def: $vgpr15
.LBB136_196:
	s_and_not1_saveexec_b32 s5, s5
	s_cbranch_execz .LBB136_198
; %bb.197:
	v_lshlrev_b32_e32 v16, 2, v0
	v_lshlrev_b32_e32 v15, 2, v15
	v_readfirstlane_b32 s6, v9
	v_readfirstlane_b32 s7, v10
	ds_load_b32 v16, v16 offset:7168
	s_waitcnt lgkmcnt(0)
	global_store_b32 v15, v16, s[6:7]
.LBB136_198:
	s_or_b32 exec_lo, exec_lo, s5
                                        ; implicit-def: $vgpr15
.LBB136_199:
	s_and_not1_saveexec_b32 s3, s3
	s_cbranch_execz .LBB136_201
; %bb.200:
	v_lshlrev_b32_e32 v16, 2, v0
	v_lshlrev_b32_e32 v15, 2, v15
	v_readfirstlane_b32 s6, v11
	v_readfirstlane_b32 s7, v12
	ds_load_b32 v16, v16 offset:7168
	s_waitcnt lgkmcnt(0)
	global_store_b32 v15, v16, s[6:7]
.LBB136_201:
	s_or_b32 exec_lo, exec_lo, s3
	v_or_b32_e32 v15, 0x800, v0
	s_mov_b32 s3, exec_lo
	s_delay_alu instid0(VALU_DEP_1)
	v_cmpx_le_u32_e64 v5, v15
	s_xor_b32 s3, exec_lo, s3
	s_cbranch_execz .LBB136_207
; %bb.202:
	s_mov_b32 s5, exec_lo
	v_cmpx_le_u32_e64 v14, v15
	s_xor_b32 s5, exec_lo, s5
	s_cbranch_execz .LBB136_204
; %bb.203:
	v_lshlrev_b32_e32 v16, 2, v0
	v_add_co_u32 v15, vcc_lo, v7, v15
	ds_load_b32 v17, v16 offset:8192
	v_add_co_ci_u32_e32 v16, vcc_lo, 0, v13, vcc_lo
	s_delay_alu instid0(VALU_DEP_1) | instskip(NEXT) | instid1(VALU_DEP_1)
	v_lshlrev_b64 v[15:16], 2, v[15:16]
	v_sub_co_u32 v15, vcc_lo, s1, v15
	s_delay_alu instid0(VALU_DEP_2)
	v_sub_co_ci_u32_e32 v16, vcc_lo, s0, v16, vcc_lo
	s_waitcnt lgkmcnt(0)
	global_store_b32 v[15:16], v17, off
                                        ; implicit-def: $vgpr15
.LBB136_204:
	s_and_not1_saveexec_b32 s5, s5
	s_cbranch_execz .LBB136_206
; %bb.205:
	v_lshlrev_b32_e32 v16, 2, v0
	v_lshlrev_b32_e32 v15, 2, v15
	v_readfirstlane_b32 s6, v9
	v_readfirstlane_b32 s7, v10
	ds_load_b32 v16, v16 offset:8192
	s_waitcnt lgkmcnt(0)
	global_store_b32 v15, v16, s[6:7]
.LBB136_206:
	s_or_b32 exec_lo, exec_lo, s5
                                        ; implicit-def: $vgpr15
.LBB136_207:
	s_and_not1_saveexec_b32 s3, s3
	s_cbranch_execz .LBB136_209
; %bb.208:
	v_lshlrev_b32_e32 v16, 2, v0
	v_lshlrev_b32_e32 v15, 2, v15
	v_readfirstlane_b32 s6, v11
	v_readfirstlane_b32 s7, v12
	ds_load_b32 v16, v16 offset:8192
	s_waitcnt lgkmcnt(0)
	global_store_b32 v15, v16, s[6:7]
.LBB136_209:
	s_or_b32 exec_lo, exec_lo, s3
	v_or_b32_e32 v15, 0x900, v0
	s_mov_b32 s3, exec_lo
	s_delay_alu instid0(VALU_DEP_1)
	v_cmpx_le_u32_e64 v5, v15
	s_xor_b32 s3, exec_lo, s3
	s_cbranch_execz .LBB136_215
; %bb.210:
	s_mov_b32 s5, exec_lo
	v_cmpx_le_u32_e64 v14, v15
	s_xor_b32 s5, exec_lo, s5
	s_cbranch_execz .LBB136_212
; %bb.211:
	v_lshlrev_b32_e32 v16, 2, v0
	v_add_co_u32 v15, vcc_lo, v7, v15
	ds_load_b32 v17, v16 offset:9216
	v_add_co_ci_u32_e32 v16, vcc_lo, 0, v13, vcc_lo
	s_delay_alu instid0(VALU_DEP_1) | instskip(NEXT) | instid1(VALU_DEP_1)
	v_lshlrev_b64 v[15:16], 2, v[15:16]
	v_sub_co_u32 v15, vcc_lo, s1, v15
	s_delay_alu instid0(VALU_DEP_2)
	v_sub_co_ci_u32_e32 v16, vcc_lo, s0, v16, vcc_lo
	s_waitcnt lgkmcnt(0)
	global_store_b32 v[15:16], v17, off
                                        ; implicit-def: $vgpr15
.LBB136_212:
	s_and_not1_saveexec_b32 s5, s5
	s_cbranch_execz .LBB136_214
; %bb.213:
	v_lshlrev_b32_e32 v16, 2, v0
	v_lshlrev_b32_e32 v15, 2, v15
	v_readfirstlane_b32 s6, v9
	v_readfirstlane_b32 s7, v10
	ds_load_b32 v16, v16 offset:9216
	s_waitcnt lgkmcnt(0)
	global_store_b32 v15, v16, s[6:7]
.LBB136_214:
	s_or_b32 exec_lo, exec_lo, s5
                                        ; implicit-def: $vgpr15
.LBB136_215:
	s_and_not1_saveexec_b32 s3, s3
	s_cbranch_execz .LBB136_217
; %bb.216:
	v_lshlrev_b32_e32 v16, 2, v0
	v_lshlrev_b32_e32 v15, 2, v15
	v_readfirstlane_b32 s6, v11
	v_readfirstlane_b32 s7, v12
	ds_load_b32 v16, v16 offset:9216
	s_waitcnt lgkmcnt(0)
	global_store_b32 v15, v16, s[6:7]
.LBB136_217:
	s_or_b32 exec_lo, exec_lo, s3
	v_or_b32_e32 v15, 0xa00, v0
	s_mov_b32 s3, exec_lo
	s_delay_alu instid0(VALU_DEP_1)
	v_cmpx_le_u32_e64 v5, v15
	s_xor_b32 s3, exec_lo, s3
	s_cbranch_execz .LBB136_223
; %bb.218:
	s_mov_b32 s5, exec_lo
	v_cmpx_le_u32_e64 v14, v15
	s_xor_b32 s5, exec_lo, s5
	s_cbranch_execz .LBB136_220
; %bb.219:
	v_lshlrev_b32_e32 v16, 2, v0
	v_add_co_u32 v15, vcc_lo, v7, v15
	ds_load_b32 v17, v16 offset:10240
	v_add_co_ci_u32_e32 v16, vcc_lo, 0, v13, vcc_lo
	s_delay_alu instid0(VALU_DEP_1) | instskip(NEXT) | instid1(VALU_DEP_1)
	v_lshlrev_b64 v[15:16], 2, v[15:16]
	v_sub_co_u32 v15, vcc_lo, s1, v15
	s_delay_alu instid0(VALU_DEP_2)
	v_sub_co_ci_u32_e32 v16, vcc_lo, s0, v16, vcc_lo
	s_waitcnt lgkmcnt(0)
	global_store_b32 v[15:16], v17, off
                                        ; implicit-def: $vgpr15
.LBB136_220:
	s_and_not1_saveexec_b32 s5, s5
	s_cbranch_execz .LBB136_222
; %bb.221:
	v_lshlrev_b32_e32 v16, 2, v0
	v_lshlrev_b32_e32 v15, 2, v15
	v_readfirstlane_b32 s6, v9
	v_readfirstlane_b32 s7, v10
	ds_load_b32 v16, v16 offset:10240
	s_waitcnt lgkmcnt(0)
	global_store_b32 v15, v16, s[6:7]
.LBB136_222:
	s_or_b32 exec_lo, exec_lo, s5
                                        ; implicit-def: $vgpr15
.LBB136_223:
	s_and_not1_saveexec_b32 s3, s3
	s_cbranch_execz .LBB136_225
; %bb.224:
	v_lshlrev_b32_e32 v16, 2, v0
	v_lshlrev_b32_e32 v15, 2, v15
	v_readfirstlane_b32 s6, v11
	v_readfirstlane_b32 s7, v12
	ds_load_b32 v16, v16 offset:10240
	s_waitcnt lgkmcnt(0)
	global_store_b32 v15, v16, s[6:7]
.LBB136_225:
	s_or_b32 exec_lo, exec_lo, s3
	v_or_b32_e32 v15, 0xb00, v0
	s_mov_b32 s3, exec_lo
	s_delay_alu instid0(VALU_DEP_1)
	v_cmpx_le_u32_e64 v5, v15
	s_xor_b32 s3, exec_lo, s3
	s_cbranch_execz .LBB136_231
; %bb.226:
	s_mov_b32 s5, exec_lo
	v_cmpx_le_u32_e64 v14, v15
	s_xor_b32 s5, exec_lo, s5
	s_cbranch_execz .LBB136_228
; %bb.227:
	v_lshlrev_b32_e32 v16, 2, v0
	v_add_co_u32 v15, vcc_lo, v7, v15
	ds_load_b32 v17, v16 offset:11264
	v_add_co_ci_u32_e32 v16, vcc_lo, 0, v13, vcc_lo
	s_delay_alu instid0(VALU_DEP_1) | instskip(NEXT) | instid1(VALU_DEP_1)
	v_lshlrev_b64 v[15:16], 2, v[15:16]
	v_sub_co_u32 v15, vcc_lo, s1, v15
	s_delay_alu instid0(VALU_DEP_2)
	v_sub_co_ci_u32_e32 v16, vcc_lo, s0, v16, vcc_lo
	s_waitcnt lgkmcnt(0)
	global_store_b32 v[15:16], v17, off
                                        ; implicit-def: $vgpr15
.LBB136_228:
	s_and_not1_saveexec_b32 s5, s5
	s_cbranch_execz .LBB136_230
; %bb.229:
	v_lshlrev_b32_e32 v16, 2, v0
	v_lshlrev_b32_e32 v15, 2, v15
	v_readfirstlane_b32 s6, v9
	v_readfirstlane_b32 s7, v10
	ds_load_b32 v16, v16 offset:11264
	s_waitcnt lgkmcnt(0)
	global_store_b32 v15, v16, s[6:7]
.LBB136_230:
	s_or_b32 exec_lo, exec_lo, s5
                                        ; implicit-def: $vgpr15
.LBB136_231:
	s_and_not1_saveexec_b32 s3, s3
	s_cbranch_execz .LBB136_233
; %bb.232:
	v_lshlrev_b32_e32 v16, 2, v0
	v_lshlrev_b32_e32 v15, 2, v15
	v_readfirstlane_b32 s6, v11
	v_readfirstlane_b32 s7, v12
	ds_load_b32 v16, v16 offset:11264
	s_waitcnt lgkmcnt(0)
	global_store_b32 v15, v16, s[6:7]
.LBB136_233:
	s_or_b32 exec_lo, exec_lo, s3
	v_or_b32_e32 v15, 0xc00, v0
	s_mov_b32 s3, exec_lo
	s_delay_alu instid0(VALU_DEP_1)
	v_cmpx_le_u32_e64 v5, v15
	s_xor_b32 s3, exec_lo, s3
	s_cbranch_execz .LBB136_239
; %bb.234:
	s_mov_b32 s5, exec_lo
	v_cmpx_le_u32_e64 v14, v15
	s_xor_b32 s5, exec_lo, s5
	s_cbranch_execz .LBB136_236
; %bb.235:
	v_lshlrev_b32_e32 v16, 2, v0
	v_add_co_u32 v15, vcc_lo, v7, v15
	ds_load_b32 v17, v16 offset:12288
	v_add_co_ci_u32_e32 v16, vcc_lo, 0, v13, vcc_lo
	s_delay_alu instid0(VALU_DEP_1) | instskip(NEXT) | instid1(VALU_DEP_1)
	v_lshlrev_b64 v[15:16], 2, v[15:16]
	v_sub_co_u32 v15, vcc_lo, s1, v15
	s_delay_alu instid0(VALU_DEP_2)
	v_sub_co_ci_u32_e32 v16, vcc_lo, s0, v16, vcc_lo
	s_waitcnt lgkmcnt(0)
	global_store_b32 v[15:16], v17, off
                                        ; implicit-def: $vgpr15
.LBB136_236:
	s_and_not1_saveexec_b32 s5, s5
	s_cbranch_execz .LBB136_238
; %bb.237:
	v_lshlrev_b32_e32 v16, 2, v0
	v_lshlrev_b32_e32 v15, 2, v15
	v_readfirstlane_b32 s6, v9
	v_readfirstlane_b32 s7, v10
	ds_load_b32 v16, v16 offset:12288
	s_waitcnt lgkmcnt(0)
	global_store_b32 v15, v16, s[6:7]
.LBB136_238:
	s_or_b32 exec_lo, exec_lo, s5
                                        ; implicit-def: $vgpr15
.LBB136_239:
	s_and_not1_saveexec_b32 s3, s3
	s_cbranch_execz .LBB136_241
; %bb.240:
	v_lshlrev_b32_e32 v16, 2, v0
	v_lshlrev_b32_e32 v15, 2, v15
	v_readfirstlane_b32 s6, v11
	v_readfirstlane_b32 s7, v12
	ds_load_b32 v16, v16 offset:12288
	s_waitcnt lgkmcnt(0)
	global_store_b32 v15, v16, s[6:7]
.LBB136_241:
	s_or_b32 exec_lo, exec_lo, s3
	s_branch .LBB136_135
.LBB136_242:
	s_mov_b32 s3, exec_lo
	v_cmpx_gt_u32_e64 s4, v0
	s_cbranch_execz .LBB136_251
; %bb.243:
	s_mov_b32 s5, exec_lo
	v_cmpx_le_u32_e64 v5, v0
	s_xor_b32 s5, exec_lo, s5
	s_cbranch_execz .LBB136_249
; %bb.244:
	s_mov_b32 s6, exec_lo
	v_cmpx_le_u32_e64 v14, v0
	s_xor_b32 s6, exec_lo, s6
	s_cbranch_execz .LBB136_246
; %bb.245:
	v_lshlrev_b32_e32 v15, 2, v0
	ds_load_b32 v17, v15
	v_add_co_u32 v15, vcc_lo, v7, v0
	v_add_co_ci_u32_e32 v16, vcc_lo, 0, v13, vcc_lo
	s_delay_alu instid0(VALU_DEP_1) | instskip(NEXT) | instid1(VALU_DEP_1)
	v_lshlrev_b64 v[15:16], 2, v[15:16]
	v_sub_co_u32 v15, vcc_lo, s14, v15
	s_delay_alu instid0(VALU_DEP_2)
	v_sub_co_ci_u32_e32 v16, vcc_lo, s15, v16, vcc_lo
	s_waitcnt lgkmcnt(0)
	global_store_b32 v[15:16], v17, off offset:-4
.LBB136_246:
	s_and_not1_saveexec_b32 s6, s6
	s_cbranch_execz .LBB136_248
; %bb.247:
	v_lshlrev_b32_e32 v15, 2, v0
	v_readfirstlane_b32 s8, v9
	v_readfirstlane_b32 s9, v10
	ds_load_b32 v16, v15
	s_waitcnt lgkmcnt(0)
	global_store_b32 v15, v16, s[8:9]
.LBB136_248:
	s_or_b32 exec_lo, exec_lo, s6
.LBB136_249:
	s_and_not1_saveexec_b32 s5, s5
	s_cbranch_execz .LBB136_251
; %bb.250:
	v_lshlrev_b32_e32 v15, 2, v0
	v_readfirstlane_b32 s6, v11
	v_readfirstlane_b32 s7, v12
	ds_load_b32 v16, v15
	s_waitcnt lgkmcnt(0)
	global_store_b32 v15, v16, s[6:7]
.LBB136_251:
	s_or_b32 exec_lo, exec_lo, s3
	v_or_b32_e32 v15, 0x100, v0
	s_mov_b32 s3, exec_lo
	s_delay_alu instid0(VALU_DEP_1)
	v_cmpx_gt_u32_e64 s4, v15
	s_cbranch_execz .LBB136_260
; %bb.252:
	s_mov_b32 s5, exec_lo
	v_cmpx_le_u32_e64 v5, v15
	s_xor_b32 s5, exec_lo, s5
	s_cbranch_execz .LBB136_258
; %bb.253:
	s_mov_b32 s6, exec_lo
	v_cmpx_le_u32_e64 v14, v15
	s_xor_b32 s6, exec_lo, s6
	s_cbranch_execz .LBB136_255
; %bb.254:
	v_lshlrev_b32_e32 v15, 2, v0
	ds_load_b32 v17, v15 offset:1024
	v_add_co_u32 v15, vcc_lo, v7, v0
	v_add_co_ci_u32_e32 v16, vcc_lo, 0, v13, vcc_lo
	s_delay_alu instid0(VALU_DEP_1) | instskip(NEXT) | instid1(VALU_DEP_1)
	v_lshlrev_b64 v[15:16], 2, v[15:16]
	v_sub_co_u32 v15, vcc_lo, s1, v15
	s_delay_alu instid0(VALU_DEP_2)
	v_sub_co_ci_u32_e32 v16, vcc_lo, s0, v16, vcc_lo
	s_waitcnt lgkmcnt(0)
	global_store_b32 v[15:16], v17, off offset:-1024
.LBB136_255:
	s_and_not1_saveexec_b32 s6, s6
	s_cbranch_execz .LBB136_257
; %bb.256:
	v_lshlrev_b32_e32 v15, 2, v0
	v_readfirstlane_b32 s8, v9
	v_readfirstlane_b32 s9, v10
	ds_load_b32 v16, v15 offset:1024
	s_waitcnt lgkmcnt(0)
	global_store_b32 v15, v16, s[8:9] offset:1024
.LBB136_257:
	s_or_b32 exec_lo, exec_lo, s6
.LBB136_258:
	s_and_not1_saveexec_b32 s5, s5
	s_cbranch_execz .LBB136_260
; %bb.259:
	v_lshlrev_b32_e32 v15, 2, v0
	v_readfirstlane_b32 s6, v11
	v_readfirstlane_b32 s7, v12
	ds_load_b32 v16, v15 offset:1024
	s_waitcnt lgkmcnt(0)
	global_store_b32 v15, v16, s[6:7] offset:1024
.LBB136_260:
	s_or_b32 exec_lo, exec_lo, s3
	v_or_b32_e32 v15, 0x200, v0
	s_mov_b32 s3, exec_lo
	s_delay_alu instid0(VALU_DEP_1)
	v_cmpx_gt_u32_e64 s4, v15
	s_cbranch_execz .LBB136_269
; %bb.261:
	s_mov_b32 s5, exec_lo
	v_cmpx_le_u32_e64 v5, v15
	s_xor_b32 s5, exec_lo, s5
	s_cbranch_execz .LBB136_267
; %bb.262:
	s_mov_b32 s6, exec_lo
	v_cmpx_le_u32_e64 v14, v15
	s_xor_b32 s6, exec_lo, s6
	s_cbranch_execz .LBB136_264
; %bb.263:
	v_lshlrev_b32_e32 v15, 2, v0
	ds_load_b32 v17, v15 offset:2048
	v_add_co_u32 v15, vcc_lo, v7, v0
	v_add_co_ci_u32_e32 v16, vcc_lo, 0, v13, vcc_lo
	s_delay_alu instid0(VALU_DEP_1) | instskip(NEXT) | instid1(VALU_DEP_1)
	v_lshlrev_b64 v[15:16], 2, v[15:16]
	v_sub_co_u32 v15, vcc_lo, s1, v15
	s_delay_alu instid0(VALU_DEP_2)
	v_sub_co_ci_u32_e32 v16, vcc_lo, s0, v16, vcc_lo
	s_waitcnt lgkmcnt(0)
	global_store_b32 v[15:16], v17, off offset:-2048
.LBB136_264:
	s_and_not1_saveexec_b32 s6, s6
	s_cbranch_execz .LBB136_266
; %bb.265:
	v_lshlrev_b32_e32 v15, 2, v0
	v_readfirstlane_b32 s8, v9
	v_readfirstlane_b32 s9, v10
	ds_load_b32 v16, v15 offset:2048
	s_waitcnt lgkmcnt(0)
	global_store_b32 v15, v16, s[8:9] offset:2048
.LBB136_266:
	s_or_b32 exec_lo, exec_lo, s6
.LBB136_267:
	s_and_not1_saveexec_b32 s5, s5
	s_cbranch_execz .LBB136_269
; %bb.268:
	v_lshlrev_b32_e32 v15, 2, v0
	v_readfirstlane_b32 s6, v11
	v_readfirstlane_b32 s7, v12
	ds_load_b32 v16, v15 offset:2048
	s_waitcnt lgkmcnt(0)
	global_store_b32 v15, v16, s[6:7] offset:2048
.LBB136_269:
	;; [unrolled: 51-line block ×3, first 2 shown]
	s_or_b32 exec_lo, exec_lo, s3
	v_or_b32_e32 v15, 0x400, v0
	s_mov_b32 s3, exec_lo
	s_delay_alu instid0(VALU_DEP_1)
	v_cmpx_gt_u32_e64 s4, v15
	s_cbranch_execz .LBB136_287
; %bb.279:
	s_mov_b32 s5, exec_lo
	v_cmpx_le_u32_e64 v5, v15
	s_xor_b32 s5, exec_lo, s5
	s_cbranch_execz .LBB136_285
; %bb.280:
	s_mov_b32 s6, exec_lo
	v_cmpx_le_u32_e64 v14, v15
	s_xor_b32 s6, exec_lo, s6
	s_cbranch_execz .LBB136_282
; %bb.281:
	v_lshlrev_b32_e32 v15, 2, v0
	ds_load_b32 v17, v15 offset:4096
	v_add_co_u32 v15, vcc_lo, v7, v0
	v_add_co_ci_u32_e32 v16, vcc_lo, 0, v13, vcc_lo
	s_delay_alu instid0(VALU_DEP_1) | instskip(NEXT) | instid1(VALU_DEP_1)
	v_lshlrev_b64 v[15:16], 2, v[15:16]
	v_sub_co_u32 v15, vcc_lo, s1, v15
	s_delay_alu instid0(VALU_DEP_2)
	v_sub_co_ci_u32_e32 v16, vcc_lo, s0, v16, vcc_lo
	s_waitcnt lgkmcnt(0)
	global_store_b32 v[15:16], v17, off offset:-4096
                                        ; implicit-def: $vgpr15
.LBB136_282:
	s_and_not1_saveexec_b32 s6, s6
	s_cbranch_execz .LBB136_284
; %bb.283:
	v_lshlrev_b32_e32 v16, 2, v0
	v_lshlrev_b32_e32 v15, 2, v15
	v_readfirstlane_b32 s8, v9
	v_readfirstlane_b32 s9, v10
	ds_load_b32 v16, v16 offset:4096
	s_waitcnt lgkmcnt(0)
	global_store_b32 v15, v16, s[8:9]
.LBB136_284:
	s_or_b32 exec_lo, exec_lo, s6
                                        ; implicit-def: $vgpr15
.LBB136_285:
	s_and_not1_saveexec_b32 s5, s5
	s_cbranch_execz .LBB136_287
; %bb.286:
	v_lshlrev_b32_e32 v16, 2, v0
	v_lshlrev_b32_e32 v15, 2, v15
	v_readfirstlane_b32 s6, v11
	v_readfirstlane_b32 s7, v12
	ds_load_b32 v16, v16 offset:4096
	s_waitcnt lgkmcnt(0)
	global_store_b32 v15, v16, s[6:7]
.LBB136_287:
	s_or_b32 exec_lo, exec_lo, s3
	v_or_b32_e32 v15, 0x500, v0
	s_mov_b32 s3, exec_lo
	s_delay_alu instid0(VALU_DEP_1)
	v_cmpx_gt_u32_e64 s4, v15
	s_cbranch_execz .LBB136_296
; %bb.288:
	s_mov_b32 s5, exec_lo
	v_cmpx_le_u32_e64 v5, v15
	s_xor_b32 s5, exec_lo, s5
	s_cbranch_execz .LBB136_294
; %bb.289:
	s_mov_b32 s6, exec_lo
	v_cmpx_le_u32_e64 v14, v15
	s_xor_b32 s6, exec_lo, s6
	s_cbranch_execz .LBB136_291
; %bb.290:
	v_lshlrev_b32_e32 v16, 2, v0
	v_add_co_u32 v15, vcc_lo, v7, v15
	ds_load_b32 v17, v16 offset:5120
	v_add_co_ci_u32_e32 v16, vcc_lo, 0, v13, vcc_lo
	s_delay_alu instid0(VALU_DEP_1) | instskip(NEXT) | instid1(VALU_DEP_1)
	v_lshlrev_b64 v[15:16], 2, v[15:16]
	v_sub_co_u32 v15, vcc_lo, s1, v15
	s_delay_alu instid0(VALU_DEP_2)
	v_sub_co_ci_u32_e32 v16, vcc_lo, s0, v16, vcc_lo
	s_waitcnt lgkmcnt(0)
	global_store_b32 v[15:16], v17, off
                                        ; implicit-def: $vgpr15
.LBB136_291:
	s_and_not1_saveexec_b32 s6, s6
	s_cbranch_execz .LBB136_293
; %bb.292:
	v_lshlrev_b32_e32 v16, 2, v0
	v_lshlrev_b32_e32 v15, 2, v15
	v_readfirstlane_b32 s8, v9
	v_readfirstlane_b32 s9, v10
	ds_load_b32 v16, v16 offset:5120
	s_waitcnt lgkmcnt(0)
	global_store_b32 v15, v16, s[8:9]
.LBB136_293:
	s_or_b32 exec_lo, exec_lo, s6
                                        ; implicit-def: $vgpr15
.LBB136_294:
	s_and_not1_saveexec_b32 s5, s5
	s_cbranch_execz .LBB136_296
; %bb.295:
	v_lshlrev_b32_e32 v16, 2, v0
	v_lshlrev_b32_e32 v15, 2, v15
	v_readfirstlane_b32 s6, v11
	v_readfirstlane_b32 s7, v12
	ds_load_b32 v16, v16 offset:5120
	s_waitcnt lgkmcnt(0)
	global_store_b32 v15, v16, s[6:7]
.LBB136_296:
	s_or_b32 exec_lo, exec_lo, s3
	v_or_b32_e32 v15, 0x600, v0
	s_mov_b32 s3, exec_lo
	s_delay_alu instid0(VALU_DEP_1)
	v_cmpx_gt_u32_e64 s4, v15
	s_cbranch_execz .LBB136_305
; %bb.297:
	s_mov_b32 s5, exec_lo
	v_cmpx_le_u32_e64 v5, v15
	s_xor_b32 s5, exec_lo, s5
	s_cbranch_execz .LBB136_303
; %bb.298:
	s_mov_b32 s6, exec_lo
	v_cmpx_le_u32_e64 v14, v15
	s_xor_b32 s6, exec_lo, s6
	s_cbranch_execz .LBB136_300
; %bb.299:
	v_lshlrev_b32_e32 v16, 2, v0
	v_add_co_u32 v15, vcc_lo, v7, v15
	ds_load_b32 v17, v16 offset:6144
	v_add_co_ci_u32_e32 v16, vcc_lo, 0, v13, vcc_lo
	s_delay_alu instid0(VALU_DEP_1) | instskip(NEXT) | instid1(VALU_DEP_1)
	v_lshlrev_b64 v[15:16], 2, v[15:16]
	v_sub_co_u32 v15, vcc_lo, s1, v15
	s_delay_alu instid0(VALU_DEP_2)
	v_sub_co_ci_u32_e32 v16, vcc_lo, s0, v16, vcc_lo
	s_waitcnt lgkmcnt(0)
	global_store_b32 v[15:16], v17, off
                                        ; implicit-def: $vgpr15
.LBB136_300:
	s_and_not1_saveexec_b32 s6, s6
	s_cbranch_execz .LBB136_302
; %bb.301:
	v_lshlrev_b32_e32 v16, 2, v0
	v_lshlrev_b32_e32 v15, 2, v15
	v_readfirstlane_b32 s8, v9
	v_readfirstlane_b32 s9, v10
	ds_load_b32 v16, v16 offset:6144
	s_waitcnt lgkmcnt(0)
	global_store_b32 v15, v16, s[8:9]
.LBB136_302:
	s_or_b32 exec_lo, exec_lo, s6
                                        ; implicit-def: $vgpr15
.LBB136_303:
	s_and_not1_saveexec_b32 s5, s5
	s_cbranch_execz .LBB136_305
; %bb.304:
	v_lshlrev_b32_e32 v16, 2, v0
	v_lshlrev_b32_e32 v15, 2, v15
	v_readfirstlane_b32 s6, v11
	v_readfirstlane_b32 s7, v12
	ds_load_b32 v16, v16 offset:6144
	s_waitcnt lgkmcnt(0)
	global_store_b32 v15, v16, s[6:7]
.LBB136_305:
	;; [unrolled: 55-line block ×7, first 2 shown]
	s_or_b32 exec_lo, exec_lo, s3
	v_or_b32_e32 v15, 0xc00, v0
	s_mov_b32 s3, exec_lo
	s_delay_alu instid0(VALU_DEP_1)
	v_cmpx_gt_u32_e64 s4, v15
	s_cbranch_execz .LBB136_359
; %bb.351:
	s_mov_b32 s4, exec_lo
	v_cmpx_le_u32_e64 v5, v15
	s_xor_b32 s4, exec_lo, s4
	s_cbranch_execz .LBB136_357
; %bb.352:
	s_mov_b32 s5, exec_lo
	v_cmpx_le_u32_e64 v14, v15
	s_xor_b32 s5, exec_lo, s5
	s_cbranch_execz .LBB136_354
; %bb.353:
	v_lshlrev_b32_e32 v0, 2, v0
	v_add_co_u32 v9, vcc_lo, v7, v15
	v_add_co_ci_u32_e32 v10, vcc_lo, 0, v13, vcc_lo
	ds_load_b32 v0, v0 offset:12288
                                        ; implicit-def: $vgpr15
	v_lshlrev_b64 v[9:10], 2, v[9:10]
	s_delay_alu instid0(VALU_DEP_1) | instskip(NEXT) | instid1(VALU_DEP_2)
	v_sub_co_u32 v9, vcc_lo, s1, v9
	v_sub_co_ci_u32_e32 v10, vcc_lo, s0, v10, vcc_lo
	s_waitcnt lgkmcnt(0)
	global_store_b32 v[9:10], v0, off
                                        ; implicit-def: $vgpr0
                                        ; implicit-def: $vgpr9_vgpr10
.LBB136_354:
	s_and_not1_saveexec_b32 s0, s5
	s_cbranch_execz .LBB136_356
; %bb.355:
	v_lshlrev_b32_e32 v0, 2, v0
	v_lshlrev_b32_e32 v7, 2, v15
	v_readfirstlane_b32 s6, v9
	v_readfirstlane_b32 s7, v10
	ds_load_b32 v0, v0 offset:12288
	s_waitcnt lgkmcnt(0)
	global_store_b32 v7, v0, s[6:7]
.LBB136_356:
	s_or_b32 exec_lo, exec_lo, s0
                                        ; implicit-def: $vgpr0
                                        ; implicit-def: $vgpr15
                                        ; implicit-def: $vgpr11_vgpr12
.LBB136_357:
	s_and_not1_saveexec_b32 s0, s4
	s_cbranch_execz .LBB136_359
; %bb.358:
	v_lshlrev_b32_e32 v0, 2, v0
	v_lshlrev_b32_e32 v7, 2, v15
	v_readfirstlane_b32 s0, v11
	v_readfirstlane_b32 s1, v12
	ds_load_b32 v0, v0 offset:12288
	s_waitcnt lgkmcnt(0)
	global_store_b32 v7, v0, s[0:1]
.LBB136_359:
	s_or_b32 exec_lo, exec_lo, s3
	s_and_b32 s0, s2, s13
	s_delay_alu instid0(SALU_CYCLE_1)
	s_and_saveexec_b32 s1, s0
	s_cbranch_execz .LBB136_136
.LBB136_360:
	v_add_co_u32 v3, vcc_lo, v3, v6
	v_add_co_ci_u32_e32 v4, vcc_lo, 0, v4, vcc_lo
	v_add_co_u32 v0, vcc_lo, v1, v5
	v_add_co_ci_u32_e32 v1, vcc_lo, 0, v2, vcc_lo
	s_delay_alu instid0(VALU_DEP_4)
	v_add_co_u32 v2, vcc_lo, v3, v8
	v_mov_b32_e32 v7, 0
	v_add_co_ci_u32_e32 v3, vcc_lo, 0, v4, vcc_lo
	global_store_b128 v7, v[0:3], s[24:25]
	s_nop 0
	s_sendmsg sendmsg(MSG_DEALLOC_VGPRS)
	s_endpgm
.LBB136_361:
	v_add_nc_u32_e32 v7, s6, v27
	s_add_i32 s8, s26, 32
	s_mov_b32 s9, 0
	v_dual_mov_b32 v9, 0 :: v_dual_add_nc_u32 v6, v26, v5
	s_lshl_b64 s[8:9], s[8:9], 4
	v_and_b32_e32 v24, 0xff0000, v7
	s_add_u32 s8, s36, s8
	s_addc_u32 s9, s37, s9
	v_and_b32_e32 v8, 0xff000000, v7
	s_delay_alu instid0(VALU_DEP_1) | instskip(SKIP_2) | instid1(VALU_DEP_1)
	v_or_b32_e32 v24, v24, v8
	v_dual_mov_b32 v8, 2 :: v_dual_and_b32 v25, 0xff00, v7
	v_and_b32_e32 v7, 0xff, v7
	v_or3_b32 v7, v24, v25, v7
	v_dual_mov_b32 v25, s9 :: v_dual_mov_b32 v24, s8
	;;#ASMSTART
	global_store_dwordx4 v[24:25], v[6:9] off	
s_waitcnt vmcnt(0)
	;;#ASMEND
	s_or_b32 exec_lo, exec_lo, s7
	s_and_saveexec_b32 s7, s3
	s_cbranch_execz .LBB136_120
.LBB136_362:
	v_mov_b32_e32 v6, s6
	v_add_nc_u32_e64 v7, 0x3400, 0
	ds_store_2addr_b32 v7, v5, v6 offset1:2
	ds_store_2addr_b32 v7, v26, v27 offset0:4 offset1:6
	s_or_b32 exec_lo, exec_lo, s7
	s_delay_alu instid0(SALU_CYCLE_1)
	s_and_b32 exec_lo, exec_lo, s2
	s_cbranch_execnz .LBB136_121
	s_branch .LBB136_122
	.section	.rodata,"a",@progbits
	.p2align	6, 0x0
	.amdhsa_kernel _ZN7rocprim17ROCPRIM_400000_NS6detail17trampoline_kernelINS0_13select_configILj256ELj13ELNS0_17block_load_methodE3ELS4_3ELS4_3ELNS0_20block_scan_algorithmE0ELj4294967295EEENS1_25partition_config_selectorILNS1_17partition_subalgoE4EjNS0_10empty_typeEbEEZZNS1_14partition_implILS8_4ELb0ES6_15HIP_vector_typeIjLj2EENS0_17counting_iteratorIjlEEPS9_SG_NS0_5tupleIJPjSI_NS0_16reverse_iteratorISI_EEEEENSH_IJSG_SG_SG_EEES9_SI_JZNS1_25segmented_radix_sort_implINS0_14default_configELb0EPKhPhPKlPlN2at6native12_GLOBAL__N_18offset_tEEE10hipError_tPvRmT1_PNSt15iterator_traitsIS12_E10value_typeET2_T3_PNS13_IS18_E10value_typeET4_jRbjT5_S1E_jjP12ihipStream_tbEUljE_ZNSN_ISO_Lb0ESQ_SR_ST_SU_SY_EESZ_S10_S11_S12_S16_S17_S18_S1B_S1C_jS1D_jS1E_S1E_jjS1G_bEUljE0_EEESZ_S10_S11_S18_S1C_S1E_T6_T7_T9_mT8_S1G_bDpT10_ENKUlT_T0_E_clISt17integral_constantIbLb1EES1U_EEDaS1P_S1Q_EUlS1P_E_NS1_11comp_targetILNS1_3genE9ELNS1_11target_archE1100ELNS1_3gpuE3ELNS1_3repE0EEENS1_30default_config_static_selectorELNS0_4arch9wavefront6targetE0EEEvS12_
		.amdhsa_group_segment_fixed_size 13340
		.amdhsa_private_segment_fixed_size 0
		.amdhsa_kernarg_size 184
		.amdhsa_user_sgpr_count 15
		.amdhsa_user_sgpr_dispatch_ptr 0
		.amdhsa_user_sgpr_queue_ptr 0
		.amdhsa_user_sgpr_kernarg_segment_ptr 1
		.amdhsa_user_sgpr_dispatch_id 0
		.amdhsa_user_sgpr_private_segment_size 0
		.amdhsa_wavefront_size32 1
		.amdhsa_uses_dynamic_stack 0
		.amdhsa_enable_private_segment 0
		.amdhsa_system_sgpr_workgroup_id_x 1
		.amdhsa_system_sgpr_workgroup_id_y 0
		.amdhsa_system_sgpr_workgroup_id_z 0
		.amdhsa_system_sgpr_workgroup_info 0
		.amdhsa_system_vgpr_workitem_id 0
		.amdhsa_next_free_vgpr 103
		.amdhsa_next_free_sgpr 55
		.amdhsa_reserve_vcc 1
		.amdhsa_float_round_mode_32 0
		.amdhsa_float_round_mode_16_64 0
		.amdhsa_float_denorm_mode_32 3
		.amdhsa_float_denorm_mode_16_64 3
		.amdhsa_dx10_clamp 1
		.amdhsa_ieee_mode 1
		.amdhsa_fp16_overflow 0
		.amdhsa_workgroup_processor_mode 1
		.amdhsa_memory_ordered 1
		.amdhsa_forward_progress 0
		.amdhsa_shared_vgpr_count 0
		.amdhsa_exception_fp_ieee_invalid_op 0
		.amdhsa_exception_fp_denorm_src 0
		.amdhsa_exception_fp_ieee_div_zero 0
		.amdhsa_exception_fp_ieee_overflow 0
		.amdhsa_exception_fp_ieee_underflow 0
		.amdhsa_exception_fp_ieee_inexact 0
		.amdhsa_exception_int_div_zero 0
	.end_amdhsa_kernel
	.section	.text._ZN7rocprim17ROCPRIM_400000_NS6detail17trampoline_kernelINS0_13select_configILj256ELj13ELNS0_17block_load_methodE3ELS4_3ELS4_3ELNS0_20block_scan_algorithmE0ELj4294967295EEENS1_25partition_config_selectorILNS1_17partition_subalgoE4EjNS0_10empty_typeEbEEZZNS1_14partition_implILS8_4ELb0ES6_15HIP_vector_typeIjLj2EENS0_17counting_iteratorIjlEEPS9_SG_NS0_5tupleIJPjSI_NS0_16reverse_iteratorISI_EEEEENSH_IJSG_SG_SG_EEES9_SI_JZNS1_25segmented_radix_sort_implINS0_14default_configELb0EPKhPhPKlPlN2at6native12_GLOBAL__N_18offset_tEEE10hipError_tPvRmT1_PNSt15iterator_traitsIS12_E10value_typeET2_T3_PNS13_IS18_E10value_typeET4_jRbjT5_S1E_jjP12ihipStream_tbEUljE_ZNSN_ISO_Lb0ESQ_SR_ST_SU_SY_EESZ_S10_S11_S12_S16_S17_S18_S1B_S1C_jS1D_jS1E_S1E_jjS1G_bEUljE0_EEESZ_S10_S11_S18_S1C_S1E_T6_T7_T9_mT8_S1G_bDpT10_ENKUlT_T0_E_clISt17integral_constantIbLb1EES1U_EEDaS1P_S1Q_EUlS1P_E_NS1_11comp_targetILNS1_3genE9ELNS1_11target_archE1100ELNS1_3gpuE3ELNS1_3repE0EEENS1_30default_config_static_selectorELNS0_4arch9wavefront6targetE0EEEvS12_,"axG",@progbits,_ZN7rocprim17ROCPRIM_400000_NS6detail17trampoline_kernelINS0_13select_configILj256ELj13ELNS0_17block_load_methodE3ELS4_3ELS4_3ELNS0_20block_scan_algorithmE0ELj4294967295EEENS1_25partition_config_selectorILNS1_17partition_subalgoE4EjNS0_10empty_typeEbEEZZNS1_14partition_implILS8_4ELb0ES6_15HIP_vector_typeIjLj2EENS0_17counting_iteratorIjlEEPS9_SG_NS0_5tupleIJPjSI_NS0_16reverse_iteratorISI_EEEEENSH_IJSG_SG_SG_EEES9_SI_JZNS1_25segmented_radix_sort_implINS0_14default_configELb0EPKhPhPKlPlN2at6native12_GLOBAL__N_18offset_tEEE10hipError_tPvRmT1_PNSt15iterator_traitsIS12_E10value_typeET2_T3_PNS13_IS18_E10value_typeET4_jRbjT5_S1E_jjP12ihipStream_tbEUljE_ZNSN_ISO_Lb0ESQ_SR_ST_SU_SY_EESZ_S10_S11_S12_S16_S17_S18_S1B_S1C_jS1D_jS1E_S1E_jjS1G_bEUljE0_EEESZ_S10_S11_S18_S1C_S1E_T6_T7_T9_mT8_S1G_bDpT10_ENKUlT_T0_E_clISt17integral_constantIbLb1EES1U_EEDaS1P_S1Q_EUlS1P_E_NS1_11comp_targetILNS1_3genE9ELNS1_11target_archE1100ELNS1_3gpuE3ELNS1_3repE0EEENS1_30default_config_static_selectorELNS0_4arch9wavefront6targetE0EEEvS12_,comdat
.Lfunc_end136:
	.size	_ZN7rocprim17ROCPRIM_400000_NS6detail17trampoline_kernelINS0_13select_configILj256ELj13ELNS0_17block_load_methodE3ELS4_3ELS4_3ELNS0_20block_scan_algorithmE0ELj4294967295EEENS1_25partition_config_selectorILNS1_17partition_subalgoE4EjNS0_10empty_typeEbEEZZNS1_14partition_implILS8_4ELb0ES6_15HIP_vector_typeIjLj2EENS0_17counting_iteratorIjlEEPS9_SG_NS0_5tupleIJPjSI_NS0_16reverse_iteratorISI_EEEEENSH_IJSG_SG_SG_EEES9_SI_JZNS1_25segmented_radix_sort_implINS0_14default_configELb0EPKhPhPKlPlN2at6native12_GLOBAL__N_18offset_tEEE10hipError_tPvRmT1_PNSt15iterator_traitsIS12_E10value_typeET2_T3_PNS13_IS18_E10value_typeET4_jRbjT5_S1E_jjP12ihipStream_tbEUljE_ZNSN_ISO_Lb0ESQ_SR_ST_SU_SY_EESZ_S10_S11_S12_S16_S17_S18_S1B_S1C_jS1D_jS1E_S1E_jjS1G_bEUljE0_EEESZ_S10_S11_S18_S1C_S1E_T6_T7_T9_mT8_S1G_bDpT10_ENKUlT_T0_E_clISt17integral_constantIbLb1EES1U_EEDaS1P_S1Q_EUlS1P_E_NS1_11comp_targetILNS1_3genE9ELNS1_11target_archE1100ELNS1_3gpuE3ELNS1_3repE0EEENS1_30default_config_static_selectorELNS0_4arch9wavefront6targetE0EEEvS12_, .Lfunc_end136-_ZN7rocprim17ROCPRIM_400000_NS6detail17trampoline_kernelINS0_13select_configILj256ELj13ELNS0_17block_load_methodE3ELS4_3ELS4_3ELNS0_20block_scan_algorithmE0ELj4294967295EEENS1_25partition_config_selectorILNS1_17partition_subalgoE4EjNS0_10empty_typeEbEEZZNS1_14partition_implILS8_4ELb0ES6_15HIP_vector_typeIjLj2EENS0_17counting_iteratorIjlEEPS9_SG_NS0_5tupleIJPjSI_NS0_16reverse_iteratorISI_EEEEENSH_IJSG_SG_SG_EEES9_SI_JZNS1_25segmented_radix_sort_implINS0_14default_configELb0EPKhPhPKlPlN2at6native12_GLOBAL__N_18offset_tEEE10hipError_tPvRmT1_PNSt15iterator_traitsIS12_E10value_typeET2_T3_PNS13_IS18_E10value_typeET4_jRbjT5_S1E_jjP12ihipStream_tbEUljE_ZNSN_ISO_Lb0ESQ_SR_ST_SU_SY_EESZ_S10_S11_S12_S16_S17_S18_S1B_S1C_jS1D_jS1E_S1E_jjS1G_bEUljE0_EEESZ_S10_S11_S18_S1C_S1E_T6_T7_T9_mT8_S1G_bDpT10_ENKUlT_T0_E_clISt17integral_constantIbLb1EES1U_EEDaS1P_S1Q_EUlS1P_E_NS1_11comp_targetILNS1_3genE9ELNS1_11target_archE1100ELNS1_3gpuE3ELNS1_3repE0EEENS1_30default_config_static_selectorELNS0_4arch9wavefront6targetE0EEEvS12_
                                        ; -- End function
	.section	.AMDGPU.csdata,"",@progbits
; Kernel info:
; codeLenInByte = 15160
; NumSgprs: 57
; NumVgprs: 103
; ScratchSize: 0
; MemoryBound: 0
; FloatMode: 240
; IeeeMode: 1
; LDSByteSize: 13340 bytes/workgroup (compile time only)
; SGPRBlocks: 7
; VGPRBlocks: 12
; NumSGPRsForWavesPerEU: 57
; NumVGPRsForWavesPerEU: 103
; Occupancy: 12
; WaveLimiterHint : 1
; COMPUTE_PGM_RSRC2:SCRATCH_EN: 0
; COMPUTE_PGM_RSRC2:USER_SGPR: 15
; COMPUTE_PGM_RSRC2:TRAP_HANDLER: 0
; COMPUTE_PGM_RSRC2:TGID_X_EN: 1
; COMPUTE_PGM_RSRC2:TGID_Y_EN: 0
; COMPUTE_PGM_RSRC2:TGID_Z_EN: 0
; COMPUTE_PGM_RSRC2:TIDIG_COMP_CNT: 0
	.section	.text._ZN7rocprim17ROCPRIM_400000_NS6detail17trampoline_kernelINS0_13select_configILj256ELj13ELNS0_17block_load_methodE3ELS4_3ELS4_3ELNS0_20block_scan_algorithmE0ELj4294967295EEENS1_25partition_config_selectorILNS1_17partition_subalgoE4EjNS0_10empty_typeEbEEZZNS1_14partition_implILS8_4ELb0ES6_15HIP_vector_typeIjLj2EENS0_17counting_iteratorIjlEEPS9_SG_NS0_5tupleIJPjSI_NS0_16reverse_iteratorISI_EEEEENSH_IJSG_SG_SG_EEES9_SI_JZNS1_25segmented_radix_sort_implINS0_14default_configELb0EPKhPhPKlPlN2at6native12_GLOBAL__N_18offset_tEEE10hipError_tPvRmT1_PNSt15iterator_traitsIS12_E10value_typeET2_T3_PNS13_IS18_E10value_typeET4_jRbjT5_S1E_jjP12ihipStream_tbEUljE_ZNSN_ISO_Lb0ESQ_SR_ST_SU_SY_EESZ_S10_S11_S12_S16_S17_S18_S1B_S1C_jS1D_jS1E_S1E_jjS1G_bEUljE0_EEESZ_S10_S11_S18_S1C_S1E_T6_T7_T9_mT8_S1G_bDpT10_ENKUlT_T0_E_clISt17integral_constantIbLb1EES1U_EEDaS1P_S1Q_EUlS1P_E_NS1_11comp_targetILNS1_3genE8ELNS1_11target_archE1030ELNS1_3gpuE2ELNS1_3repE0EEENS1_30default_config_static_selectorELNS0_4arch9wavefront6targetE0EEEvS12_,"axG",@progbits,_ZN7rocprim17ROCPRIM_400000_NS6detail17trampoline_kernelINS0_13select_configILj256ELj13ELNS0_17block_load_methodE3ELS4_3ELS4_3ELNS0_20block_scan_algorithmE0ELj4294967295EEENS1_25partition_config_selectorILNS1_17partition_subalgoE4EjNS0_10empty_typeEbEEZZNS1_14partition_implILS8_4ELb0ES6_15HIP_vector_typeIjLj2EENS0_17counting_iteratorIjlEEPS9_SG_NS0_5tupleIJPjSI_NS0_16reverse_iteratorISI_EEEEENSH_IJSG_SG_SG_EEES9_SI_JZNS1_25segmented_radix_sort_implINS0_14default_configELb0EPKhPhPKlPlN2at6native12_GLOBAL__N_18offset_tEEE10hipError_tPvRmT1_PNSt15iterator_traitsIS12_E10value_typeET2_T3_PNS13_IS18_E10value_typeET4_jRbjT5_S1E_jjP12ihipStream_tbEUljE_ZNSN_ISO_Lb0ESQ_SR_ST_SU_SY_EESZ_S10_S11_S12_S16_S17_S18_S1B_S1C_jS1D_jS1E_S1E_jjS1G_bEUljE0_EEESZ_S10_S11_S18_S1C_S1E_T6_T7_T9_mT8_S1G_bDpT10_ENKUlT_T0_E_clISt17integral_constantIbLb1EES1U_EEDaS1P_S1Q_EUlS1P_E_NS1_11comp_targetILNS1_3genE8ELNS1_11target_archE1030ELNS1_3gpuE2ELNS1_3repE0EEENS1_30default_config_static_selectorELNS0_4arch9wavefront6targetE0EEEvS12_,comdat
	.globl	_ZN7rocprim17ROCPRIM_400000_NS6detail17trampoline_kernelINS0_13select_configILj256ELj13ELNS0_17block_load_methodE3ELS4_3ELS4_3ELNS0_20block_scan_algorithmE0ELj4294967295EEENS1_25partition_config_selectorILNS1_17partition_subalgoE4EjNS0_10empty_typeEbEEZZNS1_14partition_implILS8_4ELb0ES6_15HIP_vector_typeIjLj2EENS0_17counting_iteratorIjlEEPS9_SG_NS0_5tupleIJPjSI_NS0_16reverse_iteratorISI_EEEEENSH_IJSG_SG_SG_EEES9_SI_JZNS1_25segmented_radix_sort_implINS0_14default_configELb0EPKhPhPKlPlN2at6native12_GLOBAL__N_18offset_tEEE10hipError_tPvRmT1_PNSt15iterator_traitsIS12_E10value_typeET2_T3_PNS13_IS18_E10value_typeET4_jRbjT5_S1E_jjP12ihipStream_tbEUljE_ZNSN_ISO_Lb0ESQ_SR_ST_SU_SY_EESZ_S10_S11_S12_S16_S17_S18_S1B_S1C_jS1D_jS1E_S1E_jjS1G_bEUljE0_EEESZ_S10_S11_S18_S1C_S1E_T6_T7_T9_mT8_S1G_bDpT10_ENKUlT_T0_E_clISt17integral_constantIbLb1EES1U_EEDaS1P_S1Q_EUlS1P_E_NS1_11comp_targetILNS1_3genE8ELNS1_11target_archE1030ELNS1_3gpuE2ELNS1_3repE0EEENS1_30default_config_static_selectorELNS0_4arch9wavefront6targetE0EEEvS12_ ; -- Begin function _ZN7rocprim17ROCPRIM_400000_NS6detail17trampoline_kernelINS0_13select_configILj256ELj13ELNS0_17block_load_methodE3ELS4_3ELS4_3ELNS0_20block_scan_algorithmE0ELj4294967295EEENS1_25partition_config_selectorILNS1_17partition_subalgoE4EjNS0_10empty_typeEbEEZZNS1_14partition_implILS8_4ELb0ES6_15HIP_vector_typeIjLj2EENS0_17counting_iteratorIjlEEPS9_SG_NS0_5tupleIJPjSI_NS0_16reverse_iteratorISI_EEEEENSH_IJSG_SG_SG_EEES9_SI_JZNS1_25segmented_radix_sort_implINS0_14default_configELb0EPKhPhPKlPlN2at6native12_GLOBAL__N_18offset_tEEE10hipError_tPvRmT1_PNSt15iterator_traitsIS12_E10value_typeET2_T3_PNS13_IS18_E10value_typeET4_jRbjT5_S1E_jjP12ihipStream_tbEUljE_ZNSN_ISO_Lb0ESQ_SR_ST_SU_SY_EESZ_S10_S11_S12_S16_S17_S18_S1B_S1C_jS1D_jS1E_S1E_jjS1G_bEUljE0_EEESZ_S10_S11_S18_S1C_S1E_T6_T7_T9_mT8_S1G_bDpT10_ENKUlT_T0_E_clISt17integral_constantIbLb1EES1U_EEDaS1P_S1Q_EUlS1P_E_NS1_11comp_targetILNS1_3genE8ELNS1_11target_archE1030ELNS1_3gpuE2ELNS1_3repE0EEENS1_30default_config_static_selectorELNS0_4arch9wavefront6targetE0EEEvS12_
	.p2align	8
	.type	_ZN7rocprim17ROCPRIM_400000_NS6detail17trampoline_kernelINS0_13select_configILj256ELj13ELNS0_17block_load_methodE3ELS4_3ELS4_3ELNS0_20block_scan_algorithmE0ELj4294967295EEENS1_25partition_config_selectorILNS1_17partition_subalgoE4EjNS0_10empty_typeEbEEZZNS1_14partition_implILS8_4ELb0ES6_15HIP_vector_typeIjLj2EENS0_17counting_iteratorIjlEEPS9_SG_NS0_5tupleIJPjSI_NS0_16reverse_iteratorISI_EEEEENSH_IJSG_SG_SG_EEES9_SI_JZNS1_25segmented_radix_sort_implINS0_14default_configELb0EPKhPhPKlPlN2at6native12_GLOBAL__N_18offset_tEEE10hipError_tPvRmT1_PNSt15iterator_traitsIS12_E10value_typeET2_T3_PNS13_IS18_E10value_typeET4_jRbjT5_S1E_jjP12ihipStream_tbEUljE_ZNSN_ISO_Lb0ESQ_SR_ST_SU_SY_EESZ_S10_S11_S12_S16_S17_S18_S1B_S1C_jS1D_jS1E_S1E_jjS1G_bEUljE0_EEESZ_S10_S11_S18_S1C_S1E_T6_T7_T9_mT8_S1G_bDpT10_ENKUlT_T0_E_clISt17integral_constantIbLb1EES1U_EEDaS1P_S1Q_EUlS1P_E_NS1_11comp_targetILNS1_3genE8ELNS1_11target_archE1030ELNS1_3gpuE2ELNS1_3repE0EEENS1_30default_config_static_selectorELNS0_4arch9wavefront6targetE0EEEvS12_,@function
_ZN7rocprim17ROCPRIM_400000_NS6detail17trampoline_kernelINS0_13select_configILj256ELj13ELNS0_17block_load_methodE3ELS4_3ELS4_3ELNS0_20block_scan_algorithmE0ELj4294967295EEENS1_25partition_config_selectorILNS1_17partition_subalgoE4EjNS0_10empty_typeEbEEZZNS1_14partition_implILS8_4ELb0ES6_15HIP_vector_typeIjLj2EENS0_17counting_iteratorIjlEEPS9_SG_NS0_5tupleIJPjSI_NS0_16reverse_iteratorISI_EEEEENSH_IJSG_SG_SG_EEES9_SI_JZNS1_25segmented_radix_sort_implINS0_14default_configELb0EPKhPhPKlPlN2at6native12_GLOBAL__N_18offset_tEEE10hipError_tPvRmT1_PNSt15iterator_traitsIS12_E10value_typeET2_T3_PNS13_IS18_E10value_typeET4_jRbjT5_S1E_jjP12ihipStream_tbEUljE_ZNSN_ISO_Lb0ESQ_SR_ST_SU_SY_EESZ_S10_S11_S12_S16_S17_S18_S1B_S1C_jS1D_jS1E_S1E_jjS1G_bEUljE0_EEESZ_S10_S11_S18_S1C_S1E_T6_T7_T9_mT8_S1G_bDpT10_ENKUlT_T0_E_clISt17integral_constantIbLb1EES1U_EEDaS1P_S1Q_EUlS1P_E_NS1_11comp_targetILNS1_3genE8ELNS1_11target_archE1030ELNS1_3gpuE2ELNS1_3repE0EEENS1_30default_config_static_selectorELNS0_4arch9wavefront6targetE0EEEvS12_: ; @_ZN7rocprim17ROCPRIM_400000_NS6detail17trampoline_kernelINS0_13select_configILj256ELj13ELNS0_17block_load_methodE3ELS4_3ELS4_3ELNS0_20block_scan_algorithmE0ELj4294967295EEENS1_25partition_config_selectorILNS1_17partition_subalgoE4EjNS0_10empty_typeEbEEZZNS1_14partition_implILS8_4ELb0ES6_15HIP_vector_typeIjLj2EENS0_17counting_iteratorIjlEEPS9_SG_NS0_5tupleIJPjSI_NS0_16reverse_iteratorISI_EEEEENSH_IJSG_SG_SG_EEES9_SI_JZNS1_25segmented_radix_sort_implINS0_14default_configELb0EPKhPhPKlPlN2at6native12_GLOBAL__N_18offset_tEEE10hipError_tPvRmT1_PNSt15iterator_traitsIS12_E10value_typeET2_T3_PNS13_IS18_E10value_typeET4_jRbjT5_S1E_jjP12ihipStream_tbEUljE_ZNSN_ISO_Lb0ESQ_SR_ST_SU_SY_EESZ_S10_S11_S12_S16_S17_S18_S1B_S1C_jS1D_jS1E_S1E_jjS1G_bEUljE0_EEESZ_S10_S11_S18_S1C_S1E_T6_T7_T9_mT8_S1G_bDpT10_ENKUlT_T0_E_clISt17integral_constantIbLb1EES1U_EEDaS1P_S1Q_EUlS1P_E_NS1_11comp_targetILNS1_3genE8ELNS1_11target_archE1030ELNS1_3gpuE2ELNS1_3repE0EEENS1_30default_config_static_selectorELNS0_4arch9wavefront6targetE0EEEvS12_
; %bb.0:
	.section	.rodata,"a",@progbits
	.p2align	6, 0x0
	.amdhsa_kernel _ZN7rocprim17ROCPRIM_400000_NS6detail17trampoline_kernelINS0_13select_configILj256ELj13ELNS0_17block_load_methodE3ELS4_3ELS4_3ELNS0_20block_scan_algorithmE0ELj4294967295EEENS1_25partition_config_selectorILNS1_17partition_subalgoE4EjNS0_10empty_typeEbEEZZNS1_14partition_implILS8_4ELb0ES6_15HIP_vector_typeIjLj2EENS0_17counting_iteratorIjlEEPS9_SG_NS0_5tupleIJPjSI_NS0_16reverse_iteratorISI_EEEEENSH_IJSG_SG_SG_EEES9_SI_JZNS1_25segmented_radix_sort_implINS0_14default_configELb0EPKhPhPKlPlN2at6native12_GLOBAL__N_18offset_tEEE10hipError_tPvRmT1_PNSt15iterator_traitsIS12_E10value_typeET2_T3_PNS13_IS18_E10value_typeET4_jRbjT5_S1E_jjP12ihipStream_tbEUljE_ZNSN_ISO_Lb0ESQ_SR_ST_SU_SY_EESZ_S10_S11_S12_S16_S17_S18_S1B_S1C_jS1D_jS1E_S1E_jjS1G_bEUljE0_EEESZ_S10_S11_S18_S1C_S1E_T6_T7_T9_mT8_S1G_bDpT10_ENKUlT_T0_E_clISt17integral_constantIbLb1EES1U_EEDaS1P_S1Q_EUlS1P_E_NS1_11comp_targetILNS1_3genE8ELNS1_11target_archE1030ELNS1_3gpuE2ELNS1_3repE0EEENS1_30default_config_static_selectorELNS0_4arch9wavefront6targetE0EEEvS12_
		.amdhsa_group_segment_fixed_size 0
		.amdhsa_private_segment_fixed_size 0
		.amdhsa_kernarg_size 184
		.amdhsa_user_sgpr_count 15
		.amdhsa_user_sgpr_dispatch_ptr 0
		.amdhsa_user_sgpr_queue_ptr 0
		.amdhsa_user_sgpr_kernarg_segment_ptr 1
		.amdhsa_user_sgpr_dispatch_id 0
		.amdhsa_user_sgpr_private_segment_size 0
		.amdhsa_wavefront_size32 1
		.amdhsa_uses_dynamic_stack 0
		.amdhsa_enable_private_segment 0
		.amdhsa_system_sgpr_workgroup_id_x 1
		.amdhsa_system_sgpr_workgroup_id_y 0
		.amdhsa_system_sgpr_workgroup_id_z 0
		.amdhsa_system_sgpr_workgroup_info 0
		.amdhsa_system_vgpr_workitem_id 0
		.amdhsa_next_free_vgpr 1
		.amdhsa_next_free_sgpr 1
		.amdhsa_reserve_vcc 0
		.amdhsa_float_round_mode_32 0
		.amdhsa_float_round_mode_16_64 0
		.amdhsa_float_denorm_mode_32 3
		.amdhsa_float_denorm_mode_16_64 3
		.amdhsa_dx10_clamp 1
		.amdhsa_ieee_mode 1
		.amdhsa_fp16_overflow 0
		.amdhsa_workgroup_processor_mode 1
		.amdhsa_memory_ordered 1
		.amdhsa_forward_progress 0
		.amdhsa_shared_vgpr_count 0
		.amdhsa_exception_fp_ieee_invalid_op 0
		.amdhsa_exception_fp_denorm_src 0
		.amdhsa_exception_fp_ieee_div_zero 0
		.amdhsa_exception_fp_ieee_overflow 0
		.amdhsa_exception_fp_ieee_underflow 0
		.amdhsa_exception_fp_ieee_inexact 0
		.amdhsa_exception_int_div_zero 0
	.end_amdhsa_kernel
	.section	.text._ZN7rocprim17ROCPRIM_400000_NS6detail17trampoline_kernelINS0_13select_configILj256ELj13ELNS0_17block_load_methodE3ELS4_3ELS4_3ELNS0_20block_scan_algorithmE0ELj4294967295EEENS1_25partition_config_selectorILNS1_17partition_subalgoE4EjNS0_10empty_typeEbEEZZNS1_14partition_implILS8_4ELb0ES6_15HIP_vector_typeIjLj2EENS0_17counting_iteratorIjlEEPS9_SG_NS0_5tupleIJPjSI_NS0_16reverse_iteratorISI_EEEEENSH_IJSG_SG_SG_EEES9_SI_JZNS1_25segmented_radix_sort_implINS0_14default_configELb0EPKhPhPKlPlN2at6native12_GLOBAL__N_18offset_tEEE10hipError_tPvRmT1_PNSt15iterator_traitsIS12_E10value_typeET2_T3_PNS13_IS18_E10value_typeET4_jRbjT5_S1E_jjP12ihipStream_tbEUljE_ZNSN_ISO_Lb0ESQ_SR_ST_SU_SY_EESZ_S10_S11_S12_S16_S17_S18_S1B_S1C_jS1D_jS1E_S1E_jjS1G_bEUljE0_EEESZ_S10_S11_S18_S1C_S1E_T6_T7_T9_mT8_S1G_bDpT10_ENKUlT_T0_E_clISt17integral_constantIbLb1EES1U_EEDaS1P_S1Q_EUlS1P_E_NS1_11comp_targetILNS1_3genE8ELNS1_11target_archE1030ELNS1_3gpuE2ELNS1_3repE0EEENS1_30default_config_static_selectorELNS0_4arch9wavefront6targetE0EEEvS12_,"axG",@progbits,_ZN7rocprim17ROCPRIM_400000_NS6detail17trampoline_kernelINS0_13select_configILj256ELj13ELNS0_17block_load_methodE3ELS4_3ELS4_3ELNS0_20block_scan_algorithmE0ELj4294967295EEENS1_25partition_config_selectorILNS1_17partition_subalgoE4EjNS0_10empty_typeEbEEZZNS1_14partition_implILS8_4ELb0ES6_15HIP_vector_typeIjLj2EENS0_17counting_iteratorIjlEEPS9_SG_NS0_5tupleIJPjSI_NS0_16reverse_iteratorISI_EEEEENSH_IJSG_SG_SG_EEES9_SI_JZNS1_25segmented_radix_sort_implINS0_14default_configELb0EPKhPhPKlPlN2at6native12_GLOBAL__N_18offset_tEEE10hipError_tPvRmT1_PNSt15iterator_traitsIS12_E10value_typeET2_T3_PNS13_IS18_E10value_typeET4_jRbjT5_S1E_jjP12ihipStream_tbEUljE_ZNSN_ISO_Lb0ESQ_SR_ST_SU_SY_EESZ_S10_S11_S12_S16_S17_S18_S1B_S1C_jS1D_jS1E_S1E_jjS1G_bEUljE0_EEESZ_S10_S11_S18_S1C_S1E_T6_T7_T9_mT8_S1G_bDpT10_ENKUlT_T0_E_clISt17integral_constantIbLb1EES1U_EEDaS1P_S1Q_EUlS1P_E_NS1_11comp_targetILNS1_3genE8ELNS1_11target_archE1030ELNS1_3gpuE2ELNS1_3repE0EEENS1_30default_config_static_selectorELNS0_4arch9wavefront6targetE0EEEvS12_,comdat
.Lfunc_end137:
	.size	_ZN7rocprim17ROCPRIM_400000_NS6detail17trampoline_kernelINS0_13select_configILj256ELj13ELNS0_17block_load_methodE3ELS4_3ELS4_3ELNS0_20block_scan_algorithmE0ELj4294967295EEENS1_25partition_config_selectorILNS1_17partition_subalgoE4EjNS0_10empty_typeEbEEZZNS1_14partition_implILS8_4ELb0ES6_15HIP_vector_typeIjLj2EENS0_17counting_iteratorIjlEEPS9_SG_NS0_5tupleIJPjSI_NS0_16reverse_iteratorISI_EEEEENSH_IJSG_SG_SG_EEES9_SI_JZNS1_25segmented_radix_sort_implINS0_14default_configELb0EPKhPhPKlPlN2at6native12_GLOBAL__N_18offset_tEEE10hipError_tPvRmT1_PNSt15iterator_traitsIS12_E10value_typeET2_T3_PNS13_IS18_E10value_typeET4_jRbjT5_S1E_jjP12ihipStream_tbEUljE_ZNSN_ISO_Lb0ESQ_SR_ST_SU_SY_EESZ_S10_S11_S12_S16_S17_S18_S1B_S1C_jS1D_jS1E_S1E_jjS1G_bEUljE0_EEESZ_S10_S11_S18_S1C_S1E_T6_T7_T9_mT8_S1G_bDpT10_ENKUlT_T0_E_clISt17integral_constantIbLb1EES1U_EEDaS1P_S1Q_EUlS1P_E_NS1_11comp_targetILNS1_3genE8ELNS1_11target_archE1030ELNS1_3gpuE2ELNS1_3repE0EEENS1_30default_config_static_selectorELNS0_4arch9wavefront6targetE0EEEvS12_, .Lfunc_end137-_ZN7rocprim17ROCPRIM_400000_NS6detail17trampoline_kernelINS0_13select_configILj256ELj13ELNS0_17block_load_methodE3ELS4_3ELS4_3ELNS0_20block_scan_algorithmE0ELj4294967295EEENS1_25partition_config_selectorILNS1_17partition_subalgoE4EjNS0_10empty_typeEbEEZZNS1_14partition_implILS8_4ELb0ES6_15HIP_vector_typeIjLj2EENS0_17counting_iteratorIjlEEPS9_SG_NS0_5tupleIJPjSI_NS0_16reverse_iteratorISI_EEEEENSH_IJSG_SG_SG_EEES9_SI_JZNS1_25segmented_radix_sort_implINS0_14default_configELb0EPKhPhPKlPlN2at6native12_GLOBAL__N_18offset_tEEE10hipError_tPvRmT1_PNSt15iterator_traitsIS12_E10value_typeET2_T3_PNS13_IS18_E10value_typeET4_jRbjT5_S1E_jjP12ihipStream_tbEUljE_ZNSN_ISO_Lb0ESQ_SR_ST_SU_SY_EESZ_S10_S11_S12_S16_S17_S18_S1B_S1C_jS1D_jS1E_S1E_jjS1G_bEUljE0_EEESZ_S10_S11_S18_S1C_S1E_T6_T7_T9_mT8_S1G_bDpT10_ENKUlT_T0_E_clISt17integral_constantIbLb1EES1U_EEDaS1P_S1Q_EUlS1P_E_NS1_11comp_targetILNS1_3genE8ELNS1_11target_archE1030ELNS1_3gpuE2ELNS1_3repE0EEENS1_30default_config_static_selectorELNS0_4arch9wavefront6targetE0EEEvS12_
                                        ; -- End function
	.section	.AMDGPU.csdata,"",@progbits
; Kernel info:
; codeLenInByte = 0
; NumSgprs: 0
; NumVgprs: 0
; ScratchSize: 0
; MemoryBound: 0
; FloatMode: 240
; IeeeMode: 1
; LDSByteSize: 0 bytes/workgroup (compile time only)
; SGPRBlocks: 0
; VGPRBlocks: 0
; NumSGPRsForWavesPerEU: 1
; NumVGPRsForWavesPerEU: 1
; Occupancy: 16
; WaveLimiterHint : 0
; COMPUTE_PGM_RSRC2:SCRATCH_EN: 0
; COMPUTE_PGM_RSRC2:USER_SGPR: 15
; COMPUTE_PGM_RSRC2:TRAP_HANDLER: 0
; COMPUTE_PGM_RSRC2:TGID_X_EN: 1
; COMPUTE_PGM_RSRC2:TGID_Y_EN: 0
; COMPUTE_PGM_RSRC2:TGID_Z_EN: 0
; COMPUTE_PGM_RSRC2:TIDIG_COMP_CNT: 0
	.section	.text._ZN7rocprim17ROCPRIM_400000_NS6detail17trampoline_kernelINS0_13select_configILj256ELj13ELNS0_17block_load_methodE3ELS4_3ELS4_3ELNS0_20block_scan_algorithmE0ELj4294967295EEENS1_25partition_config_selectorILNS1_17partition_subalgoE4EjNS0_10empty_typeEbEEZZNS1_14partition_implILS8_4ELb0ES6_15HIP_vector_typeIjLj2EENS0_17counting_iteratorIjlEEPS9_SG_NS0_5tupleIJPjSI_NS0_16reverse_iteratorISI_EEEEENSH_IJSG_SG_SG_EEES9_SI_JZNS1_25segmented_radix_sort_implINS0_14default_configELb0EPKhPhPKlPlN2at6native12_GLOBAL__N_18offset_tEEE10hipError_tPvRmT1_PNSt15iterator_traitsIS12_E10value_typeET2_T3_PNS13_IS18_E10value_typeET4_jRbjT5_S1E_jjP12ihipStream_tbEUljE_ZNSN_ISO_Lb0ESQ_SR_ST_SU_SY_EESZ_S10_S11_S12_S16_S17_S18_S1B_S1C_jS1D_jS1E_S1E_jjS1G_bEUljE0_EEESZ_S10_S11_S18_S1C_S1E_T6_T7_T9_mT8_S1G_bDpT10_ENKUlT_T0_E_clISt17integral_constantIbLb1EES1T_IbLb0EEEEDaS1P_S1Q_EUlS1P_E_NS1_11comp_targetILNS1_3genE0ELNS1_11target_archE4294967295ELNS1_3gpuE0ELNS1_3repE0EEENS1_30default_config_static_selectorELNS0_4arch9wavefront6targetE0EEEvS12_,"axG",@progbits,_ZN7rocprim17ROCPRIM_400000_NS6detail17trampoline_kernelINS0_13select_configILj256ELj13ELNS0_17block_load_methodE3ELS4_3ELS4_3ELNS0_20block_scan_algorithmE0ELj4294967295EEENS1_25partition_config_selectorILNS1_17partition_subalgoE4EjNS0_10empty_typeEbEEZZNS1_14partition_implILS8_4ELb0ES6_15HIP_vector_typeIjLj2EENS0_17counting_iteratorIjlEEPS9_SG_NS0_5tupleIJPjSI_NS0_16reverse_iteratorISI_EEEEENSH_IJSG_SG_SG_EEES9_SI_JZNS1_25segmented_radix_sort_implINS0_14default_configELb0EPKhPhPKlPlN2at6native12_GLOBAL__N_18offset_tEEE10hipError_tPvRmT1_PNSt15iterator_traitsIS12_E10value_typeET2_T3_PNS13_IS18_E10value_typeET4_jRbjT5_S1E_jjP12ihipStream_tbEUljE_ZNSN_ISO_Lb0ESQ_SR_ST_SU_SY_EESZ_S10_S11_S12_S16_S17_S18_S1B_S1C_jS1D_jS1E_S1E_jjS1G_bEUljE0_EEESZ_S10_S11_S18_S1C_S1E_T6_T7_T9_mT8_S1G_bDpT10_ENKUlT_T0_E_clISt17integral_constantIbLb1EES1T_IbLb0EEEEDaS1P_S1Q_EUlS1P_E_NS1_11comp_targetILNS1_3genE0ELNS1_11target_archE4294967295ELNS1_3gpuE0ELNS1_3repE0EEENS1_30default_config_static_selectorELNS0_4arch9wavefront6targetE0EEEvS12_,comdat
	.globl	_ZN7rocprim17ROCPRIM_400000_NS6detail17trampoline_kernelINS0_13select_configILj256ELj13ELNS0_17block_load_methodE3ELS4_3ELS4_3ELNS0_20block_scan_algorithmE0ELj4294967295EEENS1_25partition_config_selectorILNS1_17partition_subalgoE4EjNS0_10empty_typeEbEEZZNS1_14partition_implILS8_4ELb0ES6_15HIP_vector_typeIjLj2EENS0_17counting_iteratorIjlEEPS9_SG_NS0_5tupleIJPjSI_NS0_16reverse_iteratorISI_EEEEENSH_IJSG_SG_SG_EEES9_SI_JZNS1_25segmented_radix_sort_implINS0_14default_configELb0EPKhPhPKlPlN2at6native12_GLOBAL__N_18offset_tEEE10hipError_tPvRmT1_PNSt15iterator_traitsIS12_E10value_typeET2_T3_PNS13_IS18_E10value_typeET4_jRbjT5_S1E_jjP12ihipStream_tbEUljE_ZNSN_ISO_Lb0ESQ_SR_ST_SU_SY_EESZ_S10_S11_S12_S16_S17_S18_S1B_S1C_jS1D_jS1E_S1E_jjS1G_bEUljE0_EEESZ_S10_S11_S18_S1C_S1E_T6_T7_T9_mT8_S1G_bDpT10_ENKUlT_T0_E_clISt17integral_constantIbLb1EES1T_IbLb0EEEEDaS1P_S1Q_EUlS1P_E_NS1_11comp_targetILNS1_3genE0ELNS1_11target_archE4294967295ELNS1_3gpuE0ELNS1_3repE0EEENS1_30default_config_static_selectorELNS0_4arch9wavefront6targetE0EEEvS12_ ; -- Begin function _ZN7rocprim17ROCPRIM_400000_NS6detail17trampoline_kernelINS0_13select_configILj256ELj13ELNS0_17block_load_methodE3ELS4_3ELS4_3ELNS0_20block_scan_algorithmE0ELj4294967295EEENS1_25partition_config_selectorILNS1_17partition_subalgoE4EjNS0_10empty_typeEbEEZZNS1_14partition_implILS8_4ELb0ES6_15HIP_vector_typeIjLj2EENS0_17counting_iteratorIjlEEPS9_SG_NS0_5tupleIJPjSI_NS0_16reverse_iteratorISI_EEEEENSH_IJSG_SG_SG_EEES9_SI_JZNS1_25segmented_radix_sort_implINS0_14default_configELb0EPKhPhPKlPlN2at6native12_GLOBAL__N_18offset_tEEE10hipError_tPvRmT1_PNSt15iterator_traitsIS12_E10value_typeET2_T3_PNS13_IS18_E10value_typeET4_jRbjT5_S1E_jjP12ihipStream_tbEUljE_ZNSN_ISO_Lb0ESQ_SR_ST_SU_SY_EESZ_S10_S11_S12_S16_S17_S18_S1B_S1C_jS1D_jS1E_S1E_jjS1G_bEUljE0_EEESZ_S10_S11_S18_S1C_S1E_T6_T7_T9_mT8_S1G_bDpT10_ENKUlT_T0_E_clISt17integral_constantIbLb1EES1T_IbLb0EEEEDaS1P_S1Q_EUlS1P_E_NS1_11comp_targetILNS1_3genE0ELNS1_11target_archE4294967295ELNS1_3gpuE0ELNS1_3repE0EEENS1_30default_config_static_selectorELNS0_4arch9wavefront6targetE0EEEvS12_
	.p2align	8
	.type	_ZN7rocprim17ROCPRIM_400000_NS6detail17trampoline_kernelINS0_13select_configILj256ELj13ELNS0_17block_load_methodE3ELS4_3ELS4_3ELNS0_20block_scan_algorithmE0ELj4294967295EEENS1_25partition_config_selectorILNS1_17partition_subalgoE4EjNS0_10empty_typeEbEEZZNS1_14partition_implILS8_4ELb0ES6_15HIP_vector_typeIjLj2EENS0_17counting_iteratorIjlEEPS9_SG_NS0_5tupleIJPjSI_NS0_16reverse_iteratorISI_EEEEENSH_IJSG_SG_SG_EEES9_SI_JZNS1_25segmented_radix_sort_implINS0_14default_configELb0EPKhPhPKlPlN2at6native12_GLOBAL__N_18offset_tEEE10hipError_tPvRmT1_PNSt15iterator_traitsIS12_E10value_typeET2_T3_PNS13_IS18_E10value_typeET4_jRbjT5_S1E_jjP12ihipStream_tbEUljE_ZNSN_ISO_Lb0ESQ_SR_ST_SU_SY_EESZ_S10_S11_S12_S16_S17_S18_S1B_S1C_jS1D_jS1E_S1E_jjS1G_bEUljE0_EEESZ_S10_S11_S18_S1C_S1E_T6_T7_T9_mT8_S1G_bDpT10_ENKUlT_T0_E_clISt17integral_constantIbLb1EES1T_IbLb0EEEEDaS1P_S1Q_EUlS1P_E_NS1_11comp_targetILNS1_3genE0ELNS1_11target_archE4294967295ELNS1_3gpuE0ELNS1_3repE0EEENS1_30default_config_static_selectorELNS0_4arch9wavefront6targetE0EEEvS12_,@function
_ZN7rocprim17ROCPRIM_400000_NS6detail17trampoline_kernelINS0_13select_configILj256ELj13ELNS0_17block_load_methodE3ELS4_3ELS4_3ELNS0_20block_scan_algorithmE0ELj4294967295EEENS1_25partition_config_selectorILNS1_17partition_subalgoE4EjNS0_10empty_typeEbEEZZNS1_14partition_implILS8_4ELb0ES6_15HIP_vector_typeIjLj2EENS0_17counting_iteratorIjlEEPS9_SG_NS0_5tupleIJPjSI_NS0_16reverse_iteratorISI_EEEEENSH_IJSG_SG_SG_EEES9_SI_JZNS1_25segmented_radix_sort_implINS0_14default_configELb0EPKhPhPKlPlN2at6native12_GLOBAL__N_18offset_tEEE10hipError_tPvRmT1_PNSt15iterator_traitsIS12_E10value_typeET2_T3_PNS13_IS18_E10value_typeET4_jRbjT5_S1E_jjP12ihipStream_tbEUljE_ZNSN_ISO_Lb0ESQ_SR_ST_SU_SY_EESZ_S10_S11_S12_S16_S17_S18_S1B_S1C_jS1D_jS1E_S1E_jjS1G_bEUljE0_EEESZ_S10_S11_S18_S1C_S1E_T6_T7_T9_mT8_S1G_bDpT10_ENKUlT_T0_E_clISt17integral_constantIbLb1EES1T_IbLb0EEEEDaS1P_S1Q_EUlS1P_E_NS1_11comp_targetILNS1_3genE0ELNS1_11target_archE4294967295ELNS1_3gpuE0ELNS1_3repE0EEENS1_30default_config_static_selectorELNS0_4arch9wavefront6targetE0EEEvS12_: ; @_ZN7rocprim17ROCPRIM_400000_NS6detail17trampoline_kernelINS0_13select_configILj256ELj13ELNS0_17block_load_methodE3ELS4_3ELS4_3ELNS0_20block_scan_algorithmE0ELj4294967295EEENS1_25partition_config_selectorILNS1_17partition_subalgoE4EjNS0_10empty_typeEbEEZZNS1_14partition_implILS8_4ELb0ES6_15HIP_vector_typeIjLj2EENS0_17counting_iteratorIjlEEPS9_SG_NS0_5tupleIJPjSI_NS0_16reverse_iteratorISI_EEEEENSH_IJSG_SG_SG_EEES9_SI_JZNS1_25segmented_radix_sort_implINS0_14default_configELb0EPKhPhPKlPlN2at6native12_GLOBAL__N_18offset_tEEE10hipError_tPvRmT1_PNSt15iterator_traitsIS12_E10value_typeET2_T3_PNS13_IS18_E10value_typeET4_jRbjT5_S1E_jjP12ihipStream_tbEUljE_ZNSN_ISO_Lb0ESQ_SR_ST_SU_SY_EESZ_S10_S11_S12_S16_S17_S18_S1B_S1C_jS1D_jS1E_S1E_jjS1G_bEUljE0_EEESZ_S10_S11_S18_S1C_S1E_T6_T7_T9_mT8_S1G_bDpT10_ENKUlT_T0_E_clISt17integral_constantIbLb1EES1T_IbLb0EEEEDaS1P_S1Q_EUlS1P_E_NS1_11comp_targetILNS1_3genE0ELNS1_11target_archE4294967295ELNS1_3gpuE0ELNS1_3repE0EEENS1_30default_config_static_selectorELNS0_4arch9wavefront6targetE0EEEvS12_
; %bb.0:
	.section	.rodata,"a",@progbits
	.p2align	6, 0x0
	.amdhsa_kernel _ZN7rocprim17ROCPRIM_400000_NS6detail17trampoline_kernelINS0_13select_configILj256ELj13ELNS0_17block_load_methodE3ELS4_3ELS4_3ELNS0_20block_scan_algorithmE0ELj4294967295EEENS1_25partition_config_selectorILNS1_17partition_subalgoE4EjNS0_10empty_typeEbEEZZNS1_14partition_implILS8_4ELb0ES6_15HIP_vector_typeIjLj2EENS0_17counting_iteratorIjlEEPS9_SG_NS0_5tupleIJPjSI_NS0_16reverse_iteratorISI_EEEEENSH_IJSG_SG_SG_EEES9_SI_JZNS1_25segmented_radix_sort_implINS0_14default_configELb0EPKhPhPKlPlN2at6native12_GLOBAL__N_18offset_tEEE10hipError_tPvRmT1_PNSt15iterator_traitsIS12_E10value_typeET2_T3_PNS13_IS18_E10value_typeET4_jRbjT5_S1E_jjP12ihipStream_tbEUljE_ZNSN_ISO_Lb0ESQ_SR_ST_SU_SY_EESZ_S10_S11_S12_S16_S17_S18_S1B_S1C_jS1D_jS1E_S1E_jjS1G_bEUljE0_EEESZ_S10_S11_S18_S1C_S1E_T6_T7_T9_mT8_S1G_bDpT10_ENKUlT_T0_E_clISt17integral_constantIbLb1EES1T_IbLb0EEEEDaS1P_S1Q_EUlS1P_E_NS1_11comp_targetILNS1_3genE0ELNS1_11target_archE4294967295ELNS1_3gpuE0ELNS1_3repE0EEENS1_30default_config_static_selectorELNS0_4arch9wavefront6targetE0EEEvS12_
		.amdhsa_group_segment_fixed_size 0
		.amdhsa_private_segment_fixed_size 0
		.amdhsa_kernarg_size 176
		.amdhsa_user_sgpr_count 15
		.amdhsa_user_sgpr_dispatch_ptr 0
		.amdhsa_user_sgpr_queue_ptr 0
		.amdhsa_user_sgpr_kernarg_segment_ptr 1
		.amdhsa_user_sgpr_dispatch_id 0
		.amdhsa_user_sgpr_private_segment_size 0
		.amdhsa_wavefront_size32 1
		.amdhsa_uses_dynamic_stack 0
		.amdhsa_enable_private_segment 0
		.amdhsa_system_sgpr_workgroup_id_x 1
		.amdhsa_system_sgpr_workgroup_id_y 0
		.amdhsa_system_sgpr_workgroup_id_z 0
		.amdhsa_system_sgpr_workgroup_info 0
		.amdhsa_system_vgpr_workitem_id 0
		.amdhsa_next_free_vgpr 1
		.amdhsa_next_free_sgpr 1
		.amdhsa_reserve_vcc 0
		.amdhsa_float_round_mode_32 0
		.amdhsa_float_round_mode_16_64 0
		.amdhsa_float_denorm_mode_32 3
		.amdhsa_float_denorm_mode_16_64 3
		.amdhsa_dx10_clamp 1
		.amdhsa_ieee_mode 1
		.amdhsa_fp16_overflow 0
		.amdhsa_workgroup_processor_mode 1
		.amdhsa_memory_ordered 1
		.amdhsa_forward_progress 0
		.amdhsa_shared_vgpr_count 0
		.amdhsa_exception_fp_ieee_invalid_op 0
		.amdhsa_exception_fp_denorm_src 0
		.amdhsa_exception_fp_ieee_div_zero 0
		.amdhsa_exception_fp_ieee_overflow 0
		.amdhsa_exception_fp_ieee_underflow 0
		.amdhsa_exception_fp_ieee_inexact 0
		.amdhsa_exception_int_div_zero 0
	.end_amdhsa_kernel
	.section	.text._ZN7rocprim17ROCPRIM_400000_NS6detail17trampoline_kernelINS0_13select_configILj256ELj13ELNS0_17block_load_methodE3ELS4_3ELS4_3ELNS0_20block_scan_algorithmE0ELj4294967295EEENS1_25partition_config_selectorILNS1_17partition_subalgoE4EjNS0_10empty_typeEbEEZZNS1_14partition_implILS8_4ELb0ES6_15HIP_vector_typeIjLj2EENS0_17counting_iteratorIjlEEPS9_SG_NS0_5tupleIJPjSI_NS0_16reverse_iteratorISI_EEEEENSH_IJSG_SG_SG_EEES9_SI_JZNS1_25segmented_radix_sort_implINS0_14default_configELb0EPKhPhPKlPlN2at6native12_GLOBAL__N_18offset_tEEE10hipError_tPvRmT1_PNSt15iterator_traitsIS12_E10value_typeET2_T3_PNS13_IS18_E10value_typeET4_jRbjT5_S1E_jjP12ihipStream_tbEUljE_ZNSN_ISO_Lb0ESQ_SR_ST_SU_SY_EESZ_S10_S11_S12_S16_S17_S18_S1B_S1C_jS1D_jS1E_S1E_jjS1G_bEUljE0_EEESZ_S10_S11_S18_S1C_S1E_T6_T7_T9_mT8_S1G_bDpT10_ENKUlT_T0_E_clISt17integral_constantIbLb1EES1T_IbLb0EEEEDaS1P_S1Q_EUlS1P_E_NS1_11comp_targetILNS1_3genE0ELNS1_11target_archE4294967295ELNS1_3gpuE0ELNS1_3repE0EEENS1_30default_config_static_selectorELNS0_4arch9wavefront6targetE0EEEvS12_,"axG",@progbits,_ZN7rocprim17ROCPRIM_400000_NS6detail17trampoline_kernelINS0_13select_configILj256ELj13ELNS0_17block_load_methodE3ELS4_3ELS4_3ELNS0_20block_scan_algorithmE0ELj4294967295EEENS1_25partition_config_selectorILNS1_17partition_subalgoE4EjNS0_10empty_typeEbEEZZNS1_14partition_implILS8_4ELb0ES6_15HIP_vector_typeIjLj2EENS0_17counting_iteratorIjlEEPS9_SG_NS0_5tupleIJPjSI_NS0_16reverse_iteratorISI_EEEEENSH_IJSG_SG_SG_EEES9_SI_JZNS1_25segmented_radix_sort_implINS0_14default_configELb0EPKhPhPKlPlN2at6native12_GLOBAL__N_18offset_tEEE10hipError_tPvRmT1_PNSt15iterator_traitsIS12_E10value_typeET2_T3_PNS13_IS18_E10value_typeET4_jRbjT5_S1E_jjP12ihipStream_tbEUljE_ZNSN_ISO_Lb0ESQ_SR_ST_SU_SY_EESZ_S10_S11_S12_S16_S17_S18_S1B_S1C_jS1D_jS1E_S1E_jjS1G_bEUljE0_EEESZ_S10_S11_S18_S1C_S1E_T6_T7_T9_mT8_S1G_bDpT10_ENKUlT_T0_E_clISt17integral_constantIbLb1EES1T_IbLb0EEEEDaS1P_S1Q_EUlS1P_E_NS1_11comp_targetILNS1_3genE0ELNS1_11target_archE4294967295ELNS1_3gpuE0ELNS1_3repE0EEENS1_30default_config_static_selectorELNS0_4arch9wavefront6targetE0EEEvS12_,comdat
.Lfunc_end138:
	.size	_ZN7rocprim17ROCPRIM_400000_NS6detail17trampoline_kernelINS0_13select_configILj256ELj13ELNS0_17block_load_methodE3ELS4_3ELS4_3ELNS0_20block_scan_algorithmE0ELj4294967295EEENS1_25partition_config_selectorILNS1_17partition_subalgoE4EjNS0_10empty_typeEbEEZZNS1_14partition_implILS8_4ELb0ES6_15HIP_vector_typeIjLj2EENS0_17counting_iteratorIjlEEPS9_SG_NS0_5tupleIJPjSI_NS0_16reverse_iteratorISI_EEEEENSH_IJSG_SG_SG_EEES9_SI_JZNS1_25segmented_radix_sort_implINS0_14default_configELb0EPKhPhPKlPlN2at6native12_GLOBAL__N_18offset_tEEE10hipError_tPvRmT1_PNSt15iterator_traitsIS12_E10value_typeET2_T3_PNS13_IS18_E10value_typeET4_jRbjT5_S1E_jjP12ihipStream_tbEUljE_ZNSN_ISO_Lb0ESQ_SR_ST_SU_SY_EESZ_S10_S11_S12_S16_S17_S18_S1B_S1C_jS1D_jS1E_S1E_jjS1G_bEUljE0_EEESZ_S10_S11_S18_S1C_S1E_T6_T7_T9_mT8_S1G_bDpT10_ENKUlT_T0_E_clISt17integral_constantIbLb1EES1T_IbLb0EEEEDaS1P_S1Q_EUlS1P_E_NS1_11comp_targetILNS1_3genE0ELNS1_11target_archE4294967295ELNS1_3gpuE0ELNS1_3repE0EEENS1_30default_config_static_selectorELNS0_4arch9wavefront6targetE0EEEvS12_, .Lfunc_end138-_ZN7rocprim17ROCPRIM_400000_NS6detail17trampoline_kernelINS0_13select_configILj256ELj13ELNS0_17block_load_methodE3ELS4_3ELS4_3ELNS0_20block_scan_algorithmE0ELj4294967295EEENS1_25partition_config_selectorILNS1_17partition_subalgoE4EjNS0_10empty_typeEbEEZZNS1_14partition_implILS8_4ELb0ES6_15HIP_vector_typeIjLj2EENS0_17counting_iteratorIjlEEPS9_SG_NS0_5tupleIJPjSI_NS0_16reverse_iteratorISI_EEEEENSH_IJSG_SG_SG_EEES9_SI_JZNS1_25segmented_radix_sort_implINS0_14default_configELb0EPKhPhPKlPlN2at6native12_GLOBAL__N_18offset_tEEE10hipError_tPvRmT1_PNSt15iterator_traitsIS12_E10value_typeET2_T3_PNS13_IS18_E10value_typeET4_jRbjT5_S1E_jjP12ihipStream_tbEUljE_ZNSN_ISO_Lb0ESQ_SR_ST_SU_SY_EESZ_S10_S11_S12_S16_S17_S18_S1B_S1C_jS1D_jS1E_S1E_jjS1G_bEUljE0_EEESZ_S10_S11_S18_S1C_S1E_T6_T7_T9_mT8_S1G_bDpT10_ENKUlT_T0_E_clISt17integral_constantIbLb1EES1T_IbLb0EEEEDaS1P_S1Q_EUlS1P_E_NS1_11comp_targetILNS1_3genE0ELNS1_11target_archE4294967295ELNS1_3gpuE0ELNS1_3repE0EEENS1_30default_config_static_selectorELNS0_4arch9wavefront6targetE0EEEvS12_
                                        ; -- End function
	.section	.AMDGPU.csdata,"",@progbits
; Kernel info:
; codeLenInByte = 0
; NumSgprs: 0
; NumVgprs: 0
; ScratchSize: 0
; MemoryBound: 0
; FloatMode: 240
; IeeeMode: 1
; LDSByteSize: 0 bytes/workgroup (compile time only)
; SGPRBlocks: 0
; VGPRBlocks: 0
; NumSGPRsForWavesPerEU: 1
; NumVGPRsForWavesPerEU: 1
; Occupancy: 16
; WaveLimiterHint : 0
; COMPUTE_PGM_RSRC2:SCRATCH_EN: 0
; COMPUTE_PGM_RSRC2:USER_SGPR: 15
; COMPUTE_PGM_RSRC2:TRAP_HANDLER: 0
; COMPUTE_PGM_RSRC2:TGID_X_EN: 1
; COMPUTE_PGM_RSRC2:TGID_Y_EN: 0
; COMPUTE_PGM_RSRC2:TGID_Z_EN: 0
; COMPUTE_PGM_RSRC2:TIDIG_COMP_CNT: 0
	.section	.text._ZN7rocprim17ROCPRIM_400000_NS6detail17trampoline_kernelINS0_13select_configILj256ELj13ELNS0_17block_load_methodE3ELS4_3ELS4_3ELNS0_20block_scan_algorithmE0ELj4294967295EEENS1_25partition_config_selectorILNS1_17partition_subalgoE4EjNS0_10empty_typeEbEEZZNS1_14partition_implILS8_4ELb0ES6_15HIP_vector_typeIjLj2EENS0_17counting_iteratorIjlEEPS9_SG_NS0_5tupleIJPjSI_NS0_16reverse_iteratorISI_EEEEENSH_IJSG_SG_SG_EEES9_SI_JZNS1_25segmented_radix_sort_implINS0_14default_configELb0EPKhPhPKlPlN2at6native12_GLOBAL__N_18offset_tEEE10hipError_tPvRmT1_PNSt15iterator_traitsIS12_E10value_typeET2_T3_PNS13_IS18_E10value_typeET4_jRbjT5_S1E_jjP12ihipStream_tbEUljE_ZNSN_ISO_Lb0ESQ_SR_ST_SU_SY_EESZ_S10_S11_S12_S16_S17_S18_S1B_S1C_jS1D_jS1E_S1E_jjS1G_bEUljE0_EEESZ_S10_S11_S18_S1C_S1E_T6_T7_T9_mT8_S1G_bDpT10_ENKUlT_T0_E_clISt17integral_constantIbLb1EES1T_IbLb0EEEEDaS1P_S1Q_EUlS1P_E_NS1_11comp_targetILNS1_3genE5ELNS1_11target_archE942ELNS1_3gpuE9ELNS1_3repE0EEENS1_30default_config_static_selectorELNS0_4arch9wavefront6targetE0EEEvS12_,"axG",@progbits,_ZN7rocprim17ROCPRIM_400000_NS6detail17trampoline_kernelINS0_13select_configILj256ELj13ELNS0_17block_load_methodE3ELS4_3ELS4_3ELNS0_20block_scan_algorithmE0ELj4294967295EEENS1_25partition_config_selectorILNS1_17partition_subalgoE4EjNS0_10empty_typeEbEEZZNS1_14partition_implILS8_4ELb0ES6_15HIP_vector_typeIjLj2EENS0_17counting_iteratorIjlEEPS9_SG_NS0_5tupleIJPjSI_NS0_16reverse_iteratorISI_EEEEENSH_IJSG_SG_SG_EEES9_SI_JZNS1_25segmented_radix_sort_implINS0_14default_configELb0EPKhPhPKlPlN2at6native12_GLOBAL__N_18offset_tEEE10hipError_tPvRmT1_PNSt15iterator_traitsIS12_E10value_typeET2_T3_PNS13_IS18_E10value_typeET4_jRbjT5_S1E_jjP12ihipStream_tbEUljE_ZNSN_ISO_Lb0ESQ_SR_ST_SU_SY_EESZ_S10_S11_S12_S16_S17_S18_S1B_S1C_jS1D_jS1E_S1E_jjS1G_bEUljE0_EEESZ_S10_S11_S18_S1C_S1E_T6_T7_T9_mT8_S1G_bDpT10_ENKUlT_T0_E_clISt17integral_constantIbLb1EES1T_IbLb0EEEEDaS1P_S1Q_EUlS1P_E_NS1_11comp_targetILNS1_3genE5ELNS1_11target_archE942ELNS1_3gpuE9ELNS1_3repE0EEENS1_30default_config_static_selectorELNS0_4arch9wavefront6targetE0EEEvS12_,comdat
	.globl	_ZN7rocprim17ROCPRIM_400000_NS6detail17trampoline_kernelINS0_13select_configILj256ELj13ELNS0_17block_load_methodE3ELS4_3ELS4_3ELNS0_20block_scan_algorithmE0ELj4294967295EEENS1_25partition_config_selectorILNS1_17partition_subalgoE4EjNS0_10empty_typeEbEEZZNS1_14partition_implILS8_4ELb0ES6_15HIP_vector_typeIjLj2EENS0_17counting_iteratorIjlEEPS9_SG_NS0_5tupleIJPjSI_NS0_16reverse_iteratorISI_EEEEENSH_IJSG_SG_SG_EEES9_SI_JZNS1_25segmented_radix_sort_implINS0_14default_configELb0EPKhPhPKlPlN2at6native12_GLOBAL__N_18offset_tEEE10hipError_tPvRmT1_PNSt15iterator_traitsIS12_E10value_typeET2_T3_PNS13_IS18_E10value_typeET4_jRbjT5_S1E_jjP12ihipStream_tbEUljE_ZNSN_ISO_Lb0ESQ_SR_ST_SU_SY_EESZ_S10_S11_S12_S16_S17_S18_S1B_S1C_jS1D_jS1E_S1E_jjS1G_bEUljE0_EEESZ_S10_S11_S18_S1C_S1E_T6_T7_T9_mT8_S1G_bDpT10_ENKUlT_T0_E_clISt17integral_constantIbLb1EES1T_IbLb0EEEEDaS1P_S1Q_EUlS1P_E_NS1_11comp_targetILNS1_3genE5ELNS1_11target_archE942ELNS1_3gpuE9ELNS1_3repE0EEENS1_30default_config_static_selectorELNS0_4arch9wavefront6targetE0EEEvS12_ ; -- Begin function _ZN7rocprim17ROCPRIM_400000_NS6detail17trampoline_kernelINS0_13select_configILj256ELj13ELNS0_17block_load_methodE3ELS4_3ELS4_3ELNS0_20block_scan_algorithmE0ELj4294967295EEENS1_25partition_config_selectorILNS1_17partition_subalgoE4EjNS0_10empty_typeEbEEZZNS1_14partition_implILS8_4ELb0ES6_15HIP_vector_typeIjLj2EENS0_17counting_iteratorIjlEEPS9_SG_NS0_5tupleIJPjSI_NS0_16reverse_iteratorISI_EEEEENSH_IJSG_SG_SG_EEES9_SI_JZNS1_25segmented_radix_sort_implINS0_14default_configELb0EPKhPhPKlPlN2at6native12_GLOBAL__N_18offset_tEEE10hipError_tPvRmT1_PNSt15iterator_traitsIS12_E10value_typeET2_T3_PNS13_IS18_E10value_typeET4_jRbjT5_S1E_jjP12ihipStream_tbEUljE_ZNSN_ISO_Lb0ESQ_SR_ST_SU_SY_EESZ_S10_S11_S12_S16_S17_S18_S1B_S1C_jS1D_jS1E_S1E_jjS1G_bEUljE0_EEESZ_S10_S11_S18_S1C_S1E_T6_T7_T9_mT8_S1G_bDpT10_ENKUlT_T0_E_clISt17integral_constantIbLb1EES1T_IbLb0EEEEDaS1P_S1Q_EUlS1P_E_NS1_11comp_targetILNS1_3genE5ELNS1_11target_archE942ELNS1_3gpuE9ELNS1_3repE0EEENS1_30default_config_static_selectorELNS0_4arch9wavefront6targetE0EEEvS12_
	.p2align	8
	.type	_ZN7rocprim17ROCPRIM_400000_NS6detail17trampoline_kernelINS0_13select_configILj256ELj13ELNS0_17block_load_methodE3ELS4_3ELS4_3ELNS0_20block_scan_algorithmE0ELj4294967295EEENS1_25partition_config_selectorILNS1_17partition_subalgoE4EjNS0_10empty_typeEbEEZZNS1_14partition_implILS8_4ELb0ES6_15HIP_vector_typeIjLj2EENS0_17counting_iteratorIjlEEPS9_SG_NS0_5tupleIJPjSI_NS0_16reverse_iteratorISI_EEEEENSH_IJSG_SG_SG_EEES9_SI_JZNS1_25segmented_radix_sort_implINS0_14default_configELb0EPKhPhPKlPlN2at6native12_GLOBAL__N_18offset_tEEE10hipError_tPvRmT1_PNSt15iterator_traitsIS12_E10value_typeET2_T3_PNS13_IS18_E10value_typeET4_jRbjT5_S1E_jjP12ihipStream_tbEUljE_ZNSN_ISO_Lb0ESQ_SR_ST_SU_SY_EESZ_S10_S11_S12_S16_S17_S18_S1B_S1C_jS1D_jS1E_S1E_jjS1G_bEUljE0_EEESZ_S10_S11_S18_S1C_S1E_T6_T7_T9_mT8_S1G_bDpT10_ENKUlT_T0_E_clISt17integral_constantIbLb1EES1T_IbLb0EEEEDaS1P_S1Q_EUlS1P_E_NS1_11comp_targetILNS1_3genE5ELNS1_11target_archE942ELNS1_3gpuE9ELNS1_3repE0EEENS1_30default_config_static_selectorELNS0_4arch9wavefront6targetE0EEEvS12_,@function
_ZN7rocprim17ROCPRIM_400000_NS6detail17trampoline_kernelINS0_13select_configILj256ELj13ELNS0_17block_load_methodE3ELS4_3ELS4_3ELNS0_20block_scan_algorithmE0ELj4294967295EEENS1_25partition_config_selectorILNS1_17partition_subalgoE4EjNS0_10empty_typeEbEEZZNS1_14partition_implILS8_4ELb0ES6_15HIP_vector_typeIjLj2EENS0_17counting_iteratorIjlEEPS9_SG_NS0_5tupleIJPjSI_NS0_16reverse_iteratorISI_EEEEENSH_IJSG_SG_SG_EEES9_SI_JZNS1_25segmented_radix_sort_implINS0_14default_configELb0EPKhPhPKlPlN2at6native12_GLOBAL__N_18offset_tEEE10hipError_tPvRmT1_PNSt15iterator_traitsIS12_E10value_typeET2_T3_PNS13_IS18_E10value_typeET4_jRbjT5_S1E_jjP12ihipStream_tbEUljE_ZNSN_ISO_Lb0ESQ_SR_ST_SU_SY_EESZ_S10_S11_S12_S16_S17_S18_S1B_S1C_jS1D_jS1E_S1E_jjS1G_bEUljE0_EEESZ_S10_S11_S18_S1C_S1E_T6_T7_T9_mT8_S1G_bDpT10_ENKUlT_T0_E_clISt17integral_constantIbLb1EES1T_IbLb0EEEEDaS1P_S1Q_EUlS1P_E_NS1_11comp_targetILNS1_3genE5ELNS1_11target_archE942ELNS1_3gpuE9ELNS1_3repE0EEENS1_30default_config_static_selectorELNS0_4arch9wavefront6targetE0EEEvS12_: ; @_ZN7rocprim17ROCPRIM_400000_NS6detail17trampoline_kernelINS0_13select_configILj256ELj13ELNS0_17block_load_methodE3ELS4_3ELS4_3ELNS0_20block_scan_algorithmE0ELj4294967295EEENS1_25partition_config_selectorILNS1_17partition_subalgoE4EjNS0_10empty_typeEbEEZZNS1_14partition_implILS8_4ELb0ES6_15HIP_vector_typeIjLj2EENS0_17counting_iteratorIjlEEPS9_SG_NS0_5tupleIJPjSI_NS0_16reverse_iteratorISI_EEEEENSH_IJSG_SG_SG_EEES9_SI_JZNS1_25segmented_radix_sort_implINS0_14default_configELb0EPKhPhPKlPlN2at6native12_GLOBAL__N_18offset_tEEE10hipError_tPvRmT1_PNSt15iterator_traitsIS12_E10value_typeET2_T3_PNS13_IS18_E10value_typeET4_jRbjT5_S1E_jjP12ihipStream_tbEUljE_ZNSN_ISO_Lb0ESQ_SR_ST_SU_SY_EESZ_S10_S11_S12_S16_S17_S18_S1B_S1C_jS1D_jS1E_S1E_jjS1G_bEUljE0_EEESZ_S10_S11_S18_S1C_S1E_T6_T7_T9_mT8_S1G_bDpT10_ENKUlT_T0_E_clISt17integral_constantIbLb1EES1T_IbLb0EEEEDaS1P_S1Q_EUlS1P_E_NS1_11comp_targetILNS1_3genE5ELNS1_11target_archE942ELNS1_3gpuE9ELNS1_3repE0EEENS1_30default_config_static_selectorELNS0_4arch9wavefront6targetE0EEEvS12_
; %bb.0:
	.section	.rodata,"a",@progbits
	.p2align	6, 0x0
	.amdhsa_kernel _ZN7rocprim17ROCPRIM_400000_NS6detail17trampoline_kernelINS0_13select_configILj256ELj13ELNS0_17block_load_methodE3ELS4_3ELS4_3ELNS0_20block_scan_algorithmE0ELj4294967295EEENS1_25partition_config_selectorILNS1_17partition_subalgoE4EjNS0_10empty_typeEbEEZZNS1_14partition_implILS8_4ELb0ES6_15HIP_vector_typeIjLj2EENS0_17counting_iteratorIjlEEPS9_SG_NS0_5tupleIJPjSI_NS0_16reverse_iteratorISI_EEEEENSH_IJSG_SG_SG_EEES9_SI_JZNS1_25segmented_radix_sort_implINS0_14default_configELb0EPKhPhPKlPlN2at6native12_GLOBAL__N_18offset_tEEE10hipError_tPvRmT1_PNSt15iterator_traitsIS12_E10value_typeET2_T3_PNS13_IS18_E10value_typeET4_jRbjT5_S1E_jjP12ihipStream_tbEUljE_ZNSN_ISO_Lb0ESQ_SR_ST_SU_SY_EESZ_S10_S11_S12_S16_S17_S18_S1B_S1C_jS1D_jS1E_S1E_jjS1G_bEUljE0_EEESZ_S10_S11_S18_S1C_S1E_T6_T7_T9_mT8_S1G_bDpT10_ENKUlT_T0_E_clISt17integral_constantIbLb1EES1T_IbLb0EEEEDaS1P_S1Q_EUlS1P_E_NS1_11comp_targetILNS1_3genE5ELNS1_11target_archE942ELNS1_3gpuE9ELNS1_3repE0EEENS1_30default_config_static_selectorELNS0_4arch9wavefront6targetE0EEEvS12_
		.amdhsa_group_segment_fixed_size 0
		.amdhsa_private_segment_fixed_size 0
		.amdhsa_kernarg_size 176
		.amdhsa_user_sgpr_count 15
		.amdhsa_user_sgpr_dispatch_ptr 0
		.amdhsa_user_sgpr_queue_ptr 0
		.amdhsa_user_sgpr_kernarg_segment_ptr 1
		.amdhsa_user_sgpr_dispatch_id 0
		.amdhsa_user_sgpr_private_segment_size 0
		.amdhsa_wavefront_size32 1
		.amdhsa_uses_dynamic_stack 0
		.amdhsa_enable_private_segment 0
		.amdhsa_system_sgpr_workgroup_id_x 1
		.amdhsa_system_sgpr_workgroup_id_y 0
		.amdhsa_system_sgpr_workgroup_id_z 0
		.amdhsa_system_sgpr_workgroup_info 0
		.amdhsa_system_vgpr_workitem_id 0
		.amdhsa_next_free_vgpr 1
		.amdhsa_next_free_sgpr 1
		.amdhsa_reserve_vcc 0
		.amdhsa_float_round_mode_32 0
		.amdhsa_float_round_mode_16_64 0
		.amdhsa_float_denorm_mode_32 3
		.amdhsa_float_denorm_mode_16_64 3
		.amdhsa_dx10_clamp 1
		.amdhsa_ieee_mode 1
		.amdhsa_fp16_overflow 0
		.amdhsa_workgroup_processor_mode 1
		.amdhsa_memory_ordered 1
		.amdhsa_forward_progress 0
		.amdhsa_shared_vgpr_count 0
		.amdhsa_exception_fp_ieee_invalid_op 0
		.amdhsa_exception_fp_denorm_src 0
		.amdhsa_exception_fp_ieee_div_zero 0
		.amdhsa_exception_fp_ieee_overflow 0
		.amdhsa_exception_fp_ieee_underflow 0
		.amdhsa_exception_fp_ieee_inexact 0
		.amdhsa_exception_int_div_zero 0
	.end_amdhsa_kernel
	.section	.text._ZN7rocprim17ROCPRIM_400000_NS6detail17trampoline_kernelINS0_13select_configILj256ELj13ELNS0_17block_load_methodE3ELS4_3ELS4_3ELNS0_20block_scan_algorithmE0ELj4294967295EEENS1_25partition_config_selectorILNS1_17partition_subalgoE4EjNS0_10empty_typeEbEEZZNS1_14partition_implILS8_4ELb0ES6_15HIP_vector_typeIjLj2EENS0_17counting_iteratorIjlEEPS9_SG_NS0_5tupleIJPjSI_NS0_16reverse_iteratorISI_EEEEENSH_IJSG_SG_SG_EEES9_SI_JZNS1_25segmented_radix_sort_implINS0_14default_configELb0EPKhPhPKlPlN2at6native12_GLOBAL__N_18offset_tEEE10hipError_tPvRmT1_PNSt15iterator_traitsIS12_E10value_typeET2_T3_PNS13_IS18_E10value_typeET4_jRbjT5_S1E_jjP12ihipStream_tbEUljE_ZNSN_ISO_Lb0ESQ_SR_ST_SU_SY_EESZ_S10_S11_S12_S16_S17_S18_S1B_S1C_jS1D_jS1E_S1E_jjS1G_bEUljE0_EEESZ_S10_S11_S18_S1C_S1E_T6_T7_T9_mT8_S1G_bDpT10_ENKUlT_T0_E_clISt17integral_constantIbLb1EES1T_IbLb0EEEEDaS1P_S1Q_EUlS1P_E_NS1_11comp_targetILNS1_3genE5ELNS1_11target_archE942ELNS1_3gpuE9ELNS1_3repE0EEENS1_30default_config_static_selectorELNS0_4arch9wavefront6targetE0EEEvS12_,"axG",@progbits,_ZN7rocprim17ROCPRIM_400000_NS6detail17trampoline_kernelINS0_13select_configILj256ELj13ELNS0_17block_load_methodE3ELS4_3ELS4_3ELNS0_20block_scan_algorithmE0ELj4294967295EEENS1_25partition_config_selectorILNS1_17partition_subalgoE4EjNS0_10empty_typeEbEEZZNS1_14partition_implILS8_4ELb0ES6_15HIP_vector_typeIjLj2EENS0_17counting_iteratorIjlEEPS9_SG_NS0_5tupleIJPjSI_NS0_16reverse_iteratorISI_EEEEENSH_IJSG_SG_SG_EEES9_SI_JZNS1_25segmented_radix_sort_implINS0_14default_configELb0EPKhPhPKlPlN2at6native12_GLOBAL__N_18offset_tEEE10hipError_tPvRmT1_PNSt15iterator_traitsIS12_E10value_typeET2_T3_PNS13_IS18_E10value_typeET4_jRbjT5_S1E_jjP12ihipStream_tbEUljE_ZNSN_ISO_Lb0ESQ_SR_ST_SU_SY_EESZ_S10_S11_S12_S16_S17_S18_S1B_S1C_jS1D_jS1E_S1E_jjS1G_bEUljE0_EEESZ_S10_S11_S18_S1C_S1E_T6_T7_T9_mT8_S1G_bDpT10_ENKUlT_T0_E_clISt17integral_constantIbLb1EES1T_IbLb0EEEEDaS1P_S1Q_EUlS1P_E_NS1_11comp_targetILNS1_3genE5ELNS1_11target_archE942ELNS1_3gpuE9ELNS1_3repE0EEENS1_30default_config_static_selectorELNS0_4arch9wavefront6targetE0EEEvS12_,comdat
.Lfunc_end139:
	.size	_ZN7rocprim17ROCPRIM_400000_NS6detail17trampoline_kernelINS0_13select_configILj256ELj13ELNS0_17block_load_methodE3ELS4_3ELS4_3ELNS0_20block_scan_algorithmE0ELj4294967295EEENS1_25partition_config_selectorILNS1_17partition_subalgoE4EjNS0_10empty_typeEbEEZZNS1_14partition_implILS8_4ELb0ES6_15HIP_vector_typeIjLj2EENS0_17counting_iteratorIjlEEPS9_SG_NS0_5tupleIJPjSI_NS0_16reverse_iteratorISI_EEEEENSH_IJSG_SG_SG_EEES9_SI_JZNS1_25segmented_radix_sort_implINS0_14default_configELb0EPKhPhPKlPlN2at6native12_GLOBAL__N_18offset_tEEE10hipError_tPvRmT1_PNSt15iterator_traitsIS12_E10value_typeET2_T3_PNS13_IS18_E10value_typeET4_jRbjT5_S1E_jjP12ihipStream_tbEUljE_ZNSN_ISO_Lb0ESQ_SR_ST_SU_SY_EESZ_S10_S11_S12_S16_S17_S18_S1B_S1C_jS1D_jS1E_S1E_jjS1G_bEUljE0_EEESZ_S10_S11_S18_S1C_S1E_T6_T7_T9_mT8_S1G_bDpT10_ENKUlT_T0_E_clISt17integral_constantIbLb1EES1T_IbLb0EEEEDaS1P_S1Q_EUlS1P_E_NS1_11comp_targetILNS1_3genE5ELNS1_11target_archE942ELNS1_3gpuE9ELNS1_3repE0EEENS1_30default_config_static_selectorELNS0_4arch9wavefront6targetE0EEEvS12_, .Lfunc_end139-_ZN7rocprim17ROCPRIM_400000_NS6detail17trampoline_kernelINS0_13select_configILj256ELj13ELNS0_17block_load_methodE3ELS4_3ELS4_3ELNS0_20block_scan_algorithmE0ELj4294967295EEENS1_25partition_config_selectorILNS1_17partition_subalgoE4EjNS0_10empty_typeEbEEZZNS1_14partition_implILS8_4ELb0ES6_15HIP_vector_typeIjLj2EENS0_17counting_iteratorIjlEEPS9_SG_NS0_5tupleIJPjSI_NS0_16reverse_iteratorISI_EEEEENSH_IJSG_SG_SG_EEES9_SI_JZNS1_25segmented_radix_sort_implINS0_14default_configELb0EPKhPhPKlPlN2at6native12_GLOBAL__N_18offset_tEEE10hipError_tPvRmT1_PNSt15iterator_traitsIS12_E10value_typeET2_T3_PNS13_IS18_E10value_typeET4_jRbjT5_S1E_jjP12ihipStream_tbEUljE_ZNSN_ISO_Lb0ESQ_SR_ST_SU_SY_EESZ_S10_S11_S12_S16_S17_S18_S1B_S1C_jS1D_jS1E_S1E_jjS1G_bEUljE0_EEESZ_S10_S11_S18_S1C_S1E_T6_T7_T9_mT8_S1G_bDpT10_ENKUlT_T0_E_clISt17integral_constantIbLb1EES1T_IbLb0EEEEDaS1P_S1Q_EUlS1P_E_NS1_11comp_targetILNS1_3genE5ELNS1_11target_archE942ELNS1_3gpuE9ELNS1_3repE0EEENS1_30default_config_static_selectorELNS0_4arch9wavefront6targetE0EEEvS12_
                                        ; -- End function
	.section	.AMDGPU.csdata,"",@progbits
; Kernel info:
; codeLenInByte = 0
; NumSgprs: 0
; NumVgprs: 0
; ScratchSize: 0
; MemoryBound: 0
; FloatMode: 240
; IeeeMode: 1
; LDSByteSize: 0 bytes/workgroup (compile time only)
; SGPRBlocks: 0
; VGPRBlocks: 0
; NumSGPRsForWavesPerEU: 1
; NumVGPRsForWavesPerEU: 1
; Occupancy: 16
; WaveLimiterHint : 0
; COMPUTE_PGM_RSRC2:SCRATCH_EN: 0
; COMPUTE_PGM_RSRC2:USER_SGPR: 15
; COMPUTE_PGM_RSRC2:TRAP_HANDLER: 0
; COMPUTE_PGM_RSRC2:TGID_X_EN: 1
; COMPUTE_PGM_RSRC2:TGID_Y_EN: 0
; COMPUTE_PGM_RSRC2:TGID_Z_EN: 0
; COMPUTE_PGM_RSRC2:TIDIG_COMP_CNT: 0
	.section	.text._ZN7rocprim17ROCPRIM_400000_NS6detail17trampoline_kernelINS0_13select_configILj256ELj13ELNS0_17block_load_methodE3ELS4_3ELS4_3ELNS0_20block_scan_algorithmE0ELj4294967295EEENS1_25partition_config_selectorILNS1_17partition_subalgoE4EjNS0_10empty_typeEbEEZZNS1_14partition_implILS8_4ELb0ES6_15HIP_vector_typeIjLj2EENS0_17counting_iteratorIjlEEPS9_SG_NS0_5tupleIJPjSI_NS0_16reverse_iteratorISI_EEEEENSH_IJSG_SG_SG_EEES9_SI_JZNS1_25segmented_radix_sort_implINS0_14default_configELb0EPKhPhPKlPlN2at6native12_GLOBAL__N_18offset_tEEE10hipError_tPvRmT1_PNSt15iterator_traitsIS12_E10value_typeET2_T3_PNS13_IS18_E10value_typeET4_jRbjT5_S1E_jjP12ihipStream_tbEUljE_ZNSN_ISO_Lb0ESQ_SR_ST_SU_SY_EESZ_S10_S11_S12_S16_S17_S18_S1B_S1C_jS1D_jS1E_S1E_jjS1G_bEUljE0_EEESZ_S10_S11_S18_S1C_S1E_T6_T7_T9_mT8_S1G_bDpT10_ENKUlT_T0_E_clISt17integral_constantIbLb1EES1T_IbLb0EEEEDaS1P_S1Q_EUlS1P_E_NS1_11comp_targetILNS1_3genE4ELNS1_11target_archE910ELNS1_3gpuE8ELNS1_3repE0EEENS1_30default_config_static_selectorELNS0_4arch9wavefront6targetE0EEEvS12_,"axG",@progbits,_ZN7rocprim17ROCPRIM_400000_NS6detail17trampoline_kernelINS0_13select_configILj256ELj13ELNS0_17block_load_methodE3ELS4_3ELS4_3ELNS0_20block_scan_algorithmE0ELj4294967295EEENS1_25partition_config_selectorILNS1_17partition_subalgoE4EjNS0_10empty_typeEbEEZZNS1_14partition_implILS8_4ELb0ES6_15HIP_vector_typeIjLj2EENS0_17counting_iteratorIjlEEPS9_SG_NS0_5tupleIJPjSI_NS0_16reverse_iteratorISI_EEEEENSH_IJSG_SG_SG_EEES9_SI_JZNS1_25segmented_radix_sort_implINS0_14default_configELb0EPKhPhPKlPlN2at6native12_GLOBAL__N_18offset_tEEE10hipError_tPvRmT1_PNSt15iterator_traitsIS12_E10value_typeET2_T3_PNS13_IS18_E10value_typeET4_jRbjT5_S1E_jjP12ihipStream_tbEUljE_ZNSN_ISO_Lb0ESQ_SR_ST_SU_SY_EESZ_S10_S11_S12_S16_S17_S18_S1B_S1C_jS1D_jS1E_S1E_jjS1G_bEUljE0_EEESZ_S10_S11_S18_S1C_S1E_T6_T7_T9_mT8_S1G_bDpT10_ENKUlT_T0_E_clISt17integral_constantIbLb1EES1T_IbLb0EEEEDaS1P_S1Q_EUlS1P_E_NS1_11comp_targetILNS1_3genE4ELNS1_11target_archE910ELNS1_3gpuE8ELNS1_3repE0EEENS1_30default_config_static_selectorELNS0_4arch9wavefront6targetE0EEEvS12_,comdat
	.globl	_ZN7rocprim17ROCPRIM_400000_NS6detail17trampoline_kernelINS0_13select_configILj256ELj13ELNS0_17block_load_methodE3ELS4_3ELS4_3ELNS0_20block_scan_algorithmE0ELj4294967295EEENS1_25partition_config_selectorILNS1_17partition_subalgoE4EjNS0_10empty_typeEbEEZZNS1_14partition_implILS8_4ELb0ES6_15HIP_vector_typeIjLj2EENS0_17counting_iteratorIjlEEPS9_SG_NS0_5tupleIJPjSI_NS0_16reverse_iteratorISI_EEEEENSH_IJSG_SG_SG_EEES9_SI_JZNS1_25segmented_radix_sort_implINS0_14default_configELb0EPKhPhPKlPlN2at6native12_GLOBAL__N_18offset_tEEE10hipError_tPvRmT1_PNSt15iterator_traitsIS12_E10value_typeET2_T3_PNS13_IS18_E10value_typeET4_jRbjT5_S1E_jjP12ihipStream_tbEUljE_ZNSN_ISO_Lb0ESQ_SR_ST_SU_SY_EESZ_S10_S11_S12_S16_S17_S18_S1B_S1C_jS1D_jS1E_S1E_jjS1G_bEUljE0_EEESZ_S10_S11_S18_S1C_S1E_T6_T7_T9_mT8_S1G_bDpT10_ENKUlT_T0_E_clISt17integral_constantIbLb1EES1T_IbLb0EEEEDaS1P_S1Q_EUlS1P_E_NS1_11comp_targetILNS1_3genE4ELNS1_11target_archE910ELNS1_3gpuE8ELNS1_3repE0EEENS1_30default_config_static_selectorELNS0_4arch9wavefront6targetE0EEEvS12_ ; -- Begin function _ZN7rocprim17ROCPRIM_400000_NS6detail17trampoline_kernelINS0_13select_configILj256ELj13ELNS0_17block_load_methodE3ELS4_3ELS4_3ELNS0_20block_scan_algorithmE0ELj4294967295EEENS1_25partition_config_selectorILNS1_17partition_subalgoE4EjNS0_10empty_typeEbEEZZNS1_14partition_implILS8_4ELb0ES6_15HIP_vector_typeIjLj2EENS0_17counting_iteratorIjlEEPS9_SG_NS0_5tupleIJPjSI_NS0_16reverse_iteratorISI_EEEEENSH_IJSG_SG_SG_EEES9_SI_JZNS1_25segmented_radix_sort_implINS0_14default_configELb0EPKhPhPKlPlN2at6native12_GLOBAL__N_18offset_tEEE10hipError_tPvRmT1_PNSt15iterator_traitsIS12_E10value_typeET2_T3_PNS13_IS18_E10value_typeET4_jRbjT5_S1E_jjP12ihipStream_tbEUljE_ZNSN_ISO_Lb0ESQ_SR_ST_SU_SY_EESZ_S10_S11_S12_S16_S17_S18_S1B_S1C_jS1D_jS1E_S1E_jjS1G_bEUljE0_EEESZ_S10_S11_S18_S1C_S1E_T6_T7_T9_mT8_S1G_bDpT10_ENKUlT_T0_E_clISt17integral_constantIbLb1EES1T_IbLb0EEEEDaS1P_S1Q_EUlS1P_E_NS1_11comp_targetILNS1_3genE4ELNS1_11target_archE910ELNS1_3gpuE8ELNS1_3repE0EEENS1_30default_config_static_selectorELNS0_4arch9wavefront6targetE0EEEvS12_
	.p2align	8
	.type	_ZN7rocprim17ROCPRIM_400000_NS6detail17trampoline_kernelINS0_13select_configILj256ELj13ELNS0_17block_load_methodE3ELS4_3ELS4_3ELNS0_20block_scan_algorithmE0ELj4294967295EEENS1_25partition_config_selectorILNS1_17partition_subalgoE4EjNS0_10empty_typeEbEEZZNS1_14partition_implILS8_4ELb0ES6_15HIP_vector_typeIjLj2EENS0_17counting_iteratorIjlEEPS9_SG_NS0_5tupleIJPjSI_NS0_16reverse_iteratorISI_EEEEENSH_IJSG_SG_SG_EEES9_SI_JZNS1_25segmented_radix_sort_implINS0_14default_configELb0EPKhPhPKlPlN2at6native12_GLOBAL__N_18offset_tEEE10hipError_tPvRmT1_PNSt15iterator_traitsIS12_E10value_typeET2_T3_PNS13_IS18_E10value_typeET4_jRbjT5_S1E_jjP12ihipStream_tbEUljE_ZNSN_ISO_Lb0ESQ_SR_ST_SU_SY_EESZ_S10_S11_S12_S16_S17_S18_S1B_S1C_jS1D_jS1E_S1E_jjS1G_bEUljE0_EEESZ_S10_S11_S18_S1C_S1E_T6_T7_T9_mT8_S1G_bDpT10_ENKUlT_T0_E_clISt17integral_constantIbLb1EES1T_IbLb0EEEEDaS1P_S1Q_EUlS1P_E_NS1_11comp_targetILNS1_3genE4ELNS1_11target_archE910ELNS1_3gpuE8ELNS1_3repE0EEENS1_30default_config_static_selectorELNS0_4arch9wavefront6targetE0EEEvS12_,@function
_ZN7rocprim17ROCPRIM_400000_NS6detail17trampoline_kernelINS0_13select_configILj256ELj13ELNS0_17block_load_methodE3ELS4_3ELS4_3ELNS0_20block_scan_algorithmE0ELj4294967295EEENS1_25partition_config_selectorILNS1_17partition_subalgoE4EjNS0_10empty_typeEbEEZZNS1_14partition_implILS8_4ELb0ES6_15HIP_vector_typeIjLj2EENS0_17counting_iteratorIjlEEPS9_SG_NS0_5tupleIJPjSI_NS0_16reverse_iteratorISI_EEEEENSH_IJSG_SG_SG_EEES9_SI_JZNS1_25segmented_radix_sort_implINS0_14default_configELb0EPKhPhPKlPlN2at6native12_GLOBAL__N_18offset_tEEE10hipError_tPvRmT1_PNSt15iterator_traitsIS12_E10value_typeET2_T3_PNS13_IS18_E10value_typeET4_jRbjT5_S1E_jjP12ihipStream_tbEUljE_ZNSN_ISO_Lb0ESQ_SR_ST_SU_SY_EESZ_S10_S11_S12_S16_S17_S18_S1B_S1C_jS1D_jS1E_S1E_jjS1G_bEUljE0_EEESZ_S10_S11_S18_S1C_S1E_T6_T7_T9_mT8_S1G_bDpT10_ENKUlT_T0_E_clISt17integral_constantIbLb1EES1T_IbLb0EEEEDaS1P_S1Q_EUlS1P_E_NS1_11comp_targetILNS1_3genE4ELNS1_11target_archE910ELNS1_3gpuE8ELNS1_3repE0EEENS1_30default_config_static_selectorELNS0_4arch9wavefront6targetE0EEEvS12_: ; @_ZN7rocprim17ROCPRIM_400000_NS6detail17trampoline_kernelINS0_13select_configILj256ELj13ELNS0_17block_load_methodE3ELS4_3ELS4_3ELNS0_20block_scan_algorithmE0ELj4294967295EEENS1_25partition_config_selectorILNS1_17partition_subalgoE4EjNS0_10empty_typeEbEEZZNS1_14partition_implILS8_4ELb0ES6_15HIP_vector_typeIjLj2EENS0_17counting_iteratorIjlEEPS9_SG_NS0_5tupleIJPjSI_NS0_16reverse_iteratorISI_EEEEENSH_IJSG_SG_SG_EEES9_SI_JZNS1_25segmented_radix_sort_implINS0_14default_configELb0EPKhPhPKlPlN2at6native12_GLOBAL__N_18offset_tEEE10hipError_tPvRmT1_PNSt15iterator_traitsIS12_E10value_typeET2_T3_PNS13_IS18_E10value_typeET4_jRbjT5_S1E_jjP12ihipStream_tbEUljE_ZNSN_ISO_Lb0ESQ_SR_ST_SU_SY_EESZ_S10_S11_S12_S16_S17_S18_S1B_S1C_jS1D_jS1E_S1E_jjS1G_bEUljE0_EEESZ_S10_S11_S18_S1C_S1E_T6_T7_T9_mT8_S1G_bDpT10_ENKUlT_T0_E_clISt17integral_constantIbLb1EES1T_IbLb0EEEEDaS1P_S1Q_EUlS1P_E_NS1_11comp_targetILNS1_3genE4ELNS1_11target_archE910ELNS1_3gpuE8ELNS1_3repE0EEENS1_30default_config_static_selectorELNS0_4arch9wavefront6targetE0EEEvS12_
; %bb.0:
	.section	.rodata,"a",@progbits
	.p2align	6, 0x0
	.amdhsa_kernel _ZN7rocprim17ROCPRIM_400000_NS6detail17trampoline_kernelINS0_13select_configILj256ELj13ELNS0_17block_load_methodE3ELS4_3ELS4_3ELNS0_20block_scan_algorithmE0ELj4294967295EEENS1_25partition_config_selectorILNS1_17partition_subalgoE4EjNS0_10empty_typeEbEEZZNS1_14partition_implILS8_4ELb0ES6_15HIP_vector_typeIjLj2EENS0_17counting_iteratorIjlEEPS9_SG_NS0_5tupleIJPjSI_NS0_16reverse_iteratorISI_EEEEENSH_IJSG_SG_SG_EEES9_SI_JZNS1_25segmented_radix_sort_implINS0_14default_configELb0EPKhPhPKlPlN2at6native12_GLOBAL__N_18offset_tEEE10hipError_tPvRmT1_PNSt15iterator_traitsIS12_E10value_typeET2_T3_PNS13_IS18_E10value_typeET4_jRbjT5_S1E_jjP12ihipStream_tbEUljE_ZNSN_ISO_Lb0ESQ_SR_ST_SU_SY_EESZ_S10_S11_S12_S16_S17_S18_S1B_S1C_jS1D_jS1E_S1E_jjS1G_bEUljE0_EEESZ_S10_S11_S18_S1C_S1E_T6_T7_T9_mT8_S1G_bDpT10_ENKUlT_T0_E_clISt17integral_constantIbLb1EES1T_IbLb0EEEEDaS1P_S1Q_EUlS1P_E_NS1_11comp_targetILNS1_3genE4ELNS1_11target_archE910ELNS1_3gpuE8ELNS1_3repE0EEENS1_30default_config_static_selectorELNS0_4arch9wavefront6targetE0EEEvS12_
		.amdhsa_group_segment_fixed_size 0
		.amdhsa_private_segment_fixed_size 0
		.amdhsa_kernarg_size 176
		.amdhsa_user_sgpr_count 15
		.amdhsa_user_sgpr_dispatch_ptr 0
		.amdhsa_user_sgpr_queue_ptr 0
		.amdhsa_user_sgpr_kernarg_segment_ptr 1
		.amdhsa_user_sgpr_dispatch_id 0
		.amdhsa_user_sgpr_private_segment_size 0
		.amdhsa_wavefront_size32 1
		.amdhsa_uses_dynamic_stack 0
		.amdhsa_enable_private_segment 0
		.amdhsa_system_sgpr_workgroup_id_x 1
		.amdhsa_system_sgpr_workgroup_id_y 0
		.amdhsa_system_sgpr_workgroup_id_z 0
		.amdhsa_system_sgpr_workgroup_info 0
		.amdhsa_system_vgpr_workitem_id 0
		.amdhsa_next_free_vgpr 1
		.amdhsa_next_free_sgpr 1
		.amdhsa_reserve_vcc 0
		.amdhsa_float_round_mode_32 0
		.amdhsa_float_round_mode_16_64 0
		.amdhsa_float_denorm_mode_32 3
		.amdhsa_float_denorm_mode_16_64 3
		.amdhsa_dx10_clamp 1
		.amdhsa_ieee_mode 1
		.amdhsa_fp16_overflow 0
		.amdhsa_workgroup_processor_mode 1
		.amdhsa_memory_ordered 1
		.amdhsa_forward_progress 0
		.amdhsa_shared_vgpr_count 0
		.amdhsa_exception_fp_ieee_invalid_op 0
		.amdhsa_exception_fp_denorm_src 0
		.amdhsa_exception_fp_ieee_div_zero 0
		.amdhsa_exception_fp_ieee_overflow 0
		.amdhsa_exception_fp_ieee_underflow 0
		.amdhsa_exception_fp_ieee_inexact 0
		.amdhsa_exception_int_div_zero 0
	.end_amdhsa_kernel
	.section	.text._ZN7rocprim17ROCPRIM_400000_NS6detail17trampoline_kernelINS0_13select_configILj256ELj13ELNS0_17block_load_methodE3ELS4_3ELS4_3ELNS0_20block_scan_algorithmE0ELj4294967295EEENS1_25partition_config_selectorILNS1_17partition_subalgoE4EjNS0_10empty_typeEbEEZZNS1_14partition_implILS8_4ELb0ES6_15HIP_vector_typeIjLj2EENS0_17counting_iteratorIjlEEPS9_SG_NS0_5tupleIJPjSI_NS0_16reverse_iteratorISI_EEEEENSH_IJSG_SG_SG_EEES9_SI_JZNS1_25segmented_radix_sort_implINS0_14default_configELb0EPKhPhPKlPlN2at6native12_GLOBAL__N_18offset_tEEE10hipError_tPvRmT1_PNSt15iterator_traitsIS12_E10value_typeET2_T3_PNS13_IS18_E10value_typeET4_jRbjT5_S1E_jjP12ihipStream_tbEUljE_ZNSN_ISO_Lb0ESQ_SR_ST_SU_SY_EESZ_S10_S11_S12_S16_S17_S18_S1B_S1C_jS1D_jS1E_S1E_jjS1G_bEUljE0_EEESZ_S10_S11_S18_S1C_S1E_T6_T7_T9_mT8_S1G_bDpT10_ENKUlT_T0_E_clISt17integral_constantIbLb1EES1T_IbLb0EEEEDaS1P_S1Q_EUlS1P_E_NS1_11comp_targetILNS1_3genE4ELNS1_11target_archE910ELNS1_3gpuE8ELNS1_3repE0EEENS1_30default_config_static_selectorELNS0_4arch9wavefront6targetE0EEEvS12_,"axG",@progbits,_ZN7rocprim17ROCPRIM_400000_NS6detail17trampoline_kernelINS0_13select_configILj256ELj13ELNS0_17block_load_methodE3ELS4_3ELS4_3ELNS0_20block_scan_algorithmE0ELj4294967295EEENS1_25partition_config_selectorILNS1_17partition_subalgoE4EjNS0_10empty_typeEbEEZZNS1_14partition_implILS8_4ELb0ES6_15HIP_vector_typeIjLj2EENS0_17counting_iteratorIjlEEPS9_SG_NS0_5tupleIJPjSI_NS0_16reverse_iteratorISI_EEEEENSH_IJSG_SG_SG_EEES9_SI_JZNS1_25segmented_radix_sort_implINS0_14default_configELb0EPKhPhPKlPlN2at6native12_GLOBAL__N_18offset_tEEE10hipError_tPvRmT1_PNSt15iterator_traitsIS12_E10value_typeET2_T3_PNS13_IS18_E10value_typeET4_jRbjT5_S1E_jjP12ihipStream_tbEUljE_ZNSN_ISO_Lb0ESQ_SR_ST_SU_SY_EESZ_S10_S11_S12_S16_S17_S18_S1B_S1C_jS1D_jS1E_S1E_jjS1G_bEUljE0_EEESZ_S10_S11_S18_S1C_S1E_T6_T7_T9_mT8_S1G_bDpT10_ENKUlT_T0_E_clISt17integral_constantIbLb1EES1T_IbLb0EEEEDaS1P_S1Q_EUlS1P_E_NS1_11comp_targetILNS1_3genE4ELNS1_11target_archE910ELNS1_3gpuE8ELNS1_3repE0EEENS1_30default_config_static_selectorELNS0_4arch9wavefront6targetE0EEEvS12_,comdat
.Lfunc_end140:
	.size	_ZN7rocprim17ROCPRIM_400000_NS6detail17trampoline_kernelINS0_13select_configILj256ELj13ELNS0_17block_load_methodE3ELS4_3ELS4_3ELNS0_20block_scan_algorithmE0ELj4294967295EEENS1_25partition_config_selectorILNS1_17partition_subalgoE4EjNS0_10empty_typeEbEEZZNS1_14partition_implILS8_4ELb0ES6_15HIP_vector_typeIjLj2EENS0_17counting_iteratorIjlEEPS9_SG_NS0_5tupleIJPjSI_NS0_16reverse_iteratorISI_EEEEENSH_IJSG_SG_SG_EEES9_SI_JZNS1_25segmented_radix_sort_implINS0_14default_configELb0EPKhPhPKlPlN2at6native12_GLOBAL__N_18offset_tEEE10hipError_tPvRmT1_PNSt15iterator_traitsIS12_E10value_typeET2_T3_PNS13_IS18_E10value_typeET4_jRbjT5_S1E_jjP12ihipStream_tbEUljE_ZNSN_ISO_Lb0ESQ_SR_ST_SU_SY_EESZ_S10_S11_S12_S16_S17_S18_S1B_S1C_jS1D_jS1E_S1E_jjS1G_bEUljE0_EEESZ_S10_S11_S18_S1C_S1E_T6_T7_T9_mT8_S1G_bDpT10_ENKUlT_T0_E_clISt17integral_constantIbLb1EES1T_IbLb0EEEEDaS1P_S1Q_EUlS1P_E_NS1_11comp_targetILNS1_3genE4ELNS1_11target_archE910ELNS1_3gpuE8ELNS1_3repE0EEENS1_30default_config_static_selectorELNS0_4arch9wavefront6targetE0EEEvS12_, .Lfunc_end140-_ZN7rocprim17ROCPRIM_400000_NS6detail17trampoline_kernelINS0_13select_configILj256ELj13ELNS0_17block_load_methodE3ELS4_3ELS4_3ELNS0_20block_scan_algorithmE0ELj4294967295EEENS1_25partition_config_selectorILNS1_17partition_subalgoE4EjNS0_10empty_typeEbEEZZNS1_14partition_implILS8_4ELb0ES6_15HIP_vector_typeIjLj2EENS0_17counting_iteratorIjlEEPS9_SG_NS0_5tupleIJPjSI_NS0_16reverse_iteratorISI_EEEEENSH_IJSG_SG_SG_EEES9_SI_JZNS1_25segmented_radix_sort_implINS0_14default_configELb0EPKhPhPKlPlN2at6native12_GLOBAL__N_18offset_tEEE10hipError_tPvRmT1_PNSt15iterator_traitsIS12_E10value_typeET2_T3_PNS13_IS18_E10value_typeET4_jRbjT5_S1E_jjP12ihipStream_tbEUljE_ZNSN_ISO_Lb0ESQ_SR_ST_SU_SY_EESZ_S10_S11_S12_S16_S17_S18_S1B_S1C_jS1D_jS1E_S1E_jjS1G_bEUljE0_EEESZ_S10_S11_S18_S1C_S1E_T6_T7_T9_mT8_S1G_bDpT10_ENKUlT_T0_E_clISt17integral_constantIbLb1EES1T_IbLb0EEEEDaS1P_S1Q_EUlS1P_E_NS1_11comp_targetILNS1_3genE4ELNS1_11target_archE910ELNS1_3gpuE8ELNS1_3repE0EEENS1_30default_config_static_selectorELNS0_4arch9wavefront6targetE0EEEvS12_
                                        ; -- End function
	.section	.AMDGPU.csdata,"",@progbits
; Kernel info:
; codeLenInByte = 0
; NumSgprs: 0
; NumVgprs: 0
; ScratchSize: 0
; MemoryBound: 0
; FloatMode: 240
; IeeeMode: 1
; LDSByteSize: 0 bytes/workgroup (compile time only)
; SGPRBlocks: 0
; VGPRBlocks: 0
; NumSGPRsForWavesPerEU: 1
; NumVGPRsForWavesPerEU: 1
; Occupancy: 16
; WaveLimiterHint : 0
; COMPUTE_PGM_RSRC2:SCRATCH_EN: 0
; COMPUTE_PGM_RSRC2:USER_SGPR: 15
; COMPUTE_PGM_RSRC2:TRAP_HANDLER: 0
; COMPUTE_PGM_RSRC2:TGID_X_EN: 1
; COMPUTE_PGM_RSRC2:TGID_Y_EN: 0
; COMPUTE_PGM_RSRC2:TGID_Z_EN: 0
; COMPUTE_PGM_RSRC2:TIDIG_COMP_CNT: 0
	.section	.text._ZN7rocprim17ROCPRIM_400000_NS6detail17trampoline_kernelINS0_13select_configILj256ELj13ELNS0_17block_load_methodE3ELS4_3ELS4_3ELNS0_20block_scan_algorithmE0ELj4294967295EEENS1_25partition_config_selectorILNS1_17partition_subalgoE4EjNS0_10empty_typeEbEEZZNS1_14partition_implILS8_4ELb0ES6_15HIP_vector_typeIjLj2EENS0_17counting_iteratorIjlEEPS9_SG_NS0_5tupleIJPjSI_NS0_16reverse_iteratorISI_EEEEENSH_IJSG_SG_SG_EEES9_SI_JZNS1_25segmented_radix_sort_implINS0_14default_configELb0EPKhPhPKlPlN2at6native12_GLOBAL__N_18offset_tEEE10hipError_tPvRmT1_PNSt15iterator_traitsIS12_E10value_typeET2_T3_PNS13_IS18_E10value_typeET4_jRbjT5_S1E_jjP12ihipStream_tbEUljE_ZNSN_ISO_Lb0ESQ_SR_ST_SU_SY_EESZ_S10_S11_S12_S16_S17_S18_S1B_S1C_jS1D_jS1E_S1E_jjS1G_bEUljE0_EEESZ_S10_S11_S18_S1C_S1E_T6_T7_T9_mT8_S1G_bDpT10_ENKUlT_T0_E_clISt17integral_constantIbLb1EES1T_IbLb0EEEEDaS1P_S1Q_EUlS1P_E_NS1_11comp_targetILNS1_3genE3ELNS1_11target_archE908ELNS1_3gpuE7ELNS1_3repE0EEENS1_30default_config_static_selectorELNS0_4arch9wavefront6targetE0EEEvS12_,"axG",@progbits,_ZN7rocprim17ROCPRIM_400000_NS6detail17trampoline_kernelINS0_13select_configILj256ELj13ELNS0_17block_load_methodE3ELS4_3ELS4_3ELNS0_20block_scan_algorithmE0ELj4294967295EEENS1_25partition_config_selectorILNS1_17partition_subalgoE4EjNS0_10empty_typeEbEEZZNS1_14partition_implILS8_4ELb0ES6_15HIP_vector_typeIjLj2EENS0_17counting_iteratorIjlEEPS9_SG_NS0_5tupleIJPjSI_NS0_16reverse_iteratorISI_EEEEENSH_IJSG_SG_SG_EEES9_SI_JZNS1_25segmented_radix_sort_implINS0_14default_configELb0EPKhPhPKlPlN2at6native12_GLOBAL__N_18offset_tEEE10hipError_tPvRmT1_PNSt15iterator_traitsIS12_E10value_typeET2_T3_PNS13_IS18_E10value_typeET4_jRbjT5_S1E_jjP12ihipStream_tbEUljE_ZNSN_ISO_Lb0ESQ_SR_ST_SU_SY_EESZ_S10_S11_S12_S16_S17_S18_S1B_S1C_jS1D_jS1E_S1E_jjS1G_bEUljE0_EEESZ_S10_S11_S18_S1C_S1E_T6_T7_T9_mT8_S1G_bDpT10_ENKUlT_T0_E_clISt17integral_constantIbLb1EES1T_IbLb0EEEEDaS1P_S1Q_EUlS1P_E_NS1_11comp_targetILNS1_3genE3ELNS1_11target_archE908ELNS1_3gpuE7ELNS1_3repE0EEENS1_30default_config_static_selectorELNS0_4arch9wavefront6targetE0EEEvS12_,comdat
	.globl	_ZN7rocprim17ROCPRIM_400000_NS6detail17trampoline_kernelINS0_13select_configILj256ELj13ELNS0_17block_load_methodE3ELS4_3ELS4_3ELNS0_20block_scan_algorithmE0ELj4294967295EEENS1_25partition_config_selectorILNS1_17partition_subalgoE4EjNS0_10empty_typeEbEEZZNS1_14partition_implILS8_4ELb0ES6_15HIP_vector_typeIjLj2EENS0_17counting_iteratorIjlEEPS9_SG_NS0_5tupleIJPjSI_NS0_16reverse_iteratorISI_EEEEENSH_IJSG_SG_SG_EEES9_SI_JZNS1_25segmented_radix_sort_implINS0_14default_configELb0EPKhPhPKlPlN2at6native12_GLOBAL__N_18offset_tEEE10hipError_tPvRmT1_PNSt15iterator_traitsIS12_E10value_typeET2_T3_PNS13_IS18_E10value_typeET4_jRbjT5_S1E_jjP12ihipStream_tbEUljE_ZNSN_ISO_Lb0ESQ_SR_ST_SU_SY_EESZ_S10_S11_S12_S16_S17_S18_S1B_S1C_jS1D_jS1E_S1E_jjS1G_bEUljE0_EEESZ_S10_S11_S18_S1C_S1E_T6_T7_T9_mT8_S1G_bDpT10_ENKUlT_T0_E_clISt17integral_constantIbLb1EES1T_IbLb0EEEEDaS1P_S1Q_EUlS1P_E_NS1_11comp_targetILNS1_3genE3ELNS1_11target_archE908ELNS1_3gpuE7ELNS1_3repE0EEENS1_30default_config_static_selectorELNS0_4arch9wavefront6targetE0EEEvS12_ ; -- Begin function _ZN7rocprim17ROCPRIM_400000_NS6detail17trampoline_kernelINS0_13select_configILj256ELj13ELNS0_17block_load_methodE3ELS4_3ELS4_3ELNS0_20block_scan_algorithmE0ELj4294967295EEENS1_25partition_config_selectorILNS1_17partition_subalgoE4EjNS0_10empty_typeEbEEZZNS1_14partition_implILS8_4ELb0ES6_15HIP_vector_typeIjLj2EENS0_17counting_iteratorIjlEEPS9_SG_NS0_5tupleIJPjSI_NS0_16reverse_iteratorISI_EEEEENSH_IJSG_SG_SG_EEES9_SI_JZNS1_25segmented_radix_sort_implINS0_14default_configELb0EPKhPhPKlPlN2at6native12_GLOBAL__N_18offset_tEEE10hipError_tPvRmT1_PNSt15iterator_traitsIS12_E10value_typeET2_T3_PNS13_IS18_E10value_typeET4_jRbjT5_S1E_jjP12ihipStream_tbEUljE_ZNSN_ISO_Lb0ESQ_SR_ST_SU_SY_EESZ_S10_S11_S12_S16_S17_S18_S1B_S1C_jS1D_jS1E_S1E_jjS1G_bEUljE0_EEESZ_S10_S11_S18_S1C_S1E_T6_T7_T9_mT8_S1G_bDpT10_ENKUlT_T0_E_clISt17integral_constantIbLb1EES1T_IbLb0EEEEDaS1P_S1Q_EUlS1P_E_NS1_11comp_targetILNS1_3genE3ELNS1_11target_archE908ELNS1_3gpuE7ELNS1_3repE0EEENS1_30default_config_static_selectorELNS0_4arch9wavefront6targetE0EEEvS12_
	.p2align	8
	.type	_ZN7rocprim17ROCPRIM_400000_NS6detail17trampoline_kernelINS0_13select_configILj256ELj13ELNS0_17block_load_methodE3ELS4_3ELS4_3ELNS0_20block_scan_algorithmE0ELj4294967295EEENS1_25partition_config_selectorILNS1_17partition_subalgoE4EjNS0_10empty_typeEbEEZZNS1_14partition_implILS8_4ELb0ES6_15HIP_vector_typeIjLj2EENS0_17counting_iteratorIjlEEPS9_SG_NS0_5tupleIJPjSI_NS0_16reverse_iteratorISI_EEEEENSH_IJSG_SG_SG_EEES9_SI_JZNS1_25segmented_radix_sort_implINS0_14default_configELb0EPKhPhPKlPlN2at6native12_GLOBAL__N_18offset_tEEE10hipError_tPvRmT1_PNSt15iterator_traitsIS12_E10value_typeET2_T3_PNS13_IS18_E10value_typeET4_jRbjT5_S1E_jjP12ihipStream_tbEUljE_ZNSN_ISO_Lb0ESQ_SR_ST_SU_SY_EESZ_S10_S11_S12_S16_S17_S18_S1B_S1C_jS1D_jS1E_S1E_jjS1G_bEUljE0_EEESZ_S10_S11_S18_S1C_S1E_T6_T7_T9_mT8_S1G_bDpT10_ENKUlT_T0_E_clISt17integral_constantIbLb1EES1T_IbLb0EEEEDaS1P_S1Q_EUlS1P_E_NS1_11comp_targetILNS1_3genE3ELNS1_11target_archE908ELNS1_3gpuE7ELNS1_3repE0EEENS1_30default_config_static_selectorELNS0_4arch9wavefront6targetE0EEEvS12_,@function
_ZN7rocprim17ROCPRIM_400000_NS6detail17trampoline_kernelINS0_13select_configILj256ELj13ELNS0_17block_load_methodE3ELS4_3ELS4_3ELNS0_20block_scan_algorithmE0ELj4294967295EEENS1_25partition_config_selectorILNS1_17partition_subalgoE4EjNS0_10empty_typeEbEEZZNS1_14partition_implILS8_4ELb0ES6_15HIP_vector_typeIjLj2EENS0_17counting_iteratorIjlEEPS9_SG_NS0_5tupleIJPjSI_NS0_16reverse_iteratorISI_EEEEENSH_IJSG_SG_SG_EEES9_SI_JZNS1_25segmented_radix_sort_implINS0_14default_configELb0EPKhPhPKlPlN2at6native12_GLOBAL__N_18offset_tEEE10hipError_tPvRmT1_PNSt15iterator_traitsIS12_E10value_typeET2_T3_PNS13_IS18_E10value_typeET4_jRbjT5_S1E_jjP12ihipStream_tbEUljE_ZNSN_ISO_Lb0ESQ_SR_ST_SU_SY_EESZ_S10_S11_S12_S16_S17_S18_S1B_S1C_jS1D_jS1E_S1E_jjS1G_bEUljE0_EEESZ_S10_S11_S18_S1C_S1E_T6_T7_T9_mT8_S1G_bDpT10_ENKUlT_T0_E_clISt17integral_constantIbLb1EES1T_IbLb0EEEEDaS1P_S1Q_EUlS1P_E_NS1_11comp_targetILNS1_3genE3ELNS1_11target_archE908ELNS1_3gpuE7ELNS1_3repE0EEENS1_30default_config_static_selectorELNS0_4arch9wavefront6targetE0EEEvS12_: ; @_ZN7rocprim17ROCPRIM_400000_NS6detail17trampoline_kernelINS0_13select_configILj256ELj13ELNS0_17block_load_methodE3ELS4_3ELS4_3ELNS0_20block_scan_algorithmE0ELj4294967295EEENS1_25partition_config_selectorILNS1_17partition_subalgoE4EjNS0_10empty_typeEbEEZZNS1_14partition_implILS8_4ELb0ES6_15HIP_vector_typeIjLj2EENS0_17counting_iteratorIjlEEPS9_SG_NS0_5tupleIJPjSI_NS0_16reverse_iteratorISI_EEEEENSH_IJSG_SG_SG_EEES9_SI_JZNS1_25segmented_radix_sort_implINS0_14default_configELb0EPKhPhPKlPlN2at6native12_GLOBAL__N_18offset_tEEE10hipError_tPvRmT1_PNSt15iterator_traitsIS12_E10value_typeET2_T3_PNS13_IS18_E10value_typeET4_jRbjT5_S1E_jjP12ihipStream_tbEUljE_ZNSN_ISO_Lb0ESQ_SR_ST_SU_SY_EESZ_S10_S11_S12_S16_S17_S18_S1B_S1C_jS1D_jS1E_S1E_jjS1G_bEUljE0_EEESZ_S10_S11_S18_S1C_S1E_T6_T7_T9_mT8_S1G_bDpT10_ENKUlT_T0_E_clISt17integral_constantIbLb1EES1T_IbLb0EEEEDaS1P_S1Q_EUlS1P_E_NS1_11comp_targetILNS1_3genE3ELNS1_11target_archE908ELNS1_3gpuE7ELNS1_3repE0EEENS1_30default_config_static_selectorELNS0_4arch9wavefront6targetE0EEEvS12_
; %bb.0:
	.section	.rodata,"a",@progbits
	.p2align	6, 0x0
	.amdhsa_kernel _ZN7rocprim17ROCPRIM_400000_NS6detail17trampoline_kernelINS0_13select_configILj256ELj13ELNS0_17block_load_methodE3ELS4_3ELS4_3ELNS0_20block_scan_algorithmE0ELj4294967295EEENS1_25partition_config_selectorILNS1_17partition_subalgoE4EjNS0_10empty_typeEbEEZZNS1_14partition_implILS8_4ELb0ES6_15HIP_vector_typeIjLj2EENS0_17counting_iteratorIjlEEPS9_SG_NS0_5tupleIJPjSI_NS0_16reverse_iteratorISI_EEEEENSH_IJSG_SG_SG_EEES9_SI_JZNS1_25segmented_radix_sort_implINS0_14default_configELb0EPKhPhPKlPlN2at6native12_GLOBAL__N_18offset_tEEE10hipError_tPvRmT1_PNSt15iterator_traitsIS12_E10value_typeET2_T3_PNS13_IS18_E10value_typeET4_jRbjT5_S1E_jjP12ihipStream_tbEUljE_ZNSN_ISO_Lb0ESQ_SR_ST_SU_SY_EESZ_S10_S11_S12_S16_S17_S18_S1B_S1C_jS1D_jS1E_S1E_jjS1G_bEUljE0_EEESZ_S10_S11_S18_S1C_S1E_T6_T7_T9_mT8_S1G_bDpT10_ENKUlT_T0_E_clISt17integral_constantIbLb1EES1T_IbLb0EEEEDaS1P_S1Q_EUlS1P_E_NS1_11comp_targetILNS1_3genE3ELNS1_11target_archE908ELNS1_3gpuE7ELNS1_3repE0EEENS1_30default_config_static_selectorELNS0_4arch9wavefront6targetE0EEEvS12_
		.amdhsa_group_segment_fixed_size 0
		.amdhsa_private_segment_fixed_size 0
		.amdhsa_kernarg_size 176
		.amdhsa_user_sgpr_count 15
		.amdhsa_user_sgpr_dispatch_ptr 0
		.amdhsa_user_sgpr_queue_ptr 0
		.amdhsa_user_sgpr_kernarg_segment_ptr 1
		.amdhsa_user_sgpr_dispatch_id 0
		.amdhsa_user_sgpr_private_segment_size 0
		.amdhsa_wavefront_size32 1
		.amdhsa_uses_dynamic_stack 0
		.amdhsa_enable_private_segment 0
		.amdhsa_system_sgpr_workgroup_id_x 1
		.amdhsa_system_sgpr_workgroup_id_y 0
		.amdhsa_system_sgpr_workgroup_id_z 0
		.amdhsa_system_sgpr_workgroup_info 0
		.amdhsa_system_vgpr_workitem_id 0
		.amdhsa_next_free_vgpr 1
		.amdhsa_next_free_sgpr 1
		.amdhsa_reserve_vcc 0
		.amdhsa_float_round_mode_32 0
		.amdhsa_float_round_mode_16_64 0
		.amdhsa_float_denorm_mode_32 3
		.amdhsa_float_denorm_mode_16_64 3
		.amdhsa_dx10_clamp 1
		.amdhsa_ieee_mode 1
		.amdhsa_fp16_overflow 0
		.amdhsa_workgroup_processor_mode 1
		.amdhsa_memory_ordered 1
		.amdhsa_forward_progress 0
		.amdhsa_shared_vgpr_count 0
		.amdhsa_exception_fp_ieee_invalid_op 0
		.amdhsa_exception_fp_denorm_src 0
		.amdhsa_exception_fp_ieee_div_zero 0
		.amdhsa_exception_fp_ieee_overflow 0
		.amdhsa_exception_fp_ieee_underflow 0
		.amdhsa_exception_fp_ieee_inexact 0
		.amdhsa_exception_int_div_zero 0
	.end_amdhsa_kernel
	.section	.text._ZN7rocprim17ROCPRIM_400000_NS6detail17trampoline_kernelINS0_13select_configILj256ELj13ELNS0_17block_load_methodE3ELS4_3ELS4_3ELNS0_20block_scan_algorithmE0ELj4294967295EEENS1_25partition_config_selectorILNS1_17partition_subalgoE4EjNS0_10empty_typeEbEEZZNS1_14partition_implILS8_4ELb0ES6_15HIP_vector_typeIjLj2EENS0_17counting_iteratorIjlEEPS9_SG_NS0_5tupleIJPjSI_NS0_16reverse_iteratorISI_EEEEENSH_IJSG_SG_SG_EEES9_SI_JZNS1_25segmented_radix_sort_implINS0_14default_configELb0EPKhPhPKlPlN2at6native12_GLOBAL__N_18offset_tEEE10hipError_tPvRmT1_PNSt15iterator_traitsIS12_E10value_typeET2_T3_PNS13_IS18_E10value_typeET4_jRbjT5_S1E_jjP12ihipStream_tbEUljE_ZNSN_ISO_Lb0ESQ_SR_ST_SU_SY_EESZ_S10_S11_S12_S16_S17_S18_S1B_S1C_jS1D_jS1E_S1E_jjS1G_bEUljE0_EEESZ_S10_S11_S18_S1C_S1E_T6_T7_T9_mT8_S1G_bDpT10_ENKUlT_T0_E_clISt17integral_constantIbLb1EES1T_IbLb0EEEEDaS1P_S1Q_EUlS1P_E_NS1_11comp_targetILNS1_3genE3ELNS1_11target_archE908ELNS1_3gpuE7ELNS1_3repE0EEENS1_30default_config_static_selectorELNS0_4arch9wavefront6targetE0EEEvS12_,"axG",@progbits,_ZN7rocprim17ROCPRIM_400000_NS6detail17trampoline_kernelINS0_13select_configILj256ELj13ELNS0_17block_load_methodE3ELS4_3ELS4_3ELNS0_20block_scan_algorithmE0ELj4294967295EEENS1_25partition_config_selectorILNS1_17partition_subalgoE4EjNS0_10empty_typeEbEEZZNS1_14partition_implILS8_4ELb0ES6_15HIP_vector_typeIjLj2EENS0_17counting_iteratorIjlEEPS9_SG_NS0_5tupleIJPjSI_NS0_16reverse_iteratorISI_EEEEENSH_IJSG_SG_SG_EEES9_SI_JZNS1_25segmented_radix_sort_implINS0_14default_configELb0EPKhPhPKlPlN2at6native12_GLOBAL__N_18offset_tEEE10hipError_tPvRmT1_PNSt15iterator_traitsIS12_E10value_typeET2_T3_PNS13_IS18_E10value_typeET4_jRbjT5_S1E_jjP12ihipStream_tbEUljE_ZNSN_ISO_Lb0ESQ_SR_ST_SU_SY_EESZ_S10_S11_S12_S16_S17_S18_S1B_S1C_jS1D_jS1E_S1E_jjS1G_bEUljE0_EEESZ_S10_S11_S18_S1C_S1E_T6_T7_T9_mT8_S1G_bDpT10_ENKUlT_T0_E_clISt17integral_constantIbLb1EES1T_IbLb0EEEEDaS1P_S1Q_EUlS1P_E_NS1_11comp_targetILNS1_3genE3ELNS1_11target_archE908ELNS1_3gpuE7ELNS1_3repE0EEENS1_30default_config_static_selectorELNS0_4arch9wavefront6targetE0EEEvS12_,comdat
.Lfunc_end141:
	.size	_ZN7rocprim17ROCPRIM_400000_NS6detail17trampoline_kernelINS0_13select_configILj256ELj13ELNS0_17block_load_methodE3ELS4_3ELS4_3ELNS0_20block_scan_algorithmE0ELj4294967295EEENS1_25partition_config_selectorILNS1_17partition_subalgoE4EjNS0_10empty_typeEbEEZZNS1_14partition_implILS8_4ELb0ES6_15HIP_vector_typeIjLj2EENS0_17counting_iteratorIjlEEPS9_SG_NS0_5tupleIJPjSI_NS0_16reverse_iteratorISI_EEEEENSH_IJSG_SG_SG_EEES9_SI_JZNS1_25segmented_radix_sort_implINS0_14default_configELb0EPKhPhPKlPlN2at6native12_GLOBAL__N_18offset_tEEE10hipError_tPvRmT1_PNSt15iterator_traitsIS12_E10value_typeET2_T3_PNS13_IS18_E10value_typeET4_jRbjT5_S1E_jjP12ihipStream_tbEUljE_ZNSN_ISO_Lb0ESQ_SR_ST_SU_SY_EESZ_S10_S11_S12_S16_S17_S18_S1B_S1C_jS1D_jS1E_S1E_jjS1G_bEUljE0_EEESZ_S10_S11_S18_S1C_S1E_T6_T7_T9_mT8_S1G_bDpT10_ENKUlT_T0_E_clISt17integral_constantIbLb1EES1T_IbLb0EEEEDaS1P_S1Q_EUlS1P_E_NS1_11comp_targetILNS1_3genE3ELNS1_11target_archE908ELNS1_3gpuE7ELNS1_3repE0EEENS1_30default_config_static_selectorELNS0_4arch9wavefront6targetE0EEEvS12_, .Lfunc_end141-_ZN7rocprim17ROCPRIM_400000_NS6detail17trampoline_kernelINS0_13select_configILj256ELj13ELNS0_17block_load_methodE3ELS4_3ELS4_3ELNS0_20block_scan_algorithmE0ELj4294967295EEENS1_25partition_config_selectorILNS1_17partition_subalgoE4EjNS0_10empty_typeEbEEZZNS1_14partition_implILS8_4ELb0ES6_15HIP_vector_typeIjLj2EENS0_17counting_iteratorIjlEEPS9_SG_NS0_5tupleIJPjSI_NS0_16reverse_iteratorISI_EEEEENSH_IJSG_SG_SG_EEES9_SI_JZNS1_25segmented_radix_sort_implINS0_14default_configELb0EPKhPhPKlPlN2at6native12_GLOBAL__N_18offset_tEEE10hipError_tPvRmT1_PNSt15iterator_traitsIS12_E10value_typeET2_T3_PNS13_IS18_E10value_typeET4_jRbjT5_S1E_jjP12ihipStream_tbEUljE_ZNSN_ISO_Lb0ESQ_SR_ST_SU_SY_EESZ_S10_S11_S12_S16_S17_S18_S1B_S1C_jS1D_jS1E_S1E_jjS1G_bEUljE0_EEESZ_S10_S11_S18_S1C_S1E_T6_T7_T9_mT8_S1G_bDpT10_ENKUlT_T0_E_clISt17integral_constantIbLb1EES1T_IbLb0EEEEDaS1P_S1Q_EUlS1P_E_NS1_11comp_targetILNS1_3genE3ELNS1_11target_archE908ELNS1_3gpuE7ELNS1_3repE0EEENS1_30default_config_static_selectorELNS0_4arch9wavefront6targetE0EEEvS12_
                                        ; -- End function
	.section	.AMDGPU.csdata,"",@progbits
; Kernel info:
; codeLenInByte = 0
; NumSgprs: 0
; NumVgprs: 0
; ScratchSize: 0
; MemoryBound: 0
; FloatMode: 240
; IeeeMode: 1
; LDSByteSize: 0 bytes/workgroup (compile time only)
; SGPRBlocks: 0
; VGPRBlocks: 0
; NumSGPRsForWavesPerEU: 1
; NumVGPRsForWavesPerEU: 1
; Occupancy: 16
; WaveLimiterHint : 0
; COMPUTE_PGM_RSRC2:SCRATCH_EN: 0
; COMPUTE_PGM_RSRC2:USER_SGPR: 15
; COMPUTE_PGM_RSRC2:TRAP_HANDLER: 0
; COMPUTE_PGM_RSRC2:TGID_X_EN: 1
; COMPUTE_PGM_RSRC2:TGID_Y_EN: 0
; COMPUTE_PGM_RSRC2:TGID_Z_EN: 0
; COMPUTE_PGM_RSRC2:TIDIG_COMP_CNT: 0
	.section	.text._ZN7rocprim17ROCPRIM_400000_NS6detail17trampoline_kernelINS0_13select_configILj256ELj13ELNS0_17block_load_methodE3ELS4_3ELS4_3ELNS0_20block_scan_algorithmE0ELj4294967295EEENS1_25partition_config_selectorILNS1_17partition_subalgoE4EjNS0_10empty_typeEbEEZZNS1_14partition_implILS8_4ELb0ES6_15HIP_vector_typeIjLj2EENS0_17counting_iteratorIjlEEPS9_SG_NS0_5tupleIJPjSI_NS0_16reverse_iteratorISI_EEEEENSH_IJSG_SG_SG_EEES9_SI_JZNS1_25segmented_radix_sort_implINS0_14default_configELb0EPKhPhPKlPlN2at6native12_GLOBAL__N_18offset_tEEE10hipError_tPvRmT1_PNSt15iterator_traitsIS12_E10value_typeET2_T3_PNS13_IS18_E10value_typeET4_jRbjT5_S1E_jjP12ihipStream_tbEUljE_ZNSN_ISO_Lb0ESQ_SR_ST_SU_SY_EESZ_S10_S11_S12_S16_S17_S18_S1B_S1C_jS1D_jS1E_S1E_jjS1G_bEUljE0_EEESZ_S10_S11_S18_S1C_S1E_T6_T7_T9_mT8_S1G_bDpT10_ENKUlT_T0_E_clISt17integral_constantIbLb1EES1T_IbLb0EEEEDaS1P_S1Q_EUlS1P_E_NS1_11comp_targetILNS1_3genE2ELNS1_11target_archE906ELNS1_3gpuE6ELNS1_3repE0EEENS1_30default_config_static_selectorELNS0_4arch9wavefront6targetE0EEEvS12_,"axG",@progbits,_ZN7rocprim17ROCPRIM_400000_NS6detail17trampoline_kernelINS0_13select_configILj256ELj13ELNS0_17block_load_methodE3ELS4_3ELS4_3ELNS0_20block_scan_algorithmE0ELj4294967295EEENS1_25partition_config_selectorILNS1_17partition_subalgoE4EjNS0_10empty_typeEbEEZZNS1_14partition_implILS8_4ELb0ES6_15HIP_vector_typeIjLj2EENS0_17counting_iteratorIjlEEPS9_SG_NS0_5tupleIJPjSI_NS0_16reverse_iteratorISI_EEEEENSH_IJSG_SG_SG_EEES9_SI_JZNS1_25segmented_radix_sort_implINS0_14default_configELb0EPKhPhPKlPlN2at6native12_GLOBAL__N_18offset_tEEE10hipError_tPvRmT1_PNSt15iterator_traitsIS12_E10value_typeET2_T3_PNS13_IS18_E10value_typeET4_jRbjT5_S1E_jjP12ihipStream_tbEUljE_ZNSN_ISO_Lb0ESQ_SR_ST_SU_SY_EESZ_S10_S11_S12_S16_S17_S18_S1B_S1C_jS1D_jS1E_S1E_jjS1G_bEUljE0_EEESZ_S10_S11_S18_S1C_S1E_T6_T7_T9_mT8_S1G_bDpT10_ENKUlT_T0_E_clISt17integral_constantIbLb1EES1T_IbLb0EEEEDaS1P_S1Q_EUlS1P_E_NS1_11comp_targetILNS1_3genE2ELNS1_11target_archE906ELNS1_3gpuE6ELNS1_3repE0EEENS1_30default_config_static_selectorELNS0_4arch9wavefront6targetE0EEEvS12_,comdat
	.globl	_ZN7rocprim17ROCPRIM_400000_NS6detail17trampoline_kernelINS0_13select_configILj256ELj13ELNS0_17block_load_methodE3ELS4_3ELS4_3ELNS0_20block_scan_algorithmE0ELj4294967295EEENS1_25partition_config_selectorILNS1_17partition_subalgoE4EjNS0_10empty_typeEbEEZZNS1_14partition_implILS8_4ELb0ES6_15HIP_vector_typeIjLj2EENS0_17counting_iteratorIjlEEPS9_SG_NS0_5tupleIJPjSI_NS0_16reverse_iteratorISI_EEEEENSH_IJSG_SG_SG_EEES9_SI_JZNS1_25segmented_radix_sort_implINS0_14default_configELb0EPKhPhPKlPlN2at6native12_GLOBAL__N_18offset_tEEE10hipError_tPvRmT1_PNSt15iterator_traitsIS12_E10value_typeET2_T3_PNS13_IS18_E10value_typeET4_jRbjT5_S1E_jjP12ihipStream_tbEUljE_ZNSN_ISO_Lb0ESQ_SR_ST_SU_SY_EESZ_S10_S11_S12_S16_S17_S18_S1B_S1C_jS1D_jS1E_S1E_jjS1G_bEUljE0_EEESZ_S10_S11_S18_S1C_S1E_T6_T7_T9_mT8_S1G_bDpT10_ENKUlT_T0_E_clISt17integral_constantIbLb1EES1T_IbLb0EEEEDaS1P_S1Q_EUlS1P_E_NS1_11comp_targetILNS1_3genE2ELNS1_11target_archE906ELNS1_3gpuE6ELNS1_3repE0EEENS1_30default_config_static_selectorELNS0_4arch9wavefront6targetE0EEEvS12_ ; -- Begin function _ZN7rocprim17ROCPRIM_400000_NS6detail17trampoline_kernelINS0_13select_configILj256ELj13ELNS0_17block_load_methodE3ELS4_3ELS4_3ELNS0_20block_scan_algorithmE0ELj4294967295EEENS1_25partition_config_selectorILNS1_17partition_subalgoE4EjNS0_10empty_typeEbEEZZNS1_14partition_implILS8_4ELb0ES6_15HIP_vector_typeIjLj2EENS0_17counting_iteratorIjlEEPS9_SG_NS0_5tupleIJPjSI_NS0_16reverse_iteratorISI_EEEEENSH_IJSG_SG_SG_EEES9_SI_JZNS1_25segmented_radix_sort_implINS0_14default_configELb0EPKhPhPKlPlN2at6native12_GLOBAL__N_18offset_tEEE10hipError_tPvRmT1_PNSt15iterator_traitsIS12_E10value_typeET2_T3_PNS13_IS18_E10value_typeET4_jRbjT5_S1E_jjP12ihipStream_tbEUljE_ZNSN_ISO_Lb0ESQ_SR_ST_SU_SY_EESZ_S10_S11_S12_S16_S17_S18_S1B_S1C_jS1D_jS1E_S1E_jjS1G_bEUljE0_EEESZ_S10_S11_S18_S1C_S1E_T6_T7_T9_mT8_S1G_bDpT10_ENKUlT_T0_E_clISt17integral_constantIbLb1EES1T_IbLb0EEEEDaS1P_S1Q_EUlS1P_E_NS1_11comp_targetILNS1_3genE2ELNS1_11target_archE906ELNS1_3gpuE6ELNS1_3repE0EEENS1_30default_config_static_selectorELNS0_4arch9wavefront6targetE0EEEvS12_
	.p2align	8
	.type	_ZN7rocprim17ROCPRIM_400000_NS6detail17trampoline_kernelINS0_13select_configILj256ELj13ELNS0_17block_load_methodE3ELS4_3ELS4_3ELNS0_20block_scan_algorithmE0ELj4294967295EEENS1_25partition_config_selectorILNS1_17partition_subalgoE4EjNS0_10empty_typeEbEEZZNS1_14partition_implILS8_4ELb0ES6_15HIP_vector_typeIjLj2EENS0_17counting_iteratorIjlEEPS9_SG_NS0_5tupleIJPjSI_NS0_16reverse_iteratorISI_EEEEENSH_IJSG_SG_SG_EEES9_SI_JZNS1_25segmented_radix_sort_implINS0_14default_configELb0EPKhPhPKlPlN2at6native12_GLOBAL__N_18offset_tEEE10hipError_tPvRmT1_PNSt15iterator_traitsIS12_E10value_typeET2_T3_PNS13_IS18_E10value_typeET4_jRbjT5_S1E_jjP12ihipStream_tbEUljE_ZNSN_ISO_Lb0ESQ_SR_ST_SU_SY_EESZ_S10_S11_S12_S16_S17_S18_S1B_S1C_jS1D_jS1E_S1E_jjS1G_bEUljE0_EEESZ_S10_S11_S18_S1C_S1E_T6_T7_T9_mT8_S1G_bDpT10_ENKUlT_T0_E_clISt17integral_constantIbLb1EES1T_IbLb0EEEEDaS1P_S1Q_EUlS1P_E_NS1_11comp_targetILNS1_3genE2ELNS1_11target_archE906ELNS1_3gpuE6ELNS1_3repE0EEENS1_30default_config_static_selectorELNS0_4arch9wavefront6targetE0EEEvS12_,@function
_ZN7rocprim17ROCPRIM_400000_NS6detail17trampoline_kernelINS0_13select_configILj256ELj13ELNS0_17block_load_methodE3ELS4_3ELS4_3ELNS0_20block_scan_algorithmE0ELj4294967295EEENS1_25partition_config_selectorILNS1_17partition_subalgoE4EjNS0_10empty_typeEbEEZZNS1_14partition_implILS8_4ELb0ES6_15HIP_vector_typeIjLj2EENS0_17counting_iteratorIjlEEPS9_SG_NS0_5tupleIJPjSI_NS0_16reverse_iteratorISI_EEEEENSH_IJSG_SG_SG_EEES9_SI_JZNS1_25segmented_radix_sort_implINS0_14default_configELb0EPKhPhPKlPlN2at6native12_GLOBAL__N_18offset_tEEE10hipError_tPvRmT1_PNSt15iterator_traitsIS12_E10value_typeET2_T3_PNS13_IS18_E10value_typeET4_jRbjT5_S1E_jjP12ihipStream_tbEUljE_ZNSN_ISO_Lb0ESQ_SR_ST_SU_SY_EESZ_S10_S11_S12_S16_S17_S18_S1B_S1C_jS1D_jS1E_S1E_jjS1G_bEUljE0_EEESZ_S10_S11_S18_S1C_S1E_T6_T7_T9_mT8_S1G_bDpT10_ENKUlT_T0_E_clISt17integral_constantIbLb1EES1T_IbLb0EEEEDaS1P_S1Q_EUlS1P_E_NS1_11comp_targetILNS1_3genE2ELNS1_11target_archE906ELNS1_3gpuE6ELNS1_3repE0EEENS1_30default_config_static_selectorELNS0_4arch9wavefront6targetE0EEEvS12_: ; @_ZN7rocprim17ROCPRIM_400000_NS6detail17trampoline_kernelINS0_13select_configILj256ELj13ELNS0_17block_load_methodE3ELS4_3ELS4_3ELNS0_20block_scan_algorithmE0ELj4294967295EEENS1_25partition_config_selectorILNS1_17partition_subalgoE4EjNS0_10empty_typeEbEEZZNS1_14partition_implILS8_4ELb0ES6_15HIP_vector_typeIjLj2EENS0_17counting_iteratorIjlEEPS9_SG_NS0_5tupleIJPjSI_NS0_16reverse_iteratorISI_EEEEENSH_IJSG_SG_SG_EEES9_SI_JZNS1_25segmented_radix_sort_implINS0_14default_configELb0EPKhPhPKlPlN2at6native12_GLOBAL__N_18offset_tEEE10hipError_tPvRmT1_PNSt15iterator_traitsIS12_E10value_typeET2_T3_PNS13_IS18_E10value_typeET4_jRbjT5_S1E_jjP12ihipStream_tbEUljE_ZNSN_ISO_Lb0ESQ_SR_ST_SU_SY_EESZ_S10_S11_S12_S16_S17_S18_S1B_S1C_jS1D_jS1E_S1E_jjS1G_bEUljE0_EEESZ_S10_S11_S18_S1C_S1E_T6_T7_T9_mT8_S1G_bDpT10_ENKUlT_T0_E_clISt17integral_constantIbLb1EES1T_IbLb0EEEEDaS1P_S1Q_EUlS1P_E_NS1_11comp_targetILNS1_3genE2ELNS1_11target_archE906ELNS1_3gpuE6ELNS1_3repE0EEENS1_30default_config_static_selectorELNS0_4arch9wavefront6targetE0EEEvS12_
; %bb.0:
	.section	.rodata,"a",@progbits
	.p2align	6, 0x0
	.amdhsa_kernel _ZN7rocprim17ROCPRIM_400000_NS6detail17trampoline_kernelINS0_13select_configILj256ELj13ELNS0_17block_load_methodE3ELS4_3ELS4_3ELNS0_20block_scan_algorithmE0ELj4294967295EEENS1_25partition_config_selectorILNS1_17partition_subalgoE4EjNS0_10empty_typeEbEEZZNS1_14partition_implILS8_4ELb0ES6_15HIP_vector_typeIjLj2EENS0_17counting_iteratorIjlEEPS9_SG_NS0_5tupleIJPjSI_NS0_16reverse_iteratorISI_EEEEENSH_IJSG_SG_SG_EEES9_SI_JZNS1_25segmented_radix_sort_implINS0_14default_configELb0EPKhPhPKlPlN2at6native12_GLOBAL__N_18offset_tEEE10hipError_tPvRmT1_PNSt15iterator_traitsIS12_E10value_typeET2_T3_PNS13_IS18_E10value_typeET4_jRbjT5_S1E_jjP12ihipStream_tbEUljE_ZNSN_ISO_Lb0ESQ_SR_ST_SU_SY_EESZ_S10_S11_S12_S16_S17_S18_S1B_S1C_jS1D_jS1E_S1E_jjS1G_bEUljE0_EEESZ_S10_S11_S18_S1C_S1E_T6_T7_T9_mT8_S1G_bDpT10_ENKUlT_T0_E_clISt17integral_constantIbLb1EES1T_IbLb0EEEEDaS1P_S1Q_EUlS1P_E_NS1_11comp_targetILNS1_3genE2ELNS1_11target_archE906ELNS1_3gpuE6ELNS1_3repE0EEENS1_30default_config_static_selectorELNS0_4arch9wavefront6targetE0EEEvS12_
		.amdhsa_group_segment_fixed_size 0
		.amdhsa_private_segment_fixed_size 0
		.amdhsa_kernarg_size 176
		.amdhsa_user_sgpr_count 15
		.amdhsa_user_sgpr_dispatch_ptr 0
		.amdhsa_user_sgpr_queue_ptr 0
		.amdhsa_user_sgpr_kernarg_segment_ptr 1
		.amdhsa_user_sgpr_dispatch_id 0
		.amdhsa_user_sgpr_private_segment_size 0
		.amdhsa_wavefront_size32 1
		.amdhsa_uses_dynamic_stack 0
		.amdhsa_enable_private_segment 0
		.amdhsa_system_sgpr_workgroup_id_x 1
		.amdhsa_system_sgpr_workgroup_id_y 0
		.amdhsa_system_sgpr_workgroup_id_z 0
		.amdhsa_system_sgpr_workgroup_info 0
		.amdhsa_system_vgpr_workitem_id 0
		.amdhsa_next_free_vgpr 1
		.amdhsa_next_free_sgpr 1
		.amdhsa_reserve_vcc 0
		.amdhsa_float_round_mode_32 0
		.amdhsa_float_round_mode_16_64 0
		.amdhsa_float_denorm_mode_32 3
		.amdhsa_float_denorm_mode_16_64 3
		.amdhsa_dx10_clamp 1
		.amdhsa_ieee_mode 1
		.amdhsa_fp16_overflow 0
		.amdhsa_workgroup_processor_mode 1
		.amdhsa_memory_ordered 1
		.amdhsa_forward_progress 0
		.amdhsa_shared_vgpr_count 0
		.amdhsa_exception_fp_ieee_invalid_op 0
		.amdhsa_exception_fp_denorm_src 0
		.amdhsa_exception_fp_ieee_div_zero 0
		.amdhsa_exception_fp_ieee_overflow 0
		.amdhsa_exception_fp_ieee_underflow 0
		.amdhsa_exception_fp_ieee_inexact 0
		.amdhsa_exception_int_div_zero 0
	.end_amdhsa_kernel
	.section	.text._ZN7rocprim17ROCPRIM_400000_NS6detail17trampoline_kernelINS0_13select_configILj256ELj13ELNS0_17block_load_methodE3ELS4_3ELS4_3ELNS0_20block_scan_algorithmE0ELj4294967295EEENS1_25partition_config_selectorILNS1_17partition_subalgoE4EjNS0_10empty_typeEbEEZZNS1_14partition_implILS8_4ELb0ES6_15HIP_vector_typeIjLj2EENS0_17counting_iteratorIjlEEPS9_SG_NS0_5tupleIJPjSI_NS0_16reverse_iteratorISI_EEEEENSH_IJSG_SG_SG_EEES9_SI_JZNS1_25segmented_radix_sort_implINS0_14default_configELb0EPKhPhPKlPlN2at6native12_GLOBAL__N_18offset_tEEE10hipError_tPvRmT1_PNSt15iterator_traitsIS12_E10value_typeET2_T3_PNS13_IS18_E10value_typeET4_jRbjT5_S1E_jjP12ihipStream_tbEUljE_ZNSN_ISO_Lb0ESQ_SR_ST_SU_SY_EESZ_S10_S11_S12_S16_S17_S18_S1B_S1C_jS1D_jS1E_S1E_jjS1G_bEUljE0_EEESZ_S10_S11_S18_S1C_S1E_T6_T7_T9_mT8_S1G_bDpT10_ENKUlT_T0_E_clISt17integral_constantIbLb1EES1T_IbLb0EEEEDaS1P_S1Q_EUlS1P_E_NS1_11comp_targetILNS1_3genE2ELNS1_11target_archE906ELNS1_3gpuE6ELNS1_3repE0EEENS1_30default_config_static_selectorELNS0_4arch9wavefront6targetE0EEEvS12_,"axG",@progbits,_ZN7rocprim17ROCPRIM_400000_NS6detail17trampoline_kernelINS0_13select_configILj256ELj13ELNS0_17block_load_methodE3ELS4_3ELS4_3ELNS0_20block_scan_algorithmE0ELj4294967295EEENS1_25partition_config_selectorILNS1_17partition_subalgoE4EjNS0_10empty_typeEbEEZZNS1_14partition_implILS8_4ELb0ES6_15HIP_vector_typeIjLj2EENS0_17counting_iteratorIjlEEPS9_SG_NS0_5tupleIJPjSI_NS0_16reverse_iteratorISI_EEEEENSH_IJSG_SG_SG_EEES9_SI_JZNS1_25segmented_radix_sort_implINS0_14default_configELb0EPKhPhPKlPlN2at6native12_GLOBAL__N_18offset_tEEE10hipError_tPvRmT1_PNSt15iterator_traitsIS12_E10value_typeET2_T3_PNS13_IS18_E10value_typeET4_jRbjT5_S1E_jjP12ihipStream_tbEUljE_ZNSN_ISO_Lb0ESQ_SR_ST_SU_SY_EESZ_S10_S11_S12_S16_S17_S18_S1B_S1C_jS1D_jS1E_S1E_jjS1G_bEUljE0_EEESZ_S10_S11_S18_S1C_S1E_T6_T7_T9_mT8_S1G_bDpT10_ENKUlT_T0_E_clISt17integral_constantIbLb1EES1T_IbLb0EEEEDaS1P_S1Q_EUlS1P_E_NS1_11comp_targetILNS1_3genE2ELNS1_11target_archE906ELNS1_3gpuE6ELNS1_3repE0EEENS1_30default_config_static_selectorELNS0_4arch9wavefront6targetE0EEEvS12_,comdat
.Lfunc_end142:
	.size	_ZN7rocprim17ROCPRIM_400000_NS6detail17trampoline_kernelINS0_13select_configILj256ELj13ELNS0_17block_load_methodE3ELS4_3ELS4_3ELNS0_20block_scan_algorithmE0ELj4294967295EEENS1_25partition_config_selectorILNS1_17partition_subalgoE4EjNS0_10empty_typeEbEEZZNS1_14partition_implILS8_4ELb0ES6_15HIP_vector_typeIjLj2EENS0_17counting_iteratorIjlEEPS9_SG_NS0_5tupleIJPjSI_NS0_16reverse_iteratorISI_EEEEENSH_IJSG_SG_SG_EEES9_SI_JZNS1_25segmented_radix_sort_implINS0_14default_configELb0EPKhPhPKlPlN2at6native12_GLOBAL__N_18offset_tEEE10hipError_tPvRmT1_PNSt15iterator_traitsIS12_E10value_typeET2_T3_PNS13_IS18_E10value_typeET4_jRbjT5_S1E_jjP12ihipStream_tbEUljE_ZNSN_ISO_Lb0ESQ_SR_ST_SU_SY_EESZ_S10_S11_S12_S16_S17_S18_S1B_S1C_jS1D_jS1E_S1E_jjS1G_bEUljE0_EEESZ_S10_S11_S18_S1C_S1E_T6_T7_T9_mT8_S1G_bDpT10_ENKUlT_T0_E_clISt17integral_constantIbLb1EES1T_IbLb0EEEEDaS1P_S1Q_EUlS1P_E_NS1_11comp_targetILNS1_3genE2ELNS1_11target_archE906ELNS1_3gpuE6ELNS1_3repE0EEENS1_30default_config_static_selectorELNS0_4arch9wavefront6targetE0EEEvS12_, .Lfunc_end142-_ZN7rocprim17ROCPRIM_400000_NS6detail17trampoline_kernelINS0_13select_configILj256ELj13ELNS0_17block_load_methodE3ELS4_3ELS4_3ELNS0_20block_scan_algorithmE0ELj4294967295EEENS1_25partition_config_selectorILNS1_17partition_subalgoE4EjNS0_10empty_typeEbEEZZNS1_14partition_implILS8_4ELb0ES6_15HIP_vector_typeIjLj2EENS0_17counting_iteratorIjlEEPS9_SG_NS0_5tupleIJPjSI_NS0_16reverse_iteratorISI_EEEEENSH_IJSG_SG_SG_EEES9_SI_JZNS1_25segmented_radix_sort_implINS0_14default_configELb0EPKhPhPKlPlN2at6native12_GLOBAL__N_18offset_tEEE10hipError_tPvRmT1_PNSt15iterator_traitsIS12_E10value_typeET2_T3_PNS13_IS18_E10value_typeET4_jRbjT5_S1E_jjP12ihipStream_tbEUljE_ZNSN_ISO_Lb0ESQ_SR_ST_SU_SY_EESZ_S10_S11_S12_S16_S17_S18_S1B_S1C_jS1D_jS1E_S1E_jjS1G_bEUljE0_EEESZ_S10_S11_S18_S1C_S1E_T6_T7_T9_mT8_S1G_bDpT10_ENKUlT_T0_E_clISt17integral_constantIbLb1EES1T_IbLb0EEEEDaS1P_S1Q_EUlS1P_E_NS1_11comp_targetILNS1_3genE2ELNS1_11target_archE906ELNS1_3gpuE6ELNS1_3repE0EEENS1_30default_config_static_selectorELNS0_4arch9wavefront6targetE0EEEvS12_
                                        ; -- End function
	.section	.AMDGPU.csdata,"",@progbits
; Kernel info:
; codeLenInByte = 0
; NumSgprs: 0
; NumVgprs: 0
; ScratchSize: 0
; MemoryBound: 0
; FloatMode: 240
; IeeeMode: 1
; LDSByteSize: 0 bytes/workgroup (compile time only)
; SGPRBlocks: 0
; VGPRBlocks: 0
; NumSGPRsForWavesPerEU: 1
; NumVGPRsForWavesPerEU: 1
; Occupancy: 16
; WaveLimiterHint : 0
; COMPUTE_PGM_RSRC2:SCRATCH_EN: 0
; COMPUTE_PGM_RSRC2:USER_SGPR: 15
; COMPUTE_PGM_RSRC2:TRAP_HANDLER: 0
; COMPUTE_PGM_RSRC2:TGID_X_EN: 1
; COMPUTE_PGM_RSRC2:TGID_Y_EN: 0
; COMPUTE_PGM_RSRC2:TGID_Z_EN: 0
; COMPUTE_PGM_RSRC2:TIDIG_COMP_CNT: 0
	.section	.text._ZN7rocprim17ROCPRIM_400000_NS6detail17trampoline_kernelINS0_13select_configILj256ELj13ELNS0_17block_load_methodE3ELS4_3ELS4_3ELNS0_20block_scan_algorithmE0ELj4294967295EEENS1_25partition_config_selectorILNS1_17partition_subalgoE4EjNS0_10empty_typeEbEEZZNS1_14partition_implILS8_4ELb0ES6_15HIP_vector_typeIjLj2EENS0_17counting_iteratorIjlEEPS9_SG_NS0_5tupleIJPjSI_NS0_16reverse_iteratorISI_EEEEENSH_IJSG_SG_SG_EEES9_SI_JZNS1_25segmented_radix_sort_implINS0_14default_configELb0EPKhPhPKlPlN2at6native12_GLOBAL__N_18offset_tEEE10hipError_tPvRmT1_PNSt15iterator_traitsIS12_E10value_typeET2_T3_PNS13_IS18_E10value_typeET4_jRbjT5_S1E_jjP12ihipStream_tbEUljE_ZNSN_ISO_Lb0ESQ_SR_ST_SU_SY_EESZ_S10_S11_S12_S16_S17_S18_S1B_S1C_jS1D_jS1E_S1E_jjS1G_bEUljE0_EEESZ_S10_S11_S18_S1C_S1E_T6_T7_T9_mT8_S1G_bDpT10_ENKUlT_T0_E_clISt17integral_constantIbLb1EES1T_IbLb0EEEEDaS1P_S1Q_EUlS1P_E_NS1_11comp_targetILNS1_3genE10ELNS1_11target_archE1200ELNS1_3gpuE4ELNS1_3repE0EEENS1_30default_config_static_selectorELNS0_4arch9wavefront6targetE0EEEvS12_,"axG",@progbits,_ZN7rocprim17ROCPRIM_400000_NS6detail17trampoline_kernelINS0_13select_configILj256ELj13ELNS0_17block_load_methodE3ELS4_3ELS4_3ELNS0_20block_scan_algorithmE0ELj4294967295EEENS1_25partition_config_selectorILNS1_17partition_subalgoE4EjNS0_10empty_typeEbEEZZNS1_14partition_implILS8_4ELb0ES6_15HIP_vector_typeIjLj2EENS0_17counting_iteratorIjlEEPS9_SG_NS0_5tupleIJPjSI_NS0_16reverse_iteratorISI_EEEEENSH_IJSG_SG_SG_EEES9_SI_JZNS1_25segmented_radix_sort_implINS0_14default_configELb0EPKhPhPKlPlN2at6native12_GLOBAL__N_18offset_tEEE10hipError_tPvRmT1_PNSt15iterator_traitsIS12_E10value_typeET2_T3_PNS13_IS18_E10value_typeET4_jRbjT5_S1E_jjP12ihipStream_tbEUljE_ZNSN_ISO_Lb0ESQ_SR_ST_SU_SY_EESZ_S10_S11_S12_S16_S17_S18_S1B_S1C_jS1D_jS1E_S1E_jjS1G_bEUljE0_EEESZ_S10_S11_S18_S1C_S1E_T6_T7_T9_mT8_S1G_bDpT10_ENKUlT_T0_E_clISt17integral_constantIbLb1EES1T_IbLb0EEEEDaS1P_S1Q_EUlS1P_E_NS1_11comp_targetILNS1_3genE10ELNS1_11target_archE1200ELNS1_3gpuE4ELNS1_3repE0EEENS1_30default_config_static_selectorELNS0_4arch9wavefront6targetE0EEEvS12_,comdat
	.globl	_ZN7rocprim17ROCPRIM_400000_NS6detail17trampoline_kernelINS0_13select_configILj256ELj13ELNS0_17block_load_methodE3ELS4_3ELS4_3ELNS0_20block_scan_algorithmE0ELj4294967295EEENS1_25partition_config_selectorILNS1_17partition_subalgoE4EjNS0_10empty_typeEbEEZZNS1_14partition_implILS8_4ELb0ES6_15HIP_vector_typeIjLj2EENS0_17counting_iteratorIjlEEPS9_SG_NS0_5tupleIJPjSI_NS0_16reverse_iteratorISI_EEEEENSH_IJSG_SG_SG_EEES9_SI_JZNS1_25segmented_radix_sort_implINS0_14default_configELb0EPKhPhPKlPlN2at6native12_GLOBAL__N_18offset_tEEE10hipError_tPvRmT1_PNSt15iterator_traitsIS12_E10value_typeET2_T3_PNS13_IS18_E10value_typeET4_jRbjT5_S1E_jjP12ihipStream_tbEUljE_ZNSN_ISO_Lb0ESQ_SR_ST_SU_SY_EESZ_S10_S11_S12_S16_S17_S18_S1B_S1C_jS1D_jS1E_S1E_jjS1G_bEUljE0_EEESZ_S10_S11_S18_S1C_S1E_T6_T7_T9_mT8_S1G_bDpT10_ENKUlT_T0_E_clISt17integral_constantIbLb1EES1T_IbLb0EEEEDaS1P_S1Q_EUlS1P_E_NS1_11comp_targetILNS1_3genE10ELNS1_11target_archE1200ELNS1_3gpuE4ELNS1_3repE0EEENS1_30default_config_static_selectorELNS0_4arch9wavefront6targetE0EEEvS12_ ; -- Begin function _ZN7rocprim17ROCPRIM_400000_NS6detail17trampoline_kernelINS0_13select_configILj256ELj13ELNS0_17block_load_methodE3ELS4_3ELS4_3ELNS0_20block_scan_algorithmE0ELj4294967295EEENS1_25partition_config_selectorILNS1_17partition_subalgoE4EjNS0_10empty_typeEbEEZZNS1_14partition_implILS8_4ELb0ES6_15HIP_vector_typeIjLj2EENS0_17counting_iteratorIjlEEPS9_SG_NS0_5tupleIJPjSI_NS0_16reverse_iteratorISI_EEEEENSH_IJSG_SG_SG_EEES9_SI_JZNS1_25segmented_radix_sort_implINS0_14default_configELb0EPKhPhPKlPlN2at6native12_GLOBAL__N_18offset_tEEE10hipError_tPvRmT1_PNSt15iterator_traitsIS12_E10value_typeET2_T3_PNS13_IS18_E10value_typeET4_jRbjT5_S1E_jjP12ihipStream_tbEUljE_ZNSN_ISO_Lb0ESQ_SR_ST_SU_SY_EESZ_S10_S11_S12_S16_S17_S18_S1B_S1C_jS1D_jS1E_S1E_jjS1G_bEUljE0_EEESZ_S10_S11_S18_S1C_S1E_T6_T7_T9_mT8_S1G_bDpT10_ENKUlT_T0_E_clISt17integral_constantIbLb1EES1T_IbLb0EEEEDaS1P_S1Q_EUlS1P_E_NS1_11comp_targetILNS1_3genE10ELNS1_11target_archE1200ELNS1_3gpuE4ELNS1_3repE0EEENS1_30default_config_static_selectorELNS0_4arch9wavefront6targetE0EEEvS12_
	.p2align	8
	.type	_ZN7rocprim17ROCPRIM_400000_NS6detail17trampoline_kernelINS0_13select_configILj256ELj13ELNS0_17block_load_methodE3ELS4_3ELS4_3ELNS0_20block_scan_algorithmE0ELj4294967295EEENS1_25partition_config_selectorILNS1_17partition_subalgoE4EjNS0_10empty_typeEbEEZZNS1_14partition_implILS8_4ELb0ES6_15HIP_vector_typeIjLj2EENS0_17counting_iteratorIjlEEPS9_SG_NS0_5tupleIJPjSI_NS0_16reverse_iteratorISI_EEEEENSH_IJSG_SG_SG_EEES9_SI_JZNS1_25segmented_radix_sort_implINS0_14default_configELb0EPKhPhPKlPlN2at6native12_GLOBAL__N_18offset_tEEE10hipError_tPvRmT1_PNSt15iterator_traitsIS12_E10value_typeET2_T3_PNS13_IS18_E10value_typeET4_jRbjT5_S1E_jjP12ihipStream_tbEUljE_ZNSN_ISO_Lb0ESQ_SR_ST_SU_SY_EESZ_S10_S11_S12_S16_S17_S18_S1B_S1C_jS1D_jS1E_S1E_jjS1G_bEUljE0_EEESZ_S10_S11_S18_S1C_S1E_T6_T7_T9_mT8_S1G_bDpT10_ENKUlT_T0_E_clISt17integral_constantIbLb1EES1T_IbLb0EEEEDaS1P_S1Q_EUlS1P_E_NS1_11comp_targetILNS1_3genE10ELNS1_11target_archE1200ELNS1_3gpuE4ELNS1_3repE0EEENS1_30default_config_static_selectorELNS0_4arch9wavefront6targetE0EEEvS12_,@function
_ZN7rocprim17ROCPRIM_400000_NS6detail17trampoline_kernelINS0_13select_configILj256ELj13ELNS0_17block_load_methodE3ELS4_3ELS4_3ELNS0_20block_scan_algorithmE0ELj4294967295EEENS1_25partition_config_selectorILNS1_17partition_subalgoE4EjNS0_10empty_typeEbEEZZNS1_14partition_implILS8_4ELb0ES6_15HIP_vector_typeIjLj2EENS0_17counting_iteratorIjlEEPS9_SG_NS0_5tupleIJPjSI_NS0_16reverse_iteratorISI_EEEEENSH_IJSG_SG_SG_EEES9_SI_JZNS1_25segmented_radix_sort_implINS0_14default_configELb0EPKhPhPKlPlN2at6native12_GLOBAL__N_18offset_tEEE10hipError_tPvRmT1_PNSt15iterator_traitsIS12_E10value_typeET2_T3_PNS13_IS18_E10value_typeET4_jRbjT5_S1E_jjP12ihipStream_tbEUljE_ZNSN_ISO_Lb0ESQ_SR_ST_SU_SY_EESZ_S10_S11_S12_S16_S17_S18_S1B_S1C_jS1D_jS1E_S1E_jjS1G_bEUljE0_EEESZ_S10_S11_S18_S1C_S1E_T6_T7_T9_mT8_S1G_bDpT10_ENKUlT_T0_E_clISt17integral_constantIbLb1EES1T_IbLb0EEEEDaS1P_S1Q_EUlS1P_E_NS1_11comp_targetILNS1_3genE10ELNS1_11target_archE1200ELNS1_3gpuE4ELNS1_3repE0EEENS1_30default_config_static_selectorELNS0_4arch9wavefront6targetE0EEEvS12_: ; @_ZN7rocprim17ROCPRIM_400000_NS6detail17trampoline_kernelINS0_13select_configILj256ELj13ELNS0_17block_load_methodE3ELS4_3ELS4_3ELNS0_20block_scan_algorithmE0ELj4294967295EEENS1_25partition_config_selectorILNS1_17partition_subalgoE4EjNS0_10empty_typeEbEEZZNS1_14partition_implILS8_4ELb0ES6_15HIP_vector_typeIjLj2EENS0_17counting_iteratorIjlEEPS9_SG_NS0_5tupleIJPjSI_NS0_16reverse_iteratorISI_EEEEENSH_IJSG_SG_SG_EEES9_SI_JZNS1_25segmented_radix_sort_implINS0_14default_configELb0EPKhPhPKlPlN2at6native12_GLOBAL__N_18offset_tEEE10hipError_tPvRmT1_PNSt15iterator_traitsIS12_E10value_typeET2_T3_PNS13_IS18_E10value_typeET4_jRbjT5_S1E_jjP12ihipStream_tbEUljE_ZNSN_ISO_Lb0ESQ_SR_ST_SU_SY_EESZ_S10_S11_S12_S16_S17_S18_S1B_S1C_jS1D_jS1E_S1E_jjS1G_bEUljE0_EEESZ_S10_S11_S18_S1C_S1E_T6_T7_T9_mT8_S1G_bDpT10_ENKUlT_T0_E_clISt17integral_constantIbLb1EES1T_IbLb0EEEEDaS1P_S1Q_EUlS1P_E_NS1_11comp_targetILNS1_3genE10ELNS1_11target_archE1200ELNS1_3gpuE4ELNS1_3repE0EEENS1_30default_config_static_selectorELNS0_4arch9wavefront6targetE0EEEvS12_
; %bb.0:
	.section	.rodata,"a",@progbits
	.p2align	6, 0x0
	.amdhsa_kernel _ZN7rocprim17ROCPRIM_400000_NS6detail17trampoline_kernelINS0_13select_configILj256ELj13ELNS0_17block_load_methodE3ELS4_3ELS4_3ELNS0_20block_scan_algorithmE0ELj4294967295EEENS1_25partition_config_selectorILNS1_17partition_subalgoE4EjNS0_10empty_typeEbEEZZNS1_14partition_implILS8_4ELb0ES6_15HIP_vector_typeIjLj2EENS0_17counting_iteratorIjlEEPS9_SG_NS0_5tupleIJPjSI_NS0_16reverse_iteratorISI_EEEEENSH_IJSG_SG_SG_EEES9_SI_JZNS1_25segmented_radix_sort_implINS0_14default_configELb0EPKhPhPKlPlN2at6native12_GLOBAL__N_18offset_tEEE10hipError_tPvRmT1_PNSt15iterator_traitsIS12_E10value_typeET2_T3_PNS13_IS18_E10value_typeET4_jRbjT5_S1E_jjP12ihipStream_tbEUljE_ZNSN_ISO_Lb0ESQ_SR_ST_SU_SY_EESZ_S10_S11_S12_S16_S17_S18_S1B_S1C_jS1D_jS1E_S1E_jjS1G_bEUljE0_EEESZ_S10_S11_S18_S1C_S1E_T6_T7_T9_mT8_S1G_bDpT10_ENKUlT_T0_E_clISt17integral_constantIbLb1EES1T_IbLb0EEEEDaS1P_S1Q_EUlS1P_E_NS1_11comp_targetILNS1_3genE10ELNS1_11target_archE1200ELNS1_3gpuE4ELNS1_3repE0EEENS1_30default_config_static_selectorELNS0_4arch9wavefront6targetE0EEEvS12_
		.amdhsa_group_segment_fixed_size 0
		.amdhsa_private_segment_fixed_size 0
		.amdhsa_kernarg_size 176
		.amdhsa_user_sgpr_count 15
		.amdhsa_user_sgpr_dispatch_ptr 0
		.amdhsa_user_sgpr_queue_ptr 0
		.amdhsa_user_sgpr_kernarg_segment_ptr 1
		.amdhsa_user_sgpr_dispatch_id 0
		.amdhsa_user_sgpr_private_segment_size 0
		.amdhsa_wavefront_size32 1
		.amdhsa_uses_dynamic_stack 0
		.amdhsa_enable_private_segment 0
		.amdhsa_system_sgpr_workgroup_id_x 1
		.amdhsa_system_sgpr_workgroup_id_y 0
		.amdhsa_system_sgpr_workgroup_id_z 0
		.amdhsa_system_sgpr_workgroup_info 0
		.amdhsa_system_vgpr_workitem_id 0
		.amdhsa_next_free_vgpr 1
		.amdhsa_next_free_sgpr 1
		.amdhsa_reserve_vcc 0
		.amdhsa_float_round_mode_32 0
		.amdhsa_float_round_mode_16_64 0
		.amdhsa_float_denorm_mode_32 3
		.amdhsa_float_denorm_mode_16_64 3
		.amdhsa_dx10_clamp 1
		.amdhsa_ieee_mode 1
		.amdhsa_fp16_overflow 0
		.amdhsa_workgroup_processor_mode 1
		.amdhsa_memory_ordered 1
		.amdhsa_forward_progress 0
		.amdhsa_shared_vgpr_count 0
		.amdhsa_exception_fp_ieee_invalid_op 0
		.amdhsa_exception_fp_denorm_src 0
		.amdhsa_exception_fp_ieee_div_zero 0
		.amdhsa_exception_fp_ieee_overflow 0
		.amdhsa_exception_fp_ieee_underflow 0
		.amdhsa_exception_fp_ieee_inexact 0
		.amdhsa_exception_int_div_zero 0
	.end_amdhsa_kernel
	.section	.text._ZN7rocprim17ROCPRIM_400000_NS6detail17trampoline_kernelINS0_13select_configILj256ELj13ELNS0_17block_load_methodE3ELS4_3ELS4_3ELNS0_20block_scan_algorithmE0ELj4294967295EEENS1_25partition_config_selectorILNS1_17partition_subalgoE4EjNS0_10empty_typeEbEEZZNS1_14partition_implILS8_4ELb0ES6_15HIP_vector_typeIjLj2EENS0_17counting_iteratorIjlEEPS9_SG_NS0_5tupleIJPjSI_NS0_16reverse_iteratorISI_EEEEENSH_IJSG_SG_SG_EEES9_SI_JZNS1_25segmented_radix_sort_implINS0_14default_configELb0EPKhPhPKlPlN2at6native12_GLOBAL__N_18offset_tEEE10hipError_tPvRmT1_PNSt15iterator_traitsIS12_E10value_typeET2_T3_PNS13_IS18_E10value_typeET4_jRbjT5_S1E_jjP12ihipStream_tbEUljE_ZNSN_ISO_Lb0ESQ_SR_ST_SU_SY_EESZ_S10_S11_S12_S16_S17_S18_S1B_S1C_jS1D_jS1E_S1E_jjS1G_bEUljE0_EEESZ_S10_S11_S18_S1C_S1E_T6_T7_T9_mT8_S1G_bDpT10_ENKUlT_T0_E_clISt17integral_constantIbLb1EES1T_IbLb0EEEEDaS1P_S1Q_EUlS1P_E_NS1_11comp_targetILNS1_3genE10ELNS1_11target_archE1200ELNS1_3gpuE4ELNS1_3repE0EEENS1_30default_config_static_selectorELNS0_4arch9wavefront6targetE0EEEvS12_,"axG",@progbits,_ZN7rocprim17ROCPRIM_400000_NS6detail17trampoline_kernelINS0_13select_configILj256ELj13ELNS0_17block_load_methodE3ELS4_3ELS4_3ELNS0_20block_scan_algorithmE0ELj4294967295EEENS1_25partition_config_selectorILNS1_17partition_subalgoE4EjNS0_10empty_typeEbEEZZNS1_14partition_implILS8_4ELb0ES6_15HIP_vector_typeIjLj2EENS0_17counting_iteratorIjlEEPS9_SG_NS0_5tupleIJPjSI_NS0_16reverse_iteratorISI_EEEEENSH_IJSG_SG_SG_EEES9_SI_JZNS1_25segmented_radix_sort_implINS0_14default_configELb0EPKhPhPKlPlN2at6native12_GLOBAL__N_18offset_tEEE10hipError_tPvRmT1_PNSt15iterator_traitsIS12_E10value_typeET2_T3_PNS13_IS18_E10value_typeET4_jRbjT5_S1E_jjP12ihipStream_tbEUljE_ZNSN_ISO_Lb0ESQ_SR_ST_SU_SY_EESZ_S10_S11_S12_S16_S17_S18_S1B_S1C_jS1D_jS1E_S1E_jjS1G_bEUljE0_EEESZ_S10_S11_S18_S1C_S1E_T6_T7_T9_mT8_S1G_bDpT10_ENKUlT_T0_E_clISt17integral_constantIbLb1EES1T_IbLb0EEEEDaS1P_S1Q_EUlS1P_E_NS1_11comp_targetILNS1_3genE10ELNS1_11target_archE1200ELNS1_3gpuE4ELNS1_3repE0EEENS1_30default_config_static_selectorELNS0_4arch9wavefront6targetE0EEEvS12_,comdat
.Lfunc_end143:
	.size	_ZN7rocprim17ROCPRIM_400000_NS6detail17trampoline_kernelINS0_13select_configILj256ELj13ELNS0_17block_load_methodE3ELS4_3ELS4_3ELNS0_20block_scan_algorithmE0ELj4294967295EEENS1_25partition_config_selectorILNS1_17partition_subalgoE4EjNS0_10empty_typeEbEEZZNS1_14partition_implILS8_4ELb0ES6_15HIP_vector_typeIjLj2EENS0_17counting_iteratorIjlEEPS9_SG_NS0_5tupleIJPjSI_NS0_16reverse_iteratorISI_EEEEENSH_IJSG_SG_SG_EEES9_SI_JZNS1_25segmented_radix_sort_implINS0_14default_configELb0EPKhPhPKlPlN2at6native12_GLOBAL__N_18offset_tEEE10hipError_tPvRmT1_PNSt15iterator_traitsIS12_E10value_typeET2_T3_PNS13_IS18_E10value_typeET4_jRbjT5_S1E_jjP12ihipStream_tbEUljE_ZNSN_ISO_Lb0ESQ_SR_ST_SU_SY_EESZ_S10_S11_S12_S16_S17_S18_S1B_S1C_jS1D_jS1E_S1E_jjS1G_bEUljE0_EEESZ_S10_S11_S18_S1C_S1E_T6_T7_T9_mT8_S1G_bDpT10_ENKUlT_T0_E_clISt17integral_constantIbLb1EES1T_IbLb0EEEEDaS1P_S1Q_EUlS1P_E_NS1_11comp_targetILNS1_3genE10ELNS1_11target_archE1200ELNS1_3gpuE4ELNS1_3repE0EEENS1_30default_config_static_selectorELNS0_4arch9wavefront6targetE0EEEvS12_, .Lfunc_end143-_ZN7rocprim17ROCPRIM_400000_NS6detail17trampoline_kernelINS0_13select_configILj256ELj13ELNS0_17block_load_methodE3ELS4_3ELS4_3ELNS0_20block_scan_algorithmE0ELj4294967295EEENS1_25partition_config_selectorILNS1_17partition_subalgoE4EjNS0_10empty_typeEbEEZZNS1_14partition_implILS8_4ELb0ES6_15HIP_vector_typeIjLj2EENS0_17counting_iteratorIjlEEPS9_SG_NS0_5tupleIJPjSI_NS0_16reverse_iteratorISI_EEEEENSH_IJSG_SG_SG_EEES9_SI_JZNS1_25segmented_radix_sort_implINS0_14default_configELb0EPKhPhPKlPlN2at6native12_GLOBAL__N_18offset_tEEE10hipError_tPvRmT1_PNSt15iterator_traitsIS12_E10value_typeET2_T3_PNS13_IS18_E10value_typeET4_jRbjT5_S1E_jjP12ihipStream_tbEUljE_ZNSN_ISO_Lb0ESQ_SR_ST_SU_SY_EESZ_S10_S11_S12_S16_S17_S18_S1B_S1C_jS1D_jS1E_S1E_jjS1G_bEUljE0_EEESZ_S10_S11_S18_S1C_S1E_T6_T7_T9_mT8_S1G_bDpT10_ENKUlT_T0_E_clISt17integral_constantIbLb1EES1T_IbLb0EEEEDaS1P_S1Q_EUlS1P_E_NS1_11comp_targetILNS1_3genE10ELNS1_11target_archE1200ELNS1_3gpuE4ELNS1_3repE0EEENS1_30default_config_static_selectorELNS0_4arch9wavefront6targetE0EEEvS12_
                                        ; -- End function
	.section	.AMDGPU.csdata,"",@progbits
; Kernel info:
; codeLenInByte = 0
; NumSgprs: 0
; NumVgprs: 0
; ScratchSize: 0
; MemoryBound: 0
; FloatMode: 240
; IeeeMode: 1
; LDSByteSize: 0 bytes/workgroup (compile time only)
; SGPRBlocks: 0
; VGPRBlocks: 0
; NumSGPRsForWavesPerEU: 1
; NumVGPRsForWavesPerEU: 1
; Occupancy: 16
; WaveLimiterHint : 0
; COMPUTE_PGM_RSRC2:SCRATCH_EN: 0
; COMPUTE_PGM_RSRC2:USER_SGPR: 15
; COMPUTE_PGM_RSRC2:TRAP_HANDLER: 0
; COMPUTE_PGM_RSRC2:TGID_X_EN: 1
; COMPUTE_PGM_RSRC2:TGID_Y_EN: 0
; COMPUTE_PGM_RSRC2:TGID_Z_EN: 0
; COMPUTE_PGM_RSRC2:TIDIG_COMP_CNT: 0
	.section	.text._ZN7rocprim17ROCPRIM_400000_NS6detail17trampoline_kernelINS0_13select_configILj256ELj13ELNS0_17block_load_methodE3ELS4_3ELS4_3ELNS0_20block_scan_algorithmE0ELj4294967295EEENS1_25partition_config_selectorILNS1_17partition_subalgoE4EjNS0_10empty_typeEbEEZZNS1_14partition_implILS8_4ELb0ES6_15HIP_vector_typeIjLj2EENS0_17counting_iteratorIjlEEPS9_SG_NS0_5tupleIJPjSI_NS0_16reverse_iteratorISI_EEEEENSH_IJSG_SG_SG_EEES9_SI_JZNS1_25segmented_radix_sort_implINS0_14default_configELb0EPKhPhPKlPlN2at6native12_GLOBAL__N_18offset_tEEE10hipError_tPvRmT1_PNSt15iterator_traitsIS12_E10value_typeET2_T3_PNS13_IS18_E10value_typeET4_jRbjT5_S1E_jjP12ihipStream_tbEUljE_ZNSN_ISO_Lb0ESQ_SR_ST_SU_SY_EESZ_S10_S11_S12_S16_S17_S18_S1B_S1C_jS1D_jS1E_S1E_jjS1G_bEUljE0_EEESZ_S10_S11_S18_S1C_S1E_T6_T7_T9_mT8_S1G_bDpT10_ENKUlT_T0_E_clISt17integral_constantIbLb1EES1T_IbLb0EEEEDaS1P_S1Q_EUlS1P_E_NS1_11comp_targetILNS1_3genE9ELNS1_11target_archE1100ELNS1_3gpuE3ELNS1_3repE0EEENS1_30default_config_static_selectorELNS0_4arch9wavefront6targetE0EEEvS12_,"axG",@progbits,_ZN7rocprim17ROCPRIM_400000_NS6detail17trampoline_kernelINS0_13select_configILj256ELj13ELNS0_17block_load_methodE3ELS4_3ELS4_3ELNS0_20block_scan_algorithmE0ELj4294967295EEENS1_25partition_config_selectorILNS1_17partition_subalgoE4EjNS0_10empty_typeEbEEZZNS1_14partition_implILS8_4ELb0ES6_15HIP_vector_typeIjLj2EENS0_17counting_iteratorIjlEEPS9_SG_NS0_5tupleIJPjSI_NS0_16reverse_iteratorISI_EEEEENSH_IJSG_SG_SG_EEES9_SI_JZNS1_25segmented_radix_sort_implINS0_14default_configELb0EPKhPhPKlPlN2at6native12_GLOBAL__N_18offset_tEEE10hipError_tPvRmT1_PNSt15iterator_traitsIS12_E10value_typeET2_T3_PNS13_IS18_E10value_typeET4_jRbjT5_S1E_jjP12ihipStream_tbEUljE_ZNSN_ISO_Lb0ESQ_SR_ST_SU_SY_EESZ_S10_S11_S12_S16_S17_S18_S1B_S1C_jS1D_jS1E_S1E_jjS1G_bEUljE0_EEESZ_S10_S11_S18_S1C_S1E_T6_T7_T9_mT8_S1G_bDpT10_ENKUlT_T0_E_clISt17integral_constantIbLb1EES1T_IbLb0EEEEDaS1P_S1Q_EUlS1P_E_NS1_11comp_targetILNS1_3genE9ELNS1_11target_archE1100ELNS1_3gpuE3ELNS1_3repE0EEENS1_30default_config_static_selectorELNS0_4arch9wavefront6targetE0EEEvS12_,comdat
	.globl	_ZN7rocprim17ROCPRIM_400000_NS6detail17trampoline_kernelINS0_13select_configILj256ELj13ELNS0_17block_load_methodE3ELS4_3ELS4_3ELNS0_20block_scan_algorithmE0ELj4294967295EEENS1_25partition_config_selectorILNS1_17partition_subalgoE4EjNS0_10empty_typeEbEEZZNS1_14partition_implILS8_4ELb0ES6_15HIP_vector_typeIjLj2EENS0_17counting_iteratorIjlEEPS9_SG_NS0_5tupleIJPjSI_NS0_16reverse_iteratorISI_EEEEENSH_IJSG_SG_SG_EEES9_SI_JZNS1_25segmented_radix_sort_implINS0_14default_configELb0EPKhPhPKlPlN2at6native12_GLOBAL__N_18offset_tEEE10hipError_tPvRmT1_PNSt15iterator_traitsIS12_E10value_typeET2_T3_PNS13_IS18_E10value_typeET4_jRbjT5_S1E_jjP12ihipStream_tbEUljE_ZNSN_ISO_Lb0ESQ_SR_ST_SU_SY_EESZ_S10_S11_S12_S16_S17_S18_S1B_S1C_jS1D_jS1E_S1E_jjS1G_bEUljE0_EEESZ_S10_S11_S18_S1C_S1E_T6_T7_T9_mT8_S1G_bDpT10_ENKUlT_T0_E_clISt17integral_constantIbLb1EES1T_IbLb0EEEEDaS1P_S1Q_EUlS1P_E_NS1_11comp_targetILNS1_3genE9ELNS1_11target_archE1100ELNS1_3gpuE3ELNS1_3repE0EEENS1_30default_config_static_selectorELNS0_4arch9wavefront6targetE0EEEvS12_ ; -- Begin function _ZN7rocprim17ROCPRIM_400000_NS6detail17trampoline_kernelINS0_13select_configILj256ELj13ELNS0_17block_load_methodE3ELS4_3ELS4_3ELNS0_20block_scan_algorithmE0ELj4294967295EEENS1_25partition_config_selectorILNS1_17partition_subalgoE4EjNS0_10empty_typeEbEEZZNS1_14partition_implILS8_4ELb0ES6_15HIP_vector_typeIjLj2EENS0_17counting_iteratorIjlEEPS9_SG_NS0_5tupleIJPjSI_NS0_16reverse_iteratorISI_EEEEENSH_IJSG_SG_SG_EEES9_SI_JZNS1_25segmented_radix_sort_implINS0_14default_configELb0EPKhPhPKlPlN2at6native12_GLOBAL__N_18offset_tEEE10hipError_tPvRmT1_PNSt15iterator_traitsIS12_E10value_typeET2_T3_PNS13_IS18_E10value_typeET4_jRbjT5_S1E_jjP12ihipStream_tbEUljE_ZNSN_ISO_Lb0ESQ_SR_ST_SU_SY_EESZ_S10_S11_S12_S16_S17_S18_S1B_S1C_jS1D_jS1E_S1E_jjS1G_bEUljE0_EEESZ_S10_S11_S18_S1C_S1E_T6_T7_T9_mT8_S1G_bDpT10_ENKUlT_T0_E_clISt17integral_constantIbLb1EES1T_IbLb0EEEEDaS1P_S1Q_EUlS1P_E_NS1_11comp_targetILNS1_3genE9ELNS1_11target_archE1100ELNS1_3gpuE3ELNS1_3repE0EEENS1_30default_config_static_selectorELNS0_4arch9wavefront6targetE0EEEvS12_
	.p2align	8
	.type	_ZN7rocprim17ROCPRIM_400000_NS6detail17trampoline_kernelINS0_13select_configILj256ELj13ELNS0_17block_load_methodE3ELS4_3ELS4_3ELNS0_20block_scan_algorithmE0ELj4294967295EEENS1_25partition_config_selectorILNS1_17partition_subalgoE4EjNS0_10empty_typeEbEEZZNS1_14partition_implILS8_4ELb0ES6_15HIP_vector_typeIjLj2EENS0_17counting_iteratorIjlEEPS9_SG_NS0_5tupleIJPjSI_NS0_16reverse_iteratorISI_EEEEENSH_IJSG_SG_SG_EEES9_SI_JZNS1_25segmented_radix_sort_implINS0_14default_configELb0EPKhPhPKlPlN2at6native12_GLOBAL__N_18offset_tEEE10hipError_tPvRmT1_PNSt15iterator_traitsIS12_E10value_typeET2_T3_PNS13_IS18_E10value_typeET4_jRbjT5_S1E_jjP12ihipStream_tbEUljE_ZNSN_ISO_Lb0ESQ_SR_ST_SU_SY_EESZ_S10_S11_S12_S16_S17_S18_S1B_S1C_jS1D_jS1E_S1E_jjS1G_bEUljE0_EEESZ_S10_S11_S18_S1C_S1E_T6_T7_T9_mT8_S1G_bDpT10_ENKUlT_T0_E_clISt17integral_constantIbLb1EES1T_IbLb0EEEEDaS1P_S1Q_EUlS1P_E_NS1_11comp_targetILNS1_3genE9ELNS1_11target_archE1100ELNS1_3gpuE3ELNS1_3repE0EEENS1_30default_config_static_selectorELNS0_4arch9wavefront6targetE0EEEvS12_,@function
_ZN7rocprim17ROCPRIM_400000_NS6detail17trampoline_kernelINS0_13select_configILj256ELj13ELNS0_17block_load_methodE3ELS4_3ELS4_3ELNS0_20block_scan_algorithmE0ELj4294967295EEENS1_25partition_config_selectorILNS1_17partition_subalgoE4EjNS0_10empty_typeEbEEZZNS1_14partition_implILS8_4ELb0ES6_15HIP_vector_typeIjLj2EENS0_17counting_iteratorIjlEEPS9_SG_NS0_5tupleIJPjSI_NS0_16reverse_iteratorISI_EEEEENSH_IJSG_SG_SG_EEES9_SI_JZNS1_25segmented_radix_sort_implINS0_14default_configELb0EPKhPhPKlPlN2at6native12_GLOBAL__N_18offset_tEEE10hipError_tPvRmT1_PNSt15iterator_traitsIS12_E10value_typeET2_T3_PNS13_IS18_E10value_typeET4_jRbjT5_S1E_jjP12ihipStream_tbEUljE_ZNSN_ISO_Lb0ESQ_SR_ST_SU_SY_EESZ_S10_S11_S12_S16_S17_S18_S1B_S1C_jS1D_jS1E_S1E_jjS1G_bEUljE0_EEESZ_S10_S11_S18_S1C_S1E_T6_T7_T9_mT8_S1G_bDpT10_ENKUlT_T0_E_clISt17integral_constantIbLb1EES1T_IbLb0EEEEDaS1P_S1Q_EUlS1P_E_NS1_11comp_targetILNS1_3genE9ELNS1_11target_archE1100ELNS1_3gpuE3ELNS1_3repE0EEENS1_30default_config_static_selectorELNS0_4arch9wavefront6targetE0EEEvS12_: ; @_ZN7rocprim17ROCPRIM_400000_NS6detail17trampoline_kernelINS0_13select_configILj256ELj13ELNS0_17block_load_methodE3ELS4_3ELS4_3ELNS0_20block_scan_algorithmE0ELj4294967295EEENS1_25partition_config_selectorILNS1_17partition_subalgoE4EjNS0_10empty_typeEbEEZZNS1_14partition_implILS8_4ELb0ES6_15HIP_vector_typeIjLj2EENS0_17counting_iteratorIjlEEPS9_SG_NS0_5tupleIJPjSI_NS0_16reverse_iteratorISI_EEEEENSH_IJSG_SG_SG_EEES9_SI_JZNS1_25segmented_radix_sort_implINS0_14default_configELb0EPKhPhPKlPlN2at6native12_GLOBAL__N_18offset_tEEE10hipError_tPvRmT1_PNSt15iterator_traitsIS12_E10value_typeET2_T3_PNS13_IS18_E10value_typeET4_jRbjT5_S1E_jjP12ihipStream_tbEUljE_ZNSN_ISO_Lb0ESQ_SR_ST_SU_SY_EESZ_S10_S11_S12_S16_S17_S18_S1B_S1C_jS1D_jS1E_S1E_jjS1G_bEUljE0_EEESZ_S10_S11_S18_S1C_S1E_T6_T7_T9_mT8_S1G_bDpT10_ENKUlT_T0_E_clISt17integral_constantIbLb1EES1T_IbLb0EEEEDaS1P_S1Q_EUlS1P_E_NS1_11comp_targetILNS1_3genE9ELNS1_11target_archE1100ELNS1_3gpuE3ELNS1_3repE0EEENS1_30default_config_static_selectorELNS0_4arch9wavefront6targetE0EEEvS12_
; %bb.0:
	s_clause 0x6
	s_load_b32 s5, s[0:1], 0x80
	s_load_b64 s[34:35], s[0:1], 0x10
	s_load_b64 s[2:3], s[0:1], 0x68
	s_load_b32 s8, s[0:1], 0x8
	s_load_b128 s[24:27], s[0:1], 0x58
	s_load_b64 s[40:41], s[0:1], 0xa8
	s_load_b256 s[16:23], s[0:1], 0x88
	s_mul_i32 s33, s15, 0xd00
	s_waitcnt lgkmcnt(0)
	s_mul_i32 s4, s5, 0xd00
	s_add_i32 s5, s5, -1
	s_add_u32 s6, s34, s4
	s_addc_u32 s7, s35, 0
	s_load_b128 s[28:31], s[26:27], 0x0
	s_cmp_eq_u32 s15, s5
	v_cmp_lt_u64_e64 s3, s[6:7], s[2:3]
	s_cselect_b32 s14, -1, 0
	s_cmp_lg_u32 s15, s5
	s_cselect_b32 s5, -1, 0
	s_add_i32 s6, s8, s33
	s_delay_alu instid0(VALU_DEP_1) | instskip(SKIP_4) | instid1(VALU_DEP_1)
	s_or_b32 s3, s5, s3
	s_add_i32 s6, s6, s34
	s_and_b32 vcc_lo, exec_lo, s3
	v_add_nc_u32_e32 v1, s6, v0
	s_mov_b32 s5, -1
	v_add_nc_u32_e32 v2, 0x100, v1
	v_add_nc_u32_e32 v3, 0x200, v1
	;; [unrolled: 1-line block ×12, first 2 shown]
	s_cbranch_vccz .LBB144_2
; %bb.1:
	v_lshlrev_b32_e32 v14, 2, v0
	s_mov_b32 s5, 0
	ds_store_2addr_stride64_b32 v14, v1, v2 offset1:4
	ds_store_2addr_stride64_b32 v14, v3, v4 offset0:8 offset1:12
	ds_store_2addr_stride64_b32 v14, v5, v6 offset0:16 offset1:20
	;; [unrolled: 1-line block ×5, first 2 shown]
	ds_store_b32 v14, v13 offset:12288
	s_waitcnt lgkmcnt(0)
	s_barrier
.LBB144_2:
	s_and_not1_b32 vcc_lo, exec_lo, s5
	s_add_i32 s4, s4, s34
	s_cbranch_vccnz .LBB144_4
; %bb.3:
	v_lshlrev_b32_e32 v14, 2, v0
	ds_store_2addr_stride64_b32 v14, v1, v2 offset1:4
	ds_store_2addr_stride64_b32 v14, v3, v4 offset0:8 offset1:12
	ds_store_2addr_stride64_b32 v14, v5, v6 offset0:16 offset1:20
	;; [unrolled: 1-line block ×5, first 2 shown]
	ds_store_b32 v14, v13 offset:12288
	s_waitcnt lgkmcnt(0)
	s_barrier
.LBB144_4:
	v_mul_u32_u24_e32 v28, 13, v0
	s_clause 0x1
	s_load_b128 s[36:39], s[0:1], 0x28
	s_load_b64 s[26:27], s[0:1], 0x38
	s_waitcnt lgkmcnt(0)
	buffer_gl0_inv
	v_cndmask_b32_e64 v26, 0, 1, s3
	s_sub_i32 s44, s2, s4
	v_lshlrev_b32_e32 v1, 2, v28
	s_and_not1_b32 vcc_lo, exec_lo, s3
	ds_load_2addr_b32 v[16:17], v1 offset1:1
	ds_load_2addr_b32 v[14:15], v1 offset0:2 offset1:3
	ds_load_2addr_b32 v[12:13], v1 offset0:4 offset1:5
	;; [unrolled: 1-line block ×5, first 2 shown]
	ds_load_b32 v27, v1 offset:48
	s_waitcnt lgkmcnt(0)
	s_barrier
	buffer_gl0_inv
	s_cbranch_vccnz .LBB144_32
; %bb.5:
	v_add_nc_u32_e32 v1, s17, v16
	v_add_nc_u32_e32 v2, s19, v16
	s_mov_b32 s46, 0
	s_mov_b32 s45, 0
	s_mov_b32 s3, exec_lo
	v_mul_lo_u32 v1, v1, s16
	v_mul_lo_u32 v2, v2, s18
	s_delay_alu instid0(VALU_DEP_1) | instskip(NEXT) | instid1(VALU_DEP_1)
	v_sub_nc_u32_e32 v1, v1, v2
	v_cmp_lt_u32_e32 vcc_lo, s20, v1
	v_cmpx_ge_u32_e64 s20, v1
; %bb.6:
	v_add_nc_u32_e32 v1, s22, v16
	v_add_nc_u32_e32 v2, s40, v16
	s_delay_alu instid0(VALU_DEP_2) | instskip(NEXT) | instid1(VALU_DEP_2)
	v_mul_lo_u32 v1, v1, s21
	v_mul_lo_u32 v2, v2, s23
	s_delay_alu instid0(VALU_DEP_1) | instskip(NEXT) | instid1(VALU_DEP_1)
	v_sub_nc_u32_e32 v1, v1, v2
	v_cmp_lt_u32_e64 s2, s41, v1
	s_delay_alu instid0(VALU_DEP_1)
	s_and_b32 s45, s2, exec_lo
; %bb.7:
	s_or_b32 exec_lo, exec_lo, s3
	v_add_nc_u32_e32 v1, s17, v17
	v_add_nc_u32_e32 v2, s19, v17
	s_mov_b32 s4, exec_lo
	s_delay_alu instid0(VALU_DEP_2) | instskip(NEXT) | instid1(VALU_DEP_2)
	v_mul_lo_u32 v1, v1, s16
	v_mul_lo_u32 v2, v2, s18
	s_delay_alu instid0(VALU_DEP_1) | instskip(NEXT) | instid1(VALU_DEP_1)
	v_sub_nc_u32_e32 v1, v1, v2
	v_cmp_lt_u32_e64 s2, s20, v1
	v_cmpx_ge_u32_e64 s20, v1
; %bb.8:
	v_add_nc_u32_e32 v1, s22, v17
	v_add_nc_u32_e32 v2, s40, v17
	s_delay_alu instid0(VALU_DEP_2) | instskip(NEXT) | instid1(VALU_DEP_2)
	v_mul_lo_u32 v1, v1, s21
	v_mul_lo_u32 v2, v2, s23
	s_delay_alu instid0(VALU_DEP_1) | instskip(NEXT) | instid1(VALU_DEP_1)
	v_sub_nc_u32_e32 v1, v1, v2
	v_cmp_lt_u32_e64 s3, s41, v1
	s_delay_alu instid0(VALU_DEP_1)
	s_and_b32 s46, s3, exec_lo
; %bb.9:
	s_or_b32 exec_lo, exec_lo, s4
	v_add_nc_u32_e32 v1, s17, v14
	v_add_nc_u32_e32 v2, s19, v14
	s_mov_b32 s48, 0
	s_mov_b32 s47, 0
	s_mov_b32 s5, exec_lo
	v_mul_lo_u32 v1, v1, s16
	v_mul_lo_u32 v2, v2, s18
	s_delay_alu instid0(VALU_DEP_1) | instskip(NEXT) | instid1(VALU_DEP_1)
	v_sub_nc_u32_e32 v1, v1, v2
	v_cmp_lt_u32_e64 s3, s20, v1
	v_cmpx_ge_u32_e64 s20, v1
; %bb.10:
	v_add_nc_u32_e32 v1, s22, v14
	v_add_nc_u32_e32 v2, s40, v14
	s_delay_alu instid0(VALU_DEP_2) | instskip(NEXT) | instid1(VALU_DEP_2)
	v_mul_lo_u32 v1, v1, s21
	v_mul_lo_u32 v2, v2, s23
	s_delay_alu instid0(VALU_DEP_1) | instskip(NEXT) | instid1(VALU_DEP_1)
	v_sub_nc_u32_e32 v1, v1, v2
	v_cmp_lt_u32_e64 s4, s41, v1
	s_delay_alu instid0(VALU_DEP_1)
	s_and_b32 s47, s4, exec_lo
; %bb.11:
	s_or_b32 exec_lo, exec_lo, s5
	v_add_nc_u32_e32 v1, s17, v15
	v_add_nc_u32_e32 v2, s19, v15
	s_mov_b32 s6, exec_lo
	s_delay_alu instid0(VALU_DEP_2) | instskip(NEXT) | instid1(VALU_DEP_2)
	v_mul_lo_u32 v1, v1, s16
	v_mul_lo_u32 v2, v2, s18
	s_delay_alu instid0(VALU_DEP_1) | instskip(NEXT) | instid1(VALU_DEP_1)
	v_sub_nc_u32_e32 v1, v1, v2
	v_cmp_lt_u32_e64 s4, s20, v1
	v_cmpx_ge_u32_e64 s20, v1
; %bb.12:
	v_add_nc_u32_e32 v1, s22, v15
	v_add_nc_u32_e32 v2, s40, v15
	s_delay_alu instid0(VALU_DEP_2) | instskip(NEXT) | instid1(VALU_DEP_2)
	v_mul_lo_u32 v1, v1, s21
	v_mul_lo_u32 v2, v2, s23
	s_delay_alu instid0(VALU_DEP_1) | instskip(NEXT) | instid1(VALU_DEP_1)
	v_sub_nc_u32_e32 v1, v1, v2
	v_cmp_lt_u32_e64 s5, s41, v1
	s_delay_alu instid0(VALU_DEP_1)
	s_and_b32 s48, s5, exec_lo
; %bb.13:
	s_or_b32 exec_lo, exec_lo, s6
	v_add_nc_u32_e32 v1, s17, v12
	v_add_nc_u32_e32 v2, s19, v12
	s_mov_b32 s50, 0
	s_mov_b32 s49, 0
	s_mov_b32 s7, exec_lo
	v_mul_lo_u32 v1, v1, s16
	v_mul_lo_u32 v2, v2, s18
	s_delay_alu instid0(VALU_DEP_1) | instskip(NEXT) | instid1(VALU_DEP_1)
	v_sub_nc_u32_e32 v1, v1, v2
	v_cmp_lt_u32_e64 s5, s20, v1
	;; [unrolled: 47-line block ×5, first 2 shown]
	v_cmpx_ge_u32_e64 s20, v1
; %bb.26:
	v_add_nc_u32_e32 v1, s22, v6
	v_add_nc_u32_e32 v2, s40, v6
	s_delay_alu instid0(VALU_DEP_2) | instskip(NEXT) | instid1(VALU_DEP_2)
	v_mul_lo_u32 v1, v1, s21
	v_mul_lo_u32 v2, v2, s23
	s_delay_alu instid0(VALU_DEP_1) | instskip(NEXT) | instid1(VALU_DEP_1)
	v_sub_nc_u32_e32 v1, v1, v2
	v_cmp_lt_u32_e64 s12, s41, v1
	s_delay_alu instid0(VALU_DEP_1)
	s_and_b32 s57, s12, exec_lo
; %bb.27:
	s_or_b32 exec_lo, exec_lo, s13
	v_add_nc_u32_e32 v1, s17, v7
	v_add_nc_u32_e32 v2, s19, v7
	s_mov_b32 s42, exec_lo
	s_delay_alu instid0(VALU_DEP_2) | instskip(NEXT) | instid1(VALU_DEP_2)
	v_mul_lo_u32 v1, v1, s16
	v_mul_lo_u32 v2, v2, s18
	s_delay_alu instid0(VALU_DEP_1) | instskip(NEXT) | instid1(VALU_DEP_1)
	v_sub_nc_u32_e32 v1, v1, v2
	v_cmp_lt_u32_e64 s12, s20, v1
	v_cmpx_ge_u32_e64 s20, v1
; %bb.28:
	v_add_nc_u32_e32 v1, s22, v7
	v_add_nc_u32_e32 v2, s40, v7
	s_delay_alu instid0(VALU_DEP_2) | instskip(NEXT) | instid1(VALU_DEP_2)
	v_mul_lo_u32 v1, v1, s21
	v_mul_lo_u32 v2, v2, s23
	s_delay_alu instid0(VALU_DEP_1) | instskip(NEXT) | instid1(VALU_DEP_1)
	v_sub_nc_u32_e32 v1, v1, v2
	v_cmp_lt_u32_e64 s13, s41, v1
	s_delay_alu instid0(VALU_DEP_1)
	s_and_b32 s56, s13, exec_lo
; %bb.29:
	s_or_b32 exec_lo, exec_lo, s42
	v_add_nc_u32_e32 v1, s17, v27
	v_add_nc_u32_e32 v2, s19, v27
	s_mov_b32 s42, -1
	s_mov_b32 s53, 0
	s_mov_b32 s43, 0
	v_mul_lo_u32 v1, v1, s16
	v_mul_lo_u32 v2, v2, s18
	s_mov_b32 s58, exec_lo
	s_delay_alu instid0(VALU_DEP_1) | instskip(NEXT) | instid1(VALU_DEP_1)
	v_sub_nc_u32_e32 v1, v1, v2
	v_cmpx_ge_u32_e64 s20, v1
; %bb.30:
	v_add_nc_u32_e32 v1, s22, v27
	v_add_nc_u32_e32 v2, s40, v27
	s_xor_b32 s42, exec_lo, -1
	s_delay_alu instid0(VALU_DEP_2) | instskip(NEXT) | instid1(VALU_DEP_2)
	v_mul_lo_u32 v1, v1, s21
	v_mul_lo_u32 v2, v2, s23
	s_delay_alu instid0(VALU_DEP_1) | instskip(NEXT) | instid1(VALU_DEP_1)
	v_sub_nc_u32_e32 v1, v1, v2
	v_cmp_lt_u32_e64 s13, s41, v1
	s_delay_alu instid0(VALU_DEP_1)
	s_and_b32 s43, s13, exec_lo
; %bb.31:
	s_or_b32 exec_lo, exec_lo, s58
	v_cndmask_b32_e64 v48, 0, 1, s57
	v_cndmask_b32_e64 v51, 0, 1, s12
	;; [unrolled: 1-line block ×22, first 2 shown]
	v_cndmask_b32_e64 v29, 0, 1, vcc_lo
	v_cndmask_b32_e64 v52, 0, 1, s56
	s_load_b64 s[4:5], s[0:1], 0x78
	s_and_b32 vcc_lo, exec_lo, s53
	s_add_i32 s3, s44, 0xd00
	s_cbranch_vccnz .LBB144_33
	s_branch .LBB144_86
.LBB144_32:
                                        ; implicit-def: $sgpr42
                                        ; implicit-def: $sgpr43
                                        ; implicit-def: $vgpr52
                                        ; implicit-def: $vgpr48
                                        ; implicit-def: $vgpr47
                                        ; implicit-def: $vgpr45
                                        ; implicit-def: $vgpr43
                                        ; implicit-def: $vgpr40
                                        ; implicit-def: $vgpr39
                                        ; implicit-def: $vgpr37
                                        ; implicit-def: $vgpr35
                                        ; implicit-def: $vgpr29
                                        ; implicit-def: $vgpr33
                                        ; implicit-def: $vgpr31
                                        ; implicit-def: $vgpr32
                                        ; implicit-def: $vgpr38
                                        ; implicit-def: $vgpr41
                                        ; implicit-def: $vgpr42
                                        ; implicit-def: $vgpr44
                                        ; implicit-def: $vgpr46
                                        ; implicit-def: $vgpr49
                                        ; implicit-def: $vgpr50
                                        ; implicit-def: $vgpr51
                                        ; implicit-def: $vgpr30
                                        ; implicit-def: $vgpr34
                                        ; implicit-def: $vgpr36
	s_load_b64 s[4:5], s[0:1], 0x78
	s_add_i32 s3, s44, 0xd00
	s_cbranch_execz .LBB144_86
.LBB144_33:
	v_dual_mov_b32 v30, 0 :: v_dual_mov_b32 v29, 0
	s_mov_b32 s2, 0
	s_mov_b32 s1, exec_lo
	v_cmpx_gt_u32_e64 s3, v28
	s_cbranch_execz .LBB144_37
; %bb.34:
	v_add_nc_u32_e32 v1, s17, v16
	v_add_nc_u32_e32 v2, s19, v16
	s_mov_b32 s6, exec_lo
	s_delay_alu instid0(VALU_DEP_2) | instskip(NEXT) | instid1(VALU_DEP_2)
	v_mul_lo_u32 v1, v1, s16
	v_mul_lo_u32 v2, v2, s18
	s_delay_alu instid0(VALU_DEP_1) | instskip(NEXT) | instid1(VALU_DEP_1)
	v_sub_nc_u32_e32 v1, v1, v2
	v_cmp_lt_u32_e32 vcc_lo, s20, v1
	v_cmpx_ge_u32_e64 s20, v1
; %bb.35:
	v_add_nc_u32_e32 v1, s22, v16
	v_add_nc_u32_e32 v2, s40, v16
	s_delay_alu instid0(VALU_DEP_2) | instskip(NEXT) | instid1(VALU_DEP_2)
	v_mul_lo_u32 v1, v1, s21
	v_mul_lo_u32 v2, v2, s23
	s_delay_alu instid0(VALU_DEP_1) | instskip(NEXT) | instid1(VALU_DEP_1)
	v_sub_nc_u32_e32 v1, v1, v2
	v_cmp_lt_u32_e64 s0, s41, v1
	s_delay_alu instid0(VALU_DEP_1)
	s_and_b32 s2, s0, exec_lo
; %bb.36:
	s_or_b32 exec_lo, exec_lo, s6
	v_cndmask_b32_e64 v29, 0, 1, vcc_lo
	v_cndmask_b32_e64 v30, 0, 1, s2
.LBB144_37:
	s_or_b32 exec_lo, exec_lo, s1
	v_dual_mov_b32 v34, 0 :: v_dual_add_nc_u32 v1, 1, v28
	v_mov_b32_e32 v33, 0
	s_mov_b32 s2, 0
	s_mov_b32 s1, exec_lo
	s_delay_alu instid0(VALU_DEP_2)
	v_cmpx_gt_u32_e64 s3, v1
	s_cbranch_execz .LBB144_41
; %bb.38:
	v_add_nc_u32_e32 v1, s17, v17
	v_add_nc_u32_e32 v2, s19, v17
	s_mov_b32 s6, exec_lo
	s_delay_alu instid0(VALU_DEP_2) | instskip(NEXT) | instid1(VALU_DEP_2)
	v_mul_lo_u32 v1, v1, s16
	v_mul_lo_u32 v2, v2, s18
	s_delay_alu instid0(VALU_DEP_1) | instskip(NEXT) | instid1(VALU_DEP_1)
	v_sub_nc_u32_e32 v1, v1, v2
	v_cmp_lt_u32_e32 vcc_lo, s20, v1
	v_cmpx_ge_u32_e64 s20, v1
; %bb.39:
	v_add_nc_u32_e32 v1, s22, v17
	v_add_nc_u32_e32 v2, s40, v17
	s_delay_alu instid0(VALU_DEP_2) | instskip(NEXT) | instid1(VALU_DEP_2)
	v_mul_lo_u32 v1, v1, s21
	v_mul_lo_u32 v2, v2, s23
	s_delay_alu instid0(VALU_DEP_1) | instskip(NEXT) | instid1(VALU_DEP_1)
	v_sub_nc_u32_e32 v1, v1, v2
	v_cmp_lt_u32_e64 s0, s41, v1
	s_delay_alu instid0(VALU_DEP_1)
	s_and_b32 s2, s0, exec_lo
; %bb.40:
	s_or_b32 exec_lo, exec_lo, s6
	v_cndmask_b32_e64 v33, 0, 1, vcc_lo
	v_cndmask_b32_e64 v34, 0, 1, s2
.LBB144_41:
	s_or_b32 exec_lo, exec_lo, s1
	v_dual_mov_b32 v36, 0 :: v_dual_add_nc_u32 v1, 2, v28
	v_mov_b32_e32 v31, 0
	s_mov_b32 s2, 0
	s_mov_b32 s1, exec_lo
	s_delay_alu instid0(VALU_DEP_2)
	;; [unrolled: 35-line block ×4, first 2 shown]
	v_cmpx_gt_u32_e64 s3, v1
	s_cbranch_execz .LBB144_53
; %bb.50:
	v_add_nc_u32_e32 v1, s17, v12
	v_add_nc_u32_e32 v2, s19, v12
	s_mov_b32 s6, exec_lo
	s_delay_alu instid0(VALU_DEP_2) | instskip(NEXT) | instid1(VALU_DEP_2)
	v_mul_lo_u32 v1, v1, s16
	v_mul_lo_u32 v2, v2, s18
	s_delay_alu instid0(VALU_DEP_1) | instskip(NEXT) | instid1(VALU_DEP_1)
	v_sub_nc_u32_e32 v1, v1, v2
	v_cmp_lt_u32_e32 vcc_lo, s20, v1
	v_cmpx_ge_u32_e64 s20, v1
; %bb.51:
	v_add_nc_u32_e32 v1, s22, v12
	v_add_nc_u32_e32 v2, s40, v12
	s_delay_alu instid0(VALU_DEP_2) | instskip(NEXT) | instid1(VALU_DEP_2)
	v_mul_lo_u32 v1, v1, s21
	v_mul_lo_u32 v2, v2, s23
	s_delay_alu instid0(VALU_DEP_1) | instskip(NEXT) | instid1(VALU_DEP_1)
	v_sub_nc_u32_e32 v1, v1, v2
	v_cmp_lt_u32_e64 s0, s41, v1
	s_delay_alu instid0(VALU_DEP_1)
	s_and_b32 s2, s0, exec_lo
; %bb.52:
	s_or_b32 exec_lo, exec_lo, s6
	v_cndmask_b32_e64 v38, 0, 1, vcc_lo
	v_cndmask_b32_e64 v37, 0, 1, s2
.LBB144_53:
	s_or_b32 exec_lo, exec_lo, s1
	v_add_nc_u32_e32 v1, 5, v28
	v_mov_b32_e32 v39, 0
	v_mov_b32_e32 v41, 0
	s_mov_b32 s2, 0
	s_mov_b32 s1, exec_lo
	v_cmpx_gt_u32_e64 s3, v1
	s_cbranch_execz .LBB144_57
; %bb.54:
	v_add_nc_u32_e32 v1, s17, v13
	v_add_nc_u32_e32 v2, s19, v13
	s_mov_b32 s6, exec_lo
	s_delay_alu instid0(VALU_DEP_2) | instskip(NEXT) | instid1(VALU_DEP_2)
	v_mul_lo_u32 v1, v1, s16
	v_mul_lo_u32 v2, v2, s18
	s_delay_alu instid0(VALU_DEP_1) | instskip(NEXT) | instid1(VALU_DEP_1)
	v_sub_nc_u32_e32 v1, v1, v2
	v_cmp_lt_u32_e32 vcc_lo, s20, v1
	v_cmpx_ge_u32_e64 s20, v1
; %bb.55:
	v_add_nc_u32_e32 v1, s22, v13
	v_add_nc_u32_e32 v2, s40, v13
	s_delay_alu instid0(VALU_DEP_2) | instskip(NEXT) | instid1(VALU_DEP_2)
	v_mul_lo_u32 v1, v1, s21
	v_mul_lo_u32 v2, v2, s23
	s_delay_alu instid0(VALU_DEP_1) | instskip(NEXT) | instid1(VALU_DEP_1)
	v_sub_nc_u32_e32 v1, v1, v2
	v_cmp_lt_u32_e64 s0, s41, v1
	s_delay_alu instid0(VALU_DEP_1)
	s_and_b32 s2, s0, exec_lo
; %bb.56:
	s_or_b32 exec_lo, exec_lo, s6
	v_cndmask_b32_e64 v41, 0, 1, vcc_lo
	v_cndmask_b32_e64 v39, 0, 1, s2
.LBB144_57:
	s_or_b32 exec_lo, exec_lo, s1
	v_dual_mov_b32 v40, 0 :: v_dual_add_nc_u32 v1, 6, v28
	v_mov_b32_e32 v42, 0
	s_mov_b32 s2, 0
	s_mov_b32 s1, exec_lo
	s_delay_alu instid0(VALU_DEP_2)
	v_cmpx_gt_u32_e64 s3, v1
	s_cbranch_execz .LBB144_61
; %bb.58:
	v_add_nc_u32_e32 v1, s17, v10
	v_add_nc_u32_e32 v2, s19, v10
	s_mov_b32 s6, exec_lo
	s_delay_alu instid0(VALU_DEP_2) | instskip(NEXT) | instid1(VALU_DEP_2)
	v_mul_lo_u32 v1, v1, s16
	v_mul_lo_u32 v2, v2, s18
	s_delay_alu instid0(VALU_DEP_1) | instskip(NEXT) | instid1(VALU_DEP_1)
	v_sub_nc_u32_e32 v1, v1, v2
	v_cmp_lt_u32_e32 vcc_lo, s20, v1
	v_cmpx_ge_u32_e64 s20, v1
; %bb.59:
	v_add_nc_u32_e32 v1, s22, v10
	v_add_nc_u32_e32 v2, s40, v10
	s_delay_alu instid0(VALU_DEP_2) | instskip(NEXT) | instid1(VALU_DEP_2)
	v_mul_lo_u32 v1, v1, s21
	v_mul_lo_u32 v2, v2, s23
	s_delay_alu instid0(VALU_DEP_1) | instskip(NEXT) | instid1(VALU_DEP_1)
	v_sub_nc_u32_e32 v1, v1, v2
	v_cmp_lt_u32_e64 s0, s41, v1
	s_delay_alu instid0(VALU_DEP_1)
	s_and_b32 s2, s0, exec_lo
; %bb.60:
	s_or_b32 exec_lo, exec_lo, s6
	v_cndmask_b32_e64 v42, 0, 1, vcc_lo
	v_cndmask_b32_e64 v40, 0, 1, s2
.LBB144_61:
	s_or_b32 exec_lo, exec_lo, s1
	v_dual_mov_b32 v44, 0 :: v_dual_add_nc_u32 v1, 7, v28
	v_mov_b32_e32 v43, 0
	s_mov_b32 s2, 0
	s_mov_b32 s1, exec_lo
	s_delay_alu instid0(VALU_DEP_2)
	;; [unrolled: 35-line block ×3, first 2 shown]
	v_cmpx_gt_u32_e64 s3, v1
	s_cbranch_execz .LBB144_69
; %bb.66:
	v_add_nc_u32_e32 v1, s17, v8
	v_add_nc_u32_e32 v2, s19, v8
	s_mov_b32 s6, exec_lo
	s_delay_alu instid0(VALU_DEP_2) | instskip(NEXT) | instid1(VALU_DEP_2)
	v_mul_lo_u32 v1, v1, s16
	v_mul_lo_u32 v2, v2, s18
	s_delay_alu instid0(VALU_DEP_1) | instskip(NEXT) | instid1(VALU_DEP_1)
	v_sub_nc_u32_e32 v1, v1, v2
	v_cmp_lt_u32_e32 vcc_lo, s20, v1
	v_cmpx_ge_u32_e64 s20, v1
; %bb.67:
	v_add_nc_u32_e32 v1, s22, v8
	v_add_nc_u32_e32 v2, s40, v8
	s_delay_alu instid0(VALU_DEP_2) | instskip(NEXT) | instid1(VALU_DEP_2)
	v_mul_lo_u32 v1, v1, s21
	v_mul_lo_u32 v2, v2, s23
	s_delay_alu instid0(VALU_DEP_1) | instskip(NEXT) | instid1(VALU_DEP_1)
	v_sub_nc_u32_e32 v1, v1, v2
	v_cmp_lt_u32_e64 s0, s41, v1
	s_delay_alu instid0(VALU_DEP_1)
	s_and_b32 s2, s0, exec_lo
; %bb.68:
	s_or_b32 exec_lo, exec_lo, s6
	v_cndmask_b32_e64 v46, 0, 1, vcc_lo
	v_cndmask_b32_e64 v45, 0, 1, s2
.LBB144_69:
	s_or_b32 exec_lo, exec_lo, s1
	v_add_nc_u32_e32 v1, 9, v28
	v_mov_b32_e32 v47, 0
	v_mov_b32_e32 v49, 0
	s_mov_b32 s2, 0
	s_mov_b32 s1, exec_lo
	v_cmpx_gt_u32_e64 s3, v1
	s_cbranch_execz .LBB144_73
; %bb.70:
	v_add_nc_u32_e32 v1, s17, v9
	v_add_nc_u32_e32 v2, s19, v9
	s_mov_b32 s6, exec_lo
	s_delay_alu instid0(VALU_DEP_2) | instskip(NEXT) | instid1(VALU_DEP_2)
	v_mul_lo_u32 v1, v1, s16
	v_mul_lo_u32 v2, v2, s18
	s_delay_alu instid0(VALU_DEP_1) | instskip(NEXT) | instid1(VALU_DEP_1)
	v_sub_nc_u32_e32 v1, v1, v2
	v_cmp_lt_u32_e32 vcc_lo, s20, v1
	v_cmpx_ge_u32_e64 s20, v1
; %bb.71:
	v_add_nc_u32_e32 v1, s22, v9
	v_add_nc_u32_e32 v2, s40, v9
	s_delay_alu instid0(VALU_DEP_2) | instskip(NEXT) | instid1(VALU_DEP_2)
	v_mul_lo_u32 v1, v1, s21
	v_mul_lo_u32 v2, v2, s23
	s_delay_alu instid0(VALU_DEP_1) | instskip(NEXT) | instid1(VALU_DEP_1)
	v_sub_nc_u32_e32 v1, v1, v2
	v_cmp_lt_u32_e64 s0, s41, v1
	s_delay_alu instid0(VALU_DEP_1)
	s_and_b32 s2, s0, exec_lo
; %bb.72:
	s_or_b32 exec_lo, exec_lo, s6
	v_cndmask_b32_e64 v49, 0, 1, vcc_lo
	v_cndmask_b32_e64 v47, 0, 1, s2
.LBB144_73:
	s_or_b32 exec_lo, exec_lo, s1
	v_dual_mov_b32 v48, 0 :: v_dual_add_nc_u32 v1, 10, v28
	v_mov_b32_e32 v50, 0
	s_mov_b32 s2, 0
	s_mov_b32 s1, exec_lo
	s_delay_alu instid0(VALU_DEP_2)
	v_cmpx_gt_u32_e64 s3, v1
	s_cbranch_execz .LBB144_77
; %bb.74:
	v_add_nc_u32_e32 v1, s17, v6
	v_add_nc_u32_e32 v2, s19, v6
	s_mov_b32 s6, exec_lo
	s_delay_alu instid0(VALU_DEP_2) | instskip(NEXT) | instid1(VALU_DEP_2)
	v_mul_lo_u32 v1, v1, s16
	v_mul_lo_u32 v2, v2, s18
	s_delay_alu instid0(VALU_DEP_1) | instskip(NEXT) | instid1(VALU_DEP_1)
	v_sub_nc_u32_e32 v1, v1, v2
	v_cmp_lt_u32_e32 vcc_lo, s20, v1
	v_cmpx_ge_u32_e64 s20, v1
; %bb.75:
	v_add_nc_u32_e32 v1, s22, v6
	v_add_nc_u32_e32 v2, s40, v6
	s_delay_alu instid0(VALU_DEP_2) | instskip(NEXT) | instid1(VALU_DEP_2)
	v_mul_lo_u32 v1, v1, s21
	v_mul_lo_u32 v2, v2, s23
	s_delay_alu instid0(VALU_DEP_1) | instskip(NEXT) | instid1(VALU_DEP_1)
	v_sub_nc_u32_e32 v1, v1, v2
	v_cmp_lt_u32_e64 s0, s41, v1
	s_delay_alu instid0(VALU_DEP_1)
	s_and_b32 s2, s0, exec_lo
; %bb.76:
	s_or_b32 exec_lo, exec_lo, s6
	v_cndmask_b32_e64 v50, 0, 1, vcc_lo
	v_cndmask_b32_e64 v48, 0, 1, s2
.LBB144_77:
	s_or_b32 exec_lo, exec_lo, s1
	v_dual_mov_b32 v52, 0 :: v_dual_add_nc_u32 v1, 11, v28
	v_mov_b32_e32 v51, 0
	s_mov_b32 s2, 0
	s_mov_b32 s1, exec_lo
	s_delay_alu instid0(VALU_DEP_2)
	v_cmpx_gt_u32_e64 s3, v1
	s_cbranch_execz .LBB144_81
; %bb.78:
	v_add_nc_u32_e32 v1, s17, v7
	v_add_nc_u32_e32 v2, s19, v7
	s_mov_b32 s6, exec_lo
	s_delay_alu instid0(VALU_DEP_2) | instskip(NEXT) | instid1(VALU_DEP_2)
	v_mul_lo_u32 v1, v1, s16
	v_mul_lo_u32 v2, v2, s18
	s_delay_alu instid0(VALU_DEP_1) | instskip(NEXT) | instid1(VALU_DEP_1)
	v_sub_nc_u32_e32 v1, v1, v2
	v_cmp_lt_u32_e32 vcc_lo, s20, v1
	v_cmpx_ge_u32_e64 s20, v1
; %bb.79:
	v_add_nc_u32_e32 v1, s22, v7
	v_add_nc_u32_e32 v2, s40, v7
	s_delay_alu instid0(VALU_DEP_2) | instskip(NEXT) | instid1(VALU_DEP_2)
	v_mul_lo_u32 v1, v1, s21
	v_mul_lo_u32 v2, v2, s23
	s_delay_alu instid0(VALU_DEP_1) | instskip(NEXT) | instid1(VALU_DEP_1)
	v_sub_nc_u32_e32 v1, v1, v2
	v_cmp_lt_u32_e64 s0, s41, v1
	s_delay_alu instid0(VALU_DEP_1)
	s_and_b32 s2, s0, exec_lo
; %bb.80:
	s_or_b32 exec_lo, exec_lo, s6
	v_cndmask_b32_e64 v51, 0, 1, vcc_lo
	v_cndmask_b32_e64 v52, 0, 1, s2
.LBB144_81:
	s_or_b32 exec_lo, exec_lo, s1
	v_add_nc_u32_e32 v1, 12, v28
	s_mov_b32 s42, 0
	s_mov_b32 s43, 0
	s_mov_b32 s0, exec_lo
	s_delay_alu instid0(VALU_DEP_1)
	v_cmpx_gt_u32_e64 s3, v1
	s_cbranch_execz .LBB144_85
; %bb.82:
	v_add_nc_u32_e32 v1, s17, v27
	v_add_nc_u32_e32 v2, s19, v27
	s_mov_b32 s2, -1
	s_mov_b32 s6, 0
	s_mov_b32 s1, exec_lo
	v_mul_lo_u32 v1, v1, s16
	v_mul_lo_u32 v2, v2, s18
	s_delay_alu instid0(VALU_DEP_1) | instskip(NEXT) | instid1(VALU_DEP_1)
	v_sub_nc_u32_e32 v1, v1, v2
	v_cmpx_ge_u32_e64 s20, v1
; %bb.83:
	v_add_nc_u32_e32 v1, s22, v27
	v_add_nc_u32_e32 v2, s40, v27
	s_xor_b32 s2, exec_lo, -1
	s_delay_alu instid0(VALU_DEP_2) | instskip(NEXT) | instid1(VALU_DEP_2)
	v_mul_lo_u32 v1, v1, s21
	v_mul_lo_u32 v2, v2, s23
	s_delay_alu instid0(VALU_DEP_1) | instskip(NEXT) | instid1(VALU_DEP_1)
	v_sub_nc_u32_e32 v1, v1, v2
	v_cmp_lt_u32_e32 vcc_lo, s41, v1
	s_and_b32 s6, vcc_lo, exec_lo
; %bb.84:
	s_or_b32 exec_lo, exec_lo, s1
	s_delay_alu instid0(SALU_CYCLE_1)
	s_and_b32 s43, s6, exec_lo
	s_and_b32 s42, s2, exec_lo
.LBB144_85:
	s_or_b32 exec_lo, exec_lo, s0
.LBB144_86:
	v_and_b32_e32 v75, 0xff, v29
	v_and_b32_e32 v76, 0xff, v30
	;; [unrolled: 1-line block ×10, first 2 shown]
	v_add3_u32 v1, v71, v73, v75
	v_add3_u32 v2, v72, v74, v76
	v_and_b32_e32 v65, 0xff, v41
	v_and_b32_e32 v66, 0xff, v39
	v_and_b32_e32 v61, 0xff, v42
	v_and_b32_e32 v62, 0xff, v40
	v_add3_u32 v1, v1, v69, v67
	v_add3_u32 v2, v2, v70, v68
	v_and_b32_e32 v63, 0xff, v44
	v_and_b32_e32 v64, 0xff, v43
	v_and_b32_e32 v59, 0xff, v46
	v_and_b32_e32 v60, 0xff, v45
	;; [unrolled: 6-line block ×3, first 2 shown]
	v_add3_u32 v1, v1, v63, v59
	v_add3_u32 v2, v2, v64, v60
	v_mbcnt_lo_u32_b32 v77, -1, 0
	v_and_b32_e32 v53, 0xff, v51
	v_and_b32_e32 v54, 0xff, v52
	v_cndmask_b32_e64 v3, 0, 1, s43
	v_add3_u32 v1, v1, v57, v55
	v_cndmask_b32_e64 v4, 0, 1, s42
	v_add3_u32 v2, v2, v58, v56
	v_and_b32_e32 v81, 15, v77
	v_and_b32_e32 v80, 16, v77
	v_lshrrev_b32_e32 v78, 5, v0
	v_add3_u32 v82, v1, v53, v4
	v_add3_u32 v83, v2, v54, v3
	v_cmp_eq_u32_e64 s1, 0, v81
	v_cmp_lt_u32_e64 s0, 1, v81
	v_cmp_lt_u32_e64 s2, 3, v81
	v_cmp_lt_u32_e32 vcc_lo, 7, v81
	v_or_b32_e32 v79, 31, v0
	s_cmp_lg_u32 s15, 0
	s_mov_b32 s6, -1
	s_cbranch_scc0 .LBB144_119
; %bb.87:
	v_mov_b32_dpp v1, v83 row_shr:1 row_mask:0xf bank_mask:0xf
	v_mov_b32_dpp v2, v82 row_shr:1 row_mask:0xf bank_mask:0xf
	s_delay_alu instid0(VALU_DEP_2) | instskip(NEXT) | instid1(VALU_DEP_1)
	v_add_nc_u32_e32 v1, v1, v83
	v_cndmask_b32_e64 v1, v1, v83, s1
	s_delay_alu instid0(VALU_DEP_1) | instskip(NEXT) | instid1(VALU_DEP_1)
	v_mov_b32_dpp v3, v1 row_shr:2 row_mask:0xf bank_mask:0xf
	v_add_nc_u32_e32 v3, v1, v3
	s_delay_alu instid0(VALU_DEP_1) | instskip(NEXT) | instid1(VALU_DEP_1)
	v_cndmask_b32_e64 v1, v1, v3, s0
	v_mov_b32_dpp v3, v1 row_shr:4 row_mask:0xf bank_mask:0xf
	s_delay_alu instid0(VALU_DEP_1) | instskip(NEXT) | instid1(VALU_DEP_1)
	v_add_nc_u32_e32 v3, v1, v3
	v_cndmask_b32_e64 v1, v1, v3, s2
	s_delay_alu instid0(VALU_DEP_1) | instskip(NEXT) | instid1(VALU_DEP_1)
	v_mov_b32_dpp v3, v1 row_shr:8 row_mask:0xf bank_mask:0xf
	v_add_nc_u32_e32 v3, v1, v3
	s_delay_alu instid0(VALU_DEP_1) | instskip(NEXT) | instid1(VALU_DEP_1)
	v_dual_cndmask_b32 v1, v1, v3 :: v_dual_add_nc_u32 v2, v2, v82
	v_cndmask_b32_e64 v2, v2, v82, s1
	s_delay_alu instid0(VALU_DEP_1) | instskip(NEXT) | instid1(VALU_DEP_1)
	v_mov_b32_dpp v4, v2 row_shr:2 row_mask:0xf bank_mask:0xf
	v_add_nc_u32_e32 v4, v2, v4
	s_delay_alu instid0(VALU_DEP_1) | instskip(NEXT) | instid1(VALU_DEP_1)
	v_cndmask_b32_e64 v2, v2, v4, s0
	v_mov_b32_dpp v4, v2 row_shr:4 row_mask:0xf bank_mask:0xf
	s_delay_alu instid0(VALU_DEP_1) | instskip(NEXT) | instid1(VALU_DEP_1)
	v_add_nc_u32_e32 v4, v2, v4
	v_cndmask_b32_e64 v2, v2, v4, s2
	s_mov_b32 s2, exec_lo
	s_delay_alu instid0(VALU_DEP_1) | instskip(NEXT) | instid1(VALU_DEP_1)
	v_mov_b32_dpp v4, v2 row_shr:8 row_mask:0xf bank_mask:0xf
	v_add_nc_u32_e32 v4, v2, v4
	s_delay_alu instid0(VALU_DEP_1)
	v_cndmask_b32_e32 v3, v2, v4, vcc_lo
	ds_swizzle_b32 v2, v1 offset:swizzle(BROADCAST,32,15)
	v_cmp_eq_u32_e32 vcc_lo, 0, v80
	s_waitcnt lgkmcnt(0)
	v_add_nc_u32_e32 v2, v1, v2
	ds_swizzle_b32 v4, v3 offset:swizzle(BROADCAST,32,15)
	v_cndmask_b32_e32 v2, v2, v1, vcc_lo
	s_waitcnt lgkmcnt(0)
	v_add_nc_u32_e32 v4, v3, v4
	s_delay_alu instid0(VALU_DEP_1)
	v_cndmask_b32_e32 v1, v4, v3, vcc_lo
	v_cmpx_eq_u32_e64 v79, v0
	s_cbranch_execz .LBB144_89
; %bb.88:
	v_lshlrev_b32_e32 v3, 3, v78
	ds_store_b64 v3, v[1:2]
.LBB144_89:
	s_or_b32 exec_lo, exec_lo, s2
	s_delay_alu instid0(SALU_CYCLE_1)
	s_mov_b32 s2, exec_lo
	s_waitcnt lgkmcnt(0)
	s_barrier
	buffer_gl0_inv
	v_cmpx_gt_u32_e32 8, v0
	s_cbranch_execz .LBB144_91
; %bb.90:
	v_lshlrev_b32_e32 v5, 3, v0
	ds_load_b64 v[3:4], v5
	s_waitcnt lgkmcnt(0)
	v_mov_b32_dpp v18, v3 row_shr:1 row_mask:0xf bank_mask:0xf
	v_mov_b32_dpp v19, v4 row_shr:1 row_mask:0xf bank_mask:0xf
	s_delay_alu instid0(VALU_DEP_2) | instskip(SKIP_1) | instid1(VALU_DEP_3)
	v_add_nc_u32_e32 v18, v18, v3
	v_and_b32_e32 v20, 7, v77
	v_add_nc_u32_e32 v19, v19, v4
	s_delay_alu instid0(VALU_DEP_2) | instskip(NEXT) | instid1(VALU_DEP_2)
	v_cmp_eq_u32_e32 vcc_lo, 0, v20
	v_dual_cndmask_b32 v4, v19, v4 :: v_dual_cndmask_b32 v3, v18, v3
	v_cmp_lt_u32_e32 vcc_lo, 1, v20
	s_delay_alu instid0(VALU_DEP_2) | instskip(NEXT) | instid1(VALU_DEP_3)
	v_mov_b32_dpp v19, v4 row_shr:2 row_mask:0xf bank_mask:0xf
	v_mov_b32_dpp v18, v3 row_shr:2 row_mask:0xf bank_mask:0xf
	s_delay_alu instid0(VALU_DEP_2) | instskip(NEXT) | instid1(VALU_DEP_2)
	v_add_nc_u32_e32 v19, v4, v19
	v_add_nc_u32_e32 v18, v3, v18
	s_delay_alu instid0(VALU_DEP_1) | instskip(SKIP_1) | instid1(VALU_DEP_2)
	v_dual_cndmask_b32 v4, v4, v19 :: v_dual_cndmask_b32 v3, v3, v18
	v_cmp_lt_u32_e32 vcc_lo, 3, v20
	v_mov_b32_dpp v19, v4 row_shr:4 row_mask:0xf bank_mask:0xf
	s_delay_alu instid0(VALU_DEP_3) | instskip(NEXT) | instid1(VALU_DEP_1)
	v_mov_b32_dpp v18, v3 row_shr:4 row_mask:0xf bank_mask:0xf
	v_dual_cndmask_b32 v19, 0, v19 :: v_dual_cndmask_b32 v18, 0, v18
	s_delay_alu instid0(VALU_DEP_1) | instskip(NEXT) | instid1(VALU_DEP_2)
	v_add_nc_u32_e32 v4, v19, v4
	v_add_nc_u32_e32 v3, v18, v3
	ds_store_b64 v5, v[3:4]
.LBB144_91:
	s_or_b32 exec_lo, exec_lo, s2
	v_cmp_gt_u32_e32 vcc_lo, 32, v0
	v_cmp_lt_u32_e64 s2, 31, v0
	s_waitcnt lgkmcnt(0)
	s_barrier
	buffer_gl0_inv
                                        ; implicit-def: $vgpr19
	s_and_saveexec_b32 s6, s2
	s_delay_alu instid0(SALU_CYCLE_1)
	s_xor_b32 s2, exec_lo, s6
	s_cbranch_execz .LBB144_93
; %bb.92:
	v_lshl_add_u32 v3, v78, 3, -8
	ds_load_b64 v[18:19], v3
	s_waitcnt lgkmcnt(0)
	v_add_nc_u32_e32 v2, v19, v2
	v_add_nc_u32_e32 v1, v18, v1
.LBB144_93:
	s_and_not1_saveexec_b32 s2, s2
; %bb.94:
                                        ; implicit-def: $vgpr18
; %bb.95:
	s_delay_alu instid0(SALU_CYCLE_1) | instskip(SKIP_1) | instid1(VALU_DEP_1)
	s_or_b32 exec_lo, exec_lo, s2
	v_add_nc_u32_e32 v3, -1, v77
	v_cmp_gt_i32_e64 s2, 0, v3
	s_delay_alu instid0(VALU_DEP_1) | instskip(SKIP_1) | instid1(VALU_DEP_2)
	v_cndmask_b32_e64 v3, v3, v77, s2
	v_cmp_eq_u32_e64 s2, 0, v77
	v_lshlrev_b32_e32 v3, 2, v3
	ds_bpermute_b32 v84, v3, v1
	ds_bpermute_b32 v85, v3, v2
	s_and_saveexec_b32 s6, vcc_lo
	s_cbranch_execz .LBB144_118
; %bb.96:
	v_mov_b32_e32 v4, 0
	ds_load_b64 v[1:2], v4 offset:56
	s_waitcnt lgkmcnt(0)
	v_readfirstlane_b32 s7, v2
	s_and_saveexec_b32 s8, s2
	s_cbranch_execz .LBB144_98
; %bb.97:
	s_add_i32 s10, s15, 32
	s_mov_b32 s11, 0
	v_mov_b32_e32 v3, 1
	s_lshl_b64 s[12:13], s[10:11], 4
	s_mov_b32 s16, s11
	s_add_u32 s12, s4, s12
	s_addc_u32 s13, s5, s13
	s_and_b32 s17, s7, 0xff000000
	s_and_b32 s19, s7, 0xff0000
	s_mov_b32 s18, s11
	v_dual_mov_b32 v21, s13 :: v_dual_mov_b32 v20, s12
	s_or_b64 s[16:17], s[18:19], s[16:17]
	s_and_b32 s19, s7, 0xff00
	s_delay_alu instid0(SALU_CYCLE_1) | instskip(SKIP_1) | instid1(SALU_CYCLE_1)
	s_or_b64 s[16:17], s[16:17], s[18:19]
	s_and_b32 s19, s7, 0xff
	s_or_b64 s[10:11], s[16:17], s[18:19]
	s_delay_alu instid0(SALU_CYCLE_1)
	v_mov_b32_e32 v2, s11
	;;#ASMSTART
	global_store_dwordx4 v[20:21], v[1:4] off	
s_waitcnt vmcnt(0)
	;;#ASMEND
.LBB144_98:
	s_or_b32 exec_lo, exec_lo, s8
	v_xad_u32 v20, v77, -1, s15
	s_mov_b32 s9, 0
	s_mov_b32 s8, exec_lo
	s_delay_alu instid0(VALU_DEP_1) | instskip(NEXT) | instid1(VALU_DEP_1)
	v_add_nc_u32_e32 v3, 32, v20
	v_lshlrev_b64 v[2:3], 4, v[3:4]
	s_delay_alu instid0(VALU_DEP_1) | instskip(NEXT) | instid1(VALU_DEP_2)
	v_add_co_u32 v21, vcc_lo, s4, v2
	v_add_co_ci_u32_e32 v22, vcc_lo, s5, v3, vcc_lo
	;;#ASMSTART
	global_load_dwordx4 v[2:5], v[21:22] off glc	
s_waitcnt vmcnt(0)
	;;#ASMEND
	v_and_b32_e32 v5, 0xff, v3
	v_and_b32_e32 v23, 0xff00, v3
	v_or3_b32 v2, v2, 0, 0
	v_and_b32_e32 v24, 0xff000000, v3
	v_and_b32_e32 v3, 0xff0000, v3
	s_delay_alu instid0(VALU_DEP_4) | instskip(SKIP_2) | instid1(VALU_DEP_3)
	v_or3_b32 v5, 0, v5, v23
	v_and_b32_e32 v23, 0xff, v4
	v_or3_b32 v2, v2, 0, 0
	v_or3_b32 v3, v5, v3, v24
	s_delay_alu instid0(VALU_DEP_3)
	v_cmpx_eq_u16_e32 0, v23
	s_cbranch_execz .LBB144_104
; %bb.99:
	s_mov_b32 s10, 1
	.p2align	6
.LBB144_100:                            ; =>This Loop Header: Depth=1
                                        ;     Child Loop BB144_101 Depth 2
	s_delay_alu instid0(SALU_CYCLE_1)
	s_max_u32 s11, s10, 1
.LBB144_101:                            ;   Parent Loop BB144_100 Depth=1
                                        ; =>  This Inner Loop Header: Depth=2
	s_delay_alu instid0(SALU_CYCLE_1)
	s_add_i32 s11, s11, -1
	s_sleep 1
	s_cmp_eq_u32 s11, 0
	s_cbranch_scc0 .LBB144_101
; %bb.102:                              ;   in Loop: Header=BB144_100 Depth=1
	;;#ASMSTART
	global_load_dwordx4 v[2:5], v[21:22] off glc	
s_waitcnt vmcnt(0)
	;;#ASMEND
	v_and_b32_e32 v5, 0xff, v4
	s_cmp_lt_u32 s10, 32
	s_cselect_b32 s11, -1, 0
	s_delay_alu instid0(SALU_CYCLE_1) | instskip(NEXT) | instid1(VALU_DEP_1)
	s_cmp_lg_u32 s11, 0
	v_cmp_ne_u16_e32 vcc_lo, 0, v5
	s_addc_u32 s10, s10, 0
	s_or_b32 s9, vcc_lo, s9
	s_delay_alu instid0(SALU_CYCLE_1)
	s_and_not1_b32 exec_lo, exec_lo, s9
	s_cbranch_execnz .LBB144_100
; %bb.103:
	s_or_b32 exec_lo, exec_lo, s9
.LBB144_104:
	s_delay_alu instid0(SALU_CYCLE_1)
	s_or_b32 exec_lo, exec_lo, s8
	v_cmp_ne_u32_e32 vcc_lo, 31, v77
	v_lshlrev_b32_e64 v87, v77, -1
	v_add_nc_u32_e32 v91, 4, v77
	v_add_nc_u32_e32 v93, 8, v77
	;; [unrolled: 1-line block ×3, first 2 shown]
	v_add_co_ci_u32_e32 v5, vcc_lo, 0, v77, vcc_lo
	s_delay_alu instid0(VALU_DEP_1)
	v_lshlrev_b32_e32 v86, 2, v5
	ds_bpermute_b32 v21, v86, v3
	ds_bpermute_b32 v5, v86, v2
	s_waitcnt lgkmcnt(1)
	v_add_nc_u32_e32 v21, v21, v3
	v_and_b32_e32 v22, 0xff, v4
	s_waitcnt lgkmcnt(0)
	v_add_nc_u32_e32 v5, v5, v2
	s_delay_alu instid0(VALU_DEP_2) | instskip(SKIP_2) | instid1(VALU_DEP_2)
	v_cmp_eq_u16_e32 vcc_lo, 2, v22
	v_and_or_b32 v22, vcc_lo, v87, 0x80000000
	v_cmp_gt_u32_e32 vcc_lo, 30, v77
	v_ctz_i32_b32_e32 v22, v22
	v_cndmask_b32_e64 v23, 0, 1, vcc_lo
	s_delay_alu instid0(VALU_DEP_2) | instskip(NEXT) | instid1(VALU_DEP_2)
	v_cmp_lt_u32_e32 vcc_lo, v77, v22
	v_dual_cndmask_b32 v2, v2, v5 :: v_dual_lshlrev_b32 v23, 1, v23
	s_delay_alu instid0(VALU_DEP_1)
	v_add_lshl_u32 v88, v23, v77, 2
	v_cndmask_b32_e32 v3, v3, v21, vcc_lo
	v_cmp_gt_u32_e32 vcc_lo, 28, v77
	ds_bpermute_b32 v5, v88, v2
	ds_bpermute_b32 v21, v88, v3
	v_cndmask_b32_e64 v23, 0, 1, vcc_lo
	s_waitcnt lgkmcnt(1)
	v_add_nc_u32_e32 v5, v2, v5
	v_add_nc_u32_e32 v89, 2, v77
	s_waitcnt lgkmcnt(0)
	v_add_nc_u32_e32 v21, v3, v21
	s_delay_alu instid0(VALU_DEP_2) | instskip(SKIP_1) | instid1(VALU_DEP_3)
	v_cmp_gt_u32_e32 vcc_lo, v89, v22
	v_dual_cndmask_b32 v2, v5, v2 :: v_dual_lshlrev_b32 v23, 2, v23
	v_cndmask_b32_e32 v3, v21, v3, vcc_lo
	v_cmp_gt_u32_e32 vcc_lo, 24, v77
	s_delay_alu instid0(VALU_DEP_3)
	v_add_lshl_u32 v90, v23, v77, 2
	v_cndmask_b32_e64 v23, 0, 1, vcc_lo
	v_cmp_gt_u32_e32 vcc_lo, v91, v22
	ds_bpermute_b32 v5, v90, v2
	ds_bpermute_b32 v21, v90, v3
	v_lshlrev_b32_e32 v23, 3, v23
	s_delay_alu instid0(VALU_DEP_1) | instskip(SKIP_3) | instid1(VALU_DEP_1)
	v_add_lshl_u32 v92, v23, v77, 2
	s_waitcnt lgkmcnt(1)
	v_add_nc_u32_e32 v5, v2, v5
	s_waitcnt lgkmcnt(0)
	v_dual_cndmask_b32 v2, v5, v2 :: v_dual_add_nc_u32 v21, v3, v21
	s_delay_alu instid0(VALU_DEP_1)
	v_cndmask_b32_e32 v3, v21, v3, vcc_lo
	v_cmp_gt_u32_e32 vcc_lo, 16, v77
	ds_bpermute_b32 v5, v92, v2
	ds_bpermute_b32 v21, v92, v3
	v_cndmask_b32_e64 v23, 0, 1, vcc_lo
	v_cmp_gt_u32_e32 vcc_lo, v93, v22
	s_delay_alu instid0(VALU_DEP_2) | instskip(NEXT) | instid1(VALU_DEP_1)
	v_lshlrev_b32_e32 v23, 4, v23
	v_add_lshl_u32 v94, v23, v77, 2
	s_waitcnt lgkmcnt(1)
	v_add_nc_u32_e32 v5, v2, v5
	s_waitcnt lgkmcnt(0)
	s_delay_alu instid0(VALU_DEP_1) | instskip(NEXT) | instid1(VALU_DEP_1)
	v_dual_cndmask_b32 v2, v5, v2 :: v_dual_add_nc_u32 v21, v3, v21
	v_cndmask_b32_e32 v3, v21, v3, vcc_lo
	v_cmp_le_u32_e32 vcc_lo, v95, v22
	ds_bpermute_b32 v5, v94, v2
	ds_bpermute_b32 v21, v94, v3
	s_waitcnt lgkmcnt(1)
	v_cndmask_b32_e32 v5, 0, v5, vcc_lo
	s_waitcnt lgkmcnt(0)
	s_delay_alu instid0(VALU_DEP_1) | instskip(NEXT) | instid1(VALU_DEP_1)
	v_dual_cndmask_b32 v21, 0, v21 :: v_dual_add_nc_u32 v2, v5, v2
	v_add_nc_u32_e32 v3, v21, v3
	v_mov_b32_e32 v21, 0
	s_branch .LBB144_106
.LBB144_105:                            ;   in Loop: Header=BB144_106 Depth=1
	s_or_b32 exec_lo, exec_lo, s8
	ds_bpermute_b32 v5, v86, v2
	ds_bpermute_b32 v24, v86, v3
	v_subrev_nc_u32_e32 v20, 32, v20
	s_waitcnt lgkmcnt(1)
	v_add_nc_u32_e32 v5, v5, v2
	v_and_b32_e32 v25, 0xff, v4
	s_waitcnt lgkmcnt(0)
	v_add_nc_u32_e32 v24, v24, v3
	s_delay_alu instid0(VALU_DEP_2) | instskip(SKIP_1) | instid1(VALU_DEP_1)
	v_cmp_eq_u16_e32 vcc_lo, 2, v25
	v_and_or_b32 v25, vcc_lo, v87, 0x80000000
	v_ctz_i32_b32_e32 v25, v25
	s_delay_alu instid0(VALU_DEP_1)
	v_cmp_lt_u32_e32 vcc_lo, v77, v25
	v_cndmask_b32_e32 v2, v2, v5, vcc_lo
	ds_bpermute_b32 v5, v88, v2
	s_waitcnt lgkmcnt(0)
	v_add_nc_u32_e32 v5, v2, v5
	v_cndmask_b32_e32 v3, v3, v24, vcc_lo
	v_cmp_gt_u32_e32 vcc_lo, v89, v25
	s_delay_alu instid0(VALU_DEP_3)
	v_cndmask_b32_e32 v2, v5, v2, vcc_lo
	ds_bpermute_b32 v24, v88, v3
	ds_bpermute_b32 v5, v90, v2
	s_waitcnt lgkmcnt(1)
	v_add_nc_u32_e32 v24, v3, v24
	s_waitcnt lgkmcnt(0)
	v_add_nc_u32_e32 v5, v2, v5
	s_delay_alu instid0(VALU_DEP_2) | instskip(SKIP_1) | instid1(VALU_DEP_3)
	v_cndmask_b32_e32 v3, v24, v3, vcc_lo
	v_cmp_gt_u32_e32 vcc_lo, v91, v25
	v_cndmask_b32_e32 v2, v5, v2, vcc_lo
	ds_bpermute_b32 v24, v90, v3
	ds_bpermute_b32 v5, v92, v2
	s_waitcnt lgkmcnt(1)
	v_add_nc_u32_e32 v24, v3, v24
	s_waitcnt lgkmcnt(0)
	v_add_nc_u32_e32 v5, v2, v5
	s_delay_alu instid0(VALU_DEP_2) | instskip(SKIP_1) | instid1(VALU_DEP_3)
	v_cndmask_b32_e32 v3, v24, v3, vcc_lo
	v_cmp_gt_u32_e32 vcc_lo, v93, v25
	v_cndmask_b32_e32 v2, v5, v2, vcc_lo
	ds_bpermute_b32 v24, v92, v3
	ds_bpermute_b32 v5, v94, v2
	s_waitcnt lgkmcnt(1)
	v_add_nc_u32_e32 v24, v3, v24
	s_delay_alu instid0(VALU_DEP_1) | instskip(SKIP_4) | instid1(VALU_DEP_1)
	v_cndmask_b32_e32 v3, v24, v3, vcc_lo
	v_cmp_le_u32_e32 vcc_lo, v95, v25
	ds_bpermute_b32 v24, v94, v3
	s_waitcnt lgkmcnt(1)
	v_cndmask_b32_e32 v5, 0, v5, vcc_lo
	v_add3_u32 v2, v2, v22, v5
	s_waitcnt lgkmcnt(0)
	v_cndmask_b32_e32 v24, 0, v24, vcc_lo
	s_delay_alu instid0(VALU_DEP_1)
	v_add3_u32 v3, v3, v23, v24
.LBB144_106:                            ; =>This Loop Header: Depth=1
                                        ;     Child Loop BB144_109 Depth 2
                                        ;       Child Loop BB144_110 Depth 3
	s_delay_alu instid0(VALU_DEP_1) | instskip(SKIP_1) | instid1(VALU_DEP_2)
	v_dual_mov_b32 v23, v3 :: v_dual_and_b32 v4, 0xff, v4
	v_mov_b32_e32 v22, v2
	v_cmp_ne_u16_e32 vcc_lo, 2, v4
	v_cndmask_b32_e64 v4, 0, 1, vcc_lo
	;;#ASMSTART
	;;#ASMEND
	s_delay_alu instid0(VALU_DEP_1)
	v_cmp_ne_u32_e32 vcc_lo, 0, v4
	s_cmp_lg_u32 vcc_lo, exec_lo
	s_cbranch_scc1 .LBB144_113
; %bb.107:                              ;   in Loop: Header=BB144_106 Depth=1
	v_lshlrev_b64 v[2:3], 4, v[20:21]
	s_mov_b32 s8, exec_lo
	s_delay_alu instid0(VALU_DEP_1) | instskip(NEXT) | instid1(VALU_DEP_2)
	v_add_co_u32 v24, vcc_lo, s4, v2
	v_add_co_ci_u32_e32 v25, vcc_lo, s5, v3, vcc_lo
	;;#ASMSTART
	global_load_dwordx4 v[2:5], v[24:25] off glc	
s_waitcnt vmcnt(0)
	;;#ASMEND
	v_and_b32_e32 v5, 0xff, v3
	v_and_b32_e32 v96, 0xff00, v3
	v_or3_b32 v2, v2, 0, 0
	v_and_b32_e32 v97, 0xff000000, v3
	v_and_b32_e32 v3, 0xff0000, v3
	s_delay_alu instid0(VALU_DEP_4) | instskip(SKIP_2) | instid1(VALU_DEP_3)
	v_or3_b32 v5, 0, v5, v96
	v_and_b32_e32 v96, 0xff, v4
	v_or3_b32 v2, v2, 0, 0
	v_or3_b32 v3, v5, v3, v97
	s_delay_alu instid0(VALU_DEP_3)
	v_cmpx_eq_u16_e32 0, v96
	s_cbranch_execz .LBB144_105
; %bb.108:                              ;   in Loop: Header=BB144_106 Depth=1
	s_mov_b32 s10, 1
	s_mov_b32 s9, 0
	.p2align	6
.LBB144_109:                            ;   Parent Loop BB144_106 Depth=1
                                        ; =>  This Loop Header: Depth=2
                                        ;       Child Loop BB144_110 Depth 3
	s_max_u32 s11, s10, 1
.LBB144_110:                            ;   Parent Loop BB144_106 Depth=1
                                        ;     Parent Loop BB144_109 Depth=2
                                        ; =>    This Inner Loop Header: Depth=3
	s_delay_alu instid0(SALU_CYCLE_1)
	s_add_i32 s11, s11, -1
	s_sleep 1
	s_cmp_eq_u32 s11, 0
	s_cbranch_scc0 .LBB144_110
; %bb.111:                              ;   in Loop: Header=BB144_109 Depth=2
	;;#ASMSTART
	global_load_dwordx4 v[2:5], v[24:25] off glc	
s_waitcnt vmcnt(0)
	;;#ASMEND
	v_and_b32_e32 v5, 0xff, v4
	s_cmp_lt_u32 s10, 32
	s_cselect_b32 s11, -1, 0
	s_delay_alu instid0(SALU_CYCLE_1) | instskip(NEXT) | instid1(VALU_DEP_1)
	s_cmp_lg_u32 s11, 0
	v_cmp_ne_u16_e32 vcc_lo, 0, v5
	s_addc_u32 s10, s10, 0
	s_or_b32 s9, vcc_lo, s9
	s_delay_alu instid0(SALU_CYCLE_1)
	s_and_not1_b32 exec_lo, exec_lo, s9
	s_cbranch_execnz .LBB144_109
; %bb.112:                              ;   in Loop: Header=BB144_106 Depth=1
	s_or_b32 exec_lo, exec_lo, s9
	s_branch .LBB144_105
.LBB144_113:                            ;   in Loop: Header=BB144_106 Depth=1
                                        ; implicit-def: $vgpr4
                                        ; implicit-def: $vgpr2_vgpr3
	s_cbranch_execz .LBB144_106
; %bb.114:
	s_and_saveexec_b32 s8, s2
	s_cbranch_execnz .LBB144_357
; %bb.115:
	s_or_b32 exec_lo, exec_lo, s8
	s_and_saveexec_b32 s8, s2
	s_cbranch_execnz .LBB144_358
.LBB144_116:
	s_or_b32 exec_lo, exec_lo, s8
	v_cmp_eq_u32_e32 vcc_lo, 0, v0
	s_and_b32 exec_lo, exec_lo, vcc_lo
	s_cbranch_execz .LBB144_118
.LBB144_117:
	v_mov_b32_e32 v1, 0
	ds_store_b64 v1, v[22:23] offset:56
.LBB144_118:
	s_or_b32 exec_lo, exec_lo, s6
	v_cmp_eq_u32_e32 vcc_lo, 0, v0
	v_mov_b32_e32 v1, 0
	s_waitcnt lgkmcnt(0)
	s_barrier
	buffer_gl0_inv
	v_add_nc_u32_e64 v3, 0x3400, 0
	ds_load_b64 v[20:21], v1 offset:56
	s_waitcnt lgkmcnt(0)
	s_barrier
	buffer_gl0_inv
	ds_load_2addr_b32 v[1:2], v3 offset1:2
	ds_load_2addr_b32 v[3:4], v3 offset0:4 offset1:6
	v_cndmask_b32_e64 v5, v84, v18, s2
	v_cndmask_b32_e64 v18, v85, v19, s2
	s_delay_alu instid0(VALU_DEP_2) | instskip(NEXT) | instid1(VALU_DEP_1)
	v_add_nc_u32_e32 v19, v20, v5
	v_dual_cndmask_b32 v20, v19, v20 :: v_dual_add_nc_u32 v5, v21, v18
	s_delay_alu instid0(VALU_DEP_1)
	v_cndmask_b32_e32 v5, v5, v21, vcc_lo
	s_branch .LBB144_129
.LBB144_119:
                                        ; implicit-def: $vgpr5
                                        ; implicit-def: $vgpr3
                                        ; implicit-def: $vgpr1
                                        ; implicit-def: $vgpr20_vgpr21
	s_and_b32 vcc_lo, exec_lo, s6
	s_cbranch_vccz .LBB144_129
; %bb.120:
	s_waitcnt lgkmcnt(0)
	v_mov_b32_dpp v2, v83 row_shr:1 row_mask:0xf bank_mask:0xf
	v_cmp_lt_u32_e32 vcc_lo, 3, v81
	v_mov_b32_dpp v1, v82 row_shr:1 row_mask:0xf bank_mask:0xf
	s_delay_alu instid0(VALU_DEP_3) | instskip(NEXT) | instid1(VALU_DEP_1)
	v_add_nc_u32_e32 v2, v2, v83
	v_cndmask_b32_e64 v2, v2, v83, s1
	s_delay_alu instid0(VALU_DEP_1) | instskip(NEXT) | instid1(VALU_DEP_1)
	v_mov_b32_dpp v4, v2 row_shr:2 row_mask:0xf bank_mask:0xf
	v_add_nc_u32_e32 v4, v2, v4
	s_delay_alu instid0(VALU_DEP_1) | instskip(NEXT) | instid1(VALU_DEP_1)
	v_cndmask_b32_e64 v2, v2, v4, s0
	v_mov_b32_dpp v4, v2 row_shr:4 row_mask:0xf bank_mask:0xf
	s_delay_alu instid0(VALU_DEP_1) | instskip(NEXT) | instid1(VALU_DEP_1)
	v_add_nc_u32_e32 v4, v2, v4
	v_dual_cndmask_b32 v2, v2, v4 :: v_dual_add_nc_u32 v1, v1, v82
	s_delay_alu instid0(VALU_DEP_1) | instskip(NEXT) | instid1(VALU_DEP_2)
	v_cndmask_b32_e64 v1, v1, v82, s1
	v_mov_b32_dpp v4, v2 row_shr:8 row_mask:0xf bank_mask:0xf
	s_delay_alu instid0(VALU_DEP_2) | instskip(NEXT) | instid1(VALU_DEP_2)
	v_mov_b32_dpp v3, v1 row_shr:2 row_mask:0xf bank_mask:0xf
	v_add_nc_u32_e32 v4, v2, v4
	s_delay_alu instid0(VALU_DEP_2) | instskip(NEXT) | instid1(VALU_DEP_1)
	v_add_nc_u32_e32 v3, v1, v3
	v_cndmask_b32_e64 v1, v1, v3, s0
	s_mov_b32 s0, exec_lo
	s_delay_alu instid0(VALU_DEP_1) | instskip(NEXT) | instid1(VALU_DEP_1)
	v_mov_b32_dpp v3, v1 row_shr:4 row_mask:0xf bank_mask:0xf
	v_add_nc_u32_e32 v3, v1, v3
	s_delay_alu instid0(VALU_DEP_1) | instskip(SKIP_1) | instid1(VALU_DEP_2)
	v_cndmask_b32_e32 v1, v1, v3, vcc_lo
	v_cmp_lt_u32_e32 vcc_lo, 7, v81
	v_mov_b32_dpp v3, v1 row_shr:8 row_mask:0xf bank_mask:0xf
	s_delay_alu instid0(VALU_DEP_1) | instskip(NEXT) | instid1(VALU_DEP_1)
	v_dual_cndmask_b32 v2, v2, v4 :: v_dual_add_nc_u32 v3, v1, v3
	v_cndmask_b32_e32 v1, v1, v3, vcc_lo
	ds_swizzle_b32 v3, v2 offset:swizzle(BROADCAST,32,15)
	v_cmp_eq_u32_e32 vcc_lo, 0, v80
	ds_swizzle_b32 v4, v1 offset:swizzle(BROADCAST,32,15)
	s_waitcnt lgkmcnt(1)
	v_add_nc_u32_e32 v3, v2, v3
	s_waitcnt lgkmcnt(0)
	v_add_nc_u32_e32 v4, v1, v4
	s_delay_alu instid0(VALU_DEP_1)
	v_dual_cndmask_b32 v2, v3, v2 :: v_dual_cndmask_b32 v1, v4, v1
	v_cmpx_eq_u32_e64 v79, v0
	s_cbranch_execz .LBB144_122
; %bb.121:
	v_lshlrev_b32_e32 v3, 3, v78
	ds_store_b64 v3, v[1:2]
.LBB144_122:
	s_or_b32 exec_lo, exec_lo, s0
	s_delay_alu instid0(SALU_CYCLE_1)
	s_mov_b32 s0, exec_lo
	s_waitcnt lgkmcnt(0)
	s_barrier
	buffer_gl0_inv
	v_cmpx_gt_u32_e32 8, v0
	s_cbranch_execz .LBB144_124
; %bb.123:
	v_lshlrev_b32_e32 v5, 3, v0
	ds_load_b64 v[3:4], v5
	s_waitcnt lgkmcnt(0)
	v_mov_b32_dpp v18, v3 row_shr:1 row_mask:0xf bank_mask:0xf
	v_mov_b32_dpp v19, v4 row_shr:1 row_mask:0xf bank_mask:0xf
	s_delay_alu instid0(VALU_DEP_2) | instskip(SKIP_1) | instid1(VALU_DEP_3)
	v_add_nc_u32_e32 v18, v18, v3
	v_and_b32_e32 v20, 7, v77
	v_add_nc_u32_e32 v19, v19, v4
	s_delay_alu instid0(VALU_DEP_2) | instskip(NEXT) | instid1(VALU_DEP_2)
	v_cmp_eq_u32_e32 vcc_lo, 0, v20
	v_dual_cndmask_b32 v4, v19, v4 :: v_dual_cndmask_b32 v3, v18, v3
	v_cmp_lt_u32_e32 vcc_lo, 1, v20
	s_delay_alu instid0(VALU_DEP_2) | instskip(NEXT) | instid1(VALU_DEP_3)
	v_mov_b32_dpp v19, v4 row_shr:2 row_mask:0xf bank_mask:0xf
	v_mov_b32_dpp v18, v3 row_shr:2 row_mask:0xf bank_mask:0xf
	s_delay_alu instid0(VALU_DEP_2) | instskip(NEXT) | instid1(VALU_DEP_2)
	v_add_nc_u32_e32 v19, v4, v19
	v_add_nc_u32_e32 v18, v3, v18
	s_delay_alu instid0(VALU_DEP_1) | instskip(SKIP_1) | instid1(VALU_DEP_2)
	v_dual_cndmask_b32 v4, v4, v19 :: v_dual_cndmask_b32 v3, v3, v18
	v_cmp_lt_u32_e32 vcc_lo, 3, v20
	v_mov_b32_dpp v19, v4 row_shr:4 row_mask:0xf bank_mask:0xf
	s_delay_alu instid0(VALU_DEP_3) | instskip(NEXT) | instid1(VALU_DEP_1)
	v_mov_b32_dpp v18, v3 row_shr:4 row_mask:0xf bank_mask:0xf
	v_dual_cndmask_b32 v19, 0, v19 :: v_dual_cndmask_b32 v18, 0, v18
	s_delay_alu instid0(VALU_DEP_1) | instskip(NEXT) | instid1(VALU_DEP_2)
	v_add_nc_u32_e32 v4, v19, v4
	v_add_nc_u32_e32 v3, v18, v3
	ds_store_b64 v5, v[3:4]
.LBB144_124:
	s_or_b32 exec_lo, exec_lo, s0
	v_dual_mov_b32 v3, 0 :: v_dual_mov_b32 v18, 0
	v_mov_b32_e32 v19, 0
	s_mov_b32 s0, exec_lo
	s_waitcnt lgkmcnt(0)
	s_barrier
	buffer_gl0_inv
	v_cmpx_lt_u32_e32 31, v0
	s_cbranch_execz .LBB144_126
; %bb.125:
	v_lshl_add_u32 v4, v78, 3, -8
	ds_load_b64 v[18:19], v4
.LBB144_126:
	s_or_b32 exec_lo, exec_lo, s0
	v_add_nc_u32_e32 v4, -1, v77
	s_waitcnt lgkmcnt(0)
	v_add_nc_u32_e32 v20, v19, v2
	v_add_nc_u32_e32 v5, v18, v1
	ds_load_b64 v[1:2], v3 offset:56
	v_cmp_gt_i32_e32 vcc_lo, 0, v4
	v_cndmask_b32_e32 v4, v4, v77, vcc_lo
	v_cmp_eq_u32_e32 vcc_lo, 0, v0
	s_delay_alu instid0(VALU_DEP_2)
	v_lshlrev_b32_e32 v4, 2, v4
	ds_bpermute_b32 v5, v4, v5
	ds_bpermute_b32 v20, v4, v20
	s_waitcnt lgkmcnt(2)
	v_readfirstlane_b32 s1, v2
	s_and_saveexec_b32 s0, vcc_lo
	s_cbranch_execz .LBB144_128
; %bb.127:
	s_mov_b32 s6, 0
	s_add_u32 s4, s4, 0x200
	s_addc_u32 s5, s5, 0
	s_and_b32 s7, s1, 0xff000000
	s_and_b32 s9, s1, 0xff0000
	s_mov_b32 s8, s6
	v_mov_b32_e32 v22, s5
	s_or_b64 s[8:9], s[8:9], s[6:7]
	s_and_b32 s7, s1, 0xff00
	v_dual_mov_b32 v4, 0 :: v_dual_mov_b32 v21, s4
	s_or_b64 s[8:9], s[8:9], s[6:7]
	s_and_b32 s7, s1, 0xff
	v_mov_b32_e32 v3, 2
	s_or_b64 s[6:7], s[8:9], s[6:7]
	s_delay_alu instid0(SALU_CYCLE_1)
	v_mov_b32_e32 v2, s7
	;;#ASMSTART
	global_store_dwordx4 v[21:22], v[1:4] off	
s_waitcnt vmcnt(0)
	;;#ASMEND
.LBB144_128:
	s_or_b32 exec_lo, exec_lo, s0
	v_cmp_eq_u32_e64 s0, 0, v77
	v_dual_mov_b32 v3, 0 :: v_dual_mov_b32 v2, s1
	s_waitcnt lgkmcnt(0)
	s_barrier
	s_delay_alu instid0(VALU_DEP_2)
	v_cndmask_b32_e64 v4, v5, v18, s0
	v_cndmask_b32_e64 v5, v20, v19, s0
	buffer_gl0_inv
	v_cndmask_b32_e64 v20, v4, 0, vcc_lo
	v_cndmask_b32_e64 v5, v5, 0, vcc_lo
	v_mov_b32_e32 v4, 0
.LBB144_129:
	v_and_b32_e32 v30, 1, v30
	v_and_b32_e32 v34, 1, v34
	;; [unrolled: 1-line block ×4, first 2 shown]
	s_waitcnt lgkmcnt(0)
	v_add_co_u32 v18, s0, s28, v3
	v_cmp_eq_u32_e32 vcc_lo, 1, v30
	v_add_nc_u32_e32 v22, v5, v76
	v_sub_nc_u32_e32 v5, v5, v4
	v_add_co_ci_u32_e64 v19, null, s29, 0, s0
	s_mov_b32 s2, -1
	s_delay_alu instid0(VALU_DEP_3) | instskip(SKIP_3) | instid1(VALU_DEP_3)
	v_add_nc_u32_e32 v24, v22, v72
	v_sub_nc_u32_e32 v22, v22, v4
	v_add_nc_u32_e32 v5, v5, v1
	v_sub_co_u32 v72, s0, s30, v1
	v_add_nc_u32_e32 v22, v22, v1
	v_add_nc_u32_e32 v21, v20, v75
	v_sub_nc_u32_e32 v20, v20, v3
	s_delay_alu instid0(VALU_DEP_2)
	v_add_nc_u32_e32 v23, v21, v71
	v_add_nc_u32_e32 v71, v24, v74
	v_lshlrev_b32_e32 v74, 1, v1
	v_sub_nc_u32_e32 v21, v21, v3
	v_add_nc_u32_e32 v75, v20, v5
	v_sub_nc_u32_e32 v24, v24, v4
	s_delay_alu instid0(VALU_DEP_4) | instskip(NEXT) | instid1(VALU_DEP_4)
	v_add3_u32 v28, v74, v2, v28
	v_add_nc_u32_e32 v76, v22, v21
	s_delay_alu instid0(VALU_DEP_3) | instskip(NEXT) | instid1(VALU_DEP_3)
	v_add_nc_u32_e32 v24, v24, v1
	v_sub_nc_u32_e32 v75, v28, v75
	s_delay_alu instid0(VALU_DEP_3) | instskip(NEXT) | instid1(VALU_DEP_1)
	v_sub_nc_u32_e32 v76, v28, v76
	v_dual_cndmask_b32 v5, v75, v5 :: v_dual_add_nc_u32 v30, 1, v76
	v_cmp_eq_u32_e32 vcc_lo, 1, v34
	s_delay_alu instid0(VALU_DEP_2) | instskip(SKIP_1) | instid1(VALU_DEP_4)
	v_cndmask_b32_e32 v22, v30, v22, vcc_lo
	v_cmp_eq_u32_e32 vcc_lo, 1, v29
	v_cndmask_b32_e32 v5, v5, v20, vcc_lo
	v_and_b32_e32 v20, 1, v36
	v_cmp_eq_u32_e32 vcc_lo, 1, v33
	s_delay_alu instid0(VALU_DEP_3) | instskip(SKIP_1) | instid1(VALU_DEP_4)
	v_lshlrev_b32_e32 v5, 2, v5
	v_cndmask_b32_e32 v21, v22, v21, vcc_lo
	v_cmp_eq_u32_e32 vcc_lo, 1, v20
	v_add_nc_u32_e32 v25, v23, v73
	v_sub_nc_u32_e32 v23, v23, v3
	v_and_b32_e32 v22, 1, v31
	v_sub_co_ci_u32_e64 v73, null, s31, 0, s0
	v_and_b32_e32 v31, 1, v32
	s_delay_alu instid0(VALU_DEP_4) | instskip(NEXT) | instid1(VALU_DEP_1)
	v_add_nc_u32_e32 v77, v24, v23
	v_sub_nc_u32_e32 v75, v28, v77
	s_delay_alu instid0(VALU_DEP_1) | instskip(NEXT) | instid1(VALU_DEP_1)
	v_add_nc_u32_e32 v29, 2, v75
	v_cndmask_b32_e32 v20, v29, v24, vcc_lo
	v_sub_nc_u32_e32 v24, v71, v4
	v_cmp_eq_u32_e32 vcc_lo, 1, v22
	v_add_nc_u32_e32 v69, v25, v69
	v_lshlrev_b32_e32 v29, 2, v21
	ds_store_b32 v5, v16
	ds_store_b32 v29, v17
	v_cndmask_b32_e32 v22, v20, v23, vcc_lo
	v_sub_nc_u32_e32 v23, v25, v3
	v_add_nc_u32_e32 v24, v24, v1
	v_add_co_u32 v20, vcc_lo, v72, v4
	s_delay_alu instid0(VALU_DEP_4) | instskip(SKIP_1) | instid1(VALU_DEP_4)
	v_lshlrev_b32_e32 v5, 2, v22
	v_and_b32_e32 v22, 1, v35
	v_add_nc_u32_e32 v25, v23, v24
	v_add_co_ci_u32_e32 v21, vcc_lo, 0, v73, vcc_lo
	ds_store_b32 v5, v14
	v_cmp_eq_u32_e32 vcc_lo, 1, v22
	v_sub_nc_u32_e32 v17, v28, v25
	v_sub_nc_u32_e32 v29, v69, v3
	v_add_nc_u32_e32 v67, v69, v67
	s_delay_alu instid0(VALU_DEP_3) | instskip(NEXT) | instid1(VALU_DEP_2)
	v_add_nc_u32_e32 v17, 3, v17
	v_sub_nc_u32_e32 v30, v67, v3
	s_delay_alu instid0(VALU_DEP_2) | instskip(SKIP_2) | instid1(VALU_DEP_3)
	v_cndmask_b32_e32 v17, v17, v24, vcc_lo
	v_cmp_eq_u32_e32 vcc_lo, 1, v31
	v_and_b32_e32 v24, 1, v39
	v_cndmask_b32_e32 v14, v17, v23, vcc_lo
	v_add_nc_u32_e32 v70, v71, v70
	v_and_b32_e32 v23, 1, v38
	s_delay_alu instid0(VALU_DEP_3) | instskip(NEXT) | instid1(VALU_DEP_3)
	v_lshlrev_b32_e32 v14, 2, v14
	v_add_nc_u32_e32 v68, v70, v68
	v_sub_nc_u32_e32 v16, v70, v4
	ds_store_b32 v14, v15
	v_sub_nc_u32_e32 v25, v68, v4
	v_add_nc_u32_e32 v16, v16, v1
	s_delay_alu instid0(VALU_DEP_2) | instskip(NEXT) | instid1(VALU_DEP_2)
	v_add_nc_u32_e32 v25, v25, v1
	v_add_nc_u32_e32 v32, v29, v16
	s_delay_alu instid0(VALU_DEP_2) | instskip(NEXT) | instid1(VALU_DEP_2)
	v_add_nc_u32_e32 v22, v30, v25
	v_sub_nc_u32_e32 v5, v28, v32
	s_delay_alu instid0(VALU_DEP_2) | instskip(SKIP_1) | instid1(VALU_DEP_3)
	v_sub_nc_u32_e32 v17, v28, v22
	v_and_b32_e32 v22, 1, v37
	v_add_nc_u32_e32 v5, 4, v5
	s_delay_alu instid0(VALU_DEP_3) | instskip(NEXT) | instid1(VALU_DEP_3)
	v_add_nc_u32_e32 v17, 5, v17
	v_cmp_eq_u32_e32 vcc_lo, 1, v22
	s_delay_alu instid0(VALU_DEP_3)
	v_cndmask_b32_e32 v5, v5, v16, vcc_lo
	v_cmp_eq_u32_e32 vcc_lo, 1, v24
	v_and_b32_e32 v16, 1, v41
	v_cndmask_b32_e32 v17, v17, v25, vcc_lo
	v_cmp_eq_u32_e32 vcc_lo, 1, v23
	v_cndmask_b32_e32 v5, v5, v29, vcc_lo
	s_delay_alu instid0(VALU_DEP_4) | instskip(SKIP_1) | instid1(VALU_DEP_3)
	v_cmp_eq_u32_e32 vcc_lo, 1, v16
	v_add_nc_u32_e32 v66, v68, v66
	v_dual_cndmask_b32 v16, v17, v30 :: v_dual_lshlrev_b32 v5, 2, v5
	s_delay_alu instid0(VALU_DEP_2) | instskip(SKIP_1) | instid1(VALU_DEP_3)
	v_sub_nc_u32_e32 v22, v66, v4
	v_add_nc_u32_e32 v62, v66, v62
	v_lshlrev_b32_e32 v16, 2, v16
	ds_store_b32 v5, v12
	ds_store_b32 v16, v13
	v_and_b32_e32 v12, 1, v40
	v_add_nc_u32_e32 v22, v22, v1
	v_add_nc_u32_e32 v64, v62, v64
	v_sub_nc_u32_e32 v17, v62, v4
	v_and_b32_e32 v16, 1, v43
	v_cmp_eq_u32_e32 vcc_lo, 1, v12
	v_add_nc_u32_e32 v65, v67, v65
	v_sub_nc_u32_e32 v15, v64, v4
	v_add_nc_u32_e32 v17, v17, v1
	s_delay_alu instid0(VALU_DEP_3) | instskip(NEXT) | instid1(VALU_DEP_3)
	v_sub_nc_u32_e32 v23, v65, v3
	v_add_nc_u32_e32 v15, v15, v1
	s_delay_alu instid0(VALU_DEP_2) | instskip(NEXT) | instid1(VALU_DEP_1)
	v_add_nc_u32_e32 v24, v23, v22
	v_sub_nc_u32_e32 v14, v28, v24
	v_and_b32_e32 v24, 1, v48
	s_delay_alu instid0(VALU_DEP_2) | instskip(SKIP_1) | instid1(VALU_DEP_2)
	v_add_nc_u32_e32 v13, 6, v14
	v_and_b32_e32 v14, 1, v42
	v_cndmask_b32_e32 v12, v13, v22, vcc_lo
	v_add_nc_u32_e32 v61, v65, v61
	s_delay_alu instid0(VALU_DEP_3) | instskip(SKIP_1) | instid1(VALU_DEP_3)
	v_cmp_eq_u32_e32 vcc_lo, 1, v14
	v_and_b32_e32 v22, 1, v44
	v_sub_nc_u32_e32 v25, v61, v3
	v_add_nc_u32_e32 v63, v61, v63
	v_cndmask_b32_e32 v12, v12, v23, vcc_lo
	v_cmp_eq_u32_e32 vcc_lo, 1, v16
	v_and_b32_e32 v23, 1, v46
	v_add_nc_u32_e32 v5, v25, v17
	v_sub_nc_u32_e32 v13, v63, v3
	v_lshlrev_b32_e32 v12, 2, v12
	v_add_nc_u32_e32 v59, v63, v59
	s_delay_alu instid0(VALU_DEP_4) | instskip(NEXT) | instid1(VALU_DEP_4)
	v_sub_nc_u32_e32 v5, v28, v5
	v_add_nc_u32_e32 v14, v13, v15
	s_delay_alu instid0(VALU_DEP_3) | instskip(NEXT) | instid1(VALU_DEP_3)
	v_add_nc_u32_e32 v57, v59, v57
	v_add_nc_u32_e32 v5, 7, v5
	s_delay_alu instid0(VALU_DEP_3) | instskip(NEXT) | instid1(VALU_DEP_3)
	v_sub_nc_u32_e32 v14, v28, v14
	v_add_nc_u32_e32 v55, v57, v55
	s_delay_alu instid0(VALU_DEP_3)
	v_cndmask_b32_e32 v5, v5, v17, vcc_lo
	v_cmp_eq_u32_e32 vcc_lo, 1, v22
	v_and_b32_e32 v17, 1, v45
	v_add_nc_u32_e32 v14, 8, v14
	v_sub_nc_u32_e32 v22, v59, v3
	v_add_nc_u32_e32 v53, v55, v53
	v_cndmask_b32_e32 v5, v5, v25, vcc_lo
	v_cmp_eq_u32_e32 vcc_lo, 1, v17
	v_sub_nc_u32_e32 v17, v55, v3
	v_and_b32_e32 v25, 1, v52
	s_delay_alu instid0(VALU_DEP_4)
	v_dual_cndmask_b32 v14, v14, v15 :: v_dual_lshlrev_b32 v5, 2, v5
	v_cmp_eq_u32_e32 vcc_lo, 1, v23
	v_add_nc_u32_e32 v60, v64, v60
	ds_store_b32 v12, v10
	ds_store_b32 v5, v11
	v_and_b32_e32 v11, 1, v49
	v_cndmask_b32_e32 v5, v14, v13, vcc_lo
	v_sub_nc_u32_e32 v16, v60, v4
	v_add_nc_u32_e32 v58, v60, v58
	v_and_b32_e32 v13, 1, v47
	s_delay_alu instid0(VALU_DEP_4) | instskip(NEXT) | instid1(VALU_DEP_4)
	v_lshlrev_b32_e32 v5, 2, v5
	v_add_nc_u32_e32 v16, v16, v1
	s_delay_alu instid0(VALU_DEP_4) | instskip(SKIP_2) | instid1(VALU_DEP_4)
	v_add_nc_u32_e32 v56, v58, v56
	v_sub_nc_u32_e32 v12, v58, v4
	v_cmp_eq_u32_e32 vcc_lo, 1, v13
	v_add_nc_u32_e32 v15, v22, v16
	s_delay_alu instid0(VALU_DEP_4) | instskip(NEXT) | instid1(VALU_DEP_4)
	v_sub_nc_u32_e32 v14, v56, v4
	v_add_nc_u32_e32 v12, v12, v1
	v_add_nc_u32_e32 v54, v56, v54
	s_delay_alu instid0(VALU_DEP_4) | instskip(SKIP_2) | instid1(VALU_DEP_4)
	v_sub_nc_u32_e32 v10, v28, v15
	v_sub_nc_u32_e32 v15, v57, v3
	v_add_nc_u32_e32 v14, v14, v1
	v_sub_nc_u32_e32 v23, v54, v4
	v_sub_nc_u32_e32 v3, v53, v3
	v_add_nc_u32_e32 v10, 9, v10
	v_add_nc_u32_e32 v13, v15, v12
	s_delay_alu instid0(VALU_DEP_2) | instskip(SKIP_2) | instid1(VALU_DEP_4)
	v_dual_cndmask_b32 v10, v10, v16 :: v_dual_add_nc_u32 v23, v23, v1
	v_add_nc_u32_e32 v16, v17, v14
	v_cmp_eq_u32_e32 vcc_lo, 1, v11
	v_sub_nc_u32_e32 v11, v28, v13
	v_and_b32_e32 v13, 1, v50
	s_delay_alu instid0(VALU_DEP_4) | instskip(NEXT) | instid1(VALU_DEP_3)
	v_sub_nc_u32_e32 v16, v28, v16
	v_dual_cndmask_b32 v10, v10, v22 :: v_dual_add_nc_u32 v11, 10, v11
	v_cmp_eq_u32_e32 vcc_lo, 1, v24
	v_add_nc_u32_e32 v22, v3, v23
	s_delay_alu instid0(VALU_DEP_4) | instskip(NEXT) | instid1(VALU_DEP_4)
	v_add_nc_u32_e32 v16, 11, v16
	v_dual_cndmask_b32 v11, v11, v12 :: v_dual_lshlrev_b32 v10, 2, v10
	v_cmp_eq_u32_e32 vcc_lo, 1, v25
	s_delay_alu instid0(VALU_DEP_4) | instskip(SKIP_3) | instid1(VALU_DEP_4)
	v_sub_nc_u32_e32 v22, v28, v22
	v_and_b32_e32 v12, 1, v51
	v_cndmask_b32_e32 v14, v16, v14, vcc_lo
	v_cmp_eq_u32_e32 vcc_lo, 1, v13
	v_dual_cndmask_b32 v11, v11, v15 :: v_dual_add_nc_u32 v16, 12, v22
	s_delay_alu instid0(VALU_DEP_4) | instskip(NEXT) | instid1(VALU_DEP_2)
	v_cmp_eq_u32_e32 vcc_lo, 1, v12
	v_cndmask_b32_e64 v13, v16, v23, s43
	s_delay_alu instid0(VALU_DEP_3) | instskip(NEXT) | instid1(VALU_DEP_2)
	v_dual_cndmask_b32 v12, v14, v17 :: v_dual_lshlrev_b32 v11, 2, v11
	v_cndmask_b32_e64 v3, v13, v3, s42
	s_delay_alu instid0(VALU_DEP_2)
	v_lshlrev_b32_e32 v12, 2, v12
	ds_store_b32 v5, v8
	ds_store_b32 v10, v9
	;; [unrolled: 1-line block ×4, first 2 shown]
	v_lshlrev_b32_e32 v3, 2, v3
	v_add_co_u32 v5, s0, v2, v74
	s_delay_alu instid0(VALU_DEP_1) | instskip(SKIP_4) | instid1(VALU_DEP_2)
	v_add_co_ci_u32_e64 v6, null, 0, 0, s0
	ds_store_b32 v3, v27
	v_add_co_u32 v3, vcc_lo, v5, v20
	v_add_co_ci_u32_e32 v5, vcc_lo, v6, v21, vcc_lo
	s_add_u32 s0, s34, s33
	v_add_co_u32 v3, vcc_lo, v3, v18
	s_delay_alu instid0(VALU_DEP_2) | instskip(SKIP_1) | instid1(VALU_DEP_2)
	v_add_co_ci_u32_e32 v5, vcc_lo, v5, v19, vcc_lo
	s_addc_u32 s1, s35, 0
	v_sub_co_u32 v3, vcc_lo, s0, v3
	s_delay_alu instid0(VALU_DEP_2)
	v_sub_co_ci_u32_e32 v9, vcc_lo, s1, v5, vcc_lo
	v_lshlrev_b64 v[5:6], 2, v[20:21]
	v_lshlrev_b64 v[7:8], 2, v[18:19]
	v_add_nc_u32_e32 v10, v1, v2
	s_add_u32 s1, s26, -4
	s_waitcnt lgkmcnt(0)
	s_barrier
	v_add_co_u32 v5, vcc_lo, s38, v5
	v_add_co_ci_u32_e32 v6, vcc_lo, s39, v6, vcc_lo
	v_cmp_ne_u32_e32 vcc_lo, 1, v26
	v_add_co_u32 v7, s0, s36, v7
	s_delay_alu instid0(VALU_DEP_1)
	v_add_co_ci_u32_e64 v8, s0, s37, v8, s0
	s_addc_u32 s0, s27, -1
	buffer_gl0_inv
	s_cbranch_vccz .LBB144_133
; %bb.130:
	s_and_b32 vcc_lo, exec_lo, s2
	s_cbranch_vccnz .LBB144_238
.LBB144_131:
	v_cmp_eq_u32_e32 vcc_lo, 0, v0
	s_and_b32 s0, vcc_lo, s14
	s_delay_alu instid0(SALU_CYCLE_1)
	s_and_saveexec_b32 s1, s0
	s_cbranch_execnz .LBB144_356
.LBB144_132:
	s_nop 0
	s_sendmsg sendmsg(MSG_DEALLOC_VGPRS)
	s_endpgm
.LBB144_133:
	s_mov_b32 s2, exec_lo
	v_cmpx_le_u32_e64 v1, v0
	s_xor_b32 s2, exec_lo, s2
	s_cbranch_execz .LBB144_139
; %bb.134:
	s_mov_b32 s4, exec_lo
	v_cmpx_le_u32_e64 v10, v0
	s_xor_b32 s4, exec_lo, s4
	s_cbranch_execz .LBB144_136
; %bb.135:
	v_lshlrev_b32_e32 v11, 2, v0
	ds_load_b32 v13, v11
	v_add_co_u32 v11, vcc_lo, v3, v0
	v_add_co_ci_u32_e32 v12, vcc_lo, 0, v9, vcc_lo
	s_delay_alu instid0(VALU_DEP_1) | instskip(NEXT) | instid1(VALU_DEP_1)
	v_lshlrev_b64 v[11:12], 2, v[11:12]
	v_sub_co_u32 v11, vcc_lo, s26, v11
	s_delay_alu instid0(VALU_DEP_2)
	v_sub_co_ci_u32_e32 v12, vcc_lo, s27, v12, vcc_lo
	s_waitcnt lgkmcnt(0)
	global_store_b32 v[11:12], v13, off offset:-4
.LBB144_136:
	s_and_not1_saveexec_b32 s4, s4
	s_cbranch_execz .LBB144_138
; %bb.137:
	v_lshlrev_b32_e32 v11, 2, v0
	v_readfirstlane_b32 s6, v5
	v_readfirstlane_b32 s7, v6
	ds_load_b32 v12, v11
	s_waitcnt lgkmcnt(0)
	global_store_b32 v11, v12, s[6:7]
.LBB144_138:
	s_or_b32 exec_lo, exec_lo, s4
.LBB144_139:
	s_and_not1_saveexec_b32 s2, s2
	s_cbranch_execz .LBB144_141
; %bb.140:
	v_lshlrev_b32_e32 v11, 2, v0
	v_readfirstlane_b32 s4, v7
	v_readfirstlane_b32 s5, v8
	ds_load_b32 v12, v11
	s_waitcnt lgkmcnt(0)
	global_store_b32 v11, v12, s[4:5]
.LBB144_141:
	s_or_b32 exec_lo, exec_lo, s2
	v_or_b32_e32 v11, 0x100, v0
	s_mov_b32 s2, exec_lo
	s_delay_alu instid0(VALU_DEP_1)
	v_cmpx_le_u32_e64 v1, v11
	s_xor_b32 s2, exec_lo, s2
	s_cbranch_execz .LBB144_147
; %bb.142:
	s_mov_b32 s4, exec_lo
	v_cmpx_le_u32_e64 v10, v11
	s_xor_b32 s4, exec_lo, s4
	s_cbranch_execz .LBB144_144
; %bb.143:
	v_lshlrev_b32_e32 v11, 2, v0
	ds_load_b32 v13, v11 offset:1024
	v_add_co_u32 v11, vcc_lo, v3, v0
	v_add_co_ci_u32_e32 v12, vcc_lo, 0, v9, vcc_lo
	s_delay_alu instid0(VALU_DEP_1) | instskip(NEXT) | instid1(VALU_DEP_1)
	v_lshlrev_b64 v[11:12], 2, v[11:12]
	v_sub_co_u32 v11, vcc_lo, s1, v11
	s_delay_alu instid0(VALU_DEP_2)
	v_sub_co_ci_u32_e32 v12, vcc_lo, s0, v12, vcc_lo
	s_waitcnt lgkmcnt(0)
	global_store_b32 v[11:12], v13, off offset:-1024
.LBB144_144:
	s_and_not1_saveexec_b32 s4, s4
	s_cbranch_execz .LBB144_146
; %bb.145:
	v_lshlrev_b32_e32 v11, 2, v0
	v_readfirstlane_b32 s6, v5
	v_readfirstlane_b32 s7, v6
	ds_load_b32 v12, v11 offset:1024
	s_waitcnt lgkmcnt(0)
	global_store_b32 v11, v12, s[6:7] offset:1024
.LBB144_146:
	s_or_b32 exec_lo, exec_lo, s4
.LBB144_147:
	s_and_not1_saveexec_b32 s2, s2
	s_cbranch_execz .LBB144_149
; %bb.148:
	v_lshlrev_b32_e32 v11, 2, v0
	v_readfirstlane_b32 s4, v7
	v_readfirstlane_b32 s5, v8
	ds_load_b32 v12, v11 offset:1024
	s_waitcnt lgkmcnt(0)
	global_store_b32 v11, v12, s[4:5] offset:1024
.LBB144_149:
	s_or_b32 exec_lo, exec_lo, s2
	v_or_b32_e32 v11, 0x200, v0
	s_mov_b32 s2, exec_lo
	s_delay_alu instid0(VALU_DEP_1)
	v_cmpx_le_u32_e64 v1, v11
	s_xor_b32 s2, exec_lo, s2
	s_cbranch_execz .LBB144_155
; %bb.150:
	s_mov_b32 s4, exec_lo
	v_cmpx_le_u32_e64 v10, v11
	s_xor_b32 s4, exec_lo, s4
	s_cbranch_execz .LBB144_152
; %bb.151:
	v_lshlrev_b32_e32 v11, 2, v0
	ds_load_b32 v13, v11 offset:2048
	v_add_co_u32 v11, vcc_lo, v3, v0
	v_add_co_ci_u32_e32 v12, vcc_lo, 0, v9, vcc_lo
	s_delay_alu instid0(VALU_DEP_1) | instskip(NEXT) | instid1(VALU_DEP_1)
	v_lshlrev_b64 v[11:12], 2, v[11:12]
	v_sub_co_u32 v11, vcc_lo, s1, v11
	s_delay_alu instid0(VALU_DEP_2)
	v_sub_co_ci_u32_e32 v12, vcc_lo, s0, v12, vcc_lo
	s_waitcnt lgkmcnt(0)
	global_store_b32 v[11:12], v13, off offset:-2048
.LBB144_152:
	s_and_not1_saveexec_b32 s4, s4
	s_cbranch_execz .LBB144_154
; %bb.153:
	v_lshlrev_b32_e32 v11, 2, v0
	v_readfirstlane_b32 s6, v5
	v_readfirstlane_b32 s7, v6
	ds_load_b32 v12, v11 offset:2048
	s_waitcnt lgkmcnt(0)
	global_store_b32 v11, v12, s[6:7] offset:2048
.LBB144_154:
	s_or_b32 exec_lo, exec_lo, s4
.LBB144_155:
	s_and_not1_saveexec_b32 s2, s2
	s_cbranch_execz .LBB144_157
; %bb.156:
	v_lshlrev_b32_e32 v11, 2, v0
	v_readfirstlane_b32 s4, v7
	v_readfirstlane_b32 s5, v8
	ds_load_b32 v12, v11 offset:2048
	s_waitcnt lgkmcnt(0)
	global_store_b32 v11, v12, s[4:5] offset:2048
.LBB144_157:
	;; [unrolled: 47-line block ×3, first 2 shown]
	s_or_b32 exec_lo, exec_lo, s2
	v_or_b32_e32 v11, 0x400, v0
	s_mov_b32 s2, exec_lo
	s_delay_alu instid0(VALU_DEP_1)
	v_cmpx_le_u32_e64 v1, v11
	s_xor_b32 s2, exec_lo, s2
	s_cbranch_execz .LBB144_171
; %bb.166:
	s_mov_b32 s4, exec_lo
	v_cmpx_le_u32_e64 v10, v11
	s_xor_b32 s4, exec_lo, s4
	s_cbranch_execz .LBB144_168
; %bb.167:
	v_lshlrev_b32_e32 v11, 2, v0
	ds_load_b32 v13, v11 offset:4096
	v_add_co_u32 v11, vcc_lo, v3, v0
	v_add_co_ci_u32_e32 v12, vcc_lo, 0, v9, vcc_lo
	s_delay_alu instid0(VALU_DEP_1) | instskip(NEXT) | instid1(VALU_DEP_1)
	v_lshlrev_b64 v[11:12], 2, v[11:12]
	v_sub_co_u32 v11, vcc_lo, s1, v11
	s_delay_alu instid0(VALU_DEP_2)
	v_sub_co_ci_u32_e32 v12, vcc_lo, s0, v12, vcc_lo
	s_waitcnt lgkmcnt(0)
	global_store_b32 v[11:12], v13, off offset:-4096
                                        ; implicit-def: $vgpr11
.LBB144_168:
	s_and_not1_saveexec_b32 s4, s4
	s_cbranch_execz .LBB144_170
; %bb.169:
	v_lshlrev_b32_e32 v12, 2, v0
	v_lshlrev_b32_e32 v11, 2, v11
	v_readfirstlane_b32 s6, v5
	v_readfirstlane_b32 s7, v6
	ds_load_b32 v12, v12 offset:4096
	s_waitcnt lgkmcnt(0)
	global_store_b32 v11, v12, s[6:7]
.LBB144_170:
	s_or_b32 exec_lo, exec_lo, s4
                                        ; implicit-def: $vgpr11
.LBB144_171:
	s_and_not1_saveexec_b32 s2, s2
	s_cbranch_execz .LBB144_173
; %bb.172:
	v_lshlrev_b32_e32 v12, 2, v0
	v_lshlrev_b32_e32 v11, 2, v11
	v_readfirstlane_b32 s4, v7
	v_readfirstlane_b32 s5, v8
	ds_load_b32 v12, v12 offset:4096
	s_waitcnt lgkmcnt(0)
	global_store_b32 v11, v12, s[4:5]
.LBB144_173:
	s_or_b32 exec_lo, exec_lo, s2
	v_or_b32_e32 v11, 0x500, v0
	s_mov_b32 s2, exec_lo
	s_delay_alu instid0(VALU_DEP_1)
	v_cmpx_le_u32_e64 v1, v11
	s_xor_b32 s2, exec_lo, s2
	s_cbranch_execz .LBB144_179
; %bb.174:
	s_mov_b32 s4, exec_lo
	v_cmpx_le_u32_e64 v10, v11
	s_xor_b32 s4, exec_lo, s4
	s_cbranch_execz .LBB144_176
; %bb.175:
	v_lshlrev_b32_e32 v12, 2, v0
	v_add_co_u32 v11, vcc_lo, v3, v11
	ds_load_b32 v13, v12 offset:5120
	v_add_co_ci_u32_e32 v12, vcc_lo, 0, v9, vcc_lo
	s_delay_alu instid0(VALU_DEP_1) | instskip(NEXT) | instid1(VALU_DEP_1)
	v_lshlrev_b64 v[11:12], 2, v[11:12]
	v_sub_co_u32 v11, vcc_lo, s1, v11
	s_delay_alu instid0(VALU_DEP_2)
	v_sub_co_ci_u32_e32 v12, vcc_lo, s0, v12, vcc_lo
	s_waitcnt lgkmcnt(0)
	global_store_b32 v[11:12], v13, off
                                        ; implicit-def: $vgpr11
.LBB144_176:
	s_and_not1_saveexec_b32 s4, s4
	s_cbranch_execz .LBB144_178
; %bb.177:
	v_lshlrev_b32_e32 v12, 2, v0
	v_lshlrev_b32_e32 v11, 2, v11
	v_readfirstlane_b32 s6, v5
	v_readfirstlane_b32 s7, v6
	ds_load_b32 v12, v12 offset:5120
	s_waitcnt lgkmcnt(0)
	global_store_b32 v11, v12, s[6:7]
.LBB144_178:
	s_or_b32 exec_lo, exec_lo, s4
                                        ; implicit-def: $vgpr11
.LBB144_179:
	s_and_not1_saveexec_b32 s2, s2
	s_cbranch_execz .LBB144_181
; %bb.180:
	v_lshlrev_b32_e32 v12, 2, v0
	v_lshlrev_b32_e32 v11, 2, v11
	v_readfirstlane_b32 s4, v7
	v_readfirstlane_b32 s5, v8
	ds_load_b32 v12, v12 offset:5120
	s_waitcnt lgkmcnt(0)
	global_store_b32 v11, v12, s[4:5]
.LBB144_181:
	s_or_b32 exec_lo, exec_lo, s2
	v_or_b32_e32 v11, 0x600, v0
	s_mov_b32 s2, exec_lo
	s_delay_alu instid0(VALU_DEP_1)
	v_cmpx_le_u32_e64 v1, v11
	s_xor_b32 s2, exec_lo, s2
	s_cbranch_execz .LBB144_187
; %bb.182:
	s_mov_b32 s4, exec_lo
	v_cmpx_le_u32_e64 v10, v11
	s_xor_b32 s4, exec_lo, s4
	s_cbranch_execz .LBB144_184
; %bb.183:
	v_lshlrev_b32_e32 v12, 2, v0
	v_add_co_u32 v11, vcc_lo, v3, v11
	ds_load_b32 v13, v12 offset:6144
	v_add_co_ci_u32_e32 v12, vcc_lo, 0, v9, vcc_lo
	s_delay_alu instid0(VALU_DEP_1) | instskip(NEXT) | instid1(VALU_DEP_1)
	v_lshlrev_b64 v[11:12], 2, v[11:12]
	v_sub_co_u32 v11, vcc_lo, s1, v11
	s_delay_alu instid0(VALU_DEP_2)
	v_sub_co_ci_u32_e32 v12, vcc_lo, s0, v12, vcc_lo
	s_waitcnt lgkmcnt(0)
	global_store_b32 v[11:12], v13, off
                                        ; implicit-def: $vgpr11
.LBB144_184:
	s_and_not1_saveexec_b32 s4, s4
	s_cbranch_execz .LBB144_186
; %bb.185:
	v_lshlrev_b32_e32 v12, 2, v0
	v_lshlrev_b32_e32 v11, 2, v11
	v_readfirstlane_b32 s6, v5
	v_readfirstlane_b32 s7, v6
	ds_load_b32 v12, v12 offset:6144
	s_waitcnt lgkmcnt(0)
	global_store_b32 v11, v12, s[6:7]
.LBB144_186:
	s_or_b32 exec_lo, exec_lo, s4
                                        ; implicit-def: $vgpr11
.LBB144_187:
	;; [unrolled: 51-line block ×8, first 2 shown]
	s_and_not1_saveexec_b32 s2, s2
	s_cbranch_execz .LBB144_237
; %bb.236:
	v_lshlrev_b32_e32 v12, 2, v0
	v_lshlrev_b32_e32 v11, 2, v11
	v_readfirstlane_b32 s4, v7
	v_readfirstlane_b32 s5, v8
	ds_load_b32 v12, v12 offset:12288
	s_waitcnt lgkmcnt(0)
	global_store_b32 v11, v12, s[4:5]
.LBB144_237:
	s_or_b32 exec_lo, exec_lo, s2
	s_branch .LBB144_131
.LBB144_238:
	s_mov_b32 s2, exec_lo
	v_cmpx_gt_u32_e64 s3, v0
	s_cbranch_execz .LBB144_247
; %bb.239:
	s_mov_b32 s4, exec_lo
	v_cmpx_le_u32_e64 v1, v0
	s_xor_b32 s4, exec_lo, s4
	s_cbranch_execz .LBB144_245
; %bb.240:
	s_mov_b32 s5, exec_lo
	v_cmpx_le_u32_e64 v10, v0
	s_xor_b32 s5, exec_lo, s5
	s_cbranch_execz .LBB144_242
; %bb.241:
	v_lshlrev_b32_e32 v11, 2, v0
	ds_load_b32 v13, v11
	v_add_co_u32 v11, vcc_lo, v3, v0
	v_add_co_ci_u32_e32 v12, vcc_lo, 0, v9, vcc_lo
	s_delay_alu instid0(VALU_DEP_1) | instskip(NEXT) | instid1(VALU_DEP_1)
	v_lshlrev_b64 v[11:12], 2, v[11:12]
	v_sub_co_u32 v11, vcc_lo, s26, v11
	s_delay_alu instid0(VALU_DEP_2)
	v_sub_co_ci_u32_e32 v12, vcc_lo, s27, v12, vcc_lo
	s_waitcnt lgkmcnt(0)
	global_store_b32 v[11:12], v13, off offset:-4
.LBB144_242:
	s_and_not1_saveexec_b32 s5, s5
	s_cbranch_execz .LBB144_244
; %bb.243:
	v_lshlrev_b32_e32 v11, 2, v0
	v_readfirstlane_b32 s6, v5
	v_readfirstlane_b32 s7, v6
	ds_load_b32 v12, v11
	s_waitcnt lgkmcnt(0)
	global_store_b32 v11, v12, s[6:7]
.LBB144_244:
	s_or_b32 exec_lo, exec_lo, s5
.LBB144_245:
	s_and_not1_saveexec_b32 s4, s4
	s_cbranch_execz .LBB144_247
; %bb.246:
	v_lshlrev_b32_e32 v11, 2, v0
	v_readfirstlane_b32 s4, v7
	v_readfirstlane_b32 s5, v8
	ds_load_b32 v12, v11
	s_waitcnt lgkmcnt(0)
	global_store_b32 v11, v12, s[4:5]
.LBB144_247:
	s_or_b32 exec_lo, exec_lo, s2
	v_or_b32_e32 v11, 0x100, v0
	s_mov_b32 s2, exec_lo
	s_delay_alu instid0(VALU_DEP_1)
	v_cmpx_gt_u32_e64 s3, v11
	s_cbranch_execz .LBB144_256
; %bb.248:
	s_mov_b32 s4, exec_lo
	v_cmpx_le_u32_e64 v1, v11
	s_xor_b32 s4, exec_lo, s4
	s_cbranch_execz .LBB144_254
; %bb.249:
	s_mov_b32 s5, exec_lo
	v_cmpx_le_u32_e64 v10, v11
	s_xor_b32 s5, exec_lo, s5
	s_cbranch_execz .LBB144_251
; %bb.250:
	v_lshlrev_b32_e32 v11, 2, v0
	ds_load_b32 v13, v11 offset:1024
	v_add_co_u32 v11, vcc_lo, v3, v0
	v_add_co_ci_u32_e32 v12, vcc_lo, 0, v9, vcc_lo
	s_delay_alu instid0(VALU_DEP_1) | instskip(NEXT) | instid1(VALU_DEP_1)
	v_lshlrev_b64 v[11:12], 2, v[11:12]
	v_sub_co_u32 v11, vcc_lo, s1, v11
	s_delay_alu instid0(VALU_DEP_2)
	v_sub_co_ci_u32_e32 v12, vcc_lo, s0, v12, vcc_lo
	s_waitcnt lgkmcnt(0)
	global_store_b32 v[11:12], v13, off offset:-1024
.LBB144_251:
	s_and_not1_saveexec_b32 s5, s5
	s_cbranch_execz .LBB144_253
; %bb.252:
	v_lshlrev_b32_e32 v11, 2, v0
	v_readfirstlane_b32 s6, v5
	v_readfirstlane_b32 s7, v6
	ds_load_b32 v12, v11 offset:1024
	s_waitcnt lgkmcnt(0)
	global_store_b32 v11, v12, s[6:7] offset:1024
.LBB144_253:
	s_or_b32 exec_lo, exec_lo, s5
.LBB144_254:
	s_and_not1_saveexec_b32 s4, s4
	s_cbranch_execz .LBB144_256
; %bb.255:
	v_lshlrev_b32_e32 v11, 2, v0
	v_readfirstlane_b32 s4, v7
	v_readfirstlane_b32 s5, v8
	ds_load_b32 v12, v11 offset:1024
	s_waitcnt lgkmcnt(0)
	global_store_b32 v11, v12, s[4:5] offset:1024
.LBB144_256:
	s_or_b32 exec_lo, exec_lo, s2
	v_or_b32_e32 v11, 0x200, v0
	s_mov_b32 s2, exec_lo
	s_delay_alu instid0(VALU_DEP_1)
	v_cmpx_gt_u32_e64 s3, v11
	s_cbranch_execz .LBB144_265
; %bb.257:
	s_mov_b32 s4, exec_lo
	v_cmpx_le_u32_e64 v1, v11
	s_xor_b32 s4, exec_lo, s4
	s_cbranch_execz .LBB144_263
; %bb.258:
	s_mov_b32 s5, exec_lo
	v_cmpx_le_u32_e64 v10, v11
	s_xor_b32 s5, exec_lo, s5
	s_cbranch_execz .LBB144_260
; %bb.259:
	v_lshlrev_b32_e32 v11, 2, v0
	ds_load_b32 v13, v11 offset:2048
	v_add_co_u32 v11, vcc_lo, v3, v0
	v_add_co_ci_u32_e32 v12, vcc_lo, 0, v9, vcc_lo
	s_delay_alu instid0(VALU_DEP_1) | instskip(NEXT) | instid1(VALU_DEP_1)
	v_lshlrev_b64 v[11:12], 2, v[11:12]
	v_sub_co_u32 v11, vcc_lo, s1, v11
	s_delay_alu instid0(VALU_DEP_2)
	v_sub_co_ci_u32_e32 v12, vcc_lo, s0, v12, vcc_lo
	s_waitcnt lgkmcnt(0)
	global_store_b32 v[11:12], v13, off offset:-2048
.LBB144_260:
	s_and_not1_saveexec_b32 s5, s5
	s_cbranch_execz .LBB144_262
; %bb.261:
	v_lshlrev_b32_e32 v11, 2, v0
	v_readfirstlane_b32 s6, v5
	v_readfirstlane_b32 s7, v6
	ds_load_b32 v12, v11 offset:2048
	s_waitcnt lgkmcnt(0)
	global_store_b32 v11, v12, s[6:7] offset:2048
.LBB144_262:
	s_or_b32 exec_lo, exec_lo, s5
.LBB144_263:
	s_and_not1_saveexec_b32 s4, s4
	s_cbranch_execz .LBB144_265
; %bb.264:
	v_lshlrev_b32_e32 v11, 2, v0
	v_readfirstlane_b32 s4, v7
	v_readfirstlane_b32 s5, v8
	ds_load_b32 v12, v11 offset:2048
	s_waitcnt lgkmcnt(0)
	global_store_b32 v11, v12, s[4:5] offset:2048
.LBB144_265:
	;; [unrolled: 51-line block ×3, first 2 shown]
	s_or_b32 exec_lo, exec_lo, s2
	v_or_b32_e32 v11, 0x400, v0
	s_mov_b32 s2, exec_lo
	s_delay_alu instid0(VALU_DEP_1)
	v_cmpx_gt_u32_e64 s3, v11
	s_cbranch_execz .LBB144_283
; %bb.275:
	s_mov_b32 s4, exec_lo
	v_cmpx_le_u32_e64 v1, v11
	s_xor_b32 s4, exec_lo, s4
	s_cbranch_execz .LBB144_281
; %bb.276:
	s_mov_b32 s5, exec_lo
	v_cmpx_le_u32_e64 v10, v11
	s_xor_b32 s5, exec_lo, s5
	s_cbranch_execz .LBB144_278
; %bb.277:
	v_lshlrev_b32_e32 v11, 2, v0
	ds_load_b32 v13, v11 offset:4096
	v_add_co_u32 v11, vcc_lo, v3, v0
	v_add_co_ci_u32_e32 v12, vcc_lo, 0, v9, vcc_lo
	s_delay_alu instid0(VALU_DEP_1) | instskip(NEXT) | instid1(VALU_DEP_1)
	v_lshlrev_b64 v[11:12], 2, v[11:12]
	v_sub_co_u32 v11, vcc_lo, s1, v11
	s_delay_alu instid0(VALU_DEP_2)
	v_sub_co_ci_u32_e32 v12, vcc_lo, s0, v12, vcc_lo
	s_waitcnt lgkmcnt(0)
	global_store_b32 v[11:12], v13, off offset:-4096
                                        ; implicit-def: $vgpr11
.LBB144_278:
	s_and_not1_saveexec_b32 s5, s5
	s_cbranch_execz .LBB144_280
; %bb.279:
	v_lshlrev_b32_e32 v12, 2, v0
	v_lshlrev_b32_e32 v11, 2, v11
	v_readfirstlane_b32 s6, v5
	v_readfirstlane_b32 s7, v6
	ds_load_b32 v12, v12 offset:4096
	s_waitcnt lgkmcnt(0)
	global_store_b32 v11, v12, s[6:7]
.LBB144_280:
	s_or_b32 exec_lo, exec_lo, s5
                                        ; implicit-def: $vgpr11
.LBB144_281:
	s_and_not1_saveexec_b32 s4, s4
	s_cbranch_execz .LBB144_283
; %bb.282:
	v_lshlrev_b32_e32 v12, 2, v0
	v_lshlrev_b32_e32 v11, 2, v11
	v_readfirstlane_b32 s4, v7
	v_readfirstlane_b32 s5, v8
	ds_load_b32 v12, v12 offset:4096
	s_waitcnt lgkmcnt(0)
	global_store_b32 v11, v12, s[4:5]
.LBB144_283:
	s_or_b32 exec_lo, exec_lo, s2
	v_or_b32_e32 v11, 0x500, v0
	s_mov_b32 s2, exec_lo
	s_delay_alu instid0(VALU_DEP_1)
	v_cmpx_gt_u32_e64 s3, v11
	s_cbranch_execz .LBB144_292
; %bb.284:
	s_mov_b32 s4, exec_lo
	v_cmpx_le_u32_e64 v1, v11
	s_xor_b32 s4, exec_lo, s4
	s_cbranch_execz .LBB144_290
; %bb.285:
	s_mov_b32 s5, exec_lo
	v_cmpx_le_u32_e64 v10, v11
	s_xor_b32 s5, exec_lo, s5
	s_cbranch_execz .LBB144_287
; %bb.286:
	v_lshlrev_b32_e32 v12, 2, v0
	v_add_co_u32 v11, vcc_lo, v3, v11
	ds_load_b32 v13, v12 offset:5120
	v_add_co_ci_u32_e32 v12, vcc_lo, 0, v9, vcc_lo
	s_delay_alu instid0(VALU_DEP_1) | instskip(NEXT) | instid1(VALU_DEP_1)
	v_lshlrev_b64 v[11:12], 2, v[11:12]
	v_sub_co_u32 v11, vcc_lo, s1, v11
	s_delay_alu instid0(VALU_DEP_2)
	v_sub_co_ci_u32_e32 v12, vcc_lo, s0, v12, vcc_lo
	s_waitcnt lgkmcnt(0)
	global_store_b32 v[11:12], v13, off
                                        ; implicit-def: $vgpr11
.LBB144_287:
	s_and_not1_saveexec_b32 s5, s5
	s_cbranch_execz .LBB144_289
; %bb.288:
	v_lshlrev_b32_e32 v12, 2, v0
	v_lshlrev_b32_e32 v11, 2, v11
	v_readfirstlane_b32 s6, v5
	v_readfirstlane_b32 s7, v6
	ds_load_b32 v12, v12 offset:5120
	s_waitcnt lgkmcnt(0)
	global_store_b32 v11, v12, s[6:7]
.LBB144_289:
	s_or_b32 exec_lo, exec_lo, s5
                                        ; implicit-def: $vgpr11
.LBB144_290:
	s_and_not1_saveexec_b32 s4, s4
	s_cbranch_execz .LBB144_292
; %bb.291:
	v_lshlrev_b32_e32 v12, 2, v0
	v_lshlrev_b32_e32 v11, 2, v11
	v_readfirstlane_b32 s4, v7
	v_readfirstlane_b32 s5, v8
	ds_load_b32 v12, v12 offset:5120
	s_waitcnt lgkmcnt(0)
	global_store_b32 v11, v12, s[4:5]
.LBB144_292:
	s_or_b32 exec_lo, exec_lo, s2
	v_or_b32_e32 v11, 0x600, v0
	s_mov_b32 s2, exec_lo
	s_delay_alu instid0(VALU_DEP_1)
	v_cmpx_gt_u32_e64 s3, v11
	s_cbranch_execz .LBB144_301
; %bb.293:
	s_mov_b32 s4, exec_lo
	v_cmpx_le_u32_e64 v1, v11
	s_xor_b32 s4, exec_lo, s4
	s_cbranch_execz .LBB144_299
; %bb.294:
	s_mov_b32 s5, exec_lo
	v_cmpx_le_u32_e64 v10, v11
	s_xor_b32 s5, exec_lo, s5
	s_cbranch_execz .LBB144_296
; %bb.295:
	v_lshlrev_b32_e32 v12, 2, v0
	v_add_co_u32 v11, vcc_lo, v3, v11
	ds_load_b32 v13, v12 offset:6144
	v_add_co_ci_u32_e32 v12, vcc_lo, 0, v9, vcc_lo
	s_delay_alu instid0(VALU_DEP_1) | instskip(NEXT) | instid1(VALU_DEP_1)
	v_lshlrev_b64 v[11:12], 2, v[11:12]
	v_sub_co_u32 v11, vcc_lo, s1, v11
	s_delay_alu instid0(VALU_DEP_2)
	v_sub_co_ci_u32_e32 v12, vcc_lo, s0, v12, vcc_lo
	s_waitcnt lgkmcnt(0)
	global_store_b32 v[11:12], v13, off
                                        ; implicit-def: $vgpr11
.LBB144_296:
	s_and_not1_saveexec_b32 s5, s5
	s_cbranch_execz .LBB144_298
; %bb.297:
	v_lshlrev_b32_e32 v12, 2, v0
	v_lshlrev_b32_e32 v11, 2, v11
	v_readfirstlane_b32 s6, v5
	v_readfirstlane_b32 s7, v6
	ds_load_b32 v12, v12 offset:6144
	s_waitcnt lgkmcnt(0)
	global_store_b32 v11, v12, s[6:7]
.LBB144_298:
	s_or_b32 exec_lo, exec_lo, s5
                                        ; implicit-def: $vgpr11
.LBB144_299:
	s_and_not1_saveexec_b32 s4, s4
	s_cbranch_execz .LBB144_301
; %bb.300:
	v_lshlrev_b32_e32 v12, 2, v0
	v_lshlrev_b32_e32 v11, 2, v11
	v_readfirstlane_b32 s4, v7
	v_readfirstlane_b32 s5, v8
	ds_load_b32 v12, v12 offset:6144
	s_waitcnt lgkmcnt(0)
	global_store_b32 v11, v12, s[4:5]
.LBB144_301:
	;; [unrolled: 55-line block ×7, first 2 shown]
	s_or_b32 exec_lo, exec_lo, s2
	v_or_b32_e32 v11, 0xc00, v0
	s_mov_b32 s2, exec_lo
	s_delay_alu instid0(VALU_DEP_1)
	v_cmpx_gt_u32_e64 s3, v11
	s_cbranch_execz .LBB144_355
; %bb.347:
	s_mov_b32 s3, exec_lo
	v_cmpx_le_u32_e64 v1, v11
	s_xor_b32 s3, exec_lo, s3
	s_cbranch_execz .LBB144_353
; %bb.348:
	s_mov_b32 s4, exec_lo
	v_cmpx_le_u32_e64 v10, v11
	s_xor_b32 s4, exec_lo, s4
	s_cbranch_execz .LBB144_350
; %bb.349:
	v_lshlrev_b32_e32 v5, 2, v0
	ds_load_b32 v7, v5 offset:12288
	v_add_co_u32 v5, vcc_lo, v3, v11
	v_add_co_ci_u32_e32 v6, vcc_lo, 0, v9, vcc_lo
                                        ; implicit-def: $vgpr11
	s_delay_alu instid0(VALU_DEP_1) | instskip(NEXT) | instid1(VALU_DEP_1)
	v_lshlrev_b64 v[5:6], 2, v[5:6]
	v_sub_co_u32 v5, vcc_lo, s1, v5
	s_delay_alu instid0(VALU_DEP_2)
	v_sub_co_ci_u32_e32 v6, vcc_lo, s0, v6, vcc_lo
	s_waitcnt lgkmcnt(0)
	global_store_b32 v[5:6], v7, off
                                        ; implicit-def: $vgpr5_vgpr6
.LBB144_350:
	s_and_not1_saveexec_b32 s0, s4
	s_cbranch_execz .LBB144_352
; %bb.351:
	v_lshlrev_b32_e32 v3, 2, v0
	v_lshlrev_b32_e32 v7, 2, v11
	v_readfirstlane_b32 s4, v5
	v_readfirstlane_b32 s5, v6
	ds_load_b32 v3, v3 offset:12288
	s_waitcnt lgkmcnt(0)
	global_store_b32 v7, v3, s[4:5]
.LBB144_352:
	s_or_b32 exec_lo, exec_lo, s0
                                        ; implicit-def: $vgpr11
                                        ; implicit-def: $vgpr7_vgpr8
.LBB144_353:
	s_and_not1_saveexec_b32 s0, s3
	s_cbranch_execz .LBB144_355
; %bb.354:
	v_lshlrev_b32_e32 v3, 2, v0
	v_lshlrev_b32_e32 v5, 2, v11
	v_readfirstlane_b32 s0, v7
	v_readfirstlane_b32 s1, v8
	ds_load_b32 v3, v3 offset:12288
	s_waitcnt lgkmcnt(0)
	global_store_b32 v5, v3, s[0:1]
.LBB144_355:
	s_or_b32 exec_lo, exec_lo, s2
	v_cmp_eq_u32_e32 vcc_lo, 0, v0
	s_and_b32 s0, vcc_lo, s14
	s_delay_alu instid0(SALU_CYCLE_1)
	s_and_saveexec_b32 s1, s0
	s_cbranch_execz .LBB144_132
.LBB144_356:
	v_add_co_u32 v2, s0, s30, v2
	s_delay_alu instid0(VALU_DEP_1) | instskip(SKIP_2) | instid1(VALU_DEP_4)
	v_add_co_ci_u32_e64 v3, null, s31, 0, s0
	v_add_co_u32 v0, vcc_lo, v18, v1
	v_add_co_ci_u32_e32 v1, vcc_lo, 0, v19, vcc_lo
	v_add_co_u32 v2, vcc_lo, v2, v4
	v_mov_b32_e32 v5, 0
	v_add_co_ci_u32_e32 v3, vcc_lo, 0, v3, vcc_lo
	global_store_b128 v5, v[0:3], s[24:25]
	s_nop 0
	s_sendmsg sendmsg(MSG_DEALLOC_VGPRS)
	s_endpgm
.LBB144_357:
	v_add_nc_u32_e32 v3, s7, v23
	s_add_i32 s10, s15, 32
	s_mov_b32 s11, 0
	v_dual_mov_b32 v5, 0 :: v_dual_add_nc_u32 v2, v22, v1
	s_lshl_b64 s[10:11], s[10:11], 4
	v_and_b32_e32 v20, 0xff0000, v3
	s_add_u32 s10, s4, s10
	s_addc_u32 s11, s5, s11
	v_and_b32_e32 v4, 0xff000000, v3
	s_delay_alu instid0(VALU_DEP_1) | instskip(SKIP_2) | instid1(VALU_DEP_1)
	v_or_b32_e32 v20, v20, v4
	v_dual_mov_b32 v4, 2 :: v_dual_and_b32 v21, 0xff00, v3
	v_and_b32_e32 v3, 0xff, v3
	v_or3_b32 v3, v20, v21, v3
	v_dual_mov_b32 v21, s11 :: v_dual_mov_b32 v20, s10
	;;#ASMSTART
	global_store_dwordx4 v[20:21], v[2:5] off	
s_waitcnt vmcnt(0)
	;;#ASMEND
	s_or_b32 exec_lo, exec_lo, s8
	s_and_saveexec_b32 s8, s2
	s_cbranch_execz .LBB144_116
.LBB144_358:
	v_mov_b32_e32 v2, s7
	v_add_nc_u32_e64 v3, 0x3400, 0
	ds_store_2addr_b32 v3, v1, v2 offset1:2
	ds_store_2addr_b32 v3, v22, v23 offset0:4 offset1:6
	s_or_b32 exec_lo, exec_lo, s8
	v_cmp_eq_u32_e32 vcc_lo, 0, v0
	s_and_b32 exec_lo, exec_lo, vcc_lo
	s_cbranch_execnz .LBB144_117
	s_branch .LBB144_118
	.section	.rodata,"a",@progbits
	.p2align	6, 0x0
	.amdhsa_kernel _ZN7rocprim17ROCPRIM_400000_NS6detail17trampoline_kernelINS0_13select_configILj256ELj13ELNS0_17block_load_methodE3ELS4_3ELS4_3ELNS0_20block_scan_algorithmE0ELj4294967295EEENS1_25partition_config_selectorILNS1_17partition_subalgoE4EjNS0_10empty_typeEbEEZZNS1_14partition_implILS8_4ELb0ES6_15HIP_vector_typeIjLj2EENS0_17counting_iteratorIjlEEPS9_SG_NS0_5tupleIJPjSI_NS0_16reverse_iteratorISI_EEEEENSH_IJSG_SG_SG_EEES9_SI_JZNS1_25segmented_radix_sort_implINS0_14default_configELb0EPKhPhPKlPlN2at6native12_GLOBAL__N_18offset_tEEE10hipError_tPvRmT1_PNSt15iterator_traitsIS12_E10value_typeET2_T3_PNS13_IS18_E10value_typeET4_jRbjT5_S1E_jjP12ihipStream_tbEUljE_ZNSN_ISO_Lb0ESQ_SR_ST_SU_SY_EESZ_S10_S11_S12_S16_S17_S18_S1B_S1C_jS1D_jS1E_S1E_jjS1G_bEUljE0_EEESZ_S10_S11_S18_S1C_S1E_T6_T7_T9_mT8_S1G_bDpT10_ENKUlT_T0_E_clISt17integral_constantIbLb1EES1T_IbLb0EEEEDaS1P_S1Q_EUlS1P_E_NS1_11comp_targetILNS1_3genE9ELNS1_11target_archE1100ELNS1_3gpuE3ELNS1_3repE0EEENS1_30default_config_static_selectorELNS0_4arch9wavefront6targetE0EEEvS12_
		.amdhsa_group_segment_fixed_size 13340
		.amdhsa_private_segment_fixed_size 0
		.amdhsa_kernarg_size 176
		.amdhsa_user_sgpr_count 15
		.amdhsa_user_sgpr_dispatch_ptr 0
		.amdhsa_user_sgpr_queue_ptr 0
		.amdhsa_user_sgpr_kernarg_segment_ptr 1
		.amdhsa_user_sgpr_dispatch_id 0
		.amdhsa_user_sgpr_private_segment_size 0
		.amdhsa_wavefront_size32 1
		.amdhsa_uses_dynamic_stack 0
		.amdhsa_enable_private_segment 0
		.amdhsa_system_sgpr_workgroup_id_x 1
		.amdhsa_system_sgpr_workgroup_id_y 0
		.amdhsa_system_sgpr_workgroup_id_z 0
		.amdhsa_system_sgpr_workgroup_info 0
		.amdhsa_system_vgpr_workitem_id 0
		.amdhsa_next_free_vgpr 98
		.amdhsa_next_free_sgpr 59
		.amdhsa_reserve_vcc 1
		.amdhsa_float_round_mode_32 0
		.amdhsa_float_round_mode_16_64 0
		.amdhsa_float_denorm_mode_32 3
		.amdhsa_float_denorm_mode_16_64 3
		.amdhsa_dx10_clamp 1
		.amdhsa_ieee_mode 1
		.amdhsa_fp16_overflow 0
		.amdhsa_workgroup_processor_mode 1
		.amdhsa_memory_ordered 1
		.amdhsa_forward_progress 0
		.amdhsa_shared_vgpr_count 0
		.amdhsa_exception_fp_ieee_invalid_op 0
		.amdhsa_exception_fp_denorm_src 0
		.amdhsa_exception_fp_ieee_div_zero 0
		.amdhsa_exception_fp_ieee_overflow 0
		.amdhsa_exception_fp_ieee_underflow 0
		.amdhsa_exception_fp_ieee_inexact 0
		.amdhsa_exception_int_div_zero 0
	.end_amdhsa_kernel
	.section	.text._ZN7rocprim17ROCPRIM_400000_NS6detail17trampoline_kernelINS0_13select_configILj256ELj13ELNS0_17block_load_methodE3ELS4_3ELS4_3ELNS0_20block_scan_algorithmE0ELj4294967295EEENS1_25partition_config_selectorILNS1_17partition_subalgoE4EjNS0_10empty_typeEbEEZZNS1_14partition_implILS8_4ELb0ES6_15HIP_vector_typeIjLj2EENS0_17counting_iteratorIjlEEPS9_SG_NS0_5tupleIJPjSI_NS0_16reverse_iteratorISI_EEEEENSH_IJSG_SG_SG_EEES9_SI_JZNS1_25segmented_radix_sort_implINS0_14default_configELb0EPKhPhPKlPlN2at6native12_GLOBAL__N_18offset_tEEE10hipError_tPvRmT1_PNSt15iterator_traitsIS12_E10value_typeET2_T3_PNS13_IS18_E10value_typeET4_jRbjT5_S1E_jjP12ihipStream_tbEUljE_ZNSN_ISO_Lb0ESQ_SR_ST_SU_SY_EESZ_S10_S11_S12_S16_S17_S18_S1B_S1C_jS1D_jS1E_S1E_jjS1G_bEUljE0_EEESZ_S10_S11_S18_S1C_S1E_T6_T7_T9_mT8_S1G_bDpT10_ENKUlT_T0_E_clISt17integral_constantIbLb1EES1T_IbLb0EEEEDaS1P_S1Q_EUlS1P_E_NS1_11comp_targetILNS1_3genE9ELNS1_11target_archE1100ELNS1_3gpuE3ELNS1_3repE0EEENS1_30default_config_static_selectorELNS0_4arch9wavefront6targetE0EEEvS12_,"axG",@progbits,_ZN7rocprim17ROCPRIM_400000_NS6detail17trampoline_kernelINS0_13select_configILj256ELj13ELNS0_17block_load_methodE3ELS4_3ELS4_3ELNS0_20block_scan_algorithmE0ELj4294967295EEENS1_25partition_config_selectorILNS1_17partition_subalgoE4EjNS0_10empty_typeEbEEZZNS1_14partition_implILS8_4ELb0ES6_15HIP_vector_typeIjLj2EENS0_17counting_iteratorIjlEEPS9_SG_NS0_5tupleIJPjSI_NS0_16reverse_iteratorISI_EEEEENSH_IJSG_SG_SG_EEES9_SI_JZNS1_25segmented_radix_sort_implINS0_14default_configELb0EPKhPhPKlPlN2at6native12_GLOBAL__N_18offset_tEEE10hipError_tPvRmT1_PNSt15iterator_traitsIS12_E10value_typeET2_T3_PNS13_IS18_E10value_typeET4_jRbjT5_S1E_jjP12ihipStream_tbEUljE_ZNSN_ISO_Lb0ESQ_SR_ST_SU_SY_EESZ_S10_S11_S12_S16_S17_S18_S1B_S1C_jS1D_jS1E_S1E_jjS1G_bEUljE0_EEESZ_S10_S11_S18_S1C_S1E_T6_T7_T9_mT8_S1G_bDpT10_ENKUlT_T0_E_clISt17integral_constantIbLb1EES1T_IbLb0EEEEDaS1P_S1Q_EUlS1P_E_NS1_11comp_targetILNS1_3genE9ELNS1_11target_archE1100ELNS1_3gpuE3ELNS1_3repE0EEENS1_30default_config_static_selectorELNS0_4arch9wavefront6targetE0EEEvS12_,comdat
.Lfunc_end144:
	.size	_ZN7rocprim17ROCPRIM_400000_NS6detail17trampoline_kernelINS0_13select_configILj256ELj13ELNS0_17block_load_methodE3ELS4_3ELS4_3ELNS0_20block_scan_algorithmE0ELj4294967295EEENS1_25partition_config_selectorILNS1_17partition_subalgoE4EjNS0_10empty_typeEbEEZZNS1_14partition_implILS8_4ELb0ES6_15HIP_vector_typeIjLj2EENS0_17counting_iteratorIjlEEPS9_SG_NS0_5tupleIJPjSI_NS0_16reverse_iteratorISI_EEEEENSH_IJSG_SG_SG_EEES9_SI_JZNS1_25segmented_radix_sort_implINS0_14default_configELb0EPKhPhPKlPlN2at6native12_GLOBAL__N_18offset_tEEE10hipError_tPvRmT1_PNSt15iterator_traitsIS12_E10value_typeET2_T3_PNS13_IS18_E10value_typeET4_jRbjT5_S1E_jjP12ihipStream_tbEUljE_ZNSN_ISO_Lb0ESQ_SR_ST_SU_SY_EESZ_S10_S11_S12_S16_S17_S18_S1B_S1C_jS1D_jS1E_S1E_jjS1G_bEUljE0_EEESZ_S10_S11_S18_S1C_S1E_T6_T7_T9_mT8_S1G_bDpT10_ENKUlT_T0_E_clISt17integral_constantIbLb1EES1T_IbLb0EEEEDaS1P_S1Q_EUlS1P_E_NS1_11comp_targetILNS1_3genE9ELNS1_11target_archE1100ELNS1_3gpuE3ELNS1_3repE0EEENS1_30default_config_static_selectorELNS0_4arch9wavefront6targetE0EEEvS12_, .Lfunc_end144-_ZN7rocprim17ROCPRIM_400000_NS6detail17trampoline_kernelINS0_13select_configILj256ELj13ELNS0_17block_load_methodE3ELS4_3ELS4_3ELNS0_20block_scan_algorithmE0ELj4294967295EEENS1_25partition_config_selectorILNS1_17partition_subalgoE4EjNS0_10empty_typeEbEEZZNS1_14partition_implILS8_4ELb0ES6_15HIP_vector_typeIjLj2EENS0_17counting_iteratorIjlEEPS9_SG_NS0_5tupleIJPjSI_NS0_16reverse_iteratorISI_EEEEENSH_IJSG_SG_SG_EEES9_SI_JZNS1_25segmented_radix_sort_implINS0_14default_configELb0EPKhPhPKlPlN2at6native12_GLOBAL__N_18offset_tEEE10hipError_tPvRmT1_PNSt15iterator_traitsIS12_E10value_typeET2_T3_PNS13_IS18_E10value_typeET4_jRbjT5_S1E_jjP12ihipStream_tbEUljE_ZNSN_ISO_Lb0ESQ_SR_ST_SU_SY_EESZ_S10_S11_S12_S16_S17_S18_S1B_S1C_jS1D_jS1E_S1E_jjS1G_bEUljE0_EEESZ_S10_S11_S18_S1C_S1E_T6_T7_T9_mT8_S1G_bDpT10_ENKUlT_T0_E_clISt17integral_constantIbLb1EES1T_IbLb0EEEEDaS1P_S1Q_EUlS1P_E_NS1_11comp_targetILNS1_3genE9ELNS1_11target_archE1100ELNS1_3gpuE3ELNS1_3repE0EEENS1_30default_config_static_selectorELNS0_4arch9wavefront6targetE0EEEvS12_
                                        ; -- End function
	.section	.AMDGPU.csdata,"",@progbits
; Kernel info:
; codeLenInByte = 15084
; NumSgprs: 61
; NumVgprs: 98
; ScratchSize: 0
; MemoryBound: 0
; FloatMode: 240
; IeeeMode: 1
; LDSByteSize: 13340 bytes/workgroup (compile time only)
; SGPRBlocks: 7
; VGPRBlocks: 12
; NumSGPRsForWavesPerEU: 61
; NumVGPRsForWavesPerEU: 98
; Occupancy: 12
; WaveLimiterHint : 1
; COMPUTE_PGM_RSRC2:SCRATCH_EN: 0
; COMPUTE_PGM_RSRC2:USER_SGPR: 15
; COMPUTE_PGM_RSRC2:TRAP_HANDLER: 0
; COMPUTE_PGM_RSRC2:TGID_X_EN: 1
; COMPUTE_PGM_RSRC2:TGID_Y_EN: 0
; COMPUTE_PGM_RSRC2:TGID_Z_EN: 0
; COMPUTE_PGM_RSRC2:TIDIG_COMP_CNT: 0
	.section	.text._ZN7rocprim17ROCPRIM_400000_NS6detail17trampoline_kernelINS0_13select_configILj256ELj13ELNS0_17block_load_methodE3ELS4_3ELS4_3ELNS0_20block_scan_algorithmE0ELj4294967295EEENS1_25partition_config_selectorILNS1_17partition_subalgoE4EjNS0_10empty_typeEbEEZZNS1_14partition_implILS8_4ELb0ES6_15HIP_vector_typeIjLj2EENS0_17counting_iteratorIjlEEPS9_SG_NS0_5tupleIJPjSI_NS0_16reverse_iteratorISI_EEEEENSH_IJSG_SG_SG_EEES9_SI_JZNS1_25segmented_radix_sort_implINS0_14default_configELb0EPKhPhPKlPlN2at6native12_GLOBAL__N_18offset_tEEE10hipError_tPvRmT1_PNSt15iterator_traitsIS12_E10value_typeET2_T3_PNS13_IS18_E10value_typeET4_jRbjT5_S1E_jjP12ihipStream_tbEUljE_ZNSN_ISO_Lb0ESQ_SR_ST_SU_SY_EESZ_S10_S11_S12_S16_S17_S18_S1B_S1C_jS1D_jS1E_S1E_jjS1G_bEUljE0_EEESZ_S10_S11_S18_S1C_S1E_T6_T7_T9_mT8_S1G_bDpT10_ENKUlT_T0_E_clISt17integral_constantIbLb1EES1T_IbLb0EEEEDaS1P_S1Q_EUlS1P_E_NS1_11comp_targetILNS1_3genE8ELNS1_11target_archE1030ELNS1_3gpuE2ELNS1_3repE0EEENS1_30default_config_static_selectorELNS0_4arch9wavefront6targetE0EEEvS12_,"axG",@progbits,_ZN7rocprim17ROCPRIM_400000_NS6detail17trampoline_kernelINS0_13select_configILj256ELj13ELNS0_17block_load_methodE3ELS4_3ELS4_3ELNS0_20block_scan_algorithmE0ELj4294967295EEENS1_25partition_config_selectorILNS1_17partition_subalgoE4EjNS0_10empty_typeEbEEZZNS1_14partition_implILS8_4ELb0ES6_15HIP_vector_typeIjLj2EENS0_17counting_iteratorIjlEEPS9_SG_NS0_5tupleIJPjSI_NS0_16reverse_iteratorISI_EEEEENSH_IJSG_SG_SG_EEES9_SI_JZNS1_25segmented_radix_sort_implINS0_14default_configELb0EPKhPhPKlPlN2at6native12_GLOBAL__N_18offset_tEEE10hipError_tPvRmT1_PNSt15iterator_traitsIS12_E10value_typeET2_T3_PNS13_IS18_E10value_typeET4_jRbjT5_S1E_jjP12ihipStream_tbEUljE_ZNSN_ISO_Lb0ESQ_SR_ST_SU_SY_EESZ_S10_S11_S12_S16_S17_S18_S1B_S1C_jS1D_jS1E_S1E_jjS1G_bEUljE0_EEESZ_S10_S11_S18_S1C_S1E_T6_T7_T9_mT8_S1G_bDpT10_ENKUlT_T0_E_clISt17integral_constantIbLb1EES1T_IbLb0EEEEDaS1P_S1Q_EUlS1P_E_NS1_11comp_targetILNS1_3genE8ELNS1_11target_archE1030ELNS1_3gpuE2ELNS1_3repE0EEENS1_30default_config_static_selectorELNS0_4arch9wavefront6targetE0EEEvS12_,comdat
	.globl	_ZN7rocprim17ROCPRIM_400000_NS6detail17trampoline_kernelINS0_13select_configILj256ELj13ELNS0_17block_load_methodE3ELS4_3ELS4_3ELNS0_20block_scan_algorithmE0ELj4294967295EEENS1_25partition_config_selectorILNS1_17partition_subalgoE4EjNS0_10empty_typeEbEEZZNS1_14partition_implILS8_4ELb0ES6_15HIP_vector_typeIjLj2EENS0_17counting_iteratorIjlEEPS9_SG_NS0_5tupleIJPjSI_NS0_16reverse_iteratorISI_EEEEENSH_IJSG_SG_SG_EEES9_SI_JZNS1_25segmented_radix_sort_implINS0_14default_configELb0EPKhPhPKlPlN2at6native12_GLOBAL__N_18offset_tEEE10hipError_tPvRmT1_PNSt15iterator_traitsIS12_E10value_typeET2_T3_PNS13_IS18_E10value_typeET4_jRbjT5_S1E_jjP12ihipStream_tbEUljE_ZNSN_ISO_Lb0ESQ_SR_ST_SU_SY_EESZ_S10_S11_S12_S16_S17_S18_S1B_S1C_jS1D_jS1E_S1E_jjS1G_bEUljE0_EEESZ_S10_S11_S18_S1C_S1E_T6_T7_T9_mT8_S1G_bDpT10_ENKUlT_T0_E_clISt17integral_constantIbLb1EES1T_IbLb0EEEEDaS1P_S1Q_EUlS1P_E_NS1_11comp_targetILNS1_3genE8ELNS1_11target_archE1030ELNS1_3gpuE2ELNS1_3repE0EEENS1_30default_config_static_selectorELNS0_4arch9wavefront6targetE0EEEvS12_ ; -- Begin function _ZN7rocprim17ROCPRIM_400000_NS6detail17trampoline_kernelINS0_13select_configILj256ELj13ELNS0_17block_load_methodE3ELS4_3ELS4_3ELNS0_20block_scan_algorithmE0ELj4294967295EEENS1_25partition_config_selectorILNS1_17partition_subalgoE4EjNS0_10empty_typeEbEEZZNS1_14partition_implILS8_4ELb0ES6_15HIP_vector_typeIjLj2EENS0_17counting_iteratorIjlEEPS9_SG_NS0_5tupleIJPjSI_NS0_16reverse_iteratorISI_EEEEENSH_IJSG_SG_SG_EEES9_SI_JZNS1_25segmented_radix_sort_implINS0_14default_configELb0EPKhPhPKlPlN2at6native12_GLOBAL__N_18offset_tEEE10hipError_tPvRmT1_PNSt15iterator_traitsIS12_E10value_typeET2_T3_PNS13_IS18_E10value_typeET4_jRbjT5_S1E_jjP12ihipStream_tbEUljE_ZNSN_ISO_Lb0ESQ_SR_ST_SU_SY_EESZ_S10_S11_S12_S16_S17_S18_S1B_S1C_jS1D_jS1E_S1E_jjS1G_bEUljE0_EEESZ_S10_S11_S18_S1C_S1E_T6_T7_T9_mT8_S1G_bDpT10_ENKUlT_T0_E_clISt17integral_constantIbLb1EES1T_IbLb0EEEEDaS1P_S1Q_EUlS1P_E_NS1_11comp_targetILNS1_3genE8ELNS1_11target_archE1030ELNS1_3gpuE2ELNS1_3repE0EEENS1_30default_config_static_selectorELNS0_4arch9wavefront6targetE0EEEvS12_
	.p2align	8
	.type	_ZN7rocprim17ROCPRIM_400000_NS6detail17trampoline_kernelINS0_13select_configILj256ELj13ELNS0_17block_load_methodE3ELS4_3ELS4_3ELNS0_20block_scan_algorithmE0ELj4294967295EEENS1_25partition_config_selectorILNS1_17partition_subalgoE4EjNS0_10empty_typeEbEEZZNS1_14partition_implILS8_4ELb0ES6_15HIP_vector_typeIjLj2EENS0_17counting_iteratorIjlEEPS9_SG_NS0_5tupleIJPjSI_NS0_16reverse_iteratorISI_EEEEENSH_IJSG_SG_SG_EEES9_SI_JZNS1_25segmented_radix_sort_implINS0_14default_configELb0EPKhPhPKlPlN2at6native12_GLOBAL__N_18offset_tEEE10hipError_tPvRmT1_PNSt15iterator_traitsIS12_E10value_typeET2_T3_PNS13_IS18_E10value_typeET4_jRbjT5_S1E_jjP12ihipStream_tbEUljE_ZNSN_ISO_Lb0ESQ_SR_ST_SU_SY_EESZ_S10_S11_S12_S16_S17_S18_S1B_S1C_jS1D_jS1E_S1E_jjS1G_bEUljE0_EEESZ_S10_S11_S18_S1C_S1E_T6_T7_T9_mT8_S1G_bDpT10_ENKUlT_T0_E_clISt17integral_constantIbLb1EES1T_IbLb0EEEEDaS1P_S1Q_EUlS1P_E_NS1_11comp_targetILNS1_3genE8ELNS1_11target_archE1030ELNS1_3gpuE2ELNS1_3repE0EEENS1_30default_config_static_selectorELNS0_4arch9wavefront6targetE0EEEvS12_,@function
_ZN7rocprim17ROCPRIM_400000_NS6detail17trampoline_kernelINS0_13select_configILj256ELj13ELNS0_17block_load_methodE3ELS4_3ELS4_3ELNS0_20block_scan_algorithmE0ELj4294967295EEENS1_25partition_config_selectorILNS1_17partition_subalgoE4EjNS0_10empty_typeEbEEZZNS1_14partition_implILS8_4ELb0ES6_15HIP_vector_typeIjLj2EENS0_17counting_iteratorIjlEEPS9_SG_NS0_5tupleIJPjSI_NS0_16reverse_iteratorISI_EEEEENSH_IJSG_SG_SG_EEES9_SI_JZNS1_25segmented_radix_sort_implINS0_14default_configELb0EPKhPhPKlPlN2at6native12_GLOBAL__N_18offset_tEEE10hipError_tPvRmT1_PNSt15iterator_traitsIS12_E10value_typeET2_T3_PNS13_IS18_E10value_typeET4_jRbjT5_S1E_jjP12ihipStream_tbEUljE_ZNSN_ISO_Lb0ESQ_SR_ST_SU_SY_EESZ_S10_S11_S12_S16_S17_S18_S1B_S1C_jS1D_jS1E_S1E_jjS1G_bEUljE0_EEESZ_S10_S11_S18_S1C_S1E_T6_T7_T9_mT8_S1G_bDpT10_ENKUlT_T0_E_clISt17integral_constantIbLb1EES1T_IbLb0EEEEDaS1P_S1Q_EUlS1P_E_NS1_11comp_targetILNS1_3genE8ELNS1_11target_archE1030ELNS1_3gpuE2ELNS1_3repE0EEENS1_30default_config_static_selectorELNS0_4arch9wavefront6targetE0EEEvS12_: ; @_ZN7rocprim17ROCPRIM_400000_NS6detail17trampoline_kernelINS0_13select_configILj256ELj13ELNS0_17block_load_methodE3ELS4_3ELS4_3ELNS0_20block_scan_algorithmE0ELj4294967295EEENS1_25partition_config_selectorILNS1_17partition_subalgoE4EjNS0_10empty_typeEbEEZZNS1_14partition_implILS8_4ELb0ES6_15HIP_vector_typeIjLj2EENS0_17counting_iteratorIjlEEPS9_SG_NS0_5tupleIJPjSI_NS0_16reverse_iteratorISI_EEEEENSH_IJSG_SG_SG_EEES9_SI_JZNS1_25segmented_radix_sort_implINS0_14default_configELb0EPKhPhPKlPlN2at6native12_GLOBAL__N_18offset_tEEE10hipError_tPvRmT1_PNSt15iterator_traitsIS12_E10value_typeET2_T3_PNS13_IS18_E10value_typeET4_jRbjT5_S1E_jjP12ihipStream_tbEUljE_ZNSN_ISO_Lb0ESQ_SR_ST_SU_SY_EESZ_S10_S11_S12_S16_S17_S18_S1B_S1C_jS1D_jS1E_S1E_jjS1G_bEUljE0_EEESZ_S10_S11_S18_S1C_S1E_T6_T7_T9_mT8_S1G_bDpT10_ENKUlT_T0_E_clISt17integral_constantIbLb1EES1T_IbLb0EEEEDaS1P_S1Q_EUlS1P_E_NS1_11comp_targetILNS1_3genE8ELNS1_11target_archE1030ELNS1_3gpuE2ELNS1_3repE0EEENS1_30default_config_static_selectorELNS0_4arch9wavefront6targetE0EEEvS12_
; %bb.0:
	.section	.rodata,"a",@progbits
	.p2align	6, 0x0
	.amdhsa_kernel _ZN7rocprim17ROCPRIM_400000_NS6detail17trampoline_kernelINS0_13select_configILj256ELj13ELNS0_17block_load_methodE3ELS4_3ELS4_3ELNS0_20block_scan_algorithmE0ELj4294967295EEENS1_25partition_config_selectorILNS1_17partition_subalgoE4EjNS0_10empty_typeEbEEZZNS1_14partition_implILS8_4ELb0ES6_15HIP_vector_typeIjLj2EENS0_17counting_iteratorIjlEEPS9_SG_NS0_5tupleIJPjSI_NS0_16reverse_iteratorISI_EEEEENSH_IJSG_SG_SG_EEES9_SI_JZNS1_25segmented_radix_sort_implINS0_14default_configELb0EPKhPhPKlPlN2at6native12_GLOBAL__N_18offset_tEEE10hipError_tPvRmT1_PNSt15iterator_traitsIS12_E10value_typeET2_T3_PNS13_IS18_E10value_typeET4_jRbjT5_S1E_jjP12ihipStream_tbEUljE_ZNSN_ISO_Lb0ESQ_SR_ST_SU_SY_EESZ_S10_S11_S12_S16_S17_S18_S1B_S1C_jS1D_jS1E_S1E_jjS1G_bEUljE0_EEESZ_S10_S11_S18_S1C_S1E_T6_T7_T9_mT8_S1G_bDpT10_ENKUlT_T0_E_clISt17integral_constantIbLb1EES1T_IbLb0EEEEDaS1P_S1Q_EUlS1P_E_NS1_11comp_targetILNS1_3genE8ELNS1_11target_archE1030ELNS1_3gpuE2ELNS1_3repE0EEENS1_30default_config_static_selectorELNS0_4arch9wavefront6targetE0EEEvS12_
		.amdhsa_group_segment_fixed_size 0
		.amdhsa_private_segment_fixed_size 0
		.amdhsa_kernarg_size 176
		.amdhsa_user_sgpr_count 15
		.amdhsa_user_sgpr_dispatch_ptr 0
		.amdhsa_user_sgpr_queue_ptr 0
		.amdhsa_user_sgpr_kernarg_segment_ptr 1
		.amdhsa_user_sgpr_dispatch_id 0
		.amdhsa_user_sgpr_private_segment_size 0
		.amdhsa_wavefront_size32 1
		.amdhsa_uses_dynamic_stack 0
		.amdhsa_enable_private_segment 0
		.amdhsa_system_sgpr_workgroup_id_x 1
		.amdhsa_system_sgpr_workgroup_id_y 0
		.amdhsa_system_sgpr_workgroup_id_z 0
		.amdhsa_system_sgpr_workgroup_info 0
		.amdhsa_system_vgpr_workitem_id 0
		.amdhsa_next_free_vgpr 1
		.amdhsa_next_free_sgpr 1
		.amdhsa_reserve_vcc 0
		.amdhsa_float_round_mode_32 0
		.amdhsa_float_round_mode_16_64 0
		.amdhsa_float_denorm_mode_32 3
		.amdhsa_float_denorm_mode_16_64 3
		.amdhsa_dx10_clamp 1
		.amdhsa_ieee_mode 1
		.amdhsa_fp16_overflow 0
		.amdhsa_workgroup_processor_mode 1
		.amdhsa_memory_ordered 1
		.amdhsa_forward_progress 0
		.amdhsa_shared_vgpr_count 0
		.amdhsa_exception_fp_ieee_invalid_op 0
		.amdhsa_exception_fp_denorm_src 0
		.amdhsa_exception_fp_ieee_div_zero 0
		.amdhsa_exception_fp_ieee_overflow 0
		.amdhsa_exception_fp_ieee_underflow 0
		.amdhsa_exception_fp_ieee_inexact 0
		.amdhsa_exception_int_div_zero 0
	.end_amdhsa_kernel
	.section	.text._ZN7rocprim17ROCPRIM_400000_NS6detail17trampoline_kernelINS0_13select_configILj256ELj13ELNS0_17block_load_methodE3ELS4_3ELS4_3ELNS0_20block_scan_algorithmE0ELj4294967295EEENS1_25partition_config_selectorILNS1_17partition_subalgoE4EjNS0_10empty_typeEbEEZZNS1_14partition_implILS8_4ELb0ES6_15HIP_vector_typeIjLj2EENS0_17counting_iteratorIjlEEPS9_SG_NS0_5tupleIJPjSI_NS0_16reverse_iteratorISI_EEEEENSH_IJSG_SG_SG_EEES9_SI_JZNS1_25segmented_radix_sort_implINS0_14default_configELb0EPKhPhPKlPlN2at6native12_GLOBAL__N_18offset_tEEE10hipError_tPvRmT1_PNSt15iterator_traitsIS12_E10value_typeET2_T3_PNS13_IS18_E10value_typeET4_jRbjT5_S1E_jjP12ihipStream_tbEUljE_ZNSN_ISO_Lb0ESQ_SR_ST_SU_SY_EESZ_S10_S11_S12_S16_S17_S18_S1B_S1C_jS1D_jS1E_S1E_jjS1G_bEUljE0_EEESZ_S10_S11_S18_S1C_S1E_T6_T7_T9_mT8_S1G_bDpT10_ENKUlT_T0_E_clISt17integral_constantIbLb1EES1T_IbLb0EEEEDaS1P_S1Q_EUlS1P_E_NS1_11comp_targetILNS1_3genE8ELNS1_11target_archE1030ELNS1_3gpuE2ELNS1_3repE0EEENS1_30default_config_static_selectorELNS0_4arch9wavefront6targetE0EEEvS12_,"axG",@progbits,_ZN7rocprim17ROCPRIM_400000_NS6detail17trampoline_kernelINS0_13select_configILj256ELj13ELNS0_17block_load_methodE3ELS4_3ELS4_3ELNS0_20block_scan_algorithmE0ELj4294967295EEENS1_25partition_config_selectorILNS1_17partition_subalgoE4EjNS0_10empty_typeEbEEZZNS1_14partition_implILS8_4ELb0ES6_15HIP_vector_typeIjLj2EENS0_17counting_iteratorIjlEEPS9_SG_NS0_5tupleIJPjSI_NS0_16reverse_iteratorISI_EEEEENSH_IJSG_SG_SG_EEES9_SI_JZNS1_25segmented_radix_sort_implINS0_14default_configELb0EPKhPhPKlPlN2at6native12_GLOBAL__N_18offset_tEEE10hipError_tPvRmT1_PNSt15iterator_traitsIS12_E10value_typeET2_T3_PNS13_IS18_E10value_typeET4_jRbjT5_S1E_jjP12ihipStream_tbEUljE_ZNSN_ISO_Lb0ESQ_SR_ST_SU_SY_EESZ_S10_S11_S12_S16_S17_S18_S1B_S1C_jS1D_jS1E_S1E_jjS1G_bEUljE0_EEESZ_S10_S11_S18_S1C_S1E_T6_T7_T9_mT8_S1G_bDpT10_ENKUlT_T0_E_clISt17integral_constantIbLb1EES1T_IbLb0EEEEDaS1P_S1Q_EUlS1P_E_NS1_11comp_targetILNS1_3genE8ELNS1_11target_archE1030ELNS1_3gpuE2ELNS1_3repE0EEENS1_30default_config_static_selectorELNS0_4arch9wavefront6targetE0EEEvS12_,comdat
.Lfunc_end145:
	.size	_ZN7rocprim17ROCPRIM_400000_NS6detail17trampoline_kernelINS0_13select_configILj256ELj13ELNS0_17block_load_methodE3ELS4_3ELS4_3ELNS0_20block_scan_algorithmE0ELj4294967295EEENS1_25partition_config_selectorILNS1_17partition_subalgoE4EjNS0_10empty_typeEbEEZZNS1_14partition_implILS8_4ELb0ES6_15HIP_vector_typeIjLj2EENS0_17counting_iteratorIjlEEPS9_SG_NS0_5tupleIJPjSI_NS0_16reverse_iteratorISI_EEEEENSH_IJSG_SG_SG_EEES9_SI_JZNS1_25segmented_radix_sort_implINS0_14default_configELb0EPKhPhPKlPlN2at6native12_GLOBAL__N_18offset_tEEE10hipError_tPvRmT1_PNSt15iterator_traitsIS12_E10value_typeET2_T3_PNS13_IS18_E10value_typeET4_jRbjT5_S1E_jjP12ihipStream_tbEUljE_ZNSN_ISO_Lb0ESQ_SR_ST_SU_SY_EESZ_S10_S11_S12_S16_S17_S18_S1B_S1C_jS1D_jS1E_S1E_jjS1G_bEUljE0_EEESZ_S10_S11_S18_S1C_S1E_T6_T7_T9_mT8_S1G_bDpT10_ENKUlT_T0_E_clISt17integral_constantIbLb1EES1T_IbLb0EEEEDaS1P_S1Q_EUlS1P_E_NS1_11comp_targetILNS1_3genE8ELNS1_11target_archE1030ELNS1_3gpuE2ELNS1_3repE0EEENS1_30default_config_static_selectorELNS0_4arch9wavefront6targetE0EEEvS12_, .Lfunc_end145-_ZN7rocprim17ROCPRIM_400000_NS6detail17trampoline_kernelINS0_13select_configILj256ELj13ELNS0_17block_load_methodE3ELS4_3ELS4_3ELNS0_20block_scan_algorithmE0ELj4294967295EEENS1_25partition_config_selectorILNS1_17partition_subalgoE4EjNS0_10empty_typeEbEEZZNS1_14partition_implILS8_4ELb0ES6_15HIP_vector_typeIjLj2EENS0_17counting_iteratorIjlEEPS9_SG_NS0_5tupleIJPjSI_NS0_16reverse_iteratorISI_EEEEENSH_IJSG_SG_SG_EEES9_SI_JZNS1_25segmented_radix_sort_implINS0_14default_configELb0EPKhPhPKlPlN2at6native12_GLOBAL__N_18offset_tEEE10hipError_tPvRmT1_PNSt15iterator_traitsIS12_E10value_typeET2_T3_PNS13_IS18_E10value_typeET4_jRbjT5_S1E_jjP12ihipStream_tbEUljE_ZNSN_ISO_Lb0ESQ_SR_ST_SU_SY_EESZ_S10_S11_S12_S16_S17_S18_S1B_S1C_jS1D_jS1E_S1E_jjS1G_bEUljE0_EEESZ_S10_S11_S18_S1C_S1E_T6_T7_T9_mT8_S1G_bDpT10_ENKUlT_T0_E_clISt17integral_constantIbLb1EES1T_IbLb0EEEEDaS1P_S1Q_EUlS1P_E_NS1_11comp_targetILNS1_3genE8ELNS1_11target_archE1030ELNS1_3gpuE2ELNS1_3repE0EEENS1_30default_config_static_selectorELNS0_4arch9wavefront6targetE0EEEvS12_
                                        ; -- End function
	.section	.AMDGPU.csdata,"",@progbits
; Kernel info:
; codeLenInByte = 0
; NumSgprs: 0
; NumVgprs: 0
; ScratchSize: 0
; MemoryBound: 0
; FloatMode: 240
; IeeeMode: 1
; LDSByteSize: 0 bytes/workgroup (compile time only)
; SGPRBlocks: 0
; VGPRBlocks: 0
; NumSGPRsForWavesPerEU: 1
; NumVGPRsForWavesPerEU: 1
; Occupancy: 16
; WaveLimiterHint : 0
; COMPUTE_PGM_RSRC2:SCRATCH_EN: 0
; COMPUTE_PGM_RSRC2:USER_SGPR: 15
; COMPUTE_PGM_RSRC2:TRAP_HANDLER: 0
; COMPUTE_PGM_RSRC2:TGID_X_EN: 1
; COMPUTE_PGM_RSRC2:TGID_Y_EN: 0
; COMPUTE_PGM_RSRC2:TGID_Z_EN: 0
; COMPUTE_PGM_RSRC2:TIDIG_COMP_CNT: 0
	.section	.text._ZN7rocprim17ROCPRIM_400000_NS6detail17trampoline_kernelINS0_13select_configILj256ELj13ELNS0_17block_load_methodE3ELS4_3ELS4_3ELNS0_20block_scan_algorithmE0ELj4294967295EEENS1_25partition_config_selectorILNS1_17partition_subalgoE4EjNS0_10empty_typeEbEEZZNS1_14partition_implILS8_4ELb0ES6_15HIP_vector_typeIjLj2EENS0_17counting_iteratorIjlEEPS9_SG_NS0_5tupleIJPjSI_NS0_16reverse_iteratorISI_EEEEENSH_IJSG_SG_SG_EEES9_SI_JZNS1_25segmented_radix_sort_implINS0_14default_configELb0EPKhPhPKlPlN2at6native12_GLOBAL__N_18offset_tEEE10hipError_tPvRmT1_PNSt15iterator_traitsIS12_E10value_typeET2_T3_PNS13_IS18_E10value_typeET4_jRbjT5_S1E_jjP12ihipStream_tbEUljE_ZNSN_ISO_Lb0ESQ_SR_ST_SU_SY_EESZ_S10_S11_S12_S16_S17_S18_S1B_S1C_jS1D_jS1E_S1E_jjS1G_bEUljE0_EEESZ_S10_S11_S18_S1C_S1E_T6_T7_T9_mT8_S1G_bDpT10_ENKUlT_T0_E_clISt17integral_constantIbLb0EES1T_IbLb1EEEEDaS1P_S1Q_EUlS1P_E_NS1_11comp_targetILNS1_3genE0ELNS1_11target_archE4294967295ELNS1_3gpuE0ELNS1_3repE0EEENS1_30default_config_static_selectorELNS0_4arch9wavefront6targetE0EEEvS12_,"axG",@progbits,_ZN7rocprim17ROCPRIM_400000_NS6detail17trampoline_kernelINS0_13select_configILj256ELj13ELNS0_17block_load_methodE3ELS4_3ELS4_3ELNS0_20block_scan_algorithmE0ELj4294967295EEENS1_25partition_config_selectorILNS1_17partition_subalgoE4EjNS0_10empty_typeEbEEZZNS1_14partition_implILS8_4ELb0ES6_15HIP_vector_typeIjLj2EENS0_17counting_iteratorIjlEEPS9_SG_NS0_5tupleIJPjSI_NS0_16reverse_iteratorISI_EEEEENSH_IJSG_SG_SG_EEES9_SI_JZNS1_25segmented_radix_sort_implINS0_14default_configELb0EPKhPhPKlPlN2at6native12_GLOBAL__N_18offset_tEEE10hipError_tPvRmT1_PNSt15iterator_traitsIS12_E10value_typeET2_T3_PNS13_IS18_E10value_typeET4_jRbjT5_S1E_jjP12ihipStream_tbEUljE_ZNSN_ISO_Lb0ESQ_SR_ST_SU_SY_EESZ_S10_S11_S12_S16_S17_S18_S1B_S1C_jS1D_jS1E_S1E_jjS1G_bEUljE0_EEESZ_S10_S11_S18_S1C_S1E_T6_T7_T9_mT8_S1G_bDpT10_ENKUlT_T0_E_clISt17integral_constantIbLb0EES1T_IbLb1EEEEDaS1P_S1Q_EUlS1P_E_NS1_11comp_targetILNS1_3genE0ELNS1_11target_archE4294967295ELNS1_3gpuE0ELNS1_3repE0EEENS1_30default_config_static_selectorELNS0_4arch9wavefront6targetE0EEEvS12_,comdat
	.globl	_ZN7rocprim17ROCPRIM_400000_NS6detail17trampoline_kernelINS0_13select_configILj256ELj13ELNS0_17block_load_methodE3ELS4_3ELS4_3ELNS0_20block_scan_algorithmE0ELj4294967295EEENS1_25partition_config_selectorILNS1_17partition_subalgoE4EjNS0_10empty_typeEbEEZZNS1_14partition_implILS8_4ELb0ES6_15HIP_vector_typeIjLj2EENS0_17counting_iteratorIjlEEPS9_SG_NS0_5tupleIJPjSI_NS0_16reverse_iteratorISI_EEEEENSH_IJSG_SG_SG_EEES9_SI_JZNS1_25segmented_radix_sort_implINS0_14default_configELb0EPKhPhPKlPlN2at6native12_GLOBAL__N_18offset_tEEE10hipError_tPvRmT1_PNSt15iterator_traitsIS12_E10value_typeET2_T3_PNS13_IS18_E10value_typeET4_jRbjT5_S1E_jjP12ihipStream_tbEUljE_ZNSN_ISO_Lb0ESQ_SR_ST_SU_SY_EESZ_S10_S11_S12_S16_S17_S18_S1B_S1C_jS1D_jS1E_S1E_jjS1G_bEUljE0_EEESZ_S10_S11_S18_S1C_S1E_T6_T7_T9_mT8_S1G_bDpT10_ENKUlT_T0_E_clISt17integral_constantIbLb0EES1T_IbLb1EEEEDaS1P_S1Q_EUlS1P_E_NS1_11comp_targetILNS1_3genE0ELNS1_11target_archE4294967295ELNS1_3gpuE0ELNS1_3repE0EEENS1_30default_config_static_selectorELNS0_4arch9wavefront6targetE0EEEvS12_ ; -- Begin function _ZN7rocprim17ROCPRIM_400000_NS6detail17trampoline_kernelINS0_13select_configILj256ELj13ELNS0_17block_load_methodE3ELS4_3ELS4_3ELNS0_20block_scan_algorithmE0ELj4294967295EEENS1_25partition_config_selectorILNS1_17partition_subalgoE4EjNS0_10empty_typeEbEEZZNS1_14partition_implILS8_4ELb0ES6_15HIP_vector_typeIjLj2EENS0_17counting_iteratorIjlEEPS9_SG_NS0_5tupleIJPjSI_NS0_16reverse_iteratorISI_EEEEENSH_IJSG_SG_SG_EEES9_SI_JZNS1_25segmented_radix_sort_implINS0_14default_configELb0EPKhPhPKlPlN2at6native12_GLOBAL__N_18offset_tEEE10hipError_tPvRmT1_PNSt15iterator_traitsIS12_E10value_typeET2_T3_PNS13_IS18_E10value_typeET4_jRbjT5_S1E_jjP12ihipStream_tbEUljE_ZNSN_ISO_Lb0ESQ_SR_ST_SU_SY_EESZ_S10_S11_S12_S16_S17_S18_S1B_S1C_jS1D_jS1E_S1E_jjS1G_bEUljE0_EEESZ_S10_S11_S18_S1C_S1E_T6_T7_T9_mT8_S1G_bDpT10_ENKUlT_T0_E_clISt17integral_constantIbLb0EES1T_IbLb1EEEEDaS1P_S1Q_EUlS1P_E_NS1_11comp_targetILNS1_3genE0ELNS1_11target_archE4294967295ELNS1_3gpuE0ELNS1_3repE0EEENS1_30default_config_static_selectorELNS0_4arch9wavefront6targetE0EEEvS12_
	.p2align	8
	.type	_ZN7rocprim17ROCPRIM_400000_NS6detail17trampoline_kernelINS0_13select_configILj256ELj13ELNS0_17block_load_methodE3ELS4_3ELS4_3ELNS0_20block_scan_algorithmE0ELj4294967295EEENS1_25partition_config_selectorILNS1_17partition_subalgoE4EjNS0_10empty_typeEbEEZZNS1_14partition_implILS8_4ELb0ES6_15HIP_vector_typeIjLj2EENS0_17counting_iteratorIjlEEPS9_SG_NS0_5tupleIJPjSI_NS0_16reverse_iteratorISI_EEEEENSH_IJSG_SG_SG_EEES9_SI_JZNS1_25segmented_radix_sort_implINS0_14default_configELb0EPKhPhPKlPlN2at6native12_GLOBAL__N_18offset_tEEE10hipError_tPvRmT1_PNSt15iterator_traitsIS12_E10value_typeET2_T3_PNS13_IS18_E10value_typeET4_jRbjT5_S1E_jjP12ihipStream_tbEUljE_ZNSN_ISO_Lb0ESQ_SR_ST_SU_SY_EESZ_S10_S11_S12_S16_S17_S18_S1B_S1C_jS1D_jS1E_S1E_jjS1G_bEUljE0_EEESZ_S10_S11_S18_S1C_S1E_T6_T7_T9_mT8_S1G_bDpT10_ENKUlT_T0_E_clISt17integral_constantIbLb0EES1T_IbLb1EEEEDaS1P_S1Q_EUlS1P_E_NS1_11comp_targetILNS1_3genE0ELNS1_11target_archE4294967295ELNS1_3gpuE0ELNS1_3repE0EEENS1_30default_config_static_selectorELNS0_4arch9wavefront6targetE0EEEvS12_,@function
_ZN7rocprim17ROCPRIM_400000_NS6detail17trampoline_kernelINS0_13select_configILj256ELj13ELNS0_17block_load_methodE3ELS4_3ELS4_3ELNS0_20block_scan_algorithmE0ELj4294967295EEENS1_25partition_config_selectorILNS1_17partition_subalgoE4EjNS0_10empty_typeEbEEZZNS1_14partition_implILS8_4ELb0ES6_15HIP_vector_typeIjLj2EENS0_17counting_iteratorIjlEEPS9_SG_NS0_5tupleIJPjSI_NS0_16reverse_iteratorISI_EEEEENSH_IJSG_SG_SG_EEES9_SI_JZNS1_25segmented_radix_sort_implINS0_14default_configELb0EPKhPhPKlPlN2at6native12_GLOBAL__N_18offset_tEEE10hipError_tPvRmT1_PNSt15iterator_traitsIS12_E10value_typeET2_T3_PNS13_IS18_E10value_typeET4_jRbjT5_S1E_jjP12ihipStream_tbEUljE_ZNSN_ISO_Lb0ESQ_SR_ST_SU_SY_EESZ_S10_S11_S12_S16_S17_S18_S1B_S1C_jS1D_jS1E_S1E_jjS1G_bEUljE0_EEESZ_S10_S11_S18_S1C_S1E_T6_T7_T9_mT8_S1G_bDpT10_ENKUlT_T0_E_clISt17integral_constantIbLb0EES1T_IbLb1EEEEDaS1P_S1Q_EUlS1P_E_NS1_11comp_targetILNS1_3genE0ELNS1_11target_archE4294967295ELNS1_3gpuE0ELNS1_3repE0EEENS1_30default_config_static_selectorELNS0_4arch9wavefront6targetE0EEEvS12_: ; @_ZN7rocprim17ROCPRIM_400000_NS6detail17trampoline_kernelINS0_13select_configILj256ELj13ELNS0_17block_load_methodE3ELS4_3ELS4_3ELNS0_20block_scan_algorithmE0ELj4294967295EEENS1_25partition_config_selectorILNS1_17partition_subalgoE4EjNS0_10empty_typeEbEEZZNS1_14partition_implILS8_4ELb0ES6_15HIP_vector_typeIjLj2EENS0_17counting_iteratorIjlEEPS9_SG_NS0_5tupleIJPjSI_NS0_16reverse_iteratorISI_EEEEENSH_IJSG_SG_SG_EEES9_SI_JZNS1_25segmented_radix_sort_implINS0_14default_configELb0EPKhPhPKlPlN2at6native12_GLOBAL__N_18offset_tEEE10hipError_tPvRmT1_PNSt15iterator_traitsIS12_E10value_typeET2_T3_PNS13_IS18_E10value_typeET4_jRbjT5_S1E_jjP12ihipStream_tbEUljE_ZNSN_ISO_Lb0ESQ_SR_ST_SU_SY_EESZ_S10_S11_S12_S16_S17_S18_S1B_S1C_jS1D_jS1E_S1E_jjS1G_bEUljE0_EEESZ_S10_S11_S18_S1C_S1E_T6_T7_T9_mT8_S1G_bDpT10_ENKUlT_T0_E_clISt17integral_constantIbLb0EES1T_IbLb1EEEEDaS1P_S1Q_EUlS1P_E_NS1_11comp_targetILNS1_3genE0ELNS1_11target_archE4294967295ELNS1_3gpuE0ELNS1_3repE0EEENS1_30default_config_static_selectorELNS0_4arch9wavefront6targetE0EEEvS12_
; %bb.0:
	.section	.rodata,"a",@progbits
	.p2align	6, 0x0
	.amdhsa_kernel _ZN7rocprim17ROCPRIM_400000_NS6detail17trampoline_kernelINS0_13select_configILj256ELj13ELNS0_17block_load_methodE3ELS4_3ELS4_3ELNS0_20block_scan_algorithmE0ELj4294967295EEENS1_25partition_config_selectorILNS1_17partition_subalgoE4EjNS0_10empty_typeEbEEZZNS1_14partition_implILS8_4ELb0ES6_15HIP_vector_typeIjLj2EENS0_17counting_iteratorIjlEEPS9_SG_NS0_5tupleIJPjSI_NS0_16reverse_iteratorISI_EEEEENSH_IJSG_SG_SG_EEES9_SI_JZNS1_25segmented_radix_sort_implINS0_14default_configELb0EPKhPhPKlPlN2at6native12_GLOBAL__N_18offset_tEEE10hipError_tPvRmT1_PNSt15iterator_traitsIS12_E10value_typeET2_T3_PNS13_IS18_E10value_typeET4_jRbjT5_S1E_jjP12ihipStream_tbEUljE_ZNSN_ISO_Lb0ESQ_SR_ST_SU_SY_EESZ_S10_S11_S12_S16_S17_S18_S1B_S1C_jS1D_jS1E_S1E_jjS1G_bEUljE0_EEESZ_S10_S11_S18_S1C_S1E_T6_T7_T9_mT8_S1G_bDpT10_ENKUlT_T0_E_clISt17integral_constantIbLb0EES1T_IbLb1EEEEDaS1P_S1Q_EUlS1P_E_NS1_11comp_targetILNS1_3genE0ELNS1_11target_archE4294967295ELNS1_3gpuE0ELNS1_3repE0EEENS1_30default_config_static_selectorELNS0_4arch9wavefront6targetE0EEEvS12_
		.amdhsa_group_segment_fixed_size 0
		.amdhsa_private_segment_fixed_size 0
		.amdhsa_kernarg_size 184
		.amdhsa_user_sgpr_count 15
		.amdhsa_user_sgpr_dispatch_ptr 0
		.amdhsa_user_sgpr_queue_ptr 0
		.amdhsa_user_sgpr_kernarg_segment_ptr 1
		.amdhsa_user_sgpr_dispatch_id 0
		.amdhsa_user_sgpr_private_segment_size 0
		.amdhsa_wavefront_size32 1
		.amdhsa_uses_dynamic_stack 0
		.amdhsa_enable_private_segment 0
		.amdhsa_system_sgpr_workgroup_id_x 1
		.amdhsa_system_sgpr_workgroup_id_y 0
		.amdhsa_system_sgpr_workgroup_id_z 0
		.amdhsa_system_sgpr_workgroup_info 0
		.amdhsa_system_vgpr_workitem_id 0
		.amdhsa_next_free_vgpr 1
		.amdhsa_next_free_sgpr 1
		.amdhsa_reserve_vcc 0
		.amdhsa_float_round_mode_32 0
		.amdhsa_float_round_mode_16_64 0
		.amdhsa_float_denorm_mode_32 3
		.amdhsa_float_denorm_mode_16_64 3
		.amdhsa_dx10_clamp 1
		.amdhsa_ieee_mode 1
		.amdhsa_fp16_overflow 0
		.amdhsa_workgroup_processor_mode 1
		.amdhsa_memory_ordered 1
		.amdhsa_forward_progress 0
		.amdhsa_shared_vgpr_count 0
		.amdhsa_exception_fp_ieee_invalid_op 0
		.amdhsa_exception_fp_denorm_src 0
		.amdhsa_exception_fp_ieee_div_zero 0
		.amdhsa_exception_fp_ieee_overflow 0
		.amdhsa_exception_fp_ieee_underflow 0
		.amdhsa_exception_fp_ieee_inexact 0
		.amdhsa_exception_int_div_zero 0
	.end_amdhsa_kernel
	.section	.text._ZN7rocprim17ROCPRIM_400000_NS6detail17trampoline_kernelINS0_13select_configILj256ELj13ELNS0_17block_load_methodE3ELS4_3ELS4_3ELNS0_20block_scan_algorithmE0ELj4294967295EEENS1_25partition_config_selectorILNS1_17partition_subalgoE4EjNS0_10empty_typeEbEEZZNS1_14partition_implILS8_4ELb0ES6_15HIP_vector_typeIjLj2EENS0_17counting_iteratorIjlEEPS9_SG_NS0_5tupleIJPjSI_NS0_16reverse_iteratorISI_EEEEENSH_IJSG_SG_SG_EEES9_SI_JZNS1_25segmented_radix_sort_implINS0_14default_configELb0EPKhPhPKlPlN2at6native12_GLOBAL__N_18offset_tEEE10hipError_tPvRmT1_PNSt15iterator_traitsIS12_E10value_typeET2_T3_PNS13_IS18_E10value_typeET4_jRbjT5_S1E_jjP12ihipStream_tbEUljE_ZNSN_ISO_Lb0ESQ_SR_ST_SU_SY_EESZ_S10_S11_S12_S16_S17_S18_S1B_S1C_jS1D_jS1E_S1E_jjS1G_bEUljE0_EEESZ_S10_S11_S18_S1C_S1E_T6_T7_T9_mT8_S1G_bDpT10_ENKUlT_T0_E_clISt17integral_constantIbLb0EES1T_IbLb1EEEEDaS1P_S1Q_EUlS1P_E_NS1_11comp_targetILNS1_3genE0ELNS1_11target_archE4294967295ELNS1_3gpuE0ELNS1_3repE0EEENS1_30default_config_static_selectorELNS0_4arch9wavefront6targetE0EEEvS12_,"axG",@progbits,_ZN7rocprim17ROCPRIM_400000_NS6detail17trampoline_kernelINS0_13select_configILj256ELj13ELNS0_17block_load_methodE3ELS4_3ELS4_3ELNS0_20block_scan_algorithmE0ELj4294967295EEENS1_25partition_config_selectorILNS1_17partition_subalgoE4EjNS0_10empty_typeEbEEZZNS1_14partition_implILS8_4ELb0ES6_15HIP_vector_typeIjLj2EENS0_17counting_iteratorIjlEEPS9_SG_NS0_5tupleIJPjSI_NS0_16reverse_iteratorISI_EEEEENSH_IJSG_SG_SG_EEES9_SI_JZNS1_25segmented_radix_sort_implINS0_14default_configELb0EPKhPhPKlPlN2at6native12_GLOBAL__N_18offset_tEEE10hipError_tPvRmT1_PNSt15iterator_traitsIS12_E10value_typeET2_T3_PNS13_IS18_E10value_typeET4_jRbjT5_S1E_jjP12ihipStream_tbEUljE_ZNSN_ISO_Lb0ESQ_SR_ST_SU_SY_EESZ_S10_S11_S12_S16_S17_S18_S1B_S1C_jS1D_jS1E_S1E_jjS1G_bEUljE0_EEESZ_S10_S11_S18_S1C_S1E_T6_T7_T9_mT8_S1G_bDpT10_ENKUlT_T0_E_clISt17integral_constantIbLb0EES1T_IbLb1EEEEDaS1P_S1Q_EUlS1P_E_NS1_11comp_targetILNS1_3genE0ELNS1_11target_archE4294967295ELNS1_3gpuE0ELNS1_3repE0EEENS1_30default_config_static_selectorELNS0_4arch9wavefront6targetE0EEEvS12_,comdat
.Lfunc_end146:
	.size	_ZN7rocprim17ROCPRIM_400000_NS6detail17trampoline_kernelINS0_13select_configILj256ELj13ELNS0_17block_load_methodE3ELS4_3ELS4_3ELNS0_20block_scan_algorithmE0ELj4294967295EEENS1_25partition_config_selectorILNS1_17partition_subalgoE4EjNS0_10empty_typeEbEEZZNS1_14partition_implILS8_4ELb0ES6_15HIP_vector_typeIjLj2EENS0_17counting_iteratorIjlEEPS9_SG_NS0_5tupleIJPjSI_NS0_16reverse_iteratorISI_EEEEENSH_IJSG_SG_SG_EEES9_SI_JZNS1_25segmented_radix_sort_implINS0_14default_configELb0EPKhPhPKlPlN2at6native12_GLOBAL__N_18offset_tEEE10hipError_tPvRmT1_PNSt15iterator_traitsIS12_E10value_typeET2_T3_PNS13_IS18_E10value_typeET4_jRbjT5_S1E_jjP12ihipStream_tbEUljE_ZNSN_ISO_Lb0ESQ_SR_ST_SU_SY_EESZ_S10_S11_S12_S16_S17_S18_S1B_S1C_jS1D_jS1E_S1E_jjS1G_bEUljE0_EEESZ_S10_S11_S18_S1C_S1E_T6_T7_T9_mT8_S1G_bDpT10_ENKUlT_T0_E_clISt17integral_constantIbLb0EES1T_IbLb1EEEEDaS1P_S1Q_EUlS1P_E_NS1_11comp_targetILNS1_3genE0ELNS1_11target_archE4294967295ELNS1_3gpuE0ELNS1_3repE0EEENS1_30default_config_static_selectorELNS0_4arch9wavefront6targetE0EEEvS12_, .Lfunc_end146-_ZN7rocprim17ROCPRIM_400000_NS6detail17trampoline_kernelINS0_13select_configILj256ELj13ELNS0_17block_load_methodE3ELS4_3ELS4_3ELNS0_20block_scan_algorithmE0ELj4294967295EEENS1_25partition_config_selectorILNS1_17partition_subalgoE4EjNS0_10empty_typeEbEEZZNS1_14partition_implILS8_4ELb0ES6_15HIP_vector_typeIjLj2EENS0_17counting_iteratorIjlEEPS9_SG_NS0_5tupleIJPjSI_NS0_16reverse_iteratorISI_EEEEENSH_IJSG_SG_SG_EEES9_SI_JZNS1_25segmented_radix_sort_implINS0_14default_configELb0EPKhPhPKlPlN2at6native12_GLOBAL__N_18offset_tEEE10hipError_tPvRmT1_PNSt15iterator_traitsIS12_E10value_typeET2_T3_PNS13_IS18_E10value_typeET4_jRbjT5_S1E_jjP12ihipStream_tbEUljE_ZNSN_ISO_Lb0ESQ_SR_ST_SU_SY_EESZ_S10_S11_S12_S16_S17_S18_S1B_S1C_jS1D_jS1E_S1E_jjS1G_bEUljE0_EEESZ_S10_S11_S18_S1C_S1E_T6_T7_T9_mT8_S1G_bDpT10_ENKUlT_T0_E_clISt17integral_constantIbLb0EES1T_IbLb1EEEEDaS1P_S1Q_EUlS1P_E_NS1_11comp_targetILNS1_3genE0ELNS1_11target_archE4294967295ELNS1_3gpuE0ELNS1_3repE0EEENS1_30default_config_static_selectorELNS0_4arch9wavefront6targetE0EEEvS12_
                                        ; -- End function
	.section	.AMDGPU.csdata,"",@progbits
; Kernel info:
; codeLenInByte = 0
; NumSgprs: 0
; NumVgprs: 0
; ScratchSize: 0
; MemoryBound: 0
; FloatMode: 240
; IeeeMode: 1
; LDSByteSize: 0 bytes/workgroup (compile time only)
; SGPRBlocks: 0
; VGPRBlocks: 0
; NumSGPRsForWavesPerEU: 1
; NumVGPRsForWavesPerEU: 1
; Occupancy: 16
; WaveLimiterHint : 0
; COMPUTE_PGM_RSRC2:SCRATCH_EN: 0
; COMPUTE_PGM_RSRC2:USER_SGPR: 15
; COMPUTE_PGM_RSRC2:TRAP_HANDLER: 0
; COMPUTE_PGM_RSRC2:TGID_X_EN: 1
; COMPUTE_PGM_RSRC2:TGID_Y_EN: 0
; COMPUTE_PGM_RSRC2:TGID_Z_EN: 0
; COMPUTE_PGM_RSRC2:TIDIG_COMP_CNT: 0
	.section	.text._ZN7rocprim17ROCPRIM_400000_NS6detail17trampoline_kernelINS0_13select_configILj256ELj13ELNS0_17block_load_methodE3ELS4_3ELS4_3ELNS0_20block_scan_algorithmE0ELj4294967295EEENS1_25partition_config_selectorILNS1_17partition_subalgoE4EjNS0_10empty_typeEbEEZZNS1_14partition_implILS8_4ELb0ES6_15HIP_vector_typeIjLj2EENS0_17counting_iteratorIjlEEPS9_SG_NS0_5tupleIJPjSI_NS0_16reverse_iteratorISI_EEEEENSH_IJSG_SG_SG_EEES9_SI_JZNS1_25segmented_radix_sort_implINS0_14default_configELb0EPKhPhPKlPlN2at6native12_GLOBAL__N_18offset_tEEE10hipError_tPvRmT1_PNSt15iterator_traitsIS12_E10value_typeET2_T3_PNS13_IS18_E10value_typeET4_jRbjT5_S1E_jjP12ihipStream_tbEUljE_ZNSN_ISO_Lb0ESQ_SR_ST_SU_SY_EESZ_S10_S11_S12_S16_S17_S18_S1B_S1C_jS1D_jS1E_S1E_jjS1G_bEUljE0_EEESZ_S10_S11_S18_S1C_S1E_T6_T7_T9_mT8_S1G_bDpT10_ENKUlT_T0_E_clISt17integral_constantIbLb0EES1T_IbLb1EEEEDaS1P_S1Q_EUlS1P_E_NS1_11comp_targetILNS1_3genE5ELNS1_11target_archE942ELNS1_3gpuE9ELNS1_3repE0EEENS1_30default_config_static_selectorELNS0_4arch9wavefront6targetE0EEEvS12_,"axG",@progbits,_ZN7rocprim17ROCPRIM_400000_NS6detail17trampoline_kernelINS0_13select_configILj256ELj13ELNS0_17block_load_methodE3ELS4_3ELS4_3ELNS0_20block_scan_algorithmE0ELj4294967295EEENS1_25partition_config_selectorILNS1_17partition_subalgoE4EjNS0_10empty_typeEbEEZZNS1_14partition_implILS8_4ELb0ES6_15HIP_vector_typeIjLj2EENS0_17counting_iteratorIjlEEPS9_SG_NS0_5tupleIJPjSI_NS0_16reverse_iteratorISI_EEEEENSH_IJSG_SG_SG_EEES9_SI_JZNS1_25segmented_radix_sort_implINS0_14default_configELb0EPKhPhPKlPlN2at6native12_GLOBAL__N_18offset_tEEE10hipError_tPvRmT1_PNSt15iterator_traitsIS12_E10value_typeET2_T3_PNS13_IS18_E10value_typeET4_jRbjT5_S1E_jjP12ihipStream_tbEUljE_ZNSN_ISO_Lb0ESQ_SR_ST_SU_SY_EESZ_S10_S11_S12_S16_S17_S18_S1B_S1C_jS1D_jS1E_S1E_jjS1G_bEUljE0_EEESZ_S10_S11_S18_S1C_S1E_T6_T7_T9_mT8_S1G_bDpT10_ENKUlT_T0_E_clISt17integral_constantIbLb0EES1T_IbLb1EEEEDaS1P_S1Q_EUlS1P_E_NS1_11comp_targetILNS1_3genE5ELNS1_11target_archE942ELNS1_3gpuE9ELNS1_3repE0EEENS1_30default_config_static_selectorELNS0_4arch9wavefront6targetE0EEEvS12_,comdat
	.globl	_ZN7rocprim17ROCPRIM_400000_NS6detail17trampoline_kernelINS0_13select_configILj256ELj13ELNS0_17block_load_methodE3ELS4_3ELS4_3ELNS0_20block_scan_algorithmE0ELj4294967295EEENS1_25partition_config_selectorILNS1_17partition_subalgoE4EjNS0_10empty_typeEbEEZZNS1_14partition_implILS8_4ELb0ES6_15HIP_vector_typeIjLj2EENS0_17counting_iteratorIjlEEPS9_SG_NS0_5tupleIJPjSI_NS0_16reverse_iteratorISI_EEEEENSH_IJSG_SG_SG_EEES9_SI_JZNS1_25segmented_radix_sort_implINS0_14default_configELb0EPKhPhPKlPlN2at6native12_GLOBAL__N_18offset_tEEE10hipError_tPvRmT1_PNSt15iterator_traitsIS12_E10value_typeET2_T3_PNS13_IS18_E10value_typeET4_jRbjT5_S1E_jjP12ihipStream_tbEUljE_ZNSN_ISO_Lb0ESQ_SR_ST_SU_SY_EESZ_S10_S11_S12_S16_S17_S18_S1B_S1C_jS1D_jS1E_S1E_jjS1G_bEUljE0_EEESZ_S10_S11_S18_S1C_S1E_T6_T7_T9_mT8_S1G_bDpT10_ENKUlT_T0_E_clISt17integral_constantIbLb0EES1T_IbLb1EEEEDaS1P_S1Q_EUlS1P_E_NS1_11comp_targetILNS1_3genE5ELNS1_11target_archE942ELNS1_3gpuE9ELNS1_3repE0EEENS1_30default_config_static_selectorELNS0_4arch9wavefront6targetE0EEEvS12_ ; -- Begin function _ZN7rocprim17ROCPRIM_400000_NS6detail17trampoline_kernelINS0_13select_configILj256ELj13ELNS0_17block_load_methodE3ELS4_3ELS4_3ELNS0_20block_scan_algorithmE0ELj4294967295EEENS1_25partition_config_selectorILNS1_17partition_subalgoE4EjNS0_10empty_typeEbEEZZNS1_14partition_implILS8_4ELb0ES6_15HIP_vector_typeIjLj2EENS0_17counting_iteratorIjlEEPS9_SG_NS0_5tupleIJPjSI_NS0_16reverse_iteratorISI_EEEEENSH_IJSG_SG_SG_EEES9_SI_JZNS1_25segmented_radix_sort_implINS0_14default_configELb0EPKhPhPKlPlN2at6native12_GLOBAL__N_18offset_tEEE10hipError_tPvRmT1_PNSt15iterator_traitsIS12_E10value_typeET2_T3_PNS13_IS18_E10value_typeET4_jRbjT5_S1E_jjP12ihipStream_tbEUljE_ZNSN_ISO_Lb0ESQ_SR_ST_SU_SY_EESZ_S10_S11_S12_S16_S17_S18_S1B_S1C_jS1D_jS1E_S1E_jjS1G_bEUljE0_EEESZ_S10_S11_S18_S1C_S1E_T6_T7_T9_mT8_S1G_bDpT10_ENKUlT_T0_E_clISt17integral_constantIbLb0EES1T_IbLb1EEEEDaS1P_S1Q_EUlS1P_E_NS1_11comp_targetILNS1_3genE5ELNS1_11target_archE942ELNS1_3gpuE9ELNS1_3repE0EEENS1_30default_config_static_selectorELNS0_4arch9wavefront6targetE0EEEvS12_
	.p2align	8
	.type	_ZN7rocprim17ROCPRIM_400000_NS6detail17trampoline_kernelINS0_13select_configILj256ELj13ELNS0_17block_load_methodE3ELS4_3ELS4_3ELNS0_20block_scan_algorithmE0ELj4294967295EEENS1_25partition_config_selectorILNS1_17partition_subalgoE4EjNS0_10empty_typeEbEEZZNS1_14partition_implILS8_4ELb0ES6_15HIP_vector_typeIjLj2EENS0_17counting_iteratorIjlEEPS9_SG_NS0_5tupleIJPjSI_NS0_16reverse_iteratorISI_EEEEENSH_IJSG_SG_SG_EEES9_SI_JZNS1_25segmented_radix_sort_implINS0_14default_configELb0EPKhPhPKlPlN2at6native12_GLOBAL__N_18offset_tEEE10hipError_tPvRmT1_PNSt15iterator_traitsIS12_E10value_typeET2_T3_PNS13_IS18_E10value_typeET4_jRbjT5_S1E_jjP12ihipStream_tbEUljE_ZNSN_ISO_Lb0ESQ_SR_ST_SU_SY_EESZ_S10_S11_S12_S16_S17_S18_S1B_S1C_jS1D_jS1E_S1E_jjS1G_bEUljE0_EEESZ_S10_S11_S18_S1C_S1E_T6_T7_T9_mT8_S1G_bDpT10_ENKUlT_T0_E_clISt17integral_constantIbLb0EES1T_IbLb1EEEEDaS1P_S1Q_EUlS1P_E_NS1_11comp_targetILNS1_3genE5ELNS1_11target_archE942ELNS1_3gpuE9ELNS1_3repE0EEENS1_30default_config_static_selectorELNS0_4arch9wavefront6targetE0EEEvS12_,@function
_ZN7rocprim17ROCPRIM_400000_NS6detail17trampoline_kernelINS0_13select_configILj256ELj13ELNS0_17block_load_methodE3ELS4_3ELS4_3ELNS0_20block_scan_algorithmE0ELj4294967295EEENS1_25partition_config_selectorILNS1_17partition_subalgoE4EjNS0_10empty_typeEbEEZZNS1_14partition_implILS8_4ELb0ES6_15HIP_vector_typeIjLj2EENS0_17counting_iteratorIjlEEPS9_SG_NS0_5tupleIJPjSI_NS0_16reverse_iteratorISI_EEEEENSH_IJSG_SG_SG_EEES9_SI_JZNS1_25segmented_radix_sort_implINS0_14default_configELb0EPKhPhPKlPlN2at6native12_GLOBAL__N_18offset_tEEE10hipError_tPvRmT1_PNSt15iterator_traitsIS12_E10value_typeET2_T3_PNS13_IS18_E10value_typeET4_jRbjT5_S1E_jjP12ihipStream_tbEUljE_ZNSN_ISO_Lb0ESQ_SR_ST_SU_SY_EESZ_S10_S11_S12_S16_S17_S18_S1B_S1C_jS1D_jS1E_S1E_jjS1G_bEUljE0_EEESZ_S10_S11_S18_S1C_S1E_T6_T7_T9_mT8_S1G_bDpT10_ENKUlT_T0_E_clISt17integral_constantIbLb0EES1T_IbLb1EEEEDaS1P_S1Q_EUlS1P_E_NS1_11comp_targetILNS1_3genE5ELNS1_11target_archE942ELNS1_3gpuE9ELNS1_3repE0EEENS1_30default_config_static_selectorELNS0_4arch9wavefront6targetE0EEEvS12_: ; @_ZN7rocprim17ROCPRIM_400000_NS6detail17trampoline_kernelINS0_13select_configILj256ELj13ELNS0_17block_load_methodE3ELS4_3ELS4_3ELNS0_20block_scan_algorithmE0ELj4294967295EEENS1_25partition_config_selectorILNS1_17partition_subalgoE4EjNS0_10empty_typeEbEEZZNS1_14partition_implILS8_4ELb0ES6_15HIP_vector_typeIjLj2EENS0_17counting_iteratorIjlEEPS9_SG_NS0_5tupleIJPjSI_NS0_16reverse_iteratorISI_EEEEENSH_IJSG_SG_SG_EEES9_SI_JZNS1_25segmented_radix_sort_implINS0_14default_configELb0EPKhPhPKlPlN2at6native12_GLOBAL__N_18offset_tEEE10hipError_tPvRmT1_PNSt15iterator_traitsIS12_E10value_typeET2_T3_PNS13_IS18_E10value_typeET4_jRbjT5_S1E_jjP12ihipStream_tbEUljE_ZNSN_ISO_Lb0ESQ_SR_ST_SU_SY_EESZ_S10_S11_S12_S16_S17_S18_S1B_S1C_jS1D_jS1E_S1E_jjS1G_bEUljE0_EEESZ_S10_S11_S18_S1C_S1E_T6_T7_T9_mT8_S1G_bDpT10_ENKUlT_T0_E_clISt17integral_constantIbLb0EES1T_IbLb1EEEEDaS1P_S1Q_EUlS1P_E_NS1_11comp_targetILNS1_3genE5ELNS1_11target_archE942ELNS1_3gpuE9ELNS1_3repE0EEENS1_30default_config_static_selectorELNS0_4arch9wavefront6targetE0EEEvS12_
; %bb.0:
	.section	.rodata,"a",@progbits
	.p2align	6, 0x0
	.amdhsa_kernel _ZN7rocprim17ROCPRIM_400000_NS6detail17trampoline_kernelINS0_13select_configILj256ELj13ELNS0_17block_load_methodE3ELS4_3ELS4_3ELNS0_20block_scan_algorithmE0ELj4294967295EEENS1_25partition_config_selectorILNS1_17partition_subalgoE4EjNS0_10empty_typeEbEEZZNS1_14partition_implILS8_4ELb0ES6_15HIP_vector_typeIjLj2EENS0_17counting_iteratorIjlEEPS9_SG_NS0_5tupleIJPjSI_NS0_16reverse_iteratorISI_EEEEENSH_IJSG_SG_SG_EEES9_SI_JZNS1_25segmented_radix_sort_implINS0_14default_configELb0EPKhPhPKlPlN2at6native12_GLOBAL__N_18offset_tEEE10hipError_tPvRmT1_PNSt15iterator_traitsIS12_E10value_typeET2_T3_PNS13_IS18_E10value_typeET4_jRbjT5_S1E_jjP12ihipStream_tbEUljE_ZNSN_ISO_Lb0ESQ_SR_ST_SU_SY_EESZ_S10_S11_S12_S16_S17_S18_S1B_S1C_jS1D_jS1E_S1E_jjS1G_bEUljE0_EEESZ_S10_S11_S18_S1C_S1E_T6_T7_T9_mT8_S1G_bDpT10_ENKUlT_T0_E_clISt17integral_constantIbLb0EES1T_IbLb1EEEEDaS1P_S1Q_EUlS1P_E_NS1_11comp_targetILNS1_3genE5ELNS1_11target_archE942ELNS1_3gpuE9ELNS1_3repE0EEENS1_30default_config_static_selectorELNS0_4arch9wavefront6targetE0EEEvS12_
		.amdhsa_group_segment_fixed_size 0
		.amdhsa_private_segment_fixed_size 0
		.amdhsa_kernarg_size 184
		.amdhsa_user_sgpr_count 15
		.amdhsa_user_sgpr_dispatch_ptr 0
		.amdhsa_user_sgpr_queue_ptr 0
		.amdhsa_user_sgpr_kernarg_segment_ptr 1
		.amdhsa_user_sgpr_dispatch_id 0
		.amdhsa_user_sgpr_private_segment_size 0
		.amdhsa_wavefront_size32 1
		.amdhsa_uses_dynamic_stack 0
		.amdhsa_enable_private_segment 0
		.amdhsa_system_sgpr_workgroup_id_x 1
		.amdhsa_system_sgpr_workgroup_id_y 0
		.amdhsa_system_sgpr_workgroup_id_z 0
		.amdhsa_system_sgpr_workgroup_info 0
		.amdhsa_system_vgpr_workitem_id 0
		.amdhsa_next_free_vgpr 1
		.amdhsa_next_free_sgpr 1
		.amdhsa_reserve_vcc 0
		.amdhsa_float_round_mode_32 0
		.amdhsa_float_round_mode_16_64 0
		.amdhsa_float_denorm_mode_32 3
		.amdhsa_float_denorm_mode_16_64 3
		.amdhsa_dx10_clamp 1
		.amdhsa_ieee_mode 1
		.amdhsa_fp16_overflow 0
		.amdhsa_workgroup_processor_mode 1
		.amdhsa_memory_ordered 1
		.amdhsa_forward_progress 0
		.amdhsa_shared_vgpr_count 0
		.amdhsa_exception_fp_ieee_invalid_op 0
		.amdhsa_exception_fp_denorm_src 0
		.amdhsa_exception_fp_ieee_div_zero 0
		.amdhsa_exception_fp_ieee_overflow 0
		.amdhsa_exception_fp_ieee_underflow 0
		.amdhsa_exception_fp_ieee_inexact 0
		.amdhsa_exception_int_div_zero 0
	.end_amdhsa_kernel
	.section	.text._ZN7rocprim17ROCPRIM_400000_NS6detail17trampoline_kernelINS0_13select_configILj256ELj13ELNS0_17block_load_methodE3ELS4_3ELS4_3ELNS0_20block_scan_algorithmE0ELj4294967295EEENS1_25partition_config_selectorILNS1_17partition_subalgoE4EjNS0_10empty_typeEbEEZZNS1_14partition_implILS8_4ELb0ES6_15HIP_vector_typeIjLj2EENS0_17counting_iteratorIjlEEPS9_SG_NS0_5tupleIJPjSI_NS0_16reverse_iteratorISI_EEEEENSH_IJSG_SG_SG_EEES9_SI_JZNS1_25segmented_radix_sort_implINS0_14default_configELb0EPKhPhPKlPlN2at6native12_GLOBAL__N_18offset_tEEE10hipError_tPvRmT1_PNSt15iterator_traitsIS12_E10value_typeET2_T3_PNS13_IS18_E10value_typeET4_jRbjT5_S1E_jjP12ihipStream_tbEUljE_ZNSN_ISO_Lb0ESQ_SR_ST_SU_SY_EESZ_S10_S11_S12_S16_S17_S18_S1B_S1C_jS1D_jS1E_S1E_jjS1G_bEUljE0_EEESZ_S10_S11_S18_S1C_S1E_T6_T7_T9_mT8_S1G_bDpT10_ENKUlT_T0_E_clISt17integral_constantIbLb0EES1T_IbLb1EEEEDaS1P_S1Q_EUlS1P_E_NS1_11comp_targetILNS1_3genE5ELNS1_11target_archE942ELNS1_3gpuE9ELNS1_3repE0EEENS1_30default_config_static_selectorELNS0_4arch9wavefront6targetE0EEEvS12_,"axG",@progbits,_ZN7rocprim17ROCPRIM_400000_NS6detail17trampoline_kernelINS0_13select_configILj256ELj13ELNS0_17block_load_methodE3ELS4_3ELS4_3ELNS0_20block_scan_algorithmE0ELj4294967295EEENS1_25partition_config_selectorILNS1_17partition_subalgoE4EjNS0_10empty_typeEbEEZZNS1_14partition_implILS8_4ELb0ES6_15HIP_vector_typeIjLj2EENS0_17counting_iteratorIjlEEPS9_SG_NS0_5tupleIJPjSI_NS0_16reverse_iteratorISI_EEEEENSH_IJSG_SG_SG_EEES9_SI_JZNS1_25segmented_radix_sort_implINS0_14default_configELb0EPKhPhPKlPlN2at6native12_GLOBAL__N_18offset_tEEE10hipError_tPvRmT1_PNSt15iterator_traitsIS12_E10value_typeET2_T3_PNS13_IS18_E10value_typeET4_jRbjT5_S1E_jjP12ihipStream_tbEUljE_ZNSN_ISO_Lb0ESQ_SR_ST_SU_SY_EESZ_S10_S11_S12_S16_S17_S18_S1B_S1C_jS1D_jS1E_S1E_jjS1G_bEUljE0_EEESZ_S10_S11_S18_S1C_S1E_T6_T7_T9_mT8_S1G_bDpT10_ENKUlT_T0_E_clISt17integral_constantIbLb0EES1T_IbLb1EEEEDaS1P_S1Q_EUlS1P_E_NS1_11comp_targetILNS1_3genE5ELNS1_11target_archE942ELNS1_3gpuE9ELNS1_3repE0EEENS1_30default_config_static_selectorELNS0_4arch9wavefront6targetE0EEEvS12_,comdat
.Lfunc_end147:
	.size	_ZN7rocprim17ROCPRIM_400000_NS6detail17trampoline_kernelINS0_13select_configILj256ELj13ELNS0_17block_load_methodE3ELS4_3ELS4_3ELNS0_20block_scan_algorithmE0ELj4294967295EEENS1_25partition_config_selectorILNS1_17partition_subalgoE4EjNS0_10empty_typeEbEEZZNS1_14partition_implILS8_4ELb0ES6_15HIP_vector_typeIjLj2EENS0_17counting_iteratorIjlEEPS9_SG_NS0_5tupleIJPjSI_NS0_16reverse_iteratorISI_EEEEENSH_IJSG_SG_SG_EEES9_SI_JZNS1_25segmented_radix_sort_implINS0_14default_configELb0EPKhPhPKlPlN2at6native12_GLOBAL__N_18offset_tEEE10hipError_tPvRmT1_PNSt15iterator_traitsIS12_E10value_typeET2_T3_PNS13_IS18_E10value_typeET4_jRbjT5_S1E_jjP12ihipStream_tbEUljE_ZNSN_ISO_Lb0ESQ_SR_ST_SU_SY_EESZ_S10_S11_S12_S16_S17_S18_S1B_S1C_jS1D_jS1E_S1E_jjS1G_bEUljE0_EEESZ_S10_S11_S18_S1C_S1E_T6_T7_T9_mT8_S1G_bDpT10_ENKUlT_T0_E_clISt17integral_constantIbLb0EES1T_IbLb1EEEEDaS1P_S1Q_EUlS1P_E_NS1_11comp_targetILNS1_3genE5ELNS1_11target_archE942ELNS1_3gpuE9ELNS1_3repE0EEENS1_30default_config_static_selectorELNS0_4arch9wavefront6targetE0EEEvS12_, .Lfunc_end147-_ZN7rocprim17ROCPRIM_400000_NS6detail17trampoline_kernelINS0_13select_configILj256ELj13ELNS0_17block_load_methodE3ELS4_3ELS4_3ELNS0_20block_scan_algorithmE0ELj4294967295EEENS1_25partition_config_selectorILNS1_17partition_subalgoE4EjNS0_10empty_typeEbEEZZNS1_14partition_implILS8_4ELb0ES6_15HIP_vector_typeIjLj2EENS0_17counting_iteratorIjlEEPS9_SG_NS0_5tupleIJPjSI_NS0_16reverse_iteratorISI_EEEEENSH_IJSG_SG_SG_EEES9_SI_JZNS1_25segmented_radix_sort_implINS0_14default_configELb0EPKhPhPKlPlN2at6native12_GLOBAL__N_18offset_tEEE10hipError_tPvRmT1_PNSt15iterator_traitsIS12_E10value_typeET2_T3_PNS13_IS18_E10value_typeET4_jRbjT5_S1E_jjP12ihipStream_tbEUljE_ZNSN_ISO_Lb0ESQ_SR_ST_SU_SY_EESZ_S10_S11_S12_S16_S17_S18_S1B_S1C_jS1D_jS1E_S1E_jjS1G_bEUljE0_EEESZ_S10_S11_S18_S1C_S1E_T6_T7_T9_mT8_S1G_bDpT10_ENKUlT_T0_E_clISt17integral_constantIbLb0EES1T_IbLb1EEEEDaS1P_S1Q_EUlS1P_E_NS1_11comp_targetILNS1_3genE5ELNS1_11target_archE942ELNS1_3gpuE9ELNS1_3repE0EEENS1_30default_config_static_selectorELNS0_4arch9wavefront6targetE0EEEvS12_
                                        ; -- End function
	.section	.AMDGPU.csdata,"",@progbits
; Kernel info:
; codeLenInByte = 0
; NumSgprs: 0
; NumVgprs: 0
; ScratchSize: 0
; MemoryBound: 0
; FloatMode: 240
; IeeeMode: 1
; LDSByteSize: 0 bytes/workgroup (compile time only)
; SGPRBlocks: 0
; VGPRBlocks: 0
; NumSGPRsForWavesPerEU: 1
; NumVGPRsForWavesPerEU: 1
; Occupancy: 16
; WaveLimiterHint : 0
; COMPUTE_PGM_RSRC2:SCRATCH_EN: 0
; COMPUTE_PGM_RSRC2:USER_SGPR: 15
; COMPUTE_PGM_RSRC2:TRAP_HANDLER: 0
; COMPUTE_PGM_RSRC2:TGID_X_EN: 1
; COMPUTE_PGM_RSRC2:TGID_Y_EN: 0
; COMPUTE_PGM_RSRC2:TGID_Z_EN: 0
; COMPUTE_PGM_RSRC2:TIDIG_COMP_CNT: 0
	.section	.text._ZN7rocprim17ROCPRIM_400000_NS6detail17trampoline_kernelINS0_13select_configILj256ELj13ELNS0_17block_load_methodE3ELS4_3ELS4_3ELNS0_20block_scan_algorithmE0ELj4294967295EEENS1_25partition_config_selectorILNS1_17partition_subalgoE4EjNS0_10empty_typeEbEEZZNS1_14partition_implILS8_4ELb0ES6_15HIP_vector_typeIjLj2EENS0_17counting_iteratorIjlEEPS9_SG_NS0_5tupleIJPjSI_NS0_16reverse_iteratorISI_EEEEENSH_IJSG_SG_SG_EEES9_SI_JZNS1_25segmented_radix_sort_implINS0_14default_configELb0EPKhPhPKlPlN2at6native12_GLOBAL__N_18offset_tEEE10hipError_tPvRmT1_PNSt15iterator_traitsIS12_E10value_typeET2_T3_PNS13_IS18_E10value_typeET4_jRbjT5_S1E_jjP12ihipStream_tbEUljE_ZNSN_ISO_Lb0ESQ_SR_ST_SU_SY_EESZ_S10_S11_S12_S16_S17_S18_S1B_S1C_jS1D_jS1E_S1E_jjS1G_bEUljE0_EEESZ_S10_S11_S18_S1C_S1E_T6_T7_T9_mT8_S1G_bDpT10_ENKUlT_T0_E_clISt17integral_constantIbLb0EES1T_IbLb1EEEEDaS1P_S1Q_EUlS1P_E_NS1_11comp_targetILNS1_3genE4ELNS1_11target_archE910ELNS1_3gpuE8ELNS1_3repE0EEENS1_30default_config_static_selectorELNS0_4arch9wavefront6targetE0EEEvS12_,"axG",@progbits,_ZN7rocprim17ROCPRIM_400000_NS6detail17trampoline_kernelINS0_13select_configILj256ELj13ELNS0_17block_load_methodE3ELS4_3ELS4_3ELNS0_20block_scan_algorithmE0ELj4294967295EEENS1_25partition_config_selectorILNS1_17partition_subalgoE4EjNS0_10empty_typeEbEEZZNS1_14partition_implILS8_4ELb0ES6_15HIP_vector_typeIjLj2EENS0_17counting_iteratorIjlEEPS9_SG_NS0_5tupleIJPjSI_NS0_16reverse_iteratorISI_EEEEENSH_IJSG_SG_SG_EEES9_SI_JZNS1_25segmented_radix_sort_implINS0_14default_configELb0EPKhPhPKlPlN2at6native12_GLOBAL__N_18offset_tEEE10hipError_tPvRmT1_PNSt15iterator_traitsIS12_E10value_typeET2_T3_PNS13_IS18_E10value_typeET4_jRbjT5_S1E_jjP12ihipStream_tbEUljE_ZNSN_ISO_Lb0ESQ_SR_ST_SU_SY_EESZ_S10_S11_S12_S16_S17_S18_S1B_S1C_jS1D_jS1E_S1E_jjS1G_bEUljE0_EEESZ_S10_S11_S18_S1C_S1E_T6_T7_T9_mT8_S1G_bDpT10_ENKUlT_T0_E_clISt17integral_constantIbLb0EES1T_IbLb1EEEEDaS1P_S1Q_EUlS1P_E_NS1_11comp_targetILNS1_3genE4ELNS1_11target_archE910ELNS1_3gpuE8ELNS1_3repE0EEENS1_30default_config_static_selectorELNS0_4arch9wavefront6targetE0EEEvS12_,comdat
	.globl	_ZN7rocprim17ROCPRIM_400000_NS6detail17trampoline_kernelINS0_13select_configILj256ELj13ELNS0_17block_load_methodE3ELS4_3ELS4_3ELNS0_20block_scan_algorithmE0ELj4294967295EEENS1_25partition_config_selectorILNS1_17partition_subalgoE4EjNS0_10empty_typeEbEEZZNS1_14partition_implILS8_4ELb0ES6_15HIP_vector_typeIjLj2EENS0_17counting_iteratorIjlEEPS9_SG_NS0_5tupleIJPjSI_NS0_16reverse_iteratorISI_EEEEENSH_IJSG_SG_SG_EEES9_SI_JZNS1_25segmented_radix_sort_implINS0_14default_configELb0EPKhPhPKlPlN2at6native12_GLOBAL__N_18offset_tEEE10hipError_tPvRmT1_PNSt15iterator_traitsIS12_E10value_typeET2_T3_PNS13_IS18_E10value_typeET4_jRbjT5_S1E_jjP12ihipStream_tbEUljE_ZNSN_ISO_Lb0ESQ_SR_ST_SU_SY_EESZ_S10_S11_S12_S16_S17_S18_S1B_S1C_jS1D_jS1E_S1E_jjS1G_bEUljE0_EEESZ_S10_S11_S18_S1C_S1E_T6_T7_T9_mT8_S1G_bDpT10_ENKUlT_T0_E_clISt17integral_constantIbLb0EES1T_IbLb1EEEEDaS1P_S1Q_EUlS1P_E_NS1_11comp_targetILNS1_3genE4ELNS1_11target_archE910ELNS1_3gpuE8ELNS1_3repE0EEENS1_30default_config_static_selectorELNS0_4arch9wavefront6targetE0EEEvS12_ ; -- Begin function _ZN7rocprim17ROCPRIM_400000_NS6detail17trampoline_kernelINS0_13select_configILj256ELj13ELNS0_17block_load_methodE3ELS4_3ELS4_3ELNS0_20block_scan_algorithmE0ELj4294967295EEENS1_25partition_config_selectorILNS1_17partition_subalgoE4EjNS0_10empty_typeEbEEZZNS1_14partition_implILS8_4ELb0ES6_15HIP_vector_typeIjLj2EENS0_17counting_iteratorIjlEEPS9_SG_NS0_5tupleIJPjSI_NS0_16reverse_iteratorISI_EEEEENSH_IJSG_SG_SG_EEES9_SI_JZNS1_25segmented_radix_sort_implINS0_14default_configELb0EPKhPhPKlPlN2at6native12_GLOBAL__N_18offset_tEEE10hipError_tPvRmT1_PNSt15iterator_traitsIS12_E10value_typeET2_T3_PNS13_IS18_E10value_typeET4_jRbjT5_S1E_jjP12ihipStream_tbEUljE_ZNSN_ISO_Lb0ESQ_SR_ST_SU_SY_EESZ_S10_S11_S12_S16_S17_S18_S1B_S1C_jS1D_jS1E_S1E_jjS1G_bEUljE0_EEESZ_S10_S11_S18_S1C_S1E_T6_T7_T9_mT8_S1G_bDpT10_ENKUlT_T0_E_clISt17integral_constantIbLb0EES1T_IbLb1EEEEDaS1P_S1Q_EUlS1P_E_NS1_11comp_targetILNS1_3genE4ELNS1_11target_archE910ELNS1_3gpuE8ELNS1_3repE0EEENS1_30default_config_static_selectorELNS0_4arch9wavefront6targetE0EEEvS12_
	.p2align	8
	.type	_ZN7rocprim17ROCPRIM_400000_NS6detail17trampoline_kernelINS0_13select_configILj256ELj13ELNS0_17block_load_methodE3ELS4_3ELS4_3ELNS0_20block_scan_algorithmE0ELj4294967295EEENS1_25partition_config_selectorILNS1_17partition_subalgoE4EjNS0_10empty_typeEbEEZZNS1_14partition_implILS8_4ELb0ES6_15HIP_vector_typeIjLj2EENS0_17counting_iteratorIjlEEPS9_SG_NS0_5tupleIJPjSI_NS0_16reverse_iteratorISI_EEEEENSH_IJSG_SG_SG_EEES9_SI_JZNS1_25segmented_radix_sort_implINS0_14default_configELb0EPKhPhPKlPlN2at6native12_GLOBAL__N_18offset_tEEE10hipError_tPvRmT1_PNSt15iterator_traitsIS12_E10value_typeET2_T3_PNS13_IS18_E10value_typeET4_jRbjT5_S1E_jjP12ihipStream_tbEUljE_ZNSN_ISO_Lb0ESQ_SR_ST_SU_SY_EESZ_S10_S11_S12_S16_S17_S18_S1B_S1C_jS1D_jS1E_S1E_jjS1G_bEUljE0_EEESZ_S10_S11_S18_S1C_S1E_T6_T7_T9_mT8_S1G_bDpT10_ENKUlT_T0_E_clISt17integral_constantIbLb0EES1T_IbLb1EEEEDaS1P_S1Q_EUlS1P_E_NS1_11comp_targetILNS1_3genE4ELNS1_11target_archE910ELNS1_3gpuE8ELNS1_3repE0EEENS1_30default_config_static_selectorELNS0_4arch9wavefront6targetE0EEEvS12_,@function
_ZN7rocprim17ROCPRIM_400000_NS6detail17trampoline_kernelINS0_13select_configILj256ELj13ELNS0_17block_load_methodE3ELS4_3ELS4_3ELNS0_20block_scan_algorithmE0ELj4294967295EEENS1_25partition_config_selectorILNS1_17partition_subalgoE4EjNS0_10empty_typeEbEEZZNS1_14partition_implILS8_4ELb0ES6_15HIP_vector_typeIjLj2EENS0_17counting_iteratorIjlEEPS9_SG_NS0_5tupleIJPjSI_NS0_16reverse_iteratorISI_EEEEENSH_IJSG_SG_SG_EEES9_SI_JZNS1_25segmented_radix_sort_implINS0_14default_configELb0EPKhPhPKlPlN2at6native12_GLOBAL__N_18offset_tEEE10hipError_tPvRmT1_PNSt15iterator_traitsIS12_E10value_typeET2_T3_PNS13_IS18_E10value_typeET4_jRbjT5_S1E_jjP12ihipStream_tbEUljE_ZNSN_ISO_Lb0ESQ_SR_ST_SU_SY_EESZ_S10_S11_S12_S16_S17_S18_S1B_S1C_jS1D_jS1E_S1E_jjS1G_bEUljE0_EEESZ_S10_S11_S18_S1C_S1E_T6_T7_T9_mT8_S1G_bDpT10_ENKUlT_T0_E_clISt17integral_constantIbLb0EES1T_IbLb1EEEEDaS1P_S1Q_EUlS1P_E_NS1_11comp_targetILNS1_3genE4ELNS1_11target_archE910ELNS1_3gpuE8ELNS1_3repE0EEENS1_30default_config_static_selectorELNS0_4arch9wavefront6targetE0EEEvS12_: ; @_ZN7rocprim17ROCPRIM_400000_NS6detail17trampoline_kernelINS0_13select_configILj256ELj13ELNS0_17block_load_methodE3ELS4_3ELS4_3ELNS0_20block_scan_algorithmE0ELj4294967295EEENS1_25partition_config_selectorILNS1_17partition_subalgoE4EjNS0_10empty_typeEbEEZZNS1_14partition_implILS8_4ELb0ES6_15HIP_vector_typeIjLj2EENS0_17counting_iteratorIjlEEPS9_SG_NS0_5tupleIJPjSI_NS0_16reverse_iteratorISI_EEEEENSH_IJSG_SG_SG_EEES9_SI_JZNS1_25segmented_radix_sort_implINS0_14default_configELb0EPKhPhPKlPlN2at6native12_GLOBAL__N_18offset_tEEE10hipError_tPvRmT1_PNSt15iterator_traitsIS12_E10value_typeET2_T3_PNS13_IS18_E10value_typeET4_jRbjT5_S1E_jjP12ihipStream_tbEUljE_ZNSN_ISO_Lb0ESQ_SR_ST_SU_SY_EESZ_S10_S11_S12_S16_S17_S18_S1B_S1C_jS1D_jS1E_S1E_jjS1G_bEUljE0_EEESZ_S10_S11_S18_S1C_S1E_T6_T7_T9_mT8_S1G_bDpT10_ENKUlT_T0_E_clISt17integral_constantIbLb0EES1T_IbLb1EEEEDaS1P_S1Q_EUlS1P_E_NS1_11comp_targetILNS1_3genE4ELNS1_11target_archE910ELNS1_3gpuE8ELNS1_3repE0EEENS1_30default_config_static_selectorELNS0_4arch9wavefront6targetE0EEEvS12_
; %bb.0:
	.section	.rodata,"a",@progbits
	.p2align	6, 0x0
	.amdhsa_kernel _ZN7rocprim17ROCPRIM_400000_NS6detail17trampoline_kernelINS0_13select_configILj256ELj13ELNS0_17block_load_methodE3ELS4_3ELS4_3ELNS0_20block_scan_algorithmE0ELj4294967295EEENS1_25partition_config_selectorILNS1_17partition_subalgoE4EjNS0_10empty_typeEbEEZZNS1_14partition_implILS8_4ELb0ES6_15HIP_vector_typeIjLj2EENS0_17counting_iteratorIjlEEPS9_SG_NS0_5tupleIJPjSI_NS0_16reverse_iteratorISI_EEEEENSH_IJSG_SG_SG_EEES9_SI_JZNS1_25segmented_radix_sort_implINS0_14default_configELb0EPKhPhPKlPlN2at6native12_GLOBAL__N_18offset_tEEE10hipError_tPvRmT1_PNSt15iterator_traitsIS12_E10value_typeET2_T3_PNS13_IS18_E10value_typeET4_jRbjT5_S1E_jjP12ihipStream_tbEUljE_ZNSN_ISO_Lb0ESQ_SR_ST_SU_SY_EESZ_S10_S11_S12_S16_S17_S18_S1B_S1C_jS1D_jS1E_S1E_jjS1G_bEUljE0_EEESZ_S10_S11_S18_S1C_S1E_T6_T7_T9_mT8_S1G_bDpT10_ENKUlT_T0_E_clISt17integral_constantIbLb0EES1T_IbLb1EEEEDaS1P_S1Q_EUlS1P_E_NS1_11comp_targetILNS1_3genE4ELNS1_11target_archE910ELNS1_3gpuE8ELNS1_3repE0EEENS1_30default_config_static_selectorELNS0_4arch9wavefront6targetE0EEEvS12_
		.amdhsa_group_segment_fixed_size 0
		.amdhsa_private_segment_fixed_size 0
		.amdhsa_kernarg_size 184
		.amdhsa_user_sgpr_count 15
		.amdhsa_user_sgpr_dispatch_ptr 0
		.amdhsa_user_sgpr_queue_ptr 0
		.amdhsa_user_sgpr_kernarg_segment_ptr 1
		.amdhsa_user_sgpr_dispatch_id 0
		.amdhsa_user_sgpr_private_segment_size 0
		.amdhsa_wavefront_size32 1
		.amdhsa_uses_dynamic_stack 0
		.amdhsa_enable_private_segment 0
		.amdhsa_system_sgpr_workgroup_id_x 1
		.amdhsa_system_sgpr_workgroup_id_y 0
		.amdhsa_system_sgpr_workgroup_id_z 0
		.amdhsa_system_sgpr_workgroup_info 0
		.amdhsa_system_vgpr_workitem_id 0
		.amdhsa_next_free_vgpr 1
		.amdhsa_next_free_sgpr 1
		.amdhsa_reserve_vcc 0
		.amdhsa_float_round_mode_32 0
		.amdhsa_float_round_mode_16_64 0
		.amdhsa_float_denorm_mode_32 3
		.amdhsa_float_denorm_mode_16_64 3
		.amdhsa_dx10_clamp 1
		.amdhsa_ieee_mode 1
		.amdhsa_fp16_overflow 0
		.amdhsa_workgroup_processor_mode 1
		.amdhsa_memory_ordered 1
		.amdhsa_forward_progress 0
		.amdhsa_shared_vgpr_count 0
		.amdhsa_exception_fp_ieee_invalid_op 0
		.amdhsa_exception_fp_denorm_src 0
		.amdhsa_exception_fp_ieee_div_zero 0
		.amdhsa_exception_fp_ieee_overflow 0
		.amdhsa_exception_fp_ieee_underflow 0
		.amdhsa_exception_fp_ieee_inexact 0
		.amdhsa_exception_int_div_zero 0
	.end_amdhsa_kernel
	.section	.text._ZN7rocprim17ROCPRIM_400000_NS6detail17trampoline_kernelINS0_13select_configILj256ELj13ELNS0_17block_load_methodE3ELS4_3ELS4_3ELNS0_20block_scan_algorithmE0ELj4294967295EEENS1_25partition_config_selectorILNS1_17partition_subalgoE4EjNS0_10empty_typeEbEEZZNS1_14partition_implILS8_4ELb0ES6_15HIP_vector_typeIjLj2EENS0_17counting_iteratorIjlEEPS9_SG_NS0_5tupleIJPjSI_NS0_16reverse_iteratorISI_EEEEENSH_IJSG_SG_SG_EEES9_SI_JZNS1_25segmented_radix_sort_implINS0_14default_configELb0EPKhPhPKlPlN2at6native12_GLOBAL__N_18offset_tEEE10hipError_tPvRmT1_PNSt15iterator_traitsIS12_E10value_typeET2_T3_PNS13_IS18_E10value_typeET4_jRbjT5_S1E_jjP12ihipStream_tbEUljE_ZNSN_ISO_Lb0ESQ_SR_ST_SU_SY_EESZ_S10_S11_S12_S16_S17_S18_S1B_S1C_jS1D_jS1E_S1E_jjS1G_bEUljE0_EEESZ_S10_S11_S18_S1C_S1E_T6_T7_T9_mT8_S1G_bDpT10_ENKUlT_T0_E_clISt17integral_constantIbLb0EES1T_IbLb1EEEEDaS1P_S1Q_EUlS1P_E_NS1_11comp_targetILNS1_3genE4ELNS1_11target_archE910ELNS1_3gpuE8ELNS1_3repE0EEENS1_30default_config_static_selectorELNS0_4arch9wavefront6targetE0EEEvS12_,"axG",@progbits,_ZN7rocprim17ROCPRIM_400000_NS6detail17trampoline_kernelINS0_13select_configILj256ELj13ELNS0_17block_load_methodE3ELS4_3ELS4_3ELNS0_20block_scan_algorithmE0ELj4294967295EEENS1_25partition_config_selectorILNS1_17partition_subalgoE4EjNS0_10empty_typeEbEEZZNS1_14partition_implILS8_4ELb0ES6_15HIP_vector_typeIjLj2EENS0_17counting_iteratorIjlEEPS9_SG_NS0_5tupleIJPjSI_NS0_16reverse_iteratorISI_EEEEENSH_IJSG_SG_SG_EEES9_SI_JZNS1_25segmented_radix_sort_implINS0_14default_configELb0EPKhPhPKlPlN2at6native12_GLOBAL__N_18offset_tEEE10hipError_tPvRmT1_PNSt15iterator_traitsIS12_E10value_typeET2_T3_PNS13_IS18_E10value_typeET4_jRbjT5_S1E_jjP12ihipStream_tbEUljE_ZNSN_ISO_Lb0ESQ_SR_ST_SU_SY_EESZ_S10_S11_S12_S16_S17_S18_S1B_S1C_jS1D_jS1E_S1E_jjS1G_bEUljE0_EEESZ_S10_S11_S18_S1C_S1E_T6_T7_T9_mT8_S1G_bDpT10_ENKUlT_T0_E_clISt17integral_constantIbLb0EES1T_IbLb1EEEEDaS1P_S1Q_EUlS1P_E_NS1_11comp_targetILNS1_3genE4ELNS1_11target_archE910ELNS1_3gpuE8ELNS1_3repE0EEENS1_30default_config_static_selectorELNS0_4arch9wavefront6targetE0EEEvS12_,comdat
.Lfunc_end148:
	.size	_ZN7rocprim17ROCPRIM_400000_NS6detail17trampoline_kernelINS0_13select_configILj256ELj13ELNS0_17block_load_methodE3ELS4_3ELS4_3ELNS0_20block_scan_algorithmE0ELj4294967295EEENS1_25partition_config_selectorILNS1_17partition_subalgoE4EjNS0_10empty_typeEbEEZZNS1_14partition_implILS8_4ELb0ES6_15HIP_vector_typeIjLj2EENS0_17counting_iteratorIjlEEPS9_SG_NS0_5tupleIJPjSI_NS0_16reverse_iteratorISI_EEEEENSH_IJSG_SG_SG_EEES9_SI_JZNS1_25segmented_radix_sort_implINS0_14default_configELb0EPKhPhPKlPlN2at6native12_GLOBAL__N_18offset_tEEE10hipError_tPvRmT1_PNSt15iterator_traitsIS12_E10value_typeET2_T3_PNS13_IS18_E10value_typeET4_jRbjT5_S1E_jjP12ihipStream_tbEUljE_ZNSN_ISO_Lb0ESQ_SR_ST_SU_SY_EESZ_S10_S11_S12_S16_S17_S18_S1B_S1C_jS1D_jS1E_S1E_jjS1G_bEUljE0_EEESZ_S10_S11_S18_S1C_S1E_T6_T7_T9_mT8_S1G_bDpT10_ENKUlT_T0_E_clISt17integral_constantIbLb0EES1T_IbLb1EEEEDaS1P_S1Q_EUlS1P_E_NS1_11comp_targetILNS1_3genE4ELNS1_11target_archE910ELNS1_3gpuE8ELNS1_3repE0EEENS1_30default_config_static_selectorELNS0_4arch9wavefront6targetE0EEEvS12_, .Lfunc_end148-_ZN7rocprim17ROCPRIM_400000_NS6detail17trampoline_kernelINS0_13select_configILj256ELj13ELNS0_17block_load_methodE3ELS4_3ELS4_3ELNS0_20block_scan_algorithmE0ELj4294967295EEENS1_25partition_config_selectorILNS1_17partition_subalgoE4EjNS0_10empty_typeEbEEZZNS1_14partition_implILS8_4ELb0ES6_15HIP_vector_typeIjLj2EENS0_17counting_iteratorIjlEEPS9_SG_NS0_5tupleIJPjSI_NS0_16reverse_iteratorISI_EEEEENSH_IJSG_SG_SG_EEES9_SI_JZNS1_25segmented_radix_sort_implINS0_14default_configELb0EPKhPhPKlPlN2at6native12_GLOBAL__N_18offset_tEEE10hipError_tPvRmT1_PNSt15iterator_traitsIS12_E10value_typeET2_T3_PNS13_IS18_E10value_typeET4_jRbjT5_S1E_jjP12ihipStream_tbEUljE_ZNSN_ISO_Lb0ESQ_SR_ST_SU_SY_EESZ_S10_S11_S12_S16_S17_S18_S1B_S1C_jS1D_jS1E_S1E_jjS1G_bEUljE0_EEESZ_S10_S11_S18_S1C_S1E_T6_T7_T9_mT8_S1G_bDpT10_ENKUlT_T0_E_clISt17integral_constantIbLb0EES1T_IbLb1EEEEDaS1P_S1Q_EUlS1P_E_NS1_11comp_targetILNS1_3genE4ELNS1_11target_archE910ELNS1_3gpuE8ELNS1_3repE0EEENS1_30default_config_static_selectorELNS0_4arch9wavefront6targetE0EEEvS12_
                                        ; -- End function
	.section	.AMDGPU.csdata,"",@progbits
; Kernel info:
; codeLenInByte = 0
; NumSgprs: 0
; NumVgprs: 0
; ScratchSize: 0
; MemoryBound: 0
; FloatMode: 240
; IeeeMode: 1
; LDSByteSize: 0 bytes/workgroup (compile time only)
; SGPRBlocks: 0
; VGPRBlocks: 0
; NumSGPRsForWavesPerEU: 1
; NumVGPRsForWavesPerEU: 1
; Occupancy: 16
; WaveLimiterHint : 0
; COMPUTE_PGM_RSRC2:SCRATCH_EN: 0
; COMPUTE_PGM_RSRC2:USER_SGPR: 15
; COMPUTE_PGM_RSRC2:TRAP_HANDLER: 0
; COMPUTE_PGM_RSRC2:TGID_X_EN: 1
; COMPUTE_PGM_RSRC2:TGID_Y_EN: 0
; COMPUTE_PGM_RSRC2:TGID_Z_EN: 0
; COMPUTE_PGM_RSRC2:TIDIG_COMP_CNT: 0
	.section	.text._ZN7rocprim17ROCPRIM_400000_NS6detail17trampoline_kernelINS0_13select_configILj256ELj13ELNS0_17block_load_methodE3ELS4_3ELS4_3ELNS0_20block_scan_algorithmE0ELj4294967295EEENS1_25partition_config_selectorILNS1_17partition_subalgoE4EjNS0_10empty_typeEbEEZZNS1_14partition_implILS8_4ELb0ES6_15HIP_vector_typeIjLj2EENS0_17counting_iteratorIjlEEPS9_SG_NS0_5tupleIJPjSI_NS0_16reverse_iteratorISI_EEEEENSH_IJSG_SG_SG_EEES9_SI_JZNS1_25segmented_radix_sort_implINS0_14default_configELb0EPKhPhPKlPlN2at6native12_GLOBAL__N_18offset_tEEE10hipError_tPvRmT1_PNSt15iterator_traitsIS12_E10value_typeET2_T3_PNS13_IS18_E10value_typeET4_jRbjT5_S1E_jjP12ihipStream_tbEUljE_ZNSN_ISO_Lb0ESQ_SR_ST_SU_SY_EESZ_S10_S11_S12_S16_S17_S18_S1B_S1C_jS1D_jS1E_S1E_jjS1G_bEUljE0_EEESZ_S10_S11_S18_S1C_S1E_T6_T7_T9_mT8_S1G_bDpT10_ENKUlT_T0_E_clISt17integral_constantIbLb0EES1T_IbLb1EEEEDaS1P_S1Q_EUlS1P_E_NS1_11comp_targetILNS1_3genE3ELNS1_11target_archE908ELNS1_3gpuE7ELNS1_3repE0EEENS1_30default_config_static_selectorELNS0_4arch9wavefront6targetE0EEEvS12_,"axG",@progbits,_ZN7rocprim17ROCPRIM_400000_NS6detail17trampoline_kernelINS0_13select_configILj256ELj13ELNS0_17block_load_methodE3ELS4_3ELS4_3ELNS0_20block_scan_algorithmE0ELj4294967295EEENS1_25partition_config_selectorILNS1_17partition_subalgoE4EjNS0_10empty_typeEbEEZZNS1_14partition_implILS8_4ELb0ES6_15HIP_vector_typeIjLj2EENS0_17counting_iteratorIjlEEPS9_SG_NS0_5tupleIJPjSI_NS0_16reverse_iteratorISI_EEEEENSH_IJSG_SG_SG_EEES9_SI_JZNS1_25segmented_radix_sort_implINS0_14default_configELb0EPKhPhPKlPlN2at6native12_GLOBAL__N_18offset_tEEE10hipError_tPvRmT1_PNSt15iterator_traitsIS12_E10value_typeET2_T3_PNS13_IS18_E10value_typeET4_jRbjT5_S1E_jjP12ihipStream_tbEUljE_ZNSN_ISO_Lb0ESQ_SR_ST_SU_SY_EESZ_S10_S11_S12_S16_S17_S18_S1B_S1C_jS1D_jS1E_S1E_jjS1G_bEUljE0_EEESZ_S10_S11_S18_S1C_S1E_T6_T7_T9_mT8_S1G_bDpT10_ENKUlT_T0_E_clISt17integral_constantIbLb0EES1T_IbLb1EEEEDaS1P_S1Q_EUlS1P_E_NS1_11comp_targetILNS1_3genE3ELNS1_11target_archE908ELNS1_3gpuE7ELNS1_3repE0EEENS1_30default_config_static_selectorELNS0_4arch9wavefront6targetE0EEEvS12_,comdat
	.globl	_ZN7rocprim17ROCPRIM_400000_NS6detail17trampoline_kernelINS0_13select_configILj256ELj13ELNS0_17block_load_methodE3ELS4_3ELS4_3ELNS0_20block_scan_algorithmE0ELj4294967295EEENS1_25partition_config_selectorILNS1_17partition_subalgoE4EjNS0_10empty_typeEbEEZZNS1_14partition_implILS8_4ELb0ES6_15HIP_vector_typeIjLj2EENS0_17counting_iteratorIjlEEPS9_SG_NS0_5tupleIJPjSI_NS0_16reverse_iteratorISI_EEEEENSH_IJSG_SG_SG_EEES9_SI_JZNS1_25segmented_radix_sort_implINS0_14default_configELb0EPKhPhPKlPlN2at6native12_GLOBAL__N_18offset_tEEE10hipError_tPvRmT1_PNSt15iterator_traitsIS12_E10value_typeET2_T3_PNS13_IS18_E10value_typeET4_jRbjT5_S1E_jjP12ihipStream_tbEUljE_ZNSN_ISO_Lb0ESQ_SR_ST_SU_SY_EESZ_S10_S11_S12_S16_S17_S18_S1B_S1C_jS1D_jS1E_S1E_jjS1G_bEUljE0_EEESZ_S10_S11_S18_S1C_S1E_T6_T7_T9_mT8_S1G_bDpT10_ENKUlT_T0_E_clISt17integral_constantIbLb0EES1T_IbLb1EEEEDaS1P_S1Q_EUlS1P_E_NS1_11comp_targetILNS1_3genE3ELNS1_11target_archE908ELNS1_3gpuE7ELNS1_3repE0EEENS1_30default_config_static_selectorELNS0_4arch9wavefront6targetE0EEEvS12_ ; -- Begin function _ZN7rocprim17ROCPRIM_400000_NS6detail17trampoline_kernelINS0_13select_configILj256ELj13ELNS0_17block_load_methodE3ELS4_3ELS4_3ELNS0_20block_scan_algorithmE0ELj4294967295EEENS1_25partition_config_selectorILNS1_17partition_subalgoE4EjNS0_10empty_typeEbEEZZNS1_14partition_implILS8_4ELb0ES6_15HIP_vector_typeIjLj2EENS0_17counting_iteratorIjlEEPS9_SG_NS0_5tupleIJPjSI_NS0_16reverse_iteratorISI_EEEEENSH_IJSG_SG_SG_EEES9_SI_JZNS1_25segmented_radix_sort_implINS0_14default_configELb0EPKhPhPKlPlN2at6native12_GLOBAL__N_18offset_tEEE10hipError_tPvRmT1_PNSt15iterator_traitsIS12_E10value_typeET2_T3_PNS13_IS18_E10value_typeET4_jRbjT5_S1E_jjP12ihipStream_tbEUljE_ZNSN_ISO_Lb0ESQ_SR_ST_SU_SY_EESZ_S10_S11_S12_S16_S17_S18_S1B_S1C_jS1D_jS1E_S1E_jjS1G_bEUljE0_EEESZ_S10_S11_S18_S1C_S1E_T6_T7_T9_mT8_S1G_bDpT10_ENKUlT_T0_E_clISt17integral_constantIbLb0EES1T_IbLb1EEEEDaS1P_S1Q_EUlS1P_E_NS1_11comp_targetILNS1_3genE3ELNS1_11target_archE908ELNS1_3gpuE7ELNS1_3repE0EEENS1_30default_config_static_selectorELNS0_4arch9wavefront6targetE0EEEvS12_
	.p2align	8
	.type	_ZN7rocprim17ROCPRIM_400000_NS6detail17trampoline_kernelINS0_13select_configILj256ELj13ELNS0_17block_load_methodE3ELS4_3ELS4_3ELNS0_20block_scan_algorithmE0ELj4294967295EEENS1_25partition_config_selectorILNS1_17partition_subalgoE4EjNS0_10empty_typeEbEEZZNS1_14partition_implILS8_4ELb0ES6_15HIP_vector_typeIjLj2EENS0_17counting_iteratorIjlEEPS9_SG_NS0_5tupleIJPjSI_NS0_16reverse_iteratorISI_EEEEENSH_IJSG_SG_SG_EEES9_SI_JZNS1_25segmented_radix_sort_implINS0_14default_configELb0EPKhPhPKlPlN2at6native12_GLOBAL__N_18offset_tEEE10hipError_tPvRmT1_PNSt15iterator_traitsIS12_E10value_typeET2_T3_PNS13_IS18_E10value_typeET4_jRbjT5_S1E_jjP12ihipStream_tbEUljE_ZNSN_ISO_Lb0ESQ_SR_ST_SU_SY_EESZ_S10_S11_S12_S16_S17_S18_S1B_S1C_jS1D_jS1E_S1E_jjS1G_bEUljE0_EEESZ_S10_S11_S18_S1C_S1E_T6_T7_T9_mT8_S1G_bDpT10_ENKUlT_T0_E_clISt17integral_constantIbLb0EES1T_IbLb1EEEEDaS1P_S1Q_EUlS1P_E_NS1_11comp_targetILNS1_3genE3ELNS1_11target_archE908ELNS1_3gpuE7ELNS1_3repE0EEENS1_30default_config_static_selectorELNS0_4arch9wavefront6targetE0EEEvS12_,@function
_ZN7rocprim17ROCPRIM_400000_NS6detail17trampoline_kernelINS0_13select_configILj256ELj13ELNS0_17block_load_methodE3ELS4_3ELS4_3ELNS0_20block_scan_algorithmE0ELj4294967295EEENS1_25partition_config_selectorILNS1_17partition_subalgoE4EjNS0_10empty_typeEbEEZZNS1_14partition_implILS8_4ELb0ES6_15HIP_vector_typeIjLj2EENS0_17counting_iteratorIjlEEPS9_SG_NS0_5tupleIJPjSI_NS0_16reverse_iteratorISI_EEEEENSH_IJSG_SG_SG_EEES9_SI_JZNS1_25segmented_radix_sort_implINS0_14default_configELb0EPKhPhPKlPlN2at6native12_GLOBAL__N_18offset_tEEE10hipError_tPvRmT1_PNSt15iterator_traitsIS12_E10value_typeET2_T3_PNS13_IS18_E10value_typeET4_jRbjT5_S1E_jjP12ihipStream_tbEUljE_ZNSN_ISO_Lb0ESQ_SR_ST_SU_SY_EESZ_S10_S11_S12_S16_S17_S18_S1B_S1C_jS1D_jS1E_S1E_jjS1G_bEUljE0_EEESZ_S10_S11_S18_S1C_S1E_T6_T7_T9_mT8_S1G_bDpT10_ENKUlT_T0_E_clISt17integral_constantIbLb0EES1T_IbLb1EEEEDaS1P_S1Q_EUlS1P_E_NS1_11comp_targetILNS1_3genE3ELNS1_11target_archE908ELNS1_3gpuE7ELNS1_3repE0EEENS1_30default_config_static_selectorELNS0_4arch9wavefront6targetE0EEEvS12_: ; @_ZN7rocprim17ROCPRIM_400000_NS6detail17trampoline_kernelINS0_13select_configILj256ELj13ELNS0_17block_load_methodE3ELS4_3ELS4_3ELNS0_20block_scan_algorithmE0ELj4294967295EEENS1_25partition_config_selectorILNS1_17partition_subalgoE4EjNS0_10empty_typeEbEEZZNS1_14partition_implILS8_4ELb0ES6_15HIP_vector_typeIjLj2EENS0_17counting_iteratorIjlEEPS9_SG_NS0_5tupleIJPjSI_NS0_16reverse_iteratorISI_EEEEENSH_IJSG_SG_SG_EEES9_SI_JZNS1_25segmented_radix_sort_implINS0_14default_configELb0EPKhPhPKlPlN2at6native12_GLOBAL__N_18offset_tEEE10hipError_tPvRmT1_PNSt15iterator_traitsIS12_E10value_typeET2_T3_PNS13_IS18_E10value_typeET4_jRbjT5_S1E_jjP12ihipStream_tbEUljE_ZNSN_ISO_Lb0ESQ_SR_ST_SU_SY_EESZ_S10_S11_S12_S16_S17_S18_S1B_S1C_jS1D_jS1E_S1E_jjS1G_bEUljE0_EEESZ_S10_S11_S18_S1C_S1E_T6_T7_T9_mT8_S1G_bDpT10_ENKUlT_T0_E_clISt17integral_constantIbLb0EES1T_IbLb1EEEEDaS1P_S1Q_EUlS1P_E_NS1_11comp_targetILNS1_3genE3ELNS1_11target_archE908ELNS1_3gpuE7ELNS1_3repE0EEENS1_30default_config_static_selectorELNS0_4arch9wavefront6targetE0EEEvS12_
; %bb.0:
	.section	.rodata,"a",@progbits
	.p2align	6, 0x0
	.amdhsa_kernel _ZN7rocprim17ROCPRIM_400000_NS6detail17trampoline_kernelINS0_13select_configILj256ELj13ELNS0_17block_load_methodE3ELS4_3ELS4_3ELNS0_20block_scan_algorithmE0ELj4294967295EEENS1_25partition_config_selectorILNS1_17partition_subalgoE4EjNS0_10empty_typeEbEEZZNS1_14partition_implILS8_4ELb0ES6_15HIP_vector_typeIjLj2EENS0_17counting_iteratorIjlEEPS9_SG_NS0_5tupleIJPjSI_NS0_16reverse_iteratorISI_EEEEENSH_IJSG_SG_SG_EEES9_SI_JZNS1_25segmented_radix_sort_implINS0_14default_configELb0EPKhPhPKlPlN2at6native12_GLOBAL__N_18offset_tEEE10hipError_tPvRmT1_PNSt15iterator_traitsIS12_E10value_typeET2_T3_PNS13_IS18_E10value_typeET4_jRbjT5_S1E_jjP12ihipStream_tbEUljE_ZNSN_ISO_Lb0ESQ_SR_ST_SU_SY_EESZ_S10_S11_S12_S16_S17_S18_S1B_S1C_jS1D_jS1E_S1E_jjS1G_bEUljE0_EEESZ_S10_S11_S18_S1C_S1E_T6_T7_T9_mT8_S1G_bDpT10_ENKUlT_T0_E_clISt17integral_constantIbLb0EES1T_IbLb1EEEEDaS1P_S1Q_EUlS1P_E_NS1_11comp_targetILNS1_3genE3ELNS1_11target_archE908ELNS1_3gpuE7ELNS1_3repE0EEENS1_30default_config_static_selectorELNS0_4arch9wavefront6targetE0EEEvS12_
		.amdhsa_group_segment_fixed_size 0
		.amdhsa_private_segment_fixed_size 0
		.amdhsa_kernarg_size 184
		.amdhsa_user_sgpr_count 15
		.amdhsa_user_sgpr_dispatch_ptr 0
		.amdhsa_user_sgpr_queue_ptr 0
		.amdhsa_user_sgpr_kernarg_segment_ptr 1
		.amdhsa_user_sgpr_dispatch_id 0
		.amdhsa_user_sgpr_private_segment_size 0
		.amdhsa_wavefront_size32 1
		.amdhsa_uses_dynamic_stack 0
		.amdhsa_enable_private_segment 0
		.amdhsa_system_sgpr_workgroup_id_x 1
		.amdhsa_system_sgpr_workgroup_id_y 0
		.amdhsa_system_sgpr_workgroup_id_z 0
		.amdhsa_system_sgpr_workgroup_info 0
		.amdhsa_system_vgpr_workitem_id 0
		.amdhsa_next_free_vgpr 1
		.amdhsa_next_free_sgpr 1
		.amdhsa_reserve_vcc 0
		.amdhsa_float_round_mode_32 0
		.amdhsa_float_round_mode_16_64 0
		.amdhsa_float_denorm_mode_32 3
		.amdhsa_float_denorm_mode_16_64 3
		.amdhsa_dx10_clamp 1
		.amdhsa_ieee_mode 1
		.amdhsa_fp16_overflow 0
		.amdhsa_workgroup_processor_mode 1
		.amdhsa_memory_ordered 1
		.amdhsa_forward_progress 0
		.amdhsa_shared_vgpr_count 0
		.amdhsa_exception_fp_ieee_invalid_op 0
		.amdhsa_exception_fp_denorm_src 0
		.amdhsa_exception_fp_ieee_div_zero 0
		.amdhsa_exception_fp_ieee_overflow 0
		.amdhsa_exception_fp_ieee_underflow 0
		.amdhsa_exception_fp_ieee_inexact 0
		.amdhsa_exception_int_div_zero 0
	.end_amdhsa_kernel
	.section	.text._ZN7rocprim17ROCPRIM_400000_NS6detail17trampoline_kernelINS0_13select_configILj256ELj13ELNS0_17block_load_methodE3ELS4_3ELS4_3ELNS0_20block_scan_algorithmE0ELj4294967295EEENS1_25partition_config_selectorILNS1_17partition_subalgoE4EjNS0_10empty_typeEbEEZZNS1_14partition_implILS8_4ELb0ES6_15HIP_vector_typeIjLj2EENS0_17counting_iteratorIjlEEPS9_SG_NS0_5tupleIJPjSI_NS0_16reverse_iteratorISI_EEEEENSH_IJSG_SG_SG_EEES9_SI_JZNS1_25segmented_radix_sort_implINS0_14default_configELb0EPKhPhPKlPlN2at6native12_GLOBAL__N_18offset_tEEE10hipError_tPvRmT1_PNSt15iterator_traitsIS12_E10value_typeET2_T3_PNS13_IS18_E10value_typeET4_jRbjT5_S1E_jjP12ihipStream_tbEUljE_ZNSN_ISO_Lb0ESQ_SR_ST_SU_SY_EESZ_S10_S11_S12_S16_S17_S18_S1B_S1C_jS1D_jS1E_S1E_jjS1G_bEUljE0_EEESZ_S10_S11_S18_S1C_S1E_T6_T7_T9_mT8_S1G_bDpT10_ENKUlT_T0_E_clISt17integral_constantIbLb0EES1T_IbLb1EEEEDaS1P_S1Q_EUlS1P_E_NS1_11comp_targetILNS1_3genE3ELNS1_11target_archE908ELNS1_3gpuE7ELNS1_3repE0EEENS1_30default_config_static_selectorELNS0_4arch9wavefront6targetE0EEEvS12_,"axG",@progbits,_ZN7rocprim17ROCPRIM_400000_NS6detail17trampoline_kernelINS0_13select_configILj256ELj13ELNS0_17block_load_methodE3ELS4_3ELS4_3ELNS0_20block_scan_algorithmE0ELj4294967295EEENS1_25partition_config_selectorILNS1_17partition_subalgoE4EjNS0_10empty_typeEbEEZZNS1_14partition_implILS8_4ELb0ES6_15HIP_vector_typeIjLj2EENS0_17counting_iteratorIjlEEPS9_SG_NS0_5tupleIJPjSI_NS0_16reverse_iteratorISI_EEEEENSH_IJSG_SG_SG_EEES9_SI_JZNS1_25segmented_radix_sort_implINS0_14default_configELb0EPKhPhPKlPlN2at6native12_GLOBAL__N_18offset_tEEE10hipError_tPvRmT1_PNSt15iterator_traitsIS12_E10value_typeET2_T3_PNS13_IS18_E10value_typeET4_jRbjT5_S1E_jjP12ihipStream_tbEUljE_ZNSN_ISO_Lb0ESQ_SR_ST_SU_SY_EESZ_S10_S11_S12_S16_S17_S18_S1B_S1C_jS1D_jS1E_S1E_jjS1G_bEUljE0_EEESZ_S10_S11_S18_S1C_S1E_T6_T7_T9_mT8_S1G_bDpT10_ENKUlT_T0_E_clISt17integral_constantIbLb0EES1T_IbLb1EEEEDaS1P_S1Q_EUlS1P_E_NS1_11comp_targetILNS1_3genE3ELNS1_11target_archE908ELNS1_3gpuE7ELNS1_3repE0EEENS1_30default_config_static_selectorELNS0_4arch9wavefront6targetE0EEEvS12_,comdat
.Lfunc_end149:
	.size	_ZN7rocprim17ROCPRIM_400000_NS6detail17trampoline_kernelINS0_13select_configILj256ELj13ELNS0_17block_load_methodE3ELS4_3ELS4_3ELNS0_20block_scan_algorithmE0ELj4294967295EEENS1_25partition_config_selectorILNS1_17partition_subalgoE4EjNS0_10empty_typeEbEEZZNS1_14partition_implILS8_4ELb0ES6_15HIP_vector_typeIjLj2EENS0_17counting_iteratorIjlEEPS9_SG_NS0_5tupleIJPjSI_NS0_16reverse_iteratorISI_EEEEENSH_IJSG_SG_SG_EEES9_SI_JZNS1_25segmented_radix_sort_implINS0_14default_configELb0EPKhPhPKlPlN2at6native12_GLOBAL__N_18offset_tEEE10hipError_tPvRmT1_PNSt15iterator_traitsIS12_E10value_typeET2_T3_PNS13_IS18_E10value_typeET4_jRbjT5_S1E_jjP12ihipStream_tbEUljE_ZNSN_ISO_Lb0ESQ_SR_ST_SU_SY_EESZ_S10_S11_S12_S16_S17_S18_S1B_S1C_jS1D_jS1E_S1E_jjS1G_bEUljE0_EEESZ_S10_S11_S18_S1C_S1E_T6_T7_T9_mT8_S1G_bDpT10_ENKUlT_T0_E_clISt17integral_constantIbLb0EES1T_IbLb1EEEEDaS1P_S1Q_EUlS1P_E_NS1_11comp_targetILNS1_3genE3ELNS1_11target_archE908ELNS1_3gpuE7ELNS1_3repE0EEENS1_30default_config_static_selectorELNS0_4arch9wavefront6targetE0EEEvS12_, .Lfunc_end149-_ZN7rocprim17ROCPRIM_400000_NS6detail17trampoline_kernelINS0_13select_configILj256ELj13ELNS0_17block_load_methodE3ELS4_3ELS4_3ELNS0_20block_scan_algorithmE0ELj4294967295EEENS1_25partition_config_selectorILNS1_17partition_subalgoE4EjNS0_10empty_typeEbEEZZNS1_14partition_implILS8_4ELb0ES6_15HIP_vector_typeIjLj2EENS0_17counting_iteratorIjlEEPS9_SG_NS0_5tupleIJPjSI_NS0_16reverse_iteratorISI_EEEEENSH_IJSG_SG_SG_EEES9_SI_JZNS1_25segmented_radix_sort_implINS0_14default_configELb0EPKhPhPKlPlN2at6native12_GLOBAL__N_18offset_tEEE10hipError_tPvRmT1_PNSt15iterator_traitsIS12_E10value_typeET2_T3_PNS13_IS18_E10value_typeET4_jRbjT5_S1E_jjP12ihipStream_tbEUljE_ZNSN_ISO_Lb0ESQ_SR_ST_SU_SY_EESZ_S10_S11_S12_S16_S17_S18_S1B_S1C_jS1D_jS1E_S1E_jjS1G_bEUljE0_EEESZ_S10_S11_S18_S1C_S1E_T6_T7_T9_mT8_S1G_bDpT10_ENKUlT_T0_E_clISt17integral_constantIbLb0EES1T_IbLb1EEEEDaS1P_S1Q_EUlS1P_E_NS1_11comp_targetILNS1_3genE3ELNS1_11target_archE908ELNS1_3gpuE7ELNS1_3repE0EEENS1_30default_config_static_selectorELNS0_4arch9wavefront6targetE0EEEvS12_
                                        ; -- End function
	.section	.AMDGPU.csdata,"",@progbits
; Kernel info:
; codeLenInByte = 0
; NumSgprs: 0
; NumVgprs: 0
; ScratchSize: 0
; MemoryBound: 0
; FloatMode: 240
; IeeeMode: 1
; LDSByteSize: 0 bytes/workgroup (compile time only)
; SGPRBlocks: 0
; VGPRBlocks: 0
; NumSGPRsForWavesPerEU: 1
; NumVGPRsForWavesPerEU: 1
; Occupancy: 16
; WaveLimiterHint : 0
; COMPUTE_PGM_RSRC2:SCRATCH_EN: 0
; COMPUTE_PGM_RSRC2:USER_SGPR: 15
; COMPUTE_PGM_RSRC2:TRAP_HANDLER: 0
; COMPUTE_PGM_RSRC2:TGID_X_EN: 1
; COMPUTE_PGM_RSRC2:TGID_Y_EN: 0
; COMPUTE_PGM_RSRC2:TGID_Z_EN: 0
; COMPUTE_PGM_RSRC2:TIDIG_COMP_CNT: 0
	.section	.text._ZN7rocprim17ROCPRIM_400000_NS6detail17trampoline_kernelINS0_13select_configILj256ELj13ELNS0_17block_load_methodE3ELS4_3ELS4_3ELNS0_20block_scan_algorithmE0ELj4294967295EEENS1_25partition_config_selectorILNS1_17partition_subalgoE4EjNS0_10empty_typeEbEEZZNS1_14partition_implILS8_4ELb0ES6_15HIP_vector_typeIjLj2EENS0_17counting_iteratorIjlEEPS9_SG_NS0_5tupleIJPjSI_NS0_16reverse_iteratorISI_EEEEENSH_IJSG_SG_SG_EEES9_SI_JZNS1_25segmented_radix_sort_implINS0_14default_configELb0EPKhPhPKlPlN2at6native12_GLOBAL__N_18offset_tEEE10hipError_tPvRmT1_PNSt15iterator_traitsIS12_E10value_typeET2_T3_PNS13_IS18_E10value_typeET4_jRbjT5_S1E_jjP12ihipStream_tbEUljE_ZNSN_ISO_Lb0ESQ_SR_ST_SU_SY_EESZ_S10_S11_S12_S16_S17_S18_S1B_S1C_jS1D_jS1E_S1E_jjS1G_bEUljE0_EEESZ_S10_S11_S18_S1C_S1E_T6_T7_T9_mT8_S1G_bDpT10_ENKUlT_T0_E_clISt17integral_constantIbLb0EES1T_IbLb1EEEEDaS1P_S1Q_EUlS1P_E_NS1_11comp_targetILNS1_3genE2ELNS1_11target_archE906ELNS1_3gpuE6ELNS1_3repE0EEENS1_30default_config_static_selectorELNS0_4arch9wavefront6targetE0EEEvS12_,"axG",@progbits,_ZN7rocprim17ROCPRIM_400000_NS6detail17trampoline_kernelINS0_13select_configILj256ELj13ELNS0_17block_load_methodE3ELS4_3ELS4_3ELNS0_20block_scan_algorithmE0ELj4294967295EEENS1_25partition_config_selectorILNS1_17partition_subalgoE4EjNS0_10empty_typeEbEEZZNS1_14partition_implILS8_4ELb0ES6_15HIP_vector_typeIjLj2EENS0_17counting_iteratorIjlEEPS9_SG_NS0_5tupleIJPjSI_NS0_16reverse_iteratorISI_EEEEENSH_IJSG_SG_SG_EEES9_SI_JZNS1_25segmented_radix_sort_implINS0_14default_configELb0EPKhPhPKlPlN2at6native12_GLOBAL__N_18offset_tEEE10hipError_tPvRmT1_PNSt15iterator_traitsIS12_E10value_typeET2_T3_PNS13_IS18_E10value_typeET4_jRbjT5_S1E_jjP12ihipStream_tbEUljE_ZNSN_ISO_Lb0ESQ_SR_ST_SU_SY_EESZ_S10_S11_S12_S16_S17_S18_S1B_S1C_jS1D_jS1E_S1E_jjS1G_bEUljE0_EEESZ_S10_S11_S18_S1C_S1E_T6_T7_T9_mT8_S1G_bDpT10_ENKUlT_T0_E_clISt17integral_constantIbLb0EES1T_IbLb1EEEEDaS1P_S1Q_EUlS1P_E_NS1_11comp_targetILNS1_3genE2ELNS1_11target_archE906ELNS1_3gpuE6ELNS1_3repE0EEENS1_30default_config_static_selectorELNS0_4arch9wavefront6targetE0EEEvS12_,comdat
	.globl	_ZN7rocprim17ROCPRIM_400000_NS6detail17trampoline_kernelINS0_13select_configILj256ELj13ELNS0_17block_load_methodE3ELS4_3ELS4_3ELNS0_20block_scan_algorithmE0ELj4294967295EEENS1_25partition_config_selectorILNS1_17partition_subalgoE4EjNS0_10empty_typeEbEEZZNS1_14partition_implILS8_4ELb0ES6_15HIP_vector_typeIjLj2EENS0_17counting_iteratorIjlEEPS9_SG_NS0_5tupleIJPjSI_NS0_16reverse_iteratorISI_EEEEENSH_IJSG_SG_SG_EEES9_SI_JZNS1_25segmented_radix_sort_implINS0_14default_configELb0EPKhPhPKlPlN2at6native12_GLOBAL__N_18offset_tEEE10hipError_tPvRmT1_PNSt15iterator_traitsIS12_E10value_typeET2_T3_PNS13_IS18_E10value_typeET4_jRbjT5_S1E_jjP12ihipStream_tbEUljE_ZNSN_ISO_Lb0ESQ_SR_ST_SU_SY_EESZ_S10_S11_S12_S16_S17_S18_S1B_S1C_jS1D_jS1E_S1E_jjS1G_bEUljE0_EEESZ_S10_S11_S18_S1C_S1E_T6_T7_T9_mT8_S1G_bDpT10_ENKUlT_T0_E_clISt17integral_constantIbLb0EES1T_IbLb1EEEEDaS1P_S1Q_EUlS1P_E_NS1_11comp_targetILNS1_3genE2ELNS1_11target_archE906ELNS1_3gpuE6ELNS1_3repE0EEENS1_30default_config_static_selectorELNS0_4arch9wavefront6targetE0EEEvS12_ ; -- Begin function _ZN7rocprim17ROCPRIM_400000_NS6detail17trampoline_kernelINS0_13select_configILj256ELj13ELNS0_17block_load_methodE3ELS4_3ELS4_3ELNS0_20block_scan_algorithmE0ELj4294967295EEENS1_25partition_config_selectorILNS1_17partition_subalgoE4EjNS0_10empty_typeEbEEZZNS1_14partition_implILS8_4ELb0ES6_15HIP_vector_typeIjLj2EENS0_17counting_iteratorIjlEEPS9_SG_NS0_5tupleIJPjSI_NS0_16reverse_iteratorISI_EEEEENSH_IJSG_SG_SG_EEES9_SI_JZNS1_25segmented_radix_sort_implINS0_14default_configELb0EPKhPhPKlPlN2at6native12_GLOBAL__N_18offset_tEEE10hipError_tPvRmT1_PNSt15iterator_traitsIS12_E10value_typeET2_T3_PNS13_IS18_E10value_typeET4_jRbjT5_S1E_jjP12ihipStream_tbEUljE_ZNSN_ISO_Lb0ESQ_SR_ST_SU_SY_EESZ_S10_S11_S12_S16_S17_S18_S1B_S1C_jS1D_jS1E_S1E_jjS1G_bEUljE0_EEESZ_S10_S11_S18_S1C_S1E_T6_T7_T9_mT8_S1G_bDpT10_ENKUlT_T0_E_clISt17integral_constantIbLb0EES1T_IbLb1EEEEDaS1P_S1Q_EUlS1P_E_NS1_11comp_targetILNS1_3genE2ELNS1_11target_archE906ELNS1_3gpuE6ELNS1_3repE0EEENS1_30default_config_static_selectorELNS0_4arch9wavefront6targetE0EEEvS12_
	.p2align	8
	.type	_ZN7rocprim17ROCPRIM_400000_NS6detail17trampoline_kernelINS0_13select_configILj256ELj13ELNS0_17block_load_methodE3ELS4_3ELS4_3ELNS0_20block_scan_algorithmE0ELj4294967295EEENS1_25partition_config_selectorILNS1_17partition_subalgoE4EjNS0_10empty_typeEbEEZZNS1_14partition_implILS8_4ELb0ES6_15HIP_vector_typeIjLj2EENS0_17counting_iteratorIjlEEPS9_SG_NS0_5tupleIJPjSI_NS0_16reverse_iteratorISI_EEEEENSH_IJSG_SG_SG_EEES9_SI_JZNS1_25segmented_radix_sort_implINS0_14default_configELb0EPKhPhPKlPlN2at6native12_GLOBAL__N_18offset_tEEE10hipError_tPvRmT1_PNSt15iterator_traitsIS12_E10value_typeET2_T3_PNS13_IS18_E10value_typeET4_jRbjT5_S1E_jjP12ihipStream_tbEUljE_ZNSN_ISO_Lb0ESQ_SR_ST_SU_SY_EESZ_S10_S11_S12_S16_S17_S18_S1B_S1C_jS1D_jS1E_S1E_jjS1G_bEUljE0_EEESZ_S10_S11_S18_S1C_S1E_T6_T7_T9_mT8_S1G_bDpT10_ENKUlT_T0_E_clISt17integral_constantIbLb0EES1T_IbLb1EEEEDaS1P_S1Q_EUlS1P_E_NS1_11comp_targetILNS1_3genE2ELNS1_11target_archE906ELNS1_3gpuE6ELNS1_3repE0EEENS1_30default_config_static_selectorELNS0_4arch9wavefront6targetE0EEEvS12_,@function
_ZN7rocprim17ROCPRIM_400000_NS6detail17trampoline_kernelINS0_13select_configILj256ELj13ELNS0_17block_load_methodE3ELS4_3ELS4_3ELNS0_20block_scan_algorithmE0ELj4294967295EEENS1_25partition_config_selectorILNS1_17partition_subalgoE4EjNS0_10empty_typeEbEEZZNS1_14partition_implILS8_4ELb0ES6_15HIP_vector_typeIjLj2EENS0_17counting_iteratorIjlEEPS9_SG_NS0_5tupleIJPjSI_NS0_16reverse_iteratorISI_EEEEENSH_IJSG_SG_SG_EEES9_SI_JZNS1_25segmented_radix_sort_implINS0_14default_configELb0EPKhPhPKlPlN2at6native12_GLOBAL__N_18offset_tEEE10hipError_tPvRmT1_PNSt15iterator_traitsIS12_E10value_typeET2_T3_PNS13_IS18_E10value_typeET4_jRbjT5_S1E_jjP12ihipStream_tbEUljE_ZNSN_ISO_Lb0ESQ_SR_ST_SU_SY_EESZ_S10_S11_S12_S16_S17_S18_S1B_S1C_jS1D_jS1E_S1E_jjS1G_bEUljE0_EEESZ_S10_S11_S18_S1C_S1E_T6_T7_T9_mT8_S1G_bDpT10_ENKUlT_T0_E_clISt17integral_constantIbLb0EES1T_IbLb1EEEEDaS1P_S1Q_EUlS1P_E_NS1_11comp_targetILNS1_3genE2ELNS1_11target_archE906ELNS1_3gpuE6ELNS1_3repE0EEENS1_30default_config_static_selectorELNS0_4arch9wavefront6targetE0EEEvS12_: ; @_ZN7rocprim17ROCPRIM_400000_NS6detail17trampoline_kernelINS0_13select_configILj256ELj13ELNS0_17block_load_methodE3ELS4_3ELS4_3ELNS0_20block_scan_algorithmE0ELj4294967295EEENS1_25partition_config_selectorILNS1_17partition_subalgoE4EjNS0_10empty_typeEbEEZZNS1_14partition_implILS8_4ELb0ES6_15HIP_vector_typeIjLj2EENS0_17counting_iteratorIjlEEPS9_SG_NS0_5tupleIJPjSI_NS0_16reverse_iteratorISI_EEEEENSH_IJSG_SG_SG_EEES9_SI_JZNS1_25segmented_radix_sort_implINS0_14default_configELb0EPKhPhPKlPlN2at6native12_GLOBAL__N_18offset_tEEE10hipError_tPvRmT1_PNSt15iterator_traitsIS12_E10value_typeET2_T3_PNS13_IS18_E10value_typeET4_jRbjT5_S1E_jjP12ihipStream_tbEUljE_ZNSN_ISO_Lb0ESQ_SR_ST_SU_SY_EESZ_S10_S11_S12_S16_S17_S18_S1B_S1C_jS1D_jS1E_S1E_jjS1G_bEUljE0_EEESZ_S10_S11_S18_S1C_S1E_T6_T7_T9_mT8_S1G_bDpT10_ENKUlT_T0_E_clISt17integral_constantIbLb0EES1T_IbLb1EEEEDaS1P_S1Q_EUlS1P_E_NS1_11comp_targetILNS1_3genE2ELNS1_11target_archE906ELNS1_3gpuE6ELNS1_3repE0EEENS1_30default_config_static_selectorELNS0_4arch9wavefront6targetE0EEEvS12_
; %bb.0:
	.section	.rodata,"a",@progbits
	.p2align	6, 0x0
	.amdhsa_kernel _ZN7rocprim17ROCPRIM_400000_NS6detail17trampoline_kernelINS0_13select_configILj256ELj13ELNS0_17block_load_methodE3ELS4_3ELS4_3ELNS0_20block_scan_algorithmE0ELj4294967295EEENS1_25partition_config_selectorILNS1_17partition_subalgoE4EjNS0_10empty_typeEbEEZZNS1_14partition_implILS8_4ELb0ES6_15HIP_vector_typeIjLj2EENS0_17counting_iteratorIjlEEPS9_SG_NS0_5tupleIJPjSI_NS0_16reverse_iteratorISI_EEEEENSH_IJSG_SG_SG_EEES9_SI_JZNS1_25segmented_radix_sort_implINS0_14default_configELb0EPKhPhPKlPlN2at6native12_GLOBAL__N_18offset_tEEE10hipError_tPvRmT1_PNSt15iterator_traitsIS12_E10value_typeET2_T3_PNS13_IS18_E10value_typeET4_jRbjT5_S1E_jjP12ihipStream_tbEUljE_ZNSN_ISO_Lb0ESQ_SR_ST_SU_SY_EESZ_S10_S11_S12_S16_S17_S18_S1B_S1C_jS1D_jS1E_S1E_jjS1G_bEUljE0_EEESZ_S10_S11_S18_S1C_S1E_T6_T7_T9_mT8_S1G_bDpT10_ENKUlT_T0_E_clISt17integral_constantIbLb0EES1T_IbLb1EEEEDaS1P_S1Q_EUlS1P_E_NS1_11comp_targetILNS1_3genE2ELNS1_11target_archE906ELNS1_3gpuE6ELNS1_3repE0EEENS1_30default_config_static_selectorELNS0_4arch9wavefront6targetE0EEEvS12_
		.amdhsa_group_segment_fixed_size 0
		.amdhsa_private_segment_fixed_size 0
		.amdhsa_kernarg_size 184
		.amdhsa_user_sgpr_count 15
		.amdhsa_user_sgpr_dispatch_ptr 0
		.amdhsa_user_sgpr_queue_ptr 0
		.amdhsa_user_sgpr_kernarg_segment_ptr 1
		.amdhsa_user_sgpr_dispatch_id 0
		.amdhsa_user_sgpr_private_segment_size 0
		.amdhsa_wavefront_size32 1
		.amdhsa_uses_dynamic_stack 0
		.amdhsa_enable_private_segment 0
		.amdhsa_system_sgpr_workgroup_id_x 1
		.amdhsa_system_sgpr_workgroup_id_y 0
		.amdhsa_system_sgpr_workgroup_id_z 0
		.amdhsa_system_sgpr_workgroup_info 0
		.amdhsa_system_vgpr_workitem_id 0
		.amdhsa_next_free_vgpr 1
		.amdhsa_next_free_sgpr 1
		.amdhsa_reserve_vcc 0
		.amdhsa_float_round_mode_32 0
		.amdhsa_float_round_mode_16_64 0
		.amdhsa_float_denorm_mode_32 3
		.amdhsa_float_denorm_mode_16_64 3
		.amdhsa_dx10_clamp 1
		.amdhsa_ieee_mode 1
		.amdhsa_fp16_overflow 0
		.amdhsa_workgroup_processor_mode 1
		.amdhsa_memory_ordered 1
		.amdhsa_forward_progress 0
		.amdhsa_shared_vgpr_count 0
		.amdhsa_exception_fp_ieee_invalid_op 0
		.amdhsa_exception_fp_denorm_src 0
		.amdhsa_exception_fp_ieee_div_zero 0
		.amdhsa_exception_fp_ieee_overflow 0
		.amdhsa_exception_fp_ieee_underflow 0
		.amdhsa_exception_fp_ieee_inexact 0
		.amdhsa_exception_int_div_zero 0
	.end_amdhsa_kernel
	.section	.text._ZN7rocprim17ROCPRIM_400000_NS6detail17trampoline_kernelINS0_13select_configILj256ELj13ELNS0_17block_load_methodE3ELS4_3ELS4_3ELNS0_20block_scan_algorithmE0ELj4294967295EEENS1_25partition_config_selectorILNS1_17partition_subalgoE4EjNS0_10empty_typeEbEEZZNS1_14partition_implILS8_4ELb0ES6_15HIP_vector_typeIjLj2EENS0_17counting_iteratorIjlEEPS9_SG_NS0_5tupleIJPjSI_NS0_16reverse_iteratorISI_EEEEENSH_IJSG_SG_SG_EEES9_SI_JZNS1_25segmented_radix_sort_implINS0_14default_configELb0EPKhPhPKlPlN2at6native12_GLOBAL__N_18offset_tEEE10hipError_tPvRmT1_PNSt15iterator_traitsIS12_E10value_typeET2_T3_PNS13_IS18_E10value_typeET4_jRbjT5_S1E_jjP12ihipStream_tbEUljE_ZNSN_ISO_Lb0ESQ_SR_ST_SU_SY_EESZ_S10_S11_S12_S16_S17_S18_S1B_S1C_jS1D_jS1E_S1E_jjS1G_bEUljE0_EEESZ_S10_S11_S18_S1C_S1E_T6_T7_T9_mT8_S1G_bDpT10_ENKUlT_T0_E_clISt17integral_constantIbLb0EES1T_IbLb1EEEEDaS1P_S1Q_EUlS1P_E_NS1_11comp_targetILNS1_3genE2ELNS1_11target_archE906ELNS1_3gpuE6ELNS1_3repE0EEENS1_30default_config_static_selectorELNS0_4arch9wavefront6targetE0EEEvS12_,"axG",@progbits,_ZN7rocprim17ROCPRIM_400000_NS6detail17trampoline_kernelINS0_13select_configILj256ELj13ELNS0_17block_load_methodE3ELS4_3ELS4_3ELNS0_20block_scan_algorithmE0ELj4294967295EEENS1_25partition_config_selectorILNS1_17partition_subalgoE4EjNS0_10empty_typeEbEEZZNS1_14partition_implILS8_4ELb0ES6_15HIP_vector_typeIjLj2EENS0_17counting_iteratorIjlEEPS9_SG_NS0_5tupleIJPjSI_NS0_16reverse_iteratorISI_EEEEENSH_IJSG_SG_SG_EEES9_SI_JZNS1_25segmented_radix_sort_implINS0_14default_configELb0EPKhPhPKlPlN2at6native12_GLOBAL__N_18offset_tEEE10hipError_tPvRmT1_PNSt15iterator_traitsIS12_E10value_typeET2_T3_PNS13_IS18_E10value_typeET4_jRbjT5_S1E_jjP12ihipStream_tbEUljE_ZNSN_ISO_Lb0ESQ_SR_ST_SU_SY_EESZ_S10_S11_S12_S16_S17_S18_S1B_S1C_jS1D_jS1E_S1E_jjS1G_bEUljE0_EEESZ_S10_S11_S18_S1C_S1E_T6_T7_T9_mT8_S1G_bDpT10_ENKUlT_T0_E_clISt17integral_constantIbLb0EES1T_IbLb1EEEEDaS1P_S1Q_EUlS1P_E_NS1_11comp_targetILNS1_3genE2ELNS1_11target_archE906ELNS1_3gpuE6ELNS1_3repE0EEENS1_30default_config_static_selectorELNS0_4arch9wavefront6targetE0EEEvS12_,comdat
.Lfunc_end150:
	.size	_ZN7rocprim17ROCPRIM_400000_NS6detail17trampoline_kernelINS0_13select_configILj256ELj13ELNS0_17block_load_methodE3ELS4_3ELS4_3ELNS0_20block_scan_algorithmE0ELj4294967295EEENS1_25partition_config_selectorILNS1_17partition_subalgoE4EjNS0_10empty_typeEbEEZZNS1_14partition_implILS8_4ELb0ES6_15HIP_vector_typeIjLj2EENS0_17counting_iteratorIjlEEPS9_SG_NS0_5tupleIJPjSI_NS0_16reverse_iteratorISI_EEEEENSH_IJSG_SG_SG_EEES9_SI_JZNS1_25segmented_radix_sort_implINS0_14default_configELb0EPKhPhPKlPlN2at6native12_GLOBAL__N_18offset_tEEE10hipError_tPvRmT1_PNSt15iterator_traitsIS12_E10value_typeET2_T3_PNS13_IS18_E10value_typeET4_jRbjT5_S1E_jjP12ihipStream_tbEUljE_ZNSN_ISO_Lb0ESQ_SR_ST_SU_SY_EESZ_S10_S11_S12_S16_S17_S18_S1B_S1C_jS1D_jS1E_S1E_jjS1G_bEUljE0_EEESZ_S10_S11_S18_S1C_S1E_T6_T7_T9_mT8_S1G_bDpT10_ENKUlT_T0_E_clISt17integral_constantIbLb0EES1T_IbLb1EEEEDaS1P_S1Q_EUlS1P_E_NS1_11comp_targetILNS1_3genE2ELNS1_11target_archE906ELNS1_3gpuE6ELNS1_3repE0EEENS1_30default_config_static_selectorELNS0_4arch9wavefront6targetE0EEEvS12_, .Lfunc_end150-_ZN7rocprim17ROCPRIM_400000_NS6detail17trampoline_kernelINS0_13select_configILj256ELj13ELNS0_17block_load_methodE3ELS4_3ELS4_3ELNS0_20block_scan_algorithmE0ELj4294967295EEENS1_25partition_config_selectorILNS1_17partition_subalgoE4EjNS0_10empty_typeEbEEZZNS1_14partition_implILS8_4ELb0ES6_15HIP_vector_typeIjLj2EENS0_17counting_iteratorIjlEEPS9_SG_NS0_5tupleIJPjSI_NS0_16reverse_iteratorISI_EEEEENSH_IJSG_SG_SG_EEES9_SI_JZNS1_25segmented_radix_sort_implINS0_14default_configELb0EPKhPhPKlPlN2at6native12_GLOBAL__N_18offset_tEEE10hipError_tPvRmT1_PNSt15iterator_traitsIS12_E10value_typeET2_T3_PNS13_IS18_E10value_typeET4_jRbjT5_S1E_jjP12ihipStream_tbEUljE_ZNSN_ISO_Lb0ESQ_SR_ST_SU_SY_EESZ_S10_S11_S12_S16_S17_S18_S1B_S1C_jS1D_jS1E_S1E_jjS1G_bEUljE0_EEESZ_S10_S11_S18_S1C_S1E_T6_T7_T9_mT8_S1G_bDpT10_ENKUlT_T0_E_clISt17integral_constantIbLb0EES1T_IbLb1EEEEDaS1P_S1Q_EUlS1P_E_NS1_11comp_targetILNS1_3genE2ELNS1_11target_archE906ELNS1_3gpuE6ELNS1_3repE0EEENS1_30default_config_static_selectorELNS0_4arch9wavefront6targetE0EEEvS12_
                                        ; -- End function
	.section	.AMDGPU.csdata,"",@progbits
; Kernel info:
; codeLenInByte = 0
; NumSgprs: 0
; NumVgprs: 0
; ScratchSize: 0
; MemoryBound: 0
; FloatMode: 240
; IeeeMode: 1
; LDSByteSize: 0 bytes/workgroup (compile time only)
; SGPRBlocks: 0
; VGPRBlocks: 0
; NumSGPRsForWavesPerEU: 1
; NumVGPRsForWavesPerEU: 1
; Occupancy: 16
; WaveLimiterHint : 0
; COMPUTE_PGM_RSRC2:SCRATCH_EN: 0
; COMPUTE_PGM_RSRC2:USER_SGPR: 15
; COMPUTE_PGM_RSRC2:TRAP_HANDLER: 0
; COMPUTE_PGM_RSRC2:TGID_X_EN: 1
; COMPUTE_PGM_RSRC2:TGID_Y_EN: 0
; COMPUTE_PGM_RSRC2:TGID_Z_EN: 0
; COMPUTE_PGM_RSRC2:TIDIG_COMP_CNT: 0
	.section	.text._ZN7rocprim17ROCPRIM_400000_NS6detail17trampoline_kernelINS0_13select_configILj256ELj13ELNS0_17block_load_methodE3ELS4_3ELS4_3ELNS0_20block_scan_algorithmE0ELj4294967295EEENS1_25partition_config_selectorILNS1_17partition_subalgoE4EjNS0_10empty_typeEbEEZZNS1_14partition_implILS8_4ELb0ES6_15HIP_vector_typeIjLj2EENS0_17counting_iteratorIjlEEPS9_SG_NS0_5tupleIJPjSI_NS0_16reverse_iteratorISI_EEEEENSH_IJSG_SG_SG_EEES9_SI_JZNS1_25segmented_radix_sort_implINS0_14default_configELb0EPKhPhPKlPlN2at6native12_GLOBAL__N_18offset_tEEE10hipError_tPvRmT1_PNSt15iterator_traitsIS12_E10value_typeET2_T3_PNS13_IS18_E10value_typeET4_jRbjT5_S1E_jjP12ihipStream_tbEUljE_ZNSN_ISO_Lb0ESQ_SR_ST_SU_SY_EESZ_S10_S11_S12_S16_S17_S18_S1B_S1C_jS1D_jS1E_S1E_jjS1G_bEUljE0_EEESZ_S10_S11_S18_S1C_S1E_T6_T7_T9_mT8_S1G_bDpT10_ENKUlT_T0_E_clISt17integral_constantIbLb0EES1T_IbLb1EEEEDaS1P_S1Q_EUlS1P_E_NS1_11comp_targetILNS1_3genE10ELNS1_11target_archE1200ELNS1_3gpuE4ELNS1_3repE0EEENS1_30default_config_static_selectorELNS0_4arch9wavefront6targetE0EEEvS12_,"axG",@progbits,_ZN7rocprim17ROCPRIM_400000_NS6detail17trampoline_kernelINS0_13select_configILj256ELj13ELNS0_17block_load_methodE3ELS4_3ELS4_3ELNS0_20block_scan_algorithmE0ELj4294967295EEENS1_25partition_config_selectorILNS1_17partition_subalgoE4EjNS0_10empty_typeEbEEZZNS1_14partition_implILS8_4ELb0ES6_15HIP_vector_typeIjLj2EENS0_17counting_iteratorIjlEEPS9_SG_NS0_5tupleIJPjSI_NS0_16reverse_iteratorISI_EEEEENSH_IJSG_SG_SG_EEES9_SI_JZNS1_25segmented_radix_sort_implINS0_14default_configELb0EPKhPhPKlPlN2at6native12_GLOBAL__N_18offset_tEEE10hipError_tPvRmT1_PNSt15iterator_traitsIS12_E10value_typeET2_T3_PNS13_IS18_E10value_typeET4_jRbjT5_S1E_jjP12ihipStream_tbEUljE_ZNSN_ISO_Lb0ESQ_SR_ST_SU_SY_EESZ_S10_S11_S12_S16_S17_S18_S1B_S1C_jS1D_jS1E_S1E_jjS1G_bEUljE0_EEESZ_S10_S11_S18_S1C_S1E_T6_T7_T9_mT8_S1G_bDpT10_ENKUlT_T0_E_clISt17integral_constantIbLb0EES1T_IbLb1EEEEDaS1P_S1Q_EUlS1P_E_NS1_11comp_targetILNS1_3genE10ELNS1_11target_archE1200ELNS1_3gpuE4ELNS1_3repE0EEENS1_30default_config_static_selectorELNS0_4arch9wavefront6targetE0EEEvS12_,comdat
	.globl	_ZN7rocprim17ROCPRIM_400000_NS6detail17trampoline_kernelINS0_13select_configILj256ELj13ELNS0_17block_load_methodE3ELS4_3ELS4_3ELNS0_20block_scan_algorithmE0ELj4294967295EEENS1_25partition_config_selectorILNS1_17partition_subalgoE4EjNS0_10empty_typeEbEEZZNS1_14partition_implILS8_4ELb0ES6_15HIP_vector_typeIjLj2EENS0_17counting_iteratorIjlEEPS9_SG_NS0_5tupleIJPjSI_NS0_16reverse_iteratorISI_EEEEENSH_IJSG_SG_SG_EEES9_SI_JZNS1_25segmented_radix_sort_implINS0_14default_configELb0EPKhPhPKlPlN2at6native12_GLOBAL__N_18offset_tEEE10hipError_tPvRmT1_PNSt15iterator_traitsIS12_E10value_typeET2_T3_PNS13_IS18_E10value_typeET4_jRbjT5_S1E_jjP12ihipStream_tbEUljE_ZNSN_ISO_Lb0ESQ_SR_ST_SU_SY_EESZ_S10_S11_S12_S16_S17_S18_S1B_S1C_jS1D_jS1E_S1E_jjS1G_bEUljE0_EEESZ_S10_S11_S18_S1C_S1E_T6_T7_T9_mT8_S1G_bDpT10_ENKUlT_T0_E_clISt17integral_constantIbLb0EES1T_IbLb1EEEEDaS1P_S1Q_EUlS1P_E_NS1_11comp_targetILNS1_3genE10ELNS1_11target_archE1200ELNS1_3gpuE4ELNS1_3repE0EEENS1_30default_config_static_selectorELNS0_4arch9wavefront6targetE0EEEvS12_ ; -- Begin function _ZN7rocprim17ROCPRIM_400000_NS6detail17trampoline_kernelINS0_13select_configILj256ELj13ELNS0_17block_load_methodE3ELS4_3ELS4_3ELNS0_20block_scan_algorithmE0ELj4294967295EEENS1_25partition_config_selectorILNS1_17partition_subalgoE4EjNS0_10empty_typeEbEEZZNS1_14partition_implILS8_4ELb0ES6_15HIP_vector_typeIjLj2EENS0_17counting_iteratorIjlEEPS9_SG_NS0_5tupleIJPjSI_NS0_16reverse_iteratorISI_EEEEENSH_IJSG_SG_SG_EEES9_SI_JZNS1_25segmented_radix_sort_implINS0_14default_configELb0EPKhPhPKlPlN2at6native12_GLOBAL__N_18offset_tEEE10hipError_tPvRmT1_PNSt15iterator_traitsIS12_E10value_typeET2_T3_PNS13_IS18_E10value_typeET4_jRbjT5_S1E_jjP12ihipStream_tbEUljE_ZNSN_ISO_Lb0ESQ_SR_ST_SU_SY_EESZ_S10_S11_S12_S16_S17_S18_S1B_S1C_jS1D_jS1E_S1E_jjS1G_bEUljE0_EEESZ_S10_S11_S18_S1C_S1E_T6_T7_T9_mT8_S1G_bDpT10_ENKUlT_T0_E_clISt17integral_constantIbLb0EES1T_IbLb1EEEEDaS1P_S1Q_EUlS1P_E_NS1_11comp_targetILNS1_3genE10ELNS1_11target_archE1200ELNS1_3gpuE4ELNS1_3repE0EEENS1_30default_config_static_selectorELNS0_4arch9wavefront6targetE0EEEvS12_
	.p2align	8
	.type	_ZN7rocprim17ROCPRIM_400000_NS6detail17trampoline_kernelINS0_13select_configILj256ELj13ELNS0_17block_load_methodE3ELS4_3ELS4_3ELNS0_20block_scan_algorithmE0ELj4294967295EEENS1_25partition_config_selectorILNS1_17partition_subalgoE4EjNS0_10empty_typeEbEEZZNS1_14partition_implILS8_4ELb0ES6_15HIP_vector_typeIjLj2EENS0_17counting_iteratorIjlEEPS9_SG_NS0_5tupleIJPjSI_NS0_16reverse_iteratorISI_EEEEENSH_IJSG_SG_SG_EEES9_SI_JZNS1_25segmented_radix_sort_implINS0_14default_configELb0EPKhPhPKlPlN2at6native12_GLOBAL__N_18offset_tEEE10hipError_tPvRmT1_PNSt15iterator_traitsIS12_E10value_typeET2_T3_PNS13_IS18_E10value_typeET4_jRbjT5_S1E_jjP12ihipStream_tbEUljE_ZNSN_ISO_Lb0ESQ_SR_ST_SU_SY_EESZ_S10_S11_S12_S16_S17_S18_S1B_S1C_jS1D_jS1E_S1E_jjS1G_bEUljE0_EEESZ_S10_S11_S18_S1C_S1E_T6_T7_T9_mT8_S1G_bDpT10_ENKUlT_T0_E_clISt17integral_constantIbLb0EES1T_IbLb1EEEEDaS1P_S1Q_EUlS1P_E_NS1_11comp_targetILNS1_3genE10ELNS1_11target_archE1200ELNS1_3gpuE4ELNS1_3repE0EEENS1_30default_config_static_selectorELNS0_4arch9wavefront6targetE0EEEvS12_,@function
_ZN7rocprim17ROCPRIM_400000_NS6detail17trampoline_kernelINS0_13select_configILj256ELj13ELNS0_17block_load_methodE3ELS4_3ELS4_3ELNS0_20block_scan_algorithmE0ELj4294967295EEENS1_25partition_config_selectorILNS1_17partition_subalgoE4EjNS0_10empty_typeEbEEZZNS1_14partition_implILS8_4ELb0ES6_15HIP_vector_typeIjLj2EENS0_17counting_iteratorIjlEEPS9_SG_NS0_5tupleIJPjSI_NS0_16reverse_iteratorISI_EEEEENSH_IJSG_SG_SG_EEES9_SI_JZNS1_25segmented_radix_sort_implINS0_14default_configELb0EPKhPhPKlPlN2at6native12_GLOBAL__N_18offset_tEEE10hipError_tPvRmT1_PNSt15iterator_traitsIS12_E10value_typeET2_T3_PNS13_IS18_E10value_typeET4_jRbjT5_S1E_jjP12ihipStream_tbEUljE_ZNSN_ISO_Lb0ESQ_SR_ST_SU_SY_EESZ_S10_S11_S12_S16_S17_S18_S1B_S1C_jS1D_jS1E_S1E_jjS1G_bEUljE0_EEESZ_S10_S11_S18_S1C_S1E_T6_T7_T9_mT8_S1G_bDpT10_ENKUlT_T0_E_clISt17integral_constantIbLb0EES1T_IbLb1EEEEDaS1P_S1Q_EUlS1P_E_NS1_11comp_targetILNS1_3genE10ELNS1_11target_archE1200ELNS1_3gpuE4ELNS1_3repE0EEENS1_30default_config_static_selectorELNS0_4arch9wavefront6targetE0EEEvS12_: ; @_ZN7rocprim17ROCPRIM_400000_NS6detail17trampoline_kernelINS0_13select_configILj256ELj13ELNS0_17block_load_methodE3ELS4_3ELS4_3ELNS0_20block_scan_algorithmE0ELj4294967295EEENS1_25partition_config_selectorILNS1_17partition_subalgoE4EjNS0_10empty_typeEbEEZZNS1_14partition_implILS8_4ELb0ES6_15HIP_vector_typeIjLj2EENS0_17counting_iteratorIjlEEPS9_SG_NS0_5tupleIJPjSI_NS0_16reverse_iteratorISI_EEEEENSH_IJSG_SG_SG_EEES9_SI_JZNS1_25segmented_radix_sort_implINS0_14default_configELb0EPKhPhPKlPlN2at6native12_GLOBAL__N_18offset_tEEE10hipError_tPvRmT1_PNSt15iterator_traitsIS12_E10value_typeET2_T3_PNS13_IS18_E10value_typeET4_jRbjT5_S1E_jjP12ihipStream_tbEUljE_ZNSN_ISO_Lb0ESQ_SR_ST_SU_SY_EESZ_S10_S11_S12_S16_S17_S18_S1B_S1C_jS1D_jS1E_S1E_jjS1G_bEUljE0_EEESZ_S10_S11_S18_S1C_S1E_T6_T7_T9_mT8_S1G_bDpT10_ENKUlT_T0_E_clISt17integral_constantIbLb0EES1T_IbLb1EEEEDaS1P_S1Q_EUlS1P_E_NS1_11comp_targetILNS1_3genE10ELNS1_11target_archE1200ELNS1_3gpuE4ELNS1_3repE0EEENS1_30default_config_static_selectorELNS0_4arch9wavefront6targetE0EEEvS12_
; %bb.0:
	.section	.rodata,"a",@progbits
	.p2align	6, 0x0
	.amdhsa_kernel _ZN7rocprim17ROCPRIM_400000_NS6detail17trampoline_kernelINS0_13select_configILj256ELj13ELNS0_17block_load_methodE3ELS4_3ELS4_3ELNS0_20block_scan_algorithmE0ELj4294967295EEENS1_25partition_config_selectorILNS1_17partition_subalgoE4EjNS0_10empty_typeEbEEZZNS1_14partition_implILS8_4ELb0ES6_15HIP_vector_typeIjLj2EENS0_17counting_iteratorIjlEEPS9_SG_NS0_5tupleIJPjSI_NS0_16reverse_iteratorISI_EEEEENSH_IJSG_SG_SG_EEES9_SI_JZNS1_25segmented_radix_sort_implINS0_14default_configELb0EPKhPhPKlPlN2at6native12_GLOBAL__N_18offset_tEEE10hipError_tPvRmT1_PNSt15iterator_traitsIS12_E10value_typeET2_T3_PNS13_IS18_E10value_typeET4_jRbjT5_S1E_jjP12ihipStream_tbEUljE_ZNSN_ISO_Lb0ESQ_SR_ST_SU_SY_EESZ_S10_S11_S12_S16_S17_S18_S1B_S1C_jS1D_jS1E_S1E_jjS1G_bEUljE0_EEESZ_S10_S11_S18_S1C_S1E_T6_T7_T9_mT8_S1G_bDpT10_ENKUlT_T0_E_clISt17integral_constantIbLb0EES1T_IbLb1EEEEDaS1P_S1Q_EUlS1P_E_NS1_11comp_targetILNS1_3genE10ELNS1_11target_archE1200ELNS1_3gpuE4ELNS1_3repE0EEENS1_30default_config_static_selectorELNS0_4arch9wavefront6targetE0EEEvS12_
		.amdhsa_group_segment_fixed_size 0
		.amdhsa_private_segment_fixed_size 0
		.amdhsa_kernarg_size 184
		.amdhsa_user_sgpr_count 15
		.amdhsa_user_sgpr_dispatch_ptr 0
		.amdhsa_user_sgpr_queue_ptr 0
		.amdhsa_user_sgpr_kernarg_segment_ptr 1
		.amdhsa_user_sgpr_dispatch_id 0
		.amdhsa_user_sgpr_private_segment_size 0
		.amdhsa_wavefront_size32 1
		.amdhsa_uses_dynamic_stack 0
		.amdhsa_enable_private_segment 0
		.amdhsa_system_sgpr_workgroup_id_x 1
		.amdhsa_system_sgpr_workgroup_id_y 0
		.amdhsa_system_sgpr_workgroup_id_z 0
		.amdhsa_system_sgpr_workgroup_info 0
		.amdhsa_system_vgpr_workitem_id 0
		.amdhsa_next_free_vgpr 1
		.amdhsa_next_free_sgpr 1
		.amdhsa_reserve_vcc 0
		.amdhsa_float_round_mode_32 0
		.amdhsa_float_round_mode_16_64 0
		.amdhsa_float_denorm_mode_32 3
		.amdhsa_float_denorm_mode_16_64 3
		.amdhsa_dx10_clamp 1
		.amdhsa_ieee_mode 1
		.amdhsa_fp16_overflow 0
		.amdhsa_workgroup_processor_mode 1
		.amdhsa_memory_ordered 1
		.amdhsa_forward_progress 0
		.amdhsa_shared_vgpr_count 0
		.amdhsa_exception_fp_ieee_invalid_op 0
		.amdhsa_exception_fp_denorm_src 0
		.amdhsa_exception_fp_ieee_div_zero 0
		.amdhsa_exception_fp_ieee_overflow 0
		.amdhsa_exception_fp_ieee_underflow 0
		.amdhsa_exception_fp_ieee_inexact 0
		.amdhsa_exception_int_div_zero 0
	.end_amdhsa_kernel
	.section	.text._ZN7rocprim17ROCPRIM_400000_NS6detail17trampoline_kernelINS0_13select_configILj256ELj13ELNS0_17block_load_methodE3ELS4_3ELS4_3ELNS0_20block_scan_algorithmE0ELj4294967295EEENS1_25partition_config_selectorILNS1_17partition_subalgoE4EjNS0_10empty_typeEbEEZZNS1_14partition_implILS8_4ELb0ES6_15HIP_vector_typeIjLj2EENS0_17counting_iteratorIjlEEPS9_SG_NS0_5tupleIJPjSI_NS0_16reverse_iteratorISI_EEEEENSH_IJSG_SG_SG_EEES9_SI_JZNS1_25segmented_radix_sort_implINS0_14default_configELb0EPKhPhPKlPlN2at6native12_GLOBAL__N_18offset_tEEE10hipError_tPvRmT1_PNSt15iterator_traitsIS12_E10value_typeET2_T3_PNS13_IS18_E10value_typeET4_jRbjT5_S1E_jjP12ihipStream_tbEUljE_ZNSN_ISO_Lb0ESQ_SR_ST_SU_SY_EESZ_S10_S11_S12_S16_S17_S18_S1B_S1C_jS1D_jS1E_S1E_jjS1G_bEUljE0_EEESZ_S10_S11_S18_S1C_S1E_T6_T7_T9_mT8_S1G_bDpT10_ENKUlT_T0_E_clISt17integral_constantIbLb0EES1T_IbLb1EEEEDaS1P_S1Q_EUlS1P_E_NS1_11comp_targetILNS1_3genE10ELNS1_11target_archE1200ELNS1_3gpuE4ELNS1_3repE0EEENS1_30default_config_static_selectorELNS0_4arch9wavefront6targetE0EEEvS12_,"axG",@progbits,_ZN7rocprim17ROCPRIM_400000_NS6detail17trampoline_kernelINS0_13select_configILj256ELj13ELNS0_17block_load_methodE3ELS4_3ELS4_3ELNS0_20block_scan_algorithmE0ELj4294967295EEENS1_25partition_config_selectorILNS1_17partition_subalgoE4EjNS0_10empty_typeEbEEZZNS1_14partition_implILS8_4ELb0ES6_15HIP_vector_typeIjLj2EENS0_17counting_iteratorIjlEEPS9_SG_NS0_5tupleIJPjSI_NS0_16reverse_iteratorISI_EEEEENSH_IJSG_SG_SG_EEES9_SI_JZNS1_25segmented_radix_sort_implINS0_14default_configELb0EPKhPhPKlPlN2at6native12_GLOBAL__N_18offset_tEEE10hipError_tPvRmT1_PNSt15iterator_traitsIS12_E10value_typeET2_T3_PNS13_IS18_E10value_typeET4_jRbjT5_S1E_jjP12ihipStream_tbEUljE_ZNSN_ISO_Lb0ESQ_SR_ST_SU_SY_EESZ_S10_S11_S12_S16_S17_S18_S1B_S1C_jS1D_jS1E_S1E_jjS1G_bEUljE0_EEESZ_S10_S11_S18_S1C_S1E_T6_T7_T9_mT8_S1G_bDpT10_ENKUlT_T0_E_clISt17integral_constantIbLb0EES1T_IbLb1EEEEDaS1P_S1Q_EUlS1P_E_NS1_11comp_targetILNS1_3genE10ELNS1_11target_archE1200ELNS1_3gpuE4ELNS1_3repE0EEENS1_30default_config_static_selectorELNS0_4arch9wavefront6targetE0EEEvS12_,comdat
.Lfunc_end151:
	.size	_ZN7rocprim17ROCPRIM_400000_NS6detail17trampoline_kernelINS0_13select_configILj256ELj13ELNS0_17block_load_methodE3ELS4_3ELS4_3ELNS0_20block_scan_algorithmE0ELj4294967295EEENS1_25partition_config_selectorILNS1_17partition_subalgoE4EjNS0_10empty_typeEbEEZZNS1_14partition_implILS8_4ELb0ES6_15HIP_vector_typeIjLj2EENS0_17counting_iteratorIjlEEPS9_SG_NS0_5tupleIJPjSI_NS0_16reverse_iteratorISI_EEEEENSH_IJSG_SG_SG_EEES9_SI_JZNS1_25segmented_radix_sort_implINS0_14default_configELb0EPKhPhPKlPlN2at6native12_GLOBAL__N_18offset_tEEE10hipError_tPvRmT1_PNSt15iterator_traitsIS12_E10value_typeET2_T3_PNS13_IS18_E10value_typeET4_jRbjT5_S1E_jjP12ihipStream_tbEUljE_ZNSN_ISO_Lb0ESQ_SR_ST_SU_SY_EESZ_S10_S11_S12_S16_S17_S18_S1B_S1C_jS1D_jS1E_S1E_jjS1G_bEUljE0_EEESZ_S10_S11_S18_S1C_S1E_T6_T7_T9_mT8_S1G_bDpT10_ENKUlT_T0_E_clISt17integral_constantIbLb0EES1T_IbLb1EEEEDaS1P_S1Q_EUlS1P_E_NS1_11comp_targetILNS1_3genE10ELNS1_11target_archE1200ELNS1_3gpuE4ELNS1_3repE0EEENS1_30default_config_static_selectorELNS0_4arch9wavefront6targetE0EEEvS12_, .Lfunc_end151-_ZN7rocprim17ROCPRIM_400000_NS6detail17trampoline_kernelINS0_13select_configILj256ELj13ELNS0_17block_load_methodE3ELS4_3ELS4_3ELNS0_20block_scan_algorithmE0ELj4294967295EEENS1_25partition_config_selectorILNS1_17partition_subalgoE4EjNS0_10empty_typeEbEEZZNS1_14partition_implILS8_4ELb0ES6_15HIP_vector_typeIjLj2EENS0_17counting_iteratorIjlEEPS9_SG_NS0_5tupleIJPjSI_NS0_16reverse_iteratorISI_EEEEENSH_IJSG_SG_SG_EEES9_SI_JZNS1_25segmented_radix_sort_implINS0_14default_configELb0EPKhPhPKlPlN2at6native12_GLOBAL__N_18offset_tEEE10hipError_tPvRmT1_PNSt15iterator_traitsIS12_E10value_typeET2_T3_PNS13_IS18_E10value_typeET4_jRbjT5_S1E_jjP12ihipStream_tbEUljE_ZNSN_ISO_Lb0ESQ_SR_ST_SU_SY_EESZ_S10_S11_S12_S16_S17_S18_S1B_S1C_jS1D_jS1E_S1E_jjS1G_bEUljE0_EEESZ_S10_S11_S18_S1C_S1E_T6_T7_T9_mT8_S1G_bDpT10_ENKUlT_T0_E_clISt17integral_constantIbLb0EES1T_IbLb1EEEEDaS1P_S1Q_EUlS1P_E_NS1_11comp_targetILNS1_3genE10ELNS1_11target_archE1200ELNS1_3gpuE4ELNS1_3repE0EEENS1_30default_config_static_selectorELNS0_4arch9wavefront6targetE0EEEvS12_
                                        ; -- End function
	.section	.AMDGPU.csdata,"",@progbits
; Kernel info:
; codeLenInByte = 0
; NumSgprs: 0
; NumVgprs: 0
; ScratchSize: 0
; MemoryBound: 0
; FloatMode: 240
; IeeeMode: 1
; LDSByteSize: 0 bytes/workgroup (compile time only)
; SGPRBlocks: 0
; VGPRBlocks: 0
; NumSGPRsForWavesPerEU: 1
; NumVGPRsForWavesPerEU: 1
; Occupancy: 16
; WaveLimiterHint : 0
; COMPUTE_PGM_RSRC2:SCRATCH_EN: 0
; COMPUTE_PGM_RSRC2:USER_SGPR: 15
; COMPUTE_PGM_RSRC2:TRAP_HANDLER: 0
; COMPUTE_PGM_RSRC2:TGID_X_EN: 1
; COMPUTE_PGM_RSRC2:TGID_Y_EN: 0
; COMPUTE_PGM_RSRC2:TGID_Z_EN: 0
; COMPUTE_PGM_RSRC2:TIDIG_COMP_CNT: 0
	.section	.text._ZN7rocprim17ROCPRIM_400000_NS6detail17trampoline_kernelINS0_13select_configILj256ELj13ELNS0_17block_load_methodE3ELS4_3ELS4_3ELNS0_20block_scan_algorithmE0ELj4294967295EEENS1_25partition_config_selectorILNS1_17partition_subalgoE4EjNS0_10empty_typeEbEEZZNS1_14partition_implILS8_4ELb0ES6_15HIP_vector_typeIjLj2EENS0_17counting_iteratorIjlEEPS9_SG_NS0_5tupleIJPjSI_NS0_16reverse_iteratorISI_EEEEENSH_IJSG_SG_SG_EEES9_SI_JZNS1_25segmented_radix_sort_implINS0_14default_configELb0EPKhPhPKlPlN2at6native12_GLOBAL__N_18offset_tEEE10hipError_tPvRmT1_PNSt15iterator_traitsIS12_E10value_typeET2_T3_PNS13_IS18_E10value_typeET4_jRbjT5_S1E_jjP12ihipStream_tbEUljE_ZNSN_ISO_Lb0ESQ_SR_ST_SU_SY_EESZ_S10_S11_S12_S16_S17_S18_S1B_S1C_jS1D_jS1E_S1E_jjS1G_bEUljE0_EEESZ_S10_S11_S18_S1C_S1E_T6_T7_T9_mT8_S1G_bDpT10_ENKUlT_T0_E_clISt17integral_constantIbLb0EES1T_IbLb1EEEEDaS1P_S1Q_EUlS1P_E_NS1_11comp_targetILNS1_3genE9ELNS1_11target_archE1100ELNS1_3gpuE3ELNS1_3repE0EEENS1_30default_config_static_selectorELNS0_4arch9wavefront6targetE0EEEvS12_,"axG",@progbits,_ZN7rocprim17ROCPRIM_400000_NS6detail17trampoline_kernelINS0_13select_configILj256ELj13ELNS0_17block_load_methodE3ELS4_3ELS4_3ELNS0_20block_scan_algorithmE0ELj4294967295EEENS1_25partition_config_selectorILNS1_17partition_subalgoE4EjNS0_10empty_typeEbEEZZNS1_14partition_implILS8_4ELb0ES6_15HIP_vector_typeIjLj2EENS0_17counting_iteratorIjlEEPS9_SG_NS0_5tupleIJPjSI_NS0_16reverse_iteratorISI_EEEEENSH_IJSG_SG_SG_EEES9_SI_JZNS1_25segmented_radix_sort_implINS0_14default_configELb0EPKhPhPKlPlN2at6native12_GLOBAL__N_18offset_tEEE10hipError_tPvRmT1_PNSt15iterator_traitsIS12_E10value_typeET2_T3_PNS13_IS18_E10value_typeET4_jRbjT5_S1E_jjP12ihipStream_tbEUljE_ZNSN_ISO_Lb0ESQ_SR_ST_SU_SY_EESZ_S10_S11_S12_S16_S17_S18_S1B_S1C_jS1D_jS1E_S1E_jjS1G_bEUljE0_EEESZ_S10_S11_S18_S1C_S1E_T6_T7_T9_mT8_S1G_bDpT10_ENKUlT_T0_E_clISt17integral_constantIbLb0EES1T_IbLb1EEEEDaS1P_S1Q_EUlS1P_E_NS1_11comp_targetILNS1_3genE9ELNS1_11target_archE1100ELNS1_3gpuE3ELNS1_3repE0EEENS1_30default_config_static_selectorELNS0_4arch9wavefront6targetE0EEEvS12_,comdat
	.globl	_ZN7rocprim17ROCPRIM_400000_NS6detail17trampoline_kernelINS0_13select_configILj256ELj13ELNS0_17block_load_methodE3ELS4_3ELS4_3ELNS0_20block_scan_algorithmE0ELj4294967295EEENS1_25partition_config_selectorILNS1_17partition_subalgoE4EjNS0_10empty_typeEbEEZZNS1_14partition_implILS8_4ELb0ES6_15HIP_vector_typeIjLj2EENS0_17counting_iteratorIjlEEPS9_SG_NS0_5tupleIJPjSI_NS0_16reverse_iteratorISI_EEEEENSH_IJSG_SG_SG_EEES9_SI_JZNS1_25segmented_radix_sort_implINS0_14default_configELb0EPKhPhPKlPlN2at6native12_GLOBAL__N_18offset_tEEE10hipError_tPvRmT1_PNSt15iterator_traitsIS12_E10value_typeET2_T3_PNS13_IS18_E10value_typeET4_jRbjT5_S1E_jjP12ihipStream_tbEUljE_ZNSN_ISO_Lb0ESQ_SR_ST_SU_SY_EESZ_S10_S11_S12_S16_S17_S18_S1B_S1C_jS1D_jS1E_S1E_jjS1G_bEUljE0_EEESZ_S10_S11_S18_S1C_S1E_T6_T7_T9_mT8_S1G_bDpT10_ENKUlT_T0_E_clISt17integral_constantIbLb0EES1T_IbLb1EEEEDaS1P_S1Q_EUlS1P_E_NS1_11comp_targetILNS1_3genE9ELNS1_11target_archE1100ELNS1_3gpuE3ELNS1_3repE0EEENS1_30default_config_static_selectorELNS0_4arch9wavefront6targetE0EEEvS12_ ; -- Begin function _ZN7rocprim17ROCPRIM_400000_NS6detail17trampoline_kernelINS0_13select_configILj256ELj13ELNS0_17block_load_methodE3ELS4_3ELS4_3ELNS0_20block_scan_algorithmE0ELj4294967295EEENS1_25partition_config_selectorILNS1_17partition_subalgoE4EjNS0_10empty_typeEbEEZZNS1_14partition_implILS8_4ELb0ES6_15HIP_vector_typeIjLj2EENS0_17counting_iteratorIjlEEPS9_SG_NS0_5tupleIJPjSI_NS0_16reverse_iteratorISI_EEEEENSH_IJSG_SG_SG_EEES9_SI_JZNS1_25segmented_radix_sort_implINS0_14default_configELb0EPKhPhPKlPlN2at6native12_GLOBAL__N_18offset_tEEE10hipError_tPvRmT1_PNSt15iterator_traitsIS12_E10value_typeET2_T3_PNS13_IS18_E10value_typeET4_jRbjT5_S1E_jjP12ihipStream_tbEUljE_ZNSN_ISO_Lb0ESQ_SR_ST_SU_SY_EESZ_S10_S11_S12_S16_S17_S18_S1B_S1C_jS1D_jS1E_S1E_jjS1G_bEUljE0_EEESZ_S10_S11_S18_S1C_S1E_T6_T7_T9_mT8_S1G_bDpT10_ENKUlT_T0_E_clISt17integral_constantIbLb0EES1T_IbLb1EEEEDaS1P_S1Q_EUlS1P_E_NS1_11comp_targetILNS1_3genE9ELNS1_11target_archE1100ELNS1_3gpuE3ELNS1_3repE0EEENS1_30default_config_static_selectorELNS0_4arch9wavefront6targetE0EEEvS12_
	.p2align	8
	.type	_ZN7rocprim17ROCPRIM_400000_NS6detail17trampoline_kernelINS0_13select_configILj256ELj13ELNS0_17block_load_methodE3ELS4_3ELS4_3ELNS0_20block_scan_algorithmE0ELj4294967295EEENS1_25partition_config_selectorILNS1_17partition_subalgoE4EjNS0_10empty_typeEbEEZZNS1_14partition_implILS8_4ELb0ES6_15HIP_vector_typeIjLj2EENS0_17counting_iteratorIjlEEPS9_SG_NS0_5tupleIJPjSI_NS0_16reverse_iteratorISI_EEEEENSH_IJSG_SG_SG_EEES9_SI_JZNS1_25segmented_radix_sort_implINS0_14default_configELb0EPKhPhPKlPlN2at6native12_GLOBAL__N_18offset_tEEE10hipError_tPvRmT1_PNSt15iterator_traitsIS12_E10value_typeET2_T3_PNS13_IS18_E10value_typeET4_jRbjT5_S1E_jjP12ihipStream_tbEUljE_ZNSN_ISO_Lb0ESQ_SR_ST_SU_SY_EESZ_S10_S11_S12_S16_S17_S18_S1B_S1C_jS1D_jS1E_S1E_jjS1G_bEUljE0_EEESZ_S10_S11_S18_S1C_S1E_T6_T7_T9_mT8_S1G_bDpT10_ENKUlT_T0_E_clISt17integral_constantIbLb0EES1T_IbLb1EEEEDaS1P_S1Q_EUlS1P_E_NS1_11comp_targetILNS1_3genE9ELNS1_11target_archE1100ELNS1_3gpuE3ELNS1_3repE0EEENS1_30default_config_static_selectorELNS0_4arch9wavefront6targetE0EEEvS12_,@function
_ZN7rocprim17ROCPRIM_400000_NS6detail17trampoline_kernelINS0_13select_configILj256ELj13ELNS0_17block_load_methodE3ELS4_3ELS4_3ELNS0_20block_scan_algorithmE0ELj4294967295EEENS1_25partition_config_selectorILNS1_17partition_subalgoE4EjNS0_10empty_typeEbEEZZNS1_14partition_implILS8_4ELb0ES6_15HIP_vector_typeIjLj2EENS0_17counting_iteratorIjlEEPS9_SG_NS0_5tupleIJPjSI_NS0_16reverse_iteratorISI_EEEEENSH_IJSG_SG_SG_EEES9_SI_JZNS1_25segmented_radix_sort_implINS0_14default_configELb0EPKhPhPKlPlN2at6native12_GLOBAL__N_18offset_tEEE10hipError_tPvRmT1_PNSt15iterator_traitsIS12_E10value_typeET2_T3_PNS13_IS18_E10value_typeET4_jRbjT5_S1E_jjP12ihipStream_tbEUljE_ZNSN_ISO_Lb0ESQ_SR_ST_SU_SY_EESZ_S10_S11_S12_S16_S17_S18_S1B_S1C_jS1D_jS1E_S1E_jjS1G_bEUljE0_EEESZ_S10_S11_S18_S1C_S1E_T6_T7_T9_mT8_S1G_bDpT10_ENKUlT_T0_E_clISt17integral_constantIbLb0EES1T_IbLb1EEEEDaS1P_S1Q_EUlS1P_E_NS1_11comp_targetILNS1_3genE9ELNS1_11target_archE1100ELNS1_3gpuE3ELNS1_3repE0EEENS1_30default_config_static_selectorELNS0_4arch9wavefront6targetE0EEEvS12_: ; @_ZN7rocprim17ROCPRIM_400000_NS6detail17trampoline_kernelINS0_13select_configILj256ELj13ELNS0_17block_load_methodE3ELS4_3ELS4_3ELNS0_20block_scan_algorithmE0ELj4294967295EEENS1_25partition_config_selectorILNS1_17partition_subalgoE4EjNS0_10empty_typeEbEEZZNS1_14partition_implILS8_4ELb0ES6_15HIP_vector_typeIjLj2EENS0_17counting_iteratorIjlEEPS9_SG_NS0_5tupleIJPjSI_NS0_16reverse_iteratorISI_EEEEENSH_IJSG_SG_SG_EEES9_SI_JZNS1_25segmented_radix_sort_implINS0_14default_configELb0EPKhPhPKlPlN2at6native12_GLOBAL__N_18offset_tEEE10hipError_tPvRmT1_PNSt15iterator_traitsIS12_E10value_typeET2_T3_PNS13_IS18_E10value_typeET4_jRbjT5_S1E_jjP12ihipStream_tbEUljE_ZNSN_ISO_Lb0ESQ_SR_ST_SU_SY_EESZ_S10_S11_S12_S16_S17_S18_S1B_S1C_jS1D_jS1E_S1E_jjS1G_bEUljE0_EEESZ_S10_S11_S18_S1C_S1E_T6_T7_T9_mT8_S1G_bDpT10_ENKUlT_T0_E_clISt17integral_constantIbLb0EES1T_IbLb1EEEEDaS1P_S1Q_EUlS1P_E_NS1_11comp_targetILNS1_3genE9ELNS1_11target_archE1100ELNS1_3gpuE3ELNS1_3repE0EEENS1_30default_config_static_selectorELNS0_4arch9wavefront6targetE0EEEvS12_
; %bb.0:
	s_clause 0x7
	s_load_b64 s[34:35], s[0:1], 0x10
	s_load_b128 s[28:31], s[0:1], 0x28
	s_load_b64 s[14:15], s[0:1], 0x38
	s_load_b128 s[24:27], s[0:1], 0x58
	s_load_b64 s[4:5], s[0:1], 0x68
	s_load_b64 s[36:37], s[0:1], 0x78
	;; [unrolled: 1-line block ×3, first 2 shown]
	s_load_b256 s[16:23], s[0:1], 0x90
	v_cmp_eq_u32_e64 s2, 0, v0
	s_delay_alu instid0(VALU_DEP_1)
	s_and_saveexec_b32 s3, s2
	s_cbranch_execz .LBB152_4
; %bb.1:
	s_mov_b32 s7, exec_lo
	s_mov_b32 s6, exec_lo
	v_mbcnt_lo_u32_b32 v1, s7, 0
                                        ; implicit-def: $vgpr2
	s_delay_alu instid0(VALU_DEP_1)
	v_cmpx_eq_u32_e32 0, v1
	s_cbranch_execz .LBB152_3
; %bb.2:
	s_load_b64 s[8:9], s[0:1], 0x88
	s_bcnt1_i32_b32 s7, s7
	s_delay_alu instid0(SALU_CYCLE_1)
	v_dual_mov_b32 v2, 0 :: v_dual_mov_b32 v3, s7
	s_waitcnt lgkmcnt(0)
	global_atomic_add_u32 v2, v2, v3, s[8:9] glc
.LBB152_3:
	s_or_b32 exec_lo, exec_lo, s6
	s_waitcnt vmcnt(0)
	v_readfirstlane_b32 s6, v2
	s_delay_alu instid0(VALU_DEP_1)
	v_dual_mov_b32 v2, 0 :: v_dual_add_nc_u32 v1, s6, v1
	ds_store_b32 v2, v1
.LBB152_4:
	s_or_b32 exec_lo, exec_lo, s3
	v_mov_b32_e32 v1, 0
	s_clause 0x1
	s_load_b32 s3, s[0:1], 0x8
	s_load_b32 s0, s[0:1], 0x80
	s_waitcnt lgkmcnt(0)
	s_barrier
	buffer_gl0_inv
	ds_load_b32 v5, v1
	s_waitcnt lgkmcnt(0)
	s_barrier
	buffer_gl0_inv
	global_load_b128 v[1:4], v1, s[26:27]
	s_add_i32 s3, s3, s34
	s_mul_i32 s1, s0, 0xd00
	s_add_i32 s0, s0, -1
	s_add_u32 s6, s34, s1
	s_addc_u32 s7, s35, 0
	v_mul_lo_u32 v30, 0xd00, v5
	v_readfirstlane_b32 s26, v5
	v_cmp_lt_u64_e64 s5, s[6:7], s[4:5]
	v_cmp_ne_u32_e32 vcc_lo, s0, v5
	s_delay_alu instid0(VALU_DEP_3) | instskip(SKIP_1) | instid1(VALU_DEP_4)
	s_cmp_eq_u32 s26, s0
	s_cselect_b32 s13, -1, 0
	v_add3_u32 v5, v30, s3, v0
	s_delay_alu instid0(VALU_DEP_3) | instskip(SKIP_2) | instid1(VALU_DEP_1)
	s_or_b32 s0, s5, vcc_lo
	s_mov_b32 s3, -1
	s_and_b32 vcc_lo, exec_lo, s0
	v_add_nc_u32_e32 v6, 0x100, v5
	v_add_nc_u32_e32 v7, 0x200, v5
	;; [unrolled: 1-line block ×12, first 2 shown]
	s_cbranch_vccz .LBB152_6
; %bb.5:
	v_lshlrev_b32_e32 v18, 2, v0
	s_mov_b32 s3, 0
	ds_store_2addr_stride64_b32 v18, v5, v6 offset1:4
	ds_store_2addr_stride64_b32 v18, v7, v8 offset0:8 offset1:12
	ds_store_2addr_stride64_b32 v18, v9, v10 offset0:16 offset1:20
	ds_store_2addr_stride64_b32 v18, v11, v12 offset0:24 offset1:28
	ds_store_2addr_stride64_b32 v18, v13, v14 offset0:32 offset1:36
	ds_store_2addr_stride64_b32 v18, v15, v16 offset0:40 offset1:44
	ds_store_b32 v18, v17 offset:12288
	s_waitcnt vmcnt(0) lgkmcnt(0)
	s_barrier
.LBB152_6:
	s_and_not1_b32 vcc_lo, exec_lo, s3
	s_add_i32 s1, s1, s34
	s_cbranch_vccnz .LBB152_8
; %bb.7:
	v_lshlrev_b32_e32 v18, 2, v0
	ds_store_2addr_stride64_b32 v18, v5, v6 offset1:4
	ds_store_2addr_stride64_b32 v18, v7, v8 offset0:8 offset1:12
	ds_store_2addr_stride64_b32 v18, v9, v10 offset0:16 offset1:20
	;; [unrolled: 1-line block ×5, first 2 shown]
	ds_store_b32 v18, v17 offset:12288
	s_waitcnt vmcnt(0) lgkmcnt(0)
	s_barrier
.LBB152_8:
	v_mul_u32_u24_e32 v33, 13, v0
	s_waitcnt vmcnt(0)
	buffer_gl0_inv
	v_cndmask_b32_e64 v31, 0, 1, s0
	s_sub_i32 s40, s4, s1
	s_and_not1_b32 vcc_lo, exec_lo, s0
	v_lshlrev_b32_e32 v5, 2, v33
	ds_load_2addr_b32 v[20:21], v5 offset1:1
	ds_load_2addr_b32 v[18:19], v5 offset0:2 offset1:3
	ds_load_2addr_b32 v[16:17], v5 offset0:4 offset1:5
	;; [unrolled: 1-line block ×5, first 2 shown]
	ds_load_b32 v32, v5 offset:48
	s_waitcnt lgkmcnt(0)
	s_barrier
	buffer_gl0_inv
	s_cbranch_vccnz .LBB152_36
; %bb.9:
	v_add_nc_u32_e32 v5, s17, v20
	v_add_nc_u32_e32 v6, s19, v20
	s_mov_b32 s42, 0
	s_mov_b32 s41, 0
	s_mov_b32 s1, exec_lo
	v_mul_lo_u32 v5, v5, s16
	v_mul_lo_u32 v6, v6, s18
	s_delay_alu instid0(VALU_DEP_1) | instskip(NEXT) | instid1(VALU_DEP_1)
	v_sub_nc_u32_e32 v5, v5, v6
	v_cmp_lt_u32_e32 vcc_lo, s20, v5
	v_cmpx_ge_u32_e64 s20, v5
; %bb.10:
	v_add_nc_u32_e32 v5, s22, v20
	v_add_nc_u32_e32 v6, s38, v20
	s_delay_alu instid0(VALU_DEP_2) | instskip(NEXT) | instid1(VALU_DEP_2)
	v_mul_lo_u32 v5, v5, s21
	v_mul_lo_u32 v6, v6, s23
	s_delay_alu instid0(VALU_DEP_1) | instskip(NEXT) | instid1(VALU_DEP_1)
	v_sub_nc_u32_e32 v5, v5, v6
	v_cmp_lt_u32_e64 s0, s39, v5
	s_delay_alu instid0(VALU_DEP_1)
	s_and_b32 s41, s0, exec_lo
; %bb.11:
	s_or_b32 exec_lo, exec_lo, s1
	v_add_nc_u32_e32 v5, s17, v21
	v_add_nc_u32_e32 v6, s19, v21
	s_mov_b32 s3, exec_lo
	s_delay_alu instid0(VALU_DEP_2) | instskip(NEXT) | instid1(VALU_DEP_2)
	v_mul_lo_u32 v5, v5, s16
	v_mul_lo_u32 v6, v6, s18
	s_delay_alu instid0(VALU_DEP_1) | instskip(NEXT) | instid1(VALU_DEP_1)
	v_sub_nc_u32_e32 v5, v5, v6
	v_cmp_lt_u32_e64 s0, s20, v5
	v_cmpx_ge_u32_e64 s20, v5
; %bb.12:
	v_add_nc_u32_e32 v5, s22, v21
	v_add_nc_u32_e32 v6, s38, v21
	s_delay_alu instid0(VALU_DEP_2) | instskip(NEXT) | instid1(VALU_DEP_2)
	v_mul_lo_u32 v5, v5, s21
	v_mul_lo_u32 v6, v6, s23
	s_delay_alu instid0(VALU_DEP_1) | instskip(NEXT) | instid1(VALU_DEP_1)
	v_sub_nc_u32_e32 v5, v5, v6
	v_cmp_lt_u32_e64 s1, s39, v5
	s_delay_alu instid0(VALU_DEP_1)
	s_and_b32 s42, s1, exec_lo
; %bb.13:
	s_or_b32 exec_lo, exec_lo, s3
	v_add_nc_u32_e32 v5, s17, v18
	v_add_nc_u32_e32 v6, s19, v18
	s_mov_b32 s44, 0
	s_mov_b32 s43, 0
	s_mov_b32 s4, exec_lo
	v_mul_lo_u32 v5, v5, s16
	v_mul_lo_u32 v6, v6, s18
	s_delay_alu instid0(VALU_DEP_1) | instskip(NEXT) | instid1(VALU_DEP_1)
	v_sub_nc_u32_e32 v5, v5, v6
	v_cmp_lt_u32_e64 s1, s20, v5
	v_cmpx_ge_u32_e64 s20, v5
; %bb.14:
	v_add_nc_u32_e32 v5, s22, v18
	v_add_nc_u32_e32 v6, s38, v18
	s_delay_alu instid0(VALU_DEP_2) | instskip(NEXT) | instid1(VALU_DEP_2)
	v_mul_lo_u32 v5, v5, s21
	v_mul_lo_u32 v6, v6, s23
	s_delay_alu instid0(VALU_DEP_1) | instskip(NEXT) | instid1(VALU_DEP_1)
	v_sub_nc_u32_e32 v5, v5, v6
	v_cmp_lt_u32_e64 s3, s39, v5
	s_delay_alu instid0(VALU_DEP_1)
	s_and_b32 s43, s3, exec_lo
; %bb.15:
	s_or_b32 exec_lo, exec_lo, s4
	v_add_nc_u32_e32 v5, s17, v19
	v_add_nc_u32_e32 v6, s19, v19
	s_mov_b32 s5, exec_lo
	s_delay_alu instid0(VALU_DEP_2) | instskip(NEXT) | instid1(VALU_DEP_2)
	v_mul_lo_u32 v5, v5, s16
	v_mul_lo_u32 v6, v6, s18
	s_delay_alu instid0(VALU_DEP_1) | instskip(NEXT) | instid1(VALU_DEP_1)
	v_sub_nc_u32_e32 v5, v5, v6
	v_cmp_lt_u32_e64 s3, s20, v5
	v_cmpx_ge_u32_e64 s20, v5
; %bb.16:
	v_add_nc_u32_e32 v5, s22, v19
	v_add_nc_u32_e32 v6, s38, v19
	s_delay_alu instid0(VALU_DEP_2) | instskip(NEXT) | instid1(VALU_DEP_2)
	v_mul_lo_u32 v5, v5, s21
	v_mul_lo_u32 v6, v6, s23
	s_delay_alu instid0(VALU_DEP_1) | instskip(NEXT) | instid1(VALU_DEP_1)
	v_sub_nc_u32_e32 v5, v5, v6
	v_cmp_lt_u32_e64 s4, s39, v5
	s_delay_alu instid0(VALU_DEP_1)
	s_and_b32 s44, s4, exec_lo
; %bb.17:
	s_or_b32 exec_lo, exec_lo, s5
	v_add_nc_u32_e32 v5, s17, v16
	v_add_nc_u32_e32 v6, s19, v16
	s_mov_b32 s46, 0
	s_mov_b32 s45, 0
	s_mov_b32 s6, exec_lo
	v_mul_lo_u32 v5, v5, s16
	v_mul_lo_u32 v6, v6, s18
	s_delay_alu instid0(VALU_DEP_1) | instskip(NEXT) | instid1(VALU_DEP_1)
	v_sub_nc_u32_e32 v5, v5, v6
	v_cmp_lt_u32_e64 s4, s20, v5
	;; [unrolled: 47-line block ×5, first 2 shown]
	v_cmpx_ge_u32_e64 s20, v5
; %bb.30:
	v_add_nc_u32_e32 v5, s22, v10
	v_add_nc_u32_e32 v6, s38, v10
	s_delay_alu instid0(VALU_DEP_2) | instskip(NEXT) | instid1(VALU_DEP_2)
	v_mul_lo_u32 v5, v5, s21
	v_mul_lo_u32 v6, v6, s23
	s_delay_alu instid0(VALU_DEP_1) | instskip(NEXT) | instid1(VALU_DEP_1)
	v_sub_nc_u32_e32 v5, v5, v6
	v_cmp_lt_u32_e64 s11, s39, v5
	s_delay_alu instid0(VALU_DEP_1)
	s_and_b32 s53, s11, exec_lo
; %bb.31:
	s_or_b32 exec_lo, exec_lo, s12
	v_add_nc_u32_e32 v5, s17, v11
	v_add_nc_u32_e32 v6, s19, v11
	s_mov_b32 s27, exec_lo
	s_delay_alu instid0(VALU_DEP_2) | instskip(NEXT) | instid1(VALU_DEP_2)
	v_mul_lo_u32 v5, v5, s16
	v_mul_lo_u32 v6, v6, s18
	s_delay_alu instid0(VALU_DEP_1) | instskip(NEXT) | instid1(VALU_DEP_1)
	v_sub_nc_u32_e32 v5, v5, v6
	v_cmp_lt_u32_e64 s11, s20, v5
	v_cmpx_ge_u32_e64 s20, v5
; %bb.32:
	v_add_nc_u32_e32 v5, s22, v11
	v_add_nc_u32_e32 v6, s38, v11
	s_delay_alu instid0(VALU_DEP_2) | instskip(NEXT) | instid1(VALU_DEP_2)
	v_mul_lo_u32 v5, v5, s21
	v_mul_lo_u32 v6, v6, s23
	s_delay_alu instid0(VALU_DEP_1) | instskip(NEXT) | instid1(VALU_DEP_1)
	v_sub_nc_u32_e32 v5, v5, v6
	v_cmp_lt_u32_e64 s12, s39, v5
	s_delay_alu instid0(VALU_DEP_1)
	s_and_b32 s52, s12, exec_lo
; %bb.33:
	s_or_b32 exec_lo, exec_lo, s27
	v_add_nc_u32_e32 v5, s17, v32
	v_add_nc_u32_e32 v6, s19, v32
	s_mov_b32 s27, -1
	s_mov_b32 s49, 0
	s_mov_b32 s33, 0
	v_mul_lo_u32 v5, v5, s16
	v_mul_lo_u32 v6, v6, s18
	s_mov_b32 s54, exec_lo
	s_delay_alu instid0(VALU_DEP_1) | instskip(NEXT) | instid1(VALU_DEP_1)
	v_sub_nc_u32_e32 v5, v5, v6
	v_cmpx_ge_u32_e64 s20, v5
; %bb.34:
	v_add_nc_u32_e32 v5, s22, v32
	v_add_nc_u32_e32 v6, s38, v32
	s_xor_b32 s27, exec_lo, -1
	s_delay_alu instid0(VALU_DEP_2) | instskip(NEXT) | instid1(VALU_DEP_2)
	v_mul_lo_u32 v5, v5, s21
	v_mul_lo_u32 v6, v6, s23
	s_delay_alu instid0(VALU_DEP_1) | instskip(NEXT) | instid1(VALU_DEP_1)
	v_sub_nc_u32_e32 v5, v5, v6
	v_cmp_lt_u32_e64 s12, s39, v5
	s_delay_alu instid0(VALU_DEP_1)
	s_and_b32 s33, s12, exec_lo
; %bb.35:
	s_or_b32 exec_lo, exec_lo, s54
	v_cndmask_b32_e64 v53, 0, 1, s53
	v_cndmask_b32_e64 v56, 0, 1, s11
	;; [unrolled: 1-line block ×22, first 2 shown]
	v_cndmask_b32_e64 v34, 0, 1, vcc_lo
	v_cndmask_b32_e64 v57, 0, 1, s52
	s_and_b32 vcc_lo, exec_lo, s49
	s_add_i32 s4, s40, 0xd00
	s_cbranch_vccnz .LBB152_37
	s_branch .LBB152_90
.LBB152_36:
                                        ; implicit-def: $sgpr27
                                        ; implicit-def: $sgpr33
                                        ; implicit-def: $vgpr57
                                        ; implicit-def: $vgpr53
                                        ; implicit-def: $vgpr52
                                        ; implicit-def: $vgpr50
                                        ; implicit-def: $vgpr48
                                        ; implicit-def: $vgpr46
                                        ; implicit-def: $vgpr44
                                        ; implicit-def: $vgpr42
                                        ; implicit-def: $vgpr39
                                        ; implicit-def: $vgpr34
                                        ; implicit-def: $vgpr37
                                        ; implicit-def: $vgpr36
                                        ; implicit-def: $vgpr41
                                        ; implicit-def: $vgpr43
                                        ; implicit-def: $vgpr45
                                        ; implicit-def: $vgpr47
                                        ; implicit-def: $vgpr49
                                        ; implicit-def: $vgpr51
                                        ; implicit-def: $vgpr54
                                        ; implicit-def: $vgpr55
                                        ; implicit-def: $vgpr56
                                        ; implicit-def: $vgpr35
                                        ; implicit-def: $vgpr40
                                        ; implicit-def: $vgpr38
	s_add_i32 s4, s40, 0xd00
	s_cbranch_execz .LBB152_90
.LBB152_37:
	v_dual_mov_b32 v35, 0 :: v_dual_mov_b32 v34, 0
	s_mov_b32 s3, 0
	s_mov_b32 s1, exec_lo
	v_cmpx_gt_u32_e64 s4, v33
	s_cbranch_execz .LBB152_41
; %bb.38:
	v_add_nc_u32_e32 v5, s17, v20
	v_add_nc_u32_e32 v6, s19, v20
	s_mov_b32 s5, exec_lo
	s_delay_alu instid0(VALU_DEP_2) | instskip(NEXT) | instid1(VALU_DEP_2)
	v_mul_lo_u32 v5, v5, s16
	v_mul_lo_u32 v6, v6, s18
	s_delay_alu instid0(VALU_DEP_1) | instskip(NEXT) | instid1(VALU_DEP_1)
	v_sub_nc_u32_e32 v5, v5, v6
	v_cmp_lt_u32_e32 vcc_lo, s20, v5
	v_cmpx_ge_u32_e64 s20, v5
; %bb.39:
	v_add_nc_u32_e32 v5, s22, v20
	v_add_nc_u32_e32 v6, s38, v20
	s_delay_alu instid0(VALU_DEP_2) | instskip(NEXT) | instid1(VALU_DEP_2)
	v_mul_lo_u32 v5, v5, s21
	v_mul_lo_u32 v6, v6, s23
	s_delay_alu instid0(VALU_DEP_1) | instskip(NEXT) | instid1(VALU_DEP_1)
	v_sub_nc_u32_e32 v5, v5, v6
	v_cmp_lt_u32_e64 s0, s39, v5
	s_delay_alu instid0(VALU_DEP_1)
	s_and_b32 s3, s0, exec_lo
; %bb.40:
	s_or_b32 exec_lo, exec_lo, s5
	v_cndmask_b32_e64 v34, 0, 1, vcc_lo
	v_cndmask_b32_e64 v35, 0, 1, s3
.LBB152_41:
	s_or_b32 exec_lo, exec_lo, s1
	v_dual_mov_b32 v40, 0 :: v_dual_add_nc_u32 v5, 1, v33
	v_mov_b32_e32 v37, 0
	s_mov_b32 s3, 0
	s_mov_b32 s1, exec_lo
	s_delay_alu instid0(VALU_DEP_2)
	v_cmpx_gt_u32_e64 s4, v5
	s_cbranch_execz .LBB152_45
; %bb.42:
	v_add_nc_u32_e32 v5, s17, v21
	v_add_nc_u32_e32 v6, s19, v21
	s_mov_b32 s5, exec_lo
	s_delay_alu instid0(VALU_DEP_2) | instskip(NEXT) | instid1(VALU_DEP_2)
	v_mul_lo_u32 v5, v5, s16
	v_mul_lo_u32 v6, v6, s18
	s_delay_alu instid0(VALU_DEP_1) | instskip(NEXT) | instid1(VALU_DEP_1)
	v_sub_nc_u32_e32 v5, v5, v6
	v_cmp_lt_u32_e32 vcc_lo, s20, v5
	v_cmpx_ge_u32_e64 s20, v5
; %bb.43:
	v_add_nc_u32_e32 v5, s22, v21
	v_add_nc_u32_e32 v6, s38, v21
	s_delay_alu instid0(VALU_DEP_2) | instskip(NEXT) | instid1(VALU_DEP_2)
	v_mul_lo_u32 v5, v5, s21
	v_mul_lo_u32 v6, v6, s23
	s_delay_alu instid0(VALU_DEP_1) | instskip(NEXT) | instid1(VALU_DEP_1)
	v_sub_nc_u32_e32 v5, v5, v6
	v_cmp_lt_u32_e64 s0, s39, v5
	s_delay_alu instid0(VALU_DEP_1)
	s_and_b32 s3, s0, exec_lo
; %bb.44:
	s_or_b32 exec_lo, exec_lo, s5
	v_cndmask_b32_e64 v37, 0, 1, vcc_lo
	v_cndmask_b32_e64 v40, 0, 1, s3
.LBB152_45:
	s_or_b32 exec_lo, exec_lo, s1
	v_dual_mov_b32 v36, 0 :: v_dual_add_nc_u32 v5, 2, v33
	v_mov_b32_e32 v38, 0
	s_mov_b32 s3, 0
	s_mov_b32 s1, exec_lo
	s_delay_alu instid0(VALU_DEP_2)
	v_cmpx_gt_u32_e64 s4, v5
	s_cbranch_execz .LBB152_49
; %bb.46:
	v_add_nc_u32_e32 v5, s17, v18
	v_add_nc_u32_e32 v6, s19, v18
	s_mov_b32 s5, exec_lo
	s_delay_alu instid0(VALU_DEP_2) | instskip(NEXT) | instid1(VALU_DEP_2)
	v_mul_lo_u32 v5, v5, s16
	v_mul_lo_u32 v6, v6, s18
	s_delay_alu instid0(VALU_DEP_1) | instskip(NEXT) | instid1(VALU_DEP_1)
	v_sub_nc_u32_e32 v5, v5, v6
	v_cmp_lt_u32_e32 vcc_lo, s20, v5
	v_cmpx_ge_u32_e64 s20, v5
; %bb.47:
	v_add_nc_u32_e32 v5, s22, v18
	v_add_nc_u32_e32 v6, s38, v18
	s_delay_alu instid0(VALU_DEP_2) | instskip(NEXT) | instid1(VALU_DEP_2)
	v_mul_lo_u32 v5, v5, s21
	v_mul_lo_u32 v6, v6, s23
	s_delay_alu instid0(VALU_DEP_1) | instskip(NEXT) | instid1(VALU_DEP_1)
	v_sub_nc_u32_e32 v5, v5, v6
	v_cmp_lt_u32_e64 s0, s39, v5
	s_delay_alu instid0(VALU_DEP_1)
	s_and_b32 s3, s0, exec_lo
; %bb.48:
	s_or_b32 exec_lo, exec_lo, s5
	v_cndmask_b32_e64 v36, 0, 1, vcc_lo
	v_cndmask_b32_e64 v38, 0, 1, s3
.LBB152_49:
	s_or_b32 exec_lo, exec_lo, s1
	v_add_nc_u32_e32 v5, 3, v33
	v_mov_b32_e32 v39, 0
	v_mov_b32_e32 v41, 0
	s_mov_b32 s3, 0
	s_mov_b32 s1, exec_lo
	v_cmpx_gt_u32_e64 s4, v5
	s_cbranch_execz .LBB152_53
; %bb.50:
	v_add_nc_u32_e32 v5, s17, v19
	v_add_nc_u32_e32 v6, s19, v19
	s_mov_b32 s5, exec_lo
	s_delay_alu instid0(VALU_DEP_2) | instskip(NEXT) | instid1(VALU_DEP_2)
	v_mul_lo_u32 v5, v5, s16
	v_mul_lo_u32 v6, v6, s18
	s_delay_alu instid0(VALU_DEP_1) | instskip(NEXT) | instid1(VALU_DEP_1)
	v_sub_nc_u32_e32 v5, v5, v6
	v_cmp_lt_u32_e32 vcc_lo, s20, v5
	v_cmpx_ge_u32_e64 s20, v5
; %bb.51:
	v_add_nc_u32_e32 v5, s22, v19
	v_add_nc_u32_e32 v6, s38, v19
	s_delay_alu instid0(VALU_DEP_2) | instskip(NEXT) | instid1(VALU_DEP_2)
	v_mul_lo_u32 v5, v5, s21
	v_mul_lo_u32 v6, v6, s23
	s_delay_alu instid0(VALU_DEP_1) | instskip(NEXT) | instid1(VALU_DEP_1)
	v_sub_nc_u32_e32 v5, v5, v6
	v_cmp_lt_u32_e64 s0, s39, v5
	s_delay_alu instid0(VALU_DEP_1)
	s_and_b32 s3, s0, exec_lo
; %bb.52:
	s_or_b32 exec_lo, exec_lo, s5
	v_cndmask_b32_e64 v41, 0, 1, vcc_lo
	v_cndmask_b32_e64 v39, 0, 1, s3
.LBB152_53:
	s_or_b32 exec_lo, exec_lo, s1
	v_dual_mov_b32 v42, 0 :: v_dual_add_nc_u32 v5, 4, v33
	v_mov_b32_e32 v43, 0
	s_mov_b32 s3, 0
	s_mov_b32 s1, exec_lo
	s_delay_alu instid0(VALU_DEP_2)
	v_cmpx_gt_u32_e64 s4, v5
	s_cbranch_execz .LBB152_57
; %bb.54:
	v_add_nc_u32_e32 v5, s17, v16
	v_add_nc_u32_e32 v6, s19, v16
	s_mov_b32 s5, exec_lo
	s_delay_alu instid0(VALU_DEP_2) | instskip(NEXT) | instid1(VALU_DEP_2)
	v_mul_lo_u32 v5, v5, s16
	v_mul_lo_u32 v6, v6, s18
	s_delay_alu instid0(VALU_DEP_1) | instskip(NEXT) | instid1(VALU_DEP_1)
	v_sub_nc_u32_e32 v5, v5, v6
	v_cmp_lt_u32_e32 vcc_lo, s20, v5
	v_cmpx_ge_u32_e64 s20, v5
; %bb.55:
	v_add_nc_u32_e32 v5, s22, v16
	v_add_nc_u32_e32 v6, s38, v16
	s_delay_alu instid0(VALU_DEP_2) | instskip(NEXT) | instid1(VALU_DEP_2)
	v_mul_lo_u32 v5, v5, s21
	v_mul_lo_u32 v6, v6, s23
	s_delay_alu instid0(VALU_DEP_1) | instskip(NEXT) | instid1(VALU_DEP_1)
	v_sub_nc_u32_e32 v5, v5, v6
	v_cmp_lt_u32_e64 s0, s39, v5
	s_delay_alu instid0(VALU_DEP_1)
	s_and_b32 s3, s0, exec_lo
; %bb.56:
	s_or_b32 exec_lo, exec_lo, s5
	v_cndmask_b32_e64 v43, 0, 1, vcc_lo
	v_cndmask_b32_e64 v42, 0, 1, s3
.LBB152_57:
	s_or_b32 exec_lo, exec_lo, s1
	v_dual_mov_b32 v44, 0 :: v_dual_add_nc_u32 v5, 5, v33
	v_mov_b32_e32 v45, 0
	s_mov_b32 s3, 0
	s_mov_b32 s1, exec_lo
	s_delay_alu instid0(VALU_DEP_2)
	;; [unrolled: 35-line block ×6, first 2 shown]
	v_cmpx_gt_u32_e64 s4, v5
	s_cbranch_execz .LBB152_77
; %bb.74:
	v_add_nc_u32_e32 v5, s17, v13
	v_add_nc_u32_e32 v6, s19, v13
	s_mov_b32 s5, exec_lo
	s_delay_alu instid0(VALU_DEP_2) | instskip(NEXT) | instid1(VALU_DEP_2)
	v_mul_lo_u32 v5, v5, s16
	v_mul_lo_u32 v6, v6, s18
	s_delay_alu instid0(VALU_DEP_1) | instskip(NEXT) | instid1(VALU_DEP_1)
	v_sub_nc_u32_e32 v5, v5, v6
	v_cmp_lt_u32_e32 vcc_lo, s20, v5
	v_cmpx_ge_u32_e64 s20, v5
; %bb.75:
	v_add_nc_u32_e32 v5, s22, v13
	v_add_nc_u32_e32 v6, s38, v13
	s_delay_alu instid0(VALU_DEP_2) | instskip(NEXT) | instid1(VALU_DEP_2)
	v_mul_lo_u32 v5, v5, s21
	v_mul_lo_u32 v6, v6, s23
	s_delay_alu instid0(VALU_DEP_1) | instskip(NEXT) | instid1(VALU_DEP_1)
	v_sub_nc_u32_e32 v5, v5, v6
	v_cmp_lt_u32_e64 s0, s39, v5
	s_delay_alu instid0(VALU_DEP_1)
	s_and_b32 s3, s0, exec_lo
; %bb.76:
	s_or_b32 exec_lo, exec_lo, s5
	v_cndmask_b32_e64 v54, 0, 1, vcc_lo
	v_cndmask_b32_e64 v52, 0, 1, s3
.LBB152_77:
	s_or_b32 exec_lo, exec_lo, s1
	v_add_nc_u32_e32 v5, 10, v33
	v_mov_b32_e32 v53, 0
	v_mov_b32_e32 v55, 0
	s_mov_b32 s3, 0
	s_mov_b32 s1, exec_lo
	v_cmpx_gt_u32_e64 s4, v5
	s_cbranch_execz .LBB152_81
; %bb.78:
	v_add_nc_u32_e32 v5, s17, v10
	v_add_nc_u32_e32 v6, s19, v10
	s_mov_b32 s5, exec_lo
	s_delay_alu instid0(VALU_DEP_2) | instskip(NEXT) | instid1(VALU_DEP_2)
	v_mul_lo_u32 v5, v5, s16
	v_mul_lo_u32 v6, v6, s18
	s_delay_alu instid0(VALU_DEP_1) | instskip(NEXT) | instid1(VALU_DEP_1)
	v_sub_nc_u32_e32 v5, v5, v6
	v_cmp_lt_u32_e32 vcc_lo, s20, v5
	v_cmpx_ge_u32_e64 s20, v5
; %bb.79:
	v_add_nc_u32_e32 v5, s22, v10
	v_add_nc_u32_e32 v6, s38, v10
	s_delay_alu instid0(VALU_DEP_2) | instskip(NEXT) | instid1(VALU_DEP_2)
	v_mul_lo_u32 v5, v5, s21
	v_mul_lo_u32 v6, v6, s23
	s_delay_alu instid0(VALU_DEP_1) | instskip(NEXT) | instid1(VALU_DEP_1)
	v_sub_nc_u32_e32 v5, v5, v6
	v_cmp_lt_u32_e64 s0, s39, v5
	s_delay_alu instid0(VALU_DEP_1)
	s_and_b32 s3, s0, exec_lo
; %bb.80:
	s_or_b32 exec_lo, exec_lo, s5
	v_cndmask_b32_e64 v55, 0, 1, vcc_lo
	v_cndmask_b32_e64 v53, 0, 1, s3
.LBB152_81:
	s_or_b32 exec_lo, exec_lo, s1
	v_dual_mov_b32 v56, 0 :: v_dual_add_nc_u32 v5, 11, v33
	v_mov_b32_e32 v57, 0
	s_mov_b32 s3, 0
	s_mov_b32 s1, exec_lo
	s_delay_alu instid0(VALU_DEP_2)
	v_cmpx_gt_u32_e64 s4, v5
	s_cbranch_execz .LBB152_85
; %bb.82:
	v_add_nc_u32_e32 v5, s17, v11
	v_add_nc_u32_e32 v6, s19, v11
	s_mov_b32 s5, exec_lo
	s_delay_alu instid0(VALU_DEP_2) | instskip(NEXT) | instid1(VALU_DEP_2)
	v_mul_lo_u32 v5, v5, s16
	v_mul_lo_u32 v6, v6, s18
	s_delay_alu instid0(VALU_DEP_1) | instskip(NEXT) | instid1(VALU_DEP_1)
	v_sub_nc_u32_e32 v5, v5, v6
	v_cmp_lt_u32_e32 vcc_lo, s20, v5
	v_cmpx_ge_u32_e64 s20, v5
; %bb.83:
	v_add_nc_u32_e32 v5, s22, v11
	v_add_nc_u32_e32 v6, s38, v11
	s_delay_alu instid0(VALU_DEP_2) | instskip(NEXT) | instid1(VALU_DEP_2)
	v_mul_lo_u32 v5, v5, s21
	v_mul_lo_u32 v6, v6, s23
	s_delay_alu instid0(VALU_DEP_1) | instskip(NEXT) | instid1(VALU_DEP_1)
	v_sub_nc_u32_e32 v5, v5, v6
	v_cmp_lt_u32_e64 s0, s39, v5
	s_delay_alu instid0(VALU_DEP_1)
	s_and_b32 s3, s0, exec_lo
; %bb.84:
	s_or_b32 exec_lo, exec_lo, s5
	v_cndmask_b32_e64 v56, 0, 1, vcc_lo
	v_cndmask_b32_e64 v57, 0, 1, s3
.LBB152_85:
	s_or_b32 exec_lo, exec_lo, s1
	v_add_nc_u32_e32 v5, 12, v33
	s_mov_b32 s27, 0
	s_mov_b32 s33, 0
	s_mov_b32 s0, exec_lo
	s_delay_alu instid0(VALU_DEP_1)
	v_cmpx_gt_u32_e64 s4, v5
	s_cbranch_execz .LBB152_89
; %bb.86:
	v_add_nc_u32_e32 v5, s17, v32
	v_add_nc_u32_e32 v6, s19, v32
	s_mov_b32 s3, -1
	s_mov_b32 s5, 0
	s_mov_b32 s1, exec_lo
	v_mul_lo_u32 v5, v5, s16
	v_mul_lo_u32 v6, v6, s18
	s_delay_alu instid0(VALU_DEP_1) | instskip(NEXT) | instid1(VALU_DEP_1)
	v_sub_nc_u32_e32 v5, v5, v6
	v_cmpx_ge_u32_e64 s20, v5
; %bb.87:
	v_add_nc_u32_e32 v5, s22, v32
	v_add_nc_u32_e32 v6, s38, v32
	s_xor_b32 s3, exec_lo, -1
	s_delay_alu instid0(VALU_DEP_2) | instskip(NEXT) | instid1(VALU_DEP_2)
	v_mul_lo_u32 v5, v5, s21
	v_mul_lo_u32 v6, v6, s23
	s_delay_alu instid0(VALU_DEP_1) | instskip(NEXT) | instid1(VALU_DEP_1)
	v_sub_nc_u32_e32 v5, v5, v6
	v_cmp_lt_u32_e32 vcc_lo, s39, v5
	s_and_b32 s5, vcc_lo, exec_lo
; %bb.88:
	s_or_b32 exec_lo, exec_lo, s1
	s_delay_alu instid0(SALU_CYCLE_1)
	s_and_b32 s33, s5, exec_lo
	s_and_b32 s27, s3, exec_lo
.LBB152_89:
	s_or_b32 exec_lo, exec_lo, s0
.LBB152_90:
	v_and_b32_e32 v80, 0xff, v34
	v_and_b32_e32 v81, 0xff, v35
	;; [unrolled: 1-line block ×10, first 2 shown]
	v_add3_u32 v5, v76, v78, v80
	v_add3_u32 v6, v77, v79, v81
	v_and_b32_e32 v70, 0xff, v45
	v_and_b32_e32 v71, 0xff, v44
	v_and_b32_e32 v64, 0xff, v47
	v_and_b32_e32 v65, 0xff, v46
	v_add3_u32 v5, v5, v74, v72
	v_add3_u32 v6, v6, v75, v73
	v_and_b32_e32 v68, 0xff, v49
	v_and_b32_e32 v69, 0xff, v48
	v_and_b32_e32 v66, 0xff, v51
	v_and_b32_e32 v67, 0xff, v50
	;; [unrolled: 6-line block ×3, first 2 shown]
	v_add3_u32 v5, v5, v68, v66
	v_add3_u32 v6, v6, v69, v67
	v_mbcnt_lo_u32_b32 v82, -1, 0
	v_and_b32_e32 v58, 0xff, v56
	v_and_b32_e32 v59, 0xff, v57
	v_cndmask_b32_e64 v7, 0, 1, s33
	v_add3_u32 v5, v5, v61, v60
	v_cndmask_b32_e64 v8, 0, 1, s27
	v_add3_u32 v6, v6, v62, v63
	v_and_b32_e32 v86, 15, v82
	v_and_b32_e32 v85, 16, v82
	v_lshrrev_b32_e32 v83, 5, v0
	v_add3_u32 v87, v5, v58, v8
	v_add3_u32 v88, v6, v59, v7
	v_cmp_eq_u32_e64 s1, 0, v86
	v_cmp_lt_u32_e64 s0, 1, v86
	v_cmp_lt_u32_e64 s3, 3, v86
	v_cmp_lt_u32_e32 vcc_lo, 7, v86
	v_or_b32_e32 v84, 31, v0
	s_cmp_lg_u32 s26, 0
	s_mov_b32 s5, -1
	s_cbranch_scc0 .LBB152_118
; %bb.91:
	v_mov_b32_dpp v5, v88 row_shr:1 row_mask:0xf bank_mask:0xf
	v_mov_b32_dpp v6, v87 row_shr:1 row_mask:0xf bank_mask:0xf
	s_delay_alu instid0(VALU_DEP_2) | instskip(NEXT) | instid1(VALU_DEP_2)
	v_add_nc_u32_e32 v5, v5, v88
	v_add_nc_u32_e32 v6, v6, v87
	s_delay_alu instid0(VALU_DEP_2) | instskip(NEXT) | instid1(VALU_DEP_2)
	v_cndmask_b32_e64 v5, v5, v88, s1
	v_cndmask_b32_e64 v6, v6, v87, s1
	s_delay_alu instid0(VALU_DEP_2) | instskip(NEXT) | instid1(VALU_DEP_2)
	v_mov_b32_dpp v7, v5 row_shr:2 row_mask:0xf bank_mask:0xf
	v_mov_b32_dpp v8, v6 row_shr:2 row_mask:0xf bank_mask:0xf
	s_delay_alu instid0(VALU_DEP_2) | instskip(NEXT) | instid1(VALU_DEP_1)
	v_add_nc_u32_e32 v7, v5, v7
	v_cndmask_b32_e64 v5, v5, v7, s0
	s_delay_alu instid0(VALU_DEP_1) | instskip(NEXT) | instid1(VALU_DEP_1)
	v_mov_b32_dpp v7, v5 row_shr:4 row_mask:0xf bank_mask:0xf
	v_add_nc_u32_e32 v7, v5, v7
	s_delay_alu instid0(VALU_DEP_1) | instskip(NEXT) | instid1(VALU_DEP_1)
	v_cndmask_b32_e64 v5, v5, v7, s3
	v_mov_b32_dpp v7, v5 row_shr:8 row_mask:0xf bank_mask:0xf
	s_delay_alu instid0(VALU_DEP_1) | instskip(NEXT) | instid1(VALU_DEP_1)
	v_add_nc_u32_e32 v7, v5, v7
	v_dual_cndmask_b32 v5, v5, v7 :: v_dual_add_nc_u32 v8, v6, v8
	s_delay_alu instid0(VALU_DEP_1) | instskip(NEXT) | instid1(VALU_DEP_1)
	v_cndmask_b32_e64 v6, v6, v8, s0
	v_mov_b32_dpp v8, v6 row_shr:4 row_mask:0xf bank_mask:0xf
	s_delay_alu instid0(VALU_DEP_1) | instskip(NEXT) | instid1(VALU_DEP_1)
	v_add_nc_u32_e32 v8, v6, v8
	v_cndmask_b32_e64 v6, v6, v8, s3
	s_mov_b32 s3, exec_lo
	s_delay_alu instid0(VALU_DEP_1) | instskip(NEXT) | instid1(VALU_DEP_1)
	v_mov_b32_dpp v8, v6 row_shr:8 row_mask:0xf bank_mask:0xf
	v_add_nc_u32_e32 v8, v6, v8
	s_delay_alu instid0(VALU_DEP_1)
	v_cndmask_b32_e32 v7, v6, v8, vcc_lo
	ds_swizzle_b32 v6, v5 offset:swizzle(BROADCAST,32,15)
	v_cmp_eq_u32_e32 vcc_lo, 0, v85
	s_waitcnt lgkmcnt(0)
	v_add_nc_u32_e32 v6, v5, v6
	ds_swizzle_b32 v8, v7 offset:swizzle(BROADCAST,32,15)
	v_cndmask_b32_e32 v6, v6, v5, vcc_lo
	s_waitcnt lgkmcnt(0)
	v_add_nc_u32_e32 v8, v7, v8
	s_delay_alu instid0(VALU_DEP_1)
	v_cndmask_b32_e32 v5, v8, v7, vcc_lo
	v_cmpx_eq_u32_e64 v84, v0
	s_cbranch_execz .LBB152_93
; %bb.92:
	v_lshlrev_b32_e32 v7, 3, v83
	ds_store_b64 v7, v[5:6]
.LBB152_93:
	s_or_b32 exec_lo, exec_lo, s3
	s_delay_alu instid0(SALU_CYCLE_1)
	s_mov_b32 s3, exec_lo
	s_waitcnt lgkmcnt(0)
	s_barrier
	buffer_gl0_inv
	v_cmpx_gt_u32_e32 8, v0
	s_cbranch_execz .LBB152_95
; %bb.94:
	v_lshlrev_b32_e32 v9, 3, v0
	ds_load_b64 v[7:8], v9
	s_waitcnt lgkmcnt(0)
	v_mov_b32_dpp v22, v7 row_shr:1 row_mask:0xf bank_mask:0xf
	v_mov_b32_dpp v23, v8 row_shr:1 row_mask:0xf bank_mask:0xf
	s_delay_alu instid0(VALU_DEP_2) | instskip(SKIP_1) | instid1(VALU_DEP_3)
	v_add_nc_u32_e32 v22, v22, v7
	v_and_b32_e32 v24, 7, v82
	v_add_nc_u32_e32 v23, v23, v8
	s_delay_alu instid0(VALU_DEP_2) | instskip(NEXT) | instid1(VALU_DEP_2)
	v_cmp_eq_u32_e32 vcc_lo, 0, v24
	v_dual_cndmask_b32 v8, v23, v8 :: v_dual_cndmask_b32 v7, v22, v7
	v_cmp_lt_u32_e32 vcc_lo, 1, v24
	s_delay_alu instid0(VALU_DEP_2) | instskip(NEXT) | instid1(VALU_DEP_3)
	v_mov_b32_dpp v23, v8 row_shr:2 row_mask:0xf bank_mask:0xf
	v_mov_b32_dpp v22, v7 row_shr:2 row_mask:0xf bank_mask:0xf
	s_delay_alu instid0(VALU_DEP_2) | instskip(NEXT) | instid1(VALU_DEP_2)
	v_add_nc_u32_e32 v23, v8, v23
	v_add_nc_u32_e32 v22, v7, v22
	s_delay_alu instid0(VALU_DEP_1) | instskip(SKIP_1) | instid1(VALU_DEP_2)
	v_dual_cndmask_b32 v8, v8, v23 :: v_dual_cndmask_b32 v7, v7, v22
	v_cmp_lt_u32_e32 vcc_lo, 3, v24
	v_mov_b32_dpp v23, v8 row_shr:4 row_mask:0xf bank_mask:0xf
	s_delay_alu instid0(VALU_DEP_3) | instskip(NEXT) | instid1(VALU_DEP_1)
	v_mov_b32_dpp v22, v7 row_shr:4 row_mask:0xf bank_mask:0xf
	v_dual_cndmask_b32 v23, 0, v23 :: v_dual_cndmask_b32 v22, 0, v22
	s_delay_alu instid0(VALU_DEP_1) | instskip(NEXT) | instid1(VALU_DEP_2)
	v_add_nc_u32_e32 v8, v23, v8
	v_add_nc_u32_e32 v7, v22, v7
	ds_store_b64 v9, v[7:8]
.LBB152_95:
	s_or_b32 exec_lo, exec_lo, s3
	v_cmp_gt_u32_e32 vcc_lo, 32, v0
	v_cmp_lt_u32_e64 s3, 31, v0
	s_waitcnt lgkmcnt(0)
	s_barrier
	buffer_gl0_inv
                                        ; implicit-def: $vgpr23
	s_and_saveexec_b32 s5, s3
	s_delay_alu instid0(SALU_CYCLE_1)
	s_xor_b32 s3, exec_lo, s5
	s_cbranch_execz .LBB152_97
; %bb.96:
	v_lshl_add_u32 v7, v83, 3, -8
	ds_load_b64 v[22:23], v7
	s_waitcnt lgkmcnt(0)
	v_add_nc_u32_e32 v6, v23, v6
	v_add_nc_u32_e32 v5, v22, v5
.LBB152_97:
	s_and_not1_saveexec_b32 s3, s3
; %bb.98:
                                        ; implicit-def: $vgpr22
; %bb.99:
	s_delay_alu instid0(SALU_CYCLE_1) | instskip(SKIP_1) | instid1(VALU_DEP_1)
	s_or_b32 exec_lo, exec_lo, s3
	v_add_nc_u32_e32 v7, -1, v82
	v_cmp_gt_i32_e64 s3, 0, v7
	s_delay_alu instid0(VALU_DEP_1) | instskip(SKIP_1) | instid1(VALU_DEP_2)
	v_cndmask_b32_e64 v7, v7, v82, s3
	v_cmp_eq_u32_e64 s3, 0, v82
	v_lshlrev_b32_e32 v7, 2, v7
	ds_bpermute_b32 v89, v7, v5
	ds_bpermute_b32 v90, v7, v6
	s_and_saveexec_b32 s5, vcc_lo
	s_cbranch_execz .LBB152_117
; %bb.100:
	v_mov_b32_e32 v8, 0
	ds_load_b64 v[5:6], v8 offset:56
	s_waitcnt lgkmcnt(0)
	v_readfirstlane_b32 s6, v6
	s_and_saveexec_b32 s7, s3
	s_cbranch_execz .LBB152_102
; %bb.101:
	s_add_i32 s8, s26, 32
	s_mov_b32 s9, 0
	v_mov_b32_e32 v7, 1
	s_lshl_b64 s[10:11], s[8:9], 4
	s_mov_b32 s16, s9
	s_add_u32 s10, s36, s10
	s_addc_u32 s11, s37, s11
	s_and_b32 s17, s6, 0xff000000
	s_and_b32 s19, s6, 0xff0000
	s_mov_b32 s18, s9
	v_dual_mov_b32 v25, s11 :: v_dual_mov_b32 v24, s10
	s_or_b64 s[16:17], s[18:19], s[16:17]
	s_and_b32 s19, s6, 0xff00
	s_delay_alu instid0(SALU_CYCLE_1) | instskip(SKIP_1) | instid1(SALU_CYCLE_1)
	s_or_b64 s[16:17], s[16:17], s[18:19]
	s_and_b32 s19, s6, 0xff
	s_or_b64 s[8:9], s[16:17], s[18:19]
	s_delay_alu instid0(SALU_CYCLE_1)
	v_mov_b32_e32 v6, s9
	;;#ASMSTART
	global_store_dwordx4 v[24:25], v[5:8] off	
s_waitcnt vmcnt(0)
	;;#ASMEND
.LBB152_102:
	s_or_b32 exec_lo, exec_lo, s7
	v_xad_u32 v24, v82, -1, s26
	s_mov_b32 s8, 0
	s_mov_b32 s7, exec_lo
	s_delay_alu instid0(VALU_DEP_1) | instskip(NEXT) | instid1(VALU_DEP_1)
	v_add_nc_u32_e32 v7, 32, v24
	v_lshlrev_b64 v[6:7], 4, v[7:8]
	s_delay_alu instid0(VALU_DEP_1) | instskip(NEXT) | instid1(VALU_DEP_2)
	v_add_co_u32 v25, vcc_lo, s36, v6
	v_add_co_ci_u32_e32 v26, vcc_lo, s37, v7, vcc_lo
	;;#ASMSTART
	global_load_dwordx4 v[6:9], v[25:26] off glc	
s_waitcnt vmcnt(0)
	;;#ASMEND
	v_and_b32_e32 v9, 0xff, v7
	v_and_b32_e32 v27, 0xff00, v7
	v_or3_b32 v6, v6, 0, 0
	v_and_b32_e32 v28, 0xff000000, v7
	v_and_b32_e32 v7, 0xff0000, v7
	s_delay_alu instid0(VALU_DEP_4) | instskip(SKIP_2) | instid1(VALU_DEP_3)
	v_or3_b32 v9, 0, v9, v27
	v_and_b32_e32 v27, 0xff, v8
	v_or3_b32 v6, v6, 0, 0
	v_or3_b32 v7, v9, v7, v28
	s_delay_alu instid0(VALU_DEP_3)
	v_cmpx_eq_u16_e32 0, v27
	s_cbranch_execz .LBB152_105
.LBB152_103:                            ; =>This Inner Loop Header: Depth=1
	;;#ASMSTART
	global_load_dwordx4 v[6:9], v[25:26] off glc	
s_waitcnt vmcnt(0)
	;;#ASMEND
	v_and_b32_e32 v9, 0xff, v8
	s_delay_alu instid0(VALU_DEP_1) | instskip(SKIP_1) | instid1(SALU_CYCLE_1)
	v_cmp_ne_u16_e32 vcc_lo, 0, v9
	s_or_b32 s8, vcc_lo, s8
	s_and_not1_b32 exec_lo, exec_lo, s8
	s_cbranch_execnz .LBB152_103
; %bb.104:
	s_or_b32 exec_lo, exec_lo, s8
.LBB152_105:
	s_delay_alu instid0(SALU_CYCLE_1) | instskip(SKIP_3) | instid1(VALU_DEP_1)
	s_or_b32 exec_lo, exec_lo, s7
	v_cmp_ne_u32_e32 vcc_lo, 31, v82
	v_lshlrev_b32_e64 v92, v82, -1
	v_add_co_ci_u32_e32 v9, vcc_lo, 0, v82, vcc_lo
	v_lshlrev_b32_e32 v91, 2, v9
	ds_bpermute_b32 v25, v91, v7
	ds_bpermute_b32 v9, v91, v6
	s_waitcnt lgkmcnt(1)
	v_add_nc_u32_e32 v25, v25, v7
	v_and_b32_e32 v26, 0xff, v8
	s_waitcnt lgkmcnt(0)
	v_add_nc_u32_e32 v9, v9, v6
	s_delay_alu instid0(VALU_DEP_2) | instskip(SKIP_2) | instid1(VALU_DEP_2)
	v_cmp_eq_u16_e32 vcc_lo, 2, v26
	v_and_or_b32 v26, vcc_lo, v92, 0x80000000
	v_cmp_gt_u32_e32 vcc_lo, 30, v82
	v_ctz_i32_b32_e32 v26, v26
	v_cndmask_b32_e64 v27, 0, 1, vcc_lo
	s_delay_alu instid0(VALU_DEP_2) | instskip(NEXT) | instid1(VALU_DEP_2)
	v_cmp_lt_u32_e32 vcc_lo, v82, v26
	v_dual_cndmask_b32 v6, v6, v9 :: v_dual_lshlrev_b32 v27, 1, v27
	s_delay_alu instid0(VALU_DEP_1)
	v_add_lshl_u32 v93, v27, v82, 2
	v_cndmask_b32_e32 v7, v7, v25, vcc_lo
	v_cmp_gt_u32_e32 vcc_lo, 28, v82
	ds_bpermute_b32 v9, v93, v6
	ds_bpermute_b32 v25, v93, v7
	v_cndmask_b32_e64 v27, 0, 1, vcc_lo
	s_waitcnt lgkmcnt(1)
	v_add_nc_u32_e32 v9, v6, v9
	s_waitcnt lgkmcnt(0)
	v_add_nc_u32_e32 v25, v7, v25
	v_add_nc_u32_e32 v94, 2, v82
	s_delay_alu instid0(VALU_DEP_1) | instskip(NEXT) | instid1(VALU_DEP_3)
	v_cmp_gt_u32_e32 vcc_lo, v94, v26
	v_cndmask_b32_e32 v7, v25, v7, vcc_lo
	v_dual_cndmask_b32 v6, v9, v6 :: v_dual_lshlrev_b32 v27, 2, v27
	v_cmp_gt_u32_e32 vcc_lo, 24, v82
	s_delay_alu instid0(VALU_DEP_2) | instskip(SKIP_4) | instid1(VALU_DEP_1)
	v_add_lshl_u32 v95, v27, v82, 2
	v_cndmask_b32_e64 v27, 0, 1, vcc_lo
	ds_bpermute_b32 v25, v95, v7
	ds_bpermute_b32 v9, v95, v6
	v_lshlrev_b32_e32 v27, 3, v27
	v_add_lshl_u32 v97, v27, v82, 2
	s_waitcnt lgkmcnt(1)
	v_add_nc_u32_e32 v25, v7, v25
	v_add_nc_u32_e32 v96, 4, v82
	s_waitcnt lgkmcnt(0)
	v_add_nc_u32_e32 v9, v6, v9
	s_delay_alu instid0(VALU_DEP_2) | instskip(SKIP_1) | instid1(VALU_DEP_3)
	v_cmp_gt_u32_e32 vcc_lo, v96, v26
	v_cndmask_b32_e32 v7, v25, v7, vcc_lo
	v_cndmask_b32_e32 v6, v9, v6, vcc_lo
	v_cmp_gt_u32_e32 vcc_lo, 16, v82
	ds_bpermute_b32 v25, v97, v7
	ds_bpermute_b32 v9, v97, v6
	v_cndmask_b32_e64 v27, 0, 1, vcc_lo
	s_delay_alu instid0(VALU_DEP_1) | instskip(NEXT) | instid1(VALU_DEP_1)
	v_lshlrev_b32_e32 v27, 4, v27
	v_add_lshl_u32 v99, v27, v82, 2
	s_waitcnt lgkmcnt(1)
	v_add_nc_u32_e32 v25, v7, v25
	v_add_nc_u32_e32 v98, 8, v82
	s_waitcnt lgkmcnt(0)
	v_add_nc_u32_e32 v9, v6, v9
	s_delay_alu instid0(VALU_DEP_2) | instskip(SKIP_1) | instid1(VALU_DEP_3)
	v_cmp_gt_u32_e32 vcc_lo, v98, v26
	v_cndmask_b32_e32 v7, v25, v7, vcc_lo
	v_cndmask_b32_e32 v6, v9, v6, vcc_lo
	ds_bpermute_b32 v25, v99, v7
	ds_bpermute_b32 v9, v99, v6
	v_add_nc_u32_e32 v100, 16, v82
	s_delay_alu instid0(VALU_DEP_1) | instskip(SKIP_2) | instid1(VALU_DEP_1)
	v_cmp_le_u32_e32 vcc_lo, v100, v26
	s_waitcnt lgkmcnt(0)
	v_cndmask_b32_e32 v9, 0, v9, vcc_lo
	v_dual_cndmask_b32 v25, 0, v25 :: v_dual_add_nc_u32 v6, v9, v6
	s_delay_alu instid0(VALU_DEP_1)
	v_add_nc_u32_e32 v7, v25, v7
	v_mov_b32_e32 v25, 0
	s_branch .LBB152_107
.LBB152_106:                            ;   in Loop: Header=BB152_107 Depth=1
	s_or_b32 exec_lo, exec_lo, s7
	ds_bpermute_b32 v9, v91, v6
	ds_bpermute_b32 v28, v91, v7
	v_subrev_nc_u32_e32 v24, 32, v24
	s_waitcnt lgkmcnt(1)
	v_add_nc_u32_e32 v9, v9, v6
	v_and_b32_e32 v29, 0xff, v8
	s_waitcnt lgkmcnt(0)
	v_add_nc_u32_e32 v28, v28, v7
	s_delay_alu instid0(VALU_DEP_2) | instskip(SKIP_1) | instid1(VALU_DEP_1)
	v_cmp_eq_u16_e32 vcc_lo, 2, v29
	v_and_or_b32 v29, vcc_lo, v92, 0x80000000
	v_ctz_i32_b32_e32 v29, v29
	s_delay_alu instid0(VALU_DEP_1)
	v_cmp_lt_u32_e32 vcc_lo, v82, v29
	v_cndmask_b32_e32 v6, v6, v9, vcc_lo
	ds_bpermute_b32 v9, v93, v6
	s_waitcnt lgkmcnt(0)
	v_add_nc_u32_e32 v9, v6, v9
	v_cndmask_b32_e32 v7, v7, v28, vcc_lo
	v_cmp_gt_u32_e32 vcc_lo, v94, v29
	s_delay_alu instid0(VALU_DEP_3)
	v_cndmask_b32_e32 v6, v9, v6, vcc_lo
	ds_bpermute_b32 v28, v93, v7
	ds_bpermute_b32 v9, v95, v6
	s_waitcnt lgkmcnt(1)
	v_add_nc_u32_e32 v28, v7, v28
	s_waitcnt lgkmcnt(0)
	v_add_nc_u32_e32 v9, v6, v9
	s_delay_alu instid0(VALU_DEP_2) | instskip(SKIP_1) | instid1(VALU_DEP_3)
	v_cndmask_b32_e32 v7, v28, v7, vcc_lo
	v_cmp_gt_u32_e32 vcc_lo, v96, v29
	v_cndmask_b32_e32 v6, v9, v6, vcc_lo
	ds_bpermute_b32 v28, v95, v7
	ds_bpermute_b32 v9, v97, v6
	s_waitcnt lgkmcnt(1)
	v_add_nc_u32_e32 v28, v7, v28
	s_waitcnt lgkmcnt(0)
	v_add_nc_u32_e32 v9, v6, v9
	s_delay_alu instid0(VALU_DEP_2) | instskip(SKIP_1) | instid1(VALU_DEP_3)
	v_cndmask_b32_e32 v7, v28, v7, vcc_lo
	v_cmp_gt_u32_e32 vcc_lo, v98, v29
	v_cndmask_b32_e32 v6, v9, v6, vcc_lo
	ds_bpermute_b32 v28, v97, v7
	ds_bpermute_b32 v9, v99, v6
	s_waitcnt lgkmcnt(1)
	v_add_nc_u32_e32 v28, v7, v28
	s_delay_alu instid0(VALU_DEP_1) | instskip(SKIP_4) | instid1(VALU_DEP_1)
	v_cndmask_b32_e32 v7, v28, v7, vcc_lo
	v_cmp_le_u32_e32 vcc_lo, v100, v29
	ds_bpermute_b32 v28, v99, v7
	s_waitcnt lgkmcnt(1)
	v_cndmask_b32_e32 v9, 0, v9, vcc_lo
	v_add3_u32 v6, v6, v26, v9
	s_waitcnt lgkmcnt(0)
	v_cndmask_b32_e32 v28, 0, v28, vcc_lo
	s_delay_alu instid0(VALU_DEP_1)
	v_add3_u32 v7, v7, v27, v28
.LBB152_107:                            ; =>This Loop Header: Depth=1
                                        ;     Child Loop BB152_110 Depth 2
	s_delay_alu instid0(VALU_DEP_1) | instskip(SKIP_1) | instid1(VALU_DEP_2)
	v_dual_mov_b32 v27, v7 :: v_dual_and_b32 v8, 0xff, v8
	v_mov_b32_e32 v26, v6
	v_cmp_ne_u16_e32 vcc_lo, 2, v8
	v_cndmask_b32_e64 v8, 0, 1, vcc_lo
	;;#ASMSTART
	;;#ASMEND
	s_delay_alu instid0(VALU_DEP_1)
	v_cmp_ne_u32_e32 vcc_lo, 0, v8
	s_cmp_lg_u32 vcc_lo, exec_lo
	s_cbranch_scc1 .LBB152_112
; %bb.108:                              ;   in Loop: Header=BB152_107 Depth=1
	v_lshlrev_b64 v[6:7], 4, v[24:25]
	s_mov_b32 s7, exec_lo
	s_delay_alu instid0(VALU_DEP_1) | instskip(NEXT) | instid1(VALU_DEP_2)
	v_add_co_u32 v28, vcc_lo, s36, v6
	v_add_co_ci_u32_e32 v29, vcc_lo, s37, v7, vcc_lo
	;;#ASMSTART
	global_load_dwordx4 v[6:9], v[28:29] off glc	
s_waitcnt vmcnt(0)
	;;#ASMEND
	v_and_b32_e32 v9, 0xff, v7
	v_and_b32_e32 v101, 0xff00, v7
	v_or3_b32 v6, v6, 0, 0
	v_and_b32_e32 v102, 0xff000000, v7
	v_and_b32_e32 v7, 0xff0000, v7
	s_delay_alu instid0(VALU_DEP_4) | instskip(SKIP_2) | instid1(VALU_DEP_3)
	v_or3_b32 v9, 0, v9, v101
	v_and_b32_e32 v101, 0xff, v8
	v_or3_b32 v6, v6, 0, 0
	v_or3_b32 v7, v9, v7, v102
	s_delay_alu instid0(VALU_DEP_3)
	v_cmpx_eq_u16_e32 0, v101
	s_cbranch_execz .LBB152_106
; %bb.109:                              ;   in Loop: Header=BB152_107 Depth=1
	s_mov_b32 s8, 0
.LBB152_110:                            ;   Parent Loop BB152_107 Depth=1
                                        ; =>  This Inner Loop Header: Depth=2
	;;#ASMSTART
	global_load_dwordx4 v[6:9], v[28:29] off glc	
s_waitcnt vmcnt(0)
	;;#ASMEND
	v_and_b32_e32 v9, 0xff, v8
	s_delay_alu instid0(VALU_DEP_1) | instskip(SKIP_1) | instid1(SALU_CYCLE_1)
	v_cmp_ne_u16_e32 vcc_lo, 0, v9
	s_or_b32 s8, vcc_lo, s8
	s_and_not1_b32 exec_lo, exec_lo, s8
	s_cbranch_execnz .LBB152_110
; %bb.111:                              ;   in Loop: Header=BB152_107 Depth=1
	s_or_b32 exec_lo, exec_lo, s8
	s_branch .LBB152_106
.LBB152_112:                            ;   in Loop: Header=BB152_107 Depth=1
                                        ; implicit-def: $vgpr8
                                        ; implicit-def: $vgpr6_vgpr7
	s_cbranch_execz .LBB152_107
; %bb.113:
	s_and_saveexec_b32 s7, s3
	s_cbranch_execnz .LBB152_356
; %bb.114:
	s_or_b32 exec_lo, exec_lo, s7
	s_and_saveexec_b32 s7, s3
	s_cbranch_execnz .LBB152_357
.LBB152_115:
	s_or_b32 exec_lo, exec_lo, s7
	s_delay_alu instid0(SALU_CYCLE_1)
	s_and_b32 exec_lo, exec_lo, s2
	s_cbranch_execz .LBB152_117
.LBB152_116:
	v_mov_b32_e32 v5, 0
	ds_store_b64 v5, v[26:27] offset:56
.LBB152_117:
	s_or_b32 exec_lo, exec_lo, s5
	s_waitcnt lgkmcnt(1)
	v_cndmask_b32_e64 v22, v89, v22, s3
	v_mov_b32_e32 v5, 0
	s_waitcnt lgkmcnt(0)
	s_barrier
	buffer_gl0_inv
	v_add_nc_u32_e64 v7, 0x3400, 0
	ds_load_b64 v[24:25], v5 offset:56
	s_waitcnt lgkmcnt(0)
	s_barrier
	buffer_gl0_inv
	ds_load_2addr_b32 v[5:6], v7 offset1:2
	ds_load_2addr_b32 v[7:8], v7 offset0:4 offset1:6
	v_cndmask_b32_e64 v9, v90, v23, s3
	v_add_nc_u32_e32 v22, v24, v22
	s_delay_alu instid0(VALU_DEP_2) | instskip(NEXT) | instid1(VALU_DEP_2)
	v_add_nc_u32_e32 v9, v25, v9
	v_cndmask_b32_e64 v22, v22, v24, s2
	s_delay_alu instid0(VALU_DEP_2)
	v_cndmask_b32_e64 v9, v9, v25, s2
	s_branch .LBB152_128
.LBB152_118:
                                        ; implicit-def: $vgpr9
                                        ; implicit-def: $vgpr7
                                        ; implicit-def: $vgpr5
                                        ; implicit-def: $vgpr22_vgpr23
	s_and_b32 vcc_lo, exec_lo, s5
	s_cbranch_vccz .LBB152_128
; %bb.119:
	s_waitcnt lgkmcnt(1)
	v_mov_b32_dpp v6, v88 row_shr:1 row_mask:0xf bank_mask:0xf
	v_cmp_lt_u32_e32 vcc_lo, 3, v86
	v_mov_b32_dpp v5, v87 row_shr:1 row_mask:0xf bank_mask:0xf
	s_delay_alu instid0(VALU_DEP_3) | instskip(NEXT) | instid1(VALU_DEP_1)
	v_add_nc_u32_e32 v6, v6, v88
	v_cndmask_b32_e64 v6, v6, v88, s1
	s_waitcnt lgkmcnt(0)
	s_delay_alu instid0(VALU_DEP_1) | instskip(NEXT) | instid1(VALU_DEP_1)
	v_mov_b32_dpp v8, v6 row_shr:2 row_mask:0xf bank_mask:0xf
	v_add_nc_u32_e32 v8, v6, v8
	s_delay_alu instid0(VALU_DEP_1) | instskip(NEXT) | instid1(VALU_DEP_1)
	v_cndmask_b32_e64 v6, v6, v8, s0
	v_mov_b32_dpp v8, v6 row_shr:4 row_mask:0xf bank_mask:0xf
	s_delay_alu instid0(VALU_DEP_1) | instskip(NEXT) | instid1(VALU_DEP_1)
	v_add_nc_u32_e32 v8, v6, v8
	v_dual_cndmask_b32 v6, v6, v8 :: v_dual_add_nc_u32 v5, v5, v87
	s_delay_alu instid0(VALU_DEP_1) | instskip(NEXT) | instid1(VALU_DEP_2)
	v_cndmask_b32_e64 v5, v5, v87, s1
	v_mov_b32_dpp v8, v6 row_shr:8 row_mask:0xf bank_mask:0xf
	s_delay_alu instid0(VALU_DEP_2) | instskip(NEXT) | instid1(VALU_DEP_2)
	v_mov_b32_dpp v7, v5 row_shr:2 row_mask:0xf bank_mask:0xf
	v_add_nc_u32_e32 v8, v6, v8
	s_delay_alu instid0(VALU_DEP_2) | instskip(NEXT) | instid1(VALU_DEP_1)
	v_add_nc_u32_e32 v7, v5, v7
	v_cndmask_b32_e64 v5, v5, v7, s0
	s_mov_b32 s0, exec_lo
	s_delay_alu instid0(VALU_DEP_1) | instskip(NEXT) | instid1(VALU_DEP_1)
	v_mov_b32_dpp v7, v5 row_shr:4 row_mask:0xf bank_mask:0xf
	v_add_nc_u32_e32 v7, v5, v7
	s_delay_alu instid0(VALU_DEP_1) | instskip(SKIP_1) | instid1(VALU_DEP_2)
	v_cndmask_b32_e32 v5, v5, v7, vcc_lo
	v_cmp_lt_u32_e32 vcc_lo, 7, v86
	v_mov_b32_dpp v7, v5 row_shr:8 row_mask:0xf bank_mask:0xf
	s_delay_alu instid0(VALU_DEP_1) | instskip(NEXT) | instid1(VALU_DEP_1)
	v_dual_cndmask_b32 v6, v6, v8 :: v_dual_add_nc_u32 v7, v5, v7
	v_cndmask_b32_e32 v5, v5, v7, vcc_lo
	ds_swizzle_b32 v7, v6 offset:swizzle(BROADCAST,32,15)
	v_cmp_eq_u32_e32 vcc_lo, 0, v85
	ds_swizzle_b32 v8, v5 offset:swizzle(BROADCAST,32,15)
	s_waitcnt lgkmcnt(1)
	v_add_nc_u32_e32 v7, v6, v7
	s_waitcnt lgkmcnt(0)
	v_add_nc_u32_e32 v8, v5, v8
	s_delay_alu instid0(VALU_DEP_1)
	v_dual_cndmask_b32 v6, v7, v6 :: v_dual_cndmask_b32 v5, v8, v5
	v_cmpx_eq_u32_e64 v84, v0
	s_cbranch_execz .LBB152_121
; %bb.120:
	v_lshlrev_b32_e32 v7, 3, v83
	ds_store_b64 v7, v[5:6]
.LBB152_121:
	s_or_b32 exec_lo, exec_lo, s0
	s_delay_alu instid0(SALU_CYCLE_1)
	s_mov_b32 s0, exec_lo
	s_waitcnt lgkmcnt(0)
	s_barrier
	buffer_gl0_inv
	v_cmpx_gt_u32_e32 8, v0
	s_cbranch_execz .LBB152_123
; %bb.122:
	v_lshlrev_b32_e32 v9, 3, v0
	ds_load_b64 v[7:8], v9
	s_waitcnt lgkmcnt(0)
	v_mov_b32_dpp v22, v7 row_shr:1 row_mask:0xf bank_mask:0xf
	v_mov_b32_dpp v23, v8 row_shr:1 row_mask:0xf bank_mask:0xf
	s_delay_alu instid0(VALU_DEP_2) | instskip(SKIP_1) | instid1(VALU_DEP_3)
	v_add_nc_u32_e32 v22, v22, v7
	v_and_b32_e32 v24, 7, v82
	v_add_nc_u32_e32 v23, v23, v8
	s_delay_alu instid0(VALU_DEP_2) | instskip(NEXT) | instid1(VALU_DEP_2)
	v_cmp_eq_u32_e32 vcc_lo, 0, v24
	v_dual_cndmask_b32 v8, v23, v8 :: v_dual_cndmask_b32 v7, v22, v7
	v_cmp_lt_u32_e32 vcc_lo, 1, v24
	s_delay_alu instid0(VALU_DEP_2) | instskip(NEXT) | instid1(VALU_DEP_3)
	v_mov_b32_dpp v23, v8 row_shr:2 row_mask:0xf bank_mask:0xf
	v_mov_b32_dpp v22, v7 row_shr:2 row_mask:0xf bank_mask:0xf
	s_delay_alu instid0(VALU_DEP_2) | instskip(NEXT) | instid1(VALU_DEP_2)
	v_add_nc_u32_e32 v23, v8, v23
	v_add_nc_u32_e32 v22, v7, v22
	s_delay_alu instid0(VALU_DEP_1) | instskip(SKIP_1) | instid1(VALU_DEP_2)
	v_dual_cndmask_b32 v8, v8, v23 :: v_dual_cndmask_b32 v7, v7, v22
	v_cmp_lt_u32_e32 vcc_lo, 3, v24
	v_mov_b32_dpp v23, v8 row_shr:4 row_mask:0xf bank_mask:0xf
	s_delay_alu instid0(VALU_DEP_3) | instskip(NEXT) | instid1(VALU_DEP_1)
	v_mov_b32_dpp v22, v7 row_shr:4 row_mask:0xf bank_mask:0xf
	v_dual_cndmask_b32 v23, 0, v23 :: v_dual_cndmask_b32 v22, 0, v22
	s_delay_alu instid0(VALU_DEP_1) | instskip(NEXT) | instid1(VALU_DEP_2)
	v_add_nc_u32_e32 v8, v23, v8
	v_add_nc_u32_e32 v7, v22, v7
	ds_store_b64 v9, v[7:8]
.LBB152_123:
	s_or_b32 exec_lo, exec_lo, s0
	v_dual_mov_b32 v7, 0 :: v_dual_mov_b32 v22, 0
	v_mov_b32_e32 v23, 0
	s_mov_b32 s0, exec_lo
	s_waitcnt lgkmcnt(0)
	s_barrier
	buffer_gl0_inv
	v_cmpx_lt_u32_e32 31, v0
	s_cbranch_execz .LBB152_125
; %bb.124:
	v_lshl_add_u32 v8, v83, 3, -8
	ds_load_b64 v[22:23], v8
.LBB152_125:
	s_or_b32 exec_lo, exec_lo, s0
	v_add_nc_u32_e32 v8, -1, v82
	s_waitcnt lgkmcnt(0)
	v_add_nc_u32_e32 v24, v23, v6
	v_add_nc_u32_e32 v9, v22, v5
	ds_load_b64 v[5:6], v7 offset:56
	v_cmp_gt_i32_e32 vcc_lo, 0, v8
	v_cndmask_b32_e32 v8, v8, v82, vcc_lo
	s_delay_alu instid0(VALU_DEP_1)
	v_lshlrev_b32_e32 v8, 2, v8
	ds_bpermute_b32 v9, v8, v9
	ds_bpermute_b32 v24, v8, v24
	s_waitcnt lgkmcnt(2)
	v_readfirstlane_b32 s0, v6
	s_and_saveexec_b32 s1, s2
	s_cbranch_execz .LBB152_127
; %bb.126:
	s_mov_b32 s8, 0
	s_add_u32 s6, s36, 0x200
	s_addc_u32 s7, s37, 0
	s_and_b32 s9, s0, 0xff000000
	s_and_b32 s11, s0, 0xff0000
	s_mov_b32 s10, s8
	v_mov_b32_e32 v26, s7
	s_or_b64 s[10:11], s[10:11], s[8:9]
	s_and_b32 s9, s0, 0xff00
	v_dual_mov_b32 v8, 0 :: v_dual_mov_b32 v25, s6
	s_or_b64 s[10:11], s[10:11], s[8:9]
	s_and_b32 s9, s0, 0xff
	v_mov_b32_e32 v7, 2
	s_or_b64 s[8:9], s[10:11], s[8:9]
	s_delay_alu instid0(SALU_CYCLE_1)
	v_mov_b32_e32 v6, s9
	;;#ASMSTART
	global_store_dwordx4 v[25:26], v[5:8] off	
s_waitcnt vmcnt(0)
	;;#ASMEND
.LBB152_127:
	s_or_b32 exec_lo, exec_lo, s1
	v_cmp_eq_u32_e32 vcc_lo, 0, v82
	v_dual_mov_b32 v7, 0 :: v_dual_mov_b32 v6, s0
	s_waitcnt lgkmcnt(0)
	s_barrier
	v_dual_cndmask_b32 v8, v9, v22 :: v_dual_cndmask_b32 v9, v24, v23
	buffer_gl0_inv
	v_cndmask_b32_e64 v22, v8, 0, s2
	v_cndmask_b32_e64 v9, v9, 0, s2
	v_mov_b32_e32 v8, 0
.LBB152_128:
	s_delay_alu instid0(VALU_DEP_1) | instskip(SKIP_1) | instid1(VALU_DEP_2)
	v_add_nc_u32_e32 v24, v9, v81
	s_waitcnt lgkmcnt(0)
	v_sub_nc_u32_e32 v9, v9, v8
	v_add_co_u32 v1, vcc_lo, v1, v7
	v_and_b32_e32 v35, 1, v35
	v_add_nc_u32_e32 v26, v24, v77
	v_sub_nc_u32_e32 v24, v24, v8
	v_lshlrev_b32_e32 v77, 1, v5
	v_add_nc_u32_e32 v9, v9, v5
	v_add_co_ci_u32_e32 v2, vcc_lo, 0, v2, vcc_lo
	v_add_nc_u32_e32 v28, v26, v79
	s_delay_alu instid0(VALU_DEP_4)
	v_add3_u32 v33, v77, v6, v33
	v_and_b32_e32 v40, 1, v40
	v_and_b32_e32 v37, 1, v37
	;; [unrolled: 1-line block ×3, first 2 shown]
	v_add_nc_u32_e32 v29, v28, v75
	v_sub_nc_u32_e32 v28, v28, v8
	v_sub_co_u32 v75, vcc_lo, v3, v5
	s_add_u32 s1, s14, -4
	s_delay_alu instid0(VALU_DEP_3) | instskip(SKIP_4) | instid1(VALU_DEP_3)
	v_add_nc_u32_e32 v73, v29, v73
	v_sub_nc_u32_e32 v29, v29, v8
	v_add_nc_u32_e32 v28, v28, v5
	v_add_nc_u32_e32 v24, v24, v5
	s_mov_b32 s3, -1
	v_add_nc_u32_e32 v29, v29, v5
	v_add_nc_u32_e32 v23, v22, v80
	v_sub_nc_u32_e32 v22, v22, v7
	s_delay_alu instid0(VALU_DEP_2) | instskip(SKIP_3) | instid1(VALU_DEP_3)
	v_add_nc_u32_e32 v25, v23, v76
	v_sub_nc_u32_e32 v23, v23, v7
	v_subrev_co_ci_u32_e32 v76, vcc_lo, 0, v4, vcc_lo
	v_cmp_eq_u32_e32 vcc_lo, 1, v35
	v_add_nc_u32_e32 v79, v24, v23
	s_delay_alu instid0(VALU_DEP_1) | instskip(NEXT) | instid1(VALU_DEP_1)
	v_sub_nc_u32_e32 v79, v33, v79
	v_add_nc_u32_e32 v79, 1, v79
	v_add_nc_u32_e32 v27, v25, v78
	;; [unrolled: 1-line block ×3, first 2 shown]
	s_delay_alu instid0(VALU_DEP_1) | instskip(NEXT) | instid1(VALU_DEP_1)
	v_sub_nc_u32_e32 v78, v33, v78
	v_dual_cndmask_b32 v9, v78, v9 :: v_dual_and_b32 v34, 1, v34
	v_cmp_eq_u32_e32 vcc_lo, 1, v40
	v_cndmask_b32_e32 v24, v79, v24, vcc_lo
	s_delay_alu instid0(VALU_DEP_3) | instskip(NEXT) | instid1(VALU_DEP_4)
	v_cmp_eq_u32_e32 vcc_lo, 1, v34
	v_cndmask_b32_e32 v9, v9, v22, vcc_lo
	v_sub_nc_u32_e32 v26, v26, v8
	v_cmp_eq_u32_e32 vcc_lo, 1, v37
	v_and_b32_e32 v37, 1, v38
	s_delay_alu instid0(VALU_DEP_4) | instskip(NEXT) | instid1(VALU_DEP_4)
	v_lshlrev_b32_e32 v9, 2, v9
	v_add_nc_u32_e32 v26, v26, v5
	v_cndmask_b32_e32 v24, v24, v23, vcc_lo
	v_sub_nc_u32_e32 v25, v25, v7
	v_add_co_u32 v22, vcc_lo, v75, v8
	v_add_co_ci_u32_e32 v23, vcc_lo, 0, v76, vcc_lo
	s_delay_alu instid0(VALU_DEP_3)
	v_add_nc_u32_e32 v34, v26, v25
	v_cmp_eq_u32_e32 vcc_lo, 1, v37
	v_lshlrev_b32_e32 v24, 2, v24
	ds_store_b32 v9, v20
	v_sub_nc_u32_e32 v34, v33, v34
	ds_store_b32 v24, v21
	v_and_b32_e32 v24, 1, v39
	v_add_nc_u32_e32 v34, 2, v34
	s_delay_alu instid0(VALU_DEP_1) | instskip(SKIP_3) | instid1(VALU_DEP_4)
	v_cndmask_b32_e32 v26, v34, v26, vcc_lo
	v_cmp_eq_u32_e32 vcc_lo, 1, v36
	v_add_nc_u32_e32 v74, v27, v74
	v_sub_nc_u32_e32 v27, v27, v7
	v_cndmask_b32_e32 v25, v26, v25, vcc_lo
	s_delay_alu instid0(VALU_DEP_3) | instskip(NEXT) | instid1(VALU_DEP_3)
	v_sub_nc_u32_e32 v37, v74, v7
	v_add_nc_u32_e32 v34, v27, v28
	v_cmp_eq_u32_e32 vcc_lo, 1, v24
	v_sub_nc_u32_e32 v26, v73, v8
	v_lshlrev_b32_e32 v21, 2, v25
	v_and_b32_e32 v25, 1, v41
	v_sub_nc_u32_e32 v9, v33, v34
	v_add_nc_u32_e32 v20, v37, v29
	v_and_b32_e32 v24, 1, v42
	v_add_nc_u32_e32 v26, v26, v5
	ds_store_b32 v21, v18
	v_add_nc_u32_e32 v9, 3, v9
	v_sub_nc_u32_e32 v20, v33, v20
	s_delay_alu instid0(VALU_DEP_2) | instskip(SKIP_2) | instid1(VALU_DEP_4)
	v_cndmask_b32_e32 v9, v9, v28, vcc_lo
	v_cmp_eq_u32_e32 vcc_lo, 1, v25
	v_add_nc_u32_e32 v72, v74, v72
	v_add_nc_u32_e32 v20, 4, v20
	v_and_b32_e32 v25, 1, v43
	v_cndmask_b32_e32 v9, v9, v27, vcc_lo
	s_delay_alu instid0(VALU_DEP_4)
	v_sub_nc_u32_e32 v28, v72, v7
	v_cmp_eq_u32_e32 vcc_lo, 1, v24
	v_and_b32_e32 v24, 1, v44
	v_add_nc_u32_e32 v70, v72, v70
	v_lshlrev_b32_e32 v9, 2, v9
	v_add_nc_u32_e32 v27, v28, v26
	v_cndmask_b32_e32 v20, v20, v29, vcc_lo
	v_cmp_eq_u32_e32 vcc_lo, 1, v25
	v_and_b32_e32 v25, 1, v45
	v_add_nc_u32_e32 v64, v70, v64
	v_sub_nc_u32_e32 v18, v33, v27
	v_sub_nc_u32_e32 v27, v70, v7
	v_cndmask_b32_e32 v20, v20, v37, vcc_lo
	v_cmp_eq_u32_e32 vcc_lo, 1, v24
	ds_store_b32 v9, v19
	v_add_nc_u32_e32 v18, 5, v18
	v_and_b32_e32 v19, 1, v46
	v_lshlrev_b32_e32 v20, 2, v20
	v_add_nc_u32_e32 v68, v64, v68
	s_delay_alu instid0(VALU_DEP_4)
	v_cndmask_b32_e32 v18, v18, v26, vcc_lo
	v_cmp_eq_u32_e32 vcc_lo, 1, v25
	v_sub_nc_u32_e32 v25, v64, v7
	ds_store_b32 v20, v16
	v_and_b32_e32 v20, 1, v49
	v_add_nc_u32_e32 v66, v68, v66
	v_dual_cndmask_b32 v18, v18, v28 :: v_dual_add_nc_u32 v71, v73, v71
	v_cmp_eq_u32_e32 vcc_lo, 1, v19
	v_and_b32_e32 v19, 1, v48
	s_delay_alu instid0(VALU_DEP_4) | instskip(NEXT) | instid1(VALU_DEP_4)
	v_add_nc_u32_e32 v61, v66, v61
	v_lshlrev_b32_e32 v18, 2, v18
	v_add_nc_u32_e32 v65, v71, v65
	v_sub_nc_u32_e32 v21, v71, v8
	s_delay_alu instid0(VALU_DEP_4)
	v_add_nc_u32_e32 v60, v61, v60
	ds_store_b32 v18, v17
	v_sub_nc_u32_e32 v24, v65, v8
	v_add_nc_u32_e32 v21, v21, v5
	v_add_nc_u32_e32 v69, v65, v69
	v_and_b32_e32 v17, 1, v47
	s_delay_alu instid0(VALU_DEP_4) | instskip(NEXT) | instid1(VALU_DEP_4)
	v_add_nc_u32_e32 v24, v24, v5
	v_add_nc_u32_e32 v26, v27, v21
	s_delay_alu instid0(VALU_DEP_4) | instskip(NEXT) | instid1(VALU_DEP_3)
	v_sub_nc_u32_e32 v18, v69, v8
	v_add_nc_u32_e32 v16, v25, v24
	s_delay_alu instid0(VALU_DEP_3) | instskip(NEXT) | instid1(VALU_DEP_3)
	v_sub_nc_u32_e32 v9, v33, v26
	v_add_nc_u32_e32 v18, v18, v5
	v_sub_nc_u32_e32 v26, v60, v7
	s_delay_alu instid0(VALU_DEP_4) | instskip(NEXT) | instid1(VALU_DEP_4)
	v_sub_nc_u32_e32 v16, v33, v16
	v_add_nc_u32_e32 v9, 6, v9
	s_delay_alu instid0(VALU_DEP_1) | instskip(SKIP_2) | instid1(VALU_DEP_3)
	v_dual_cndmask_b32 v9, v9, v21 :: v_dual_add_nc_u32 v16, 7, v16
	v_cmp_eq_u32_e32 vcc_lo, 1, v19
	v_sub_nc_u32_e32 v21, v68, v7
	v_cndmask_b32_e32 v16, v16, v24, vcc_lo
	v_cmp_eq_u32_e32 vcc_lo, 1, v17
	s_delay_alu instid0(VALU_DEP_3) | instskip(SKIP_3) | instid1(VALU_DEP_4)
	v_add_nc_u32_e32 v17, v21, v18
	v_cndmask_b32_e32 v9, v9, v27, vcc_lo
	v_cmp_eq_u32_e32 vcc_lo, 1, v20
	v_add_nc_u32_e32 v67, v69, v67
	v_sub_nc_u32_e32 v17, v33, v17
	v_sub_nc_u32_e32 v20, v66, v7
	v_lshlrev_b32_e32 v9, 2, v9
	v_cndmask_b32_e32 v16, v16, v25, vcc_lo
	v_sub_nc_u32_e32 v19, v67, v8
	v_add_nc_u32_e32 v62, v67, v62
	v_sub_nc_u32_e32 v25, v61, v7
	ds_store_b32 v9, v14
	v_and_b32_e32 v9, 1, v50
	v_add_nc_u32_e32 v19, v19, v5
	v_add_nc_u32_e32 v14, 8, v17
	v_lshlrev_b32_e32 v16, 2, v16
	v_add_nc_u32_e32 v63, v62, v63
	v_cmp_eq_u32_e32 vcc_lo, 1, v9
	v_add_nc_u32_e32 v17, v20, v19
	ds_store_b32 v16, v15
	v_and_b32_e32 v15, 1, v51
	v_cndmask_b32_e32 v9, v14, v18, vcc_lo
	v_sub_nc_u32_e32 v14, v33, v17
	v_and_b32_e32 v18, 1, v52
	v_sub_nc_u32_e32 v17, v62, v8
	v_and_b32_e32 v16, 1, v54
	v_sub_nc_u32_e32 v24, v63, v8
	v_add_nc_u32_e32 v14, 9, v14
	v_cmp_eq_u32_e32 vcc_lo, 1, v18
	v_add_nc_u32_e32 v17, v17, v5
	v_add_nc_u32_e32 v35, v63, v59
	;; [unrolled: 1-line block ×3, first 2 shown]
	v_cndmask_b32_e32 v14, v14, v19, vcc_lo
	v_cmp_eq_u32_e32 vcc_lo, 1, v15
	v_add_nc_u32_e32 v15, v25, v17
	s_delay_alu instid0(VALU_DEP_4)
	v_add_nc_u32_e32 v18, v26, v24
	v_and_b32_e32 v19, 1, v55
	v_cndmask_b32_e32 v9, v9, v21, vcc_lo
	v_cmp_eq_u32_e32 vcc_lo, 1, v16
	v_sub_nc_u32_e32 v15, v33, v15
	v_sub_nc_u32_e32 v18, v33, v18
	v_and_b32_e32 v21, 1, v57
	v_sub_nc_u32_e32 v16, v35, v8
	v_cndmask_b32_e32 v14, v14, v20, vcc_lo
	v_and_b32_e32 v20, 1, v53
	v_add_nc_u32_e32 v15, 10, v15
	v_add_nc_u32_e32 v18, 11, v18
	v_add_nc_u32_e32 v16, v16, v5
	v_lshlrev_b32_e32 v9, 2, v9
	v_cmp_eq_u32_e32 vcc_lo, 1, v20
	v_dual_cndmask_b32 v15, v15, v17 :: v_dual_lshlrev_b32 v14, 2, v14
	v_cmp_eq_u32_e32 vcc_lo, 1, v21
	v_and_b32_e32 v17, 1, v56
	v_cndmask_b32_e32 v18, v18, v24, vcc_lo
	v_cmp_eq_u32_e32 vcc_lo, 1, v19
	v_cndmask_b32_e32 v15, v15, v25, vcc_lo
	s_delay_alu instid0(VALU_DEP_4) | instskip(NEXT) | instid1(VALU_DEP_2)
	v_cmp_eq_u32_e32 vcc_lo, 1, v17
	v_lshlrev_b32_e32 v15, 2, v15
	v_cndmask_b32_e32 v17, v18, v26, vcc_lo
	v_add_nc_u32_e32 v40, v60, v58
	s_delay_alu instid0(VALU_DEP_2) | instskip(NEXT) | instid1(VALU_DEP_2)
	v_lshlrev_b32_e32 v17, 2, v17
	v_sub_nc_u32_e32 v7, v40, v7
	ds_store_b32 v9, v12
	ds_store_b32 v14, v13
	;; [unrolled: 1-line block ×4, first 2 shown]
	v_add_co_u32 v9, s0, v6, v77
	s_delay_alu instid0(VALU_DEP_1) | instskip(SKIP_1) | instid1(VALU_DEP_3)
	v_add_co_ci_u32_e64 v10, null, 0, 0, s0
	v_add_nc_u32_e32 v27, v7, v16
	v_add_co_u32 v9, vcc_lo, v9, v22
	s_delay_alu instid0(VALU_DEP_3) | instskip(NEXT) | instid1(VALU_DEP_3)
	v_add_co_ci_u32_e32 v10, vcc_lo, v10, v23, vcc_lo
	v_sub_nc_u32_e32 v20, v33, v27
	v_add_co_u32 v11, s0, s34, v30
	s_delay_alu instid0(VALU_DEP_4) | instskip(NEXT) | instid1(VALU_DEP_3)
	v_add_co_u32 v9, vcc_lo, v9, v1
	v_add_nc_u32_e32 v18, 12, v20
	v_add_co_ci_u32_e64 v12, null, s35, 0, s0
	v_add_co_ci_u32_e32 v10, vcc_lo, v10, v2, vcc_lo
	s_delay_alu instid0(VALU_DEP_3) | instskip(SKIP_1) | instid1(VALU_DEP_2)
	v_cndmask_b32_e64 v16, v18, v16, s33
	v_add_nc_u32_e32 v14, v5, v6
	v_cndmask_b32_e64 v7, v16, v7, s27
	s_delay_alu instid0(VALU_DEP_1)
	v_lshlrev_b32_e32 v7, 2, v7
	ds_store_b32 v7, v32
	v_sub_co_u32 v7, vcc_lo, v11, v9
	v_sub_co_ci_u32_e32 v13, vcc_lo, v12, v10, vcc_lo
	v_lshlrev_b64 v[9:10], 2, v[22:23]
	v_lshlrev_b64 v[11:12], 2, v[1:2]
	s_waitcnt lgkmcnt(0)
	s_barrier
	buffer_gl0_inv
	v_add_co_u32 v9, vcc_lo, s30, v9
	v_add_co_ci_u32_e32 v10, vcc_lo, s31, v10, vcc_lo
	v_cmp_ne_u32_e32 vcc_lo, 1, v31
	v_add_co_u32 v11, s0, s28, v11
	s_delay_alu instid0(VALU_DEP_1)
	v_add_co_ci_u32_e64 v12, s0, s29, v12, s0
	s_addc_u32 s0, s15, -1
	s_cbranch_vccz .LBB152_132
; %bb.129:
	s_and_b32 vcc_lo, exec_lo, s3
	s_cbranch_vccnz .LBB152_237
.LBB152_130:
	s_and_b32 s0, s2, s13
	s_delay_alu instid0(SALU_CYCLE_1)
	s_and_saveexec_b32 s1, s0
	s_cbranch_execnz .LBB152_355
.LBB152_131:
	s_nop 0
	s_sendmsg sendmsg(MSG_DEALLOC_VGPRS)
	s_endpgm
.LBB152_132:
	s_mov_b32 s3, exec_lo
	v_cmpx_le_u32_e64 v5, v0
	s_xor_b32 s3, exec_lo, s3
	s_cbranch_execz .LBB152_138
; %bb.133:
	s_mov_b32 s5, exec_lo
	v_cmpx_le_u32_e64 v14, v0
	s_xor_b32 s5, exec_lo, s5
	s_cbranch_execz .LBB152_135
; %bb.134:
	v_lshlrev_b32_e32 v15, 2, v0
	ds_load_b32 v17, v15
	v_add_co_u32 v15, vcc_lo, v7, v0
	v_add_co_ci_u32_e32 v16, vcc_lo, 0, v13, vcc_lo
	s_delay_alu instid0(VALU_DEP_1) | instskip(NEXT) | instid1(VALU_DEP_1)
	v_lshlrev_b64 v[15:16], 2, v[15:16]
	v_sub_co_u32 v15, vcc_lo, s14, v15
	s_delay_alu instid0(VALU_DEP_2)
	v_sub_co_ci_u32_e32 v16, vcc_lo, s15, v16, vcc_lo
	s_waitcnt lgkmcnt(0)
	global_store_b32 v[15:16], v17, off offset:-4
.LBB152_135:
	s_and_not1_saveexec_b32 s5, s5
	s_cbranch_execz .LBB152_137
; %bb.136:
	v_lshlrev_b32_e32 v15, 2, v0
	v_readfirstlane_b32 s6, v9
	v_readfirstlane_b32 s7, v10
	ds_load_b32 v16, v15
	s_waitcnt lgkmcnt(0)
	global_store_b32 v15, v16, s[6:7]
.LBB152_137:
	s_or_b32 exec_lo, exec_lo, s5
.LBB152_138:
	s_and_not1_saveexec_b32 s3, s3
	s_cbranch_execz .LBB152_140
; %bb.139:
	v_lshlrev_b32_e32 v15, 2, v0
	v_readfirstlane_b32 s6, v11
	v_readfirstlane_b32 s7, v12
	ds_load_b32 v16, v15
	s_waitcnt lgkmcnt(0)
	global_store_b32 v15, v16, s[6:7]
.LBB152_140:
	s_or_b32 exec_lo, exec_lo, s3
	v_or_b32_e32 v15, 0x100, v0
	s_mov_b32 s3, exec_lo
	s_delay_alu instid0(VALU_DEP_1)
	v_cmpx_le_u32_e64 v5, v15
	s_xor_b32 s3, exec_lo, s3
	s_cbranch_execz .LBB152_146
; %bb.141:
	s_mov_b32 s5, exec_lo
	v_cmpx_le_u32_e64 v14, v15
	s_xor_b32 s5, exec_lo, s5
	s_cbranch_execz .LBB152_143
; %bb.142:
	v_lshlrev_b32_e32 v15, 2, v0
	ds_load_b32 v17, v15 offset:1024
	v_add_co_u32 v15, vcc_lo, v7, v0
	v_add_co_ci_u32_e32 v16, vcc_lo, 0, v13, vcc_lo
	s_delay_alu instid0(VALU_DEP_1) | instskip(NEXT) | instid1(VALU_DEP_1)
	v_lshlrev_b64 v[15:16], 2, v[15:16]
	v_sub_co_u32 v15, vcc_lo, s1, v15
	s_delay_alu instid0(VALU_DEP_2)
	v_sub_co_ci_u32_e32 v16, vcc_lo, s0, v16, vcc_lo
	s_waitcnt lgkmcnt(0)
	global_store_b32 v[15:16], v17, off offset:-1024
.LBB152_143:
	s_and_not1_saveexec_b32 s5, s5
	s_cbranch_execz .LBB152_145
; %bb.144:
	v_lshlrev_b32_e32 v15, 2, v0
	v_readfirstlane_b32 s6, v9
	v_readfirstlane_b32 s7, v10
	ds_load_b32 v16, v15 offset:1024
	s_waitcnt lgkmcnt(0)
	global_store_b32 v15, v16, s[6:7] offset:1024
.LBB152_145:
	s_or_b32 exec_lo, exec_lo, s5
.LBB152_146:
	s_and_not1_saveexec_b32 s3, s3
	s_cbranch_execz .LBB152_148
; %bb.147:
	v_lshlrev_b32_e32 v15, 2, v0
	v_readfirstlane_b32 s6, v11
	v_readfirstlane_b32 s7, v12
	ds_load_b32 v16, v15 offset:1024
	s_waitcnt lgkmcnt(0)
	global_store_b32 v15, v16, s[6:7] offset:1024
.LBB152_148:
	s_or_b32 exec_lo, exec_lo, s3
	v_or_b32_e32 v15, 0x200, v0
	s_mov_b32 s3, exec_lo
	s_delay_alu instid0(VALU_DEP_1)
	v_cmpx_le_u32_e64 v5, v15
	s_xor_b32 s3, exec_lo, s3
	s_cbranch_execz .LBB152_154
; %bb.149:
	s_mov_b32 s5, exec_lo
	v_cmpx_le_u32_e64 v14, v15
	s_xor_b32 s5, exec_lo, s5
	s_cbranch_execz .LBB152_151
; %bb.150:
	v_lshlrev_b32_e32 v15, 2, v0
	ds_load_b32 v17, v15 offset:2048
	v_add_co_u32 v15, vcc_lo, v7, v0
	v_add_co_ci_u32_e32 v16, vcc_lo, 0, v13, vcc_lo
	s_delay_alu instid0(VALU_DEP_1) | instskip(NEXT) | instid1(VALU_DEP_1)
	v_lshlrev_b64 v[15:16], 2, v[15:16]
	v_sub_co_u32 v15, vcc_lo, s1, v15
	s_delay_alu instid0(VALU_DEP_2)
	v_sub_co_ci_u32_e32 v16, vcc_lo, s0, v16, vcc_lo
	s_waitcnt lgkmcnt(0)
	global_store_b32 v[15:16], v17, off offset:-2048
.LBB152_151:
	s_and_not1_saveexec_b32 s5, s5
	s_cbranch_execz .LBB152_153
; %bb.152:
	v_lshlrev_b32_e32 v15, 2, v0
	v_readfirstlane_b32 s6, v9
	v_readfirstlane_b32 s7, v10
	ds_load_b32 v16, v15 offset:2048
	s_waitcnt lgkmcnt(0)
	global_store_b32 v15, v16, s[6:7] offset:2048
.LBB152_153:
	s_or_b32 exec_lo, exec_lo, s5
.LBB152_154:
	s_and_not1_saveexec_b32 s3, s3
	s_cbranch_execz .LBB152_156
; %bb.155:
	v_lshlrev_b32_e32 v15, 2, v0
	v_readfirstlane_b32 s6, v11
	v_readfirstlane_b32 s7, v12
	ds_load_b32 v16, v15 offset:2048
	s_waitcnt lgkmcnt(0)
	global_store_b32 v15, v16, s[6:7] offset:2048
.LBB152_156:
	;; [unrolled: 47-line block ×3, first 2 shown]
	s_or_b32 exec_lo, exec_lo, s3
	v_or_b32_e32 v15, 0x400, v0
	s_mov_b32 s3, exec_lo
	s_delay_alu instid0(VALU_DEP_1)
	v_cmpx_le_u32_e64 v5, v15
	s_xor_b32 s3, exec_lo, s3
	s_cbranch_execz .LBB152_170
; %bb.165:
	s_mov_b32 s5, exec_lo
	v_cmpx_le_u32_e64 v14, v15
	s_xor_b32 s5, exec_lo, s5
	s_cbranch_execz .LBB152_167
; %bb.166:
	v_lshlrev_b32_e32 v15, 2, v0
	ds_load_b32 v17, v15 offset:4096
	v_add_co_u32 v15, vcc_lo, v7, v0
	v_add_co_ci_u32_e32 v16, vcc_lo, 0, v13, vcc_lo
	s_delay_alu instid0(VALU_DEP_1) | instskip(NEXT) | instid1(VALU_DEP_1)
	v_lshlrev_b64 v[15:16], 2, v[15:16]
	v_sub_co_u32 v15, vcc_lo, s1, v15
	s_delay_alu instid0(VALU_DEP_2)
	v_sub_co_ci_u32_e32 v16, vcc_lo, s0, v16, vcc_lo
	s_waitcnt lgkmcnt(0)
	global_store_b32 v[15:16], v17, off offset:-4096
                                        ; implicit-def: $vgpr15
.LBB152_167:
	s_and_not1_saveexec_b32 s5, s5
	s_cbranch_execz .LBB152_169
; %bb.168:
	v_lshlrev_b32_e32 v16, 2, v0
	v_lshlrev_b32_e32 v15, 2, v15
	v_readfirstlane_b32 s6, v9
	v_readfirstlane_b32 s7, v10
	ds_load_b32 v16, v16 offset:4096
	s_waitcnt lgkmcnt(0)
	global_store_b32 v15, v16, s[6:7]
.LBB152_169:
	s_or_b32 exec_lo, exec_lo, s5
                                        ; implicit-def: $vgpr15
.LBB152_170:
	s_and_not1_saveexec_b32 s3, s3
	s_cbranch_execz .LBB152_172
; %bb.171:
	v_lshlrev_b32_e32 v16, 2, v0
	v_lshlrev_b32_e32 v15, 2, v15
	v_readfirstlane_b32 s6, v11
	v_readfirstlane_b32 s7, v12
	ds_load_b32 v16, v16 offset:4096
	s_waitcnt lgkmcnt(0)
	global_store_b32 v15, v16, s[6:7]
.LBB152_172:
	s_or_b32 exec_lo, exec_lo, s3
	v_or_b32_e32 v15, 0x500, v0
	s_mov_b32 s3, exec_lo
	s_delay_alu instid0(VALU_DEP_1)
	v_cmpx_le_u32_e64 v5, v15
	s_xor_b32 s3, exec_lo, s3
	s_cbranch_execz .LBB152_178
; %bb.173:
	s_mov_b32 s5, exec_lo
	v_cmpx_le_u32_e64 v14, v15
	s_xor_b32 s5, exec_lo, s5
	s_cbranch_execz .LBB152_175
; %bb.174:
	v_lshlrev_b32_e32 v16, 2, v0
	v_add_co_u32 v15, vcc_lo, v7, v15
	ds_load_b32 v17, v16 offset:5120
	v_add_co_ci_u32_e32 v16, vcc_lo, 0, v13, vcc_lo
	s_delay_alu instid0(VALU_DEP_1) | instskip(NEXT) | instid1(VALU_DEP_1)
	v_lshlrev_b64 v[15:16], 2, v[15:16]
	v_sub_co_u32 v15, vcc_lo, s1, v15
	s_delay_alu instid0(VALU_DEP_2)
	v_sub_co_ci_u32_e32 v16, vcc_lo, s0, v16, vcc_lo
	s_waitcnt lgkmcnt(0)
	global_store_b32 v[15:16], v17, off
                                        ; implicit-def: $vgpr15
.LBB152_175:
	s_and_not1_saveexec_b32 s5, s5
	s_cbranch_execz .LBB152_177
; %bb.176:
	v_lshlrev_b32_e32 v16, 2, v0
	v_lshlrev_b32_e32 v15, 2, v15
	v_readfirstlane_b32 s6, v9
	v_readfirstlane_b32 s7, v10
	ds_load_b32 v16, v16 offset:5120
	s_waitcnt lgkmcnt(0)
	global_store_b32 v15, v16, s[6:7]
.LBB152_177:
	s_or_b32 exec_lo, exec_lo, s5
                                        ; implicit-def: $vgpr15
.LBB152_178:
	s_and_not1_saveexec_b32 s3, s3
	s_cbranch_execz .LBB152_180
; %bb.179:
	v_lshlrev_b32_e32 v16, 2, v0
	v_lshlrev_b32_e32 v15, 2, v15
	v_readfirstlane_b32 s6, v11
	v_readfirstlane_b32 s7, v12
	ds_load_b32 v16, v16 offset:5120
	s_waitcnt lgkmcnt(0)
	global_store_b32 v15, v16, s[6:7]
.LBB152_180:
	s_or_b32 exec_lo, exec_lo, s3
	v_or_b32_e32 v15, 0x600, v0
	s_mov_b32 s3, exec_lo
	s_delay_alu instid0(VALU_DEP_1)
	v_cmpx_le_u32_e64 v5, v15
	s_xor_b32 s3, exec_lo, s3
	s_cbranch_execz .LBB152_186
; %bb.181:
	s_mov_b32 s5, exec_lo
	v_cmpx_le_u32_e64 v14, v15
	s_xor_b32 s5, exec_lo, s5
	s_cbranch_execz .LBB152_183
; %bb.182:
	v_lshlrev_b32_e32 v16, 2, v0
	v_add_co_u32 v15, vcc_lo, v7, v15
	ds_load_b32 v17, v16 offset:6144
	v_add_co_ci_u32_e32 v16, vcc_lo, 0, v13, vcc_lo
	s_delay_alu instid0(VALU_DEP_1) | instskip(NEXT) | instid1(VALU_DEP_1)
	v_lshlrev_b64 v[15:16], 2, v[15:16]
	v_sub_co_u32 v15, vcc_lo, s1, v15
	s_delay_alu instid0(VALU_DEP_2)
	v_sub_co_ci_u32_e32 v16, vcc_lo, s0, v16, vcc_lo
	s_waitcnt lgkmcnt(0)
	global_store_b32 v[15:16], v17, off
                                        ; implicit-def: $vgpr15
.LBB152_183:
	s_and_not1_saveexec_b32 s5, s5
	s_cbranch_execz .LBB152_185
; %bb.184:
	v_lshlrev_b32_e32 v16, 2, v0
	v_lshlrev_b32_e32 v15, 2, v15
	v_readfirstlane_b32 s6, v9
	v_readfirstlane_b32 s7, v10
	ds_load_b32 v16, v16 offset:6144
	s_waitcnt lgkmcnt(0)
	global_store_b32 v15, v16, s[6:7]
.LBB152_185:
	s_or_b32 exec_lo, exec_lo, s5
                                        ; implicit-def: $vgpr15
.LBB152_186:
	;; [unrolled: 51-line block ×8, first 2 shown]
	s_and_not1_saveexec_b32 s3, s3
	s_cbranch_execz .LBB152_236
; %bb.235:
	v_lshlrev_b32_e32 v16, 2, v0
	v_lshlrev_b32_e32 v15, 2, v15
	v_readfirstlane_b32 s6, v11
	v_readfirstlane_b32 s7, v12
	ds_load_b32 v16, v16 offset:12288
	s_waitcnt lgkmcnt(0)
	global_store_b32 v15, v16, s[6:7]
.LBB152_236:
	s_or_b32 exec_lo, exec_lo, s3
	s_branch .LBB152_130
.LBB152_237:
	s_mov_b32 s3, exec_lo
	v_cmpx_gt_u32_e64 s4, v0
	s_cbranch_execz .LBB152_246
; %bb.238:
	s_mov_b32 s5, exec_lo
	v_cmpx_le_u32_e64 v5, v0
	s_xor_b32 s5, exec_lo, s5
	s_cbranch_execz .LBB152_244
; %bb.239:
	s_mov_b32 s6, exec_lo
	v_cmpx_le_u32_e64 v14, v0
	s_xor_b32 s6, exec_lo, s6
	s_cbranch_execz .LBB152_241
; %bb.240:
	v_lshlrev_b32_e32 v15, 2, v0
	ds_load_b32 v17, v15
	v_add_co_u32 v15, vcc_lo, v7, v0
	v_add_co_ci_u32_e32 v16, vcc_lo, 0, v13, vcc_lo
	s_delay_alu instid0(VALU_DEP_1) | instskip(NEXT) | instid1(VALU_DEP_1)
	v_lshlrev_b64 v[15:16], 2, v[15:16]
	v_sub_co_u32 v15, vcc_lo, s14, v15
	s_delay_alu instid0(VALU_DEP_2)
	v_sub_co_ci_u32_e32 v16, vcc_lo, s15, v16, vcc_lo
	s_waitcnt lgkmcnt(0)
	global_store_b32 v[15:16], v17, off offset:-4
.LBB152_241:
	s_and_not1_saveexec_b32 s6, s6
	s_cbranch_execz .LBB152_243
; %bb.242:
	v_lshlrev_b32_e32 v15, 2, v0
	v_readfirstlane_b32 s8, v9
	v_readfirstlane_b32 s9, v10
	ds_load_b32 v16, v15
	s_waitcnt lgkmcnt(0)
	global_store_b32 v15, v16, s[8:9]
.LBB152_243:
	s_or_b32 exec_lo, exec_lo, s6
.LBB152_244:
	s_and_not1_saveexec_b32 s5, s5
	s_cbranch_execz .LBB152_246
; %bb.245:
	v_lshlrev_b32_e32 v15, 2, v0
	v_readfirstlane_b32 s6, v11
	v_readfirstlane_b32 s7, v12
	ds_load_b32 v16, v15
	s_waitcnt lgkmcnt(0)
	global_store_b32 v15, v16, s[6:7]
.LBB152_246:
	s_or_b32 exec_lo, exec_lo, s3
	v_or_b32_e32 v15, 0x100, v0
	s_mov_b32 s3, exec_lo
	s_delay_alu instid0(VALU_DEP_1)
	v_cmpx_gt_u32_e64 s4, v15
	s_cbranch_execz .LBB152_255
; %bb.247:
	s_mov_b32 s5, exec_lo
	v_cmpx_le_u32_e64 v5, v15
	s_xor_b32 s5, exec_lo, s5
	s_cbranch_execz .LBB152_253
; %bb.248:
	s_mov_b32 s6, exec_lo
	v_cmpx_le_u32_e64 v14, v15
	s_xor_b32 s6, exec_lo, s6
	s_cbranch_execz .LBB152_250
; %bb.249:
	v_lshlrev_b32_e32 v15, 2, v0
	ds_load_b32 v17, v15 offset:1024
	v_add_co_u32 v15, vcc_lo, v7, v0
	v_add_co_ci_u32_e32 v16, vcc_lo, 0, v13, vcc_lo
	s_delay_alu instid0(VALU_DEP_1) | instskip(NEXT) | instid1(VALU_DEP_1)
	v_lshlrev_b64 v[15:16], 2, v[15:16]
	v_sub_co_u32 v15, vcc_lo, s1, v15
	s_delay_alu instid0(VALU_DEP_2)
	v_sub_co_ci_u32_e32 v16, vcc_lo, s0, v16, vcc_lo
	s_waitcnt lgkmcnt(0)
	global_store_b32 v[15:16], v17, off offset:-1024
.LBB152_250:
	s_and_not1_saveexec_b32 s6, s6
	s_cbranch_execz .LBB152_252
; %bb.251:
	v_lshlrev_b32_e32 v15, 2, v0
	v_readfirstlane_b32 s8, v9
	v_readfirstlane_b32 s9, v10
	ds_load_b32 v16, v15 offset:1024
	s_waitcnt lgkmcnt(0)
	global_store_b32 v15, v16, s[8:9] offset:1024
.LBB152_252:
	s_or_b32 exec_lo, exec_lo, s6
.LBB152_253:
	s_and_not1_saveexec_b32 s5, s5
	s_cbranch_execz .LBB152_255
; %bb.254:
	v_lshlrev_b32_e32 v15, 2, v0
	v_readfirstlane_b32 s6, v11
	v_readfirstlane_b32 s7, v12
	ds_load_b32 v16, v15 offset:1024
	s_waitcnt lgkmcnt(0)
	global_store_b32 v15, v16, s[6:7] offset:1024
.LBB152_255:
	s_or_b32 exec_lo, exec_lo, s3
	v_or_b32_e32 v15, 0x200, v0
	s_mov_b32 s3, exec_lo
	s_delay_alu instid0(VALU_DEP_1)
	v_cmpx_gt_u32_e64 s4, v15
	s_cbranch_execz .LBB152_264
; %bb.256:
	s_mov_b32 s5, exec_lo
	v_cmpx_le_u32_e64 v5, v15
	s_xor_b32 s5, exec_lo, s5
	s_cbranch_execz .LBB152_262
; %bb.257:
	s_mov_b32 s6, exec_lo
	v_cmpx_le_u32_e64 v14, v15
	s_xor_b32 s6, exec_lo, s6
	s_cbranch_execz .LBB152_259
; %bb.258:
	v_lshlrev_b32_e32 v15, 2, v0
	ds_load_b32 v17, v15 offset:2048
	v_add_co_u32 v15, vcc_lo, v7, v0
	v_add_co_ci_u32_e32 v16, vcc_lo, 0, v13, vcc_lo
	s_delay_alu instid0(VALU_DEP_1) | instskip(NEXT) | instid1(VALU_DEP_1)
	v_lshlrev_b64 v[15:16], 2, v[15:16]
	v_sub_co_u32 v15, vcc_lo, s1, v15
	s_delay_alu instid0(VALU_DEP_2)
	v_sub_co_ci_u32_e32 v16, vcc_lo, s0, v16, vcc_lo
	s_waitcnt lgkmcnt(0)
	global_store_b32 v[15:16], v17, off offset:-2048
.LBB152_259:
	s_and_not1_saveexec_b32 s6, s6
	s_cbranch_execz .LBB152_261
; %bb.260:
	v_lshlrev_b32_e32 v15, 2, v0
	v_readfirstlane_b32 s8, v9
	v_readfirstlane_b32 s9, v10
	ds_load_b32 v16, v15 offset:2048
	s_waitcnt lgkmcnt(0)
	global_store_b32 v15, v16, s[8:9] offset:2048
.LBB152_261:
	s_or_b32 exec_lo, exec_lo, s6
.LBB152_262:
	s_and_not1_saveexec_b32 s5, s5
	s_cbranch_execz .LBB152_264
; %bb.263:
	v_lshlrev_b32_e32 v15, 2, v0
	v_readfirstlane_b32 s6, v11
	v_readfirstlane_b32 s7, v12
	ds_load_b32 v16, v15 offset:2048
	s_waitcnt lgkmcnt(0)
	global_store_b32 v15, v16, s[6:7] offset:2048
.LBB152_264:
	;; [unrolled: 51-line block ×3, first 2 shown]
	s_or_b32 exec_lo, exec_lo, s3
	v_or_b32_e32 v15, 0x400, v0
	s_mov_b32 s3, exec_lo
	s_delay_alu instid0(VALU_DEP_1)
	v_cmpx_gt_u32_e64 s4, v15
	s_cbranch_execz .LBB152_282
; %bb.274:
	s_mov_b32 s5, exec_lo
	v_cmpx_le_u32_e64 v5, v15
	s_xor_b32 s5, exec_lo, s5
	s_cbranch_execz .LBB152_280
; %bb.275:
	s_mov_b32 s6, exec_lo
	v_cmpx_le_u32_e64 v14, v15
	s_xor_b32 s6, exec_lo, s6
	s_cbranch_execz .LBB152_277
; %bb.276:
	v_lshlrev_b32_e32 v15, 2, v0
	ds_load_b32 v17, v15 offset:4096
	v_add_co_u32 v15, vcc_lo, v7, v0
	v_add_co_ci_u32_e32 v16, vcc_lo, 0, v13, vcc_lo
	s_delay_alu instid0(VALU_DEP_1) | instskip(NEXT) | instid1(VALU_DEP_1)
	v_lshlrev_b64 v[15:16], 2, v[15:16]
	v_sub_co_u32 v15, vcc_lo, s1, v15
	s_delay_alu instid0(VALU_DEP_2)
	v_sub_co_ci_u32_e32 v16, vcc_lo, s0, v16, vcc_lo
	s_waitcnt lgkmcnt(0)
	global_store_b32 v[15:16], v17, off offset:-4096
                                        ; implicit-def: $vgpr15
.LBB152_277:
	s_and_not1_saveexec_b32 s6, s6
	s_cbranch_execz .LBB152_279
; %bb.278:
	v_lshlrev_b32_e32 v16, 2, v0
	v_lshlrev_b32_e32 v15, 2, v15
	v_readfirstlane_b32 s8, v9
	v_readfirstlane_b32 s9, v10
	ds_load_b32 v16, v16 offset:4096
	s_waitcnt lgkmcnt(0)
	global_store_b32 v15, v16, s[8:9]
.LBB152_279:
	s_or_b32 exec_lo, exec_lo, s6
                                        ; implicit-def: $vgpr15
.LBB152_280:
	s_and_not1_saveexec_b32 s5, s5
	s_cbranch_execz .LBB152_282
; %bb.281:
	v_lshlrev_b32_e32 v16, 2, v0
	v_lshlrev_b32_e32 v15, 2, v15
	v_readfirstlane_b32 s6, v11
	v_readfirstlane_b32 s7, v12
	ds_load_b32 v16, v16 offset:4096
	s_waitcnt lgkmcnt(0)
	global_store_b32 v15, v16, s[6:7]
.LBB152_282:
	s_or_b32 exec_lo, exec_lo, s3
	v_or_b32_e32 v15, 0x500, v0
	s_mov_b32 s3, exec_lo
	s_delay_alu instid0(VALU_DEP_1)
	v_cmpx_gt_u32_e64 s4, v15
	s_cbranch_execz .LBB152_291
; %bb.283:
	s_mov_b32 s5, exec_lo
	v_cmpx_le_u32_e64 v5, v15
	s_xor_b32 s5, exec_lo, s5
	s_cbranch_execz .LBB152_289
; %bb.284:
	s_mov_b32 s6, exec_lo
	v_cmpx_le_u32_e64 v14, v15
	s_xor_b32 s6, exec_lo, s6
	s_cbranch_execz .LBB152_286
; %bb.285:
	v_lshlrev_b32_e32 v16, 2, v0
	v_add_co_u32 v15, vcc_lo, v7, v15
	ds_load_b32 v17, v16 offset:5120
	v_add_co_ci_u32_e32 v16, vcc_lo, 0, v13, vcc_lo
	s_delay_alu instid0(VALU_DEP_1) | instskip(NEXT) | instid1(VALU_DEP_1)
	v_lshlrev_b64 v[15:16], 2, v[15:16]
	v_sub_co_u32 v15, vcc_lo, s1, v15
	s_delay_alu instid0(VALU_DEP_2)
	v_sub_co_ci_u32_e32 v16, vcc_lo, s0, v16, vcc_lo
	s_waitcnt lgkmcnt(0)
	global_store_b32 v[15:16], v17, off
                                        ; implicit-def: $vgpr15
.LBB152_286:
	s_and_not1_saveexec_b32 s6, s6
	s_cbranch_execz .LBB152_288
; %bb.287:
	v_lshlrev_b32_e32 v16, 2, v0
	v_lshlrev_b32_e32 v15, 2, v15
	v_readfirstlane_b32 s8, v9
	v_readfirstlane_b32 s9, v10
	ds_load_b32 v16, v16 offset:5120
	s_waitcnt lgkmcnt(0)
	global_store_b32 v15, v16, s[8:9]
.LBB152_288:
	s_or_b32 exec_lo, exec_lo, s6
                                        ; implicit-def: $vgpr15
.LBB152_289:
	s_and_not1_saveexec_b32 s5, s5
	s_cbranch_execz .LBB152_291
; %bb.290:
	v_lshlrev_b32_e32 v16, 2, v0
	v_lshlrev_b32_e32 v15, 2, v15
	v_readfirstlane_b32 s6, v11
	v_readfirstlane_b32 s7, v12
	ds_load_b32 v16, v16 offset:5120
	s_waitcnt lgkmcnt(0)
	global_store_b32 v15, v16, s[6:7]
.LBB152_291:
	s_or_b32 exec_lo, exec_lo, s3
	v_or_b32_e32 v15, 0x600, v0
	s_mov_b32 s3, exec_lo
	s_delay_alu instid0(VALU_DEP_1)
	v_cmpx_gt_u32_e64 s4, v15
	s_cbranch_execz .LBB152_300
; %bb.292:
	s_mov_b32 s5, exec_lo
	v_cmpx_le_u32_e64 v5, v15
	s_xor_b32 s5, exec_lo, s5
	s_cbranch_execz .LBB152_298
; %bb.293:
	s_mov_b32 s6, exec_lo
	v_cmpx_le_u32_e64 v14, v15
	s_xor_b32 s6, exec_lo, s6
	s_cbranch_execz .LBB152_295
; %bb.294:
	v_lshlrev_b32_e32 v16, 2, v0
	v_add_co_u32 v15, vcc_lo, v7, v15
	ds_load_b32 v17, v16 offset:6144
	v_add_co_ci_u32_e32 v16, vcc_lo, 0, v13, vcc_lo
	s_delay_alu instid0(VALU_DEP_1) | instskip(NEXT) | instid1(VALU_DEP_1)
	v_lshlrev_b64 v[15:16], 2, v[15:16]
	v_sub_co_u32 v15, vcc_lo, s1, v15
	s_delay_alu instid0(VALU_DEP_2)
	v_sub_co_ci_u32_e32 v16, vcc_lo, s0, v16, vcc_lo
	s_waitcnt lgkmcnt(0)
	global_store_b32 v[15:16], v17, off
                                        ; implicit-def: $vgpr15
.LBB152_295:
	s_and_not1_saveexec_b32 s6, s6
	s_cbranch_execz .LBB152_297
; %bb.296:
	v_lshlrev_b32_e32 v16, 2, v0
	v_lshlrev_b32_e32 v15, 2, v15
	v_readfirstlane_b32 s8, v9
	v_readfirstlane_b32 s9, v10
	ds_load_b32 v16, v16 offset:6144
	s_waitcnt lgkmcnt(0)
	global_store_b32 v15, v16, s[8:9]
.LBB152_297:
	s_or_b32 exec_lo, exec_lo, s6
                                        ; implicit-def: $vgpr15
.LBB152_298:
	s_and_not1_saveexec_b32 s5, s5
	s_cbranch_execz .LBB152_300
; %bb.299:
	v_lshlrev_b32_e32 v16, 2, v0
	v_lshlrev_b32_e32 v15, 2, v15
	v_readfirstlane_b32 s6, v11
	v_readfirstlane_b32 s7, v12
	ds_load_b32 v16, v16 offset:6144
	s_waitcnt lgkmcnt(0)
	global_store_b32 v15, v16, s[6:7]
.LBB152_300:
	;; [unrolled: 55-line block ×7, first 2 shown]
	s_or_b32 exec_lo, exec_lo, s3
	v_or_b32_e32 v15, 0xc00, v0
	s_mov_b32 s3, exec_lo
	s_delay_alu instid0(VALU_DEP_1)
	v_cmpx_gt_u32_e64 s4, v15
	s_cbranch_execz .LBB152_354
; %bb.346:
	s_mov_b32 s4, exec_lo
	v_cmpx_le_u32_e64 v5, v15
	s_xor_b32 s4, exec_lo, s4
	s_cbranch_execz .LBB152_352
; %bb.347:
	s_mov_b32 s5, exec_lo
	v_cmpx_le_u32_e64 v14, v15
	s_xor_b32 s5, exec_lo, s5
	s_cbranch_execz .LBB152_349
; %bb.348:
	v_lshlrev_b32_e32 v0, 2, v0
	v_add_co_u32 v9, vcc_lo, v7, v15
	v_add_co_ci_u32_e32 v10, vcc_lo, 0, v13, vcc_lo
	ds_load_b32 v0, v0 offset:12288
                                        ; implicit-def: $vgpr15
	v_lshlrev_b64 v[9:10], 2, v[9:10]
	s_delay_alu instid0(VALU_DEP_1) | instskip(NEXT) | instid1(VALU_DEP_2)
	v_sub_co_u32 v9, vcc_lo, s1, v9
	v_sub_co_ci_u32_e32 v10, vcc_lo, s0, v10, vcc_lo
	s_waitcnt lgkmcnt(0)
	global_store_b32 v[9:10], v0, off
                                        ; implicit-def: $vgpr0
                                        ; implicit-def: $vgpr9_vgpr10
.LBB152_349:
	s_and_not1_saveexec_b32 s0, s5
	s_cbranch_execz .LBB152_351
; %bb.350:
	v_lshlrev_b32_e32 v0, 2, v0
	v_lshlrev_b32_e32 v7, 2, v15
	v_readfirstlane_b32 s6, v9
	v_readfirstlane_b32 s7, v10
	ds_load_b32 v0, v0 offset:12288
	s_waitcnt lgkmcnt(0)
	global_store_b32 v7, v0, s[6:7]
.LBB152_351:
	s_or_b32 exec_lo, exec_lo, s0
                                        ; implicit-def: $vgpr0
                                        ; implicit-def: $vgpr15
                                        ; implicit-def: $vgpr11_vgpr12
.LBB152_352:
	s_and_not1_saveexec_b32 s0, s4
	s_cbranch_execz .LBB152_354
; %bb.353:
	v_lshlrev_b32_e32 v0, 2, v0
	v_lshlrev_b32_e32 v7, 2, v15
	v_readfirstlane_b32 s0, v11
	v_readfirstlane_b32 s1, v12
	ds_load_b32 v0, v0 offset:12288
	s_waitcnt lgkmcnt(0)
	global_store_b32 v7, v0, s[0:1]
.LBB152_354:
	s_or_b32 exec_lo, exec_lo, s3
	s_and_b32 s0, s2, s13
	s_delay_alu instid0(SALU_CYCLE_1)
	s_and_saveexec_b32 s1, s0
	s_cbranch_execz .LBB152_131
.LBB152_355:
	v_add_co_u32 v3, vcc_lo, v3, v6
	v_add_co_ci_u32_e32 v4, vcc_lo, 0, v4, vcc_lo
	v_add_co_u32 v0, vcc_lo, v1, v5
	v_add_co_ci_u32_e32 v1, vcc_lo, 0, v2, vcc_lo
	s_delay_alu instid0(VALU_DEP_4)
	v_add_co_u32 v2, vcc_lo, v3, v8
	v_mov_b32_e32 v7, 0
	v_add_co_ci_u32_e32 v3, vcc_lo, 0, v4, vcc_lo
	global_store_b128 v7, v[0:3], s[24:25]
	s_nop 0
	s_sendmsg sendmsg(MSG_DEALLOC_VGPRS)
	s_endpgm
.LBB152_356:
	v_add_nc_u32_e32 v7, s6, v27
	s_add_i32 s8, s26, 32
	s_mov_b32 s9, 0
	v_dual_mov_b32 v9, 0 :: v_dual_add_nc_u32 v6, v26, v5
	s_lshl_b64 s[8:9], s[8:9], 4
	v_and_b32_e32 v24, 0xff0000, v7
	s_add_u32 s8, s36, s8
	s_addc_u32 s9, s37, s9
	v_and_b32_e32 v8, 0xff000000, v7
	s_delay_alu instid0(VALU_DEP_1) | instskip(SKIP_2) | instid1(VALU_DEP_1)
	v_or_b32_e32 v24, v24, v8
	v_dual_mov_b32 v8, 2 :: v_dual_and_b32 v25, 0xff00, v7
	v_and_b32_e32 v7, 0xff, v7
	v_or3_b32 v7, v24, v25, v7
	v_dual_mov_b32 v25, s9 :: v_dual_mov_b32 v24, s8
	;;#ASMSTART
	global_store_dwordx4 v[24:25], v[6:9] off	
s_waitcnt vmcnt(0)
	;;#ASMEND
	s_or_b32 exec_lo, exec_lo, s7
	s_and_saveexec_b32 s7, s3
	s_cbranch_execz .LBB152_115
.LBB152_357:
	v_mov_b32_e32 v6, s6
	v_add_nc_u32_e64 v7, 0x3400, 0
	ds_store_2addr_b32 v7, v5, v6 offset1:2
	ds_store_2addr_b32 v7, v26, v27 offset0:4 offset1:6
	s_or_b32 exec_lo, exec_lo, s7
	s_delay_alu instid0(SALU_CYCLE_1)
	s_and_b32 exec_lo, exec_lo, s2
	s_cbranch_execnz .LBB152_116
	s_branch .LBB152_117
	.section	.rodata,"a",@progbits
	.p2align	6, 0x0
	.amdhsa_kernel _ZN7rocprim17ROCPRIM_400000_NS6detail17trampoline_kernelINS0_13select_configILj256ELj13ELNS0_17block_load_methodE3ELS4_3ELS4_3ELNS0_20block_scan_algorithmE0ELj4294967295EEENS1_25partition_config_selectorILNS1_17partition_subalgoE4EjNS0_10empty_typeEbEEZZNS1_14partition_implILS8_4ELb0ES6_15HIP_vector_typeIjLj2EENS0_17counting_iteratorIjlEEPS9_SG_NS0_5tupleIJPjSI_NS0_16reverse_iteratorISI_EEEEENSH_IJSG_SG_SG_EEES9_SI_JZNS1_25segmented_radix_sort_implINS0_14default_configELb0EPKhPhPKlPlN2at6native12_GLOBAL__N_18offset_tEEE10hipError_tPvRmT1_PNSt15iterator_traitsIS12_E10value_typeET2_T3_PNS13_IS18_E10value_typeET4_jRbjT5_S1E_jjP12ihipStream_tbEUljE_ZNSN_ISO_Lb0ESQ_SR_ST_SU_SY_EESZ_S10_S11_S12_S16_S17_S18_S1B_S1C_jS1D_jS1E_S1E_jjS1G_bEUljE0_EEESZ_S10_S11_S18_S1C_S1E_T6_T7_T9_mT8_S1G_bDpT10_ENKUlT_T0_E_clISt17integral_constantIbLb0EES1T_IbLb1EEEEDaS1P_S1Q_EUlS1P_E_NS1_11comp_targetILNS1_3genE9ELNS1_11target_archE1100ELNS1_3gpuE3ELNS1_3repE0EEENS1_30default_config_static_selectorELNS0_4arch9wavefront6targetE0EEEvS12_
		.amdhsa_group_segment_fixed_size 13340
		.amdhsa_private_segment_fixed_size 0
		.amdhsa_kernarg_size 184
		.amdhsa_user_sgpr_count 15
		.amdhsa_user_sgpr_dispatch_ptr 0
		.amdhsa_user_sgpr_queue_ptr 0
		.amdhsa_user_sgpr_kernarg_segment_ptr 1
		.amdhsa_user_sgpr_dispatch_id 0
		.amdhsa_user_sgpr_private_segment_size 0
		.amdhsa_wavefront_size32 1
		.amdhsa_uses_dynamic_stack 0
		.amdhsa_enable_private_segment 0
		.amdhsa_system_sgpr_workgroup_id_x 1
		.amdhsa_system_sgpr_workgroup_id_y 0
		.amdhsa_system_sgpr_workgroup_id_z 0
		.amdhsa_system_sgpr_workgroup_info 0
		.amdhsa_system_vgpr_workitem_id 0
		.amdhsa_next_free_vgpr 103
		.amdhsa_next_free_sgpr 55
		.amdhsa_reserve_vcc 1
		.amdhsa_float_round_mode_32 0
		.amdhsa_float_round_mode_16_64 0
		.amdhsa_float_denorm_mode_32 3
		.amdhsa_float_denorm_mode_16_64 3
		.amdhsa_dx10_clamp 1
		.amdhsa_ieee_mode 1
		.amdhsa_fp16_overflow 0
		.amdhsa_workgroup_processor_mode 1
		.amdhsa_memory_ordered 1
		.amdhsa_forward_progress 0
		.amdhsa_shared_vgpr_count 0
		.amdhsa_exception_fp_ieee_invalid_op 0
		.amdhsa_exception_fp_denorm_src 0
		.amdhsa_exception_fp_ieee_div_zero 0
		.amdhsa_exception_fp_ieee_overflow 0
		.amdhsa_exception_fp_ieee_underflow 0
		.amdhsa_exception_fp_ieee_inexact 0
		.amdhsa_exception_int_div_zero 0
	.end_amdhsa_kernel
	.section	.text._ZN7rocprim17ROCPRIM_400000_NS6detail17trampoline_kernelINS0_13select_configILj256ELj13ELNS0_17block_load_methodE3ELS4_3ELS4_3ELNS0_20block_scan_algorithmE0ELj4294967295EEENS1_25partition_config_selectorILNS1_17partition_subalgoE4EjNS0_10empty_typeEbEEZZNS1_14partition_implILS8_4ELb0ES6_15HIP_vector_typeIjLj2EENS0_17counting_iteratorIjlEEPS9_SG_NS0_5tupleIJPjSI_NS0_16reverse_iteratorISI_EEEEENSH_IJSG_SG_SG_EEES9_SI_JZNS1_25segmented_radix_sort_implINS0_14default_configELb0EPKhPhPKlPlN2at6native12_GLOBAL__N_18offset_tEEE10hipError_tPvRmT1_PNSt15iterator_traitsIS12_E10value_typeET2_T3_PNS13_IS18_E10value_typeET4_jRbjT5_S1E_jjP12ihipStream_tbEUljE_ZNSN_ISO_Lb0ESQ_SR_ST_SU_SY_EESZ_S10_S11_S12_S16_S17_S18_S1B_S1C_jS1D_jS1E_S1E_jjS1G_bEUljE0_EEESZ_S10_S11_S18_S1C_S1E_T6_T7_T9_mT8_S1G_bDpT10_ENKUlT_T0_E_clISt17integral_constantIbLb0EES1T_IbLb1EEEEDaS1P_S1Q_EUlS1P_E_NS1_11comp_targetILNS1_3genE9ELNS1_11target_archE1100ELNS1_3gpuE3ELNS1_3repE0EEENS1_30default_config_static_selectorELNS0_4arch9wavefront6targetE0EEEvS12_,"axG",@progbits,_ZN7rocprim17ROCPRIM_400000_NS6detail17trampoline_kernelINS0_13select_configILj256ELj13ELNS0_17block_load_methodE3ELS4_3ELS4_3ELNS0_20block_scan_algorithmE0ELj4294967295EEENS1_25partition_config_selectorILNS1_17partition_subalgoE4EjNS0_10empty_typeEbEEZZNS1_14partition_implILS8_4ELb0ES6_15HIP_vector_typeIjLj2EENS0_17counting_iteratorIjlEEPS9_SG_NS0_5tupleIJPjSI_NS0_16reverse_iteratorISI_EEEEENSH_IJSG_SG_SG_EEES9_SI_JZNS1_25segmented_radix_sort_implINS0_14default_configELb0EPKhPhPKlPlN2at6native12_GLOBAL__N_18offset_tEEE10hipError_tPvRmT1_PNSt15iterator_traitsIS12_E10value_typeET2_T3_PNS13_IS18_E10value_typeET4_jRbjT5_S1E_jjP12ihipStream_tbEUljE_ZNSN_ISO_Lb0ESQ_SR_ST_SU_SY_EESZ_S10_S11_S12_S16_S17_S18_S1B_S1C_jS1D_jS1E_S1E_jjS1G_bEUljE0_EEESZ_S10_S11_S18_S1C_S1E_T6_T7_T9_mT8_S1G_bDpT10_ENKUlT_T0_E_clISt17integral_constantIbLb0EES1T_IbLb1EEEEDaS1P_S1Q_EUlS1P_E_NS1_11comp_targetILNS1_3genE9ELNS1_11target_archE1100ELNS1_3gpuE3ELNS1_3repE0EEENS1_30default_config_static_selectorELNS0_4arch9wavefront6targetE0EEEvS12_,comdat
.Lfunc_end152:
	.size	_ZN7rocprim17ROCPRIM_400000_NS6detail17trampoline_kernelINS0_13select_configILj256ELj13ELNS0_17block_load_methodE3ELS4_3ELS4_3ELNS0_20block_scan_algorithmE0ELj4294967295EEENS1_25partition_config_selectorILNS1_17partition_subalgoE4EjNS0_10empty_typeEbEEZZNS1_14partition_implILS8_4ELb0ES6_15HIP_vector_typeIjLj2EENS0_17counting_iteratorIjlEEPS9_SG_NS0_5tupleIJPjSI_NS0_16reverse_iteratorISI_EEEEENSH_IJSG_SG_SG_EEES9_SI_JZNS1_25segmented_radix_sort_implINS0_14default_configELb0EPKhPhPKlPlN2at6native12_GLOBAL__N_18offset_tEEE10hipError_tPvRmT1_PNSt15iterator_traitsIS12_E10value_typeET2_T3_PNS13_IS18_E10value_typeET4_jRbjT5_S1E_jjP12ihipStream_tbEUljE_ZNSN_ISO_Lb0ESQ_SR_ST_SU_SY_EESZ_S10_S11_S12_S16_S17_S18_S1B_S1C_jS1D_jS1E_S1E_jjS1G_bEUljE0_EEESZ_S10_S11_S18_S1C_S1E_T6_T7_T9_mT8_S1G_bDpT10_ENKUlT_T0_E_clISt17integral_constantIbLb0EES1T_IbLb1EEEEDaS1P_S1Q_EUlS1P_E_NS1_11comp_targetILNS1_3genE9ELNS1_11target_archE1100ELNS1_3gpuE3ELNS1_3repE0EEENS1_30default_config_static_selectorELNS0_4arch9wavefront6targetE0EEEvS12_, .Lfunc_end152-_ZN7rocprim17ROCPRIM_400000_NS6detail17trampoline_kernelINS0_13select_configILj256ELj13ELNS0_17block_load_methodE3ELS4_3ELS4_3ELNS0_20block_scan_algorithmE0ELj4294967295EEENS1_25partition_config_selectorILNS1_17partition_subalgoE4EjNS0_10empty_typeEbEEZZNS1_14partition_implILS8_4ELb0ES6_15HIP_vector_typeIjLj2EENS0_17counting_iteratorIjlEEPS9_SG_NS0_5tupleIJPjSI_NS0_16reverse_iteratorISI_EEEEENSH_IJSG_SG_SG_EEES9_SI_JZNS1_25segmented_radix_sort_implINS0_14default_configELb0EPKhPhPKlPlN2at6native12_GLOBAL__N_18offset_tEEE10hipError_tPvRmT1_PNSt15iterator_traitsIS12_E10value_typeET2_T3_PNS13_IS18_E10value_typeET4_jRbjT5_S1E_jjP12ihipStream_tbEUljE_ZNSN_ISO_Lb0ESQ_SR_ST_SU_SY_EESZ_S10_S11_S12_S16_S17_S18_S1B_S1C_jS1D_jS1E_S1E_jjS1G_bEUljE0_EEESZ_S10_S11_S18_S1C_S1E_T6_T7_T9_mT8_S1G_bDpT10_ENKUlT_T0_E_clISt17integral_constantIbLb0EES1T_IbLb1EEEEDaS1P_S1Q_EUlS1P_E_NS1_11comp_targetILNS1_3genE9ELNS1_11target_archE1100ELNS1_3gpuE3ELNS1_3repE0EEENS1_30default_config_static_selectorELNS0_4arch9wavefront6targetE0EEEvS12_
                                        ; -- End function
	.section	.AMDGPU.csdata,"",@progbits
; Kernel info:
; codeLenInByte = 15060
; NumSgprs: 57
; NumVgprs: 103
; ScratchSize: 0
; MemoryBound: 0
; FloatMode: 240
; IeeeMode: 1
; LDSByteSize: 13340 bytes/workgroup (compile time only)
; SGPRBlocks: 7
; VGPRBlocks: 12
; NumSGPRsForWavesPerEU: 57
; NumVGPRsForWavesPerEU: 103
; Occupancy: 12
; WaveLimiterHint : 1
; COMPUTE_PGM_RSRC2:SCRATCH_EN: 0
; COMPUTE_PGM_RSRC2:USER_SGPR: 15
; COMPUTE_PGM_RSRC2:TRAP_HANDLER: 0
; COMPUTE_PGM_RSRC2:TGID_X_EN: 1
; COMPUTE_PGM_RSRC2:TGID_Y_EN: 0
; COMPUTE_PGM_RSRC2:TGID_Z_EN: 0
; COMPUTE_PGM_RSRC2:TIDIG_COMP_CNT: 0
	.section	.text._ZN7rocprim17ROCPRIM_400000_NS6detail17trampoline_kernelINS0_13select_configILj256ELj13ELNS0_17block_load_methodE3ELS4_3ELS4_3ELNS0_20block_scan_algorithmE0ELj4294967295EEENS1_25partition_config_selectorILNS1_17partition_subalgoE4EjNS0_10empty_typeEbEEZZNS1_14partition_implILS8_4ELb0ES6_15HIP_vector_typeIjLj2EENS0_17counting_iteratorIjlEEPS9_SG_NS0_5tupleIJPjSI_NS0_16reverse_iteratorISI_EEEEENSH_IJSG_SG_SG_EEES9_SI_JZNS1_25segmented_radix_sort_implINS0_14default_configELb0EPKhPhPKlPlN2at6native12_GLOBAL__N_18offset_tEEE10hipError_tPvRmT1_PNSt15iterator_traitsIS12_E10value_typeET2_T3_PNS13_IS18_E10value_typeET4_jRbjT5_S1E_jjP12ihipStream_tbEUljE_ZNSN_ISO_Lb0ESQ_SR_ST_SU_SY_EESZ_S10_S11_S12_S16_S17_S18_S1B_S1C_jS1D_jS1E_S1E_jjS1G_bEUljE0_EEESZ_S10_S11_S18_S1C_S1E_T6_T7_T9_mT8_S1G_bDpT10_ENKUlT_T0_E_clISt17integral_constantIbLb0EES1T_IbLb1EEEEDaS1P_S1Q_EUlS1P_E_NS1_11comp_targetILNS1_3genE8ELNS1_11target_archE1030ELNS1_3gpuE2ELNS1_3repE0EEENS1_30default_config_static_selectorELNS0_4arch9wavefront6targetE0EEEvS12_,"axG",@progbits,_ZN7rocprim17ROCPRIM_400000_NS6detail17trampoline_kernelINS0_13select_configILj256ELj13ELNS0_17block_load_methodE3ELS4_3ELS4_3ELNS0_20block_scan_algorithmE0ELj4294967295EEENS1_25partition_config_selectorILNS1_17partition_subalgoE4EjNS0_10empty_typeEbEEZZNS1_14partition_implILS8_4ELb0ES6_15HIP_vector_typeIjLj2EENS0_17counting_iteratorIjlEEPS9_SG_NS0_5tupleIJPjSI_NS0_16reverse_iteratorISI_EEEEENSH_IJSG_SG_SG_EEES9_SI_JZNS1_25segmented_radix_sort_implINS0_14default_configELb0EPKhPhPKlPlN2at6native12_GLOBAL__N_18offset_tEEE10hipError_tPvRmT1_PNSt15iterator_traitsIS12_E10value_typeET2_T3_PNS13_IS18_E10value_typeET4_jRbjT5_S1E_jjP12ihipStream_tbEUljE_ZNSN_ISO_Lb0ESQ_SR_ST_SU_SY_EESZ_S10_S11_S12_S16_S17_S18_S1B_S1C_jS1D_jS1E_S1E_jjS1G_bEUljE0_EEESZ_S10_S11_S18_S1C_S1E_T6_T7_T9_mT8_S1G_bDpT10_ENKUlT_T0_E_clISt17integral_constantIbLb0EES1T_IbLb1EEEEDaS1P_S1Q_EUlS1P_E_NS1_11comp_targetILNS1_3genE8ELNS1_11target_archE1030ELNS1_3gpuE2ELNS1_3repE0EEENS1_30default_config_static_selectorELNS0_4arch9wavefront6targetE0EEEvS12_,comdat
	.globl	_ZN7rocprim17ROCPRIM_400000_NS6detail17trampoline_kernelINS0_13select_configILj256ELj13ELNS0_17block_load_methodE3ELS4_3ELS4_3ELNS0_20block_scan_algorithmE0ELj4294967295EEENS1_25partition_config_selectorILNS1_17partition_subalgoE4EjNS0_10empty_typeEbEEZZNS1_14partition_implILS8_4ELb0ES6_15HIP_vector_typeIjLj2EENS0_17counting_iteratorIjlEEPS9_SG_NS0_5tupleIJPjSI_NS0_16reverse_iteratorISI_EEEEENSH_IJSG_SG_SG_EEES9_SI_JZNS1_25segmented_radix_sort_implINS0_14default_configELb0EPKhPhPKlPlN2at6native12_GLOBAL__N_18offset_tEEE10hipError_tPvRmT1_PNSt15iterator_traitsIS12_E10value_typeET2_T3_PNS13_IS18_E10value_typeET4_jRbjT5_S1E_jjP12ihipStream_tbEUljE_ZNSN_ISO_Lb0ESQ_SR_ST_SU_SY_EESZ_S10_S11_S12_S16_S17_S18_S1B_S1C_jS1D_jS1E_S1E_jjS1G_bEUljE0_EEESZ_S10_S11_S18_S1C_S1E_T6_T7_T9_mT8_S1G_bDpT10_ENKUlT_T0_E_clISt17integral_constantIbLb0EES1T_IbLb1EEEEDaS1P_S1Q_EUlS1P_E_NS1_11comp_targetILNS1_3genE8ELNS1_11target_archE1030ELNS1_3gpuE2ELNS1_3repE0EEENS1_30default_config_static_selectorELNS0_4arch9wavefront6targetE0EEEvS12_ ; -- Begin function _ZN7rocprim17ROCPRIM_400000_NS6detail17trampoline_kernelINS0_13select_configILj256ELj13ELNS0_17block_load_methodE3ELS4_3ELS4_3ELNS0_20block_scan_algorithmE0ELj4294967295EEENS1_25partition_config_selectorILNS1_17partition_subalgoE4EjNS0_10empty_typeEbEEZZNS1_14partition_implILS8_4ELb0ES6_15HIP_vector_typeIjLj2EENS0_17counting_iteratorIjlEEPS9_SG_NS0_5tupleIJPjSI_NS0_16reverse_iteratorISI_EEEEENSH_IJSG_SG_SG_EEES9_SI_JZNS1_25segmented_radix_sort_implINS0_14default_configELb0EPKhPhPKlPlN2at6native12_GLOBAL__N_18offset_tEEE10hipError_tPvRmT1_PNSt15iterator_traitsIS12_E10value_typeET2_T3_PNS13_IS18_E10value_typeET4_jRbjT5_S1E_jjP12ihipStream_tbEUljE_ZNSN_ISO_Lb0ESQ_SR_ST_SU_SY_EESZ_S10_S11_S12_S16_S17_S18_S1B_S1C_jS1D_jS1E_S1E_jjS1G_bEUljE0_EEESZ_S10_S11_S18_S1C_S1E_T6_T7_T9_mT8_S1G_bDpT10_ENKUlT_T0_E_clISt17integral_constantIbLb0EES1T_IbLb1EEEEDaS1P_S1Q_EUlS1P_E_NS1_11comp_targetILNS1_3genE8ELNS1_11target_archE1030ELNS1_3gpuE2ELNS1_3repE0EEENS1_30default_config_static_selectorELNS0_4arch9wavefront6targetE0EEEvS12_
	.p2align	8
	.type	_ZN7rocprim17ROCPRIM_400000_NS6detail17trampoline_kernelINS0_13select_configILj256ELj13ELNS0_17block_load_methodE3ELS4_3ELS4_3ELNS0_20block_scan_algorithmE0ELj4294967295EEENS1_25partition_config_selectorILNS1_17partition_subalgoE4EjNS0_10empty_typeEbEEZZNS1_14partition_implILS8_4ELb0ES6_15HIP_vector_typeIjLj2EENS0_17counting_iteratorIjlEEPS9_SG_NS0_5tupleIJPjSI_NS0_16reverse_iteratorISI_EEEEENSH_IJSG_SG_SG_EEES9_SI_JZNS1_25segmented_radix_sort_implINS0_14default_configELb0EPKhPhPKlPlN2at6native12_GLOBAL__N_18offset_tEEE10hipError_tPvRmT1_PNSt15iterator_traitsIS12_E10value_typeET2_T3_PNS13_IS18_E10value_typeET4_jRbjT5_S1E_jjP12ihipStream_tbEUljE_ZNSN_ISO_Lb0ESQ_SR_ST_SU_SY_EESZ_S10_S11_S12_S16_S17_S18_S1B_S1C_jS1D_jS1E_S1E_jjS1G_bEUljE0_EEESZ_S10_S11_S18_S1C_S1E_T6_T7_T9_mT8_S1G_bDpT10_ENKUlT_T0_E_clISt17integral_constantIbLb0EES1T_IbLb1EEEEDaS1P_S1Q_EUlS1P_E_NS1_11comp_targetILNS1_3genE8ELNS1_11target_archE1030ELNS1_3gpuE2ELNS1_3repE0EEENS1_30default_config_static_selectorELNS0_4arch9wavefront6targetE0EEEvS12_,@function
_ZN7rocprim17ROCPRIM_400000_NS6detail17trampoline_kernelINS0_13select_configILj256ELj13ELNS0_17block_load_methodE3ELS4_3ELS4_3ELNS0_20block_scan_algorithmE0ELj4294967295EEENS1_25partition_config_selectorILNS1_17partition_subalgoE4EjNS0_10empty_typeEbEEZZNS1_14partition_implILS8_4ELb0ES6_15HIP_vector_typeIjLj2EENS0_17counting_iteratorIjlEEPS9_SG_NS0_5tupleIJPjSI_NS0_16reverse_iteratorISI_EEEEENSH_IJSG_SG_SG_EEES9_SI_JZNS1_25segmented_radix_sort_implINS0_14default_configELb0EPKhPhPKlPlN2at6native12_GLOBAL__N_18offset_tEEE10hipError_tPvRmT1_PNSt15iterator_traitsIS12_E10value_typeET2_T3_PNS13_IS18_E10value_typeET4_jRbjT5_S1E_jjP12ihipStream_tbEUljE_ZNSN_ISO_Lb0ESQ_SR_ST_SU_SY_EESZ_S10_S11_S12_S16_S17_S18_S1B_S1C_jS1D_jS1E_S1E_jjS1G_bEUljE0_EEESZ_S10_S11_S18_S1C_S1E_T6_T7_T9_mT8_S1G_bDpT10_ENKUlT_T0_E_clISt17integral_constantIbLb0EES1T_IbLb1EEEEDaS1P_S1Q_EUlS1P_E_NS1_11comp_targetILNS1_3genE8ELNS1_11target_archE1030ELNS1_3gpuE2ELNS1_3repE0EEENS1_30default_config_static_selectorELNS0_4arch9wavefront6targetE0EEEvS12_: ; @_ZN7rocprim17ROCPRIM_400000_NS6detail17trampoline_kernelINS0_13select_configILj256ELj13ELNS0_17block_load_methodE3ELS4_3ELS4_3ELNS0_20block_scan_algorithmE0ELj4294967295EEENS1_25partition_config_selectorILNS1_17partition_subalgoE4EjNS0_10empty_typeEbEEZZNS1_14partition_implILS8_4ELb0ES6_15HIP_vector_typeIjLj2EENS0_17counting_iteratorIjlEEPS9_SG_NS0_5tupleIJPjSI_NS0_16reverse_iteratorISI_EEEEENSH_IJSG_SG_SG_EEES9_SI_JZNS1_25segmented_radix_sort_implINS0_14default_configELb0EPKhPhPKlPlN2at6native12_GLOBAL__N_18offset_tEEE10hipError_tPvRmT1_PNSt15iterator_traitsIS12_E10value_typeET2_T3_PNS13_IS18_E10value_typeET4_jRbjT5_S1E_jjP12ihipStream_tbEUljE_ZNSN_ISO_Lb0ESQ_SR_ST_SU_SY_EESZ_S10_S11_S12_S16_S17_S18_S1B_S1C_jS1D_jS1E_S1E_jjS1G_bEUljE0_EEESZ_S10_S11_S18_S1C_S1E_T6_T7_T9_mT8_S1G_bDpT10_ENKUlT_T0_E_clISt17integral_constantIbLb0EES1T_IbLb1EEEEDaS1P_S1Q_EUlS1P_E_NS1_11comp_targetILNS1_3genE8ELNS1_11target_archE1030ELNS1_3gpuE2ELNS1_3repE0EEENS1_30default_config_static_selectorELNS0_4arch9wavefront6targetE0EEEvS12_
; %bb.0:
	.section	.rodata,"a",@progbits
	.p2align	6, 0x0
	.amdhsa_kernel _ZN7rocprim17ROCPRIM_400000_NS6detail17trampoline_kernelINS0_13select_configILj256ELj13ELNS0_17block_load_methodE3ELS4_3ELS4_3ELNS0_20block_scan_algorithmE0ELj4294967295EEENS1_25partition_config_selectorILNS1_17partition_subalgoE4EjNS0_10empty_typeEbEEZZNS1_14partition_implILS8_4ELb0ES6_15HIP_vector_typeIjLj2EENS0_17counting_iteratorIjlEEPS9_SG_NS0_5tupleIJPjSI_NS0_16reverse_iteratorISI_EEEEENSH_IJSG_SG_SG_EEES9_SI_JZNS1_25segmented_radix_sort_implINS0_14default_configELb0EPKhPhPKlPlN2at6native12_GLOBAL__N_18offset_tEEE10hipError_tPvRmT1_PNSt15iterator_traitsIS12_E10value_typeET2_T3_PNS13_IS18_E10value_typeET4_jRbjT5_S1E_jjP12ihipStream_tbEUljE_ZNSN_ISO_Lb0ESQ_SR_ST_SU_SY_EESZ_S10_S11_S12_S16_S17_S18_S1B_S1C_jS1D_jS1E_S1E_jjS1G_bEUljE0_EEESZ_S10_S11_S18_S1C_S1E_T6_T7_T9_mT8_S1G_bDpT10_ENKUlT_T0_E_clISt17integral_constantIbLb0EES1T_IbLb1EEEEDaS1P_S1Q_EUlS1P_E_NS1_11comp_targetILNS1_3genE8ELNS1_11target_archE1030ELNS1_3gpuE2ELNS1_3repE0EEENS1_30default_config_static_selectorELNS0_4arch9wavefront6targetE0EEEvS12_
		.amdhsa_group_segment_fixed_size 0
		.amdhsa_private_segment_fixed_size 0
		.amdhsa_kernarg_size 184
		.amdhsa_user_sgpr_count 15
		.amdhsa_user_sgpr_dispatch_ptr 0
		.amdhsa_user_sgpr_queue_ptr 0
		.amdhsa_user_sgpr_kernarg_segment_ptr 1
		.amdhsa_user_sgpr_dispatch_id 0
		.amdhsa_user_sgpr_private_segment_size 0
		.amdhsa_wavefront_size32 1
		.amdhsa_uses_dynamic_stack 0
		.amdhsa_enable_private_segment 0
		.amdhsa_system_sgpr_workgroup_id_x 1
		.amdhsa_system_sgpr_workgroup_id_y 0
		.amdhsa_system_sgpr_workgroup_id_z 0
		.amdhsa_system_sgpr_workgroup_info 0
		.amdhsa_system_vgpr_workitem_id 0
		.amdhsa_next_free_vgpr 1
		.amdhsa_next_free_sgpr 1
		.amdhsa_reserve_vcc 0
		.amdhsa_float_round_mode_32 0
		.amdhsa_float_round_mode_16_64 0
		.amdhsa_float_denorm_mode_32 3
		.amdhsa_float_denorm_mode_16_64 3
		.amdhsa_dx10_clamp 1
		.amdhsa_ieee_mode 1
		.amdhsa_fp16_overflow 0
		.amdhsa_workgroup_processor_mode 1
		.amdhsa_memory_ordered 1
		.amdhsa_forward_progress 0
		.amdhsa_shared_vgpr_count 0
		.amdhsa_exception_fp_ieee_invalid_op 0
		.amdhsa_exception_fp_denorm_src 0
		.amdhsa_exception_fp_ieee_div_zero 0
		.amdhsa_exception_fp_ieee_overflow 0
		.amdhsa_exception_fp_ieee_underflow 0
		.amdhsa_exception_fp_ieee_inexact 0
		.amdhsa_exception_int_div_zero 0
	.end_amdhsa_kernel
	.section	.text._ZN7rocprim17ROCPRIM_400000_NS6detail17trampoline_kernelINS0_13select_configILj256ELj13ELNS0_17block_load_methodE3ELS4_3ELS4_3ELNS0_20block_scan_algorithmE0ELj4294967295EEENS1_25partition_config_selectorILNS1_17partition_subalgoE4EjNS0_10empty_typeEbEEZZNS1_14partition_implILS8_4ELb0ES6_15HIP_vector_typeIjLj2EENS0_17counting_iteratorIjlEEPS9_SG_NS0_5tupleIJPjSI_NS0_16reverse_iteratorISI_EEEEENSH_IJSG_SG_SG_EEES9_SI_JZNS1_25segmented_radix_sort_implINS0_14default_configELb0EPKhPhPKlPlN2at6native12_GLOBAL__N_18offset_tEEE10hipError_tPvRmT1_PNSt15iterator_traitsIS12_E10value_typeET2_T3_PNS13_IS18_E10value_typeET4_jRbjT5_S1E_jjP12ihipStream_tbEUljE_ZNSN_ISO_Lb0ESQ_SR_ST_SU_SY_EESZ_S10_S11_S12_S16_S17_S18_S1B_S1C_jS1D_jS1E_S1E_jjS1G_bEUljE0_EEESZ_S10_S11_S18_S1C_S1E_T6_T7_T9_mT8_S1G_bDpT10_ENKUlT_T0_E_clISt17integral_constantIbLb0EES1T_IbLb1EEEEDaS1P_S1Q_EUlS1P_E_NS1_11comp_targetILNS1_3genE8ELNS1_11target_archE1030ELNS1_3gpuE2ELNS1_3repE0EEENS1_30default_config_static_selectorELNS0_4arch9wavefront6targetE0EEEvS12_,"axG",@progbits,_ZN7rocprim17ROCPRIM_400000_NS6detail17trampoline_kernelINS0_13select_configILj256ELj13ELNS0_17block_load_methodE3ELS4_3ELS4_3ELNS0_20block_scan_algorithmE0ELj4294967295EEENS1_25partition_config_selectorILNS1_17partition_subalgoE4EjNS0_10empty_typeEbEEZZNS1_14partition_implILS8_4ELb0ES6_15HIP_vector_typeIjLj2EENS0_17counting_iteratorIjlEEPS9_SG_NS0_5tupleIJPjSI_NS0_16reverse_iteratorISI_EEEEENSH_IJSG_SG_SG_EEES9_SI_JZNS1_25segmented_radix_sort_implINS0_14default_configELb0EPKhPhPKlPlN2at6native12_GLOBAL__N_18offset_tEEE10hipError_tPvRmT1_PNSt15iterator_traitsIS12_E10value_typeET2_T3_PNS13_IS18_E10value_typeET4_jRbjT5_S1E_jjP12ihipStream_tbEUljE_ZNSN_ISO_Lb0ESQ_SR_ST_SU_SY_EESZ_S10_S11_S12_S16_S17_S18_S1B_S1C_jS1D_jS1E_S1E_jjS1G_bEUljE0_EEESZ_S10_S11_S18_S1C_S1E_T6_T7_T9_mT8_S1G_bDpT10_ENKUlT_T0_E_clISt17integral_constantIbLb0EES1T_IbLb1EEEEDaS1P_S1Q_EUlS1P_E_NS1_11comp_targetILNS1_3genE8ELNS1_11target_archE1030ELNS1_3gpuE2ELNS1_3repE0EEENS1_30default_config_static_selectorELNS0_4arch9wavefront6targetE0EEEvS12_,comdat
.Lfunc_end153:
	.size	_ZN7rocprim17ROCPRIM_400000_NS6detail17trampoline_kernelINS0_13select_configILj256ELj13ELNS0_17block_load_methodE3ELS4_3ELS4_3ELNS0_20block_scan_algorithmE0ELj4294967295EEENS1_25partition_config_selectorILNS1_17partition_subalgoE4EjNS0_10empty_typeEbEEZZNS1_14partition_implILS8_4ELb0ES6_15HIP_vector_typeIjLj2EENS0_17counting_iteratorIjlEEPS9_SG_NS0_5tupleIJPjSI_NS0_16reverse_iteratorISI_EEEEENSH_IJSG_SG_SG_EEES9_SI_JZNS1_25segmented_radix_sort_implINS0_14default_configELb0EPKhPhPKlPlN2at6native12_GLOBAL__N_18offset_tEEE10hipError_tPvRmT1_PNSt15iterator_traitsIS12_E10value_typeET2_T3_PNS13_IS18_E10value_typeET4_jRbjT5_S1E_jjP12ihipStream_tbEUljE_ZNSN_ISO_Lb0ESQ_SR_ST_SU_SY_EESZ_S10_S11_S12_S16_S17_S18_S1B_S1C_jS1D_jS1E_S1E_jjS1G_bEUljE0_EEESZ_S10_S11_S18_S1C_S1E_T6_T7_T9_mT8_S1G_bDpT10_ENKUlT_T0_E_clISt17integral_constantIbLb0EES1T_IbLb1EEEEDaS1P_S1Q_EUlS1P_E_NS1_11comp_targetILNS1_3genE8ELNS1_11target_archE1030ELNS1_3gpuE2ELNS1_3repE0EEENS1_30default_config_static_selectorELNS0_4arch9wavefront6targetE0EEEvS12_, .Lfunc_end153-_ZN7rocprim17ROCPRIM_400000_NS6detail17trampoline_kernelINS0_13select_configILj256ELj13ELNS0_17block_load_methodE3ELS4_3ELS4_3ELNS0_20block_scan_algorithmE0ELj4294967295EEENS1_25partition_config_selectorILNS1_17partition_subalgoE4EjNS0_10empty_typeEbEEZZNS1_14partition_implILS8_4ELb0ES6_15HIP_vector_typeIjLj2EENS0_17counting_iteratorIjlEEPS9_SG_NS0_5tupleIJPjSI_NS0_16reverse_iteratorISI_EEEEENSH_IJSG_SG_SG_EEES9_SI_JZNS1_25segmented_radix_sort_implINS0_14default_configELb0EPKhPhPKlPlN2at6native12_GLOBAL__N_18offset_tEEE10hipError_tPvRmT1_PNSt15iterator_traitsIS12_E10value_typeET2_T3_PNS13_IS18_E10value_typeET4_jRbjT5_S1E_jjP12ihipStream_tbEUljE_ZNSN_ISO_Lb0ESQ_SR_ST_SU_SY_EESZ_S10_S11_S12_S16_S17_S18_S1B_S1C_jS1D_jS1E_S1E_jjS1G_bEUljE0_EEESZ_S10_S11_S18_S1C_S1E_T6_T7_T9_mT8_S1G_bDpT10_ENKUlT_T0_E_clISt17integral_constantIbLb0EES1T_IbLb1EEEEDaS1P_S1Q_EUlS1P_E_NS1_11comp_targetILNS1_3genE8ELNS1_11target_archE1030ELNS1_3gpuE2ELNS1_3repE0EEENS1_30default_config_static_selectorELNS0_4arch9wavefront6targetE0EEEvS12_
                                        ; -- End function
	.section	.AMDGPU.csdata,"",@progbits
; Kernel info:
; codeLenInByte = 0
; NumSgprs: 0
; NumVgprs: 0
; ScratchSize: 0
; MemoryBound: 0
; FloatMode: 240
; IeeeMode: 1
; LDSByteSize: 0 bytes/workgroup (compile time only)
; SGPRBlocks: 0
; VGPRBlocks: 0
; NumSGPRsForWavesPerEU: 1
; NumVGPRsForWavesPerEU: 1
; Occupancy: 16
; WaveLimiterHint : 0
; COMPUTE_PGM_RSRC2:SCRATCH_EN: 0
; COMPUTE_PGM_RSRC2:USER_SGPR: 15
; COMPUTE_PGM_RSRC2:TRAP_HANDLER: 0
; COMPUTE_PGM_RSRC2:TGID_X_EN: 1
; COMPUTE_PGM_RSRC2:TGID_Y_EN: 0
; COMPUTE_PGM_RSRC2:TGID_Z_EN: 0
; COMPUTE_PGM_RSRC2:TIDIG_COMP_CNT: 0
	.section	.text._ZN7rocprim17ROCPRIM_400000_NS6detail17trampoline_kernelINS0_13select_configILj256ELj13ELNS0_17block_load_methodE3ELS4_3ELS4_3ELNS0_20block_scan_algorithmE0ELj4294967295EEENS1_25partition_config_selectorILNS1_17partition_subalgoE3EjNS0_10empty_typeEbEEZZNS1_14partition_implILS8_3ELb0ES6_jNS0_17counting_iteratorIjlEEPS9_SE_NS0_5tupleIJPjSE_EEENSF_IJSE_SE_EEES9_SG_JZNS1_25segmented_radix_sort_implINS0_14default_configELb0EPKhPhPKlPlN2at6native12_GLOBAL__N_18offset_tEEE10hipError_tPvRmT1_PNSt15iterator_traitsISY_E10value_typeET2_T3_PNSZ_IS14_E10value_typeET4_jRbjT5_S1A_jjP12ihipStream_tbEUljE_EEESV_SW_SX_S14_S18_S1A_T6_T7_T9_mT8_S1C_bDpT10_ENKUlT_T0_E_clISt17integral_constantIbLb0EES1P_EEDaS1K_S1L_EUlS1K_E_NS1_11comp_targetILNS1_3genE0ELNS1_11target_archE4294967295ELNS1_3gpuE0ELNS1_3repE0EEENS1_30default_config_static_selectorELNS0_4arch9wavefront6targetE0EEEvSY_,"axG",@progbits,_ZN7rocprim17ROCPRIM_400000_NS6detail17trampoline_kernelINS0_13select_configILj256ELj13ELNS0_17block_load_methodE3ELS4_3ELS4_3ELNS0_20block_scan_algorithmE0ELj4294967295EEENS1_25partition_config_selectorILNS1_17partition_subalgoE3EjNS0_10empty_typeEbEEZZNS1_14partition_implILS8_3ELb0ES6_jNS0_17counting_iteratorIjlEEPS9_SE_NS0_5tupleIJPjSE_EEENSF_IJSE_SE_EEES9_SG_JZNS1_25segmented_radix_sort_implINS0_14default_configELb0EPKhPhPKlPlN2at6native12_GLOBAL__N_18offset_tEEE10hipError_tPvRmT1_PNSt15iterator_traitsISY_E10value_typeET2_T3_PNSZ_IS14_E10value_typeET4_jRbjT5_S1A_jjP12ihipStream_tbEUljE_EEESV_SW_SX_S14_S18_S1A_T6_T7_T9_mT8_S1C_bDpT10_ENKUlT_T0_E_clISt17integral_constantIbLb0EES1P_EEDaS1K_S1L_EUlS1K_E_NS1_11comp_targetILNS1_3genE0ELNS1_11target_archE4294967295ELNS1_3gpuE0ELNS1_3repE0EEENS1_30default_config_static_selectorELNS0_4arch9wavefront6targetE0EEEvSY_,comdat
	.globl	_ZN7rocprim17ROCPRIM_400000_NS6detail17trampoline_kernelINS0_13select_configILj256ELj13ELNS0_17block_load_methodE3ELS4_3ELS4_3ELNS0_20block_scan_algorithmE0ELj4294967295EEENS1_25partition_config_selectorILNS1_17partition_subalgoE3EjNS0_10empty_typeEbEEZZNS1_14partition_implILS8_3ELb0ES6_jNS0_17counting_iteratorIjlEEPS9_SE_NS0_5tupleIJPjSE_EEENSF_IJSE_SE_EEES9_SG_JZNS1_25segmented_radix_sort_implINS0_14default_configELb0EPKhPhPKlPlN2at6native12_GLOBAL__N_18offset_tEEE10hipError_tPvRmT1_PNSt15iterator_traitsISY_E10value_typeET2_T3_PNSZ_IS14_E10value_typeET4_jRbjT5_S1A_jjP12ihipStream_tbEUljE_EEESV_SW_SX_S14_S18_S1A_T6_T7_T9_mT8_S1C_bDpT10_ENKUlT_T0_E_clISt17integral_constantIbLb0EES1P_EEDaS1K_S1L_EUlS1K_E_NS1_11comp_targetILNS1_3genE0ELNS1_11target_archE4294967295ELNS1_3gpuE0ELNS1_3repE0EEENS1_30default_config_static_selectorELNS0_4arch9wavefront6targetE0EEEvSY_ ; -- Begin function _ZN7rocprim17ROCPRIM_400000_NS6detail17trampoline_kernelINS0_13select_configILj256ELj13ELNS0_17block_load_methodE3ELS4_3ELS4_3ELNS0_20block_scan_algorithmE0ELj4294967295EEENS1_25partition_config_selectorILNS1_17partition_subalgoE3EjNS0_10empty_typeEbEEZZNS1_14partition_implILS8_3ELb0ES6_jNS0_17counting_iteratorIjlEEPS9_SE_NS0_5tupleIJPjSE_EEENSF_IJSE_SE_EEES9_SG_JZNS1_25segmented_radix_sort_implINS0_14default_configELb0EPKhPhPKlPlN2at6native12_GLOBAL__N_18offset_tEEE10hipError_tPvRmT1_PNSt15iterator_traitsISY_E10value_typeET2_T3_PNSZ_IS14_E10value_typeET4_jRbjT5_S1A_jjP12ihipStream_tbEUljE_EEESV_SW_SX_S14_S18_S1A_T6_T7_T9_mT8_S1C_bDpT10_ENKUlT_T0_E_clISt17integral_constantIbLb0EES1P_EEDaS1K_S1L_EUlS1K_E_NS1_11comp_targetILNS1_3genE0ELNS1_11target_archE4294967295ELNS1_3gpuE0ELNS1_3repE0EEENS1_30default_config_static_selectorELNS0_4arch9wavefront6targetE0EEEvSY_
	.p2align	8
	.type	_ZN7rocprim17ROCPRIM_400000_NS6detail17trampoline_kernelINS0_13select_configILj256ELj13ELNS0_17block_load_methodE3ELS4_3ELS4_3ELNS0_20block_scan_algorithmE0ELj4294967295EEENS1_25partition_config_selectorILNS1_17partition_subalgoE3EjNS0_10empty_typeEbEEZZNS1_14partition_implILS8_3ELb0ES6_jNS0_17counting_iteratorIjlEEPS9_SE_NS0_5tupleIJPjSE_EEENSF_IJSE_SE_EEES9_SG_JZNS1_25segmented_radix_sort_implINS0_14default_configELb0EPKhPhPKlPlN2at6native12_GLOBAL__N_18offset_tEEE10hipError_tPvRmT1_PNSt15iterator_traitsISY_E10value_typeET2_T3_PNSZ_IS14_E10value_typeET4_jRbjT5_S1A_jjP12ihipStream_tbEUljE_EEESV_SW_SX_S14_S18_S1A_T6_T7_T9_mT8_S1C_bDpT10_ENKUlT_T0_E_clISt17integral_constantIbLb0EES1P_EEDaS1K_S1L_EUlS1K_E_NS1_11comp_targetILNS1_3genE0ELNS1_11target_archE4294967295ELNS1_3gpuE0ELNS1_3repE0EEENS1_30default_config_static_selectorELNS0_4arch9wavefront6targetE0EEEvSY_,@function
_ZN7rocprim17ROCPRIM_400000_NS6detail17trampoline_kernelINS0_13select_configILj256ELj13ELNS0_17block_load_methodE3ELS4_3ELS4_3ELNS0_20block_scan_algorithmE0ELj4294967295EEENS1_25partition_config_selectorILNS1_17partition_subalgoE3EjNS0_10empty_typeEbEEZZNS1_14partition_implILS8_3ELb0ES6_jNS0_17counting_iteratorIjlEEPS9_SE_NS0_5tupleIJPjSE_EEENSF_IJSE_SE_EEES9_SG_JZNS1_25segmented_radix_sort_implINS0_14default_configELb0EPKhPhPKlPlN2at6native12_GLOBAL__N_18offset_tEEE10hipError_tPvRmT1_PNSt15iterator_traitsISY_E10value_typeET2_T3_PNSZ_IS14_E10value_typeET4_jRbjT5_S1A_jjP12ihipStream_tbEUljE_EEESV_SW_SX_S14_S18_S1A_T6_T7_T9_mT8_S1C_bDpT10_ENKUlT_T0_E_clISt17integral_constantIbLb0EES1P_EEDaS1K_S1L_EUlS1K_E_NS1_11comp_targetILNS1_3genE0ELNS1_11target_archE4294967295ELNS1_3gpuE0ELNS1_3repE0EEENS1_30default_config_static_selectorELNS0_4arch9wavefront6targetE0EEEvSY_: ; @_ZN7rocprim17ROCPRIM_400000_NS6detail17trampoline_kernelINS0_13select_configILj256ELj13ELNS0_17block_load_methodE3ELS4_3ELS4_3ELNS0_20block_scan_algorithmE0ELj4294967295EEENS1_25partition_config_selectorILNS1_17partition_subalgoE3EjNS0_10empty_typeEbEEZZNS1_14partition_implILS8_3ELb0ES6_jNS0_17counting_iteratorIjlEEPS9_SE_NS0_5tupleIJPjSE_EEENSF_IJSE_SE_EEES9_SG_JZNS1_25segmented_radix_sort_implINS0_14default_configELb0EPKhPhPKlPlN2at6native12_GLOBAL__N_18offset_tEEE10hipError_tPvRmT1_PNSt15iterator_traitsISY_E10value_typeET2_T3_PNSZ_IS14_E10value_typeET4_jRbjT5_S1A_jjP12ihipStream_tbEUljE_EEESV_SW_SX_S14_S18_S1A_T6_T7_T9_mT8_S1C_bDpT10_ENKUlT_T0_E_clISt17integral_constantIbLb0EES1P_EEDaS1K_S1L_EUlS1K_E_NS1_11comp_targetILNS1_3genE0ELNS1_11target_archE4294967295ELNS1_3gpuE0ELNS1_3repE0EEENS1_30default_config_static_selectorELNS0_4arch9wavefront6targetE0EEEvSY_
; %bb.0:
	.section	.rodata,"a",@progbits
	.p2align	6, 0x0
	.amdhsa_kernel _ZN7rocprim17ROCPRIM_400000_NS6detail17trampoline_kernelINS0_13select_configILj256ELj13ELNS0_17block_load_methodE3ELS4_3ELS4_3ELNS0_20block_scan_algorithmE0ELj4294967295EEENS1_25partition_config_selectorILNS1_17partition_subalgoE3EjNS0_10empty_typeEbEEZZNS1_14partition_implILS8_3ELb0ES6_jNS0_17counting_iteratorIjlEEPS9_SE_NS0_5tupleIJPjSE_EEENSF_IJSE_SE_EEES9_SG_JZNS1_25segmented_radix_sort_implINS0_14default_configELb0EPKhPhPKlPlN2at6native12_GLOBAL__N_18offset_tEEE10hipError_tPvRmT1_PNSt15iterator_traitsISY_E10value_typeET2_T3_PNSZ_IS14_E10value_typeET4_jRbjT5_S1A_jjP12ihipStream_tbEUljE_EEESV_SW_SX_S14_S18_S1A_T6_T7_T9_mT8_S1C_bDpT10_ENKUlT_T0_E_clISt17integral_constantIbLb0EES1P_EEDaS1K_S1L_EUlS1K_E_NS1_11comp_targetILNS1_3genE0ELNS1_11target_archE4294967295ELNS1_3gpuE0ELNS1_3repE0EEENS1_30default_config_static_selectorELNS0_4arch9wavefront6targetE0EEEvSY_
		.amdhsa_group_segment_fixed_size 0
		.amdhsa_private_segment_fixed_size 0
		.amdhsa_kernarg_size 144
		.amdhsa_user_sgpr_count 15
		.amdhsa_user_sgpr_dispatch_ptr 0
		.amdhsa_user_sgpr_queue_ptr 0
		.amdhsa_user_sgpr_kernarg_segment_ptr 1
		.amdhsa_user_sgpr_dispatch_id 0
		.amdhsa_user_sgpr_private_segment_size 0
		.amdhsa_wavefront_size32 1
		.amdhsa_uses_dynamic_stack 0
		.amdhsa_enable_private_segment 0
		.amdhsa_system_sgpr_workgroup_id_x 1
		.amdhsa_system_sgpr_workgroup_id_y 0
		.amdhsa_system_sgpr_workgroup_id_z 0
		.amdhsa_system_sgpr_workgroup_info 0
		.amdhsa_system_vgpr_workitem_id 0
		.amdhsa_next_free_vgpr 1
		.amdhsa_next_free_sgpr 1
		.amdhsa_reserve_vcc 0
		.amdhsa_float_round_mode_32 0
		.amdhsa_float_round_mode_16_64 0
		.amdhsa_float_denorm_mode_32 3
		.amdhsa_float_denorm_mode_16_64 3
		.amdhsa_dx10_clamp 1
		.amdhsa_ieee_mode 1
		.amdhsa_fp16_overflow 0
		.amdhsa_workgroup_processor_mode 1
		.amdhsa_memory_ordered 1
		.amdhsa_forward_progress 0
		.amdhsa_shared_vgpr_count 0
		.amdhsa_exception_fp_ieee_invalid_op 0
		.amdhsa_exception_fp_denorm_src 0
		.amdhsa_exception_fp_ieee_div_zero 0
		.amdhsa_exception_fp_ieee_overflow 0
		.amdhsa_exception_fp_ieee_underflow 0
		.amdhsa_exception_fp_ieee_inexact 0
		.amdhsa_exception_int_div_zero 0
	.end_amdhsa_kernel
	.section	.text._ZN7rocprim17ROCPRIM_400000_NS6detail17trampoline_kernelINS0_13select_configILj256ELj13ELNS0_17block_load_methodE3ELS4_3ELS4_3ELNS0_20block_scan_algorithmE0ELj4294967295EEENS1_25partition_config_selectorILNS1_17partition_subalgoE3EjNS0_10empty_typeEbEEZZNS1_14partition_implILS8_3ELb0ES6_jNS0_17counting_iteratorIjlEEPS9_SE_NS0_5tupleIJPjSE_EEENSF_IJSE_SE_EEES9_SG_JZNS1_25segmented_radix_sort_implINS0_14default_configELb0EPKhPhPKlPlN2at6native12_GLOBAL__N_18offset_tEEE10hipError_tPvRmT1_PNSt15iterator_traitsISY_E10value_typeET2_T3_PNSZ_IS14_E10value_typeET4_jRbjT5_S1A_jjP12ihipStream_tbEUljE_EEESV_SW_SX_S14_S18_S1A_T6_T7_T9_mT8_S1C_bDpT10_ENKUlT_T0_E_clISt17integral_constantIbLb0EES1P_EEDaS1K_S1L_EUlS1K_E_NS1_11comp_targetILNS1_3genE0ELNS1_11target_archE4294967295ELNS1_3gpuE0ELNS1_3repE0EEENS1_30default_config_static_selectorELNS0_4arch9wavefront6targetE0EEEvSY_,"axG",@progbits,_ZN7rocprim17ROCPRIM_400000_NS6detail17trampoline_kernelINS0_13select_configILj256ELj13ELNS0_17block_load_methodE3ELS4_3ELS4_3ELNS0_20block_scan_algorithmE0ELj4294967295EEENS1_25partition_config_selectorILNS1_17partition_subalgoE3EjNS0_10empty_typeEbEEZZNS1_14partition_implILS8_3ELb0ES6_jNS0_17counting_iteratorIjlEEPS9_SE_NS0_5tupleIJPjSE_EEENSF_IJSE_SE_EEES9_SG_JZNS1_25segmented_radix_sort_implINS0_14default_configELb0EPKhPhPKlPlN2at6native12_GLOBAL__N_18offset_tEEE10hipError_tPvRmT1_PNSt15iterator_traitsISY_E10value_typeET2_T3_PNSZ_IS14_E10value_typeET4_jRbjT5_S1A_jjP12ihipStream_tbEUljE_EEESV_SW_SX_S14_S18_S1A_T6_T7_T9_mT8_S1C_bDpT10_ENKUlT_T0_E_clISt17integral_constantIbLb0EES1P_EEDaS1K_S1L_EUlS1K_E_NS1_11comp_targetILNS1_3genE0ELNS1_11target_archE4294967295ELNS1_3gpuE0ELNS1_3repE0EEENS1_30default_config_static_selectorELNS0_4arch9wavefront6targetE0EEEvSY_,comdat
.Lfunc_end154:
	.size	_ZN7rocprim17ROCPRIM_400000_NS6detail17trampoline_kernelINS0_13select_configILj256ELj13ELNS0_17block_load_methodE3ELS4_3ELS4_3ELNS0_20block_scan_algorithmE0ELj4294967295EEENS1_25partition_config_selectorILNS1_17partition_subalgoE3EjNS0_10empty_typeEbEEZZNS1_14partition_implILS8_3ELb0ES6_jNS0_17counting_iteratorIjlEEPS9_SE_NS0_5tupleIJPjSE_EEENSF_IJSE_SE_EEES9_SG_JZNS1_25segmented_radix_sort_implINS0_14default_configELb0EPKhPhPKlPlN2at6native12_GLOBAL__N_18offset_tEEE10hipError_tPvRmT1_PNSt15iterator_traitsISY_E10value_typeET2_T3_PNSZ_IS14_E10value_typeET4_jRbjT5_S1A_jjP12ihipStream_tbEUljE_EEESV_SW_SX_S14_S18_S1A_T6_T7_T9_mT8_S1C_bDpT10_ENKUlT_T0_E_clISt17integral_constantIbLb0EES1P_EEDaS1K_S1L_EUlS1K_E_NS1_11comp_targetILNS1_3genE0ELNS1_11target_archE4294967295ELNS1_3gpuE0ELNS1_3repE0EEENS1_30default_config_static_selectorELNS0_4arch9wavefront6targetE0EEEvSY_, .Lfunc_end154-_ZN7rocprim17ROCPRIM_400000_NS6detail17trampoline_kernelINS0_13select_configILj256ELj13ELNS0_17block_load_methodE3ELS4_3ELS4_3ELNS0_20block_scan_algorithmE0ELj4294967295EEENS1_25partition_config_selectorILNS1_17partition_subalgoE3EjNS0_10empty_typeEbEEZZNS1_14partition_implILS8_3ELb0ES6_jNS0_17counting_iteratorIjlEEPS9_SE_NS0_5tupleIJPjSE_EEENSF_IJSE_SE_EEES9_SG_JZNS1_25segmented_radix_sort_implINS0_14default_configELb0EPKhPhPKlPlN2at6native12_GLOBAL__N_18offset_tEEE10hipError_tPvRmT1_PNSt15iterator_traitsISY_E10value_typeET2_T3_PNSZ_IS14_E10value_typeET4_jRbjT5_S1A_jjP12ihipStream_tbEUljE_EEESV_SW_SX_S14_S18_S1A_T6_T7_T9_mT8_S1C_bDpT10_ENKUlT_T0_E_clISt17integral_constantIbLb0EES1P_EEDaS1K_S1L_EUlS1K_E_NS1_11comp_targetILNS1_3genE0ELNS1_11target_archE4294967295ELNS1_3gpuE0ELNS1_3repE0EEENS1_30default_config_static_selectorELNS0_4arch9wavefront6targetE0EEEvSY_
                                        ; -- End function
	.section	.AMDGPU.csdata,"",@progbits
; Kernel info:
; codeLenInByte = 0
; NumSgprs: 0
; NumVgprs: 0
; ScratchSize: 0
; MemoryBound: 0
; FloatMode: 240
; IeeeMode: 1
; LDSByteSize: 0 bytes/workgroup (compile time only)
; SGPRBlocks: 0
; VGPRBlocks: 0
; NumSGPRsForWavesPerEU: 1
; NumVGPRsForWavesPerEU: 1
; Occupancy: 16
; WaveLimiterHint : 0
; COMPUTE_PGM_RSRC2:SCRATCH_EN: 0
; COMPUTE_PGM_RSRC2:USER_SGPR: 15
; COMPUTE_PGM_RSRC2:TRAP_HANDLER: 0
; COMPUTE_PGM_RSRC2:TGID_X_EN: 1
; COMPUTE_PGM_RSRC2:TGID_Y_EN: 0
; COMPUTE_PGM_RSRC2:TGID_Z_EN: 0
; COMPUTE_PGM_RSRC2:TIDIG_COMP_CNT: 0
	.section	.text._ZN7rocprim17ROCPRIM_400000_NS6detail17trampoline_kernelINS0_13select_configILj256ELj13ELNS0_17block_load_methodE3ELS4_3ELS4_3ELNS0_20block_scan_algorithmE0ELj4294967295EEENS1_25partition_config_selectorILNS1_17partition_subalgoE3EjNS0_10empty_typeEbEEZZNS1_14partition_implILS8_3ELb0ES6_jNS0_17counting_iteratorIjlEEPS9_SE_NS0_5tupleIJPjSE_EEENSF_IJSE_SE_EEES9_SG_JZNS1_25segmented_radix_sort_implINS0_14default_configELb0EPKhPhPKlPlN2at6native12_GLOBAL__N_18offset_tEEE10hipError_tPvRmT1_PNSt15iterator_traitsISY_E10value_typeET2_T3_PNSZ_IS14_E10value_typeET4_jRbjT5_S1A_jjP12ihipStream_tbEUljE_EEESV_SW_SX_S14_S18_S1A_T6_T7_T9_mT8_S1C_bDpT10_ENKUlT_T0_E_clISt17integral_constantIbLb0EES1P_EEDaS1K_S1L_EUlS1K_E_NS1_11comp_targetILNS1_3genE5ELNS1_11target_archE942ELNS1_3gpuE9ELNS1_3repE0EEENS1_30default_config_static_selectorELNS0_4arch9wavefront6targetE0EEEvSY_,"axG",@progbits,_ZN7rocprim17ROCPRIM_400000_NS6detail17trampoline_kernelINS0_13select_configILj256ELj13ELNS0_17block_load_methodE3ELS4_3ELS4_3ELNS0_20block_scan_algorithmE0ELj4294967295EEENS1_25partition_config_selectorILNS1_17partition_subalgoE3EjNS0_10empty_typeEbEEZZNS1_14partition_implILS8_3ELb0ES6_jNS0_17counting_iteratorIjlEEPS9_SE_NS0_5tupleIJPjSE_EEENSF_IJSE_SE_EEES9_SG_JZNS1_25segmented_radix_sort_implINS0_14default_configELb0EPKhPhPKlPlN2at6native12_GLOBAL__N_18offset_tEEE10hipError_tPvRmT1_PNSt15iterator_traitsISY_E10value_typeET2_T3_PNSZ_IS14_E10value_typeET4_jRbjT5_S1A_jjP12ihipStream_tbEUljE_EEESV_SW_SX_S14_S18_S1A_T6_T7_T9_mT8_S1C_bDpT10_ENKUlT_T0_E_clISt17integral_constantIbLb0EES1P_EEDaS1K_S1L_EUlS1K_E_NS1_11comp_targetILNS1_3genE5ELNS1_11target_archE942ELNS1_3gpuE9ELNS1_3repE0EEENS1_30default_config_static_selectorELNS0_4arch9wavefront6targetE0EEEvSY_,comdat
	.globl	_ZN7rocprim17ROCPRIM_400000_NS6detail17trampoline_kernelINS0_13select_configILj256ELj13ELNS0_17block_load_methodE3ELS4_3ELS4_3ELNS0_20block_scan_algorithmE0ELj4294967295EEENS1_25partition_config_selectorILNS1_17partition_subalgoE3EjNS0_10empty_typeEbEEZZNS1_14partition_implILS8_3ELb0ES6_jNS0_17counting_iteratorIjlEEPS9_SE_NS0_5tupleIJPjSE_EEENSF_IJSE_SE_EEES9_SG_JZNS1_25segmented_radix_sort_implINS0_14default_configELb0EPKhPhPKlPlN2at6native12_GLOBAL__N_18offset_tEEE10hipError_tPvRmT1_PNSt15iterator_traitsISY_E10value_typeET2_T3_PNSZ_IS14_E10value_typeET4_jRbjT5_S1A_jjP12ihipStream_tbEUljE_EEESV_SW_SX_S14_S18_S1A_T6_T7_T9_mT8_S1C_bDpT10_ENKUlT_T0_E_clISt17integral_constantIbLb0EES1P_EEDaS1K_S1L_EUlS1K_E_NS1_11comp_targetILNS1_3genE5ELNS1_11target_archE942ELNS1_3gpuE9ELNS1_3repE0EEENS1_30default_config_static_selectorELNS0_4arch9wavefront6targetE0EEEvSY_ ; -- Begin function _ZN7rocprim17ROCPRIM_400000_NS6detail17trampoline_kernelINS0_13select_configILj256ELj13ELNS0_17block_load_methodE3ELS4_3ELS4_3ELNS0_20block_scan_algorithmE0ELj4294967295EEENS1_25partition_config_selectorILNS1_17partition_subalgoE3EjNS0_10empty_typeEbEEZZNS1_14partition_implILS8_3ELb0ES6_jNS0_17counting_iteratorIjlEEPS9_SE_NS0_5tupleIJPjSE_EEENSF_IJSE_SE_EEES9_SG_JZNS1_25segmented_radix_sort_implINS0_14default_configELb0EPKhPhPKlPlN2at6native12_GLOBAL__N_18offset_tEEE10hipError_tPvRmT1_PNSt15iterator_traitsISY_E10value_typeET2_T3_PNSZ_IS14_E10value_typeET4_jRbjT5_S1A_jjP12ihipStream_tbEUljE_EEESV_SW_SX_S14_S18_S1A_T6_T7_T9_mT8_S1C_bDpT10_ENKUlT_T0_E_clISt17integral_constantIbLb0EES1P_EEDaS1K_S1L_EUlS1K_E_NS1_11comp_targetILNS1_3genE5ELNS1_11target_archE942ELNS1_3gpuE9ELNS1_3repE0EEENS1_30default_config_static_selectorELNS0_4arch9wavefront6targetE0EEEvSY_
	.p2align	8
	.type	_ZN7rocprim17ROCPRIM_400000_NS6detail17trampoline_kernelINS0_13select_configILj256ELj13ELNS0_17block_load_methodE3ELS4_3ELS4_3ELNS0_20block_scan_algorithmE0ELj4294967295EEENS1_25partition_config_selectorILNS1_17partition_subalgoE3EjNS0_10empty_typeEbEEZZNS1_14partition_implILS8_3ELb0ES6_jNS0_17counting_iteratorIjlEEPS9_SE_NS0_5tupleIJPjSE_EEENSF_IJSE_SE_EEES9_SG_JZNS1_25segmented_radix_sort_implINS0_14default_configELb0EPKhPhPKlPlN2at6native12_GLOBAL__N_18offset_tEEE10hipError_tPvRmT1_PNSt15iterator_traitsISY_E10value_typeET2_T3_PNSZ_IS14_E10value_typeET4_jRbjT5_S1A_jjP12ihipStream_tbEUljE_EEESV_SW_SX_S14_S18_S1A_T6_T7_T9_mT8_S1C_bDpT10_ENKUlT_T0_E_clISt17integral_constantIbLb0EES1P_EEDaS1K_S1L_EUlS1K_E_NS1_11comp_targetILNS1_3genE5ELNS1_11target_archE942ELNS1_3gpuE9ELNS1_3repE0EEENS1_30default_config_static_selectorELNS0_4arch9wavefront6targetE0EEEvSY_,@function
_ZN7rocprim17ROCPRIM_400000_NS6detail17trampoline_kernelINS0_13select_configILj256ELj13ELNS0_17block_load_methodE3ELS4_3ELS4_3ELNS0_20block_scan_algorithmE0ELj4294967295EEENS1_25partition_config_selectorILNS1_17partition_subalgoE3EjNS0_10empty_typeEbEEZZNS1_14partition_implILS8_3ELb0ES6_jNS0_17counting_iteratorIjlEEPS9_SE_NS0_5tupleIJPjSE_EEENSF_IJSE_SE_EEES9_SG_JZNS1_25segmented_radix_sort_implINS0_14default_configELb0EPKhPhPKlPlN2at6native12_GLOBAL__N_18offset_tEEE10hipError_tPvRmT1_PNSt15iterator_traitsISY_E10value_typeET2_T3_PNSZ_IS14_E10value_typeET4_jRbjT5_S1A_jjP12ihipStream_tbEUljE_EEESV_SW_SX_S14_S18_S1A_T6_T7_T9_mT8_S1C_bDpT10_ENKUlT_T0_E_clISt17integral_constantIbLb0EES1P_EEDaS1K_S1L_EUlS1K_E_NS1_11comp_targetILNS1_3genE5ELNS1_11target_archE942ELNS1_3gpuE9ELNS1_3repE0EEENS1_30default_config_static_selectorELNS0_4arch9wavefront6targetE0EEEvSY_: ; @_ZN7rocprim17ROCPRIM_400000_NS6detail17trampoline_kernelINS0_13select_configILj256ELj13ELNS0_17block_load_methodE3ELS4_3ELS4_3ELNS0_20block_scan_algorithmE0ELj4294967295EEENS1_25partition_config_selectorILNS1_17partition_subalgoE3EjNS0_10empty_typeEbEEZZNS1_14partition_implILS8_3ELb0ES6_jNS0_17counting_iteratorIjlEEPS9_SE_NS0_5tupleIJPjSE_EEENSF_IJSE_SE_EEES9_SG_JZNS1_25segmented_radix_sort_implINS0_14default_configELb0EPKhPhPKlPlN2at6native12_GLOBAL__N_18offset_tEEE10hipError_tPvRmT1_PNSt15iterator_traitsISY_E10value_typeET2_T3_PNSZ_IS14_E10value_typeET4_jRbjT5_S1A_jjP12ihipStream_tbEUljE_EEESV_SW_SX_S14_S18_S1A_T6_T7_T9_mT8_S1C_bDpT10_ENKUlT_T0_E_clISt17integral_constantIbLb0EES1P_EEDaS1K_S1L_EUlS1K_E_NS1_11comp_targetILNS1_3genE5ELNS1_11target_archE942ELNS1_3gpuE9ELNS1_3repE0EEENS1_30default_config_static_selectorELNS0_4arch9wavefront6targetE0EEEvSY_
; %bb.0:
	.section	.rodata,"a",@progbits
	.p2align	6, 0x0
	.amdhsa_kernel _ZN7rocprim17ROCPRIM_400000_NS6detail17trampoline_kernelINS0_13select_configILj256ELj13ELNS0_17block_load_methodE3ELS4_3ELS4_3ELNS0_20block_scan_algorithmE0ELj4294967295EEENS1_25partition_config_selectorILNS1_17partition_subalgoE3EjNS0_10empty_typeEbEEZZNS1_14partition_implILS8_3ELb0ES6_jNS0_17counting_iteratorIjlEEPS9_SE_NS0_5tupleIJPjSE_EEENSF_IJSE_SE_EEES9_SG_JZNS1_25segmented_radix_sort_implINS0_14default_configELb0EPKhPhPKlPlN2at6native12_GLOBAL__N_18offset_tEEE10hipError_tPvRmT1_PNSt15iterator_traitsISY_E10value_typeET2_T3_PNSZ_IS14_E10value_typeET4_jRbjT5_S1A_jjP12ihipStream_tbEUljE_EEESV_SW_SX_S14_S18_S1A_T6_T7_T9_mT8_S1C_bDpT10_ENKUlT_T0_E_clISt17integral_constantIbLb0EES1P_EEDaS1K_S1L_EUlS1K_E_NS1_11comp_targetILNS1_3genE5ELNS1_11target_archE942ELNS1_3gpuE9ELNS1_3repE0EEENS1_30default_config_static_selectorELNS0_4arch9wavefront6targetE0EEEvSY_
		.amdhsa_group_segment_fixed_size 0
		.amdhsa_private_segment_fixed_size 0
		.amdhsa_kernarg_size 144
		.amdhsa_user_sgpr_count 15
		.amdhsa_user_sgpr_dispatch_ptr 0
		.amdhsa_user_sgpr_queue_ptr 0
		.amdhsa_user_sgpr_kernarg_segment_ptr 1
		.amdhsa_user_sgpr_dispatch_id 0
		.amdhsa_user_sgpr_private_segment_size 0
		.amdhsa_wavefront_size32 1
		.amdhsa_uses_dynamic_stack 0
		.amdhsa_enable_private_segment 0
		.amdhsa_system_sgpr_workgroup_id_x 1
		.amdhsa_system_sgpr_workgroup_id_y 0
		.amdhsa_system_sgpr_workgroup_id_z 0
		.amdhsa_system_sgpr_workgroup_info 0
		.amdhsa_system_vgpr_workitem_id 0
		.amdhsa_next_free_vgpr 1
		.amdhsa_next_free_sgpr 1
		.amdhsa_reserve_vcc 0
		.amdhsa_float_round_mode_32 0
		.amdhsa_float_round_mode_16_64 0
		.amdhsa_float_denorm_mode_32 3
		.amdhsa_float_denorm_mode_16_64 3
		.amdhsa_dx10_clamp 1
		.amdhsa_ieee_mode 1
		.amdhsa_fp16_overflow 0
		.amdhsa_workgroup_processor_mode 1
		.amdhsa_memory_ordered 1
		.amdhsa_forward_progress 0
		.amdhsa_shared_vgpr_count 0
		.amdhsa_exception_fp_ieee_invalid_op 0
		.amdhsa_exception_fp_denorm_src 0
		.amdhsa_exception_fp_ieee_div_zero 0
		.amdhsa_exception_fp_ieee_overflow 0
		.amdhsa_exception_fp_ieee_underflow 0
		.amdhsa_exception_fp_ieee_inexact 0
		.amdhsa_exception_int_div_zero 0
	.end_amdhsa_kernel
	.section	.text._ZN7rocprim17ROCPRIM_400000_NS6detail17trampoline_kernelINS0_13select_configILj256ELj13ELNS0_17block_load_methodE3ELS4_3ELS4_3ELNS0_20block_scan_algorithmE0ELj4294967295EEENS1_25partition_config_selectorILNS1_17partition_subalgoE3EjNS0_10empty_typeEbEEZZNS1_14partition_implILS8_3ELb0ES6_jNS0_17counting_iteratorIjlEEPS9_SE_NS0_5tupleIJPjSE_EEENSF_IJSE_SE_EEES9_SG_JZNS1_25segmented_radix_sort_implINS0_14default_configELb0EPKhPhPKlPlN2at6native12_GLOBAL__N_18offset_tEEE10hipError_tPvRmT1_PNSt15iterator_traitsISY_E10value_typeET2_T3_PNSZ_IS14_E10value_typeET4_jRbjT5_S1A_jjP12ihipStream_tbEUljE_EEESV_SW_SX_S14_S18_S1A_T6_T7_T9_mT8_S1C_bDpT10_ENKUlT_T0_E_clISt17integral_constantIbLb0EES1P_EEDaS1K_S1L_EUlS1K_E_NS1_11comp_targetILNS1_3genE5ELNS1_11target_archE942ELNS1_3gpuE9ELNS1_3repE0EEENS1_30default_config_static_selectorELNS0_4arch9wavefront6targetE0EEEvSY_,"axG",@progbits,_ZN7rocprim17ROCPRIM_400000_NS6detail17trampoline_kernelINS0_13select_configILj256ELj13ELNS0_17block_load_methodE3ELS4_3ELS4_3ELNS0_20block_scan_algorithmE0ELj4294967295EEENS1_25partition_config_selectorILNS1_17partition_subalgoE3EjNS0_10empty_typeEbEEZZNS1_14partition_implILS8_3ELb0ES6_jNS0_17counting_iteratorIjlEEPS9_SE_NS0_5tupleIJPjSE_EEENSF_IJSE_SE_EEES9_SG_JZNS1_25segmented_radix_sort_implINS0_14default_configELb0EPKhPhPKlPlN2at6native12_GLOBAL__N_18offset_tEEE10hipError_tPvRmT1_PNSt15iterator_traitsISY_E10value_typeET2_T3_PNSZ_IS14_E10value_typeET4_jRbjT5_S1A_jjP12ihipStream_tbEUljE_EEESV_SW_SX_S14_S18_S1A_T6_T7_T9_mT8_S1C_bDpT10_ENKUlT_T0_E_clISt17integral_constantIbLb0EES1P_EEDaS1K_S1L_EUlS1K_E_NS1_11comp_targetILNS1_3genE5ELNS1_11target_archE942ELNS1_3gpuE9ELNS1_3repE0EEENS1_30default_config_static_selectorELNS0_4arch9wavefront6targetE0EEEvSY_,comdat
.Lfunc_end155:
	.size	_ZN7rocprim17ROCPRIM_400000_NS6detail17trampoline_kernelINS0_13select_configILj256ELj13ELNS0_17block_load_methodE3ELS4_3ELS4_3ELNS0_20block_scan_algorithmE0ELj4294967295EEENS1_25partition_config_selectorILNS1_17partition_subalgoE3EjNS0_10empty_typeEbEEZZNS1_14partition_implILS8_3ELb0ES6_jNS0_17counting_iteratorIjlEEPS9_SE_NS0_5tupleIJPjSE_EEENSF_IJSE_SE_EEES9_SG_JZNS1_25segmented_radix_sort_implINS0_14default_configELb0EPKhPhPKlPlN2at6native12_GLOBAL__N_18offset_tEEE10hipError_tPvRmT1_PNSt15iterator_traitsISY_E10value_typeET2_T3_PNSZ_IS14_E10value_typeET4_jRbjT5_S1A_jjP12ihipStream_tbEUljE_EEESV_SW_SX_S14_S18_S1A_T6_T7_T9_mT8_S1C_bDpT10_ENKUlT_T0_E_clISt17integral_constantIbLb0EES1P_EEDaS1K_S1L_EUlS1K_E_NS1_11comp_targetILNS1_3genE5ELNS1_11target_archE942ELNS1_3gpuE9ELNS1_3repE0EEENS1_30default_config_static_selectorELNS0_4arch9wavefront6targetE0EEEvSY_, .Lfunc_end155-_ZN7rocprim17ROCPRIM_400000_NS6detail17trampoline_kernelINS0_13select_configILj256ELj13ELNS0_17block_load_methodE3ELS4_3ELS4_3ELNS0_20block_scan_algorithmE0ELj4294967295EEENS1_25partition_config_selectorILNS1_17partition_subalgoE3EjNS0_10empty_typeEbEEZZNS1_14partition_implILS8_3ELb0ES6_jNS0_17counting_iteratorIjlEEPS9_SE_NS0_5tupleIJPjSE_EEENSF_IJSE_SE_EEES9_SG_JZNS1_25segmented_radix_sort_implINS0_14default_configELb0EPKhPhPKlPlN2at6native12_GLOBAL__N_18offset_tEEE10hipError_tPvRmT1_PNSt15iterator_traitsISY_E10value_typeET2_T3_PNSZ_IS14_E10value_typeET4_jRbjT5_S1A_jjP12ihipStream_tbEUljE_EEESV_SW_SX_S14_S18_S1A_T6_T7_T9_mT8_S1C_bDpT10_ENKUlT_T0_E_clISt17integral_constantIbLb0EES1P_EEDaS1K_S1L_EUlS1K_E_NS1_11comp_targetILNS1_3genE5ELNS1_11target_archE942ELNS1_3gpuE9ELNS1_3repE0EEENS1_30default_config_static_selectorELNS0_4arch9wavefront6targetE0EEEvSY_
                                        ; -- End function
	.section	.AMDGPU.csdata,"",@progbits
; Kernel info:
; codeLenInByte = 0
; NumSgprs: 0
; NumVgprs: 0
; ScratchSize: 0
; MemoryBound: 0
; FloatMode: 240
; IeeeMode: 1
; LDSByteSize: 0 bytes/workgroup (compile time only)
; SGPRBlocks: 0
; VGPRBlocks: 0
; NumSGPRsForWavesPerEU: 1
; NumVGPRsForWavesPerEU: 1
; Occupancy: 16
; WaveLimiterHint : 0
; COMPUTE_PGM_RSRC2:SCRATCH_EN: 0
; COMPUTE_PGM_RSRC2:USER_SGPR: 15
; COMPUTE_PGM_RSRC2:TRAP_HANDLER: 0
; COMPUTE_PGM_RSRC2:TGID_X_EN: 1
; COMPUTE_PGM_RSRC2:TGID_Y_EN: 0
; COMPUTE_PGM_RSRC2:TGID_Z_EN: 0
; COMPUTE_PGM_RSRC2:TIDIG_COMP_CNT: 0
	.section	.text._ZN7rocprim17ROCPRIM_400000_NS6detail17trampoline_kernelINS0_13select_configILj256ELj13ELNS0_17block_load_methodE3ELS4_3ELS4_3ELNS0_20block_scan_algorithmE0ELj4294967295EEENS1_25partition_config_selectorILNS1_17partition_subalgoE3EjNS0_10empty_typeEbEEZZNS1_14partition_implILS8_3ELb0ES6_jNS0_17counting_iteratorIjlEEPS9_SE_NS0_5tupleIJPjSE_EEENSF_IJSE_SE_EEES9_SG_JZNS1_25segmented_radix_sort_implINS0_14default_configELb0EPKhPhPKlPlN2at6native12_GLOBAL__N_18offset_tEEE10hipError_tPvRmT1_PNSt15iterator_traitsISY_E10value_typeET2_T3_PNSZ_IS14_E10value_typeET4_jRbjT5_S1A_jjP12ihipStream_tbEUljE_EEESV_SW_SX_S14_S18_S1A_T6_T7_T9_mT8_S1C_bDpT10_ENKUlT_T0_E_clISt17integral_constantIbLb0EES1P_EEDaS1K_S1L_EUlS1K_E_NS1_11comp_targetILNS1_3genE4ELNS1_11target_archE910ELNS1_3gpuE8ELNS1_3repE0EEENS1_30default_config_static_selectorELNS0_4arch9wavefront6targetE0EEEvSY_,"axG",@progbits,_ZN7rocprim17ROCPRIM_400000_NS6detail17trampoline_kernelINS0_13select_configILj256ELj13ELNS0_17block_load_methodE3ELS4_3ELS4_3ELNS0_20block_scan_algorithmE0ELj4294967295EEENS1_25partition_config_selectorILNS1_17partition_subalgoE3EjNS0_10empty_typeEbEEZZNS1_14partition_implILS8_3ELb0ES6_jNS0_17counting_iteratorIjlEEPS9_SE_NS0_5tupleIJPjSE_EEENSF_IJSE_SE_EEES9_SG_JZNS1_25segmented_radix_sort_implINS0_14default_configELb0EPKhPhPKlPlN2at6native12_GLOBAL__N_18offset_tEEE10hipError_tPvRmT1_PNSt15iterator_traitsISY_E10value_typeET2_T3_PNSZ_IS14_E10value_typeET4_jRbjT5_S1A_jjP12ihipStream_tbEUljE_EEESV_SW_SX_S14_S18_S1A_T6_T7_T9_mT8_S1C_bDpT10_ENKUlT_T0_E_clISt17integral_constantIbLb0EES1P_EEDaS1K_S1L_EUlS1K_E_NS1_11comp_targetILNS1_3genE4ELNS1_11target_archE910ELNS1_3gpuE8ELNS1_3repE0EEENS1_30default_config_static_selectorELNS0_4arch9wavefront6targetE0EEEvSY_,comdat
	.globl	_ZN7rocprim17ROCPRIM_400000_NS6detail17trampoline_kernelINS0_13select_configILj256ELj13ELNS0_17block_load_methodE3ELS4_3ELS4_3ELNS0_20block_scan_algorithmE0ELj4294967295EEENS1_25partition_config_selectorILNS1_17partition_subalgoE3EjNS0_10empty_typeEbEEZZNS1_14partition_implILS8_3ELb0ES6_jNS0_17counting_iteratorIjlEEPS9_SE_NS0_5tupleIJPjSE_EEENSF_IJSE_SE_EEES9_SG_JZNS1_25segmented_radix_sort_implINS0_14default_configELb0EPKhPhPKlPlN2at6native12_GLOBAL__N_18offset_tEEE10hipError_tPvRmT1_PNSt15iterator_traitsISY_E10value_typeET2_T3_PNSZ_IS14_E10value_typeET4_jRbjT5_S1A_jjP12ihipStream_tbEUljE_EEESV_SW_SX_S14_S18_S1A_T6_T7_T9_mT8_S1C_bDpT10_ENKUlT_T0_E_clISt17integral_constantIbLb0EES1P_EEDaS1K_S1L_EUlS1K_E_NS1_11comp_targetILNS1_3genE4ELNS1_11target_archE910ELNS1_3gpuE8ELNS1_3repE0EEENS1_30default_config_static_selectorELNS0_4arch9wavefront6targetE0EEEvSY_ ; -- Begin function _ZN7rocprim17ROCPRIM_400000_NS6detail17trampoline_kernelINS0_13select_configILj256ELj13ELNS0_17block_load_methodE3ELS4_3ELS4_3ELNS0_20block_scan_algorithmE0ELj4294967295EEENS1_25partition_config_selectorILNS1_17partition_subalgoE3EjNS0_10empty_typeEbEEZZNS1_14partition_implILS8_3ELb0ES6_jNS0_17counting_iteratorIjlEEPS9_SE_NS0_5tupleIJPjSE_EEENSF_IJSE_SE_EEES9_SG_JZNS1_25segmented_radix_sort_implINS0_14default_configELb0EPKhPhPKlPlN2at6native12_GLOBAL__N_18offset_tEEE10hipError_tPvRmT1_PNSt15iterator_traitsISY_E10value_typeET2_T3_PNSZ_IS14_E10value_typeET4_jRbjT5_S1A_jjP12ihipStream_tbEUljE_EEESV_SW_SX_S14_S18_S1A_T6_T7_T9_mT8_S1C_bDpT10_ENKUlT_T0_E_clISt17integral_constantIbLb0EES1P_EEDaS1K_S1L_EUlS1K_E_NS1_11comp_targetILNS1_3genE4ELNS1_11target_archE910ELNS1_3gpuE8ELNS1_3repE0EEENS1_30default_config_static_selectorELNS0_4arch9wavefront6targetE0EEEvSY_
	.p2align	8
	.type	_ZN7rocprim17ROCPRIM_400000_NS6detail17trampoline_kernelINS0_13select_configILj256ELj13ELNS0_17block_load_methodE3ELS4_3ELS4_3ELNS0_20block_scan_algorithmE0ELj4294967295EEENS1_25partition_config_selectorILNS1_17partition_subalgoE3EjNS0_10empty_typeEbEEZZNS1_14partition_implILS8_3ELb0ES6_jNS0_17counting_iteratorIjlEEPS9_SE_NS0_5tupleIJPjSE_EEENSF_IJSE_SE_EEES9_SG_JZNS1_25segmented_radix_sort_implINS0_14default_configELb0EPKhPhPKlPlN2at6native12_GLOBAL__N_18offset_tEEE10hipError_tPvRmT1_PNSt15iterator_traitsISY_E10value_typeET2_T3_PNSZ_IS14_E10value_typeET4_jRbjT5_S1A_jjP12ihipStream_tbEUljE_EEESV_SW_SX_S14_S18_S1A_T6_T7_T9_mT8_S1C_bDpT10_ENKUlT_T0_E_clISt17integral_constantIbLb0EES1P_EEDaS1K_S1L_EUlS1K_E_NS1_11comp_targetILNS1_3genE4ELNS1_11target_archE910ELNS1_3gpuE8ELNS1_3repE0EEENS1_30default_config_static_selectorELNS0_4arch9wavefront6targetE0EEEvSY_,@function
_ZN7rocprim17ROCPRIM_400000_NS6detail17trampoline_kernelINS0_13select_configILj256ELj13ELNS0_17block_load_methodE3ELS4_3ELS4_3ELNS0_20block_scan_algorithmE0ELj4294967295EEENS1_25partition_config_selectorILNS1_17partition_subalgoE3EjNS0_10empty_typeEbEEZZNS1_14partition_implILS8_3ELb0ES6_jNS0_17counting_iteratorIjlEEPS9_SE_NS0_5tupleIJPjSE_EEENSF_IJSE_SE_EEES9_SG_JZNS1_25segmented_radix_sort_implINS0_14default_configELb0EPKhPhPKlPlN2at6native12_GLOBAL__N_18offset_tEEE10hipError_tPvRmT1_PNSt15iterator_traitsISY_E10value_typeET2_T3_PNSZ_IS14_E10value_typeET4_jRbjT5_S1A_jjP12ihipStream_tbEUljE_EEESV_SW_SX_S14_S18_S1A_T6_T7_T9_mT8_S1C_bDpT10_ENKUlT_T0_E_clISt17integral_constantIbLb0EES1P_EEDaS1K_S1L_EUlS1K_E_NS1_11comp_targetILNS1_3genE4ELNS1_11target_archE910ELNS1_3gpuE8ELNS1_3repE0EEENS1_30default_config_static_selectorELNS0_4arch9wavefront6targetE0EEEvSY_: ; @_ZN7rocprim17ROCPRIM_400000_NS6detail17trampoline_kernelINS0_13select_configILj256ELj13ELNS0_17block_load_methodE3ELS4_3ELS4_3ELNS0_20block_scan_algorithmE0ELj4294967295EEENS1_25partition_config_selectorILNS1_17partition_subalgoE3EjNS0_10empty_typeEbEEZZNS1_14partition_implILS8_3ELb0ES6_jNS0_17counting_iteratorIjlEEPS9_SE_NS0_5tupleIJPjSE_EEENSF_IJSE_SE_EEES9_SG_JZNS1_25segmented_radix_sort_implINS0_14default_configELb0EPKhPhPKlPlN2at6native12_GLOBAL__N_18offset_tEEE10hipError_tPvRmT1_PNSt15iterator_traitsISY_E10value_typeET2_T3_PNSZ_IS14_E10value_typeET4_jRbjT5_S1A_jjP12ihipStream_tbEUljE_EEESV_SW_SX_S14_S18_S1A_T6_T7_T9_mT8_S1C_bDpT10_ENKUlT_T0_E_clISt17integral_constantIbLb0EES1P_EEDaS1K_S1L_EUlS1K_E_NS1_11comp_targetILNS1_3genE4ELNS1_11target_archE910ELNS1_3gpuE8ELNS1_3repE0EEENS1_30default_config_static_selectorELNS0_4arch9wavefront6targetE0EEEvSY_
; %bb.0:
	.section	.rodata,"a",@progbits
	.p2align	6, 0x0
	.amdhsa_kernel _ZN7rocprim17ROCPRIM_400000_NS6detail17trampoline_kernelINS0_13select_configILj256ELj13ELNS0_17block_load_methodE3ELS4_3ELS4_3ELNS0_20block_scan_algorithmE0ELj4294967295EEENS1_25partition_config_selectorILNS1_17partition_subalgoE3EjNS0_10empty_typeEbEEZZNS1_14partition_implILS8_3ELb0ES6_jNS0_17counting_iteratorIjlEEPS9_SE_NS0_5tupleIJPjSE_EEENSF_IJSE_SE_EEES9_SG_JZNS1_25segmented_radix_sort_implINS0_14default_configELb0EPKhPhPKlPlN2at6native12_GLOBAL__N_18offset_tEEE10hipError_tPvRmT1_PNSt15iterator_traitsISY_E10value_typeET2_T3_PNSZ_IS14_E10value_typeET4_jRbjT5_S1A_jjP12ihipStream_tbEUljE_EEESV_SW_SX_S14_S18_S1A_T6_T7_T9_mT8_S1C_bDpT10_ENKUlT_T0_E_clISt17integral_constantIbLb0EES1P_EEDaS1K_S1L_EUlS1K_E_NS1_11comp_targetILNS1_3genE4ELNS1_11target_archE910ELNS1_3gpuE8ELNS1_3repE0EEENS1_30default_config_static_selectorELNS0_4arch9wavefront6targetE0EEEvSY_
		.amdhsa_group_segment_fixed_size 0
		.amdhsa_private_segment_fixed_size 0
		.amdhsa_kernarg_size 144
		.amdhsa_user_sgpr_count 15
		.amdhsa_user_sgpr_dispatch_ptr 0
		.amdhsa_user_sgpr_queue_ptr 0
		.amdhsa_user_sgpr_kernarg_segment_ptr 1
		.amdhsa_user_sgpr_dispatch_id 0
		.amdhsa_user_sgpr_private_segment_size 0
		.amdhsa_wavefront_size32 1
		.amdhsa_uses_dynamic_stack 0
		.amdhsa_enable_private_segment 0
		.amdhsa_system_sgpr_workgroup_id_x 1
		.amdhsa_system_sgpr_workgroup_id_y 0
		.amdhsa_system_sgpr_workgroup_id_z 0
		.amdhsa_system_sgpr_workgroup_info 0
		.amdhsa_system_vgpr_workitem_id 0
		.amdhsa_next_free_vgpr 1
		.amdhsa_next_free_sgpr 1
		.amdhsa_reserve_vcc 0
		.amdhsa_float_round_mode_32 0
		.amdhsa_float_round_mode_16_64 0
		.amdhsa_float_denorm_mode_32 3
		.amdhsa_float_denorm_mode_16_64 3
		.amdhsa_dx10_clamp 1
		.amdhsa_ieee_mode 1
		.amdhsa_fp16_overflow 0
		.amdhsa_workgroup_processor_mode 1
		.amdhsa_memory_ordered 1
		.amdhsa_forward_progress 0
		.amdhsa_shared_vgpr_count 0
		.amdhsa_exception_fp_ieee_invalid_op 0
		.amdhsa_exception_fp_denorm_src 0
		.amdhsa_exception_fp_ieee_div_zero 0
		.amdhsa_exception_fp_ieee_overflow 0
		.amdhsa_exception_fp_ieee_underflow 0
		.amdhsa_exception_fp_ieee_inexact 0
		.amdhsa_exception_int_div_zero 0
	.end_amdhsa_kernel
	.section	.text._ZN7rocprim17ROCPRIM_400000_NS6detail17trampoline_kernelINS0_13select_configILj256ELj13ELNS0_17block_load_methodE3ELS4_3ELS4_3ELNS0_20block_scan_algorithmE0ELj4294967295EEENS1_25partition_config_selectorILNS1_17partition_subalgoE3EjNS0_10empty_typeEbEEZZNS1_14partition_implILS8_3ELb0ES6_jNS0_17counting_iteratorIjlEEPS9_SE_NS0_5tupleIJPjSE_EEENSF_IJSE_SE_EEES9_SG_JZNS1_25segmented_radix_sort_implINS0_14default_configELb0EPKhPhPKlPlN2at6native12_GLOBAL__N_18offset_tEEE10hipError_tPvRmT1_PNSt15iterator_traitsISY_E10value_typeET2_T3_PNSZ_IS14_E10value_typeET4_jRbjT5_S1A_jjP12ihipStream_tbEUljE_EEESV_SW_SX_S14_S18_S1A_T6_T7_T9_mT8_S1C_bDpT10_ENKUlT_T0_E_clISt17integral_constantIbLb0EES1P_EEDaS1K_S1L_EUlS1K_E_NS1_11comp_targetILNS1_3genE4ELNS1_11target_archE910ELNS1_3gpuE8ELNS1_3repE0EEENS1_30default_config_static_selectorELNS0_4arch9wavefront6targetE0EEEvSY_,"axG",@progbits,_ZN7rocprim17ROCPRIM_400000_NS6detail17trampoline_kernelINS0_13select_configILj256ELj13ELNS0_17block_load_methodE3ELS4_3ELS4_3ELNS0_20block_scan_algorithmE0ELj4294967295EEENS1_25partition_config_selectorILNS1_17partition_subalgoE3EjNS0_10empty_typeEbEEZZNS1_14partition_implILS8_3ELb0ES6_jNS0_17counting_iteratorIjlEEPS9_SE_NS0_5tupleIJPjSE_EEENSF_IJSE_SE_EEES9_SG_JZNS1_25segmented_radix_sort_implINS0_14default_configELb0EPKhPhPKlPlN2at6native12_GLOBAL__N_18offset_tEEE10hipError_tPvRmT1_PNSt15iterator_traitsISY_E10value_typeET2_T3_PNSZ_IS14_E10value_typeET4_jRbjT5_S1A_jjP12ihipStream_tbEUljE_EEESV_SW_SX_S14_S18_S1A_T6_T7_T9_mT8_S1C_bDpT10_ENKUlT_T0_E_clISt17integral_constantIbLb0EES1P_EEDaS1K_S1L_EUlS1K_E_NS1_11comp_targetILNS1_3genE4ELNS1_11target_archE910ELNS1_3gpuE8ELNS1_3repE0EEENS1_30default_config_static_selectorELNS0_4arch9wavefront6targetE0EEEvSY_,comdat
.Lfunc_end156:
	.size	_ZN7rocprim17ROCPRIM_400000_NS6detail17trampoline_kernelINS0_13select_configILj256ELj13ELNS0_17block_load_methodE3ELS4_3ELS4_3ELNS0_20block_scan_algorithmE0ELj4294967295EEENS1_25partition_config_selectorILNS1_17partition_subalgoE3EjNS0_10empty_typeEbEEZZNS1_14partition_implILS8_3ELb0ES6_jNS0_17counting_iteratorIjlEEPS9_SE_NS0_5tupleIJPjSE_EEENSF_IJSE_SE_EEES9_SG_JZNS1_25segmented_radix_sort_implINS0_14default_configELb0EPKhPhPKlPlN2at6native12_GLOBAL__N_18offset_tEEE10hipError_tPvRmT1_PNSt15iterator_traitsISY_E10value_typeET2_T3_PNSZ_IS14_E10value_typeET4_jRbjT5_S1A_jjP12ihipStream_tbEUljE_EEESV_SW_SX_S14_S18_S1A_T6_T7_T9_mT8_S1C_bDpT10_ENKUlT_T0_E_clISt17integral_constantIbLb0EES1P_EEDaS1K_S1L_EUlS1K_E_NS1_11comp_targetILNS1_3genE4ELNS1_11target_archE910ELNS1_3gpuE8ELNS1_3repE0EEENS1_30default_config_static_selectorELNS0_4arch9wavefront6targetE0EEEvSY_, .Lfunc_end156-_ZN7rocprim17ROCPRIM_400000_NS6detail17trampoline_kernelINS0_13select_configILj256ELj13ELNS0_17block_load_methodE3ELS4_3ELS4_3ELNS0_20block_scan_algorithmE0ELj4294967295EEENS1_25partition_config_selectorILNS1_17partition_subalgoE3EjNS0_10empty_typeEbEEZZNS1_14partition_implILS8_3ELb0ES6_jNS0_17counting_iteratorIjlEEPS9_SE_NS0_5tupleIJPjSE_EEENSF_IJSE_SE_EEES9_SG_JZNS1_25segmented_radix_sort_implINS0_14default_configELb0EPKhPhPKlPlN2at6native12_GLOBAL__N_18offset_tEEE10hipError_tPvRmT1_PNSt15iterator_traitsISY_E10value_typeET2_T3_PNSZ_IS14_E10value_typeET4_jRbjT5_S1A_jjP12ihipStream_tbEUljE_EEESV_SW_SX_S14_S18_S1A_T6_T7_T9_mT8_S1C_bDpT10_ENKUlT_T0_E_clISt17integral_constantIbLb0EES1P_EEDaS1K_S1L_EUlS1K_E_NS1_11comp_targetILNS1_3genE4ELNS1_11target_archE910ELNS1_3gpuE8ELNS1_3repE0EEENS1_30default_config_static_selectorELNS0_4arch9wavefront6targetE0EEEvSY_
                                        ; -- End function
	.section	.AMDGPU.csdata,"",@progbits
; Kernel info:
; codeLenInByte = 0
; NumSgprs: 0
; NumVgprs: 0
; ScratchSize: 0
; MemoryBound: 0
; FloatMode: 240
; IeeeMode: 1
; LDSByteSize: 0 bytes/workgroup (compile time only)
; SGPRBlocks: 0
; VGPRBlocks: 0
; NumSGPRsForWavesPerEU: 1
; NumVGPRsForWavesPerEU: 1
; Occupancy: 16
; WaveLimiterHint : 0
; COMPUTE_PGM_RSRC2:SCRATCH_EN: 0
; COMPUTE_PGM_RSRC2:USER_SGPR: 15
; COMPUTE_PGM_RSRC2:TRAP_HANDLER: 0
; COMPUTE_PGM_RSRC2:TGID_X_EN: 1
; COMPUTE_PGM_RSRC2:TGID_Y_EN: 0
; COMPUTE_PGM_RSRC2:TGID_Z_EN: 0
; COMPUTE_PGM_RSRC2:TIDIG_COMP_CNT: 0
	.section	.text._ZN7rocprim17ROCPRIM_400000_NS6detail17trampoline_kernelINS0_13select_configILj256ELj13ELNS0_17block_load_methodE3ELS4_3ELS4_3ELNS0_20block_scan_algorithmE0ELj4294967295EEENS1_25partition_config_selectorILNS1_17partition_subalgoE3EjNS0_10empty_typeEbEEZZNS1_14partition_implILS8_3ELb0ES6_jNS0_17counting_iteratorIjlEEPS9_SE_NS0_5tupleIJPjSE_EEENSF_IJSE_SE_EEES9_SG_JZNS1_25segmented_radix_sort_implINS0_14default_configELb0EPKhPhPKlPlN2at6native12_GLOBAL__N_18offset_tEEE10hipError_tPvRmT1_PNSt15iterator_traitsISY_E10value_typeET2_T3_PNSZ_IS14_E10value_typeET4_jRbjT5_S1A_jjP12ihipStream_tbEUljE_EEESV_SW_SX_S14_S18_S1A_T6_T7_T9_mT8_S1C_bDpT10_ENKUlT_T0_E_clISt17integral_constantIbLb0EES1P_EEDaS1K_S1L_EUlS1K_E_NS1_11comp_targetILNS1_3genE3ELNS1_11target_archE908ELNS1_3gpuE7ELNS1_3repE0EEENS1_30default_config_static_selectorELNS0_4arch9wavefront6targetE0EEEvSY_,"axG",@progbits,_ZN7rocprim17ROCPRIM_400000_NS6detail17trampoline_kernelINS0_13select_configILj256ELj13ELNS0_17block_load_methodE3ELS4_3ELS4_3ELNS0_20block_scan_algorithmE0ELj4294967295EEENS1_25partition_config_selectorILNS1_17partition_subalgoE3EjNS0_10empty_typeEbEEZZNS1_14partition_implILS8_3ELb0ES6_jNS0_17counting_iteratorIjlEEPS9_SE_NS0_5tupleIJPjSE_EEENSF_IJSE_SE_EEES9_SG_JZNS1_25segmented_radix_sort_implINS0_14default_configELb0EPKhPhPKlPlN2at6native12_GLOBAL__N_18offset_tEEE10hipError_tPvRmT1_PNSt15iterator_traitsISY_E10value_typeET2_T3_PNSZ_IS14_E10value_typeET4_jRbjT5_S1A_jjP12ihipStream_tbEUljE_EEESV_SW_SX_S14_S18_S1A_T6_T7_T9_mT8_S1C_bDpT10_ENKUlT_T0_E_clISt17integral_constantIbLb0EES1P_EEDaS1K_S1L_EUlS1K_E_NS1_11comp_targetILNS1_3genE3ELNS1_11target_archE908ELNS1_3gpuE7ELNS1_3repE0EEENS1_30default_config_static_selectorELNS0_4arch9wavefront6targetE0EEEvSY_,comdat
	.globl	_ZN7rocprim17ROCPRIM_400000_NS6detail17trampoline_kernelINS0_13select_configILj256ELj13ELNS0_17block_load_methodE3ELS4_3ELS4_3ELNS0_20block_scan_algorithmE0ELj4294967295EEENS1_25partition_config_selectorILNS1_17partition_subalgoE3EjNS0_10empty_typeEbEEZZNS1_14partition_implILS8_3ELb0ES6_jNS0_17counting_iteratorIjlEEPS9_SE_NS0_5tupleIJPjSE_EEENSF_IJSE_SE_EEES9_SG_JZNS1_25segmented_radix_sort_implINS0_14default_configELb0EPKhPhPKlPlN2at6native12_GLOBAL__N_18offset_tEEE10hipError_tPvRmT1_PNSt15iterator_traitsISY_E10value_typeET2_T3_PNSZ_IS14_E10value_typeET4_jRbjT5_S1A_jjP12ihipStream_tbEUljE_EEESV_SW_SX_S14_S18_S1A_T6_T7_T9_mT8_S1C_bDpT10_ENKUlT_T0_E_clISt17integral_constantIbLb0EES1P_EEDaS1K_S1L_EUlS1K_E_NS1_11comp_targetILNS1_3genE3ELNS1_11target_archE908ELNS1_3gpuE7ELNS1_3repE0EEENS1_30default_config_static_selectorELNS0_4arch9wavefront6targetE0EEEvSY_ ; -- Begin function _ZN7rocprim17ROCPRIM_400000_NS6detail17trampoline_kernelINS0_13select_configILj256ELj13ELNS0_17block_load_methodE3ELS4_3ELS4_3ELNS0_20block_scan_algorithmE0ELj4294967295EEENS1_25partition_config_selectorILNS1_17partition_subalgoE3EjNS0_10empty_typeEbEEZZNS1_14partition_implILS8_3ELb0ES6_jNS0_17counting_iteratorIjlEEPS9_SE_NS0_5tupleIJPjSE_EEENSF_IJSE_SE_EEES9_SG_JZNS1_25segmented_radix_sort_implINS0_14default_configELb0EPKhPhPKlPlN2at6native12_GLOBAL__N_18offset_tEEE10hipError_tPvRmT1_PNSt15iterator_traitsISY_E10value_typeET2_T3_PNSZ_IS14_E10value_typeET4_jRbjT5_S1A_jjP12ihipStream_tbEUljE_EEESV_SW_SX_S14_S18_S1A_T6_T7_T9_mT8_S1C_bDpT10_ENKUlT_T0_E_clISt17integral_constantIbLb0EES1P_EEDaS1K_S1L_EUlS1K_E_NS1_11comp_targetILNS1_3genE3ELNS1_11target_archE908ELNS1_3gpuE7ELNS1_3repE0EEENS1_30default_config_static_selectorELNS0_4arch9wavefront6targetE0EEEvSY_
	.p2align	8
	.type	_ZN7rocprim17ROCPRIM_400000_NS6detail17trampoline_kernelINS0_13select_configILj256ELj13ELNS0_17block_load_methodE3ELS4_3ELS4_3ELNS0_20block_scan_algorithmE0ELj4294967295EEENS1_25partition_config_selectorILNS1_17partition_subalgoE3EjNS0_10empty_typeEbEEZZNS1_14partition_implILS8_3ELb0ES6_jNS0_17counting_iteratorIjlEEPS9_SE_NS0_5tupleIJPjSE_EEENSF_IJSE_SE_EEES9_SG_JZNS1_25segmented_radix_sort_implINS0_14default_configELb0EPKhPhPKlPlN2at6native12_GLOBAL__N_18offset_tEEE10hipError_tPvRmT1_PNSt15iterator_traitsISY_E10value_typeET2_T3_PNSZ_IS14_E10value_typeET4_jRbjT5_S1A_jjP12ihipStream_tbEUljE_EEESV_SW_SX_S14_S18_S1A_T6_T7_T9_mT8_S1C_bDpT10_ENKUlT_T0_E_clISt17integral_constantIbLb0EES1P_EEDaS1K_S1L_EUlS1K_E_NS1_11comp_targetILNS1_3genE3ELNS1_11target_archE908ELNS1_3gpuE7ELNS1_3repE0EEENS1_30default_config_static_selectorELNS0_4arch9wavefront6targetE0EEEvSY_,@function
_ZN7rocprim17ROCPRIM_400000_NS6detail17trampoline_kernelINS0_13select_configILj256ELj13ELNS0_17block_load_methodE3ELS4_3ELS4_3ELNS0_20block_scan_algorithmE0ELj4294967295EEENS1_25partition_config_selectorILNS1_17partition_subalgoE3EjNS0_10empty_typeEbEEZZNS1_14partition_implILS8_3ELb0ES6_jNS0_17counting_iteratorIjlEEPS9_SE_NS0_5tupleIJPjSE_EEENSF_IJSE_SE_EEES9_SG_JZNS1_25segmented_radix_sort_implINS0_14default_configELb0EPKhPhPKlPlN2at6native12_GLOBAL__N_18offset_tEEE10hipError_tPvRmT1_PNSt15iterator_traitsISY_E10value_typeET2_T3_PNSZ_IS14_E10value_typeET4_jRbjT5_S1A_jjP12ihipStream_tbEUljE_EEESV_SW_SX_S14_S18_S1A_T6_T7_T9_mT8_S1C_bDpT10_ENKUlT_T0_E_clISt17integral_constantIbLb0EES1P_EEDaS1K_S1L_EUlS1K_E_NS1_11comp_targetILNS1_3genE3ELNS1_11target_archE908ELNS1_3gpuE7ELNS1_3repE0EEENS1_30default_config_static_selectorELNS0_4arch9wavefront6targetE0EEEvSY_: ; @_ZN7rocprim17ROCPRIM_400000_NS6detail17trampoline_kernelINS0_13select_configILj256ELj13ELNS0_17block_load_methodE3ELS4_3ELS4_3ELNS0_20block_scan_algorithmE0ELj4294967295EEENS1_25partition_config_selectorILNS1_17partition_subalgoE3EjNS0_10empty_typeEbEEZZNS1_14partition_implILS8_3ELb0ES6_jNS0_17counting_iteratorIjlEEPS9_SE_NS0_5tupleIJPjSE_EEENSF_IJSE_SE_EEES9_SG_JZNS1_25segmented_radix_sort_implINS0_14default_configELb0EPKhPhPKlPlN2at6native12_GLOBAL__N_18offset_tEEE10hipError_tPvRmT1_PNSt15iterator_traitsISY_E10value_typeET2_T3_PNSZ_IS14_E10value_typeET4_jRbjT5_S1A_jjP12ihipStream_tbEUljE_EEESV_SW_SX_S14_S18_S1A_T6_T7_T9_mT8_S1C_bDpT10_ENKUlT_T0_E_clISt17integral_constantIbLb0EES1P_EEDaS1K_S1L_EUlS1K_E_NS1_11comp_targetILNS1_3genE3ELNS1_11target_archE908ELNS1_3gpuE7ELNS1_3repE0EEENS1_30default_config_static_selectorELNS0_4arch9wavefront6targetE0EEEvSY_
; %bb.0:
	.section	.rodata,"a",@progbits
	.p2align	6, 0x0
	.amdhsa_kernel _ZN7rocprim17ROCPRIM_400000_NS6detail17trampoline_kernelINS0_13select_configILj256ELj13ELNS0_17block_load_methodE3ELS4_3ELS4_3ELNS0_20block_scan_algorithmE0ELj4294967295EEENS1_25partition_config_selectorILNS1_17partition_subalgoE3EjNS0_10empty_typeEbEEZZNS1_14partition_implILS8_3ELb0ES6_jNS0_17counting_iteratorIjlEEPS9_SE_NS0_5tupleIJPjSE_EEENSF_IJSE_SE_EEES9_SG_JZNS1_25segmented_radix_sort_implINS0_14default_configELb0EPKhPhPKlPlN2at6native12_GLOBAL__N_18offset_tEEE10hipError_tPvRmT1_PNSt15iterator_traitsISY_E10value_typeET2_T3_PNSZ_IS14_E10value_typeET4_jRbjT5_S1A_jjP12ihipStream_tbEUljE_EEESV_SW_SX_S14_S18_S1A_T6_T7_T9_mT8_S1C_bDpT10_ENKUlT_T0_E_clISt17integral_constantIbLb0EES1P_EEDaS1K_S1L_EUlS1K_E_NS1_11comp_targetILNS1_3genE3ELNS1_11target_archE908ELNS1_3gpuE7ELNS1_3repE0EEENS1_30default_config_static_selectorELNS0_4arch9wavefront6targetE0EEEvSY_
		.amdhsa_group_segment_fixed_size 0
		.amdhsa_private_segment_fixed_size 0
		.amdhsa_kernarg_size 144
		.amdhsa_user_sgpr_count 15
		.amdhsa_user_sgpr_dispatch_ptr 0
		.amdhsa_user_sgpr_queue_ptr 0
		.amdhsa_user_sgpr_kernarg_segment_ptr 1
		.amdhsa_user_sgpr_dispatch_id 0
		.amdhsa_user_sgpr_private_segment_size 0
		.amdhsa_wavefront_size32 1
		.amdhsa_uses_dynamic_stack 0
		.amdhsa_enable_private_segment 0
		.amdhsa_system_sgpr_workgroup_id_x 1
		.amdhsa_system_sgpr_workgroup_id_y 0
		.amdhsa_system_sgpr_workgroup_id_z 0
		.amdhsa_system_sgpr_workgroup_info 0
		.amdhsa_system_vgpr_workitem_id 0
		.amdhsa_next_free_vgpr 1
		.amdhsa_next_free_sgpr 1
		.amdhsa_reserve_vcc 0
		.amdhsa_float_round_mode_32 0
		.amdhsa_float_round_mode_16_64 0
		.amdhsa_float_denorm_mode_32 3
		.amdhsa_float_denorm_mode_16_64 3
		.amdhsa_dx10_clamp 1
		.amdhsa_ieee_mode 1
		.amdhsa_fp16_overflow 0
		.amdhsa_workgroup_processor_mode 1
		.amdhsa_memory_ordered 1
		.amdhsa_forward_progress 0
		.amdhsa_shared_vgpr_count 0
		.amdhsa_exception_fp_ieee_invalid_op 0
		.amdhsa_exception_fp_denorm_src 0
		.amdhsa_exception_fp_ieee_div_zero 0
		.amdhsa_exception_fp_ieee_overflow 0
		.amdhsa_exception_fp_ieee_underflow 0
		.amdhsa_exception_fp_ieee_inexact 0
		.amdhsa_exception_int_div_zero 0
	.end_amdhsa_kernel
	.section	.text._ZN7rocprim17ROCPRIM_400000_NS6detail17trampoline_kernelINS0_13select_configILj256ELj13ELNS0_17block_load_methodE3ELS4_3ELS4_3ELNS0_20block_scan_algorithmE0ELj4294967295EEENS1_25partition_config_selectorILNS1_17partition_subalgoE3EjNS0_10empty_typeEbEEZZNS1_14partition_implILS8_3ELb0ES6_jNS0_17counting_iteratorIjlEEPS9_SE_NS0_5tupleIJPjSE_EEENSF_IJSE_SE_EEES9_SG_JZNS1_25segmented_radix_sort_implINS0_14default_configELb0EPKhPhPKlPlN2at6native12_GLOBAL__N_18offset_tEEE10hipError_tPvRmT1_PNSt15iterator_traitsISY_E10value_typeET2_T3_PNSZ_IS14_E10value_typeET4_jRbjT5_S1A_jjP12ihipStream_tbEUljE_EEESV_SW_SX_S14_S18_S1A_T6_T7_T9_mT8_S1C_bDpT10_ENKUlT_T0_E_clISt17integral_constantIbLb0EES1P_EEDaS1K_S1L_EUlS1K_E_NS1_11comp_targetILNS1_3genE3ELNS1_11target_archE908ELNS1_3gpuE7ELNS1_3repE0EEENS1_30default_config_static_selectorELNS0_4arch9wavefront6targetE0EEEvSY_,"axG",@progbits,_ZN7rocprim17ROCPRIM_400000_NS6detail17trampoline_kernelINS0_13select_configILj256ELj13ELNS0_17block_load_methodE3ELS4_3ELS4_3ELNS0_20block_scan_algorithmE0ELj4294967295EEENS1_25partition_config_selectorILNS1_17partition_subalgoE3EjNS0_10empty_typeEbEEZZNS1_14partition_implILS8_3ELb0ES6_jNS0_17counting_iteratorIjlEEPS9_SE_NS0_5tupleIJPjSE_EEENSF_IJSE_SE_EEES9_SG_JZNS1_25segmented_radix_sort_implINS0_14default_configELb0EPKhPhPKlPlN2at6native12_GLOBAL__N_18offset_tEEE10hipError_tPvRmT1_PNSt15iterator_traitsISY_E10value_typeET2_T3_PNSZ_IS14_E10value_typeET4_jRbjT5_S1A_jjP12ihipStream_tbEUljE_EEESV_SW_SX_S14_S18_S1A_T6_T7_T9_mT8_S1C_bDpT10_ENKUlT_T0_E_clISt17integral_constantIbLb0EES1P_EEDaS1K_S1L_EUlS1K_E_NS1_11comp_targetILNS1_3genE3ELNS1_11target_archE908ELNS1_3gpuE7ELNS1_3repE0EEENS1_30default_config_static_selectorELNS0_4arch9wavefront6targetE0EEEvSY_,comdat
.Lfunc_end157:
	.size	_ZN7rocprim17ROCPRIM_400000_NS6detail17trampoline_kernelINS0_13select_configILj256ELj13ELNS0_17block_load_methodE3ELS4_3ELS4_3ELNS0_20block_scan_algorithmE0ELj4294967295EEENS1_25partition_config_selectorILNS1_17partition_subalgoE3EjNS0_10empty_typeEbEEZZNS1_14partition_implILS8_3ELb0ES6_jNS0_17counting_iteratorIjlEEPS9_SE_NS0_5tupleIJPjSE_EEENSF_IJSE_SE_EEES9_SG_JZNS1_25segmented_radix_sort_implINS0_14default_configELb0EPKhPhPKlPlN2at6native12_GLOBAL__N_18offset_tEEE10hipError_tPvRmT1_PNSt15iterator_traitsISY_E10value_typeET2_T3_PNSZ_IS14_E10value_typeET4_jRbjT5_S1A_jjP12ihipStream_tbEUljE_EEESV_SW_SX_S14_S18_S1A_T6_T7_T9_mT8_S1C_bDpT10_ENKUlT_T0_E_clISt17integral_constantIbLb0EES1P_EEDaS1K_S1L_EUlS1K_E_NS1_11comp_targetILNS1_3genE3ELNS1_11target_archE908ELNS1_3gpuE7ELNS1_3repE0EEENS1_30default_config_static_selectorELNS0_4arch9wavefront6targetE0EEEvSY_, .Lfunc_end157-_ZN7rocprim17ROCPRIM_400000_NS6detail17trampoline_kernelINS0_13select_configILj256ELj13ELNS0_17block_load_methodE3ELS4_3ELS4_3ELNS0_20block_scan_algorithmE0ELj4294967295EEENS1_25partition_config_selectorILNS1_17partition_subalgoE3EjNS0_10empty_typeEbEEZZNS1_14partition_implILS8_3ELb0ES6_jNS0_17counting_iteratorIjlEEPS9_SE_NS0_5tupleIJPjSE_EEENSF_IJSE_SE_EEES9_SG_JZNS1_25segmented_radix_sort_implINS0_14default_configELb0EPKhPhPKlPlN2at6native12_GLOBAL__N_18offset_tEEE10hipError_tPvRmT1_PNSt15iterator_traitsISY_E10value_typeET2_T3_PNSZ_IS14_E10value_typeET4_jRbjT5_S1A_jjP12ihipStream_tbEUljE_EEESV_SW_SX_S14_S18_S1A_T6_T7_T9_mT8_S1C_bDpT10_ENKUlT_T0_E_clISt17integral_constantIbLb0EES1P_EEDaS1K_S1L_EUlS1K_E_NS1_11comp_targetILNS1_3genE3ELNS1_11target_archE908ELNS1_3gpuE7ELNS1_3repE0EEENS1_30default_config_static_selectorELNS0_4arch9wavefront6targetE0EEEvSY_
                                        ; -- End function
	.section	.AMDGPU.csdata,"",@progbits
; Kernel info:
; codeLenInByte = 0
; NumSgprs: 0
; NumVgprs: 0
; ScratchSize: 0
; MemoryBound: 0
; FloatMode: 240
; IeeeMode: 1
; LDSByteSize: 0 bytes/workgroup (compile time only)
; SGPRBlocks: 0
; VGPRBlocks: 0
; NumSGPRsForWavesPerEU: 1
; NumVGPRsForWavesPerEU: 1
; Occupancy: 16
; WaveLimiterHint : 0
; COMPUTE_PGM_RSRC2:SCRATCH_EN: 0
; COMPUTE_PGM_RSRC2:USER_SGPR: 15
; COMPUTE_PGM_RSRC2:TRAP_HANDLER: 0
; COMPUTE_PGM_RSRC2:TGID_X_EN: 1
; COMPUTE_PGM_RSRC2:TGID_Y_EN: 0
; COMPUTE_PGM_RSRC2:TGID_Z_EN: 0
; COMPUTE_PGM_RSRC2:TIDIG_COMP_CNT: 0
	.section	.text._ZN7rocprim17ROCPRIM_400000_NS6detail17trampoline_kernelINS0_13select_configILj256ELj13ELNS0_17block_load_methodE3ELS4_3ELS4_3ELNS0_20block_scan_algorithmE0ELj4294967295EEENS1_25partition_config_selectorILNS1_17partition_subalgoE3EjNS0_10empty_typeEbEEZZNS1_14partition_implILS8_3ELb0ES6_jNS0_17counting_iteratorIjlEEPS9_SE_NS0_5tupleIJPjSE_EEENSF_IJSE_SE_EEES9_SG_JZNS1_25segmented_radix_sort_implINS0_14default_configELb0EPKhPhPKlPlN2at6native12_GLOBAL__N_18offset_tEEE10hipError_tPvRmT1_PNSt15iterator_traitsISY_E10value_typeET2_T3_PNSZ_IS14_E10value_typeET4_jRbjT5_S1A_jjP12ihipStream_tbEUljE_EEESV_SW_SX_S14_S18_S1A_T6_T7_T9_mT8_S1C_bDpT10_ENKUlT_T0_E_clISt17integral_constantIbLb0EES1P_EEDaS1K_S1L_EUlS1K_E_NS1_11comp_targetILNS1_3genE2ELNS1_11target_archE906ELNS1_3gpuE6ELNS1_3repE0EEENS1_30default_config_static_selectorELNS0_4arch9wavefront6targetE0EEEvSY_,"axG",@progbits,_ZN7rocprim17ROCPRIM_400000_NS6detail17trampoline_kernelINS0_13select_configILj256ELj13ELNS0_17block_load_methodE3ELS4_3ELS4_3ELNS0_20block_scan_algorithmE0ELj4294967295EEENS1_25partition_config_selectorILNS1_17partition_subalgoE3EjNS0_10empty_typeEbEEZZNS1_14partition_implILS8_3ELb0ES6_jNS0_17counting_iteratorIjlEEPS9_SE_NS0_5tupleIJPjSE_EEENSF_IJSE_SE_EEES9_SG_JZNS1_25segmented_radix_sort_implINS0_14default_configELb0EPKhPhPKlPlN2at6native12_GLOBAL__N_18offset_tEEE10hipError_tPvRmT1_PNSt15iterator_traitsISY_E10value_typeET2_T3_PNSZ_IS14_E10value_typeET4_jRbjT5_S1A_jjP12ihipStream_tbEUljE_EEESV_SW_SX_S14_S18_S1A_T6_T7_T9_mT8_S1C_bDpT10_ENKUlT_T0_E_clISt17integral_constantIbLb0EES1P_EEDaS1K_S1L_EUlS1K_E_NS1_11comp_targetILNS1_3genE2ELNS1_11target_archE906ELNS1_3gpuE6ELNS1_3repE0EEENS1_30default_config_static_selectorELNS0_4arch9wavefront6targetE0EEEvSY_,comdat
	.globl	_ZN7rocprim17ROCPRIM_400000_NS6detail17trampoline_kernelINS0_13select_configILj256ELj13ELNS0_17block_load_methodE3ELS4_3ELS4_3ELNS0_20block_scan_algorithmE0ELj4294967295EEENS1_25partition_config_selectorILNS1_17partition_subalgoE3EjNS0_10empty_typeEbEEZZNS1_14partition_implILS8_3ELb0ES6_jNS0_17counting_iteratorIjlEEPS9_SE_NS0_5tupleIJPjSE_EEENSF_IJSE_SE_EEES9_SG_JZNS1_25segmented_radix_sort_implINS0_14default_configELb0EPKhPhPKlPlN2at6native12_GLOBAL__N_18offset_tEEE10hipError_tPvRmT1_PNSt15iterator_traitsISY_E10value_typeET2_T3_PNSZ_IS14_E10value_typeET4_jRbjT5_S1A_jjP12ihipStream_tbEUljE_EEESV_SW_SX_S14_S18_S1A_T6_T7_T9_mT8_S1C_bDpT10_ENKUlT_T0_E_clISt17integral_constantIbLb0EES1P_EEDaS1K_S1L_EUlS1K_E_NS1_11comp_targetILNS1_3genE2ELNS1_11target_archE906ELNS1_3gpuE6ELNS1_3repE0EEENS1_30default_config_static_selectorELNS0_4arch9wavefront6targetE0EEEvSY_ ; -- Begin function _ZN7rocprim17ROCPRIM_400000_NS6detail17trampoline_kernelINS0_13select_configILj256ELj13ELNS0_17block_load_methodE3ELS4_3ELS4_3ELNS0_20block_scan_algorithmE0ELj4294967295EEENS1_25partition_config_selectorILNS1_17partition_subalgoE3EjNS0_10empty_typeEbEEZZNS1_14partition_implILS8_3ELb0ES6_jNS0_17counting_iteratorIjlEEPS9_SE_NS0_5tupleIJPjSE_EEENSF_IJSE_SE_EEES9_SG_JZNS1_25segmented_radix_sort_implINS0_14default_configELb0EPKhPhPKlPlN2at6native12_GLOBAL__N_18offset_tEEE10hipError_tPvRmT1_PNSt15iterator_traitsISY_E10value_typeET2_T3_PNSZ_IS14_E10value_typeET4_jRbjT5_S1A_jjP12ihipStream_tbEUljE_EEESV_SW_SX_S14_S18_S1A_T6_T7_T9_mT8_S1C_bDpT10_ENKUlT_T0_E_clISt17integral_constantIbLb0EES1P_EEDaS1K_S1L_EUlS1K_E_NS1_11comp_targetILNS1_3genE2ELNS1_11target_archE906ELNS1_3gpuE6ELNS1_3repE0EEENS1_30default_config_static_selectorELNS0_4arch9wavefront6targetE0EEEvSY_
	.p2align	8
	.type	_ZN7rocprim17ROCPRIM_400000_NS6detail17trampoline_kernelINS0_13select_configILj256ELj13ELNS0_17block_load_methodE3ELS4_3ELS4_3ELNS0_20block_scan_algorithmE0ELj4294967295EEENS1_25partition_config_selectorILNS1_17partition_subalgoE3EjNS0_10empty_typeEbEEZZNS1_14partition_implILS8_3ELb0ES6_jNS0_17counting_iteratorIjlEEPS9_SE_NS0_5tupleIJPjSE_EEENSF_IJSE_SE_EEES9_SG_JZNS1_25segmented_radix_sort_implINS0_14default_configELb0EPKhPhPKlPlN2at6native12_GLOBAL__N_18offset_tEEE10hipError_tPvRmT1_PNSt15iterator_traitsISY_E10value_typeET2_T3_PNSZ_IS14_E10value_typeET4_jRbjT5_S1A_jjP12ihipStream_tbEUljE_EEESV_SW_SX_S14_S18_S1A_T6_T7_T9_mT8_S1C_bDpT10_ENKUlT_T0_E_clISt17integral_constantIbLb0EES1P_EEDaS1K_S1L_EUlS1K_E_NS1_11comp_targetILNS1_3genE2ELNS1_11target_archE906ELNS1_3gpuE6ELNS1_3repE0EEENS1_30default_config_static_selectorELNS0_4arch9wavefront6targetE0EEEvSY_,@function
_ZN7rocprim17ROCPRIM_400000_NS6detail17trampoline_kernelINS0_13select_configILj256ELj13ELNS0_17block_load_methodE3ELS4_3ELS4_3ELNS0_20block_scan_algorithmE0ELj4294967295EEENS1_25partition_config_selectorILNS1_17partition_subalgoE3EjNS0_10empty_typeEbEEZZNS1_14partition_implILS8_3ELb0ES6_jNS0_17counting_iteratorIjlEEPS9_SE_NS0_5tupleIJPjSE_EEENSF_IJSE_SE_EEES9_SG_JZNS1_25segmented_radix_sort_implINS0_14default_configELb0EPKhPhPKlPlN2at6native12_GLOBAL__N_18offset_tEEE10hipError_tPvRmT1_PNSt15iterator_traitsISY_E10value_typeET2_T3_PNSZ_IS14_E10value_typeET4_jRbjT5_S1A_jjP12ihipStream_tbEUljE_EEESV_SW_SX_S14_S18_S1A_T6_T7_T9_mT8_S1C_bDpT10_ENKUlT_T0_E_clISt17integral_constantIbLb0EES1P_EEDaS1K_S1L_EUlS1K_E_NS1_11comp_targetILNS1_3genE2ELNS1_11target_archE906ELNS1_3gpuE6ELNS1_3repE0EEENS1_30default_config_static_selectorELNS0_4arch9wavefront6targetE0EEEvSY_: ; @_ZN7rocprim17ROCPRIM_400000_NS6detail17trampoline_kernelINS0_13select_configILj256ELj13ELNS0_17block_load_methodE3ELS4_3ELS4_3ELNS0_20block_scan_algorithmE0ELj4294967295EEENS1_25partition_config_selectorILNS1_17partition_subalgoE3EjNS0_10empty_typeEbEEZZNS1_14partition_implILS8_3ELb0ES6_jNS0_17counting_iteratorIjlEEPS9_SE_NS0_5tupleIJPjSE_EEENSF_IJSE_SE_EEES9_SG_JZNS1_25segmented_radix_sort_implINS0_14default_configELb0EPKhPhPKlPlN2at6native12_GLOBAL__N_18offset_tEEE10hipError_tPvRmT1_PNSt15iterator_traitsISY_E10value_typeET2_T3_PNSZ_IS14_E10value_typeET4_jRbjT5_S1A_jjP12ihipStream_tbEUljE_EEESV_SW_SX_S14_S18_S1A_T6_T7_T9_mT8_S1C_bDpT10_ENKUlT_T0_E_clISt17integral_constantIbLb0EES1P_EEDaS1K_S1L_EUlS1K_E_NS1_11comp_targetILNS1_3genE2ELNS1_11target_archE906ELNS1_3gpuE6ELNS1_3repE0EEENS1_30default_config_static_selectorELNS0_4arch9wavefront6targetE0EEEvSY_
; %bb.0:
	.section	.rodata,"a",@progbits
	.p2align	6, 0x0
	.amdhsa_kernel _ZN7rocprim17ROCPRIM_400000_NS6detail17trampoline_kernelINS0_13select_configILj256ELj13ELNS0_17block_load_methodE3ELS4_3ELS4_3ELNS0_20block_scan_algorithmE0ELj4294967295EEENS1_25partition_config_selectorILNS1_17partition_subalgoE3EjNS0_10empty_typeEbEEZZNS1_14partition_implILS8_3ELb0ES6_jNS0_17counting_iteratorIjlEEPS9_SE_NS0_5tupleIJPjSE_EEENSF_IJSE_SE_EEES9_SG_JZNS1_25segmented_radix_sort_implINS0_14default_configELb0EPKhPhPKlPlN2at6native12_GLOBAL__N_18offset_tEEE10hipError_tPvRmT1_PNSt15iterator_traitsISY_E10value_typeET2_T3_PNSZ_IS14_E10value_typeET4_jRbjT5_S1A_jjP12ihipStream_tbEUljE_EEESV_SW_SX_S14_S18_S1A_T6_T7_T9_mT8_S1C_bDpT10_ENKUlT_T0_E_clISt17integral_constantIbLb0EES1P_EEDaS1K_S1L_EUlS1K_E_NS1_11comp_targetILNS1_3genE2ELNS1_11target_archE906ELNS1_3gpuE6ELNS1_3repE0EEENS1_30default_config_static_selectorELNS0_4arch9wavefront6targetE0EEEvSY_
		.amdhsa_group_segment_fixed_size 0
		.amdhsa_private_segment_fixed_size 0
		.amdhsa_kernarg_size 144
		.amdhsa_user_sgpr_count 15
		.amdhsa_user_sgpr_dispatch_ptr 0
		.amdhsa_user_sgpr_queue_ptr 0
		.amdhsa_user_sgpr_kernarg_segment_ptr 1
		.amdhsa_user_sgpr_dispatch_id 0
		.amdhsa_user_sgpr_private_segment_size 0
		.amdhsa_wavefront_size32 1
		.amdhsa_uses_dynamic_stack 0
		.amdhsa_enable_private_segment 0
		.amdhsa_system_sgpr_workgroup_id_x 1
		.amdhsa_system_sgpr_workgroup_id_y 0
		.amdhsa_system_sgpr_workgroup_id_z 0
		.amdhsa_system_sgpr_workgroup_info 0
		.amdhsa_system_vgpr_workitem_id 0
		.amdhsa_next_free_vgpr 1
		.amdhsa_next_free_sgpr 1
		.amdhsa_reserve_vcc 0
		.amdhsa_float_round_mode_32 0
		.amdhsa_float_round_mode_16_64 0
		.amdhsa_float_denorm_mode_32 3
		.amdhsa_float_denorm_mode_16_64 3
		.amdhsa_dx10_clamp 1
		.amdhsa_ieee_mode 1
		.amdhsa_fp16_overflow 0
		.amdhsa_workgroup_processor_mode 1
		.amdhsa_memory_ordered 1
		.amdhsa_forward_progress 0
		.amdhsa_shared_vgpr_count 0
		.amdhsa_exception_fp_ieee_invalid_op 0
		.amdhsa_exception_fp_denorm_src 0
		.amdhsa_exception_fp_ieee_div_zero 0
		.amdhsa_exception_fp_ieee_overflow 0
		.amdhsa_exception_fp_ieee_underflow 0
		.amdhsa_exception_fp_ieee_inexact 0
		.amdhsa_exception_int_div_zero 0
	.end_amdhsa_kernel
	.section	.text._ZN7rocprim17ROCPRIM_400000_NS6detail17trampoline_kernelINS0_13select_configILj256ELj13ELNS0_17block_load_methodE3ELS4_3ELS4_3ELNS0_20block_scan_algorithmE0ELj4294967295EEENS1_25partition_config_selectorILNS1_17partition_subalgoE3EjNS0_10empty_typeEbEEZZNS1_14partition_implILS8_3ELb0ES6_jNS0_17counting_iteratorIjlEEPS9_SE_NS0_5tupleIJPjSE_EEENSF_IJSE_SE_EEES9_SG_JZNS1_25segmented_radix_sort_implINS0_14default_configELb0EPKhPhPKlPlN2at6native12_GLOBAL__N_18offset_tEEE10hipError_tPvRmT1_PNSt15iterator_traitsISY_E10value_typeET2_T3_PNSZ_IS14_E10value_typeET4_jRbjT5_S1A_jjP12ihipStream_tbEUljE_EEESV_SW_SX_S14_S18_S1A_T6_T7_T9_mT8_S1C_bDpT10_ENKUlT_T0_E_clISt17integral_constantIbLb0EES1P_EEDaS1K_S1L_EUlS1K_E_NS1_11comp_targetILNS1_3genE2ELNS1_11target_archE906ELNS1_3gpuE6ELNS1_3repE0EEENS1_30default_config_static_selectorELNS0_4arch9wavefront6targetE0EEEvSY_,"axG",@progbits,_ZN7rocprim17ROCPRIM_400000_NS6detail17trampoline_kernelINS0_13select_configILj256ELj13ELNS0_17block_load_methodE3ELS4_3ELS4_3ELNS0_20block_scan_algorithmE0ELj4294967295EEENS1_25partition_config_selectorILNS1_17partition_subalgoE3EjNS0_10empty_typeEbEEZZNS1_14partition_implILS8_3ELb0ES6_jNS0_17counting_iteratorIjlEEPS9_SE_NS0_5tupleIJPjSE_EEENSF_IJSE_SE_EEES9_SG_JZNS1_25segmented_radix_sort_implINS0_14default_configELb0EPKhPhPKlPlN2at6native12_GLOBAL__N_18offset_tEEE10hipError_tPvRmT1_PNSt15iterator_traitsISY_E10value_typeET2_T3_PNSZ_IS14_E10value_typeET4_jRbjT5_S1A_jjP12ihipStream_tbEUljE_EEESV_SW_SX_S14_S18_S1A_T6_T7_T9_mT8_S1C_bDpT10_ENKUlT_T0_E_clISt17integral_constantIbLb0EES1P_EEDaS1K_S1L_EUlS1K_E_NS1_11comp_targetILNS1_3genE2ELNS1_11target_archE906ELNS1_3gpuE6ELNS1_3repE0EEENS1_30default_config_static_selectorELNS0_4arch9wavefront6targetE0EEEvSY_,comdat
.Lfunc_end158:
	.size	_ZN7rocprim17ROCPRIM_400000_NS6detail17trampoline_kernelINS0_13select_configILj256ELj13ELNS0_17block_load_methodE3ELS4_3ELS4_3ELNS0_20block_scan_algorithmE0ELj4294967295EEENS1_25partition_config_selectorILNS1_17partition_subalgoE3EjNS0_10empty_typeEbEEZZNS1_14partition_implILS8_3ELb0ES6_jNS0_17counting_iteratorIjlEEPS9_SE_NS0_5tupleIJPjSE_EEENSF_IJSE_SE_EEES9_SG_JZNS1_25segmented_radix_sort_implINS0_14default_configELb0EPKhPhPKlPlN2at6native12_GLOBAL__N_18offset_tEEE10hipError_tPvRmT1_PNSt15iterator_traitsISY_E10value_typeET2_T3_PNSZ_IS14_E10value_typeET4_jRbjT5_S1A_jjP12ihipStream_tbEUljE_EEESV_SW_SX_S14_S18_S1A_T6_T7_T9_mT8_S1C_bDpT10_ENKUlT_T0_E_clISt17integral_constantIbLb0EES1P_EEDaS1K_S1L_EUlS1K_E_NS1_11comp_targetILNS1_3genE2ELNS1_11target_archE906ELNS1_3gpuE6ELNS1_3repE0EEENS1_30default_config_static_selectorELNS0_4arch9wavefront6targetE0EEEvSY_, .Lfunc_end158-_ZN7rocprim17ROCPRIM_400000_NS6detail17trampoline_kernelINS0_13select_configILj256ELj13ELNS0_17block_load_methodE3ELS4_3ELS4_3ELNS0_20block_scan_algorithmE0ELj4294967295EEENS1_25partition_config_selectorILNS1_17partition_subalgoE3EjNS0_10empty_typeEbEEZZNS1_14partition_implILS8_3ELb0ES6_jNS0_17counting_iteratorIjlEEPS9_SE_NS0_5tupleIJPjSE_EEENSF_IJSE_SE_EEES9_SG_JZNS1_25segmented_radix_sort_implINS0_14default_configELb0EPKhPhPKlPlN2at6native12_GLOBAL__N_18offset_tEEE10hipError_tPvRmT1_PNSt15iterator_traitsISY_E10value_typeET2_T3_PNSZ_IS14_E10value_typeET4_jRbjT5_S1A_jjP12ihipStream_tbEUljE_EEESV_SW_SX_S14_S18_S1A_T6_T7_T9_mT8_S1C_bDpT10_ENKUlT_T0_E_clISt17integral_constantIbLb0EES1P_EEDaS1K_S1L_EUlS1K_E_NS1_11comp_targetILNS1_3genE2ELNS1_11target_archE906ELNS1_3gpuE6ELNS1_3repE0EEENS1_30default_config_static_selectorELNS0_4arch9wavefront6targetE0EEEvSY_
                                        ; -- End function
	.section	.AMDGPU.csdata,"",@progbits
; Kernel info:
; codeLenInByte = 0
; NumSgprs: 0
; NumVgprs: 0
; ScratchSize: 0
; MemoryBound: 0
; FloatMode: 240
; IeeeMode: 1
; LDSByteSize: 0 bytes/workgroup (compile time only)
; SGPRBlocks: 0
; VGPRBlocks: 0
; NumSGPRsForWavesPerEU: 1
; NumVGPRsForWavesPerEU: 1
; Occupancy: 16
; WaveLimiterHint : 0
; COMPUTE_PGM_RSRC2:SCRATCH_EN: 0
; COMPUTE_PGM_RSRC2:USER_SGPR: 15
; COMPUTE_PGM_RSRC2:TRAP_HANDLER: 0
; COMPUTE_PGM_RSRC2:TGID_X_EN: 1
; COMPUTE_PGM_RSRC2:TGID_Y_EN: 0
; COMPUTE_PGM_RSRC2:TGID_Z_EN: 0
; COMPUTE_PGM_RSRC2:TIDIG_COMP_CNT: 0
	.section	.text._ZN7rocprim17ROCPRIM_400000_NS6detail17trampoline_kernelINS0_13select_configILj256ELj13ELNS0_17block_load_methodE3ELS4_3ELS4_3ELNS0_20block_scan_algorithmE0ELj4294967295EEENS1_25partition_config_selectorILNS1_17partition_subalgoE3EjNS0_10empty_typeEbEEZZNS1_14partition_implILS8_3ELb0ES6_jNS0_17counting_iteratorIjlEEPS9_SE_NS0_5tupleIJPjSE_EEENSF_IJSE_SE_EEES9_SG_JZNS1_25segmented_radix_sort_implINS0_14default_configELb0EPKhPhPKlPlN2at6native12_GLOBAL__N_18offset_tEEE10hipError_tPvRmT1_PNSt15iterator_traitsISY_E10value_typeET2_T3_PNSZ_IS14_E10value_typeET4_jRbjT5_S1A_jjP12ihipStream_tbEUljE_EEESV_SW_SX_S14_S18_S1A_T6_T7_T9_mT8_S1C_bDpT10_ENKUlT_T0_E_clISt17integral_constantIbLb0EES1P_EEDaS1K_S1L_EUlS1K_E_NS1_11comp_targetILNS1_3genE10ELNS1_11target_archE1200ELNS1_3gpuE4ELNS1_3repE0EEENS1_30default_config_static_selectorELNS0_4arch9wavefront6targetE0EEEvSY_,"axG",@progbits,_ZN7rocprim17ROCPRIM_400000_NS6detail17trampoline_kernelINS0_13select_configILj256ELj13ELNS0_17block_load_methodE3ELS4_3ELS4_3ELNS0_20block_scan_algorithmE0ELj4294967295EEENS1_25partition_config_selectorILNS1_17partition_subalgoE3EjNS0_10empty_typeEbEEZZNS1_14partition_implILS8_3ELb0ES6_jNS0_17counting_iteratorIjlEEPS9_SE_NS0_5tupleIJPjSE_EEENSF_IJSE_SE_EEES9_SG_JZNS1_25segmented_radix_sort_implINS0_14default_configELb0EPKhPhPKlPlN2at6native12_GLOBAL__N_18offset_tEEE10hipError_tPvRmT1_PNSt15iterator_traitsISY_E10value_typeET2_T3_PNSZ_IS14_E10value_typeET4_jRbjT5_S1A_jjP12ihipStream_tbEUljE_EEESV_SW_SX_S14_S18_S1A_T6_T7_T9_mT8_S1C_bDpT10_ENKUlT_T0_E_clISt17integral_constantIbLb0EES1P_EEDaS1K_S1L_EUlS1K_E_NS1_11comp_targetILNS1_3genE10ELNS1_11target_archE1200ELNS1_3gpuE4ELNS1_3repE0EEENS1_30default_config_static_selectorELNS0_4arch9wavefront6targetE0EEEvSY_,comdat
	.globl	_ZN7rocprim17ROCPRIM_400000_NS6detail17trampoline_kernelINS0_13select_configILj256ELj13ELNS0_17block_load_methodE3ELS4_3ELS4_3ELNS0_20block_scan_algorithmE0ELj4294967295EEENS1_25partition_config_selectorILNS1_17partition_subalgoE3EjNS0_10empty_typeEbEEZZNS1_14partition_implILS8_3ELb0ES6_jNS0_17counting_iteratorIjlEEPS9_SE_NS0_5tupleIJPjSE_EEENSF_IJSE_SE_EEES9_SG_JZNS1_25segmented_radix_sort_implINS0_14default_configELb0EPKhPhPKlPlN2at6native12_GLOBAL__N_18offset_tEEE10hipError_tPvRmT1_PNSt15iterator_traitsISY_E10value_typeET2_T3_PNSZ_IS14_E10value_typeET4_jRbjT5_S1A_jjP12ihipStream_tbEUljE_EEESV_SW_SX_S14_S18_S1A_T6_T7_T9_mT8_S1C_bDpT10_ENKUlT_T0_E_clISt17integral_constantIbLb0EES1P_EEDaS1K_S1L_EUlS1K_E_NS1_11comp_targetILNS1_3genE10ELNS1_11target_archE1200ELNS1_3gpuE4ELNS1_3repE0EEENS1_30default_config_static_selectorELNS0_4arch9wavefront6targetE0EEEvSY_ ; -- Begin function _ZN7rocprim17ROCPRIM_400000_NS6detail17trampoline_kernelINS0_13select_configILj256ELj13ELNS0_17block_load_methodE3ELS4_3ELS4_3ELNS0_20block_scan_algorithmE0ELj4294967295EEENS1_25partition_config_selectorILNS1_17partition_subalgoE3EjNS0_10empty_typeEbEEZZNS1_14partition_implILS8_3ELb0ES6_jNS0_17counting_iteratorIjlEEPS9_SE_NS0_5tupleIJPjSE_EEENSF_IJSE_SE_EEES9_SG_JZNS1_25segmented_radix_sort_implINS0_14default_configELb0EPKhPhPKlPlN2at6native12_GLOBAL__N_18offset_tEEE10hipError_tPvRmT1_PNSt15iterator_traitsISY_E10value_typeET2_T3_PNSZ_IS14_E10value_typeET4_jRbjT5_S1A_jjP12ihipStream_tbEUljE_EEESV_SW_SX_S14_S18_S1A_T6_T7_T9_mT8_S1C_bDpT10_ENKUlT_T0_E_clISt17integral_constantIbLb0EES1P_EEDaS1K_S1L_EUlS1K_E_NS1_11comp_targetILNS1_3genE10ELNS1_11target_archE1200ELNS1_3gpuE4ELNS1_3repE0EEENS1_30default_config_static_selectorELNS0_4arch9wavefront6targetE0EEEvSY_
	.p2align	8
	.type	_ZN7rocprim17ROCPRIM_400000_NS6detail17trampoline_kernelINS0_13select_configILj256ELj13ELNS0_17block_load_methodE3ELS4_3ELS4_3ELNS0_20block_scan_algorithmE0ELj4294967295EEENS1_25partition_config_selectorILNS1_17partition_subalgoE3EjNS0_10empty_typeEbEEZZNS1_14partition_implILS8_3ELb0ES6_jNS0_17counting_iteratorIjlEEPS9_SE_NS0_5tupleIJPjSE_EEENSF_IJSE_SE_EEES9_SG_JZNS1_25segmented_radix_sort_implINS0_14default_configELb0EPKhPhPKlPlN2at6native12_GLOBAL__N_18offset_tEEE10hipError_tPvRmT1_PNSt15iterator_traitsISY_E10value_typeET2_T3_PNSZ_IS14_E10value_typeET4_jRbjT5_S1A_jjP12ihipStream_tbEUljE_EEESV_SW_SX_S14_S18_S1A_T6_T7_T9_mT8_S1C_bDpT10_ENKUlT_T0_E_clISt17integral_constantIbLb0EES1P_EEDaS1K_S1L_EUlS1K_E_NS1_11comp_targetILNS1_3genE10ELNS1_11target_archE1200ELNS1_3gpuE4ELNS1_3repE0EEENS1_30default_config_static_selectorELNS0_4arch9wavefront6targetE0EEEvSY_,@function
_ZN7rocprim17ROCPRIM_400000_NS6detail17trampoline_kernelINS0_13select_configILj256ELj13ELNS0_17block_load_methodE3ELS4_3ELS4_3ELNS0_20block_scan_algorithmE0ELj4294967295EEENS1_25partition_config_selectorILNS1_17partition_subalgoE3EjNS0_10empty_typeEbEEZZNS1_14partition_implILS8_3ELb0ES6_jNS0_17counting_iteratorIjlEEPS9_SE_NS0_5tupleIJPjSE_EEENSF_IJSE_SE_EEES9_SG_JZNS1_25segmented_radix_sort_implINS0_14default_configELb0EPKhPhPKlPlN2at6native12_GLOBAL__N_18offset_tEEE10hipError_tPvRmT1_PNSt15iterator_traitsISY_E10value_typeET2_T3_PNSZ_IS14_E10value_typeET4_jRbjT5_S1A_jjP12ihipStream_tbEUljE_EEESV_SW_SX_S14_S18_S1A_T6_T7_T9_mT8_S1C_bDpT10_ENKUlT_T0_E_clISt17integral_constantIbLb0EES1P_EEDaS1K_S1L_EUlS1K_E_NS1_11comp_targetILNS1_3genE10ELNS1_11target_archE1200ELNS1_3gpuE4ELNS1_3repE0EEENS1_30default_config_static_selectorELNS0_4arch9wavefront6targetE0EEEvSY_: ; @_ZN7rocprim17ROCPRIM_400000_NS6detail17trampoline_kernelINS0_13select_configILj256ELj13ELNS0_17block_load_methodE3ELS4_3ELS4_3ELNS0_20block_scan_algorithmE0ELj4294967295EEENS1_25partition_config_selectorILNS1_17partition_subalgoE3EjNS0_10empty_typeEbEEZZNS1_14partition_implILS8_3ELb0ES6_jNS0_17counting_iteratorIjlEEPS9_SE_NS0_5tupleIJPjSE_EEENSF_IJSE_SE_EEES9_SG_JZNS1_25segmented_radix_sort_implINS0_14default_configELb0EPKhPhPKlPlN2at6native12_GLOBAL__N_18offset_tEEE10hipError_tPvRmT1_PNSt15iterator_traitsISY_E10value_typeET2_T3_PNSZ_IS14_E10value_typeET4_jRbjT5_S1A_jjP12ihipStream_tbEUljE_EEESV_SW_SX_S14_S18_S1A_T6_T7_T9_mT8_S1C_bDpT10_ENKUlT_T0_E_clISt17integral_constantIbLb0EES1P_EEDaS1K_S1L_EUlS1K_E_NS1_11comp_targetILNS1_3genE10ELNS1_11target_archE1200ELNS1_3gpuE4ELNS1_3repE0EEENS1_30default_config_static_selectorELNS0_4arch9wavefront6targetE0EEEvSY_
; %bb.0:
	.section	.rodata,"a",@progbits
	.p2align	6, 0x0
	.amdhsa_kernel _ZN7rocprim17ROCPRIM_400000_NS6detail17trampoline_kernelINS0_13select_configILj256ELj13ELNS0_17block_load_methodE3ELS4_3ELS4_3ELNS0_20block_scan_algorithmE0ELj4294967295EEENS1_25partition_config_selectorILNS1_17partition_subalgoE3EjNS0_10empty_typeEbEEZZNS1_14partition_implILS8_3ELb0ES6_jNS0_17counting_iteratorIjlEEPS9_SE_NS0_5tupleIJPjSE_EEENSF_IJSE_SE_EEES9_SG_JZNS1_25segmented_radix_sort_implINS0_14default_configELb0EPKhPhPKlPlN2at6native12_GLOBAL__N_18offset_tEEE10hipError_tPvRmT1_PNSt15iterator_traitsISY_E10value_typeET2_T3_PNSZ_IS14_E10value_typeET4_jRbjT5_S1A_jjP12ihipStream_tbEUljE_EEESV_SW_SX_S14_S18_S1A_T6_T7_T9_mT8_S1C_bDpT10_ENKUlT_T0_E_clISt17integral_constantIbLb0EES1P_EEDaS1K_S1L_EUlS1K_E_NS1_11comp_targetILNS1_3genE10ELNS1_11target_archE1200ELNS1_3gpuE4ELNS1_3repE0EEENS1_30default_config_static_selectorELNS0_4arch9wavefront6targetE0EEEvSY_
		.amdhsa_group_segment_fixed_size 0
		.amdhsa_private_segment_fixed_size 0
		.amdhsa_kernarg_size 144
		.amdhsa_user_sgpr_count 15
		.amdhsa_user_sgpr_dispatch_ptr 0
		.amdhsa_user_sgpr_queue_ptr 0
		.amdhsa_user_sgpr_kernarg_segment_ptr 1
		.amdhsa_user_sgpr_dispatch_id 0
		.amdhsa_user_sgpr_private_segment_size 0
		.amdhsa_wavefront_size32 1
		.amdhsa_uses_dynamic_stack 0
		.amdhsa_enable_private_segment 0
		.amdhsa_system_sgpr_workgroup_id_x 1
		.amdhsa_system_sgpr_workgroup_id_y 0
		.amdhsa_system_sgpr_workgroup_id_z 0
		.amdhsa_system_sgpr_workgroup_info 0
		.amdhsa_system_vgpr_workitem_id 0
		.amdhsa_next_free_vgpr 1
		.amdhsa_next_free_sgpr 1
		.amdhsa_reserve_vcc 0
		.amdhsa_float_round_mode_32 0
		.amdhsa_float_round_mode_16_64 0
		.amdhsa_float_denorm_mode_32 3
		.amdhsa_float_denorm_mode_16_64 3
		.amdhsa_dx10_clamp 1
		.amdhsa_ieee_mode 1
		.amdhsa_fp16_overflow 0
		.amdhsa_workgroup_processor_mode 1
		.amdhsa_memory_ordered 1
		.amdhsa_forward_progress 0
		.amdhsa_shared_vgpr_count 0
		.amdhsa_exception_fp_ieee_invalid_op 0
		.amdhsa_exception_fp_denorm_src 0
		.amdhsa_exception_fp_ieee_div_zero 0
		.amdhsa_exception_fp_ieee_overflow 0
		.amdhsa_exception_fp_ieee_underflow 0
		.amdhsa_exception_fp_ieee_inexact 0
		.amdhsa_exception_int_div_zero 0
	.end_amdhsa_kernel
	.section	.text._ZN7rocprim17ROCPRIM_400000_NS6detail17trampoline_kernelINS0_13select_configILj256ELj13ELNS0_17block_load_methodE3ELS4_3ELS4_3ELNS0_20block_scan_algorithmE0ELj4294967295EEENS1_25partition_config_selectorILNS1_17partition_subalgoE3EjNS0_10empty_typeEbEEZZNS1_14partition_implILS8_3ELb0ES6_jNS0_17counting_iteratorIjlEEPS9_SE_NS0_5tupleIJPjSE_EEENSF_IJSE_SE_EEES9_SG_JZNS1_25segmented_radix_sort_implINS0_14default_configELb0EPKhPhPKlPlN2at6native12_GLOBAL__N_18offset_tEEE10hipError_tPvRmT1_PNSt15iterator_traitsISY_E10value_typeET2_T3_PNSZ_IS14_E10value_typeET4_jRbjT5_S1A_jjP12ihipStream_tbEUljE_EEESV_SW_SX_S14_S18_S1A_T6_T7_T9_mT8_S1C_bDpT10_ENKUlT_T0_E_clISt17integral_constantIbLb0EES1P_EEDaS1K_S1L_EUlS1K_E_NS1_11comp_targetILNS1_3genE10ELNS1_11target_archE1200ELNS1_3gpuE4ELNS1_3repE0EEENS1_30default_config_static_selectorELNS0_4arch9wavefront6targetE0EEEvSY_,"axG",@progbits,_ZN7rocprim17ROCPRIM_400000_NS6detail17trampoline_kernelINS0_13select_configILj256ELj13ELNS0_17block_load_methodE3ELS4_3ELS4_3ELNS0_20block_scan_algorithmE0ELj4294967295EEENS1_25partition_config_selectorILNS1_17partition_subalgoE3EjNS0_10empty_typeEbEEZZNS1_14partition_implILS8_3ELb0ES6_jNS0_17counting_iteratorIjlEEPS9_SE_NS0_5tupleIJPjSE_EEENSF_IJSE_SE_EEES9_SG_JZNS1_25segmented_radix_sort_implINS0_14default_configELb0EPKhPhPKlPlN2at6native12_GLOBAL__N_18offset_tEEE10hipError_tPvRmT1_PNSt15iterator_traitsISY_E10value_typeET2_T3_PNSZ_IS14_E10value_typeET4_jRbjT5_S1A_jjP12ihipStream_tbEUljE_EEESV_SW_SX_S14_S18_S1A_T6_T7_T9_mT8_S1C_bDpT10_ENKUlT_T0_E_clISt17integral_constantIbLb0EES1P_EEDaS1K_S1L_EUlS1K_E_NS1_11comp_targetILNS1_3genE10ELNS1_11target_archE1200ELNS1_3gpuE4ELNS1_3repE0EEENS1_30default_config_static_selectorELNS0_4arch9wavefront6targetE0EEEvSY_,comdat
.Lfunc_end159:
	.size	_ZN7rocprim17ROCPRIM_400000_NS6detail17trampoline_kernelINS0_13select_configILj256ELj13ELNS0_17block_load_methodE3ELS4_3ELS4_3ELNS0_20block_scan_algorithmE0ELj4294967295EEENS1_25partition_config_selectorILNS1_17partition_subalgoE3EjNS0_10empty_typeEbEEZZNS1_14partition_implILS8_3ELb0ES6_jNS0_17counting_iteratorIjlEEPS9_SE_NS0_5tupleIJPjSE_EEENSF_IJSE_SE_EEES9_SG_JZNS1_25segmented_radix_sort_implINS0_14default_configELb0EPKhPhPKlPlN2at6native12_GLOBAL__N_18offset_tEEE10hipError_tPvRmT1_PNSt15iterator_traitsISY_E10value_typeET2_T3_PNSZ_IS14_E10value_typeET4_jRbjT5_S1A_jjP12ihipStream_tbEUljE_EEESV_SW_SX_S14_S18_S1A_T6_T7_T9_mT8_S1C_bDpT10_ENKUlT_T0_E_clISt17integral_constantIbLb0EES1P_EEDaS1K_S1L_EUlS1K_E_NS1_11comp_targetILNS1_3genE10ELNS1_11target_archE1200ELNS1_3gpuE4ELNS1_3repE0EEENS1_30default_config_static_selectorELNS0_4arch9wavefront6targetE0EEEvSY_, .Lfunc_end159-_ZN7rocprim17ROCPRIM_400000_NS6detail17trampoline_kernelINS0_13select_configILj256ELj13ELNS0_17block_load_methodE3ELS4_3ELS4_3ELNS0_20block_scan_algorithmE0ELj4294967295EEENS1_25partition_config_selectorILNS1_17partition_subalgoE3EjNS0_10empty_typeEbEEZZNS1_14partition_implILS8_3ELb0ES6_jNS0_17counting_iteratorIjlEEPS9_SE_NS0_5tupleIJPjSE_EEENSF_IJSE_SE_EEES9_SG_JZNS1_25segmented_radix_sort_implINS0_14default_configELb0EPKhPhPKlPlN2at6native12_GLOBAL__N_18offset_tEEE10hipError_tPvRmT1_PNSt15iterator_traitsISY_E10value_typeET2_T3_PNSZ_IS14_E10value_typeET4_jRbjT5_S1A_jjP12ihipStream_tbEUljE_EEESV_SW_SX_S14_S18_S1A_T6_T7_T9_mT8_S1C_bDpT10_ENKUlT_T0_E_clISt17integral_constantIbLb0EES1P_EEDaS1K_S1L_EUlS1K_E_NS1_11comp_targetILNS1_3genE10ELNS1_11target_archE1200ELNS1_3gpuE4ELNS1_3repE0EEENS1_30default_config_static_selectorELNS0_4arch9wavefront6targetE0EEEvSY_
                                        ; -- End function
	.section	.AMDGPU.csdata,"",@progbits
; Kernel info:
; codeLenInByte = 0
; NumSgprs: 0
; NumVgprs: 0
; ScratchSize: 0
; MemoryBound: 0
; FloatMode: 240
; IeeeMode: 1
; LDSByteSize: 0 bytes/workgroup (compile time only)
; SGPRBlocks: 0
; VGPRBlocks: 0
; NumSGPRsForWavesPerEU: 1
; NumVGPRsForWavesPerEU: 1
; Occupancy: 16
; WaveLimiterHint : 0
; COMPUTE_PGM_RSRC2:SCRATCH_EN: 0
; COMPUTE_PGM_RSRC2:USER_SGPR: 15
; COMPUTE_PGM_RSRC2:TRAP_HANDLER: 0
; COMPUTE_PGM_RSRC2:TGID_X_EN: 1
; COMPUTE_PGM_RSRC2:TGID_Y_EN: 0
; COMPUTE_PGM_RSRC2:TGID_Z_EN: 0
; COMPUTE_PGM_RSRC2:TIDIG_COMP_CNT: 0
	.section	.text._ZN7rocprim17ROCPRIM_400000_NS6detail17trampoline_kernelINS0_13select_configILj256ELj13ELNS0_17block_load_methodE3ELS4_3ELS4_3ELNS0_20block_scan_algorithmE0ELj4294967295EEENS1_25partition_config_selectorILNS1_17partition_subalgoE3EjNS0_10empty_typeEbEEZZNS1_14partition_implILS8_3ELb0ES6_jNS0_17counting_iteratorIjlEEPS9_SE_NS0_5tupleIJPjSE_EEENSF_IJSE_SE_EEES9_SG_JZNS1_25segmented_radix_sort_implINS0_14default_configELb0EPKhPhPKlPlN2at6native12_GLOBAL__N_18offset_tEEE10hipError_tPvRmT1_PNSt15iterator_traitsISY_E10value_typeET2_T3_PNSZ_IS14_E10value_typeET4_jRbjT5_S1A_jjP12ihipStream_tbEUljE_EEESV_SW_SX_S14_S18_S1A_T6_T7_T9_mT8_S1C_bDpT10_ENKUlT_T0_E_clISt17integral_constantIbLb0EES1P_EEDaS1K_S1L_EUlS1K_E_NS1_11comp_targetILNS1_3genE9ELNS1_11target_archE1100ELNS1_3gpuE3ELNS1_3repE0EEENS1_30default_config_static_selectorELNS0_4arch9wavefront6targetE0EEEvSY_,"axG",@progbits,_ZN7rocprim17ROCPRIM_400000_NS6detail17trampoline_kernelINS0_13select_configILj256ELj13ELNS0_17block_load_methodE3ELS4_3ELS4_3ELNS0_20block_scan_algorithmE0ELj4294967295EEENS1_25partition_config_selectorILNS1_17partition_subalgoE3EjNS0_10empty_typeEbEEZZNS1_14partition_implILS8_3ELb0ES6_jNS0_17counting_iteratorIjlEEPS9_SE_NS0_5tupleIJPjSE_EEENSF_IJSE_SE_EEES9_SG_JZNS1_25segmented_radix_sort_implINS0_14default_configELb0EPKhPhPKlPlN2at6native12_GLOBAL__N_18offset_tEEE10hipError_tPvRmT1_PNSt15iterator_traitsISY_E10value_typeET2_T3_PNSZ_IS14_E10value_typeET4_jRbjT5_S1A_jjP12ihipStream_tbEUljE_EEESV_SW_SX_S14_S18_S1A_T6_T7_T9_mT8_S1C_bDpT10_ENKUlT_T0_E_clISt17integral_constantIbLb0EES1P_EEDaS1K_S1L_EUlS1K_E_NS1_11comp_targetILNS1_3genE9ELNS1_11target_archE1100ELNS1_3gpuE3ELNS1_3repE0EEENS1_30default_config_static_selectorELNS0_4arch9wavefront6targetE0EEEvSY_,comdat
	.globl	_ZN7rocprim17ROCPRIM_400000_NS6detail17trampoline_kernelINS0_13select_configILj256ELj13ELNS0_17block_load_methodE3ELS4_3ELS4_3ELNS0_20block_scan_algorithmE0ELj4294967295EEENS1_25partition_config_selectorILNS1_17partition_subalgoE3EjNS0_10empty_typeEbEEZZNS1_14partition_implILS8_3ELb0ES6_jNS0_17counting_iteratorIjlEEPS9_SE_NS0_5tupleIJPjSE_EEENSF_IJSE_SE_EEES9_SG_JZNS1_25segmented_radix_sort_implINS0_14default_configELb0EPKhPhPKlPlN2at6native12_GLOBAL__N_18offset_tEEE10hipError_tPvRmT1_PNSt15iterator_traitsISY_E10value_typeET2_T3_PNSZ_IS14_E10value_typeET4_jRbjT5_S1A_jjP12ihipStream_tbEUljE_EEESV_SW_SX_S14_S18_S1A_T6_T7_T9_mT8_S1C_bDpT10_ENKUlT_T0_E_clISt17integral_constantIbLb0EES1P_EEDaS1K_S1L_EUlS1K_E_NS1_11comp_targetILNS1_3genE9ELNS1_11target_archE1100ELNS1_3gpuE3ELNS1_3repE0EEENS1_30default_config_static_selectorELNS0_4arch9wavefront6targetE0EEEvSY_ ; -- Begin function _ZN7rocprim17ROCPRIM_400000_NS6detail17trampoline_kernelINS0_13select_configILj256ELj13ELNS0_17block_load_methodE3ELS4_3ELS4_3ELNS0_20block_scan_algorithmE0ELj4294967295EEENS1_25partition_config_selectorILNS1_17partition_subalgoE3EjNS0_10empty_typeEbEEZZNS1_14partition_implILS8_3ELb0ES6_jNS0_17counting_iteratorIjlEEPS9_SE_NS0_5tupleIJPjSE_EEENSF_IJSE_SE_EEES9_SG_JZNS1_25segmented_radix_sort_implINS0_14default_configELb0EPKhPhPKlPlN2at6native12_GLOBAL__N_18offset_tEEE10hipError_tPvRmT1_PNSt15iterator_traitsISY_E10value_typeET2_T3_PNSZ_IS14_E10value_typeET4_jRbjT5_S1A_jjP12ihipStream_tbEUljE_EEESV_SW_SX_S14_S18_S1A_T6_T7_T9_mT8_S1C_bDpT10_ENKUlT_T0_E_clISt17integral_constantIbLb0EES1P_EEDaS1K_S1L_EUlS1K_E_NS1_11comp_targetILNS1_3genE9ELNS1_11target_archE1100ELNS1_3gpuE3ELNS1_3repE0EEENS1_30default_config_static_selectorELNS0_4arch9wavefront6targetE0EEEvSY_
	.p2align	8
	.type	_ZN7rocprim17ROCPRIM_400000_NS6detail17trampoline_kernelINS0_13select_configILj256ELj13ELNS0_17block_load_methodE3ELS4_3ELS4_3ELNS0_20block_scan_algorithmE0ELj4294967295EEENS1_25partition_config_selectorILNS1_17partition_subalgoE3EjNS0_10empty_typeEbEEZZNS1_14partition_implILS8_3ELb0ES6_jNS0_17counting_iteratorIjlEEPS9_SE_NS0_5tupleIJPjSE_EEENSF_IJSE_SE_EEES9_SG_JZNS1_25segmented_radix_sort_implINS0_14default_configELb0EPKhPhPKlPlN2at6native12_GLOBAL__N_18offset_tEEE10hipError_tPvRmT1_PNSt15iterator_traitsISY_E10value_typeET2_T3_PNSZ_IS14_E10value_typeET4_jRbjT5_S1A_jjP12ihipStream_tbEUljE_EEESV_SW_SX_S14_S18_S1A_T6_T7_T9_mT8_S1C_bDpT10_ENKUlT_T0_E_clISt17integral_constantIbLb0EES1P_EEDaS1K_S1L_EUlS1K_E_NS1_11comp_targetILNS1_3genE9ELNS1_11target_archE1100ELNS1_3gpuE3ELNS1_3repE0EEENS1_30default_config_static_selectorELNS0_4arch9wavefront6targetE0EEEvSY_,@function
_ZN7rocprim17ROCPRIM_400000_NS6detail17trampoline_kernelINS0_13select_configILj256ELj13ELNS0_17block_load_methodE3ELS4_3ELS4_3ELNS0_20block_scan_algorithmE0ELj4294967295EEENS1_25partition_config_selectorILNS1_17partition_subalgoE3EjNS0_10empty_typeEbEEZZNS1_14partition_implILS8_3ELb0ES6_jNS0_17counting_iteratorIjlEEPS9_SE_NS0_5tupleIJPjSE_EEENSF_IJSE_SE_EEES9_SG_JZNS1_25segmented_radix_sort_implINS0_14default_configELb0EPKhPhPKlPlN2at6native12_GLOBAL__N_18offset_tEEE10hipError_tPvRmT1_PNSt15iterator_traitsISY_E10value_typeET2_T3_PNSZ_IS14_E10value_typeET4_jRbjT5_S1A_jjP12ihipStream_tbEUljE_EEESV_SW_SX_S14_S18_S1A_T6_T7_T9_mT8_S1C_bDpT10_ENKUlT_T0_E_clISt17integral_constantIbLb0EES1P_EEDaS1K_S1L_EUlS1K_E_NS1_11comp_targetILNS1_3genE9ELNS1_11target_archE1100ELNS1_3gpuE3ELNS1_3repE0EEENS1_30default_config_static_selectorELNS0_4arch9wavefront6targetE0EEEvSY_: ; @_ZN7rocprim17ROCPRIM_400000_NS6detail17trampoline_kernelINS0_13select_configILj256ELj13ELNS0_17block_load_methodE3ELS4_3ELS4_3ELNS0_20block_scan_algorithmE0ELj4294967295EEENS1_25partition_config_selectorILNS1_17partition_subalgoE3EjNS0_10empty_typeEbEEZZNS1_14partition_implILS8_3ELb0ES6_jNS0_17counting_iteratorIjlEEPS9_SE_NS0_5tupleIJPjSE_EEENSF_IJSE_SE_EEES9_SG_JZNS1_25segmented_radix_sort_implINS0_14default_configELb0EPKhPhPKlPlN2at6native12_GLOBAL__N_18offset_tEEE10hipError_tPvRmT1_PNSt15iterator_traitsISY_E10value_typeET2_T3_PNSZ_IS14_E10value_typeET4_jRbjT5_S1A_jjP12ihipStream_tbEUljE_EEESV_SW_SX_S14_S18_S1A_T6_T7_T9_mT8_S1C_bDpT10_ENKUlT_T0_E_clISt17integral_constantIbLb0EES1P_EEDaS1K_S1L_EUlS1K_E_NS1_11comp_targetILNS1_3genE9ELNS1_11target_archE1100ELNS1_3gpuE3ELNS1_3repE0EEENS1_30default_config_static_selectorELNS0_4arch9wavefront6targetE0EEEvSY_
; %bb.0:
	s_clause 0x5
	s_load_b32 s2, s[0:1], 0x70
	s_load_b64 s[16:17], s[0:1], 0x10
	s_load_b64 s[12:13], s[0:1], 0x58
	s_load_b32 s18, s[0:1], 0x8
	s_load_b128 s[8:11], s[0:1], 0x48
	s_load_b128 s[4:7], s[0:1], 0x78
	s_mul_i32 s23, s15, 0xd00
	v_lshlrev_b32_e32 v30, 2, v0
	s_waitcnt lgkmcnt(0)
	s_mul_i32 s20, s2, 0xd00
	s_add_i32 s19, s2, -1
	s_add_u32 s2, s16, s20
	s_addc_u32 s3, s17, 0
	s_cmp_eq_u32 s15, s19
	v_cmp_lt_u64_e64 s3, s[2:3], s[12:13]
	s_cselect_b32 s14, -1, 0
	s_cmp_lg_u32 s15, s19
	s_cselect_b32 s21, -1, 0
	s_add_i32 s2, s18, s23
	s_delay_alu instid0(VALU_DEP_1)
	s_or_b32 s3, s21, s3
	s_add_i32 s18, s2, s16
	s_load_b32 s2, s[0:1], 0x88
	v_add_nc_u32_e32 v1, s18, v0
	s_load_b64 s[18:19], s[10:11], 0x0
	s_and_b32 vcc_lo, exec_lo, s3
	s_mov_b32 s10, -1
	s_delay_alu instid0(VALU_DEP_1)
	v_add_nc_u32_e32 v2, 0x100, v1
	v_add_nc_u32_e32 v3, 0x200, v1
	;; [unrolled: 1-line block ×12, first 2 shown]
	s_cbranch_vccz .LBB160_2
; %bb.1:
	ds_store_2addr_stride64_b32 v30, v1, v2 offset1:4
	ds_store_2addr_stride64_b32 v30, v3, v4 offset0:8 offset1:12
	ds_store_2addr_stride64_b32 v30, v5, v6 offset0:16 offset1:20
	;; [unrolled: 1-line block ×5, first 2 shown]
	ds_store_b32 v30, v13 offset:12288
	s_waitcnt lgkmcnt(0)
	s_mov_b32 s10, 0
	s_barrier
.LBB160_2:
	s_and_not1_b32 vcc_lo, exec_lo, s10
	s_add_i32 s20, s20, s16
	s_cbranch_vccnz .LBB160_4
; %bb.3:
	ds_store_2addr_stride64_b32 v30, v1, v2 offset1:4
	ds_store_2addr_stride64_b32 v30, v3, v4 offset0:8 offset1:12
	ds_store_2addr_stride64_b32 v30, v5, v6 offset0:16 offset1:20
	;; [unrolled: 1-line block ×5, first 2 shown]
	ds_store_b32 v30, v13 offset:12288
	s_waitcnt lgkmcnt(0)
	s_barrier
.LBB160_4:
	v_mul_u32_u24_e32 v33, 13, v0
	s_waitcnt lgkmcnt(0)
	buffer_gl0_inv
	v_cndmask_b32_e64 v31, 0, 1, s3
	s_sub_i32 s22, s12, s20
	s_and_not1_b32 vcc_lo, exec_lo, s3
	v_lshlrev_b32_e32 v1, 2, v33
	ds_load_2addr_b32 v[28:29], v1 offset1:1
	ds_load_2addr_b32 v[26:27], v1 offset0:2 offset1:3
	ds_load_2addr_b32 v[24:25], v1 offset0:4 offset1:5
	;; [unrolled: 1-line block ×5, first 2 shown]
	ds_load_b32 v32, v1 offset:48
	s_waitcnt lgkmcnt(0)
	s_barrier
	buffer_gl0_inv
	s_cbranch_vccnz .LBB160_6
; %bb.5:
	v_add_nc_u32_e32 v1, s5, v28
	v_add_nc_u32_e32 v2, s7, v28
	;; [unrolled: 1-line block ×5, first 2 shown]
	v_mul_lo_u32 v1, v1, s4
	v_mul_lo_u32 v2, v2, s6
	;; [unrolled: 1-line block ×4, first 2 shown]
	v_add_nc_u32_e32 v6, s7, v26
	v_add_nc_u32_e32 v7, s5, v27
	;; [unrolled: 1-line block ×3, first 2 shown]
	v_mul_lo_u32 v5, v5, s4
	v_add_nc_u32_e32 v9, s5, v22
	v_sub_nc_u32_e32 v1, v1, v2
	v_mul_lo_u32 v2, v6, s6
	v_sub_nc_u32_e32 v3, v3, v4
	v_mul_lo_u32 v4, v7, s4
	v_mul_lo_u32 v6, v8, s6
	v_add_nc_u32_e32 v7, s5, v24
	v_cmp_lt_u32_e32 vcc_lo, s2, v1
	v_add_nc_u32_e32 v8, s5, v25
	v_add_nc_u32_e32 v10, s7, v22
	v_sub_nc_u32_e32 v2, v5, v2
	v_add_nc_u32_e32 v5, s7, v24
	v_cndmask_b32_e64 v1, 0, 1, vcc_lo
	v_sub_nc_u32_e32 v4, v4, v6
	v_mul_lo_u32 v6, v7, s4
	v_add_nc_u32_e32 v7, s7, v25
	v_cmp_lt_u32_e32 vcc_lo, s2, v3
	v_mul_lo_u32 v5, v5, s6
	v_mul_lo_u32 v8, v8, s4
	;; [unrolled: 1-line block ×4, first 2 shown]
	v_cndmask_b32_e64 v3, 0, 1, vcc_lo
	v_cmp_lt_u32_e32 vcc_lo, s2, v2
	v_mul_lo_u32 v10, v10, s6
	v_add_nc_u32_e32 v11, s5, v20
	v_sub_nc_u32_e32 v5, v6, v5
	v_add_nc_u32_e32 v12, s7, v20
	v_cndmask_b32_e64 v2, 0, 1, vcc_lo
	v_sub_nc_u32_e32 v6, v8, v7
	v_add_nc_u32_e32 v7, s5, v23
	v_add_nc_u32_e32 v8, s7, v23
	v_cmp_lt_u32_e32 vcc_lo, s2, v4
	v_sub_nc_u32_e32 v9, v9, v10
	v_mul_lo_u32 v10, v11, s4
	v_mul_lo_u32 v7, v7, s4
	;; [unrolled: 1-line block ×4, first 2 shown]
	v_cndmask_b32_e64 v4, 0, 1, vcc_lo
	v_cmp_lt_u32_e32 vcc_lo, s2, v5
	v_add_nc_u32_e32 v12, s5, v21
	v_add_nc_u32_e32 v13, s7, v18
	;; [unrolled: 1-line block ×4, first 2 shown]
	v_cndmask_b32_e64 v5, 0, 1, vcc_lo
	v_cmp_lt_u32_e32 vcc_lo, s2, v6
	v_sub_nc_u32_e32 v7, v7, v8
	v_sub_nc_u32_e32 v8, v10, v11
	v_add_nc_u32_e32 v11, s7, v21
	v_mul_lo_u32 v10, v12, s4
	v_cndmask_b32_e64 v6, 0, 1, vcc_lo
	v_cmp_lt_u32_e32 vcc_lo, s2, v9
	v_add_nc_u32_e32 v12, s5, v18
	v_mul_lo_u32 v11, v11, s6
	v_mul_lo_u32 v13, v13, s6
	;; [unrolled: 1-line block ×3, first 2 shown]
	v_cndmask_b32_e64 v9, 0, 1, vcc_lo
	v_cmp_lt_u32_e32 vcc_lo, s2, v7
	v_mul_lo_u32 v12, v12, s4
	v_mul_lo_u32 v15, v15, s6
	v_lshlrev_b16 v3, 8, v3
	v_sub_nc_u32_e32 v10, v10, v11
	v_cndmask_b32_e64 v7, 0, 1, vcc_lo
	v_cmp_lt_u32_e32 vcc_lo, s2, v8
	v_add_nc_u32_e32 v11, s5, v32
	v_or_b32_e32 v1, v1, v3
	v_sub_nc_u32_e32 v12, v12, v13
	v_sub_nc_u32_e32 v13, v14, v15
	v_cndmask_b32_e64 v8, 0, 1, vcc_lo
	v_cmp_lt_u32_e32 vcc_lo, s2, v10
	v_add_nc_u32_e32 v16, s7, v32
	v_mul_lo_u32 v11, v11, s4
	v_lshlrev_b16 v4, 8, v4
	v_lshlrev_b16 v6, 8, v6
	v_cndmask_b32_e64 v10, 0, 1, vcc_lo
	v_cmp_lt_u32_e32 vcc_lo, s2, v12
	v_mul_lo_u32 v14, v16, s6
	v_lshlrev_b16 v7, 8, v7
	v_or_b32_e32 v2, v2, v4
	v_lshlrev_b16 v10, 8, v10
	v_cndmask_b32_e64 v3, 0, 1, vcc_lo
	v_cmp_lt_u32_e32 vcc_lo, s2, v13
	v_or_b32_e32 v4, v5, v6
	v_or_b32_e32 v5, v9, v7
	v_sub_nc_u32_e32 v11, v11, v14
	v_or_b32_e32 v6, v8, v10
	v_cndmask_b32_e64 v12, 0, 1, vcc_lo
	v_and_b32_e32 v1, 0xffff, v1
	v_lshlrev_b32_e32 v2, 16, v2
	v_and_b32_e32 v4, 0xffff, v4
	v_lshlrev_b32_e32 v5, 16, v5
	v_lshlrev_b16 v12, 8, v12
	v_and_b32_e32 v6, 0xffff, v6
	v_cmp_lt_u32_e32 vcc_lo, s2, v11
	v_or_b32_e32 v39, v1, v2
	v_or_b32_e32 v37, v4, v5
	;; [unrolled: 1-line block ×3, first 2 shown]
	s_mov_b32 s3, 0
	v_cndmask_b32_e64 v34, 0, 1, vcc_lo
	s_delay_alu instid0(VALU_DEP_2) | instskip(NEXT) | instid1(VALU_DEP_1)
	v_lshlrev_b32_e32 v3, 16, v3
	v_or_b32_e32 v35, v6, v3
	s_branch .LBB160_7
.LBB160_6:
	s_mov_b32 s3, -1
                                        ; implicit-def: $vgpr34
                                        ; implicit-def: $vgpr35
                                        ; implicit-def: $vgpr37
                                        ; implicit-def: $vgpr39
.LBB160_7:
	s_clause 0x1
	s_load_b64 s[10:11], s[0:1], 0x28
	s_load_b64 s[20:21], s[0:1], 0x68
	s_and_not1_b32 vcc_lo, exec_lo, s3
	s_addk_i32 s22, 0xd00
	s_cbranch_vccnz .LBB160_35
; %bb.8:
	v_dual_mov_b32 v2, 0 :: v_dual_mov_b32 v1, 0
	s_mov_b32 s0, exec_lo
	v_cmpx_gt_u32_e64 s22, v33
; %bb.9:
	v_add_nc_u32_e32 v1, s5, v28
	v_add_nc_u32_e32 v3, s7, v28
	s_delay_alu instid0(VALU_DEP_2) | instskip(NEXT) | instid1(VALU_DEP_2)
	v_mul_lo_u32 v1, v1, s4
	v_mul_lo_u32 v3, v3, s6
	s_delay_alu instid0(VALU_DEP_1) | instskip(NEXT) | instid1(VALU_DEP_1)
	v_sub_nc_u32_e32 v1, v1, v3
	v_cmp_lt_u32_e32 vcc_lo, s2, v1
	v_cndmask_b32_e64 v1, 0, 1, vcc_lo
; %bb.10:
	s_or_b32 exec_lo, exec_lo, s0
	v_add_nc_u32_e32 v3, 1, v33
	s_mov_b32 s0, exec_lo
	s_delay_alu instid0(VALU_DEP_1)
	v_cmpx_gt_u32_e64 s22, v3
; %bb.11:
	v_add_nc_u32_e32 v2, s5, v29
	v_add_nc_u32_e32 v3, s7, v29
	s_delay_alu instid0(VALU_DEP_2) | instskip(NEXT) | instid1(VALU_DEP_2)
	v_mul_lo_u32 v2, v2, s4
	v_mul_lo_u32 v3, v3, s6
	s_delay_alu instid0(VALU_DEP_1) | instskip(NEXT) | instid1(VALU_DEP_1)
	v_sub_nc_u32_e32 v2, v2, v3
	v_cmp_lt_u32_e32 vcc_lo, s2, v2
	v_cndmask_b32_e64 v2, 0, 1, vcc_lo
; %bb.12:
	s_or_b32 exec_lo, exec_lo, s0
	v_dual_mov_b32 v4, 0 :: v_dual_add_nc_u32 v3, 2, v33
	s_delay_alu instid0(VALU_DEP_1)
	v_cmp_gt_u32_e32 vcc_lo, s22, v3
	v_mov_b32_e32 v3, 0
	s_and_saveexec_b32 s0, vcc_lo
; %bb.13:
	v_add_nc_u32_e32 v3, s5, v26
	v_add_nc_u32_e32 v5, s7, v26
	s_delay_alu instid0(VALU_DEP_2) | instskip(NEXT) | instid1(VALU_DEP_2)
	v_mul_lo_u32 v3, v3, s4
	v_mul_lo_u32 v5, v5, s6
	s_delay_alu instid0(VALU_DEP_1) | instskip(NEXT) | instid1(VALU_DEP_1)
	v_sub_nc_u32_e32 v3, v3, v5
	v_cmp_lt_u32_e32 vcc_lo, s2, v3
	v_cndmask_b32_e64 v3, 0, 1, vcc_lo
; %bb.14:
	s_or_b32 exec_lo, exec_lo, s0
	v_add_nc_u32_e32 v5, 3, v33
	s_mov_b32 s0, exec_lo
	s_delay_alu instid0(VALU_DEP_1)
	v_cmpx_gt_u32_e64 s22, v5
; %bb.15:
	v_add_nc_u32_e32 v4, s5, v27
	v_add_nc_u32_e32 v5, s7, v27
	s_delay_alu instid0(VALU_DEP_2) | instskip(NEXT) | instid1(VALU_DEP_2)
	v_mul_lo_u32 v4, v4, s4
	v_mul_lo_u32 v5, v5, s6
	s_delay_alu instid0(VALU_DEP_1) | instskip(NEXT) | instid1(VALU_DEP_1)
	v_sub_nc_u32_e32 v4, v4, v5
	v_cmp_lt_u32_e32 vcc_lo, s2, v4
	v_cndmask_b32_e64 v4, 0, 1, vcc_lo
; %bb.16:
	s_or_b32 exec_lo, exec_lo, s0
	v_dual_mov_b32 v6, 0 :: v_dual_add_nc_u32 v5, 4, v33
	s_delay_alu instid0(VALU_DEP_1)
	v_cmp_gt_u32_e32 vcc_lo, s22, v5
	v_mov_b32_e32 v5, 0
	s_and_saveexec_b32 s0, vcc_lo
	;; [unrolled: 33-line block ×5, first 2 shown]
; %bb.29:
	v_add_nc_u32_e32 v11, s5, v18
	v_add_nc_u32_e32 v13, s7, v18
	s_delay_alu instid0(VALU_DEP_2) | instskip(NEXT) | instid1(VALU_DEP_2)
	v_mul_lo_u32 v11, v11, s4
	v_mul_lo_u32 v13, v13, s6
	s_delay_alu instid0(VALU_DEP_1) | instskip(NEXT) | instid1(VALU_DEP_1)
	v_sub_nc_u32_e32 v11, v11, v13
	v_cmp_lt_u32_e32 vcc_lo, s2, v11
	v_cndmask_b32_e64 v11, 0, 1, vcc_lo
; %bb.30:
	s_or_b32 exec_lo, exec_lo, s0
	v_add_nc_u32_e32 v13, 11, v33
	s_mov_b32 s0, exec_lo
	s_delay_alu instid0(VALU_DEP_1)
	v_cmpx_gt_u32_e64 s22, v13
; %bb.31:
	v_add_nc_u32_e32 v12, s5, v19
	v_add_nc_u32_e32 v13, s7, v19
	s_delay_alu instid0(VALU_DEP_2) | instskip(NEXT) | instid1(VALU_DEP_2)
	v_mul_lo_u32 v12, v12, s4
	v_mul_lo_u32 v13, v13, s6
	s_delay_alu instid0(VALU_DEP_1) | instskip(NEXT) | instid1(VALU_DEP_1)
	v_sub_nc_u32_e32 v12, v12, v13
	v_cmp_lt_u32_e32 vcc_lo, s2, v12
	v_cndmask_b32_e64 v12, 0, 1, vcc_lo
; %bb.32:
	s_or_b32 exec_lo, exec_lo, s0
	v_dual_mov_b32 v34, 0 :: v_dual_add_nc_u32 v13, 12, v33
	s_mov_b32 s0, exec_lo
	s_delay_alu instid0(VALU_DEP_1)
	v_cmpx_gt_u32_e64 s22, v13
; %bb.33:
	v_add_nc_u32_e32 v13, s5, v32
	v_add_nc_u32_e32 v14, s7, v32
	s_delay_alu instid0(VALU_DEP_2) | instskip(NEXT) | instid1(VALU_DEP_2)
	v_mul_lo_u32 v13, v13, s4
	v_mul_lo_u32 v14, v14, s6
	s_delay_alu instid0(VALU_DEP_1) | instskip(NEXT) | instid1(VALU_DEP_1)
	v_sub_nc_u32_e32 v13, v13, v14
	v_cmp_lt_u32_e32 vcc_lo, s2, v13
	v_cndmask_b32_e64 v34, 0, 1, vcc_lo
; %bb.34:
	s_or_b32 exec_lo, exec_lo, s0
	v_lshlrev_b16 v2, 8, v2
	v_lshlrev_b16 v4, 8, v4
	;; [unrolled: 1-line block ×5, first 2 shown]
	v_or_b32_e32 v1, v1, v2
	v_lshlrev_b16 v2, 8, v12
	v_or_b32_e32 v3, v3, v4
	v_or_b32_e32 v4, v5, v6
	v_or_b32_e32 v5, v7, v8
	v_or_b32_e32 v6, v9, v10
	v_or_b32_e32 v2, v11, v2
	v_and_b32_e32 v1, 0xffff, v1
	v_lshlrev_b32_e32 v3, 16, v3
	v_and_b32_e32 v4, 0xffff, v4
	v_lshlrev_b32_e32 v5, 16, v5
	;; [unrolled: 2-line block ×3, first 2 shown]
	v_or_b32_e32 v39, v1, v3
	s_delay_alu instid0(VALU_DEP_4) | instskip(NEXT) | instid1(VALU_DEP_3)
	v_or_b32_e32 v37, v4, v5
	v_or_b32_e32 v35, v6, v2
.LBB160_35:
	s_delay_alu instid0(VALU_DEP_3)
	v_and_b32_e32 v41, 0xff, v39
	v_bfe_u32 v42, v39, 8, 8
	v_bfe_u32 v43, v39, 16, 8
	v_lshrrev_b32_e32 v40, 24, v39
	v_and_b32_e32 v44, 0xff, v37
	v_bfe_u32 v45, v37, 8, 8
	v_bfe_u32 v46, v37, 16, 8
	v_add3_u32 v1, v42, v41, v43
	v_lshrrev_b32_e32 v38, 24, v37
	v_and_b32_e32 v47, 0xff, v35
	v_bfe_u32 v48, v35, 8, 8
	v_mbcnt_lo_u32_b32 v50, -1, 0
	v_add3_u32 v1, v1, v40, v44
	v_bfe_u32 v49, v35, 16, 8
	v_lshrrev_b32_e32 v36, 24, v35
	v_and_b32_e32 v2, 0xff, v34
	v_and_b32_e32 v3, 15, v50
	v_add3_u32 v1, v1, v45, v46
	v_or_b32_e32 v4, 31, v0
	v_and_b32_e32 v5, 16, v50
	v_lshrrev_b32_e32 v51, 5, v0
	v_cmp_eq_u32_e64 s5, 0, v3
	v_add3_u32 v1, v1, v38, v47
	v_cmp_lt_u32_e64 s4, 1, v3
	v_cmp_lt_u32_e64 s3, 3, v3
	;; [unrolled: 1-line block ×3, first 2 shown]
	v_cmp_eq_u32_e64 s1, 0, v5
	v_add3_u32 v1, v1, v48, v49
	v_cmp_eq_u32_e64 s0, v4, v0
	s_cmp_lg_u32 s15, 0
	s_mov_b32 s6, -1
	s_delay_alu instid0(VALU_DEP_2)
	v_add3_u32 v52, v1, v36, v2
	s_cbranch_scc0 .LBB160_61
; %bb.36:
	s_delay_alu instid0(VALU_DEP_1) | instskip(NEXT) | instid1(VALU_DEP_1)
	v_mov_b32_dpp v1, v52 row_shr:1 row_mask:0xf bank_mask:0xf
	v_cndmask_b32_e64 v1, v1, 0, s5
	s_delay_alu instid0(VALU_DEP_1) | instskip(NEXT) | instid1(VALU_DEP_1)
	v_add_nc_u32_e32 v1, v1, v52
	v_mov_b32_dpp v2, v1 row_shr:2 row_mask:0xf bank_mask:0xf
	s_delay_alu instid0(VALU_DEP_1) | instskip(NEXT) | instid1(VALU_DEP_1)
	v_cndmask_b32_e64 v2, 0, v2, s4
	v_add_nc_u32_e32 v1, v1, v2
	s_delay_alu instid0(VALU_DEP_1) | instskip(NEXT) | instid1(VALU_DEP_1)
	v_mov_b32_dpp v2, v1 row_shr:4 row_mask:0xf bank_mask:0xf
	v_cndmask_b32_e64 v2, 0, v2, s3
	s_delay_alu instid0(VALU_DEP_1) | instskip(NEXT) | instid1(VALU_DEP_1)
	v_add_nc_u32_e32 v1, v1, v2
	v_mov_b32_dpp v2, v1 row_shr:8 row_mask:0xf bank_mask:0xf
	s_delay_alu instid0(VALU_DEP_1) | instskip(NEXT) | instid1(VALU_DEP_1)
	v_cndmask_b32_e64 v2, 0, v2, s2
	v_add_nc_u32_e32 v1, v1, v2
	ds_swizzle_b32 v2, v1 offset:swizzle(BROADCAST,32,15)
	s_waitcnt lgkmcnt(0)
	v_cndmask_b32_e64 v2, v2, 0, s1
	s_delay_alu instid0(VALU_DEP_1)
	v_add_nc_u32_e32 v1, v1, v2
	s_and_saveexec_b32 s6, s0
	s_cbranch_execz .LBB160_38
; %bb.37:
	v_lshlrev_b32_e32 v2, 2, v51
	ds_store_b32 v2, v1
.LBB160_38:
	s_or_b32 exec_lo, exec_lo, s6
	s_delay_alu instid0(SALU_CYCLE_1)
	s_mov_b32 s6, exec_lo
	s_waitcnt lgkmcnt(0)
	s_barrier
	buffer_gl0_inv
	v_cmpx_gt_u32_e32 8, v0
	s_cbranch_execz .LBB160_40
; %bb.39:
	ds_load_b32 v2, v30
	s_waitcnt lgkmcnt(0)
	v_mov_b32_dpp v4, v2 row_shr:1 row_mask:0xf bank_mask:0xf
	v_and_b32_e32 v3, 7, v50
	s_delay_alu instid0(VALU_DEP_1) | instskip(NEXT) | instid1(VALU_DEP_3)
	v_cmp_ne_u32_e32 vcc_lo, 0, v3
	v_cndmask_b32_e32 v4, 0, v4, vcc_lo
	v_cmp_lt_u32_e32 vcc_lo, 1, v3
	s_delay_alu instid0(VALU_DEP_2) | instskip(NEXT) | instid1(VALU_DEP_1)
	v_add_nc_u32_e32 v2, v4, v2
	v_mov_b32_dpp v4, v2 row_shr:2 row_mask:0xf bank_mask:0xf
	s_delay_alu instid0(VALU_DEP_1) | instskip(SKIP_1) | instid1(VALU_DEP_2)
	v_cndmask_b32_e32 v4, 0, v4, vcc_lo
	v_cmp_lt_u32_e32 vcc_lo, 3, v3
	v_add_nc_u32_e32 v2, v2, v4
	s_delay_alu instid0(VALU_DEP_1) | instskip(NEXT) | instid1(VALU_DEP_1)
	v_mov_b32_dpp v4, v2 row_shr:4 row_mask:0xf bank_mask:0xf
	v_cndmask_b32_e32 v3, 0, v4, vcc_lo
	s_delay_alu instid0(VALU_DEP_1)
	v_add_nc_u32_e32 v2, v2, v3
	ds_store_b32 v30, v2
.LBB160_40:
	s_or_b32 exec_lo, exec_lo, s6
	v_cmp_gt_u32_e32 vcc_lo, 32, v0
	s_mov_b32 s7, exec_lo
	s_waitcnt lgkmcnt(0)
	s_barrier
	buffer_gl0_inv
                                        ; implicit-def: $vgpr8
	v_cmpx_lt_u32_e32 31, v0
	s_cbranch_execz .LBB160_42
; %bb.41:
	v_lshl_add_u32 v2, v51, 2, -4
	ds_load_b32 v8, v2
	s_waitcnt lgkmcnt(0)
	v_add_nc_u32_e32 v1, v8, v1
.LBB160_42:
	s_or_b32 exec_lo, exec_lo, s7
	v_add_nc_u32_e32 v2, -1, v50
	s_delay_alu instid0(VALU_DEP_1) | instskip(NEXT) | instid1(VALU_DEP_1)
	v_cmp_gt_i32_e64 s6, 0, v2
	v_cndmask_b32_e64 v2, v2, v50, s6
	v_cmp_eq_u32_e64 s6, 0, v50
	s_delay_alu instid0(VALU_DEP_2)
	v_lshlrev_b32_e32 v2, 2, v2
	ds_bpermute_b32 v9, v2, v1
	s_and_saveexec_b32 s7, vcc_lo
	s_cbranch_execz .LBB160_60
; %bb.43:
	v_mov_b32_e32 v4, 0
	ds_load_b32 v1, v4 offset:28
	s_and_saveexec_b32 s24, s6
	s_cbranch_execz .LBB160_45
; %bb.44:
	s_add_i32 s26, s15, 32
	s_mov_b32 s27, 0
	v_mov_b32_e32 v2, 1
	s_lshl_b64 s[26:27], s[26:27], 3
	s_delay_alu instid0(SALU_CYCLE_1)
	s_add_u32 s26, s20, s26
	s_addc_u32 s27, s21, s27
	s_waitcnt lgkmcnt(0)
	global_store_b64 v4, v[1:2], s[26:27]
.LBB160_45:
	s_or_b32 exec_lo, exec_lo, s24
	v_xad_u32 v2, v50, -1, s15
	s_mov_b32 s25, 0
	s_mov_b32 s24, exec_lo
	s_delay_alu instid0(VALU_DEP_1) | instskip(NEXT) | instid1(VALU_DEP_1)
	v_add_nc_u32_e32 v3, 32, v2
	v_lshlrev_b64 v[3:4], 3, v[3:4]
	s_delay_alu instid0(VALU_DEP_1) | instskip(NEXT) | instid1(VALU_DEP_2)
	v_add_co_u32 v6, vcc_lo, s20, v3
	v_add_co_ci_u32_e32 v7, vcc_lo, s21, v4, vcc_lo
	global_load_b64 v[4:5], v[6:7], off glc
	s_waitcnt vmcnt(0)
	v_and_b32_e32 v3, 0xff, v5
	s_delay_alu instid0(VALU_DEP_1)
	v_cmpx_eq_u16_e32 0, v3
	s_cbranch_execz .LBB160_48
.LBB160_46:                             ; =>This Inner Loop Header: Depth=1
	global_load_b64 v[4:5], v[6:7], off glc
	s_waitcnt vmcnt(0)
	v_and_b32_e32 v3, 0xff, v5
	s_delay_alu instid0(VALU_DEP_1) | instskip(SKIP_1) | instid1(SALU_CYCLE_1)
	v_cmp_ne_u16_e32 vcc_lo, 0, v3
	s_or_b32 s25, vcc_lo, s25
	s_and_not1_b32 exec_lo, exec_lo, s25
	s_cbranch_execnz .LBB160_46
; %bb.47:
	s_or_b32 exec_lo, exec_lo, s25
.LBB160_48:
	s_delay_alu instid0(SALU_CYCLE_1)
	s_or_b32 exec_lo, exec_lo, s24
	v_cmp_ne_u32_e32 vcc_lo, 31, v50
	v_lshlrev_b32_e64 v11, v50, -1
	v_add_nc_u32_e32 v13, 2, v50
	v_add_nc_u32_e32 v16, 4, v50
	;; [unrolled: 1-line block ×3, first 2 shown]
	v_add_co_ci_u32_e32 v3, vcc_lo, 0, v50, vcc_lo
	v_add_nc_u32_e32 v55, 16, v50
	s_delay_alu instid0(VALU_DEP_2) | instskip(SKIP_2) | instid1(VALU_DEP_1)
	v_lshlrev_b32_e32 v10, 2, v3
	ds_bpermute_b32 v6, v10, v4
	v_and_b32_e32 v3, 0xff, v5
	v_cmp_eq_u16_e32 vcc_lo, 2, v3
	v_and_or_b32 v3, vcc_lo, v11, 0x80000000
	v_cmp_gt_u32_e32 vcc_lo, 30, v50
	s_delay_alu instid0(VALU_DEP_2) | instskip(SKIP_1) | instid1(VALU_DEP_2)
	v_ctz_i32_b32_e32 v3, v3
	v_cndmask_b32_e64 v7, 0, 1, vcc_lo
	v_cmp_lt_u32_e32 vcc_lo, v50, v3
	s_waitcnt lgkmcnt(0)
	s_delay_alu instid0(VALU_DEP_2) | instskip(NEXT) | instid1(VALU_DEP_1)
	v_dual_cndmask_b32 v6, 0, v6 :: v_dual_lshlrev_b32 v7, 1, v7
	v_add_lshl_u32 v12, v7, v50, 2
	v_cmp_gt_u32_e32 vcc_lo, 28, v50
	s_delay_alu instid0(VALU_DEP_3) | instskip(SKIP_4) | instid1(VALU_DEP_1)
	v_add_nc_u32_e32 v4, v6, v4
	v_cndmask_b32_e64 v7, 0, 1, vcc_lo
	v_cmp_le_u32_e32 vcc_lo, v13, v3
	ds_bpermute_b32 v6, v12, v4
	v_lshlrev_b32_e32 v7, 2, v7
	v_add_lshl_u32 v14, v7, v50, 2
	s_waitcnt lgkmcnt(0)
	v_cndmask_b32_e32 v6, 0, v6, vcc_lo
	v_cmp_gt_u32_e32 vcc_lo, 24, v50
	s_delay_alu instid0(VALU_DEP_2) | instskip(SKIP_4) | instid1(VALU_DEP_1)
	v_add_nc_u32_e32 v4, v4, v6
	v_cndmask_b32_e64 v7, 0, 1, vcc_lo
	v_cmp_le_u32_e32 vcc_lo, v16, v3
	ds_bpermute_b32 v6, v14, v4
	v_lshlrev_b32_e32 v7, 3, v7
	v_add_lshl_u32 v17, v7, v50, 2
	s_waitcnt lgkmcnt(0)
	v_cndmask_b32_e32 v6, 0, v6, vcc_lo
	v_cmp_gt_u32_e32 vcc_lo, 16, v50
	s_delay_alu instid0(VALU_DEP_2) | instskip(SKIP_4) | instid1(VALU_DEP_1)
	v_add_nc_u32_e32 v4, v4, v6
	v_cndmask_b32_e64 v7, 0, 1, vcc_lo
	v_cmp_le_u32_e32 vcc_lo, v53, v3
	ds_bpermute_b32 v6, v17, v4
	v_lshlrev_b32_e32 v7, 4, v7
	v_add_lshl_u32 v54, v7, v50, 2
	s_waitcnt lgkmcnt(0)
	v_cndmask_b32_e32 v6, 0, v6, vcc_lo
	v_cmp_le_u32_e32 vcc_lo, v55, v3
	s_delay_alu instid0(VALU_DEP_2) | instskip(SKIP_3) | instid1(VALU_DEP_1)
	v_add_nc_u32_e32 v4, v4, v6
	ds_bpermute_b32 v6, v54, v4
	s_waitcnt lgkmcnt(0)
	v_cndmask_b32_e32 v3, 0, v6, vcc_lo
	v_dual_mov_b32 v3, 0 :: v_dual_add_nc_u32 v4, v4, v3
	s_branch .LBB160_50
.LBB160_49:                             ;   in Loop: Header=BB160_50 Depth=1
	s_or_b32 exec_lo, exec_lo, s24
	ds_bpermute_b32 v7, v10, v4
	v_and_b32_e32 v6, 0xff, v5
	v_subrev_nc_u32_e32 v2, 32, v2
	s_delay_alu instid0(VALU_DEP_2) | instskip(SKIP_1) | instid1(VALU_DEP_1)
	v_cmp_eq_u16_e32 vcc_lo, 2, v6
	v_and_or_b32 v6, vcc_lo, v11, 0x80000000
	v_ctz_i32_b32_e32 v6, v6
	s_delay_alu instid0(VALU_DEP_1) | instskip(SKIP_3) | instid1(VALU_DEP_2)
	v_cmp_lt_u32_e32 vcc_lo, v50, v6
	s_waitcnt lgkmcnt(0)
	v_cndmask_b32_e32 v7, 0, v7, vcc_lo
	v_cmp_le_u32_e32 vcc_lo, v13, v6
	v_add_nc_u32_e32 v4, v7, v4
	ds_bpermute_b32 v7, v12, v4
	s_waitcnt lgkmcnt(0)
	v_cndmask_b32_e32 v7, 0, v7, vcc_lo
	v_cmp_le_u32_e32 vcc_lo, v16, v6
	s_delay_alu instid0(VALU_DEP_2) | instskip(SKIP_4) | instid1(VALU_DEP_2)
	v_add_nc_u32_e32 v4, v4, v7
	ds_bpermute_b32 v7, v14, v4
	s_waitcnt lgkmcnt(0)
	v_cndmask_b32_e32 v7, 0, v7, vcc_lo
	v_cmp_le_u32_e32 vcc_lo, v53, v6
	v_add_nc_u32_e32 v4, v4, v7
	ds_bpermute_b32 v7, v17, v4
	s_waitcnt lgkmcnt(0)
	v_cndmask_b32_e32 v7, 0, v7, vcc_lo
	v_cmp_le_u32_e32 vcc_lo, v55, v6
	s_delay_alu instid0(VALU_DEP_2) | instskip(SKIP_3) | instid1(VALU_DEP_1)
	v_add_nc_u32_e32 v4, v4, v7
	ds_bpermute_b32 v7, v54, v4
	s_waitcnt lgkmcnt(0)
	v_cndmask_b32_e32 v6, 0, v7, vcc_lo
	v_add3_u32 v4, v6, v15, v4
.LBB160_50:                             ; =>This Loop Header: Depth=1
                                        ;     Child Loop BB160_53 Depth 2
	v_and_b32_e32 v5, 0xff, v5
	s_delay_alu instid0(VALU_DEP_2) | instskip(NEXT) | instid1(VALU_DEP_2)
	v_mov_b32_e32 v15, v4
	v_cmp_ne_u16_e32 vcc_lo, 2, v5
	v_cndmask_b32_e64 v5, 0, 1, vcc_lo
	;;#ASMSTART
	;;#ASMEND
	s_delay_alu instid0(VALU_DEP_1)
	v_cmp_ne_u32_e32 vcc_lo, 0, v5
	s_cmp_lg_u32 vcc_lo, exec_lo
	s_cbranch_scc1 .LBB160_55
; %bb.51:                               ;   in Loop: Header=BB160_50 Depth=1
	v_lshlrev_b64 v[4:5], 3, v[2:3]
	s_mov_b32 s24, exec_lo
	s_delay_alu instid0(VALU_DEP_1) | instskip(NEXT) | instid1(VALU_DEP_2)
	v_add_co_u32 v6, vcc_lo, s20, v4
	v_add_co_ci_u32_e32 v7, vcc_lo, s21, v5, vcc_lo
	global_load_b64 v[4:5], v[6:7], off glc
	s_waitcnt vmcnt(0)
	v_and_b32_e32 v56, 0xff, v5
	s_delay_alu instid0(VALU_DEP_1)
	v_cmpx_eq_u16_e32 0, v56
	s_cbranch_execz .LBB160_49
; %bb.52:                               ;   in Loop: Header=BB160_50 Depth=1
	s_mov_b32 s25, 0
.LBB160_53:                             ;   Parent Loop BB160_50 Depth=1
                                        ; =>  This Inner Loop Header: Depth=2
	global_load_b64 v[4:5], v[6:7], off glc
	s_waitcnt vmcnt(0)
	v_and_b32_e32 v56, 0xff, v5
	s_delay_alu instid0(VALU_DEP_1) | instskip(SKIP_1) | instid1(SALU_CYCLE_1)
	v_cmp_ne_u16_e32 vcc_lo, 0, v56
	s_or_b32 s25, vcc_lo, s25
	s_and_not1_b32 exec_lo, exec_lo, s25
	s_cbranch_execnz .LBB160_53
; %bb.54:                               ;   in Loop: Header=BB160_50 Depth=1
	s_or_b32 exec_lo, exec_lo, s25
	s_branch .LBB160_49
.LBB160_55:                             ;   in Loop: Header=BB160_50 Depth=1
                                        ; implicit-def: $vgpr4
                                        ; implicit-def: $vgpr5
	s_cbranch_execz .LBB160_50
; %bb.56:
	s_and_saveexec_b32 s24, s6
	s_cbranch_execz .LBB160_58
; %bb.57:
	s_add_i32 s26, s15, 32
	s_mov_b32 s27, 0
	v_dual_mov_b32 v3, 2 :: v_dual_add_nc_u32 v2, v15, v1
	s_lshl_b64 s[26:27], s[26:27], 3
	v_mov_b32_e32 v4, 0
	v_add_nc_u32_e64 v5, 0x3400, 0
	s_add_u32 s26, s20, s26
	s_addc_u32 s27, s21, s27
	global_store_b64 v4, v[2:3], s[26:27]
	ds_store_2addr_b32 v5, v1, v15 offset1:2
.LBB160_58:
	s_or_b32 exec_lo, exec_lo, s24
	v_cmp_eq_u32_e32 vcc_lo, 0, v0
	s_and_b32 exec_lo, exec_lo, vcc_lo
	s_cbranch_execz .LBB160_60
; %bb.59:
	v_mov_b32_e32 v1, 0
	ds_store_b32 v1, v15 offset:28
.LBB160_60:
	s_or_b32 exec_lo, exec_lo, s7
	s_waitcnt lgkmcnt(0)
	v_cndmask_b32_e64 v2, v9, v8, s6
	v_cmp_ne_u32_e32 vcc_lo, 0, v0
	v_mov_b32_e32 v1, 0
	s_waitcnt_vscnt null, 0x0
	s_barrier
	buffer_gl0_inv
	v_cndmask_b32_e32 v2, 0, v2, vcc_lo
	ds_load_b32 v1, v1 offset:28
	v_add_nc_u32_e64 v11, 0x3400, 0
	s_waitcnt lgkmcnt(0)
	s_barrier
	buffer_gl0_inv
	ds_load_2addr_b32 v[16:17], v11 offset1:2
	v_add_nc_u32_e32 v1, v1, v2
	s_delay_alu instid0(VALU_DEP_1) | instskip(NEXT) | instid1(VALU_DEP_1)
	v_add_nc_u32_e32 v2, v1, v41
	v_add_nc_u32_e32 v3, v2, v42
	s_delay_alu instid0(VALU_DEP_1) | instskip(NEXT) | instid1(VALU_DEP_1)
	v_add_nc_u32_e32 v4, v3, v43
	;; [unrolled: 3-line block ×6, first 2 shown]
	v_add_nc_u32_e32 v13, v12, v36
	s_branch .LBB160_71
.LBB160_61:
                                        ; implicit-def: $vgpr17
                                        ; implicit-def: $vgpr1_vgpr2_vgpr3_vgpr4_vgpr5_vgpr6_vgpr7_vgpr8_vgpr9_vgpr10_vgpr11_vgpr12_vgpr13_vgpr14_vgpr15_vgpr16
	s_and_b32 vcc_lo, exec_lo, s6
	s_cbranch_vccz .LBB160_71
; %bb.62:
	s_delay_alu instid0(VALU_DEP_1) | instskip(NEXT) | instid1(VALU_DEP_1)
	v_mov_b32_dpp v1, v52 row_shr:1 row_mask:0xf bank_mask:0xf
	v_cndmask_b32_e64 v1, v1, 0, s5
	s_delay_alu instid0(VALU_DEP_1) | instskip(NEXT) | instid1(VALU_DEP_1)
	v_add_nc_u32_e32 v1, v1, v52
	v_mov_b32_dpp v2, v1 row_shr:2 row_mask:0xf bank_mask:0xf
	s_delay_alu instid0(VALU_DEP_1) | instskip(NEXT) | instid1(VALU_DEP_1)
	v_cndmask_b32_e64 v2, 0, v2, s4
	v_add_nc_u32_e32 v1, v1, v2
	s_delay_alu instid0(VALU_DEP_1) | instskip(NEXT) | instid1(VALU_DEP_1)
	v_mov_b32_dpp v2, v1 row_shr:4 row_mask:0xf bank_mask:0xf
	v_cndmask_b32_e64 v2, 0, v2, s3
	s_delay_alu instid0(VALU_DEP_1) | instskip(NEXT) | instid1(VALU_DEP_1)
	v_add_nc_u32_e32 v1, v1, v2
	v_mov_b32_dpp v2, v1 row_shr:8 row_mask:0xf bank_mask:0xf
	s_delay_alu instid0(VALU_DEP_1) | instskip(NEXT) | instid1(VALU_DEP_1)
	v_cndmask_b32_e64 v2, 0, v2, s2
	v_add_nc_u32_e32 v1, v1, v2
	ds_swizzle_b32 v2, v1 offset:swizzle(BROADCAST,32,15)
	s_waitcnt lgkmcnt(0)
	v_cndmask_b32_e64 v2, v2, 0, s1
	s_delay_alu instid0(VALU_DEP_1)
	v_add_nc_u32_e32 v1, v1, v2
	s_and_saveexec_b32 s1, s0
	s_cbranch_execz .LBB160_64
; %bb.63:
	v_lshlrev_b32_e32 v2, 2, v51
	ds_store_b32 v2, v1
.LBB160_64:
	s_or_b32 exec_lo, exec_lo, s1
	s_delay_alu instid0(SALU_CYCLE_1)
	s_mov_b32 s0, exec_lo
	s_waitcnt lgkmcnt(0)
	s_barrier
	buffer_gl0_inv
	v_cmpx_gt_u32_e32 8, v0
	s_cbranch_execz .LBB160_66
; %bb.65:
	ds_load_b32 v2, v30
	s_waitcnt lgkmcnt(0)
	v_mov_b32_dpp v4, v2 row_shr:1 row_mask:0xf bank_mask:0xf
	v_and_b32_e32 v3, 7, v50
	s_delay_alu instid0(VALU_DEP_1) | instskip(NEXT) | instid1(VALU_DEP_3)
	v_cmp_ne_u32_e32 vcc_lo, 0, v3
	v_cndmask_b32_e32 v4, 0, v4, vcc_lo
	v_cmp_lt_u32_e32 vcc_lo, 1, v3
	s_delay_alu instid0(VALU_DEP_2) | instskip(NEXT) | instid1(VALU_DEP_1)
	v_add_nc_u32_e32 v2, v4, v2
	v_mov_b32_dpp v4, v2 row_shr:2 row_mask:0xf bank_mask:0xf
	s_delay_alu instid0(VALU_DEP_1) | instskip(SKIP_1) | instid1(VALU_DEP_2)
	v_cndmask_b32_e32 v4, 0, v4, vcc_lo
	v_cmp_lt_u32_e32 vcc_lo, 3, v3
	v_add_nc_u32_e32 v2, v2, v4
	s_delay_alu instid0(VALU_DEP_1) | instskip(NEXT) | instid1(VALU_DEP_1)
	v_mov_b32_dpp v4, v2 row_shr:4 row_mask:0xf bank_mask:0xf
	v_cndmask_b32_e32 v3, 0, v4, vcc_lo
	s_delay_alu instid0(VALU_DEP_1)
	v_add_nc_u32_e32 v2, v2, v3
	ds_store_b32 v30, v2
.LBB160_66:
	s_or_b32 exec_lo, exec_lo, s0
	v_dual_mov_b32 v3, 0 :: v_dual_mov_b32 v2, 0
	s_mov_b32 s0, exec_lo
	s_waitcnt lgkmcnt(0)
	s_barrier
	buffer_gl0_inv
	v_cmpx_lt_u32_e32 31, v0
	s_cbranch_execz .LBB160_68
; %bb.67:
	v_lshl_add_u32 v2, v51, 2, -4
	ds_load_b32 v2, v2
.LBB160_68:
	s_or_b32 exec_lo, exec_lo, s0
	v_add_nc_u32_e32 v4, -1, v50
	ds_load_b32 v16, v3 offset:28
	s_waitcnt lgkmcnt(1)
	v_add_nc_u32_e32 v1, v2, v1
	v_cmp_gt_i32_e32 vcc_lo, 0, v4
	v_cndmask_b32_e32 v4, v4, v50, vcc_lo
	v_cmp_eq_u32_e32 vcc_lo, 0, v0
	s_delay_alu instid0(VALU_DEP_2)
	v_lshlrev_b32_e32 v4, 2, v4
	ds_bpermute_b32 v1, v4, v1
	s_and_saveexec_b32 s0, vcc_lo
	s_cbranch_execz .LBB160_70
; %bb.69:
	v_mov_b32_e32 v3, 0
	v_mov_b32_e32 v17, 2
	s_waitcnt lgkmcnt(1)
	global_store_b64 v3, v[16:17], s[20:21] offset:256
.LBB160_70:
	s_or_b32 exec_lo, exec_lo, s0
	v_cmp_eq_u32_e64 s0, 0, v50
	s_waitcnt lgkmcnt(0)
	s_waitcnt_vscnt null, 0x0
	s_barrier
	buffer_gl0_inv
	v_mov_b32_e32 v17, 0
	v_cndmask_b32_e64 v1, v1, v2, s0
	s_delay_alu instid0(VALU_DEP_1) | instskip(NEXT) | instid1(VALU_DEP_1)
	v_cndmask_b32_e64 v1, v1, 0, vcc_lo
	v_add_nc_u32_e32 v2, v1, v41
	s_delay_alu instid0(VALU_DEP_1) | instskip(NEXT) | instid1(VALU_DEP_1)
	v_add_nc_u32_e32 v3, v2, v42
	v_add_nc_u32_e32 v4, v3, v43
	s_delay_alu instid0(VALU_DEP_1) | instskip(NEXT) | instid1(VALU_DEP_1)
	v_add_nc_u32_e32 v5, v4, v40
	;; [unrolled: 3-line block ×5, first 2 shown]
	v_add_nc_u32_e32 v12, v11, v49
	s_delay_alu instid0(VALU_DEP_1)
	v_add_nc_u32_e32 v13, v12, v36
.LBB160_71:
	v_lshrrev_b32_e32 v44, 8, v39
	v_lshrrev_b32_e32 v43, 16, v39
	s_waitcnt lgkmcnt(0)
	v_sub_nc_u32_e32 v1, v1, v17
	v_and_b32_e32 v39, 1, v39
	v_sub_nc_u32_e32 v3, v3, v17
	v_add_nc_u32_e32 v33, v16, v33
	v_sub_nc_u32_e32 v2, v2, v17
	v_sub_nc_u32_e32 v4, v4, v17
	v_cmp_eq_u32_e32 vcc_lo, 1, v39
	v_and_b32_e32 v39, 1, v43
	v_sub_nc_u32_e32 v45, v33, v1
	v_and_b32_e32 v44, 1, v44
	v_sub_nc_u32_e32 v43, v33, v2
	v_lshrrev_b32_e32 v42, 8, v37
	v_lshrrev_b32_e32 v41, 16, v37
	v_cndmask_b32_e32 v1, v45, v1, vcc_lo
	v_sub_nc_u32_e32 v45, v33, v3
	v_add_nc_u32_e32 v43, 1, v43
	v_cmp_eq_u32_e32 vcc_lo, 1, v44
	v_and_b32_e32 v40, 1, v40
	v_lshlrev_b32_e32 v1, 2, v1
	v_add_nc_u32_e32 v45, 2, v45
	v_lshrrev_b32_e32 v15, 8, v35
	v_lshrrev_b32_e32 v14, 16, v35
	ds_store_b32 v1, v28
	v_cndmask_b32_e32 v1, v43, v2, vcc_lo
	v_cmp_eq_u32_e32 vcc_lo, 1, v39
	v_or_b32_e32 v28, 0x500, v0
	s_delay_alu instid0(VALU_DEP_3)
	v_dual_cndmask_b32 v2, v45, v3 :: v_dual_lshlrev_b32 v1, 2, v1
	v_sub_nc_u32_e32 v46, v33, v4
	v_cmp_eq_u32_e32 vcc_lo, 1, v40
	ds_store_b32 v1, v29
	v_lshlrev_b32_e32 v2, 2, v2
	v_add_nc_u32_e32 v46, 3, v46
	v_or_b32_e32 v29, 0x400, v0
	s_delay_alu instid0(VALU_DEP_2) | instskip(SKIP_2) | instid1(VALU_DEP_3)
	v_cndmask_b32_e32 v3, v46, v4, vcc_lo
	v_sub_nc_u32_e32 v4, v5, v17
	v_sub_nc_u32_e32 v5, v6, v17
	v_lshlrev_b32_e32 v3, 2, v3
	s_delay_alu instid0(VALU_DEP_3) | instskip(NEXT) | instid1(VALU_DEP_3)
	v_sub_nc_u32_e32 v1, v33, v4
	v_sub_nc_u32_e32 v6, v33, v5
	ds_store_b32 v2, v26
	ds_store_b32 v3, v27
	v_and_b32_e32 v2, 1, v37
	v_add_nc_u32_e32 v1, 4, v1
	v_add_nc_u32_e32 v3, 5, v6
	v_sub_nc_u32_e32 v6, v7, v17
	v_and_b32_e32 v7, 1, v42
	v_cmp_eq_u32_e32 vcc_lo, 1, v2
	v_sub_nc_u32_e32 v2, v8, v17
	v_and_b32_e32 v8, 1, v38
	v_or_b32_e32 v27, 0x600, v0
	v_or_b32_e32 v26, 0x700, v0
	v_cndmask_b32_e32 v1, v1, v4, vcc_lo
	v_sub_nc_u32_e32 v4, v33, v6
	v_cmp_eq_u32_e32 vcc_lo, 1, v7
	v_and_b32_e32 v7, 1, v41
	s_delay_alu instid0(VALU_DEP_4) | instskip(NEXT) | instid1(VALU_DEP_4)
	v_lshlrev_b32_e32 v1, 2, v1
	v_dual_cndmask_b32 v3, v3, v5 :: v_dual_add_nc_u32 v4, 6, v4
	v_sub_nc_u32_e32 v5, v33, v2
	s_delay_alu instid0(VALU_DEP_4) | instskip(SKIP_1) | instid1(VALU_DEP_4)
	v_cmp_eq_u32_e32 vcc_lo, 1, v7
	v_sub_nc_u32_e32 v7, v13, v17
	v_lshlrev_b32_e32 v3, 2, v3
	s_delay_alu instid0(VALU_DEP_4)
	v_dual_cndmask_b32 v4, v4, v6 :: v_dual_add_nc_u32 v5, 7, v5
	v_cmp_eq_u32_e32 vcc_lo, 1, v8
	v_sub_nc_u32_e32 v6, v9, v17
	ds_store_b32 v1, v24
	ds_store_b32 v3, v25
	v_or_b32_e32 v25, 0x800, v0
	v_dual_cndmask_b32 v2, v5, v2 :: v_dual_lshlrev_b32 v3, 2, v4
	v_and_b32_e32 v5, 1, v35
	v_sub_nc_u32_e32 v1, v33, v6
	v_sub_nc_u32_e32 v4, v10, v17
	v_and_b32_e32 v10, 1, v36
	v_or_b32_e32 v24, 0x900, v0
	v_cmp_eq_u32_e32 vcc_lo, 1, v5
	v_sub_nc_u32_e32 v5, v12, v17
	v_add_nc_u32_e32 v1, 8, v1
	s_delay_alu instid0(VALU_DEP_2) | instskip(NEXT) | instid1(VALU_DEP_2)
	v_sub_nc_u32_e32 v9, v33, v5
	v_dual_cndmask_b32 v1, v1, v6 :: v_dual_and_b32 v6, 1, v15
	v_add_co_u32 v15, s0, s18, v17
	s_delay_alu instid0(VALU_DEP_3)
	v_add_nc_u32_e32 v9, 11, v9
	v_lshlrev_b32_e32 v2, 2, v2
	ds_store_b32 v3, v22
	ds_store_b32 v2, v23
	v_sub_nc_u32_e32 v3, v11, v17
	v_sub_nc_u32_e32 v2, v33, v4
	v_cmp_eq_u32_e32 vcc_lo, 1, v6
	v_and_b32_e32 v11, 1, v34
	v_lshlrev_b32_e32 v1, 2, v1
	v_sub_nc_u32_e32 v8, v33, v3
	v_add_nc_u32_e32 v2, 9, v2
	v_add_co_ci_u32_e64 v17, null, s19, 0, s0
	s_add_u32 s0, s16, s23
	s_delay_alu instid0(VALU_DEP_3)
	v_add_nc_u32_e32 v6, 10, v8
	v_and_b32_e32 v8, 1, v14
	v_cndmask_b32_e32 v2, v2, v4, vcc_lo
	v_sub_nc_u32_e32 v4, v33, v7
	s_addc_u32 s1, s17, 0
	s_sub_u32 s0, s12, s0
	v_cmp_eq_u32_e32 vcc_lo, 1, v8
	v_lshlrev_b32_e32 v2, 2, v2
	v_add_nc_u32_e32 v4, 12, v4
	s_subb_u32 s1, s13, s1
	v_add_co_u32 v13, s0, s0, v16
	v_cndmask_b32_e32 v3, v6, v3, vcc_lo
	v_cmp_eq_u32_e32 vcc_lo, 1, v10
	v_add_co_ci_u32_e64 v14, null, s1, 0, s0
	v_or_b32_e32 v34, 0x100, v0
	s_delay_alu instid0(VALU_DEP_4)
	v_lshlrev_b32_e32 v3, 2, v3
	v_cndmask_b32_e32 v5, v9, v5, vcc_lo
	v_cmp_eq_u32_e32 vcc_lo, 1, v11
	v_or_b32_e32 v33, 0x200, v0
	v_or_b32_e32 v23, 0xa00, v0
	;; [unrolled: 1-line block ×3, first 2 shown]
	v_dual_cndmask_b32 v4, v4, v7 :: v_dual_lshlrev_b32 v5, 2, v5
	v_cmp_ne_u32_e32 vcc_lo, 1, v31
	s_delay_alu instid0(VALU_DEP_2)
	v_lshlrev_b32_e32 v4, 2, v4
	ds_store_b32 v1, v20
	ds_store_b32 v2, v21
	;; [unrolled: 1-line block ×5, first 2 shown]
	s_waitcnt lgkmcnt(0)
	s_barrier
	buffer_gl0_inv
	ds_load_2addr_stride64_b32 v[11:12], v30 offset1:4
	ds_load_2addr_stride64_b32 v[9:10], v30 offset0:8 offset1:12
	ds_load_2addr_stride64_b32 v[7:8], v30 offset0:16 offset1:20
	;; [unrolled: 1-line block ×5, first 2 shown]
	ds_load_b32 v18, v30 offset:12288
	v_add_co_u32 v20, s0, v13, v15
	v_or_b32_e32 v32, 0x300, v0
	v_or_b32_e32 v19, 0xc00, v0
	v_add_co_ci_u32_e64 v21, s0, v14, v17, s0
	s_mov_b32 s0, 0
	s_cbranch_vccnz .LBB160_125
; %bb.72:
	s_mov_b32 s0, exec_lo
                                        ; implicit-def: $vgpr13_vgpr14
	v_cmpx_ge_u32_e64 v0, v16
	s_xor_b32 s0, exec_lo, s0
; %bb.73:
	v_not_b32_e32 v13, v0
	s_delay_alu instid0(VALU_DEP_1) | instskip(SKIP_1) | instid1(VALU_DEP_2)
	v_ashrrev_i32_e32 v14, 31, v13
	v_add_co_u32 v13, vcc_lo, v20, v13
	v_add_co_ci_u32_e32 v14, vcc_lo, v21, v14, vcc_lo
; %bb.74:
	s_and_not1_saveexec_b32 s0, s0
; %bb.75:
	v_add_co_u32 v13, vcc_lo, v15, v0
	v_add_co_ci_u32_e32 v14, vcc_lo, 0, v17, vcc_lo
; %bb.76:
	s_or_b32 exec_lo, exec_lo, s0
	s_delay_alu instid0(VALU_DEP_1) | instskip(SKIP_1) | instid1(VALU_DEP_1)
	v_lshlrev_b64 v[13:14], 2, v[13:14]
	s_mov_b32 s0, exec_lo
	v_add_co_u32 v13, vcc_lo, s10, v13
	s_delay_alu instid0(VALU_DEP_2)
	v_add_co_ci_u32_e32 v14, vcc_lo, s11, v14, vcc_lo
	s_waitcnt lgkmcnt(6)
	global_store_b32 v[13:14], v11, off
                                        ; implicit-def: $vgpr13_vgpr14
	v_cmpx_ge_u32_e64 v34, v16
	s_xor_b32 s0, exec_lo, s0
; %bb.77:
	v_xor_b32_e32 v13, 0xfffffeff, v0
	s_delay_alu instid0(VALU_DEP_1) | instskip(SKIP_1) | instid1(VALU_DEP_2)
	v_ashrrev_i32_e32 v14, 31, v13
	v_add_co_u32 v13, vcc_lo, v20, v13
	v_add_co_ci_u32_e32 v14, vcc_lo, v21, v14, vcc_lo
; %bb.78:
	s_and_not1_saveexec_b32 s0, s0
; %bb.79:
	v_add_co_u32 v13, vcc_lo, v15, v34
	v_add_co_ci_u32_e32 v14, vcc_lo, 0, v17, vcc_lo
; %bb.80:
	s_or_b32 exec_lo, exec_lo, s0
	s_delay_alu instid0(VALU_DEP_1) | instskip(SKIP_1) | instid1(VALU_DEP_1)
	v_lshlrev_b64 v[13:14], 2, v[13:14]
	s_mov_b32 s0, exec_lo
	v_add_co_u32 v13, vcc_lo, s10, v13
	s_delay_alu instid0(VALU_DEP_2)
	v_add_co_ci_u32_e32 v14, vcc_lo, s11, v14, vcc_lo
	global_store_b32 v[13:14], v12, off
                                        ; implicit-def: $vgpr13_vgpr14
	v_cmpx_ge_u32_e64 v33, v16
	s_xor_b32 s0, exec_lo, s0
; %bb.81:
	v_xor_b32_e32 v13, 0xfffffdff, v0
	s_delay_alu instid0(VALU_DEP_1) | instskip(SKIP_1) | instid1(VALU_DEP_2)
	v_ashrrev_i32_e32 v14, 31, v13
	v_add_co_u32 v13, vcc_lo, v20, v13
	v_add_co_ci_u32_e32 v14, vcc_lo, v21, v14, vcc_lo
; %bb.82:
	s_and_not1_saveexec_b32 s0, s0
; %bb.83:
	v_add_co_u32 v13, vcc_lo, v15, v33
	v_add_co_ci_u32_e32 v14, vcc_lo, 0, v17, vcc_lo
; %bb.84:
	s_or_b32 exec_lo, exec_lo, s0
	s_delay_alu instid0(VALU_DEP_1) | instskip(SKIP_1) | instid1(VALU_DEP_1)
	v_lshlrev_b64 v[13:14], 2, v[13:14]
	s_mov_b32 s0, exec_lo
	v_add_co_u32 v13, vcc_lo, s10, v13
	s_delay_alu instid0(VALU_DEP_2)
	v_add_co_ci_u32_e32 v14, vcc_lo, s11, v14, vcc_lo
	s_waitcnt lgkmcnt(5)
	global_store_b32 v[13:14], v9, off
                                        ; implicit-def: $vgpr13_vgpr14
	v_cmpx_ge_u32_e64 v32, v16
	s_xor_b32 s0, exec_lo, s0
; %bb.85:
	v_xor_b32_e32 v13, 0xfffffcff, v0
	s_delay_alu instid0(VALU_DEP_1) | instskip(SKIP_1) | instid1(VALU_DEP_2)
	v_ashrrev_i32_e32 v14, 31, v13
	v_add_co_u32 v13, vcc_lo, v20, v13
	v_add_co_ci_u32_e32 v14, vcc_lo, v21, v14, vcc_lo
; %bb.86:
	s_and_not1_saveexec_b32 s0, s0
; %bb.87:
	v_add_co_u32 v13, vcc_lo, v15, v32
	v_add_co_ci_u32_e32 v14, vcc_lo, 0, v17, vcc_lo
; %bb.88:
	s_or_b32 exec_lo, exec_lo, s0
	s_delay_alu instid0(VALU_DEP_1) | instskip(SKIP_1) | instid1(VALU_DEP_1)
	v_lshlrev_b64 v[13:14], 2, v[13:14]
	s_mov_b32 s0, exec_lo
	v_add_co_u32 v13, vcc_lo, s10, v13
	s_delay_alu instid0(VALU_DEP_2)
	v_add_co_ci_u32_e32 v14, vcc_lo, s11, v14, vcc_lo
	global_store_b32 v[13:14], v10, off
                                        ; implicit-def: $vgpr13_vgpr14
	v_cmpx_ge_u32_e64 v29, v16
	s_xor_b32 s0, exec_lo, s0
; %bb.89:
	v_xor_b32_e32 v13, 0xfffffbff, v0
	;; [unrolled: 47-line block ×6, first 2 shown]
	s_delay_alu instid0(VALU_DEP_1) | instskip(SKIP_1) | instid1(VALU_DEP_2)
	v_ashrrev_i32_e32 v14, 31, v13
	v_add_co_u32 v13, vcc_lo, v20, v13
	v_add_co_ci_u32_e32 v14, vcc_lo, v21, v14, vcc_lo
; %bb.122:
	s_and_not1_saveexec_b32 s0, s0
; %bb.123:
	v_add_co_u32 v13, vcc_lo, v15, v19
	v_add_co_ci_u32_e32 v14, vcc_lo, 0, v17, vcc_lo
; %bb.124:
	s_or_b32 exec_lo, exec_lo, s0
	s_mov_b32 s0, -1
	s_branch .LBB160_205
.LBB160_125:
                                        ; implicit-def: $vgpr13_vgpr14
	s_cbranch_execz .LBB160_205
; %bb.126:
	s_mov_b32 s1, exec_lo
	v_cmpx_gt_u32_e64 s22, v0
	s_cbranch_execz .LBB160_162
; %bb.127:
	s_mov_b32 s2, exec_lo
                                        ; implicit-def: $vgpr13_vgpr14
	v_cmpx_ge_u32_e64 v0, v16
	s_xor_b32 s2, exec_lo, s2
; %bb.128:
	v_not_b32_e32 v13, v0
	s_delay_alu instid0(VALU_DEP_1) | instskip(SKIP_1) | instid1(VALU_DEP_2)
	v_ashrrev_i32_e32 v14, 31, v13
	v_add_co_u32 v13, vcc_lo, v20, v13
	v_add_co_ci_u32_e32 v14, vcc_lo, v21, v14, vcc_lo
; %bb.129:
	s_and_not1_saveexec_b32 s2, s2
; %bb.130:
	v_add_co_u32 v13, vcc_lo, v15, v0
	v_add_co_ci_u32_e32 v14, vcc_lo, 0, v17, vcc_lo
; %bb.131:
	s_or_b32 exec_lo, exec_lo, s2
	s_delay_alu instid0(VALU_DEP_1) | instskip(NEXT) | instid1(VALU_DEP_1)
	v_lshlrev_b64 v[13:14], 2, v[13:14]
	v_add_co_u32 v13, vcc_lo, s10, v13
	s_delay_alu instid0(VALU_DEP_2) | instskip(SKIP_3) | instid1(SALU_CYCLE_1)
	v_add_co_ci_u32_e32 v14, vcc_lo, s11, v14, vcc_lo
	s_waitcnt lgkmcnt(6)
	global_store_b32 v[13:14], v11, off
	s_or_b32 exec_lo, exec_lo, s1
	s_mov_b32 s1, exec_lo
	v_cmpx_gt_u32_e64 s22, v34
	s_cbranch_execnz .LBB160_163
.LBB160_132:
	s_or_b32 exec_lo, exec_lo, s1
	s_delay_alu instid0(SALU_CYCLE_1)
	s_mov_b32 s1, exec_lo
	v_cmpx_gt_u32_e64 s22, v33
	s_cbranch_execz .LBB160_168
.LBB160_133:
	s_mov_b32 s2, exec_lo
                                        ; implicit-def: $vgpr11_vgpr12
	v_cmpx_ge_u32_e64 v33, v16
	s_xor_b32 s2, exec_lo, s2
	s_cbranch_execz .LBB160_135
; %bb.134:
	s_waitcnt lgkmcnt(6)
	v_xor_b32_e32 v11, 0xfffffdff, v0
                                        ; implicit-def: $vgpr33
	s_delay_alu instid0(VALU_DEP_1) | instskip(SKIP_1) | instid1(VALU_DEP_2)
	v_ashrrev_i32_e32 v12, 31, v11
	v_add_co_u32 v11, vcc_lo, v20, v11
	v_add_co_ci_u32_e32 v12, vcc_lo, v21, v12, vcc_lo
.LBB160_135:
	s_and_not1_saveexec_b32 s2, s2
	s_cbranch_execz .LBB160_137
; %bb.136:
	s_waitcnt lgkmcnt(6)
	v_add_co_u32 v11, vcc_lo, v15, v33
	v_add_co_ci_u32_e32 v12, vcc_lo, 0, v17, vcc_lo
.LBB160_137:
	s_or_b32 exec_lo, exec_lo, s2
	s_waitcnt lgkmcnt(6)
	s_delay_alu instid0(VALU_DEP_1) | instskip(NEXT) | instid1(VALU_DEP_1)
	v_lshlrev_b64 v[11:12], 2, v[11:12]
	v_add_co_u32 v11, vcc_lo, s10, v11
	s_delay_alu instid0(VALU_DEP_2) | instskip(SKIP_3) | instid1(SALU_CYCLE_1)
	v_add_co_ci_u32_e32 v12, vcc_lo, s11, v12, vcc_lo
	s_waitcnt lgkmcnt(5)
	global_store_b32 v[11:12], v9, off
	s_or_b32 exec_lo, exec_lo, s1
	s_mov_b32 s1, exec_lo
	v_cmpx_gt_u32_e64 s22, v32
	s_cbranch_execnz .LBB160_169
.LBB160_138:
	s_or_b32 exec_lo, exec_lo, s1
	s_delay_alu instid0(SALU_CYCLE_1)
	s_mov_b32 s1, exec_lo
	v_cmpx_gt_u32_e64 s22, v29
	s_cbranch_execz .LBB160_174
.LBB160_139:
	s_mov_b32 s2, exec_lo
                                        ; implicit-def: $vgpr9_vgpr10
	v_cmpx_ge_u32_e64 v29, v16
	s_xor_b32 s2, exec_lo, s2
	s_cbranch_execz .LBB160_141
; %bb.140:
	s_waitcnt lgkmcnt(5)
	v_xor_b32_e32 v9, 0xfffffbff, v0
                                        ; implicit-def: $vgpr29
	s_delay_alu instid0(VALU_DEP_1) | instskip(SKIP_1) | instid1(VALU_DEP_2)
	v_ashrrev_i32_e32 v10, 31, v9
	v_add_co_u32 v9, vcc_lo, v20, v9
	v_add_co_ci_u32_e32 v10, vcc_lo, v21, v10, vcc_lo
.LBB160_141:
	s_and_not1_saveexec_b32 s2, s2
	s_cbranch_execz .LBB160_143
; %bb.142:
	s_waitcnt lgkmcnt(5)
	v_add_co_u32 v9, vcc_lo, v15, v29
	v_add_co_ci_u32_e32 v10, vcc_lo, 0, v17, vcc_lo
.LBB160_143:
	s_or_b32 exec_lo, exec_lo, s2
	s_waitcnt lgkmcnt(5)
	s_delay_alu instid0(VALU_DEP_1) | instskip(NEXT) | instid1(VALU_DEP_1)
	v_lshlrev_b64 v[9:10], 2, v[9:10]
	v_add_co_u32 v9, vcc_lo, s10, v9
	s_delay_alu instid0(VALU_DEP_2) | instskip(SKIP_3) | instid1(SALU_CYCLE_1)
	v_add_co_ci_u32_e32 v10, vcc_lo, s11, v10, vcc_lo
	s_waitcnt lgkmcnt(4)
	global_store_b32 v[9:10], v7, off
	s_or_b32 exec_lo, exec_lo, s1
	s_mov_b32 s1, exec_lo
	v_cmpx_gt_u32_e64 s22, v28
	s_cbranch_execnz .LBB160_175
.LBB160_144:
	s_or_b32 exec_lo, exec_lo, s1
	s_delay_alu instid0(SALU_CYCLE_1)
	s_mov_b32 s1, exec_lo
	v_cmpx_gt_u32_e64 s22, v27
	s_cbranch_execz .LBB160_180
.LBB160_145:
	s_mov_b32 s2, exec_lo
                                        ; implicit-def: $vgpr7_vgpr8
	v_cmpx_ge_u32_e64 v27, v16
	s_xor_b32 s2, exec_lo, s2
	s_cbranch_execz .LBB160_147
; %bb.146:
	s_waitcnt lgkmcnt(4)
	v_xor_b32_e32 v7, 0xfffff9ff, v0
                                        ; implicit-def: $vgpr27
	s_delay_alu instid0(VALU_DEP_1) | instskip(SKIP_1) | instid1(VALU_DEP_2)
	v_ashrrev_i32_e32 v8, 31, v7
	v_add_co_u32 v7, vcc_lo, v20, v7
	v_add_co_ci_u32_e32 v8, vcc_lo, v21, v8, vcc_lo
.LBB160_147:
	s_and_not1_saveexec_b32 s2, s2
	s_cbranch_execz .LBB160_149
; %bb.148:
	s_waitcnt lgkmcnt(4)
	v_add_co_u32 v7, vcc_lo, v15, v27
	v_add_co_ci_u32_e32 v8, vcc_lo, 0, v17, vcc_lo
.LBB160_149:
	s_or_b32 exec_lo, exec_lo, s2
	s_waitcnt lgkmcnt(4)
	s_delay_alu instid0(VALU_DEP_1) | instskip(NEXT) | instid1(VALU_DEP_1)
	v_lshlrev_b64 v[7:8], 2, v[7:8]
	v_add_co_u32 v7, vcc_lo, s10, v7
	s_delay_alu instid0(VALU_DEP_2) | instskip(SKIP_3) | instid1(SALU_CYCLE_1)
	v_add_co_ci_u32_e32 v8, vcc_lo, s11, v8, vcc_lo
	s_waitcnt lgkmcnt(3)
	global_store_b32 v[7:8], v5, off
	s_or_b32 exec_lo, exec_lo, s1
	s_mov_b32 s1, exec_lo
	v_cmpx_gt_u32_e64 s22, v26
	s_cbranch_execnz .LBB160_181
.LBB160_150:
	s_or_b32 exec_lo, exec_lo, s1
	s_delay_alu instid0(SALU_CYCLE_1)
	s_mov_b32 s1, exec_lo
	v_cmpx_gt_u32_e64 s22, v25
	s_cbranch_execz .LBB160_186
.LBB160_151:
	s_mov_b32 s2, exec_lo
                                        ; implicit-def: $vgpr5_vgpr6
	v_cmpx_ge_u32_e64 v25, v16
	s_xor_b32 s2, exec_lo, s2
	s_cbranch_execz .LBB160_153
; %bb.152:
	s_waitcnt lgkmcnt(3)
	v_xor_b32_e32 v5, 0xfffff7ff, v0
                                        ; implicit-def: $vgpr25
	s_delay_alu instid0(VALU_DEP_1) | instskip(SKIP_1) | instid1(VALU_DEP_2)
	v_ashrrev_i32_e32 v6, 31, v5
	v_add_co_u32 v5, vcc_lo, v20, v5
	v_add_co_ci_u32_e32 v6, vcc_lo, v21, v6, vcc_lo
.LBB160_153:
	s_and_not1_saveexec_b32 s2, s2
	s_cbranch_execz .LBB160_155
; %bb.154:
	s_waitcnt lgkmcnt(3)
	v_add_co_u32 v5, vcc_lo, v15, v25
	v_add_co_ci_u32_e32 v6, vcc_lo, 0, v17, vcc_lo
.LBB160_155:
	s_or_b32 exec_lo, exec_lo, s2
	s_waitcnt lgkmcnt(3)
	s_delay_alu instid0(VALU_DEP_1) | instskip(NEXT) | instid1(VALU_DEP_1)
	v_lshlrev_b64 v[5:6], 2, v[5:6]
	v_add_co_u32 v5, vcc_lo, s10, v5
	s_delay_alu instid0(VALU_DEP_2) | instskip(SKIP_3) | instid1(SALU_CYCLE_1)
	v_add_co_ci_u32_e32 v6, vcc_lo, s11, v6, vcc_lo
	s_waitcnt lgkmcnt(2)
	global_store_b32 v[5:6], v3, off
	s_or_b32 exec_lo, exec_lo, s1
	s_mov_b32 s1, exec_lo
	v_cmpx_gt_u32_e64 s22, v24
	s_cbranch_execnz .LBB160_187
.LBB160_156:
	s_or_b32 exec_lo, exec_lo, s1
	s_delay_alu instid0(SALU_CYCLE_1)
	s_mov_b32 s1, exec_lo
	v_cmpx_gt_u32_e64 s22, v23
	s_cbranch_execz .LBB160_192
.LBB160_157:
	s_mov_b32 s2, exec_lo
                                        ; implicit-def: $vgpr3_vgpr4
	v_cmpx_ge_u32_e64 v23, v16
	s_xor_b32 s2, exec_lo, s2
	s_cbranch_execz .LBB160_159
; %bb.158:
	s_waitcnt lgkmcnt(2)
	v_xor_b32_e32 v3, 0xfffff5ff, v0
                                        ; implicit-def: $vgpr23
	s_delay_alu instid0(VALU_DEP_1) | instskip(SKIP_1) | instid1(VALU_DEP_2)
	v_ashrrev_i32_e32 v4, 31, v3
	v_add_co_u32 v3, vcc_lo, v20, v3
	v_add_co_ci_u32_e32 v4, vcc_lo, v21, v4, vcc_lo
.LBB160_159:
	s_and_not1_saveexec_b32 s2, s2
	s_cbranch_execz .LBB160_161
; %bb.160:
	s_waitcnt lgkmcnt(2)
	v_add_co_u32 v3, vcc_lo, v15, v23
	v_add_co_ci_u32_e32 v4, vcc_lo, 0, v17, vcc_lo
.LBB160_161:
	s_or_b32 exec_lo, exec_lo, s2
	s_waitcnt lgkmcnt(2)
	s_delay_alu instid0(VALU_DEP_1) | instskip(NEXT) | instid1(VALU_DEP_1)
	v_lshlrev_b64 v[3:4], 2, v[3:4]
	v_add_co_u32 v3, vcc_lo, s10, v3
	s_delay_alu instid0(VALU_DEP_2) | instskip(SKIP_3) | instid1(SALU_CYCLE_1)
	v_add_co_ci_u32_e32 v4, vcc_lo, s11, v4, vcc_lo
	s_waitcnt lgkmcnt(1)
	global_store_b32 v[3:4], v1, off
	s_or_b32 exec_lo, exec_lo, s1
	s_mov_b32 s1, exec_lo
	v_cmpx_gt_u32_e64 s22, v22
	s_cbranch_execz .LBB160_198
	s_branch .LBB160_193
.LBB160_162:
	s_or_b32 exec_lo, exec_lo, s1
	s_delay_alu instid0(SALU_CYCLE_1)
	s_mov_b32 s1, exec_lo
	v_cmpx_gt_u32_e64 s22, v34
	s_cbranch_execz .LBB160_132
.LBB160_163:
	s_mov_b32 s2, exec_lo
                                        ; implicit-def: $vgpr13_vgpr14
	v_cmpx_ge_u32_e64 v34, v16
	s_xor_b32 s2, exec_lo, s2
	s_cbranch_execz .LBB160_165
; %bb.164:
	s_waitcnt lgkmcnt(6)
	v_xor_b32_e32 v11, 0xfffffeff, v0
                                        ; implicit-def: $vgpr34
	s_delay_alu instid0(VALU_DEP_1) | instskip(SKIP_1) | instid1(VALU_DEP_2)
	v_ashrrev_i32_e32 v14, 31, v11
	v_add_co_u32 v13, vcc_lo, v20, v11
	v_add_co_ci_u32_e32 v14, vcc_lo, v21, v14, vcc_lo
.LBB160_165:
	s_and_not1_saveexec_b32 s2, s2
; %bb.166:
	v_add_co_u32 v13, vcc_lo, v15, v34
	v_add_co_ci_u32_e32 v14, vcc_lo, 0, v17, vcc_lo
; %bb.167:
	s_or_b32 exec_lo, exec_lo, s2
	s_delay_alu instid0(VALU_DEP_1) | instskip(NEXT) | instid1(VALU_DEP_1)
	v_lshlrev_b64 v[13:14], 2, v[13:14]
	v_add_co_u32 v13, vcc_lo, s10, v13
	s_delay_alu instid0(VALU_DEP_2) | instskip(SKIP_3) | instid1(SALU_CYCLE_1)
	v_add_co_ci_u32_e32 v14, vcc_lo, s11, v14, vcc_lo
	s_waitcnt lgkmcnt(6)
	global_store_b32 v[13:14], v12, off
	s_or_b32 exec_lo, exec_lo, s1
	s_mov_b32 s1, exec_lo
	v_cmpx_gt_u32_e64 s22, v33
	s_cbranch_execnz .LBB160_133
.LBB160_168:
	s_or_b32 exec_lo, exec_lo, s1
	s_delay_alu instid0(SALU_CYCLE_1)
	s_mov_b32 s1, exec_lo
	v_cmpx_gt_u32_e64 s22, v32
	s_cbranch_execz .LBB160_138
.LBB160_169:
	s_mov_b32 s2, exec_lo
                                        ; implicit-def: $vgpr11_vgpr12
	v_cmpx_ge_u32_e64 v32, v16
	s_xor_b32 s2, exec_lo, s2
	s_cbranch_execz .LBB160_171
; %bb.170:
	s_waitcnt lgkmcnt(5)
	v_xor_b32_e32 v9, 0xfffffcff, v0
                                        ; implicit-def: $vgpr32
	s_delay_alu instid0(VALU_DEP_1) | instskip(SKIP_1) | instid1(VALU_DEP_2)
	v_ashrrev_i32_e32 v12, 31, v9
	v_add_co_u32 v11, vcc_lo, v20, v9
	v_add_co_ci_u32_e32 v12, vcc_lo, v21, v12, vcc_lo
.LBB160_171:
	s_and_not1_saveexec_b32 s2, s2
	s_cbranch_execz .LBB160_173
; %bb.172:
	s_waitcnt lgkmcnt(6)
	v_add_co_u32 v11, vcc_lo, v15, v32
	v_add_co_ci_u32_e32 v12, vcc_lo, 0, v17, vcc_lo
.LBB160_173:
	s_or_b32 exec_lo, exec_lo, s2
	s_waitcnt lgkmcnt(6)
	s_delay_alu instid0(VALU_DEP_1) | instskip(NEXT) | instid1(VALU_DEP_1)
	v_lshlrev_b64 v[11:12], 2, v[11:12]
	v_add_co_u32 v11, vcc_lo, s10, v11
	s_delay_alu instid0(VALU_DEP_2) | instskip(SKIP_3) | instid1(SALU_CYCLE_1)
	v_add_co_ci_u32_e32 v12, vcc_lo, s11, v12, vcc_lo
	s_waitcnt lgkmcnt(5)
	global_store_b32 v[11:12], v10, off
	s_or_b32 exec_lo, exec_lo, s1
	s_mov_b32 s1, exec_lo
	v_cmpx_gt_u32_e64 s22, v29
	s_cbranch_execnz .LBB160_139
.LBB160_174:
	s_or_b32 exec_lo, exec_lo, s1
	s_delay_alu instid0(SALU_CYCLE_1)
	s_mov_b32 s1, exec_lo
	v_cmpx_gt_u32_e64 s22, v28
	s_cbranch_execz .LBB160_144
.LBB160_175:
	s_mov_b32 s2, exec_lo
                                        ; implicit-def: $vgpr9_vgpr10
	v_cmpx_ge_u32_e64 v28, v16
	s_xor_b32 s2, exec_lo, s2
	s_cbranch_execz .LBB160_177
; %bb.176:
	s_waitcnt lgkmcnt(4)
	v_xor_b32_e32 v7, 0xfffffaff, v0
                                        ; implicit-def: $vgpr28
	s_delay_alu instid0(VALU_DEP_1) | instskip(SKIP_1) | instid1(VALU_DEP_2)
	v_ashrrev_i32_e32 v10, 31, v7
	v_add_co_u32 v9, vcc_lo, v20, v7
	v_add_co_ci_u32_e32 v10, vcc_lo, v21, v10, vcc_lo
.LBB160_177:
	s_and_not1_saveexec_b32 s2, s2
	s_cbranch_execz .LBB160_179
; %bb.178:
	s_waitcnt lgkmcnt(5)
	v_add_co_u32 v9, vcc_lo, v15, v28
	v_add_co_ci_u32_e32 v10, vcc_lo, 0, v17, vcc_lo
.LBB160_179:
	s_or_b32 exec_lo, exec_lo, s2
	s_waitcnt lgkmcnt(5)
	s_delay_alu instid0(VALU_DEP_1) | instskip(NEXT) | instid1(VALU_DEP_1)
	v_lshlrev_b64 v[9:10], 2, v[9:10]
	v_add_co_u32 v9, vcc_lo, s10, v9
	s_delay_alu instid0(VALU_DEP_2) | instskip(SKIP_3) | instid1(SALU_CYCLE_1)
	v_add_co_ci_u32_e32 v10, vcc_lo, s11, v10, vcc_lo
	s_waitcnt lgkmcnt(4)
	global_store_b32 v[9:10], v8, off
	s_or_b32 exec_lo, exec_lo, s1
	s_mov_b32 s1, exec_lo
	v_cmpx_gt_u32_e64 s22, v27
	s_cbranch_execnz .LBB160_145
.LBB160_180:
	s_or_b32 exec_lo, exec_lo, s1
	s_delay_alu instid0(SALU_CYCLE_1)
	s_mov_b32 s1, exec_lo
	v_cmpx_gt_u32_e64 s22, v26
	s_cbranch_execz .LBB160_150
.LBB160_181:
	s_mov_b32 s2, exec_lo
                                        ; implicit-def: $vgpr7_vgpr8
	v_cmpx_ge_u32_e64 v26, v16
	s_xor_b32 s2, exec_lo, s2
	s_cbranch_execz .LBB160_183
; %bb.182:
	s_waitcnt lgkmcnt(3)
	v_xor_b32_e32 v5, 0xfffff8ff, v0
                                        ; implicit-def: $vgpr26
	s_delay_alu instid0(VALU_DEP_1) | instskip(SKIP_1) | instid1(VALU_DEP_2)
	v_ashrrev_i32_e32 v8, 31, v5
	v_add_co_u32 v7, vcc_lo, v20, v5
	v_add_co_ci_u32_e32 v8, vcc_lo, v21, v8, vcc_lo
.LBB160_183:
	s_and_not1_saveexec_b32 s2, s2
	s_cbranch_execz .LBB160_185
; %bb.184:
	s_waitcnt lgkmcnt(4)
	v_add_co_u32 v7, vcc_lo, v15, v26
	v_add_co_ci_u32_e32 v8, vcc_lo, 0, v17, vcc_lo
.LBB160_185:
	s_or_b32 exec_lo, exec_lo, s2
	s_waitcnt lgkmcnt(4)
	s_delay_alu instid0(VALU_DEP_1) | instskip(NEXT) | instid1(VALU_DEP_1)
	v_lshlrev_b64 v[7:8], 2, v[7:8]
	v_add_co_u32 v7, vcc_lo, s10, v7
	s_delay_alu instid0(VALU_DEP_2) | instskip(SKIP_3) | instid1(SALU_CYCLE_1)
	v_add_co_ci_u32_e32 v8, vcc_lo, s11, v8, vcc_lo
	s_waitcnt lgkmcnt(3)
	global_store_b32 v[7:8], v6, off
	s_or_b32 exec_lo, exec_lo, s1
	s_mov_b32 s1, exec_lo
	v_cmpx_gt_u32_e64 s22, v25
	s_cbranch_execnz .LBB160_151
.LBB160_186:
	s_or_b32 exec_lo, exec_lo, s1
	s_delay_alu instid0(SALU_CYCLE_1)
	s_mov_b32 s1, exec_lo
	v_cmpx_gt_u32_e64 s22, v24
	s_cbranch_execz .LBB160_156
.LBB160_187:
	s_mov_b32 s2, exec_lo
                                        ; implicit-def: $vgpr5_vgpr6
	v_cmpx_ge_u32_e64 v24, v16
	s_xor_b32 s2, exec_lo, s2
	s_cbranch_execz .LBB160_189
; %bb.188:
	s_waitcnt lgkmcnt(2)
	v_xor_b32_e32 v3, 0xfffff6ff, v0
                                        ; implicit-def: $vgpr24
	s_delay_alu instid0(VALU_DEP_1) | instskip(SKIP_1) | instid1(VALU_DEP_2)
	v_ashrrev_i32_e32 v6, 31, v3
	v_add_co_u32 v5, vcc_lo, v20, v3
	v_add_co_ci_u32_e32 v6, vcc_lo, v21, v6, vcc_lo
.LBB160_189:
	s_and_not1_saveexec_b32 s2, s2
	s_cbranch_execz .LBB160_191
; %bb.190:
	s_waitcnt lgkmcnt(3)
	v_add_co_u32 v5, vcc_lo, v15, v24
	v_add_co_ci_u32_e32 v6, vcc_lo, 0, v17, vcc_lo
.LBB160_191:
	s_or_b32 exec_lo, exec_lo, s2
	s_waitcnt lgkmcnt(3)
	s_delay_alu instid0(VALU_DEP_1) | instskip(NEXT) | instid1(VALU_DEP_1)
	v_lshlrev_b64 v[5:6], 2, v[5:6]
	v_add_co_u32 v5, vcc_lo, s10, v5
	s_delay_alu instid0(VALU_DEP_2) | instskip(SKIP_3) | instid1(SALU_CYCLE_1)
	v_add_co_ci_u32_e32 v6, vcc_lo, s11, v6, vcc_lo
	s_waitcnt lgkmcnt(2)
	global_store_b32 v[5:6], v4, off
	s_or_b32 exec_lo, exec_lo, s1
	s_mov_b32 s1, exec_lo
	v_cmpx_gt_u32_e64 s22, v23
	s_cbranch_execnz .LBB160_157
.LBB160_192:
	s_or_b32 exec_lo, exec_lo, s1
	s_delay_alu instid0(SALU_CYCLE_1)
	s_mov_b32 s1, exec_lo
	v_cmpx_gt_u32_e64 s22, v22
	s_cbranch_execz .LBB160_198
.LBB160_193:
	s_mov_b32 s2, exec_lo
                                        ; implicit-def: $vgpr3_vgpr4
	v_cmpx_ge_u32_e64 v22, v16
	s_xor_b32 s2, exec_lo, s2
	s_cbranch_execz .LBB160_195
; %bb.194:
	s_waitcnt lgkmcnt(1)
	v_xor_b32_e32 v1, 0xfffff4ff, v0
                                        ; implicit-def: $vgpr22
	s_delay_alu instid0(VALU_DEP_1) | instskip(SKIP_1) | instid1(VALU_DEP_2)
	v_ashrrev_i32_e32 v4, 31, v1
	v_add_co_u32 v3, vcc_lo, v20, v1
	v_add_co_ci_u32_e32 v4, vcc_lo, v21, v4, vcc_lo
.LBB160_195:
	s_and_not1_saveexec_b32 s2, s2
	s_cbranch_execz .LBB160_197
; %bb.196:
	s_waitcnt lgkmcnt(2)
	v_add_co_u32 v3, vcc_lo, v15, v22
	v_add_co_ci_u32_e32 v4, vcc_lo, 0, v17, vcc_lo
.LBB160_197:
	s_or_b32 exec_lo, exec_lo, s2
	s_waitcnt lgkmcnt(2)
	s_delay_alu instid0(VALU_DEP_1) | instskip(NEXT) | instid1(VALU_DEP_1)
	v_lshlrev_b64 v[3:4], 2, v[3:4]
	v_add_co_u32 v3, vcc_lo, s10, v3
	s_delay_alu instid0(VALU_DEP_2)
	v_add_co_ci_u32_e32 v4, vcc_lo, s11, v4, vcc_lo
	s_waitcnt lgkmcnt(1)
	global_store_b32 v[3:4], v2, off
.LBB160_198:
	s_or_b32 exec_lo, exec_lo, s1
	s_delay_alu instid0(SALU_CYCLE_1)
	s_mov_b32 s1, exec_lo
                                        ; implicit-def: $vgpr13_vgpr14
	v_cmpx_gt_u32_e64 s22, v19
	s_cbranch_execz .LBB160_204
; %bb.199:
	s_mov_b32 s2, exec_lo
                                        ; implicit-def: $vgpr13_vgpr14
	v_cmpx_ge_u32_e64 v19, v16
	s_xor_b32 s2, exec_lo, s2
	s_cbranch_execz .LBB160_201
; %bb.200:
	s_waitcnt lgkmcnt(1)
	v_xor_b32_e32 v1, 0xfffff3ff, v0
                                        ; implicit-def: $vgpr19
	s_delay_alu instid0(VALU_DEP_1) | instskip(SKIP_1) | instid1(VALU_DEP_2)
	v_ashrrev_i32_e32 v2, 31, v1
	v_add_co_u32 v13, vcc_lo, v20, v1
	v_add_co_ci_u32_e32 v14, vcc_lo, v21, v2, vcc_lo
.LBB160_201:
	s_and_not1_saveexec_b32 s2, s2
; %bb.202:
	v_add_co_u32 v13, vcc_lo, v15, v19
	v_add_co_ci_u32_e32 v14, vcc_lo, 0, v17, vcc_lo
; %bb.203:
	s_or_b32 exec_lo, exec_lo, s2
	s_delay_alu instid0(SALU_CYCLE_1)
	s_or_b32 s0, s0, exec_lo
.LBB160_204:
	s_or_b32 exec_lo, exec_lo, s1
.LBB160_205:
	s_and_saveexec_b32 s1, s0
	s_cbranch_execz .LBB160_207
; %bb.206:
	s_waitcnt lgkmcnt(1)
	v_lshlrev_b64 v[1:2], 2, v[13:14]
	s_delay_alu instid0(VALU_DEP_1) | instskip(NEXT) | instid1(VALU_DEP_2)
	v_add_co_u32 v1, vcc_lo, s10, v1
	v_add_co_ci_u32_e32 v2, vcc_lo, s11, v2, vcc_lo
	s_waitcnt lgkmcnt(0)
	global_store_b32 v[1:2], v18, off
.LBB160_207:
	s_or_b32 exec_lo, exec_lo, s1
	v_cmp_eq_u32_e32 vcc_lo, 0, v0
	s_and_b32 s0, vcc_lo, s14
	s_delay_alu instid0(SALU_CYCLE_1)
	s_and_saveexec_b32 s1, s0
	s_cbranch_execz .LBB160_209
; %bb.208:
	v_add_co_u32 v0, vcc_lo, v15, v16
	s_waitcnt lgkmcnt(1)
	v_mov_b32_e32 v2, 0
	v_add_co_ci_u32_e32 v1, vcc_lo, 0, v17, vcc_lo
	global_store_b64 v2, v[0:1], s[8:9]
.LBB160_209:
	s_nop 0
	s_sendmsg sendmsg(MSG_DEALLOC_VGPRS)
	s_endpgm
	.section	.rodata,"a",@progbits
	.p2align	6, 0x0
	.amdhsa_kernel _ZN7rocprim17ROCPRIM_400000_NS6detail17trampoline_kernelINS0_13select_configILj256ELj13ELNS0_17block_load_methodE3ELS4_3ELS4_3ELNS0_20block_scan_algorithmE0ELj4294967295EEENS1_25partition_config_selectorILNS1_17partition_subalgoE3EjNS0_10empty_typeEbEEZZNS1_14partition_implILS8_3ELb0ES6_jNS0_17counting_iteratorIjlEEPS9_SE_NS0_5tupleIJPjSE_EEENSF_IJSE_SE_EEES9_SG_JZNS1_25segmented_radix_sort_implINS0_14default_configELb0EPKhPhPKlPlN2at6native12_GLOBAL__N_18offset_tEEE10hipError_tPvRmT1_PNSt15iterator_traitsISY_E10value_typeET2_T3_PNSZ_IS14_E10value_typeET4_jRbjT5_S1A_jjP12ihipStream_tbEUljE_EEESV_SW_SX_S14_S18_S1A_T6_T7_T9_mT8_S1C_bDpT10_ENKUlT_T0_E_clISt17integral_constantIbLb0EES1P_EEDaS1K_S1L_EUlS1K_E_NS1_11comp_targetILNS1_3genE9ELNS1_11target_archE1100ELNS1_3gpuE3ELNS1_3repE0EEENS1_30default_config_static_selectorELNS0_4arch9wavefront6targetE0EEEvSY_
		.amdhsa_group_segment_fixed_size 13324
		.amdhsa_private_segment_fixed_size 0
		.amdhsa_kernarg_size 144
		.amdhsa_user_sgpr_count 15
		.amdhsa_user_sgpr_dispatch_ptr 0
		.amdhsa_user_sgpr_queue_ptr 0
		.amdhsa_user_sgpr_kernarg_segment_ptr 1
		.amdhsa_user_sgpr_dispatch_id 0
		.amdhsa_user_sgpr_private_segment_size 0
		.amdhsa_wavefront_size32 1
		.amdhsa_uses_dynamic_stack 0
		.amdhsa_enable_private_segment 0
		.amdhsa_system_sgpr_workgroup_id_x 1
		.amdhsa_system_sgpr_workgroup_id_y 0
		.amdhsa_system_sgpr_workgroup_id_z 0
		.amdhsa_system_sgpr_workgroup_info 0
		.amdhsa_system_vgpr_workitem_id 0
		.amdhsa_next_free_vgpr 57
		.amdhsa_next_free_sgpr 28
		.amdhsa_reserve_vcc 1
		.amdhsa_float_round_mode_32 0
		.amdhsa_float_round_mode_16_64 0
		.amdhsa_float_denorm_mode_32 3
		.amdhsa_float_denorm_mode_16_64 3
		.amdhsa_dx10_clamp 1
		.amdhsa_ieee_mode 1
		.amdhsa_fp16_overflow 0
		.amdhsa_workgroup_processor_mode 1
		.amdhsa_memory_ordered 1
		.amdhsa_forward_progress 0
		.amdhsa_shared_vgpr_count 0
		.amdhsa_exception_fp_ieee_invalid_op 0
		.amdhsa_exception_fp_denorm_src 0
		.amdhsa_exception_fp_ieee_div_zero 0
		.amdhsa_exception_fp_ieee_overflow 0
		.amdhsa_exception_fp_ieee_underflow 0
		.amdhsa_exception_fp_ieee_inexact 0
		.amdhsa_exception_int_div_zero 0
	.end_amdhsa_kernel
	.section	.text._ZN7rocprim17ROCPRIM_400000_NS6detail17trampoline_kernelINS0_13select_configILj256ELj13ELNS0_17block_load_methodE3ELS4_3ELS4_3ELNS0_20block_scan_algorithmE0ELj4294967295EEENS1_25partition_config_selectorILNS1_17partition_subalgoE3EjNS0_10empty_typeEbEEZZNS1_14partition_implILS8_3ELb0ES6_jNS0_17counting_iteratorIjlEEPS9_SE_NS0_5tupleIJPjSE_EEENSF_IJSE_SE_EEES9_SG_JZNS1_25segmented_radix_sort_implINS0_14default_configELb0EPKhPhPKlPlN2at6native12_GLOBAL__N_18offset_tEEE10hipError_tPvRmT1_PNSt15iterator_traitsISY_E10value_typeET2_T3_PNSZ_IS14_E10value_typeET4_jRbjT5_S1A_jjP12ihipStream_tbEUljE_EEESV_SW_SX_S14_S18_S1A_T6_T7_T9_mT8_S1C_bDpT10_ENKUlT_T0_E_clISt17integral_constantIbLb0EES1P_EEDaS1K_S1L_EUlS1K_E_NS1_11comp_targetILNS1_3genE9ELNS1_11target_archE1100ELNS1_3gpuE3ELNS1_3repE0EEENS1_30default_config_static_selectorELNS0_4arch9wavefront6targetE0EEEvSY_,"axG",@progbits,_ZN7rocprim17ROCPRIM_400000_NS6detail17trampoline_kernelINS0_13select_configILj256ELj13ELNS0_17block_load_methodE3ELS4_3ELS4_3ELNS0_20block_scan_algorithmE0ELj4294967295EEENS1_25partition_config_selectorILNS1_17partition_subalgoE3EjNS0_10empty_typeEbEEZZNS1_14partition_implILS8_3ELb0ES6_jNS0_17counting_iteratorIjlEEPS9_SE_NS0_5tupleIJPjSE_EEENSF_IJSE_SE_EEES9_SG_JZNS1_25segmented_radix_sort_implINS0_14default_configELb0EPKhPhPKlPlN2at6native12_GLOBAL__N_18offset_tEEE10hipError_tPvRmT1_PNSt15iterator_traitsISY_E10value_typeET2_T3_PNSZ_IS14_E10value_typeET4_jRbjT5_S1A_jjP12ihipStream_tbEUljE_EEESV_SW_SX_S14_S18_S1A_T6_T7_T9_mT8_S1C_bDpT10_ENKUlT_T0_E_clISt17integral_constantIbLb0EES1P_EEDaS1K_S1L_EUlS1K_E_NS1_11comp_targetILNS1_3genE9ELNS1_11target_archE1100ELNS1_3gpuE3ELNS1_3repE0EEENS1_30default_config_static_selectorELNS0_4arch9wavefront6targetE0EEEvSY_,comdat
.Lfunc_end160:
	.size	_ZN7rocprim17ROCPRIM_400000_NS6detail17trampoline_kernelINS0_13select_configILj256ELj13ELNS0_17block_load_methodE3ELS4_3ELS4_3ELNS0_20block_scan_algorithmE0ELj4294967295EEENS1_25partition_config_selectorILNS1_17partition_subalgoE3EjNS0_10empty_typeEbEEZZNS1_14partition_implILS8_3ELb0ES6_jNS0_17counting_iteratorIjlEEPS9_SE_NS0_5tupleIJPjSE_EEENSF_IJSE_SE_EEES9_SG_JZNS1_25segmented_radix_sort_implINS0_14default_configELb0EPKhPhPKlPlN2at6native12_GLOBAL__N_18offset_tEEE10hipError_tPvRmT1_PNSt15iterator_traitsISY_E10value_typeET2_T3_PNSZ_IS14_E10value_typeET4_jRbjT5_S1A_jjP12ihipStream_tbEUljE_EEESV_SW_SX_S14_S18_S1A_T6_T7_T9_mT8_S1C_bDpT10_ENKUlT_T0_E_clISt17integral_constantIbLb0EES1P_EEDaS1K_S1L_EUlS1K_E_NS1_11comp_targetILNS1_3genE9ELNS1_11target_archE1100ELNS1_3gpuE3ELNS1_3repE0EEENS1_30default_config_static_selectorELNS0_4arch9wavefront6targetE0EEEvSY_, .Lfunc_end160-_ZN7rocprim17ROCPRIM_400000_NS6detail17trampoline_kernelINS0_13select_configILj256ELj13ELNS0_17block_load_methodE3ELS4_3ELS4_3ELNS0_20block_scan_algorithmE0ELj4294967295EEENS1_25partition_config_selectorILNS1_17partition_subalgoE3EjNS0_10empty_typeEbEEZZNS1_14partition_implILS8_3ELb0ES6_jNS0_17counting_iteratorIjlEEPS9_SE_NS0_5tupleIJPjSE_EEENSF_IJSE_SE_EEES9_SG_JZNS1_25segmented_radix_sort_implINS0_14default_configELb0EPKhPhPKlPlN2at6native12_GLOBAL__N_18offset_tEEE10hipError_tPvRmT1_PNSt15iterator_traitsISY_E10value_typeET2_T3_PNSZ_IS14_E10value_typeET4_jRbjT5_S1A_jjP12ihipStream_tbEUljE_EEESV_SW_SX_S14_S18_S1A_T6_T7_T9_mT8_S1C_bDpT10_ENKUlT_T0_E_clISt17integral_constantIbLb0EES1P_EEDaS1K_S1L_EUlS1K_E_NS1_11comp_targetILNS1_3genE9ELNS1_11target_archE1100ELNS1_3gpuE3ELNS1_3repE0EEENS1_30default_config_static_selectorELNS0_4arch9wavefront6targetE0EEEvSY_
                                        ; -- End function
	.section	.AMDGPU.csdata,"",@progbits
; Kernel info:
; codeLenInByte = 8864
; NumSgprs: 30
; NumVgprs: 57
; ScratchSize: 0
; MemoryBound: 0
; FloatMode: 240
; IeeeMode: 1
; LDSByteSize: 13324 bytes/workgroup (compile time only)
; SGPRBlocks: 3
; VGPRBlocks: 7
; NumSGPRsForWavesPerEU: 30
; NumVGPRsForWavesPerEU: 57
; Occupancy: 16
; WaveLimiterHint : 0
; COMPUTE_PGM_RSRC2:SCRATCH_EN: 0
; COMPUTE_PGM_RSRC2:USER_SGPR: 15
; COMPUTE_PGM_RSRC2:TRAP_HANDLER: 0
; COMPUTE_PGM_RSRC2:TGID_X_EN: 1
; COMPUTE_PGM_RSRC2:TGID_Y_EN: 0
; COMPUTE_PGM_RSRC2:TGID_Z_EN: 0
; COMPUTE_PGM_RSRC2:TIDIG_COMP_CNT: 0
	.section	.text._ZN7rocprim17ROCPRIM_400000_NS6detail17trampoline_kernelINS0_13select_configILj256ELj13ELNS0_17block_load_methodE3ELS4_3ELS4_3ELNS0_20block_scan_algorithmE0ELj4294967295EEENS1_25partition_config_selectorILNS1_17partition_subalgoE3EjNS0_10empty_typeEbEEZZNS1_14partition_implILS8_3ELb0ES6_jNS0_17counting_iteratorIjlEEPS9_SE_NS0_5tupleIJPjSE_EEENSF_IJSE_SE_EEES9_SG_JZNS1_25segmented_radix_sort_implINS0_14default_configELb0EPKhPhPKlPlN2at6native12_GLOBAL__N_18offset_tEEE10hipError_tPvRmT1_PNSt15iterator_traitsISY_E10value_typeET2_T3_PNSZ_IS14_E10value_typeET4_jRbjT5_S1A_jjP12ihipStream_tbEUljE_EEESV_SW_SX_S14_S18_S1A_T6_T7_T9_mT8_S1C_bDpT10_ENKUlT_T0_E_clISt17integral_constantIbLb0EES1P_EEDaS1K_S1L_EUlS1K_E_NS1_11comp_targetILNS1_3genE8ELNS1_11target_archE1030ELNS1_3gpuE2ELNS1_3repE0EEENS1_30default_config_static_selectorELNS0_4arch9wavefront6targetE0EEEvSY_,"axG",@progbits,_ZN7rocprim17ROCPRIM_400000_NS6detail17trampoline_kernelINS0_13select_configILj256ELj13ELNS0_17block_load_methodE3ELS4_3ELS4_3ELNS0_20block_scan_algorithmE0ELj4294967295EEENS1_25partition_config_selectorILNS1_17partition_subalgoE3EjNS0_10empty_typeEbEEZZNS1_14partition_implILS8_3ELb0ES6_jNS0_17counting_iteratorIjlEEPS9_SE_NS0_5tupleIJPjSE_EEENSF_IJSE_SE_EEES9_SG_JZNS1_25segmented_radix_sort_implINS0_14default_configELb0EPKhPhPKlPlN2at6native12_GLOBAL__N_18offset_tEEE10hipError_tPvRmT1_PNSt15iterator_traitsISY_E10value_typeET2_T3_PNSZ_IS14_E10value_typeET4_jRbjT5_S1A_jjP12ihipStream_tbEUljE_EEESV_SW_SX_S14_S18_S1A_T6_T7_T9_mT8_S1C_bDpT10_ENKUlT_T0_E_clISt17integral_constantIbLb0EES1P_EEDaS1K_S1L_EUlS1K_E_NS1_11comp_targetILNS1_3genE8ELNS1_11target_archE1030ELNS1_3gpuE2ELNS1_3repE0EEENS1_30default_config_static_selectorELNS0_4arch9wavefront6targetE0EEEvSY_,comdat
	.globl	_ZN7rocprim17ROCPRIM_400000_NS6detail17trampoline_kernelINS0_13select_configILj256ELj13ELNS0_17block_load_methodE3ELS4_3ELS4_3ELNS0_20block_scan_algorithmE0ELj4294967295EEENS1_25partition_config_selectorILNS1_17partition_subalgoE3EjNS0_10empty_typeEbEEZZNS1_14partition_implILS8_3ELb0ES6_jNS0_17counting_iteratorIjlEEPS9_SE_NS0_5tupleIJPjSE_EEENSF_IJSE_SE_EEES9_SG_JZNS1_25segmented_radix_sort_implINS0_14default_configELb0EPKhPhPKlPlN2at6native12_GLOBAL__N_18offset_tEEE10hipError_tPvRmT1_PNSt15iterator_traitsISY_E10value_typeET2_T3_PNSZ_IS14_E10value_typeET4_jRbjT5_S1A_jjP12ihipStream_tbEUljE_EEESV_SW_SX_S14_S18_S1A_T6_T7_T9_mT8_S1C_bDpT10_ENKUlT_T0_E_clISt17integral_constantIbLb0EES1P_EEDaS1K_S1L_EUlS1K_E_NS1_11comp_targetILNS1_3genE8ELNS1_11target_archE1030ELNS1_3gpuE2ELNS1_3repE0EEENS1_30default_config_static_selectorELNS0_4arch9wavefront6targetE0EEEvSY_ ; -- Begin function _ZN7rocprim17ROCPRIM_400000_NS6detail17trampoline_kernelINS0_13select_configILj256ELj13ELNS0_17block_load_methodE3ELS4_3ELS4_3ELNS0_20block_scan_algorithmE0ELj4294967295EEENS1_25partition_config_selectorILNS1_17partition_subalgoE3EjNS0_10empty_typeEbEEZZNS1_14partition_implILS8_3ELb0ES6_jNS0_17counting_iteratorIjlEEPS9_SE_NS0_5tupleIJPjSE_EEENSF_IJSE_SE_EEES9_SG_JZNS1_25segmented_radix_sort_implINS0_14default_configELb0EPKhPhPKlPlN2at6native12_GLOBAL__N_18offset_tEEE10hipError_tPvRmT1_PNSt15iterator_traitsISY_E10value_typeET2_T3_PNSZ_IS14_E10value_typeET4_jRbjT5_S1A_jjP12ihipStream_tbEUljE_EEESV_SW_SX_S14_S18_S1A_T6_T7_T9_mT8_S1C_bDpT10_ENKUlT_T0_E_clISt17integral_constantIbLb0EES1P_EEDaS1K_S1L_EUlS1K_E_NS1_11comp_targetILNS1_3genE8ELNS1_11target_archE1030ELNS1_3gpuE2ELNS1_3repE0EEENS1_30default_config_static_selectorELNS0_4arch9wavefront6targetE0EEEvSY_
	.p2align	8
	.type	_ZN7rocprim17ROCPRIM_400000_NS6detail17trampoline_kernelINS0_13select_configILj256ELj13ELNS0_17block_load_methodE3ELS4_3ELS4_3ELNS0_20block_scan_algorithmE0ELj4294967295EEENS1_25partition_config_selectorILNS1_17partition_subalgoE3EjNS0_10empty_typeEbEEZZNS1_14partition_implILS8_3ELb0ES6_jNS0_17counting_iteratorIjlEEPS9_SE_NS0_5tupleIJPjSE_EEENSF_IJSE_SE_EEES9_SG_JZNS1_25segmented_radix_sort_implINS0_14default_configELb0EPKhPhPKlPlN2at6native12_GLOBAL__N_18offset_tEEE10hipError_tPvRmT1_PNSt15iterator_traitsISY_E10value_typeET2_T3_PNSZ_IS14_E10value_typeET4_jRbjT5_S1A_jjP12ihipStream_tbEUljE_EEESV_SW_SX_S14_S18_S1A_T6_T7_T9_mT8_S1C_bDpT10_ENKUlT_T0_E_clISt17integral_constantIbLb0EES1P_EEDaS1K_S1L_EUlS1K_E_NS1_11comp_targetILNS1_3genE8ELNS1_11target_archE1030ELNS1_3gpuE2ELNS1_3repE0EEENS1_30default_config_static_selectorELNS0_4arch9wavefront6targetE0EEEvSY_,@function
_ZN7rocprim17ROCPRIM_400000_NS6detail17trampoline_kernelINS0_13select_configILj256ELj13ELNS0_17block_load_methodE3ELS4_3ELS4_3ELNS0_20block_scan_algorithmE0ELj4294967295EEENS1_25partition_config_selectorILNS1_17partition_subalgoE3EjNS0_10empty_typeEbEEZZNS1_14partition_implILS8_3ELb0ES6_jNS0_17counting_iteratorIjlEEPS9_SE_NS0_5tupleIJPjSE_EEENSF_IJSE_SE_EEES9_SG_JZNS1_25segmented_radix_sort_implINS0_14default_configELb0EPKhPhPKlPlN2at6native12_GLOBAL__N_18offset_tEEE10hipError_tPvRmT1_PNSt15iterator_traitsISY_E10value_typeET2_T3_PNSZ_IS14_E10value_typeET4_jRbjT5_S1A_jjP12ihipStream_tbEUljE_EEESV_SW_SX_S14_S18_S1A_T6_T7_T9_mT8_S1C_bDpT10_ENKUlT_T0_E_clISt17integral_constantIbLb0EES1P_EEDaS1K_S1L_EUlS1K_E_NS1_11comp_targetILNS1_3genE8ELNS1_11target_archE1030ELNS1_3gpuE2ELNS1_3repE0EEENS1_30default_config_static_selectorELNS0_4arch9wavefront6targetE0EEEvSY_: ; @_ZN7rocprim17ROCPRIM_400000_NS6detail17trampoline_kernelINS0_13select_configILj256ELj13ELNS0_17block_load_methodE3ELS4_3ELS4_3ELNS0_20block_scan_algorithmE0ELj4294967295EEENS1_25partition_config_selectorILNS1_17partition_subalgoE3EjNS0_10empty_typeEbEEZZNS1_14partition_implILS8_3ELb0ES6_jNS0_17counting_iteratorIjlEEPS9_SE_NS0_5tupleIJPjSE_EEENSF_IJSE_SE_EEES9_SG_JZNS1_25segmented_radix_sort_implINS0_14default_configELb0EPKhPhPKlPlN2at6native12_GLOBAL__N_18offset_tEEE10hipError_tPvRmT1_PNSt15iterator_traitsISY_E10value_typeET2_T3_PNSZ_IS14_E10value_typeET4_jRbjT5_S1A_jjP12ihipStream_tbEUljE_EEESV_SW_SX_S14_S18_S1A_T6_T7_T9_mT8_S1C_bDpT10_ENKUlT_T0_E_clISt17integral_constantIbLb0EES1P_EEDaS1K_S1L_EUlS1K_E_NS1_11comp_targetILNS1_3genE8ELNS1_11target_archE1030ELNS1_3gpuE2ELNS1_3repE0EEENS1_30default_config_static_selectorELNS0_4arch9wavefront6targetE0EEEvSY_
; %bb.0:
	.section	.rodata,"a",@progbits
	.p2align	6, 0x0
	.amdhsa_kernel _ZN7rocprim17ROCPRIM_400000_NS6detail17trampoline_kernelINS0_13select_configILj256ELj13ELNS0_17block_load_methodE3ELS4_3ELS4_3ELNS0_20block_scan_algorithmE0ELj4294967295EEENS1_25partition_config_selectorILNS1_17partition_subalgoE3EjNS0_10empty_typeEbEEZZNS1_14partition_implILS8_3ELb0ES6_jNS0_17counting_iteratorIjlEEPS9_SE_NS0_5tupleIJPjSE_EEENSF_IJSE_SE_EEES9_SG_JZNS1_25segmented_radix_sort_implINS0_14default_configELb0EPKhPhPKlPlN2at6native12_GLOBAL__N_18offset_tEEE10hipError_tPvRmT1_PNSt15iterator_traitsISY_E10value_typeET2_T3_PNSZ_IS14_E10value_typeET4_jRbjT5_S1A_jjP12ihipStream_tbEUljE_EEESV_SW_SX_S14_S18_S1A_T6_T7_T9_mT8_S1C_bDpT10_ENKUlT_T0_E_clISt17integral_constantIbLb0EES1P_EEDaS1K_S1L_EUlS1K_E_NS1_11comp_targetILNS1_3genE8ELNS1_11target_archE1030ELNS1_3gpuE2ELNS1_3repE0EEENS1_30default_config_static_selectorELNS0_4arch9wavefront6targetE0EEEvSY_
		.amdhsa_group_segment_fixed_size 0
		.amdhsa_private_segment_fixed_size 0
		.amdhsa_kernarg_size 144
		.amdhsa_user_sgpr_count 15
		.amdhsa_user_sgpr_dispatch_ptr 0
		.amdhsa_user_sgpr_queue_ptr 0
		.amdhsa_user_sgpr_kernarg_segment_ptr 1
		.amdhsa_user_sgpr_dispatch_id 0
		.amdhsa_user_sgpr_private_segment_size 0
		.amdhsa_wavefront_size32 1
		.amdhsa_uses_dynamic_stack 0
		.amdhsa_enable_private_segment 0
		.amdhsa_system_sgpr_workgroup_id_x 1
		.amdhsa_system_sgpr_workgroup_id_y 0
		.amdhsa_system_sgpr_workgroup_id_z 0
		.amdhsa_system_sgpr_workgroup_info 0
		.amdhsa_system_vgpr_workitem_id 0
		.amdhsa_next_free_vgpr 1
		.amdhsa_next_free_sgpr 1
		.amdhsa_reserve_vcc 0
		.amdhsa_float_round_mode_32 0
		.amdhsa_float_round_mode_16_64 0
		.amdhsa_float_denorm_mode_32 3
		.amdhsa_float_denorm_mode_16_64 3
		.amdhsa_dx10_clamp 1
		.amdhsa_ieee_mode 1
		.amdhsa_fp16_overflow 0
		.amdhsa_workgroup_processor_mode 1
		.amdhsa_memory_ordered 1
		.amdhsa_forward_progress 0
		.amdhsa_shared_vgpr_count 0
		.amdhsa_exception_fp_ieee_invalid_op 0
		.amdhsa_exception_fp_denorm_src 0
		.amdhsa_exception_fp_ieee_div_zero 0
		.amdhsa_exception_fp_ieee_overflow 0
		.amdhsa_exception_fp_ieee_underflow 0
		.amdhsa_exception_fp_ieee_inexact 0
		.amdhsa_exception_int_div_zero 0
	.end_amdhsa_kernel
	.section	.text._ZN7rocprim17ROCPRIM_400000_NS6detail17trampoline_kernelINS0_13select_configILj256ELj13ELNS0_17block_load_methodE3ELS4_3ELS4_3ELNS0_20block_scan_algorithmE0ELj4294967295EEENS1_25partition_config_selectorILNS1_17partition_subalgoE3EjNS0_10empty_typeEbEEZZNS1_14partition_implILS8_3ELb0ES6_jNS0_17counting_iteratorIjlEEPS9_SE_NS0_5tupleIJPjSE_EEENSF_IJSE_SE_EEES9_SG_JZNS1_25segmented_radix_sort_implINS0_14default_configELb0EPKhPhPKlPlN2at6native12_GLOBAL__N_18offset_tEEE10hipError_tPvRmT1_PNSt15iterator_traitsISY_E10value_typeET2_T3_PNSZ_IS14_E10value_typeET4_jRbjT5_S1A_jjP12ihipStream_tbEUljE_EEESV_SW_SX_S14_S18_S1A_T6_T7_T9_mT8_S1C_bDpT10_ENKUlT_T0_E_clISt17integral_constantIbLb0EES1P_EEDaS1K_S1L_EUlS1K_E_NS1_11comp_targetILNS1_3genE8ELNS1_11target_archE1030ELNS1_3gpuE2ELNS1_3repE0EEENS1_30default_config_static_selectorELNS0_4arch9wavefront6targetE0EEEvSY_,"axG",@progbits,_ZN7rocprim17ROCPRIM_400000_NS6detail17trampoline_kernelINS0_13select_configILj256ELj13ELNS0_17block_load_methodE3ELS4_3ELS4_3ELNS0_20block_scan_algorithmE0ELj4294967295EEENS1_25partition_config_selectorILNS1_17partition_subalgoE3EjNS0_10empty_typeEbEEZZNS1_14partition_implILS8_3ELb0ES6_jNS0_17counting_iteratorIjlEEPS9_SE_NS0_5tupleIJPjSE_EEENSF_IJSE_SE_EEES9_SG_JZNS1_25segmented_radix_sort_implINS0_14default_configELb0EPKhPhPKlPlN2at6native12_GLOBAL__N_18offset_tEEE10hipError_tPvRmT1_PNSt15iterator_traitsISY_E10value_typeET2_T3_PNSZ_IS14_E10value_typeET4_jRbjT5_S1A_jjP12ihipStream_tbEUljE_EEESV_SW_SX_S14_S18_S1A_T6_T7_T9_mT8_S1C_bDpT10_ENKUlT_T0_E_clISt17integral_constantIbLb0EES1P_EEDaS1K_S1L_EUlS1K_E_NS1_11comp_targetILNS1_3genE8ELNS1_11target_archE1030ELNS1_3gpuE2ELNS1_3repE0EEENS1_30default_config_static_selectorELNS0_4arch9wavefront6targetE0EEEvSY_,comdat
.Lfunc_end161:
	.size	_ZN7rocprim17ROCPRIM_400000_NS6detail17trampoline_kernelINS0_13select_configILj256ELj13ELNS0_17block_load_methodE3ELS4_3ELS4_3ELNS0_20block_scan_algorithmE0ELj4294967295EEENS1_25partition_config_selectorILNS1_17partition_subalgoE3EjNS0_10empty_typeEbEEZZNS1_14partition_implILS8_3ELb0ES6_jNS0_17counting_iteratorIjlEEPS9_SE_NS0_5tupleIJPjSE_EEENSF_IJSE_SE_EEES9_SG_JZNS1_25segmented_radix_sort_implINS0_14default_configELb0EPKhPhPKlPlN2at6native12_GLOBAL__N_18offset_tEEE10hipError_tPvRmT1_PNSt15iterator_traitsISY_E10value_typeET2_T3_PNSZ_IS14_E10value_typeET4_jRbjT5_S1A_jjP12ihipStream_tbEUljE_EEESV_SW_SX_S14_S18_S1A_T6_T7_T9_mT8_S1C_bDpT10_ENKUlT_T0_E_clISt17integral_constantIbLb0EES1P_EEDaS1K_S1L_EUlS1K_E_NS1_11comp_targetILNS1_3genE8ELNS1_11target_archE1030ELNS1_3gpuE2ELNS1_3repE0EEENS1_30default_config_static_selectorELNS0_4arch9wavefront6targetE0EEEvSY_, .Lfunc_end161-_ZN7rocprim17ROCPRIM_400000_NS6detail17trampoline_kernelINS0_13select_configILj256ELj13ELNS0_17block_load_methodE3ELS4_3ELS4_3ELNS0_20block_scan_algorithmE0ELj4294967295EEENS1_25partition_config_selectorILNS1_17partition_subalgoE3EjNS0_10empty_typeEbEEZZNS1_14partition_implILS8_3ELb0ES6_jNS0_17counting_iteratorIjlEEPS9_SE_NS0_5tupleIJPjSE_EEENSF_IJSE_SE_EEES9_SG_JZNS1_25segmented_radix_sort_implINS0_14default_configELb0EPKhPhPKlPlN2at6native12_GLOBAL__N_18offset_tEEE10hipError_tPvRmT1_PNSt15iterator_traitsISY_E10value_typeET2_T3_PNSZ_IS14_E10value_typeET4_jRbjT5_S1A_jjP12ihipStream_tbEUljE_EEESV_SW_SX_S14_S18_S1A_T6_T7_T9_mT8_S1C_bDpT10_ENKUlT_T0_E_clISt17integral_constantIbLb0EES1P_EEDaS1K_S1L_EUlS1K_E_NS1_11comp_targetILNS1_3genE8ELNS1_11target_archE1030ELNS1_3gpuE2ELNS1_3repE0EEENS1_30default_config_static_selectorELNS0_4arch9wavefront6targetE0EEEvSY_
                                        ; -- End function
	.section	.AMDGPU.csdata,"",@progbits
; Kernel info:
; codeLenInByte = 0
; NumSgprs: 0
; NumVgprs: 0
; ScratchSize: 0
; MemoryBound: 0
; FloatMode: 240
; IeeeMode: 1
; LDSByteSize: 0 bytes/workgroup (compile time only)
; SGPRBlocks: 0
; VGPRBlocks: 0
; NumSGPRsForWavesPerEU: 1
; NumVGPRsForWavesPerEU: 1
; Occupancy: 16
; WaveLimiterHint : 0
; COMPUTE_PGM_RSRC2:SCRATCH_EN: 0
; COMPUTE_PGM_RSRC2:USER_SGPR: 15
; COMPUTE_PGM_RSRC2:TRAP_HANDLER: 0
; COMPUTE_PGM_RSRC2:TGID_X_EN: 1
; COMPUTE_PGM_RSRC2:TGID_Y_EN: 0
; COMPUTE_PGM_RSRC2:TGID_Z_EN: 0
; COMPUTE_PGM_RSRC2:TIDIG_COMP_CNT: 0
	.section	.text._ZN7rocprim17ROCPRIM_400000_NS6detail17trampoline_kernelINS0_13select_configILj256ELj13ELNS0_17block_load_methodE3ELS4_3ELS4_3ELNS0_20block_scan_algorithmE0ELj4294967295EEENS1_25partition_config_selectorILNS1_17partition_subalgoE3EjNS0_10empty_typeEbEEZZNS1_14partition_implILS8_3ELb0ES6_jNS0_17counting_iteratorIjlEEPS9_SE_NS0_5tupleIJPjSE_EEENSF_IJSE_SE_EEES9_SG_JZNS1_25segmented_radix_sort_implINS0_14default_configELb0EPKhPhPKlPlN2at6native12_GLOBAL__N_18offset_tEEE10hipError_tPvRmT1_PNSt15iterator_traitsISY_E10value_typeET2_T3_PNSZ_IS14_E10value_typeET4_jRbjT5_S1A_jjP12ihipStream_tbEUljE_EEESV_SW_SX_S14_S18_S1A_T6_T7_T9_mT8_S1C_bDpT10_ENKUlT_T0_E_clISt17integral_constantIbLb1EES1P_EEDaS1K_S1L_EUlS1K_E_NS1_11comp_targetILNS1_3genE0ELNS1_11target_archE4294967295ELNS1_3gpuE0ELNS1_3repE0EEENS1_30default_config_static_selectorELNS0_4arch9wavefront6targetE0EEEvSY_,"axG",@progbits,_ZN7rocprim17ROCPRIM_400000_NS6detail17trampoline_kernelINS0_13select_configILj256ELj13ELNS0_17block_load_methodE3ELS4_3ELS4_3ELNS0_20block_scan_algorithmE0ELj4294967295EEENS1_25partition_config_selectorILNS1_17partition_subalgoE3EjNS0_10empty_typeEbEEZZNS1_14partition_implILS8_3ELb0ES6_jNS0_17counting_iteratorIjlEEPS9_SE_NS0_5tupleIJPjSE_EEENSF_IJSE_SE_EEES9_SG_JZNS1_25segmented_radix_sort_implINS0_14default_configELb0EPKhPhPKlPlN2at6native12_GLOBAL__N_18offset_tEEE10hipError_tPvRmT1_PNSt15iterator_traitsISY_E10value_typeET2_T3_PNSZ_IS14_E10value_typeET4_jRbjT5_S1A_jjP12ihipStream_tbEUljE_EEESV_SW_SX_S14_S18_S1A_T6_T7_T9_mT8_S1C_bDpT10_ENKUlT_T0_E_clISt17integral_constantIbLb1EES1P_EEDaS1K_S1L_EUlS1K_E_NS1_11comp_targetILNS1_3genE0ELNS1_11target_archE4294967295ELNS1_3gpuE0ELNS1_3repE0EEENS1_30default_config_static_selectorELNS0_4arch9wavefront6targetE0EEEvSY_,comdat
	.globl	_ZN7rocprim17ROCPRIM_400000_NS6detail17trampoline_kernelINS0_13select_configILj256ELj13ELNS0_17block_load_methodE3ELS4_3ELS4_3ELNS0_20block_scan_algorithmE0ELj4294967295EEENS1_25partition_config_selectorILNS1_17partition_subalgoE3EjNS0_10empty_typeEbEEZZNS1_14partition_implILS8_3ELb0ES6_jNS0_17counting_iteratorIjlEEPS9_SE_NS0_5tupleIJPjSE_EEENSF_IJSE_SE_EEES9_SG_JZNS1_25segmented_radix_sort_implINS0_14default_configELb0EPKhPhPKlPlN2at6native12_GLOBAL__N_18offset_tEEE10hipError_tPvRmT1_PNSt15iterator_traitsISY_E10value_typeET2_T3_PNSZ_IS14_E10value_typeET4_jRbjT5_S1A_jjP12ihipStream_tbEUljE_EEESV_SW_SX_S14_S18_S1A_T6_T7_T9_mT8_S1C_bDpT10_ENKUlT_T0_E_clISt17integral_constantIbLb1EES1P_EEDaS1K_S1L_EUlS1K_E_NS1_11comp_targetILNS1_3genE0ELNS1_11target_archE4294967295ELNS1_3gpuE0ELNS1_3repE0EEENS1_30default_config_static_selectorELNS0_4arch9wavefront6targetE0EEEvSY_ ; -- Begin function _ZN7rocprim17ROCPRIM_400000_NS6detail17trampoline_kernelINS0_13select_configILj256ELj13ELNS0_17block_load_methodE3ELS4_3ELS4_3ELNS0_20block_scan_algorithmE0ELj4294967295EEENS1_25partition_config_selectorILNS1_17partition_subalgoE3EjNS0_10empty_typeEbEEZZNS1_14partition_implILS8_3ELb0ES6_jNS0_17counting_iteratorIjlEEPS9_SE_NS0_5tupleIJPjSE_EEENSF_IJSE_SE_EEES9_SG_JZNS1_25segmented_radix_sort_implINS0_14default_configELb0EPKhPhPKlPlN2at6native12_GLOBAL__N_18offset_tEEE10hipError_tPvRmT1_PNSt15iterator_traitsISY_E10value_typeET2_T3_PNSZ_IS14_E10value_typeET4_jRbjT5_S1A_jjP12ihipStream_tbEUljE_EEESV_SW_SX_S14_S18_S1A_T6_T7_T9_mT8_S1C_bDpT10_ENKUlT_T0_E_clISt17integral_constantIbLb1EES1P_EEDaS1K_S1L_EUlS1K_E_NS1_11comp_targetILNS1_3genE0ELNS1_11target_archE4294967295ELNS1_3gpuE0ELNS1_3repE0EEENS1_30default_config_static_selectorELNS0_4arch9wavefront6targetE0EEEvSY_
	.p2align	8
	.type	_ZN7rocprim17ROCPRIM_400000_NS6detail17trampoline_kernelINS0_13select_configILj256ELj13ELNS0_17block_load_methodE3ELS4_3ELS4_3ELNS0_20block_scan_algorithmE0ELj4294967295EEENS1_25partition_config_selectorILNS1_17partition_subalgoE3EjNS0_10empty_typeEbEEZZNS1_14partition_implILS8_3ELb0ES6_jNS0_17counting_iteratorIjlEEPS9_SE_NS0_5tupleIJPjSE_EEENSF_IJSE_SE_EEES9_SG_JZNS1_25segmented_radix_sort_implINS0_14default_configELb0EPKhPhPKlPlN2at6native12_GLOBAL__N_18offset_tEEE10hipError_tPvRmT1_PNSt15iterator_traitsISY_E10value_typeET2_T3_PNSZ_IS14_E10value_typeET4_jRbjT5_S1A_jjP12ihipStream_tbEUljE_EEESV_SW_SX_S14_S18_S1A_T6_T7_T9_mT8_S1C_bDpT10_ENKUlT_T0_E_clISt17integral_constantIbLb1EES1P_EEDaS1K_S1L_EUlS1K_E_NS1_11comp_targetILNS1_3genE0ELNS1_11target_archE4294967295ELNS1_3gpuE0ELNS1_3repE0EEENS1_30default_config_static_selectorELNS0_4arch9wavefront6targetE0EEEvSY_,@function
_ZN7rocprim17ROCPRIM_400000_NS6detail17trampoline_kernelINS0_13select_configILj256ELj13ELNS0_17block_load_methodE3ELS4_3ELS4_3ELNS0_20block_scan_algorithmE0ELj4294967295EEENS1_25partition_config_selectorILNS1_17partition_subalgoE3EjNS0_10empty_typeEbEEZZNS1_14partition_implILS8_3ELb0ES6_jNS0_17counting_iteratorIjlEEPS9_SE_NS0_5tupleIJPjSE_EEENSF_IJSE_SE_EEES9_SG_JZNS1_25segmented_radix_sort_implINS0_14default_configELb0EPKhPhPKlPlN2at6native12_GLOBAL__N_18offset_tEEE10hipError_tPvRmT1_PNSt15iterator_traitsISY_E10value_typeET2_T3_PNSZ_IS14_E10value_typeET4_jRbjT5_S1A_jjP12ihipStream_tbEUljE_EEESV_SW_SX_S14_S18_S1A_T6_T7_T9_mT8_S1C_bDpT10_ENKUlT_T0_E_clISt17integral_constantIbLb1EES1P_EEDaS1K_S1L_EUlS1K_E_NS1_11comp_targetILNS1_3genE0ELNS1_11target_archE4294967295ELNS1_3gpuE0ELNS1_3repE0EEENS1_30default_config_static_selectorELNS0_4arch9wavefront6targetE0EEEvSY_: ; @_ZN7rocprim17ROCPRIM_400000_NS6detail17trampoline_kernelINS0_13select_configILj256ELj13ELNS0_17block_load_methodE3ELS4_3ELS4_3ELNS0_20block_scan_algorithmE0ELj4294967295EEENS1_25partition_config_selectorILNS1_17partition_subalgoE3EjNS0_10empty_typeEbEEZZNS1_14partition_implILS8_3ELb0ES6_jNS0_17counting_iteratorIjlEEPS9_SE_NS0_5tupleIJPjSE_EEENSF_IJSE_SE_EEES9_SG_JZNS1_25segmented_radix_sort_implINS0_14default_configELb0EPKhPhPKlPlN2at6native12_GLOBAL__N_18offset_tEEE10hipError_tPvRmT1_PNSt15iterator_traitsISY_E10value_typeET2_T3_PNSZ_IS14_E10value_typeET4_jRbjT5_S1A_jjP12ihipStream_tbEUljE_EEESV_SW_SX_S14_S18_S1A_T6_T7_T9_mT8_S1C_bDpT10_ENKUlT_T0_E_clISt17integral_constantIbLb1EES1P_EEDaS1K_S1L_EUlS1K_E_NS1_11comp_targetILNS1_3genE0ELNS1_11target_archE4294967295ELNS1_3gpuE0ELNS1_3repE0EEENS1_30default_config_static_selectorELNS0_4arch9wavefront6targetE0EEEvSY_
; %bb.0:
	.section	.rodata,"a",@progbits
	.p2align	6, 0x0
	.amdhsa_kernel _ZN7rocprim17ROCPRIM_400000_NS6detail17trampoline_kernelINS0_13select_configILj256ELj13ELNS0_17block_load_methodE3ELS4_3ELS4_3ELNS0_20block_scan_algorithmE0ELj4294967295EEENS1_25partition_config_selectorILNS1_17partition_subalgoE3EjNS0_10empty_typeEbEEZZNS1_14partition_implILS8_3ELb0ES6_jNS0_17counting_iteratorIjlEEPS9_SE_NS0_5tupleIJPjSE_EEENSF_IJSE_SE_EEES9_SG_JZNS1_25segmented_radix_sort_implINS0_14default_configELb0EPKhPhPKlPlN2at6native12_GLOBAL__N_18offset_tEEE10hipError_tPvRmT1_PNSt15iterator_traitsISY_E10value_typeET2_T3_PNSZ_IS14_E10value_typeET4_jRbjT5_S1A_jjP12ihipStream_tbEUljE_EEESV_SW_SX_S14_S18_S1A_T6_T7_T9_mT8_S1C_bDpT10_ENKUlT_T0_E_clISt17integral_constantIbLb1EES1P_EEDaS1K_S1L_EUlS1K_E_NS1_11comp_targetILNS1_3genE0ELNS1_11target_archE4294967295ELNS1_3gpuE0ELNS1_3repE0EEENS1_30default_config_static_selectorELNS0_4arch9wavefront6targetE0EEEvSY_
		.amdhsa_group_segment_fixed_size 0
		.amdhsa_private_segment_fixed_size 0
		.amdhsa_kernarg_size 152
		.amdhsa_user_sgpr_count 15
		.amdhsa_user_sgpr_dispatch_ptr 0
		.amdhsa_user_sgpr_queue_ptr 0
		.amdhsa_user_sgpr_kernarg_segment_ptr 1
		.amdhsa_user_sgpr_dispatch_id 0
		.amdhsa_user_sgpr_private_segment_size 0
		.amdhsa_wavefront_size32 1
		.amdhsa_uses_dynamic_stack 0
		.amdhsa_enable_private_segment 0
		.amdhsa_system_sgpr_workgroup_id_x 1
		.amdhsa_system_sgpr_workgroup_id_y 0
		.amdhsa_system_sgpr_workgroup_id_z 0
		.amdhsa_system_sgpr_workgroup_info 0
		.amdhsa_system_vgpr_workitem_id 0
		.amdhsa_next_free_vgpr 1
		.amdhsa_next_free_sgpr 1
		.amdhsa_reserve_vcc 0
		.amdhsa_float_round_mode_32 0
		.amdhsa_float_round_mode_16_64 0
		.amdhsa_float_denorm_mode_32 3
		.amdhsa_float_denorm_mode_16_64 3
		.amdhsa_dx10_clamp 1
		.amdhsa_ieee_mode 1
		.amdhsa_fp16_overflow 0
		.amdhsa_workgroup_processor_mode 1
		.amdhsa_memory_ordered 1
		.amdhsa_forward_progress 0
		.amdhsa_shared_vgpr_count 0
		.amdhsa_exception_fp_ieee_invalid_op 0
		.amdhsa_exception_fp_denorm_src 0
		.amdhsa_exception_fp_ieee_div_zero 0
		.amdhsa_exception_fp_ieee_overflow 0
		.amdhsa_exception_fp_ieee_underflow 0
		.amdhsa_exception_fp_ieee_inexact 0
		.amdhsa_exception_int_div_zero 0
	.end_amdhsa_kernel
	.section	.text._ZN7rocprim17ROCPRIM_400000_NS6detail17trampoline_kernelINS0_13select_configILj256ELj13ELNS0_17block_load_methodE3ELS4_3ELS4_3ELNS0_20block_scan_algorithmE0ELj4294967295EEENS1_25partition_config_selectorILNS1_17partition_subalgoE3EjNS0_10empty_typeEbEEZZNS1_14partition_implILS8_3ELb0ES6_jNS0_17counting_iteratorIjlEEPS9_SE_NS0_5tupleIJPjSE_EEENSF_IJSE_SE_EEES9_SG_JZNS1_25segmented_radix_sort_implINS0_14default_configELb0EPKhPhPKlPlN2at6native12_GLOBAL__N_18offset_tEEE10hipError_tPvRmT1_PNSt15iterator_traitsISY_E10value_typeET2_T3_PNSZ_IS14_E10value_typeET4_jRbjT5_S1A_jjP12ihipStream_tbEUljE_EEESV_SW_SX_S14_S18_S1A_T6_T7_T9_mT8_S1C_bDpT10_ENKUlT_T0_E_clISt17integral_constantIbLb1EES1P_EEDaS1K_S1L_EUlS1K_E_NS1_11comp_targetILNS1_3genE0ELNS1_11target_archE4294967295ELNS1_3gpuE0ELNS1_3repE0EEENS1_30default_config_static_selectorELNS0_4arch9wavefront6targetE0EEEvSY_,"axG",@progbits,_ZN7rocprim17ROCPRIM_400000_NS6detail17trampoline_kernelINS0_13select_configILj256ELj13ELNS0_17block_load_methodE3ELS4_3ELS4_3ELNS0_20block_scan_algorithmE0ELj4294967295EEENS1_25partition_config_selectorILNS1_17partition_subalgoE3EjNS0_10empty_typeEbEEZZNS1_14partition_implILS8_3ELb0ES6_jNS0_17counting_iteratorIjlEEPS9_SE_NS0_5tupleIJPjSE_EEENSF_IJSE_SE_EEES9_SG_JZNS1_25segmented_radix_sort_implINS0_14default_configELb0EPKhPhPKlPlN2at6native12_GLOBAL__N_18offset_tEEE10hipError_tPvRmT1_PNSt15iterator_traitsISY_E10value_typeET2_T3_PNSZ_IS14_E10value_typeET4_jRbjT5_S1A_jjP12ihipStream_tbEUljE_EEESV_SW_SX_S14_S18_S1A_T6_T7_T9_mT8_S1C_bDpT10_ENKUlT_T0_E_clISt17integral_constantIbLb1EES1P_EEDaS1K_S1L_EUlS1K_E_NS1_11comp_targetILNS1_3genE0ELNS1_11target_archE4294967295ELNS1_3gpuE0ELNS1_3repE0EEENS1_30default_config_static_selectorELNS0_4arch9wavefront6targetE0EEEvSY_,comdat
.Lfunc_end162:
	.size	_ZN7rocprim17ROCPRIM_400000_NS6detail17trampoline_kernelINS0_13select_configILj256ELj13ELNS0_17block_load_methodE3ELS4_3ELS4_3ELNS0_20block_scan_algorithmE0ELj4294967295EEENS1_25partition_config_selectorILNS1_17partition_subalgoE3EjNS0_10empty_typeEbEEZZNS1_14partition_implILS8_3ELb0ES6_jNS0_17counting_iteratorIjlEEPS9_SE_NS0_5tupleIJPjSE_EEENSF_IJSE_SE_EEES9_SG_JZNS1_25segmented_radix_sort_implINS0_14default_configELb0EPKhPhPKlPlN2at6native12_GLOBAL__N_18offset_tEEE10hipError_tPvRmT1_PNSt15iterator_traitsISY_E10value_typeET2_T3_PNSZ_IS14_E10value_typeET4_jRbjT5_S1A_jjP12ihipStream_tbEUljE_EEESV_SW_SX_S14_S18_S1A_T6_T7_T9_mT8_S1C_bDpT10_ENKUlT_T0_E_clISt17integral_constantIbLb1EES1P_EEDaS1K_S1L_EUlS1K_E_NS1_11comp_targetILNS1_3genE0ELNS1_11target_archE4294967295ELNS1_3gpuE0ELNS1_3repE0EEENS1_30default_config_static_selectorELNS0_4arch9wavefront6targetE0EEEvSY_, .Lfunc_end162-_ZN7rocprim17ROCPRIM_400000_NS6detail17trampoline_kernelINS0_13select_configILj256ELj13ELNS0_17block_load_methodE3ELS4_3ELS4_3ELNS0_20block_scan_algorithmE0ELj4294967295EEENS1_25partition_config_selectorILNS1_17partition_subalgoE3EjNS0_10empty_typeEbEEZZNS1_14partition_implILS8_3ELb0ES6_jNS0_17counting_iteratorIjlEEPS9_SE_NS0_5tupleIJPjSE_EEENSF_IJSE_SE_EEES9_SG_JZNS1_25segmented_radix_sort_implINS0_14default_configELb0EPKhPhPKlPlN2at6native12_GLOBAL__N_18offset_tEEE10hipError_tPvRmT1_PNSt15iterator_traitsISY_E10value_typeET2_T3_PNSZ_IS14_E10value_typeET4_jRbjT5_S1A_jjP12ihipStream_tbEUljE_EEESV_SW_SX_S14_S18_S1A_T6_T7_T9_mT8_S1C_bDpT10_ENKUlT_T0_E_clISt17integral_constantIbLb1EES1P_EEDaS1K_S1L_EUlS1K_E_NS1_11comp_targetILNS1_3genE0ELNS1_11target_archE4294967295ELNS1_3gpuE0ELNS1_3repE0EEENS1_30default_config_static_selectorELNS0_4arch9wavefront6targetE0EEEvSY_
                                        ; -- End function
	.section	.AMDGPU.csdata,"",@progbits
; Kernel info:
; codeLenInByte = 0
; NumSgprs: 0
; NumVgprs: 0
; ScratchSize: 0
; MemoryBound: 0
; FloatMode: 240
; IeeeMode: 1
; LDSByteSize: 0 bytes/workgroup (compile time only)
; SGPRBlocks: 0
; VGPRBlocks: 0
; NumSGPRsForWavesPerEU: 1
; NumVGPRsForWavesPerEU: 1
; Occupancy: 16
; WaveLimiterHint : 0
; COMPUTE_PGM_RSRC2:SCRATCH_EN: 0
; COMPUTE_PGM_RSRC2:USER_SGPR: 15
; COMPUTE_PGM_RSRC2:TRAP_HANDLER: 0
; COMPUTE_PGM_RSRC2:TGID_X_EN: 1
; COMPUTE_PGM_RSRC2:TGID_Y_EN: 0
; COMPUTE_PGM_RSRC2:TGID_Z_EN: 0
; COMPUTE_PGM_RSRC2:TIDIG_COMP_CNT: 0
	.section	.text._ZN7rocprim17ROCPRIM_400000_NS6detail17trampoline_kernelINS0_13select_configILj256ELj13ELNS0_17block_load_methodE3ELS4_3ELS4_3ELNS0_20block_scan_algorithmE0ELj4294967295EEENS1_25partition_config_selectorILNS1_17partition_subalgoE3EjNS0_10empty_typeEbEEZZNS1_14partition_implILS8_3ELb0ES6_jNS0_17counting_iteratorIjlEEPS9_SE_NS0_5tupleIJPjSE_EEENSF_IJSE_SE_EEES9_SG_JZNS1_25segmented_radix_sort_implINS0_14default_configELb0EPKhPhPKlPlN2at6native12_GLOBAL__N_18offset_tEEE10hipError_tPvRmT1_PNSt15iterator_traitsISY_E10value_typeET2_T3_PNSZ_IS14_E10value_typeET4_jRbjT5_S1A_jjP12ihipStream_tbEUljE_EEESV_SW_SX_S14_S18_S1A_T6_T7_T9_mT8_S1C_bDpT10_ENKUlT_T0_E_clISt17integral_constantIbLb1EES1P_EEDaS1K_S1L_EUlS1K_E_NS1_11comp_targetILNS1_3genE5ELNS1_11target_archE942ELNS1_3gpuE9ELNS1_3repE0EEENS1_30default_config_static_selectorELNS0_4arch9wavefront6targetE0EEEvSY_,"axG",@progbits,_ZN7rocprim17ROCPRIM_400000_NS6detail17trampoline_kernelINS0_13select_configILj256ELj13ELNS0_17block_load_methodE3ELS4_3ELS4_3ELNS0_20block_scan_algorithmE0ELj4294967295EEENS1_25partition_config_selectorILNS1_17partition_subalgoE3EjNS0_10empty_typeEbEEZZNS1_14partition_implILS8_3ELb0ES6_jNS0_17counting_iteratorIjlEEPS9_SE_NS0_5tupleIJPjSE_EEENSF_IJSE_SE_EEES9_SG_JZNS1_25segmented_radix_sort_implINS0_14default_configELb0EPKhPhPKlPlN2at6native12_GLOBAL__N_18offset_tEEE10hipError_tPvRmT1_PNSt15iterator_traitsISY_E10value_typeET2_T3_PNSZ_IS14_E10value_typeET4_jRbjT5_S1A_jjP12ihipStream_tbEUljE_EEESV_SW_SX_S14_S18_S1A_T6_T7_T9_mT8_S1C_bDpT10_ENKUlT_T0_E_clISt17integral_constantIbLb1EES1P_EEDaS1K_S1L_EUlS1K_E_NS1_11comp_targetILNS1_3genE5ELNS1_11target_archE942ELNS1_3gpuE9ELNS1_3repE0EEENS1_30default_config_static_selectorELNS0_4arch9wavefront6targetE0EEEvSY_,comdat
	.globl	_ZN7rocprim17ROCPRIM_400000_NS6detail17trampoline_kernelINS0_13select_configILj256ELj13ELNS0_17block_load_methodE3ELS4_3ELS4_3ELNS0_20block_scan_algorithmE0ELj4294967295EEENS1_25partition_config_selectorILNS1_17partition_subalgoE3EjNS0_10empty_typeEbEEZZNS1_14partition_implILS8_3ELb0ES6_jNS0_17counting_iteratorIjlEEPS9_SE_NS0_5tupleIJPjSE_EEENSF_IJSE_SE_EEES9_SG_JZNS1_25segmented_radix_sort_implINS0_14default_configELb0EPKhPhPKlPlN2at6native12_GLOBAL__N_18offset_tEEE10hipError_tPvRmT1_PNSt15iterator_traitsISY_E10value_typeET2_T3_PNSZ_IS14_E10value_typeET4_jRbjT5_S1A_jjP12ihipStream_tbEUljE_EEESV_SW_SX_S14_S18_S1A_T6_T7_T9_mT8_S1C_bDpT10_ENKUlT_T0_E_clISt17integral_constantIbLb1EES1P_EEDaS1K_S1L_EUlS1K_E_NS1_11comp_targetILNS1_3genE5ELNS1_11target_archE942ELNS1_3gpuE9ELNS1_3repE0EEENS1_30default_config_static_selectorELNS0_4arch9wavefront6targetE0EEEvSY_ ; -- Begin function _ZN7rocprim17ROCPRIM_400000_NS6detail17trampoline_kernelINS0_13select_configILj256ELj13ELNS0_17block_load_methodE3ELS4_3ELS4_3ELNS0_20block_scan_algorithmE0ELj4294967295EEENS1_25partition_config_selectorILNS1_17partition_subalgoE3EjNS0_10empty_typeEbEEZZNS1_14partition_implILS8_3ELb0ES6_jNS0_17counting_iteratorIjlEEPS9_SE_NS0_5tupleIJPjSE_EEENSF_IJSE_SE_EEES9_SG_JZNS1_25segmented_radix_sort_implINS0_14default_configELb0EPKhPhPKlPlN2at6native12_GLOBAL__N_18offset_tEEE10hipError_tPvRmT1_PNSt15iterator_traitsISY_E10value_typeET2_T3_PNSZ_IS14_E10value_typeET4_jRbjT5_S1A_jjP12ihipStream_tbEUljE_EEESV_SW_SX_S14_S18_S1A_T6_T7_T9_mT8_S1C_bDpT10_ENKUlT_T0_E_clISt17integral_constantIbLb1EES1P_EEDaS1K_S1L_EUlS1K_E_NS1_11comp_targetILNS1_3genE5ELNS1_11target_archE942ELNS1_3gpuE9ELNS1_3repE0EEENS1_30default_config_static_selectorELNS0_4arch9wavefront6targetE0EEEvSY_
	.p2align	8
	.type	_ZN7rocprim17ROCPRIM_400000_NS6detail17trampoline_kernelINS0_13select_configILj256ELj13ELNS0_17block_load_methodE3ELS4_3ELS4_3ELNS0_20block_scan_algorithmE0ELj4294967295EEENS1_25partition_config_selectorILNS1_17partition_subalgoE3EjNS0_10empty_typeEbEEZZNS1_14partition_implILS8_3ELb0ES6_jNS0_17counting_iteratorIjlEEPS9_SE_NS0_5tupleIJPjSE_EEENSF_IJSE_SE_EEES9_SG_JZNS1_25segmented_radix_sort_implINS0_14default_configELb0EPKhPhPKlPlN2at6native12_GLOBAL__N_18offset_tEEE10hipError_tPvRmT1_PNSt15iterator_traitsISY_E10value_typeET2_T3_PNSZ_IS14_E10value_typeET4_jRbjT5_S1A_jjP12ihipStream_tbEUljE_EEESV_SW_SX_S14_S18_S1A_T6_T7_T9_mT8_S1C_bDpT10_ENKUlT_T0_E_clISt17integral_constantIbLb1EES1P_EEDaS1K_S1L_EUlS1K_E_NS1_11comp_targetILNS1_3genE5ELNS1_11target_archE942ELNS1_3gpuE9ELNS1_3repE0EEENS1_30default_config_static_selectorELNS0_4arch9wavefront6targetE0EEEvSY_,@function
_ZN7rocprim17ROCPRIM_400000_NS6detail17trampoline_kernelINS0_13select_configILj256ELj13ELNS0_17block_load_methodE3ELS4_3ELS4_3ELNS0_20block_scan_algorithmE0ELj4294967295EEENS1_25partition_config_selectorILNS1_17partition_subalgoE3EjNS0_10empty_typeEbEEZZNS1_14partition_implILS8_3ELb0ES6_jNS0_17counting_iteratorIjlEEPS9_SE_NS0_5tupleIJPjSE_EEENSF_IJSE_SE_EEES9_SG_JZNS1_25segmented_radix_sort_implINS0_14default_configELb0EPKhPhPKlPlN2at6native12_GLOBAL__N_18offset_tEEE10hipError_tPvRmT1_PNSt15iterator_traitsISY_E10value_typeET2_T3_PNSZ_IS14_E10value_typeET4_jRbjT5_S1A_jjP12ihipStream_tbEUljE_EEESV_SW_SX_S14_S18_S1A_T6_T7_T9_mT8_S1C_bDpT10_ENKUlT_T0_E_clISt17integral_constantIbLb1EES1P_EEDaS1K_S1L_EUlS1K_E_NS1_11comp_targetILNS1_3genE5ELNS1_11target_archE942ELNS1_3gpuE9ELNS1_3repE0EEENS1_30default_config_static_selectorELNS0_4arch9wavefront6targetE0EEEvSY_: ; @_ZN7rocprim17ROCPRIM_400000_NS6detail17trampoline_kernelINS0_13select_configILj256ELj13ELNS0_17block_load_methodE3ELS4_3ELS4_3ELNS0_20block_scan_algorithmE0ELj4294967295EEENS1_25partition_config_selectorILNS1_17partition_subalgoE3EjNS0_10empty_typeEbEEZZNS1_14partition_implILS8_3ELb0ES6_jNS0_17counting_iteratorIjlEEPS9_SE_NS0_5tupleIJPjSE_EEENSF_IJSE_SE_EEES9_SG_JZNS1_25segmented_radix_sort_implINS0_14default_configELb0EPKhPhPKlPlN2at6native12_GLOBAL__N_18offset_tEEE10hipError_tPvRmT1_PNSt15iterator_traitsISY_E10value_typeET2_T3_PNSZ_IS14_E10value_typeET4_jRbjT5_S1A_jjP12ihipStream_tbEUljE_EEESV_SW_SX_S14_S18_S1A_T6_T7_T9_mT8_S1C_bDpT10_ENKUlT_T0_E_clISt17integral_constantIbLb1EES1P_EEDaS1K_S1L_EUlS1K_E_NS1_11comp_targetILNS1_3genE5ELNS1_11target_archE942ELNS1_3gpuE9ELNS1_3repE0EEENS1_30default_config_static_selectorELNS0_4arch9wavefront6targetE0EEEvSY_
; %bb.0:
	.section	.rodata,"a",@progbits
	.p2align	6, 0x0
	.amdhsa_kernel _ZN7rocprim17ROCPRIM_400000_NS6detail17trampoline_kernelINS0_13select_configILj256ELj13ELNS0_17block_load_methodE3ELS4_3ELS4_3ELNS0_20block_scan_algorithmE0ELj4294967295EEENS1_25partition_config_selectorILNS1_17partition_subalgoE3EjNS0_10empty_typeEbEEZZNS1_14partition_implILS8_3ELb0ES6_jNS0_17counting_iteratorIjlEEPS9_SE_NS0_5tupleIJPjSE_EEENSF_IJSE_SE_EEES9_SG_JZNS1_25segmented_radix_sort_implINS0_14default_configELb0EPKhPhPKlPlN2at6native12_GLOBAL__N_18offset_tEEE10hipError_tPvRmT1_PNSt15iterator_traitsISY_E10value_typeET2_T3_PNSZ_IS14_E10value_typeET4_jRbjT5_S1A_jjP12ihipStream_tbEUljE_EEESV_SW_SX_S14_S18_S1A_T6_T7_T9_mT8_S1C_bDpT10_ENKUlT_T0_E_clISt17integral_constantIbLb1EES1P_EEDaS1K_S1L_EUlS1K_E_NS1_11comp_targetILNS1_3genE5ELNS1_11target_archE942ELNS1_3gpuE9ELNS1_3repE0EEENS1_30default_config_static_selectorELNS0_4arch9wavefront6targetE0EEEvSY_
		.amdhsa_group_segment_fixed_size 0
		.amdhsa_private_segment_fixed_size 0
		.amdhsa_kernarg_size 152
		.amdhsa_user_sgpr_count 15
		.amdhsa_user_sgpr_dispatch_ptr 0
		.amdhsa_user_sgpr_queue_ptr 0
		.amdhsa_user_sgpr_kernarg_segment_ptr 1
		.amdhsa_user_sgpr_dispatch_id 0
		.amdhsa_user_sgpr_private_segment_size 0
		.amdhsa_wavefront_size32 1
		.amdhsa_uses_dynamic_stack 0
		.amdhsa_enable_private_segment 0
		.amdhsa_system_sgpr_workgroup_id_x 1
		.amdhsa_system_sgpr_workgroup_id_y 0
		.amdhsa_system_sgpr_workgroup_id_z 0
		.amdhsa_system_sgpr_workgroup_info 0
		.amdhsa_system_vgpr_workitem_id 0
		.amdhsa_next_free_vgpr 1
		.amdhsa_next_free_sgpr 1
		.amdhsa_reserve_vcc 0
		.amdhsa_float_round_mode_32 0
		.amdhsa_float_round_mode_16_64 0
		.amdhsa_float_denorm_mode_32 3
		.amdhsa_float_denorm_mode_16_64 3
		.amdhsa_dx10_clamp 1
		.amdhsa_ieee_mode 1
		.amdhsa_fp16_overflow 0
		.amdhsa_workgroup_processor_mode 1
		.amdhsa_memory_ordered 1
		.amdhsa_forward_progress 0
		.amdhsa_shared_vgpr_count 0
		.amdhsa_exception_fp_ieee_invalid_op 0
		.amdhsa_exception_fp_denorm_src 0
		.amdhsa_exception_fp_ieee_div_zero 0
		.amdhsa_exception_fp_ieee_overflow 0
		.amdhsa_exception_fp_ieee_underflow 0
		.amdhsa_exception_fp_ieee_inexact 0
		.amdhsa_exception_int_div_zero 0
	.end_amdhsa_kernel
	.section	.text._ZN7rocprim17ROCPRIM_400000_NS6detail17trampoline_kernelINS0_13select_configILj256ELj13ELNS0_17block_load_methodE3ELS4_3ELS4_3ELNS0_20block_scan_algorithmE0ELj4294967295EEENS1_25partition_config_selectorILNS1_17partition_subalgoE3EjNS0_10empty_typeEbEEZZNS1_14partition_implILS8_3ELb0ES6_jNS0_17counting_iteratorIjlEEPS9_SE_NS0_5tupleIJPjSE_EEENSF_IJSE_SE_EEES9_SG_JZNS1_25segmented_radix_sort_implINS0_14default_configELb0EPKhPhPKlPlN2at6native12_GLOBAL__N_18offset_tEEE10hipError_tPvRmT1_PNSt15iterator_traitsISY_E10value_typeET2_T3_PNSZ_IS14_E10value_typeET4_jRbjT5_S1A_jjP12ihipStream_tbEUljE_EEESV_SW_SX_S14_S18_S1A_T6_T7_T9_mT8_S1C_bDpT10_ENKUlT_T0_E_clISt17integral_constantIbLb1EES1P_EEDaS1K_S1L_EUlS1K_E_NS1_11comp_targetILNS1_3genE5ELNS1_11target_archE942ELNS1_3gpuE9ELNS1_3repE0EEENS1_30default_config_static_selectorELNS0_4arch9wavefront6targetE0EEEvSY_,"axG",@progbits,_ZN7rocprim17ROCPRIM_400000_NS6detail17trampoline_kernelINS0_13select_configILj256ELj13ELNS0_17block_load_methodE3ELS4_3ELS4_3ELNS0_20block_scan_algorithmE0ELj4294967295EEENS1_25partition_config_selectorILNS1_17partition_subalgoE3EjNS0_10empty_typeEbEEZZNS1_14partition_implILS8_3ELb0ES6_jNS0_17counting_iteratorIjlEEPS9_SE_NS0_5tupleIJPjSE_EEENSF_IJSE_SE_EEES9_SG_JZNS1_25segmented_radix_sort_implINS0_14default_configELb0EPKhPhPKlPlN2at6native12_GLOBAL__N_18offset_tEEE10hipError_tPvRmT1_PNSt15iterator_traitsISY_E10value_typeET2_T3_PNSZ_IS14_E10value_typeET4_jRbjT5_S1A_jjP12ihipStream_tbEUljE_EEESV_SW_SX_S14_S18_S1A_T6_T7_T9_mT8_S1C_bDpT10_ENKUlT_T0_E_clISt17integral_constantIbLb1EES1P_EEDaS1K_S1L_EUlS1K_E_NS1_11comp_targetILNS1_3genE5ELNS1_11target_archE942ELNS1_3gpuE9ELNS1_3repE0EEENS1_30default_config_static_selectorELNS0_4arch9wavefront6targetE0EEEvSY_,comdat
.Lfunc_end163:
	.size	_ZN7rocprim17ROCPRIM_400000_NS6detail17trampoline_kernelINS0_13select_configILj256ELj13ELNS0_17block_load_methodE3ELS4_3ELS4_3ELNS0_20block_scan_algorithmE0ELj4294967295EEENS1_25partition_config_selectorILNS1_17partition_subalgoE3EjNS0_10empty_typeEbEEZZNS1_14partition_implILS8_3ELb0ES6_jNS0_17counting_iteratorIjlEEPS9_SE_NS0_5tupleIJPjSE_EEENSF_IJSE_SE_EEES9_SG_JZNS1_25segmented_radix_sort_implINS0_14default_configELb0EPKhPhPKlPlN2at6native12_GLOBAL__N_18offset_tEEE10hipError_tPvRmT1_PNSt15iterator_traitsISY_E10value_typeET2_T3_PNSZ_IS14_E10value_typeET4_jRbjT5_S1A_jjP12ihipStream_tbEUljE_EEESV_SW_SX_S14_S18_S1A_T6_T7_T9_mT8_S1C_bDpT10_ENKUlT_T0_E_clISt17integral_constantIbLb1EES1P_EEDaS1K_S1L_EUlS1K_E_NS1_11comp_targetILNS1_3genE5ELNS1_11target_archE942ELNS1_3gpuE9ELNS1_3repE0EEENS1_30default_config_static_selectorELNS0_4arch9wavefront6targetE0EEEvSY_, .Lfunc_end163-_ZN7rocprim17ROCPRIM_400000_NS6detail17trampoline_kernelINS0_13select_configILj256ELj13ELNS0_17block_load_methodE3ELS4_3ELS4_3ELNS0_20block_scan_algorithmE0ELj4294967295EEENS1_25partition_config_selectorILNS1_17partition_subalgoE3EjNS0_10empty_typeEbEEZZNS1_14partition_implILS8_3ELb0ES6_jNS0_17counting_iteratorIjlEEPS9_SE_NS0_5tupleIJPjSE_EEENSF_IJSE_SE_EEES9_SG_JZNS1_25segmented_radix_sort_implINS0_14default_configELb0EPKhPhPKlPlN2at6native12_GLOBAL__N_18offset_tEEE10hipError_tPvRmT1_PNSt15iterator_traitsISY_E10value_typeET2_T3_PNSZ_IS14_E10value_typeET4_jRbjT5_S1A_jjP12ihipStream_tbEUljE_EEESV_SW_SX_S14_S18_S1A_T6_T7_T9_mT8_S1C_bDpT10_ENKUlT_T0_E_clISt17integral_constantIbLb1EES1P_EEDaS1K_S1L_EUlS1K_E_NS1_11comp_targetILNS1_3genE5ELNS1_11target_archE942ELNS1_3gpuE9ELNS1_3repE0EEENS1_30default_config_static_selectorELNS0_4arch9wavefront6targetE0EEEvSY_
                                        ; -- End function
	.section	.AMDGPU.csdata,"",@progbits
; Kernel info:
; codeLenInByte = 0
; NumSgprs: 0
; NumVgprs: 0
; ScratchSize: 0
; MemoryBound: 0
; FloatMode: 240
; IeeeMode: 1
; LDSByteSize: 0 bytes/workgroup (compile time only)
; SGPRBlocks: 0
; VGPRBlocks: 0
; NumSGPRsForWavesPerEU: 1
; NumVGPRsForWavesPerEU: 1
; Occupancy: 16
; WaveLimiterHint : 0
; COMPUTE_PGM_RSRC2:SCRATCH_EN: 0
; COMPUTE_PGM_RSRC2:USER_SGPR: 15
; COMPUTE_PGM_RSRC2:TRAP_HANDLER: 0
; COMPUTE_PGM_RSRC2:TGID_X_EN: 1
; COMPUTE_PGM_RSRC2:TGID_Y_EN: 0
; COMPUTE_PGM_RSRC2:TGID_Z_EN: 0
; COMPUTE_PGM_RSRC2:TIDIG_COMP_CNT: 0
	.section	.text._ZN7rocprim17ROCPRIM_400000_NS6detail17trampoline_kernelINS0_13select_configILj256ELj13ELNS0_17block_load_methodE3ELS4_3ELS4_3ELNS0_20block_scan_algorithmE0ELj4294967295EEENS1_25partition_config_selectorILNS1_17partition_subalgoE3EjNS0_10empty_typeEbEEZZNS1_14partition_implILS8_3ELb0ES6_jNS0_17counting_iteratorIjlEEPS9_SE_NS0_5tupleIJPjSE_EEENSF_IJSE_SE_EEES9_SG_JZNS1_25segmented_radix_sort_implINS0_14default_configELb0EPKhPhPKlPlN2at6native12_GLOBAL__N_18offset_tEEE10hipError_tPvRmT1_PNSt15iterator_traitsISY_E10value_typeET2_T3_PNSZ_IS14_E10value_typeET4_jRbjT5_S1A_jjP12ihipStream_tbEUljE_EEESV_SW_SX_S14_S18_S1A_T6_T7_T9_mT8_S1C_bDpT10_ENKUlT_T0_E_clISt17integral_constantIbLb1EES1P_EEDaS1K_S1L_EUlS1K_E_NS1_11comp_targetILNS1_3genE4ELNS1_11target_archE910ELNS1_3gpuE8ELNS1_3repE0EEENS1_30default_config_static_selectorELNS0_4arch9wavefront6targetE0EEEvSY_,"axG",@progbits,_ZN7rocprim17ROCPRIM_400000_NS6detail17trampoline_kernelINS0_13select_configILj256ELj13ELNS0_17block_load_methodE3ELS4_3ELS4_3ELNS0_20block_scan_algorithmE0ELj4294967295EEENS1_25partition_config_selectorILNS1_17partition_subalgoE3EjNS0_10empty_typeEbEEZZNS1_14partition_implILS8_3ELb0ES6_jNS0_17counting_iteratorIjlEEPS9_SE_NS0_5tupleIJPjSE_EEENSF_IJSE_SE_EEES9_SG_JZNS1_25segmented_radix_sort_implINS0_14default_configELb0EPKhPhPKlPlN2at6native12_GLOBAL__N_18offset_tEEE10hipError_tPvRmT1_PNSt15iterator_traitsISY_E10value_typeET2_T3_PNSZ_IS14_E10value_typeET4_jRbjT5_S1A_jjP12ihipStream_tbEUljE_EEESV_SW_SX_S14_S18_S1A_T6_T7_T9_mT8_S1C_bDpT10_ENKUlT_T0_E_clISt17integral_constantIbLb1EES1P_EEDaS1K_S1L_EUlS1K_E_NS1_11comp_targetILNS1_3genE4ELNS1_11target_archE910ELNS1_3gpuE8ELNS1_3repE0EEENS1_30default_config_static_selectorELNS0_4arch9wavefront6targetE0EEEvSY_,comdat
	.globl	_ZN7rocprim17ROCPRIM_400000_NS6detail17trampoline_kernelINS0_13select_configILj256ELj13ELNS0_17block_load_methodE3ELS4_3ELS4_3ELNS0_20block_scan_algorithmE0ELj4294967295EEENS1_25partition_config_selectorILNS1_17partition_subalgoE3EjNS0_10empty_typeEbEEZZNS1_14partition_implILS8_3ELb0ES6_jNS0_17counting_iteratorIjlEEPS9_SE_NS0_5tupleIJPjSE_EEENSF_IJSE_SE_EEES9_SG_JZNS1_25segmented_radix_sort_implINS0_14default_configELb0EPKhPhPKlPlN2at6native12_GLOBAL__N_18offset_tEEE10hipError_tPvRmT1_PNSt15iterator_traitsISY_E10value_typeET2_T3_PNSZ_IS14_E10value_typeET4_jRbjT5_S1A_jjP12ihipStream_tbEUljE_EEESV_SW_SX_S14_S18_S1A_T6_T7_T9_mT8_S1C_bDpT10_ENKUlT_T0_E_clISt17integral_constantIbLb1EES1P_EEDaS1K_S1L_EUlS1K_E_NS1_11comp_targetILNS1_3genE4ELNS1_11target_archE910ELNS1_3gpuE8ELNS1_3repE0EEENS1_30default_config_static_selectorELNS0_4arch9wavefront6targetE0EEEvSY_ ; -- Begin function _ZN7rocprim17ROCPRIM_400000_NS6detail17trampoline_kernelINS0_13select_configILj256ELj13ELNS0_17block_load_methodE3ELS4_3ELS4_3ELNS0_20block_scan_algorithmE0ELj4294967295EEENS1_25partition_config_selectorILNS1_17partition_subalgoE3EjNS0_10empty_typeEbEEZZNS1_14partition_implILS8_3ELb0ES6_jNS0_17counting_iteratorIjlEEPS9_SE_NS0_5tupleIJPjSE_EEENSF_IJSE_SE_EEES9_SG_JZNS1_25segmented_radix_sort_implINS0_14default_configELb0EPKhPhPKlPlN2at6native12_GLOBAL__N_18offset_tEEE10hipError_tPvRmT1_PNSt15iterator_traitsISY_E10value_typeET2_T3_PNSZ_IS14_E10value_typeET4_jRbjT5_S1A_jjP12ihipStream_tbEUljE_EEESV_SW_SX_S14_S18_S1A_T6_T7_T9_mT8_S1C_bDpT10_ENKUlT_T0_E_clISt17integral_constantIbLb1EES1P_EEDaS1K_S1L_EUlS1K_E_NS1_11comp_targetILNS1_3genE4ELNS1_11target_archE910ELNS1_3gpuE8ELNS1_3repE0EEENS1_30default_config_static_selectorELNS0_4arch9wavefront6targetE0EEEvSY_
	.p2align	8
	.type	_ZN7rocprim17ROCPRIM_400000_NS6detail17trampoline_kernelINS0_13select_configILj256ELj13ELNS0_17block_load_methodE3ELS4_3ELS4_3ELNS0_20block_scan_algorithmE0ELj4294967295EEENS1_25partition_config_selectorILNS1_17partition_subalgoE3EjNS0_10empty_typeEbEEZZNS1_14partition_implILS8_3ELb0ES6_jNS0_17counting_iteratorIjlEEPS9_SE_NS0_5tupleIJPjSE_EEENSF_IJSE_SE_EEES9_SG_JZNS1_25segmented_radix_sort_implINS0_14default_configELb0EPKhPhPKlPlN2at6native12_GLOBAL__N_18offset_tEEE10hipError_tPvRmT1_PNSt15iterator_traitsISY_E10value_typeET2_T3_PNSZ_IS14_E10value_typeET4_jRbjT5_S1A_jjP12ihipStream_tbEUljE_EEESV_SW_SX_S14_S18_S1A_T6_T7_T9_mT8_S1C_bDpT10_ENKUlT_T0_E_clISt17integral_constantIbLb1EES1P_EEDaS1K_S1L_EUlS1K_E_NS1_11comp_targetILNS1_3genE4ELNS1_11target_archE910ELNS1_3gpuE8ELNS1_3repE0EEENS1_30default_config_static_selectorELNS0_4arch9wavefront6targetE0EEEvSY_,@function
_ZN7rocprim17ROCPRIM_400000_NS6detail17trampoline_kernelINS0_13select_configILj256ELj13ELNS0_17block_load_methodE3ELS4_3ELS4_3ELNS0_20block_scan_algorithmE0ELj4294967295EEENS1_25partition_config_selectorILNS1_17partition_subalgoE3EjNS0_10empty_typeEbEEZZNS1_14partition_implILS8_3ELb0ES6_jNS0_17counting_iteratorIjlEEPS9_SE_NS0_5tupleIJPjSE_EEENSF_IJSE_SE_EEES9_SG_JZNS1_25segmented_radix_sort_implINS0_14default_configELb0EPKhPhPKlPlN2at6native12_GLOBAL__N_18offset_tEEE10hipError_tPvRmT1_PNSt15iterator_traitsISY_E10value_typeET2_T3_PNSZ_IS14_E10value_typeET4_jRbjT5_S1A_jjP12ihipStream_tbEUljE_EEESV_SW_SX_S14_S18_S1A_T6_T7_T9_mT8_S1C_bDpT10_ENKUlT_T0_E_clISt17integral_constantIbLb1EES1P_EEDaS1K_S1L_EUlS1K_E_NS1_11comp_targetILNS1_3genE4ELNS1_11target_archE910ELNS1_3gpuE8ELNS1_3repE0EEENS1_30default_config_static_selectorELNS0_4arch9wavefront6targetE0EEEvSY_: ; @_ZN7rocprim17ROCPRIM_400000_NS6detail17trampoline_kernelINS0_13select_configILj256ELj13ELNS0_17block_load_methodE3ELS4_3ELS4_3ELNS0_20block_scan_algorithmE0ELj4294967295EEENS1_25partition_config_selectorILNS1_17partition_subalgoE3EjNS0_10empty_typeEbEEZZNS1_14partition_implILS8_3ELb0ES6_jNS0_17counting_iteratorIjlEEPS9_SE_NS0_5tupleIJPjSE_EEENSF_IJSE_SE_EEES9_SG_JZNS1_25segmented_radix_sort_implINS0_14default_configELb0EPKhPhPKlPlN2at6native12_GLOBAL__N_18offset_tEEE10hipError_tPvRmT1_PNSt15iterator_traitsISY_E10value_typeET2_T3_PNSZ_IS14_E10value_typeET4_jRbjT5_S1A_jjP12ihipStream_tbEUljE_EEESV_SW_SX_S14_S18_S1A_T6_T7_T9_mT8_S1C_bDpT10_ENKUlT_T0_E_clISt17integral_constantIbLb1EES1P_EEDaS1K_S1L_EUlS1K_E_NS1_11comp_targetILNS1_3genE4ELNS1_11target_archE910ELNS1_3gpuE8ELNS1_3repE0EEENS1_30default_config_static_selectorELNS0_4arch9wavefront6targetE0EEEvSY_
; %bb.0:
	.section	.rodata,"a",@progbits
	.p2align	6, 0x0
	.amdhsa_kernel _ZN7rocprim17ROCPRIM_400000_NS6detail17trampoline_kernelINS0_13select_configILj256ELj13ELNS0_17block_load_methodE3ELS4_3ELS4_3ELNS0_20block_scan_algorithmE0ELj4294967295EEENS1_25partition_config_selectorILNS1_17partition_subalgoE3EjNS0_10empty_typeEbEEZZNS1_14partition_implILS8_3ELb0ES6_jNS0_17counting_iteratorIjlEEPS9_SE_NS0_5tupleIJPjSE_EEENSF_IJSE_SE_EEES9_SG_JZNS1_25segmented_radix_sort_implINS0_14default_configELb0EPKhPhPKlPlN2at6native12_GLOBAL__N_18offset_tEEE10hipError_tPvRmT1_PNSt15iterator_traitsISY_E10value_typeET2_T3_PNSZ_IS14_E10value_typeET4_jRbjT5_S1A_jjP12ihipStream_tbEUljE_EEESV_SW_SX_S14_S18_S1A_T6_T7_T9_mT8_S1C_bDpT10_ENKUlT_T0_E_clISt17integral_constantIbLb1EES1P_EEDaS1K_S1L_EUlS1K_E_NS1_11comp_targetILNS1_3genE4ELNS1_11target_archE910ELNS1_3gpuE8ELNS1_3repE0EEENS1_30default_config_static_selectorELNS0_4arch9wavefront6targetE0EEEvSY_
		.amdhsa_group_segment_fixed_size 0
		.amdhsa_private_segment_fixed_size 0
		.amdhsa_kernarg_size 152
		.amdhsa_user_sgpr_count 15
		.amdhsa_user_sgpr_dispatch_ptr 0
		.amdhsa_user_sgpr_queue_ptr 0
		.amdhsa_user_sgpr_kernarg_segment_ptr 1
		.amdhsa_user_sgpr_dispatch_id 0
		.amdhsa_user_sgpr_private_segment_size 0
		.amdhsa_wavefront_size32 1
		.amdhsa_uses_dynamic_stack 0
		.amdhsa_enable_private_segment 0
		.amdhsa_system_sgpr_workgroup_id_x 1
		.amdhsa_system_sgpr_workgroup_id_y 0
		.amdhsa_system_sgpr_workgroup_id_z 0
		.amdhsa_system_sgpr_workgroup_info 0
		.amdhsa_system_vgpr_workitem_id 0
		.amdhsa_next_free_vgpr 1
		.amdhsa_next_free_sgpr 1
		.amdhsa_reserve_vcc 0
		.amdhsa_float_round_mode_32 0
		.amdhsa_float_round_mode_16_64 0
		.amdhsa_float_denorm_mode_32 3
		.amdhsa_float_denorm_mode_16_64 3
		.amdhsa_dx10_clamp 1
		.amdhsa_ieee_mode 1
		.amdhsa_fp16_overflow 0
		.amdhsa_workgroup_processor_mode 1
		.amdhsa_memory_ordered 1
		.amdhsa_forward_progress 0
		.amdhsa_shared_vgpr_count 0
		.amdhsa_exception_fp_ieee_invalid_op 0
		.amdhsa_exception_fp_denorm_src 0
		.amdhsa_exception_fp_ieee_div_zero 0
		.amdhsa_exception_fp_ieee_overflow 0
		.amdhsa_exception_fp_ieee_underflow 0
		.amdhsa_exception_fp_ieee_inexact 0
		.amdhsa_exception_int_div_zero 0
	.end_amdhsa_kernel
	.section	.text._ZN7rocprim17ROCPRIM_400000_NS6detail17trampoline_kernelINS0_13select_configILj256ELj13ELNS0_17block_load_methodE3ELS4_3ELS4_3ELNS0_20block_scan_algorithmE0ELj4294967295EEENS1_25partition_config_selectorILNS1_17partition_subalgoE3EjNS0_10empty_typeEbEEZZNS1_14partition_implILS8_3ELb0ES6_jNS0_17counting_iteratorIjlEEPS9_SE_NS0_5tupleIJPjSE_EEENSF_IJSE_SE_EEES9_SG_JZNS1_25segmented_radix_sort_implINS0_14default_configELb0EPKhPhPKlPlN2at6native12_GLOBAL__N_18offset_tEEE10hipError_tPvRmT1_PNSt15iterator_traitsISY_E10value_typeET2_T3_PNSZ_IS14_E10value_typeET4_jRbjT5_S1A_jjP12ihipStream_tbEUljE_EEESV_SW_SX_S14_S18_S1A_T6_T7_T9_mT8_S1C_bDpT10_ENKUlT_T0_E_clISt17integral_constantIbLb1EES1P_EEDaS1K_S1L_EUlS1K_E_NS1_11comp_targetILNS1_3genE4ELNS1_11target_archE910ELNS1_3gpuE8ELNS1_3repE0EEENS1_30default_config_static_selectorELNS0_4arch9wavefront6targetE0EEEvSY_,"axG",@progbits,_ZN7rocprim17ROCPRIM_400000_NS6detail17trampoline_kernelINS0_13select_configILj256ELj13ELNS0_17block_load_methodE3ELS4_3ELS4_3ELNS0_20block_scan_algorithmE0ELj4294967295EEENS1_25partition_config_selectorILNS1_17partition_subalgoE3EjNS0_10empty_typeEbEEZZNS1_14partition_implILS8_3ELb0ES6_jNS0_17counting_iteratorIjlEEPS9_SE_NS0_5tupleIJPjSE_EEENSF_IJSE_SE_EEES9_SG_JZNS1_25segmented_radix_sort_implINS0_14default_configELb0EPKhPhPKlPlN2at6native12_GLOBAL__N_18offset_tEEE10hipError_tPvRmT1_PNSt15iterator_traitsISY_E10value_typeET2_T3_PNSZ_IS14_E10value_typeET4_jRbjT5_S1A_jjP12ihipStream_tbEUljE_EEESV_SW_SX_S14_S18_S1A_T6_T7_T9_mT8_S1C_bDpT10_ENKUlT_T0_E_clISt17integral_constantIbLb1EES1P_EEDaS1K_S1L_EUlS1K_E_NS1_11comp_targetILNS1_3genE4ELNS1_11target_archE910ELNS1_3gpuE8ELNS1_3repE0EEENS1_30default_config_static_selectorELNS0_4arch9wavefront6targetE0EEEvSY_,comdat
.Lfunc_end164:
	.size	_ZN7rocprim17ROCPRIM_400000_NS6detail17trampoline_kernelINS0_13select_configILj256ELj13ELNS0_17block_load_methodE3ELS4_3ELS4_3ELNS0_20block_scan_algorithmE0ELj4294967295EEENS1_25partition_config_selectorILNS1_17partition_subalgoE3EjNS0_10empty_typeEbEEZZNS1_14partition_implILS8_3ELb0ES6_jNS0_17counting_iteratorIjlEEPS9_SE_NS0_5tupleIJPjSE_EEENSF_IJSE_SE_EEES9_SG_JZNS1_25segmented_radix_sort_implINS0_14default_configELb0EPKhPhPKlPlN2at6native12_GLOBAL__N_18offset_tEEE10hipError_tPvRmT1_PNSt15iterator_traitsISY_E10value_typeET2_T3_PNSZ_IS14_E10value_typeET4_jRbjT5_S1A_jjP12ihipStream_tbEUljE_EEESV_SW_SX_S14_S18_S1A_T6_T7_T9_mT8_S1C_bDpT10_ENKUlT_T0_E_clISt17integral_constantIbLb1EES1P_EEDaS1K_S1L_EUlS1K_E_NS1_11comp_targetILNS1_3genE4ELNS1_11target_archE910ELNS1_3gpuE8ELNS1_3repE0EEENS1_30default_config_static_selectorELNS0_4arch9wavefront6targetE0EEEvSY_, .Lfunc_end164-_ZN7rocprim17ROCPRIM_400000_NS6detail17trampoline_kernelINS0_13select_configILj256ELj13ELNS0_17block_load_methodE3ELS4_3ELS4_3ELNS0_20block_scan_algorithmE0ELj4294967295EEENS1_25partition_config_selectorILNS1_17partition_subalgoE3EjNS0_10empty_typeEbEEZZNS1_14partition_implILS8_3ELb0ES6_jNS0_17counting_iteratorIjlEEPS9_SE_NS0_5tupleIJPjSE_EEENSF_IJSE_SE_EEES9_SG_JZNS1_25segmented_radix_sort_implINS0_14default_configELb0EPKhPhPKlPlN2at6native12_GLOBAL__N_18offset_tEEE10hipError_tPvRmT1_PNSt15iterator_traitsISY_E10value_typeET2_T3_PNSZ_IS14_E10value_typeET4_jRbjT5_S1A_jjP12ihipStream_tbEUljE_EEESV_SW_SX_S14_S18_S1A_T6_T7_T9_mT8_S1C_bDpT10_ENKUlT_T0_E_clISt17integral_constantIbLb1EES1P_EEDaS1K_S1L_EUlS1K_E_NS1_11comp_targetILNS1_3genE4ELNS1_11target_archE910ELNS1_3gpuE8ELNS1_3repE0EEENS1_30default_config_static_selectorELNS0_4arch9wavefront6targetE0EEEvSY_
                                        ; -- End function
	.section	.AMDGPU.csdata,"",@progbits
; Kernel info:
; codeLenInByte = 0
; NumSgprs: 0
; NumVgprs: 0
; ScratchSize: 0
; MemoryBound: 0
; FloatMode: 240
; IeeeMode: 1
; LDSByteSize: 0 bytes/workgroup (compile time only)
; SGPRBlocks: 0
; VGPRBlocks: 0
; NumSGPRsForWavesPerEU: 1
; NumVGPRsForWavesPerEU: 1
; Occupancy: 16
; WaveLimiterHint : 0
; COMPUTE_PGM_RSRC2:SCRATCH_EN: 0
; COMPUTE_PGM_RSRC2:USER_SGPR: 15
; COMPUTE_PGM_RSRC2:TRAP_HANDLER: 0
; COMPUTE_PGM_RSRC2:TGID_X_EN: 1
; COMPUTE_PGM_RSRC2:TGID_Y_EN: 0
; COMPUTE_PGM_RSRC2:TGID_Z_EN: 0
; COMPUTE_PGM_RSRC2:TIDIG_COMP_CNT: 0
	.section	.text._ZN7rocprim17ROCPRIM_400000_NS6detail17trampoline_kernelINS0_13select_configILj256ELj13ELNS0_17block_load_methodE3ELS4_3ELS4_3ELNS0_20block_scan_algorithmE0ELj4294967295EEENS1_25partition_config_selectorILNS1_17partition_subalgoE3EjNS0_10empty_typeEbEEZZNS1_14partition_implILS8_3ELb0ES6_jNS0_17counting_iteratorIjlEEPS9_SE_NS0_5tupleIJPjSE_EEENSF_IJSE_SE_EEES9_SG_JZNS1_25segmented_radix_sort_implINS0_14default_configELb0EPKhPhPKlPlN2at6native12_GLOBAL__N_18offset_tEEE10hipError_tPvRmT1_PNSt15iterator_traitsISY_E10value_typeET2_T3_PNSZ_IS14_E10value_typeET4_jRbjT5_S1A_jjP12ihipStream_tbEUljE_EEESV_SW_SX_S14_S18_S1A_T6_T7_T9_mT8_S1C_bDpT10_ENKUlT_T0_E_clISt17integral_constantIbLb1EES1P_EEDaS1K_S1L_EUlS1K_E_NS1_11comp_targetILNS1_3genE3ELNS1_11target_archE908ELNS1_3gpuE7ELNS1_3repE0EEENS1_30default_config_static_selectorELNS0_4arch9wavefront6targetE0EEEvSY_,"axG",@progbits,_ZN7rocprim17ROCPRIM_400000_NS6detail17trampoline_kernelINS0_13select_configILj256ELj13ELNS0_17block_load_methodE3ELS4_3ELS4_3ELNS0_20block_scan_algorithmE0ELj4294967295EEENS1_25partition_config_selectorILNS1_17partition_subalgoE3EjNS0_10empty_typeEbEEZZNS1_14partition_implILS8_3ELb0ES6_jNS0_17counting_iteratorIjlEEPS9_SE_NS0_5tupleIJPjSE_EEENSF_IJSE_SE_EEES9_SG_JZNS1_25segmented_radix_sort_implINS0_14default_configELb0EPKhPhPKlPlN2at6native12_GLOBAL__N_18offset_tEEE10hipError_tPvRmT1_PNSt15iterator_traitsISY_E10value_typeET2_T3_PNSZ_IS14_E10value_typeET4_jRbjT5_S1A_jjP12ihipStream_tbEUljE_EEESV_SW_SX_S14_S18_S1A_T6_T7_T9_mT8_S1C_bDpT10_ENKUlT_T0_E_clISt17integral_constantIbLb1EES1P_EEDaS1K_S1L_EUlS1K_E_NS1_11comp_targetILNS1_3genE3ELNS1_11target_archE908ELNS1_3gpuE7ELNS1_3repE0EEENS1_30default_config_static_selectorELNS0_4arch9wavefront6targetE0EEEvSY_,comdat
	.globl	_ZN7rocprim17ROCPRIM_400000_NS6detail17trampoline_kernelINS0_13select_configILj256ELj13ELNS0_17block_load_methodE3ELS4_3ELS4_3ELNS0_20block_scan_algorithmE0ELj4294967295EEENS1_25partition_config_selectorILNS1_17partition_subalgoE3EjNS0_10empty_typeEbEEZZNS1_14partition_implILS8_3ELb0ES6_jNS0_17counting_iteratorIjlEEPS9_SE_NS0_5tupleIJPjSE_EEENSF_IJSE_SE_EEES9_SG_JZNS1_25segmented_radix_sort_implINS0_14default_configELb0EPKhPhPKlPlN2at6native12_GLOBAL__N_18offset_tEEE10hipError_tPvRmT1_PNSt15iterator_traitsISY_E10value_typeET2_T3_PNSZ_IS14_E10value_typeET4_jRbjT5_S1A_jjP12ihipStream_tbEUljE_EEESV_SW_SX_S14_S18_S1A_T6_T7_T9_mT8_S1C_bDpT10_ENKUlT_T0_E_clISt17integral_constantIbLb1EES1P_EEDaS1K_S1L_EUlS1K_E_NS1_11comp_targetILNS1_3genE3ELNS1_11target_archE908ELNS1_3gpuE7ELNS1_3repE0EEENS1_30default_config_static_selectorELNS0_4arch9wavefront6targetE0EEEvSY_ ; -- Begin function _ZN7rocprim17ROCPRIM_400000_NS6detail17trampoline_kernelINS0_13select_configILj256ELj13ELNS0_17block_load_methodE3ELS4_3ELS4_3ELNS0_20block_scan_algorithmE0ELj4294967295EEENS1_25partition_config_selectorILNS1_17partition_subalgoE3EjNS0_10empty_typeEbEEZZNS1_14partition_implILS8_3ELb0ES6_jNS0_17counting_iteratorIjlEEPS9_SE_NS0_5tupleIJPjSE_EEENSF_IJSE_SE_EEES9_SG_JZNS1_25segmented_radix_sort_implINS0_14default_configELb0EPKhPhPKlPlN2at6native12_GLOBAL__N_18offset_tEEE10hipError_tPvRmT1_PNSt15iterator_traitsISY_E10value_typeET2_T3_PNSZ_IS14_E10value_typeET4_jRbjT5_S1A_jjP12ihipStream_tbEUljE_EEESV_SW_SX_S14_S18_S1A_T6_T7_T9_mT8_S1C_bDpT10_ENKUlT_T0_E_clISt17integral_constantIbLb1EES1P_EEDaS1K_S1L_EUlS1K_E_NS1_11comp_targetILNS1_3genE3ELNS1_11target_archE908ELNS1_3gpuE7ELNS1_3repE0EEENS1_30default_config_static_selectorELNS0_4arch9wavefront6targetE0EEEvSY_
	.p2align	8
	.type	_ZN7rocprim17ROCPRIM_400000_NS6detail17trampoline_kernelINS0_13select_configILj256ELj13ELNS0_17block_load_methodE3ELS4_3ELS4_3ELNS0_20block_scan_algorithmE0ELj4294967295EEENS1_25partition_config_selectorILNS1_17partition_subalgoE3EjNS0_10empty_typeEbEEZZNS1_14partition_implILS8_3ELb0ES6_jNS0_17counting_iteratorIjlEEPS9_SE_NS0_5tupleIJPjSE_EEENSF_IJSE_SE_EEES9_SG_JZNS1_25segmented_radix_sort_implINS0_14default_configELb0EPKhPhPKlPlN2at6native12_GLOBAL__N_18offset_tEEE10hipError_tPvRmT1_PNSt15iterator_traitsISY_E10value_typeET2_T3_PNSZ_IS14_E10value_typeET4_jRbjT5_S1A_jjP12ihipStream_tbEUljE_EEESV_SW_SX_S14_S18_S1A_T6_T7_T9_mT8_S1C_bDpT10_ENKUlT_T0_E_clISt17integral_constantIbLb1EES1P_EEDaS1K_S1L_EUlS1K_E_NS1_11comp_targetILNS1_3genE3ELNS1_11target_archE908ELNS1_3gpuE7ELNS1_3repE0EEENS1_30default_config_static_selectorELNS0_4arch9wavefront6targetE0EEEvSY_,@function
_ZN7rocprim17ROCPRIM_400000_NS6detail17trampoline_kernelINS0_13select_configILj256ELj13ELNS0_17block_load_methodE3ELS4_3ELS4_3ELNS0_20block_scan_algorithmE0ELj4294967295EEENS1_25partition_config_selectorILNS1_17partition_subalgoE3EjNS0_10empty_typeEbEEZZNS1_14partition_implILS8_3ELb0ES6_jNS0_17counting_iteratorIjlEEPS9_SE_NS0_5tupleIJPjSE_EEENSF_IJSE_SE_EEES9_SG_JZNS1_25segmented_radix_sort_implINS0_14default_configELb0EPKhPhPKlPlN2at6native12_GLOBAL__N_18offset_tEEE10hipError_tPvRmT1_PNSt15iterator_traitsISY_E10value_typeET2_T3_PNSZ_IS14_E10value_typeET4_jRbjT5_S1A_jjP12ihipStream_tbEUljE_EEESV_SW_SX_S14_S18_S1A_T6_T7_T9_mT8_S1C_bDpT10_ENKUlT_T0_E_clISt17integral_constantIbLb1EES1P_EEDaS1K_S1L_EUlS1K_E_NS1_11comp_targetILNS1_3genE3ELNS1_11target_archE908ELNS1_3gpuE7ELNS1_3repE0EEENS1_30default_config_static_selectorELNS0_4arch9wavefront6targetE0EEEvSY_: ; @_ZN7rocprim17ROCPRIM_400000_NS6detail17trampoline_kernelINS0_13select_configILj256ELj13ELNS0_17block_load_methodE3ELS4_3ELS4_3ELNS0_20block_scan_algorithmE0ELj4294967295EEENS1_25partition_config_selectorILNS1_17partition_subalgoE3EjNS0_10empty_typeEbEEZZNS1_14partition_implILS8_3ELb0ES6_jNS0_17counting_iteratorIjlEEPS9_SE_NS0_5tupleIJPjSE_EEENSF_IJSE_SE_EEES9_SG_JZNS1_25segmented_radix_sort_implINS0_14default_configELb0EPKhPhPKlPlN2at6native12_GLOBAL__N_18offset_tEEE10hipError_tPvRmT1_PNSt15iterator_traitsISY_E10value_typeET2_T3_PNSZ_IS14_E10value_typeET4_jRbjT5_S1A_jjP12ihipStream_tbEUljE_EEESV_SW_SX_S14_S18_S1A_T6_T7_T9_mT8_S1C_bDpT10_ENKUlT_T0_E_clISt17integral_constantIbLb1EES1P_EEDaS1K_S1L_EUlS1K_E_NS1_11comp_targetILNS1_3genE3ELNS1_11target_archE908ELNS1_3gpuE7ELNS1_3repE0EEENS1_30default_config_static_selectorELNS0_4arch9wavefront6targetE0EEEvSY_
; %bb.0:
	.section	.rodata,"a",@progbits
	.p2align	6, 0x0
	.amdhsa_kernel _ZN7rocprim17ROCPRIM_400000_NS6detail17trampoline_kernelINS0_13select_configILj256ELj13ELNS0_17block_load_methodE3ELS4_3ELS4_3ELNS0_20block_scan_algorithmE0ELj4294967295EEENS1_25partition_config_selectorILNS1_17partition_subalgoE3EjNS0_10empty_typeEbEEZZNS1_14partition_implILS8_3ELb0ES6_jNS0_17counting_iteratorIjlEEPS9_SE_NS0_5tupleIJPjSE_EEENSF_IJSE_SE_EEES9_SG_JZNS1_25segmented_radix_sort_implINS0_14default_configELb0EPKhPhPKlPlN2at6native12_GLOBAL__N_18offset_tEEE10hipError_tPvRmT1_PNSt15iterator_traitsISY_E10value_typeET2_T3_PNSZ_IS14_E10value_typeET4_jRbjT5_S1A_jjP12ihipStream_tbEUljE_EEESV_SW_SX_S14_S18_S1A_T6_T7_T9_mT8_S1C_bDpT10_ENKUlT_T0_E_clISt17integral_constantIbLb1EES1P_EEDaS1K_S1L_EUlS1K_E_NS1_11comp_targetILNS1_3genE3ELNS1_11target_archE908ELNS1_3gpuE7ELNS1_3repE0EEENS1_30default_config_static_selectorELNS0_4arch9wavefront6targetE0EEEvSY_
		.amdhsa_group_segment_fixed_size 0
		.amdhsa_private_segment_fixed_size 0
		.amdhsa_kernarg_size 152
		.amdhsa_user_sgpr_count 15
		.amdhsa_user_sgpr_dispatch_ptr 0
		.amdhsa_user_sgpr_queue_ptr 0
		.amdhsa_user_sgpr_kernarg_segment_ptr 1
		.amdhsa_user_sgpr_dispatch_id 0
		.amdhsa_user_sgpr_private_segment_size 0
		.amdhsa_wavefront_size32 1
		.amdhsa_uses_dynamic_stack 0
		.amdhsa_enable_private_segment 0
		.amdhsa_system_sgpr_workgroup_id_x 1
		.amdhsa_system_sgpr_workgroup_id_y 0
		.amdhsa_system_sgpr_workgroup_id_z 0
		.amdhsa_system_sgpr_workgroup_info 0
		.amdhsa_system_vgpr_workitem_id 0
		.amdhsa_next_free_vgpr 1
		.amdhsa_next_free_sgpr 1
		.amdhsa_reserve_vcc 0
		.amdhsa_float_round_mode_32 0
		.amdhsa_float_round_mode_16_64 0
		.amdhsa_float_denorm_mode_32 3
		.amdhsa_float_denorm_mode_16_64 3
		.amdhsa_dx10_clamp 1
		.amdhsa_ieee_mode 1
		.amdhsa_fp16_overflow 0
		.amdhsa_workgroup_processor_mode 1
		.amdhsa_memory_ordered 1
		.amdhsa_forward_progress 0
		.amdhsa_shared_vgpr_count 0
		.amdhsa_exception_fp_ieee_invalid_op 0
		.amdhsa_exception_fp_denorm_src 0
		.amdhsa_exception_fp_ieee_div_zero 0
		.amdhsa_exception_fp_ieee_overflow 0
		.amdhsa_exception_fp_ieee_underflow 0
		.amdhsa_exception_fp_ieee_inexact 0
		.amdhsa_exception_int_div_zero 0
	.end_amdhsa_kernel
	.section	.text._ZN7rocprim17ROCPRIM_400000_NS6detail17trampoline_kernelINS0_13select_configILj256ELj13ELNS0_17block_load_methodE3ELS4_3ELS4_3ELNS0_20block_scan_algorithmE0ELj4294967295EEENS1_25partition_config_selectorILNS1_17partition_subalgoE3EjNS0_10empty_typeEbEEZZNS1_14partition_implILS8_3ELb0ES6_jNS0_17counting_iteratorIjlEEPS9_SE_NS0_5tupleIJPjSE_EEENSF_IJSE_SE_EEES9_SG_JZNS1_25segmented_radix_sort_implINS0_14default_configELb0EPKhPhPKlPlN2at6native12_GLOBAL__N_18offset_tEEE10hipError_tPvRmT1_PNSt15iterator_traitsISY_E10value_typeET2_T3_PNSZ_IS14_E10value_typeET4_jRbjT5_S1A_jjP12ihipStream_tbEUljE_EEESV_SW_SX_S14_S18_S1A_T6_T7_T9_mT8_S1C_bDpT10_ENKUlT_T0_E_clISt17integral_constantIbLb1EES1P_EEDaS1K_S1L_EUlS1K_E_NS1_11comp_targetILNS1_3genE3ELNS1_11target_archE908ELNS1_3gpuE7ELNS1_3repE0EEENS1_30default_config_static_selectorELNS0_4arch9wavefront6targetE0EEEvSY_,"axG",@progbits,_ZN7rocprim17ROCPRIM_400000_NS6detail17trampoline_kernelINS0_13select_configILj256ELj13ELNS0_17block_load_methodE3ELS4_3ELS4_3ELNS0_20block_scan_algorithmE0ELj4294967295EEENS1_25partition_config_selectorILNS1_17partition_subalgoE3EjNS0_10empty_typeEbEEZZNS1_14partition_implILS8_3ELb0ES6_jNS0_17counting_iteratorIjlEEPS9_SE_NS0_5tupleIJPjSE_EEENSF_IJSE_SE_EEES9_SG_JZNS1_25segmented_radix_sort_implINS0_14default_configELb0EPKhPhPKlPlN2at6native12_GLOBAL__N_18offset_tEEE10hipError_tPvRmT1_PNSt15iterator_traitsISY_E10value_typeET2_T3_PNSZ_IS14_E10value_typeET4_jRbjT5_S1A_jjP12ihipStream_tbEUljE_EEESV_SW_SX_S14_S18_S1A_T6_T7_T9_mT8_S1C_bDpT10_ENKUlT_T0_E_clISt17integral_constantIbLb1EES1P_EEDaS1K_S1L_EUlS1K_E_NS1_11comp_targetILNS1_3genE3ELNS1_11target_archE908ELNS1_3gpuE7ELNS1_3repE0EEENS1_30default_config_static_selectorELNS0_4arch9wavefront6targetE0EEEvSY_,comdat
.Lfunc_end165:
	.size	_ZN7rocprim17ROCPRIM_400000_NS6detail17trampoline_kernelINS0_13select_configILj256ELj13ELNS0_17block_load_methodE3ELS4_3ELS4_3ELNS0_20block_scan_algorithmE0ELj4294967295EEENS1_25partition_config_selectorILNS1_17partition_subalgoE3EjNS0_10empty_typeEbEEZZNS1_14partition_implILS8_3ELb0ES6_jNS0_17counting_iteratorIjlEEPS9_SE_NS0_5tupleIJPjSE_EEENSF_IJSE_SE_EEES9_SG_JZNS1_25segmented_radix_sort_implINS0_14default_configELb0EPKhPhPKlPlN2at6native12_GLOBAL__N_18offset_tEEE10hipError_tPvRmT1_PNSt15iterator_traitsISY_E10value_typeET2_T3_PNSZ_IS14_E10value_typeET4_jRbjT5_S1A_jjP12ihipStream_tbEUljE_EEESV_SW_SX_S14_S18_S1A_T6_T7_T9_mT8_S1C_bDpT10_ENKUlT_T0_E_clISt17integral_constantIbLb1EES1P_EEDaS1K_S1L_EUlS1K_E_NS1_11comp_targetILNS1_3genE3ELNS1_11target_archE908ELNS1_3gpuE7ELNS1_3repE0EEENS1_30default_config_static_selectorELNS0_4arch9wavefront6targetE0EEEvSY_, .Lfunc_end165-_ZN7rocprim17ROCPRIM_400000_NS6detail17trampoline_kernelINS0_13select_configILj256ELj13ELNS0_17block_load_methodE3ELS4_3ELS4_3ELNS0_20block_scan_algorithmE0ELj4294967295EEENS1_25partition_config_selectorILNS1_17partition_subalgoE3EjNS0_10empty_typeEbEEZZNS1_14partition_implILS8_3ELb0ES6_jNS0_17counting_iteratorIjlEEPS9_SE_NS0_5tupleIJPjSE_EEENSF_IJSE_SE_EEES9_SG_JZNS1_25segmented_radix_sort_implINS0_14default_configELb0EPKhPhPKlPlN2at6native12_GLOBAL__N_18offset_tEEE10hipError_tPvRmT1_PNSt15iterator_traitsISY_E10value_typeET2_T3_PNSZ_IS14_E10value_typeET4_jRbjT5_S1A_jjP12ihipStream_tbEUljE_EEESV_SW_SX_S14_S18_S1A_T6_T7_T9_mT8_S1C_bDpT10_ENKUlT_T0_E_clISt17integral_constantIbLb1EES1P_EEDaS1K_S1L_EUlS1K_E_NS1_11comp_targetILNS1_3genE3ELNS1_11target_archE908ELNS1_3gpuE7ELNS1_3repE0EEENS1_30default_config_static_selectorELNS0_4arch9wavefront6targetE0EEEvSY_
                                        ; -- End function
	.section	.AMDGPU.csdata,"",@progbits
; Kernel info:
; codeLenInByte = 0
; NumSgprs: 0
; NumVgprs: 0
; ScratchSize: 0
; MemoryBound: 0
; FloatMode: 240
; IeeeMode: 1
; LDSByteSize: 0 bytes/workgroup (compile time only)
; SGPRBlocks: 0
; VGPRBlocks: 0
; NumSGPRsForWavesPerEU: 1
; NumVGPRsForWavesPerEU: 1
; Occupancy: 16
; WaveLimiterHint : 0
; COMPUTE_PGM_RSRC2:SCRATCH_EN: 0
; COMPUTE_PGM_RSRC2:USER_SGPR: 15
; COMPUTE_PGM_RSRC2:TRAP_HANDLER: 0
; COMPUTE_PGM_RSRC2:TGID_X_EN: 1
; COMPUTE_PGM_RSRC2:TGID_Y_EN: 0
; COMPUTE_PGM_RSRC2:TGID_Z_EN: 0
; COMPUTE_PGM_RSRC2:TIDIG_COMP_CNT: 0
	.section	.text._ZN7rocprim17ROCPRIM_400000_NS6detail17trampoline_kernelINS0_13select_configILj256ELj13ELNS0_17block_load_methodE3ELS4_3ELS4_3ELNS0_20block_scan_algorithmE0ELj4294967295EEENS1_25partition_config_selectorILNS1_17partition_subalgoE3EjNS0_10empty_typeEbEEZZNS1_14partition_implILS8_3ELb0ES6_jNS0_17counting_iteratorIjlEEPS9_SE_NS0_5tupleIJPjSE_EEENSF_IJSE_SE_EEES9_SG_JZNS1_25segmented_radix_sort_implINS0_14default_configELb0EPKhPhPKlPlN2at6native12_GLOBAL__N_18offset_tEEE10hipError_tPvRmT1_PNSt15iterator_traitsISY_E10value_typeET2_T3_PNSZ_IS14_E10value_typeET4_jRbjT5_S1A_jjP12ihipStream_tbEUljE_EEESV_SW_SX_S14_S18_S1A_T6_T7_T9_mT8_S1C_bDpT10_ENKUlT_T0_E_clISt17integral_constantIbLb1EES1P_EEDaS1K_S1L_EUlS1K_E_NS1_11comp_targetILNS1_3genE2ELNS1_11target_archE906ELNS1_3gpuE6ELNS1_3repE0EEENS1_30default_config_static_selectorELNS0_4arch9wavefront6targetE0EEEvSY_,"axG",@progbits,_ZN7rocprim17ROCPRIM_400000_NS6detail17trampoline_kernelINS0_13select_configILj256ELj13ELNS0_17block_load_methodE3ELS4_3ELS4_3ELNS0_20block_scan_algorithmE0ELj4294967295EEENS1_25partition_config_selectorILNS1_17partition_subalgoE3EjNS0_10empty_typeEbEEZZNS1_14partition_implILS8_3ELb0ES6_jNS0_17counting_iteratorIjlEEPS9_SE_NS0_5tupleIJPjSE_EEENSF_IJSE_SE_EEES9_SG_JZNS1_25segmented_radix_sort_implINS0_14default_configELb0EPKhPhPKlPlN2at6native12_GLOBAL__N_18offset_tEEE10hipError_tPvRmT1_PNSt15iterator_traitsISY_E10value_typeET2_T3_PNSZ_IS14_E10value_typeET4_jRbjT5_S1A_jjP12ihipStream_tbEUljE_EEESV_SW_SX_S14_S18_S1A_T6_T7_T9_mT8_S1C_bDpT10_ENKUlT_T0_E_clISt17integral_constantIbLb1EES1P_EEDaS1K_S1L_EUlS1K_E_NS1_11comp_targetILNS1_3genE2ELNS1_11target_archE906ELNS1_3gpuE6ELNS1_3repE0EEENS1_30default_config_static_selectorELNS0_4arch9wavefront6targetE0EEEvSY_,comdat
	.globl	_ZN7rocprim17ROCPRIM_400000_NS6detail17trampoline_kernelINS0_13select_configILj256ELj13ELNS0_17block_load_methodE3ELS4_3ELS4_3ELNS0_20block_scan_algorithmE0ELj4294967295EEENS1_25partition_config_selectorILNS1_17partition_subalgoE3EjNS0_10empty_typeEbEEZZNS1_14partition_implILS8_3ELb0ES6_jNS0_17counting_iteratorIjlEEPS9_SE_NS0_5tupleIJPjSE_EEENSF_IJSE_SE_EEES9_SG_JZNS1_25segmented_radix_sort_implINS0_14default_configELb0EPKhPhPKlPlN2at6native12_GLOBAL__N_18offset_tEEE10hipError_tPvRmT1_PNSt15iterator_traitsISY_E10value_typeET2_T3_PNSZ_IS14_E10value_typeET4_jRbjT5_S1A_jjP12ihipStream_tbEUljE_EEESV_SW_SX_S14_S18_S1A_T6_T7_T9_mT8_S1C_bDpT10_ENKUlT_T0_E_clISt17integral_constantIbLb1EES1P_EEDaS1K_S1L_EUlS1K_E_NS1_11comp_targetILNS1_3genE2ELNS1_11target_archE906ELNS1_3gpuE6ELNS1_3repE0EEENS1_30default_config_static_selectorELNS0_4arch9wavefront6targetE0EEEvSY_ ; -- Begin function _ZN7rocprim17ROCPRIM_400000_NS6detail17trampoline_kernelINS0_13select_configILj256ELj13ELNS0_17block_load_methodE3ELS4_3ELS4_3ELNS0_20block_scan_algorithmE0ELj4294967295EEENS1_25partition_config_selectorILNS1_17partition_subalgoE3EjNS0_10empty_typeEbEEZZNS1_14partition_implILS8_3ELb0ES6_jNS0_17counting_iteratorIjlEEPS9_SE_NS0_5tupleIJPjSE_EEENSF_IJSE_SE_EEES9_SG_JZNS1_25segmented_radix_sort_implINS0_14default_configELb0EPKhPhPKlPlN2at6native12_GLOBAL__N_18offset_tEEE10hipError_tPvRmT1_PNSt15iterator_traitsISY_E10value_typeET2_T3_PNSZ_IS14_E10value_typeET4_jRbjT5_S1A_jjP12ihipStream_tbEUljE_EEESV_SW_SX_S14_S18_S1A_T6_T7_T9_mT8_S1C_bDpT10_ENKUlT_T0_E_clISt17integral_constantIbLb1EES1P_EEDaS1K_S1L_EUlS1K_E_NS1_11comp_targetILNS1_3genE2ELNS1_11target_archE906ELNS1_3gpuE6ELNS1_3repE0EEENS1_30default_config_static_selectorELNS0_4arch9wavefront6targetE0EEEvSY_
	.p2align	8
	.type	_ZN7rocprim17ROCPRIM_400000_NS6detail17trampoline_kernelINS0_13select_configILj256ELj13ELNS0_17block_load_methodE3ELS4_3ELS4_3ELNS0_20block_scan_algorithmE0ELj4294967295EEENS1_25partition_config_selectorILNS1_17partition_subalgoE3EjNS0_10empty_typeEbEEZZNS1_14partition_implILS8_3ELb0ES6_jNS0_17counting_iteratorIjlEEPS9_SE_NS0_5tupleIJPjSE_EEENSF_IJSE_SE_EEES9_SG_JZNS1_25segmented_radix_sort_implINS0_14default_configELb0EPKhPhPKlPlN2at6native12_GLOBAL__N_18offset_tEEE10hipError_tPvRmT1_PNSt15iterator_traitsISY_E10value_typeET2_T3_PNSZ_IS14_E10value_typeET4_jRbjT5_S1A_jjP12ihipStream_tbEUljE_EEESV_SW_SX_S14_S18_S1A_T6_T7_T9_mT8_S1C_bDpT10_ENKUlT_T0_E_clISt17integral_constantIbLb1EES1P_EEDaS1K_S1L_EUlS1K_E_NS1_11comp_targetILNS1_3genE2ELNS1_11target_archE906ELNS1_3gpuE6ELNS1_3repE0EEENS1_30default_config_static_selectorELNS0_4arch9wavefront6targetE0EEEvSY_,@function
_ZN7rocprim17ROCPRIM_400000_NS6detail17trampoline_kernelINS0_13select_configILj256ELj13ELNS0_17block_load_methodE3ELS4_3ELS4_3ELNS0_20block_scan_algorithmE0ELj4294967295EEENS1_25partition_config_selectorILNS1_17partition_subalgoE3EjNS0_10empty_typeEbEEZZNS1_14partition_implILS8_3ELb0ES6_jNS0_17counting_iteratorIjlEEPS9_SE_NS0_5tupleIJPjSE_EEENSF_IJSE_SE_EEES9_SG_JZNS1_25segmented_radix_sort_implINS0_14default_configELb0EPKhPhPKlPlN2at6native12_GLOBAL__N_18offset_tEEE10hipError_tPvRmT1_PNSt15iterator_traitsISY_E10value_typeET2_T3_PNSZ_IS14_E10value_typeET4_jRbjT5_S1A_jjP12ihipStream_tbEUljE_EEESV_SW_SX_S14_S18_S1A_T6_T7_T9_mT8_S1C_bDpT10_ENKUlT_T0_E_clISt17integral_constantIbLb1EES1P_EEDaS1K_S1L_EUlS1K_E_NS1_11comp_targetILNS1_3genE2ELNS1_11target_archE906ELNS1_3gpuE6ELNS1_3repE0EEENS1_30default_config_static_selectorELNS0_4arch9wavefront6targetE0EEEvSY_: ; @_ZN7rocprim17ROCPRIM_400000_NS6detail17trampoline_kernelINS0_13select_configILj256ELj13ELNS0_17block_load_methodE3ELS4_3ELS4_3ELNS0_20block_scan_algorithmE0ELj4294967295EEENS1_25partition_config_selectorILNS1_17partition_subalgoE3EjNS0_10empty_typeEbEEZZNS1_14partition_implILS8_3ELb0ES6_jNS0_17counting_iteratorIjlEEPS9_SE_NS0_5tupleIJPjSE_EEENSF_IJSE_SE_EEES9_SG_JZNS1_25segmented_radix_sort_implINS0_14default_configELb0EPKhPhPKlPlN2at6native12_GLOBAL__N_18offset_tEEE10hipError_tPvRmT1_PNSt15iterator_traitsISY_E10value_typeET2_T3_PNSZ_IS14_E10value_typeET4_jRbjT5_S1A_jjP12ihipStream_tbEUljE_EEESV_SW_SX_S14_S18_S1A_T6_T7_T9_mT8_S1C_bDpT10_ENKUlT_T0_E_clISt17integral_constantIbLb1EES1P_EEDaS1K_S1L_EUlS1K_E_NS1_11comp_targetILNS1_3genE2ELNS1_11target_archE906ELNS1_3gpuE6ELNS1_3repE0EEENS1_30default_config_static_selectorELNS0_4arch9wavefront6targetE0EEEvSY_
; %bb.0:
	.section	.rodata,"a",@progbits
	.p2align	6, 0x0
	.amdhsa_kernel _ZN7rocprim17ROCPRIM_400000_NS6detail17trampoline_kernelINS0_13select_configILj256ELj13ELNS0_17block_load_methodE3ELS4_3ELS4_3ELNS0_20block_scan_algorithmE0ELj4294967295EEENS1_25partition_config_selectorILNS1_17partition_subalgoE3EjNS0_10empty_typeEbEEZZNS1_14partition_implILS8_3ELb0ES6_jNS0_17counting_iteratorIjlEEPS9_SE_NS0_5tupleIJPjSE_EEENSF_IJSE_SE_EEES9_SG_JZNS1_25segmented_radix_sort_implINS0_14default_configELb0EPKhPhPKlPlN2at6native12_GLOBAL__N_18offset_tEEE10hipError_tPvRmT1_PNSt15iterator_traitsISY_E10value_typeET2_T3_PNSZ_IS14_E10value_typeET4_jRbjT5_S1A_jjP12ihipStream_tbEUljE_EEESV_SW_SX_S14_S18_S1A_T6_T7_T9_mT8_S1C_bDpT10_ENKUlT_T0_E_clISt17integral_constantIbLb1EES1P_EEDaS1K_S1L_EUlS1K_E_NS1_11comp_targetILNS1_3genE2ELNS1_11target_archE906ELNS1_3gpuE6ELNS1_3repE0EEENS1_30default_config_static_selectorELNS0_4arch9wavefront6targetE0EEEvSY_
		.amdhsa_group_segment_fixed_size 0
		.amdhsa_private_segment_fixed_size 0
		.amdhsa_kernarg_size 152
		.amdhsa_user_sgpr_count 15
		.amdhsa_user_sgpr_dispatch_ptr 0
		.amdhsa_user_sgpr_queue_ptr 0
		.amdhsa_user_sgpr_kernarg_segment_ptr 1
		.amdhsa_user_sgpr_dispatch_id 0
		.amdhsa_user_sgpr_private_segment_size 0
		.amdhsa_wavefront_size32 1
		.amdhsa_uses_dynamic_stack 0
		.amdhsa_enable_private_segment 0
		.amdhsa_system_sgpr_workgroup_id_x 1
		.amdhsa_system_sgpr_workgroup_id_y 0
		.amdhsa_system_sgpr_workgroup_id_z 0
		.amdhsa_system_sgpr_workgroup_info 0
		.amdhsa_system_vgpr_workitem_id 0
		.amdhsa_next_free_vgpr 1
		.amdhsa_next_free_sgpr 1
		.amdhsa_reserve_vcc 0
		.amdhsa_float_round_mode_32 0
		.amdhsa_float_round_mode_16_64 0
		.amdhsa_float_denorm_mode_32 3
		.amdhsa_float_denorm_mode_16_64 3
		.amdhsa_dx10_clamp 1
		.amdhsa_ieee_mode 1
		.amdhsa_fp16_overflow 0
		.amdhsa_workgroup_processor_mode 1
		.amdhsa_memory_ordered 1
		.amdhsa_forward_progress 0
		.amdhsa_shared_vgpr_count 0
		.amdhsa_exception_fp_ieee_invalid_op 0
		.amdhsa_exception_fp_denorm_src 0
		.amdhsa_exception_fp_ieee_div_zero 0
		.amdhsa_exception_fp_ieee_overflow 0
		.amdhsa_exception_fp_ieee_underflow 0
		.amdhsa_exception_fp_ieee_inexact 0
		.amdhsa_exception_int_div_zero 0
	.end_amdhsa_kernel
	.section	.text._ZN7rocprim17ROCPRIM_400000_NS6detail17trampoline_kernelINS0_13select_configILj256ELj13ELNS0_17block_load_methodE3ELS4_3ELS4_3ELNS0_20block_scan_algorithmE0ELj4294967295EEENS1_25partition_config_selectorILNS1_17partition_subalgoE3EjNS0_10empty_typeEbEEZZNS1_14partition_implILS8_3ELb0ES6_jNS0_17counting_iteratorIjlEEPS9_SE_NS0_5tupleIJPjSE_EEENSF_IJSE_SE_EEES9_SG_JZNS1_25segmented_radix_sort_implINS0_14default_configELb0EPKhPhPKlPlN2at6native12_GLOBAL__N_18offset_tEEE10hipError_tPvRmT1_PNSt15iterator_traitsISY_E10value_typeET2_T3_PNSZ_IS14_E10value_typeET4_jRbjT5_S1A_jjP12ihipStream_tbEUljE_EEESV_SW_SX_S14_S18_S1A_T6_T7_T9_mT8_S1C_bDpT10_ENKUlT_T0_E_clISt17integral_constantIbLb1EES1P_EEDaS1K_S1L_EUlS1K_E_NS1_11comp_targetILNS1_3genE2ELNS1_11target_archE906ELNS1_3gpuE6ELNS1_3repE0EEENS1_30default_config_static_selectorELNS0_4arch9wavefront6targetE0EEEvSY_,"axG",@progbits,_ZN7rocprim17ROCPRIM_400000_NS6detail17trampoline_kernelINS0_13select_configILj256ELj13ELNS0_17block_load_methodE3ELS4_3ELS4_3ELNS0_20block_scan_algorithmE0ELj4294967295EEENS1_25partition_config_selectorILNS1_17partition_subalgoE3EjNS0_10empty_typeEbEEZZNS1_14partition_implILS8_3ELb0ES6_jNS0_17counting_iteratorIjlEEPS9_SE_NS0_5tupleIJPjSE_EEENSF_IJSE_SE_EEES9_SG_JZNS1_25segmented_radix_sort_implINS0_14default_configELb0EPKhPhPKlPlN2at6native12_GLOBAL__N_18offset_tEEE10hipError_tPvRmT1_PNSt15iterator_traitsISY_E10value_typeET2_T3_PNSZ_IS14_E10value_typeET4_jRbjT5_S1A_jjP12ihipStream_tbEUljE_EEESV_SW_SX_S14_S18_S1A_T6_T7_T9_mT8_S1C_bDpT10_ENKUlT_T0_E_clISt17integral_constantIbLb1EES1P_EEDaS1K_S1L_EUlS1K_E_NS1_11comp_targetILNS1_3genE2ELNS1_11target_archE906ELNS1_3gpuE6ELNS1_3repE0EEENS1_30default_config_static_selectorELNS0_4arch9wavefront6targetE0EEEvSY_,comdat
.Lfunc_end166:
	.size	_ZN7rocprim17ROCPRIM_400000_NS6detail17trampoline_kernelINS0_13select_configILj256ELj13ELNS0_17block_load_methodE3ELS4_3ELS4_3ELNS0_20block_scan_algorithmE0ELj4294967295EEENS1_25partition_config_selectorILNS1_17partition_subalgoE3EjNS0_10empty_typeEbEEZZNS1_14partition_implILS8_3ELb0ES6_jNS0_17counting_iteratorIjlEEPS9_SE_NS0_5tupleIJPjSE_EEENSF_IJSE_SE_EEES9_SG_JZNS1_25segmented_radix_sort_implINS0_14default_configELb0EPKhPhPKlPlN2at6native12_GLOBAL__N_18offset_tEEE10hipError_tPvRmT1_PNSt15iterator_traitsISY_E10value_typeET2_T3_PNSZ_IS14_E10value_typeET4_jRbjT5_S1A_jjP12ihipStream_tbEUljE_EEESV_SW_SX_S14_S18_S1A_T6_T7_T9_mT8_S1C_bDpT10_ENKUlT_T0_E_clISt17integral_constantIbLb1EES1P_EEDaS1K_S1L_EUlS1K_E_NS1_11comp_targetILNS1_3genE2ELNS1_11target_archE906ELNS1_3gpuE6ELNS1_3repE0EEENS1_30default_config_static_selectorELNS0_4arch9wavefront6targetE0EEEvSY_, .Lfunc_end166-_ZN7rocprim17ROCPRIM_400000_NS6detail17trampoline_kernelINS0_13select_configILj256ELj13ELNS0_17block_load_methodE3ELS4_3ELS4_3ELNS0_20block_scan_algorithmE0ELj4294967295EEENS1_25partition_config_selectorILNS1_17partition_subalgoE3EjNS0_10empty_typeEbEEZZNS1_14partition_implILS8_3ELb0ES6_jNS0_17counting_iteratorIjlEEPS9_SE_NS0_5tupleIJPjSE_EEENSF_IJSE_SE_EEES9_SG_JZNS1_25segmented_radix_sort_implINS0_14default_configELb0EPKhPhPKlPlN2at6native12_GLOBAL__N_18offset_tEEE10hipError_tPvRmT1_PNSt15iterator_traitsISY_E10value_typeET2_T3_PNSZ_IS14_E10value_typeET4_jRbjT5_S1A_jjP12ihipStream_tbEUljE_EEESV_SW_SX_S14_S18_S1A_T6_T7_T9_mT8_S1C_bDpT10_ENKUlT_T0_E_clISt17integral_constantIbLb1EES1P_EEDaS1K_S1L_EUlS1K_E_NS1_11comp_targetILNS1_3genE2ELNS1_11target_archE906ELNS1_3gpuE6ELNS1_3repE0EEENS1_30default_config_static_selectorELNS0_4arch9wavefront6targetE0EEEvSY_
                                        ; -- End function
	.section	.AMDGPU.csdata,"",@progbits
; Kernel info:
; codeLenInByte = 0
; NumSgprs: 0
; NumVgprs: 0
; ScratchSize: 0
; MemoryBound: 0
; FloatMode: 240
; IeeeMode: 1
; LDSByteSize: 0 bytes/workgroup (compile time only)
; SGPRBlocks: 0
; VGPRBlocks: 0
; NumSGPRsForWavesPerEU: 1
; NumVGPRsForWavesPerEU: 1
; Occupancy: 16
; WaveLimiterHint : 0
; COMPUTE_PGM_RSRC2:SCRATCH_EN: 0
; COMPUTE_PGM_RSRC2:USER_SGPR: 15
; COMPUTE_PGM_RSRC2:TRAP_HANDLER: 0
; COMPUTE_PGM_RSRC2:TGID_X_EN: 1
; COMPUTE_PGM_RSRC2:TGID_Y_EN: 0
; COMPUTE_PGM_RSRC2:TGID_Z_EN: 0
; COMPUTE_PGM_RSRC2:TIDIG_COMP_CNT: 0
	.section	.text._ZN7rocprim17ROCPRIM_400000_NS6detail17trampoline_kernelINS0_13select_configILj256ELj13ELNS0_17block_load_methodE3ELS4_3ELS4_3ELNS0_20block_scan_algorithmE0ELj4294967295EEENS1_25partition_config_selectorILNS1_17partition_subalgoE3EjNS0_10empty_typeEbEEZZNS1_14partition_implILS8_3ELb0ES6_jNS0_17counting_iteratorIjlEEPS9_SE_NS0_5tupleIJPjSE_EEENSF_IJSE_SE_EEES9_SG_JZNS1_25segmented_radix_sort_implINS0_14default_configELb0EPKhPhPKlPlN2at6native12_GLOBAL__N_18offset_tEEE10hipError_tPvRmT1_PNSt15iterator_traitsISY_E10value_typeET2_T3_PNSZ_IS14_E10value_typeET4_jRbjT5_S1A_jjP12ihipStream_tbEUljE_EEESV_SW_SX_S14_S18_S1A_T6_T7_T9_mT8_S1C_bDpT10_ENKUlT_T0_E_clISt17integral_constantIbLb1EES1P_EEDaS1K_S1L_EUlS1K_E_NS1_11comp_targetILNS1_3genE10ELNS1_11target_archE1200ELNS1_3gpuE4ELNS1_3repE0EEENS1_30default_config_static_selectorELNS0_4arch9wavefront6targetE0EEEvSY_,"axG",@progbits,_ZN7rocprim17ROCPRIM_400000_NS6detail17trampoline_kernelINS0_13select_configILj256ELj13ELNS0_17block_load_methodE3ELS4_3ELS4_3ELNS0_20block_scan_algorithmE0ELj4294967295EEENS1_25partition_config_selectorILNS1_17partition_subalgoE3EjNS0_10empty_typeEbEEZZNS1_14partition_implILS8_3ELb0ES6_jNS0_17counting_iteratorIjlEEPS9_SE_NS0_5tupleIJPjSE_EEENSF_IJSE_SE_EEES9_SG_JZNS1_25segmented_radix_sort_implINS0_14default_configELb0EPKhPhPKlPlN2at6native12_GLOBAL__N_18offset_tEEE10hipError_tPvRmT1_PNSt15iterator_traitsISY_E10value_typeET2_T3_PNSZ_IS14_E10value_typeET4_jRbjT5_S1A_jjP12ihipStream_tbEUljE_EEESV_SW_SX_S14_S18_S1A_T6_T7_T9_mT8_S1C_bDpT10_ENKUlT_T0_E_clISt17integral_constantIbLb1EES1P_EEDaS1K_S1L_EUlS1K_E_NS1_11comp_targetILNS1_3genE10ELNS1_11target_archE1200ELNS1_3gpuE4ELNS1_3repE0EEENS1_30default_config_static_selectorELNS0_4arch9wavefront6targetE0EEEvSY_,comdat
	.globl	_ZN7rocprim17ROCPRIM_400000_NS6detail17trampoline_kernelINS0_13select_configILj256ELj13ELNS0_17block_load_methodE3ELS4_3ELS4_3ELNS0_20block_scan_algorithmE0ELj4294967295EEENS1_25partition_config_selectorILNS1_17partition_subalgoE3EjNS0_10empty_typeEbEEZZNS1_14partition_implILS8_3ELb0ES6_jNS0_17counting_iteratorIjlEEPS9_SE_NS0_5tupleIJPjSE_EEENSF_IJSE_SE_EEES9_SG_JZNS1_25segmented_radix_sort_implINS0_14default_configELb0EPKhPhPKlPlN2at6native12_GLOBAL__N_18offset_tEEE10hipError_tPvRmT1_PNSt15iterator_traitsISY_E10value_typeET2_T3_PNSZ_IS14_E10value_typeET4_jRbjT5_S1A_jjP12ihipStream_tbEUljE_EEESV_SW_SX_S14_S18_S1A_T6_T7_T9_mT8_S1C_bDpT10_ENKUlT_T0_E_clISt17integral_constantIbLb1EES1P_EEDaS1K_S1L_EUlS1K_E_NS1_11comp_targetILNS1_3genE10ELNS1_11target_archE1200ELNS1_3gpuE4ELNS1_3repE0EEENS1_30default_config_static_selectorELNS0_4arch9wavefront6targetE0EEEvSY_ ; -- Begin function _ZN7rocprim17ROCPRIM_400000_NS6detail17trampoline_kernelINS0_13select_configILj256ELj13ELNS0_17block_load_methodE3ELS4_3ELS4_3ELNS0_20block_scan_algorithmE0ELj4294967295EEENS1_25partition_config_selectorILNS1_17partition_subalgoE3EjNS0_10empty_typeEbEEZZNS1_14partition_implILS8_3ELb0ES6_jNS0_17counting_iteratorIjlEEPS9_SE_NS0_5tupleIJPjSE_EEENSF_IJSE_SE_EEES9_SG_JZNS1_25segmented_radix_sort_implINS0_14default_configELb0EPKhPhPKlPlN2at6native12_GLOBAL__N_18offset_tEEE10hipError_tPvRmT1_PNSt15iterator_traitsISY_E10value_typeET2_T3_PNSZ_IS14_E10value_typeET4_jRbjT5_S1A_jjP12ihipStream_tbEUljE_EEESV_SW_SX_S14_S18_S1A_T6_T7_T9_mT8_S1C_bDpT10_ENKUlT_T0_E_clISt17integral_constantIbLb1EES1P_EEDaS1K_S1L_EUlS1K_E_NS1_11comp_targetILNS1_3genE10ELNS1_11target_archE1200ELNS1_3gpuE4ELNS1_3repE0EEENS1_30default_config_static_selectorELNS0_4arch9wavefront6targetE0EEEvSY_
	.p2align	8
	.type	_ZN7rocprim17ROCPRIM_400000_NS6detail17trampoline_kernelINS0_13select_configILj256ELj13ELNS0_17block_load_methodE3ELS4_3ELS4_3ELNS0_20block_scan_algorithmE0ELj4294967295EEENS1_25partition_config_selectorILNS1_17partition_subalgoE3EjNS0_10empty_typeEbEEZZNS1_14partition_implILS8_3ELb0ES6_jNS0_17counting_iteratorIjlEEPS9_SE_NS0_5tupleIJPjSE_EEENSF_IJSE_SE_EEES9_SG_JZNS1_25segmented_radix_sort_implINS0_14default_configELb0EPKhPhPKlPlN2at6native12_GLOBAL__N_18offset_tEEE10hipError_tPvRmT1_PNSt15iterator_traitsISY_E10value_typeET2_T3_PNSZ_IS14_E10value_typeET4_jRbjT5_S1A_jjP12ihipStream_tbEUljE_EEESV_SW_SX_S14_S18_S1A_T6_T7_T9_mT8_S1C_bDpT10_ENKUlT_T0_E_clISt17integral_constantIbLb1EES1P_EEDaS1K_S1L_EUlS1K_E_NS1_11comp_targetILNS1_3genE10ELNS1_11target_archE1200ELNS1_3gpuE4ELNS1_3repE0EEENS1_30default_config_static_selectorELNS0_4arch9wavefront6targetE0EEEvSY_,@function
_ZN7rocprim17ROCPRIM_400000_NS6detail17trampoline_kernelINS0_13select_configILj256ELj13ELNS0_17block_load_methodE3ELS4_3ELS4_3ELNS0_20block_scan_algorithmE0ELj4294967295EEENS1_25partition_config_selectorILNS1_17partition_subalgoE3EjNS0_10empty_typeEbEEZZNS1_14partition_implILS8_3ELb0ES6_jNS0_17counting_iteratorIjlEEPS9_SE_NS0_5tupleIJPjSE_EEENSF_IJSE_SE_EEES9_SG_JZNS1_25segmented_radix_sort_implINS0_14default_configELb0EPKhPhPKlPlN2at6native12_GLOBAL__N_18offset_tEEE10hipError_tPvRmT1_PNSt15iterator_traitsISY_E10value_typeET2_T3_PNSZ_IS14_E10value_typeET4_jRbjT5_S1A_jjP12ihipStream_tbEUljE_EEESV_SW_SX_S14_S18_S1A_T6_T7_T9_mT8_S1C_bDpT10_ENKUlT_T0_E_clISt17integral_constantIbLb1EES1P_EEDaS1K_S1L_EUlS1K_E_NS1_11comp_targetILNS1_3genE10ELNS1_11target_archE1200ELNS1_3gpuE4ELNS1_3repE0EEENS1_30default_config_static_selectorELNS0_4arch9wavefront6targetE0EEEvSY_: ; @_ZN7rocprim17ROCPRIM_400000_NS6detail17trampoline_kernelINS0_13select_configILj256ELj13ELNS0_17block_load_methodE3ELS4_3ELS4_3ELNS0_20block_scan_algorithmE0ELj4294967295EEENS1_25partition_config_selectorILNS1_17partition_subalgoE3EjNS0_10empty_typeEbEEZZNS1_14partition_implILS8_3ELb0ES6_jNS0_17counting_iteratorIjlEEPS9_SE_NS0_5tupleIJPjSE_EEENSF_IJSE_SE_EEES9_SG_JZNS1_25segmented_radix_sort_implINS0_14default_configELb0EPKhPhPKlPlN2at6native12_GLOBAL__N_18offset_tEEE10hipError_tPvRmT1_PNSt15iterator_traitsISY_E10value_typeET2_T3_PNSZ_IS14_E10value_typeET4_jRbjT5_S1A_jjP12ihipStream_tbEUljE_EEESV_SW_SX_S14_S18_S1A_T6_T7_T9_mT8_S1C_bDpT10_ENKUlT_T0_E_clISt17integral_constantIbLb1EES1P_EEDaS1K_S1L_EUlS1K_E_NS1_11comp_targetILNS1_3genE10ELNS1_11target_archE1200ELNS1_3gpuE4ELNS1_3repE0EEENS1_30default_config_static_selectorELNS0_4arch9wavefront6targetE0EEEvSY_
; %bb.0:
	.section	.rodata,"a",@progbits
	.p2align	6, 0x0
	.amdhsa_kernel _ZN7rocprim17ROCPRIM_400000_NS6detail17trampoline_kernelINS0_13select_configILj256ELj13ELNS0_17block_load_methodE3ELS4_3ELS4_3ELNS0_20block_scan_algorithmE0ELj4294967295EEENS1_25partition_config_selectorILNS1_17partition_subalgoE3EjNS0_10empty_typeEbEEZZNS1_14partition_implILS8_3ELb0ES6_jNS0_17counting_iteratorIjlEEPS9_SE_NS0_5tupleIJPjSE_EEENSF_IJSE_SE_EEES9_SG_JZNS1_25segmented_radix_sort_implINS0_14default_configELb0EPKhPhPKlPlN2at6native12_GLOBAL__N_18offset_tEEE10hipError_tPvRmT1_PNSt15iterator_traitsISY_E10value_typeET2_T3_PNSZ_IS14_E10value_typeET4_jRbjT5_S1A_jjP12ihipStream_tbEUljE_EEESV_SW_SX_S14_S18_S1A_T6_T7_T9_mT8_S1C_bDpT10_ENKUlT_T0_E_clISt17integral_constantIbLb1EES1P_EEDaS1K_S1L_EUlS1K_E_NS1_11comp_targetILNS1_3genE10ELNS1_11target_archE1200ELNS1_3gpuE4ELNS1_3repE0EEENS1_30default_config_static_selectorELNS0_4arch9wavefront6targetE0EEEvSY_
		.amdhsa_group_segment_fixed_size 0
		.amdhsa_private_segment_fixed_size 0
		.amdhsa_kernarg_size 152
		.amdhsa_user_sgpr_count 15
		.amdhsa_user_sgpr_dispatch_ptr 0
		.amdhsa_user_sgpr_queue_ptr 0
		.amdhsa_user_sgpr_kernarg_segment_ptr 1
		.amdhsa_user_sgpr_dispatch_id 0
		.amdhsa_user_sgpr_private_segment_size 0
		.amdhsa_wavefront_size32 1
		.amdhsa_uses_dynamic_stack 0
		.amdhsa_enable_private_segment 0
		.amdhsa_system_sgpr_workgroup_id_x 1
		.amdhsa_system_sgpr_workgroup_id_y 0
		.amdhsa_system_sgpr_workgroup_id_z 0
		.amdhsa_system_sgpr_workgroup_info 0
		.amdhsa_system_vgpr_workitem_id 0
		.amdhsa_next_free_vgpr 1
		.amdhsa_next_free_sgpr 1
		.amdhsa_reserve_vcc 0
		.amdhsa_float_round_mode_32 0
		.amdhsa_float_round_mode_16_64 0
		.amdhsa_float_denorm_mode_32 3
		.amdhsa_float_denorm_mode_16_64 3
		.amdhsa_dx10_clamp 1
		.amdhsa_ieee_mode 1
		.amdhsa_fp16_overflow 0
		.amdhsa_workgroup_processor_mode 1
		.amdhsa_memory_ordered 1
		.amdhsa_forward_progress 0
		.amdhsa_shared_vgpr_count 0
		.amdhsa_exception_fp_ieee_invalid_op 0
		.amdhsa_exception_fp_denorm_src 0
		.amdhsa_exception_fp_ieee_div_zero 0
		.amdhsa_exception_fp_ieee_overflow 0
		.amdhsa_exception_fp_ieee_underflow 0
		.amdhsa_exception_fp_ieee_inexact 0
		.amdhsa_exception_int_div_zero 0
	.end_amdhsa_kernel
	.section	.text._ZN7rocprim17ROCPRIM_400000_NS6detail17trampoline_kernelINS0_13select_configILj256ELj13ELNS0_17block_load_methodE3ELS4_3ELS4_3ELNS0_20block_scan_algorithmE0ELj4294967295EEENS1_25partition_config_selectorILNS1_17partition_subalgoE3EjNS0_10empty_typeEbEEZZNS1_14partition_implILS8_3ELb0ES6_jNS0_17counting_iteratorIjlEEPS9_SE_NS0_5tupleIJPjSE_EEENSF_IJSE_SE_EEES9_SG_JZNS1_25segmented_radix_sort_implINS0_14default_configELb0EPKhPhPKlPlN2at6native12_GLOBAL__N_18offset_tEEE10hipError_tPvRmT1_PNSt15iterator_traitsISY_E10value_typeET2_T3_PNSZ_IS14_E10value_typeET4_jRbjT5_S1A_jjP12ihipStream_tbEUljE_EEESV_SW_SX_S14_S18_S1A_T6_T7_T9_mT8_S1C_bDpT10_ENKUlT_T0_E_clISt17integral_constantIbLb1EES1P_EEDaS1K_S1L_EUlS1K_E_NS1_11comp_targetILNS1_3genE10ELNS1_11target_archE1200ELNS1_3gpuE4ELNS1_3repE0EEENS1_30default_config_static_selectorELNS0_4arch9wavefront6targetE0EEEvSY_,"axG",@progbits,_ZN7rocprim17ROCPRIM_400000_NS6detail17trampoline_kernelINS0_13select_configILj256ELj13ELNS0_17block_load_methodE3ELS4_3ELS4_3ELNS0_20block_scan_algorithmE0ELj4294967295EEENS1_25partition_config_selectorILNS1_17partition_subalgoE3EjNS0_10empty_typeEbEEZZNS1_14partition_implILS8_3ELb0ES6_jNS0_17counting_iteratorIjlEEPS9_SE_NS0_5tupleIJPjSE_EEENSF_IJSE_SE_EEES9_SG_JZNS1_25segmented_radix_sort_implINS0_14default_configELb0EPKhPhPKlPlN2at6native12_GLOBAL__N_18offset_tEEE10hipError_tPvRmT1_PNSt15iterator_traitsISY_E10value_typeET2_T3_PNSZ_IS14_E10value_typeET4_jRbjT5_S1A_jjP12ihipStream_tbEUljE_EEESV_SW_SX_S14_S18_S1A_T6_T7_T9_mT8_S1C_bDpT10_ENKUlT_T0_E_clISt17integral_constantIbLb1EES1P_EEDaS1K_S1L_EUlS1K_E_NS1_11comp_targetILNS1_3genE10ELNS1_11target_archE1200ELNS1_3gpuE4ELNS1_3repE0EEENS1_30default_config_static_selectorELNS0_4arch9wavefront6targetE0EEEvSY_,comdat
.Lfunc_end167:
	.size	_ZN7rocprim17ROCPRIM_400000_NS6detail17trampoline_kernelINS0_13select_configILj256ELj13ELNS0_17block_load_methodE3ELS4_3ELS4_3ELNS0_20block_scan_algorithmE0ELj4294967295EEENS1_25partition_config_selectorILNS1_17partition_subalgoE3EjNS0_10empty_typeEbEEZZNS1_14partition_implILS8_3ELb0ES6_jNS0_17counting_iteratorIjlEEPS9_SE_NS0_5tupleIJPjSE_EEENSF_IJSE_SE_EEES9_SG_JZNS1_25segmented_radix_sort_implINS0_14default_configELb0EPKhPhPKlPlN2at6native12_GLOBAL__N_18offset_tEEE10hipError_tPvRmT1_PNSt15iterator_traitsISY_E10value_typeET2_T3_PNSZ_IS14_E10value_typeET4_jRbjT5_S1A_jjP12ihipStream_tbEUljE_EEESV_SW_SX_S14_S18_S1A_T6_T7_T9_mT8_S1C_bDpT10_ENKUlT_T0_E_clISt17integral_constantIbLb1EES1P_EEDaS1K_S1L_EUlS1K_E_NS1_11comp_targetILNS1_3genE10ELNS1_11target_archE1200ELNS1_3gpuE4ELNS1_3repE0EEENS1_30default_config_static_selectorELNS0_4arch9wavefront6targetE0EEEvSY_, .Lfunc_end167-_ZN7rocprim17ROCPRIM_400000_NS6detail17trampoline_kernelINS0_13select_configILj256ELj13ELNS0_17block_load_methodE3ELS4_3ELS4_3ELNS0_20block_scan_algorithmE0ELj4294967295EEENS1_25partition_config_selectorILNS1_17partition_subalgoE3EjNS0_10empty_typeEbEEZZNS1_14partition_implILS8_3ELb0ES6_jNS0_17counting_iteratorIjlEEPS9_SE_NS0_5tupleIJPjSE_EEENSF_IJSE_SE_EEES9_SG_JZNS1_25segmented_radix_sort_implINS0_14default_configELb0EPKhPhPKlPlN2at6native12_GLOBAL__N_18offset_tEEE10hipError_tPvRmT1_PNSt15iterator_traitsISY_E10value_typeET2_T3_PNSZ_IS14_E10value_typeET4_jRbjT5_S1A_jjP12ihipStream_tbEUljE_EEESV_SW_SX_S14_S18_S1A_T6_T7_T9_mT8_S1C_bDpT10_ENKUlT_T0_E_clISt17integral_constantIbLb1EES1P_EEDaS1K_S1L_EUlS1K_E_NS1_11comp_targetILNS1_3genE10ELNS1_11target_archE1200ELNS1_3gpuE4ELNS1_3repE0EEENS1_30default_config_static_selectorELNS0_4arch9wavefront6targetE0EEEvSY_
                                        ; -- End function
	.section	.AMDGPU.csdata,"",@progbits
; Kernel info:
; codeLenInByte = 0
; NumSgprs: 0
; NumVgprs: 0
; ScratchSize: 0
; MemoryBound: 0
; FloatMode: 240
; IeeeMode: 1
; LDSByteSize: 0 bytes/workgroup (compile time only)
; SGPRBlocks: 0
; VGPRBlocks: 0
; NumSGPRsForWavesPerEU: 1
; NumVGPRsForWavesPerEU: 1
; Occupancy: 16
; WaveLimiterHint : 0
; COMPUTE_PGM_RSRC2:SCRATCH_EN: 0
; COMPUTE_PGM_RSRC2:USER_SGPR: 15
; COMPUTE_PGM_RSRC2:TRAP_HANDLER: 0
; COMPUTE_PGM_RSRC2:TGID_X_EN: 1
; COMPUTE_PGM_RSRC2:TGID_Y_EN: 0
; COMPUTE_PGM_RSRC2:TGID_Z_EN: 0
; COMPUTE_PGM_RSRC2:TIDIG_COMP_CNT: 0
	.section	.text._ZN7rocprim17ROCPRIM_400000_NS6detail17trampoline_kernelINS0_13select_configILj256ELj13ELNS0_17block_load_methodE3ELS4_3ELS4_3ELNS0_20block_scan_algorithmE0ELj4294967295EEENS1_25partition_config_selectorILNS1_17partition_subalgoE3EjNS0_10empty_typeEbEEZZNS1_14partition_implILS8_3ELb0ES6_jNS0_17counting_iteratorIjlEEPS9_SE_NS0_5tupleIJPjSE_EEENSF_IJSE_SE_EEES9_SG_JZNS1_25segmented_radix_sort_implINS0_14default_configELb0EPKhPhPKlPlN2at6native12_GLOBAL__N_18offset_tEEE10hipError_tPvRmT1_PNSt15iterator_traitsISY_E10value_typeET2_T3_PNSZ_IS14_E10value_typeET4_jRbjT5_S1A_jjP12ihipStream_tbEUljE_EEESV_SW_SX_S14_S18_S1A_T6_T7_T9_mT8_S1C_bDpT10_ENKUlT_T0_E_clISt17integral_constantIbLb1EES1P_EEDaS1K_S1L_EUlS1K_E_NS1_11comp_targetILNS1_3genE9ELNS1_11target_archE1100ELNS1_3gpuE3ELNS1_3repE0EEENS1_30default_config_static_selectorELNS0_4arch9wavefront6targetE0EEEvSY_,"axG",@progbits,_ZN7rocprim17ROCPRIM_400000_NS6detail17trampoline_kernelINS0_13select_configILj256ELj13ELNS0_17block_load_methodE3ELS4_3ELS4_3ELNS0_20block_scan_algorithmE0ELj4294967295EEENS1_25partition_config_selectorILNS1_17partition_subalgoE3EjNS0_10empty_typeEbEEZZNS1_14partition_implILS8_3ELb0ES6_jNS0_17counting_iteratorIjlEEPS9_SE_NS0_5tupleIJPjSE_EEENSF_IJSE_SE_EEES9_SG_JZNS1_25segmented_radix_sort_implINS0_14default_configELb0EPKhPhPKlPlN2at6native12_GLOBAL__N_18offset_tEEE10hipError_tPvRmT1_PNSt15iterator_traitsISY_E10value_typeET2_T3_PNSZ_IS14_E10value_typeET4_jRbjT5_S1A_jjP12ihipStream_tbEUljE_EEESV_SW_SX_S14_S18_S1A_T6_T7_T9_mT8_S1C_bDpT10_ENKUlT_T0_E_clISt17integral_constantIbLb1EES1P_EEDaS1K_S1L_EUlS1K_E_NS1_11comp_targetILNS1_3genE9ELNS1_11target_archE1100ELNS1_3gpuE3ELNS1_3repE0EEENS1_30default_config_static_selectorELNS0_4arch9wavefront6targetE0EEEvSY_,comdat
	.globl	_ZN7rocprim17ROCPRIM_400000_NS6detail17trampoline_kernelINS0_13select_configILj256ELj13ELNS0_17block_load_methodE3ELS4_3ELS4_3ELNS0_20block_scan_algorithmE0ELj4294967295EEENS1_25partition_config_selectorILNS1_17partition_subalgoE3EjNS0_10empty_typeEbEEZZNS1_14partition_implILS8_3ELb0ES6_jNS0_17counting_iteratorIjlEEPS9_SE_NS0_5tupleIJPjSE_EEENSF_IJSE_SE_EEES9_SG_JZNS1_25segmented_radix_sort_implINS0_14default_configELb0EPKhPhPKlPlN2at6native12_GLOBAL__N_18offset_tEEE10hipError_tPvRmT1_PNSt15iterator_traitsISY_E10value_typeET2_T3_PNSZ_IS14_E10value_typeET4_jRbjT5_S1A_jjP12ihipStream_tbEUljE_EEESV_SW_SX_S14_S18_S1A_T6_T7_T9_mT8_S1C_bDpT10_ENKUlT_T0_E_clISt17integral_constantIbLb1EES1P_EEDaS1K_S1L_EUlS1K_E_NS1_11comp_targetILNS1_3genE9ELNS1_11target_archE1100ELNS1_3gpuE3ELNS1_3repE0EEENS1_30default_config_static_selectorELNS0_4arch9wavefront6targetE0EEEvSY_ ; -- Begin function _ZN7rocprim17ROCPRIM_400000_NS6detail17trampoline_kernelINS0_13select_configILj256ELj13ELNS0_17block_load_methodE3ELS4_3ELS4_3ELNS0_20block_scan_algorithmE0ELj4294967295EEENS1_25partition_config_selectorILNS1_17partition_subalgoE3EjNS0_10empty_typeEbEEZZNS1_14partition_implILS8_3ELb0ES6_jNS0_17counting_iteratorIjlEEPS9_SE_NS0_5tupleIJPjSE_EEENSF_IJSE_SE_EEES9_SG_JZNS1_25segmented_radix_sort_implINS0_14default_configELb0EPKhPhPKlPlN2at6native12_GLOBAL__N_18offset_tEEE10hipError_tPvRmT1_PNSt15iterator_traitsISY_E10value_typeET2_T3_PNSZ_IS14_E10value_typeET4_jRbjT5_S1A_jjP12ihipStream_tbEUljE_EEESV_SW_SX_S14_S18_S1A_T6_T7_T9_mT8_S1C_bDpT10_ENKUlT_T0_E_clISt17integral_constantIbLb1EES1P_EEDaS1K_S1L_EUlS1K_E_NS1_11comp_targetILNS1_3genE9ELNS1_11target_archE1100ELNS1_3gpuE3ELNS1_3repE0EEENS1_30default_config_static_selectorELNS0_4arch9wavefront6targetE0EEEvSY_
	.p2align	8
	.type	_ZN7rocprim17ROCPRIM_400000_NS6detail17trampoline_kernelINS0_13select_configILj256ELj13ELNS0_17block_load_methodE3ELS4_3ELS4_3ELNS0_20block_scan_algorithmE0ELj4294967295EEENS1_25partition_config_selectorILNS1_17partition_subalgoE3EjNS0_10empty_typeEbEEZZNS1_14partition_implILS8_3ELb0ES6_jNS0_17counting_iteratorIjlEEPS9_SE_NS0_5tupleIJPjSE_EEENSF_IJSE_SE_EEES9_SG_JZNS1_25segmented_radix_sort_implINS0_14default_configELb0EPKhPhPKlPlN2at6native12_GLOBAL__N_18offset_tEEE10hipError_tPvRmT1_PNSt15iterator_traitsISY_E10value_typeET2_T3_PNSZ_IS14_E10value_typeET4_jRbjT5_S1A_jjP12ihipStream_tbEUljE_EEESV_SW_SX_S14_S18_S1A_T6_T7_T9_mT8_S1C_bDpT10_ENKUlT_T0_E_clISt17integral_constantIbLb1EES1P_EEDaS1K_S1L_EUlS1K_E_NS1_11comp_targetILNS1_3genE9ELNS1_11target_archE1100ELNS1_3gpuE3ELNS1_3repE0EEENS1_30default_config_static_selectorELNS0_4arch9wavefront6targetE0EEEvSY_,@function
_ZN7rocprim17ROCPRIM_400000_NS6detail17trampoline_kernelINS0_13select_configILj256ELj13ELNS0_17block_load_methodE3ELS4_3ELS4_3ELNS0_20block_scan_algorithmE0ELj4294967295EEENS1_25partition_config_selectorILNS1_17partition_subalgoE3EjNS0_10empty_typeEbEEZZNS1_14partition_implILS8_3ELb0ES6_jNS0_17counting_iteratorIjlEEPS9_SE_NS0_5tupleIJPjSE_EEENSF_IJSE_SE_EEES9_SG_JZNS1_25segmented_radix_sort_implINS0_14default_configELb0EPKhPhPKlPlN2at6native12_GLOBAL__N_18offset_tEEE10hipError_tPvRmT1_PNSt15iterator_traitsISY_E10value_typeET2_T3_PNSZ_IS14_E10value_typeET4_jRbjT5_S1A_jjP12ihipStream_tbEUljE_EEESV_SW_SX_S14_S18_S1A_T6_T7_T9_mT8_S1C_bDpT10_ENKUlT_T0_E_clISt17integral_constantIbLb1EES1P_EEDaS1K_S1L_EUlS1K_E_NS1_11comp_targetILNS1_3genE9ELNS1_11target_archE1100ELNS1_3gpuE3ELNS1_3repE0EEENS1_30default_config_static_selectorELNS0_4arch9wavefront6targetE0EEEvSY_: ; @_ZN7rocprim17ROCPRIM_400000_NS6detail17trampoline_kernelINS0_13select_configILj256ELj13ELNS0_17block_load_methodE3ELS4_3ELS4_3ELNS0_20block_scan_algorithmE0ELj4294967295EEENS1_25partition_config_selectorILNS1_17partition_subalgoE3EjNS0_10empty_typeEbEEZZNS1_14partition_implILS8_3ELb0ES6_jNS0_17counting_iteratorIjlEEPS9_SE_NS0_5tupleIJPjSE_EEENSF_IJSE_SE_EEES9_SG_JZNS1_25segmented_radix_sort_implINS0_14default_configELb0EPKhPhPKlPlN2at6native12_GLOBAL__N_18offset_tEEE10hipError_tPvRmT1_PNSt15iterator_traitsISY_E10value_typeET2_T3_PNSZ_IS14_E10value_typeET4_jRbjT5_S1A_jjP12ihipStream_tbEUljE_EEESV_SW_SX_S14_S18_S1A_T6_T7_T9_mT8_S1C_bDpT10_ENKUlT_T0_E_clISt17integral_constantIbLb1EES1P_EEDaS1K_S1L_EUlS1K_E_NS1_11comp_targetILNS1_3genE9ELNS1_11target_archE1100ELNS1_3gpuE3ELNS1_3repE0EEENS1_30default_config_static_selectorELNS0_4arch9wavefront6targetE0EEEvSY_
; %bb.0:
	s_clause 0x6
	s_load_b64 s[16:17], s[0:1], 0x10
	s_load_b64 s[12:13], s[0:1], 0x28
	;; [unrolled: 1-line block ×3, first 2 shown]
	s_load_b128 s[8:11], s[0:1], 0x48
	s_load_b32 s3, s[0:1], 0x90
	s_load_b64 s[18:19], s[0:1], 0x68
	s_load_b128 s[4:7], s[0:1], 0x80
	v_cmp_eq_u32_e64 s2, 0, v0
	s_delay_alu instid0(VALU_DEP_1)
	s_and_saveexec_b32 s20, s2
	s_cbranch_execz .LBB168_4
; %bb.1:
	s_mov_b32 s22, exec_lo
	s_mov_b32 s21, exec_lo
	v_mbcnt_lo_u32_b32 v1, s22, 0
                                        ; implicit-def: $vgpr2
	s_delay_alu instid0(VALU_DEP_1)
	v_cmpx_eq_u32_e32 0, v1
	s_cbranch_execz .LBB168_3
; %bb.2:
	s_load_b64 s[24:25], s[0:1], 0x78
	s_bcnt1_i32_b32 s22, s22
	s_delay_alu instid0(SALU_CYCLE_1)
	v_dual_mov_b32 v2, 0 :: v_dual_mov_b32 v3, s22
	s_waitcnt lgkmcnt(0)
	global_atomic_add_u32 v2, v2, v3, s[24:25] glc
.LBB168_3:
	s_or_b32 exec_lo, exec_lo, s21
	s_waitcnt vmcnt(0)
	v_readfirstlane_b32 s21, v2
	s_delay_alu instid0(VALU_DEP_1)
	v_dual_mov_b32 v2, 0 :: v_dual_add_nc_u32 v1, s21, v1
	ds_store_b32 v2, v1
.LBB168_4:
	s_or_b32 exec_lo, exec_lo, s20
	v_mov_b32_e32 v1, 0
	s_clause 0x1
	s_load_b32 s20, s[0:1], 0x8
	s_load_b32 s0, s[0:1], 0x70
	s_waitcnt lgkmcnt(0)
	s_barrier
	buffer_gl0_inv
	ds_load_b32 v2, v1
	s_waitcnt lgkmcnt(0)
	s_barrier
	buffer_gl0_inv
	global_load_b64 v[18:19], v1, s[10:11]
	v_lshlrev_b32_e32 v33, 2, v0
	s_add_i32 s21, s20, s16
	s_mul_i32 s1, s0, 0xd00
	s_add_i32 s0, s0, -1
	s_add_u32 s10, s16, s1
	s_addc_u32 s11, s17, 0
	v_mul_lo_u32 v32, 0xd00, v2
	v_readfirstlane_b32 s20, v2
	v_cmp_lt_u64_e64 s11, s[10:11], s[14:15]
	v_cmp_ne_u32_e32 vcc_lo, s0, v2
	s_delay_alu instid0(VALU_DEP_3) | instskip(SKIP_1) | instid1(VALU_DEP_4)
	s_cmp_eq_u32 s20, s0
	s_cselect_b32 s10, -1, 0
	v_add3_u32 v1, v32, s21, v0
	s_delay_alu instid0(VALU_DEP_3) | instskip(SKIP_2) | instid1(VALU_DEP_1)
	s_or_b32 s0, s11, vcc_lo
	s_mov_b32 s11, -1
	s_and_b32 vcc_lo, exec_lo, s0
	v_add_nc_u32_e32 v2, 0x100, v1
	v_add_nc_u32_e32 v3, 0x200, v1
	v_add_nc_u32_e32 v4, 0x300, v1
	v_add_nc_u32_e32 v5, 0x400, v1
	v_add_nc_u32_e32 v6, 0x500, v1
	v_add_nc_u32_e32 v7, 0x600, v1
	v_add_nc_u32_e32 v8, 0x700, v1
	v_add_nc_u32_e32 v9, 0x800, v1
	v_add_nc_u32_e32 v10, 0x900, v1
	v_add_nc_u32_e32 v11, 0xa00, v1
	v_add_nc_u32_e32 v12, 0xb00, v1
	v_add_nc_u32_e32 v13, 0xc00, v1
	s_cbranch_vccz .LBB168_6
; %bb.5:
	ds_store_2addr_stride64_b32 v33, v1, v2 offset1:4
	ds_store_2addr_stride64_b32 v33, v3, v4 offset0:8 offset1:12
	ds_store_2addr_stride64_b32 v33, v5, v6 offset0:16 offset1:20
	;; [unrolled: 1-line block ×5, first 2 shown]
	ds_store_b32 v33, v13 offset:12288
	s_waitcnt vmcnt(0) lgkmcnt(0)
	s_mov_b32 s11, 0
	s_barrier
.LBB168_6:
	s_and_not1_b32 vcc_lo, exec_lo, s11
	s_add_i32 s1, s1, s16
	s_cbranch_vccnz .LBB168_8
; %bb.7:
	ds_store_2addr_stride64_b32 v33, v1, v2 offset1:4
	ds_store_2addr_stride64_b32 v33, v3, v4 offset0:8 offset1:12
	ds_store_2addr_stride64_b32 v33, v5, v6 offset0:16 offset1:20
	;; [unrolled: 1-line block ×5, first 2 shown]
	ds_store_b32 v33, v13 offset:12288
	s_waitcnt vmcnt(0) lgkmcnt(0)
	s_barrier
.LBB168_8:
	v_mul_u32_u24_e32 v36, 13, v0
	s_waitcnt vmcnt(0)
	buffer_gl0_inv
	v_cndmask_b32_e64 v34, 0, 1, s0
	s_sub_i32 s11, s14, s1
	s_and_not1_b32 vcc_lo, exec_lo, s0
	v_lshlrev_b32_e32 v1, 2, v36
	ds_load_2addr_b32 v[30:31], v1 offset1:1
	ds_load_2addr_b32 v[28:29], v1 offset0:2 offset1:3
	ds_load_2addr_b32 v[26:27], v1 offset0:4 offset1:5
	;; [unrolled: 1-line block ×5, first 2 shown]
	ds_load_b32 v35, v1 offset:48
	s_waitcnt lgkmcnt(0)
	s_barrier
	buffer_gl0_inv
	s_cbranch_vccnz .LBB168_10
; %bb.9:
	v_add_nc_u32_e32 v1, s5, v30
	v_add_nc_u32_e32 v2, s7, v30
	;; [unrolled: 1-line block ×5, first 2 shown]
	v_mul_lo_u32 v1, v1, s4
	v_mul_lo_u32 v2, v2, s6
	;; [unrolled: 1-line block ×4, first 2 shown]
	v_add_nc_u32_e32 v6, s7, v28
	v_add_nc_u32_e32 v7, s5, v29
	;; [unrolled: 1-line block ×3, first 2 shown]
	v_mul_lo_u32 v5, v5, s4
	v_add_nc_u32_e32 v9, s5, v24
	v_sub_nc_u32_e32 v1, v1, v2
	v_mul_lo_u32 v2, v6, s6
	v_sub_nc_u32_e32 v3, v3, v4
	v_mul_lo_u32 v4, v7, s4
	v_mul_lo_u32 v6, v8, s6
	v_add_nc_u32_e32 v7, s5, v26
	v_cmp_lt_u32_e32 vcc_lo, s3, v1
	v_add_nc_u32_e32 v8, s5, v27
	v_add_nc_u32_e32 v10, s7, v24
	v_sub_nc_u32_e32 v2, v5, v2
	v_add_nc_u32_e32 v5, s7, v26
	v_cndmask_b32_e64 v1, 0, 1, vcc_lo
	v_sub_nc_u32_e32 v4, v4, v6
	v_mul_lo_u32 v6, v7, s4
	v_add_nc_u32_e32 v7, s7, v27
	v_cmp_lt_u32_e32 vcc_lo, s3, v3
	v_mul_lo_u32 v5, v5, s6
	v_mul_lo_u32 v8, v8, s4
	;; [unrolled: 1-line block ×4, first 2 shown]
	v_cndmask_b32_e64 v3, 0, 1, vcc_lo
	v_cmp_lt_u32_e32 vcc_lo, s3, v2
	v_mul_lo_u32 v10, v10, s6
	v_add_nc_u32_e32 v11, s5, v22
	v_sub_nc_u32_e32 v5, v6, v5
	v_add_nc_u32_e32 v12, s7, v22
	v_cndmask_b32_e64 v2, 0, 1, vcc_lo
	v_sub_nc_u32_e32 v6, v8, v7
	v_add_nc_u32_e32 v7, s5, v25
	v_add_nc_u32_e32 v8, s7, v25
	v_cmp_lt_u32_e32 vcc_lo, s3, v4
	v_sub_nc_u32_e32 v9, v9, v10
	v_mul_lo_u32 v10, v11, s4
	v_mul_lo_u32 v7, v7, s4
	;; [unrolled: 1-line block ×4, first 2 shown]
	v_cndmask_b32_e64 v4, 0, 1, vcc_lo
	v_cmp_lt_u32_e32 vcc_lo, s3, v5
	v_add_nc_u32_e32 v12, s5, v23
	v_add_nc_u32_e32 v13, s7, v20
	;; [unrolled: 1-line block ×4, first 2 shown]
	v_cndmask_b32_e64 v5, 0, 1, vcc_lo
	v_cmp_lt_u32_e32 vcc_lo, s3, v6
	v_sub_nc_u32_e32 v7, v7, v8
	v_sub_nc_u32_e32 v8, v10, v11
	v_add_nc_u32_e32 v11, s7, v23
	v_mul_lo_u32 v10, v12, s4
	v_cndmask_b32_e64 v6, 0, 1, vcc_lo
	v_cmp_lt_u32_e32 vcc_lo, s3, v9
	v_add_nc_u32_e32 v12, s5, v20
	v_mul_lo_u32 v11, v11, s6
	v_mul_lo_u32 v13, v13, s6
	;; [unrolled: 1-line block ×3, first 2 shown]
	v_cndmask_b32_e64 v9, 0, 1, vcc_lo
	v_cmp_lt_u32_e32 vcc_lo, s3, v7
	v_mul_lo_u32 v12, v12, s4
	v_mul_lo_u32 v15, v15, s6
	v_lshlrev_b16 v3, 8, v3
	v_sub_nc_u32_e32 v10, v10, v11
	v_cndmask_b32_e64 v7, 0, 1, vcc_lo
	v_cmp_lt_u32_e32 vcc_lo, s3, v8
	v_add_nc_u32_e32 v11, s5, v35
	v_or_b32_e32 v1, v1, v3
	v_sub_nc_u32_e32 v12, v12, v13
	v_sub_nc_u32_e32 v13, v14, v15
	v_cndmask_b32_e64 v8, 0, 1, vcc_lo
	v_cmp_lt_u32_e32 vcc_lo, s3, v10
	v_add_nc_u32_e32 v16, s7, v35
	v_mul_lo_u32 v11, v11, s4
	v_lshlrev_b16 v4, 8, v4
	v_lshlrev_b16 v6, 8, v6
	v_cndmask_b32_e64 v10, 0, 1, vcc_lo
	v_cmp_lt_u32_e32 vcc_lo, s3, v12
	v_mul_lo_u32 v14, v16, s6
	v_lshlrev_b16 v7, 8, v7
	v_or_b32_e32 v2, v2, v4
	v_lshlrev_b16 v10, 8, v10
	v_cndmask_b32_e64 v3, 0, 1, vcc_lo
	v_cmp_lt_u32_e32 vcc_lo, s3, v13
	v_or_b32_e32 v4, v5, v6
	v_or_b32_e32 v5, v9, v7
	v_sub_nc_u32_e32 v11, v11, v14
	v_or_b32_e32 v6, v8, v10
	v_cndmask_b32_e64 v12, 0, 1, vcc_lo
	v_and_b32_e32 v1, 0xffff, v1
	v_lshlrev_b32_e32 v2, 16, v2
	v_and_b32_e32 v4, 0xffff, v4
	v_lshlrev_b32_e32 v5, 16, v5
	v_lshlrev_b16 v12, 8, v12
	v_and_b32_e32 v6, 0xffff, v6
	v_cmp_lt_u32_e32 vcc_lo, s3, v11
	v_or_b32_e32 v42, v1, v2
	v_or_b32_e32 v40, v4, v5
	v_or_b32_e32 v3, v3, v12
	v_cndmask_b32_e64 v37, 0, 1, vcc_lo
	s_delay_alu instid0(VALU_DEP_2) | instskip(NEXT) | instid1(VALU_DEP_1)
	v_lshlrev_b32_e32 v3, 16, v3
	v_or_b32_e32 v38, v6, v3
	s_addk_i32 s11, 0xd00
	s_cbranch_execz .LBB168_11
	s_branch .LBB168_38
.LBB168_10:
                                        ; implicit-def: $vgpr37
                                        ; implicit-def: $vgpr38
                                        ; implicit-def: $vgpr40
                                        ; implicit-def: $vgpr42
	s_addk_i32 s11, 0xd00
.LBB168_11:
	v_dual_mov_b32 v2, 0 :: v_dual_mov_b32 v1, 0
	s_mov_b32 s0, exec_lo
	v_cmpx_gt_u32_e64 s11, v36
; %bb.12:
	v_add_nc_u32_e32 v1, s5, v30
	v_add_nc_u32_e32 v3, s7, v30
	s_delay_alu instid0(VALU_DEP_2) | instskip(NEXT) | instid1(VALU_DEP_2)
	v_mul_lo_u32 v1, v1, s4
	v_mul_lo_u32 v3, v3, s6
	s_delay_alu instid0(VALU_DEP_1) | instskip(NEXT) | instid1(VALU_DEP_1)
	v_sub_nc_u32_e32 v1, v1, v3
	v_cmp_lt_u32_e32 vcc_lo, s3, v1
	v_cndmask_b32_e64 v1, 0, 1, vcc_lo
; %bb.13:
	s_or_b32 exec_lo, exec_lo, s0
	v_add_nc_u32_e32 v3, 1, v36
	s_mov_b32 s0, exec_lo
	s_delay_alu instid0(VALU_DEP_1)
	v_cmpx_gt_u32_e64 s11, v3
; %bb.14:
	v_add_nc_u32_e32 v2, s5, v31
	v_add_nc_u32_e32 v3, s7, v31
	s_delay_alu instid0(VALU_DEP_2) | instskip(NEXT) | instid1(VALU_DEP_2)
	v_mul_lo_u32 v2, v2, s4
	v_mul_lo_u32 v3, v3, s6
	s_delay_alu instid0(VALU_DEP_1) | instskip(NEXT) | instid1(VALU_DEP_1)
	v_sub_nc_u32_e32 v2, v2, v3
	v_cmp_lt_u32_e32 vcc_lo, s3, v2
	v_cndmask_b32_e64 v2, 0, 1, vcc_lo
; %bb.15:
	s_or_b32 exec_lo, exec_lo, s0
	v_dual_mov_b32 v4, 0 :: v_dual_add_nc_u32 v3, 2, v36
	s_delay_alu instid0(VALU_DEP_1)
	v_cmp_gt_u32_e32 vcc_lo, s11, v3
	v_mov_b32_e32 v3, 0
	s_and_saveexec_b32 s0, vcc_lo
; %bb.16:
	v_add_nc_u32_e32 v3, s5, v28
	v_add_nc_u32_e32 v5, s7, v28
	s_delay_alu instid0(VALU_DEP_2) | instskip(NEXT) | instid1(VALU_DEP_2)
	v_mul_lo_u32 v3, v3, s4
	v_mul_lo_u32 v5, v5, s6
	s_delay_alu instid0(VALU_DEP_1) | instskip(NEXT) | instid1(VALU_DEP_1)
	v_sub_nc_u32_e32 v3, v3, v5
	v_cmp_lt_u32_e32 vcc_lo, s3, v3
	v_cndmask_b32_e64 v3, 0, 1, vcc_lo
; %bb.17:
	s_or_b32 exec_lo, exec_lo, s0
	v_add_nc_u32_e32 v5, 3, v36
	s_mov_b32 s0, exec_lo
	s_delay_alu instid0(VALU_DEP_1)
	v_cmpx_gt_u32_e64 s11, v5
; %bb.18:
	v_add_nc_u32_e32 v4, s5, v29
	v_add_nc_u32_e32 v5, s7, v29
	s_delay_alu instid0(VALU_DEP_2) | instskip(NEXT) | instid1(VALU_DEP_2)
	v_mul_lo_u32 v4, v4, s4
	v_mul_lo_u32 v5, v5, s6
	s_delay_alu instid0(VALU_DEP_1) | instskip(NEXT) | instid1(VALU_DEP_1)
	v_sub_nc_u32_e32 v4, v4, v5
	v_cmp_lt_u32_e32 vcc_lo, s3, v4
	v_cndmask_b32_e64 v4, 0, 1, vcc_lo
; %bb.19:
	s_or_b32 exec_lo, exec_lo, s0
	v_dual_mov_b32 v6, 0 :: v_dual_add_nc_u32 v5, 4, v36
	s_delay_alu instid0(VALU_DEP_1)
	v_cmp_gt_u32_e32 vcc_lo, s11, v5
	v_mov_b32_e32 v5, 0
	s_and_saveexec_b32 s0, vcc_lo
	;; [unrolled: 33-line block ×5, first 2 shown]
; %bb.32:
	v_add_nc_u32_e32 v11, s5, v20
	v_add_nc_u32_e32 v13, s7, v20
	s_delay_alu instid0(VALU_DEP_2) | instskip(NEXT) | instid1(VALU_DEP_2)
	v_mul_lo_u32 v11, v11, s4
	v_mul_lo_u32 v13, v13, s6
	s_delay_alu instid0(VALU_DEP_1) | instskip(NEXT) | instid1(VALU_DEP_1)
	v_sub_nc_u32_e32 v11, v11, v13
	v_cmp_lt_u32_e32 vcc_lo, s3, v11
	v_cndmask_b32_e64 v11, 0, 1, vcc_lo
; %bb.33:
	s_or_b32 exec_lo, exec_lo, s0
	v_add_nc_u32_e32 v13, 11, v36
	s_mov_b32 s0, exec_lo
	s_delay_alu instid0(VALU_DEP_1)
	v_cmpx_gt_u32_e64 s11, v13
; %bb.34:
	v_add_nc_u32_e32 v12, s5, v21
	v_add_nc_u32_e32 v13, s7, v21
	s_delay_alu instid0(VALU_DEP_2) | instskip(NEXT) | instid1(VALU_DEP_2)
	v_mul_lo_u32 v12, v12, s4
	v_mul_lo_u32 v13, v13, s6
	s_delay_alu instid0(VALU_DEP_1) | instskip(NEXT) | instid1(VALU_DEP_1)
	v_sub_nc_u32_e32 v12, v12, v13
	v_cmp_lt_u32_e32 vcc_lo, s3, v12
	v_cndmask_b32_e64 v12, 0, 1, vcc_lo
; %bb.35:
	s_or_b32 exec_lo, exec_lo, s0
	v_add_nc_u32_e32 v13, 12, v36
	v_mov_b32_e32 v37, 0
	s_mov_b32 s0, exec_lo
	s_delay_alu instid0(VALU_DEP_2)
	v_cmpx_gt_u32_e64 s11, v13
; %bb.36:
	v_add_nc_u32_e32 v13, s5, v35
	v_add_nc_u32_e32 v14, s7, v35
	s_delay_alu instid0(VALU_DEP_2) | instskip(NEXT) | instid1(VALU_DEP_2)
	v_mul_lo_u32 v13, v13, s4
	v_mul_lo_u32 v14, v14, s6
	s_delay_alu instid0(VALU_DEP_1) | instskip(NEXT) | instid1(VALU_DEP_1)
	v_sub_nc_u32_e32 v13, v13, v14
	v_cmp_lt_u32_e32 vcc_lo, s3, v13
	v_cndmask_b32_e64 v37, 0, 1, vcc_lo
; %bb.37:
	s_or_b32 exec_lo, exec_lo, s0
	v_lshlrev_b16 v2, 8, v2
	v_lshlrev_b16 v4, 8, v4
	;; [unrolled: 1-line block ×5, first 2 shown]
	v_or_b32_e32 v1, v1, v2
	v_lshlrev_b16 v2, 8, v12
	v_or_b32_e32 v3, v3, v4
	v_or_b32_e32 v4, v5, v6
	v_or_b32_e32 v5, v7, v8
	v_or_b32_e32 v6, v9, v10
	v_or_b32_e32 v2, v11, v2
	v_and_b32_e32 v1, 0xffff, v1
	v_lshlrev_b32_e32 v3, 16, v3
	v_and_b32_e32 v4, 0xffff, v4
	v_lshlrev_b32_e32 v5, 16, v5
	;; [unrolled: 2-line block ×3, first 2 shown]
	v_or_b32_e32 v42, v1, v3
	s_delay_alu instid0(VALU_DEP_4) | instskip(NEXT) | instid1(VALU_DEP_3)
	v_or_b32_e32 v40, v4, v5
	v_or_b32_e32 v38, v6, v2
.LBB168_38:
	s_delay_alu instid0(VALU_DEP_3)
	v_and_b32_e32 v44, 0xff, v42
	v_bfe_u32 v45, v42, 8, 8
	v_bfe_u32 v46, v42, 16, 8
	v_lshrrev_b32_e32 v43, 24, v42
	v_and_b32_e32 v47, 0xff, v40
	v_bfe_u32 v48, v40, 8, 8
	v_bfe_u32 v49, v40, 16, 8
	v_add3_u32 v1, v45, v44, v46
	v_lshrrev_b32_e32 v41, 24, v40
	v_and_b32_e32 v50, 0xff, v38
	v_bfe_u32 v51, v38, 8, 8
	v_mbcnt_lo_u32_b32 v53, -1, 0
	v_add3_u32 v1, v1, v43, v47
	v_bfe_u32 v52, v38, 16, 8
	v_lshrrev_b32_e32 v39, 24, v38
	v_and_b32_e32 v2, 0xff, v37
	v_and_b32_e32 v3, 15, v53
	v_add3_u32 v1, v1, v48, v49
	v_or_b32_e32 v4, 31, v0
	v_and_b32_e32 v5, 16, v53
	v_lshrrev_b32_e32 v54, 5, v0
	v_cmp_eq_u32_e64 s6, 0, v3
	v_add3_u32 v1, v1, v41, v50
	v_cmp_lt_u32_e64 s5, 1, v3
	v_cmp_lt_u32_e64 s4, 3, v3
	v_cmp_lt_u32_e64 s3, 7, v3
	v_cmp_eq_u32_e64 s1, 0, v5
	v_add3_u32 v1, v1, v51, v52
	v_cmp_eq_u32_e64 s0, v4, v0
	s_cmp_lg_u32 s20, 0
	s_mov_b32 s7, -1
	s_delay_alu instid0(VALU_DEP_2)
	v_add3_u32 v55, v1, v39, v2
	s_cbranch_scc0 .LBB168_69
; %bb.39:
	s_delay_alu instid0(VALU_DEP_1) | instskip(NEXT) | instid1(VALU_DEP_1)
	v_mov_b32_dpp v1, v55 row_shr:1 row_mask:0xf bank_mask:0xf
	v_cndmask_b32_e64 v1, v1, 0, s6
	s_delay_alu instid0(VALU_DEP_1) | instskip(NEXT) | instid1(VALU_DEP_1)
	v_add_nc_u32_e32 v1, v1, v55
	v_mov_b32_dpp v2, v1 row_shr:2 row_mask:0xf bank_mask:0xf
	s_delay_alu instid0(VALU_DEP_1) | instskip(NEXT) | instid1(VALU_DEP_1)
	v_cndmask_b32_e64 v2, 0, v2, s5
	v_add_nc_u32_e32 v1, v1, v2
	s_delay_alu instid0(VALU_DEP_1) | instskip(NEXT) | instid1(VALU_DEP_1)
	v_mov_b32_dpp v2, v1 row_shr:4 row_mask:0xf bank_mask:0xf
	v_cndmask_b32_e64 v2, 0, v2, s4
	s_delay_alu instid0(VALU_DEP_1) | instskip(NEXT) | instid1(VALU_DEP_1)
	v_add_nc_u32_e32 v1, v1, v2
	v_mov_b32_dpp v2, v1 row_shr:8 row_mask:0xf bank_mask:0xf
	s_delay_alu instid0(VALU_DEP_1) | instskip(NEXT) | instid1(VALU_DEP_1)
	v_cndmask_b32_e64 v2, 0, v2, s3
	v_add_nc_u32_e32 v1, v1, v2
	ds_swizzle_b32 v2, v1 offset:swizzle(BROADCAST,32,15)
	s_waitcnt lgkmcnt(0)
	v_cndmask_b32_e64 v2, v2, 0, s1
	s_delay_alu instid0(VALU_DEP_1)
	v_add_nc_u32_e32 v1, v1, v2
	s_and_saveexec_b32 s7, s0
	s_cbranch_execz .LBB168_41
; %bb.40:
	v_lshlrev_b32_e32 v2, 2, v54
	ds_store_b32 v2, v1
.LBB168_41:
	s_or_b32 exec_lo, exec_lo, s7
	s_delay_alu instid0(SALU_CYCLE_1)
	s_mov_b32 s7, exec_lo
	s_waitcnt lgkmcnt(0)
	s_barrier
	buffer_gl0_inv
	v_cmpx_gt_u32_e32 8, v0
	s_cbranch_execz .LBB168_43
; %bb.42:
	ds_load_b32 v2, v33
	s_waitcnt lgkmcnt(0)
	v_mov_b32_dpp v4, v2 row_shr:1 row_mask:0xf bank_mask:0xf
	v_and_b32_e32 v3, 7, v53
	s_delay_alu instid0(VALU_DEP_1) | instskip(NEXT) | instid1(VALU_DEP_3)
	v_cmp_ne_u32_e32 vcc_lo, 0, v3
	v_cndmask_b32_e32 v4, 0, v4, vcc_lo
	v_cmp_lt_u32_e32 vcc_lo, 1, v3
	s_delay_alu instid0(VALU_DEP_2) | instskip(NEXT) | instid1(VALU_DEP_1)
	v_add_nc_u32_e32 v2, v4, v2
	v_mov_b32_dpp v4, v2 row_shr:2 row_mask:0xf bank_mask:0xf
	s_delay_alu instid0(VALU_DEP_1) | instskip(SKIP_1) | instid1(VALU_DEP_2)
	v_cndmask_b32_e32 v4, 0, v4, vcc_lo
	v_cmp_lt_u32_e32 vcc_lo, 3, v3
	v_add_nc_u32_e32 v2, v2, v4
	s_delay_alu instid0(VALU_DEP_1) | instskip(NEXT) | instid1(VALU_DEP_1)
	v_mov_b32_dpp v4, v2 row_shr:4 row_mask:0xf bank_mask:0xf
	v_cndmask_b32_e32 v3, 0, v4, vcc_lo
	s_delay_alu instid0(VALU_DEP_1)
	v_add_nc_u32_e32 v2, v2, v3
	ds_store_b32 v33, v2
.LBB168_43:
	s_or_b32 exec_lo, exec_lo, s7
	v_cmp_gt_u32_e32 vcc_lo, 32, v0
	s_mov_b32 s21, exec_lo
	s_waitcnt lgkmcnt(0)
	s_barrier
	buffer_gl0_inv
                                        ; implicit-def: $vgpr8
	v_cmpx_lt_u32_e32 31, v0
	s_cbranch_execz .LBB168_45
; %bb.44:
	v_lshl_add_u32 v2, v54, 2, -4
	ds_load_b32 v8, v2
	s_waitcnt lgkmcnt(0)
	v_add_nc_u32_e32 v1, v8, v1
.LBB168_45:
	s_or_b32 exec_lo, exec_lo, s21
	v_add_nc_u32_e32 v2, -1, v53
	s_delay_alu instid0(VALU_DEP_1) | instskip(NEXT) | instid1(VALU_DEP_1)
	v_cmp_gt_i32_e64 s7, 0, v2
	v_cndmask_b32_e64 v2, v2, v53, s7
	v_cmp_eq_u32_e64 s7, 0, v53
	s_delay_alu instid0(VALU_DEP_2)
	v_lshlrev_b32_e32 v2, 2, v2
	ds_bpermute_b32 v9, v2, v1
	s_and_saveexec_b32 s21, vcc_lo
	s_cbranch_execz .LBB168_68
; %bb.46:
	v_mov_b32_e32 v4, 0
	ds_load_b32 v1, v4 offset:28
	s_and_saveexec_b32 s22, s7
	s_cbranch_execz .LBB168_48
; %bb.47:
	s_add_i32 s24, s20, 32
	s_mov_b32 s25, 0
	v_mov_b32_e32 v2, 1
	s_lshl_b64 s[24:25], s[24:25], 3
	s_delay_alu instid0(SALU_CYCLE_1)
	s_add_u32 s24, s18, s24
	s_addc_u32 s25, s19, s25
	s_waitcnt lgkmcnt(0)
	global_store_b64 v4, v[1:2], s[24:25]
.LBB168_48:
	s_or_b32 exec_lo, exec_lo, s22
	v_xad_u32 v2, v53, -1, s20
	s_mov_b32 s23, 0
	s_mov_b32 s22, exec_lo
	s_delay_alu instid0(VALU_DEP_1) | instskip(NEXT) | instid1(VALU_DEP_1)
	v_add_nc_u32_e32 v3, 32, v2
	v_lshlrev_b64 v[3:4], 3, v[3:4]
	s_delay_alu instid0(VALU_DEP_1) | instskip(NEXT) | instid1(VALU_DEP_2)
	v_add_co_u32 v6, vcc_lo, s18, v3
	v_add_co_ci_u32_e32 v7, vcc_lo, s19, v4, vcc_lo
	global_load_b64 v[4:5], v[6:7], off glc
	s_waitcnt vmcnt(0)
	v_and_b32_e32 v3, 0xff, v5
	s_delay_alu instid0(VALU_DEP_1)
	v_cmpx_eq_u16_e32 0, v3
	s_cbranch_execz .LBB168_54
; %bb.49:
	s_mov_b32 s24, 1
	.p2align	6
.LBB168_50:                             ; =>This Loop Header: Depth=1
                                        ;     Child Loop BB168_51 Depth 2
	s_delay_alu instid0(SALU_CYCLE_1)
	s_max_u32 s25, s24, 1
.LBB168_51:                             ;   Parent Loop BB168_50 Depth=1
                                        ; =>  This Inner Loop Header: Depth=2
	s_delay_alu instid0(SALU_CYCLE_1)
	s_add_i32 s25, s25, -1
	s_sleep 1
	s_cmp_eq_u32 s25, 0
	s_cbranch_scc0 .LBB168_51
; %bb.52:                               ;   in Loop: Header=BB168_50 Depth=1
	global_load_b64 v[4:5], v[6:7], off glc
	s_cmp_lt_u32 s24, 32
	s_cselect_b32 s25, -1, 0
	s_delay_alu instid0(SALU_CYCLE_1) | instskip(SKIP_3) | instid1(VALU_DEP_1)
	s_cmp_lg_u32 s25, 0
	s_addc_u32 s24, s24, 0
	s_waitcnt vmcnt(0)
	v_and_b32_e32 v3, 0xff, v5
	v_cmp_ne_u16_e32 vcc_lo, 0, v3
	s_or_b32 s23, vcc_lo, s23
	s_delay_alu instid0(SALU_CYCLE_1)
	s_and_not1_b32 exec_lo, exec_lo, s23
	s_cbranch_execnz .LBB168_50
; %bb.53:
	s_or_b32 exec_lo, exec_lo, s23
.LBB168_54:
	s_delay_alu instid0(SALU_CYCLE_1)
	s_or_b32 exec_lo, exec_lo, s22
	v_cmp_ne_u32_e32 vcc_lo, 31, v53
	v_lshlrev_b32_e64 v11, v53, -1
	v_add_nc_u32_e32 v13, 2, v53
	v_add_nc_u32_e32 v15, 4, v53
	;; [unrolled: 1-line block ×3, first 2 shown]
	v_add_co_ci_u32_e32 v3, vcc_lo, 0, v53, vcc_lo
	v_add_nc_u32_e32 v58, 16, v53
	s_delay_alu instid0(VALU_DEP_2) | instskip(SKIP_2) | instid1(VALU_DEP_1)
	v_lshlrev_b32_e32 v10, 2, v3
	ds_bpermute_b32 v6, v10, v4
	v_and_b32_e32 v3, 0xff, v5
	v_cmp_eq_u16_e32 vcc_lo, 2, v3
	v_and_or_b32 v3, vcc_lo, v11, 0x80000000
	v_cmp_gt_u32_e32 vcc_lo, 30, v53
	s_delay_alu instid0(VALU_DEP_2) | instskip(SKIP_1) | instid1(VALU_DEP_2)
	v_ctz_i32_b32_e32 v3, v3
	v_cndmask_b32_e64 v7, 0, 1, vcc_lo
	v_cmp_lt_u32_e32 vcc_lo, v53, v3
	s_waitcnt lgkmcnt(0)
	s_delay_alu instid0(VALU_DEP_2) | instskip(NEXT) | instid1(VALU_DEP_1)
	v_dual_cndmask_b32 v6, 0, v6 :: v_dual_lshlrev_b32 v7, 1, v7
	v_add_lshl_u32 v12, v7, v53, 2
	v_cmp_gt_u32_e32 vcc_lo, 28, v53
	s_delay_alu instid0(VALU_DEP_3) | instskip(SKIP_4) | instid1(VALU_DEP_1)
	v_add_nc_u32_e32 v4, v6, v4
	v_cndmask_b32_e64 v7, 0, 1, vcc_lo
	v_cmp_le_u32_e32 vcc_lo, v13, v3
	ds_bpermute_b32 v6, v12, v4
	v_lshlrev_b32_e32 v7, 2, v7
	v_add_lshl_u32 v14, v7, v53, 2
	s_waitcnt lgkmcnt(0)
	v_cndmask_b32_e32 v6, 0, v6, vcc_lo
	v_cmp_gt_u32_e32 vcc_lo, 24, v53
	s_delay_alu instid0(VALU_DEP_2) | instskip(SKIP_4) | instid1(VALU_DEP_1)
	v_add_nc_u32_e32 v4, v4, v6
	v_cndmask_b32_e64 v7, 0, 1, vcc_lo
	v_cmp_le_u32_e32 vcc_lo, v15, v3
	ds_bpermute_b32 v6, v14, v4
	v_lshlrev_b32_e32 v7, 3, v7
	v_add_lshl_u32 v17, v7, v53, 2
	s_waitcnt lgkmcnt(0)
	v_cndmask_b32_e32 v6, 0, v6, vcc_lo
	v_cmp_gt_u32_e32 vcc_lo, 16, v53
	s_delay_alu instid0(VALU_DEP_2) | instskip(SKIP_4) | instid1(VALU_DEP_1)
	v_add_nc_u32_e32 v4, v4, v6
	v_cndmask_b32_e64 v7, 0, 1, vcc_lo
	v_cmp_le_u32_e32 vcc_lo, v56, v3
	ds_bpermute_b32 v6, v17, v4
	v_lshlrev_b32_e32 v7, 4, v7
	v_add_lshl_u32 v57, v7, v53, 2
	s_waitcnt lgkmcnt(0)
	v_cndmask_b32_e32 v6, 0, v6, vcc_lo
	v_cmp_le_u32_e32 vcc_lo, v58, v3
	s_delay_alu instid0(VALU_DEP_2) | instskip(SKIP_3) | instid1(VALU_DEP_1)
	v_add_nc_u32_e32 v4, v4, v6
	ds_bpermute_b32 v6, v57, v4
	s_waitcnt lgkmcnt(0)
	v_cndmask_b32_e32 v3, 0, v6, vcc_lo
	v_dual_mov_b32 v3, 0 :: v_dual_add_nc_u32 v4, v4, v3
	s_branch .LBB168_56
.LBB168_55:                             ;   in Loop: Header=BB168_56 Depth=1
	s_or_b32 exec_lo, exec_lo, s22
	ds_bpermute_b32 v7, v10, v4
	v_and_b32_e32 v6, 0xff, v5
	v_subrev_nc_u32_e32 v2, 32, v2
	s_delay_alu instid0(VALU_DEP_2) | instskip(SKIP_1) | instid1(VALU_DEP_1)
	v_cmp_eq_u16_e32 vcc_lo, 2, v6
	v_and_or_b32 v6, vcc_lo, v11, 0x80000000
	v_ctz_i32_b32_e32 v6, v6
	s_delay_alu instid0(VALU_DEP_1) | instskip(SKIP_3) | instid1(VALU_DEP_2)
	v_cmp_lt_u32_e32 vcc_lo, v53, v6
	s_waitcnt lgkmcnt(0)
	v_cndmask_b32_e32 v7, 0, v7, vcc_lo
	v_cmp_le_u32_e32 vcc_lo, v13, v6
	v_add_nc_u32_e32 v4, v7, v4
	ds_bpermute_b32 v7, v12, v4
	s_waitcnt lgkmcnt(0)
	v_cndmask_b32_e32 v7, 0, v7, vcc_lo
	v_cmp_le_u32_e32 vcc_lo, v15, v6
	s_delay_alu instid0(VALU_DEP_2) | instskip(SKIP_4) | instid1(VALU_DEP_2)
	v_add_nc_u32_e32 v4, v4, v7
	ds_bpermute_b32 v7, v14, v4
	s_waitcnt lgkmcnt(0)
	v_cndmask_b32_e32 v7, 0, v7, vcc_lo
	v_cmp_le_u32_e32 vcc_lo, v56, v6
	v_add_nc_u32_e32 v4, v4, v7
	ds_bpermute_b32 v7, v17, v4
	s_waitcnt lgkmcnt(0)
	v_cndmask_b32_e32 v7, 0, v7, vcc_lo
	v_cmp_le_u32_e32 vcc_lo, v58, v6
	s_delay_alu instid0(VALU_DEP_2) | instskip(SKIP_3) | instid1(VALU_DEP_1)
	v_add_nc_u32_e32 v4, v4, v7
	ds_bpermute_b32 v7, v57, v4
	s_waitcnt lgkmcnt(0)
	v_cndmask_b32_e32 v6, 0, v7, vcc_lo
	v_add3_u32 v4, v6, v16, v4
.LBB168_56:                             ; =>This Loop Header: Depth=1
                                        ;     Child Loop BB168_59 Depth 2
                                        ;       Child Loop BB168_60 Depth 3
	s_delay_alu instid0(VALU_DEP_1) | instskip(NEXT) | instid1(VALU_DEP_1)
	v_dual_mov_b32 v16, v4 :: v_dual_and_b32 v5, 0xff, v5
	v_cmp_ne_u16_e32 vcc_lo, 2, v5
	v_cndmask_b32_e64 v5, 0, 1, vcc_lo
	;;#ASMSTART
	;;#ASMEND
	s_delay_alu instid0(VALU_DEP_1)
	v_cmp_ne_u32_e32 vcc_lo, 0, v5
	s_cmp_lg_u32 vcc_lo, exec_lo
	s_cbranch_scc1 .LBB168_63
; %bb.57:                               ;   in Loop: Header=BB168_56 Depth=1
	v_lshlrev_b64 v[4:5], 3, v[2:3]
	s_mov_b32 s22, exec_lo
	s_delay_alu instid0(VALU_DEP_1) | instskip(NEXT) | instid1(VALU_DEP_2)
	v_add_co_u32 v6, vcc_lo, s18, v4
	v_add_co_ci_u32_e32 v7, vcc_lo, s19, v5, vcc_lo
	global_load_b64 v[4:5], v[6:7], off glc
	s_waitcnt vmcnt(0)
	v_and_b32_e32 v59, 0xff, v5
	s_delay_alu instid0(VALU_DEP_1)
	v_cmpx_eq_u16_e32 0, v59
	s_cbranch_execz .LBB168_55
; %bb.58:                               ;   in Loop: Header=BB168_56 Depth=1
	s_mov_b32 s24, 1
	s_mov_b32 s23, 0
	.p2align	6
.LBB168_59:                             ;   Parent Loop BB168_56 Depth=1
                                        ; =>  This Loop Header: Depth=2
                                        ;       Child Loop BB168_60 Depth 3
	s_max_u32 s25, s24, 1
.LBB168_60:                             ;   Parent Loop BB168_56 Depth=1
                                        ;     Parent Loop BB168_59 Depth=2
                                        ; =>    This Inner Loop Header: Depth=3
	s_delay_alu instid0(SALU_CYCLE_1)
	s_add_i32 s25, s25, -1
	s_sleep 1
	s_cmp_eq_u32 s25, 0
	s_cbranch_scc0 .LBB168_60
; %bb.61:                               ;   in Loop: Header=BB168_59 Depth=2
	global_load_b64 v[4:5], v[6:7], off glc
	s_cmp_lt_u32 s24, 32
	s_cselect_b32 s25, -1, 0
	s_delay_alu instid0(SALU_CYCLE_1) | instskip(SKIP_3) | instid1(VALU_DEP_1)
	s_cmp_lg_u32 s25, 0
	s_addc_u32 s24, s24, 0
	s_waitcnt vmcnt(0)
	v_and_b32_e32 v59, 0xff, v5
	v_cmp_ne_u16_e32 vcc_lo, 0, v59
	s_or_b32 s23, vcc_lo, s23
	s_delay_alu instid0(SALU_CYCLE_1)
	s_and_not1_b32 exec_lo, exec_lo, s23
	s_cbranch_execnz .LBB168_59
; %bb.62:                               ;   in Loop: Header=BB168_56 Depth=1
	s_or_b32 exec_lo, exec_lo, s23
	s_branch .LBB168_55
.LBB168_63:                             ;   in Loop: Header=BB168_56 Depth=1
                                        ; implicit-def: $vgpr4
                                        ; implicit-def: $vgpr5
	s_cbranch_execz .LBB168_56
; %bb.64:
	s_and_saveexec_b32 s22, s7
	s_cbranch_execz .LBB168_66
; %bb.65:
	s_add_i32 s24, s20, 32
	s_mov_b32 s25, 0
	v_dual_mov_b32 v3, 2 :: v_dual_add_nc_u32 v2, v16, v1
	s_lshl_b64 s[24:25], s[24:25], 3
	v_mov_b32_e32 v4, 0
	v_add_nc_u32_e64 v5, 0x3400, 0
	s_add_u32 s24, s18, s24
	s_addc_u32 s25, s19, s25
	global_store_b64 v4, v[2:3], s[24:25]
	ds_store_2addr_b32 v5, v1, v16 offset1:2
.LBB168_66:
	s_or_b32 exec_lo, exec_lo, s22
	s_delay_alu instid0(SALU_CYCLE_1)
	s_and_b32 exec_lo, exec_lo, s2
	s_cbranch_execz .LBB168_68
; %bb.67:
	v_mov_b32_e32 v1, 0
	ds_store_b32 v1, v16 offset:28
.LBB168_68:
	s_or_b32 exec_lo, exec_lo, s21
	v_mov_b32_e32 v1, 0
	s_waitcnt lgkmcnt(0)
	s_waitcnt_vscnt null, 0x0
	s_barrier
	buffer_gl0_inv
	v_cndmask_b32_e64 v2, v9, v8, s7
	ds_load_b32 v1, v1 offset:28
	v_add_nc_u32_e64 v11, 0x3400, 0
	s_waitcnt lgkmcnt(0)
	s_barrier
	v_cndmask_b32_e64 v2, v2, 0, s2
	buffer_gl0_inv
	ds_load_2addr_b32 v[16:17], v11 offset1:2
	v_add_nc_u32_e32 v1, v1, v2
	s_delay_alu instid0(VALU_DEP_1) | instskip(NEXT) | instid1(VALU_DEP_1)
	v_add_nc_u32_e32 v2, v1, v44
	v_add_nc_u32_e32 v3, v2, v45
	s_delay_alu instid0(VALU_DEP_1) | instskip(NEXT) | instid1(VALU_DEP_1)
	v_add_nc_u32_e32 v4, v3, v46
	v_add_nc_u32_e32 v5, v4, v43
	s_delay_alu instid0(VALU_DEP_1) | instskip(NEXT) | instid1(VALU_DEP_1)
	v_add_nc_u32_e32 v6, v5, v47
	v_add_nc_u32_e32 v7, v6, v48
	s_delay_alu instid0(VALU_DEP_1) | instskip(NEXT) | instid1(VALU_DEP_1)
	v_add_nc_u32_e32 v8, v7, v49
	v_add_nc_u32_e32 v9, v8, v41
	s_delay_alu instid0(VALU_DEP_1) | instskip(NEXT) | instid1(VALU_DEP_1)
	v_add_nc_u32_e32 v10, v9, v50
	v_add_nc_u32_e32 v11, v10, v51
	s_delay_alu instid0(VALU_DEP_1) | instskip(NEXT) | instid1(VALU_DEP_1)
	v_add_nc_u32_e32 v12, v11, v52
	v_add_nc_u32_e32 v13, v12, v39
	s_branch .LBB168_79
.LBB168_69:
                                        ; implicit-def: $vgpr17
                                        ; implicit-def: $vgpr1_vgpr2_vgpr3_vgpr4_vgpr5_vgpr6_vgpr7_vgpr8_vgpr9_vgpr10_vgpr11_vgpr12_vgpr13_vgpr14_vgpr15_vgpr16
	s_and_b32 vcc_lo, exec_lo, s7
	s_cbranch_vccz .LBB168_79
; %bb.70:
	s_delay_alu instid0(VALU_DEP_1) | instskip(NEXT) | instid1(VALU_DEP_1)
	v_mov_b32_dpp v1, v55 row_shr:1 row_mask:0xf bank_mask:0xf
	v_cndmask_b32_e64 v1, v1, 0, s6
	s_delay_alu instid0(VALU_DEP_1) | instskip(NEXT) | instid1(VALU_DEP_1)
	v_add_nc_u32_e32 v1, v1, v55
	v_mov_b32_dpp v2, v1 row_shr:2 row_mask:0xf bank_mask:0xf
	s_delay_alu instid0(VALU_DEP_1) | instskip(NEXT) | instid1(VALU_DEP_1)
	v_cndmask_b32_e64 v2, 0, v2, s5
	v_add_nc_u32_e32 v1, v1, v2
	s_delay_alu instid0(VALU_DEP_1) | instskip(NEXT) | instid1(VALU_DEP_1)
	v_mov_b32_dpp v2, v1 row_shr:4 row_mask:0xf bank_mask:0xf
	v_cndmask_b32_e64 v2, 0, v2, s4
	s_delay_alu instid0(VALU_DEP_1) | instskip(NEXT) | instid1(VALU_DEP_1)
	v_add_nc_u32_e32 v1, v1, v2
	v_mov_b32_dpp v2, v1 row_shr:8 row_mask:0xf bank_mask:0xf
	s_delay_alu instid0(VALU_DEP_1) | instskip(NEXT) | instid1(VALU_DEP_1)
	v_cndmask_b32_e64 v2, 0, v2, s3
	v_add_nc_u32_e32 v1, v1, v2
	ds_swizzle_b32 v2, v1 offset:swizzle(BROADCAST,32,15)
	s_waitcnt lgkmcnt(0)
	v_cndmask_b32_e64 v2, v2, 0, s1
	s_delay_alu instid0(VALU_DEP_1)
	v_add_nc_u32_e32 v1, v1, v2
	s_and_saveexec_b32 s1, s0
	s_cbranch_execz .LBB168_72
; %bb.71:
	v_lshlrev_b32_e32 v2, 2, v54
	ds_store_b32 v2, v1
.LBB168_72:
	s_or_b32 exec_lo, exec_lo, s1
	s_delay_alu instid0(SALU_CYCLE_1)
	s_mov_b32 s0, exec_lo
	s_waitcnt lgkmcnt(0)
	s_barrier
	buffer_gl0_inv
	v_cmpx_gt_u32_e32 8, v0
	s_cbranch_execz .LBB168_74
; %bb.73:
	ds_load_b32 v2, v33
	s_waitcnt lgkmcnt(0)
	v_mov_b32_dpp v4, v2 row_shr:1 row_mask:0xf bank_mask:0xf
	v_and_b32_e32 v3, 7, v53
	s_delay_alu instid0(VALU_DEP_1) | instskip(NEXT) | instid1(VALU_DEP_3)
	v_cmp_ne_u32_e32 vcc_lo, 0, v3
	v_cndmask_b32_e32 v4, 0, v4, vcc_lo
	v_cmp_lt_u32_e32 vcc_lo, 1, v3
	s_delay_alu instid0(VALU_DEP_2) | instskip(NEXT) | instid1(VALU_DEP_1)
	v_add_nc_u32_e32 v2, v4, v2
	v_mov_b32_dpp v4, v2 row_shr:2 row_mask:0xf bank_mask:0xf
	s_delay_alu instid0(VALU_DEP_1) | instskip(SKIP_1) | instid1(VALU_DEP_2)
	v_cndmask_b32_e32 v4, 0, v4, vcc_lo
	v_cmp_lt_u32_e32 vcc_lo, 3, v3
	v_add_nc_u32_e32 v2, v2, v4
	s_delay_alu instid0(VALU_DEP_1) | instskip(NEXT) | instid1(VALU_DEP_1)
	v_mov_b32_dpp v4, v2 row_shr:4 row_mask:0xf bank_mask:0xf
	v_cndmask_b32_e32 v3, 0, v4, vcc_lo
	s_delay_alu instid0(VALU_DEP_1)
	v_add_nc_u32_e32 v2, v2, v3
	ds_store_b32 v33, v2
.LBB168_74:
	s_or_b32 exec_lo, exec_lo, s0
	v_dual_mov_b32 v3, 0 :: v_dual_mov_b32 v2, 0
	s_mov_b32 s0, exec_lo
	s_waitcnt lgkmcnt(0)
	s_barrier
	buffer_gl0_inv
	v_cmpx_lt_u32_e32 31, v0
	s_cbranch_execz .LBB168_76
; %bb.75:
	v_lshl_add_u32 v2, v54, 2, -4
	ds_load_b32 v2, v2
.LBB168_76:
	s_or_b32 exec_lo, exec_lo, s0
	v_add_nc_u32_e32 v4, -1, v53
	s_waitcnt lgkmcnt(0)
	v_add_nc_u32_e32 v1, v2, v1
	ds_load_b32 v16, v3 offset:28
	v_cmp_gt_i32_e32 vcc_lo, 0, v4
	v_cndmask_b32_e32 v4, v4, v53, vcc_lo
	s_delay_alu instid0(VALU_DEP_1)
	v_lshlrev_b32_e32 v4, 2, v4
	ds_bpermute_b32 v1, v4, v1
	s_and_saveexec_b32 s0, s2
	s_cbranch_execz .LBB168_78
; %bb.77:
	v_mov_b32_e32 v3, 0
	v_mov_b32_e32 v17, 2
	s_waitcnt lgkmcnt(1)
	global_store_b64 v3, v[16:17], s[18:19] offset:256
.LBB168_78:
	s_or_b32 exec_lo, exec_lo, s0
	v_cmp_eq_u32_e32 vcc_lo, 0, v53
	s_waitcnt lgkmcnt(0)
	s_waitcnt_vscnt null, 0x0
	s_barrier
	buffer_gl0_inv
	v_mov_b32_e32 v17, 0
	v_cndmask_b32_e32 v1, v1, v2, vcc_lo
	s_delay_alu instid0(VALU_DEP_1) | instskip(NEXT) | instid1(VALU_DEP_1)
	v_cndmask_b32_e64 v1, v1, 0, s2
	v_add_nc_u32_e32 v2, v1, v44
	s_delay_alu instid0(VALU_DEP_1) | instskip(NEXT) | instid1(VALU_DEP_1)
	v_add_nc_u32_e32 v3, v2, v45
	v_add_nc_u32_e32 v4, v3, v46
	s_delay_alu instid0(VALU_DEP_1) | instskip(NEXT) | instid1(VALU_DEP_1)
	v_add_nc_u32_e32 v5, v4, v43
	;; [unrolled: 3-line block ×5, first 2 shown]
	v_add_nc_u32_e32 v12, v11, v52
	s_delay_alu instid0(VALU_DEP_1)
	v_add_nc_u32_e32 v13, v12, v39
.LBB168_79:
	s_waitcnt lgkmcnt(0)
	v_sub_nc_u32_e32 v1, v1, v17
	v_sub_nc_u32_e32 v2, v2, v17
	v_add_nc_u32_e32 v36, v16, v36
	v_lshrrev_b32_e32 v47, 8, v42
	v_lshrrev_b32_e32 v46, 16, v42
	v_sub_nc_u32_e32 v4, v4, v17
	v_sub_nc_u32_e32 v3, v3, v17
	;; [unrolled: 1-line block ×3, first 2 shown]
	v_and_b32_e32 v42, 1, v42
	v_and_b32_e32 v47, 1, v47
	;; [unrolled: 1-line block ×3, first 2 shown]
	v_lshrrev_b32_e32 v45, 8, v40
	v_lshrrev_b32_e32 v44, 16, v40
	v_cmp_eq_u32_e32 vcc_lo, 1, v42
	v_and_b32_e32 v42, 1, v46
	v_sub_nc_u32_e32 v46, v36, v2
	v_lshrrev_b32_e32 v15, 8, v38
	v_lshrrev_b32_e32 v14, 16, v38
	v_cndmask_b32_e32 v1, v48, v1, vcc_lo
	v_cmp_eq_u32_e32 vcc_lo, 1, v47
	v_add_nc_u32_e32 v46, 1, v46
	s_delay_alu instid0(VALU_DEP_3)
	v_lshlrev_b32_e32 v1, 2, v1
	ds_store_b32 v1, v30
	v_cndmask_b32_e32 v1, v46, v2, vcc_lo
	v_sub_nc_u32_e32 v48, v36, v3
	v_sub_nc_u32_e32 v49, v36, v4
	v_cmp_eq_u32_e32 vcc_lo, 1, v42
	v_or_b32_e32 v30, 0x300, v0
	v_lshlrev_b32_e32 v1, 2, v1
	v_add_nc_u32_e32 v48, 2, v48
	v_add_nc_u32_e32 v49, 3, v49
	ds_store_b32 v1, v31
	v_cndmask_b32_e32 v2, v48, v3, vcc_lo
	v_cmp_eq_u32_e32 vcc_lo, 1, v43
	v_or_b32_e32 v31, 0x200, v0
	s_delay_alu instid0(VALU_DEP_3) | instskip(SKIP_2) | instid1(VALU_DEP_3)
	v_dual_cndmask_b32 v3, v49, v4 :: v_dual_lshlrev_b32 v2, 2, v2
	v_sub_nc_u32_e32 v4, v5, v17
	v_sub_nc_u32_e32 v5, v6, v17
	v_lshlrev_b32_e32 v3, 2, v3
	s_delay_alu instid0(VALU_DEP_3) | instskip(NEXT) | instid1(VALU_DEP_3)
	v_sub_nc_u32_e32 v1, v36, v4
	v_sub_nc_u32_e32 v6, v36, v5
	ds_store_b32 v2, v28
	ds_store_b32 v3, v29
	v_and_b32_e32 v2, 1, v40
	v_add_nc_u32_e32 v1, 4, v1
	v_add_nc_u32_e32 v3, 5, v6
	v_sub_nc_u32_e32 v6, v7, v17
	v_and_b32_e32 v7, 1, v45
	v_cmp_eq_u32_e32 vcc_lo, 1, v2
	v_sub_nc_u32_e32 v2, v8, v17
	v_and_b32_e32 v8, 1, v41
	v_or_b32_e32 v29, 0x400, v0
	v_or_b32_e32 v28, 0x500, v0
	v_cndmask_b32_e32 v1, v1, v4, vcc_lo
	v_sub_nc_u32_e32 v4, v36, v6
	v_cmp_eq_u32_e32 vcc_lo, 1, v7
	v_and_b32_e32 v7, 1, v44
	s_delay_alu instid0(VALU_DEP_4) | instskip(NEXT) | instid1(VALU_DEP_4)
	v_lshlrev_b32_e32 v1, 2, v1
	v_dual_cndmask_b32 v3, v3, v5 :: v_dual_add_nc_u32 v4, 6, v4
	v_sub_nc_u32_e32 v5, v36, v2
	s_delay_alu instid0(VALU_DEP_4) | instskip(SKIP_2) | instid1(VALU_DEP_4)
	v_cmp_eq_u32_e32 vcc_lo, 1, v7
	v_sub_nc_u32_e32 v7, v13, v17
	v_add_co_u32 v13, s0, s16, v32
	v_dual_cndmask_b32 v4, v4, v6 :: v_dual_add_nc_u32 v5, 7, v5
	v_cmp_eq_u32_e32 vcc_lo, 1, v8
	v_sub_nc_u32_e32 v6, v9, v17
	v_lshlrev_b32_e32 v3, 2, v3
	ds_store_b32 v1, v26
	ds_store_b32 v3, v27
	v_cndmask_b32_e32 v2, v5, v2, vcc_lo
	v_sub_nc_u32_e32 v1, v36, v6
	v_lshlrev_b32_e32 v3, 2, v4
	v_and_b32_e32 v5, 1, v38
	v_sub_nc_u32_e32 v4, v10, v17
	v_lshlrev_b32_e32 v2, 2, v2
	v_add_nc_u32_e32 v1, 8, v1
	ds_store_b32 v3, v24
	ds_store_b32 v2, v25
	v_cmp_eq_u32_e32 vcc_lo, 1, v5
	v_sub_nc_u32_e32 v3, v11, v17
	v_sub_nc_u32_e32 v2, v36, v4
	;; [unrolled: 1-line block ×3, first 2 shown]
	v_dual_cndmask_b32 v1, v1, v6 :: v_dual_and_b32 v10, 1, v39
	v_and_b32_e32 v6, 1, v15
	v_sub_nc_u32_e32 v8, v36, v3
	v_add_nc_u32_e32 v2, 9, v2
	v_sub_nc_u32_e32 v9, v36, v5
	v_and_b32_e32 v11, 1, v37
	v_cmp_eq_u32_e32 vcc_lo, 1, v6
	v_add_nc_u32_e32 v6, 10, v8
	v_and_b32_e32 v8, 1, v14
	v_add_nc_u32_e32 v9, 11, v9
	v_dual_cndmask_b32 v2, v2, v4 :: v_dual_lshlrev_b32 v1, 2, v1
	v_sub_nc_u32_e32 v4, v36, v7
	s_delay_alu instid0(VALU_DEP_4) | instskip(SKIP_1) | instid1(VALU_DEP_4)
	v_cmp_eq_u32_e32 vcc_lo, 1, v8
	v_add_co_ci_u32_e64 v14, null, s17, 0, s0
	v_lshlrev_b32_e32 v2, 2, v2
	s_delay_alu instid0(VALU_DEP_4)
	v_dual_cndmask_b32 v3, v6, v3 :: v_dual_add_nc_u32 v4, 12, v4
	v_cmp_eq_u32_e32 vcc_lo, 1, v10
	v_or_b32_e32 v27, 0x600, v0
	v_or_b32_e32 v26, 0x700, v0
	;; [unrolled: 1-line block ×3, first 2 shown]
	v_lshlrev_b32_e32 v3, 2, v3
	v_cndmask_b32_e32 v5, v9, v5, vcc_lo
	v_cmp_eq_u32_e32 vcc_lo, 1, v11
	v_or_b32_e32 v24, 0x900, v0
	s_delay_alu instid0(VALU_DEP_3) | instskip(SKIP_2) | instid1(VALU_DEP_3)
	v_dual_cndmask_b32 v4, v4, v7 :: v_dual_lshlrev_b32 v5, 2, v5
	v_sub_co_u32 v13, vcc_lo, s14, v13
	v_sub_co_ci_u32_e32 v14, vcc_lo, s15, v14, vcc_lo
	v_lshlrev_b32_e32 v4, 2, v4
	ds_store_b32 v1, v22
	ds_store_b32 v2, v23
	;; [unrolled: 1-line block ×5, first 2 shown]
	s_waitcnt lgkmcnt(0)
	s_barrier
	buffer_gl0_inv
	ds_load_2addr_stride64_b32 v[11:12], v33 offset1:4
	ds_load_2addr_stride64_b32 v[9:10], v33 offset0:8 offset1:12
	ds_load_2addr_stride64_b32 v[7:8], v33 offset0:16 offset1:20
	;; [unrolled: 1-line block ×5, first 2 shown]
	ds_load_b32 v20, v33 offset:12288
	v_add_co_u32 v15, vcc_lo, v18, v17
	v_add_co_ci_u32_e32 v17, vcc_lo, 0, v19, vcc_lo
	v_add_co_u32 v13, vcc_lo, v13, v16
	v_add_co_ci_u32_e32 v14, vcc_lo, 0, v14, vcc_lo
	v_cmp_ne_u32_e32 vcc_lo, 1, v34
	s_delay_alu instid0(VALU_DEP_3)
	v_add_co_u32 v18, s0, v13, v15
	v_or_b32_e32 v35, 0x100, v0
	v_or_b32_e32 v23, 0xa00, v0
	;; [unrolled: 1-line block ×4, first 2 shown]
	v_add_co_ci_u32_e64 v19, s0, v14, v17, s0
	s_mov_b32 s0, 0
	s_cbranch_vccnz .LBB168_136
; %bb.80:
	s_mov_b32 s0, exec_lo
                                        ; implicit-def: $vgpr13_vgpr14
	v_cmpx_ge_u32_e64 v0, v16
	s_xor_b32 s0, exec_lo, s0
; %bb.81:
	v_not_b32_e32 v13, v0
	s_delay_alu instid0(VALU_DEP_1) | instskip(SKIP_1) | instid1(VALU_DEP_2)
	v_ashrrev_i32_e32 v14, 31, v13
	v_add_co_u32 v13, vcc_lo, v18, v13
	v_add_co_ci_u32_e32 v14, vcc_lo, v19, v14, vcc_lo
; %bb.82:
	s_and_not1_saveexec_b32 s0, s0
; %bb.83:
	v_add_co_u32 v13, vcc_lo, v15, v0
	v_add_co_ci_u32_e32 v14, vcc_lo, 0, v17, vcc_lo
; %bb.84:
	s_or_b32 exec_lo, exec_lo, s0
	s_delay_alu instid0(VALU_DEP_1) | instskip(SKIP_1) | instid1(VALU_DEP_1)
	v_lshlrev_b64 v[13:14], 2, v[13:14]
	s_mov_b32 s0, exec_lo
	v_add_co_u32 v13, vcc_lo, s12, v13
	s_delay_alu instid0(VALU_DEP_2)
	v_add_co_ci_u32_e32 v14, vcc_lo, s13, v14, vcc_lo
	s_waitcnt lgkmcnt(6)
	global_store_b32 v[13:14], v11, off
                                        ; implicit-def: $vgpr13_vgpr14
	v_cmpx_ge_u32_e64 v35, v16
	s_xor_b32 s0, exec_lo, s0
; %bb.85:
	v_xor_b32_e32 v13, 0xfffffeff, v0
	s_delay_alu instid0(VALU_DEP_1) | instskip(SKIP_1) | instid1(VALU_DEP_2)
	v_ashrrev_i32_e32 v14, 31, v13
	v_add_co_u32 v13, vcc_lo, v18, v13
	v_add_co_ci_u32_e32 v14, vcc_lo, v19, v14, vcc_lo
; %bb.86:
	s_and_not1_saveexec_b32 s0, s0
; %bb.87:
	v_add_co_u32 v13, vcc_lo, v15, v35
	v_add_co_ci_u32_e32 v14, vcc_lo, 0, v17, vcc_lo
; %bb.88:
	s_or_b32 exec_lo, exec_lo, s0
	s_delay_alu instid0(VALU_DEP_1) | instskip(SKIP_1) | instid1(VALU_DEP_1)
	v_lshlrev_b64 v[13:14], 2, v[13:14]
	s_mov_b32 s0, exec_lo
	v_add_co_u32 v13, vcc_lo, s12, v13
	s_delay_alu instid0(VALU_DEP_2)
	v_add_co_ci_u32_e32 v14, vcc_lo, s13, v14, vcc_lo
	global_store_b32 v[13:14], v12, off
                                        ; implicit-def: $vgpr13_vgpr14
	v_cmpx_ge_u32_e64 v31, v16
	s_xor_b32 s0, exec_lo, s0
; %bb.89:
	v_xor_b32_e32 v13, 0xfffffdff, v0
	s_delay_alu instid0(VALU_DEP_1) | instskip(SKIP_1) | instid1(VALU_DEP_2)
	v_ashrrev_i32_e32 v14, 31, v13
	v_add_co_u32 v13, vcc_lo, v18, v13
	v_add_co_ci_u32_e32 v14, vcc_lo, v19, v14, vcc_lo
; %bb.90:
	s_and_not1_saveexec_b32 s0, s0
; %bb.91:
	v_add_co_u32 v13, vcc_lo, v15, v31
	v_add_co_ci_u32_e32 v14, vcc_lo, 0, v17, vcc_lo
; %bb.92:
	s_or_b32 exec_lo, exec_lo, s0
	s_delay_alu instid0(VALU_DEP_1) | instskip(SKIP_1) | instid1(VALU_DEP_1)
	v_lshlrev_b64 v[13:14], 2, v[13:14]
	s_mov_b32 s0, exec_lo
	v_add_co_u32 v13, vcc_lo, s12, v13
	s_delay_alu instid0(VALU_DEP_2)
	v_add_co_ci_u32_e32 v14, vcc_lo, s13, v14, vcc_lo
	s_waitcnt lgkmcnt(5)
	global_store_b32 v[13:14], v9, off
                                        ; implicit-def: $vgpr13_vgpr14
	v_cmpx_ge_u32_e64 v30, v16
	s_xor_b32 s0, exec_lo, s0
; %bb.93:
	v_xor_b32_e32 v13, 0xfffffcff, v0
	s_delay_alu instid0(VALU_DEP_1) | instskip(SKIP_1) | instid1(VALU_DEP_2)
	v_ashrrev_i32_e32 v14, 31, v13
	v_add_co_u32 v13, vcc_lo, v18, v13
	v_add_co_ci_u32_e32 v14, vcc_lo, v19, v14, vcc_lo
; %bb.94:
	s_and_not1_saveexec_b32 s0, s0
; %bb.95:
	v_add_co_u32 v13, vcc_lo, v15, v30
	v_add_co_ci_u32_e32 v14, vcc_lo, 0, v17, vcc_lo
; %bb.96:
	s_or_b32 exec_lo, exec_lo, s0
	s_delay_alu instid0(VALU_DEP_1) | instskip(SKIP_1) | instid1(VALU_DEP_1)
	v_lshlrev_b64 v[13:14], 2, v[13:14]
	s_mov_b32 s0, exec_lo
	v_add_co_u32 v13, vcc_lo, s12, v13
	s_delay_alu instid0(VALU_DEP_2)
	v_add_co_ci_u32_e32 v14, vcc_lo, s13, v14, vcc_lo
	global_store_b32 v[13:14], v10, off
                                        ; implicit-def: $vgpr13_vgpr14
	v_cmpx_ge_u32_e64 v29, v16
	s_xor_b32 s0, exec_lo, s0
; %bb.97:
	v_xor_b32_e32 v13, 0xfffffbff, v0
	;; [unrolled: 47-line block ×6, first 2 shown]
	s_delay_alu instid0(VALU_DEP_1) | instskip(SKIP_1) | instid1(VALU_DEP_2)
	v_ashrrev_i32_e32 v14, 31, v13
	v_add_co_u32 v13, vcc_lo, v18, v13
	v_add_co_ci_u32_e32 v14, vcc_lo, v19, v14, vcc_lo
; %bb.130:
	s_and_not1_saveexec_b32 s0, s0
; %bb.131:
	v_add_co_u32 v13, vcc_lo, v15, v21
	v_add_co_ci_u32_e32 v14, vcc_lo, 0, v17, vcc_lo
; %bb.132:
	s_or_b32 exec_lo, exec_lo, s0
	s_mov_b32 s0, -1
.LBB168_133:
	s_delay_alu instid0(SALU_CYCLE_1)
	s_and_saveexec_b32 s1, s0
	s_cbranch_execz .LBB168_216
.LBB168_134:
	s_waitcnt lgkmcnt(1)
	v_lshlrev_b64 v[0:1], 2, v[13:14]
	s_delay_alu instid0(VALU_DEP_1) | instskip(NEXT) | instid1(VALU_DEP_2)
	v_add_co_u32 v0, vcc_lo, s12, v0
	v_add_co_ci_u32_e32 v1, vcc_lo, s13, v1, vcc_lo
	s_waitcnt lgkmcnt(0)
	global_store_b32 v[0:1], v20, off
	s_or_b32 exec_lo, exec_lo, s1
	s_and_b32 s0, s2, s10
	s_delay_alu instid0(SALU_CYCLE_1)
	s_and_saveexec_b32 s1, s0
	s_cbranch_execnz .LBB168_217
.LBB168_135:
	s_nop 0
	s_sendmsg sendmsg(MSG_DEALLOC_VGPRS)
	s_endpgm
.LBB168_136:
                                        ; implicit-def: $vgpr13_vgpr14
	s_cbranch_execz .LBB168_133
; %bb.137:
	s_mov_b32 s1, exec_lo
	v_cmpx_gt_u32_e64 s11, v0
	s_cbranch_execz .LBB168_173
; %bb.138:
	s_mov_b32 s3, exec_lo
                                        ; implicit-def: $vgpr13_vgpr14
	v_cmpx_ge_u32_e64 v0, v16
	s_xor_b32 s3, exec_lo, s3
; %bb.139:
	v_not_b32_e32 v13, v0
	s_delay_alu instid0(VALU_DEP_1) | instskip(SKIP_1) | instid1(VALU_DEP_2)
	v_ashrrev_i32_e32 v14, 31, v13
	v_add_co_u32 v13, vcc_lo, v18, v13
	v_add_co_ci_u32_e32 v14, vcc_lo, v19, v14, vcc_lo
; %bb.140:
	s_and_not1_saveexec_b32 s3, s3
; %bb.141:
	v_add_co_u32 v13, vcc_lo, v15, v0
	v_add_co_ci_u32_e32 v14, vcc_lo, 0, v17, vcc_lo
; %bb.142:
	s_or_b32 exec_lo, exec_lo, s3
	s_delay_alu instid0(VALU_DEP_1) | instskip(NEXT) | instid1(VALU_DEP_1)
	v_lshlrev_b64 v[13:14], 2, v[13:14]
	v_add_co_u32 v13, vcc_lo, s12, v13
	s_delay_alu instid0(VALU_DEP_2) | instskip(SKIP_3) | instid1(SALU_CYCLE_1)
	v_add_co_ci_u32_e32 v14, vcc_lo, s13, v14, vcc_lo
	s_waitcnt lgkmcnt(6)
	global_store_b32 v[13:14], v11, off
	s_or_b32 exec_lo, exec_lo, s1
	s_mov_b32 s1, exec_lo
	v_cmpx_gt_u32_e64 s11, v35
	s_cbranch_execnz .LBB168_174
.LBB168_143:
	s_or_b32 exec_lo, exec_lo, s1
	s_delay_alu instid0(SALU_CYCLE_1)
	s_mov_b32 s1, exec_lo
	v_cmpx_gt_u32_e64 s11, v31
	s_cbranch_execz .LBB168_179
.LBB168_144:
	s_mov_b32 s3, exec_lo
                                        ; implicit-def: $vgpr11_vgpr12
	v_cmpx_ge_u32_e64 v31, v16
	s_xor_b32 s3, exec_lo, s3
	s_cbranch_execz .LBB168_146
; %bb.145:
	s_waitcnt lgkmcnt(6)
	v_xor_b32_e32 v11, 0xfffffdff, v0
                                        ; implicit-def: $vgpr31
	s_delay_alu instid0(VALU_DEP_1) | instskip(SKIP_1) | instid1(VALU_DEP_2)
	v_ashrrev_i32_e32 v12, 31, v11
	v_add_co_u32 v11, vcc_lo, v18, v11
	v_add_co_ci_u32_e32 v12, vcc_lo, v19, v12, vcc_lo
.LBB168_146:
	s_and_not1_saveexec_b32 s3, s3
	s_cbranch_execz .LBB168_148
; %bb.147:
	s_waitcnt lgkmcnt(6)
	v_add_co_u32 v11, vcc_lo, v15, v31
	v_add_co_ci_u32_e32 v12, vcc_lo, 0, v17, vcc_lo
.LBB168_148:
	s_or_b32 exec_lo, exec_lo, s3
	s_waitcnt lgkmcnt(6)
	s_delay_alu instid0(VALU_DEP_1) | instskip(NEXT) | instid1(VALU_DEP_1)
	v_lshlrev_b64 v[11:12], 2, v[11:12]
	v_add_co_u32 v11, vcc_lo, s12, v11
	s_delay_alu instid0(VALU_DEP_2) | instskip(SKIP_3) | instid1(SALU_CYCLE_1)
	v_add_co_ci_u32_e32 v12, vcc_lo, s13, v12, vcc_lo
	s_waitcnt lgkmcnt(5)
	global_store_b32 v[11:12], v9, off
	s_or_b32 exec_lo, exec_lo, s1
	s_mov_b32 s1, exec_lo
	v_cmpx_gt_u32_e64 s11, v30
	s_cbranch_execnz .LBB168_180
.LBB168_149:
	s_or_b32 exec_lo, exec_lo, s1
	s_delay_alu instid0(SALU_CYCLE_1)
	s_mov_b32 s1, exec_lo
	v_cmpx_gt_u32_e64 s11, v29
	s_cbranch_execz .LBB168_185
.LBB168_150:
	s_mov_b32 s3, exec_lo
                                        ; implicit-def: $vgpr9_vgpr10
	v_cmpx_ge_u32_e64 v29, v16
	s_xor_b32 s3, exec_lo, s3
	s_cbranch_execz .LBB168_152
; %bb.151:
	s_waitcnt lgkmcnt(5)
	v_xor_b32_e32 v9, 0xfffffbff, v0
                                        ; implicit-def: $vgpr29
	s_delay_alu instid0(VALU_DEP_1) | instskip(SKIP_1) | instid1(VALU_DEP_2)
	v_ashrrev_i32_e32 v10, 31, v9
	v_add_co_u32 v9, vcc_lo, v18, v9
	v_add_co_ci_u32_e32 v10, vcc_lo, v19, v10, vcc_lo
.LBB168_152:
	s_and_not1_saveexec_b32 s3, s3
	s_cbranch_execz .LBB168_154
; %bb.153:
	s_waitcnt lgkmcnt(5)
	v_add_co_u32 v9, vcc_lo, v15, v29
	v_add_co_ci_u32_e32 v10, vcc_lo, 0, v17, vcc_lo
.LBB168_154:
	s_or_b32 exec_lo, exec_lo, s3
	s_waitcnt lgkmcnt(5)
	s_delay_alu instid0(VALU_DEP_1) | instskip(NEXT) | instid1(VALU_DEP_1)
	v_lshlrev_b64 v[9:10], 2, v[9:10]
	v_add_co_u32 v9, vcc_lo, s12, v9
	s_delay_alu instid0(VALU_DEP_2) | instskip(SKIP_3) | instid1(SALU_CYCLE_1)
	v_add_co_ci_u32_e32 v10, vcc_lo, s13, v10, vcc_lo
	s_waitcnt lgkmcnt(4)
	global_store_b32 v[9:10], v7, off
	s_or_b32 exec_lo, exec_lo, s1
	s_mov_b32 s1, exec_lo
	v_cmpx_gt_u32_e64 s11, v28
	s_cbranch_execnz .LBB168_186
.LBB168_155:
	s_or_b32 exec_lo, exec_lo, s1
	s_delay_alu instid0(SALU_CYCLE_1)
	s_mov_b32 s1, exec_lo
	v_cmpx_gt_u32_e64 s11, v27
	s_cbranch_execz .LBB168_191
.LBB168_156:
	s_mov_b32 s3, exec_lo
                                        ; implicit-def: $vgpr7_vgpr8
	v_cmpx_ge_u32_e64 v27, v16
	s_xor_b32 s3, exec_lo, s3
	s_cbranch_execz .LBB168_158
; %bb.157:
	s_waitcnt lgkmcnt(4)
	v_xor_b32_e32 v7, 0xfffff9ff, v0
                                        ; implicit-def: $vgpr27
	s_delay_alu instid0(VALU_DEP_1) | instskip(SKIP_1) | instid1(VALU_DEP_2)
	v_ashrrev_i32_e32 v8, 31, v7
	v_add_co_u32 v7, vcc_lo, v18, v7
	v_add_co_ci_u32_e32 v8, vcc_lo, v19, v8, vcc_lo
.LBB168_158:
	s_and_not1_saveexec_b32 s3, s3
	s_cbranch_execz .LBB168_160
; %bb.159:
	s_waitcnt lgkmcnt(4)
	v_add_co_u32 v7, vcc_lo, v15, v27
	v_add_co_ci_u32_e32 v8, vcc_lo, 0, v17, vcc_lo
.LBB168_160:
	s_or_b32 exec_lo, exec_lo, s3
	s_waitcnt lgkmcnt(4)
	s_delay_alu instid0(VALU_DEP_1) | instskip(NEXT) | instid1(VALU_DEP_1)
	v_lshlrev_b64 v[7:8], 2, v[7:8]
	v_add_co_u32 v7, vcc_lo, s12, v7
	s_delay_alu instid0(VALU_DEP_2) | instskip(SKIP_3) | instid1(SALU_CYCLE_1)
	v_add_co_ci_u32_e32 v8, vcc_lo, s13, v8, vcc_lo
	s_waitcnt lgkmcnt(3)
	global_store_b32 v[7:8], v5, off
	s_or_b32 exec_lo, exec_lo, s1
	s_mov_b32 s1, exec_lo
	v_cmpx_gt_u32_e64 s11, v26
	s_cbranch_execnz .LBB168_192
.LBB168_161:
	s_or_b32 exec_lo, exec_lo, s1
	s_delay_alu instid0(SALU_CYCLE_1)
	s_mov_b32 s1, exec_lo
	v_cmpx_gt_u32_e64 s11, v25
	s_cbranch_execz .LBB168_197
.LBB168_162:
	s_mov_b32 s3, exec_lo
                                        ; implicit-def: $vgpr5_vgpr6
	v_cmpx_ge_u32_e64 v25, v16
	s_xor_b32 s3, exec_lo, s3
	s_cbranch_execz .LBB168_164
; %bb.163:
	s_waitcnt lgkmcnt(3)
	v_xor_b32_e32 v5, 0xfffff7ff, v0
                                        ; implicit-def: $vgpr25
	s_delay_alu instid0(VALU_DEP_1) | instskip(SKIP_1) | instid1(VALU_DEP_2)
	v_ashrrev_i32_e32 v6, 31, v5
	v_add_co_u32 v5, vcc_lo, v18, v5
	v_add_co_ci_u32_e32 v6, vcc_lo, v19, v6, vcc_lo
.LBB168_164:
	s_and_not1_saveexec_b32 s3, s3
	s_cbranch_execz .LBB168_166
; %bb.165:
	s_waitcnt lgkmcnt(3)
	v_add_co_u32 v5, vcc_lo, v15, v25
	v_add_co_ci_u32_e32 v6, vcc_lo, 0, v17, vcc_lo
.LBB168_166:
	s_or_b32 exec_lo, exec_lo, s3
	s_waitcnt lgkmcnt(3)
	s_delay_alu instid0(VALU_DEP_1) | instskip(NEXT) | instid1(VALU_DEP_1)
	v_lshlrev_b64 v[5:6], 2, v[5:6]
	v_add_co_u32 v5, vcc_lo, s12, v5
	s_delay_alu instid0(VALU_DEP_2) | instskip(SKIP_3) | instid1(SALU_CYCLE_1)
	v_add_co_ci_u32_e32 v6, vcc_lo, s13, v6, vcc_lo
	s_waitcnt lgkmcnt(2)
	global_store_b32 v[5:6], v3, off
	s_or_b32 exec_lo, exec_lo, s1
	s_mov_b32 s1, exec_lo
	v_cmpx_gt_u32_e64 s11, v24
	s_cbranch_execnz .LBB168_198
.LBB168_167:
	s_or_b32 exec_lo, exec_lo, s1
	s_delay_alu instid0(SALU_CYCLE_1)
	s_mov_b32 s1, exec_lo
	v_cmpx_gt_u32_e64 s11, v23
	s_cbranch_execz .LBB168_203
.LBB168_168:
	s_mov_b32 s3, exec_lo
                                        ; implicit-def: $vgpr3_vgpr4
	v_cmpx_ge_u32_e64 v23, v16
	s_xor_b32 s3, exec_lo, s3
	s_cbranch_execz .LBB168_170
; %bb.169:
	s_waitcnt lgkmcnt(2)
	v_xor_b32_e32 v3, 0xfffff5ff, v0
                                        ; implicit-def: $vgpr23
	s_delay_alu instid0(VALU_DEP_1) | instskip(SKIP_1) | instid1(VALU_DEP_2)
	v_ashrrev_i32_e32 v4, 31, v3
	v_add_co_u32 v3, vcc_lo, v18, v3
	v_add_co_ci_u32_e32 v4, vcc_lo, v19, v4, vcc_lo
.LBB168_170:
	s_and_not1_saveexec_b32 s3, s3
	s_cbranch_execz .LBB168_172
; %bb.171:
	s_waitcnt lgkmcnt(2)
	v_add_co_u32 v3, vcc_lo, v15, v23
	v_add_co_ci_u32_e32 v4, vcc_lo, 0, v17, vcc_lo
.LBB168_172:
	s_or_b32 exec_lo, exec_lo, s3
	s_waitcnt lgkmcnt(2)
	s_delay_alu instid0(VALU_DEP_1) | instskip(NEXT) | instid1(VALU_DEP_1)
	v_lshlrev_b64 v[3:4], 2, v[3:4]
	v_add_co_u32 v3, vcc_lo, s12, v3
	s_delay_alu instid0(VALU_DEP_2) | instskip(SKIP_3) | instid1(SALU_CYCLE_1)
	v_add_co_ci_u32_e32 v4, vcc_lo, s13, v4, vcc_lo
	s_waitcnt lgkmcnt(1)
	global_store_b32 v[3:4], v1, off
	s_or_b32 exec_lo, exec_lo, s1
	s_mov_b32 s1, exec_lo
	v_cmpx_gt_u32_e64 s11, v22
	s_cbranch_execz .LBB168_209
	s_branch .LBB168_204
.LBB168_173:
	s_or_b32 exec_lo, exec_lo, s1
	s_delay_alu instid0(SALU_CYCLE_1)
	s_mov_b32 s1, exec_lo
	v_cmpx_gt_u32_e64 s11, v35
	s_cbranch_execz .LBB168_143
.LBB168_174:
	s_mov_b32 s3, exec_lo
                                        ; implicit-def: $vgpr13_vgpr14
	v_cmpx_ge_u32_e64 v35, v16
	s_xor_b32 s3, exec_lo, s3
	s_cbranch_execz .LBB168_176
; %bb.175:
	s_waitcnt lgkmcnt(6)
	v_xor_b32_e32 v11, 0xfffffeff, v0
                                        ; implicit-def: $vgpr35
	s_delay_alu instid0(VALU_DEP_1) | instskip(SKIP_1) | instid1(VALU_DEP_2)
	v_ashrrev_i32_e32 v14, 31, v11
	v_add_co_u32 v13, vcc_lo, v18, v11
	v_add_co_ci_u32_e32 v14, vcc_lo, v19, v14, vcc_lo
.LBB168_176:
	s_and_not1_saveexec_b32 s3, s3
; %bb.177:
	v_add_co_u32 v13, vcc_lo, v15, v35
	v_add_co_ci_u32_e32 v14, vcc_lo, 0, v17, vcc_lo
; %bb.178:
	s_or_b32 exec_lo, exec_lo, s3
	s_delay_alu instid0(VALU_DEP_1) | instskip(NEXT) | instid1(VALU_DEP_1)
	v_lshlrev_b64 v[13:14], 2, v[13:14]
	v_add_co_u32 v13, vcc_lo, s12, v13
	s_delay_alu instid0(VALU_DEP_2) | instskip(SKIP_3) | instid1(SALU_CYCLE_1)
	v_add_co_ci_u32_e32 v14, vcc_lo, s13, v14, vcc_lo
	s_waitcnt lgkmcnt(6)
	global_store_b32 v[13:14], v12, off
	s_or_b32 exec_lo, exec_lo, s1
	s_mov_b32 s1, exec_lo
	v_cmpx_gt_u32_e64 s11, v31
	s_cbranch_execnz .LBB168_144
.LBB168_179:
	s_or_b32 exec_lo, exec_lo, s1
	s_delay_alu instid0(SALU_CYCLE_1)
	s_mov_b32 s1, exec_lo
	v_cmpx_gt_u32_e64 s11, v30
	s_cbranch_execz .LBB168_149
.LBB168_180:
	s_mov_b32 s3, exec_lo
                                        ; implicit-def: $vgpr11_vgpr12
	v_cmpx_ge_u32_e64 v30, v16
	s_xor_b32 s3, exec_lo, s3
	s_cbranch_execz .LBB168_182
; %bb.181:
	s_waitcnt lgkmcnt(5)
	v_xor_b32_e32 v9, 0xfffffcff, v0
                                        ; implicit-def: $vgpr30
	s_delay_alu instid0(VALU_DEP_1) | instskip(SKIP_1) | instid1(VALU_DEP_2)
	v_ashrrev_i32_e32 v12, 31, v9
	v_add_co_u32 v11, vcc_lo, v18, v9
	v_add_co_ci_u32_e32 v12, vcc_lo, v19, v12, vcc_lo
.LBB168_182:
	s_and_not1_saveexec_b32 s3, s3
	s_cbranch_execz .LBB168_184
; %bb.183:
	s_waitcnt lgkmcnt(6)
	v_add_co_u32 v11, vcc_lo, v15, v30
	v_add_co_ci_u32_e32 v12, vcc_lo, 0, v17, vcc_lo
.LBB168_184:
	s_or_b32 exec_lo, exec_lo, s3
	s_waitcnt lgkmcnt(6)
	s_delay_alu instid0(VALU_DEP_1) | instskip(NEXT) | instid1(VALU_DEP_1)
	v_lshlrev_b64 v[11:12], 2, v[11:12]
	v_add_co_u32 v11, vcc_lo, s12, v11
	s_delay_alu instid0(VALU_DEP_2) | instskip(SKIP_3) | instid1(SALU_CYCLE_1)
	v_add_co_ci_u32_e32 v12, vcc_lo, s13, v12, vcc_lo
	s_waitcnt lgkmcnt(5)
	global_store_b32 v[11:12], v10, off
	s_or_b32 exec_lo, exec_lo, s1
	s_mov_b32 s1, exec_lo
	v_cmpx_gt_u32_e64 s11, v29
	s_cbranch_execnz .LBB168_150
.LBB168_185:
	s_or_b32 exec_lo, exec_lo, s1
	s_delay_alu instid0(SALU_CYCLE_1)
	s_mov_b32 s1, exec_lo
	v_cmpx_gt_u32_e64 s11, v28
	s_cbranch_execz .LBB168_155
.LBB168_186:
	s_mov_b32 s3, exec_lo
                                        ; implicit-def: $vgpr9_vgpr10
	v_cmpx_ge_u32_e64 v28, v16
	s_xor_b32 s3, exec_lo, s3
	s_cbranch_execz .LBB168_188
; %bb.187:
	s_waitcnt lgkmcnt(4)
	v_xor_b32_e32 v7, 0xfffffaff, v0
                                        ; implicit-def: $vgpr28
	s_delay_alu instid0(VALU_DEP_1) | instskip(SKIP_1) | instid1(VALU_DEP_2)
	v_ashrrev_i32_e32 v10, 31, v7
	v_add_co_u32 v9, vcc_lo, v18, v7
	v_add_co_ci_u32_e32 v10, vcc_lo, v19, v10, vcc_lo
.LBB168_188:
	s_and_not1_saveexec_b32 s3, s3
	s_cbranch_execz .LBB168_190
; %bb.189:
	s_waitcnt lgkmcnt(5)
	v_add_co_u32 v9, vcc_lo, v15, v28
	v_add_co_ci_u32_e32 v10, vcc_lo, 0, v17, vcc_lo
.LBB168_190:
	s_or_b32 exec_lo, exec_lo, s3
	s_waitcnt lgkmcnt(5)
	s_delay_alu instid0(VALU_DEP_1) | instskip(NEXT) | instid1(VALU_DEP_1)
	v_lshlrev_b64 v[9:10], 2, v[9:10]
	v_add_co_u32 v9, vcc_lo, s12, v9
	s_delay_alu instid0(VALU_DEP_2) | instskip(SKIP_3) | instid1(SALU_CYCLE_1)
	v_add_co_ci_u32_e32 v10, vcc_lo, s13, v10, vcc_lo
	s_waitcnt lgkmcnt(4)
	global_store_b32 v[9:10], v8, off
	s_or_b32 exec_lo, exec_lo, s1
	s_mov_b32 s1, exec_lo
	v_cmpx_gt_u32_e64 s11, v27
	s_cbranch_execnz .LBB168_156
.LBB168_191:
	s_or_b32 exec_lo, exec_lo, s1
	s_delay_alu instid0(SALU_CYCLE_1)
	s_mov_b32 s1, exec_lo
	v_cmpx_gt_u32_e64 s11, v26
	s_cbranch_execz .LBB168_161
.LBB168_192:
	s_mov_b32 s3, exec_lo
                                        ; implicit-def: $vgpr7_vgpr8
	v_cmpx_ge_u32_e64 v26, v16
	s_xor_b32 s3, exec_lo, s3
	s_cbranch_execz .LBB168_194
; %bb.193:
	s_waitcnt lgkmcnt(3)
	v_xor_b32_e32 v5, 0xfffff8ff, v0
                                        ; implicit-def: $vgpr26
	s_delay_alu instid0(VALU_DEP_1) | instskip(SKIP_1) | instid1(VALU_DEP_2)
	v_ashrrev_i32_e32 v8, 31, v5
	v_add_co_u32 v7, vcc_lo, v18, v5
	v_add_co_ci_u32_e32 v8, vcc_lo, v19, v8, vcc_lo
.LBB168_194:
	s_and_not1_saveexec_b32 s3, s3
	s_cbranch_execz .LBB168_196
; %bb.195:
	s_waitcnt lgkmcnt(4)
	v_add_co_u32 v7, vcc_lo, v15, v26
	v_add_co_ci_u32_e32 v8, vcc_lo, 0, v17, vcc_lo
.LBB168_196:
	s_or_b32 exec_lo, exec_lo, s3
	s_waitcnt lgkmcnt(4)
	s_delay_alu instid0(VALU_DEP_1) | instskip(NEXT) | instid1(VALU_DEP_1)
	v_lshlrev_b64 v[7:8], 2, v[7:8]
	v_add_co_u32 v7, vcc_lo, s12, v7
	s_delay_alu instid0(VALU_DEP_2) | instskip(SKIP_3) | instid1(SALU_CYCLE_1)
	v_add_co_ci_u32_e32 v8, vcc_lo, s13, v8, vcc_lo
	s_waitcnt lgkmcnt(3)
	global_store_b32 v[7:8], v6, off
	s_or_b32 exec_lo, exec_lo, s1
	s_mov_b32 s1, exec_lo
	v_cmpx_gt_u32_e64 s11, v25
	s_cbranch_execnz .LBB168_162
.LBB168_197:
	s_or_b32 exec_lo, exec_lo, s1
	s_delay_alu instid0(SALU_CYCLE_1)
	s_mov_b32 s1, exec_lo
	v_cmpx_gt_u32_e64 s11, v24
	s_cbranch_execz .LBB168_167
.LBB168_198:
	s_mov_b32 s3, exec_lo
                                        ; implicit-def: $vgpr5_vgpr6
	v_cmpx_ge_u32_e64 v24, v16
	s_xor_b32 s3, exec_lo, s3
	s_cbranch_execz .LBB168_200
; %bb.199:
	s_waitcnt lgkmcnt(2)
	v_xor_b32_e32 v3, 0xfffff6ff, v0
                                        ; implicit-def: $vgpr24
	s_delay_alu instid0(VALU_DEP_1) | instskip(SKIP_1) | instid1(VALU_DEP_2)
	v_ashrrev_i32_e32 v6, 31, v3
	v_add_co_u32 v5, vcc_lo, v18, v3
	v_add_co_ci_u32_e32 v6, vcc_lo, v19, v6, vcc_lo
.LBB168_200:
	s_and_not1_saveexec_b32 s3, s3
	s_cbranch_execz .LBB168_202
; %bb.201:
	s_waitcnt lgkmcnt(3)
	v_add_co_u32 v5, vcc_lo, v15, v24
	v_add_co_ci_u32_e32 v6, vcc_lo, 0, v17, vcc_lo
.LBB168_202:
	s_or_b32 exec_lo, exec_lo, s3
	s_waitcnt lgkmcnt(3)
	s_delay_alu instid0(VALU_DEP_1) | instskip(NEXT) | instid1(VALU_DEP_1)
	v_lshlrev_b64 v[5:6], 2, v[5:6]
	v_add_co_u32 v5, vcc_lo, s12, v5
	s_delay_alu instid0(VALU_DEP_2) | instskip(SKIP_3) | instid1(SALU_CYCLE_1)
	v_add_co_ci_u32_e32 v6, vcc_lo, s13, v6, vcc_lo
	s_waitcnt lgkmcnt(2)
	global_store_b32 v[5:6], v4, off
	s_or_b32 exec_lo, exec_lo, s1
	s_mov_b32 s1, exec_lo
	v_cmpx_gt_u32_e64 s11, v23
	s_cbranch_execnz .LBB168_168
.LBB168_203:
	s_or_b32 exec_lo, exec_lo, s1
	s_delay_alu instid0(SALU_CYCLE_1)
	s_mov_b32 s1, exec_lo
	v_cmpx_gt_u32_e64 s11, v22
	s_cbranch_execz .LBB168_209
.LBB168_204:
	s_mov_b32 s3, exec_lo
                                        ; implicit-def: $vgpr3_vgpr4
	v_cmpx_ge_u32_e64 v22, v16
	s_xor_b32 s3, exec_lo, s3
	s_cbranch_execz .LBB168_206
; %bb.205:
	s_waitcnt lgkmcnt(1)
	v_xor_b32_e32 v1, 0xfffff4ff, v0
                                        ; implicit-def: $vgpr22
	s_delay_alu instid0(VALU_DEP_1) | instskip(SKIP_1) | instid1(VALU_DEP_2)
	v_ashrrev_i32_e32 v4, 31, v1
	v_add_co_u32 v3, vcc_lo, v18, v1
	v_add_co_ci_u32_e32 v4, vcc_lo, v19, v4, vcc_lo
.LBB168_206:
	s_and_not1_saveexec_b32 s3, s3
	s_cbranch_execz .LBB168_208
; %bb.207:
	s_waitcnt lgkmcnt(2)
	v_add_co_u32 v3, vcc_lo, v15, v22
	v_add_co_ci_u32_e32 v4, vcc_lo, 0, v17, vcc_lo
.LBB168_208:
	s_or_b32 exec_lo, exec_lo, s3
	s_waitcnt lgkmcnt(2)
	s_delay_alu instid0(VALU_DEP_1) | instskip(NEXT) | instid1(VALU_DEP_1)
	v_lshlrev_b64 v[3:4], 2, v[3:4]
	v_add_co_u32 v3, vcc_lo, s12, v3
	s_delay_alu instid0(VALU_DEP_2)
	v_add_co_ci_u32_e32 v4, vcc_lo, s13, v4, vcc_lo
	s_waitcnt lgkmcnt(1)
	global_store_b32 v[3:4], v2, off
.LBB168_209:
	s_or_b32 exec_lo, exec_lo, s1
	s_delay_alu instid0(SALU_CYCLE_1)
	s_mov_b32 s1, exec_lo
                                        ; implicit-def: $vgpr13_vgpr14
	v_cmpx_gt_u32_e64 s11, v21
	s_cbranch_execz .LBB168_215
; %bb.210:
	s_mov_b32 s3, exec_lo
                                        ; implicit-def: $vgpr13_vgpr14
	v_cmpx_ge_u32_e64 v21, v16
	s_xor_b32 s3, exec_lo, s3
	s_cbranch_execz .LBB168_212
; %bb.211:
	v_xor_b32_e32 v0, 0xfffff3ff, v0
                                        ; implicit-def: $vgpr21
	s_waitcnt lgkmcnt(1)
	s_delay_alu instid0(VALU_DEP_1) | instskip(SKIP_1) | instid1(VALU_DEP_2)
	v_ashrrev_i32_e32 v1, 31, v0
	v_add_co_u32 v13, vcc_lo, v18, v0
	v_add_co_ci_u32_e32 v14, vcc_lo, v19, v1, vcc_lo
.LBB168_212:
	s_and_not1_saveexec_b32 s3, s3
; %bb.213:
	v_add_co_u32 v13, vcc_lo, v15, v21
	v_add_co_ci_u32_e32 v14, vcc_lo, 0, v17, vcc_lo
; %bb.214:
	s_or_b32 exec_lo, exec_lo, s3
	s_delay_alu instid0(SALU_CYCLE_1)
	s_or_b32 s0, s0, exec_lo
.LBB168_215:
	s_or_b32 exec_lo, exec_lo, s1
	s_and_saveexec_b32 s1, s0
	s_cbranch_execnz .LBB168_134
.LBB168_216:
	s_or_b32 exec_lo, exec_lo, s1
	s_and_b32 s0, s2, s10
	s_delay_alu instid0(SALU_CYCLE_1)
	s_and_saveexec_b32 s1, s0
	s_cbranch_execz .LBB168_135
.LBB168_217:
	v_add_co_u32 v0, vcc_lo, v15, v16
	s_waitcnt lgkmcnt(1)
	v_mov_b32_e32 v2, 0
	v_add_co_ci_u32_e32 v1, vcc_lo, 0, v17, vcc_lo
	global_store_b64 v2, v[0:1], s[8:9]
	s_nop 0
	s_sendmsg sendmsg(MSG_DEALLOC_VGPRS)
	s_endpgm
	.section	.rodata,"a",@progbits
	.p2align	6, 0x0
	.amdhsa_kernel _ZN7rocprim17ROCPRIM_400000_NS6detail17trampoline_kernelINS0_13select_configILj256ELj13ELNS0_17block_load_methodE3ELS4_3ELS4_3ELNS0_20block_scan_algorithmE0ELj4294967295EEENS1_25partition_config_selectorILNS1_17partition_subalgoE3EjNS0_10empty_typeEbEEZZNS1_14partition_implILS8_3ELb0ES6_jNS0_17counting_iteratorIjlEEPS9_SE_NS0_5tupleIJPjSE_EEENSF_IJSE_SE_EEES9_SG_JZNS1_25segmented_radix_sort_implINS0_14default_configELb0EPKhPhPKlPlN2at6native12_GLOBAL__N_18offset_tEEE10hipError_tPvRmT1_PNSt15iterator_traitsISY_E10value_typeET2_T3_PNSZ_IS14_E10value_typeET4_jRbjT5_S1A_jjP12ihipStream_tbEUljE_EEESV_SW_SX_S14_S18_S1A_T6_T7_T9_mT8_S1C_bDpT10_ENKUlT_T0_E_clISt17integral_constantIbLb1EES1P_EEDaS1K_S1L_EUlS1K_E_NS1_11comp_targetILNS1_3genE9ELNS1_11target_archE1100ELNS1_3gpuE3ELNS1_3repE0EEENS1_30default_config_static_selectorELNS0_4arch9wavefront6targetE0EEEvSY_
		.amdhsa_group_segment_fixed_size 13324
		.amdhsa_private_segment_fixed_size 0
		.amdhsa_kernarg_size 152
		.amdhsa_user_sgpr_count 15
		.amdhsa_user_sgpr_dispatch_ptr 0
		.amdhsa_user_sgpr_queue_ptr 0
		.amdhsa_user_sgpr_kernarg_segment_ptr 1
		.amdhsa_user_sgpr_dispatch_id 0
		.amdhsa_user_sgpr_private_segment_size 0
		.amdhsa_wavefront_size32 1
		.amdhsa_uses_dynamic_stack 0
		.amdhsa_enable_private_segment 0
		.amdhsa_system_sgpr_workgroup_id_x 1
		.amdhsa_system_sgpr_workgroup_id_y 0
		.amdhsa_system_sgpr_workgroup_id_z 0
		.amdhsa_system_sgpr_workgroup_info 0
		.amdhsa_system_vgpr_workitem_id 0
		.amdhsa_next_free_vgpr 60
		.amdhsa_next_free_sgpr 26
		.amdhsa_reserve_vcc 1
		.amdhsa_float_round_mode_32 0
		.amdhsa_float_round_mode_16_64 0
		.amdhsa_float_denorm_mode_32 3
		.amdhsa_float_denorm_mode_16_64 3
		.amdhsa_dx10_clamp 1
		.amdhsa_ieee_mode 1
		.amdhsa_fp16_overflow 0
		.amdhsa_workgroup_processor_mode 1
		.amdhsa_memory_ordered 1
		.amdhsa_forward_progress 0
		.amdhsa_shared_vgpr_count 0
		.amdhsa_exception_fp_ieee_invalid_op 0
		.amdhsa_exception_fp_denorm_src 0
		.amdhsa_exception_fp_ieee_div_zero 0
		.amdhsa_exception_fp_ieee_overflow 0
		.amdhsa_exception_fp_ieee_underflow 0
		.amdhsa_exception_fp_ieee_inexact 0
		.amdhsa_exception_int_div_zero 0
	.end_amdhsa_kernel
	.section	.text._ZN7rocprim17ROCPRIM_400000_NS6detail17trampoline_kernelINS0_13select_configILj256ELj13ELNS0_17block_load_methodE3ELS4_3ELS4_3ELNS0_20block_scan_algorithmE0ELj4294967295EEENS1_25partition_config_selectorILNS1_17partition_subalgoE3EjNS0_10empty_typeEbEEZZNS1_14partition_implILS8_3ELb0ES6_jNS0_17counting_iteratorIjlEEPS9_SE_NS0_5tupleIJPjSE_EEENSF_IJSE_SE_EEES9_SG_JZNS1_25segmented_radix_sort_implINS0_14default_configELb0EPKhPhPKlPlN2at6native12_GLOBAL__N_18offset_tEEE10hipError_tPvRmT1_PNSt15iterator_traitsISY_E10value_typeET2_T3_PNSZ_IS14_E10value_typeET4_jRbjT5_S1A_jjP12ihipStream_tbEUljE_EEESV_SW_SX_S14_S18_S1A_T6_T7_T9_mT8_S1C_bDpT10_ENKUlT_T0_E_clISt17integral_constantIbLb1EES1P_EEDaS1K_S1L_EUlS1K_E_NS1_11comp_targetILNS1_3genE9ELNS1_11target_archE1100ELNS1_3gpuE3ELNS1_3repE0EEENS1_30default_config_static_selectorELNS0_4arch9wavefront6targetE0EEEvSY_,"axG",@progbits,_ZN7rocprim17ROCPRIM_400000_NS6detail17trampoline_kernelINS0_13select_configILj256ELj13ELNS0_17block_load_methodE3ELS4_3ELS4_3ELNS0_20block_scan_algorithmE0ELj4294967295EEENS1_25partition_config_selectorILNS1_17partition_subalgoE3EjNS0_10empty_typeEbEEZZNS1_14partition_implILS8_3ELb0ES6_jNS0_17counting_iteratorIjlEEPS9_SE_NS0_5tupleIJPjSE_EEENSF_IJSE_SE_EEES9_SG_JZNS1_25segmented_radix_sort_implINS0_14default_configELb0EPKhPhPKlPlN2at6native12_GLOBAL__N_18offset_tEEE10hipError_tPvRmT1_PNSt15iterator_traitsISY_E10value_typeET2_T3_PNSZ_IS14_E10value_typeET4_jRbjT5_S1A_jjP12ihipStream_tbEUljE_EEESV_SW_SX_S14_S18_S1A_T6_T7_T9_mT8_S1C_bDpT10_ENKUlT_T0_E_clISt17integral_constantIbLb1EES1P_EEDaS1K_S1L_EUlS1K_E_NS1_11comp_targetILNS1_3genE9ELNS1_11target_archE1100ELNS1_3gpuE3ELNS1_3repE0EEENS1_30default_config_static_selectorELNS0_4arch9wavefront6targetE0EEEvSY_,comdat
.Lfunc_end168:
	.size	_ZN7rocprim17ROCPRIM_400000_NS6detail17trampoline_kernelINS0_13select_configILj256ELj13ELNS0_17block_load_methodE3ELS4_3ELS4_3ELNS0_20block_scan_algorithmE0ELj4294967295EEENS1_25partition_config_selectorILNS1_17partition_subalgoE3EjNS0_10empty_typeEbEEZZNS1_14partition_implILS8_3ELb0ES6_jNS0_17counting_iteratorIjlEEPS9_SE_NS0_5tupleIJPjSE_EEENSF_IJSE_SE_EEES9_SG_JZNS1_25segmented_radix_sort_implINS0_14default_configELb0EPKhPhPKlPlN2at6native12_GLOBAL__N_18offset_tEEE10hipError_tPvRmT1_PNSt15iterator_traitsISY_E10value_typeET2_T3_PNSZ_IS14_E10value_typeET4_jRbjT5_S1A_jjP12ihipStream_tbEUljE_EEESV_SW_SX_S14_S18_S1A_T6_T7_T9_mT8_S1C_bDpT10_ENKUlT_T0_E_clISt17integral_constantIbLb1EES1P_EEDaS1K_S1L_EUlS1K_E_NS1_11comp_targetILNS1_3genE9ELNS1_11target_archE1100ELNS1_3gpuE3ELNS1_3repE0EEENS1_30default_config_static_selectorELNS0_4arch9wavefront6targetE0EEEvSY_, .Lfunc_end168-_ZN7rocprim17ROCPRIM_400000_NS6detail17trampoline_kernelINS0_13select_configILj256ELj13ELNS0_17block_load_methodE3ELS4_3ELS4_3ELNS0_20block_scan_algorithmE0ELj4294967295EEENS1_25partition_config_selectorILNS1_17partition_subalgoE3EjNS0_10empty_typeEbEEZZNS1_14partition_implILS8_3ELb0ES6_jNS0_17counting_iteratorIjlEEPS9_SE_NS0_5tupleIJPjSE_EEENSF_IJSE_SE_EEES9_SG_JZNS1_25segmented_radix_sort_implINS0_14default_configELb0EPKhPhPKlPlN2at6native12_GLOBAL__N_18offset_tEEE10hipError_tPvRmT1_PNSt15iterator_traitsISY_E10value_typeET2_T3_PNSZ_IS14_E10value_typeET4_jRbjT5_S1A_jjP12ihipStream_tbEUljE_EEESV_SW_SX_S14_S18_S1A_T6_T7_T9_mT8_S1C_bDpT10_ENKUlT_T0_E_clISt17integral_constantIbLb1EES1P_EEDaS1K_S1L_EUlS1K_E_NS1_11comp_targetILNS1_3genE9ELNS1_11target_archE1100ELNS1_3gpuE3ELNS1_3repE0EEENS1_30default_config_static_selectorELNS0_4arch9wavefront6targetE0EEEvSY_
                                        ; -- End function
	.section	.AMDGPU.csdata,"",@progbits
; Kernel info:
; codeLenInByte = 9140
; NumSgprs: 28
; NumVgprs: 60
; ScratchSize: 0
; MemoryBound: 0
; FloatMode: 240
; IeeeMode: 1
; LDSByteSize: 13324 bytes/workgroup (compile time only)
; SGPRBlocks: 3
; VGPRBlocks: 7
; NumSGPRsForWavesPerEU: 28
; NumVGPRsForWavesPerEU: 60
; Occupancy: 16
; WaveLimiterHint : 0
; COMPUTE_PGM_RSRC2:SCRATCH_EN: 0
; COMPUTE_PGM_RSRC2:USER_SGPR: 15
; COMPUTE_PGM_RSRC2:TRAP_HANDLER: 0
; COMPUTE_PGM_RSRC2:TGID_X_EN: 1
; COMPUTE_PGM_RSRC2:TGID_Y_EN: 0
; COMPUTE_PGM_RSRC2:TGID_Z_EN: 0
; COMPUTE_PGM_RSRC2:TIDIG_COMP_CNT: 0
	.section	.text._ZN7rocprim17ROCPRIM_400000_NS6detail17trampoline_kernelINS0_13select_configILj256ELj13ELNS0_17block_load_methodE3ELS4_3ELS4_3ELNS0_20block_scan_algorithmE0ELj4294967295EEENS1_25partition_config_selectorILNS1_17partition_subalgoE3EjNS0_10empty_typeEbEEZZNS1_14partition_implILS8_3ELb0ES6_jNS0_17counting_iteratorIjlEEPS9_SE_NS0_5tupleIJPjSE_EEENSF_IJSE_SE_EEES9_SG_JZNS1_25segmented_radix_sort_implINS0_14default_configELb0EPKhPhPKlPlN2at6native12_GLOBAL__N_18offset_tEEE10hipError_tPvRmT1_PNSt15iterator_traitsISY_E10value_typeET2_T3_PNSZ_IS14_E10value_typeET4_jRbjT5_S1A_jjP12ihipStream_tbEUljE_EEESV_SW_SX_S14_S18_S1A_T6_T7_T9_mT8_S1C_bDpT10_ENKUlT_T0_E_clISt17integral_constantIbLb1EES1P_EEDaS1K_S1L_EUlS1K_E_NS1_11comp_targetILNS1_3genE8ELNS1_11target_archE1030ELNS1_3gpuE2ELNS1_3repE0EEENS1_30default_config_static_selectorELNS0_4arch9wavefront6targetE0EEEvSY_,"axG",@progbits,_ZN7rocprim17ROCPRIM_400000_NS6detail17trampoline_kernelINS0_13select_configILj256ELj13ELNS0_17block_load_methodE3ELS4_3ELS4_3ELNS0_20block_scan_algorithmE0ELj4294967295EEENS1_25partition_config_selectorILNS1_17partition_subalgoE3EjNS0_10empty_typeEbEEZZNS1_14partition_implILS8_3ELb0ES6_jNS0_17counting_iteratorIjlEEPS9_SE_NS0_5tupleIJPjSE_EEENSF_IJSE_SE_EEES9_SG_JZNS1_25segmented_radix_sort_implINS0_14default_configELb0EPKhPhPKlPlN2at6native12_GLOBAL__N_18offset_tEEE10hipError_tPvRmT1_PNSt15iterator_traitsISY_E10value_typeET2_T3_PNSZ_IS14_E10value_typeET4_jRbjT5_S1A_jjP12ihipStream_tbEUljE_EEESV_SW_SX_S14_S18_S1A_T6_T7_T9_mT8_S1C_bDpT10_ENKUlT_T0_E_clISt17integral_constantIbLb1EES1P_EEDaS1K_S1L_EUlS1K_E_NS1_11comp_targetILNS1_3genE8ELNS1_11target_archE1030ELNS1_3gpuE2ELNS1_3repE0EEENS1_30default_config_static_selectorELNS0_4arch9wavefront6targetE0EEEvSY_,comdat
	.globl	_ZN7rocprim17ROCPRIM_400000_NS6detail17trampoline_kernelINS0_13select_configILj256ELj13ELNS0_17block_load_methodE3ELS4_3ELS4_3ELNS0_20block_scan_algorithmE0ELj4294967295EEENS1_25partition_config_selectorILNS1_17partition_subalgoE3EjNS0_10empty_typeEbEEZZNS1_14partition_implILS8_3ELb0ES6_jNS0_17counting_iteratorIjlEEPS9_SE_NS0_5tupleIJPjSE_EEENSF_IJSE_SE_EEES9_SG_JZNS1_25segmented_radix_sort_implINS0_14default_configELb0EPKhPhPKlPlN2at6native12_GLOBAL__N_18offset_tEEE10hipError_tPvRmT1_PNSt15iterator_traitsISY_E10value_typeET2_T3_PNSZ_IS14_E10value_typeET4_jRbjT5_S1A_jjP12ihipStream_tbEUljE_EEESV_SW_SX_S14_S18_S1A_T6_T7_T9_mT8_S1C_bDpT10_ENKUlT_T0_E_clISt17integral_constantIbLb1EES1P_EEDaS1K_S1L_EUlS1K_E_NS1_11comp_targetILNS1_3genE8ELNS1_11target_archE1030ELNS1_3gpuE2ELNS1_3repE0EEENS1_30default_config_static_selectorELNS0_4arch9wavefront6targetE0EEEvSY_ ; -- Begin function _ZN7rocprim17ROCPRIM_400000_NS6detail17trampoline_kernelINS0_13select_configILj256ELj13ELNS0_17block_load_methodE3ELS4_3ELS4_3ELNS0_20block_scan_algorithmE0ELj4294967295EEENS1_25partition_config_selectorILNS1_17partition_subalgoE3EjNS0_10empty_typeEbEEZZNS1_14partition_implILS8_3ELb0ES6_jNS0_17counting_iteratorIjlEEPS9_SE_NS0_5tupleIJPjSE_EEENSF_IJSE_SE_EEES9_SG_JZNS1_25segmented_radix_sort_implINS0_14default_configELb0EPKhPhPKlPlN2at6native12_GLOBAL__N_18offset_tEEE10hipError_tPvRmT1_PNSt15iterator_traitsISY_E10value_typeET2_T3_PNSZ_IS14_E10value_typeET4_jRbjT5_S1A_jjP12ihipStream_tbEUljE_EEESV_SW_SX_S14_S18_S1A_T6_T7_T9_mT8_S1C_bDpT10_ENKUlT_T0_E_clISt17integral_constantIbLb1EES1P_EEDaS1K_S1L_EUlS1K_E_NS1_11comp_targetILNS1_3genE8ELNS1_11target_archE1030ELNS1_3gpuE2ELNS1_3repE0EEENS1_30default_config_static_selectorELNS0_4arch9wavefront6targetE0EEEvSY_
	.p2align	8
	.type	_ZN7rocprim17ROCPRIM_400000_NS6detail17trampoline_kernelINS0_13select_configILj256ELj13ELNS0_17block_load_methodE3ELS4_3ELS4_3ELNS0_20block_scan_algorithmE0ELj4294967295EEENS1_25partition_config_selectorILNS1_17partition_subalgoE3EjNS0_10empty_typeEbEEZZNS1_14partition_implILS8_3ELb0ES6_jNS0_17counting_iteratorIjlEEPS9_SE_NS0_5tupleIJPjSE_EEENSF_IJSE_SE_EEES9_SG_JZNS1_25segmented_radix_sort_implINS0_14default_configELb0EPKhPhPKlPlN2at6native12_GLOBAL__N_18offset_tEEE10hipError_tPvRmT1_PNSt15iterator_traitsISY_E10value_typeET2_T3_PNSZ_IS14_E10value_typeET4_jRbjT5_S1A_jjP12ihipStream_tbEUljE_EEESV_SW_SX_S14_S18_S1A_T6_T7_T9_mT8_S1C_bDpT10_ENKUlT_T0_E_clISt17integral_constantIbLb1EES1P_EEDaS1K_S1L_EUlS1K_E_NS1_11comp_targetILNS1_3genE8ELNS1_11target_archE1030ELNS1_3gpuE2ELNS1_3repE0EEENS1_30default_config_static_selectorELNS0_4arch9wavefront6targetE0EEEvSY_,@function
_ZN7rocprim17ROCPRIM_400000_NS6detail17trampoline_kernelINS0_13select_configILj256ELj13ELNS0_17block_load_methodE3ELS4_3ELS4_3ELNS0_20block_scan_algorithmE0ELj4294967295EEENS1_25partition_config_selectorILNS1_17partition_subalgoE3EjNS0_10empty_typeEbEEZZNS1_14partition_implILS8_3ELb0ES6_jNS0_17counting_iteratorIjlEEPS9_SE_NS0_5tupleIJPjSE_EEENSF_IJSE_SE_EEES9_SG_JZNS1_25segmented_radix_sort_implINS0_14default_configELb0EPKhPhPKlPlN2at6native12_GLOBAL__N_18offset_tEEE10hipError_tPvRmT1_PNSt15iterator_traitsISY_E10value_typeET2_T3_PNSZ_IS14_E10value_typeET4_jRbjT5_S1A_jjP12ihipStream_tbEUljE_EEESV_SW_SX_S14_S18_S1A_T6_T7_T9_mT8_S1C_bDpT10_ENKUlT_T0_E_clISt17integral_constantIbLb1EES1P_EEDaS1K_S1L_EUlS1K_E_NS1_11comp_targetILNS1_3genE8ELNS1_11target_archE1030ELNS1_3gpuE2ELNS1_3repE0EEENS1_30default_config_static_selectorELNS0_4arch9wavefront6targetE0EEEvSY_: ; @_ZN7rocprim17ROCPRIM_400000_NS6detail17trampoline_kernelINS0_13select_configILj256ELj13ELNS0_17block_load_methodE3ELS4_3ELS4_3ELNS0_20block_scan_algorithmE0ELj4294967295EEENS1_25partition_config_selectorILNS1_17partition_subalgoE3EjNS0_10empty_typeEbEEZZNS1_14partition_implILS8_3ELb0ES6_jNS0_17counting_iteratorIjlEEPS9_SE_NS0_5tupleIJPjSE_EEENSF_IJSE_SE_EEES9_SG_JZNS1_25segmented_radix_sort_implINS0_14default_configELb0EPKhPhPKlPlN2at6native12_GLOBAL__N_18offset_tEEE10hipError_tPvRmT1_PNSt15iterator_traitsISY_E10value_typeET2_T3_PNSZ_IS14_E10value_typeET4_jRbjT5_S1A_jjP12ihipStream_tbEUljE_EEESV_SW_SX_S14_S18_S1A_T6_T7_T9_mT8_S1C_bDpT10_ENKUlT_T0_E_clISt17integral_constantIbLb1EES1P_EEDaS1K_S1L_EUlS1K_E_NS1_11comp_targetILNS1_3genE8ELNS1_11target_archE1030ELNS1_3gpuE2ELNS1_3repE0EEENS1_30default_config_static_selectorELNS0_4arch9wavefront6targetE0EEEvSY_
; %bb.0:
	.section	.rodata,"a",@progbits
	.p2align	6, 0x0
	.amdhsa_kernel _ZN7rocprim17ROCPRIM_400000_NS6detail17trampoline_kernelINS0_13select_configILj256ELj13ELNS0_17block_load_methodE3ELS4_3ELS4_3ELNS0_20block_scan_algorithmE0ELj4294967295EEENS1_25partition_config_selectorILNS1_17partition_subalgoE3EjNS0_10empty_typeEbEEZZNS1_14partition_implILS8_3ELb0ES6_jNS0_17counting_iteratorIjlEEPS9_SE_NS0_5tupleIJPjSE_EEENSF_IJSE_SE_EEES9_SG_JZNS1_25segmented_radix_sort_implINS0_14default_configELb0EPKhPhPKlPlN2at6native12_GLOBAL__N_18offset_tEEE10hipError_tPvRmT1_PNSt15iterator_traitsISY_E10value_typeET2_T3_PNSZ_IS14_E10value_typeET4_jRbjT5_S1A_jjP12ihipStream_tbEUljE_EEESV_SW_SX_S14_S18_S1A_T6_T7_T9_mT8_S1C_bDpT10_ENKUlT_T0_E_clISt17integral_constantIbLb1EES1P_EEDaS1K_S1L_EUlS1K_E_NS1_11comp_targetILNS1_3genE8ELNS1_11target_archE1030ELNS1_3gpuE2ELNS1_3repE0EEENS1_30default_config_static_selectorELNS0_4arch9wavefront6targetE0EEEvSY_
		.amdhsa_group_segment_fixed_size 0
		.amdhsa_private_segment_fixed_size 0
		.amdhsa_kernarg_size 152
		.amdhsa_user_sgpr_count 15
		.amdhsa_user_sgpr_dispatch_ptr 0
		.amdhsa_user_sgpr_queue_ptr 0
		.amdhsa_user_sgpr_kernarg_segment_ptr 1
		.amdhsa_user_sgpr_dispatch_id 0
		.amdhsa_user_sgpr_private_segment_size 0
		.amdhsa_wavefront_size32 1
		.amdhsa_uses_dynamic_stack 0
		.amdhsa_enable_private_segment 0
		.amdhsa_system_sgpr_workgroup_id_x 1
		.amdhsa_system_sgpr_workgroup_id_y 0
		.amdhsa_system_sgpr_workgroup_id_z 0
		.amdhsa_system_sgpr_workgroup_info 0
		.amdhsa_system_vgpr_workitem_id 0
		.amdhsa_next_free_vgpr 1
		.amdhsa_next_free_sgpr 1
		.amdhsa_reserve_vcc 0
		.amdhsa_float_round_mode_32 0
		.amdhsa_float_round_mode_16_64 0
		.amdhsa_float_denorm_mode_32 3
		.amdhsa_float_denorm_mode_16_64 3
		.amdhsa_dx10_clamp 1
		.amdhsa_ieee_mode 1
		.amdhsa_fp16_overflow 0
		.amdhsa_workgroup_processor_mode 1
		.amdhsa_memory_ordered 1
		.amdhsa_forward_progress 0
		.amdhsa_shared_vgpr_count 0
		.amdhsa_exception_fp_ieee_invalid_op 0
		.amdhsa_exception_fp_denorm_src 0
		.amdhsa_exception_fp_ieee_div_zero 0
		.amdhsa_exception_fp_ieee_overflow 0
		.amdhsa_exception_fp_ieee_underflow 0
		.amdhsa_exception_fp_ieee_inexact 0
		.amdhsa_exception_int_div_zero 0
	.end_amdhsa_kernel
	.section	.text._ZN7rocprim17ROCPRIM_400000_NS6detail17trampoline_kernelINS0_13select_configILj256ELj13ELNS0_17block_load_methodE3ELS4_3ELS4_3ELNS0_20block_scan_algorithmE0ELj4294967295EEENS1_25partition_config_selectorILNS1_17partition_subalgoE3EjNS0_10empty_typeEbEEZZNS1_14partition_implILS8_3ELb0ES6_jNS0_17counting_iteratorIjlEEPS9_SE_NS0_5tupleIJPjSE_EEENSF_IJSE_SE_EEES9_SG_JZNS1_25segmented_radix_sort_implINS0_14default_configELb0EPKhPhPKlPlN2at6native12_GLOBAL__N_18offset_tEEE10hipError_tPvRmT1_PNSt15iterator_traitsISY_E10value_typeET2_T3_PNSZ_IS14_E10value_typeET4_jRbjT5_S1A_jjP12ihipStream_tbEUljE_EEESV_SW_SX_S14_S18_S1A_T6_T7_T9_mT8_S1C_bDpT10_ENKUlT_T0_E_clISt17integral_constantIbLb1EES1P_EEDaS1K_S1L_EUlS1K_E_NS1_11comp_targetILNS1_3genE8ELNS1_11target_archE1030ELNS1_3gpuE2ELNS1_3repE0EEENS1_30default_config_static_selectorELNS0_4arch9wavefront6targetE0EEEvSY_,"axG",@progbits,_ZN7rocprim17ROCPRIM_400000_NS6detail17trampoline_kernelINS0_13select_configILj256ELj13ELNS0_17block_load_methodE3ELS4_3ELS4_3ELNS0_20block_scan_algorithmE0ELj4294967295EEENS1_25partition_config_selectorILNS1_17partition_subalgoE3EjNS0_10empty_typeEbEEZZNS1_14partition_implILS8_3ELb0ES6_jNS0_17counting_iteratorIjlEEPS9_SE_NS0_5tupleIJPjSE_EEENSF_IJSE_SE_EEES9_SG_JZNS1_25segmented_radix_sort_implINS0_14default_configELb0EPKhPhPKlPlN2at6native12_GLOBAL__N_18offset_tEEE10hipError_tPvRmT1_PNSt15iterator_traitsISY_E10value_typeET2_T3_PNSZ_IS14_E10value_typeET4_jRbjT5_S1A_jjP12ihipStream_tbEUljE_EEESV_SW_SX_S14_S18_S1A_T6_T7_T9_mT8_S1C_bDpT10_ENKUlT_T0_E_clISt17integral_constantIbLb1EES1P_EEDaS1K_S1L_EUlS1K_E_NS1_11comp_targetILNS1_3genE8ELNS1_11target_archE1030ELNS1_3gpuE2ELNS1_3repE0EEENS1_30default_config_static_selectorELNS0_4arch9wavefront6targetE0EEEvSY_,comdat
.Lfunc_end169:
	.size	_ZN7rocprim17ROCPRIM_400000_NS6detail17trampoline_kernelINS0_13select_configILj256ELj13ELNS0_17block_load_methodE3ELS4_3ELS4_3ELNS0_20block_scan_algorithmE0ELj4294967295EEENS1_25partition_config_selectorILNS1_17partition_subalgoE3EjNS0_10empty_typeEbEEZZNS1_14partition_implILS8_3ELb0ES6_jNS0_17counting_iteratorIjlEEPS9_SE_NS0_5tupleIJPjSE_EEENSF_IJSE_SE_EEES9_SG_JZNS1_25segmented_radix_sort_implINS0_14default_configELb0EPKhPhPKlPlN2at6native12_GLOBAL__N_18offset_tEEE10hipError_tPvRmT1_PNSt15iterator_traitsISY_E10value_typeET2_T3_PNSZ_IS14_E10value_typeET4_jRbjT5_S1A_jjP12ihipStream_tbEUljE_EEESV_SW_SX_S14_S18_S1A_T6_T7_T9_mT8_S1C_bDpT10_ENKUlT_T0_E_clISt17integral_constantIbLb1EES1P_EEDaS1K_S1L_EUlS1K_E_NS1_11comp_targetILNS1_3genE8ELNS1_11target_archE1030ELNS1_3gpuE2ELNS1_3repE0EEENS1_30default_config_static_selectorELNS0_4arch9wavefront6targetE0EEEvSY_, .Lfunc_end169-_ZN7rocprim17ROCPRIM_400000_NS6detail17trampoline_kernelINS0_13select_configILj256ELj13ELNS0_17block_load_methodE3ELS4_3ELS4_3ELNS0_20block_scan_algorithmE0ELj4294967295EEENS1_25partition_config_selectorILNS1_17partition_subalgoE3EjNS0_10empty_typeEbEEZZNS1_14partition_implILS8_3ELb0ES6_jNS0_17counting_iteratorIjlEEPS9_SE_NS0_5tupleIJPjSE_EEENSF_IJSE_SE_EEES9_SG_JZNS1_25segmented_radix_sort_implINS0_14default_configELb0EPKhPhPKlPlN2at6native12_GLOBAL__N_18offset_tEEE10hipError_tPvRmT1_PNSt15iterator_traitsISY_E10value_typeET2_T3_PNSZ_IS14_E10value_typeET4_jRbjT5_S1A_jjP12ihipStream_tbEUljE_EEESV_SW_SX_S14_S18_S1A_T6_T7_T9_mT8_S1C_bDpT10_ENKUlT_T0_E_clISt17integral_constantIbLb1EES1P_EEDaS1K_S1L_EUlS1K_E_NS1_11comp_targetILNS1_3genE8ELNS1_11target_archE1030ELNS1_3gpuE2ELNS1_3repE0EEENS1_30default_config_static_selectorELNS0_4arch9wavefront6targetE0EEEvSY_
                                        ; -- End function
	.section	.AMDGPU.csdata,"",@progbits
; Kernel info:
; codeLenInByte = 0
; NumSgprs: 0
; NumVgprs: 0
; ScratchSize: 0
; MemoryBound: 0
; FloatMode: 240
; IeeeMode: 1
; LDSByteSize: 0 bytes/workgroup (compile time only)
; SGPRBlocks: 0
; VGPRBlocks: 0
; NumSGPRsForWavesPerEU: 1
; NumVGPRsForWavesPerEU: 1
; Occupancy: 16
; WaveLimiterHint : 0
; COMPUTE_PGM_RSRC2:SCRATCH_EN: 0
; COMPUTE_PGM_RSRC2:USER_SGPR: 15
; COMPUTE_PGM_RSRC2:TRAP_HANDLER: 0
; COMPUTE_PGM_RSRC2:TGID_X_EN: 1
; COMPUTE_PGM_RSRC2:TGID_Y_EN: 0
; COMPUTE_PGM_RSRC2:TGID_Z_EN: 0
; COMPUTE_PGM_RSRC2:TIDIG_COMP_CNT: 0
	.section	.text._ZN7rocprim17ROCPRIM_400000_NS6detail17trampoline_kernelINS0_13select_configILj256ELj13ELNS0_17block_load_methodE3ELS4_3ELS4_3ELNS0_20block_scan_algorithmE0ELj4294967295EEENS1_25partition_config_selectorILNS1_17partition_subalgoE3EjNS0_10empty_typeEbEEZZNS1_14partition_implILS8_3ELb0ES6_jNS0_17counting_iteratorIjlEEPS9_SE_NS0_5tupleIJPjSE_EEENSF_IJSE_SE_EEES9_SG_JZNS1_25segmented_radix_sort_implINS0_14default_configELb0EPKhPhPKlPlN2at6native12_GLOBAL__N_18offset_tEEE10hipError_tPvRmT1_PNSt15iterator_traitsISY_E10value_typeET2_T3_PNSZ_IS14_E10value_typeET4_jRbjT5_S1A_jjP12ihipStream_tbEUljE_EEESV_SW_SX_S14_S18_S1A_T6_T7_T9_mT8_S1C_bDpT10_ENKUlT_T0_E_clISt17integral_constantIbLb1EES1O_IbLb0EEEEDaS1K_S1L_EUlS1K_E_NS1_11comp_targetILNS1_3genE0ELNS1_11target_archE4294967295ELNS1_3gpuE0ELNS1_3repE0EEENS1_30default_config_static_selectorELNS0_4arch9wavefront6targetE0EEEvSY_,"axG",@progbits,_ZN7rocprim17ROCPRIM_400000_NS6detail17trampoline_kernelINS0_13select_configILj256ELj13ELNS0_17block_load_methodE3ELS4_3ELS4_3ELNS0_20block_scan_algorithmE0ELj4294967295EEENS1_25partition_config_selectorILNS1_17partition_subalgoE3EjNS0_10empty_typeEbEEZZNS1_14partition_implILS8_3ELb0ES6_jNS0_17counting_iteratorIjlEEPS9_SE_NS0_5tupleIJPjSE_EEENSF_IJSE_SE_EEES9_SG_JZNS1_25segmented_radix_sort_implINS0_14default_configELb0EPKhPhPKlPlN2at6native12_GLOBAL__N_18offset_tEEE10hipError_tPvRmT1_PNSt15iterator_traitsISY_E10value_typeET2_T3_PNSZ_IS14_E10value_typeET4_jRbjT5_S1A_jjP12ihipStream_tbEUljE_EEESV_SW_SX_S14_S18_S1A_T6_T7_T9_mT8_S1C_bDpT10_ENKUlT_T0_E_clISt17integral_constantIbLb1EES1O_IbLb0EEEEDaS1K_S1L_EUlS1K_E_NS1_11comp_targetILNS1_3genE0ELNS1_11target_archE4294967295ELNS1_3gpuE0ELNS1_3repE0EEENS1_30default_config_static_selectorELNS0_4arch9wavefront6targetE0EEEvSY_,comdat
	.globl	_ZN7rocprim17ROCPRIM_400000_NS6detail17trampoline_kernelINS0_13select_configILj256ELj13ELNS0_17block_load_methodE3ELS4_3ELS4_3ELNS0_20block_scan_algorithmE0ELj4294967295EEENS1_25partition_config_selectorILNS1_17partition_subalgoE3EjNS0_10empty_typeEbEEZZNS1_14partition_implILS8_3ELb0ES6_jNS0_17counting_iteratorIjlEEPS9_SE_NS0_5tupleIJPjSE_EEENSF_IJSE_SE_EEES9_SG_JZNS1_25segmented_radix_sort_implINS0_14default_configELb0EPKhPhPKlPlN2at6native12_GLOBAL__N_18offset_tEEE10hipError_tPvRmT1_PNSt15iterator_traitsISY_E10value_typeET2_T3_PNSZ_IS14_E10value_typeET4_jRbjT5_S1A_jjP12ihipStream_tbEUljE_EEESV_SW_SX_S14_S18_S1A_T6_T7_T9_mT8_S1C_bDpT10_ENKUlT_T0_E_clISt17integral_constantIbLb1EES1O_IbLb0EEEEDaS1K_S1L_EUlS1K_E_NS1_11comp_targetILNS1_3genE0ELNS1_11target_archE4294967295ELNS1_3gpuE0ELNS1_3repE0EEENS1_30default_config_static_selectorELNS0_4arch9wavefront6targetE0EEEvSY_ ; -- Begin function _ZN7rocprim17ROCPRIM_400000_NS6detail17trampoline_kernelINS0_13select_configILj256ELj13ELNS0_17block_load_methodE3ELS4_3ELS4_3ELNS0_20block_scan_algorithmE0ELj4294967295EEENS1_25partition_config_selectorILNS1_17partition_subalgoE3EjNS0_10empty_typeEbEEZZNS1_14partition_implILS8_3ELb0ES6_jNS0_17counting_iteratorIjlEEPS9_SE_NS0_5tupleIJPjSE_EEENSF_IJSE_SE_EEES9_SG_JZNS1_25segmented_radix_sort_implINS0_14default_configELb0EPKhPhPKlPlN2at6native12_GLOBAL__N_18offset_tEEE10hipError_tPvRmT1_PNSt15iterator_traitsISY_E10value_typeET2_T3_PNSZ_IS14_E10value_typeET4_jRbjT5_S1A_jjP12ihipStream_tbEUljE_EEESV_SW_SX_S14_S18_S1A_T6_T7_T9_mT8_S1C_bDpT10_ENKUlT_T0_E_clISt17integral_constantIbLb1EES1O_IbLb0EEEEDaS1K_S1L_EUlS1K_E_NS1_11comp_targetILNS1_3genE0ELNS1_11target_archE4294967295ELNS1_3gpuE0ELNS1_3repE0EEENS1_30default_config_static_selectorELNS0_4arch9wavefront6targetE0EEEvSY_
	.p2align	8
	.type	_ZN7rocprim17ROCPRIM_400000_NS6detail17trampoline_kernelINS0_13select_configILj256ELj13ELNS0_17block_load_methodE3ELS4_3ELS4_3ELNS0_20block_scan_algorithmE0ELj4294967295EEENS1_25partition_config_selectorILNS1_17partition_subalgoE3EjNS0_10empty_typeEbEEZZNS1_14partition_implILS8_3ELb0ES6_jNS0_17counting_iteratorIjlEEPS9_SE_NS0_5tupleIJPjSE_EEENSF_IJSE_SE_EEES9_SG_JZNS1_25segmented_radix_sort_implINS0_14default_configELb0EPKhPhPKlPlN2at6native12_GLOBAL__N_18offset_tEEE10hipError_tPvRmT1_PNSt15iterator_traitsISY_E10value_typeET2_T3_PNSZ_IS14_E10value_typeET4_jRbjT5_S1A_jjP12ihipStream_tbEUljE_EEESV_SW_SX_S14_S18_S1A_T6_T7_T9_mT8_S1C_bDpT10_ENKUlT_T0_E_clISt17integral_constantIbLb1EES1O_IbLb0EEEEDaS1K_S1L_EUlS1K_E_NS1_11comp_targetILNS1_3genE0ELNS1_11target_archE4294967295ELNS1_3gpuE0ELNS1_3repE0EEENS1_30default_config_static_selectorELNS0_4arch9wavefront6targetE0EEEvSY_,@function
_ZN7rocprim17ROCPRIM_400000_NS6detail17trampoline_kernelINS0_13select_configILj256ELj13ELNS0_17block_load_methodE3ELS4_3ELS4_3ELNS0_20block_scan_algorithmE0ELj4294967295EEENS1_25partition_config_selectorILNS1_17partition_subalgoE3EjNS0_10empty_typeEbEEZZNS1_14partition_implILS8_3ELb0ES6_jNS0_17counting_iteratorIjlEEPS9_SE_NS0_5tupleIJPjSE_EEENSF_IJSE_SE_EEES9_SG_JZNS1_25segmented_radix_sort_implINS0_14default_configELb0EPKhPhPKlPlN2at6native12_GLOBAL__N_18offset_tEEE10hipError_tPvRmT1_PNSt15iterator_traitsISY_E10value_typeET2_T3_PNSZ_IS14_E10value_typeET4_jRbjT5_S1A_jjP12ihipStream_tbEUljE_EEESV_SW_SX_S14_S18_S1A_T6_T7_T9_mT8_S1C_bDpT10_ENKUlT_T0_E_clISt17integral_constantIbLb1EES1O_IbLb0EEEEDaS1K_S1L_EUlS1K_E_NS1_11comp_targetILNS1_3genE0ELNS1_11target_archE4294967295ELNS1_3gpuE0ELNS1_3repE0EEENS1_30default_config_static_selectorELNS0_4arch9wavefront6targetE0EEEvSY_: ; @_ZN7rocprim17ROCPRIM_400000_NS6detail17trampoline_kernelINS0_13select_configILj256ELj13ELNS0_17block_load_methodE3ELS4_3ELS4_3ELNS0_20block_scan_algorithmE0ELj4294967295EEENS1_25partition_config_selectorILNS1_17partition_subalgoE3EjNS0_10empty_typeEbEEZZNS1_14partition_implILS8_3ELb0ES6_jNS0_17counting_iteratorIjlEEPS9_SE_NS0_5tupleIJPjSE_EEENSF_IJSE_SE_EEES9_SG_JZNS1_25segmented_radix_sort_implINS0_14default_configELb0EPKhPhPKlPlN2at6native12_GLOBAL__N_18offset_tEEE10hipError_tPvRmT1_PNSt15iterator_traitsISY_E10value_typeET2_T3_PNSZ_IS14_E10value_typeET4_jRbjT5_S1A_jjP12ihipStream_tbEUljE_EEESV_SW_SX_S14_S18_S1A_T6_T7_T9_mT8_S1C_bDpT10_ENKUlT_T0_E_clISt17integral_constantIbLb1EES1O_IbLb0EEEEDaS1K_S1L_EUlS1K_E_NS1_11comp_targetILNS1_3genE0ELNS1_11target_archE4294967295ELNS1_3gpuE0ELNS1_3repE0EEENS1_30default_config_static_selectorELNS0_4arch9wavefront6targetE0EEEvSY_
; %bb.0:
	.section	.rodata,"a",@progbits
	.p2align	6, 0x0
	.amdhsa_kernel _ZN7rocprim17ROCPRIM_400000_NS6detail17trampoline_kernelINS0_13select_configILj256ELj13ELNS0_17block_load_methodE3ELS4_3ELS4_3ELNS0_20block_scan_algorithmE0ELj4294967295EEENS1_25partition_config_selectorILNS1_17partition_subalgoE3EjNS0_10empty_typeEbEEZZNS1_14partition_implILS8_3ELb0ES6_jNS0_17counting_iteratorIjlEEPS9_SE_NS0_5tupleIJPjSE_EEENSF_IJSE_SE_EEES9_SG_JZNS1_25segmented_radix_sort_implINS0_14default_configELb0EPKhPhPKlPlN2at6native12_GLOBAL__N_18offset_tEEE10hipError_tPvRmT1_PNSt15iterator_traitsISY_E10value_typeET2_T3_PNSZ_IS14_E10value_typeET4_jRbjT5_S1A_jjP12ihipStream_tbEUljE_EEESV_SW_SX_S14_S18_S1A_T6_T7_T9_mT8_S1C_bDpT10_ENKUlT_T0_E_clISt17integral_constantIbLb1EES1O_IbLb0EEEEDaS1K_S1L_EUlS1K_E_NS1_11comp_targetILNS1_3genE0ELNS1_11target_archE4294967295ELNS1_3gpuE0ELNS1_3repE0EEENS1_30default_config_static_selectorELNS0_4arch9wavefront6targetE0EEEvSY_
		.amdhsa_group_segment_fixed_size 0
		.amdhsa_private_segment_fixed_size 0
		.amdhsa_kernarg_size 144
		.amdhsa_user_sgpr_count 15
		.amdhsa_user_sgpr_dispatch_ptr 0
		.amdhsa_user_sgpr_queue_ptr 0
		.amdhsa_user_sgpr_kernarg_segment_ptr 1
		.amdhsa_user_sgpr_dispatch_id 0
		.amdhsa_user_sgpr_private_segment_size 0
		.amdhsa_wavefront_size32 1
		.amdhsa_uses_dynamic_stack 0
		.amdhsa_enable_private_segment 0
		.amdhsa_system_sgpr_workgroup_id_x 1
		.amdhsa_system_sgpr_workgroup_id_y 0
		.amdhsa_system_sgpr_workgroup_id_z 0
		.amdhsa_system_sgpr_workgroup_info 0
		.amdhsa_system_vgpr_workitem_id 0
		.amdhsa_next_free_vgpr 1
		.amdhsa_next_free_sgpr 1
		.amdhsa_reserve_vcc 0
		.amdhsa_float_round_mode_32 0
		.amdhsa_float_round_mode_16_64 0
		.amdhsa_float_denorm_mode_32 3
		.amdhsa_float_denorm_mode_16_64 3
		.amdhsa_dx10_clamp 1
		.amdhsa_ieee_mode 1
		.amdhsa_fp16_overflow 0
		.amdhsa_workgroup_processor_mode 1
		.amdhsa_memory_ordered 1
		.amdhsa_forward_progress 0
		.amdhsa_shared_vgpr_count 0
		.amdhsa_exception_fp_ieee_invalid_op 0
		.amdhsa_exception_fp_denorm_src 0
		.amdhsa_exception_fp_ieee_div_zero 0
		.amdhsa_exception_fp_ieee_overflow 0
		.amdhsa_exception_fp_ieee_underflow 0
		.amdhsa_exception_fp_ieee_inexact 0
		.amdhsa_exception_int_div_zero 0
	.end_amdhsa_kernel
	.section	.text._ZN7rocprim17ROCPRIM_400000_NS6detail17trampoline_kernelINS0_13select_configILj256ELj13ELNS0_17block_load_methodE3ELS4_3ELS4_3ELNS0_20block_scan_algorithmE0ELj4294967295EEENS1_25partition_config_selectorILNS1_17partition_subalgoE3EjNS0_10empty_typeEbEEZZNS1_14partition_implILS8_3ELb0ES6_jNS0_17counting_iteratorIjlEEPS9_SE_NS0_5tupleIJPjSE_EEENSF_IJSE_SE_EEES9_SG_JZNS1_25segmented_radix_sort_implINS0_14default_configELb0EPKhPhPKlPlN2at6native12_GLOBAL__N_18offset_tEEE10hipError_tPvRmT1_PNSt15iterator_traitsISY_E10value_typeET2_T3_PNSZ_IS14_E10value_typeET4_jRbjT5_S1A_jjP12ihipStream_tbEUljE_EEESV_SW_SX_S14_S18_S1A_T6_T7_T9_mT8_S1C_bDpT10_ENKUlT_T0_E_clISt17integral_constantIbLb1EES1O_IbLb0EEEEDaS1K_S1L_EUlS1K_E_NS1_11comp_targetILNS1_3genE0ELNS1_11target_archE4294967295ELNS1_3gpuE0ELNS1_3repE0EEENS1_30default_config_static_selectorELNS0_4arch9wavefront6targetE0EEEvSY_,"axG",@progbits,_ZN7rocprim17ROCPRIM_400000_NS6detail17trampoline_kernelINS0_13select_configILj256ELj13ELNS0_17block_load_methodE3ELS4_3ELS4_3ELNS0_20block_scan_algorithmE0ELj4294967295EEENS1_25partition_config_selectorILNS1_17partition_subalgoE3EjNS0_10empty_typeEbEEZZNS1_14partition_implILS8_3ELb0ES6_jNS0_17counting_iteratorIjlEEPS9_SE_NS0_5tupleIJPjSE_EEENSF_IJSE_SE_EEES9_SG_JZNS1_25segmented_radix_sort_implINS0_14default_configELb0EPKhPhPKlPlN2at6native12_GLOBAL__N_18offset_tEEE10hipError_tPvRmT1_PNSt15iterator_traitsISY_E10value_typeET2_T3_PNSZ_IS14_E10value_typeET4_jRbjT5_S1A_jjP12ihipStream_tbEUljE_EEESV_SW_SX_S14_S18_S1A_T6_T7_T9_mT8_S1C_bDpT10_ENKUlT_T0_E_clISt17integral_constantIbLb1EES1O_IbLb0EEEEDaS1K_S1L_EUlS1K_E_NS1_11comp_targetILNS1_3genE0ELNS1_11target_archE4294967295ELNS1_3gpuE0ELNS1_3repE0EEENS1_30default_config_static_selectorELNS0_4arch9wavefront6targetE0EEEvSY_,comdat
.Lfunc_end170:
	.size	_ZN7rocprim17ROCPRIM_400000_NS6detail17trampoline_kernelINS0_13select_configILj256ELj13ELNS0_17block_load_methodE3ELS4_3ELS4_3ELNS0_20block_scan_algorithmE0ELj4294967295EEENS1_25partition_config_selectorILNS1_17partition_subalgoE3EjNS0_10empty_typeEbEEZZNS1_14partition_implILS8_3ELb0ES6_jNS0_17counting_iteratorIjlEEPS9_SE_NS0_5tupleIJPjSE_EEENSF_IJSE_SE_EEES9_SG_JZNS1_25segmented_radix_sort_implINS0_14default_configELb0EPKhPhPKlPlN2at6native12_GLOBAL__N_18offset_tEEE10hipError_tPvRmT1_PNSt15iterator_traitsISY_E10value_typeET2_T3_PNSZ_IS14_E10value_typeET4_jRbjT5_S1A_jjP12ihipStream_tbEUljE_EEESV_SW_SX_S14_S18_S1A_T6_T7_T9_mT8_S1C_bDpT10_ENKUlT_T0_E_clISt17integral_constantIbLb1EES1O_IbLb0EEEEDaS1K_S1L_EUlS1K_E_NS1_11comp_targetILNS1_3genE0ELNS1_11target_archE4294967295ELNS1_3gpuE0ELNS1_3repE0EEENS1_30default_config_static_selectorELNS0_4arch9wavefront6targetE0EEEvSY_, .Lfunc_end170-_ZN7rocprim17ROCPRIM_400000_NS6detail17trampoline_kernelINS0_13select_configILj256ELj13ELNS0_17block_load_methodE3ELS4_3ELS4_3ELNS0_20block_scan_algorithmE0ELj4294967295EEENS1_25partition_config_selectorILNS1_17partition_subalgoE3EjNS0_10empty_typeEbEEZZNS1_14partition_implILS8_3ELb0ES6_jNS0_17counting_iteratorIjlEEPS9_SE_NS0_5tupleIJPjSE_EEENSF_IJSE_SE_EEES9_SG_JZNS1_25segmented_radix_sort_implINS0_14default_configELb0EPKhPhPKlPlN2at6native12_GLOBAL__N_18offset_tEEE10hipError_tPvRmT1_PNSt15iterator_traitsISY_E10value_typeET2_T3_PNSZ_IS14_E10value_typeET4_jRbjT5_S1A_jjP12ihipStream_tbEUljE_EEESV_SW_SX_S14_S18_S1A_T6_T7_T9_mT8_S1C_bDpT10_ENKUlT_T0_E_clISt17integral_constantIbLb1EES1O_IbLb0EEEEDaS1K_S1L_EUlS1K_E_NS1_11comp_targetILNS1_3genE0ELNS1_11target_archE4294967295ELNS1_3gpuE0ELNS1_3repE0EEENS1_30default_config_static_selectorELNS0_4arch9wavefront6targetE0EEEvSY_
                                        ; -- End function
	.section	.AMDGPU.csdata,"",@progbits
; Kernel info:
; codeLenInByte = 0
; NumSgprs: 0
; NumVgprs: 0
; ScratchSize: 0
; MemoryBound: 0
; FloatMode: 240
; IeeeMode: 1
; LDSByteSize: 0 bytes/workgroup (compile time only)
; SGPRBlocks: 0
; VGPRBlocks: 0
; NumSGPRsForWavesPerEU: 1
; NumVGPRsForWavesPerEU: 1
; Occupancy: 16
; WaveLimiterHint : 0
; COMPUTE_PGM_RSRC2:SCRATCH_EN: 0
; COMPUTE_PGM_RSRC2:USER_SGPR: 15
; COMPUTE_PGM_RSRC2:TRAP_HANDLER: 0
; COMPUTE_PGM_RSRC2:TGID_X_EN: 1
; COMPUTE_PGM_RSRC2:TGID_Y_EN: 0
; COMPUTE_PGM_RSRC2:TGID_Z_EN: 0
; COMPUTE_PGM_RSRC2:TIDIG_COMP_CNT: 0
	.section	.text._ZN7rocprim17ROCPRIM_400000_NS6detail17trampoline_kernelINS0_13select_configILj256ELj13ELNS0_17block_load_methodE3ELS4_3ELS4_3ELNS0_20block_scan_algorithmE0ELj4294967295EEENS1_25partition_config_selectorILNS1_17partition_subalgoE3EjNS0_10empty_typeEbEEZZNS1_14partition_implILS8_3ELb0ES6_jNS0_17counting_iteratorIjlEEPS9_SE_NS0_5tupleIJPjSE_EEENSF_IJSE_SE_EEES9_SG_JZNS1_25segmented_radix_sort_implINS0_14default_configELb0EPKhPhPKlPlN2at6native12_GLOBAL__N_18offset_tEEE10hipError_tPvRmT1_PNSt15iterator_traitsISY_E10value_typeET2_T3_PNSZ_IS14_E10value_typeET4_jRbjT5_S1A_jjP12ihipStream_tbEUljE_EEESV_SW_SX_S14_S18_S1A_T6_T7_T9_mT8_S1C_bDpT10_ENKUlT_T0_E_clISt17integral_constantIbLb1EES1O_IbLb0EEEEDaS1K_S1L_EUlS1K_E_NS1_11comp_targetILNS1_3genE5ELNS1_11target_archE942ELNS1_3gpuE9ELNS1_3repE0EEENS1_30default_config_static_selectorELNS0_4arch9wavefront6targetE0EEEvSY_,"axG",@progbits,_ZN7rocprim17ROCPRIM_400000_NS6detail17trampoline_kernelINS0_13select_configILj256ELj13ELNS0_17block_load_methodE3ELS4_3ELS4_3ELNS0_20block_scan_algorithmE0ELj4294967295EEENS1_25partition_config_selectorILNS1_17partition_subalgoE3EjNS0_10empty_typeEbEEZZNS1_14partition_implILS8_3ELb0ES6_jNS0_17counting_iteratorIjlEEPS9_SE_NS0_5tupleIJPjSE_EEENSF_IJSE_SE_EEES9_SG_JZNS1_25segmented_radix_sort_implINS0_14default_configELb0EPKhPhPKlPlN2at6native12_GLOBAL__N_18offset_tEEE10hipError_tPvRmT1_PNSt15iterator_traitsISY_E10value_typeET2_T3_PNSZ_IS14_E10value_typeET4_jRbjT5_S1A_jjP12ihipStream_tbEUljE_EEESV_SW_SX_S14_S18_S1A_T6_T7_T9_mT8_S1C_bDpT10_ENKUlT_T0_E_clISt17integral_constantIbLb1EES1O_IbLb0EEEEDaS1K_S1L_EUlS1K_E_NS1_11comp_targetILNS1_3genE5ELNS1_11target_archE942ELNS1_3gpuE9ELNS1_3repE0EEENS1_30default_config_static_selectorELNS0_4arch9wavefront6targetE0EEEvSY_,comdat
	.globl	_ZN7rocprim17ROCPRIM_400000_NS6detail17trampoline_kernelINS0_13select_configILj256ELj13ELNS0_17block_load_methodE3ELS4_3ELS4_3ELNS0_20block_scan_algorithmE0ELj4294967295EEENS1_25partition_config_selectorILNS1_17partition_subalgoE3EjNS0_10empty_typeEbEEZZNS1_14partition_implILS8_3ELb0ES6_jNS0_17counting_iteratorIjlEEPS9_SE_NS0_5tupleIJPjSE_EEENSF_IJSE_SE_EEES9_SG_JZNS1_25segmented_radix_sort_implINS0_14default_configELb0EPKhPhPKlPlN2at6native12_GLOBAL__N_18offset_tEEE10hipError_tPvRmT1_PNSt15iterator_traitsISY_E10value_typeET2_T3_PNSZ_IS14_E10value_typeET4_jRbjT5_S1A_jjP12ihipStream_tbEUljE_EEESV_SW_SX_S14_S18_S1A_T6_T7_T9_mT8_S1C_bDpT10_ENKUlT_T0_E_clISt17integral_constantIbLb1EES1O_IbLb0EEEEDaS1K_S1L_EUlS1K_E_NS1_11comp_targetILNS1_3genE5ELNS1_11target_archE942ELNS1_3gpuE9ELNS1_3repE0EEENS1_30default_config_static_selectorELNS0_4arch9wavefront6targetE0EEEvSY_ ; -- Begin function _ZN7rocprim17ROCPRIM_400000_NS6detail17trampoline_kernelINS0_13select_configILj256ELj13ELNS0_17block_load_methodE3ELS4_3ELS4_3ELNS0_20block_scan_algorithmE0ELj4294967295EEENS1_25partition_config_selectorILNS1_17partition_subalgoE3EjNS0_10empty_typeEbEEZZNS1_14partition_implILS8_3ELb0ES6_jNS0_17counting_iteratorIjlEEPS9_SE_NS0_5tupleIJPjSE_EEENSF_IJSE_SE_EEES9_SG_JZNS1_25segmented_radix_sort_implINS0_14default_configELb0EPKhPhPKlPlN2at6native12_GLOBAL__N_18offset_tEEE10hipError_tPvRmT1_PNSt15iterator_traitsISY_E10value_typeET2_T3_PNSZ_IS14_E10value_typeET4_jRbjT5_S1A_jjP12ihipStream_tbEUljE_EEESV_SW_SX_S14_S18_S1A_T6_T7_T9_mT8_S1C_bDpT10_ENKUlT_T0_E_clISt17integral_constantIbLb1EES1O_IbLb0EEEEDaS1K_S1L_EUlS1K_E_NS1_11comp_targetILNS1_3genE5ELNS1_11target_archE942ELNS1_3gpuE9ELNS1_3repE0EEENS1_30default_config_static_selectorELNS0_4arch9wavefront6targetE0EEEvSY_
	.p2align	8
	.type	_ZN7rocprim17ROCPRIM_400000_NS6detail17trampoline_kernelINS0_13select_configILj256ELj13ELNS0_17block_load_methodE3ELS4_3ELS4_3ELNS0_20block_scan_algorithmE0ELj4294967295EEENS1_25partition_config_selectorILNS1_17partition_subalgoE3EjNS0_10empty_typeEbEEZZNS1_14partition_implILS8_3ELb0ES6_jNS0_17counting_iteratorIjlEEPS9_SE_NS0_5tupleIJPjSE_EEENSF_IJSE_SE_EEES9_SG_JZNS1_25segmented_radix_sort_implINS0_14default_configELb0EPKhPhPKlPlN2at6native12_GLOBAL__N_18offset_tEEE10hipError_tPvRmT1_PNSt15iterator_traitsISY_E10value_typeET2_T3_PNSZ_IS14_E10value_typeET4_jRbjT5_S1A_jjP12ihipStream_tbEUljE_EEESV_SW_SX_S14_S18_S1A_T6_T7_T9_mT8_S1C_bDpT10_ENKUlT_T0_E_clISt17integral_constantIbLb1EES1O_IbLb0EEEEDaS1K_S1L_EUlS1K_E_NS1_11comp_targetILNS1_3genE5ELNS1_11target_archE942ELNS1_3gpuE9ELNS1_3repE0EEENS1_30default_config_static_selectorELNS0_4arch9wavefront6targetE0EEEvSY_,@function
_ZN7rocprim17ROCPRIM_400000_NS6detail17trampoline_kernelINS0_13select_configILj256ELj13ELNS0_17block_load_methodE3ELS4_3ELS4_3ELNS0_20block_scan_algorithmE0ELj4294967295EEENS1_25partition_config_selectorILNS1_17partition_subalgoE3EjNS0_10empty_typeEbEEZZNS1_14partition_implILS8_3ELb0ES6_jNS0_17counting_iteratorIjlEEPS9_SE_NS0_5tupleIJPjSE_EEENSF_IJSE_SE_EEES9_SG_JZNS1_25segmented_radix_sort_implINS0_14default_configELb0EPKhPhPKlPlN2at6native12_GLOBAL__N_18offset_tEEE10hipError_tPvRmT1_PNSt15iterator_traitsISY_E10value_typeET2_T3_PNSZ_IS14_E10value_typeET4_jRbjT5_S1A_jjP12ihipStream_tbEUljE_EEESV_SW_SX_S14_S18_S1A_T6_T7_T9_mT8_S1C_bDpT10_ENKUlT_T0_E_clISt17integral_constantIbLb1EES1O_IbLb0EEEEDaS1K_S1L_EUlS1K_E_NS1_11comp_targetILNS1_3genE5ELNS1_11target_archE942ELNS1_3gpuE9ELNS1_3repE0EEENS1_30default_config_static_selectorELNS0_4arch9wavefront6targetE0EEEvSY_: ; @_ZN7rocprim17ROCPRIM_400000_NS6detail17trampoline_kernelINS0_13select_configILj256ELj13ELNS0_17block_load_methodE3ELS4_3ELS4_3ELNS0_20block_scan_algorithmE0ELj4294967295EEENS1_25partition_config_selectorILNS1_17partition_subalgoE3EjNS0_10empty_typeEbEEZZNS1_14partition_implILS8_3ELb0ES6_jNS0_17counting_iteratorIjlEEPS9_SE_NS0_5tupleIJPjSE_EEENSF_IJSE_SE_EEES9_SG_JZNS1_25segmented_radix_sort_implINS0_14default_configELb0EPKhPhPKlPlN2at6native12_GLOBAL__N_18offset_tEEE10hipError_tPvRmT1_PNSt15iterator_traitsISY_E10value_typeET2_T3_PNSZ_IS14_E10value_typeET4_jRbjT5_S1A_jjP12ihipStream_tbEUljE_EEESV_SW_SX_S14_S18_S1A_T6_T7_T9_mT8_S1C_bDpT10_ENKUlT_T0_E_clISt17integral_constantIbLb1EES1O_IbLb0EEEEDaS1K_S1L_EUlS1K_E_NS1_11comp_targetILNS1_3genE5ELNS1_11target_archE942ELNS1_3gpuE9ELNS1_3repE0EEENS1_30default_config_static_selectorELNS0_4arch9wavefront6targetE0EEEvSY_
; %bb.0:
	.section	.rodata,"a",@progbits
	.p2align	6, 0x0
	.amdhsa_kernel _ZN7rocprim17ROCPRIM_400000_NS6detail17trampoline_kernelINS0_13select_configILj256ELj13ELNS0_17block_load_methodE3ELS4_3ELS4_3ELNS0_20block_scan_algorithmE0ELj4294967295EEENS1_25partition_config_selectorILNS1_17partition_subalgoE3EjNS0_10empty_typeEbEEZZNS1_14partition_implILS8_3ELb0ES6_jNS0_17counting_iteratorIjlEEPS9_SE_NS0_5tupleIJPjSE_EEENSF_IJSE_SE_EEES9_SG_JZNS1_25segmented_radix_sort_implINS0_14default_configELb0EPKhPhPKlPlN2at6native12_GLOBAL__N_18offset_tEEE10hipError_tPvRmT1_PNSt15iterator_traitsISY_E10value_typeET2_T3_PNSZ_IS14_E10value_typeET4_jRbjT5_S1A_jjP12ihipStream_tbEUljE_EEESV_SW_SX_S14_S18_S1A_T6_T7_T9_mT8_S1C_bDpT10_ENKUlT_T0_E_clISt17integral_constantIbLb1EES1O_IbLb0EEEEDaS1K_S1L_EUlS1K_E_NS1_11comp_targetILNS1_3genE5ELNS1_11target_archE942ELNS1_3gpuE9ELNS1_3repE0EEENS1_30default_config_static_selectorELNS0_4arch9wavefront6targetE0EEEvSY_
		.amdhsa_group_segment_fixed_size 0
		.amdhsa_private_segment_fixed_size 0
		.amdhsa_kernarg_size 144
		.amdhsa_user_sgpr_count 15
		.amdhsa_user_sgpr_dispatch_ptr 0
		.amdhsa_user_sgpr_queue_ptr 0
		.amdhsa_user_sgpr_kernarg_segment_ptr 1
		.amdhsa_user_sgpr_dispatch_id 0
		.amdhsa_user_sgpr_private_segment_size 0
		.amdhsa_wavefront_size32 1
		.amdhsa_uses_dynamic_stack 0
		.amdhsa_enable_private_segment 0
		.amdhsa_system_sgpr_workgroup_id_x 1
		.amdhsa_system_sgpr_workgroup_id_y 0
		.amdhsa_system_sgpr_workgroup_id_z 0
		.amdhsa_system_sgpr_workgroup_info 0
		.amdhsa_system_vgpr_workitem_id 0
		.amdhsa_next_free_vgpr 1
		.amdhsa_next_free_sgpr 1
		.amdhsa_reserve_vcc 0
		.amdhsa_float_round_mode_32 0
		.amdhsa_float_round_mode_16_64 0
		.amdhsa_float_denorm_mode_32 3
		.amdhsa_float_denorm_mode_16_64 3
		.amdhsa_dx10_clamp 1
		.amdhsa_ieee_mode 1
		.amdhsa_fp16_overflow 0
		.amdhsa_workgroup_processor_mode 1
		.amdhsa_memory_ordered 1
		.amdhsa_forward_progress 0
		.amdhsa_shared_vgpr_count 0
		.amdhsa_exception_fp_ieee_invalid_op 0
		.amdhsa_exception_fp_denorm_src 0
		.amdhsa_exception_fp_ieee_div_zero 0
		.amdhsa_exception_fp_ieee_overflow 0
		.amdhsa_exception_fp_ieee_underflow 0
		.amdhsa_exception_fp_ieee_inexact 0
		.amdhsa_exception_int_div_zero 0
	.end_amdhsa_kernel
	.section	.text._ZN7rocprim17ROCPRIM_400000_NS6detail17trampoline_kernelINS0_13select_configILj256ELj13ELNS0_17block_load_methodE3ELS4_3ELS4_3ELNS0_20block_scan_algorithmE0ELj4294967295EEENS1_25partition_config_selectorILNS1_17partition_subalgoE3EjNS0_10empty_typeEbEEZZNS1_14partition_implILS8_3ELb0ES6_jNS0_17counting_iteratorIjlEEPS9_SE_NS0_5tupleIJPjSE_EEENSF_IJSE_SE_EEES9_SG_JZNS1_25segmented_radix_sort_implINS0_14default_configELb0EPKhPhPKlPlN2at6native12_GLOBAL__N_18offset_tEEE10hipError_tPvRmT1_PNSt15iterator_traitsISY_E10value_typeET2_T3_PNSZ_IS14_E10value_typeET4_jRbjT5_S1A_jjP12ihipStream_tbEUljE_EEESV_SW_SX_S14_S18_S1A_T6_T7_T9_mT8_S1C_bDpT10_ENKUlT_T0_E_clISt17integral_constantIbLb1EES1O_IbLb0EEEEDaS1K_S1L_EUlS1K_E_NS1_11comp_targetILNS1_3genE5ELNS1_11target_archE942ELNS1_3gpuE9ELNS1_3repE0EEENS1_30default_config_static_selectorELNS0_4arch9wavefront6targetE0EEEvSY_,"axG",@progbits,_ZN7rocprim17ROCPRIM_400000_NS6detail17trampoline_kernelINS0_13select_configILj256ELj13ELNS0_17block_load_methodE3ELS4_3ELS4_3ELNS0_20block_scan_algorithmE0ELj4294967295EEENS1_25partition_config_selectorILNS1_17partition_subalgoE3EjNS0_10empty_typeEbEEZZNS1_14partition_implILS8_3ELb0ES6_jNS0_17counting_iteratorIjlEEPS9_SE_NS0_5tupleIJPjSE_EEENSF_IJSE_SE_EEES9_SG_JZNS1_25segmented_radix_sort_implINS0_14default_configELb0EPKhPhPKlPlN2at6native12_GLOBAL__N_18offset_tEEE10hipError_tPvRmT1_PNSt15iterator_traitsISY_E10value_typeET2_T3_PNSZ_IS14_E10value_typeET4_jRbjT5_S1A_jjP12ihipStream_tbEUljE_EEESV_SW_SX_S14_S18_S1A_T6_T7_T9_mT8_S1C_bDpT10_ENKUlT_T0_E_clISt17integral_constantIbLb1EES1O_IbLb0EEEEDaS1K_S1L_EUlS1K_E_NS1_11comp_targetILNS1_3genE5ELNS1_11target_archE942ELNS1_3gpuE9ELNS1_3repE0EEENS1_30default_config_static_selectorELNS0_4arch9wavefront6targetE0EEEvSY_,comdat
.Lfunc_end171:
	.size	_ZN7rocprim17ROCPRIM_400000_NS6detail17trampoline_kernelINS0_13select_configILj256ELj13ELNS0_17block_load_methodE3ELS4_3ELS4_3ELNS0_20block_scan_algorithmE0ELj4294967295EEENS1_25partition_config_selectorILNS1_17partition_subalgoE3EjNS0_10empty_typeEbEEZZNS1_14partition_implILS8_3ELb0ES6_jNS0_17counting_iteratorIjlEEPS9_SE_NS0_5tupleIJPjSE_EEENSF_IJSE_SE_EEES9_SG_JZNS1_25segmented_radix_sort_implINS0_14default_configELb0EPKhPhPKlPlN2at6native12_GLOBAL__N_18offset_tEEE10hipError_tPvRmT1_PNSt15iterator_traitsISY_E10value_typeET2_T3_PNSZ_IS14_E10value_typeET4_jRbjT5_S1A_jjP12ihipStream_tbEUljE_EEESV_SW_SX_S14_S18_S1A_T6_T7_T9_mT8_S1C_bDpT10_ENKUlT_T0_E_clISt17integral_constantIbLb1EES1O_IbLb0EEEEDaS1K_S1L_EUlS1K_E_NS1_11comp_targetILNS1_3genE5ELNS1_11target_archE942ELNS1_3gpuE9ELNS1_3repE0EEENS1_30default_config_static_selectorELNS0_4arch9wavefront6targetE0EEEvSY_, .Lfunc_end171-_ZN7rocprim17ROCPRIM_400000_NS6detail17trampoline_kernelINS0_13select_configILj256ELj13ELNS0_17block_load_methodE3ELS4_3ELS4_3ELNS0_20block_scan_algorithmE0ELj4294967295EEENS1_25partition_config_selectorILNS1_17partition_subalgoE3EjNS0_10empty_typeEbEEZZNS1_14partition_implILS8_3ELb0ES6_jNS0_17counting_iteratorIjlEEPS9_SE_NS0_5tupleIJPjSE_EEENSF_IJSE_SE_EEES9_SG_JZNS1_25segmented_radix_sort_implINS0_14default_configELb0EPKhPhPKlPlN2at6native12_GLOBAL__N_18offset_tEEE10hipError_tPvRmT1_PNSt15iterator_traitsISY_E10value_typeET2_T3_PNSZ_IS14_E10value_typeET4_jRbjT5_S1A_jjP12ihipStream_tbEUljE_EEESV_SW_SX_S14_S18_S1A_T6_T7_T9_mT8_S1C_bDpT10_ENKUlT_T0_E_clISt17integral_constantIbLb1EES1O_IbLb0EEEEDaS1K_S1L_EUlS1K_E_NS1_11comp_targetILNS1_3genE5ELNS1_11target_archE942ELNS1_3gpuE9ELNS1_3repE0EEENS1_30default_config_static_selectorELNS0_4arch9wavefront6targetE0EEEvSY_
                                        ; -- End function
	.section	.AMDGPU.csdata,"",@progbits
; Kernel info:
; codeLenInByte = 0
; NumSgprs: 0
; NumVgprs: 0
; ScratchSize: 0
; MemoryBound: 0
; FloatMode: 240
; IeeeMode: 1
; LDSByteSize: 0 bytes/workgroup (compile time only)
; SGPRBlocks: 0
; VGPRBlocks: 0
; NumSGPRsForWavesPerEU: 1
; NumVGPRsForWavesPerEU: 1
; Occupancy: 16
; WaveLimiterHint : 0
; COMPUTE_PGM_RSRC2:SCRATCH_EN: 0
; COMPUTE_PGM_RSRC2:USER_SGPR: 15
; COMPUTE_PGM_RSRC2:TRAP_HANDLER: 0
; COMPUTE_PGM_RSRC2:TGID_X_EN: 1
; COMPUTE_PGM_RSRC2:TGID_Y_EN: 0
; COMPUTE_PGM_RSRC2:TGID_Z_EN: 0
; COMPUTE_PGM_RSRC2:TIDIG_COMP_CNT: 0
	.section	.text._ZN7rocprim17ROCPRIM_400000_NS6detail17trampoline_kernelINS0_13select_configILj256ELj13ELNS0_17block_load_methodE3ELS4_3ELS4_3ELNS0_20block_scan_algorithmE0ELj4294967295EEENS1_25partition_config_selectorILNS1_17partition_subalgoE3EjNS0_10empty_typeEbEEZZNS1_14partition_implILS8_3ELb0ES6_jNS0_17counting_iteratorIjlEEPS9_SE_NS0_5tupleIJPjSE_EEENSF_IJSE_SE_EEES9_SG_JZNS1_25segmented_radix_sort_implINS0_14default_configELb0EPKhPhPKlPlN2at6native12_GLOBAL__N_18offset_tEEE10hipError_tPvRmT1_PNSt15iterator_traitsISY_E10value_typeET2_T3_PNSZ_IS14_E10value_typeET4_jRbjT5_S1A_jjP12ihipStream_tbEUljE_EEESV_SW_SX_S14_S18_S1A_T6_T7_T9_mT8_S1C_bDpT10_ENKUlT_T0_E_clISt17integral_constantIbLb1EES1O_IbLb0EEEEDaS1K_S1L_EUlS1K_E_NS1_11comp_targetILNS1_3genE4ELNS1_11target_archE910ELNS1_3gpuE8ELNS1_3repE0EEENS1_30default_config_static_selectorELNS0_4arch9wavefront6targetE0EEEvSY_,"axG",@progbits,_ZN7rocprim17ROCPRIM_400000_NS6detail17trampoline_kernelINS0_13select_configILj256ELj13ELNS0_17block_load_methodE3ELS4_3ELS4_3ELNS0_20block_scan_algorithmE0ELj4294967295EEENS1_25partition_config_selectorILNS1_17partition_subalgoE3EjNS0_10empty_typeEbEEZZNS1_14partition_implILS8_3ELb0ES6_jNS0_17counting_iteratorIjlEEPS9_SE_NS0_5tupleIJPjSE_EEENSF_IJSE_SE_EEES9_SG_JZNS1_25segmented_radix_sort_implINS0_14default_configELb0EPKhPhPKlPlN2at6native12_GLOBAL__N_18offset_tEEE10hipError_tPvRmT1_PNSt15iterator_traitsISY_E10value_typeET2_T3_PNSZ_IS14_E10value_typeET4_jRbjT5_S1A_jjP12ihipStream_tbEUljE_EEESV_SW_SX_S14_S18_S1A_T6_T7_T9_mT8_S1C_bDpT10_ENKUlT_T0_E_clISt17integral_constantIbLb1EES1O_IbLb0EEEEDaS1K_S1L_EUlS1K_E_NS1_11comp_targetILNS1_3genE4ELNS1_11target_archE910ELNS1_3gpuE8ELNS1_3repE0EEENS1_30default_config_static_selectorELNS0_4arch9wavefront6targetE0EEEvSY_,comdat
	.globl	_ZN7rocprim17ROCPRIM_400000_NS6detail17trampoline_kernelINS0_13select_configILj256ELj13ELNS0_17block_load_methodE3ELS4_3ELS4_3ELNS0_20block_scan_algorithmE0ELj4294967295EEENS1_25partition_config_selectorILNS1_17partition_subalgoE3EjNS0_10empty_typeEbEEZZNS1_14partition_implILS8_3ELb0ES6_jNS0_17counting_iteratorIjlEEPS9_SE_NS0_5tupleIJPjSE_EEENSF_IJSE_SE_EEES9_SG_JZNS1_25segmented_radix_sort_implINS0_14default_configELb0EPKhPhPKlPlN2at6native12_GLOBAL__N_18offset_tEEE10hipError_tPvRmT1_PNSt15iterator_traitsISY_E10value_typeET2_T3_PNSZ_IS14_E10value_typeET4_jRbjT5_S1A_jjP12ihipStream_tbEUljE_EEESV_SW_SX_S14_S18_S1A_T6_T7_T9_mT8_S1C_bDpT10_ENKUlT_T0_E_clISt17integral_constantIbLb1EES1O_IbLb0EEEEDaS1K_S1L_EUlS1K_E_NS1_11comp_targetILNS1_3genE4ELNS1_11target_archE910ELNS1_3gpuE8ELNS1_3repE0EEENS1_30default_config_static_selectorELNS0_4arch9wavefront6targetE0EEEvSY_ ; -- Begin function _ZN7rocprim17ROCPRIM_400000_NS6detail17trampoline_kernelINS0_13select_configILj256ELj13ELNS0_17block_load_methodE3ELS4_3ELS4_3ELNS0_20block_scan_algorithmE0ELj4294967295EEENS1_25partition_config_selectorILNS1_17partition_subalgoE3EjNS0_10empty_typeEbEEZZNS1_14partition_implILS8_3ELb0ES6_jNS0_17counting_iteratorIjlEEPS9_SE_NS0_5tupleIJPjSE_EEENSF_IJSE_SE_EEES9_SG_JZNS1_25segmented_radix_sort_implINS0_14default_configELb0EPKhPhPKlPlN2at6native12_GLOBAL__N_18offset_tEEE10hipError_tPvRmT1_PNSt15iterator_traitsISY_E10value_typeET2_T3_PNSZ_IS14_E10value_typeET4_jRbjT5_S1A_jjP12ihipStream_tbEUljE_EEESV_SW_SX_S14_S18_S1A_T6_T7_T9_mT8_S1C_bDpT10_ENKUlT_T0_E_clISt17integral_constantIbLb1EES1O_IbLb0EEEEDaS1K_S1L_EUlS1K_E_NS1_11comp_targetILNS1_3genE4ELNS1_11target_archE910ELNS1_3gpuE8ELNS1_3repE0EEENS1_30default_config_static_selectorELNS0_4arch9wavefront6targetE0EEEvSY_
	.p2align	8
	.type	_ZN7rocprim17ROCPRIM_400000_NS6detail17trampoline_kernelINS0_13select_configILj256ELj13ELNS0_17block_load_methodE3ELS4_3ELS4_3ELNS0_20block_scan_algorithmE0ELj4294967295EEENS1_25partition_config_selectorILNS1_17partition_subalgoE3EjNS0_10empty_typeEbEEZZNS1_14partition_implILS8_3ELb0ES6_jNS0_17counting_iteratorIjlEEPS9_SE_NS0_5tupleIJPjSE_EEENSF_IJSE_SE_EEES9_SG_JZNS1_25segmented_radix_sort_implINS0_14default_configELb0EPKhPhPKlPlN2at6native12_GLOBAL__N_18offset_tEEE10hipError_tPvRmT1_PNSt15iterator_traitsISY_E10value_typeET2_T3_PNSZ_IS14_E10value_typeET4_jRbjT5_S1A_jjP12ihipStream_tbEUljE_EEESV_SW_SX_S14_S18_S1A_T6_T7_T9_mT8_S1C_bDpT10_ENKUlT_T0_E_clISt17integral_constantIbLb1EES1O_IbLb0EEEEDaS1K_S1L_EUlS1K_E_NS1_11comp_targetILNS1_3genE4ELNS1_11target_archE910ELNS1_3gpuE8ELNS1_3repE0EEENS1_30default_config_static_selectorELNS0_4arch9wavefront6targetE0EEEvSY_,@function
_ZN7rocprim17ROCPRIM_400000_NS6detail17trampoline_kernelINS0_13select_configILj256ELj13ELNS0_17block_load_methodE3ELS4_3ELS4_3ELNS0_20block_scan_algorithmE0ELj4294967295EEENS1_25partition_config_selectorILNS1_17partition_subalgoE3EjNS0_10empty_typeEbEEZZNS1_14partition_implILS8_3ELb0ES6_jNS0_17counting_iteratorIjlEEPS9_SE_NS0_5tupleIJPjSE_EEENSF_IJSE_SE_EEES9_SG_JZNS1_25segmented_radix_sort_implINS0_14default_configELb0EPKhPhPKlPlN2at6native12_GLOBAL__N_18offset_tEEE10hipError_tPvRmT1_PNSt15iterator_traitsISY_E10value_typeET2_T3_PNSZ_IS14_E10value_typeET4_jRbjT5_S1A_jjP12ihipStream_tbEUljE_EEESV_SW_SX_S14_S18_S1A_T6_T7_T9_mT8_S1C_bDpT10_ENKUlT_T0_E_clISt17integral_constantIbLb1EES1O_IbLb0EEEEDaS1K_S1L_EUlS1K_E_NS1_11comp_targetILNS1_3genE4ELNS1_11target_archE910ELNS1_3gpuE8ELNS1_3repE0EEENS1_30default_config_static_selectorELNS0_4arch9wavefront6targetE0EEEvSY_: ; @_ZN7rocprim17ROCPRIM_400000_NS6detail17trampoline_kernelINS0_13select_configILj256ELj13ELNS0_17block_load_methodE3ELS4_3ELS4_3ELNS0_20block_scan_algorithmE0ELj4294967295EEENS1_25partition_config_selectorILNS1_17partition_subalgoE3EjNS0_10empty_typeEbEEZZNS1_14partition_implILS8_3ELb0ES6_jNS0_17counting_iteratorIjlEEPS9_SE_NS0_5tupleIJPjSE_EEENSF_IJSE_SE_EEES9_SG_JZNS1_25segmented_radix_sort_implINS0_14default_configELb0EPKhPhPKlPlN2at6native12_GLOBAL__N_18offset_tEEE10hipError_tPvRmT1_PNSt15iterator_traitsISY_E10value_typeET2_T3_PNSZ_IS14_E10value_typeET4_jRbjT5_S1A_jjP12ihipStream_tbEUljE_EEESV_SW_SX_S14_S18_S1A_T6_T7_T9_mT8_S1C_bDpT10_ENKUlT_T0_E_clISt17integral_constantIbLb1EES1O_IbLb0EEEEDaS1K_S1L_EUlS1K_E_NS1_11comp_targetILNS1_3genE4ELNS1_11target_archE910ELNS1_3gpuE8ELNS1_3repE0EEENS1_30default_config_static_selectorELNS0_4arch9wavefront6targetE0EEEvSY_
; %bb.0:
	.section	.rodata,"a",@progbits
	.p2align	6, 0x0
	.amdhsa_kernel _ZN7rocprim17ROCPRIM_400000_NS6detail17trampoline_kernelINS0_13select_configILj256ELj13ELNS0_17block_load_methodE3ELS4_3ELS4_3ELNS0_20block_scan_algorithmE0ELj4294967295EEENS1_25partition_config_selectorILNS1_17partition_subalgoE3EjNS0_10empty_typeEbEEZZNS1_14partition_implILS8_3ELb0ES6_jNS0_17counting_iteratorIjlEEPS9_SE_NS0_5tupleIJPjSE_EEENSF_IJSE_SE_EEES9_SG_JZNS1_25segmented_radix_sort_implINS0_14default_configELb0EPKhPhPKlPlN2at6native12_GLOBAL__N_18offset_tEEE10hipError_tPvRmT1_PNSt15iterator_traitsISY_E10value_typeET2_T3_PNSZ_IS14_E10value_typeET4_jRbjT5_S1A_jjP12ihipStream_tbEUljE_EEESV_SW_SX_S14_S18_S1A_T6_T7_T9_mT8_S1C_bDpT10_ENKUlT_T0_E_clISt17integral_constantIbLb1EES1O_IbLb0EEEEDaS1K_S1L_EUlS1K_E_NS1_11comp_targetILNS1_3genE4ELNS1_11target_archE910ELNS1_3gpuE8ELNS1_3repE0EEENS1_30default_config_static_selectorELNS0_4arch9wavefront6targetE0EEEvSY_
		.amdhsa_group_segment_fixed_size 0
		.amdhsa_private_segment_fixed_size 0
		.amdhsa_kernarg_size 144
		.amdhsa_user_sgpr_count 15
		.amdhsa_user_sgpr_dispatch_ptr 0
		.amdhsa_user_sgpr_queue_ptr 0
		.amdhsa_user_sgpr_kernarg_segment_ptr 1
		.amdhsa_user_sgpr_dispatch_id 0
		.amdhsa_user_sgpr_private_segment_size 0
		.amdhsa_wavefront_size32 1
		.amdhsa_uses_dynamic_stack 0
		.amdhsa_enable_private_segment 0
		.amdhsa_system_sgpr_workgroup_id_x 1
		.amdhsa_system_sgpr_workgroup_id_y 0
		.amdhsa_system_sgpr_workgroup_id_z 0
		.amdhsa_system_sgpr_workgroup_info 0
		.amdhsa_system_vgpr_workitem_id 0
		.amdhsa_next_free_vgpr 1
		.amdhsa_next_free_sgpr 1
		.amdhsa_reserve_vcc 0
		.amdhsa_float_round_mode_32 0
		.amdhsa_float_round_mode_16_64 0
		.amdhsa_float_denorm_mode_32 3
		.amdhsa_float_denorm_mode_16_64 3
		.amdhsa_dx10_clamp 1
		.amdhsa_ieee_mode 1
		.amdhsa_fp16_overflow 0
		.amdhsa_workgroup_processor_mode 1
		.amdhsa_memory_ordered 1
		.amdhsa_forward_progress 0
		.amdhsa_shared_vgpr_count 0
		.amdhsa_exception_fp_ieee_invalid_op 0
		.amdhsa_exception_fp_denorm_src 0
		.amdhsa_exception_fp_ieee_div_zero 0
		.amdhsa_exception_fp_ieee_overflow 0
		.amdhsa_exception_fp_ieee_underflow 0
		.amdhsa_exception_fp_ieee_inexact 0
		.amdhsa_exception_int_div_zero 0
	.end_amdhsa_kernel
	.section	.text._ZN7rocprim17ROCPRIM_400000_NS6detail17trampoline_kernelINS0_13select_configILj256ELj13ELNS0_17block_load_methodE3ELS4_3ELS4_3ELNS0_20block_scan_algorithmE0ELj4294967295EEENS1_25partition_config_selectorILNS1_17partition_subalgoE3EjNS0_10empty_typeEbEEZZNS1_14partition_implILS8_3ELb0ES6_jNS0_17counting_iteratorIjlEEPS9_SE_NS0_5tupleIJPjSE_EEENSF_IJSE_SE_EEES9_SG_JZNS1_25segmented_radix_sort_implINS0_14default_configELb0EPKhPhPKlPlN2at6native12_GLOBAL__N_18offset_tEEE10hipError_tPvRmT1_PNSt15iterator_traitsISY_E10value_typeET2_T3_PNSZ_IS14_E10value_typeET4_jRbjT5_S1A_jjP12ihipStream_tbEUljE_EEESV_SW_SX_S14_S18_S1A_T6_T7_T9_mT8_S1C_bDpT10_ENKUlT_T0_E_clISt17integral_constantIbLb1EES1O_IbLb0EEEEDaS1K_S1L_EUlS1K_E_NS1_11comp_targetILNS1_3genE4ELNS1_11target_archE910ELNS1_3gpuE8ELNS1_3repE0EEENS1_30default_config_static_selectorELNS0_4arch9wavefront6targetE0EEEvSY_,"axG",@progbits,_ZN7rocprim17ROCPRIM_400000_NS6detail17trampoline_kernelINS0_13select_configILj256ELj13ELNS0_17block_load_methodE3ELS4_3ELS4_3ELNS0_20block_scan_algorithmE0ELj4294967295EEENS1_25partition_config_selectorILNS1_17partition_subalgoE3EjNS0_10empty_typeEbEEZZNS1_14partition_implILS8_3ELb0ES6_jNS0_17counting_iteratorIjlEEPS9_SE_NS0_5tupleIJPjSE_EEENSF_IJSE_SE_EEES9_SG_JZNS1_25segmented_radix_sort_implINS0_14default_configELb0EPKhPhPKlPlN2at6native12_GLOBAL__N_18offset_tEEE10hipError_tPvRmT1_PNSt15iterator_traitsISY_E10value_typeET2_T3_PNSZ_IS14_E10value_typeET4_jRbjT5_S1A_jjP12ihipStream_tbEUljE_EEESV_SW_SX_S14_S18_S1A_T6_T7_T9_mT8_S1C_bDpT10_ENKUlT_T0_E_clISt17integral_constantIbLb1EES1O_IbLb0EEEEDaS1K_S1L_EUlS1K_E_NS1_11comp_targetILNS1_3genE4ELNS1_11target_archE910ELNS1_3gpuE8ELNS1_3repE0EEENS1_30default_config_static_selectorELNS0_4arch9wavefront6targetE0EEEvSY_,comdat
.Lfunc_end172:
	.size	_ZN7rocprim17ROCPRIM_400000_NS6detail17trampoline_kernelINS0_13select_configILj256ELj13ELNS0_17block_load_methodE3ELS4_3ELS4_3ELNS0_20block_scan_algorithmE0ELj4294967295EEENS1_25partition_config_selectorILNS1_17partition_subalgoE3EjNS0_10empty_typeEbEEZZNS1_14partition_implILS8_3ELb0ES6_jNS0_17counting_iteratorIjlEEPS9_SE_NS0_5tupleIJPjSE_EEENSF_IJSE_SE_EEES9_SG_JZNS1_25segmented_radix_sort_implINS0_14default_configELb0EPKhPhPKlPlN2at6native12_GLOBAL__N_18offset_tEEE10hipError_tPvRmT1_PNSt15iterator_traitsISY_E10value_typeET2_T3_PNSZ_IS14_E10value_typeET4_jRbjT5_S1A_jjP12ihipStream_tbEUljE_EEESV_SW_SX_S14_S18_S1A_T6_T7_T9_mT8_S1C_bDpT10_ENKUlT_T0_E_clISt17integral_constantIbLb1EES1O_IbLb0EEEEDaS1K_S1L_EUlS1K_E_NS1_11comp_targetILNS1_3genE4ELNS1_11target_archE910ELNS1_3gpuE8ELNS1_3repE0EEENS1_30default_config_static_selectorELNS0_4arch9wavefront6targetE0EEEvSY_, .Lfunc_end172-_ZN7rocprim17ROCPRIM_400000_NS6detail17trampoline_kernelINS0_13select_configILj256ELj13ELNS0_17block_load_methodE3ELS4_3ELS4_3ELNS0_20block_scan_algorithmE0ELj4294967295EEENS1_25partition_config_selectorILNS1_17partition_subalgoE3EjNS0_10empty_typeEbEEZZNS1_14partition_implILS8_3ELb0ES6_jNS0_17counting_iteratorIjlEEPS9_SE_NS0_5tupleIJPjSE_EEENSF_IJSE_SE_EEES9_SG_JZNS1_25segmented_radix_sort_implINS0_14default_configELb0EPKhPhPKlPlN2at6native12_GLOBAL__N_18offset_tEEE10hipError_tPvRmT1_PNSt15iterator_traitsISY_E10value_typeET2_T3_PNSZ_IS14_E10value_typeET4_jRbjT5_S1A_jjP12ihipStream_tbEUljE_EEESV_SW_SX_S14_S18_S1A_T6_T7_T9_mT8_S1C_bDpT10_ENKUlT_T0_E_clISt17integral_constantIbLb1EES1O_IbLb0EEEEDaS1K_S1L_EUlS1K_E_NS1_11comp_targetILNS1_3genE4ELNS1_11target_archE910ELNS1_3gpuE8ELNS1_3repE0EEENS1_30default_config_static_selectorELNS0_4arch9wavefront6targetE0EEEvSY_
                                        ; -- End function
	.section	.AMDGPU.csdata,"",@progbits
; Kernel info:
; codeLenInByte = 0
; NumSgprs: 0
; NumVgprs: 0
; ScratchSize: 0
; MemoryBound: 0
; FloatMode: 240
; IeeeMode: 1
; LDSByteSize: 0 bytes/workgroup (compile time only)
; SGPRBlocks: 0
; VGPRBlocks: 0
; NumSGPRsForWavesPerEU: 1
; NumVGPRsForWavesPerEU: 1
; Occupancy: 16
; WaveLimiterHint : 0
; COMPUTE_PGM_RSRC2:SCRATCH_EN: 0
; COMPUTE_PGM_RSRC2:USER_SGPR: 15
; COMPUTE_PGM_RSRC2:TRAP_HANDLER: 0
; COMPUTE_PGM_RSRC2:TGID_X_EN: 1
; COMPUTE_PGM_RSRC2:TGID_Y_EN: 0
; COMPUTE_PGM_RSRC2:TGID_Z_EN: 0
; COMPUTE_PGM_RSRC2:TIDIG_COMP_CNT: 0
	.section	.text._ZN7rocprim17ROCPRIM_400000_NS6detail17trampoline_kernelINS0_13select_configILj256ELj13ELNS0_17block_load_methodE3ELS4_3ELS4_3ELNS0_20block_scan_algorithmE0ELj4294967295EEENS1_25partition_config_selectorILNS1_17partition_subalgoE3EjNS0_10empty_typeEbEEZZNS1_14partition_implILS8_3ELb0ES6_jNS0_17counting_iteratorIjlEEPS9_SE_NS0_5tupleIJPjSE_EEENSF_IJSE_SE_EEES9_SG_JZNS1_25segmented_radix_sort_implINS0_14default_configELb0EPKhPhPKlPlN2at6native12_GLOBAL__N_18offset_tEEE10hipError_tPvRmT1_PNSt15iterator_traitsISY_E10value_typeET2_T3_PNSZ_IS14_E10value_typeET4_jRbjT5_S1A_jjP12ihipStream_tbEUljE_EEESV_SW_SX_S14_S18_S1A_T6_T7_T9_mT8_S1C_bDpT10_ENKUlT_T0_E_clISt17integral_constantIbLb1EES1O_IbLb0EEEEDaS1K_S1L_EUlS1K_E_NS1_11comp_targetILNS1_3genE3ELNS1_11target_archE908ELNS1_3gpuE7ELNS1_3repE0EEENS1_30default_config_static_selectorELNS0_4arch9wavefront6targetE0EEEvSY_,"axG",@progbits,_ZN7rocprim17ROCPRIM_400000_NS6detail17trampoline_kernelINS0_13select_configILj256ELj13ELNS0_17block_load_methodE3ELS4_3ELS4_3ELNS0_20block_scan_algorithmE0ELj4294967295EEENS1_25partition_config_selectorILNS1_17partition_subalgoE3EjNS0_10empty_typeEbEEZZNS1_14partition_implILS8_3ELb0ES6_jNS0_17counting_iteratorIjlEEPS9_SE_NS0_5tupleIJPjSE_EEENSF_IJSE_SE_EEES9_SG_JZNS1_25segmented_radix_sort_implINS0_14default_configELb0EPKhPhPKlPlN2at6native12_GLOBAL__N_18offset_tEEE10hipError_tPvRmT1_PNSt15iterator_traitsISY_E10value_typeET2_T3_PNSZ_IS14_E10value_typeET4_jRbjT5_S1A_jjP12ihipStream_tbEUljE_EEESV_SW_SX_S14_S18_S1A_T6_T7_T9_mT8_S1C_bDpT10_ENKUlT_T0_E_clISt17integral_constantIbLb1EES1O_IbLb0EEEEDaS1K_S1L_EUlS1K_E_NS1_11comp_targetILNS1_3genE3ELNS1_11target_archE908ELNS1_3gpuE7ELNS1_3repE0EEENS1_30default_config_static_selectorELNS0_4arch9wavefront6targetE0EEEvSY_,comdat
	.globl	_ZN7rocprim17ROCPRIM_400000_NS6detail17trampoline_kernelINS0_13select_configILj256ELj13ELNS0_17block_load_methodE3ELS4_3ELS4_3ELNS0_20block_scan_algorithmE0ELj4294967295EEENS1_25partition_config_selectorILNS1_17partition_subalgoE3EjNS0_10empty_typeEbEEZZNS1_14partition_implILS8_3ELb0ES6_jNS0_17counting_iteratorIjlEEPS9_SE_NS0_5tupleIJPjSE_EEENSF_IJSE_SE_EEES9_SG_JZNS1_25segmented_radix_sort_implINS0_14default_configELb0EPKhPhPKlPlN2at6native12_GLOBAL__N_18offset_tEEE10hipError_tPvRmT1_PNSt15iterator_traitsISY_E10value_typeET2_T3_PNSZ_IS14_E10value_typeET4_jRbjT5_S1A_jjP12ihipStream_tbEUljE_EEESV_SW_SX_S14_S18_S1A_T6_T7_T9_mT8_S1C_bDpT10_ENKUlT_T0_E_clISt17integral_constantIbLb1EES1O_IbLb0EEEEDaS1K_S1L_EUlS1K_E_NS1_11comp_targetILNS1_3genE3ELNS1_11target_archE908ELNS1_3gpuE7ELNS1_3repE0EEENS1_30default_config_static_selectorELNS0_4arch9wavefront6targetE0EEEvSY_ ; -- Begin function _ZN7rocprim17ROCPRIM_400000_NS6detail17trampoline_kernelINS0_13select_configILj256ELj13ELNS0_17block_load_methodE3ELS4_3ELS4_3ELNS0_20block_scan_algorithmE0ELj4294967295EEENS1_25partition_config_selectorILNS1_17partition_subalgoE3EjNS0_10empty_typeEbEEZZNS1_14partition_implILS8_3ELb0ES6_jNS0_17counting_iteratorIjlEEPS9_SE_NS0_5tupleIJPjSE_EEENSF_IJSE_SE_EEES9_SG_JZNS1_25segmented_radix_sort_implINS0_14default_configELb0EPKhPhPKlPlN2at6native12_GLOBAL__N_18offset_tEEE10hipError_tPvRmT1_PNSt15iterator_traitsISY_E10value_typeET2_T3_PNSZ_IS14_E10value_typeET4_jRbjT5_S1A_jjP12ihipStream_tbEUljE_EEESV_SW_SX_S14_S18_S1A_T6_T7_T9_mT8_S1C_bDpT10_ENKUlT_T0_E_clISt17integral_constantIbLb1EES1O_IbLb0EEEEDaS1K_S1L_EUlS1K_E_NS1_11comp_targetILNS1_3genE3ELNS1_11target_archE908ELNS1_3gpuE7ELNS1_3repE0EEENS1_30default_config_static_selectorELNS0_4arch9wavefront6targetE0EEEvSY_
	.p2align	8
	.type	_ZN7rocprim17ROCPRIM_400000_NS6detail17trampoline_kernelINS0_13select_configILj256ELj13ELNS0_17block_load_methodE3ELS4_3ELS4_3ELNS0_20block_scan_algorithmE0ELj4294967295EEENS1_25partition_config_selectorILNS1_17partition_subalgoE3EjNS0_10empty_typeEbEEZZNS1_14partition_implILS8_3ELb0ES6_jNS0_17counting_iteratorIjlEEPS9_SE_NS0_5tupleIJPjSE_EEENSF_IJSE_SE_EEES9_SG_JZNS1_25segmented_radix_sort_implINS0_14default_configELb0EPKhPhPKlPlN2at6native12_GLOBAL__N_18offset_tEEE10hipError_tPvRmT1_PNSt15iterator_traitsISY_E10value_typeET2_T3_PNSZ_IS14_E10value_typeET4_jRbjT5_S1A_jjP12ihipStream_tbEUljE_EEESV_SW_SX_S14_S18_S1A_T6_T7_T9_mT8_S1C_bDpT10_ENKUlT_T0_E_clISt17integral_constantIbLb1EES1O_IbLb0EEEEDaS1K_S1L_EUlS1K_E_NS1_11comp_targetILNS1_3genE3ELNS1_11target_archE908ELNS1_3gpuE7ELNS1_3repE0EEENS1_30default_config_static_selectorELNS0_4arch9wavefront6targetE0EEEvSY_,@function
_ZN7rocprim17ROCPRIM_400000_NS6detail17trampoline_kernelINS0_13select_configILj256ELj13ELNS0_17block_load_methodE3ELS4_3ELS4_3ELNS0_20block_scan_algorithmE0ELj4294967295EEENS1_25partition_config_selectorILNS1_17partition_subalgoE3EjNS0_10empty_typeEbEEZZNS1_14partition_implILS8_3ELb0ES6_jNS0_17counting_iteratorIjlEEPS9_SE_NS0_5tupleIJPjSE_EEENSF_IJSE_SE_EEES9_SG_JZNS1_25segmented_radix_sort_implINS0_14default_configELb0EPKhPhPKlPlN2at6native12_GLOBAL__N_18offset_tEEE10hipError_tPvRmT1_PNSt15iterator_traitsISY_E10value_typeET2_T3_PNSZ_IS14_E10value_typeET4_jRbjT5_S1A_jjP12ihipStream_tbEUljE_EEESV_SW_SX_S14_S18_S1A_T6_T7_T9_mT8_S1C_bDpT10_ENKUlT_T0_E_clISt17integral_constantIbLb1EES1O_IbLb0EEEEDaS1K_S1L_EUlS1K_E_NS1_11comp_targetILNS1_3genE3ELNS1_11target_archE908ELNS1_3gpuE7ELNS1_3repE0EEENS1_30default_config_static_selectorELNS0_4arch9wavefront6targetE0EEEvSY_: ; @_ZN7rocprim17ROCPRIM_400000_NS6detail17trampoline_kernelINS0_13select_configILj256ELj13ELNS0_17block_load_methodE3ELS4_3ELS4_3ELNS0_20block_scan_algorithmE0ELj4294967295EEENS1_25partition_config_selectorILNS1_17partition_subalgoE3EjNS0_10empty_typeEbEEZZNS1_14partition_implILS8_3ELb0ES6_jNS0_17counting_iteratorIjlEEPS9_SE_NS0_5tupleIJPjSE_EEENSF_IJSE_SE_EEES9_SG_JZNS1_25segmented_radix_sort_implINS0_14default_configELb0EPKhPhPKlPlN2at6native12_GLOBAL__N_18offset_tEEE10hipError_tPvRmT1_PNSt15iterator_traitsISY_E10value_typeET2_T3_PNSZ_IS14_E10value_typeET4_jRbjT5_S1A_jjP12ihipStream_tbEUljE_EEESV_SW_SX_S14_S18_S1A_T6_T7_T9_mT8_S1C_bDpT10_ENKUlT_T0_E_clISt17integral_constantIbLb1EES1O_IbLb0EEEEDaS1K_S1L_EUlS1K_E_NS1_11comp_targetILNS1_3genE3ELNS1_11target_archE908ELNS1_3gpuE7ELNS1_3repE0EEENS1_30default_config_static_selectorELNS0_4arch9wavefront6targetE0EEEvSY_
; %bb.0:
	.section	.rodata,"a",@progbits
	.p2align	6, 0x0
	.amdhsa_kernel _ZN7rocprim17ROCPRIM_400000_NS6detail17trampoline_kernelINS0_13select_configILj256ELj13ELNS0_17block_load_methodE3ELS4_3ELS4_3ELNS0_20block_scan_algorithmE0ELj4294967295EEENS1_25partition_config_selectorILNS1_17partition_subalgoE3EjNS0_10empty_typeEbEEZZNS1_14partition_implILS8_3ELb0ES6_jNS0_17counting_iteratorIjlEEPS9_SE_NS0_5tupleIJPjSE_EEENSF_IJSE_SE_EEES9_SG_JZNS1_25segmented_radix_sort_implINS0_14default_configELb0EPKhPhPKlPlN2at6native12_GLOBAL__N_18offset_tEEE10hipError_tPvRmT1_PNSt15iterator_traitsISY_E10value_typeET2_T3_PNSZ_IS14_E10value_typeET4_jRbjT5_S1A_jjP12ihipStream_tbEUljE_EEESV_SW_SX_S14_S18_S1A_T6_T7_T9_mT8_S1C_bDpT10_ENKUlT_T0_E_clISt17integral_constantIbLb1EES1O_IbLb0EEEEDaS1K_S1L_EUlS1K_E_NS1_11comp_targetILNS1_3genE3ELNS1_11target_archE908ELNS1_3gpuE7ELNS1_3repE0EEENS1_30default_config_static_selectorELNS0_4arch9wavefront6targetE0EEEvSY_
		.amdhsa_group_segment_fixed_size 0
		.amdhsa_private_segment_fixed_size 0
		.amdhsa_kernarg_size 144
		.amdhsa_user_sgpr_count 15
		.amdhsa_user_sgpr_dispatch_ptr 0
		.amdhsa_user_sgpr_queue_ptr 0
		.amdhsa_user_sgpr_kernarg_segment_ptr 1
		.amdhsa_user_sgpr_dispatch_id 0
		.amdhsa_user_sgpr_private_segment_size 0
		.amdhsa_wavefront_size32 1
		.amdhsa_uses_dynamic_stack 0
		.amdhsa_enable_private_segment 0
		.amdhsa_system_sgpr_workgroup_id_x 1
		.amdhsa_system_sgpr_workgroup_id_y 0
		.amdhsa_system_sgpr_workgroup_id_z 0
		.amdhsa_system_sgpr_workgroup_info 0
		.amdhsa_system_vgpr_workitem_id 0
		.amdhsa_next_free_vgpr 1
		.amdhsa_next_free_sgpr 1
		.amdhsa_reserve_vcc 0
		.amdhsa_float_round_mode_32 0
		.amdhsa_float_round_mode_16_64 0
		.amdhsa_float_denorm_mode_32 3
		.amdhsa_float_denorm_mode_16_64 3
		.amdhsa_dx10_clamp 1
		.amdhsa_ieee_mode 1
		.amdhsa_fp16_overflow 0
		.amdhsa_workgroup_processor_mode 1
		.amdhsa_memory_ordered 1
		.amdhsa_forward_progress 0
		.amdhsa_shared_vgpr_count 0
		.amdhsa_exception_fp_ieee_invalid_op 0
		.amdhsa_exception_fp_denorm_src 0
		.amdhsa_exception_fp_ieee_div_zero 0
		.amdhsa_exception_fp_ieee_overflow 0
		.amdhsa_exception_fp_ieee_underflow 0
		.amdhsa_exception_fp_ieee_inexact 0
		.amdhsa_exception_int_div_zero 0
	.end_amdhsa_kernel
	.section	.text._ZN7rocprim17ROCPRIM_400000_NS6detail17trampoline_kernelINS0_13select_configILj256ELj13ELNS0_17block_load_methodE3ELS4_3ELS4_3ELNS0_20block_scan_algorithmE0ELj4294967295EEENS1_25partition_config_selectorILNS1_17partition_subalgoE3EjNS0_10empty_typeEbEEZZNS1_14partition_implILS8_3ELb0ES6_jNS0_17counting_iteratorIjlEEPS9_SE_NS0_5tupleIJPjSE_EEENSF_IJSE_SE_EEES9_SG_JZNS1_25segmented_radix_sort_implINS0_14default_configELb0EPKhPhPKlPlN2at6native12_GLOBAL__N_18offset_tEEE10hipError_tPvRmT1_PNSt15iterator_traitsISY_E10value_typeET2_T3_PNSZ_IS14_E10value_typeET4_jRbjT5_S1A_jjP12ihipStream_tbEUljE_EEESV_SW_SX_S14_S18_S1A_T6_T7_T9_mT8_S1C_bDpT10_ENKUlT_T0_E_clISt17integral_constantIbLb1EES1O_IbLb0EEEEDaS1K_S1L_EUlS1K_E_NS1_11comp_targetILNS1_3genE3ELNS1_11target_archE908ELNS1_3gpuE7ELNS1_3repE0EEENS1_30default_config_static_selectorELNS0_4arch9wavefront6targetE0EEEvSY_,"axG",@progbits,_ZN7rocprim17ROCPRIM_400000_NS6detail17trampoline_kernelINS0_13select_configILj256ELj13ELNS0_17block_load_methodE3ELS4_3ELS4_3ELNS0_20block_scan_algorithmE0ELj4294967295EEENS1_25partition_config_selectorILNS1_17partition_subalgoE3EjNS0_10empty_typeEbEEZZNS1_14partition_implILS8_3ELb0ES6_jNS0_17counting_iteratorIjlEEPS9_SE_NS0_5tupleIJPjSE_EEENSF_IJSE_SE_EEES9_SG_JZNS1_25segmented_radix_sort_implINS0_14default_configELb0EPKhPhPKlPlN2at6native12_GLOBAL__N_18offset_tEEE10hipError_tPvRmT1_PNSt15iterator_traitsISY_E10value_typeET2_T3_PNSZ_IS14_E10value_typeET4_jRbjT5_S1A_jjP12ihipStream_tbEUljE_EEESV_SW_SX_S14_S18_S1A_T6_T7_T9_mT8_S1C_bDpT10_ENKUlT_T0_E_clISt17integral_constantIbLb1EES1O_IbLb0EEEEDaS1K_S1L_EUlS1K_E_NS1_11comp_targetILNS1_3genE3ELNS1_11target_archE908ELNS1_3gpuE7ELNS1_3repE0EEENS1_30default_config_static_selectorELNS0_4arch9wavefront6targetE0EEEvSY_,comdat
.Lfunc_end173:
	.size	_ZN7rocprim17ROCPRIM_400000_NS6detail17trampoline_kernelINS0_13select_configILj256ELj13ELNS0_17block_load_methodE3ELS4_3ELS4_3ELNS0_20block_scan_algorithmE0ELj4294967295EEENS1_25partition_config_selectorILNS1_17partition_subalgoE3EjNS0_10empty_typeEbEEZZNS1_14partition_implILS8_3ELb0ES6_jNS0_17counting_iteratorIjlEEPS9_SE_NS0_5tupleIJPjSE_EEENSF_IJSE_SE_EEES9_SG_JZNS1_25segmented_radix_sort_implINS0_14default_configELb0EPKhPhPKlPlN2at6native12_GLOBAL__N_18offset_tEEE10hipError_tPvRmT1_PNSt15iterator_traitsISY_E10value_typeET2_T3_PNSZ_IS14_E10value_typeET4_jRbjT5_S1A_jjP12ihipStream_tbEUljE_EEESV_SW_SX_S14_S18_S1A_T6_T7_T9_mT8_S1C_bDpT10_ENKUlT_T0_E_clISt17integral_constantIbLb1EES1O_IbLb0EEEEDaS1K_S1L_EUlS1K_E_NS1_11comp_targetILNS1_3genE3ELNS1_11target_archE908ELNS1_3gpuE7ELNS1_3repE0EEENS1_30default_config_static_selectorELNS0_4arch9wavefront6targetE0EEEvSY_, .Lfunc_end173-_ZN7rocprim17ROCPRIM_400000_NS6detail17trampoline_kernelINS0_13select_configILj256ELj13ELNS0_17block_load_methodE3ELS4_3ELS4_3ELNS0_20block_scan_algorithmE0ELj4294967295EEENS1_25partition_config_selectorILNS1_17partition_subalgoE3EjNS0_10empty_typeEbEEZZNS1_14partition_implILS8_3ELb0ES6_jNS0_17counting_iteratorIjlEEPS9_SE_NS0_5tupleIJPjSE_EEENSF_IJSE_SE_EEES9_SG_JZNS1_25segmented_radix_sort_implINS0_14default_configELb0EPKhPhPKlPlN2at6native12_GLOBAL__N_18offset_tEEE10hipError_tPvRmT1_PNSt15iterator_traitsISY_E10value_typeET2_T3_PNSZ_IS14_E10value_typeET4_jRbjT5_S1A_jjP12ihipStream_tbEUljE_EEESV_SW_SX_S14_S18_S1A_T6_T7_T9_mT8_S1C_bDpT10_ENKUlT_T0_E_clISt17integral_constantIbLb1EES1O_IbLb0EEEEDaS1K_S1L_EUlS1K_E_NS1_11comp_targetILNS1_3genE3ELNS1_11target_archE908ELNS1_3gpuE7ELNS1_3repE0EEENS1_30default_config_static_selectorELNS0_4arch9wavefront6targetE0EEEvSY_
                                        ; -- End function
	.section	.AMDGPU.csdata,"",@progbits
; Kernel info:
; codeLenInByte = 0
; NumSgprs: 0
; NumVgprs: 0
; ScratchSize: 0
; MemoryBound: 0
; FloatMode: 240
; IeeeMode: 1
; LDSByteSize: 0 bytes/workgroup (compile time only)
; SGPRBlocks: 0
; VGPRBlocks: 0
; NumSGPRsForWavesPerEU: 1
; NumVGPRsForWavesPerEU: 1
; Occupancy: 16
; WaveLimiterHint : 0
; COMPUTE_PGM_RSRC2:SCRATCH_EN: 0
; COMPUTE_PGM_RSRC2:USER_SGPR: 15
; COMPUTE_PGM_RSRC2:TRAP_HANDLER: 0
; COMPUTE_PGM_RSRC2:TGID_X_EN: 1
; COMPUTE_PGM_RSRC2:TGID_Y_EN: 0
; COMPUTE_PGM_RSRC2:TGID_Z_EN: 0
; COMPUTE_PGM_RSRC2:TIDIG_COMP_CNT: 0
	.section	.text._ZN7rocprim17ROCPRIM_400000_NS6detail17trampoline_kernelINS0_13select_configILj256ELj13ELNS0_17block_load_methodE3ELS4_3ELS4_3ELNS0_20block_scan_algorithmE0ELj4294967295EEENS1_25partition_config_selectorILNS1_17partition_subalgoE3EjNS0_10empty_typeEbEEZZNS1_14partition_implILS8_3ELb0ES6_jNS0_17counting_iteratorIjlEEPS9_SE_NS0_5tupleIJPjSE_EEENSF_IJSE_SE_EEES9_SG_JZNS1_25segmented_radix_sort_implINS0_14default_configELb0EPKhPhPKlPlN2at6native12_GLOBAL__N_18offset_tEEE10hipError_tPvRmT1_PNSt15iterator_traitsISY_E10value_typeET2_T3_PNSZ_IS14_E10value_typeET4_jRbjT5_S1A_jjP12ihipStream_tbEUljE_EEESV_SW_SX_S14_S18_S1A_T6_T7_T9_mT8_S1C_bDpT10_ENKUlT_T0_E_clISt17integral_constantIbLb1EES1O_IbLb0EEEEDaS1K_S1L_EUlS1K_E_NS1_11comp_targetILNS1_3genE2ELNS1_11target_archE906ELNS1_3gpuE6ELNS1_3repE0EEENS1_30default_config_static_selectorELNS0_4arch9wavefront6targetE0EEEvSY_,"axG",@progbits,_ZN7rocprim17ROCPRIM_400000_NS6detail17trampoline_kernelINS0_13select_configILj256ELj13ELNS0_17block_load_methodE3ELS4_3ELS4_3ELNS0_20block_scan_algorithmE0ELj4294967295EEENS1_25partition_config_selectorILNS1_17partition_subalgoE3EjNS0_10empty_typeEbEEZZNS1_14partition_implILS8_3ELb0ES6_jNS0_17counting_iteratorIjlEEPS9_SE_NS0_5tupleIJPjSE_EEENSF_IJSE_SE_EEES9_SG_JZNS1_25segmented_radix_sort_implINS0_14default_configELb0EPKhPhPKlPlN2at6native12_GLOBAL__N_18offset_tEEE10hipError_tPvRmT1_PNSt15iterator_traitsISY_E10value_typeET2_T3_PNSZ_IS14_E10value_typeET4_jRbjT5_S1A_jjP12ihipStream_tbEUljE_EEESV_SW_SX_S14_S18_S1A_T6_T7_T9_mT8_S1C_bDpT10_ENKUlT_T0_E_clISt17integral_constantIbLb1EES1O_IbLb0EEEEDaS1K_S1L_EUlS1K_E_NS1_11comp_targetILNS1_3genE2ELNS1_11target_archE906ELNS1_3gpuE6ELNS1_3repE0EEENS1_30default_config_static_selectorELNS0_4arch9wavefront6targetE0EEEvSY_,comdat
	.globl	_ZN7rocprim17ROCPRIM_400000_NS6detail17trampoline_kernelINS0_13select_configILj256ELj13ELNS0_17block_load_methodE3ELS4_3ELS4_3ELNS0_20block_scan_algorithmE0ELj4294967295EEENS1_25partition_config_selectorILNS1_17partition_subalgoE3EjNS0_10empty_typeEbEEZZNS1_14partition_implILS8_3ELb0ES6_jNS0_17counting_iteratorIjlEEPS9_SE_NS0_5tupleIJPjSE_EEENSF_IJSE_SE_EEES9_SG_JZNS1_25segmented_radix_sort_implINS0_14default_configELb0EPKhPhPKlPlN2at6native12_GLOBAL__N_18offset_tEEE10hipError_tPvRmT1_PNSt15iterator_traitsISY_E10value_typeET2_T3_PNSZ_IS14_E10value_typeET4_jRbjT5_S1A_jjP12ihipStream_tbEUljE_EEESV_SW_SX_S14_S18_S1A_T6_T7_T9_mT8_S1C_bDpT10_ENKUlT_T0_E_clISt17integral_constantIbLb1EES1O_IbLb0EEEEDaS1K_S1L_EUlS1K_E_NS1_11comp_targetILNS1_3genE2ELNS1_11target_archE906ELNS1_3gpuE6ELNS1_3repE0EEENS1_30default_config_static_selectorELNS0_4arch9wavefront6targetE0EEEvSY_ ; -- Begin function _ZN7rocprim17ROCPRIM_400000_NS6detail17trampoline_kernelINS0_13select_configILj256ELj13ELNS0_17block_load_methodE3ELS4_3ELS4_3ELNS0_20block_scan_algorithmE0ELj4294967295EEENS1_25partition_config_selectorILNS1_17partition_subalgoE3EjNS0_10empty_typeEbEEZZNS1_14partition_implILS8_3ELb0ES6_jNS0_17counting_iteratorIjlEEPS9_SE_NS0_5tupleIJPjSE_EEENSF_IJSE_SE_EEES9_SG_JZNS1_25segmented_radix_sort_implINS0_14default_configELb0EPKhPhPKlPlN2at6native12_GLOBAL__N_18offset_tEEE10hipError_tPvRmT1_PNSt15iterator_traitsISY_E10value_typeET2_T3_PNSZ_IS14_E10value_typeET4_jRbjT5_S1A_jjP12ihipStream_tbEUljE_EEESV_SW_SX_S14_S18_S1A_T6_T7_T9_mT8_S1C_bDpT10_ENKUlT_T0_E_clISt17integral_constantIbLb1EES1O_IbLb0EEEEDaS1K_S1L_EUlS1K_E_NS1_11comp_targetILNS1_3genE2ELNS1_11target_archE906ELNS1_3gpuE6ELNS1_3repE0EEENS1_30default_config_static_selectorELNS0_4arch9wavefront6targetE0EEEvSY_
	.p2align	8
	.type	_ZN7rocprim17ROCPRIM_400000_NS6detail17trampoline_kernelINS0_13select_configILj256ELj13ELNS0_17block_load_methodE3ELS4_3ELS4_3ELNS0_20block_scan_algorithmE0ELj4294967295EEENS1_25partition_config_selectorILNS1_17partition_subalgoE3EjNS0_10empty_typeEbEEZZNS1_14partition_implILS8_3ELb0ES6_jNS0_17counting_iteratorIjlEEPS9_SE_NS0_5tupleIJPjSE_EEENSF_IJSE_SE_EEES9_SG_JZNS1_25segmented_radix_sort_implINS0_14default_configELb0EPKhPhPKlPlN2at6native12_GLOBAL__N_18offset_tEEE10hipError_tPvRmT1_PNSt15iterator_traitsISY_E10value_typeET2_T3_PNSZ_IS14_E10value_typeET4_jRbjT5_S1A_jjP12ihipStream_tbEUljE_EEESV_SW_SX_S14_S18_S1A_T6_T7_T9_mT8_S1C_bDpT10_ENKUlT_T0_E_clISt17integral_constantIbLb1EES1O_IbLb0EEEEDaS1K_S1L_EUlS1K_E_NS1_11comp_targetILNS1_3genE2ELNS1_11target_archE906ELNS1_3gpuE6ELNS1_3repE0EEENS1_30default_config_static_selectorELNS0_4arch9wavefront6targetE0EEEvSY_,@function
_ZN7rocprim17ROCPRIM_400000_NS6detail17trampoline_kernelINS0_13select_configILj256ELj13ELNS0_17block_load_methodE3ELS4_3ELS4_3ELNS0_20block_scan_algorithmE0ELj4294967295EEENS1_25partition_config_selectorILNS1_17partition_subalgoE3EjNS0_10empty_typeEbEEZZNS1_14partition_implILS8_3ELb0ES6_jNS0_17counting_iteratorIjlEEPS9_SE_NS0_5tupleIJPjSE_EEENSF_IJSE_SE_EEES9_SG_JZNS1_25segmented_radix_sort_implINS0_14default_configELb0EPKhPhPKlPlN2at6native12_GLOBAL__N_18offset_tEEE10hipError_tPvRmT1_PNSt15iterator_traitsISY_E10value_typeET2_T3_PNSZ_IS14_E10value_typeET4_jRbjT5_S1A_jjP12ihipStream_tbEUljE_EEESV_SW_SX_S14_S18_S1A_T6_T7_T9_mT8_S1C_bDpT10_ENKUlT_T0_E_clISt17integral_constantIbLb1EES1O_IbLb0EEEEDaS1K_S1L_EUlS1K_E_NS1_11comp_targetILNS1_3genE2ELNS1_11target_archE906ELNS1_3gpuE6ELNS1_3repE0EEENS1_30default_config_static_selectorELNS0_4arch9wavefront6targetE0EEEvSY_: ; @_ZN7rocprim17ROCPRIM_400000_NS6detail17trampoline_kernelINS0_13select_configILj256ELj13ELNS0_17block_load_methodE3ELS4_3ELS4_3ELNS0_20block_scan_algorithmE0ELj4294967295EEENS1_25partition_config_selectorILNS1_17partition_subalgoE3EjNS0_10empty_typeEbEEZZNS1_14partition_implILS8_3ELb0ES6_jNS0_17counting_iteratorIjlEEPS9_SE_NS0_5tupleIJPjSE_EEENSF_IJSE_SE_EEES9_SG_JZNS1_25segmented_radix_sort_implINS0_14default_configELb0EPKhPhPKlPlN2at6native12_GLOBAL__N_18offset_tEEE10hipError_tPvRmT1_PNSt15iterator_traitsISY_E10value_typeET2_T3_PNSZ_IS14_E10value_typeET4_jRbjT5_S1A_jjP12ihipStream_tbEUljE_EEESV_SW_SX_S14_S18_S1A_T6_T7_T9_mT8_S1C_bDpT10_ENKUlT_T0_E_clISt17integral_constantIbLb1EES1O_IbLb0EEEEDaS1K_S1L_EUlS1K_E_NS1_11comp_targetILNS1_3genE2ELNS1_11target_archE906ELNS1_3gpuE6ELNS1_3repE0EEENS1_30default_config_static_selectorELNS0_4arch9wavefront6targetE0EEEvSY_
; %bb.0:
	.section	.rodata,"a",@progbits
	.p2align	6, 0x0
	.amdhsa_kernel _ZN7rocprim17ROCPRIM_400000_NS6detail17trampoline_kernelINS0_13select_configILj256ELj13ELNS0_17block_load_methodE3ELS4_3ELS4_3ELNS0_20block_scan_algorithmE0ELj4294967295EEENS1_25partition_config_selectorILNS1_17partition_subalgoE3EjNS0_10empty_typeEbEEZZNS1_14partition_implILS8_3ELb0ES6_jNS0_17counting_iteratorIjlEEPS9_SE_NS0_5tupleIJPjSE_EEENSF_IJSE_SE_EEES9_SG_JZNS1_25segmented_radix_sort_implINS0_14default_configELb0EPKhPhPKlPlN2at6native12_GLOBAL__N_18offset_tEEE10hipError_tPvRmT1_PNSt15iterator_traitsISY_E10value_typeET2_T3_PNSZ_IS14_E10value_typeET4_jRbjT5_S1A_jjP12ihipStream_tbEUljE_EEESV_SW_SX_S14_S18_S1A_T6_T7_T9_mT8_S1C_bDpT10_ENKUlT_T0_E_clISt17integral_constantIbLb1EES1O_IbLb0EEEEDaS1K_S1L_EUlS1K_E_NS1_11comp_targetILNS1_3genE2ELNS1_11target_archE906ELNS1_3gpuE6ELNS1_3repE0EEENS1_30default_config_static_selectorELNS0_4arch9wavefront6targetE0EEEvSY_
		.amdhsa_group_segment_fixed_size 0
		.amdhsa_private_segment_fixed_size 0
		.amdhsa_kernarg_size 144
		.amdhsa_user_sgpr_count 15
		.amdhsa_user_sgpr_dispatch_ptr 0
		.amdhsa_user_sgpr_queue_ptr 0
		.amdhsa_user_sgpr_kernarg_segment_ptr 1
		.amdhsa_user_sgpr_dispatch_id 0
		.amdhsa_user_sgpr_private_segment_size 0
		.amdhsa_wavefront_size32 1
		.amdhsa_uses_dynamic_stack 0
		.amdhsa_enable_private_segment 0
		.amdhsa_system_sgpr_workgroup_id_x 1
		.amdhsa_system_sgpr_workgroup_id_y 0
		.amdhsa_system_sgpr_workgroup_id_z 0
		.amdhsa_system_sgpr_workgroup_info 0
		.amdhsa_system_vgpr_workitem_id 0
		.amdhsa_next_free_vgpr 1
		.amdhsa_next_free_sgpr 1
		.amdhsa_reserve_vcc 0
		.amdhsa_float_round_mode_32 0
		.amdhsa_float_round_mode_16_64 0
		.amdhsa_float_denorm_mode_32 3
		.amdhsa_float_denorm_mode_16_64 3
		.amdhsa_dx10_clamp 1
		.amdhsa_ieee_mode 1
		.amdhsa_fp16_overflow 0
		.amdhsa_workgroup_processor_mode 1
		.amdhsa_memory_ordered 1
		.amdhsa_forward_progress 0
		.amdhsa_shared_vgpr_count 0
		.amdhsa_exception_fp_ieee_invalid_op 0
		.amdhsa_exception_fp_denorm_src 0
		.amdhsa_exception_fp_ieee_div_zero 0
		.amdhsa_exception_fp_ieee_overflow 0
		.amdhsa_exception_fp_ieee_underflow 0
		.amdhsa_exception_fp_ieee_inexact 0
		.amdhsa_exception_int_div_zero 0
	.end_amdhsa_kernel
	.section	.text._ZN7rocprim17ROCPRIM_400000_NS6detail17trampoline_kernelINS0_13select_configILj256ELj13ELNS0_17block_load_methodE3ELS4_3ELS4_3ELNS0_20block_scan_algorithmE0ELj4294967295EEENS1_25partition_config_selectorILNS1_17partition_subalgoE3EjNS0_10empty_typeEbEEZZNS1_14partition_implILS8_3ELb0ES6_jNS0_17counting_iteratorIjlEEPS9_SE_NS0_5tupleIJPjSE_EEENSF_IJSE_SE_EEES9_SG_JZNS1_25segmented_radix_sort_implINS0_14default_configELb0EPKhPhPKlPlN2at6native12_GLOBAL__N_18offset_tEEE10hipError_tPvRmT1_PNSt15iterator_traitsISY_E10value_typeET2_T3_PNSZ_IS14_E10value_typeET4_jRbjT5_S1A_jjP12ihipStream_tbEUljE_EEESV_SW_SX_S14_S18_S1A_T6_T7_T9_mT8_S1C_bDpT10_ENKUlT_T0_E_clISt17integral_constantIbLb1EES1O_IbLb0EEEEDaS1K_S1L_EUlS1K_E_NS1_11comp_targetILNS1_3genE2ELNS1_11target_archE906ELNS1_3gpuE6ELNS1_3repE0EEENS1_30default_config_static_selectorELNS0_4arch9wavefront6targetE0EEEvSY_,"axG",@progbits,_ZN7rocprim17ROCPRIM_400000_NS6detail17trampoline_kernelINS0_13select_configILj256ELj13ELNS0_17block_load_methodE3ELS4_3ELS4_3ELNS0_20block_scan_algorithmE0ELj4294967295EEENS1_25partition_config_selectorILNS1_17partition_subalgoE3EjNS0_10empty_typeEbEEZZNS1_14partition_implILS8_3ELb0ES6_jNS0_17counting_iteratorIjlEEPS9_SE_NS0_5tupleIJPjSE_EEENSF_IJSE_SE_EEES9_SG_JZNS1_25segmented_radix_sort_implINS0_14default_configELb0EPKhPhPKlPlN2at6native12_GLOBAL__N_18offset_tEEE10hipError_tPvRmT1_PNSt15iterator_traitsISY_E10value_typeET2_T3_PNSZ_IS14_E10value_typeET4_jRbjT5_S1A_jjP12ihipStream_tbEUljE_EEESV_SW_SX_S14_S18_S1A_T6_T7_T9_mT8_S1C_bDpT10_ENKUlT_T0_E_clISt17integral_constantIbLb1EES1O_IbLb0EEEEDaS1K_S1L_EUlS1K_E_NS1_11comp_targetILNS1_3genE2ELNS1_11target_archE906ELNS1_3gpuE6ELNS1_3repE0EEENS1_30default_config_static_selectorELNS0_4arch9wavefront6targetE0EEEvSY_,comdat
.Lfunc_end174:
	.size	_ZN7rocprim17ROCPRIM_400000_NS6detail17trampoline_kernelINS0_13select_configILj256ELj13ELNS0_17block_load_methodE3ELS4_3ELS4_3ELNS0_20block_scan_algorithmE0ELj4294967295EEENS1_25partition_config_selectorILNS1_17partition_subalgoE3EjNS0_10empty_typeEbEEZZNS1_14partition_implILS8_3ELb0ES6_jNS0_17counting_iteratorIjlEEPS9_SE_NS0_5tupleIJPjSE_EEENSF_IJSE_SE_EEES9_SG_JZNS1_25segmented_radix_sort_implINS0_14default_configELb0EPKhPhPKlPlN2at6native12_GLOBAL__N_18offset_tEEE10hipError_tPvRmT1_PNSt15iterator_traitsISY_E10value_typeET2_T3_PNSZ_IS14_E10value_typeET4_jRbjT5_S1A_jjP12ihipStream_tbEUljE_EEESV_SW_SX_S14_S18_S1A_T6_T7_T9_mT8_S1C_bDpT10_ENKUlT_T0_E_clISt17integral_constantIbLb1EES1O_IbLb0EEEEDaS1K_S1L_EUlS1K_E_NS1_11comp_targetILNS1_3genE2ELNS1_11target_archE906ELNS1_3gpuE6ELNS1_3repE0EEENS1_30default_config_static_selectorELNS0_4arch9wavefront6targetE0EEEvSY_, .Lfunc_end174-_ZN7rocprim17ROCPRIM_400000_NS6detail17trampoline_kernelINS0_13select_configILj256ELj13ELNS0_17block_load_methodE3ELS4_3ELS4_3ELNS0_20block_scan_algorithmE0ELj4294967295EEENS1_25partition_config_selectorILNS1_17partition_subalgoE3EjNS0_10empty_typeEbEEZZNS1_14partition_implILS8_3ELb0ES6_jNS0_17counting_iteratorIjlEEPS9_SE_NS0_5tupleIJPjSE_EEENSF_IJSE_SE_EEES9_SG_JZNS1_25segmented_radix_sort_implINS0_14default_configELb0EPKhPhPKlPlN2at6native12_GLOBAL__N_18offset_tEEE10hipError_tPvRmT1_PNSt15iterator_traitsISY_E10value_typeET2_T3_PNSZ_IS14_E10value_typeET4_jRbjT5_S1A_jjP12ihipStream_tbEUljE_EEESV_SW_SX_S14_S18_S1A_T6_T7_T9_mT8_S1C_bDpT10_ENKUlT_T0_E_clISt17integral_constantIbLb1EES1O_IbLb0EEEEDaS1K_S1L_EUlS1K_E_NS1_11comp_targetILNS1_3genE2ELNS1_11target_archE906ELNS1_3gpuE6ELNS1_3repE0EEENS1_30default_config_static_selectorELNS0_4arch9wavefront6targetE0EEEvSY_
                                        ; -- End function
	.section	.AMDGPU.csdata,"",@progbits
; Kernel info:
; codeLenInByte = 0
; NumSgprs: 0
; NumVgprs: 0
; ScratchSize: 0
; MemoryBound: 0
; FloatMode: 240
; IeeeMode: 1
; LDSByteSize: 0 bytes/workgroup (compile time only)
; SGPRBlocks: 0
; VGPRBlocks: 0
; NumSGPRsForWavesPerEU: 1
; NumVGPRsForWavesPerEU: 1
; Occupancy: 16
; WaveLimiterHint : 0
; COMPUTE_PGM_RSRC2:SCRATCH_EN: 0
; COMPUTE_PGM_RSRC2:USER_SGPR: 15
; COMPUTE_PGM_RSRC2:TRAP_HANDLER: 0
; COMPUTE_PGM_RSRC2:TGID_X_EN: 1
; COMPUTE_PGM_RSRC2:TGID_Y_EN: 0
; COMPUTE_PGM_RSRC2:TGID_Z_EN: 0
; COMPUTE_PGM_RSRC2:TIDIG_COMP_CNT: 0
	.section	.text._ZN7rocprim17ROCPRIM_400000_NS6detail17trampoline_kernelINS0_13select_configILj256ELj13ELNS0_17block_load_methodE3ELS4_3ELS4_3ELNS0_20block_scan_algorithmE0ELj4294967295EEENS1_25partition_config_selectorILNS1_17partition_subalgoE3EjNS0_10empty_typeEbEEZZNS1_14partition_implILS8_3ELb0ES6_jNS0_17counting_iteratorIjlEEPS9_SE_NS0_5tupleIJPjSE_EEENSF_IJSE_SE_EEES9_SG_JZNS1_25segmented_radix_sort_implINS0_14default_configELb0EPKhPhPKlPlN2at6native12_GLOBAL__N_18offset_tEEE10hipError_tPvRmT1_PNSt15iterator_traitsISY_E10value_typeET2_T3_PNSZ_IS14_E10value_typeET4_jRbjT5_S1A_jjP12ihipStream_tbEUljE_EEESV_SW_SX_S14_S18_S1A_T6_T7_T9_mT8_S1C_bDpT10_ENKUlT_T0_E_clISt17integral_constantIbLb1EES1O_IbLb0EEEEDaS1K_S1L_EUlS1K_E_NS1_11comp_targetILNS1_3genE10ELNS1_11target_archE1200ELNS1_3gpuE4ELNS1_3repE0EEENS1_30default_config_static_selectorELNS0_4arch9wavefront6targetE0EEEvSY_,"axG",@progbits,_ZN7rocprim17ROCPRIM_400000_NS6detail17trampoline_kernelINS0_13select_configILj256ELj13ELNS0_17block_load_methodE3ELS4_3ELS4_3ELNS0_20block_scan_algorithmE0ELj4294967295EEENS1_25partition_config_selectorILNS1_17partition_subalgoE3EjNS0_10empty_typeEbEEZZNS1_14partition_implILS8_3ELb0ES6_jNS0_17counting_iteratorIjlEEPS9_SE_NS0_5tupleIJPjSE_EEENSF_IJSE_SE_EEES9_SG_JZNS1_25segmented_radix_sort_implINS0_14default_configELb0EPKhPhPKlPlN2at6native12_GLOBAL__N_18offset_tEEE10hipError_tPvRmT1_PNSt15iterator_traitsISY_E10value_typeET2_T3_PNSZ_IS14_E10value_typeET4_jRbjT5_S1A_jjP12ihipStream_tbEUljE_EEESV_SW_SX_S14_S18_S1A_T6_T7_T9_mT8_S1C_bDpT10_ENKUlT_T0_E_clISt17integral_constantIbLb1EES1O_IbLb0EEEEDaS1K_S1L_EUlS1K_E_NS1_11comp_targetILNS1_3genE10ELNS1_11target_archE1200ELNS1_3gpuE4ELNS1_3repE0EEENS1_30default_config_static_selectorELNS0_4arch9wavefront6targetE0EEEvSY_,comdat
	.globl	_ZN7rocprim17ROCPRIM_400000_NS6detail17trampoline_kernelINS0_13select_configILj256ELj13ELNS0_17block_load_methodE3ELS4_3ELS4_3ELNS0_20block_scan_algorithmE0ELj4294967295EEENS1_25partition_config_selectorILNS1_17partition_subalgoE3EjNS0_10empty_typeEbEEZZNS1_14partition_implILS8_3ELb0ES6_jNS0_17counting_iteratorIjlEEPS9_SE_NS0_5tupleIJPjSE_EEENSF_IJSE_SE_EEES9_SG_JZNS1_25segmented_radix_sort_implINS0_14default_configELb0EPKhPhPKlPlN2at6native12_GLOBAL__N_18offset_tEEE10hipError_tPvRmT1_PNSt15iterator_traitsISY_E10value_typeET2_T3_PNSZ_IS14_E10value_typeET4_jRbjT5_S1A_jjP12ihipStream_tbEUljE_EEESV_SW_SX_S14_S18_S1A_T6_T7_T9_mT8_S1C_bDpT10_ENKUlT_T0_E_clISt17integral_constantIbLb1EES1O_IbLb0EEEEDaS1K_S1L_EUlS1K_E_NS1_11comp_targetILNS1_3genE10ELNS1_11target_archE1200ELNS1_3gpuE4ELNS1_3repE0EEENS1_30default_config_static_selectorELNS0_4arch9wavefront6targetE0EEEvSY_ ; -- Begin function _ZN7rocprim17ROCPRIM_400000_NS6detail17trampoline_kernelINS0_13select_configILj256ELj13ELNS0_17block_load_methodE3ELS4_3ELS4_3ELNS0_20block_scan_algorithmE0ELj4294967295EEENS1_25partition_config_selectorILNS1_17partition_subalgoE3EjNS0_10empty_typeEbEEZZNS1_14partition_implILS8_3ELb0ES6_jNS0_17counting_iteratorIjlEEPS9_SE_NS0_5tupleIJPjSE_EEENSF_IJSE_SE_EEES9_SG_JZNS1_25segmented_radix_sort_implINS0_14default_configELb0EPKhPhPKlPlN2at6native12_GLOBAL__N_18offset_tEEE10hipError_tPvRmT1_PNSt15iterator_traitsISY_E10value_typeET2_T3_PNSZ_IS14_E10value_typeET4_jRbjT5_S1A_jjP12ihipStream_tbEUljE_EEESV_SW_SX_S14_S18_S1A_T6_T7_T9_mT8_S1C_bDpT10_ENKUlT_T0_E_clISt17integral_constantIbLb1EES1O_IbLb0EEEEDaS1K_S1L_EUlS1K_E_NS1_11comp_targetILNS1_3genE10ELNS1_11target_archE1200ELNS1_3gpuE4ELNS1_3repE0EEENS1_30default_config_static_selectorELNS0_4arch9wavefront6targetE0EEEvSY_
	.p2align	8
	.type	_ZN7rocprim17ROCPRIM_400000_NS6detail17trampoline_kernelINS0_13select_configILj256ELj13ELNS0_17block_load_methodE3ELS4_3ELS4_3ELNS0_20block_scan_algorithmE0ELj4294967295EEENS1_25partition_config_selectorILNS1_17partition_subalgoE3EjNS0_10empty_typeEbEEZZNS1_14partition_implILS8_3ELb0ES6_jNS0_17counting_iteratorIjlEEPS9_SE_NS0_5tupleIJPjSE_EEENSF_IJSE_SE_EEES9_SG_JZNS1_25segmented_radix_sort_implINS0_14default_configELb0EPKhPhPKlPlN2at6native12_GLOBAL__N_18offset_tEEE10hipError_tPvRmT1_PNSt15iterator_traitsISY_E10value_typeET2_T3_PNSZ_IS14_E10value_typeET4_jRbjT5_S1A_jjP12ihipStream_tbEUljE_EEESV_SW_SX_S14_S18_S1A_T6_T7_T9_mT8_S1C_bDpT10_ENKUlT_T0_E_clISt17integral_constantIbLb1EES1O_IbLb0EEEEDaS1K_S1L_EUlS1K_E_NS1_11comp_targetILNS1_3genE10ELNS1_11target_archE1200ELNS1_3gpuE4ELNS1_3repE0EEENS1_30default_config_static_selectorELNS0_4arch9wavefront6targetE0EEEvSY_,@function
_ZN7rocprim17ROCPRIM_400000_NS6detail17trampoline_kernelINS0_13select_configILj256ELj13ELNS0_17block_load_methodE3ELS4_3ELS4_3ELNS0_20block_scan_algorithmE0ELj4294967295EEENS1_25partition_config_selectorILNS1_17partition_subalgoE3EjNS0_10empty_typeEbEEZZNS1_14partition_implILS8_3ELb0ES6_jNS0_17counting_iteratorIjlEEPS9_SE_NS0_5tupleIJPjSE_EEENSF_IJSE_SE_EEES9_SG_JZNS1_25segmented_radix_sort_implINS0_14default_configELb0EPKhPhPKlPlN2at6native12_GLOBAL__N_18offset_tEEE10hipError_tPvRmT1_PNSt15iterator_traitsISY_E10value_typeET2_T3_PNSZ_IS14_E10value_typeET4_jRbjT5_S1A_jjP12ihipStream_tbEUljE_EEESV_SW_SX_S14_S18_S1A_T6_T7_T9_mT8_S1C_bDpT10_ENKUlT_T0_E_clISt17integral_constantIbLb1EES1O_IbLb0EEEEDaS1K_S1L_EUlS1K_E_NS1_11comp_targetILNS1_3genE10ELNS1_11target_archE1200ELNS1_3gpuE4ELNS1_3repE0EEENS1_30default_config_static_selectorELNS0_4arch9wavefront6targetE0EEEvSY_: ; @_ZN7rocprim17ROCPRIM_400000_NS6detail17trampoline_kernelINS0_13select_configILj256ELj13ELNS0_17block_load_methodE3ELS4_3ELS4_3ELNS0_20block_scan_algorithmE0ELj4294967295EEENS1_25partition_config_selectorILNS1_17partition_subalgoE3EjNS0_10empty_typeEbEEZZNS1_14partition_implILS8_3ELb0ES6_jNS0_17counting_iteratorIjlEEPS9_SE_NS0_5tupleIJPjSE_EEENSF_IJSE_SE_EEES9_SG_JZNS1_25segmented_radix_sort_implINS0_14default_configELb0EPKhPhPKlPlN2at6native12_GLOBAL__N_18offset_tEEE10hipError_tPvRmT1_PNSt15iterator_traitsISY_E10value_typeET2_T3_PNSZ_IS14_E10value_typeET4_jRbjT5_S1A_jjP12ihipStream_tbEUljE_EEESV_SW_SX_S14_S18_S1A_T6_T7_T9_mT8_S1C_bDpT10_ENKUlT_T0_E_clISt17integral_constantIbLb1EES1O_IbLb0EEEEDaS1K_S1L_EUlS1K_E_NS1_11comp_targetILNS1_3genE10ELNS1_11target_archE1200ELNS1_3gpuE4ELNS1_3repE0EEENS1_30default_config_static_selectorELNS0_4arch9wavefront6targetE0EEEvSY_
; %bb.0:
	.section	.rodata,"a",@progbits
	.p2align	6, 0x0
	.amdhsa_kernel _ZN7rocprim17ROCPRIM_400000_NS6detail17trampoline_kernelINS0_13select_configILj256ELj13ELNS0_17block_load_methodE3ELS4_3ELS4_3ELNS0_20block_scan_algorithmE0ELj4294967295EEENS1_25partition_config_selectorILNS1_17partition_subalgoE3EjNS0_10empty_typeEbEEZZNS1_14partition_implILS8_3ELb0ES6_jNS0_17counting_iteratorIjlEEPS9_SE_NS0_5tupleIJPjSE_EEENSF_IJSE_SE_EEES9_SG_JZNS1_25segmented_radix_sort_implINS0_14default_configELb0EPKhPhPKlPlN2at6native12_GLOBAL__N_18offset_tEEE10hipError_tPvRmT1_PNSt15iterator_traitsISY_E10value_typeET2_T3_PNSZ_IS14_E10value_typeET4_jRbjT5_S1A_jjP12ihipStream_tbEUljE_EEESV_SW_SX_S14_S18_S1A_T6_T7_T9_mT8_S1C_bDpT10_ENKUlT_T0_E_clISt17integral_constantIbLb1EES1O_IbLb0EEEEDaS1K_S1L_EUlS1K_E_NS1_11comp_targetILNS1_3genE10ELNS1_11target_archE1200ELNS1_3gpuE4ELNS1_3repE0EEENS1_30default_config_static_selectorELNS0_4arch9wavefront6targetE0EEEvSY_
		.amdhsa_group_segment_fixed_size 0
		.amdhsa_private_segment_fixed_size 0
		.amdhsa_kernarg_size 144
		.amdhsa_user_sgpr_count 15
		.amdhsa_user_sgpr_dispatch_ptr 0
		.amdhsa_user_sgpr_queue_ptr 0
		.amdhsa_user_sgpr_kernarg_segment_ptr 1
		.amdhsa_user_sgpr_dispatch_id 0
		.amdhsa_user_sgpr_private_segment_size 0
		.amdhsa_wavefront_size32 1
		.amdhsa_uses_dynamic_stack 0
		.amdhsa_enable_private_segment 0
		.amdhsa_system_sgpr_workgroup_id_x 1
		.amdhsa_system_sgpr_workgroup_id_y 0
		.amdhsa_system_sgpr_workgroup_id_z 0
		.amdhsa_system_sgpr_workgroup_info 0
		.amdhsa_system_vgpr_workitem_id 0
		.amdhsa_next_free_vgpr 1
		.amdhsa_next_free_sgpr 1
		.amdhsa_reserve_vcc 0
		.amdhsa_float_round_mode_32 0
		.amdhsa_float_round_mode_16_64 0
		.amdhsa_float_denorm_mode_32 3
		.amdhsa_float_denorm_mode_16_64 3
		.amdhsa_dx10_clamp 1
		.amdhsa_ieee_mode 1
		.amdhsa_fp16_overflow 0
		.amdhsa_workgroup_processor_mode 1
		.amdhsa_memory_ordered 1
		.amdhsa_forward_progress 0
		.amdhsa_shared_vgpr_count 0
		.amdhsa_exception_fp_ieee_invalid_op 0
		.amdhsa_exception_fp_denorm_src 0
		.amdhsa_exception_fp_ieee_div_zero 0
		.amdhsa_exception_fp_ieee_overflow 0
		.amdhsa_exception_fp_ieee_underflow 0
		.amdhsa_exception_fp_ieee_inexact 0
		.amdhsa_exception_int_div_zero 0
	.end_amdhsa_kernel
	.section	.text._ZN7rocprim17ROCPRIM_400000_NS6detail17trampoline_kernelINS0_13select_configILj256ELj13ELNS0_17block_load_methodE3ELS4_3ELS4_3ELNS0_20block_scan_algorithmE0ELj4294967295EEENS1_25partition_config_selectorILNS1_17partition_subalgoE3EjNS0_10empty_typeEbEEZZNS1_14partition_implILS8_3ELb0ES6_jNS0_17counting_iteratorIjlEEPS9_SE_NS0_5tupleIJPjSE_EEENSF_IJSE_SE_EEES9_SG_JZNS1_25segmented_radix_sort_implINS0_14default_configELb0EPKhPhPKlPlN2at6native12_GLOBAL__N_18offset_tEEE10hipError_tPvRmT1_PNSt15iterator_traitsISY_E10value_typeET2_T3_PNSZ_IS14_E10value_typeET4_jRbjT5_S1A_jjP12ihipStream_tbEUljE_EEESV_SW_SX_S14_S18_S1A_T6_T7_T9_mT8_S1C_bDpT10_ENKUlT_T0_E_clISt17integral_constantIbLb1EES1O_IbLb0EEEEDaS1K_S1L_EUlS1K_E_NS1_11comp_targetILNS1_3genE10ELNS1_11target_archE1200ELNS1_3gpuE4ELNS1_3repE0EEENS1_30default_config_static_selectorELNS0_4arch9wavefront6targetE0EEEvSY_,"axG",@progbits,_ZN7rocprim17ROCPRIM_400000_NS6detail17trampoline_kernelINS0_13select_configILj256ELj13ELNS0_17block_load_methodE3ELS4_3ELS4_3ELNS0_20block_scan_algorithmE0ELj4294967295EEENS1_25partition_config_selectorILNS1_17partition_subalgoE3EjNS0_10empty_typeEbEEZZNS1_14partition_implILS8_3ELb0ES6_jNS0_17counting_iteratorIjlEEPS9_SE_NS0_5tupleIJPjSE_EEENSF_IJSE_SE_EEES9_SG_JZNS1_25segmented_radix_sort_implINS0_14default_configELb0EPKhPhPKlPlN2at6native12_GLOBAL__N_18offset_tEEE10hipError_tPvRmT1_PNSt15iterator_traitsISY_E10value_typeET2_T3_PNSZ_IS14_E10value_typeET4_jRbjT5_S1A_jjP12ihipStream_tbEUljE_EEESV_SW_SX_S14_S18_S1A_T6_T7_T9_mT8_S1C_bDpT10_ENKUlT_T0_E_clISt17integral_constantIbLb1EES1O_IbLb0EEEEDaS1K_S1L_EUlS1K_E_NS1_11comp_targetILNS1_3genE10ELNS1_11target_archE1200ELNS1_3gpuE4ELNS1_3repE0EEENS1_30default_config_static_selectorELNS0_4arch9wavefront6targetE0EEEvSY_,comdat
.Lfunc_end175:
	.size	_ZN7rocprim17ROCPRIM_400000_NS6detail17trampoline_kernelINS0_13select_configILj256ELj13ELNS0_17block_load_methodE3ELS4_3ELS4_3ELNS0_20block_scan_algorithmE0ELj4294967295EEENS1_25partition_config_selectorILNS1_17partition_subalgoE3EjNS0_10empty_typeEbEEZZNS1_14partition_implILS8_3ELb0ES6_jNS0_17counting_iteratorIjlEEPS9_SE_NS0_5tupleIJPjSE_EEENSF_IJSE_SE_EEES9_SG_JZNS1_25segmented_radix_sort_implINS0_14default_configELb0EPKhPhPKlPlN2at6native12_GLOBAL__N_18offset_tEEE10hipError_tPvRmT1_PNSt15iterator_traitsISY_E10value_typeET2_T3_PNSZ_IS14_E10value_typeET4_jRbjT5_S1A_jjP12ihipStream_tbEUljE_EEESV_SW_SX_S14_S18_S1A_T6_T7_T9_mT8_S1C_bDpT10_ENKUlT_T0_E_clISt17integral_constantIbLb1EES1O_IbLb0EEEEDaS1K_S1L_EUlS1K_E_NS1_11comp_targetILNS1_3genE10ELNS1_11target_archE1200ELNS1_3gpuE4ELNS1_3repE0EEENS1_30default_config_static_selectorELNS0_4arch9wavefront6targetE0EEEvSY_, .Lfunc_end175-_ZN7rocprim17ROCPRIM_400000_NS6detail17trampoline_kernelINS0_13select_configILj256ELj13ELNS0_17block_load_methodE3ELS4_3ELS4_3ELNS0_20block_scan_algorithmE0ELj4294967295EEENS1_25partition_config_selectorILNS1_17partition_subalgoE3EjNS0_10empty_typeEbEEZZNS1_14partition_implILS8_3ELb0ES6_jNS0_17counting_iteratorIjlEEPS9_SE_NS0_5tupleIJPjSE_EEENSF_IJSE_SE_EEES9_SG_JZNS1_25segmented_radix_sort_implINS0_14default_configELb0EPKhPhPKlPlN2at6native12_GLOBAL__N_18offset_tEEE10hipError_tPvRmT1_PNSt15iterator_traitsISY_E10value_typeET2_T3_PNSZ_IS14_E10value_typeET4_jRbjT5_S1A_jjP12ihipStream_tbEUljE_EEESV_SW_SX_S14_S18_S1A_T6_T7_T9_mT8_S1C_bDpT10_ENKUlT_T0_E_clISt17integral_constantIbLb1EES1O_IbLb0EEEEDaS1K_S1L_EUlS1K_E_NS1_11comp_targetILNS1_3genE10ELNS1_11target_archE1200ELNS1_3gpuE4ELNS1_3repE0EEENS1_30default_config_static_selectorELNS0_4arch9wavefront6targetE0EEEvSY_
                                        ; -- End function
	.section	.AMDGPU.csdata,"",@progbits
; Kernel info:
; codeLenInByte = 0
; NumSgprs: 0
; NumVgprs: 0
; ScratchSize: 0
; MemoryBound: 0
; FloatMode: 240
; IeeeMode: 1
; LDSByteSize: 0 bytes/workgroup (compile time only)
; SGPRBlocks: 0
; VGPRBlocks: 0
; NumSGPRsForWavesPerEU: 1
; NumVGPRsForWavesPerEU: 1
; Occupancy: 16
; WaveLimiterHint : 0
; COMPUTE_PGM_RSRC2:SCRATCH_EN: 0
; COMPUTE_PGM_RSRC2:USER_SGPR: 15
; COMPUTE_PGM_RSRC2:TRAP_HANDLER: 0
; COMPUTE_PGM_RSRC2:TGID_X_EN: 1
; COMPUTE_PGM_RSRC2:TGID_Y_EN: 0
; COMPUTE_PGM_RSRC2:TGID_Z_EN: 0
; COMPUTE_PGM_RSRC2:TIDIG_COMP_CNT: 0
	.section	.text._ZN7rocprim17ROCPRIM_400000_NS6detail17trampoline_kernelINS0_13select_configILj256ELj13ELNS0_17block_load_methodE3ELS4_3ELS4_3ELNS0_20block_scan_algorithmE0ELj4294967295EEENS1_25partition_config_selectorILNS1_17partition_subalgoE3EjNS0_10empty_typeEbEEZZNS1_14partition_implILS8_3ELb0ES6_jNS0_17counting_iteratorIjlEEPS9_SE_NS0_5tupleIJPjSE_EEENSF_IJSE_SE_EEES9_SG_JZNS1_25segmented_radix_sort_implINS0_14default_configELb0EPKhPhPKlPlN2at6native12_GLOBAL__N_18offset_tEEE10hipError_tPvRmT1_PNSt15iterator_traitsISY_E10value_typeET2_T3_PNSZ_IS14_E10value_typeET4_jRbjT5_S1A_jjP12ihipStream_tbEUljE_EEESV_SW_SX_S14_S18_S1A_T6_T7_T9_mT8_S1C_bDpT10_ENKUlT_T0_E_clISt17integral_constantIbLb1EES1O_IbLb0EEEEDaS1K_S1L_EUlS1K_E_NS1_11comp_targetILNS1_3genE9ELNS1_11target_archE1100ELNS1_3gpuE3ELNS1_3repE0EEENS1_30default_config_static_selectorELNS0_4arch9wavefront6targetE0EEEvSY_,"axG",@progbits,_ZN7rocprim17ROCPRIM_400000_NS6detail17trampoline_kernelINS0_13select_configILj256ELj13ELNS0_17block_load_methodE3ELS4_3ELS4_3ELNS0_20block_scan_algorithmE0ELj4294967295EEENS1_25partition_config_selectorILNS1_17partition_subalgoE3EjNS0_10empty_typeEbEEZZNS1_14partition_implILS8_3ELb0ES6_jNS0_17counting_iteratorIjlEEPS9_SE_NS0_5tupleIJPjSE_EEENSF_IJSE_SE_EEES9_SG_JZNS1_25segmented_radix_sort_implINS0_14default_configELb0EPKhPhPKlPlN2at6native12_GLOBAL__N_18offset_tEEE10hipError_tPvRmT1_PNSt15iterator_traitsISY_E10value_typeET2_T3_PNSZ_IS14_E10value_typeET4_jRbjT5_S1A_jjP12ihipStream_tbEUljE_EEESV_SW_SX_S14_S18_S1A_T6_T7_T9_mT8_S1C_bDpT10_ENKUlT_T0_E_clISt17integral_constantIbLb1EES1O_IbLb0EEEEDaS1K_S1L_EUlS1K_E_NS1_11comp_targetILNS1_3genE9ELNS1_11target_archE1100ELNS1_3gpuE3ELNS1_3repE0EEENS1_30default_config_static_selectorELNS0_4arch9wavefront6targetE0EEEvSY_,comdat
	.globl	_ZN7rocprim17ROCPRIM_400000_NS6detail17trampoline_kernelINS0_13select_configILj256ELj13ELNS0_17block_load_methodE3ELS4_3ELS4_3ELNS0_20block_scan_algorithmE0ELj4294967295EEENS1_25partition_config_selectorILNS1_17partition_subalgoE3EjNS0_10empty_typeEbEEZZNS1_14partition_implILS8_3ELb0ES6_jNS0_17counting_iteratorIjlEEPS9_SE_NS0_5tupleIJPjSE_EEENSF_IJSE_SE_EEES9_SG_JZNS1_25segmented_radix_sort_implINS0_14default_configELb0EPKhPhPKlPlN2at6native12_GLOBAL__N_18offset_tEEE10hipError_tPvRmT1_PNSt15iterator_traitsISY_E10value_typeET2_T3_PNSZ_IS14_E10value_typeET4_jRbjT5_S1A_jjP12ihipStream_tbEUljE_EEESV_SW_SX_S14_S18_S1A_T6_T7_T9_mT8_S1C_bDpT10_ENKUlT_T0_E_clISt17integral_constantIbLb1EES1O_IbLb0EEEEDaS1K_S1L_EUlS1K_E_NS1_11comp_targetILNS1_3genE9ELNS1_11target_archE1100ELNS1_3gpuE3ELNS1_3repE0EEENS1_30default_config_static_selectorELNS0_4arch9wavefront6targetE0EEEvSY_ ; -- Begin function _ZN7rocprim17ROCPRIM_400000_NS6detail17trampoline_kernelINS0_13select_configILj256ELj13ELNS0_17block_load_methodE3ELS4_3ELS4_3ELNS0_20block_scan_algorithmE0ELj4294967295EEENS1_25partition_config_selectorILNS1_17partition_subalgoE3EjNS0_10empty_typeEbEEZZNS1_14partition_implILS8_3ELb0ES6_jNS0_17counting_iteratorIjlEEPS9_SE_NS0_5tupleIJPjSE_EEENSF_IJSE_SE_EEES9_SG_JZNS1_25segmented_radix_sort_implINS0_14default_configELb0EPKhPhPKlPlN2at6native12_GLOBAL__N_18offset_tEEE10hipError_tPvRmT1_PNSt15iterator_traitsISY_E10value_typeET2_T3_PNSZ_IS14_E10value_typeET4_jRbjT5_S1A_jjP12ihipStream_tbEUljE_EEESV_SW_SX_S14_S18_S1A_T6_T7_T9_mT8_S1C_bDpT10_ENKUlT_T0_E_clISt17integral_constantIbLb1EES1O_IbLb0EEEEDaS1K_S1L_EUlS1K_E_NS1_11comp_targetILNS1_3genE9ELNS1_11target_archE1100ELNS1_3gpuE3ELNS1_3repE0EEENS1_30default_config_static_selectorELNS0_4arch9wavefront6targetE0EEEvSY_
	.p2align	8
	.type	_ZN7rocprim17ROCPRIM_400000_NS6detail17trampoline_kernelINS0_13select_configILj256ELj13ELNS0_17block_load_methodE3ELS4_3ELS4_3ELNS0_20block_scan_algorithmE0ELj4294967295EEENS1_25partition_config_selectorILNS1_17partition_subalgoE3EjNS0_10empty_typeEbEEZZNS1_14partition_implILS8_3ELb0ES6_jNS0_17counting_iteratorIjlEEPS9_SE_NS0_5tupleIJPjSE_EEENSF_IJSE_SE_EEES9_SG_JZNS1_25segmented_radix_sort_implINS0_14default_configELb0EPKhPhPKlPlN2at6native12_GLOBAL__N_18offset_tEEE10hipError_tPvRmT1_PNSt15iterator_traitsISY_E10value_typeET2_T3_PNSZ_IS14_E10value_typeET4_jRbjT5_S1A_jjP12ihipStream_tbEUljE_EEESV_SW_SX_S14_S18_S1A_T6_T7_T9_mT8_S1C_bDpT10_ENKUlT_T0_E_clISt17integral_constantIbLb1EES1O_IbLb0EEEEDaS1K_S1L_EUlS1K_E_NS1_11comp_targetILNS1_3genE9ELNS1_11target_archE1100ELNS1_3gpuE3ELNS1_3repE0EEENS1_30default_config_static_selectorELNS0_4arch9wavefront6targetE0EEEvSY_,@function
_ZN7rocprim17ROCPRIM_400000_NS6detail17trampoline_kernelINS0_13select_configILj256ELj13ELNS0_17block_load_methodE3ELS4_3ELS4_3ELNS0_20block_scan_algorithmE0ELj4294967295EEENS1_25partition_config_selectorILNS1_17partition_subalgoE3EjNS0_10empty_typeEbEEZZNS1_14partition_implILS8_3ELb0ES6_jNS0_17counting_iteratorIjlEEPS9_SE_NS0_5tupleIJPjSE_EEENSF_IJSE_SE_EEES9_SG_JZNS1_25segmented_radix_sort_implINS0_14default_configELb0EPKhPhPKlPlN2at6native12_GLOBAL__N_18offset_tEEE10hipError_tPvRmT1_PNSt15iterator_traitsISY_E10value_typeET2_T3_PNSZ_IS14_E10value_typeET4_jRbjT5_S1A_jjP12ihipStream_tbEUljE_EEESV_SW_SX_S14_S18_S1A_T6_T7_T9_mT8_S1C_bDpT10_ENKUlT_T0_E_clISt17integral_constantIbLb1EES1O_IbLb0EEEEDaS1K_S1L_EUlS1K_E_NS1_11comp_targetILNS1_3genE9ELNS1_11target_archE1100ELNS1_3gpuE3ELNS1_3repE0EEENS1_30default_config_static_selectorELNS0_4arch9wavefront6targetE0EEEvSY_: ; @_ZN7rocprim17ROCPRIM_400000_NS6detail17trampoline_kernelINS0_13select_configILj256ELj13ELNS0_17block_load_methodE3ELS4_3ELS4_3ELNS0_20block_scan_algorithmE0ELj4294967295EEENS1_25partition_config_selectorILNS1_17partition_subalgoE3EjNS0_10empty_typeEbEEZZNS1_14partition_implILS8_3ELb0ES6_jNS0_17counting_iteratorIjlEEPS9_SE_NS0_5tupleIJPjSE_EEENSF_IJSE_SE_EEES9_SG_JZNS1_25segmented_radix_sort_implINS0_14default_configELb0EPKhPhPKlPlN2at6native12_GLOBAL__N_18offset_tEEE10hipError_tPvRmT1_PNSt15iterator_traitsISY_E10value_typeET2_T3_PNSZ_IS14_E10value_typeET4_jRbjT5_S1A_jjP12ihipStream_tbEUljE_EEESV_SW_SX_S14_S18_S1A_T6_T7_T9_mT8_S1C_bDpT10_ENKUlT_T0_E_clISt17integral_constantIbLb1EES1O_IbLb0EEEEDaS1K_S1L_EUlS1K_E_NS1_11comp_targetILNS1_3genE9ELNS1_11target_archE1100ELNS1_3gpuE3ELNS1_3repE0EEENS1_30default_config_static_selectorELNS0_4arch9wavefront6targetE0EEEvSY_
; %bb.0:
	s_clause 0x5
	s_load_b32 s2, s[0:1], 0x70
	s_load_b64 s[16:17], s[0:1], 0x10
	s_load_b64 s[12:13], s[0:1], 0x58
	s_load_b32 s18, s[0:1], 0x8
	s_load_b128 s[8:11], s[0:1], 0x48
	s_load_b128 s[4:7], s[0:1], 0x78
	s_mul_i32 s23, s15, 0xd00
	v_lshlrev_b32_e32 v30, 2, v0
	s_waitcnt lgkmcnt(0)
	s_mul_i32 s20, s2, 0xd00
	s_add_i32 s19, s2, -1
	s_add_u32 s2, s16, s20
	s_addc_u32 s3, s17, 0
	s_cmp_eq_u32 s15, s19
	v_cmp_lt_u64_e64 s3, s[2:3], s[12:13]
	s_cselect_b32 s14, -1, 0
	s_cmp_lg_u32 s15, s19
	s_cselect_b32 s21, -1, 0
	s_add_i32 s2, s18, s23
	s_delay_alu instid0(VALU_DEP_1)
	s_or_b32 s3, s21, s3
	s_add_i32 s18, s2, s16
	s_load_b32 s2, s[0:1], 0x88
	v_add_nc_u32_e32 v1, s18, v0
	s_load_b64 s[18:19], s[10:11], 0x0
	s_and_b32 vcc_lo, exec_lo, s3
	s_mov_b32 s10, -1
	s_delay_alu instid0(VALU_DEP_1)
	v_add_nc_u32_e32 v2, 0x100, v1
	v_add_nc_u32_e32 v3, 0x200, v1
	;; [unrolled: 1-line block ×12, first 2 shown]
	s_cbranch_vccz .LBB176_2
; %bb.1:
	ds_store_2addr_stride64_b32 v30, v1, v2 offset1:4
	ds_store_2addr_stride64_b32 v30, v3, v4 offset0:8 offset1:12
	ds_store_2addr_stride64_b32 v30, v5, v6 offset0:16 offset1:20
	ds_store_2addr_stride64_b32 v30, v7, v8 offset0:24 offset1:28
	ds_store_2addr_stride64_b32 v30, v9, v10 offset0:32 offset1:36
	ds_store_2addr_stride64_b32 v30, v11, v12 offset0:40 offset1:44
	ds_store_b32 v30, v13 offset:12288
	s_waitcnt lgkmcnt(0)
	s_mov_b32 s10, 0
	s_barrier
.LBB176_2:
	s_and_not1_b32 vcc_lo, exec_lo, s10
	s_add_i32 s20, s20, s16
	s_cbranch_vccnz .LBB176_4
; %bb.3:
	ds_store_2addr_stride64_b32 v30, v1, v2 offset1:4
	ds_store_2addr_stride64_b32 v30, v3, v4 offset0:8 offset1:12
	ds_store_2addr_stride64_b32 v30, v5, v6 offset0:16 offset1:20
	;; [unrolled: 1-line block ×5, first 2 shown]
	ds_store_b32 v30, v13 offset:12288
	s_waitcnt lgkmcnt(0)
	s_barrier
.LBB176_4:
	v_mul_u32_u24_e32 v33, 13, v0
	s_waitcnt lgkmcnt(0)
	buffer_gl0_inv
	v_cndmask_b32_e64 v31, 0, 1, s3
	s_sub_i32 s22, s12, s20
	s_and_not1_b32 vcc_lo, exec_lo, s3
	v_lshlrev_b32_e32 v1, 2, v33
	ds_load_2addr_b32 v[28:29], v1 offset1:1
	ds_load_2addr_b32 v[26:27], v1 offset0:2 offset1:3
	ds_load_2addr_b32 v[24:25], v1 offset0:4 offset1:5
	;; [unrolled: 1-line block ×5, first 2 shown]
	ds_load_b32 v32, v1 offset:48
	s_waitcnt lgkmcnt(0)
	s_barrier
	buffer_gl0_inv
	s_cbranch_vccnz .LBB176_6
; %bb.5:
	v_add_nc_u32_e32 v1, s5, v28
	v_add_nc_u32_e32 v2, s7, v28
	;; [unrolled: 1-line block ×5, first 2 shown]
	v_mul_lo_u32 v1, v1, s4
	v_mul_lo_u32 v2, v2, s6
	;; [unrolled: 1-line block ×4, first 2 shown]
	v_add_nc_u32_e32 v6, s7, v26
	v_add_nc_u32_e32 v7, s5, v27
	;; [unrolled: 1-line block ×3, first 2 shown]
	v_mul_lo_u32 v5, v5, s4
	v_add_nc_u32_e32 v9, s5, v22
	v_sub_nc_u32_e32 v1, v1, v2
	v_mul_lo_u32 v2, v6, s6
	v_sub_nc_u32_e32 v3, v3, v4
	v_mul_lo_u32 v4, v7, s4
	v_mul_lo_u32 v6, v8, s6
	v_add_nc_u32_e32 v7, s5, v24
	v_cmp_lt_u32_e32 vcc_lo, s2, v1
	v_add_nc_u32_e32 v8, s5, v25
	v_add_nc_u32_e32 v10, s7, v22
	v_sub_nc_u32_e32 v2, v5, v2
	v_add_nc_u32_e32 v5, s7, v24
	v_cndmask_b32_e64 v1, 0, 1, vcc_lo
	v_sub_nc_u32_e32 v4, v4, v6
	v_mul_lo_u32 v6, v7, s4
	v_add_nc_u32_e32 v7, s7, v25
	v_cmp_lt_u32_e32 vcc_lo, s2, v3
	v_mul_lo_u32 v5, v5, s6
	v_mul_lo_u32 v8, v8, s4
	;; [unrolled: 1-line block ×4, first 2 shown]
	v_cndmask_b32_e64 v3, 0, 1, vcc_lo
	v_cmp_lt_u32_e32 vcc_lo, s2, v2
	v_mul_lo_u32 v10, v10, s6
	v_add_nc_u32_e32 v11, s5, v20
	v_sub_nc_u32_e32 v5, v6, v5
	v_add_nc_u32_e32 v12, s7, v20
	v_cndmask_b32_e64 v2, 0, 1, vcc_lo
	v_sub_nc_u32_e32 v6, v8, v7
	v_add_nc_u32_e32 v7, s5, v23
	v_add_nc_u32_e32 v8, s7, v23
	v_cmp_lt_u32_e32 vcc_lo, s2, v4
	v_sub_nc_u32_e32 v9, v9, v10
	v_mul_lo_u32 v10, v11, s4
	v_mul_lo_u32 v7, v7, s4
	;; [unrolled: 1-line block ×4, first 2 shown]
	v_cndmask_b32_e64 v4, 0, 1, vcc_lo
	v_cmp_lt_u32_e32 vcc_lo, s2, v5
	v_add_nc_u32_e32 v12, s5, v21
	v_add_nc_u32_e32 v13, s7, v18
	;; [unrolled: 1-line block ×4, first 2 shown]
	v_cndmask_b32_e64 v5, 0, 1, vcc_lo
	v_cmp_lt_u32_e32 vcc_lo, s2, v6
	v_sub_nc_u32_e32 v7, v7, v8
	v_sub_nc_u32_e32 v8, v10, v11
	v_add_nc_u32_e32 v11, s7, v21
	v_mul_lo_u32 v10, v12, s4
	v_cndmask_b32_e64 v6, 0, 1, vcc_lo
	v_cmp_lt_u32_e32 vcc_lo, s2, v9
	v_add_nc_u32_e32 v12, s5, v18
	v_mul_lo_u32 v11, v11, s6
	v_mul_lo_u32 v13, v13, s6
	v_mul_lo_u32 v14, v14, s4
	v_cndmask_b32_e64 v9, 0, 1, vcc_lo
	v_cmp_lt_u32_e32 vcc_lo, s2, v7
	v_mul_lo_u32 v12, v12, s4
	v_mul_lo_u32 v15, v15, s6
	v_lshlrev_b16 v3, 8, v3
	v_sub_nc_u32_e32 v10, v10, v11
	v_cndmask_b32_e64 v7, 0, 1, vcc_lo
	v_cmp_lt_u32_e32 vcc_lo, s2, v8
	v_add_nc_u32_e32 v11, s5, v32
	v_or_b32_e32 v1, v1, v3
	v_sub_nc_u32_e32 v12, v12, v13
	v_sub_nc_u32_e32 v13, v14, v15
	v_cndmask_b32_e64 v8, 0, 1, vcc_lo
	v_cmp_lt_u32_e32 vcc_lo, s2, v10
	v_add_nc_u32_e32 v16, s7, v32
	v_mul_lo_u32 v11, v11, s4
	v_lshlrev_b16 v4, 8, v4
	v_lshlrev_b16 v6, 8, v6
	v_cndmask_b32_e64 v10, 0, 1, vcc_lo
	v_cmp_lt_u32_e32 vcc_lo, s2, v12
	v_mul_lo_u32 v14, v16, s6
	v_lshlrev_b16 v7, 8, v7
	v_or_b32_e32 v2, v2, v4
	v_lshlrev_b16 v10, 8, v10
	v_cndmask_b32_e64 v3, 0, 1, vcc_lo
	v_cmp_lt_u32_e32 vcc_lo, s2, v13
	v_or_b32_e32 v4, v5, v6
	v_or_b32_e32 v5, v9, v7
	v_sub_nc_u32_e32 v11, v11, v14
	v_or_b32_e32 v6, v8, v10
	v_cndmask_b32_e64 v12, 0, 1, vcc_lo
	v_and_b32_e32 v1, 0xffff, v1
	v_lshlrev_b32_e32 v2, 16, v2
	v_and_b32_e32 v4, 0xffff, v4
	v_lshlrev_b32_e32 v5, 16, v5
	v_lshlrev_b16 v12, 8, v12
	v_and_b32_e32 v6, 0xffff, v6
	v_cmp_lt_u32_e32 vcc_lo, s2, v11
	v_or_b32_e32 v39, v1, v2
	v_or_b32_e32 v37, v4, v5
	v_or_b32_e32 v3, v3, v12
	s_mov_b32 s3, 0
	v_cndmask_b32_e64 v34, 0, 1, vcc_lo
	s_delay_alu instid0(VALU_DEP_2) | instskip(NEXT) | instid1(VALU_DEP_1)
	v_lshlrev_b32_e32 v3, 16, v3
	v_or_b32_e32 v35, v6, v3
	s_branch .LBB176_7
.LBB176_6:
	s_mov_b32 s3, -1
                                        ; implicit-def: $vgpr34
                                        ; implicit-def: $vgpr35
                                        ; implicit-def: $vgpr37
                                        ; implicit-def: $vgpr39
.LBB176_7:
	s_clause 0x1
	s_load_b64 s[10:11], s[0:1], 0x28
	s_load_b64 s[20:21], s[0:1], 0x68
	s_and_not1_b32 vcc_lo, exec_lo, s3
	s_addk_i32 s22, 0xd00
	s_cbranch_vccnz .LBB176_35
; %bb.8:
	v_dual_mov_b32 v2, 0 :: v_dual_mov_b32 v1, 0
	s_mov_b32 s0, exec_lo
	v_cmpx_gt_u32_e64 s22, v33
; %bb.9:
	v_add_nc_u32_e32 v1, s5, v28
	v_add_nc_u32_e32 v3, s7, v28
	s_delay_alu instid0(VALU_DEP_2) | instskip(NEXT) | instid1(VALU_DEP_2)
	v_mul_lo_u32 v1, v1, s4
	v_mul_lo_u32 v3, v3, s6
	s_delay_alu instid0(VALU_DEP_1) | instskip(NEXT) | instid1(VALU_DEP_1)
	v_sub_nc_u32_e32 v1, v1, v3
	v_cmp_lt_u32_e32 vcc_lo, s2, v1
	v_cndmask_b32_e64 v1, 0, 1, vcc_lo
; %bb.10:
	s_or_b32 exec_lo, exec_lo, s0
	v_add_nc_u32_e32 v3, 1, v33
	s_mov_b32 s0, exec_lo
	s_delay_alu instid0(VALU_DEP_1)
	v_cmpx_gt_u32_e64 s22, v3
; %bb.11:
	v_add_nc_u32_e32 v2, s5, v29
	v_add_nc_u32_e32 v3, s7, v29
	s_delay_alu instid0(VALU_DEP_2) | instskip(NEXT) | instid1(VALU_DEP_2)
	v_mul_lo_u32 v2, v2, s4
	v_mul_lo_u32 v3, v3, s6
	s_delay_alu instid0(VALU_DEP_1) | instskip(NEXT) | instid1(VALU_DEP_1)
	v_sub_nc_u32_e32 v2, v2, v3
	v_cmp_lt_u32_e32 vcc_lo, s2, v2
	v_cndmask_b32_e64 v2, 0, 1, vcc_lo
; %bb.12:
	s_or_b32 exec_lo, exec_lo, s0
	v_dual_mov_b32 v4, 0 :: v_dual_add_nc_u32 v3, 2, v33
	s_delay_alu instid0(VALU_DEP_1)
	v_cmp_gt_u32_e32 vcc_lo, s22, v3
	v_mov_b32_e32 v3, 0
	s_and_saveexec_b32 s0, vcc_lo
; %bb.13:
	v_add_nc_u32_e32 v3, s5, v26
	v_add_nc_u32_e32 v5, s7, v26
	s_delay_alu instid0(VALU_DEP_2) | instskip(NEXT) | instid1(VALU_DEP_2)
	v_mul_lo_u32 v3, v3, s4
	v_mul_lo_u32 v5, v5, s6
	s_delay_alu instid0(VALU_DEP_1) | instskip(NEXT) | instid1(VALU_DEP_1)
	v_sub_nc_u32_e32 v3, v3, v5
	v_cmp_lt_u32_e32 vcc_lo, s2, v3
	v_cndmask_b32_e64 v3, 0, 1, vcc_lo
; %bb.14:
	s_or_b32 exec_lo, exec_lo, s0
	v_add_nc_u32_e32 v5, 3, v33
	s_mov_b32 s0, exec_lo
	s_delay_alu instid0(VALU_DEP_1)
	v_cmpx_gt_u32_e64 s22, v5
; %bb.15:
	v_add_nc_u32_e32 v4, s5, v27
	v_add_nc_u32_e32 v5, s7, v27
	s_delay_alu instid0(VALU_DEP_2) | instskip(NEXT) | instid1(VALU_DEP_2)
	v_mul_lo_u32 v4, v4, s4
	v_mul_lo_u32 v5, v5, s6
	s_delay_alu instid0(VALU_DEP_1) | instskip(NEXT) | instid1(VALU_DEP_1)
	v_sub_nc_u32_e32 v4, v4, v5
	v_cmp_lt_u32_e32 vcc_lo, s2, v4
	v_cndmask_b32_e64 v4, 0, 1, vcc_lo
; %bb.16:
	s_or_b32 exec_lo, exec_lo, s0
	v_dual_mov_b32 v6, 0 :: v_dual_add_nc_u32 v5, 4, v33
	s_delay_alu instid0(VALU_DEP_1)
	v_cmp_gt_u32_e32 vcc_lo, s22, v5
	v_mov_b32_e32 v5, 0
	s_and_saveexec_b32 s0, vcc_lo
	;; [unrolled: 33-line block ×5, first 2 shown]
; %bb.29:
	v_add_nc_u32_e32 v11, s5, v18
	v_add_nc_u32_e32 v13, s7, v18
	s_delay_alu instid0(VALU_DEP_2) | instskip(NEXT) | instid1(VALU_DEP_2)
	v_mul_lo_u32 v11, v11, s4
	v_mul_lo_u32 v13, v13, s6
	s_delay_alu instid0(VALU_DEP_1) | instskip(NEXT) | instid1(VALU_DEP_1)
	v_sub_nc_u32_e32 v11, v11, v13
	v_cmp_lt_u32_e32 vcc_lo, s2, v11
	v_cndmask_b32_e64 v11, 0, 1, vcc_lo
; %bb.30:
	s_or_b32 exec_lo, exec_lo, s0
	v_add_nc_u32_e32 v13, 11, v33
	s_mov_b32 s0, exec_lo
	s_delay_alu instid0(VALU_DEP_1)
	v_cmpx_gt_u32_e64 s22, v13
; %bb.31:
	v_add_nc_u32_e32 v12, s5, v19
	v_add_nc_u32_e32 v13, s7, v19
	s_delay_alu instid0(VALU_DEP_2) | instskip(NEXT) | instid1(VALU_DEP_2)
	v_mul_lo_u32 v12, v12, s4
	v_mul_lo_u32 v13, v13, s6
	s_delay_alu instid0(VALU_DEP_1) | instskip(NEXT) | instid1(VALU_DEP_1)
	v_sub_nc_u32_e32 v12, v12, v13
	v_cmp_lt_u32_e32 vcc_lo, s2, v12
	v_cndmask_b32_e64 v12, 0, 1, vcc_lo
; %bb.32:
	s_or_b32 exec_lo, exec_lo, s0
	v_dual_mov_b32 v34, 0 :: v_dual_add_nc_u32 v13, 12, v33
	s_mov_b32 s0, exec_lo
	s_delay_alu instid0(VALU_DEP_1)
	v_cmpx_gt_u32_e64 s22, v13
; %bb.33:
	v_add_nc_u32_e32 v13, s5, v32
	v_add_nc_u32_e32 v14, s7, v32
	s_delay_alu instid0(VALU_DEP_2) | instskip(NEXT) | instid1(VALU_DEP_2)
	v_mul_lo_u32 v13, v13, s4
	v_mul_lo_u32 v14, v14, s6
	s_delay_alu instid0(VALU_DEP_1) | instskip(NEXT) | instid1(VALU_DEP_1)
	v_sub_nc_u32_e32 v13, v13, v14
	v_cmp_lt_u32_e32 vcc_lo, s2, v13
	v_cndmask_b32_e64 v34, 0, 1, vcc_lo
; %bb.34:
	s_or_b32 exec_lo, exec_lo, s0
	v_lshlrev_b16 v2, 8, v2
	v_lshlrev_b16 v4, 8, v4
	v_lshlrev_b16 v6, 8, v6
	v_lshlrev_b16 v8, 8, v8
	v_lshlrev_b16 v10, 8, v10
	v_or_b32_e32 v1, v1, v2
	v_lshlrev_b16 v2, 8, v12
	v_or_b32_e32 v3, v3, v4
	v_or_b32_e32 v4, v5, v6
	;; [unrolled: 1-line block ×5, first 2 shown]
	v_and_b32_e32 v1, 0xffff, v1
	v_lshlrev_b32_e32 v3, 16, v3
	v_and_b32_e32 v4, 0xffff, v4
	v_lshlrev_b32_e32 v5, 16, v5
	;; [unrolled: 2-line block ×3, first 2 shown]
	v_or_b32_e32 v39, v1, v3
	s_delay_alu instid0(VALU_DEP_4) | instskip(NEXT) | instid1(VALU_DEP_3)
	v_or_b32_e32 v37, v4, v5
	v_or_b32_e32 v35, v6, v2
.LBB176_35:
	s_delay_alu instid0(VALU_DEP_3)
	v_and_b32_e32 v41, 0xff, v39
	v_bfe_u32 v42, v39, 8, 8
	v_bfe_u32 v43, v39, 16, 8
	v_lshrrev_b32_e32 v40, 24, v39
	v_and_b32_e32 v44, 0xff, v37
	v_bfe_u32 v45, v37, 8, 8
	v_bfe_u32 v46, v37, 16, 8
	v_add3_u32 v1, v42, v41, v43
	v_lshrrev_b32_e32 v38, 24, v37
	v_and_b32_e32 v47, 0xff, v35
	v_bfe_u32 v48, v35, 8, 8
	v_mbcnt_lo_u32_b32 v50, -1, 0
	v_add3_u32 v1, v1, v40, v44
	v_bfe_u32 v49, v35, 16, 8
	v_lshrrev_b32_e32 v36, 24, v35
	v_and_b32_e32 v2, 0xff, v34
	v_and_b32_e32 v3, 15, v50
	v_add3_u32 v1, v1, v45, v46
	v_or_b32_e32 v4, 31, v0
	v_and_b32_e32 v5, 16, v50
	v_lshrrev_b32_e32 v51, 5, v0
	v_cmp_eq_u32_e64 s5, 0, v3
	v_add3_u32 v1, v1, v38, v47
	v_cmp_lt_u32_e64 s4, 1, v3
	v_cmp_lt_u32_e64 s3, 3, v3
	;; [unrolled: 1-line block ×3, first 2 shown]
	v_cmp_eq_u32_e64 s1, 0, v5
	v_add3_u32 v1, v1, v48, v49
	v_cmp_eq_u32_e64 s0, v4, v0
	s_cmp_lg_u32 s15, 0
	s_mov_b32 s6, -1
	s_delay_alu instid0(VALU_DEP_2)
	v_add3_u32 v52, v1, v36, v2
	s_cbranch_scc0 .LBB176_66
; %bb.36:
	s_delay_alu instid0(VALU_DEP_1) | instskip(NEXT) | instid1(VALU_DEP_1)
	v_mov_b32_dpp v1, v52 row_shr:1 row_mask:0xf bank_mask:0xf
	v_cndmask_b32_e64 v1, v1, 0, s5
	s_delay_alu instid0(VALU_DEP_1) | instskip(NEXT) | instid1(VALU_DEP_1)
	v_add_nc_u32_e32 v1, v1, v52
	v_mov_b32_dpp v2, v1 row_shr:2 row_mask:0xf bank_mask:0xf
	s_delay_alu instid0(VALU_DEP_1) | instskip(NEXT) | instid1(VALU_DEP_1)
	v_cndmask_b32_e64 v2, 0, v2, s4
	v_add_nc_u32_e32 v1, v1, v2
	s_delay_alu instid0(VALU_DEP_1) | instskip(NEXT) | instid1(VALU_DEP_1)
	v_mov_b32_dpp v2, v1 row_shr:4 row_mask:0xf bank_mask:0xf
	v_cndmask_b32_e64 v2, 0, v2, s3
	s_delay_alu instid0(VALU_DEP_1) | instskip(NEXT) | instid1(VALU_DEP_1)
	v_add_nc_u32_e32 v1, v1, v2
	v_mov_b32_dpp v2, v1 row_shr:8 row_mask:0xf bank_mask:0xf
	s_delay_alu instid0(VALU_DEP_1) | instskip(NEXT) | instid1(VALU_DEP_1)
	v_cndmask_b32_e64 v2, 0, v2, s2
	v_add_nc_u32_e32 v1, v1, v2
	ds_swizzle_b32 v2, v1 offset:swizzle(BROADCAST,32,15)
	s_waitcnt lgkmcnt(0)
	v_cndmask_b32_e64 v2, v2, 0, s1
	s_delay_alu instid0(VALU_DEP_1)
	v_add_nc_u32_e32 v1, v1, v2
	s_and_saveexec_b32 s6, s0
	s_cbranch_execz .LBB176_38
; %bb.37:
	v_lshlrev_b32_e32 v2, 2, v51
	ds_store_b32 v2, v1
.LBB176_38:
	s_or_b32 exec_lo, exec_lo, s6
	s_delay_alu instid0(SALU_CYCLE_1)
	s_mov_b32 s6, exec_lo
	s_waitcnt lgkmcnt(0)
	s_barrier
	buffer_gl0_inv
	v_cmpx_gt_u32_e32 8, v0
	s_cbranch_execz .LBB176_40
; %bb.39:
	ds_load_b32 v2, v30
	s_waitcnt lgkmcnt(0)
	v_mov_b32_dpp v4, v2 row_shr:1 row_mask:0xf bank_mask:0xf
	v_and_b32_e32 v3, 7, v50
	s_delay_alu instid0(VALU_DEP_1) | instskip(NEXT) | instid1(VALU_DEP_3)
	v_cmp_ne_u32_e32 vcc_lo, 0, v3
	v_cndmask_b32_e32 v4, 0, v4, vcc_lo
	v_cmp_lt_u32_e32 vcc_lo, 1, v3
	s_delay_alu instid0(VALU_DEP_2) | instskip(NEXT) | instid1(VALU_DEP_1)
	v_add_nc_u32_e32 v2, v4, v2
	v_mov_b32_dpp v4, v2 row_shr:2 row_mask:0xf bank_mask:0xf
	s_delay_alu instid0(VALU_DEP_1) | instskip(SKIP_1) | instid1(VALU_DEP_2)
	v_cndmask_b32_e32 v4, 0, v4, vcc_lo
	v_cmp_lt_u32_e32 vcc_lo, 3, v3
	v_add_nc_u32_e32 v2, v2, v4
	s_delay_alu instid0(VALU_DEP_1) | instskip(NEXT) | instid1(VALU_DEP_1)
	v_mov_b32_dpp v4, v2 row_shr:4 row_mask:0xf bank_mask:0xf
	v_cndmask_b32_e32 v3, 0, v4, vcc_lo
	s_delay_alu instid0(VALU_DEP_1)
	v_add_nc_u32_e32 v2, v2, v3
	ds_store_b32 v30, v2
.LBB176_40:
	s_or_b32 exec_lo, exec_lo, s6
	v_cmp_gt_u32_e32 vcc_lo, 32, v0
	s_mov_b32 s7, exec_lo
	s_waitcnt lgkmcnt(0)
	s_barrier
	buffer_gl0_inv
                                        ; implicit-def: $vgpr8
	v_cmpx_lt_u32_e32 31, v0
	s_cbranch_execz .LBB176_42
; %bb.41:
	v_lshl_add_u32 v2, v51, 2, -4
	ds_load_b32 v8, v2
	s_waitcnt lgkmcnt(0)
	v_add_nc_u32_e32 v1, v8, v1
.LBB176_42:
	s_or_b32 exec_lo, exec_lo, s7
	v_add_nc_u32_e32 v2, -1, v50
	s_delay_alu instid0(VALU_DEP_1) | instskip(NEXT) | instid1(VALU_DEP_1)
	v_cmp_gt_i32_e64 s6, 0, v2
	v_cndmask_b32_e64 v2, v2, v50, s6
	v_cmp_eq_u32_e64 s6, 0, v50
	s_delay_alu instid0(VALU_DEP_2)
	v_lshlrev_b32_e32 v2, 2, v2
	ds_bpermute_b32 v9, v2, v1
	s_and_saveexec_b32 s7, vcc_lo
	s_cbranch_execz .LBB176_65
; %bb.43:
	v_mov_b32_e32 v4, 0
	ds_load_b32 v1, v4 offset:28
	s_and_saveexec_b32 s24, s6
	s_cbranch_execz .LBB176_45
; %bb.44:
	s_add_i32 s26, s15, 32
	s_mov_b32 s27, 0
	v_mov_b32_e32 v2, 1
	s_lshl_b64 s[26:27], s[26:27], 3
	s_delay_alu instid0(SALU_CYCLE_1)
	s_add_u32 s26, s20, s26
	s_addc_u32 s27, s21, s27
	s_waitcnt lgkmcnt(0)
	global_store_b64 v4, v[1:2], s[26:27]
.LBB176_45:
	s_or_b32 exec_lo, exec_lo, s24
	v_xad_u32 v2, v50, -1, s15
	s_mov_b32 s25, 0
	s_mov_b32 s24, exec_lo
	s_delay_alu instid0(VALU_DEP_1) | instskip(NEXT) | instid1(VALU_DEP_1)
	v_add_nc_u32_e32 v3, 32, v2
	v_lshlrev_b64 v[3:4], 3, v[3:4]
	s_delay_alu instid0(VALU_DEP_1) | instskip(NEXT) | instid1(VALU_DEP_2)
	v_add_co_u32 v6, vcc_lo, s20, v3
	v_add_co_ci_u32_e32 v7, vcc_lo, s21, v4, vcc_lo
	global_load_b64 v[4:5], v[6:7], off glc
	s_waitcnt vmcnt(0)
	v_and_b32_e32 v3, 0xff, v5
	s_delay_alu instid0(VALU_DEP_1)
	v_cmpx_eq_u16_e32 0, v3
	s_cbranch_execz .LBB176_51
; %bb.46:
	s_mov_b32 s26, 1
	.p2align	6
.LBB176_47:                             ; =>This Loop Header: Depth=1
                                        ;     Child Loop BB176_48 Depth 2
	s_delay_alu instid0(SALU_CYCLE_1)
	s_max_u32 s27, s26, 1
.LBB176_48:                             ;   Parent Loop BB176_47 Depth=1
                                        ; =>  This Inner Loop Header: Depth=2
	s_delay_alu instid0(SALU_CYCLE_1)
	s_add_i32 s27, s27, -1
	s_sleep 1
	s_cmp_eq_u32 s27, 0
	s_cbranch_scc0 .LBB176_48
; %bb.49:                               ;   in Loop: Header=BB176_47 Depth=1
	global_load_b64 v[4:5], v[6:7], off glc
	s_cmp_lt_u32 s26, 32
	s_cselect_b32 s27, -1, 0
	s_delay_alu instid0(SALU_CYCLE_1) | instskip(SKIP_3) | instid1(VALU_DEP_1)
	s_cmp_lg_u32 s27, 0
	s_addc_u32 s26, s26, 0
	s_waitcnt vmcnt(0)
	v_and_b32_e32 v3, 0xff, v5
	v_cmp_ne_u16_e32 vcc_lo, 0, v3
	s_or_b32 s25, vcc_lo, s25
	s_delay_alu instid0(SALU_CYCLE_1)
	s_and_not1_b32 exec_lo, exec_lo, s25
	s_cbranch_execnz .LBB176_47
; %bb.50:
	s_or_b32 exec_lo, exec_lo, s25
.LBB176_51:
	s_delay_alu instid0(SALU_CYCLE_1)
	s_or_b32 exec_lo, exec_lo, s24
	v_cmp_ne_u32_e32 vcc_lo, 31, v50
	v_lshlrev_b32_e64 v11, v50, -1
	v_add_nc_u32_e32 v13, 2, v50
	v_add_nc_u32_e32 v16, 4, v50
	v_add_nc_u32_e32 v53, 8, v50
	v_add_co_ci_u32_e32 v3, vcc_lo, 0, v50, vcc_lo
	v_add_nc_u32_e32 v55, 16, v50
	s_delay_alu instid0(VALU_DEP_2) | instskip(SKIP_2) | instid1(VALU_DEP_1)
	v_lshlrev_b32_e32 v10, 2, v3
	ds_bpermute_b32 v6, v10, v4
	v_and_b32_e32 v3, 0xff, v5
	v_cmp_eq_u16_e32 vcc_lo, 2, v3
	v_and_or_b32 v3, vcc_lo, v11, 0x80000000
	v_cmp_gt_u32_e32 vcc_lo, 30, v50
	s_delay_alu instid0(VALU_DEP_2) | instskip(SKIP_1) | instid1(VALU_DEP_2)
	v_ctz_i32_b32_e32 v3, v3
	v_cndmask_b32_e64 v7, 0, 1, vcc_lo
	v_cmp_lt_u32_e32 vcc_lo, v50, v3
	s_waitcnt lgkmcnt(0)
	s_delay_alu instid0(VALU_DEP_2) | instskip(NEXT) | instid1(VALU_DEP_1)
	v_dual_cndmask_b32 v6, 0, v6 :: v_dual_lshlrev_b32 v7, 1, v7
	v_add_lshl_u32 v12, v7, v50, 2
	v_cmp_gt_u32_e32 vcc_lo, 28, v50
	s_delay_alu instid0(VALU_DEP_3) | instskip(SKIP_4) | instid1(VALU_DEP_1)
	v_add_nc_u32_e32 v4, v6, v4
	v_cndmask_b32_e64 v7, 0, 1, vcc_lo
	v_cmp_le_u32_e32 vcc_lo, v13, v3
	ds_bpermute_b32 v6, v12, v4
	v_lshlrev_b32_e32 v7, 2, v7
	v_add_lshl_u32 v14, v7, v50, 2
	s_waitcnt lgkmcnt(0)
	v_cndmask_b32_e32 v6, 0, v6, vcc_lo
	v_cmp_gt_u32_e32 vcc_lo, 24, v50
	s_delay_alu instid0(VALU_DEP_2) | instskip(SKIP_4) | instid1(VALU_DEP_1)
	v_add_nc_u32_e32 v4, v4, v6
	v_cndmask_b32_e64 v7, 0, 1, vcc_lo
	v_cmp_le_u32_e32 vcc_lo, v16, v3
	ds_bpermute_b32 v6, v14, v4
	v_lshlrev_b32_e32 v7, 3, v7
	v_add_lshl_u32 v17, v7, v50, 2
	s_waitcnt lgkmcnt(0)
	v_cndmask_b32_e32 v6, 0, v6, vcc_lo
	v_cmp_gt_u32_e32 vcc_lo, 16, v50
	s_delay_alu instid0(VALU_DEP_2) | instskip(SKIP_4) | instid1(VALU_DEP_1)
	v_add_nc_u32_e32 v4, v4, v6
	v_cndmask_b32_e64 v7, 0, 1, vcc_lo
	v_cmp_le_u32_e32 vcc_lo, v53, v3
	ds_bpermute_b32 v6, v17, v4
	v_lshlrev_b32_e32 v7, 4, v7
	v_add_lshl_u32 v54, v7, v50, 2
	s_waitcnt lgkmcnt(0)
	v_cndmask_b32_e32 v6, 0, v6, vcc_lo
	v_cmp_le_u32_e32 vcc_lo, v55, v3
	s_delay_alu instid0(VALU_DEP_2) | instskip(SKIP_3) | instid1(VALU_DEP_1)
	v_add_nc_u32_e32 v4, v4, v6
	ds_bpermute_b32 v6, v54, v4
	s_waitcnt lgkmcnt(0)
	v_cndmask_b32_e32 v3, 0, v6, vcc_lo
	v_dual_mov_b32 v3, 0 :: v_dual_add_nc_u32 v4, v4, v3
	s_branch .LBB176_53
.LBB176_52:                             ;   in Loop: Header=BB176_53 Depth=1
	s_or_b32 exec_lo, exec_lo, s24
	ds_bpermute_b32 v7, v10, v4
	v_and_b32_e32 v6, 0xff, v5
	v_subrev_nc_u32_e32 v2, 32, v2
	s_delay_alu instid0(VALU_DEP_2) | instskip(SKIP_1) | instid1(VALU_DEP_1)
	v_cmp_eq_u16_e32 vcc_lo, 2, v6
	v_and_or_b32 v6, vcc_lo, v11, 0x80000000
	v_ctz_i32_b32_e32 v6, v6
	s_delay_alu instid0(VALU_DEP_1) | instskip(SKIP_3) | instid1(VALU_DEP_2)
	v_cmp_lt_u32_e32 vcc_lo, v50, v6
	s_waitcnt lgkmcnt(0)
	v_cndmask_b32_e32 v7, 0, v7, vcc_lo
	v_cmp_le_u32_e32 vcc_lo, v13, v6
	v_add_nc_u32_e32 v4, v7, v4
	ds_bpermute_b32 v7, v12, v4
	s_waitcnt lgkmcnt(0)
	v_cndmask_b32_e32 v7, 0, v7, vcc_lo
	v_cmp_le_u32_e32 vcc_lo, v16, v6
	s_delay_alu instid0(VALU_DEP_2) | instskip(SKIP_4) | instid1(VALU_DEP_2)
	v_add_nc_u32_e32 v4, v4, v7
	ds_bpermute_b32 v7, v14, v4
	s_waitcnt lgkmcnt(0)
	v_cndmask_b32_e32 v7, 0, v7, vcc_lo
	v_cmp_le_u32_e32 vcc_lo, v53, v6
	v_add_nc_u32_e32 v4, v4, v7
	ds_bpermute_b32 v7, v17, v4
	s_waitcnt lgkmcnt(0)
	v_cndmask_b32_e32 v7, 0, v7, vcc_lo
	v_cmp_le_u32_e32 vcc_lo, v55, v6
	s_delay_alu instid0(VALU_DEP_2) | instskip(SKIP_3) | instid1(VALU_DEP_1)
	v_add_nc_u32_e32 v4, v4, v7
	ds_bpermute_b32 v7, v54, v4
	s_waitcnt lgkmcnt(0)
	v_cndmask_b32_e32 v6, 0, v7, vcc_lo
	v_add3_u32 v4, v6, v15, v4
.LBB176_53:                             ; =>This Loop Header: Depth=1
                                        ;     Child Loop BB176_56 Depth 2
                                        ;       Child Loop BB176_57 Depth 3
	v_and_b32_e32 v5, 0xff, v5
	s_delay_alu instid0(VALU_DEP_2) | instskip(NEXT) | instid1(VALU_DEP_2)
	v_mov_b32_e32 v15, v4
	v_cmp_ne_u16_e32 vcc_lo, 2, v5
	v_cndmask_b32_e64 v5, 0, 1, vcc_lo
	;;#ASMSTART
	;;#ASMEND
	s_delay_alu instid0(VALU_DEP_1)
	v_cmp_ne_u32_e32 vcc_lo, 0, v5
	s_cmp_lg_u32 vcc_lo, exec_lo
	s_cbranch_scc1 .LBB176_60
; %bb.54:                               ;   in Loop: Header=BB176_53 Depth=1
	v_lshlrev_b64 v[4:5], 3, v[2:3]
	s_mov_b32 s24, exec_lo
	s_delay_alu instid0(VALU_DEP_1) | instskip(NEXT) | instid1(VALU_DEP_2)
	v_add_co_u32 v6, vcc_lo, s20, v4
	v_add_co_ci_u32_e32 v7, vcc_lo, s21, v5, vcc_lo
	global_load_b64 v[4:5], v[6:7], off glc
	s_waitcnt vmcnt(0)
	v_and_b32_e32 v56, 0xff, v5
	s_delay_alu instid0(VALU_DEP_1)
	v_cmpx_eq_u16_e32 0, v56
	s_cbranch_execz .LBB176_52
; %bb.55:                               ;   in Loop: Header=BB176_53 Depth=1
	s_mov_b32 s26, 1
	s_mov_b32 s25, 0
	.p2align	6
.LBB176_56:                             ;   Parent Loop BB176_53 Depth=1
                                        ; =>  This Loop Header: Depth=2
                                        ;       Child Loop BB176_57 Depth 3
	s_max_u32 s27, s26, 1
.LBB176_57:                             ;   Parent Loop BB176_53 Depth=1
                                        ;     Parent Loop BB176_56 Depth=2
                                        ; =>    This Inner Loop Header: Depth=3
	s_delay_alu instid0(SALU_CYCLE_1)
	s_add_i32 s27, s27, -1
	s_sleep 1
	s_cmp_eq_u32 s27, 0
	s_cbranch_scc0 .LBB176_57
; %bb.58:                               ;   in Loop: Header=BB176_56 Depth=2
	global_load_b64 v[4:5], v[6:7], off glc
	s_cmp_lt_u32 s26, 32
	s_cselect_b32 s27, -1, 0
	s_delay_alu instid0(SALU_CYCLE_1) | instskip(SKIP_3) | instid1(VALU_DEP_1)
	s_cmp_lg_u32 s27, 0
	s_addc_u32 s26, s26, 0
	s_waitcnt vmcnt(0)
	v_and_b32_e32 v56, 0xff, v5
	v_cmp_ne_u16_e32 vcc_lo, 0, v56
	s_or_b32 s25, vcc_lo, s25
	s_delay_alu instid0(SALU_CYCLE_1)
	s_and_not1_b32 exec_lo, exec_lo, s25
	s_cbranch_execnz .LBB176_56
; %bb.59:                               ;   in Loop: Header=BB176_53 Depth=1
	s_or_b32 exec_lo, exec_lo, s25
	s_branch .LBB176_52
.LBB176_60:                             ;   in Loop: Header=BB176_53 Depth=1
                                        ; implicit-def: $vgpr4
                                        ; implicit-def: $vgpr5
	s_cbranch_execz .LBB176_53
; %bb.61:
	s_and_saveexec_b32 s24, s6
	s_cbranch_execz .LBB176_63
; %bb.62:
	s_add_i32 s26, s15, 32
	s_mov_b32 s27, 0
	v_dual_mov_b32 v3, 2 :: v_dual_add_nc_u32 v2, v15, v1
	s_lshl_b64 s[26:27], s[26:27], 3
	v_mov_b32_e32 v4, 0
	v_add_nc_u32_e64 v5, 0x3400, 0
	s_add_u32 s26, s20, s26
	s_addc_u32 s27, s21, s27
	global_store_b64 v4, v[2:3], s[26:27]
	ds_store_2addr_b32 v5, v1, v15 offset1:2
.LBB176_63:
	s_or_b32 exec_lo, exec_lo, s24
	v_cmp_eq_u32_e32 vcc_lo, 0, v0
	s_and_b32 exec_lo, exec_lo, vcc_lo
	s_cbranch_execz .LBB176_65
; %bb.64:
	v_mov_b32_e32 v1, 0
	ds_store_b32 v1, v15 offset:28
.LBB176_65:
	s_or_b32 exec_lo, exec_lo, s7
	s_waitcnt lgkmcnt(0)
	v_cndmask_b32_e64 v2, v9, v8, s6
	v_cmp_ne_u32_e32 vcc_lo, 0, v0
	v_mov_b32_e32 v1, 0
	s_waitcnt_vscnt null, 0x0
	s_barrier
	buffer_gl0_inv
	v_cndmask_b32_e32 v2, 0, v2, vcc_lo
	ds_load_b32 v1, v1 offset:28
	v_add_nc_u32_e64 v11, 0x3400, 0
	s_waitcnt lgkmcnt(0)
	s_barrier
	buffer_gl0_inv
	ds_load_2addr_b32 v[16:17], v11 offset1:2
	v_add_nc_u32_e32 v1, v1, v2
	s_delay_alu instid0(VALU_DEP_1) | instskip(NEXT) | instid1(VALU_DEP_1)
	v_add_nc_u32_e32 v2, v1, v41
	v_add_nc_u32_e32 v3, v2, v42
	s_delay_alu instid0(VALU_DEP_1) | instskip(NEXT) | instid1(VALU_DEP_1)
	v_add_nc_u32_e32 v4, v3, v43
	;; [unrolled: 3-line block ×6, first 2 shown]
	v_add_nc_u32_e32 v13, v12, v36
	s_branch .LBB176_76
.LBB176_66:
                                        ; implicit-def: $vgpr17
                                        ; implicit-def: $vgpr1_vgpr2_vgpr3_vgpr4_vgpr5_vgpr6_vgpr7_vgpr8_vgpr9_vgpr10_vgpr11_vgpr12_vgpr13_vgpr14_vgpr15_vgpr16
	s_and_b32 vcc_lo, exec_lo, s6
	s_cbranch_vccz .LBB176_76
; %bb.67:
	s_delay_alu instid0(VALU_DEP_1) | instskip(NEXT) | instid1(VALU_DEP_1)
	v_mov_b32_dpp v1, v52 row_shr:1 row_mask:0xf bank_mask:0xf
	v_cndmask_b32_e64 v1, v1, 0, s5
	s_delay_alu instid0(VALU_DEP_1) | instskip(NEXT) | instid1(VALU_DEP_1)
	v_add_nc_u32_e32 v1, v1, v52
	v_mov_b32_dpp v2, v1 row_shr:2 row_mask:0xf bank_mask:0xf
	s_delay_alu instid0(VALU_DEP_1) | instskip(NEXT) | instid1(VALU_DEP_1)
	v_cndmask_b32_e64 v2, 0, v2, s4
	v_add_nc_u32_e32 v1, v1, v2
	s_delay_alu instid0(VALU_DEP_1) | instskip(NEXT) | instid1(VALU_DEP_1)
	v_mov_b32_dpp v2, v1 row_shr:4 row_mask:0xf bank_mask:0xf
	v_cndmask_b32_e64 v2, 0, v2, s3
	s_delay_alu instid0(VALU_DEP_1) | instskip(NEXT) | instid1(VALU_DEP_1)
	v_add_nc_u32_e32 v1, v1, v2
	v_mov_b32_dpp v2, v1 row_shr:8 row_mask:0xf bank_mask:0xf
	s_delay_alu instid0(VALU_DEP_1) | instskip(NEXT) | instid1(VALU_DEP_1)
	v_cndmask_b32_e64 v2, 0, v2, s2
	v_add_nc_u32_e32 v1, v1, v2
	ds_swizzle_b32 v2, v1 offset:swizzle(BROADCAST,32,15)
	s_waitcnt lgkmcnt(0)
	v_cndmask_b32_e64 v2, v2, 0, s1
	s_delay_alu instid0(VALU_DEP_1)
	v_add_nc_u32_e32 v1, v1, v2
	s_and_saveexec_b32 s1, s0
	s_cbranch_execz .LBB176_69
; %bb.68:
	v_lshlrev_b32_e32 v2, 2, v51
	ds_store_b32 v2, v1
.LBB176_69:
	s_or_b32 exec_lo, exec_lo, s1
	s_delay_alu instid0(SALU_CYCLE_1)
	s_mov_b32 s0, exec_lo
	s_waitcnt lgkmcnt(0)
	s_barrier
	buffer_gl0_inv
	v_cmpx_gt_u32_e32 8, v0
	s_cbranch_execz .LBB176_71
; %bb.70:
	ds_load_b32 v2, v30
	s_waitcnt lgkmcnt(0)
	v_mov_b32_dpp v4, v2 row_shr:1 row_mask:0xf bank_mask:0xf
	v_and_b32_e32 v3, 7, v50
	s_delay_alu instid0(VALU_DEP_1) | instskip(NEXT) | instid1(VALU_DEP_3)
	v_cmp_ne_u32_e32 vcc_lo, 0, v3
	v_cndmask_b32_e32 v4, 0, v4, vcc_lo
	v_cmp_lt_u32_e32 vcc_lo, 1, v3
	s_delay_alu instid0(VALU_DEP_2) | instskip(NEXT) | instid1(VALU_DEP_1)
	v_add_nc_u32_e32 v2, v4, v2
	v_mov_b32_dpp v4, v2 row_shr:2 row_mask:0xf bank_mask:0xf
	s_delay_alu instid0(VALU_DEP_1) | instskip(SKIP_1) | instid1(VALU_DEP_2)
	v_cndmask_b32_e32 v4, 0, v4, vcc_lo
	v_cmp_lt_u32_e32 vcc_lo, 3, v3
	v_add_nc_u32_e32 v2, v2, v4
	s_delay_alu instid0(VALU_DEP_1) | instskip(NEXT) | instid1(VALU_DEP_1)
	v_mov_b32_dpp v4, v2 row_shr:4 row_mask:0xf bank_mask:0xf
	v_cndmask_b32_e32 v3, 0, v4, vcc_lo
	s_delay_alu instid0(VALU_DEP_1)
	v_add_nc_u32_e32 v2, v2, v3
	ds_store_b32 v30, v2
.LBB176_71:
	s_or_b32 exec_lo, exec_lo, s0
	v_dual_mov_b32 v3, 0 :: v_dual_mov_b32 v2, 0
	s_mov_b32 s0, exec_lo
	s_waitcnt lgkmcnt(0)
	s_barrier
	buffer_gl0_inv
	v_cmpx_lt_u32_e32 31, v0
	s_cbranch_execz .LBB176_73
; %bb.72:
	v_lshl_add_u32 v2, v51, 2, -4
	ds_load_b32 v2, v2
.LBB176_73:
	s_or_b32 exec_lo, exec_lo, s0
	v_add_nc_u32_e32 v4, -1, v50
	ds_load_b32 v16, v3 offset:28
	s_waitcnt lgkmcnt(1)
	v_add_nc_u32_e32 v1, v2, v1
	v_cmp_gt_i32_e32 vcc_lo, 0, v4
	v_cndmask_b32_e32 v4, v4, v50, vcc_lo
	v_cmp_eq_u32_e32 vcc_lo, 0, v0
	s_delay_alu instid0(VALU_DEP_2)
	v_lshlrev_b32_e32 v4, 2, v4
	ds_bpermute_b32 v1, v4, v1
	s_and_saveexec_b32 s0, vcc_lo
	s_cbranch_execz .LBB176_75
; %bb.74:
	v_mov_b32_e32 v3, 0
	v_mov_b32_e32 v17, 2
	s_waitcnt lgkmcnt(1)
	global_store_b64 v3, v[16:17], s[20:21] offset:256
.LBB176_75:
	s_or_b32 exec_lo, exec_lo, s0
	v_cmp_eq_u32_e64 s0, 0, v50
	s_waitcnt lgkmcnt(0)
	s_waitcnt_vscnt null, 0x0
	s_barrier
	buffer_gl0_inv
	v_mov_b32_e32 v17, 0
	v_cndmask_b32_e64 v1, v1, v2, s0
	s_delay_alu instid0(VALU_DEP_1) | instskip(NEXT) | instid1(VALU_DEP_1)
	v_cndmask_b32_e64 v1, v1, 0, vcc_lo
	v_add_nc_u32_e32 v2, v1, v41
	s_delay_alu instid0(VALU_DEP_1) | instskip(NEXT) | instid1(VALU_DEP_1)
	v_add_nc_u32_e32 v3, v2, v42
	v_add_nc_u32_e32 v4, v3, v43
	s_delay_alu instid0(VALU_DEP_1) | instskip(NEXT) | instid1(VALU_DEP_1)
	v_add_nc_u32_e32 v5, v4, v40
	;; [unrolled: 3-line block ×5, first 2 shown]
	v_add_nc_u32_e32 v12, v11, v49
	s_delay_alu instid0(VALU_DEP_1)
	v_add_nc_u32_e32 v13, v12, v36
.LBB176_76:
	v_lshrrev_b32_e32 v44, 8, v39
	v_lshrrev_b32_e32 v43, 16, v39
	s_waitcnt lgkmcnt(0)
	v_sub_nc_u32_e32 v1, v1, v17
	v_and_b32_e32 v39, 1, v39
	v_sub_nc_u32_e32 v3, v3, v17
	v_add_nc_u32_e32 v33, v16, v33
	v_sub_nc_u32_e32 v2, v2, v17
	v_sub_nc_u32_e32 v4, v4, v17
	v_cmp_eq_u32_e32 vcc_lo, 1, v39
	v_and_b32_e32 v39, 1, v43
	v_sub_nc_u32_e32 v45, v33, v1
	v_and_b32_e32 v44, 1, v44
	v_sub_nc_u32_e32 v43, v33, v2
	v_lshrrev_b32_e32 v42, 8, v37
	v_lshrrev_b32_e32 v41, 16, v37
	v_cndmask_b32_e32 v1, v45, v1, vcc_lo
	v_sub_nc_u32_e32 v45, v33, v3
	v_add_nc_u32_e32 v43, 1, v43
	v_cmp_eq_u32_e32 vcc_lo, 1, v44
	v_and_b32_e32 v40, 1, v40
	v_lshlrev_b32_e32 v1, 2, v1
	v_add_nc_u32_e32 v45, 2, v45
	v_lshrrev_b32_e32 v15, 8, v35
	v_lshrrev_b32_e32 v14, 16, v35
	ds_store_b32 v1, v28
	v_cndmask_b32_e32 v1, v43, v2, vcc_lo
	v_cmp_eq_u32_e32 vcc_lo, 1, v39
	v_or_b32_e32 v28, 0x500, v0
	s_delay_alu instid0(VALU_DEP_3)
	v_dual_cndmask_b32 v2, v45, v3 :: v_dual_lshlrev_b32 v1, 2, v1
	v_sub_nc_u32_e32 v46, v33, v4
	v_cmp_eq_u32_e32 vcc_lo, 1, v40
	ds_store_b32 v1, v29
	v_lshlrev_b32_e32 v2, 2, v2
	v_add_nc_u32_e32 v46, 3, v46
	v_or_b32_e32 v29, 0x400, v0
	s_delay_alu instid0(VALU_DEP_2) | instskip(SKIP_2) | instid1(VALU_DEP_3)
	v_cndmask_b32_e32 v3, v46, v4, vcc_lo
	v_sub_nc_u32_e32 v4, v5, v17
	v_sub_nc_u32_e32 v5, v6, v17
	v_lshlrev_b32_e32 v3, 2, v3
	s_delay_alu instid0(VALU_DEP_3) | instskip(NEXT) | instid1(VALU_DEP_3)
	v_sub_nc_u32_e32 v1, v33, v4
	v_sub_nc_u32_e32 v6, v33, v5
	ds_store_b32 v2, v26
	ds_store_b32 v3, v27
	v_and_b32_e32 v2, 1, v37
	v_add_nc_u32_e32 v1, 4, v1
	v_add_nc_u32_e32 v3, 5, v6
	v_sub_nc_u32_e32 v6, v7, v17
	v_and_b32_e32 v7, 1, v42
	v_cmp_eq_u32_e32 vcc_lo, 1, v2
	v_sub_nc_u32_e32 v2, v8, v17
	v_and_b32_e32 v8, 1, v38
	v_or_b32_e32 v27, 0x600, v0
	v_or_b32_e32 v26, 0x700, v0
	v_cndmask_b32_e32 v1, v1, v4, vcc_lo
	v_sub_nc_u32_e32 v4, v33, v6
	v_cmp_eq_u32_e32 vcc_lo, 1, v7
	v_and_b32_e32 v7, 1, v41
	s_delay_alu instid0(VALU_DEP_4) | instskip(NEXT) | instid1(VALU_DEP_4)
	v_lshlrev_b32_e32 v1, 2, v1
	v_dual_cndmask_b32 v3, v3, v5 :: v_dual_add_nc_u32 v4, 6, v4
	v_sub_nc_u32_e32 v5, v33, v2
	s_delay_alu instid0(VALU_DEP_4) | instskip(SKIP_1) | instid1(VALU_DEP_4)
	v_cmp_eq_u32_e32 vcc_lo, 1, v7
	v_sub_nc_u32_e32 v7, v13, v17
	v_lshlrev_b32_e32 v3, 2, v3
	s_delay_alu instid0(VALU_DEP_4)
	v_dual_cndmask_b32 v4, v4, v6 :: v_dual_add_nc_u32 v5, 7, v5
	v_cmp_eq_u32_e32 vcc_lo, 1, v8
	v_sub_nc_u32_e32 v6, v9, v17
	ds_store_b32 v1, v24
	ds_store_b32 v3, v25
	v_or_b32_e32 v25, 0x800, v0
	v_dual_cndmask_b32 v2, v5, v2 :: v_dual_lshlrev_b32 v3, 2, v4
	v_and_b32_e32 v5, 1, v35
	v_sub_nc_u32_e32 v1, v33, v6
	v_sub_nc_u32_e32 v4, v10, v17
	v_and_b32_e32 v10, 1, v36
	v_or_b32_e32 v24, 0x900, v0
	v_cmp_eq_u32_e32 vcc_lo, 1, v5
	v_sub_nc_u32_e32 v5, v12, v17
	v_add_nc_u32_e32 v1, 8, v1
	s_delay_alu instid0(VALU_DEP_2) | instskip(NEXT) | instid1(VALU_DEP_2)
	v_sub_nc_u32_e32 v9, v33, v5
	v_dual_cndmask_b32 v1, v1, v6 :: v_dual_and_b32 v6, 1, v15
	v_add_co_u32 v15, s0, s18, v17
	s_delay_alu instid0(VALU_DEP_3)
	v_add_nc_u32_e32 v9, 11, v9
	v_lshlrev_b32_e32 v2, 2, v2
	ds_store_b32 v3, v22
	ds_store_b32 v2, v23
	v_sub_nc_u32_e32 v3, v11, v17
	v_sub_nc_u32_e32 v2, v33, v4
	v_cmp_eq_u32_e32 vcc_lo, 1, v6
	v_and_b32_e32 v11, 1, v34
	v_lshlrev_b32_e32 v1, 2, v1
	v_sub_nc_u32_e32 v8, v33, v3
	v_add_nc_u32_e32 v2, 9, v2
	v_add_co_ci_u32_e64 v17, null, s19, 0, s0
	s_add_u32 s0, s16, s23
	s_delay_alu instid0(VALU_DEP_3)
	v_add_nc_u32_e32 v6, 10, v8
	v_and_b32_e32 v8, 1, v14
	v_cndmask_b32_e32 v2, v2, v4, vcc_lo
	v_sub_nc_u32_e32 v4, v33, v7
	s_addc_u32 s1, s17, 0
	s_sub_u32 s0, s12, s0
	v_cmp_eq_u32_e32 vcc_lo, 1, v8
	v_lshlrev_b32_e32 v2, 2, v2
	v_add_nc_u32_e32 v4, 12, v4
	s_subb_u32 s1, s13, s1
	v_add_co_u32 v13, s0, s0, v16
	v_cndmask_b32_e32 v3, v6, v3, vcc_lo
	v_cmp_eq_u32_e32 vcc_lo, 1, v10
	v_add_co_ci_u32_e64 v14, null, s1, 0, s0
	v_or_b32_e32 v34, 0x100, v0
	s_delay_alu instid0(VALU_DEP_4)
	v_lshlrev_b32_e32 v3, 2, v3
	v_cndmask_b32_e32 v5, v9, v5, vcc_lo
	v_cmp_eq_u32_e32 vcc_lo, 1, v11
	v_or_b32_e32 v33, 0x200, v0
	v_or_b32_e32 v23, 0xa00, v0
	;; [unrolled: 1-line block ×3, first 2 shown]
	v_dual_cndmask_b32 v4, v4, v7 :: v_dual_lshlrev_b32 v5, 2, v5
	v_cmp_ne_u32_e32 vcc_lo, 1, v31
	s_delay_alu instid0(VALU_DEP_2)
	v_lshlrev_b32_e32 v4, 2, v4
	ds_store_b32 v1, v20
	ds_store_b32 v2, v21
	;; [unrolled: 1-line block ×5, first 2 shown]
	s_waitcnt lgkmcnt(0)
	s_barrier
	buffer_gl0_inv
	ds_load_2addr_stride64_b32 v[11:12], v30 offset1:4
	ds_load_2addr_stride64_b32 v[9:10], v30 offset0:8 offset1:12
	ds_load_2addr_stride64_b32 v[7:8], v30 offset0:16 offset1:20
	;; [unrolled: 1-line block ×5, first 2 shown]
	ds_load_b32 v18, v30 offset:12288
	v_add_co_u32 v20, s0, v13, v15
	v_or_b32_e32 v32, 0x300, v0
	v_or_b32_e32 v19, 0xc00, v0
	v_add_co_ci_u32_e64 v21, s0, v14, v17, s0
	s_mov_b32 s0, 0
	s_cbranch_vccnz .LBB176_130
; %bb.77:
	s_mov_b32 s0, exec_lo
                                        ; implicit-def: $vgpr13_vgpr14
	v_cmpx_ge_u32_e64 v0, v16
	s_xor_b32 s0, exec_lo, s0
; %bb.78:
	v_not_b32_e32 v13, v0
	s_delay_alu instid0(VALU_DEP_1) | instskip(SKIP_1) | instid1(VALU_DEP_2)
	v_ashrrev_i32_e32 v14, 31, v13
	v_add_co_u32 v13, vcc_lo, v20, v13
	v_add_co_ci_u32_e32 v14, vcc_lo, v21, v14, vcc_lo
; %bb.79:
	s_and_not1_saveexec_b32 s0, s0
; %bb.80:
	v_add_co_u32 v13, vcc_lo, v15, v0
	v_add_co_ci_u32_e32 v14, vcc_lo, 0, v17, vcc_lo
; %bb.81:
	s_or_b32 exec_lo, exec_lo, s0
	s_delay_alu instid0(VALU_DEP_1) | instskip(SKIP_1) | instid1(VALU_DEP_1)
	v_lshlrev_b64 v[13:14], 2, v[13:14]
	s_mov_b32 s0, exec_lo
	v_add_co_u32 v13, vcc_lo, s10, v13
	s_delay_alu instid0(VALU_DEP_2)
	v_add_co_ci_u32_e32 v14, vcc_lo, s11, v14, vcc_lo
	s_waitcnt lgkmcnt(6)
	global_store_b32 v[13:14], v11, off
                                        ; implicit-def: $vgpr13_vgpr14
	v_cmpx_ge_u32_e64 v34, v16
	s_xor_b32 s0, exec_lo, s0
; %bb.82:
	v_xor_b32_e32 v13, 0xfffffeff, v0
	s_delay_alu instid0(VALU_DEP_1) | instskip(SKIP_1) | instid1(VALU_DEP_2)
	v_ashrrev_i32_e32 v14, 31, v13
	v_add_co_u32 v13, vcc_lo, v20, v13
	v_add_co_ci_u32_e32 v14, vcc_lo, v21, v14, vcc_lo
; %bb.83:
	s_and_not1_saveexec_b32 s0, s0
; %bb.84:
	v_add_co_u32 v13, vcc_lo, v15, v34
	v_add_co_ci_u32_e32 v14, vcc_lo, 0, v17, vcc_lo
; %bb.85:
	s_or_b32 exec_lo, exec_lo, s0
	s_delay_alu instid0(VALU_DEP_1) | instskip(SKIP_1) | instid1(VALU_DEP_1)
	v_lshlrev_b64 v[13:14], 2, v[13:14]
	s_mov_b32 s0, exec_lo
	v_add_co_u32 v13, vcc_lo, s10, v13
	s_delay_alu instid0(VALU_DEP_2)
	v_add_co_ci_u32_e32 v14, vcc_lo, s11, v14, vcc_lo
	global_store_b32 v[13:14], v12, off
                                        ; implicit-def: $vgpr13_vgpr14
	v_cmpx_ge_u32_e64 v33, v16
	s_xor_b32 s0, exec_lo, s0
; %bb.86:
	v_xor_b32_e32 v13, 0xfffffdff, v0
	s_delay_alu instid0(VALU_DEP_1) | instskip(SKIP_1) | instid1(VALU_DEP_2)
	v_ashrrev_i32_e32 v14, 31, v13
	v_add_co_u32 v13, vcc_lo, v20, v13
	v_add_co_ci_u32_e32 v14, vcc_lo, v21, v14, vcc_lo
; %bb.87:
	s_and_not1_saveexec_b32 s0, s0
; %bb.88:
	v_add_co_u32 v13, vcc_lo, v15, v33
	v_add_co_ci_u32_e32 v14, vcc_lo, 0, v17, vcc_lo
; %bb.89:
	s_or_b32 exec_lo, exec_lo, s0
	s_delay_alu instid0(VALU_DEP_1) | instskip(SKIP_1) | instid1(VALU_DEP_1)
	v_lshlrev_b64 v[13:14], 2, v[13:14]
	s_mov_b32 s0, exec_lo
	v_add_co_u32 v13, vcc_lo, s10, v13
	s_delay_alu instid0(VALU_DEP_2)
	v_add_co_ci_u32_e32 v14, vcc_lo, s11, v14, vcc_lo
	s_waitcnt lgkmcnt(5)
	global_store_b32 v[13:14], v9, off
                                        ; implicit-def: $vgpr13_vgpr14
	v_cmpx_ge_u32_e64 v32, v16
	s_xor_b32 s0, exec_lo, s0
; %bb.90:
	v_xor_b32_e32 v13, 0xfffffcff, v0
	s_delay_alu instid0(VALU_DEP_1) | instskip(SKIP_1) | instid1(VALU_DEP_2)
	v_ashrrev_i32_e32 v14, 31, v13
	v_add_co_u32 v13, vcc_lo, v20, v13
	v_add_co_ci_u32_e32 v14, vcc_lo, v21, v14, vcc_lo
; %bb.91:
	s_and_not1_saveexec_b32 s0, s0
; %bb.92:
	v_add_co_u32 v13, vcc_lo, v15, v32
	v_add_co_ci_u32_e32 v14, vcc_lo, 0, v17, vcc_lo
; %bb.93:
	s_or_b32 exec_lo, exec_lo, s0
	s_delay_alu instid0(VALU_DEP_1) | instskip(SKIP_1) | instid1(VALU_DEP_1)
	v_lshlrev_b64 v[13:14], 2, v[13:14]
	s_mov_b32 s0, exec_lo
	v_add_co_u32 v13, vcc_lo, s10, v13
	s_delay_alu instid0(VALU_DEP_2)
	v_add_co_ci_u32_e32 v14, vcc_lo, s11, v14, vcc_lo
	global_store_b32 v[13:14], v10, off
                                        ; implicit-def: $vgpr13_vgpr14
	v_cmpx_ge_u32_e64 v29, v16
	s_xor_b32 s0, exec_lo, s0
; %bb.94:
	v_xor_b32_e32 v13, 0xfffffbff, v0
	;; [unrolled: 47-line block ×6, first 2 shown]
	s_delay_alu instid0(VALU_DEP_1) | instskip(SKIP_1) | instid1(VALU_DEP_2)
	v_ashrrev_i32_e32 v14, 31, v13
	v_add_co_u32 v13, vcc_lo, v20, v13
	v_add_co_ci_u32_e32 v14, vcc_lo, v21, v14, vcc_lo
; %bb.127:
	s_and_not1_saveexec_b32 s0, s0
; %bb.128:
	v_add_co_u32 v13, vcc_lo, v15, v19
	v_add_co_ci_u32_e32 v14, vcc_lo, 0, v17, vcc_lo
; %bb.129:
	s_or_b32 exec_lo, exec_lo, s0
	s_mov_b32 s0, -1
	s_branch .LBB176_210
.LBB176_130:
                                        ; implicit-def: $vgpr13_vgpr14
	s_cbranch_execz .LBB176_210
; %bb.131:
	s_mov_b32 s1, exec_lo
	v_cmpx_gt_u32_e64 s22, v0
	s_cbranch_execz .LBB176_167
; %bb.132:
	s_mov_b32 s2, exec_lo
                                        ; implicit-def: $vgpr13_vgpr14
	v_cmpx_ge_u32_e64 v0, v16
	s_xor_b32 s2, exec_lo, s2
; %bb.133:
	v_not_b32_e32 v13, v0
	s_delay_alu instid0(VALU_DEP_1) | instskip(SKIP_1) | instid1(VALU_DEP_2)
	v_ashrrev_i32_e32 v14, 31, v13
	v_add_co_u32 v13, vcc_lo, v20, v13
	v_add_co_ci_u32_e32 v14, vcc_lo, v21, v14, vcc_lo
; %bb.134:
	s_and_not1_saveexec_b32 s2, s2
; %bb.135:
	v_add_co_u32 v13, vcc_lo, v15, v0
	v_add_co_ci_u32_e32 v14, vcc_lo, 0, v17, vcc_lo
; %bb.136:
	s_or_b32 exec_lo, exec_lo, s2
	s_delay_alu instid0(VALU_DEP_1) | instskip(NEXT) | instid1(VALU_DEP_1)
	v_lshlrev_b64 v[13:14], 2, v[13:14]
	v_add_co_u32 v13, vcc_lo, s10, v13
	s_delay_alu instid0(VALU_DEP_2) | instskip(SKIP_3) | instid1(SALU_CYCLE_1)
	v_add_co_ci_u32_e32 v14, vcc_lo, s11, v14, vcc_lo
	s_waitcnt lgkmcnt(6)
	global_store_b32 v[13:14], v11, off
	s_or_b32 exec_lo, exec_lo, s1
	s_mov_b32 s1, exec_lo
	v_cmpx_gt_u32_e64 s22, v34
	s_cbranch_execnz .LBB176_168
.LBB176_137:
	s_or_b32 exec_lo, exec_lo, s1
	s_delay_alu instid0(SALU_CYCLE_1)
	s_mov_b32 s1, exec_lo
	v_cmpx_gt_u32_e64 s22, v33
	s_cbranch_execz .LBB176_173
.LBB176_138:
	s_mov_b32 s2, exec_lo
                                        ; implicit-def: $vgpr11_vgpr12
	v_cmpx_ge_u32_e64 v33, v16
	s_xor_b32 s2, exec_lo, s2
	s_cbranch_execz .LBB176_140
; %bb.139:
	s_waitcnt lgkmcnt(6)
	v_xor_b32_e32 v11, 0xfffffdff, v0
                                        ; implicit-def: $vgpr33
	s_delay_alu instid0(VALU_DEP_1) | instskip(SKIP_1) | instid1(VALU_DEP_2)
	v_ashrrev_i32_e32 v12, 31, v11
	v_add_co_u32 v11, vcc_lo, v20, v11
	v_add_co_ci_u32_e32 v12, vcc_lo, v21, v12, vcc_lo
.LBB176_140:
	s_and_not1_saveexec_b32 s2, s2
	s_cbranch_execz .LBB176_142
; %bb.141:
	s_waitcnt lgkmcnt(6)
	v_add_co_u32 v11, vcc_lo, v15, v33
	v_add_co_ci_u32_e32 v12, vcc_lo, 0, v17, vcc_lo
.LBB176_142:
	s_or_b32 exec_lo, exec_lo, s2
	s_waitcnt lgkmcnt(6)
	s_delay_alu instid0(VALU_DEP_1) | instskip(NEXT) | instid1(VALU_DEP_1)
	v_lshlrev_b64 v[11:12], 2, v[11:12]
	v_add_co_u32 v11, vcc_lo, s10, v11
	s_delay_alu instid0(VALU_DEP_2) | instskip(SKIP_3) | instid1(SALU_CYCLE_1)
	v_add_co_ci_u32_e32 v12, vcc_lo, s11, v12, vcc_lo
	s_waitcnt lgkmcnt(5)
	global_store_b32 v[11:12], v9, off
	s_or_b32 exec_lo, exec_lo, s1
	s_mov_b32 s1, exec_lo
	v_cmpx_gt_u32_e64 s22, v32
	s_cbranch_execnz .LBB176_174
.LBB176_143:
	s_or_b32 exec_lo, exec_lo, s1
	s_delay_alu instid0(SALU_CYCLE_1)
	s_mov_b32 s1, exec_lo
	v_cmpx_gt_u32_e64 s22, v29
	s_cbranch_execz .LBB176_179
.LBB176_144:
	s_mov_b32 s2, exec_lo
                                        ; implicit-def: $vgpr9_vgpr10
	v_cmpx_ge_u32_e64 v29, v16
	s_xor_b32 s2, exec_lo, s2
	s_cbranch_execz .LBB176_146
; %bb.145:
	s_waitcnt lgkmcnt(5)
	v_xor_b32_e32 v9, 0xfffffbff, v0
                                        ; implicit-def: $vgpr29
	s_delay_alu instid0(VALU_DEP_1) | instskip(SKIP_1) | instid1(VALU_DEP_2)
	v_ashrrev_i32_e32 v10, 31, v9
	v_add_co_u32 v9, vcc_lo, v20, v9
	v_add_co_ci_u32_e32 v10, vcc_lo, v21, v10, vcc_lo
.LBB176_146:
	s_and_not1_saveexec_b32 s2, s2
	s_cbranch_execz .LBB176_148
; %bb.147:
	s_waitcnt lgkmcnt(5)
	v_add_co_u32 v9, vcc_lo, v15, v29
	v_add_co_ci_u32_e32 v10, vcc_lo, 0, v17, vcc_lo
.LBB176_148:
	s_or_b32 exec_lo, exec_lo, s2
	s_waitcnt lgkmcnt(5)
	s_delay_alu instid0(VALU_DEP_1) | instskip(NEXT) | instid1(VALU_DEP_1)
	v_lshlrev_b64 v[9:10], 2, v[9:10]
	v_add_co_u32 v9, vcc_lo, s10, v9
	s_delay_alu instid0(VALU_DEP_2) | instskip(SKIP_3) | instid1(SALU_CYCLE_1)
	v_add_co_ci_u32_e32 v10, vcc_lo, s11, v10, vcc_lo
	s_waitcnt lgkmcnt(4)
	global_store_b32 v[9:10], v7, off
	s_or_b32 exec_lo, exec_lo, s1
	s_mov_b32 s1, exec_lo
	v_cmpx_gt_u32_e64 s22, v28
	s_cbranch_execnz .LBB176_180
.LBB176_149:
	s_or_b32 exec_lo, exec_lo, s1
	s_delay_alu instid0(SALU_CYCLE_1)
	s_mov_b32 s1, exec_lo
	v_cmpx_gt_u32_e64 s22, v27
	s_cbranch_execz .LBB176_185
.LBB176_150:
	s_mov_b32 s2, exec_lo
                                        ; implicit-def: $vgpr7_vgpr8
	v_cmpx_ge_u32_e64 v27, v16
	s_xor_b32 s2, exec_lo, s2
	s_cbranch_execz .LBB176_152
; %bb.151:
	s_waitcnt lgkmcnt(4)
	v_xor_b32_e32 v7, 0xfffff9ff, v0
                                        ; implicit-def: $vgpr27
	s_delay_alu instid0(VALU_DEP_1) | instskip(SKIP_1) | instid1(VALU_DEP_2)
	v_ashrrev_i32_e32 v8, 31, v7
	v_add_co_u32 v7, vcc_lo, v20, v7
	v_add_co_ci_u32_e32 v8, vcc_lo, v21, v8, vcc_lo
.LBB176_152:
	s_and_not1_saveexec_b32 s2, s2
	s_cbranch_execz .LBB176_154
; %bb.153:
	s_waitcnt lgkmcnt(4)
	v_add_co_u32 v7, vcc_lo, v15, v27
	v_add_co_ci_u32_e32 v8, vcc_lo, 0, v17, vcc_lo
.LBB176_154:
	s_or_b32 exec_lo, exec_lo, s2
	s_waitcnt lgkmcnt(4)
	s_delay_alu instid0(VALU_DEP_1) | instskip(NEXT) | instid1(VALU_DEP_1)
	v_lshlrev_b64 v[7:8], 2, v[7:8]
	v_add_co_u32 v7, vcc_lo, s10, v7
	s_delay_alu instid0(VALU_DEP_2) | instskip(SKIP_3) | instid1(SALU_CYCLE_1)
	v_add_co_ci_u32_e32 v8, vcc_lo, s11, v8, vcc_lo
	s_waitcnt lgkmcnt(3)
	global_store_b32 v[7:8], v5, off
	s_or_b32 exec_lo, exec_lo, s1
	s_mov_b32 s1, exec_lo
	v_cmpx_gt_u32_e64 s22, v26
	s_cbranch_execnz .LBB176_186
.LBB176_155:
	s_or_b32 exec_lo, exec_lo, s1
	s_delay_alu instid0(SALU_CYCLE_1)
	s_mov_b32 s1, exec_lo
	v_cmpx_gt_u32_e64 s22, v25
	s_cbranch_execz .LBB176_191
.LBB176_156:
	s_mov_b32 s2, exec_lo
                                        ; implicit-def: $vgpr5_vgpr6
	v_cmpx_ge_u32_e64 v25, v16
	s_xor_b32 s2, exec_lo, s2
	s_cbranch_execz .LBB176_158
; %bb.157:
	s_waitcnt lgkmcnt(3)
	v_xor_b32_e32 v5, 0xfffff7ff, v0
                                        ; implicit-def: $vgpr25
	s_delay_alu instid0(VALU_DEP_1) | instskip(SKIP_1) | instid1(VALU_DEP_2)
	v_ashrrev_i32_e32 v6, 31, v5
	v_add_co_u32 v5, vcc_lo, v20, v5
	v_add_co_ci_u32_e32 v6, vcc_lo, v21, v6, vcc_lo
.LBB176_158:
	s_and_not1_saveexec_b32 s2, s2
	s_cbranch_execz .LBB176_160
; %bb.159:
	s_waitcnt lgkmcnt(3)
	v_add_co_u32 v5, vcc_lo, v15, v25
	v_add_co_ci_u32_e32 v6, vcc_lo, 0, v17, vcc_lo
.LBB176_160:
	s_or_b32 exec_lo, exec_lo, s2
	s_waitcnt lgkmcnt(3)
	s_delay_alu instid0(VALU_DEP_1) | instskip(NEXT) | instid1(VALU_DEP_1)
	v_lshlrev_b64 v[5:6], 2, v[5:6]
	v_add_co_u32 v5, vcc_lo, s10, v5
	s_delay_alu instid0(VALU_DEP_2) | instskip(SKIP_3) | instid1(SALU_CYCLE_1)
	v_add_co_ci_u32_e32 v6, vcc_lo, s11, v6, vcc_lo
	s_waitcnt lgkmcnt(2)
	global_store_b32 v[5:6], v3, off
	s_or_b32 exec_lo, exec_lo, s1
	s_mov_b32 s1, exec_lo
	v_cmpx_gt_u32_e64 s22, v24
	s_cbranch_execnz .LBB176_192
.LBB176_161:
	s_or_b32 exec_lo, exec_lo, s1
	s_delay_alu instid0(SALU_CYCLE_1)
	s_mov_b32 s1, exec_lo
	v_cmpx_gt_u32_e64 s22, v23
	s_cbranch_execz .LBB176_197
.LBB176_162:
	s_mov_b32 s2, exec_lo
                                        ; implicit-def: $vgpr3_vgpr4
	v_cmpx_ge_u32_e64 v23, v16
	s_xor_b32 s2, exec_lo, s2
	s_cbranch_execz .LBB176_164
; %bb.163:
	s_waitcnt lgkmcnt(2)
	v_xor_b32_e32 v3, 0xfffff5ff, v0
                                        ; implicit-def: $vgpr23
	s_delay_alu instid0(VALU_DEP_1) | instskip(SKIP_1) | instid1(VALU_DEP_2)
	v_ashrrev_i32_e32 v4, 31, v3
	v_add_co_u32 v3, vcc_lo, v20, v3
	v_add_co_ci_u32_e32 v4, vcc_lo, v21, v4, vcc_lo
.LBB176_164:
	s_and_not1_saveexec_b32 s2, s2
	s_cbranch_execz .LBB176_166
; %bb.165:
	s_waitcnt lgkmcnt(2)
	v_add_co_u32 v3, vcc_lo, v15, v23
	v_add_co_ci_u32_e32 v4, vcc_lo, 0, v17, vcc_lo
.LBB176_166:
	s_or_b32 exec_lo, exec_lo, s2
	s_waitcnt lgkmcnt(2)
	s_delay_alu instid0(VALU_DEP_1) | instskip(NEXT) | instid1(VALU_DEP_1)
	v_lshlrev_b64 v[3:4], 2, v[3:4]
	v_add_co_u32 v3, vcc_lo, s10, v3
	s_delay_alu instid0(VALU_DEP_2) | instskip(SKIP_3) | instid1(SALU_CYCLE_1)
	v_add_co_ci_u32_e32 v4, vcc_lo, s11, v4, vcc_lo
	s_waitcnt lgkmcnt(1)
	global_store_b32 v[3:4], v1, off
	s_or_b32 exec_lo, exec_lo, s1
	s_mov_b32 s1, exec_lo
	v_cmpx_gt_u32_e64 s22, v22
	s_cbranch_execz .LBB176_203
	s_branch .LBB176_198
.LBB176_167:
	s_or_b32 exec_lo, exec_lo, s1
	s_delay_alu instid0(SALU_CYCLE_1)
	s_mov_b32 s1, exec_lo
	v_cmpx_gt_u32_e64 s22, v34
	s_cbranch_execz .LBB176_137
.LBB176_168:
	s_mov_b32 s2, exec_lo
                                        ; implicit-def: $vgpr13_vgpr14
	v_cmpx_ge_u32_e64 v34, v16
	s_xor_b32 s2, exec_lo, s2
	s_cbranch_execz .LBB176_170
; %bb.169:
	s_waitcnt lgkmcnt(6)
	v_xor_b32_e32 v11, 0xfffffeff, v0
                                        ; implicit-def: $vgpr34
	s_delay_alu instid0(VALU_DEP_1) | instskip(SKIP_1) | instid1(VALU_DEP_2)
	v_ashrrev_i32_e32 v14, 31, v11
	v_add_co_u32 v13, vcc_lo, v20, v11
	v_add_co_ci_u32_e32 v14, vcc_lo, v21, v14, vcc_lo
.LBB176_170:
	s_and_not1_saveexec_b32 s2, s2
; %bb.171:
	v_add_co_u32 v13, vcc_lo, v15, v34
	v_add_co_ci_u32_e32 v14, vcc_lo, 0, v17, vcc_lo
; %bb.172:
	s_or_b32 exec_lo, exec_lo, s2
	s_delay_alu instid0(VALU_DEP_1) | instskip(NEXT) | instid1(VALU_DEP_1)
	v_lshlrev_b64 v[13:14], 2, v[13:14]
	v_add_co_u32 v13, vcc_lo, s10, v13
	s_delay_alu instid0(VALU_DEP_2) | instskip(SKIP_3) | instid1(SALU_CYCLE_1)
	v_add_co_ci_u32_e32 v14, vcc_lo, s11, v14, vcc_lo
	s_waitcnt lgkmcnt(6)
	global_store_b32 v[13:14], v12, off
	s_or_b32 exec_lo, exec_lo, s1
	s_mov_b32 s1, exec_lo
	v_cmpx_gt_u32_e64 s22, v33
	s_cbranch_execnz .LBB176_138
.LBB176_173:
	s_or_b32 exec_lo, exec_lo, s1
	s_delay_alu instid0(SALU_CYCLE_1)
	s_mov_b32 s1, exec_lo
	v_cmpx_gt_u32_e64 s22, v32
	s_cbranch_execz .LBB176_143
.LBB176_174:
	s_mov_b32 s2, exec_lo
                                        ; implicit-def: $vgpr11_vgpr12
	v_cmpx_ge_u32_e64 v32, v16
	s_xor_b32 s2, exec_lo, s2
	s_cbranch_execz .LBB176_176
; %bb.175:
	s_waitcnt lgkmcnt(5)
	v_xor_b32_e32 v9, 0xfffffcff, v0
                                        ; implicit-def: $vgpr32
	s_delay_alu instid0(VALU_DEP_1) | instskip(SKIP_1) | instid1(VALU_DEP_2)
	v_ashrrev_i32_e32 v12, 31, v9
	v_add_co_u32 v11, vcc_lo, v20, v9
	v_add_co_ci_u32_e32 v12, vcc_lo, v21, v12, vcc_lo
.LBB176_176:
	s_and_not1_saveexec_b32 s2, s2
	s_cbranch_execz .LBB176_178
; %bb.177:
	s_waitcnt lgkmcnt(6)
	v_add_co_u32 v11, vcc_lo, v15, v32
	v_add_co_ci_u32_e32 v12, vcc_lo, 0, v17, vcc_lo
.LBB176_178:
	s_or_b32 exec_lo, exec_lo, s2
	s_waitcnt lgkmcnt(6)
	s_delay_alu instid0(VALU_DEP_1) | instskip(NEXT) | instid1(VALU_DEP_1)
	v_lshlrev_b64 v[11:12], 2, v[11:12]
	v_add_co_u32 v11, vcc_lo, s10, v11
	s_delay_alu instid0(VALU_DEP_2) | instskip(SKIP_3) | instid1(SALU_CYCLE_1)
	v_add_co_ci_u32_e32 v12, vcc_lo, s11, v12, vcc_lo
	s_waitcnt lgkmcnt(5)
	global_store_b32 v[11:12], v10, off
	s_or_b32 exec_lo, exec_lo, s1
	s_mov_b32 s1, exec_lo
	v_cmpx_gt_u32_e64 s22, v29
	s_cbranch_execnz .LBB176_144
.LBB176_179:
	s_or_b32 exec_lo, exec_lo, s1
	s_delay_alu instid0(SALU_CYCLE_1)
	s_mov_b32 s1, exec_lo
	v_cmpx_gt_u32_e64 s22, v28
	s_cbranch_execz .LBB176_149
.LBB176_180:
	s_mov_b32 s2, exec_lo
                                        ; implicit-def: $vgpr9_vgpr10
	v_cmpx_ge_u32_e64 v28, v16
	s_xor_b32 s2, exec_lo, s2
	s_cbranch_execz .LBB176_182
; %bb.181:
	s_waitcnt lgkmcnt(4)
	v_xor_b32_e32 v7, 0xfffffaff, v0
                                        ; implicit-def: $vgpr28
	s_delay_alu instid0(VALU_DEP_1) | instskip(SKIP_1) | instid1(VALU_DEP_2)
	v_ashrrev_i32_e32 v10, 31, v7
	v_add_co_u32 v9, vcc_lo, v20, v7
	v_add_co_ci_u32_e32 v10, vcc_lo, v21, v10, vcc_lo
.LBB176_182:
	s_and_not1_saveexec_b32 s2, s2
	s_cbranch_execz .LBB176_184
; %bb.183:
	s_waitcnt lgkmcnt(5)
	v_add_co_u32 v9, vcc_lo, v15, v28
	v_add_co_ci_u32_e32 v10, vcc_lo, 0, v17, vcc_lo
.LBB176_184:
	s_or_b32 exec_lo, exec_lo, s2
	s_waitcnt lgkmcnt(5)
	s_delay_alu instid0(VALU_DEP_1) | instskip(NEXT) | instid1(VALU_DEP_1)
	v_lshlrev_b64 v[9:10], 2, v[9:10]
	v_add_co_u32 v9, vcc_lo, s10, v9
	s_delay_alu instid0(VALU_DEP_2) | instskip(SKIP_3) | instid1(SALU_CYCLE_1)
	v_add_co_ci_u32_e32 v10, vcc_lo, s11, v10, vcc_lo
	s_waitcnt lgkmcnt(4)
	global_store_b32 v[9:10], v8, off
	s_or_b32 exec_lo, exec_lo, s1
	s_mov_b32 s1, exec_lo
	v_cmpx_gt_u32_e64 s22, v27
	s_cbranch_execnz .LBB176_150
.LBB176_185:
	s_or_b32 exec_lo, exec_lo, s1
	s_delay_alu instid0(SALU_CYCLE_1)
	s_mov_b32 s1, exec_lo
	v_cmpx_gt_u32_e64 s22, v26
	s_cbranch_execz .LBB176_155
.LBB176_186:
	s_mov_b32 s2, exec_lo
                                        ; implicit-def: $vgpr7_vgpr8
	v_cmpx_ge_u32_e64 v26, v16
	s_xor_b32 s2, exec_lo, s2
	s_cbranch_execz .LBB176_188
; %bb.187:
	s_waitcnt lgkmcnt(3)
	v_xor_b32_e32 v5, 0xfffff8ff, v0
                                        ; implicit-def: $vgpr26
	s_delay_alu instid0(VALU_DEP_1) | instskip(SKIP_1) | instid1(VALU_DEP_2)
	v_ashrrev_i32_e32 v8, 31, v5
	v_add_co_u32 v7, vcc_lo, v20, v5
	v_add_co_ci_u32_e32 v8, vcc_lo, v21, v8, vcc_lo
.LBB176_188:
	s_and_not1_saveexec_b32 s2, s2
	s_cbranch_execz .LBB176_190
; %bb.189:
	s_waitcnt lgkmcnt(4)
	v_add_co_u32 v7, vcc_lo, v15, v26
	v_add_co_ci_u32_e32 v8, vcc_lo, 0, v17, vcc_lo
.LBB176_190:
	s_or_b32 exec_lo, exec_lo, s2
	s_waitcnt lgkmcnt(4)
	s_delay_alu instid0(VALU_DEP_1) | instskip(NEXT) | instid1(VALU_DEP_1)
	v_lshlrev_b64 v[7:8], 2, v[7:8]
	v_add_co_u32 v7, vcc_lo, s10, v7
	s_delay_alu instid0(VALU_DEP_2) | instskip(SKIP_3) | instid1(SALU_CYCLE_1)
	v_add_co_ci_u32_e32 v8, vcc_lo, s11, v8, vcc_lo
	s_waitcnt lgkmcnt(3)
	global_store_b32 v[7:8], v6, off
	s_or_b32 exec_lo, exec_lo, s1
	s_mov_b32 s1, exec_lo
	v_cmpx_gt_u32_e64 s22, v25
	s_cbranch_execnz .LBB176_156
.LBB176_191:
	s_or_b32 exec_lo, exec_lo, s1
	s_delay_alu instid0(SALU_CYCLE_1)
	s_mov_b32 s1, exec_lo
	v_cmpx_gt_u32_e64 s22, v24
	s_cbranch_execz .LBB176_161
.LBB176_192:
	s_mov_b32 s2, exec_lo
                                        ; implicit-def: $vgpr5_vgpr6
	v_cmpx_ge_u32_e64 v24, v16
	s_xor_b32 s2, exec_lo, s2
	s_cbranch_execz .LBB176_194
; %bb.193:
	s_waitcnt lgkmcnt(2)
	v_xor_b32_e32 v3, 0xfffff6ff, v0
                                        ; implicit-def: $vgpr24
	s_delay_alu instid0(VALU_DEP_1) | instskip(SKIP_1) | instid1(VALU_DEP_2)
	v_ashrrev_i32_e32 v6, 31, v3
	v_add_co_u32 v5, vcc_lo, v20, v3
	v_add_co_ci_u32_e32 v6, vcc_lo, v21, v6, vcc_lo
.LBB176_194:
	s_and_not1_saveexec_b32 s2, s2
	s_cbranch_execz .LBB176_196
; %bb.195:
	s_waitcnt lgkmcnt(3)
	v_add_co_u32 v5, vcc_lo, v15, v24
	v_add_co_ci_u32_e32 v6, vcc_lo, 0, v17, vcc_lo
.LBB176_196:
	s_or_b32 exec_lo, exec_lo, s2
	s_waitcnt lgkmcnt(3)
	s_delay_alu instid0(VALU_DEP_1) | instskip(NEXT) | instid1(VALU_DEP_1)
	v_lshlrev_b64 v[5:6], 2, v[5:6]
	v_add_co_u32 v5, vcc_lo, s10, v5
	s_delay_alu instid0(VALU_DEP_2) | instskip(SKIP_3) | instid1(SALU_CYCLE_1)
	v_add_co_ci_u32_e32 v6, vcc_lo, s11, v6, vcc_lo
	s_waitcnt lgkmcnt(2)
	global_store_b32 v[5:6], v4, off
	s_or_b32 exec_lo, exec_lo, s1
	s_mov_b32 s1, exec_lo
	v_cmpx_gt_u32_e64 s22, v23
	s_cbranch_execnz .LBB176_162
.LBB176_197:
	s_or_b32 exec_lo, exec_lo, s1
	s_delay_alu instid0(SALU_CYCLE_1)
	s_mov_b32 s1, exec_lo
	v_cmpx_gt_u32_e64 s22, v22
	s_cbranch_execz .LBB176_203
.LBB176_198:
	s_mov_b32 s2, exec_lo
                                        ; implicit-def: $vgpr3_vgpr4
	v_cmpx_ge_u32_e64 v22, v16
	s_xor_b32 s2, exec_lo, s2
	s_cbranch_execz .LBB176_200
; %bb.199:
	s_waitcnt lgkmcnt(1)
	v_xor_b32_e32 v1, 0xfffff4ff, v0
                                        ; implicit-def: $vgpr22
	s_delay_alu instid0(VALU_DEP_1) | instskip(SKIP_1) | instid1(VALU_DEP_2)
	v_ashrrev_i32_e32 v4, 31, v1
	v_add_co_u32 v3, vcc_lo, v20, v1
	v_add_co_ci_u32_e32 v4, vcc_lo, v21, v4, vcc_lo
.LBB176_200:
	s_and_not1_saveexec_b32 s2, s2
	s_cbranch_execz .LBB176_202
; %bb.201:
	s_waitcnt lgkmcnt(2)
	v_add_co_u32 v3, vcc_lo, v15, v22
	v_add_co_ci_u32_e32 v4, vcc_lo, 0, v17, vcc_lo
.LBB176_202:
	s_or_b32 exec_lo, exec_lo, s2
	s_waitcnt lgkmcnt(2)
	s_delay_alu instid0(VALU_DEP_1) | instskip(NEXT) | instid1(VALU_DEP_1)
	v_lshlrev_b64 v[3:4], 2, v[3:4]
	v_add_co_u32 v3, vcc_lo, s10, v3
	s_delay_alu instid0(VALU_DEP_2)
	v_add_co_ci_u32_e32 v4, vcc_lo, s11, v4, vcc_lo
	s_waitcnt lgkmcnt(1)
	global_store_b32 v[3:4], v2, off
.LBB176_203:
	s_or_b32 exec_lo, exec_lo, s1
	s_delay_alu instid0(SALU_CYCLE_1)
	s_mov_b32 s1, exec_lo
                                        ; implicit-def: $vgpr13_vgpr14
	v_cmpx_gt_u32_e64 s22, v19
	s_cbranch_execz .LBB176_209
; %bb.204:
	s_mov_b32 s2, exec_lo
                                        ; implicit-def: $vgpr13_vgpr14
	v_cmpx_ge_u32_e64 v19, v16
	s_xor_b32 s2, exec_lo, s2
	s_cbranch_execz .LBB176_206
; %bb.205:
	s_waitcnt lgkmcnt(1)
	v_xor_b32_e32 v1, 0xfffff3ff, v0
                                        ; implicit-def: $vgpr19
	s_delay_alu instid0(VALU_DEP_1) | instskip(SKIP_1) | instid1(VALU_DEP_2)
	v_ashrrev_i32_e32 v2, 31, v1
	v_add_co_u32 v13, vcc_lo, v20, v1
	v_add_co_ci_u32_e32 v14, vcc_lo, v21, v2, vcc_lo
.LBB176_206:
	s_and_not1_saveexec_b32 s2, s2
; %bb.207:
	v_add_co_u32 v13, vcc_lo, v15, v19
	v_add_co_ci_u32_e32 v14, vcc_lo, 0, v17, vcc_lo
; %bb.208:
	s_or_b32 exec_lo, exec_lo, s2
	s_delay_alu instid0(SALU_CYCLE_1)
	s_or_b32 s0, s0, exec_lo
.LBB176_209:
	s_or_b32 exec_lo, exec_lo, s1
.LBB176_210:
	s_and_saveexec_b32 s1, s0
	s_cbranch_execz .LBB176_212
; %bb.211:
	s_waitcnt lgkmcnt(1)
	v_lshlrev_b64 v[1:2], 2, v[13:14]
	s_delay_alu instid0(VALU_DEP_1) | instskip(NEXT) | instid1(VALU_DEP_2)
	v_add_co_u32 v1, vcc_lo, s10, v1
	v_add_co_ci_u32_e32 v2, vcc_lo, s11, v2, vcc_lo
	s_waitcnt lgkmcnt(0)
	global_store_b32 v[1:2], v18, off
.LBB176_212:
	s_or_b32 exec_lo, exec_lo, s1
	v_cmp_eq_u32_e32 vcc_lo, 0, v0
	s_and_b32 s0, vcc_lo, s14
	s_delay_alu instid0(SALU_CYCLE_1)
	s_and_saveexec_b32 s1, s0
	s_cbranch_execz .LBB176_214
; %bb.213:
	v_add_co_u32 v0, vcc_lo, v15, v16
	s_waitcnt lgkmcnt(1)
	v_mov_b32_e32 v2, 0
	v_add_co_ci_u32_e32 v1, vcc_lo, 0, v17, vcc_lo
	global_store_b64 v2, v[0:1], s[8:9]
.LBB176_214:
	s_nop 0
	s_sendmsg sendmsg(MSG_DEALLOC_VGPRS)
	s_endpgm
	.section	.rodata,"a",@progbits
	.p2align	6, 0x0
	.amdhsa_kernel _ZN7rocprim17ROCPRIM_400000_NS6detail17trampoline_kernelINS0_13select_configILj256ELj13ELNS0_17block_load_methodE3ELS4_3ELS4_3ELNS0_20block_scan_algorithmE0ELj4294967295EEENS1_25partition_config_selectorILNS1_17partition_subalgoE3EjNS0_10empty_typeEbEEZZNS1_14partition_implILS8_3ELb0ES6_jNS0_17counting_iteratorIjlEEPS9_SE_NS0_5tupleIJPjSE_EEENSF_IJSE_SE_EEES9_SG_JZNS1_25segmented_radix_sort_implINS0_14default_configELb0EPKhPhPKlPlN2at6native12_GLOBAL__N_18offset_tEEE10hipError_tPvRmT1_PNSt15iterator_traitsISY_E10value_typeET2_T3_PNSZ_IS14_E10value_typeET4_jRbjT5_S1A_jjP12ihipStream_tbEUljE_EEESV_SW_SX_S14_S18_S1A_T6_T7_T9_mT8_S1C_bDpT10_ENKUlT_T0_E_clISt17integral_constantIbLb1EES1O_IbLb0EEEEDaS1K_S1L_EUlS1K_E_NS1_11comp_targetILNS1_3genE9ELNS1_11target_archE1100ELNS1_3gpuE3ELNS1_3repE0EEENS1_30default_config_static_selectorELNS0_4arch9wavefront6targetE0EEEvSY_
		.amdhsa_group_segment_fixed_size 13324
		.amdhsa_private_segment_fixed_size 0
		.amdhsa_kernarg_size 144
		.amdhsa_user_sgpr_count 15
		.amdhsa_user_sgpr_dispatch_ptr 0
		.amdhsa_user_sgpr_queue_ptr 0
		.amdhsa_user_sgpr_kernarg_segment_ptr 1
		.amdhsa_user_sgpr_dispatch_id 0
		.amdhsa_user_sgpr_private_segment_size 0
		.amdhsa_wavefront_size32 1
		.amdhsa_uses_dynamic_stack 0
		.amdhsa_enable_private_segment 0
		.amdhsa_system_sgpr_workgroup_id_x 1
		.amdhsa_system_sgpr_workgroup_id_y 0
		.amdhsa_system_sgpr_workgroup_id_z 0
		.amdhsa_system_sgpr_workgroup_info 0
		.amdhsa_system_vgpr_workitem_id 0
		.amdhsa_next_free_vgpr 57
		.amdhsa_next_free_sgpr 28
		.amdhsa_reserve_vcc 1
		.amdhsa_float_round_mode_32 0
		.amdhsa_float_round_mode_16_64 0
		.amdhsa_float_denorm_mode_32 3
		.amdhsa_float_denorm_mode_16_64 3
		.amdhsa_dx10_clamp 1
		.amdhsa_ieee_mode 1
		.amdhsa_fp16_overflow 0
		.amdhsa_workgroup_processor_mode 1
		.amdhsa_memory_ordered 1
		.amdhsa_forward_progress 0
		.amdhsa_shared_vgpr_count 0
		.amdhsa_exception_fp_ieee_invalid_op 0
		.amdhsa_exception_fp_denorm_src 0
		.amdhsa_exception_fp_ieee_div_zero 0
		.amdhsa_exception_fp_ieee_overflow 0
		.amdhsa_exception_fp_ieee_underflow 0
		.amdhsa_exception_fp_ieee_inexact 0
		.amdhsa_exception_int_div_zero 0
	.end_amdhsa_kernel
	.section	.text._ZN7rocprim17ROCPRIM_400000_NS6detail17trampoline_kernelINS0_13select_configILj256ELj13ELNS0_17block_load_methodE3ELS4_3ELS4_3ELNS0_20block_scan_algorithmE0ELj4294967295EEENS1_25partition_config_selectorILNS1_17partition_subalgoE3EjNS0_10empty_typeEbEEZZNS1_14partition_implILS8_3ELb0ES6_jNS0_17counting_iteratorIjlEEPS9_SE_NS0_5tupleIJPjSE_EEENSF_IJSE_SE_EEES9_SG_JZNS1_25segmented_radix_sort_implINS0_14default_configELb0EPKhPhPKlPlN2at6native12_GLOBAL__N_18offset_tEEE10hipError_tPvRmT1_PNSt15iterator_traitsISY_E10value_typeET2_T3_PNSZ_IS14_E10value_typeET4_jRbjT5_S1A_jjP12ihipStream_tbEUljE_EEESV_SW_SX_S14_S18_S1A_T6_T7_T9_mT8_S1C_bDpT10_ENKUlT_T0_E_clISt17integral_constantIbLb1EES1O_IbLb0EEEEDaS1K_S1L_EUlS1K_E_NS1_11comp_targetILNS1_3genE9ELNS1_11target_archE1100ELNS1_3gpuE3ELNS1_3repE0EEENS1_30default_config_static_selectorELNS0_4arch9wavefront6targetE0EEEvSY_,"axG",@progbits,_ZN7rocprim17ROCPRIM_400000_NS6detail17trampoline_kernelINS0_13select_configILj256ELj13ELNS0_17block_load_methodE3ELS4_3ELS4_3ELNS0_20block_scan_algorithmE0ELj4294967295EEENS1_25partition_config_selectorILNS1_17partition_subalgoE3EjNS0_10empty_typeEbEEZZNS1_14partition_implILS8_3ELb0ES6_jNS0_17counting_iteratorIjlEEPS9_SE_NS0_5tupleIJPjSE_EEENSF_IJSE_SE_EEES9_SG_JZNS1_25segmented_radix_sort_implINS0_14default_configELb0EPKhPhPKlPlN2at6native12_GLOBAL__N_18offset_tEEE10hipError_tPvRmT1_PNSt15iterator_traitsISY_E10value_typeET2_T3_PNSZ_IS14_E10value_typeET4_jRbjT5_S1A_jjP12ihipStream_tbEUljE_EEESV_SW_SX_S14_S18_S1A_T6_T7_T9_mT8_S1C_bDpT10_ENKUlT_T0_E_clISt17integral_constantIbLb1EES1O_IbLb0EEEEDaS1K_S1L_EUlS1K_E_NS1_11comp_targetILNS1_3genE9ELNS1_11target_archE1100ELNS1_3gpuE3ELNS1_3repE0EEENS1_30default_config_static_selectorELNS0_4arch9wavefront6targetE0EEEvSY_,comdat
.Lfunc_end176:
	.size	_ZN7rocprim17ROCPRIM_400000_NS6detail17trampoline_kernelINS0_13select_configILj256ELj13ELNS0_17block_load_methodE3ELS4_3ELS4_3ELNS0_20block_scan_algorithmE0ELj4294967295EEENS1_25partition_config_selectorILNS1_17partition_subalgoE3EjNS0_10empty_typeEbEEZZNS1_14partition_implILS8_3ELb0ES6_jNS0_17counting_iteratorIjlEEPS9_SE_NS0_5tupleIJPjSE_EEENSF_IJSE_SE_EEES9_SG_JZNS1_25segmented_radix_sort_implINS0_14default_configELb0EPKhPhPKlPlN2at6native12_GLOBAL__N_18offset_tEEE10hipError_tPvRmT1_PNSt15iterator_traitsISY_E10value_typeET2_T3_PNSZ_IS14_E10value_typeET4_jRbjT5_S1A_jjP12ihipStream_tbEUljE_EEESV_SW_SX_S14_S18_S1A_T6_T7_T9_mT8_S1C_bDpT10_ENKUlT_T0_E_clISt17integral_constantIbLb1EES1O_IbLb0EEEEDaS1K_S1L_EUlS1K_E_NS1_11comp_targetILNS1_3genE9ELNS1_11target_archE1100ELNS1_3gpuE3ELNS1_3repE0EEENS1_30default_config_static_selectorELNS0_4arch9wavefront6targetE0EEEvSY_, .Lfunc_end176-_ZN7rocprim17ROCPRIM_400000_NS6detail17trampoline_kernelINS0_13select_configILj256ELj13ELNS0_17block_load_methodE3ELS4_3ELS4_3ELNS0_20block_scan_algorithmE0ELj4294967295EEENS1_25partition_config_selectorILNS1_17partition_subalgoE3EjNS0_10empty_typeEbEEZZNS1_14partition_implILS8_3ELb0ES6_jNS0_17counting_iteratorIjlEEPS9_SE_NS0_5tupleIJPjSE_EEENSF_IJSE_SE_EEES9_SG_JZNS1_25segmented_radix_sort_implINS0_14default_configELb0EPKhPhPKlPlN2at6native12_GLOBAL__N_18offset_tEEE10hipError_tPvRmT1_PNSt15iterator_traitsISY_E10value_typeET2_T3_PNSZ_IS14_E10value_typeET4_jRbjT5_S1A_jjP12ihipStream_tbEUljE_EEESV_SW_SX_S14_S18_S1A_T6_T7_T9_mT8_S1C_bDpT10_ENKUlT_T0_E_clISt17integral_constantIbLb1EES1O_IbLb0EEEEDaS1K_S1L_EUlS1K_E_NS1_11comp_targetILNS1_3genE9ELNS1_11target_archE1100ELNS1_3gpuE3ELNS1_3repE0EEENS1_30default_config_static_selectorELNS0_4arch9wavefront6targetE0EEEvSY_
                                        ; -- End function
	.section	.AMDGPU.csdata,"",@progbits
; Kernel info:
; codeLenInByte = 8964
; NumSgprs: 30
; NumVgprs: 57
; ScratchSize: 0
; MemoryBound: 0
; FloatMode: 240
; IeeeMode: 1
; LDSByteSize: 13324 bytes/workgroup (compile time only)
; SGPRBlocks: 3
; VGPRBlocks: 7
; NumSGPRsForWavesPerEU: 30
; NumVGPRsForWavesPerEU: 57
; Occupancy: 16
; WaveLimiterHint : 0
; COMPUTE_PGM_RSRC2:SCRATCH_EN: 0
; COMPUTE_PGM_RSRC2:USER_SGPR: 15
; COMPUTE_PGM_RSRC2:TRAP_HANDLER: 0
; COMPUTE_PGM_RSRC2:TGID_X_EN: 1
; COMPUTE_PGM_RSRC2:TGID_Y_EN: 0
; COMPUTE_PGM_RSRC2:TGID_Z_EN: 0
; COMPUTE_PGM_RSRC2:TIDIG_COMP_CNT: 0
	.section	.text._ZN7rocprim17ROCPRIM_400000_NS6detail17trampoline_kernelINS0_13select_configILj256ELj13ELNS0_17block_load_methodE3ELS4_3ELS4_3ELNS0_20block_scan_algorithmE0ELj4294967295EEENS1_25partition_config_selectorILNS1_17partition_subalgoE3EjNS0_10empty_typeEbEEZZNS1_14partition_implILS8_3ELb0ES6_jNS0_17counting_iteratorIjlEEPS9_SE_NS0_5tupleIJPjSE_EEENSF_IJSE_SE_EEES9_SG_JZNS1_25segmented_radix_sort_implINS0_14default_configELb0EPKhPhPKlPlN2at6native12_GLOBAL__N_18offset_tEEE10hipError_tPvRmT1_PNSt15iterator_traitsISY_E10value_typeET2_T3_PNSZ_IS14_E10value_typeET4_jRbjT5_S1A_jjP12ihipStream_tbEUljE_EEESV_SW_SX_S14_S18_S1A_T6_T7_T9_mT8_S1C_bDpT10_ENKUlT_T0_E_clISt17integral_constantIbLb1EES1O_IbLb0EEEEDaS1K_S1L_EUlS1K_E_NS1_11comp_targetILNS1_3genE8ELNS1_11target_archE1030ELNS1_3gpuE2ELNS1_3repE0EEENS1_30default_config_static_selectorELNS0_4arch9wavefront6targetE0EEEvSY_,"axG",@progbits,_ZN7rocprim17ROCPRIM_400000_NS6detail17trampoline_kernelINS0_13select_configILj256ELj13ELNS0_17block_load_methodE3ELS4_3ELS4_3ELNS0_20block_scan_algorithmE0ELj4294967295EEENS1_25partition_config_selectorILNS1_17partition_subalgoE3EjNS0_10empty_typeEbEEZZNS1_14partition_implILS8_3ELb0ES6_jNS0_17counting_iteratorIjlEEPS9_SE_NS0_5tupleIJPjSE_EEENSF_IJSE_SE_EEES9_SG_JZNS1_25segmented_radix_sort_implINS0_14default_configELb0EPKhPhPKlPlN2at6native12_GLOBAL__N_18offset_tEEE10hipError_tPvRmT1_PNSt15iterator_traitsISY_E10value_typeET2_T3_PNSZ_IS14_E10value_typeET4_jRbjT5_S1A_jjP12ihipStream_tbEUljE_EEESV_SW_SX_S14_S18_S1A_T6_T7_T9_mT8_S1C_bDpT10_ENKUlT_T0_E_clISt17integral_constantIbLb1EES1O_IbLb0EEEEDaS1K_S1L_EUlS1K_E_NS1_11comp_targetILNS1_3genE8ELNS1_11target_archE1030ELNS1_3gpuE2ELNS1_3repE0EEENS1_30default_config_static_selectorELNS0_4arch9wavefront6targetE0EEEvSY_,comdat
	.globl	_ZN7rocprim17ROCPRIM_400000_NS6detail17trampoline_kernelINS0_13select_configILj256ELj13ELNS0_17block_load_methodE3ELS4_3ELS4_3ELNS0_20block_scan_algorithmE0ELj4294967295EEENS1_25partition_config_selectorILNS1_17partition_subalgoE3EjNS0_10empty_typeEbEEZZNS1_14partition_implILS8_3ELb0ES6_jNS0_17counting_iteratorIjlEEPS9_SE_NS0_5tupleIJPjSE_EEENSF_IJSE_SE_EEES9_SG_JZNS1_25segmented_radix_sort_implINS0_14default_configELb0EPKhPhPKlPlN2at6native12_GLOBAL__N_18offset_tEEE10hipError_tPvRmT1_PNSt15iterator_traitsISY_E10value_typeET2_T3_PNSZ_IS14_E10value_typeET4_jRbjT5_S1A_jjP12ihipStream_tbEUljE_EEESV_SW_SX_S14_S18_S1A_T6_T7_T9_mT8_S1C_bDpT10_ENKUlT_T0_E_clISt17integral_constantIbLb1EES1O_IbLb0EEEEDaS1K_S1L_EUlS1K_E_NS1_11comp_targetILNS1_3genE8ELNS1_11target_archE1030ELNS1_3gpuE2ELNS1_3repE0EEENS1_30default_config_static_selectorELNS0_4arch9wavefront6targetE0EEEvSY_ ; -- Begin function _ZN7rocprim17ROCPRIM_400000_NS6detail17trampoline_kernelINS0_13select_configILj256ELj13ELNS0_17block_load_methodE3ELS4_3ELS4_3ELNS0_20block_scan_algorithmE0ELj4294967295EEENS1_25partition_config_selectorILNS1_17partition_subalgoE3EjNS0_10empty_typeEbEEZZNS1_14partition_implILS8_3ELb0ES6_jNS0_17counting_iteratorIjlEEPS9_SE_NS0_5tupleIJPjSE_EEENSF_IJSE_SE_EEES9_SG_JZNS1_25segmented_radix_sort_implINS0_14default_configELb0EPKhPhPKlPlN2at6native12_GLOBAL__N_18offset_tEEE10hipError_tPvRmT1_PNSt15iterator_traitsISY_E10value_typeET2_T3_PNSZ_IS14_E10value_typeET4_jRbjT5_S1A_jjP12ihipStream_tbEUljE_EEESV_SW_SX_S14_S18_S1A_T6_T7_T9_mT8_S1C_bDpT10_ENKUlT_T0_E_clISt17integral_constantIbLb1EES1O_IbLb0EEEEDaS1K_S1L_EUlS1K_E_NS1_11comp_targetILNS1_3genE8ELNS1_11target_archE1030ELNS1_3gpuE2ELNS1_3repE0EEENS1_30default_config_static_selectorELNS0_4arch9wavefront6targetE0EEEvSY_
	.p2align	8
	.type	_ZN7rocprim17ROCPRIM_400000_NS6detail17trampoline_kernelINS0_13select_configILj256ELj13ELNS0_17block_load_methodE3ELS4_3ELS4_3ELNS0_20block_scan_algorithmE0ELj4294967295EEENS1_25partition_config_selectorILNS1_17partition_subalgoE3EjNS0_10empty_typeEbEEZZNS1_14partition_implILS8_3ELb0ES6_jNS0_17counting_iteratorIjlEEPS9_SE_NS0_5tupleIJPjSE_EEENSF_IJSE_SE_EEES9_SG_JZNS1_25segmented_radix_sort_implINS0_14default_configELb0EPKhPhPKlPlN2at6native12_GLOBAL__N_18offset_tEEE10hipError_tPvRmT1_PNSt15iterator_traitsISY_E10value_typeET2_T3_PNSZ_IS14_E10value_typeET4_jRbjT5_S1A_jjP12ihipStream_tbEUljE_EEESV_SW_SX_S14_S18_S1A_T6_T7_T9_mT8_S1C_bDpT10_ENKUlT_T0_E_clISt17integral_constantIbLb1EES1O_IbLb0EEEEDaS1K_S1L_EUlS1K_E_NS1_11comp_targetILNS1_3genE8ELNS1_11target_archE1030ELNS1_3gpuE2ELNS1_3repE0EEENS1_30default_config_static_selectorELNS0_4arch9wavefront6targetE0EEEvSY_,@function
_ZN7rocprim17ROCPRIM_400000_NS6detail17trampoline_kernelINS0_13select_configILj256ELj13ELNS0_17block_load_methodE3ELS4_3ELS4_3ELNS0_20block_scan_algorithmE0ELj4294967295EEENS1_25partition_config_selectorILNS1_17partition_subalgoE3EjNS0_10empty_typeEbEEZZNS1_14partition_implILS8_3ELb0ES6_jNS0_17counting_iteratorIjlEEPS9_SE_NS0_5tupleIJPjSE_EEENSF_IJSE_SE_EEES9_SG_JZNS1_25segmented_radix_sort_implINS0_14default_configELb0EPKhPhPKlPlN2at6native12_GLOBAL__N_18offset_tEEE10hipError_tPvRmT1_PNSt15iterator_traitsISY_E10value_typeET2_T3_PNSZ_IS14_E10value_typeET4_jRbjT5_S1A_jjP12ihipStream_tbEUljE_EEESV_SW_SX_S14_S18_S1A_T6_T7_T9_mT8_S1C_bDpT10_ENKUlT_T0_E_clISt17integral_constantIbLb1EES1O_IbLb0EEEEDaS1K_S1L_EUlS1K_E_NS1_11comp_targetILNS1_3genE8ELNS1_11target_archE1030ELNS1_3gpuE2ELNS1_3repE0EEENS1_30default_config_static_selectorELNS0_4arch9wavefront6targetE0EEEvSY_: ; @_ZN7rocprim17ROCPRIM_400000_NS6detail17trampoline_kernelINS0_13select_configILj256ELj13ELNS0_17block_load_methodE3ELS4_3ELS4_3ELNS0_20block_scan_algorithmE0ELj4294967295EEENS1_25partition_config_selectorILNS1_17partition_subalgoE3EjNS0_10empty_typeEbEEZZNS1_14partition_implILS8_3ELb0ES6_jNS0_17counting_iteratorIjlEEPS9_SE_NS0_5tupleIJPjSE_EEENSF_IJSE_SE_EEES9_SG_JZNS1_25segmented_radix_sort_implINS0_14default_configELb0EPKhPhPKlPlN2at6native12_GLOBAL__N_18offset_tEEE10hipError_tPvRmT1_PNSt15iterator_traitsISY_E10value_typeET2_T3_PNSZ_IS14_E10value_typeET4_jRbjT5_S1A_jjP12ihipStream_tbEUljE_EEESV_SW_SX_S14_S18_S1A_T6_T7_T9_mT8_S1C_bDpT10_ENKUlT_T0_E_clISt17integral_constantIbLb1EES1O_IbLb0EEEEDaS1K_S1L_EUlS1K_E_NS1_11comp_targetILNS1_3genE8ELNS1_11target_archE1030ELNS1_3gpuE2ELNS1_3repE0EEENS1_30default_config_static_selectorELNS0_4arch9wavefront6targetE0EEEvSY_
; %bb.0:
	.section	.rodata,"a",@progbits
	.p2align	6, 0x0
	.amdhsa_kernel _ZN7rocprim17ROCPRIM_400000_NS6detail17trampoline_kernelINS0_13select_configILj256ELj13ELNS0_17block_load_methodE3ELS4_3ELS4_3ELNS0_20block_scan_algorithmE0ELj4294967295EEENS1_25partition_config_selectorILNS1_17partition_subalgoE3EjNS0_10empty_typeEbEEZZNS1_14partition_implILS8_3ELb0ES6_jNS0_17counting_iteratorIjlEEPS9_SE_NS0_5tupleIJPjSE_EEENSF_IJSE_SE_EEES9_SG_JZNS1_25segmented_radix_sort_implINS0_14default_configELb0EPKhPhPKlPlN2at6native12_GLOBAL__N_18offset_tEEE10hipError_tPvRmT1_PNSt15iterator_traitsISY_E10value_typeET2_T3_PNSZ_IS14_E10value_typeET4_jRbjT5_S1A_jjP12ihipStream_tbEUljE_EEESV_SW_SX_S14_S18_S1A_T6_T7_T9_mT8_S1C_bDpT10_ENKUlT_T0_E_clISt17integral_constantIbLb1EES1O_IbLb0EEEEDaS1K_S1L_EUlS1K_E_NS1_11comp_targetILNS1_3genE8ELNS1_11target_archE1030ELNS1_3gpuE2ELNS1_3repE0EEENS1_30default_config_static_selectorELNS0_4arch9wavefront6targetE0EEEvSY_
		.amdhsa_group_segment_fixed_size 0
		.amdhsa_private_segment_fixed_size 0
		.amdhsa_kernarg_size 144
		.amdhsa_user_sgpr_count 15
		.amdhsa_user_sgpr_dispatch_ptr 0
		.amdhsa_user_sgpr_queue_ptr 0
		.amdhsa_user_sgpr_kernarg_segment_ptr 1
		.amdhsa_user_sgpr_dispatch_id 0
		.amdhsa_user_sgpr_private_segment_size 0
		.amdhsa_wavefront_size32 1
		.amdhsa_uses_dynamic_stack 0
		.amdhsa_enable_private_segment 0
		.amdhsa_system_sgpr_workgroup_id_x 1
		.amdhsa_system_sgpr_workgroup_id_y 0
		.amdhsa_system_sgpr_workgroup_id_z 0
		.amdhsa_system_sgpr_workgroup_info 0
		.amdhsa_system_vgpr_workitem_id 0
		.amdhsa_next_free_vgpr 1
		.amdhsa_next_free_sgpr 1
		.amdhsa_reserve_vcc 0
		.amdhsa_float_round_mode_32 0
		.amdhsa_float_round_mode_16_64 0
		.amdhsa_float_denorm_mode_32 3
		.amdhsa_float_denorm_mode_16_64 3
		.amdhsa_dx10_clamp 1
		.amdhsa_ieee_mode 1
		.amdhsa_fp16_overflow 0
		.amdhsa_workgroup_processor_mode 1
		.amdhsa_memory_ordered 1
		.amdhsa_forward_progress 0
		.amdhsa_shared_vgpr_count 0
		.amdhsa_exception_fp_ieee_invalid_op 0
		.amdhsa_exception_fp_denorm_src 0
		.amdhsa_exception_fp_ieee_div_zero 0
		.amdhsa_exception_fp_ieee_overflow 0
		.amdhsa_exception_fp_ieee_underflow 0
		.amdhsa_exception_fp_ieee_inexact 0
		.amdhsa_exception_int_div_zero 0
	.end_amdhsa_kernel
	.section	.text._ZN7rocprim17ROCPRIM_400000_NS6detail17trampoline_kernelINS0_13select_configILj256ELj13ELNS0_17block_load_methodE3ELS4_3ELS4_3ELNS0_20block_scan_algorithmE0ELj4294967295EEENS1_25partition_config_selectorILNS1_17partition_subalgoE3EjNS0_10empty_typeEbEEZZNS1_14partition_implILS8_3ELb0ES6_jNS0_17counting_iteratorIjlEEPS9_SE_NS0_5tupleIJPjSE_EEENSF_IJSE_SE_EEES9_SG_JZNS1_25segmented_radix_sort_implINS0_14default_configELb0EPKhPhPKlPlN2at6native12_GLOBAL__N_18offset_tEEE10hipError_tPvRmT1_PNSt15iterator_traitsISY_E10value_typeET2_T3_PNSZ_IS14_E10value_typeET4_jRbjT5_S1A_jjP12ihipStream_tbEUljE_EEESV_SW_SX_S14_S18_S1A_T6_T7_T9_mT8_S1C_bDpT10_ENKUlT_T0_E_clISt17integral_constantIbLb1EES1O_IbLb0EEEEDaS1K_S1L_EUlS1K_E_NS1_11comp_targetILNS1_3genE8ELNS1_11target_archE1030ELNS1_3gpuE2ELNS1_3repE0EEENS1_30default_config_static_selectorELNS0_4arch9wavefront6targetE0EEEvSY_,"axG",@progbits,_ZN7rocprim17ROCPRIM_400000_NS6detail17trampoline_kernelINS0_13select_configILj256ELj13ELNS0_17block_load_methodE3ELS4_3ELS4_3ELNS0_20block_scan_algorithmE0ELj4294967295EEENS1_25partition_config_selectorILNS1_17partition_subalgoE3EjNS0_10empty_typeEbEEZZNS1_14partition_implILS8_3ELb0ES6_jNS0_17counting_iteratorIjlEEPS9_SE_NS0_5tupleIJPjSE_EEENSF_IJSE_SE_EEES9_SG_JZNS1_25segmented_radix_sort_implINS0_14default_configELb0EPKhPhPKlPlN2at6native12_GLOBAL__N_18offset_tEEE10hipError_tPvRmT1_PNSt15iterator_traitsISY_E10value_typeET2_T3_PNSZ_IS14_E10value_typeET4_jRbjT5_S1A_jjP12ihipStream_tbEUljE_EEESV_SW_SX_S14_S18_S1A_T6_T7_T9_mT8_S1C_bDpT10_ENKUlT_T0_E_clISt17integral_constantIbLb1EES1O_IbLb0EEEEDaS1K_S1L_EUlS1K_E_NS1_11comp_targetILNS1_3genE8ELNS1_11target_archE1030ELNS1_3gpuE2ELNS1_3repE0EEENS1_30default_config_static_selectorELNS0_4arch9wavefront6targetE0EEEvSY_,comdat
.Lfunc_end177:
	.size	_ZN7rocprim17ROCPRIM_400000_NS6detail17trampoline_kernelINS0_13select_configILj256ELj13ELNS0_17block_load_methodE3ELS4_3ELS4_3ELNS0_20block_scan_algorithmE0ELj4294967295EEENS1_25partition_config_selectorILNS1_17partition_subalgoE3EjNS0_10empty_typeEbEEZZNS1_14partition_implILS8_3ELb0ES6_jNS0_17counting_iteratorIjlEEPS9_SE_NS0_5tupleIJPjSE_EEENSF_IJSE_SE_EEES9_SG_JZNS1_25segmented_radix_sort_implINS0_14default_configELb0EPKhPhPKlPlN2at6native12_GLOBAL__N_18offset_tEEE10hipError_tPvRmT1_PNSt15iterator_traitsISY_E10value_typeET2_T3_PNSZ_IS14_E10value_typeET4_jRbjT5_S1A_jjP12ihipStream_tbEUljE_EEESV_SW_SX_S14_S18_S1A_T6_T7_T9_mT8_S1C_bDpT10_ENKUlT_T0_E_clISt17integral_constantIbLb1EES1O_IbLb0EEEEDaS1K_S1L_EUlS1K_E_NS1_11comp_targetILNS1_3genE8ELNS1_11target_archE1030ELNS1_3gpuE2ELNS1_3repE0EEENS1_30default_config_static_selectorELNS0_4arch9wavefront6targetE0EEEvSY_, .Lfunc_end177-_ZN7rocprim17ROCPRIM_400000_NS6detail17trampoline_kernelINS0_13select_configILj256ELj13ELNS0_17block_load_methodE3ELS4_3ELS4_3ELNS0_20block_scan_algorithmE0ELj4294967295EEENS1_25partition_config_selectorILNS1_17partition_subalgoE3EjNS0_10empty_typeEbEEZZNS1_14partition_implILS8_3ELb0ES6_jNS0_17counting_iteratorIjlEEPS9_SE_NS0_5tupleIJPjSE_EEENSF_IJSE_SE_EEES9_SG_JZNS1_25segmented_radix_sort_implINS0_14default_configELb0EPKhPhPKlPlN2at6native12_GLOBAL__N_18offset_tEEE10hipError_tPvRmT1_PNSt15iterator_traitsISY_E10value_typeET2_T3_PNSZ_IS14_E10value_typeET4_jRbjT5_S1A_jjP12ihipStream_tbEUljE_EEESV_SW_SX_S14_S18_S1A_T6_T7_T9_mT8_S1C_bDpT10_ENKUlT_T0_E_clISt17integral_constantIbLb1EES1O_IbLb0EEEEDaS1K_S1L_EUlS1K_E_NS1_11comp_targetILNS1_3genE8ELNS1_11target_archE1030ELNS1_3gpuE2ELNS1_3repE0EEENS1_30default_config_static_selectorELNS0_4arch9wavefront6targetE0EEEvSY_
                                        ; -- End function
	.section	.AMDGPU.csdata,"",@progbits
; Kernel info:
; codeLenInByte = 0
; NumSgprs: 0
; NumVgprs: 0
; ScratchSize: 0
; MemoryBound: 0
; FloatMode: 240
; IeeeMode: 1
; LDSByteSize: 0 bytes/workgroup (compile time only)
; SGPRBlocks: 0
; VGPRBlocks: 0
; NumSGPRsForWavesPerEU: 1
; NumVGPRsForWavesPerEU: 1
; Occupancy: 16
; WaveLimiterHint : 0
; COMPUTE_PGM_RSRC2:SCRATCH_EN: 0
; COMPUTE_PGM_RSRC2:USER_SGPR: 15
; COMPUTE_PGM_RSRC2:TRAP_HANDLER: 0
; COMPUTE_PGM_RSRC2:TGID_X_EN: 1
; COMPUTE_PGM_RSRC2:TGID_Y_EN: 0
; COMPUTE_PGM_RSRC2:TGID_Z_EN: 0
; COMPUTE_PGM_RSRC2:TIDIG_COMP_CNT: 0
	.section	.text._ZN7rocprim17ROCPRIM_400000_NS6detail17trampoline_kernelINS0_13select_configILj256ELj13ELNS0_17block_load_methodE3ELS4_3ELS4_3ELNS0_20block_scan_algorithmE0ELj4294967295EEENS1_25partition_config_selectorILNS1_17partition_subalgoE3EjNS0_10empty_typeEbEEZZNS1_14partition_implILS8_3ELb0ES6_jNS0_17counting_iteratorIjlEEPS9_SE_NS0_5tupleIJPjSE_EEENSF_IJSE_SE_EEES9_SG_JZNS1_25segmented_radix_sort_implINS0_14default_configELb0EPKhPhPKlPlN2at6native12_GLOBAL__N_18offset_tEEE10hipError_tPvRmT1_PNSt15iterator_traitsISY_E10value_typeET2_T3_PNSZ_IS14_E10value_typeET4_jRbjT5_S1A_jjP12ihipStream_tbEUljE_EEESV_SW_SX_S14_S18_S1A_T6_T7_T9_mT8_S1C_bDpT10_ENKUlT_T0_E_clISt17integral_constantIbLb0EES1O_IbLb1EEEEDaS1K_S1L_EUlS1K_E_NS1_11comp_targetILNS1_3genE0ELNS1_11target_archE4294967295ELNS1_3gpuE0ELNS1_3repE0EEENS1_30default_config_static_selectorELNS0_4arch9wavefront6targetE0EEEvSY_,"axG",@progbits,_ZN7rocprim17ROCPRIM_400000_NS6detail17trampoline_kernelINS0_13select_configILj256ELj13ELNS0_17block_load_methodE3ELS4_3ELS4_3ELNS0_20block_scan_algorithmE0ELj4294967295EEENS1_25partition_config_selectorILNS1_17partition_subalgoE3EjNS0_10empty_typeEbEEZZNS1_14partition_implILS8_3ELb0ES6_jNS0_17counting_iteratorIjlEEPS9_SE_NS0_5tupleIJPjSE_EEENSF_IJSE_SE_EEES9_SG_JZNS1_25segmented_radix_sort_implINS0_14default_configELb0EPKhPhPKlPlN2at6native12_GLOBAL__N_18offset_tEEE10hipError_tPvRmT1_PNSt15iterator_traitsISY_E10value_typeET2_T3_PNSZ_IS14_E10value_typeET4_jRbjT5_S1A_jjP12ihipStream_tbEUljE_EEESV_SW_SX_S14_S18_S1A_T6_T7_T9_mT8_S1C_bDpT10_ENKUlT_T0_E_clISt17integral_constantIbLb0EES1O_IbLb1EEEEDaS1K_S1L_EUlS1K_E_NS1_11comp_targetILNS1_3genE0ELNS1_11target_archE4294967295ELNS1_3gpuE0ELNS1_3repE0EEENS1_30default_config_static_selectorELNS0_4arch9wavefront6targetE0EEEvSY_,comdat
	.globl	_ZN7rocprim17ROCPRIM_400000_NS6detail17trampoline_kernelINS0_13select_configILj256ELj13ELNS0_17block_load_methodE3ELS4_3ELS4_3ELNS0_20block_scan_algorithmE0ELj4294967295EEENS1_25partition_config_selectorILNS1_17partition_subalgoE3EjNS0_10empty_typeEbEEZZNS1_14partition_implILS8_3ELb0ES6_jNS0_17counting_iteratorIjlEEPS9_SE_NS0_5tupleIJPjSE_EEENSF_IJSE_SE_EEES9_SG_JZNS1_25segmented_radix_sort_implINS0_14default_configELb0EPKhPhPKlPlN2at6native12_GLOBAL__N_18offset_tEEE10hipError_tPvRmT1_PNSt15iterator_traitsISY_E10value_typeET2_T3_PNSZ_IS14_E10value_typeET4_jRbjT5_S1A_jjP12ihipStream_tbEUljE_EEESV_SW_SX_S14_S18_S1A_T6_T7_T9_mT8_S1C_bDpT10_ENKUlT_T0_E_clISt17integral_constantIbLb0EES1O_IbLb1EEEEDaS1K_S1L_EUlS1K_E_NS1_11comp_targetILNS1_3genE0ELNS1_11target_archE4294967295ELNS1_3gpuE0ELNS1_3repE0EEENS1_30default_config_static_selectorELNS0_4arch9wavefront6targetE0EEEvSY_ ; -- Begin function _ZN7rocprim17ROCPRIM_400000_NS6detail17trampoline_kernelINS0_13select_configILj256ELj13ELNS0_17block_load_methodE3ELS4_3ELS4_3ELNS0_20block_scan_algorithmE0ELj4294967295EEENS1_25partition_config_selectorILNS1_17partition_subalgoE3EjNS0_10empty_typeEbEEZZNS1_14partition_implILS8_3ELb0ES6_jNS0_17counting_iteratorIjlEEPS9_SE_NS0_5tupleIJPjSE_EEENSF_IJSE_SE_EEES9_SG_JZNS1_25segmented_radix_sort_implINS0_14default_configELb0EPKhPhPKlPlN2at6native12_GLOBAL__N_18offset_tEEE10hipError_tPvRmT1_PNSt15iterator_traitsISY_E10value_typeET2_T3_PNSZ_IS14_E10value_typeET4_jRbjT5_S1A_jjP12ihipStream_tbEUljE_EEESV_SW_SX_S14_S18_S1A_T6_T7_T9_mT8_S1C_bDpT10_ENKUlT_T0_E_clISt17integral_constantIbLb0EES1O_IbLb1EEEEDaS1K_S1L_EUlS1K_E_NS1_11comp_targetILNS1_3genE0ELNS1_11target_archE4294967295ELNS1_3gpuE0ELNS1_3repE0EEENS1_30default_config_static_selectorELNS0_4arch9wavefront6targetE0EEEvSY_
	.p2align	8
	.type	_ZN7rocprim17ROCPRIM_400000_NS6detail17trampoline_kernelINS0_13select_configILj256ELj13ELNS0_17block_load_methodE3ELS4_3ELS4_3ELNS0_20block_scan_algorithmE0ELj4294967295EEENS1_25partition_config_selectorILNS1_17partition_subalgoE3EjNS0_10empty_typeEbEEZZNS1_14partition_implILS8_3ELb0ES6_jNS0_17counting_iteratorIjlEEPS9_SE_NS0_5tupleIJPjSE_EEENSF_IJSE_SE_EEES9_SG_JZNS1_25segmented_radix_sort_implINS0_14default_configELb0EPKhPhPKlPlN2at6native12_GLOBAL__N_18offset_tEEE10hipError_tPvRmT1_PNSt15iterator_traitsISY_E10value_typeET2_T3_PNSZ_IS14_E10value_typeET4_jRbjT5_S1A_jjP12ihipStream_tbEUljE_EEESV_SW_SX_S14_S18_S1A_T6_T7_T9_mT8_S1C_bDpT10_ENKUlT_T0_E_clISt17integral_constantIbLb0EES1O_IbLb1EEEEDaS1K_S1L_EUlS1K_E_NS1_11comp_targetILNS1_3genE0ELNS1_11target_archE4294967295ELNS1_3gpuE0ELNS1_3repE0EEENS1_30default_config_static_selectorELNS0_4arch9wavefront6targetE0EEEvSY_,@function
_ZN7rocprim17ROCPRIM_400000_NS6detail17trampoline_kernelINS0_13select_configILj256ELj13ELNS0_17block_load_methodE3ELS4_3ELS4_3ELNS0_20block_scan_algorithmE0ELj4294967295EEENS1_25partition_config_selectorILNS1_17partition_subalgoE3EjNS0_10empty_typeEbEEZZNS1_14partition_implILS8_3ELb0ES6_jNS0_17counting_iteratorIjlEEPS9_SE_NS0_5tupleIJPjSE_EEENSF_IJSE_SE_EEES9_SG_JZNS1_25segmented_radix_sort_implINS0_14default_configELb0EPKhPhPKlPlN2at6native12_GLOBAL__N_18offset_tEEE10hipError_tPvRmT1_PNSt15iterator_traitsISY_E10value_typeET2_T3_PNSZ_IS14_E10value_typeET4_jRbjT5_S1A_jjP12ihipStream_tbEUljE_EEESV_SW_SX_S14_S18_S1A_T6_T7_T9_mT8_S1C_bDpT10_ENKUlT_T0_E_clISt17integral_constantIbLb0EES1O_IbLb1EEEEDaS1K_S1L_EUlS1K_E_NS1_11comp_targetILNS1_3genE0ELNS1_11target_archE4294967295ELNS1_3gpuE0ELNS1_3repE0EEENS1_30default_config_static_selectorELNS0_4arch9wavefront6targetE0EEEvSY_: ; @_ZN7rocprim17ROCPRIM_400000_NS6detail17trampoline_kernelINS0_13select_configILj256ELj13ELNS0_17block_load_methodE3ELS4_3ELS4_3ELNS0_20block_scan_algorithmE0ELj4294967295EEENS1_25partition_config_selectorILNS1_17partition_subalgoE3EjNS0_10empty_typeEbEEZZNS1_14partition_implILS8_3ELb0ES6_jNS0_17counting_iteratorIjlEEPS9_SE_NS0_5tupleIJPjSE_EEENSF_IJSE_SE_EEES9_SG_JZNS1_25segmented_radix_sort_implINS0_14default_configELb0EPKhPhPKlPlN2at6native12_GLOBAL__N_18offset_tEEE10hipError_tPvRmT1_PNSt15iterator_traitsISY_E10value_typeET2_T3_PNSZ_IS14_E10value_typeET4_jRbjT5_S1A_jjP12ihipStream_tbEUljE_EEESV_SW_SX_S14_S18_S1A_T6_T7_T9_mT8_S1C_bDpT10_ENKUlT_T0_E_clISt17integral_constantIbLb0EES1O_IbLb1EEEEDaS1K_S1L_EUlS1K_E_NS1_11comp_targetILNS1_3genE0ELNS1_11target_archE4294967295ELNS1_3gpuE0ELNS1_3repE0EEENS1_30default_config_static_selectorELNS0_4arch9wavefront6targetE0EEEvSY_
; %bb.0:
	.section	.rodata,"a",@progbits
	.p2align	6, 0x0
	.amdhsa_kernel _ZN7rocprim17ROCPRIM_400000_NS6detail17trampoline_kernelINS0_13select_configILj256ELj13ELNS0_17block_load_methodE3ELS4_3ELS4_3ELNS0_20block_scan_algorithmE0ELj4294967295EEENS1_25partition_config_selectorILNS1_17partition_subalgoE3EjNS0_10empty_typeEbEEZZNS1_14partition_implILS8_3ELb0ES6_jNS0_17counting_iteratorIjlEEPS9_SE_NS0_5tupleIJPjSE_EEENSF_IJSE_SE_EEES9_SG_JZNS1_25segmented_radix_sort_implINS0_14default_configELb0EPKhPhPKlPlN2at6native12_GLOBAL__N_18offset_tEEE10hipError_tPvRmT1_PNSt15iterator_traitsISY_E10value_typeET2_T3_PNSZ_IS14_E10value_typeET4_jRbjT5_S1A_jjP12ihipStream_tbEUljE_EEESV_SW_SX_S14_S18_S1A_T6_T7_T9_mT8_S1C_bDpT10_ENKUlT_T0_E_clISt17integral_constantIbLb0EES1O_IbLb1EEEEDaS1K_S1L_EUlS1K_E_NS1_11comp_targetILNS1_3genE0ELNS1_11target_archE4294967295ELNS1_3gpuE0ELNS1_3repE0EEENS1_30default_config_static_selectorELNS0_4arch9wavefront6targetE0EEEvSY_
		.amdhsa_group_segment_fixed_size 0
		.amdhsa_private_segment_fixed_size 0
		.amdhsa_kernarg_size 152
		.amdhsa_user_sgpr_count 15
		.amdhsa_user_sgpr_dispatch_ptr 0
		.amdhsa_user_sgpr_queue_ptr 0
		.amdhsa_user_sgpr_kernarg_segment_ptr 1
		.amdhsa_user_sgpr_dispatch_id 0
		.amdhsa_user_sgpr_private_segment_size 0
		.amdhsa_wavefront_size32 1
		.amdhsa_uses_dynamic_stack 0
		.amdhsa_enable_private_segment 0
		.amdhsa_system_sgpr_workgroup_id_x 1
		.amdhsa_system_sgpr_workgroup_id_y 0
		.amdhsa_system_sgpr_workgroup_id_z 0
		.amdhsa_system_sgpr_workgroup_info 0
		.amdhsa_system_vgpr_workitem_id 0
		.amdhsa_next_free_vgpr 1
		.amdhsa_next_free_sgpr 1
		.amdhsa_reserve_vcc 0
		.amdhsa_float_round_mode_32 0
		.amdhsa_float_round_mode_16_64 0
		.amdhsa_float_denorm_mode_32 3
		.amdhsa_float_denorm_mode_16_64 3
		.amdhsa_dx10_clamp 1
		.amdhsa_ieee_mode 1
		.amdhsa_fp16_overflow 0
		.amdhsa_workgroup_processor_mode 1
		.amdhsa_memory_ordered 1
		.amdhsa_forward_progress 0
		.amdhsa_shared_vgpr_count 0
		.amdhsa_exception_fp_ieee_invalid_op 0
		.amdhsa_exception_fp_denorm_src 0
		.amdhsa_exception_fp_ieee_div_zero 0
		.amdhsa_exception_fp_ieee_overflow 0
		.amdhsa_exception_fp_ieee_underflow 0
		.amdhsa_exception_fp_ieee_inexact 0
		.amdhsa_exception_int_div_zero 0
	.end_amdhsa_kernel
	.section	.text._ZN7rocprim17ROCPRIM_400000_NS6detail17trampoline_kernelINS0_13select_configILj256ELj13ELNS0_17block_load_methodE3ELS4_3ELS4_3ELNS0_20block_scan_algorithmE0ELj4294967295EEENS1_25partition_config_selectorILNS1_17partition_subalgoE3EjNS0_10empty_typeEbEEZZNS1_14partition_implILS8_3ELb0ES6_jNS0_17counting_iteratorIjlEEPS9_SE_NS0_5tupleIJPjSE_EEENSF_IJSE_SE_EEES9_SG_JZNS1_25segmented_radix_sort_implINS0_14default_configELb0EPKhPhPKlPlN2at6native12_GLOBAL__N_18offset_tEEE10hipError_tPvRmT1_PNSt15iterator_traitsISY_E10value_typeET2_T3_PNSZ_IS14_E10value_typeET4_jRbjT5_S1A_jjP12ihipStream_tbEUljE_EEESV_SW_SX_S14_S18_S1A_T6_T7_T9_mT8_S1C_bDpT10_ENKUlT_T0_E_clISt17integral_constantIbLb0EES1O_IbLb1EEEEDaS1K_S1L_EUlS1K_E_NS1_11comp_targetILNS1_3genE0ELNS1_11target_archE4294967295ELNS1_3gpuE0ELNS1_3repE0EEENS1_30default_config_static_selectorELNS0_4arch9wavefront6targetE0EEEvSY_,"axG",@progbits,_ZN7rocprim17ROCPRIM_400000_NS6detail17trampoline_kernelINS0_13select_configILj256ELj13ELNS0_17block_load_methodE3ELS4_3ELS4_3ELNS0_20block_scan_algorithmE0ELj4294967295EEENS1_25partition_config_selectorILNS1_17partition_subalgoE3EjNS0_10empty_typeEbEEZZNS1_14partition_implILS8_3ELb0ES6_jNS0_17counting_iteratorIjlEEPS9_SE_NS0_5tupleIJPjSE_EEENSF_IJSE_SE_EEES9_SG_JZNS1_25segmented_radix_sort_implINS0_14default_configELb0EPKhPhPKlPlN2at6native12_GLOBAL__N_18offset_tEEE10hipError_tPvRmT1_PNSt15iterator_traitsISY_E10value_typeET2_T3_PNSZ_IS14_E10value_typeET4_jRbjT5_S1A_jjP12ihipStream_tbEUljE_EEESV_SW_SX_S14_S18_S1A_T6_T7_T9_mT8_S1C_bDpT10_ENKUlT_T0_E_clISt17integral_constantIbLb0EES1O_IbLb1EEEEDaS1K_S1L_EUlS1K_E_NS1_11comp_targetILNS1_3genE0ELNS1_11target_archE4294967295ELNS1_3gpuE0ELNS1_3repE0EEENS1_30default_config_static_selectorELNS0_4arch9wavefront6targetE0EEEvSY_,comdat
.Lfunc_end178:
	.size	_ZN7rocprim17ROCPRIM_400000_NS6detail17trampoline_kernelINS0_13select_configILj256ELj13ELNS0_17block_load_methodE3ELS4_3ELS4_3ELNS0_20block_scan_algorithmE0ELj4294967295EEENS1_25partition_config_selectorILNS1_17partition_subalgoE3EjNS0_10empty_typeEbEEZZNS1_14partition_implILS8_3ELb0ES6_jNS0_17counting_iteratorIjlEEPS9_SE_NS0_5tupleIJPjSE_EEENSF_IJSE_SE_EEES9_SG_JZNS1_25segmented_radix_sort_implINS0_14default_configELb0EPKhPhPKlPlN2at6native12_GLOBAL__N_18offset_tEEE10hipError_tPvRmT1_PNSt15iterator_traitsISY_E10value_typeET2_T3_PNSZ_IS14_E10value_typeET4_jRbjT5_S1A_jjP12ihipStream_tbEUljE_EEESV_SW_SX_S14_S18_S1A_T6_T7_T9_mT8_S1C_bDpT10_ENKUlT_T0_E_clISt17integral_constantIbLb0EES1O_IbLb1EEEEDaS1K_S1L_EUlS1K_E_NS1_11comp_targetILNS1_3genE0ELNS1_11target_archE4294967295ELNS1_3gpuE0ELNS1_3repE0EEENS1_30default_config_static_selectorELNS0_4arch9wavefront6targetE0EEEvSY_, .Lfunc_end178-_ZN7rocprim17ROCPRIM_400000_NS6detail17trampoline_kernelINS0_13select_configILj256ELj13ELNS0_17block_load_methodE3ELS4_3ELS4_3ELNS0_20block_scan_algorithmE0ELj4294967295EEENS1_25partition_config_selectorILNS1_17partition_subalgoE3EjNS0_10empty_typeEbEEZZNS1_14partition_implILS8_3ELb0ES6_jNS0_17counting_iteratorIjlEEPS9_SE_NS0_5tupleIJPjSE_EEENSF_IJSE_SE_EEES9_SG_JZNS1_25segmented_radix_sort_implINS0_14default_configELb0EPKhPhPKlPlN2at6native12_GLOBAL__N_18offset_tEEE10hipError_tPvRmT1_PNSt15iterator_traitsISY_E10value_typeET2_T3_PNSZ_IS14_E10value_typeET4_jRbjT5_S1A_jjP12ihipStream_tbEUljE_EEESV_SW_SX_S14_S18_S1A_T6_T7_T9_mT8_S1C_bDpT10_ENKUlT_T0_E_clISt17integral_constantIbLb0EES1O_IbLb1EEEEDaS1K_S1L_EUlS1K_E_NS1_11comp_targetILNS1_3genE0ELNS1_11target_archE4294967295ELNS1_3gpuE0ELNS1_3repE0EEENS1_30default_config_static_selectorELNS0_4arch9wavefront6targetE0EEEvSY_
                                        ; -- End function
	.section	.AMDGPU.csdata,"",@progbits
; Kernel info:
; codeLenInByte = 0
; NumSgprs: 0
; NumVgprs: 0
; ScratchSize: 0
; MemoryBound: 0
; FloatMode: 240
; IeeeMode: 1
; LDSByteSize: 0 bytes/workgroup (compile time only)
; SGPRBlocks: 0
; VGPRBlocks: 0
; NumSGPRsForWavesPerEU: 1
; NumVGPRsForWavesPerEU: 1
; Occupancy: 16
; WaveLimiterHint : 0
; COMPUTE_PGM_RSRC2:SCRATCH_EN: 0
; COMPUTE_PGM_RSRC2:USER_SGPR: 15
; COMPUTE_PGM_RSRC2:TRAP_HANDLER: 0
; COMPUTE_PGM_RSRC2:TGID_X_EN: 1
; COMPUTE_PGM_RSRC2:TGID_Y_EN: 0
; COMPUTE_PGM_RSRC2:TGID_Z_EN: 0
; COMPUTE_PGM_RSRC2:TIDIG_COMP_CNT: 0
	.section	.text._ZN7rocprim17ROCPRIM_400000_NS6detail17trampoline_kernelINS0_13select_configILj256ELj13ELNS0_17block_load_methodE3ELS4_3ELS4_3ELNS0_20block_scan_algorithmE0ELj4294967295EEENS1_25partition_config_selectorILNS1_17partition_subalgoE3EjNS0_10empty_typeEbEEZZNS1_14partition_implILS8_3ELb0ES6_jNS0_17counting_iteratorIjlEEPS9_SE_NS0_5tupleIJPjSE_EEENSF_IJSE_SE_EEES9_SG_JZNS1_25segmented_radix_sort_implINS0_14default_configELb0EPKhPhPKlPlN2at6native12_GLOBAL__N_18offset_tEEE10hipError_tPvRmT1_PNSt15iterator_traitsISY_E10value_typeET2_T3_PNSZ_IS14_E10value_typeET4_jRbjT5_S1A_jjP12ihipStream_tbEUljE_EEESV_SW_SX_S14_S18_S1A_T6_T7_T9_mT8_S1C_bDpT10_ENKUlT_T0_E_clISt17integral_constantIbLb0EES1O_IbLb1EEEEDaS1K_S1L_EUlS1K_E_NS1_11comp_targetILNS1_3genE5ELNS1_11target_archE942ELNS1_3gpuE9ELNS1_3repE0EEENS1_30default_config_static_selectorELNS0_4arch9wavefront6targetE0EEEvSY_,"axG",@progbits,_ZN7rocprim17ROCPRIM_400000_NS6detail17trampoline_kernelINS0_13select_configILj256ELj13ELNS0_17block_load_methodE3ELS4_3ELS4_3ELNS0_20block_scan_algorithmE0ELj4294967295EEENS1_25partition_config_selectorILNS1_17partition_subalgoE3EjNS0_10empty_typeEbEEZZNS1_14partition_implILS8_3ELb0ES6_jNS0_17counting_iteratorIjlEEPS9_SE_NS0_5tupleIJPjSE_EEENSF_IJSE_SE_EEES9_SG_JZNS1_25segmented_radix_sort_implINS0_14default_configELb0EPKhPhPKlPlN2at6native12_GLOBAL__N_18offset_tEEE10hipError_tPvRmT1_PNSt15iterator_traitsISY_E10value_typeET2_T3_PNSZ_IS14_E10value_typeET4_jRbjT5_S1A_jjP12ihipStream_tbEUljE_EEESV_SW_SX_S14_S18_S1A_T6_T7_T9_mT8_S1C_bDpT10_ENKUlT_T0_E_clISt17integral_constantIbLb0EES1O_IbLb1EEEEDaS1K_S1L_EUlS1K_E_NS1_11comp_targetILNS1_3genE5ELNS1_11target_archE942ELNS1_3gpuE9ELNS1_3repE0EEENS1_30default_config_static_selectorELNS0_4arch9wavefront6targetE0EEEvSY_,comdat
	.globl	_ZN7rocprim17ROCPRIM_400000_NS6detail17trampoline_kernelINS0_13select_configILj256ELj13ELNS0_17block_load_methodE3ELS4_3ELS4_3ELNS0_20block_scan_algorithmE0ELj4294967295EEENS1_25partition_config_selectorILNS1_17partition_subalgoE3EjNS0_10empty_typeEbEEZZNS1_14partition_implILS8_3ELb0ES6_jNS0_17counting_iteratorIjlEEPS9_SE_NS0_5tupleIJPjSE_EEENSF_IJSE_SE_EEES9_SG_JZNS1_25segmented_radix_sort_implINS0_14default_configELb0EPKhPhPKlPlN2at6native12_GLOBAL__N_18offset_tEEE10hipError_tPvRmT1_PNSt15iterator_traitsISY_E10value_typeET2_T3_PNSZ_IS14_E10value_typeET4_jRbjT5_S1A_jjP12ihipStream_tbEUljE_EEESV_SW_SX_S14_S18_S1A_T6_T7_T9_mT8_S1C_bDpT10_ENKUlT_T0_E_clISt17integral_constantIbLb0EES1O_IbLb1EEEEDaS1K_S1L_EUlS1K_E_NS1_11comp_targetILNS1_3genE5ELNS1_11target_archE942ELNS1_3gpuE9ELNS1_3repE0EEENS1_30default_config_static_selectorELNS0_4arch9wavefront6targetE0EEEvSY_ ; -- Begin function _ZN7rocprim17ROCPRIM_400000_NS6detail17trampoline_kernelINS0_13select_configILj256ELj13ELNS0_17block_load_methodE3ELS4_3ELS4_3ELNS0_20block_scan_algorithmE0ELj4294967295EEENS1_25partition_config_selectorILNS1_17partition_subalgoE3EjNS0_10empty_typeEbEEZZNS1_14partition_implILS8_3ELb0ES6_jNS0_17counting_iteratorIjlEEPS9_SE_NS0_5tupleIJPjSE_EEENSF_IJSE_SE_EEES9_SG_JZNS1_25segmented_radix_sort_implINS0_14default_configELb0EPKhPhPKlPlN2at6native12_GLOBAL__N_18offset_tEEE10hipError_tPvRmT1_PNSt15iterator_traitsISY_E10value_typeET2_T3_PNSZ_IS14_E10value_typeET4_jRbjT5_S1A_jjP12ihipStream_tbEUljE_EEESV_SW_SX_S14_S18_S1A_T6_T7_T9_mT8_S1C_bDpT10_ENKUlT_T0_E_clISt17integral_constantIbLb0EES1O_IbLb1EEEEDaS1K_S1L_EUlS1K_E_NS1_11comp_targetILNS1_3genE5ELNS1_11target_archE942ELNS1_3gpuE9ELNS1_3repE0EEENS1_30default_config_static_selectorELNS0_4arch9wavefront6targetE0EEEvSY_
	.p2align	8
	.type	_ZN7rocprim17ROCPRIM_400000_NS6detail17trampoline_kernelINS0_13select_configILj256ELj13ELNS0_17block_load_methodE3ELS4_3ELS4_3ELNS0_20block_scan_algorithmE0ELj4294967295EEENS1_25partition_config_selectorILNS1_17partition_subalgoE3EjNS0_10empty_typeEbEEZZNS1_14partition_implILS8_3ELb0ES6_jNS0_17counting_iteratorIjlEEPS9_SE_NS0_5tupleIJPjSE_EEENSF_IJSE_SE_EEES9_SG_JZNS1_25segmented_radix_sort_implINS0_14default_configELb0EPKhPhPKlPlN2at6native12_GLOBAL__N_18offset_tEEE10hipError_tPvRmT1_PNSt15iterator_traitsISY_E10value_typeET2_T3_PNSZ_IS14_E10value_typeET4_jRbjT5_S1A_jjP12ihipStream_tbEUljE_EEESV_SW_SX_S14_S18_S1A_T6_T7_T9_mT8_S1C_bDpT10_ENKUlT_T0_E_clISt17integral_constantIbLb0EES1O_IbLb1EEEEDaS1K_S1L_EUlS1K_E_NS1_11comp_targetILNS1_3genE5ELNS1_11target_archE942ELNS1_3gpuE9ELNS1_3repE0EEENS1_30default_config_static_selectorELNS0_4arch9wavefront6targetE0EEEvSY_,@function
_ZN7rocprim17ROCPRIM_400000_NS6detail17trampoline_kernelINS0_13select_configILj256ELj13ELNS0_17block_load_methodE3ELS4_3ELS4_3ELNS0_20block_scan_algorithmE0ELj4294967295EEENS1_25partition_config_selectorILNS1_17partition_subalgoE3EjNS0_10empty_typeEbEEZZNS1_14partition_implILS8_3ELb0ES6_jNS0_17counting_iteratorIjlEEPS9_SE_NS0_5tupleIJPjSE_EEENSF_IJSE_SE_EEES9_SG_JZNS1_25segmented_radix_sort_implINS0_14default_configELb0EPKhPhPKlPlN2at6native12_GLOBAL__N_18offset_tEEE10hipError_tPvRmT1_PNSt15iterator_traitsISY_E10value_typeET2_T3_PNSZ_IS14_E10value_typeET4_jRbjT5_S1A_jjP12ihipStream_tbEUljE_EEESV_SW_SX_S14_S18_S1A_T6_T7_T9_mT8_S1C_bDpT10_ENKUlT_T0_E_clISt17integral_constantIbLb0EES1O_IbLb1EEEEDaS1K_S1L_EUlS1K_E_NS1_11comp_targetILNS1_3genE5ELNS1_11target_archE942ELNS1_3gpuE9ELNS1_3repE0EEENS1_30default_config_static_selectorELNS0_4arch9wavefront6targetE0EEEvSY_: ; @_ZN7rocprim17ROCPRIM_400000_NS6detail17trampoline_kernelINS0_13select_configILj256ELj13ELNS0_17block_load_methodE3ELS4_3ELS4_3ELNS0_20block_scan_algorithmE0ELj4294967295EEENS1_25partition_config_selectorILNS1_17partition_subalgoE3EjNS0_10empty_typeEbEEZZNS1_14partition_implILS8_3ELb0ES6_jNS0_17counting_iteratorIjlEEPS9_SE_NS0_5tupleIJPjSE_EEENSF_IJSE_SE_EEES9_SG_JZNS1_25segmented_radix_sort_implINS0_14default_configELb0EPKhPhPKlPlN2at6native12_GLOBAL__N_18offset_tEEE10hipError_tPvRmT1_PNSt15iterator_traitsISY_E10value_typeET2_T3_PNSZ_IS14_E10value_typeET4_jRbjT5_S1A_jjP12ihipStream_tbEUljE_EEESV_SW_SX_S14_S18_S1A_T6_T7_T9_mT8_S1C_bDpT10_ENKUlT_T0_E_clISt17integral_constantIbLb0EES1O_IbLb1EEEEDaS1K_S1L_EUlS1K_E_NS1_11comp_targetILNS1_3genE5ELNS1_11target_archE942ELNS1_3gpuE9ELNS1_3repE0EEENS1_30default_config_static_selectorELNS0_4arch9wavefront6targetE0EEEvSY_
; %bb.0:
	.section	.rodata,"a",@progbits
	.p2align	6, 0x0
	.amdhsa_kernel _ZN7rocprim17ROCPRIM_400000_NS6detail17trampoline_kernelINS0_13select_configILj256ELj13ELNS0_17block_load_methodE3ELS4_3ELS4_3ELNS0_20block_scan_algorithmE0ELj4294967295EEENS1_25partition_config_selectorILNS1_17partition_subalgoE3EjNS0_10empty_typeEbEEZZNS1_14partition_implILS8_3ELb0ES6_jNS0_17counting_iteratorIjlEEPS9_SE_NS0_5tupleIJPjSE_EEENSF_IJSE_SE_EEES9_SG_JZNS1_25segmented_radix_sort_implINS0_14default_configELb0EPKhPhPKlPlN2at6native12_GLOBAL__N_18offset_tEEE10hipError_tPvRmT1_PNSt15iterator_traitsISY_E10value_typeET2_T3_PNSZ_IS14_E10value_typeET4_jRbjT5_S1A_jjP12ihipStream_tbEUljE_EEESV_SW_SX_S14_S18_S1A_T6_T7_T9_mT8_S1C_bDpT10_ENKUlT_T0_E_clISt17integral_constantIbLb0EES1O_IbLb1EEEEDaS1K_S1L_EUlS1K_E_NS1_11comp_targetILNS1_3genE5ELNS1_11target_archE942ELNS1_3gpuE9ELNS1_3repE0EEENS1_30default_config_static_selectorELNS0_4arch9wavefront6targetE0EEEvSY_
		.amdhsa_group_segment_fixed_size 0
		.amdhsa_private_segment_fixed_size 0
		.amdhsa_kernarg_size 152
		.amdhsa_user_sgpr_count 15
		.amdhsa_user_sgpr_dispatch_ptr 0
		.amdhsa_user_sgpr_queue_ptr 0
		.amdhsa_user_sgpr_kernarg_segment_ptr 1
		.amdhsa_user_sgpr_dispatch_id 0
		.amdhsa_user_sgpr_private_segment_size 0
		.amdhsa_wavefront_size32 1
		.amdhsa_uses_dynamic_stack 0
		.amdhsa_enable_private_segment 0
		.amdhsa_system_sgpr_workgroup_id_x 1
		.amdhsa_system_sgpr_workgroup_id_y 0
		.amdhsa_system_sgpr_workgroup_id_z 0
		.amdhsa_system_sgpr_workgroup_info 0
		.amdhsa_system_vgpr_workitem_id 0
		.amdhsa_next_free_vgpr 1
		.amdhsa_next_free_sgpr 1
		.amdhsa_reserve_vcc 0
		.amdhsa_float_round_mode_32 0
		.amdhsa_float_round_mode_16_64 0
		.amdhsa_float_denorm_mode_32 3
		.amdhsa_float_denorm_mode_16_64 3
		.amdhsa_dx10_clamp 1
		.amdhsa_ieee_mode 1
		.amdhsa_fp16_overflow 0
		.amdhsa_workgroup_processor_mode 1
		.amdhsa_memory_ordered 1
		.amdhsa_forward_progress 0
		.amdhsa_shared_vgpr_count 0
		.amdhsa_exception_fp_ieee_invalid_op 0
		.amdhsa_exception_fp_denorm_src 0
		.amdhsa_exception_fp_ieee_div_zero 0
		.amdhsa_exception_fp_ieee_overflow 0
		.amdhsa_exception_fp_ieee_underflow 0
		.amdhsa_exception_fp_ieee_inexact 0
		.amdhsa_exception_int_div_zero 0
	.end_amdhsa_kernel
	.section	.text._ZN7rocprim17ROCPRIM_400000_NS6detail17trampoline_kernelINS0_13select_configILj256ELj13ELNS0_17block_load_methodE3ELS4_3ELS4_3ELNS0_20block_scan_algorithmE0ELj4294967295EEENS1_25partition_config_selectorILNS1_17partition_subalgoE3EjNS0_10empty_typeEbEEZZNS1_14partition_implILS8_3ELb0ES6_jNS0_17counting_iteratorIjlEEPS9_SE_NS0_5tupleIJPjSE_EEENSF_IJSE_SE_EEES9_SG_JZNS1_25segmented_radix_sort_implINS0_14default_configELb0EPKhPhPKlPlN2at6native12_GLOBAL__N_18offset_tEEE10hipError_tPvRmT1_PNSt15iterator_traitsISY_E10value_typeET2_T3_PNSZ_IS14_E10value_typeET4_jRbjT5_S1A_jjP12ihipStream_tbEUljE_EEESV_SW_SX_S14_S18_S1A_T6_T7_T9_mT8_S1C_bDpT10_ENKUlT_T0_E_clISt17integral_constantIbLb0EES1O_IbLb1EEEEDaS1K_S1L_EUlS1K_E_NS1_11comp_targetILNS1_3genE5ELNS1_11target_archE942ELNS1_3gpuE9ELNS1_3repE0EEENS1_30default_config_static_selectorELNS0_4arch9wavefront6targetE0EEEvSY_,"axG",@progbits,_ZN7rocprim17ROCPRIM_400000_NS6detail17trampoline_kernelINS0_13select_configILj256ELj13ELNS0_17block_load_methodE3ELS4_3ELS4_3ELNS0_20block_scan_algorithmE0ELj4294967295EEENS1_25partition_config_selectorILNS1_17partition_subalgoE3EjNS0_10empty_typeEbEEZZNS1_14partition_implILS8_3ELb0ES6_jNS0_17counting_iteratorIjlEEPS9_SE_NS0_5tupleIJPjSE_EEENSF_IJSE_SE_EEES9_SG_JZNS1_25segmented_radix_sort_implINS0_14default_configELb0EPKhPhPKlPlN2at6native12_GLOBAL__N_18offset_tEEE10hipError_tPvRmT1_PNSt15iterator_traitsISY_E10value_typeET2_T3_PNSZ_IS14_E10value_typeET4_jRbjT5_S1A_jjP12ihipStream_tbEUljE_EEESV_SW_SX_S14_S18_S1A_T6_T7_T9_mT8_S1C_bDpT10_ENKUlT_T0_E_clISt17integral_constantIbLb0EES1O_IbLb1EEEEDaS1K_S1L_EUlS1K_E_NS1_11comp_targetILNS1_3genE5ELNS1_11target_archE942ELNS1_3gpuE9ELNS1_3repE0EEENS1_30default_config_static_selectorELNS0_4arch9wavefront6targetE0EEEvSY_,comdat
.Lfunc_end179:
	.size	_ZN7rocprim17ROCPRIM_400000_NS6detail17trampoline_kernelINS0_13select_configILj256ELj13ELNS0_17block_load_methodE3ELS4_3ELS4_3ELNS0_20block_scan_algorithmE0ELj4294967295EEENS1_25partition_config_selectorILNS1_17partition_subalgoE3EjNS0_10empty_typeEbEEZZNS1_14partition_implILS8_3ELb0ES6_jNS0_17counting_iteratorIjlEEPS9_SE_NS0_5tupleIJPjSE_EEENSF_IJSE_SE_EEES9_SG_JZNS1_25segmented_radix_sort_implINS0_14default_configELb0EPKhPhPKlPlN2at6native12_GLOBAL__N_18offset_tEEE10hipError_tPvRmT1_PNSt15iterator_traitsISY_E10value_typeET2_T3_PNSZ_IS14_E10value_typeET4_jRbjT5_S1A_jjP12ihipStream_tbEUljE_EEESV_SW_SX_S14_S18_S1A_T6_T7_T9_mT8_S1C_bDpT10_ENKUlT_T0_E_clISt17integral_constantIbLb0EES1O_IbLb1EEEEDaS1K_S1L_EUlS1K_E_NS1_11comp_targetILNS1_3genE5ELNS1_11target_archE942ELNS1_3gpuE9ELNS1_3repE0EEENS1_30default_config_static_selectorELNS0_4arch9wavefront6targetE0EEEvSY_, .Lfunc_end179-_ZN7rocprim17ROCPRIM_400000_NS6detail17trampoline_kernelINS0_13select_configILj256ELj13ELNS0_17block_load_methodE3ELS4_3ELS4_3ELNS0_20block_scan_algorithmE0ELj4294967295EEENS1_25partition_config_selectorILNS1_17partition_subalgoE3EjNS0_10empty_typeEbEEZZNS1_14partition_implILS8_3ELb0ES6_jNS0_17counting_iteratorIjlEEPS9_SE_NS0_5tupleIJPjSE_EEENSF_IJSE_SE_EEES9_SG_JZNS1_25segmented_radix_sort_implINS0_14default_configELb0EPKhPhPKlPlN2at6native12_GLOBAL__N_18offset_tEEE10hipError_tPvRmT1_PNSt15iterator_traitsISY_E10value_typeET2_T3_PNSZ_IS14_E10value_typeET4_jRbjT5_S1A_jjP12ihipStream_tbEUljE_EEESV_SW_SX_S14_S18_S1A_T6_T7_T9_mT8_S1C_bDpT10_ENKUlT_T0_E_clISt17integral_constantIbLb0EES1O_IbLb1EEEEDaS1K_S1L_EUlS1K_E_NS1_11comp_targetILNS1_3genE5ELNS1_11target_archE942ELNS1_3gpuE9ELNS1_3repE0EEENS1_30default_config_static_selectorELNS0_4arch9wavefront6targetE0EEEvSY_
                                        ; -- End function
	.section	.AMDGPU.csdata,"",@progbits
; Kernel info:
; codeLenInByte = 0
; NumSgprs: 0
; NumVgprs: 0
; ScratchSize: 0
; MemoryBound: 0
; FloatMode: 240
; IeeeMode: 1
; LDSByteSize: 0 bytes/workgroup (compile time only)
; SGPRBlocks: 0
; VGPRBlocks: 0
; NumSGPRsForWavesPerEU: 1
; NumVGPRsForWavesPerEU: 1
; Occupancy: 16
; WaveLimiterHint : 0
; COMPUTE_PGM_RSRC2:SCRATCH_EN: 0
; COMPUTE_PGM_RSRC2:USER_SGPR: 15
; COMPUTE_PGM_RSRC2:TRAP_HANDLER: 0
; COMPUTE_PGM_RSRC2:TGID_X_EN: 1
; COMPUTE_PGM_RSRC2:TGID_Y_EN: 0
; COMPUTE_PGM_RSRC2:TGID_Z_EN: 0
; COMPUTE_PGM_RSRC2:TIDIG_COMP_CNT: 0
	.section	.text._ZN7rocprim17ROCPRIM_400000_NS6detail17trampoline_kernelINS0_13select_configILj256ELj13ELNS0_17block_load_methodE3ELS4_3ELS4_3ELNS0_20block_scan_algorithmE0ELj4294967295EEENS1_25partition_config_selectorILNS1_17partition_subalgoE3EjNS0_10empty_typeEbEEZZNS1_14partition_implILS8_3ELb0ES6_jNS0_17counting_iteratorIjlEEPS9_SE_NS0_5tupleIJPjSE_EEENSF_IJSE_SE_EEES9_SG_JZNS1_25segmented_radix_sort_implINS0_14default_configELb0EPKhPhPKlPlN2at6native12_GLOBAL__N_18offset_tEEE10hipError_tPvRmT1_PNSt15iterator_traitsISY_E10value_typeET2_T3_PNSZ_IS14_E10value_typeET4_jRbjT5_S1A_jjP12ihipStream_tbEUljE_EEESV_SW_SX_S14_S18_S1A_T6_T7_T9_mT8_S1C_bDpT10_ENKUlT_T0_E_clISt17integral_constantIbLb0EES1O_IbLb1EEEEDaS1K_S1L_EUlS1K_E_NS1_11comp_targetILNS1_3genE4ELNS1_11target_archE910ELNS1_3gpuE8ELNS1_3repE0EEENS1_30default_config_static_selectorELNS0_4arch9wavefront6targetE0EEEvSY_,"axG",@progbits,_ZN7rocprim17ROCPRIM_400000_NS6detail17trampoline_kernelINS0_13select_configILj256ELj13ELNS0_17block_load_methodE3ELS4_3ELS4_3ELNS0_20block_scan_algorithmE0ELj4294967295EEENS1_25partition_config_selectorILNS1_17partition_subalgoE3EjNS0_10empty_typeEbEEZZNS1_14partition_implILS8_3ELb0ES6_jNS0_17counting_iteratorIjlEEPS9_SE_NS0_5tupleIJPjSE_EEENSF_IJSE_SE_EEES9_SG_JZNS1_25segmented_radix_sort_implINS0_14default_configELb0EPKhPhPKlPlN2at6native12_GLOBAL__N_18offset_tEEE10hipError_tPvRmT1_PNSt15iterator_traitsISY_E10value_typeET2_T3_PNSZ_IS14_E10value_typeET4_jRbjT5_S1A_jjP12ihipStream_tbEUljE_EEESV_SW_SX_S14_S18_S1A_T6_T7_T9_mT8_S1C_bDpT10_ENKUlT_T0_E_clISt17integral_constantIbLb0EES1O_IbLb1EEEEDaS1K_S1L_EUlS1K_E_NS1_11comp_targetILNS1_3genE4ELNS1_11target_archE910ELNS1_3gpuE8ELNS1_3repE0EEENS1_30default_config_static_selectorELNS0_4arch9wavefront6targetE0EEEvSY_,comdat
	.globl	_ZN7rocprim17ROCPRIM_400000_NS6detail17trampoline_kernelINS0_13select_configILj256ELj13ELNS0_17block_load_methodE3ELS4_3ELS4_3ELNS0_20block_scan_algorithmE0ELj4294967295EEENS1_25partition_config_selectorILNS1_17partition_subalgoE3EjNS0_10empty_typeEbEEZZNS1_14partition_implILS8_3ELb0ES6_jNS0_17counting_iteratorIjlEEPS9_SE_NS0_5tupleIJPjSE_EEENSF_IJSE_SE_EEES9_SG_JZNS1_25segmented_radix_sort_implINS0_14default_configELb0EPKhPhPKlPlN2at6native12_GLOBAL__N_18offset_tEEE10hipError_tPvRmT1_PNSt15iterator_traitsISY_E10value_typeET2_T3_PNSZ_IS14_E10value_typeET4_jRbjT5_S1A_jjP12ihipStream_tbEUljE_EEESV_SW_SX_S14_S18_S1A_T6_T7_T9_mT8_S1C_bDpT10_ENKUlT_T0_E_clISt17integral_constantIbLb0EES1O_IbLb1EEEEDaS1K_S1L_EUlS1K_E_NS1_11comp_targetILNS1_3genE4ELNS1_11target_archE910ELNS1_3gpuE8ELNS1_3repE0EEENS1_30default_config_static_selectorELNS0_4arch9wavefront6targetE0EEEvSY_ ; -- Begin function _ZN7rocprim17ROCPRIM_400000_NS6detail17trampoline_kernelINS0_13select_configILj256ELj13ELNS0_17block_load_methodE3ELS4_3ELS4_3ELNS0_20block_scan_algorithmE0ELj4294967295EEENS1_25partition_config_selectorILNS1_17partition_subalgoE3EjNS0_10empty_typeEbEEZZNS1_14partition_implILS8_3ELb0ES6_jNS0_17counting_iteratorIjlEEPS9_SE_NS0_5tupleIJPjSE_EEENSF_IJSE_SE_EEES9_SG_JZNS1_25segmented_radix_sort_implINS0_14default_configELb0EPKhPhPKlPlN2at6native12_GLOBAL__N_18offset_tEEE10hipError_tPvRmT1_PNSt15iterator_traitsISY_E10value_typeET2_T3_PNSZ_IS14_E10value_typeET4_jRbjT5_S1A_jjP12ihipStream_tbEUljE_EEESV_SW_SX_S14_S18_S1A_T6_T7_T9_mT8_S1C_bDpT10_ENKUlT_T0_E_clISt17integral_constantIbLb0EES1O_IbLb1EEEEDaS1K_S1L_EUlS1K_E_NS1_11comp_targetILNS1_3genE4ELNS1_11target_archE910ELNS1_3gpuE8ELNS1_3repE0EEENS1_30default_config_static_selectorELNS0_4arch9wavefront6targetE0EEEvSY_
	.p2align	8
	.type	_ZN7rocprim17ROCPRIM_400000_NS6detail17trampoline_kernelINS0_13select_configILj256ELj13ELNS0_17block_load_methodE3ELS4_3ELS4_3ELNS0_20block_scan_algorithmE0ELj4294967295EEENS1_25partition_config_selectorILNS1_17partition_subalgoE3EjNS0_10empty_typeEbEEZZNS1_14partition_implILS8_3ELb0ES6_jNS0_17counting_iteratorIjlEEPS9_SE_NS0_5tupleIJPjSE_EEENSF_IJSE_SE_EEES9_SG_JZNS1_25segmented_radix_sort_implINS0_14default_configELb0EPKhPhPKlPlN2at6native12_GLOBAL__N_18offset_tEEE10hipError_tPvRmT1_PNSt15iterator_traitsISY_E10value_typeET2_T3_PNSZ_IS14_E10value_typeET4_jRbjT5_S1A_jjP12ihipStream_tbEUljE_EEESV_SW_SX_S14_S18_S1A_T6_T7_T9_mT8_S1C_bDpT10_ENKUlT_T0_E_clISt17integral_constantIbLb0EES1O_IbLb1EEEEDaS1K_S1L_EUlS1K_E_NS1_11comp_targetILNS1_3genE4ELNS1_11target_archE910ELNS1_3gpuE8ELNS1_3repE0EEENS1_30default_config_static_selectorELNS0_4arch9wavefront6targetE0EEEvSY_,@function
_ZN7rocprim17ROCPRIM_400000_NS6detail17trampoline_kernelINS0_13select_configILj256ELj13ELNS0_17block_load_methodE3ELS4_3ELS4_3ELNS0_20block_scan_algorithmE0ELj4294967295EEENS1_25partition_config_selectorILNS1_17partition_subalgoE3EjNS0_10empty_typeEbEEZZNS1_14partition_implILS8_3ELb0ES6_jNS0_17counting_iteratorIjlEEPS9_SE_NS0_5tupleIJPjSE_EEENSF_IJSE_SE_EEES9_SG_JZNS1_25segmented_radix_sort_implINS0_14default_configELb0EPKhPhPKlPlN2at6native12_GLOBAL__N_18offset_tEEE10hipError_tPvRmT1_PNSt15iterator_traitsISY_E10value_typeET2_T3_PNSZ_IS14_E10value_typeET4_jRbjT5_S1A_jjP12ihipStream_tbEUljE_EEESV_SW_SX_S14_S18_S1A_T6_T7_T9_mT8_S1C_bDpT10_ENKUlT_T0_E_clISt17integral_constantIbLb0EES1O_IbLb1EEEEDaS1K_S1L_EUlS1K_E_NS1_11comp_targetILNS1_3genE4ELNS1_11target_archE910ELNS1_3gpuE8ELNS1_3repE0EEENS1_30default_config_static_selectorELNS0_4arch9wavefront6targetE0EEEvSY_: ; @_ZN7rocprim17ROCPRIM_400000_NS6detail17trampoline_kernelINS0_13select_configILj256ELj13ELNS0_17block_load_methodE3ELS4_3ELS4_3ELNS0_20block_scan_algorithmE0ELj4294967295EEENS1_25partition_config_selectorILNS1_17partition_subalgoE3EjNS0_10empty_typeEbEEZZNS1_14partition_implILS8_3ELb0ES6_jNS0_17counting_iteratorIjlEEPS9_SE_NS0_5tupleIJPjSE_EEENSF_IJSE_SE_EEES9_SG_JZNS1_25segmented_radix_sort_implINS0_14default_configELb0EPKhPhPKlPlN2at6native12_GLOBAL__N_18offset_tEEE10hipError_tPvRmT1_PNSt15iterator_traitsISY_E10value_typeET2_T3_PNSZ_IS14_E10value_typeET4_jRbjT5_S1A_jjP12ihipStream_tbEUljE_EEESV_SW_SX_S14_S18_S1A_T6_T7_T9_mT8_S1C_bDpT10_ENKUlT_T0_E_clISt17integral_constantIbLb0EES1O_IbLb1EEEEDaS1K_S1L_EUlS1K_E_NS1_11comp_targetILNS1_3genE4ELNS1_11target_archE910ELNS1_3gpuE8ELNS1_3repE0EEENS1_30default_config_static_selectorELNS0_4arch9wavefront6targetE0EEEvSY_
; %bb.0:
	.section	.rodata,"a",@progbits
	.p2align	6, 0x0
	.amdhsa_kernel _ZN7rocprim17ROCPRIM_400000_NS6detail17trampoline_kernelINS0_13select_configILj256ELj13ELNS0_17block_load_methodE3ELS4_3ELS4_3ELNS0_20block_scan_algorithmE0ELj4294967295EEENS1_25partition_config_selectorILNS1_17partition_subalgoE3EjNS0_10empty_typeEbEEZZNS1_14partition_implILS8_3ELb0ES6_jNS0_17counting_iteratorIjlEEPS9_SE_NS0_5tupleIJPjSE_EEENSF_IJSE_SE_EEES9_SG_JZNS1_25segmented_radix_sort_implINS0_14default_configELb0EPKhPhPKlPlN2at6native12_GLOBAL__N_18offset_tEEE10hipError_tPvRmT1_PNSt15iterator_traitsISY_E10value_typeET2_T3_PNSZ_IS14_E10value_typeET4_jRbjT5_S1A_jjP12ihipStream_tbEUljE_EEESV_SW_SX_S14_S18_S1A_T6_T7_T9_mT8_S1C_bDpT10_ENKUlT_T0_E_clISt17integral_constantIbLb0EES1O_IbLb1EEEEDaS1K_S1L_EUlS1K_E_NS1_11comp_targetILNS1_3genE4ELNS1_11target_archE910ELNS1_3gpuE8ELNS1_3repE0EEENS1_30default_config_static_selectorELNS0_4arch9wavefront6targetE0EEEvSY_
		.amdhsa_group_segment_fixed_size 0
		.amdhsa_private_segment_fixed_size 0
		.amdhsa_kernarg_size 152
		.amdhsa_user_sgpr_count 15
		.amdhsa_user_sgpr_dispatch_ptr 0
		.amdhsa_user_sgpr_queue_ptr 0
		.amdhsa_user_sgpr_kernarg_segment_ptr 1
		.amdhsa_user_sgpr_dispatch_id 0
		.amdhsa_user_sgpr_private_segment_size 0
		.amdhsa_wavefront_size32 1
		.amdhsa_uses_dynamic_stack 0
		.amdhsa_enable_private_segment 0
		.amdhsa_system_sgpr_workgroup_id_x 1
		.amdhsa_system_sgpr_workgroup_id_y 0
		.amdhsa_system_sgpr_workgroup_id_z 0
		.amdhsa_system_sgpr_workgroup_info 0
		.amdhsa_system_vgpr_workitem_id 0
		.amdhsa_next_free_vgpr 1
		.amdhsa_next_free_sgpr 1
		.amdhsa_reserve_vcc 0
		.amdhsa_float_round_mode_32 0
		.amdhsa_float_round_mode_16_64 0
		.amdhsa_float_denorm_mode_32 3
		.amdhsa_float_denorm_mode_16_64 3
		.amdhsa_dx10_clamp 1
		.amdhsa_ieee_mode 1
		.amdhsa_fp16_overflow 0
		.amdhsa_workgroup_processor_mode 1
		.amdhsa_memory_ordered 1
		.amdhsa_forward_progress 0
		.amdhsa_shared_vgpr_count 0
		.amdhsa_exception_fp_ieee_invalid_op 0
		.amdhsa_exception_fp_denorm_src 0
		.amdhsa_exception_fp_ieee_div_zero 0
		.amdhsa_exception_fp_ieee_overflow 0
		.amdhsa_exception_fp_ieee_underflow 0
		.amdhsa_exception_fp_ieee_inexact 0
		.amdhsa_exception_int_div_zero 0
	.end_amdhsa_kernel
	.section	.text._ZN7rocprim17ROCPRIM_400000_NS6detail17trampoline_kernelINS0_13select_configILj256ELj13ELNS0_17block_load_methodE3ELS4_3ELS4_3ELNS0_20block_scan_algorithmE0ELj4294967295EEENS1_25partition_config_selectorILNS1_17partition_subalgoE3EjNS0_10empty_typeEbEEZZNS1_14partition_implILS8_3ELb0ES6_jNS0_17counting_iteratorIjlEEPS9_SE_NS0_5tupleIJPjSE_EEENSF_IJSE_SE_EEES9_SG_JZNS1_25segmented_radix_sort_implINS0_14default_configELb0EPKhPhPKlPlN2at6native12_GLOBAL__N_18offset_tEEE10hipError_tPvRmT1_PNSt15iterator_traitsISY_E10value_typeET2_T3_PNSZ_IS14_E10value_typeET4_jRbjT5_S1A_jjP12ihipStream_tbEUljE_EEESV_SW_SX_S14_S18_S1A_T6_T7_T9_mT8_S1C_bDpT10_ENKUlT_T0_E_clISt17integral_constantIbLb0EES1O_IbLb1EEEEDaS1K_S1L_EUlS1K_E_NS1_11comp_targetILNS1_3genE4ELNS1_11target_archE910ELNS1_3gpuE8ELNS1_3repE0EEENS1_30default_config_static_selectorELNS0_4arch9wavefront6targetE0EEEvSY_,"axG",@progbits,_ZN7rocprim17ROCPRIM_400000_NS6detail17trampoline_kernelINS0_13select_configILj256ELj13ELNS0_17block_load_methodE3ELS4_3ELS4_3ELNS0_20block_scan_algorithmE0ELj4294967295EEENS1_25partition_config_selectorILNS1_17partition_subalgoE3EjNS0_10empty_typeEbEEZZNS1_14partition_implILS8_3ELb0ES6_jNS0_17counting_iteratorIjlEEPS9_SE_NS0_5tupleIJPjSE_EEENSF_IJSE_SE_EEES9_SG_JZNS1_25segmented_radix_sort_implINS0_14default_configELb0EPKhPhPKlPlN2at6native12_GLOBAL__N_18offset_tEEE10hipError_tPvRmT1_PNSt15iterator_traitsISY_E10value_typeET2_T3_PNSZ_IS14_E10value_typeET4_jRbjT5_S1A_jjP12ihipStream_tbEUljE_EEESV_SW_SX_S14_S18_S1A_T6_T7_T9_mT8_S1C_bDpT10_ENKUlT_T0_E_clISt17integral_constantIbLb0EES1O_IbLb1EEEEDaS1K_S1L_EUlS1K_E_NS1_11comp_targetILNS1_3genE4ELNS1_11target_archE910ELNS1_3gpuE8ELNS1_3repE0EEENS1_30default_config_static_selectorELNS0_4arch9wavefront6targetE0EEEvSY_,comdat
.Lfunc_end180:
	.size	_ZN7rocprim17ROCPRIM_400000_NS6detail17trampoline_kernelINS0_13select_configILj256ELj13ELNS0_17block_load_methodE3ELS4_3ELS4_3ELNS0_20block_scan_algorithmE0ELj4294967295EEENS1_25partition_config_selectorILNS1_17partition_subalgoE3EjNS0_10empty_typeEbEEZZNS1_14partition_implILS8_3ELb0ES6_jNS0_17counting_iteratorIjlEEPS9_SE_NS0_5tupleIJPjSE_EEENSF_IJSE_SE_EEES9_SG_JZNS1_25segmented_radix_sort_implINS0_14default_configELb0EPKhPhPKlPlN2at6native12_GLOBAL__N_18offset_tEEE10hipError_tPvRmT1_PNSt15iterator_traitsISY_E10value_typeET2_T3_PNSZ_IS14_E10value_typeET4_jRbjT5_S1A_jjP12ihipStream_tbEUljE_EEESV_SW_SX_S14_S18_S1A_T6_T7_T9_mT8_S1C_bDpT10_ENKUlT_T0_E_clISt17integral_constantIbLb0EES1O_IbLb1EEEEDaS1K_S1L_EUlS1K_E_NS1_11comp_targetILNS1_3genE4ELNS1_11target_archE910ELNS1_3gpuE8ELNS1_3repE0EEENS1_30default_config_static_selectorELNS0_4arch9wavefront6targetE0EEEvSY_, .Lfunc_end180-_ZN7rocprim17ROCPRIM_400000_NS6detail17trampoline_kernelINS0_13select_configILj256ELj13ELNS0_17block_load_methodE3ELS4_3ELS4_3ELNS0_20block_scan_algorithmE0ELj4294967295EEENS1_25partition_config_selectorILNS1_17partition_subalgoE3EjNS0_10empty_typeEbEEZZNS1_14partition_implILS8_3ELb0ES6_jNS0_17counting_iteratorIjlEEPS9_SE_NS0_5tupleIJPjSE_EEENSF_IJSE_SE_EEES9_SG_JZNS1_25segmented_radix_sort_implINS0_14default_configELb0EPKhPhPKlPlN2at6native12_GLOBAL__N_18offset_tEEE10hipError_tPvRmT1_PNSt15iterator_traitsISY_E10value_typeET2_T3_PNSZ_IS14_E10value_typeET4_jRbjT5_S1A_jjP12ihipStream_tbEUljE_EEESV_SW_SX_S14_S18_S1A_T6_T7_T9_mT8_S1C_bDpT10_ENKUlT_T0_E_clISt17integral_constantIbLb0EES1O_IbLb1EEEEDaS1K_S1L_EUlS1K_E_NS1_11comp_targetILNS1_3genE4ELNS1_11target_archE910ELNS1_3gpuE8ELNS1_3repE0EEENS1_30default_config_static_selectorELNS0_4arch9wavefront6targetE0EEEvSY_
                                        ; -- End function
	.section	.AMDGPU.csdata,"",@progbits
; Kernel info:
; codeLenInByte = 0
; NumSgprs: 0
; NumVgprs: 0
; ScratchSize: 0
; MemoryBound: 0
; FloatMode: 240
; IeeeMode: 1
; LDSByteSize: 0 bytes/workgroup (compile time only)
; SGPRBlocks: 0
; VGPRBlocks: 0
; NumSGPRsForWavesPerEU: 1
; NumVGPRsForWavesPerEU: 1
; Occupancy: 16
; WaveLimiterHint : 0
; COMPUTE_PGM_RSRC2:SCRATCH_EN: 0
; COMPUTE_PGM_RSRC2:USER_SGPR: 15
; COMPUTE_PGM_RSRC2:TRAP_HANDLER: 0
; COMPUTE_PGM_RSRC2:TGID_X_EN: 1
; COMPUTE_PGM_RSRC2:TGID_Y_EN: 0
; COMPUTE_PGM_RSRC2:TGID_Z_EN: 0
; COMPUTE_PGM_RSRC2:TIDIG_COMP_CNT: 0
	.section	.text._ZN7rocprim17ROCPRIM_400000_NS6detail17trampoline_kernelINS0_13select_configILj256ELj13ELNS0_17block_load_methodE3ELS4_3ELS4_3ELNS0_20block_scan_algorithmE0ELj4294967295EEENS1_25partition_config_selectorILNS1_17partition_subalgoE3EjNS0_10empty_typeEbEEZZNS1_14partition_implILS8_3ELb0ES6_jNS0_17counting_iteratorIjlEEPS9_SE_NS0_5tupleIJPjSE_EEENSF_IJSE_SE_EEES9_SG_JZNS1_25segmented_radix_sort_implINS0_14default_configELb0EPKhPhPKlPlN2at6native12_GLOBAL__N_18offset_tEEE10hipError_tPvRmT1_PNSt15iterator_traitsISY_E10value_typeET2_T3_PNSZ_IS14_E10value_typeET4_jRbjT5_S1A_jjP12ihipStream_tbEUljE_EEESV_SW_SX_S14_S18_S1A_T6_T7_T9_mT8_S1C_bDpT10_ENKUlT_T0_E_clISt17integral_constantIbLb0EES1O_IbLb1EEEEDaS1K_S1L_EUlS1K_E_NS1_11comp_targetILNS1_3genE3ELNS1_11target_archE908ELNS1_3gpuE7ELNS1_3repE0EEENS1_30default_config_static_selectorELNS0_4arch9wavefront6targetE0EEEvSY_,"axG",@progbits,_ZN7rocprim17ROCPRIM_400000_NS6detail17trampoline_kernelINS0_13select_configILj256ELj13ELNS0_17block_load_methodE3ELS4_3ELS4_3ELNS0_20block_scan_algorithmE0ELj4294967295EEENS1_25partition_config_selectorILNS1_17partition_subalgoE3EjNS0_10empty_typeEbEEZZNS1_14partition_implILS8_3ELb0ES6_jNS0_17counting_iteratorIjlEEPS9_SE_NS0_5tupleIJPjSE_EEENSF_IJSE_SE_EEES9_SG_JZNS1_25segmented_radix_sort_implINS0_14default_configELb0EPKhPhPKlPlN2at6native12_GLOBAL__N_18offset_tEEE10hipError_tPvRmT1_PNSt15iterator_traitsISY_E10value_typeET2_T3_PNSZ_IS14_E10value_typeET4_jRbjT5_S1A_jjP12ihipStream_tbEUljE_EEESV_SW_SX_S14_S18_S1A_T6_T7_T9_mT8_S1C_bDpT10_ENKUlT_T0_E_clISt17integral_constantIbLb0EES1O_IbLb1EEEEDaS1K_S1L_EUlS1K_E_NS1_11comp_targetILNS1_3genE3ELNS1_11target_archE908ELNS1_3gpuE7ELNS1_3repE0EEENS1_30default_config_static_selectorELNS0_4arch9wavefront6targetE0EEEvSY_,comdat
	.globl	_ZN7rocprim17ROCPRIM_400000_NS6detail17trampoline_kernelINS0_13select_configILj256ELj13ELNS0_17block_load_methodE3ELS4_3ELS4_3ELNS0_20block_scan_algorithmE0ELj4294967295EEENS1_25partition_config_selectorILNS1_17partition_subalgoE3EjNS0_10empty_typeEbEEZZNS1_14partition_implILS8_3ELb0ES6_jNS0_17counting_iteratorIjlEEPS9_SE_NS0_5tupleIJPjSE_EEENSF_IJSE_SE_EEES9_SG_JZNS1_25segmented_radix_sort_implINS0_14default_configELb0EPKhPhPKlPlN2at6native12_GLOBAL__N_18offset_tEEE10hipError_tPvRmT1_PNSt15iterator_traitsISY_E10value_typeET2_T3_PNSZ_IS14_E10value_typeET4_jRbjT5_S1A_jjP12ihipStream_tbEUljE_EEESV_SW_SX_S14_S18_S1A_T6_T7_T9_mT8_S1C_bDpT10_ENKUlT_T0_E_clISt17integral_constantIbLb0EES1O_IbLb1EEEEDaS1K_S1L_EUlS1K_E_NS1_11comp_targetILNS1_3genE3ELNS1_11target_archE908ELNS1_3gpuE7ELNS1_3repE0EEENS1_30default_config_static_selectorELNS0_4arch9wavefront6targetE0EEEvSY_ ; -- Begin function _ZN7rocprim17ROCPRIM_400000_NS6detail17trampoline_kernelINS0_13select_configILj256ELj13ELNS0_17block_load_methodE3ELS4_3ELS4_3ELNS0_20block_scan_algorithmE0ELj4294967295EEENS1_25partition_config_selectorILNS1_17partition_subalgoE3EjNS0_10empty_typeEbEEZZNS1_14partition_implILS8_3ELb0ES6_jNS0_17counting_iteratorIjlEEPS9_SE_NS0_5tupleIJPjSE_EEENSF_IJSE_SE_EEES9_SG_JZNS1_25segmented_radix_sort_implINS0_14default_configELb0EPKhPhPKlPlN2at6native12_GLOBAL__N_18offset_tEEE10hipError_tPvRmT1_PNSt15iterator_traitsISY_E10value_typeET2_T3_PNSZ_IS14_E10value_typeET4_jRbjT5_S1A_jjP12ihipStream_tbEUljE_EEESV_SW_SX_S14_S18_S1A_T6_T7_T9_mT8_S1C_bDpT10_ENKUlT_T0_E_clISt17integral_constantIbLb0EES1O_IbLb1EEEEDaS1K_S1L_EUlS1K_E_NS1_11comp_targetILNS1_3genE3ELNS1_11target_archE908ELNS1_3gpuE7ELNS1_3repE0EEENS1_30default_config_static_selectorELNS0_4arch9wavefront6targetE0EEEvSY_
	.p2align	8
	.type	_ZN7rocprim17ROCPRIM_400000_NS6detail17trampoline_kernelINS0_13select_configILj256ELj13ELNS0_17block_load_methodE3ELS4_3ELS4_3ELNS0_20block_scan_algorithmE0ELj4294967295EEENS1_25partition_config_selectorILNS1_17partition_subalgoE3EjNS0_10empty_typeEbEEZZNS1_14partition_implILS8_3ELb0ES6_jNS0_17counting_iteratorIjlEEPS9_SE_NS0_5tupleIJPjSE_EEENSF_IJSE_SE_EEES9_SG_JZNS1_25segmented_radix_sort_implINS0_14default_configELb0EPKhPhPKlPlN2at6native12_GLOBAL__N_18offset_tEEE10hipError_tPvRmT1_PNSt15iterator_traitsISY_E10value_typeET2_T3_PNSZ_IS14_E10value_typeET4_jRbjT5_S1A_jjP12ihipStream_tbEUljE_EEESV_SW_SX_S14_S18_S1A_T6_T7_T9_mT8_S1C_bDpT10_ENKUlT_T0_E_clISt17integral_constantIbLb0EES1O_IbLb1EEEEDaS1K_S1L_EUlS1K_E_NS1_11comp_targetILNS1_3genE3ELNS1_11target_archE908ELNS1_3gpuE7ELNS1_3repE0EEENS1_30default_config_static_selectorELNS0_4arch9wavefront6targetE0EEEvSY_,@function
_ZN7rocprim17ROCPRIM_400000_NS6detail17trampoline_kernelINS0_13select_configILj256ELj13ELNS0_17block_load_methodE3ELS4_3ELS4_3ELNS0_20block_scan_algorithmE0ELj4294967295EEENS1_25partition_config_selectorILNS1_17partition_subalgoE3EjNS0_10empty_typeEbEEZZNS1_14partition_implILS8_3ELb0ES6_jNS0_17counting_iteratorIjlEEPS9_SE_NS0_5tupleIJPjSE_EEENSF_IJSE_SE_EEES9_SG_JZNS1_25segmented_radix_sort_implINS0_14default_configELb0EPKhPhPKlPlN2at6native12_GLOBAL__N_18offset_tEEE10hipError_tPvRmT1_PNSt15iterator_traitsISY_E10value_typeET2_T3_PNSZ_IS14_E10value_typeET4_jRbjT5_S1A_jjP12ihipStream_tbEUljE_EEESV_SW_SX_S14_S18_S1A_T6_T7_T9_mT8_S1C_bDpT10_ENKUlT_T0_E_clISt17integral_constantIbLb0EES1O_IbLb1EEEEDaS1K_S1L_EUlS1K_E_NS1_11comp_targetILNS1_3genE3ELNS1_11target_archE908ELNS1_3gpuE7ELNS1_3repE0EEENS1_30default_config_static_selectorELNS0_4arch9wavefront6targetE0EEEvSY_: ; @_ZN7rocprim17ROCPRIM_400000_NS6detail17trampoline_kernelINS0_13select_configILj256ELj13ELNS0_17block_load_methodE3ELS4_3ELS4_3ELNS0_20block_scan_algorithmE0ELj4294967295EEENS1_25partition_config_selectorILNS1_17partition_subalgoE3EjNS0_10empty_typeEbEEZZNS1_14partition_implILS8_3ELb0ES6_jNS0_17counting_iteratorIjlEEPS9_SE_NS0_5tupleIJPjSE_EEENSF_IJSE_SE_EEES9_SG_JZNS1_25segmented_radix_sort_implINS0_14default_configELb0EPKhPhPKlPlN2at6native12_GLOBAL__N_18offset_tEEE10hipError_tPvRmT1_PNSt15iterator_traitsISY_E10value_typeET2_T3_PNSZ_IS14_E10value_typeET4_jRbjT5_S1A_jjP12ihipStream_tbEUljE_EEESV_SW_SX_S14_S18_S1A_T6_T7_T9_mT8_S1C_bDpT10_ENKUlT_T0_E_clISt17integral_constantIbLb0EES1O_IbLb1EEEEDaS1K_S1L_EUlS1K_E_NS1_11comp_targetILNS1_3genE3ELNS1_11target_archE908ELNS1_3gpuE7ELNS1_3repE0EEENS1_30default_config_static_selectorELNS0_4arch9wavefront6targetE0EEEvSY_
; %bb.0:
	.section	.rodata,"a",@progbits
	.p2align	6, 0x0
	.amdhsa_kernel _ZN7rocprim17ROCPRIM_400000_NS6detail17trampoline_kernelINS0_13select_configILj256ELj13ELNS0_17block_load_methodE3ELS4_3ELS4_3ELNS0_20block_scan_algorithmE0ELj4294967295EEENS1_25partition_config_selectorILNS1_17partition_subalgoE3EjNS0_10empty_typeEbEEZZNS1_14partition_implILS8_3ELb0ES6_jNS0_17counting_iteratorIjlEEPS9_SE_NS0_5tupleIJPjSE_EEENSF_IJSE_SE_EEES9_SG_JZNS1_25segmented_radix_sort_implINS0_14default_configELb0EPKhPhPKlPlN2at6native12_GLOBAL__N_18offset_tEEE10hipError_tPvRmT1_PNSt15iterator_traitsISY_E10value_typeET2_T3_PNSZ_IS14_E10value_typeET4_jRbjT5_S1A_jjP12ihipStream_tbEUljE_EEESV_SW_SX_S14_S18_S1A_T6_T7_T9_mT8_S1C_bDpT10_ENKUlT_T0_E_clISt17integral_constantIbLb0EES1O_IbLb1EEEEDaS1K_S1L_EUlS1K_E_NS1_11comp_targetILNS1_3genE3ELNS1_11target_archE908ELNS1_3gpuE7ELNS1_3repE0EEENS1_30default_config_static_selectorELNS0_4arch9wavefront6targetE0EEEvSY_
		.amdhsa_group_segment_fixed_size 0
		.amdhsa_private_segment_fixed_size 0
		.amdhsa_kernarg_size 152
		.amdhsa_user_sgpr_count 15
		.amdhsa_user_sgpr_dispatch_ptr 0
		.amdhsa_user_sgpr_queue_ptr 0
		.amdhsa_user_sgpr_kernarg_segment_ptr 1
		.amdhsa_user_sgpr_dispatch_id 0
		.amdhsa_user_sgpr_private_segment_size 0
		.amdhsa_wavefront_size32 1
		.amdhsa_uses_dynamic_stack 0
		.amdhsa_enable_private_segment 0
		.amdhsa_system_sgpr_workgroup_id_x 1
		.amdhsa_system_sgpr_workgroup_id_y 0
		.amdhsa_system_sgpr_workgroup_id_z 0
		.amdhsa_system_sgpr_workgroup_info 0
		.amdhsa_system_vgpr_workitem_id 0
		.amdhsa_next_free_vgpr 1
		.amdhsa_next_free_sgpr 1
		.amdhsa_reserve_vcc 0
		.amdhsa_float_round_mode_32 0
		.amdhsa_float_round_mode_16_64 0
		.amdhsa_float_denorm_mode_32 3
		.amdhsa_float_denorm_mode_16_64 3
		.amdhsa_dx10_clamp 1
		.amdhsa_ieee_mode 1
		.amdhsa_fp16_overflow 0
		.amdhsa_workgroup_processor_mode 1
		.amdhsa_memory_ordered 1
		.amdhsa_forward_progress 0
		.amdhsa_shared_vgpr_count 0
		.amdhsa_exception_fp_ieee_invalid_op 0
		.amdhsa_exception_fp_denorm_src 0
		.amdhsa_exception_fp_ieee_div_zero 0
		.amdhsa_exception_fp_ieee_overflow 0
		.amdhsa_exception_fp_ieee_underflow 0
		.amdhsa_exception_fp_ieee_inexact 0
		.amdhsa_exception_int_div_zero 0
	.end_amdhsa_kernel
	.section	.text._ZN7rocprim17ROCPRIM_400000_NS6detail17trampoline_kernelINS0_13select_configILj256ELj13ELNS0_17block_load_methodE3ELS4_3ELS4_3ELNS0_20block_scan_algorithmE0ELj4294967295EEENS1_25partition_config_selectorILNS1_17partition_subalgoE3EjNS0_10empty_typeEbEEZZNS1_14partition_implILS8_3ELb0ES6_jNS0_17counting_iteratorIjlEEPS9_SE_NS0_5tupleIJPjSE_EEENSF_IJSE_SE_EEES9_SG_JZNS1_25segmented_radix_sort_implINS0_14default_configELb0EPKhPhPKlPlN2at6native12_GLOBAL__N_18offset_tEEE10hipError_tPvRmT1_PNSt15iterator_traitsISY_E10value_typeET2_T3_PNSZ_IS14_E10value_typeET4_jRbjT5_S1A_jjP12ihipStream_tbEUljE_EEESV_SW_SX_S14_S18_S1A_T6_T7_T9_mT8_S1C_bDpT10_ENKUlT_T0_E_clISt17integral_constantIbLb0EES1O_IbLb1EEEEDaS1K_S1L_EUlS1K_E_NS1_11comp_targetILNS1_3genE3ELNS1_11target_archE908ELNS1_3gpuE7ELNS1_3repE0EEENS1_30default_config_static_selectorELNS0_4arch9wavefront6targetE0EEEvSY_,"axG",@progbits,_ZN7rocprim17ROCPRIM_400000_NS6detail17trampoline_kernelINS0_13select_configILj256ELj13ELNS0_17block_load_methodE3ELS4_3ELS4_3ELNS0_20block_scan_algorithmE0ELj4294967295EEENS1_25partition_config_selectorILNS1_17partition_subalgoE3EjNS0_10empty_typeEbEEZZNS1_14partition_implILS8_3ELb0ES6_jNS0_17counting_iteratorIjlEEPS9_SE_NS0_5tupleIJPjSE_EEENSF_IJSE_SE_EEES9_SG_JZNS1_25segmented_radix_sort_implINS0_14default_configELb0EPKhPhPKlPlN2at6native12_GLOBAL__N_18offset_tEEE10hipError_tPvRmT1_PNSt15iterator_traitsISY_E10value_typeET2_T3_PNSZ_IS14_E10value_typeET4_jRbjT5_S1A_jjP12ihipStream_tbEUljE_EEESV_SW_SX_S14_S18_S1A_T6_T7_T9_mT8_S1C_bDpT10_ENKUlT_T0_E_clISt17integral_constantIbLb0EES1O_IbLb1EEEEDaS1K_S1L_EUlS1K_E_NS1_11comp_targetILNS1_3genE3ELNS1_11target_archE908ELNS1_3gpuE7ELNS1_3repE0EEENS1_30default_config_static_selectorELNS0_4arch9wavefront6targetE0EEEvSY_,comdat
.Lfunc_end181:
	.size	_ZN7rocprim17ROCPRIM_400000_NS6detail17trampoline_kernelINS0_13select_configILj256ELj13ELNS0_17block_load_methodE3ELS4_3ELS4_3ELNS0_20block_scan_algorithmE0ELj4294967295EEENS1_25partition_config_selectorILNS1_17partition_subalgoE3EjNS0_10empty_typeEbEEZZNS1_14partition_implILS8_3ELb0ES6_jNS0_17counting_iteratorIjlEEPS9_SE_NS0_5tupleIJPjSE_EEENSF_IJSE_SE_EEES9_SG_JZNS1_25segmented_radix_sort_implINS0_14default_configELb0EPKhPhPKlPlN2at6native12_GLOBAL__N_18offset_tEEE10hipError_tPvRmT1_PNSt15iterator_traitsISY_E10value_typeET2_T3_PNSZ_IS14_E10value_typeET4_jRbjT5_S1A_jjP12ihipStream_tbEUljE_EEESV_SW_SX_S14_S18_S1A_T6_T7_T9_mT8_S1C_bDpT10_ENKUlT_T0_E_clISt17integral_constantIbLb0EES1O_IbLb1EEEEDaS1K_S1L_EUlS1K_E_NS1_11comp_targetILNS1_3genE3ELNS1_11target_archE908ELNS1_3gpuE7ELNS1_3repE0EEENS1_30default_config_static_selectorELNS0_4arch9wavefront6targetE0EEEvSY_, .Lfunc_end181-_ZN7rocprim17ROCPRIM_400000_NS6detail17trampoline_kernelINS0_13select_configILj256ELj13ELNS0_17block_load_methodE3ELS4_3ELS4_3ELNS0_20block_scan_algorithmE0ELj4294967295EEENS1_25partition_config_selectorILNS1_17partition_subalgoE3EjNS0_10empty_typeEbEEZZNS1_14partition_implILS8_3ELb0ES6_jNS0_17counting_iteratorIjlEEPS9_SE_NS0_5tupleIJPjSE_EEENSF_IJSE_SE_EEES9_SG_JZNS1_25segmented_radix_sort_implINS0_14default_configELb0EPKhPhPKlPlN2at6native12_GLOBAL__N_18offset_tEEE10hipError_tPvRmT1_PNSt15iterator_traitsISY_E10value_typeET2_T3_PNSZ_IS14_E10value_typeET4_jRbjT5_S1A_jjP12ihipStream_tbEUljE_EEESV_SW_SX_S14_S18_S1A_T6_T7_T9_mT8_S1C_bDpT10_ENKUlT_T0_E_clISt17integral_constantIbLb0EES1O_IbLb1EEEEDaS1K_S1L_EUlS1K_E_NS1_11comp_targetILNS1_3genE3ELNS1_11target_archE908ELNS1_3gpuE7ELNS1_3repE0EEENS1_30default_config_static_selectorELNS0_4arch9wavefront6targetE0EEEvSY_
                                        ; -- End function
	.section	.AMDGPU.csdata,"",@progbits
; Kernel info:
; codeLenInByte = 0
; NumSgprs: 0
; NumVgprs: 0
; ScratchSize: 0
; MemoryBound: 0
; FloatMode: 240
; IeeeMode: 1
; LDSByteSize: 0 bytes/workgroup (compile time only)
; SGPRBlocks: 0
; VGPRBlocks: 0
; NumSGPRsForWavesPerEU: 1
; NumVGPRsForWavesPerEU: 1
; Occupancy: 16
; WaveLimiterHint : 0
; COMPUTE_PGM_RSRC2:SCRATCH_EN: 0
; COMPUTE_PGM_RSRC2:USER_SGPR: 15
; COMPUTE_PGM_RSRC2:TRAP_HANDLER: 0
; COMPUTE_PGM_RSRC2:TGID_X_EN: 1
; COMPUTE_PGM_RSRC2:TGID_Y_EN: 0
; COMPUTE_PGM_RSRC2:TGID_Z_EN: 0
; COMPUTE_PGM_RSRC2:TIDIG_COMP_CNT: 0
	.section	.text._ZN7rocprim17ROCPRIM_400000_NS6detail17trampoline_kernelINS0_13select_configILj256ELj13ELNS0_17block_load_methodE3ELS4_3ELS4_3ELNS0_20block_scan_algorithmE0ELj4294967295EEENS1_25partition_config_selectorILNS1_17partition_subalgoE3EjNS0_10empty_typeEbEEZZNS1_14partition_implILS8_3ELb0ES6_jNS0_17counting_iteratorIjlEEPS9_SE_NS0_5tupleIJPjSE_EEENSF_IJSE_SE_EEES9_SG_JZNS1_25segmented_radix_sort_implINS0_14default_configELb0EPKhPhPKlPlN2at6native12_GLOBAL__N_18offset_tEEE10hipError_tPvRmT1_PNSt15iterator_traitsISY_E10value_typeET2_T3_PNSZ_IS14_E10value_typeET4_jRbjT5_S1A_jjP12ihipStream_tbEUljE_EEESV_SW_SX_S14_S18_S1A_T6_T7_T9_mT8_S1C_bDpT10_ENKUlT_T0_E_clISt17integral_constantIbLb0EES1O_IbLb1EEEEDaS1K_S1L_EUlS1K_E_NS1_11comp_targetILNS1_3genE2ELNS1_11target_archE906ELNS1_3gpuE6ELNS1_3repE0EEENS1_30default_config_static_selectorELNS0_4arch9wavefront6targetE0EEEvSY_,"axG",@progbits,_ZN7rocprim17ROCPRIM_400000_NS6detail17trampoline_kernelINS0_13select_configILj256ELj13ELNS0_17block_load_methodE3ELS4_3ELS4_3ELNS0_20block_scan_algorithmE0ELj4294967295EEENS1_25partition_config_selectorILNS1_17partition_subalgoE3EjNS0_10empty_typeEbEEZZNS1_14partition_implILS8_3ELb0ES6_jNS0_17counting_iteratorIjlEEPS9_SE_NS0_5tupleIJPjSE_EEENSF_IJSE_SE_EEES9_SG_JZNS1_25segmented_radix_sort_implINS0_14default_configELb0EPKhPhPKlPlN2at6native12_GLOBAL__N_18offset_tEEE10hipError_tPvRmT1_PNSt15iterator_traitsISY_E10value_typeET2_T3_PNSZ_IS14_E10value_typeET4_jRbjT5_S1A_jjP12ihipStream_tbEUljE_EEESV_SW_SX_S14_S18_S1A_T6_T7_T9_mT8_S1C_bDpT10_ENKUlT_T0_E_clISt17integral_constantIbLb0EES1O_IbLb1EEEEDaS1K_S1L_EUlS1K_E_NS1_11comp_targetILNS1_3genE2ELNS1_11target_archE906ELNS1_3gpuE6ELNS1_3repE0EEENS1_30default_config_static_selectorELNS0_4arch9wavefront6targetE0EEEvSY_,comdat
	.globl	_ZN7rocprim17ROCPRIM_400000_NS6detail17trampoline_kernelINS0_13select_configILj256ELj13ELNS0_17block_load_methodE3ELS4_3ELS4_3ELNS0_20block_scan_algorithmE0ELj4294967295EEENS1_25partition_config_selectorILNS1_17partition_subalgoE3EjNS0_10empty_typeEbEEZZNS1_14partition_implILS8_3ELb0ES6_jNS0_17counting_iteratorIjlEEPS9_SE_NS0_5tupleIJPjSE_EEENSF_IJSE_SE_EEES9_SG_JZNS1_25segmented_radix_sort_implINS0_14default_configELb0EPKhPhPKlPlN2at6native12_GLOBAL__N_18offset_tEEE10hipError_tPvRmT1_PNSt15iterator_traitsISY_E10value_typeET2_T3_PNSZ_IS14_E10value_typeET4_jRbjT5_S1A_jjP12ihipStream_tbEUljE_EEESV_SW_SX_S14_S18_S1A_T6_T7_T9_mT8_S1C_bDpT10_ENKUlT_T0_E_clISt17integral_constantIbLb0EES1O_IbLb1EEEEDaS1K_S1L_EUlS1K_E_NS1_11comp_targetILNS1_3genE2ELNS1_11target_archE906ELNS1_3gpuE6ELNS1_3repE0EEENS1_30default_config_static_selectorELNS0_4arch9wavefront6targetE0EEEvSY_ ; -- Begin function _ZN7rocprim17ROCPRIM_400000_NS6detail17trampoline_kernelINS0_13select_configILj256ELj13ELNS0_17block_load_methodE3ELS4_3ELS4_3ELNS0_20block_scan_algorithmE0ELj4294967295EEENS1_25partition_config_selectorILNS1_17partition_subalgoE3EjNS0_10empty_typeEbEEZZNS1_14partition_implILS8_3ELb0ES6_jNS0_17counting_iteratorIjlEEPS9_SE_NS0_5tupleIJPjSE_EEENSF_IJSE_SE_EEES9_SG_JZNS1_25segmented_radix_sort_implINS0_14default_configELb0EPKhPhPKlPlN2at6native12_GLOBAL__N_18offset_tEEE10hipError_tPvRmT1_PNSt15iterator_traitsISY_E10value_typeET2_T3_PNSZ_IS14_E10value_typeET4_jRbjT5_S1A_jjP12ihipStream_tbEUljE_EEESV_SW_SX_S14_S18_S1A_T6_T7_T9_mT8_S1C_bDpT10_ENKUlT_T0_E_clISt17integral_constantIbLb0EES1O_IbLb1EEEEDaS1K_S1L_EUlS1K_E_NS1_11comp_targetILNS1_3genE2ELNS1_11target_archE906ELNS1_3gpuE6ELNS1_3repE0EEENS1_30default_config_static_selectorELNS0_4arch9wavefront6targetE0EEEvSY_
	.p2align	8
	.type	_ZN7rocprim17ROCPRIM_400000_NS6detail17trampoline_kernelINS0_13select_configILj256ELj13ELNS0_17block_load_methodE3ELS4_3ELS4_3ELNS0_20block_scan_algorithmE0ELj4294967295EEENS1_25partition_config_selectorILNS1_17partition_subalgoE3EjNS0_10empty_typeEbEEZZNS1_14partition_implILS8_3ELb0ES6_jNS0_17counting_iteratorIjlEEPS9_SE_NS0_5tupleIJPjSE_EEENSF_IJSE_SE_EEES9_SG_JZNS1_25segmented_radix_sort_implINS0_14default_configELb0EPKhPhPKlPlN2at6native12_GLOBAL__N_18offset_tEEE10hipError_tPvRmT1_PNSt15iterator_traitsISY_E10value_typeET2_T3_PNSZ_IS14_E10value_typeET4_jRbjT5_S1A_jjP12ihipStream_tbEUljE_EEESV_SW_SX_S14_S18_S1A_T6_T7_T9_mT8_S1C_bDpT10_ENKUlT_T0_E_clISt17integral_constantIbLb0EES1O_IbLb1EEEEDaS1K_S1L_EUlS1K_E_NS1_11comp_targetILNS1_3genE2ELNS1_11target_archE906ELNS1_3gpuE6ELNS1_3repE0EEENS1_30default_config_static_selectorELNS0_4arch9wavefront6targetE0EEEvSY_,@function
_ZN7rocprim17ROCPRIM_400000_NS6detail17trampoline_kernelINS0_13select_configILj256ELj13ELNS0_17block_load_methodE3ELS4_3ELS4_3ELNS0_20block_scan_algorithmE0ELj4294967295EEENS1_25partition_config_selectorILNS1_17partition_subalgoE3EjNS0_10empty_typeEbEEZZNS1_14partition_implILS8_3ELb0ES6_jNS0_17counting_iteratorIjlEEPS9_SE_NS0_5tupleIJPjSE_EEENSF_IJSE_SE_EEES9_SG_JZNS1_25segmented_radix_sort_implINS0_14default_configELb0EPKhPhPKlPlN2at6native12_GLOBAL__N_18offset_tEEE10hipError_tPvRmT1_PNSt15iterator_traitsISY_E10value_typeET2_T3_PNSZ_IS14_E10value_typeET4_jRbjT5_S1A_jjP12ihipStream_tbEUljE_EEESV_SW_SX_S14_S18_S1A_T6_T7_T9_mT8_S1C_bDpT10_ENKUlT_T0_E_clISt17integral_constantIbLb0EES1O_IbLb1EEEEDaS1K_S1L_EUlS1K_E_NS1_11comp_targetILNS1_3genE2ELNS1_11target_archE906ELNS1_3gpuE6ELNS1_3repE0EEENS1_30default_config_static_selectorELNS0_4arch9wavefront6targetE0EEEvSY_: ; @_ZN7rocprim17ROCPRIM_400000_NS6detail17trampoline_kernelINS0_13select_configILj256ELj13ELNS0_17block_load_methodE3ELS4_3ELS4_3ELNS0_20block_scan_algorithmE0ELj4294967295EEENS1_25partition_config_selectorILNS1_17partition_subalgoE3EjNS0_10empty_typeEbEEZZNS1_14partition_implILS8_3ELb0ES6_jNS0_17counting_iteratorIjlEEPS9_SE_NS0_5tupleIJPjSE_EEENSF_IJSE_SE_EEES9_SG_JZNS1_25segmented_radix_sort_implINS0_14default_configELb0EPKhPhPKlPlN2at6native12_GLOBAL__N_18offset_tEEE10hipError_tPvRmT1_PNSt15iterator_traitsISY_E10value_typeET2_T3_PNSZ_IS14_E10value_typeET4_jRbjT5_S1A_jjP12ihipStream_tbEUljE_EEESV_SW_SX_S14_S18_S1A_T6_T7_T9_mT8_S1C_bDpT10_ENKUlT_T0_E_clISt17integral_constantIbLb0EES1O_IbLb1EEEEDaS1K_S1L_EUlS1K_E_NS1_11comp_targetILNS1_3genE2ELNS1_11target_archE906ELNS1_3gpuE6ELNS1_3repE0EEENS1_30default_config_static_selectorELNS0_4arch9wavefront6targetE0EEEvSY_
; %bb.0:
	.section	.rodata,"a",@progbits
	.p2align	6, 0x0
	.amdhsa_kernel _ZN7rocprim17ROCPRIM_400000_NS6detail17trampoline_kernelINS0_13select_configILj256ELj13ELNS0_17block_load_methodE3ELS4_3ELS4_3ELNS0_20block_scan_algorithmE0ELj4294967295EEENS1_25partition_config_selectorILNS1_17partition_subalgoE3EjNS0_10empty_typeEbEEZZNS1_14partition_implILS8_3ELb0ES6_jNS0_17counting_iteratorIjlEEPS9_SE_NS0_5tupleIJPjSE_EEENSF_IJSE_SE_EEES9_SG_JZNS1_25segmented_radix_sort_implINS0_14default_configELb0EPKhPhPKlPlN2at6native12_GLOBAL__N_18offset_tEEE10hipError_tPvRmT1_PNSt15iterator_traitsISY_E10value_typeET2_T3_PNSZ_IS14_E10value_typeET4_jRbjT5_S1A_jjP12ihipStream_tbEUljE_EEESV_SW_SX_S14_S18_S1A_T6_T7_T9_mT8_S1C_bDpT10_ENKUlT_T0_E_clISt17integral_constantIbLb0EES1O_IbLb1EEEEDaS1K_S1L_EUlS1K_E_NS1_11comp_targetILNS1_3genE2ELNS1_11target_archE906ELNS1_3gpuE6ELNS1_3repE0EEENS1_30default_config_static_selectorELNS0_4arch9wavefront6targetE0EEEvSY_
		.amdhsa_group_segment_fixed_size 0
		.amdhsa_private_segment_fixed_size 0
		.amdhsa_kernarg_size 152
		.amdhsa_user_sgpr_count 15
		.amdhsa_user_sgpr_dispatch_ptr 0
		.amdhsa_user_sgpr_queue_ptr 0
		.amdhsa_user_sgpr_kernarg_segment_ptr 1
		.amdhsa_user_sgpr_dispatch_id 0
		.amdhsa_user_sgpr_private_segment_size 0
		.amdhsa_wavefront_size32 1
		.amdhsa_uses_dynamic_stack 0
		.amdhsa_enable_private_segment 0
		.amdhsa_system_sgpr_workgroup_id_x 1
		.amdhsa_system_sgpr_workgroup_id_y 0
		.amdhsa_system_sgpr_workgroup_id_z 0
		.amdhsa_system_sgpr_workgroup_info 0
		.amdhsa_system_vgpr_workitem_id 0
		.amdhsa_next_free_vgpr 1
		.amdhsa_next_free_sgpr 1
		.amdhsa_reserve_vcc 0
		.amdhsa_float_round_mode_32 0
		.amdhsa_float_round_mode_16_64 0
		.amdhsa_float_denorm_mode_32 3
		.amdhsa_float_denorm_mode_16_64 3
		.amdhsa_dx10_clamp 1
		.amdhsa_ieee_mode 1
		.amdhsa_fp16_overflow 0
		.amdhsa_workgroup_processor_mode 1
		.amdhsa_memory_ordered 1
		.amdhsa_forward_progress 0
		.amdhsa_shared_vgpr_count 0
		.amdhsa_exception_fp_ieee_invalid_op 0
		.amdhsa_exception_fp_denorm_src 0
		.amdhsa_exception_fp_ieee_div_zero 0
		.amdhsa_exception_fp_ieee_overflow 0
		.amdhsa_exception_fp_ieee_underflow 0
		.amdhsa_exception_fp_ieee_inexact 0
		.amdhsa_exception_int_div_zero 0
	.end_amdhsa_kernel
	.section	.text._ZN7rocprim17ROCPRIM_400000_NS6detail17trampoline_kernelINS0_13select_configILj256ELj13ELNS0_17block_load_methodE3ELS4_3ELS4_3ELNS0_20block_scan_algorithmE0ELj4294967295EEENS1_25partition_config_selectorILNS1_17partition_subalgoE3EjNS0_10empty_typeEbEEZZNS1_14partition_implILS8_3ELb0ES6_jNS0_17counting_iteratorIjlEEPS9_SE_NS0_5tupleIJPjSE_EEENSF_IJSE_SE_EEES9_SG_JZNS1_25segmented_radix_sort_implINS0_14default_configELb0EPKhPhPKlPlN2at6native12_GLOBAL__N_18offset_tEEE10hipError_tPvRmT1_PNSt15iterator_traitsISY_E10value_typeET2_T3_PNSZ_IS14_E10value_typeET4_jRbjT5_S1A_jjP12ihipStream_tbEUljE_EEESV_SW_SX_S14_S18_S1A_T6_T7_T9_mT8_S1C_bDpT10_ENKUlT_T0_E_clISt17integral_constantIbLb0EES1O_IbLb1EEEEDaS1K_S1L_EUlS1K_E_NS1_11comp_targetILNS1_3genE2ELNS1_11target_archE906ELNS1_3gpuE6ELNS1_3repE0EEENS1_30default_config_static_selectorELNS0_4arch9wavefront6targetE0EEEvSY_,"axG",@progbits,_ZN7rocprim17ROCPRIM_400000_NS6detail17trampoline_kernelINS0_13select_configILj256ELj13ELNS0_17block_load_methodE3ELS4_3ELS4_3ELNS0_20block_scan_algorithmE0ELj4294967295EEENS1_25partition_config_selectorILNS1_17partition_subalgoE3EjNS0_10empty_typeEbEEZZNS1_14partition_implILS8_3ELb0ES6_jNS0_17counting_iteratorIjlEEPS9_SE_NS0_5tupleIJPjSE_EEENSF_IJSE_SE_EEES9_SG_JZNS1_25segmented_radix_sort_implINS0_14default_configELb0EPKhPhPKlPlN2at6native12_GLOBAL__N_18offset_tEEE10hipError_tPvRmT1_PNSt15iterator_traitsISY_E10value_typeET2_T3_PNSZ_IS14_E10value_typeET4_jRbjT5_S1A_jjP12ihipStream_tbEUljE_EEESV_SW_SX_S14_S18_S1A_T6_T7_T9_mT8_S1C_bDpT10_ENKUlT_T0_E_clISt17integral_constantIbLb0EES1O_IbLb1EEEEDaS1K_S1L_EUlS1K_E_NS1_11comp_targetILNS1_3genE2ELNS1_11target_archE906ELNS1_3gpuE6ELNS1_3repE0EEENS1_30default_config_static_selectorELNS0_4arch9wavefront6targetE0EEEvSY_,comdat
.Lfunc_end182:
	.size	_ZN7rocprim17ROCPRIM_400000_NS6detail17trampoline_kernelINS0_13select_configILj256ELj13ELNS0_17block_load_methodE3ELS4_3ELS4_3ELNS0_20block_scan_algorithmE0ELj4294967295EEENS1_25partition_config_selectorILNS1_17partition_subalgoE3EjNS0_10empty_typeEbEEZZNS1_14partition_implILS8_3ELb0ES6_jNS0_17counting_iteratorIjlEEPS9_SE_NS0_5tupleIJPjSE_EEENSF_IJSE_SE_EEES9_SG_JZNS1_25segmented_radix_sort_implINS0_14default_configELb0EPKhPhPKlPlN2at6native12_GLOBAL__N_18offset_tEEE10hipError_tPvRmT1_PNSt15iterator_traitsISY_E10value_typeET2_T3_PNSZ_IS14_E10value_typeET4_jRbjT5_S1A_jjP12ihipStream_tbEUljE_EEESV_SW_SX_S14_S18_S1A_T6_T7_T9_mT8_S1C_bDpT10_ENKUlT_T0_E_clISt17integral_constantIbLb0EES1O_IbLb1EEEEDaS1K_S1L_EUlS1K_E_NS1_11comp_targetILNS1_3genE2ELNS1_11target_archE906ELNS1_3gpuE6ELNS1_3repE0EEENS1_30default_config_static_selectorELNS0_4arch9wavefront6targetE0EEEvSY_, .Lfunc_end182-_ZN7rocprim17ROCPRIM_400000_NS6detail17trampoline_kernelINS0_13select_configILj256ELj13ELNS0_17block_load_methodE3ELS4_3ELS4_3ELNS0_20block_scan_algorithmE0ELj4294967295EEENS1_25partition_config_selectorILNS1_17partition_subalgoE3EjNS0_10empty_typeEbEEZZNS1_14partition_implILS8_3ELb0ES6_jNS0_17counting_iteratorIjlEEPS9_SE_NS0_5tupleIJPjSE_EEENSF_IJSE_SE_EEES9_SG_JZNS1_25segmented_radix_sort_implINS0_14default_configELb0EPKhPhPKlPlN2at6native12_GLOBAL__N_18offset_tEEE10hipError_tPvRmT1_PNSt15iterator_traitsISY_E10value_typeET2_T3_PNSZ_IS14_E10value_typeET4_jRbjT5_S1A_jjP12ihipStream_tbEUljE_EEESV_SW_SX_S14_S18_S1A_T6_T7_T9_mT8_S1C_bDpT10_ENKUlT_T0_E_clISt17integral_constantIbLb0EES1O_IbLb1EEEEDaS1K_S1L_EUlS1K_E_NS1_11comp_targetILNS1_3genE2ELNS1_11target_archE906ELNS1_3gpuE6ELNS1_3repE0EEENS1_30default_config_static_selectorELNS0_4arch9wavefront6targetE0EEEvSY_
                                        ; -- End function
	.section	.AMDGPU.csdata,"",@progbits
; Kernel info:
; codeLenInByte = 0
; NumSgprs: 0
; NumVgprs: 0
; ScratchSize: 0
; MemoryBound: 0
; FloatMode: 240
; IeeeMode: 1
; LDSByteSize: 0 bytes/workgroup (compile time only)
; SGPRBlocks: 0
; VGPRBlocks: 0
; NumSGPRsForWavesPerEU: 1
; NumVGPRsForWavesPerEU: 1
; Occupancy: 16
; WaveLimiterHint : 0
; COMPUTE_PGM_RSRC2:SCRATCH_EN: 0
; COMPUTE_PGM_RSRC2:USER_SGPR: 15
; COMPUTE_PGM_RSRC2:TRAP_HANDLER: 0
; COMPUTE_PGM_RSRC2:TGID_X_EN: 1
; COMPUTE_PGM_RSRC2:TGID_Y_EN: 0
; COMPUTE_PGM_RSRC2:TGID_Z_EN: 0
; COMPUTE_PGM_RSRC2:TIDIG_COMP_CNT: 0
	.section	.text._ZN7rocprim17ROCPRIM_400000_NS6detail17trampoline_kernelINS0_13select_configILj256ELj13ELNS0_17block_load_methodE3ELS4_3ELS4_3ELNS0_20block_scan_algorithmE0ELj4294967295EEENS1_25partition_config_selectorILNS1_17partition_subalgoE3EjNS0_10empty_typeEbEEZZNS1_14partition_implILS8_3ELb0ES6_jNS0_17counting_iteratorIjlEEPS9_SE_NS0_5tupleIJPjSE_EEENSF_IJSE_SE_EEES9_SG_JZNS1_25segmented_radix_sort_implINS0_14default_configELb0EPKhPhPKlPlN2at6native12_GLOBAL__N_18offset_tEEE10hipError_tPvRmT1_PNSt15iterator_traitsISY_E10value_typeET2_T3_PNSZ_IS14_E10value_typeET4_jRbjT5_S1A_jjP12ihipStream_tbEUljE_EEESV_SW_SX_S14_S18_S1A_T6_T7_T9_mT8_S1C_bDpT10_ENKUlT_T0_E_clISt17integral_constantIbLb0EES1O_IbLb1EEEEDaS1K_S1L_EUlS1K_E_NS1_11comp_targetILNS1_3genE10ELNS1_11target_archE1200ELNS1_3gpuE4ELNS1_3repE0EEENS1_30default_config_static_selectorELNS0_4arch9wavefront6targetE0EEEvSY_,"axG",@progbits,_ZN7rocprim17ROCPRIM_400000_NS6detail17trampoline_kernelINS0_13select_configILj256ELj13ELNS0_17block_load_methodE3ELS4_3ELS4_3ELNS0_20block_scan_algorithmE0ELj4294967295EEENS1_25partition_config_selectorILNS1_17partition_subalgoE3EjNS0_10empty_typeEbEEZZNS1_14partition_implILS8_3ELb0ES6_jNS0_17counting_iteratorIjlEEPS9_SE_NS0_5tupleIJPjSE_EEENSF_IJSE_SE_EEES9_SG_JZNS1_25segmented_radix_sort_implINS0_14default_configELb0EPKhPhPKlPlN2at6native12_GLOBAL__N_18offset_tEEE10hipError_tPvRmT1_PNSt15iterator_traitsISY_E10value_typeET2_T3_PNSZ_IS14_E10value_typeET4_jRbjT5_S1A_jjP12ihipStream_tbEUljE_EEESV_SW_SX_S14_S18_S1A_T6_T7_T9_mT8_S1C_bDpT10_ENKUlT_T0_E_clISt17integral_constantIbLb0EES1O_IbLb1EEEEDaS1K_S1L_EUlS1K_E_NS1_11comp_targetILNS1_3genE10ELNS1_11target_archE1200ELNS1_3gpuE4ELNS1_3repE0EEENS1_30default_config_static_selectorELNS0_4arch9wavefront6targetE0EEEvSY_,comdat
	.globl	_ZN7rocprim17ROCPRIM_400000_NS6detail17trampoline_kernelINS0_13select_configILj256ELj13ELNS0_17block_load_methodE3ELS4_3ELS4_3ELNS0_20block_scan_algorithmE0ELj4294967295EEENS1_25partition_config_selectorILNS1_17partition_subalgoE3EjNS0_10empty_typeEbEEZZNS1_14partition_implILS8_3ELb0ES6_jNS0_17counting_iteratorIjlEEPS9_SE_NS0_5tupleIJPjSE_EEENSF_IJSE_SE_EEES9_SG_JZNS1_25segmented_radix_sort_implINS0_14default_configELb0EPKhPhPKlPlN2at6native12_GLOBAL__N_18offset_tEEE10hipError_tPvRmT1_PNSt15iterator_traitsISY_E10value_typeET2_T3_PNSZ_IS14_E10value_typeET4_jRbjT5_S1A_jjP12ihipStream_tbEUljE_EEESV_SW_SX_S14_S18_S1A_T6_T7_T9_mT8_S1C_bDpT10_ENKUlT_T0_E_clISt17integral_constantIbLb0EES1O_IbLb1EEEEDaS1K_S1L_EUlS1K_E_NS1_11comp_targetILNS1_3genE10ELNS1_11target_archE1200ELNS1_3gpuE4ELNS1_3repE0EEENS1_30default_config_static_selectorELNS0_4arch9wavefront6targetE0EEEvSY_ ; -- Begin function _ZN7rocprim17ROCPRIM_400000_NS6detail17trampoline_kernelINS0_13select_configILj256ELj13ELNS0_17block_load_methodE3ELS4_3ELS4_3ELNS0_20block_scan_algorithmE0ELj4294967295EEENS1_25partition_config_selectorILNS1_17partition_subalgoE3EjNS0_10empty_typeEbEEZZNS1_14partition_implILS8_3ELb0ES6_jNS0_17counting_iteratorIjlEEPS9_SE_NS0_5tupleIJPjSE_EEENSF_IJSE_SE_EEES9_SG_JZNS1_25segmented_radix_sort_implINS0_14default_configELb0EPKhPhPKlPlN2at6native12_GLOBAL__N_18offset_tEEE10hipError_tPvRmT1_PNSt15iterator_traitsISY_E10value_typeET2_T3_PNSZ_IS14_E10value_typeET4_jRbjT5_S1A_jjP12ihipStream_tbEUljE_EEESV_SW_SX_S14_S18_S1A_T6_T7_T9_mT8_S1C_bDpT10_ENKUlT_T0_E_clISt17integral_constantIbLb0EES1O_IbLb1EEEEDaS1K_S1L_EUlS1K_E_NS1_11comp_targetILNS1_3genE10ELNS1_11target_archE1200ELNS1_3gpuE4ELNS1_3repE0EEENS1_30default_config_static_selectorELNS0_4arch9wavefront6targetE0EEEvSY_
	.p2align	8
	.type	_ZN7rocprim17ROCPRIM_400000_NS6detail17trampoline_kernelINS0_13select_configILj256ELj13ELNS0_17block_load_methodE3ELS4_3ELS4_3ELNS0_20block_scan_algorithmE0ELj4294967295EEENS1_25partition_config_selectorILNS1_17partition_subalgoE3EjNS0_10empty_typeEbEEZZNS1_14partition_implILS8_3ELb0ES6_jNS0_17counting_iteratorIjlEEPS9_SE_NS0_5tupleIJPjSE_EEENSF_IJSE_SE_EEES9_SG_JZNS1_25segmented_radix_sort_implINS0_14default_configELb0EPKhPhPKlPlN2at6native12_GLOBAL__N_18offset_tEEE10hipError_tPvRmT1_PNSt15iterator_traitsISY_E10value_typeET2_T3_PNSZ_IS14_E10value_typeET4_jRbjT5_S1A_jjP12ihipStream_tbEUljE_EEESV_SW_SX_S14_S18_S1A_T6_T7_T9_mT8_S1C_bDpT10_ENKUlT_T0_E_clISt17integral_constantIbLb0EES1O_IbLb1EEEEDaS1K_S1L_EUlS1K_E_NS1_11comp_targetILNS1_3genE10ELNS1_11target_archE1200ELNS1_3gpuE4ELNS1_3repE0EEENS1_30default_config_static_selectorELNS0_4arch9wavefront6targetE0EEEvSY_,@function
_ZN7rocprim17ROCPRIM_400000_NS6detail17trampoline_kernelINS0_13select_configILj256ELj13ELNS0_17block_load_methodE3ELS4_3ELS4_3ELNS0_20block_scan_algorithmE0ELj4294967295EEENS1_25partition_config_selectorILNS1_17partition_subalgoE3EjNS0_10empty_typeEbEEZZNS1_14partition_implILS8_3ELb0ES6_jNS0_17counting_iteratorIjlEEPS9_SE_NS0_5tupleIJPjSE_EEENSF_IJSE_SE_EEES9_SG_JZNS1_25segmented_radix_sort_implINS0_14default_configELb0EPKhPhPKlPlN2at6native12_GLOBAL__N_18offset_tEEE10hipError_tPvRmT1_PNSt15iterator_traitsISY_E10value_typeET2_T3_PNSZ_IS14_E10value_typeET4_jRbjT5_S1A_jjP12ihipStream_tbEUljE_EEESV_SW_SX_S14_S18_S1A_T6_T7_T9_mT8_S1C_bDpT10_ENKUlT_T0_E_clISt17integral_constantIbLb0EES1O_IbLb1EEEEDaS1K_S1L_EUlS1K_E_NS1_11comp_targetILNS1_3genE10ELNS1_11target_archE1200ELNS1_3gpuE4ELNS1_3repE0EEENS1_30default_config_static_selectorELNS0_4arch9wavefront6targetE0EEEvSY_: ; @_ZN7rocprim17ROCPRIM_400000_NS6detail17trampoline_kernelINS0_13select_configILj256ELj13ELNS0_17block_load_methodE3ELS4_3ELS4_3ELNS0_20block_scan_algorithmE0ELj4294967295EEENS1_25partition_config_selectorILNS1_17partition_subalgoE3EjNS0_10empty_typeEbEEZZNS1_14partition_implILS8_3ELb0ES6_jNS0_17counting_iteratorIjlEEPS9_SE_NS0_5tupleIJPjSE_EEENSF_IJSE_SE_EEES9_SG_JZNS1_25segmented_radix_sort_implINS0_14default_configELb0EPKhPhPKlPlN2at6native12_GLOBAL__N_18offset_tEEE10hipError_tPvRmT1_PNSt15iterator_traitsISY_E10value_typeET2_T3_PNSZ_IS14_E10value_typeET4_jRbjT5_S1A_jjP12ihipStream_tbEUljE_EEESV_SW_SX_S14_S18_S1A_T6_T7_T9_mT8_S1C_bDpT10_ENKUlT_T0_E_clISt17integral_constantIbLb0EES1O_IbLb1EEEEDaS1K_S1L_EUlS1K_E_NS1_11comp_targetILNS1_3genE10ELNS1_11target_archE1200ELNS1_3gpuE4ELNS1_3repE0EEENS1_30default_config_static_selectorELNS0_4arch9wavefront6targetE0EEEvSY_
; %bb.0:
	.section	.rodata,"a",@progbits
	.p2align	6, 0x0
	.amdhsa_kernel _ZN7rocprim17ROCPRIM_400000_NS6detail17trampoline_kernelINS0_13select_configILj256ELj13ELNS0_17block_load_methodE3ELS4_3ELS4_3ELNS0_20block_scan_algorithmE0ELj4294967295EEENS1_25partition_config_selectorILNS1_17partition_subalgoE3EjNS0_10empty_typeEbEEZZNS1_14partition_implILS8_3ELb0ES6_jNS0_17counting_iteratorIjlEEPS9_SE_NS0_5tupleIJPjSE_EEENSF_IJSE_SE_EEES9_SG_JZNS1_25segmented_radix_sort_implINS0_14default_configELb0EPKhPhPKlPlN2at6native12_GLOBAL__N_18offset_tEEE10hipError_tPvRmT1_PNSt15iterator_traitsISY_E10value_typeET2_T3_PNSZ_IS14_E10value_typeET4_jRbjT5_S1A_jjP12ihipStream_tbEUljE_EEESV_SW_SX_S14_S18_S1A_T6_T7_T9_mT8_S1C_bDpT10_ENKUlT_T0_E_clISt17integral_constantIbLb0EES1O_IbLb1EEEEDaS1K_S1L_EUlS1K_E_NS1_11comp_targetILNS1_3genE10ELNS1_11target_archE1200ELNS1_3gpuE4ELNS1_3repE0EEENS1_30default_config_static_selectorELNS0_4arch9wavefront6targetE0EEEvSY_
		.amdhsa_group_segment_fixed_size 0
		.amdhsa_private_segment_fixed_size 0
		.amdhsa_kernarg_size 152
		.amdhsa_user_sgpr_count 15
		.amdhsa_user_sgpr_dispatch_ptr 0
		.amdhsa_user_sgpr_queue_ptr 0
		.amdhsa_user_sgpr_kernarg_segment_ptr 1
		.amdhsa_user_sgpr_dispatch_id 0
		.amdhsa_user_sgpr_private_segment_size 0
		.amdhsa_wavefront_size32 1
		.amdhsa_uses_dynamic_stack 0
		.amdhsa_enable_private_segment 0
		.amdhsa_system_sgpr_workgroup_id_x 1
		.amdhsa_system_sgpr_workgroup_id_y 0
		.amdhsa_system_sgpr_workgroup_id_z 0
		.amdhsa_system_sgpr_workgroup_info 0
		.amdhsa_system_vgpr_workitem_id 0
		.amdhsa_next_free_vgpr 1
		.amdhsa_next_free_sgpr 1
		.amdhsa_reserve_vcc 0
		.amdhsa_float_round_mode_32 0
		.amdhsa_float_round_mode_16_64 0
		.amdhsa_float_denorm_mode_32 3
		.amdhsa_float_denorm_mode_16_64 3
		.amdhsa_dx10_clamp 1
		.amdhsa_ieee_mode 1
		.amdhsa_fp16_overflow 0
		.amdhsa_workgroup_processor_mode 1
		.amdhsa_memory_ordered 1
		.amdhsa_forward_progress 0
		.amdhsa_shared_vgpr_count 0
		.amdhsa_exception_fp_ieee_invalid_op 0
		.amdhsa_exception_fp_denorm_src 0
		.amdhsa_exception_fp_ieee_div_zero 0
		.amdhsa_exception_fp_ieee_overflow 0
		.amdhsa_exception_fp_ieee_underflow 0
		.amdhsa_exception_fp_ieee_inexact 0
		.amdhsa_exception_int_div_zero 0
	.end_amdhsa_kernel
	.section	.text._ZN7rocprim17ROCPRIM_400000_NS6detail17trampoline_kernelINS0_13select_configILj256ELj13ELNS0_17block_load_methodE3ELS4_3ELS4_3ELNS0_20block_scan_algorithmE0ELj4294967295EEENS1_25partition_config_selectorILNS1_17partition_subalgoE3EjNS0_10empty_typeEbEEZZNS1_14partition_implILS8_3ELb0ES6_jNS0_17counting_iteratorIjlEEPS9_SE_NS0_5tupleIJPjSE_EEENSF_IJSE_SE_EEES9_SG_JZNS1_25segmented_radix_sort_implINS0_14default_configELb0EPKhPhPKlPlN2at6native12_GLOBAL__N_18offset_tEEE10hipError_tPvRmT1_PNSt15iterator_traitsISY_E10value_typeET2_T3_PNSZ_IS14_E10value_typeET4_jRbjT5_S1A_jjP12ihipStream_tbEUljE_EEESV_SW_SX_S14_S18_S1A_T6_T7_T9_mT8_S1C_bDpT10_ENKUlT_T0_E_clISt17integral_constantIbLb0EES1O_IbLb1EEEEDaS1K_S1L_EUlS1K_E_NS1_11comp_targetILNS1_3genE10ELNS1_11target_archE1200ELNS1_3gpuE4ELNS1_3repE0EEENS1_30default_config_static_selectorELNS0_4arch9wavefront6targetE0EEEvSY_,"axG",@progbits,_ZN7rocprim17ROCPRIM_400000_NS6detail17trampoline_kernelINS0_13select_configILj256ELj13ELNS0_17block_load_methodE3ELS4_3ELS4_3ELNS0_20block_scan_algorithmE0ELj4294967295EEENS1_25partition_config_selectorILNS1_17partition_subalgoE3EjNS0_10empty_typeEbEEZZNS1_14partition_implILS8_3ELb0ES6_jNS0_17counting_iteratorIjlEEPS9_SE_NS0_5tupleIJPjSE_EEENSF_IJSE_SE_EEES9_SG_JZNS1_25segmented_radix_sort_implINS0_14default_configELb0EPKhPhPKlPlN2at6native12_GLOBAL__N_18offset_tEEE10hipError_tPvRmT1_PNSt15iterator_traitsISY_E10value_typeET2_T3_PNSZ_IS14_E10value_typeET4_jRbjT5_S1A_jjP12ihipStream_tbEUljE_EEESV_SW_SX_S14_S18_S1A_T6_T7_T9_mT8_S1C_bDpT10_ENKUlT_T0_E_clISt17integral_constantIbLb0EES1O_IbLb1EEEEDaS1K_S1L_EUlS1K_E_NS1_11comp_targetILNS1_3genE10ELNS1_11target_archE1200ELNS1_3gpuE4ELNS1_3repE0EEENS1_30default_config_static_selectorELNS0_4arch9wavefront6targetE0EEEvSY_,comdat
.Lfunc_end183:
	.size	_ZN7rocprim17ROCPRIM_400000_NS6detail17trampoline_kernelINS0_13select_configILj256ELj13ELNS0_17block_load_methodE3ELS4_3ELS4_3ELNS0_20block_scan_algorithmE0ELj4294967295EEENS1_25partition_config_selectorILNS1_17partition_subalgoE3EjNS0_10empty_typeEbEEZZNS1_14partition_implILS8_3ELb0ES6_jNS0_17counting_iteratorIjlEEPS9_SE_NS0_5tupleIJPjSE_EEENSF_IJSE_SE_EEES9_SG_JZNS1_25segmented_radix_sort_implINS0_14default_configELb0EPKhPhPKlPlN2at6native12_GLOBAL__N_18offset_tEEE10hipError_tPvRmT1_PNSt15iterator_traitsISY_E10value_typeET2_T3_PNSZ_IS14_E10value_typeET4_jRbjT5_S1A_jjP12ihipStream_tbEUljE_EEESV_SW_SX_S14_S18_S1A_T6_T7_T9_mT8_S1C_bDpT10_ENKUlT_T0_E_clISt17integral_constantIbLb0EES1O_IbLb1EEEEDaS1K_S1L_EUlS1K_E_NS1_11comp_targetILNS1_3genE10ELNS1_11target_archE1200ELNS1_3gpuE4ELNS1_3repE0EEENS1_30default_config_static_selectorELNS0_4arch9wavefront6targetE0EEEvSY_, .Lfunc_end183-_ZN7rocprim17ROCPRIM_400000_NS6detail17trampoline_kernelINS0_13select_configILj256ELj13ELNS0_17block_load_methodE3ELS4_3ELS4_3ELNS0_20block_scan_algorithmE0ELj4294967295EEENS1_25partition_config_selectorILNS1_17partition_subalgoE3EjNS0_10empty_typeEbEEZZNS1_14partition_implILS8_3ELb0ES6_jNS0_17counting_iteratorIjlEEPS9_SE_NS0_5tupleIJPjSE_EEENSF_IJSE_SE_EEES9_SG_JZNS1_25segmented_radix_sort_implINS0_14default_configELb0EPKhPhPKlPlN2at6native12_GLOBAL__N_18offset_tEEE10hipError_tPvRmT1_PNSt15iterator_traitsISY_E10value_typeET2_T3_PNSZ_IS14_E10value_typeET4_jRbjT5_S1A_jjP12ihipStream_tbEUljE_EEESV_SW_SX_S14_S18_S1A_T6_T7_T9_mT8_S1C_bDpT10_ENKUlT_T0_E_clISt17integral_constantIbLb0EES1O_IbLb1EEEEDaS1K_S1L_EUlS1K_E_NS1_11comp_targetILNS1_3genE10ELNS1_11target_archE1200ELNS1_3gpuE4ELNS1_3repE0EEENS1_30default_config_static_selectorELNS0_4arch9wavefront6targetE0EEEvSY_
                                        ; -- End function
	.section	.AMDGPU.csdata,"",@progbits
; Kernel info:
; codeLenInByte = 0
; NumSgprs: 0
; NumVgprs: 0
; ScratchSize: 0
; MemoryBound: 0
; FloatMode: 240
; IeeeMode: 1
; LDSByteSize: 0 bytes/workgroup (compile time only)
; SGPRBlocks: 0
; VGPRBlocks: 0
; NumSGPRsForWavesPerEU: 1
; NumVGPRsForWavesPerEU: 1
; Occupancy: 16
; WaveLimiterHint : 0
; COMPUTE_PGM_RSRC2:SCRATCH_EN: 0
; COMPUTE_PGM_RSRC2:USER_SGPR: 15
; COMPUTE_PGM_RSRC2:TRAP_HANDLER: 0
; COMPUTE_PGM_RSRC2:TGID_X_EN: 1
; COMPUTE_PGM_RSRC2:TGID_Y_EN: 0
; COMPUTE_PGM_RSRC2:TGID_Z_EN: 0
; COMPUTE_PGM_RSRC2:TIDIG_COMP_CNT: 0
	.section	.text._ZN7rocprim17ROCPRIM_400000_NS6detail17trampoline_kernelINS0_13select_configILj256ELj13ELNS0_17block_load_methodE3ELS4_3ELS4_3ELNS0_20block_scan_algorithmE0ELj4294967295EEENS1_25partition_config_selectorILNS1_17partition_subalgoE3EjNS0_10empty_typeEbEEZZNS1_14partition_implILS8_3ELb0ES6_jNS0_17counting_iteratorIjlEEPS9_SE_NS0_5tupleIJPjSE_EEENSF_IJSE_SE_EEES9_SG_JZNS1_25segmented_radix_sort_implINS0_14default_configELb0EPKhPhPKlPlN2at6native12_GLOBAL__N_18offset_tEEE10hipError_tPvRmT1_PNSt15iterator_traitsISY_E10value_typeET2_T3_PNSZ_IS14_E10value_typeET4_jRbjT5_S1A_jjP12ihipStream_tbEUljE_EEESV_SW_SX_S14_S18_S1A_T6_T7_T9_mT8_S1C_bDpT10_ENKUlT_T0_E_clISt17integral_constantIbLb0EES1O_IbLb1EEEEDaS1K_S1L_EUlS1K_E_NS1_11comp_targetILNS1_3genE9ELNS1_11target_archE1100ELNS1_3gpuE3ELNS1_3repE0EEENS1_30default_config_static_selectorELNS0_4arch9wavefront6targetE0EEEvSY_,"axG",@progbits,_ZN7rocprim17ROCPRIM_400000_NS6detail17trampoline_kernelINS0_13select_configILj256ELj13ELNS0_17block_load_methodE3ELS4_3ELS4_3ELNS0_20block_scan_algorithmE0ELj4294967295EEENS1_25partition_config_selectorILNS1_17partition_subalgoE3EjNS0_10empty_typeEbEEZZNS1_14partition_implILS8_3ELb0ES6_jNS0_17counting_iteratorIjlEEPS9_SE_NS0_5tupleIJPjSE_EEENSF_IJSE_SE_EEES9_SG_JZNS1_25segmented_radix_sort_implINS0_14default_configELb0EPKhPhPKlPlN2at6native12_GLOBAL__N_18offset_tEEE10hipError_tPvRmT1_PNSt15iterator_traitsISY_E10value_typeET2_T3_PNSZ_IS14_E10value_typeET4_jRbjT5_S1A_jjP12ihipStream_tbEUljE_EEESV_SW_SX_S14_S18_S1A_T6_T7_T9_mT8_S1C_bDpT10_ENKUlT_T0_E_clISt17integral_constantIbLb0EES1O_IbLb1EEEEDaS1K_S1L_EUlS1K_E_NS1_11comp_targetILNS1_3genE9ELNS1_11target_archE1100ELNS1_3gpuE3ELNS1_3repE0EEENS1_30default_config_static_selectorELNS0_4arch9wavefront6targetE0EEEvSY_,comdat
	.globl	_ZN7rocprim17ROCPRIM_400000_NS6detail17trampoline_kernelINS0_13select_configILj256ELj13ELNS0_17block_load_methodE3ELS4_3ELS4_3ELNS0_20block_scan_algorithmE0ELj4294967295EEENS1_25partition_config_selectorILNS1_17partition_subalgoE3EjNS0_10empty_typeEbEEZZNS1_14partition_implILS8_3ELb0ES6_jNS0_17counting_iteratorIjlEEPS9_SE_NS0_5tupleIJPjSE_EEENSF_IJSE_SE_EEES9_SG_JZNS1_25segmented_radix_sort_implINS0_14default_configELb0EPKhPhPKlPlN2at6native12_GLOBAL__N_18offset_tEEE10hipError_tPvRmT1_PNSt15iterator_traitsISY_E10value_typeET2_T3_PNSZ_IS14_E10value_typeET4_jRbjT5_S1A_jjP12ihipStream_tbEUljE_EEESV_SW_SX_S14_S18_S1A_T6_T7_T9_mT8_S1C_bDpT10_ENKUlT_T0_E_clISt17integral_constantIbLb0EES1O_IbLb1EEEEDaS1K_S1L_EUlS1K_E_NS1_11comp_targetILNS1_3genE9ELNS1_11target_archE1100ELNS1_3gpuE3ELNS1_3repE0EEENS1_30default_config_static_selectorELNS0_4arch9wavefront6targetE0EEEvSY_ ; -- Begin function _ZN7rocprim17ROCPRIM_400000_NS6detail17trampoline_kernelINS0_13select_configILj256ELj13ELNS0_17block_load_methodE3ELS4_3ELS4_3ELNS0_20block_scan_algorithmE0ELj4294967295EEENS1_25partition_config_selectorILNS1_17partition_subalgoE3EjNS0_10empty_typeEbEEZZNS1_14partition_implILS8_3ELb0ES6_jNS0_17counting_iteratorIjlEEPS9_SE_NS0_5tupleIJPjSE_EEENSF_IJSE_SE_EEES9_SG_JZNS1_25segmented_radix_sort_implINS0_14default_configELb0EPKhPhPKlPlN2at6native12_GLOBAL__N_18offset_tEEE10hipError_tPvRmT1_PNSt15iterator_traitsISY_E10value_typeET2_T3_PNSZ_IS14_E10value_typeET4_jRbjT5_S1A_jjP12ihipStream_tbEUljE_EEESV_SW_SX_S14_S18_S1A_T6_T7_T9_mT8_S1C_bDpT10_ENKUlT_T0_E_clISt17integral_constantIbLb0EES1O_IbLb1EEEEDaS1K_S1L_EUlS1K_E_NS1_11comp_targetILNS1_3genE9ELNS1_11target_archE1100ELNS1_3gpuE3ELNS1_3repE0EEENS1_30default_config_static_selectorELNS0_4arch9wavefront6targetE0EEEvSY_
	.p2align	8
	.type	_ZN7rocprim17ROCPRIM_400000_NS6detail17trampoline_kernelINS0_13select_configILj256ELj13ELNS0_17block_load_methodE3ELS4_3ELS4_3ELNS0_20block_scan_algorithmE0ELj4294967295EEENS1_25partition_config_selectorILNS1_17partition_subalgoE3EjNS0_10empty_typeEbEEZZNS1_14partition_implILS8_3ELb0ES6_jNS0_17counting_iteratorIjlEEPS9_SE_NS0_5tupleIJPjSE_EEENSF_IJSE_SE_EEES9_SG_JZNS1_25segmented_radix_sort_implINS0_14default_configELb0EPKhPhPKlPlN2at6native12_GLOBAL__N_18offset_tEEE10hipError_tPvRmT1_PNSt15iterator_traitsISY_E10value_typeET2_T3_PNSZ_IS14_E10value_typeET4_jRbjT5_S1A_jjP12ihipStream_tbEUljE_EEESV_SW_SX_S14_S18_S1A_T6_T7_T9_mT8_S1C_bDpT10_ENKUlT_T0_E_clISt17integral_constantIbLb0EES1O_IbLb1EEEEDaS1K_S1L_EUlS1K_E_NS1_11comp_targetILNS1_3genE9ELNS1_11target_archE1100ELNS1_3gpuE3ELNS1_3repE0EEENS1_30default_config_static_selectorELNS0_4arch9wavefront6targetE0EEEvSY_,@function
_ZN7rocprim17ROCPRIM_400000_NS6detail17trampoline_kernelINS0_13select_configILj256ELj13ELNS0_17block_load_methodE3ELS4_3ELS4_3ELNS0_20block_scan_algorithmE0ELj4294967295EEENS1_25partition_config_selectorILNS1_17partition_subalgoE3EjNS0_10empty_typeEbEEZZNS1_14partition_implILS8_3ELb0ES6_jNS0_17counting_iteratorIjlEEPS9_SE_NS0_5tupleIJPjSE_EEENSF_IJSE_SE_EEES9_SG_JZNS1_25segmented_radix_sort_implINS0_14default_configELb0EPKhPhPKlPlN2at6native12_GLOBAL__N_18offset_tEEE10hipError_tPvRmT1_PNSt15iterator_traitsISY_E10value_typeET2_T3_PNSZ_IS14_E10value_typeET4_jRbjT5_S1A_jjP12ihipStream_tbEUljE_EEESV_SW_SX_S14_S18_S1A_T6_T7_T9_mT8_S1C_bDpT10_ENKUlT_T0_E_clISt17integral_constantIbLb0EES1O_IbLb1EEEEDaS1K_S1L_EUlS1K_E_NS1_11comp_targetILNS1_3genE9ELNS1_11target_archE1100ELNS1_3gpuE3ELNS1_3repE0EEENS1_30default_config_static_selectorELNS0_4arch9wavefront6targetE0EEEvSY_: ; @_ZN7rocprim17ROCPRIM_400000_NS6detail17trampoline_kernelINS0_13select_configILj256ELj13ELNS0_17block_load_methodE3ELS4_3ELS4_3ELNS0_20block_scan_algorithmE0ELj4294967295EEENS1_25partition_config_selectorILNS1_17partition_subalgoE3EjNS0_10empty_typeEbEEZZNS1_14partition_implILS8_3ELb0ES6_jNS0_17counting_iteratorIjlEEPS9_SE_NS0_5tupleIJPjSE_EEENSF_IJSE_SE_EEES9_SG_JZNS1_25segmented_radix_sort_implINS0_14default_configELb0EPKhPhPKlPlN2at6native12_GLOBAL__N_18offset_tEEE10hipError_tPvRmT1_PNSt15iterator_traitsISY_E10value_typeET2_T3_PNSZ_IS14_E10value_typeET4_jRbjT5_S1A_jjP12ihipStream_tbEUljE_EEESV_SW_SX_S14_S18_S1A_T6_T7_T9_mT8_S1C_bDpT10_ENKUlT_T0_E_clISt17integral_constantIbLb0EES1O_IbLb1EEEEDaS1K_S1L_EUlS1K_E_NS1_11comp_targetILNS1_3genE9ELNS1_11target_archE1100ELNS1_3gpuE3ELNS1_3repE0EEENS1_30default_config_static_selectorELNS0_4arch9wavefront6targetE0EEEvSY_
; %bb.0:
	s_clause 0x6
	s_load_b64 s[16:17], s[0:1], 0x10
	s_load_b64 s[12:13], s[0:1], 0x28
	;; [unrolled: 1-line block ×3, first 2 shown]
	s_load_b128 s[8:11], s[0:1], 0x48
	s_load_b32 s3, s[0:1], 0x90
	s_load_b64 s[18:19], s[0:1], 0x68
	s_load_b128 s[4:7], s[0:1], 0x80
	v_cmp_eq_u32_e64 s2, 0, v0
	s_delay_alu instid0(VALU_DEP_1)
	s_and_saveexec_b32 s20, s2
	s_cbranch_execz .LBB184_4
; %bb.1:
	s_mov_b32 s22, exec_lo
	s_mov_b32 s21, exec_lo
	v_mbcnt_lo_u32_b32 v1, s22, 0
                                        ; implicit-def: $vgpr2
	s_delay_alu instid0(VALU_DEP_1)
	v_cmpx_eq_u32_e32 0, v1
	s_cbranch_execz .LBB184_3
; %bb.2:
	s_load_b64 s[24:25], s[0:1], 0x78
	s_bcnt1_i32_b32 s22, s22
	s_delay_alu instid0(SALU_CYCLE_1)
	v_dual_mov_b32 v2, 0 :: v_dual_mov_b32 v3, s22
	s_waitcnt lgkmcnt(0)
	global_atomic_add_u32 v2, v2, v3, s[24:25] glc
.LBB184_3:
	s_or_b32 exec_lo, exec_lo, s21
	s_waitcnt vmcnt(0)
	v_readfirstlane_b32 s21, v2
	s_delay_alu instid0(VALU_DEP_1)
	v_dual_mov_b32 v2, 0 :: v_dual_add_nc_u32 v1, s21, v1
	ds_store_b32 v2, v1
.LBB184_4:
	s_or_b32 exec_lo, exec_lo, s20
	v_mov_b32_e32 v1, 0
	s_clause 0x1
	s_load_b32 s20, s[0:1], 0x8
	s_load_b32 s0, s[0:1], 0x70
	s_waitcnt lgkmcnt(0)
	s_barrier
	buffer_gl0_inv
	ds_load_b32 v2, v1
	s_waitcnt lgkmcnt(0)
	s_barrier
	buffer_gl0_inv
	global_load_b64 v[18:19], v1, s[10:11]
	v_lshlrev_b32_e32 v33, 2, v0
	s_add_i32 s21, s20, s16
	s_mul_i32 s1, s0, 0xd00
	s_add_i32 s0, s0, -1
	s_add_u32 s10, s16, s1
	s_addc_u32 s11, s17, 0
	v_mul_lo_u32 v32, 0xd00, v2
	v_readfirstlane_b32 s20, v2
	v_cmp_lt_u64_e64 s11, s[10:11], s[14:15]
	v_cmp_ne_u32_e32 vcc_lo, s0, v2
	s_delay_alu instid0(VALU_DEP_3) | instskip(SKIP_1) | instid1(VALU_DEP_4)
	s_cmp_eq_u32 s20, s0
	s_cselect_b32 s10, -1, 0
	v_add3_u32 v1, v32, s21, v0
	s_delay_alu instid0(VALU_DEP_3) | instskip(SKIP_2) | instid1(VALU_DEP_1)
	s_or_b32 s0, s11, vcc_lo
	s_mov_b32 s11, -1
	s_and_b32 vcc_lo, exec_lo, s0
	v_add_nc_u32_e32 v2, 0x100, v1
	v_add_nc_u32_e32 v3, 0x200, v1
	;; [unrolled: 1-line block ×12, first 2 shown]
	s_cbranch_vccz .LBB184_6
; %bb.5:
	ds_store_2addr_stride64_b32 v33, v1, v2 offset1:4
	ds_store_2addr_stride64_b32 v33, v3, v4 offset0:8 offset1:12
	ds_store_2addr_stride64_b32 v33, v5, v6 offset0:16 offset1:20
	;; [unrolled: 1-line block ×5, first 2 shown]
	ds_store_b32 v33, v13 offset:12288
	s_waitcnt vmcnt(0) lgkmcnt(0)
	s_mov_b32 s11, 0
	s_barrier
.LBB184_6:
	s_and_not1_b32 vcc_lo, exec_lo, s11
	s_add_i32 s1, s1, s16
	s_cbranch_vccnz .LBB184_8
; %bb.7:
	ds_store_2addr_stride64_b32 v33, v1, v2 offset1:4
	ds_store_2addr_stride64_b32 v33, v3, v4 offset0:8 offset1:12
	ds_store_2addr_stride64_b32 v33, v5, v6 offset0:16 offset1:20
	;; [unrolled: 1-line block ×5, first 2 shown]
	ds_store_b32 v33, v13 offset:12288
	s_waitcnt vmcnt(0) lgkmcnt(0)
	s_barrier
.LBB184_8:
	v_mul_u32_u24_e32 v36, 13, v0
	s_waitcnt vmcnt(0)
	buffer_gl0_inv
	v_cndmask_b32_e64 v34, 0, 1, s0
	s_sub_i32 s11, s14, s1
	s_and_not1_b32 vcc_lo, exec_lo, s0
	v_lshlrev_b32_e32 v1, 2, v36
	ds_load_2addr_b32 v[30:31], v1 offset1:1
	ds_load_2addr_b32 v[28:29], v1 offset0:2 offset1:3
	ds_load_2addr_b32 v[26:27], v1 offset0:4 offset1:5
	;; [unrolled: 1-line block ×5, first 2 shown]
	ds_load_b32 v35, v1 offset:48
	s_waitcnt lgkmcnt(0)
	s_barrier
	buffer_gl0_inv
	s_cbranch_vccnz .LBB184_10
; %bb.9:
	v_add_nc_u32_e32 v1, s5, v30
	v_add_nc_u32_e32 v2, s7, v30
	v_add_nc_u32_e32 v3, s5, v31
	v_add_nc_u32_e32 v4, s7, v31
	v_add_nc_u32_e32 v5, s5, v28
	v_mul_lo_u32 v1, v1, s4
	v_mul_lo_u32 v2, v2, s6
	;; [unrolled: 1-line block ×4, first 2 shown]
	v_add_nc_u32_e32 v6, s7, v28
	v_add_nc_u32_e32 v7, s5, v29
	;; [unrolled: 1-line block ×3, first 2 shown]
	v_mul_lo_u32 v5, v5, s4
	v_add_nc_u32_e32 v9, s5, v24
	v_sub_nc_u32_e32 v1, v1, v2
	v_mul_lo_u32 v2, v6, s6
	v_sub_nc_u32_e32 v3, v3, v4
	v_mul_lo_u32 v4, v7, s4
	v_mul_lo_u32 v6, v8, s6
	v_add_nc_u32_e32 v7, s5, v26
	v_cmp_lt_u32_e32 vcc_lo, s3, v1
	v_add_nc_u32_e32 v8, s5, v27
	v_add_nc_u32_e32 v10, s7, v24
	v_sub_nc_u32_e32 v2, v5, v2
	v_add_nc_u32_e32 v5, s7, v26
	v_cndmask_b32_e64 v1, 0, 1, vcc_lo
	v_sub_nc_u32_e32 v4, v4, v6
	v_mul_lo_u32 v6, v7, s4
	v_add_nc_u32_e32 v7, s7, v27
	v_cmp_lt_u32_e32 vcc_lo, s3, v3
	v_mul_lo_u32 v5, v5, s6
	v_mul_lo_u32 v8, v8, s4
	v_mul_lo_u32 v9, v9, s4
	v_mul_lo_u32 v7, v7, s6
	v_cndmask_b32_e64 v3, 0, 1, vcc_lo
	v_cmp_lt_u32_e32 vcc_lo, s3, v2
	v_mul_lo_u32 v10, v10, s6
	v_add_nc_u32_e32 v11, s5, v22
	v_sub_nc_u32_e32 v5, v6, v5
	v_add_nc_u32_e32 v12, s7, v22
	v_cndmask_b32_e64 v2, 0, 1, vcc_lo
	v_sub_nc_u32_e32 v6, v8, v7
	v_add_nc_u32_e32 v7, s5, v25
	v_add_nc_u32_e32 v8, s7, v25
	v_cmp_lt_u32_e32 vcc_lo, s3, v4
	v_sub_nc_u32_e32 v9, v9, v10
	v_mul_lo_u32 v10, v11, s4
	v_mul_lo_u32 v7, v7, s4
	;; [unrolled: 1-line block ×4, first 2 shown]
	v_cndmask_b32_e64 v4, 0, 1, vcc_lo
	v_cmp_lt_u32_e32 vcc_lo, s3, v5
	v_add_nc_u32_e32 v12, s5, v23
	v_add_nc_u32_e32 v13, s7, v20
	;; [unrolled: 1-line block ×4, first 2 shown]
	v_cndmask_b32_e64 v5, 0, 1, vcc_lo
	v_cmp_lt_u32_e32 vcc_lo, s3, v6
	v_sub_nc_u32_e32 v7, v7, v8
	v_sub_nc_u32_e32 v8, v10, v11
	v_add_nc_u32_e32 v11, s7, v23
	v_mul_lo_u32 v10, v12, s4
	v_cndmask_b32_e64 v6, 0, 1, vcc_lo
	v_cmp_lt_u32_e32 vcc_lo, s3, v9
	v_add_nc_u32_e32 v12, s5, v20
	v_mul_lo_u32 v11, v11, s6
	v_mul_lo_u32 v13, v13, s6
	;; [unrolled: 1-line block ×3, first 2 shown]
	v_cndmask_b32_e64 v9, 0, 1, vcc_lo
	v_cmp_lt_u32_e32 vcc_lo, s3, v7
	v_mul_lo_u32 v12, v12, s4
	v_mul_lo_u32 v15, v15, s6
	v_lshlrev_b16 v3, 8, v3
	v_sub_nc_u32_e32 v10, v10, v11
	v_cndmask_b32_e64 v7, 0, 1, vcc_lo
	v_cmp_lt_u32_e32 vcc_lo, s3, v8
	v_add_nc_u32_e32 v11, s5, v35
	v_or_b32_e32 v1, v1, v3
	v_sub_nc_u32_e32 v12, v12, v13
	v_sub_nc_u32_e32 v13, v14, v15
	v_cndmask_b32_e64 v8, 0, 1, vcc_lo
	v_cmp_lt_u32_e32 vcc_lo, s3, v10
	v_add_nc_u32_e32 v16, s7, v35
	v_mul_lo_u32 v11, v11, s4
	v_lshlrev_b16 v4, 8, v4
	v_lshlrev_b16 v6, 8, v6
	v_cndmask_b32_e64 v10, 0, 1, vcc_lo
	v_cmp_lt_u32_e32 vcc_lo, s3, v12
	v_mul_lo_u32 v14, v16, s6
	v_lshlrev_b16 v7, 8, v7
	v_or_b32_e32 v2, v2, v4
	v_lshlrev_b16 v10, 8, v10
	v_cndmask_b32_e64 v3, 0, 1, vcc_lo
	v_cmp_lt_u32_e32 vcc_lo, s3, v13
	v_or_b32_e32 v4, v5, v6
	v_or_b32_e32 v5, v9, v7
	v_sub_nc_u32_e32 v11, v11, v14
	v_or_b32_e32 v6, v8, v10
	v_cndmask_b32_e64 v12, 0, 1, vcc_lo
	v_and_b32_e32 v1, 0xffff, v1
	v_lshlrev_b32_e32 v2, 16, v2
	v_and_b32_e32 v4, 0xffff, v4
	v_lshlrev_b32_e32 v5, 16, v5
	v_lshlrev_b16 v12, 8, v12
	v_and_b32_e32 v6, 0xffff, v6
	v_cmp_lt_u32_e32 vcc_lo, s3, v11
	v_or_b32_e32 v42, v1, v2
	v_or_b32_e32 v40, v4, v5
	;; [unrolled: 1-line block ×3, first 2 shown]
	v_cndmask_b32_e64 v37, 0, 1, vcc_lo
	s_delay_alu instid0(VALU_DEP_2) | instskip(NEXT) | instid1(VALU_DEP_1)
	v_lshlrev_b32_e32 v3, 16, v3
	v_or_b32_e32 v38, v6, v3
	s_addk_i32 s11, 0xd00
	s_cbranch_execz .LBB184_11
	s_branch .LBB184_38
.LBB184_10:
                                        ; implicit-def: $vgpr37
                                        ; implicit-def: $vgpr38
                                        ; implicit-def: $vgpr40
                                        ; implicit-def: $vgpr42
	s_addk_i32 s11, 0xd00
.LBB184_11:
	v_dual_mov_b32 v2, 0 :: v_dual_mov_b32 v1, 0
	s_mov_b32 s0, exec_lo
	v_cmpx_gt_u32_e64 s11, v36
; %bb.12:
	v_add_nc_u32_e32 v1, s5, v30
	v_add_nc_u32_e32 v3, s7, v30
	s_delay_alu instid0(VALU_DEP_2) | instskip(NEXT) | instid1(VALU_DEP_2)
	v_mul_lo_u32 v1, v1, s4
	v_mul_lo_u32 v3, v3, s6
	s_delay_alu instid0(VALU_DEP_1) | instskip(NEXT) | instid1(VALU_DEP_1)
	v_sub_nc_u32_e32 v1, v1, v3
	v_cmp_lt_u32_e32 vcc_lo, s3, v1
	v_cndmask_b32_e64 v1, 0, 1, vcc_lo
; %bb.13:
	s_or_b32 exec_lo, exec_lo, s0
	v_add_nc_u32_e32 v3, 1, v36
	s_mov_b32 s0, exec_lo
	s_delay_alu instid0(VALU_DEP_1)
	v_cmpx_gt_u32_e64 s11, v3
; %bb.14:
	v_add_nc_u32_e32 v2, s5, v31
	v_add_nc_u32_e32 v3, s7, v31
	s_delay_alu instid0(VALU_DEP_2) | instskip(NEXT) | instid1(VALU_DEP_2)
	v_mul_lo_u32 v2, v2, s4
	v_mul_lo_u32 v3, v3, s6
	s_delay_alu instid0(VALU_DEP_1) | instskip(NEXT) | instid1(VALU_DEP_1)
	v_sub_nc_u32_e32 v2, v2, v3
	v_cmp_lt_u32_e32 vcc_lo, s3, v2
	v_cndmask_b32_e64 v2, 0, 1, vcc_lo
; %bb.15:
	s_or_b32 exec_lo, exec_lo, s0
	v_dual_mov_b32 v4, 0 :: v_dual_add_nc_u32 v3, 2, v36
	s_delay_alu instid0(VALU_DEP_1)
	v_cmp_gt_u32_e32 vcc_lo, s11, v3
	v_mov_b32_e32 v3, 0
	s_and_saveexec_b32 s0, vcc_lo
; %bb.16:
	v_add_nc_u32_e32 v3, s5, v28
	v_add_nc_u32_e32 v5, s7, v28
	s_delay_alu instid0(VALU_DEP_2) | instskip(NEXT) | instid1(VALU_DEP_2)
	v_mul_lo_u32 v3, v3, s4
	v_mul_lo_u32 v5, v5, s6
	s_delay_alu instid0(VALU_DEP_1) | instskip(NEXT) | instid1(VALU_DEP_1)
	v_sub_nc_u32_e32 v3, v3, v5
	v_cmp_lt_u32_e32 vcc_lo, s3, v3
	v_cndmask_b32_e64 v3, 0, 1, vcc_lo
; %bb.17:
	s_or_b32 exec_lo, exec_lo, s0
	v_add_nc_u32_e32 v5, 3, v36
	s_mov_b32 s0, exec_lo
	s_delay_alu instid0(VALU_DEP_1)
	v_cmpx_gt_u32_e64 s11, v5
; %bb.18:
	v_add_nc_u32_e32 v4, s5, v29
	v_add_nc_u32_e32 v5, s7, v29
	s_delay_alu instid0(VALU_DEP_2) | instskip(NEXT) | instid1(VALU_DEP_2)
	v_mul_lo_u32 v4, v4, s4
	v_mul_lo_u32 v5, v5, s6
	s_delay_alu instid0(VALU_DEP_1) | instskip(NEXT) | instid1(VALU_DEP_1)
	v_sub_nc_u32_e32 v4, v4, v5
	v_cmp_lt_u32_e32 vcc_lo, s3, v4
	v_cndmask_b32_e64 v4, 0, 1, vcc_lo
; %bb.19:
	s_or_b32 exec_lo, exec_lo, s0
	v_dual_mov_b32 v6, 0 :: v_dual_add_nc_u32 v5, 4, v36
	s_delay_alu instid0(VALU_DEP_1)
	v_cmp_gt_u32_e32 vcc_lo, s11, v5
	v_mov_b32_e32 v5, 0
	s_and_saveexec_b32 s0, vcc_lo
	;; [unrolled: 33-line block ×5, first 2 shown]
; %bb.32:
	v_add_nc_u32_e32 v11, s5, v20
	v_add_nc_u32_e32 v13, s7, v20
	s_delay_alu instid0(VALU_DEP_2) | instskip(NEXT) | instid1(VALU_DEP_2)
	v_mul_lo_u32 v11, v11, s4
	v_mul_lo_u32 v13, v13, s6
	s_delay_alu instid0(VALU_DEP_1) | instskip(NEXT) | instid1(VALU_DEP_1)
	v_sub_nc_u32_e32 v11, v11, v13
	v_cmp_lt_u32_e32 vcc_lo, s3, v11
	v_cndmask_b32_e64 v11, 0, 1, vcc_lo
; %bb.33:
	s_or_b32 exec_lo, exec_lo, s0
	v_add_nc_u32_e32 v13, 11, v36
	s_mov_b32 s0, exec_lo
	s_delay_alu instid0(VALU_DEP_1)
	v_cmpx_gt_u32_e64 s11, v13
; %bb.34:
	v_add_nc_u32_e32 v12, s5, v21
	v_add_nc_u32_e32 v13, s7, v21
	s_delay_alu instid0(VALU_DEP_2) | instskip(NEXT) | instid1(VALU_DEP_2)
	v_mul_lo_u32 v12, v12, s4
	v_mul_lo_u32 v13, v13, s6
	s_delay_alu instid0(VALU_DEP_1) | instskip(NEXT) | instid1(VALU_DEP_1)
	v_sub_nc_u32_e32 v12, v12, v13
	v_cmp_lt_u32_e32 vcc_lo, s3, v12
	v_cndmask_b32_e64 v12, 0, 1, vcc_lo
; %bb.35:
	s_or_b32 exec_lo, exec_lo, s0
	v_add_nc_u32_e32 v13, 12, v36
	v_mov_b32_e32 v37, 0
	s_mov_b32 s0, exec_lo
	s_delay_alu instid0(VALU_DEP_2)
	v_cmpx_gt_u32_e64 s11, v13
; %bb.36:
	v_add_nc_u32_e32 v13, s5, v35
	v_add_nc_u32_e32 v14, s7, v35
	s_delay_alu instid0(VALU_DEP_2) | instskip(NEXT) | instid1(VALU_DEP_2)
	v_mul_lo_u32 v13, v13, s4
	v_mul_lo_u32 v14, v14, s6
	s_delay_alu instid0(VALU_DEP_1) | instskip(NEXT) | instid1(VALU_DEP_1)
	v_sub_nc_u32_e32 v13, v13, v14
	v_cmp_lt_u32_e32 vcc_lo, s3, v13
	v_cndmask_b32_e64 v37, 0, 1, vcc_lo
; %bb.37:
	s_or_b32 exec_lo, exec_lo, s0
	v_lshlrev_b16 v2, 8, v2
	v_lshlrev_b16 v4, 8, v4
	;; [unrolled: 1-line block ×5, first 2 shown]
	v_or_b32_e32 v1, v1, v2
	v_lshlrev_b16 v2, 8, v12
	v_or_b32_e32 v3, v3, v4
	v_or_b32_e32 v4, v5, v6
	;; [unrolled: 1-line block ×5, first 2 shown]
	v_and_b32_e32 v1, 0xffff, v1
	v_lshlrev_b32_e32 v3, 16, v3
	v_and_b32_e32 v4, 0xffff, v4
	v_lshlrev_b32_e32 v5, 16, v5
	;; [unrolled: 2-line block ×3, first 2 shown]
	v_or_b32_e32 v42, v1, v3
	s_delay_alu instid0(VALU_DEP_4) | instskip(NEXT) | instid1(VALU_DEP_3)
	v_or_b32_e32 v40, v4, v5
	v_or_b32_e32 v38, v6, v2
.LBB184_38:
	s_delay_alu instid0(VALU_DEP_3)
	v_and_b32_e32 v44, 0xff, v42
	v_bfe_u32 v45, v42, 8, 8
	v_bfe_u32 v46, v42, 16, 8
	v_lshrrev_b32_e32 v43, 24, v42
	v_and_b32_e32 v47, 0xff, v40
	v_bfe_u32 v48, v40, 8, 8
	v_bfe_u32 v49, v40, 16, 8
	v_add3_u32 v1, v45, v44, v46
	v_lshrrev_b32_e32 v41, 24, v40
	v_and_b32_e32 v50, 0xff, v38
	v_bfe_u32 v51, v38, 8, 8
	v_mbcnt_lo_u32_b32 v53, -1, 0
	v_add3_u32 v1, v1, v43, v47
	v_bfe_u32 v52, v38, 16, 8
	v_lshrrev_b32_e32 v39, 24, v38
	v_and_b32_e32 v2, 0xff, v37
	v_and_b32_e32 v3, 15, v53
	v_add3_u32 v1, v1, v48, v49
	v_or_b32_e32 v4, 31, v0
	v_and_b32_e32 v5, 16, v53
	v_lshrrev_b32_e32 v54, 5, v0
	v_cmp_eq_u32_e64 s6, 0, v3
	v_add3_u32 v1, v1, v41, v50
	v_cmp_lt_u32_e64 s5, 1, v3
	v_cmp_lt_u32_e64 s4, 3, v3
	;; [unrolled: 1-line block ×3, first 2 shown]
	v_cmp_eq_u32_e64 s1, 0, v5
	v_add3_u32 v1, v1, v51, v52
	v_cmp_eq_u32_e64 s0, v4, v0
	s_cmp_lg_u32 s20, 0
	s_mov_b32 s7, -1
	s_delay_alu instid0(VALU_DEP_2)
	v_add3_u32 v55, v1, v39, v2
	s_cbranch_scc0 .LBB184_64
; %bb.39:
	s_delay_alu instid0(VALU_DEP_1) | instskip(NEXT) | instid1(VALU_DEP_1)
	v_mov_b32_dpp v1, v55 row_shr:1 row_mask:0xf bank_mask:0xf
	v_cndmask_b32_e64 v1, v1, 0, s6
	s_delay_alu instid0(VALU_DEP_1) | instskip(NEXT) | instid1(VALU_DEP_1)
	v_add_nc_u32_e32 v1, v1, v55
	v_mov_b32_dpp v2, v1 row_shr:2 row_mask:0xf bank_mask:0xf
	s_delay_alu instid0(VALU_DEP_1) | instskip(NEXT) | instid1(VALU_DEP_1)
	v_cndmask_b32_e64 v2, 0, v2, s5
	v_add_nc_u32_e32 v1, v1, v2
	s_delay_alu instid0(VALU_DEP_1) | instskip(NEXT) | instid1(VALU_DEP_1)
	v_mov_b32_dpp v2, v1 row_shr:4 row_mask:0xf bank_mask:0xf
	v_cndmask_b32_e64 v2, 0, v2, s4
	s_delay_alu instid0(VALU_DEP_1) | instskip(NEXT) | instid1(VALU_DEP_1)
	v_add_nc_u32_e32 v1, v1, v2
	v_mov_b32_dpp v2, v1 row_shr:8 row_mask:0xf bank_mask:0xf
	s_delay_alu instid0(VALU_DEP_1) | instskip(NEXT) | instid1(VALU_DEP_1)
	v_cndmask_b32_e64 v2, 0, v2, s3
	v_add_nc_u32_e32 v1, v1, v2
	ds_swizzle_b32 v2, v1 offset:swizzle(BROADCAST,32,15)
	s_waitcnt lgkmcnt(0)
	v_cndmask_b32_e64 v2, v2, 0, s1
	s_delay_alu instid0(VALU_DEP_1)
	v_add_nc_u32_e32 v1, v1, v2
	s_and_saveexec_b32 s7, s0
	s_cbranch_execz .LBB184_41
; %bb.40:
	v_lshlrev_b32_e32 v2, 2, v54
	ds_store_b32 v2, v1
.LBB184_41:
	s_or_b32 exec_lo, exec_lo, s7
	s_delay_alu instid0(SALU_CYCLE_1)
	s_mov_b32 s7, exec_lo
	s_waitcnt lgkmcnt(0)
	s_barrier
	buffer_gl0_inv
	v_cmpx_gt_u32_e32 8, v0
	s_cbranch_execz .LBB184_43
; %bb.42:
	ds_load_b32 v2, v33
	s_waitcnt lgkmcnt(0)
	v_mov_b32_dpp v4, v2 row_shr:1 row_mask:0xf bank_mask:0xf
	v_and_b32_e32 v3, 7, v53
	s_delay_alu instid0(VALU_DEP_1) | instskip(NEXT) | instid1(VALU_DEP_3)
	v_cmp_ne_u32_e32 vcc_lo, 0, v3
	v_cndmask_b32_e32 v4, 0, v4, vcc_lo
	v_cmp_lt_u32_e32 vcc_lo, 1, v3
	s_delay_alu instid0(VALU_DEP_2) | instskip(NEXT) | instid1(VALU_DEP_1)
	v_add_nc_u32_e32 v2, v4, v2
	v_mov_b32_dpp v4, v2 row_shr:2 row_mask:0xf bank_mask:0xf
	s_delay_alu instid0(VALU_DEP_1) | instskip(SKIP_1) | instid1(VALU_DEP_2)
	v_cndmask_b32_e32 v4, 0, v4, vcc_lo
	v_cmp_lt_u32_e32 vcc_lo, 3, v3
	v_add_nc_u32_e32 v2, v2, v4
	s_delay_alu instid0(VALU_DEP_1) | instskip(NEXT) | instid1(VALU_DEP_1)
	v_mov_b32_dpp v4, v2 row_shr:4 row_mask:0xf bank_mask:0xf
	v_cndmask_b32_e32 v3, 0, v4, vcc_lo
	s_delay_alu instid0(VALU_DEP_1)
	v_add_nc_u32_e32 v2, v2, v3
	ds_store_b32 v33, v2
.LBB184_43:
	s_or_b32 exec_lo, exec_lo, s7
	v_cmp_gt_u32_e32 vcc_lo, 32, v0
	s_mov_b32 s21, exec_lo
	s_waitcnt lgkmcnt(0)
	s_barrier
	buffer_gl0_inv
                                        ; implicit-def: $vgpr8
	v_cmpx_lt_u32_e32 31, v0
	s_cbranch_execz .LBB184_45
; %bb.44:
	v_lshl_add_u32 v2, v54, 2, -4
	ds_load_b32 v8, v2
	s_waitcnt lgkmcnt(0)
	v_add_nc_u32_e32 v1, v8, v1
.LBB184_45:
	s_or_b32 exec_lo, exec_lo, s21
	v_add_nc_u32_e32 v2, -1, v53
	s_delay_alu instid0(VALU_DEP_1) | instskip(NEXT) | instid1(VALU_DEP_1)
	v_cmp_gt_i32_e64 s7, 0, v2
	v_cndmask_b32_e64 v2, v2, v53, s7
	v_cmp_eq_u32_e64 s7, 0, v53
	s_delay_alu instid0(VALU_DEP_2)
	v_lshlrev_b32_e32 v2, 2, v2
	ds_bpermute_b32 v9, v2, v1
	s_and_saveexec_b32 s21, vcc_lo
	s_cbranch_execz .LBB184_63
; %bb.46:
	v_mov_b32_e32 v4, 0
	ds_load_b32 v1, v4 offset:28
	s_and_saveexec_b32 s22, s7
	s_cbranch_execz .LBB184_48
; %bb.47:
	s_add_i32 s24, s20, 32
	s_mov_b32 s25, 0
	v_mov_b32_e32 v2, 1
	s_lshl_b64 s[24:25], s[24:25], 3
	s_delay_alu instid0(SALU_CYCLE_1)
	s_add_u32 s24, s18, s24
	s_addc_u32 s25, s19, s25
	s_waitcnt lgkmcnt(0)
	global_store_b64 v4, v[1:2], s[24:25]
.LBB184_48:
	s_or_b32 exec_lo, exec_lo, s22
	v_xad_u32 v2, v53, -1, s20
	s_mov_b32 s23, 0
	s_mov_b32 s22, exec_lo
	s_delay_alu instid0(VALU_DEP_1) | instskip(NEXT) | instid1(VALU_DEP_1)
	v_add_nc_u32_e32 v3, 32, v2
	v_lshlrev_b64 v[3:4], 3, v[3:4]
	s_delay_alu instid0(VALU_DEP_1) | instskip(NEXT) | instid1(VALU_DEP_2)
	v_add_co_u32 v6, vcc_lo, s18, v3
	v_add_co_ci_u32_e32 v7, vcc_lo, s19, v4, vcc_lo
	global_load_b64 v[4:5], v[6:7], off glc
	s_waitcnt vmcnt(0)
	v_and_b32_e32 v3, 0xff, v5
	s_delay_alu instid0(VALU_DEP_1)
	v_cmpx_eq_u16_e32 0, v3
	s_cbranch_execz .LBB184_51
.LBB184_49:                             ; =>This Inner Loop Header: Depth=1
	global_load_b64 v[4:5], v[6:7], off glc
	s_waitcnt vmcnt(0)
	v_and_b32_e32 v3, 0xff, v5
	s_delay_alu instid0(VALU_DEP_1) | instskip(SKIP_1) | instid1(SALU_CYCLE_1)
	v_cmp_ne_u16_e32 vcc_lo, 0, v3
	s_or_b32 s23, vcc_lo, s23
	s_and_not1_b32 exec_lo, exec_lo, s23
	s_cbranch_execnz .LBB184_49
; %bb.50:
	s_or_b32 exec_lo, exec_lo, s23
.LBB184_51:
	s_delay_alu instid0(SALU_CYCLE_1)
	s_or_b32 exec_lo, exec_lo, s22
	v_cmp_ne_u32_e32 vcc_lo, 31, v53
	v_lshlrev_b32_e64 v11, v53, -1
	v_add_nc_u32_e32 v13, 2, v53
	v_add_nc_u32_e32 v15, 4, v53
	;; [unrolled: 1-line block ×3, first 2 shown]
	v_add_co_ci_u32_e32 v3, vcc_lo, 0, v53, vcc_lo
	v_add_nc_u32_e32 v58, 16, v53
	s_delay_alu instid0(VALU_DEP_2) | instskip(SKIP_2) | instid1(VALU_DEP_1)
	v_lshlrev_b32_e32 v10, 2, v3
	ds_bpermute_b32 v6, v10, v4
	v_and_b32_e32 v3, 0xff, v5
	v_cmp_eq_u16_e32 vcc_lo, 2, v3
	v_and_or_b32 v3, vcc_lo, v11, 0x80000000
	v_cmp_gt_u32_e32 vcc_lo, 30, v53
	s_delay_alu instid0(VALU_DEP_2) | instskip(SKIP_1) | instid1(VALU_DEP_2)
	v_ctz_i32_b32_e32 v3, v3
	v_cndmask_b32_e64 v7, 0, 1, vcc_lo
	v_cmp_lt_u32_e32 vcc_lo, v53, v3
	s_waitcnt lgkmcnt(0)
	s_delay_alu instid0(VALU_DEP_2) | instskip(NEXT) | instid1(VALU_DEP_1)
	v_dual_cndmask_b32 v6, 0, v6 :: v_dual_lshlrev_b32 v7, 1, v7
	v_add_lshl_u32 v12, v7, v53, 2
	v_cmp_gt_u32_e32 vcc_lo, 28, v53
	s_delay_alu instid0(VALU_DEP_3) | instskip(SKIP_4) | instid1(VALU_DEP_1)
	v_add_nc_u32_e32 v4, v6, v4
	v_cndmask_b32_e64 v7, 0, 1, vcc_lo
	v_cmp_le_u32_e32 vcc_lo, v13, v3
	ds_bpermute_b32 v6, v12, v4
	v_lshlrev_b32_e32 v7, 2, v7
	v_add_lshl_u32 v14, v7, v53, 2
	s_waitcnt lgkmcnt(0)
	v_cndmask_b32_e32 v6, 0, v6, vcc_lo
	v_cmp_gt_u32_e32 vcc_lo, 24, v53
	s_delay_alu instid0(VALU_DEP_2) | instskip(SKIP_4) | instid1(VALU_DEP_1)
	v_add_nc_u32_e32 v4, v4, v6
	v_cndmask_b32_e64 v7, 0, 1, vcc_lo
	v_cmp_le_u32_e32 vcc_lo, v15, v3
	ds_bpermute_b32 v6, v14, v4
	v_lshlrev_b32_e32 v7, 3, v7
	v_add_lshl_u32 v17, v7, v53, 2
	s_waitcnt lgkmcnt(0)
	v_cndmask_b32_e32 v6, 0, v6, vcc_lo
	v_cmp_gt_u32_e32 vcc_lo, 16, v53
	s_delay_alu instid0(VALU_DEP_2) | instskip(SKIP_4) | instid1(VALU_DEP_1)
	v_add_nc_u32_e32 v4, v4, v6
	v_cndmask_b32_e64 v7, 0, 1, vcc_lo
	v_cmp_le_u32_e32 vcc_lo, v56, v3
	ds_bpermute_b32 v6, v17, v4
	v_lshlrev_b32_e32 v7, 4, v7
	v_add_lshl_u32 v57, v7, v53, 2
	s_waitcnt lgkmcnt(0)
	v_cndmask_b32_e32 v6, 0, v6, vcc_lo
	v_cmp_le_u32_e32 vcc_lo, v58, v3
	s_delay_alu instid0(VALU_DEP_2) | instskip(SKIP_3) | instid1(VALU_DEP_1)
	v_add_nc_u32_e32 v4, v4, v6
	ds_bpermute_b32 v6, v57, v4
	s_waitcnt lgkmcnt(0)
	v_cndmask_b32_e32 v3, 0, v6, vcc_lo
	v_dual_mov_b32 v3, 0 :: v_dual_add_nc_u32 v4, v4, v3
	s_branch .LBB184_53
.LBB184_52:                             ;   in Loop: Header=BB184_53 Depth=1
	s_or_b32 exec_lo, exec_lo, s22
	ds_bpermute_b32 v7, v10, v4
	v_and_b32_e32 v6, 0xff, v5
	v_subrev_nc_u32_e32 v2, 32, v2
	s_delay_alu instid0(VALU_DEP_2) | instskip(SKIP_1) | instid1(VALU_DEP_1)
	v_cmp_eq_u16_e32 vcc_lo, 2, v6
	v_and_or_b32 v6, vcc_lo, v11, 0x80000000
	v_ctz_i32_b32_e32 v6, v6
	s_delay_alu instid0(VALU_DEP_1) | instskip(SKIP_3) | instid1(VALU_DEP_2)
	v_cmp_lt_u32_e32 vcc_lo, v53, v6
	s_waitcnt lgkmcnt(0)
	v_cndmask_b32_e32 v7, 0, v7, vcc_lo
	v_cmp_le_u32_e32 vcc_lo, v13, v6
	v_add_nc_u32_e32 v4, v7, v4
	ds_bpermute_b32 v7, v12, v4
	s_waitcnt lgkmcnt(0)
	v_cndmask_b32_e32 v7, 0, v7, vcc_lo
	v_cmp_le_u32_e32 vcc_lo, v15, v6
	s_delay_alu instid0(VALU_DEP_2) | instskip(SKIP_4) | instid1(VALU_DEP_2)
	v_add_nc_u32_e32 v4, v4, v7
	ds_bpermute_b32 v7, v14, v4
	s_waitcnt lgkmcnt(0)
	v_cndmask_b32_e32 v7, 0, v7, vcc_lo
	v_cmp_le_u32_e32 vcc_lo, v56, v6
	v_add_nc_u32_e32 v4, v4, v7
	ds_bpermute_b32 v7, v17, v4
	s_waitcnt lgkmcnt(0)
	v_cndmask_b32_e32 v7, 0, v7, vcc_lo
	v_cmp_le_u32_e32 vcc_lo, v58, v6
	s_delay_alu instid0(VALU_DEP_2) | instskip(SKIP_3) | instid1(VALU_DEP_1)
	v_add_nc_u32_e32 v4, v4, v7
	ds_bpermute_b32 v7, v57, v4
	s_waitcnt lgkmcnt(0)
	v_cndmask_b32_e32 v6, 0, v7, vcc_lo
	v_add3_u32 v4, v6, v16, v4
.LBB184_53:                             ; =>This Loop Header: Depth=1
                                        ;     Child Loop BB184_56 Depth 2
	s_delay_alu instid0(VALU_DEP_1) | instskip(NEXT) | instid1(VALU_DEP_1)
	v_dual_mov_b32 v16, v4 :: v_dual_and_b32 v5, 0xff, v5
	v_cmp_ne_u16_e32 vcc_lo, 2, v5
	v_cndmask_b32_e64 v5, 0, 1, vcc_lo
	;;#ASMSTART
	;;#ASMEND
	s_delay_alu instid0(VALU_DEP_1)
	v_cmp_ne_u32_e32 vcc_lo, 0, v5
	s_cmp_lg_u32 vcc_lo, exec_lo
	s_cbranch_scc1 .LBB184_58
; %bb.54:                               ;   in Loop: Header=BB184_53 Depth=1
	v_lshlrev_b64 v[4:5], 3, v[2:3]
	s_mov_b32 s22, exec_lo
	s_delay_alu instid0(VALU_DEP_1) | instskip(NEXT) | instid1(VALU_DEP_2)
	v_add_co_u32 v6, vcc_lo, s18, v4
	v_add_co_ci_u32_e32 v7, vcc_lo, s19, v5, vcc_lo
	global_load_b64 v[4:5], v[6:7], off glc
	s_waitcnt vmcnt(0)
	v_and_b32_e32 v59, 0xff, v5
	s_delay_alu instid0(VALU_DEP_1)
	v_cmpx_eq_u16_e32 0, v59
	s_cbranch_execz .LBB184_52
; %bb.55:                               ;   in Loop: Header=BB184_53 Depth=1
	s_mov_b32 s23, 0
.LBB184_56:                             ;   Parent Loop BB184_53 Depth=1
                                        ; =>  This Inner Loop Header: Depth=2
	global_load_b64 v[4:5], v[6:7], off glc
	s_waitcnt vmcnt(0)
	v_and_b32_e32 v59, 0xff, v5
	s_delay_alu instid0(VALU_DEP_1) | instskip(SKIP_1) | instid1(SALU_CYCLE_1)
	v_cmp_ne_u16_e32 vcc_lo, 0, v59
	s_or_b32 s23, vcc_lo, s23
	s_and_not1_b32 exec_lo, exec_lo, s23
	s_cbranch_execnz .LBB184_56
; %bb.57:                               ;   in Loop: Header=BB184_53 Depth=1
	s_or_b32 exec_lo, exec_lo, s23
	s_branch .LBB184_52
.LBB184_58:                             ;   in Loop: Header=BB184_53 Depth=1
                                        ; implicit-def: $vgpr4
                                        ; implicit-def: $vgpr5
	s_cbranch_execz .LBB184_53
; %bb.59:
	s_and_saveexec_b32 s22, s7
	s_cbranch_execz .LBB184_61
; %bb.60:
	s_add_i32 s24, s20, 32
	s_mov_b32 s25, 0
	v_dual_mov_b32 v3, 2 :: v_dual_add_nc_u32 v2, v16, v1
	s_lshl_b64 s[24:25], s[24:25], 3
	v_mov_b32_e32 v4, 0
	v_add_nc_u32_e64 v5, 0x3400, 0
	s_add_u32 s24, s18, s24
	s_addc_u32 s25, s19, s25
	global_store_b64 v4, v[2:3], s[24:25]
	ds_store_2addr_b32 v5, v1, v16 offset1:2
.LBB184_61:
	s_or_b32 exec_lo, exec_lo, s22
	s_delay_alu instid0(SALU_CYCLE_1)
	s_and_b32 exec_lo, exec_lo, s2
	s_cbranch_execz .LBB184_63
; %bb.62:
	v_mov_b32_e32 v1, 0
	ds_store_b32 v1, v16 offset:28
.LBB184_63:
	s_or_b32 exec_lo, exec_lo, s21
	v_mov_b32_e32 v1, 0
	s_waitcnt lgkmcnt(0)
	s_waitcnt_vscnt null, 0x0
	s_barrier
	buffer_gl0_inv
	v_cndmask_b32_e64 v2, v9, v8, s7
	ds_load_b32 v1, v1 offset:28
	v_add_nc_u32_e64 v11, 0x3400, 0
	s_waitcnt lgkmcnt(0)
	s_barrier
	v_cndmask_b32_e64 v2, v2, 0, s2
	buffer_gl0_inv
	ds_load_2addr_b32 v[16:17], v11 offset1:2
	v_add_nc_u32_e32 v1, v1, v2
	s_delay_alu instid0(VALU_DEP_1) | instskip(NEXT) | instid1(VALU_DEP_1)
	v_add_nc_u32_e32 v2, v1, v44
	v_add_nc_u32_e32 v3, v2, v45
	s_delay_alu instid0(VALU_DEP_1) | instskip(NEXT) | instid1(VALU_DEP_1)
	v_add_nc_u32_e32 v4, v3, v46
	;; [unrolled: 3-line block ×6, first 2 shown]
	v_add_nc_u32_e32 v13, v12, v39
	s_branch .LBB184_74
.LBB184_64:
                                        ; implicit-def: $vgpr17
                                        ; implicit-def: $vgpr1_vgpr2_vgpr3_vgpr4_vgpr5_vgpr6_vgpr7_vgpr8_vgpr9_vgpr10_vgpr11_vgpr12_vgpr13_vgpr14_vgpr15_vgpr16
	s_and_b32 vcc_lo, exec_lo, s7
	s_cbranch_vccz .LBB184_74
; %bb.65:
	s_delay_alu instid0(VALU_DEP_1) | instskip(NEXT) | instid1(VALU_DEP_1)
	v_mov_b32_dpp v1, v55 row_shr:1 row_mask:0xf bank_mask:0xf
	v_cndmask_b32_e64 v1, v1, 0, s6
	s_delay_alu instid0(VALU_DEP_1) | instskip(NEXT) | instid1(VALU_DEP_1)
	v_add_nc_u32_e32 v1, v1, v55
	v_mov_b32_dpp v2, v1 row_shr:2 row_mask:0xf bank_mask:0xf
	s_delay_alu instid0(VALU_DEP_1) | instskip(NEXT) | instid1(VALU_DEP_1)
	v_cndmask_b32_e64 v2, 0, v2, s5
	v_add_nc_u32_e32 v1, v1, v2
	s_delay_alu instid0(VALU_DEP_1) | instskip(NEXT) | instid1(VALU_DEP_1)
	v_mov_b32_dpp v2, v1 row_shr:4 row_mask:0xf bank_mask:0xf
	v_cndmask_b32_e64 v2, 0, v2, s4
	s_delay_alu instid0(VALU_DEP_1) | instskip(NEXT) | instid1(VALU_DEP_1)
	v_add_nc_u32_e32 v1, v1, v2
	v_mov_b32_dpp v2, v1 row_shr:8 row_mask:0xf bank_mask:0xf
	s_delay_alu instid0(VALU_DEP_1) | instskip(NEXT) | instid1(VALU_DEP_1)
	v_cndmask_b32_e64 v2, 0, v2, s3
	v_add_nc_u32_e32 v1, v1, v2
	ds_swizzle_b32 v2, v1 offset:swizzle(BROADCAST,32,15)
	s_waitcnt lgkmcnt(0)
	v_cndmask_b32_e64 v2, v2, 0, s1
	s_delay_alu instid0(VALU_DEP_1)
	v_add_nc_u32_e32 v1, v1, v2
	s_and_saveexec_b32 s1, s0
	s_cbranch_execz .LBB184_67
; %bb.66:
	v_lshlrev_b32_e32 v2, 2, v54
	ds_store_b32 v2, v1
.LBB184_67:
	s_or_b32 exec_lo, exec_lo, s1
	s_delay_alu instid0(SALU_CYCLE_1)
	s_mov_b32 s0, exec_lo
	s_waitcnt lgkmcnt(0)
	s_barrier
	buffer_gl0_inv
	v_cmpx_gt_u32_e32 8, v0
	s_cbranch_execz .LBB184_69
; %bb.68:
	ds_load_b32 v2, v33
	s_waitcnt lgkmcnt(0)
	v_mov_b32_dpp v4, v2 row_shr:1 row_mask:0xf bank_mask:0xf
	v_and_b32_e32 v3, 7, v53
	s_delay_alu instid0(VALU_DEP_1) | instskip(NEXT) | instid1(VALU_DEP_3)
	v_cmp_ne_u32_e32 vcc_lo, 0, v3
	v_cndmask_b32_e32 v4, 0, v4, vcc_lo
	v_cmp_lt_u32_e32 vcc_lo, 1, v3
	s_delay_alu instid0(VALU_DEP_2) | instskip(NEXT) | instid1(VALU_DEP_1)
	v_add_nc_u32_e32 v2, v4, v2
	v_mov_b32_dpp v4, v2 row_shr:2 row_mask:0xf bank_mask:0xf
	s_delay_alu instid0(VALU_DEP_1) | instskip(SKIP_1) | instid1(VALU_DEP_2)
	v_cndmask_b32_e32 v4, 0, v4, vcc_lo
	v_cmp_lt_u32_e32 vcc_lo, 3, v3
	v_add_nc_u32_e32 v2, v2, v4
	s_delay_alu instid0(VALU_DEP_1) | instskip(NEXT) | instid1(VALU_DEP_1)
	v_mov_b32_dpp v4, v2 row_shr:4 row_mask:0xf bank_mask:0xf
	v_cndmask_b32_e32 v3, 0, v4, vcc_lo
	s_delay_alu instid0(VALU_DEP_1)
	v_add_nc_u32_e32 v2, v2, v3
	ds_store_b32 v33, v2
.LBB184_69:
	s_or_b32 exec_lo, exec_lo, s0
	v_dual_mov_b32 v3, 0 :: v_dual_mov_b32 v2, 0
	s_mov_b32 s0, exec_lo
	s_waitcnt lgkmcnt(0)
	s_barrier
	buffer_gl0_inv
	v_cmpx_lt_u32_e32 31, v0
	s_cbranch_execz .LBB184_71
; %bb.70:
	v_lshl_add_u32 v2, v54, 2, -4
	ds_load_b32 v2, v2
.LBB184_71:
	s_or_b32 exec_lo, exec_lo, s0
	v_add_nc_u32_e32 v4, -1, v53
	s_waitcnt lgkmcnt(0)
	v_add_nc_u32_e32 v1, v2, v1
	ds_load_b32 v16, v3 offset:28
	v_cmp_gt_i32_e32 vcc_lo, 0, v4
	v_cndmask_b32_e32 v4, v4, v53, vcc_lo
	s_delay_alu instid0(VALU_DEP_1)
	v_lshlrev_b32_e32 v4, 2, v4
	ds_bpermute_b32 v1, v4, v1
	s_and_saveexec_b32 s0, s2
	s_cbranch_execz .LBB184_73
; %bb.72:
	v_mov_b32_e32 v3, 0
	v_mov_b32_e32 v17, 2
	s_waitcnt lgkmcnt(1)
	global_store_b64 v3, v[16:17], s[18:19] offset:256
.LBB184_73:
	s_or_b32 exec_lo, exec_lo, s0
	v_cmp_eq_u32_e32 vcc_lo, 0, v53
	s_waitcnt lgkmcnt(0)
	s_waitcnt_vscnt null, 0x0
	s_barrier
	buffer_gl0_inv
	v_mov_b32_e32 v17, 0
	v_cndmask_b32_e32 v1, v1, v2, vcc_lo
	s_delay_alu instid0(VALU_DEP_1) | instskip(NEXT) | instid1(VALU_DEP_1)
	v_cndmask_b32_e64 v1, v1, 0, s2
	v_add_nc_u32_e32 v2, v1, v44
	s_delay_alu instid0(VALU_DEP_1) | instskip(NEXT) | instid1(VALU_DEP_1)
	v_add_nc_u32_e32 v3, v2, v45
	v_add_nc_u32_e32 v4, v3, v46
	s_delay_alu instid0(VALU_DEP_1) | instskip(NEXT) | instid1(VALU_DEP_1)
	v_add_nc_u32_e32 v5, v4, v43
	;; [unrolled: 3-line block ×5, first 2 shown]
	v_add_nc_u32_e32 v12, v11, v52
	s_delay_alu instid0(VALU_DEP_1)
	v_add_nc_u32_e32 v13, v12, v39
.LBB184_74:
	s_waitcnt lgkmcnt(0)
	v_sub_nc_u32_e32 v1, v1, v17
	v_sub_nc_u32_e32 v2, v2, v17
	v_add_nc_u32_e32 v36, v16, v36
	v_lshrrev_b32_e32 v47, 8, v42
	v_lshrrev_b32_e32 v46, 16, v42
	v_sub_nc_u32_e32 v4, v4, v17
	v_sub_nc_u32_e32 v3, v3, v17
	v_sub_nc_u32_e32 v48, v36, v1
	v_and_b32_e32 v42, 1, v42
	v_and_b32_e32 v47, 1, v47
	;; [unrolled: 1-line block ×3, first 2 shown]
	v_lshrrev_b32_e32 v45, 8, v40
	v_lshrrev_b32_e32 v44, 16, v40
	v_cmp_eq_u32_e32 vcc_lo, 1, v42
	v_and_b32_e32 v42, 1, v46
	v_sub_nc_u32_e32 v46, v36, v2
	v_lshrrev_b32_e32 v15, 8, v38
	v_lshrrev_b32_e32 v14, 16, v38
	v_cndmask_b32_e32 v1, v48, v1, vcc_lo
	v_cmp_eq_u32_e32 vcc_lo, 1, v47
	v_add_nc_u32_e32 v46, 1, v46
	s_delay_alu instid0(VALU_DEP_3)
	v_lshlrev_b32_e32 v1, 2, v1
	ds_store_b32 v1, v30
	v_cndmask_b32_e32 v1, v46, v2, vcc_lo
	v_sub_nc_u32_e32 v48, v36, v3
	v_sub_nc_u32_e32 v49, v36, v4
	v_cmp_eq_u32_e32 vcc_lo, 1, v42
	v_or_b32_e32 v30, 0x300, v0
	v_lshlrev_b32_e32 v1, 2, v1
	v_add_nc_u32_e32 v48, 2, v48
	v_add_nc_u32_e32 v49, 3, v49
	ds_store_b32 v1, v31
	v_cndmask_b32_e32 v2, v48, v3, vcc_lo
	v_cmp_eq_u32_e32 vcc_lo, 1, v43
	v_or_b32_e32 v31, 0x200, v0
	s_delay_alu instid0(VALU_DEP_3) | instskip(SKIP_2) | instid1(VALU_DEP_3)
	v_dual_cndmask_b32 v3, v49, v4 :: v_dual_lshlrev_b32 v2, 2, v2
	v_sub_nc_u32_e32 v4, v5, v17
	v_sub_nc_u32_e32 v5, v6, v17
	v_lshlrev_b32_e32 v3, 2, v3
	s_delay_alu instid0(VALU_DEP_3) | instskip(NEXT) | instid1(VALU_DEP_3)
	v_sub_nc_u32_e32 v1, v36, v4
	v_sub_nc_u32_e32 v6, v36, v5
	ds_store_b32 v2, v28
	ds_store_b32 v3, v29
	v_and_b32_e32 v2, 1, v40
	v_add_nc_u32_e32 v1, 4, v1
	v_add_nc_u32_e32 v3, 5, v6
	v_sub_nc_u32_e32 v6, v7, v17
	v_and_b32_e32 v7, 1, v45
	v_cmp_eq_u32_e32 vcc_lo, 1, v2
	v_sub_nc_u32_e32 v2, v8, v17
	v_and_b32_e32 v8, 1, v41
	v_or_b32_e32 v29, 0x400, v0
	v_or_b32_e32 v28, 0x500, v0
	v_cndmask_b32_e32 v1, v1, v4, vcc_lo
	v_sub_nc_u32_e32 v4, v36, v6
	v_cmp_eq_u32_e32 vcc_lo, 1, v7
	v_and_b32_e32 v7, 1, v44
	s_delay_alu instid0(VALU_DEP_4) | instskip(NEXT) | instid1(VALU_DEP_4)
	v_lshlrev_b32_e32 v1, 2, v1
	v_dual_cndmask_b32 v3, v3, v5 :: v_dual_add_nc_u32 v4, 6, v4
	v_sub_nc_u32_e32 v5, v36, v2
	s_delay_alu instid0(VALU_DEP_4) | instskip(SKIP_2) | instid1(VALU_DEP_4)
	v_cmp_eq_u32_e32 vcc_lo, 1, v7
	v_sub_nc_u32_e32 v7, v13, v17
	v_add_co_u32 v13, s0, s16, v32
	v_dual_cndmask_b32 v4, v4, v6 :: v_dual_add_nc_u32 v5, 7, v5
	v_cmp_eq_u32_e32 vcc_lo, 1, v8
	v_sub_nc_u32_e32 v6, v9, v17
	v_lshlrev_b32_e32 v3, 2, v3
	ds_store_b32 v1, v26
	ds_store_b32 v3, v27
	v_cndmask_b32_e32 v2, v5, v2, vcc_lo
	v_sub_nc_u32_e32 v1, v36, v6
	v_lshlrev_b32_e32 v3, 2, v4
	v_and_b32_e32 v5, 1, v38
	v_sub_nc_u32_e32 v4, v10, v17
	v_lshlrev_b32_e32 v2, 2, v2
	v_add_nc_u32_e32 v1, 8, v1
	ds_store_b32 v3, v24
	ds_store_b32 v2, v25
	v_cmp_eq_u32_e32 vcc_lo, 1, v5
	v_sub_nc_u32_e32 v3, v11, v17
	v_sub_nc_u32_e32 v2, v36, v4
	;; [unrolled: 1-line block ×3, first 2 shown]
	v_dual_cndmask_b32 v1, v1, v6 :: v_dual_and_b32 v10, 1, v39
	v_and_b32_e32 v6, 1, v15
	v_sub_nc_u32_e32 v8, v36, v3
	v_add_nc_u32_e32 v2, 9, v2
	v_sub_nc_u32_e32 v9, v36, v5
	v_and_b32_e32 v11, 1, v37
	v_cmp_eq_u32_e32 vcc_lo, 1, v6
	v_add_nc_u32_e32 v6, 10, v8
	v_and_b32_e32 v8, 1, v14
	v_add_nc_u32_e32 v9, 11, v9
	v_dual_cndmask_b32 v2, v2, v4 :: v_dual_lshlrev_b32 v1, 2, v1
	v_sub_nc_u32_e32 v4, v36, v7
	s_delay_alu instid0(VALU_DEP_4) | instskip(SKIP_1) | instid1(VALU_DEP_4)
	v_cmp_eq_u32_e32 vcc_lo, 1, v8
	v_add_co_ci_u32_e64 v14, null, s17, 0, s0
	v_lshlrev_b32_e32 v2, 2, v2
	s_delay_alu instid0(VALU_DEP_4)
	v_dual_cndmask_b32 v3, v6, v3 :: v_dual_add_nc_u32 v4, 12, v4
	v_cmp_eq_u32_e32 vcc_lo, 1, v10
	v_or_b32_e32 v27, 0x600, v0
	v_or_b32_e32 v26, 0x700, v0
	v_or_b32_e32 v25, 0x800, v0
	v_lshlrev_b32_e32 v3, 2, v3
	v_cndmask_b32_e32 v5, v9, v5, vcc_lo
	v_cmp_eq_u32_e32 vcc_lo, 1, v11
	v_or_b32_e32 v24, 0x900, v0
	s_delay_alu instid0(VALU_DEP_3) | instskip(SKIP_2) | instid1(VALU_DEP_3)
	v_dual_cndmask_b32 v4, v4, v7 :: v_dual_lshlrev_b32 v5, 2, v5
	v_sub_co_u32 v13, vcc_lo, s14, v13
	v_sub_co_ci_u32_e32 v14, vcc_lo, s15, v14, vcc_lo
	v_lshlrev_b32_e32 v4, 2, v4
	ds_store_b32 v1, v22
	ds_store_b32 v2, v23
	;; [unrolled: 1-line block ×5, first 2 shown]
	s_waitcnt lgkmcnt(0)
	s_barrier
	buffer_gl0_inv
	ds_load_2addr_stride64_b32 v[11:12], v33 offset1:4
	ds_load_2addr_stride64_b32 v[9:10], v33 offset0:8 offset1:12
	ds_load_2addr_stride64_b32 v[7:8], v33 offset0:16 offset1:20
	;; [unrolled: 1-line block ×5, first 2 shown]
	ds_load_b32 v20, v33 offset:12288
	v_add_co_u32 v15, vcc_lo, v18, v17
	v_add_co_ci_u32_e32 v17, vcc_lo, 0, v19, vcc_lo
	v_add_co_u32 v13, vcc_lo, v13, v16
	v_add_co_ci_u32_e32 v14, vcc_lo, 0, v14, vcc_lo
	v_cmp_ne_u32_e32 vcc_lo, 1, v34
	s_delay_alu instid0(VALU_DEP_3)
	v_add_co_u32 v18, s0, v13, v15
	v_or_b32_e32 v35, 0x100, v0
	v_or_b32_e32 v23, 0xa00, v0
	;; [unrolled: 1-line block ×4, first 2 shown]
	v_add_co_ci_u32_e64 v19, s0, v14, v17, s0
	s_mov_b32 s0, 0
	s_cbranch_vccnz .LBB184_131
; %bb.75:
	s_mov_b32 s0, exec_lo
                                        ; implicit-def: $vgpr13_vgpr14
	v_cmpx_ge_u32_e64 v0, v16
	s_xor_b32 s0, exec_lo, s0
; %bb.76:
	v_not_b32_e32 v13, v0
	s_delay_alu instid0(VALU_DEP_1) | instskip(SKIP_1) | instid1(VALU_DEP_2)
	v_ashrrev_i32_e32 v14, 31, v13
	v_add_co_u32 v13, vcc_lo, v18, v13
	v_add_co_ci_u32_e32 v14, vcc_lo, v19, v14, vcc_lo
; %bb.77:
	s_and_not1_saveexec_b32 s0, s0
; %bb.78:
	v_add_co_u32 v13, vcc_lo, v15, v0
	v_add_co_ci_u32_e32 v14, vcc_lo, 0, v17, vcc_lo
; %bb.79:
	s_or_b32 exec_lo, exec_lo, s0
	s_delay_alu instid0(VALU_DEP_1) | instskip(SKIP_1) | instid1(VALU_DEP_1)
	v_lshlrev_b64 v[13:14], 2, v[13:14]
	s_mov_b32 s0, exec_lo
	v_add_co_u32 v13, vcc_lo, s12, v13
	s_delay_alu instid0(VALU_DEP_2)
	v_add_co_ci_u32_e32 v14, vcc_lo, s13, v14, vcc_lo
	s_waitcnt lgkmcnt(6)
	global_store_b32 v[13:14], v11, off
                                        ; implicit-def: $vgpr13_vgpr14
	v_cmpx_ge_u32_e64 v35, v16
	s_xor_b32 s0, exec_lo, s0
; %bb.80:
	v_xor_b32_e32 v13, 0xfffffeff, v0
	s_delay_alu instid0(VALU_DEP_1) | instskip(SKIP_1) | instid1(VALU_DEP_2)
	v_ashrrev_i32_e32 v14, 31, v13
	v_add_co_u32 v13, vcc_lo, v18, v13
	v_add_co_ci_u32_e32 v14, vcc_lo, v19, v14, vcc_lo
; %bb.81:
	s_and_not1_saveexec_b32 s0, s0
; %bb.82:
	v_add_co_u32 v13, vcc_lo, v15, v35
	v_add_co_ci_u32_e32 v14, vcc_lo, 0, v17, vcc_lo
; %bb.83:
	s_or_b32 exec_lo, exec_lo, s0
	s_delay_alu instid0(VALU_DEP_1) | instskip(SKIP_1) | instid1(VALU_DEP_1)
	v_lshlrev_b64 v[13:14], 2, v[13:14]
	s_mov_b32 s0, exec_lo
	v_add_co_u32 v13, vcc_lo, s12, v13
	s_delay_alu instid0(VALU_DEP_2)
	v_add_co_ci_u32_e32 v14, vcc_lo, s13, v14, vcc_lo
	global_store_b32 v[13:14], v12, off
                                        ; implicit-def: $vgpr13_vgpr14
	v_cmpx_ge_u32_e64 v31, v16
	s_xor_b32 s0, exec_lo, s0
; %bb.84:
	v_xor_b32_e32 v13, 0xfffffdff, v0
	s_delay_alu instid0(VALU_DEP_1) | instskip(SKIP_1) | instid1(VALU_DEP_2)
	v_ashrrev_i32_e32 v14, 31, v13
	v_add_co_u32 v13, vcc_lo, v18, v13
	v_add_co_ci_u32_e32 v14, vcc_lo, v19, v14, vcc_lo
; %bb.85:
	s_and_not1_saveexec_b32 s0, s0
; %bb.86:
	v_add_co_u32 v13, vcc_lo, v15, v31
	v_add_co_ci_u32_e32 v14, vcc_lo, 0, v17, vcc_lo
; %bb.87:
	s_or_b32 exec_lo, exec_lo, s0
	s_delay_alu instid0(VALU_DEP_1) | instskip(SKIP_1) | instid1(VALU_DEP_1)
	v_lshlrev_b64 v[13:14], 2, v[13:14]
	s_mov_b32 s0, exec_lo
	v_add_co_u32 v13, vcc_lo, s12, v13
	s_delay_alu instid0(VALU_DEP_2)
	v_add_co_ci_u32_e32 v14, vcc_lo, s13, v14, vcc_lo
	s_waitcnt lgkmcnt(5)
	global_store_b32 v[13:14], v9, off
                                        ; implicit-def: $vgpr13_vgpr14
	v_cmpx_ge_u32_e64 v30, v16
	s_xor_b32 s0, exec_lo, s0
; %bb.88:
	v_xor_b32_e32 v13, 0xfffffcff, v0
	s_delay_alu instid0(VALU_DEP_1) | instskip(SKIP_1) | instid1(VALU_DEP_2)
	v_ashrrev_i32_e32 v14, 31, v13
	v_add_co_u32 v13, vcc_lo, v18, v13
	v_add_co_ci_u32_e32 v14, vcc_lo, v19, v14, vcc_lo
; %bb.89:
	s_and_not1_saveexec_b32 s0, s0
; %bb.90:
	v_add_co_u32 v13, vcc_lo, v15, v30
	v_add_co_ci_u32_e32 v14, vcc_lo, 0, v17, vcc_lo
; %bb.91:
	s_or_b32 exec_lo, exec_lo, s0
	s_delay_alu instid0(VALU_DEP_1) | instskip(SKIP_1) | instid1(VALU_DEP_1)
	v_lshlrev_b64 v[13:14], 2, v[13:14]
	s_mov_b32 s0, exec_lo
	v_add_co_u32 v13, vcc_lo, s12, v13
	s_delay_alu instid0(VALU_DEP_2)
	v_add_co_ci_u32_e32 v14, vcc_lo, s13, v14, vcc_lo
	global_store_b32 v[13:14], v10, off
                                        ; implicit-def: $vgpr13_vgpr14
	v_cmpx_ge_u32_e64 v29, v16
	s_xor_b32 s0, exec_lo, s0
; %bb.92:
	v_xor_b32_e32 v13, 0xfffffbff, v0
	;; [unrolled: 47-line block ×6, first 2 shown]
	s_delay_alu instid0(VALU_DEP_1) | instskip(SKIP_1) | instid1(VALU_DEP_2)
	v_ashrrev_i32_e32 v14, 31, v13
	v_add_co_u32 v13, vcc_lo, v18, v13
	v_add_co_ci_u32_e32 v14, vcc_lo, v19, v14, vcc_lo
; %bb.125:
	s_and_not1_saveexec_b32 s0, s0
; %bb.126:
	v_add_co_u32 v13, vcc_lo, v15, v21
	v_add_co_ci_u32_e32 v14, vcc_lo, 0, v17, vcc_lo
; %bb.127:
	s_or_b32 exec_lo, exec_lo, s0
	s_mov_b32 s0, -1
.LBB184_128:
	s_delay_alu instid0(SALU_CYCLE_1)
	s_and_saveexec_b32 s1, s0
	s_cbranch_execz .LBB184_211
.LBB184_129:
	s_waitcnt lgkmcnt(1)
	v_lshlrev_b64 v[0:1], 2, v[13:14]
	s_delay_alu instid0(VALU_DEP_1) | instskip(NEXT) | instid1(VALU_DEP_2)
	v_add_co_u32 v0, vcc_lo, s12, v0
	v_add_co_ci_u32_e32 v1, vcc_lo, s13, v1, vcc_lo
	s_waitcnt lgkmcnt(0)
	global_store_b32 v[0:1], v20, off
	s_or_b32 exec_lo, exec_lo, s1
	s_and_b32 s0, s2, s10
	s_delay_alu instid0(SALU_CYCLE_1)
	s_and_saveexec_b32 s1, s0
	s_cbranch_execnz .LBB184_212
.LBB184_130:
	s_nop 0
	s_sendmsg sendmsg(MSG_DEALLOC_VGPRS)
	s_endpgm
.LBB184_131:
                                        ; implicit-def: $vgpr13_vgpr14
	s_cbranch_execz .LBB184_128
; %bb.132:
	s_mov_b32 s1, exec_lo
	v_cmpx_gt_u32_e64 s11, v0
	s_cbranch_execz .LBB184_168
; %bb.133:
	s_mov_b32 s3, exec_lo
                                        ; implicit-def: $vgpr13_vgpr14
	v_cmpx_ge_u32_e64 v0, v16
	s_xor_b32 s3, exec_lo, s3
; %bb.134:
	v_not_b32_e32 v13, v0
	s_delay_alu instid0(VALU_DEP_1) | instskip(SKIP_1) | instid1(VALU_DEP_2)
	v_ashrrev_i32_e32 v14, 31, v13
	v_add_co_u32 v13, vcc_lo, v18, v13
	v_add_co_ci_u32_e32 v14, vcc_lo, v19, v14, vcc_lo
; %bb.135:
	s_and_not1_saveexec_b32 s3, s3
; %bb.136:
	v_add_co_u32 v13, vcc_lo, v15, v0
	v_add_co_ci_u32_e32 v14, vcc_lo, 0, v17, vcc_lo
; %bb.137:
	s_or_b32 exec_lo, exec_lo, s3
	s_delay_alu instid0(VALU_DEP_1) | instskip(NEXT) | instid1(VALU_DEP_1)
	v_lshlrev_b64 v[13:14], 2, v[13:14]
	v_add_co_u32 v13, vcc_lo, s12, v13
	s_delay_alu instid0(VALU_DEP_2) | instskip(SKIP_3) | instid1(SALU_CYCLE_1)
	v_add_co_ci_u32_e32 v14, vcc_lo, s13, v14, vcc_lo
	s_waitcnt lgkmcnt(6)
	global_store_b32 v[13:14], v11, off
	s_or_b32 exec_lo, exec_lo, s1
	s_mov_b32 s1, exec_lo
	v_cmpx_gt_u32_e64 s11, v35
	s_cbranch_execnz .LBB184_169
.LBB184_138:
	s_or_b32 exec_lo, exec_lo, s1
	s_delay_alu instid0(SALU_CYCLE_1)
	s_mov_b32 s1, exec_lo
	v_cmpx_gt_u32_e64 s11, v31
	s_cbranch_execz .LBB184_174
.LBB184_139:
	s_mov_b32 s3, exec_lo
                                        ; implicit-def: $vgpr11_vgpr12
	v_cmpx_ge_u32_e64 v31, v16
	s_xor_b32 s3, exec_lo, s3
	s_cbranch_execz .LBB184_141
; %bb.140:
	s_waitcnt lgkmcnt(6)
	v_xor_b32_e32 v11, 0xfffffdff, v0
                                        ; implicit-def: $vgpr31
	s_delay_alu instid0(VALU_DEP_1) | instskip(SKIP_1) | instid1(VALU_DEP_2)
	v_ashrrev_i32_e32 v12, 31, v11
	v_add_co_u32 v11, vcc_lo, v18, v11
	v_add_co_ci_u32_e32 v12, vcc_lo, v19, v12, vcc_lo
.LBB184_141:
	s_and_not1_saveexec_b32 s3, s3
	s_cbranch_execz .LBB184_143
; %bb.142:
	s_waitcnt lgkmcnt(6)
	v_add_co_u32 v11, vcc_lo, v15, v31
	v_add_co_ci_u32_e32 v12, vcc_lo, 0, v17, vcc_lo
.LBB184_143:
	s_or_b32 exec_lo, exec_lo, s3
	s_waitcnt lgkmcnt(6)
	s_delay_alu instid0(VALU_DEP_1) | instskip(NEXT) | instid1(VALU_DEP_1)
	v_lshlrev_b64 v[11:12], 2, v[11:12]
	v_add_co_u32 v11, vcc_lo, s12, v11
	s_delay_alu instid0(VALU_DEP_2) | instskip(SKIP_3) | instid1(SALU_CYCLE_1)
	v_add_co_ci_u32_e32 v12, vcc_lo, s13, v12, vcc_lo
	s_waitcnt lgkmcnt(5)
	global_store_b32 v[11:12], v9, off
	s_or_b32 exec_lo, exec_lo, s1
	s_mov_b32 s1, exec_lo
	v_cmpx_gt_u32_e64 s11, v30
	s_cbranch_execnz .LBB184_175
.LBB184_144:
	s_or_b32 exec_lo, exec_lo, s1
	s_delay_alu instid0(SALU_CYCLE_1)
	s_mov_b32 s1, exec_lo
	v_cmpx_gt_u32_e64 s11, v29
	s_cbranch_execz .LBB184_180
.LBB184_145:
	s_mov_b32 s3, exec_lo
                                        ; implicit-def: $vgpr9_vgpr10
	v_cmpx_ge_u32_e64 v29, v16
	s_xor_b32 s3, exec_lo, s3
	s_cbranch_execz .LBB184_147
; %bb.146:
	s_waitcnt lgkmcnt(5)
	v_xor_b32_e32 v9, 0xfffffbff, v0
                                        ; implicit-def: $vgpr29
	s_delay_alu instid0(VALU_DEP_1) | instskip(SKIP_1) | instid1(VALU_DEP_2)
	v_ashrrev_i32_e32 v10, 31, v9
	v_add_co_u32 v9, vcc_lo, v18, v9
	v_add_co_ci_u32_e32 v10, vcc_lo, v19, v10, vcc_lo
.LBB184_147:
	s_and_not1_saveexec_b32 s3, s3
	s_cbranch_execz .LBB184_149
; %bb.148:
	s_waitcnt lgkmcnt(5)
	v_add_co_u32 v9, vcc_lo, v15, v29
	v_add_co_ci_u32_e32 v10, vcc_lo, 0, v17, vcc_lo
.LBB184_149:
	s_or_b32 exec_lo, exec_lo, s3
	s_waitcnt lgkmcnt(5)
	s_delay_alu instid0(VALU_DEP_1) | instskip(NEXT) | instid1(VALU_DEP_1)
	v_lshlrev_b64 v[9:10], 2, v[9:10]
	v_add_co_u32 v9, vcc_lo, s12, v9
	s_delay_alu instid0(VALU_DEP_2) | instskip(SKIP_3) | instid1(SALU_CYCLE_1)
	v_add_co_ci_u32_e32 v10, vcc_lo, s13, v10, vcc_lo
	s_waitcnt lgkmcnt(4)
	global_store_b32 v[9:10], v7, off
	s_or_b32 exec_lo, exec_lo, s1
	s_mov_b32 s1, exec_lo
	v_cmpx_gt_u32_e64 s11, v28
	s_cbranch_execnz .LBB184_181
.LBB184_150:
	s_or_b32 exec_lo, exec_lo, s1
	s_delay_alu instid0(SALU_CYCLE_1)
	s_mov_b32 s1, exec_lo
	v_cmpx_gt_u32_e64 s11, v27
	s_cbranch_execz .LBB184_186
.LBB184_151:
	s_mov_b32 s3, exec_lo
                                        ; implicit-def: $vgpr7_vgpr8
	v_cmpx_ge_u32_e64 v27, v16
	s_xor_b32 s3, exec_lo, s3
	s_cbranch_execz .LBB184_153
; %bb.152:
	s_waitcnt lgkmcnt(4)
	v_xor_b32_e32 v7, 0xfffff9ff, v0
                                        ; implicit-def: $vgpr27
	s_delay_alu instid0(VALU_DEP_1) | instskip(SKIP_1) | instid1(VALU_DEP_2)
	v_ashrrev_i32_e32 v8, 31, v7
	v_add_co_u32 v7, vcc_lo, v18, v7
	v_add_co_ci_u32_e32 v8, vcc_lo, v19, v8, vcc_lo
.LBB184_153:
	s_and_not1_saveexec_b32 s3, s3
	s_cbranch_execz .LBB184_155
; %bb.154:
	s_waitcnt lgkmcnt(4)
	v_add_co_u32 v7, vcc_lo, v15, v27
	v_add_co_ci_u32_e32 v8, vcc_lo, 0, v17, vcc_lo
.LBB184_155:
	s_or_b32 exec_lo, exec_lo, s3
	s_waitcnt lgkmcnt(4)
	s_delay_alu instid0(VALU_DEP_1) | instskip(NEXT) | instid1(VALU_DEP_1)
	v_lshlrev_b64 v[7:8], 2, v[7:8]
	v_add_co_u32 v7, vcc_lo, s12, v7
	s_delay_alu instid0(VALU_DEP_2) | instskip(SKIP_3) | instid1(SALU_CYCLE_1)
	v_add_co_ci_u32_e32 v8, vcc_lo, s13, v8, vcc_lo
	s_waitcnt lgkmcnt(3)
	global_store_b32 v[7:8], v5, off
	s_or_b32 exec_lo, exec_lo, s1
	s_mov_b32 s1, exec_lo
	v_cmpx_gt_u32_e64 s11, v26
	s_cbranch_execnz .LBB184_187
.LBB184_156:
	s_or_b32 exec_lo, exec_lo, s1
	s_delay_alu instid0(SALU_CYCLE_1)
	s_mov_b32 s1, exec_lo
	v_cmpx_gt_u32_e64 s11, v25
	s_cbranch_execz .LBB184_192
.LBB184_157:
	s_mov_b32 s3, exec_lo
                                        ; implicit-def: $vgpr5_vgpr6
	v_cmpx_ge_u32_e64 v25, v16
	s_xor_b32 s3, exec_lo, s3
	s_cbranch_execz .LBB184_159
; %bb.158:
	s_waitcnt lgkmcnt(3)
	v_xor_b32_e32 v5, 0xfffff7ff, v0
                                        ; implicit-def: $vgpr25
	s_delay_alu instid0(VALU_DEP_1) | instskip(SKIP_1) | instid1(VALU_DEP_2)
	v_ashrrev_i32_e32 v6, 31, v5
	v_add_co_u32 v5, vcc_lo, v18, v5
	v_add_co_ci_u32_e32 v6, vcc_lo, v19, v6, vcc_lo
.LBB184_159:
	s_and_not1_saveexec_b32 s3, s3
	s_cbranch_execz .LBB184_161
; %bb.160:
	s_waitcnt lgkmcnt(3)
	v_add_co_u32 v5, vcc_lo, v15, v25
	v_add_co_ci_u32_e32 v6, vcc_lo, 0, v17, vcc_lo
.LBB184_161:
	s_or_b32 exec_lo, exec_lo, s3
	s_waitcnt lgkmcnt(3)
	s_delay_alu instid0(VALU_DEP_1) | instskip(NEXT) | instid1(VALU_DEP_1)
	v_lshlrev_b64 v[5:6], 2, v[5:6]
	v_add_co_u32 v5, vcc_lo, s12, v5
	s_delay_alu instid0(VALU_DEP_2) | instskip(SKIP_3) | instid1(SALU_CYCLE_1)
	v_add_co_ci_u32_e32 v6, vcc_lo, s13, v6, vcc_lo
	s_waitcnt lgkmcnt(2)
	global_store_b32 v[5:6], v3, off
	s_or_b32 exec_lo, exec_lo, s1
	s_mov_b32 s1, exec_lo
	v_cmpx_gt_u32_e64 s11, v24
	s_cbranch_execnz .LBB184_193
.LBB184_162:
	s_or_b32 exec_lo, exec_lo, s1
	s_delay_alu instid0(SALU_CYCLE_1)
	s_mov_b32 s1, exec_lo
	v_cmpx_gt_u32_e64 s11, v23
	s_cbranch_execz .LBB184_198
.LBB184_163:
	s_mov_b32 s3, exec_lo
                                        ; implicit-def: $vgpr3_vgpr4
	v_cmpx_ge_u32_e64 v23, v16
	s_xor_b32 s3, exec_lo, s3
	s_cbranch_execz .LBB184_165
; %bb.164:
	s_waitcnt lgkmcnt(2)
	v_xor_b32_e32 v3, 0xfffff5ff, v0
                                        ; implicit-def: $vgpr23
	s_delay_alu instid0(VALU_DEP_1) | instskip(SKIP_1) | instid1(VALU_DEP_2)
	v_ashrrev_i32_e32 v4, 31, v3
	v_add_co_u32 v3, vcc_lo, v18, v3
	v_add_co_ci_u32_e32 v4, vcc_lo, v19, v4, vcc_lo
.LBB184_165:
	s_and_not1_saveexec_b32 s3, s3
	s_cbranch_execz .LBB184_167
; %bb.166:
	s_waitcnt lgkmcnt(2)
	v_add_co_u32 v3, vcc_lo, v15, v23
	v_add_co_ci_u32_e32 v4, vcc_lo, 0, v17, vcc_lo
.LBB184_167:
	s_or_b32 exec_lo, exec_lo, s3
	s_waitcnt lgkmcnt(2)
	s_delay_alu instid0(VALU_DEP_1) | instskip(NEXT) | instid1(VALU_DEP_1)
	v_lshlrev_b64 v[3:4], 2, v[3:4]
	v_add_co_u32 v3, vcc_lo, s12, v3
	s_delay_alu instid0(VALU_DEP_2) | instskip(SKIP_3) | instid1(SALU_CYCLE_1)
	v_add_co_ci_u32_e32 v4, vcc_lo, s13, v4, vcc_lo
	s_waitcnt lgkmcnt(1)
	global_store_b32 v[3:4], v1, off
	s_or_b32 exec_lo, exec_lo, s1
	s_mov_b32 s1, exec_lo
	v_cmpx_gt_u32_e64 s11, v22
	s_cbranch_execz .LBB184_204
	s_branch .LBB184_199
.LBB184_168:
	s_or_b32 exec_lo, exec_lo, s1
	s_delay_alu instid0(SALU_CYCLE_1)
	s_mov_b32 s1, exec_lo
	v_cmpx_gt_u32_e64 s11, v35
	s_cbranch_execz .LBB184_138
.LBB184_169:
	s_mov_b32 s3, exec_lo
                                        ; implicit-def: $vgpr13_vgpr14
	v_cmpx_ge_u32_e64 v35, v16
	s_xor_b32 s3, exec_lo, s3
	s_cbranch_execz .LBB184_171
; %bb.170:
	s_waitcnt lgkmcnt(6)
	v_xor_b32_e32 v11, 0xfffffeff, v0
                                        ; implicit-def: $vgpr35
	s_delay_alu instid0(VALU_DEP_1) | instskip(SKIP_1) | instid1(VALU_DEP_2)
	v_ashrrev_i32_e32 v14, 31, v11
	v_add_co_u32 v13, vcc_lo, v18, v11
	v_add_co_ci_u32_e32 v14, vcc_lo, v19, v14, vcc_lo
.LBB184_171:
	s_and_not1_saveexec_b32 s3, s3
; %bb.172:
	v_add_co_u32 v13, vcc_lo, v15, v35
	v_add_co_ci_u32_e32 v14, vcc_lo, 0, v17, vcc_lo
; %bb.173:
	s_or_b32 exec_lo, exec_lo, s3
	s_delay_alu instid0(VALU_DEP_1) | instskip(NEXT) | instid1(VALU_DEP_1)
	v_lshlrev_b64 v[13:14], 2, v[13:14]
	v_add_co_u32 v13, vcc_lo, s12, v13
	s_delay_alu instid0(VALU_DEP_2) | instskip(SKIP_3) | instid1(SALU_CYCLE_1)
	v_add_co_ci_u32_e32 v14, vcc_lo, s13, v14, vcc_lo
	s_waitcnt lgkmcnt(6)
	global_store_b32 v[13:14], v12, off
	s_or_b32 exec_lo, exec_lo, s1
	s_mov_b32 s1, exec_lo
	v_cmpx_gt_u32_e64 s11, v31
	s_cbranch_execnz .LBB184_139
.LBB184_174:
	s_or_b32 exec_lo, exec_lo, s1
	s_delay_alu instid0(SALU_CYCLE_1)
	s_mov_b32 s1, exec_lo
	v_cmpx_gt_u32_e64 s11, v30
	s_cbranch_execz .LBB184_144
.LBB184_175:
	s_mov_b32 s3, exec_lo
                                        ; implicit-def: $vgpr11_vgpr12
	v_cmpx_ge_u32_e64 v30, v16
	s_xor_b32 s3, exec_lo, s3
	s_cbranch_execz .LBB184_177
; %bb.176:
	s_waitcnt lgkmcnt(5)
	v_xor_b32_e32 v9, 0xfffffcff, v0
                                        ; implicit-def: $vgpr30
	s_delay_alu instid0(VALU_DEP_1) | instskip(SKIP_1) | instid1(VALU_DEP_2)
	v_ashrrev_i32_e32 v12, 31, v9
	v_add_co_u32 v11, vcc_lo, v18, v9
	v_add_co_ci_u32_e32 v12, vcc_lo, v19, v12, vcc_lo
.LBB184_177:
	s_and_not1_saveexec_b32 s3, s3
	s_cbranch_execz .LBB184_179
; %bb.178:
	s_waitcnt lgkmcnt(6)
	v_add_co_u32 v11, vcc_lo, v15, v30
	v_add_co_ci_u32_e32 v12, vcc_lo, 0, v17, vcc_lo
.LBB184_179:
	s_or_b32 exec_lo, exec_lo, s3
	s_waitcnt lgkmcnt(6)
	s_delay_alu instid0(VALU_DEP_1) | instskip(NEXT) | instid1(VALU_DEP_1)
	v_lshlrev_b64 v[11:12], 2, v[11:12]
	v_add_co_u32 v11, vcc_lo, s12, v11
	s_delay_alu instid0(VALU_DEP_2) | instskip(SKIP_3) | instid1(SALU_CYCLE_1)
	v_add_co_ci_u32_e32 v12, vcc_lo, s13, v12, vcc_lo
	s_waitcnt lgkmcnt(5)
	global_store_b32 v[11:12], v10, off
	s_or_b32 exec_lo, exec_lo, s1
	s_mov_b32 s1, exec_lo
	v_cmpx_gt_u32_e64 s11, v29
	s_cbranch_execnz .LBB184_145
.LBB184_180:
	s_or_b32 exec_lo, exec_lo, s1
	s_delay_alu instid0(SALU_CYCLE_1)
	s_mov_b32 s1, exec_lo
	v_cmpx_gt_u32_e64 s11, v28
	s_cbranch_execz .LBB184_150
.LBB184_181:
	s_mov_b32 s3, exec_lo
                                        ; implicit-def: $vgpr9_vgpr10
	v_cmpx_ge_u32_e64 v28, v16
	s_xor_b32 s3, exec_lo, s3
	s_cbranch_execz .LBB184_183
; %bb.182:
	s_waitcnt lgkmcnt(4)
	v_xor_b32_e32 v7, 0xfffffaff, v0
                                        ; implicit-def: $vgpr28
	s_delay_alu instid0(VALU_DEP_1) | instskip(SKIP_1) | instid1(VALU_DEP_2)
	v_ashrrev_i32_e32 v10, 31, v7
	v_add_co_u32 v9, vcc_lo, v18, v7
	v_add_co_ci_u32_e32 v10, vcc_lo, v19, v10, vcc_lo
.LBB184_183:
	s_and_not1_saveexec_b32 s3, s3
	s_cbranch_execz .LBB184_185
; %bb.184:
	s_waitcnt lgkmcnt(5)
	v_add_co_u32 v9, vcc_lo, v15, v28
	v_add_co_ci_u32_e32 v10, vcc_lo, 0, v17, vcc_lo
.LBB184_185:
	s_or_b32 exec_lo, exec_lo, s3
	s_waitcnt lgkmcnt(5)
	s_delay_alu instid0(VALU_DEP_1) | instskip(NEXT) | instid1(VALU_DEP_1)
	v_lshlrev_b64 v[9:10], 2, v[9:10]
	v_add_co_u32 v9, vcc_lo, s12, v9
	s_delay_alu instid0(VALU_DEP_2) | instskip(SKIP_3) | instid1(SALU_CYCLE_1)
	v_add_co_ci_u32_e32 v10, vcc_lo, s13, v10, vcc_lo
	s_waitcnt lgkmcnt(4)
	global_store_b32 v[9:10], v8, off
	s_or_b32 exec_lo, exec_lo, s1
	s_mov_b32 s1, exec_lo
	v_cmpx_gt_u32_e64 s11, v27
	s_cbranch_execnz .LBB184_151
.LBB184_186:
	s_or_b32 exec_lo, exec_lo, s1
	s_delay_alu instid0(SALU_CYCLE_1)
	s_mov_b32 s1, exec_lo
	v_cmpx_gt_u32_e64 s11, v26
	s_cbranch_execz .LBB184_156
.LBB184_187:
	s_mov_b32 s3, exec_lo
                                        ; implicit-def: $vgpr7_vgpr8
	v_cmpx_ge_u32_e64 v26, v16
	s_xor_b32 s3, exec_lo, s3
	s_cbranch_execz .LBB184_189
; %bb.188:
	s_waitcnt lgkmcnt(3)
	v_xor_b32_e32 v5, 0xfffff8ff, v0
                                        ; implicit-def: $vgpr26
	s_delay_alu instid0(VALU_DEP_1) | instskip(SKIP_1) | instid1(VALU_DEP_2)
	v_ashrrev_i32_e32 v8, 31, v5
	v_add_co_u32 v7, vcc_lo, v18, v5
	v_add_co_ci_u32_e32 v8, vcc_lo, v19, v8, vcc_lo
.LBB184_189:
	s_and_not1_saveexec_b32 s3, s3
	s_cbranch_execz .LBB184_191
; %bb.190:
	s_waitcnt lgkmcnt(4)
	v_add_co_u32 v7, vcc_lo, v15, v26
	v_add_co_ci_u32_e32 v8, vcc_lo, 0, v17, vcc_lo
.LBB184_191:
	s_or_b32 exec_lo, exec_lo, s3
	s_waitcnt lgkmcnt(4)
	s_delay_alu instid0(VALU_DEP_1) | instskip(NEXT) | instid1(VALU_DEP_1)
	v_lshlrev_b64 v[7:8], 2, v[7:8]
	v_add_co_u32 v7, vcc_lo, s12, v7
	s_delay_alu instid0(VALU_DEP_2) | instskip(SKIP_3) | instid1(SALU_CYCLE_1)
	v_add_co_ci_u32_e32 v8, vcc_lo, s13, v8, vcc_lo
	s_waitcnt lgkmcnt(3)
	global_store_b32 v[7:8], v6, off
	s_or_b32 exec_lo, exec_lo, s1
	s_mov_b32 s1, exec_lo
	v_cmpx_gt_u32_e64 s11, v25
	s_cbranch_execnz .LBB184_157
.LBB184_192:
	s_or_b32 exec_lo, exec_lo, s1
	s_delay_alu instid0(SALU_CYCLE_1)
	s_mov_b32 s1, exec_lo
	v_cmpx_gt_u32_e64 s11, v24
	s_cbranch_execz .LBB184_162
.LBB184_193:
	s_mov_b32 s3, exec_lo
                                        ; implicit-def: $vgpr5_vgpr6
	v_cmpx_ge_u32_e64 v24, v16
	s_xor_b32 s3, exec_lo, s3
	s_cbranch_execz .LBB184_195
; %bb.194:
	s_waitcnt lgkmcnt(2)
	v_xor_b32_e32 v3, 0xfffff6ff, v0
                                        ; implicit-def: $vgpr24
	s_delay_alu instid0(VALU_DEP_1) | instskip(SKIP_1) | instid1(VALU_DEP_2)
	v_ashrrev_i32_e32 v6, 31, v3
	v_add_co_u32 v5, vcc_lo, v18, v3
	v_add_co_ci_u32_e32 v6, vcc_lo, v19, v6, vcc_lo
.LBB184_195:
	s_and_not1_saveexec_b32 s3, s3
	s_cbranch_execz .LBB184_197
; %bb.196:
	s_waitcnt lgkmcnt(3)
	v_add_co_u32 v5, vcc_lo, v15, v24
	v_add_co_ci_u32_e32 v6, vcc_lo, 0, v17, vcc_lo
.LBB184_197:
	s_or_b32 exec_lo, exec_lo, s3
	s_waitcnt lgkmcnt(3)
	s_delay_alu instid0(VALU_DEP_1) | instskip(NEXT) | instid1(VALU_DEP_1)
	v_lshlrev_b64 v[5:6], 2, v[5:6]
	v_add_co_u32 v5, vcc_lo, s12, v5
	s_delay_alu instid0(VALU_DEP_2) | instskip(SKIP_3) | instid1(SALU_CYCLE_1)
	v_add_co_ci_u32_e32 v6, vcc_lo, s13, v6, vcc_lo
	s_waitcnt lgkmcnt(2)
	global_store_b32 v[5:6], v4, off
	s_or_b32 exec_lo, exec_lo, s1
	s_mov_b32 s1, exec_lo
	v_cmpx_gt_u32_e64 s11, v23
	s_cbranch_execnz .LBB184_163
.LBB184_198:
	s_or_b32 exec_lo, exec_lo, s1
	s_delay_alu instid0(SALU_CYCLE_1)
	s_mov_b32 s1, exec_lo
	v_cmpx_gt_u32_e64 s11, v22
	s_cbranch_execz .LBB184_204
.LBB184_199:
	s_mov_b32 s3, exec_lo
                                        ; implicit-def: $vgpr3_vgpr4
	v_cmpx_ge_u32_e64 v22, v16
	s_xor_b32 s3, exec_lo, s3
	s_cbranch_execz .LBB184_201
; %bb.200:
	s_waitcnt lgkmcnt(1)
	v_xor_b32_e32 v1, 0xfffff4ff, v0
                                        ; implicit-def: $vgpr22
	s_delay_alu instid0(VALU_DEP_1) | instskip(SKIP_1) | instid1(VALU_DEP_2)
	v_ashrrev_i32_e32 v4, 31, v1
	v_add_co_u32 v3, vcc_lo, v18, v1
	v_add_co_ci_u32_e32 v4, vcc_lo, v19, v4, vcc_lo
.LBB184_201:
	s_and_not1_saveexec_b32 s3, s3
	s_cbranch_execz .LBB184_203
; %bb.202:
	s_waitcnt lgkmcnt(2)
	v_add_co_u32 v3, vcc_lo, v15, v22
	v_add_co_ci_u32_e32 v4, vcc_lo, 0, v17, vcc_lo
.LBB184_203:
	s_or_b32 exec_lo, exec_lo, s3
	s_waitcnt lgkmcnt(2)
	s_delay_alu instid0(VALU_DEP_1) | instskip(NEXT) | instid1(VALU_DEP_1)
	v_lshlrev_b64 v[3:4], 2, v[3:4]
	v_add_co_u32 v3, vcc_lo, s12, v3
	s_delay_alu instid0(VALU_DEP_2)
	v_add_co_ci_u32_e32 v4, vcc_lo, s13, v4, vcc_lo
	s_waitcnt lgkmcnt(1)
	global_store_b32 v[3:4], v2, off
.LBB184_204:
	s_or_b32 exec_lo, exec_lo, s1
	s_delay_alu instid0(SALU_CYCLE_1)
	s_mov_b32 s1, exec_lo
                                        ; implicit-def: $vgpr13_vgpr14
	v_cmpx_gt_u32_e64 s11, v21
	s_cbranch_execz .LBB184_210
; %bb.205:
	s_mov_b32 s3, exec_lo
                                        ; implicit-def: $vgpr13_vgpr14
	v_cmpx_ge_u32_e64 v21, v16
	s_xor_b32 s3, exec_lo, s3
	s_cbranch_execz .LBB184_207
; %bb.206:
	v_xor_b32_e32 v0, 0xfffff3ff, v0
                                        ; implicit-def: $vgpr21
	s_waitcnt lgkmcnt(1)
	s_delay_alu instid0(VALU_DEP_1) | instskip(SKIP_1) | instid1(VALU_DEP_2)
	v_ashrrev_i32_e32 v1, 31, v0
	v_add_co_u32 v13, vcc_lo, v18, v0
	v_add_co_ci_u32_e32 v14, vcc_lo, v19, v1, vcc_lo
.LBB184_207:
	s_and_not1_saveexec_b32 s3, s3
; %bb.208:
	v_add_co_u32 v13, vcc_lo, v15, v21
	v_add_co_ci_u32_e32 v14, vcc_lo, 0, v17, vcc_lo
; %bb.209:
	s_or_b32 exec_lo, exec_lo, s3
	s_delay_alu instid0(SALU_CYCLE_1)
	s_or_b32 s0, s0, exec_lo
.LBB184_210:
	s_or_b32 exec_lo, exec_lo, s1
	s_and_saveexec_b32 s1, s0
	s_cbranch_execnz .LBB184_129
.LBB184_211:
	s_or_b32 exec_lo, exec_lo, s1
	s_and_b32 s0, s2, s10
	s_delay_alu instid0(SALU_CYCLE_1)
	s_and_saveexec_b32 s1, s0
	s_cbranch_execz .LBB184_130
.LBB184_212:
	v_add_co_u32 v0, vcc_lo, v15, v16
	s_waitcnt lgkmcnt(1)
	v_mov_b32_e32 v2, 0
	v_add_co_ci_u32_e32 v1, vcc_lo, 0, v17, vcc_lo
	global_store_b64 v2, v[0:1], s[8:9]
	s_nop 0
	s_sendmsg sendmsg(MSG_DEALLOC_VGPRS)
	s_endpgm
	.section	.rodata,"a",@progbits
	.p2align	6, 0x0
	.amdhsa_kernel _ZN7rocprim17ROCPRIM_400000_NS6detail17trampoline_kernelINS0_13select_configILj256ELj13ELNS0_17block_load_methodE3ELS4_3ELS4_3ELNS0_20block_scan_algorithmE0ELj4294967295EEENS1_25partition_config_selectorILNS1_17partition_subalgoE3EjNS0_10empty_typeEbEEZZNS1_14partition_implILS8_3ELb0ES6_jNS0_17counting_iteratorIjlEEPS9_SE_NS0_5tupleIJPjSE_EEENSF_IJSE_SE_EEES9_SG_JZNS1_25segmented_radix_sort_implINS0_14default_configELb0EPKhPhPKlPlN2at6native12_GLOBAL__N_18offset_tEEE10hipError_tPvRmT1_PNSt15iterator_traitsISY_E10value_typeET2_T3_PNSZ_IS14_E10value_typeET4_jRbjT5_S1A_jjP12ihipStream_tbEUljE_EEESV_SW_SX_S14_S18_S1A_T6_T7_T9_mT8_S1C_bDpT10_ENKUlT_T0_E_clISt17integral_constantIbLb0EES1O_IbLb1EEEEDaS1K_S1L_EUlS1K_E_NS1_11comp_targetILNS1_3genE9ELNS1_11target_archE1100ELNS1_3gpuE3ELNS1_3repE0EEENS1_30default_config_static_selectorELNS0_4arch9wavefront6targetE0EEEvSY_
		.amdhsa_group_segment_fixed_size 13324
		.amdhsa_private_segment_fixed_size 0
		.amdhsa_kernarg_size 152
		.amdhsa_user_sgpr_count 15
		.amdhsa_user_sgpr_dispatch_ptr 0
		.amdhsa_user_sgpr_queue_ptr 0
		.amdhsa_user_sgpr_kernarg_segment_ptr 1
		.amdhsa_user_sgpr_dispatch_id 0
		.amdhsa_user_sgpr_private_segment_size 0
		.amdhsa_wavefront_size32 1
		.amdhsa_uses_dynamic_stack 0
		.amdhsa_enable_private_segment 0
		.amdhsa_system_sgpr_workgroup_id_x 1
		.amdhsa_system_sgpr_workgroup_id_y 0
		.amdhsa_system_sgpr_workgroup_id_z 0
		.amdhsa_system_sgpr_workgroup_info 0
		.amdhsa_system_vgpr_workitem_id 0
		.amdhsa_next_free_vgpr 60
		.amdhsa_next_free_sgpr 26
		.amdhsa_reserve_vcc 1
		.amdhsa_float_round_mode_32 0
		.amdhsa_float_round_mode_16_64 0
		.amdhsa_float_denorm_mode_32 3
		.amdhsa_float_denorm_mode_16_64 3
		.amdhsa_dx10_clamp 1
		.amdhsa_ieee_mode 1
		.amdhsa_fp16_overflow 0
		.amdhsa_workgroup_processor_mode 1
		.amdhsa_memory_ordered 1
		.amdhsa_forward_progress 0
		.amdhsa_shared_vgpr_count 0
		.amdhsa_exception_fp_ieee_invalid_op 0
		.amdhsa_exception_fp_denorm_src 0
		.amdhsa_exception_fp_ieee_div_zero 0
		.amdhsa_exception_fp_ieee_overflow 0
		.amdhsa_exception_fp_ieee_underflow 0
		.amdhsa_exception_fp_ieee_inexact 0
		.amdhsa_exception_int_div_zero 0
	.end_amdhsa_kernel
	.section	.text._ZN7rocprim17ROCPRIM_400000_NS6detail17trampoline_kernelINS0_13select_configILj256ELj13ELNS0_17block_load_methodE3ELS4_3ELS4_3ELNS0_20block_scan_algorithmE0ELj4294967295EEENS1_25partition_config_selectorILNS1_17partition_subalgoE3EjNS0_10empty_typeEbEEZZNS1_14partition_implILS8_3ELb0ES6_jNS0_17counting_iteratorIjlEEPS9_SE_NS0_5tupleIJPjSE_EEENSF_IJSE_SE_EEES9_SG_JZNS1_25segmented_radix_sort_implINS0_14default_configELb0EPKhPhPKlPlN2at6native12_GLOBAL__N_18offset_tEEE10hipError_tPvRmT1_PNSt15iterator_traitsISY_E10value_typeET2_T3_PNSZ_IS14_E10value_typeET4_jRbjT5_S1A_jjP12ihipStream_tbEUljE_EEESV_SW_SX_S14_S18_S1A_T6_T7_T9_mT8_S1C_bDpT10_ENKUlT_T0_E_clISt17integral_constantIbLb0EES1O_IbLb1EEEEDaS1K_S1L_EUlS1K_E_NS1_11comp_targetILNS1_3genE9ELNS1_11target_archE1100ELNS1_3gpuE3ELNS1_3repE0EEENS1_30default_config_static_selectorELNS0_4arch9wavefront6targetE0EEEvSY_,"axG",@progbits,_ZN7rocprim17ROCPRIM_400000_NS6detail17trampoline_kernelINS0_13select_configILj256ELj13ELNS0_17block_load_methodE3ELS4_3ELS4_3ELNS0_20block_scan_algorithmE0ELj4294967295EEENS1_25partition_config_selectorILNS1_17partition_subalgoE3EjNS0_10empty_typeEbEEZZNS1_14partition_implILS8_3ELb0ES6_jNS0_17counting_iteratorIjlEEPS9_SE_NS0_5tupleIJPjSE_EEENSF_IJSE_SE_EEES9_SG_JZNS1_25segmented_radix_sort_implINS0_14default_configELb0EPKhPhPKlPlN2at6native12_GLOBAL__N_18offset_tEEE10hipError_tPvRmT1_PNSt15iterator_traitsISY_E10value_typeET2_T3_PNSZ_IS14_E10value_typeET4_jRbjT5_S1A_jjP12ihipStream_tbEUljE_EEESV_SW_SX_S14_S18_S1A_T6_T7_T9_mT8_S1C_bDpT10_ENKUlT_T0_E_clISt17integral_constantIbLb0EES1O_IbLb1EEEEDaS1K_S1L_EUlS1K_E_NS1_11comp_targetILNS1_3genE9ELNS1_11target_archE1100ELNS1_3gpuE3ELNS1_3repE0EEENS1_30default_config_static_selectorELNS0_4arch9wavefront6targetE0EEEvSY_,comdat
.Lfunc_end184:
	.size	_ZN7rocprim17ROCPRIM_400000_NS6detail17trampoline_kernelINS0_13select_configILj256ELj13ELNS0_17block_load_methodE3ELS4_3ELS4_3ELNS0_20block_scan_algorithmE0ELj4294967295EEENS1_25partition_config_selectorILNS1_17partition_subalgoE3EjNS0_10empty_typeEbEEZZNS1_14partition_implILS8_3ELb0ES6_jNS0_17counting_iteratorIjlEEPS9_SE_NS0_5tupleIJPjSE_EEENSF_IJSE_SE_EEES9_SG_JZNS1_25segmented_radix_sort_implINS0_14default_configELb0EPKhPhPKlPlN2at6native12_GLOBAL__N_18offset_tEEE10hipError_tPvRmT1_PNSt15iterator_traitsISY_E10value_typeET2_T3_PNSZ_IS14_E10value_typeET4_jRbjT5_S1A_jjP12ihipStream_tbEUljE_EEESV_SW_SX_S14_S18_S1A_T6_T7_T9_mT8_S1C_bDpT10_ENKUlT_T0_E_clISt17integral_constantIbLb0EES1O_IbLb1EEEEDaS1K_S1L_EUlS1K_E_NS1_11comp_targetILNS1_3genE9ELNS1_11target_archE1100ELNS1_3gpuE3ELNS1_3repE0EEENS1_30default_config_static_selectorELNS0_4arch9wavefront6targetE0EEEvSY_, .Lfunc_end184-_ZN7rocprim17ROCPRIM_400000_NS6detail17trampoline_kernelINS0_13select_configILj256ELj13ELNS0_17block_load_methodE3ELS4_3ELS4_3ELNS0_20block_scan_algorithmE0ELj4294967295EEENS1_25partition_config_selectorILNS1_17partition_subalgoE3EjNS0_10empty_typeEbEEZZNS1_14partition_implILS8_3ELb0ES6_jNS0_17counting_iteratorIjlEEPS9_SE_NS0_5tupleIJPjSE_EEENSF_IJSE_SE_EEES9_SG_JZNS1_25segmented_radix_sort_implINS0_14default_configELb0EPKhPhPKlPlN2at6native12_GLOBAL__N_18offset_tEEE10hipError_tPvRmT1_PNSt15iterator_traitsISY_E10value_typeET2_T3_PNSZ_IS14_E10value_typeET4_jRbjT5_S1A_jjP12ihipStream_tbEUljE_EEESV_SW_SX_S14_S18_S1A_T6_T7_T9_mT8_S1C_bDpT10_ENKUlT_T0_E_clISt17integral_constantIbLb0EES1O_IbLb1EEEEDaS1K_S1L_EUlS1K_E_NS1_11comp_targetILNS1_3genE9ELNS1_11target_archE1100ELNS1_3gpuE3ELNS1_3repE0EEENS1_30default_config_static_selectorELNS0_4arch9wavefront6targetE0EEEvSY_
                                        ; -- End function
	.section	.AMDGPU.csdata,"",@progbits
; Kernel info:
; codeLenInByte = 9040
; NumSgprs: 28
; NumVgprs: 60
; ScratchSize: 0
; MemoryBound: 0
; FloatMode: 240
; IeeeMode: 1
; LDSByteSize: 13324 bytes/workgroup (compile time only)
; SGPRBlocks: 3
; VGPRBlocks: 7
; NumSGPRsForWavesPerEU: 28
; NumVGPRsForWavesPerEU: 60
; Occupancy: 16
; WaveLimiterHint : 0
; COMPUTE_PGM_RSRC2:SCRATCH_EN: 0
; COMPUTE_PGM_RSRC2:USER_SGPR: 15
; COMPUTE_PGM_RSRC2:TRAP_HANDLER: 0
; COMPUTE_PGM_RSRC2:TGID_X_EN: 1
; COMPUTE_PGM_RSRC2:TGID_Y_EN: 0
; COMPUTE_PGM_RSRC2:TGID_Z_EN: 0
; COMPUTE_PGM_RSRC2:TIDIG_COMP_CNT: 0
	.section	.text._ZN7rocprim17ROCPRIM_400000_NS6detail17trampoline_kernelINS0_13select_configILj256ELj13ELNS0_17block_load_methodE3ELS4_3ELS4_3ELNS0_20block_scan_algorithmE0ELj4294967295EEENS1_25partition_config_selectorILNS1_17partition_subalgoE3EjNS0_10empty_typeEbEEZZNS1_14partition_implILS8_3ELb0ES6_jNS0_17counting_iteratorIjlEEPS9_SE_NS0_5tupleIJPjSE_EEENSF_IJSE_SE_EEES9_SG_JZNS1_25segmented_radix_sort_implINS0_14default_configELb0EPKhPhPKlPlN2at6native12_GLOBAL__N_18offset_tEEE10hipError_tPvRmT1_PNSt15iterator_traitsISY_E10value_typeET2_T3_PNSZ_IS14_E10value_typeET4_jRbjT5_S1A_jjP12ihipStream_tbEUljE_EEESV_SW_SX_S14_S18_S1A_T6_T7_T9_mT8_S1C_bDpT10_ENKUlT_T0_E_clISt17integral_constantIbLb0EES1O_IbLb1EEEEDaS1K_S1L_EUlS1K_E_NS1_11comp_targetILNS1_3genE8ELNS1_11target_archE1030ELNS1_3gpuE2ELNS1_3repE0EEENS1_30default_config_static_selectorELNS0_4arch9wavefront6targetE0EEEvSY_,"axG",@progbits,_ZN7rocprim17ROCPRIM_400000_NS6detail17trampoline_kernelINS0_13select_configILj256ELj13ELNS0_17block_load_methodE3ELS4_3ELS4_3ELNS0_20block_scan_algorithmE0ELj4294967295EEENS1_25partition_config_selectorILNS1_17partition_subalgoE3EjNS0_10empty_typeEbEEZZNS1_14partition_implILS8_3ELb0ES6_jNS0_17counting_iteratorIjlEEPS9_SE_NS0_5tupleIJPjSE_EEENSF_IJSE_SE_EEES9_SG_JZNS1_25segmented_radix_sort_implINS0_14default_configELb0EPKhPhPKlPlN2at6native12_GLOBAL__N_18offset_tEEE10hipError_tPvRmT1_PNSt15iterator_traitsISY_E10value_typeET2_T3_PNSZ_IS14_E10value_typeET4_jRbjT5_S1A_jjP12ihipStream_tbEUljE_EEESV_SW_SX_S14_S18_S1A_T6_T7_T9_mT8_S1C_bDpT10_ENKUlT_T0_E_clISt17integral_constantIbLb0EES1O_IbLb1EEEEDaS1K_S1L_EUlS1K_E_NS1_11comp_targetILNS1_3genE8ELNS1_11target_archE1030ELNS1_3gpuE2ELNS1_3repE0EEENS1_30default_config_static_selectorELNS0_4arch9wavefront6targetE0EEEvSY_,comdat
	.globl	_ZN7rocprim17ROCPRIM_400000_NS6detail17trampoline_kernelINS0_13select_configILj256ELj13ELNS0_17block_load_methodE3ELS4_3ELS4_3ELNS0_20block_scan_algorithmE0ELj4294967295EEENS1_25partition_config_selectorILNS1_17partition_subalgoE3EjNS0_10empty_typeEbEEZZNS1_14partition_implILS8_3ELb0ES6_jNS0_17counting_iteratorIjlEEPS9_SE_NS0_5tupleIJPjSE_EEENSF_IJSE_SE_EEES9_SG_JZNS1_25segmented_radix_sort_implINS0_14default_configELb0EPKhPhPKlPlN2at6native12_GLOBAL__N_18offset_tEEE10hipError_tPvRmT1_PNSt15iterator_traitsISY_E10value_typeET2_T3_PNSZ_IS14_E10value_typeET4_jRbjT5_S1A_jjP12ihipStream_tbEUljE_EEESV_SW_SX_S14_S18_S1A_T6_T7_T9_mT8_S1C_bDpT10_ENKUlT_T0_E_clISt17integral_constantIbLb0EES1O_IbLb1EEEEDaS1K_S1L_EUlS1K_E_NS1_11comp_targetILNS1_3genE8ELNS1_11target_archE1030ELNS1_3gpuE2ELNS1_3repE0EEENS1_30default_config_static_selectorELNS0_4arch9wavefront6targetE0EEEvSY_ ; -- Begin function _ZN7rocprim17ROCPRIM_400000_NS6detail17trampoline_kernelINS0_13select_configILj256ELj13ELNS0_17block_load_methodE3ELS4_3ELS4_3ELNS0_20block_scan_algorithmE0ELj4294967295EEENS1_25partition_config_selectorILNS1_17partition_subalgoE3EjNS0_10empty_typeEbEEZZNS1_14partition_implILS8_3ELb0ES6_jNS0_17counting_iteratorIjlEEPS9_SE_NS0_5tupleIJPjSE_EEENSF_IJSE_SE_EEES9_SG_JZNS1_25segmented_radix_sort_implINS0_14default_configELb0EPKhPhPKlPlN2at6native12_GLOBAL__N_18offset_tEEE10hipError_tPvRmT1_PNSt15iterator_traitsISY_E10value_typeET2_T3_PNSZ_IS14_E10value_typeET4_jRbjT5_S1A_jjP12ihipStream_tbEUljE_EEESV_SW_SX_S14_S18_S1A_T6_T7_T9_mT8_S1C_bDpT10_ENKUlT_T0_E_clISt17integral_constantIbLb0EES1O_IbLb1EEEEDaS1K_S1L_EUlS1K_E_NS1_11comp_targetILNS1_3genE8ELNS1_11target_archE1030ELNS1_3gpuE2ELNS1_3repE0EEENS1_30default_config_static_selectorELNS0_4arch9wavefront6targetE0EEEvSY_
	.p2align	8
	.type	_ZN7rocprim17ROCPRIM_400000_NS6detail17trampoline_kernelINS0_13select_configILj256ELj13ELNS0_17block_load_methodE3ELS4_3ELS4_3ELNS0_20block_scan_algorithmE0ELj4294967295EEENS1_25partition_config_selectorILNS1_17partition_subalgoE3EjNS0_10empty_typeEbEEZZNS1_14partition_implILS8_3ELb0ES6_jNS0_17counting_iteratorIjlEEPS9_SE_NS0_5tupleIJPjSE_EEENSF_IJSE_SE_EEES9_SG_JZNS1_25segmented_radix_sort_implINS0_14default_configELb0EPKhPhPKlPlN2at6native12_GLOBAL__N_18offset_tEEE10hipError_tPvRmT1_PNSt15iterator_traitsISY_E10value_typeET2_T3_PNSZ_IS14_E10value_typeET4_jRbjT5_S1A_jjP12ihipStream_tbEUljE_EEESV_SW_SX_S14_S18_S1A_T6_T7_T9_mT8_S1C_bDpT10_ENKUlT_T0_E_clISt17integral_constantIbLb0EES1O_IbLb1EEEEDaS1K_S1L_EUlS1K_E_NS1_11comp_targetILNS1_3genE8ELNS1_11target_archE1030ELNS1_3gpuE2ELNS1_3repE0EEENS1_30default_config_static_selectorELNS0_4arch9wavefront6targetE0EEEvSY_,@function
_ZN7rocprim17ROCPRIM_400000_NS6detail17trampoline_kernelINS0_13select_configILj256ELj13ELNS0_17block_load_methodE3ELS4_3ELS4_3ELNS0_20block_scan_algorithmE0ELj4294967295EEENS1_25partition_config_selectorILNS1_17partition_subalgoE3EjNS0_10empty_typeEbEEZZNS1_14partition_implILS8_3ELb0ES6_jNS0_17counting_iteratorIjlEEPS9_SE_NS0_5tupleIJPjSE_EEENSF_IJSE_SE_EEES9_SG_JZNS1_25segmented_radix_sort_implINS0_14default_configELb0EPKhPhPKlPlN2at6native12_GLOBAL__N_18offset_tEEE10hipError_tPvRmT1_PNSt15iterator_traitsISY_E10value_typeET2_T3_PNSZ_IS14_E10value_typeET4_jRbjT5_S1A_jjP12ihipStream_tbEUljE_EEESV_SW_SX_S14_S18_S1A_T6_T7_T9_mT8_S1C_bDpT10_ENKUlT_T0_E_clISt17integral_constantIbLb0EES1O_IbLb1EEEEDaS1K_S1L_EUlS1K_E_NS1_11comp_targetILNS1_3genE8ELNS1_11target_archE1030ELNS1_3gpuE2ELNS1_3repE0EEENS1_30default_config_static_selectorELNS0_4arch9wavefront6targetE0EEEvSY_: ; @_ZN7rocprim17ROCPRIM_400000_NS6detail17trampoline_kernelINS0_13select_configILj256ELj13ELNS0_17block_load_methodE3ELS4_3ELS4_3ELNS0_20block_scan_algorithmE0ELj4294967295EEENS1_25partition_config_selectorILNS1_17partition_subalgoE3EjNS0_10empty_typeEbEEZZNS1_14partition_implILS8_3ELb0ES6_jNS0_17counting_iteratorIjlEEPS9_SE_NS0_5tupleIJPjSE_EEENSF_IJSE_SE_EEES9_SG_JZNS1_25segmented_radix_sort_implINS0_14default_configELb0EPKhPhPKlPlN2at6native12_GLOBAL__N_18offset_tEEE10hipError_tPvRmT1_PNSt15iterator_traitsISY_E10value_typeET2_T3_PNSZ_IS14_E10value_typeET4_jRbjT5_S1A_jjP12ihipStream_tbEUljE_EEESV_SW_SX_S14_S18_S1A_T6_T7_T9_mT8_S1C_bDpT10_ENKUlT_T0_E_clISt17integral_constantIbLb0EES1O_IbLb1EEEEDaS1K_S1L_EUlS1K_E_NS1_11comp_targetILNS1_3genE8ELNS1_11target_archE1030ELNS1_3gpuE2ELNS1_3repE0EEENS1_30default_config_static_selectorELNS0_4arch9wavefront6targetE0EEEvSY_
; %bb.0:
	.section	.rodata,"a",@progbits
	.p2align	6, 0x0
	.amdhsa_kernel _ZN7rocprim17ROCPRIM_400000_NS6detail17trampoline_kernelINS0_13select_configILj256ELj13ELNS0_17block_load_methodE3ELS4_3ELS4_3ELNS0_20block_scan_algorithmE0ELj4294967295EEENS1_25partition_config_selectorILNS1_17partition_subalgoE3EjNS0_10empty_typeEbEEZZNS1_14partition_implILS8_3ELb0ES6_jNS0_17counting_iteratorIjlEEPS9_SE_NS0_5tupleIJPjSE_EEENSF_IJSE_SE_EEES9_SG_JZNS1_25segmented_radix_sort_implINS0_14default_configELb0EPKhPhPKlPlN2at6native12_GLOBAL__N_18offset_tEEE10hipError_tPvRmT1_PNSt15iterator_traitsISY_E10value_typeET2_T3_PNSZ_IS14_E10value_typeET4_jRbjT5_S1A_jjP12ihipStream_tbEUljE_EEESV_SW_SX_S14_S18_S1A_T6_T7_T9_mT8_S1C_bDpT10_ENKUlT_T0_E_clISt17integral_constantIbLb0EES1O_IbLb1EEEEDaS1K_S1L_EUlS1K_E_NS1_11comp_targetILNS1_3genE8ELNS1_11target_archE1030ELNS1_3gpuE2ELNS1_3repE0EEENS1_30default_config_static_selectorELNS0_4arch9wavefront6targetE0EEEvSY_
		.amdhsa_group_segment_fixed_size 0
		.amdhsa_private_segment_fixed_size 0
		.amdhsa_kernarg_size 152
		.amdhsa_user_sgpr_count 15
		.amdhsa_user_sgpr_dispatch_ptr 0
		.amdhsa_user_sgpr_queue_ptr 0
		.amdhsa_user_sgpr_kernarg_segment_ptr 1
		.amdhsa_user_sgpr_dispatch_id 0
		.amdhsa_user_sgpr_private_segment_size 0
		.amdhsa_wavefront_size32 1
		.amdhsa_uses_dynamic_stack 0
		.amdhsa_enable_private_segment 0
		.amdhsa_system_sgpr_workgroup_id_x 1
		.amdhsa_system_sgpr_workgroup_id_y 0
		.amdhsa_system_sgpr_workgroup_id_z 0
		.amdhsa_system_sgpr_workgroup_info 0
		.amdhsa_system_vgpr_workitem_id 0
		.amdhsa_next_free_vgpr 1
		.amdhsa_next_free_sgpr 1
		.amdhsa_reserve_vcc 0
		.amdhsa_float_round_mode_32 0
		.amdhsa_float_round_mode_16_64 0
		.amdhsa_float_denorm_mode_32 3
		.amdhsa_float_denorm_mode_16_64 3
		.amdhsa_dx10_clamp 1
		.amdhsa_ieee_mode 1
		.amdhsa_fp16_overflow 0
		.amdhsa_workgroup_processor_mode 1
		.amdhsa_memory_ordered 1
		.amdhsa_forward_progress 0
		.amdhsa_shared_vgpr_count 0
		.amdhsa_exception_fp_ieee_invalid_op 0
		.amdhsa_exception_fp_denorm_src 0
		.amdhsa_exception_fp_ieee_div_zero 0
		.amdhsa_exception_fp_ieee_overflow 0
		.amdhsa_exception_fp_ieee_underflow 0
		.amdhsa_exception_fp_ieee_inexact 0
		.amdhsa_exception_int_div_zero 0
	.end_amdhsa_kernel
	.section	.text._ZN7rocprim17ROCPRIM_400000_NS6detail17trampoline_kernelINS0_13select_configILj256ELj13ELNS0_17block_load_methodE3ELS4_3ELS4_3ELNS0_20block_scan_algorithmE0ELj4294967295EEENS1_25partition_config_selectorILNS1_17partition_subalgoE3EjNS0_10empty_typeEbEEZZNS1_14partition_implILS8_3ELb0ES6_jNS0_17counting_iteratorIjlEEPS9_SE_NS0_5tupleIJPjSE_EEENSF_IJSE_SE_EEES9_SG_JZNS1_25segmented_radix_sort_implINS0_14default_configELb0EPKhPhPKlPlN2at6native12_GLOBAL__N_18offset_tEEE10hipError_tPvRmT1_PNSt15iterator_traitsISY_E10value_typeET2_T3_PNSZ_IS14_E10value_typeET4_jRbjT5_S1A_jjP12ihipStream_tbEUljE_EEESV_SW_SX_S14_S18_S1A_T6_T7_T9_mT8_S1C_bDpT10_ENKUlT_T0_E_clISt17integral_constantIbLb0EES1O_IbLb1EEEEDaS1K_S1L_EUlS1K_E_NS1_11comp_targetILNS1_3genE8ELNS1_11target_archE1030ELNS1_3gpuE2ELNS1_3repE0EEENS1_30default_config_static_selectorELNS0_4arch9wavefront6targetE0EEEvSY_,"axG",@progbits,_ZN7rocprim17ROCPRIM_400000_NS6detail17trampoline_kernelINS0_13select_configILj256ELj13ELNS0_17block_load_methodE3ELS4_3ELS4_3ELNS0_20block_scan_algorithmE0ELj4294967295EEENS1_25partition_config_selectorILNS1_17partition_subalgoE3EjNS0_10empty_typeEbEEZZNS1_14partition_implILS8_3ELb0ES6_jNS0_17counting_iteratorIjlEEPS9_SE_NS0_5tupleIJPjSE_EEENSF_IJSE_SE_EEES9_SG_JZNS1_25segmented_radix_sort_implINS0_14default_configELb0EPKhPhPKlPlN2at6native12_GLOBAL__N_18offset_tEEE10hipError_tPvRmT1_PNSt15iterator_traitsISY_E10value_typeET2_T3_PNSZ_IS14_E10value_typeET4_jRbjT5_S1A_jjP12ihipStream_tbEUljE_EEESV_SW_SX_S14_S18_S1A_T6_T7_T9_mT8_S1C_bDpT10_ENKUlT_T0_E_clISt17integral_constantIbLb0EES1O_IbLb1EEEEDaS1K_S1L_EUlS1K_E_NS1_11comp_targetILNS1_3genE8ELNS1_11target_archE1030ELNS1_3gpuE2ELNS1_3repE0EEENS1_30default_config_static_selectorELNS0_4arch9wavefront6targetE0EEEvSY_,comdat
.Lfunc_end185:
	.size	_ZN7rocprim17ROCPRIM_400000_NS6detail17trampoline_kernelINS0_13select_configILj256ELj13ELNS0_17block_load_methodE3ELS4_3ELS4_3ELNS0_20block_scan_algorithmE0ELj4294967295EEENS1_25partition_config_selectorILNS1_17partition_subalgoE3EjNS0_10empty_typeEbEEZZNS1_14partition_implILS8_3ELb0ES6_jNS0_17counting_iteratorIjlEEPS9_SE_NS0_5tupleIJPjSE_EEENSF_IJSE_SE_EEES9_SG_JZNS1_25segmented_radix_sort_implINS0_14default_configELb0EPKhPhPKlPlN2at6native12_GLOBAL__N_18offset_tEEE10hipError_tPvRmT1_PNSt15iterator_traitsISY_E10value_typeET2_T3_PNSZ_IS14_E10value_typeET4_jRbjT5_S1A_jjP12ihipStream_tbEUljE_EEESV_SW_SX_S14_S18_S1A_T6_T7_T9_mT8_S1C_bDpT10_ENKUlT_T0_E_clISt17integral_constantIbLb0EES1O_IbLb1EEEEDaS1K_S1L_EUlS1K_E_NS1_11comp_targetILNS1_3genE8ELNS1_11target_archE1030ELNS1_3gpuE2ELNS1_3repE0EEENS1_30default_config_static_selectorELNS0_4arch9wavefront6targetE0EEEvSY_, .Lfunc_end185-_ZN7rocprim17ROCPRIM_400000_NS6detail17trampoline_kernelINS0_13select_configILj256ELj13ELNS0_17block_load_methodE3ELS4_3ELS4_3ELNS0_20block_scan_algorithmE0ELj4294967295EEENS1_25partition_config_selectorILNS1_17partition_subalgoE3EjNS0_10empty_typeEbEEZZNS1_14partition_implILS8_3ELb0ES6_jNS0_17counting_iteratorIjlEEPS9_SE_NS0_5tupleIJPjSE_EEENSF_IJSE_SE_EEES9_SG_JZNS1_25segmented_radix_sort_implINS0_14default_configELb0EPKhPhPKlPlN2at6native12_GLOBAL__N_18offset_tEEE10hipError_tPvRmT1_PNSt15iterator_traitsISY_E10value_typeET2_T3_PNSZ_IS14_E10value_typeET4_jRbjT5_S1A_jjP12ihipStream_tbEUljE_EEESV_SW_SX_S14_S18_S1A_T6_T7_T9_mT8_S1C_bDpT10_ENKUlT_T0_E_clISt17integral_constantIbLb0EES1O_IbLb1EEEEDaS1K_S1L_EUlS1K_E_NS1_11comp_targetILNS1_3genE8ELNS1_11target_archE1030ELNS1_3gpuE2ELNS1_3repE0EEENS1_30default_config_static_selectorELNS0_4arch9wavefront6targetE0EEEvSY_
                                        ; -- End function
	.section	.AMDGPU.csdata,"",@progbits
; Kernel info:
; codeLenInByte = 0
; NumSgprs: 0
; NumVgprs: 0
; ScratchSize: 0
; MemoryBound: 0
; FloatMode: 240
; IeeeMode: 1
; LDSByteSize: 0 bytes/workgroup (compile time only)
; SGPRBlocks: 0
; VGPRBlocks: 0
; NumSGPRsForWavesPerEU: 1
; NumVGPRsForWavesPerEU: 1
; Occupancy: 16
; WaveLimiterHint : 0
; COMPUTE_PGM_RSRC2:SCRATCH_EN: 0
; COMPUTE_PGM_RSRC2:USER_SGPR: 15
; COMPUTE_PGM_RSRC2:TRAP_HANDLER: 0
; COMPUTE_PGM_RSRC2:TGID_X_EN: 1
; COMPUTE_PGM_RSRC2:TGID_Y_EN: 0
; COMPUTE_PGM_RSRC2:TGID_Z_EN: 0
; COMPUTE_PGM_RSRC2:TIDIG_COMP_CNT: 0
	.section	.text._ZN7rocprim17ROCPRIM_400000_NS6detail17trampoline_kernelINS0_14default_configENS1_36segmented_radix_sort_config_selectorIhlEEZNS1_25segmented_radix_sort_implIS3_Lb0EPKhPhPKlPlN2at6native12_GLOBAL__N_18offset_tEEE10hipError_tPvRmT1_PNSt15iterator_traitsISK_E10value_typeET2_T3_PNSL_ISQ_E10value_typeET4_jRbjT5_SW_jjP12ihipStream_tbEUlT_E_NS1_11comp_targetILNS1_3genE0ELNS1_11target_archE4294967295ELNS1_3gpuE0ELNS1_3repE0EEENS1_30default_config_static_selectorELNS0_4arch9wavefront6targetE0EEEvSK_,"axG",@progbits,_ZN7rocprim17ROCPRIM_400000_NS6detail17trampoline_kernelINS0_14default_configENS1_36segmented_radix_sort_config_selectorIhlEEZNS1_25segmented_radix_sort_implIS3_Lb0EPKhPhPKlPlN2at6native12_GLOBAL__N_18offset_tEEE10hipError_tPvRmT1_PNSt15iterator_traitsISK_E10value_typeET2_T3_PNSL_ISQ_E10value_typeET4_jRbjT5_SW_jjP12ihipStream_tbEUlT_E_NS1_11comp_targetILNS1_3genE0ELNS1_11target_archE4294967295ELNS1_3gpuE0ELNS1_3repE0EEENS1_30default_config_static_selectorELNS0_4arch9wavefront6targetE0EEEvSK_,comdat
	.globl	_ZN7rocprim17ROCPRIM_400000_NS6detail17trampoline_kernelINS0_14default_configENS1_36segmented_radix_sort_config_selectorIhlEEZNS1_25segmented_radix_sort_implIS3_Lb0EPKhPhPKlPlN2at6native12_GLOBAL__N_18offset_tEEE10hipError_tPvRmT1_PNSt15iterator_traitsISK_E10value_typeET2_T3_PNSL_ISQ_E10value_typeET4_jRbjT5_SW_jjP12ihipStream_tbEUlT_E_NS1_11comp_targetILNS1_3genE0ELNS1_11target_archE4294967295ELNS1_3gpuE0ELNS1_3repE0EEENS1_30default_config_static_selectorELNS0_4arch9wavefront6targetE0EEEvSK_ ; -- Begin function _ZN7rocprim17ROCPRIM_400000_NS6detail17trampoline_kernelINS0_14default_configENS1_36segmented_radix_sort_config_selectorIhlEEZNS1_25segmented_radix_sort_implIS3_Lb0EPKhPhPKlPlN2at6native12_GLOBAL__N_18offset_tEEE10hipError_tPvRmT1_PNSt15iterator_traitsISK_E10value_typeET2_T3_PNSL_ISQ_E10value_typeET4_jRbjT5_SW_jjP12ihipStream_tbEUlT_E_NS1_11comp_targetILNS1_3genE0ELNS1_11target_archE4294967295ELNS1_3gpuE0ELNS1_3repE0EEENS1_30default_config_static_selectorELNS0_4arch9wavefront6targetE0EEEvSK_
	.p2align	8
	.type	_ZN7rocprim17ROCPRIM_400000_NS6detail17trampoline_kernelINS0_14default_configENS1_36segmented_radix_sort_config_selectorIhlEEZNS1_25segmented_radix_sort_implIS3_Lb0EPKhPhPKlPlN2at6native12_GLOBAL__N_18offset_tEEE10hipError_tPvRmT1_PNSt15iterator_traitsISK_E10value_typeET2_T3_PNSL_ISQ_E10value_typeET4_jRbjT5_SW_jjP12ihipStream_tbEUlT_E_NS1_11comp_targetILNS1_3genE0ELNS1_11target_archE4294967295ELNS1_3gpuE0ELNS1_3repE0EEENS1_30default_config_static_selectorELNS0_4arch9wavefront6targetE0EEEvSK_,@function
_ZN7rocprim17ROCPRIM_400000_NS6detail17trampoline_kernelINS0_14default_configENS1_36segmented_radix_sort_config_selectorIhlEEZNS1_25segmented_radix_sort_implIS3_Lb0EPKhPhPKlPlN2at6native12_GLOBAL__N_18offset_tEEE10hipError_tPvRmT1_PNSt15iterator_traitsISK_E10value_typeET2_T3_PNSL_ISQ_E10value_typeET4_jRbjT5_SW_jjP12ihipStream_tbEUlT_E_NS1_11comp_targetILNS1_3genE0ELNS1_11target_archE4294967295ELNS1_3gpuE0ELNS1_3repE0EEENS1_30default_config_static_selectorELNS0_4arch9wavefront6targetE0EEEvSK_: ; @_ZN7rocprim17ROCPRIM_400000_NS6detail17trampoline_kernelINS0_14default_configENS1_36segmented_radix_sort_config_selectorIhlEEZNS1_25segmented_radix_sort_implIS3_Lb0EPKhPhPKlPlN2at6native12_GLOBAL__N_18offset_tEEE10hipError_tPvRmT1_PNSt15iterator_traitsISK_E10value_typeET2_T3_PNSL_ISQ_E10value_typeET4_jRbjT5_SW_jjP12ihipStream_tbEUlT_E_NS1_11comp_targetILNS1_3genE0ELNS1_11target_archE4294967295ELNS1_3gpuE0ELNS1_3repE0EEENS1_30default_config_static_selectorELNS0_4arch9wavefront6targetE0EEEvSK_
; %bb.0:
	.section	.rodata,"a",@progbits
	.p2align	6, 0x0
	.amdhsa_kernel _ZN7rocprim17ROCPRIM_400000_NS6detail17trampoline_kernelINS0_14default_configENS1_36segmented_radix_sort_config_selectorIhlEEZNS1_25segmented_radix_sort_implIS3_Lb0EPKhPhPKlPlN2at6native12_GLOBAL__N_18offset_tEEE10hipError_tPvRmT1_PNSt15iterator_traitsISK_E10value_typeET2_T3_PNSL_ISQ_E10value_typeET4_jRbjT5_SW_jjP12ihipStream_tbEUlT_E_NS1_11comp_targetILNS1_3genE0ELNS1_11target_archE4294967295ELNS1_3gpuE0ELNS1_3repE0EEENS1_30default_config_static_selectorELNS0_4arch9wavefront6targetE0EEEvSK_
		.amdhsa_group_segment_fixed_size 0
		.amdhsa_private_segment_fixed_size 0
		.amdhsa_kernarg_size 96
		.amdhsa_user_sgpr_count 15
		.amdhsa_user_sgpr_dispatch_ptr 0
		.amdhsa_user_sgpr_queue_ptr 0
		.amdhsa_user_sgpr_kernarg_segment_ptr 1
		.amdhsa_user_sgpr_dispatch_id 0
		.amdhsa_user_sgpr_private_segment_size 0
		.amdhsa_wavefront_size32 1
		.amdhsa_uses_dynamic_stack 0
		.amdhsa_enable_private_segment 0
		.amdhsa_system_sgpr_workgroup_id_x 1
		.amdhsa_system_sgpr_workgroup_id_y 0
		.amdhsa_system_sgpr_workgroup_id_z 0
		.amdhsa_system_sgpr_workgroup_info 0
		.amdhsa_system_vgpr_workitem_id 0
		.amdhsa_next_free_vgpr 1
		.amdhsa_next_free_sgpr 1
		.amdhsa_reserve_vcc 0
		.amdhsa_float_round_mode_32 0
		.amdhsa_float_round_mode_16_64 0
		.amdhsa_float_denorm_mode_32 3
		.amdhsa_float_denorm_mode_16_64 3
		.amdhsa_dx10_clamp 1
		.amdhsa_ieee_mode 1
		.amdhsa_fp16_overflow 0
		.amdhsa_workgroup_processor_mode 1
		.amdhsa_memory_ordered 1
		.amdhsa_forward_progress 0
		.amdhsa_shared_vgpr_count 0
		.amdhsa_exception_fp_ieee_invalid_op 0
		.amdhsa_exception_fp_denorm_src 0
		.amdhsa_exception_fp_ieee_div_zero 0
		.amdhsa_exception_fp_ieee_overflow 0
		.amdhsa_exception_fp_ieee_underflow 0
		.amdhsa_exception_fp_ieee_inexact 0
		.amdhsa_exception_int_div_zero 0
	.end_amdhsa_kernel
	.section	.text._ZN7rocprim17ROCPRIM_400000_NS6detail17trampoline_kernelINS0_14default_configENS1_36segmented_radix_sort_config_selectorIhlEEZNS1_25segmented_radix_sort_implIS3_Lb0EPKhPhPKlPlN2at6native12_GLOBAL__N_18offset_tEEE10hipError_tPvRmT1_PNSt15iterator_traitsISK_E10value_typeET2_T3_PNSL_ISQ_E10value_typeET4_jRbjT5_SW_jjP12ihipStream_tbEUlT_E_NS1_11comp_targetILNS1_3genE0ELNS1_11target_archE4294967295ELNS1_3gpuE0ELNS1_3repE0EEENS1_30default_config_static_selectorELNS0_4arch9wavefront6targetE0EEEvSK_,"axG",@progbits,_ZN7rocprim17ROCPRIM_400000_NS6detail17trampoline_kernelINS0_14default_configENS1_36segmented_radix_sort_config_selectorIhlEEZNS1_25segmented_radix_sort_implIS3_Lb0EPKhPhPKlPlN2at6native12_GLOBAL__N_18offset_tEEE10hipError_tPvRmT1_PNSt15iterator_traitsISK_E10value_typeET2_T3_PNSL_ISQ_E10value_typeET4_jRbjT5_SW_jjP12ihipStream_tbEUlT_E_NS1_11comp_targetILNS1_3genE0ELNS1_11target_archE4294967295ELNS1_3gpuE0ELNS1_3repE0EEENS1_30default_config_static_selectorELNS0_4arch9wavefront6targetE0EEEvSK_,comdat
.Lfunc_end186:
	.size	_ZN7rocprim17ROCPRIM_400000_NS6detail17trampoline_kernelINS0_14default_configENS1_36segmented_radix_sort_config_selectorIhlEEZNS1_25segmented_radix_sort_implIS3_Lb0EPKhPhPKlPlN2at6native12_GLOBAL__N_18offset_tEEE10hipError_tPvRmT1_PNSt15iterator_traitsISK_E10value_typeET2_T3_PNSL_ISQ_E10value_typeET4_jRbjT5_SW_jjP12ihipStream_tbEUlT_E_NS1_11comp_targetILNS1_3genE0ELNS1_11target_archE4294967295ELNS1_3gpuE0ELNS1_3repE0EEENS1_30default_config_static_selectorELNS0_4arch9wavefront6targetE0EEEvSK_, .Lfunc_end186-_ZN7rocprim17ROCPRIM_400000_NS6detail17trampoline_kernelINS0_14default_configENS1_36segmented_radix_sort_config_selectorIhlEEZNS1_25segmented_radix_sort_implIS3_Lb0EPKhPhPKlPlN2at6native12_GLOBAL__N_18offset_tEEE10hipError_tPvRmT1_PNSt15iterator_traitsISK_E10value_typeET2_T3_PNSL_ISQ_E10value_typeET4_jRbjT5_SW_jjP12ihipStream_tbEUlT_E_NS1_11comp_targetILNS1_3genE0ELNS1_11target_archE4294967295ELNS1_3gpuE0ELNS1_3repE0EEENS1_30default_config_static_selectorELNS0_4arch9wavefront6targetE0EEEvSK_
                                        ; -- End function
	.section	.AMDGPU.csdata,"",@progbits
; Kernel info:
; codeLenInByte = 0
; NumSgprs: 0
; NumVgprs: 0
; ScratchSize: 0
; MemoryBound: 0
; FloatMode: 240
; IeeeMode: 1
; LDSByteSize: 0 bytes/workgroup (compile time only)
; SGPRBlocks: 0
; VGPRBlocks: 0
; NumSGPRsForWavesPerEU: 1
; NumVGPRsForWavesPerEU: 1
; Occupancy: 16
; WaveLimiterHint : 0
; COMPUTE_PGM_RSRC2:SCRATCH_EN: 0
; COMPUTE_PGM_RSRC2:USER_SGPR: 15
; COMPUTE_PGM_RSRC2:TRAP_HANDLER: 0
; COMPUTE_PGM_RSRC2:TGID_X_EN: 1
; COMPUTE_PGM_RSRC2:TGID_Y_EN: 0
; COMPUTE_PGM_RSRC2:TGID_Z_EN: 0
; COMPUTE_PGM_RSRC2:TIDIG_COMP_CNT: 0
	.section	.text._ZN7rocprim17ROCPRIM_400000_NS6detail17trampoline_kernelINS0_14default_configENS1_36segmented_radix_sort_config_selectorIhlEEZNS1_25segmented_radix_sort_implIS3_Lb0EPKhPhPKlPlN2at6native12_GLOBAL__N_18offset_tEEE10hipError_tPvRmT1_PNSt15iterator_traitsISK_E10value_typeET2_T3_PNSL_ISQ_E10value_typeET4_jRbjT5_SW_jjP12ihipStream_tbEUlT_E_NS1_11comp_targetILNS1_3genE5ELNS1_11target_archE942ELNS1_3gpuE9ELNS1_3repE0EEENS1_30default_config_static_selectorELNS0_4arch9wavefront6targetE0EEEvSK_,"axG",@progbits,_ZN7rocprim17ROCPRIM_400000_NS6detail17trampoline_kernelINS0_14default_configENS1_36segmented_radix_sort_config_selectorIhlEEZNS1_25segmented_radix_sort_implIS3_Lb0EPKhPhPKlPlN2at6native12_GLOBAL__N_18offset_tEEE10hipError_tPvRmT1_PNSt15iterator_traitsISK_E10value_typeET2_T3_PNSL_ISQ_E10value_typeET4_jRbjT5_SW_jjP12ihipStream_tbEUlT_E_NS1_11comp_targetILNS1_3genE5ELNS1_11target_archE942ELNS1_3gpuE9ELNS1_3repE0EEENS1_30default_config_static_selectorELNS0_4arch9wavefront6targetE0EEEvSK_,comdat
	.globl	_ZN7rocprim17ROCPRIM_400000_NS6detail17trampoline_kernelINS0_14default_configENS1_36segmented_radix_sort_config_selectorIhlEEZNS1_25segmented_radix_sort_implIS3_Lb0EPKhPhPKlPlN2at6native12_GLOBAL__N_18offset_tEEE10hipError_tPvRmT1_PNSt15iterator_traitsISK_E10value_typeET2_T3_PNSL_ISQ_E10value_typeET4_jRbjT5_SW_jjP12ihipStream_tbEUlT_E_NS1_11comp_targetILNS1_3genE5ELNS1_11target_archE942ELNS1_3gpuE9ELNS1_3repE0EEENS1_30default_config_static_selectorELNS0_4arch9wavefront6targetE0EEEvSK_ ; -- Begin function _ZN7rocprim17ROCPRIM_400000_NS6detail17trampoline_kernelINS0_14default_configENS1_36segmented_radix_sort_config_selectorIhlEEZNS1_25segmented_radix_sort_implIS3_Lb0EPKhPhPKlPlN2at6native12_GLOBAL__N_18offset_tEEE10hipError_tPvRmT1_PNSt15iterator_traitsISK_E10value_typeET2_T3_PNSL_ISQ_E10value_typeET4_jRbjT5_SW_jjP12ihipStream_tbEUlT_E_NS1_11comp_targetILNS1_3genE5ELNS1_11target_archE942ELNS1_3gpuE9ELNS1_3repE0EEENS1_30default_config_static_selectorELNS0_4arch9wavefront6targetE0EEEvSK_
	.p2align	8
	.type	_ZN7rocprim17ROCPRIM_400000_NS6detail17trampoline_kernelINS0_14default_configENS1_36segmented_radix_sort_config_selectorIhlEEZNS1_25segmented_radix_sort_implIS3_Lb0EPKhPhPKlPlN2at6native12_GLOBAL__N_18offset_tEEE10hipError_tPvRmT1_PNSt15iterator_traitsISK_E10value_typeET2_T3_PNSL_ISQ_E10value_typeET4_jRbjT5_SW_jjP12ihipStream_tbEUlT_E_NS1_11comp_targetILNS1_3genE5ELNS1_11target_archE942ELNS1_3gpuE9ELNS1_3repE0EEENS1_30default_config_static_selectorELNS0_4arch9wavefront6targetE0EEEvSK_,@function
_ZN7rocprim17ROCPRIM_400000_NS6detail17trampoline_kernelINS0_14default_configENS1_36segmented_radix_sort_config_selectorIhlEEZNS1_25segmented_radix_sort_implIS3_Lb0EPKhPhPKlPlN2at6native12_GLOBAL__N_18offset_tEEE10hipError_tPvRmT1_PNSt15iterator_traitsISK_E10value_typeET2_T3_PNSL_ISQ_E10value_typeET4_jRbjT5_SW_jjP12ihipStream_tbEUlT_E_NS1_11comp_targetILNS1_3genE5ELNS1_11target_archE942ELNS1_3gpuE9ELNS1_3repE0EEENS1_30default_config_static_selectorELNS0_4arch9wavefront6targetE0EEEvSK_: ; @_ZN7rocprim17ROCPRIM_400000_NS6detail17trampoline_kernelINS0_14default_configENS1_36segmented_radix_sort_config_selectorIhlEEZNS1_25segmented_radix_sort_implIS3_Lb0EPKhPhPKlPlN2at6native12_GLOBAL__N_18offset_tEEE10hipError_tPvRmT1_PNSt15iterator_traitsISK_E10value_typeET2_T3_PNSL_ISQ_E10value_typeET4_jRbjT5_SW_jjP12ihipStream_tbEUlT_E_NS1_11comp_targetILNS1_3genE5ELNS1_11target_archE942ELNS1_3gpuE9ELNS1_3repE0EEENS1_30default_config_static_selectorELNS0_4arch9wavefront6targetE0EEEvSK_
; %bb.0:
	.section	.rodata,"a",@progbits
	.p2align	6, 0x0
	.amdhsa_kernel _ZN7rocprim17ROCPRIM_400000_NS6detail17trampoline_kernelINS0_14default_configENS1_36segmented_radix_sort_config_selectorIhlEEZNS1_25segmented_radix_sort_implIS3_Lb0EPKhPhPKlPlN2at6native12_GLOBAL__N_18offset_tEEE10hipError_tPvRmT1_PNSt15iterator_traitsISK_E10value_typeET2_T3_PNSL_ISQ_E10value_typeET4_jRbjT5_SW_jjP12ihipStream_tbEUlT_E_NS1_11comp_targetILNS1_3genE5ELNS1_11target_archE942ELNS1_3gpuE9ELNS1_3repE0EEENS1_30default_config_static_selectorELNS0_4arch9wavefront6targetE0EEEvSK_
		.amdhsa_group_segment_fixed_size 0
		.amdhsa_private_segment_fixed_size 0
		.amdhsa_kernarg_size 96
		.amdhsa_user_sgpr_count 15
		.amdhsa_user_sgpr_dispatch_ptr 0
		.amdhsa_user_sgpr_queue_ptr 0
		.amdhsa_user_sgpr_kernarg_segment_ptr 1
		.amdhsa_user_sgpr_dispatch_id 0
		.amdhsa_user_sgpr_private_segment_size 0
		.amdhsa_wavefront_size32 1
		.amdhsa_uses_dynamic_stack 0
		.amdhsa_enable_private_segment 0
		.amdhsa_system_sgpr_workgroup_id_x 1
		.amdhsa_system_sgpr_workgroup_id_y 0
		.amdhsa_system_sgpr_workgroup_id_z 0
		.amdhsa_system_sgpr_workgroup_info 0
		.amdhsa_system_vgpr_workitem_id 0
		.amdhsa_next_free_vgpr 1
		.amdhsa_next_free_sgpr 1
		.amdhsa_reserve_vcc 0
		.amdhsa_float_round_mode_32 0
		.amdhsa_float_round_mode_16_64 0
		.amdhsa_float_denorm_mode_32 3
		.amdhsa_float_denorm_mode_16_64 3
		.amdhsa_dx10_clamp 1
		.amdhsa_ieee_mode 1
		.amdhsa_fp16_overflow 0
		.amdhsa_workgroup_processor_mode 1
		.amdhsa_memory_ordered 1
		.amdhsa_forward_progress 0
		.amdhsa_shared_vgpr_count 0
		.amdhsa_exception_fp_ieee_invalid_op 0
		.amdhsa_exception_fp_denorm_src 0
		.amdhsa_exception_fp_ieee_div_zero 0
		.amdhsa_exception_fp_ieee_overflow 0
		.amdhsa_exception_fp_ieee_underflow 0
		.amdhsa_exception_fp_ieee_inexact 0
		.amdhsa_exception_int_div_zero 0
	.end_amdhsa_kernel
	.section	.text._ZN7rocprim17ROCPRIM_400000_NS6detail17trampoline_kernelINS0_14default_configENS1_36segmented_radix_sort_config_selectorIhlEEZNS1_25segmented_radix_sort_implIS3_Lb0EPKhPhPKlPlN2at6native12_GLOBAL__N_18offset_tEEE10hipError_tPvRmT1_PNSt15iterator_traitsISK_E10value_typeET2_T3_PNSL_ISQ_E10value_typeET4_jRbjT5_SW_jjP12ihipStream_tbEUlT_E_NS1_11comp_targetILNS1_3genE5ELNS1_11target_archE942ELNS1_3gpuE9ELNS1_3repE0EEENS1_30default_config_static_selectorELNS0_4arch9wavefront6targetE0EEEvSK_,"axG",@progbits,_ZN7rocprim17ROCPRIM_400000_NS6detail17trampoline_kernelINS0_14default_configENS1_36segmented_radix_sort_config_selectorIhlEEZNS1_25segmented_radix_sort_implIS3_Lb0EPKhPhPKlPlN2at6native12_GLOBAL__N_18offset_tEEE10hipError_tPvRmT1_PNSt15iterator_traitsISK_E10value_typeET2_T3_PNSL_ISQ_E10value_typeET4_jRbjT5_SW_jjP12ihipStream_tbEUlT_E_NS1_11comp_targetILNS1_3genE5ELNS1_11target_archE942ELNS1_3gpuE9ELNS1_3repE0EEENS1_30default_config_static_selectorELNS0_4arch9wavefront6targetE0EEEvSK_,comdat
.Lfunc_end187:
	.size	_ZN7rocprim17ROCPRIM_400000_NS6detail17trampoline_kernelINS0_14default_configENS1_36segmented_radix_sort_config_selectorIhlEEZNS1_25segmented_radix_sort_implIS3_Lb0EPKhPhPKlPlN2at6native12_GLOBAL__N_18offset_tEEE10hipError_tPvRmT1_PNSt15iterator_traitsISK_E10value_typeET2_T3_PNSL_ISQ_E10value_typeET4_jRbjT5_SW_jjP12ihipStream_tbEUlT_E_NS1_11comp_targetILNS1_3genE5ELNS1_11target_archE942ELNS1_3gpuE9ELNS1_3repE0EEENS1_30default_config_static_selectorELNS0_4arch9wavefront6targetE0EEEvSK_, .Lfunc_end187-_ZN7rocprim17ROCPRIM_400000_NS6detail17trampoline_kernelINS0_14default_configENS1_36segmented_radix_sort_config_selectorIhlEEZNS1_25segmented_radix_sort_implIS3_Lb0EPKhPhPKlPlN2at6native12_GLOBAL__N_18offset_tEEE10hipError_tPvRmT1_PNSt15iterator_traitsISK_E10value_typeET2_T3_PNSL_ISQ_E10value_typeET4_jRbjT5_SW_jjP12ihipStream_tbEUlT_E_NS1_11comp_targetILNS1_3genE5ELNS1_11target_archE942ELNS1_3gpuE9ELNS1_3repE0EEENS1_30default_config_static_selectorELNS0_4arch9wavefront6targetE0EEEvSK_
                                        ; -- End function
	.section	.AMDGPU.csdata,"",@progbits
; Kernel info:
; codeLenInByte = 0
; NumSgprs: 0
; NumVgprs: 0
; ScratchSize: 0
; MemoryBound: 0
; FloatMode: 240
; IeeeMode: 1
; LDSByteSize: 0 bytes/workgroup (compile time only)
; SGPRBlocks: 0
; VGPRBlocks: 0
; NumSGPRsForWavesPerEU: 1
; NumVGPRsForWavesPerEU: 1
; Occupancy: 16
; WaveLimiterHint : 0
; COMPUTE_PGM_RSRC2:SCRATCH_EN: 0
; COMPUTE_PGM_RSRC2:USER_SGPR: 15
; COMPUTE_PGM_RSRC2:TRAP_HANDLER: 0
; COMPUTE_PGM_RSRC2:TGID_X_EN: 1
; COMPUTE_PGM_RSRC2:TGID_Y_EN: 0
; COMPUTE_PGM_RSRC2:TGID_Z_EN: 0
; COMPUTE_PGM_RSRC2:TIDIG_COMP_CNT: 0
	.section	.text._ZN7rocprim17ROCPRIM_400000_NS6detail17trampoline_kernelINS0_14default_configENS1_36segmented_radix_sort_config_selectorIhlEEZNS1_25segmented_radix_sort_implIS3_Lb0EPKhPhPKlPlN2at6native12_GLOBAL__N_18offset_tEEE10hipError_tPvRmT1_PNSt15iterator_traitsISK_E10value_typeET2_T3_PNSL_ISQ_E10value_typeET4_jRbjT5_SW_jjP12ihipStream_tbEUlT_E_NS1_11comp_targetILNS1_3genE4ELNS1_11target_archE910ELNS1_3gpuE8ELNS1_3repE0EEENS1_30default_config_static_selectorELNS0_4arch9wavefront6targetE0EEEvSK_,"axG",@progbits,_ZN7rocprim17ROCPRIM_400000_NS6detail17trampoline_kernelINS0_14default_configENS1_36segmented_radix_sort_config_selectorIhlEEZNS1_25segmented_radix_sort_implIS3_Lb0EPKhPhPKlPlN2at6native12_GLOBAL__N_18offset_tEEE10hipError_tPvRmT1_PNSt15iterator_traitsISK_E10value_typeET2_T3_PNSL_ISQ_E10value_typeET4_jRbjT5_SW_jjP12ihipStream_tbEUlT_E_NS1_11comp_targetILNS1_3genE4ELNS1_11target_archE910ELNS1_3gpuE8ELNS1_3repE0EEENS1_30default_config_static_selectorELNS0_4arch9wavefront6targetE0EEEvSK_,comdat
	.globl	_ZN7rocprim17ROCPRIM_400000_NS6detail17trampoline_kernelINS0_14default_configENS1_36segmented_radix_sort_config_selectorIhlEEZNS1_25segmented_radix_sort_implIS3_Lb0EPKhPhPKlPlN2at6native12_GLOBAL__N_18offset_tEEE10hipError_tPvRmT1_PNSt15iterator_traitsISK_E10value_typeET2_T3_PNSL_ISQ_E10value_typeET4_jRbjT5_SW_jjP12ihipStream_tbEUlT_E_NS1_11comp_targetILNS1_3genE4ELNS1_11target_archE910ELNS1_3gpuE8ELNS1_3repE0EEENS1_30default_config_static_selectorELNS0_4arch9wavefront6targetE0EEEvSK_ ; -- Begin function _ZN7rocprim17ROCPRIM_400000_NS6detail17trampoline_kernelINS0_14default_configENS1_36segmented_radix_sort_config_selectorIhlEEZNS1_25segmented_radix_sort_implIS3_Lb0EPKhPhPKlPlN2at6native12_GLOBAL__N_18offset_tEEE10hipError_tPvRmT1_PNSt15iterator_traitsISK_E10value_typeET2_T3_PNSL_ISQ_E10value_typeET4_jRbjT5_SW_jjP12ihipStream_tbEUlT_E_NS1_11comp_targetILNS1_3genE4ELNS1_11target_archE910ELNS1_3gpuE8ELNS1_3repE0EEENS1_30default_config_static_selectorELNS0_4arch9wavefront6targetE0EEEvSK_
	.p2align	8
	.type	_ZN7rocprim17ROCPRIM_400000_NS6detail17trampoline_kernelINS0_14default_configENS1_36segmented_radix_sort_config_selectorIhlEEZNS1_25segmented_radix_sort_implIS3_Lb0EPKhPhPKlPlN2at6native12_GLOBAL__N_18offset_tEEE10hipError_tPvRmT1_PNSt15iterator_traitsISK_E10value_typeET2_T3_PNSL_ISQ_E10value_typeET4_jRbjT5_SW_jjP12ihipStream_tbEUlT_E_NS1_11comp_targetILNS1_3genE4ELNS1_11target_archE910ELNS1_3gpuE8ELNS1_3repE0EEENS1_30default_config_static_selectorELNS0_4arch9wavefront6targetE0EEEvSK_,@function
_ZN7rocprim17ROCPRIM_400000_NS6detail17trampoline_kernelINS0_14default_configENS1_36segmented_radix_sort_config_selectorIhlEEZNS1_25segmented_radix_sort_implIS3_Lb0EPKhPhPKlPlN2at6native12_GLOBAL__N_18offset_tEEE10hipError_tPvRmT1_PNSt15iterator_traitsISK_E10value_typeET2_T3_PNSL_ISQ_E10value_typeET4_jRbjT5_SW_jjP12ihipStream_tbEUlT_E_NS1_11comp_targetILNS1_3genE4ELNS1_11target_archE910ELNS1_3gpuE8ELNS1_3repE0EEENS1_30default_config_static_selectorELNS0_4arch9wavefront6targetE0EEEvSK_: ; @_ZN7rocprim17ROCPRIM_400000_NS6detail17trampoline_kernelINS0_14default_configENS1_36segmented_radix_sort_config_selectorIhlEEZNS1_25segmented_radix_sort_implIS3_Lb0EPKhPhPKlPlN2at6native12_GLOBAL__N_18offset_tEEE10hipError_tPvRmT1_PNSt15iterator_traitsISK_E10value_typeET2_T3_PNSL_ISQ_E10value_typeET4_jRbjT5_SW_jjP12ihipStream_tbEUlT_E_NS1_11comp_targetILNS1_3genE4ELNS1_11target_archE910ELNS1_3gpuE8ELNS1_3repE0EEENS1_30default_config_static_selectorELNS0_4arch9wavefront6targetE0EEEvSK_
; %bb.0:
	.section	.rodata,"a",@progbits
	.p2align	6, 0x0
	.amdhsa_kernel _ZN7rocprim17ROCPRIM_400000_NS6detail17trampoline_kernelINS0_14default_configENS1_36segmented_radix_sort_config_selectorIhlEEZNS1_25segmented_radix_sort_implIS3_Lb0EPKhPhPKlPlN2at6native12_GLOBAL__N_18offset_tEEE10hipError_tPvRmT1_PNSt15iterator_traitsISK_E10value_typeET2_T3_PNSL_ISQ_E10value_typeET4_jRbjT5_SW_jjP12ihipStream_tbEUlT_E_NS1_11comp_targetILNS1_3genE4ELNS1_11target_archE910ELNS1_3gpuE8ELNS1_3repE0EEENS1_30default_config_static_selectorELNS0_4arch9wavefront6targetE0EEEvSK_
		.amdhsa_group_segment_fixed_size 0
		.amdhsa_private_segment_fixed_size 0
		.amdhsa_kernarg_size 96
		.amdhsa_user_sgpr_count 15
		.amdhsa_user_sgpr_dispatch_ptr 0
		.amdhsa_user_sgpr_queue_ptr 0
		.amdhsa_user_sgpr_kernarg_segment_ptr 1
		.amdhsa_user_sgpr_dispatch_id 0
		.amdhsa_user_sgpr_private_segment_size 0
		.amdhsa_wavefront_size32 1
		.amdhsa_uses_dynamic_stack 0
		.amdhsa_enable_private_segment 0
		.amdhsa_system_sgpr_workgroup_id_x 1
		.amdhsa_system_sgpr_workgroup_id_y 0
		.amdhsa_system_sgpr_workgroup_id_z 0
		.amdhsa_system_sgpr_workgroup_info 0
		.amdhsa_system_vgpr_workitem_id 0
		.amdhsa_next_free_vgpr 1
		.amdhsa_next_free_sgpr 1
		.amdhsa_reserve_vcc 0
		.amdhsa_float_round_mode_32 0
		.amdhsa_float_round_mode_16_64 0
		.amdhsa_float_denorm_mode_32 3
		.amdhsa_float_denorm_mode_16_64 3
		.amdhsa_dx10_clamp 1
		.amdhsa_ieee_mode 1
		.amdhsa_fp16_overflow 0
		.amdhsa_workgroup_processor_mode 1
		.amdhsa_memory_ordered 1
		.amdhsa_forward_progress 0
		.amdhsa_shared_vgpr_count 0
		.amdhsa_exception_fp_ieee_invalid_op 0
		.amdhsa_exception_fp_denorm_src 0
		.amdhsa_exception_fp_ieee_div_zero 0
		.amdhsa_exception_fp_ieee_overflow 0
		.amdhsa_exception_fp_ieee_underflow 0
		.amdhsa_exception_fp_ieee_inexact 0
		.amdhsa_exception_int_div_zero 0
	.end_amdhsa_kernel
	.section	.text._ZN7rocprim17ROCPRIM_400000_NS6detail17trampoline_kernelINS0_14default_configENS1_36segmented_radix_sort_config_selectorIhlEEZNS1_25segmented_radix_sort_implIS3_Lb0EPKhPhPKlPlN2at6native12_GLOBAL__N_18offset_tEEE10hipError_tPvRmT1_PNSt15iterator_traitsISK_E10value_typeET2_T3_PNSL_ISQ_E10value_typeET4_jRbjT5_SW_jjP12ihipStream_tbEUlT_E_NS1_11comp_targetILNS1_3genE4ELNS1_11target_archE910ELNS1_3gpuE8ELNS1_3repE0EEENS1_30default_config_static_selectorELNS0_4arch9wavefront6targetE0EEEvSK_,"axG",@progbits,_ZN7rocprim17ROCPRIM_400000_NS6detail17trampoline_kernelINS0_14default_configENS1_36segmented_radix_sort_config_selectorIhlEEZNS1_25segmented_radix_sort_implIS3_Lb0EPKhPhPKlPlN2at6native12_GLOBAL__N_18offset_tEEE10hipError_tPvRmT1_PNSt15iterator_traitsISK_E10value_typeET2_T3_PNSL_ISQ_E10value_typeET4_jRbjT5_SW_jjP12ihipStream_tbEUlT_E_NS1_11comp_targetILNS1_3genE4ELNS1_11target_archE910ELNS1_3gpuE8ELNS1_3repE0EEENS1_30default_config_static_selectorELNS0_4arch9wavefront6targetE0EEEvSK_,comdat
.Lfunc_end188:
	.size	_ZN7rocprim17ROCPRIM_400000_NS6detail17trampoline_kernelINS0_14default_configENS1_36segmented_radix_sort_config_selectorIhlEEZNS1_25segmented_radix_sort_implIS3_Lb0EPKhPhPKlPlN2at6native12_GLOBAL__N_18offset_tEEE10hipError_tPvRmT1_PNSt15iterator_traitsISK_E10value_typeET2_T3_PNSL_ISQ_E10value_typeET4_jRbjT5_SW_jjP12ihipStream_tbEUlT_E_NS1_11comp_targetILNS1_3genE4ELNS1_11target_archE910ELNS1_3gpuE8ELNS1_3repE0EEENS1_30default_config_static_selectorELNS0_4arch9wavefront6targetE0EEEvSK_, .Lfunc_end188-_ZN7rocprim17ROCPRIM_400000_NS6detail17trampoline_kernelINS0_14default_configENS1_36segmented_radix_sort_config_selectorIhlEEZNS1_25segmented_radix_sort_implIS3_Lb0EPKhPhPKlPlN2at6native12_GLOBAL__N_18offset_tEEE10hipError_tPvRmT1_PNSt15iterator_traitsISK_E10value_typeET2_T3_PNSL_ISQ_E10value_typeET4_jRbjT5_SW_jjP12ihipStream_tbEUlT_E_NS1_11comp_targetILNS1_3genE4ELNS1_11target_archE910ELNS1_3gpuE8ELNS1_3repE0EEENS1_30default_config_static_selectorELNS0_4arch9wavefront6targetE0EEEvSK_
                                        ; -- End function
	.section	.AMDGPU.csdata,"",@progbits
; Kernel info:
; codeLenInByte = 0
; NumSgprs: 0
; NumVgprs: 0
; ScratchSize: 0
; MemoryBound: 0
; FloatMode: 240
; IeeeMode: 1
; LDSByteSize: 0 bytes/workgroup (compile time only)
; SGPRBlocks: 0
; VGPRBlocks: 0
; NumSGPRsForWavesPerEU: 1
; NumVGPRsForWavesPerEU: 1
; Occupancy: 16
; WaveLimiterHint : 0
; COMPUTE_PGM_RSRC2:SCRATCH_EN: 0
; COMPUTE_PGM_RSRC2:USER_SGPR: 15
; COMPUTE_PGM_RSRC2:TRAP_HANDLER: 0
; COMPUTE_PGM_RSRC2:TGID_X_EN: 1
; COMPUTE_PGM_RSRC2:TGID_Y_EN: 0
; COMPUTE_PGM_RSRC2:TGID_Z_EN: 0
; COMPUTE_PGM_RSRC2:TIDIG_COMP_CNT: 0
	.section	.text._ZN7rocprim17ROCPRIM_400000_NS6detail17trampoline_kernelINS0_14default_configENS1_36segmented_radix_sort_config_selectorIhlEEZNS1_25segmented_radix_sort_implIS3_Lb0EPKhPhPKlPlN2at6native12_GLOBAL__N_18offset_tEEE10hipError_tPvRmT1_PNSt15iterator_traitsISK_E10value_typeET2_T3_PNSL_ISQ_E10value_typeET4_jRbjT5_SW_jjP12ihipStream_tbEUlT_E_NS1_11comp_targetILNS1_3genE3ELNS1_11target_archE908ELNS1_3gpuE7ELNS1_3repE0EEENS1_30default_config_static_selectorELNS0_4arch9wavefront6targetE0EEEvSK_,"axG",@progbits,_ZN7rocprim17ROCPRIM_400000_NS6detail17trampoline_kernelINS0_14default_configENS1_36segmented_radix_sort_config_selectorIhlEEZNS1_25segmented_radix_sort_implIS3_Lb0EPKhPhPKlPlN2at6native12_GLOBAL__N_18offset_tEEE10hipError_tPvRmT1_PNSt15iterator_traitsISK_E10value_typeET2_T3_PNSL_ISQ_E10value_typeET4_jRbjT5_SW_jjP12ihipStream_tbEUlT_E_NS1_11comp_targetILNS1_3genE3ELNS1_11target_archE908ELNS1_3gpuE7ELNS1_3repE0EEENS1_30default_config_static_selectorELNS0_4arch9wavefront6targetE0EEEvSK_,comdat
	.globl	_ZN7rocprim17ROCPRIM_400000_NS6detail17trampoline_kernelINS0_14default_configENS1_36segmented_radix_sort_config_selectorIhlEEZNS1_25segmented_radix_sort_implIS3_Lb0EPKhPhPKlPlN2at6native12_GLOBAL__N_18offset_tEEE10hipError_tPvRmT1_PNSt15iterator_traitsISK_E10value_typeET2_T3_PNSL_ISQ_E10value_typeET4_jRbjT5_SW_jjP12ihipStream_tbEUlT_E_NS1_11comp_targetILNS1_3genE3ELNS1_11target_archE908ELNS1_3gpuE7ELNS1_3repE0EEENS1_30default_config_static_selectorELNS0_4arch9wavefront6targetE0EEEvSK_ ; -- Begin function _ZN7rocprim17ROCPRIM_400000_NS6detail17trampoline_kernelINS0_14default_configENS1_36segmented_radix_sort_config_selectorIhlEEZNS1_25segmented_radix_sort_implIS3_Lb0EPKhPhPKlPlN2at6native12_GLOBAL__N_18offset_tEEE10hipError_tPvRmT1_PNSt15iterator_traitsISK_E10value_typeET2_T3_PNSL_ISQ_E10value_typeET4_jRbjT5_SW_jjP12ihipStream_tbEUlT_E_NS1_11comp_targetILNS1_3genE3ELNS1_11target_archE908ELNS1_3gpuE7ELNS1_3repE0EEENS1_30default_config_static_selectorELNS0_4arch9wavefront6targetE0EEEvSK_
	.p2align	8
	.type	_ZN7rocprim17ROCPRIM_400000_NS6detail17trampoline_kernelINS0_14default_configENS1_36segmented_radix_sort_config_selectorIhlEEZNS1_25segmented_radix_sort_implIS3_Lb0EPKhPhPKlPlN2at6native12_GLOBAL__N_18offset_tEEE10hipError_tPvRmT1_PNSt15iterator_traitsISK_E10value_typeET2_T3_PNSL_ISQ_E10value_typeET4_jRbjT5_SW_jjP12ihipStream_tbEUlT_E_NS1_11comp_targetILNS1_3genE3ELNS1_11target_archE908ELNS1_3gpuE7ELNS1_3repE0EEENS1_30default_config_static_selectorELNS0_4arch9wavefront6targetE0EEEvSK_,@function
_ZN7rocprim17ROCPRIM_400000_NS6detail17trampoline_kernelINS0_14default_configENS1_36segmented_radix_sort_config_selectorIhlEEZNS1_25segmented_radix_sort_implIS3_Lb0EPKhPhPKlPlN2at6native12_GLOBAL__N_18offset_tEEE10hipError_tPvRmT1_PNSt15iterator_traitsISK_E10value_typeET2_T3_PNSL_ISQ_E10value_typeET4_jRbjT5_SW_jjP12ihipStream_tbEUlT_E_NS1_11comp_targetILNS1_3genE3ELNS1_11target_archE908ELNS1_3gpuE7ELNS1_3repE0EEENS1_30default_config_static_selectorELNS0_4arch9wavefront6targetE0EEEvSK_: ; @_ZN7rocprim17ROCPRIM_400000_NS6detail17trampoline_kernelINS0_14default_configENS1_36segmented_radix_sort_config_selectorIhlEEZNS1_25segmented_radix_sort_implIS3_Lb0EPKhPhPKlPlN2at6native12_GLOBAL__N_18offset_tEEE10hipError_tPvRmT1_PNSt15iterator_traitsISK_E10value_typeET2_T3_PNSL_ISQ_E10value_typeET4_jRbjT5_SW_jjP12ihipStream_tbEUlT_E_NS1_11comp_targetILNS1_3genE3ELNS1_11target_archE908ELNS1_3gpuE7ELNS1_3repE0EEENS1_30default_config_static_selectorELNS0_4arch9wavefront6targetE0EEEvSK_
; %bb.0:
	.section	.rodata,"a",@progbits
	.p2align	6, 0x0
	.amdhsa_kernel _ZN7rocprim17ROCPRIM_400000_NS6detail17trampoline_kernelINS0_14default_configENS1_36segmented_radix_sort_config_selectorIhlEEZNS1_25segmented_radix_sort_implIS3_Lb0EPKhPhPKlPlN2at6native12_GLOBAL__N_18offset_tEEE10hipError_tPvRmT1_PNSt15iterator_traitsISK_E10value_typeET2_T3_PNSL_ISQ_E10value_typeET4_jRbjT5_SW_jjP12ihipStream_tbEUlT_E_NS1_11comp_targetILNS1_3genE3ELNS1_11target_archE908ELNS1_3gpuE7ELNS1_3repE0EEENS1_30default_config_static_selectorELNS0_4arch9wavefront6targetE0EEEvSK_
		.amdhsa_group_segment_fixed_size 0
		.amdhsa_private_segment_fixed_size 0
		.amdhsa_kernarg_size 96
		.amdhsa_user_sgpr_count 15
		.amdhsa_user_sgpr_dispatch_ptr 0
		.amdhsa_user_sgpr_queue_ptr 0
		.amdhsa_user_sgpr_kernarg_segment_ptr 1
		.amdhsa_user_sgpr_dispatch_id 0
		.amdhsa_user_sgpr_private_segment_size 0
		.amdhsa_wavefront_size32 1
		.amdhsa_uses_dynamic_stack 0
		.amdhsa_enable_private_segment 0
		.amdhsa_system_sgpr_workgroup_id_x 1
		.amdhsa_system_sgpr_workgroup_id_y 0
		.amdhsa_system_sgpr_workgroup_id_z 0
		.amdhsa_system_sgpr_workgroup_info 0
		.amdhsa_system_vgpr_workitem_id 0
		.amdhsa_next_free_vgpr 1
		.amdhsa_next_free_sgpr 1
		.amdhsa_reserve_vcc 0
		.amdhsa_float_round_mode_32 0
		.amdhsa_float_round_mode_16_64 0
		.amdhsa_float_denorm_mode_32 3
		.amdhsa_float_denorm_mode_16_64 3
		.amdhsa_dx10_clamp 1
		.amdhsa_ieee_mode 1
		.amdhsa_fp16_overflow 0
		.amdhsa_workgroup_processor_mode 1
		.amdhsa_memory_ordered 1
		.amdhsa_forward_progress 0
		.amdhsa_shared_vgpr_count 0
		.amdhsa_exception_fp_ieee_invalid_op 0
		.amdhsa_exception_fp_denorm_src 0
		.amdhsa_exception_fp_ieee_div_zero 0
		.amdhsa_exception_fp_ieee_overflow 0
		.amdhsa_exception_fp_ieee_underflow 0
		.amdhsa_exception_fp_ieee_inexact 0
		.amdhsa_exception_int_div_zero 0
	.end_amdhsa_kernel
	.section	.text._ZN7rocprim17ROCPRIM_400000_NS6detail17trampoline_kernelINS0_14default_configENS1_36segmented_radix_sort_config_selectorIhlEEZNS1_25segmented_radix_sort_implIS3_Lb0EPKhPhPKlPlN2at6native12_GLOBAL__N_18offset_tEEE10hipError_tPvRmT1_PNSt15iterator_traitsISK_E10value_typeET2_T3_PNSL_ISQ_E10value_typeET4_jRbjT5_SW_jjP12ihipStream_tbEUlT_E_NS1_11comp_targetILNS1_3genE3ELNS1_11target_archE908ELNS1_3gpuE7ELNS1_3repE0EEENS1_30default_config_static_selectorELNS0_4arch9wavefront6targetE0EEEvSK_,"axG",@progbits,_ZN7rocprim17ROCPRIM_400000_NS6detail17trampoline_kernelINS0_14default_configENS1_36segmented_radix_sort_config_selectorIhlEEZNS1_25segmented_radix_sort_implIS3_Lb0EPKhPhPKlPlN2at6native12_GLOBAL__N_18offset_tEEE10hipError_tPvRmT1_PNSt15iterator_traitsISK_E10value_typeET2_T3_PNSL_ISQ_E10value_typeET4_jRbjT5_SW_jjP12ihipStream_tbEUlT_E_NS1_11comp_targetILNS1_3genE3ELNS1_11target_archE908ELNS1_3gpuE7ELNS1_3repE0EEENS1_30default_config_static_selectorELNS0_4arch9wavefront6targetE0EEEvSK_,comdat
.Lfunc_end189:
	.size	_ZN7rocprim17ROCPRIM_400000_NS6detail17trampoline_kernelINS0_14default_configENS1_36segmented_radix_sort_config_selectorIhlEEZNS1_25segmented_radix_sort_implIS3_Lb0EPKhPhPKlPlN2at6native12_GLOBAL__N_18offset_tEEE10hipError_tPvRmT1_PNSt15iterator_traitsISK_E10value_typeET2_T3_PNSL_ISQ_E10value_typeET4_jRbjT5_SW_jjP12ihipStream_tbEUlT_E_NS1_11comp_targetILNS1_3genE3ELNS1_11target_archE908ELNS1_3gpuE7ELNS1_3repE0EEENS1_30default_config_static_selectorELNS0_4arch9wavefront6targetE0EEEvSK_, .Lfunc_end189-_ZN7rocprim17ROCPRIM_400000_NS6detail17trampoline_kernelINS0_14default_configENS1_36segmented_radix_sort_config_selectorIhlEEZNS1_25segmented_radix_sort_implIS3_Lb0EPKhPhPKlPlN2at6native12_GLOBAL__N_18offset_tEEE10hipError_tPvRmT1_PNSt15iterator_traitsISK_E10value_typeET2_T3_PNSL_ISQ_E10value_typeET4_jRbjT5_SW_jjP12ihipStream_tbEUlT_E_NS1_11comp_targetILNS1_3genE3ELNS1_11target_archE908ELNS1_3gpuE7ELNS1_3repE0EEENS1_30default_config_static_selectorELNS0_4arch9wavefront6targetE0EEEvSK_
                                        ; -- End function
	.section	.AMDGPU.csdata,"",@progbits
; Kernel info:
; codeLenInByte = 0
; NumSgprs: 0
; NumVgprs: 0
; ScratchSize: 0
; MemoryBound: 0
; FloatMode: 240
; IeeeMode: 1
; LDSByteSize: 0 bytes/workgroup (compile time only)
; SGPRBlocks: 0
; VGPRBlocks: 0
; NumSGPRsForWavesPerEU: 1
; NumVGPRsForWavesPerEU: 1
; Occupancy: 16
; WaveLimiterHint : 0
; COMPUTE_PGM_RSRC2:SCRATCH_EN: 0
; COMPUTE_PGM_RSRC2:USER_SGPR: 15
; COMPUTE_PGM_RSRC2:TRAP_HANDLER: 0
; COMPUTE_PGM_RSRC2:TGID_X_EN: 1
; COMPUTE_PGM_RSRC2:TGID_Y_EN: 0
; COMPUTE_PGM_RSRC2:TGID_Z_EN: 0
; COMPUTE_PGM_RSRC2:TIDIG_COMP_CNT: 0
	.section	.text._ZN7rocprim17ROCPRIM_400000_NS6detail17trampoline_kernelINS0_14default_configENS1_36segmented_radix_sort_config_selectorIhlEEZNS1_25segmented_radix_sort_implIS3_Lb0EPKhPhPKlPlN2at6native12_GLOBAL__N_18offset_tEEE10hipError_tPvRmT1_PNSt15iterator_traitsISK_E10value_typeET2_T3_PNSL_ISQ_E10value_typeET4_jRbjT5_SW_jjP12ihipStream_tbEUlT_E_NS1_11comp_targetILNS1_3genE2ELNS1_11target_archE906ELNS1_3gpuE6ELNS1_3repE0EEENS1_30default_config_static_selectorELNS0_4arch9wavefront6targetE0EEEvSK_,"axG",@progbits,_ZN7rocprim17ROCPRIM_400000_NS6detail17trampoline_kernelINS0_14default_configENS1_36segmented_radix_sort_config_selectorIhlEEZNS1_25segmented_radix_sort_implIS3_Lb0EPKhPhPKlPlN2at6native12_GLOBAL__N_18offset_tEEE10hipError_tPvRmT1_PNSt15iterator_traitsISK_E10value_typeET2_T3_PNSL_ISQ_E10value_typeET4_jRbjT5_SW_jjP12ihipStream_tbEUlT_E_NS1_11comp_targetILNS1_3genE2ELNS1_11target_archE906ELNS1_3gpuE6ELNS1_3repE0EEENS1_30default_config_static_selectorELNS0_4arch9wavefront6targetE0EEEvSK_,comdat
	.globl	_ZN7rocprim17ROCPRIM_400000_NS6detail17trampoline_kernelINS0_14default_configENS1_36segmented_radix_sort_config_selectorIhlEEZNS1_25segmented_radix_sort_implIS3_Lb0EPKhPhPKlPlN2at6native12_GLOBAL__N_18offset_tEEE10hipError_tPvRmT1_PNSt15iterator_traitsISK_E10value_typeET2_T3_PNSL_ISQ_E10value_typeET4_jRbjT5_SW_jjP12ihipStream_tbEUlT_E_NS1_11comp_targetILNS1_3genE2ELNS1_11target_archE906ELNS1_3gpuE6ELNS1_3repE0EEENS1_30default_config_static_selectorELNS0_4arch9wavefront6targetE0EEEvSK_ ; -- Begin function _ZN7rocprim17ROCPRIM_400000_NS6detail17trampoline_kernelINS0_14default_configENS1_36segmented_radix_sort_config_selectorIhlEEZNS1_25segmented_radix_sort_implIS3_Lb0EPKhPhPKlPlN2at6native12_GLOBAL__N_18offset_tEEE10hipError_tPvRmT1_PNSt15iterator_traitsISK_E10value_typeET2_T3_PNSL_ISQ_E10value_typeET4_jRbjT5_SW_jjP12ihipStream_tbEUlT_E_NS1_11comp_targetILNS1_3genE2ELNS1_11target_archE906ELNS1_3gpuE6ELNS1_3repE0EEENS1_30default_config_static_selectorELNS0_4arch9wavefront6targetE0EEEvSK_
	.p2align	8
	.type	_ZN7rocprim17ROCPRIM_400000_NS6detail17trampoline_kernelINS0_14default_configENS1_36segmented_radix_sort_config_selectorIhlEEZNS1_25segmented_radix_sort_implIS3_Lb0EPKhPhPKlPlN2at6native12_GLOBAL__N_18offset_tEEE10hipError_tPvRmT1_PNSt15iterator_traitsISK_E10value_typeET2_T3_PNSL_ISQ_E10value_typeET4_jRbjT5_SW_jjP12ihipStream_tbEUlT_E_NS1_11comp_targetILNS1_3genE2ELNS1_11target_archE906ELNS1_3gpuE6ELNS1_3repE0EEENS1_30default_config_static_selectorELNS0_4arch9wavefront6targetE0EEEvSK_,@function
_ZN7rocprim17ROCPRIM_400000_NS6detail17trampoline_kernelINS0_14default_configENS1_36segmented_radix_sort_config_selectorIhlEEZNS1_25segmented_radix_sort_implIS3_Lb0EPKhPhPKlPlN2at6native12_GLOBAL__N_18offset_tEEE10hipError_tPvRmT1_PNSt15iterator_traitsISK_E10value_typeET2_T3_PNSL_ISQ_E10value_typeET4_jRbjT5_SW_jjP12ihipStream_tbEUlT_E_NS1_11comp_targetILNS1_3genE2ELNS1_11target_archE906ELNS1_3gpuE6ELNS1_3repE0EEENS1_30default_config_static_selectorELNS0_4arch9wavefront6targetE0EEEvSK_: ; @_ZN7rocprim17ROCPRIM_400000_NS6detail17trampoline_kernelINS0_14default_configENS1_36segmented_radix_sort_config_selectorIhlEEZNS1_25segmented_radix_sort_implIS3_Lb0EPKhPhPKlPlN2at6native12_GLOBAL__N_18offset_tEEE10hipError_tPvRmT1_PNSt15iterator_traitsISK_E10value_typeET2_T3_PNSL_ISQ_E10value_typeET4_jRbjT5_SW_jjP12ihipStream_tbEUlT_E_NS1_11comp_targetILNS1_3genE2ELNS1_11target_archE906ELNS1_3gpuE6ELNS1_3repE0EEENS1_30default_config_static_selectorELNS0_4arch9wavefront6targetE0EEEvSK_
; %bb.0:
	.section	.rodata,"a",@progbits
	.p2align	6, 0x0
	.amdhsa_kernel _ZN7rocprim17ROCPRIM_400000_NS6detail17trampoline_kernelINS0_14default_configENS1_36segmented_radix_sort_config_selectorIhlEEZNS1_25segmented_radix_sort_implIS3_Lb0EPKhPhPKlPlN2at6native12_GLOBAL__N_18offset_tEEE10hipError_tPvRmT1_PNSt15iterator_traitsISK_E10value_typeET2_T3_PNSL_ISQ_E10value_typeET4_jRbjT5_SW_jjP12ihipStream_tbEUlT_E_NS1_11comp_targetILNS1_3genE2ELNS1_11target_archE906ELNS1_3gpuE6ELNS1_3repE0EEENS1_30default_config_static_selectorELNS0_4arch9wavefront6targetE0EEEvSK_
		.amdhsa_group_segment_fixed_size 0
		.amdhsa_private_segment_fixed_size 0
		.amdhsa_kernarg_size 96
		.amdhsa_user_sgpr_count 15
		.amdhsa_user_sgpr_dispatch_ptr 0
		.amdhsa_user_sgpr_queue_ptr 0
		.amdhsa_user_sgpr_kernarg_segment_ptr 1
		.amdhsa_user_sgpr_dispatch_id 0
		.amdhsa_user_sgpr_private_segment_size 0
		.amdhsa_wavefront_size32 1
		.amdhsa_uses_dynamic_stack 0
		.amdhsa_enable_private_segment 0
		.amdhsa_system_sgpr_workgroup_id_x 1
		.amdhsa_system_sgpr_workgroup_id_y 0
		.amdhsa_system_sgpr_workgroup_id_z 0
		.amdhsa_system_sgpr_workgroup_info 0
		.amdhsa_system_vgpr_workitem_id 0
		.amdhsa_next_free_vgpr 1
		.amdhsa_next_free_sgpr 1
		.amdhsa_reserve_vcc 0
		.amdhsa_float_round_mode_32 0
		.amdhsa_float_round_mode_16_64 0
		.amdhsa_float_denorm_mode_32 3
		.amdhsa_float_denorm_mode_16_64 3
		.amdhsa_dx10_clamp 1
		.amdhsa_ieee_mode 1
		.amdhsa_fp16_overflow 0
		.amdhsa_workgroup_processor_mode 1
		.amdhsa_memory_ordered 1
		.amdhsa_forward_progress 0
		.amdhsa_shared_vgpr_count 0
		.amdhsa_exception_fp_ieee_invalid_op 0
		.amdhsa_exception_fp_denorm_src 0
		.amdhsa_exception_fp_ieee_div_zero 0
		.amdhsa_exception_fp_ieee_overflow 0
		.amdhsa_exception_fp_ieee_underflow 0
		.amdhsa_exception_fp_ieee_inexact 0
		.amdhsa_exception_int_div_zero 0
	.end_amdhsa_kernel
	.section	.text._ZN7rocprim17ROCPRIM_400000_NS6detail17trampoline_kernelINS0_14default_configENS1_36segmented_radix_sort_config_selectorIhlEEZNS1_25segmented_radix_sort_implIS3_Lb0EPKhPhPKlPlN2at6native12_GLOBAL__N_18offset_tEEE10hipError_tPvRmT1_PNSt15iterator_traitsISK_E10value_typeET2_T3_PNSL_ISQ_E10value_typeET4_jRbjT5_SW_jjP12ihipStream_tbEUlT_E_NS1_11comp_targetILNS1_3genE2ELNS1_11target_archE906ELNS1_3gpuE6ELNS1_3repE0EEENS1_30default_config_static_selectorELNS0_4arch9wavefront6targetE0EEEvSK_,"axG",@progbits,_ZN7rocprim17ROCPRIM_400000_NS6detail17trampoline_kernelINS0_14default_configENS1_36segmented_radix_sort_config_selectorIhlEEZNS1_25segmented_radix_sort_implIS3_Lb0EPKhPhPKlPlN2at6native12_GLOBAL__N_18offset_tEEE10hipError_tPvRmT1_PNSt15iterator_traitsISK_E10value_typeET2_T3_PNSL_ISQ_E10value_typeET4_jRbjT5_SW_jjP12ihipStream_tbEUlT_E_NS1_11comp_targetILNS1_3genE2ELNS1_11target_archE906ELNS1_3gpuE6ELNS1_3repE0EEENS1_30default_config_static_selectorELNS0_4arch9wavefront6targetE0EEEvSK_,comdat
.Lfunc_end190:
	.size	_ZN7rocprim17ROCPRIM_400000_NS6detail17trampoline_kernelINS0_14default_configENS1_36segmented_radix_sort_config_selectorIhlEEZNS1_25segmented_radix_sort_implIS3_Lb0EPKhPhPKlPlN2at6native12_GLOBAL__N_18offset_tEEE10hipError_tPvRmT1_PNSt15iterator_traitsISK_E10value_typeET2_T3_PNSL_ISQ_E10value_typeET4_jRbjT5_SW_jjP12ihipStream_tbEUlT_E_NS1_11comp_targetILNS1_3genE2ELNS1_11target_archE906ELNS1_3gpuE6ELNS1_3repE0EEENS1_30default_config_static_selectorELNS0_4arch9wavefront6targetE0EEEvSK_, .Lfunc_end190-_ZN7rocprim17ROCPRIM_400000_NS6detail17trampoline_kernelINS0_14default_configENS1_36segmented_radix_sort_config_selectorIhlEEZNS1_25segmented_radix_sort_implIS3_Lb0EPKhPhPKlPlN2at6native12_GLOBAL__N_18offset_tEEE10hipError_tPvRmT1_PNSt15iterator_traitsISK_E10value_typeET2_T3_PNSL_ISQ_E10value_typeET4_jRbjT5_SW_jjP12ihipStream_tbEUlT_E_NS1_11comp_targetILNS1_3genE2ELNS1_11target_archE906ELNS1_3gpuE6ELNS1_3repE0EEENS1_30default_config_static_selectorELNS0_4arch9wavefront6targetE0EEEvSK_
                                        ; -- End function
	.section	.AMDGPU.csdata,"",@progbits
; Kernel info:
; codeLenInByte = 0
; NumSgprs: 0
; NumVgprs: 0
; ScratchSize: 0
; MemoryBound: 0
; FloatMode: 240
; IeeeMode: 1
; LDSByteSize: 0 bytes/workgroup (compile time only)
; SGPRBlocks: 0
; VGPRBlocks: 0
; NumSGPRsForWavesPerEU: 1
; NumVGPRsForWavesPerEU: 1
; Occupancy: 16
; WaveLimiterHint : 0
; COMPUTE_PGM_RSRC2:SCRATCH_EN: 0
; COMPUTE_PGM_RSRC2:USER_SGPR: 15
; COMPUTE_PGM_RSRC2:TRAP_HANDLER: 0
; COMPUTE_PGM_RSRC2:TGID_X_EN: 1
; COMPUTE_PGM_RSRC2:TGID_Y_EN: 0
; COMPUTE_PGM_RSRC2:TGID_Z_EN: 0
; COMPUTE_PGM_RSRC2:TIDIG_COMP_CNT: 0
	.section	.text._ZN7rocprim17ROCPRIM_400000_NS6detail17trampoline_kernelINS0_14default_configENS1_36segmented_radix_sort_config_selectorIhlEEZNS1_25segmented_radix_sort_implIS3_Lb0EPKhPhPKlPlN2at6native12_GLOBAL__N_18offset_tEEE10hipError_tPvRmT1_PNSt15iterator_traitsISK_E10value_typeET2_T3_PNSL_ISQ_E10value_typeET4_jRbjT5_SW_jjP12ihipStream_tbEUlT_E_NS1_11comp_targetILNS1_3genE10ELNS1_11target_archE1201ELNS1_3gpuE5ELNS1_3repE0EEENS1_30default_config_static_selectorELNS0_4arch9wavefront6targetE0EEEvSK_,"axG",@progbits,_ZN7rocprim17ROCPRIM_400000_NS6detail17trampoline_kernelINS0_14default_configENS1_36segmented_radix_sort_config_selectorIhlEEZNS1_25segmented_radix_sort_implIS3_Lb0EPKhPhPKlPlN2at6native12_GLOBAL__N_18offset_tEEE10hipError_tPvRmT1_PNSt15iterator_traitsISK_E10value_typeET2_T3_PNSL_ISQ_E10value_typeET4_jRbjT5_SW_jjP12ihipStream_tbEUlT_E_NS1_11comp_targetILNS1_3genE10ELNS1_11target_archE1201ELNS1_3gpuE5ELNS1_3repE0EEENS1_30default_config_static_selectorELNS0_4arch9wavefront6targetE0EEEvSK_,comdat
	.globl	_ZN7rocprim17ROCPRIM_400000_NS6detail17trampoline_kernelINS0_14default_configENS1_36segmented_radix_sort_config_selectorIhlEEZNS1_25segmented_radix_sort_implIS3_Lb0EPKhPhPKlPlN2at6native12_GLOBAL__N_18offset_tEEE10hipError_tPvRmT1_PNSt15iterator_traitsISK_E10value_typeET2_T3_PNSL_ISQ_E10value_typeET4_jRbjT5_SW_jjP12ihipStream_tbEUlT_E_NS1_11comp_targetILNS1_3genE10ELNS1_11target_archE1201ELNS1_3gpuE5ELNS1_3repE0EEENS1_30default_config_static_selectorELNS0_4arch9wavefront6targetE0EEEvSK_ ; -- Begin function _ZN7rocprim17ROCPRIM_400000_NS6detail17trampoline_kernelINS0_14default_configENS1_36segmented_radix_sort_config_selectorIhlEEZNS1_25segmented_radix_sort_implIS3_Lb0EPKhPhPKlPlN2at6native12_GLOBAL__N_18offset_tEEE10hipError_tPvRmT1_PNSt15iterator_traitsISK_E10value_typeET2_T3_PNSL_ISQ_E10value_typeET4_jRbjT5_SW_jjP12ihipStream_tbEUlT_E_NS1_11comp_targetILNS1_3genE10ELNS1_11target_archE1201ELNS1_3gpuE5ELNS1_3repE0EEENS1_30default_config_static_selectorELNS0_4arch9wavefront6targetE0EEEvSK_
	.p2align	8
	.type	_ZN7rocprim17ROCPRIM_400000_NS6detail17trampoline_kernelINS0_14default_configENS1_36segmented_radix_sort_config_selectorIhlEEZNS1_25segmented_radix_sort_implIS3_Lb0EPKhPhPKlPlN2at6native12_GLOBAL__N_18offset_tEEE10hipError_tPvRmT1_PNSt15iterator_traitsISK_E10value_typeET2_T3_PNSL_ISQ_E10value_typeET4_jRbjT5_SW_jjP12ihipStream_tbEUlT_E_NS1_11comp_targetILNS1_3genE10ELNS1_11target_archE1201ELNS1_3gpuE5ELNS1_3repE0EEENS1_30default_config_static_selectorELNS0_4arch9wavefront6targetE0EEEvSK_,@function
_ZN7rocprim17ROCPRIM_400000_NS6detail17trampoline_kernelINS0_14default_configENS1_36segmented_radix_sort_config_selectorIhlEEZNS1_25segmented_radix_sort_implIS3_Lb0EPKhPhPKlPlN2at6native12_GLOBAL__N_18offset_tEEE10hipError_tPvRmT1_PNSt15iterator_traitsISK_E10value_typeET2_T3_PNSL_ISQ_E10value_typeET4_jRbjT5_SW_jjP12ihipStream_tbEUlT_E_NS1_11comp_targetILNS1_3genE10ELNS1_11target_archE1201ELNS1_3gpuE5ELNS1_3repE0EEENS1_30default_config_static_selectorELNS0_4arch9wavefront6targetE0EEEvSK_: ; @_ZN7rocprim17ROCPRIM_400000_NS6detail17trampoline_kernelINS0_14default_configENS1_36segmented_radix_sort_config_selectorIhlEEZNS1_25segmented_radix_sort_implIS3_Lb0EPKhPhPKlPlN2at6native12_GLOBAL__N_18offset_tEEE10hipError_tPvRmT1_PNSt15iterator_traitsISK_E10value_typeET2_T3_PNSL_ISQ_E10value_typeET4_jRbjT5_SW_jjP12ihipStream_tbEUlT_E_NS1_11comp_targetILNS1_3genE10ELNS1_11target_archE1201ELNS1_3gpuE5ELNS1_3repE0EEENS1_30default_config_static_selectorELNS0_4arch9wavefront6targetE0EEEvSK_
; %bb.0:
	.section	.rodata,"a",@progbits
	.p2align	6, 0x0
	.amdhsa_kernel _ZN7rocprim17ROCPRIM_400000_NS6detail17trampoline_kernelINS0_14default_configENS1_36segmented_radix_sort_config_selectorIhlEEZNS1_25segmented_radix_sort_implIS3_Lb0EPKhPhPKlPlN2at6native12_GLOBAL__N_18offset_tEEE10hipError_tPvRmT1_PNSt15iterator_traitsISK_E10value_typeET2_T3_PNSL_ISQ_E10value_typeET4_jRbjT5_SW_jjP12ihipStream_tbEUlT_E_NS1_11comp_targetILNS1_3genE10ELNS1_11target_archE1201ELNS1_3gpuE5ELNS1_3repE0EEENS1_30default_config_static_selectorELNS0_4arch9wavefront6targetE0EEEvSK_
		.amdhsa_group_segment_fixed_size 0
		.amdhsa_private_segment_fixed_size 0
		.amdhsa_kernarg_size 96
		.amdhsa_user_sgpr_count 15
		.amdhsa_user_sgpr_dispatch_ptr 0
		.amdhsa_user_sgpr_queue_ptr 0
		.amdhsa_user_sgpr_kernarg_segment_ptr 1
		.amdhsa_user_sgpr_dispatch_id 0
		.amdhsa_user_sgpr_private_segment_size 0
		.amdhsa_wavefront_size32 1
		.amdhsa_uses_dynamic_stack 0
		.amdhsa_enable_private_segment 0
		.amdhsa_system_sgpr_workgroup_id_x 1
		.amdhsa_system_sgpr_workgroup_id_y 0
		.amdhsa_system_sgpr_workgroup_id_z 0
		.amdhsa_system_sgpr_workgroup_info 0
		.amdhsa_system_vgpr_workitem_id 0
		.amdhsa_next_free_vgpr 1
		.amdhsa_next_free_sgpr 1
		.amdhsa_reserve_vcc 0
		.amdhsa_float_round_mode_32 0
		.amdhsa_float_round_mode_16_64 0
		.amdhsa_float_denorm_mode_32 3
		.amdhsa_float_denorm_mode_16_64 3
		.amdhsa_dx10_clamp 1
		.amdhsa_ieee_mode 1
		.amdhsa_fp16_overflow 0
		.amdhsa_workgroup_processor_mode 1
		.amdhsa_memory_ordered 1
		.amdhsa_forward_progress 0
		.amdhsa_shared_vgpr_count 0
		.amdhsa_exception_fp_ieee_invalid_op 0
		.amdhsa_exception_fp_denorm_src 0
		.amdhsa_exception_fp_ieee_div_zero 0
		.amdhsa_exception_fp_ieee_overflow 0
		.amdhsa_exception_fp_ieee_underflow 0
		.amdhsa_exception_fp_ieee_inexact 0
		.amdhsa_exception_int_div_zero 0
	.end_amdhsa_kernel
	.section	.text._ZN7rocprim17ROCPRIM_400000_NS6detail17trampoline_kernelINS0_14default_configENS1_36segmented_radix_sort_config_selectorIhlEEZNS1_25segmented_radix_sort_implIS3_Lb0EPKhPhPKlPlN2at6native12_GLOBAL__N_18offset_tEEE10hipError_tPvRmT1_PNSt15iterator_traitsISK_E10value_typeET2_T3_PNSL_ISQ_E10value_typeET4_jRbjT5_SW_jjP12ihipStream_tbEUlT_E_NS1_11comp_targetILNS1_3genE10ELNS1_11target_archE1201ELNS1_3gpuE5ELNS1_3repE0EEENS1_30default_config_static_selectorELNS0_4arch9wavefront6targetE0EEEvSK_,"axG",@progbits,_ZN7rocprim17ROCPRIM_400000_NS6detail17trampoline_kernelINS0_14default_configENS1_36segmented_radix_sort_config_selectorIhlEEZNS1_25segmented_radix_sort_implIS3_Lb0EPKhPhPKlPlN2at6native12_GLOBAL__N_18offset_tEEE10hipError_tPvRmT1_PNSt15iterator_traitsISK_E10value_typeET2_T3_PNSL_ISQ_E10value_typeET4_jRbjT5_SW_jjP12ihipStream_tbEUlT_E_NS1_11comp_targetILNS1_3genE10ELNS1_11target_archE1201ELNS1_3gpuE5ELNS1_3repE0EEENS1_30default_config_static_selectorELNS0_4arch9wavefront6targetE0EEEvSK_,comdat
.Lfunc_end191:
	.size	_ZN7rocprim17ROCPRIM_400000_NS6detail17trampoline_kernelINS0_14default_configENS1_36segmented_radix_sort_config_selectorIhlEEZNS1_25segmented_radix_sort_implIS3_Lb0EPKhPhPKlPlN2at6native12_GLOBAL__N_18offset_tEEE10hipError_tPvRmT1_PNSt15iterator_traitsISK_E10value_typeET2_T3_PNSL_ISQ_E10value_typeET4_jRbjT5_SW_jjP12ihipStream_tbEUlT_E_NS1_11comp_targetILNS1_3genE10ELNS1_11target_archE1201ELNS1_3gpuE5ELNS1_3repE0EEENS1_30default_config_static_selectorELNS0_4arch9wavefront6targetE0EEEvSK_, .Lfunc_end191-_ZN7rocprim17ROCPRIM_400000_NS6detail17trampoline_kernelINS0_14default_configENS1_36segmented_radix_sort_config_selectorIhlEEZNS1_25segmented_radix_sort_implIS3_Lb0EPKhPhPKlPlN2at6native12_GLOBAL__N_18offset_tEEE10hipError_tPvRmT1_PNSt15iterator_traitsISK_E10value_typeET2_T3_PNSL_ISQ_E10value_typeET4_jRbjT5_SW_jjP12ihipStream_tbEUlT_E_NS1_11comp_targetILNS1_3genE10ELNS1_11target_archE1201ELNS1_3gpuE5ELNS1_3repE0EEENS1_30default_config_static_selectorELNS0_4arch9wavefront6targetE0EEEvSK_
                                        ; -- End function
	.section	.AMDGPU.csdata,"",@progbits
; Kernel info:
; codeLenInByte = 0
; NumSgprs: 0
; NumVgprs: 0
; ScratchSize: 0
; MemoryBound: 0
; FloatMode: 240
; IeeeMode: 1
; LDSByteSize: 0 bytes/workgroup (compile time only)
; SGPRBlocks: 0
; VGPRBlocks: 0
; NumSGPRsForWavesPerEU: 1
; NumVGPRsForWavesPerEU: 1
; Occupancy: 16
; WaveLimiterHint : 0
; COMPUTE_PGM_RSRC2:SCRATCH_EN: 0
; COMPUTE_PGM_RSRC2:USER_SGPR: 15
; COMPUTE_PGM_RSRC2:TRAP_HANDLER: 0
; COMPUTE_PGM_RSRC2:TGID_X_EN: 1
; COMPUTE_PGM_RSRC2:TGID_Y_EN: 0
; COMPUTE_PGM_RSRC2:TGID_Z_EN: 0
; COMPUTE_PGM_RSRC2:TIDIG_COMP_CNT: 0
	.section	.text._ZN7rocprim17ROCPRIM_400000_NS6detail17trampoline_kernelINS0_14default_configENS1_36segmented_radix_sort_config_selectorIhlEEZNS1_25segmented_radix_sort_implIS3_Lb0EPKhPhPKlPlN2at6native12_GLOBAL__N_18offset_tEEE10hipError_tPvRmT1_PNSt15iterator_traitsISK_E10value_typeET2_T3_PNSL_ISQ_E10value_typeET4_jRbjT5_SW_jjP12ihipStream_tbEUlT_E_NS1_11comp_targetILNS1_3genE10ELNS1_11target_archE1200ELNS1_3gpuE4ELNS1_3repE0EEENS1_30default_config_static_selectorELNS0_4arch9wavefront6targetE0EEEvSK_,"axG",@progbits,_ZN7rocprim17ROCPRIM_400000_NS6detail17trampoline_kernelINS0_14default_configENS1_36segmented_radix_sort_config_selectorIhlEEZNS1_25segmented_radix_sort_implIS3_Lb0EPKhPhPKlPlN2at6native12_GLOBAL__N_18offset_tEEE10hipError_tPvRmT1_PNSt15iterator_traitsISK_E10value_typeET2_T3_PNSL_ISQ_E10value_typeET4_jRbjT5_SW_jjP12ihipStream_tbEUlT_E_NS1_11comp_targetILNS1_3genE10ELNS1_11target_archE1200ELNS1_3gpuE4ELNS1_3repE0EEENS1_30default_config_static_selectorELNS0_4arch9wavefront6targetE0EEEvSK_,comdat
	.globl	_ZN7rocprim17ROCPRIM_400000_NS6detail17trampoline_kernelINS0_14default_configENS1_36segmented_radix_sort_config_selectorIhlEEZNS1_25segmented_radix_sort_implIS3_Lb0EPKhPhPKlPlN2at6native12_GLOBAL__N_18offset_tEEE10hipError_tPvRmT1_PNSt15iterator_traitsISK_E10value_typeET2_T3_PNSL_ISQ_E10value_typeET4_jRbjT5_SW_jjP12ihipStream_tbEUlT_E_NS1_11comp_targetILNS1_3genE10ELNS1_11target_archE1200ELNS1_3gpuE4ELNS1_3repE0EEENS1_30default_config_static_selectorELNS0_4arch9wavefront6targetE0EEEvSK_ ; -- Begin function _ZN7rocprim17ROCPRIM_400000_NS6detail17trampoline_kernelINS0_14default_configENS1_36segmented_radix_sort_config_selectorIhlEEZNS1_25segmented_radix_sort_implIS3_Lb0EPKhPhPKlPlN2at6native12_GLOBAL__N_18offset_tEEE10hipError_tPvRmT1_PNSt15iterator_traitsISK_E10value_typeET2_T3_PNSL_ISQ_E10value_typeET4_jRbjT5_SW_jjP12ihipStream_tbEUlT_E_NS1_11comp_targetILNS1_3genE10ELNS1_11target_archE1200ELNS1_3gpuE4ELNS1_3repE0EEENS1_30default_config_static_selectorELNS0_4arch9wavefront6targetE0EEEvSK_
	.p2align	8
	.type	_ZN7rocprim17ROCPRIM_400000_NS6detail17trampoline_kernelINS0_14default_configENS1_36segmented_radix_sort_config_selectorIhlEEZNS1_25segmented_radix_sort_implIS3_Lb0EPKhPhPKlPlN2at6native12_GLOBAL__N_18offset_tEEE10hipError_tPvRmT1_PNSt15iterator_traitsISK_E10value_typeET2_T3_PNSL_ISQ_E10value_typeET4_jRbjT5_SW_jjP12ihipStream_tbEUlT_E_NS1_11comp_targetILNS1_3genE10ELNS1_11target_archE1200ELNS1_3gpuE4ELNS1_3repE0EEENS1_30default_config_static_selectorELNS0_4arch9wavefront6targetE0EEEvSK_,@function
_ZN7rocprim17ROCPRIM_400000_NS6detail17trampoline_kernelINS0_14default_configENS1_36segmented_radix_sort_config_selectorIhlEEZNS1_25segmented_radix_sort_implIS3_Lb0EPKhPhPKlPlN2at6native12_GLOBAL__N_18offset_tEEE10hipError_tPvRmT1_PNSt15iterator_traitsISK_E10value_typeET2_T3_PNSL_ISQ_E10value_typeET4_jRbjT5_SW_jjP12ihipStream_tbEUlT_E_NS1_11comp_targetILNS1_3genE10ELNS1_11target_archE1200ELNS1_3gpuE4ELNS1_3repE0EEENS1_30default_config_static_selectorELNS0_4arch9wavefront6targetE0EEEvSK_: ; @_ZN7rocprim17ROCPRIM_400000_NS6detail17trampoline_kernelINS0_14default_configENS1_36segmented_radix_sort_config_selectorIhlEEZNS1_25segmented_radix_sort_implIS3_Lb0EPKhPhPKlPlN2at6native12_GLOBAL__N_18offset_tEEE10hipError_tPvRmT1_PNSt15iterator_traitsISK_E10value_typeET2_T3_PNSL_ISQ_E10value_typeET4_jRbjT5_SW_jjP12ihipStream_tbEUlT_E_NS1_11comp_targetILNS1_3genE10ELNS1_11target_archE1200ELNS1_3gpuE4ELNS1_3repE0EEENS1_30default_config_static_selectorELNS0_4arch9wavefront6targetE0EEEvSK_
; %bb.0:
	.section	.rodata,"a",@progbits
	.p2align	6, 0x0
	.amdhsa_kernel _ZN7rocprim17ROCPRIM_400000_NS6detail17trampoline_kernelINS0_14default_configENS1_36segmented_radix_sort_config_selectorIhlEEZNS1_25segmented_radix_sort_implIS3_Lb0EPKhPhPKlPlN2at6native12_GLOBAL__N_18offset_tEEE10hipError_tPvRmT1_PNSt15iterator_traitsISK_E10value_typeET2_T3_PNSL_ISQ_E10value_typeET4_jRbjT5_SW_jjP12ihipStream_tbEUlT_E_NS1_11comp_targetILNS1_3genE10ELNS1_11target_archE1200ELNS1_3gpuE4ELNS1_3repE0EEENS1_30default_config_static_selectorELNS0_4arch9wavefront6targetE0EEEvSK_
		.amdhsa_group_segment_fixed_size 0
		.amdhsa_private_segment_fixed_size 0
		.amdhsa_kernarg_size 96
		.amdhsa_user_sgpr_count 15
		.amdhsa_user_sgpr_dispatch_ptr 0
		.amdhsa_user_sgpr_queue_ptr 0
		.amdhsa_user_sgpr_kernarg_segment_ptr 1
		.amdhsa_user_sgpr_dispatch_id 0
		.amdhsa_user_sgpr_private_segment_size 0
		.amdhsa_wavefront_size32 1
		.amdhsa_uses_dynamic_stack 0
		.amdhsa_enable_private_segment 0
		.amdhsa_system_sgpr_workgroup_id_x 1
		.amdhsa_system_sgpr_workgroup_id_y 0
		.amdhsa_system_sgpr_workgroup_id_z 0
		.amdhsa_system_sgpr_workgroup_info 0
		.amdhsa_system_vgpr_workitem_id 0
		.amdhsa_next_free_vgpr 1
		.amdhsa_next_free_sgpr 1
		.amdhsa_reserve_vcc 0
		.amdhsa_float_round_mode_32 0
		.amdhsa_float_round_mode_16_64 0
		.amdhsa_float_denorm_mode_32 3
		.amdhsa_float_denorm_mode_16_64 3
		.amdhsa_dx10_clamp 1
		.amdhsa_ieee_mode 1
		.amdhsa_fp16_overflow 0
		.amdhsa_workgroup_processor_mode 1
		.amdhsa_memory_ordered 1
		.amdhsa_forward_progress 0
		.amdhsa_shared_vgpr_count 0
		.amdhsa_exception_fp_ieee_invalid_op 0
		.amdhsa_exception_fp_denorm_src 0
		.amdhsa_exception_fp_ieee_div_zero 0
		.amdhsa_exception_fp_ieee_overflow 0
		.amdhsa_exception_fp_ieee_underflow 0
		.amdhsa_exception_fp_ieee_inexact 0
		.amdhsa_exception_int_div_zero 0
	.end_amdhsa_kernel
	.section	.text._ZN7rocprim17ROCPRIM_400000_NS6detail17trampoline_kernelINS0_14default_configENS1_36segmented_radix_sort_config_selectorIhlEEZNS1_25segmented_radix_sort_implIS3_Lb0EPKhPhPKlPlN2at6native12_GLOBAL__N_18offset_tEEE10hipError_tPvRmT1_PNSt15iterator_traitsISK_E10value_typeET2_T3_PNSL_ISQ_E10value_typeET4_jRbjT5_SW_jjP12ihipStream_tbEUlT_E_NS1_11comp_targetILNS1_3genE10ELNS1_11target_archE1200ELNS1_3gpuE4ELNS1_3repE0EEENS1_30default_config_static_selectorELNS0_4arch9wavefront6targetE0EEEvSK_,"axG",@progbits,_ZN7rocprim17ROCPRIM_400000_NS6detail17trampoline_kernelINS0_14default_configENS1_36segmented_radix_sort_config_selectorIhlEEZNS1_25segmented_radix_sort_implIS3_Lb0EPKhPhPKlPlN2at6native12_GLOBAL__N_18offset_tEEE10hipError_tPvRmT1_PNSt15iterator_traitsISK_E10value_typeET2_T3_PNSL_ISQ_E10value_typeET4_jRbjT5_SW_jjP12ihipStream_tbEUlT_E_NS1_11comp_targetILNS1_3genE10ELNS1_11target_archE1200ELNS1_3gpuE4ELNS1_3repE0EEENS1_30default_config_static_selectorELNS0_4arch9wavefront6targetE0EEEvSK_,comdat
.Lfunc_end192:
	.size	_ZN7rocprim17ROCPRIM_400000_NS6detail17trampoline_kernelINS0_14default_configENS1_36segmented_radix_sort_config_selectorIhlEEZNS1_25segmented_radix_sort_implIS3_Lb0EPKhPhPKlPlN2at6native12_GLOBAL__N_18offset_tEEE10hipError_tPvRmT1_PNSt15iterator_traitsISK_E10value_typeET2_T3_PNSL_ISQ_E10value_typeET4_jRbjT5_SW_jjP12ihipStream_tbEUlT_E_NS1_11comp_targetILNS1_3genE10ELNS1_11target_archE1200ELNS1_3gpuE4ELNS1_3repE0EEENS1_30default_config_static_selectorELNS0_4arch9wavefront6targetE0EEEvSK_, .Lfunc_end192-_ZN7rocprim17ROCPRIM_400000_NS6detail17trampoline_kernelINS0_14default_configENS1_36segmented_radix_sort_config_selectorIhlEEZNS1_25segmented_radix_sort_implIS3_Lb0EPKhPhPKlPlN2at6native12_GLOBAL__N_18offset_tEEE10hipError_tPvRmT1_PNSt15iterator_traitsISK_E10value_typeET2_T3_PNSL_ISQ_E10value_typeET4_jRbjT5_SW_jjP12ihipStream_tbEUlT_E_NS1_11comp_targetILNS1_3genE10ELNS1_11target_archE1200ELNS1_3gpuE4ELNS1_3repE0EEENS1_30default_config_static_selectorELNS0_4arch9wavefront6targetE0EEEvSK_
                                        ; -- End function
	.section	.AMDGPU.csdata,"",@progbits
; Kernel info:
; codeLenInByte = 0
; NumSgprs: 0
; NumVgprs: 0
; ScratchSize: 0
; MemoryBound: 0
; FloatMode: 240
; IeeeMode: 1
; LDSByteSize: 0 bytes/workgroup (compile time only)
; SGPRBlocks: 0
; VGPRBlocks: 0
; NumSGPRsForWavesPerEU: 1
; NumVGPRsForWavesPerEU: 1
; Occupancy: 16
; WaveLimiterHint : 0
; COMPUTE_PGM_RSRC2:SCRATCH_EN: 0
; COMPUTE_PGM_RSRC2:USER_SGPR: 15
; COMPUTE_PGM_RSRC2:TRAP_HANDLER: 0
; COMPUTE_PGM_RSRC2:TGID_X_EN: 1
; COMPUTE_PGM_RSRC2:TGID_Y_EN: 0
; COMPUTE_PGM_RSRC2:TGID_Z_EN: 0
; COMPUTE_PGM_RSRC2:TIDIG_COMP_CNT: 0
	.text
	.p2align	2                               ; -- Begin function _ZN7rocprim17ROCPRIM_400000_NS6detail40segmented_radix_sort_single_block_helperIhlLj256ELj8ELb0EE4sortIPKhPhPKlPlEEbT_T0_T1_T2_jjjjRNS3_12storage_typeE
	.type	_ZN7rocprim17ROCPRIM_400000_NS6detail40segmented_radix_sort_single_block_helperIhlLj256ELj8ELb0EE4sortIPKhPhPKlPlEEbT_T0_T1_T2_jjjjRNS3_12storage_typeE,@function
_ZN7rocprim17ROCPRIM_400000_NS6detail40segmented_radix_sort_single_block_helperIhlLj256ELj8ELb0EE4sortIPKhPhPKlPlEEbT_T0_T1_T2_jjjjRNS3_12storage_typeE: ; @_ZN7rocprim17ROCPRIM_400000_NS6detail40segmented_radix_sort_single_block_helperIhlLj256ELj8ELb0EE4sortIPKhPhPKlPlEEbT_T0_T1_T2_jjjjRNS3_12storage_typeE
; %bb.0:
	s_waitcnt vmcnt(0) expcnt(0) lgkmcnt(0)
	v_sub_nc_u32_e32 v128, v9, v8
	s_mov_b32 s24, exec_lo
	s_delay_alu instid0(VALU_DEP_1)
	v_cmpx_gt_u32_e32 0x801, v128
	s_cbranch_execz .LBB193_199
; %bb.1:
	v_bfe_u32 v14, v31, 10, 10
	v_bfe_u32 v15, v31, 20, 10
	v_and_b32_e32 v26, 0x3ff, v31
	v_mbcnt_lo_u32_b32 v16, -1, 0
	s_mov_b32 s0, exec_lo
	v_cmpx_lt_u32_e32 0x400, v128
	s_xor_b32 s19, exec_lo, s0
	s_cbranch_execz .LBB193_79
; %bb.2:
	s_load_b64 s[0:1], s[8:9], 0x0
	v_dual_mov_b32 v9, 0 :: v_dual_mov_b32 v130, 0xff
	v_add_co_u32 v0, vcc_lo, v0, v8
	v_add_co_ci_u32_e32 v1, vcc_lo, 0, v1, vcc_lo
	v_dual_mov_b32 v131, 0xff :: v_dual_mov_b32 v134, 0xff
	s_delay_alu instid0(VALU_DEP_3) | instskip(NEXT) | instid1(VALU_DEP_3)
	v_add_co_u32 v0, vcc_lo, v0, v16
	v_add_co_ci_u32_e32 v1, vcc_lo, 0, v1, vcc_lo
	v_dual_mov_b32 v133, 0xff :: v_dual_mov_b32 v132, 0xff
	v_dual_mov_b32 v135, 0xff :: v_dual_mov_b32 v144, 0xff
	s_waitcnt lgkmcnt(0)
	s_cmp_lt_u32 s13, s1
	s_cselect_b32 s1, 14, 20
	s_delay_alu instid0(SALU_CYCLE_1) | instskip(SKIP_4) | instid1(SALU_CYCLE_1)
	s_add_u32 s2, s8, s1
	s_addc_u32 s3, s9, 0
	s_cmp_lt_u32 s12, s0
	global_load_u16 v17, v9, s[2:3]
	s_cselect_b32 s0, 12, 18
	s_add_u32 s0, s8, s0
	s_addc_u32 s1, s9, 0
	global_load_u16 v18, v9, s[0:1]
	s_waitcnt vmcnt(1)
	v_mad_u32_u24 v14, v15, v17, v14
	v_mov_b32_e32 v15, v9
	s_waitcnt vmcnt(0)
	s_delay_alu instid0(VALU_DEP_2) | instskip(NEXT) | instid1(VALU_DEP_1)
	v_mad_u64_u32 v[27:28], null, v14, v18, v[26:27]
	v_dual_mov_b32 v129, 0xff :: v_dual_lshlrev_b32 v14, 3, v27
	s_delay_alu instid0(VALU_DEP_1) | instskip(NEXT) | instid1(VALU_DEP_1)
	v_and_b32_e32 v14, 0xffffff00, v14
	v_or_b32_e32 v17, v14, v16
	v_add_co_u32 v0, vcc_lo, v0, v14
	v_add_co_ci_u32_e32 v1, vcc_lo, 0, v1, vcc_lo
	s_delay_alu instid0(VALU_DEP_3)
	v_cmp_lt_u32_e32 vcc_lo, v17, v128
	s_and_saveexec_b32 s0, vcc_lo
	s_cbranch_execz .LBB193_4
; %bb.3:
	flat_load_u8 v130, v[0:1]
	v_dual_mov_b32 v131, 0xff :: v_dual_mov_b32 v134, 0xff
	v_dual_mov_b32 v133, 0xff :: v_dual_mov_b32 v132, 0xff
	;; [unrolled: 1-line block ×3, first 2 shown]
	v_mov_b32_e32 v129, 0xff
.LBB193_4:
	s_or_b32 exec_lo, exec_lo, s0
	v_or_b32_e32 v18, 32, v17
	s_delay_alu instid0(VALU_DEP_1) | instskip(NEXT) | instid1(VALU_DEP_1)
	v_cmp_lt_u32_e64 s0, v18, v128
	s_and_saveexec_b32 s1, s0
	s_cbranch_execz .LBB193_6
; %bb.5:
	flat_load_u8 v131, v[0:1] offset:32
.LBB193_6:
	s_or_b32 exec_lo, exec_lo, s1
	v_or_b32_e32 v18, 64, v17
	s_delay_alu instid0(VALU_DEP_1) | instskip(NEXT) | instid1(VALU_DEP_1)
	v_cmp_lt_u32_e64 s1, v18, v128
	s_and_saveexec_b32 s2, s1
	s_cbranch_execz .LBB193_8
; %bb.7:
	flat_load_u8 v133, v[0:1] offset:64
.LBB193_8:
	;; [unrolled: 9-line block ×7, first 2 shown]
	s_or_b32 exec_lo, exec_lo, s7
	v_lshlrev_b64 v[0:1], 3, v[8:9]
	v_lshlrev_b32_e32 v9, 3, v16
	s_delay_alu instid0(VALU_DEP_2) | instskip(NEXT) | instid1(VALU_DEP_1)
	v_add_co_u32 v17, s7, v4, v0
	v_add_co_ci_u32_e64 v18, s7, v5, v1, s7
	v_lshlrev_b64 v[4:5], 3, v[14:15]
	s_delay_alu instid0(VALU_DEP_3) | instskip(NEXT) | instid1(VALU_DEP_1)
	v_add_co_u32 v9, s7, v17, v9
	v_add_co_ci_u32_e64 v14, s7, 0, v18, s7
                                        ; implicit-def: $vgpr18_vgpr19
	s_delay_alu instid0(VALU_DEP_2) | instskip(NEXT) | instid1(VALU_DEP_1)
	v_add_co_u32 v4, s7, v9, v4
	v_add_co_ci_u32_e64 v5, s7, v14, v5, s7
	s_and_saveexec_b32 s7, vcc_lo
	s_cbranch_execnz .LBB193_112
; %bb.19:
	s_or_b32 exec_lo, exec_lo, s7
                                        ; implicit-def: $vgpr20_vgpr21
	s_and_saveexec_b32 s7, s0
	s_cbranch_execnz .LBB193_113
.LBB193_20:
	s_or_b32 exec_lo, exec_lo, s7
                                        ; implicit-def: $vgpr22_vgpr23
	s_and_saveexec_b32 s0, s1
	s_cbranch_execnz .LBB193_114
.LBB193_21:
	s_or_b32 exec_lo, exec_lo, s0
                                        ; implicit-def: $vgpr24_vgpr25
	s_and_saveexec_b32 s0, s2
	s_cbranch_execnz .LBB193_115
.LBB193_22:
	s_or_b32 exec_lo, exec_lo, s0
                                        ; implicit-def: $vgpr80_vgpr81
	s_and_saveexec_b32 s0, s3
	s_cbranch_execnz .LBB193_116
.LBB193_23:
	s_or_b32 exec_lo, exec_lo, s0
                                        ; implicit-def: $vgpr82_vgpr83
	s_and_saveexec_b32 s0, s4
	s_cbranch_execnz .LBB193_117
.LBB193_24:
	s_or_b32 exec_lo, exec_lo, s0
                                        ; implicit-def: $vgpr84_vgpr85
	s_and_saveexec_b32 s0, s5
	s_cbranch_execnz .LBB193_118
.LBB193_25:
	s_or_b32 exec_lo, exec_lo, s0
                                        ; implicit-def: $vgpr86_vgpr87
	s_and_saveexec_b32 s0, s6
	s_cbranch_execz .LBB193_27
.LBB193_26:
	flat_load_b64 v[86:87], v[4:5] offset:1792
.LBB193_27:
	s_or_b32 exec_lo, exec_lo, s0
	v_dual_mov_b32 v15, 0 :: v_dual_lshlrev_b32 v14, 5, v26
	s_mov_b32 s20, 0
	v_add_co_u32 v9, vcc_lo, v12, 32
	s_mov_b32 s21, s20
	s_mov_b32 s22, s20
	;; [unrolled: 1-line block ×3, first 2 shown]
	v_and_b32_e32 v31, 0x3e0, v26
	v_add_co_ci_u32_e32 v145, vcc_lo, 0, v13, vcc_lo
	v_add_co_u32 v4, vcc_lo, v12, v14
	v_add_co_ci_u32_e32 v5, vcc_lo, 0, v13, vcc_lo
	v_add_co_u32 v28, vcc_lo, v9, v14
	v_min_u32_e32 v14, 0xe0, v31
	v_add_nc_u32_e32 v32, -1, v16
	v_and_b32_e32 v30, 15, v16
	v_lshrrev_b32_e32 v34, 5, v26
	s_getpc_b64 s[0:1]
	s_add_u32 s0, s0, _ZN7rocprim17ROCPRIM_400000_NS16block_radix_sortIhLj256ELj8ElLj1ELj1ELj8ELNS0_26block_radix_rank_algorithmE2ELNS0_18block_padding_hintE2ELNS0_4arch9wavefront6targetE0EE19radix_bits_per_passE@rel32@lo+4
	s_addc_u32 s1, s1, _ZN7rocprim17ROCPRIM_400000_NS16block_radix_sortIhLj256ELj8ElLj1ELj1ELj8ELNS0_26block_radix_rank_algorithmE2ELNS0_18block_padding_hintE2ELNS0_4arch9wavefront6targetE0EE19radix_bits_per_passE@rel32@hi+12
	v_or_b32_e32 v14, 31, v14
	v_cmp_gt_i32_e64 s4, 0, v32
	v_lshlrev_b32_e32 v17, 3, v26
	v_add_co_ci_u32_e32 v29, vcc_lo, 0, v145, vcc_lo
	s_load_b32 s25, s[0:1], 0x0
	v_cmp_eq_u32_e32 vcc_lo, 0, v30
	v_cmp_lt_u32_e64 s0, 1, v30
	v_cmp_lt_u32_e64 s1, 3, v30
	;; [unrolled: 1-line block ×3, first 2 shown]
	v_cndmask_b32_e64 v30, v32, v16, s4
	v_cmp_eq_u32_e64 s4, v14, v26
	v_lshlrev_b32_e32 v14, 2, v34
	v_and_b32_e32 v31, 16, v16
	v_lshlrev_b32_e32 v32, 2, v26
	v_cmp_eq_u32_e64 s7, 0, v16
	v_and_b32_e32 v35, 7, v16
	v_and_or_b32 v16, 0x1f00, v17, v16
	v_lshlrev_b32_e32 v147, 2, v30
	v_add_co_u32 v30, s11, v12, v14
	v_add_nc_u32_e32 v14, -1, v34
	v_cmp_eq_u32_e64 s3, 0, v31
	v_add_co_ci_u32_e64 v31, s11, 0, v13, s11
	v_add_co_u32 v32, s11, v12, v32
	v_add_co_u32 v34, s16, v12, v16
	v_add_co_ci_u32_e64 v33, s11, 0, v13, s11
	v_lshlrev_b64 v[14:15], 2, v[14:15]
	v_cmp_eq_u32_e64 s11, 0, v35
	v_cmp_lt_u32_e64 s14, 1, v35
	v_cmp_lt_u32_e64 s15, 3, v35
	v_add_co_ci_u32_e64 v35, s16, 0, v13, s16
	v_add_co_u32 v36, s16, v12, v14
	s_delay_alu instid0(VALU_DEP_1) | instskip(NEXT) | instid1(VALU_DEP_3)
	v_add_co_ci_u32_e64 v37, s16, v13, v15, s16
	v_mad_u64_u32 v[38:39], null, v16, 7, v[34:35]
	v_mov_b32_e32 v14, s20
	v_mov_b32_e32 v16, s22
	v_lshrrev_b32_e32 v146, 5, v27
	v_cmp_gt_u32_e64 s5, 8, v26
	v_cmp_lt_u32_e64 s6, 31, v26
	v_cmp_eq_u32_e64 s10, 0, v26
	v_sub_nc_u32_e32 v148, v11, v10
	v_mov_b32_e32 v15, s21
	v_mov_b32_e32 v17, s23
	s_waitcnt vmcnt(0) lgkmcnt(0)
	s_waitcnt_vscnt null, 0x0
	s_barrier
	buffer_gl0_inv
	s_branch .LBB193_29
.LBB193_28:                             ;   in Loop: Header=BB193_29 Depth=1
	s_or_b32 exec_lo, exec_lo, s17
	s_delay_alu instid0(SALU_CYCLE_1) | instskip(NEXT) | instid1(SALU_CYCLE_1)
	s_and_b32 s16, exec_lo, s18
	s_or_b32 s20, s16, s20
	s_delay_alu instid0(SALU_CYCLE_1)
	s_and_not1_b32 exec_lo, exec_lo, s20
	s_cbranch_execz .LBB193_53
.LBB193_29:                             ; =>This Inner Loop Header: Depth=1
	v_min_u32_e32 v48, s25, v148
	v_and_b32_e32 v49, 0xff, v130
	v_dual_mov_b32 v71, v19 :: v_dual_mov_b32 v70, v18
	s_clause 0x1
	flat_store_b128 v[4:5], v[14:17] offset:32
	flat_store_b128 v[28:29], v[14:17] offset:16
	v_lshlrev_b32_e64 v48, v48, -1
	v_lshrrev_b32_e32 v49, v10, v49
	s_waitcnt lgkmcnt(0)
	s_waitcnt_vscnt null, 0x0
	s_barrier
	buffer_gl0_inv
	v_not_b32_e32 v102, v48
	; wave barrier
	v_mov_b32_e32 v69, v21
	v_mov_b32_e32 v67, v25
	s_delay_alu instid0(VALU_DEP_3) | instskip(SKIP_2) | instid1(VALU_DEP_3)
	v_and_b32_e32 v96, v49, v102
	v_mov_b32_e32 v68, v20
	v_mov_b32_e32 v66, v24
	v_and_b32_e32 v48, 1, v96
	v_lshlrev_b32_e32 v49, 30, v96
	v_lshlrev_b32_e32 v50, 29, v96
	;; [unrolled: 1-line block ×4, first 2 shown]
	v_add_co_u32 v48, s16, v48, -1
	s_delay_alu instid0(VALU_DEP_1)
	v_cndmask_b32_e64 v52, 0, 1, s16
	v_not_b32_e32 v64, v49
	v_cmp_gt_i32_e64 s17, 0, v49
	v_not_b32_e32 v49, v50
	v_lshlrev_b32_e32 v54, 26, v96
	v_cmp_ne_u32_e64 s16, 0, v52
	v_ashrrev_i32_e32 v64, 31, v64
	v_lshlrev_b32_e32 v52, 24, v96
	v_ashrrev_i32_e32 v49, 31, v49
	s_delay_alu instid0(VALU_DEP_4)
	v_xor_b32_e32 v48, s16, v48
	v_cmp_gt_i32_e64 s16, 0, v50
	v_not_b32_e32 v50, v51
	v_xor_b32_e32 v64, s17, v64
	v_cmp_gt_i32_e64 s17, 0, v51
	v_and_b32_e32 v48, exec_lo, v48
	v_not_b32_e32 v51, v53
	v_ashrrev_i32_e32 v50, 31, v50
	v_xor_b32_e32 v49, s16, v49
	v_cmp_gt_i32_e64 s16, 0, v53
	v_and_b32_e32 v48, v48, v64
	v_mov_b32_e32 v64, v80
	v_ashrrev_i32_e32 v51, 31, v51
	v_xor_b32_e32 v50, s17, v50
	v_mov_b32_e32 v65, v81
	v_not_b32_e32 v53, v54
	v_and_b32_e32 v48, v48, v49
	v_cmp_gt_i32_e64 s17, 0, v54
	v_xor_b32_e32 v51, s16, v51
	s_delay_alu instid0(VALU_DEP_4) | instskip(NEXT) | instid1(VALU_DEP_4)
	v_ashrrev_i32_e32 v53, 31, v53
	v_and_b32_e32 v48, v48, v50
	v_not_b32_e32 v50, v52
	s_delay_alu instid0(VALU_DEP_3) | instskip(NEXT) | instid1(VALU_DEP_3)
	v_xor_b32_e32 v53, s17, v53
	v_and_b32_e32 v48, v48, v51
	v_cmp_gt_i32_e64 s17, 0, v52
	s_delay_alu instid0(VALU_DEP_4) | instskip(NEXT) | instid1(VALU_DEP_3)
	v_ashrrev_i32_e32 v50, 31, v50
	v_dual_mov_b32 v53, v23 :: v_dual_and_b32 v48, v48, v53
	v_lshlrev_b32_e32 v55, 25, v96
	s_delay_alu instid0(VALU_DEP_3) | instskip(SKIP_2) | instid1(VALU_DEP_4)
	v_xor_b32_e32 v18, s17, v50
	v_mov_b32_e32 v50, v86
	v_dual_mov_b32 v52, v22 :: v_dual_mov_b32 v51, v87
	v_not_b32_e32 v49, v55
	v_cmp_gt_i32_e64 s16, 0, v55
	v_dual_mov_b32 v54, v82 :: v_dual_mov_b32 v55, v83
	s_delay_alu instid0(VALU_DEP_3) | instskip(NEXT) | instid1(VALU_DEP_1)
	v_ashrrev_i32_e32 v49, 31, v49
	v_xor_b32_e32 v49, s16, v49
	s_delay_alu instid0(VALU_DEP_1) | instskip(SKIP_1) | instid1(VALU_DEP_2)
	v_and_b32_e32 v19, v48, v49
	v_dual_mov_b32 v48, v84 :: v_dual_mov_b32 v49, v85
	v_and_b32_e32 v18, v19, v18
	v_lshlrev_b32_e32 v19, 3, v96
	s_delay_alu instid0(VALU_DEP_2) | instskip(NEXT) | instid1(VALU_DEP_2)
	v_mbcnt_lo_u32_b32 v112, v18, 0
	v_add_lshl_u32 v19, v19, v146, 2
	v_cmp_ne_u32_e64 s16, 0, v18
	s_delay_alu instid0(VALU_DEP_3) | instskip(NEXT) | instid1(VALU_DEP_3)
	v_cmp_eq_u32_e64 s17, 0, v112
	v_add_co_u32 v80, s18, v9, v19
	s_delay_alu instid0(VALU_DEP_1) | instskip(NEXT) | instid1(VALU_DEP_3)
	v_add_co_ci_u32_e64 v81, s18, 0, v145, s18
	s_and_b32 s17, s16, s17
	s_delay_alu instid0(SALU_CYCLE_1)
	s_and_saveexec_b32 s16, s17
	s_cbranch_execz .LBB193_31
; %bb.30:                               ;   in Loop: Header=BB193_29 Depth=1
	v_bcnt_u32_b32 v18, v18, 0
	flat_store_b32 v[80:81], v18
.LBB193_31:                             ;   in Loop: Header=BB193_29 Depth=1
	s_or_b32 exec_lo, exec_lo, s16
	v_and_b32_e32 v18, 0xff, v131
	; wave barrier
	s_delay_alu instid0(VALU_DEP_1) | instskip(NEXT) | instid1(VALU_DEP_1)
	v_lshrrev_b32_e32 v18, v10, v18
	v_and_b32_e32 v18, v18, v102
	s_delay_alu instid0(VALU_DEP_1) | instskip(SKIP_3) | instid1(VALU_DEP_4)
	v_lshlrev_b32_e32 v19, 3, v18
	v_lshlrev_b32_e32 v21, 30, v18
	;; [unrolled: 1-line block ×4, first 2 shown]
	v_add_lshl_u32 v19, v19, v146, 2
	s_delay_alu instid0(VALU_DEP_1) | instskip(NEXT) | instid1(VALU_DEP_1)
	v_add_co_u32 v82, s16, v9, v19
	v_add_co_ci_u32_e64 v83, s16, 0, v145, s16
	v_and_b32_e32 v19, 1, v18
	flat_load_b32 v113, v[82:83]
	v_add_co_u32 v19, s16, v19, -1
	s_delay_alu instid0(VALU_DEP_1) | instskip(NEXT) | instid1(VALU_DEP_1)
	v_cndmask_b32_e64 v20, 0, 1, s16
	; wave barrier
	v_cmp_ne_u32_e64 s16, 0, v20
	v_not_b32_e32 v20, v21
	s_delay_alu instid0(VALU_DEP_2) | instskip(SKIP_1) | instid1(VALU_DEP_3)
	v_xor_b32_e32 v19, s16, v19
	v_cmp_gt_i32_e64 s16, 0, v21
	v_ashrrev_i32_e32 v20, 31, v20
	v_not_b32_e32 v21, v22
	s_delay_alu instid0(VALU_DEP_4) | instskip(NEXT) | instid1(VALU_DEP_3)
	v_and_b32_e32 v19, exec_lo, v19
	v_xor_b32_e32 v20, s16, v20
	v_cmp_gt_i32_e64 s16, 0, v22
	s_delay_alu instid0(VALU_DEP_4) | instskip(SKIP_1) | instid1(VALU_DEP_4)
	v_ashrrev_i32_e32 v21, 31, v21
	v_not_b32_e32 v22, v23
	v_and_b32_e32 v19, v19, v20
	v_lshlrev_b32_e32 v20, 27, v18
	s_delay_alu instid0(VALU_DEP_4) | instskip(SKIP_2) | instid1(VALU_DEP_4)
	v_xor_b32_e32 v21, s16, v21
	v_cmp_gt_i32_e64 s16, 0, v23
	v_ashrrev_i32_e32 v22, 31, v22
	v_not_b32_e32 v23, v20
	s_delay_alu instid0(VALU_DEP_4) | instskip(SKIP_1) | instid1(VALU_DEP_4)
	v_and_b32_e32 v19, v19, v21
	v_lshlrev_b32_e32 v21, 26, v18
	v_xor_b32_e32 v22, s16, v22
	v_cmp_gt_i32_e64 s16, 0, v20
	v_ashrrev_i32_e32 v20, 31, v23
	s_delay_alu instid0(VALU_DEP_4) | instskip(NEXT) | instid1(VALU_DEP_4)
	v_not_b32_e32 v23, v21
	v_and_b32_e32 v19, v19, v22
	v_lshlrev_b32_e32 v22, 25, v18
	s_delay_alu instid0(VALU_DEP_4)
	v_xor_b32_e32 v20, s16, v20
	v_cmp_gt_i32_e64 s16, 0, v21
	v_ashrrev_i32_e32 v21, 31, v23
	v_lshlrev_b32_e32 v18, 24, v18
	v_not_b32_e32 v23, v22
	v_and_b32_e32 v19, v19, v20
	s_delay_alu instid0(VALU_DEP_4) | instskip(SKIP_1) | instid1(VALU_DEP_4)
	v_xor_b32_e32 v20, s16, v21
	v_cmp_gt_i32_e64 s16, 0, v22
	v_ashrrev_i32_e32 v21, 31, v23
	v_not_b32_e32 v22, v18
	s_delay_alu instid0(VALU_DEP_4) | instskip(NEXT) | instid1(VALU_DEP_3)
	v_and_b32_e32 v19, v19, v20
	v_xor_b32_e32 v20, s16, v21
	v_cmp_gt_i32_e64 s16, 0, v18
	s_delay_alu instid0(VALU_DEP_4) | instskip(NEXT) | instid1(VALU_DEP_3)
	v_ashrrev_i32_e32 v18, 31, v22
	v_and_b32_e32 v19, v19, v20
	s_delay_alu instid0(VALU_DEP_2) | instskip(NEXT) | instid1(VALU_DEP_1)
	v_xor_b32_e32 v18, s16, v18
	v_and_b32_e32 v18, v19, v18
	s_delay_alu instid0(VALU_DEP_1) | instskip(SKIP_1) | instid1(VALU_DEP_2)
	v_mbcnt_lo_u32_b32 v114, v18, 0
	v_cmp_ne_u32_e64 s17, 0, v18
	v_cmp_eq_u32_e64 s16, 0, v114
	s_delay_alu instid0(VALU_DEP_1) | instskip(NEXT) | instid1(SALU_CYCLE_1)
	s_and_b32 s17, s17, s16
	s_and_saveexec_b32 s16, s17
	s_cbranch_execz .LBB193_33
; %bb.32:                               ;   in Loop: Header=BB193_29 Depth=1
	s_waitcnt vmcnt(0) lgkmcnt(0)
	v_bcnt_u32_b32 v18, v18, v113
	flat_store_b32 v[82:83], v18
.LBB193_33:                             ;   in Loop: Header=BB193_29 Depth=1
	s_or_b32 exec_lo, exec_lo, s16
	v_and_b32_e32 v18, 0xff, v133
	; wave barrier
	s_delay_alu instid0(VALU_DEP_1) | instskip(NEXT) | instid1(VALU_DEP_1)
	v_lshrrev_b32_e32 v18, v10, v18
	v_and_b32_e32 v18, v18, v102
	s_delay_alu instid0(VALU_DEP_1) | instskip(SKIP_3) | instid1(VALU_DEP_4)
	v_lshlrev_b32_e32 v19, 3, v18
	v_lshlrev_b32_e32 v21, 30, v18
	;; [unrolled: 1-line block ×4, first 2 shown]
	v_add_lshl_u32 v19, v19, v146, 2
	s_delay_alu instid0(VALU_DEP_1) | instskip(NEXT) | instid1(VALU_DEP_1)
	v_add_co_u32 v84, s16, v9, v19
	v_add_co_ci_u32_e64 v85, s16, 0, v145, s16
	v_and_b32_e32 v19, 1, v18
	flat_load_b32 v115, v[84:85]
	v_add_co_u32 v19, s16, v19, -1
	s_delay_alu instid0(VALU_DEP_1) | instskip(NEXT) | instid1(VALU_DEP_1)
	v_cndmask_b32_e64 v20, 0, 1, s16
	; wave barrier
	v_cmp_ne_u32_e64 s16, 0, v20
	v_not_b32_e32 v20, v21
	s_delay_alu instid0(VALU_DEP_2) | instskip(SKIP_1) | instid1(VALU_DEP_3)
	v_xor_b32_e32 v19, s16, v19
	v_cmp_gt_i32_e64 s16, 0, v21
	v_ashrrev_i32_e32 v20, 31, v20
	v_not_b32_e32 v21, v22
	s_delay_alu instid0(VALU_DEP_4) | instskip(NEXT) | instid1(VALU_DEP_3)
	v_and_b32_e32 v19, exec_lo, v19
	v_xor_b32_e32 v20, s16, v20
	v_cmp_gt_i32_e64 s16, 0, v22
	s_delay_alu instid0(VALU_DEP_4) | instskip(SKIP_1) | instid1(VALU_DEP_4)
	v_ashrrev_i32_e32 v21, 31, v21
	v_not_b32_e32 v22, v23
	v_and_b32_e32 v19, v19, v20
	v_lshlrev_b32_e32 v20, 27, v18
	s_delay_alu instid0(VALU_DEP_4) | instskip(SKIP_2) | instid1(VALU_DEP_4)
	v_xor_b32_e32 v21, s16, v21
	v_cmp_gt_i32_e64 s16, 0, v23
	v_ashrrev_i32_e32 v22, 31, v22
	v_not_b32_e32 v23, v20
	s_delay_alu instid0(VALU_DEP_4) | instskip(SKIP_1) | instid1(VALU_DEP_4)
	v_and_b32_e32 v19, v19, v21
	v_lshlrev_b32_e32 v21, 26, v18
	v_xor_b32_e32 v22, s16, v22
	v_cmp_gt_i32_e64 s16, 0, v20
	v_ashrrev_i32_e32 v20, 31, v23
	s_delay_alu instid0(VALU_DEP_4) | instskip(NEXT) | instid1(VALU_DEP_4)
	v_not_b32_e32 v23, v21
	v_and_b32_e32 v19, v19, v22
	v_lshlrev_b32_e32 v22, 25, v18
	s_delay_alu instid0(VALU_DEP_4)
	v_xor_b32_e32 v20, s16, v20
	v_cmp_gt_i32_e64 s16, 0, v21
	v_ashrrev_i32_e32 v21, 31, v23
	v_lshlrev_b32_e32 v18, 24, v18
	v_not_b32_e32 v23, v22
	v_and_b32_e32 v19, v19, v20
	s_delay_alu instid0(VALU_DEP_4) | instskip(SKIP_1) | instid1(VALU_DEP_4)
	v_xor_b32_e32 v20, s16, v21
	v_cmp_gt_i32_e64 s16, 0, v22
	v_ashrrev_i32_e32 v21, 31, v23
	v_not_b32_e32 v22, v18
	s_delay_alu instid0(VALU_DEP_4) | instskip(NEXT) | instid1(VALU_DEP_3)
	v_and_b32_e32 v19, v19, v20
	v_xor_b32_e32 v20, s16, v21
	v_cmp_gt_i32_e64 s16, 0, v18
	s_delay_alu instid0(VALU_DEP_4) | instskip(NEXT) | instid1(VALU_DEP_3)
	v_ashrrev_i32_e32 v18, 31, v22
	v_and_b32_e32 v19, v19, v20
	s_delay_alu instid0(VALU_DEP_2) | instskip(NEXT) | instid1(VALU_DEP_1)
	v_xor_b32_e32 v18, s16, v18
	v_and_b32_e32 v18, v19, v18
	s_delay_alu instid0(VALU_DEP_1) | instskip(SKIP_1) | instid1(VALU_DEP_2)
	v_mbcnt_lo_u32_b32 v116, v18, 0
	v_cmp_ne_u32_e64 s17, 0, v18
	v_cmp_eq_u32_e64 s16, 0, v116
	s_delay_alu instid0(VALU_DEP_1) | instskip(NEXT) | instid1(SALU_CYCLE_1)
	s_and_b32 s17, s17, s16
	s_and_saveexec_b32 s16, s17
	s_cbranch_execz .LBB193_35
; %bb.34:                               ;   in Loop: Header=BB193_29 Depth=1
	s_waitcnt vmcnt(0) lgkmcnt(0)
	v_bcnt_u32_b32 v18, v18, v115
	flat_store_b32 v[84:85], v18
.LBB193_35:                             ;   in Loop: Header=BB193_29 Depth=1
	s_or_b32 exec_lo, exec_lo, s16
	v_and_b32_e32 v18, 0xff, v134
	; wave barrier
	s_delay_alu instid0(VALU_DEP_1) | instskip(NEXT) | instid1(VALU_DEP_1)
	v_lshrrev_b32_e32 v18, v10, v18
	v_and_b32_e32 v18, v18, v102
	s_delay_alu instid0(VALU_DEP_1) | instskip(SKIP_3) | instid1(VALU_DEP_4)
	v_lshlrev_b32_e32 v19, 3, v18
	v_lshlrev_b32_e32 v21, 30, v18
	;; [unrolled: 1-line block ×4, first 2 shown]
	v_add_lshl_u32 v19, v19, v146, 2
	s_delay_alu instid0(VALU_DEP_1) | instskip(NEXT) | instid1(VALU_DEP_1)
	v_add_co_u32 v86, s16, v9, v19
	v_add_co_ci_u32_e64 v87, s16, 0, v145, s16
	v_and_b32_e32 v19, 1, v18
	flat_load_b32 v117, v[86:87]
	v_add_co_u32 v19, s16, v19, -1
	s_delay_alu instid0(VALU_DEP_1) | instskip(NEXT) | instid1(VALU_DEP_1)
	v_cndmask_b32_e64 v20, 0, 1, s16
	; wave barrier
	v_cmp_ne_u32_e64 s16, 0, v20
	v_not_b32_e32 v20, v21
	s_delay_alu instid0(VALU_DEP_2) | instskip(SKIP_1) | instid1(VALU_DEP_3)
	v_xor_b32_e32 v19, s16, v19
	v_cmp_gt_i32_e64 s16, 0, v21
	v_ashrrev_i32_e32 v20, 31, v20
	v_not_b32_e32 v21, v22
	s_delay_alu instid0(VALU_DEP_4) | instskip(NEXT) | instid1(VALU_DEP_3)
	v_and_b32_e32 v19, exec_lo, v19
	v_xor_b32_e32 v20, s16, v20
	v_cmp_gt_i32_e64 s16, 0, v22
	s_delay_alu instid0(VALU_DEP_4) | instskip(SKIP_1) | instid1(VALU_DEP_4)
	v_ashrrev_i32_e32 v21, 31, v21
	v_not_b32_e32 v22, v23
	v_and_b32_e32 v19, v19, v20
	v_lshlrev_b32_e32 v20, 27, v18
	s_delay_alu instid0(VALU_DEP_4) | instskip(SKIP_2) | instid1(VALU_DEP_4)
	v_xor_b32_e32 v21, s16, v21
	v_cmp_gt_i32_e64 s16, 0, v23
	v_ashrrev_i32_e32 v22, 31, v22
	v_not_b32_e32 v23, v20
	s_delay_alu instid0(VALU_DEP_4) | instskip(SKIP_1) | instid1(VALU_DEP_4)
	v_and_b32_e32 v19, v19, v21
	v_lshlrev_b32_e32 v21, 26, v18
	v_xor_b32_e32 v22, s16, v22
	v_cmp_gt_i32_e64 s16, 0, v20
	v_ashrrev_i32_e32 v20, 31, v23
	s_delay_alu instid0(VALU_DEP_4) | instskip(NEXT) | instid1(VALU_DEP_4)
	v_not_b32_e32 v23, v21
	v_and_b32_e32 v19, v19, v22
	v_lshlrev_b32_e32 v22, 25, v18
	s_delay_alu instid0(VALU_DEP_4)
	v_xor_b32_e32 v20, s16, v20
	v_cmp_gt_i32_e64 s16, 0, v21
	v_ashrrev_i32_e32 v21, 31, v23
	v_lshlrev_b32_e32 v18, 24, v18
	v_not_b32_e32 v23, v22
	v_and_b32_e32 v19, v19, v20
	s_delay_alu instid0(VALU_DEP_4) | instskip(SKIP_1) | instid1(VALU_DEP_4)
	v_xor_b32_e32 v20, s16, v21
	v_cmp_gt_i32_e64 s16, 0, v22
	v_ashrrev_i32_e32 v21, 31, v23
	v_not_b32_e32 v22, v18
	s_delay_alu instid0(VALU_DEP_4) | instskip(NEXT) | instid1(VALU_DEP_3)
	v_and_b32_e32 v19, v19, v20
	v_xor_b32_e32 v20, s16, v21
	v_cmp_gt_i32_e64 s16, 0, v18
	s_delay_alu instid0(VALU_DEP_4) | instskip(NEXT) | instid1(VALU_DEP_3)
	v_ashrrev_i32_e32 v18, 31, v22
	v_and_b32_e32 v19, v19, v20
	s_delay_alu instid0(VALU_DEP_2) | instskip(NEXT) | instid1(VALU_DEP_1)
	v_xor_b32_e32 v18, s16, v18
	v_and_b32_e32 v18, v19, v18
	s_delay_alu instid0(VALU_DEP_1) | instskip(SKIP_1) | instid1(VALU_DEP_2)
	v_mbcnt_lo_u32_b32 v118, v18, 0
	v_cmp_ne_u32_e64 s17, 0, v18
	v_cmp_eq_u32_e64 s16, 0, v118
	s_delay_alu instid0(VALU_DEP_1) | instskip(NEXT) | instid1(SALU_CYCLE_1)
	s_and_b32 s17, s17, s16
	s_and_saveexec_b32 s16, s17
	s_cbranch_execz .LBB193_37
; %bb.36:                               ;   in Loop: Header=BB193_29 Depth=1
	s_waitcnt vmcnt(0) lgkmcnt(0)
	v_bcnt_u32_b32 v18, v18, v117
	flat_store_b32 v[86:87], v18
.LBB193_37:                             ;   in Loop: Header=BB193_29 Depth=1
	s_or_b32 exec_lo, exec_lo, s16
	v_and_b32_e32 v18, 0xff, v135
	; wave barrier
	s_delay_alu instid0(VALU_DEP_1) | instskip(NEXT) | instid1(VALU_DEP_1)
	v_lshrrev_b32_e32 v18, v10, v18
	v_and_b32_e32 v18, v18, v102
	s_delay_alu instid0(VALU_DEP_1) | instskip(SKIP_3) | instid1(VALU_DEP_4)
	v_lshlrev_b32_e32 v19, 3, v18
	v_lshlrev_b32_e32 v21, 30, v18
	;; [unrolled: 1-line block ×4, first 2 shown]
	v_add_lshl_u32 v19, v19, v146, 2
	s_delay_alu instid0(VALU_DEP_1) | instskip(NEXT) | instid1(VALU_DEP_1)
	v_add_co_u32 v96, s16, v9, v19
	v_add_co_ci_u32_e64 v97, s16, 0, v145, s16
	v_and_b32_e32 v19, 1, v18
	flat_load_b32 v119, v[96:97]
	v_add_co_u32 v19, s16, v19, -1
	s_delay_alu instid0(VALU_DEP_1) | instskip(NEXT) | instid1(VALU_DEP_1)
	v_cndmask_b32_e64 v20, 0, 1, s16
	; wave barrier
	v_cmp_ne_u32_e64 s16, 0, v20
	v_not_b32_e32 v20, v21
	s_delay_alu instid0(VALU_DEP_2) | instskip(SKIP_1) | instid1(VALU_DEP_3)
	v_xor_b32_e32 v19, s16, v19
	v_cmp_gt_i32_e64 s16, 0, v21
	v_ashrrev_i32_e32 v20, 31, v20
	v_not_b32_e32 v21, v22
	s_delay_alu instid0(VALU_DEP_4) | instskip(NEXT) | instid1(VALU_DEP_3)
	v_and_b32_e32 v19, exec_lo, v19
	v_xor_b32_e32 v20, s16, v20
	v_cmp_gt_i32_e64 s16, 0, v22
	s_delay_alu instid0(VALU_DEP_4) | instskip(SKIP_1) | instid1(VALU_DEP_4)
	v_ashrrev_i32_e32 v21, 31, v21
	v_not_b32_e32 v22, v23
	v_and_b32_e32 v19, v19, v20
	v_lshlrev_b32_e32 v20, 27, v18
	s_delay_alu instid0(VALU_DEP_4) | instskip(SKIP_2) | instid1(VALU_DEP_4)
	v_xor_b32_e32 v21, s16, v21
	v_cmp_gt_i32_e64 s16, 0, v23
	v_ashrrev_i32_e32 v22, 31, v22
	v_not_b32_e32 v23, v20
	s_delay_alu instid0(VALU_DEP_4) | instskip(SKIP_1) | instid1(VALU_DEP_4)
	v_and_b32_e32 v19, v19, v21
	v_lshlrev_b32_e32 v21, 26, v18
	v_xor_b32_e32 v22, s16, v22
	v_cmp_gt_i32_e64 s16, 0, v20
	v_ashrrev_i32_e32 v20, 31, v23
	s_delay_alu instid0(VALU_DEP_4) | instskip(NEXT) | instid1(VALU_DEP_4)
	v_not_b32_e32 v23, v21
	v_and_b32_e32 v19, v19, v22
	v_lshlrev_b32_e32 v22, 25, v18
	s_delay_alu instid0(VALU_DEP_4)
	v_xor_b32_e32 v20, s16, v20
	v_cmp_gt_i32_e64 s16, 0, v21
	v_ashrrev_i32_e32 v21, 31, v23
	v_lshlrev_b32_e32 v18, 24, v18
	v_not_b32_e32 v23, v22
	v_and_b32_e32 v19, v19, v20
	s_delay_alu instid0(VALU_DEP_4) | instskip(SKIP_1) | instid1(VALU_DEP_4)
	v_xor_b32_e32 v20, s16, v21
	v_cmp_gt_i32_e64 s16, 0, v22
	v_ashrrev_i32_e32 v21, 31, v23
	v_not_b32_e32 v22, v18
	s_delay_alu instid0(VALU_DEP_4) | instskip(NEXT) | instid1(VALU_DEP_3)
	v_and_b32_e32 v19, v19, v20
	v_xor_b32_e32 v20, s16, v21
	v_cmp_gt_i32_e64 s16, 0, v18
	s_delay_alu instid0(VALU_DEP_4) | instskip(NEXT) | instid1(VALU_DEP_3)
	v_ashrrev_i32_e32 v18, 31, v22
	v_and_b32_e32 v19, v19, v20
	s_delay_alu instid0(VALU_DEP_2) | instskip(NEXT) | instid1(VALU_DEP_1)
	v_xor_b32_e32 v18, s16, v18
	v_and_b32_e32 v18, v19, v18
	s_delay_alu instid0(VALU_DEP_1) | instskip(SKIP_1) | instid1(VALU_DEP_2)
	v_mbcnt_lo_u32_b32 v149, v18, 0
	v_cmp_ne_u32_e64 s17, 0, v18
	v_cmp_eq_u32_e64 s16, 0, v149
	s_delay_alu instid0(VALU_DEP_1) | instskip(NEXT) | instid1(SALU_CYCLE_1)
	s_and_b32 s17, s17, s16
	s_and_saveexec_b32 s16, s17
	s_cbranch_execz .LBB193_39
; %bb.38:                               ;   in Loop: Header=BB193_29 Depth=1
	s_waitcnt vmcnt(0) lgkmcnt(0)
	v_bcnt_u32_b32 v18, v18, v119
	flat_store_b32 v[96:97], v18
.LBB193_39:                             ;   in Loop: Header=BB193_29 Depth=1
	s_or_b32 exec_lo, exec_lo, s16
	v_and_b32_e32 v18, 0xff, v132
	; wave barrier
	s_delay_alu instid0(VALU_DEP_1) | instskip(NEXT) | instid1(VALU_DEP_1)
	v_lshrrev_b32_e32 v18, v10, v18
	v_and_b32_e32 v18, v18, v102
	s_delay_alu instid0(VALU_DEP_1) | instskip(SKIP_3) | instid1(VALU_DEP_4)
	v_lshlrev_b32_e32 v19, 3, v18
	v_lshlrev_b32_e32 v21, 30, v18
	;; [unrolled: 1-line block ×4, first 2 shown]
	v_add_lshl_u32 v19, v19, v146, 2
	s_delay_alu instid0(VALU_DEP_1) | instskip(NEXT) | instid1(VALU_DEP_1)
	v_add_co_u32 v98, s16, v9, v19
	v_add_co_ci_u32_e64 v99, s16, 0, v145, s16
	v_and_b32_e32 v19, 1, v18
	flat_load_b32 v150, v[98:99]
	v_add_co_u32 v19, s16, v19, -1
	s_delay_alu instid0(VALU_DEP_1) | instskip(NEXT) | instid1(VALU_DEP_1)
	v_cndmask_b32_e64 v20, 0, 1, s16
	; wave barrier
	v_cmp_ne_u32_e64 s16, 0, v20
	v_not_b32_e32 v20, v21
	s_delay_alu instid0(VALU_DEP_2) | instskip(SKIP_1) | instid1(VALU_DEP_3)
	v_xor_b32_e32 v19, s16, v19
	v_cmp_gt_i32_e64 s16, 0, v21
	v_ashrrev_i32_e32 v20, 31, v20
	v_not_b32_e32 v21, v22
	s_delay_alu instid0(VALU_DEP_4) | instskip(NEXT) | instid1(VALU_DEP_3)
	v_and_b32_e32 v19, exec_lo, v19
	v_xor_b32_e32 v20, s16, v20
	v_cmp_gt_i32_e64 s16, 0, v22
	s_delay_alu instid0(VALU_DEP_4) | instskip(SKIP_1) | instid1(VALU_DEP_4)
	v_ashrrev_i32_e32 v21, 31, v21
	v_not_b32_e32 v22, v23
	v_and_b32_e32 v19, v19, v20
	v_lshlrev_b32_e32 v20, 27, v18
	s_delay_alu instid0(VALU_DEP_4) | instskip(SKIP_2) | instid1(VALU_DEP_4)
	v_xor_b32_e32 v21, s16, v21
	v_cmp_gt_i32_e64 s16, 0, v23
	v_ashrrev_i32_e32 v22, 31, v22
	v_not_b32_e32 v23, v20
	s_delay_alu instid0(VALU_DEP_4) | instskip(SKIP_1) | instid1(VALU_DEP_4)
	v_and_b32_e32 v19, v19, v21
	v_lshlrev_b32_e32 v21, 26, v18
	v_xor_b32_e32 v22, s16, v22
	v_cmp_gt_i32_e64 s16, 0, v20
	v_ashrrev_i32_e32 v20, 31, v23
	s_delay_alu instid0(VALU_DEP_4) | instskip(NEXT) | instid1(VALU_DEP_4)
	v_not_b32_e32 v23, v21
	v_and_b32_e32 v19, v19, v22
	v_lshlrev_b32_e32 v22, 25, v18
	s_delay_alu instid0(VALU_DEP_4)
	v_xor_b32_e32 v20, s16, v20
	v_cmp_gt_i32_e64 s16, 0, v21
	v_ashrrev_i32_e32 v21, 31, v23
	v_lshlrev_b32_e32 v18, 24, v18
	v_not_b32_e32 v23, v22
	v_and_b32_e32 v19, v19, v20
	s_delay_alu instid0(VALU_DEP_4) | instskip(SKIP_1) | instid1(VALU_DEP_4)
	v_xor_b32_e32 v20, s16, v21
	v_cmp_gt_i32_e64 s16, 0, v22
	v_ashrrev_i32_e32 v21, 31, v23
	v_not_b32_e32 v22, v18
	s_delay_alu instid0(VALU_DEP_4) | instskip(NEXT) | instid1(VALU_DEP_3)
	v_and_b32_e32 v19, v19, v20
	v_xor_b32_e32 v20, s16, v21
	v_cmp_gt_i32_e64 s16, 0, v18
	s_delay_alu instid0(VALU_DEP_4) | instskip(NEXT) | instid1(VALU_DEP_3)
	v_ashrrev_i32_e32 v18, 31, v22
	v_and_b32_e32 v19, v19, v20
	s_delay_alu instid0(VALU_DEP_2) | instskip(NEXT) | instid1(VALU_DEP_1)
	v_xor_b32_e32 v18, s16, v18
	v_and_b32_e32 v18, v19, v18
	s_delay_alu instid0(VALU_DEP_1) | instskip(SKIP_1) | instid1(VALU_DEP_2)
	v_mbcnt_lo_u32_b32 v151, v18, 0
	v_cmp_ne_u32_e64 s17, 0, v18
	v_cmp_eq_u32_e64 s16, 0, v151
	s_delay_alu instid0(VALU_DEP_1) | instskip(NEXT) | instid1(SALU_CYCLE_1)
	s_and_b32 s17, s17, s16
	s_and_saveexec_b32 s16, s17
	s_cbranch_execz .LBB193_41
; %bb.40:                               ;   in Loop: Header=BB193_29 Depth=1
	s_waitcnt vmcnt(0) lgkmcnt(0)
	v_bcnt_u32_b32 v18, v18, v150
	flat_store_b32 v[98:99], v18
.LBB193_41:                             ;   in Loop: Header=BB193_29 Depth=1
	s_or_b32 exec_lo, exec_lo, s16
	v_and_b32_e32 v18, 0xff, v144
	; wave barrier
	s_delay_alu instid0(VALU_DEP_1) | instskip(NEXT) | instid1(VALU_DEP_1)
	v_lshrrev_b32_e32 v18, v10, v18
	v_and_b32_e32 v18, v18, v102
	s_delay_alu instid0(VALU_DEP_1) | instskip(SKIP_3) | instid1(VALU_DEP_4)
	v_lshlrev_b32_e32 v19, 3, v18
	v_lshlrev_b32_e32 v21, 30, v18
	v_lshlrev_b32_e32 v22, 29, v18
	v_lshlrev_b32_e32 v23, 28, v18
	v_add_lshl_u32 v19, v19, v146, 2
	s_delay_alu instid0(VALU_DEP_1) | instskip(NEXT) | instid1(VALU_DEP_1)
	v_add_co_u32 v100, s16, v9, v19
	v_add_co_ci_u32_e64 v101, s16, 0, v145, s16
	v_and_b32_e32 v19, 1, v18
	flat_load_b32 v160, v[100:101]
	v_add_co_u32 v19, s16, v19, -1
	s_delay_alu instid0(VALU_DEP_1) | instskip(NEXT) | instid1(VALU_DEP_1)
	v_cndmask_b32_e64 v20, 0, 1, s16
	; wave barrier
	v_cmp_ne_u32_e64 s16, 0, v20
	v_not_b32_e32 v20, v21
	s_delay_alu instid0(VALU_DEP_2) | instskip(SKIP_1) | instid1(VALU_DEP_3)
	v_xor_b32_e32 v19, s16, v19
	v_cmp_gt_i32_e64 s16, 0, v21
	v_ashrrev_i32_e32 v20, 31, v20
	v_not_b32_e32 v21, v22
	s_delay_alu instid0(VALU_DEP_4) | instskip(NEXT) | instid1(VALU_DEP_3)
	v_and_b32_e32 v19, exec_lo, v19
	v_xor_b32_e32 v20, s16, v20
	v_cmp_gt_i32_e64 s16, 0, v22
	s_delay_alu instid0(VALU_DEP_4) | instskip(SKIP_1) | instid1(VALU_DEP_4)
	v_ashrrev_i32_e32 v21, 31, v21
	v_not_b32_e32 v22, v23
	v_and_b32_e32 v19, v19, v20
	v_lshlrev_b32_e32 v20, 27, v18
	s_delay_alu instid0(VALU_DEP_4) | instskip(SKIP_2) | instid1(VALU_DEP_4)
	v_xor_b32_e32 v21, s16, v21
	v_cmp_gt_i32_e64 s16, 0, v23
	v_ashrrev_i32_e32 v22, 31, v22
	v_not_b32_e32 v23, v20
	s_delay_alu instid0(VALU_DEP_4) | instskip(SKIP_1) | instid1(VALU_DEP_4)
	v_and_b32_e32 v19, v19, v21
	v_lshlrev_b32_e32 v21, 26, v18
	v_xor_b32_e32 v22, s16, v22
	v_cmp_gt_i32_e64 s16, 0, v20
	v_ashrrev_i32_e32 v20, 31, v23
	s_delay_alu instid0(VALU_DEP_4) | instskip(NEXT) | instid1(VALU_DEP_4)
	v_not_b32_e32 v23, v21
	v_and_b32_e32 v19, v19, v22
	v_lshlrev_b32_e32 v22, 25, v18
	s_delay_alu instid0(VALU_DEP_4)
	v_xor_b32_e32 v20, s16, v20
	v_cmp_gt_i32_e64 s16, 0, v21
	v_ashrrev_i32_e32 v21, 31, v23
	v_lshlrev_b32_e32 v18, 24, v18
	v_not_b32_e32 v23, v22
	v_and_b32_e32 v19, v19, v20
	s_delay_alu instid0(VALU_DEP_4) | instskip(SKIP_1) | instid1(VALU_DEP_4)
	v_xor_b32_e32 v20, s16, v21
	v_cmp_gt_i32_e64 s16, 0, v22
	v_ashrrev_i32_e32 v21, 31, v23
	v_not_b32_e32 v22, v18
	s_delay_alu instid0(VALU_DEP_4) | instskip(NEXT) | instid1(VALU_DEP_3)
	v_and_b32_e32 v19, v19, v20
	v_xor_b32_e32 v20, s16, v21
	v_cmp_gt_i32_e64 s16, 0, v18
	s_delay_alu instid0(VALU_DEP_4) | instskip(NEXT) | instid1(VALU_DEP_3)
	v_ashrrev_i32_e32 v18, 31, v22
	v_and_b32_e32 v19, v19, v20
	s_delay_alu instid0(VALU_DEP_2) | instskip(NEXT) | instid1(VALU_DEP_1)
	v_xor_b32_e32 v18, s16, v18
	v_and_b32_e32 v18, v19, v18
	s_delay_alu instid0(VALU_DEP_1) | instskip(SKIP_1) | instid1(VALU_DEP_2)
	v_mbcnt_lo_u32_b32 v161, v18, 0
	v_cmp_ne_u32_e64 s17, 0, v18
	v_cmp_eq_u32_e64 s16, 0, v161
	s_delay_alu instid0(VALU_DEP_1) | instskip(NEXT) | instid1(SALU_CYCLE_1)
	s_and_b32 s17, s17, s16
	s_and_saveexec_b32 s16, s17
	s_cbranch_execz .LBB193_43
; %bb.42:                               ;   in Loop: Header=BB193_29 Depth=1
	s_waitcnt vmcnt(0) lgkmcnt(0)
	v_bcnt_u32_b32 v18, v18, v160
	flat_store_b32 v[100:101], v18
.LBB193_43:                             ;   in Loop: Header=BB193_29 Depth=1
	s_or_b32 exec_lo, exec_lo, s16
	v_and_b32_e32 v18, 0xff, v129
	; wave barrier
	s_delay_alu instid0(VALU_DEP_1) | instskip(NEXT) | instid1(VALU_DEP_1)
	v_lshrrev_b32_e32 v18, v10, v18
	v_and_b32_e32 v18, v18, v102
	s_delay_alu instid0(VALU_DEP_1) | instskip(SKIP_3) | instid1(VALU_DEP_4)
	v_lshlrev_b32_e32 v19, 3, v18
	v_lshlrev_b32_e32 v21, 30, v18
	;; [unrolled: 1-line block ×4, first 2 shown]
	v_add_lshl_u32 v19, v19, v146, 2
	s_delay_alu instid0(VALU_DEP_1) | instskip(NEXT) | instid1(VALU_DEP_1)
	v_add_co_u32 v102, s16, v9, v19
	v_add_co_ci_u32_e64 v103, s16, 0, v145, s16
	v_and_b32_e32 v19, 1, v18
	flat_load_b32 v165, v[102:103]
	v_add_co_u32 v19, s16, v19, -1
	s_delay_alu instid0(VALU_DEP_1) | instskip(NEXT) | instid1(VALU_DEP_1)
	v_cndmask_b32_e64 v20, 0, 1, s16
	; wave barrier
	v_cmp_ne_u32_e64 s16, 0, v20
	v_not_b32_e32 v20, v21
	s_delay_alu instid0(VALU_DEP_2) | instskip(SKIP_1) | instid1(VALU_DEP_3)
	v_xor_b32_e32 v19, s16, v19
	v_cmp_gt_i32_e64 s16, 0, v21
	v_ashrrev_i32_e32 v20, 31, v20
	v_not_b32_e32 v21, v22
	s_delay_alu instid0(VALU_DEP_4) | instskip(NEXT) | instid1(VALU_DEP_3)
	v_and_b32_e32 v19, exec_lo, v19
	v_xor_b32_e32 v20, s16, v20
	v_cmp_gt_i32_e64 s16, 0, v22
	s_delay_alu instid0(VALU_DEP_4) | instskip(SKIP_1) | instid1(VALU_DEP_4)
	v_ashrrev_i32_e32 v21, 31, v21
	v_not_b32_e32 v22, v23
	v_and_b32_e32 v19, v19, v20
	v_lshlrev_b32_e32 v20, 27, v18
	s_delay_alu instid0(VALU_DEP_4) | instskip(SKIP_2) | instid1(VALU_DEP_4)
	v_xor_b32_e32 v21, s16, v21
	v_cmp_gt_i32_e64 s16, 0, v23
	v_ashrrev_i32_e32 v22, 31, v22
	v_not_b32_e32 v23, v20
	s_delay_alu instid0(VALU_DEP_4) | instskip(SKIP_1) | instid1(VALU_DEP_4)
	v_and_b32_e32 v19, v19, v21
	v_lshlrev_b32_e32 v21, 26, v18
	v_xor_b32_e32 v22, s16, v22
	v_cmp_gt_i32_e64 s16, 0, v20
	v_ashrrev_i32_e32 v20, 31, v23
	s_delay_alu instid0(VALU_DEP_4) | instskip(NEXT) | instid1(VALU_DEP_4)
	v_not_b32_e32 v23, v21
	v_and_b32_e32 v19, v19, v22
	v_lshlrev_b32_e32 v22, 25, v18
	s_delay_alu instid0(VALU_DEP_4)
	v_xor_b32_e32 v20, s16, v20
	v_cmp_gt_i32_e64 s16, 0, v21
	v_ashrrev_i32_e32 v21, 31, v23
	v_lshlrev_b32_e32 v18, 24, v18
	v_not_b32_e32 v23, v22
	v_and_b32_e32 v19, v19, v20
	s_delay_alu instid0(VALU_DEP_4) | instskip(SKIP_1) | instid1(VALU_DEP_4)
	v_xor_b32_e32 v20, s16, v21
	v_cmp_gt_i32_e64 s16, 0, v22
	v_ashrrev_i32_e32 v21, 31, v23
	v_not_b32_e32 v22, v18
	s_delay_alu instid0(VALU_DEP_4) | instskip(NEXT) | instid1(VALU_DEP_3)
	v_and_b32_e32 v19, v19, v20
	v_xor_b32_e32 v20, s16, v21
	v_cmp_gt_i32_e64 s16, 0, v18
	s_delay_alu instid0(VALU_DEP_4) | instskip(NEXT) | instid1(VALU_DEP_3)
	v_ashrrev_i32_e32 v18, 31, v22
	v_and_b32_e32 v19, v19, v20
	s_delay_alu instid0(VALU_DEP_2) | instskip(NEXT) | instid1(VALU_DEP_1)
	v_xor_b32_e32 v18, s16, v18
	v_and_b32_e32 v18, v19, v18
	s_delay_alu instid0(VALU_DEP_1) | instskip(SKIP_1) | instid1(VALU_DEP_2)
	v_mbcnt_lo_u32_b32 v192, v18, 0
	v_cmp_ne_u32_e64 s17, 0, v18
	v_cmp_eq_u32_e64 s16, 0, v192
	s_delay_alu instid0(VALU_DEP_1) | instskip(NEXT) | instid1(SALU_CYCLE_1)
	s_and_b32 s17, s17, s16
	s_and_saveexec_b32 s16, s17
	s_cbranch_execz .LBB193_45
; %bb.44:                               ;   in Loop: Header=BB193_29 Depth=1
	s_waitcnt vmcnt(0) lgkmcnt(0)
	v_bcnt_u32_b32 v18, v18, v165
	flat_store_b32 v[102:103], v18
.LBB193_45:                             ;   in Loop: Header=BB193_29 Depth=1
	s_or_b32 exec_lo, exec_lo, s16
	; wave barrier
	s_waitcnt vmcnt(0) lgkmcnt(0)
	s_waitcnt_vscnt null, 0x0
	s_barrier
	buffer_gl0_inv
	s_clause 0x1
	flat_load_b128 v[22:25], v[4:5] offset:32
	flat_load_b128 v[18:21], v[28:29] offset:16
	s_waitcnt vmcnt(1) lgkmcnt(1)
	v_add_nc_u32_e32 v162, v23, v22
	s_delay_alu instid0(VALU_DEP_1) | instskip(SKIP_1) | instid1(VALU_DEP_1)
	v_add3_u32 v162, v162, v24, v25
	s_waitcnt vmcnt(0) lgkmcnt(0)
	v_add3_u32 v162, v162, v18, v19
	s_delay_alu instid0(VALU_DEP_1) | instskip(NEXT) | instid1(VALU_DEP_1)
	v_add3_u32 v21, v162, v20, v21
	v_mov_b32_dpp v162, v21 row_shr:1 row_mask:0xf bank_mask:0xf
	s_delay_alu instid0(VALU_DEP_1) | instskip(NEXT) | instid1(VALU_DEP_1)
	v_cndmask_b32_e64 v162, v162, 0, vcc_lo
	v_add_nc_u32_e32 v21, v162, v21
	s_delay_alu instid0(VALU_DEP_1) | instskip(NEXT) | instid1(VALU_DEP_1)
	v_mov_b32_dpp v162, v21 row_shr:2 row_mask:0xf bank_mask:0xf
	v_cndmask_b32_e64 v162, 0, v162, s0
	s_delay_alu instid0(VALU_DEP_1) | instskip(NEXT) | instid1(VALU_DEP_1)
	v_add_nc_u32_e32 v21, v21, v162
	v_mov_b32_dpp v162, v21 row_shr:4 row_mask:0xf bank_mask:0xf
	s_delay_alu instid0(VALU_DEP_1) | instskip(NEXT) | instid1(VALU_DEP_1)
	v_cndmask_b32_e64 v162, 0, v162, s1
	v_add_nc_u32_e32 v21, v21, v162
	s_delay_alu instid0(VALU_DEP_1) | instskip(NEXT) | instid1(VALU_DEP_1)
	v_mov_b32_dpp v162, v21 row_shr:8 row_mask:0xf bank_mask:0xf
	v_cndmask_b32_e64 v162, 0, v162, s2
	s_delay_alu instid0(VALU_DEP_1) | instskip(SKIP_3) | instid1(VALU_DEP_1)
	v_add_nc_u32_e32 v21, v21, v162
	ds_swizzle_b32 v162, v21 offset:swizzle(BROADCAST,32,15)
	s_waitcnt lgkmcnt(0)
	v_cndmask_b32_e64 v162, v162, 0, s3
	v_add_nc_u32_e32 v21, v21, v162
	s_and_saveexec_b32 s16, s4
	s_cbranch_execz .LBB193_47
; %bb.46:                               ;   in Loop: Header=BB193_29 Depth=1
	flat_store_b32 v[30:31], v21
.LBB193_47:                             ;   in Loop: Header=BB193_29 Depth=1
	s_or_b32 exec_lo, exec_lo, s16
	s_waitcnt lgkmcnt(0)
	s_waitcnt_vscnt null, 0x0
	s_barrier
	buffer_gl0_inv
	s_and_saveexec_b32 s16, s5
	s_cbranch_execz .LBB193_49
; %bb.48:                               ;   in Loop: Header=BB193_29 Depth=1
	flat_load_b32 v162, v[32:33]
	s_waitcnt vmcnt(0) lgkmcnt(0)
	v_mov_b32_dpp v163, v162 row_shr:1 row_mask:0xf bank_mask:0xf
	s_delay_alu instid0(VALU_DEP_1) | instskip(NEXT) | instid1(VALU_DEP_1)
	v_cndmask_b32_e64 v163, v163, 0, s11
	v_add_nc_u32_e32 v162, v163, v162
	s_delay_alu instid0(VALU_DEP_1) | instskip(NEXT) | instid1(VALU_DEP_1)
	v_mov_b32_dpp v163, v162 row_shr:2 row_mask:0xf bank_mask:0xf
	v_cndmask_b32_e64 v163, 0, v163, s14
	s_delay_alu instid0(VALU_DEP_1) | instskip(NEXT) | instid1(VALU_DEP_1)
	v_add_nc_u32_e32 v162, v162, v163
	v_mov_b32_dpp v163, v162 row_shr:4 row_mask:0xf bank_mask:0xf
	s_delay_alu instid0(VALU_DEP_1) | instskip(NEXT) | instid1(VALU_DEP_1)
	v_cndmask_b32_e64 v163, 0, v163, s15
	v_add_nc_u32_e32 v162, v162, v163
	flat_store_b32 v[32:33], v162
.LBB193_49:                             ;   in Loop: Header=BB193_29 Depth=1
	s_or_b32 exec_lo, exec_lo, s16
	v_mov_b32_e32 v162, 0
	s_waitcnt lgkmcnt(0)
	s_waitcnt_vscnt null, 0x0
	s_barrier
	buffer_gl0_inv
	s_and_saveexec_b32 s16, s6
	s_cbranch_execz .LBB193_51
; %bb.50:                               ;   in Loop: Header=BB193_29 Depth=1
	flat_load_b32 v162, v[36:37]
.LBB193_51:                             ;   in Loop: Header=BB193_29 Depth=1
	s_or_b32 exec_lo, exec_lo, s16
	s_waitcnt vmcnt(0) lgkmcnt(0)
	v_add_nc_u32_e32 v21, v162, v21
	v_add_nc_u32_e32 v10, 8, v10
	s_mov_b32 s18, -1
	v_dual_mov_b32 v180, v135 :: v_dual_mov_b32 v183, v129
	ds_bpermute_b32 v21, v147, v21
	v_cmp_lt_u32_e64 s16, v10, v11
	v_mov_b32_e32 v181, v132
	v_mov_b32_e32 v182, v144
	s_waitcnt lgkmcnt(0)
	v_cndmask_b32_e64 v21, v21, v162, s7
	s_delay_alu instid0(VALU_DEP_1) | instskip(NEXT) | instid1(VALU_DEP_1)
	v_cndmask_b32_e64 v21, v21, 0, s10
	v_add_nc_u32_e32 v22, v21, v22
	s_delay_alu instid0(VALU_DEP_1) | instskip(NEXT) | instid1(VALU_DEP_1)
	v_add_nc_u32_e32 v23, v22, v23
	v_add_nc_u32_e32 v24, v23, v24
	s_delay_alu instid0(VALU_DEP_1) | instskip(NEXT) | instid1(VALU_DEP_1)
	v_add_nc_u32_e32 v176, v24, v25
	;; [unrolled: 3-line block ×3, first 2 shown]
	v_add_nc_u32_e32 v179, v178, v20
	s_clause 0x1
	flat_store_b128 v[4:5], v[21:24] offset:32
	flat_store_b128 v[28:29], v[176:179] offset:16
	s_waitcnt lgkmcnt(0)
	s_waitcnt_vscnt null, 0x0
	s_barrier
	buffer_gl0_inv
	s_clause 0x7
	flat_load_b32 v18, v[80:81]
	flat_load_b32 v19, v[82:83]
	;; [unrolled: 1-line block ×8, first 2 shown]
	v_dual_mov_b32 v176, v130 :: v_dual_mov_b32 v177, v131
	v_dual_mov_b32 v178, v133 :: v_dual_mov_b32 v179, v134
	s_waitcnt vmcnt(0) lgkmcnt(0)
	s_waitcnt_vscnt null, 0x0
                                        ; implicit-def: $vgpr80_vgpr81
                                        ; implicit-def: $vgpr82_vgpr83
                                        ; implicit-def: $vgpr84_vgpr85
                                        ; implicit-def: $vgpr86_vgpr87
	s_waitcnt vmcnt(7) lgkmcnt(7)
	v_add_nc_u32_e32 v167, v18, v112
	s_waitcnt vmcnt(6) lgkmcnt(6)
	v_add3_u32 v166, v114, v113, v19
	s_waitcnt vmcnt(5) lgkmcnt(5)
	v_add3_u32 v164, v116, v115, v20
	;; [unrolled: 2-line block ×4, first 2 shown]
	v_add_co_u32 v100, s17, v12, v167
	s_delay_alu instid0(VALU_DEP_1) | instskip(SKIP_1) | instid1(VALU_DEP_1)
	v_add_co_ci_u32_e64 v101, s17, 0, v13, s17
	v_add_co_u32 v112, s17, v12, v166
	v_add_co_ci_u32_e64 v113, s17, 0, v13, s17
	v_add_co_u32 v96, s17, v12, v164
	s_delay_alu instid0(VALU_DEP_1)
	v_add_co_ci_u32_e64 v97, s17, 0, v13, s17
	v_add_co_u32 v98, s17, v12, v163
	s_waitcnt vmcnt(2) lgkmcnt(2)
	v_add3_u32 v151, v151, v150, v23
	v_add_co_ci_u32_e64 v99, s17, 0, v13, s17
	v_add_co_u32 v102, s17, v12, v162
	s_waitcnt vmcnt(1) lgkmcnt(1)
	v_add3_u32 v150, v161, v160, v24
	;; [unrolled: 4-line block ×3, first 2 shown]
	v_add_co_ci_u32_e64 v115, s17, 0, v13, s17
	v_add_co_u32 v116, s17, v12, v150
	s_delay_alu instid0(VALU_DEP_1) | instskip(NEXT) | instid1(VALU_DEP_4)
	v_add_co_ci_u32_e64 v117, s17, 0, v13, s17
	v_add_co_u32 v118, s17, v12, v149
	s_delay_alu instid0(VALU_DEP_1)
	v_add_co_ci_u32_e64 v119, s17, 0, v13, s17
                                        ; implicit-def: $vgpr18_vgpr19
                                        ; implicit-def: $vgpr20_vgpr21
                                        ; implicit-def: $vgpr22_vgpr23
                                        ; implicit-def: $vgpr24_vgpr25
	s_and_saveexec_b32 s17, s16
	s_cbranch_execz .LBB193_28
; %bb.52:                               ;   in Loop: Header=BB193_29 Depth=1
	v_mad_u64_u32 v[18:19], null, v167, 7, v[100:101]
	v_mad_u64_u32 v[20:21], null, v166, 7, v[112:113]
	;; [unrolled: 1-line block ×8, first 2 shown]
	s_barrier
	buffer_gl0_inv
	s_clause 0x7
	flat_store_b8 v[100:101], v130
	flat_store_b8 v[112:113], v131
	;; [unrolled: 1-line block ×8, first 2 shown]
	s_waitcnt lgkmcnt(0)
	s_waitcnt_vscnt null, 0x0
	s_barrier
	buffer_gl0_inv
	s_clause 0x7
	flat_load_u8 v129, v[34:35] offset:224
	flat_load_u8 v144, v[34:35] offset:192
	;; [unrolled: 1-line block ×7, first 2 shown]
	flat_load_u8 v130, v[34:35]
	s_waitcnt vmcnt(0) lgkmcnt(0)
	s_barrier
	buffer_gl0_inv
	s_clause 0x7
	flat_store_b64 v[18:19], v[70:71]
	flat_store_b64 v[20:21], v[68:69]
	flat_store_b64 v[22:23], v[52:53]
	flat_store_b64 v[24:25], v[66:67]
	flat_store_b64 v[80:81], v[64:65]
	flat_store_b64 v[82:83], v[54:55]
	flat_store_b64 v[84:85], v[48:49]
	flat_store_b64 v[86:87], v[50:51]
	s_waitcnt lgkmcnt(0)
	s_waitcnt_vscnt null, 0x0
	s_barrier
	buffer_gl0_inv
	s_clause 0x7
	flat_load_b64 v[18:19], v[38:39]
	flat_load_b64 v[20:21], v[38:39] offset:256
	flat_load_b64 v[22:23], v[38:39] offset:512
	;; [unrolled: 1-line block ×7, first 2 shown]
	v_add_nc_u32_e32 v148, -8, v148
	s_xor_b32 s18, exec_lo, -1
	s_waitcnt vmcnt(0) lgkmcnt(0)
	s_barrier
	buffer_gl0_inv
	s_branch .LBB193_28
.LBB193_53:
	s_or_b32 exec_lo, exec_lo, s20
	v_mad_u64_u32 v[9:10], null, v167, 7, v[100:101]
	v_add_co_u32 v4, vcc_lo, v12, v26
	v_mad_u64_u32 v[14:15], null, v166, 7, v[112:113]
	v_add_co_ci_u32_e32 v5, vcc_lo, 0, v13, vcc_lo
	s_barrier
	buffer_gl0_inv
	s_clause 0x7
	flat_store_b8 v[100:101], v176
	flat_store_b8 v[112:113], v177
	;; [unrolled: 1-line block ×8, first 2 shown]
	s_waitcnt lgkmcnt(0)
	s_waitcnt_vscnt null, 0x0
	s_barrier
	buffer_gl0_inv
	s_clause 0x7
	flat_load_u8 v33, v[4:5]
	flat_load_u8 v32, v[4:5] offset:256
	flat_load_u8 v31, v[4:5] offset:512
	;; [unrolled: 1-line block ×7, first 2 shown]
	s_waitcnt vmcnt(0) lgkmcnt(0)
	s_barrier
	buffer_gl0_inv
	s_clause 0x1
	flat_store_b64 v[9:10], v[70:71]
	flat_store_b64 v[14:15], v[68:69]
	v_mad_u64_u32 v[9:10], null, v164, 7, v[96:97]
	v_mad_u64_u32 v[14:15], null, v163, 7, v[98:99]
	;; [unrolled: 1-line block ×4, first 2 shown]
	s_clause 0x3
	flat_store_b64 v[9:10], v[52:53]
	flat_store_b64 v[14:15], v[66:67]
	;; [unrolled: 1-line block ×4, first 2 shown]
	v_mad_u64_u32 v[9:10], null, v26, 7, v[4:5]
	v_mad_u64_u32 v[20:21], null, v150, 7, v[116:117]
	v_lshl_or_b32 v11, v26, 3, 0x2000
	v_mad_u64_u32 v[34:35], null, v149, 7, v[118:119]
	s_clause 0x1
	flat_store_b64 v[20:21], v[48:49]
	flat_store_b64 v[34:35], v[50:51]
	v_add_co_u32 v4, vcc_lo, 0x1000, v9
	v_add_co_ci_u32_e32 v5, vcc_lo, 0, v10, vcc_lo
	v_add_co_u32 v11, vcc_lo, v12, v11
	v_add_co_ci_u32_e32 v12, vcc_lo, 0, v13, vcc_lo
	;; [unrolled: 2-line block ×3, first 2 shown]
	v_add_co_u32 v36, vcc_lo, 0x3000, v9
	s_waitcnt lgkmcnt(0)
	s_waitcnt_vscnt null, 0x0
	s_barrier
	buffer_gl0_inv
	v_add_co_ci_u32_e32 v37, vcc_lo, 0, v10, vcc_lo
	s_clause 0x7
	flat_load_b64 v[21:22], v[9:10]
	flat_load_b64 v[19:20], v[9:10] offset:2048
	flat_load_b64 v[17:18], v[4:5]
	flat_load_b64 v[15:16], v[4:5] offset:2048
	;; [unrolled: 2-line block ×4, first 2 shown]
	v_add_co_u32 v2, vcc_lo, v2, v8
	v_add_co_ci_u32_e32 v3, vcc_lo, 0, v3, vcc_lo
	v_mov_b32_e32 v28, 0
	s_delay_alu instid0(VALU_DEP_3) | instskip(NEXT) | instid1(VALU_DEP_3)
	v_add_co_u32 v2, vcc_lo, v2, v27
	v_add_co_ci_u32_e32 v3, vcc_lo, 0, v3, vcc_lo
	v_cmp_lt_u32_e64 s1, v27, v128
	s_waitcnt vmcnt(0) lgkmcnt(0)
	s_barrier
	buffer_gl0_inv
	s_and_saveexec_b32 s0, s1
	s_cbranch_execz .LBB193_55
; %bb.54:
	flat_store_b8 v[2:3], v33
.LBB193_55:
	s_or_b32 exec_lo, exec_lo, s0
	v_add_nc_u32_e32 v8, 0x100, v27
	s_delay_alu instid0(VALU_DEP_1) | instskip(NEXT) | instid1(VALU_DEP_1)
	v_cmp_lt_u32_e64 s4, v8, v128
	s_and_saveexec_b32 s0, s4
	s_cbranch_execz .LBB193_57
; %bb.56:
	flat_store_b8 v[2:3], v32 offset:256
.LBB193_57:
	s_or_b32 exec_lo, exec_lo, s0
	v_add_nc_u32_e32 v8, 0x200, v27
	s_delay_alu instid0(VALU_DEP_1) | instskip(NEXT) | instid1(VALU_DEP_1)
	v_cmp_lt_u32_e64 s6, v8, v128
	s_and_saveexec_b32 s0, s6
	s_cbranch_execz .LBB193_59
; %bb.58:
	flat_store_b8 v[2:3], v31 offset:512
.LBB193_59:
	;; [unrolled: 9-line block ×6, first 2 shown]
	s_or_b32 exec_lo, exec_lo, s7
	v_add_nc_u32_e32 v8, 0x700, v27
	s_delay_alu instid0(VALU_DEP_1)
	v_cmp_lt_u32_e32 vcc_lo, v8, v128
	s_and_saveexec_b32 s7, vcc_lo
	s_cbranch_execz .LBB193_69
; %bb.68:
	flat_store_b8 v[2:3], v23 offset:1792
.LBB193_69:
	s_or_b32 exec_lo, exec_lo, s7
	v_lshlrev_b64 v[2:3], 3, v[27:28]
	v_add_co_u32 v0, s7, v6, v0
	s_delay_alu instid0(VALU_DEP_1) | instskip(NEXT) | instid1(VALU_DEP_2)
	v_add_co_ci_u32_e64 v1, s7, v7, v1, s7
	v_add_co_u32 v0, s7, v0, v2
	s_delay_alu instid0(VALU_DEP_1)
	v_add_co_ci_u32_e64 v1, s7, v1, v3, s7
	s_and_saveexec_b32 s7, s1
	s_cbranch_execnz .LBB193_119
; %bb.70:
	s_or_b32 exec_lo, exec_lo, s7
	s_and_saveexec_b32 s1, s4
	s_cbranch_execnz .LBB193_120
.LBB193_71:
	s_or_b32 exec_lo, exec_lo, s1
	s_and_saveexec_b32 s4, s6
	s_cbranch_execnz .LBB193_121
.LBB193_72:
	s_or_b32 exec_lo, exec_lo, s4
	s_and_saveexec_b32 s4, s5
	s_cbranch_execnz .LBB193_122
.LBB193_73:
	s_or_b32 exec_lo, exec_lo, s4
	s_and_saveexec_b32 s4, s3
	s_cbranch_execnz .LBB193_123
.LBB193_74:
	s_or_b32 exec_lo, exec_lo, s4
	s_and_saveexec_b32 s3, s2
	s_cbranch_execnz .LBB193_124
.LBB193_75:
	s_or_b32 exec_lo, exec_lo, s3
	s_and_saveexec_b32 s1, s0
	s_cbranch_execnz .LBB193_125
.LBB193_76:
	s_or_b32 exec_lo, exec_lo, s1
	s_and_saveexec_b32 s0, vcc_lo
	s_cbranch_execz .LBB193_78
.LBB193_77:
	v_add_co_u32 v0, vcc_lo, 0x3000, v0
	v_add_co_ci_u32_e32 v1, vcc_lo, 0, v1, vcc_lo
	flat_store_b64 v[0:1], v[4:5] offset:2048
.LBB193_78:
	s_or_b32 exec_lo, exec_lo, s0
                                        ; implicit-def: $vgpr128
                                        ; implicit-def: $vgpr0
                                        ; implicit-def: $vgpr1
                                        ; implicit-def: $vgpr2
                                        ; implicit-def: $vgpr3
                                        ; implicit-def: $vgpr4
                                        ; implicit-def: $vgpr5
                                        ; implicit-def: $vgpr6
                                        ; implicit-def: $vgpr7
                                        ; implicit-def: $vgpr8
                                        ; implicit-def: $vgpr10
                                        ; implicit-def: $vgpr11
                                        ; implicit-def: $vgpr12
                                        ; implicit-def: $vgpr13
                                        ; implicit-def: $vgpr14
                                        ; implicit-def: $vgpr15
                                        ; implicit-def: $vgpr26
                                        ; implicit-def: $vgpr16
.LBB193_79:
	s_and_not1_saveexec_b32 s0, s19
	s_cbranch_execz .LBB193_199
; %bb.80:
	s_mov_b32 s0, exec_lo
	v_cmpx_lt_u32_e32 0x200, v128
	s_xor_b32 s19, exec_lo, s0
	s_cbranch_execz .LBB193_140
; %bb.81:
	s_load_b64 s[0:1], s[8:9], 0x0
	v_mov_b32_e32 v9, 0
	v_add_co_u32 v0, vcc_lo, v0, v8
	v_add_co_ci_u32_e32 v1, vcc_lo, 0, v1, vcc_lo
	v_dual_mov_b32 v80, 0xff :: v_dual_mov_b32 v81, 0xff
	s_delay_alu instid0(VALU_DEP_3) | instskip(NEXT) | instid1(VALU_DEP_3)
	v_add_co_u32 v0, vcc_lo, v0, v16
	v_add_co_ci_u32_e32 v1, vcc_lo, 0, v1, vcc_lo
	v_mov_b32_e32 v83, 0xff
	s_waitcnt lgkmcnt(0)
	s_cmp_lt_u32 s13, s1
	s_cselect_b32 s1, 14, 20
	s_delay_alu instid0(SALU_CYCLE_1) | instskip(SKIP_4) | instid1(SALU_CYCLE_1)
	s_add_u32 s2, s8, s1
	s_addc_u32 s3, s9, 0
	s_cmp_lt_u32 s12, s0
	global_load_u16 v17, v9, s[2:3]
	s_cselect_b32 s0, 12, 18
	s_add_u32 s0, s8, s0
	s_addc_u32 s1, s9, 0
	global_load_u16 v18, v9, s[0:1]
	s_waitcnt vmcnt(1)
	v_mad_u32_u24 v14, v15, v17, v14
	s_waitcnt vmcnt(0)
	s_delay_alu instid0(VALU_DEP_1) | instskip(NEXT) | instid1(VALU_DEP_1)
	v_mad_u64_u32 v[27:28], null, v14, v18, v[26:27]
	v_lshlrev_b32_e32 v14, 2, v27
	v_dual_mov_b32 v82, 0xff :: v_dual_mov_b32 v15, v9
	s_delay_alu instid0(VALU_DEP_2) | instskip(NEXT) | instid1(VALU_DEP_1)
	v_and_b32_e32 v14, 0xffffff80, v14
	v_or_b32_e32 v17, v14, v16
	v_add_co_u32 v0, vcc_lo, v0, v14
	v_add_co_ci_u32_e32 v1, vcc_lo, 0, v1, vcc_lo
	s_delay_alu instid0(VALU_DEP_3)
	v_cmp_lt_u32_e32 vcc_lo, v17, v128
	s_and_saveexec_b32 s0, vcc_lo
	s_cbranch_execz .LBB193_83
; %bb.82:
	flat_load_u8 v80, v[0:1]
	v_dual_mov_b32 v82, 0xff :: v_dual_mov_b32 v83, 0xff
	v_mov_b32_e32 v81, 0xff
.LBB193_83:
	s_or_b32 exec_lo, exec_lo, s0
	v_or_b32_e32 v18, 32, v17
	s_delay_alu instid0(VALU_DEP_1) | instskip(NEXT) | instid1(VALU_DEP_1)
	v_cmp_lt_u32_e64 s0, v18, v128
	s_and_saveexec_b32 s1, s0
	s_cbranch_execz .LBB193_85
; %bb.84:
	flat_load_u8 v82, v[0:1] offset:32
.LBB193_85:
	s_or_b32 exec_lo, exec_lo, s1
	v_or_b32_e32 v18, 64, v17
	s_delay_alu instid0(VALU_DEP_1) | instskip(NEXT) | instid1(VALU_DEP_1)
	v_cmp_lt_u32_e64 s1, v18, v128
	s_and_saveexec_b32 s2, s1
	s_cbranch_execz .LBB193_87
; %bb.86:
	flat_load_u8 v83, v[0:1] offset:64
.LBB193_87:
	;; [unrolled: 9-line block ×3, first 2 shown]
	s_or_b32 exec_lo, exec_lo, s3
	v_lshlrev_b64 v[0:1], 3, v[8:9]
	v_lshlrev_b32_e32 v9, 3, v16
	s_delay_alu instid0(VALU_DEP_2) | instskip(NEXT) | instid1(VALU_DEP_1)
	v_add_co_u32 v17, s3, v4, v0
	v_add_co_ci_u32_e64 v18, s3, v5, v1, s3
	v_lshlrev_b64 v[4:5], 3, v[14:15]
	s_delay_alu instid0(VALU_DEP_3) | instskip(NEXT) | instid1(VALU_DEP_1)
	v_add_co_u32 v9, s3, v17, v9
	v_add_co_ci_u32_e64 v14, s3, 0, v18, s3
                                        ; implicit-def: $vgpr18_vgpr19
	s_delay_alu instid0(VALU_DEP_2) | instskip(NEXT) | instid1(VALU_DEP_1)
	v_add_co_u32 v4, s3, v9, v4
	v_add_co_ci_u32_e64 v5, s3, v14, v5, s3
	s_and_saveexec_b32 s3, vcc_lo
	s_cbranch_execnz .LBB193_164
; %bb.90:
	s_or_b32 exec_lo, exec_lo, s3
                                        ; implicit-def: $vgpr20_vgpr21
	s_and_saveexec_b32 s3, s0
	s_cbranch_execnz .LBB193_165
.LBB193_91:
	s_or_b32 exec_lo, exec_lo, s3
                                        ; implicit-def: $vgpr22_vgpr23
	s_and_saveexec_b32 s0, s1
	s_cbranch_execnz .LBB193_166
.LBB193_92:
	s_or_b32 exec_lo, exec_lo, s0
                                        ; implicit-def: $vgpr24_vgpr25
	s_and_saveexec_b32 s0, s2
	s_cbranch_execz .LBB193_94
.LBB193_93:
	flat_load_b64 v[24:25], v[4:5] offset:768
.LBB193_94:
	s_or_b32 exec_lo, exec_lo, s0
	v_dual_mov_b32 v15, 0 :: v_dual_lshlrev_b32 v14, 5, v26
	s_mov_b32 s20, 0
	v_add_co_u32 v9, vcc_lo, v12, 32
	s_mov_b32 s21, s20
	s_mov_b32 s22, s20
	;; [unrolled: 1-line block ×3, first 2 shown]
	v_add_nc_u32_e32 v31, -1, v16
	v_and_b32_e32 v30, 0x3e0, v26
	v_add_co_ci_u32_e32 v84, vcc_lo, 0, v13, vcc_lo
	v_add_co_u32 v4, vcc_lo, v12, v14
	v_add_co_ci_u32_e32 v5, vcc_lo, 0, v13, vcc_lo
	v_and_b32_e32 v17, 15, v16
	v_cmp_gt_i32_e64 s4, 0, v31
	v_add_co_u32 v28, vcc_lo, v9, v14
	v_min_u32_e32 v14, 0xe0, v30
	s_getpc_b64 s[0:1]
	s_add_u32 s0, s0, _ZN7rocprim17ROCPRIM_400000_NS16block_radix_sortIhLj256ELj4ElLj1ELj1ELj8ELNS0_26block_radix_rank_algorithmE2ELNS0_18block_padding_hintE2ELNS0_4arch9wavefront6targetE0EE19radix_bits_per_passE@rel32@lo+4
	s_addc_u32 s1, s1, _ZN7rocprim17ROCPRIM_400000_NS16block_radix_sortIhLj256ELj4ElLj1ELj1ELj8ELNS0_26block_radix_rank_algorithmE2ELNS0_18block_padding_hintE2ELNS0_4arch9wavefront6targetE0EE19radix_bits_per_passE@rel32@hi+12
	v_add_co_ci_u32_e32 v29, vcc_lo, 0, v84, vcc_lo
	s_load_b32 s25, s[0:1], 0x0
	v_cmp_eq_u32_e32 vcc_lo, 0, v17
	v_cmp_lt_u32_e64 s0, 1, v17
	v_cmp_lt_u32_e64 s1, 3, v17
	;; [unrolled: 1-line block ×3, first 2 shown]
	v_cndmask_b32_e64 v17, v31, v16, s4
	v_or_b32_e32 v14, 31, v14
	v_lshrrev_b32_e32 v34, 5, v26
	v_and_b32_e32 v30, 16, v16
	v_cmp_eq_u32_e64 s7, 0, v16
	v_lshlrev_b32_e32 v86, 2, v17
	v_lshlrev_b32_e32 v17, 2, v26
	v_cmp_eq_u32_e64 s4, v14, v26
	v_lshlrev_b32_e32 v14, 2, v34
	v_and_b32_e32 v35, 7, v16
	v_cmp_eq_u32_e64 s3, 0, v30
	v_and_or_b32 v16, 0xf80, v17, v16
	v_lshrrev_b32_e32 v85, 5, v27
	v_add_co_u32 v30, s11, v12, v14
	v_add_nc_u32_e32 v14, -1, v34
	v_add_co_ci_u32_e64 v31, s11, 0, v13, s11
	v_add_co_u32 v32, s11, v12, v17
	v_add_co_u32 v34, s16, v12, v16
	v_add_co_ci_u32_e64 v33, s11, 0, v13, s11
	v_lshlrev_b64 v[14:15], 2, v[14:15]
	v_cmp_eq_u32_e64 s11, 0, v35
	v_cmp_lt_u32_e64 s14, 1, v35
	v_cmp_lt_u32_e64 s15, 3, v35
	v_add_co_ci_u32_e64 v35, s16, 0, v13, s16
	v_add_co_u32 v36, s16, v12, v14
	s_delay_alu instid0(VALU_DEP_1) | instskip(NEXT) | instid1(VALU_DEP_3)
	v_add_co_ci_u32_e64 v37, s16, v13, v15, s16
	v_mad_u64_u32 v[38:39], null, v16, 7, v[34:35]
	v_dual_mov_b32 v14, s20 :: v_dual_mov_b32 v17, s23
	v_cmp_gt_u32_e64 s5, 8, v26
	v_cmp_lt_u32_e64 s6, 31, v26
	v_cmp_eq_u32_e64 s10, 0, v26
	v_sub_nc_u32_e32 v87, v11, v10
	v_dual_mov_b32 v15, s21 :: v_dual_mov_b32 v16, s22
	s_waitcnt vmcnt(0) lgkmcnt(0)
	s_waitcnt_vscnt null, 0x0
	s_barrier
	buffer_gl0_inv
	s_branch .LBB193_96
.LBB193_95:                             ;   in Loop: Header=BB193_96 Depth=1
	s_or_b32 exec_lo, exec_lo, s17
	s_delay_alu instid0(SALU_CYCLE_1) | instskip(NEXT) | instid1(SALU_CYCLE_1)
	s_and_b32 s16, exec_lo, s18
	s_or_b32 s20, s16, s20
	s_delay_alu instid0(SALU_CYCLE_1)
	s_and_not1_b32 exec_lo, exec_lo, s20
	s_cbranch_execz .LBB193_126
.LBB193_96:                             ; =>This Inner Loop Header: Depth=1
	v_min_u32_e32 v48, s25, v87
	v_and_b32_e32 v49, 0xff, v80
	s_clause 0x1
	flat_store_b128 v[4:5], v[14:17] offset:32
	flat_store_b128 v[28:29], v[14:17] offset:16
	s_waitcnt lgkmcnt(0)
	s_waitcnt_vscnt null, 0x0
	s_barrier
	v_lshlrev_b32_e64 v48, v48, -1
	v_lshrrev_b32_e32 v49, v10, v49
	buffer_gl0_inv
	; wave barrier
	v_not_b32_e32 v70, v48
	s_delay_alu instid0(VALU_DEP_1) | instskip(NEXT) | instid1(VALU_DEP_1)
	v_and_b32_e32 v64, v49, v70
	v_and_b32_e32 v48, 1, v64
	v_lshlrev_b32_e32 v49, 30, v64
	v_lshlrev_b32_e32 v50, 29, v64
	;; [unrolled: 1-line block ×4, first 2 shown]
	v_add_co_u32 v48, s16, v48, -1
	s_delay_alu instid0(VALU_DEP_1)
	v_cndmask_b32_e64 v52, 0, 1, s16
	v_not_b32_e32 v65, v49
	v_cmp_gt_i32_e64 s17, 0, v49
	v_not_b32_e32 v49, v50
	v_lshlrev_b32_e32 v54, 26, v64
	v_cmp_ne_u32_e64 s16, 0, v52
	v_ashrrev_i32_e32 v65, 31, v65
	v_lshlrev_b32_e32 v52, 24, v64
	v_ashrrev_i32_e32 v49, 31, v49
	s_delay_alu instid0(VALU_DEP_4)
	v_xor_b32_e32 v48, s16, v48
	v_cmp_gt_i32_e64 s16, 0, v50
	v_not_b32_e32 v50, v51
	v_xor_b32_e32 v65, s17, v65
	v_cmp_gt_i32_e64 s17, 0, v51
	v_and_b32_e32 v48, exec_lo, v48
	v_not_b32_e32 v51, v53
	v_ashrrev_i32_e32 v50, 31, v50
	v_xor_b32_e32 v49, s16, v49
	v_cmp_gt_i32_e64 s16, 0, v53
	v_and_b32_e32 v48, v48, v65
	v_not_b32_e32 v53, v54
	v_ashrrev_i32_e32 v51, 31, v51
	v_xor_b32_e32 v50, s17, v50
	v_cmp_gt_i32_e64 s17, 0, v54
	v_and_b32_e32 v48, v48, v49
	v_ashrrev_i32_e32 v53, 31, v53
	v_xor_b32_e32 v51, s16, v51
	s_delay_alu instid0(VALU_DEP_3) | instskip(NEXT) | instid1(VALU_DEP_3)
	v_and_b32_e32 v48, v48, v50
	v_xor_b32_e32 v53, s17, v53
	v_not_b32_e32 v50, v52
	v_cmp_gt_i32_e64 s17, 0, v52
	s_delay_alu instid0(VALU_DEP_4) | instskip(NEXT) | instid1(VALU_DEP_3)
	v_and_b32_e32 v48, v48, v51
	v_ashrrev_i32_e32 v50, 31, v50
	s_delay_alu instid0(VALU_DEP_2) | instskip(SKIP_1) | instid1(VALU_DEP_3)
	v_dual_mov_b32 v53, v19 :: v_dual_and_b32 v48, v48, v53
	v_lshlrev_b32_e32 v55, 25, v64
	v_xor_b32_e32 v54, s17, v50
	v_dual_mov_b32 v52, v18 :: v_dual_lshlrev_b32 v19, 3, v64
	v_mov_b32_e32 v51, v21
	s_delay_alu instid0(VALU_DEP_4) | instskip(SKIP_3) | instid1(VALU_DEP_4)
	v_not_b32_e32 v49, v55
	v_cmp_gt_i32_e64 s16, 0, v55
	v_mov_b32_e32 v50, v20
	v_add_lshl_u32 v19, v19, v85, 2
	v_ashrrev_i32_e32 v49, 31, v49
	s_delay_alu instid0(VALU_DEP_2) | instskip(NEXT) | instid1(VALU_DEP_2)
	v_add_co_u32 v64, s18, v9, v19
	v_xor_b32_e32 v49, s16, v49
	v_add_co_ci_u32_e64 v65, s18, 0, v84, s18
	s_delay_alu instid0(VALU_DEP_2) | instskip(SKIP_1) | instid1(VALU_DEP_2)
	v_and_b32_e32 v55, v48, v49
	v_dual_mov_b32 v49, v23 :: v_dual_mov_b32 v48, v22
	v_dual_mov_b32 v55, v25 :: v_dual_and_b32 v18, v55, v54
	v_mov_b32_e32 v54, v24
	s_delay_alu instid0(VALU_DEP_2) | instskip(SKIP_1) | instid1(VALU_DEP_2)
	v_mbcnt_lo_u32_b32 v96, v18, 0
	v_cmp_ne_u32_e64 s16, 0, v18
	v_cmp_eq_u32_e64 s17, 0, v96
	s_delay_alu instid0(VALU_DEP_1) | instskip(NEXT) | instid1(SALU_CYCLE_1)
	s_and_b32 s17, s16, s17
	s_and_saveexec_b32 s16, s17
	s_cbranch_execz .LBB193_98
; %bb.97:                               ;   in Loop: Header=BB193_96 Depth=1
	v_bcnt_u32_b32 v18, v18, 0
	flat_store_b32 v[64:65], v18
.LBB193_98:                             ;   in Loop: Header=BB193_96 Depth=1
	s_or_b32 exec_lo, exec_lo, s16
	v_and_b32_e32 v18, 0xff, v82
	; wave barrier
	s_delay_alu instid0(VALU_DEP_1) | instskip(NEXT) | instid1(VALU_DEP_1)
	v_lshrrev_b32_e32 v18, v10, v18
	v_and_b32_e32 v18, v18, v70
	s_delay_alu instid0(VALU_DEP_1) | instskip(SKIP_3) | instid1(VALU_DEP_4)
	v_lshlrev_b32_e32 v19, 3, v18
	v_lshlrev_b32_e32 v21, 30, v18
	;; [unrolled: 1-line block ×4, first 2 shown]
	v_add_lshl_u32 v19, v19, v85, 2
	s_delay_alu instid0(VALU_DEP_1) | instskip(NEXT) | instid1(VALU_DEP_1)
	v_add_co_u32 v66, s16, v9, v19
	v_add_co_ci_u32_e64 v67, s16, 0, v84, s16
	v_and_b32_e32 v19, 1, v18
	flat_load_b32 v97, v[66:67]
	v_add_co_u32 v19, s16, v19, -1
	s_delay_alu instid0(VALU_DEP_1) | instskip(NEXT) | instid1(VALU_DEP_1)
	v_cndmask_b32_e64 v20, 0, 1, s16
	; wave barrier
	v_cmp_ne_u32_e64 s16, 0, v20
	v_not_b32_e32 v20, v21
	s_delay_alu instid0(VALU_DEP_2) | instskip(SKIP_1) | instid1(VALU_DEP_3)
	v_xor_b32_e32 v19, s16, v19
	v_cmp_gt_i32_e64 s16, 0, v21
	v_ashrrev_i32_e32 v20, 31, v20
	v_not_b32_e32 v21, v22
	s_delay_alu instid0(VALU_DEP_4) | instskip(NEXT) | instid1(VALU_DEP_3)
	v_and_b32_e32 v19, exec_lo, v19
	v_xor_b32_e32 v20, s16, v20
	v_cmp_gt_i32_e64 s16, 0, v22
	s_delay_alu instid0(VALU_DEP_4) | instskip(SKIP_1) | instid1(VALU_DEP_4)
	v_ashrrev_i32_e32 v21, 31, v21
	v_not_b32_e32 v22, v23
	v_and_b32_e32 v19, v19, v20
	v_lshlrev_b32_e32 v20, 27, v18
	s_delay_alu instid0(VALU_DEP_4) | instskip(SKIP_2) | instid1(VALU_DEP_4)
	v_xor_b32_e32 v21, s16, v21
	v_cmp_gt_i32_e64 s16, 0, v23
	v_ashrrev_i32_e32 v22, 31, v22
	v_not_b32_e32 v23, v20
	s_delay_alu instid0(VALU_DEP_4) | instskip(SKIP_1) | instid1(VALU_DEP_4)
	v_and_b32_e32 v19, v19, v21
	v_lshlrev_b32_e32 v21, 26, v18
	v_xor_b32_e32 v22, s16, v22
	v_cmp_gt_i32_e64 s16, 0, v20
	v_ashrrev_i32_e32 v20, 31, v23
	s_delay_alu instid0(VALU_DEP_4) | instskip(NEXT) | instid1(VALU_DEP_4)
	v_not_b32_e32 v23, v21
	v_and_b32_e32 v19, v19, v22
	v_lshlrev_b32_e32 v22, 25, v18
	s_delay_alu instid0(VALU_DEP_4)
	v_xor_b32_e32 v20, s16, v20
	v_cmp_gt_i32_e64 s16, 0, v21
	v_ashrrev_i32_e32 v21, 31, v23
	v_lshlrev_b32_e32 v18, 24, v18
	v_not_b32_e32 v23, v22
	v_and_b32_e32 v19, v19, v20
	s_delay_alu instid0(VALU_DEP_4) | instskip(SKIP_1) | instid1(VALU_DEP_4)
	v_xor_b32_e32 v20, s16, v21
	v_cmp_gt_i32_e64 s16, 0, v22
	v_ashrrev_i32_e32 v21, 31, v23
	v_not_b32_e32 v22, v18
	s_delay_alu instid0(VALU_DEP_4) | instskip(NEXT) | instid1(VALU_DEP_3)
	v_and_b32_e32 v19, v19, v20
	v_xor_b32_e32 v20, s16, v21
	v_cmp_gt_i32_e64 s16, 0, v18
	s_delay_alu instid0(VALU_DEP_4) | instskip(NEXT) | instid1(VALU_DEP_3)
	v_ashrrev_i32_e32 v18, 31, v22
	v_and_b32_e32 v19, v19, v20
	s_delay_alu instid0(VALU_DEP_2) | instskip(NEXT) | instid1(VALU_DEP_1)
	v_xor_b32_e32 v18, s16, v18
	v_and_b32_e32 v18, v19, v18
	s_delay_alu instid0(VALU_DEP_1) | instskip(SKIP_1) | instid1(VALU_DEP_2)
	v_mbcnt_lo_u32_b32 v98, v18, 0
	v_cmp_ne_u32_e64 s17, 0, v18
	v_cmp_eq_u32_e64 s16, 0, v98
	s_delay_alu instid0(VALU_DEP_1) | instskip(NEXT) | instid1(SALU_CYCLE_1)
	s_and_b32 s17, s17, s16
	s_and_saveexec_b32 s16, s17
	s_cbranch_execz .LBB193_100
; %bb.99:                               ;   in Loop: Header=BB193_96 Depth=1
	s_waitcnt vmcnt(0) lgkmcnt(0)
	v_bcnt_u32_b32 v18, v18, v97
	flat_store_b32 v[66:67], v18
.LBB193_100:                            ;   in Loop: Header=BB193_96 Depth=1
	s_or_b32 exec_lo, exec_lo, s16
	v_and_b32_e32 v18, 0xff, v83
	; wave barrier
	s_delay_alu instid0(VALU_DEP_1) | instskip(NEXT) | instid1(VALU_DEP_1)
	v_lshrrev_b32_e32 v18, v10, v18
	v_and_b32_e32 v18, v18, v70
	s_delay_alu instid0(VALU_DEP_1) | instskip(SKIP_3) | instid1(VALU_DEP_4)
	v_lshlrev_b32_e32 v19, 3, v18
	v_lshlrev_b32_e32 v21, 30, v18
	;; [unrolled: 1-line block ×4, first 2 shown]
	v_add_lshl_u32 v19, v19, v85, 2
	s_delay_alu instid0(VALU_DEP_1) | instskip(NEXT) | instid1(VALU_DEP_1)
	v_add_co_u32 v68, s16, v9, v19
	v_add_co_ci_u32_e64 v69, s16, 0, v84, s16
	v_and_b32_e32 v19, 1, v18
	flat_load_b32 v99, v[68:69]
	v_add_co_u32 v19, s16, v19, -1
	s_delay_alu instid0(VALU_DEP_1) | instskip(NEXT) | instid1(VALU_DEP_1)
	v_cndmask_b32_e64 v20, 0, 1, s16
	; wave barrier
	v_cmp_ne_u32_e64 s16, 0, v20
	v_not_b32_e32 v20, v21
	s_delay_alu instid0(VALU_DEP_2) | instskip(SKIP_1) | instid1(VALU_DEP_3)
	v_xor_b32_e32 v19, s16, v19
	v_cmp_gt_i32_e64 s16, 0, v21
	v_ashrrev_i32_e32 v20, 31, v20
	v_not_b32_e32 v21, v22
	s_delay_alu instid0(VALU_DEP_4) | instskip(NEXT) | instid1(VALU_DEP_3)
	v_and_b32_e32 v19, exec_lo, v19
	v_xor_b32_e32 v20, s16, v20
	v_cmp_gt_i32_e64 s16, 0, v22
	s_delay_alu instid0(VALU_DEP_4) | instskip(SKIP_1) | instid1(VALU_DEP_4)
	v_ashrrev_i32_e32 v21, 31, v21
	v_not_b32_e32 v22, v23
	v_and_b32_e32 v19, v19, v20
	v_lshlrev_b32_e32 v20, 27, v18
	s_delay_alu instid0(VALU_DEP_4) | instskip(SKIP_2) | instid1(VALU_DEP_4)
	v_xor_b32_e32 v21, s16, v21
	v_cmp_gt_i32_e64 s16, 0, v23
	v_ashrrev_i32_e32 v22, 31, v22
	v_not_b32_e32 v23, v20
	s_delay_alu instid0(VALU_DEP_4) | instskip(SKIP_1) | instid1(VALU_DEP_4)
	v_and_b32_e32 v19, v19, v21
	v_lshlrev_b32_e32 v21, 26, v18
	v_xor_b32_e32 v22, s16, v22
	v_cmp_gt_i32_e64 s16, 0, v20
	v_ashrrev_i32_e32 v20, 31, v23
	s_delay_alu instid0(VALU_DEP_4) | instskip(NEXT) | instid1(VALU_DEP_4)
	v_not_b32_e32 v23, v21
	v_and_b32_e32 v19, v19, v22
	v_lshlrev_b32_e32 v22, 25, v18
	s_delay_alu instid0(VALU_DEP_4)
	v_xor_b32_e32 v20, s16, v20
	v_cmp_gt_i32_e64 s16, 0, v21
	v_ashrrev_i32_e32 v21, 31, v23
	v_lshlrev_b32_e32 v18, 24, v18
	v_not_b32_e32 v23, v22
	v_and_b32_e32 v19, v19, v20
	s_delay_alu instid0(VALU_DEP_4) | instskip(SKIP_1) | instid1(VALU_DEP_4)
	v_xor_b32_e32 v20, s16, v21
	v_cmp_gt_i32_e64 s16, 0, v22
	v_ashrrev_i32_e32 v21, 31, v23
	v_not_b32_e32 v22, v18
	s_delay_alu instid0(VALU_DEP_4) | instskip(NEXT) | instid1(VALU_DEP_3)
	v_and_b32_e32 v19, v19, v20
	v_xor_b32_e32 v20, s16, v21
	v_cmp_gt_i32_e64 s16, 0, v18
	s_delay_alu instid0(VALU_DEP_4) | instskip(NEXT) | instid1(VALU_DEP_3)
	v_ashrrev_i32_e32 v18, 31, v22
	v_and_b32_e32 v19, v19, v20
	s_delay_alu instid0(VALU_DEP_2) | instskip(NEXT) | instid1(VALU_DEP_1)
	v_xor_b32_e32 v18, s16, v18
	v_and_b32_e32 v18, v19, v18
	s_delay_alu instid0(VALU_DEP_1) | instskip(SKIP_1) | instid1(VALU_DEP_2)
	v_mbcnt_lo_u32_b32 v100, v18, 0
	v_cmp_ne_u32_e64 s17, 0, v18
	v_cmp_eq_u32_e64 s16, 0, v100
	s_delay_alu instid0(VALU_DEP_1) | instskip(NEXT) | instid1(SALU_CYCLE_1)
	s_and_b32 s17, s17, s16
	s_and_saveexec_b32 s16, s17
	s_cbranch_execz .LBB193_102
; %bb.101:                              ;   in Loop: Header=BB193_96 Depth=1
	s_waitcnt vmcnt(0) lgkmcnt(0)
	v_bcnt_u32_b32 v18, v18, v99
	flat_store_b32 v[68:69], v18
.LBB193_102:                            ;   in Loop: Header=BB193_96 Depth=1
	s_or_b32 exec_lo, exec_lo, s16
	v_and_b32_e32 v18, 0xff, v81
	; wave barrier
	s_delay_alu instid0(VALU_DEP_1) | instskip(NEXT) | instid1(VALU_DEP_1)
	v_lshrrev_b32_e32 v18, v10, v18
	v_and_b32_e32 v18, v18, v70
	s_delay_alu instid0(VALU_DEP_1) | instskip(SKIP_3) | instid1(VALU_DEP_4)
	v_lshlrev_b32_e32 v19, 3, v18
	v_lshlrev_b32_e32 v21, 30, v18
	;; [unrolled: 1-line block ×4, first 2 shown]
	v_add_lshl_u32 v19, v19, v85, 2
	s_delay_alu instid0(VALU_DEP_1) | instskip(NEXT) | instid1(VALU_DEP_1)
	v_add_co_u32 v70, s16, v9, v19
	v_add_co_ci_u32_e64 v71, s16, 0, v84, s16
	v_and_b32_e32 v19, 1, v18
	flat_load_b32 v101, v[70:71]
	v_add_co_u32 v19, s16, v19, -1
	s_delay_alu instid0(VALU_DEP_1) | instskip(NEXT) | instid1(VALU_DEP_1)
	v_cndmask_b32_e64 v20, 0, 1, s16
	; wave barrier
	v_cmp_ne_u32_e64 s16, 0, v20
	v_not_b32_e32 v20, v21
	s_delay_alu instid0(VALU_DEP_2) | instskip(SKIP_1) | instid1(VALU_DEP_3)
	v_xor_b32_e32 v19, s16, v19
	v_cmp_gt_i32_e64 s16, 0, v21
	v_ashrrev_i32_e32 v20, 31, v20
	v_not_b32_e32 v21, v22
	s_delay_alu instid0(VALU_DEP_4) | instskip(NEXT) | instid1(VALU_DEP_3)
	v_and_b32_e32 v19, exec_lo, v19
	v_xor_b32_e32 v20, s16, v20
	v_cmp_gt_i32_e64 s16, 0, v22
	s_delay_alu instid0(VALU_DEP_4) | instskip(SKIP_1) | instid1(VALU_DEP_4)
	v_ashrrev_i32_e32 v21, 31, v21
	v_not_b32_e32 v22, v23
	v_and_b32_e32 v19, v19, v20
	v_lshlrev_b32_e32 v20, 27, v18
	s_delay_alu instid0(VALU_DEP_4) | instskip(SKIP_2) | instid1(VALU_DEP_4)
	v_xor_b32_e32 v21, s16, v21
	v_cmp_gt_i32_e64 s16, 0, v23
	v_ashrrev_i32_e32 v22, 31, v22
	v_not_b32_e32 v23, v20
	s_delay_alu instid0(VALU_DEP_4) | instskip(SKIP_1) | instid1(VALU_DEP_4)
	v_and_b32_e32 v19, v19, v21
	v_lshlrev_b32_e32 v21, 26, v18
	v_xor_b32_e32 v22, s16, v22
	v_cmp_gt_i32_e64 s16, 0, v20
	v_ashrrev_i32_e32 v20, 31, v23
	s_delay_alu instid0(VALU_DEP_4) | instskip(NEXT) | instid1(VALU_DEP_4)
	v_not_b32_e32 v23, v21
	v_and_b32_e32 v19, v19, v22
	v_lshlrev_b32_e32 v22, 25, v18
	s_delay_alu instid0(VALU_DEP_4)
	v_xor_b32_e32 v20, s16, v20
	v_cmp_gt_i32_e64 s16, 0, v21
	v_ashrrev_i32_e32 v21, 31, v23
	v_lshlrev_b32_e32 v18, 24, v18
	v_not_b32_e32 v23, v22
	v_and_b32_e32 v19, v19, v20
	s_delay_alu instid0(VALU_DEP_4) | instskip(SKIP_1) | instid1(VALU_DEP_4)
	v_xor_b32_e32 v20, s16, v21
	v_cmp_gt_i32_e64 s16, 0, v22
	v_ashrrev_i32_e32 v21, 31, v23
	v_not_b32_e32 v22, v18
	s_delay_alu instid0(VALU_DEP_4) | instskip(NEXT) | instid1(VALU_DEP_3)
	v_and_b32_e32 v19, v19, v20
	v_xor_b32_e32 v20, s16, v21
	v_cmp_gt_i32_e64 s16, 0, v18
	s_delay_alu instid0(VALU_DEP_4) | instskip(NEXT) | instid1(VALU_DEP_3)
	v_ashrrev_i32_e32 v18, 31, v22
	v_and_b32_e32 v19, v19, v20
	s_delay_alu instid0(VALU_DEP_2) | instskip(NEXT) | instid1(VALU_DEP_1)
	v_xor_b32_e32 v18, s16, v18
	v_and_b32_e32 v18, v19, v18
	s_delay_alu instid0(VALU_DEP_1) | instskip(SKIP_1) | instid1(VALU_DEP_2)
	v_mbcnt_lo_u32_b32 v115, v18, 0
	v_cmp_ne_u32_e64 s17, 0, v18
	v_cmp_eq_u32_e64 s16, 0, v115
	s_delay_alu instid0(VALU_DEP_1) | instskip(NEXT) | instid1(SALU_CYCLE_1)
	s_and_b32 s17, s17, s16
	s_and_saveexec_b32 s16, s17
	s_cbranch_execz .LBB193_104
; %bb.103:                              ;   in Loop: Header=BB193_96 Depth=1
	s_waitcnt vmcnt(0) lgkmcnt(0)
	v_bcnt_u32_b32 v18, v18, v101
	flat_store_b32 v[70:71], v18
.LBB193_104:                            ;   in Loop: Header=BB193_96 Depth=1
	s_or_b32 exec_lo, exec_lo, s16
	; wave barrier
	s_waitcnt vmcnt(0) lgkmcnt(0)
	s_waitcnt_vscnt null, 0x0
	s_barrier
	buffer_gl0_inv
	s_clause 0x1
	flat_load_b128 v[22:25], v[4:5] offset:32
	flat_load_b128 v[18:21], v[28:29] offset:16
	s_waitcnt vmcnt(1) lgkmcnt(1)
	v_add_nc_u32_e32 v102, v23, v22
	s_delay_alu instid0(VALU_DEP_1) | instskip(SKIP_1) | instid1(VALU_DEP_1)
	v_add3_u32 v102, v102, v24, v25
	s_waitcnt vmcnt(0) lgkmcnt(0)
	v_add3_u32 v102, v102, v18, v19
	s_delay_alu instid0(VALU_DEP_1) | instskip(NEXT) | instid1(VALU_DEP_1)
	v_add3_u32 v21, v102, v20, v21
	v_mov_b32_dpp v102, v21 row_shr:1 row_mask:0xf bank_mask:0xf
	s_delay_alu instid0(VALU_DEP_1) | instskip(NEXT) | instid1(VALU_DEP_1)
	v_cndmask_b32_e64 v102, v102, 0, vcc_lo
	v_add_nc_u32_e32 v21, v102, v21
	s_delay_alu instid0(VALU_DEP_1) | instskip(NEXT) | instid1(VALU_DEP_1)
	v_mov_b32_dpp v102, v21 row_shr:2 row_mask:0xf bank_mask:0xf
	v_cndmask_b32_e64 v102, 0, v102, s0
	s_delay_alu instid0(VALU_DEP_1) | instskip(NEXT) | instid1(VALU_DEP_1)
	v_add_nc_u32_e32 v21, v21, v102
	v_mov_b32_dpp v102, v21 row_shr:4 row_mask:0xf bank_mask:0xf
	s_delay_alu instid0(VALU_DEP_1) | instskip(NEXT) | instid1(VALU_DEP_1)
	v_cndmask_b32_e64 v102, 0, v102, s1
	v_add_nc_u32_e32 v21, v21, v102
	s_delay_alu instid0(VALU_DEP_1) | instskip(NEXT) | instid1(VALU_DEP_1)
	v_mov_b32_dpp v102, v21 row_shr:8 row_mask:0xf bank_mask:0xf
	v_cndmask_b32_e64 v102, 0, v102, s2
	s_delay_alu instid0(VALU_DEP_1) | instskip(SKIP_3) | instid1(VALU_DEP_1)
	v_add_nc_u32_e32 v21, v21, v102
	ds_swizzle_b32 v102, v21 offset:swizzle(BROADCAST,32,15)
	s_waitcnt lgkmcnt(0)
	v_cndmask_b32_e64 v102, v102, 0, s3
	v_add_nc_u32_e32 v21, v21, v102
	s_and_saveexec_b32 s16, s4
	s_cbranch_execz .LBB193_106
; %bb.105:                              ;   in Loop: Header=BB193_96 Depth=1
	flat_store_b32 v[30:31], v21
.LBB193_106:                            ;   in Loop: Header=BB193_96 Depth=1
	s_or_b32 exec_lo, exec_lo, s16
	s_waitcnt lgkmcnt(0)
	s_waitcnt_vscnt null, 0x0
	s_barrier
	buffer_gl0_inv
	s_and_saveexec_b32 s16, s5
	s_cbranch_execz .LBB193_108
; %bb.107:                              ;   in Loop: Header=BB193_96 Depth=1
	flat_load_b32 v102, v[32:33]
	s_waitcnt vmcnt(0) lgkmcnt(0)
	v_mov_b32_dpp v103, v102 row_shr:1 row_mask:0xf bank_mask:0xf
	s_delay_alu instid0(VALU_DEP_1) | instskip(NEXT) | instid1(VALU_DEP_1)
	v_cndmask_b32_e64 v103, v103, 0, s11
	v_add_nc_u32_e32 v102, v103, v102
	s_delay_alu instid0(VALU_DEP_1) | instskip(NEXT) | instid1(VALU_DEP_1)
	v_mov_b32_dpp v103, v102 row_shr:2 row_mask:0xf bank_mask:0xf
	v_cndmask_b32_e64 v103, 0, v103, s14
	s_delay_alu instid0(VALU_DEP_1) | instskip(NEXT) | instid1(VALU_DEP_1)
	v_add_nc_u32_e32 v102, v102, v103
	v_mov_b32_dpp v103, v102 row_shr:4 row_mask:0xf bank_mask:0xf
	s_delay_alu instid0(VALU_DEP_1) | instskip(NEXT) | instid1(VALU_DEP_1)
	v_cndmask_b32_e64 v103, 0, v103, s15
	v_add_nc_u32_e32 v102, v102, v103
	flat_store_b32 v[32:33], v102
.LBB193_108:                            ;   in Loop: Header=BB193_96 Depth=1
	s_or_b32 exec_lo, exec_lo, s16
	v_mov_b32_e32 v102, 0
	s_waitcnt lgkmcnt(0)
	s_waitcnt_vscnt null, 0x0
	s_barrier
	buffer_gl0_inv
	s_and_saveexec_b32 s16, s6
	s_cbranch_execz .LBB193_110
; %bb.109:                              ;   in Loop: Header=BB193_96 Depth=1
	flat_load_b32 v102, v[36:37]
.LBB193_110:                            ;   in Loop: Header=BB193_96 Depth=1
	s_or_b32 exec_lo, exec_lo, s16
	s_waitcnt vmcnt(0) lgkmcnt(0)
	v_dual_mov_b32 v112, v80 :: v_dual_add_nc_u32 v21, v102, v21
	v_add_nc_u32_e32 v10, 8, v10
	s_mov_b32 s18, -1
	v_mov_b32_e32 v113, v82
	ds_bpermute_b32 v21, v86, v21
	v_dual_mov_b32 v114, v83 :: v_dual_mov_b32 v103, v81
	s_waitcnt lgkmcnt(0)
	v_cndmask_b32_e64 v21, v21, v102, s7
	s_delay_alu instid0(VALU_DEP_1) | instskip(NEXT) | instid1(VALU_DEP_1)
	v_cndmask_b32_e64 v21, v21, 0, s10
	v_add_nc_u32_e32 v22, v21, v22
	s_delay_alu instid0(VALU_DEP_1) | instskip(NEXT) | instid1(VALU_DEP_1)
	v_add_nc_u32_e32 v23, v22, v23
	v_add_nc_u32_e32 v24, v23, v24
	s_delay_alu instid0(VALU_DEP_1) | instskip(NEXT) | instid1(VALU_DEP_1)
	v_add_nc_u32_e32 v116, v24, v25
	;; [unrolled: 3-line block ×3, first 2 shown]
	v_add_nc_u32_e32 v119, v118, v20
	s_clause 0x1
	flat_store_b128 v[4:5], v[21:24] offset:32
	flat_store_b128 v[28:29], v[116:119] offset:16
	s_waitcnt lgkmcnt(0)
	s_waitcnt_vscnt null, 0x0
	s_barrier
	buffer_gl0_inv
	s_clause 0x3
	flat_load_b32 v18, v[64:65]
	flat_load_b32 v19, v[66:67]
	;; [unrolled: 1-line block ×4, first 2 shown]
	s_waitcnt vmcnt(0) lgkmcnt(0)
	s_waitcnt_vscnt null, 0x0
                                        ; implicit-def: $vgpr22_vgpr23
                                        ; implicit-def: $vgpr24_vgpr25
	s_waitcnt vmcnt(3) lgkmcnt(3)
	v_add_nc_u32_e32 v102, v18, v96
	s_waitcnt vmcnt(2) lgkmcnt(2)
	v_add3_u32 v98, v98, v97, v19
	s_waitcnt vmcnt(1) lgkmcnt(1)
	v_add3_u32 v97, v100, v99, v20
	s_waitcnt vmcnt(0) lgkmcnt(0)
	v_add3_u32 v96, v115, v101, v21
                                        ; implicit-def: $vgpr18_vgpr19
                                        ; implicit-def: $vgpr20_vgpr21
	v_add_co_u32 v64, s17, v12, v102
	s_delay_alu instid0(VALU_DEP_1) | instskip(SKIP_1) | instid1(VALU_DEP_1)
	v_add_co_ci_u32_e64 v65, s17, 0, v13, s17
	v_add_co_u32 v66, s17, v12, v98
	v_add_co_ci_u32_e64 v67, s17, 0, v13, s17
	v_add_co_u32 v68, s17, v12, v97
	s_delay_alu instid0(VALU_DEP_1) | instskip(SKIP_1) | instid1(VALU_DEP_1)
	v_add_co_ci_u32_e64 v69, s17, 0, v13, s17
	v_add_co_u32 v70, s17, v12, v96
	v_add_co_ci_u32_e64 v71, s17, 0, v13, s17
	s_mov_b32 s17, exec_lo
	v_cmpx_lt_u32_e64 v10, v11
	s_cbranch_execz .LBB193_95
; %bb.111:                              ;   in Loop: Header=BB193_96 Depth=1
	v_mad_u64_u32 v[18:19], null, v102, 7, v[64:65]
	v_mad_u64_u32 v[20:21], null, v98, 7, v[66:67]
	;; [unrolled: 1-line block ×4, first 2 shown]
	s_barrier
	buffer_gl0_inv
	s_clause 0x3
	flat_store_b8 v[64:65], v80
	flat_store_b8 v[66:67], v82
	;; [unrolled: 1-line block ×4, first 2 shown]
	s_waitcnt lgkmcnt(0)
	s_waitcnt_vscnt null, 0x0
	s_barrier
	buffer_gl0_inv
	s_clause 0x3
	flat_load_u8 v81, v[34:35] offset:96
	flat_load_u8 v83, v[34:35] offset:64
	;; [unrolled: 1-line block ×3, first 2 shown]
	flat_load_u8 v80, v[34:35]
	s_waitcnt vmcnt(0) lgkmcnt(0)
	s_barrier
	buffer_gl0_inv
	s_clause 0x3
	flat_store_b64 v[18:19], v[52:53]
	flat_store_b64 v[20:21], v[50:51]
	;; [unrolled: 1-line block ×4, first 2 shown]
	s_waitcnt lgkmcnt(0)
	s_waitcnt_vscnt null, 0x0
	s_barrier
	buffer_gl0_inv
	s_clause 0x3
	flat_load_b64 v[18:19], v[38:39]
	flat_load_b64 v[20:21], v[38:39] offset:256
	flat_load_b64 v[22:23], v[38:39] offset:512
	;; [unrolled: 1-line block ×3, first 2 shown]
	v_add_nc_u32_e32 v87, -8, v87
	s_xor_b32 s18, exec_lo, -1
	s_waitcnt vmcnt(0) lgkmcnt(0)
	s_barrier
	buffer_gl0_inv
	s_branch .LBB193_95
.LBB193_112:
	flat_load_b64 v[18:19], v[4:5]
	s_or_b32 exec_lo, exec_lo, s7
                                        ; implicit-def: $vgpr20_vgpr21
	s_and_saveexec_b32 s7, s0
	s_cbranch_execz .LBB193_20
.LBB193_113:
	flat_load_b64 v[20:21], v[4:5] offset:256
	s_or_b32 exec_lo, exec_lo, s7
                                        ; implicit-def: $vgpr22_vgpr23
	s_and_saveexec_b32 s0, s1
	s_cbranch_execz .LBB193_21
.LBB193_114:
	flat_load_b64 v[22:23], v[4:5] offset:512
	s_or_b32 exec_lo, exec_lo, s0
                                        ; implicit-def: $vgpr24_vgpr25
	s_and_saveexec_b32 s0, s2
	s_cbranch_execz .LBB193_22
.LBB193_115:
	flat_load_b64 v[24:25], v[4:5] offset:768
	s_or_b32 exec_lo, exec_lo, s0
                                        ; implicit-def: $vgpr80_vgpr81
	s_and_saveexec_b32 s0, s3
	s_cbranch_execz .LBB193_23
.LBB193_116:
	flat_load_b64 v[80:81], v[4:5] offset:1024
	s_or_b32 exec_lo, exec_lo, s0
                                        ; implicit-def: $vgpr82_vgpr83
	s_and_saveexec_b32 s0, s4
	s_cbranch_execz .LBB193_24
.LBB193_117:
	flat_load_b64 v[82:83], v[4:5] offset:1280
	s_or_b32 exec_lo, exec_lo, s0
                                        ; implicit-def: $vgpr84_vgpr85
	s_and_saveexec_b32 s0, s5
	s_cbranch_execz .LBB193_25
.LBB193_118:
	flat_load_b64 v[84:85], v[4:5] offset:1536
	s_or_b32 exec_lo, exec_lo, s0
                                        ; implicit-def: $vgpr86_vgpr87
	s_and_saveexec_b32 s0, s6
	s_cbranch_execnz .LBB193_26
	s_branch .LBB193_27
.LBB193_119:
	flat_store_b64 v[0:1], v[21:22]
	s_or_b32 exec_lo, exec_lo, s7
	s_and_saveexec_b32 s1, s4
	s_cbranch_execz .LBB193_71
.LBB193_120:
	flat_store_b64 v[0:1], v[19:20] offset:2048
	s_or_b32 exec_lo, exec_lo, s1
	s_and_saveexec_b32 s4, s6
	s_cbranch_execz .LBB193_72
.LBB193_121:
	v_add_co_u32 v2, s1, 0x1000, v0
	s_delay_alu instid0(VALU_DEP_1)
	v_add_co_ci_u32_e64 v3, s1, 0, v1, s1
	flat_store_b64 v[2:3], v[17:18]
	s_or_b32 exec_lo, exec_lo, s4
	s_and_saveexec_b32 s4, s5
	s_cbranch_execz .LBB193_73
.LBB193_122:
	v_add_co_u32 v2, s1, 0x1000, v0
	s_delay_alu instid0(VALU_DEP_1)
	v_add_co_ci_u32_e64 v3, s1, 0, v1, s1
	flat_store_b64 v[2:3], v[15:16] offset:2048
	s_or_b32 exec_lo, exec_lo, s4
	s_and_saveexec_b32 s4, s3
	s_cbranch_execz .LBB193_74
.LBB193_123:
	v_add_co_u32 v2, s1, 0x2000, v0
	s_delay_alu instid0(VALU_DEP_1)
	v_add_co_ci_u32_e64 v3, s1, 0, v1, s1
	flat_store_b64 v[2:3], v[13:14]
	s_or_b32 exec_lo, exec_lo, s4
	s_and_saveexec_b32 s3, s2
	s_cbranch_execz .LBB193_75
.LBB193_124:
	v_add_co_u32 v2, s1, 0x2000, v0
	s_delay_alu instid0(VALU_DEP_1)
	v_add_co_ci_u32_e64 v3, s1, 0, v1, s1
	flat_store_b64 v[2:3], v[11:12] offset:2048
	s_or_b32 exec_lo, exec_lo, s3
	s_and_saveexec_b32 s1, s0
	s_cbranch_execz .LBB193_76
.LBB193_125:
	v_add_co_u32 v2, s0, 0x3000, v0
	s_delay_alu instid0(VALU_DEP_1)
	v_add_co_ci_u32_e64 v3, s0, 0, v1, s0
	flat_store_b64 v[2:3], v[9:10]
	s_or_b32 exec_lo, exec_lo, s1
	s_and_saveexec_b32 s0, vcc_lo
	s_cbranch_execnz .LBB193_77
	s_branch .LBB193_78
.LBB193_126:
	s_or_b32 exec_lo, exec_lo, s20
	v_add_co_u32 v4, vcc_lo, v12, v26
	v_add_co_ci_u32_e32 v5, vcc_lo, 0, v13, vcc_lo
	v_mad_u64_u32 v[9:10], null, v102, 7, v[64:65]
	v_mad_u64_u32 v[11:12], null, v98, 7, v[66:67]
	s_delay_alu instid0(VALU_DEP_3)
	v_mad_u64_u32 v[21:22], null, v26, 7, v[4:5]
	v_mad_u64_u32 v[13:14], null, v97, 7, v[68:69]
	s_barrier
	buffer_gl0_inv
	s_clause 0x3
	flat_store_b8 v[64:65], v112
	flat_store_b8 v[66:67], v113
	;; [unrolled: 1-line block ×4, first 2 shown]
	s_waitcnt lgkmcnt(0)
	s_waitcnt_vscnt null, 0x0
	s_barrier
	buffer_gl0_inv
	s_clause 0x3
	flat_load_u8 v18, v[4:5]
	flat_load_u8 v17, v[4:5] offset:256
	flat_load_u8 v16, v[4:5] offset:512
	;; [unrolled: 1-line block ×3, first 2 shown]
	v_mad_u64_u32 v[19:20], null, v96, 7, v[70:71]
	v_add_co_u32 v4, vcc_lo, 0x1000, v21
	v_add_co_ci_u32_e32 v5, vcc_lo, 0, v22, vcc_lo
	s_waitcnt vmcnt(0) lgkmcnt(0)
	s_barrier
	buffer_gl0_inv
	s_clause 0x3
	flat_store_b64 v[9:10], v[52:53]
	flat_store_b64 v[11:12], v[50:51]
	;; [unrolled: 1-line block ×4, first 2 shown]
	s_waitcnt lgkmcnt(0)
	s_waitcnt_vscnt null, 0x0
	s_barrier
	buffer_gl0_inv
	s_clause 0x3
	flat_load_b64 v[13:14], v[21:22]
	flat_load_b64 v[11:12], v[21:22] offset:2048
	flat_load_b64 v[9:10], v[4:5]
	flat_load_b64 v[4:5], v[4:5] offset:2048
	v_add_co_u32 v2, vcc_lo, v2, v8
	v_add_co_ci_u32_e32 v3, vcc_lo, 0, v3, vcc_lo
	v_mov_b32_e32 v28, 0
	s_delay_alu instid0(VALU_DEP_3) | instskip(NEXT) | instid1(VALU_DEP_3)
	v_add_co_u32 v2, vcc_lo, v2, v27
	v_add_co_ci_u32_e32 v3, vcc_lo, 0, v3, vcc_lo
	v_cmp_lt_u32_e32 vcc_lo, v27, v128
	s_waitcnt vmcnt(0) lgkmcnt(0)
	s_barrier
	buffer_gl0_inv
	s_and_saveexec_b32 s0, vcc_lo
	s_cbranch_execz .LBB193_128
; %bb.127:
	flat_store_b8 v[2:3], v18
.LBB193_128:
	s_or_b32 exec_lo, exec_lo, s0
	v_add_nc_u32_e32 v8, 0x100, v27
	s_delay_alu instid0(VALU_DEP_1) | instskip(NEXT) | instid1(VALU_DEP_1)
	v_cmp_lt_u32_e64 s0, v8, v128
	s_and_saveexec_b32 s1, s0
	s_cbranch_execz .LBB193_130
; %bb.129:
	flat_store_b8 v[2:3], v17 offset:256
.LBB193_130:
	s_or_b32 exec_lo, exec_lo, s1
	v_add_nc_u32_e32 v8, 0x200, v27
	s_delay_alu instid0(VALU_DEP_1) | instskip(NEXT) | instid1(VALU_DEP_1)
	v_cmp_lt_u32_e64 s2, v8, v128
	s_and_saveexec_b32 s1, s2
	s_cbranch_execz .LBB193_132
; %bb.131:
	flat_store_b8 v[2:3], v16 offset:512
.LBB193_132:
	;; [unrolled: 9-line block ×3, first 2 shown]
	s_or_b32 exec_lo, exec_lo, s3
	v_lshlrev_b64 v[2:3], 3, v[27:28]
	v_add_co_u32 v0, s3, v6, v0
	s_delay_alu instid0(VALU_DEP_1) | instskip(NEXT) | instid1(VALU_DEP_2)
	v_add_co_ci_u32_e64 v1, s3, v7, v1, s3
	v_add_co_u32 v0, s3, v0, v2
	s_delay_alu instid0(VALU_DEP_1)
	v_add_co_ci_u32_e64 v1, s3, v1, v3, s3
	s_and_saveexec_b32 s3, vcc_lo
	s_cbranch_execnz .LBB193_167
; %bb.135:
	s_or_b32 exec_lo, exec_lo, s3
	s_and_saveexec_b32 s3, s0
	s_cbranch_execnz .LBB193_168
.LBB193_136:
	s_or_b32 exec_lo, exec_lo, s3
	s_and_saveexec_b32 s0, s2
	s_cbranch_execnz .LBB193_169
.LBB193_137:
	s_or_b32 exec_lo, exec_lo, s0
	s_and_saveexec_b32 s0, s1
	s_cbranch_execz .LBB193_139
.LBB193_138:
	v_add_co_u32 v0, vcc_lo, 0x1000, v0
	v_add_co_ci_u32_e32 v1, vcc_lo, 0, v1, vcc_lo
	flat_store_b64 v[0:1], v[4:5] offset:2048
.LBB193_139:
	s_or_b32 exec_lo, exec_lo, s0
                                        ; implicit-def: $vgpr128
                                        ; implicit-def: $vgpr0
                                        ; implicit-def: $vgpr1
                                        ; implicit-def: $vgpr2
                                        ; implicit-def: $vgpr3
                                        ; implicit-def: $vgpr4
                                        ; implicit-def: $vgpr5
                                        ; implicit-def: $vgpr6
                                        ; implicit-def: $vgpr7
                                        ; implicit-def: $vgpr8
                                        ; implicit-def: $vgpr10
                                        ; implicit-def: $vgpr11
                                        ; implicit-def: $vgpr12
                                        ; implicit-def: $vgpr13
                                        ; implicit-def: $vgpr14
                                        ; implicit-def: $vgpr15
                                        ; implicit-def: $vgpr26
                                        ; implicit-def: $vgpr16
.LBB193_140:
	s_and_not1_saveexec_b32 s0, s19
	s_cbranch_execz .LBB193_199
; %bb.141:
	s_load_b64 s[0:1], s[8:9], 0x0
	v_mov_b32_e32 v9, 0
	s_waitcnt lgkmcnt(0)
	s_cmp_lt_u32 s13, s1
	s_cselect_b32 s1, 14, 20
	s_delay_alu instid0(SALU_CYCLE_1) | instskip(SKIP_4) | instid1(SALU_CYCLE_1)
	s_add_u32 s2, s8, s1
	s_addc_u32 s3, s9, 0
	s_cmp_lt_u32 s12, s0
	global_load_u16 v17, v9, s[2:3]
	s_cselect_b32 s0, 12, 18
	s_add_u32 s0, s8, s0
	s_addc_u32 s1, s9, 0
	global_load_u16 v18, v9, s[0:1]
	s_mov_b32 s0, exec_lo
	s_waitcnt vmcnt(1)
	v_mad_u32_u24 v14, v15, v17, v14
	s_waitcnt vmcnt(0)
	s_delay_alu instid0(VALU_DEP_1)
	v_mad_u64_u32 v[27:28], null, v14, v18, v[26:27]
	v_cmpx_lt_u32_e32 0x100, v128
	s_xor_b32 s15, exec_lo, s0
	s_cbranch_execz .LBB193_179
; %bb.142:
	s_delay_alu instid0(VALU_DEP_2) | instskip(SKIP_2) | instid1(VALU_DEP_3)
	v_dual_mov_b32 v15, v9 :: v_dual_lshlrev_b32 v14, 1, v27
	v_add_co_u32 v0, vcc_lo, v0, v8
	v_add_co_ci_u32_e32 v1, vcc_lo, 0, v1, vcc_lo
	v_and_b32_e32 v14, 0xffffffc0, v14
	s_delay_alu instid0(VALU_DEP_3) | instskip(NEXT) | instid1(VALU_DEP_3)
	v_add_co_u32 v0, vcc_lo, v0, v16
	v_add_co_ci_u32_e32 v1, vcc_lo, 0, v1, vcc_lo
	s_delay_alu instid0(VALU_DEP_3) | instskip(NEXT) | instid1(VALU_DEP_3)
	v_or_b32_e32 v17, v16, v14
	v_add_co_u32 v0, vcc_lo, v0, v14
	s_delay_alu instid0(VALU_DEP_3) | instskip(NEXT) | instid1(VALU_DEP_3)
	v_add_co_ci_u32_e32 v1, vcc_lo, 0, v1, vcc_lo
	v_cmp_lt_u32_e32 vcc_lo, v17, v128
	v_dual_mov_b32 v65, 0xff :: v_dual_mov_b32 v64, 0xff
	s_and_saveexec_b32 s0, vcc_lo
	s_cbranch_execz .LBB193_144
; %bb.143:
	flat_load_u8 v65, v[0:1]
.LBB193_144:
	s_or_b32 exec_lo, exec_lo, s0
	v_or_b32_e32 v17, 32, v17
	s_delay_alu instid0(VALU_DEP_1) | instskip(NEXT) | instid1(VALU_DEP_1)
	v_cmp_lt_u32_e64 s0, v17, v128
	s_and_saveexec_b32 s1, s0
	s_cbranch_execz .LBB193_146
; %bb.145:
	flat_load_u8 v64, v[0:1] offset:32
.LBB193_146:
	s_or_b32 exec_lo, exec_lo, s1
	v_lshlrev_b64 v[0:1], 3, v[8:9]
	v_lshlrev_b32_e32 v9, 3, v16
	s_delay_alu instid0(VALU_DEP_2) | instskip(NEXT) | instid1(VALU_DEP_1)
	v_add_co_u32 v17, s1, v4, v0
	v_add_co_ci_u32_e64 v18, s1, v5, v1, s1
	v_lshlrev_b64 v[4:5], 3, v[14:15]
	s_delay_alu instid0(VALU_DEP_3) | instskip(NEXT) | instid1(VALU_DEP_1)
	v_add_co_u32 v9, s1, v17, v9
	v_add_co_ci_u32_e64 v14, s1, 0, v18, s1
                                        ; implicit-def: $vgpr18_vgpr19
	s_delay_alu instid0(VALU_DEP_2) | instskip(NEXT) | instid1(VALU_DEP_1)
	v_add_co_u32 v4, s1, v9, v4
	v_add_co_ci_u32_e64 v5, s1, v14, v5, s1
	s_and_saveexec_b32 s1, vcc_lo
	s_cbranch_execz .LBB193_148
; %bb.147:
	flat_load_b64 v[18:19], v[4:5]
.LBB193_148:
	s_or_b32 exec_lo, exec_lo, s1
                                        ; implicit-def: $vgpr20_vgpr21
	s_and_saveexec_b32 s1, s0
	s_cbranch_execz .LBB193_150
; %bb.149:
	flat_load_b64 v[20:21], v[4:5] offset:256
.LBB193_150:
	s_or_b32 exec_lo, exec_lo, s1
	v_dual_mov_b32 v15, 0 :: v_dual_lshlrev_b32 v14, 5, v26
	s_mov_b32 s16, 0
	v_add_co_u32 v9, vcc_lo, v12, 32
	s_mov_b32 s17, s16
	s_mov_b32 s18, s16
	;; [unrolled: 1-line block ×3, first 2 shown]
	v_and_b32_e32 v22, 0x3e0, v26
	v_add_co_ci_u32_e32 v66, vcc_lo, 0, v13, vcc_lo
	v_add_co_u32 v4, vcc_lo, v12, v14
	v_add_co_ci_u32_e32 v5, vcc_lo, 0, v13, vcc_lo
	v_add_co_u32 v28, vcc_lo, v9, v14
	v_min_u32_e32 v14, 0xe0, v22
	v_and_b32_e32 v22, 16, v16
	v_add_nc_u32_e32 v23, -1, v16
	v_and_b32_e32 v17, 15, v16
	s_getpc_b64 s[0:1]
	s_add_u32 s0, s0, _ZN7rocprim17ROCPRIM_400000_NS16block_radix_sortIhLj256ELj2ElLj1ELj1ELj8ELNS0_26block_radix_rank_algorithmE2ELNS0_18block_padding_hintE2ELNS0_4arch9wavefront6targetE0EE19radix_bits_per_passE@rel32@lo+4
	s_addc_u32 s1, s1, _ZN7rocprim17ROCPRIM_400000_NS16block_radix_sortIhLj256ELj2ElLj1ELj1ELj8ELNS0_26block_radix_rank_algorithmE2ELNS0_18block_padding_hintE2ELNS0_4arch9wavefront6targetE0EE19radix_bits_per_passE@rel32@hi+12
	v_or_b32_e32 v14, 31, v14
	v_cmp_eq_u32_e64 s3, 0, v22
	v_cmp_gt_i32_e64 s4, 0, v23
	v_lshrrev_b32_e32 v22, 5, v26
	v_add_co_ci_u32_e32 v29, vcc_lo, 0, v66, vcc_lo
	v_lshlrev_b32_e32 v24, 1, v26
	s_load_b32 s20, s[0:1], 0x0
	v_cmp_eq_u32_e32 vcc_lo, 0, v17
	v_cmp_lt_u32_e64 s0, 1, v17
	v_cmp_lt_u32_e64 s1, 3, v17
	;; [unrolled: 1-line block ×3, first 2 shown]
	v_cndmask_b32_e64 v17, v23, v16, s4
	v_cmp_eq_u32_e64 s4, v14, v26
	v_lshlrev_b32_e32 v14, 2, v22
	v_cmp_eq_u32_e64 s7, 0, v16
	v_and_b32_e32 v23, 7, v16
	v_and_or_b32 v16, 0x7c0, v24, v16
	v_lshlrev_b32_e32 v68, 2, v17
	v_add_co_u32 v30, s9, v12, v14
	v_add_nc_u32_e32 v14, -1, v22
	s_delay_alu instid0(VALU_DEP_4) | instskip(SKIP_2) | instid1(VALU_DEP_4)
	v_add_co_u32 v34, s12, v12, v16
	v_lshlrev_b32_e32 v17, 2, v26
	v_add_co_ci_u32_e64 v35, s12, 0, v13, s12
	v_lshlrev_b64 v[14:15], 2, v[14:15]
	v_add_co_ci_u32_e64 v31, s9, 0, v13, s9
	s_delay_alu instid0(VALU_DEP_4) | instskip(NEXT) | instid1(VALU_DEP_4)
	v_add_co_u32 v32, s9, v12, v17
	v_mad_u64_u32 v[38:39], null, v16, 7, v[34:35]
	s_delay_alu instid0(VALU_DEP_4)
	v_add_co_u32 v36, s12, v12, v14
	v_add_co_ci_u32_e64 v33, s9, 0, v13, s9
	v_add_co_ci_u32_e64 v37, s12, v13, v15, s12
	v_mov_b32_e32 v14, s16
	v_mov_b32_e32 v16, s18
	v_lshrrev_b32_e32 v67, 5, v27
	v_cmp_gt_u32_e64 s5, 8, v26
	v_cmp_lt_u32_e64 s6, 31, v26
	v_cmp_eq_u32_e64 s8, 0, v26
	v_cmp_eq_u32_e64 s9, 0, v23
	v_cmp_lt_u32_e64 s10, 1, v23
	v_cmp_lt_u32_e64 s11, 3, v23
	v_sub_nc_u32_e32 v69, v11, v10
	v_mov_b32_e32 v15, s17
	v_mov_b32_e32 v17, s19
	s_waitcnt vmcnt(0) lgkmcnt(0)
	s_waitcnt_vscnt null, 0x0
	s_barrier
	buffer_gl0_inv
	s_branch .LBB193_152
.LBB193_151:                            ;   in Loop: Header=BB193_152 Depth=1
	s_or_b32 exec_lo, exec_lo, s13
	s_delay_alu instid0(SALU_CYCLE_1) | instskip(NEXT) | instid1(SALU_CYCLE_1)
	s_and_b32 s12, exec_lo, s14
	s_or_b32 s16, s12, s16
	s_delay_alu instid0(SALU_CYCLE_1)
	s_and_not1_b32 exec_lo, exec_lo, s16
	s_cbranch_execz .LBB193_170
.LBB193_152:                            ; =>This Inner Loop Header: Depth=1
	v_min_u32_e32 v22, s20, v69
	v_and_b32_e32 v23, 0xff, v65
	s_clause 0x1
	flat_store_b128 v[4:5], v[14:17] offset:32
	flat_store_b128 v[28:29], v[14:17] offset:16
	s_waitcnt lgkmcnt(0)
	s_waitcnt_vscnt null, 0x0
	s_barrier
	v_lshlrev_b32_e64 v22, v22, -1
	v_lshrrev_b32_e32 v23, v10, v23
	buffer_gl0_inv
	; wave barrier
	v_not_b32_e32 v22, v22
	s_delay_alu instid0(VALU_DEP_1) | instskip(NEXT) | instid1(VALU_DEP_1)
	v_and_b32_e32 v23, v23, v22
	v_and_b32_e32 v24, 1, v23
	v_lshlrev_b32_e32 v25, 30, v23
	v_lshlrev_b32_e32 v48, 29, v23
	;; [unrolled: 1-line block ×4, first 2 shown]
	v_add_co_u32 v24, s12, v24, -1
	s_delay_alu instid0(VALU_DEP_1)
	v_cndmask_b32_e64 v50, 0, 1, s12
	v_not_b32_e32 v54, v25
	v_cmp_gt_i32_e64 s13, 0, v25
	v_not_b32_e32 v25, v48
	v_lshlrev_b32_e32 v52, 26, v23
	v_cmp_ne_u32_e64 s12, 0, v50
	v_ashrrev_i32_e32 v54, 31, v54
	v_lshlrev_b32_e32 v53, 25, v23
	v_ashrrev_i32_e32 v25, 31, v25
	v_lshlrev_b32_e32 v50, 24, v23
	v_xor_b32_e32 v24, s12, v24
	v_cmp_gt_i32_e64 s12, 0, v48
	v_not_b32_e32 v48, v49
	v_xor_b32_e32 v54, s13, v54
	v_cmp_gt_i32_e64 s13, 0, v49
	v_and_b32_e32 v24, exec_lo, v24
	v_not_b32_e32 v49, v51
	v_ashrrev_i32_e32 v48, 31, v48
	v_xor_b32_e32 v25, s12, v25
	v_cmp_gt_i32_e64 s12, 0, v51
	v_and_b32_e32 v24, v24, v54
	v_not_b32_e32 v51, v52
	v_ashrrev_i32_e32 v49, 31, v49
	v_xor_b32_e32 v48, s13, v48
	v_cmp_gt_i32_e64 s13, 0, v52
	v_and_b32_e32 v24, v24, v25
	;; [unrolled: 5-line block ×4, first 2 shown]
	v_ashrrev_i32_e32 v48, 31, v48
	v_xor_b32_e32 v25, s12, v25
	s_delay_alu instid0(VALU_DEP_3) | instskip(NEXT) | instid1(VALU_DEP_3)
	v_and_b32_e32 v24, v24, v51
	v_xor_b32_e32 v50, s13, v48
	v_dual_mov_b32 v49, v21 :: v_dual_mov_b32 v48, v20
	s_delay_alu instid0(VALU_DEP_3) | instskip(NEXT) | instid1(VALU_DEP_1)
	v_and_b32_e32 v24, v24, v25
	v_dual_mov_b32 v51, v19 :: v_dual_and_b32 v20, v24, v50
	v_mov_b32_e32 v50, v18
	v_lshlrev_b32_e32 v18, 3, v23
	s_delay_alu instid0(VALU_DEP_3) | instskip(SKIP_1) | instid1(VALU_DEP_3)
	v_mbcnt_lo_u32_b32 v70, v20, 0
	v_cmp_ne_u32_e64 s12, 0, v20
	v_add_lshl_u32 v18, v18, v67, 2
	s_delay_alu instid0(VALU_DEP_3) | instskip(NEXT) | instid1(VALU_DEP_2)
	v_cmp_eq_u32_e64 s13, 0, v70
	v_add_co_u32 v52, s14, v9, v18
	s_delay_alu instid0(VALU_DEP_1) | instskip(NEXT) | instid1(VALU_DEP_3)
	v_add_co_ci_u32_e64 v53, s14, 0, v66, s14
	s_and_b32 s13, s12, s13
	s_delay_alu instid0(SALU_CYCLE_1)
	s_and_saveexec_b32 s12, s13
	s_cbranch_execz .LBB193_154
; %bb.153:                              ;   in Loop: Header=BB193_152 Depth=1
	v_bcnt_u32_b32 v18, v20, 0
	flat_store_b32 v[52:53], v18
.LBB193_154:                            ;   in Loop: Header=BB193_152 Depth=1
	s_or_b32 exec_lo, exec_lo, s12
	v_and_b32_e32 v18, 0xff, v64
	; wave barrier
	s_delay_alu instid0(VALU_DEP_1) | instskip(NEXT) | instid1(VALU_DEP_1)
	v_lshrrev_b32_e32 v18, v10, v18
	v_and_b32_e32 v18, v18, v22
	s_delay_alu instid0(VALU_DEP_1) | instskip(SKIP_3) | instid1(VALU_DEP_4)
	v_lshlrev_b32_e32 v19, 3, v18
	v_lshlrev_b32_e32 v21, 30, v18
	;; [unrolled: 1-line block ×4, first 2 shown]
	v_add_lshl_u32 v19, v19, v67, 2
	s_delay_alu instid0(VALU_DEP_1) | instskip(NEXT) | instid1(VALU_DEP_1)
	v_add_co_u32 v54, s12, v9, v19
	v_add_co_ci_u32_e64 v55, s12, 0, v66, s12
	v_and_b32_e32 v19, 1, v18
	flat_load_b32 v71, v[54:55]
	v_add_co_u32 v19, s12, v19, -1
	s_delay_alu instid0(VALU_DEP_1) | instskip(NEXT) | instid1(VALU_DEP_1)
	v_cndmask_b32_e64 v20, 0, 1, s12
	; wave barrier
	v_cmp_ne_u32_e64 s12, 0, v20
	v_not_b32_e32 v20, v21
	s_delay_alu instid0(VALU_DEP_2) | instskip(SKIP_1) | instid1(VALU_DEP_3)
	v_xor_b32_e32 v19, s12, v19
	v_cmp_gt_i32_e64 s12, 0, v21
	v_ashrrev_i32_e32 v20, 31, v20
	v_not_b32_e32 v21, v22
	s_delay_alu instid0(VALU_DEP_4) | instskip(NEXT) | instid1(VALU_DEP_3)
	v_and_b32_e32 v19, exec_lo, v19
	v_xor_b32_e32 v20, s12, v20
	v_cmp_gt_i32_e64 s12, 0, v22
	s_delay_alu instid0(VALU_DEP_4) | instskip(SKIP_1) | instid1(VALU_DEP_4)
	v_ashrrev_i32_e32 v21, 31, v21
	v_not_b32_e32 v22, v23
	v_and_b32_e32 v19, v19, v20
	v_lshlrev_b32_e32 v20, 27, v18
	s_delay_alu instid0(VALU_DEP_4) | instskip(SKIP_2) | instid1(VALU_DEP_4)
	v_xor_b32_e32 v21, s12, v21
	v_cmp_gt_i32_e64 s12, 0, v23
	v_ashrrev_i32_e32 v22, 31, v22
	v_not_b32_e32 v23, v20
	s_delay_alu instid0(VALU_DEP_4) | instskip(SKIP_1) | instid1(VALU_DEP_4)
	v_and_b32_e32 v19, v19, v21
	v_lshlrev_b32_e32 v21, 26, v18
	v_xor_b32_e32 v22, s12, v22
	v_cmp_gt_i32_e64 s12, 0, v20
	v_ashrrev_i32_e32 v20, 31, v23
	s_delay_alu instid0(VALU_DEP_4) | instskip(NEXT) | instid1(VALU_DEP_4)
	v_not_b32_e32 v23, v21
	v_and_b32_e32 v19, v19, v22
	v_lshlrev_b32_e32 v22, 25, v18
	s_delay_alu instid0(VALU_DEP_4)
	v_xor_b32_e32 v20, s12, v20
	v_cmp_gt_i32_e64 s12, 0, v21
	v_ashrrev_i32_e32 v21, 31, v23
	v_lshlrev_b32_e32 v18, 24, v18
	v_not_b32_e32 v23, v22
	v_and_b32_e32 v19, v19, v20
	s_delay_alu instid0(VALU_DEP_4) | instskip(SKIP_1) | instid1(VALU_DEP_4)
	v_xor_b32_e32 v20, s12, v21
	v_cmp_gt_i32_e64 s12, 0, v22
	v_ashrrev_i32_e32 v21, 31, v23
	v_not_b32_e32 v22, v18
	s_delay_alu instid0(VALU_DEP_4) | instskip(NEXT) | instid1(VALU_DEP_3)
	v_and_b32_e32 v19, v19, v20
	v_xor_b32_e32 v20, s12, v21
	v_cmp_gt_i32_e64 s12, 0, v18
	s_delay_alu instid0(VALU_DEP_4) | instskip(NEXT) | instid1(VALU_DEP_3)
	v_ashrrev_i32_e32 v18, 31, v22
	v_and_b32_e32 v19, v19, v20
	s_delay_alu instid0(VALU_DEP_2) | instskip(NEXT) | instid1(VALU_DEP_1)
	v_xor_b32_e32 v18, s12, v18
	v_and_b32_e32 v18, v19, v18
	s_delay_alu instid0(VALU_DEP_1) | instskip(SKIP_1) | instid1(VALU_DEP_2)
	v_mbcnt_lo_u32_b32 v80, v18, 0
	v_cmp_ne_u32_e64 s13, 0, v18
	v_cmp_eq_u32_e64 s12, 0, v80
	s_delay_alu instid0(VALU_DEP_1) | instskip(NEXT) | instid1(SALU_CYCLE_1)
	s_and_b32 s13, s13, s12
	s_and_saveexec_b32 s12, s13
	s_cbranch_execz .LBB193_156
; %bb.155:                              ;   in Loop: Header=BB193_152 Depth=1
	s_waitcnt vmcnt(0) lgkmcnt(0)
	v_bcnt_u32_b32 v18, v18, v71
	flat_store_b32 v[54:55], v18
.LBB193_156:                            ;   in Loop: Header=BB193_152 Depth=1
	s_or_b32 exec_lo, exec_lo, s12
	; wave barrier
	s_waitcnt vmcnt(0) lgkmcnt(0)
	s_waitcnt_vscnt null, 0x0
	s_barrier
	buffer_gl0_inv
	s_clause 0x1
	flat_load_b128 v[22:25], v[4:5] offset:32
	flat_load_b128 v[18:21], v[28:29] offset:16
	s_waitcnt vmcnt(1) lgkmcnt(1)
	v_add_nc_u32_e32 v81, v23, v22
	s_delay_alu instid0(VALU_DEP_1) | instskip(SKIP_1) | instid1(VALU_DEP_1)
	v_add3_u32 v81, v81, v24, v25
	s_waitcnt vmcnt(0) lgkmcnt(0)
	v_add3_u32 v81, v81, v18, v19
	s_delay_alu instid0(VALU_DEP_1) | instskip(NEXT) | instid1(VALU_DEP_1)
	v_add3_u32 v21, v81, v20, v21
	v_mov_b32_dpp v81, v21 row_shr:1 row_mask:0xf bank_mask:0xf
	s_delay_alu instid0(VALU_DEP_1) | instskip(NEXT) | instid1(VALU_DEP_1)
	v_cndmask_b32_e64 v81, v81, 0, vcc_lo
	v_add_nc_u32_e32 v21, v81, v21
	s_delay_alu instid0(VALU_DEP_1) | instskip(NEXT) | instid1(VALU_DEP_1)
	v_mov_b32_dpp v81, v21 row_shr:2 row_mask:0xf bank_mask:0xf
	v_cndmask_b32_e64 v81, 0, v81, s0
	s_delay_alu instid0(VALU_DEP_1) | instskip(NEXT) | instid1(VALU_DEP_1)
	v_add_nc_u32_e32 v21, v21, v81
	v_mov_b32_dpp v81, v21 row_shr:4 row_mask:0xf bank_mask:0xf
	s_delay_alu instid0(VALU_DEP_1) | instskip(NEXT) | instid1(VALU_DEP_1)
	v_cndmask_b32_e64 v81, 0, v81, s1
	v_add_nc_u32_e32 v21, v21, v81
	s_delay_alu instid0(VALU_DEP_1) | instskip(NEXT) | instid1(VALU_DEP_1)
	v_mov_b32_dpp v81, v21 row_shr:8 row_mask:0xf bank_mask:0xf
	v_cndmask_b32_e64 v81, 0, v81, s2
	s_delay_alu instid0(VALU_DEP_1) | instskip(SKIP_3) | instid1(VALU_DEP_1)
	v_add_nc_u32_e32 v21, v21, v81
	ds_swizzle_b32 v81, v21 offset:swizzle(BROADCAST,32,15)
	s_waitcnt lgkmcnt(0)
	v_cndmask_b32_e64 v81, v81, 0, s3
	v_add_nc_u32_e32 v21, v21, v81
	s_and_saveexec_b32 s12, s4
	s_cbranch_execz .LBB193_158
; %bb.157:                              ;   in Loop: Header=BB193_152 Depth=1
	flat_store_b32 v[30:31], v21
.LBB193_158:                            ;   in Loop: Header=BB193_152 Depth=1
	s_or_b32 exec_lo, exec_lo, s12
	s_waitcnt lgkmcnt(0)
	s_waitcnt_vscnt null, 0x0
	s_barrier
	buffer_gl0_inv
	s_and_saveexec_b32 s12, s5
	s_cbranch_execz .LBB193_160
; %bb.159:                              ;   in Loop: Header=BB193_152 Depth=1
	flat_load_b32 v81, v[32:33]
	s_waitcnt vmcnt(0) lgkmcnt(0)
	v_mov_b32_dpp v82, v81 row_shr:1 row_mask:0xf bank_mask:0xf
	s_delay_alu instid0(VALU_DEP_1) | instskip(NEXT) | instid1(VALU_DEP_1)
	v_cndmask_b32_e64 v82, v82, 0, s9
	v_add_nc_u32_e32 v81, v82, v81
	s_delay_alu instid0(VALU_DEP_1) | instskip(NEXT) | instid1(VALU_DEP_1)
	v_mov_b32_dpp v82, v81 row_shr:2 row_mask:0xf bank_mask:0xf
	v_cndmask_b32_e64 v82, 0, v82, s10
	s_delay_alu instid0(VALU_DEP_1) | instskip(NEXT) | instid1(VALU_DEP_1)
	v_add_nc_u32_e32 v81, v81, v82
	v_mov_b32_dpp v82, v81 row_shr:4 row_mask:0xf bank_mask:0xf
	s_delay_alu instid0(VALU_DEP_1) | instskip(NEXT) | instid1(VALU_DEP_1)
	v_cndmask_b32_e64 v82, 0, v82, s11
	v_add_nc_u32_e32 v81, v81, v82
	flat_store_b32 v[32:33], v81
.LBB193_160:                            ;   in Loop: Header=BB193_152 Depth=1
	s_or_b32 exec_lo, exec_lo, s12
	v_mov_b32_e32 v81, 0
	s_waitcnt lgkmcnt(0)
	s_waitcnt_vscnt null, 0x0
	s_barrier
	buffer_gl0_inv
	s_and_saveexec_b32 s12, s6
	s_cbranch_execz .LBB193_162
; %bb.161:                              ;   in Loop: Header=BB193_152 Depth=1
	flat_load_b32 v81, v[36:37]
.LBB193_162:                            ;   in Loop: Header=BB193_152 Depth=1
	s_or_b32 exec_lo, exec_lo, s12
	s_waitcnt vmcnt(0) lgkmcnt(0)
	v_add_nc_u32_e32 v21, v81, v21
	v_add_nc_u32_e32 v10, 8, v10
	s_mov_b32 s14, -1
	ds_bpermute_b32 v21, v68, v21
	s_waitcnt lgkmcnt(0)
	v_cndmask_b32_e64 v21, v21, v81, s7
	s_delay_alu instid0(VALU_DEP_1) | instskip(NEXT) | instid1(VALU_DEP_1)
	v_cndmask_b32_e64 v21, v21, 0, s8
	v_add_nc_u32_e32 v22, v21, v22
	s_delay_alu instid0(VALU_DEP_1) | instskip(NEXT) | instid1(VALU_DEP_1)
	v_add_nc_u32_e32 v23, v22, v23
	v_add_nc_u32_e32 v24, v23, v24
	s_delay_alu instid0(VALU_DEP_1) | instskip(NEXT) | instid1(VALU_DEP_1)
	v_add_nc_u32_e32 v81, v24, v25
	;; [unrolled: 3-line block ×3, first 2 shown]
	v_add_nc_u32_e32 v84, v83, v20
	s_clause 0x1
	flat_store_b128 v[4:5], v[21:24] offset:32
	flat_store_b128 v[28:29], v[81:84] offset:16
	s_waitcnt lgkmcnt(0)
	s_waitcnt_vscnt null, 0x0
	s_barrier
	buffer_gl0_inv
	s_clause 0x1
	flat_load_b32 v18, v[52:53]
	flat_load_b32 v19, v[54:55]
	v_dual_mov_b32 v54, v65 :: v_dual_mov_b32 v55, v64
	s_waitcnt vmcnt(0) lgkmcnt(0)
	s_waitcnt_vscnt null, 0x0
                                        ; implicit-def: $vgpr20_vgpr21
	s_waitcnt vmcnt(1) lgkmcnt(1)
	v_add_nc_u32_e32 v52, v18, v70
	s_waitcnt vmcnt(0) lgkmcnt(0)
	v_add3_u32 v53, v80, v71, v19
                                        ; implicit-def: $vgpr18_vgpr19
	s_delay_alu instid0(VALU_DEP_2) | instskip(NEXT) | instid1(VALU_DEP_1)
	v_add_co_u32 v22, s13, v12, v52
	v_add_co_ci_u32_e64 v23, s13, 0, v13, s13
	s_delay_alu instid0(VALU_DEP_3) | instskip(NEXT) | instid1(VALU_DEP_1)
	v_add_co_u32 v24, s13, v12, v53
	v_add_co_ci_u32_e64 v25, s13, 0, v13, s13
	s_mov_b32 s13, exec_lo
	v_cmpx_lt_u32_e64 v10, v11
	s_cbranch_execz .LBB193_151
; %bb.163:                              ;   in Loop: Header=BB193_152 Depth=1
	v_mad_u64_u32 v[18:19], null, v52, 7, v[22:23]
	v_mad_u64_u32 v[20:21], null, v53, 7, v[24:25]
	s_barrier
	buffer_gl0_inv
	s_clause 0x1
	flat_store_b8 v[22:23], v65
	flat_store_b8 v[24:25], v64
	s_waitcnt lgkmcnt(0)
	s_waitcnt_vscnt null, 0x0
	s_barrier
	buffer_gl0_inv
	s_clause 0x1
	flat_load_u8 v64, v[34:35] offset:32
	flat_load_u8 v65, v[34:35]
	s_waitcnt vmcnt(0) lgkmcnt(0)
	s_barrier
	buffer_gl0_inv
	s_clause 0x1
	flat_store_b64 v[18:19], v[50:51]
	flat_store_b64 v[20:21], v[48:49]
	s_waitcnt lgkmcnt(0)
	s_waitcnt_vscnt null, 0x0
	s_barrier
	buffer_gl0_inv
	s_clause 0x1
	flat_load_b64 v[18:19], v[38:39]
	flat_load_b64 v[20:21], v[38:39] offset:256
	v_add_nc_u32_e32 v69, -8, v69
	s_xor_b32 s14, exec_lo, -1
	s_waitcnt vmcnt(0) lgkmcnt(0)
	s_barrier
	buffer_gl0_inv
	s_branch .LBB193_151
.LBB193_164:
	flat_load_b64 v[18:19], v[4:5]
	s_or_b32 exec_lo, exec_lo, s3
                                        ; implicit-def: $vgpr20_vgpr21
	s_and_saveexec_b32 s3, s0
	s_cbranch_execz .LBB193_91
.LBB193_165:
	flat_load_b64 v[20:21], v[4:5] offset:256
	s_or_b32 exec_lo, exec_lo, s3
                                        ; implicit-def: $vgpr22_vgpr23
	s_and_saveexec_b32 s0, s1
	s_cbranch_execz .LBB193_92
.LBB193_166:
	flat_load_b64 v[22:23], v[4:5] offset:512
	s_or_b32 exec_lo, exec_lo, s0
                                        ; implicit-def: $vgpr24_vgpr25
	s_and_saveexec_b32 s0, s2
	s_cbranch_execnz .LBB193_93
	s_branch .LBB193_94
.LBB193_167:
	flat_store_b64 v[0:1], v[13:14]
	s_or_b32 exec_lo, exec_lo, s3
	s_and_saveexec_b32 s3, s0
	s_cbranch_execz .LBB193_136
.LBB193_168:
	flat_store_b64 v[0:1], v[11:12] offset:2048
	s_or_b32 exec_lo, exec_lo, s3
	s_and_saveexec_b32 s0, s2
	s_cbranch_execz .LBB193_137
.LBB193_169:
	v_add_co_u32 v2, vcc_lo, 0x1000, v0
	v_add_co_ci_u32_e32 v3, vcc_lo, 0, v1, vcc_lo
	flat_store_b64 v[2:3], v[9:10]
	s_or_b32 exec_lo, exec_lo, s0
	s_and_saveexec_b32 s0, s1
	s_cbranch_execnz .LBB193_138
	s_branch .LBB193_139
.LBB193_170:
	s_or_b32 exec_lo, exec_lo, s16
	v_add_co_u32 v4, vcc_lo, v12, v26
	v_add_co_ci_u32_e32 v5, vcc_lo, 0, v13, vcc_lo
	v_mad_u64_u32 v[9:10], null, v52, 7, v[22:23]
	v_mad_u64_u32 v[13:14], null, v53, 7, v[24:25]
	s_delay_alu instid0(VALU_DEP_3)
	v_mad_u64_u32 v[15:16], null, v26, 7, v[4:5]
	s_barrier
	buffer_gl0_inv
	s_clause 0x1
	flat_store_b8 v[22:23], v54
	flat_store_b8 v[24:25], v55
	s_waitcnt lgkmcnt(0)
	s_waitcnt_vscnt null, 0x0
	s_barrier
	buffer_gl0_inv
	s_clause 0x1
	flat_load_u8 v12, v[4:5]
	flat_load_u8 v11, v[4:5] offset:256
	s_waitcnt vmcnt(0) lgkmcnt(0)
	s_barrier
	buffer_gl0_inv
	s_clause 0x1
	flat_store_b64 v[9:10], v[50:51]
	flat_store_b64 v[13:14], v[48:49]
	s_waitcnt lgkmcnt(0)
	s_waitcnt_vscnt null, 0x0
	s_barrier
	buffer_gl0_inv
	s_clause 0x1
	flat_load_b64 v[9:10], v[15:16]
	flat_load_b64 v[4:5], v[15:16] offset:2048
	v_add_co_u32 v2, vcc_lo, v2, v8
	v_add_co_ci_u32_e32 v3, vcc_lo, 0, v3, vcc_lo
	v_mov_b32_e32 v28, 0
	s_delay_alu instid0(VALU_DEP_3) | instskip(NEXT) | instid1(VALU_DEP_3)
	v_add_co_u32 v2, vcc_lo, v2, v27
	v_add_co_ci_u32_e32 v3, vcc_lo, 0, v3, vcc_lo
	v_cmp_lt_u32_e32 vcc_lo, v27, v128
	s_waitcnt vmcnt(0) lgkmcnt(0)
	s_barrier
	buffer_gl0_inv
	s_and_saveexec_b32 s0, vcc_lo
	s_cbranch_execz .LBB193_172
; %bb.171:
	flat_store_b8 v[2:3], v12
.LBB193_172:
	s_or_b32 exec_lo, exec_lo, s0
	v_add_nc_u32_e32 v8, 0x100, v27
	s_delay_alu instid0(VALU_DEP_1) | instskip(NEXT) | instid1(VALU_DEP_1)
	v_cmp_lt_u32_e64 s0, v8, v128
	s_and_saveexec_b32 s1, s0
	s_cbranch_execz .LBB193_174
; %bb.173:
	flat_store_b8 v[2:3], v11 offset:256
.LBB193_174:
	s_or_b32 exec_lo, exec_lo, s1
	v_lshlrev_b64 v[2:3], 3, v[27:28]
	v_add_co_u32 v0, s1, v6, v0
	s_delay_alu instid0(VALU_DEP_1) | instskip(NEXT) | instid1(VALU_DEP_2)
	v_add_co_ci_u32_e64 v1, s1, v7, v1, s1
	v_add_co_u32 v0, s1, v0, v2
	s_delay_alu instid0(VALU_DEP_1)
	v_add_co_ci_u32_e64 v1, s1, v1, v3, s1
	s_and_saveexec_b32 s1, vcc_lo
	s_cbranch_execz .LBB193_176
; %bb.175:
	flat_store_b64 v[0:1], v[9:10]
.LBB193_176:
	s_or_b32 exec_lo, exec_lo, s1
	s_and_saveexec_b32 s1, s0
	s_cbranch_execz .LBB193_178
; %bb.177:
	flat_store_b64 v[0:1], v[4:5] offset:2048
.LBB193_178:
	s_or_b32 exec_lo, exec_lo, s1
                                        ; implicit-def: $vgpr27_vgpr28
                                        ; implicit-def: $vgpr8_vgpr9
                                        ; implicit-def: $vgpr128
                                        ; implicit-def: $vgpr0
                                        ; implicit-def: $vgpr1
                                        ; implicit-def: $vgpr2
                                        ; implicit-def: $vgpr3
                                        ; implicit-def: $vgpr4
                                        ; implicit-def: $vgpr5
                                        ; implicit-def: $vgpr6
                                        ; implicit-def: $vgpr7
                                        ; implicit-def: $vgpr10
                                        ; implicit-def: $vgpr11
                                        ; implicit-def: $vgpr12
                                        ; implicit-def: $vgpr13
                                        ; implicit-def: $vgpr26
                                        ; implicit-def: $vgpr16
.LBB193_179:
	s_and_not1_saveexec_b32 s0, s15
	s_cbranch_execz .LBB193_199
; %bb.180:
	s_delay_alu instid0(VALU_DEP_2) | instskip(SKIP_1) | instid1(VALU_DEP_2)
	v_and_b32_e32 v14, 0xffffffe0, v27
	v_mov_b32_e32 v22, 0xff
	v_or_b32_e32 v15, v16, v14
	s_delay_alu instid0(VALU_DEP_1)
	v_cmp_lt_u32_e32 vcc_lo, v15, v128
	s_and_saveexec_b32 s1, vcc_lo
	s_cbranch_execz .LBB193_182
; %bb.181:
	v_add_co_u32 v0, s0, v0, v8
	s_delay_alu instid0(VALU_DEP_1) | instskip(NEXT) | instid1(VALU_DEP_2)
	v_add_co_ci_u32_e64 v1, s0, 0, v1, s0
	v_add_co_u32 v0, s0, v0, v16
	s_delay_alu instid0(VALU_DEP_1) | instskip(NEXT) | instid1(VALU_DEP_2)
	v_add_co_ci_u32_e64 v1, s0, 0, v1, s0
	v_add_co_u32 v0, s0, v0, v14
	s_delay_alu instid0(VALU_DEP_1)
	v_add_co_ci_u32_e64 v1, s0, 0, v1, s0
	flat_load_u8 v22, v[0:1]
.LBB193_182:
	s_or_b32 exec_lo, exec_lo, s1
	v_lshlrev_b64 v[0:1], 3, v[8:9]
                                        ; implicit-def: $vgpr18_vgpr19
	s_and_saveexec_b32 s0, vcc_lo
	s_cbranch_execz .LBB193_184
; %bb.183:
	v_mov_b32_e32 v15, 0
	v_lshlrev_b32_e32 v9, 3, v16
	s_delay_alu instid0(VALU_DEP_3) | instskip(SKIP_1) | instid1(VALU_DEP_4)
	v_add_co_u32 v17, vcc_lo, v4, v0
	v_add_co_ci_u32_e32 v18, vcc_lo, v5, v1, vcc_lo
	v_lshlrev_b64 v[4:5], 3, v[14:15]
	s_delay_alu instid0(VALU_DEP_3) | instskip(NEXT) | instid1(VALU_DEP_3)
	v_add_co_u32 v9, vcc_lo, v17, v9
	v_add_co_ci_u32_e32 v14, vcc_lo, 0, v18, vcc_lo
	s_delay_alu instid0(VALU_DEP_2) | instskip(NEXT) | instid1(VALU_DEP_2)
	v_add_co_u32 v4, vcc_lo, v9, v4
	v_add_co_ci_u32_e32 v5, vcc_lo, v14, v5, vcc_lo
	flat_load_b64 v[18:19], v[4:5]
.LBB193_184:
	s_or_b32 exec_lo, exec_lo, s0
	v_dual_mov_b32 v15, 0 :: v_dual_lshlrev_b32 v14, 5, v26
	s_mov_b32 s16, 0
	v_add_co_u32 v9, vcc_lo, v12, 32
	s_mov_b32 s17, s16
	s_mov_b32 s18, s16
	;; [unrolled: 1-line block ×3, first 2 shown]
	v_and_b32_e32 v20, 0x3e0, v26
	v_add_co_ci_u32_e32 v52, vcc_lo, 0, v13, vcc_lo
	v_add_co_u32 v4, vcc_lo, v12, v14
	v_add_co_ci_u32_e32 v5, vcc_lo, 0, v13, vcc_lo
	v_add_co_u32 v28, vcc_lo, v9, v14
	v_min_u32_e32 v14, 0xe0, v20
	v_and_b32_e32 v21, 16, v16
	v_add_nc_u32_e32 v23, -1, v16
	v_and_b32_e32 v17, 15, v16
	s_getpc_b64 s[0:1]
	s_add_u32 s0, s0, _ZN7rocprim17ROCPRIM_400000_NS16block_radix_sortIhLj256ELj1ElLj1ELj1ELj8ELNS0_26block_radix_rank_algorithmE2ELNS0_18block_padding_hintE2ELNS0_4arch9wavefront6targetE0EE19radix_bits_per_passE@rel32@lo+4
	s_addc_u32 s1, s1, _ZN7rocprim17ROCPRIM_400000_NS16block_radix_sortIhLj256ELj1ElLj1ELj1ELj8ELNS0_26block_radix_rank_algorithmE2ELNS0_18block_padding_hintE2ELNS0_4arch9wavefront6targetE0EE19radix_bits_per_passE@rel32@hi+12
	v_or_b32_e32 v14, 31, v14
	v_cmp_eq_u32_e64 s3, 0, v21
	v_cmp_gt_i32_e64 s4, 0, v23
	v_lshrrev_b32_e32 v21, 5, v26
	v_add_co_ci_u32_e32 v29, vcc_lo, 0, v52, vcc_lo
	s_load_b32 s15, s[0:1], 0x0
	v_cmp_eq_u32_e32 vcc_lo, 0, v17
	v_cmp_lt_u32_e64 s0, 1, v17
	v_cmp_lt_u32_e64 s1, 3, v17
	v_cmp_lt_u32_e64 s2, 7, v17
	v_cndmask_b32_e64 v17, v23, v16, s4
	v_cmp_eq_u32_e64 s4, v14, v26
	v_lshlrev_b32_e32 v14, 2, v21
	v_cmp_eq_u32_e64 s7, 0, v16
	v_and_b32_e32 v23, 7, v16
	v_or_b32_e32 v16, v16, v20
	v_lshlrev_b32_e32 v54, 2, v17
	v_add_co_u32 v30, s9, v12, v14
	v_add_nc_u32_e32 v14, -1, v21
	s_delay_alu instid0(VALU_DEP_4) | instskip(SKIP_2) | instid1(VALU_DEP_4)
	v_add_co_u32 v34, s12, v12, v16
	v_lshlrev_b32_e32 v17, 2, v26
	v_add_co_ci_u32_e64 v35, s12, 0, v13, s12
	v_lshlrev_b64 v[14:15], 2, v[14:15]
	v_add_co_ci_u32_e64 v31, s9, 0, v13, s9
	s_delay_alu instid0(VALU_DEP_4) | instskip(NEXT) | instid1(VALU_DEP_4)
	v_add_co_u32 v32, s9, v12, v17
	v_mad_u64_u32 v[38:39], null, v16, 7, v[34:35]
	s_delay_alu instid0(VALU_DEP_4)
	v_add_co_u32 v36, s12, v12, v14
	v_add_co_ci_u32_e64 v33, s9, 0, v13, s9
	v_add_co_ci_u32_e64 v37, s12, v13, v15, s12
	v_dual_mov_b32 v14, s16 :: v_dual_mov_b32 v17, s19
	v_lshrrev_b32_e32 v53, 5, v27
	v_cmp_gt_u32_e64 s5, 8, v26
	v_cmp_lt_u32_e64 s6, 31, v26
	v_cmp_eq_u32_e64 s8, 0, v26
	v_cmp_eq_u32_e64 s9, 0, v23
	v_cmp_lt_u32_e64 s10, 1, v23
	v_cmp_lt_u32_e64 s11, 3, v23
	v_sub_nc_u32_e32 v55, v11, v10
	v_dual_mov_b32 v15, s17 :: v_dual_mov_b32 v16, s18
	s_waitcnt vmcnt(0) lgkmcnt(0)
	s_waitcnt_vscnt null, 0x0
	s_barrier
	buffer_gl0_inv
	s_branch .LBB193_186
.LBB193_185:                            ;   in Loop: Header=BB193_186 Depth=1
	s_or_b32 exec_lo, exec_lo, s13
	s_delay_alu instid0(SALU_CYCLE_1) | instskip(NEXT) | instid1(SALU_CYCLE_1)
	s_and_b32 s12, exec_lo, s14
	s_or_b32 s16, s12, s16
	s_delay_alu instid0(SALU_CYCLE_1)
	s_and_not1_b32 exec_lo, exec_lo, s16
	s_cbranch_execz .LBB193_196
.LBB193_186:                            ; =>This Inner Loop Header: Depth=1
	v_mov_b32_e32 v64, v22
	v_min_u32_e32 v21, s15, v55
	s_clause 0x1
	flat_store_b128 v[4:5], v[14:17] offset:32
	flat_store_b128 v[28:29], v[14:17] offset:16
	s_waitcnt lgkmcnt(0)
	s_waitcnt_vscnt null, 0x0
	s_barrier
	v_and_b32_e32 v20, 0xff, v64
	buffer_gl0_inv
	; wave barrier
	v_lshrrev_b32_e32 v20, v10, v20
	s_delay_alu instid0(VALU_DEP_1) | instskip(NEXT) | instid1(VALU_DEP_1)
	v_bfe_u32 v21, v20, 0, v21
	v_and_b32_e32 v20, 1, v21
	v_lshlrev_b32_e32 v22, 30, v21
	v_lshlrev_b32_e32 v23, 29, v21
	;; [unrolled: 1-line block ×4, first 2 shown]
	v_add_co_u32 v20, s12, v20, -1
	s_delay_alu instid0(VALU_DEP_1)
	v_cndmask_b32_e64 v25, 0, 1, s12
	v_not_b32_e32 v51, v22
	v_cmp_gt_i32_e64 s13, 0, v22
	v_not_b32_e32 v22, v23
	v_lshlrev_b32_e32 v49, 26, v21
	v_cmp_ne_u32_e64 s12, 0, v25
	v_ashrrev_i32_e32 v51, 31, v51
	v_lshlrev_b32_e32 v50, 25, v21
	v_ashrrev_i32_e32 v22, 31, v22
	v_lshlrev_b32_e32 v25, 24, v21
	v_xor_b32_e32 v20, s12, v20
	v_cmp_gt_i32_e64 s12, 0, v23
	v_not_b32_e32 v23, v24
	v_xor_b32_e32 v51, s13, v51
	v_cmp_gt_i32_e64 s13, 0, v24
	v_and_b32_e32 v20, exec_lo, v20
	v_not_b32_e32 v24, v48
	v_ashrrev_i32_e32 v23, 31, v23
	v_xor_b32_e32 v22, s12, v22
	v_cmp_gt_i32_e64 s12, 0, v48
	v_and_b32_e32 v20, v20, v51
	v_not_b32_e32 v48, v49
	v_ashrrev_i32_e32 v24, 31, v24
	v_xor_b32_e32 v23, s13, v23
	v_cmp_gt_i32_e64 s13, 0, v49
	v_and_b32_e32 v20, v20, v22
	;; [unrolled: 5-line block ×4, first 2 shown]
	v_ashrrev_i32_e32 v23, 31, v23
	v_xor_b32_e32 v22, s12, v22
	s_delay_alu instid0(VALU_DEP_3) | instskip(NEXT) | instid1(VALU_DEP_3)
	v_and_b32_e32 v20, v20, v48
	v_xor_b32_e32 v23, s13, v23
	v_dual_mov_b32 v49, v19 :: v_dual_mov_b32 v48, v18
	v_lshlrev_b32_e32 v18, 3, v21
	s_delay_alu instid0(VALU_DEP_4) | instskip(NEXT) | instid1(VALU_DEP_2)
	v_and_b32_e32 v20, v20, v22
	v_add_lshl_u32 v18, v18, v53, 2
	s_delay_alu instid0(VALU_DEP_2) | instskip(NEXT) | instid1(VALU_DEP_2)
	v_and_b32_e32 v20, v20, v23
	v_add_co_u32 v50, s14, v9, v18
	s_delay_alu instid0(VALU_DEP_2) | instskip(SKIP_2) | instid1(VALU_DEP_3)
	v_mbcnt_lo_u32_b32 v65, v20, 0
	v_cmp_ne_u32_e64 s12, 0, v20
	v_add_co_ci_u32_e64 v51, s14, 0, v52, s14
	v_cmp_eq_u32_e64 s13, 0, v65
	s_delay_alu instid0(VALU_DEP_1) | instskip(NEXT) | instid1(SALU_CYCLE_1)
	s_and_b32 s13, s12, s13
	s_and_saveexec_b32 s12, s13
	s_cbranch_execz .LBB193_188
; %bb.187:                              ;   in Loop: Header=BB193_186 Depth=1
	v_bcnt_u32_b32 v18, v20, 0
	flat_store_b32 v[50:51], v18
.LBB193_188:                            ;   in Loop: Header=BB193_186 Depth=1
	s_or_b32 exec_lo, exec_lo, s12
	; wave barrier
	s_waitcnt lgkmcnt(0)
	s_waitcnt_vscnt null, 0x0
	s_barrier
	buffer_gl0_inv
	s_clause 0x1
	flat_load_b128 v[22:25], v[4:5] offset:32
	flat_load_b128 v[18:21], v[28:29] offset:16
	s_waitcnt vmcnt(1) lgkmcnt(1)
	v_add_nc_u32_e32 v66, v23, v22
	s_delay_alu instid0(VALU_DEP_1) | instskip(SKIP_1) | instid1(VALU_DEP_1)
	v_add3_u32 v66, v66, v24, v25
	s_waitcnt vmcnt(0) lgkmcnt(0)
	v_add3_u32 v66, v66, v18, v19
	s_delay_alu instid0(VALU_DEP_1) | instskip(NEXT) | instid1(VALU_DEP_1)
	v_add3_u32 v21, v66, v20, v21
	v_mov_b32_dpp v66, v21 row_shr:1 row_mask:0xf bank_mask:0xf
	s_delay_alu instid0(VALU_DEP_1) | instskip(NEXT) | instid1(VALU_DEP_1)
	v_cndmask_b32_e64 v66, v66, 0, vcc_lo
	v_add_nc_u32_e32 v21, v66, v21
	s_delay_alu instid0(VALU_DEP_1) | instskip(NEXT) | instid1(VALU_DEP_1)
	v_mov_b32_dpp v66, v21 row_shr:2 row_mask:0xf bank_mask:0xf
	v_cndmask_b32_e64 v66, 0, v66, s0
	s_delay_alu instid0(VALU_DEP_1) | instskip(NEXT) | instid1(VALU_DEP_1)
	v_add_nc_u32_e32 v21, v21, v66
	v_mov_b32_dpp v66, v21 row_shr:4 row_mask:0xf bank_mask:0xf
	s_delay_alu instid0(VALU_DEP_1) | instskip(NEXT) | instid1(VALU_DEP_1)
	v_cndmask_b32_e64 v66, 0, v66, s1
	v_add_nc_u32_e32 v21, v21, v66
	s_delay_alu instid0(VALU_DEP_1) | instskip(NEXT) | instid1(VALU_DEP_1)
	v_mov_b32_dpp v66, v21 row_shr:8 row_mask:0xf bank_mask:0xf
	v_cndmask_b32_e64 v66, 0, v66, s2
	s_delay_alu instid0(VALU_DEP_1) | instskip(SKIP_3) | instid1(VALU_DEP_1)
	v_add_nc_u32_e32 v21, v21, v66
	ds_swizzle_b32 v66, v21 offset:swizzle(BROADCAST,32,15)
	s_waitcnt lgkmcnt(0)
	v_cndmask_b32_e64 v66, v66, 0, s3
	v_add_nc_u32_e32 v21, v21, v66
	s_and_saveexec_b32 s12, s4
	s_cbranch_execz .LBB193_190
; %bb.189:                              ;   in Loop: Header=BB193_186 Depth=1
	flat_store_b32 v[30:31], v21
.LBB193_190:                            ;   in Loop: Header=BB193_186 Depth=1
	s_or_b32 exec_lo, exec_lo, s12
	s_waitcnt lgkmcnt(0)
	s_waitcnt_vscnt null, 0x0
	s_barrier
	buffer_gl0_inv
	s_and_saveexec_b32 s12, s5
	s_cbranch_execz .LBB193_192
; %bb.191:                              ;   in Loop: Header=BB193_186 Depth=1
	flat_load_b32 v66, v[32:33]
	s_waitcnt vmcnt(0) lgkmcnt(0)
	v_mov_b32_dpp v67, v66 row_shr:1 row_mask:0xf bank_mask:0xf
	s_delay_alu instid0(VALU_DEP_1) | instskip(NEXT) | instid1(VALU_DEP_1)
	v_cndmask_b32_e64 v67, v67, 0, s9
	v_add_nc_u32_e32 v66, v67, v66
	s_delay_alu instid0(VALU_DEP_1) | instskip(NEXT) | instid1(VALU_DEP_1)
	v_mov_b32_dpp v67, v66 row_shr:2 row_mask:0xf bank_mask:0xf
	v_cndmask_b32_e64 v67, 0, v67, s10
	s_delay_alu instid0(VALU_DEP_1) | instskip(NEXT) | instid1(VALU_DEP_1)
	v_add_nc_u32_e32 v66, v66, v67
	v_mov_b32_dpp v67, v66 row_shr:4 row_mask:0xf bank_mask:0xf
	s_delay_alu instid0(VALU_DEP_1) | instskip(NEXT) | instid1(VALU_DEP_1)
	v_cndmask_b32_e64 v67, 0, v67, s11
	v_add_nc_u32_e32 v66, v66, v67
	flat_store_b32 v[32:33], v66
.LBB193_192:                            ;   in Loop: Header=BB193_186 Depth=1
	s_or_b32 exec_lo, exec_lo, s12
	v_mov_b32_e32 v66, 0
	s_waitcnt lgkmcnt(0)
	s_waitcnt_vscnt null, 0x0
	s_barrier
	buffer_gl0_inv
	s_and_saveexec_b32 s12, s6
	s_cbranch_execz .LBB193_194
; %bb.193:                              ;   in Loop: Header=BB193_186 Depth=1
	flat_load_b32 v66, v[36:37]
.LBB193_194:                            ;   in Loop: Header=BB193_186 Depth=1
	s_or_b32 exec_lo, exec_lo, s12
	s_waitcnt vmcnt(0) lgkmcnt(0)
	v_add_nc_u32_e32 v21, v66, v21
	v_add_nc_u32_e32 v10, 8, v10
	s_mov_b32 s14, -1
	ds_bpermute_b32 v21, v54, v21
	s_waitcnt lgkmcnt(0)
	v_cndmask_b32_e64 v21, v21, v66, s7
	s_delay_alu instid0(VALU_DEP_1) | instskip(NEXT) | instid1(VALU_DEP_1)
	v_cndmask_b32_e64 v21, v21, 0, s8
	v_add_nc_u32_e32 v22, v21, v22
	s_delay_alu instid0(VALU_DEP_1) | instskip(NEXT) | instid1(VALU_DEP_1)
	v_add_nc_u32_e32 v23, v22, v23
	v_add_nc_u32_e32 v24, v23, v24
	s_delay_alu instid0(VALU_DEP_1) | instskip(NEXT) | instid1(VALU_DEP_1)
	v_add_nc_u32_e32 v66, v24, v25
	;; [unrolled: 3-line block ×3, first 2 shown]
	v_add_nc_u32_e32 v69, v68, v20
	s_clause 0x1
	flat_store_b128 v[4:5], v[21:24] offset:32
	flat_store_b128 v[28:29], v[66:69] offset:16
	s_waitcnt lgkmcnt(0)
	s_waitcnt_vscnt null, 0x0
	s_barrier
	buffer_gl0_inv
	flat_load_b32 v18, v[50:51]
	s_waitcnt vmcnt(0) lgkmcnt(0)
	s_waitcnt_vscnt null, 0x0
                                        ; implicit-def: $vgpr22
	s_waitcnt vmcnt(0) lgkmcnt(0)
	v_add_nc_u32_e32 v23, v18, v65
                                        ; implicit-def: $vgpr18_vgpr19
	s_delay_alu instid0(VALU_DEP_1) | instskip(NEXT) | instid1(VALU_DEP_1)
	v_add_co_u32 v20, s13, v12, v23
	v_add_co_ci_u32_e64 v21, s13, 0, v13, s13
	s_mov_b32 s13, exec_lo
	v_cmpx_lt_u32_e64 v10, v11
	s_cbranch_execz .LBB193_185
; %bb.195:                              ;   in Loop: Header=BB193_186 Depth=1
	s_delay_alu instid0(VALU_DEP_2)
	v_mad_u64_u32 v[18:19], null, v23, 7, v[20:21]
	s_barrier
	buffer_gl0_inv
	flat_store_b8 v[20:21], v64
	s_waitcnt lgkmcnt(0)
	s_waitcnt_vscnt null, 0x0
	s_barrier
	buffer_gl0_inv
	flat_load_u8 v22, v[34:35]
	s_waitcnt vmcnt(0) lgkmcnt(0)
	s_barrier
	buffer_gl0_inv
	flat_store_b64 v[18:19], v[48:49]
	s_waitcnt lgkmcnt(0)
	s_waitcnt_vscnt null, 0x0
	s_barrier
	buffer_gl0_inv
	flat_load_b64 v[18:19], v[38:39]
	v_add_nc_u32_e32 v55, -8, v55
	s_xor_b32 s14, exec_lo, -1
	s_waitcnt vmcnt(0) lgkmcnt(0)
	s_barrier
	buffer_gl0_inv
	s_branch .LBB193_185
.LBB193_196:
	s_or_b32 exec_lo, exec_lo, s16
	v_add_co_u32 v4, vcc_lo, v12, v26
	v_add_co_ci_u32_e32 v5, vcc_lo, 0, v13, vcc_lo
	v_mad_u64_u32 v[10:11], null, v23, 7, v[20:21]
	s_barrier
	s_delay_alu instid0(VALU_DEP_2)
	v_mad_u64_u32 v[12:13], null, v26, 7, v[4:5]
	buffer_gl0_inv
	flat_store_b8 v[20:21], v64
	s_waitcnt lgkmcnt(0)
	s_waitcnt_vscnt null, 0x0
	s_barrier
	buffer_gl0_inv
	flat_load_u8 v9, v[4:5]
	s_waitcnt vmcnt(0) lgkmcnt(0)
	s_barrier
	buffer_gl0_inv
	flat_store_b64 v[10:11], v[48:49]
	s_waitcnt lgkmcnt(0)
	s_waitcnt_vscnt null, 0x0
	s_barrier
	buffer_gl0_inv
	flat_load_b64 v[4:5], v[12:13]
	s_mov_b32 s0, exec_lo
	s_waitcnt vmcnt(0) lgkmcnt(0)
	s_barrier
	buffer_gl0_inv
	v_cmpx_lt_u32_e64 v27, v128
	s_cbranch_execz .LBB193_198
; %bb.197:
	v_add_co_u32 v6, vcc_lo, v6, v0
	v_mov_b32_e32 v28, 0
	v_add_co_ci_u32_e32 v7, vcc_lo, v7, v1, vcc_lo
	v_add_co_u32 v2, vcc_lo, v2, v8
	v_add_co_ci_u32_e32 v3, vcc_lo, 0, v3, vcc_lo
	s_delay_alu instid0(VALU_DEP_4) | instskip(NEXT) | instid1(VALU_DEP_3)
	v_lshlrev_b64 v[0:1], 3, v[27:28]
	v_add_co_u32 v2, vcc_lo, v2, v27
	s_delay_alu instid0(VALU_DEP_3) | instskip(NEXT) | instid1(VALU_DEP_3)
	v_add_co_ci_u32_e32 v3, vcc_lo, 0, v3, vcc_lo
	v_add_co_u32 v0, vcc_lo, v6, v0
	s_delay_alu instid0(VALU_DEP_4)
	v_add_co_ci_u32_e32 v1, vcc_lo, v7, v1, vcc_lo
	flat_store_b8 v[2:3], v9
	flat_store_b64 v[0:1], v[4:5]
.LBB193_198:
	s_or_b32 exec_lo, exec_lo, s0
.LBB193_199:
	s_delay_alu instid0(SALU_CYCLE_1)
	s_or_b32 exec_lo, exec_lo, s24
	s_waitcnt lgkmcnt(0)
	s_setpc_b64 s[30:31]
.Lfunc_end193:
	.size	_ZN7rocprim17ROCPRIM_400000_NS6detail40segmented_radix_sort_single_block_helperIhlLj256ELj8ELb0EE4sortIPKhPhPKlPlEEbT_T0_T1_T2_jjjjRNS3_12storage_typeE, .Lfunc_end193-_ZN7rocprim17ROCPRIM_400000_NS6detail40segmented_radix_sort_single_block_helperIhlLj256ELj8ELb0EE4sortIPKhPhPKlPlEEbT_T0_T1_T2_jjjjRNS3_12storage_typeE
                                        ; -- End function
	.section	.AMDGPU.csdata,"",@progbits
; Function info:
; codeLenInByte = 16768
; NumSgprs: 34
; NumVgprs: 193
; ScratchSize: 0
; MemoryBound: 1
	.section	.text._ZN7rocprim17ROCPRIM_400000_NS6detail17trampoline_kernelINS0_14default_configENS1_36segmented_radix_sort_config_selectorIhlEEZNS1_25segmented_radix_sort_implIS3_Lb0EPKhPhPKlPlN2at6native12_GLOBAL__N_18offset_tEEE10hipError_tPvRmT1_PNSt15iterator_traitsISK_E10value_typeET2_T3_PNSL_ISQ_E10value_typeET4_jRbjT5_SW_jjP12ihipStream_tbEUlT_E_NS1_11comp_targetILNS1_3genE9ELNS1_11target_archE1100ELNS1_3gpuE3ELNS1_3repE0EEENS1_30default_config_static_selectorELNS0_4arch9wavefront6targetE0EEEvSK_,"axG",@progbits,_ZN7rocprim17ROCPRIM_400000_NS6detail17trampoline_kernelINS0_14default_configENS1_36segmented_radix_sort_config_selectorIhlEEZNS1_25segmented_radix_sort_implIS3_Lb0EPKhPhPKlPlN2at6native12_GLOBAL__N_18offset_tEEE10hipError_tPvRmT1_PNSt15iterator_traitsISK_E10value_typeET2_T3_PNSL_ISQ_E10value_typeET4_jRbjT5_SW_jjP12ihipStream_tbEUlT_E_NS1_11comp_targetILNS1_3genE9ELNS1_11target_archE1100ELNS1_3gpuE3ELNS1_3repE0EEENS1_30default_config_static_selectorELNS0_4arch9wavefront6targetE0EEEvSK_,comdat
	.globl	_ZN7rocprim17ROCPRIM_400000_NS6detail17trampoline_kernelINS0_14default_configENS1_36segmented_radix_sort_config_selectorIhlEEZNS1_25segmented_radix_sort_implIS3_Lb0EPKhPhPKlPlN2at6native12_GLOBAL__N_18offset_tEEE10hipError_tPvRmT1_PNSt15iterator_traitsISK_E10value_typeET2_T3_PNSL_ISQ_E10value_typeET4_jRbjT5_SW_jjP12ihipStream_tbEUlT_E_NS1_11comp_targetILNS1_3genE9ELNS1_11target_archE1100ELNS1_3gpuE3ELNS1_3repE0EEENS1_30default_config_static_selectorELNS0_4arch9wavefront6targetE0EEEvSK_ ; -- Begin function _ZN7rocprim17ROCPRIM_400000_NS6detail17trampoline_kernelINS0_14default_configENS1_36segmented_radix_sort_config_selectorIhlEEZNS1_25segmented_radix_sort_implIS3_Lb0EPKhPhPKlPlN2at6native12_GLOBAL__N_18offset_tEEE10hipError_tPvRmT1_PNSt15iterator_traitsISK_E10value_typeET2_T3_PNSL_ISQ_E10value_typeET4_jRbjT5_SW_jjP12ihipStream_tbEUlT_E_NS1_11comp_targetILNS1_3genE9ELNS1_11target_archE1100ELNS1_3gpuE3ELNS1_3repE0EEENS1_30default_config_static_selectorELNS0_4arch9wavefront6targetE0EEEvSK_
	.p2align	8
	.type	_ZN7rocprim17ROCPRIM_400000_NS6detail17trampoline_kernelINS0_14default_configENS1_36segmented_radix_sort_config_selectorIhlEEZNS1_25segmented_radix_sort_implIS3_Lb0EPKhPhPKlPlN2at6native12_GLOBAL__N_18offset_tEEE10hipError_tPvRmT1_PNSt15iterator_traitsISK_E10value_typeET2_T3_PNSL_ISQ_E10value_typeET4_jRbjT5_SW_jjP12ihipStream_tbEUlT_E_NS1_11comp_targetILNS1_3genE9ELNS1_11target_archE1100ELNS1_3gpuE3ELNS1_3repE0EEENS1_30default_config_static_selectorELNS0_4arch9wavefront6targetE0EEEvSK_,@function
_ZN7rocprim17ROCPRIM_400000_NS6detail17trampoline_kernelINS0_14default_configENS1_36segmented_radix_sort_config_selectorIhlEEZNS1_25segmented_radix_sort_implIS3_Lb0EPKhPhPKlPlN2at6native12_GLOBAL__N_18offset_tEEE10hipError_tPvRmT1_PNSt15iterator_traitsISK_E10value_typeET2_T3_PNSL_ISQ_E10value_typeET4_jRbjT5_SW_jjP12ihipStream_tbEUlT_E_NS1_11comp_targetILNS1_3genE9ELNS1_11target_archE1100ELNS1_3gpuE3ELNS1_3repE0EEENS1_30default_config_static_selectorELNS0_4arch9wavefront6targetE0EEEvSK_: ; @_ZN7rocprim17ROCPRIM_400000_NS6detail17trampoline_kernelINS0_14default_configENS1_36segmented_radix_sort_config_selectorIhlEEZNS1_25segmented_radix_sort_implIS3_Lb0EPKhPhPKlPlN2at6native12_GLOBAL__N_18offset_tEEE10hipError_tPvRmT1_PNSt15iterator_traitsISK_E10value_typeET2_T3_PNSL_ISQ_E10value_typeET4_jRbjT5_SW_jjP12ihipStream_tbEUlT_E_NS1_11comp_targetILNS1_3genE9ELNS1_11target_archE1100ELNS1_3gpuE3ELNS1_3repE0EEENS1_30default_config_static_selectorELNS0_4arch9wavefront6targetE0EEEvSK_
; %bb.0:
	s_clause 0x1
	s_load_b64 s[2:3], s[0:1], 0x38
	s_load_b128 s[4:7], s[0:1], 0x40
	s_mov_b32 s26, s14
	s_mov_b32 s27, 0
	s_mov_b32 s32, 0
	s_lshl_b64 s[8:9], s[26:27], 2
	s_waitcnt lgkmcnt(0)
	s_add_u32 s2, s2, s8
	s_addc_u32 s3, s3, s9
	s_load_b32 s2, s[2:3], 0x0
	s_waitcnt lgkmcnt(0)
	s_add_i32 s27, s2, s5
	s_add_i32 s33, s2, s7
	s_mul_i32 s27, s27, s4
	s_mul_i32 s33, s33, s6
	s_delay_alu instid0(SALU_CYCLE_1)
	s_cmp_le_u32 s33, s27
	s_cbranch_scc1 .LBB194_678
; %bb.1:
	s_clause 0x3
	s_load_b32 s2, s[0:1], 0x30
	s_load_b128 s[44:47], s[0:1], 0x20
	s_load_b128 s[48:51], s[0:1], 0x50
	s_load_b256 s[36:43], s[0:1], 0x0
	s_waitcnt lgkmcnt(0)
	s_bitcmp1_b32 s2, 0
	s_mov_b32 s2, -1
	s_cselect_b32 s34, -1, 0
	s_sub_i32 s35, s33, s27
	s_delay_alu instid0(SALU_CYCLE_1)
	s_cmpk_lt_u32 s35, 0x801
	s_cbranch_scc0 .LBB194_7
; %bb.2:
	v_cndmask_b32_e64 v1, 0, 1, s34
	s_and_b32 s2, s48, 1
	s_delay_alu instid0(VALU_DEP_1) | instid1(SALU_CYCLE_1)
	v_cmp_ne_u32_e32 vcc_lo, s2, v1
	s_mov_b32 s2, -1
	s_cbranch_vccnz .LBB194_4
; %bb.3:
	s_mov_b64 s[2:3], src_shared_base
	v_mov_b32_e32 v31, v0
	v_dual_mov_b32 v40, v0 :: v_dual_mov_b32 v1, s37
	v_mov_b32_e32 v0, s36
	v_dual_mov_b32 v2, s40 :: v_dual_mov_b32 v3, s41
	v_dual_mov_b32 v4, s42 :: v_dual_mov_b32 v5, s43
	;; [unrolled: 1-line block ×6, first 2 shown]
	s_add_u32 s8, s0, 0x60
	s_addc_u32 s9, s1, 0
	s_mov_b32 s12, s26
	s_mov_b32 s13, s15
	s_getpc_b64 s[4:5]
	s_add_u32 s4, s4, _ZN7rocprim17ROCPRIM_400000_NS6detail40segmented_radix_sort_single_block_helperIhlLj256ELj8ELb0EE4sortIPKhPhPKlPlEEbT_T0_T1_T2_jjjjRNS3_12storage_typeE@rel32@lo+4
	s_addc_u32 s5, s5, _ZN7rocprim17ROCPRIM_400000_NS6detail40segmented_radix_sort_single_block_helperIhlLj256ELj8ELb0EE4sortIPKhPhPKlPlEEbT_T0_T1_T2_jjjjRNS3_12storage_typeE@rel32@hi+12
	s_mov_b64 s[28:29], s[0:1]
	s_mov_b32 s48, s15
	s_swappc_b64 s[30:31], s[4:5]
	v_mov_b32_e32 v0, v40
	s_mov_b32 s15, s48
	s_mov_b64 s[0:1], s[28:29]
	s_mov_b32 s2, 0
.LBB194_4:
	s_delay_alu instid0(SALU_CYCLE_1)
	s_and_not1_b32 vcc_lo, exec_lo, s2
	s_cbranch_vccnz .LBB194_6
; %bb.5:
	s_mov_b64 s[2:3], src_shared_base
	v_mov_b32_e32 v31, v0
	v_dual_mov_b32 v40, v0 :: v_dual_mov_b32 v1, s37
	v_mov_b32_e32 v0, s36
	v_dual_mov_b32 v2, s38 :: v_dual_mov_b32 v3, s39
	v_dual_mov_b32 v4, s42 :: v_dual_mov_b32 v5, s43
	;; [unrolled: 1-line block ×6, first 2 shown]
	s_add_u32 s8, s0, 0x60
	s_addc_u32 s9, s1, 0
	s_mov_b32 s12, s26
	s_mov_b32 s13, s15
	s_getpc_b64 s[4:5]
	s_add_u32 s4, s4, _ZN7rocprim17ROCPRIM_400000_NS6detail40segmented_radix_sort_single_block_helperIhlLj256ELj8ELb0EE4sortIPKhPhPKlPlEEbT_T0_T1_T2_jjjjRNS3_12storage_typeE@rel32@lo+4
	s_addc_u32 s5, s5, _ZN7rocprim17ROCPRIM_400000_NS6detail40segmented_radix_sort_single_block_helperIhlLj256ELj8ELb0EE4sortIPKhPhPKlPlEEbT_T0_T1_T2_jjjjRNS3_12storage_typeE@rel32@hi+12
	s_mov_b64 s[28:29], s[0:1]
	s_mov_b32 s48, s15
	s_swappc_b64 s[30:31], s[4:5]
	v_mov_b32_e32 v0, v40
	s_mov_b32 s15, s48
	s_mov_b64 s[0:1], s[28:29]
.LBB194_6:
	s_mov_b32 s2, 0
.LBB194_7:
	s_delay_alu instid0(SALU_CYCLE_1)
	s_and_not1_b32 vcc_lo, exec_lo, s2
	s_cbranch_vccnz .LBB194_678
; %bb.8:
	s_cmp_ge_u32 s49, s50
	s_cbranch_scc1 .LBB194_678
; %bb.9:
	v_dual_mov_b32 v66, 1 :: v_dual_and_b32 v1, 0x3ff, v0
	v_mov_b32_e32 v3, 0
	v_mbcnt_lo_u32_b32 v63, -1, 0
	v_bfe_u32 v45, v0, 20, 10
	s_delay_alu instid0(VALU_DEP_4) | instskip(SKIP_4) | instid1(VALU_DEP_4)
	v_lshlrev_b32_e32 v28, 2, v1
	v_lshrrev_b32_e32 v2, 3, v1
	v_or_b32_e32 v4, 31, v1
	v_lshlrev_b32_e32 v5, 5, v1
	v_add_co_u32 v33, s2, s40, v1
	v_and_b32_e32 v38, 28, v2
	v_lshlrev_b32_e32 v2, 3, v1
	v_cmp_eq_u32_e64 s3, v4, v1
	v_add_nc_u32_e32 v4, 1, v1
	v_sub_nc_u32_e32 v48, 0, v5
	v_mad_u32_u24 v40, v1, 12, v28
	v_and_b32_e32 v44, 0x700, v2
	v_mul_u32_u24_e32 v2, 9, v1
	v_cmp_ne_u32_e64 s7, 0x100, v4
	v_or_b32_e32 v29, 0x100, v1
	v_or_b32_e32 v30, 0x200, v1
	v_lshlrev_b32_e32 v5, 3, v44
	v_lshl_add_u32 v47, v2, 2, 0x420
	v_mul_u32_u24_e32 v2, 9, v4
	v_or_b32_e32 v31, 0x300, v1
	v_and_b32_e32 v32, 3, v1
	v_add_co_u32 v50, s8, s46, v5
	s_delay_alu instid0(VALU_DEP_4) | instskip(SKIP_2) | instid1(VALU_DEP_1)
	v_lshlrev_b32_e32 v49, 2, v2
	v_add_co_ci_u32_e64 v51, null, s47, 0, s8
	v_add_co_u32 v2, s8, s40, v44
	v_add_co_ci_u32_e64 v4, null, s41, 0, s8
	v_add_co_u32 v53, s8, s38, v1
	s_delay_alu instid0(VALU_DEP_1) | instskip(SKIP_1) | instid1(VALU_DEP_1)
	v_add_co_ci_u32_e64 v54, null, s39, 0, s8
	v_add_co_u32 v55, s8, s44, v5
	v_add_co_ci_u32_e64 v56, null, s45, 0, s8
	v_add_co_u32 v57, s8, s38, v44
	s_delay_alu instid0(VALU_DEP_1) | instskip(SKIP_1) | instid1(VALU_DEP_1)
	v_add_co_ci_u32_e64 v58, null, s39, 0, s8
	v_add_co_u32 v59, s8, s36, v1
	v_add_co_ci_u32_e64 v60, null, s37, 0, s8
	v_add_co_u32 v61, s8, s42, v5
	s_delay_alu instid0(VALU_DEP_1)
	v_add_co_ci_u32_e64 v62, null, s43, 0, s8
	v_add_co_u32 v64, s8, s36, v44
	v_add_co_u32 v67, vcc_lo, v2, v63
	v_add_co_ci_u32_e64 v34, null, s41, 0, s2
	v_or_b32_e32 v35, 0x400, v1
	v_or_b32_e32 v36, 0x500, v1
	;; [unrolled: 1-line block ×4, first 2 shown]
	v_cmp_gt_u32_e64 s2, 0x100, v1
	v_or_b32_e32 v41, 0x4400, v38
	v_cmp_gt_u32_e64 s4, 8, v1
	v_add_nc_u32_e32 v42, 0x4400, v28
	v_cmp_lt_u32_e64 s5, 31, v1
	v_add_nc_u32_e32 v43, 0x43fc, v38
	v_bfe_u32 v0, v0, 10, 10
	v_mad_u32_u24 v46, v1, 20, v40
	v_cmp_eq_u32_e64 s6, 0, v1
	v_mul_u32_u24_e32 v52, 7, v1
	v_add_co_ci_u32_e64 v65, null, s37, 0, s8
	v_add_co_ci_u32_e32 v68, vcc_lo, 0, v4, vcc_lo
	s_add_u32 s28, s0, 0x60
	s_mov_b32 s25, 0
	s_addc_u32 s29, s1, 0
	s_mov_b32 s30, s49
	s_branch .LBB194_12
.LBB194_10:                             ;   in Loop: Header=BB194_12 Depth=1
	s_waitcnt lgkmcnt(0)
	s_barrier
.LBB194_11:                             ;   in Loop: Header=BB194_12 Depth=1
	s_add_i32 s30, s30, 8
	buffer_gl0_inv
	s_cmp_ge_u32 s30, s50
	s_cbranch_scc1 .LBB194_678
.LBB194_12:                             ; =>This Loop Header: Depth=1
                                        ;     Child Loop BB194_16 Depth 2
                                        ;     Child Loop BB194_66 Depth 2
	;; [unrolled: 1-line block ×8, first 2 shown]
	s_sub_i32 s0, s50, s30
	s_xor_b32 s34, s34, -1
	s_min_u32 s0, s0, 8
	ds_store_2addr_stride64_b32 v28, v3, v3 offset1:4
	s_lshl_b32 s0, -1, s0
	ds_store_2addr_stride64_b32 v28, v3, v3 offset0:8 offset1:12
	s_not_b32 s31, s0
	s_cmp_lg_u32 s30, s49
	s_mov_b32 s0, -1
	s_waitcnt lgkmcnt(0)
	s_waitcnt_vscnt null, 0x0
	s_cbranch_scc0 .LBB194_346
; %bb.13:                               ;   in Loop: Header=BB194_12 Depth=1
	s_and_b32 vcc_lo, exec_lo, s34
	s_cbranch_vccz .LBB194_179
; %bb.14:                               ;   in Loop: Header=BB194_12 Depth=1
	s_mov_b32 s0, s35
	s_mov_b32 s9, s27
	s_barrier
	buffer_gl0_inv
                                        ; implicit-def: $vgpr2
                                        ; implicit-def: $vgpr6
                                        ; implicit-def: $vgpr7
                                        ; implicit-def: $vgpr8
                                        ; implicit-def: $vgpr9
                                        ; implicit-def: $vgpr10
                                        ; implicit-def: $vgpr11
                                        ; implicit-def: $vgpr12
	s_branch .LBB194_16
.LBB194_15:                             ;   in Loop: Header=BB194_16 Depth=2
	s_or_b32 exec_lo, exec_lo, s8
	s_addk_i32 s0, 0xf800
	s_cmp_ge_u32 s1, s33
	s_mov_b32 s9, s1
	s_cbranch_scc1 .LBB194_54
.LBB194_16:                             ;   Parent Loop BB194_12 Depth=1
                                        ; =>  This Inner Loop Header: Depth=2
	s_add_i32 s1, s9, 0x800
	s_delay_alu instid0(SALU_CYCLE_1)
	s_cmp_gt_u32 s1, s33
	s_cbranch_scc1 .LBB194_19
; %bb.17:                               ;   in Loop: Header=BB194_16 Depth=2
	v_add_co_u32 v4, vcc_lo, v33, s9
	v_add_co_ci_u32_e32 v5, vcc_lo, 0, v34, vcc_lo
	s_mov_b32 s8, -1
	s_movk_i32 s12, 0x800
	s_clause 0x6
	global_load_u8 v20, v[4:5], off offset:1536
	global_load_u8 v19, v[4:5], off offset:1280
	;; [unrolled: 1-line block ×6, first 2 shown]
	global_load_u8 v14, v[4:5], off
	v_add_co_u32 v4, vcc_lo, 0x700, v4
	v_add_co_ci_u32_e32 v5, vcc_lo, 0, v5, vcc_lo
	s_cbranch_execz .LBB194_20
; %bb.18:                               ;   in Loop: Header=BB194_16 Depth=2
                                        ; implicit-def: $vgpr2
                                        ; implicit-def: $vgpr6
                                        ; implicit-def: $vgpr7
                                        ; implicit-def: $vgpr8
                                        ; implicit-def: $vgpr9
                                        ; implicit-def: $vgpr10
                                        ; implicit-def: $vgpr11
                                        ; implicit-def: $vgpr12
	v_mov_b32_e32 v13, s0
	s_and_saveexec_b32 s9, s8
	s_cbranch_execnz .LBB194_31
	s_branch .LBB194_32
.LBB194_19:                             ;   in Loop: Header=BB194_16 Depth=2
	s_mov_b32 s8, 0
                                        ; implicit-def: $sgpr12
                                        ; implicit-def: $vgpr14
                                        ; implicit-def: $vgpr15
                                        ; implicit-def: $vgpr16
                                        ; implicit-def: $vgpr17
                                        ; implicit-def: $vgpr18
                                        ; implicit-def: $vgpr19
                                        ; implicit-def: $vgpr20
                                        ; implicit-def: $vgpr4_vgpr5
.LBB194_20:                             ;   in Loop: Header=BB194_16 Depth=2
	s_add_u32 s10, s40, s9
	s_addc_u32 s11, s41, 0
	s_mov_b32 s12, exec_lo
	v_cmpx_gt_u32_e64 s0, v1
	s_cbranch_execz .LBB194_48
; %bb.21:                               ;   in Loop: Header=BB194_16 Depth=2
	v_add_co_u32 v4, s13, s10, v1
	s_delay_alu instid0(VALU_DEP_1) | instskip(SKIP_2) | instid1(SALU_CYCLE_1)
	v_add_co_ci_u32_e64 v5, null, s11, 0, s13
	global_load_u8 v2, v[4:5], off
	s_or_b32 exec_lo, exec_lo, s12
	s_mov_b32 s12, exec_lo
	v_cmpx_gt_u32_e64 s0, v29
	s_cbranch_execnz .LBB194_49
.LBB194_22:                             ;   in Loop: Header=BB194_16 Depth=2
	s_or_b32 exec_lo, exec_lo, s12
	s_delay_alu instid0(SALU_CYCLE_1)
	s_mov_b32 s12, exec_lo
	v_cmpx_gt_u32_e64 s0, v30
	s_cbranch_execz .LBB194_50
.LBB194_23:                             ;   in Loop: Header=BB194_16 Depth=2
	v_add_co_u32 v4, s13, s10, v1
	s_delay_alu instid0(VALU_DEP_1) | instskip(SKIP_2) | instid1(SALU_CYCLE_1)
	v_add_co_ci_u32_e64 v5, null, s11, 0, s13
	global_load_u8 v7, v[4:5], off offset:512
	s_or_b32 exec_lo, exec_lo, s12
	s_mov_b32 s12, exec_lo
	v_cmpx_gt_u32_e64 s0, v31
	s_cbranch_execnz .LBB194_51
.LBB194_24:                             ;   in Loop: Header=BB194_16 Depth=2
	s_or_b32 exec_lo, exec_lo, s12
	s_delay_alu instid0(SALU_CYCLE_1)
	s_mov_b32 s12, exec_lo
	v_cmpx_gt_u32_e64 s0, v35
	s_cbranch_execz .LBB194_52
.LBB194_25:                             ;   in Loop: Header=BB194_16 Depth=2
	v_add_co_u32 v4, s13, s10, v1
	s_delay_alu instid0(VALU_DEP_1) | instskip(SKIP_2) | instid1(SALU_CYCLE_1)
	v_add_co_ci_u32_e64 v5, null, s11, 0, s13
	global_load_u8 v9, v[4:5], off offset:1024
	s_or_b32 exec_lo, exec_lo, s12
	s_mov_b32 s12, exec_lo
	v_cmpx_gt_u32_e64 s0, v36
	s_cbranch_execnz .LBB194_53
.LBB194_26:                             ;   in Loop: Header=BB194_16 Depth=2
	s_or_b32 exec_lo, exec_lo, s12
	s_delay_alu instid0(SALU_CYCLE_1)
	s_mov_b32 s12, exec_lo
	v_cmpx_gt_u32_e64 s0, v37
	s_cbranch_execz .LBB194_28
.LBB194_27:                             ;   in Loop: Header=BB194_16 Depth=2
	v_add_co_u32 v4, s13, s10, v1
	s_delay_alu instid0(VALU_DEP_1)
	v_add_co_ci_u32_e64 v5, null, s11, 0, s13
	global_load_u8 v11, v[4:5], off offset:1536
.LBB194_28:                             ;   in Loop: Header=BB194_16 Depth=2
	s_or_b32 exec_lo, exec_lo, s12
	s_delay_alu instid0(SALU_CYCLE_1)
	s_mov_b32 s13, exec_lo
                                        ; implicit-def: $sgpr12
                                        ; implicit-def: $vgpr4_vgpr5
	v_cmpx_gt_u32_e64 s0, v39
; %bb.29:                               ;   in Loop: Header=BB194_16 Depth=2
	v_add_co_u32 v4, s10, s10, v1
	s_delay_alu instid0(VALU_DEP_1) | instskip(SKIP_1) | instid1(VALU_DEP_2)
	v_add_co_ci_u32_e64 v5, null, s11, 0, s10
	s_sub_i32 s12, s33, s9
	v_add_co_u32 v4, vcc_lo, 0x700, v4
	s_delay_alu instid0(VALU_DEP_2)
	v_add_co_ci_u32_e32 v5, vcc_lo, 0, v5, vcc_lo
	s_or_b32 s8, s8, exec_lo
                                        ; implicit-def: $vgpr12
; %bb.30:                               ;   in Loop: Header=BB194_16 Depth=2
	s_or_b32 exec_lo, exec_lo, s13
	s_waitcnt vmcnt(0)
	v_dual_mov_b32 v14, v2 :: v_dual_mov_b32 v17, v8
	v_dual_mov_b32 v15, v6 :: v_dual_mov_b32 v16, v7
	;; [unrolled: 1-line block ×4, first 2 shown]
	s_and_saveexec_b32 s9, s8
	s_cbranch_execz .LBB194_32
.LBB194_31:                             ;   in Loop: Header=BB194_16 Depth=2
	global_load_u8 v12, v[4:5], off
	s_waitcnt vmcnt(1)
	v_dual_mov_b32 v13, s12 :: v_dual_mov_b32 v2, v14
	v_dual_mov_b32 v6, v15 :: v_dual_mov_b32 v7, v16
	;; [unrolled: 1-line block ×4, first 2 shown]
.LBB194_32:                             ;   in Loop: Header=BB194_16 Depth=2
	s_or_b32 exec_lo, exec_lo, s9
	s_delay_alu instid0(SALU_CYCLE_1)
	s_mov_b32 s8, exec_lo
	v_cmpx_lt_u32_e64 v1, v13
	s_cbranch_execz .LBB194_40
; %bb.33:                               ;   in Loop: Header=BB194_16 Depth=2
	v_and_b32_e32 v4, 0xff, v2
	v_lshlrev_b32_e32 v5, 2, v32
	s_delay_alu instid0(VALU_DEP_2) | instskip(NEXT) | instid1(VALU_DEP_1)
	v_lshrrev_b32_e32 v4, s30, v4
	v_and_b32_e32 v4, s31, v4
	s_delay_alu instid0(VALU_DEP_1) | instskip(SKIP_2) | instid1(SALU_CYCLE_1)
	v_lshl_or_b32 v4, v4, 4, v5
	ds_add_u32 v4, v66
	s_or_b32 exec_lo, exec_lo, s8
	s_mov_b32 s8, exec_lo
	v_cmpx_lt_u32_e64 v29, v13
	s_cbranch_execnz .LBB194_41
.LBB194_34:                             ;   in Loop: Header=BB194_16 Depth=2
	s_or_b32 exec_lo, exec_lo, s8
	s_delay_alu instid0(SALU_CYCLE_1)
	s_mov_b32 s8, exec_lo
	v_cmpx_lt_u32_e64 v30, v13
	s_cbranch_execz .LBB194_42
.LBB194_35:                             ;   in Loop: Header=BB194_16 Depth=2
	v_and_b32_e32 v4, 0xff, v7
	v_lshlrev_b32_e32 v5, 2, v32
	s_delay_alu instid0(VALU_DEP_2) | instskip(NEXT) | instid1(VALU_DEP_1)
	v_lshrrev_b32_e32 v4, s30, v4
	v_and_b32_e32 v4, s31, v4
	s_delay_alu instid0(VALU_DEP_1) | instskip(SKIP_2) | instid1(SALU_CYCLE_1)
	v_lshl_or_b32 v4, v4, 4, v5
	ds_add_u32 v4, v66
	s_or_b32 exec_lo, exec_lo, s8
	s_mov_b32 s8, exec_lo
	v_cmpx_lt_u32_e64 v31, v13
	s_cbranch_execnz .LBB194_43
.LBB194_36:                             ;   in Loop: Header=BB194_16 Depth=2
	s_or_b32 exec_lo, exec_lo, s8
	s_delay_alu instid0(SALU_CYCLE_1)
	s_mov_b32 s8, exec_lo
	v_cmpx_lt_u32_e64 v35, v13
	s_cbranch_execz .LBB194_44
.LBB194_37:                             ;   in Loop: Header=BB194_16 Depth=2
	v_and_b32_e32 v4, 0xff, v9
	v_lshlrev_b32_e32 v5, 2, v32
	s_delay_alu instid0(VALU_DEP_2) | instskip(NEXT) | instid1(VALU_DEP_1)
	v_lshrrev_b32_e32 v4, s30, v4
	v_and_b32_e32 v4, s31, v4
	s_delay_alu instid0(VALU_DEP_1) | instskip(SKIP_2) | instid1(SALU_CYCLE_1)
	v_lshl_or_b32 v4, v4, 4, v5
	ds_add_u32 v4, v66
	s_or_b32 exec_lo, exec_lo, s8
	s_mov_b32 s8, exec_lo
	v_cmpx_lt_u32_e64 v36, v13
	s_cbranch_execnz .LBB194_45
.LBB194_38:                             ;   in Loop: Header=BB194_16 Depth=2
	s_or_b32 exec_lo, exec_lo, s8
	s_delay_alu instid0(SALU_CYCLE_1)
	s_mov_b32 s8, exec_lo
	v_cmpx_lt_u32_e64 v37, v13
	s_cbranch_execz .LBB194_46
.LBB194_39:                             ;   in Loop: Header=BB194_16 Depth=2
	v_and_b32_e32 v4, 0xff, v11
	v_lshlrev_b32_e32 v5, 2, v32
	s_delay_alu instid0(VALU_DEP_2) | instskip(NEXT) | instid1(VALU_DEP_1)
	v_lshrrev_b32_e32 v4, s30, v4
	v_and_b32_e32 v4, s31, v4
	s_delay_alu instid0(VALU_DEP_1) | instskip(SKIP_2) | instid1(SALU_CYCLE_1)
	v_lshl_or_b32 v4, v4, 4, v5
	ds_add_u32 v4, v66
	s_or_b32 exec_lo, exec_lo, s8
	s_mov_b32 s8, exec_lo
	v_cmpx_lt_u32_e64 v39, v13
	s_cbranch_execz .LBB194_15
	s_branch .LBB194_47
.LBB194_40:                             ;   in Loop: Header=BB194_16 Depth=2
	s_or_b32 exec_lo, exec_lo, s8
	s_delay_alu instid0(SALU_CYCLE_1)
	s_mov_b32 s8, exec_lo
	v_cmpx_lt_u32_e64 v29, v13
	s_cbranch_execz .LBB194_34
.LBB194_41:                             ;   in Loop: Header=BB194_16 Depth=2
	v_and_b32_e32 v4, 0xff, v6
	v_lshlrev_b32_e32 v5, 2, v32
	s_delay_alu instid0(VALU_DEP_2) | instskip(NEXT) | instid1(VALU_DEP_1)
	v_lshrrev_b32_e32 v4, s30, v4
	v_and_b32_e32 v4, s31, v4
	s_delay_alu instid0(VALU_DEP_1) | instskip(SKIP_2) | instid1(SALU_CYCLE_1)
	v_lshl_or_b32 v4, v4, 4, v5
	ds_add_u32 v4, v66
	s_or_b32 exec_lo, exec_lo, s8
	s_mov_b32 s8, exec_lo
	v_cmpx_lt_u32_e64 v30, v13
	s_cbranch_execnz .LBB194_35
.LBB194_42:                             ;   in Loop: Header=BB194_16 Depth=2
	s_or_b32 exec_lo, exec_lo, s8
	s_delay_alu instid0(SALU_CYCLE_1)
	s_mov_b32 s8, exec_lo
	v_cmpx_lt_u32_e64 v31, v13
	s_cbranch_execz .LBB194_36
.LBB194_43:                             ;   in Loop: Header=BB194_16 Depth=2
	v_and_b32_e32 v4, 0xff, v8
	v_lshlrev_b32_e32 v5, 2, v32
	s_delay_alu instid0(VALU_DEP_2) | instskip(NEXT) | instid1(VALU_DEP_1)
	v_lshrrev_b32_e32 v4, s30, v4
	v_and_b32_e32 v4, s31, v4
	s_delay_alu instid0(VALU_DEP_1) | instskip(SKIP_2) | instid1(SALU_CYCLE_1)
	v_lshl_or_b32 v4, v4, 4, v5
	ds_add_u32 v4, v66
	s_or_b32 exec_lo, exec_lo, s8
	s_mov_b32 s8, exec_lo
	v_cmpx_lt_u32_e64 v35, v13
	s_cbranch_execnz .LBB194_37
.LBB194_44:                             ;   in Loop: Header=BB194_16 Depth=2
	s_or_b32 exec_lo, exec_lo, s8
	s_delay_alu instid0(SALU_CYCLE_1)
	s_mov_b32 s8, exec_lo
	v_cmpx_lt_u32_e64 v36, v13
	s_cbranch_execz .LBB194_38
.LBB194_45:                             ;   in Loop: Header=BB194_16 Depth=2
	v_and_b32_e32 v4, 0xff, v10
	v_lshlrev_b32_e32 v5, 2, v32
	s_delay_alu instid0(VALU_DEP_2) | instskip(NEXT) | instid1(VALU_DEP_1)
	v_lshrrev_b32_e32 v4, s30, v4
	v_and_b32_e32 v4, s31, v4
	s_delay_alu instid0(VALU_DEP_1) | instskip(SKIP_2) | instid1(SALU_CYCLE_1)
	v_lshl_or_b32 v4, v4, 4, v5
	ds_add_u32 v4, v66
	s_or_b32 exec_lo, exec_lo, s8
	s_mov_b32 s8, exec_lo
	v_cmpx_lt_u32_e64 v37, v13
	s_cbranch_execnz .LBB194_39
.LBB194_46:                             ;   in Loop: Header=BB194_16 Depth=2
	s_or_b32 exec_lo, exec_lo, s8
	s_delay_alu instid0(SALU_CYCLE_1)
	s_mov_b32 s8, exec_lo
	v_cmpx_lt_u32_e64 v39, v13
	s_cbranch_execz .LBB194_15
.LBB194_47:                             ;   in Loop: Header=BB194_16 Depth=2
	s_waitcnt vmcnt(0)
	v_and_b32_e32 v4, 0xff, v12
	v_lshlrev_b32_e32 v5, 2, v32
	s_delay_alu instid0(VALU_DEP_2) | instskip(NEXT) | instid1(VALU_DEP_1)
	v_lshrrev_b32_e32 v4, s30, v4
	v_and_b32_e32 v4, s31, v4
	s_delay_alu instid0(VALU_DEP_1)
	v_lshl_or_b32 v4, v4, 4, v5
	ds_add_u32 v4, v66
	s_branch .LBB194_15
.LBB194_48:                             ;   in Loop: Header=BB194_16 Depth=2
	s_or_b32 exec_lo, exec_lo, s12
	s_delay_alu instid0(SALU_CYCLE_1)
	s_mov_b32 s12, exec_lo
	v_cmpx_gt_u32_e64 s0, v29
	s_cbranch_execz .LBB194_22
.LBB194_49:                             ;   in Loop: Header=BB194_16 Depth=2
	v_add_co_u32 v4, s13, s10, v1
	s_delay_alu instid0(VALU_DEP_1) | instskip(SKIP_2) | instid1(SALU_CYCLE_1)
	v_add_co_ci_u32_e64 v5, null, s11, 0, s13
	global_load_u8 v6, v[4:5], off offset:256
	s_or_b32 exec_lo, exec_lo, s12
	s_mov_b32 s12, exec_lo
	v_cmpx_gt_u32_e64 s0, v30
	s_cbranch_execnz .LBB194_23
.LBB194_50:                             ;   in Loop: Header=BB194_16 Depth=2
	s_or_b32 exec_lo, exec_lo, s12
	s_delay_alu instid0(SALU_CYCLE_1)
	s_mov_b32 s12, exec_lo
	v_cmpx_gt_u32_e64 s0, v31
	s_cbranch_execz .LBB194_24
.LBB194_51:                             ;   in Loop: Header=BB194_16 Depth=2
	v_add_co_u32 v4, s13, s10, v1
	s_delay_alu instid0(VALU_DEP_1) | instskip(SKIP_2) | instid1(SALU_CYCLE_1)
	v_add_co_ci_u32_e64 v5, null, s11, 0, s13
	global_load_u8 v8, v[4:5], off offset:768
	s_or_b32 exec_lo, exec_lo, s12
	s_mov_b32 s12, exec_lo
	v_cmpx_gt_u32_e64 s0, v35
	s_cbranch_execnz .LBB194_25
.LBB194_52:                             ;   in Loop: Header=BB194_16 Depth=2
	s_or_b32 exec_lo, exec_lo, s12
	s_delay_alu instid0(SALU_CYCLE_1)
	s_mov_b32 s12, exec_lo
	v_cmpx_gt_u32_e64 s0, v36
	s_cbranch_execz .LBB194_26
.LBB194_53:                             ;   in Loop: Header=BB194_16 Depth=2
	v_add_co_u32 v4, s13, s10, v1
	s_delay_alu instid0(VALU_DEP_1) | instskip(SKIP_2) | instid1(SALU_CYCLE_1)
	v_add_co_ci_u32_e64 v5, null, s11, 0, s13
	global_load_u8 v10, v[4:5], off offset:1280
	s_or_b32 exec_lo, exec_lo, s12
	s_mov_b32 s12, exec_lo
	v_cmpx_gt_u32_e64 s0, v37
	s_cbranch_execz .LBB194_28
	s_branch .LBB194_27
.LBB194_54:                             ;   in Loop: Header=BB194_12 Depth=1
	v_mov_b32_e32 v2, 0
	s_waitcnt vmcnt(0) lgkmcnt(0)
	s_barrier
	buffer_gl0_inv
	s_and_saveexec_b32 s0, s2
	s_cbranch_execz .LBB194_56
; %bb.55:                               ;   in Loop: Header=BB194_12 Depth=1
	ds_load_2addr_b64 v[4:7], v40 offset1:1
	s_waitcnt lgkmcnt(0)
	v_add_nc_u32_e32 v2, v5, v4
	s_delay_alu instid0(VALU_DEP_1)
	v_add3_u32 v2, v2, v6, v7
.LBB194_56:                             ;   in Loop: Header=BB194_12 Depth=1
	s_or_b32 exec_lo, exec_lo, s0
	v_and_b32_e32 v4, 15, v63
	s_delay_alu instid0(VALU_DEP_2) | instskip(SKIP_1) | instid1(VALU_DEP_3)
	v_mov_b32_dpp v5, v2 row_shr:1 row_mask:0xf bank_mask:0xf
	v_and_b32_e32 v6, 16, v63
	v_cmp_eq_u32_e64 s0, 0, v4
	v_cmp_lt_u32_e64 s1, 1, v4
	v_cmp_lt_u32_e64 s8, 3, v4
	;; [unrolled: 1-line block ×3, first 2 shown]
	v_cmp_eq_u32_e64 s10, 0, v6
	v_cndmask_b32_e64 v5, v5, 0, s0
	s_delay_alu instid0(VALU_DEP_1) | instskip(NEXT) | instid1(VALU_DEP_1)
	v_add_nc_u32_e32 v2, v5, v2
	v_mov_b32_dpp v5, v2 row_shr:2 row_mask:0xf bank_mask:0xf
	s_delay_alu instid0(VALU_DEP_1) | instskip(NEXT) | instid1(VALU_DEP_1)
	v_cndmask_b32_e64 v5, 0, v5, s1
	v_add_nc_u32_e32 v2, v2, v5
	s_delay_alu instid0(VALU_DEP_1) | instskip(NEXT) | instid1(VALU_DEP_1)
	v_mov_b32_dpp v5, v2 row_shr:4 row_mask:0xf bank_mask:0xf
	v_cndmask_b32_e64 v5, 0, v5, s8
	s_delay_alu instid0(VALU_DEP_1) | instskip(NEXT) | instid1(VALU_DEP_1)
	v_add_nc_u32_e32 v2, v2, v5
	v_mov_b32_dpp v5, v2 row_shr:8 row_mask:0xf bank_mask:0xf
	s_delay_alu instid0(VALU_DEP_1) | instskip(SKIP_1) | instid1(VALU_DEP_2)
	v_cndmask_b32_e64 v4, 0, v5, s9
	v_bfe_i32 v5, v63, 4, 1
	v_add_nc_u32_e32 v2, v2, v4
	ds_swizzle_b32 v4, v2 offset:swizzle(BROADCAST,32,15)
	s_waitcnt lgkmcnt(0)
	v_and_b32_e32 v4, v5, v4
	s_delay_alu instid0(VALU_DEP_1)
	v_add_nc_u32_e32 v4, v2, v4
	s_and_saveexec_b32 s11, s3
	s_cbranch_execz .LBB194_58
; %bb.57:                               ;   in Loop: Header=BB194_12 Depth=1
	ds_store_b32 v41, v4
.LBB194_58:                             ;   in Loop: Header=BB194_12 Depth=1
	s_or_b32 exec_lo, exec_lo, s11
	v_and_b32_e32 v2, 7, v63
	s_waitcnt lgkmcnt(0)
	s_barrier
	buffer_gl0_inv
	s_and_saveexec_b32 s11, s4
	s_cbranch_execz .LBB194_60
; %bb.59:                               ;   in Loop: Header=BB194_12 Depth=1
	ds_load_b32 v5, v42
	v_cmp_ne_u32_e32 vcc_lo, 0, v2
	s_waitcnt lgkmcnt(0)
	v_mov_b32_dpp v6, v5 row_shr:1 row_mask:0xf bank_mask:0xf
	s_delay_alu instid0(VALU_DEP_1) | instskip(SKIP_1) | instid1(VALU_DEP_2)
	v_cndmask_b32_e32 v6, 0, v6, vcc_lo
	v_cmp_lt_u32_e32 vcc_lo, 1, v2
	v_add_nc_u32_e32 v5, v6, v5
	s_delay_alu instid0(VALU_DEP_1) | instskip(NEXT) | instid1(VALU_DEP_1)
	v_mov_b32_dpp v6, v5 row_shr:2 row_mask:0xf bank_mask:0xf
	v_cndmask_b32_e32 v6, 0, v6, vcc_lo
	v_cmp_lt_u32_e32 vcc_lo, 3, v2
	s_delay_alu instid0(VALU_DEP_2) | instskip(NEXT) | instid1(VALU_DEP_1)
	v_add_nc_u32_e32 v5, v5, v6
	v_mov_b32_dpp v6, v5 row_shr:4 row_mask:0xf bank_mask:0xf
	s_delay_alu instid0(VALU_DEP_1) | instskip(NEXT) | instid1(VALU_DEP_1)
	v_cndmask_b32_e32 v6, 0, v6, vcc_lo
	v_add_nc_u32_e32 v5, v5, v6
	ds_store_b32 v42, v5
.LBB194_60:                             ;   in Loop: Header=BB194_12 Depth=1
	s_or_b32 exec_lo, exec_lo, s11
	v_mov_b32_e32 v5, 0
	s_waitcnt lgkmcnt(0)
	s_barrier
	buffer_gl0_inv
	s_and_saveexec_b32 s11, s5
	s_cbranch_execz .LBB194_62
; %bb.61:                               ;   in Loop: Header=BB194_12 Depth=1
	ds_load_b32 v5, v43
.LBB194_62:                             ;   in Loop: Header=BB194_12 Depth=1
	s_or_b32 exec_lo, exec_lo, s11
	v_add_nc_u32_e32 v6, -1, v63
	s_waitcnt lgkmcnt(0)
	v_add_nc_u32_e32 v4, v5, v4
	v_cmp_eq_u32_e64 s11, 0, v63
	s_barrier
	v_cmp_gt_i32_e32 vcc_lo, 0, v6
	buffer_gl0_inv
	v_cndmask_b32_e32 v6, v6, v63, vcc_lo
	s_delay_alu instid0(VALU_DEP_1)
	v_lshlrev_b32_e32 v69, 2, v6
	ds_bpermute_b32 v4, v69, v4
	s_and_saveexec_b32 s12, s2
	s_cbranch_execz .LBB194_64
; %bb.63:                               ;   in Loop: Header=BB194_12 Depth=1
	s_waitcnt lgkmcnt(0)
	v_cndmask_b32_e64 v4, v4, v5, s11
	s_delay_alu instid0(VALU_DEP_1)
	v_add_nc_u32_e32 v4, s27, v4
	ds_store_b32 v28, v4
.LBB194_64:                             ;   in Loop: Header=BB194_12 Depth=1
	s_or_b32 exec_lo, exec_lo, s12
	s_clause 0x1
	s_load_b32 s12, s[28:29], 0x4
	s_load_b32 s16, s[28:29], 0xc
	v_lshlrev_b32_e32 v5, 3, v63
	v_cmp_lt_u32_e64 s14, 3, v2
	v_or_b32_e32 v70, v63, v44
	s_mov_b32 s42, s35
	s_mov_b32 s24, s27
	v_add_co_u32 v71, vcc_lo, v50, v5
	v_add_co_ci_u32_e32 v72, vcc_lo, 0, v51, vcc_lo
	v_add_co_u32 v81, vcc_lo, 0xe0, v67
	v_or_b32_e32 v73, 32, v70
	v_or_b32_e32 v74, 64, v70
	;; [unrolled: 1-line block ×7, first 2 shown]
	s_waitcnt lgkmcnt(0)
	s_cmp_lt_u32 s15, s12
	v_add_co_ci_u32_e32 v82, vcc_lo, 0, v68, vcc_lo
	s_cselect_b32 s12, 14, 20
                                        ; implicit-def: $vgpr6_vgpr7
                                        ; implicit-def: $vgpr8_vgpr9
                                        ; implicit-def: $vgpr10_vgpr11
                                        ; implicit-def: $vgpr12_vgpr13
                                        ; implicit-def: $vgpr14_vgpr15
                                        ; implicit-def: $vgpr16_vgpr17
                                        ; implicit-def: $vgpr18_vgpr19
                                        ; implicit-def: $vgpr83
                                        ; implicit-def: $vgpr84
                                        ; implicit-def: $vgpr85
                                        ; implicit-def: $vgpr86
                                        ; implicit-def: $vgpr87
                                        ; implicit-def: $vgpr88
                                        ; implicit-def: $vgpr89
                                        ; implicit-def: $vgpr90
	s_delay_alu instid0(SALU_CYCLE_1)
	s_add_u32 s12, s28, s12
	s_addc_u32 s13, s29, 0
	s_and_b32 s16, s16, 0xffff
	global_load_u16 v4, v3, s[12:13]
	v_cmp_eq_u32_e64 s12, 0, v2
	v_cmp_lt_u32_e64 s13, 1, v2
	s_waitcnt vmcnt(0)
	v_mad_u32_u24 v2, v45, v4, v0
	s_delay_alu instid0(VALU_DEP_1) | instskip(NEXT) | instid1(VALU_DEP_1)
	v_mad_u64_u32 v[4:5], null, v2, s16, v[1:2]
	v_lshrrev_b32_e32 v80, 5, v4
                                        ; implicit-def: $vgpr4_vgpr5
	s_branch .LBB194_66
.LBB194_65:                             ;   in Loop: Header=BB194_66 Depth=2
	s_or_b32 exec_lo, exec_lo, s16
	s_addk_i32 s42, 0xf800
	s_cmp_lt_u32 s43, s33
	s_mov_b32 s24, s43
	s_cbranch_scc0 .LBB194_178
.LBB194_66:                             ;   Parent Loop BB194_12 Depth=1
                                        ; =>  This Inner Loop Header: Depth=2
	s_add_i32 s43, s24, 0x800
	s_delay_alu instid0(SALU_CYCLE_1)
	s_cmp_gt_u32 s43, s33
	s_cbranch_scc1 .LBB194_69
; %bb.67:                               ;   in Loop: Header=BB194_66 Depth=2
	v_add_co_u32 v20, vcc_lo, v67, s24
	v_add_co_ci_u32_e32 v21, vcc_lo, 0, v68, vcc_lo
	s_mov_b32 s17, 0
	s_mov_b32 s16, s24
	s_mov_b32 s19, -1
	s_clause 0x6
	global_load_u8 v91, v[20:21], off
	global_load_u8 v92, v[20:21], off offset:32
	global_load_u8 v93, v[20:21], off offset:64
	;; [unrolled: 1-line block ×6, first 2 shown]
	s_movk_i32 s18, 0x800
	s_cbranch_execz .LBB194_70
; %bb.68:                               ;   in Loop: Header=BB194_66 Depth=2
                                        ; implicit-def: $sgpr20
	v_mov_b32_e32 v98, s20
	v_mov_b32_e32 v2, s42
	s_and_saveexec_b32 s20, s19
	s_cbranch_execnz .LBB194_85
	s_branch .LBB194_86
.LBB194_69:                             ;   in Loop: Header=BB194_66 Depth=2
	s_mov_b32 s17, -1
	s_mov_b32 s19, 0
                                        ; implicit-def: $sgpr18
                                        ; implicit-def: $vgpr91
                                        ; implicit-def: $vgpr92
                                        ; implicit-def: $vgpr93
                                        ; implicit-def: $vgpr94
                                        ; implicit-def: $vgpr95
                                        ; implicit-def: $vgpr96
                                        ; implicit-def: $vgpr97
.LBB194_70:                             ;   in Loop: Header=BB194_66 Depth=2
	v_add_co_u32 v20, vcc_lo, v67, s24
	v_add_co_ci_u32_e32 v21, vcc_lo, 0, v68, vcc_lo
	s_waitcnt vmcnt(5)
	v_dual_mov_b32 v92, 0xff :: v_dual_mov_b32 v91, 0xff
	s_mov_b32 s16, exec_lo
	v_cmpx_gt_u32_e64 s42, v70
	s_cbranch_execz .LBB194_72
; %bb.71:                               ;   in Loop: Header=BB194_66 Depth=2
	global_load_u8 v91, v[20:21], off
.LBB194_72:                             ;   in Loop: Header=BB194_66 Depth=2
	s_or_b32 exec_lo, exec_lo, s16
	s_delay_alu instid0(SALU_CYCLE_1)
	s_mov_b32 s16, exec_lo
	v_cmpx_gt_u32_e64 s42, v73
	s_cbranch_execz .LBB194_74
; %bb.73:                               ;   in Loop: Header=BB194_66 Depth=2
	global_load_u8 v92, v[20:21], off offset:32
.LBB194_74:                             ;   in Loop: Header=BB194_66 Depth=2
	s_or_b32 exec_lo, exec_lo, s16
	s_waitcnt vmcnt(3)
	v_dual_mov_b32 v94, 0xff :: v_dual_mov_b32 v93, 0xff
	s_mov_b32 s16, exec_lo
	v_cmpx_gt_u32_e64 s42, v74
	s_cbranch_execz .LBB194_76
; %bb.75:                               ;   in Loop: Header=BB194_66 Depth=2
	global_load_u8 v93, v[20:21], off offset:64
.LBB194_76:                             ;   in Loop: Header=BB194_66 Depth=2
	s_or_b32 exec_lo, exec_lo, s16
	s_delay_alu instid0(SALU_CYCLE_1)
	s_mov_b32 s16, exec_lo
	v_cmpx_gt_u32_e64 s42, v75
	s_cbranch_execz .LBB194_78
; %bb.77:                               ;   in Loop: Header=BB194_66 Depth=2
	global_load_u8 v94, v[20:21], off offset:96
.LBB194_78:                             ;   in Loop: Header=BB194_66 Depth=2
	s_or_b32 exec_lo, exec_lo, s16
	s_waitcnt vmcnt(1)
	v_dual_mov_b32 v96, 0xff :: v_dual_mov_b32 v95, 0xff
	s_mov_b32 s16, exec_lo
	v_cmpx_gt_u32_e64 s42, v76
	s_cbranch_execz .LBB194_80
; %bb.79:                               ;   in Loop: Header=BB194_66 Depth=2
	global_load_u8 v95, v[20:21], off offset:128
.LBB194_80:                             ;   in Loop: Header=BB194_66 Depth=2
	s_or_b32 exec_lo, exec_lo, s16
	s_delay_alu instid0(SALU_CYCLE_1)
	s_mov_b32 s16, exec_lo
	v_cmpx_gt_u32_e64 s42, v77
	s_cbranch_execz .LBB194_82
; %bb.81:                               ;   in Loop: Header=BB194_66 Depth=2
	global_load_u8 v96, v[20:21], off offset:160
.LBB194_82:                             ;   in Loop: Header=BB194_66 Depth=2
	s_or_b32 exec_lo, exec_lo, s16
	s_waitcnt vmcnt(0)
	v_mov_b32_e32 v97, 0xff
	s_mov_b32 s16, exec_lo
	v_cmpx_gt_u32_e64 s42, v78
	s_cbranch_execz .LBB194_84
; %bb.83:                               ;   in Loop: Header=BB194_66 Depth=2
	global_load_u8 v97, v[20:21], off offset:192
.LBB194_84:                             ;   in Loop: Header=BB194_66 Depth=2
	s_or_b32 exec_lo, exec_lo, s16
	v_cmp_gt_u32_e64 s19, s42, v79
	s_sub_i32 s18, s33, s24
	s_movk_i32 s20, 0xff
	s_mov_b64 s[16:17], s[24:25]
	v_mov_b32_e32 v98, s20
	v_mov_b32_e32 v2, s42
	s_and_saveexec_b32 s20, s19
	s_cbranch_execz .LBB194_86
.LBB194_85:                             ;   in Loop: Header=BB194_66 Depth=2
	v_add_co_u32 v20, vcc_lo, v81, s16
	v_add_co_ci_u32_e32 v21, vcc_lo, s17, v82, vcc_lo
	v_mov_b32_e32 v2, s18
	global_load_u8 v98, v[20:21], off
.LBB194_86:                             ;   in Loop: Header=BB194_66 Depth=2
	s_or_b32 exec_lo, exec_lo, s20
	s_waitcnt vmcnt(6)
	v_and_b32_e32 v20, 0xff, v91
	ds_store_b32 v46, v3 offset:1056
	ds_store_2addr_b32 v47, v3, v3 offset0:1 offset1:2
	ds_store_2addr_b32 v47, v3, v3 offset0:3 offset1:4
	;; [unrolled: 1-line block ×4, first 2 shown]
	s_waitcnt vmcnt(0) lgkmcnt(0)
	s_barrier
	v_lshrrev_b32_e32 v20, s30, v20
	buffer_gl0_inv
	; wave barrier
	v_and_b32_e32 v21, s31, v20
	s_delay_alu instid0(VALU_DEP_1)
	v_and_b32_e32 v20, 1, v21
	v_lshlrev_b32_e32 v22, 30, v21
	v_lshlrev_b32_e32 v23, 29, v21
	;; [unrolled: 1-line block ×4, first 2 shown]
	v_add_co_u32 v20, s16, v20, -1
	s_delay_alu instid0(VALU_DEP_1)
	v_cndmask_b32_e64 v25, 0, 1, s16
	v_not_b32_e32 v100, v22
	v_cmp_gt_i32_e64 s16, 0, v22
	v_not_b32_e32 v22, v23
	v_lshlrev_b32_e32 v27, 26, v21
	v_cmp_ne_u32_e32 vcc_lo, 0, v25
	v_ashrrev_i32_e32 v100, 31, v100
	v_lshlrev_b32_e32 v99, 25, v21
	v_ashrrev_i32_e32 v22, 31, v22
	v_lshlrev_b32_e32 v25, 24, v21
	v_xor_b32_e32 v20, vcc_lo, v20
	v_cmp_gt_i32_e32 vcc_lo, 0, v23
	v_not_b32_e32 v23, v24
	v_xor_b32_e32 v100, s16, v100
	v_cmp_gt_i32_e64 s16, 0, v24
	v_and_b32_e32 v20, exec_lo, v20
	v_not_b32_e32 v24, v26
	v_ashrrev_i32_e32 v23, 31, v23
	v_xor_b32_e32 v22, vcc_lo, v22
	v_cmp_gt_i32_e32 vcc_lo, 0, v26
	v_and_b32_e32 v20, v20, v100
	v_not_b32_e32 v26, v27
	v_ashrrev_i32_e32 v24, 31, v24
	v_xor_b32_e32 v23, s16, v23
	v_cmp_gt_i32_e64 s16, 0, v27
	v_and_b32_e32 v20, v20, v22
	v_not_b32_e32 v22, v99
	v_ashrrev_i32_e32 v26, 31, v26
	v_xor_b32_e32 v24, vcc_lo, v24
	v_cmp_gt_i32_e32 vcc_lo, 0, v99
	v_and_b32_e32 v20, v20, v23
	v_not_b32_e32 v23, v25
	v_ashrrev_i32_e32 v22, 31, v22
	v_xor_b32_e32 v26, s16, v26
	v_cmp_gt_i32_e64 s16, 0, v25
	v_and_b32_e32 v20, v20, v24
	v_ashrrev_i32_e32 v23, 31, v23
	v_xor_b32_e32 v22, vcc_lo, v22
	v_mad_u32_u24 v21, v21, 9, v80
	s_delay_alu instid0(VALU_DEP_4) | instskip(NEXT) | instid1(VALU_DEP_4)
	v_and_b32_e32 v20, v20, v26
	v_xor_b32_e32 v23, s16, v23
	s_delay_alu instid0(VALU_DEP_3) | instskip(NEXT) | instid1(VALU_DEP_3)
	v_lshl_add_u32 v100, v21, 2, 0x420
	v_and_b32_e32 v20, v20, v22
	s_delay_alu instid0(VALU_DEP_1) | instskip(NEXT) | instid1(VALU_DEP_1)
	v_and_b32_e32 v20, v20, v23
	v_mbcnt_lo_u32_b32 v99, v20, 0
	v_cmp_ne_u32_e64 s16, 0, v20
	s_delay_alu instid0(VALU_DEP_2) | instskip(NEXT) | instid1(VALU_DEP_2)
	v_cmp_eq_u32_e32 vcc_lo, 0, v99
	s_and_b32 s17, s16, vcc_lo
	s_delay_alu instid0(SALU_CYCLE_1)
	s_and_saveexec_b32 s16, s17
	s_cbranch_execz .LBB194_88
; %bb.87:                               ;   in Loop: Header=BB194_66 Depth=2
	v_bcnt_u32_b32 v20, v20, 0
	ds_store_b32 v100, v20
.LBB194_88:                             ;   in Loop: Header=BB194_66 Depth=2
	s_or_b32 exec_lo, exec_lo, s16
	v_and_b32_e32 v20, 0xff, v92
	; wave barrier
	s_delay_alu instid0(VALU_DEP_1) | instskip(NEXT) | instid1(VALU_DEP_1)
	v_lshrrev_b32_e32 v20, s30, v20
	v_and_b32_e32 v20, s31, v20
	s_delay_alu instid0(VALU_DEP_1)
	v_and_b32_e32 v21, 1, v20
	v_lshlrev_b32_e32 v22, 30, v20
	v_lshlrev_b32_e32 v23, 29, v20
	;; [unrolled: 1-line block ×4, first 2 shown]
	v_add_co_u32 v21, s16, v21, -1
	s_delay_alu instid0(VALU_DEP_1)
	v_cndmask_b32_e64 v25, 0, 1, s16
	v_not_b32_e32 v102, v22
	v_cmp_gt_i32_e64 s16, 0, v22
	v_not_b32_e32 v22, v23
	v_lshlrev_b32_e32 v27, 26, v20
	v_cmp_ne_u32_e32 vcc_lo, 0, v25
	v_ashrrev_i32_e32 v102, 31, v102
	v_lshlrev_b32_e32 v101, 25, v20
	v_ashrrev_i32_e32 v22, 31, v22
	v_lshlrev_b32_e32 v25, 24, v20
	v_xor_b32_e32 v21, vcc_lo, v21
	v_cmp_gt_i32_e32 vcc_lo, 0, v23
	v_not_b32_e32 v23, v24
	v_xor_b32_e32 v102, s16, v102
	v_cmp_gt_i32_e64 s16, 0, v24
	v_and_b32_e32 v21, exec_lo, v21
	v_not_b32_e32 v24, v26
	v_ashrrev_i32_e32 v23, 31, v23
	v_xor_b32_e32 v22, vcc_lo, v22
	v_cmp_gt_i32_e32 vcc_lo, 0, v26
	v_and_b32_e32 v21, v21, v102
	v_not_b32_e32 v26, v27
	v_ashrrev_i32_e32 v24, 31, v24
	v_xor_b32_e32 v23, s16, v23
	v_cmp_gt_i32_e64 s16, 0, v27
	v_and_b32_e32 v21, v21, v22
	v_not_b32_e32 v22, v101
	v_ashrrev_i32_e32 v26, 31, v26
	v_xor_b32_e32 v24, vcc_lo, v24
	v_cmp_gt_i32_e32 vcc_lo, 0, v101
	v_and_b32_e32 v21, v21, v23
	v_not_b32_e32 v23, v25
	v_ashrrev_i32_e32 v22, 31, v22
	v_xor_b32_e32 v26, s16, v26
	v_mul_u32_u24_e32 v20, 9, v20
	v_and_b32_e32 v21, v21, v24
	v_cmp_gt_i32_e64 s16, 0, v25
	v_ashrrev_i32_e32 v23, 31, v23
	v_xor_b32_e32 v22, vcc_lo, v22
	v_add_lshl_u32 v24, v20, v80, 2
	v_and_b32_e32 v21, v21, v26
	s_delay_alu instid0(VALU_DEP_4) | instskip(SKIP_3) | instid1(VALU_DEP_2)
	v_xor_b32_e32 v20, s16, v23
	ds_load_b32 v101, v24 offset:1056
	v_and_b32_e32 v21, v21, v22
	v_add_nc_u32_e32 v103, 0x420, v24
	; wave barrier
	v_and_b32_e32 v20, v21, v20
	s_delay_alu instid0(VALU_DEP_1) | instskip(SKIP_1) | instid1(VALU_DEP_2)
	v_mbcnt_lo_u32_b32 v102, v20, 0
	v_cmp_ne_u32_e64 s16, 0, v20
	v_cmp_eq_u32_e32 vcc_lo, 0, v102
	s_delay_alu instid0(VALU_DEP_2) | instskip(NEXT) | instid1(SALU_CYCLE_1)
	s_and_b32 s17, s16, vcc_lo
	s_and_saveexec_b32 s16, s17
	s_cbranch_execz .LBB194_90
; %bb.89:                               ;   in Loop: Header=BB194_66 Depth=2
	s_waitcnt lgkmcnt(0)
	v_bcnt_u32_b32 v20, v20, v101
	ds_store_b32 v103, v20
.LBB194_90:                             ;   in Loop: Header=BB194_66 Depth=2
	s_or_b32 exec_lo, exec_lo, s16
	v_and_b32_e32 v20, 0xff, v93
	; wave barrier
	s_delay_alu instid0(VALU_DEP_1) | instskip(NEXT) | instid1(VALU_DEP_1)
	v_lshrrev_b32_e32 v20, s30, v20
	v_and_b32_e32 v20, s31, v20
	s_delay_alu instid0(VALU_DEP_1)
	v_and_b32_e32 v21, 1, v20
	v_lshlrev_b32_e32 v22, 30, v20
	v_lshlrev_b32_e32 v23, 29, v20
	;; [unrolled: 1-line block ×4, first 2 shown]
	v_add_co_u32 v21, s16, v21, -1
	s_delay_alu instid0(VALU_DEP_1)
	v_cndmask_b32_e64 v25, 0, 1, s16
	v_not_b32_e32 v105, v22
	v_cmp_gt_i32_e64 s16, 0, v22
	v_not_b32_e32 v22, v23
	v_lshlrev_b32_e32 v27, 26, v20
	v_cmp_ne_u32_e32 vcc_lo, 0, v25
	v_ashrrev_i32_e32 v105, 31, v105
	v_lshlrev_b32_e32 v104, 25, v20
	v_ashrrev_i32_e32 v22, 31, v22
	v_lshlrev_b32_e32 v25, 24, v20
	v_xor_b32_e32 v21, vcc_lo, v21
	v_cmp_gt_i32_e32 vcc_lo, 0, v23
	v_not_b32_e32 v23, v24
	v_xor_b32_e32 v105, s16, v105
	v_cmp_gt_i32_e64 s16, 0, v24
	v_and_b32_e32 v21, exec_lo, v21
	v_not_b32_e32 v24, v26
	v_ashrrev_i32_e32 v23, 31, v23
	v_xor_b32_e32 v22, vcc_lo, v22
	v_cmp_gt_i32_e32 vcc_lo, 0, v26
	v_and_b32_e32 v21, v21, v105
	v_not_b32_e32 v26, v27
	v_ashrrev_i32_e32 v24, 31, v24
	v_xor_b32_e32 v23, s16, v23
	v_cmp_gt_i32_e64 s16, 0, v27
	v_and_b32_e32 v21, v21, v22
	v_not_b32_e32 v22, v104
	v_ashrrev_i32_e32 v26, 31, v26
	v_xor_b32_e32 v24, vcc_lo, v24
	v_cmp_gt_i32_e32 vcc_lo, 0, v104
	v_and_b32_e32 v21, v21, v23
	v_not_b32_e32 v23, v25
	v_ashrrev_i32_e32 v22, 31, v22
	v_xor_b32_e32 v26, s16, v26
	v_mul_u32_u24_e32 v20, 9, v20
	v_and_b32_e32 v21, v21, v24
	v_cmp_gt_i32_e64 s16, 0, v25
	v_ashrrev_i32_e32 v23, 31, v23
	v_xor_b32_e32 v22, vcc_lo, v22
	v_add_lshl_u32 v24, v20, v80, 2
	v_and_b32_e32 v21, v21, v26
	s_delay_alu instid0(VALU_DEP_4) | instskip(SKIP_3) | instid1(VALU_DEP_2)
	v_xor_b32_e32 v20, s16, v23
	ds_load_b32 v104, v24 offset:1056
	v_and_b32_e32 v21, v21, v22
	v_add_nc_u32_e32 v106, 0x420, v24
	; wave barrier
	v_and_b32_e32 v20, v21, v20
	s_delay_alu instid0(VALU_DEP_1) | instskip(SKIP_1) | instid1(VALU_DEP_2)
	v_mbcnt_lo_u32_b32 v105, v20, 0
	v_cmp_ne_u32_e64 s16, 0, v20
	v_cmp_eq_u32_e32 vcc_lo, 0, v105
	s_delay_alu instid0(VALU_DEP_2) | instskip(NEXT) | instid1(SALU_CYCLE_1)
	s_and_b32 s17, s16, vcc_lo
	s_and_saveexec_b32 s16, s17
	s_cbranch_execz .LBB194_92
; %bb.91:                               ;   in Loop: Header=BB194_66 Depth=2
	s_waitcnt lgkmcnt(0)
	v_bcnt_u32_b32 v20, v20, v104
	ds_store_b32 v106, v20
.LBB194_92:                             ;   in Loop: Header=BB194_66 Depth=2
	s_or_b32 exec_lo, exec_lo, s16
	v_and_b32_e32 v20, 0xff, v94
	; wave barrier
	s_delay_alu instid0(VALU_DEP_1) | instskip(NEXT) | instid1(VALU_DEP_1)
	v_lshrrev_b32_e32 v20, s30, v20
	v_and_b32_e32 v20, s31, v20
	s_delay_alu instid0(VALU_DEP_1)
	v_and_b32_e32 v21, 1, v20
	v_lshlrev_b32_e32 v22, 30, v20
	v_lshlrev_b32_e32 v23, 29, v20
	;; [unrolled: 1-line block ×4, first 2 shown]
	v_add_co_u32 v21, s16, v21, -1
	s_delay_alu instid0(VALU_DEP_1)
	v_cndmask_b32_e64 v25, 0, 1, s16
	v_not_b32_e32 v108, v22
	v_cmp_gt_i32_e64 s16, 0, v22
	v_not_b32_e32 v22, v23
	v_lshlrev_b32_e32 v27, 26, v20
	v_cmp_ne_u32_e32 vcc_lo, 0, v25
	v_ashrrev_i32_e32 v108, 31, v108
	v_lshlrev_b32_e32 v107, 25, v20
	v_ashrrev_i32_e32 v22, 31, v22
	v_lshlrev_b32_e32 v25, 24, v20
	v_xor_b32_e32 v21, vcc_lo, v21
	v_cmp_gt_i32_e32 vcc_lo, 0, v23
	v_not_b32_e32 v23, v24
	v_xor_b32_e32 v108, s16, v108
	v_cmp_gt_i32_e64 s16, 0, v24
	v_and_b32_e32 v21, exec_lo, v21
	v_not_b32_e32 v24, v26
	v_ashrrev_i32_e32 v23, 31, v23
	v_xor_b32_e32 v22, vcc_lo, v22
	v_cmp_gt_i32_e32 vcc_lo, 0, v26
	v_and_b32_e32 v21, v21, v108
	v_not_b32_e32 v26, v27
	v_ashrrev_i32_e32 v24, 31, v24
	v_xor_b32_e32 v23, s16, v23
	v_cmp_gt_i32_e64 s16, 0, v27
	v_and_b32_e32 v21, v21, v22
	v_not_b32_e32 v22, v107
	v_ashrrev_i32_e32 v26, 31, v26
	v_xor_b32_e32 v24, vcc_lo, v24
	v_cmp_gt_i32_e32 vcc_lo, 0, v107
	v_and_b32_e32 v21, v21, v23
	v_not_b32_e32 v23, v25
	v_ashrrev_i32_e32 v22, 31, v22
	v_xor_b32_e32 v26, s16, v26
	v_mul_u32_u24_e32 v20, 9, v20
	v_and_b32_e32 v21, v21, v24
	v_cmp_gt_i32_e64 s16, 0, v25
	v_ashrrev_i32_e32 v23, 31, v23
	v_xor_b32_e32 v22, vcc_lo, v22
	v_add_lshl_u32 v24, v20, v80, 2
	v_and_b32_e32 v21, v21, v26
	s_delay_alu instid0(VALU_DEP_4) | instskip(SKIP_3) | instid1(VALU_DEP_2)
	v_xor_b32_e32 v20, s16, v23
	ds_load_b32 v107, v24 offset:1056
	v_and_b32_e32 v21, v21, v22
	v_add_nc_u32_e32 v109, 0x420, v24
	; wave barrier
	v_and_b32_e32 v20, v21, v20
	s_delay_alu instid0(VALU_DEP_1) | instskip(SKIP_1) | instid1(VALU_DEP_2)
	v_mbcnt_lo_u32_b32 v108, v20, 0
	v_cmp_ne_u32_e64 s16, 0, v20
	v_cmp_eq_u32_e32 vcc_lo, 0, v108
	s_delay_alu instid0(VALU_DEP_2) | instskip(NEXT) | instid1(SALU_CYCLE_1)
	s_and_b32 s17, s16, vcc_lo
	s_and_saveexec_b32 s16, s17
	s_cbranch_execz .LBB194_94
; %bb.93:                               ;   in Loop: Header=BB194_66 Depth=2
	s_waitcnt lgkmcnt(0)
	v_bcnt_u32_b32 v20, v20, v107
	ds_store_b32 v109, v20
.LBB194_94:                             ;   in Loop: Header=BB194_66 Depth=2
	s_or_b32 exec_lo, exec_lo, s16
	v_and_b32_e32 v20, 0xff, v95
	; wave barrier
	s_delay_alu instid0(VALU_DEP_1) | instskip(NEXT) | instid1(VALU_DEP_1)
	v_lshrrev_b32_e32 v20, s30, v20
	v_and_b32_e32 v20, s31, v20
	s_delay_alu instid0(VALU_DEP_1)
	v_and_b32_e32 v21, 1, v20
	v_lshlrev_b32_e32 v22, 30, v20
	v_lshlrev_b32_e32 v23, 29, v20
	v_lshlrev_b32_e32 v24, 28, v20
	v_lshlrev_b32_e32 v26, 27, v20
	v_add_co_u32 v21, s16, v21, -1
	s_delay_alu instid0(VALU_DEP_1)
	v_cndmask_b32_e64 v25, 0, 1, s16
	v_not_b32_e32 v111, v22
	v_cmp_gt_i32_e64 s16, 0, v22
	v_not_b32_e32 v22, v23
	v_lshlrev_b32_e32 v27, 26, v20
	v_cmp_ne_u32_e32 vcc_lo, 0, v25
	v_ashrrev_i32_e32 v111, 31, v111
	v_lshlrev_b32_e32 v110, 25, v20
	v_ashrrev_i32_e32 v22, 31, v22
	v_lshlrev_b32_e32 v25, 24, v20
	v_xor_b32_e32 v21, vcc_lo, v21
	v_cmp_gt_i32_e32 vcc_lo, 0, v23
	v_not_b32_e32 v23, v24
	v_xor_b32_e32 v111, s16, v111
	v_cmp_gt_i32_e64 s16, 0, v24
	v_and_b32_e32 v21, exec_lo, v21
	v_not_b32_e32 v24, v26
	v_ashrrev_i32_e32 v23, 31, v23
	v_xor_b32_e32 v22, vcc_lo, v22
	v_cmp_gt_i32_e32 vcc_lo, 0, v26
	v_and_b32_e32 v21, v21, v111
	v_not_b32_e32 v26, v27
	v_ashrrev_i32_e32 v24, 31, v24
	v_xor_b32_e32 v23, s16, v23
	v_cmp_gt_i32_e64 s16, 0, v27
	v_and_b32_e32 v21, v21, v22
	v_not_b32_e32 v22, v110
	v_ashrrev_i32_e32 v26, 31, v26
	v_xor_b32_e32 v24, vcc_lo, v24
	v_cmp_gt_i32_e32 vcc_lo, 0, v110
	v_and_b32_e32 v21, v21, v23
	v_not_b32_e32 v23, v25
	v_ashrrev_i32_e32 v22, 31, v22
	v_xor_b32_e32 v26, s16, v26
	v_mul_u32_u24_e32 v20, 9, v20
	v_and_b32_e32 v21, v21, v24
	v_cmp_gt_i32_e64 s16, 0, v25
	v_ashrrev_i32_e32 v23, 31, v23
	v_xor_b32_e32 v22, vcc_lo, v22
	v_add_lshl_u32 v24, v20, v80, 2
	v_and_b32_e32 v21, v21, v26
	s_delay_alu instid0(VALU_DEP_4) | instskip(SKIP_3) | instid1(VALU_DEP_2)
	v_xor_b32_e32 v20, s16, v23
	ds_load_b32 v110, v24 offset:1056
	v_and_b32_e32 v21, v21, v22
	v_add_nc_u32_e32 v112, 0x420, v24
	; wave barrier
	v_and_b32_e32 v20, v21, v20
	s_delay_alu instid0(VALU_DEP_1) | instskip(SKIP_1) | instid1(VALU_DEP_2)
	v_mbcnt_lo_u32_b32 v111, v20, 0
	v_cmp_ne_u32_e64 s16, 0, v20
	v_cmp_eq_u32_e32 vcc_lo, 0, v111
	s_delay_alu instid0(VALU_DEP_2) | instskip(NEXT) | instid1(SALU_CYCLE_1)
	s_and_b32 s17, s16, vcc_lo
	s_and_saveexec_b32 s16, s17
	s_cbranch_execz .LBB194_96
; %bb.95:                               ;   in Loop: Header=BB194_66 Depth=2
	s_waitcnt lgkmcnt(0)
	v_bcnt_u32_b32 v20, v20, v110
	ds_store_b32 v112, v20
.LBB194_96:                             ;   in Loop: Header=BB194_66 Depth=2
	s_or_b32 exec_lo, exec_lo, s16
	v_and_b32_e32 v20, 0xff, v96
	; wave barrier
	s_delay_alu instid0(VALU_DEP_1) | instskip(NEXT) | instid1(VALU_DEP_1)
	v_lshrrev_b32_e32 v20, s30, v20
	v_and_b32_e32 v20, s31, v20
	s_delay_alu instid0(VALU_DEP_1)
	v_and_b32_e32 v21, 1, v20
	v_lshlrev_b32_e32 v22, 30, v20
	v_lshlrev_b32_e32 v23, 29, v20
	;; [unrolled: 1-line block ×4, first 2 shown]
	v_add_co_u32 v21, s16, v21, -1
	s_delay_alu instid0(VALU_DEP_1)
	v_cndmask_b32_e64 v25, 0, 1, s16
	v_not_b32_e32 v114, v22
	v_cmp_gt_i32_e64 s16, 0, v22
	v_not_b32_e32 v22, v23
	v_lshlrev_b32_e32 v27, 26, v20
	v_cmp_ne_u32_e32 vcc_lo, 0, v25
	v_ashrrev_i32_e32 v114, 31, v114
	v_lshlrev_b32_e32 v113, 25, v20
	v_ashrrev_i32_e32 v22, 31, v22
	v_lshlrev_b32_e32 v25, 24, v20
	v_xor_b32_e32 v21, vcc_lo, v21
	v_cmp_gt_i32_e32 vcc_lo, 0, v23
	v_not_b32_e32 v23, v24
	v_xor_b32_e32 v114, s16, v114
	v_cmp_gt_i32_e64 s16, 0, v24
	v_and_b32_e32 v21, exec_lo, v21
	v_not_b32_e32 v24, v26
	v_ashrrev_i32_e32 v23, 31, v23
	v_xor_b32_e32 v22, vcc_lo, v22
	v_cmp_gt_i32_e32 vcc_lo, 0, v26
	v_and_b32_e32 v21, v21, v114
	v_not_b32_e32 v26, v27
	v_ashrrev_i32_e32 v24, 31, v24
	v_xor_b32_e32 v23, s16, v23
	v_cmp_gt_i32_e64 s16, 0, v27
	v_and_b32_e32 v21, v21, v22
	v_not_b32_e32 v22, v113
	v_ashrrev_i32_e32 v26, 31, v26
	v_xor_b32_e32 v24, vcc_lo, v24
	v_cmp_gt_i32_e32 vcc_lo, 0, v113
	v_and_b32_e32 v21, v21, v23
	v_not_b32_e32 v23, v25
	v_ashrrev_i32_e32 v22, 31, v22
	v_xor_b32_e32 v26, s16, v26
	v_mul_u32_u24_e32 v20, 9, v20
	v_and_b32_e32 v21, v21, v24
	v_cmp_gt_i32_e64 s16, 0, v25
	v_ashrrev_i32_e32 v23, 31, v23
	v_xor_b32_e32 v22, vcc_lo, v22
	v_add_lshl_u32 v24, v20, v80, 2
	v_and_b32_e32 v21, v21, v26
	s_delay_alu instid0(VALU_DEP_4) | instskip(SKIP_3) | instid1(VALU_DEP_2)
	v_xor_b32_e32 v20, s16, v23
	ds_load_b32 v113, v24 offset:1056
	v_and_b32_e32 v21, v21, v22
	v_add_nc_u32_e32 v115, 0x420, v24
	; wave barrier
	v_and_b32_e32 v20, v21, v20
	s_delay_alu instid0(VALU_DEP_1) | instskip(SKIP_1) | instid1(VALU_DEP_2)
	v_mbcnt_lo_u32_b32 v114, v20, 0
	v_cmp_ne_u32_e64 s16, 0, v20
	v_cmp_eq_u32_e32 vcc_lo, 0, v114
	s_delay_alu instid0(VALU_DEP_2) | instskip(NEXT) | instid1(SALU_CYCLE_1)
	s_and_b32 s17, s16, vcc_lo
	s_and_saveexec_b32 s16, s17
	s_cbranch_execz .LBB194_98
; %bb.97:                               ;   in Loop: Header=BB194_66 Depth=2
	s_waitcnt lgkmcnt(0)
	v_bcnt_u32_b32 v20, v20, v113
	ds_store_b32 v115, v20
.LBB194_98:                             ;   in Loop: Header=BB194_66 Depth=2
	s_or_b32 exec_lo, exec_lo, s16
	v_and_b32_e32 v20, 0xff, v97
	; wave barrier
	s_delay_alu instid0(VALU_DEP_1) | instskip(NEXT) | instid1(VALU_DEP_1)
	v_lshrrev_b32_e32 v20, s30, v20
	v_and_b32_e32 v20, s31, v20
	s_delay_alu instid0(VALU_DEP_1)
	v_and_b32_e32 v21, 1, v20
	v_lshlrev_b32_e32 v22, 30, v20
	v_lshlrev_b32_e32 v23, 29, v20
	v_lshlrev_b32_e32 v24, 28, v20
	v_lshlrev_b32_e32 v26, 27, v20
	v_add_co_u32 v21, s16, v21, -1
	s_delay_alu instid0(VALU_DEP_1)
	v_cndmask_b32_e64 v25, 0, 1, s16
	v_not_b32_e32 v117, v22
	v_cmp_gt_i32_e64 s16, 0, v22
	v_not_b32_e32 v22, v23
	v_lshlrev_b32_e32 v27, 26, v20
	v_cmp_ne_u32_e32 vcc_lo, 0, v25
	v_ashrrev_i32_e32 v117, 31, v117
	v_lshlrev_b32_e32 v116, 25, v20
	v_ashrrev_i32_e32 v22, 31, v22
	v_lshlrev_b32_e32 v25, 24, v20
	v_xor_b32_e32 v21, vcc_lo, v21
	v_cmp_gt_i32_e32 vcc_lo, 0, v23
	v_not_b32_e32 v23, v24
	v_xor_b32_e32 v117, s16, v117
	v_cmp_gt_i32_e64 s16, 0, v24
	v_and_b32_e32 v21, exec_lo, v21
	v_not_b32_e32 v24, v26
	v_ashrrev_i32_e32 v23, 31, v23
	v_xor_b32_e32 v22, vcc_lo, v22
	v_cmp_gt_i32_e32 vcc_lo, 0, v26
	v_and_b32_e32 v21, v21, v117
	v_not_b32_e32 v26, v27
	v_ashrrev_i32_e32 v24, 31, v24
	v_xor_b32_e32 v23, s16, v23
	v_cmp_gt_i32_e64 s16, 0, v27
	v_and_b32_e32 v21, v21, v22
	v_not_b32_e32 v22, v116
	v_ashrrev_i32_e32 v26, 31, v26
	v_xor_b32_e32 v24, vcc_lo, v24
	v_cmp_gt_i32_e32 vcc_lo, 0, v116
	v_and_b32_e32 v21, v21, v23
	v_not_b32_e32 v23, v25
	v_ashrrev_i32_e32 v22, 31, v22
	v_xor_b32_e32 v26, s16, v26
	v_mul_u32_u24_e32 v20, 9, v20
	v_and_b32_e32 v21, v21, v24
	v_cmp_gt_i32_e64 s16, 0, v25
	v_ashrrev_i32_e32 v23, 31, v23
	v_xor_b32_e32 v22, vcc_lo, v22
	v_add_lshl_u32 v24, v20, v80, 2
	v_and_b32_e32 v21, v21, v26
	s_delay_alu instid0(VALU_DEP_4) | instskip(SKIP_3) | instid1(VALU_DEP_2)
	v_xor_b32_e32 v20, s16, v23
	ds_load_b32 v116, v24 offset:1056
	v_and_b32_e32 v21, v21, v22
	v_add_nc_u32_e32 v118, 0x420, v24
	; wave barrier
	v_and_b32_e32 v20, v21, v20
	s_delay_alu instid0(VALU_DEP_1) | instskip(SKIP_1) | instid1(VALU_DEP_2)
	v_mbcnt_lo_u32_b32 v117, v20, 0
	v_cmp_ne_u32_e64 s16, 0, v20
	v_cmp_eq_u32_e32 vcc_lo, 0, v117
	s_delay_alu instid0(VALU_DEP_2) | instskip(NEXT) | instid1(SALU_CYCLE_1)
	s_and_b32 s17, s16, vcc_lo
	s_and_saveexec_b32 s16, s17
	s_cbranch_execz .LBB194_100
; %bb.99:                               ;   in Loop: Header=BB194_66 Depth=2
	s_waitcnt lgkmcnt(0)
	v_bcnt_u32_b32 v20, v20, v116
	ds_store_b32 v118, v20
.LBB194_100:                            ;   in Loop: Header=BB194_66 Depth=2
	s_or_b32 exec_lo, exec_lo, s16
	v_and_b32_e32 v20, 0xff, v98
	; wave barrier
	s_delay_alu instid0(VALU_DEP_1) | instskip(NEXT) | instid1(VALU_DEP_1)
	v_lshrrev_b32_e32 v20, s30, v20
	v_and_b32_e32 v20, s31, v20
	s_delay_alu instid0(VALU_DEP_1)
	v_and_b32_e32 v21, 1, v20
	v_lshlrev_b32_e32 v22, 30, v20
	v_lshlrev_b32_e32 v23, 29, v20
	;; [unrolled: 1-line block ×4, first 2 shown]
	v_add_co_u32 v21, s16, v21, -1
	s_delay_alu instid0(VALU_DEP_1)
	v_cndmask_b32_e64 v25, 0, 1, s16
	v_not_b32_e32 v120, v22
	v_cmp_gt_i32_e64 s16, 0, v22
	v_not_b32_e32 v22, v23
	v_lshlrev_b32_e32 v27, 26, v20
	v_cmp_ne_u32_e32 vcc_lo, 0, v25
	v_ashrrev_i32_e32 v120, 31, v120
	v_lshlrev_b32_e32 v119, 25, v20
	v_ashrrev_i32_e32 v22, 31, v22
	v_lshlrev_b32_e32 v25, 24, v20
	v_xor_b32_e32 v21, vcc_lo, v21
	v_cmp_gt_i32_e32 vcc_lo, 0, v23
	v_not_b32_e32 v23, v24
	v_xor_b32_e32 v120, s16, v120
	v_cmp_gt_i32_e64 s16, 0, v24
	v_and_b32_e32 v21, exec_lo, v21
	v_not_b32_e32 v24, v26
	v_ashrrev_i32_e32 v23, 31, v23
	v_xor_b32_e32 v22, vcc_lo, v22
	v_cmp_gt_i32_e32 vcc_lo, 0, v26
	v_and_b32_e32 v21, v21, v120
	v_not_b32_e32 v26, v27
	v_ashrrev_i32_e32 v24, 31, v24
	v_xor_b32_e32 v23, s16, v23
	v_cmp_gt_i32_e64 s16, 0, v27
	v_and_b32_e32 v21, v21, v22
	v_not_b32_e32 v22, v119
	v_ashrrev_i32_e32 v26, 31, v26
	v_xor_b32_e32 v24, vcc_lo, v24
	v_cmp_gt_i32_e32 vcc_lo, 0, v119
	v_and_b32_e32 v21, v21, v23
	v_not_b32_e32 v23, v25
	v_ashrrev_i32_e32 v22, 31, v22
	v_xor_b32_e32 v26, s16, v26
	v_mul_u32_u24_e32 v20, 9, v20
	v_and_b32_e32 v21, v21, v24
	v_cmp_gt_i32_e64 s16, 0, v25
	v_ashrrev_i32_e32 v23, 31, v23
	v_xor_b32_e32 v22, vcc_lo, v22
	v_add_lshl_u32 v24, v20, v80, 2
	v_and_b32_e32 v21, v21, v26
	s_delay_alu instid0(VALU_DEP_4) | instskip(SKIP_3) | instid1(VALU_DEP_2)
	v_xor_b32_e32 v20, s16, v23
	ds_load_b32 v119, v24 offset:1056
	v_and_b32_e32 v21, v21, v22
	v_add_nc_u32_e32 v121, 0x420, v24
	; wave barrier
	v_and_b32_e32 v20, v21, v20
	s_delay_alu instid0(VALU_DEP_1) | instskip(SKIP_1) | instid1(VALU_DEP_2)
	v_mbcnt_lo_u32_b32 v120, v20, 0
	v_cmp_ne_u32_e64 s16, 0, v20
	v_cmp_eq_u32_e32 vcc_lo, 0, v120
	s_delay_alu instid0(VALU_DEP_2) | instskip(NEXT) | instid1(SALU_CYCLE_1)
	s_and_b32 s17, s16, vcc_lo
	s_and_saveexec_b32 s16, s17
	s_cbranch_execz .LBB194_102
; %bb.101:                              ;   in Loop: Header=BB194_66 Depth=2
	s_waitcnt lgkmcnt(0)
	v_bcnt_u32_b32 v20, v20, v119
	ds_store_b32 v121, v20
.LBB194_102:                            ;   in Loop: Header=BB194_66 Depth=2
	s_or_b32 exec_lo, exec_lo, s16
	; wave barrier
	s_waitcnt lgkmcnt(0)
	s_barrier
	buffer_gl0_inv
	ds_load_b32 v122, v46 offset:1056
	ds_load_2addr_b32 v[26:27], v47 offset0:1 offset1:2
	ds_load_2addr_b32 v[24:25], v47 offset0:3 offset1:4
	;; [unrolled: 1-line block ×4, first 2 shown]
	s_waitcnt lgkmcnt(3)
	v_add3_u32 v123, v26, v122, v27
	s_waitcnt lgkmcnt(2)
	s_delay_alu instid0(VALU_DEP_1) | instskip(SKIP_1) | instid1(VALU_DEP_1)
	v_add3_u32 v123, v123, v24, v25
	s_waitcnt lgkmcnt(1)
	v_add3_u32 v123, v123, v20, v21
	s_waitcnt lgkmcnt(0)
	s_delay_alu instid0(VALU_DEP_1) | instskip(NEXT) | instid1(VALU_DEP_1)
	v_add3_u32 v23, v123, v22, v23
	v_mov_b32_dpp v123, v23 row_shr:1 row_mask:0xf bank_mask:0xf
	s_delay_alu instid0(VALU_DEP_1) | instskip(NEXT) | instid1(VALU_DEP_1)
	v_cndmask_b32_e64 v123, v123, 0, s0
	v_add_nc_u32_e32 v23, v123, v23
	s_delay_alu instid0(VALU_DEP_1) | instskip(NEXT) | instid1(VALU_DEP_1)
	v_mov_b32_dpp v123, v23 row_shr:2 row_mask:0xf bank_mask:0xf
	v_cndmask_b32_e64 v123, 0, v123, s1
	s_delay_alu instid0(VALU_DEP_1) | instskip(NEXT) | instid1(VALU_DEP_1)
	v_add_nc_u32_e32 v23, v23, v123
	v_mov_b32_dpp v123, v23 row_shr:4 row_mask:0xf bank_mask:0xf
	s_delay_alu instid0(VALU_DEP_1) | instskip(NEXT) | instid1(VALU_DEP_1)
	v_cndmask_b32_e64 v123, 0, v123, s8
	v_add_nc_u32_e32 v23, v23, v123
	s_delay_alu instid0(VALU_DEP_1) | instskip(NEXT) | instid1(VALU_DEP_1)
	v_mov_b32_dpp v123, v23 row_shr:8 row_mask:0xf bank_mask:0xf
	v_cndmask_b32_e64 v123, 0, v123, s9
	s_delay_alu instid0(VALU_DEP_1) | instskip(SKIP_3) | instid1(VALU_DEP_1)
	v_add_nc_u32_e32 v23, v23, v123
	ds_swizzle_b32 v123, v23 offset:swizzle(BROADCAST,32,15)
	s_waitcnt lgkmcnt(0)
	v_cndmask_b32_e64 v123, v123, 0, s10
	v_add_nc_u32_e32 v23, v23, v123
	s_and_saveexec_b32 s16, s3
	s_cbranch_execz .LBB194_104
; %bb.103:                              ;   in Loop: Header=BB194_66 Depth=2
	ds_store_b32 v38, v23 offset:1024
.LBB194_104:                            ;   in Loop: Header=BB194_66 Depth=2
	s_or_b32 exec_lo, exec_lo, s16
	s_waitcnt lgkmcnt(0)
	s_barrier
	buffer_gl0_inv
	s_and_saveexec_b32 s16, s4
	s_cbranch_execz .LBB194_106
; %bb.105:                              ;   in Loop: Header=BB194_66 Depth=2
	v_add_nc_u32_e32 v123, v46, v48
	ds_load_b32 v124, v123 offset:1024
	s_waitcnt lgkmcnt(0)
	v_mov_b32_dpp v125, v124 row_shr:1 row_mask:0xf bank_mask:0xf
	s_delay_alu instid0(VALU_DEP_1) | instskip(NEXT) | instid1(VALU_DEP_1)
	v_cndmask_b32_e64 v125, v125, 0, s12
	v_add_nc_u32_e32 v124, v125, v124
	s_delay_alu instid0(VALU_DEP_1) | instskip(NEXT) | instid1(VALU_DEP_1)
	v_mov_b32_dpp v125, v124 row_shr:2 row_mask:0xf bank_mask:0xf
	v_cndmask_b32_e64 v125, 0, v125, s13
	s_delay_alu instid0(VALU_DEP_1) | instskip(NEXT) | instid1(VALU_DEP_1)
	v_add_nc_u32_e32 v124, v124, v125
	v_mov_b32_dpp v125, v124 row_shr:4 row_mask:0xf bank_mask:0xf
	s_delay_alu instid0(VALU_DEP_1) | instskip(NEXT) | instid1(VALU_DEP_1)
	v_cndmask_b32_e64 v125, 0, v125, s14
	v_add_nc_u32_e32 v124, v124, v125
	ds_store_b32 v123, v124 offset:1024
.LBB194_106:                            ;   in Loop: Header=BB194_66 Depth=2
	s_or_b32 exec_lo, exec_lo, s16
	v_mov_b32_e32 v123, 0
	s_waitcnt lgkmcnt(0)
	s_barrier
	buffer_gl0_inv
	s_and_saveexec_b32 s16, s5
	s_cbranch_execz .LBB194_108
; %bb.107:                              ;   in Loop: Header=BB194_66 Depth=2
	ds_load_b32 v123, v38 offset:1020
.LBB194_108:                            ;   in Loop: Header=BB194_66 Depth=2
	s_or_b32 exec_lo, exec_lo, s16
	s_waitcnt lgkmcnt(0)
	v_add_nc_u32_e32 v23, v123, v23
	ds_bpermute_b32 v23, v69, v23
	s_waitcnt lgkmcnt(0)
	v_cndmask_b32_e64 v23, v23, v123, s11
	s_delay_alu instid0(VALU_DEP_1) | instskip(NEXT) | instid1(VALU_DEP_1)
	v_cndmask_b32_e64 v23, v23, 0, s6
	v_add_nc_u32_e32 v122, v23, v122
	s_delay_alu instid0(VALU_DEP_1) | instskip(NEXT) | instid1(VALU_DEP_1)
	v_add_nc_u32_e32 v26, v122, v26
	v_add_nc_u32_e32 v27, v26, v27
	s_delay_alu instid0(VALU_DEP_1) | instskip(NEXT) | instid1(VALU_DEP_1)
	v_add_nc_u32_e32 v24, v27, v24
	;; [unrolled: 3-line block ×3, first 2 shown]
	v_add_nc_u32_e32 v21, v20, v21
	s_delay_alu instid0(VALU_DEP_1)
	v_add_nc_u32_e32 v22, v21, v22
	ds_store_b32 v46, v23 offset:1056
	ds_store_2addr_b32 v47, v122, v26 offset0:1 offset1:2
	ds_store_2addr_b32 v47, v27, v24 offset0:3 offset1:4
	;; [unrolled: 1-line block ×4, first 2 shown]
	v_mov_b32_e32 v22, 0x800
	s_waitcnt lgkmcnt(0)
	s_barrier
	buffer_gl0_inv
	ds_load_b32 v20, v103
	ds_load_b32 v21, v106
	;; [unrolled: 1-line block ×8, first 2 shown]
	ds_load_b32 v27, v46 offset:1056
	s_and_saveexec_b32 s16, s7
	s_cbranch_execz .LBB194_110
; %bb.109:                              ;   in Loop: Header=BB194_66 Depth=2
	ds_load_b32 v22, v49 offset:1056
.LBB194_110:                            ;   in Loop: Header=BB194_66 Depth=2
	s_or_b32 exec_lo, exec_lo, s16
	s_waitcnt lgkmcnt(0)
	s_barrier
	buffer_gl0_inv
	s_and_saveexec_b32 s16, s2
	s_cbranch_execz .LBB194_112
; %bb.111:                              ;   in Loop: Header=BB194_66 Depth=2
	ds_load_b32 v100, v28
	s_waitcnt lgkmcnt(0)
	v_sub_nc_u32_e32 v27, v100, v27
	ds_store_b32 v28, v27
.LBB194_112:                            ;   in Loop: Header=BB194_66 Depth=2
	s_or_b32 exec_lo, exec_lo, s16
	v_add_nc_u32_e32 v103, v26, v99
	v_add3_u32 v100, v102, v101, v20
	v_add3_u32 v99, v105, v104, v21
	;; [unrolled: 1-line block ×7, first 2 shown]
	v_cmp_lt_u32_e64 s22, v1, v2
	ds_store_b8 v103, v91 offset:1024
	ds_store_b8 v100, v92 offset:1024
	;; [unrolled: 1-line block ×8, first 2 shown]
	s_waitcnt lgkmcnt(0)
	s_barrier
	buffer_gl0_inv
	s_and_saveexec_b32 s16, s22
	s_cbranch_execz .LBB194_120
; %bb.113:                              ;   in Loop: Header=BB194_66 Depth=2
	ds_load_u8 v20, v1 offset:1024
	s_waitcnt lgkmcnt(0)
	v_and_b32_e32 v21, 0xff, v20
	s_delay_alu instid0(VALU_DEP_1) | instskip(NEXT) | instid1(VALU_DEP_1)
	v_lshrrev_b32_e32 v21, s30, v21
	v_and_b32_e32 v21, s31, v21
	s_delay_alu instid0(VALU_DEP_1)
	v_lshlrev_b32_e32 v21, 2, v21
	ds_load_b32 v21, v21
	s_waitcnt lgkmcnt(0)
	v_add_nc_u32_e32 v21, v21, v1
	global_store_b8 v21, v20, s[38:39]
	s_or_b32 exec_lo, exec_lo, s16
	v_cmp_lt_u32_e64 s21, v29, v2
	s_delay_alu instid0(VALU_DEP_1)
	s_and_saveexec_b32 s16, s21
	s_cbranch_execnz .LBB194_121
.LBB194_114:                            ;   in Loop: Header=BB194_66 Depth=2
	s_or_b32 exec_lo, exec_lo, s16
	v_cmp_lt_u32_e64 s20, v30, v2
	s_delay_alu instid0(VALU_DEP_1)
	s_and_saveexec_b32 s16, s20
	s_cbranch_execz .LBB194_122
.LBB194_115:                            ;   in Loop: Header=BB194_66 Depth=2
	ds_load_u8 v20, v35 offset:512
	s_waitcnt lgkmcnt(0)
	v_and_b32_e32 v21, 0xff, v20
	s_delay_alu instid0(VALU_DEP_1) | instskip(NEXT) | instid1(VALU_DEP_1)
	v_lshrrev_b32_e32 v21, s30, v21
	v_and_b32_e32 v21, s31, v21
	s_delay_alu instid0(VALU_DEP_1)
	v_lshlrev_b32_e32 v21, 2, v21
	ds_load_b32 v21, v21
	s_waitcnt lgkmcnt(0)
	v_add_nc_u32_e32 v21, v21, v30
	global_store_b8 v21, v20, s[38:39]
	s_or_b32 exec_lo, exec_lo, s16
	v_cmp_lt_u32_e64 s19, v31, v2
	s_delay_alu instid0(VALU_DEP_1)
	s_and_saveexec_b32 s16, s19
	s_cbranch_execnz .LBB194_123
.LBB194_116:                            ;   in Loop: Header=BB194_66 Depth=2
	s_or_b32 exec_lo, exec_lo, s16
	v_cmp_lt_u32_e64 s18, v35, v2
	s_delay_alu instid0(VALU_DEP_1)
	s_and_saveexec_b32 s16, s18
	s_cbranch_execz .LBB194_124
.LBB194_117:                            ;   in Loop: Header=BB194_66 Depth=2
	ds_load_u8 v20, v35 offset:1024
	s_waitcnt lgkmcnt(0)
	v_and_b32_e32 v21, 0xff, v20
	s_delay_alu instid0(VALU_DEP_1) | instskip(NEXT) | instid1(VALU_DEP_1)
	v_lshrrev_b32_e32 v21, s30, v21
	v_and_b32_e32 v21, s31, v21
	s_delay_alu instid0(VALU_DEP_1)
	v_lshlrev_b32_e32 v21, 2, v21
	ds_load_b32 v21, v21
	s_waitcnt lgkmcnt(0)
	v_add_nc_u32_e32 v21, v21, v35
	global_store_b8 v21, v20, s[38:39]
	s_or_b32 exec_lo, exec_lo, s16
	v_cmp_lt_u32_e64 s17, v36, v2
	s_delay_alu instid0(VALU_DEP_1)
	s_and_saveexec_b32 s16, s17
	s_cbranch_execnz .LBB194_125
.LBB194_118:                            ;   in Loop: Header=BB194_66 Depth=2
	s_or_b32 exec_lo, exec_lo, s16
	v_cmp_lt_u32_e64 s16, v37, v2
	s_delay_alu instid0(VALU_DEP_1)
	s_and_saveexec_b32 s23, s16
	s_cbranch_execz .LBB194_126
.LBB194_119:                            ;   in Loop: Header=BB194_66 Depth=2
	ds_load_u8 v20, v35 offset:1536
	s_waitcnt lgkmcnt(0)
	v_and_b32_e32 v21, 0xff, v20
	s_delay_alu instid0(VALU_DEP_1) | instskip(NEXT) | instid1(VALU_DEP_1)
	v_lshrrev_b32_e32 v21, s30, v21
	v_and_b32_e32 v21, s31, v21
	s_delay_alu instid0(VALU_DEP_1)
	v_lshlrev_b32_e32 v21, 2, v21
	ds_load_b32 v21, v21
	s_waitcnt lgkmcnt(0)
	v_add_nc_u32_e32 v21, v21, v37
	global_store_b8 v21, v20, s[38:39]
	s_or_b32 exec_lo, exec_lo, s23
	v_cmp_lt_u32_e32 vcc_lo, v39, v2
	s_and_saveexec_b32 s23, vcc_lo
	s_cbranch_execnz .LBB194_127
	s_branch .LBB194_128
.LBB194_120:                            ;   in Loop: Header=BB194_66 Depth=2
	s_or_b32 exec_lo, exec_lo, s16
	v_cmp_lt_u32_e64 s21, v29, v2
	s_delay_alu instid0(VALU_DEP_1)
	s_and_saveexec_b32 s16, s21
	s_cbranch_execz .LBB194_114
.LBB194_121:                            ;   in Loop: Header=BB194_66 Depth=2
	ds_load_u8 v20, v35 offset:256
	s_waitcnt lgkmcnt(0)
	v_and_b32_e32 v21, 0xff, v20
	s_delay_alu instid0(VALU_DEP_1) | instskip(NEXT) | instid1(VALU_DEP_1)
	v_lshrrev_b32_e32 v21, s30, v21
	v_and_b32_e32 v21, s31, v21
	s_delay_alu instid0(VALU_DEP_1)
	v_lshlrev_b32_e32 v21, 2, v21
	ds_load_b32 v21, v21
	s_waitcnt lgkmcnt(0)
	v_add_nc_u32_e32 v21, v21, v29
	global_store_b8 v21, v20, s[38:39]
	s_or_b32 exec_lo, exec_lo, s16
	v_cmp_lt_u32_e64 s20, v30, v2
	s_delay_alu instid0(VALU_DEP_1)
	s_and_saveexec_b32 s16, s20
	s_cbranch_execnz .LBB194_115
.LBB194_122:                            ;   in Loop: Header=BB194_66 Depth=2
	s_or_b32 exec_lo, exec_lo, s16
	v_cmp_lt_u32_e64 s19, v31, v2
	s_delay_alu instid0(VALU_DEP_1)
	s_and_saveexec_b32 s16, s19
	s_cbranch_execz .LBB194_116
.LBB194_123:                            ;   in Loop: Header=BB194_66 Depth=2
	ds_load_u8 v20, v35 offset:768
	s_waitcnt lgkmcnt(0)
	v_and_b32_e32 v21, 0xff, v20
	s_delay_alu instid0(VALU_DEP_1) | instskip(NEXT) | instid1(VALU_DEP_1)
	v_lshrrev_b32_e32 v21, s30, v21
	v_and_b32_e32 v21, s31, v21
	s_delay_alu instid0(VALU_DEP_1)
	v_lshlrev_b32_e32 v21, 2, v21
	ds_load_b32 v21, v21
	s_waitcnt lgkmcnt(0)
	v_add_nc_u32_e32 v21, v21, v31
	global_store_b8 v21, v20, s[38:39]
	s_or_b32 exec_lo, exec_lo, s16
	v_cmp_lt_u32_e64 s18, v35, v2
	s_delay_alu instid0(VALU_DEP_1)
	s_and_saveexec_b32 s16, s18
	s_cbranch_execnz .LBB194_117
.LBB194_124:                            ;   in Loop: Header=BB194_66 Depth=2
	s_or_b32 exec_lo, exec_lo, s16
	v_cmp_lt_u32_e64 s17, v36, v2
	s_delay_alu instid0(VALU_DEP_1)
	s_and_saveexec_b32 s16, s17
	s_cbranch_execz .LBB194_118
.LBB194_125:                            ;   in Loop: Header=BB194_66 Depth=2
	ds_load_u8 v20, v35 offset:1280
	s_waitcnt lgkmcnt(0)
	v_and_b32_e32 v21, 0xff, v20
	s_delay_alu instid0(VALU_DEP_1) | instskip(NEXT) | instid1(VALU_DEP_1)
	v_lshrrev_b32_e32 v21, s30, v21
	v_and_b32_e32 v21, s31, v21
	s_delay_alu instid0(VALU_DEP_1)
	v_lshlrev_b32_e32 v21, 2, v21
	ds_load_b32 v21, v21
	s_waitcnt lgkmcnt(0)
	v_add_nc_u32_e32 v21, v21, v36
	global_store_b8 v21, v20, s[38:39]
	s_or_b32 exec_lo, exec_lo, s16
	v_cmp_lt_u32_e64 s16, v37, v2
	s_delay_alu instid0(VALU_DEP_1)
	s_and_saveexec_b32 s23, s16
	s_cbranch_execnz .LBB194_119
.LBB194_126:                            ;   in Loop: Header=BB194_66 Depth=2
	s_or_b32 exec_lo, exec_lo, s23
	v_cmp_lt_u32_e32 vcc_lo, v39, v2
	s_and_saveexec_b32 s23, vcc_lo
	s_cbranch_execz .LBB194_128
.LBB194_127:                            ;   in Loop: Header=BB194_66 Depth=2
	ds_load_u8 v20, v35 offset:1792
	s_waitcnt lgkmcnt(0)
	v_and_b32_e32 v21, 0xff, v20
	s_delay_alu instid0(VALU_DEP_1) | instskip(NEXT) | instid1(VALU_DEP_1)
	v_lshrrev_b32_e32 v21, s30, v21
	v_and_b32_e32 v21, s31, v21
	s_delay_alu instid0(VALU_DEP_1)
	v_lshlrev_b32_e32 v21, 2, v21
	ds_load_b32 v21, v21
	s_waitcnt lgkmcnt(0)
	v_add_nc_u32_e32 v21, v21, v39
	global_store_b8 v21, v20, s[38:39]
.LBB194_128:                            ;   in Loop: Header=BB194_66 Depth=2
	s_or_b32 exec_lo, exec_lo, s23
	s_lshl_b64 s[52:53], s[24:25], 3
	s_delay_alu instid0(SALU_CYCLE_1) | instskip(NEXT) | instid1(VALU_DEP_1)
	v_add_co_u32 v20, s23, v71, s52
	v_add_co_ci_u32_e64 v21, s23, s53, v72, s23
	v_cmp_lt_u32_e64 s23, v70, v2
	s_delay_alu instid0(VALU_DEP_1) | instskip(NEXT) | instid1(SALU_CYCLE_1)
	s_and_saveexec_b32 s24, s23
	s_xor_b32 s23, exec_lo, s24
	s_cbranch_execz .LBB194_144
; %bb.129:                              ;   in Loop: Header=BB194_66 Depth=2
	global_load_b64 v[18:19], v[20:21], off
	s_or_b32 exec_lo, exec_lo, s23
	s_delay_alu instid0(SALU_CYCLE_1)
	s_mov_b32 s24, exec_lo
	v_cmpx_lt_u32_e64 v73, v2
	s_cbranch_execnz .LBB194_145
.LBB194_130:                            ;   in Loop: Header=BB194_66 Depth=2
	s_or_b32 exec_lo, exec_lo, s24
	s_delay_alu instid0(SALU_CYCLE_1)
	s_mov_b32 s24, exec_lo
	v_cmpx_lt_u32_e64 v74, v2
	s_cbranch_execz .LBB194_146
.LBB194_131:                            ;   in Loop: Header=BB194_66 Depth=2
	global_load_b64 v[14:15], v[20:21], off offset:512
	s_or_b32 exec_lo, exec_lo, s24
	s_delay_alu instid0(SALU_CYCLE_1)
	s_mov_b32 s24, exec_lo
	v_cmpx_lt_u32_e64 v75, v2
	s_cbranch_execnz .LBB194_147
.LBB194_132:                            ;   in Loop: Header=BB194_66 Depth=2
	s_or_b32 exec_lo, exec_lo, s24
	s_delay_alu instid0(SALU_CYCLE_1)
	s_mov_b32 s24, exec_lo
	v_cmpx_lt_u32_e64 v76, v2
	s_cbranch_execz .LBB194_148
.LBB194_133:                            ;   in Loop: Header=BB194_66 Depth=2
	global_load_b64 v[10:11], v[20:21], off offset:1024
	s_or_b32 exec_lo, exec_lo, s24
	s_delay_alu instid0(SALU_CYCLE_1)
	s_mov_b32 s24, exec_lo
	v_cmpx_lt_u32_e64 v77, v2
	s_cbranch_execnz .LBB194_149
.LBB194_134:                            ;   in Loop: Header=BB194_66 Depth=2
	s_or_b32 exec_lo, exec_lo, s24
	s_delay_alu instid0(SALU_CYCLE_1)
	s_mov_b32 s24, exec_lo
	v_cmpx_lt_u32_e64 v78, v2
	s_cbranch_execz .LBB194_150
.LBB194_135:                            ;   in Loop: Header=BB194_66 Depth=2
	global_load_b64 v[6:7], v[20:21], off offset:1536
	s_or_b32 exec_lo, exec_lo, s24
	s_delay_alu instid0(SALU_CYCLE_1)
	s_mov_b32 s24, exec_lo
	v_cmpx_lt_u32_e64 v79, v2
	s_cbranch_execnz .LBB194_151
.LBB194_136:                            ;   in Loop: Header=BB194_66 Depth=2
	s_or_b32 exec_lo, exec_lo, s24
	s_and_saveexec_b32 s23, s22
	s_cbranch_execz .LBB194_152
.LBB194_137:                            ;   in Loop: Header=BB194_66 Depth=2
	ds_load_u8 v2, v1 offset:1024
	s_waitcnt lgkmcnt(0)
	v_lshrrev_b32_e32 v2, s30, v2
	s_delay_alu instid0(VALU_DEP_1)
	v_and_b32_e32 v90, s31, v2
	s_or_b32 exec_lo, exec_lo, s23
	s_and_saveexec_b32 s23, s21
	s_cbranch_execnz .LBB194_153
.LBB194_138:                            ;   in Loop: Header=BB194_66 Depth=2
	s_or_b32 exec_lo, exec_lo, s23
	s_and_saveexec_b32 s23, s20
	s_cbranch_execz .LBB194_154
.LBB194_139:                            ;   in Loop: Header=BB194_66 Depth=2
	ds_load_u8 v2, v35 offset:512
	s_waitcnt lgkmcnt(0)
	v_lshrrev_b32_e32 v2, s30, v2
	s_delay_alu instid0(VALU_DEP_1)
	v_and_b32_e32 v88, s31, v2
	s_or_b32 exec_lo, exec_lo, s23
	s_and_saveexec_b32 s23, s19
	s_cbranch_execnz .LBB194_155
.LBB194_140:                            ;   in Loop: Header=BB194_66 Depth=2
	s_or_b32 exec_lo, exec_lo, s23
	s_and_saveexec_b32 s23, s18
	s_cbranch_execz .LBB194_156
.LBB194_141:                            ;   in Loop: Header=BB194_66 Depth=2
	ds_load_u8 v2, v35 offset:1024
	s_waitcnt lgkmcnt(0)
	v_lshrrev_b32_e32 v2, s30, v2
	s_delay_alu instid0(VALU_DEP_1)
	v_and_b32_e32 v86, s31, v2
	s_or_b32 exec_lo, exec_lo, s23
	s_and_saveexec_b32 s23, s17
	s_cbranch_execnz .LBB194_157
.LBB194_142:                            ;   in Loop: Header=BB194_66 Depth=2
	s_or_b32 exec_lo, exec_lo, s23
	s_and_saveexec_b32 s23, s16
	s_cbranch_execz .LBB194_158
.LBB194_143:                            ;   in Loop: Header=BB194_66 Depth=2
	ds_load_u8 v2, v35 offset:1536
	s_waitcnt lgkmcnt(0)
	v_lshrrev_b32_e32 v2, s30, v2
	s_delay_alu instid0(VALU_DEP_1)
	v_and_b32_e32 v84, s31, v2
	s_or_b32 exec_lo, exec_lo, s23
	s_and_saveexec_b32 s23, vcc_lo
	s_cbranch_execnz .LBB194_159
	s_branch .LBB194_160
.LBB194_144:                            ;   in Loop: Header=BB194_66 Depth=2
	s_or_b32 exec_lo, exec_lo, s23
	s_delay_alu instid0(SALU_CYCLE_1)
	s_mov_b32 s24, exec_lo
	v_cmpx_lt_u32_e64 v73, v2
	s_cbranch_execz .LBB194_130
.LBB194_145:                            ;   in Loop: Header=BB194_66 Depth=2
	global_load_b64 v[16:17], v[20:21], off offset:256
	s_or_b32 exec_lo, exec_lo, s24
	s_delay_alu instid0(SALU_CYCLE_1)
	s_mov_b32 s24, exec_lo
	v_cmpx_lt_u32_e64 v74, v2
	s_cbranch_execnz .LBB194_131
.LBB194_146:                            ;   in Loop: Header=BB194_66 Depth=2
	s_or_b32 exec_lo, exec_lo, s24
	s_delay_alu instid0(SALU_CYCLE_1)
	s_mov_b32 s24, exec_lo
	v_cmpx_lt_u32_e64 v75, v2
	s_cbranch_execz .LBB194_132
.LBB194_147:                            ;   in Loop: Header=BB194_66 Depth=2
	global_load_b64 v[12:13], v[20:21], off offset:768
	s_or_b32 exec_lo, exec_lo, s24
	s_delay_alu instid0(SALU_CYCLE_1)
	s_mov_b32 s24, exec_lo
	v_cmpx_lt_u32_e64 v76, v2
	s_cbranch_execnz .LBB194_133
.LBB194_148:                            ;   in Loop: Header=BB194_66 Depth=2
	s_or_b32 exec_lo, exec_lo, s24
	s_delay_alu instid0(SALU_CYCLE_1)
	s_mov_b32 s24, exec_lo
	v_cmpx_lt_u32_e64 v77, v2
	s_cbranch_execz .LBB194_134
.LBB194_149:                            ;   in Loop: Header=BB194_66 Depth=2
	global_load_b64 v[8:9], v[20:21], off offset:1280
	s_or_b32 exec_lo, exec_lo, s24
	s_delay_alu instid0(SALU_CYCLE_1)
	s_mov_b32 s24, exec_lo
	v_cmpx_lt_u32_e64 v78, v2
	s_cbranch_execnz .LBB194_135
.LBB194_150:                            ;   in Loop: Header=BB194_66 Depth=2
	s_or_b32 exec_lo, exec_lo, s24
	s_delay_alu instid0(SALU_CYCLE_1)
	s_mov_b32 s24, exec_lo
	v_cmpx_lt_u32_e64 v79, v2
	s_cbranch_execz .LBB194_136
.LBB194_151:                            ;   in Loop: Header=BB194_66 Depth=2
	global_load_b64 v[4:5], v[20:21], off offset:1792
	s_or_b32 exec_lo, exec_lo, s24
	s_and_saveexec_b32 s23, s22
	s_cbranch_execnz .LBB194_137
.LBB194_152:                            ;   in Loop: Header=BB194_66 Depth=2
	s_or_b32 exec_lo, exec_lo, s23
	s_and_saveexec_b32 s23, s21
	s_cbranch_execz .LBB194_138
.LBB194_153:                            ;   in Loop: Header=BB194_66 Depth=2
	ds_load_u8 v2, v35 offset:256
	s_waitcnt lgkmcnt(0)
	v_lshrrev_b32_e32 v2, s30, v2
	s_delay_alu instid0(VALU_DEP_1)
	v_and_b32_e32 v89, s31, v2
	s_or_b32 exec_lo, exec_lo, s23
	s_and_saveexec_b32 s23, s20
	s_cbranch_execnz .LBB194_139
.LBB194_154:                            ;   in Loop: Header=BB194_66 Depth=2
	s_or_b32 exec_lo, exec_lo, s23
	s_and_saveexec_b32 s23, s19
	s_cbranch_execz .LBB194_140
.LBB194_155:                            ;   in Loop: Header=BB194_66 Depth=2
	ds_load_u8 v2, v35 offset:768
	s_waitcnt lgkmcnt(0)
	v_lshrrev_b32_e32 v2, s30, v2
	s_delay_alu instid0(VALU_DEP_1)
	v_and_b32_e32 v87, s31, v2
	s_or_b32 exec_lo, exec_lo, s23
	s_and_saveexec_b32 s23, s18
	s_cbranch_execnz .LBB194_141
.LBB194_156:                            ;   in Loop: Header=BB194_66 Depth=2
	s_or_b32 exec_lo, exec_lo, s23
	s_and_saveexec_b32 s23, s17
	s_cbranch_execz .LBB194_142
.LBB194_157:                            ;   in Loop: Header=BB194_66 Depth=2
	ds_load_u8 v2, v35 offset:1280
	s_waitcnt lgkmcnt(0)
	v_lshrrev_b32_e32 v2, s30, v2
	s_delay_alu instid0(VALU_DEP_1)
	v_and_b32_e32 v85, s31, v2
	s_or_b32 exec_lo, exec_lo, s23
	s_and_saveexec_b32 s23, s16
	s_cbranch_execnz .LBB194_143
.LBB194_158:                            ;   in Loop: Header=BB194_66 Depth=2
	s_or_b32 exec_lo, exec_lo, s23
	s_and_saveexec_b32 s23, vcc_lo
	s_cbranch_execz .LBB194_160
.LBB194_159:                            ;   in Loop: Header=BB194_66 Depth=2
	ds_load_u8 v2, v35 offset:1792
	s_waitcnt lgkmcnt(0)
	v_lshrrev_b32_e32 v2, s30, v2
	s_delay_alu instid0(VALU_DEP_1)
	v_and_b32_e32 v83, s31, v2
.LBB194_160:                            ;   in Loop: Header=BB194_66 Depth=2
	s_or_b32 exec_lo, exec_lo, s23
	v_lshlrev_b32_e32 v2, 3, v103
	v_lshlrev_b32_e32 v20, 3, v100
	;; [unrolled: 1-line block ×3, first 2 shown]
	s_waitcnt vmcnt(0)
	s_waitcnt_vscnt null, 0x0
	s_barrier
	buffer_gl0_inv
	ds_store_b64 v2, v[18:19] offset:1024
	ds_store_b64 v20, v[16:17] offset:1024
	;; [unrolled: 1-line block ×3, first 2 shown]
	v_lshlrev_b32_e32 v2, 3, v27
	v_lshlrev_b32_e32 v20, 3, v26
	;; [unrolled: 1-line block ×5, first 2 shown]
	ds_store_b64 v2, v[12:13] offset:1024
	ds_store_b64 v20, v[10:11] offset:1024
	;; [unrolled: 1-line block ×5, first 2 shown]
	s_waitcnt lgkmcnt(0)
	s_barrier
	buffer_gl0_inv
	s_and_saveexec_b32 s23, s22
	s_cbranch_execz .LBB194_168
; %bb.161:                              ;   in Loop: Header=BB194_66 Depth=2
	v_lshlrev_b32_e32 v2, 2, v90
	v_add_nc_u32_e32 v20, v1, v52
	ds_load_b32 v2, v2
	ds_load_b64 v[20:21], v20 offset:1024
	s_waitcnt lgkmcnt(1)
	v_add_nc_u32_e32 v2, v2, v1
	s_delay_alu instid0(VALU_DEP_1) | instskip(NEXT) | instid1(VALU_DEP_1)
	v_lshlrev_b64 v[23:24], 3, v[2:3]
	v_add_co_u32 v23, s22, s44, v23
	s_delay_alu instid0(VALU_DEP_1)
	v_add_co_ci_u32_e64 v24, s22, s45, v24, s22
	s_waitcnt lgkmcnt(0)
	global_store_b64 v[23:24], v[20:21], off
	s_or_b32 exec_lo, exec_lo, s23
	s_and_saveexec_b32 s22, s21
	s_cbranch_execnz .LBB194_169
.LBB194_162:                            ;   in Loop: Header=BB194_66 Depth=2
	s_or_b32 exec_lo, exec_lo, s22
	s_and_saveexec_b32 s21, s20
	s_cbranch_execz .LBB194_170
.LBB194_163:                            ;   in Loop: Header=BB194_66 Depth=2
	v_lshlrev_b32_e32 v2, 2, v88
	v_add_nc_u32_e32 v20, v35, v52
	ds_load_b32 v2, v2
	ds_load_b64 v[20:21], v20 offset:4096
	s_waitcnt lgkmcnt(1)
	v_add_nc_u32_e32 v2, v2, v30
	s_delay_alu instid0(VALU_DEP_1) | instskip(NEXT) | instid1(VALU_DEP_1)
	v_lshlrev_b64 v[23:24], 3, v[2:3]
	v_add_co_u32 v23, s20, s44, v23
	s_delay_alu instid0(VALU_DEP_1)
	v_add_co_ci_u32_e64 v24, s20, s45, v24, s20
	s_waitcnt lgkmcnt(0)
	global_store_b64 v[23:24], v[20:21], off
	s_or_b32 exec_lo, exec_lo, s21
	s_and_saveexec_b32 s20, s19
	s_cbranch_execnz .LBB194_171
.LBB194_164:                            ;   in Loop: Header=BB194_66 Depth=2
	s_or_b32 exec_lo, exec_lo, s20
	s_and_saveexec_b32 s19, s18
	s_cbranch_execz .LBB194_172
.LBB194_165:                            ;   in Loop: Header=BB194_66 Depth=2
	v_lshlrev_b32_e32 v2, 2, v86
	v_add_nc_u32_e32 v20, v35, v52
	ds_load_b32 v2, v2
	ds_load_b64 v[20:21], v20 offset:8192
	s_waitcnt lgkmcnt(1)
	v_add_nc_u32_e32 v2, v2, v35
	s_delay_alu instid0(VALU_DEP_1) | instskip(NEXT) | instid1(VALU_DEP_1)
	v_lshlrev_b64 v[23:24], 3, v[2:3]
	v_add_co_u32 v23, s18, s44, v23
	s_delay_alu instid0(VALU_DEP_1)
	v_add_co_ci_u32_e64 v24, s18, s45, v24, s18
	s_waitcnt lgkmcnt(0)
	global_store_b64 v[23:24], v[20:21], off
	s_or_b32 exec_lo, exec_lo, s19
	s_and_saveexec_b32 s18, s17
	s_cbranch_execnz .LBB194_173
.LBB194_166:                            ;   in Loop: Header=BB194_66 Depth=2
	s_or_b32 exec_lo, exec_lo, s18
	s_and_saveexec_b32 s17, s16
	s_cbranch_execz .LBB194_174
.LBB194_167:                            ;   in Loop: Header=BB194_66 Depth=2
	v_lshlrev_b32_e32 v2, 2, v84
	v_add_nc_u32_e32 v20, v35, v52
	ds_load_b32 v2, v2
	ds_load_b64 v[20:21], v20 offset:12288
	s_waitcnt lgkmcnt(1)
	v_add_nc_u32_e32 v2, v2, v37
	s_delay_alu instid0(VALU_DEP_1) | instskip(NEXT) | instid1(VALU_DEP_1)
	v_lshlrev_b64 v[23:24], 3, v[2:3]
	v_add_co_u32 v23, s16, s44, v23
	s_delay_alu instid0(VALU_DEP_1)
	v_add_co_ci_u32_e64 v24, s16, s45, v24, s16
	s_waitcnt lgkmcnt(0)
	global_store_b64 v[23:24], v[20:21], off
	s_or_b32 exec_lo, exec_lo, s17
	s_and_saveexec_b32 s16, vcc_lo
	s_cbranch_execnz .LBB194_175
	s_branch .LBB194_176
.LBB194_168:                            ;   in Loop: Header=BB194_66 Depth=2
	s_or_b32 exec_lo, exec_lo, s23
	s_and_saveexec_b32 s22, s21
	s_cbranch_execz .LBB194_162
.LBB194_169:                            ;   in Loop: Header=BB194_66 Depth=2
	v_lshlrev_b32_e32 v2, 2, v89
	v_add_nc_u32_e32 v20, v35, v52
	ds_load_b32 v2, v2
	ds_load_b64 v[20:21], v20 offset:2048
	s_waitcnt lgkmcnt(1)
	v_add_nc_u32_e32 v2, v2, v29
	s_delay_alu instid0(VALU_DEP_1) | instskip(NEXT) | instid1(VALU_DEP_1)
	v_lshlrev_b64 v[23:24], 3, v[2:3]
	v_add_co_u32 v23, s21, s44, v23
	s_delay_alu instid0(VALU_DEP_1)
	v_add_co_ci_u32_e64 v24, s21, s45, v24, s21
	s_waitcnt lgkmcnt(0)
	global_store_b64 v[23:24], v[20:21], off
	s_or_b32 exec_lo, exec_lo, s22
	s_and_saveexec_b32 s21, s20
	s_cbranch_execnz .LBB194_163
.LBB194_170:                            ;   in Loop: Header=BB194_66 Depth=2
	s_or_b32 exec_lo, exec_lo, s21
	s_and_saveexec_b32 s20, s19
	s_cbranch_execz .LBB194_164
.LBB194_171:                            ;   in Loop: Header=BB194_66 Depth=2
	v_lshlrev_b32_e32 v2, 2, v87
	v_add_nc_u32_e32 v20, v35, v52
	ds_load_b32 v2, v2
	ds_load_b64 v[20:21], v20 offset:6144
	s_waitcnt lgkmcnt(1)
	v_add_nc_u32_e32 v2, v2, v31
	s_delay_alu instid0(VALU_DEP_1) | instskip(NEXT) | instid1(VALU_DEP_1)
	v_lshlrev_b64 v[23:24], 3, v[2:3]
	v_add_co_u32 v23, s19, s44, v23
	s_delay_alu instid0(VALU_DEP_1)
	v_add_co_ci_u32_e64 v24, s19, s45, v24, s19
	s_waitcnt lgkmcnt(0)
	global_store_b64 v[23:24], v[20:21], off
	s_or_b32 exec_lo, exec_lo, s20
	s_and_saveexec_b32 s19, s18
	s_cbranch_execnz .LBB194_165
.LBB194_172:                            ;   in Loop: Header=BB194_66 Depth=2
	s_or_b32 exec_lo, exec_lo, s19
	s_and_saveexec_b32 s18, s17
	s_cbranch_execz .LBB194_166
.LBB194_173:                            ;   in Loop: Header=BB194_66 Depth=2
	v_lshlrev_b32_e32 v2, 2, v85
	v_add_nc_u32_e32 v20, v35, v52
	ds_load_b32 v2, v2
	ds_load_b64 v[20:21], v20 offset:10240
	s_waitcnt lgkmcnt(1)
	v_add_nc_u32_e32 v2, v2, v36
	s_delay_alu instid0(VALU_DEP_1) | instskip(NEXT) | instid1(VALU_DEP_1)
	v_lshlrev_b64 v[23:24], 3, v[2:3]
	v_add_co_u32 v23, s17, s44, v23
	s_delay_alu instid0(VALU_DEP_1)
	v_add_co_ci_u32_e64 v24, s17, s45, v24, s17
	s_waitcnt lgkmcnt(0)
	global_store_b64 v[23:24], v[20:21], off
	s_or_b32 exec_lo, exec_lo, s18
	s_and_saveexec_b32 s17, s16
	s_cbranch_execnz .LBB194_167
.LBB194_174:                            ;   in Loop: Header=BB194_66 Depth=2
	s_or_b32 exec_lo, exec_lo, s17
	s_and_saveexec_b32 s16, vcc_lo
	s_cbranch_execz .LBB194_176
.LBB194_175:                            ;   in Loop: Header=BB194_66 Depth=2
	v_lshlrev_b32_e32 v2, 2, v83
	v_add_nc_u32_e32 v20, v35, v52
	ds_load_b32 v2, v2
	ds_load_b64 v[20:21], v20 offset:14336
	s_waitcnt lgkmcnt(1)
	v_add_nc_u32_e32 v2, v2, v39
	s_delay_alu instid0(VALU_DEP_1) | instskip(NEXT) | instid1(VALU_DEP_1)
	v_lshlrev_b64 v[23:24], 3, v[2:3]
	v_add_co_u32 v23, vcc_lo, s44, v23
	s_delay_alu instid0(VALU_DEP_2)
	v_add_co_ci_u32_e32 v24, vcc_lo, s45, v24, vcc_lo
	s_waitcnt lgkmcnt(0)
	global_store_b64 v[23:24], v[20:21], off
.LBB194_176:                            ;   in Loop: Header=BB194_66 Depth=2
	s_or_b32 exec_lo, exec_lo, s16
	s_waitcnt_vscnt null, 0x0
	s_barrier
	buffer_gl0_inv
	s_and_saveexec_b32 s16, s2
	s_cbranch_execz .LBB194_65
; %bb.177:                              ;   in Loop: Header=BB194_66 Depth=2
	ds_load_b32 v2, v28
	s_waitcnt lgkmcnt(0)
	v_add_nc_u32_e32 v2, v2, v22
	ds_store_b32 v28, v2
	s_branch .LBB194_65
.LBB194_178:                            ;   in Loop: Header=BB194_12 Depth=1
	s_waitcnt lgkmcnt(0)
	s_mov_b32 s0, 0
	s_barrier
.LBB194_179:                            ;   in Loop: Header=BB194_12 Depth=1
	s_and_b32 vcc_lo, exec_lo, s0
	s_cbranch_vccz .LBB194_345
; %bb.180:                              ;   in Loop: Header=BB194_12 Depth=1
	s_mov_b32 s0, s35
	s_mov_b32 s9, s27
	s_barrier
	buffer_gl0_inv
                                        ; implicit-def: $vgpr2
                                        ; implicit-def: $vgpr6
                                        ; implicit-def: $vgpr7
                                        ; implicit-def: $vgpr8
                                        ; implicit-def: $vgpr9
                                        ; implicit-def: $vgpr10
                                        ; implicit-def: $vgpr11
                                        ; implicit-def: $vgpr12
	s_branch .LBB194_182
.LBB194_181:                            ;   in Loop: Header=BB194_182 Depth=2
	s_or_b32 exec_lo, exec_lo, s8
	s_addk_i32 s0, 0xf800
	s_cmp_ge_u32 s1, s33
	s_mov_b32 s9, s1
	s_cbranch_scc1 .LBB194_220
.LBB194_182:                            ;   Parent Loop BB194_12 Depth=1
                                        ; =>  This Inner Loop Header: Depth=2
	s_add_i32 s1, s9, 0x800
	s_delay_alu instid0(SALU_CYCLE_1)
	s_cmp_gt_u32 s1, s33
	s_cbranch_scc1 .LBB194_185
; %bb.183:                              ;   in Loop: Header=BB194_182 Depth=2
	v_add_co_u32 v4, vcc_lo, v53, s9
	v_add_co_ci_u32_e32 v5, vcc_lo, 0, v54, vcc_lo
	s_mov_b32 s8, -1
	s_movk_i32 s12, 0x800
	s_clause 0x6
	global_load_u8 v20, v[4:5], off offset:1536
	global_load_u8 v19, v[4:5], off offset:1280
	;; [unrolled: 1-line block ×6, first 2 shown]
	global_load_u8 v14, v[4:5], off
	v_add_co_u32 v4, vcc_lo, 0x700, v4
	v_add_co_ci_u32_e32 v5, vcc_lo, 0, v5, vcc_lo
	s_cbranch_execz .LBB194_186
; %bb.184:                              ;   in Loop: Header=BB194_182 Depth=2
                                        ; implicit-def: $vgpr2
                                        ; implicit-def: $vgpr6
                                        ; implicit-def: $vgpr7
                                        ; implicit-def: $vgpr8
                                        ; implicit-def: $vgpr9
                                        ; implicit-def: $vgpr10
                                        ; implicit-def: $vgpr11
                                        ; implicit-def: $vgpr12
	v_mov_b32_e32 v13, s0
	s_and_saveexec_b32 s9, s8
	s_cbranch_execnz .LBB194_197
	s_branch .LBB194_198
.LBB194_185:                            ;   in Loop: Header=BB194_182 Depth=2
	s_mov_b32 s8, 0
                                        ; implicit-def: $sgpr12
                                        ; implicit-def: $vgpr14
                                        ; implicit-def: $vgpr15
                                        ; implicit-def: $vgpr16
                                        ; implicit-def: $vgpr17
                                        ; implicit-def: $vgpr18
                                        ; implicit-def: $vgpr19
                                        ; implicit-def: $vgpr20
                                        ; implicit-def: $vgpr4_vgpr5
.LBB194_186:                            ;   in Loop: Header=BB194_182 Depth=2
	s_add_u32 s10, s38, s9
	s_addc_u32 s11, s39, 0
	s_mov_b32 s12, exec_lo
	v_cmpx_gt_u32_e64 s0, v1
	s_cbranch_execz .LBB194_214
; %bb.187:                              ;   in Loop: Header=BB194_182 Depth=2
	v_add_co_u32 v4, s13, s10, v1
	s_delay_alu instid0(VALU_DEP_1) | instskip(SKIP_2) | instid1(SALU_CYCLE_1)
	v_add_co_ci_u32_e64 v5, null, s11, 0, s13
	global_load_u8 v2, v[4:5], off
	s_or_b32 exec_lo, exec_lo, s12
	s_mov_b32 s12, exec_lo
	v_cmpx_gt_u32_e64 s0, v29
	s_cbranch_execnz .LBB194_215
.LBB194_188:                            ;   in Loop: Header=BB194_182 Depth=2
	s_or_b32 exec_lo, exec_lo, s12
	s_delay_alu instid0(SALU_CYCLE_1)
	s_mov_b32 s12, exec_lo
	v_cmpx_gt_u32_e64 s0, v30
	s_cbranch_execz .LBB194_216
.LBB194_189:                            ;   in Loop: Header=BB194_182 Depth=2
	v_add_co_u32 v4, s13, s10, v1
	s_delay_alu instid0(VALU_DEP_1) | instskip(SKIP_2) | instid1(SALU_CYCLE_1)
	v_add_co_ci_u32_e64 v5, null, s11, 0, s13
	global_load_u8 v7, v[4:5], off offset:512
	s_or_b32 exec_lo, exec_lo, s12
	s_mov_b32 s12, exec_lo
	v_cmpx_gt_u32_e64 s0, v31
	s_cbranch_execnz .LBB194_217
.LBB194_190:                            ;   in Loop: Header=BB194_182 Depth=2
	s_or_b32 exec_lo, exec_lo, s12
	s_delay_alu instid0(SALU_CYCLE_1)
	s_mov_b32 s12, exec_lo
	v_cmpx_gt_u32_e64 s0, v35
	s_cbranch_execz .LBB194_218
.LBB194_191:                            ;   in Loop: Header=BB194_182 Depth=2
	v_add_co_u32 v4, s13, s10, v1
	s_delay_alu instid0(VALU_DEP_1) | instskip(SKIP_2) | instid1(SALU_CYCLE_1)
	v_add_co_ci_u32_e64 v5, null, s11, 0, s13
	global_load_u8 v9, v[4:5], off offset:1024
	s_or_b32 exec_lo, exec_lo, s12
	s_mov_b32 s12, exec_lo
	v_cmpx_gt_u32_e64 s0, v36
	s_cbranch_execnz .LBB194_219
.LBB194_192:                            ;   in Loop: Header=BB194_182 Depth=2
	s_or_b32 exec_lo, exec_lo, s12
	s_delay_alu instid0(SALU_CYCLE_1)
	s_mov_b32 s12, exec_lo
	v_cmpx_gt_u32_e64 s0, v37
	s_cbranch_execz .LBB194_194
.LBB194_193:                            ;   in Loop: Header=BB194_182 Depth=2
	v_add_co_u32 v4, s13, s10, v1
	s_delay_alu instid0(VALU_DEP_1)
	v_add_co_ci_u32_e64 v5, null, s11, 0, s13
	global_load_u8 v11, v[4:5], off offset:1536
.LBB194_194:                            ;   in Loop: Header=BB194_182 Depth=2
	s_or_b32 exec_lo, exec_lo, s12
	s_delay_alu instid0(SALU_CYCLE_1)
	s_mov_b32 s13, exec_lo
                                        ; implicit-def: $sgpr12
                                        ; implicit-def: $vgpr4_vgpr5
	v_cmpx_gt_u32_e64 s0, v39
; %bb.195:                              ;   in Loop: Header=BB194_182 Depth=2
	v_add_co_u32 v4, s10, s10, v1
	s_delay_alu instid0(VALU_DEP_1) | instskip(SKIP_1) | instid1(VALU_DEP_2)
	v_add_co_ci_u32_e64 v5, null, s11, 0, s10
	s_sub_i32 s12, s33, s9
	v_add_co_u32 v4, vcc_lo, 0x700, v4
	s_delay_alu instid0(VALU_DEP_2)
	v_add_co_ci_u32_e32 v5, vcc_lo, 0, v5, vcc_lo
	s_or_b32 s8, s8, exec_lo
                                        ; implicit-def: $vgpr12
; %bb.196:                              ;   in Loop: Header=BB194_182 Depth=2
	s_or_b32 exec_lo, exec_lo, s13
	s_waitcnt vmcnt(0)
	v_dual_mov_b32 v14, v2 :: v_dual_mov_b32 v17, v8
	v_dual_mov_b32 v15, v6 :: v_dual_mov_b32 v16, v7
	;; [unrolled: 1-line block ×4, first 2 shown]
	s_and_saveexec_b32 s9, s8
	s_cbranch_execz .LBB194_198
.LBB194_197:                            ;   in Loop: Header=BB194_182 Depth=2
	global_load_u8 v12, v[4:5], off
	s_waitcnt vmcnt(1)
	v_dual_mov_b32 v13, s12 :: v_dual_mov_b32 v2, v14
	v_dual_mov_b32 v6, v15 :: v_dual_mov_b32 v7, v16
	;; [unrolled: 1-line block ×4, first 2 shown]
.LBB194_198:                            ;   in Loop: Header=BB194_182 Depth=2
	s_or_b32 exec_lo, exec_lo, s9
	s_delay_alu instid0(SALU_CYCLE_1)
	s_mov_b32 s8, exec_lo
	v_cmpx_lt_u32_e64 v1, v13
	s_cbranch_execz .LBB194_206
; %bb.199:                              ;   in Loop: Header=BB194_182 Depth=2
	v_and_b32_e32 v4, 0xff, v2
	v_lshlrev_b32_e32 v5, 2, v32
	s_delay_alu instid0(VALU_DEP_2) | instskip(NEXT) | instid1(VALU_DEP_1)
	v_lshrrev_b32_e32 v4, s30, v4
	v_and_b32_e32 v4, s31, v4
	s_delay_alu instid0(VALU_DEP_1) | instskip(SKIP_2) | instid1(SALU_CYCLE_1)
	v_lshl_or_b32 v4, v4, 4, v5
	ds_add_u32 v4, v66
	s_or_b32 exec_lo, exec_lo, s8
	s_mov_b32 s8, exec_lo
	v_cmpx_lt_u32_e64 v29, v13
	s_cbranch_execnz .LBB194_207
.LBB194_200:                            ;   in Loop: Header=BB194_182 Depth=2
	s_or_b32 exec_lo, exec_lo, s8
	s_delay_alu instid0(SALU_CYCLE_1)
	s_mov_b32 s8, exec_lo
	v_cmpx_lt_u32_e64 v30, v13
	s_cbranch_execz .LBB194_208
.LBB194_201:                            ;   in Loop: Header=BB194_182 Depth=2
	v_and_b32_e32 v4, 0xff, v7
	v_lshlrev_b32_e32 v5, 2, v32
	s_delay_alu instid0(VALU_DEP_2) | instskip(NEXT) | instid1(VALU_DEP_1)
	v_lshrrev_b32_e32 v4, s30, v4
	v_and_b32_e32 v4, s31, v4
	s_delay_alu instid0(VALU_DEP_1) | instskip(SKIP_2) | instid1(SALU_CYCLE_1)
	v_lshl_or_b32 v4, v4, 4, v5
	ds_add_u32 v4, v66
	s_or_b32 exec_lo, exec_lo, s8
	s_mov_b32 s8, exec_lo
	v_cmpx_lt_u32_e64 v31, v13
	s_cbranch_execnz .LBB194_209
.LBB194_202:                            ;   in Loop: Header=BB194_182 Depth=2
	s_or_b32 exec_lo, exec_lo, s8
	s_delay_alu instid0(SALU_CYCLE_1)
	s_mov_b32 s8, exec_lo
	v_cmpx_lt_u32_e64 v35, v13
	s_cbranch_execz .LBB194_210
.LBB194_203:                            ;   in Loop: Header=BB194_182 Depth=2
	v_and_b32_e32 v4, 0xff, v9
	v_lshlrev_b32_e32 v5, 2, v32
	s_delay_alu instid0(VALU_DEP_2) | instskip(NEXT) | instid1(VALU_DEP_1)
	v_lshrrev_b32_e32 v4, s30, v4
	v_and_b32_e32 v4, s31, v4
	s_delay_alu instid0(VALU_DEP_1) | instskip(SKIP_2) | instid1(SALU_CYCLE_1)
	v_lshl_or_b32 v4, v4, 4, v5
	ds_add_u32 v4, v66
	s_or_b32 exec_lo, exec_lo, s8
	s_mov_b32 s8, exec_lo
	v_cmpx_lt_u32_e64 v36, v13
	s_cbranch_execnz .LBB194_211
.LBB194_204:                            ;   in Loop: Header=BB194_182 Depth=2
	s_or_b32 exec_lo, exec_lo, s8
	s_delay_alu instid0(SALU_CYCLE_1)
	s_mov_b32 s8, exec_lo
	v_cmpx_lt_u32_e64 v37, v13
	s_cbranch_execz .LBB194_212
.LBB194_205:                            ;   in Loop: Header=BB194_182 Depth=2
	v_and_b32_e32 v4, 0xff, v11
	v_lshlrev_b32_e32 v5, 2, v32
	s_delay_alu instid0(VALU_DEP_2) | instskip(NEXT) | instid1(VALU_DEP_1)
	v_lshrrev_b32_e32 v4, s30, v4
	v_and_b32_e32 v4, s31, v4
	s_delay_alu instid0(VALU_DEP_1) | instskip(SKIP_2) | instid1(SALU_CYCLE_1)
	v_lshl_or_b32 v4, v4, 4, v5
	ds_add_u32 v4, v66
	s_or_b32 exec_lo, exec_lo, s8
	s_mov_b32 s8, exec_lo
	v_cmpx_lt_u32_e64 v39, v13
	s_cbranch_execz .LBB194_181
	s_branch .LBB194_213
.LBB194_206:                            ;   in Loop: Header=BB194_182 Depth=2
	s_or_b32 exec_lo, exec_lo, s8
	s_delay_alu instid0(SALU_CYCLE_1)
	s_mov_b32 s8, exec_lo
	v_cmpx_lt_u32_e64 v29, v13
	s_cbranch_execz .LBB194_200
.LBB194_207:                            ;   in Loop: Header=BB194_182 Depth=2
	v_and_b32_e32 v4, 0xff, v6
	v_lshlrev_b32_e32 v5, 2, v32
	s_delay_alu instid0(VALU_DEP_2) | instskip(NEXT) | instid1(VALU_DEP_1)
	v_lshrrev_b32_e32 v4, s30, v4
	v_and_b32_e32 v4, s31, v4
	s_delay_alu instid0(VALU_DEP_1) | instskip(SKIP_2) | instid1(SALU_CYCLE_1)
	v_lshl_or_b32 v4, v4, 4, v5
	ds_add_u32 v4, v66
	s_or_b32 exec_lo, exec_lo, s8
	s_mov_b32 s8, exec_lo
	v_cmpx_lt_u32_e64 v30, v13
	s_cbranch_execnz .LBB194_201
.LBB194_208:                            ;   in Loop: Header=BB194_182 Depth=2
	s_or_b32 exec_lo, exec_lo, s8
	s_delay_alu instid0(SALU_CYCLE_1)
	s_mov_b32 s8, exec_lo
	v_cmpx_lt_u32_e64 v31, v13
	s_cbranch_execz .LBB194_202
.LBB194_209:                            ;   in Loop: Header=BB194_182 Depth=2
	v_and_b32_e32 v4, 0xff, v8
	v_lshlrev_b32_e32 v5, 2, v32
	s_delay_alu instid0(VALU_DEP_2) | instskip(NEXT) | instid1(VALU_DEP_1)
	v_lshrrev_b32_e32 v4, s30, v4
	v_and_b32_e32 v4, s31, v4
	s_delay_alu instid0(VALU_DEP_1) | instskip(SKIP_2) | instid1(SALU_CYCLE_1)
	v_lshl_or_b32 v4, v4, 4, v5
	ds_add_u32 v4, v66
	s_or_b32 exec_lo, exec_lo, s8
	s_mov_b32 s8, exec_lo
	v_cmpx_lt_u32_e64 v35, v13
	s_cbranch_execnz .LBB194_203
.LBB194_210:                            ;   in Loop: Header=BB194_182 Depth=2
	s_or_b32 exec_lo, exec_lo, s8
	s_delay_alu instid0(SALU_CYCLE_1)
	s_mov_b32 s8, exec_lo
	v_cmpx_lt_u32_e64 v36, v13
	s_cbranch_execz .LBB194_204
.LBB194_211:                            ;   in Loop: Header=BB194_182 Depth=2
	v_and_b32_e32 v4, 0xff, v10
	v_lshlrev_b32_e32 v5, 2, v32
	s_delay_alu instid0(VALU_DEP_2) | instskip(NEXT) | instid1(VALU_DEP_1)
	v_lshrrev_b32_e32 v4, s30, v4
	v_and_b32_e32 v4, s31, v4
	s_delay_alu instid0(VALU_DEP_1) | instskip(SKIP_2) | instid1(SALU_CYCLE_1)
	v_lshl_or_b32 v4, v4, 4, v5
	ds_add_u32 v4, v66
	s_or_b32 exec_lo, exec_lo, s8
	s_mov_b32 s8, exec_lo
	v_cmpx_lt_u32_e64 v37, v13
	s_cbranch_execnz .LBB194_205
.LBB194_212:                            ;   in Loop: Header=BB194_182 Depth=2
	s_or_b32 exec_lo, exec_lo, s8
	s_delay_alu instid0(SALU_CYCLE_1)
	s_mov_b32 s8, exec_lo
	v_cmpx_lt_u32_e64 v39, v13
	s_cbranch_execz .LBB194_181
.LBB194_213:                            ;   in Loop: Header=BB194_182 Depth=2
	s_waitcnt vmcnt(0)
	v_and_b32_e32 v4, 0xff, v12
	v_lshlrev_b32_e32 v5, 2, v32
	s_delay_alu instid0(VALU_DEP_2) | instskip(NEXT) | instid1(VALU_DEP_1)
	v_lshrrev_b32_e32 v4, s30, v4
	v_and_b32_e32 v4, s31, v4
	s_delay_alu instid0(VALU_DEP_1)
	v_lshl_or_b32 v4, v4, 4, v5
	ds_add_u32 v4, v66
	s_branch .LBB194_181
.LBB194_214:                            ;   in Loop: Header=BB194_182 Depth=2
	s_or_b32 exec_lo, exec_lo, s12
	s_delay_alu instid0(SALU_CYCLE_1)
	s_mov_b32 s12, exec_lo
	v_cmpx_gt_u32_e64 s0, v29
	s_cbranch_execz .LBB194_188
.LBB194_215:                            ;   in Loop: Header=BB194_182 Depth=2
	v_add_co_u32 v4, s13, s10, v1
	s_delay_alu instid0(VALU_DEP_1) | instskip(SKIP_2) | instid1(SALU_CYCLE_1)
	v_add_co_ci_u32_e64 v5, null, s11, 0, s13
	global_load_u8 v6, v[4:5], off offset:256
	s_or_b32 exec_lo, exec_lo, s12
	s_mov_b32 s12, exec_lo
	v_cmpx_gt_u32_e64 s0, v30
	s_cbranch_execnz .LBB194_189
.LBB194_216:                            ;   in Loop: Header=BB194_182 Depth=2
	s_or_b32 exec_lo, exec_lo, s12
	s_delay_alu instid0(SALU_CYCLE_1)
	s_mov_b32 s12, exec_lo
	v_cmpx_gt_u32_e64 s0, v31
	s_cbranch_execz .LBB194_190
.LBB194_217:                            ;   in Loop: Header=BB194_182 Depth=2
	v_add_co_u32 v4, s13, s10, v1
	s_delay_alu instid0(VALU_DEP_1) | instskip(SKIP_2) | instid1(SALU_CYCLE_1)
	v_add_co_ci_u32_e64 v5, null, s11, 0, s13
	global_load_u8 v8, v[4:5], off offset:768
	s_or_b32 exec_lo, exec_lo, s12
	s_mov_b32 s12, exec_lo
	v_cmpx_gt_u32_e64 s0, v35
	s_cbranch_execnz .LBB194_191
.LBB194_218:                            ;   in Loop: Header=BB194_182 Depth=2
	s_or_b32 exec_lo, exec_lo, s12
	s_delay_alu instid0(SALU_CYCLE_1)
	s_mov_b32 s12, exec_lo
	v_cmpx_gt_u32_e64 s0, v36
	s_cbranch_execz .LBB194_192
.LBB194_219:                            ;   in Loop: Header=BB194_182 Depth=2
	v_add_co_u32 v4, s13, s10, v1
	s_delay_alu instid0(VALU_DEP_1) | instskip(SKIP_2) | instid1(SALU_CYCLE_1)
	v_add_co_ci_u32_e64 v5, null, s11, 0, s13
	global_load_u8 v10, v[4:5], off offset:1280
	s_or_b32 exec_lo, exec_lo, s12
	s_mov_b32 s12, exec_lo
	v_cmpx_gt_u32_e64 s0, v37
	s_cbranch_execz .LBB194_194
	s_branch .LBB194_193
.LBB194_220:                            ;   in Loop: Header=BB194_12 Depth=1
	v_mov_b32_e32 v2, 0
	s_waitcnt vmcnt(0) lgkmcnt(0)
	s_barrier
	buffer_gl0_inv
	s_and_saveexec_b32 s0, s2
	s_cbranch_execz .LBB194_222
; %bb.221:                              ;   in Loop: Header=BB194_12 Depth=1
	ds_load_2addr_b64 v[4:7], v40 offset1:1
	s_waitcnt lgkmcnt(0)
	v_add_nc_u32_e32 v2, v5, v4
	s_delay_alu instid0(VALU_DEP_1)
	v_add3_u32 v2, v2, v6, v7
.LBB194_222:                            ;   in Loop: Header=BB194_12 Depth=1
	s_or_b32 exec_lo, exec_lo, s0
	v_and_b32_e32 v4, 15, v63
	s_delay_alu instid0(VALU_DEP_2) | instskip(SKIP_1) | instid1(VALU_DEP_3)
	v_mov_b32_dpp v5, v2 row_shr:1 row_mask:0xf bank_mask:0xf
	v_and_b32_e32 v6, 16, v63
	v_cmp_eq_u32_e64 s0, 0, v4
	v_cmp_lt_u32_e64 s1, 1, v4
	v_cmp_lt_u32_e64 s8, 3, v4
	;; [unrolled: 1-line block ×3, first 2 shown]
	v_cmp_eq_u32_e64 s10, 0, v6
	v_cndmask_b32_e64 v5, v5, 0, s0
	s_delay_alu instid0(VALU_DEP_1) | instskip(NEXT) | instid1(VALU_DEP_1)
	v_add_nc_u32_e32 v2, v5, v2
	v_mov_b32_dpp v5, v2 row_shr:2 row_mask:0xf bank_mask:0xf
	s_delay_alu instid0(VALU_DEP_1) | instskip(NEXT) | instid1(VALU_DEP_1)
	v_cndmask_b32_e64 v5, 0, v5, s1
	v_add_nc_u32_e32 v2, v2, v5
	s_delay_alu instid0(VALU_DEP_1) | instskip(NEXT) | instid1(VALU_DEP_1)
	v_mov_b32_dpp v5, v2 row_shr:4 row_mask:0xf bank_mask:0xf
	v_cndmask_b32_e64 v5, 0, v5, s8
	s_delay_alu instid0(VALU_DEP_1) | instskip(NEXT) | instid1(VALU_DEP_1)
	v_add_nc_u32_e32 v2, v2, v5
	v_mov_b32_dpp v5, v2 row_shr:8 row_mask:0xf bank_mask:0xf
	s_delay_alu instid0(VALU_DEP_1) | instskip(SKIP_1) | instid1(VALU_DEP_2)
	v_cndmask_b32_e64 v4, 0, v5, s9
	v_bfe_i32 v5, v63, 4, 1
	v_add_nc_u32_e32 v2, v2, v4
	ds_swizzle_b32 v4, v2 offset:swizzle(BROADCAST,32,15)
	s_waitcnt lgkmcnt(0)
	v_and_b32_e32 v4, v5, v4
	s_delay_alu instid0(VALU_DEP_1)
	v_add_nc_u32_e32 v4, v2, v4
	s_and_saveexec_b32 s11, s3
	s_cbranch_execz .LBB194_224
; %bb.223:                              ;   in Loop: Header=BB194_12 Depth=1
	ds_store_b32 v41, v4
.LBB194_224:                            ;   in Loop: Header=BB194_12 Depth=1
	s_or_b32 exec_lo, exec_lo, s11
	v_and_b32_e32 v2, 7, v63
	s_waitcnt lgkmcnt(0)
	s_barrier
	buffer_gl0_inv
	s_and_saveexec_b32 s11, s4
	s_cbranch_execz .LBB194_226
; %bb.225:                              ;   in Loop: Header=BB194_12 Depth=1
	ds_load_b32 v5, v42
	v_cmp_ne_u32_e32 vcc_lo, 0, v2
	s_waitcnt lgkmcnt(0)
	v_mov_b32_dpp v6, v5 row_shr:1 row_mask:0xf bank_mask:0xf
	s_delay_alu instid0(VALU_DEP_1) | instskip(SKIP_1) | instid1(VALU_DEP_2)
	v_cndmask_b32_e32 v6, 0, v6, vcc_lo
	v_cmp_lt_u32_e32 vcc_lo, 1, v2
	v_add_nc_u32_e32 v5, v6, v5
	s_delay_alu instid0(VALU_DEP_1) | instskip(NEXT) | instid1(VALU_DEP_1)
	v_mov_b32_dpp v6, v5 row_shr:2 row_mask:0xf bank_mask:0xf
	v_cndmask_b32_e32 v6, 0, v6, vcc_lo
	v_cmp_lt_u32_e32 vcc_lo, 3, v2
	s_delay_alu instid0(VALU_DEP_2) | instskip(NEXT) | instid1(VALU_DEP_1)
	v_add_nc_u32_e32 v5, v5, v6
	v_mov_b32_dpp v6, v5 row_shr:4 row_mask:0xf bank_mask:0xf
	s_delay_alu instid0(VALU_DEP_1) | instskip(NEXT) | instid1(VALU_DEP_1)
	v_cndmask_b32_e32 v6, 0, v6, vcc_lo
	v_add_nc_u32_e32 v5, v5, v6
	ds_store_b32 v42, v5
.LBB194_226:                            ;   in Loop: Header=BB194_12 Depth=1
	s_or_b32 exec_lo, exec_lo, s11
	v_mov_b32_e32 v5, 0
	s_waitcnt lgkmcnt(0)
	s_barrier
	buffer_gl0_inv
	s_and_saveexec_b32 s11, s5
	s_cbranch_execz .LBB194_228
; %bb.227:                              ;   in Loop: Header=BB194_12 Depth=1
	ds_load_b32 v5, v43
.LBB194_228:                            ;   in Loop: Header=BB194_12 Depth=1
	s_or_b32 exec_lo, exec_lo, s11
	v_add_nc_u32_e32 v6, -1, v63
	s_waitcnt lgkmcnt(0)
	v_add_nc_u32_e32 v4, v5, v4
	v_cmp_eq_u32_e64 s11, 0, v63
	s_barrier
	v_cmp_gt_i32_e32 vcc_lo, 0, v6
	buffer_gl0_inv
	v_cndmask_b32_e32 v6, v6, v63, vcc_lo
	s_delay_alu instid0(VALU_DEP_1)
	v_lshlrev_b32_e32 v69, 2, v6
	ds_bpermute_b32 v4, v69, v4
	s_and_saveexec_b32 s12, s2
	s_cbranch_execz .LBB194_230
; %bb.229:                              ;   in Loop: Header=BB194_12 Depth=1
	s_waitcnt lgkmcnt(0)
	v_cndmask_b32_e64 v4, v4, v5, s11
	s_delay_alu instid0(VALU_DEP_1)
	v_add_nc_u32_e32 v4, s27, v4
	ds_store_b32 v28, v4
.LBB194_230:                            ;   in Loop: Header=BB194_12 Depth=1
	s_or_b32 exec_lo, exec_lo, s12
	s_load_b64 s[12:13], s[28:29], 0x0
	v_cmp_lt_u32_e64 s14, 3, v2
	v_add_co_u32 v71, vcc_lo, v57, v63
	v_add_co_ci_u32_e32 v72, vcc_lo, 0, v58, vcc_lo
	v_or_b32_e32 v70, v63, v44
	s_mov_b32 s42, s35
	s_mov_b32 s24, s27
                                        ; implicit-def: $vgpr8_vgpr9
                                        ; implicit-def: $vgpr10_vgpr11
                                        ; implicit-def: $vgpr12_vgpr13
                                        ; implicit-def: $vgpr14_vgpr15
                                        ; implicit-def: $vgpr16_vgpr17
                                        ; implicit-def: $vgpr18_vgpr19
                                        ; implicit-def: $vgpr85
                                        ; implicit-def: $vgpr86
                                        ; implicit-def: $vgpr87
                                        ; implicit-def: $vgpr88
                                        ; implicit-def: $vgpr89
                                        ; implicit-def: $vgpr90
                                        ; implicit-def: $vgpr91
                                        ; implicit-def: $vgpr92
	s_delay_alu instid0(VALU_DEP_1)
	v_or_b32_e32 v75, 32, v70
	v_or_b32_e32 v76, 64, v70
	;; [unrolled: 1-line block ×7, first 2 shown]
	s_waitcnt lgkmcnt(0)
	s_cmp_lt_u32 s15, s13
	s_cselect_b32 s13, 14, 20
	s_delay_alu instid0(SALU_CYCLE_1) | instskip(SKIP_4) | instid1(SALU_CYCLE_1)
	s_add_u32 s16, s28, s13
	s_addc_u32 s17, s29, 0
	s_cmp_lt_u32 s26, s12
	global_load_u16 v4, v3, s[16:17]
	s_cselect_b32 s12, 12, 18
	s_add_u32 s12, s28, s12
	s_addc_u32 s13, s29, 0
	global_load_u16 v6, v3, s[12:13]
	v_cmp_eq_u32_e64 s12, 0, v2
	v_cmp_lt_u32_e64 s13, 1, v2
	v_lshlrev_b32_e32 v2, 3, v63
	s_delay_alu instid0(VALU_DEP_1)
	v_add_co_u32 v73, vcc_lo, v55, v2
	v_add_co_ci_u32_e32 v74, vcc_lo, 0, v56, vcc_lo
	v_add_co_u32 v83, vcc_lo, 0xe0, v71
	v_add_co_ci_u32_e32 v84, vcc_lo, 0, v72, vcc_lo
	s_waitcnt vmcnt(1)
	v_mad_u32_u24 v7, v45, v4, v0
	s_waitcnt vmcnt(0)
	s_delay_alu instid0(VALU_DEP_1) | instskip(NEXT) | instid1(VALU_DEP_1)
	v_mad_u64_u32 v[4:5], null, v7, v6, v[1:2]
                                        ; implicit-def: $vgpr6_vgpr7
	v_lshrrev_b32_e32 v82, 5, v4
                                        ; implicit-def: $vgpr4_vgpr5
	s_branch .LBB194_232
.LBB194_231:                            ;   in Loop: Header=BB194_232 Depth=2
	s_or_b32 exec_lo, exec_lo, s16
	s_addk_i32 s42, 0xf800
	s_cmp_lt_u32 s43, s33
	s_mov_b32 s24, s43
	s_cbranch_scc0 .LBB194_344
.LBB194_232:                            ;   Parent Loop BB194_12 Depth=1
                                        ; =>  This Inner Loop Header: Depth=2
	s_add_i32 s43, s24, 0x800
	s_delay_alu instid0(SALU_CYCLE_1)
	s_cmp_gt_u32 s43, s33
	s_cbranch_scc1 .LBB194_235
; %bb.233:                              ;   in Loop: Header=BB194_232 Depth=2
	v_add_co_u32 v20, vcc_lo, v71, s24
	v_add_co_ci_u32_e32 v21, vcc_lo, 0, v72, vcc_lo
	s_mov_b32 s17, 0
	s_mov_b32 s16, s24
	s_mov_b32 s19, -1
	s_clause 0x6
	global_load_u8 v93, v[20:21], off
	global_load_u8 v94, v[20:21], off offset:32
	global_load_u8 v95, v[20:21], off offset:64
	;; [unrolled: 1-line block ×6, first 2 shown]
	s_movk_i32 s18, 0x800
	s_cbranch_execz .LBB194_236
; %bb.234:                              ;   in Loop: Header=BB194_232 Depth=2
                                        ; implicit-def: $sgpr20
	v_mov_b32_e32 v100, s20
	v_mov_b32_e32 v2, s42
	s_and_saveexec_b32 s20, s19
	s_cbranch_execnz .LBB194_251
	s_branch .LBB194_252
.LBB194_235:                            ;   in Loop: Header=BB194_232 Depth=2
	s_mov_b32 s17, -1
	s_mov_b32 s19, 0
                                        ; implicit-def: $sgpr18
                                        ; implicit-def: $vgpr93
                                        ; implicit-def: $vgpr94
                                        ; implicit-def: $vgpr95
                                        ; implicit-def: $vgpr96
                                        ; implicit-def: $vgpr97
                                        ; implicit-def: $vgpr98
                                        ; implicit-def: $vgpr99
.LBB194_236:                            ;   in Loop: Header=BB194_232 Depth=2
	v_add_co_u32 v20, vcc_lo, v71, s24
	v_add_co_ci_u32_e32 v21, vcc_lo, 0, v72, vcc_lo
	s_waitcnt vmcnt(5)
	v_dual_mov_b32 v94, 0xff :: v_dual_mov_b32 v93, 0xff
	s_mov_b32 s16, exec_lo
	v_cmpx_gt_u32_e64 s42, v70
	s_cbranch_execz .LBB194_238
; %bb.237:                              ;   in Loop: Header=BB194_232 Depth=2
	global_load_u8 v93, v[20:21], off
.LBB194_238:                            ;   in Loop: Header=BB194_232 Depth=2
	s_or_b32 exec_lo, exec_lo, s16
	s_delay_alu instid0(SALU_CYCLE_1)
	s_mov_b32 s16, exec_lo
	v_cmpx_gt_u32_e64 s42, v75
	s_cbranch_execz .LBB194_240
; %bb.239:                              ;   in Loop: Header=BB194_232 Depth=2
	global_load_u8 v94, v[20:21], off offset:32
.LBB194_240:                            ;   in Loop: Header=BB194_232 Depth=2
	s_or_b32 exec_lo, exec_lo, s16
	s_waitcnt vmcnt(3)
	v_dual_mov_b32 v96, 0xff :: v_dual_mov_b32 v95, 0xff
	s_mov_b32 s16, exec_lo
	v_cmpx_gt_u32_e64 s42, v76
	s_cbranch_execz .LBB194_242
; %bb.241:                              ;   in Loop: Header=BB194_232 Depth=2
	global_load_u8 v95, v[20:21], off offset:64
.LBB194_242:                            ;   in Loop: Header=BB194_232 Depth=2
	s_or_b32 exec_lo, exec_lo, s16
	s_delay_alu instid0(SALU_CYCLE_1)
	s_mov_b32 s16, exec_lo
	v_cmpx_gt_u32_e64 s42, v77
	s_cbranch_execz .LBB194_244
; %bb.243:                              ;   in Loop: Header=BB194_232 Depth=2
	global_load_u8 v96, v[20:21], off offset:96
.LBB194_244:                            ;   in Loop: Header=BB194_232 Depth=2
	s_or_b32 exec_lo, exec_lo, s16
	s_waitcnt vmcnt(1)
	v_dual_mov_b32 v98, 0xff :: v_dual_mov_b32 v97, 0xff
	s_mov_b32 s16, exec_lo
	v_cmpx_gt_u32_e64 s42, v78
	s_cbranch_execz .LBB194_246
; %bb.245:                              ;   in Loop: Header=BB194_232 Depth=2
	global_load_u8 v97, v[20:21], off offset:128
.LBB194_246:                            ;   in Loop: Header=BB194_232 Depth=2
	s_or_b32 exec_lo, exec_lo, s16
	s_delay_alu instid0(SALU_CYCLE_1)
	s_mov_b32 s16, exec_lo
	v_cmpx_gt_u32_e64 s42, v79
	s_cbranch_execz .LBB194_248
; %bb.247:                              ;   in Loop: Header=BB194_232 Depth=2
	global_load_u8 v98, v[20:21], off offset:160
.LBB194_248:                            ;   in Loop: Header=BB194_232 Depth=2
	s_or_b32 exec_lo, exec_lo, s16
	s_waitcnt vmcnt(0)
	v_mov_b32_e32 v99, 0xff
	s_mov_b32 s16, exec_lo
	v_cmpx_gt_u32_e64 s42, v80
	s_cbranch_execz .LBB194_250
; %bb.249:                              ;   in Loop: Header=BB194_232 Depth=2
	global_load_u8 v99, v[20:21], off offset:192
.LBB194_250:                            ;   in Loop: Header=BB194_232 Depth=2
	s_or_b32 exec_lo, exec_lo, s16
	v_cmp_gt_u32_e64 s19, s42, v81
	s_sub_i32 s18, s33, s24
	s_movk_i32 s20, 0xff
	s_mov_b64 s[16:17], s[24:25]
	v_mov_b32_e32 v100, s20
	v_mov_b32_e32 v2, s42
	s_and_saveexec_b32 s20, s19
	s_cbranch_execz .LBB194_252
.LBB194_251:                            ;   in Loop: Header=BB194_232 Depth=2
	v_add_co_u32 v20, vcc_lo, v83, s16
	v_add_co_ci_u32_e32 v21, vcc_lo, s17, v84, vcc_lo
	v_mov_b32_e32 v2, s18
	global_load_u8 v100, v[20:21], off
.LBB194_252:                            ;   in Loop: Header=BB194_232 Depth=2
	s_or_b32 exec_lo, exec_lo, s20
	s_waitcnt vmcnt(6)
	v_and_b32_e32 v20, 0xff, v93
	ds_store_b32 v46, v3 offset:1056
	ds_store_2addr_b32 v47, v3, v3 offset0:1 offset1:2
	ds_store_2addr_b32 v47, v3, v3 offset0:3 offset1:4
	;; [unrolled: 1-line block ×4, first 2 shown]
	s_waitcnt vmcnt(0) lgkmcnt(0)
	s_barrier
	v_lshrrev_b32_e32 v20, s30, v20
	buffer_gl0_inv
	; wave barrier
	v_and_b32_e32 v21, s31, v20
	s_delay_alu instid0(VALU_DEP_1)
	v_and_b32_e32 v20, 1, v21
	v_lshlrev_b32_e32 v22, 30, v21
	v_lshlrev_b32_e32 v23, 29, v21
	;; [unrolled: 1-line block ×4, first 2 shown]
	v_add_co_u32 v20, s16, v20, -1
	s_delay_alu instid0(VALU_DEP_1)
	v_cndmask_b32_e64 v25, 0, 1, s16
	v_not_b32_e32 v102, v22
	v_cmp_gt_i32_e64 s16, 0, v22
	v_not_b32_e32 v22, v23
	v_lshlrev_b32_e32 v27, 26, v21
	v_cmp_ne_u32_e32 vcc_lo, 0, v25
	v_ashrrev_i32_e32 v102, 31, v102
	v_lshlrev_b32_e32 v101, 25, v21
	v_ashrrev_i32_e32 v22, 31, v22
	v_lshlrev_b32_e32 v25, 24, v21
	v_xor_b32_e32 v20, vcc_lo, v20
	v_cmp_gt_i32_e32 vcc_lo, 0, v23
	v_not_b32_e32 v23, v24
	v_xor_b32_e32 v102, s16, v102
	v_cmp_gt_i32_e64 s16, 0, v24
	v_and_b32_e32 v20, exec_lo, v20
	v_not_b32_e32 v24, v26
	v_ashrrev_i32_e32 v23, 31, v23
	v_xor_b32_e32 v22, vcc_lo, v22
	v_cmp_gt_i32_e32 vcc_lo, 0, v26
	v_and_b32_e32 v20, v20, v102
	v_not_b32_e32 v26, v27
	v_ashrrev_i32_e32 v24, 31, v24
	v_xor_b32_e32 v23, s16, v23
	v_cmp_gt_i32_e64 s16, 0, v27
	v_and_b32_e32 v20, v20, v22
	v_not_b32_e32 v22, v101
	v_ashrrev_i32_e32 v26, 31, v26
	v_xor_b32_e32 v24, vcc_lo, v24
	v_cmp_gt_i32_e32 vcc_lo, 0, v101
	v_and_b32_e32 v20, v20, v23
	v_not_b32_e32 v23, v25
	v_ashrrev_i32_e32 v22, 31, v22
	v_xor_b32_e32 v26, s16, v26
	v_cmp_gt_i32_e64 s16, 0, v25
	v_and_b32_e32 v20, v20, v24
	v_ashrrev_i32_e32 v23, 31, v23
	v_xor_b32_e32 v22, vcc_lo, v22
	v_mad_u32_u24 v21, v21, 9, v82
	s_delay_alu instid0(VALU_DEP_4) | instskip(NEXT) | instid1(VALU_DEP_4)
	v_and_b32_e32 v20, v20, v26
	v_xor_b32_e32 v23, s16, v23
	s_delay_alu instid0(VALU_DEP_3) | instskip(NEXT) | instid1(VALU_DEP_3)
	v_lshl_add_u32 v102, v21, 2, 0x420
	v_and_b32_e32 v20, v20, v22
	s_delay_alu instid0(VALU_DEP_1) | instskip(NEXT) | instid1(VALU_DEP_1)
	v_and_b32_e32 v20, v20, v23
	v_mbcnt_lo_u32_b32 v101, v20, 0
	v_cmp_ne_u32_e64 s16, 0, v20
	s_delay_alu instid0(VALU_DEP_2) | instskip(NEXT) | instid1(VALU_DEP_2)
	v_cmp_eq_u32_e32 vcc_lo, 0, v101
	s_and_b32 s17, s16, vcc_lo
	s_delay_alu instid0(SALU_CYCLE_1)
	s_and_saveexec_b32 s16, s17
	s_cbranch_execz .LBB194_254
; %bb.253:                              ;   in Loop: Header=BB194_232 Depth=2
	v_bcnt_u32_b32 v20, v20, 0
	ds_store_b32 v102, v20
.LBB194_254:                            ;   in Loop: Header=BB194_232 Depth=2
	s_or_b32 exec_lo, exec_lo, s16
	v_and_b32_e32 v20, 0xff, v94
	; wave barrier
	s_delay_alu instid0(VALU_DEP_1) | instskip(NEXT) | instid1(VALU_DEP_1)
	v_lshrrev_b32_e32 v20, s30, v20
	v_and_b32_e32 v20, s31, v20
	s_delay_alu instid0(VALU_DEP_1)
	v_and_b32_e32 v21, 1, v20
	v_lshlrev_b32_e32 v22, 30, v20
	v_lshlrev_b32_e32 v23, 29, v20
	;; [unrolled: 1-line block ×4, first 2 shown]
	v_add_co_u32 v21, s16, v21, -1
	s_delay_alu instid0(VALU_DEP_1)
	v_cndmask_b32_e64 v25, 0, 1, s16
	v_not_b32_e32 v104, v22
	v_cmp_gt_i32_e64 s16, 0, v22
	v_not_b32_e32 v22, v23
	v_lshlrev_b32_e32 v27, 26, v20
	v_cmp_ne_u32_e32 vcc_lo, 0, v25
	v_ashrrev_i32_e32 v104, 31, v104
	v_lshlrev_b32_e32 v103, 25, v20
	v_ashrrev_i32_e32 v22, 31, v22
	v_lshlrev_b32_e32 v25, 24, v20
	v_xor_b32_e32 v21, vcc_lo, v21
	v_cmp_gt_i32_e32 vcc_lo, 0, v23
	v_not_b32_e32 v23, v24
	v_xor_b32_e32 v104, s16, v104
	v_cmp_gt_i32_e64 s16, 0, v24
	v_and_b32_e32 v21, exec_lo, v21
	v_not_b32_e32 v24, v26
	v_ashrrev_i32_e32 v23, 31, v23
	v_xor_b32_e32 v22, vcc_lo, v22
	v_cmp_gt_i32_e32 vcc_lo, 0, v26
	v_and_b32_e32 v21, v21, v104
	v_not_b32_e32 v26, v27
	v_ashrrev_i32_e32 v24, 31, v24
	v_xor_b32_e32 v23, s16, v23
	v_cmp_gt_i32_e64 s16, 0, v27
	v_and_b32_e32 v21, v21, v22
	v_not_b32_e32 v22, v103
	v_ashrrev_i32_e32 v26, 31, v26
	v_xor_b32_e32 v24, vcc_lo, v24
	v_cmp_gt_i32_e32 vcc_lo, 0, v103
	v_and_b32_e32 v21, v21, v23
	v_not_b32_e32 v23, v25
	v_ashrrev_i32_e32 v22, 31, v22
	v_xor_b32_e32 v26, s16, v26
	v_mul_u32_u24_e32 v20, 9, v20
	v_and_b32_e32 v21, v21, v24
	v_cmp_gt_i32_e64 s16, 0, v25
	v_ashrrev_i32_e32 v23, 31, v23
	v_xor_b32_e32 v22, vcc_lo, v22
	v_add_lshl_u32 v24, v20, v82, 2
	v_and_b32_e32 v21, v21, v26
	s_delay_alu instid0(VALU_DEP_4) | instskip(SKIP_3) | instid1(VALU_DEP_2)
	v_xor_b32_e32 v20, s16, v23
	ds_load_b32 v103, v24 offset:1056
	v_and_b32_e32 v21, v21, v22
	v_add_nc_u32_e32 v105, 0x420, v24
	; wave barrier
	v_and_b32_e32 v20, v21, v20
	s_delay_alu instid0(VALU_DEP_1) | instskip(SKIP_1) | instid1(VALU_DEP_2)
	v_mbcnt_lo_u32_b32 v104, v20, 0
	v_cmp_ne_u32_e64 s16, 0, v20
	v_cmp_eq_u32_e32 vcc_lo, 0, v104
	s_delay_alu instid0(VALU_DEP_2) | instskip(NEXT) | instid1(SALU_CYCLE_1)
	s_and_b32 s17, s16, vcc_lo
	s_and_saveexec_b32 s16, s17
	s_cbranch_execz .LBB194_256
; %bb.255:                              ;   in Loop: Header=BB194_232 Depth=2
	s_waitcnt lgkmcnt(0)
	v_bcnt_u32_b32 v20, v20, v103
	ds_store_b32 v105, v20
.LBB194_256:                            ;   in Loop: Header=BB194_232 Depth=2
	s_or_b32 exec_lo, exec_lo, s16
	v_and_b32_e32 v20, 0xff, v95
	; wave barrier
	s_delay_alu instid0(VALU_DEP_1) | instskip(NEXT) | instid1(VALU_DEP_1)
	v_lshrrev_b32_e32 v20, s30, v20
	v_and_b32_e32 v20, s31, v20
	s_delay_alu instid0(VALU_DEP_1)
	v_and_b32_e32 v21, 1, v20
	v_lshlrev_b32_e32 v22, 30, v20
	v_lshlrev_b32_e32 v23, 29, v20
	;; [unrolled: 1-line block ×4, first 2 shown]
	v_add_co_u32 v21, s16, v21, -1
	s_delay_alu instid0(VALU_DEP_1)
	v_cndmask_b32_e64 v25, 0, 1, s16
	v_not_b32_e32 v107, v22
	v_cmp_gt_i32_e64 s16, 0, v22
	v_not_b32_e32 v22, v23
	v_lshlrev_b32_e32 v27, 26, v20
	v_cmp_ne_u32_e32 vcc_lo, 0, v25
	v_ashrrev_i32_e32 v107, 31, v107
	v_lshlrev_b32_e32 v106, 25, v20
	v_ashrrev_i32_e32 v22, 31, v22
	v_lshlrev_b32_e32 v25, 24, v20
	v_xor_b32_e32 v21, vcc_lo, v21
	v_cmp_gt_i32_e32 vcc_lo, 0, v23
	v_not_b32_e32 v23, v24
	v_xor_b32_e32 v107, s16, v107
	v_cmp_gt_i32_e64 s16, 0, v24
	v_and_b32_e32 v21, exec_lo, v21
	v_not_b32_e32 v24, v26
	v_ashrrev_i32_e32 v23, 31, v23
	v_xor_b32_e32 v22, vcc_lo, v22
	v_cmp_gt_i32_e32 vcc_lo, 0, v26
	v_and_b32_e32 v21, v21, v107
	v_not_b32_e32 v26, v27
	v_ashrrev_i32_e32 v24, 31, v24
	v_xor_b32_e32 v23, s16, v23
	v_cmp_gt_i32_e64 s16, 0, v27
	v_and_b32_e32 v21, v21, v22
	v_not_b32_e32 v22, v106
	v_ashrrev_i32_e32 v26, 31, v26
	v_xor_b32_e32 v24, vcc_lo, v24
	v_cmp_gt_i32_e32 vcc_lo, 0, v106
	v_and_b32_e32 v21, v21, v23
	v_not_b32_e32 v23, v25
	v_ashrrev_i32_e32 v22, 31, v22
	v_xor_b32_e32 v26, s16, v26
	v_mul_u32_u24_e32 v20, 9, v20
	v_and_b32_e32 v21, v21, v24
	v_cmp_gt_i32_e64 s16, 0, v25
	v_ashrrev_i32_e32 v23, 31, v23
	v_xor_b32_e32 v22, vcc_lo, v22
	v_add_lshl_u32 v24, v20, v82, 2
	v_and_b32_e32 v21, v21, v26
	s_delay_alu instid0(VALU_DEP_4) | instskip(SKIP_3) | instid1(VALU_DEP_2)
	v_xor_b32_e32 v20, s16, v23
	ds_load_b32 v106, v24 offset:1056
	v_and_b32_e32 v21, v21, v22
	v_add_nc_u32_e32 v108, 0x420, v24
	; wave barrier
	v_and_b32_e32 v20, v21, v20
	s_delay_alu instid0(VALU_DEP_1) | instskip(SKIP_1) | instid1(VALU_DEP_2)
	v_mbcnt_lo_u32_b32 v107, v20, 0
	v_cmp_ne_u32_e64 s16, 0, v20
	v_cmp_eq_u32_e32 vcc_lo, 0, v107
	s_delay_alu instid0(VALU_DEP_2) | instskip(NEXT) | instid1(SALU_CYCLE_1)
	s_and_b32 s17, s16, vcc_lo
	s_and_saveexec_b32 s16, s17
	s_cbranch_execz .LBB194_258
; %bb.257:                              ;   in Loop: Header=BB194_232 Depth=2
	s_waitcnt lgkmcnt(0)
	v_bcnt_u32_b32 v20, v20, v106
	ds_store_b32 v108, v20
.LBB194_258:                            ;   in Loop: Header=BB194_232 Depth=2
	s_or_b32 exec_lo, exec_lo, s16
	v_and_b32_e32 v20, 0xff, v96
	; wave barrier
	s_delay_alu instid0(VALU_DEP_1) | instskip(NEXT) | instid1(VALU_DEP_1)
	v_lshrrev_b32_e32 v20, s30, v20
	v_and_b32_e32 v20, s31, v20
	s_delay_alu instid0(VALU_DEP_1)
	v_and_b32_e32 v21, 1, v20
	v_lshlrev_b32_e32 v22, 30, v20
	v_lshlrev_b32_e32 v23, 29, v20
	;; [unrolled: 1-line block ×4, first 2 shown]
	v_add_co_u32 v21, s16, v21, -1
	s_delay_alu instid0(VALU_DEP_1)
	v_cndmask_b32_e64 v25, 0, 1, s16
	v_not_b32_e32 v110, v22
	v_cmp_gt_i32_e64 s16, 0, v22
	v_not_b32_e32 v22, v23
	v_lshlrev_b32_e32 v27, 26, v20
	v_cmp_ne_u32_e32 vcc_lo, 0, v25
	v_ashrrev_i32_e32 v110, 31, v110
	v_lshlrev_b32_e32 v109, 25, v20
	v_ashrrev_i32_e32 v22, 31, v22
	v_lshlrev_b32_e32 v25, 24, v20
	v_xor_b32_e32 v21, vcc_lo, v21
	v_cmp_gt_i32_e32 vcc_lo, 0, v23
	v_not_b32_e32 v23, v24
	v_xor_b32_e32 v110, s16, v110
	v_cmp_gt_i32_e64 s16, 0, v24
	v_and_b32_e32 v21, exec_lo, v21
	v_not_b32_e32 v24, v26
	v_ashrrev_i32_e32 v23, 31, v23
	v_xor_b32_e32 v22, vcc_lo, v22
	v_cmp_gt_i32_e32 vcc_lo, 0, v26
	v_and_b32_e32 v21, v21, v110
	v_not_b32_e32 v26, v27
	v_ashrrev_i32_e32 v24, 31, v24
	v_xor_b32_e32 v23, s16, v23
	v_cmp_gt_i32_e64 s16, 0, v27
	v_and_b32_e32 v21, v21, v22
	v_not_b32_e32 v22, v109
	v_ashrrev_i32_e32 v26, 31, v26
	v_xor_b32_e32 v24, vcc_lo, v24
	v_cmp_gt_i32_e32 vcc_lo, 0, v109
	v_and_b32_e32 v21, v21, v23
	v_not_b32_e32 v23, v25
	v_ashrrev_i32_e32 v22, 31, v22
	v_xor_b32_e32 v26, s16, v26
	v_mul_u32_u24_e32 v20, 9, v20
	v_and_b32_e32 v21, v21, v24
	v_cmp_gt_i32_e64 s16, 0, v25
	v_ashrrev_i32_e32 v23, 31, v23
	v_xor_b32_e32 v22, vcc_lo, v22
	v_add_lshl_u32 v24, v20, v82, 2
	v_and_b32_e32 v21, v21, v26
	s_delay_alu instid0(VALU_DEP_4) | instskip(SKIP_3) | instid1(VALU_DEP_2)
	v_xor_b32_e32 v20, s16, v23
	ds_load_b32 v109, v24 offset:1056
	v_and_b32_e32 v21, v21, v22
	v_add_nc_u32_e32 v111, 0x420, v24
	; wave barrier
	v_and_b32_e32 v20, v21, v20
	s_delay_alu instid0(VALU_DEP_1) | instskip(SKIP_1) | instid1(VALU_DEP_2)
	v_mbcnt_lo_u32_b32 v110, v20, 0
	v_cmp_ne_u32_e64 s16, 0, v20
	v_cmp_eq_u32_e32 vcc_lo, 0, v110
	s_delay_alu instid0(VALU_DEP_2) | instskip(NEXT) | instid1(SALU_CYCLE_1)
	s_and_b32 s17, s16, vcc_lo
	s_and_saveexec_b32 s16, s17
	s_cbranch_execz .LBB194_260
; %bb.259:                              ;   in Loop: Header=BB194_232 Depth=2
	s_waitcnt lgkmcnt(0)
	v_bcnt_u32_b32 v20, v20, v109
	ds_store_b32 v111, v20
.LBB194_260:                            ;   in Loop: Header=BB194_232 Depth=2
	s_or_b32 exec_lo, exec_lo, s16
	v_and_b32_e32 v20, 0xff, v97
	; wave barrier
	s_delay_alu instid0(VALU_DEP_1) | instskip(NEXT) | instid1(VALU_DEP_1)
	v_lshrrev_b32_e32 v20, s30, v20
	v_and_b32_e32 v20, s31, v20
	s_delay_alu instid0(VALU_DEP_1)
	v_and_b32_e32 v21, 1, v20
	v_lshlrev_b32_e32 v22, 30, v20
	v_lshlrev_b32_e32 v23, 29, v20
	;; [unrolled: 1-line block ×4, first 2 shown]
	v_add_co_u32 v21, s16, v21, -1
	s_delay_alu instid0(VALU_DEP_1)
	v_cndmask_b32_e64 v25, 0, 1, s16
	v_not_b32_e32 v113, v22
	v_cmp_gt_i32_e64 s16, 0, v22
	v_not_b32_e32 v22, v23
	v_lshlrev_b32_e32 v27, 26, v20
	v_cmp_ne_u32_e32 vcc_lo, 0, v25
	v_ashrrev_i32_e32 v113, 31, v113
	v_lshlrev_b32_e32 v112, 25, v20
	v_ashrrev_i32_e32 v22, 31, v22
	v_lshlrev_b32_e32 v25, 24, v20
	v_xor_b32_e32 v21, vcc_lo, v21
	v_cmp_gt_i32_e32 vcc_lo, 0, v23
	v_not_b32_e32 v23, v24
	v_xor_b32_e32 v113, s16, v113
	v_cmp_gt_i32_e64 s16, 0, v24
	v_and_b32_e32 v21, exec_lo, v21
	v_not_b32_e32 v24, v26
	v_ashrrev_i32_e32 v23, 31, v23
	v_xor_b32_e32 v22, vcc_lo, v22
	v_cmp_gt_i32_e32 vcc_lo, 0, v26
	v_and_b32_e32 v21, v21, v113
	v_not_b32_e32 v26, v27
	v_ashrrev_i32_e32 v24, 31, v24
	v_xor_b32_e32 v23, s16, v23
	v_cmp_gt_i32_e64 s16, 0, v27
	v_and_b32_e32 v21, v21, v22
	v_not_b32_e32 v22, v112
	v_ashrrev_i32_e32 v26, 31, v26
	v_xor_b32_e32 v24, vcc_lo, v24
	v_cmp_gt_i32_e32 vcc_lo, 0, v112
	v_and_b32_e32 v21, v21, v23
	v_not_b32_e32 v23, v25
	v_ashrrev_i32_e32 v22, 31, v22
	v_xor_b32_e32 v26, s16, v26
	v_mul_u32_u24_e32 v20, 9, v20
	v_and_b32_e32 v21, v21, v24
	v_cmp_gt_i32_e64 s16, 0, v25
	v_ashrrev_i32_e32 v23, 31, v23
	v_xor_b32_e32 v22, vcc_lo, v22
	v_add_lshl_u32 v24, v20, v82, 2
	v_and_b32_e32 v21, v21, v26
	s_delay_alu instid0(VALU_DEP_4) | instskip(SKIP_3) | instid1(VALU_DEP_2)
	v_xor_b32_e32 v20, s16, v23
	ds_load_b32 v112, v24 offset:1056
	v_and_b32_e32 v21, v21, v22
	v_add_nc_u32_e32 v114, 0x420, v24
	; wave barrier
	v_and_b32_e32 v20, v21, v20
	s_delay_alu instid0(VALU_DEP_1) | instskip(SKIP_1) | instid1(VALU_DEP_2)
	v_mbcnt_lo_u32_b32 v113, v20, 0
	v_cmp_ne_u32_e64 s16, 0, v20
	v_cmp_eq_u32_e32 vcc_lo, 0, v113
	s_delay_alu instid0(VALU_DEP_2) | instskip(NEXT) | instid1(SALU_CYCLE_1)
	s_and_b32 s17, s16, vcc_lo
	s_and_saveexec_b32 s16, s17
	s_cbranch_execz .LBB194_262
; %bb.261:                              ;   in Loop: Header=BB194_232 Depth=2
	s_waitcnt lgkmcnt(0)
	v_bcnt_u32_b32 v20, v20, v112
	ds_store_b32 v114, v20
.LBB194_262:                            ;   in Loop: Header=BB194_232 Depth=2
	s_or_b32 exec_lo, exec_lo, s16
	v_and_b32_e32 v20, 0xff, v98
	; wave barrier
	s_delay_alu instid0(VALU_DEP_1) | instskip(NEXT) | instid1(VALU_DEP_1)
	v_lshrrev_b32_e32 v20, s30, v20
	v_and_b32_e32 v20, s31, v20
	s_delay_alu instid0(VALU_DEP_1)
	v_and_b32_e32 v21, 1, v20
	v_lshlrev_b32_e32 v22, 30, v20
	v_lshlrev_b32_e32 v23, 29, v20
	v_lshlrev_b32_e32 v24, 28, v20
	v_lshlrev_b32_e32 v26, 27, v20
	v_add_co_u32 v21, s16, v21, -1
	s_delay_alu instid0(VALU_DEP_1)
	v_cndmask_b32_e64 v25, 0, 1, s16
	v_not_b32_e32 v116, v22
	v_cmp_gt_i32_e64 s16, 0, v22
	v_not_b32_e32 v22, v23
	v_lshlrev_b32_e32 v27, 26, v20
	v_cmp_ne_u32_e32 vcc_lo, 0, v25
	v_ashrrev_i32_e32 v116, 31, v116
	v_lshlrev_b32_e32 v115, 25, v20
	v_ashrrev_i32_e32 v22, 31, v22
	v_lshlrev_b32_e32 v25, 24, v20
	v_xor_b32_e32 v21, vcc_lo, v21
	v_cmp_gt_i32_e32 vcc_lo, 0, v23
	v_not_b32_e32 v23, v24
	v_xor_b32_e32 v116, s16, v116
	v_cmp_gt_i32_e64 s16, 0, v24
	v_and_b32_e32 v21, exec_lo, v21
	v_not_b32_e32 v24, v26
	v_ashrrev_i32_e32 v23, 31, v23
	v_xor_b32_e32 v22, vcc_lo, v22
	v_cmp_gt_i32_e32 vcc_lo, 0, v26
	v_and_b32_e32 v21, v21, v116
	v_not_b32_e32 v26, v27
	v_ashrrev_i32_e32 v24, 31, v24
	v_xor_b32_e32 v23, s16, v23
	v_cmp_gt_i32_e64 s16, 0, v27
	v_and_b32_e32 v21, v21, v22
	v_not_b32_e32 v22, v115
	v_ashrrev_i32_e32 v26, 31, v26
	v_xor_b32_e32 v24, vcc_lo, v24
	v_cmp_gt_i32_e32 vcc_lo, 0, v115
	v_and_b32_e32 v21, v21, v23
	v_not_b32_e32 v23, v25
	v_ashrrev_i32_e32 v22, 31, v22
	v_xor_b32_e32 v26, s16, v26
	v_mul_u32_u24_e32 v20, 9, v20
	v_and_b32_e32 v21, v21, v24
	v_cmp_gt_i32_e64 s16, 0, v25
	v_ashrrev_i32_e32 v23, 31, v23
	v_xor_b32_e32 v22, vcc_lo, v22
	v_add_lshl_u32 v24, v20, v82, 2
	v_and_b32_e32 v21, v21, v26
	s_delay_alu instid0(VALU_DEP_4) | instskip(SKIP_3) | instid1(VALU_DEP_2)
	v_xor_b32_e32 v20, s16, v23
	ds_load_b32 v115, v24 offset:1056
	v_and_b32_e32 v21, v21, v22
	v_add_nc_u32_e32 v117, 0x420, v24
	; wave barrier
	v_and_b32_e32 v20, v21, v20
	s_delay_alu instid0(VALU_DEP_1) | instskip(SKIP_1) | instid1(VALU_DEP_2)
	v_mbcnt_lo_u32_b32 v116, v20, 0
	v_cmp_ne_u32_e64 s16, 0, v20
	v_cmp_eq_u32_e32 vcc_lo, 0, v116
	s_delay_alu instid0(VALU_DEP_2) | instskip(NEXT) | instid1(SALU_CYCLE_1)
	s_and_b32 s17, s16, vcc_lo
	s_and_saveexec_b32 s16, s17
	s_cbranch_execz .LBB194_264
; %bb.263:                              ;   in Loop: Header=BB194_232 Depth=2
	s_waitcnt lgkmcnt(0)
	v_bcnt_u32_b32 v20, v20, v115
	ds_store_b32 v117, v20
.LBB194_264:                            ;   in Loop: Header=BB194_232 Depth=2
	s_or_b32 exec_lo, exec_lo, s16
	v_and_b32_e32 v20, 0xff, v99
	; wave barrier
	s_delay_alu instid0(VALU_DEP_1) | instskip(NEXT) | instid1(VALU_DEP_1)
	v_lshrrev_b32_e32 v20, s30, v20
	v_and_b32_e32 v20, s31, v20
	s_delay_alu instid0(VALU_DEP_1)
	v_and_b32_e32 v21, 1, v20
	v_lshlrev_b32_e32 v22, 30, v20
	v_lshlrev_b32_e32 v23, 29, v20
	;; [unrolled: 1-line block ×4, first 2 shown]
	v_add_co_u32 v21, s16, v21, -1
	s_delay_alu instid0(VALU_DEP_1)
	v_cndmask_b32_e64 v25, 0, 1, s16
	v_not_b32_e32 v119, v22
	v_cmp_gt_i32_e64 s16, 0, v22
	v_not_b32_e32 v22, v23
	v_lshlrev_b32_e32 v27, 26, v20
	v_cmp_ne_u32_e32 vcc_lo, 0, v25
	v_ashrrev_i32_e32 v119, 31, v119
	v_lshlrev_b32_e32 v118, 25, v20
	v_ashrrev_i32_e32 v22, 31, v22
	v_lshlrev_b32_e32 v25, 24, v20
	v_xor_b32_e32 v21, vcc_lo, v21
	v_cmp_gt_i32_e32 vcc_lo, 0, v23
	v_not_b32_e32 v23, v24
	v_xor_b32_e32 v119, s16, v119
	v_cmp_gt_i32_e64 s16, 0, v24
	v_and_b32_e32 v21, exec_lo, v21
	v_not_b32_e32 v24, v26
	v_ashrrev_i32_e32 v23, 31, v23
	v_xor_b32_e32 v22, vcc_lo, v22
	v_cmp_gt_i32_e32 vcc_lo, 0, v26
	v_and_b32_e32 v21, v21, v119
	v_not_b32_e32 v26, v27
	v_ashrrev_i32_e32 v24, 31, v24
	v_xor_b32_e32 v23, s16, v23
	v_cmp_gt_i32_e64 s16, 0, v27
	v_and_b32_e32 v21, v21, v22
	v_not_b32_e32 v22, v118
	v_ashrrev_i32_e32 v26, 31, v26
	v_xor_b32_e32 v24, vcc_lo, v24
	v_cmp_gt_i32_e32 vcc_lo, 0, v118
	v_and_b32_e32 v21, v21, v23
	v_not_b32_e32 v23, v25
	v_ashrrev_i32_e32 v22, 31, v22
	v_xor_b32_e32 v26, s16, v26
	v_mul_u32_u24_e32 v20, 9, v20
	v_and_b32_e32 v21, v21, v24
	v_cmp_gt_i32_e64 s16, 0, v25
	v_ashrrev_i32_e32 v23, 31, v23
	v_xor_b32_e32 v22, vcc_lo, v22
	v_add_lshl_u32 v24, v20, v82, 2
	v_and_b32_e32 v21, v21, v26
	s_delay_alu instid0(VALU_DEP_4) | instskip(SKIP_3) | instid1(VALU_DEP_2)
	v_xor_b32_e32 v20, s16, v23
	ds_load_b32 v118, v24 offset:1056
	v_and_b32_e32 v21, v21, v22
	v_add_nc_u32_e32 v120, 0x420, v24
	; wave barrier
	v_and_b32_e32 v20, v21, v20
	s_delay_alu instid0(VALU_DEP_1) | instskip(SKIP_1) | instid1(VALU_DEP_2)
	v_mbcnt_lo_u32_b32 v119, v20, 0
	v_cmp_ne_u32_e64 s16, 0, v20
	v_cmp_eq_u32_e32 vcc_lo, 0, v119
	s_delay_alu instid0(VALU_DEP_2) | instskip(NEXT) | instid1(SALU_CYCLE_1)
	s_and_b32 s17, s16, vcc_lo
	s_and_saveexec_b32 s16, s17
	s_cbranch_execz .LBB194_266
; %bb.265:                              ;   in Loop: Header=BB194_232 Depth=2
	s_waitcnt lgkmcnt(0)
	v_bcnt_u32_b32 v20, v20, v118
	ds_store_b32 v120, v20
.LBB194_266:                            ;   in Loop: Header=BB194_232 Depth=2
	s_or_b32 exec_lo, exec_lo, s16
	v_and_b32_e32 v20, 0xff, v100
	; wave barrier
	s_delay_alu instid0(VALU_DEP_1) | instskip(NEXT) | instid1(VALU_DEP_1)
	v_lshrrev_b32_e32 v20, s30, v20
	v_and_b32_e32 v20, s31, v20
	s_delay_alu instid0(VALU_DEP_1)
	v_and_b32_e32 v21, 1, v20
	v_lshlrev_b32_e32 v22, 30, v20
	v_lshlrev_b32_e32 v23, 29, v20
	;; [unrolled: 1-line block ×4, first 2 shown]
	v_add_co_u32 v21, s16, v21, -1
	s_delay_alu instid0(VALU_DEP_1)
	v_cndmask_b32_e64 v25, 0, 1, s16
	v_not_b32_e32 v122, v22
	v_cmp_gt_i32_e64 s16, 0, v22
	v_not_b32_e32 v22, v23
	v_lshlrev_b32_e32 v27, 26, v20
	v_cmp_ne_u32_e32 vcc_lo, 0, v25
	v_ashrrev_i32_e32 v122, 31, v122
	v_lshlrev_b32_e32 v121, 25, v20
	v_ashrrev_i32_e32 v22, 31, v22
	v_lshlrev_b32_e32 v25, 24, v20
	v_xor_b32_e32 v21, vcc_lo, v21
	v_cmp_gt_i32_e32 vcc_lo, 0, v23
	v_not_b32_e32 v23, v24
	v_xor_b32_e32 v122, s16, v122
	v_cmp_gt_i32_e64 s16, 0, v24
	v_and_b32_e32 v21, exec_lo, v21
	v_not_b32_e32 v24, v26
	v_ashrrev_i32_e32 v23, 31, v23
	v_xor_b32_e32 v22, vcc_lo, v22
	v_cmp_gt_i32_e32 vcc_lo, 0, v26
	v_and_b32_e32 v21, v21, v122
	v_not_b32_e32 v26, v27
	v_ashrrev_i32_e32 v24, 31, v24
	v_xor_b32_e32 v23, s16, v23
	v_cmp_gt_i32_e64 s16, 0, v27
	v_and_b32_e32 v21, v21, v22
	v_not_b32_e32 v22, v121
	v_ashrrev_i32_e32 v26, 31, v26
	v_xor_b32_e32 v24, vcc_lo, v24
	v_cmp_gt_i32_e32 vcc_lo, 0, v121
	v_and_b32_e32 v21, v21, v23
	v_not_b32_e32 v23, v25
	v_ashrrev_i32_e32 v22, 31, v22
	v_xor_b32_e32 v26, s16, v26
	v_mul_u32_u24_e32 v20, 9, v20
	v_and_b32_e32 v21, v21, v24
	v_cmp_gt_i32_e64 s16, 0, v25
	v_ashrrev_i32_e32 v23, 31, v23
	v_xor_b32_e32 v22, vcc_lo, v22
	v_add_lshl_u32 v24, v20, v82, 2
	v_and_b32_e32 v21, v21, v26
	s_delay_alu instid0(VALU_DEP_4) | instskip(SKIP_3) | instid1(VALU_DEP_2)
	v_xor_b32_e32 v20, s16, v23
	ds_load_b32 v121, v24 offset:1056
	v_and_b32_e32 v21, v21, v22
	v_add_nc_u32_e32 v123, 0x420, v24
	; wave barrier
	v_and_b32_e32 v20, v21, v20
	s_delay_alu instid0(VALU_DEP_1) | instskip(SKIP_1) | instid1(VALU_DEP_2)
	v_mbcnt_lo_u32_b32 v122, v20, 0
	v_cmp_ne_u32_e64 s16, 0, v20
	v_cmp_eq_u32_e32 vcc_lo, 0, v122
	s_delay_alu instid0(VALU_DEP_2) | instskip(NEXT) | instid1(SALU_CYCLE_1)
	s_and_b32 s17, s16, vcc_lo
	s_and_saveexec_b32 s16, s17
	s_cbranch_execz .LBB194_268
; %bb.267:                              ;   in Loop: Header=BB194_232 Depth=2
	s_waitcnt lgkmcnt(0)
	v_bcnt_u32_b32 v20, v20, v121
	ds_store_b32 v123, v20
.LBB194_268:                            ;   in Loop: Header=BB194_232 Depth=2
	s_or_b32 exec_lo, exec_lo, s16
	; wave barrier
	s_waitcnt lgkmcnt(0)
	s_barrier
	buffer_gl0_inv
	ds_load_b32 v124, v46 offset:1056
	ds_load_2addr_b32 v[26:27], v47 offset0:1 offset1:2
	ds_load_2addr_b32 v[24:25], v47 offset0:3 offset1:4
	;; [unrolled: 1-line block ×4, first 2 shown]
	s_waitcnt lgkmcnt(3)
	v_add3_u32 v125, v26, v124, v27
	s_waitcnt lgkmcnt(2)
	s_delay_alu instid0(VALU_DEP_1) | instskip(SKIP_1) | instid1(VALU_DEP_1)
	v_add3_u32 v125, v125, v24, v25
	s_waitcnt lgkmcnt(1)
	v_add3_u32 v125, v125, v20, v21
	s_waitcnt lgkmcnt(0)
	s_delay_alu instid0(VALU_DEP_1) | instskip(NEXT) | instid1(VALU_DEP_1)
	v_add3_u32 v23, v125, v22, v23
	v_mov_b32_dpp v125, v23 row_shr:1 row_mask:0xf bank_mask:0xf
	s_delay_alu instid0(VALU_DEP_1) | instskip(NEXT) | instid1(VALU_DEP_1)
	v_cndmask_b32_e64 v125, v125, 0, s0
	v_add_nc_u32_e32 v23, v125, v23
	s_delay_alu instid0(VALU_DEP_1) | instskip(NEXT) | instid1(VALU_DEP_1)
	v_mov_b32_dpp v125, v23 row_shr:2 row_mask:0xf bank_mask:0xf
	v_cndmask_b32_e64 v125, 0, v125, s1
	s_delay_alu instid0(VALU_DEP_1) | instskip(NEXT) | instid1(VALU_DEP_1)
	v_add_nc_u32_e32 v23, v23, v125
	v_mov_b32_dpp v125, v23 row_shr:4 row_mask:0xf bank_mask:0xf
	s_delay_alu instid0(VALU_DEP_1) | instskip(NEXT) | instid1(VALU_DEP_1)
	v_cndmask_b32_e64 v125, 0, v125, s8
	v_add_nc_u32_e32 v23, v23, v125
	s_delay_alu instid0(VALU_DEP_1) | instskip(NEXT) | instid1(VALU_DEP_1)
	v_mov_b32_dpp v125, v23 row_shr:8 row_mask:0xf bank_mask:0xf
	v_cndmask_b32_e64 v125, 0, v125, s9
	s_delay_alu instid0(VALU_DEP_1) | instskip(SKIP_3) | instid1(VALU_DEP_1)
	v_add_nc_u32_e32 v23, v23, v125
	ds_swizzle_b32 v125, v23 offset:swizzle(BROADCAST,32,15)
	s_waitcnt lgkmcnt(0)
	v_cndmask_b32_e64 v125, v125, 0, s10
	v_add_nc_u32_e32 v23, v23, v125
	s_and_saveexec_b32 s16, s3
	s_cbranch_execz .LBB194_270
; %bb.269:                              ;   in Loop: Header=BB194_232 Depth=2
	ds_store_b32 v38, v23 offset:1024
.LBB194_270:                            ;   in Loop: Header=BB194_232 Depth=2
	s_or_b32 exec_lo, exec_lo, s16
	s_waitcnt lgkmcnt(0)
	s_barrier
	buffer_gl0_inv
	s_and_saveexec_b32 s16, s4
	s_cbranch_execz .LBB194_272
; %bb.271:                              ;   in Loop: Header=BB194_232 Depth=2
	v_add_nc_u32_e32 v125, v46, v48
	ds_load_b32 v126, v125 offset:1024
	s_waitcnt lgkmcnt(0)
	v_mov_b32_dpp v127, v126 row_shr:1 row_mask:0xf bank_mask:0xf
	s_delay_alu instid0(VALU_DEP_1) | instskip(NEXT) | instid1(VALU_DEP_1)
	v_cndmask_b32_e64 v127, v127, 0, s12
	v_add_nc_u32_e32 v126, v127, v126
	s_delay_alu instid0(VALU_DEP_1) | instskip(NEXT) | instid1(VALU_DEP_1)
	v_mov_b32_dpp v127, v126 row_shr:2 row_mask:0xf bank_mask:0xf
	v_cndmask_b32_e64 v127, 0, v127, s13
	s_delay_alu instid0(VALU_DEP_1) | instskip(NEXT) | instid1(VALU_DEP_1)
	v_add_nc_u32_e32 v126, v126, v127
	v_mov_b32_dpp v127, v126 row_shr:4 row_mask:0xf bank_mask:0xf
	s_delay_alu instid0(VALU_DEP_1) | instskip(NEXT) | instid1(VALU_DEP_1)
	v_cndmask_b32_e64 v127, 0, v127, s14
	v_add_nc_u32_e32 v126, v126, v127
	ds_store_b32 v125, v126 offset:1024
.LBB194_272:                            ;   in Loop: Header=BB194_232 Depth=2
	s_or_b32 exec_lo, exec_lo, s16
	v_mov_b32_e32 v125, 0
	s_waitcnt lgkmcnt(0)
	s_barrier
	buffer_gl0_inv
	s_and_saveexec_b32 s16, s5
	s_cbranch_execz .LBB194_274
; %bb.273:                              ;   in Loop: Header=BB194_232 Depth=2
	ds_load_b32 v125, v38 offset:1020
.LBB194_274:                            ;   in Loop: Header=BB194_232 Depth=2
	s_or_b32 exec_lo, exec_lo, s16
	s_waitcnt lgkmcnt(0)
	v_add_nc_u32_e32 v23, v125, v23
	ds_bpermute_b32 v23, v69, v23
	s_waitcnt lgkmcnt(0)
	v_cndmask_b32_e64 v23, v23, v125, s11
	s_delay_alu instid0(VALU_DEP_1) | instskip(NEXT) | instid1(VALU_DEP_1)
	v_cndmask_b32_e64 v23, v23, 0, s6
	v_add_nc_u32_e32 v124, v23, v124
	s_delay_alu instid0(VALU_DEP_1) | instskip(NEXT) | instid1(VALU_DEP_1)
	v_add_nc_u32_e32 v26, v124, v26
	v_add_nc_u32_e32 v27, v26, v27
	s_delay_alu instid0(VALU_DEP_1) | instskip(NEXT) | instid1(VALU_DEP_1)
	v_add_nc_u32_e32 v24, v27, v24
	;; [unrolled: 3-line block ×3, first 2 shown]
	v_add_nc_u32_e32 v21, v20, v21
	s_delay_alu instid0(VALU_DEP_1)
	v_add_nc_u32_e32 v22, v21, v22
	ds_store_b32 v46, v23 offset:1056
	ds_store_2addr_b32 v47, v124, v26 offset0:1 offset1:2
	ds_store_2addr_b32 v47, v27, v24 offset0:3 offset1:4
	;; [unrolled: 1-line block ×4, first 2 shown]
	v_mov_b32_e32 v22, 0x800
	s_waitcnt lgkmcnt(0)
	s_barrier
	buffer_gl0_inv
	ds_load_b32 v20, v105
	ds_load_b32 v21, v108
	ds_load_b32 v23, v111
	ds_load_b32 v24, v114
	ds_load_b32 v25, v117
	ds_load_b32 v108, v120
	ds_load_b32 v111, v123
	ds_load_b32 v26, v102
	ds_load_b32 v27, v46 offset:1056
	s_and_saveexec_b32 s16, s7
	s_cbranch_execz .LBB194_276
; %bb.275:                              ;   in Loop: Header=BB194_232 Depth=2
	ds_load_b32 v22, v49 offset:1056
.LBB194_276:                            ;   in Loop: Header=BB194_232 Depth=2
	s_or_b32 exec_lo, exec_lo, s16
	s_waitcnt lgkmcnt(0)
	s_barrier
	buffer_gl0_inv
	s_and_saveexec_b32 s16, s2
	s_cbranch_execz .LBB194_278
; %bb.277:                              ;   in Loop: Header=BB194_232 Depth=2
	ds_load_b32 v102, v28
	s_waitcnt lgkmcnt(0)
	v_sub_nc_u32_e32 v27, v102, v27
	ds_store_b32 v28, v27
.LBB194_278:                            ;   in Loop: Header=BB194_232 Depth=2
	s_or_b32 exec_lo, exec_lo, s16
	v_add_nc_u32_e32 v105, v26, v101
	v_add3_u32 v102, v104, v103, v20
	v_add3_u32 v101, v107, v106, v21
	;; [unrolled: 1-line block ×7, first 2 shown]
	v_cmp_lt_u32_e64 s22, v1, v2
	ds_store_b8 v105, v93 offset:1024
	ds_store_b8 v102, v94 offset:1024
	;; [unrolled: 1-line block ×8, first 2 shown]
	s_waitcnt lgkmcnt(0)
	s_barrier
	buffer_gl0_inv
	s_and_saveexec_b32 s16, s22
	s_cbranch_execz .LBB194_286
; %bb.279:                              ;   in Loop: Header=BB194_232 Depth=2
	ds_load_u8 v20, v1 offset:1024
	s_waitcnt lgkmcnt(0)
	v_and_b32_e32 v21, 0xff, v20
	s_delay_alu instid0(VALU_DEP_1) | instskip(NEXT) | instid1(VALU_DEP_1)
	v_lshrrev_b32_e32 v21, s30, v21
	v_and_b32_e32 v21, s31, v21
	s_delay_alu instid0(VALU_DEP_1)
	v_lshlrev_b32_e32 v21, 2, v21
	ds_load_b32 v21, v21
	s_waitcnt lgkmcnt(0)
	v_add_nc_u32_e32 v21, v21, v1
	global_store_b8 v21, v20, s[40:41]
	s_or_b32 exec_lo, exec_lo, s16
	v_cmp_lt_u32_e64 s21, v29, v2
	s_delay_alu instid0(VALU_DEP_1)
	s_and_saveexec_b32 s16, s21
	s_cbranch_execnz .LBB194_287
.LBB194_280:                            ;   in Loop: Header=BB194_232 Depth=2
	s_or_b32 exec_lo, exec_lo, s16
	v_cmp_lt_u32_e64 s20, v30, v2
	s_delay_alu instid0(VALU_DEP_1)
	s_and_saveexec_b32 s16, s20
	s_cbranch_execz .LBB194_288
.LBB194_281:                            ;   in Loop: Header=BB194_232 Depth=2
	ds_load_u8 v20, v35 offset:512
	s_waitcnt lgkmcnt(0)
	v_and_b32_e32 v21, 0xff, v20
	s_delay_alu instid0(VALU_DEP_1) | instskip(NEXT) | instid1(VALU_DEP_1)
	v_lshrrev_b32_e32 v21, s30, v21
	v_and_b32_e32 v21, s31, v21
	s_delay_alu instid0(VALU_DEP_1)
	v_lshlrev_b32_e32 v21, 2, v21
	ds_load_b32 v21, v21
	s_waitcnt lgkmcnt(0)
	v_add_nc_u32_e32 v21, v21, v30
	global_store_b8 v21, v20, s[40:41]
	s_or_b32 exec_lo, exec_lo, s16
	v_cmp_lt_u32_e64 s19, v31, v2
	s_delay_alu instid0(VALU_DEP_1)
	s_and_saveexec_b32 s16, s19
	s_cbranch_execnz .LBB194_289
.LBB194_282:                            ;   in Loop: Header=BB194_232 Depth=2
	s_or_b32 exec_lo, exec_lo, s16
	v_cmp_lt_u32_e64 s18, v35, v2
	s_delay_alu instid0(VALU_DEP_1)
	s_and_saveexec_b32 s16, s18
	s_cbranch_execz .LBB194_290
.LBB194_283:                            ;   in Loop: Header=BB194_232 Depth=2
	ds_load_u8 v20, v35 offset:1024
	s_waitcnt lgkmcnt(0)
	v_and_b32_e32 v21, 0xff, v20
	s_delay_alu instid0(VALU_DEP_1) | instskip(NEXT) | instid1(VALU_DEP_1)
	v_lshrrev_b32_e32 v21, s30, v21
	v_and_b32_e32 v21, s31, v21
	s_delay_alu instid0(VALU_DEP_1)
	v_lshlrev_b32_e32 v21, 2, v21
	ds_load_b32 v21, v21
	s_waitcnt lgkmcnt(0)
	v_add_nc_u32_e32 v21, v21, v35
	global_store_b8 v21, v20, s[40:41]
	s_or_b32 exec_lo, exec_lo, s16
	v_cmp_lt_u32_e64 s17, v36, v2
	s_delay_alu instid0(VALU_DEP_1)
	s_and_saveexec_b32 s16, s17
	s_cbranch_execnz .LBB194_291
.LBB194_284:                            ;   in Loop: Header=BB194_232 Depth=2
	s_or_b32 exec_lo, exec_lo, s16
	v_cmp_lt_u32_e64 s16, v37, v2
	s_delay_alu instid0(VALU_DEP_1)
	s_and_saveexec_b32 s23, s16
	s_cbranch_execz .LBB194_292
.LBB194_285:                            ;   in Loop: Header=BB194_232 Depth=2
	ds_load_u8 v20, v35 offset:1536
	s_waitcnt lgkmcnt(0)
	v_and_b32_e32 v21, 0xff, v20
	s_delay_alu instid0(VALU_DEP_1) | instskip(NEXT) | instid1(VALU_DEP_1)
	v_lshrrev_b32_e32 v21, s30, v21
	v_and_b32_e32 v21, s31, v21
	s_delay_alu instid0(VALU_DEP_1)
	v_lshlrev_b32_e32 v21, 2, v21
	ds_load_b32 v21, v21
	s_waitcnt lgkmcnt(0)
	v_add_nc_u32_e32 v21, v21, v37
	global_store_b8 v21, v20, s[40:41]
	s_or_b32 exec_lo, exec_lo, s23
	v_cmp_lt_u32_e32 vcc_lo, v39, v2
	s_and_saveexec_b32 s23, vcc_lo
	s_cbranch_execnz .LBB194_293
	s_branch .LBB194_294
.LBB194_286:                            ;   in Loop: Header=BB194_232 Depth=2
	s_or_b32 exec_lo, exec_lo, s16
	v_cmp_lt_u32_e64 s21, v29, v2
	s_delay_alu instid0(VALU_DEP_1)
	s_and_saveexec_b32 s16, s21
	s_cbranch_execz .LBB194_280
.LBB194_287:                            ;   in Loop: Header=BB194_232 Depth=2
	ds_load_u8 v20, v35 offset:256
	s_waitcnt lgkmcnt(0)
	v_and_b32_e32 v21, 0xff, v20
	s_delay_alu instid0(VALU_DEP_1) | instskip(NEXT) | instid1(VALU_DEP_1)
	v_lshrrev_b32_e32 v21, s30, v21
	v_and_b32_e32 v21, s31, v21
	s_delay_alu instid0(VALU_DEP_1)
	v_lshlrev_b32_e32 v21, 2, v21
	ds_load_b32 v21, v21
	s_waitcnt lgkmcnt(0)
	v_add_nc_u32_e32 v21, v21, v29
	global_store_b8 v21, v20, s[40:41]
	s_or_b32 exec_lo, exec_lo, s16
	v_cmp_lt_u32_e64 s20, v30, v2
	s_delay_alu instid0(VALU_DEP_1)
	s_and_saveexec_b32 s16, s20
	s_cbranch_execnz .LBB194_281
.LBB194_288:                            ;   in Loop: Header=BB194_232 Depth=2
	s_or_b32 exec_lo, exec_lo, s16
	v_cmp_lt_u32_e64 s19, v31, v2
	s_delay_alu instid0(VALU_DEP_1)
	s_and_saveexec_b32 s16, s19
	s_cbranch_execz .LBB194_282
.LBB194_289:                            ;   in Loop: Header=BB194_232 Depth=2
	ds_load_u8 v20, v35 offset:768
	s_waitcnt lgkmcnt(0)
	v_and_b32_e32 v21, 0xff, v20
	s_delay_alu instid0(VALU_DEP_1) | instskip(NEXT) | instid1(VALU_DEP_1)
	v_lshrrev_b32_e32 v21, s30, v21
	v_and_b32_e32 v21, s31, v21
	s_delay_alu instid0(VALU_DEP_1)
	v_lshlrev_b32_e32 v21, 2, v21
	ds_load_b32 v21, v21
	s_waitcnt lgkmcnt(0)
	v_add_nc_u32_e32 v21, v21, v31
	global_store_b8 v21, v20, s[40:41]
	s_or_b32 exec_lo, exec_lo, s16
	v_cmp_lt_u32_e64 s18, v35, v2
	s_delay_alu instid0(VALU_DEP_1)
	s_and_saveexec_b32 s16, s18
	s_cbranch_execnz .LBB194_283
.LBB194_290:                            ;   in Loop: Header=BB194_232 Depth=2
	s_or_b32 exec_lo, exec_lo, s16
	v_cmp_lt_u32_e64 s17, v36, v2
	s_delay_alu instid0(VALU_DEP_1)
	s_and_saveexec_b32 s16, s17
	s_cbranch_execz .LBB194_284
.LBB194_291:                            ;   in Loop: Header=BB194_232 Depth=2
	ds_load_u8 v20, v35 offset:1280
	s_waitcnt lgkmcnt(0)
	v_and_b32_e32 v21, 0xff, v20
	s_delay_alu instid0(VALU_DEP_1) | instskip(NEXT) | instid1(VALU_DEP_1)
	v_lshrrev_b32_e32 v21, s30, v21
	v_and_b32_e32 v21, s31, v21
	s_delay_alu instid0(VALU_DEP_1)
	v_lshlrev_b32_e32 v21, 2, v21
	ds_load_b32 v21, v21
	s_waitcnt lgkmcnt(0)
	v_add_nc_u32_e32 v21, v21, v36
	global_store_b8 v21, v20, s[40:41]
	s_or_b32 exec_lo, exec_lo, s16
	v_cmp_lt_u32_e64 s16, v37, v2
	s_delay_alu instid0(VALU_DEP_1)
	s_and_saveexec_b32 s23, s16
	s_cbranch_execnz .LBB194_285
.LBB194_292:                            ;   in Loop: Header=BB194_232 Depth=2
	s_or_b32 exec_lo, exec_lo, s23
	v_cmp_lt_u32_e32 vcc_lo, v39, v2
	s_and_saveexec_b32 s23, vcc_lo
	s_cbranch_execz .LBB194_294
.LBB194_293:                            ;   in Loop: Header=BB194_232 Depth=2
	ds_load_u8 v20, v35 offset:1792
	s_waitcnt lgkmcnt(0)
	v_and_b32_e32 v21, 0xff, v20
	s_delay_alu instid0(VALU_DEP_1) | instskip(NEXT) | instid1(VALU_DEP_1)
	v_lshrrev_b32_e32 v21, s30, v21
	v_and_b32_e32 v21, s31, v21
	s_delay_alu instid0(VALU_DEP_1)
	v_lshlrev_b32_e32 v21, 2, v21
	ds_load_b32 v21, v21
	s_waitcnt lgkmcnt(0)
	v_add_nc_u32_e32 v21, v21, v39
	global_store_b8 v21, v20, s[40:41]
.LBB194_294:                            ;   in Loop: Header=BB194_232 Depth=2
	s_or_b32 exec_lo, exec_lo, s23
	s_lshl_b64 s[52:53], s[24:25], 3
	s_delay_alu instid0(SALU_CYCLE_1) | instskip(NEXT) | instid1(VALU_DEP_1)
	v_add_co_u32 v20, s23, v73, s52
	v_add_co_ci_u32_e64 v21, s23, s53, v74, s23
	v_cmp_lt_u32_e64 s23, v70, v2
	s_delay_alu instid0(VALU_DEP_1) | instskip(NEXT) | instid1(SALU_CYCLE_1)
	s_and_saveexec_b32 s24, s23
	s_xor_b32 s23, exec_lo, s24
	s_cbranch_execz .LBB194_310
; %bb.295:                              ;   in Loop: Header=BB194_232 Depth=2
	global_load_b64 v[18:19], v[20:21], off
	s_or_b32 exec_lo, exec_lo, s23
	s_delay_alu instid0(SALU_CYCLE_1)
	s_mov_b32 s24, exec_lo
	v_cmpx_lt_u32_e64 v75, v2
	s_cbranch_execnz .LBB194_311
.LBB194_296:                            ;   in Loop: Header=BB194_232 Depth=2
	s_or_b32 exec_lo, exec_lo, s24
	s_delay_alu instid0(SALU_CYCLE_1)
	s_mov_b32 s24, exec_lo
	v_cmpx_lt_u32_e64 v76, v2
	s_cbranch_execz .LBB194_312
.LBB194_297:                            ;   in Loop: Header=BB194_232 Depth=2
	global_load_b64 v[14:15], v[20:21], off offset:512
	s_or_b32 exec_lo, exec_lo, s24
	s_delay_alu instid0(SALU_CYCLE_1)
	s_mov_b32 s24, exec_lo
	v_cmpx_lt_u32_e64 v77, v2
	s_cbranch_execnz .LBB194_313
.LBB194_298:                            ;   in Loop: Header=BB194_232 Depth=2
	s_or_b32 exec_lo, exec_lo, s24
	s_delay_alu instid0(SALU_CYCLE_1)
	s_mov_b32 s24, exec_lo
	v_cmpx_lt_u32_e64 v78, v2
	s_cbranch_execz .LBB194_314
.LBB194_299:                            ;   in Loop: Header=BB194_232 Depth=2
	global_load_b64 v[10:11], v[20:21], off offset:1024
	s_or_b32 exec_lo, exec_lo, s24
	s_delay_alu instid0(SALU_CYCLE_1)
	s_mov_b32 s24, exec_lo
	v_cmpx_lt_u32_e64 v79, v2
	s_cbranch_execnz .LBB194_315
.LBB194_300:                            ;   in Loop: Header=BB194_232 Depth=2
	s_or_b32 exec_lo, exec_lo, s24
	s_delay_alu instid0(SALU_CYCLE_1)
	s_mov_b32 s24, exec_lo
	v_cmpx_lt_u32_e64 v80, v2
	s_cbranch_execz .LBB194_316
.LBB194_301:                            ;   in Loop: Header=BB194_232 Depth=2
	global_load_b64 v[6:7], v[20:21], off offset:1536
	s_or_b32 exec_lo, exec_lo, s24
	s_delay_alu instid0(SALU_CYCLE_1)
	s_mov_b32 s24, exec_lo
	v_cmpx_lt_u32_e64 v81, v2
	s_cbranch_execnz .LBB194_317
.LBB194_302:                            ;   in Loop: Header=BB194_232 Depth=2
	s_or_b32 exec_lo, exec_lo, s24
	s_and_saveexec_b32 s23, s22
	s_cbranch_execz .LBB194_318
.LBB194_303:                            ;   in Loop: Header=BB194_232 Depth=2
	ds_load_u8 v2, v1 offset:1024
	s_waitcnt lgkmcnt(0)
	v_lshrrev_b32_e32 v2, s30, v2
	s_delay_alu instid0(VALU_DEP_1)
	v_and_b32_e32 v92, s31, v2
	s_or_b32 exec_lo, exec_lo, s23
	s_and_saveexec_b32 s23, s21
	s_cbranch_execnz .LBB194_319
.LBB194_304:                            ;   in Loop: Header=BB194_232 Depth=2
	s_or_b32 exec_lo, exec_lo, s23
	s_and_saveexec_b32 s23, s20
	s_cbranch_execz .LBB194_320
.LBB194_305:                            ;   in Loop: Header=BB194_232 Depth=2
	ds_load_u8 v2, v35 offset:512
	s_waitcnt lgkmcnt(0)
	v_lshrrev_b32_e32 v2, s30, v2
	s_delay_alu instid0(VALU_DEP_1)
	v_and_b32_e32 v90, s31, v2
	s_or_b32 exec_lo, exec_lo, s23
	s_and_saveexec_b32 s23, s19
	s_cbranch_execnz .LBB194_321
.LBB194_306:                            ;   in Loop: Header=BB194_232 Depth=2
	s_or_b32 exec_lo, exec_lo, s23
	s_and_saveexec_b32 s23, s18
	s_cbranch_execz .LBB194_322
.LBB194_307:                            ;   in Loop: Header=BB194_232 Depth=2
	ds_load_u8 v2, v35 offset:1024
	s_waitcnt lgkmcnt(0)
	v_lshrrev_b32_e32 v2, s30, v2
	s_delay_alu instid0(VALU_DEP_1)
	v_and_b32_e32 v88, s31, v2
	s_or_b32 exec_lo, exec_lo, s23
	s_and_saveexec_b32 s23, s17
	s_cbranch_execnz .LBB194_323
.LBB194_308:                            ;   in Loop: Header=BB194_232 Depth=2
	s_or_b32 exec_lo, exec_lo, s23
	s_and_saveexec_b32 s23, s16
	s_cbranch_execz .LBB194_324
.LBB194_309:                            ;   in Loop: Header=BB194_232 Depth=2
	ds_load_u8 v2, v35 offset:1536
	s_waitcnt lgkmcnt(0)
	v_lshrrev_b32_e32 v2, s30, v2
	s_delay_alu instid0(VALU_DEP_1)
	v_and_b32_e32 v86, s31, v2
	s_or_b32 exec_lo, exec_lo, s23
	s_and_saveexec_b32 s23, vcc_lo
	s_cbranch_execnz .LBB194_325
	s_branch .LBB194_326
.LBB194_310:                            ;   in Loop: Header=BB194_232 Depth=2
	s_or_b32 exec_lo, exec_lo, s23
	s_delay_alu instid0(SALU_CYCLE_1)
	s_mov_b32 s24, exec_lo
	v_cmpx_lt_u32_e64 v75, v2
	s_cbranch_execz .LBB194_296
.LBB194_311:                            ;   in Loop: Header=BB194_232 Depth=2
	global_load_b64 v[16:17], v[20:21], off offset:256
	s_or_b32 exec_lo, exec_lo, s24
	s_delay_alu instid0(SALU_CYCLE_1)
	s_mov_b32 s24, exec_lo
	v_cmpx_lt_u32_e64 v76, v2
	s_cbranch_execnz .LBB194_297
.LBB194_312:                            ;   in Loop: Header=BB194_232 Depth=2
	s_or_b32 exec_lo, exec_lo, s24
	s_delay_alu instid0(SALU_CYCLE_1)
	s_mov_b32 s24, exec_lo
	v_cmpx_lt_u32_e64 v77, v2
	s_cbranch_execz .LBB194_298
.LBB194_313:                            ;   in Loop: Header=BB194_232 Depth=2
	global_load_b64 v[12:13], v[20:21], off offset:768
	s_or_b32 exec_lo, exec_lo, s24
	s_delay_alu instid0(SALU_CYCLE_1)
	s_mov_b32 s24, exec_lo
	v_cmpx_lt_u32_e64 v78, v2
	s_cbranch_execnz .LBB194_299
.LBB194_314:                            ;   in Loop: Header=BB194_232 Depth=2
	s_or_b32 exec_lo, exec_lo, s24
	s_delay_alu instid0(SALU_CYCLE_1)
	s_mov_b32 s24, exec_lo
	v_cmpx_lt_u32_e64 v79, v2
	s_cbranch_execz .LBB194_300
.LBB194_315:                            ;   in Loop: Header=BB194_232 Depth=2
	global_load_b64 v[8:9], v[20:21], off offset:1280
	s_or_b32 exec_lo, exec_lo, s24
	s_delay_alu instid0(SALU_CYCLE_1)
	s_mov_b32 s24, exec_lo
	v_cmpx_lt_u32_e64 v80, v2
	s_cbranch_execnz .LBB194_301
.LBB194_316:                            ;   in Loop: Header=BB194_232 Depth=2
	s_or_b32 exec_lo, exec_lo, s24
	s_delay_alu instid0(SALU_CYCLE_1)
	s_mov_b32 s24, exec_lo
	v_cmpx_lt_u32_e64 v81, v2
	s_cbranch_execz .LBB194_302
.LBB194_317:                            ;   in Loop: Header=BB194_232 Depth=2
	global_load_b64 v[4:5], v[20:21], off offset:1792
	s_or_b32 exec_lo, exec_lo, s24
	s_and_saveexec_b32 s23, s22
	s_cbranch_execnz .LBB194_303
.LBB194_318:                            ;   in Loop: Header=BB194_232 Depth=2
	s_or_b32 exec_lo, exec_lo, s23
	s_and_saveexec_b32 s23, s21
	s_cbranch_execz .LBB194_304
.LBB194_319:                            ;   in Loop: Header=BB194_232 Depth=2
	ds_load_u8 v2, v35 offset:256
	s_waitcnt lgkmcnt(0)
	v_lshrrev_b32_e32 v2, s30, v2
	s_delay_alu instid0(VALU_DEP_1)
	v_and_b32_e32 v91, s31, v2
	s_or_b32 exec_lo, exec_lo, s23
	s_and_saveexec_b32 s23, s20
	s_cbranch_execnz .LBB194_305
.LBB194_320:                            ;   in Loop: Header=BB194_232 Depth=2
	s_or_b32 exec_lo, exec_lo, s23
	s_and_saveexec_b32 s23, s19
	s_cbranch_execz .LBB194_306
.LBB194_321:                            ;   in Loop: Header=BB194_232 Depth=2
	ds_load_u8 v2, v35 offset:768
	s_waitcnt lgkmcnt(0)
	v_lshrrev_b32_e32 v2, s30, v2
	s_delay_alu instid0(VALU_DEP_1)
	v_and_b32_e32 v89, s31, v2
	s_or_b32 exec_lo, exec_lo, s23
	s_and_saveexec_b32 s23, s18
	s_cbranch_execnz .LBB194_307
.LBB194_322:                            ;   in Loop: Header=BB194_232 Depth=2
	s_or_b32 exec_lo, exec_lo, s23
	s_and_saveexec_b32 s23, s17
	s_cbranch_execz .LBB194_308
.LBB194_323:                            ;   in Loop: Header=BB194_232 Depth=2
	ds_load_u8 v2, v35 offset:1280
	s_waitcnt lgkmcnt(0)
	v_lshrrev_b32_e32 v2, s30, v2
	s_delay_alu instid0(VALU_DEP_1)
	v_and_b32_e32 v87, s31, v2
	s_or_b32 exec_lo, exec_lo, s23
	s_and_saveexec_b32 s23, s16
	s_cbranch_execnz .LBB194_309
.LBB194_324:                            ;   in Loop: Header=BB194_232 Depth=2
	s_or_b32 exec_lo, exec_lo, s23
	s_and_saveexec_b32 s23, vcc_lo
	s_cbranch_execz .LBB194_326
.LBB194_325:                            ;   in Loop: Header=BB194_232 Depth=2
	ds_load_u8 v2, v35 offset:1792
	s_waitcnt lgkmcnt(0)
	v_lshrrev_b32_e32 v2, s30, v2
	s_delay_alu instid0(VALU_DEP_1)
	v_and_b32_e32 v85, s31, v2
.LBB194_326:                            ;   in Loop: Header=BB194_232 Depth=2
	s_or_b32 exec_lo, exec_lo, s23
	v_lshlrev_b32_e32 v2, 3, v105
	v_lshlrev_b32_e32 v20, 3, v102
	;; [unrolled: 1-line block ×3, first 2 shown]
	s_waitcnt vmcnt(0)
	s_waitcnt_vscnt null, 0x0
	s_barrier
	buffer_gl0_inv
	ds_store_b64 v2, v[18:19] offset:1024
	ds_store_b64 v20, v[16:17] offset:1024
	;; [unrolled: 1-line block ×3, first 2 shown]
	v_lshlrev_b32_e32 v2, 3, v27
	v_lshlrev_b32_e32 v20, 3, v26
	;; [unrolled: 1-line block ×5, first 2 shown]
	ds_store_b64 v2, v[12:13] offset:1024
	ds_store_b64 v20, v[10:11] offset:1024
	;; [unrolled: 1-line block ×5, first 2 shown]
	s_waitcnt lgkmcnt(0)
	s_barrier
	buffer_gl0_inv
	s_and_saveexec_b32 s23, s22
	s_cbranch_execz .LBB194_334
; %bb.327:                              ;   in Loop: Header=BB194_232 Depth=2
	v_lshlrev_b32_e32 v2, 2, v92
	v_add_nc_u32_e32 v20, v1, v52
	ds_load_b32 v2, v2
	ds_load_b64 v[20:21], v20 offset:1024
	s_waitcnt lgkmcnt(1)
	v_add_nc_u32_e32 v2, v2, v1
	s_delay_alu instid0(VALU_DEP_1) | instskip(NEXT) | instid1(VALU_DEP_1)
	v_lshlrev_b64 v[23:24], 3, v[2:3]
	v_add_co_u32 v23, s22, s46, v23
	s_delay_alu instid0(VALU_DEP_1)
	v_add_co_ci_u32_e64 v24, s22, s47, v24, s22
	s_waitcnt lgkmcnt(0)
	global_store_b64 v[23:24], v[20:21], off
	s_or_b32 exec_lo, exec_lo, s23
	s_and_saveexec_b32 s22, s21
	s_cbranch_execnz .LBB194_335
.LBB194_328:                            ;   in Loop: Header=BB194_232 Depth=2
	s_or_b32 exec_lo, exec_lo, s22
	s_and_saveexec_b32 s21, s20
	s_cbranch_execz .LBB194_336
.LBB194_329:                            ;   in Loop: Header=BB194_232 Depth=2
	v_lshlrev_b32_e32 v2, 2, v90
	v_add_nc_u32_e32 v20, v35, v52
	ds_load_b32 v2, v2
	ds_load_b64 v[20:21], v20 offset:4096
	s_waitcnt lgkmcnt(1)
	v_add_nc_u32_e32 v2, v2, v30
	s_delay_alu instid0(VALU_DEP_1) | instskip(NEXT) | instid1(VALU_DEP_1)
	v_lshlrev_b64 v[23:24], 3, v[2:3]
	v_add_co_u32 v23, s20, s46, v23
	s_delay_alu instid0(VALU_DEP_1)
	v_add_co_ci_u32_e64 v24, s20, s47, v24, s20
	s_waitcnt lgkmcnt(0)
	global_store_b64 v[23:24], v[20:21], off
	s_or_b32 exec_lo, exec_lo, s21
	s_and_saveexec_b32 s20, s19
	s_cbranch_execnz .LBB194_337
.LBB194_330:                            ;   in Loop: Header=BB194_232 Depth=2
	s_or_b32 exec_lo, exec_lo, s20
	s_and_saveexec_b32 s19, s18
	s_cbranch_execz .LBB194_338
.LBB194_331:                            ;   in Loop: Header=BB194_232 Depth=2
	v_lshlrev_b32_e32 v2, 2, v88
	v_add_nc_u32_e32 v20, v35, v52
	ds_load_b32 v2, v2
	ds_load_b64 v[20:21], v20 offset:8192
	s_waitcnt lgkmcnt(1)
	v_add_nc_u32_e32 v2, v2, v35
	s_delay_alu instid0(VALU_DEP_1) | instskip(NEXT) | instid1(VALU_DEP_1)
	v_lshlrev_b64 v[23:24], 3, v[2:3]
	v_add_co_u32 v23, s18, s46, v23
	s_delay_alu instid0(VALU_DEP_1)
	v_add_co_ci_u32_e64 v24, s18, s47, v24, s18
	s_waitcnt lgkmcnt(0)
	global_store_b64 v[23:24], v[20:21], off
	s_or_b32 exec_lo, exec_lo, s19
	s_and_saveexec_b32 s18, s17
	s_cbranch_execnz .LBB194_339
.LBB194_332:                            ;   in Loop: Header=BB194_232 Depth=2
	s_or_b32 exec_lo, exec_lo, s18
	s_and_saveexec_b32 s17, s16
	s_cbranch_execz .LBB194_340
.LBB194_333:                            ;   in Loop: Header=BB194_232 Depth=2
	v_lshlrev_b32_e32 v2, 2, v86
	v_add_nc_u32_e32 v20, v35, v52
	ds_load_b32 v2, v2
	ds_load_b64 v[20:21], v20 offset:12288
	s_waitcnt lgkmcnt(1)
	v_add_nc_u32_e32 v2, v2, v37
	s_delay_alu instid0(VALU_DEP_1) | instskip(NEXT) | instid1(VALU_DEP_1)
	v_lshlrev_b64 v[23:24], 3, v[2:3]
	v_add_co_u32 v23, s16, s46, v23
	s_delay_alu instid0(VALU_DEP_1)
	v_add_co_ci_u32_e64 v24, s16, s47, v24, s16
	s_waitcnt lgkmcnt(0)
	global_store_b64 v[23:24], v[20:21], off
	s_or_b32 exec_lo, exec_lo, s17
	s_and_saveexec_b32 s16, vcc_lo
	s_cbranch_execnz .LBB194_341
	s_branch .LBB194_342
.LBB194_334:                            ;   in Loop: Header=BB194_232 Depth=2
	s_or_b32 exec_lo, exec_lo, s23
	s_and_saveexec_b32 s22, s21
	s_cbranch_execz .LBB194_328
.LBB194_335:                            ;   in Loop: Header=BB194_232 Depth=2
	v_lshlrev_b32_e32 v2, 2, v91
	v_add_nc_u32_e32 v20, v35, v52
	ds_load_b32 v2, v2
	ds_load_b64 v[20:21], v20 offset:2048
	s_waitcnt lgkmcnt(1)
	v_add_nc_u32_e32 v2, v2, v29
	s_delay_alu instid0(VALU_DEP_1) | instskip(NEXT) | instid1(VALU_DEP_1)
	v_lshlrev_b64 v[23:24], 3, v[2:3]
	v_add_co_u32 v23, s21, s46, v23
	s_delay_alu instid0(VALU_DEP_1)
	v_add_co_ci_u32_e64 v24, s21, s47, v24, s21
	s_waitcnt lgkmcnt(0)
	global_store_b64 v[23:24], v[20:21], off
	s_or_b32 exec_lo, exec_lo, s22
	s_and_saveexec_b32 s21, s20
	s_cbranch_execnz .LBB194_329
.LBB194_336:                            ;   in Loop: Header=BB194_232 Depth=2
	s_or_b32 exec_lo, exec_lo, s21
	s_and_saveexec_b32 s20, s19
	s_cbranch_execz .LBB194_330
.LBB194_337:                            ;   in Loop: Header=BB194_232 Depth=2
	v_lshlrev_b32_e32 v2, 2, v89
	v_add_nc_u32_e32 v20, v35, v52
	ds_load_b32 v2, v2
	ds_load_b64 v[20:21], v20 offset:6144
	s_waitcnt lgkmcnt(1)
	v_add_nc_u32_e32 v2, v2, v31
	s_delay_alu instid0(VALU_DEP_1) | instskip(NEXT) | instid1(VALU_DEP_1)
	v_lshlrev_b64 v[23:24], 3, v[2:3]
	v_add_co_u32 v23, s19, s46, v23
	s_delay_alu instid0(VALU_DEP_1)
	v_add_co_ci_u32_e64 v24, s19, s47, v24, s19
	s_waitcnt lgkmcnt(0)
	global_store_b64 v[23:24], v[20:21], off
	s_or_b32 exec_lo, exec_lo, s20
	s_and_saveexec_b32 s19, s18
	s_cbranch_execnz .LBB194_331
.LBB194_338:                            ;   in Loop: Header=BB194_232 Depth=2
	s_or_b32 exec_lo, exec_lo, s19
	s_and_saveexec_b32 s18, s17
	s_cbranch_execz .LBB194_332
.LBB194_339:                            ;   in Loop: Header=BB194_232 Depth=2
	v_lshlrev_b32_e32 v2, 2, v87
	v_add_nc_u32_e32 v20, v35, v52
	ds_load_b32 v2, v2
	ds_load_b64 v[20:21], v20 offset:10240
	s_waitcnt lgkmcnt(1)
	v_add_nc_u32_e32 v2, v2, v36
	s_delay_alu instid0(VALU_DEP_1) | instskip(NEXT) | instid1(VALU_DEP_1)
	v_lshlrev_b64 v[23:24], 3, v[2:3]
	v_add_co_u32 v23, s17, s46, v23
	s_delay_alu instid0(VALU_DEP_1)
	v_add_co_ci_u32_e64 v24, s17, s47, v24, s17
	s_waitcnt lgkmcnt(0)
	global_store_b64 v[23:24], v[20:21], off
	s_or_b32 exec_lo, exec_lo, s18
	s_and_saveexec_b32 s17, s16
	s_cbranch_execnz .LBB194_333
.LBB194_340:                            ;   in Loop: Header=BB194_232 Depth=2
	s_or_b32 exec_lo, exec_lo, s17
	s_and_saveexec_b32 s16, vcc_lo
	s_cbranch_execz .LBB194_342
.LBB194_341:                            ;   in Loop: Header=BB194_232 Depth=2
	v_lshlrev_b32_e32 v2, 2, v85
	v_add_nc_u32_e32 v20, v35, v52
	ds_load_b32 v2, v2
	ds_load_b64 v[20:21], v20 offset:14336
	s_waitcnt lgkmcnt(1)
	v_add_nc_u32_e32 v2, v2, v39
	s_delay_alu instid0(VALU_DEP_1) | instskip(NEXT) | instid1(VALU_DEP_1)
	v_lshlrev_b64 v[23:24], 3, v[2:3]
	v_add_co_u32 v23, vcc_lo, s46, v23
	s_delay_alu instid0(VALU_DEP_2)
	v_add_co_ci_u32_e32 v24, vcc_lo, s47, v24, vcc_lo
	s_waitcnt lgkmcnt(0)
	global_store_b64 v[23:24], v[20:21], off
.LBB194_342:                            ;   in Loop: Header=BB194_232 Depth=2
	s_or_b32 exec_lo, exec_lo, s16
	s_waitcnt_vscnt null, 0x0
	s_barrier
	buffer_gl0_inv
	s_and_saveexec_b32 s16, s2
	s_cbranch_execz .LBB194_231
; %bb.343:                              ;   in Loop: Header=BB194_232 Depth=2
	ds_load_b32 v2, v28
	s_waitcnt lgkmcnt(0)
	v_add_nc_u32_e32 v2, v2, v22
	ds_store_b32 v28, v2
	s_branch .LBB194_231
.LBB194_344:                            ;   in Loop: Header=BB194_12 Depth=1
	s_waitcnt lgkmcnt(0)
	s_barrier
.LBB194_345:                            ;   in Loop: Header=BB194_12 Depth=1
	s_mov_b32 s0, 0
.LBB194_346:                            ;   in Loop: Header=BB194_12 Depth=1
	s_delay_alu instid0(SALU_CYCLE_1)
	s_and_not1_b32 vcc_lo, exec_lo, s0
	s_cbranch_vccnz .LBB194_11
; %bb.347:                              ;   in Loop: Header=BB194_12 Depth=1
	s_and_b32 vcc_lo, exec_lo, s34
	s_mov_b32 s0, -1
	s_cbranch_vccz .LBB194_513
; %bb.348:                              ;   in Loop: Header=BB194_12 Depth=1
	s_mov_b32 s0, s35
	s_mov_b32 s9, s27
	s_barrier
	buffer_gl0_inv
                                        ; implicit-def: $vgpr2
                                        ; implicit-def: $vgpr6
                                        ; implicit-def: $vgpr7
                                        ; implicit-def: $vgpr8
                                        ; implicit-def: $vgpr9
                                        ; implicit-def: $vgpr10
                                        ; implicit-def: $vgpr11
                                        ; implicit-def: $vgpr12
	s_branch .LBB194_350
.LBB194_349:                            ;   in Loop: Header=BB194_350 Depth=2
	s_or_b32 exec_lo, exec_lo, s8
	s_addk_i32 s0, 0xf800
	s_cmp_ge_u32 s1, s33
	s_mov_b32 s9, s1
	s_cbranch_scc1 .LBB194_388
.LBB194_350:                            ;   Parent Loop BB194_12 Depth=1
                                        ; =>  This Inner Loop Header: Depth=2
	s_add_i32 s1, s9, 0x800
	s_delay_alu instid0(SALU_CYCLE_1)
	s_cmp_gt_u32 s1, s33
	s_cbranch_scc1 .LBB194_353
; %bb.351:                              ;   in Loop: Header=BB194_350 Depth=2
	v_add_co_u32 v4, vcc_lo, v59, s9
	v_add_co_ci_u32_e32 v5, vcc_lo, 0, v60, vcc_lo
	s_mov_b32 s8, -1
	s_movk_i32 s12, 0x800
	s_clause 0x6
	global_load_u8 v20, v[4:5], off offset:1536
	global_load_u8 v19, v[4:5], off offset:1280
	;; [unrolled: 1-line block ×6, first 2 shown]
	global_load_u8 v14, v[4:5], off
	v_add_co_u32 v4, vcc_lo, 0x700, v4
	v_add_co_ci_u32_e32 v5, vcc_lo, 0, v5, vcc_lo
	s_cbranch_execz .LBB194_354
; %bb.352:                              ;   in Loop: Header=BB194_350 Depth=2
                                        ; implicit-def: $vgpr2
                                        ; implicit-def: $vgpr6
                                        ; implicit-def: $vgpr7
                                        ; implicit-def: $vgpr8
                                        ; implicit-def: $vgpr9
                                        ; implicit-def: $vgpr10
                                        ; implicit-def: $vgpr11
                                        ; implicit-def: $vgpr12
	v_mov_b32_e32 v13, s0
	s_and_saveexec_b32 s9, s8
	s_cbranch_execnz .LBB194_365
	s_branch .LBB194_366
.LBB194_353:                            ;   in Loop: Header=BB194_350 Depth=2
	s_mov_b32 s8, 0
                                        ; implicit-def: $sgpr12
                                        ; implicit-def: $vgpr14
                                        ; implicit-def: $vgpr15
                                        ; implicit-def: $vgpr16
                                        ; implicit-def: $vgpr17
                                        ; implicit-def: $vgpr18
                                        ; implicit-def: $vgpr19
                                        ; implicit-def: $vgpr20
                                        ; implicit-def: $vgpr4_vgpr5
.LBB194_354:                            ;   in Loop: Header=BB194_350 Depth=2
	s_add_u32 s10, s36, s9
	s_addc_u32 s11, s37, 0
	s_mov_b32 s12, exec_lo
	v_cmpx_gt_u32_e64 s0, v1
	s_cbranch_execz .LBB194_382
; %bb.355:                              ;   in Loop: Header=BB194_350 Depth=2
	v_add_co_u32 v4, s13, s10, v1
	s_delay_alu instid0(VALU_DEP_1) | instskip(SKIP_2) | instid1(SALU_CYCLE_1)
	v_add_co_ci_u32_e64 v5, null, s11, 0, s13
	global_load_u8 v2, v[4:5], off
	s_or_b32 exec_lo, exec_lo, s12
	s_mov_b32 s12, exec_lo
	v_cmpx_gt_u32_e64 s0, v29
	s_cbranch_execnz .LBB194_383
.LBB194_356:                            ;   in Loop: Header=BB194_350 Depth=2
	s_or_b32 exec_lo, exec_lo, s12
	s_delay_alu instid0(SALU_CYCLE_1)
	s_mov_b32 s12, exec_lo
	v_cmpx_gt_u32_e64 s0, v30
	s_cbranch_execz .LBB194_384
.LBB194_357:                            ;   in Loop: Header=BB194_350 Depth=2
	v_add_co_u32 v4, s13, s10, v1
	s_delay_alu instid0(VALU_DEP_1) | instskip(SKIP_2) | instid1(SALU_CYCLE_1)
	v_add_co_ci_u32_e64 v5, null, s11, 0, s13
	global_load_u8 v7, v[4:5], off offset:512
	s_or_b32 exec_lo, exec_lo, s12
	s_mov_b32 s12, exec_lo
	v_cmpx_gt_u32_e64 s0, v31
	s_cbranch_execnz .LBB194_385
.LBB194_358:                            ;   in Loop: Header=BB194_350 Depth=2
	s_or_b32 exec_lo, exec_lo, s12
	s_delay_alu instid0(SALU_CYCLE_1)
	s_mov_b32 s12, exec_lo
	v_cmpx_gt_u32_e64 s0, v35
	s_cbranch_execz .LBB194_386
.LBB194_359:                            ;   in Loop: Header=BB194_350 Depth=2
	v_add_co_u32 v4, s13, s10, v1
	s_delay_alu instid0(VALU_DEP_1) | instskip(SKIP_2) | instid1(SALU_CYCLE_1)
	v_add_co_ci_u32_e64 v5, null, s11, 0, s13
	global_load_u8 v9, v[4:5], off offset:1024
	s_or_b32 exec_lo, exec_lo, s12
	s_mov_b32 s12, exec_lo
	v_cmpx_gt_u32_e64 s0, v36
	s_cbranch_execnz .LBB194_387
.LBB194_360:                            ;   in Loop: Header=BB194_350 Depth=2
	s_or_b32 exec_lo, exec_lo, s12
	s_delay_alu instid0(SALU_CYCLE_1)
	s_mov_b32 s12, exec_lo
	v_cmpx_gt_u32_e64 s0, v37
	s_cbranch_execz .LBB194_362
.LBB194_361:                            ;   in Loop: Header=BB194_350 Depth=2
	v_add_co_u32 v4, s13, s10, v1
	s_delay_alu instid0(VALU_DEP_1)
	v_add_co_ci_u32_e64 v5, null, s11, 0, s13
	global_load_u8 v11, v[4:5], off offset:1536
.LBB194_362:                            ;   in Loop: Header=BB194_350 Depth=2
	s_or_b32 exec_lo, exec_lo, s12
	s_delay_alu instid0(SALU_CYCLE_1)
	s_mov_b32 s13, exec_lo
                                        ; implicit-def: $sgpr12
                                        ; implicit-def: $vgpr4_vgpr5
	v_cmpx_gt_u32_e64 s0, v39
; %bb.363:                              ;   in Loop: Header=BB194_350 Depth=2
	v_add_co_u32 v4, s10, s10, v1
	s_delay_alu instid0(VALU_DEP_1) | instskip(SKIP_1) | instid1(VALU_DEP_2)
	v_add_co_ci_u32_e64 v5, null, s11, 0, s10
	s_sub_i32 s12, s33, s9
	v_add_co_u32 v4, vcc_lo, 0x700, v4
	s_delay_alu instid0(VALU_DEP_2)
	v_add_co_ci_u32_e32 v5, vcc_lo, 0, v5, vcc_lo
	s_or_b32 s8, s8, exec_lo
                                        ; implicit-def: $vgpr12
; %bb.364:                              ;   in Loop: Header=BB194_350 Depth=2
	s_or_b32 exec_lo, exec_lo, s13
	s_waitcnt vmcnt(0)
	v_dual_mov_b32 v14, v2 :: v_dual_mov_b32 v17, v8
	v_dual_mov_b32 v15, v6 :: v_dual_mov_b32 v16, v7
	;; [unrolled: 1-line block ×4, first 2 shown]
	s_and_saveexec_b32 s9, s8
	s_cbranch_execz .LBB194_366
.LBB194_365:                            ;   in Loop: Header=BB194_350 Depth=2
	global_load_u8 v12, v[4:5], off
	s_waitcnt vmcnt(1)
	v_dual_mov_b32 v13, s12 :: v_dual_mov_b32 v2, v14
	v_dual_mov_b32 v6, v15 :: v_dual_mov_b32 v7, v16
	;; [unrolled: 1-line block ×4, first 2 shown]
.LBB194_366:                            ;   in Loop: Header=BB194_350 Depth=2
	s_or_b32 exec_lo, exec_lo, s9
	s_delay_alu instid0(SALU_CYCLE_1)
	s_mov_b32 s8, exec_lo
	v_cmpx_lt_u32_e64 v1, v13
	s_cbranch_execz .LBB194_374
; %bb.367:                              ;   in Loop: Header=BB194_350 Depth=2
	v_and_b32_e32 v4, 0xff, v2
	v_lshlrev_b32_e32 v5, 2, v32
	s_delay_alu instid0(VALU_DEP_2) | instskip(NEXT) | instid1(VALU_DEP_1)
	v_lshrrev_b32_e32 v4, s49, v4
	v_and_b32_e32 v4, s31, v4
	s_delay_alu instid0(VALU_DEP_1) | instskip(SKIP_2) | instid1(SALU_CYCLE_1)
	v_lshl_or_b32 v4, v4, 4, v5
	ds_add_u32 v4, v66
	s_or_b32 exec_lo, exec_lo, s8
	s_mov_b32 s8, exec_lo
	v_cmpx_lt_u32_e64 v29, v13
	s_cbranch_execnz .LBB194_375
.LBB194_368:                            ;   in Loop: Header=BB194_350 Depth=2
	s_or_b32 exec_lo, exec_lo, s8
	s_delay_alu instid0(SALU_CYCLE_1)
	s_mov_b32 s8, exec_lo
	v_cmpx_lt_u32_e64 v30, v13
	s_cbranch_execz .LBB194_376
.LBB194_369:                            ;   in Loop: Header=BB194_350 Depth=2
	v_and_b32_e32 v4, 0xff, v7
	v_lshlrev_b32_e32 v5, 2, v32
	s_delay_alu instid0(VALU_DEP_2) | instskip(NEXT) | instid1(VALU_DEP_1)
	v_lshrrev_b32_e32 v4, s49, v4
	v_and_b32_e32 v4, s31, v4
	s_delay_alu instid0(VALU_DEP_1) | instskip(SKIP_2) | instid1(SALU_CYCLE_1)
	v_lshl_or_b32 v4, v4, 4, v5
	ds_add_u32 v4, v66
	s_or_b32 exec_lo, exec_lo, s8
	s_mov_b32 s8, exec_lo
	v_cmpx_lt_u32_e64 v31, v13
	s_cbranch_execnz .LBB194_377
.LBB194_370:                            ;   in Loop: Header=BB194_350 Depth=2
	s_or_b32 exec_lo, exec_lo, s8
	s_delay_alu instid0(SALU_CYCLE_1)
	s_mov_b32 s8, exec_lo
	v_cmpx_lt_u32_e64 v35, v13
	s_cbranch_execz .LBB194_378
.LBB194_371:                            ;   in Loop: Header=BB194_350 Depth=2
	v_and_b32_e32 v4, 0xff, v9
	v_lshlrev_b32_e32 v5, 2, v32
	s_delay_alu instid0(VALU_DEP_2) | instskip(NEXT) | instid1(VALU_DEP_1)
	v_lshrrev_b32_e32 v4, s49, v4
	v_and_b32_e32 v4, s31, v4
	s_delay_alu instid0(VALU_DEP_1) | instskip(SKIP_2) | instid1(SALU_CYCLE_1)
	v_lshl_or_b32 v4, v4, 4, v5
	ds_add_u32 v4, v66
	s_or_b32 exec_lo, exec_lo, s8
	s_mov_b32 s8, exec_lo
	v_cmpx_lt_u32_e64 v36, v13
	s_cbranch_execnz .LBB194_379
.LBB194_372:                            ;   in Loop: Header=BB194_350 Depth=2
	s_or_b32 exec_lo, exec_lo, s8
	s_delay_alu instid0(SALU_CYCLE_1)
	s_mov_b32 s8, exec_lo
	v_cmpx_lt_u32_e64 v37, v13
	s_cbranch_execz .LBB194_380
.LBB194_373:                            ;   in Loop: Header=BB194_350 Depth=2
	v_and_b32_e32 v4, 0xff, v11
	v_lshlrev_b32_e32 v5, 2, v32
	s_delay_alu instid0(VALU_DEP_2) | instskip(NEXT) | instid1(VALU_DEP_1)
	v_lshrrev_b32_e32 v4, s49, v4
	v_and_b32_e32 v4, s31, v4
	s_delay_alu instid0(VALU_DEP_1) | instskip(SKIP_2) | instid1(SALU_CYCLE_1)
	v_lshl_or_b32 v4, v4, 4, v5
	ds_add_u32 v4, v66
	s_or_b32 exec_lo, exec_lo, s8
	s_mov_b32 s8, exec_lo
	v_cmpx_lt_u32_e64 v39, v13
	s_cbranch_execz .LBB194_349
	s_branch .LBB194_381
.LBB194_374:                            ;   in Loop: Header=BB194_350 Depth=2
	s_or_b32 exec_lo, exec_lo, s8
	s_delay_alu instid0(SALU_CYCLE_1)
	s_mov_b32 s8, exec_lo
	v_cmpx_lt_u32_e64 v29, v13
	s_cbranch_execz .LBB194_368
.LBB194_375:                            ;   in Loop: Header=BB194_350 Depth=2
	v_and_b32_e32 v4, 0xff, v6
	v_lshlrev_b32_e32 v5, 2, v32
	s_delay_alu instid0(VALU_DEP_2) | instskip(NEXT) | instid1(VALU_DEP_1)
	v_lshrrev_b32_e32 v4, s49, v4
	v_and_b32_e32 v4, s31, v4
	s_delay_alu instid0(VALU_DEP_1) | instskip(SKIP_2) | instid1(SALU_CYCLE_1)
	v_lshl_or_b32 v4, v4, 4, v5
	ds_add_u32 v4, v66
	s_or_b32 exec_lo, exec_lo, s8
	s_mov_b32 s8, exec_lo
	v_cmpx_lt_u32_e64 v30, v13
	s_cbranch_execnz .LBB194_369
.LBB194_376:                            ;   in Loop: Header=BB194_350 Depth=2
	s_or_b32 exec_lo, exec_lo, s8
	s_delay_alu instid0(SALU_CYCLE_1)
	s_mov_b32 s8, exec_lo
	v_cmpx_lt_u32_e64 v31, v13
	s_cbranch_execz .LBB194_370
.LBB194_377:                            ;   in Loop: Header=BB194_350 Depth=2
	v_and_b32_e32 v4, 0xff, v8
	v_lshlrev_b32_e32 v5, 2, v32
	s_delay_alu instid0(VALU_DEP_2) | instskip(NEXT) | instid1(VALU_DEP_1)
	v_lshrrev_b32_e32 v4, s49, v4
	v_and_b32_e32 v4, s31, v4
	s_delay_alu instid0(VALU_DEP_1) | instskip(SKIP_2) | instid1(SALU_CYCLE_1)
	v_lshl_or_b32 v4, v4, 4, v5
	ds_add_u32 v4, v66
	s_or_b32 exec_lo, exec_lo, s8
	s_mov_b32 s8, exec_lo
	v_cmpx_lt_u32_e64 v35, v13
	s_cbranch_execnz .LBB194_371
.LBB194_378:                            ;   in Loop: Header=BB194_350 Depth=2
	s_or_b32 exec_lo, exec_lo, s8
	s_delay_alu instid0(SALU_CYCLE_1)
	s_mov_b32 s8, exec_lo
	v_cmpx_lt_u32_e64 v36, v13
	s_cbranch_execz .LBB194_372
.LBB194_379:                            ;   in Loop: Header=BB194_350 Depth=2
	v_and_b32_e32 v4, 0xff, v10
	v_lshlrev_b32_e32 v5, 2, v32
	s_delay_alu instid0(VALU_DEP_2) | instskip(NEXT) | instid1(VALU_DEP_1)
	v_lshrrev_b32_e32 v4, s49, v4
	v_and_b32_e32 v4, s31, v4
	s_delay_alu instid0(VALU_DEP_1) | instskip(SKIP_2) | instid1(SALU_CYCLE_1)
	v_lshl_or_b32 v4, v4, 4, v5
	ds_add_u32 v4, v66
	s_or_b32 exec_lo, exec_lo, s8
	s_mov_b32 s8, exec_lo
	v_cmpx_lt_u32_e64 v37, v13
	s_cbranch_execnz .LBB194_373
.LBB194_380:                            ;   in Loop: Header=BB194_350 Depth=2
	s_or_b32 exec_lo, exec_lo, s8
	s_delay_alu instid0(SALU_CYCLE_1)
	s_mov_b32 s8, exec_lo
	v_cmpx_lt_u32_e64 v39, v13
	s_cbranch_execz .LBB194_349
.LBB194_381:                            ;   in Loop: Header=BB194_350 Depth=2
	s_waitcnt vmcnt(0)
	v_and_b32_e32 v4, 0xff, v12
	v_lshlrev_b32_e32 v5, 2, v32
	s_delay_alu instid0(VALU_DEP_2) | instskip(NEXT) | instid1(VALU_DEP_1)
	v_lshrrev_b32_e32 v4, s49, v4
	v_and_b32_e32 v4, s31, v4
	s_delay_alu instid0(VALU_DEP_1)
	v_lshl_or_b32 v4, v4, 4, v5
	ds_add_u32 v4, v66
	s_branch .LBB194_349
.LBB194_382:                            ;   in Loop: Header=BB194_350 Depth=2
	s_or_b32 exec_lo, exec_lo, s12
	s_delay_alu instid0(SALU_CYCLE_1)
	s_mov_b32 s12, exec_lo
	v_cmpx_gt_u32_e64 s0, v29
	s_cbranch_execz .LBB194_356
.LBB194_383:                            ;   in Loop: Header=BB194_350 Depth=2
	v_add_co_u32 v4, s13, s10, v1
	s_delay_alu instid0(VALU_DEP_1) | instskip(SKIP_2) | instid1(SALU_CYCLE_1)
	v_add_co_ci_u32_e64 v5, null, s11, 0, s13
	global_load_u8 v6, v[4:5], off offset:256
	s_or_b32 exec_lo, exec_lo, s12
	s_mov_b32 s12, exec_lo
	v_cmpx_gt_u32_e64 s0, v30
	s_cbranch_execnz .LBB194_357
.LBB194_384:                            ;   in Loop: Header=BB194_350 Depth=2
	s_or_b32 exec_lo, exec_lo, s12
	s_delay_alu instid0(SALU_CYCLE_1)
	s_mov_b32 s12, exec_lo
	v_cmpx_gt_u32_e64 s0, v31
	s_cbranch_execz .LBB194_358
.LBB194_385:                            ;   in Loop: Header=BB194_350 Depth=2
	v_add_co_u32 v4, s13, s10, v1
	s_delay_alu instid0(VALU_DEP_1) | instskip(SKIP_2) | instid1(SALU_CYCLE_1)
	v_add_co_ci_u32_e64 v5, null, s11, 0, s13
	global_load_u8 v8, v[4:5], off offset:768
	s_or_b32 exec_lo, exec_lo, s12
	s_mov_b32 s12, exec_lo
	v_cmpx_gt_u32_e64 s0, v35
	s_cbranch_execnz .LBB194_359
.LBB194_386:                            ;   in Loop: Header=BB194_350 Depth=2
	s_or_b32 exec_lo, exec_lo, s12
	s_delay_alu instid0(SALU_CYCLE_1)
	s_mov_b32 s12, exec_lo
	v_cmpx_gt_u32_e64 s0, v36
	s_cbranch_execz .LBB194_360
.LBB194_387:                            ;   in Loop: Header=BB194_350 Depth=2
	v_add_co_u32 v4, s13, s10, v1
	s_delay_alu instid0(VALU_DEP_1) | instskip(SKIP_2) | instid1(SALU_CYCLE_1)
	v_add_co_ci_u32_e64 v5, null, s11, 0, s13
	global_load_u8 v10, v[4:5], off offset:1280
	s_or_b32 exec_lo, exec_lo, s12
	s_mov_b32 s12, exec_lo
	v_cmpx_gt_u32_e64 s0, v37
	s_cbranch_execz .LBB194_362
	s_branch .LBB194_361
.LBB194_388:                            ;   in Loop: Header=BB194_12 Depth=1
	v_mov_b32_e32 v2, 0
	s_waitcnt vmcnt(0) lgkmcnt(0)
	s_barrier
	buffer_gl0_inv
	s_and_saveexec_b32 s0, s2
	s_cbranch_execz .LBB194_390
; %bb.389:                              ;   in Loop: Header=BB194_12 Depth=1
	ds_load_2addr_b64 v[4:7], v40 offset1:1
	s_waitcnt lgkmcnt(0)
	v_add_nc_u32_e32 v2, v5, v4
	s_delay_alu instid0(VALU_DEP_1)
	v_add3_u32 v2, v2, v6, v7
.LBB194_390:                            ;   in Loop: Header=BB194_12 Depth=1
	s_or_b32 exec_lo, exec_lo, s0
	v_and_b32_e32 v4, 15, v63
	s_delay_alu instid0(VALU_DEP_2) | instskip(SKIP_1) | instid1(VALU_DEP_3)
	v_mov_b32_dpp v5, v2 row_shr:1 row_mask:0xf bank_mask:0xf
	v_and_b32_e32 v6, 16, v63
	v_cmp_eq_u32_e64 s0, 0, v4
	v_cmp_lt_u32_e64 s1, 1, v4
	v_cmp_lt_u32_e64 s8, 3, v4
	;; [unrolled: 1-line block ×3, first 2 shown]
	v_cmp_eq_u32_e64 s10, 0, v6
	v_cndmask_b32_e64 v5, v5, 0, s0
	s_delay_alu instid0(VALU_DEP_1) | instskip(NEXT) | instid1(VALU_DEP_1)
	v_add_nc_u32_e32 v2, v5, v2
	v_mov_b32_dpp v5, v2 row_shr:2 row_mask:0xf bank_mask:0xf
	s_delay_alu instid0(VALU_DEP_1) | instskip(NEXT) | instid1(VALU_DEP_1)
	v_cndmask_b32_e64 v5, 0, v5, s1
	v_add_nc_u32_e32 v2, v2, v5
	s_delay_alu instid0(VALU_DEP_1) | instskip(NEXT) | instid1(VALU_DEP_1)
	v_mov_b32_dpp v5, v2 row_shr:4 row_mask:0xf bank_mask:0xf
	v_cndmask_b32_e64 v5, 0, v5, s8
	s_delay_alu instid0(VALU_DEP_1) | instskip(NEXT) | instid1(VALU_DEP_1)
	v_add_nc_u32_e32 v2, v2, v5
	v_mov_b32_dpp v5, v2 row_shr:8 row_mask:0xf bank_mask:0xf
	s_delay_alu instid0(VALU_DEP_1) | instskip(SKIP_1) | instid1(VALU_DEP_2)
	v_cndmask_b32_e64 v4, 0, v5, s9
	v_bfe_i32 v5, v63, 4, 1
	v_add_nc_u32_e32 v2, v2, v4
	ds_swizzle_b32 v4, v2 offset:swizzle(BROADCAST,32,15)
	s_waitcnt lgkmcnt(0)
	v_and_b32_e32 v4, v5, v4
	s_delay_alu instid0(VALU_DEP_1)
	v_add_nc_u32_e32 v4, v2, v4
	s_and_saveexec_b32 s11, s3
	s_cbranch_execz .LBB194_392
; %bb.391:                              ;   in Loop: Header=BB194_12 Depth=1
	ds_store_b32 v41, v4
.LBB194_392:                            ;   in Loop: Header=BB194_12 Depth=1
	s_or_b32 exec_lo, exec_lo, s11
	v_and_b32_e32 v2, 7, v63
	s_waitcnt lgkmcnt(0)
	s_barrier
	buffer_gl0_inv
	s_and_saveexec_b32 s11, s4
	s_cbranch_execz .LBB194_394
; %bb.393:                              ;   in Loop: Header=BB194_12 Depth=1
	ds_load_b32 v5, v42
	v_cmp_ne_u32_e32 vcc_lo, 0, v2
	s_waitcnt lgkmcnt(0)
	v_mov_b32_dpp v6, v5 row_shr:1 row_mask:0xf bank_mask:0xf
	s_delay_alu instid0(VALU_DEP_1) | instskip(SKIP_1) | instid1(VALU_DEP_2)
	v_cndmask_b32_e32 v6, 0, v6, vcc_lo
	v_cmp_lt_u32_e32 vcc_lo, 1, v2
	v_add_nc_u32_e32 v5, v6, v5
	s_delay_alu instid0(VALU_DEP_1) | instskip(NEXT) | instid1(VALU_DEP_1)
	v_mov_b32_dpp v6, v5 row_shr:2 row_mask:0xf bank_mask:0xf
	v_cndmask_b32_e32 v6, 0, v6, vcc_lo
	v_cmp_lt_u32_e32 vcc_lo, 3, v2
	s_delay_alu instid0(VALU_DEP_2) | instskip(NEXT) | instid1(VALU_DEP_1)
	v_add_nc_u32_e32 v5, v5, v6
	v_mov_b32_dpp v6, v5 row_shr:4 row_mask:0xf bank_mask:0xf
	s_delay_alu instid0(VALU_DEP_1) | instskip(NEXT) | instid1(VALU_DEP_1)
	v_cndmask_b32_e32 v6, 0, v6, vcc_lo
	v_add_nc_u32_e32 v5, v5, v6
	ds_store_b32 v42, v5
.LBB194_394:                            ;   in Loop: Header=BB194_12 Depth=1
	s_or_b32 exec_lo, exec_lo, s11
	v_mov_b32_e32 v5, 0
	s_waitcnt lgkmcnt(0)
	s_barrier
	buffer_gl0_inv
	s_and_saveexec_b32 s11, s5
	s_cbranch_execz .LBB194_396
; %bb.395:                              ;   in Loop: Header=BB194_12 Depth=1
	ds_load_b32 v5, v43
.LBB194_396:                            ;   in Loop: Header=BB194_12 Depth=1
	s_or_b32 exec_lo, exec_lo, s11
	v_add_nc_u32_e32 v6, -1, v63
	s_waitcnt lgkmcnt(0)
	v_add_nc_u32_e32 v4, v5, v4
	v_cmp_eq_u32_e64 s11, 0, v63
	s_barrier
	v_cmp_gt_i32_e32 vcc_lo, 0, v6
	buffer_gl0_inv
	v_cndmask_b32_e32 v6, v6, v63, vcc_lo
	s_delay_alu instid0(VALU_DEP_1)
	v_lshlrev_b32_e32 v69, 2, v6
	ds_bpermute_b32 v4, v69, v4
	s_and_saveexec_b32 s12, s2
	s_cbranch_execz .LBB194_398
; %bb.397:                              ;   in Loop: Header=BB194_12 Depth=1
	s_waitcnt lgkmcnt(0)
	v_cndmask_b32_e64 v4, v4, v5, s11
	s_delay_alu instid0(VALU_DEP_1)
	v_add_nc_u32_e32 v4, s27, v4
	ds_store_b32 v28, v4
.LBB194_398:                            ;   in Loop: Header=BB194_12 Depth=1
	s_or_b32 exec_lo, exec_lo, s12
	s_load_b64 s[12:13], s[28:29], 0x0
	v_cmp_lt_u32_e64 s14, 3, v2
	v_add_co_u32 v71, vcc_lo, v64, v63
	v_add_co_ci_u32_e32 v72, vcc_lo, 0, v65, vcc_lo
	v_or_b32_e32 v70, v63, v44
	s_mov_b32 s42, s35
	s_mov_b32 s24, s27
                                        ; implicit-def: $vgpr8_vgpr9
                                        ; implicit-def: $vgpr10_vgpr11
                                        ; implicit-def: $vgpr12_vgpr13
                                        ; implicit-def: $vgpr14_vgpr15
                                        ; implicit-def: $vgpr16_vgpr17
                                        ; implicit-def: $vgpr18_vgpr19
                                        ; implicit-def: $vgpr85
                                        ; implicit-def: $vgpr86
                                        ; implicit-def: $vgpr87
                                        ; implicit-def: $vgpr88
                                        ; implicit-def: $vgpr89
                                        ; implicit-def: $vgpr90
                                        ; implicit-def: $vgpr91
                                        ; implicit-def: $vgpr92
	s_delay_alu instid0(VALU_DEP_1)
	v_or_b32_e32 v75, 32, v70
	v_or_b32_e32 v76, 64, v70
	;; [unrolled: 1-line block ×7, first 2 shown]
	s_waitcnt lgkmcnt(0)
	s_cmp_lt_u32 s15, s13
	s_cselect_b32 s13, 14, 20
	s_delay_alu instid0(SALU_CYCLE_1) | instskip(SKIP_4) | instid1(SALU_CYCLE_1)
	s_add_u32 s16, s28, s13
	s_addc_u32 s17, s29, 0
	s_cmp_lt_u32 s26, s12
	global_load_u16 v4, v3, s[16:17]
	s_cselect_b32 s12, 12, 18
	s_add_u32 s12, s28, s12
	s_addc_u32 s13, s29, 0
	global_load_u16 v6, v3, s[12:13]
	v_cmp_eq_u32_e64 s12, 0, v2
	v_cmp_lt_u32_e64 s13, 1, v2
	v_lshlrev_b32_e32 v2, 3, v63
	s_delay_alu instid0(VALU_DEP_1)
	v_add_co_u32 v73, vcc_lo, v61, v2
	v_add_co_ci_u32_e32 v74, vcc_lo, 0, v62, vcc_lo
	v_add_co_u32 v83, vcc_lo, 0xe0, v71
	v_add_co_ci_u32_e32 v84, vcc_lo, 0, v72, vcc_lo
	s_waitcnt vmcnt(1)
	v_mad_u32_u24 v7, v45, v4, v0
	s_waitcnt vmcnt(0)
	s_delay_alu instid0(VALU_DEP_1) | instskip(NEXT) | instid1(VALU_DEP_1)
	v_mad_u64_u32 v[4:5], null, v7, v6, v[1:2]
                                        ; implicit-def: $vgpr6_vgpr7
	v_lshrrev_b32_e32 v82, 5, v4
                                        ; implicit-def: $vgpr4_vgpr5
	s_branch .LBB194_400
.LBB194_399:                            ;   in Loop: Header=BB194_400 Depth=2
	s_or_b32 exec_lo, exec_lo, s16
	s_addk_i32 s42, 0xf800
	s_cmp_lt_u32 s43, s33
	s_mov_b32 s24, s43
	s_cbranch_scc0 .LBB194_512
.LBB194_400:                            ;   Parent Loop BB194_12 Depth=1
                                        ; =>  This Inner Loop Header: Depth=2
	s_add_i32 s43, s24, 0x800
	s_delay_alu instid0(SALU_CYCLE_1)
	s_cmp_gt_u32 s43, s33
	s_cbranch_scc1 .LBB194_403
; %bb.401:                              ;   in Loop: Header=BB194_400 Depth=2
	v_add_co_u32 v20, vcc_lo, v71, s24
	v_add_co_ci_u32_e32 v21, vcc_lo, 0, v72, vcc_lo
	s_mov_b32 s17, 0
	s_mov_b32 s16, s24
	s_mov_b32 s19, -1
	s_clause 0x6
	global_load_u8 v93, v[20:21], off
	global_load_u8 v94, v[20:21], off offset:32
	global_load_u8 v95, v[20:21], off offset:64
	;; [unrolled: 1-line block ×6, first 2 shown]
	s_movk_i32 s18, 0x800
	s_cbranch_execz .LBB194_404
; %bb.402:                              ;   in Loop: Header=BB194_400 Depth=2
                                        ; implicit-def: $sgpr20
	v_mov_b32_e32 v100, s20
	v_mov_b32_e32 v2, s42
	s_and_saveexec_b32 s20, s19
	s_cbranch_execnz .LBB194_419
	s_branch .LBB194_420
.LBB194_403:                            ;   in Loop: Header=BB194_400 Depth=2
	s_mov_b32 s17, -1
	s_mov_b32 s19, 0
                                        ; implicit-def: $sgpr18
                                        ; implicit-def: $vgpr93
                                        ; implicit-def: $vgpr94
                                        ; implicit-def: $vgpr95
                                        ; implicit-def: $vgpr96
                                        ; implicit-def: $vgpr97
                                        ; implicit-def: $vgpr98
                                        ; implicit-def: $vgpr99
.LBB194_404:                            ;   in Loop: Header=BB194_400 Depth=2
	v_add_co_u32 v20, vcc_lo, v71, s24
	v_add_co_ci_u32_e32 v21, vcc_lo, 0, v72, vcc_lo
	s_waitcnt vmcnt(5)
	v_dual_mov_b32 v94, 0xff :: v_dual_mov_b32 v93, 0xff
	s_mov_b32 s16, exec_lo
	v_cmpx_gt_u32_e64 s42, v70
	s_cbranch_execz .LBB194_406
; %bb.405:                              ;   in Loop: Header=BB194_400 Depth=2
	global_load_u8 v93, v[20:21], off
.LBB194_406:                            ;   in Loop: Header=BB194_400 Depth=2
	s_or_b32 exec_lo, exec_lo, s16
	s_delay_alu instid0(SALU_CYCLE_1)
	s_mov_b32 s16, exec_lo
	v_cmpx_gt_u32_e64 s42, v75
	s_cbranch_execz .LBB194_408
; %bb.407:                              ;   in Loop: Header=BB194_400 Depth=2
	global_load_u8 v94, v[20:21], off offset:32
.LBB194_408:                            ;   in Loop: Header=BB194_400 Depth=2
	s_or_b32 exec_lo, exec_lo, s16
	s_waitcnt vmcnt(3)
	v_dual_mov_b32 v96, 0xff :: v_dual_mov_b32 v95, 0xff
	s_mov_b32 s16, exec_lo
	v_cmpx_gt_u32_e64 s42, v76
	s_cbranch_execz .LBB194_410
; %bb.409:                              ;   in Loop: Header=BB194_400 Depth=2
	global_load_u8 v95, v[20:21], off offset:64
.LBB194_410:                            ;   in Loop: Header=BB194_400 Depth=2
	s_or_b32 exec_lo, exec_lo, s16
	s_delay_alu instid0(SALU_CYCLE_1)
	s_mov_b32 s16, exec_lo
	v_cmpx_gt_u32_e64 s42, v77
	s_cbranch_execz .LBB194_412
; %bb.411:                              ;   in Loop: Header=BB194_400 Depth=2
	global_load_u8 v96, v[20:21], off offset:96
.LBB194_412:                            ;   in Loop: Header=BB194_400 Depth=2
	s_or_b32 exec_lo, exec_lo, s16
	s_waitcnt vmcnt(1)
	v_dual_mov_b32 v98, 0xff :: v_dual_mov_b32 v97, 0xff
	s_mov_b32 s16, exec_lo
	v_cmpx_gt_u32_e64 s42, v78
	s_cbranch_execz .LBB194_414
; %bb.413:                              ;   in Loop: Header=BB194_400 Depth=2
	global_load_u8 v97, v[20:21], off offset:128
.LBB194_414:                            ;   in Loop: Header=BB194_400 Depth=2
	s_or_b32 exec_lo, exec_lo, s16
	s_delay_alu instid0(SALU_CYCLE_1)
	s_mov_b32 s16, exec_lo
	v_cmpx_gt_u32_e64 s42, v79
	s_cbranch_execz .LBB194_416
; %bb.415:                              ;   in Loop: Header=BB194_400 Depth=2
	global_load_u8 v98, v[20:21], off offset:160
.LBB194_416:                            ;   in Loop: Header=BB194_400 Depth=2
	s_or_b32 exec_lo, exec_lo, s16
	s_waitcnt vmcnt(0)
	v_mov_b32_e32 v99, 0xff
	s_mov_b32 s16, exec_lo
	v_cmpx_gt_u32_e64 s42, v80
	s_cbranch_execz .LBB194_418
; %bb.417:                              ;   in Loop: Header=BB194_400 Depth=2
	global_load_u8 v99, v[20:21], off offset:192
.LBB194_418:                            ;   in Loop: Header=BB194_400 Depth=2
	s_or_b32 exec_lo, exec_lo, s16
	v_cmp_gt_u32_e64 s19, s42, v81
	s_sub_i32 s18, s33, s24
	s_movk_i32 s20, 0xff
	s_mov_b64 s[16:17], s[24:25]
	v_mov_b32_e32 v100, s20
	v_mov_b32_e32 v2, s42
	s_and_saveexec_b32 s20, s19
	s_cbranch_execz .LBB194_420
.LBB194_419:                            ;   in Loop: Header=BB194_400 Depth=2
	v_add_co_u32 v20, vcc_lo, v83, s16
	v_add_co_ci_u32_e32 v21, vcc_lo, s17, v84, vcc_lo
	v_mov_b32_e32 v2, s18
	global_load_u8 v100, v[20:21], off
.LBB194_420:                            ;   in Loop: Header=BB194_400 Depth=2
	s_or_b32 exec_lo, exec_lo, s20
	s_waitcnt vmcnt(6)
	v_and_b32_e32 v20, 0xff, v93
	ds_store_b32 v46, v3 offset:1056
	ds_store_2addr_b32 v47, v3, v3 offset0:1 offset1:2
	ds_store_2addr_b32 v47, v3, v3 offset0:3 offset1:4
	;; [unrolled: 1-line block ×4, first 2 shown]
	s_waitcnt vmcnt(0) lgkmcnt(0)
	s_barrier
	v_lshrrev_b32_e32 v20, s49, v20
	buffer_gl0_inv
	; wave barrier
	v_and_b32_e32 v21, s31, v20
	s_delay_alu instid0(VALU_DEP_1)
	v_and_b32_e32 v20, 1, v21
	v_lshlrev_b32_e32 v22, 30, v21
	v_lshlrev_b32_e32 v23, 29, v21
	;; [unrolled: 1-line block ×4, first 2 shown]
	v_add_co_u32 v20, s16, v20, -1
	s_delay_alu instid0(VALU_DEP_1)
	v_cndmask_b32_e64 v25, 0, 1, s16
	v_not_b32_e32 v102, v22
	v_cmp_gt_i32_e64 s16, 0, v22
	v_not_b32_e32 v22, v23
	v_lshlrev_b32_e32 v27, 26, v21
	v_cmp_ne_u32_e32 vcc_lo, 0, v25
	v_ashrrev_i32_e32 v102, 31, v102
	v_lshlrev_b32_e32 v101, 25, v21
	v_ashrrev_i32_e32 v22, 31, v22
	v_lshlrev_b32_e32 v25, 24, v21
	v_xor_b32_e32 v20, vcc_lo, v20
	v_cmp_gt_i32_e32 vcc_lo, 0, v23
	v_not_b32_e32 v23, v24
	v_xor_b32_e32 v102, s16, v102
	v_cmp_gt_i32_e64 s16, 0, v24
	v_and_b32_e32 v20, exec_lo, v20
	v_not_b32_e32 v24, v26
	v_ashrrev_i32_e32 v23, 31, v23
	v_xor_b32_e32 v22, vcc_lo, v22
	v_cmp_gt_i32_e32 vcc_lo, 0, v26
	v_and_b32_e32 v20, v20, v102
	v_not_b32_e32 v26, v27
	v_ashrrev_i32_e32 v24, 31, v24
	v_xor_b32_e32 v23, s16, v23
	v_cmp_gt_i32_e64 s16, 0, v27
	v_and_b32_e32 v20, v20, v22
	v_not_b32_e32 v22, v101
	v_ashrrev_i32_e32 v26, 31, v26
	v_xor_b32_e32 v24, vcc_lo, v24
	v_cmp_gt_i32_e32 vcc_lo, 0, v101
	v_and_b32_e32 v20, v20, v23
	v_not_b32_e32 v23, v25
	v_ashrrev_i32_e32 v22, 31, v22
	v_xor_b32_e32 v26, s16, v26
	v_cmp_gt_i32_e64 s16, 0, v25
	v_and_b32_e32 v20, v20, v24
	v_ashrrev_i32_e32 v23, 31, v23
	v_xor_b32_e32 v22, vcc_lo, v22
	v_mad_u32_u24 v21, v21, 9, v82
	s_delay_alu instid0(VALU_DEP_4) | instskip(NEXT) | instid1(VALU_DEP_4)
	v_and_b32_e32 v20, v20, v26
	v_xor_b32_e32 v23, s16, v23
	s_delay_alu instid0(VALU_DEP_3) | instskip(NEXT) | instid1(VALU_DEP_3)
	v_lshl_add_u32 v102, v21, 2, 0x420
	v_and_b32_e32 v20, v20, v22
	s_delay_alu instid0(VALU_DEP_1) | instskip(NEXT) | instid1(VALU_DEP_1)
	v_and_b32_e32 v20, v20, v23
	v_mbcnt_lo_u32_b32 v101, v20, 0
	v_cmp_ne_u32_e64 s16, 0, v20
	s_delay_alu instid0(VALU_DEP_2) | instskip(NEXT) | instid1(VALU_DEP_2)
	v_cmp_eq_u32_e32 vcc_lo, 0, v101
	s_and_b32 s17, s16, vcc_lo
	s_delay_alu instid0(SALU_CYCLE_1)
	s_and_saveexec_b32 s16, s17
	s_cbranch_execz .LBB194_422
; %bb.421:                              ;   in Loop: Header=BB194_400 Depth=2
	v_bcnt_u32_b32 v20, v20, 0
	ds_store_b32 v102, v20
.LBB194_422:                            ;   in Loop: Header=BB194_400 Depth=2
	s_or_b32 exec_lo, exec_lo, s16
	v_and_b32_e32 v20, 0xff, v94
	; wave barrier
	s_delay_alu instid0(VALU_DEP_1) | instskip(NEXT) | instid1(VALU_DEP_1)
	v_lshrrev_b32_e32 v20, s49, v20
	v_and_b32_e32 v20, s31, v20
	s_delay_alu instid0(VALU_DEP_1)
	v_and_b32_e32 v21, 1, v20
	v_lshlrev_b32_e32 v22, 30, v20
	v_lshlrev_b32_e32 v23, 29, v20
	;; [unrolled: 1-line block ×4, first 2 shown]
	v_add_co_u32 v21, s16, v21, -1
	s_delay_alu instid0(VALU_DEP_1)
	v_cndmask_b32_e64 v25, 0, 1, s16
	v_not_b32_e32 v104, v22
	v_cmp_gt_i32_e64 s16, 0, v22
	v_not_b32_e32 v22, v23
	v_lshlrev_b32_e32 v27, 26, v20
	v_cmp_ne_u32_e32 vcc_lo, 0, v25
	v_ashrrev_i32_e32 v104, 31, v104
	v_lshlrev_b32_e32 v103, 25, v20
	v_ashrrev_i32_e32 v22, 31, v22
	v_lshlrev_b32_e32 v25, 24, v20
	v_xor_b32_e32 v21, vcc_lo, v21
	v_cmp_gt_i32_e32 vcc_lo, 0, v23
	v_not_b32_e32 v23, v24
	v_xor_b32_e32 v104, s16, v104
	v_cmp_gt_i32_e64 s16, 0, v24
	v_and_b32_e32 v21, exec_lo, v21
	v_not_b32_e32 v24, v26
	v_ashrrev_i32_e32 v23, 31, v23
	v_xor_b32_e32 v22, vcc_lo, v22
	v_cmp_gt_i32_e32 vcc_lo, 0, v26
	v_and_b32_e32 v21, v21, v104
	v_not_b32_e32 v26, v27
	v_ashrrev_i32_e32 v24, 31, v24
	v_xor_b32_e32 v23, s16, v23
	v_cmp_gt_i32_e64 s16, 0, v27
	v_and_b32_e32 v21, v21, v22
	v_not_b32_e32 v22, v103
	v_ashrrev_i32_e32 v26, 31, v26
	v_xor_b32_e32 v24, vcc_lo, v24
	v_cmp_gt_i32_e32 vcc_lo, 0, v103
	v_and_b32_e32 v21, v21, v23
	v_not_b32_e32 v23, v25
	v_ashrrev_i32_e32 v22, 31, v22
	v_xor_b32_e32 v26, s16, v26
	v_mul_u32_u24_e32 v20, 9, v20
	v_and_b32_e32 v21, v21, v24
	v_cmp_gt_i32_e64 s16, 0, v25
	v_ashrrev_i32_e32 v23, 31, v23
	v_xor_b32_e32 v22, vcc_lo, v22
	v_add_lshl_u32 v24, v20, v82, 2
	v_and_b32_e32 v21, v21, v26
	s_delay_alu instid0(VALU_DEP_4) | instskip(SKIP_3) | instid1(VALU_DEP_2)
	v_xor_b32_e32 v20, s16, v23
	ds_load_b32 v103, v24 offset:1056
	v_and_b32_e32 v21, v21, v22
	v_add_nc_u32_e32 v105, 0x420, v24
	; wave barrier
	v_and_b32_e32 v20, v21, v20
	s_delay_alu instid0(VALU_DEP_1) | instskip(SKIP_1) | instid1(VALU_DEP_2)
	v_mbcnt_lo_u32_b32 v104, v20, 0
	v_cmp_ne_u32_e64 s16, 0, v20
	v_cmp_eq_u32_e32 vcc_lo, 0, v104
	s_delay_alu instid0(VALU_DEP_2) | instskip(NEXT) | instid1(SALU_CYCLE_1)
	s_and_b32 s17, s16, vcc_lo
	s_and_saveexec_b32 s16, s17
	s_cbranch_execz .LBB194_424
; %bb.423:                              ;   in Loop: Header=BB194_400 Depth=2
	s_waitcnt lgkmcnt(0)
	v_bcnt_u32_b32 v20, v20, v103
	ds_store_b32 v105, v20
.LBB194_424:                            ;   in Loop: Header=BB194_400 Depth=2
	s_or_b32 exec_lo, exec_lo, s16
	v_and_b32_e32 v20, 0xff, v95
	; wave barrier
	s_delay_alu instid0(VALU_DEP_1) | instskip(NEXT) | instid1(VALU_DEP_1)
	v_lshrrev_b32_e32 v20, s49, v20
	v_and_b32_e32 v20, s31, v20
	s_delay_alu instid0(VALU_DEP_1)
	v_and_b32_e32 v21, 1, v20
	v_lshlrev_b32_e32 v22, 30, v20
	v_lshlrev_b32_e32 v23, 29, v20
	;; [unrolled: 1-line block ×4, first 2 shown]
	v_add_co_u32 v21, s16, v21, -1
	s_delay_alu instid0(VALU_DEP_1)
	v_cndmask_b32_e64 v25, 0, 1, s16
	v_not_b32_e32 v107, v22
	v_cmp_gt_i32_e64 s16, 0, v22
	v_not_b32_e32 v22, v23
	v_lshlrev_b32_e32 v27, 26, v20
	v_cmp_ne_u32_e32 vcc_lo, 0, v25
	v_ashrrev_i32_e32 v107, 31, v107
	v_lshlrev_b32_e32 v106, 25, v20
	v_ashrrev_i32_e32 v22, 31, v22
	v_lshlrev_b32_e32 v25, 24, v20
	v_xor_b32_e32 v21, vcc_lo, v21
	v_cmp_gt_i32_e32 vcc_lo, 0, v23
	v_not_b32_e32 v23, v24
	v_xor_b32_e32 v107, s16, v107
	v_cmp_gt_i32_e64 s16, 0, v24
	v_and_b32_e32 v21, exec_lo, v21
	v_not_b32_e32 v24, v26
	v_ashrrev_i32_e32 v23, 31, v23
	v_xor_b32_e32 v22, vcc_lo, v22
	v_cmp_gt_i32_e32 vcc_lo, 0, v26
	v_and_b32_e32 v21, v21, v107
	v_not_b32_e32 v26, v27
	v_ashrrev_i32_e32 v24, 31, v24
	v_xor_b32_e32 v23, s16, v23
	v_cmp_gt_i32_e64 s16, 0, v27
	v_and_b32_e32 v21, v21, v22
	v_not_b32_e32 v22, v106
	v_ashrrev_i32_e32 v26, 31, v26
	v_xor_b32_e32 v24, vcc_lo, v24
	v_cmp_gt_i32_e32 vcc_lo, 0, v106
	v_and_b32_e32 v21, v21, v23
	v_not_b32_e32 v23, v25
	v_ashrrev_i32_e32 v22, 31, v22
	v_xor_b32_e32 v26, s16, v26
	v_mul_u32_u24_e32 v20, 9, v20
	v_and_b32_e32 v21, v21, v24
	v_cmp_gt_i32_e64 s16, 0, v25
	v_ashrrev_i32_e32 v23, 31, v23
	v_xor_b32_e32 v22, vcc_lo, v22
	v_add_lshl_u32 v24, v20, v82, 2
	v_and_b32_e32 v21, v21, v26
	s_delay_alu instid0(VALU_DEP_4) | instskip(SKIP_3) | instid1(VALU_DEP_2)
	v_xor_b32_e32 v20, s16, v23
	ds_load_b32 v106, v24 offset:1056
	v_and_b32_e32 v21, v21, v22
	v_add_nc_u32_e32 v108, 0x420, v24
	; wave barrier
	v_and_b32_e32 v20, v21, v20
	s_delay_alu instid0(VALU_DEP_1) | instskip(SKIP_1) | instid1(VALU_DEP_2)
	v_mbcnt_lo_u32_b32 v107, v20, 0
	v_cmp_ne_u32_e64 s16, 0, v20
	v_cmp_eq_u32_e32 vcc_lo, 0, v107
	s_delay_alu instid0(VALU_DEP_2) | instskip(NEXT) | instid1(SALU_CYCLE_1)
	s_and_b32 s17, s16, vcc_lo
	s_and_saveexec_b32 s16, s17
	s_cbranch_execz .LBB194_426
; %bb.425:                              ;   in Loop: Header=BB194_400 Depth=2
	s_waitcnt lgkmcnt(0)
	v_bcnt_u32_b32 v20, v20, v106
	ds_store_b32 v108, v20
.LBB194_426:                            ;   in Loop: Header=BB194_400 Depth=2
	s_or_b32 exec_lo, exec_lo, s16
	v_and_b32_e32 v20, 0xff, v96
	; wave barrier
	s_delay_alu instid0(VALU_DEP_1) | instskip(NEXT) | instid1(VALU_DEP_1)
	v_lshrrev_b32_e32 v20, s49, v20
	v_and_b32_e32 v20, s31, v20
	s_delay_alu instid0(VALU_DEP_1)
	v_and_b32_e32 v21, 1, v20
	v_lshlrev_b32_e32 v22, 30, v20
	v_lshlrev_b32_e32 v23, 29, v20
	;; [unrolled: 1-line block ×4, first 2 shown]
	v_add_co_u32 v21, s16, v21, -1
	s_delay_alu instid0(VALU_DEP_1)
	v_cndmask_b32_e64 v25, 0, 1, s16
	v_not_b32_e32 v110, v22
	v_cmp_gt_i32_e64 s16, 0, v22
	v_not_b32_e32 v22, v23
	v_lshlrev_b32_e32 v27, 26, v20
	v_cmp_ne_u32_e32 vcc_lo, 0, v25
	v_ashrrev_i32_e32 v110, 31, v110
	v_lshlrev_b32_e32 v109, 25, v20
	v_ashrrev_i32_e32 v22, 31, v22
	v_lshlrev_b32_e32 v25, 24, v20
	v_xor_b32_e32 v21, vcc_lo, v21
	v_cmp_gt_i32_e32 vcc_lo, 0, v23
	v_not_b32_e32 v23, v24
	v_xor_b32_e32 v110, s16, v110
	v_cmp_gt_i32_e64 s16, 0, v24
	v_and_b32_e32 v21, exec_lo, v21
	v_not_b32_e32 v24, v26
	v_ashrrev_i32_e32 v23, 31, v23
	v_xor_b32_e32 v22, vcc_lo, v22
	v_cmp_gt_i32_e32 vcc_lo, 0, v26
	v_and_b32_e32 v21, v21, v110
	v_not_b32_e32 v26, v27
	v_ashrrev_i32_e32 v24, 31, v24
	v_xor_b32_e32 v23, s16, v23
	v_cmp_gt_i32_e64 s16, 0, v27
	v_and_b32_e32 v21, v21, v22
	v_not_b32_e32 v22, v109
	v_ashrrev_i32_e32 v26, 31, v26
	v_xor_b32_e32 v24, vcc_lo, v24
	v_cmp_gt_i32_e32 vcc_lo, 0, v109
	v_and_b32_e32 v21, v21, v23
	v_not_b32_e32 v23, v25
	v_ashrrev_i32_e32 v22, 31, v22
	v_xor_b32_e32 v26, s16, v26
	v_mul_u32_u24_e32 v20, 9, v20
	v_and_b32_e32 v21, v21, v24
	v_cmp_gt_i32_e64 s16, 0, v25
	v_ashrrev_i32_e32 v23, 31, v23
	v_xor_b32_e32 v22, vcc_lo, v22
	v_add_lshl_u32 v24, v20, v82, 2
	v_and_b32_e32 v21, v21, v26
	s_delay_alu instid0(VALU_DEP_4) | instskip(SKIP_3) | instid1(VALU_DEP_2)
	v_xor_b32_e32 v20, s16, v23
	ds_load_b32 v109, v24 offset:1056
	v_and_b32_e32 v21, v21, v22
	v_add_nc_u32_e32 v111, 0x420, v24
	; wave barrier
	v_and_b32_e32 v20, v21, v20
	s_delay_alu instid0(VALU_DEP_1) | instskip(SKIP_1) | instid1(VALU_DEP_2)
	v_mbcnt_lo_u32_b32 v110, v20, 0
	v_cmp_ne_u32_e64 s16, 0, v20
	v_cmp_eq_u32_e32 vcc_lo, 0, v110
	s_delay_alu instid0(VALU_DEP_2) | instskip(NEXT) | instid1(SALU_CYCLE_1)
	s_and_b32 s17, s16, vcc_lo
	s_and_saveexec_b32 s16, s17
	s_cbranch_execz .LBB194_428
; %bb.427:                              ;   in Loop: Header=BB194_400 Depth=2
	s_waitcnt lgkmcnt(0)
	v_bcnt_u32_b32 v20, v20, v109
	ds_store_b32 v111, v20
.LBB194_428:                            ;   in Loop: Header=BB194_400 Depth=2
	s_or_b32 exec_lo, exec_lo, s16
	v_and_b32_e32 v20, 0xff, v97
	; wave barrier
	s_delay_alu instid0(VALU_DEP_1) | instskip(NEXT) | instid1(VALU_DEP_1)
	v_lshrrev_b32_e32 v20, s49, v20
	v_and_b32_e32 v20, s31, v20
	s_delay_alu instid0(VALU_DEP_1)
	v_and_b32_e32 v21, 1, v20
	v_lshlrev_b32_e32 v22, 30, v20
	v_lshlrev_b32_e32 v23, 29, v20
	;; [unrolled: 1-line block ×4, first 2 shown]
	v_add_co_u32 v21, s16, v21, -1
	s_delay_alu instid0(VALU_DEP_1)
	v_cndmask_b32_e64 v25, 0, 1, s16
	v_not_b32_e32 v113, v22
	v_cmp_gt_i32_e64 s16, 0, v22
	v_not_b32_e32 v22, v23
	v_lshlrev_b32_e32 v27, 26, v20
	v_cmp_ne_u32_e32 vcc_lo, 0, v25
	v_ashrrev_i32_e32 v113, 31, v113
	v_lshlrev_b32_e32 v112, 25, v20
	v_ashrrev_i32_e32 v22, 31, v22
	v_lshlrev_b32_e32 v25, 24, v20
	v_xor_b32_e32 v21, vcc_lo, v21
	v_cmp_gt_i32_e32 vcc_lo, 0, v23
	v_not_b32_e32 v23, v24
	v_xor_b32_e32 v113, s16, v113
	v_cmp_gt_i32_e64 s16, 0, v24
	v_and_b32_e32 v21, exec_lo, v21
	v_not_b32_e32 v24, v26
	v_ashrrev_i32_e32 v23, 31, v23
	v_xor_b32_e32 v22, vcc_lo, v22
	v_cmp_gt_i32_e32 vcc_lo, 0, v26
	v_and_b32_e32 v21, v21, v113
	v_not_b32_e32 v26, v27
	v_ashrrev_i32_e32 v24, 31, v24
	v_xor_b32_e32 v23, s16, v23
	v_cmp_gt_i32_e64 s16, 0, v27
	v_and_b32_e32 v21, v21, v22
	v_not_b32_e32 v22, v112
	v_ashrrev_i32_e32 v26, 31, v26
	v_xor_b32_e32 v24, vcc_lo, v24
	v_cmp_gt_i32_e32 vcc_lo, 0, v112
	v_and_b32_e32 v21, v21, v23
	v_not_b32_e32 v23, v25
	v_ashrrev_i32_e32 v22, 31, v22
	v_xor_b32_e32 v26, s16, v26
	v_mul_u32_u24_e32 v20, 9, v20
	v_and_b32_e32 v21, v21, v24
	v_cmp_gt_i32_e64 s16, 0, v25
	v_ashrrev_i32_e32 v23, 31, v23
	v_xor_b32_e32 v22, vcc_lo, v22
	v_add_lshl_u32 v24, v20, v82, 2
	v_and_b32_e32 v21, v21, v26
	s_delay_alu instid0(VALU_DEP_4) | instskip(SKIP_3) | instid1(VALU_DEP_2)
	v_xor_b32_e32 v20, s16, v23
	ds_load_b32 v112, v24 offset:1056
	v_and_b32_e32 v21, v21, v22
	v_add_nc_u32_e32 v114, 0x420, v24
	; wave barrier
	v_and_b32_e32 v20, v21, v20
	s_delay_alu instid0(VALU_DEP_1) | instskip(SKIP_1) | instid1(VALU_DEP_2)
	v_mbcnt_lo_u32_b32 v113, v20, 0
	v_cmp_ne_u32_e64 s16, 0, v20
	v_cmp_eq_u32_e32 vcc_lo, 0, v113
	s_delay_alu instid0(VALU_DEP_2) | instskip(NEXT) | instid1(SALU_CYCLE_1)
	s_and_b32 s17, s16, vcc_lo
	s_and_saveexec_b32 s16, s17
	s_cbranch_execz .LBB194_430
; %bb.429:                              ;   in Loop: Header=BB194_400 Depth=2
	s_waitcnt lgkmcnt(0)
	v_bcnt_u32_b32 v20, v20, v112
	ds_store_b32 v114, v20
.LBB194_430:                            ;   in Loop: Header=BB194_400 Depth=2
	s_or_b32 exec_lo, exec_lo, s16
	v_and_b32_e32 v20, 0xff, v98
	; wave barrier
	s_delay_alu instid0(VALU_DEP_1) | instskip(NEXT) | instid1(VALU_DEP_1)
	v_lshrrev_b32_e32 v20, s49, v20
	v_and_b32_e32 v20, s31, v20
	s_delay_alu instid0(VALU_DEP_1)
	v_and_b32_e32 v21, 1, v20
	v_lshlrev_b32_e32 v22, 30, v20
	v_lshlrev_b32_e32 v23, 29, v20
	;; [unrolled: 1-line block ×4, first 2 shown]
	v_add_co_u32 v21, s16, v21, -1
	s_delay_alu instid0(VALU_DEP_1)
	v_cndmask_b32_e64 v25, 0, 1, s16
	v_not_b32_e32 v116, v22
	v_cmp_gt_i32_e64 s16, 0, v22
	v_not_b32_e32 v22, v23
	v_lshlrev_b32_e32 v27, 26, v20
	v_cmp_ne_u32_e32 vcc_lo, 0, v25
	v_ashrrev_i32_e32 v116, 31, v116
	v_lshlrev_b32_e32 v115, 25, v20
	v_ashrrev_i32_e32 v22, 31, v22
	v_lshlrev_b32_e32 v25, 24, v20
	v_xor_b32_e32 v21, vcc_lo, v21
	v_cmp_gt_i32_e32 vcc_lo, 0, v23
	v_not_b32_e32 v23, v24
	v_xor_b32_e32 v116, s16, v116
	v_cmp_gt_i32_e64 s16, 0, v24
	v_and_b32_e32 v21, exec_lo, v21
	v_not_b32_e32 v24, v26
	v_ashrrev_i32_e32 v23, 31, v23
	v_xor_b32_e32 v22, vcc_lo, v22
	v_cmp_gt_i32_e32 vcc_lo, 0, v26
	v_and_b32_e32 v21, v21, v116
	v_not_b32_e32 v26, v27
	v_ashrrev_i32_e32 v24, 31, v24
	v_xor_b32_e32 v23, s16, v23
	v_cmp_gt_i32_e64 s16, 0, v27
	v_and_b32_e32 v21, v21, v22
	v_not_b32_e32 v22, v115
	v_ashrrev_i32_e32 v26, 31, v26
	v_xor_b32_e32 v24, vcc_lo, v24
	v_cmp_gt_i32_e32 vcc_lo, 0, v115
	v_and_b32_e32 v21, v21, v23
	v_not_b32_e32 v23, v25
	v_ashrrev_i32_e32 v22, 31, v22
	v_xor_b32_e32 v26, s16, v26
	v_mul_u32_u24_e32 v20, 9, v20
	v_and_b32_e32 v21, v21, v24
	v_cmp_gt_i32_e64 s16, 0, v25
	v_ashrrev_i32_e32 v23, 31, v23
	v_xor_b32_e32 v22, vcc_lo, v22
	v_add_lshl_u32 v24, v20, v82, 2
	v_and_b32_e32 v21, v21, v26
	s_delay_alu instid0(VALU_DEP_4) | instskip(SKIP_3) | instid1(VALU_DEP_2)
	v_xor_b32_e32 v20, s16, v23
	ds_load_b32 v115, v24 offset:1056
	v_and_b32_e32 v21, v21, v22
	v_add_nc_u32_e32 v117, 0x420, v24
	; wave barrier
	v_and_b32_e32 v20, v21, v20
	s_delay_alu instid0(VALU_DEP_1) | instskip(SKIP_1) | instid1(VALU_DEP_2)
	v_mbcnt_lo_u32_b32 v116, v20, 0
	v_cmp_ne_u32_e64 s16, 0, v20
	v_cmp_eq_u32_e32 vcc_lo, 0, v116
	s_delay_alu instid0(VALU_DEP_2) | instskip(NEXT) | instid1(SALU_CYCLE_1)
	s_and_b32 s17, s16, vcc_lo
	s_and_saveexec_b32 s16, s17
	s_cbranch_execz .LBB194_432
; %bb.431:                              ;   in Loop: Header=BB194_400 Depth=2
	s_waitcnt lgkmcnt(0)
	v_bcnt_u32_b32 v20, v20, v115
	ds_store_b32 v117, v20
.LBB194_432:                            ;   in Loop: Header=BB194_400 Depth=2
	s_or_b32 exec_lo, exec_lo, s16
	v_and_b32_e32 v20, 0xff, v99
	; wave barrier
	s_delay_alu instid0(VALU_DEP_1) | instskip(NEXT) | instid1(VALU_DEP_1)
	v_lshrrev_b32_e32 v20, s49, v20
	v_and_b32_e32 v20, s31, v20
	s_delay_alu instid0(VALU_DEP_1)
	v_and_b32_e32 v21, 1, v20
	v_lshlrev_b32_e32 v22, 30, v20
	v_lshlrev_b32_e32 v23, 29, v20
	;; [unrolled: 1-line block ×4, first 2 shown]
	v_add_co_u32 v21, s16, v21, -1
	s_delay_alu instid0(VALU_DEP_1)
	v_cndmask_b32_e64 v25, 0, 1, s16
	v_not_b32_e32 v119, v22
	v_cmp_gt_i32_e64 s16, 0, v22
	v_not_b32_e32 v22, v23
	v_lshlrev_b32_e32 v27, 26, v20
	v_cmp_ne_u32_e32 vcc_lo, 0, v25
	v_ashrrev_i32_e32 v119, 31, v119
	v_lshlrev_b32_e32 v118, 25, v20
	v_ashrrev_i32_e32 v22, 31, v22
	v_lshlrev_b32_e32 v25, 24, v20
	v_xor_b32_e32 v21, vcc_lo, v21
	v_cmp_gt_i32_e32 vcc_lo, 0, v23
	v_not_b32_e32 v23, v24
	v_xor_b32_e32 v119, s16, v119
	v_cmp_gt_i32_e64 s16, 0, v24
	v_and_b32_e32 v21, exec_lo, v21
	v_not_b32_e32 v24, v26
	v_ashrrev_i32_e32 v23, 31, v23
	v_xor_b32_e32 v22, vcc_lo, v22
	v_cmp_gt_i32_e32 vcc_lo, 0, v26
	v_and_b32_e32 v21, v21, v119
	v_not_b32_e32 v26, v27
	v_ashrrev_i32_e32 v24, 31, v24
	v_xor_b32_e32 v23, s16, v23
	v_cmp_gt_i32_e64 s16, 0, v27
	v_and_b32_e32 v21, v21, v22
	v_not_b32_e32 v22, v118
	v_ashrrev_i32_e32 v26, 31, v26
	v_xor_b32_e32 v24, vcc_lo, v24
	v_cmp_gt_i32_e32 vcc_lo, 0, v118
	v_and_b32_e32 v21, v21, v23
	v_not_b32_e32 v23, v25
	v_ashrrev_i32_e32 v22, 31, v22
	v_xor_b32_e32 v26, s16, v26
	v_mul_u32_u24_e32 v20, 9, v20
	v_and_b32_e32 v21, v21, v24
	v_cmp_gt_i32_e64 s16, 0, v25
	v_ashrrev_i32_e32 v23, 31, v23
	v_xor_b32_e32 v22, vcc_lo, v22
	v_add_lshl_u32 v24, v20, v82, 2
	v_and_b32_e32 v21, v21, v26
	s_delay_alu instid0(VALU_DEP_4) | instskip(SKIP_3) | instid1(VALU_DEP_2)
	v_xor_b32_e32 v20, s16, v23
	ds_load_b32 v118, v24 offset:1056
	v_and_b32_e32 v21, v21, v22
	v_add_nc_u32_e32 v120, 0x420, v24
	; wave barrier
	v_and_b32_e32 v20, v21, v20
	s_delay_alu instid0(VALU_DEP_1) | instskip(SKIP_1) | instid1(VALU_DEP_2)
	v_mbcnt_lo_u32_b32 v119, v20, 0
	v_cmp_ne_u32_e64 s16, 0, v20
	v_cmp_eq_u32_e32 vcc_lo, 0, v119
	s_delay_alu instid0(VALU_DEP_2) | instskip(NEXT) | instid1(SALU_CYCLE_1)
	s_and_b32 s17, s16, vcc_lo
	s_and_saveexec_b32 s16, s17
	s_cbranch_execz .LBB194_434
; %bb.433:                              ;   in Loop: Header=BB194_400 Depth=2
	s_waitcnt lgkmcnt(0)
	v_bcnt_u32_b32 v20, v20, v118
	ds_store_b32 v120, v20
.LBB194_434:                            ;   in Loop: Header=BB194_400 Depth=2
	s_or_b32 exec_lo, exec_lo, s16
	v_and_b32_e32 v20, 0xff, v100
	; wave barrier
	s_delay_alu instid0(VALU_DEP_1) | instskip(NEXT) | instid1(VALU_DEP_1)
	v_lshrrev_b32_e32 v20, s49, v20
	v_and_b32_e32 v20, s31, v20
	s_delay_alu instid0(VALU_DEP_1)
	v_and_b32_e32 v21, 1, v20
	v_lshlrev_b32_e32 v22, 30, v20
	v_lshlrev_b32_e32 v23, 29, v20
	;; [unrolled: 1-line block ×4, first 2 shown]
	v_add_co_u32 v21, s16, v21, -1
	s_delay_alu instid0(VALU_DEP_1)
	v_cndmask_b32_e64 v25, 0, 1, s16
	v_not_b32_e32 v122, v22
	v_cmp_gt_i32_e64 s16, 0, v22
	v_not_b32_e32 v22, v23
	v_lshlrev_b32_e32 v27, 26, v20
	v_cmp_ne_u32_e32 vcc_lo, 0, v25
	v_ashrrev_i32_e32 v122, 31, v122
	v_lshlrev_b32_e32 v121, 25, v20
	v_ashrrev_i32_e32 v22, 31, v22
	v_lshlrev_b32_e32 v25, 24, v20
	v_xor_b32_e32 v21, vcc_lo, v21
	v_cmp_gt_i32_e32 vcc_lo, 0, v23
	v_not_b32_e32 v23, v24
	v_xor_b32_e32 v122, s16, v122
	v_cmp_gt_i32_e64 s16, 0, v24
	v_and_b32_e32 v21, exec_lo, v21
	v_not_b32_e32 v24, v26
	v_ashrrev_i32_e32 v23, 31, v23
	v_xor_b32_e32 v22, vcc_lo, v22
	v_cmp_gt_i32_e32 vcc_lo, 0, v26
	v_and_b32_e32 v21, v21, v122
	v_not_b32_e32 v26, v27
	v_ashrrev_i32_e32 v24, 31, v24
	v_xor_b32_e32 v23, s16, v23
	v_cmp_gt_i32_e64 s16, 0, v27
	v_and_b32_e32 v21, v21, v22
	v_not_b32_e32 v22, v121
	v_ashrrev_i32_e32 v26, 31, v26
	v_xor_b32_e32 v24, vcc_lo, v24
	v_cmp_gt_i32_e32 vcc_lo, 0, v121
	v_and_b32_e32 v21, v21, v23
	v_not_b32_e32 v23, v25
	v_ashrrev_i32_e32 v22, 31, v22
	v_xor_b32_e32 v26, s16, v26
	v_mul_u32_u24_e32 v20, 9, v20
	v_and_b32_e32 v21, v21, v24
	v_cmp_gt_i32_e64 s16, 0, v25
	v_ashrrev_i32_e32 v23, 31, v23
	v_xor_b32_e32 v22, vcc_lo, v22
	v_add_lshl_u32 v24, v20, v82, 2
	v_and_b32_e32 v21, v21, v26
	s_delay_alu instid0(VALU_DEP_4) | instskip(SKIP_3) | instid1(VALU_DEP_2)
	v_xor_b32_e32 v20, s16, v23
	ds_load_b32 v121, v24 offset:1056
	v_and_b32_e32 v21, v21, v22
	v_add_nc_u32_e32 v123, 0x420, v24
	; wave barrier
	v_and_b32_e32 v20, v21, v20
	s_delay_alu instid0(VALU_DEP_1) | instskip(SKIP_1) | instid1(VALU_DEP_2)
	v_mbcnt_lo_u32_b32 v122, v20, 0
	v_cmp_ne_u32_e64 s16, 0, v20
	v_cmp_eq_u32_e32 vcc_lo, 0, v122
	s_delay_alu instid0(VALU_DEP_2) | instskip(NEXT) | instid1(SALU_CYCLE_1)
	s_and_b32 s17, s16, vcc_lo
	s_and_saveexec_b32 s16, s17
	s_cbranch_execz .LBB194_436
; %bb.435:                              ;   in Loop: Header=BB194_400 Depth=2
	s_waitcnt lgkmcnt(0)
	v_bcnt_u32_b32 v20, v20, v121
	ds_store_b32 v123, v20
.LBB194_436:                            ;   in Loop: Header=BB194_400 Depth=2
	s_or_b32 exec_lo, exec_lo, s16
	; wave barrier
	s_waitcnt lgkmcnt(0)
	s_barrier
	buffer_gl0_inv
	ds_load_b32 v124, v46 offset:1056
	ds_load_2addr_b32 v[26:27], v47 offset0:1 offset1:2
	ds_load_2addr_b32 v[24:25], v47 offset0:3 offset1:4
	;; [unrolled: 1-line block ×4, first 2 shown]
	s_waitcnt lgkmcnt(3)
	v_add3_u32 v125, v26, v124, v27
	s_waitcnt lgkmcnt(2)
	s_delay_alu instid0(VALU_DEP_1) | instskip(SKIP_1) | instid1(VALU_DEP_1)
	v_add3_u32 v125, v125, v24, v25
	s_waitcnt lgkmcnt(1)
	v_add3_u32 v125, v125, v20, v21
	s_waitcnt lgkmcnt(0)
	s_delay_alu instid0(VALU_DEP_1) | instskip(NEXT) | instid1(VALU_DEP_1)
	v_add3_u32 v23, v125, v22, v23
	v_mov_b32_dpp v125, v23 row_shr:1 row_mask:0xf bank_mask:0xf
	s_delay_alu instid0(VALU_DEP_1) | instskip(NEXT) | instid1(VALU_DEP_1)
	v_cndmask_b32_e64 v125, v125, 0, s0
	v_add_nc_u32_e32 v23, v125, v23
	s_delay_alu instid0(VALU_DEP_1) | instskip(NEXT) | instid1(VALU_DEP_1)
	v_mov_b32_dpp v125, v23 row_shr:2 row_mask:0xf bank_mask:0xf
	v_cndmask_b32_e64 v125, 0, v125, s1
	s_delay_alu instid0(VALU_DEP_1) | instskip(NEXT) | instid1(VALU_DEP_1)
	v_add_nc_u32_e32 v23, v23, v125
	v_mov_b32_dpp v125, v23 row_shr:4 row_mask:0xf bank_mask:0xf
	s_delay_alu instid0(VALU_DEP_1) | instskip(NEXT) | instid1(VALU_DEP_1)
	v_cndmask_b32_e64 v125, 0, v125, s8
	v_add_nc_u32_e32 v23, v23, v125
	s_delay_alu instid0(VALU_DEP_1) | instskip(NEXT) | instid1(VALU_DEP_1)
	v_mov_b32_dpp v125, v23 row_shr:8 row_mask:0xf bank_mask:0xf
	v_cndmask_b32_e64 v125, 0, v125, s9
	s_delay_alu instid0(VALU_DEP_1) | instskip(SKIP_3) | instid1(VALU_DEP_1)
	v_add_nc_u32_e32 v23, v23, v125
	ds_swizzle_b32 v125, v23 offset:swizzle(BROADCAST,32,15)
	s_waitcnt lgkmcnt(0)
	v_cndmask_b32_e64 v125, v125, 0, s10
	v_add_nc_u32_e32 v23, v23, v125
	s_and_saveexec_b32 s16, s3
	s_cbranch_execz .LBB194_438
; %bb.437:                              ;   in Loop: Header=BB194_400 Depth=2
	ds_store_b32 v38, v23 offset:1024
.LBB194_438:                            ;   in Loop: Header=BB194_400 Depth=2
	s_or_b32 exec_lo, exec_lo, s16
	s_waitcnt lgkmcnt(0)
	s_barrier
	buffer_gl0_inv
	s_and_saveexec_b32 s16, s4
	s_cbranch_execz .LBB194_440
; %bb.439:                              ;   in Loop: Header=BB194_400 Depth=2
	v_add_nc_u32_e32 v125, v46, v48
	ds_load_b32 v126, v125 offset:1024
	s_waitcnt lgkmcnt(0)
	v_mov_b32_dpp v127, v126 row_shr:1 row_mask:0xf bank_mask:0xf
	s_delay_alu instid0(VALU_DEP_1) | instskip(NEXT) | instid1(VALU_DEP_1)
	v_cndmask_b32_e64 v127, v127, 0, s12
	v_add_nc_u32_e32 v126, v127, v126
	s_delay_alu instid0(VALU_DEP_1) | instskip(NEXT) | instid1(VALU_DEP_1)
	v_mov_b32_dpp v127, v126 row_shr:2 row_mask:0xf bank_mask:0xf
	v_cndmask_b32_e64 v127, 0, v127, s13
	s_delay_alu instid0(VALU_DEP_1) | instskip(NEXT) | instid1(VALU_DEP_1)
	v_add_nc_u32_e32 v126, v126, v127
	v_mov_b32_dpp v127, v126 row_shr:4 row_mask:0xf bank_mask:0xf
	s_delay_alu instid0(VALU_DEP_1) | instskip(NEXT) | instid1(VALU_DEP_1)
	v_cndmask_b32_e64 v127, 0, v127, s14
	v_add_nc_u32_e32 v126, v126, v127
	ds_store_b32 v125, v126 offset:1024
.LBB194_440:                            ;   in Loop: Header=BB194_400 Depth=2
	s_or_b32 exec_lo, exec_lo, s16
	v_mov_b32_e32 v125, 0
	s_waitcnt lgkmcnt(0)
	s_barrier
	buffer_gl0_inv
	s_and_saveexec_b32 s16, s5
	s_cbranch_execz .LBB194_442
; %bb.441:                              ;   in Loop: Header=BB194_400 Depth=2
	ds_load_b32 v125, v38 offset:1020
.LBB194_442:                            ;   in Loop: Header=BB194_400 Depth=2
	s_or_b32 exec_lo, exec_lo, s16
	s_waitcnt lgkmcnt(0)
	v_add_nc_u32_e32 v23, v125, v23
	ds_bpermute_b32 v23, v69, v23
	s_waitcnt lgkmcnt(0)
	v_cndmask_b32_e64 v23, v23, v125, s11
	s_delay_alu instid0(VALU_DEP_1) | instskip(NEXT) | instid1(VALU_DEP_1)
	v_cndmask_b32_e64 v23, v23, 0, s6
	v_add_nc_u32_e32 v124, v23, v124
	s_delay_alu instid0(VALU_DEP_1) | instskip(NEXT) | instid1(VALU_DEP_1)
	v_add_nc_u32_e32 v26, v124, v26
	v_add_nc_u32_e32 v27, v26, v27
	s_delay_alu instid0(VALU_DEP_1) | instskip(NEXT) | instid1(VALU_DEP_1)
	v_add_nc_u32_e32 v24, v27, v24
	;; [unrolled: 3-line block ×3, first 2 shown]
	v_add_nc_u32_e32 v21, v20, v21
	s_delay_alu instid0(VALU_DEP_1)
	v_add_nc_u32_e32 v22, v21, v22
	ds_store_b32 v46, v23 offset:1056
	ds_store_2addr_b32 v47, v124, v26 offset0:1 offset1:2
	ds_store_2addr_b32 v47, v27, v24 offset0:3 offset1:4
	;; [unrolled: 1-line block ×4, first 2 shown]
	v_mov_b32_e32 v22, 0x800
	s_waitcnt lgkmcnt(0)
	s_barrier
	buffer_gl0_inv
	ds_load_b32 v20, v105
	ds_load_b32 v21, v108
	;; [unrolled: 1-line block ×8, first 2 shown]
	ds_load_b32 v27, v46 offset:1056
	s_and_saveexec_b32 s16, s7
	s_cbranch_execz .LBB194_444
; %bb.443:                              ;   in Loop: Header=BB194_400 Depth=2
	ds_load_b32 v22, v49 offset:1056
.LBB194_444:                            ;   in Loop: Header=BB194_400 Depth=2
	s_or_b32 exec_lo, exec_lo, s16
	s_waitcnt lgkmcnt(0)
	s_barrier
	buffer_gl0_inv
	s_and_saveexec_b32 s16, s2
	s_cbranch_execz .LBB194_446
; %bb.445:                              ;   in Loop: Header=BB194_400 Depth=2
	ds_load_b32 v102, v28
	s_waitcnt lgkmcnt(0)
	v_sub_nc_u32_e32 v27, v102, v27
	ds_store_b32 v28, v27
.LBB194_446:                            ;   in Loop: Header=BB194_400 Depth=2
	s_or_b32 exec_lo, exec_lo, s16
	v_add_nc_u32_e32 v105, v26, v101
	v_add3_u32 v102, v104, v103, v20
	v_add3_u32 v101, v107, v106, v21
	;; [unrolled: 1-line block ×7, first 2 shown]
	v_cmp_lt_u32_e64 s22, v1, v2
	ds_store_b8 v105, v93 offset:1024
	ds_store_b8 v102, v94 offset:1024
	;; [unrolled: 1-line block ×8, first 2 shown]
	s_waitcnt lgkmcnt(0)
	s_barrier
	buffer_gl0_inv
	s_and_saveexec_b32 s16, s22
	s_cbranch_execz .LBB194_454
; %bb.447:                              ;   in Loop: Header=BB194_400 Depth=2
	ds_load_u8 v20, v1 offset:1024
	s_waitcnt lgkmcnt(0)
	v_and_b32_e32 v21, 0xff, v20
	s_delay_alu instid0(VALU_DEP_1) | instskip(NEXT) | instid1(VALU_DEP_1)
	v_lshrrev_b32_e32 v21, s49, v21
	v_and_b32_e32 v21, s31, v21
	s_delay_alu instid0(VALU_DEP_1)
	v_lshlrev_b32_e32 v21, 2, v21
	ds_load_b32 v21, v21
	s_waitcnt lgkmcnt(0)
	v_add_nc_u32_e32 v21, v21, v1
	global_store_b8 v21, v20, s[38:39]
	s_or_b32 exec_lo, exec_lo, s16
	v_cmp_lt_u32_e64 s21, v29, v2
	s_delay_alu instid0(VALU_DEP_1)
	s_and_saveexec_b32 s16, s21
	s_cbranch_execnz .LBB194_455
.LBB194_448:                            ;   in Loop: Header=BB194_400 Depth=2
	s_or_b32 exec_lo, exec_lo, s16
	v_cmp_lt_u32_e64 s20, v30, v2
	s_delay_alu instid0(VALU_DEP_1)
	s_and_saveexec_b32 s16, s20
	s_cbranch_execz .LBB194_456
.LBB194_449:                            ;   in Loop: Header=BB194_400 Depth=2
	ds_load_u8 v20, v35 offset:512
	s_waitcnt lgkmcnt(0)
	v_and_b32_e32 v21, 0xff, v20
	s_delay_alu instid0(VALU_DEP_1) | instskip(NEXT) | instid1(VALU_DEP_1)
	v_lshrrev_b32_e32 v21, s49, v21
	v_and_b32_e32 v21, s31, v21
	s_delay_alu instid0(VALU_DEP_1)
	v_lshlrev_b32_e32 v21, 2, v21
	ds_load_b32 v21, v21
	s_waitcnt lgkmcnt(0)
	v_add_nc_u32_e32 v21, v21, v30
	global_store_b8 v21, v20, s[38:39]
	s_or_b32 exec_lo, exec_lo, s16
	v_cmp_lt_u32_e64 s19, v31, v2
	s_delay_alu instid0(VALU_DEP_1)
	s_and_saveexec_b32 s16, s19
	s_cbranch_execnz .LBB194_457
.LBB194_450:                            ;   in Loop: Header=BB194_400 Depth=2
	s_or_b32 exec_lo, exec_lo, s16
	v_cmp_lt_u32_e64 s18, v35, v2
	s_delay_alu instid0(VALU_DEP_1)
	s_and_saveexec_b32 s16, s18
	s_cbranch_execz .LBB194_458
.LBB194_451:                            ;   in Loop: Header=BB194_400 Depth=2
	ds_load_u8 v20, v35 offset:1024
	s_waitcnt lgkmcnt(0)
	v_and_b32_e32 v21, 0xff, v20
	s_delay_alu instid0(VALU_DEP_1) | instskip(NEXT) | instid1(VALU_DEP_1)
	v_lshrrev_b32_e32 v21, s49, v21
	v_and_b32_e32 v21, s31, v21
	s_delay_alu instid0(VALU_DEP_1)
	v_lshlrev_b32_e32 v21, 2, v21
	ds_load_b32 v21, v21
	s_waitcnt lgkmcnt(0)
	v_add_nc_u32_e32 v21, v21, v35
	global_store_b8 v21, v20, s[38:39]
	s_or_b32 exec_lo, exec_lo, s16
	v_cmp_lt_u32_e64 s17, v36, v2
	s_delay_alu instid0(VALU_DEP_1)
	s_and_saveexec_b32 s16, s17
	s_cbranch_execnz .LBB194_459
.LBB194_452:                            ;   in Loop: Header=BB194_400 Depth=2
	s_or_b32 exec_lo, exec_lo, s16
	v_cmp_lt_u32_e64 s16, v37, v2
	s_delay_alu instid0(VALU_DEP_1)
	s_and_saveexec_b32 s23, s16
	s_cbranch_execz .LBB194_460
.LBB194_453:                            ;   in Loop: Header=BB194_400 Depth=2
	ds_load_u8 v20, v35 offset:1536
	s_waitcnt lgkmcnt(0)
	v_and_b32_e32 v21, 0xff, v20
	s_delay_alu instid0(VALU_DEP_1) | instskip(NEXT) | instid1(VALU_DEP_1)
	v_lshrrev_b32_e32 v21, s49, v21
	v_and_b32_e32 v21, s31, v21
	s_delay_alu instid0(VALU_DEP_1)
	v_lshlrev_b32_e32 v21, 2, v21
	ds_load_b32 v21, v21
	s_waitcnt lgkmcnt(0)
	v_add_nc_u32_e32 v21, v21, v37
	global_store_b8 v21, v20, s[38:39]
	s_or_b32 exec_lo, exec_lo, s23
	v_cmp_lt_u32_e32 vcc_lo, v39, v2
	s_and_saveexec_b32 s23, vcc_lo
	s_cbranch_execnz .LBB194_461
	s_branch .LBB194_462
.LBB194_454:                            ;   in Loop: Header=BB194_400 Depth=2
	s_or_b32 exec_lo, exec_lo, s16
	v_cmp_lt_u32_e64 s21, v29, v2
	s_delay_alu instid0(VALU_DEP_1)
	s_and_saveexec_b32 s16, s21
	s_cbranch_execz .LBB194_448
.LBB194_455:                            ;   in Loop: Header=BB194_400 Depth=2
	ds_load_u8 v20, v35 offset:256
	s_waitcnt lgkmcnt(0)
	v_and_b32_e32 v21, 0xff, v20
	s_delay_alu instid0(VALU_DEP_1) | instskip(NEXT) | instid1(VALU_DEP_1)
	v_lshrrev_b32_e32 v21, s49, v21
	v_and_b32_e32 v21, s31, v21
	s_delay_alu instid0(VALU_DEP_1)
	v_lshlrev_b32_e32 v21, 2, v21
	ds_load_b32 v21, v21
	s_waitcnt lgkmcnt(0)
	v_add_nc_u32_e32 v21, v21, v29
	global_store_b8 v21, v20, s[38:39]
	s_or_b32 exec_lo, exec_lo, s16
	v_cmp_lt_u32_e64 s20, v30, v2
	s_delay_alu instid0(VALU_DEP_1)
	s_and_saveexec_b32 s16, s20
	s_cbranch_execnz .LBB194_449
.LBB194_456:                            ;   in Loop: Header=BB194_400 Depth=2
	s_or_b32 exec_lo, exec_lo, s16
	v_cmp_lt_u32_e64 s19, v31, v2
	s_delay_alu instid0(VALU_DEP_1)
	s_and_saveexec_b32 s16, s19
	s_cbranch_execz .LBB194_450
.LBB194_457:                            ;   in Loop: Header=BB194_400 Depth=2
	ds_load_u8 v20, v35 offset:768
	s_waitcnt lgkmcnt(0)
	v_and_b32_e32 v21, 0xff, v20
	s_delay_alu instid0(VALU_DEP_1) | instskip(NEXT) | instid1(VALU_DEP_1)
	v_lshrrev_b32_e32 v21, s49, v21
	v_and_b32_e32 v21, s31, v21
	s_delay_alu instid0(VALU_DEP_1)
	v_lshlrev_b32_e32 v21, 2, v21
	ds_load_b32 v21, v21
	s_waitcnt lgkmcnt(0)
	v_add_nc_u32_e32 v21, v21, v31
	global_store_b8 v21, v20, s[38:39]
	s_or_b32 exec_lo, exec_lo, s16
	v_cmp_lt_u32_e64 s18, v35, v2
	s_delay_alu instid0(VALU_DEP_1)
	s_and_saveexec_b32 s16, s18
	s_cbranch_execnz .LBB194_451
.LBB194_458:                            ;   in Loop: Header=BB194_400 Depth=2
	s_or_b32 exec_lo, exec_lo, s16
	v_cmp_lt_u32_e64 s17, v36, v2
	s_delay_alu instid0(VALU_DEP_1)
	s_and_saveexec_b32 s16, s17
	s_cbranch_execz .LBB194_452
.LBB194_459:                            ;   in Loop: Header=BB194_400 Depth=2
	ds_load_u8 v20, v35 offset:1280
	s_waitcnt lgkmcnt(0)
	v_and_b32_e32 v21, 0xff, v20
	s_delay_alu instid0(VALU_DEP_1) | instskip(NEXT) | instid1(VALU_DEP_1)
	v_lshrrev_b32_e32 v21, s49, v21
	v_and_b32_e32 v21, s31, v21
	s_delay_alu instid0(VALU_DEP_1)
	v_lshlrev_b32_e32 v21, 2, v21
	ds_load_b32 v21, v21
	s_waitcnt lgkmcnt(0)
	v_add_nc_u32_e32 v21, v21, v36
	global_store_b8 v21, v20, s[38:39]
	s_or_b32 exec_lo, exec_lo, s16
	v_cmp_lt_u32_e64 s16, v37, v2
	s_delay_alu instid0(VALU_DEP_1)
	s_and_saveexec_b32 s23, s16
	s_cbranch_execnz .LBB194_453
.LBB194_460:                            ;   in Loop: Header=BB194_400 Depth=2
	s_or_b32 exec_lo, exec_lo, s23
	v_cmp_lt_u32_e32 vcc_lo, v39, v2
	s_and_saveexec_b32 s23, vcc_lo
	s_cbranch_execz .LBB194_462
.LBB194_461:                            ;   in Loop: Header=BB194_400 Depth=2
	ds_load_u8 v20, v35 offset:1792
	s_waitcnt lgkmcnt(0)
	v_and_b32_e32 v21, 0xff, v20
	s_delay_alu instid0(VALU_DEP_1) | instskip(NEXT) | instid1(VALU_DEP_1)
	v_lshrrev_b32_e32 v21, s49, v21
	v_and_b32_e32 v21, s31, v21
	s_delay_alu instid0(VALU_DEP_1)
	v_lshlrev_b32_e32 v21, 2, v21
	ds_load_b32 v21, v21
	s_waitcnt lgkmcnt(0)
	v_add_nc_u32_e32 v21, v21, v39
	global_store_b8 v21, v20, s[38:39]
.LBB194_462:                            ;   in Loop: Header=BB194_400 Depth=2
	s_or_b32 exec_lo, exec_lo, s23
	s_lshl_b64 s[52:53], s[24:25], 3
	s_delay_alu instid0(SALU_CYCLE_1) | instskip(NEXT) | instid1(VALU_DEP_1)
	v_add_co_u32 v20, s23, v73, s52
	v_add_co_ci_u32_e64 v21, s23, s53, v74, s23
	v_cmp_lt_u32_e64 s23, v70, v2
	s_delay_alu instid0(VALU_DEP_1) | instskip(NEXT) | instid1(SALU_CYCLE_1)
	s_and_saveexec_b32 s24, s23
	s_xor_b32 s23, exec_lo, s24
	s_cbranch_execz .LBB194_478
; %bb.463:                              ;   in Loop: Header=BB194_400 Depth=2
	global_load_b64 v[18:19], v[20:21], off
	s_or_b32 exec_lo, exec_lo, s23
	s_delay_alu instid0(SALU_CYCLE_1)
	s_mov_b32 s24, exec_lo
	v_cmpx_lt_u32_e64 v75, v2
	s_cbranch_execnz .LBB194_479
.LBB194_464:                            ;   in Loop: Header=BB194_400 Depth=2
	s_or_b32 exec_lo, exec_lo, s24
	s_delay_alu instid0(SALU_CYCLE_1)
	s_mov_b32 s24, exec_lo
	v_cmpx_lt_u32_e64 v76, v2
	s_cbranch_execz .LBB194_480
.LBB194_465:                            ;   in Loop: Header=BB194_400 Depth=2
	global_load_b64 v[14:15], v[20:21], off offset:512
	s_or_b32 exec_lo, exec_lo, s24
	s_delay_alu instid0(SALU_CYCLE_1)
	s_mov_b32 s24, exec_lo
	v_cmpx_lt_u32_e64 v77, v2
	s_cbranch_execnz .LBB194_481
.LBB194_466:                            ;   in Loop: Header=BB194_400 Depth=2
	s_or_b32 exec_lo, exec_lo, s24
	s_delay_alu instid0(SALU_CYCLE_1)
	s_mov_b32 s24, exec_lo
	v_cmpx_lt_u32_e64 v78, v2
	s_cbranch_execz .LBB194_482
.LBB194_467:                            ;   in Loop: Header=BB194_400 Depth=2
	global_load_b64 v[10:11], v[20:21], off offset:1024
	s_or_b32 exec_lo, exec_lo, s24
	s_delay_alu instid0(SALU_CYCLE_1)
	s_mov_b32 s24, exec_lo
	v_cmpx_lt_u32_e64 v79, v2
	s_cbranch_execnz .LBB194_483
.LBB194_468:                            ;   in Loop: Header=BB194_400 Depth=2
	s_or_b32 exec_lo, exec_lo, s24
	s_delay_alu instid0(SALU_CYCLE_1)
	s_mov_b32 s24, exec_lo
	v_cmpx_lt_u32_e64 v80, v2
	s_cbranch_execz .LBB194_484
.LBB194_469:                            ;   in Loop: Header=BB194_400 Depth=2
	global_load_b64 v[6:7], v[20:21], off offset:1536
	s_or_b32 exec_lo, exec_lo, s24
	s_delay_alu instid0(SALU_CYCLE_1)
	s_mov_b32 s24, exec_lo
	v_cmpx_lt_u32_e64 v81, v2
	s_cbranch_execnz .LBB194_485
.LBB194_470:                            ;   in Loop: Header=BB194_400 Depth=2
	s_or_b32 exec_lo, exec_lo, s24
	s_and_saveexec_b32 s23, s22
	s_cbranch_execz .LBB194_486
.LBB194_471:                            ;   in Loop: Header=BB194_400 Depth=2
	ds_load_u8 v2, v1 offset:1024
	s_waitcnt lgkmcnt(0)
	v_lshrrev_b32_e32 v2, s49, v2
	s_delay_alu instid0(VALU_DEP_1)
	v_and_b32_e32 v92, s31, v2
	s_or_b32 exec_lo, exec_lo, s23
	s_and_saveexec_b32 s23, s21
	s_cbranch_execnz .LBB194_487
.LBB194_472:                            ;   in Loop: Header=BB194_400 Depth=2
	s_or_b32 exec_lo, exec_lo, s23
	s_and_saveexec_b32 s23, s20
	s_cbranch_execz .LBB194_488
.LBB194_473:                            ;   in Loop: Header=BB194_400 Depth=2
	ds_load_u8 v2, v35 offset:512
	s_waitcnt lgkmcnt(0)
	v_lshrrev_b32_e32 v2, s49, v2
	s_delay_alu instid0(VALU_DEP_1)
	v_and_b32_e32 v90, s31, v2
	s_or_b32 exec_lo, exec_lo, s23
	s_and_saveexec_b32 s23, s19
	s_cbranch_execnz .LBB194_489
.LBB194_474:                            ;   in Loop: Header=BB194_400 Depth=2
	s_or_b32 exec_lo, exec_lo, s23
	s_and_saveexec_b32 s23, s18
	s_cbranch_execz .LBB194_490
.LBB194_475:                            ;   in Loop: Header=BB194_400 Depth=2
	ds_load_u8 v2, v35 offset:1024
	s_waitcnt lgkmcnt(0)
	v_lshrrev_b32_e32 v2, s49, v2
	s_delay_alu instid0(VALU_DEP_1)
	v_and_b32_e32 v88, s31, v2
	s_or_b32 exec_lo, exec_lo, s23
	s_and_saveexec_b32 s23, s17
	s_cbranch_execnz .LBB194_491
.LBB194_476:                            ;   in Loop: Header=BB194_400 Depth=2
	s_or_b32 exec_lo, exec_lo, s23
	s_and_saveexec_b32 s23, s16
	s_cbranch_execz .LBB194_492
.LBB194_477:                            ;   in Loop: Header=BB194_400 Depth=2
	ds_load_u8 v2, v35 offset:1536
	s_waitcnt lgkmcnt(0)
	v_lshrrev_b32_e32 v2, s49, v2
	s_delay_alu instid0(VALU_DEP_1)
	v_and_b32_e32 v86, s31, v2
	s_or_b32 exec_lo, exec_lo, s23
	s_and_saveexec_b32 s23, vcc_lo
	s_cbranch_execnz .LBB194_493
	s_branch .LBB194_494
.LBB194_478:                            ;   in Loop: Header=BB194_400 Depth=2
	s_or_b32 exec_lo, exec_lo, s23
	s_delay_alu instid0(SALU_CYCLE_1)
	s_mov_b32 s24, exec_lo
	v_cmpx_lt_u32_e64 v75, v2
	s_cbranch_execz .LBB194_464
.LBB194_479:                            ;   in Loop: Header=BB194_400 Depth=2
	global_load_b64 v[16:17], v[20:21], off offset:256
	s_or_b32 exec_lo, exec_lo, s24
	s_delay_alu instid0(SALU_CYCLE_1)
	s_mov_b32 s24, exec_lo
	v_cmpx_lt_u32_e64 v76, v2
	s_cbranch_execnz .LBB194_465
.LBB194_480:                            ;   in Loop: Header=BB194_400 Depth=2
	s_or_b32 exec_lo, exec_lo, s24
	s_delay_alu instid0(SALU_CYCLE_1)
	s_mov_b32 s24, exec_lo
	v_cmpx_lt_u32_e64 v77, v2
	s_cbranch_execz .LBB194_466
.LBB194_481:                            ;   in Loop: Header=BB194_400 Depth=2
	global_load_b64 v[12:13], v[20:21], off offset:768
	s_or_b32 exec_lo, exec_lo, s24
	s_delay_alu instid0(SALU_CYCLE_1)
	s_mov_b32 s24, exec_lo
	v_cmpx_lt_u32_e64 v78, v2
	s_cbranch_execnz .LBB194_467
.LBB194_482:                            ;   in Loop: Header=BB194_400 Depth=2
	s_or_b32 exec_lo, exec_lo, s24
	s_delay_alu instid0(SALU_CYCLE_1)
	s_mov_b32 s24, exec_lo
	v_cmpx_lt_u32_e64 v79, v2
	s_cbranch_execz .LBB194_468
.LBB194_483:                            ;   in Loop: Header=BB194_400 Depth=2
	global_load_b64 v[8:9], v[20:21], off offset:1280
	s_or_b32 exec_lo, exec_lo, s24
	s_delay_alu instid0(SALU_CYCLE_1)
	s_mov_b32 s24, exec_lo
	v_cmpx_lt_u32_e64 v80, v2
	s_cbranch_execnz .LBB194_469
.LBB194_484:                            ;   in Loop: Header=BB194_400 Depth=2
	s_or_b32 exec_lo, exec_lo, s24
	s_delay_alu instid0(SALU_CYCLE_1)
	s_mov_b32 s24, exec_lo
	v_cmpx_lt_u32_e64 v81, v2
	s_cbranch_execz .LBB194_470
.LBB194_485:                            ;   in Loop: Header=BB194_400 Depth=2
	global_load_b64 v[4:5], v[20:21], off offset:1792
	s_or_b32 exec_lo, exec_lo, s24
	s_and_saveexec_b32 s23, s22
	s_cbranch_execnz .LBB194_471
.LBB194_486:                            ;   in Loop: Header=BB194_400 Depth=2
	s_or_b32 exec_lo, exec_lo, s23
	s_and_saveexec_b32 s23, s21
	s_cbranch_execz .LBB194_472
.LBB194_487:                            ;   in Loop: Header=BB194_400 Depth=2
	ds_load_u8 v2, v35 offset:256
	s_waitcnt lgkmcnt(0)
	v_lshrrev_b32_e32 v2, s49, v2
	s_delay_alu instid0(VALU_DEP_1)
	v_and_b32_e32 v91, s31, v2
	s_or_b32 exec_lo, exec_lo, s23
	s_and_saveexec_b32 s23, s20
	s_cbranch_execnz .LBB194_473
.LBB194_488:                            ;   in Loop: Header=BB194_400 Depth=2
	s_or_b32 exec_lo, exec_lo, s23
	s_and_saveexec_b32 s23, s19
	s_cbranch_execz .LBB194_474
.LBB194_489:                            ;   in Loop: Header=BB194_400 Depth=2
	ds_load_u8 v2, v35 offset:768
	s_waitcnt lgkmcnt(0)
	v_lshrrev_b32_e32 v2, s49, v2
	s_delay_alu instid0(VALU_DEP_1)
	v_and_b32_e32 v89, s31, v2
	s_or_b32 exec_lo, exec_lo, s23
	s_and_saveexec_b32 s23, s18
	s_cbranch_execnz .LBB194_475
.LBB194_490:                            ;   in Loop: Header=BB194_400 Depth=2
	s_or_b32 exec_lo, exec_lo, s23
	s_and_saveexec_b32 s23, s17
	s_cbranch_execz .LBB194_476
.LBB194_491:                            ;   in Loop: Header=BB194_400 Depth=2
	ds_load_u8 v2, v35 offset:1280
	s_waitcnt lgkmcnt(0)
	v_lshrrev_b32_e32 v2, s49, v2
	s_delay_alu instid0(VALU_DEP_1)
	v_and_b32_e32 v87, s31, v2
	s_or_b32 exec_lo, exec_lo, s23
	s_and_saveexec_b32 s23, s16
	s_cbranch_execnz .LBB194_477
.LBB194_492:                            ;   in Loop: Header=BB194_400 Depth=2
	s_or_b32 exec_lo, exec_lo, s23
	s_and_saveexec_b32 s23, vcc_lo
	s_cbranch_execz .LBB194_494
.LBB194_493:                            ;   in Loop: Header=BB194_400 Depth=2
	ds_load_u8 v2, v35 offset:1792
	s_waitcnt lgkmcnt(0)
	v_lshrrev_b32_e32 v2, s49, v2
	s_delay_alu instid0(VALU_DEP_1)
	v_and_b32_e32 v85, s31, v2
.LBB194_494:                            ;   in Loop: Header=BB194_400 Depth=2
	s_or_b32 exec_lo, exec_lo, s23
	v_lshlrev_b32_e32 v2, 3, v105
	v_lshlrev_b32_e32 v20, 3, v102
	;; [unrolled: 1-line block ×3, first 2 shown]
	s_waitcnt vmcnt(0)
	s_waitcnt_vscnt null, 0x0
	s_barrier
	buffer_gl0_inv
	ds_store_b64 v2, v[18:19] offset:1024
	ds_store_b64 v20, v[16:17] offset:1024
	;; [unrolled: 1-line block ×3, first 2 shown]
	v_lshlrev_b32_e32 v2, 3, v27
	v_lshlrev_b32_e32 v20, 3, v26
	;; [unrolled: 1-line block ×5, first 2 shown]
	ds_store_b64 v2, v[12:13] offset:1024
	ds_store_b64 v20, v[10:11] offset:1024
	;; [unrolled: 1-line block ×5, first 2 shown]
	s_waitcnt lgkmcnt(0)
	s_barrier
	buffer_gl0_inv
	s_and_saveexec_b32 s23, s22
	s_cbranch_execz .LBB194_502
; %bb.495:                              ;   in Loop: Header=BB194_400 Depth=2
	v_lshlrev_b32_e32 v2, 2, v92
	v_add_nc_u32_e32 v20, v1, v52
	ds_load_b32 v2, v2
	ds_load_b64 v[20:21], v20 offset:1024
	s_waitcnt lgkmcnt(1)
	v_add_nc_u32_e32 v2, v2, v1
	s_delay_alu instid0(VALU_DEP_1) | instskip(NEXT) | instid1(VALU_DEP_1)
	v_lshlrev_b64 v[23:24], 3, v[2:3]
	v_add_co_u32 v23, s22, s44, v23
	s_delay_alu instid0(VALU_DEP_1)
	v_add_co_ci_u32_e64 v24, s22, s45, v24, s22
	s_waitcnt lgkmcnt(0)
	global_store_b64 v[23:24], v[20:21], off
	s_or_b32 exec_lo, exec_lo, s23
	s_and_saveexec_b32 s22, s21
	s_cbranch_execnz .LBB194_503
.LBB194_496:                            ;   in Loop: Header=BB194_400 Depth=2
	s_or_b32 exec_lo, exec_lo, s22
	s_and_saveexec_b32 s21, s20
	s_cbranch_execz .LBB194_504
.LBB194_497:                            ;   in Loop: Header=BB194_400 Depth=2
	v_lshlrev_b32_e32 v2, 2, v90
	v_add_nc_u32_e32 v20, v35, v52
	ds_load_b32 v2, v2
	ds_load_b64 v[20:21], v20 offset:4096
	s_waitcnt lgkmcnt(1)
	v_add_nc_u32_e32 v2, v2, v30
	s_delay_alu instid0(VALU_DEP_1) | instskip(NEXT) | instid1(VALU_DEP_1)
	v_lshlrev_b64 v[23:24], 3, v[2:3]
	v_add_co_u32 v23, s20, s44, v23
	s_delay_alu instid0(VALU_DEP_1)
	v_add_co_ci_u32_e64 v24, s20, s45, v24, s20
	s_waitcnt lgkmcnt(0)
	global_store_b64 v[23:24], v[20:21], off
	s_or_b32 exec_lo, exec_lo, s21
	s_and_saveexec_b32 s20, s19
	s_cbranch_execnz .LBB194_505
.LBB194_498:                            ;   in Loop: Header=BB194_400 Depth=2
	s_or_b32 exec_lo, exec_lo, s20
	s_and_saveexec_b32 s19, s18
	s_cbranch_execz .LBB194_506
.LBB194_499:                            ;   in Loop: Header=BB194_400 Depth=2
	v_lshlrev_b32_e32 v2, 2, v88
	v_add_nc_u32_e32 v20, v35, v52
	ds_load_b32 v2, v2
	ds_load_b64 v[20:21], v20 offset:8192
	s_waitcnt lgkmcnt(1)
	v_add_nc_u32_e32 v2, v2, v35
	s_delay_alu instid0(VALU_DEP_1) | instskip(NEXT) | instid1(VALU_DEP_1)
	v_lshlrev_b64 v[23:24], 3, v[2:3]
	v_add_co_u32 v23, s18, s44, v23
	s_delay_alu instid0(VALU_DEP_1)
	v_add_co_ci_u32_e64 v24, s18, s45, v24, s18
	s_waitcnt lgkmcnt(0)
	global_store_b64 v[23:24], v[20:21], off
	s_or_b32 exec_lo, exec_lo, s19
	s_and_saveexec_b32 s18, s17
	s_cbranch_execnz .LBB194_507
.LBB194_500:                            ;   in Loop: Header=BB194_400 Depth=2
	s_or_b32 exec_lo, exec_lo, s18
	s_and_saveexec_b32 s17, s16
	s_cbranch_execz .LBB194_508
.LBB194_501:                            ;   in Loop: Header=BB194_400 Depth=2
	v_lshlrev_b32_e32 v2, 2, v86
	v_add_nc_u32_e32 v20, v35, v52
	ds_load_b32 v2, v2
	ds_load_b64 v[20:21], v20 offset:12288
	s_waitcnt lgkmcnt(1)
	v_add_nc_u32_e32 v2, v2, v37
	s_delay_alu instid0(VALU_DEP_1) | instskip(NEXT) | instid1(VALU_DEP_1)
	v_lshlrev_b64 v[23:24], 3, v[2:3]
	v_add_co_u32 v23, s16, s44, v23
	s_delay_alu instid0(VALU_DEP_1)
	v_add_co_ci_u32_e64 v24, s16, s45, v24, s16
	s_waitcnt lgkmcnt(0)
	global_store_b64 v[23:24], v[20:21], off
	s_or_b32 exec_lo, exec_lo, s17
	s_and_saveexec_b32 s16, vcc_lo
	s_cbranch_execnz .LBB194_509
	s_branch .LBB194_510
.LBB194_502:                            ;   in Loop: Header=BB194_400 Depth=2
	s_or_b32 exec_lo, exec_lo, s23
	s_and_saveexec_b32 s22, s21
	s_cbranch_execz .LBB194_496
.LBB194_503:                            ;   in Loop: Header=BB194_400 Depth=2
	v_lshlrev_b32_e32 v2, 2, v91
	v_add_nc_u32_e32 v20, v35, v52
	ds_load_b32 v2, v2
	ds_load_b64 v[20:21], v20 offset:2048
	s_waitcnt lgkmcnt(1)
	v_add_nc_u32_e32 v2, v2, v29
	s_delay_alu instid0(VALU_DEP_1) | instskip(NEXT) | instid1(VALU_DEP_1)
	v_lshlrev_b64 v[23:24], 3, v[2:3]
	v_add_co_u32 v23, s21, s44, v23
	s_delay_alu instid0(VALU_DEP_1)
	v_add_co_ci_u32_e64 v24, s21, s45, v24, s21
	s_waitcnt lgkmcnt(0)
	global_store_b64 v[23:24], v[20:21], off
	s_or_b32 exec_lo, exec_lo, s22
	s_and_saveexec_b32 s21, s20
	s_cbranch_execnz .LBB194_497
.LBB194_504:                            ;   in Loop: Header=BB194_400 Depth=2
	s_or_b32 exec_lo, exec_lo, s21
	s_and_saveexec_b32 s20, s19
	s_cbranch_execz .LBB194_498
.LBB194_505:                            ;   in Loop: Header=BB194_400 Depth=2
	v_lshlrev_b32_e32 v2, 2, v89
	v_add_nc_u32_e32 v20, v35, v52
	ds_load_b32 v2, v2
	ds_load_b64 v[20:21], v20 offset:6144
	s_waitcnt lgkmcnt(1)
	v_add_nc_u32_e32 v2, v2, v31
	s_delay_alu instid0(VALU_DEP_1) | instskip(NEXT) | instid1(VALU_DEP_1)
	v_lshlrev_b64 v[23:24], 3, v[2:3]
	v_add_co_u32 v23, s19, s44, v23
	s_delay_alu instid0(VALU_DEP_1)
	v_add_co_ci_u32_e64 v24, s19, s45, v24, s19
	s_waitcnt lgkmcnt(0)
	global_store_b64 v[23:24], v[20:21], off
	s_or_b32 exec_lo, exec_lo, s20
	s_and_saveexec_b32 s19, s18
	s_cbranch_execnz .LBB194_499
.LBB194_506:                            ;   in Loop: Header=BB194_400 Depth=2
	s_or_b32 exec_lo, exec_lo, s19
	s_and_saveexec_b32 s18, s17
	s_cbranch_execz .LBB194_500
.LBB194_507:                            ;   in Loop: Header=BB194_400 Depth=2
	v_lshlrev_b32_e32 v2, 2, v87
	v_add_nc_u32_e32 v20, v35, v52
	ds_load_b32 v2, v2
	ds_load_b64 v[20:21], v20 offset:10240
	s_waitcnt lgkmcnt(1)
	v_add_nc_u32_e32 v2, v2, v36
	s_delay_alu instid0(VALU_DEP_1) | instskip(NEXT) | instid1(VALU_DEP_1)
	v_lshlrev_b64 v[23:24], 3, v[2:3]
	v_add_co_u32 v23, s17, s44, v23
	s_delay_alu instid0(VALU_DEP_1)
	v_add_co_ci_u32_e64 v24, s17, s45, v24, s17
	s_waitcnt lgkmcnt(0)
	global_store_b64 v[23:24], v[20:21], off
	s_or_b32 exec_lo, exec_lo, s18
	s_and_saveexec_b32 s17, s16
	s_cbranch_execnz .LBB194_501
.LBB194_508:                            ;   in Loop: Header=BB194_400 Depth=2
	s_or_b32 exec_lo, exec_lo, s17
	s_and_saveexec_b32 s16, vcc_lo
	s_cbranch_execz .LBB194_510
.LBB194_509:                            ;   in Loop: Header=BB194_400 Depth=2
	v_lshlrev_b32_e32 v2, 2, v85
	v_add_nc_u32_e32 v20, v35, v52
	ds_load_b32 v2, v2
	ds_load_b64 v[20:21], v20 offset:14336
	s_waitcnt lgkmcnt(1)
	v_add_nc_u32_e32 v2, v2, v39
	s_delay_alu instid0(VALU_DEP_1) | instskip(NEXT) | instid1(VALU_DEP_1)
	v_lshlrev_b64 v[23:24], 3, v[2:3]
	v_add_co_u32 v23, vcc_lo, s44, v23
	s_delay_alu instid0(VALU_DEP_2)
	v_add_co_ci_u32_e32 v24, vcc_lo, s45, v24, vcc_lo
	s_waitcnt lgkmcnt(0)
	global_store_b64 v[23:24], v[20:21], off
.LBB194_510:                            ;   in Loop: Header=BB194_400 Depth=2
	s_or_b32 exec_lo, exec_lo, s16
	s_waitcnt_vscnt null, 0x0
	s_barrier
	buffer_gl0_inv
	s_and_saveexec_b32 s16, s2
	s_cbranch_execz .LBB194_399
; %bb.511:                              ;   in Loop: Header=BB194_400 Depth=2
	ds_load_b32 v2, v28
	s_waitcnt lgkmcnt(0)
	v_add_nc_u32_e32 v2, v2, v22
	ds_store_b32 v28, v2
	s_branch .LBB194_399
.LBB194_512:                            ;   in Loop: Header=BB194_12 Depth=1
	s_waitcnt lgkmcnt(0)
	s_mov_b32 s0, 0
	s_barrier
.LBB194_513:                            ;   in Loop: Header=BB194_12 Depth=1
	s_and_b32 vcc_lo, exec_lo, s0
	s_cbranch_vccz .LBB194_11
; %bb.514:                              ;   in Loop: Header=BB194_12 Depth=1
	s_mov_b32 s0, s35
	s_mov_b32 s9, s27
	s_barrier
	buffer_gl0_inv
                                        ; implicit-def: $vgpr2
                                        ; implicit-def: $vgpr6
                                        ; implicit-def: $vgpr7
                                        ; implicit-def: $vgpr8
                                        ; implicit-def: $vgpr9
                                        ; implicit-def: $vgpr10
                                        ; implicit-def: $vgpr11
                                        ; implicit-def: $vgpr12
	s_branch .LBB194_516
.LBB194_515:                            ;   in Loop: Header=BB194_516 Depth=2
	s_or_b32 exec_lo, exec_lo, s8
	s_addk_i32 s0, 0xf800
	s_cmp_ge_u32 s1, s33
	s_mov_b32 s9, s1
	s_cbranch_scc1 .LBB194_554
.LBB194_516:                            ;   Parent Loop BB194_12 Depth=1
                                        ; =>  This Inner Loop Header: Depth=2
	s_add_i32 s1, s9, 0x800
	s_delay_alu instid0(SALU_CYCLE_1)
	s_cmp_gt_u32 s1, s33
	s_cbranch_scc1 .LBB194_519
; %bb.517:                              ;   in Loop: Header=BB194_516 Depth=2
	v_add_co_u32 v4, vcc_lo, v59, s9
	v_add_co_ci_u32_e32 v5, vcc_lo, 0, v60, vcc_lo
	s_mov_b32 s8, -1
	s_movk_i32 s12, 0x800
	s_clause 0x6
	global_load_u8 v20, v[4:5], off offset:1536
	global_load_u8 v19, v[4:5], off offset:1280
	global_load_u8 v18, v[4:5], off offset:1024
	global_load_u8 v17, v[4:5], off offset:768
	global_load_u8 v16, v[4:5], off offset:512
	global_load_u8 v15, v[4:5], off offset:256
	global_load_u8 v14, v[4:5], off
	v_add_co_u32 v4, vcc_lo, 0x700, v4
	v_add_co_ci_u32_e32 v5, vcc_lo, 0, v5, vcc_lo
	s_cbranch_execz .LBB194_520
; %bb.518:                              ;   in Loop: Header=BB194_516 Depth=2
                                        ; implicit-def: $vgpr2
                                        ; implicit-def: $vgpr6
                                        ; implicit-def: $vgpr7
                                        ; implicit-def: $vgpr8
                                        ; implicit-def: $vgpr9
                                        ; implicit-def: $vgpr10
                                        ; implicit-def: $vgpr11
                                        ; implicit-def: $vgpr12
	v_mov_b32_e32 v13, s0
	s_and_saveexec_b32 s9, s8
	s_cbranch_execnz .LBB194_531
	s_branch .LBB194_532
.LBB194_519:                            ;   in Loop: Header=BB194_516 Depth=2
	s_mov_b32 s8, 0
                                        ; implicit-def: $sgpr12
                                        ; implicit-def: $vgpr14
                                        ; implicit-def: $vgpr15
                                        ; implicit-def: $vgpr16
                                        ; implicit-def: $vgpr17
                                        ; implicit-def: $vgpr18
                                        ; implicit-def: $vgpr19
                                        ; implicit-def: $vgpr20
                                        ; implicit-def: $vgpr4_vgpr5
.LBB194_520:                            ;   in Loop: Header=BB194_516 Depth=2
	s_add_u32 s10, s36, s9
	s_addc_u32 s11, s37, 0
	s_mov_b32 s12, exec_lo
	v_cmpx_gt_u32_e64 s0, v1
	s_cbranch_execz .LBB194_548
; %bb.521:                              ;   in Loop: Header=BB194_516 Depth=2
	v_add_co_u32 v4, s13, s10, v1
	s_delay_alu instid0(VALU_DEP_1) | instskip(SKIP_2) | instid1(SALU_CYCLE_1)
	v_add_co_ci_u32_e64 v5, null, s11, 0, s13
	global_load_u8 v2, v[4:5], off
	s_or_b32 exec_lo, exec_lo, s12
	s_mov_b32 s12, exec_lo
	v_cmpx_gt_u32_e64 s0, v29
	s_cbranch_execnz .LBB194_549
.LBB194_522:                            ;   in Loop: Header=BB194_516 Depth=2
	s_or_b32 exec_lo, exec_lo, s12
	s_delay_alu instid0(SALU_CYCLE_1)
	s_mov_b32 s12, exec_lo
	v_cmpx_gt_u32_e64 s0, v30
	s_cbranch_execz .LBB194_550
.LBB194_523:                            ;   in Loop: Header=BB194_516 Depth=2
	v_add_co_u32 v4, s13, s10, v1
	s_delay_alu instid0(VALU_DEP_1) | instskip(SKIP_2) | instid1(SALU_CYCLE_1)
	v_add_co_ci_u32_e64 v5, null, s11, 0, s13
	global_load_u8 v7, v[4:5], off offset:512
	s_or_b32 exec_lo, exec_lo, s12
	s_mov_b32 s12, exec_lo
	v_cmpx_gt_u32_e64 s0, v31
	s_cbranch_execnz .LBB194_551
.LBB194_524:                            ;   in Loop: Header=BB194_516 Depth=2
	s_or_b32 exec_lo, exec_lo, s12
	s_delay_alu instid0(SALU_CYCLE_1)
	s_mov_b32 s12, exec_lo
	v_cmpx_gt_u32_e64 s0, v35
	s_cbranch_execz .LBB194_552
.LBB194_525:                            ;   in Loop: Header=BB194_516 Depth=2
	v_add_co_u32 v4, s13, s10, v1
	s_delay_alu instid0(VALU_DEP_1) | instskip(SKIP_2) | instid1(SALU_CYCLE_1)
	v_add_co_ci_u32_e64 v5, null, s11, 0, s13
	global_load_u8 v9, v[4:5], off offset:1024
	s_or_b32 exec_lo, exec_lo, s12
	s_mov_b32 s12, exec_lo
	v_cmpx_gt_u32_e64 s0, v36
	s_cbranch_execnz .LBB194_553
.LBB194_526:                            ;   in Loop: Header=BB194_516 Depth=2
	s_or_b32 exec_lo, exec_lo, s12
	s_delay_alu instid0(SALU_CYCLE_1)
	s_mov_b32 s12, exec_lo
	v_cmpx_gt_u32_e64 s0, v37
	s_cbranch_execz .LBB194_528
.LBB194_527:                            ;   in Loop: Header=BB194_516 Depth=2
	v_add_co_u32 v4, s13, s10, v1
	s_delay_alu instid0(VALU_DEP_1)
	v_add_co_ci_u32_e64 v5, null, s11, 0, s13
	global_load_u8 v11, v[4:5], off offset:1536
.LBB194_528:                            ;   in Loop: Header=BB194_516 Depth=2
	s_or_b32 exec_lo, exec_lo, s12
	s_delay_alu instid0(SALU_CYCLE_1)
	s_mov_b32 s13, exec_lo
                                        ; implicit-def: $sgpr12
                                        ; implicit-def: $vgpr4_vgpr5
	v_cmpx_gt_u32_e64 s0, v39
; %bb.529:                              ;   in Loop: Header=BB194_516 Depth=2
	v_add_co_u32 v4, s10, s10, v1
	s_delay_alu instid0(VALU_DEP_1) | instskip(SKIP_1) | instid1(VALU_DEP_2)
	v_add_co_ci_u32_e64 v5, null, s11, 0, s10
	s_sub_i32 s12, s33, s9
	v_add_co_u32 v4, vcc_lo, 0x700, v4
	s_delay_alu instid0(VALU_DEP_2)
	v_add_co_ci_u32_e32 v5, vcc_lo, 0, v5, vcc_lo
	s_or_b32 s8, s8, exec_lo
                                        ; implicit-def: $vgpr12
; %bb.530:                              ;   in Loop: Header=BB194_516 Depth=2
	s_or_b32 exec_lo, exec_lo, s13
	s_waitcnt vmcnt(0)
	v_dual_mov_b32 v14, v2 :: v_dual_mov_b32 v17, v8
	v_dual_mov_b32 v15, v6 :: v_dual_mov_b32 v16, v7
	;; [unrolled: 1-line block ×4, first 2 shown]
	s_and_saveexec_b32 s9, s8
	s_cbranch_execz .LBB194_532
.LBB194_531:                            ;   in Loop: Header=BB194_516 Depth=2
	global_load_u8 v12, v[4:5], off
	s_waitcnt vmcnt(1)
	v_dual_mov_b32 v13, s12 :: v_dual_mov_b32 v2, v14
	v_dual_mov_b32 v6, v15 :: v_dual_mov_b32 v7, v16
	;; [unrolled: 1-line block ×4, first 2 shown]
.LBB194_532:                            ;   in Loop: Header=BB194_516 Depth=2
	s_or_b32 exec_lo, exec_lo, s9
	v_lshlrev_b32_e32 v4, 2, v32
	s_mov_b32 s8, exec_lo
	v_cmpx_lt_u32_e64 v1, v13
	s_cbranch_execz .LBB194_540
; %bb.533:                              ;   in Loop: Header=BB194_516 Depth=2
	v_and_b32_e32 v5, 0xff, v2
	s_delay_alu instid0(VALU_DEP_1) | instskip(NEXT) | instid1(VALU_DEP_1)
	v_lshrrev_b32_e32 v5, s49, v5
	v_and_b32_e32 v5, s31, v5
	s_delay_alu instid0(VALU_DEP_1) | instskip(SKIP_2) | instid1(SALU_CYCLE_1)
	v_lshl_or_b32 v5, v5, 4, v4
	ds_add_u32 v5, v66
	s_or_b32 exec_lo, exec_lo, s8
	s_mov_b32 s8, exec_lo
	v_cmpx_lt_u32_e64 v29, v13
	s_cbranch_execnz .LBB194_541
.LBB194_534:                            ;   in Loop: Header=BB194_516 Depth=2
	s_or_b32 exec_lo, exec_lo, s8
	s_delay_alu instid0(SALU_CYCLE_1)
	s_mov_b32 s8, exec_lo
	v_cmpx_lt_u32_e64 v30, v13
	s_cbranch_execz .LBB194_542
.LBB194_535:                            ;   in Loop: Header=BB194_516 Depth=2
	v_and_b32_e32 v5, 0xff, v7
	s_delay_alu instid0(VALU_DEP_1) | instskip(NEXT) | instid1(VALU_DEP_1)
	v_lshrrev_b32_e32 v5, s49, v5
	v_and_b32_e32 v5, s31, v5
	s_delay_alu instid0(VALU_DEP_1) | instskip(SKIP_2) | instid1(SALU_CYCLE_1)
	v_lshl_or_b32 v5, v5, 4, v4
	ds_add_u32 v5, v66
	s_or_b32 exec_lo, exec_lo, s8
	s_mov_b32 s8, exec_lo
	v_cmpx_lt_u32_e64 v31, v13
	s_cbranch_execnz .LBB194_543
.LBB194_536:                            ;   in Loop: Header=BB194_516 Depth=2
	s_or_b32 exec_lo, exec_lo, s8
	s_delay_alu instid0(SALU_CYCLE_1)
	s_mov_b32 s8, exec_lo
	v_cmpx_lt_u32_e64 v35, v13
	s_cbranch_execz .LBB194_544
.LBB194_537:                            ;   in Loop: Header=BB194_516 Depth=2
	v_and_b32_e32 v5, 0xff, v9
	s_delay_alu instid0(VALU_DEP_1) | instskip(NEXT) | instid1(VALU_DEP_1)
	v_lshrrev_b32_e32 v5, s49, v5
	v_and_b32_e32 v5, s31, v5
	s_delay_alu instid0(VALU_DEP_1) | instskip(SKIP_2) | instid1(SALU_CYCLE_1)
	v_lshl_or_b32 v5, v5, 4, v4
	ds_add_u32 v5, v66
	s_or_b32 exec_lo, exec_lo, s8
	s_mov_b32 s8, exec_lo
	v_cmpx_lt_u32_e64 v36, v13
	s_cbranch_execnz .LBB194_545
.LBB194_538:                            ;   in Loop: Header=BB194_516 Depth=2
	s_or_b32 exec_lo, exec_lo, s8
	s_delay_alu instid0(SALU_CYCLE_1)
	s_mov_b32 s8, exec_lo
	v_cmpx_lt_u32_e64 v37, v13
	s_cbranch_execz .LBB194_546
.LBB194_539:                            ;   in Loop: Header=BB194_516 Depth=2
	v_and_b32_e32 v5, 0xff, v11
	s_delay_alu instid0(VALU_DEP_1) | instskip(NEXT) | instid1(VALU_DEP_1)
	v_lshrrev_b32_e32 v5, s49, v5
	v_and_b32_e32 v5, s31, v5
	s_delay_alu instid0(VALU_DEP_1) | instskip(SKIP_2) | instid1(SALU_CYCLE_1)
	v_lshl_or_b32 v5, v5, 4, v4
	ds_add_u32 v5, v66
	s_or_b32 exec_lo, exec_lo, s8
	s_mov_b32 s8, exec_lo
	v_cmpx_lt_u32_e64 v39, v13
	s_cbranch_execz .LBB194_515
	s_branch .LBB194_547
.LBB194_540:                            ;   in Loop: Header=BB194_516 Depth=2
	s_or_b32 exec_lo, exec_lo, s8
	s_delay_alu instid0(SALU_CYCLE_1)
	s_mov_b32 s8, exec_lo
	v_cmpx_lt_u32_e64 v29, v13
	s_cbranch_execz .LBB194_534
.LBB194_541:                            ;   in Loop: Header=BB194_516 Depth=2
	v_and_b32_e32 v5, 0xff, v6
	s_delay_alu instid0(VALU_DEP_1) | instskip(NEXT) | instid1(VALU_DEP_1)
	v_lshrrev_b32_e32 v5, s49, v5
	v_and_b32_e32 v5, s31, v5
	s_delay_alu instid0(VALU_DEP_1) | instskip(SKIP_2) | instid1(SALU_CYCLE_1)
	v_lshl_or_b32 v5, v5, 4, v4
	ds_add_u32 v5, v66
	s_or_b32 exec_lo, exec_lo, s8
	s_mov_b32 s8, exec_lo
	v_cmpx_lt_u32_e64 v30, v13
	s_cbranch_execnz .LBB194_535
.LBB194_542:                            ;   in Loop: Header=BB194_516 Depth=2
	s_or_b32 exec_lo, exec_lo, s8
	s_delay_alu instid0(SALU_CYCLE_1)
	s_mov_b32 s8, exec_lo
	v_cmpx_lt_u32_e64 v31, v13
	s_cbranch_execz .LBB194_536
.LBB194_543:                            ;   in Loop: Header=BB194_516 Depth=2
	v_and_b32_e32 v5, 0xff, v8
	s_delay_alu instid0(VALU_DEP_1) | instskip(NEXT) | instid1(VALU_DEP_1)
	v_lshrrev_b32_e32 v5, s49, v5
	v_and_b32_e32 v5, s31, v5
	s_delay_alu instid0(VALU_DEP_1) | instskip(SKIP_2) | instid1(SALU_CYCLE_1)
	v_lshl_or_b32 v5, v5, 4, v4
	ds_add_u32 v5, v66
	s_or_b32 exec_lo, exec_lo, s8
	s_mov_b32 s8, exec_lo
	v_cmpx_lt_u32_e64 v35, v13
	s_cbranch_execnz .LBB194_537
.LBB194_544:                            ;   in Loop: Header=BB194_516 Depth=2
	s_or_b32 exec_lo, exec_lo, s8
	s_delay_alu instid0(SALU_CYCLE_1)
	s_mov_b32 s8, exec_lo
	v_cmpx_lt_u32_e64 v36, v13
	s_cbranch_execz .LBB194_538
.LBB194_545:                            ;   in Loop: Header=BB194_516 Depth=2
	v_and_b32_e32 v5, 0xff, v10
	s_delay_alu instid0(VALU_DEP_1) | instskip(NEXT) | instid1(VALU_DEP_1)
	v_lshrrev_b32_e32 v5, s49, v5
	v_and_b32_e32 v5, s31, v5
	s_delay_alu instid0(VALU_DEP_1) | instskip(SKIP_2) | instid1(SALU_CYCLE_1)
	v_lshl_or_b32 v5, v5, 4, v4
	ds_add_u32 v5, v66
	s_or_b32 exec_lo, exec_lo, s8
	s_mov_b32 s8, exec_lo
	v_cmpx_lt_u32_e64 v37, v13
	s_cbranch_execnz .LBB194_539
.LBB194_546:                            ;   in Loop: Header=BB194_516 Depth=2
	s_or_b32 exec_lo, exec_lo, s8
	s_delay_alu instid0(SALU_CYCLE_1)
	s_mov_b32 s8, exec_lo
	v_cmpx_lt_u32_e64 v39, v13
	s_cbranch_execz .LBB194_515
.LBB194_547:                            ;   in Loop: Header=BB194_516 Depth=2
	s_waitcnt vmcnt(0)
	v_and_b32_e32 v5, 0xff, v12
	s_delay_alu instid0(VALU_DEP_1) | instskip(NEXT) | instid1(VALU_DEP_1)
	v_lshrrev_b32_e32 v5, s49, v5
	v_and_b32_e32 v5, s31, v5
	s_delay_alu instid0(VALU_DEP_1)
	v_lshl_or_b32 v4, v5, 4, v4
	ds_add_u32 v4, v66
	s_branch .LBB194_515
.LBB194_548:                            ;   in Loop: Header=BB194_516 Depth=2
	s_or_b32 exec_lo, exec_lo, s12
	s_delay_alu instid0(SALU_CYCLE_1)
	s_mov_b32 s12, exec_lo
	v_cmpx_gt_u32_e64 s0, v29
	s_cbranch_execz .LBB194_522
.LBB194_549:                            ;   in Loop: Header=BB194_516 Depth=2
	v_add_co_u32 v4, s13, s10, v1
	s_delay_alu instid0(VALU_DEP_1) | instskip(SKIP_2) | instid1(SALU_CYCLE_1)
	v_add_co_ci_u32_e64 v5, null, s11, 0, s13
	global_load_u8 v6, v[4:5], off offset:256
	s_or_b32 exec_lo, exec_lo, s12
	s_mov_b32 s12, exec_lo
	v_cmpx_gt_u32_e64 s0, v30
	s_cbranch_execnz .LBB194_523
.LBB194_550:                            ;   in Loop: Header=BB194_516 Depth=2
	s_or_b32 exec_lo, exec_lo, s12
	s_delay_alu instid0(SALU_CYCLE_1)
	s_mov_b32 s12, exec_lo
	v_cmpx_gt_u32_e64 s0, v31
	s_cbranch_execz .LBB194_524
.LBB194_551:                            ;   in Loop: Header=BB194_516 Depth=2
	v_add_co_u32 v4, s13, s10, v1
	s_delay_alu instid0(VALU_DEP_1) | instskip(SKIP_2) | instid1(SALU_CYCLE_1)
	v_add_co_ci_u32_e64 v5, null, s11, 0, s13
	global_load_u8 v8, v[4:5], off offset:768
	s_or_b32 exec_lo, exec_lo, s12
	s_mov_b32 s12, exec_lo
	v_cmpx_gt_u32_e64 s0, v35
	s_cbranch_execnz .LBB194_525
.LBB194_552:                            ;   in Loop: Header=BB194_516 Depth=2
	s_or_b32 exec_lo, exec_lo, s12
	s_delay_alu instid0(SALU_CYCLE_1)
	s_mov_b32 s12, exec_lo
	v_cmpx_gt_u32_e64 s0, v36
	s_cbranch_execz .LBB194_526
.LBB194_553:                            ;   in Loop: Header=BB194_516 Depth=2
	v_add_co_u32 v4, s13, s10, v1
	s_delay_alu instid0(VALU_DEP_1) | instskip(SKIP_2) | instid1(SALU_CYCLE_1)
	v_add_co_ci_u32_e64 v5, null, s11, 0, s13
	global_load_u8 v10, v[4:5], off offset:1280
	s_or_b32 exec_lo, exec_lo, s12
	s_mov_b32 s12, exec_lo
	v_cmpx_gt_u32_e64 s0, v37
	s_cbranch_execz .LBB194_528
	s_branch .LBB194_527
.LBB194_554:                            ;   in Loop: Header=BB194_12 Depth=1
	v_mov_b32_e32 v2, 0
	s_waitcnt vmcnt(0) lgkmcnt(0)
	s_barrier
	buffer_gl0_inv
	s_and_saveexec_b32 s0, s2
	s_cbranch_execz .LBB194_556
; %bb.555:                              ;   in Loop: Header=BB194_12 Depth=1
	ds_load_2addr_b64 v[4:7], v40 offset1:1
	s_waitcnt lgkmcnt(0)
	v_add_nc_u32_e32 v2, v5, v4
	s_delay_alu instid0(VALU_DEP_1)
	v_add3_u32 v2, v2, v6, v7
.LBB194_556:                            ;   in Loop: Header=BB194_12 Depth=1
	s_or_b32 exec_lo, exec_lo, s0
	v_and_b32_e32 v4, 15, v63
	s_delay_alu instid0(VALU_DEP_2) | instskip(SKIP_1) | instid1(VALU_DEP_3)
	v_mov_b32_dpp v5, v2 row_shr:1 row_mask:0xf bank_mask:0xf
	v_and_b32_e32 v6, 16, v63
	v_cmp_eq_u32_e64 s0, 0, v4
	v_cmp_lt_u32_e64 s1, 1, v4
	v_cmp_lt_u32_e64 s8, 3, v4
	v_cmp_lt_u32_e64 s9, 7, v4
	v_cmp_eq_u32_e64 s10, 0, v6
	v_cndmask_b32_e64 v5, v5, 0, s0
	s_delay_alu instid0(VALU_DEP_1) | instskip(NEXT) | instid1(VALU_DEP_1)
	v_add_nc_u32_e32 v2, v5, v2
	v_mov_b32_dpp v5, v2 row_shr:2 row_mask:0xf bank_mask:0xf
	s_delay_alu instid0(VALU_DEP_1) | instskip(NEXT) | instid1(VALU_DEP_1)
	v_cndmask_b32_e64 v5, 0, v5, s1
	v_add_nc_u32_e32 v2, v2, v5
	s_delay_alu instid0(VALU_DEP_1) | instskip(NEXT) | instid1(VALU_DEP_1)
	v_mov_b32_dpp v5, v2 row_shr:4 row_mask:0xf bank_mask:0xf
	v_cndmask_b32_e64 v5, 0, v5, s8
	s_delay_alu instid0(VALU_DEP_1) | instskip(NEXT) | instid1(VALU_DEP_1)
	v_add_nc_u32_e32 v2, v2, v5
	v_mov_b32_dpp v5, v2 row_shr:8 row_mask:0xf bank_mask:0xf
	s_delay_alu instid0(VALU_DEP_1) | instskip(SKIP_1) | instid1(VALU_DEP_2)
	v_cndmask_b32_e64 v4, 0, v5, s9
	v_bfe_i32 v5, v63, 4, 1
	v_add_nc_u32_e32 v2, v2, v4
	ds_swizzle_b32 v4, v2 offset:swizzle(BROADCAST,32,15)
	s_waitcnt lgkmcnt(0)
	v_and_b32_e32 v4, v5, v4
	s_delay_alu instid0(VALU_DEP_1)
	v_add_nc_u32_e32 v4, v2, v4
	s_and_saveexec_b32 s11, s3
	s_cbranch_execz .LBB194_558
; %bb.557:                              ;   in Loop: Header=BB194_12 Depth=1
	ds_store_b32 v41, v4
.LBB194_558:                            ;   in Loop: Header=BB194_12 Depth=1
	s_or_b32 exec_lo, exec_lo, s11
	v_and_b32_e32 v2, 7, v63
	s_waitcnt lgkmcnt(0)
	s_barrier
	buffer_gl0_inv
	s_and_saveexec_b32 s11, s4
	s_cbranch_execz .LBB194_560
; %bb.559:                              ;   in Loop: Header=BB194_12 Depth=1
	ds_load_b32 v5, v42
	v_cmp_ne_u32_e32 vcc_lo, 0, v2
	s_waitcnt lgkmcnt(0)
	v_mov_b32_dpp v6, v5 row_shr:1 row_mask:0xf bank_mask:0xf
	s_delay_alu instid0(VALU_DEP_1) | instskip(SKIP_1) | instid1(VALU_DEP_2)
	v_cndmask_b32_e32 v6, 0, v6, vcc_lo
	v_cmp_lt_u32_e32 vcc_lo, 1, v2
	v_add_nc_u32_e32 v5, v6, v5
	s_delay_alu instid0(VALU_DEP_1) | instskip(NEXT) | instid1(VALU_DEP_1)
	v_mov_b32_dpp v6, v5 row_shr:2 row_mask:0xf bank_mask:0xf
	v_cndmask_b32_e32 v6, 0, v6, vcc_lo
	v_cmp_lt_u32_e32 vcc_lo, 3, v2
	s_delay_alu instid0(VALU_DEP_2) | instskip(NEXT) | instid1(VALU_DEP_1)
	v_add_nc_u32_e32 v5, v5, v6
	v_mov_b32_dpp v6, v5 row_shr:4 row_mask:0xf bank_mask:0xf
	s_delay_alu instid0(VALU_DEP_1) | instskip(NEXT) | instid1(VALU_DEP_1)
	v_cndmask_b32_e32 v6, 0, v6, vcc_lo
	v_add_nc_u32_e32 v5, v5, v6
	ds_store_b32 v42, v5
.LBB194_560:                            ;   in Loop: Header=BB194_12 Depth=1
	s_or_b32 exec_lo, exec_lo, s11
	v_mov_b32_e32 v5, 0
	s_waitcnt lgkmcnt(0)
	s_barrier
	buffer_gl0_inv
	s_and_saveexec_b32 s11, s5
	s_cbranch_execz .LBB194_562
; %bb.561:                              ;   in Loop: Header=BB194_12 Depth=1
	ds_load_b32 v5, v43
.LBB194_562:                            ;   in Loop: Header=BB194_12 Depth=1
	s_or_b32 exec_lo, exec_lo, s11
	v_add_nc_u32_e32 v6, -1, v63
	s_waitcnt lgkmcnt(0)
	v_add_nc_u32_e32 v4, v5, v4
	v_cmp_eq_u32_e64 s11, 0, v63
	s_barrier
	v_cmp_gt_i32_e32 vcc_lo, 0, v6
	buffer_gl0_inv
	v_cndmask_b32_e32 v6, v6, v63, vcc_lo
	s_delay_alu instid0(VALU_DEP_1)
	v_lshlrev_b32_e32 v69, 2, v6
	ds_bpermute_b32 v4, v69, v4
	s_and_saveexec_b32 s12, s2
	s_cbranch_execz .LBB194_564
; %bb.563:                              ;   in Loop: Header=BB194_12 Depth=1
	s_waitcnt lgkmcnt(0)
	v_cndmask_b32_e64 v4, v4, v5, s11
	s_delay_alu instid0(VALU_DEP_1)
	v_add_nc_u32_e32 v4, s27, v4
	ds_store_b32 v28, v4
.LBB194_564:                            ;   in Loop: Header=BB194_12 Depth=1
	s_or_b32 exec_lo, exec_lo, s12
	s_load_b64 s[12:13], s[28:29], 0x0
	v_cmp_lt_u32_e64 s14, 3, v2
	v_add_co_u32 v71, vcc_lo, v64, v63
	v_add_co_ci_u32_e32 v72, vcc_lo, 0, v65, vcc_lo
	v_or_b32_e32 v70, v63, v44
	s_mov_b32 s42, s35
	s_mov_b32 s24, s27
                                        ; implicit-def: $vgpr8_vgpr9
                                        ; implicit-def: $vgpr10_vgpr11
                                        ; implicit-def: $vgpr12_vgpr13
                                        ; implicit-def: $vgpr14_vgpr15
                                        ; implicit-def: $vgpr16_vgpr17
                                        ; implicit-def: $vgpr18_vgpr19
                                        ; implicit-def: $vgpr85
                                        ; implicit-def: $vgpr86
                                        ; implicit-def: $vgpr87
                                        ; implicit-def: $vgpr88
                                        ; implicit-def: $vgpr89
                                        ; implicit-def: $vgpr90
                                        ; implicit-def: $vgpr91
                                        ; implicit-def: $vgpr92
	s_delay_alu instid0(VALU_DEP_1)
	v_or_b32_e32 v75, 32, v70
	v_or_b32_e32 v76, 64, v70
	;; [unrolled: 1-line block ×7, first 2 shown]
	s_waitcnt lgkmcnt(0)
	s_cmp_lt_u32 s15, s13
	s_cselect_b32 s13, 14, 20
	s_delay_alu instid0(SALU_CYCLE_1) | instskip(SKIP_4) | instid1(SALU_CYCLE_1)
	s_add_u32 s16, s28, s13
	s_addc_u32 s17, s29, 0
	s_cmp_lt_u32 s26, s12
	global_load_u16 v4, v3, s[16:17]
	s_cselect_b32 s12, 12, 18
	s_add_u32 s12, s28, s12
	s_addc_u32 s13, s29, 0
	global_load_u16 v6, v3, s[12:13]
	v_cmp_eq_u32_e64 s12, 0, v2
	v_cmp_lt_u32_e64 s13, 1, v2
	v_lshlrev_b32_e32 v2, 3, v63
	s_delay_alu instid0(VALU_DEP_1)
	v_add_co_u32 v73, vcc_lo, v61, v2
	v_add_co_ci_u32_e32 v74, vcc_lo, 0, v62, vcc_lo
	v_add_co_u32 v83, vcc_lo, 0xe0, v71
	v_add_co_ci_u32_e32 v84, vcc_lo, 0, v72, vcc_lo
	s_waitcnt vmcnt(1)
	v_mad_u32_u24 v7, v45, v4, v0
	s_waitcnt vmcnt(0)
	s_delay_alu instid0(VALU_DEP_1) | instskip(NEXT) | instid1(VALU_DEP_1)
	v_mad_u64_u32 v[4:5], null, v7, v6, v[1:2]
                                        ; implicit-def: $vgpr6_vgpr7
	v_lshrrev_b32_e32 v82, 5, v4
                                        ; implicit-def: $vgpr4_vgpr5
	s_branch .LBB194_566
.LBB194_565:                            ;   in Loop: Header=BB194_566 Depth=2
	s_or_b32 exec_lo, exec_lo, s16
	s_addk_i32 s42, 0xf800
	s_cmp_lt_u32 s43, s33
	s_mov_b32 s24, s43
	s_cbranch_scc0 .LBB194_10
.LBB194_566:                            ;   Parent Loop BB194_12 Depth=1
                                        ; =>  This Inner Loop Header: Depth=2
	s_add_i32 s43, s24, 0x800
	s_delay_alu instid0(SALU_CYCLE_1)
	s_cmp_gt_u32 s43, s33
	s_cbranch_scc1 .LBB194_569
; %bb.567:                              ;   in Loop: Header=BB194_566 Depth=2
	v_add_co_u32 v20, vcc_lo, v71, s24
	v_add_co_ci_u32_e32 v21, vcc_lo, 0, v72, vcc_lo
	s_mov_b32 s17, 0
	s_mov_b32 s16, s24
	s_mov_b32 s19, -1
	s_clause 0x6
	global_load_u8 v93, v[20:21], off
	global_load_u8 v94, v[20:21], off offset:32
	global_load_u8 v95, v[20:21], off offset:64
	;; [unrolled: 1-line block ×6, first 2 shown]
	s_movk_i32 s18, 0x800
	s_cbranch_execz .LBB194_570
; %bb.568:                              ;   in Loop: Header=BB194_566 Depth=2
                                        ; implicit-def: $sgpr20
	v_mov_b32_e32 v100, s20
	v_mov_b32_e32 v2, s42
	s_and_saveexec_b32 s20, s19
	s_cbranch_execnz .LBB194_585
	s_branch .LBB194_586
.LBB194_569:                            ;   in Loop: Header=BB194_566 Depth=2
	s_mov_b32 s17, -1
	s_mov_b32 s19, 0
                                        ; implicit-def: $sgpr18
                                        ; implicit-def: $vgpr93
                                        ; implicit-def: $vgpr94
                                        ; implicit-def: $vgpr95
                                        ; implicit-def: $vgpr96
                                        ; implicit-def: $vgpr97
                                        ; implicit-def: $vgpr98
                                        ; implicit-def: $vgpr99
.LBB194_570:                            ;   in Loop: Header=BB194_566 Depth=2
	v_add_co_u32 v20, vcc_lo, v71, s24
	v_add_co_ci_u32_e32 v21, vcc_lo, 0, v72, vcc_lo
	s_waitcnt vmcnt(5)
	v_dual_mov_b32 v94, 0xff :: v_dual_mov_b32 v93, 0xff
	s_mov_b32 s16, exec_lo
	v_cmpx_gt_u32_e64 s42, v70
	s_cbranch_execz .LBB194_572
; %bb.571:                              ;   in Loop: Header=BB194_566 Depth=2
	global_load_u8 v93, v[20:21], off
.LBB194_572:                            ;   in Loop: Header=BB194_566 Depth=2
	s_or_b32 exec_lo, exec_lo, s16
	s_delay_alu instid0(SALU_CYCLE_1)
	s_mov_b32 s16, exec_lo
	v_cmpx_gt_u32_e64 s42, v75
	s_cbranch_execz .LBB194_574
; %bb.573:                              ;   in Loop: Header=BB194_566 Depth=2
	global_load_u8 v94, v[20:21], off offset:32
.LBB194_574:                            ;   in Loop: Header=BB194_566 Depth=2
	s_or_b32 exec_lo, exec_lo, s16
	s_waitcnt vmcnt(3)
	v_dual_mov_b32 v96, 0xff :: v_dual_mov_b32 v95, 0xff
	s_mov_b32 s16, exec_lo
	v_cmpx_gt_u32_e64 s42, v76
	s_cbranch_execz .LBB194_576
; %bb.575:                              ;   in Loop: Header=BB194_566 Depth=2
	global_load_u8 v95, v[20:21], off offset:64
.LBB194_576:                            ;   in Loop: Header=BB194_566 Depth=2
	s_or_b32 exec_lo, exec_lo, s16
	s_delay_alu instid0(SALU_CYCLE_1)
	s_mov_b32 s16, exec_lo
	v_cmpx_gt_u32_e64 s42, v77
	s_cbranch_execz .LBB194_578
; %bb.577:                              ;   in Loop: Header=BB194_566 Depth=2
	global_load_u8 v96, v[20:21], off offset:96
.LBB194_578:                            ;   in Loop: Header=BB194_566 Depth=2
	s_or_b32 exec_lo, exec_lo, s16
	s_waitcnt vmcnt(1)
	v_dual_mov_b32 v98, 0xff :: v_dual_mov_b32 v97, 0xff
	s_mov_b32 s16, exec_lo
	v_cmpx_gt_u32_e64 s42, v78
	s_cbranch_execz .LBB194_580
; %bb.579:                              ;   in Loop: Header=BB194_566 Depth=2
	global_load_u8 v97, v[20:21], off offset:128
.LBB194_580:                            ;   in Loop: Header=BB194_566 Depth=2
	s_or_b32 exec_lo, exec_lo, s16
	s_delay_alu instid0(SALU_CYCLE_1)
	s_mov_b32 s16, exec_lo
	v_cmpx_gt_u32_e64 s42, v79
	s_cbranch_execz .LBB194_582
; %bb.581:                              ;   in Loop: Header=BB194_566 Depth=2
	global_load_u8 v98, v[20:21], off offset:160
.LBB194_582:                            ;   in Loop: Header=BB194_566 Depth=2
	s_or_b32 exec_lo, exec_lo, s16
	s_waitcnt vmcnt(0)
	v_mov_b32_e32 v99, 0xff
	s_mov_b32 s16, exec_lo
	v_cmpx_gt_u32_e64 s42, v80
	s_cbranch_execz .LBB194_584
; %bb.583:                              ;   in Loop: Header=BB194_566 Depth=2
	global_load_u8 v99, v[20:21], off offset:192
.LBB194_584:                            ;   in Loop: Header=BB194_566 Depth=2
	s_or_b32 exec_lo, exec_lo, s16
	v_cmp_gt_u32_e64 s19, s42, v81
	s_sub_i32 s18, s33, s24
	s_movk_i32 s20, 0xff
	s_mov_b64 s[16:17], s[24:25]
	v_mov_b32_e32 v100, s20
	v_mov_b32_e32 v2, s42
	s_and_saveexec_b32 s20, s19
	s_cbranch_execz .LBB194_586
.LBB194_585:                            ;   in Loop: Header=BB194_566 Depth=2
	v_add_co_u32 v20, vcc_lo, v83, s16
	v_add_co_ci_u32_e32 v21, vcc_lo, s17, v84, vcc_lo
	v_mov_b32_e32 v2, s18
	global_load_u8 v100, v[20:21], off
.LBB194_586:                            ;   in Loop: Header=BB194_566 Depth=2
	s_or_b32 exec_lo, exec_lo, s20
	s_waitcnt vmcnt(6)
	v_and_b32_e32 v20, 0xff, v93
	ds_store_b32 v46, v3 offset:1056
	ds_store_2addr_b32 v47, v3, v3 offset0:1 offset1:2
	ds_store_2addr_b32 v47, v3, v3 offset0:3 offset1:4
	;; [unrolled: 1-line block ×4, first 2 shown]
	s_waitcnt vmcnt(0) lgkmcnt(0)
	s_barrier
	v_lshrrev_b32_e32 v20, s49, v20
	buffer_gl0_inv
	; wave barrier
	v_and_b32_e32 v21, s31, v20
	s_delay_alu instid0(VALU_DEP_1)
	v_and_b32_e32 v20, 1, v21
	v_lshlrev_b32_e32 v22, 30, v21
	v_lshlrev_b32_e32 v23, 29, v21
	;; [unrolled: 1-line block ×4, first 2 shown]
	v_add_co_u32 v20, s16, v20, -1
	s_delay_alu instid0(VALU_DEP_1)
	v_cndmask_b32_e64 v25, 0, 1, s16
	v_not_b32_e32 v102, v22
	v_cmp_gt_i32_e64 s16, 0, v22
	v_not_b32_e32 v22, v23
	v_lshlrev_b32_e32 v27, 26, v21
	v_cmp_ne_u32_e32 vcc_lo, 0, v25
	v_ashrrev_i32_e32 v102, 31, v102
	v_lshlrev_b32_e32 v101, 25, v21
	v_ashrrev_i32_e32 v22, 31, v22
	v_lshlrev_b32_e32 v25, 24, v21
	v_xor_b32_e32 v20, vcc_lo, v20
	v_cmp_gt_i32_e32 vcc_lo, 0, v23
	v_not_b32_e32 v23, v24
	v_xor_b32_e32 v102, s16, v102
	v_cmp_gt_i32_e64 s16, 0, v24
	v_and_b32_e32 v20, exec_lo, v20
	v_not_b32_e32 v24, v26
	v_ashrrev_i32_e32 v23, 31, v23
	v_xor_b32_e32 v22, vcc_lo, v22
	v_cmp_gt_i32_e32 vcc_lo, 0, v26
	v_and_b32_e32 v20, v20, v102
	v_not_b32_e32 v26, v27
	v_ashrrev_i32_e32 v24, 31, v24
	v_xor_b32_e32 v23, s16, v23
	v_cmp_gt_i32_e64 s16, 0, v27
	v_and_b32_e32 v20, v20, v22
	v_not_b32_e32 v22, v101
	v_ashrrev_i32_e32 v26, 31, v26
	v_xor_b32_e32 v24, vcc_lo, v24
	v_cmp_gt_i32_e32 vcc_lo, 0, v101
	v_and_b32_e32 v20, v20, v23
	v_not_b32_e32 v23, v25
	v_ashrrev_i32_e32 v22, 31, v22
	v_xor_b32_e32 v26, s16, v26
	v_cmp_gt_i32_e64 s16, 0, v25
	v_and_b32_e32 v20, v20, v24
	v_ashrrev_i32_e32 v23, 31, v23
	v_xor_b32_e32 v22, vcc_lo, v22
	v_mad_u32_u24 v21, v21, 9, v82
	s_delay_alu instid0(VALU_DEP_4) | instskip(NEXT) | instid1(VALU_DEP_4)
	v_and_b32_e32 v20, v20, v26
	v_xor_b32_e32 v23, s16, v23
	s_delay_alu instid0(VALU_DEP_3) | instskip(NEXT) | instid1(VALU_DEP_3)
	v_lshl_add_u32 v102, v21, 2, 0x420
	v_and_b32_e32 v20, v20, v22
	s_delay_alu instid0(VALU_DEP_1) | instskip(NEXT) | instid1(VALU_DEP_1)
	v_and_b32_e32 v20, v20, v23
	v_mbcnt_lo_u32_b32 v101, v20, 0
	v_cmp_ne_u32_e64 s16, 0, v20
	s_delay_alu instid0(VALU_DEP_2) | instskip(NEXT) | instid1(VALU_DEP_2)
	v_cmp_eq_u32_e32 vcc_lo, 0, v101
	s_and_b32 s17, s16, vcc_lo
	s_delay_alu instid0(SALU_CYCLE_1)
	s_and_saveexec_b32 s16, s17
	s_cbranch_execz .LBB194_588
; %bb.587:                              ;   in Loop: Header=BB194_566 Depth=2
	v_bcnt_u32_b32 v20, v20, 0
	ds_store_b32 v102, v20
.LBB194_588:                            ;   in Loop: Header=BB194_566 Depth=2
	s_or_b32 exec_lo, exec_lo, s16
	v_and_b32_e32 v20, 0xff, v94
	; wave barrier
	s_delay_alu instid0(VALU_DEP_1) | instskip(NEXT) | instid1(VALU_DEP_1)
	v_lshrrev_b32_e32 v20, s49, v20
	v_and_b32_e32 v20, s31, v20
	s_delay_alu instid0(VALU_DEP_1)
	v_and_b32_e32 v21, 1, v20
	v_lshlrev_b32_e32 v22, 30, v20
	v_lshlrev_b32_e32 v23, 29, v20
	;; [unrolled: 1-line block ×4, first 2 shown]
	v_add_co_u32 v21, s16, v21, -1
	s_delay_alu instid0(VALU_DEP_1)
	v_cndmask_b32_e64 v25, 0, 1, s16
	v_not_b32_e32 v104, v22
	v_cmp_gt_i32_e64 s16, 0, v22
	v_not_b32_e32 v22, v23
	v_lshlrev_b32_e32 v27, 26, v20
	v_cmp_ne_u32_e32 vcc_lo, 0, v25
	v_ashrrev_i32_e32 v104, 31, v104
	v_lshlrev_b32_e32 v103, 25, v20
	v_ashrrev_i32_e32 v22, 31, v22
	v_lshlrev_b32_e32 v25, 24, v20
	v_xor_b32_e32 v21, vcc_lo, v21
	v_cmp_gt_i32_e32 vcc_lo, 0, v23
	v_not_b32_e32 v23, v24
	v_xor_b32_e32 v104, s16, v104
	v_cmp_gt_i32_e64 s16, 0, v24
	v_and_b32_e32 v21, exec_lo, v21
	v_not_b32_e32 v24, v26
	v_ashrrev_i32_e32 v23, 31, v23
	v_xor_b32_e32 v22, vcc_lo, v22
	v_cmp_gt_i32_e32 vcc_lo, 0, v26
	v_and_b32_e32 v21, v21, v104
	v_not_b32_e32 v26, v27
	v_ashrrev_i32_e32 v24, 31, v24
	v_xor_b32_e32 v23, s16, v23
	v_cmp_gt_i32_e64 s16, 0, v27
	v_and_b32_e32 v21, v21, v22
	v_not_b32_e32 v22, v103
	v_ashrrev_i32_e32 v26, 31, v26
	v_xor_b32_e32 v24, vcc_lo, v24
	v_cmp_gt_i32_e32 vcc_lo, 0, v103
	v_and_b32_e32 v21, v21, v23
	v_not_b32_e32 v23, v25
	v_ashrrev_i32_e32 v22, 31, v22
	v_xor_b32_e32 v26, s16, v26
	v_mul_u32_u24_e32 v20, 9, v20
	v_and_b32_e32 v21, v21, v24
	v_cmp_gt_i32_e64 s16, 0, v25
	v_ashrrev_i32_e32 v23, 31, v23
	v_xor_b32_e32 v22, vcc_lo, v22
	v_add_lshl_u32 v24, v20, v82, 2
	v_and_b32_e32 v21, v21, v26
	s_delay_alu instid0(VALU_DEP_4) | instskip(SKIP_3) | instid1(VALU_DEP_2)
	v_xor_b32_e32 v20, s16, v23
	ds_load_b32 v103, v24 offset:1056
	v_and_b32_e32 v21, v21, v22
	v_add_nc_u32_e32 v105, 0x420, v24
	; wave barrier
	v_and_b32_e32 v20, v21, v20
	s_delay_alu instid0(VALU_DEP_1) | instskip(SKIP_1) | instid1(VALU_DEP_2)
	v_mbcnt_lo_u32_b32 v104, v20, 0
	v_cmp_ne_u32_e64 s16, 0, v20
	v_cmp_eq_u32_e32 vcc_lo, 0, v104
	s_delay_alu instid0(VALU_DEP_2) | instskip(NEXT) | instid1(SALU_CYCLE_1)
	s_and_b32 s17, s16, vcc_lo
	s_and_saveexec_b32 s16, s17
	s_cbranch_execz .LBB194_590
; %bb.589:                              ;   in Loop: Header=BB194_566 Depth=2
	s_waitcnt lgkmcnt(0)
	v_bcnt_u32_b32 v20, v20, v103
	ds_store_b32 v105, v20
.LBB194_590:                            ;   in Loop: Header=BB194_566 Depth=2
	s_or_b32 exec_lo, exec_lo, s16
	v_and_b32_e32 v20, 0xff, v95
	; wave barrier
	s_delay_alu instid0(VALU_DEP_1) | instskip(NEXT) | instid1(VALU_DEP_1)
	v_lshrrev_b32_e32 v20, s49, v20
	v_and_b32_e32 v20, s31, v20
	s_delay_alu instid0(VALU_DEP_1)
	v_and_b32_e32 v21, 1, v20
	v_lshlrev_b32_e32 v22, 30, v20
	v_lshlrev_b32_e32 v23, 29, v20
	;; [unrolled: 1-line block ×4, first 2 shown]
	v_add_co_u32 v21, s16, v21, -1
	s_delay_alu instid0(VALU_DEP_1)
	v_cndmask_b32_e64 v25, 0, 1, s16
	v_not_b32_e32 v107, v22
	v_cmp_gt_i32_e64 s16, 0, v22
	v_not_b32_e32 v22, v23
	v_lshlrev_b32_e32 v27, 26, v20
	v_cmp_ne_u32_e32 vcc_lo, 0, v25
	v_ashrrev_i32_e32 v107, 31, v107
	v_lshlrev_b32_e32 v106, 25, v20
	v_ashrrev_i32_e32 v22, 31, v22
	v_lshlrev_b32_e32 v25, 24, v20
	v_xor_b32_e32 v21, vcc_lo, v21
	v_cmp_gt_i32_e32 vcc_lo, 0, v23
	v_not_b32_e32 v23, v24
	v_xor_b32_e32 v107, s16, v107
	v_cmp_gt_i32_e64 s16, 0, v24
	v_and_b32_e32 v21, exec_lo, v21
	v_not_b32_e32 v24, v26
	v_ashrrev_i32_e32 v23, 31, v23
	v_xor_b32_e32 v22, vcc_lo, v22
	v_cmp_gt_i32_e32 vcc_lo, 0, v26
	v_and_b32_e32 v21, v21, v107
	v_not_b32_e32 v26, v27
	v_ashrrev_i32_e32 v24, 31, v24
	v_xor_b32_e32 v23, s16, v23
	v_cmp_gt_i32_e64 s16, 0, v27
	v_and_b32_e32 v21, v21, v22
	v_not_b32_e32 v22, v106
	v_ashrrev_i32_e32 v26, 31, v26
	v_xor_b32_e32 v24, vcc_lo, v24
	v_cmp_gt_i32_e32 vcc_lo, 0, v106
	v_and_b32_e32 v21, v21, v23
	v_not_b32_e32 v23, v25
	v_ashrrev_i32_e32 v22, 31, v22
	v_xor_b32_e32 v26, s16, v26
	v_mul_u32_u24_e32 v20, 9, v20
	v_and_b32_e32 v21, v21, v24
	v_cmp_gt_i32_e64 s16, 0, v25
	v_ashrrev_i32_e32 v23, 31, v23
	v_xor_b32_e32 v22, vcc_lo, v22
	v_add_lshl_u32 v24, v20, v82, 2
	v_and_b32_e32 v21, v21, v26
	s_delay_alu instid0(VALU_DEP_4) | instskip(SKIP_3) | instid1(VALU_DEP_2)
	v_xor_b32_e32 v20, s16, v23
	ds_load_b32 v106, v24 offset:1056
	v_and_b32_e32 v21, v21, v22
	v_add_nc_u32_e32 v108, 0x420, v24
	; wave barrier
	v_and_b32_e32 v20, v21, v20
	s_delay_alu instid0(VALU_DEP_1) | instskip(SKIP_1) | instid1(VALU_DEP_2)
	v_mbcnt_lo_u32_b32 v107, v20, 0
	v_cmp_ne_u32_e64 s16, 0, v20
	v_cmp_eq_u32_e32 vcc_lo, 0, v107
	s_delay_alu instid0(VALU_DEP_2) | instskip(NEXT) | instid1(SALU_CYCLE_1)
	s_and_b32 s17, s16, vcc_lo
	s_and_saveexec_b32 s16, s17
	s_cbranch_execz .LBB194_592
; %bb.591:                              ;   in Loop: Header=BB194_566 Depth=2
	s_waitcnt lgkmcnt(0)
	v_bcnt_u32_b32 v20, v20, v106
	ds_store_b32 v108, v20
.LBB194_592:                            ;   in Loop: Header=BB194_566 Depth=2
	s_or_b32 exec_lo, exec_lo, s16
	v_and_b32_e32 v20, 0xff, v96
	; wave barrier
	s_delay_alu instid0(VALU_DEP_1) | instskip(NEXT) | instid1(VALU_DEP_1)
	v_lshrrev_b32_e32 v20, s49, v20
	v_and_b32_e32 v20, s31, v20
	s_delay_alu instid0(VALU_DEP_1)
	v_and_b32_e32 v21, 1, v20
	v_lshlrev_b32_e32 v22, 30, v20
	v_lshlrev_b32_e32 v23, 29, v20
	;; [unrolled: 1-line block ×4, first 2 shown]
	v_add_co_u32 v21, s16, v21, -1
	s_delay_alu instid0(VALU_DEP_1)
	v_cndmask_b32_e64 v25, 0, 1, s16
	v_not_b32_e32 v110, v22
	v_cmp_gt_i32_e64 s16, 0, v22
	v_not_b32_e32 v22, v23
	v_lshlrev_b32_e32 v27, 26, v20
	v_cmp_ne_u32_e32 vcc_lo, 0, v25
	v_ashrrev_i32_e32 v110, 31, v110
	v_lshlrev_b32_e32 v109, 25, v20
	v_ashrrev_i32_e32 v22, 31, v22
	v_lshlrev_b32_e32 v25, 24, v20
	v_xor_b32_e32 v21, vcc_lo, v21
	v_cmp_gt_i32_e32 vcc_lo, 0, v23
	v_not_b32_e32 v23, v24
	v_xor_b32_e32 v110, s16, v110
	v_cmp_gt_i32_e64 s16, 0, v24
	v_and_b32_e32 v21, exec_lo, v21
	v_not_b32_e32 v24, v26
	v_ashrrev_i32_e32 v23, 31, v23
	v_xor_b32_e32 v22, vcc_lo, v22
	v_cmp_gt_i32_e32 vcc_lo, 0, v26
	v_and_b32_e32 v21, v21, v110
	v_not_b32_e32 v26, v27
	v_ashrrev_i32_e32 v24, 31, v24
	v_xor_b32_e32 v23, s16, v23
	v_cmp_gt_i32_e64 s16, 0, v27
	v_and_b32_e32 v21, v21, v22
	v_not_b32_e32 v22, v109
	v_ashrrev_i32_e32 v26, 31, v26
	v_xor_b32_e32 v24, vcc_lo, v24
	v_cmp_gt_i32_e32 vcc_lo, 0, v109
	v_and_b32_e32 v21, v21, v23
	v_not_b32_e32 v23, v25
	v_ashrrev_i32_e32 v22, 31, v22
	v_xor_b32_e32 v26, s16, v26
	v_mul_u32_u24_e32 v20, 9, v20
	v_and_b32_e32 v21, v21, v24
	v_cmp_gt_i32_e64 s16, 0, v25
	v_ashrrev_i32_e32 v23, 31, v23
	v_xor_b32_e32 v22, vcc_lo, v22
	v_add_lshl_u32 v24, v20, v82, 2
	v_and_b32_e32 v21, v21, v26
	s_delay_alu instid0(VALU_DEP_4) | instskip(SKIP_3) | instid1(VALU_DEP_2)
	v_xor_b32_e32 v20, s16, v23
	ds_load_b32 v109, v24 offset:1056
	v_and_b32_e32 v21, v21, v22
	v_add_nc_u32_e32 v111, 0x420, v24
	; wave barrier
	v_and_b32_e32 v20, v21, v20
	s_delay_alu instid0(VALU_DEP_1) | instskip(SKIP_1) | instid1(VALU_DEP_2)
	v_mbcnt_lo_u32_b32 v110, v20, 0
	v_cmp_ne_u32_e64 s16, 0, v20
	v_cmp_eq_u32_e32 vcc_lo, 0, v110
	s_delay_alu instid0(VALU_DEP_2) | instskip(NEXT) | instid1(SALU_CYCLE_1)
	s_and_b32 s17, s16, vcc_lo
	s_and_saveexec_b32 s16, s17
	s_cbranch_execz .LBB194_594
; %bb.593:                              ;   in Loop: Header=BB194_566 Depth=2
	s_waitcnt lgkmcnt(0)
	v_bcnt_u32_b32 v20, v20, v109
	ds_store_b32 v111, v20
.LBB194_594:                            ;   in Loop: Header=BB194_566 Depth=2
	s_or_b32 exec_lo, exec_lo, s16
	v_and_b32_e32 v20, 0xff, v97
	; wave barrier
	s_delay_alu instid0(VALU_DEP_1) | instskip(NEXT) | instid1(VALU_DEP_1)
	v_lshrrev_b32_e32 v20, s49, v20
	v_and_b32_e32 v20, s31, v20
	s_delay_alu instid0(VALU_DEP_1)
	v_and_b32_e32 v21, 1, v20
	v_lshlrev_b32_e32 v22, 30, v20
	v_lshlrev_b32_e32 v23, 29, v20
	;; [unrolled: 1-line block ×4, first 2 shown]
	v_add_co_u32 v21, s16, v21, -1
	s_delay_alu instid0(VALU_DEP_1)
	v_cndmask_b32_e64 v25, 0, 1, s16
	v_not_b32_e32 v113, v22
	v_cmp_gt_i32_e64 s16, 0, v22
	v_not_b32_e32 v22, v23
	v_lshlrev_b32_e32 v27, 26, v20
	v_cmp_ne_u32_e32 vcc_lo, 0, v25
	v_ashrrev_i32_e32 v113, 31, v113
	v_lshlrev_b32_e32 v112, 25, v20
	v_ashrrev_i32_e32 v22, 31, v22
	v_lshlrev_b32_e32 v25, 24, v20
	v_xor_b32_e32 v21, vcc_lo, v21
	v_cmp_gt_i32_e32 vcc_lo, 0, v23
	v_not_b32_e32 v23, v24
	v_xor_b32_e32 v113, s16, v113
	v_cmp_gt_i32_e64 s16, 0, v24
	v_and_b32_e32 v21, exec_lo, v21
	v_not_b32_e32 v24, v26
	v_ashrrev_i32_e32 v23, 31, v23
	v_xor_b32_e32 v22, vcc_lo, v22
	v_cmp_gt_i32_e32 vcc_lo, 0, v26
	v_and_b32_e32 v21, v21, v113
	v_not_b32_e32 v26, v27
	v_ashrrev_i32_e32 v24, 31, v24
	v_xor_b32_e32 v23, s16, v23
	v_cmp_gt_i32_e64 s16, 0, v27
	v_and_b32_e32 v21, v21, v22
	v_not_b32_e32 v22, v112
	v_ashrrev_i32_e32 v26, 31, v26
	v_xor_b32_e32 v24, vcc_lo, v24
	v_cmp_gt_i32_e32 vcc_lo, 0, v112
	v_and_b32_e32 v21, v21, v23
	v_not_b32_e32 v23, v25
	v_ashrrev_i32_e32 v22, 31, v22
	v_xor_b32_e32 v26, s16, v26
	v_mul_u32_u24_e32 v20, 9, v20
	v_and_b32_e32 v21, v21, v24
	v_cmp_gt_i32_e64 s16, 0, v25
	v_ashrrev_i32_e32 v23, 31, v23
	v_xor_b32_e32 v22, vcc_lo, v22
	v_add_lshl_u32 v24, v20, v82, 2
	v_and_b32_e32 v21, v21, v26
	s_delay_alu instid0(VALU_DEP_4) | instskip(SKIP_3) | instid1(VALU_DEP_2)
	v_xor_b32_e32 v20, s16, v23
	ds_load_b32 v112, v24 offset:1056
	v_and_b32_e32 v21, v21, v22
	v_add_nc_u32_e32 v114, 0x420, v24
	; wave barrier
	v_and_b32_e32 v20, v21, v20
	s_delay_alu instid0(VALU_DEP_1) | instskip(SKIP_1) | instid1(VALU_DEP_2)
	v_mbcnt_lo_u32_b32 v113, v20, 0
	v_cmp_ne_u32_e64 s16, 0, v20
	v_cmp_eq_u32_e32 vcc_lo, 0, v113
	s_delay_alu instid0(VALU_DEP_2) | instskip(NEXT) | instid1(SALU_CYCLE_1)
	s_and_b32 s17, s16, vcc_lo
	s_and_saveexec_b32 s16, s17
	s_cbranch_execz .LBB194_596
; %bb.595:                              ;   in Loop: Header=BB194_566 Depth=2
	s_waitcnt lgkmcnt(0)
	v_bcnt_u32_b32 v20, v20, v112
	ds_store_b32 v114, v20
.LBB194_596:                            ;   in Loop: Header=BB194_566 Depth=2
	s_or_b32 exec_lo, exec_lo, s16
	v_and_b32_e32 v20, 0xff, v98
	; wave barrier
	s_delay_alu instid0(VALU_DEP_1) | instskip(NEXT) | instid1(VALU_DEP_1)
	v_lshrrev_b32_e32 v20, s49, v20
	v_and_b32_e32 v20, s31, v20
	s_delay_alu instid0(VALU_DEP_1)
	v_and_b32_e32 v21, 1, v20
	v_lshlrev_b32_e32 v22, 30, v20
	v_lshlrev_b32_e32 v23, 29, v20
	;; [unrolled: 1-line block ×4, first 2 shown]
	v_add_co_u32 v21, s16, v21, -1
	s_delay_alu instid0(VALU_DEP_1)
	v_cndmask_b32_e64 v25, 0, 1, s16
	v_not_b32_e32 v116, v22
	v_cmp_gt_i32_e64 s16, 0, v22
	v_not_b32_e32 v22, v23
	v_lshlrev_b32_e32 v27, 26, v20
	v_cmp_ne_u32_e32 vcc_lo, 0, v25
	v_ashrrev_i32_e32 v116, 31, v116
	v_lshlrev_b32_e32 v115, 25, v20
	v_ashrrev_i32_e32 v22, 31, v22
	v_lshlrev_b32_e32 v25, 24, v20
	v_xor_b32_e32 v21, vcc_lo, v21
	v_cmp_gt_i32_e32 vcc_lo, 0, v23
	v_not_b32_e32 v23, v24
	v_xor_b32_e32 v116, s16, v116
	v_cmp_gt_i32_e64 s16, 0, v24
	v_and_b32_e32 v21, exec_lo, v21
	v_not_b32_e32 v24, v26
	v_ashrrev_i32_e32 v23, 31, v23
	v_xor_b32_e32 v22, vcc_lo, v22
	v_cmp_gt_i32_e32 vcc_lo, 0, v26
	v_and_b32_e32 v21, v21, v116
	v_not_b32_e32 v26, v27
	v_ashrrev_i32_e32 v24, 31, v24
	v_xor_b32_e32 v23, s16, v23
	v_cmp_gt_i32_e64 s16, 0, v27
	v_and_b32_e32 v21, v21, v22
	v_not_b32_e32 v22, v115
	v_ashrrev_i32_e32 v26, 31, v26
	v_xor_b32_e32 v24, vcc_lo, v24
	v_cmp_gt_i32_e32 vcc_lo, 0, v115
	v_and_b32_e32 v21, v21, v23
	v_not_b32_e32 v23, v25
	v_ashrrev_i32_e32 v22, 31, v22
	v_xor_b32_e32 v26, s16, v26
	v_mul_u32_u24_e32 v20, 9, v20
	v_and_b32_e32 v21, v21, v24
	v_cmp_gt_i32_e64 s16, 0, v25
	v_ashrrev_i32_e32 v23, 31, v23
	v_xor_b32_e32 v22, vcc_lo, v22
	v_add_lshl_u32 v24, v20, v82, 2
	v_and_b32_e32 v21, v21, v26
	s_delay_alu instid0(VALU_DEP_4) | instskip(SKIP_3) | instid1(VALU_DEP_2)
	v_xor_b32_e32 v20, s16, v23
	ds_load_b32 v115, v24 offset:1056
	v_and_b32_e32 v21, v21, v22
	v_add_nc_u32_e32 v117, 0x420, v24
	; wave barrier
	v_and_b32_e32 v20, v21, v20
	s_delay_alu instid0(VALU_DEP_1) | instskip(SKIP_1) | instid1(VALU_DEP_2)
	v_mbcnt_lo_u32_b32 v116, v20, 0
	v_cmp_ne_u32_e64 s16, 0, v20
	v_cmp_eq_u32_e32 vcc_lo, 0, v116
	s_delay_alu instid0(VALU_DEP_2) | instskip(NEXT) | instid1(SALU_CYCLE_1)
	s_and_b32 s17, s16, vcc_lo
	s_and_saveexec_b32 s16, s17
	s_cbranch_execz .LBB194_598
; %bb.597:                              ;   in Loop: Header=BB194_566 Depth=2
	s_waitcnt lgkmcnt(0)
	v_bcnt_u32_b32 v20, v20, v115
	ds_store_b32 v117, v20
.LBB194_598:                            ;   in Loop: Header=BB194_566 Depth=2
	s_or_b32 exec_lo, exec_lo, s16
	v_and_b32_e32 v20, 0xff, v99
	; wave barrier
	s_delay_alu instid0(VALU_DEP_1) | instskip(NEXT) | instid1(VALU_DEP_1)
	v_lshrrev_b32_e32 v20, s49, v20
	v_and_b32_e32 v20, s31, v20
	s_delay_alu instid0(VALU_DEP_1)
	v_and_b32_e32 v21, 1, v20
	v_lshlrev_b32_e32 v22, 30, v20
	v_lshlrev_b32_e32 v23, 29, v20
	;; [unrolled: 1-line block ×4, first 2 shown]
	v_add_co_u32 v21, s16, v21, -1
	s_delay_alu instid0(VALU_DEP_1)
	v_cndmask_b32_e64 v25, 0, 1, s16
	v_not_b32_e32 v119, v22
	v_cmp_gt_i32_e64 s16, 0, v22
	v_not_b32_e32 v22, v23
	v_lshlrev_b32_e32 v27, 26, v20
	v_cmp_ne_u32_e32 vcc_lo, 0, v25
	v_ashrrev_i32_e32 v119, 31, v119
	v_lshlrev_b32_e32 v118, 25, v20
	v_ashrrev_i32_e32 v22, 31, v22
	v_lshlrev_b32_e32 v25, 24, v20
	v_xor_b32_e32 v21, vcc_lo, v21
	v_cmp_gt_i32_e32 vcc_lo, 0, v23
	v_not_b32_e32 v23, v24
	v_xor_b32_e32 v119, s16, v119
	v_cmp_gt_i32_e64 s16, 0, v24
	v_and_b32_e32 v21, exec_lo, v21
	v_not_b32_e32 v24, v26
	v_ashrrev_i32_e32 v23, 31, v23
	v_xor_b32_e32 v22, vcc_lo, v22
	v_cmp_gt_i32_e32 vcc_lo, 0, v26
	v_and_b32_e32 v21, v21, v119
	v_not_b32_e32 v26, v27
	v_ashrrev_i32_e32 v24, 31, v24
	v_xor_b32_e32 v23, s16, v23
	v_cmp_gt_i32_e64 s16, 0, v27
	v_and_b32_e32 v21, v21, v22
	v_not_b32_e32 v22, v118
	v_ashrrev_i32_e32 v26, 31, v26
	v_xor_b32_e32 v24, vcc_lo, v24
	v_cmp_gt_i32_e32 vcc_lo, 0, v118
	v_and_b32_e32 v21, v21, v23
	v_not_b32_e32 v23, v25
	v_ashrrev_i32_e32 v22, 31, v22
	v_xor_b32_e32 v26, s16, v26
	v_mul_u32_u24_e32 v20, 9, v20
	v_and_b32_e32 v21, v21, v24
	v_cmp_gt_i32_e64 s16, 0, v25
	v_ashrrev_i32_e32 v23, 31, v23
	v_xor_b32_e32 v22, vcc_lo, v22
	v_add_lshl_u32 v24, v20, v82, 2
	v_and_b32_e32 v21, v21, v26
	s_delay_alu instid0(VALU_DEP_4) | instskip(SKIP_3) | instid1(VALU_DEP_2)
	v_xor_b32_e32 v20, s16, v23
	ds_load_b32 v118, v24 offset:1056
	v_and_b32_e32 v21, v21, v22
	v_add_nc_u32_e32 v120, 0x420, v24
	; wave barrier
	v_and_b32_e32 v20, v21, v20
	s_delay_alu instid0(VALU_DEP_1) | instskip(SKIP_1) | instid1(VALU_DEP_2)
	v_mbcnt_lo_u32_b32 v119, v20, 0
	v_cmp_ne_u32_e64 s16, 0, v20
	v_cmp_eq_u32_e32 vcc_lo, 0, v119
	s_delay_alu instid0(VALU_DEP_2) | instskip(NEXT) | instid1(SALU_CYCLE_1)
	s_and_b32 s17, s16, vcc_lo
	s_and_saveexec_b32 s16, s17
	s_cbranch_execz .LBB194_600
; %bb.599:                              ;   in Loop: Header=BB194_566 Depth=2
	s_waitcnt lgkmcnt(0)
	v_bcnt_u32_b32 v20, v20, v118
	ds_store_b32 v120, v20
.LBB194_600:                            ;   in Loop: Header=BB194_566 Depth=2
	s_or_b32 exec_lo, exec_lo, s16
	v_and_b32_e32 v20, 0xff, v100
	; wave barrier
	s_delay_alu instid0(VALU_DEP_1) | instskip(NEXT) | instid1(VALU_DEP_1)
	v_lshrrev_b32_e32 v20, s49, v20
	v_and_b32_e32 v20, s31, v20
	s_delay_alu instid0(VALU_DEP_1)
	v_and_b32_e32 v21, 1, v20
	v_lshlrev_b32_e32 v22, 30, v20
	v_lshlrev_b32_e32 v23, 29, v20
	;; [unrolled: 1-line block ×4, first 2 shown]
	v_add_co_u32 v21, s16, v21, -1
	s_delay_alu instid0(VALU_DEP_1)
	v_cndmask_b32_e64 v25, 0, 1, s16
	v_not_b32_e32 v122, v22
	v_cmp_gt_i32_e64 s16, 0, v22
	v_not_b32_e32 v22, v23
	v_lshlrev_b32_e32 v27, 26, v20
	v_cmp_ne_u32_e32 vcc_lo, 0, v25
	v_ashrrev_i32_e32 v122, 31, v122
	v_lshlrev_b32_e32 v121, 25, v20
	v_ashrrev_i32_e32 v22, 31, v22
	v_lshlrev_b32_e32 v25, 24, v20
	v_xor_b32_e32 v21, vcc_lo, v21
	v_cmp_gt_i32_e32 vcc_lo, 0, v23
	v_not_b32_e32 v23, v24
	v_xor_b32_e32 v122, s16, v122
	v_cmp_gt_i32_e64 s16, 0, v24
	v_and_b32_e32 v21, exec_lo, v21
	v_not_b32_e32 v24, v26
	v_ashrrev_i32_e32 v23, 31, v23
	v_xor_b32_e32 v22, vcc_lo, v22
	v_cmp_gt_i32_e32 vcc_lo, 0, v26
	v_and_b32_e32 v21, v21, v122
	v_not_b32_e32 v26, v27
	v_ashrrev_i32_e32 v24, 31, v24
	v_xor_b32_e32 v23, s16, v23
	v_cmp_gt_i32_e64 s16, 0, v27
	v_and_b32_e32 v21, v21, v22
	v_not_b32_e32 v22, v121
	v_ashrrev_i32_e32 v26, 31, v26
	v_xor_b32_e32 v24, vcc_lo, v24
	v_cmp_gt_i32_e32 vcc_lo, 0, v121
	v_and_b32_e32 v21, v21, v23
	v_not_b32_e32 v23, v25
	v_ashrrev_i32_e32 v22, 31, v22
	v_xor_b32_e32 v26, s16, v26
	v_mul_u32_u24_e32 v20, 9, v20
	v_and_b32_e32 v21, v21, v24
	v_cmp_gt_i32_e64 s16, 0, v25
	v_ashrrev_i32_e32 v23, 31, v23
	v_xor_b32_e32 v22, vcc_lo, v22
	v_add_lshl_u32 v24, v20, v82, 2
	v_and_b32_e32 v21, v21, v26
	s_delay_alu instid0(VALU_DEP_4) | instskip(SKIP_3) | instid1(VALU_DEP_2)
	v_xor_b32_e32 v20, s16, v23
	ds_load_b32 v121, v24 offset:1056
	v_and_b32_e32 v21, v21, v22
	v_add_nc_u32_e32 v123, 0x420, v24
	; wave barrier
	v_and_b32_e32 v20, v21, v20
	s_delay_alu instid0(VALU_DEP_1) | instskip(SKIP_1) | instid1(VALU_DEP_2)
	v_mbcnt_lo_u32_b32 v122, v20, 0
	v_cmp_ne_u32_e64 s16, 0, v20
	v_cmp_eq_u32_e32 vcc_lo, 0, v122
	s_delay_alu instid0(VALU_DEP_2) | instskip(NEXT) | instid1(SALU_CYCLE_1)
	s_and_b32 s17, s16, vcc_lo
	s_and_saveexec_b32 s16, s17
	s_cbranch_execz .LBB194_602
; %bb.601:                              ;   in Loop: Header=BB194_566 Depth=2
	s_waitcnt lgkmcnt(0)
	v_bcnt_u32_b32 v20, v20, v121
	ds_store_b32 v123, v20
.LBB194_602:                            ;   in Loop: Header=BB194_566 Depth=2
	s_or_b32 exec_lo, exec_lo, s16
	; wave barrier
	s_waitcnt lgkmcnt(0)
	s_barrier
	buffer_gl0_inv
	ds_load_b32 v124, v46 offset:1056
	ds_load_2addr_b32 v[26:27], v47 offset0:1 offset1:2
	ds_load_2addr_b32 v[24:25], v47 offset0:3 offset1:4
	;; [unrolled: 1-line block ×4, first 2 shown]
	s_waitcnt lgkmcnt(3)
	v_add3_u32 v125, v26, v124, v27
	s_waitcnt lgkmcnt(2)
	s_delay_alu instid0(VALU_DEP_1) | instskip(SKIP_1) | instid1(VALU_DEP_1)
	v_add3_u32 v125, v125, v24, v25
	s_waitcnt lgkmcnt(1)
	v_add3_u32 v125, v125, v20, v21
	s_waitcnt lgkmcnt(0)
	s_delay_alu instid0(VALU_DEP_1) | instskip(NEXT) | instid1(VALU_DEP_1)
	v_add3_u32 v23, v125, v22, v23
	v_mov_b32_dpp v125, v23 row_shr:1 row_mask:0xf bank_mask:0xf
	s_delay_alu instid0(VALU_DEP_1) | instskip(NEXT) | instid1(VALU_DEP_1)
	v_cndmask_b32_e64 v125, v125, 0, s0
	v_add_nc_u32_e32 v23, v125, v23
	s_delay_alu instid0(VALU_DEP_1) | instskip(NEXT) | instid1(VALU_DEP_1)
	v_mov_b32_dpp v125, v23 row_shr:2 row_mask:0xf bank_mask:0xf
	v_cndmask_b32_e64 v125, 0, v125, s1
	s_delay_alu instid0(VALU_DEP_1) | instskip(NEXT) | instid1(VALU_DEP_1)
	v_add_nc_u32_e32 v23, v23, v125
	v_mov_b32_dpp v125, v23 row_shr:4 row_mask:0xf bank_mask:0xf
	s_delay_alu instid0(VALU_DEP_1) | instskip(NEXT) | instid1(VALU_DEP_1)
	v_cndmask_b32_e64 v125, 0, v125, s8
	v_add_nc_u32_e32 v23, v23, v125
	s_delay_alu instid0(VALU_DEP_1) | instskip(NEXT) | instid1(VALU_DEP_1)
	v_mov_b32_dpp v125, v23 row_shr:8 row_mask:0xf bank_mask:0xf
	v_cndmask_b32_e64 v125, 0, v125, s9
	s_delay_alu instid0(VALU_DEP_1) | instskip(SKIP_3) | instid1(VALU_DEP_1)
	v_add_nc_u32_e32 v23, v23, v125
	ds_swizzle_b32 v125, v23 offset:swizzle(BROADCAST,32,15)
	s_waitcnt lgkmcnt(0)
	v_cndmask_b32_e64 v125, v125, 0, s10
	v_add_nc_u32_e32 v23, v23, v125
	s_and_saveexec_b32 s16, s3
	s_cbranch_execz .LBB194_604
; %bb.603:                              ;   in Loop: Header=BB194_566 Depth=2
	ds_store_b32 v38, v23 offset:1024
.LBB194_604:                            ;   in Loop: Header=BB194_566 Depth=2
	s_or_b32 exec_lo, exec_lo, s16
	s_waitcnt lgkmcnt(0)
	s_barrier
	buffer_gl0_inv
	s_and_saveexec_b32 s16, s4
	s_cbranch_execz .LBB194_606
; %bb.605:                              ;   in Loop: Header=BB194_566 Depth=2
	v_add_nc_u32_e32 v125, v46, v48
	ds_load_b32 v126, v125 offset:1024
	s_waitcnt lgkmcnt(0)
	v_mov_b32_dpp v127, v126 row_shr:1 row_mask:0xf bank_mask:0xf
	s_delay_alu instid0(VALU_DEP_1) | instskip(NEXT) | instid1(VALU_DEP_1)
	v_cndmask_b32_e64 v127, v127, 0, s12
	v_add_nc_u32_e32 v126, v127, v126
	s_delay_alu instid0(VALU_DEP_1) | instskip(NEXT) | instid1(VALU_DEP_1)
	v_mov_b32_dpp v127, v126 row_shr:2 row_mask:0xf bank_mask:0xf
	v_cndmask_b32_e64 v127, 0, v127, s13
	s_delay_alu instid0(VALU_DEP_1) | instskip(NEXT) | instid1(VALU_DEP_1)
	v_add_nc_u32_e32 v126, v126, v127
	v_mov_b32_dpp v127, v126 row_shr:4 row_mask:0xf bank_mask:0xf
	s_delay_alu instid0(VALU_DEP_1) | instskip(NEXT) | instid1(VALU_DEP_1)
	v_cndmask_b32_e64 v127, 0, v127, s14
	v_add_nc_u32_e32 v126, v126, v127
	ds_store_b32 v125, v126 offset:1024
.LBB194_606:                            ;   in Loop: Header=BB194_566 Depth=2
	s_or_b32 exec_lo, exec_lo, s16
	v_mov_b32_e32 v125, 0
	s_waitcnt lgkmcnt(0)
	s_barrier
	buffer_gl0_inv
	s_and_saveexec_b32 s16, s5
	s_cbranch_execz .LBB194_608
; %bb.607:                              ;   in Loop: Header=BB194_566 Depth=2
	ds_load_b32 v125, v38 offset:1020
.LBB194_608:                            ;   in Loop: Header=BB194_566 Depth=2
	s_or_b32 exec_lo, exec_lo, s16
	s_waitcnt lgkmcnt(0)
	v_add_nc_u32_e32 v23, v125, v23
	ds_bpermute_b32 v23, v69, v23
	s_waitcnt lgkmcnt(0)
	v_cndmask_b32_e64 v23, v23, v125, s11
	s_delay_alu instid0(VALU_DEP_1) | instskip(NEXT) | instid1(VALU_DEP_1)
	v_cndmask_b32_e64 v23, v23, 0, s6
	v_add_nc_u32_e32 v124, v23, v124
	s_delay_alu instid0(VALU_DEP_1) | instskip(NEXT) | instid1(VALU_DEP_1)
	v_add_nc_u32_e32 v26, v124, v26
	v_add_nc_u32_e32 v27, v26, v27
	s_delay_alu instid0(VALU_DEP_1) | instskip(NEXT) | instid1(VALU_DEP_1)
	v_add_nc_u32_e32 v24, v27, v24
	;; [unrolled: 3-line block ×3, first 2 shown]
	v_add_nc_u32_e32 v21, v20, v21
	s_delay_alu instid0(VALU_DEP_1)
	v_add_nc_u32_e32 v22, v21, v22
	ds_store_b32 v46, v23 offset:1056
	ds_store_2addr_b32 v47, v124, v26 offset0:1 offset1:2
	ds_store_2addr_b32 v47, v27, v24 offset0:3 offset1:4
	;; [unrolled: 1-line block ×4, first 2 shown]
	v_mov_b32_e32 v22, 0x800
	s_waitcnt lgkmcnt(0)
	s_barrier
	buffer_gl0_inv
	ds_load_b32 v20, v105
	ds_load_b32 v21, v108
	;; [unrolled: 1-line block ×8, first 2 shown]
	ds_load_b32 v27, v46 offset:1056
	s_and_saveexec_b32 s16, s7
	s_cbranch_execz .LBB194_610
; %bb.609:                              ;   in Loop: Header=BB194_566 Depth=2
	ds_load_b32 v22, v49 offset:1056
.LBB194_610:                            ;   in Loop: Header=BB194_566 Depth=2
	s_or_b32 exec_lo, exec_lo, s16
	s_waitcnt lgkmcnt(0)
	s_barrier
	buffer_gl0_inv
	s_and_saveexec_b32 s16, s2
	s_cbranch_execz .LBB194_612
; %bb.611:                              ;   in Loop: Header=BB194_566 Depth=2
	ds_load_b32 v102, v28
	s_waitcnt lgkmcnt(0)
	v_sub_nc_u32_e32 v27, v102, v27
	ds_store_b32 v28, v27
.LBB194_612:                            ;   in Loop: Header=BB194_566 Depth=2
	s_or_b32 exec_lo, exec_lo, s16
	v_add_nc_u32_e32 v105, v26, v101
	v_add3_u32 v102, v104, v103, v20
	v_add3_u32 v101, v107, v106, v21
	;; [unrolled: 1-line block ×7, first 2 shown]
	v_cmp_lt_u32_e64 s22, v1, v2
	ds_store_b8 v105, v93 offset:1024
	ds_store_b8 v102, v94 offset:1024
	;; [unrolled: 1-line block ×8, first 2 shown]
	s_waitcnt lgkmcnt(0)
	s_barrier
	buffer_gl0_inv
	s_and_saveexec_b32 s16, s22
	s_cbranch_execz .LBB194_620
; %bb.613:                              ;   in Loop: Header=BB194_566 Depth=2
	ds_load_u8 v20, v1 offset:1024
	s_waitcnt lgkmcnt(0)
	v_and_b32_e32 v21, 0xff, v20
	s_delay_alu instid0(VALU_DEP_1) | instskip(NEXT) | instid1(VALU_DEP_1)
	v_lshrrev_b32_e32 v21, s49, v21
	v_and_b32_e32 v21, s31, v21
	s_delay_alu instid0(VALU_DEP_1)
	v_lshlrev_b32_e32 v21, 2, v21
	ds_load_b32 v21, v21
	s_waitcnt lgkmcnt(0)
	v_add_nc_u32_e32 v21, v21, v1
	global_store_b8 v21, v20, s[40:41]
	s_or_b32 exec_lo, exec_lo, s16
	v_cmp_lt_u32_e64 s21, v29, v2
	s_delay_alu instid0(VALU_DEP_1)
	s_and_saveexec_b32 s16, s21
	s_cbranch_execnz .LBB194_621
.LBB194_614:                            ;   in Loop: Header=BB194_566 Depth=2
	s_or_b32 exec_lo, exec_lo, s16
	v_cmp_lt_u32_e64 s20, v30, v2
	s_delay_alu instid0(VALU_DEP_1)
	s_and_saveexec_b32 s16, s20
	s_cbranch_execz .LBB194_622
.LBB194_615:                            ;   in Loop: Header=BB194_566 Depth=2
	ds_load_u8 v20, v35 offset:512
	s_waitcnt lgkmcnt(0)
	v_and_b32_e32 v21, 0xff, v20
	s_delay_alu instid0(VALU_DEP_1) | instskip(NEXT) | instid1(VALU_DEP_1)
	v_lshrrev_b32_e32 v21, s49, v21
	v_and_b32_e32 v21, s31, v21
	s_delay_alu instid0(VALU_DEP_1)
	v_lshlrev_b32_e32 v21, 2, v21
	ds_load_b32 v21, v21
	s_waitcnt lgkmcnt(0)
	v_add_nc_u32_e32 v21, v21, v30
	global_store_b8 v21, v20, s[40:41]
	s_or_b32 exec_lo, exec_lo, s16
	v_cmp_lt_u32_e64 s19, v31, v2
	s_delay_alu instid0(VALU_DEP_1)
	s_and_saveexec_b32 s16, s19
	s_cbranch_execnz .LBB194_623
.LBB194_616:                            ;   in Loop: Header=BB194_566 Depth=2
	s_or_b32 exec_lo, exec_lo, s16
	v_cmp_lt_u32_e64 s18, v35, v2
	s_delay_alu instid0(VALU_DEP_1)
	s_and_saveexec_b32 s16, s18
	s_cbranch_execz .LBB194_624
.LBB194_617:                            ;   in Loop: Header=BB194_566 Depth=2
	ds_load_u8 v20, v35 offset:1024
	s_waitcnt lgkmcnt(0)
	v_and_b32_e32 v21, 0xff, v20
	s_delay_alu instid0(VALU_DEP_1) | instskip(NEXT) | instid1(VALU_DEP_1)
	v_lshrrev_b32_e32 v21, s49, v21
	v_and_b32_e32 v21, s31, v21
	s_delay_alu instid0(VALU_DEP_1)
	v_lshlrev_b32_e32 v21, 2, v21
	ds_load_b32 v21, v21
	s_waitcnt lgkmcnt(0)
	v_add_nc_u32_e32 v21, v21, v35
	global_store_b8 v21, v20, s[40:41]
	s_or_b32 exec_lo, exec_lo, s16
	v_cmp_lt_u32_e64 s17, v36, v2
	s_delay_alu instid0(VALU_DEP_1)
	s_and_saveexec_b32 s16, s17
	s_cbranch_execnz .LBB194_625
.LBB194_618:                            ;   in Loop: Header=BB194_566 Depth=2
	s_or_b32 exec_lo, exec_lo, s16
	v_cmp_lt_u32_e64 s16, v37, v2
	s_delay_alu instid0(VALU_DEP_1)
	s_and_saveexec_b32 s23, s16
	s_cbranch_execz .LBB194_626
.LBB194_619:                            ;   in Loop: Header=BB194_566 Depth=2
	ds_load_u8 v20, v35 offset:1536
	s_waitcnt lgkmcnt(0)
	v_and_b32_e32 v21, 0xff, v20
	s_delay_alu instid0(VALU_DEP_1) | instskip(NEXT) | instid1(VALU_DEP_1)
	v_lshrrev_b32_e32 v21, s49, v21
	v_and_b32_e32 v21, s31, v21
	s_delay_alu instid0(VALU_DEP_1)
	v_lshlrev_b32_e32 v21, 2, v21
	ds_load_b32 v21, v21
	s_waitcnt lgkmcnt(0)
	v_add_nc_u32_e32 v21, v21, v37
	global_store_b8 v21, v20, s[40:41]
	s_or_b32 exec_lo, exec_lo, s23
	v_cmp_lt_u32_e32 vcc_lo, v39, v2
	s_and_saveexec_b32 s23, vcc_lo
	s_cbranch_execnz .LBB194_627
	s_branch .LBB194_628
.LBB194_620:                            ;   in Loop: Header=BB194_566 Depth=2
	s_or_b32 exec_lo, exec_lo, s16
	v_cmp_lt_u32_e64 s21, v29, v2
	s_delay_alu instid0(VALU_DEP_1)
	s_and_saveexec_b32 s16, s21
	s_cbranch_execz .LBB194_614
.LBB194_621:                            ;   in Loop: Header=BB194_566 Depth=2
	ds_load_u8 v20, v35 offset:256
	s_waitcnt lgkmcnt(0)
	v_and_b32_e32 v21, 0xff, v20
	s_delay_alu instid0(VALU_DEP_1) | instskip(NEXT) | instid1(VALU_DEP_1)
	v_lshrrev_b32_e32 v21, s49, v21
	v_and_b32_e32 v21, s31, v21
	s_delay_alu instid0(VALU_DEP_1)
	v_lshlrev_b32_e32 v21, 2, v21
	ds_load_b32 v21, v21
	s_waitcnt lgkmcnt(0)
	v_add_nc_u32_e32 v21, v21, v29
	global_store_b8 v21, v20, s[40:41]
	s_or_b32 exec_lo, exec_lo, s16
	v_cmp_lt_u32_e64 s20, v30, v2
	s_delay_alu instid0(VALU_DEP_1)
	s_and_saveexec_b32 s16, s20
	s_cbranch_execnz .LBB194_615
.LBB194_622:                            ;   in Loop: Header=BB194_566 Depth=2
	s_or_b32 exec_lo, exec_lo, s16
	v_cmp_lt_u32_e64 s19, v31, v2
	s_delay_alu instid0(VALU_DEP_1)
	s_and_saveexec_b32 s16, s19
	s_cbranch_execz .LBB194_616
.LBB194_623:                            ;   in Loop: Header=BB194_566 Depth=2
	ds_load_u8 v20, v35 offset:768
	s_waitcnt lgkmcnt(0)
	v_and_b32_e32 v21, 0xff, v20
	s_delay_alu instid0(VALU_DEP_1) | instskip(NEXT) | instid1(VALU_DEP_1)
	v_lshrrev_b32_e32 v21, s49, v21
	v_and_b32_e32 v21, s31, v21
	s_delay_alu instid0(VALU_DEP_1)
	v_lshlrev_b32_e32 v21, 2, v21
	ds_load_b32 v21, v21
	s_waitcnt lgkmcnt(0)
	v_add_nc_u32_e32 v21, v21, v31
	global_store_b8 v21, v20, s[40:41]
	s_or_b32 exec_lo, exec_lo, s16
	v_cmp_lt_u32_e64 s18, v35, v2
	s_delay_alu instid0(VALU_DEP_1)
	s_and_saveexec_b32 s16, s18
	s_cbranch_execnz .LBB194_617
.LBB194_624:                            ;   in Loop: Header=BB194_566 Depth=2
	s_or_b32 exec_lo, exec_lo, s16
	v_cmp_lt_u32_e64 s17, v36, v2
	s_delay_alu instid0(VALU_DEP_1)
	s_and_saveexec_b32 s16, s17
	s_cbranch_execz .LBB194_618
.LBB194_625:                            ;   in Loop: Header=BB194_566 Depth=2
	ds_load_u8 v20, v35 offset:1280
	s_waitcnt lgkmcnt(0)
	v_and_b32_e32 v21, 0xff, v20
	s_delay_alu instid0(VALU_DEP_1) | instskip(NEXT) | instid1(VALU_DEP_1)
	v_lshrrev_b32_e32 v21, s49, v21
	v_and_b32_e32 v21, s31, v21
	s_delay_alu instid0(VALU_DEP_1)
	v_lshlrev_b32_e32 v21, 2, v21
	ds_load_b32 v21, v21
	s_waitcnt lgkmcnt(0)
	v_add_nc_u32_e32 v21, v21, v36
	global_store_b8 v21, v20, s[40:41]
	s_or_b32 exec_lo, exec_lo, s16
	v_cmp_lt_u32_e64 s16, v37, v2
	s_delay_alu instid0(VALU_DEP_1)
	s_and_saveexec_b32 s23, s16
	s_cbranch_execnz .LBB194_619
.LBB194_626:                            ;   in Loop: Header=BB194_566 Depth=2
	s_or_b32 exec_lo, exec_lo, s23
	v_cmp_lt_u32_e32 vcc_lo, v39, v2
	s_and_saveexec_b32 s23, vcc_lo
	s_cbranch_execz .LBB194_628
.LBB194_627:                            ;   in Loop: Header=BB194_566 Depth=2
	ds_load_u8 v20, v35 offset:1792
	s_waitcnt lgkmcnt(0)
	v_and_b32_e32 v21, 0xff, v20
	s_delay_alu instid0(VALU_DEP_1) | instskip(NEXT) | instid1(VALU_DEP_1)
	v_lshrrev_b32_e32 v21, s49, v21
	v_and_b32_e32 v21, s31, v21
	s_delay_alu instid0(VALU_DEP_1)
	v_lshlrev_b32_e32 v21, 2, v21
	ds_load_b32 v21, v21
	s_waitcnt lgkmcnt(0)
	v_add_nc_u32_e32 v21, v21, v39
	global_store_b8 v21, v20, s[40:41]
.LBB194_628:                            ;   in Loop: Header=BB194_566 Depth=2
	s_or_b32 exec_lo, exec_lo, s23
	s_lshl_b64 s[52:53], s[24:25], 3
	s_delay_alu instid0(SALU_CYCLE_1) | instskip(NEXT) | instid1(VALU_DEP_1)
	v_add_co_u32 v20, s23, v73, s52
	v_add_co_ci_u32_e64 v21, s23, s53, v74, s23
	v_cmp_lt_u32_e64 s23, v70, v2
	s_delay_alu instid0(VALU_DEP_1) | instskip(NEXT) | instid1(SALU_CYCLE_1)
	s_and_saveexec_b32 s24, s23
	s_xor_b32 s23, exec_lo, s24
	s_cbranch_execz .LBB194_644
; %bb.629:                              ;   in Loop: Header=BB194_566 Depth=2
	global_load_b64 v[18:19], v[20:21], off
	s_or_b32 exec_lo, exec_lo, s23
	s_delay_alu instid0(SALU_CYCLE_1)
	s_mov_b32 s24, exec_lo
	v_cmpx_lt_u32_e64 v75, v2
	s_cbranch_execnz .LBB194_645
.LBB194_630:                            ;   in Loop: Header=BB194_566 Depth=2
	s_or_b32 exec_lo, exec_lo, s24
	s_delay_alu instid0(SALU_CYCLE_1)
	s_mov_b32 s24, exec_lo
	v_cmpx_lt_u32_e64 v76, v2
	s_cbranch_execz .LBB194_646
.LBB194_631:                            ;   in Loop: Header=BB194_566 Depth=2
	global_load_b64 v[14:15], v[20:21], off offset:512
	s_or_b32 exec_lo, exec_lo, s24
	s_delay_alu instid0(SALU_CYCLE_1)
	s_mov_b32 s24, exec_lo
	v_cmpx_lt_u32_e64 v77, v2
	s_cbranch_execnz .LBB194_647
.LBB194_632:                            ;   in Loop: Header=BB194_566 Depth=2
	s_or_b32 exec_lo, exec_lo, s24
	s_delay_alu instid0(SALU_CYCLE_1)
	s_mov_b32 s24, exec_lo
	v_cmpx_lt_u32_e64 v78, v2
	s_cbranch_execz .LBB194_648
.LBB194_633:                            ;   in Loop: Header=BB194_566 Depth=2
	global_load_b64 v[10:11], v[20:21], off offset:1024
	s_or_b32 exec_lo, exec_lo, s24
	s_delay_alu instid0(SALU_CYCLE_1)
	s_mov_b32 s24, exec_lo
	v_cmpx_lt_u32_e64 v79, v2
	s_cbranch_execnz .LBB194_649
.LBB194_634:                            ;   in Loop: Header=BB194_566 Depth=2
	s_or_b32 exec_lo, exec_lo, s24
	s_delay_alu instid0(SALU_CYCLE_1)
	s_mov_b32 s24, exec_lo
	v_cmpx_lt_u32_e64 v80, v2
	s_cbranch_execz .LBB194_650
.LBB194_635:                            ;   in Loop: Header=BB194_566 Depth=2
	global_load_b64 v[6:7], v[20:21], off offset:1536
	s_or_b32 exec_lo, exec_lo, s24
	s_delay_alu instid0(SALU_CYCLE_1)
	s_mov_b32 s24, exec_lo
	v_cmpx_lt_u32_e64 v81, v2
	s_cbranch_execnz .LBB194_651
.LBB194_636:                            ;   in Loop: Header=BB194_566 Depth=2
	s_or_b32 exec_lo, exec_lo, s24
	s_and_saveexec_b32 s23, s22
	s_cbranch_execz .LBB194_652
.LBB194_637:                            ;   in Loop: Header=BB194_566 Depth=2
	ds_load_u8 v2, v1 offset:1024
	s_waitcnt lgkmcnt(0)
	v_lshrrev_b32_e32 v2, s49, v2
	s_delay_alu instid0(VALU_DEP_1)
	v_and_b32_e32 v92, s31, v2
	s_or_b32 exec_lo, exec_lo, s23
	s_and_saveexec_b32 s23, s21
	s_cbranch_execnz .LBB194_653
.LBB194_638:                            ;   in Loop: Header=BB194_566 Depth=2
	s_or_b32 exec_lo, exec_lo, s23
	s_and_saveexec_b32 s23, s20
	s_cbranch_execz .LBB194_654
.LBB194_639:                            ;   in Loop: Header=BB194_566 Depth=2
	ds_load_u8 v2, v35 offset:512
	s_waitcnt lgkmcnt(0)
	v_lshrrev_b32_e32 v2, s49, v2
	s_delay_alu instid0(VALU_DEP_1)
	v_and_b32_e32 v90, s31, v2
	s_or_b32 exec_lo, exec_lo, s23
	s_and_saveexec_b32 s23, s19
	s_cbranch_execnz .LBB194_655
.LBB194_640:                            ;   in Loop: Header=BB194_566 Depth=2
	s_or_b32 exec_lo, exec_lo, s23
	s_and_saveexec_b32 s23, s18
	s_cbranch_execz .LBB194_656
.LBB194_641:                            ;   in Loop: Header=BB194_566 Depth=2
	ds_load_u8 v2, v35 offset:1024
	s_waitcnt lgkmcnt(0)
	v_lshrrev_b32_e32 v2, s49, v2
	s_delay_alu instid0(VALU_DEP_1)
	v_and_b32_e32 v88, s31, v2
	s_or_b32 exec_lo, exec_lo, s23
	s_and_saveexec_b32 s23, s17
	s_cbranch_execnz .LBB194_657
.LBB194_642:                            ;   in Loop: Header=BB194_566 Depth=2
	s_or_b32 exec_lo, exec_lo, s23
	s_and_saveexec_b32 s23, s16
	s_cbranch_execz .LBB194_658
.LBB194_643:                            ;   in Loop: Header=BB194_566 Depth=2
	ds_load_u8 v2, v35 offset:1536
	s_waitcnt lgkmcnt(0)
	v_lshrrev_b32_e32 v2, s49, v2
	s_delay_alu instid0(VALU_DEP_1)
	v_and_b32_e32 v86, s31, v2
	s_or_b32 exec_lo, exec_lo, s23
	s_and_saveexec_b32 s23, vcc_lo
	s_cbranch_execnz .LBB194_659
	s_branch .LBB194_660
.LBB194_644:                            ;   in Loop: Header=BB194_566 Depth=2
	s_or_b32 exec_lo, exec_lo, s23
	s_delay_alu instid0(SALU_CYCLE_1)
	s_mov_b32 s24, exec_lo
	v_cmpx_lt_u32_e64 v75, v2
	s_cbranch_execz .LBB194_630
.LBB194_645:                            ;   in Loop: Header=BB194_566 Depth=2
	global_load_b64 v[16:17], v[20:21], off offset:256
	s_or_b32 exec_lo, exec_lo, s24
	s_delay_alu instid0(SALU_CYCLE_1)
	s_mov_b32 s24, exec_lo
	v_cmpx_lt_u32_e64 v76, v2
	s_cbranch_execnz .LBB194_631
.LBB194_646:                            ;   in Loop: Header=BB194_566 Depth=2
	s_or_b32 exec_lo, exec_lo, s24
	s_delay_alu instid0(SALU_CYCLE_1)
	s_mov_b32 s24, exec_lo
	v_cmpx_lt_u32_e64 v77, v2
	s_cbranch_execz .LBB194_632
.LBB194_647:                            ;   in Loop: Header=BB194_566 Depth=2
	global_load_b64 v[12:13], v[20:21], off offset:768
	s_or_b32 exec_lo, exec_lo, s24
	s_delay_alu instid0(SALU_CYCLE_1)
	s_mov_b32 s24, exec_lo
	v_cmpx_lt_u32_e64 v78, v2
	s_cbranch_execnz .LBB194_633
.LBB194_648:                            ;   in Loop: Header=BB194_566 Depth=2
	s_or_b32 exec_lo, exec_lo, s24
	s_delay_alu instid0(SALU_CYCLE_1)
	s_mov_b32 s24, exec_lo
	v_cmpx_lt_u32_e64 v79, v2
	s_cbranch_execz .LBB194_634
.LBB194_649:                            ;   in Loop: Header=BB194_566 Depth=2
	global_load_b64 v[8:9], v[20:21], off offset:1280
	s_or_b32 exec_lo, exec_lo, s24
	s_delay_alu instid0(SALU_CYCLE_1)
	s_mov_b32 s24, exec_lo
	v_cmpx_lt_u32_e64 v80, v2
	s_cbranch_execnz .LBB194_635
.LBB194_650:                            ;   in Loop: Header=BB194_566 Depth=2
	s_or_b32 exec_lo, exec_lo, s24
	s_delay_alu instid0(SALU_CYCLE_1)
	s_mov_b32 s24, exec_lo
	v_cmpx_lt_u32_e64 v81, v2
	s_cbranch_execz .LBB194_636
.LBB194_651:                            ;   in Loop: Header=BB194_566 Depth=2
	global_load_b64 v[4:5], v[20:21], off offset:1792
	s_or_b32 exec_lo, exec_lo, s24
	s_and_saveexec_b32 s23, s22
	s_cbranch_execnz .LBB194_637
.LBB194_652:                            ;   in Loop: Header=BB194_566 Depth=2
	s_or_b32 exec_lo, exec_lo, s23
	s_and_saveexec_b32 s23, s21
	s_cbranch_execz .LBB194_638
.LBB194_653:                            ;   in Loop: Header=BB194_566 Depth=2
	ds_load_u8 v2, v35 offset:256
	s_waitcnt lgkmcnt(0)
	v_lshrrev_b32_e32 v2, s49, v2
	s_delay_alu instid0(VALU_DEP_1)
	v_and_b32_e32 v91, s31, v2
	s_or_b32 exec_lo, exec_lo, s23
	s_and_saveexec_b32 s23, s20
	s_cbranch_execnz .LBB194_639
.LBB194_654:                            ;   in Loop: Header=BB194_566 Depth=2
	s_or_b32 exec_lo, exec_lo, s23
	s_and_saveexec_b32 s23, s19
	s_cbranch_execz .LBB194_640
.LBB194_655:                            ;   in Loop: Header=BB194_566 Depth=2
	ds_load_u8 v2, v35 offset:768
	s_waitcnt lgkmcnt(0)
	v_lshrrev_b32_e32 v2, s49, v2
	s_delay_alu instid0(VALU_DEP_1)
	v_and_b32_e32 v89, s31, v2
	s_or_b32 exec_lo, exec_lo, s23
	s_and_saveexec_b32 s23, s18
	s_cbranch_execnz .LBB194_641
.LBB194_656:                            ;   in Loop: Header=BB194_566 Depth=2
	s_or_b32 exec_lo, exec_lo, s23
	s_and_saveexec_b32 s23, s17
	s_cbranch_execz .LBB194_642
.LBB194_657:                            ;   in Loop: Header=BB194_566 Depth=2
	ds_load_u8 v2, v35 offset:1280
	s_waitcnt lgkmcnt(0)
	v_lshrrev_b32_e32 v2, s49, v2
	s_delay_alu instid0(VALU_DEP_1)
	v_and_b32_e32 v87, s31, v2
	s_or_b32 exec_lo, exec_lo, s23
	s_and_saveexec_b32 s23, s16
	s_cbranch_execnz .LBB194_643
.LBB194_658:                            ;   in Loop: Header=BB194_566 Depth=2
	s_or_b32 exec_lo, exec_lo, s23
	s_and_saveexec_b32 s23, vcc_lo
	s_cbranch_execz .LBB194_660
.LBB194_659:                            ;   in Loop: Header=BB194_566 Depth=2
	ds_load_u8 v2, v35 offset:1792
	s_waitcnt lgkmcnt(0)
	v_lshrrev_b32_e32 v2, s49, v2
	s_delay_alu instid0(VALU_DEP_1)
	v_and_b32_e32 v85, s31, v2
.LBB194_660:                            ;   in Loop: Header=BB194_566 Depth=2
	s_or_b32 exec_lo, exec_lo, s23
	v_lshlrev_b32_e32 v2, 3, v105
	v_lshlrev_b32_e32 v20, 3, v102
	;; [unrolled: 1-line block ×3, first 2 shown]
	s_waitcnt vmcnt(0)
	s_waitcnt_vscnt null, 0x0
	s_barrier
	buffer_gl0_inv
	ds_store_b64 v2, v[18:19] offset:1024
	ds_store_b64 v20, v[16:17] offset:1024
	;; [unrolled: 1-line block ×3, first 2 shown]
	v_lshlrev_b32_e32 v2, 3, v27
	v_lshlrev_b32_e32 v20, 3, v26
	;; [unrolled: 1-line block ×5, first 2 shown]
	ds_store_b64 v2, v[12:13] offset:1024
	ds_store_b64 v20, v[10:11] offset:1024
	;; [unrolled: 1-line block ×5, first 2 shown]
	s_waitcnt lgkmcnt(0)
	s_barrier
	buffer_gl0_inv
	s_and_saveexec_b32 s23, s22
	s_cbranch_execz .LBB194_668
; %bb.661:                              ;   in Loop: Header=BB194_566 Depth=2
	v_lshlrev_b32_e32 v2, 2, v92
	v_add_nc_u32_e32 v20, v1, v52
	ds_load_b32 v2, v2
	ds_load_b64 v[20:21], v20 offset:1024
	s_waitcnt lgkmcnt(1)
	v_add_nc_u32_e32 v2, v2, v1
	s_delay_alu instid0(VALU_DEP_1) | instskip(NEXT) | instid1(VALU_DEP_1)
	v_lshlrev_b64 v[23:24], 3, v[2:3]
	v_add_co_u32 v23, s22, s46, v23
	s_delay_alu instid0(VALU_DEP_1)
	v_add_co_ci_u32_e64 v24, s22, s47, v24, s22
	s_waitcnt lgkmcnt(0)
	global_store_b64 v[23:24], v[20:21], off
	s_or_b32 exec_lo, exec_lo, s23
	v_add_nc_u32_e32 v20, v35, v52
	s_and_saveexec_b32 s22, s21
	s_cbranch_execnz .LBB194_669
.LBB194_662:                            ;   in Loop: Header=BB194_566 Depth=2
	s_or_b32 exec_lo, exec_lo, s22
	s_and_saveexec_b32 s21, s20
	s_cbranch_execz .LBB194_670
.LBB194_663:                            ;   in Loop: Header=BB194_566 Depth=2
	v_lshlrev_b32_e32 v2, 2, v90
	ds_load_b32 v2, v2
	ds_load_b64 v[23:24], v20 offset:4096
	s_waitcnt lgkmcnt(1)
	v_add_nc_u32_e32 v2, v2, v30
	s_delay_alu instid0(VALU_DEP_1) | instskip(NEXT) | instid1(VALU_DEP_1)
	v_lshlrev_b64 v[25:26], 3, v[2:3]
	v_add_co_u32 v25, s20, s46, v25
	s_delay_alu instid0(VALU_DEP_1)
	v_add_co_ci_u32_e64 v26, s20, s47, v26, s20
	s_waitcnt lgkmcnt(0)
	global_store_b64 v[25:26], v[23:24], off
	s_or_b32 exec_lo, exec_lo, s21
	s_and_saveexec_b32 s20, s19
	s_cbranch_execnz .LBB194_671
.LBB194_664:                            ;   in Loop: Header=BB194_566 Depth=2
	s_or_b32 exec_lo, exec_lo, s20
	s_and_saveexec_b32 s19, s18
	s_cbranch_execz .LBB194_672
.LBB194_665:                            ;   in Loop: Header=BB194_566 Depth=2
	v_lshlrev_b32_e32 v2, 2, v88
	ds_load_b32 v2, v2
	ds_load_b64 v[23:24], v20 offset:8192
	s_waitcnt lgkmcnt(1)
	v_add_nc_u32_e32 v2, v2, v35
	s_delay_alu instid0(VALU_DEP_1) | instskip(NEXT) | instid1(VALU_DEP_1)
	v_lshlrev_b64 v[25:26], 3, v[2:3]
	v_add_co_u32 v25, s18, s46, v25
	s_delay_alu instid0(VALU_DEP_1)
	v_add_co_ci_u32_e64 v26, s18, s47, v26, s18
	s_waitcnt lgkmcnt(0)
	global_store_b64 v[25:26], v[23:24], off
	s_or_b32 exec_lo, exec_lo, s19
	s_and_saveexec_b32 s18, s17
	s_cbranch_execnz .LBB194_673
.LBB194_666:                            ;   in Loop: Header=BB194_566 Depth=2
	s_or_b32 exec_lo, exec_lo, s18
	s_and_saveexec_b32 s17, s16
	s_cbranch_execz .LBB194_674
.LBB194_667:                            ;   in Loop: Header=BB194_566 Depth=2
	v_lshlrev_b32_e32 v2, 2, v86
	ds_load_b32 v2, v2
	ds_load_b64 v[23:24], v20 offset:12288
	s_waitcnt lgkmcnt(1)
	v_add_nc_u32_e32 v2, v2, v37
	s_delay_alu instid0(VALU_DEP_1) | instskip(NEXT) | instid1(VALU_DEP_1)
	v_lshlrev_b64 v[25:26], 3, v[2:3]
	v_add_co_u32 v25, s16, s46, v25
	s_delay_alu instid0(VALU_DEP_1)
	v_add_co_ci_u32_e64 v26, s16, s47, v26, s16
	s_waitcnt lgkmcnt(0)
	global_store_b64 v[25:26], v[23:24], off
	s_or_b32 exec_lo, exec_lo, s17
	s_and_saveexec_b32 s16, vcc_lo
	s_cbranch_execnz .LBB194_675
	s_branch .LBB194_676
.LBB194_668:                            ;   in Loop: Header=BB194_566 Depth=2
	s_or_b32 exec_lo, exec_lo, s23
	v_add_nc_u32_e32 v20, v35, v52
	s_and_saveexec_b32 s22, s21
	s_cbranch_execz .LBB194_662
.LBB194_669:                            ;   in Loop: Header=BB194_566 Depth=2
	v_lshlrev_b32_e32 v2, 2, v91
	ds_load_b32 v2, v2
	ds_load_b64 v[23:24], v20 offset:2048
	s_waitcnt lgkmcnt(1)
	v_add_nc_u32_e32 v2, v2, v29
	s_delay_alu instid0(VALU_DEP_1) | instskip(NEXT) | instid1(VALU_DEP_1)
	v_lshlrev_b64 v[25:26], 3, v[2:3]
	v_add_co_u32 v25, s21, s46, v25
	s_delay_alu instid0(VALU_DEP_1)
	v_add_co_ci_u32_e64 v26, s21, s47, v26, s21
	s_waitcnt lgkmcnt(0)
	global_store_b64 v[25:26], v[23:24], off
	s_or_b32 exec_lo, exec_lo, s22
	s_and_saveexec_b32 s21, s20
	s_cbranch_execnz .LBB194_663
.LBB194_670:                            ;   in Loop: Header=BB194_566 Depth=2
	s_or_b32 exec_lo, exec_lo, s21
	s_and_saveexec_b32 s20, s19
	s_cbranch_execz .LBB194_664
.LBB194_671:                            ;   in Loop: Header=BB194_566 Depth=2
	v_lshlrev_b32_e32 v2, 2, v89
	ds_load_b32 v2, v2
	ds_load_b64 v[23:24], v20 offset:6144
	s_waitcnt lgkmcnt(1)
	v_add_nc_u32_e32 v2, v2, v31
	s_delay_alu instid0(VALU_DEP_1) | instskip(NEXT) | instid1(VALU_DEP_1)
	v_lshlrev_b64 v[25:26], 3, v[2:3]
	v_add_co_u32 v25, s19, s46, v25
	s_delay_alu instid0(VALU_DEP_1)
	v_add_co_ci_u32_e64 v26, s19, s47, v26, s19
	s_waitcnt lgkmcnt(0)
	global_store_b64 v[25:26], v[23:24], off
	s_or_b32 exec_lo, exec_lo, s20
	s_and_saveexec_b32 s19, s18
	s_cbranch_execnz .LBB194_665
.LBB194_672:                            ;   in Loop: Header=BB194_566 Depth=2
	s_or_b32 exec_lo, exec_lo, s19
	s_and_saveexec_b32 s18, s17
	s_cbranch_execz .LBB194_666
.LBB194_673:                            ;   in Loop: Header=BB194_566 Depth=2
	v_lshlrev_b32_e32 v2, 2, v87
	ds_load_b32 v2, v2
	ds_load_b64 v[23:24], v20 offset:10240
	s_waitcnt lgkmcnt(1)
	v_add_nc_u32_e32 v2, v2, v36
	s_delay_alu instid0(VALU_DEP_1) | instskip(NEXT) | instid1(VALU_DEP_1)
	v_lshlrev_b64 v[25:26], 3, v[2:3]
	v_add_co_u32 v25, s17, s46, v25
	s_delay_alu instid0(VALU_DEP_1)
	v_add_co_ci_u32_e64 v26, s17, s47, v26, s17
	s_waitcnt lgkmcnt(0)
	global_store_b64 v[25:26], v[23:24], off
	s_or_b32 exec_lo, exec_lo, s18
	s_and_saveexec_b32 s17, s16
	s_cbranch_execnz .LBB194_667
.LBB194_674:                            ;   in Loop: Header=BB194_566 Depth=2
	s_or_b32 exec_lo, exec_lo, s17
	s_and_saveexec_b32 s16, vcc_lo
	s_cbranch_execz .LBB194_676
.LBB194_675:                            ;   in Loop: Header=BB194_566 Depth=2
	v_lshlrev_b32_e32 v2, 2, v85
	ds_load_b32 v2, v2
	ds_load_b64 v[20:21], v20 offset:14336
	s_waitcnt lgkmcnt(1)
	v_add_nc_u32_e32 v2, v2, v39
	s_delay_alu instid0(VALU_DEP_1) | instskip(NEXT) | instid1(VALU_DEP_1)
	v_lshlrev_b64 v[23:24], 3, v[2:3]
	v_add_co_u32 v23, vcc_lo, s46, v23
	s_delay_alu instid0(VALU_DEP_2)
	v_add_co_ci_u32_e32 v24, vcc_lo, s47, v24, vcc_lo
	s_waitcnt lgkmcnt(0)
	global_store_b64 v[23:24], v[20:21], off
.LBB194_676:                            ;   in Loop: Header=BB194_566 Depth=2
	s_or_b32 exec_lo, exec_lo, s16
	s_waitcnt_vscnt null, 0x0
	s_barrier
	buffer_gl0_inv
	s_and_saveexec_b32 s16, s2
	s_cbranch_execz .LBB194_565
; %bb.677:                              ;   in Loop: Header=BB194_566 Depth=2
	ds_load_b32 v2, v28
	s_waitcnt lgkmcnt(0)
	v_add_nc_u32_e32 v2, v2, v22
	ds_store_b32 v28, v2
	s_branch .LBB194_565
.LBB194_678:
	s_endpgm
	.section	.rodata,"a",@progbits
	.p2align	6, 0x0
	.amdhsa_kernel _ZN7rocprim17ROCPRIM_400000_NS6detail17trampoline_kernelINS0_14default_configENS1_36segmented_radix_sort_config_selectorIhlEEZNS1_25segmented_radix_sort_implIS3_Lb0EPKhPhPKlPlN2at6native12_GLOBAL__N_18offset_tEEE10hipError_tPvRmT1_PNSt15iterator_traitsISK_E10value_typeET2_T3_PNSL_ISQ_E10value_typeET4_jRbjT5_SW_jjP12ihipStream_tbEUlT_E_NS1_11comp_targetILNS1_3genE9ELNS1_11target_archE1100ELNS1_3gpuE3ELNS1_3repE0EEENS1_30default_config_static_selectorELNS0_4arch9wavefront6targetE0EEEvSK_
		.amdhsa_group_segment_fixed_size 17440
		.amdhsa_private_segment_fixed_size 0
		.amdhsa_kernarg_size 352
		.amdhsa_user_sgpr_count 14
		.amdhsa_user_sgpr_dispatch_ptr 0
		.amdhsa_user_sgpr_queue_ptr 0
		.amdhsa_user_sgpr_kernarg_segment_ptr 1
		.amdhsa_user_sgpr_dispatch_id 0
		.amdhsa_user_sgpr_private_segment_size 0
		.amdhsa_wavefront_size32 1
		.amdhsa_uses_dynamic_stack 0
		.amdhsa_enable_private_segment 0
		.amdhsa_system_sgpr_workgroup_id_x 1
		.amdhsa_system_sgpr_workgroup_id_y 1
		.amdhsa_system_sgpr_workgroup_id_z 0
		.amdhsa_system_sgpr_workgroup_info 0
		.amdhsa_system_vgpr_workitem_id 2
		.amdhsa_next_free_vgpr 193
		.amdhsa_next_free_sgpr 54
		.amdhsa_reserve_vcc 1
		.amdhsa_float_round_mode_32 0
		.amdhsa_float_round_mode_16_64 0
		.amdhsa_float_denorm_mode_32 3
		.amdhsa_float_denorm_mode_16_64 3
		.amdhsa_dx10_clamp 1
		.amdhsa_ieee_mode 1
		.amdhsa_fp16_overflow 0
		.amdhsa_workgroup_processor_mode 1
		.amdhsa_memory_ordered 1
		.amdhsa_forward_progress 0
		.amdhsa_shared_vgpr_count 0
		.amdhsa_exception_fp_ieee_invalid_op 0
		.amdhsa_exception_fp_denorm_src 0
		.amdhsa_exception_fp_ieee_div_zero 0
		.amdhsa_exception_fp_ieee_overflow 0
		.amdhsa_exception_fp_ieee_underflow 0
		.amdhsa_exception_fp_ieee_inexact 0
		.amdhsa_exception_int_div_zero 0
	.end_amdhsa_kernel
	.section	.text._ZN7rocprim17ROCPRIM_400000_NS6detail17trampoline_kernelINS0_14default_configENS1_36segmented_radix_sort_config_selectorIhlEEZNS1_25segmented_radix_sort_implIS3_Lb0EPKhPhPKlPlN2at6native12_GLOBAL__N_18offset_tEEE10hipError_tPvRmT1_PNSt15iterator_traitsISK_E10value_typeET2_T3_PNSL_ISQ_E10value_typeET4_jRbjT5_SW_jjP12ihipStream_tbEUlT_E_NS1_11comp_targetILNS1_3genE9ELNS1_11target_archE1100ELNS1_3gpuE3ELNS1_3repE0EEENS1_30default_config_static_selectorELNS0_4arch9wavefront6targetE0EEEvSK_,"axG",@progbits,_ZN7rocprim17ROCPRIM_400000_NS6detail17trampoline_kernelINS0_14default_configENS1_36segmented_radix_sort_config_selectorIhlEEZNS1_25segmented_radix_sort_implIS3_Lb0EPKhPhPKlPlN2at6native12_GLOBAL__N_18offset_tEEE10hipError_tPvRmT1_PNSt15iterator_traitsISK_E10value_typeET2_T3_PNSL_ISQ_E10value_typeET4_jRbjT5_SW_jjP12ihipStream_tbEUlT_E_NS1_11comp_targetILNS1_3genE9ELNS1_11target_archE1100ELNS1_3gpuE3ELNS1_3repE0EEENS1_30default_config_static_selectorELNS0_4arch9wavefront6targetE0EEEvSK_,comdat
.Lfunc_end194:
	.size	_ZN7rocprim17ROCPRIM_400000_NS6detail17trampoline_kernelINS0_14default_configENS1_36segmented_radix_sort_config_selectorIhlEEZNS1_25segmented_radix_sort_implIS3_Lb0EPKhPhPKlPlN2at6native12_GLOBAL__N_18offset_tEEE10hipError_tPvRmT1_PNSt15iterator_traitsISK_E10value_typeET2_T3_PNSL_ISQ_E10value_typeET4_jRbjT5_SW_jjP12ihipStream_tbEUlT_E_NS1_11comp_targetILNS1_3genE9ELNS1_11target_archE1100ELNS1_3gpuE3ELNS1_3repE0EEENS1_30default_config_static_selectorELNS0_4arch9wavefront6targetE0EEEvSK_, .Lfunc_end194-_ZN7rocprim17ROCPRIM_400000_NS6detail17trampoline_kernelINS0_14default_configENS1_36segmented_radix_sort_config_selectorIhlEEZNS1_25segmented_radix_sort_implIS3_Lb0EPKhPhPKlPlN2at6native12_GLOBAL__N_18offset_tEEE10hipError_tPvRmT1_PNSt15iterator_traitsISK_E10value_typeET2_T3_PNSL_ISQ_E10value_typeET4_jRbjT5_SW_jjP12ihipStream_tbEUlT_E_NS1_11comp_targetILNS1_3genE9ELNS1_11target_archE1100ELNS1_3gpuE3ELNS1_3repE0EEENS1_30default_config_static_selectorELNS0_4arch9wavefront6targetE0EEEvSK_
                                        ; -- End function
	.section	.AMDGPU.csdata,"",@progbits
; Kernel info:
; codeLenInByte = 37448
; NumSgprs: 56
; NumVgprs: 193
; ScratchSize: 0
; MemoryBound: 0
; FloatMode: 240
; IeeeMode: 1
; LDSByteSize: 17440 bytes/workgroup (compile time only)
; SGPRBlocks: 6
; VGPRBlocks: 24
; NumSGPRsForWavesPerEU: 56
; NumVGPRsForWavesPerEU: 193
; Occupancy: 7
; WaveLimiterHint : 1
; COMPUTE_PGM_RSRC2:SCRATCH_EN: 0
; COMPUTE_PGM_RSRC2:USER_SGPR: 14
; COMPUTE_PGM_RSRC2:TRAP_HANDLER: 0
; COMPUTE_PGM_RSRC2:TGID_X_EN: 1
; COMPUTE_PGM_RSRC2:TGID_Y_EN: 1
; COMPUTE_PGM_RSRC2:TGID_Z_EN: 0
; COMPUTE_PGM_RSRC2:TIDIG_COMP_CNT: 2
	.section	.text._ZN7rocprim17ROCPRIM_400000_NS6detail17trampoline_kernelINS0_14default_configENS1_36segmented_radix_sort_config_selectorIhlEEZNS1_25segmented_radix_sort_implIS3_Lb0EPKhPhPKlPlN2at6native12_GLOBAL__N_18offset_tEEE10hipError_tPvRmT1_PNSt15iterator_traitsISK_E10value_typeET2_T3_PNSL_ISQ_E10value_typeET4_jRbjT5_SW_jjP12ihipStream_tbEUlT_E_NS1_11comp_targetILNS1_3genE8ELNS1_11target_archE1030ELNS1_3gpuE2ELNS1_3repE0EEENS1_30default_config_static_selectorELNS0_4arch9wavefront6targetE0EEEvSK_,"axG",@progbits,_ZN7rocprim17ROCPRIM_400000_NS6detail17trampoline_kernelINS0_14default_configENS1_36segmented_radix_sort_config_selectorIhlEEZNS1_25segmented_radix_sort_implIS3_Lb0EPKhPhPKlPlN2at6native12_GLOBAL__N_18offset_tEEE10hipError_tPvRmT1_PNSt15iterator_traitsISK_E10value_typeET2_T3_PNSL_ISQ_E10value_typeET4_jRbjT5_SW_jjP12ihipStream_tbEUlT_E_NS1_11comp_targetILNS1_3genE8ELNS1_11target_archE1030ELNS1_3gpuE2ELNS1_3repE0EEENS1_30default_config_static_selectorELNS0_4arch9wavefront6targetE0EEEvSK_,comdat
	.globl	_ZN7rocprim17ROCPRIM_400000_NS6detail17trampoline_kernelINS0_14default_configENS1_36segmented_radix_sort_config_selectorIhlEEZNS1_25segmented_radix_sort_implIS3_Lb0EPKhPhPKlPlN2at6native12_GLOBAL__N_18offset_tEEE10hipError_tPvRmT1_PNSt15iterator_traitsISK_E10value_typeET2_T3_PNSL_ISQ_E10value_typeET4_jRbjT5_SW_jjP12ihipStream_tbEUlT_E_NS1_11comp_targetILNS1_3genE8ELNS1_11target_archE1030ELNS1_3gpuE2ELNS1_3repE0EEENS1_30default_config_static_selectorELNS0_4arch9wavefront6targetE0EEEvSK_ ; -- Begin function _ZN7rocprim17ROCPRIM_400000_NS6detail17trampoline_kernelINS0_14default_configENS1_36segmented_radix_sort_config_selectorIhlEEZNS1_25segmented_radix_sort_implIS3_Lb0EPKhPhPKlPlN2at6native12_GLOBAL__N_18offset_tEEE10hipError_tPvRmT1_PNSt15iterator_traitsISK_E10value_typeET2_T3_PNSL_ISQ_E10value_typeET4_jRbjT5_SW_jjP12ihipStream_tbEUlT_E_NS1_11comp_targetILNS1_3genE8ELNS1_11target_archE1030ELNS1_3gpuE2ELNS1_3repE0EEENS1_30default_config_static_selectorELNS0_4arch9wavefront6targetE0EEEvSK_
	.p2align	8
	.type	_ZN7rocprim17ROCPRIM_400000_NS6detail17trampoline_kernelINS0_14default_configENS1_36segmented_radix_sort_config_selectorIhlEEZNS1_25segmented_radix_sort_implIS3_Lb0EPKhPhPKlPlN2at6native12_GLOBAL__N_18offset_tEEE10hipError_tPvRmT1_PNSt15iterator_traitsISK_E10value_typeET2_T3_PNSL_ISQ_E10value_typeET4_jRbjT5_SW_jjP12ihipStream_tbEUlT_E_NS1_11comp_targetILNS1_3genE8ELNS1_11target_archE1030ELNS1_3gpuE2ELNS1_3repE0EEENS1_30default_config_static_selectorELNS0_4arch9wavefront6targetE0EEEvSK_,@function
_ZN7rocprim17ROCPRIM_400000_NS6detail17trampoline_kernelINS0_14default_configENS1_36segmented_radix_sort_config_selectorIhlEEZNS1_25segmented_radix_sort_implIS3_Lb0EPKhPhPKlPlN2at6native12_GLOBAL__N_18offset_tEEE10hipError_tPvRmT1_PNSt15iterator_traitsISK_E10value_typeET2_T3_PNSL_ISQ_E10value_typeET4_jRbjT5_SW_jjP12ihipStream_tbEUlT_E_NS1_11comp_targetILNS1_3genE8ELNS1_11target_archE1030ELNS1_3gpuE2ELNS1_3repE0EEENS1_30default_config_static_selectorELNS0_4arch9wavefront6targetE0EEEvSK_: ; @_ZN7rocprim17ROCPRIM_400000_NS6detail17trampoline_kernelINS0_14default_configENS1_36segmented_radix_sort_config_selectorIhlEEZNS1_25segmented_radix_sort_implIS3_Lb0EPKhPhPKlPlN2at6native12_GLOBAL__N_18offset_tEEE10hipError_tPvRmT1_PNSt15iterator_traitsISK_E10value_typeET2_T3_PNSL_ISQ_E10value_typeET4_jRbjT5_SW_jjP12ihipStream_tbEUlT_E_NS1_11comp_targetILNS1_3genE8ELNS1_11target_archE1030ELNS1_3gpuE2ELNS1_3repE0EEENS1_30default_config_static_selectorELNS0_4arch9wavefront6targetE0EEEvSK_
; %bb.0:
	.section	.rodata,"a",@progbits
	.p2align	6, 0x0
	.amdhsa_kernel _ZN7rocprim17ROCPRIM_400000_NS6detail17trampoline_kernelINS0_14default_configENS1_36segmented_radix_sort_config_selectorIhlEEZNS1_25segmented_radix_sort_implIS3_Lb0EPKhPhPKlPlN2at6native12_GLOBAL__N_18offset_tEEE10hipError_tPvRmT1_PNSt15iterator_traitsISK_E10value_typeET2_T3_PNSL_ISQ_E10value_typeET4_jRbjT5_SW_jjP12ihipStream_tbEUlT_E_NS1_11comp_targetILNS1_3genE8ELNS1_11target_archE1030ELNS1_3gpuE2ELNS1_3repE0EEENS1_30default_config_static_selectorELNS0_4arch9wavefront6targetE0EEEvSK_
		.amdhsa_group_segment_fixed_size 0
		.amdhsa_private_segment_fixed_size 0
		.amdhsa_kernarg_size 96
		.amdhsa_user_sgpr_count 15
		.amdhsa_user_sgpr_dispatch_ptr 0
		.amdhsa_user_sgpr_queue_ptr 0
		.amdhsa_user_sgpr_kernarg_segment_ptr 1
		.amdhsa_user_sgpr_dispatch_id 0
		.amdhsa_user_sgpr_private_segment_size 0
		.amdhsa_wavefront_size32 1
		.amdhsa_uses_dynamic_stack 0
		.amdhsa_enable_private_segment 0
		.amdhsa_system_sgpr_workgroup_id_x 1
		.amdhsa_system_sgpr_workgroup_id_y 0
		.amdhsa_system_sgpr_workgroup_id_z 0
		.amdhsa_system_sgpr_workgroup_info 0
		.amdhsa_system_vgpr_workitem_id 0
		.amdhsa_next_free_vgpr 1
		.amdhsa_next_free_sgpr 1
		.amdhsa_reserve_vcc 0
		.amdhsa_float_round_mode_32 0
		.amdhsa_float_round_mode_16_64 0
		.amdhsa_float_denorm_mode_32 3
		.amdhsa_float_denorm_mode_16_64 3
		.amdhsa_dx10_clamp 1
		.amdhsa_ieee_mode 1
		.amdhsa_fp16_overflow 0
		.amdhsa_workgroup_processor_mode 1
		.amdhsa_memory_ordered 1
		.amdhsa_forward_progress 0
		.amdhsa_shared_vgpr_count 0
		.amdhsa_exception_fp_ieee_invalid_op 0
		.amdhsa_exception_fp_denorm_src 0
		.amdhsa_exception_fp_ieee_div_zero 0
		.amdhsa_exception_fp_ieee_overflow 0
		.amdhsa_exception_fp_ieee_underflow 0
		.amdhsa_exception_fp_ieee_inexact 0
		.amdhsa_exception_int_div_zero 0
	.end_amdhsa_kernel
	.section	.text._ZN7rocprim17ROCPRIM_400000_NS6detail17trampoline_kernelINS0_14default_configENS1_36segmented_radix_sort_config_selectorIhlEEZNS1_25segmented_radix_sort_implIS3_Lb0EPKhPhPKlPlN2at6native12_GLOBAL__N_18offset_tEEE10hipError_tPvRmT1_PNSt15iterator_traitsISK_E10value_typeET2_T3_PNSL_ISQ_E10value_typeET4_jRbjT5_SW_jjP12ihipStream_tbEUlT_E_NS1_11comp_targetILNS1_3genE8ELNS1_11target_archE1030ELNS1_3gpuE2ELNS1_3repE0EEENS1_30default_config_static_selectorELNS0_4arch9wavefront6targetE0EEEvSK_,"axG",@progbits,_ZN7rocprim17ROCPRIM_400000_NS6detail17trampoline_kernelINS0_14default_configENS1_36segmented_radix_sort_config_selectorIhlEEZNS1_25segmented_radix_sort_implIS3_Lb0EPKhPhPKlPlN2at6native12_GLOBAL__N_18offset_tEEE10hipError_tPvRmT1_PNSt15iterator_traitsISK_E10value_typeET2_T3_PNSL_ISQ_E10value_typeET4_jRbjT5_SW_jjP12ihipStream_tbEUlT_E_NS1_11comp_targetILNS1_3genE8ELNS1_11target_archE1030ELNS1_3gpuE2ELNS1_3repE0EEENS1_30default_config_static_selectorELNS0_4arch9wavefront6targetE0EEEvSK_,comdat
.Lfunc_end195:
	.size	_ZN7rocprim17ROCPRIM_400000_NS6detail17trampoline_kernelINS0_14default_configENS1_36segmented_radix_sort_config_selectorIhlEEZNS1_25segmented_radix_sort_implIS3_Lb0EPKhPhPKlPlN2at6native12_GLOBAL__N_18offset_tEEE10hipError_tPvRmT1_PNSt15iterator_traitsISK_E10value_typeET2_T3_PNSL_ISQ_E10value_typeET4_jRbjT5_SW_jjP12ihipStream_tbEUlT_E_NS1_11comp_targetILNS1_3genE8ELNS1_11target_archE1030ELNS1_3gpuE2ELNS1_3repE0EEENS1_30default_config_static_selectorELNS0_4arch9wavefront6targetE0EEEvSK_, .Lfunc_end195-_ZN7rocprim17ROCPRIM_400000_NS6detail17trampoline_kernelINS0_14default_configENS1_36segmented_radix_sort_config_selectorIhlEEZNS1_25segmented_radix_sort_implIS3_Lb0EPKhPhPKlPlN2at6native12_GLOBAL__N_18offset_tEEE10hipError_tPvRmT1_PNSt15iterator_traitsISK_E10value_typeET2_T3_PNSL_ISQ_E10value_typeET4_jRbjT5_SW_jjP12ihipStream_tbEUlT_E_NS1_11comp_targetILNS1_3genE8ELNS1_11target_archE1030ELNS1_3gpuE2ELNS1_3repE0EEENS1_30default_config_static_selectorELNS0_4arch9wavefront6targetE0EEEvSK_
                                        ; -- End function
	.section	.AMDGPU.csdata,"",@progbits
; Kernel info:
; codeLenInByte = 0
; NumSgprs: 0
; NumVgprs: 0
; ScratchSize: 0
; MemoryBound: 0
; FloatMode: 240
; IeeeMode: 1
; LDSByteSize: 0 bytes/workgroup (compile time only)
; SGPRBlocks: 0
; VGPRBlocks: 0
; NumSGPRsForWavesPerEU: 1
; NumVGPRsForWavesPerEU: 1
; Occupancy: 16
; WaveLimiterHint : 0
; COMPUTE_PGM_RSRC2:SCRATCH_EN: 0
; COMPUTE_PGM_RSRC2:USER_SGPR: 15
; COMPUTE_PGM_RSRC2:TRAP_HANDLER: 0
; COMPUTE_PGM_RSRC2:TGID_X_EN: 1
; COMPUTE_PGM_RSRC2:TGID_Y_EN: 0
; COMPUTE_PGM_RSRC2:TGID_Z_EN: 0
; COMPUTE_PGM_RSRC2:TIDIG_COMP_CNT: 0
	.section	.text._ZN7rocprim17ROCPRIM_400000_NS6detail17trampoline_kernelINS0_14default_configENS1_36segmented_radix_sort_config_selectorIhlEEZNS1_25segmented_radix_sort_implIS3_Lb0EPKhPhPKlPlN2at6native12_GLOBAL__N_18offset_tEEE10hipError_tPvRmT1_PNSt15iterator_traitsISK_E10value_typeET2_T3_PNSL_ISQ_E10value_typeET4_jRbjT5_SW_jjP12ihipStream_tbEUlT_E0_NS1_11comp_targetILNS1_3genE0ELNS1_11target_archE4294967295ELNS1_3gpuE0ELNS1_3repE0EEENS1_60segmented_radix_sort_warp_sort_medium_config_static_selectorELNS0_4arch9wavefront6targetE0EEEvSK_,"axG",@progbits,_ZN7rocprim17ROCPRIM_400000_NS6detail17trampoline_kernelINS0_14default_configENS1_36segmented_radix_sort_config_selectorIhlEEZNS1_25segmented_radix_sort_implIS3_Lb0EPKhPhPKlPlN2at6native12_GLOBAL__N_18offset_tEEE10hipError_tPvRmT1_PNSt15iterator_traitsISK_E10value_typeET2_T3_PNSL_ISQ_E10value_typeET4_jRbjT5_SW_jjP12ihipStream_tbEUlT_E0_NS1_11comp_targetILNS1_3genE0ELNS1_11target_archE4294967295ELNS1_3gpuE0ELNS1_3repE0EEENS1_60segmented_radix_sort_warp_sort_medium_config_static_selectorELNS0_4arch9wavefront6targetE0EEEvSK_,comdat
	.globl	_ZN7rocprim17ROCPRIM_400000_NS6detail17trampoline_kernelINS0_14default_configENS1_36segmented_radix_sort_config_selectorIhlEEZNS1_25segmented_radix_sort_implIS3_Lb0EPKhPhPKlPlN2at6native12_GLOBAL__N_18offset_tEEE10hipError_tPvRmT1_PNSt15iterator_traitsISK_E10value_typeET2_T3_PNSL_ISQ_E10value_typeET4_jRbjT5_SW_jjP12ihipStream_tbEUlT_E0_NS1_11comp_targetILNS1_3genE0ELNS1_11target_archE4294967295ELNS1_3gpuE0ELNS1_3repE0EEENS1_60segmented_radix_sort_warp_sort_medium_config_static_selectorELNS0_4arch9wavefront6targetE0EEEvSK_ ; -- Begin function _ZN7rocprim17ROCPRIM_400000_NS6detail17trampoline_kernelINS0_14default_configENS1_36segmented_radix_sort_config_selectorIhlEEZNS1_25segmented_radix_sort_implIS3_Lb0EPKhPhPKlPlN2at6native12_GLOBAL__N_18offset_tEEE10hipError_tPvRmT1_PNSt15iterator_traitsISK_E10value_typeET2_T3_PNSL_ISQ_E10value_typeET4_jRbjT5_SW_jjP12ihipStream_tbEUlT_E0_NS1_11comp_targetILNS1_3genE0ELNS1_11target_archE4294967295ELNS1_3gpuE0ELNS1_3repE0EEENS1_60segmented_radix_sort_warp_sort_medium_config_static_selectorELNS0_4arch9wavefront6targetE0EEEvSK_
	.p2align	8
	.type	_ZN7rocprim17ROCPRIM_400000_NS6detail17trampoline_kernelINS0_14default_configENS1_36segmented_radix_sort_config_selectorIhlEEZNS1_25segmented_radix_sort_implIS3_Lb0EPKhPhPKlPlN2at6native12_GLOBAL__N_18offset_tEEE10hipError_tPvRmT1_PNSt15iterator_traitsISK_E10value_typeET2_T3_PNSL_ISQ_E10value_typeET4_jRbjT5_SW_jjP12ihipStream_tbEUlT_E0_NS1_11comp_targetILNS1_3genE0ELNS1_11target_archE4294967295ELNS1_3gpuE0ELNS1_3repE0EEENS1_60segmented_radix_sort_warp_sort_medium_config_static_selectorELNS0_4arch9wavefront6targetE0EEEvSK_,@function
_ZN7rocprim17ROCPRIM_400000_NS6detail17trampoline_kernelINS0_14default_configENS1_36segmented_radix_sort_config_selectorIhlEEZNS1_25segmented_radix_sort_implIS3_Lb0EPKhPhPKlPlN2at6native12_GLOBAL__N_18offset_tEEE10hipError_tPvRmT1_PNSt15iterator_traitsISK_E10value_typeET2_T3_PNSL_ISQ_E10value_typeET4_jRbjT5_SW_jjP12ihipStream_tbEUlT_E0_NS1_11comp_targetILNS1_3genE0ELNS1_11target_archE4294967295ELNS1_3gpuE0ELNS1_3repE0EEENS1_60segmented_radix_sort_warp_sort_medium_config_static_selectorELNS0_4arch9wavefront6targetE0EEEvSK_: ; @_ZN7rocprim17ROCPRIM_400000_NS6detail17trampoline_kernelINS0_14default_configENS1_36segmented_radix_sort_config_selectorIhlEEZNS1_25segmented_radix_sort_implIS3_Lb0EPKhPhPKlPlN2at6native12_GLOBAL__N_18offset_tEEE10hipError_tPvRmT1_PNSt15iterator_traitsISK_E10value_typeET2_T3_PNSL_ISQ_E10value_typeET4_jRbjT5_SW_jjP12ihipStream_tbEUlT_E0_NS1_11comp_targetILNS1_3genE0ELNS1_11target_archE4294967295ELNS1_3gpuE0ELNS1_3repE0EEENS1_60segmented_radix_sort_warp_sort_medium_config_static_selectorELNS0_4arch9wavefront6targetE0EEEvSK_
; %bb.0:
	.section	.rodata,"a",@progbits
	.p2align	6, 0x0
	.amdhsa_kernel _ZN7rocprim17ROCPRIM_400000_NS6detail17trampoline_kernelINS0_14default_configENS1_36segmented_radix_sort_config_selectorIhlEEZNS1_25segmented_radix_sort_implIS3_Lb0EPKhPhPKlPlN2at6native12_GLOBAL__N_18offset_tEEE10hipError_tPvRmT1_PNSt15iterator_traitsISK_E10value_typeET2_T3_PNSL_ISQ_E10value_typeET4_jRbjT5_SW_jjP12ihipStream_tbEUlT_E0_NS1_11comp_targetILNS1_3genE0ELNS1_11target_archE4294967295ELNS1_3gpuE0ELNS1_3repE0EEENS1_60segmented_radix_sort_warp_sort_medium_config_static_selectorELNS0_4arch9wavefront6targetE0EEEvSK_
		.amdhsa_group_segment_fixed_size 0
		.amdhsa_private_segment_fixed_size 0
		.amdhsa_kernarg_size 88
		.amdhsa_user_sgpr_count 15
		.amdhsa_user_sgpr_dispatch_ptr 0
		.amdhsa_user_sgpr_queue_ptr 0
		.amdhsa_user_sgpr_kernarg_segment_ptr 1
		.amdhsa_user_sgpr_dispatch_id 0
		.amdhsa_user_sgpr_private_segment_size 0
		.amdhsa_wavefront_size32 1
		.amdhsa_uses_dynamic_stack 0
		.amdhsa_enable_private_segment 0
		.amdhsa_system_sgpr_workgroup_id_x 1
		.amdhsa_system_sgpr_workgroup_id_y 0
		.amdhsa_system_sgpr_workgroup_id_z 0
		.amdhsa_system_sgpr_workgroup_info 0
		.amdhsa_system_vgpr_workitem_id 0
		.amdhsa_next_free_vgpr 1
		.amdhsa_next_free_sgpr 1
		.amdhsa_reserve_vcc 0
		.amdhsa_float_round_mode_32 0
		.amdhsa_float_round_mode_16_64 0
		.amdhsa_float_denorm_mode_32 3
		.amdhsa_float_denorm_mode_16_64 3
		.amdhsa_dx10_clamp 1
		.amdhsa_ieee_mode 1
		.amdhsa_fp16_overflow 0
		.amdhsa_workgroup_processor_mode 1
		.amdhsa_memory_ordered 1
		.amdhsa_forward_progress 0
		.amdhsa_shared_vgpr_count 0
		.amdhsa_exception_fp_ieee_invalid_op 0
		.amdhsa_exception_fp_denorm_src 0
		.amdhsa_exception_fp_ieee_div_zero 0
		.amdhsa_exception_fp_ieee_overflow 0
		.amdhsa_exception_fp_ieee_underflow 0
		.amdhsa_exception_fp_ieee_inexact 0
		.amdhsa_exception_int_div_zero 0
	.end_amdhsa_kernel
	.section	.text._ZN7rocprim17ROCPRIM_400000_NS6detail17trampoline_kernelINS0_14default_configENS1_36segmented_radix_sort_config_selectorIhlEEZNS1_25segmented_radix_sort_implIS3_Lb0EPKhPhPKlPlN2at6native12_GLOBAL__N_18offset_tEEE10hipError_tPvRmT1_PNSt15iterator_traitsISK_E10value_typeET2_T3_PNSL_ISQ_E10value_typeET4_jRbjT5_SW_jjP12ihipStream_tbEUlT_E0_NS1_11comp_targetILNS1_3genE0ELNS1_11target_archE4294967295ELNS1_3gpuE0ELNS1_3repE0EEENS1_60segmented_radix_sort_warp_sort_medium_config_static_selectorELNS0_4arch9wavefront6targetE0EEEvSK_,"axG",@progbits,_ZN7rocprim17ROCPRIM_400000_NS6detail17trampoline_kernelINS0_14default_configENS1_36segmented_radix_sort_config_selectorIhlEEZNS1_25segmented_radix_sort_implIS3_Lb0EPKhPhPKlPlN2at6native12_GLOBAL__N_18offset_tEEE10hipError_tPvRmT1_PNSt15iterator_traitsISK_E10value_typeET2_T3_PNSL_ISQ_E10value_typeET4_jRbjT5_SW_jjP12ihipStream_tbEUlT_E0_NS1_11comp_targetILNS1_3genE0ELNS1_11target_archE4294967295ELNS1_3gpuE0ELNS1_3repE0EEENS1_60segmented_radix_sort_warp_sort_medium_config_static_selectorELNS0_4arch9wavefront6targetE0EEEvSK_,comdat
.Lfunc_end196:
	.size	_ZN7rocprim17ROCPRIM_400000_NS6detail17trampoline_kernelINS0_14default_configENS1_36segmented_radix_sort_config_selectorIhlEEZNS1_25segmented_radix_sort_implIS3_Lb0EPKhPhPKlPlN2at6native12_GLOBAL__N_18offset_tEEE10hipError_tPvRmT1_PNSt15iterator_traitsISK_E10value_typeET2_T3_PNSL_ISQ_E10value_typeET4_jRbjT5_SW_jjP12ihipStream_tbEUlT_E0_NS1_11comp_targetILNS1_3genE0ELNS1_11target_archE4294967295ELNS1_3gpuE0ELNS1_3repE0EEENS1_60segmented_radix_sort_warp_sort_medium_config_static_selectorELNS0_4arch9wavefront6targetE0EEEvSK_, .Lfunc_end196-_ZN7rocprim17ROCPRIM_400000_NS6detail17trampoline_kernelINS0_14default_configENS1_36segmented_radix_sort_config_selectorIhlEEZNS1_25segmented_radix_sort_implIS3_Lb0EPKhPhPKlPlN2at6native12_GLOBAL__N_18offset_tEEE10hipError_tPvRmT1_PNSt15iterator_traitsISK_E10value_typeET2_T3_PNSL_ISQ_E10value_typeET4_jRbjT5_SW_jjP12ihipStream_tbEUlT_E0_NS1_11comp_targetILNS1_3genE0ELNS1_11target_archE4294967295ELNS1_3gpuE0ELNS1_3repE0EEENS1_60segmented_radix_sort_warp_sort_medium_config_static_selectorELNS0_4arch9wavefront6targetE0EEEvSK_
                                        ; -- End function
	.section	.AMDGPU.csdata,"",@progbits
; Kernel info:
; codeLenInByte = 0
; NumSgprs: 0
; NumVgprs: 0
; ScratchSize: 0
; MemoryBound: 0
; FloatMode: 240
; IeeeMode: 1
; LDSByteSize: 0 bytes/workgroup (compile time only)
; SGPRBlocks: 0
; VGPRBlocks: 0
; NumSGPRsForWavesPerEU: 1
; NumVGPRsForWavesPerEU: 1
; Occupancy: 16
; WaveLimiterHint : 0
; COMPUTE_PGM_RSRC2:SCRATCH_EN: 0
; COMPUTE_PGM_RSRC2:USER_SGPR: 15
; COMPUTE_PGM_RSRC2:TRAP_HANDLER: 0
; COMPUTE_PGM_RSRC2:TGID_X_EN: 1
; COMPUTE_PGM_RSRC2:TGID_Y_EN: 0
; COMPUTE_PGM_RSRC2:TGID_Z_EN: 0
; COMPUTE_PGM_RSRC2:TIDIG_COMP_CNT: 0
	.section	.text._ZN7rocprim17ROCPRIM_400000_NS6detail17trampoline_kernelINS0_14default_configENS1_36segmented_radix_sort_config_selectorIhlEEZNS1_25segmented_radix_sort_implIS3_Lb0EPKhPhPKlPlN2at6native12_GLOBAL__N_18offset_tEEE10hipError_tPvRmT1_PNSt15iterator_traitsISK_E10value_typeET2_T3_PNSL_ISQ_E10value_typeET4_jRbjT5_SW_jjP12ihipStream_tbEUlT_E0_NS1_11comp_targetILNS1_3genE5ELNS1_11target_archE942ELNS1_3gpuE9ELNS1_3repE0EEENS1_60segmented_radix_sort_warp_sort_medium_config_static_selectorELNS0_4arch9wavefront6targetE0EEEvSK_,"axG",@progbits,_ZN7rocprim17ROCPRIM_400000_NS6detail17trampoline_kernelINS0_14default_configENS1_36segmented_radix_sort_config_selectorIhlEEZNS1_25segmented_radix_sort_implIS3_Lb0EPKhPhPKlPlN2at6native12_GLOBAL__N_18offset_tEEE10hipError_tPvRmT1_PNSt15iterator_traitsISK_E10value_typeET2_T3_PNSL_ISQ_E10value_typeET4_jRbjT5_SW_jjP12ihipStream_tbEUlT_E0_NS1_11comp_targetILNS1_3genE5ELNS1_11target_archE942ELNS1_3gpuE9ELNS1_3repE0EEENS1_60segmented_radix_sort_warp_sort_medium_config_static_selectorELNS0_4arch9wavefront6targetE0EEEvSK_,comdat
	.globl	_ZN7rocprim17ROCPRIM_400000_NS6detail17trampoline_kernelINS0_14default_configENS1_36segmented_radix_sort_config_selectorIhlEEZNS1_25segmented_radix_sort_implIS3_Lb0EPKhPhPKlPlN2at6native12_GLOBAL__N_18offset_tEEE10hipError_tPvRmT1_PNSt15iterator_traitsISK_E10value_typeET2_T3_PNSL_ISQ_E10value_typeET4_jRbjT5_SW_jjP12ihipStream_tbEUlT_E0_NS1_11comp_targetILNS1_3genE5ELNS1_11target_archE942ELNS1_3gpuE9ELNS1_3repE0EEENS1_60segmented_radix_sort_warp_sort_medium_config_static_selectorELNS0_4arch9wavefront6targetE0EEEvSK_ ; -- Begin function _ZN7rocprim17ROCPRIM_400000_NS6detail17trampoline_kernelINS0_14default_configENS1_36segmented_radix_sort_config_selectorIhlEEZNS1_25segmented_radix_sort_implIS3_Lb0EPKhPhPKlPlN2at6native12_GLOBAL__N_18offset_tEEE10hipError_tPvRmT1_PNSt15iterator_traitsISK_E10value_typeET2_T3_PNSL_ISQ_E10value_typeET4_jRbjT5_SW_jjP12ihipStream_tbEUlT_E0_NS1_11comp_targetILNS1_3genE5ELNS1_11target_archE942ELNS1_3gpuE9ELNS1_3repE0EEENS1_60segmented_radix_sort_warp_sort_medium_config_static_selectorELNS0_4arch9wavefront6targetE0EEEvSK_
	.p2align	8
	.type	_ZN7rocprim17ROCPRIM_400000_NS6detail17trampoline_kernelINS0_14default_configENS1_36segmented_radix_sort_config_selectorIhlEEZNS1_25segmented_radix_sort_implIS3_Lb0EPKhPhPKlPlN2at6native12_GLOBAL__N_18offset_tEEE10hipError_tPvRmT1_PNSt15iterator_traitsISK_E10value_typeET2_T3_PNSL_ISQ_E10value_typeET4_jRbjT5_SW_jjP12ihipStream_tbEUlT_E0_NS1_11comp_targetILNS1_3genE5ELNS1_11target_archE942ELNS1_3gpuE9ELNS1_3repE0EEENS1_60segmented_radix_sort_warp_sort_medium_config_static_selectorELNS0_4arch9wavefront6targetE0EEEvSK_,@function
_ZN7rocprim17ROCPRIM_400000_NS6detail17trampoline_kernelINS0_14default_configENS1_36segmented_radix_sort_config_selectorIhlEEZNS1_25segmented_radix_sort_implIS3_Lb0EPKhPhPKlPlN2at6native12_GLOBAL__N_18offset_tEEE10hipError_tPvRmT1_PNSt15iterator_traitsISK_E10value_typeET2_T3_PNSL_ISQ_E10value_typeET4_jRbjT5_SW_jjP12ihipStream_tbEUlT_E0_NS1_11comp_targetILNS1_3genE5ELNS1_11target_archE942ELNS1_3gpuE9ELNS1_3repE0EEENS1_60segmented_radix_sort_warp_sort_medium_config_static_selectorELNS0_4arch9wavefront6targetE0EEEvSK_: ; @_ZN7rocprim17ROCPRIM_400000_NS6detail17trampoline_kernelINS0_14default_configENS1_36segmented_radix_sort_config_selectorIhlEEZNS1_25segmented_radix_sort_implIS3_Lb0EPKhPhPKlPlN2at6native12_GLOBAL__N_18offset_tEEE10hipError_tPvRmT1_PNSt15iterator_traitsISK_E10value_typeET2_T3_PNSL_ISQ_E10value_typeET4_jRbjT5_SW_jjP12ihipStream_tbEUlT_E0_NS1_11comp_targetILNS1_3genE5ELNS1_11target_archE942ELNS1_3gpuE9ELNS1_3repE0EEENS1_60segmented_radix_sort_warp_sort_medium_config_static_selectorELNS0_4arch9wavefront6targetE0EEEvSK_
; %bb.0:
	.section	.rodata,"a",@progbits
	.p2align	6, 0x0
	.amdhsa_kernel _ZN7rocprim17ROCPRIM_400000_NS6detail17trampoline_kernelINS0_14default_configENS1_36segmented_radix_sort_config_selectorIhlEEZNS1_25segmented_radix_sort_implIS3_Lb0EPKhPhPKlPlN2at6native12_GLOBAL__N_18offset_tEEE10hipError_tPvRmT1_PNSt15iterator_traitsISK_E10value_typeET2_T3_PNSL_ISQ_E10value_typeET4_jRbjT5_SW_jjP12ihipStream_tbEUlT_E0_NS1_11comp_targetILNS1_3genE5ELNS1_11target_archE942ELNS1_3gpuE9ELNS1_3repE0EEENS1_60segmented_radix_sort_warp_sort_medium_config_static_selectorELNS0_4arch9wavefront6targetE0EEEvSK_
		.amdhsa_group_segment_fixed_size 0
		.amdhsa_private_segment_fixed_size 0
		.amdhsa_kernarg_size 88
		.amdhsa_user_sgpr_count 15
		.amdhsa_user_sgpr_dispatch_ptr 0
		.amdhsa_user_sgpr_queue_ptr 0
		.amdhsa_user_sgpr_kernarg_segment_ptr 1
		.amdhsa_user_sgpr_dispatch_id 0
		.amdhsa_user_sgpr_private_segment_size 0
		.amdhsa_wavefront_size32 1
		.amdhsa_uses_dynamic_stack 0
		.amdhsa_enable_private_segment 0
		.amdhsa_system_sgpr_workgroup_id_x 1
		.amdhsa_system_sgpr_workgroup_id_y 0
		.amdhsa_system_sgpr_workgroup_id_z 0
		.amdhsa_system_sgpr_workgroup_info 0
		.amdhsa_system_vgpr_workitem_id 0
		.amdhsa_next_free_vgpr 1
		.amdhsa_next_free_sgpr 1
		.amdhsa_reserve_vcc 0
		.amdhsa_float_round_mode_32 0
		.amdhsa_float_round_mode_16_64 0
		.amdhsa_float_denorm_mode_32 3
		.amdhsa_float_denorm_mode_16_64 3
		.amdhsa_dx10_clamp 1
		.amdhsa_ieee_mode 1
		.amdhsa_fp16_overflow 0
		.amdhsa_workgroup_processor_mode 1
		.amdhsa_memory_ordered 1
		.amdhsa_forward_progress 0
		.amdhsa_shared_vgpr_count 0
		.amdhsa_exception_fp_ieee_invalid_op 0
		.amdhsa_exception_fp_denorm_src 0
		.amdhsa_exception_fp_ieee_div_zero 0
		.amdhsa_exception_fp_ieee_overflow 0
		.amdhsa_exception_fp_ieee_underflow 0
		.amdhsa_exception_fp_ieee_inexact 0
		.amdhsa_exception_int_div_zero 0
	.end_amdhsa_kernel
	.section	.text._ZN7rocprim17ROCPRIM_400000_NS6detail17trampoline_kernelINS0_14default_configENS1_36segmented_radix_sort_config_selectorIhlEEZNS1_25segmented_radix_sort_implIS3_Lb0EPKhPhPKlPlN2at6native12_GLOBAL__N_18offset_tEEE10hipError_tPvRmT1_PNSt15iterator_traitsISK_E10value_typeET2_T3_PNSL_ISQ_E10value_typeET4_jRbjT5_SW_jjP12ihipStream_tbEUlT_E0_NS1_11comp_targetILNS1_3genE5ELNS1_11target_archE942ELNS1_3gpuE9ELNS1_3repE0EEENS1_60segmented_radix_sort_warp_sort_medium_config_static_selectorELNS0_4arch9wavefront6targetE0EEEvSK_,"axG",@progbits,_ZN7rocprim17ROCPRIM_400000_NS6detail17trampoline_kernelINS0_14default_configENS1_36segmented_radix_sort_config_selectorIhlEEZNS1_25segmented_radix_sort_implIS3_Lb0EPKhPhPKlPlN2at6native12_GLOBAL__N_18offset_tEEE10hipError_tPvRmT1_PNSt15iterator_traitsISK_E10value_typeET2_T3_PNSL_ISQ_E10value_typeET4_jRbjT5_SW_jjP12ihipStream_tbEUlT_E0_NS1_11comp_targetILNS1_3genE5ELNS1_11target_archE942ELNS1_3gpuE9ELNS1_3repE0EEENS1_60segmented_radix_sort_warp_sort_medium_config_static_selectorELNS0_4arch9wavefront6targetE0EEEvSK_,comdat
.Lfunc_end197:
	.size	_ZN7rocprim17ROCPRIM_400000_NS6detail17trampoline_kernelINS0_14default_configENS1_36segmented_radix_sort_config_selectorIhlEEZNS1_25segmented_radix_sort_implIS3_Lb0EPKhPhPKlPlN2at6native12_GLOBAL__N_18offset_tEEE10hipError_tPvRmT1_PNSt15iterator_traitsISK_E10value_typeET2_T3_PNSL_ISQ_E10value_typeET4_jRbjT5_SW_jjP12ihipStream_tbEUlT_E0_NS1_11comp_targetILNS1_3genE5ELNS1_11target_archE942ELNS1_3gpuE9ELNS1_3repE0EEENS1_60segmented_radix_sort_warp_sort_medium_config_static_selectorELNS0_4arch9wavefront6targetE0EEEvSK_, .Lfunc_end197-_ZN7rocprim17ROCPRIM_400000_NS6detail17trampoline_kernelINS0_14default_configENS1_36segmented_radix_sort_config_selectorIhlEEZNS1_25segmented_radix_sort_implIS3_Lb0EPKhPhPKlPlN2at6native12_GLOBAL__N_18offset_tEEE10hipError_tPvRmT1_PNSt15iterator_traitsISK_E10value_typeET2_T3_PNSL_ISQ_E10value_typeET4_jRbjT5_SW_jjP12ihipStream_tbEUlT_E0_NS1_11comp_targetILNS1_3genE5ELNS1_11target_archE942ELNS1_3gpuE9ELNS1_3repE0EEENS1_60segmented_radix_sort_warp_sort_medium_config_static_selectorELNS0_4arch9wavefront6targetE0EEEvSK_
                                        ; -- End function
	.section	.AMDGPU.csdata,"",@progbits
; Kernel info:
; codeLenInByte = 0
; NumSgprs: 0
; NumVgprs: 0
; ScratchSize: 0
; MemoryBound: 0
; FloatMode: 240
; IeeeMode: 1
; LDSByteSize: 0 bytes/workgroup (compile time only)
; SGPRBlocks: 0
; VGPRBlocks: 0
; NumSGPRsForWavesPerEU: 1
; NumVGPRsForWavesPerEU: 1
; Occupancy: 16
; WaveLimiterHint : 0
; COMPUTE_PGM_RSRC2:SCRATCH_EN: 0
; COMPUTE_PGM_RSRC2:USER_SGPR: 15
; COMPUTE_PGM_RSRC2:TRAP_HANDLER: 0
; COMPUTE_PGM_RSRC2:TGID_X_EN: 1
; COMPUTE_PGM_RSRC2:TGID_Y_EN: 0
; COMPUTE_PGM_RSRC2:TGID_Z_EN: 0
; COMPUTE_PGM_RSRC2:TIDIG_COMP_CNT: 0
	.section	.text._ZN7rocprim17ROCPRIM_400000_NS6detail17trampoline_kernelINS0_14default_configENS1_36segmented_radix_sort_config_selectorIhlEEZNS1_25segmented_radix_sort_implIS3_Lb0EPKhPhPKlPlN2at6native12_GLOBAL__N_18offset_tEEE10hipError_tPvRmT1_PNSt15iterator_traitsISK_E10value_typeET2_T3_PNSL_ISQ_E10value_typeET4_jRbjT5_SW_jjP12ihipStream_tbEUlT_E0_NS1_11comp_targetILNS1_3genE4ELNS1_11target_archE910ELNS1_3gpuE8ELNS1_3repE0EEENS1_60segmented_radix_sort_warp_sort_medium_config_static_selectorELNS0_4arch9wavefront6targetE0EEEvSK_,"axG",@progbits,_ZN7rocprim17ROCPRIM_400000_NS6detail17trampoline_kernelINS0_14default_configENS1_36segmented_radix_sort_config_selectorIhlEEZNS1_25segmented_radix_sort_implIS3_Lb0EPKhPhPKlPlN2at6native12_GLOBAL__N_18offset_tEEE10hipError_tPvRmT1_PNSt15iterator_traitsISK_E10value_typeET2_T3_PNSL_ISQ_E10value_typeET4_jRbjT5_SW_jjP12ihipStream_tbEUlT_E0_NS1_11comp_targetILNS1_3genE4ELNS1_11target_archE910ELNS1_3gpuE8ELNS1_3repE0EEENS1_60segmented_radix_sort_warp_sort_medium_config_static_selectorELNS0_4arch9wavefront6targetE0EEEvSK_,comdat
	.globl	_ZN7rocprim17ROCPRIM_400000_NS6detail17trampoline_kernelINS0_14default_configENS1_36segmented_radix_sort_config_selectorIhlEEZNS1_25segmented_radix_sort_implIS3_Lb0EPKhPhPKlPlN2at6native12_GLOBAL__N_18offset_tEEE10hipError_tPvRmT1_PNSt15iterator_traitsISK_E10value_typeET2_T3_PNSL_ISQ_E10value_typeET4_jRbjT5_SW_jjP12ihipStream_tbEUlT_E0_NS1_11comp_targetILNS1_3genE4ELNS1_11target_archE910ELNS1_3gpuE8ELNS1_3repE0EEENS1_60segmented_radix_sort_warp_sort_medium_config_static_selectorELNS0_4arch9wavefront6targetE0EEEvSK_ ; -- Begin function _ZN7rocprim17ROCPRIM_400000_NS6detail17trampoline_kernelINS0_14default_configENS1_36segmented_radix_sort_config_selectorIhlEEZNS1_25segmented_radix_sort_implIS3_Lb0EPKhPhPKlPlN2at6native12_GLOBAL__N_18offset_tEEE10hipError_tPvRmT1_PNSt15iterator_traitsISK_E10value_typeET2_T3_PNSL_ISQ_E10value_typeET4_jRbjT5_SW_jjP12ihipStream_tbEUlT_E0_NS1_11comp_targetILNS1_3genE4ELNS1_11target_archE910ELNS1_3gpuE8ELNS1_3repE0EEENS1_60segmented_radix_sort_warp_sort_medium_config_static_selectorELNS0_4arch9wavefront6targetE0EEEvSK_
	.p2align	8
	.type	_ZN7rocprim17ROCPRIM_400000_NS6detail17trampoline_kernelINS0_14default_configENS1_36segmented_radix_sort_config_selectorIhlEEZNS1_25segmented_radix_sort_implIS3_Lb0EPKhPhPKlPlN2at6native12_GLOBAL__N_18offset_tEEE10hipError_tPvRmT1_PNSt15iterator_traitsISK_E10value_typeET2_T3_PNSL_ISQ_E10value_typeET4_jRbjT5_SW_jjP12ihipStream_tbEUlT_E0_NS1_11comp_targetILNS1_3genE4ELNS1_11target_archE910ELNS1_3gpuE8ELNS1_3repE0EEENS1_60segmented_radix_sort_warp_sort_medium_config_static_selectorELNS0_4arch9wavefront6targetE0EEEvSK_,@function
_ZN7rocprim17ROCPRIM_400000_NS6detail17trampoline_kernelINS0_14default_configENS1_36segmented_radix_sort_config_selectorIhlEEZNS1_25segmented_radix_sort_implIS3_Lb0EPKhPhPKlPlN2at6native12_GLOBAL__N_18offset_tEEE10hipError_tPvRmT1_PNSt15iterator_traitsISK_E10value_typeET2_T3_PNSL_ISQ_E10value_typeET4_jRbjT5_SW_jjP12ihipStream_tbEUlT_E0_NS1_11comp_targetILNS1_3genE4ELNS1_11target_archE910ELNS1_3gpuE8ELNS1_3repE0EEENS1_60segmented_radix_sort_warp_sort_medium_config_static_selectorELNS0_4arch9wavefront6targetE0EEEvSK_: ; @_ZN7rocprim17ROCPRIM_400000_NS6detail17trampoline_kernelINS0_14default_configENS1_36segmented_radix_sort_config_selectorIhlEEZNS1_25segmented_radix_sort_implIS3_Lb0EPKhPhPKlPlN2at6native12_GLOBAL__N_18offset_tEEE10hipError_tPvRmT1_PNSt15iterator_traitsISK_E10value_typeET2_T3_PNSL_ISQ_E10value_typeET4_jRbjT5_SW_jjP12ihipStream_tbEUlT_E0_NS1_11comp_targetILNS1_3genE4ELNS1_11target_archE910ELNS1_3gpuE8ELNS1_3repE0EEENS1_60segmented_radix_sort_warp_sort_medium_config_static_selectorELNS0_4arch9wavefront6targetE0EEEvSK_
; %bb.0:
	.section	.rodata,"a",@progbits
	.p2align	6, 0x0
	.amdhsa_kernel _ZN7rocprim17ROCPRIM_400000_NS6detail17trampoline_kernelINS0_14default_configENS1_36segmented_radix_sort_config_selectorIhlEEZNS1_25segmented_radix_sort_implIS3_Lb0EPKhPhPKlPlN2at6native12_GLOBAL__N_18offset_tEEE10hipError_tPvRmT1_PNSt15iterator_traitsISK_E10value_typeET2_T3_PNSL_ISQ_E10value_typeET4_jRbjT5_SW_jjP12ihipStream_tbEUlT_E0_NS1_11comp_targetILNS1_3genE4ELNS1_11target_archE910ELNS1_3gpuE8ELNS1_3repE0EEENS1_60segmented_radix_sort_warp_sort_medium_config_static_selectorELNS0_4arch9wavefront6targetE0EEEvSK_
		.amdhsa_group_segment_fixed_size 0
		.amdhsa_private_segment_fixed_size 0
		.amdhsa_kernarg_size 88
		.amdhsa_user_sgpr_count 15
		.amdhsa_user_sgpr_dispatch_ptr 0
		.amdhsa_user_sgpr_queue_ptr 0
		.amdhsa_user_sgpr_kernarg_segment_ptr 1
		.amdhsa_user_sgpr_dispatch_id 0
		.amdhsa_user_sgpr_private_segment_size 0
		.amdhsa_wavefront_size32 1
		.amdhsa_uses_dynamic_stack 0
		.amdhsa_enable_private_segment 0
		.amdhsa_system_sgpr_workgroup_id_x 1
		.amdhsa_system_sgpr_workgroup_id_y 0
		.amdhsa_system_sgpr_workgroup_id_z 0
		.amdhsa_system_sgpr_workgroup_info 0
		.amdhsa_system_vgpr_workitem_id 0
		.amdhsa_next_free_vgpr 1
		.amdhsa_next_free_sgpr 1
		.amdhsa_reserve_vcc 0
		.amdhsa_float_round_mode_32 0
		.amdhsa_float_round_mode_16_64 0
		.amdhsa_float_denorm_mode_32 3
		.amdhsa_float_denorm_mode_16_64 3
		.amdhsa_dx10_clamp 1
		.amdhsa_ieee_mode 1
		.amdhsa_fp16_overflow 0
		.amdhsa_workgroup_processor_mode 1
		.amdhsa_memory_ordered 1
		.amdhsa_forward_progress 0
		.amdhsa_shared_vgpr_count 0
		.amdhsa_exception_fp_ieee_invalid_op 0
		.amdhsa_exception_fp_denorm_src 0
		.amdhsa_exception_fp_ieee_div_zero 0
		.amdhsa_exception_fp_ieee_overflow 0
		.amdhsa_exception_fp_ieee_underflow 0
		.amdhsa_exception_fp_ieee_inexact 0
		.amdhsa_exception_int_div_zero 0
	.end_amdhsa_kernel
	.section	.text._ZN7rocprim17ROCPRIM_400000_NS6detail17trampoline_kernelINS0_14default_configENS1_36segmented_radix_sort_config_selectorIhlEEZNS1_25segmented_radix_sort_implIS3_Lb0EPKhPhPKlPlN2at6native12_GLOBAL__N_18offset_tEEE10hipError_tPvRmT1_PNSt15iterator_traitsISK_E10value_typeET2_T3_PNSL_ISQ_E10value_typeET4_jRbjT5_SW_jjP12ihipStream_tbEUlT_E0_NS1_11comp_targetILNS1_3genE4ELNS1_11target_archE910ELNS1_3gpuE8ELNS1_3repE0EEENS1_60segmented_radix_sort_warp_sort_medium_config_static_selectorELNS0_4arch9wavefront6targetE0EEEvSK_,"axG",@progbits,_ZN7rocprim17ROCPRIM_400000_NS6detail17trampoline_kernelINS0_14default_configENS1_36segmented_radix_sort_config_selectorIhlEEZNS1_25segmented_radix_sort_implIS3_Lb0EPKhPhPKlPlN2at6native12_GLOBAL__N_18offset_tEEE10hipError_tPvRmT1_PNSt15iterator_traitsISK_E10value_typeET2_T3_PNSL_ISQ_E10value_typeET4_jRbjT5_SW_jjP12ihipStream_tbEUlT_E0_NS1_11comp_targetILNS1_3genE4ELNS1_11target_archE910ELNS1_3gpuE8ELNS1_3repE0EEENS1_60segmented_radix_sort_warp_sort_medium_config_static_selectorELNS0_4arch9wavefront6targetE0EEEvSK_,comdat
.Lfunc_end198:
	.size	_ZN7rocprim17ROCPRIM_400000_NS6detail17trampoline_kernelINS0_14default_configENS1_36segmented_radix_sort_config_selectorIhlEEZNS1_25segmented_radix_sort_implIS3_Lb0EPKhPhPKlPlN2at6native12_GLOBAL__N_18offset_tEEE10hipError_tPvRmT1_PNSt15iterator_traitsISK_E10value_typeET2_T3_PNSL_ISQ_E10value_typeET4_jRbjT5_SW_jjP12ihipStream_tbEUlT_E0_NS1_11comp_targetILNS1_3genE4ELNS1_11target_archE910ELNS1_3gpuE8ELNS1_3repE0EEENS1_60segmented_radix_sort_warp_sort_medium_config_static_selectorELNS0_4arch9wavefront6targetE0EEEvSK_, .Lfunc_end198-_ZN7rocprim17ROCPRIM_400000_NS6detail17trampoline_kernelINS0_14default_configENS1_36segmented_radix_sort_config_selectorIhlEEZNS1_25segmented_radix_sort_implIS3_Lb0EPKhPhPKlPlN2at6native12_GLOBAL__N_18offset_tEEE10hipError_tPvRmT1_PNSt15iterator_traitsISK_E10value_typeET2_T3_PNSL_ISQ_E10value_typeET4_jRbjT5_SW_jjP12ihipStream_tbEUlT_E0_NS1_11comp_targetILNS1_3genE4ELNS1_11target_archE910ELNS1_3gpuE8ELNS1_3repE0EEENS1_60segmented_radix_sort_warp_sort_medium_config_static_selectorELNS0_4arch9wavefront6targetE0EEEvSK_
                                        ; -- End function
	.section	.AMDGPU.csdata,"",@progbits
; Kernel info:
; codeLenInByte = 0
; NumSgprs: 0
; NumVgprs: 0
; ScratchSize: 0
; MemoryBound: 0
; FloatMode: 240
; IeeeMode: 1
; LDSByteSize: 0 bytes/workgroup (compile time only)
; SGPRBlocks: 0
; VGPRBlocks: 0
; NumSGPRsForWavesPerEU: 1
; NumVGPRsForWavesPerEU: 1
; Occupancy: 16
; WaveLimiterHint : 0
; COMPUTE_PGM_RSRC2:SCRATCH_EN: 0
; COMPUTE_PGM_RSRC2:USER_SGPR: 15
; COMPUTE_PGM_RSRC2:TRAP_HANDLER: 0
; COMPUTE_PGM_RSRC2:TGID_X_EN: 1
; COMPUTE_PGM_RSRC2:TGID_Y_EN: 0
; COMPUTE_PGM_RSRC2:TGID_Z_EN: 0
; COMPUTE_PGM_RSRC2:TIDIG_COMP_CNT: 0
	.section	.text._ZN7rocprim17ROCPRIM_400000_NS6detail17trampoline_kernelINS0_14default_configENS1_36segmented_radix_sort_config_selectorIhlEEZNS1_25segmented_radix_sort_implIS3_Lb0EPKhPhPKlPlN2at6native12_GLOBAL__N_18offset_tEEE10hipError_tPvRmT1_PNSt15iterator_traitsISK_E10value_typeET2_T3_PNSL_ISQ_E10value_typeET4_jRbjT5_SW_jjP12ihipStream_tbEUlT_E0_NS1_11comp_targetILNS1_3genE3ELNS1_11target_archE908ELNS1_3gpuE7ELNS1_3repE0EEENS1_60segmented_radix_sort_warp_sort_medium_config_static_selectorELNS0_4arch9wavefront6targetE0EEEvSK_,"axG",@progbits,_ZN7rocprim17ROCPRIM_400000_NS6detail17trampoline_kernelINS0_14default_configENS1_36segmented_radix_sort_config_selectorIhlEEZNS1_25segmented_radix_sort_implIS3_Lb0EPKhPhPKlPlN2at6native12_GLOBAL__N_18offset_tEEE10hipError_tPvRmT1_PNSt15iterator_traitsISK_E10value_typeET2_T3_PNSL_ISQ_E10value_typeET4_jRbjT5_SW_jjP12ihipStream_tbEUlT_E0_NS1_11comp_targetILNS1_3genE3ELNS1_11target_archE908ELNS1_3gpuE7ELNS1_3repE0EEENS1_60segmented_radix_sort_warp_sort_medium_config_static_selectorELNS0_4arch9wavefront6targetE0EEEvSK_,comdat
	.globl	_ZN7rocprim17ROCPRIM_400000_NS6detail17trampoline_kernelINS0_14default_configENS1_36segmented_radix_sort_config_selectorIhlEEZNS1_25segmented_radix_sort_implIS3_Lb0EPKhPhPKlPlN2at6native12_GLOBAL__N_18offset_tEEE10hipError_tPvRmT1_PNSt15iterator_traitsISK_E10value_typeET2_T3_PNSL_ISQ_E10value_typeET4_jRbjT5_SW_jjP12ihipStream_tbEUlT_E0_NS1_11comp_targetILNS1_3genE3ELNS1_11target_archE908ELNS1_3gpuE7ELNS1_3repE0EEENS1_60segmented_radix_sort_warp_sort_medium_config_static_selectorELNS0_4arch9wavefront6targetE0EEEvSK_ ; -- Begin function _ZN7rocprim17ROCPRIM_400000_NS6detail17trampoline_kernelINS0_14default_configENS1_36segmented_radix_sort_config_selectorIhlEEZNS1_25segmented_radix_sort_implIS3_Lb0EPKhPhPKlPlN2at6native12_GLOBAL__N_18offset_tEEE10hipError_tPvRmT1_PNSt15iterator_traitsISK_E10value_typeET2_T3_PNSL_ISQ_E10value_typeET4_jRbjT5_SW_jjP12ihipStream_tbEUlT_E0_NS1_11comp_targetILNS1_3genE3ELNS1_11target_archE908ELNS1_3gpuE7ELNS1_3repE0EEENS1_60segmented_radix_sort_warp_sort_medium_config_static_selectorELNS0_4arch9wavefront6targetE0EEEvSK_
	.p2align	8
	.type	_ZN7rocprim17ROCPRIM_400000_NS6detail17trampoline_kernelINS0_14default_configENS1_36segmented_radix_sort_config_selectorIhlEEZNS1_25segmented_radix_sort_implIS3_Lb0EPKhPhPKlPlN2at6native12_GLOBAL__N_18offset_tEEE10hipError_tPvRmT1_PNSt15iterator_traitsISK_E10value_typeET2_T3_PNSL_ISQ_E10value_typeET4_jRbjT5_SW_jjP12ihipStream_tbEUlT_E0_NS1_11comp_targetILNS1_3genE3ELNS1_11target_archE908ELNS1_3gpuE7ELNS1_3repE0EEENS1_60segmented_radix_sort_warp_sort_medium_config_static_selectorELNS0_4arch9wavefront6targetE0EEEvSK_,@function
_ZN7rocprim17ROCPRIM_400000_NS6detail17trampoline_kernelINS0_14default_configENS1_36segmented_radix_sort_config_selectorIhlEEZNS1_25segmented_radix_sort_implIS3_Lb0EPKhPhPKlPlN2at6native12_GLOBAL__N_18offset_tEEE10hipError_tPvRmT1_PNSt15iterator_traitsISK_E10value_typeET2_T3_PNSL_ISQ_E10value_typeET4_jRbjT5_SW_jjP12ihipStream_tbEUlT_E0_NS1_11comp_targetILNS1_3genE3ELNS1_11target_archE908ELNS1_3gpuE7ELNS1_3repE0EEENS1_60segmented_radix_sort_warp_sort_medium_config_static_selectorELNS0_4arch9wavefront6targetE0EEEvSK_: ; @_ZN7rocprim17ROCPRIM_400000_NS6detail17trampoline_kernelINS0_14default_configENS1_36segmented_radix_sort_config_selectorIhlEEZNS1_25segmented_radix_sort_implIS3_Lb0EPKhPhPKlPlN2at6native12_GLOBAL__N_18offset_tEEE10hipError_tPvRmT1_PNSt15iterator_traitsISK_E10value_typeET2_T3_PNSL_ISQ_E10value_typeET4_jRbjT5_SW_jjP12ihipStream_tbEUlT_E0_NS1_11comp_targetILNS1_3genE3ELNS1_11target_archE908ELNS1_3gpuE7ELNS1_3repE0EEENS1_60segmented_radix_sort_warp_sort_medium_config_static_selectorELNS0_4arch9wavefront6targetE0EEEvSK_
; %bb.0:
	.section	.rodata,"a",@progbits
	.p2align	6, 0x0
	.amdhsa_kernel _ZN7rocprim17ROCPRIM_400000_NS6detail17trampoline_kernelINS0_14default_configENS1_36segmented_radix_sort_config_selectorIhlEEZNS1_25segmented_radix_sort_implIS3_Lb0EPKhPhPKlPlN2at6native12_GLOBAL__N_18offset_tEEE10hipError_tPvRmT1_PNSt15iterator_traitsISK_E10value_typeET2_T3_PNSL_ISQ_E10value_typeET4_jRbjT5_SW_jjP12ihipStream_tbEUlT_E0_NS1_11comp_targetILNS1_3genE3ELNS1_11target_archE908ELNS1_3gpuE7ELNS1_3repE0EEENS1_60segmented_radix_sort_warp_sort_medium_config_static_selectorELNS0_4arch9wavefront6targetE0EEEvSK_
		.amdhsa_group_segment_fixed_size 0
		.amdhsa_private_segment_fixed_size 0
		.amdhsa_kernarg_size 88
		.amdhsa_user_sgpr_count 15
		.amdhsa_user_sgpr_dispatch_ptr 0
		.amdhsa_user_sgpr_queue_ptr 0
		.amdhsa_user_sgpr_kernarg_segment_ptr 1
		.amdhsa_user_sgpr_dispatch_id 0
		.amdhsa_user_sgpr_private_segment_size 0
		.amdhsa_wavefront_size32 1
		.amdhsa_uses_dynamic_stack 0
		.amdhsa_enable_private_segment 0
		.amdhsa_system_sgpr_workgroup_id_x 1
		.amdhsa_system_sgpr_workgroup_id_y 0
		.amdhsa_system_sgpr_workgroup_id_z 0
		.amdhsa_system_sgpr_workgroup_info 0
		.amdhsa_system_vgpr_workitem_id 0
		.amdhsa_next_free_vgpr 1
		.amdhsa_next_free_sgpr 1
		.amdhsa_reserve_vcc 0
		.amdhsa_float_round_mode_32 0
		.amdhsa_float_round_mode_16_64 0
		.amdhsa_float_denorm_mode_32 3
		.amdhsa_float_denorm_mode_16_64 3
		.amdhsa_dx10_clamp 1
		.amdhsa_ieee_mode 1
		.amdhsa_fp16_overflow 0
		.amdhsa_workgroup_processor_mode 1
		.amdhsa_memory_ordered 1
		.amdhsa_forward_progress 0
		.amdhsa_shared_vgpr_count 0
		.amdhsa_exception_fp_ieee_invalid_op 0
		.amdhsa_exception_fp_denorm_src 0
		.amdhsa_exception_fp_ieee_div_zero 0
		.amdhsa_exception_fp_ieee_overflow 0
		.amdhsa_exception_fp_ieee_underflow 0
		.amdhsa_exception_fp_ieee_inexact 0
		.amdhsa_exception_int_div_zero 0
	.end_amdhsa_kernel
	.section	.text._ZN7rocprim17ROCPRIM_400000_NS6detail17trampoline_kernelINS0_14default_configENS1_36segmented_radix_sort_config_selectorIhlEEZNS1_25segmented_radix_sort_implIS3_Lb0EPKhPhPKlPlN2at6native12_GLOBAL__N_18offset_tEEE10hipError_tPvRmT1_PNSt15iterator_traitsISK_E10value_typeET2_T3_PNSL_ISQ_E10value_typeET4_jRbjT5_SW_jjP12ihipStream_tbEUlT_E0_NS1_11comp_targetILNS1_3genE3ELNS1_11target_archE908ELNS1_3gpuE7ELNS1_3repE0EEENS1_60segmented_radix_sort_warp_sort_medium_config_static_selectorELNS0_4arch9wavefront6targetE0EEEvSK_,"axG",@progbits,_ZN7rocprim17ROCPRIM_400000_NS6detail17trampoline_kernelINS0_14default_configENS1_36segmented_radix_sort_config_selectorIhlEEZNS1_25segmented_radix_sort_implIS3_Lb0EPKhPhPKlPlN2at6native12_GLOBAL__N_18offset_tEEE10hipError_tPvRmT1_PNSt15iterator_traitsISK_E10value_typeET2_T3_PNSL_ISQ_E10value_typeET4_jRbjT5_SW_jjP12ihipStream_tbEUlT_E0_NS1_11comp_targetILNS1_3genE3ELNS1_11target_archE908ELNS1_3gpuE7ELNS1_3repE0EEENS1_60segmented_radix_sort_warp_sort_medium_config_static_selectorELNS0_4arch9wavefront6targetE0EEEvSK_,comdat
.Lfunc_end199:
	.size	_ZN7rocprim17ROCPRIM_400000_NS6detail17trampoline_kernelINS0_14default_configENS1_36segmented_radix_sort_config_selectorIhlEEZNS1_25segmented_radix_sort_implIS3_Lb0EPKhPhPKlPlN2at6native12_GLOBAL__N_18offset_tEEE10hipError_tPvRmT1_PNSt15iterator_traitsISK_E10value_typeET2_T3_PNSL_ISQ_E10value_typeET4_jRbjT5_SW_jjP12ihipStream_tbEUlT_E0_NS1_11comp_targetILNS1_3genE3ELNS1_11target_archE908ELNS1_3gpuE7ELNS1_3repE0EEENS1_60segmented_radix_sort_warp_sort_medium_config_static_selectorELNS0_4arch9wavefront6targetE0EEEvSK_, .Lfunc_end199-_ZN7rocprim17ROCPRIM_400000_NS6detail17trampoline_kernelINS0_14default_configENS1_36segmented_radix_sort_config_selectorIhlEEZNS1_25segmented_radix_sort_implIS3_Lb0EPKhPhPKlPlN2at6native12_GLOBAL__N_18offset_tEEE10hipError_tPvRmT1_PNSt15iterator_traitsISK_E10value_typeET2_T3_PNSL_ISQ_E10value_typeET4_jRbjT5_SW_jjP12ihipStream_tbEUlT_E0_NS1_11comp_targetILNS1_3genE3ELNS1_11target_archE908ELNS1_3gpuE7ELNS1_3repE0EEENS1_60segmented_radix_sort_warp_sort_medium_config_static_selectorELNS0_4arch9wavefront6targetE0EEEvSK_
                                        ; -- End function
	.section	.AMDGPU.csdata,"",@progbits
; Kernel info:
; codeLenInByte = 0
; NumSgprs: 0
; NumVgprs: 0
; ScratchSize: 0
; MemoryBound: 0
; FloatMode: 240
; IeeeMode: 1
; LDSByteSize: 0 bytes/workgroup (compile time only)
; SGPRBlocks: 0
; VGPRBlocks: 0
; NumSGPRsForWavesPerEU: 1
; NumVGPRsForWavesPerEU: 1
; Occupancy: 16
; WaveLimiterHint : 0
; COMPUTE_PGM_RSRC2:SCRATCH_EN: 0
; COMPUTE_PGM_RSRC2:USER_SGPR: 15
; COMPUTE_PGM_RSRC2:TRAP_HANDLER: 0
; COMPUTE_PGM_RSRC2:TGID_X_EN: 1
; COMPUTE_PGM_RSRC2:TGID_Y_EN: 0
; COMPUTE_PGM_RSRC2:TGID_Z_EN: 0
; COMPUTE_PGM_RSRC2:TIDIG_COMP_CNT: 0
	.section	.text._ZN7rocprim17ROCPRIM_400000_NS6detail17trampoline_kernelINS0_14default_configENS1_36segmented_radix_sort_config_selectorIhlEEZNS1_25segmented_radix_sort_implIS3_Lb0EPKhPhPKlPlN2at6native12_GLOBAL__N_18offset_tEEE10hipError_tPvRmT1_PNSt15iterator_traitsISK_E10value_typeET2_T3_PNSL_ISQ_E10value_typeET4_jRbjT5_SW_jjP12ihipStream_tbEUlT_E0_NS1_11comp_targetILNS1_3genE2ELNS1_11target_archE906ELNS1_3gpuE6ELNS1_3repE0EEENS1_60segmented_radix_sort_warp_sort_medium_config_static_selectorELNS0_4arch9wavefront6targetE0EEEvSK_,"axG",@progbits,_ZN7rocprim17ROCPRIM_400000_NS6detail17trampoline_kernelINS0_14default_configENS1_36segmented_radix_sort_config_selectorIhlEEZNS1_25segmented_radix_sort_implIS3_Lb0EPKhPhPKlPlN2at6native12_GLOBAL__N_18offset_tEEE10hipError_tPvRmT1_PNSt15iterator_traitsISK_E10value_typeET2_T3_PNSL_ISQ_E10value_typeET4_jRbjT5_SW_jjP12ihipStream_tbEUlT_E0_NS1_11comp_targetILNS1_3genE2ELNS1_11target_archE906ELNS1_3gpuE6ELNS1_3repE0EEENS1_60segmented_radix_sort_warp_sort_medium_config_static_selectorELNS0_4arch9wavefront6targetE0EEEvSK_,comdat
	.globl	_ZN7rocprim17ROCPRIM_400000_NS6detail17trampoline_kernelINS0_14default_configENS1_36segmented_radix_sort_config_selectorIhlEEZNS1_25segmented_radix_sort_implIS3_Lb0EPKhPhPKlPlN2at6native12_GLOBAL__N_18offset_tEEE10hipError_tPvRmT1_PNSt15iterator_traitsISK_E10value_typeET2_T3_PNSL_ISQ_E10value_typeET4_jRbjT5_SW_jjP12ihipStream_tbEUlT_E0_NS1_11comp_targetILNS1_3genE2ELNS1_11target_archE906ELNS1_3gpuE6ELNS1_3repE0EEENS1_60segmented_radix_sort_warp_sort_medium_config_static_selectorELNS0_4arch9wavefront6targetE0EEEvSK_ ; -- Begin function _ZN7rocprim17ROCPRIM_400000_NS6detail17trampoline_kernelINS0_14default_configENS1_36segmented_radix_sort_config_selectorIhlEEZNS1_25segmented_radix_sort_implIS3_Lb0EPKhPhPKlPlN2at6native12_GLOBAL__N_18offset_tEEE10hipError_tPvRmT1_PNSt15iterator_traitsISK_E10value_typeET2_T3_PNSL_ISQ_E10value_typeET4_jRbjT5_SW_jjP12ihipStream_tbEUlT_E0_NS1_11comp_targetILNS1_3genE2ELNS1_11target_archE906ELNS1_3gpuE6ELNS1_3repE0EEENS1_60segmented_radix_sort_warp_sort_medium_config_static_selectorELNS0_4arch9wavefront6targetE0EEEvSK_
	.p2align	8
	.type	_ZN7rocprim17ROCPRIM_400000_NS6detail17trampoline_kernelINS0_14default_configENS1_36segmented_radix_sort_config_selectorIhlEEZNS1_25segmented_radix_sort_implIS3_Lb0EPKhPhPKlPlN2at6native12_GLOBAL__N_18offset_tEEE10hipError_tPvRmT1_PNSt15iterator_traitsISK_E10value_typeET2_T3_PNSL_ISQ_E10value_typeET4_jRbjT5_SW_jjP12ihipStream_tbEUlT_E0_NS1_11comp_targetILNS1_3genE2ELNS1_11target_archE906ELNS1_3gpuE6ELNS1_3repE0EEENS1_60segmented_radix_sort_warp_sort_medium_config_static_selectorELNS0_4arch9wavefront6targetE0EEEvSK_,@function
_ZN7rocprim17ROCPRIM_400000_NS6detail17trampoline_kernelINS0_14default_configENS1_36segmented_radix_sort_config_selectorIhlEEZNS1_25segmented_radix_sort_implIS3_Lb0EPKhPhPKlPlN2at6native12_GLOBAL__N_18offset_tEEE10hipError_tPvRmT1_PNSt15iterator_traitsISK_E10value_typeET2_T3_PNSL_ISQ_E10value_typeET4_jRbjT5_SW_jjP12ihipStream_tbEUlT_E0_NS1_11comp_targetILNS1_3genE2ELNS1_11target_archE906ELNS1_3gpuE6ELNS1_3repE0EEENS1_60segmented_radix_sort_warp_sort_medium_config_static_selectorELNS0_4arch9wavefront6targetE0EEEvSK_: ; @_ZN7rocprim17ROCPRIM_400000_NS6detail17trampoline_kernelINS0_14default_configENS1_36segmented_radix_sort_config_selectorIhlEEZNS1_25segmented_radix_sort_implIS3_Lb0EPKhPhPKlPlN2at6native12_GLOBAL__N_18offset_tEEE10hipError_tPvRmT1_PNSt15iterator_traitsISK_E10value_typeET2_T3_PNSL_ISQ_E10value_typeET4_jRbjT5_SW_jjP12ihipStream_tbEUlT_E0_NS1_11comp_targetILNS1_3genE2ELNS1_11target_archE906ELNS1_3gpuE6ELNS1_3repE0EEENS1_60segmented_radix_sort_warp_sort_medium_config_static_selectorELNS0_4arch9wavefront6targetE0EEEvSK_
; %bb.0:
	.section	.rodata,"a",@progbits
	.p2align	6, 0x0
	.amdhsa_kernel _ZN7rocprim17ROCPRIM_400000_NS6detail17trampoline_kernelINS0_14default_configENS1_36segmented_radix_sort_config_selectorIhlEEZNS1_25segmented_radix_sort_implIS3_Lb0EPKhPhPKlPlN2at6native12_GLOBAL__N_18offset_tEEE10hipError_tPvRmT1_PNSt15iterator_traitsISK_E10value_typeET2_T3_PNSL_ISQ_E10value_typeET4_jRbjT5_SW_jjP12ihipStream_tbEUlT_E0_NS1_11comp_targetILNS1_3genE2ELNS1_11target_archE906ELNS1_3gpuE6ELNS1_3repE0EEENS1_60segmented_radix_sort_warp_sort_medium_config_static_selectorELNS0_4arch9wavefront6targetE0EEEvSK_
		.amdhsa_group_segment_fixed_size 0
		.amdhsa_private_segment_fixed_size 0
		.amdhsa_kernarg_size 88
		.amdhsa_user_sgpr_count 15
		.amdhsa_user_sgpr_dispatch_ptr 0
		.amdhsa_user_sgpr_queue_ptr 0
		.amdhsa_user_sgpr_kernarg_segment_ptr 1
		.amdhsa_user_sgpr_dispatch_id 0
		.amdhsa_user_sgpr_private_segment_size 0
		.amdhsa_wavefront_size32 1
		.amdhsa_uses_dynamic_stack 0
		.amdhsa_enable_private_segment 0
		.amdhsa_system_sgpr_workgroup_id_x 1
		.amdhsa_system_sgpr_workgroup_id_y 0
		.amdhsa_system_sgpr_workgroup_id_z 0
		.amdhsa_system_sgpr_workgroup_info 0
		.amdhsa_system_vgpr_workitem_id 0
		.amdhsa_next_free_vgpr 1
		.amdhsa_next_free_sgpr 1
		.amdhsa_reserve_vcc 0
		.amdhsa_float_round_mode_32 0
		.amdhsa_float_round_mode_16_64 0
		.amdhsa_float_denorm_mode_32 3
		.amdhsa_float_denorm_mode_16_64 3
		.amdhsa_dx10_clamp 1
		.amdhsa_ieee_mode 1
		.amdhsa_fp16_overflow 0
		.amdhsa_workgroup_processor_mode 1
		.amdhsa_memory_ordered 1
		.amdhsa_forward_progress 0
		.amdhsa_shared_vgpr_count 0
		.amdhsa_exception_fp_ieee_invalid_op 0
		.amdhsa_exception_fp_denorm_src 0
		.amdhsa_exception_fp_ieee_div_zero 0
		.amdhsa_exception_fp_ieee_overflow 0
		.amdhsa_exception_fp_ieee_underflow 0
		.amdhsa_exception_fp_ieee_inexact 0
		.amdhsa_exception_int_div_zero 0
	.end_amdhsa_kernel
	.section	.text._ZN7rocprim17ROCPRIM_400000_NS6detail17trampoline_kernelINS0_14default_configENS1_36segmented_radix_sort_config_selectorIhlEEZNS1_25segmented_radix_sort_implIS3_Lb0EPKhPhPKlPlN2at6native12_GLOBAL__N_18offset_tEEE10hipError_tPvRmT1_PNSt15iterator_traitsISK_E10value_typeET2_T3_PNSL_ISQ_E10value_typeET4_jRbjT5_SW_jjP12ihipStream_tbEUlT_E0_NS1_11comp_targetILNS1_3genE2ELNS1_11target_archE906ELNS1_3gpuE6ELNS1_3repE0EEENS1_60segmented_radix_sort_warp_sort_medium_config_static_selectorELNS0_4arch9wavefront6targetE0EEEvSK_,"axG",@progbits,_ZN7rocprim17ROCPRIM_400000_NS6detail17trampoline_kernelINS0_14default_configENS1_36segmented_radix_sort_config_selectorIhlEEZNS1_25segmented_radix_sort_implIS3_Lb0EPKhPhPKlPlN2at6native12_GLOBAL__N_18offset_tEEE10hipError_tPvRmT1_PNSt15iterator_traitsISK_E10value_typeET2_T3_PNSL_ISQ_E10value_typeET4_jRbjT5_SW_jjP12ihipStream_tbEUlT_E0_NS1_11comp_targetILNS1_3genE2ELNS1_11target_archE906ELNS1_3gpuE6ELNS1_3repE0EEENS1_60segmented_radix_sort_warp_sort_medium_config_static_selectorELNS0_4arch9wavefront6targetE0EEEvSK_,comdat
.Lfunc_end200:
	.size	_ZN7rocprim17ROCPRIM_400000_NS6detail17trampoline_kernelINS0_14default_configENS1_36segmented_radix_sort_config_selectorIhlEEZNS1_25segmented_radix_sort_implIS3_Lb0EPKhPhPKlPlN2at6native12_GLOBAL__N_18offset_tEEE10hipError_tPvRmT1_PNSt15iterator_traitsISK_E10value_typeET2_T3_PNSL_ISQ_E10value_typeET4_jRbjT5_SW_jjP12ihipStream_tbEUlT_E0_NS1_11comp_targetILNS1_3genE2ELNS1_11target_archE906ELNS1_3gpuE6ELNS1_3repE0EEENS1_60segmented_radix_sort_warp_sort_medium_config_static_selectorELNS0_4arch9wavefront6targetE0EEEvSK_, .Lfunc_end200-_ZN7rocprim17ROCPRIM_400000_NS6detail17trampoline_kernelINS0_14default_configENS1_36segmented_radix_sort_config_selectorIhlEEZNS1_25segmented_radix_sort_implIS3_Lb0EPKhPhPKlPlN2at6native12_GLOBAL__N_18offset_tEEE10hipError_tPvRmT1_PNSt15iterator_traitsISK_E10value_typeET2_T3_PNSL_ISQ_E10value_typeET4_jRbjT5_SW_jjP12ihipStream_tbEUlT_E0_NS1_11comp_targetILNS1_3genE2ELNS1_11target_archE906ELNS1_3gpuE6ELNS1_3repE0EEENS1_60segmented_radix_sort_warp_sort_medium_config_static_selectorELNS0_4arch9wavefront6targetE0EEEvSK_
                                        ; -- End function
	.section	.AMDGPU.csdata,"",@progbits
; Kernel info:
; codeLenInByte = 0
; NumSgprs: 0
; NumVgprs: 0
; ScratchSize: 0
; MemoryBound: 0
; FloatMode: 240
; IeeeMode: 1
; LDSByteSize: 0 bytes/workgroup (compile time only)
; SGPRBlocks: 0
; VGPRBlocks: 0
; NumSGPRsForWavesPerEU: 1
; NumVGPRsForWavesPerEU: 1
; Occupancy: 16
; WaveLimiterHint : 0
; COMPUTE_PGM_RSRC2:SCRATCH_EN: 0
; COMPUTE_PGM_RSRC2:USER_SGPR: 15
; COMPUTE_PGM_RSRC2:TRAP_HANDLER: 0
; COMPUTE_PGM_RSRC2:TGID_X_EN: 1
; COMPUTE_PGM_RSRC2:TGID_Y_EN: 0
; COMPUTE_PGM_RSRC2:TGID_Z_EN: 0
; COMPUTE_PGM_RSRC2:TIDIG_COMP_CNT: 0
	.section	.text._ZN7rocprim17ROCPRIM_400000_NS6detail17trampoline_kernelINS0_14default_configENS1_36segmented_radix_sort_config_selectorIhlEEZNS1_25segmented_radix_sort_implIS3_Lb0EPKhPhPKlPlN2at6native12_GLOBAL__N_18offset_tEEE10hipError_tPvRmT1_PNSt15iterator_traitsISK_E10value_typeET2_T3_PNSL_ISQ_E10value_typeET4_jRbjT5_SW_jjP12ihipStream_tbEUlT_E0_NS1_11comp_targetILNS1_3genE10ELNS1_11target_archE1201ELNS1_3gpuE5ELNS1_3repE0EEENS1_60segmented_radix_sort_warp_sort_medium_config_static_selectorELNS0_4arch9wavefront6targetE0EEEvSK_,"axG",@progbits,_ZN7rocprim17ROCPRIM_400000_NS6detail17trampoline_kernelINS0_14default_configENS1_36segmented_radix_sort_config_selectorIhlEEZNS1_25segmented_radix_sort_implIS3_Lb0EPKhPhPKlPlN2at6native12_GLOBAL__N_18offset_tEEE10hipError_tPvRmT1_PNSt15iterator_traitsISK_E10value_typeET2_T3_PNSL_ISQ_E10value_typeET4_jRbjT5_SW_jjP12ihipStream_tbEUlT_E0_NS1_11comp_targetILNS1_3genE10ELNS1_11target_archE1201ELNS1_3gpuE5ELNS1_3repE0EEENS1_60segmented_radix_sort_warp_sort_medium_config_static_selectorELNS0_4arch9wavefront6targetE0EEEvSK_,comdat
	.globl	_ZN7rocprim17ROCPRIM_400000_NS6detail17trampoline_kernelINS0_14default_configENS1_36segmented_radix_sort_config_selectorIhlEEZNS1_25segmented_radix_sort_implIS3_Lb0EPKhPhPKlPlN2at6native12_GLOBAL__N_18offset_tEEE10hipError_tPvRmT1_PNSt15iterator_traitsISK_E10value_typeET2_T3_PNSL_ISQ_E10value_typeET4_jRbjT5_SW_jjP12ihipStream_tbEUlT_E0_NS1_11comp_targetILNS1_3genE10ELNS1_11target_archE1201ELNS1_3gpuE5ELNS1_3repE0EEENS1_60segmented_radix_sort_warp_sort_medium_config_static_selectorELNS0_4arch9wavefront6targetE0EEEvSK_ ; -- Begin function _ZN7rocprim17ROCPRIM_400000_NS6detail17trampoline_kernelINS0_14default_configENS1_36segmented_radix_sort_config_selectorIhlEEZNS1_25segmented_radix_sort_implIS3_Lb0EPKhPhPKlPlN2at6native12_GLOBAL__N_18offset_tEEE10hipError_tPvRmT1_PNSt15iterator_traitsISK_E10value_typeET2_T3_PNSL_ISQ_E10value_typeET4_jRbjT5_SW_jjP12ihipStream_tbEUlT_E0_NS1_11comp_targetILNS1_3genE10ELNS1_11target_archE1201ELNS1_3gpuE5ELNS1_3repE0EEENS1_60segmented_radix_sort_warp_sort_medium_config_static_selectorELNS0_4arch9wavefront6targetE0EEEvSK_
	.p2align	8
	.type	_ZN7rocprim17ROCPRIM_400000_NS6detail17trampoline_kernelINS0_14default_configENS1_36segmented_radix_sort_config_selectorIhlEEZNS1_25segmented_radix_sort_implIS3_Lb0EPKhPhPKlPlN2at6native12_GLOBAL__N_18offset_tEEE10hipError_tPvRmT1_PNSt15iterator_traitsISK_E10value_typeET2_T3_PNSL_ISQ_E10value_typeET4_jRbjT5_SW_jjP12ihipStream_tbEUlT_E0_NS1_11comp_targetILNS1_3genE10ELNS1_11target_archE1201ELNS1_3gpuE5ELNS1_3repE0EEENS1_60segmented_radix_sort_warp_sort_medium_config_static_selectorELNS0_4arch9wavefront6targetE0EEEvSK_,@function
_ZN7rocprim17ROCPRIM_400000_NS6detail17trampoline_kernelINS0_14default_configENS1_36segmented_radix_sort_config_selectorIhlEEZNS1_25segmented_radix_sort_implIS3_Lb0EPKhPhPKlPlN2at6native12_GLOBAL__N_18offset_tEEE10hipError_tPvRmT1_PNSt15iterator_traitsISK_E10value_typeET2_T3_PNSL_ISQ_E10value_typeET4_jRbjT5_SW_jjP12ihipStream_tbEUlT_E0_NS1_11comp_targetILNS1_3genE10ELNS1_11target_archE1201ELNS1_3gpuE5ELNS1_3repE0EEENS1_60segmented_radix_sort_warp_sort_medium_config_static_selectorELNS0_4arch9wavefront6targetE0EEEvSK_: ; @_ZN7rocprim17ROCPRIM_400000_NS6detail17trampoline_kernelINS0_14default_configENS1_36segmented_radix_sort_config_selectorIhlEEZNS1_25segmented_radix_sort_implIS3_Lb0EPKhPhPKlPlN2at6native12_GLOBAL__N_18offset_tEEE10hipError_tPvRmT1_PNSt15iterator_traitsISK_E10value_typeET2_T3_PNSL_ISQ_E10value_typeET4_jRbjT5_SW_jjP12ihipStream_tbEUlT_E0_NS1_11comp_targetILNS1_3genE10ELNS1_11target_archE1201ELNS1_3gpuE5ELNS1_3repE0EEENS1_60segmented_radix_sort_warp_sort_medium_config_static_selectorELNS0_4arch9wavefront6targetE0EEEvSK_
; %bb.0:
	.section	.rodata,"a",@progbits
	.p2align	6, 0x0
	.amdhsa_kernel _ZN7rocprim17ROCPRIM_400000_NS6detail17trampoline_kernelINS0_14default_configENS1_36segmented_radix_sort_config_selectorIhlEEZNS1_25segmented_radix_sort_implIS3_Lb0EPKhPhPKlPlN2at6native12_GLOBAL__N_18offset_tEEE10hipError_tPvRmT1_PNSt15iterator_traitsISK_E10value_typeET2_T3_PNSL_ISQ_E10value_typeET4_jRbjT5_SW_jjP12ihipStream_tbEUlT_E0_NS1_11comp_targetILNS1_3genE10ELNS1_11target_archE1201ELNS1_3gpuE5ELNS1_3repE0EEENS1_60segmented_radix_sort_warp_sort_medium_config_static_selectorELNS0_4arch9wavefront6targetE0EEEvSK_
		.amdhsa_group_segment_fixed_size 0
		.amdhsa_private_segment_fixed_size 0
		.amdhsa_kernarg_size 88
		.amdhsa_user_sgpr_count 15
		.amdhsa_user_sgpr_dispatch_ptr 0
		.amdhsa_user_sgpr_queue_ptr 0
		.amdhsa_user_sgpr_kernarg_segment_ptr 1
		.amdhsa_user_sgpr_dispatch_id 0
		.amdhsa_user_sgpr_private_segment_size 0
		.amdhsa_wavefront_size32 1
		.amdhsa_uses_dynamic_stack 0
		.amdhsa_enable_private_segment 0
		.amdhsa_system_sgpr_workgroup_id_x 1
		.amdhsa_system_sgpr_workgroup_id_y 0
		.amdhsa_system_sgpr_workgroup_id_z 0
		.amdhsa_system_sgpr_workgroup_info 0
		.amdhsa_system_vgpr_workitem_id 0
		.amdhsa_next_free_vgpr 1
		.amdhsa_next_free_sgpr 1
		.amdhsa_reserve_vcc 0
		.amdhsa_float_round_mode_32 0
		.amdhsa_float_round_mode_16_64 0
		.amdhsa_float_denorm_mode_32 3
		.amdhsa_float_denorm_mode_16_64 3
		.amdhsa_dx10_clamp 1
		.amdhsa_ieee_mode 1
		.amdhsa_fp16_overflow 0
		.amdhsa_workgroup_processor_mode 1
		.amdhsa_memory_ordered 1
		.amdhsa_forward_progress 0
		.amdhsa_shared_vgpr_count 0
		.amdhsa_exception_fp_ieee_invalid_op 0
		.amdhsa_exception_fp_denorm_src 0
		.amdhsa_exception_fp_ieee_div_zero 0
		.amdhsa_exception_fp_ieee_overflow 0
		.amdhsa_exception_fp_ieee_underflow 0
		.amdhsa_exception_fp_ieee_inexact 0
		.amdhsa_exception_int_div_zero 0
	.end_amdhsa_kernel
	.section	.text._ZN7rocprim17ROCPRIM_400000_NS6detail17trampoline_kernelINS0_14default_configENS1_36segmented_radix_sort_config_selectorIhlEEZNS1_25segmented_radix_sort_implIS3_Lb0EPKhPhPKlPlN2at6native12_GLOBAL__N_18offset_tEEE10hipError_tPvRmT1_PNSt15iterator_traitsISK_E10value_typeET2_T3_PNSL_ISQ_E10value_typeET4_jRbjT5_SW_jjP12ihipStream_tbEUlT_E0_NS1_11comp_targetILNS1_3genE10ELNS1_11target_archE1201ELNS1_3gpuE5ELNS1_3repE0EEENS1_60segmented_radix_sort_warp_sort_medium_config_static_selectorELNS0_4arch9wavefront6targetE0EEEvSK_,"axG",@progbits,_ZN7rocprim17ROCPRIM_400000_NS6detail17trampoline_kernelINS0_14default_configENS1_36segmented_radix_sort_config_selectorIhlEEZNS1_25segmented_radix_sort_implIS3_Lb0EPKhPhPKlPlN2at6native12_GLOBAL__N_18offset_tEEE10hipError_tPvRmT1_PNSt15iterator_traitsISK_E10value_typeET2_T3_PNSL_ISQ_E10value_typeET4_jRbjT5_SW_jjP12ihipStream_tbEUlT_E0_NS1_11comp_targetILNS1_3genE10ELNS1_11target_archE1201ELNS1_3gpuE5ELNS1_3repE0EEENS1_60segmented_radix_sort_warp_sort_medium_config_static_selectorELNS0_4arch9wavefront6targetE0EEEvSK_,comdat
.Lfunc_end201:
	.size	_ZN7rocprim17ROCPRIM_400000_NS6detail17trampoline_kernelINS0_14default_configENS1_36segmented_radix_sort_config_selectorIhlEEZNS1_25segmented_radix_sort_implIS3_Lb0EPKhPhPKlPlN2at6native12_GLOBAL__N_18offset_tEEE10hipError_tPvRmT1_PNSt15iterator_traitsISK_E10value_typeET2_T3_PNSL_ISQ_E10value_typeET4_jRbjT5_SW_jjP12ihipStream_tbEUlT_E0_NS1_11comp_targetILNS1_3genE10ELNS1_11target_archE1201ELNS1_3gpuE5ELNS1_3repE0EEENS1_60segmented_radix_sort_warp_sort_medium_config_static_selectorELNS0_4arch9wavefront6targetE0EEEvSK_, .Lfunc_end201-_ZN7rocprim17ROCPRIM_400000_NS6detail17trampoline_kernelINS0_14default_configENS1_36segmented_radix_sort_config_selectorIhlEEZNS1_25segmented_radix_sort_implIS3_Lb0EPKhPhPKlPlN2at6native12_GLOBAL__N_18offset_tEEE10hipError_tPvRmT1_PNSt15iterator_traitsISK_E10value_typeET2_T3_PNSL_ISQ_E10value_typeET4_jRbjT5_SW_jjP12ihipStream_tbEUlT_E0_NS1_11comp_targetILNS1_3genE10ELNS1_11target_archE1201ELNS1_3gpuE5ELNS1_3repE0EEENS1_60segmented_radix_sort_warp_sort_medium_config_static_selectorELNS0_4arch9wavefront6targetE0EEEvSK_
                                        ; -- End function
	.section	.AMDGPU.csdata,"",@progbits
; Kernel info:
; codeLenInByte = 0
; NumSgprs: 0
; NumVgprs: 0
; ScratchSize: 0
; MemoryBound: 0
; FloatMode: 240
; IeeeMode: 1
; LDSByteSize: 0 bytes/workgroup (compile time only)
; SGPRBlocks: 0
; VGPRBlocks: 0
; NumSGPRsForWavesPerEU: 1
; NumVGPRsForWavesPerEU: 1
; Occupancy: 16
; WaveLimiterHint : 0
; COMPUTE_PGM_RSRC2:SCRATCH_EN: 0
; COMPUTE_PGM_RSRC2:USER_SGPR: 15
; COMPUTE_PGM_RSRC2:TRAP_HANDLER: 0
; COMPUTE_PGM_RSRC2:TGID_X_EN: 1
; COMPUTE_PGM_RSRC2:TGID_Y_EN: 0
; COMPUTE_PGM_RSRC2:TGID_Z_EN: 0
; COMPUTE_PGM_RSRC2:TIDIG_COMP_CNT: 0
	.section	.text._ZN7rocprim17ROCPRIM_400000_NS6detail17trampoline_kernelINS0_14default_configENS1_36segmented_radix_sort_config_selectorIhlEEZNS1_25segmented_radix_sort_implIS3_Lb0EPKhPhPKlPlN2at6native12_GLOBAL__N_18offset_tEEE10hipError_tPvRmT1_PNSt15iterator_traitsISK_E10value_typeET2_T3_PNSL_ISQ_E10value_typeET4_jRbjT5_SW_jjP12ihipStream_tbEUlT_E0_NS1_11comp_targetILNS1_3genE10ELNS1_11target_archE1200ELNS1_3gpuE4ELNS1_3repE0EEENS1_60segmented_radix_sort_warp_sort_medium_config_static_selectorELNS0_4arch9wavefront6targetE0EEEvSK_,"axG",@progbits,_ZN7rocprim17ROCPRIM_400000_NS6detail17trampoline_kernelINS0_14default_configENS1_36segmented_radix_sort_config_selectorIhlEEZNS1_25segmented_radix_sort_implIS3_Lb0EPKhPhPKlPlN2at6native12_GLOBAL__N_18offset_tEEE10hipError_tPvRmT1_PNSt15iterator_traitsISK_E10value_typeET2_T3_PNSL_ISQ_E10value_typeET4_jRbjT5_SW_jjP12ihipStream_tbEUlT_E0_NS1_11comp_targetILNS1_3genE10ELNS1_11target_archE1200ELNS1_3gpuE4ELNS1_3repE0EEENS1_60segmented_radix_sort_warp_sort_medium_config_static_selectorELNS0_4arch9wavefront6targetE0EEEvSK_,comdat
	.globl	_ZN7rocprim17ROCPRIM_400000_NS6detail17trampoline_kernelINS0_14default_configENS1_36segmented_radix_sort_config_selectorIhlEEZNS1_25segmented_radix_sort_implIS3_Lb0EPKhPhPKlPlN2at6native12_GLOBAL__N_18offset_tEEE10hipError_tPvRmT1_PNSt15iterator_traitsISK_E10value_typeET2_T3_PNSL_ISQ_E10value_typeET4_jRbjT5_SW_jjP12ihipStream_tbEUlT_E0_NS1_11comp_targetILNS1_3genE10ELNS1_11target_archE1200ELNS1_3gpuE4ELNS1_3repE0EEENS1_60segmented_radix_sort_warp_sort_medium_config_static_selectorELNS0_4arch9wavefront6targetE0EEEvSK_ ; -- Begin function _ZN7rocprim17ROCPRIM_400000_NS6detail17trampoline_kernelINS0_14default_configENS1_36segmented_radix_sort_config_selectorIhlEEZNS1_25segmented_radix_sort_implIS3_Lb0EPKhPhPKlPlN2at6native12_GLOBAL__N_18offset_tEEE10hipError_tPvRmT1_PNSt15iterator_traitsISK_E10value_typeET2_T3_PNSL_ISQ_E10value_typeET4_jRbjT5_SW_jjP12ihipStream_tbEUlT_E0_NS1_11comp_targetILNS1_3genE10ELNS1_11target_archE1200ELNS1_3gpuE4ELNS1_3repE0EEENS1_60segmented_radix_sort_warp_sort_medium_config_static_selectorELNS0_4arch9wavefront6targetE0EEEvSK_
	.p2align	8
	.type	_ZN7rocprim17ROCPRIM_400000_NS6detail17trampoline_kernelINS0_14default_configENS1_36segmented_radix_sort_config_selectorIhlEEZNS1_25segmented_radix_sort_implIS3_Lb0EPKhPhPKlPlN2at6native12_GLOBAL__N_18offset_tEEE10hipError_tPvRmT1_PNSt15iterator_traitsISK_E10value_typeET2_T3_PNSL_ISQ_E10value_typeET4_jRbjT5_SW_jjP12ihipStream_tbEUlT_E0_NS1_11comp_targetILNS1_3genE10ELNS1_11target_archE1200ELNS1_3gpuE4ELNS1_3repE0EEENS1_60segmented_radix_sort_warp_sort_medium_config_static_selectorELNS0_4arch9wavefront6targetE0EEEvSK_,@function
_ZN7rocprim17ROCPRIM_400000_NS6detail17trampoline_kernelINS0_14default_configENS1_36segmented_radix_sort_config_selectorIhlEEZNS1_25segmented_radix_sort_implIS3_Lb0EPKhPhPKlPlN2at6native12_GLOBAL__N_18offset_tEEE10hipError_tPvRmT1_PNSt15iterator_traitsISK_E10value_typeET2_T3_PNSL_ISQ_E10value_typeET4_jRbjT5_SW_jjP12ihipStream_tbEUlT_E0_NS1_11comp_targetILNS1_3genE10ELNS1_11target_archE1200ELNS1_3gpuE4ELNS1_3repE0EEENS1_60segmented_radix_sort_warp_sort_medium_config_static_selectorELNS0_4arch9wavefront6targetE0EEEvSK_: ; @_ZN7rocprim17ROCPRIM_400000_NS6detail17trampoline_kernelINS0_14default_configENS1_36segmented_radix_sort_config_selectorIhlEEZNS1_25segmented_radix_sort_implIS3_Lb0EPKhPhPKlPlN2at6native12_GLOBAL__N_18offset_tEEE10hipError_tPvRmT1_PNSt15iterator_traitsISK_E10value_typeET2_T3_PNSL_ISQ_E10value_typeET4_jRbjT5_SW_jjP12ihipStream_tbEUlT_E0_NS1_11comp_targetILNS1_3genE10ELNS1_11target_archE1200ELNS1_3gpuE4ELNS1_3repE0EEENS1_60segmented_radix_sort_warp_sort_medium_config_static_selectorELNS0_4arch9wavefront6targetE0EEEvSK_
; %bb.0:
	.section	.rodata,"a",@progbits
	.p2align	6, 0x0
	.amdhsa_kernel _ZN7rocprim17ROCPRIM_400000_NS6detail17trampoline_kernelINS0_14default_configENS1_36segmented_radix_sort_config_selectorIhlEEZNS1_25segmented_radix_sort_implIS3_Lb0EPKhPhPKlPlN2at6native12_GLOBAL__N_18offset_tEEE10hipError_tPvRmT1_PNSt15iterator_traitsISK_E10value_typeET2_T3_PNSL_ISQ_E10value_typeET4_jRbjT5_SW_jjP12ihipStream_tbEUlT_E0_NS1_11comp_targetILNS1_3genE10ELNS1_11target_archE1200ELNS1_3gpuE4ELNS1_3repE0EEENS1_60segmented_radix_sort_warp_sort_medium_config_static_selectorELNS0_4arch9wavefront6targetE0EEEvSK_
		.amdhsa_group_segment_fixed_size 0
		.amdhsa_private_segment_fixed_size 0
		.amdhsa_kernarg_size 88
		.amdhsa_user_sgpr_count 15
		.amdhsa_user_sgpr_dispatch_ptr 0
		.amdhsa_user_sgpr_queue_ptr 0
		.amdhsa_user_sgpr_kernarg_segment_ptr 1
		.amdhsa_user_sgpr_dispatch_id 0
		.amdhsa_user_sgpr_private_segment_size 0
		.amdhsa_wavefront_size32 1
		.amdhsa_uses_dynamic_stack 0
		.amdhsa_enable_private_segment 0
		.amdhsa_system_sgpr_workgroup_id_x 1
		.amdhsa_system_sgpr_workgroup_id_y 0
		.amdhsa_system_sgpr_workgroup_id_z 0
		.amdhsa_system_sgpr_workgroup_info 0
		.amdhsa_system_vgpr_workitem_id 0
		.amdhsa_next_free_vgpr 1
		.amdhsa_next_free_sgpr 1
		.amdhsa_reserve_vcc 0
		.amdhsa_float_round_mode_32 0
		.amdhsa_float_round_mode_16_64 0
		.amdhsa_float_denorm_mode_32 3
		.amdhsa_float_denorm_mode_16_64 3
		.amdhsa_dx10_clamp 1
		.amdhsa_ieee_mode 1
		.amdhsa_fp16_overflow 0
		.amdhsa_workgroup_processor_mode 1
		.amdhsa_memory_ordered 1
		.amdhsa_forward_progress 0
		.amdhsa_shared_vgpr_count 0
		.amdhsa_exception_fp_ieee_invalid_op 0
		.amdhsa_exception_fp_denorm_src 0
		.amdhsa_exception_fp_ieee_div_zero 0
		.amdhsa_exception_fp_ieee_overflow 0
		.amdhsa_exception_fp_ieee_underflow 0
		.amdhsa_exception_fp_ieee_inexact 0
		.amdhsa_exception_int_div_zero 0
	.end_amdhsa_kernel
	.section	.text._ZN7rocprim17ROCPRIM_400000_NS6detail17trampoline_kernelINS0_14default_configENS1_36segmented_radix_sort_config_selectorIhlEEZNS1_25segmented_radix_sort_implIS3_Lb0EPKhPhPKlPlN2at6native12_GLOBAL__N_18offset_tEEE10hipError_tPvRmT1_PNSt15iterator_traitsISK_E10value_typeET2_T3_PNSL_ISQ_E10value_typeET4_jRbjT5_SW_jjP12ihipStream_tbEUlT_E0_NS1_11comp_targetILNS1_3genE10ELNS1_11target_archE1200ELNS1_3gpuE4ELNS1_3repE0EEENS1_60segmented_radix_sort_warp_sort_medium_config_static_selectorELNS0_4arch9wavefront6targetE0EEEvSK_,"axG",@progbits,_ZN7rocprim17ROCPRIM_400000_NS6detail17trampoline_kernelINS0_14default_configENS1_36segmented_radix_sort_config_selectorIhlEEZNS1_25segmented_radix_sort_implIS3_Lb0EPKhPhPKlPlN2at6native12_GLOBAL__N_18offset_tEEE10hipError_tPvRmT1_PNSt15iterator_traitsISK_E10value_typeET2_T3_PNSL_ISQ_E10value_typeET4_jRbjT5_SW_jjP12ihipStream_tbEUlT_E0_NS1_11comp_targetILNS1_3genE10ELNS1_11target_archE1200ELNS1_3gpuE4ELNS1_3repE0EEENS1_60segmented_radix_sort_warp_sort_medium_config_static_selectorELNS0_4arch9wavefront6targetE0EEEvSK_,comdat
.Lfunc_end202:
	.size	_ZN7rocprim17ROCPRIM_400000_NS6detail17trampoline_kernelINS0_14default_configENS1_36segmented_radix_sort_config_selectorIhlEEZNS1_25segmented_radix_sort_implIS3_Lb0EPKhPhPKlPlN2at6native12_GLOBAL__N_18offset_tEEE10hipError_tPvRmT1_PNSt15iterator_traitsISK_E10value_typeET2_T3_PNSL_ISQ_E10value_typeET4_jRbjT5_SW_jjP12ihipStream_tbEUlT_E0_NS1_11comp_targetILNS1_3genE10ELNS1_11target_archE1200ELNS1_3gpuE4ELNS1_3repE0EEENS1_60segmented_radix_sort_warp_sort_medium_config_static_selectorELNS0_4arch9wavefront6targetE0EEEvSK_, .Lfunc_end202-_ZN7rocprim17ROCPRIM_400000_NS6detail17trampoline_kernelINS0_14default_configENS1_36segmented_radix_sort_config_selectorIhlEEZNS1_25segmented_radix_sort_implIS3_Lb0EPKhPhPKlPlN2at6native12_GLOBAL__N_18offset_tEEE10hipError_tPvRmT1_PNSt15iterator_traitsISK_E10value_typeET2_T3_PNSL_ISQ_E10value_typeET4_jRbjT5_SW_jjP12ihipStream_tbEUlT_E0_NS1_11comp_targetILNS1_3genE10ELNS1_11target_archE1200ELNS1_3gpuE4ELNS1_3repE0EEENS1_60segmented_radix_sort_warp_sort_medium_config_static_selectorELNS0_4arch9wavefront6targetE0EEEvSK_
                                        ; -- End function
	.section	.AMDGPU.csdata,"",@progbits
; Kernel info:
; codeLenInByte = 0
; NumSgprs: 0
; NumVgprs: 0
; ScratchSize: 0
; MemoryBound: 0
; FloatMode: 240
; IeeeMode: 1
; LDSByteSize: 0 bytes/workgroup (compile time only)
; SGPRBlocks: 0
; VGPRBlocks: 0
; NumSGPRsForWavesPerEU: 1
; NumVGPRsForWavesPerEU: 1
; Occupancy: 16
; WaveLimiterHint : 0
; COMPUTE_PGM_RSRC2:SCRATCH_EN: 0
; COMPUTE_PGM_RSRC2:USER_SGPR: 15
; COMPUTE_PGM_RSRC2:TRAP_HANDLER: 0
; COMPUTE_PGM_RSRC2:TGID_X_EN: 1
; COMPUTE_PGM_RSRC2:TGID_Y_EN: 0
; COMPUTE_PGM_RSRC2:TGID_Z_EN: 0
; COMPUTE_PGM_RSRC2:TIDIG_COMP_CNT: 0
	.text
	.p2align	2                               ; -- Begin function _ZN7rocprim17ROCPRIM_400000_NS6detail26segmented_warp_sort_helperINS1_20WarpSortHelperConfigILj16ELj8ELj256EEEhlLi256ELb0EvE4sortIPKhPhPKlPlEEvT_T0_T1_T2_jjjjRNS5_12storage_typeE
	.type	_ZN7rocprim17ROCPRIM_400000_NS6detail26segmented_warp_sort_helperINS1_20WarpSortHelperConfigILj16ELj8ELj256EEEhlLi256ELb0EvE4sortIPKhPhPKlPlEEvT_T0_T1_T2_jjjjRNS5_12storage_typeE,@function
_ZN7rocprim17ROCPRIM_400000_NS6detail26segmented_warp_sort_helperINS1_20WarpSortHelperConfigILj16ELj8ELj256EEEhlLi256ELb0EvE4sortIPKhPhPKlPlEEvT_T0_T1_T2_jjjjRNS5_12storage_typeE: ; @_ZN7rocprim17ROCPRIM_400000_NS6detail26segmented_warp_sort_helperINS1_20WarpSortHelperConfigILj16ELj8ELj256EEEhlLi256ELb0EvE4sortIPKhPhPKlPlEEvT_T0_T1_T2_jjjjRNS5_12storage_typeE
; %bb.0:
	s_waitcnt vmcnt(0) expcnt(0) lgkmcnt(0)
	v_mbcnt_lo_u32_b32 v12, -1, 0
	v_add_co_u32 v0, vcc_lo, v0, v8
	v_dual_mov_b32 v22, 0xff :: v_dual_mov_b32 v39, 0xff
	s_delay_alu instid0(VALU_DEP_3) | instskip(SKIP_3) | instid1(VALU_DEP_4)
	v_lshlrev_b32_e32 v34, 3, v12
	v_sub_nc_u32_e32 v12, v9, v8
	v_mov_b32_e32 v9, 0
	v_add_co_ci_u32_e32 v1, vcc_lo, 0, v1, vcc_lo
	v_dual_mov_b32 v23, v22 :: v_dual_and_b32 v32, 0x78, v34
	v_dual_mov_b32 v36, 0xff :: v_dual_mov_b32 v37, v22
	v_dual_mov_b32 v38, 0xff :: v_dual_mov_b32 v35, v22
	s_delay_alu instid0(VALU_DEP_3)
	v_add_co_u32 v0, vcc_lo, v0, v32
	v_add_co_ci_u32_e32 v1, vcc_lo, 0, v1, vcc_lo
	v_cmp_lt_u32_e32 vcc_lo, v32, v12
	v_mov_b32_e32 v28, 0xff
	s_and_saveexec_b32 s0, vcc_lo
	s_cbranch_execz .LBB203_2
; %bb.1:
	flat_load_u8 v22, v[0:1]
	v_dual_mov_b32 v39, 0xff :: v_dual_mov_b32 v38, 0xff
	v_dual_mov_b32 v28, 0xff :: v_dual_mov_b32 v37, 0xff
	s_delay_alu instid0(VALU_DEP_2)
	v_dual_mov_b32 v36, 0xff :: v_dual_mov_b32 v23, v39
	v_mov_b32_e32 v35, 0xff
.LBB203_2:
	s_or_b32 exec_lo, exec_lo, s0
	v_or_b32_e32 v13, 1, v32
	s_delay_alu instid0(VALU_DEP_1) | instskip(NEXT) | instid1(VALU_DEP_1)
	v_cmp_lt_u32_e64 s0, v13, v12
	s_and_saveexec_b32 s1, s0
	s_cbranch_execz .LBB203_4
; %bb.3:
	flat_load_u8 v39, v[0:1] offset:1
.LBB203_4:
	s_or_b32 exec_lo, exec_lo, s1
	v_or_b32_e32 v13, 2, v32
	s_delay_alu instid0(VALU_DEP_1) | instskip(NEXT) | instid1(VALU_DEP_1)
	v_cmp_lt_u32_e64 s1, v13, v12
	s_and_saveexec_b32 s2, s1
	s_cbranch_execz .LBB203_6
; %bb.5:
	flat_load_u8 v38, v[0:1] offset:2
.LBB203_6:
	;; [unrolled: 9-line block ×7, first 2 shown]
	s_or_b32 exec_lo, exec_lo, s7
	v_lshlrev_b64 v[0:1], 3, v[8:9]
	v_lshlrev_b32_e32 v33, 3, v32
	; wave barrier
	s_delay_alu instid0(VALU_DEP_2) | instskip(NEXT) | instid1(VALU_DEP_1)
	v_add_co_u32 v4, s7, v4, v0
	v_add_co_ci_u32_e64 v5, s7, v5, v1, s7
	s_delay_alu instid0(VALU_DEP_2) | instskip(NEXT) | instid1(VALU_DEP_1)
	v_add_co_u32 v29, s7, v4, v33
	v_add_co_ci_u32_e64 v30, s7, 0, v5, s7
                                        ; implicit-def: $vgpr4_vgpr5
	s_and_saveexec_b32 s7, vcc_lo
	s_cbranch_execnz .LBB203_135
; %bb.17:
	s_or_b32 exec_lo, exec_lo, s7
                                        ; implicit-def: $vgpr12_vgpr13
	s_and_saveexec_b32 s7, s0
	s_cbranch_execnz .LBB203_136
.LBB203_18:
	s_or_b32 exec_lo, exec_lo, s7
                                        ; implicit-def: $vgpr16_vgpr17
	s_and_saveexec_b32 s7, s1
	s_cbranch_execnz .LBB203_137
.LBB203_19:
	s_or_b32 exec_lo, exec_lo, s7
                                        ; implicit-def: $vgpr24_vgpr25
	s_and_saveexec_b32 s7, s2
	s_cbranch_execnz .LBB203_138
.LBB203_20:
	s_or_b32 exec_lo, exec_lo, s7
                                        ; implicit-def: $vgpr26_vgpr27
	s_and_saveexec_b32 s7, s3
	s_cbranch_execnz .LBB203_139
.LBB203_21:
	s_or_b32 exec_lo, exec_lo, s7
                                        ; implicit-def: $vgpr20_vgpr21
	s_and_saveexec_b32 s7, s4
	s_cbranch_execnz .LBB203_140
.LBB203_22:
	s_or_b32 exec_lo, exec_lo, s7
                                        ; implicit-def: $vgpr18_vgpr19
	s_and_saveexec_b32 s7, s5
	s_cbranch_execnz .LBB203_141
.LBB203_23:
	s_or_b32 exec_lo, exec_lo, s7
                                        ; implicit-def: $vgpr14_vgpr15
	s_and_saveexec_b32 s7, s6
	s_cbranch_execz .LBB203_25
.LBB203_24:
	flat_load_b64 v[14:15], v[29:30] offset:56
.LBB203_25:
	s_or_b32 exec_lo, exec_lo, s7
	v_cmp_ne_u32_e64 s7, 0, v10
	v_cmp_ne_u32_e64 s10, 8, v11
	v_bfe_u32 v29, v31, 10, 10
	v_bfe_u32 v30, v31, 20, 10
	v_and_b32_e32 v9, 0x3ff, v31
	s_delay_alu instid0(VALU_DEP_4) | instskip(NEXT) | instid1(SALU_CYCLE_1)
	s_or_b32 s7, s7, s10
	; wave barrier
	s_and_saveexec_b32 s10, s7
	s_delay_alu instid0(SALU_CYCLE_1)
	s_xor_b32 s21, exec_lo, s10
	s_cbranch_execz .LBB203_71
; %bb.26:
	s_load_b64 s[10:11], s[8:9], 0x0
	v_mov_b32_e32 v31, 0
	v_lshlrev_b32_e64 v11, v11, -1
	v_lshlrev_b32_e64 v10, v10, -1
	s_mov_b32 s19, exec_lo
	s_delay_alu instid0(VALU_DEP_1) | instskip(SKIP_3) | instid1(SALU_CYCLE_1)
	v_xor_b32_e32 v11, v11, v10
	s_waitcnt lgkmcnt(0)
	s_cmp_lt_u32 s13, s11
	s_cselect_b32 s7, 14, 20
	s_add_u32 s14, s8, s7
	s_addc_u32 s15, s9, 0
	s_cmp_lt_u32 s12, s10
	global_load_u16 v48, v31, s[14:15]
	s_cselect_b32 s7, 12, 18
	s_delay_alu instid0(SALU_CYCLE_1)
	s_add_u32 s10, s8, s7
	s_addc_u32 s11, s9, 0
	global_load_u16 v31, v31, s[10:11]
	s_waitcnt vmcnt(1)
	v_mad_u32_u24 v29, v30, v48, v29
	s_waitcnt vmcnt(0)
	s_delay_alu instid0(VALU_DEP_1) | instskip(NEXT) | instid1(VALU_DEP_1)
	v_mul_lo_u32 v29, v29, v31
	v_add_lshl_u32 v30, v29, v9, 3
	s_delay_alu instid0(VALU_DEP_1)
	v_cmpx_gt_u32_e32 0x800, v30
	s_cbranch_execz .LBB203_30
; %bb.27:
	v_and_b32_e32 v9, 0xff, v22
	v_lshlrev_b16 v10, 8, v39
	v_and_b32_e32 v29, 0xff, v39
	v_lshlrev_b16 v22, 8, v22
	;; [unrolled: 2-line block ×3, first 2 shown]
	v_or_b32_e32 v10, v9, v10
	v_and_b32_e32 v23, 0xff, v23
	v_or_b32_e32 v22, v29, v22
	v_lshlrev_b16 v37, 8, v37
	v_or_b32_e32 v28, v31, v28
	v_and_b32_e32 v31, 0xff, v35
	v_lshlrev_b16 v35, 8, v36
	v_and_b32_e32 v10, 0xffff, v10
	v_and_b32_e32 v22, 0xffff, v22
	v_lshlrev_b32_e32 v28, 16, v28
	v_and_b32_e32 v29, v29, v11
	v_and_b32_e32 v9, v9, v11
	v_or_b32_e32 v23, v23, v37
	v_or_b32_e32 v31, v31, v35
	;; [unrolled: 1-line block ×4, first 2 shown]
	v_cmp_gt_u16_e64 s7, v9, v29
	v_and_b32_e32 v9, 0xffff, v23
	v_lshlrev_b32_e32 v28, 16, v31
	v_and_b32_e32 v23, v23, v11
	s_delay_alu instid0(VALU_DEP_4) | instskip(SKIP_1) | instid1(VALU_DEP_4)
	v_cndmask_b32_e64 v10, v10, v22, s7
	v_cndmask_b32_e64 v29, v12, v4, s7
	v_or_b32_e32 v9, v9, v28
	s_delay_alu instid0(VALU_DEP_4)
	v_and_b32_e32 v23, 0xff, v23
	v_cndmask_b32_e64 v4, v4, v12, s7
	v_lshrrev_b32_e32 v22, 16, v10
	v_lshrrev_b32_e32 v28, 24, v10
	;; [unrolled: 1-line block ×3, first 2 shown]
	v_cndmask_b32_e64 v36, v13, v5, s7
	v_cndmask_b32_e64 v5, v5, v13, s7
	v_perm_b32 v35, 0, v22, 0xc0c0001
	v_and_b32_e32 v22, v22, v11
	v_and_b32_e32 v28, v28, v11
	;; [unrolled: 1-line block ×3, first 2 shown]
	s_delay_alu instid0(VALU_DEP_4) | instskip(NEXT) | instid1(VALU_DEP_4)
	v_lshlrev_b32_e32 v35, 16, v35
	v_and_b32_e32 v22, 0xff, v22
	s_delay_alu instid0(VALU_DEP_3) | instskip(NEXT) | instid1(VALU_DEP_3)
	v_and_b32_e32 v31, 0xff, v31
	v_and_or_b32 v35, 0xffff, v10, v35
	s_delay_alu instid0(VALU_DEP_3) | instskip(SKIP_1) | instid1(VALU_DEP_4)
	v_cmp_gt_u16_e64 s10, v22, v28
	v_perm_b32 v22, v9, v9, 0x7060405
	v_cmp_gt_u16_e64 s11, v23, v31
	s_delay_alu instid0(VALU_DEP_3) | instskip(SKIP_1) | instid1(VALU_DEP_3)
	v_cndmask_b32_e64 v10, v10, v35, s10
	v_cndmask_b32_e64 v38, v17, v25, s10
	;; [unrolled: 1-line block ×5, first 2 shown]
	v_lshrrev_b32_e32 v22, 16, v10
	v_lshrrev_b32_e32 v31, 8, v10
	v_lshrrev_b32_e32 v35, 16, v9
	v_lshrrev_b32_e32 v37, 24, v9
	v_perm_b32 v39, v10, v10, 0x7050604
	v_and_b32_e32 v22, v22, v11
	v_and_b32_e32 v31, v31, v11
	;; [unrolled: 1-line block ×4, first 2 shown]
	v_cndmask_b32_e64 v12, v21, v27, s11
	v_and_b32_e32 v22, 0xff, v22
	v_and_b32_e32 v31, 0xff, v31
	;; [unrolled: 1-line block ×3, first 2 shown]
	v_cndmask_b32_e64 v28, v24, v16, s10
	v_cndmask_b32_e64 v16, v16, v24, s10
	;; [unrolled: 1-line block ×3, first 2 shown]
	v_cmp_gt_u16_e64 s14, v31, v22
	v_perm_b32 v22, v9, v9, 0x6070504
	v_cmp_gt_u16_e64 s15, v35, v37
	v_cndmask_b32_e64 v20, v20, v26, s11
	s_delay_alu instid0(VALU_DEP_4) | instskip(SKIP_1) | instid1(VALU_DEP_4)
	v_cndmask_b32_e64 v10, v10, v39, s14
	v_cndmask_b32_e64 v31, v38, v36, s14
	;; [unrolled: 1-line block ×5, first 2 shown]
	v_lshrrev_b32_e32 v22, 16, v10
	s_delay_alu instid0(VALU_DEP_4) | instskip(SKIP_2) | instid1(VALU_DEP_4)
	v_lshlrev_b16 v37, 8, v9
	v_and_b32_e32 v39, v9, v11
	v_perm_b32 v25, v10, v9, 0x3020107
	v_and_b32_e32 v22, 0xff, v22
	s_delay_alu instid0(VALU_DEP_3) | instskip(NEXT) | instid1(VALU_DEP_2)
	v_and_b32_e32 v39, 0xff, v39
	v_or_b32_e32 v22, v22, v37
	v_lshrrev_b32_e32 v37, 24, v10
	s_delay_alu instid0(VALU_DEP_2) | instskip(NEXT) | instid1(VALU_DEP_2)
	v_lshlrev_b32_e32 v22, 16, v22
	v_and_b32_e32 v37, v37, v11
	s_delay_alu instid0(VALU_DEP_2) | instskip(NEXT) | instid1(VALU_DEP_2)
	v_and_or_b32 v22, 0xffff, v10, v22
	v_cmp_gt_u16_e64 s16, v37, v39
	v_cndmask_b32_e64 v39, v29, v16, s14
	v_cndmask_b32_e64 v16, v16, v29, s14
	s_delay_alu instid0(VALU_DEP_3)
	v_cndmask_b32_e64 v10, v10, v22, s16
	v_cndmask_b32_e64 v9, v9, v25, s16
	;; [unrolled: 1-line block ×5, first 2 shown]
	v_lshrrev_b32_e32 v21, 8, v10
	v_lshrrev_b32_e32 v22, 16, v9
	;; [unrolled: 1-line block ×3, first 2 shown]
	v_and_b32_e32 v24, v10, v11
	v_perm_b32 v27, 0, v10, 0xc0c0001
	v_and_b32_e32 v21, v21, v11
	v_and_b32_e32 v22, v22, v11
	;; [unrolled: 1-line block ×4, first 2 shown]
	v_and_or_b32 v27, 0xffff0000, v10, v27
	v_and_b32_e32 v21, 0xff, v21
	v_and_b32_e32 v22, 0xff, v22
	;; [unrolled: 1-line block ×3, first 2 shown]
	v_cndmask_b32_e64 v17, v48, v17, s16
	s_delay_alu instid0(VALU_DEP_4) | instskip(SKIP_1) | instid1(VALU_DEP_4)
	v_cmp_gt_u16_e64 s10, v24, v21
	v_perm_b32 v24, v9, v9, 0x7050604
	v_cmp_gt_u16_e64 s17, v25, v22
	v_cndmask_b32_e64 v21, v19, v15, s15
	v_cndmask_b32_e64 v15, v15, v19, s15
	;; [unrolled: 1-line block ×7, first 2 shown]
	v_lshrrev_b32_e32 v24, 16, v10
	v_lshrrev_b32_e32 v29, 24, v10
	;; [unrolled: 1-line block ×3, first 2 shown]
	v_and_b32_e32 v50, v9, v11
	v_cndmask_b32_e64 v4, v4, v39, s10
	v_perm_b32 v49, 0, v24, 0xc0c0001
	v_and_b32_e32 v24, v24, v11
	v_and_b32_e32 v27, v27, v11
	;; [unrolled: 1-line block ×4, first 2 shown]
	v_lshlrev_b32_e32 v49, 16, v49
	v_and_b32_e32 v24, 0xff, v24
	v_and_b32_e32 v27, 0xff, v27
	s_delay_alu instid0(VALU_DEP_3) | instskip(NEXT) | instid1(VALU_DEP_3)
	v_and_or_b32 v49, 0xffff, v10, v49
	v_cmp_gt_u16_e64 s11, v24, v29
	v_perm_b32 v29, v9, v9, 0x7060405
	s_delay_alu instid0(VALU_DEP_4)
	v_cmp_gt_u16_e64 s18, v28, v27
	v_cndmask_b32_e64 v24, v20, v35, s17
	v_cndmask_b32_e64 v20, v35, v20, s17
	;; [unrolled: 1-line block ×7, first 2 shown]
	v_lshrrev_b32_e32 v27, 16, v10
	v_lshrrev_b32_e32 v28, 8, v10
	;; [unrolled: 1-line block ×4, first 2 shown]
	v_perm_b32 v51, v10, v10, 0x7050604
	v_and_b32_e32 v27, v27, v11
	v_and_b32_e32 v28, v28, v11
	;; [unrolled: 1-line block ×4, first 2 shown]
	v_cndmask_b32_e64 v17, v25, v17, s18
	v_and_b32_e32 v27, 0xff, v27
	v_and_b32_e32 v28, 0xff, v28
	;; [unrolled: 1-line block ×3, first 2 shown]
	v_cndmask_b32_e64 v16, v16, v26, s11
	v_cndmask_b32_e64 v49, v31, v37, s11
	;; [unrolled: 1-line block ×3, first 2 shown]
	v_cmp_gt_u16_e64 s7, v28, v27
	v_perm_b32 v27, v9, v9, 0x6070504
	v_cmp_gt_u16_e64 s14, v18, v38
	v_cndmask_b32_e64 v13, v23, v24, s18
	v_cndmask_b32_e64 v23, v24, v23, s18
	;; [unrolled: 1-line block ×7, first 2 shown]
	v_lshrrev_b32_e32 v27, 16, v10
	v_cndmask_b32_e64 v14, v14, v20, s14
	v_lshlrev_b16 v35, 8, v9
	v_and_b32_e32 v38, v9, v11
	v_cndmask_b32_e64 v28, v49, v36, s7
	v_and_b32_e32 v27, 0xff, v27
	v_cndmask_b32_e64 v37, v22, v16, s7
	v_cndmask_b32_e64 v16, v16, v22, s7
	v_and_b32_e32 v38, 0xff, v38
	v_cndmask_b32_e64 v36, v36, v49, s7
	v_or_b32_e32 v27, v27, v35
	v_lshrrev_b32_e32 v35, 24, v10
	s_delay_alu instid0(VALU_DEP_2) | instskip(NEXT) | instid1(VALU_DEP_2)
	v_lshlrev_b32_e32 v27, 16, v27
	v_and_b32_e32 v35, v35, v11
	s_delay_alu instid0(VALU_DEP_2) | instskip(NEXT) | instid1(VALU_DEP_2)
	v_and_or_b32 v27, 0xffff, v10, v27
	v_cmp_gt_u16_e64 s16, v35, v38
	v_perm_b32 v35, v10, v9, 0x3020107
	s_delay_alu instid0(VALU_DEP_2) | instskip(NEXT) | instid1(VALU_DEP_2)
	v_cndmask_b32_e64 v10, v10, v27, s16
	v_cndmask_b32_e64 v9, v9, v35, s16
	;; [unrolled: 1-line block ×5, first 2 shown]
	v_lshrrev_b32_e32 v21, 8, v10
	v_lshrrev_b32_e32 v25, 16, v9
	;; [unrolled: 1-line block ×3, first 2 shown]
	v_and_b32_e32 v26, v10, v11
	v_perm_b32 v35, 0, v10, 0xc0c0001
	v_and_b32_e32 v21, v21, v11
	v_and_b32_e32 v25, v25, v11
	;; [unrolled: 1-line block ×4, first 2 shown]
	v_and_or_b32 v35, 0xffff0000, v10, v35
	v_and_b32_e32 v21, 0xff, v21
	v_and_b32_e32 v25, 0xff, v25
	;; [unrolled: 1-line block ×3, first 2 shown]
	v_cndmask_b32_e64 v31, v48, v31, s16
	s_delay_alu instid0(VALU_DEP_4) | instskip(SKIP_1) | instid1(VALU_DEP_4)
	v_cmp_gt_u16_e64 s11, v26, v21
	v_perm_b32 v26, v9, v9, 0x7050604
	v_cmp_gt_u16_e64 s15, v27, v25
	v_cndmask_b32_e64 v21, v12, v15, s14
	v_cndmask_b32_e64 v12, v15, v12, s14
	;; [unrolled: 1-line block ×7, first 2 shown]
	v_lshrrev_b32_e32 v24, 16, v10
	v_lshrrev_b32_e32 v35, 24, v10
	;; [unrolled: 1-line block ×3, first 2 shown]
	v_and_b32_e32 v39, v9, v11
	v_cndmask_b32_e64 v4, v4, v37, s11
	v_perm_b32 v38, 0, v24, 0xc0c0001
	v_and_b32_e32 v24, v24, v11
	v_and_b32_e32 v26, v26, v11
	;; [unrolled: 1-line block ×4, first 2 shown]
	v_lshlrev_b32_e32 v38, 16, v38
	v_and_b32_e32 v24, 0xff, v24
	v_and_b32_e32 v26, 0xff, v26
	s_delay_alu instid0(VALU_DEP_3) | instskip(NEXT) | instid1(VALU_DEP_3)
	v_and_or_b32 v38, 0xffff, v10, v38
	v_cmp_gt_u16_e64 s17, v24, v35
	v_perm_b32 v35, v9, v9, 0x7060405
	s_delay_alu instid0(VALU_DEP_4)
	v_cmp_gt_u16_e64 s18, v39, v26
	v_cndmask_b32_e64 v24, v23, v18, s15
	v_cndmask_b32_e64 v18, v18, v23, s15
	;; [unrolled: 1-line block ×7, first 2 shown]
	v_lshrrev_b32_e32 v29, 16, v10
	v_lshrrev_b32_e32 v35, 8, v10
	;; [unrolled: 1-line block ×4, first 2 shown]
	v_perm_b32 v51, v10, v10, 0x7050604
	v_and_b32_e32 v29, v29, v11
	v_and_b32_e32 v35, v35, v11
	;; [unrolled: 1-line block ×4, first 2 shown]
	v_perm_b32 v23, v9, v9, 0x6070504
	v_and_b32_e32 v29, 0xff, v29
	v_and_b32_e32 v35, 0xff, v35
	;; [unrolled: 1-line block ×3, first 2 shown]
	v_cndmask_b32_e64 v16, v16, v22, s17
	v_cndmask_b32_e64 v48, v31, v27, s18
	;; [unrolled: 1-line block ×3, first 2 shown]
	v_cmp_gt_u16_e64 s7, v35, v29
	v_cmp_gt_u16_e64 s10, v20, v39
	v_cndmask_b32_e64 v38, v36, v5, s11
	v_cndmask_b32_e64 v5, v5, v36, s11
	;; [unrolled: 1-line block ×8, first 2 shown]
	v_lshrrev_b32_e32 v23, 16, v10
	v_lshlrev_b16 v35, 8, v9
	v_and_b32_e32 v39, v9, v11
	v_lshrrev_b32_e32 v51, 24, v10
	v_perm_b32 v28, v10, v9, 0x3020107
	v_and_b32_e32 v23, 0xff, v23
	v_cndmask_b32_e64 v16, v16, v25, s7
	v_and_b32_e32 v39, 0xff, v39
	v_cndmask_b32_e64 v13, v24, v13, s18
	v_cndmask_b32_e64 v29, v49, v38, s7
	v_or_b32_e32 v23, v23, v35
	v_and_b32_e32 v35, v51, v11
	s_delay_alu instid0(VALU_DEP_2) | instskip(NEXT) | instid1(VALU_DEP_2)
	v_lshlrev_b32_e32 v23, 16, v23
	v_cmp_gt_u16_e64 s16, v35, v39
	s_delay_alu instid0(VALU_DEP_2) | instskip(NEXT) | instid1(VALU_DEP_2)
	v_and_or_b32 v23, 0xffff, v10, v23
	v_cndmask_b32_e64 v9, v9, v28, s16
	v_cndmask_b32_e64 v25, v26, v50, s16
	;; [unrolled: 1-line block ×5, first 2 shown]
	v_lshrrev_b32_e32 v21, 16, v9
	v_lshrrev_b32_e32 v23, 8, v9
	v_perm_b32 v37, v9, v9, 0x7050604
	v_cndmask_b32_e64 v15, v19, v48, s16
	v_lshrrev_b32_e32 v22, 8, v10
	v_and_b32_e32 v21, v21, v11
	v_and_b32_e32 v23, v23, v11
	;; [unrolled: 1-line block ×3, first 2 shown]
	v_perm_b32 v35, 0, v10, 0xc0c0001
	v_and_b32_e32 v22, v22, v11
	v_and_b32_e32 v21, 0xff, v21
	;; [unrolled: 1-line block ×4, first 2 shown]
	v_cndmask_b32_e64 v19, v48, v19, s16
	v_and_b32_e32 v22, 0xff, v22
	s_delay_alu instid0(VALU_DEP_4) | instskip(SKIP_2) | instid1(VALU_DEP_4)
	v_cmp_gt_u16_e64 s11, v23, v21
	v_and_or_b32 v21, 0xffff0000, v10, v35
	v_cndmask_b32_e64 v23, v50, v26, s16
	v_cmp_gt_u16_e64 s14, v31, v22
	s_delay_alu instid0(VALU_DEP_4) | instskip(SKIP_2) | instid1(VALU_DEP_4)
	v_cndmask_b32_e64 v9, v9, v37, s11
	v_cndmask_b32_e64 v37, v13, v20, s11
	;; [unrolled: 1-line block ×5, first 2 shown]
	v_lshrrev_b32_e32 v18, 8, v9
	v_and_b32_e32 v26, v9, v11
	v_perm_b32 v39, v9, v9, 0x7060405
	v_lshrrev_b32_e32 v21, 16, v10
	v_lshrrev_b32_e32 v31, 24, v10
	v_and_b32_e32 v18, v18, v11
	v_and_b32_e32 v26, 0xff, v26
	v_cndmask_b32_e64 v27, v28, v27, s11
	v_and_b32_e32 v35, v21, v11
	v_perm_b32 v21, 0, v21, 0xc0c0001
	v_and_b32_e32 v18, 0xff, v18
	v_and_b32_e32 v31, v31, v11
	v_cndmask_b32_e64 v24, v36, v4, s14
	v_and_b32_e32 v35, 0xff, v35
	v_lshlrev_b32_e32 v21, 16, v21
	v_cmp_gt_u16_e64 s15, v26, v18
	v_cndmask_b32_e64 v4, v4, v36, s14
	s_delay_alu instid0(VALU_DEP_4) | instskip(NEXT) | instid1(VALU_DEP_4)
	v_cmp_gt_u16_e64 s17, v35, v31
	v_and_or_b32 v18, 0xffff, v10, v21
	s_delay_alu instid0(VALU_DEP_4) | instskip(SKIP_1) | instid1(VALU_DEP_4)
	v_cndmask_b32_e64 v9, v9, v39, s15
	v_cndmask_b32_e64 v26, v25, v37, s15
	;; [unrolled: 1-line block ×3, first 2 shown]
	s_delay_alu instid0(VALU_DEP_4) | instskip(NEXT) | instid1(VALU_DEP_4)
	v_cndmask_b32_e64 v18, v10, v18, s17
	v_lshrrev_b32_e32 v17, 16, v9
	v_lshrrev_b32_e32 v28, 24, v9
	v_cndmask_b32_e64 v10, v38, v49, s7
	v_perm_b32 v38, v9, v9, 0x6070504
	v_lshrrev_b32_e32 v20, 16, v18
	v_lshrrev_b32_e32 v21, 8, v18
	v_and_b32_e32 v17, v17, v11
	v_and_b32_e32 v28, v28, v11
	v_cndmask_b32_e64 v31, v23, v16, s17
	v_and_b32_e32 v20, v20, v11
	v_and_b32_e32 v21, v21, v11
	;; [unrolled: 1-line block ×3, first 2 shown]
	v_cndmask_b32_e64 v35, v10, v5, s14
	v_cndmask_b32_e64 v5, v5, v10, s14
	v_and_b32_e32 v20, 0xff, v20
	v_and_b32_e32 v21, 0xff, v21
	v_cmp_gt_u16_e64 s7, v17, v28
	v_perm_b32 v28, v18, v18, 0x7050604
	s_delay_alu instid0(VALU_DEP_3) | instskip(NEXT) | instid1(VALU_DEP_3)
	v_cmp_gt_u16_e64 s10, v21, v20
	v_cndmask_b32_e64 v38, v9, v38, s7
	v_cndmask_b32_e64 v21, v22, v19, s15
	v_cndmask_b32_e64 v10, v27, v12, s7
	v_cndmask_b32_e64 v20, v37, v25, s15
	v_cndmask_b32_e64 v18, v18, v28, s10
	v_cndmask_b32_e64 v28, v19, v22, s15
	v_and_b32_e32 v9, v38, v11
	v_cndmask_b32_e64 v22, v15, v29, s17
	v_cndmask_b32_e64 v29, v16, v23, s17
	v_lshrrev_b32_e32 v19, 24, v18
	v_lshrrev_b32_e32 v15, 16, v18
	v_and_b32_e32 v9, 0xff, v9
	v_lshlrev_b16 v16, 8, v38
	v_perm_b32 v36, v18, v38, 0x3020107
	v_and_b32_e32 v19, v19, v11
	v_and_b32_e32 v23, 0xff, v15
	v_cndmask_b32_e64 v15, v12, v27, s7
	v_cndmask_b32_e64 v17, v39, v35, s10
	s_delay_alu instid0(VALU_DEP_4) | instskip(NEXT) | instid1(VALU_DEP_4)
	v_cmp_gt_u16_e64 s11, v19, v9
	v_or_b32_e32 v12, v23, v16
	v_cndmask_b32_e64 v9, v13, v14, s7
	v_cndmask_b32_e64 v14, v14, v13, s7
	;; [unrolled: 1-line block ×4, first 2 shown]
	v_lshlrev_b32_e32 v19, 16, v12
	v_cndmask_b32_e64 v16, v29, v24, s10
	v_cndmask_b32_e64 v12, v24, v29, s10
	;; [unrolled: 1-line block ×3, first 2 shown]
	v_lshrrev_b32_e32 v35, 16, v23
	v_lshrrev_b32_e32 v37, 8, v23
	v_and_or_b32 v19, 0xffff, v18, v19
	v_cndmask_b32_e64 v27, v28, v22, s11
	v_cndmask_b32_e64 v24, v31, v26, s11
	v_and_b32_e32 v29, v35, v11
	v_and_b32_e32 v36, v37, v11
	v_cndmask_b32_e64 v22, v18, v19, s11
	v_cndmask_b32_e64 v26, v26, v31, s11
	s_delay_alu instid0(VALU_DEP_4) | instskip(NEXT) | instid1(VALU_DEP_4)
	v_and_b32_e32 v18, 0xff, v29
	v_and_b32_e32 v19, 0xff, v36
	s_delay_alu instid0(VALU_DEP_4)
	v_lshrrev_b64 v[28:29], 24, v[22:23]
	v_lshrrev_b32_e32 v36, 24, v23
	v_lshrrev_b32_e32 v38, 16, v22
	;; [unrolled: 1-line block ×3, first 2 shown]
	v_cmp_gt_u16_e64 s7, v19, v18
	v_dual_mov_b32 v19, v10 :: v_dual_mov_b32 v18, v9
	s_delay_alu instid0(VALU_DEP_2)
	s_and_saveexec_b32 s10, s7
; %bb.28:
	v_lshrrev_b32_e32 v36, 24, v23
	v_lshrrev_b32_e32 v35, 8, v23
	;; [unrolled: 1-line block ×5, first 2 shown]
	v_dual_mov_b32 v18, v20 :: v_dual_mov_b32 v19, v21
	v_dual_mov_b32 v21, v10 :: v_dual_mov_b32 v20, v9
; %bb.29:
	s_or_b32 exec_lo, exec_lo, s10
.LBB203_30:
	s_delay_alu instid0(SALU_CYCLE_1)
	s_or_b32 exec_lo, exec_lo, s19
	v_and_b32_e32 v10, 0xffffff00, v30
	v_or_b32_e32 v30, 8, v34
	v_and_b32_e32 v31, 8, v34
	v_and_b32_e32 v50, 0xf0, v34
	s_mov_b32 s10, exec_lo
	v_sub_nc_u32_e64 v29, 0x800, v10 clamp
	v_lshlrev_b32_e32 v9, 3, v10
	v_or_b32_e32 v53, v10, v34
	s_delay_alu instid0(VALU_DEP_3) | instskip(SKIP_1) | instid1(VALU_DEP_4)
	v_min_u32_e32 v48, v29, v30
	v_min_u32_e32 v51, v29, v31
	v_lshl_or_b32 v30, v34, 3, v9
	ds_store_b8 v53, v22
	ds_store_b64 v30, v[4:5] offset:2048
	ds_store_b8 v53, v39 offset:1
	v_add_nc_u32_e32 v49, 8, v48
	v_sub_nc_u32_e32 v54, v48, v50
	ds_store_b64 v30, v[12:13] offset:2056
	ds_store_b8 v53, v38 offset:2
	ds_store_b64 v30, v[16:17] offset:2064
	ds_store_b8 v53, v28 offset:3
	;; [unrolled: 2-line block ×6, first 2 shown]
	ds_store_b64 v30, v[14:15] offset:2104
	v_min_u32_e32 v49, v29, v49
	; wave barrier
	s_delay_alu instid0(VALU_DEP_1) | instskip(NEXT) | instid1(VALU_DEP_1)
	v_sub_nc_u32_e32 v31, v49, v48
	v_sub_nc_u32_e64 v52, v51, v31 clamp
	v_min_u32_e32 v31, v51, v54
	s_delay_alu instid0(VALU_DEP_1)
	v_cmpx_lt_u32_e64 v52, v31
	s_cbranch_execz .LBB203_34
; %bb.31:
	v_add_nc_u32_e32 v53, v10, v50
	v_add3_u32 v54, v10, v48, v51
	s_mov_b32 s11, 0
	.p2align	6
.LBB203_32:                             ; =>This Inner Loop Header: Depth=1
	v_add_nc_u32_e32 v55, v31, v52
	s_delay_alu instid0(VALU_DEP_1) | instskip(NEXT) | instid1(VALU_DEP_1)
	v_lshrrev_b32_e32 v55, 1, v55
	v_xad_u32 v64, v55, -1, v54
	v_add_nc_u32_e32 v65, v53, v55
	v_add_nc_u32_e32 v66, 1, v55
	ds_load_u8 v64, v64
	ds_load_u8 v65, v65
	s_waitcnt lgkmcnt(1)
	v_and_b32_e32 v64, v64, v11
	s_waitcnt lgkmcnt(0)
	v_and_b32_e32 v65, v65, v11
	s_delay_alu instid0(VALU_DEP_2) | instskip(NEXT) | instid1(VALU_DEP_2)
	v_and_b32_e32 v64, 0xff, v64
	v_and_b32_e32 v65, 0xff, v65
	s_delay_alu instid0(VALU_DEP_1) | instskip(NEXT) | instid1(VALU_DEP_1)
	v_cmp_gt_u16_e64 s7, v65, v64
	v_cndmask_b32_e64 v31, v31, v55, s7
	v_cndmask_b32_e64 v52, v66, v52, s7
	s_delay_alu instid0(VALU_DEP_1) | instskip(NEXT) | instid1(VALU_DEP_1)
	v_cmp_ge_u32_e64 s7, v52, v31
	s_or_b32 s11, s7, s11
	s_delay_alu instid0(SALU_CYCLE_1)
	s_and_not1_b32 exec_lo, exec_lo, s11
	s_cbranch_execnz .LBB203_32
; %bb.33:
	s_or_b32 exec_lo, exec_lo, s11
.LBB203_34:
	s_delay_alu instid0(SALU_CYCLE_1) | instskip(SKIP_3) | instid1(VALU_DEP_3)
	s_or_b32 exec_lo, exec_lo, s10
	v_add_nc_u32_e32 v53, v48, v51
	v_add_nc_u32_e32 v51, v52, v50
	;; [unrolled: 1-line block ×3, first 2 shown]
	v_sub_nc_u32_e32 v50, v53, v52
	s_delay_alu instid0(VALU_DEP_3) | instskip(NEXT) | instid1(VALU_DEP_2)
	v_cmp_le_u32_e64 s7, v51, v48
	v_cmp_le_u32_e64 s10, v50, v49
	s_delay_alu instid0(VALU_DEP_1) | instskip(NEXT) | instid1(SALU_CYCLE_1)
	s_or_b32 s7, s7, s10
	s_and_saveexec_b32 s22, s7
	s_cbranch_execz .LBB203_40
; %bb.35:
	v_cmp_lt_u32_e64 s7, v51, v48
                                        ; implicit-def: $vgpr22
	s_delay_alu instid0(VALU_DEP_1)
	s_and_saveexec_b32 s10, s7
	s_cbranch_execz .LBB203_37
; %bb.36:
	v_add_nc_u32_e32 v4, v10, v51
	ds_load_u8 v22, v4
.LBB203_37:
	s_or_b32 exec_lo, exec_lo, s10
	v_cmp_ge_u32_e64 s10, v50, v49
	s_mov_b32 s14, exec_lo
                                        ; implicit-def: $vgpr23
	v_cmpx_lt_u32_e64 v50, v49
	s_cbranch_execz .LBB203_39
; %bb.38:
	v_add_nc_u32_e32 v4, v10, v50
	ds_load_u8 v23, v4
.LBB203_39:
	s_or_b32 exec_lo, exec_lo, s14
	s_waitcnt lgkmcnt(0)
	v_and_b32_e32 v4, v23, v11
	v_and_b32_e32 v5, v22, v11
	s_delay_alu instid0(VALU_DEP_2) | instskip(NEXT) | instid1(VALU_DEP_2)
	v_and_b32_e32 v4, 0xff, v4
	v_and_b32_e32 v5, 0xff, v5
	s_delay_alu instid0(VALU_DEP_1) | instskip(NEXT) | instid1(VALU_DEP_1)
	v_cmp_le_u16_e64 s11, v5, v4
	s_and_b32 s7, s7, s11
	s_delay_alu instid0(SALU_CYCLE_1) | instskip(NEXT) | instid1(SALU_CYCLE_1)
	s_or_b32 s7, s10, s7
	v_cndmask_b32_e64 v4, v50, v51, s7
	v_cndmask_b32_e64 v5, v49, v48, s7
	s_delay_alu instid0(VALU_DEP_2) | instskip(NEXT) | instid1(VALU_DEP_2)
	v_add_nc_u32_e32 v12, 1, v4
	v_add_nc_u32_e32 v5, -1, v5
	v_lshl_add_u32 v4, v4, 3, v9
	s_delay_alu instid0(VALU_DEP_3) | instskip(NEXT) | instid1(VALU_DEP_3)
	v_cndmask_b32_e64 v14, v51, v12, s7
	v_min_u32_e32 v5, v12, v5
	v_cndmask_b32_e64 v12, v12, v50, s7
	s_delay_alu instid0(VALU_DEP_3) | instskip(NEXT) | instid1(VALU_DEP_3)
	v_cmp_lt_u32_e64 s10, v14, v48
	v_add_nc_u32_e32 v5, v10, v5
	s_delay_alu instid0(VALU_DEP_3)
	v_cmp_ge_u32_e64 s14, v12, v49
	ds_load_u8 v5, v5
	s_waitcnt lgkmcnt(0)
	v_cndmask_b32_e64 v28, v5, v23, s7
	v_cndmask_b32_e64 v35, v22, v5, s7
	;; [unrolled: 1-line block ×3, first 2 shown]
	s_delay_alu instid0(VALU_DEP_3) | instskip(NEXT) | instid1(VALU_DEP_3)
	v_and_b32_e32 v5, v28, v11
	v_and_b32_e32 v13, v35, v11
	s_delay_alu instid0(VALU_DEP_2) | instskip(NEXT) | instid1(VALU_DEP_2)
	v_and_b32_e32 v5, 0xff, v5
	v_and_b32_e32 v13, 0xff, v13
	s_delay_alu instid0(VALU_DEP_1) | instskip(NEXT) | instid1(VALU_DEP_1)
	v_cmp_le_u16_e64 s11, v13, v5
	s_and_b32 s10, s10, s11
	s_delay_alu instid0(SALU_CYCLE_1) | instskip(NEXT) | instid1(SALU_CYCLE_1)
	s_or_b32 s10, s14, s10
	v_cndmask_b32_e64 v5, v12, v14, s10
	v_cndmask_b32_e64 v13, v49, v48, s10
	v_cndmask_b32_e64 v39, v28, v35, s10
	s_delay_alu instid0(VALU_DEP_3) | instskip(NEXT) | instid1(VALU_DEP_3)
	v_add_nc_u32_e32 v15, 1, v5
	v_add_nc_u32_e32 v13, -1, v13
	s_delay_alu instid0(VALU_DEP_2) | instskip(NEXT) | instid1(VALU_DEP_2)
	v_cndmask_b32_e64 v14, v14, v15, s10
	v_min_u32_e32 v13, v15, v13
	v_cndmask_b32_e64 v12, v15, v12, s10
	s_delay_alu instid0(VALU_DEP_3) | instskip(NEXT) | instid1(VALU_DEP_3)
	v_cmp_lt_u32_e64 s11, v14, v48
	v_add_nc_u32_e32 v13, v10, v13
	s_delay_alu instid0(VALU_DEP_3) | instskip(SKIP_4) | instid1(VALU_DEP_2)
	v_cmp_ge_u32_e64 s15, v12, v49
	ds_load_u8 v13, v13
	s_waitcnt lgkmcnt(0)
	v_cndmask_b32_e64 v36, v13, v28, s10
	v_cndmask_b32_e64 v37, v35, v13, s10
	v_and_b32_e32 v13, v36, v11
	s_delay_alu instid0(VALU_DEP_2) | instskip(NEXT) | instid1(VALU_DEP_2)
	v_and_b32_e32 v16, v37, v11
	v_and_b32_e32 v13, 0xff, v13
	s_delay_alu instid0(VALU_DEP_2) | instskip(NEXT) | instid1(VALU_DEP_1)
	v_and_b32_e32 v16, 0xff, v16
	v_cmp_le_u16_e64 s14, v16, v13
	s_delay_alu instid0(VALU_DEP_1) | instskip(NEXT) | instid1(SALU_CYCLE_1)
	s_and_b32 s11, s11, s14
	s_or_b32 s11, s15, s11
	s_delay_alu instid0(SALU_CYCLE_1) | instskip(SKIP_1) | instid1(VALU_DEP_2)
	v_cndmask_b32_e64 v13, v12, v14, s11
	v_cndmask_b32_e64 v15, v49, v48, s11
	v_add_nc_u32_e32 v16, 1, v13
	s_delay_alu instid0(VALU_DEP_2) | instskip(NEXT) | instid1(VALU_DEP_2)
	v_add_nc_u32_e32 v15, -1, v15
	v_cndmask_b32_e64 v14, v14, v16, s11
	s_delay_alu instid0(VALU_DEP_2) | instskip(SKIP_1) | instid1(VALU_DEP_3)
	v_min_u32_e32 v15, v16, v15
	v_cndmask_b32_e64 v12, v16, v12, s11
	v_cmp_lt_u32_e64 s14, v14, v48
	s_delay_alu instid0(VALU_DEP_3) | instskip(NEXT) | instid1(VALU_DEP_3)
	v_add_nc_u32_e32 v15, v10, v15
	v_cmp_ge_u32_e64 s16, v12, v49
	ds_load_u8 v15, v15
	s_waitcnt lgkmcnt(0)
	v_cndmask_b32_e64 v50, v15, v36, s11
	v_cndmask_b32_e64 v51, v37, v15, s11
	s_delay_alu instid0(VALU_DEP_2) | instskip(NEXT) | instid1(VALU_DEP_2)
	v_and_b32_e32 v15, v50, v11
	v_and_b32_e32 v17, v51, v11
	s_delay_alu instid0(VALU_DEP_2) | instskip(NEXT) | instid1(VALU_DEP_2)
	v_and_b32_e32 v15, 0xff, v15
	v_and_b32_e32 v17, 0xff, v17
	s_delay_alu instid0(VALU_DEP_1) | instskip(NEXT) | instid1(VALU_DEP_1)
	v_cmp_le_u16_e64 s15, v17, v15
	s_and_b32 s14, s14, s15
	s_delay_alu instid0(SALU_CYCLE_1) | instskip(NEXT) | instid1(SALU_CYCLE_1)
	s_or_b32 s14, s16, s14
	v_cndmask_b32_e64 v15, v12, v14, s14
	v_cndmask_b32_e64 v16, v49, v48, s14
	;; [unrolled: 1-line block ×3, first 2 shown]
	s_delay_alu instid0(VALU_DEP_3) | instskip(NEXT) | instid1(VALU_DEP_3)
	v_add_nc_u32_e32 v17, 1, v15
	v_add_nc_u32_e32 v16, -1, v16
	v_lshl_add_u32 v15, v15, 3, v9
	s_delay_alu instid0(VALU_DEP_3) | instskip(NEXT) | instid1(VALU_DEP_3)
	v_cndmask_b32_e64 v14, v14, v17, s14
	v_min_u32_e32 v16, v17, v16
	v_cndmask_b32_e64 v12, v17, v12, s14
	s_delay_alu instid0(VALU_DEP_3) | instskip(NEXT) | instid1(VALU_DEP_3)
	v_cmp_lt_u32_e64 s15, v14, v48
	v_add_nc_u32_e32 v16, v10, v16
	s_delay_alu instid0(VALU_DEP_3) | instskip(SKIP_4) | instid1(VALU_DEP_2)
	v_cmp_ge_u32_e64 s17, v12, v49
	ds_load_u8 v16, v16
	s_waitcnt lgkmcnt(0)
	v_cndmask_b32_e64 v52, v16, v50, s14
	v_cndmask_b32_e64 v53, v51, v16, s14
	v_and_b32_e32 v16, v52, v11
	s_delay_alu instid0(VALU_DEP_2) | instskip(NEXT) | instid1(VALU_DEP_2)
	v_and_b32_e32 v18, v53, v11
	v_and_b32_e32 v16, 0xff, v16
	s_delay_alu instid0(VALU_DEP_2) | instskip(NEXT) | instid1(VALU_DEP_1)
	v_and_b32_e32 v18, 0xff, v18
	v_cmp_le_u16_e64 s16, v18, v16
	s_delay_alu instid0(VALU_DEP_1) | instskip(NEXT) | instid1(SALU_CYCLE_1)
	s_and_b32 s15, s15, s16
	s_or_b32 s15, s17, s15
	s_delay_alu instid0(SALU_CYCLE_1) | instskip(SKIP_2) | instid1(VALU_DEP_3)
	v_cndmask_b32_e64 v18, v12, v14, s15
	v_cndmask_b32_e64 v16, v49, v48, s15
	;; [unrolled: 1-line block ×3, first 2 shown]
	v_add_nc_u32_e32 v17, 1, v18
	s_delay_alu instid0(VALU_DEP_3) | instskip(SKIP_1) | instid1(VALU_DEP_3)
	v_add_nc_u32_e32 v16, -1, v16
	v_lshl_add_u32 v18, v18, 3, v9
	v_cndmask_b32_e64 v14, v14, v17, s15
	s_delay_alu instid0(VALU_DEP_3) | instskip(SKIP_1) | instid1(VALU_DEP_3)
	v_min_u32_e32 v16, v17, v16
	v_cndmask_b32_e64 v12, v17, v12, s15
	v_cmp_lt_u32_e64 s16, v14, v48
	s_delay_alu instid0(VALU_DEP_3) | instskip(NEXT) | instid1(VALU_DEP_3)
	v_add_nc_u32_e32 v16, v10, v16
	v_cmp_ge_u32_e64 s18, v12, v49
	ds_load_u8 v16, v16
	s_waitcnt lgkmcnt(0)
	v_cndmask_b32_e64 v54, v16, v52, s15
	v_cndmask_b32_e64 v55, v53, v16, s15
	s_delay_alu instid0(VALU_DEP_2) | instskip(NEXT) | instid1(VALU_DEP_2)
	v_and_b32_e32 v16, v54, v11
	v_and_b32_e32 v19, v55, v11
	s_delay_alu instid0(VALU_DEP_2) | instskip(NEXT) | instid1(VALU_DEP_2)
	v_and_b32_e32 v16, 0xff, v16
	v_and_b32_e32 v19, 0xff, v19
	s_delay_alu instid0(VALU_DEP_1) | instskip(NEXT) | instid1(VALU_DEP_1)
	v_cmp_le_u16_e64 s17, v19, v16
	s_and_b32 s16, s16, s17
	s_delay_alu instid0(SALU_CYCLE_1) | instskip(NEXT) | instid1(SALU_CYCLE_1)
	s_or_b32 s16, s18, s16
	v_cndmask_b32_e64 v19, v12, v14, s16
	v_cndmask_b32_e64 v16, v49, v48, s16
	s_delay_alu instid0(VALU_DEP_2) | instskip(NEXT) | instid1(VALU_DEP_2)
	v_add_nc_u32_e32 v17, 1, v19
	v_add_nc_u32_e32 v16, -1, v16
	v_lshl_add_u32 v19, v19, 3, v9
	s_delay_alu instid0(VALU_DEP_3) | instskip(NEXT) | instid1(VALU_DEP_3)
	v_cndmask_b32_e64 v14, v14, v17, s16
	v_min_u32_e32 v16, v17, v16
	v_cndmask_b32_e64 v12, v17, v12, s16
	s_delay_alu instid0(VALU_DEP_3) | instskip(NEXT) | instid1(VALU_DEP_3)
	v_cmp_lt_u32_e64 s17, v14, v48
	v_add_nc_u32_e32 v16, v10, v16
	s_delay_alu instid0(VALU_DEP_3) | instskip(SKIP_4) | instid1(VALU_DEP_2)
	v_cmp_ge_u32_e64 s19, v12, v49
	ds_load_u8 v16, v16
	s_waitcnt lgkmcnt(0)
	v_cndmask_b32_e64 v64, v16, v54, s16
	v_cndmask_b32_e64 v65, v55, v16, s16
	v_and_b32_e32 v16, v64, v11
	s_delay_alu instid0(VALU_DEP_2) | instskip(NEXT) | instid1(VALU_DEP_2)
	v_and_b32_e32 v20, v65, v11
	v_and_b32_e32 v16, 0xff, v16
	s_delay_alu instid0(VALU_DEP_2) | instskip(NEXT) | instid1(VALU_DEP_1)
	v_and_b32_e32 v20, 0xff, v20
	v_cmp_le_u16_e64 s18, v20, v16
	s_delay_alu instid0(VALU_DEP_1) | instskip(NEXT) | instid1(SALU_CYCLE_1)
	s_and_b32 s17, s17, s18
	s_or_b32 s17, s19, s17
	s_delay_alu instid0(SALU_CYCLE_1) | instskip(SKIP_2) | instid1(VALU_DEP_3)
	v_cndmask_b32_e64 v20, v12, v14, s17
	v_cndmask_b32_e64 v16, v49, v48, s17
	;; [unrolled: 1-line block ×3, first 2 shown]
	v_add_nc_u32_e32 v17, 1, v20
	s_delay_alu instid0(VALU_DEP_3) | instskip(SKIP_1) | instid1(VALU_DEP_3)
	v_add_nc_u32_e32 v16, -1, v16
	v_lshl_add_u32 v38, v20, 3, v9
	v_cndmask_b32_e64 v14, v14, v17, s17
	s_delay_alu instid0(VALU_DEP_3) | instskip(SKIP_2) | instid1(VALU_DEP_4)
	v_min_u32_e32 v16, v17, v16
	v_cndmask_b32_e64 v24, v17, v12, s17
	v_lshl_add_u32 v12, v5, 3, v9
	v_cmp_lt_u32_e64 s18, v14, v48
	s_delay_alu instid0(VALU_DEP_4) | instskip(NEXT) | instid1(VALU_DEP_4)
	v_add_nc_u32_e32 v16, v10, v16
	v_cmp_ge_u32_e64 s20, v24, v49
	ds_load_u8 v16, v16
	s_waitcnt lgkmcnt(0)
	v_cndmask_b32_e64 v66, v16, v64, s17
	v_cndmask_b32_e64 v67, v65, v16, s17
	s_delay_alu instid0(VALU_DEP_2) | instskip(NEXT) | instid1(VALU_DEP_2)
	v_and_b32_e32 v16, v66, v11
	v_and_b32_e32 v21, v67, v11
	s_delay_alu instid0(VALU_DEP_2) | instskip(NEXT) | instid1(VALU_DEP_2)
	v_and_b32_e32 v16, 0xff, v16
	v_and_b32_e32 v21, 0xff, v21
	s_delay_alu instid0(VALU_DEP_1)
	v_cmp_le_u16_e64 s19, v21, v16
	v_lshl_add_u32 v16, v13, 3, v9
	ds_load_b64 v[4:5], v4 offset:2048
	ds_load_b64 v[12:13], v12 offset:2048
	s_and_b32 s18, s18, s19
	ds_load_b64 v[16:17], v16 offset:2048
	s_or_b32 s18, s20, s18
	s_delay_alu instid0(SALU_CYCLE_1) | instskip(NEXT) | instid1(VALU_DEP_1)
	v_cndmask_b32_e64 v14, v24, v14, s18
	v_lshl_add_u32 v14, v14, 3, v9
	ds_load_b64 v[24:25], v15 offset:2048
	ds_load_b64 v[26:27], v18 offset:2048
	;; [unrolled: 1-line block ×5, first 2 shown]
	v_cndmask_b32_e64 v38, v36, v37, s11
	v_cndmask_b32_e64 v37, v54, v55, s16
	;; [unrolled: 1-line block ×3, first 2 shown]
.LBB203_40:
	s_or_b32 exec_lo, exec_lo, s22
	v_and_b32_e32 v51, 0xe0, v34
	v_and_b32_e32 v52, 24, v34
	s_mov_b32 s10, exec_lo
	; wave barrier
	s_delay_alu instid0(VALU_DEP_2) | instskip(NEXT) | instid1(VALU_DEP_2)
	v_or_b32_e32 v48, 16, v51
	v_min_u32_e32 v52, v29, v52
	s_delay_alu instid0(VALU_DEP_2)
	v_min_u32_e32 v49, v29, v48
	v_add_nc_u32_e32 v48, v10, v34
	ds_store_b8 v48, v22
	s_waitcnt lgkmcnt(8)
	ds_store_b64 v30, v[4:5] offset:2048
	ds_store_b8 v48, v39 offset:1
	s_waitcnt lgkmcnt(9)
	ds_store_b64 v31, v[12:13] offset:8
	v_add_nc_u32_e32 v50, 16, v49
	v_sub_nc_u32_e32 v54, v49, v51
	ds_store_b8 v48, v38 offset:2
	s_waitcnt lgkmcnt(10)
	ds_store_b64 v31, v[16:17] offset:16
	ds_store_b8 v48, v28 offset:3
	s_waitcnt lgkmcnt(11)
	ds_store_b64 v31, v[24:25] offset:24
	;; [unrolled: 3-line block ×6, first 2 shown]
	v_min_u32_e32 v50, v29, v50
	v_min_u32_e32 v54, v52, v54
	; wave barrier
	s_delay_alu instid0(VALU_DEP_2) | instskip(NEXT) | instid1(VALU_DEP_1)
	v_sub_nc_u32_e32 v53, v50, v49
	v_sub_nc_u32_e64 v53, v52, v53 clamp
	s_delay_alu instid0(VALU_DEP_1)
	v_cmpx_lt_u32_e64 v53, v54
	s_cbranch_execz .LBB203_44
; %bb.41:
	v_add_nc_u32_e32 v55, v10, v51
	v_add3_u32 v64, v10, v49, v52
	s_mov_b32 s11, 0
	.p2align	6
.LBB203_42:                             ; =>This Inner Loop Header: Depth=1
	v_add_nc_u32_e32 v65, v54, v53
	s_delay_alu instid0(VALU_DEP_1) | instskip(NEXT) | instid1(VALU_DEP_1)
	v_lshrrev_b32_e32 v65, 1, v65
	v_xad_u32 v66, v65, -1, v64
	v_add_nc_u32_e32 v67, v55, v65
	v_add_nc_u32_e32 v68, 1, v65
	ds_load_u8 v66, v66
	ds_load_u8 v67, v67
	s_waitcnt lgkmcnt(1)
	v_and_b32_e32 v66, v66, v11
	s_waitcnt lgkmcnt(0)
	v_and_b32_e32 v67, v67, v11
	s_delay_alu instid0(VALU_DEP_2) | instskip(NEXT) | instid1(VALU_DEP_2)
	v_and_b32_e32 v66, 0xff, v66
	v_and_b32_e32 v67, 0xff, v67
	s_delay_alu instid0(VALU_DEP_1) | instskip(NEXT) | instid1(VALU_DEP_1)
	v_cmp_gt_u16_e64 s7, v67, v66
	v_cndmask_b32_e64 v54, v54, v65, s7
	v_cndmask_b32_e64 v53, v68, v53, s7
	s_delay_alu instid0(VALU_DEP_1) | instskip(NEXT) | instid1(VALU_DEP_1)
	v_cmp_ge_u32_e64 s7, v53, v54
	s_or_b32 s11, s7, s11
	s_delay_alu instid0(SALU_CYCLE_1)
	s_and_not1_b32 exec_lo, exec_lo, s11
	s_cbranch_execnz .LBB203_42
; %bb.43:
	s_or_b32 exec_lo, exec_lo, s11
.LBB203_44:
	s_delay_alu instid0(SALU_CYCLE_1) | instskip(SKIP_2) | instid1(VALU_DEP_2)
	s_or_b32 exec_lo, exec_lo, s10
	v_add_nc_u32_e32 v54, v49, v52
	v_add_nc_u32_e32 v52, v53, v51
	v_sub_nc_u32_e32 v51, v54, v53
	s_delay_alu instid0(VALU_DEP_2) | instskip(NEXT) | instid1(VALU_DEP_2)
	v_cmp_le_u32_e64 s7, v52, v49
	v_cmp_le_u32_e64 s10, v51, v50
	s_delay_alu instid0(VALU_DEP_1) | instskip(NEXT) | instid1(SALU_CYCLE_1)
	s_or_b32 s7, s7, s10
	s_and_saveexec_b32 s22, s7
	s_cbranch_execz .LBB203_50
; %bb.45:
	v_cmp_lt_u32_e64 s7, v52, v49
                                        ; implicit-def: $vgpr22
	s_delay_alu instid0(VALU_DEP_1)
	s_and_saveexec_b32 s10, s7
	s_cbranch_execz .LBB203_47
; %bb.46:
	v_add_nc_u32_e32 v4, v10, v52
	ds_load_u8 v22, v4
.LBB203_47:
	s_or_b32 exec_lo, exec_lo, s10
	v_cmp_ge_u32_e64 s10, v51, v50
	s_mov_b32 s14, exec_lo
                                        ; implicit-def: $vgpr23
	v_cmpx_lt_u32_e64 v51, v50
	s_cbranch_execz .LBB203_49
; %bb.48:
	v_add_nc_u32_e32 v4, v10, v51
	ds_load_u8 v23, v4
.LBB203_49:
	s_or_b32 exec_lo, exec_lo, s14
	s_waitcnt lgkmcnt(0)
	v_and_b32_e32 v4, v23, v11
	v_and_b32_e32 v5, v22, v11
	s_delay_alu instid0(VALU_DEP_2) | instskip(NEXT) | instid1(VALU_DEP_2)
	v_and_b32_e32 v4, 0xff, v4
	v_and_b32_e32 v5, 0xff, v5
	s_delay_alu instid0(VALU_DEP_1) | instskip(NEXT) | instid1(VALU_DEP_1)
	v_cmp_le_u16_e64 s11, v5, v4
	s_and_b32 s7, s7, s11
	s_delay_alu instid0(SALU_CYCLE_1) | instskip(NEXT) | instid1(SALU_CYCLE_1)
	s_or_b32 s7, s10, s7
	v_cndmask_b32_e64 v4, v51, v52, s7
	v_cndmask_b32_e64 v5, v50, v49, s7
	s_delay_alu instid0(VALU_DEP_2) | instskip(NEXT) | instid1(VALU_DEP_2)
	v_add_nc_u32_e32 v12, 1, v4
	v_add_nc_u32_e32 v5, -1, v5
	v_lshl_add_u32 v4, v4, 3, v9
	s_delay_alu instid0(VALU_DEP_3) | instskip(NEXT) | instid1(VALU_DEP_3)
	v_cndmask_b32_e64 v14, v52, v12, s7
	v_min_u32_e32 v5, v12, v5
	v_cndmask_b32_e64 v12, v12, v51, s7
	s_delay_alu instid0(VALU_DEP_3) | instskip(NEXT) | instid1(VALU_DEP_3)
	v_cmp_lt_u32_e64 s10, v14, v49
	v_add_nc_u32_e32 v5, v10, v5
	s_delay_alu instid0(VALU_DEP_3)
	v_cmp_ge_u32_e64 s14, v12, v50
	ds_load_u8 v5, v5
	s_waitcnt lgkmcnt(0)
	v_cndmask_b32_e64 v28, v5, v23, s7
	v_cndmask_b32_e64 v35, v22, v5, s7
	;; [unrolled: 1-line block ×3, first 2 shown]
	s_delay_alu instid0(VALU_DEP_3) | instskip(NEXT) | instid1(VALU_DEP_3)
	v_and_b32_e32 v5, v28, v11
	v_and_b32_e32 v13, v35, v11
	s_delay_alu instid0(VALU_DEP_2) | instskip(NEXT) | instid1(VALU_DEP_2)
	v_and_b32_e32 v5, 0xff, v5
	v_and_b32_e32 v13, 0xff, v13
	s_delay_alu instid0(VALU_DEP_1) | instskip(NEXT) | instid1(VALU_DEP_1)
	v_cmp_le_u16_e64 s11, v13, v5
	s_and_b32 s10, s10, s11
	s_delay_alu instid0(SALU_CYCLE_1) | instskip(NEXT) | instid1(SALU_CYCLE_1)
	s_or_b32 s10, s14, s10
	v_cndmask_b32_e64 v5, v12, v14, s10
	v_cndmask_b32_e64 v13, v50, v49, s10
	v_cndmask_b32_e64 v39, v28, v35, s10
	s_delay_alu instid0(VALU_DEP_3) | instskip(NEXT) | instid1(VALU_DEP_3)
	v_add_nc_u32_e32 v15, 1, v5
	v_add_nc_u32_e32 v13, -1, v13
	s_delay_alu instid0(VALU_DEP_2) | instskip(NEXT) | instid1(VALU_DEP_2)
	v_cndmask_b32_e64 v14, v14, v15, s10
	v_min_u32_e32 v13, v15, v13
	v_cndmask_b32_e64 v12, v15, v12, s10
	s_delay_alu instid0(VALU_DEP_3) | instskip(NEXT) | instid1(VALU_DEP_3)
	v_cmp_lt_u32_e64 s11, v14, v49
	v_add_nc_u32_e32 v13, v10, v13
	s_delay_alu instid0(VALU_DEP_3) | instskip(SKIP_4) | instid1(VALU_DEP_2)
	v_cmp_ge_u32_e64 s15, v12, v50
	ds_load_u8 v13, v13
	s_waitcnt lgkmcnt(0)
	v_cndmask_b32_e64 v36, v13, v28, s10
	v_cndmask_b32_e64 v37, v35, v13, s10
	v_and_b32_e32 v13, v36, v11
	s_delay_alu instid0(VALU_DEP_2) | instskip(NEXT) | instid1(VALU_DEP_2)
	v_and_b32_e32 v16, v37, v11
	v_and_b32_e32 v13, 0xff, v13
	s_delay_alu instid0(VALU_DEP_2) | instskip(NEXT) | instid1(VALU_DEP_1)
	v_and_b32_e32 v16, 0xff, v16
	v_cmp_le_u16_e64 s14, v16, v13
	s_delay_alu instid0(VALU_DEP_1) | instskip(NEXT) | instid1(SALU_CYCLE_1)
	s_and_b32 s11, s11, s14
	s_or_b32 s11, s15, s11
	s_delay_alu instid0(SALU_CYCLE_1) | instskip(SKIP_1) | instid1(VALU_DEP_2)
	v_cndmask_b32_e64 v13, v12, v14, s11
	v_cndmask_b32_e64 v15, v50, v49, s11
	v_add_nc_u32_e32 v16, 1, v13
	s_delay_alu instid0(VALU_DEP_2) | instskip(NEXT) | instid1(VALU_DEP_2)
	v_add_nc_u32_e32 v15, -1, v15
	v_cndmask_b32_e64 v14, v14, v16, s11
	s_delay_alu instid0(VALU_DEP_2) | instskip(SKIP_1) | instid1(VALU_DEP_3)
	v_min_u32_e32 v15, v16, v15
	v_cndmask_b32_e64 v12, v16, v12, s11
	v_cmp_lt_u32_e64 s14, v14, v49
	s_delay_alu instid0(VALU_DEP_3) | instskip(NEXT) | instid1(VALU_DEP_3)
	v_add_nc_u32_e32 v15, v10, v15
	v_cmp_ge_u32_e64 s16, v12, v50
	ds_load_u8 v15, v15
	s_waitcnt lgkmcnt(0)
	v_cndmask_b32_e64 v51, v15, v36, s11
	v_cndmask_b32_e64 v52, v37, v15, s11
	s_delay_alu instid0(VALU_DEP_2) | instskip(NEXT) | instid1(VALU_DEP_2)
	v_and_b32_e32 v15, v51, v11
	v_and_b32_e32 v17, v52, v11
	s_delay_alu instid0(VALU_DEP_2) | instskip(NEXT) | instid1(VALU_DEP_2)
	v_and_b32_e32 v15, 0xff, v15
	v_and_b32_e32 v17, 0xff, v17
	s_delay_alu instid0(VALU_DEP_1) | instskip(NEXT) | instid1(VALU_DEP_1)
	v_cmp_le_u16_e64 s15, v17, v15
	s_and_b32 s14, s14, s15
	s_delay_alu instid0(SALU_CYCLE_1) | instskip(NEXT) | instid1(SALU_CYCLE_1)
	s_or_b32 s14, s16, s14
	v_cndmask_b32_e64 v15, v12, v14, s14
	v_cndmask_b32_e64 v16, v50, v49, s14
	;; [unrolled: 1-line block ×3, first 2 shown]
	s_delay_alu instid0(VALU_DEP_3) | instskip(NEXT) | instid1(VALU_DEP_3)
	v_add_nc_u32_e32 v17, 1, v15
	v_add_nc_u32_e32 v16, -1, v16
	v_lshl_add_u32 v15, v15, 3, v9
	s_delay_alu instid0(VALU_DEP_3) | instskip(NEXT) | instid1(VALU_DEP_3)
	v_cndmask_b32_e64 v14, v14, v17, s14
	v_min_u32_e32 v16, v17, v16
	v_cndmask_b32_e64 v12, v17, v12, s14
	s_delay_alu instid0(VALU_DEP_3) | instskip(NEXT) | instid1(VALU_DEP_3)
	v_cmp_lt_u32_e64 s15, v14, v49
	v_add_nc_u32_e32 v16, v10, v16
	s_delay_alu instid0(VALU_DEP_3) | instskip(SKIP_4) | instid1(VALU_DEP_2)
	v_cmp_ge_u32_e64 s17, v12, v50
	ds_load_u8 v16, v16
	s_waitcnt lgkmcnt(0)
	v_cndmask_b32_e64 v53, v16, v51, s14
	v_cndmask_b32_e64 v54, v52, v16, s14
	v_and_b32_e32 v16, v53, v11
	s_delay_alu instid0(VALU_DEP_2) | instskip(NEXT) | instid1(VALU_DEP_2)
	v_and_b32_e32 v18, v54, v11
	v_and_b32_e32 v16, 0xff, v16
	s_delay_alu instid0(VALU_DEP_2) | instskip(NEXT) | instid1(VALU_DEP_1)
	v_and_b32_e32 v18, 0xff, v18
	v_cmp_le_u16_e64 s16, v18, v16
	s_delay_alu instid0(VALU_DEP_1) | instskip(NEXT) | instid1(SALU_CYCLE_1)
	s_and_b32 s15, s15, s16
	s_or_b32 s15, s17, s15
	s_delay_alu instid0(SALU_CYCLE_1) | instskip(SKIP_2) | instid1(VALU_DEP_3)
	v_cndmask_b32_e64 v18, v12, v14, s15
	v_cndmask_b32_e64 v16, v50, v49, s15
	;; [unrolled: 1-line block ×3, first 2 shown]
	v_add_nc_u32_e32 v17, 1, v18
	s_delay_alu instid0(VALU_DEP_3) | instskip(SKIP_1) | instid1(VALU_DEP_3)
	v_add_nc_u32_e32 v16, -1, v16
	v_lshl_add_u32 v18, v18, 3, v9
	v_cndmask_b32_e64 v14, v14, v17, s15
	s_delay_alu instid0(VALU_DEP_3) | instskip(SKIP_1) | instid1(VALU_DEP_3)
	v_min_u32_e32 v16, v17, v16
	v_cndmask_b32_e64 v12, v17, v12, s15
	v_cmp_lt_u32_e64 s16, v14, v49
	s_delay_alu instid0(VALU_DEP_3) | instskip(NEXT) | instid1(VALU_DEP_3)
	v_add_nc_u32_e32 v16, v10, v16
	v_cmp_ge_u32_e64 s18, v12, v50
	ds_load_u8 v16, v16
	s_waitcnt lgkmcnt(0)
	v_cndmask_b32_e64 v55, v16, v53, s15
	v_cndmask_b32_e64 v64, v54, v16, s15
	s_delay_alu instid0(VALU_DEP_2) | instskip(NEXT) | instid1(VALU_DEP_2)
	v_and_b32_e32 v16, v55, v11
	v_and_b32_e32 v19, v64, v11
	s_delay_alu instid0(VALU_DEP_2) | instskip(NEXT) | instid1(VALU_DEP_2)
	v_and_b32_e32 v16, 0xff, v16
	v_and_b32_e32 v19, 0xff, v19
	s_delay_alu instid0(VALU_DEP_1) | instskip(NEXT) | instid1(VALU_DEP_1)
	v_cmp_le_u16_e64 s17, v19, v16
	s_and_b32 s16, s16, s17
	s_delay_alu instid0(SALU_CYCLE_1) | instskip(NEXT) | instid1(SALU_CYCLE_1)
	s_or_b32 s16, s18, s16
	v_cndmask_b32_e64 v19, v12, v14, s16
	v_cndmask_b32_e64 v16, v50, v49, s16
	s_delay_alu instid0(VALU_DEP_2) | instskip(NEXT) | instid1(VALU_DEP_2)
	v_add_nc_u32_e32 v17, 1, v19
	v_add_nc_u32_e32 v16, -1, v16
	v_lshl_add_u32 v19, v19, 3, v9
	s_delay_alu instid0(VALU_DEP_3) | instskip(NEXT) | instid1(VALU_DEP_3)
	v_cndmask_b32_e64 v14, v14, v17, s16
	v_min_u32_e32 v16, v17, v16
	v_cndmask_b32_e64 v12, v17, v12, s16
	s_delay_alu instid0(VALU_DEP_3) | instskip(NEXT) | instid1(VALU_DEP_3)
	v_cmp_lt_u32_e64 s17, v14, v49
	v_add_nc_u32_e32 v16, v10, v16
	s_delay_alu instid0(VALU_DEP_3) | instskip(SKIP_4) | instid1(VALU_DEP_2)
	v_cmp_ge_u32_e64 s19, v12, v50
	ds_load_u8 v16, v16
	s_waitcnt lgkmcnt(0)
	v_cndmask_b32_e64 v65, v16, v55, s16
	v_cndmask_b32_e64 v66, v64, v16, s16
	v_and_b32_e32 v16, v65, v11
	s_delay_alu instid0(VALU_DEP_2) | instskip(NEXT) | instid1(VALU_DEP_2)
	v_and_b32_e32 v20, v66, v11
	v_and_b32_e32 v16, 0xff, v16
	s_delay_alu instid0(VALU_DEP_2) | instskip(NEXT) | instid1(VALU_DEP_1)
	v_and_b32_e32 v20, 0xff, v20
	v_cmp_le_u16_e64 s18, v20, v16
	s_delay_alu instid0(VALU_DEP_1) | instskip(NEXT) | instid1(SALU_CYCLE_1)
	s_and_b32 s17, s17, s18
	s_or_b32 s17, s19, s17
	s_delay_alu instid0(SALU_CYCLE_1) | instskip(SKIP_2) | instid1(VALU_DEP_3)
	v_cndmask_b32_e64 v20, v12, v14, s17
	v_cndmask_b32_e64 v16, v50, v49, s17
	;; [unrolled: 1-line block ×3, first 2 shown]
	v_add_nc_u32_e32 v17, 1, v20
	s_delay_alu instid0(VALU_DEP_3) | instskip(SKIP_1) | instid1(VALU_DEP_3)
	v_add_nc_u32_e32 v16, -1, v16
	v_lshl_add_u32 v38, v20, 3, v9
	v_cndmask_b32_e64 v14, v14, v17, s17
	s_delay_alu instid0(VALU_DEP_3) | instskip(SKIP_2) | instid1(VALU_DEP_4)
	v_min_u32_e32 v16, v17, v16
	v_cndmask_b32_e64 v24, v17, v12, s17
	v_lshl_add_u32 v12, v5, 3, v9
	v_cmp_lt_u32_e64 s18, v14, v49
	s_delay_alu instid0(VALU_DEP_4) | instskip(NEXT) | instid1(VALU_DEP_4)
	v_add_nc_u32_e32 v16, v10, v16
	v_cmp_ge_u32_e64 s20, v24, v50
	ds_load_u8 v16, v16
	s_waitcnt lgkmcnt(0)
	v_cndmask_b32_e64 v67, v16, v65, s17
	v_cndmask_b32_e64 v68, v66, v16, s17
	s_delay_alu instid0(VALU_DEP_2) | instskip(NEXT) | instid1(VALU_DEP_2)
	v_and_b32_e32 v16, v67, v11
	v_and_b32_e32 v21, v68, v11
	s_delay_alu instid0(VALU_DEP_2) | instskip(NEXT) | instid1(VALU_DEP_2)
	v_and_b32_e32 v16, 0xff, v16
	v_and_b32_e32 v21, 0xff, v21
	s_delay_alu instid0(VALU_DEP_1)
	v_cmp_le_u16_e64 s19, v21, v16
	v_lshl_add_u32 v16, v13, 3, v9
	ds_load_b64 v[4:5], v4 offset:2048
	ds_load_b64 v[12:13], v12 offset:2048
	s_and_b32 s18, s18, s19
	ds_load_b64 v[16:17], v16 offset:2048
	s_or_b32 s18, s20, s18
	s_delay_alu instid0(SALU_CYCLE_1) | instskip(NEXT) | instid1(VALU_DEP_1)
	v_cndmask_b32_e64 v14, v24, v14, s18
	v_lshl_add_u32 v14, v14, 3, v9
	ds_load_b64 v[24:25], v15 offset:2048
	ds_load_b64 v[26:27], v18 offset:2048
	ds_load_b64 v[20:21], v19 offset:2048
	ds_load_b64 v[18:19], v38 offset:2048
	ds_load_b64 v[14:15], v14 offset:2048
	v_cndmask_b32_e64 v38, v36, v37, s11
	v_cndmask_b32_e64 v37, v55, v64, s16
	v_cndmask_b32_e64 v36, v67, v68, s18
.LBB203_50:
	s_or_b32 exec_lo, exec_lo, s22
	v_and_b32_e32 v51, 0xc0, v34
	v_and_b32_e32 v52, 56, v34
	s_mov_b32 s10, exec_lo
	; wave barrier
	s_delay_alu instid0(VALU_DEP_2) | instskip(NEXT) | instid1(VALU_DEP_2)
	v_or_b32_e32 v49, 32, v51
	v_min_u32_e32 v52, v29, v52
	ds_store_b8 v48, v22
	s_waitcnt lgkmcnt(8)
	ds_store_b64 v30, v[4:5] offset:2048
	ds_store_b8 v48, v39 offset:1
	s_waitcnt lgkmcnt(9)
	ds_store_b64 v31, v[12:13] offset:8
	ds_store_b8 v48, v38 offset:2
	;; [unrolled: 3-line block ×3, first 2 shown]
	v_min_u32_e32 v49, v29, v49
	s_waitcnt lgkmcnt(11)
	ds_store_b64 v31, v[24:25] offset:24
	ds_store_b8 v48, v23 offset:4
	s_waitcnt lgkmcnt(12)
	ds_store_b64 v31, v[26:27] offset:32
	ds_store_b8 v48, v37 offset:5
	;; [unrolled: 3-line block ×4, first 2 shown]
	s_waitcnt lgkmcnt(15)
	ds_store_b64 v31, v[14:15] offset:56
	; wave barrier
	v_add_nc_u32_e32 v50, 32, v49
	v_sub_nc_u32_e32 v54, v49, v51
	s_delay_alu instid0(VALU_DEP_2) | instskip(NEXT) | instid1(VALU_DEP_2)
	v_min_u32_e32 v50, v29, v50
	v_min_u32_e32 v54, v52, v54
	s_delay_alu instid0(VALU_DEP_2) | instskip(NEXT) | instid1(VALU_DEP_1)
	v_sub_nc_u32_e32 v53, v50, v49
	v_sub_nc_u32_e64 v53, v52, v53 clamp
	s_delay_alu instid0(VALU_DEP_1)
	v_cmpx_lt_u32_e64 v53, v54
	s_cbranch_execz .LBB203_54
; %bb.51:
	v_add_nc_u32_e32 v55, v10, v51
	v_add3_u32 v64, v10, v49, v52
	s_mov_b32 s11, 0
	.p2align	6
.LBB203_52:                             ; =>This Inner Loop Header: Depth=1
	v_add_nc_u32_e32 v65, v54, v53
	s_delay_alu instid0(VALU_DEP_1) | instskip(NEXT) | instid1(VALU_DEP_1)
	v_lshrrev_b32_e32 v65, 1, v65
	v_xad_u32 v66, v65, -1, v64
	v_add_nc_u32_e32 v67, v55, v65
	v_add_nc_u32_e32 v68, 1, v65
	ds_load_u8 v66, v66
	ds_load_u8 v67, v67
	s_waitcnt lgkmcnt(1)
	v_and_b32_e32 v66, v66, v11
	s_waitcnt lgkmcnt(0)
	v_and_b32_e32 v67, v67, v11
	s_delay_alu instid0(VALU_DEP_2) | instskip(NEXT) | instid1(VALU_DEP_2)
	v_and_b32_e32 v66, 0xff, v66
	v_and_b32_e32 v67, 0xff, v67
	s_delay_alu instid0(VALU_DEP_1) | instskip(NEXT) | instid1(VALU_DEP_1)
	v_cmp_gt_u16_e64 s7, v67, v66
	v_cndmask_b32_e64 v54, v54, v65, s7
	v_cndmask_b32_e64 v53, v68, v53, s7
	s_delay_alu instid0(VALU_DEP_1) | instskip(NEXT) | instid1(VALU_DEP_1)
	v_cmp_ge_u32_e64 s7, v53, v54
	s_or_b32 s11, s7, s11
	s_delay_alu instid0(SALU_CYCLE_1)
	s_and_not1_b32 exec_lo, exec_lo, s11
	s_cbranch_execnz .LBB203_52
; %bb.53:
	s_or_b32 exec_lo, exec_lo, s11
.LBB203_54:
	s_delay_alu instid0(SALU_CYCLE_1) | instskip(SKIP_2) | instid1(VALU_DEP_2)
	s_or_b32 exec_lo, exec_lo, s10
	v_add_nc_u32_e32 v54, v49, v52
	v_add_nc_u32_e32 v52, v53, v51
	v_sub_nc_u32_e32 v51, v54, v53
	s_delay_alu instid0(VALU_DEP_2) | instskip(NEXT) | instid1(VALU_DEP_2)
	v_cmp_le_u32_e64 s7, v52, v49
	v_cmp_le_u32_e64 s10, v51, v50
	s_delay_alu instid0(VALU_DEP_1) | instskip(NEXT) | instid1(SALU_CYCLE_1)
	s_or_b32 s7, s7, s10
	s_and_saveexec_b32 s22, s7
	s_cbranch_execz .LBB203_60
; %bb.55:
	v_cmp_lt_u32_e64 s7, v52, v49
                                        ; implicit-def: $vgpr22
	s_delay_alu instid0(VALU_DEP_1)
	s_and_saveexec_b32 s10, s7
	s_cbranch_execz .LBB203_57
; %bb.56:
	v_add_nc_u32_e32 v4, v10, v52
	ds_load_u8 v22, v4
.LBB203_57:
	s_or_b32 exec_lo, exec_lo, s10
	v_cmp_ge_u32_e64 s10, v51, v50
	s_mov_b32 s14, exec_lo
                                        ; implicit-def: $vgpr23
	v_cmpx_lt_u32_e64 v51, v50
	s_cbranch_execz .LBB203_59
; %bb.58:
	v_add_nc_u32_e32 v4, v10, v51
	ds_load_u8 v23, v4
.LBB203_59:
	s_or_b32 exec_lo, exec_lo, s14
	s_waitcnt lgkmcnt(0)
	v_and_b32_e32 v4, v23, v11
	v_and_b32_e32 v5, v22, v11
	s_delay_alu instid0(VALU_DEP_2) | instskip(NEXT) | instid1(VALU_DEP_2)
	v_and_b32_e32 v4, 0xff, v4
	v_and_b32_e32 v5, 0xff, v5
	s_delay_alu instid0(VALU_DEP_1) | instskip(NEXT) | instid1(VALU_DEP_1)
	v_cmp_le_u16_e64 s11, v5, v4
	s_and_b32 s7, s7, s11
	s_delay_alu instid0(SALU_CYCLE_1) | instskip(NEXT) | instid1(SALU_CYCLE_1)
	s_or_b32 s7, s10, s7
	v_cndmask_b32_e64 v4, v51, v52, s7
	v_cndmask_b32_e64 v5, v50, v49, s7
	s_delay_alu instid0(VALU_DEP_2) | instskip(NEXT) | instid1(VALU_DEP_2)
	v_add_nc_u32_e32 v12, 1, v4
	v_add_nc_u32_e32 v5, -1, v5
	v_lshl_add_u32 v4, v4, 3, v9
	s_delay_alu instid0(VALU_DEP_3) | instskip(NEXT) | instid1(VALU_DEP_3)
	v_cndmask_b32_e64 v14, v52, v12, s7
	v_min_u32_e32 v5, v12, v5
	v_cndmask_b32_e64 v12, v12, v51, s7
	s_delay_alu instid0(VALU_DEP_3) | instskip(NEXT) | instid1(VALU_DEP_3)
	v_cmp_lt_u32_e64 s10, v14, v49
	v_add_nc_u32_e32 v5, v10, v5
	s_delay_alu instid0(VALU_DEP_3)
	v_cmp_ge_u32_e64 s14, v12, v50
	ds_load_u8 v5, v5
	s_waitcnt lgkmcnt(0)
	v_cndmask_b32_e64 v28, v5, v23, s7
	v_cndmask_b32_e64 v35, v22, v5, s7
	;; [unrolled: 1-line block ×3, first 2 shown]
	s_delay_alu instid0(VALU_DEP_3) | instskip(NEXT) | instid1(VALU_DEP_3)
	v_and_b32_e32 v5, v28, v11
	v_and_b32_e32 v13, v35, v11
	s_delay_alu instid0(VALU_DEP_2) | instskip(NEXT) | instid1(VALU_DEP_2)
	v_and_b32_e32 v5, 0xff, v5
	v_and_b32_e32 v13, 0xff, v13
	s_delay_alu instid0(VALU_DEP_1) | instskip(NEXT) | instid1(VALU_DEP_1)
	v_cmp_le_u16_e64 s11, v13, v5
	s_and_b32 s10, s10, s11
	s_delay_alu instid0(SALU_CYCLE_1) | instskip(NEXT) | instid1(SALU_CYCLE_1)
	s_or_b32 s10, s14, s10
	v_cndmask_b32_e64 v5, v12, v14, s10
	v_cndmask_b32_e64 v13, v50, v49, s10
	;; [unrolled: 1-line block ×3, first 2 shown]
	s_delay_alu instid0(VALU_DEP_3) | instskip(NEXT) | instid1(VALU_DEP_3)
	v_add_nc_u32_e32 v15, 1, v5
	v_add_nc_u32_e32 v13, -1, v13
	s_delay_alu instid0(VALU_DEP_2) | instskip(NEXT) | instid1(VALU_DEP_2)
	v_cndmask_b32_e64 v14, v14, v15, s10
	v_min_u32_e32 v13, v15, v13
	v_cndmask_b32_e64 v12, v15, v12, s10
	s_delay_alu instid0(VALU_DEP_3) | instskip(NEXT) | instid1(VALU_DEP_3)
	v_cmp_lt_u32_e64 s11, v14, v49
	v_add_nc_u32_e32 v13, v10, v13
	s_delay_alu instid0(VALU_DEP_3) | instskip(SKIP_4) | instid1(VALU_DEP_2)
	v_cmp_ge_u32_e64 s15, v12, v50
	ds_load_u8 v13, v13
	s_waitcnt lgkmcnt(0)
	v_cndmask_b32_e64 v36, v13, v28, s10
	v_cndmask_b32_e64 v37, v35, v13, s10
	v_and_b32_e32 v13, v36, v11
	s_delay_alu instid0(VALU_DEP_2) | instskip(NEXT) | instid1(VALU_DEP_2)
	v_and_b32_e32 v16, v37, v11
	v_and_b32_e32 v13, 0xff, v13
	s_delay_alu instid0(VALU_DEP_2) | instskip(NEXT) | instid1(VALU_DEP_1)
	v_and_b32_e32 v16, 0xff, v16
	v_cmp_le_u16_e64 s14, v16, v13
	s_delay_alu instid0(VALU_DEP_1) | instskip(NEXT) | instid1(SALU_CYCLE_1)
	s_and_b32 s11, s11, s14
	s_or_b32 s11, s15, s11
	s_delay_alu instid0(SALU_CYCLE_1) | instskip(SKIP_1) | instid1(VALU_DEP_2)
	v_cndmask_b32_e64 v13, v12, v14, s11
	v_cndmask_b32_e64 v15, v50, v49, s11
	v_add_nc_u32_e32 v16, 1, v13
	s_delay_alu instid0(VALU_DEP_2) | instskip(NEXT) | instid1(VALU_DEP_2)
	v_add_nc_u32_e32 v15, -1, v15
	v_cndmask_b32_e64 v14, v14, v16, s11
	s_delay_alu instid0(VALU_DEP_2) | instskip(SKIP_1) | instid1(VALU_DEP_3)
	v_min_u32_e32 v15, v16, v15
	v_cndmask_b32_e64 v12, v16, v12, s11
	v_cmp_lt_u32_e64 s14, v14, v49
	s_delay_alu instid0(VALU_DEP_3) | instskip(NEXT) | instid1(VALU_DEP_3)
	v_add_nc_u32_e32 v15, v10, v15
	v_cmp_ge_u32_e64 s16, v12, v50
	ds_load_u8 v15, v15
	s_waitcnt lgkmcnt(0)
	v_cndmask_b32_e64 v51, v15, v36, s11
	v_cndmask_b32_e64 v52, v37, v15, s11
	s_delay_alu instid0(VALU_DEP_2) | instskip(NEXT) | instid1(VALU_DEP_2)
	v_and_b32_e32 v15, v51, v11
	v_and_b32_e32 v17, v52, v11
	s_delay_alu instid0(VALU_DEP_2) | instskip(NEXT) | instid1(VALU_DEP_2)
	v_and_b32_e32 v15, 0xff, v15
	v_and_b32_e32 v17, 0xff, v17
	s_delay_alu instid0(VALU_DEP_1) | instskip(NEXT) | instid1(VALU_DEP_1)
	v_cmp_le_u16_e64 s15, v17, v15
	s_and_b32 s14, s14, s15
	s_delay_alu instid0(SALU_CYCLE_1) | instskip(NEXT) | instid1(SALU_CYCLE_1)
	s_or_b32 s14, s16, s14
	v_cndmask_b32_e64 v15, v12, v14, s14
	v_cndmask_b32_e64 v16, v50, v49, s14
	;; [unrolled: 1-line block ×3, first 2 shown]
	s_delay_alu instid0(VALU_DEP_3) | instskip(NEXT) | instid1(VALU_DEP_3)
	v_add_nc_u32_e32 v17, 1, v15
	v_add_nc_u32_e32 v16, -1, v16
	v_lshl_add_u32 v15, v15, 3, v9
	s_delay_alu instid0(VALU_DEP_3) | instskip(NEXT) | instid1(VALU_DEP_3)
	v_cndmask_b32_e64 v14, v14, v17, s14
	v_min_u32_e32 v16, v17, v16
	v_cndmask_b32_e64 v12, v17, v12, s14
	s_delay_alu instid0(VALU_DEP_3) | instskip(NEXT) | instid1(VALU_DEP_3)
	v_cmp_lt_u32_e64 s15, v14, v49
	v_add_nc_u32_e32 v16, v10, v16
	s_delay_alu instid0(VALU_DEP_3) | instskip(SKIP_4) | instid1(VALU_DEP_2)
	v_cmp_ge_u32_e64 s17, v12, v50
	ds_load_u8 v16, v16
	s_waitcnt lgkmcnt(0)
	v_cndmask_b32_e64 v53, v16, v51, s14
	v_cndmask_b32_e64 v54, v52, v16, s14
	v_and_b32_e32 v16, v53, v11
	s_delay_alu instid0(VALU_DEP_2) | instskip(NEXT) | instid1(VALU_DEP_2)
	v_and_b32_e32 v18, v54, v11
	v_and_b32_e32 v16, 0xff, v16
	s_delay_alu instid0(VALU_DEP_2) | instskip(NEXT) | instid1(VALU_DEP_1)
	v_and_b32_e32 v18, 0xff, v18
	v_cmp_le_u16_e64 s16, v18, v16
	s_delay_alu instid0(VALU_DEP_1) | instskip(NEXT) | instid1(SALU_CYCLE_1)
	s_and_b32 s15, s15, s16
	s_or_b32 s15, s17, s15
	s_delay_alu instid0(SALU_CYCLE_1) | instskip(SKIP_2) | instid1(VALU_DEP_3)
	v_cndmask_b32_e64 v18, v12, v14, s15
	v_cndmask_b32_e64 v16, v50, v49, s15
	;; [unrolled: 1-line block ×3, first 2 shown]
	v_add_nc_u32_e32 v17, 1, v18
	s_delay_alu instid0(VALU_DEP_3) | instskip(SKIP_1) | instid1(VALU_DEP_3)
	v_add_nc_u32_e32 v16, -1, v16
	v_lshl_add_u32 v18, v18, 3, v9
	v_cndmask_b32_e64 v14, v14, v17, s15
	s_delay_alu instid0(VALU_DEP_3) | instskip(SKIP_1) | instid1(VALU_DEP_3)
	v_min_u32_e32 v16, v17, v16
	v_cndmask_b32_e64 v12, v17, v12, s15
	v_cmp_lt_u32_e64 s16, v14, v49
	s_delay_alu instid0(VALU_DEP_3) | instskip(NEXT) | instid1(VALU_DEP_3)
	v_add_nc_u32_e32 v16, v10, v16
	v_cmp_ge_u32_e64 s18, v12, v50
	ds_load_u8 v16, v16
	s_waitcnt lgkmcnt(0)
	v_cndmask_b32_e64 v55, v16, v53, s15
	v_cndmask_b32_e64 v64, v54, v16, s15
	s_delay_alu instid0(VALU_DEP_2) | instskip(NEXT) | instid1(VALU_DEP_2)
	v_and_b32_e32 v16, v55, v11
	v_and_b32_e32 v19, v64, v11
	s_delay_alu instid0(VALU_DEP_2) | instskip(NEXT) | instid1(VALU_DEP_2)
	v_and_b32_e32 v16, 0xff, v16
	v_and_b32_e32 v19, 0xff, v19
	s_delay_alu instid0(VALU_DEP_1) | instskip(NEXT) | instid1(VALU_DEP_1)
	v_cmp_le_u16_e64 s17, v19, v16
	s_and_b32 s16, s16, s17
	s_delay_alu instid0(SALU_CYCLE_1) | instskip(NEXT) | instid1(SALU_CYCLE_1)
	s_or_b32 s16, s18, s16
	v_cndmask_b32_e64 v19, v12, v14, s16
	v_cndmask_b32_e64 v16, v50, v49, s16
	s_delay_alu instid0(VALU_DEP_2) | instskip(NEXT) | instid1(VALU_DEP_2)
	v_add_nc_u32_e32 v17, 1, v19
	v_add_nc_u32_e32 v16, -1, v16
	v_lshl_add_u32 v19, v19, 3, v9
	s_delay_alu instid0(VALU_DEP_3) | instskip(NEXT) | instid1(VALU_DEP_3)
	v_cndmask_b32_e64 v14, v14, v17, s16
	v_min_u32_e32 v16, v17, v16
	v_cndmask_b32_e64 v12, v17, v12, s16
	s_delay_alu instid0(VALU_DEP_3) | instskip(NEXT) | instid1(VALU_DEP_3)
	v_cmp_lt_u32_e64 s17, v14, v49
	v_add_nc_u32_e32 v16, v10, v16
	s_delay_alu instid0(VALU_DEP_3) | instskip(SKIP_4) | instid1(VALU_DEP_2)
	v_cmp_ge_u32_e64 s19, v12, v50
	ds_load_u8 v16, v16
	s_waitcnt lgkmcnt(0)
	v_cndmask_b32_e64 v65, v16, v55, s16
	v_cndmask_b32_e64 v66, v64, v16, s16
	v_and_b32_e32 v16, v65, v11
	s_delay_alu instid0(VALU_DEP_2) | instskip(NEXT) | instid1(VALU_DEP_2)
	v_and_b32_e32 v20, v66, v11
	v_and_b32_e32 v16, 0xff, v16
	s_delay_alu instid0(VALU_DEP_2) | instskip(NEXT) | instid1(VALU_DEP_1)
	v_and_b32_e32 v20, 0xff, v20
	v_cmp_le_u16_e64 s18, v20, v16
	s_delay_alu instid0(VALU_DEP_1) | instskip(NEXT) | instid1(SALU_CYCLE_1)
	s_and_b32 s17, s17, s18
	s_or_b32 s17, s19, s17
	s_delay_alu instid0(SALU_CYCLE_1) | instskip(SKIP_2) | instid1(VALU_DEP_3)
	v_cndmask_b32_e64 v20, v12, v14, s17
	v_cndmask_b32_e64 v16, v50, v49, s17
	;; [unrolled: 1-line block ×3, first 2 shown]
	v_add_nc_u32_e32 v17, 1, v20
	s_delay_alu instid0(VALU_DEP_3) | instskip(SKIP_1) | instid1(VALU_DEP_3)
	v_add_nc_u32_e32 v16, -1, v16
	v_lshl_add_u32 v38, v20, 3, v9
	v_cndmask_b32_e64 v14, v14, v17, s17
	s_delay_alu instid0(VALU_DEP_3) | instskip(SKIP_2) | instid1(VALU_DEP_4)
	v_min_u32_e32 v16, v17, v16
	v_cndmask_b32_e64 v24, v17, v12, s17
	v_lshl_add_u32 v12, v5, 3, v9
	v_cmp_lt_u32_e64 s18, v14, v49
	s_delay_alu instid0(VALU_DEP_4) | instskip(NEXT) | instid1(VALU_DEP_4)
	v_add_nc_u32_e32 v16, v10, v16
	v_cmp_ge_u32_e64 s20, v24, v50
	ds_load_u8 v16, v16
	s_waitcnt lgkmcnt(0)
	v_cndmask_b32_e64 v67, v16, v65, s17
	v_cndmask_b32_e64 v68, v66, v16, s17
	s_delay_alu instid0(VALU_DEP_2) | instskip(NEXT) | instid1(VALU_DEP_2)
	v_and_b32_e32 v16, v67, v11
	v_and_b32_e32 v21, v68, v11
	s_delay_alu instid0(VALU_DEP_2) | instskip(NEXT) | instid1(VALU_DEP_2)
	v_and_b32_e32 v16, 0xff, v16
	v_and_b32_e32 v21, 0xff, v21
	s_delay_alu instid0(VALU_DEP_1)
	v_cmp_le_u16_e64 s19, v21, v16
	v_lshl_add_u32 v16, v13, 3, v9
	ds_load_b64 v[4:5], v4 offset:2048
	ds_load_b64 v[12:13], v12 offset:2048
	s_and_b32 s18, s18, s19
	ds_load_b64 v[16:17], v16 offset:2048
	s_or_b32 s18, s20, s18
	s_delay_alu instid0(SALU_CYCLE_1) | instskip(NEXT) | instid1(VALU_DEP_1)
	v_cndmask_b32_e64 v14, v24, v14, s18
	v_lshl_add_u32 v14, v14, 3, v9
	ds_load_b64 v[24:25], v15 offset:2048
	ds_load_b64 v[26:27], v18 offset:2048
	;; [unrolled: 1-line block ×5, first 2 shown]
	v_cndmask_b32_e64 v38, v36, v37, s11
	v_cndmask_b32_e64 v37, v55, v64, s16
	;; [unrolled: 1-line block ×3, first 2 shown]
.LBB203_60:
	s_or_b32 exec_lo, exec_lo, s22
	v_and_b32_e32 v49, 0x80, v34
	; wave barrier
	ds_store_b8 v48, v22
	s_waitcnt lgkmcnt(8)
	ds_store_b64 v30, v[4:5] offset:2048
	ds_store_b8 v48, v39 offset:1
	s_waitcnt lgkmcnt(9)
	ds_store_b64 v31, v[12:13] offset:8
	s_mov_b32 s10, exec_lo
	v_or_b32_e32 v34, 64, v49
	ds_store_b8 v48, v38 offset:2
	s_waitcnt lgkmcnt(10)
	ds_store_b64 v31, v[16:17] offset:16
	ds_store_b8 v48, v28 offset:3
	s_waitcnt lgkmcnt(11)
	ds_store_b64 v31, v[24:25] offset:24
	;; [unrolled: 3-line block ×6, first 2 shown]
	v_min_u32_e32 v34, v29, v34
	; wave barrier
	s_delay_alu instid0(VALU_DEP_1) | instskip(SKIP_1) | instid1(VALU_DEP_2)
	v_add_nc_u32_e32 v50, 64, v34
	v_sub_nc_u32_e32 v51, v34, v49
	v_min_u32_e32 v30, v29, v50
	v_min_u32_e32 v29, v29, v32
	s_delay_alu instid0(VALU_DEP_2) | instskip(NEXT) | instid1(VALU_DEP_2)
	v_sub_nc_u32_e32 v50, v30, v34
	v_min_u32_e32 v51, v29, v51
	s_delay_alu instid0(VALU_DEP_2) | instskip(NEXT) | instid1(VALU_DEP_1)
	v_sub_nc_u32_e64 v50, v29, v50 clamp
	v_cmpx_lt_u32_e64 v50, v51
	s_cbranch_execz .LBB203_64
; %bb.61:
	v_add_nc_u32_e32 v31, v10, v49
	v_add3_u32 v48, v10, v34, v29
	s_mov_b32 s11, 0
	.p2align	6
.LBB203_62:                             ; =>This Inner Loop Header: Depth=1
	v_add_nc_u32_e32 v52, v51, v50
	s_delay_alu instid0(VALU_DEP_1) | instskip(NEXT) | instid1(VALU_DEP_1)
	v_lshrrev_b32_e32 v52, 1, v52
	v_xad_u32 v53, v52, -1, v48
	v_add_nc_u32_e32 v54, v31, v52
	v_add_nc_u32_e32 v55, 1, v52
	ds_load_u8 v53, v53
	ds_load_u8 v54, v54
	s_waitcnt lgkmcnt(1)
	v_and_b32_e32 v53, v53, v11
	s_waitcnt lgkmcnt(0)
	v_and_b32_e32 v54, v54, v11
	s_delay_alu instid0(VALU_DEP_2) | instskip(NEXT) | instid1(VALU_DEP_2)
	v_and_b32_e32 v53, 0xff, v53
	v_and_b32_e32 v54, 0xff, v54
	s_delay_alu instid0(VALU_DEP_1) | instskip(NEXT) | instid1(VALU_DEP_1)
	v_cmp_gt_u16_e64 s7, v54, v53
	v_cndmask_b32_e64 v51, v51, v52, s7
	v_cndmask_b32_e64 v50, v55, v50, s7
	s_delay_alu instid0(VALU_DEP_1) | instskip(NEXT) | instid1(VALU_DEP_1)
	v_cmp_ge_u32_e64 s7, v50, v51
	s_or_b32 s11, s7, s11
	s_delay_alu instid0(SALU_CYCLE_1)
	s_and_not1_b32 exec_lo, exec_lo, s11
	s_cbranch_execnz .LBB203_62
; %bb.63:
	s_or_b32 exec_lo, exec_lo, s11
.LBB203_64:
	s_delay_alu instid0(SALU_CYCLE_1) | instskip(SKIP_2) | instid1(VALU_DEP_2)
	s_or_b32 exec_lo, exec_lo, s10
	v_add_nc_u32_e32 v29, v34, v29
	v_add_nc_u32_e32 v31, v50, v49
	v_sub_nc_u32_e32 v29, v29, v50
	s_delay_alu instid0(VALU_DEP_2) | instskip(NEXT) | instid1(VALU_DEP_2)
	v_cmp_le_u32_e64 s7, v31, v34
	v_cmp_le_u32_e64 s10, v29, v30
	s_delay_alu instid0(VALU_DEP_1) | instskip(NEXT) | instid1(SALU_CYCLE_1)
	s_or_b32 s7, s7, s10
	s_and_saveexec_b32 s22, s7
	s_cbranch_execz .LBB203_70
; %bb.65:
	v_cmp_lt_u32_e64 s7, v31, v34
                                        ; implicit-def: $vgpr22
	s_delay_alu instid0(VALU_DEP_1)
	s_and_saveexec_b32 s10, s7
	s_cbranch_execz .LBB203_67
; %bb.66:
	v_add_nc_u32_e32 v4, v10, v31
	ds_load_u8 v22, v4
.LBB203_67:
	s_or_b32 exec_lo, exec_lo, s10
	v_cmp_ge_u32_e64 s10, v29, v30
	s_mov_b32 s14, exec_lo
                                        ; implicit-def: $vgpr23
	v_cmpx_lt_u32_e64 v29, v30
	s_cbranch_execz .LBB203_69
; %bb.68:
	v_add_nc_u32_e32 v4, v10, v29
	ds_load_u8 v23, v4
.LBB203_69:
	s_or_b32 exec_lo, exec_lo, s14
	s_waitcnt lgkmcnt(0)
	v_and_b32_e32 v4, v23, v11
	v_and_b32_e32 v5, v22, v11
	s_delay_alu instid0(VALU_DEP_2) | instskip(NEXT) | instid1(VALU_DEP_2)
	v_and_b32_e32 v4, 0xff, v4
	v_and_b32_e32 v5, 0xff, v5
	s_delay_alu instid0(VALU_DEP_1) | instskip(NEXT) | instid1(VALU_DEP_1)
	v_cmp_le_u16_e64 s11, v5, v4
	s_and_b32 s7, s7, s11
	s_delay_alu instid0(SALU_CYCLE_1) | instskip(NEXT) | instid1(SALU_CYCLE_1)
	s_or_b32 s7, s10, s7
	v_cndmask_b32_e64 v4, v29, v31, s7
	v_cndmask_b32_e64 v5, v30, v34, s7
	s_delay_alu instid0(VALU_DEP_2) | instskip(NEXT) | instid1(VALU_DEP_2)
	v_add_nc_u32_e32 v12, 1, v4
	v_add_nc_u32_e32 v5, -1, v5
	v_lshl_add_u32 v4, v4, 3, v9
	s_delay_alu instid0(VALU_DEP_3) | instskip(NEXT) | instid1(VALU_DEP_3)
	v_cndmask_b32_e64 v14, v31, v12, s7
	v_min_u32_e32 v5, v12, v5
	v_cndmask_b32_e64 v12, v12, v29, s7
	s_delay_alu instid0(VALU_DEP_3) | instskip(NEXT) | instid1(VALU_DEP_3)
	v_cmp_lt_u32_e64 s10, v14, v34
	v_add_nc_u32_e32 v5, v10, v5
	s_delay_alu instid0(VALU_DEP_3)
	v_cmp_ge_u32_e64 s14, v12, v30
	ds_load_u8 v5, v5
	s_waitcnt lgkmcnt(0)
	v_cndmask_b32_e64 v28, v5, v23, s7
	v_cndmask_b32_e64 v35, v22, v5, s7
	;; [unrolled: 1-line block ×3, first 2 shown]
	s_delay_alu instid0(VALU_DEP_3) | instskip(NEXT) | instid1(VALU_DEP_3)
	v_and_b32_e32 v5, v28, v11
	v_and_b32_e32 v13, v35, v11
	s_delay_alu instid0(VALU_DEP_2) | instskip(NEXT) | instid1(VALU_DEP_2)
	v_and_b32_e32 v5, 0xff, v5
	v_and_b32_e32 v13, 0xff, v13
	s_delay_alu instid0(VALU_DEP_1) | instskip(NEXT) | instid1(VALU_DEP_1)
	v_cmp_le_u16_e64 s11, v13, v5
	s_and_b32 s10, s10, s11
	s_delay_alu instid0(SALU_CYCLE_1) | instskip(NEXT) | instid1(SALU_CYCLE_1)
	s_or_b32 s10, s14, s10
	v_cndmask_b32_e64 v5, v12, v14, s10
	v_cndmask_b32_e64 v13, v30, v34, s10
	;; [unrolled: 1-line block ×3, first 2 shown]
	s_delay_alu instid0(VALU_DEP_3) | instskip(NEXT) | instid1(VALU_DEP_3)
	v_add_nc_u32_e32 v15, 1, v5
	v_add_nc_u32_e32 v13, -1, v13
	s_delay_alu instid0(VALU_DEP_2) | instskip(NEXT) | instid1(VALU_DEP_2)
	v_cndmask_b32_e64 v14, v14, v15, s10
	v_min_u32_e32 v13, v15, v13
	v_cndmask_b32_e64 v12, v15, v12, s10
	s_delay_alu instid0(VALU_DEP_3) | instskip(NEXT) | instid1(VALU_DEP_3)
	v_cmp_lt_u32_e64 s11, v14, v34
	v_add_nc_u32_e32 v13, v10, v13
	s_delay_alu instid0(VALU_DEP_3) | instskip(SKIP_4) | instid1(VALU_DEP_2)
	v_cmp_ge_u32_e64 s15, v12, v30
	ds_load_u8 v13, v13
	s_waitcnt lgkmcnt(0)
	v_cndmask_b32_e64 v29, v13, v28, s10
	v_cndmask_b32_e64 v31, v35, v13, s10
	v_and_b32_e32 v13, v29, v11
	s_delay_alu instid0(VALU_DEP_2) | instskip(NEXT) | instid1(VALU_DEP_2)
	v_and_b32_e32 v16, v31, v11
	v_and_b32_e32 v13, 0xff, v13
	s_delay_alu instid0(VALU_DEP_2) | instskip(NEXT) | instid1(VALU_DEP_1)
	v_and_b32_e32 v16, 0xff, v16
	v_cmp_le_u16_e64 s14, v16, v13
	s_delay_alu instid0(VALU_DEP_1) | instskip(NEXT) | instid1(SALU_CYCLE_1)
	s_and_b32 s11, s11, s14
	s_or_b32 s11, s15, s11
	s_delay_alu instid0(SALU_CYCLE_1) | instskip(SKIP_2) | instid1(VALU_DEP_3)
	v_cndmask_b32_e64 v13, v12, v14, s11
	v_cndmask_b32_e64 v15, v30, v34, s11
	;; [unrolled: 1-line block ×3, first 2 shown]
	v_add_nc_u32_e32 v16, 1, v13
	s_delay_alu instid0(VALU_DEP_3) | instskip(NEXT) | instid1(VALU_DEP_2)
	v_add_nc_u32_e32 v15, -1, v15
	v_cndmask_b32_e64 v14, v14, v16, s11
	s_delay_alu instid0(VALU_DEP_2) | instskip(SKIP_1) | instid1(VALU_DEP_3)
	v_min_u32_e32 v15, v16, v15
	v_cndmask_b32_e64 v12, v16, v12, s11
	v_cmp_lt_u32_e64 s14, v14, v34
	s_delay_alu instid0(VALU_DEP_3) | instskip(NEXT) | instid1(VALU_DEP_3)
	v_add_nc_u32_e32 v15, v10, v15
	v_cmp_ge_u32_e64 s16, v12, v30
	ds_load_u8 v15, v15
	s_waitcnt lgkmcnt(0)
	v_cndmask_b32_e64 v36, v15, v29, s11
	v_cndmask_b32_e64 v37, v31, v15, s11
	s_delay_alu instid0(VALU_DEP_2) | instskip(NEXT) | instid1(VALU_DEP_2)
	v_and_b32_e32 v15, v36, v11
	v_and_b32_e32 v17, v37, v11
	s_delay_alu instid0(VALU_DEP_2) | instskip(NEXT) | instid1(VALU_DEP_2)
	v_and_b32_e32 v15, 0xff, v15
	v_and_b32_e32 v17, 0xff, v17
	s_delay_alu instid0(VALU_DEP_1) | instskip(NEXT) | instid1(VALU_DEP_1)
	v_cmp_le_u16_e64 s15, v17, v15
	s_and_b32 s14, s14, s15
	s_delay_alu instid0(SALU_CYCLE_1) | instskip(NEXT) | instid1(SALU_CYCLE_1)
	s_or_b32 s14, s16, s14
	v_cndmask_b32_e64 v15, v12, v14, s14
	v_cndmask_b32_e64 v16, v30, v34, s14
	;; [unrolled: 1-line block ×3, first 2 shown]
	s_delay_alu instid0(VALU_DEP_3) | instskip(NEXT) | instid1(VALU_DEP_3)
	v_add_nc_u32_e32 v17, 1, v15
	v_add_nc_u32_e32 v16, -1, v16
	s_delay_alu instid0(VALU_DEP_2) | instskip(NEXT) | instid1(VALU_DEP_2)
	v_cndmask_b32_e64 v14, v14, v17, s14
	v_min_u32_e32 v16, v17, v16
	v_cndmask_b32_e64 v12, v17, v12, s14
	s_delay_alu instid0(VALU_DEP_3) | instskip(NEXT) | instid1(VALU_DEP_3)
	v_cmp_lt_u32_e64 s15, v14, v34
	v_add_nc_u32_e32 v16, v10, v16
	s_delay_alu instid0(VALU_DEP_3) | instskip(SKIP_4) | instid1(VALU_DEP_2)
	v_cmp_ge_u32_e64 s17, v12, v30
	ds_load_u8 v16, v16
	s_waitcnt lgkmcnt(0)
	v_cndmask_b32_e64 v48, v16, v36, s14
	v_cndmask_b32_e64 v49, v37, v16, s14
	v_and_b32_e32 v16, v48, v11
	s_delay_alu instid0(VALU_DEP_2) | instskip(NEXT) | instid1(VALU_DEP_2)
	v_and_b32_e32 v18, v49, v11
	v_and_b32_e32 v16, 0xff, v16
	s_delay_alu instid0(VALU_DEP_2) | instskip(NEXT) | instid1(VALU_DEP_1)
	v_and_b32_e32 v18, 0xff, v18
	v_cmp_le_u16_e64 s16, v18, v16
	s_delay_alu instid0(VALU_DEP_1) | instskip(NEXT) | instid1(SALU_CYCLE_1)
	s_and_b32 s15, s15, s16
	s_or_b32 s15, s17, s15
	s_delay_alu instid0(SALU_CYCLE_1) | instskip(SKIP_2) | instid1(VALU_DEP_3)
	v_cndmask_b32_e64 v18, v12, v14, s15
	v_cndmask_b32_e64 v16, v30, v34, s15
	;; [unrolled: 1-line block ×3, first 2 shown]
	v_add_nc_u32_e32 v17, 1, v18
	s_delay_alu instid0(VALU_DEP_3) | instskip(NEXT) | instid1(VALU_DEP_2)
	v_add_nc_u32_e32 v16, -1, v16
	v_cndmask_b32_e64 v14, v14, v17, s15
	s_delay_alu instid0(VALU_DEP_2) | instskip(SKIP_1) | instid1(VALU_DEP_3)
	v_min_u32_e32 v16, v17, v16
	v_cndmask_b32_e64 v12, v17, v12, s15
	v_cmp_lt_u32_e64 s16, v14, v34
	s_delay_alu instid0(VALU_DEP_3) | instskip(NEXT) | instid1(VALU_DEP_3)
	v_add_nc_u32_e32 v16, v10, v16
	v_cmp_ge_u32_e64 s18, v12, v30
	ds_load_u8 v16, v16
	s_waitcnt lgkmcnt(0)
	v_cndmask_b32_e64 v50, v16, v48, s15
	v_cndmask_b32_e64 v51, v49, v16, s15
	s_delay_alu instid0(VALU_DEP_2) | instskip(NEXT) | instid1(VALU_DEP_2)
	v_and_b32_e32 v16, v50, v11
	v_and_b32_e32 v19, v51, v11
	s_delay_alu instid0(VALU_DEP_2) | instskip(NEXT) | instid1(VALU_DEP_2)
	v_and_b32_e32 v16, 0xff, v16
	v_and_b32_e32 v19, 0xff, v19
	s_delay_alu instid0(VALU_DEP_1) | instskip(NEXT) | instid1(VALU_DEP_1)
	v_cmp_le_u16_e64 s17, v19, v16
	s_and_b32 s16, s16, s17
	s_delay_alu instid0(SALU_CYCLE_1) | instskip(NEXT) | instid1(SALU_CYCLE_1)
	s_or_b32 s16, s18, s16
	v_cndmask_b32_e64 v19, v12, v14, s16
	v_cndmask_b32_e64 v16, v30, v34, s16
	;; [unrolled: 1-line block ×3, first 2 shown]
	s_delay_alu instid0(VALU_DEP_3) | instskip(NEXT) | instid1(VALU_DEP_3)
	v_add_nc_u32_e32 v17, 1, v19
	v_add_nc_u32_e32 v16, -1, v16
	s_delay_alu instid0(VALU_DEP_2) | instskip(NEXT) | instid1(VALU_DEP_2)
	v_cndmask_b32_e64 v14, v14, v17, s16
	v_min_u32_e32 v16, v17, v16
	v_cndmask_b32_e64 v12, v17, v12, s16
	s_delay_alu instid0(VALU_DEP_3) | instskip(NEXT) | instid1(VALU_DEP_3)
	v_cmp_lt_u32_e64 s17, v14, v34
	v_add_nc_u32_e32 v16, v10, v16
	s_delay_alu instid0(VALU_DEP_3) | instskip(SKIP_4) | instid1(VALU_DEP_2)
	v_cmp_ge_u32_e64 s19, v12, v30
	ds_load_u8 v16, v16
	s_waitcnt lgkmcnt(0)
	v_cndmask_b32_e64 v52, v16, v50, s16
	v_cndmask_b32_e64 v53, v51, v16, s16
	v_and_b32_e32 v16, v52, v11
	s_delay_alu instid0(VALU_DEP_2) | instskip(NEXT) | instid1(VALU_DEP_2)
	v_and_b32_e32 v20, v53, v11
	v_and_b32_e32 v16, 0xff, v16
	s_delay_alu instid0(VALU_DEP_2) | instskip(NEXT) | instid1(VALU_DEP_1)
	v_and_b32_e32 v20, 0xff, v20
	v_cmp_le_u16_e64 s18, v20, v16
	s_delay_alu instid0(VALU_DEP_1) | instskip(NEXT) | instid1(SALU_CYCLE_1)
	s_and_b32 s17, s17, s18
	s_or_b32 s17, s19, s17
	s_delay_alu instid0(SALU_CYCLE_1) | instskip(SKIP_2) | instid1(VALU_DEP_3)
	v_cndmask_b32_e64 v20, v12, v14, s17
	v_cndmask_b32_e64 v16, v30, v34, s17
	v_cndmask_b32_e64 v35, v52, v53, s17
	v_add_nc_u32_e32 v17, 1, v20
	s_delay_alu instid0(VALU_DEP_3) | instskip(NEXT) | instid1(VALU_DEP_2)
	v_add_nc_u32_e32 v16, -1, v16
	v_cndmask_b32_e64 v14, v14, v17, s17
	s_delay_alu instid0(VALU_DEP_2) | instskip(SKIP_2) | instid1(VALU_DEP_4)
	v_min_u32_e32 v16, v17, v16
	v_cndmask_b32_e64 v21, v17, v12, s17
	v_lshl_add_u32 v12, v5, 3, v9
	v_cmp_lt_u32_e64 s18, v14, v34
	s_delay_alu instid0(VALU_DEP_4) | instskip(NEXT) | instid1(VALU_DEP_4)
	v_add_nc_u32_e32 v10, v10, v16
	v_cmp_ge_u32_e64 s20, v21, v30
	ds_load_u8 v10, v10
	s_waitcnt lgkmcnt(0)
	v_cndmask_b32_e64 v54, v10, v52, s17
	v_cndmask_b32_e64 v10, v53, v10, s17
	s_delay_alu instid0(VALU_DEP_2) | instskip(NEXT) | instid1(VALU_DEP_2)
	v_and_b32_e32 v16, v54, v11
	v_and_b32_e32 v11, v10, v11
	s_delay_alu instid0(VALU_DEP_2) | instskip(NEXT) | instid1(VALU_DEP_2)
	v_and_b32_e32 v16, 0xff, v16
	v_and_b32_e32 v11, 0xff, v11
	s_delay_alu instid0(VALU_DEP_1)
	v_cmp_le_u16_e64 s19, v11, v16
	v_lshl_add_u32 v11, v13, 3, v9
	ds_load_b64 v[4:5], v4 offset:2048
	ds_load_b64 v[12:13], v12 offset:2048
	s_and_b32 s18, s18, s19
	ds_load_b64 v[16:17], v11 offset:2048
	s_or_b32 s18, s20, s18
	s_delay_alu instid0(SALU_CYCLE_1)
	v_cndmask_b32_e64 v11, v21, v14, s18
	v_lshl_add_u32 v14, v15, 3, v9
	v_lshl_add_u32 v15, v18, 3, v9
	;; [unrolled: 1-line block ×5, first 2 shown]
	ds_load_b64 v[24:25], v14 offset:2048
	ds_load_b64 v[26:27], v15 offset:2048
	;; [unrolled: 1-line block ×5, first 2 shown]
	v_cndmask_b32_e64 v36, v54, v10, s18
.LBB203_70:
	s_or_b32 exec_lo, exec_lo, s22
	; wave barrier
	s_waitcnt lgkmcnt(0)
	s_waitcnt_vscnt null, 0x0
	s_barrier
                                        ; implicit-def: $vgpr34
                                        ; implicit-def: $vgpr29
                                        ; implicit-def: $vgpr30
                                        ; implicit-def: $vgpr9
.LBB203_71:
	s_and_not1_saveexec_b32 s17, s21
	s_cbranch_execz .LBB203_117
; %bb.72:
	s_load_b64 s[10:11], s[8:9], 0x0
	v_mov_b32_e32 v10, 0
	s_waitcnt lgkmcnt(0)
	s_cmp_lt_u32 s13, s11
	s_cselect_b32 s7, 14, 20
	s_delay_alu instid0(SALU_CYCLE_1)
	s_add_u32 s14, s8, s7
	s_addc_u32 s15, s9, 0
	s_cmp_lt_u32 s12, s10
	global_load_u16 v11, v10, s[14:15]
	s_cselect_b32 s7, 12, 18
	s_mov_b32 s15, exec_lo
	s_add_u32 s8, s8, s7
	s_addc_u32 s9, s9, 0
	global_load_u16 v10, v10, s[8:9]
	s_waitcnt vmcnt(1)
	v_mad_u32_u24 v11, v30, v11, v29
	s_waitcnt vmcnt(0)
	s_delay_alu instid0(VALU_DEP_1) | instskip(NEXT) | instid1(VALU_DEP_1)
	v_mul_lo_u32 v10, v11, v10
	v_add_lshl_u32 v11, v10, v9, 3
	s_delay_alu instid0(VALU_DEP_1)
	v_cmpx_gt_u32_e32 0x800, v11
	s_cbranch_execz .LBB203_76
; %bb.73:
	v_and_b32_e32 v9, 0xff, v22
	v_and_b32_e32 v10, 0xff, v39
	v_lshlrev_b16 v22, 8, v22
	v_and_b32_e32 v29, 0xff, v38
	v_lshlrev_b16 v28, 8, v28
	v_lshlrev_b16 v30, 8, v39
	v_cmp_gt_u16_e64 s7, v9, v10
	v_or_b32_e32 v22, v10, v22
	s_delay_alu instid0(VALU_DEP_4) | instskip(NEXT) | instid1(VALU_DEP_4)
	v_or_b32_e32 v28, v29, v28
	v_or_b32_e32 v29, v9, v30
	v_and_b32_e32 v9, 0xff, v23
	s_delay_alu instid0(VALU_DEP_4)
	v_and_b32_e32 v22, 0xffff, v22
	v_lshlrev_b16 v23, 8, v37
	v_lshlrev_b32_e32 v28, 16, v28
	v_and_b32_e32 v29, 0xffff, v29
	v_cndmask_b32_e64 v10, v12, v4, s7
	v_cndmask_b32_e64 v4, v4, v12, s7
	v_or_b32_e32 v9, v9, v23
	v_or_b32_e32 v22, v22, v28
	;; [unrolled: 1-line block ×3, first 2 shown]
	v_lshlrev_b16 v29, 8, v36
	s_delay_alu instid0(VALU_DEP_2) | instskip(SKIP_3) | instid1(VALU_DEP_4)
	v_cndmask_b32_e64 v22, v28, v22, s7
	v_and_b32_e32 v28, 0xff, v35
	v_cndmask_b32_e64 v35, v13, v5, s7
	v_cndmask_b32_e64 v5, v5, v13, s7
	v_lshrrev_b32_e32 v30, 16, v22
	s_delay_alu instid0(VALU_DEP_4)
	v_or_b32_e32 v23, v28, v29
	v_and_b32_e32 v29, 0xffff, v9
	v_lshrrev_b32_e32 v31, 24, v22
	v_and_b32_e32 v9, 0xff, v9
	v_perm_b32 v28, 0, v30, 0xc0c0001
	v_lshlrev_b32_e32 v23, 16, v23
	v_and_b32_e32 v30, 0xff, v30
	s_delay_alu instid0(VALU_DEP_3) | instskip(NEXT) | instid1(VALU_DEP_3)
	v_lshlrev_b32_e32 v28, 16, v28
	v_or_b32_e32 v23, v29, v23
	v_lshrrev_b32_e32 v29, 8, v29
	s_delay_alu instid0(VALU_DEP_4) | instskip(NEXT) | instid1(VALU_DEP_4)
	v_cmp_gt_u16_e64 s8, v30, v31
	v_and_or_b32 v28, 0xffff, v22, v28
	s_delay_alu instid0(VALU_DEP_4) | instskip(NEXT) | instid1(VALU_DEP_4)
	v_perm_b32 v30, v23, v23, 0x7060405
	v_cmp_gt_u16_e64 s9, v9, v29
	s_delay_alu instid0(VALU_DEP_4)
	v_cndmask_b32_e64 v37, v17, v25, s8
	v_cndmask_b32_e64 v17, v25, v17, s8
	;; [unrolled: 1-line block ×7, first 2 shown]
	v_lshrrev_b32_e32 v29, 16, v22
	v_lshrrev_b32_e32 v30, 8, v22
	;; [unrolled: 1-line block ×4, first 2 shown]
	v_perm_b32 v38, v22, v22, 0x7050604
	v_and_b32_e32 v29, 0xff, v29
	v_and_b32_e32 v30, 0xff, v30
	;; [unrolled: 1-line block ×3, first 2 shown]
	v_cndmask_b32_e64 v28, v26, v20, s9
	v_cndmask_b32_e64 v20, v20, v26, s9
	s_delay_alu instid0(VALU_DEP_4) | instskip(SKIP_2) | instid1(VALU_DEP_3)
	v_cmp_gt_u16_e64 s10, v30, v29
	v_perm_b32 v29, v23, v23, 0x6070504
	v_cmp_gt_u16_e64 s11, v31, v36
	v_cndmask_b32_e64 v22, v22, v38, s10
	v_cndmask_b32_e64 v30, v37, v35, s10
	s_delay_alu instid0(VALU_DEP_3)
	v_cndmask_b32_e64 v23, v23, v29, s11
	v_cndmask_b32_e64 v31, v18, v14, s11
	;; [unrolled: 1-line block ×3, first 2 shown]
	v_lshrrev_b32_e32 v29, 16, v22
	v_lshrrev_b32_e32 v38, 24, v22
	v_lshlrev_b16 v36, 8, v23
	s_delay_alu instid0(VALU_DEP_3) | instskip(NEXT) | instid1(VALU_DEP_1)
	v_and_b32_e32 v29, 0xff, v29
	v_or_b32_e32 v29, v29, v36
	v_and_b32_e32 v36, 0xff, v23
	s_delay_alu instid0(VALU_DEP_2) | instskip(NEXT) | instid1(VALU_DEP_2)
	v_lshlrev_b32_e32 v29, 16, v29
	v_cmp_gt_u16_e64 s12, v38, v36
	v_cndmask_b32_e64 v36, v10, v16, s10
	v_cndmask_b32_e64 v10, v16, v10, s10
	s_delay_alu instid0(VALU_DEP_4) | instskip(NEXT) | instid1(VALU_DEP_4)
	v_and_or_b32 v25, 0xffff, v22, v29
	v_cndmask_b32_e64 v16, v9, v28, s12
	v_cndmask_b32_e64 v9, v28, v9, s12
	;; [unrolled: 1-line block ×5, first 2 shown]
	v_perm_b32 v22, v22, v23, 0x3020107
	s_delay_alu instid0(VALU_DEP_2) | instskip(NEXT) | instid1(VALU_DEP_2)
	v_lshrrev_b32_e32 v12, 8, v25
	v_cndmask_b32_e64 v22, v23, v22, s12
	v_perm_b32 v23, 0, v25, 0xc0c0001
	v_and_b32_e32 v24, 0xff, v25
	s_delay_alu instid0(VALU_DEP_4) | instskip(NEXT) | instid1(VALU_DEP_4)
	v_and_b32_e32 v12, 0xff, v12
	v_lshrrev_b32_e32 v38, 16, v22
	v_lshrrev_b32_e32 v48, 8, v22
	v_and_or_b32 v23, 0xffff0000, v25, v23
	s_delay_alu instid0(VALU_DEP_4)
	v_cmp_gt_u16_e64 s8, v24, v12
	v_cndmask_b32_e64 v12, v21, v27, s9
	v_and_b32_e32 v21, 0xff, v38
	v_and_b32_e32 v24, 0xff, v48
	v_perm_b32 v38, v22, v22, 0x7050604
	v_cndmask_b32_e64 v23, v25, v23, s8
	v_cndmask_b32_e64 v25, v19, v15, s11
	;; [unrolled: 1-line block ×3, first 2 shown]
	v_cmp_gt_u16_e64 s13, v24, v21
	v_cndmask_b32_e64 v27, v36, v4, s8
	v_lshrrev_b32_e32 v21, 16, v23
	v_lshrrev_b32_e32 v48, 24, v23
	v_cndmask_b32_e64 v4, v4, v36, s8
	v_cndmask_b32_e64 v22, v22, v38, s13
	;; [unrolled: 1-line block ×3, first 2 shown]
	v_perm_b32 v26, 0, v21, 0xc0c0001
	v_and_b32_e32 v21, 0xff, v21
	v_cndmask_b32_e64 v12, v25, v12, s13
	v_lshrrev_b32_e32 v38, 8, v22
	v_and_b32_e32 v28, 0xff, v22
	v_lshlrev_b32_e32 v26, 16, v26
	v_cmp_gt_u16_e64 s9, v21, v48
	v_perm_b32 v48, v22, v22, 0x7060405
	v_and_b32_e32 v38, 0xff, v38
	v_cndmask_b32_e64 v21, v20, v31, s13
	v_and_or_b32 v26, 0xffff, v23, v26
	v_cndmask_b32_e64 v20, v31, v20, s13
	v_cndmask_b32_e64 v49, v30, v29, s9
	v_cmp_gt_u16_e64 s14, v28, v38
	v_cndmask_b32_e64 v29, v29, v30, s9
	v_cndmask_b32_e64 v23, v23, v26, s9
	;; [unrolled: 1-line block ×6, first 2 shown]
	v_lshrrev_b32_e32 v35, 16, v23
	v_lshrrev_b32_e32 v37, 8, v23
	v_perm_b32 v50, v23, v23, 0x7050604
	v_lshrrev_b32_e32 v18, 16, v22
	v_lshrrev_b32_e32 v48, 24, v22
	v_and_b32_e32 v35, 0xff, v35
	v_and_b32_e32 v37, 0xff, v37
	v_perm_b32 v31, v22, v22, 0x6070504
	v_and_b32_e32 v18, 0xff, v18
	v_cndmask_b32_e64 v13, v9, v21, s14
	v_cndmask_b32_e64 v9, v21, v9, s14
	v_cmp_gt_u16_e64 s7, v37, v35
	v_cndmask_b32_e64 v38, v26, v5, s8
	v_cmp_gt_u16_e64 s10, v18, v48
	v_cndmask_b32_e64 v48, v17, v24, s14
	v_cndmask_b32_e64 v17, v24, v17, s14
	;; [unrolled: 1-line block ×7, first 2 shown]
	v_lshrrev_b32_e32 v31, 16, v18
	v_lshrrev_b32_e32 v39, 24, v18
	v_lshlrev_b16 v37, 8, v22
	v_cndmask_b32_e64 v14, v14, v20, s10
	v_cndmask_b32_e64 v35, v49, v38, s7
	v_and_b32_e32 v31, 0xff, v31
	v_cndmask_b32_e64 v5, v5, v26, s8
	v_cndmask_b32_e64 v26, v38, v49, s7
	s_delay_alu instid0(VALU_DEP_3) | instskip(SKIP_1) | instid1(VALU_DEP_2)
	v_or_b32_e32 v31, v31, v37
	v_and_b32_e32 v37, 0xff, v22
	v_lshlrev_b32_e32 v31, 16, v31
	s_delay_alu instid0(VALU_DEP_2) | instskip(NEXT) | instid1(VALU_DEP_2)
	v_cmp_gt_u16_e64 s12, v39, v37
	v_and_or_b32 v30, 0xffff, v18, v31
	s_delay_alu instid0(VALU_DEP_2)
	v_cndmask_b32_e64 v27, v28, v13, s12
	v_cndmask_b32_e64 v13, v13, v28, s12
	;; [unrolled: 1-line block ×5, first 2 shown]
	v_perm_b32 v18, v18, v22, 0x3020107
	s_delay_alu instid0(VALU_DEP_2) | instskip(NEXT) | instid1(VALU_DEP_2)
	v_lshrrev_b32_e32 v19, 8, v30
	v_cndmask_b32_e64 v16, v22, v18, s12
	v_perm_b32 v18, 0, v30, 0xc0c0001
	v_and_b32_e32 v22, 0xff, v30
	s_delay_alu instid0(VALU_DEP_4) | instskip(NEXT) | instid1(VALU_DEP_4)
	v_and_b32_e32 v19, 0xff, v19
	v_lshrrev_b32_e32 v36, 16, v16
	v_lshrrev_b32_e32 v37, 8, v16
	v_and_or_b32 v18, 0xffff0000, v30, v18
	s_delay_alu instid0(VALU_DEP_4) | instskip(NEXT) | instid1(VALU_DEP_4)
	v_cmp_gt_u16_e64 s9, v22, v19
	v_and_b32_e32 v19, 0xff, v36
	s_delay_alu instid0(VALU_DEP_4) | instskip(SKIP_1) | instid1(VALU_DEP_4)
	v_and_b32_e32 v22, 0xff, v37
	v_perm_b32 v36, v16, v16, 0x7050604
	v_cndmask_b32_e64 v18, v30, v18, s9
	v_cndmask_b32_e64 v30, v12, v15, s10
	s_delay_alu instid0(VALU_DEP_4)
	v_cmp_gt_u16_e64 s11, v22, v19
	v_cndmask_b32_e64 v12, v15, v12, s10
	v_cndmask_b32_e64 v24, v25, v4, s9
	v_lshrrev_b32_e32 v19, 16, v18
	v_lshrrev_b32_e32 v37, 24, v18
	v_cndmask_b32_e64 v16, v16, v36, s11
	v_cndmask_b32_e64 v22, v17, v30, s11
	;; [unrolled: 1-line block ×3, first 2 shown]
	v_perm_b32 v21, 0, v19, 0xc0c0001
	v_and_b32_e32 v19, 0xff, v19
	v_lshrrev_b32_e32 v36, 8, v16
	v_and_b32_e32 v28, 0xff, v16
	v_cndmask_b32_e64 v38, v26, v5, s9
	v_lshlrev_b32_e32 v21, 16, v21
	v_cmp_gt_u16_e64 s13, v19, v37
	v_and_b32_e32 v36, 0xff, v36
	v_perm_b32 v37, v16, v16, 0x7060405
	v_cndmask_b32_e64 v19, v9, v23, s11
	v_and_or_b32 v21, 0xffff, v18, v21
	v_cndmask_b32_e64 v9, v23, v9, s11
	v_cmp_gt_u16_e64 s14, v28, v36
	v_cndmask_b32_e64 v28, v27, v10, s13
	v_cndmask_b32_e64 v5, v5, v26, s9
	;; [unrolled: 1-line block ×7, first 2 shown]
	v_lshrrev_b32_e32 v36, 16, v18
	v_lshrrev_b32_e32 v37, 8, v18
	;; [unrolled: 1-line block ×4, first 2 shown]
	v_perm_b32 v50, v18, v18, 0x7050604
	v_and_b32_e32 v36, 0xff, v36
	v_and_b32_e32 v37, 0xff, v37
	;; [unrolled: 1-line block ×3, first 2 shown]
	v_perm_b32 v23, v16, v16, 0x6070504
	v_cndmask_b32_e64 v13, v19, v13, s14
	v_cndmask_b32_e64 v19, v22, v29, s14
	v_cmp_gt_u16_e64 s7, v37, v36
	v_cmp_gt_u16_e64 s8, v20, v39
	v_cndmask_b32_e64 v10, v10, v27, s13
	v_cndmask_b32_e64 v49, v35, v31, s13
	v_cndmask_b32_e64 v31, v31, v35, s13
	v_cndmask_b32_e64 v18, v18, v50, s7
	v_cndmask_b32_e64 v16, v16, v23, s8
	v_cndmask_b32_e64 v20, v9, v14, s8
	v_cndmask_b32_e64 v14, v14, v9, s8
	v_cndmask_b32_e64 v36, v49, v38, s7
	v_lshrrev_b32_e32 v23, 16, v18
	v_lshlrev_b16 v37, 8, v16
	v_lshrrev_b32_e32 v39, 24, v18
	v_cndmask_b32_e64 v25, v24, v10, s7
	s_delay_alu instid0(VALU_DEP_4) | instskip(NEXT) | instid1(VALU_DEP_1)
	v_and_b32_e32 v23, 0xff, v23
	v_or_b32_e32 v23, v23, v37
	v_and_b32_e32 v37, 0xff, v16
	s_delay_alu instid0(VALU_DEP_2) | instskip(NEXT) | instid1(VALU_DEP_2)
	v_lshlrev_b32_e32 v23, 16, v23
	v_cmp_gt_u16_e64 s12, v39, v37
	s_delay_alu instid0(VALU_DEP_2) | instskip(NEXT) | instid1(VALU_DEP_2)
	v_and_or_b32 v23, 0xffff, v18, v23
	v_cndmask_b32_e64 v26, v31, v48, s12
	s_delay_alu instid0(VALU_DEP_2) | instskip(SKIP_1) | instid1(VALU_DEP_2)
	v_cndmask_b32_e64 v17, v18, v23, s12
	v_perm_b32 v18, v18, v16, 0x3020107
	v_lshrrev_b32_e32 v22, 8, v17
	s_delay_alu instid0(VALU_DEP_2) | instskip(SKIP_2) | instid1(VALU_DEP_4)
	v_cndmask_b32_e64 v16, v16, v18, s12
	v_perm_b32 v18, 0, v17, 0xc0c0001
	v_and_b32_e32 v23, 0xff, v17
	v_and_b32_e32 v22, 0xff, v22
	s_delay_alu instid0(VALU_DEP_4)
	v_lshrrev_b32_e32 v27, 16, v16
	v_lshrrev_b32_e32 v29, 8, v16
	v_and_or_b32 v18, 0xffff0000, v17, v18
	v_perm_b32 v9, v16, v16, 0x7050604
	v_cmp_gt_u16_e64 s9, v23, v22
	v_and_b32_e32 v23, 0xff, v27
	v_and_b32_e32 v27, 0xff, v29
	v_cndmask_b32_e64 v22, v15, v12, s8
	v_cndmask_b32_e64 v12, v12, v15, s8
	;; [unrolled: 1-line block ×4, first 2 shown]
	v_cmp_gt_u16_e64 s10, v27, v23
	v_cndmask_b32_e64 v27, v48, v31, s12
	v_cndmask_b32_e64 v24, v28, v21, s12
	v_lshrrev_b32_e32 v15, 16, v17
	v_lshrrev_b32_e32 v31, 24, v17
	v_cndmask_b32_e64 v9, v16, v9, s10
	v_cndmask_b32_e64 v16, v38, v49, s7
	;; [unrolled: 1-line block ×3, first 2 shown]
	v_perm_b32 v23, 0, v15, 0xc0c0001
	v_and_b32_e32 v15, 0xff, v15
	v_lshrrev_b32_e32 v30, 8, v9
	v_and_b32_e32 v21, 0xff, v9
	v_cndmask_b32_e64 v10, v19, v22, s10
	v_lshlrev_b32_e32 v23, 16, v23
	v_cmp_gt_u16_e64 s7, v15, v31
	v_and_b32_e32 v30, 0xff, v30
	v_perm_b32 v31, v9, v9, 0x7060405
	v_cndmask_b32_e64 v15, v13, v20, s10
	v_and_or_b32 v23, 0xffff, v17, v23
	v_cndmask_b32_e64 v13, v20, v13, s10
	v_cmp_gt_u16_e64 s8, v21, v30
	v_cndmask_b32_e64 v19, v22, v19, s10
	v_cndmask_b32_e64 v22, v16, v5, s9
	;; [unrolled: 1-line block ×7, first 2 shown]
	v_lshrrev_b32_e32 v17, 16, v21
	v_lshrrev_b32_e32 v20, 8, v21
	;; [unrolled: 1-line block ×3, first 2 shown]
	v_perm_b32 v35, v21, v21, 0x7050604
	v_cndmask_b32_e64 v30, v24, v18, s7
	v_and_b32_e32 v16, 0xff, v17
	v_and_b32_e32 v17, 0xff, v20
	v_lshrrev_b32_e32 v20, 24, v9
	v_and_b32_e32 v23, 0xff, v23
	v_cndmask_b32_e64 v48, v27, v10, s8
	v_cndmask_b32_e64 v18, v18, v24, s7
	v_cmp_gt_u16_e64 s10, v17, v16
	v_perm_b32 v16, v9, v9, 0x6070504
	v_cmp_gt_u16_e64 s9, v23, v20
	v_cndmask_b32_e64 v38, v28, v15, s8
	v_cndmask_b32_e64 v31, v36, v26, s7
	;; [unrolled: 1-line block ×7, first 2 shown]
	v_lshrrev_b32_e32 v9, 16, v39
	v_lshrrev_b32_e32 v27, 24, v39
	v_lshlrev_b16 v16, 8, v23
	v_and_b32_e32 v25, 0xff, v23
	v_cndmask_b32_e64 v26, v26, v36, s7
	v_and_b32_e32 v24, 0xff, v9
	v_cndmask_b32_e64 v15, v12, v19, s9
	v_perm_b32 v19, v39, v23, 0x3020107
	v_cmp_gt_u16_e64 s7, v27, v25
	v_cndmask_b32_e64 v17, v31, v22, s10
	v_or_b32_e32 v12, v24, v16
	v_cndmask_b32_e64 v16, v18, v29, s10
	v_cndmask_b32_e64 v9, v13, v14, s9
	;; [unrolled: 1-line block ×4, first 2 shown]
	v_lshlrev_b32_e32 v24, 16, v12
	v_cndmask_b32_e64 v12, v29, v18, s10
	v_cndmask_b32_e64 v13, v22, v31, s10
	v_lshrrev_b32_e32 v35, 16, v23
	v_lshrrev_b32_e32 v37, 8, v23
	v_and_or_b32 v18, 0xffff, v39, v24
	v_cndmask_b32_e64 v25, v26, v48, s7
	v_cndmask_b32_e64 v24, v30, v38, s7
	;; [unrolled: 1-line block ×3, first 2 shown]
	v_and_b32_e32 v19, 0xff, v37
	v_cndmask_b32_e64 v22, v39, v18, s7
	v_and_b32_e32 v18, 0xff, v35
	v_cndmask_b32_e64 v26, v38, v30, s7
	v_lshrrev_b32_e32 v36, 24, v23
	s_delay_alu instid0(VALU_DEP_4) | instskip(NEXT) | instid1(VALU_DEP_4)
	v_lshrrev_b64 v[28:29], 24, v[22:23]
	v_cmp_gt_u16_e64 s7, v19, v18
	v_mov_b32_e32 v19, v10
	v_lshrrev_b32_e32 v38, 16, v22
	v_lshrrev_b32_e32 v39, 8, v22
	v_mov_b32_e32 v18, v9
	s_and_saveexec_b32 s8, s7
; %bb.74:
	v_lshrrev_b32_e32 v36, 24, v23
	v_lshrrev_b32_e32 v35, 8, v23
	;; [unrolled: 1-line block ×5, first 2 shown]
	v_dual_mov_b32 v18, v20 :: v_dual_mov_b32 v19, v21
	v_dual_mov_b32 v21, v10 :: v_dual_mov_b32 v20, v9
; %bb.75:
	s_or_b32 exec_lo, exec_lo, s8
.LBB203_76:
	s_delay_alu instid0(SALU_CYCLE_1)
	s_or_b32 exec_lo, exec_lo, s15
	v_and_b32_e32 v10, 0xffffff00, v11
	v_or_b32_e32 v29, 8, v34
	v_and_b32_e32 v30, 8, v34
	v_and_b32_e32 v49, 0xf0, v34
	s_mov_b32 s8, exec_lo
	v_sub_nc_u32_e64 v11, 0x800, v10 clamp
	v_lshlrev_b32_e32 v9, 3, v10
	v_or_b32_e32 v52, v10, v34
	s_delay_alu instid0(VALU_DEP_3) | instskip(SKIP_1) | instid1(VALU_DEP_4)
	v_min_u32_e32 v31, v11, v29
	v_min_u32_e32 v50, v11, v30
	v_lshl_or_b32 v29, v34, 3, v9
	ds_store_b8 v52, v22
	ds_store_b64 v29, v[4:5] offset:2048
	ds_store_b8 v52, v39 offset:1
	v_add_nc_u32_e32 v48, 8, v31
	v_sub_nc_u32_e32 v53, v31, v49
	ds_store_b64 v29, v[12:13] offset:2056
	ds_store_b8 v52, v38 offset:2
	ds_store_b64 v29, v[16:17] offset:2064
	ds_store_b8 v52, v28 offset:3
	;; [unrolled: 2-line block ×6, first 2 shown]
	ds_store_b64 v29, v[14:15] offset:2104
	v_min_u32_e32 v48, v11, v48
	; wave barrier
	s_delay_alu instid0(VALU_DEP_1) | instskip(NEXT) | instid1(VALU_DEP_1)
	v_sub_nc_u32_e32 v30, v48, v31
	v_sub_nc_u32_e64 v51, v50, v30 clamp
	v_min_u32_e32 v30, v50, v53
	s_delay_alu instid0(VALU_DEP_1)
	v_cmpx_lt_u32_e64 v51, v30
	s_cbranch_execz .LBB203_80
; %bb.77:
	v_add_nc_u32_e32 v52, v10, v49
	v_add3_u32 v53, v10, v31, v50
	s_mov_b32 s9, 0
	.p2align	6
.LBB203_78:                             ; =>This Inner Loop Header: Depth=1
	v_add_nc_u32_e32 v54, v30, v51
	s_delay_alu instid0(VALU_DEP_1) | instskip(NEXT) | instid1(VALU_DEP_1)
	v_lshrrev_b32_e32 v54, 1, v54
	v_add_nc_u32_e32 v55, v52, v54
	v_xad_u32 v64, v54, -1, v53
	v_add_nc_u32_e32 v65, 1, v54
	ds_load_u8 v55, v55
	ds_load_u8 v64, v64
	s_waitcnt lgkmcnt(0)
	v_cmp_gt_u16_e64 s7, v55, v64
	s_delay_alu instid0(VALU_DEP_1) | instskip(SKIP_1) | instid1(VALU_DEP_1)
	v_cndmask_b32_e64 v30, v30, v54, s7
	v_cndmask_b32_e64 v51, v65, v51, s7
	v_cmp_ge_u32_e64 s7, v51, v30
	s_delay_alu instid0(VALU_DEP_1) | instskip(NEXT) | instid1(SALU_CYCLE_1)
	s_or_b32 s9, s7, s9
	s_and_not1_b32 exec_lo, exec_lo, s9
	s_cbranch_execnz .LBB203_78
; %bb.79:
	s_or_b32 exec_lo, exec_lo, s9
.LBB203_80:
	s_delay_alu instid0(SALU_CYCLE_1) | instskip(SKIP_3) | instid1(VALU_DEP_3)
	s_or_b32 exec_lo, exec_lo, s8
	v_add_nc_u32_e32 v52, v31, v50
	v_add_nc_u32_e32 v50, v51, v49
	;; [unrolled: 1-line block ×3, first 2 shown]
	v_sub_nc_u32_e32 v49, v52, v51
	s_delay_alu instid0(VALU_DEP_3) | instskip(NEXT) | instid1(VALU_DEP_2)
	v_cmp_le_u32_e64 s7, v50, v31
	v_cmp_le_u32_e64 s8, v49, v48
	s_delay_alu instid0(VALU_DEP_1) | instskip(NEXT) | instid1(SALU_CYCLE_1)
	s_or_b32 s7, s7, s8
	s_and_saveexec_b32 s18, s7
	s_cbranch_execz .LBB203_86
; %bb.81:
	v_cmp_lt_u32_e64 s7, v50, v31
                                        ; implicit-def: $vgpr22
	s_delay_alu instid0(VALU_DEP_1)
	s_and_saveexec_b32 s8, s7
	s_cbranch_execz .LBB203_83
; %bb.82:
	v_add_nc_u32_e32 v4, v10, v50
	ds_load_u8 v22, v4
.LBB203_83:
	s_or_b32 exec_lo, exec_lo, s8
	v_cmp_ge_u32_e64 s8, v49, v48
	s_mov_b32 s10, exec_lo
                                        ; implicit-def: $vgpr23
	v_cmpx_lt_u32_e64 v49, v48
	s_cbranch_execz .LBB203_85
; %bb.84:
	v_add_nc_u32_e32 v4, v10, v49
	ds_load_u8 v23, v4
.LBB203_85:
	s_or_b32 exec_lo, exec_lo, s10
	s_waitcnt lgkmcnt(0)
	v_and_b32_e32 v4, 0xff, v23
	v_and_b32_e32 v5, 0xff, v22
	s_delay_alu instid0(VALU_DEP_1) | instskip(NEXT) | instid1(VALU_DEP_1)
	v_cmp_le_u16_e64 s9, v5, v4
	s_and_b32 s7, s7, s9
	s_delay_alu instid0(SALU_CYCLE_1) | instskip(NEXT) | instid1(SALU_CYCLE_1)
	s_or_b32 s7, s8, s7
	v_cndmask_b32_e64 v4, v49, v50, s7
	v_cndmask_b32_e64 v5, v48, v31, s7
	s_delay_alu instid0(VALU_DEP_2) | instskip(NEXT) | instid1(VALU_DEP_2)
	v_add_nc_u32_e32 v12, 1, v4
	v_add_nc_u32_e32 v5, -1, v5
	v_lshl_add_u32 v4, v4, 3, v9
	s_delay_alu instid0(VALU_DEP_2) | instskip(NEXT) | instid1(VALU_DEP_1)
	v_min_u32_e32 v5, v12, v5
	v_add_nc_u32_e32 v5, v10, v5
	ds_load_u8 v5, v5
	s_waitcnt lgkmcnt(0)
	v_cndmask_b32_e64 v28, v5, v23, s7
	v_cndmask_b32_e64 v35, v22, v5, s7
	;; [unrolled: 1-line block ×5, first 2 shown]
	v_and_b32_e32 v13, 0xff, v28
	v_and_b32_e32 v14, 0xff, v35
	v_cmp_lt_u32_e64 s8, v5, v31
	v_cmp_ge_u32_e64 s10, v12, v48
	s_delay_alu instid0(VALU_DEP_3) | instskip(NEXT) | instid1(VALU_DEP_1)
	v_cmp_le_u16_e64 s9, v14, v13
	s_and_b32 s8, s8, s9
	s_delay_alu instid0(VALU_DEP_2) | instid1(SALU_CYCLE_1)
	s_or_b32 s8, s10, s8
	s_delay_alu instid0(SALU_CYCLE_1) | instskip(SKIP_2) | instid1(VALU_DEP_3)
	v_cndmask_b32_e64 v13, v12, v5, s8
	v_cndmask_b32_e64 v14, v48, v31, s8
	;; [unrolled: 1-line block ×3, first 2 shown]
	v_add_nc_u32_e32 v15, 1, v13
	s_delay_alu instid0(VALU_DEP_3) | instskip(NEXT) | instid1(VALU_DEP_2)
	v_add_nc_u32_e32 v14, -1, v14
	v_cndmask_b32_e64 v5, v5, v15, s8
	s_delay_alu instid0(VALU_DEP_2) | instskip(SKIP_1) | instid1(VALU_DEP_3)
	v_min_u32_e32 v14, v15, v14
	v_cndmask_b32_e64 v12, v15, v12, s8
	v_cmp_lt_u32_e64 s9, v5, v31
	s_delay_alu instid0(VALU_DEP_3) | instskip(NEXT) | instid1(VALU_DEP_3)
	v_add_nc_u32_e32 v14, v10, v14
	v_cmp_ge_u32_e64 s11, v12, v48
	ds_load_u8 v14, v14
	s_waitcnt lgkmcnt(0)
	v_cndmask_b32_e64 v36, v14, v28, s8
	v_cndmask_b32_e64 v37, v35, v14, s8
	s_delay_alu instid0(VALU_DEP_2) | instskip(NEXT) | instid1(VALU_DEP_2)
	v_and_b32_e32 v14, 0xff, v36
	v_and_b32_e32 v16, 0xff, v37
	s_delay_alu instid0(VALU_DEP_1) | instskip(NEXT) | instid1(VALU_DEP_1)
	v_cmp_le_u16_e64 s10, v16, v14
	s_and_b32 s9, s9, s10
	s_delay_alu instid0(SALU_CYCLE_1) | instskip(NEXT) | instid1(SALU_CYCLE_1)
	s_or_b32 s9, s11, s9
	v_cndmask_b32_e64 v14, v12, v5, s9
	v_cndmask_b32_e64 v15, v48, v31, s9
	;; [unrolled: 1-line block ×3, first 2 shown]
	s_delay_alu instid0(VALU_DEP_3) | instskip(NEXT) | instid1(VALU_DEP_3)
	v_add_nc_u32_e32 v16, 1, v14
	v_add_nc_u32_e32 v15, -1, v15
	v_lshl_add_u32 v14, v14, 3, v9
	s_delay_alu instid0(VALU_DEP_3) | instskip(NEXT) | instid1(VALU_DEP_3)
	v_cndmask_b32_e64 v5, v5, v16, s9
	v_min_u32_e32 v15, v16, v15
	v_cndmask_b32_e64 v12, v16, v12, s9
	s_delay_alu instid0(VALU_DEP_3) | instskip(NEXT) | instid1(VALU_DEP_3)
	v_cmp_lt_u32_e64 s10, v5, v31
	v_add_nc_u32_e32 v15, v10, v15
	s_delay_alu instid0(VALU_DEP_3) | instskip(SKIP_4) | instid1(VALU_DEP_2)
	v_cmp_ge_u32_e64 s12, v12, v48
	ds_load_u8 v15, v15
	s_waitcnt lgkmcnt(0)
	v_cndmask_b32_e64 v49, v15, v36, s9
	v_cndmask_b32_e64 v50, v37, v15, s9
	v_and_b32_e32 v15, 0xff, v49
	s_delay_alu instid0(VALU_DEP_2) | instskip(NEXT) | instid1(VALU_DEP_1)
	v_and_b32_e32 v17, 0xff, v50
	v_cmp_le_u16_e64 s11, v17, v15
	s_delay_alu instid0(VALU_DEP_1) | instskip(NEXT) | instid1(SALU_CYCLE_1)
	s_and_b32 s10, s10, s11
	s_or_b32 s10, s12, s10
	s_delay_alu instid0(SALU_CYCLE_1) | instskip(SKIP_2) | instid1(VALU_DEP_3)
	v_cndmask_b32_e64 v15, v12, v5, s10
	v_cndmask_b32_e64 v16, v48, v31, s10
	;; [unrolled: 1-line block ×3, first 2 shown]
	v_add_nc_u32_e32 v17, 1, v15
	s_delay_alu instid0(VALU_DEP_3) | instskip(SKIP_1) | instid1(VALU_DEP_3)
	v_add_nc_u32_e32 v16, -1, v16
	v_lshl_add_u32 v15, v15, 3, v9
	v_cndmask_b32_e64 v5, v5, v17, s10
	s_delay_alu instid0(VALU_DEP_3) | instskip(SKIP_1) | instid1(VALU_DEP_3)
	v_min_u32_e32 v16, v17, v16
	v_cndmask_b32_e64 v12, v17, v12, s10
	v_cmp_lt_u32_e64 s11, v5, v31
	s_delay_alu instid0(VALU_DEP_3) | instskip(NEXT) | instid1(VALU_DEP_3)
	v_add_nc_u32_e32 v16, v10, v16
	v_cmp_ge_u32_e64 s13, v12, v48
	ds_load_u8 v16, v16
	s_waitcnt lgkmcnt(0)
	v_cndmask_b32_e64 v51, v16, v49, s10
	v_cndmask_b32_e64 v52, v50, v16, s10
	s_delay_alu instid0(VALU_DEP_2) | instskip(NEXT) | instid1(VALU_DEP_2)
	v_and_b32_e32 v16, 0xff, v51
	v_and_b32_e32 v18, 0xff, v52
	s_delay_alu instid0(VALU_DEP_1) | instskip(NEXT) | instid1(VALU_DEP_1)
	v_cmp_le_u16_e64 s12, v18, v16
	s_and_b32 s11, s11, s12
	s_delay_alu instid0(SALU_CYCLE_1) | instskip(NEXT) | instid1(SALU_CYCLE_1)
	s_or_b32 s11, s13, s11
	v_cndmask_b32_e64 v18, v12, v5, s11
	v_cndmask_b32_e64 v16, v48, v31, s11
	v_cndmask_b32_e64 v23, v51, v52, s11
	s_delay_alu instid0(VALU_DEP_3) | instskip(NEXT) | instid1(VALU_DEP_3)
	v_add_nc_u32_e32 v17, 1, v18
	v_add_nc_u32_e32 v16, -1, v16
	v_lshl_add_u32 v18, v18, 3, v9
	s_delay_alu instid0(VALU_DEP_3) | instskip(NEXT) | instid1(VALU_DEP_3)
	v_cndmask_b32_e64 v5, v5, v17, s11
	v_min_u32_e32 v16, v17, v16
	v_cndmask_b32_e64 v12, v17, v12, s11
	s_delay_alu instid0(VALU_DEP_3) | instskip(NEXT) | instid1(VALU_DEP_3)
	v_cmp_lt_u32_e64 s12, v5, v31
	v_add_nc_u32_e32 v16, v10, v16
	s_delay_alu instid0(VALU_DEP_3) | instskip(SKIP_4) | instid1(VALU_DEP_2)
	v_cmp_ge_u32_e64 s14, v12, v48
	ds_load_u8 v16, v16
	s_waitcnt lgkmcnt(0)
	v_cndmask_b32_e64 v53, v16, v51, s11
	v_cndmask_b32_e64 v54, v52, v16, s11
	v_and_b32_e32 v16, 0xff, v53
	s_delay_alu instid0(VALU_DEP_2) | instskip(NEXT) | instid1(VALU_DEP_1)
	v_and_b32_e32 v19, 0xff, v54
	v_cmp_le_u16_e64 s13, v19, v16
	s_delay_alu instid0(VALU_DEP_1) | instskip(NEXT) | instid1(SALU_CYCLE_1)
	s_and_b32 s12, s12, s13
	s_or_b32 s12, s14, s12
	s_delay_alu instid0(SALU_CYCLE_1) | instskip(SKIP_2) | instid1(VALU_DEP_3)
	v_cndmask_b32_e64 v19, v12, v5, s12
	v_cndmask_b32_e64 v16, v48, v31, s12
	;; [unrolled: 1-line block ×3, first 2 shown]
	v_add_nc_u32_e32 v17, 1, v19
	s_delay_alu instid0(VALU_DEP_3) | instskip(SKIP_1) | instid1(VALU_DEP_3)
	v_add_nc_u32_e32 v16, -1, v16
	v_lshl_add_u32 v19, v19, 3, v9
	v_cndmask_b32_e64 v5, v5, v17, s12
	s_delay_alu instid0(VALU_DEP_3) | instskip(SKIP_1) | instid1(VALU_DEP_3)
	v_min_u32_e32 v16, v17, v16
	v_cndmask_b32_e64 v12, v17, v12, s12
	v_cmp_lt_u32_e64 s13, v5, v31
	s_delay_alu instid0(VALU_DEP_3) | instskip(NEXT) | instid1(VALU_DEP_3)
	v_add_nc_u32_e32 v16, v10, v16
	v_cmp_ge_u32_e64 s15, v12, v48
	ds_load_u8 v16, v16
	s_waitcnt lgkmcnt(0)
	v_cndmask_b32_e64 v55, v16, v53, s12
	v_cndmask_b32_e64 v64, v54, v16, s12
	s_delay_alu instid0(VALU_DEP_2) | instskip(NEXT) | instid1(VALU_DEP_2)
	v_and_b32_e32 v16, 0xff, v55
	v_and_b32_e32 v20, 0xff, v64
	s_delay_alu instid0(VALU_DEP_1) | instskip(NEXT) | instid1(VALU_DEP_1)
	v_cmp_le_u16_e64 s14, v20, v16
	s_and_b32 s13, s13, s14
	s_delay_alu instid0(SALU_CYCLE_1) | instskip(NEXT) | instid1(SALU_CYCLE_1)
	s_or_b32 s13, s15, s13
	v_cndmask_b32_e64 v20, v12, v5, s13
	v_cndmask_b32_e64 v16, v48, v31, s13
	;; [unrolled: 1-line block ×3, first 2 shown]
	s_delay_alu instid0(VALU_DEP_3) | instskip(NEXT) | instid1(VALU_DEP_3)
	v_add_nc_u32_e32 v17, 1, v20
	v_add_nc_u32_e32 v16, -1, v16
	s_delay_alu instid0(VALU_DEP_2) | instskip(NEXT) | instid1(VALU_DEP_2)
	v_cndmask_b32_e64 v21, v5, v17, s13
	v_min_u32_e32 v16, v17, v16
	v_cndmask_b32_e64 v24, v17, v12, s13
	v_lshl_add_u32 v12, v13, 3, v9
	s_delay_alu instid0(VALU_DEP_4) | instskip(NEXT) | instid1(VALU_DEP_4)
	v_cmp_lt_u32_e64 s14, v21, v31
	v_add_nc_u32_e32 v16, v10, v16
	s_delay_alu instid0(VALU_DEP_4)
	v_cmp_ge_u32_e64 s16, v24, v48
	v_lshl_add_u32 v31, v20, 3, v9
	ds_load_u8 v16, v16
	s_waitcnt lgkmcnt(0)
	v_cndmask_b32_e64 v65, v16, v55, s13
	v_cndmask_b32_e64 v66, v64, v16, s13
	s_delay_alu instid0(VALU_DEP_2) | instskip(NEXT) | instid1(VALU_DEP_2)
	v_and_b32_e32 v5, 0xff, v65
	v_and_b32_e32 v16, 0xff, v66
	s_delay_alu instid0(VALU_DEP_1) | instskip(SKIP_4) | instid1(SALU_CYCLE_1)
	v_cmp_le_u16_e64 s15, v16, v5
	ds_load_b64 v[4:5], v4 offset:2048
	ds_load_b64 v[12:13], v12 offset:2048
	;; [unrolled: 1-line block ×3, first 2 shown]
	s_and_b32 s14, s14, s15
	s_or_b32 s14, s16, s14
	s_delay_alu instid0(SALU_CYCLE_1) | instskip(SKIP_1) | instid1(VALU_DEP_2)
	v_cndmask_b32_e64 v14, v24, v21, s14
	v_cndmask_b32_e64 v36, v65, v66, s14
	v_lshl_add_u32 v14, v14, 3, v9
	ds_load_b64 v[24:25], v15 offset:2048
	ds_load_b64 v[26:27], v18 offset:2048
	;; [unrolled: 1-line block ×5, first 2 shown]
.LBB203_86:
	s_or_b32 exec_lo, exec_lo, s18
	v_and_b32_e32 v50, 0xe0, v34
	v_and_b32_e32 v51, 24, v34
	s_mov_b32 s8, exec_lo
	; wave barrier
	s_delay_alu instid0(VALU_DEP_2) | instskip(NEXT) | instid1(VALU_DEP_2)
	v_or_b32_e32 v31, 16, v50
	v_min_u32_e32 v51, v11, v51
	s_delay_alu instid0(VALU_DEP_2)
	v_min_u32_e32 v48, v11, v31
	v_add_nc_u32_e32 v31, v10, v34
	ds_store_b8 v31, v22
	s_waitcnt lgkmcnt(8)
	ds_store_b64 v29, v[4:5] offset:2048
	ds_store_b8 v31, v39 offset:1
	s_waitcnt lgkmcnt(9)
	ds_store_b64 v30, v[12:13] offset:8
	v_add_nc_u32_e32 v49, 16, v48
	v_sub_nc_u32_e32 v53, v48, v50
	ds_store_b8 v31, v38 offset:2
	s_waitcnt lgkmcnt(10)
	ds_store_b64 v30, v[16:17] offset:16
	ds_store_b8 v31, v28 offset:3
	s_waitcnt lgkmcnt(11)
	ds_store_b64 v30, v[24:25] offset:24
	;; [unrolled: 3-line block ×6, first 2 shown]
	v_min_u32_e32 v49, v11, v49
	v_min_u32_e32 v53, v51, v53
	; wave barrier
	s_delay_alu instid0(VALU_DEP_2) | instskip(NEXT) | instid1(VALU_DEP_1)
	v_sub_nc_u32_e32 v52, v49, v48
	v_sub_nc_u32_e64 v52, v51, v52 clamp
	s_delay_alu instid0(VALU_DEP_1)
	v_cmpx_lt_u32_e64 v52, v53
	s_cbranch_execz .LBB203_90
; %bb.87:
	v_add_nc_u32_e32 v54, v10, v50
	v_add3_u32 v55, v10, v48, v51
	s_mov_b32 s9, 0
	.p2align	6
.LBB203_88:                             ; =>This Inner Loop Header: Depth=1
	v_add_nc_u32_e32 v64, v53, v52
	s_delay_alu instid0(VALU_DEP_1) | instskip(NEXT) | instid1(VALU_DEP_1)
	v_lshrrev_b32_e32 v64, 1, v64
	v_add_nc_u32_e32 v65, v54, v64
	v_xad_u32 v66, v64, -1, v55
	v_add_nc_u32_e32 v67, 1, v64
	ds_load_u8 v65, v65
	ds_load_u8 v66, v66
	s_waitcnt lgkmcnt(0)
	v_cmp_gt_u16_e64 s7, v65, v66
	s_delay_alu instid0(VALU_DEP_1) | instskip(SKIP_1) | instid1(VALU_DEP_1)
	v_cndmask_b32_e64 v53, v53, v64, s7
	v_cndmask_b32_e64 v52, v67, v52, s7
	v_cmp_ge_u32_e64 s7, v52, v53
	s_delay_alu instid0(VALU_DEP_1) | instskip(NEXT) | instid1(SALU_CYCLE_1)
	s_or_b32 s9, s7, s9
	s_and_not1_b32 exec_lo, exec_lo, s9
	s_cbranch_execnz .LBB203_88
; %bb.89:
	s_or_b32 exec_lo, exec_lo, s9
.LBB203_90:
	s_delay_alu instid0(SALU_CYCLE_1) | instskip(SKIP_2) | instid1(VALU_DEP_2)
	s_or_b32 exec_lo, exec_lo, s8
	v_add_nc_u32_e32 v53, v48, v51
	v_add_nc_u32_e32 v51, v52, v50
	v_sub_nc_u32_e32 v50, v53, v52
	s_delay_alu instid0(VALU_DEP_2) | instskip(NEXT) | instid1(VALU_DEP_2)
	v_cmp_le_u32_e64 s7, v51, v48
	v_cmp_le_u32_e64 s8, v50, v49
	s_delay_alu instid0(VALU_DEP_1) | instskip(NEXT) | instid1(SALU_CYCLE_1)
	s_or_b32 s7, s7, s8
	s_and_saveexec_b32 s18, s7
	s_cbranch_execz .LBB203_96
; %bb.91:
	v_cmp_lt_u32_e64 s7, v51, v48
                                        ; implicit-def: $vgpr22
	s_delay_alu instid0(VALU_DEP_1)
	s_and_saveexec_b32 s8, s7
	s_cbranch_execz .LBB203_93
; %bb.92:
	v_add_nc_u32_e32 v4, v10, v51
	ds_load_u8 v22, v4
.LBB203_93:
	s_or_b32 exec_lo, exec_lo, s8
	v_cmp_ge_u32_e64 s8, v50, v49
	s_mov_b32 s10, exec_lo
                                        ; implicit-def: $vgpr23
	v_cmpx_lt_u32_e64 v50, v49
	s_cbranch_execz .LBB203_95
; %bb.94:
	v_add_nc_u32_e32 v4, v10, v50
	ds_load_u8 v23, v4
.LBB203_95:
	s_or_b32 exec_lo, exec_lo, s10
	s_waitcnt lgkmcnt(0)
	v_and_b32_e32 v4, 0xff, v23
	v_and_b32_e32 v5, 0xff, v22
	s_delay_alu instid0(VALU_DEP_1) | instskip(NEXT) | instid1(VALU_DEP_1)
	v_cmp_le_u16_e64 s9, v5, v4
	s_and_b32 s7, s7, s9
	s_delay_alu instid0(SALU_CYCLE_1) | instskip(NEXT) | instid1(SALU_CYCLE_1)
	s_or_b32 s7, s8, s7
	v_cndmask_b32_e64 v4, v50, v51, s7
	v_cndmask_b32_e64 v5, v49, v48, s7
	s_delay_alu instid0(VALU_DEP_2) | instskip(NEXT) | instid1(VALU_DEP_2)
	v_add_nc_u32_e32 v12, 1, v4
	v_add_nc_u32_e32 v5, -1, v5
	v_lshl_add_u32 v4, v4, 3, v9
	s_delay_alu instid0(VALU_DEP_2) | instskip(NEXT) | instid1(VALU_DEP_1)
	v_min_u32_e32 v5, v12, v5
	v_add_nc_u32_e32 v5, v10, v5
	ds_load_u8 v5, v5
	s_waitcnt lgkmcnt(0)
	v_cndmask_b32_e64 v28, v5, v23, s7
	v_cndmask_b32_e64 v35, v22, v5, s7
	;; [unrolled: 1-line block ×5, first 2 shown]
	v_and_b32_e32 v13, 0xff, v28
	v_and_b32_e32 v14, 0xff, v35
	v_cmp_lt_u32_e64 s8, v5, v48
	v_cmp_ge_u32_e64 s10, v12, v49
	s_delay_alu instid0(VALU_DEP_3) | instskip(NEXT) | instid1(VALU_DEP_1)
	v_cmp_le_u16_e64 s9, v14, v13
	s_and_b32 s8, s8, s9
	s_delay_alu instid0(VALU_DEP_2) | instid1(SALU_CYCLE_1)
	s_or_b32 s8, s10, s8
	s_delay_alu instid0(SALU_CYCLE_1) | instskip(SKIP_2) | instid1(VALU_DEP_3)
	v_cndmask_b32_e64 v13, v12, v5, s8
	v_cndmask_b32_e64 v14, v49, v48, s8
	;; [unrolled: 1-line block ×3, first 2 shown]
	v_add_nc_u32_e32 v15, 1, v13
	s_delay_alu instid0(VALU_DEP_3) | instskip(NEXT) | instid1(VALU_DEP_2)
	v_add_nc_u32_e32 v14, -1, v14
	v_cndmask_b32_e64 v5, v5, v15, s8
	s_delay_alu instid0(VALU_DEP_2) | instskip(SKIP_1) | instid1(VALU_DEP_3)
	v_min_u32_e32 v14, v15, v14
	v_cndmask_b32_e64 v12, v15, v12, s8
	v_cmp_lt_u32_e64 s9, v5, v48
	s_delay_alu instid0(VALU_DEP_3) | instskip(NEXT) | instid1(VALU_DEP_3)
	v_add_nc_u32_e32 v14, v10, v14
	v_cmp_ge_u32_e64 s11, v12, v49
	ds_load_u8 v14, v14
	s_waitcnt lgkmcnt(0)
	v_cndmask_b32_e64 v36, v14, v28, s8
	v_cndmask_b32_e64 v37, v35, v14, s8
	s_delay_alu instid0(VALU_DEP_2) | instskip(NEXT) | instid1(VALU_DEP_2)
	v_and_b32_e32 v14, 0xff, v36
	v_and_b32_e32 v16, 0xff, v37
	s_delay_alu instid0(VALU_DEP_1) | instskip(NEXT) | instid1(VALU_DEP_1)
	v_cmp_le_u16_e64 s10, v16, v14
	s_and_b32 s9, s9, s10
	s_delay_alu instid0(SALU_CYCLE_1) | instskip(NEXT) | instid1(SALU_CYCLE_1)
	s_or_b32 s9, s11, s9
	v_cndmask_b32_e64 v14, v12, v5, s9
	v_cndmask_b32_e64 v15, v49, v48, s9
	s_delay_alu instid0(VALU_DEP_2) | instskip(NEXT) | instid1(VALU_DEP_2)
	v_add_nc_u32_e32 v16, 1, v14
	v_add_nc_u32_e32 v15, -1, v15
	v_lshl_add_u32 v14, v14, 3, v9
	s_delay_alu instid0(VALU_DEP_3) | instskip(NEXT) | instid1(VALU_DEP_3)
	v_cndmask_b32_e64 v5, v5, v16, s9
	v_min_u32_e32 v15, v16, v15
	v_cndmask_b32_e64 v12, v16, v12, s9
	s_delay_alu instid0(VALU_DEP_3) | instskip(NEXT) | instid1(VALU_DEP_3)
	v_cmp_lt_u32_e64 s10, v5, v48
	v_add_nc_u32_e32 v15, v10, v15
	s_delay_alu instid0(VALU_DEP_3) | instskip(SKIP_4) | instid1(VALU_DEP_2)
	v_cmp_ge_u32_e64 s12, v12, v49
	ds_load_u8 v15, v15
	s_waitcnt lgkmcnt(0)
	v_cndmask_b32_e64 v50, v15, v36, s9
	v_cndmask_b32_e64 v51, v37, v15, s9
	v_and_b32_e32 v15, 0xff, v50
	s_delay_alu instid0(VALU_DEP_2) | instskip(NEXT) | instid1(VALU_DEP_1)
	v_and_b32_e32 v17, 0xff, v51
	v_cmp_le_u16_e64 s11, v17, v15
	s_delay_alu instid0(VALU_DEP_1) | instskip(NEXT) | instid1(SALU_CYCLE_1)
	s_and_b32 s10, s10, s11
	s_or_b32 s10, s12, s10
	s_delay_alu instid0(SALU_CYCLE_1) | instskip(SKIP_2) | instid1(VALU_DEP_3)
	v_cndmask_b32_e64 v15, v12, v5, s10
	v_cndmask_b32_e64 v16, v49, v48, s10
	;; [unrolled: 1-line block ×3, first 2 shown]
	v_add_nc_u32_e32 v17, 1, v15
	s_delay_alu instid0(VALU_DEP_3) | instskip(SKIP_1) | instid1(VALU_DEP_3)
	v_add_nc_u32_e32 v16, -1, v16
	v_lshl_add_u32 v15, v15, 3, v9
	v_cndmask_b32_e64 v5, v5, v17, s10
	s_delay_alu instid0(VALU_DEP_3) | instskip(SKIP_1) | instid1(VALU_DEP_3)
	v_min_u32_e32 v16, v17, v16
	v_cndmask_b32_e64 v12, v17, v12, s10
	v_cmp_lt_u32_e64 s11, v5, v48
	s_delay_alu instid0(VALU_DEP_3) | instskip(NEXT) | instid1(VALU_DEP_3)
	v_add_nc_u32_e32 v16, v10, v16
	v_cmp_ge_u32_e64 s13, v12, v49
	ds_load_u8 v16, v16
	s_waitcnt lgkmcnt(0)
	v_cndmask_b32_e64 v52, v16, v50, s10
	v_cndmask_b32_e64 v53, v51, v16, s10
	s_delay_alu instid0(VALU_DEP_2) | instskip(NEXT) | instid1(VALU_DEP_2)
	v_and_b32_e32 v16, 0xff, v52
	v_and_b32_e32 v18, 0xff, v53
	s_delay_alu instid0(VALU_DEP_1) | instskip(NEXT) | instid1(VALU_DEP_1)
	v_cmp_le_u16_e64 s12, v18, v16
	s_and_b32 s11, s11, s12
	s_delay_alu instid0(SALU_CYCLE_1) | instskip(NEXT) | instid1(SALU_CYCLE_1)
	s_or_b32 s11, s13, s11
	v_cndmask_b32_e64 v18, v12, v5, s11
	v_cndmask_b32_e64 v16, v49, v48, s11
	;; [unrolled: 1-line block ×3, first 2 shown]
	s_delay_alu instid0(VALU_DEP_3) | instskip(NEXT) | instid1(VALU_DEP_3)
	v_add_nc_u32_e32 v17, 1, v18
	v_add_nc_u32_e32 v16, -1, v16
	v_lshl_add_u32 v18, v18, 3, v9
	s_delay_alu instid0(VALU_DEP_3) | instskip(NEXT) | instid1(VALU_DEP_3)
	v_cndmask_b32_e64 v5, v5, v17, s11
	v_min_u32_e32 v16, v17, v16
	v_cndmask_b32_e64 v12, v17, v12, s11
	s_delay_alu instid0(VALU_DEP_3) | instskip(NEXT) | instid1(VALU_DEP_3)
	v_cmp_lt_u32_e64 s12, v5, v48
	v_add_nc_u32_e32 v16, v10, v16
	s_delay_alu instid0(VALU_DEP_3) | instskip(SKIP_4) | instid1(VALU_DEP_2)
	v_cmp_ge_u32_e64 s14, v12, v49
	ds_load_u8 v16, v16
	s_waitcnt lgkmcnt(0)
	v_cndmask_b32_e64 v54, v16, v52, s11
	v_cndmask_b32_e64 v55, v53, v16, s11
	v_and_b32_e32 v16, 0xff, v54
	s_delay_alu instid0(VALU_DEP_2) | instskip(NEXT) | instid1(VALU_DEP_1)
	v_and_b32_e32 v19, 0xff, v55
	v_cmp_le_u16_e64 s13, v19, v16
	s_delay_alu instid0(VALU_DEP_1) | instskip(NEXT) | instid1(SALU_CYCLE_1)
	s_and_b32 s12, s12, s13
	s_or_b32 s12, s14, s12
	s_delay_alu instid0(SALU_CYCLE_1) | instskip(SKIP_1) | instid1(VALU_DEP_2)
	v_cndmask_b32_e64 v19, v12, v5, s12
	v_cndmask_b32_e64 v16, v49, v48, s12
	v_add_nc_u32_e32 v17, 1, v19
	s_delay_alu instid0(VALU_DEP_2) | instskip(SKIP_1) | instid1(VALU_DEP_3)
	v_add_nc_u32_e32 v16, -1, v16
	v_lshl_add_u32 v19, v19, 3, v9
	v_cndmask_b32_e64 v5, v5, v17, s12
	s_delay_alu instid0(VALU_DEP_3) | instskip(SKIP_1) | instid1(VALU_DEP_3)
	v_min_u32_e32 v16, v17, v16
	v_cndmask_b32_e64 v12, v17, v12, s12
	v_cmp_lt_u32_e64 s13, v5, v48
	s_delay_alu instid0(VALU_DEP_3) | instskip(NEXT) | instid1(VALU_DEP_3)
	v_add_nc_u32_e32 v16, v10, v16
	v_cmp_ge_u32_e64 s15, v12, v49
	ds_load_u8 v16, v16
	s_waitcnt lgkmcnt(0)
	v_cndmask_b32_e64 v64, v16, v54, s12
	v_cndmask_b32_e64 v65, v55, v16, s12
	s_delay_alu instid0(VALU_DEP_2) | instskip(NEXT) | instid1(VALU_DEP_2)
	v_and_b32_e32 v16, 0xff, v64
	v_and_b32_e32 v20, 0xff, v65
	s_delay_alu instid0(VALU_DEP_1) | instskip(NEXT) | instid1(VALU_DEP_1)
	v_cmp_le_u16_e64 s14, v20, v16
	s_and_b32 s13, s13, s14
	s_delay_alu instid0(SALU_CYCLE_1) | instskip(NEXT) | instid1(SALU_CYCLE_1)
	s_or_b32 s13, s15, s13
	v_cndmask_b32_e64 v20, v12, v5, s13
	v_cndmask_b32_e64 v16, v49, v48, s13
	;; [unrolled: 1-line block ×3, first 2 shown]
	s_delay_alu instid0(VALU_DEP_3) | instskip(NEXT) | instid1(VALU_DEP_3)
	v_add_nc_u32_e32 v17, 1, v20
	v_add_nc_u32_e32 v16, -1, v16
	v_lshl_add_u32 v38, v20, 3, v9
	s_delay_alu instid0(VALU_DEP_3) | instskip(NEXT) | instid1(VALU_DEP_3)
	v_cndmask_b32_e64 v21, v5, v17, s13
	v_min_u32_e32 v16, v17, v16
	v_cndmask_b32_e64 v24, v17, v12, s13
	v_lshl_add_u32 v12, v13, 3, v9
	s_delay_alu instid0(VALU_DEP_4) | instskip(NEXT) | instid1(VALU_DEP_4)
	v_cmp_lt_u32_e64 s14, v21, v48
	v_add_nc_u32_e32 v16, v10, v16
	s_delay_alu instid0(VALU_DEP_4) | instskip(SKIP_4) | instid1(VALU_DEP_2)
	v_cmp_ge_u32_e64 s16, v24, v49
	ds_load_u8 v16, v16
	s_waitcnt lgkmcnt(0)
	v_cndmask_b32_e64 v66, v16, v64, s13
	v_cndmask_b32_e64 v67, v65, v16, s13
	v_and_b32_e32 v5, 0xff, v66
	s_delay_alu instid0(VALU_DEP_2) | instskip(NEXT) | instid1(VALU_DEP_1)
	v_and_b32_e32 v16, 0xff, v67
	v_cmp_le_u16_e64 s15, v16, v5
	ds_load_b64 v[4:5], v4 offset:2048
	ds_load_b64 v[12:13], v12 offset:2048
	;; [unrolled: 1-line block ×3, first 2 shown]
	s_and_b32 s14, s14, s15
	s_delay_alu instid0(SALU_CYCLE_1) | instskip(NEXT) | instid1(SALU_CYCLE_1)
	s_or_b32 s14, s16, s14
	v_cndmask_b32_e64 v14, v24, v21, s14
	s_delay_alu instid0(VALU_DEP_1)
	v_lshl_add_u32 v14, v14, 3, v9
	ds_load_b64 v[24:25], v15 offset:2048
	ds_load_b64 v[26:27], v18 offset:2048
	;; [unrolled: 1-line block ×5, first 2 shown]
	v_cndmask_b32_e64 v38, v36, v37, s9
	v_cndmask_b32_e64 v37, v54, v55, s12
	;; [unrolled: 1-line block ×3, first 2 shown]
.LBB203_96:
	s_or_b32 exec_lo, exec_lo, s18
	v_and_b32_e32 v50, 0xc0, v34
	v_and_b32_e32 v51, 56, v34
	s_mov_b32 s8, exec_lo
	; wave barrier
	s_delay_alu instid0(VALU_DEP_2) | instskip(NEXT) | instid1(VALU_DEP_2)
	v_or_b32_e32 v48, 32, v50
	v_min_u32_e32 v51, v11, v51
	ds_store_b8 v31, v22
	s_waitcnt lgkmcnt(8)
	ds_store_b64 v29, v[4:5] offset:2048
	ds_store_b8 v31, v39 offset:1
	s_waitcnt lgkmcnt(9)
	ds_store_b64 v30, v[12:13] offset:8
	ds_store_b8 v31, v38 offset:2
	s_waitcnt lgkmcnt(10)
	ds_store_b64 v30, v[16:17] offset:16
	ds_store_b8 v31, v28 offset:3
	v_min_u32_e32 v48, v11, v48
	s_waitcnt lgkmcnt(11)
	ds_store_b64 v30, v[24:25] offset:24
	ds_store_b8 v31, v23 offset:4
	s_waitcnt lgkmcnt(12)
	ds_store_b64 v30, v[26:27] offset:32
	ds_store_b8 v31, v37 offset:5
	;; [unrolled: 3-line block ×4, first 2 shown]
	s_waitcnt lgkmcnt(15)
	ds_store_b64 v30, v[14:15] offset:56
	; wave barrier
	v_add_nc_u32_e32 v49, 32, v48
	v_sub_nc_u32_e32 v53, v48, v50
	s_delay_alu instid0(VALU_DEP_2) | instskip(NEXT) | instid1(VALU_DEP_2)
	v_min_u32_e32 v49, v11, v49
	v_min_u32_e32 v53, v51, v53
	s_delay_alu instid0(VALU_DEP_2) | instskip(NEXT) | instid1(VALU_DEP_1)
	v_sub_nc_u32_e32 v52, v49, v48
	v_sub_nc_u32_e64 v52, v51, v52 clamp
	s_delay_alu instid0(VALU_DEP_1)
	v_cmpx_lt_u32_e64 v52, v53
	s_cbranch_execz .LBB203_100
; %bb.97:
	v_add_nc_u32_e32 v54, v10, v50
	v_add3_u32 v55, v10, v48, v51
	s_mov_b32 s9, 0
	.p2align	6
.LBB203_98:                             ; =>This Inner Loop Header: Depth=1
	v_add_nc_u32_e32 v64, v53, v52
	s_delay_alu instid0(VALU_DEP_1) | instskip(NEXT) | instid1(VALU_DEP_1)
	v_lshrrev_b32_e32 v64, 1, v64
	v_add_nc_u32_e32 v65, v54, v64
	v_xad_u32 v66, v64, -1, v55
	v_add_nc_u32_e32 v67, 1, v64
	ds_load_u8 v65, v65
	ds_load_u8 v66, v66
	s_waitcnt lgkmcnt(0)
	v_cmp_gt_u16_e64 s7, v65, v66
	s_delay_alu instid0(VALU_DEP_1) | instskip(SKIP_1) | instid1(VALU_DEP_1)
	v_cndmask_b32_e64 v53, v53, v64, s7
	v_cndmask_b32_e64 v52, v67, v52, s7
	v_cmp_ge_u32_e64 s7, v52, v53
	s_delay_alu instid0(VALU_DEP_1) | instskip(NEXT) | instid1(SALU_CYCLE_1)
	s_or_b32 s9, s7, s9
	s_and_not1_b32 exec_lo, exec_lo, s9
	s_cbranch_execnz .LBB203_98
; %bb.99:
	s_or_b32 exec_lo, exec_lo, s9
.LBB203_100:
	s_delay_alu instid0(SALU_CYCLE_1) | instskip(SKIP_2) | instid1(VALU_DEP_2)
	s_or_b32 exec_lo, exec_lo, s8
	v_add_nc_u32_e32 v53, v48, v51
	v_add_nc_u32_e32 v51, v52, v50
	v_sub_nc_u32_e32 v50, v53, v52
	s_delay_alu instid0(VALU_DEP_2) | instskip(NEXT) | instid1(VALU_DEP_2)
	v_cmp_le_u32_e64 s7, v51, v48
	v_cmp_le_u32_e64 s8, v50, v49
	s_delay_alu instid0(VALU_DEP_1) | instskip(NEXT) | instid1(SALU_CYCLE_1)
	s_or_b32 s7, s7, s8
	s_and_saveexec_b32 s18, s7
	s_cbranch_execz .LBB203_106
; %bb.101:
	v_cmp_lt_u32_e64 s7, v51, v48
                                        ; implicit-def: $vgpr22
	s_delay_alu instid0(VALU_DEP_1)
	s_and_saveexec_b32 s8, s7
	s_cbranch_execz .LBB203_103
; %bb.102:
	v_add_nc_u32_e32 v4, v10, v51
	ds_load_u8 v22, v4
.LBB203_103:
	s_or_b32 exec_lo, exec_lo, s8
	v_cmp_ge_u32_e64 s8, v50, v49
	s_mov_b32 s10, exec_lo
                                        ; implicit-def: $vgpr23
	v_cmpx_lt_u32_e64 v50, v49
	s_cbranch_execz .LBB203_105
; %bb.104:
	v_add_nc_u32_e32 v4, v10, v50
	ds_load_u8 v23, v4
.LBB203_105:
	s_or_b32 exec_lo, exec_lo, s10
	s_waitcnt lgkmcnt(0)
	v_and_b32_e32 v4, 0xff, v23
	v_and_b32_e32 v5, 0xff, v22
	s_delay_alu instid0(VALU_DEP_1) | instskip(NEXT) | instid1(VALU_DEP_1)
	v_cmp_le_u16_e64 s9, v5, v4
	s_and_b32 s7, s7, s9
	s_delay_alu instid0(SALU_CYCLE_1) | instskip(NEXT) | instid1(SALU_CYCLE_1)
	s_or_b32 s7, s8, s7
	v_cndmask_b32_e64 v4, v50, v51, s7
	v_cndmask_b32_e64 v5, v49, v48, s7
	s_delay_alu instid0(VALU_DEP_2) | instskip(NEXT) | instid1(VALU_DEP_2)
	v_add_nc_u32_e32 v12, 1, v4
	v_add_nc_u32_e32 v5, -1, v5
	v_lshl_add_u32 v4, v4, 3, v9
	s_delay_alu instid0(VALU_DEP_2) | instskip(NEXT) | instid1(VALU_DEP_1)
	v_min_u32_e32 v5, v12, v5
	v_add_nc_u32_e32 v5, v10, v5
	ds_load_u8 v5, v5
	s_waitcnt lgkmcnt(0)
	v_cndmask_b32_e64 v28, v5, v23, s7
	v_cndmask_b32_e64 v35, v22, v5, s7
	;; [unrolled: 1-line block ×5, first 2 shown]
	v_and_b32_e32 v13, 0xff, v28
	v_and_b32_e32 v14, 0xff, v35
	v_cmp_lt_u32_e64 s8, v5, v48
	v_cmp_ge_u32_e64 s10, v12, v49
	s_delay_alu instid0(VALU_DEP_3) | instskip(NEXT) | instid1(VALU_DEP_1)
	v_cmp_le_u16_e64 s9, v14, v13
	s_and_b32 s8, s8, s9
	s_delay_alu instid0(VALU_DEP_2) | instid1(SALU_CYCLE_1)
	s_or_b32 s8, s10, s8
	s_delay_alu instid0(SALU_CYCLE_1) | instskip(SKIP_2) | instid1(VALU_DEP_3)
	v_cndmask_b32_e64 v13, v12, v5, s8
	v_cndmask_b32_e64 v14, v49, v48, s8
	;; [unrolled: 1-line block ×3, first 2 shown]
	v_add_nc_u32_e32 v15, 1, v13
	s_delay_alu instid0(VALU_DEP_3) | instskip(NEXT) | instid1(VALU_DEP_2)
	v_add_nc_u32_e32 v14, -1, v14
	v_cndmask_b32_e64 v5, v5, v15, s8
	s_delay_alu instid0(VALU_DEP_2) | instskip(SKIP_1) | instid1(VALU_DEP_3)
	v_min_u32_e32 v14, v15, v14
	v_cndmask_b32_e64 v12, v15, v12, s8
	v_cmp_lt_u32_e64 s9, v5, v48
	s_delay_alu instid0(VALU_DEP_3) | instskip(NEXT) | instid1(VALU_DEP_3)
	v_add_nc_u32_e32 v14, v10, v14
	v_cmp_ge_u32_e64 s11, v12, v49
	ds_load_u8 v14, v14
	s_waitcnt lgkmcnt(0)
	v_cndmask_b32_e64 v36, v14, v28, s8
	v_cndmask_b32_e64 v37, v35, v14, s8
	s_delay_alu instid0(VALU_DEP_2) | instskip(NEXT) | instid1(VALU_DEP_2)
	v_and_b32_e32 v14, 0xff, v36
	v_and_b32_e32 v16, 0xff, v37
	s_delay_alu instid0(VALU_DEP_1) | instskip(NEXT) | instid1(VALU_DEP_1)
	v_cmp_le_u16_e64 s10, v16, v14
	s_and_b32 s9, s9, s10
	s_delay_alu instid0(SALU_CYCLE_1) | instskip(NEXT) | instid1(SALU_CYCLE_1)
	s_or_b32 s9, s11, s9
	v_cndmask_b32_e64 v14, v12, v5, s9
	v_cndmask_b32_e64 v15, v49, v48, s9
	s_delay_alu instid0(VALU_DEP_2) | instskip(NEXT) | instid1(VALU_DEP_2)
	v_add_nc_u32_e32 v16, 1, v14
	v_add_nc_u32_e32 v15, -1, v15
	v_lshl_add_u32 v14, v14, 3, v9
	s_delay_alu instid0(VALU_DEP_3) | instskip(NEXT) | instid1(VALU_DEP_3)
	v_cndmask_b32_e64 v5, v5, v16, s9
	v_min_u32_e32 v15, v16, v15
	v_cndmask_b32_e64 v12, v16, v12, s9
	s_delay_alu instid0(VALU_DEP_3) | instskip(NEXT) | instid1(VALU_DEP_3)
	v_cmp_lt_u32_e64 s10, v5, v48
	v_add_nc_u32_e32 v15, v10, v15
	s_delay_alu instid0(VALU_DEP_3) | instskip(SKIP_4) | instid1(VALU_DEP_2)
	v_cmp_ge_u32_e64 s12, v12, v49
	ds_load_u8 v15, v15
	s_waitcnt lgkmcnt(0)
	v_cndmask_b32_e64 v50, v15, v36, s9
	v_cndmask_b32_e64 v51, v37, v15, s9
	v_and_b32_e32 v15, 0xff, v50
	s_delay_alu instid0(VALU_DEP_2) | instskip(NEXT) | instid1(VALU_DEP_1)
	v_and_b32_e32 v17, 0xff, v51
	v_cmp_le_u16_e64 s11, v17, v15
	s_delay_alu instid0(VALU_DEP_1) | instskip(NEXT) | instid1(SALU_CYCLE_1)
	s_and_b32 s10, s10, s11
	s_or_b32 s10, s12, s10
	s_delay_alu instid0(SALU_CYCLE_1) | instskip(SKIP_2) | instid1(VALU_DEP_3)
	v_cndmask_b32_e64 v15, v12, v5, s10
	v_cndmask_b32_e64 v16, v49, v48, s10
	;; [unrolled: 1-line block ×3, first 2 shown]
	v_add_nc_u32_e32 v17, 1, v15
	s_delay_alu instid0(VALU_DEP_3) | instskip(SKIP_1) | instid1(VALU_DEP_3)
	v_add_nc_u32_e32 v16, -1, v16
	v_lshl_add_u32 v15, v15, 3, v9
	v_cndmask_b32_e64 v5, v5, v17, s10
	s_delay_alu instid0(VALU_DEP_3) | instskip(SKIP_1) | instid1(VALU_DEP_3)
	v_min_u32_e32 v16, v17, v16
	v_cndmask_b32_e64 v12, v17, v12, s10
	v_cmp_lt_u32_e64 s11, v5, v48
	s_delay_alu instid0(VALU_DEP_3) | instskip(NEXT) | instid1(VALU_DEP_3)
	v_add_nc_u32_e32 v16, v10, v16
	v_cmp_ge_u32_e64 s13, v12, v49
	ds_load_u8 v16, v16
	s_waitcnt lgkmcnt(0)
	v_cndmask_b32_e64 v52, v16, v50, s10
	v_cndmask_b32_e64 v53, v51, v16, s10
	s_delay_alu instid0(VALU_DEP_2) | instskip(NEXT) | instid1(VALU_DEP_2)
	v_and_b32_e32 v16, 0xff, v52
	v_and_b32_e32 v18, 0xff, v53
	s_delay_alu instid0(VALU_DEP_1) | instskip(NEXT) | instid1(VALU_DEP_1)
	v_cmp_le_u16_e64 s12, v18, v16
	s_and_b32 s11, s11, s12
	s_delay_alu instid0(SALU_CYCLE_1) | instskip(NEXT) | instid1(SALU_CYCLE_1)
	s_or_b32 s11, s13, s11
	v_cndmask_b32_e64 v18, v12, v5, s11
	v_cndmask_b32_e64 v16, v49, v48, s11
	;; [unrolled: 1-line block ×3, first 2 shown]
	s_delay_alu instid0(VALU_DEP_3) | instskip(NEXT) | instid1(VALU_DEP_3)
	v_add_nc_u32_e32 v17, 1, v18
	v_add_nc_u32_e32 v16, -1, v16
	v_lshl_add_u32 v18, v18, 3, v9
	s_delay_alu instid0(VALU_DEP_3) | instskip(NEXT) | instid1(VALU_DEP_3)
	v_cndmask_b32_e64 v5, v5, v17, s11
	v_min_u32_e32 v16, v17, v16
	v_cndmask_b32_e64 v12, v17, v12, s11
	s_delay_alu instid0(VALU_DEP_3) | instskip(NEXT) | instid1(VALU_DEP_3)
	v_cmp_lt_u32_e64 s12, v5, v48
	v_add_nc_u32_e32 v16, v10, v16
	s_delay_alu instid0(VALU_DEP_3) | instskip(SKIP_4) | instid1(VALU_DEP_2)
	v_cmp_ge_u32_e64 s14, v12, v49
	ds_load_u8 v16, v16
	s_waitcnt lgkmcnt(0)
	v_cndmask_b32_e64 v54, v16, v52, s11
	v_cndmask_b32_e64 v55, v53, v16, s11
	v_and_b32_e32 v16, 0xff, v54
	s_delay_alu instid0(VALU_DEP_2) | instskip(NEXT) | instid1(VALU_DEP_1)
	v_and_b32_e32 v19, 0xff, v55
	v_cmp_le_u16_e64 s13, v19, v16
	s_delay_alu instid0(VALU_DEP_1) | instskip(NEXT) | instid1(SALU_CYCLE_1)
	s_and_b32 s12, s12, s13
	s_or_b32 s12, s14, s12
	s_delay_alu instid0(SALU_CYCLE_1) | instskip(SKIP_1) | instid1(VALU_DEP_2)
	v_cndmask_b32_e64 v19, v12, v5, s12
	v_cndmask_b32_e64 v16, v49, v48, s12
	v_add_nc_u32_e32 v17, 1, v19
	s_delay_alu instid0(VALU_DEP_2) | instskip(SKIP_1) | instid1(VALU_DEP_3)
	v_add_nc_u32_e32 v16, -1, v16
	v_lshl_add_u32 v19, v19, 3, v9
	v_cndmask_b32_e64 v5, v5, v17, s12
	s_delay_alu instid0(VALU_DEP_3) | instskip(SKIP_1) | instid1(VALU_DEP_3)
	v_min_u32_e32 v16, v17, v16
	v_cndmask_b32_e64 v12, v17, v12, s12
	v_cmp_lt_u32_e64 s13, v5, v48
	s_delay_alu instid0(VALU_DEP_3) | instskip(NEXT) | instid1(VALU_DEP_3)
	v_add_nc_u32_e32 v16, v10, v16
	v_cmp_ge_u32_e64 s15, v12, v49
	ds_load_u8 v16, v16
	s_waitcnt lgkmcnt(0)
	v_cndmask_b32_e64 v64, v16, v54, s12
	v_cndmask_b32_e64 v65, v55, v16, s12
	s_delay_alu instid0(VALU_DEP_2) | instskip(NEXT) | instid1(VALU_DEP_2)
	v_and_b32_e32 v16, 0xff, v64
	v_and_b32_e32 v20, 0xff, v65
	s_delay_alu instid0(VALU_DEP_1) | instskip(NEXT) | instid1(VALU_DEP_1)
	v_cmp_le_u16_e64 s14, v20, v16
	s_and_b32 s13, s13, s14
	s_delay_alu instid0(SALU_CYCLE_1) | instskip(NEXT) | instid1(SALU_CYCLE_1)
	s_or_b32 s13, s15, s13
	v_cndmask_b32_e64 v20, v12, v5, s13
	v_cndmask_b32_e64 v16, v49, v48, s13
	;; [unrolled: 1-line block ×3, first 2 shown]
	s_delay_alu instid0(VALU_DEP_3) | instskip(NEXT) | instid1(VALU_DEP_3)
	v_add_nc_u32_e32 v17, 1, v20
	v_add_nc_u32_e32 v16, -1, v16
	v_lshl_add_u32 v38, v20, 3, v9
	s_delay_alu instid0(VALU_DEP_3) | instskip(NEXT) | instid1(VALU_DEP_3)
	v_cndmask_b32_e64 v21, v5, v17, s13
	v_min_u32_e32 v16, v17, v16
	v_cndmask_b32_e64 v24, v17, v12, s13
	v_lshl_add_u32 v12, v13, 3, v9
	s_delay_alu instid0(VALU_DEP_4) | instskip(NEXT) | instid1(VALU_DEP_4)
	v_cmp_lt_u32_e64 s14, v21, v48
	v_add_nc_u32_e32 v16, v10, v16
	s_delay_alu instid0(VALU_DEP_4) | instskip(SKIP_4) | instid1(VALU_DEP_2)
	v_cmp_ge_u32_e64 s16, v24, v49
	ds_load_u8 v16, v16
	s_waitcnt lgkmcnt(0)
	v_cndmask_b32_e64 v66, v16, v64, s13
	v_cndmask_b32_e64 v67, v65, v16, s13
	v_and_b32_e32 v5, 0xff, v66
	s_delay_alu instid0(VALU_DEP_2) | instskip(NEXT) | instid1(VALU_DEP_1)
	v_and_b32_e32 v16, 0xff, v67
	v_cmp_le_u16_e64 s15, v16, v5
	ds_load_b64 v[4:5], v4 offset:2048
	ds_load_b64 v[12:13], v12 offset:2048
	;; [unrolled: 1-line block ×3, first 2 shown]
	s_and_b32 s14, s14, s15
	s_delay_alu instid0(SALU_CYCLE_1) | instskip(NEXT) | instid1(SALU_CYCLE_1)
	s_or_b32 s14, s16, s14
	v_cndmask_b32_e64 v14, v24, v21, s14
	s_delay_alu instid0(VALU_DEP_1)
	v_lshl_add_u32 v14, v14, 3, v9
	ds_load_b64 v[24:25], v15 offset:2048
	ds_load_b64 v[26:27], v18 offset:2048
	;; [unrolled: 1-line block ×5, first 2 shown]
	v_cndmask_b32_e64 v38, v36, v37, s9
	v_cndmask_b32_e64 v37, v54, v55, s12
	;; [unrolled: 1-line block ×3, first 2 shown]
.LBB203_106:
	s_or_b32 exec_lo, exec_lo, s18
	v_and_b32_e32 v48, 0x80, v34
	; wave barrier
	ds_store_b8 v31, v22
	s_waitcnt lgkmcnt(8)
	ds_store_b64 v29, v[4:5] offset:2048
	ds_store_b8 v31, v39 offset:1
	s_waitcnt lgkmcnt(9)
	ds_store_b64 v30, v[12:13] offset:8
	s_mov_b32 s8, exec_lo
	v_or_b32_e32 v34, 64, v48
	ds_store_b8 v31, v38 offset:2
	s_waitcnt lgkmcnt(10)
	ds_store_b64 v30, v[16:17] offset:16
	ds_store_b8 v31, v28 offset:3
	s_waitcnt lgkmcnt(11)
	ds_store_b64 v30, v[24:25] offset:24
	ds_store_b8 v31, v23 offset:4
	s_waitcnt lgkmcnt(12)
	ds_store_b64 v30, v[26:27] offset:32
	ds_store_b8 v31, v37 offset:5
	s_waitcnt lgkmcnt(13)
	ds_store_b64 v30, v[20:21] offset:40
	ds_store_b8 v31, v35 offset:6
	s_waitcnt lgkmcnt(14)
	ds_store_b64 v30, v[18:19] offset:48
	ds_store_b8 v31, v36 offset:7
	s_waitcnt lgkmcnt(15)
	ds_store_b64 v30, v[14:15] offset:56
	v_min_u32_e32 v34, v11, v34
	; wave barrier
	s_delay_alu instid0(VALU_DEP_1) | instskip(SKIP_1) | instid1(VALU_DEP_2)
	v_add_nc_u32_e32 v49, 64, v34
	v_sub_nc_u32_e32 v50, v34, v48
	v_min_u32_e32 v29, v11, v49
	v_min_u32_e32 v11, v11, v32
	s_delay_alu instid0(VALU_DEP_2) | instskip(NEXT) | instid1(VALU_DEP_2)
	v_sub_nc_u32_e32 v49, v29, v34
	v_min_u32_e32 v50, v11, v50
	s_delay_alu instid0(VALU_DEP_2) | instskip(NEXT) | instid1(VALU_DEP_1)
	v_sub_nc_u32_e64 v49, v11, v49 clamp
	v_cmpx_lt_u32_e64 v49, v50
	s_cbranch_execz .LBB203_110
; %bb.107:
	v_add_nc_u32_e32 v30, v10, v48
	v_add3_u32 v31, v10, v34, v11
	s_mov_b32 s9, 0
	.p2align	6
.LBB203_108:                            ; =>This Inner Loop Header: Depth=1
	v_add_nc_u32_e32 v51, v50, v49
	s_delay_alu instid0(VALU_DEP_1) | instskip(NEXT) | instid1(VALU_DEP_1)
	v_lshrrev_b32_e32 v51, 1, v51
	v_add_nc_u32_e32 v52, v30, v51
	v_xad_u32 v53, v51, -1, v31
	v_add_nc_u32_e32 v54, 1, v51
	ds_load_u8 v52, v52
	ds_load_u8 v53, v53
	s_waitcnt lgkmcnt(0)
	v_cmp_gt_u16_e64 s7, v52, v53
	s_delay_alu instid0(VALU_DEP_1) | instskip(SKIP_1) | instid1(VALU_DEP_1)
	v_cndmask_b32_e64 v50, v50, v51, s7
	v_cndmask_b32_e64 v49, v54, v49, s7
	v_cmp_ge_u32_e64 s7, v49, v50
	s_delay_alu instid0(VALU_DEP_1) | instskip(NEXT) | instid1(SALU_CYCLE_1)
	s_or_b32 s9, s7, s9
	s_and_not1_b32 exec_lo, exec_lo, s9
	s_cbranch_execnz .LBB203_108
; %bb.109:
	s_or_b32 exec_lo, exec_lo, s9
.LBB203_110:
	s_delay_alu instid0(SALU_CYCLE_1) | instskip(SKIP_2) | instid1(VALU_DEP_2)
	s_or_b32 exec_lo, exec_lo, s8
	v_add_nc_u32_e32 v11, v34, v11
	v_add_nc_u32_e32 v31, v49, v48
	v_sub_nc_u32_e32 v30, v11, v49
	s_delay_alu instid0(VALU_DEP_2) | instskip(NEXT) | instid1(VALU_DEP_2)
	v_cmp_le_u32_e64 s7, v31, v34
	v_cmp_le_u32_e64 s8, v30, v29
	s_delay_alu instid0(VALU_DEP_1) | instskip(NEXT) | instid1(SALU_CYCLE_1)
	s_or_b32 s7, s7, s8
	s_and_saveexec_b32 s18, s7
	s_cbranch_execz .LBB203_116
; %bb.111:
	v_cmp_lt_u32_e64 s7, v31, v34
                                        ; implicit-def: $vgpr11
	s_delay_alu instid0(VALU_DEP_1)
	s_and_saveexec_b32 s8, s7
	s_cbranch_execz .LBB203_113
; %bb.112:
	v_add_nc_u32_e32 v4, v10, v31
	ds_load_u8 v11, v4
.LBB203_113:
	s_or_b32 exec_lo, exec_lo, s8
	v_cmp_ge_u32_e64 s8, v30, v29
	s_mov_b32 s10, exec_lo
                                        ; implicit-def: $vgpr22
	v_cmpx_lt_u32_e64 v30, v29
	s_cbranch_execz .LBB203_115
; %bb.114:
	v_add_nc_u32_e32 v4, v10, v30
	ds_load_u8 v22, v4
.LBB203_115:
	s_or_b32 exec_lo, exec_lo, s10
	s_waitcnt lgkmcnt(0)
	v_and_b32_e32 v4, 0xff, v22
	v_and_b32_e32 v5, 0xff, v11
	s_delay_alu instid0(VALU_DEP_1) | instskip(NEXT) | instid1(VALU_DEP_1)
	v_cmp_le_u16_e64 s9, v5, v4
	s_and_b32 s7, s7, s9
	s_delay_alu instid0(SALU_CYCLE_1) | instskip(NEXT) | instid1(SALU_CYCLE_1)
	s_or_b32 s7, s8, s7
	v_cndmask_b32_e64 v4, v30, v31, s7
	v_cndmask_b32_e64 v5, v29, v34, s7
	s_delay_alu instid0(VALU_DEP_2) | instskip(NEXT) | instid1(VALU_DEP_2)
	v_add_nc_u32_e32 v12, 1, v4
	v_add_nc_u32_e32 v5, -1, v5
	v_lshl_add_u32 v4, v4, 3, v9
	s_delay_alu instid0(VALU_DEP_2) | instskip(NEXT) | instid1(VALU_DEP_1)
	v_min_u32_e32 v5, v12, v5
	v_add_nc_u32_e32 v5, v10, v5
	ds_load_u8 v5, v5
	s_waitcnt lgkmcnt(0)
	v_cndmask_b32_e64 v23, v5, v22, s7
	v_cndmask_b32_e64 v28, v11, v5, s7
	;; [unrolled: 1-line block ×5, first 2 shown]
	v_and_b32_e32 v13, 0xff, v23
	v_and_b32_e32 v14, 0xff, v28
	v_cmp_lt_u32_e64 s8, v5, v34
	v_cmp_ge_u32_e64 s10, v12, v29
	s_delay_alu instid0(VALU_DEP_3) | instskip(NEXT) | instid1(VALU_DEP_1)
	v_cmp_le_u16_e64 s9, v14, v13
	s_and_b32 s8, s8, s9
	s_delay_alu instid0(VALU_DEP_2) | instid1(SALU_CYCLE_1)
	s_or_b32 s8, s10, s8
	s_delay_alu instid0(SALU_CYCLE_1) | instskip(SKIP_2) | instid1(VALU_DEP_3)
	v_cndmask_b32_e64 v13, v12, v5, s8
	v_cndmask_b32_e64 v14, v29, v34, s8
	;; [unrolled: 1-line block ×3, first 2 shown]
	v_add_nc_u32_e32 v15, 1, v13
	s_delay_alu instid0(VALU_DEP_3) | instskip(NEXT) | instid1(VALU_DEP_2)
	v_add_nc_u32_e32 v14, -1, v14
	v_cndmask_b32_e64 v5, v5, v15, s8
	s_delay_alu instid0(VALU_DEP_2) | instskip(SKIP_1) | instid1(VALU_DEP_3)
	v_min_u32_e32 v14, v15, v14
	v_cndmask_b32_e64 v12, v15, v12, s8
	v_cmp_lt_u32_e64 s9, v5, v34
	s_delay_alu instid0(VALU_DEP_3) | instskip(NEXT) | instid1(VALU_DEP_3)
	v_add_nc_u32_e32 v14, v10, v14
	v_cmp_ge_u32_e64 s11, v12, v29
	ds_load_u8 v14, v14
	s_waitcnt lgkmcnt(0)
	v_cndmask_b32_e64 v30, v14, v23, s8
	v_cndmask_b32_e64 v31, v28, v14, s8
	s_delay_alu instid0(VALU_DEP_2) | instskip(NEXT) | instid1(VALU_DEP_2)
	v_and_b32_e32 v14, 0xff, v30
	v_and_b32_e32 v16, 0xff, v31
	s_delay_alu instid0(VALU_DEP_1) | instskip(NEXT) | instid1(VALU_DEP_1)
	v_cmp_le_u16_e64 s10, v16, v14
	s_and_b32 s9, s9, s10
	s_delay_alu instid0(SALU_CYCLE_1) | instskip(NEXT) | instid1(SALU_CYCLE_1)
	s_or_b32 s9, s11, s9
	v_cndmask_b32_e64 v14, v12, v5, s9
	v_cndmask_b32_e64 v15, v29, v34, s9
	v_cndmask_b32_e64 v38, v30, v31, s9
	s_delay_alu instid0(VALU_DEP_3) | instskip(NEXT) | instid1(VALU_DEP_3)
	v_add_nc_u32_e32 v16, 1, v14
	v_add_nc_u32_e32 v15, -1, v15
	v_lshl_add_u32 v14, v14, 3, v9
	s_delay_alu instid0(VALU_DEP_3) | instskip(NEXT) | instid1(VALU_DEP_3)
	v_cndmask_b32_e64 v5, v5, v16, s9
	v_min_u32_e32 v15, v16, v15
	v_cndmask_b32_e64 v12, v16, v12, s9
	s_delay_alu instid0(VALU_DEP_3) | instskip(NEXT) | instid1(VALU_DEP_3)
	v_cmp_lt_u32_e64 s10, v5, v34
	v_add_nc_u32_e32 v15, v10, v15
	s_delay_alu instid0(VALU_DEP_3) | instskip(SKIP_4) | instid1(VALU_DEP_2)
	v_cmp_ge_u32_e64 s12, v12, v29
	ds_load_u8 v15, v15
	s_waitcnt lgkmcnt(0)
	v_cndmask_b32_e64 v35, v15, v30, s9
	v_cndmask_b32_e64 v36, v31, v15, s9
	v_and_b32_e32 v15, 0xff, v35
	s_delay_alu instid0(VALU_DEP_2) | instskip(NEXT) | instid1(VALU_DEP_1)
	v_and_b32_e32 v17, 0xff, v36
	v_cmp_le_u16_e64 s11, v17, v15
	s_delay_alu instid0(VALU_DEP_1) | instskip(NEXT) | instid1(SALU_CYCLE_1)
	s_and_b32 s10, s10, s11
	s_or_b32 s10, s12, s10
	s_delay_alu instid0(SALU_CYCLE_1) | instskip(SKIP_2) | instid1(VALU_DEP_3)
	v_cndmask_b32_e64 v15, v12, v5, s10
	v_cndmask_b32_e64 v16, v29, v34, s10
	;; [unrolled: 1-line block ×3, first 2 shown]
	v_add_nc_u32_e32 v17, 1, v15
	s_delay_alu instid0(VALU_DEP_3) | instskip(SKIP_1) | instid1(VALU_DEP_3)
	v_add_nc_u32_e32 v16, -1, v16
	v_lshl_add_u32 v15, v15, 3, v9
	v_cndmask_b32_e64 v5, v5, v17, s10
	s_delay_alu instid0(VALU_DEP_3) | instskip(SKIP_1) | instid1(VALU_DEP_3)
	v_min_u32_e32 v16, v17, v16
	v_cndmask_b32_e64 v12, v17, v12, s10
	v_cmp_lt_u32_e64 s11, v5, v34
	s_delay_alu instid0(VALU_DEP_3) | instskip(NEXT) | instid1(VALU_DEP_3)
	v_add_nc_u32_e32 v16, v10, v16
	v_cmp_ge_u32_e64 s13, v12, v29
	ds_load_u8 v16, v16
	s_waitcnt lgkmcnt(0)
	v_cndmask_b32_e64 v37, v16, v35, s10
	v_cndmask_b32_e64 v48, v36, v16, s10
	s_delay_alu instid0(VALU_DEP_2) | instskip(NEXT) | instid1(VALU_DEP_2)
	v_and_b32_e32 v16, 0xff, v37
	v_and_b32_e32 v18, 0xff, v48
	s_delay_alu instid0(VALU_DEP_1) | instskip(NEXT) | instid1(VALU_DEP_1)
	v_cmp_le_u16_e64 s12, v18, v16
	s_and_b32 s11, s11, s12
	s_delay_alu instid0(SALU_CYCLE_1) | instskip(NEXT) | instid1(SALU_CYCLE_1)
	s_or_b32 s11, s13, s11
	v_cndmask_b32_e64 v18, v12, v5, s11
	v_cndmask_b32_e64 v16, v29, v34, s11
	;; [unrolled: 1-line block ×3, first 2 shown]
	s_delay_alu instid0(VALU_DEP_3) | instskip(NEXT) | instid1(VALU_DEP_3)
	v_add_nc_u32_e32 v17, 1, v18
	v_add_nc_u32_e32 v16, -1, v16
	v_lshl_add_u32 v18, v18, 3, v9
	s_delay_alu instid0(VALU_DEP_3) | instskip(NEXT) | instid1(VALU_DEP_3)
	v_cndmask_b32_e64 v5, v5, v17, s11
	v_min_u32_e32 v16, v17, v16
	v_cndmask_b32_e64 v12, v17, v12, s11
	s_delay_alu instid0(VALU_DEP_3) | instskip(NEXT) | instid1(VALU_DEP_3)
	v_cmp_lt_u32_e64 s12, v5, v34
	v_add_nc_u32_e32 v16, v10, v16
	s_delay_alu instid0(VALU_DEP_3) | instskip(SKIP_4) | instid1(VALU_DEP_2)
	v_cmp_ge_u32_e64 s14, v12, v29
	ds_load_u8 v16, v16
	s_waitcnt lgkmcnt(0)
	v_cndmask_b32_e64 v49, v16, v37, s11
	v_cndmask_b32_e64 v50, v48, v16, s11
	v_and_b32_e32 v16, 0xff, v49
	s_delay_alu instid0(VALU_DEP_2) | instskip(NEXT) | instid1(VALU_DEP_1)
	v_and_b32_e32 v19, 0xff, v50
	v_cmp_le_u16_e64 s13, v19, v16
	s_delay_alu instid0(VALU_DEP_1) | instskip(NEXT) | instid1(SALU_CYCLE_1)
	s_and_b32 s12, s12, s13
	s_or_b32 s12, s14, s12
	s_delay_alu instid0(SALU_CYCLE_1) | instskip(SKIP_2) | instid1(VALU_DEP_3)
	v_cndmask_b32_e64 v19, v12, v5, s12
	v_cndmask_b32_e64 v16, v29, v34, s12
	;; [unrolled: 1-line block ×3, first 2 shown]
	v_add_nc_u32_e32 v17, 1, v19
	s_delay_alu instid0(VALU_DEP_3) | instskip(SKIP_1) | instid1(VALU_DEP_3)
	v_add_nc_u32_e32 v16, -1, v16
	v_lshl_add_u32 v19, v19, 3, v9
	v_cndmask_b32_e64 v5, v5, v17, s12
	s_delay_alu instid0(VALU_DEP_3) | instskip(SKIP_1) | instid1(VALU_DEP_3)
	v_min_u32_e32 v16, v17, v16
	v_cndmask_b32_e64 v12, v17, v12, s12
	v_cmp_lt_u32_e64 s13, v5, v34
	s_delay_alu instid0(VALU_DEP_3) | instskip(NEXT) | instid1(VALU_DEP_3)
	v_add_nc_u32_e32 v16, v10, v16
	v_cmp_ge_u32_e64 s15, v12, v29
	ds_load_u8 v16, v16
	s_waitcnt lgkmcnt(0)
	v_cndmask_b32_e64 v51, v16, v49, s12
	v_cndmask_b32_e64 v52, v50, v16, s12
	s_delay_alu instid0(VALU_DEP_2) | instskip(NEXT) | instid1(VALU_DEP_2)
	v_and_b32_e32 v16, 0xff, v51
	v_and_b32_e32 v20, 0xff, v52
	s_delay_alu instid0(VALU_DEP_1) | instskip(NEXT) | instid1(VALU_DEP_1)
	v_cmp_le_u16_e64 s14, v20, v16
	s_and_b32 s13, s13, s14
	s_delay_alu instid0(SALU_CYCLE_1) | instskip(NEXT) | instid1(SALU_CYCLE_1)
	s_or_b32 s13, s15, s13
	v_cndmask_b32_e64 v20, v12, v5, s13
	v_cndmask_b32_e64 v16, v29, v34, s13
	v_cndmask_b32_e64 v35, v51, v52, s13
	s_delay_alu instid0(VALU_DEP_3) | instskip(NEXT) | instid1(VALU_DEP_3)
	v_add_nc_u32_e32 v17, 1, v20
	v_add_nc_u32_e32 v16, -1, v16
	s_delay_alu instid0(VALU_DEP_2) | instskip(NEXT) | instid1(VALU_DEP_2)
	v_cndmask_b32_e64 v21, v5, v17, s13
	v_min_u32_e32 v16, v17, v16
	v_cndmask_b32_e64 v24, v17, v12, s13
	v_lshl_add_u32 v12, v13, 3, v9
	s_delay_alu instid0(VALU_DEP_4) | instskip(NEXT) | instid1(VALU_DEP_4)
	v_cmp_lt_u32_e64 s14, v21, v34
	v_add_nc_u32_e32 v10, v10, v16
	s_delay_alu instid0(VALU_DEP_4)
	v_cmp_ge_u32_e64 s16, v24, v29
	v_lshl_add_u32 v29, v20, 3, v9
	ds_load_u8 v10, v10
	s_waitcnt lgkmcnt(0)
	v_cndmask_b32_e64 v53, v10, v51, s13
	v_cndmask_b32_e64 v10, v52, v10, s13
	s_delay_alu instid0(VALU_DEP_2) | instskip(NEXT) | instid1(VALU_DEP_2)
	v_and_b32_e32 v5, 0xff, v53
	v_and_b32_e32 v16, 0xff, v10
	s_delay_alu instid0(VALU_DEP_1) | instskip(SKIP_4) | instid1(SALU_CYCLE_1)
	v_cmp_le_u16_e64 s15, v16, v5
	ds_load_b64 v[4:5], v4 offset:2048
	ds_load_b64 v[12:13], v12 offset:2048
	;; [unrolled: 1-line block ×3, first 2 shown]
	s_and_b32 s14, s14, s15
	s_or_b32 s14, s16, s14
	s_delay_alu instid0(SALU_CYCLE_1) | instskip(SKIP_1) | instid1(VALU_DEP_2)
	v_cndmask_b32_e64 v14, v24, v21, s14
	v_cndmask_b32_e64 v36, v53, v10, s14
	v_lshl_add_u32 v9, v14, 3, v9
	ds_load_b64 v[24:25], v15 offset:2048
	ds_load_b64 v[26:27], v18 offset:2048
	;; [unrolled: 1-line block ×5, first 2 shown]
.LBB203_116:
	s_or_b32 exec_lo, exec_lo, s18
	; wave barrier
	s_waitcnt lgkmcnt(0)
	s_waitcnt_vscnt null, 0x0
	s_barrier
.LBB203_117:
	s_or_b32 exec_lo, exec_lo, s17
	v_add_co_u32 v2, s7, v2, v8
	s_delay_alu instid0(VALU_DEP_1) | instskip(SKIP_4) | instid1(VALU_DEP_1)
	v_add_co_ci_u32_e64 v3, s7, 0, v3, s7
	s_waitcnt vmcnt(0) lgkmcnt(0)
	s_waitcnt_vscnt null, 0x0
	buffer_gl0_inv
	v_add_co_u32 v2, s7, v2, v32
	v_add_co_ci_u32_e64 v3, s7, 0, v3, s7
	; wave barrier
	s_and_saveexec_b32 s7, vcc_lo
	s_cbranch_execnz .LBB203_142
; %bb.118:
	s_or_b32 exec_lo, exec_lo, s7
	s_and_saveexec_b32 s7, s0
	s_cbranch_execnz .LBB203_143
.LBB203_119:
	s_or_b32 exec_lo, exec_lo, s7
	s_and_saveexec_b32 s7, s1
	s_cbranch_execnz .LBB203_144
.LBB203_120:
	s_or_b32 exec_lo, exec_lo, s7
	s_and_saveexec_b32 s7, s2
	s_cbranch_execnz .LBB203_145
.LBB203_121:
	s_or_b32 exec_lo, exec_lo, s7
	s_and_saveexec_b32 s7, s3
	s_cbranch_execnz .LBB203_146
.LBB203_122:
	s_or_b32 exec_lo, exec_lo, s7
	s_and_saveexec_b32 s7, s4
	s_cbranch_execnz .LBB203_147
.LBB203_123:
	s_or_b32 exec_lo, exec_lo, s7
	s_and_saveexec_b32 s7, s5
	s_cbranch_execnz .LBB203_148
.LBB203_124:
	s_or_b32 exec_lo, exec_lo, s7
	s_and_saveexec_b32 s7, s6
	s_cbranch_execz .LBB203_126
.LBB203_125:
	flat_store_b8 v[2:3], v36 offset:7
.LBB203_126:
	s_or_b32 exec_lo, exec_lo, s7
	v_add_co_u32 v0, s7, v6, v0
	s_delay_alu instid0(VALU_DEP_1) | instskip(NEXT) | instid1(VALU_DEP_2)
	v_add_co_ci_u32_e64 v1, s7, v7, v1, s7
	v_add_co_u32 v0, s7, v0, v33
	s_delay_alu instid0(VALU_DEP_1)
	v_add_co_ci_u32_e64 v1, s7, 0, v1, s7
	; wave barrier
	s_and_saveexec_b32 s7, vcc_lo
	s_cbranch_execnz .LBB203_149
; %bb.127:
	s_or_b32 exec_lo, exec_lo, s7
	s_and_saveexec_b32 s7, s0
	s_cbranch_execnz .LBB203_150
.LBB203_128:
	s_or_b32 exec_lo, exec_lo, s7
	s_and_saveexec_b32 s0, s1
	s_cbranch_execnz .LBB203_151
.LBB203_129:
	s_or_b32 exec_lo, exec_lo, s0
	s_and_saveexec_b32 s0, s2
	s_cbranch_execnz .LBB203_152
.LBB203_130:
	s_or_b32 exec_lo, exec_lo, s0
	s_and_saveexec_b32 s0, s3
	s_cbranch_execnz .LBB203_153
.LBB203_131:
	s_or_b32 exec_lo, exec_lo, s0
	s_and_saveexec_b32 s0, s4
	s_cbranch_execnz .LBB203_154
.LBB203_132:
	s_or_b32 exec_lo, exec_lo, s0
	s_and_saveexec_b32 s0, s5
	s_cbranch_execnz .LBB203_155
.LBB203_133:
	s_or_b32 exec_lo, exec_lo, s0
	s_and_saveexec_b32 s0, s6
	s_cbranch_execnz .LBB203_156
.LBB203_134:
	s_or_b32 exec_lo, exec_lo, s0
	s_waitcnt lgkmcnt(0)
	s_setpc_b64 s[30:31]
.LBB203_135:
	flat_load_b64 v[4:5], v[29:30]
	s_or_b32 exec_lo, exec_lo, s7
                                        ; implicit-def: $vgpr12_vgpr13
	s_and_saveexec_b32 s7, s0
	s_cbranch_execz .LBB203_18
.LBB203_136:
	flat_load_b64 v[12:13], v[29:30] offset:8
	s_or_b32 exec_lo, exec_lo, s7
                                        ; implicit-def: $vgpr16_vgpr17
	s_and_saveexec_b32 s7, s1
	s_cbranch_execz .LBB203_19
.LBB203_137:
	flat_load_b64 v[16:17], v[29:30] offset:16
	s_or_b32 exec_lo, exec_lo, s7
                                        ; implicit-def: $vgpr24_vgpr25
	s_and_saveexec_b32 s7, s2
	s_cbranch_execz .LBB203_20
.LBB203_138:
	flat_load_b64 v[24:25], v[29:30] offset:24
	s_or_b32 exec_lo, exec_lo, s7
                                        ; implicit-def: $vgpr26_vgpr27
	s_and_saveexec_b32 s7, s3
	s_cbranch_execz .LBB203_21
.LBB203_139:
	flat_load_b64 v[26:27], v[29:30] offset:32
	s_or_b32 exec_lo, exec_lo, s7
                                        ; implicit-def: $vgpr20_vgpr21
	s_and_saveexec_b32 s7, s4
	s_cbranch_execz .LBB203_22
.LBB203_140:
	flat_load_b64 v[20:21], v[29:30] offset:40
	s_or_b32 exec_lo, exec_lo, s7
                                        ; implicit-def: $vgpr18_vgpr19
	s_and_saveexec_b32 s7, s5
	s_cbranch_execz .LBB203_23
.LBB203_141:
	flat_load_b64 v[18:19], v[29:30] offset:48
	s_or_b32 exec_lo, exec_lo, s7
                                        ; implicit-def: $vgpr14_vgpr15
	s_and_saveexec_b32 s7, s6
	s_cbranch_execnz .LBB203_24
	s_branch .LBB203_25
.LBB203_142:
	flat_store_b8 v[2:3], v22
	s_or_b32 exec_lo, exec_lo, s7
	s_and_saveexec_b32 s7, s0
	s_cbranch_execz .LBB203_119
.LBB203_143:
	flat_store_b8 v[2:3], v39 offset:1
	s_or_b32 exec_lo, exec_lo, s7
	s_and_saveexec_b32 s7, s1
	s_cbranch_execz .LBB203_120
.LBB203_144:
	flat_store_b8 v[2:3], v38 offset:2
	s_or_b32 exec_lo, exec_lo, s7
	s_and_saveexec_b32 s7, s2
	s_cbranch_execz .LBB203_121
.LBB203_145:
	flat_store_b8 v[2:3], v28 offset:3
	s_or_b32 exec_lo, exec_lo, s7
	s_and_saveexec_b32 s7, s3
	s_cbranch_execz .LBB203_122
.LBB203_146:
	flat_store_b8 v[2:3], v23 offset:4
	s_or_b32 exec_lo, exec_lo, s7
	s_and_saveexec_b32 s7, s4
	s_cbranch_execz .LBB203_123
.LBB203_147:
	flat_store_b8 v[2:3], v37 offset:5
	s_or_b32 exec_lo, exec_lo, s7
	s_and_saveexec_b32 s7, s5
	s_cbranch_execz .LBB203_124
.LBB203_148:
	flat_store_b8 v[2:3], v35 offset:6
	s_or_b32 exec_lo, exec_lo, s7
	s_and_saveexec_b32 s7, s6
	s_cbranch_execnz .LBB203_125
	s_branch .LBB203_126
.LBB203_149:
	flat_store_b64 v[0:1], v[4:5]
	s_or_b32 exec_lo, exec_lo, s7
	s_and_saveexec_b32 s7, s0
	s_cbranch_execz .LBB203_128
.LBB203_150:
	flat_store_b64 v[0:1], v[12:13] offset:8
	s_or_b32 exec_lo, exec_lo, s7
	s_and_saveexec_b32 s0, s1
	s_cbranch_execz .LBB203_129
.LBB203_151:
	flat_store_b64 v[0:1], v[16:17] offset:16
	s_or_b32 exec_lo, exec_lo, s0
	s_and_saveexec_b32 s0, s2
	s_cbranch_execz .LBB203_130
.LBB203_152:
	flat_store_b64 v[0:1], v[24:25] offset:24
	s_or_b32 exec_lo, exec_lo, s0
	s_and_saveexec_b32 s0, s3
	s_cbranch_execz .LBB203_131
.LBB203_153:
	flat_store_b64 v[0:1], v[26:27] offset:32
	s_or_b32 exec_lo, exec_lo, s0
	s_and_saveexec_b32 s0, s4
	s_cbranch_execz .LBB203_132
.LBB203_154:
	flat_store_b64 v[0:1], v[20:21] offset:40
	s_or_b32 exec_lo, exec_lo, s0
	s_and_saveexec_b32 s0, s5
	s_cbranch_execz .LBB203_133
.LBB203_155:
	flat_store_b64 v[0:1], v[18:19] offset:48
	s_or_b32 exec_lo, exec_lo, s0
	s_and_saveexec_b32 s0, s6
	s_cbranch_execz .LBB203_134
.LBB203_156:
	flat_store_b64 v[0:1], v[14:15] offset:56
	s_or_b32 exec_lo, exec_lo, s0
	s_waitcnt lgkmcnt(0)
	s_setpc_b64 s[30:31]
.Lfunc_end203:
	.size	_ZN7rocprim17ROCPRIM_400000_NS6detail26segmented_warp_sort_helperINS1_20WarpSortHelperConfigILj16ELj8ELj256EEEhlLi256ELb0EvE4sortIPKhPhPKlPlEEvT_T0_T1_T2_jjjjRNS5_12storage_typeE, .Lfunc_end203-_ZN7rocprim17ROCPRIM_400000_NS6detail26segmented_warp_sort_helperINS1_20WarpSortHelperConfigILj16ELj8ELj256EEEhlLi256ELb0EvE4sortIPKhPhPKlPlEEvT_T0_T1_T2_jjjjRNS5_12storage_typeE
                                        ; -- End function
	.section	.AMDGPU.csdata,"",@progbits
; Function info:
; codeLenInByte = 22336
; NumSgprs: 34
; NumVgprs: 69
; ScratchSize: 0
; MemoryBound: 0
	.section	.text._ZN7rocprim17ROCPRIM_400000_NS6detail17trampoline_kernelINS0_14default_configENS1_36segmented_radix_sort_config_selectorIhlEEZNS1_25segmented_radix_sort_implIS3_Lb0EPKhPhPKlPlN2at6native12_GLOBAL__N_18offset_tEEE10hipError_tPvRmT1_PNSt15iterator_traitsISK_E10value_typeET2_T3_PNSL_ISQ_E10value_typeET4_jRbjT5_SW_jjP12ihipStream_tbEUlT_E0_NS1_11comp_targetILNS1_3genE9ELNS1_11target_archE1100ELNS1_3gpuE3ELNS1_3repE0EEENS1_60segmented_radix_sort_warp_sort_medium_config_static_selectorELNS0_4arch9wavefront6targetE0EEEvSK_,"axG",@progbits,_ZN7rocprim17ROCPRIM_400000_NS6detail17trampoline_kernelINS0_14default_configENS1_36segmented_radix_sort_config_selectorIhlEEZNS1_25segmented_radix_sort_implIS3_Lb0EPKhPhPKlPlN2at6native12_GLOBAL__N_18offset_tEEE10hipError_tPvRmT1_PNSt15iterator_traitsISK_E10value_typeET2_T3_PNSL_ISQ_E10value_typeET4_jRbjT5_SW_jjP12ihipStream_tbEUlT_E0_NS1_11comp_targetILNS1_3genE9ELNS1_11target_archE1100ELNS1_3gpuE3ELNS1_3repE0EEENS1_60segmented_radix_sort_warp_sort_medium_config_static_selectorELNS0_4arch9wavefront6targetE0EEEvSK_,comdat
	.globl	_ZN7rocprim17ROCPRIM_400000_NS6detail17trampoline_kernelINS0_14default_configENS1_36segmented_radix_sort_config_selectorIhlEEZNS1_25segmented_radix_sort_implIS3_Lb0EPKhPhPKlPlN2at6native12_GLOBAL__N_18offset_tEEE10hipError_tPvRmT1_PNSt15iterator_traitsISK_E10value_typeET2_T3_PNSL_ISQ_E10value_typeET4_jRbjT5_SW_jjP12ihipStream_tbEUlT_E0_NS1_11comp_targetILNS1_3genE9ELNS1_11target_archE1100ELNS1_3gpuE3ELNS1_3repE0EEENS1_60segmented_radix_sort_warp_sort_medium_config_static_selectorELNS0_4arch9wavefront6targetE0EEEvSK_ ; -- Begin function _ZN7rocprim17ROCPRIM_400000_NS6detail17trampoline_kernelINS0_14default_configENS1_36segmented_radix_sort_config_selectorIhlEEZNS1_25segmented_radix_sort_implIS3_Lb0EPKhPhPKlPlN2at6native12_GLOBAL__N_18offset_tEEE10hipError_tPvRmT1_PNSt15iterator_traitsISK_E10value_typeET2_T3_PNSL_ISQ_E10value_typeET4_jRbjT5_SW_jjP12ihipStream_tbEUlT_E0_NS1_11comp_targetILNS1_3genE9ELNS1_11target_archE1100ELNS1_3gpuE3ELNS1_3repE0EEENS1_60segmented_radix_sort_warp_sort_medium_config_static_selectorELNS0_4arch9wavefront6targetE0EEEvSK_
	.p2align	8
	.type	_ZN7rocprim17ROCPRIM_400000_NS6detail17trampoline_kernelINS0_14default_configENS1_36segmented_radix_sort_config_selectorIhlEEZNS1_25segmented_radix_sort_implIS3_Lb0EPKhPhPKlPlN2at6native12_GLOBAL__N_18offset_tEEE10hipError_tPvRmT1_PNSt15iterator_traitsISK_E10value_typeET2_T3_PNSL_ISQ_E10value_typeET4_jRbjT5_SW_jjP12ihipStream_tbEUlT_E0_NS1_11comp_targetILNS1_3genE9ELNS1_11target_archE1100ELNS1_3gpuE3ELNS1_3repE0EEENS1_60segmented_radix_sort_warp_sort_medium_config_static_selectorELNS0_4arch9wavefront6targetE0EEEvSK_,@function
_ZN7rocprim17ROCPRIM_400000_NS6detail17trampoline_kernelINS0_14default_configENS1_36segmented_radix_sort_config_selectorIhlEEZNS1_25segmented_radix_sort_implIS3_Lb0EPKhPhPKlPlN2at6native12_GLOBAL__N_18offset_tEEE10hipError_tPvRmT1_PNSt15iterator_traitsISK_E10value_typeET2_T3_PNSL_ISQ_E10value_typeET4_jRbjT5_SW_jjP12ihipStream_tbEUlT_E0_NS1_11comp_targetILNS1_3genE9ELNS1_11target_archE1100ELNS1_3gpuE3ELNS1_3repE0EEENS1_60segmented_radix_sort_warp_sort_medium_config_static_selectorELNS0_4arch9wavefront6targetE0EEEvSK_: ; @_ZN7rocprim17ROCPRIM_400000_NS6detail17trampoline_kernelINS0_14default_configENS1_36segmented_radix_sort_config_selectorIhlEEZNS1_25segmented_radix_sort_implIS3_Lb0EPKhPhPKlPlN2at6native12_GLOBAL__N_18offset_tEEE10hipError_tPvRmT1_PNSt15iterator_traitsISK_E10value_typeET2_T3_PNSL_ISQ_E10value_typeET4_jRbjT5_SW_jjP12ihipStream_tbEUlT_E0_NS1_11comp_targetILNS1_3genE9ELNS1_11target_archE1100ELNS1_3gpuE3ELNS1_3repE0EEENS1_60segmented_radix_sort_warp_sort_medium_config_static_selectorELNS0_4arch9wavefront6targetE0EEEvSK_
; %bb.0:
	s_load_b32 s2, s[0:1], 0x64
	v_bfe_u32 v1, v0, 10, 10
	v_bfe_u32 v2, v0, 20, 10
	s_mov_b32 s32, 0
	s_waitcnt lgkmcnt(0)
	s_lshr_b32 s3, s2, 16
	s_and_b32 s2, s2, 0xffff
	v_mad_u32_u24 v4, v2, s3, v1
	v_and_b32_e32 v1, 0x3ff, v0
	s_load_b32 s3, s[0:1], 0x34
	s_delay_alu instid0(VALU_DEP_1) | instskip(SKIP_1) | instid1(VALU_DEP_1)
	v_mad_u64_u32 v[2:3], null, v4, s2, v[1:2]
	s_mov_b32 s2, exec_lo
	v_lshrrev_b32_e32 v1, 4, v2
	s_delay_alu instid0(VALU_DEP_1) | instskip(SKIP_1) | instid1(VALU_DEP_1)
	v_lshl_add_u32 v1, s14, 4, v1
	s_waitcnt lgkmcnt(0)
	v_cmpx_gt_u32_e64 s3, v1
	s_cbranch_execz .LBB204_6
; %bb.1:
	s_clause 0x1
	s_load_b64 s[2:3], s[0:1], 0x38
	s_load_b128 s[4:7], s[0:1], 0x40
	v_mov_b32_e32 v2, 0
	s_delay_alu instid0(VALU_DEP_1) | instskip(SKIP_1) | instid1(VALU_DEP_1)
	v_lshlrev_b64 v[1:2], 2, v[1:2]
	s_waitcnt lgkmcnt(0)
	v_add_co_u32 v1, vcc_lo, s2, v1
	s_delay_alu instid0(VALU_DEP_2) | instskip(SKIP_4) | instid1(VALU_DEP_2)
	v_add_co_ci_u32_e32 v2, vcc_lo, s3, v2, vcc_lo
	global_load_b32 v1, v[1:2], off
	s_waitcnt vmcnt(0)
	v_add_nc_u32_e32 v2, s5, v1
	v_add_nc_u32_e32 v1, s7, v1
	v_mul_lo_u32 v8, v2, s4
	s_delay_alu instid0(VALU_DEP_2) | instskip(NEXT) | instid1(VALU_DEP_1)
	v_mul_lo_u32 v40, v1, s6
	v_cmp_gt_u32_e32 vcc_lo, v40, v8
	s_and_b32 exec_lo, exec_lo, vcc_lo
	s_cbranch_execz .LBB204_6
; %bb.2:
	s_clause 0x3
	s_load_b32 s2, s[0:1], 0x30
	s_load_b128 s[24:27], s[0:1], 0x20
	s_load_b256 s[36:43], s[0:1], 0x0
	s_load_b64 s[28:29], s[0:1], 0x50
	s_waitcnt lgkmcnt(0)
	s_bitcmp0_b32 s2, 0
	s_mov_b32 s2, -1
	s_cbranch_scc0 .LBB204_4
; %bb.3:
	v_mov_b32_e32 v31, v0
	v_dual_mov_b32 v41, v0 :: v_dual_mov_b32 v2, s38
	v_dual_mov_b32 v0, s36 :: v_dual_mov_b32 v1, s37
	;; [unrolled: 1-line block ×5, first 2 shown]
	v_mov_b32_e32 v9, v40
	v_mov_b32_e32 v11, s29
	s_add_u32 s8, s0, 0x58
	s_addc_u32 s9, s1, 0
	s_mov_b32 s12, s14
	s_mov_b32 s13, s15
	s_getpc_b64 s[2:3]
	s_add_u32 s2, s2, _ZN7rocprim17ROCPRIM_400000_NS6detail26segmented_warp_sort_helperINS1_20WarpSortHelperConfigILj16ELj8ELj256EEEhlLi256ELb0EvE4sortIPKhPhPKlPlEEvT_T0_T1_T2_jjjjRNS5_12storage_typeE@rel32@lo+4
	s_addc_u32 s3, s3, _ZN7rocprim17ROCPRIM_400000_NS6detail26segmented_warp_sort_helperINS1_20WarpSortHelperConfigILj16ELj8ELj256EEEhlLi256ELb0EvE4sortIPKhPhPKlPlEEvT_T0_T1_T2_jjjjRNS5_12storage_typeE@rel32@hi+12
	s_mov_b64 s[24:25], s[0:1]
	s_mov_b32 s23, s15
	s_mov_b32 s33, s14
	s_swappc_b64 s[30:31], s[2:3]
	v_mov_b32_e32 v0, v41
	s_mov_b32 s14, s33
	s_mov_b32 s15, s23
	s_mov_b64 s[0:1], s[24:25]
	s_mov_b32 s2, 0
.LBB204_4:
	s_delay_alu instid0(SALU_CYCLE_1)
	s_and_not1_b32 vcc_lo, exec_lo, s2
	s_cbranch_vccnz .LBB204_6
; %bb.5:
	v_dual_mov_b32 v31, v0 :: v_dual_mov_b32 v0, s36
	v_dual_mov_b32 v1, s37 :: v_dual_mov_b32 v2, s40
	;; [unrolled: 1-line block ×5, first 2 shown]
	v_mov_b32_e32 v9, v40
	v_mov_b32_e32 v11, s29
	s_add_u32 s8, s0, 0x58
	s_addc_u32 s9, s1, 0
	s_mov_b32 s12, s14
	s_mov_b32 s13, s15
	s_getpc_b64 s[0:1]
	s_add_u32 s0, s0, _ZN7rocprim17ROCPRIM_400000_NS6detail26segmented_warp_sort_helperINS1_20WarpSortHelperConfigILj16ELj8ELj256EEEhlLi256ELb0EvE4sortIPKhPhPKlPlEEvT_T0_T1_T2_jjjjRNS5_12storage_typeE@rel32@lo+4
	s_addc_u32 s1, s1, _ZN7rocprim17ROCPRIM_400000_NS6detail26segmented_warp_sort_helperINS1_20WarpSortHelperConfigILj16ELj8ELj256EEEhlLi256ELb0EvE4sortIPKhPhPKlPlEEvT_T0_T1_T2_jjjjRNS5_12storage_typeE@rel32@hi+12
	s_delay_alu instid0(SALU_CYCLE_1)
	s_swappc_b64 s[30:31], s[0:1]
.LBB204_6:
	s_endpgm
	.section	.rodata,"a",@progbits
	.p2align	6, 0x0
	.amdhsa_kernel _ZN7rocprim17ROCPRIM_400000_NS6detail17trampoline_kernelINS0_14default_configENS1_36segmented_radix_sort_config_selectorIhlEEZNS1_25segmented_radix_sort_implIS3_Lb0EPKhPhPKlPlN2at6native12_GLOBAL__N_18offset_tEEE10hipError_tPvRmT1_PNSt15iterator_traitsISK_E10value_typeET2_T3_PNSL_ISQ_E10value_typeET4_jRbjT5_SW_jjP12ihipStream_tbEUlT_E0_NS1_11comp_targetILNS1_3genE9ELNS1_11target_archE1100ELNS1_3gpuE3ELNS1_3repE0EEENS1_60segmented_radix_sort_warp_sort_medium_config_static_selectorELNS0_4arch9wavefront6targetE0EEEvSK_
		.amdhsa_group_segment_fixed_size 18432
		.amdhsa_private_segment_fixed_size 0
		.amdhsa_kernarg_size 344
		.amdhsa_user_sgpr_count 14
		.amdhsa_user_sgpr_dispatch_ptr 0
		.amdhsa_user_sgpr_queue_ptr 0
		.amdhsa_user_sgpr_kernarg_segment_ptr 1
		.amdhsa_user_sgpr_dispatch_id 0
		.amdhsa_user_sgpr_private_segment_size 0
		.amdhsa_wavefront_size32 1
		.amdhsa_uses_dynamic_stack 0
		.amdhsa_enable_private_segment 0
		.amdhsa_system_sgpr_workgroup_id_x 1
		.amdhsa_system_sgpr_workgroup_id_y 1
		.amdhsa_system_sgpr_workgroup_id_z 0
		.amdhsa_system_sgpr_workgroup_info 0
		.amdhsa_system_vgpr_workitem_id 2
		.amdhsa_next_free_vgpr 69
		.amdhsa_next_free_sgpr 44
		.amdhsa_reserve_vcc 1
		.amdhsa_float_round_mode_32 0
		.amdhsa_float_round_mode_16_64 0
		.amdhsa_float_denorm_mode_32 3
		.amdhsa_float_denorm_mode_16_64 3
		.amdhsa_dx10_clamp 1
		.amdhsa_ieee_mode 1
		.amdhsa_fp16_overflow 0
		.amdhsa_workgroup_processor_mode 1
		.amdhsa_memory_ordered 1
		.amdhsa_forward_progress 0
		.amdhsa_shared_vgpr_count 0
		.amdhsa_exception_fp_ieee_invalid_op 0
		.amdhsa_exception_fp_denorm_src 0
		.amdhsa_exception_fp_ieee_div_zero 0
		.amdhsa_exception_fp_ieee_overflow 0
		.amdhsa_exception_fp_ieee_underflow 0
		.amdhsa_exception_fp_ieee_inexact 0
		.amdhsa_exception_int_div_zero 0
	.end_amdhsa_kernel
	.section	.text._ZN7rocprim17ROCPRIM_400000_NS6detail17trampoline_kernelINS0_14default_configENS1_36segmented_radix_sort_config_selectorIhlEEZNS1_25segmented_radix_sort_implIS3_Lb0EPKhPhPKlPlN2at6native12_GLOBAL__N_18offset_tEEE10hipError_tPvRmT1_PNSt15iterator_traitsISK_E10value_typeET2_T3_PNSL_ISQ_E10value_typeET4_jRbjT5_SW_jjP12ihipStream_tbEUlT_E0_NS1_11comp_targetILNS1_3genE9ELNS1_11target_archE1100ELNS1_3gpuE3ELNS1_3repE0EEENS1_60segmented_radix_sort_warp_sort_medium_config_static_selectorELNS0_4arch9wavefront6targetE0EEEvSK_,"axG",@progbits,_ZN7rocprim17ROCPRIM_400000_NS6detail17trampoline_kernelINS0_14default_configENS1_36segmented_radix_sort_config_selectorIhlEEZNS1_25segmented_radix_sort_implIS3_Lb0EPKhPhPKlPlN2at6native12_GLOBAL__N_18offset_tEEE10hipError_tPvRmT1_PNSt15iterator_traitsISK_E10value_typeET2_T3_PNSL_ISQ_E10value_typeET4_jRbjT5_SW_jjP12ihipStream_tbEUlT_E0_NS1_11comp_targetILNS1_3genE9ELNS1_11target_archE1100ELNS1_3gpuE3ELNS1_3repE0EEENS1_60segmented_radix_sort_warp_sort_medium_config_static_selectorELNS0_4arch9wavefront6targetE0EEEvSK_,comdat
.Lfunc_end204:
	.size	_ZN7rocprim17ROCPRIM_400000_NS6detail17trampoline_kernelINS0_14default_configENS1_36segmented_radix_sort_config_selectorIhlEEZNS1_25segmented_radix_sort_implIS3_Lb0EPKhPhPKlPlN2at6native12_GLOBAL__N_18offset_tEEE10hipError_tPvRmT1_PNSt15iterator_traitsISK_E10value_typeET2_T3_PNSL_ISQ_E10value_typeET4_jRbjT5_SW_jjP12ihipStream_tbEUlT_E0_NS1_11comp_targetILNS1_3genE9ELNS1_11target_archE1100ELNS1_3gpuE3ELNS1_3repE0EEENS1_60segmented_radix_sort_warp_sort_medium_config_static_selectorELNS0_4arch9wavefront6targetE0EEEvSK_, .Lfunc_end204-_ZN7rocprim17ROCPRIM_400000_NS6detail17trampoline_kernelINS0_14default_configENS1_36segmented_radix_sort_config_selectorIhlEEZNS1_25segmented_radix_sort_implIS3_Lb0EPKhPhPKlPlN2at6native12_GLOBAL__N_18offset_tEEE10hipError_tPvRmT1_PNSt15iterator_traitsISK_E10value_typeET2_T3_PNSL_ISQ_E10value_typeET4_jRbjT5_SW_jjP12ihipStream_tbEUlT_E0_NS1_11comp_targetILNS1_3genE9ELNS1_11target_archE1100ELNS1_3gpuE3ELNS1_3repE0EEENS1_60segmented_radix_sort_warp_sort_medium_config_static_selectorELNS0_4arch9wavefront6targetE0EEEvSK_
                                        ; -- End function
	.section	.AMDGPU.csdata,"",@progbits
; Kernel info:
; codeLenInByte = 516
; NumSgprs: 46
; NumVgprs: 69
; ScratchSize: 0
; MemoryBound: 0
; FloatMode: 240
; IeeeMode: 1
; LDSByteSize: 18432 bytes/workgroup (compile time only)
; SGPRBlocks: 5
; VGPRBlocks: 8
; NumSGPRsForWavesPerEU: 46
; NumVGPRsForWavesPerEU: 69
; Occupancy: 14
; WaveLimiterHint : 0
; COMPUTE_PGM_RSRC2:SCRATCH_EN: 0
; COMPUTE_PGM_RSRC2:USER_SGPR: 14
; COMPUTE_PGM_RSRC2:TRAP_HANDLER: 0
; COMPUTE_PGM_RSRC2:TGID_X_EN: 1
; COMPUTE_PGM_RSRC2:TGID_Y_EN: 1
; COMPUTE_PGM_RSRC2:TGID_Z_EN: 0
; COMPUTE_PGM_RSRC2:TIDIG_COMP_CNT: 2
	.section	.text._ZN7rocprim17ROCPRIM_400000_NS6detail17trampoline_kernelINS0_14default_configENS1_36segmented_radix_sort_config_selectorIhlEEZNS1_25segmented_radix_sort_implIS3_Lb0EPKhPhPKlPlN2at6native12_GLOBAL__N_18offset_tEEE10hipError_tPvRmT1_PNSt15iterator_traitsISK_E10value_typeET2_T3_PNSL_ISQ_E10value_typeET4_jRbjT5_SW_jjP12ihipStream_tbEUlT_E0_NS1_11comp_targetILNS1_3genE8ELNS1_11target_archE1030ELNS1_3gpuE2ELNS1_3repE0EEENS1_60segmented_radix_sort_warp_sort_medium_config_static_selectorELNS0_4arch9wavefront6targetE0EEEvSK_,"axG",@progbits,_ZN7rocprim17ROCPRIM_400000_NS6detail17trampoline_kernelINS0_14default_configENS1_36segmented_radix_sort_config_selectorIhlEEZNS1_25segmented_radix_sort_implIS3_Lb0EPKhPhPKlPlN2at6native12_GLOBAL__N_18offset_tEEE10hipError_tPvRmT1_PNSt15iterator_traitsISK_E10value_typeET2_T3_PNSL_ISQ_E10value_typeET4_jRbjT5_SW_jjP12ihipStream_tbEUlT_E0_NS1_11comp_targetILNS1_3genE8ELNS1_11target_archE1030ELNS1_3gpuE2ELNS1_3repE0EEENS1_60segmented_radix_sort_warp_sort_medium_config_static_selectorELNS0_4arch9wavefront6targetE0EEEvSK_,comdat
	.globl	_ZN7rocprim17ROCPRIM_400000_NS6detail17trampoline_kernelINS0_14default_configENS1_36segmented_radix_sort_config_selectorIhlEEZNS1_25segmented_radix_sort_implIS3_Lb0EPKhPhPKlPlN2at6native12_GLOBAL__N_18offset_tEEE10hipError_tPvRmT1_PNSt15iterator_traitsISK_E10value_typeET2_T3_PNSL_ISQ_E10value_typeET4_jRbjT5_SW_jjP12ihipStream_tbEUlT_E0_NS1_11comp_targetILNS1_3genE8ELNS1_11target_archE1030ELNS1_3gpuE2ELNS1_3repE0EEENS1_60segmented_radix_sort_warp_sort_medium_config_static_selectorELNS0_4arch9wavefront6targetE0EEEvSK_ ; -- Begin function _ZN7rocprim17ROCPRIM_400000_NS6detail17trampoline_kernelINS0_14default_configENS1_36segmented_radix_sort_config_selectorIhlEEZNS1_25segmented_radix_sort_implIS3_Lb0EPKhPhPKlPlN2at6native12_GLOBAL__N_18offset_tEEE10hipError_tPvRmT1_PNSt15iterator_traitsISK_E10value_typeET2_T3_PNSL_ISQ_E10value_typeET4_jRbjT5_SW_jjP12ihipStream_tbEUlT_E0_NS1_11comp_targetILNS1_3genE8ELNS1_11target_archE1030ELNS1_3gpuE2ELNS1_3repE0EEENS1_60segmented_radix_sort_warp_sort_medium_config_static_selectorELNS0_4arch9wavefront6targetE0EEEvSK_
	.p2align	8
	.type	_ZN7rocprim17ROCPRIM_400000_NS6detail17trampoline_kernelINS0_14default_configENS1_36segmented_radix_sort_config_selectorIhlEEZNS1_25segmented_radix_sort_implIS3_Lb0EPKhPhPKlPlN2at6native12_GLOBAL__N_18offset_tEEE10hipError_tPvRmT1_PNSt15iterator_traitsISK_E10value_typeET2_T3_PNSL_ISQ_E10value_typeET4_jRbjT5_SW_jjP12ihipStream_tbEUlT_E0_NS1_11comp_targetILNS1_3genE8ELNS1_11target_archE1030ELNS1_3gpuE2ELNS1_3repE0EEENS1_60segmented_radix_sort_warp_sort_medium_config_static_selectorELNS0_4arch9wavefront6targetE0EEEvSK_,@function
_ZN7rocprim17ROCPRIM_400000_NS6detail17trampoline_kernelINS0_14default_configENS1_36segmented_radix_sort_config_selectorIhlEEZNS1_25segmented_radix_sort_implIS3_Lb0EPKhPhPKlPlN2at6native12_GLOBAL__N_18offset_tEEE10hipError_tPvRmT1_PNSt15iterator_traitsISK_E10value_typeET2_T3_PNSL_ISQ_E10value_typeET4_jRbjT5_SW_jjP12ihipStream_tbEUlT_E0_NS1_11comp_targetILNS1_3genE8ELNS1_11target_archE1030ELNS1_3gpuE2ELNS1_3repE0EEENS1_60segmented_radix_sort_warp_sort_medium_config_static_selectorELNS0_4arch9wavefront6targetE0EEEvSK_: ; @_ZN7rocprim17ROCPRIM_400000_NS6detail17trampoline_kernelINS0_14default_configENS1_36segmented_radix_sort_config_selectorIhlEEZNS1_25segmented_radix_sort_implIS3_Lb0EPKhPhPKlPlN2at6native12_GLOBAL__N_18offset_tEEE10hipError_tPvRmT1_PNSt15iterator_traitsISK_E10value_typeET2_T3_PNSL_ISQ_E10value_typeET4_jRbjT5_SW_jjP12ihipStream_tbEUlT_E0_NS1_11comp_targetILNS1_3genE8ELNS1_11target_archE1030ELNS1_3gpuE2ELNS1_3repE0EEENS1_60segmented_radix_sort_warp_sort_medium_config_static_selectorELNS0_4arch9wavefront6targetE0EEEvSK_
; %bb.0:
	.section	.rodata,"a",@progbits
	.p2align	6, 0x0
	.amdhsa_kernel _ZN7rocprim17ROCPRIM_400000_NS6detail17trampoline_kernelINS0_14default_configENS1_36segmented_radix_sort_config_selectorIhlEEZNS1_25segmented_radix_sort_implIS3_Lb0EPKhPhPKlPlN2at6native12_GLOBAL__N_18offset_tEEE10hipError_tPvRmT1_PNSt15iterator_traitsISK_E10value_typeET2_T3_PNSL_ISQ_E10value_typeET4_jRbjT5_SW_jjP12ihipStream_tbEUlT_E0_NS1_11comp_targetILNS1_3genE8ELNS1_11target_archE1030ELNS1_3gpuE2ELNS1_3repE0EEENS1_60segmented_radix_sort_warp_sort_medium_config_static_selectorELNS0_4arch9wavefront6targetE0EEEvSK_
		.amdhsa_group_segment_fixed_size 0
		.amdhsa_private_segment_fixed_size 0
		.amdhsa_kernarg_size 88
		.amdhsa_user_sgpr_count 15
		.amdhsa_user_sgpr_dispatch_ptr 0
		.amdhsa_user_sgpr_queue_ptr 0
		.amdhsa_user_sgpr_kernarg_segment_ptr 1
		.amdhsa_user_sgpr_dispatch_id 0
		.amdhsa_user_sgpr_private_segment_size 0
		.amdhsa_wavefront_size32 1
		.amdhsa_uses_dynamic_stack 0
		.amdhsa_enable_private_segment 0
		.amdhsa_system_sgpr_workgroup_id_x 1
		.amdhsa_system_sgpr_workgroup_id_y 0
		.amdhsa_system_sgpr_workgroup_id_z 0
		.amdhsa_system_sgpr_workgroup_info 0
		.amdhsa_system_vgpr_workitem_id 0
		.amdhsa_next_free_vgpr 1
		.amdhsa_next_free_sgpr 1
		.amdhsa_reserve_vcc 0
		.amdhsa_float_round_mode_32 0
		.amdhsa_float_round_mode_16_64 0
		.amdhsa_float_denorm_mode_32 3
		.amdhsa_float_denorm_mode_16_64 3
		.amdhsa_dx10_clamp 1
		.amdhsa_ieee_mode 1
		.amdhsa_fp16_overflow 0
		.amdhsa_workgroup_processor_mode 1
		.amdhsa_memory_ordered 1
		.amdhsa_forward_progress 0
		.amdhsa_shared_vgpr_count 0
		.amdhsa_exception_fp_ieee_invalid_op 0
		.amdhsa_exception_fp_denorm_src 0
		.amdhsa_exception_fp_ieee_div_zero 0
		.amdhsa_exception_fp_ieee_overflow 0
		.amdhsa_exception_fp_ieee_underflow 0
		.amdhsa_exception_fp_ieee_inexact 0
		.amdhsa_exception_int_div_zero 0
	.end_amdhsa_kernel
	.section	.text._ZN7rocprim17ROCPRIM_400000_NS6detail17trampoline_kernelINS0_14default_configENS1_36segmented_radix_sort_config_selectorIhlEEZNS1_25segmented_radix_sort_implIS3_Lb0EPKhPhPKlPlN2at6native12_GLOBAL__N_18offset_tEEE10hipError_tPvRmT1_PNSt15iterator_traitsISK_E10value_typeET2_T3_PNSL_ISQ_E10value_typeET4_jRbjT5_SW_jjP12ihipStream_tbEUlT_E0_NS1_11comp_targetILNS1_3genE8ELNS1_11target_archE1030ELNS1_3gpuE2ELNS1_3repE0EEENS1_60segmented_radix_sort_warp_sort_medium_config_static_selectorELNS0_4arch9wavefront6targetE0EEEvSK_,"axG",@progbits,_ZN7rocprim17ROCPRIM_400000_NS6detail17trampoline_kernelINS0_14default_configENS1_36segmented_radix_sort_config_selectorIhlEEZNS1_25segmented_radix_sort_implIS3_Lb0EPKhPhPKlPlN2at6native12_GLOBAL__N_18offset_tEEE10hipError_tPvRmT1_PNSt15iterator_traitsISK_E10value_typeET2_T3_PNSL_ISQ_E10value_typeET4_jRbjT5_SW_jjP12ihipStream_tbEUlT_E0_NS1_11comp_targetILNS1_3genE8ELNS1_11target_archE1030ELNS1_3gpuE2ELNS1_3repE0EEENS1_60segmented_radix_sort_warp_sort_medium_config_static_selectorELNS0_4arch9wavefront6targetE0EEEvSK_,comdat
.Lfunc_end205:
	.size	_ZN7rocprim17ROCPRIM_400000_NS6detail17trampoline_kernelINS0_14default_configENS1_36segmented_radix_sort_config_selectorIhlEEZNS1_25segmented_radix_sort_implIS3_Lb0EPKhPhPKlPlN2at6native12_GLOBAL__N_18offset_tEEE10hipError_tPvRmT1_PNSt15iterator_traitsISK_E10value_typeET2_T3_PNSL_ISQ_E10value_typeET4_jRbjT5_SW_jjP12ihipStream_tbEUlT_E0_NS1_11comp_targetILNS1_3genE8ELNS1_11target_archE1030ELNS1_3gpuE2ELNS1_3repE0EEENS1_60segmented_radix_sort_warp_sort_medium_config_static_selectorELNS0_4arch9wavefront6targetE0EEEvSK_, .Lfunc_end205-_ZN7rocprim17ROCPRIM_400000_NS6detail17trampoline_kernelINS0_14default_configENS1_36segmented_radix_sort_config_selectorIhlEEZNS1_25segmented_radix_sort_implIS3_Lb0EPKhPhPKlPlN2at6native12_GLOBAL__N_18offset_tEEE10hipError_tPvRmT1_PNSt15iterator_traitsISK_E10value_typeET2_T3_PNSL_ISQ_E10value_typeET4_jRbjT5_SW_jjP12ihipStream_tbEUlT_E0_NS1_11comp_targetILNS1_3genE8ELNS1_11target_archE1030ELNS1_3gpuE2ELNS1_3repE0EEENS1_60segmented_radix_sort_warp_sort_medium_config_static_selectorELNS0_4arch9wavefront6targetE0EEEvSK_
                                        ; -- End function
	.section	.AMDGPU.csdata,"",@progbits
; Kernel info:
; codeLenInByte = 0
; NumSgprs: 0
; NumVgprs: 0
; ScratchSize: 0
; MemoryBound: 0
; FloatMode: 240
; IeeeMode: 1
; LDSByteSize: 0 bytes/workgroup (compile time only)
; SGPRBlocks: 0
; VGPRBlocks: 0
; NumSGPRsForWavesPerEU: 1
; NumVGPRsForWavesPerEU: 1
; Occupancy: 16
; WaveLimiterHint : 0
; COMPUTE_PGM_RSRC2:SCRATCH_EN: 0
; COMPUTE_PGM_RSRC2:USER_SGPR: 15
; COMPUTE_PGM_RSRC2:TRAP_HANDLER: 0
; COMPUTE_PGM_RSRC2:TGID_X_EN: 1
; COMPUTE_PGM_RSRC2:TGID_Y_EN: 0
; COMPUTE_PGM_RSRC2:TGID_Z_EN: 0
; COMPUTE_PGM_RSRC2:TIDIG_COMP_CNT: 0
	.section	.text._ZN7rocprim17ROCPRIM_400000_NS6detail17trampoline_kernelINS0_14default_configENS1_36segmented_radix_sort_config_selectorIhlEEZNS1_25segmented_radix_sort_implIS3_Lb0EPKhPhPKlPlN2at6native12_GLOBAL__N_18offset_tEEE10hipError_tPvRmT1_PNSt15iterator_traitsISK_E10value_typeET2_T3_PNSL_ISQ_E10value_typeET4_jRbjT5_SW_jjP12ihipStream_tbEUlT_E1_NS1_11comp_targetILNS1_3genE0ELNS1_11target_archE4294967295ELNS1_3gpuE0ELNS1_3repE0EEENS1_59segmented_radix_sort_warp_sort_small_config_static_selectorELNS0_4arch9wavefront6targetE0EEEvSK_,"axG",@progbits,_ZN7rocprim17ROCPRIM_400000_NS6detail17trampoline_kernelINS0_14default_configENS1_36segmented_radix_sort_config_selectorIhlEEZNS1_25segmented_radix_sort_implIS3_Lb0EPKhPhPKlPlN2at6native12_GLOBAL__N_18offset_tEEE10hipError_tPvRmT1_PNSt15iterator_traitsISK_E10value_typeET2_T3_PNSL_ISQ_E10value_typeET4_jRbjT5_SW_jjP12ihipStream_tbEUlT_E1_NS1_11comp_targetILNS1_3genE0ELNS1_11target_archE4294967295ELNS1_3gpuE0ELNS1_3repE0EEENS1_59segmented_radix_sort_warp_sort_small_config_static_selectorELNS0_4arch9wavefront6targetE0EEEvSK_,comdat
	.globl	_ZN7rocprim17ROCPRIM_400000_NS6detail17trampoline_kernelINS0_14default_configENS1_36segmented_radix_sort_config_selectorIhlEEZNS1_25segmented_radix_sort_implIS3_Lb0EPKhPhPKlPlN2at6native12_GLOBAL__N_18offset_tEEE10hipError_tPvRmT1_PNSt15iterator_traitsISK_E10value_typeET2_T3_PNSL_ISQ_E10value_typeET4_jRbjT5_SW_jjP12ihipStream_tbEUlT_E1_NS1_11comp_targetILNS1_3genE0ELNS1_11target_archE4294967295ELNS1_3gpuE0ELNS1_3repE0EEENS1_59segmented_radix_sort_warp_sort_small_config_static_selectorELNS0_4arch9wavefront6targetE0EEEvSK_ ; -- Begin function _ZN7rocprim17ROCPRIM_400000_NS6detail17trampoline_kernelINS0_14default_configENS1_36segmented_radix_sort_config_selectorIhlEEZNS1_25segmented_radix_sort_implIS3_Lb0EPKhPhPKlPlN2at6native12_GLOBAL__N_18offset_tEEE10hipError_tPvRmT1_PNSt15iterator_traitsISK_E10value_typeET2_T3_PNSL_ISQ_E10value_typeET4_jRbjT5_SW_jjP12ihipStream_tbEUlT_E1_NS1_11comp_targetILNS1_3genE0ELNS1_11target_archE4294967295ELNS1_3gpuE0ELNS1_3repE0EEENS1_59segmented_radix_sort_warp_sort_small_config_static_selectorELNS0_4arch9wavefront6targetE0EEEvSK_
	.p2align	8
	.type	_ZN7rocprim17ROCPRIM_400000_NS6detail17trampoline_kernelINS0_14default_configENS1_36segmented_radix_sort_config_selectorIhlEEZNS1_25segmented_radix_sort_implIS3_Lb0EPKhPhPKlPlN2at6native12_GLOBAL__N_18offset_tEEE10hipError_tPvRmT1_PNSt15iterator_traitsISK_E10value_typeET2_T3_PNSL_ISQ_E10value_typeET4_jRbjT5_SW_jjP12ihipStream_tbEUlT_E1_NS1_11comp_targetILNS1_3genE0ELNS1_11target_archE4294967295ELNS1_3gpuE0ELNS1_3repE0EEENS1_59segmented_radix_sort_warp_sort_small_config_static_selectorELNS0_4arch9wavefront6targetE0EEEvSK_,@function
_ZN7rocprim17ROCPRIM_400000_NS6detail17trampoline_kernelINS0_14default_configENS1_36segmented_radix_sort_config_selectorIhlEEZNS1_25segmented_radix_sort_implIS3_Lb0EPKhPhPKlPlN2at6native12_GLOBAL__N_18offset_tEEE10hipError_tPvRmT1_PNSt15iterator_traitsISK_E10value_typeET2_T3_PNSL_ISQ_E10value_typeET4_jRbjT5_SW_jjP12ihipStream_tbEUlT_E1_NS1_11comp_targetILNS1_3genE0ELNS1_11target_archE4294967295ELNS1_3gpuE0ELNS1_3repE0EEENS1_59segmented_radix_sort_warp_sort_small_config_static_selectorELNS0_4arch9wavefront6targetE0EEEvSK_: ; @_ZN7rocprim17ROCPRIM_400000_NS6detail17trampoline_kernelINS0_14default_configENS1_36segmented_radix_sort_config_selectorIhlEEZNS1_25segmented_radix_sort_implIS3_Lb0EPKhPhPKlPlN2at6native12_GLOBAL__N_18offset_tEEE10hipError_tPvRmT1_PNSt15iterator_traitsISK_E10value_typeET2_T3_PNSL_ISQ_E10value_typeET4_jRbjT5_SW_jjP12ihipStream_tbEUlT_E1_NS1_11comp_targetILNS1_3genE0ELNS1_11target_archE4294967295ELNS1_3gpuE0ELNS1_3repE0EEENS1_59segmented_radix_sort_warp_sort_small_config_static_selectorELNS0_4arch9wavefront6targetE0EEEvSK_
; %bb.0:
	.section	.rodata,"a",@progbits
	.p2align	6, 0x0
	.amdhsa_kernel _ZN7rocprim17ROCPRIM_400000_NS6detail17trampoline_kernelINS0_14default_configENS1_36segmented_radix_sort_config_selectorIhlEEZNS1_25segmented_radix_sort_implIS3_Lb0EPKhPhPKlPlN2at6native12_GLOBAL__N_18offset_tEEE10hipError_tPvRmT1_PNSt15iterator_traitsISK_E10value_typeET2_T3_PNSL_ISQ_E10value_typeET4_jRbjT5_SW_jjP12ihipStream_tbEUlT_E1_NS1_11comp_targetILNS1_3genE0ELNS1_11target_archE4294967295ELNS1_3gpuE0ELNS1_3repE0EEENS1_59segmented_radix_sort_warp_sort_small_config_static_selectorELNS0_4arch9wavefront6targetE0EEEvSK_
		.amdhsa_group_segment_fixed_size 0
		.amdhsa_private_segment_fixed_size 0
		.amdhsa_kernarg_size 88
		.amdhsa_user_sgpr_count 15
		.amdhsa_user_sgpr_dispatch_ptr 0
		.amdhsa_user_sgpr_queue_ptr 0
		.amdhsa_user_sgpr_kernarg_segment_ptr 1
		.amdhsa_user_sgpr_dispatch_id 0
		.amdhsa_user_sgpr_private_segment_size 0
		.amdhsa_wavefront_size32 1
		.amdhsa_uses_dynamic_stack 0
		.amdhsa_enable_private_segment 0
		.amdhsa_system_sgpr_workgroup_id_x 1
		.amdhsa_system_sgpr_workgroup_id_y 0
		.amdhsa_system_sgpr_workgroup_id_z 0
		.amdhsa_system_sgpr_workgroup_info 0
		.amdhsa_system_vgpr_workitem_id 0
		.amdhsa_next_free_vgpr 1
		.amdhsa_next_free_sgpr 1
		.amdhsa_reserve_vcc 0
		.amdhsa_float_round_mode_32 0
		.amdhsa_float_round_mode_16_64 0
		.amdhsa_float_denorm_mode_32 3
		.amdhsa_float_denorm_mode_16_64 3
		.amdhsa_dx10_clamp 1
		.amdhsa_ieee_mode 1
		.amdhsa_fp16_overflow 0
		.amdhsa_workgroup_processor_mode 1
		.amdhsa_memory_ordered 1
		.amdhsa_forward_progress 0
		.amdhsa_shared_vgpr_count 0
		.amdhsa_exception_fp_ieee_invalid_op 0
		.amdhsa_exception_fp_denorm_src 0
		.amdhsa_exception_fp_ieee_div_zero 0
		.amdhsa_exception_fp_ieee_overflow 0
		.amdhsa_exception_fp_ieee_underflow 0
		.amdhsa_exception_fp_ieee_inexact 0
		.amdhsa_exception_int_div_zero 0
	.end_amdhsa_kernel
	.section	.text._ZN7rocprim17ROCPRIM_400000_NS6detail17trampoline_kernelINS0_14default_configENS1_36segmented_radix_sort_config_selectorIhlEEZNS1_25segmented_radix_sort_implIS3_Lb0EPKhPhPKlPlN2at6native12_GLOBAL__N_18offset_tEEE10hipError_tPvRmT1_PNSt15iterator_traitsISK_E10value_typeET2_T3_PNSL_ISQ_E10value_typeET4_jRbjT5_SW_jjP12ihipStream_tbEUlT_E1_NS1_11comp_targetILNS1_3genE0ELNS1_11target_archE4294967295ELNS1_3gpuE0ELNS1_3repE0EEENS1_59segmented_radix_sort_warp_sort_small_config_static_selectorELNS0_4arch9wavefront6targetE0EEEvSK_,"axG",@progbits,_ZN7rocprim17ROCPRIM_400000_NS6detail17trampoline_kernelINS0_14default_configENS1_36segmented_radix_sort_config_selectorIhlEEZNS1_25segmented_radix_sort_implIS3_Lb0EPKhPhPKlPlN2at6native12_GLOBAL__N_18offset_tEEE10hipError_tPvRmT1_PNSt15iterator_traitsISK_E10value_typeET2_T3_PNSL_ISQ_E10value_typeET4_jRbjT5_SW_jjP12ihipStream_tbEUlT_E1_NS1_11comp_targetILNS1_3genE0ELNS1_11target_archE4294967295ELNS1_3gpuE0ELNS1_3repE0EEENS1_59segmented_radix_sort_warp_sort_small_config_static_selectorELNS0_4arch9wavefront6targetE0EEEvSK_,comdat
.Lfunc_end206:
	.size	_ZN7rocprim17ROCPRIM_400000_NS6detail17trampoline_kernelINS0_14default_configENS1_36segmented_radix_sort_config_selectorIhlEEZNS1_25segmented_radix_sort_implIS3_Lb0EPKhPhPKlPlN2at6native12_GLOBAL__N_18offset_tEEE10hipError_tPvRmT1_PNSt15iterator_traitsISK_E10value_typeET2_T3_PNSL_ISQ_E10value_typeET4_jRbjT5_SW_jjP12ihipStream_tbEUlT_E1_NS1_11comp_targetILNS1_3genE0ELNS1_11target_archE4294967295ELNS1_3gpuE0ELNS1_3repE0EEENS1_59segmented_radix_sort_warp_sort_small_config_static_selectorELNS0_4arch9wavefront6targetE0EEEvSK_, .Lfunc_end206-_ZN7rocprim17ROCPRIM_400000_NS6detail17trampoline_kernelINS0_14default_configENS1_36segmented_radix_sort_config_selectorIhlEEZNS1_25segmented_radix_sort_implIS3_Lb0EPKhPhPKlPlN2at6native12_GLOBAL__N_18offset_tEEE10hipError_tPvRmT1_PNSt15iterator_traitsISK_E10value_typeET2_T3_PNSL_ISQ_E10value_typeET4_jRbjT5_SW_jjP12ihipStream_tbEUlT_E1_NS1_11comp_targetILNS1_3genE0ELNS1_11target_archE4294967295ELNS1_3gpuE0ELNS1_3repE0EEENS1_59segmented_radix_sort_warp_sort_small_config_static_selectorELNS0_4arch9wavefront6targetE0EEEvSK_
                                        ; -- End function
	.section	.AMDGPU.csdata,"",@progbits
; Kernel info:
; codeLenInByte = 0
; NumSgprs: 0
; NumVgprs: 0
; ScratchSize: 0
; MemoryBound: 0
; FloatMode: 240
; IeeeMode: 1
; LDSByteSize: 0 bytes/workgroup (compile time only)
; SGPRBlocks: 0
; VGPRBlocks: 0
; NumSGPRsForWavesPerEU: 1
; NumVGPRsForWavesPerEU: 1
; Occupancy: 16
; WaveLimiterHint : 0
; COMPUTE_PGM_RSRC2:SCRATCH_EN: 0
; COMPUTE_PGM_RSRC2:USER_SGPR: 15
; COMPUTE_PGM_RSRC2:TRAP_HANDLER: 0
; COMPUTE_PGM_RSRC2:TGID_X_EN: 1
; COMPUTE_PGM_RSRC2:TGID_Y_EN: 0
; COMPUTE_PGM_RSRC2:TGID_Z_EN: 0
; COMPUTE_PGM_RSRC2:TIDIG_COMP_CNT: 0
	.section	.text._ZN7rocprim17ROCPRIM_400000_NS6detail17trampoline_kernelINS0_14default_configENS1_36segmented_radix_sort_config_selectorIhlEEZNS1_25segmented_radix_sort_implIS3_Lb0EPKhPhPKlPlN2at6native12_GLOBAL__N_18offset_tEEE10hipError_tPvRmT1_PNSt15iterator_traitsISK_E10value_typeET2_T3_PNSL_ISQ_E10value_typeET4_jRbjT5_SW_jjP12ihipStream_tbEUlT_E1_NS1_11comp_targetILNS1_3genE5ELNS1_11target_archE942ELNS1_3gpuE9ELNS1_3repE0EEENS1_59segmented_radix_sort_warp_sort_small_config_static_selectorELNS0_4arch9wavefront6targetE0EEEvSK_,"axG",@progbits,_ZN7rocprim17ROCPRIM_400000_NS6detail17trampoline_kernelINS0_14default_configENS1_36segmented_radix_sort_config_selectorIhlEEZNS1_25segmented_radix_sort_implIS3_Lb0EPKhPhPKlPlN2at6native12_GLOBAL__N_18offset_tEEE10hipError_tPvRmT1_PNSt15iterator_traitsISK_E10value_typeET2_T3_PNSL_ISQ_E10value_typeET4_jRbjT5_SW_jjP12ihipStream_tbEUlT_E1_NS1_11comp_targetILNS1_3genE5ELNS1_11target_archE942ELNS1_3gpuE9ELNS1_3repE0EEENS1_59segmented_radix_sort_warp_sort_small_config_static_selectorELNS0_4arch9wavefront6targetE0EEEvSK_,comdat
	.globl	_ZN7rocprim17ROCPRIM_400000_NS6detail17trampoline_kernelINS0_14default_configENS1_36segmented_radix_sort_config_selectorIhlEEZNS1_25segmented_radix_sort_implIS3_Lb0EPKhPhPKlPlN2at6native12_GLOBAL__N_18offset_tEEE10hipError_tPvRmT1_PNSt15iterator_traitsISK_E10value_typeET2_T3_PNSL_ISQ_E10value_typeET4_jRbjT5_SW_jjP12ihipStream_tbEUlT_E1_NS1_11comp_targetILNS1_3genE5ELNS1_11target_archE942ELNS1_3gpuE9ELNS1_3repE0EEENS1_59segmented_radix_sort_warp_sort_small_config_static_selectorELNS0_4arch9wavefront6targetE0EEEvSK_ ; -- Begin function _ZN7rocprim17ROCPRIM_400000_NS6detail17trampoline_kernelINS0_14default_configENS1_36segmented_radix_sort_config_selectorIhlEEZNS1_25segmented_radix_sort_implIS3_Lb0EPKhPhPKlPlN2at6native12_GLOBAL__N_18offset_tEEE10hipError_tPvRmT1_PNSt15iterator_traitsISK_E10value_typeET2_T3_PNSL_ISQ_E10value_typeET4_jRbjT5_SW_jjP12ihipStream_tbEUlT_E1_NS1_11comp_targetILNS1_3genE5ELNS1_11target_archE942ELNS1_3gpuE9ELNS1_3repE0EEENS1_59segmented_radix_sort_warp_sort_small_config_static_selectorELNS0_4arch9wavefront6targetE0EEEvSK_
	.p2align	8
	.type	_ZN7rocprim17ROCPRIM_400000_NS6detail17trampoline_kernelINS0_14default_configENS1_36segmented_radix_sort_config_selectorIhlEEZNS1_25segmented_radix_sort_implIS3_Lb0EPKhPhPKlPlN2at6native12_GLOBAL__N_18offset_tEEE10hipError_tPvRmT1_PNSt15iterator_traitsISK_E10value_typeET2_T3_PNSL_ISQ_E10value_typeET4_jRbjT5_SW_jjP12ihipStream_tbEUlT_E1_NS1_11comp_targetILNS1_3genE5ELNS1_11target_archE942ELNS1_3gpuE9ELNS1_3repE0EEENS1_59segmented_radix_sort_warp_sort_small_config_static_selectorELNS0_4arch9wavefront6targetE0EEEvSK_,@function
_ZN7rocprim17ROCPRIM_400000_NS6detail17trampoline_kernelINS0_14default_configENS1_36segmented_radix_sort_config_selectorIhlEEZNS1_25segmented_radix_sort_implIS3_Lb0EPKhPhPKlPlN2at6native12_GLOBAL__N_18offset_tEEE10hipError_tPvRmT1_PNSt15iterator_traitsISK_E10value_typeET2_T3_PNSL_ISQ_E10value_typeET4_jRbjT5_SW_jjP12ihipStream_tbEUlT_E1_NS1_11comp_targetILNS1_3genE5ELNS1_11target_archE942ELNS1_3gpuE9ELNS1_3repE0EEENS1_59segmented_radix_sort_warp_sort_small_config_static_selectorELNS0_4arch9wavefront6targetE0EEEvSK_: ; @_ZN7rocprim17ROCPRIM_400000_NS6detail17trampoline_kernelINS0_14default_configENS1_36segmented_radix_sort_config_selectorIhlEEZNS1_25segmented_radix_sort_implIS3_Lb0EPKhPhPKlPlN2at6native12_GLOBAL__N_18offset_tEEE10hipError_tPvRmT1_PNSt15iterator_traitsISK_E10value_typeET2_T3_PNSL_ISQ_E10value_typeET4_jRbjT5_SW_jjP12ihipStream_tbEUlT_E1_NS1_11comp_targetILNS1_3genE5ELNS1_11target_archE942ELNS1_3gpuE9ELNS1_3repE0EEENS1_59segmented_radix_sort_warp_sort_small_config_static_selectorELNS0_4arch9wavefront6targetE0EEEvSK_
; %bb.0:
	.section	.rodata,"a",@progbits
	.p2align	6, 0x0
	.amdhsa_kernel _ZN7rocprim17ROCPRIM_400000_NS6detail17trampoline_kernelINS0_14default_configENS1_36segmented_radix_sort_config_selectorIhlEEZNS1_25segmented_radix_sort_implIS3_Lb0EPKhPhPKlPlN2at6native12_GLOBAL__N_18offset_tEEE10hipError_tPvRmT1_PNSt15iterator_traitsISK_E10value_typeET2_T3_PNSL_ISQ_E10value_typeET4_jRbjT5_SW_jjP12ihipStream_tbEUlT_E1_NS1_11comp_targetILNS1_3genE5ELNS1_11target_archE942ELNS1_3gpuE9ELNS1_3repE0EEENS1_59segmented_radix_sort_warp_sort_small_config_static_selectorELNS0_4arch9wavefront6targetE0EEEvSK_
		.amdhsa_group_segment_fixed_size 0
		.amdhsa_private_segment_fixed_size 0
		.amdhsa_kernarg_size 88
		.amdhsa_user_sgpr_count 15
		.amdhsa_user_sgpr_dispatch_ptr 0
		.amdhsa_user_sgpr_queue_ptr 0
		.amdhsa_user_sgpr_kernarg_segment_ptr 1
		.amdhsa_user_sgpr_dispatch_id 0
		.amdhsa_user_sgpr_private_segment_size 0
		.amdhsa_wavefront_size32 1
		.amdhsa_uses_dynamic_stack 0
		.amdhsa_enable_private_segment 0
		.amdhsa_system_sgpr_workgroup_id_x 1
		.amdhsa_system_sgpr_workgroup_id_y 0
		.amdhsa_system_sgpr_workgroup_id_z 0
		.amdhsa_system_sgpr_workgroup_info 0
		.amdhsa_system_vgpr_workitem_id 0
		.amdhsa_next_free_vgpr 1
		.amdhsa_next_free_sgpr 1
		.amdhsa_reserve_vcc 0
		.amdhsa_float_round_mode_32 0
		.amdhsa_float_round_mode_16_64 0
		.amdhsa_float_denorm_mode_32 3
		.amdhsa_float_denorm_mode_16_64 3
		.amdhsa_dx10_clamp 1
		.amdhsa_ieee_mode 1
		.amdhsa_fp16_overflow 0
		.amdhsa_workgroup_processor_mode 1
		.amdhsa_memory_ordered 1
		.amdhsa_forward_progress 0
		.amdhsa_shared_vgpr_count 0
		.amdhsa_exception_fp_ieee_invalid_op 0
		.amdhsa_exception_fp_denorm_src 0
		.amdhsa_exception_fp_ieee_div_zero 0
		.amdhsa_exception_fp_ieee_overflow 0
		.amdhsa_exception_fp_ieee_underflow 0
		.amdhsa_exception_fp_ieee_inexact 0
		.amdhsa_exception_int_div_zero 0
	.end_amdhsa_kernel
	.section	.text._ZN7rocprim17ROCPRIM_400000_NS6detail17trampoline_kernelINS0_14default_configENS1_36segmented_radix_sort_config_selectorIhlEEZNS1_25segmented_radix_sort_implIS3_Lb0EPKhPhPKlPlN2at6native12_GLOBAL__N_18offset_tEEE10hipError_tPvRmT1_PNSt15iterator_traitsISK_E10value_typeET2_T3_PNSL_ISQ_E10value_typeET4_jRbjT5_SW_jjP12ihipStream_tbEUlT_E1_NS1_11comp_targetILNS1_3genE5ELNS1_11target_archE942ELNS1_3gpuE9ELNS1_3repE0EEENS1_59segmented_radix_sort_warp_sort_small_config_static_selectorELNS0_4arch9wavefront6targetE0EEEvSK_,"axG",@progbits,_ZN7rocprim17ROCPRIM_400000_NS6detail17trampoline_kernelINS0_14default_configENS1_36segmented_radix_sort_config_selectorIhlEEZNS1_25segmented_radix_sort_implIS3_Lb0EPKhPhPKlPlN2at6native12_GLOBAL__N_18offset_tEEE10hipError_tPvRmT1_PNSt15iterator_traitsISK_E10value_typeET2_T3_PNSL_ISQ_E10value_typeET4_jRbjT5_SW_jjP12ihipStream_tbEUlT_E1_NS1_11comp_targetILNS1_3genE5ELNS1_11target_archE942ELNS1_3gpuE9ELNS1_3repE0EEENS1_59segmented_radix_sort_warp_sort_small_config_static_selectorELNS0_4arch9wavefront6targetE0EEEvSK_,comdat
.Lfunc_end207:
	.size	_ZN7rocprim17ROCPRIM_400000_NS6detail17trampoline_kernelINS0_14default_configENS1_36segmented_radix_sort_config_selectorIhlEEZNS1_25segmented_radix_sort_implIS3_Lb0EPKhPhPKlPlN2at6native12_GLOBAL__N_18offset_tEEE10hipError_tPvRmT1_PNSt15iterator_traitsISK_E10value_typeET2_T3_PNSL_ISQ_E10value_typeET4_jRbjT5_SW_jjP12ihipStream_tbEUlT_E1_NS1_11comp_targetILNS1_3genE5ELNS1_11target_archE942ELNS1_3gpuE9ELNS1_3repE0EEENS1_59segmented_radix_sort_warp_sort_small_config_static_selectorELNS0_4arch9wavefront6targetE0EEEvSK_, .Lfunc_end207-_ZN7rocprim17ROCPRIM_400000_NS6detail17trampoline_kernelINS0_14default_configENS1_36segmented_radix_sort_config_selectorIhlEEZNS1_25segmented_radix_sort_implIS3_Lb0EPKhPhPKlPlN2at6native12_GLOBAL__N_18offset_tEEE10hipError_tPvRmT1_PNSt15iterator_traitsISK_E10value_typeET2_T3_PNSL_ISQ_E10value_typeET4_jRbjT5_SW_jjP12ihipStream_tbEUlT_E1_NS1_11comp_targetILNS1_3genE5ELNS1_11target_archE942ELNS1_3gpuE9ELNS1_3repE0EEENS1_59segmented_radix_sort_warp_sort_small_config_static_selectorELNS0_4arch9wavefront6targetE0EEEvSK_
                                        ; -- End function
	.section	.AMDGPU.csdata,"",@progbits
; Kernel info:
; codeLenInByte = 0
; NumSgprs: 0
; NumVgprs: 0
; ScratchSize: 0
; MemoryBound: 0
; FloatMode: 240
; IeeeMode: 1
; LDSByteSize: 0 bytes/workgroup (compile time only)
; SGPRBlocks: 0
; VGPRBlocks: 0
; NumSGPRsForWavesPerEU: 1
; NumVGPRsForWavesPerEU: 1
; Occupancy: 16
; WaveLimiterHint : 0
; COMPUTE_PGM_RSRC2:SCRATCH_EN: 0
; COMPUTE_PGM_RSRC2:USER_SGPR: 15
; COMPUTE_PGM_RSRC2:TRAP_HANDLER: 0
; COMPUTE_PGM_RSRC2:TGID_X_EN: 1
; COMPUTE_PGM_RSRC2:TGID_Y_EN: 0
; COMPUTE_PGM_RSRC2:TGID_Z_EN: 0
; COMPUTE_PGM_RSRC2:TIDIG_COMP_CNT: 0
	.section	.text._ZN7rocprim17ROCPRIM_400000_NS6detail17trampoline_kernelINS0_14default_configENS1_36segmented_radix_sort_config_selectorIhlEEZNS1_25segmented_radix_sort_implIS3_Lb0EPKhPhPKlPlN2at6native12_GLOBAL__N_18offset_tEEE10hipError_tPvRmT1_PNSt15iterator_traitsISK_E10value_typeET2_T3_PNSL_ISQ_E10value_typeET4_jRbjT5_SW_jjP12ihipStream_tbEUlT_E1_NS1_11comp_targetILNS1_3genE4ELNS1_11target_archE910ELNS1_3gpuE8ELNS1_3repE0EEENS1_59segmented_radix_sort_warp_sort_small_config_static_selectorELNS0_4arch9wavefront6targetE0EEEvSK_,"axG",@progbits,_ZN7rocprim17ROCPRIM_400000_NS6detail17trampoline_kernelINS0_14default_configENS1_36segmented_radix_sort_config_selectorIhlEEZNS1_25segmented_radix_sort_implIS3_Lb0EPKhPhPKlPlN2at6native12_GLOBAL__N_18offset_tEEE10hipError_tPvRmT1_PNSt15iterator_traitsISK_E10value_typeET2_T3_PNSL_ISQ_E10value_typeET4_jRbjT5_SW_jjP12ihipStream_tbEUlT_E1_NS1_11comp_targetILNS1_3genE4ELNS1_11target_archE910ELNS1_3gpuE8ELNS1_3repE0EEENS1_59segmented_radix_sort_warp_sort_small_config_static_selectorELNS0_4arch9wavefront6targetE0EEEvSK_,comdat
	.globl	_ZN7rocprim17ROCPRIM_400000_NS6detail17trampoline_kernelINS0_14default_configENS1_36segmented_radix_sort_config_selectorIhlEEZNS1_25segmented_radix_sort_implIS3_Lb0EPKhPhPKlPlN2at6native12_GLOBAL__N_18offset_tEEE10hipError_tPvRmT1_PNSt15iterator_traitsISK_E10value_typeET2_T3_PNSL_ISQ_E10value_typeET4_jRbjT5_SW_jjP12ihipStream_tbEUlT_E1_NS1_11comp_targetILNS1_3genE4ELNS1_11target_archE910ELNS1_3gpuE8ELNS1_3repE0EEENS1_59segmented_radix_sort_warp_sort_small_config_static_selectorELNS0_4arch9wavefront6targetE0EEEvSK_ ; -- Begin function _ZN7rocprim17ROCPRIM_400000_NS6detail17trampoline_kernelINS0_14default_configENS1_36segmented_radix_sort_config_selectorIhlEEZNS1_25segmented_radix_sort_implIS3_Lb0EPKhPhPKlPlN2at6native12_GLOBAL__N_18offset_tEEE10hipError_tPvRmT1_PNSt15iterator_traitsISK_E10value_typeET2_T3_PNSL_ISQ_E10value_typeET4_jRbjT5_SW_jjP12ihipStream_tbEUlT_E1_NS1_11comp_targetILNS1_3genE4ELNS1_11target_archE910ELNS1_3gpuE8ELNS1_3repE0EEENS1_59segmented_radix_sort_warp_sort_small_config_static_selectorELNS0_4arch9wavefront6targetE0EEEvSK_
	.p2align	8
	.type	_ZN7rocprim17ROCPRIM_400000_NS6detail17trampoline_kernelINS0_14default_configENS1_36segmented_radix_sort_config_selectorIhlEEZNS1_25segmented_radix_sort_implIS3_Lb0EPKhPhPKlPlN2at6native12_GLOBAL__N_18offset_tEEE10hipError_tPvRmT1_PNSt15iterator_traitsISK_E10value_typeET2_T3_PNSL_ISQ_E10value_typeET4_jRbjT5_SW_jjP12ihipStream_tbEUlT_E1_NS1_11comp_targetILNS1_3genE4ELNS1_11target_archE910ELNS1_3gpuE8ELNS1_3repE0EEENS1_59segmented_radix_sort_warp_sort_small_config_static_selectorELNS0_4arch9wavefront6targetE0EEEvSK_,@function
_ZN7rocprim17ROCPRIM_400000_NS6detail17trampoline_kernelINS0_14default_configENS1_36segmented_radix_sort_config_selectorIhlEEZNS1_25segmented_radix_sort_implIS3_Lb0EPKhPhPKlPlN2at6native12_GLOBAL__N_18offset_tEEE10hipError_tPvRmT1_PNSt15iterator_traitsISK_E10value_typeET2_T3_PNSL_ISQ_E10value_typeET4_jRbjT5_SW_jjP12ihipStream_tbEUlT_E1_NS1_11comp_targetILNS1_3genE4ELNS1_11target_archE910ELNS1_3gpuE8ELNS1_3repE0EEENS1_59segmented_radix_sort_warp_sort_small_config_static_selectorELNS0_4arch9wavefront6targetE0EEEvSK_: ; @_ZN7rocprim17ROCPRIM_400000_NS6detail17trampoline_kernelINS0_14default_configENS1_36segmented_radix_sort_config_selectorIhlEEZNS1_25segmented_radix_sort_implIS3_Lb0EPKhPhPKlPlN2at6native12_GLOBAL__N_18offset_tEEE10hipError_tPvRmT1_PNSt15iterator_traitsISK_E10value_typeET2_T3_PNSL_ISQ_E10value_typeET4_jRbjT5_SW_jjP12ihipStream_tbEUlT_E1_NS1_11comp_targetILNS1_3genE4ELNS1_11target_archE910ELNS1_3gpuE8ELNS1_3repE0EEENS1_59segmented_radix_sort_warp_sort_small_config_static_selectorELNS0_4arch9wavefront6targetE0EEEvSK_
; %bb.0:
	.section	.rodata,"a",@progbits
	.p2align	6, 0x0
	.amdhsa_kernel _ZN7rocprim17ROCPRIM_400000_NS6detail17trampoline_kernelINS0_14default_configENS1_36segmented_radix_sort_config_selectorIhlEEZNS1_25segmented_radix_sort_implIS3_Lb0EPKhPhPKlPlN2at6native12_GLOBAL__N_18offset_tEEE10hipError_tPvRmT1_PNSt15iterator_traitsISK_E10value_typeET2_T3_PNSL_ISQ_E10value_typeET4_jRbjT5_SW_jjP12ihipStream_tbEUlT_E1_NS1_11comp_targetILNS1_3genE4ELNS1_11target_archE910ELNS1_3gpuE8ELNS1_3repE0EEENS1_59segmented_radix_sort_warp_sort_small_config_static_selectorELNS0_4arch9wavefront6targetE0EEEvSK_
		.amdhsa_group_segment_fixed_size 0
		.amdhsa_private_segment_fixed_size 0
		.amdhsa_kernarg_size 88
		.amdhsa_user_sgpr_count 15
		.amdhsa_user_sgpr_dispatch_ptr 0
		.amdhsa_user_sgpr_queue_ptr 0
		.amdhsa_user_sgpr_kernarg_segment_ptr 1
		.amdhsa_user_sgpr_dispatch_id 0
		.amdhsa_user_sgpr_private_segment_size 0
		.amdhsa_wavefront_size32 1
		.amdhsa_uses_dynamic_stack 0
		.amdhsa_enable_private_segment 0
		.amdhsa_system_sgpr_workgroup_id_x 1
		.amdhsa_system_sgpr_workgroup_id_y 0
		.amdhsa_system_sgpr_workgroup_id_z 0
		.amdhsa_system_sgpr_workgroup_info 0
		.amdhsa_system_vgpr_workitem_id 0
		.amdhsa_next_free_vgpr 1
		.amdhsa_next_free_sgpr 1
		.amdhsa_reserve_vcc 0
		.amdhsa_float_round_mode_32 0
		.amdhsa_float_round_mode_16_64 0
		.amdhsa_float_denorm_mode_32 3
		.amdhsa_float_denorm_mode_16_64 3
		.amdhsa_dx10_clamp 1
		.amdhsa_ieee_mode 1
		.amdhsa_fp16_overflow 0
		.amdhsa_workgroup_processor_mode 1
		.amdhsa_memory_ordered 1
		.amdhsa_forward_progress 0
		.amdhsa_shared_vgpr_count 0
		.amdhsa_exception_fp_ieee_invalid_op 0
		.amdhsa_exception_fp_denorm_src 0
		.amdhsa_exception_fp_ieee_div_zero 0
		.amdhsa_exception_fp_ieee_overflow 0
		.amdhsa_exception_fp_ieee_underflow 0
		.amdhsa_exception_fp_ieee_inexact 0
		.amdhsa_exception_int_div_zero 0
	.end_amdhsa_kernel
	.section	.text._ZN7rocprim17ROCPRIM_400000_NS6detail17trampoline_kernelINS0_14default_configENS1_36segmented_radix_sort_config_selectorIhlEEZNS1_25segmented_radix_sort_implIS3_Lb0EPKhPhPKlPlN2at6native12_GLOBAL__N_18offset_tEEE10hipError_tPvRmT1_PNSt15iterator_traitsISK_E10value_typeET2_T3_PNSL_ISQ_E10value_typeET4_jRbjT5_SW_jjP12ihipStream_tbEUlT_E1_NS1_11comp_targetILNS1_3genE4ELNS1_11target_archE910ELNS1_3gpuE8ELNS1_3repE0EEENS1_59segmented_radix_sort_warp_sort_small_config_static_selectorELNS0_4arch9wavefront6targetE0EEEvSK_,"axG",@progbits,_ZN7rocprim17ROCPRIM_400000_NS6detail17trampoline_kernelINS0_14default_configENS1_36segmented_radix_sort_config_selectorIhlEEZNS1_25segmented_radix_sort_implIS3_Lb0EPKhPhPKlPlN2at6native12_GLOBAL__N_18offset_tEEE10hipError_tPvRmT1_PNSt15iterator_traitsISK_E10value_typeET2_T3_PNSL_ISQ_E10value_typeET4_jRbjT5_SW_jjP12ihipStream_tbEUlT_E1_NS1_11comp_targetILNS1_3genE4ELNS1_11target_archE910ELNS1_3gpuE8ELNS1_3repE0EEENS1_59segmented_radix_sort_warp_sort_small_config_static_selectorELNS0_4arch9wavefront6targetE0EEEvSK_,comdat
.Lfunc_end208:
	.size	_ZN7rocprim17ROCPRIM_400000_NS6detail17trampoline_kernelINS0_14default_configENS1_36segmented_radix_sort_config_selectorIhlEEZNS1_25segmented_radix_sort_implIS3_Lb0EPKhPhPKlPlN2at6native12_GLOBAL__N_18offset_tEEE10hipError_tPvRmT1_PNSt15iterator_traitsISK_E10value_typeET2_T3_PNSL_ISQ_E10value_typeET4_jRbjT5_SW_jjP12ihipStream_tbEUlT_E1_NS1_11comp_targetILNS1_3genE4ELNS1_11target_archE910ELNS1_3gpuE8ELNS1_3repE0EEENS1_59segmented_radix_sort_warp_sort_small_config_static_selectorELNS0_4arch9wavefront6targetE0EEEvSK_, .Lfunc_end208-_ZN7rocprim17ROCPRIM_400000_NS6detail17trampoline_kernelINS0_14default_configENS1_36segmented_radix_sort_config_selectorIhlEEZNS1_25segmented_radix_sort_implIS3_Lb0EPKhPhPKlPlN2at6native12_GLOBAL__N_18offset_tEEE10hipError_tPvRmT1_PNSt15iterator_traitsISK_E10value_typeET2_T3_PNSL_ISQ_E10value_typeET4_jRbjT5_SW_jjP12ihipStream_tbEUlT_E1_NS1_11comp_targetILNS1_3genE4ELNS1_11target_archE910ELNS1_3gpuE8ELNS1_3repE0EEENS1_59segmented_radix_sort_warp_sort_small_config_static_selectorELNS0_4arch9wavefront6targetE0EEEvSK_
                                        ; -- End function
	.section	.AMDGPU.csdata,"",@progbits
; Kernel info:
; codeLenInByte = 0
; NumSgprs: 0
; NumVgprs: 0
; ScratchSize: 0
; MemoryBound: 0
; FloatMode: 240
; IeeeMode: 1
; LDSByteSize: 0 bytes/workgroup (compile time only)
; SGPRBlocks: 0
; VGPRBlocks: 0
; NumSGPRsForWavesPerEU: 1
; NumVGPRsForWavesPerEU: 1
; Occupancy: 16
; WaveLimiterHint : 0
; COMPUTE_PGM_RSRC2:SCRATCH_EN: 0
; COMPUTE_PGM_RSRC2:USER_SGPR: 15
; COMPUTE_PGM_RSRC2:TRAP_HANDLER: 0
; COMPUTE_PGM_RSRC2:TGID_X_EN: 1
; COMPUTE_PGM_RSRC2:TGID_Y_EN: 0
; COMPUTE_PGM_RSRC2:TGID_Z_EN: 0
; COMPUTE_PGM_RSRC2:TIDIG_COMP_CNT: 0
	.section	.text._ZN7rocprim17ROCPRIM_400000_NS6detail17trampoline_kernelINS0_14default_configENS1_36segmented_radix_sort_config_selectorIhlEEZNS1_25segmented_radix_sort_implIS3_Lb0EPKhPhPKlPlN2at6native12_GLOBAL__N_18offset_tEEE10hipError_tPvRmT1_PNSt15iterator_traitsISK_E10value_typeET2_T3_PNSL_ISQ_E10value_typeET4_jRbjT5_SW_jjP12ihipStream_tbEUlT_E1_NS1_11comp_targetILNS1_3genE3ELNS1_11target_archE908ELNS1_3gpuE7ELNS1_3repE0EEENS1_59segmented_radix_sort_warp_sort_small_config_static_selectorELNS0_4arch9wavefront6targetE0EEEvSK_,"axG",@progbits,_ZN7rocprim17ROCPRIM_400000_NS6detail17trampoline_kernelINS0_14default_configENS1_36segmented_radix_sort_config_selectorIhlEEZNS1_25segmented_radix_sort_implIS3_Lb0EPKhPhPKlPlN2at6native12_GLOBAL__N_18offset_tEEE10hipError_tPvRmT1_PNSt15iterator_traitsISK_E10value_typeET2_T3_PNSL_ISQ_E10value_typeET4_jRbjT5_SW_jjP12ihipStream_tbEUlT_E1_NS1_11comp_targetILNS1_3genE3ELNS1_11target_archE908ELNS1_3gpuE7ELNS1_3repE0EEENS1_59segmented_radix_sort_warp_sort_small_config_static_selectorELNS0_4arch9wavefront6targetE0EEEvSK_,comdat
	.globl	_ZN7rocprim17ROCPRIM_400000_NS6detail17trampoline_kernelINS0_14default_configENS1_36segmented_radix_sort_config_selectorIhlEEZNS1_25segmented_radix_sort_implIS3_Lb0EPKhPhPKlPlN2at6native12_GLOBAL__N_18offset_tEEE10hipError_tPvRmT1_PNSt15iterator_traitsISK_E10value_typeET2_T3_PNSL_ISQ_E10value_typeET4_jRbjT5_SW_jjP12ihipStream_tbEUlT_E1_NS1_11comp_targetILNS1_3genE3ELNS1_11target_archE908ELNS1_3gpuE7ELNS1_3repE0EEENS1_59segmented_radix_sort_warp_sort_small_config_static_selectorELNS0_4arch9wavefront6targetE0EEEvSK_ ; -- Begin function _ZN7rocprim17ROCPRIM_400000_NS6detail17trampoline_kernelINS0_14default_configENS1_36segmented_radix_sort_config_selectorIhlEEZNS1_25segmented_radix_sort_implIS3_Lb0EPKhPhPKlPlN2at6native12_GLOBAL__N_18offset_tEEE10hipError_tPvRmT1_PNSt15iterator_traitsISK_E10value_typeET2_T3_PNSL_ISQ_E10value_typeET4_jRbjT5_SW_jjP12ihipStream_tbEUlT_E1_NS1_11comp_targetILNS1_3genE3ELNS1_11target_archE908ELNS1_3gpuE7ELNS1_3repE0EEENS1_59segmented_radix_sort_warp_sort_small_config_static_selectorELNS0_4arch9wavefront6targetE0EEEvSK_
	.p2align	8
	.type	_ZN7rocprim17ROCPRIM_400000_NS6detail17trampoline_kernelINS0_14default_configENS1_36segmented_radix_sort_config_selectorIhlEEZNS1_25segmented_radix_sort_implIS3_Lb0EPKhPhPKlPlN2at6native12_GLOBAL__N_18offset_tEEE10hipError_tPvRmT1_PNSt15iterator_traitsISK_E10value_typeET2_T3_PNSL_ISQ_E10value_typeET4_jRbjT5_SW_jjP12ihipStream_tbEUlT_E1_NS1_11comp_targetILNS1_3genE3ELNS1_11target_archE908ELNS1_3gpuE7ELNS1_3repE0EEENS1_59segmented_radix_sort_warp_sort_small_config_static_selectorELNS0_4arch9wavefront6targetE0EEEvSK_,@function
_ZN7rocprim17ROCPRIM_400000_NS6detail17trampoline_kernelINS0_14default_configENS1_36segmented_radix_sort_config_selectorIhlEEZNS1_25segmented_radix_sort_implIS3_Lb0EPKhPhPKlPlN2at6native12_GLOBAL__N_18offset_tEEE10hipError_tPvRmT1_PNSt15iterator_traitsISK_E10value_typeET2_T3_PNSL_ISQ_E10value_typeET4_jRbjT5_SW_jjP12ihipStream_tbEUlT_E1_NS1_11comp_targetILNS1_3genE3ELNS1_11target_archE908ELNS1_3gpuE7ELNS1_3repE0EEENS1_59segmented_radix_sort_warp_sort_small_config_static_selectorELNS0_4arch9wavefront6targetE0EEEvSK_: ; @_ZN7rocprim17ROCPRIM_400000_NS6detail17trampoline_kernelINS0_14default_configENS1_36segmented_radix_sort_config_selectorIhlEEZNS1_25segmented_radix_sort_implIS3_Lb0EPKhPhPKlPlN2at6native12_GLOBAL__N_18offset_tEEE10hipError_tPvRmT1_PNSt15iterator_traitsISK_E10value_typeET2_T3_PNSL_ISQ_E10value_typeET4_jRbjT5_SW_jjP12ihipStream_tbEUlT_E1_NS1_11comp_targetILNS1_3genE3ELNS1_11target_archE908ELNS1_3gpuE7ELNS1_3repE0EEENS1_59segmented_radix_sort_warp_sort_small_config_static_selectorELNS0_4arch9wavefront6targetE0EEEvSK_
; %bb.0:
	.section	.rodata,"a",@progbits
	.p2align	6, 0x0
	.amdhsa_kernel _ZN7rocprim17ROCPRIM_400000_NS6detail17trampoline_kernelINS0_14default_configENS1_36segmented_radix_sort_config_selectorIhlEEZNS1_25segmented_radix_sort_implIS3_Lb0EPKhPhPKlPlN2at6native12_GLOBAL__N_18offset_tEEE10hipError_tPvRmT1_PNSt15iterator_traitsISK_E10value_typeET2_T3_PNSL_ISQ_E10value_typeET4_jRbjT5_SW_jjP12ihipStream_tbEUlT_E1_NS1_11comp_targetILNS1_3genE3ELNS1_11target_archE908ELNS1_3gpuE7ELNS1_3repE0EEENS1_59segmented_radix_sort_warp_sort_small_config_static_selectorELNS0_4arch9wavefront6targetE0EEEvSK_
		.amdhsa_group_segment_fixed_size 0
		.amdhsa_private_segment_fixed_size 0
		.amdhsa_kernarg_size 88
		.amdhsa_user_sgpr_count 15
		.amdhsa_user_sgpr_dispatch_ptr 0
		.amdhsa_user_sgpr_queue_ptr 0
		.amdhsa_user_sgpr_kernarg_segment_ptr 1
		.amdhsa_user_sgpr_dispatch_id 0
		.amdhsa_user_sgpr_private_segment_size 0
		.amdhsa_wavefront_size32 1
		.amdhsa_uses_dynamic_stack 0
		.amdhsa_enable_private_segment 0
		.amdhsa_system_sgpr_workgroup_id_x 1
		.amdhsa_system_sgpr_workgroup_id_y 0
		.amdhsa_system_sgpr_workgroup_id_z 0
		.amdhsa_system_sgpr_workgroup_info 0
		.amdhsa_system_vgpr_workitem_id 0
		.amdhsa_next_free_vgpr 1
		.amdhsa_next_free_sgpr 1
		.amdhsa_reserve_vcc 0
		.amdhsa_float_round_mode_32 0
		.amdhsa_float_round_mode_16_64 0
		.amdhsa_float_denorm_mode_32 3
		.amdhsa_float_denorm_mode_16_64 3
		.amdhsa_dx10_clamp 1
		.amdhsa_ieee_mode 1
		.amdhsa_fp16_overflow 0
		.amdhsa_workgroup_processor_mode 1
		.amdhsa_memory_ordered 1
		.amdhsa_forward_progress 0
		.amdhsa_shared_vgpr_count 0
		.amdhsa_exception_fp_ieee_invalid_op 0
		.amdhsa_exception_fp_denorm_src 0
		.amdhsa_exception_fp_ieee_div_zero 0
		.amdhsa_exception_fp_ieee_overflow 0
		.amdhsa_exception_fp_ieee_underflow 0
		.amdhsa_exception_fp_ieee_inexact 0
		.amdhsa_exception_int_div_zero 0
	.end_amdhsa_kernel
	.section	.text._ZN7rocprim17ROCPRIM_400000_NS6detail17trampoline_kernelINS0_14default_configENS1_36segmented_radix_sort_config_selectorIhlEEZNS1_25segmented_radix_sort_implIS3_Lb0EPKhPhPKlPlN2at6native12_GLOBAL__N_18offset_tEEE10hipError_tPvRmT1_PNSt15iterator_traitsISK_E10value_typeET2_T3_PNSL_ISQ_E10value_typeET4_jRbjT5_SW_jjP12ihipStream_tbEUlT_E1_NS1_11comp_targetILNS1_3genE3ELNS1_11target_archE908ELNS1_3gpuE7ELNS1_3repE0EEENS1_59segmented_radix_sort_warp_sort_small_config_static_selectorELNS0_4arch9wavefront6targetE0EEEvSK_,"axG",@progbits,_ZN7rocprim17ROCPRIM_400000_NS6detail17trampoline_kernelINS0_14default_configENS1_36segmented_radix_sort_config_selectorIhlEEZNS1_25segmented_radix_sort_implIS3_Lb0EPKhPhPKlPlN2at6native12_GLOBAL__N_18offset_tEEE10hipError_tPvRmT1_PNSt15iterator_traitsISK_E10value_typeET2_T3_PNSL_ISQ_E10value_typeET4_jRbjT5_SW_jjP12ihipStream_tbEUlT_E1_NS1_11comp_targetILNS1_3genE3ELNS1_11target_archE908ELNS1_3gpuE7ELNS1_3repE0EEENS1_59segmented_radix_sort_warp_sort_small_config_static_selectorELNS0_4arch9wavefront6targetE0EEEvSK_,comdat
.Lfunc_end209:
	.size	_ZN7rocprim17ROCPRIM_400000_NS6detail17trampoline_kernelINS0_14default_configENS1_36segmented_radix_sort_config_selectorIhlEEZNS1_25segmented_radix_sort_implIS3_Lb0EPKhPhPKlPlN2at6native12_GLOBAL__N_18offset_tEEE10hipError_tPvRmT1_PNSt15iterator_traitsISK_E10value_typeET2_T3_PNSL_ISQ_E10value_typeET4_jRbjT5_SW_jjP12ihipStream_tbEUlT_E1_NS1_11comp_targetILNS1_3genE3ELNS1_11target_archE908ELNS1_3gpuE7ELNS1_3repE0EEENS1_59segmented_radix_sort_warp_sort_small_config_static_selectorELNS0_4arch9wavefront6targetE0EEEvSK_, .Lfunc_end209-_ZN7rocprim17ROCPRIM_400000_NS6detail17trampoline_kernelINS0_14default_configENS1_36segmented_radix_sort_config_selectorIhlEEZNS1_25segmented_radix_sort_implIS3_Lb0EPKhPhPKlPlN2at6native12_GLOBAL__N_18offset_tEEE10hipError_tPvRmT1_PNSt15iterator_traitsISK_E10value_typeET2_T3_PNSL_ISQ_E10value_typeET4_jRbjT5_SW_jjP12ihipStream_tbEUlT_E1_NS1_11comp_targetILNS1_3genE3ELNS1_11target_archE908ELNS1_3gpuE7ELNS1_3repE0EEENS1_59segmented_radix_sort_warp_sort_small_config_static_selectorELNS0_4arch9wavefront6targetE0EEEvSK_
                                        ; -- End function
	.section	.AMDGPU.csdata,"",@progbits
; Kernel info:
; codeLenInByte = 0
; NumSgprs: 0
; NumVgprs: 0
; ScratchSize: 0
; MemoryBound: 0
; FloatMode: 240
; IeeeMode: 1
; LDSByteSize: 0 bytes/workgroup (compile time only)
; SGPRBlocks: 0
; VGPRBlocks: 0
; NumSGPRsForWavesPerEU: 1
; NumVGPRsForWavesPerEU: 1
; Occupancy: 16
; WaveLimiterHint : 0
; COMPUTE_PGM_RSRC2:SCRATCH_EN: 0
; COMPUTE_PGM_RSRC2:USER_SGPR: 15
; COMPUTE_PGM_RSRC2:TRAP_HANDLER: 0
; COMPUTE_PGM_RSRC2:TGID_X_EN: 1
; COMPUTE_PGM_RSRC2:TGID_Y_EN: 0
; COMPUTE_PGM_RSRC2:TGID_Z_EN: 0
; COMPUTE_PGM_RSRC2:TIDIG_COMP_CNT: 0
	.section	.text._ZN7rocprim17ROCPRIM_400000_NS6detail17trampoline_kernelINS0_14default_configENS1_36segmented_radix_sort_config_selectorIhlEEZNS1_25segmented_radix_sort_implIS3_Lb0EPKhPhPKlPlN2at6native12_GLOBAL__N_18offset_tEEE10hipError_tPvRmT1_PNSt15iterator_traitsISK_E10value_typeET2_T3_PNSL_ISQ_E10value_typeET4_jRbjT5_SW_jjP12ihipStream_tbEUlT_E1_NS1_11comp_targetILNS1_3genE2ELNS1_11target_archE906ELNS1_3gpuE6ELNS1_3repE0EEENS1_59segmented_radix_sort_warp_sort_small_config_static_selectorELNS0_4arch9wavefront6targetE0EEEvSK_,"axG",@progbits,_ZN7rocprim17ROCPRIM_400000_NS6detail17trampoline_kernelINS0_14default_configENS1_36segmented_radix_sort_config_selectorIhlEEZNS1_25segmented_radix_sort_implIS3_Lb0EPKhPhPKlPlN2at6native12_GLOBAL__N_18offset_tEEE10hipError_tPvRmT1_PNSt15iterator_traitsISK_E10value_typeET2_T3_PNSL_ISQ_E10value_typeET4_jRbjT5_SW_jjP12ihipStream_tbEUlT_E1_NS1_11comp_targetILNS1_3genE2ELNS1_11target_archE906ELNS1_3gpuE6ELNS1_3repE0EEENS1_59segmented_radix_sort_warp_sort_small_config_static_selectorELNS0_4arch9wavefront6targetE0EEEvSK_,comdat
	.globl	_ZN7rocprim17ROCPRIM_400000_NS6detail17trampoline_kernelINS0_14default_configENS1_36segmented_radix_sort_config_selectorIhlEEZNS1_25segmented_radix_sort_implIS3_Lb0EPKhPhPKlPlN2at6native12_GLOBAL__N_18offset_tEEE10hipError_tPvRmT1_PNSt15iterator_traitsISK_E10value_typeET2_T3_PNSL_ISQ_E10value_typeET4_jRbjT5_SW_jjP12ihipStream_tbEUlT_E1_NS1_11comp_targetILNS1_3genE2ELNS1_11target_archE906ELNS1_3gpuE6ELNS1_3repE0EEENS1_59segmented_radix_sort_warp_sort_small_config_static_selectorELNS0_4arch9wavefront6targetE0EEEvSK_ ; -- Begin function _ZN7rocprim17ROCPRIM_400000_NS6detail17trampoline_kernelINS0_14default_configENS1_36segmented_radix_sort_config_selectorIhlEEZNS1_25segmented_radix_sort_implIS3_Lb0EPKhPhPKlPlN2at6native12_GLOBAL__N_18offset_tEEE10hipError_tPvRmT1_PNSt15iterator_traitsISK_E10value_typeET2_T3_PNSL_ISQ_E10value_typeET4_jRbjT5_SW_jjP12ihipStream_tbEUlT_E1_NS1_11comp_targetILNS1_3genE2ELNS1_11target_archE906ELNS1_3gpuE6ELNS1_3repE0EEENS1_59segmented_radix_sort_warp_sort_small_config_static_selectorELNS0_4arch9wavefront6targetE0EEEvSK_
	.p2align	8
	.type	_ZN7rocprim17ROCPRIM_400000_NS6detail17trampoline_kernelINS0_14default_configENS1_36segmented_radix_sort_config_selectorIhlEEZNS1_25segmented_radix_sort_implIS3_Lb0EPKhPhPKlPlN2at6native12_GLOBAL__N_18offset_tEEE10hipError_tPvRmT1_PNSt15iterator_traitsISK_E10value_typeET2_T3_PNSL_ISQ_E10value_typeET4_jRbjT5_SW_jjP12ihipStream_tbEUlT_E1_NS1_11comp_targetILNS1_3genE2ELNS1_11target_archE906ELNS1_3gpuE6ELNS1_3repE0EEENS1_59segmented_radix_sort_warp_sort_small_config_static_selectorELNS0_4arch9wavefront6targetE0EEEvSK_,@function
_ZN7rocprim17ROCPRIM_400000_NS6detail17trampoline_kernelINS0_14default_configENS1_36segmented_radix_sort_config_selectorIhlEEZNS1_25segmented_radix_sort_implIS3_Lb0EPKhPhPKlPlN2at6native12_GLOBAL__N_18offset_tEEE10hipError_tPvRmT1_PNSt15iterator_traitsISK_E10value_typeET2_T3_PNSL_ISQ_E10value_typeET4_jRbjT5_SW_jjP12ihipStream_tbEUlT_E1_NS1_11comp_targetILNS1_3genE2ELNS1_11target_archE906ELNS1_3gpuE6ELNS1_3repE0EEENS1_59segmented_radix_sort_warp_sort_small_config_static_selectorELNS0_4arch9wavefront6targetE0EEEvSK_: ; @_ZN7rocprim17ROCPRIM_400000_NS6detail17trampoline_kernelINS0_14default_configENS1_36segmented_radix_sort_config_selectorIhlEEZNS1_25segmented_radix_sort_implIS3_Lb0EPKhPhPKlPlN2at6native12_GLOBAL__N_18offset_tEEE10hipError_tPvRmT1_PNSt15iterator_traitsISK_E10value_typeET2_T3_PNSL_ISQ_E10value_typeET4_jRbjT5_SW_jjP12ihipStream_tbEUlT_E1_NS1_11comp_targetILNS1_3genE2ELNS1_11target_archE906ELNS1_3gpuE6ELNS1_3repE0EEENS1_59segmented_radix_sort_warp_sort_small_config_static_selectorELNS0_4arch9wavefront6targetE0EEEvSK_
; %bb.0:
	.section	.rodata,"a",@progbits
	.p2align	6, 0x0
	.amdhsa_kernel _ZN7rocprim17ROCPRIM_400000_NS6detail17trampoline_kernelINS0_14default_configENS1_36segmented_radix_sort_config_selectorIhlEEZNS1_25segmented_radix_sort_implIS3_Lb0EPKhPhPKlPlN2at6native12_GLOBAL__N_18offset_tEEE10hipError_tPvRmT1_PNSt15iterator_traitsISK_E10value_typeET2_T3_PNSL_ISQ_E10value_typeET4_jRbjT5_SW_jjP12ihipStream_tbEUlT_E1_NS1_11comp_targetILNS1_3genE2ELNS1_11target_archE906ELNS1_3gpuE6ELNS1_3repE0EEENS1_59segmented_radix_sort_warp_sort_small_config_static_selectorELNS0_4arch9wavefront6targetE0EEEvSK_
		.amdhsa_group_segment_fixed_size 0
		.amdhsa_private_segment_fixed_size 0
		.amdhsa_kernarg_size 88
		.amdhsa_user_sgpr_count 15
		.amdhsa_user_sgpr_dispatch_ptr 0
		.amdhsa_user_sgpr_queue_ptr 0
		.amdhsa_user_sgpr_kernarg_segment_ptr 1
		.amdhsa_user_sgpr_dispatch_id 0
		.amdhsa_user_sgpr_private_segment_size 0
		.amdhsa_wavefront_size32 1
		.amdhsa_uses_dynamic_stack 0
		.amdhsa_enable_private_segment 0
		.amdhsa_system_sgpr_workgroup_id_x 1
		.amdhsa_system_sgpr_workgroup_id_y 0
		.amdhsa_system_sgpr_workgroup_id_z 0
		.amdhsa_system_sgpr_workgroup_info 0
		.amdhsa_system_vgpr_workitem_id 0
		.amdhsa_next_free_vgpr 1
		.amdhsa_next_free_sgpr 1
		.amdhsa_reserve_vcc 0
		.amdhsa_float_round_mode_32 0
		.amdhsa_float_round_mode_16_64 0
		.amdhsa_float_denorm_mode_32 3
		.amdhsa_float_denorm_mode_16_64 3
		.amdhsa_dx10_clamp 1
		.amdhsa_ieee_mode 1
		.amdhsa_fp16_overflow 0
		.amdhsa_workgroup_processor_mode 1
		.amdhsa_memory_ordered 1
		.amdhsa_forward_progress 0
		.amdhsa_shared_vgpr_count 0
		.amdhsa_exception_fp_ieee_invalid_op 0
		.amdhsa_exception_fp_denorm_src 0
		.amdhsa_exception_fp_ieee_div_zero 0
		.amdhsa_exception_fp_ieee_overflow 0
		.amdhsa_exception_fp_ieee_underflow 0
		.amdhsa_exception_fp_ieee_inexact 0
		.amdhsa_exception_int_div_zero 0
	.end_amdhsa_kernel
	.section	.text._ZN7rocprim17ROCPRIM_400000_NS6detail17trampoline_kernelINS0_14default_configENS1_36segmented_radix_sort_config_selectorIhlEEZNS1_25segmented_radix_sort_implIS3_Lb0EPKhPhPKlPlN2at6native12_GLOBAL__N_18offset_tEEE10hipError_tPvRmT1_PNSt15iterator_traitsISK_E10value_typeET2_T3_PNSL_ISQ_E10value_typeET4_jRbjT5_SW_jjP12ihipStream_tbEUlT_E1_NS1_11comp_targetILNS1_3genE2ELNS1_11target_archE906ELNS1_3gpuE6ELNS1_3repE0EEENS1_59segmented_radix_sort_warp_sort_small_config_static_selectorELNS0_4arch9wavefront6targetE0EEEvSK_,"axG",@progbits,_ZN7rocprim17ROCPRIM_400000_NS6detail17trampoline_kernelINS0_14default_configENS1_36segmented_radix_sort_config_selectorIhlEEZNS1_25segmented_radix_sort_implIS3_Lb0EPKhPhPKlPlN2at6native12_GLOBAL__N_18offset_tEEE10hipError_tPvRmT1_PNSt15iterator_traitsISK_E10value_typeET2_T3_PNSL_ISQ_E10value_typeET4_jRbjT5_SW_jjP12ihipStream_tbEUlT_E1_NS1_11comp_targetILNS1_3genE2ELNS1_11target_archE906ELNS1_3gpuE6ELNS1_3repE0EEENS1_59segmented_radix_sort_warp_sort_small_config_static_selectorELNS0_4arch9wavefront6targetE0EEEvSK_,comdat
.Lfunc_end210:
	.size	_ZN7rocprim17ROCPRIM_400000_NS6detail17trampoline_kernelINS0_14default_configENS1_36segmented_radix_sort_config_selectorIhlEEZNS1_25segmented_radix_sort_implIS3_Lb0EPKhPhPKlPlN2at6native12_GLOBAL__N_18offset_tEEE10hipError_tPvRmT1_PNSt15iterator_traitsISK_E10value_typeET2_T3_PNSL_ISQ_E10value_typeET4_jRbjT5_SW_jjP12ihipStream_tbEUlT_E1_NS1_11comp_targetILNS1_3genE2ELNS1_11target_archE906ELNS1_3gpuE6ELNS1_3repE0EEENS1_59segmented_radix_sort_warp_sort_small_config_static_selectorELNS0_4arch9wavefront6targetE0EEEvSK_, .Lfunc_end210-_ZN7rocprim17ROCPRIM_400000_NS6detail17trampoline_kernelINS0_14default_configENS1_36segmented_radix_sort_config_selectorIhlEEZNS1_25segmented_radix_sort_implIS3_Lb0EPKhPhPKlPlN2at6native12_GLOBAL__N_18offset_tEEE10hipError_tPvRmT1_PNSt15iterator_traitsISK_E10value_typeET2_T3_PNSL_ISQ_E10value_typeET4_jRbjT5_SW_jjP12ihipStream_tbEUlT_E1_NS1_11comp_targetILNS1_3genE2ELNS1_11target_archE906ELNS1_3gpuE6ELNS1_3repE0EEENS1_59segmented_radix_sort_warp_sort_small_config_static_selectorELNS0_4arch9wavefront6targetE0EEEvSK_
                                        ; -- End function
	.section	.AMDGPU.csdata,"",@progbits
; Kernel info:
; codeLenInByte = 0
; NumSgprs: 0
; NumVgprs: 0
; ScratchSize: 0
; MemoryBound: 0
; FloatMode: 240
; IeeeMode: 1
; LDSByteSize: 0 bytes/workgroup (compile time only)
; SGPRBlocks: 0
; VGPRBlocks: 0
; NumSGPRsForWavesPerEU: 1
; NumVGPRsForWavesPerEU: 1
; Occupancy: 16
; WaveLimiterHint : 0
; COMPUTE_PGM_RSRC2:SCRATCH_EN: 0
; COMPUTE_PGM_RSRC2:USER_SGPR: 15
; COMPUTE_PGM_RSRC2:TRAP_HANDLER: 0
; COMPUTE_PGM_RSRC2:TGID_X_EN: 1
; COMPUTE_PGM_RSRC2:TGID_Y_EN: 0
; COMPUTE_PGM_RSRC2:TGID_Z_EN: 0
; COMPUTE_PGM_RSRC2:TIDIG_COMP_CNT: 0
	.section	.text._ZN7rocprim17ROCPRIM_400000_NS6detail17trampoline_kernelINS0_14default_configENS1_36segmented_radix_sort_config_selectorIhlEEZNS1_25segmented_radix_sort_implIS3_Lb0EPKhPhPKlPlN2at6native12_GLOBAL__N_18offset_tEEE10hipError_tPvRmT1_PNSt15iterator_traitsISK_E10value_typeET2_T3_PNSL_ISQ_E10value_typeET4_jRbjT5_SW_jjP12ihipStream_tbEUlT_E1_NS1_11comp_targetILNS1_3genE10ELNS1_11target_archE1201ELNS1_3gpuE5ELNS1_3repE0EEENS1_59segmented_radix_sort_warp_sort_small_config_static_selectorELNS0_4arch9wavefront6targetE0EEEvSK_,"axG",@progbits,_ZN7rocprim17ROCPRIM_400000_NS6detail17trampoline_kernelINS0_14default_configENS1_36segmented_radix_sort_config_selectorIhlEEZNS1_25segmented_radix_sort_implIS3_Lb0EPKhPhPKlPlN2at6native12_GLOBAL__N_18offset_tEEE10hipError_tPvRmT1_PNSt15iterator_traitsISK_E10value_typeET2_T3_PNSL_ISQ_E10value_typeET4_jRbjT5_SW_jjP12ihipStream_tbEUlT_E1_NS1_11comp_targetILNS1_3genE10ELNS1_11target_archE1201ELNS1_3gpuE5ELNS1_3repE0EEENS1_59segmented_radix_sort_warp_sort_small_config_static_selectorELNS0_4arch9wavefront6targetE0EEEvSK_,comdat
	.globl	_ZN7rocprim17ROCPRIM_400000_NS6detail17trampoline_kernelINS0_14default_configENS1_36segmented_radix_sort_config_selectorIhlEEZNS1_25segmented_radix_sort_implIS3_Lb0EPKhPhPKlPlN2at6native12_GLOBAL__N_18offset_tEEE10hipError_tPvRmT1_PNSt15iterator_traitsISK_E10value_typeET2_T3_PNSL_ISQ_E10value_typeET4_jRbjT5_SW_jjP12ihipStream_tbEUlT_E1_NS1_11comp_targetILNS1_3genE10ELNS1_11target_archE1201ELNS1_3gpuE5ELNS1_3repE0EEENS1_59segmented_radix_sort_warp_sort_small_config_static_selectorELNS0_4arch9wavefront6targetE0EEEvSK_ ; -- Begin function _ZN7rocprim17ROCPRIM_400000_NS6detail17trampoline_kernelINS0_14default_configENS1_36segmented_radix_sort_config_selectorIhlEEZNS1_25segmented_radix_sort_implIS3_Lb0EPKhPhPKlPlN2at6native12_GLOBAL__N_18offset_tEEE10hipError_tPvRmT1_PNSt15iterator_traitsISK_E10value_typeET2_T3_PNSL_ISQ_E10value_typeET4_jRbjT5_SW_jjP12ihipStream_tbEUlT_E1_NS1_11comp_targetILNS1_3genE10ELNS1_11target_archE1201ELNS1_3gpuE5ELNS1_3repE0EEENS1_59segmented_radix_sort_warp_sort_small_config_static_selectorELNS0_4arch9wavefront6targetE0EEEvSK_
	.p2align	8
	.type	_ZN7rocprim17ROCPRIM_400000_NS6detail17trampoline_kernelINS0_14default_configENS1_36segmented_radix_sort_config_selectorIhlEEZNS1_25segmented_radix_sort_implIS3_Lb0EPKhPhPKlPlN2at6native12_GLOBAL__N_18offset_tEEE10hipError_tPvRmT1_PNSt15iterator_traitsISK_E10value_typeET2_T3_PNSL_ISQ_E10value_typeET4_jRbjT5_SW_jjP12ihipStream_tbEUlT_E1_NS1_11comp_targetILNS1_3genE10ELNS1_11target_archE1201ELNS1_3gpuE5ELNS1_3repE0EEENS1_59segmented_radix_sort_warp_sort_small_config_static_selectorELNS0_4arch9wavefront6targetE0EEEvSK_,@function
_ZN7rocprim17ROCPRIM_400000_NS6detail17trampoline_kernelINS0_14default_configENS1_36segmented_radix_sort_config_selectorIhlEEZNS1_25segmented_radix_sort_implIS3_Lb0EPKhPhPKlPlN2at6native12_GLOBAL__N_18offset_tEEE10hipError_tPvRmT1_PNSt15iterator_traitsISK_E10value_typeET2_T3_PNSL_ISQ_E10value_typeET4_jRbjT5_SW_jjP12ihipStream_tbEUlT_E1_NS1_11comp_targetILNS1_3genE10ELNS1_11target_archE1201ELNS1_3gpuE5ELNS1_3repE0EEENS1_59segmented_radix_sort_warp_sort_small_config_static_selectorELNS0_4arch9wavefront6targetE0EEEvSK_: ; @_ZN7rocprim17ROCPRIM_400000_NS6detail17trampoline_kernelINS0_14default_configENS1_36segmented_radix_sort_config_selectorIhlEEZNS1_25segmented_radix_sort_implIS3_Lb0EPKhPhPKlPlN2at6native12_GLOBAL__N_18offset_tEEE10hipError_tPvRmT1_PNSt15iterator_traitsISK_E10value_typeET2_T3_PNSL_ISQ_E10value_typeET4_jRbjT5_SW_jjP12ihipStream_tbEUlT_E1_NS1_11comp_targetILNS1_3genE10ELNS1_11target_archE1201ELNS1_3gpuE5ELNS1_3repE0EEENS1_59segmented_radix_sort_warp_sort_small_config_static_selectorELNS0_4arch9wavefront6targetE0EEEvSK_
; %bb.0:
	.section	.rodata,"a",@progbits
	.p2align	6, 0x0
	.amdhsa_kernel _ZN7rocprim17ROCPRIM_400000_NS6detail17trampoline_kernelINS0_14default_configENS1_36segmented_radix_sort_config_selectorIhlEEZNS1_25segmented_radix_sort_implIS3_Lb0EPKhPhPKlPlN2at6native12_GLOBAL__N_18offset_tEEE10hipError_tPvRmT1_PNSt15iterator_traitsISK_E10value_typeET2_T3_PNSL_ISQ_E10value_typeET4_jRbjT5_SW_jjP12ihipStream_tbEUlT_E1_NS1_11comp_targetILNS1_3genE10ELNS1_11target_archE1201ELNS1_3gpuE5ELNS1_3repE0EEENS1_59segmented_radix_sort_warp_sort_small_config_static_selectorELNS0_4arch9wavefront6targetE0EEEvSK_
		.amdhsa_group_segment_fixed_size 0
		.amdhsa_private_segment_fixed_size 0
		.amdhsa_kernarg_size 88
		.amdhsa_user_sgpr_count 15
		.amdhsa_user_sgpr_dispatch_ptr 0
		.amdhsa_user_sgpr_queue_ptr 0
		.amdhsa_user_sgpr_kernarg_segment_ptr 1
		.amdhsa_user_sgpr_dispatch_id 0
		.amdhsa_user_sgpr_private_segment_size 0
		.amdhsa_wavefront_size32 1
		.amdhsa_uses_dynamic_stack 0
		.amdhsa_enable_private_segment 0
		.amdhsa_system_sgpr_workgroup_id_x 1
		.amdhsa_system_sgpr_workgroup_id_y 0
		.amdhsa_system_sgpr_workgroup_id_z 0
		.amdhsa_system_sgpr_workgroup_info 0
		.amdhsa_system_vgpr_workitem_id 0
		.amdhsa_next_free_vgpr 1
		.amdhsa_next_free_sgpr 1
		.amdhsa_reserve_vcc 0
		.amdhsa_float_round_mode_32 0
		.amdhsa_float_round_mode_16_64 0
		.amdhsa_float_denorm_mode_32 3
		.amdhsa_float_denorm_mode_16_64 3
		.amdhsa_dx10_clamp 1
		.amdhsa_ieee_mode 1
		.amdhsa_fp16_overflow 0
		.amdhsa_workgroup_processor_mode 1
		.amdhsa_memory_ordered 1
		.amdhsa_forward_progress 0
		.amdhsa_shared_vgpr_count 0
		.amdhsa_exception_fp_ieee_invalid_op 0
		.amdhsa_exception_fp_denorm_src 0
		.amdhsa_exception_fp_ieee_div_zero 0
		.amdhsa_exception_fp_ieee_overflow 0
		.amdhsa_exception_fp_ieee_underflow 0
		.amdhsa_exception_fp_ieee_inexact 0
		.amdhsa_exception_int_div_zero 0
	.end_amdhsa_kernel
	.section	.text._ZN7rocprim17ROCPRIM_400000_NS6detail17trampoline_kernelINS0_14default_configENS1_36segmented_radix_sort_config_selectorIhlEEZNS1_25segmented_radix_sort_implIS3_Lb0EPKhPhPKlPlN2at6native12_GLOBAL__N_18offset_tEEE10hipError_tPvRmT1_PNSt15iterator_traitsISK_E10value_typeET2_T3_PNSL_ISQ_E10value_typeET4_jRbjT5_SW_jjP12ihipStream_tbEUlT_E1_NS1_11comp_targetILNS1_3genE10ELNS1_11target_archE1201ELNS1_3gpuE5ELNS1_3repE0EEENS1_59segmented_radix_sort_warp_sort_small_config_static_selectorELNS0_4arch9wavefront6targetE0EEEvSK_,"axG",@progbits,_ZN7rocprim17ROCPRIM_400000_NS6detail17trampoline_kernelINS0_14default_configENS1_36segmented_radix_sort_config_selectorIhlEEZNS1_25segmented_radix_sort_implIS3_Lb0EPKhPhPKlPlN2at6native12_GLOBAL__N_18offset_tEEE10hipError_tPvRmT1_PNSt15iterator_traitsISK_E10value_typeET2_T3_PNSL_ISQ_E10value_typeET4_jRbjT5_SW_jjP12ihipStream_tbEUlT_E1_NS1_11comp_targetILNS1_3genE10ELNS1_11target_archE1201ELNS1_3gpuE5ELNS1_3repE0EEENS1_59segmented_radix_sort_warp_sort_small_config_static_selectorELNS0_4arch9wavefront6targetE0EEEvSK_,comdat
.Lfunc_end211:
	.size	_ZN7rocprim17ROCPRIM_400000_NS6detail17trampoline_kernelINS0_14default_configENS1_36segmented_radix_sort_config_selectorIhlEEZNS1_25segmented_radix_sort_implIS3_Lb0EPKhPhPKlPlN2at6native12_GLOBAL__N_18offset_tEEE10hipError_tPvRmT1_PNSt15iterator_traitsISK_E10value_typeET2_T3_PNSL_ISQ_E10value_typeET4_jRbjT5_SW_jjP12ihipStream_tbEUlT_E1_NS1_11comp_targetILNS1_3genE10ELNS1_11target_archE1201ELNS1_3gpuE5ELNS1_3repE0EEENS1_59segmented_radix_sort_warp_sort_small_config_static_selectorELNS0_4arch9wavefront6targetE0EEEvSK_, .Lfunc_end211-_ZN7rocprim17ROCPRIM_400000_NS6detail17trampoline_kernelINS0_14default_configENS1_36segmented_radix_sort_config_selectorIhlEEZNS1_25segmented_radix_sort_implIS3_Lb0EPKhPhPKlPlN2at6native12_GLOBAL__N_18offset_tEEE10hipError_tPvRmT1_PNSt15iterator_traitsISK_E10value_typeET2_T3_PNSL_ISQ_E10value_typeET4_jRbjT5_SW_jjP12ihipStream_tbEUlT_E1_NS1_11comp_targetILNS1_3genE10ELNS1_11target_archE1201ELNS1_3gpuE5ELNS1_3repE0EEENS1_59segmented_radix_sort_warp_sort_small_config_static_selectorELNS0_4arch9wavefront6targetE0EEEvSK_
                                        ; -- End function
	.section	.AMDGPU.csdata,"",@progbits
; Kernel info:
; codeLenInByte = 0
; NumSgprs: 0
; NumVgprs: 0
; ScratchSize: 0
; MemoryBound: 0
; FloatMode: 240
; IeeeMode: 1
; LDSByteSize: 0 bytes/workgroup (compile time only)
; SGPRBlocks: 0
; VGPRBlocks: 0
; NumSGPRsForWavesPerEU: 1
; NumVGPRsForWavesPerEU: 1
; Occupancy: 16
; WaveLimiterHint : 0
; COMPUTE_PGM_RSRC2:SCRATCH_EN: 0
; COMPUTE_PGM_RSRC2:USER_SGPR: 15
; COMPUTE_PGM_RSRC2:TRAP_HANDLER: 0
; COMPUTE_PGM_RSRC2:TGID_X_EN: 1
; COMPUTE_PGM_RSRC2:TGID_Y_EN: 0
; COMPUTE_PGM_RSRC2:TGID_Z_EN: 0
; COMPUTE_PGM_RSRC2:TIDIG_COMP_CNT: 0
	.section	.text._ZN7rocprim17ROCPRIM_400000_NS6detail17trampoline_kernelINS0_14default_configENS1_36segmented_radix_sort_config_selectorIhlEEZNS1_25segmented_radix_sort_implIS3_Lb0EPKhPhPKlPlN2at6native12_GLOBAL__N_18offset_tEEE10hipError_tPvRmT1_PNSt15iterator_traitsISK_E10value_typeET2_T3_PNSL_ISQ_E10value_typeET4_jRbjT5_SW_jjP12ihipStream_tbEUlT_E1_NS1_11comp_targetILNS1_3genE10ELNS1_11target_archE1200ELNS1_3gpuE4ELNS1_3repE0EEENS1_59segmented_radix_sort_warp_sort_small_config_static_selectorELNS0_4arch9wavefront6targetE0EEEvSK_,"axG",@progbits,_ZN7rocprim17ROCPRIM_400000_NS6detail17trampoline_kernelINS0_14default_configENS1_36segmented_radix_sort_config_selectorIhlEEZNS1_25segmented_radix_sort_implIS3_Lb0EPKhPhPKlPlN2at6native12_GLOBAL__N_18offset_tEEE10hipError_tPvRmT1_PNSt15iterator_traitsISK_E10value_typeET2_T3_PNSL_ISQ_E10value_typeET4_jRbjT5_SW_jjP12ihipStream_tbEUlT_E1_NS1_11comp_targetILNS1_3genE10ELNS1_11target_archE1200ELNS1_3gpuE4ELNS1_3repE0EEENS1_59segmented_radix_sort_warp_sort_small_config_static_selectorELNS0_4arch9wavefront6targetE0EEEvSK_,comdat
	.globl	_ZN7rocprim17ROCPRIM_400000_NS6detail17trampoline_kernelINS0_14default_configENS1_36segmented_radix_sort_config_selectorIhlEEZNS1_25segmented_radix_sort_implIS3_Lb0EPKhPhPKlPlN2at6native12_GLOBAL__N_18offset_tEEE10hipError_tPvRmT1_PNSt15iterator_traitsISK_E10value_typeET2_T3_PNSL_ISQ_E10value_typeET4_jRbjT5_SW_jjP12ihipStream_tbEUlT_E1_NS1_11comp_targetILNS1_3genE10ELNS1_11target_archE1200ELNS1_3gpuE4ELNS1_3repE0EEENS1_59segmented_radix_sort_warp_sort_small_config_static_selectorELNS0_4arch9wavefront6targetE0EEEvSK_ ; -- Begin function _ZN7rocprim17ROCPRIM_400000_NS6detail17trampoline_kernelINS0_14default_configENS1_36segmented_radix_sort_config_selectorIhlEEZNS1_25segmented_radix_sort_implIS3_Lb0EPKhPhPKlPlN2at6native12_GLOBAL__N_18offset_tEEE10hipError_tPvRmT1_PNSt15iterator_traitsISK_E10value_typeET2_T3_PNSL_ISQ_E10value_typeET4_jRbjT5_SW_jjP12ihipStream_tbEUlT_E1_NS1_11comp_targetILNS1_3genE10ELNS1_11target_archE1200ELNS1_3gpuE4ELNS1_3repE0EEENS1_59segmented_radix_sort_warp_sort_small_config_static_selectorELNS0_4arch9wavefront6targetE0EEEvSK_
	.p2align	8
	.type	_ZN7rocprim17ROCPRIM_400000_NS6detail17trampoline_kernelINS0_14default_configENS1_36segmented_radix_sort_config_selectorIhlEEZNS1_25segmented_radix_sort_implIS3_Lb0EPKhPhPKlPlN2at6native12_GLOBAL__N_18offset_tEEE10hipError_tPvRmT1_PNSt15iterator_traitsISK_E10value_typeET2_T3_PNSL_ISQ_E10value_typeET4_jRbjT5_SW_jjP12ihipStream_tbEUlT_E1_NS1_11comp_targetILNS1_3genE10ELNS1_11target_archE1200ELNS1_3gpuE4ELNS1_3repE0EEENS1_59segmented_radix_sort_warp_sort_small_config_static_selectorELNS0_4arch9wavefront6targetE0EEEvSK_,@function
_ZN7rocprim17ROCPRIM_400000_NS6detail17trampoline_kernelINS0_14default_configENS1_36segmented_radix_sort_config_selectorIhlEEZNS1_25segmented_radix_sort_implIS3_Lb0EPKhPhPKlPlN2at6native12_GLOBAL__N_18offset_tEEE10hipError_tPvRmT1_PNSt15iterator_traitsISK_E10value_typeET2_T3_PNSL_ISQ_E10value_typeET4_jRbjT5_SW_jjP12ihipStream_tbEUlT_E1_NS1_11comp_targetILNS1_3genE10ELNS1_11target_archE1200ELNS1_3gpuE4ELNS1_3repE0EEENS1_59segmented_radix_sort_warp_sort_small_config_static_selectorELNS0_4arch9wavefront6targetE0EEEvSK_: ; @_ZN7rocprim17ROCPRIM_400000_NS6detail17trampoline_kernelINS0_14default_configENS1_36segmented_radix_sort_config_selectorIhlEEZNS1_25segmented_radix_sort_implIS3_Lb0EPKhPhPKlPlN2at6native12_GLOBAL__N_18offset_tEEE10hipError_tPvRmT1_PNSt15iterator_traitsISK_E10value_typeET2_T3_PNSL_ISQ_E10value_typeET4_jRbjT5_SW_jjP12ihipStream_tbEUlT_E1_NS1_11comp_targetILNS1_3genE10ELNS1_11target_archE1200ELNS1_3gpuE4ELNS1_3repE0EEENS1_59segmented_radix_sort_warp_sort_small_config_static_selectorELNS0_4arch9wavefront6targetE0EEEvSK_
; %bb.0:
	.section	.rodata,"a",@progbits
	.p2align	6, 0x0
	.amdhsa_kernel _ZN7rocprim17ROCPRIM_400000_NS6detail17trampoline_kernelINS0_14default_configENS1_36segmented_radix_sort_config_selectorIhlEEZNS1_25segmented_radix_sort_implIS3_Lb0EPKhPhPKlPlN2at6native12_GLOBAL__N_18offset_tEEE10hipError_tPvRmT1_PNSt15iterator_traitsISK_E10value_typeET2_T3_PNSL_ISQ_E10value_typeET4_jRbjT5_SW_jjP12ihipStream_tbEUlT_E1_NS1_11comp_targetILNS1_3genE10ELNS1_11target_archE1200ELNS1_3gpuE4ELNS1_3repE0EEENS1_59segmented_radix_sort_warp_sort_small_config_static_selectorELNS0_4arch9wavefront6targetE0EEEvSK_
		.amdhsa_group_segment_fixed_size 0
		.amdhsa_private_segment_fixed_size 0
		.amdhsa_kernarg_size 88
		.amdhsa_user_sgpr_count 15
		.amdhsa_user_sgpr_dispatch_ptr 0
		.amdhsa_user_sgpr_queue_ptr 0
		.amdhsa_user_sgpr_kernarg_segment_ptr 1
		.amdhsa_user_sgpr_dispatch_id 0
		.amdhsa_user_sgpr_private_segment_size 0
		.amdhsa_wavefront_size32 1
		.amdhsa_uses_dynamic_stack 0
		.amdhsa_enable_private_segment 0
		.amdhsa_system_sgpr_workgroup_id_x 1
		.amdhsa_system_sgpr_workgroup_id_y 0
		.amdhsa_system_sgpr_workgroup_id_z 0
		.amdhsa_system_sgpr_workgroup_info 0
		.amdhsa_system_vgpr_workitem_id 0
		.amdhsa_next_free_vgpr 1
		.amdhsa_next_free_sgpr 1
		.amdhsa_reserve_vcc 0
		.amdhsa_float_round_mode_32 0
		.amdhsa_float_round_mode_16_64 0
		.amdhsa_float_denorm_mode_32 3
		.amdhsa_float_denorm_mode_16_64 3
		.amdhsa_dx10_clamp 1
		.amdhsa_ieee_mode 1
		.amdhsa_fp16_overflow 0
		.amdhsa_workgroup_processor_mode 1
		.amdhsa_memory_ordered 1
		.amdhsa_forward_progress 0
		.amdhsa_shared_vgpr_count 0
		.amdhsa_exception_fp_ieee_invalid_op 0
		.amdhsa_exception_fp_denorm_src 0
		.amdhsa_exception_fp_ieee_div_zero 0
		.amdhsa_exception_fp_ieee_overflow 0
		.amdhsa_exception_fp_ieee_underflow 0
		.amdhsa_exception_fp_ieee_inexact 0
		.amdhsa_exception_int_div_zero 0
	.end_amdhsa_kernel
	.section	.text._ZN7rocprim17ROCPRIM_400000_NS6detail17trampoline_kernelINS0_14default_configENS1_36segmented_radix_sort_config_selectorIhlEEZNS1_25segmented_radix_sort_implIS3_Lb0EPKhPhPKlPlN2at6native12_GLOBAL__N_18offset_tEEE10hipError_tPvRmT1_PNSt15iterator_traitsISK_E10value_typeET2_T3_PNSL_ISQ_E10value_typeET4_jRbjT5_SW_jjP12ihipStream_tbEUlT_E1_NS1_11comp_targetILNS1_3genE10ELNS1_11target_archE1200ELNS1_3gpuE4ELNS1_3repE0EEENS1_59segmented_radix_sort_warp_sort_small_config_static_selectorELNS0_4arch9wavefront6targetE0EEEvSK_,"axG",@progbits,_ZN7rocprim17ROCPRIM_400000_NS6detail17trampoline_kernelINS0_14default_configENS1_36segmented_radix_sort_config_selectorIhlEEZNS1_25segmented_radix_sort_implIS3_Lb0EPKhPhPKlPlN2at6native12_GLOBAL__N_18offset_tEEE10hipError_tPvRmT1_PNSt15iterator_traitsISK_E10value_typeET2_T3_PNSL_ISQ_E10value_typeET4_jRbjT5_SW_jjP12ihipStream_tbEUlT_E1_NS1_11comp_targetILNS1_3genE10ELNS1_11target_archE1200ELNS1_3gpuE4ELNS1_3repE0EEENS1_59segmented_radix_sort_warp_sort_small_config_static_selectorELNS0_4arch9wavefront6targetE0EEEvSK_,comdat
.Lfunc_end212:
	.size	_ZN7rocprim17ROCPRIM_400000_NS6detail17trampoline_kernelINS0_14default_configENS1_36segmented_radix_sort_config_selectorIhlEEZNS1_25segmented_radix_sort_implIS3_Lb0EPKhPhPKlPlN2at6native12_GLOBAL__N_18offset_tEEE10hipError_tPvRmT1_PNSt15iterator_traitsISK_E10value_typeET2_T3_PNSL_ISQ_E10value_typeET4_jRbjT5_SW_jjP12ihipStream_tbEUlT_E1_NS1_11comp_targetILNS1_3genE10ELNS1_11target_archE1200ELNS1_3gpuE4ELNS1_3repE0EEENS1_59segmented_radix_sort_warp_sort_small_config_static_selectorELNS0_4arch9wavefront6targetE0EEEvSK_, .Lfunc_end212-_ZN7rocprim17ROCPRIM_400000_NS6detail17trampoline_kernelINS0_14default_configENS1_36segmented_radix_sort_config_selectorIhlEEZNS1_25segmented_radix_sort_implIS3_Lb0EPKhPhPKlPlN2at6native12_GLOBAL__N_18offset_tEEE10hipError_tPvRmT1_PNSt15iterator_traitsISK_E10value_typeET2_T3_PNSL_ISQ_E10value_typeET4_jRbjT5_SW_jjP12ihipStream_tbEUlT_E1_NS1_11comp_targetILNS1_3genE10ELNS1_11target_archE1200ELNS1_3gpuE4ELNS1_3repE0EEENS1_59segmented_radix_sort_warp_sort_small_config_static_selectorELNS0_4arch9wavefront6targetE0EEEvSK_
                                        ; -- End function
	.section	.AMDGPU.csdata,"",@progbits
; Kernel info:
; codeLenInByte = 0
; NumSgprs: 0
; NumVgprs: 0
; ScratchSize: 0
; MemoryBound: 0
; FloatMode: 240
; IeeeMode: 1
; LDSByteSize: 0 bytes/workgroup (compile time only)
; SGPRBlocks: 0
; VGPRBlocks: 0
; NumSGPRsForWavesPerEU: 1
; NumVGPRsForWavesPerEU: 1
; Occupancy: 16
; WaveLimiterHint : 0
; COMPUTE_PGM_RSRC2:SCRATCH_EN: 0
; COMPUTE_PGM_RSRC2:USER_SGPR: 15
; COMPUTE_PGM_RSRC2:TRAP_HANDLER: 0
; COMPUTE_PGM_RSRC2:TGID_X_EN: 1
; COMPUTE_PGM_RSRC2:TGID_Y_EN: 0
; COMPUTE_PGM_RSRC2:TGID_Z_EN: 0
; COMPUTE_PGM_RSRC2:TIDIG_COMP_CNT: 0
	.text
	.p2align	2                               ; -- Begin function _ZN7rocprim17ROCPRIM_400000_NS6detail26segmented_warp_sort_helperINS1_20WarpSortHelperConfigILj8ELj4ELj256EEEhlLi256ELb0EvE4sortIPKhPhPKlPlEEvT_T0_T1_T2_jjjjRNS5_12storage_typeE
	.type	_ZN7rocprim17ROCPRIM_400000_NS6detail26segmented_warp_sort_helperINS1_20WarpSortHelperConfigILj8ELj4ELj256EEEhlLi256ELb0EvE4sortIPKhPhPKlPlEEvT_T0_T1_T2_jjjjRNS5_12storage_typeE,@function
_ZN7rocprim17ROCPRIM_400000_NS6detail26segmented_warp_sort_helperINS1_20WarpSortHelperConfigILj8ELj4ELj256EEEhlLi256ELb0EvE4sortIPKhPhPKlPlEEvT_T0_T1_T2_jjjjRNS5_12storage_typeE: ; @_ZN7rocprim17ROCPRIM_400000_NS6detail26segmented_warp_sort_helperINS1_20WarpSortHelperConfigILj8ELj4ELj256EEEhlLi256ELb0EvE4sortIPKhPhPKlPlEEvT_T0_T1_T2_jjjjRNS5_12storage_typeE
; %bb.0:
	s_waitcnt vmcnt(0) expcnt(0) lgkmcnt(0)
	v_mbcnt_lo_u32_b32 v14, -1, 0
	v_add_co_u32 v0, vcc_lo, v0, v8
	v_add_co_ci_u32_e32 v1, vcc_lo, 0, v1, vcc_lo
	s_delay_alu instid0(VALU_DEP_3) | instskip(SKIP_3) | instid1(VALU_DEP_4)
	v_lshlrev_b32_e32 v28, 2, v14
	v_sub_nc_u32_e32 v14, v9, v8
	v_mov_b32_e32 v9, 0
	v_dual_mov_b32 v33, 0xff :: v_dual_mov_b32 v30, 0xff
	v_dual_mov_b32 v29, 0xff :: v_dual_and_b32 v26, 28, v28
	v_mov_b32_e32 v32, 0xff
	s_delay_alu instid0(VALU_DEP_2)
	v_add_co_u32 v0, vcc_lo, v0, v26
	v_add_co_ci_u32_e32 v1, vcc_lo, 0, v1, vcc_lo
	v_cmp_lt_u32_e32 vcc_lo, v26, v14
	s_and_saveexec_b32 s0, vcc_lo
	s_cbranch_execz .LBB213_2
; %bb.1:
	flat_load_u8 v29, v[0:1]
	v_dual_mov_b32 v30, 0xff :: v_dual_mov_b32 v33, 0xff
	v_mov_b32_e32 v32, 0xff
.LBB213_2:
	s_or_b32 exec_lo, exec_lo, s0
	v_or_b32_e32 v15, 1, v26
	s_delay_alu instid0(VALU_DEP_1) | instskip(NEXT) | instid1(VALU_DEP_1)
	v_cmp_lt_u32_e64 s0, v15, v14
	s_and_saveexec_b32 s1, s0
	s_cbranch_execz .LBB213_4
; %bb.3:
	flat_load_u8 v30, v[0:1] offset:1
.LBB213_4:
	s_or_b32 exec_lo, exec_lo, s1
	v_or_b32_e32 v15, 2, v26
	s_delay_alu instid0(VALU_DEP_1) | instskip(NEXT) | instid1(VALU_DEP_1)
	v_cmp_lt_u32_e64 s1, v15, v14
	s_and_saveexec_b32 s2, s1
	s_cbranch_execz .LBB213_6
; %bb.5:
	flat_load_u8 v32, v[0:1] offset:2
.LBB213_6:
	;; [unrolled: 9-line block ×3, first 2 shown]
	s_or_b32 exec_lo, exec_lo, s3
	v_lshlrev_b64 v[0:1], 3, v[8:9]
	v_lshlrev_b32_e32 v27, 3, v26
	; wave barrier
                                        ; implicit-def: $vgpr14_vgpr15
	s_delay_alu instid0(VALU_DEP_2) | instskip(NEXT) | instid1(VALU_DEP_1)
	v_add_co_u32 v4, s3, v4, v0
	v_add_co_ci_u32_e64 v5, s3, v5, v1, s3
	s_delay_alu instid0(VALU_DEP_2) | instskip(NEXT) | instid1(VALU_DEP_1)
	v_add_co_u32 v4, s3, v4, v27
	v_add_co_ci_u32_e64 v5, s3, 0, v5, s3
	s_and_saveexec_b32 s3, vcc_lo
	s_cbranch_execnz .LBB213_107
; %bb.9:
	s_or_b32 exec_lo, exec_lo, s3
	s_and_saveexec_b32 s3, s0
	s_cbranch_execnz .LBB213_108
.LBB213_10:
	s_or_b32 exec_lo, exec_lo, s3
                                        ; implicit-def: $vgpr18_vgpr19
	s_and_saveexec_b32 s3, s1
	s_cbranch_execnz .LBB213_109
.LBB213_11:
	s_or_b32 exec_lo, exec_lo, s3
	s_and_saveexec_b32 s3, s2
	s_cbranch_execz .LBB213_13
.LBB213_12:
	flat_load_b64 v[20:21], v[4:5] offset:24
.LBB213_13:
	s_or_b32 exec_lo, exec_lo, s3
	v_cmp_ne_u32_e64 s3, 0, v10
	v_cmp_ne_u32_e64 s4, 8, v11
	v_bfe_u32 v5, v31, 10, 10
	v_bfe_u32 v9, v31, 20, 10
	v_and_b32_e32 v4, 0x3ff, v31
	s_delay_alu instid0(VALU_DEP_4) | instskip(NEXT) | instid1(SALU_CYCLE_1)
	s_or_b32 s3, s3, s4
	; wave barrier
	s_and_saveexec_b32 s4, s3
	s_delay_alu instid0(SALU_CYCLE_1)
	s_xor_b32 s14, exec_lo, s4
	s_cbranch_execz .LBB213_55
; %bb.14:
	s_load_b64 s[4:5], s[8:9], 0x0
	v_mov_b32_e32 v22, 0
	v_lshlrev_b32_e64 v10, v10, -1
	s_waitcnt lgkmcnt(0)
	s_cmp_lt_u32 s13, s5
	s_cselect_b32 s3, 14, 20
	s_delay_alu instid0(SALU_CYCLE_1)
	s_add_u32 s6, s8, s3
	s_addc_u32 s7, s9, 0
	s_cmp_lt_u32 s12, s4
	global_load_u16 v23, v22, s[6:7]
	s_cselect_b32 s3, 12, 18
	s_mov_b32 s6, exec_lo
	s_add_u32 s4, s8, s3
	s_addc_u32 s5, s9, 0
	global_load_u16 v22, v22, s[4:5]
	s_waitcnt vmcnt(1)
	v_mad_u32_u24 v5, v9, v23, v5
	v_lshlrev_b32_e64 v9, v11, -1
	s_delay_alu instid0(VALU_DEP_1) | instskip(SKIP_1) | instid1(VALU_DEP_3)
	v_xor_b32_e32 v31, v9, v10
	s_waitcnt vmcnt(0)
	v_mul_lo_u32 v5, v5, v22
	s_delay_alu instid0(VALU_DEP_1) | instskip(NEXT) | instid1(VALU_DEP_1)
	v_add_lshl_u32 v11, v5, v4, 2
	v_cmpx_gt_u32_e32 0x400, v11
	s_cbranch_execz .LBB213_24
; %bb.15:
	v_and_b32_e32 v4, 0xff, v32
	v_lshlrev_b16 v5, 8, v33
	v_lshlrev_b16 v9, 8, v29
	v_and_b32_e32 v10, 0xff, v30
	v_and_b32_e32 v22, 0xff, v29
	v_lshlrev_b16 v23, 8, v30
	v_or_b32_e32 v4, v4, v5
	s_delay_alu instid0(VALU_DEP_4) | instskip(SKIP_1) | instid1(VALU_DEP_4)
	v_or_b32_e32 v5, v10, v9
	v_and_b32_e32 v10, v10, v31
	v_or_b32_e32 v9, v22, v23
	s_delay_alu instid0(VALU_DEP_4) | instskip(SKIP_2) | instid1(VALU_DEP_4)
	v_lshlrev_b32_e32 v4, 16, v4
	v_and_b32_e32 v22, v22, v31
	v_and_b32_e32 v5, 0xffff, v5
	;; [unrolled: 1-line block ×3, first 2 shown]
	s_delay_alu instid0(VALU_DEP_3) | instskip(NEXT) | instid1(VALU_DEP_3)
	v_cmp_gt_u16_e64 s3, v22, v10
	v_or_b32_e32 v5, v5, v4
	s_delay_alu instid0(VALU_DEP_3) | instskip(NEXT) | instid1(VALU_DEP_1)
	v_or_b32_e32 v4, v9, v4
	v_cndmask_b32_e64 v22, v4, v5, s3
	s_delay_alu instid0(VALU_DEP_1) | instskip(SKIP_1) | instid1(VALU_DEP_2)
	v_lshrrev_b32_e32 v23, 16, v22
	v_lshrrev_b32_e32 v10, 24, v22
	v_and_b32_e32 v9, v23, v31
	s_delay_alu instid0(VALU_DEP_2) | instskip(NEXT) | instid1(VALU_DEP_2)
	v_and_b32_e32 v24, v10, v31
	v_and_b32_e32 v4, 0xff, v9
	s_delay_alu instid0(VALU_DEP_1) | instskip(SKIP_1) | instid1(VALU_DEP_2)
	v_cmp_gt_u16_e64 s4, v4, v24
	v_dual_mov_b32 v4, v18 :: v_dual_mov_b32 v5, v19
	s_and_saveexec_b32 s5, s4
; %bb.16:
	v_perm_b32 v22, v22, v22, 0x6070504
	v_dual_mov_b32 v4, v20 :: v_dual_mov_b32 v5, v21
	v_dual_mov_b32 v21, v19 :: v_dual_mov_b32 v20, v18
	v_mov_b32_e32 v9, v24
	v_mov_b32_e32 v23, v10
; %bb.17:
	s_or_b32 exec_lo, exec_lo, s5
	v_lshrrev_b32_e32 v25, 8, v22
	v_cndmask_b32_e64 v19, v17, v15, s3
	v_cndmask_b32_e64 v18, v16, v14, s3
	v_and_b32_e32 v9, 0xff, v9
	s_delay_alu instid0(VALU_DEP_4) | instskip(NEXT) | instid1(VALU_DEP_1)
	v_and_b32_e32 v24, v25, v31
	v_and_b32_e32 v10, 0xff, v24
	s_delay_alu instid0(VALU_DEP_1) | instskip(SKIP_1) | instid1(VALU_DEP_2)
	v_cmp_gt_u16_e64 s4, v10, v9
	v_dual_mov_b32 v9, v18 :: v_dual_mov_b32 v10, v19
	s_and_saveexec_b32 s5, s4
	s_delay_alu instid0(SALU_CYCLE_1)
	s_xor_b32 s4, exec_lo, s5
; %bb.18:
	v_mov_b32_e32 v10, v5
	v_dual_mov_b32 v9, v4 :: v_dual_and_b32 v24, v23, v31
	v_dual_mov_b32 v4, v18 :: v_dual_mov_b32 v25, v23
	v_perm_b32 v22, v22, v23, 0x7050004
	v_mov_b32_e32 v5, v19
; %bb.19:
	s_or_b32 exec_lo, exec_lo, s4
	s_delay_alu instid0(VALU_DEP_2) | instskip(SKIP_3) | instid1(VALU_DEP_3)
	v_and_b32_e32 v18, v22, v31
	v_and_b32_e32 v19, 0xff, v24
	v_perm_b32 v23, v25, v22, 0x3020004
	s_mov_b32 s7, exec_lo
	v_and_b32_e32 v18, 0xff, v18
	s_delay_alu instid0(VALU_DEP_1) | instskip(NEXT) | instid1(VALU_DEP_1)
	v_cmp_gt_u16_e64 s4, v18, v19
	v_cndmask_b32_e64 v29, v22, v23, s4
	v_dual_mov_b32 v23, v5 :: v_dual_mov_b32 v22, v4
	s_delay_alu instid0(VALU_DEP_2) | instskip(SKIP_2) | instid1(VALU_DEP_2)
	v_lshrrev_b32_e32 v32, 16, v29
	v_lshrrev_b32_e32 v19, 24, v29
	;; [unrolled: 1-line block ×3, first 2 shown]
	v_dual_mov_b32 v33, v19 :: v_dual_and_b32 v18, v32, v31
	v_and_b32_e32 v24, v19, v31
	s_delay_alu instid0(VALU_DEP_2) | instskip(NEXT) | instid1(VALU_DEP_1)
	v_and_b32_e32 v25, 0xff, v18
	v_cmpx_gt_u16_e64 v25, v24
; %bb.20:
	v_dual_mov_b32 v33, v32 :: v_dual_mov_b32 v32, v19
	v_dual_mov_b32 v23, v21 :: v_dual_mov_b32 v22, v20
	;; [unrolled: 1-line block ×3, first 2 shown]
	v_mov_b32_e32 v18, v24
; %bb.21:
	s_or_b32 exec_lo, exec_lo, s7
	v_and_b32_e32 v4, v30, v31
	s_delay_alu instid0(VALU_DEP_2) | instskip(SKIP_2) | instid1(VALU_DEP_4)
	v_and_b32_e32 v18, 0xff, v18
	v_cndmask_b32_e64 v5, v15, v17, s3
	v_cndmask_b32_e64 v16, v14, v16, s3
	v_and_b32_e32 v4, 0xff, v4
	s_delay_alu instid0(VALU_DEP_3) | instskip(NEXT) | instid1(VALU_DEP_3)
	v_cndmask_b32_e64 v15, v5, v10, s4
	v_cndmask_b32_e64 v14, v16, v9, s4
	;; [unrolled: 1-line block ×3, first 2 shown]
	s_delay_alu instid0(VALU_DEP_4) | instskip(SKIP_2) | instid1(VALU_DEP_3)
	v_cmp_gt_u16_e64 s3, v4, v18
	v_dual_mov_b32 v18, v22 :: v_dual_mov_b32 v19, v23
	v_cndmask_b32_e64 v16, v9, v16, s4
	s_and_saveexec_b32 s4, s3
; %bb.22:
	v_dual_mov_b32 v4, v30 :: v_dual_mov_b32 v19, v17
	v_swap_b32 v30, v32
	s_delay_alu instid0(VALU_DEP_3)
	v_mov_b32_e32 v18, v16
	v_dual_mov_b32 v16, v22 :: v_dual_mov_b32 v17, v23
; %bb.23:
	s_or_b32 exec_lo, exec_lo, s4
.LBB213_24:
	s_delay_alu instid0(SALU_CYCLE_1)
	s_or_b32 exec_lo, exec_lo, s6
	v_and_b32_e32 v11, 0xffffff80, v11
	v_and_b32_e32 v22, 0xff, v29
	v_lshlrev_b16 v23, 8, v30
	v_and_b32_e32 v24, 0xff, v32
	v_lshlrev_b16 v25, 8, v33
	v_add_co_u32 v9, s3, v12, v11
	s_delay_alu instid0(VALU_DEP_1) | instskip(SKIP_3) | instid1(VALU_DEP_4)
	v_add_co_ci_u32_e64 v10, s3, 0, v13, s3
	v_or_b32_e32 v12, 4, v28
	v_sub_nc_u32_e64 v13, 0x400, v11 clamp
	v_lshlrev_b32_e32 v38, 3, v28
	v_mad_u64_u32 v[4:5], null, v11, 7, v[9:10]
	v_or_b32_e32 v22, v22, v23
	s_delay_alu instid0(VALU_DEP_4)
	v_min_u32_e32 v34, v13, v12
	v_or_b32_e32 v23, v24, v25
	v_and_b32_e32 v24, 4, v28
	v_and_b32_e32 v36, 0x78, v28
	v_add_co_u32 v11, s3, v9, v28
	v_add_nc_u32_e32 v35, 4, v34
	v_add_co_ci_u32_e64 v12, s3, 0, v10, s3
	v_and_b32_e32 v25, 0xffff, v22
	v_lshlrev_b32_e32 v39, 16, v23
	s_delay_alu instid0(VALU_DEP_4) | instskip(SKIP_3) | instid1(VALU_DEP_4)
	v_min_u32_e32 v35, v13, v35
	v_min_u32_e32 v37, v13, v24
	v_sub_nc_u32_e32 v24, v34, v36
	v_add_co_u32 v22, s3, v4, v38
	v_sub_nc_u32_e32 v48, v35, v34
	v_add_co_ci_u32_e64 v23, s3, 0, v5, s3
	v_or_b32_e32 v49, v25, v39
	v_min_u32_e32 v39, v37, v24
	v_add_co_u32 v24, s3, 0x400, v22
	v_sub_nc_u32_e64 v38, v37, v48 clamp
	v_add_co_ci_u32_e64 v25, s3, 0, v23, s3
	s_mov_b32 s4, exec_lo
	s_clause 0x2
	flat_store_b128 v[22:23], v[14:17] offset:1024
	flat_store_b32 v[11:12], v49
	flat_store_b128 v[22:23], v[18:21] offset:1040
	; wave barrier
	v_cmpx_lt_u32_e64 v38, v39
	s_cbranch_execz .LBB213_28
; %bb.25:
	v_add_co_u32 v48, s3, v9, v36
	s_delay_alu instid0(VALU_DEP_1) | instskip(SKIP_1) | instid1(VALU_DEP_1)
	v_add_co_ci_u32_e64 v49, s3, 0, v10, s3
	v_add_co_u32 v50, s3, v9, v34
	v_add_co_ci_u32_e64 v51, s3, 0, v10, s3
	s_mov_b32 s5, 0
	s_set_inst_prefetch_distance 0x1
	.p2align	6
.LBB213_26:                             ; =>This Inner Loop Header: Depth=1
	v_add_nc_u32_e32 v52, v39, v38
	s_delay_alu instid0(VALU_DEP_1) | instskip(NEXT) | instid1(VALU_DEP_1)
	v_lshrrev_b32_e32 v64, 1, v52
	v_xad_u32 v54, v64, -1, v37
	v_add_co_u32 v52, s3, v48, v64
	s_delay_alu instid0(VALU_DEP_1) | instskip(NEXT) | instid1(VALU_DEP_3)
	v_add_co_ci_u32_e64 v53, s3, 0, v49, s3
	v_add_co_u32 v54, s3, v50, v54
	s_delay_alu instid0(VALU_DEP_1)
	v_add_co_ci_u32_e64 v55, s3, 0, v51, s3
	s_clause 0x1
	flat_load_u8 v52, v[52:53]
	flat_load_u8 v53, v[54:55]
	v_add_nc_u32_e32 v54, 1, v64
	s_waitcnt vmcnt(1) lgkmcnt(1)
	v_and_b32_e32 v52, v52, v31
	s_waitcnt vmcnt(0) lgkmcnt(0)
	v_and_b32_e32 v53, v53, v31
	s_delay_alu instid0(VALU_DEP_2) | instskip(NEXT) | instid1(VALU_DEP_2)
	v_and_b32_e32 v52, 0xff, v52
	v_and_b32_e32 v53, 0xff, v53
	s_delay_alu instid0(VALU_DEP_1) | instskip(NEXT) | instid1(VALU_DEP_1)
	v_cmp_gt_u16_e64 s3, v52, v53
	v_cndmask_b32_e64 v39, v39, v64, s3
	v_cndmask_b32_e64 v38, v54, v38, s3
	s_delay_alu instid0(VALU_DEP_1) | instskip(NEXT) | instid1(VALU_DEP_1)
	v_cmp_ge_u32_e64 s3, v38, v39
	s_or_b32 s5, s3, s5
	s_delay_alu instid0(SALU_CYCLE_1)
	s_and_not1_b32 exec_lo, exec_lo, s5
	s_cbranch_execnz .LBB213_26
; %bb.27:
	s_set_inst_prefetch_distance 0x2
	s_or_b32 exec_lo, exec_lo, s5
.LBB213_28:
	s_delay_alu instid0(SALU_CYCLE_1) | instskip(SKIP_2) | instid1(VALU_DEP_2)
	s_or_b32 exec_lo, exec_lo, s4
	v_add_nc_u32_e32 v39, v34, v37
	v_add_nc_u32_e32 v37, v38, v36
	v_sub_nc_u32_e32 v36, v39, v38
	s_delay_alu instid0(VALU_DEP_2) | instskip(NEXT) | instid1(VALU_DEP_2)
	v_cmp_le_u32_e64 s3, v37, v34
	v_cmp_le_u32_e64 s4, v36, v35
	s_delay_alu instid0(VALU_DEP_1) | instskip(NEXT) | instid1(SALU_CYCLE_1)
	s_or_b32 s3, s3, s4
	s_and_saveexec_b32 s15, s3
	s_cbranch_execz .LBB213_34
; %bb.29:
	v_cmp_lt_u32_e64 s3, v37, v34
                                        ; implicit-def: $vgpr29
	s_delay_alu instid0(VALU_DEP_1)
	s_and_saveexec_b32 s5, s3
	s_cbranch_execz .LBB213_31
; %bb.30:
	v_add_co_u32 v14, s4, v9, v37
	s_delay_alu instid0(VALU_DEP_1)
	v_add_co_ci_u32_e64 v15, s4, 0, v10, s4
	flat_load_u8 v29, v[14:15]
.LBB213_31:
	s_or_b32 exec_lo, exec_lo, s5
	v_cmp_ge_u32_e64 s4, v36, v35
	s_mov_b32 s6, exec_lo
                                        ; implicit-def: $vgpr30
	v_cmpx_lt_u32_e64 v36, v35
	s_cbranch_execz .LBB213_33
; %bb.32:
	v_add_co_u32 v14, s5, v9, v36
	s_delay_alu instid0(VALU_DEP_1)
	v_add_co_ci_u32_e64 v15, s5, 0, v10, s5
	flat_load_u8 v30, v[14:15]
.LBB213_33:
	s_or_b32 exec_lo, exec_lo, s6
	s_waitcnt vmcnt(0) lgkmcnt(0)
	v_and_b32_e32 v14, v30, v31
	v_and_b32_e32 v15, v29, v31
	s_delay_alu instid0(VALU_DEP_2) | instskip(NEXT) | instid1(VALU_DEP_2)
	v_and_b32_e32 v14, 0xff, v14
	v_and_b32_e32 v15, 0xff, v15
	s_delay_alu instid0(VALU_DEP_1) | instskip(NEXT) | instid1(VALU_DEP_1)
	v_cmp_le_u16_e64 s5, v15, v14
	s_and_b32 s3, s3, s5
	s_delay_alu instid0(SALU_CYCLE_1) | instskip(NEXT) | instid1(SALU_CYCLE_1)
	s_or_b32 s3, s4, s3
	v_cndmask_b32_e64 v14, v36, v37, s3
	v_cndmask_b32_e64 v15, v35, v34, s3
	s_delay_alu instid0(VALU_DEP_2) | instskip(NEXT) | instid1(VALU_DEP_2)
	v_add_nc_u32_e32 v17, 1, v14
	v_add_nc_u32_e32 v15, -1, v15
	s_delay_alu instid0(VALU_DEP_2) | instskip(NEXT) | instid1(VALU_DEP_2)
	v_cndmask_b32_e64 v20, v37, v17, s3
	v_min_u32_e32 v15, v17, v15
	v_cndmask_b32_e64 v21, v17, v36, s3
	s_delay_alu instid0(VALU_DEP_2) | instskip(NEXT) | instid1(VALU_DEP_1)
	v_add_co_u32 v15, s4, v9, v15
	v_add_co_ci_u32_e64 v16, s4, 0, v10, s4
	v_cmp_lt_u32_e64 s4, v20, v34
	s_delay_alu instid0(VALU_DEP_4)
	v_cmp_ge_u32_e64 s6, v21, v35
	flat_load_u8 v15, v[15:16]
	s_waitcnt vmcnt(0) lgkmcnt(0)
	v_cndmask_b32_e64 v38, v15, v30, s3
	v_cndmask_b32_e64 v39, v29, v15, s3
	;; [unrolled: 1-line block ×3, first 2 shown]
	s_delay_alu instid0(VALU_DEP_3) | instskip(NEXT) | instid1(VALU_DEP_3)
	v_and_b32_e32 v15, v38, v31
	v_and_b32_e32 v16, v39, v31
	s_delay_alu instid0(VALU_DEP_2) | instskip(NEXT) | instid1(VALU_DEP_2)
	v_and_b32_e32 v15, 0xff, v15
	v_and_b32_e32 v16, 0xff, v16
	s_delay_alu instid0(VALU_DEP_1) | instskip(SKIP_1) | instid1(VALU_DEP_2)
	v_cmp_le_u16_e64 s5, v16, v15
	v_mov_b32_e32 v15, 0
	s_and_b32 s4, s4, s5
	s_delay_alu instid0(VALU_DEP_1) | instskip(SKIP_1) | instid1(SALU_CYCLE_1)
	v_lshlrev_b64 v[16:17], 3, v[14:15]
	s_or_b32 s4, s6, s4
	v_cndmask_b32_e64 v14, v21, v20, s4
	v_cndmask_b32_e64 v18, v35, v34, s4
	;; [unrolled: 1-line block ×3, first 2 shown]
	s_delay_alu instid0(VALU_DEP_4) | instskip(NEXT) | instid1(VALU_DEP_4)
	v_add_co_u32 v16, s11, v4, v16
	v_add_nc_u32_e32 v32, 1, v14
	s_delay_alu instid0(VALU_DEP_4) | instskip(SKIP_1) | instid1(VALU_DEP_3)
	v_add_nc_u32_e32 v18, -1, v18
	v_add_co_ci_u32_e64 v17, s11, v5, v17, s11
	v_cndmask_b32_e64 v33, v20, v32, s4
	s_delay_alu instid0(VALU_DEP_3) | instskip(SKIP_1) | instid1(VALU_DEP_2)
	v_min_u32_e32 v18, v32, v18
	v_cndmask_b32_e64 v32, v32, v21, s4
	v_add_co_u32 v18, s5, v9, v18
	s_delay_alu instid0(VALU_DEP_1) | instskip(SKIP_1) | instid1(VALU_DEP_4)
	v_add_co_ci_u32_e64 v19, s5, 0, v10, s5
	v_cmp_lt_u32_e64 s5, v33, v34
	v_cmp_ge_u32_e64 s7, v32, v35
	flat_load_u8 v18, v[18:19]
	s_waitcnt vmcnt(0) lgkmcnt(0)
	v_cndmask_b32_e64 v36, v18, v38, s4
	v_cndmask_b32_e64 v37, v39, v18, s4
	s_delay_alu instid0(VALU_DEP_2) | instskip(NEXT) | instid1(VALU_DEP_2)
	v_and_b32_e32 v18, v36, v31
	v_and_b32_e32 v19, v37, v31
	s_delay_alu instid0(VALU_DEP_2) | instskip(NEXT) | instid1(VALU_DEP_2)
	v_and_b32_e32 v18, 0xff, v18
	v_and_b32_e32 v19, 0xff, v19
	s_delay_alu instid0(VALU_DEP_1) | instskip(SKIP_1) | instid1(VALU_DEP_2)
	v_cmp_le_u16_e64 s6, v19, v18
	v_lshlrev_b64 v[18:19], 3, v[14:15]
	s_and_b32 s5, s5, s6
	s_delay_alu instid0(SALU_CYCLE_1) | instskip(NEXT) | instid1(SALU_CYCLE_1)
	s_or_b32 s5, s7, s5
	v_cndmask_b32_e64 v14, v32, v33, s5
	v_cndmask_b32_e64 v20, v35, v34, s5
	s_delay_alu instid0(VALU_DEP_2) | instskip(NEXT) | instid1(VALU_DEP_2)
	v_add_nc_u32_e32 v48, 1, v14
	v_add_nc_u32_e32 v20, -1, v20
	s_delay_alu instid0(VALU_DEP_2) | instskip(NEXT) | instid1(VALU_DEP_2)
	v_cndmask_b32_e64 v33, v33, v48, s5
	v_min_u32_e32 v20, v48, v20
	v_cndmask_b32_e64 v32, v48, v32, s5
	s_delay_alu instid0(VALU_DEP_3) | instskip(NEXT) | instid1(VALU_DEP_3)
	v_cmp_lt_u32_e64 s7, v33, v34
	v_add_co_u32 v20, s6, v9, v20
	s_delay_alu instid0(VALU_DEP_1) | instskip(NEXT) | instid1(VALU_DEP_4)
	v_add_co_ci_u32_e64 v21, s6, 0, v10, s6
	v_cmp_ge_u32_e64 s6, v32, v35
	flat_load_u8 v20, v[20:21]
	s_waitcnt vmcnt(0) lgkmcnt(0)
	v_cndmask_b32_e64 v49, v20, v36, s5
	v_cndmask_b32_e64 v50, v37, v20, s5
	s_delay_alu instid0(VALU_DEP_2) | instskip(NEXT) | instid1(VALU_DEP_2)
	v_and_b32_e32 v20, v49, v31
	v_and_b32_e32 v21, v50, v31
	s_delay_alu instid0(VALU_DEP_2) | instskip(NEXT) | instid1(VALU_DEP_2)
	v_and_b32_e32 v20, 0xff, v20
	v_and_b32_e32 v21, 0xff, v21
	s_delay_alu instid0(VALU_DEP_1) | instskip(SKIP_1) | instid1(VALU_DEP_2)
	v_cmp_le_u16_e64 s10, v21, v20
	v_lshlrev_b64 v[20:21], 3, v[14:15]
	s_and_b32 s7, s7, s10
	s_delay_alu instid0(SALU_CYCLE_1) | instskip(SKIP_4) | instid1(VALU_DEP_3)
	s_or_b32 s6, s6, s7
	v_add_co_u32 v18, s7, v4, v18
	v_cndmask_b32_e64 v14, v32, v33, s6
	v_add_co_ci_u32_e64 v19, s7, v5, v19, s7
	v_add_co_u32 v20, s7, v4, v20
	v_lshlrev_b64 v[14:15], 3, v[14:15]
	v_add_co_ci_u32_e64 v21, s7, v5, v21, s7
	s_delay_alu instid0(VALU_DEP_2) | instskip(NEXT) | instid1(VALU_DEP_1)
	v_add_co_u32 v32, s7, v4, v14
	v_add_co_ci_u32_e64 v33, s7, v5, v15, s7
	s_clause 0x3
	flat_load_b64 v[14:15], v[16:17] offset:1024
	flat_load_b64 v[16:17], v[18:19] offset:1024
	;; [unrolled: 1-line block ×4, first 2 shown]
	v_cndmask_b32_e64 v32, v36, v37, s5
	v_cndmask_b32_e64 v33, v49, v50, s6
.LBB213_34:
	s_or_b32 exec_lo, exec_lo, s15
	v_and_b32_e32 v36, 0x70, v28
	v_lshlrev_b16 v37, 8, v30
	v_and_b32_e32 v38, 0xff, v29
	v_lshlrev_b16 v39, 8, v33
	v_and_b32_e32 v48, 0xff, v32
	v_or_b32_e32 v34, 8, v36
	v_and_b32_e32 v49, 12, v28
	v_or_b32_e32 v38, v38, v37
	s_mov_b32 s4, exec_lo
	v_or_b32_e32 v39, v48, v39
	v_min_u32_e32 v34, v13, v34
	v_min_u32_e32 v37, v13, v49
	v_and_b32_e32 v50, 0xffff, v38
	s_delay_alu instid0(VALU_DEP_4) | instskip(NEXT) | instid1(VALU_DEP_4)
	v_lshlrev_b32_e32 v51, 16, v39
	v_add_nc_u32_e32 v35, 8, v34
	v_sub_nc_u32_e32 v48, v34, v36
	; wave barrier
	s_delay_alu instid0(VALU_DEP_2) | instskip(NEXT) | instid1(VALU_DEP_2)
	v_min_u32_e32 v35, v13, v35
	v_min_u32_e32 v39, v37, v48
	v_or_b32_e32 v48, v50, v51
	s_waitcnt vmcnt(2) lgkmcnt(2)
	s_clause 0x1
	flat_store_b128 v[22:23], v[14:17] offset:1024
	flat_store_b32 v[11:12], v48
	s_waitcnt vmcnt(0) lgkmcnt(2)
	flat_store_b128 v[24:25], v[18:21] offset:16
	v_sub_nc_u32_e32 v49, v35, v34
	; wave barrier
	s_delay_alu instid0(VALU_DEP_1) | instskip(NEXT) | instid1(VALU_DEP_1)
	v_sub_nc_u32_e64 v38, v37, v49 clamp
	v_cmpx_lt_u32_e64 v38, v39
	s_cbranch_execz .LBB213_38
; %bb.35:
	v_add_co_u32 v48, s3, v9, v36
	s_delay_alu instid0(VALU_DEP_1) | instskip(SKIP_1) | instid1(VALU_DEP_1)
	v_add_co_ci_u32_e64 v49, s3, 0, v10, s3
	v_add_co_u32 v50, s3, v9, v34
	v_add_co_ci_u32_e64 v51, s3, 0, v10, s3
	s_mov_b32 s5, 0
	s_set_inst_prefetch_distance 0x1
	.p2align	6
.LBB213_36:                             ; =>This Inner Loop Header: Depth=1
	v_add_nc_u32_e32 v52, v39, v38
	s_delay_alu instid0(VALU_DEP_1) | instskip(NEXT) | instid1(VALU_DEP_1)
	v_lshrrev_b32_e32 v64, 1, v52
	v_xad_u32 v54, v64, -1, v37
	v_add_co_u32 v52, s3, v48, v64
	s_delay_alu instid0(VALU_DEP_1) | instskip(NEXT) | instid1(VALU_DEP_3)
	v_add_co_ci_u32_e64 v53, s3, 0, v49, s3
	v_add_co_u32 v54, s3, v50, v54
	s_delay_alu instid0(VALU_DEP_1)
	v_add_co_ci_u32_e64 v55, s3, 0, v51, s3
	s_clause 0x1
	flat_load_u8 v52, v[52:53]
	flat_load_u8 v53, v[54:55]
	v_add_nc_u32_e32 v54, 1, v64
	s_waitcnt vmcnt(1) lgkmcnt(1)
	v_and_b32_e32 v52, v52, v31
	s_waitcnt vmcnt(0) lgkmcnt(0)
	v_and_b32_e32 v53, v53, v31
	s_delay_alu instid0(VALU_DEP_2) | instskip(NEXT) | instid1(VALU_DEP_2)
	v_and_b32_e32 v52, 0xff, v52
	v_and_b32_e32 v53, 0xff, v53
	s_delay_alu instid0(VALU_DEP_1) | instskip(NEXT) | instid1(VALU_DEP_1)
	v_cmp_gt_u16_e64 s3, v52, v53
	v_cndmask_b32_e64 v39, v39, v64, s3
	v_cndmask_b32_e64 v38, v54, v38, s3
	s_delay_alu instid0(VALU_DEP_1) | instskip(NEXT) | instid1(VALU_DEP_1)
	v_cmp_ge_u32_e64 s3, v38, v39
	s_or_b32 s5, s3, s5
	s_delay_alu instid0(SALU_CYCLE_1)
	s_and_not1_b32 exec_lo, exec_lo, s5
	s_cbranch_execnz .LBB213_36
; %bb.37:
	s_set_inst_prefetch_distance 0x2
	s_or_b32 exec_lo, exec_lo, s5
.LBB213_38:
	s_delay_alu instid0(SALU_CYCLE_1) | instskip(SKIP_2) | instid1(VALU_DEP_2)
	s_or_b32 exec_lo, exec_lo, s4
	v_add_nc_u32_e32 v39, v34, v37
	v_add_nc_u32_e32 v37, v38, v36
	v_sub_nc_u32_e32 v36, v39, v38
	s_delay_alu instid0(VALU_DEP_2) | instskip(NEXT) | instid1(VALU_DEP_2)
	v_cmp_le_u32_e64 s3, v37, v34
	v_cmp_le_u32_e64 s4, v36, v35
	s_delay_alu instid0(VALU_DEP_1) | instskip(NEXT) | instid1(SALU_CYCLE_1)
	s_or_b32 s3, s3, s4
	s_and_saveexec_b32 s15, s3
	s_cbranch_execz .LBB213_44
; %bb.39:
	v_cmp_lt_u32_e64 s3, v37, v34
                                        ; implicit-def: $vgpr29
	s_delay_alu instid0(VALU_DEP_1)
	s_and_saveexec_b32 s5, s3
	s_cbranch_execz .LBB213_41
; %bb.40:
	v_add_co_u32 v14, s4, v9, v37
	s_delay_alu instid0(VALU_DEP_1)
	v_add_co_ci_u32_e64 v15, s4, 0, v10, s4
	flat_load_u8 v29, v[14:15]
.LBB213_41:
	s_or_b32 exec_lo, exec_lo, s5
	v_cmp_ge_u32_e64 s4, v36, v35
	s_mov_b32 s6, exec_lo
                                        ; implicit-def: $vgpr30
	v_cmpx_lt_u32_e64 v36, v35
	s_cbranch_execz .LBB213_43
; %bb.42:
	v_add_co_u32 v14, s5, v9, v36
	s_delay_alu instid0(VALU_DEP_1)
	v_add_co_ci_u32_e64 v15, s5, 0, v10, s5
	flat_load_u8 v30, v[14:15]
.LBB213_43:
	s_or_b32 exec_lo, exec_lo, s6
	s_waitcnt vmcnt(0) lgkmcnt(0)
	v_and_b32_e32 v14, v30, v31
	v_and_b32_e32 v15, v29, v31
	s_delay_alu instid0(VALU_DEP_2) | instskip(NEXT) | instid1(VALU_DEP_2)
	v_and_b32_e32 v14, 0xff, v14
	v_and_b32_e32 v15, 0xff, v15
	s_delay_alu instid0(VALU_DEP_1) | instskip(NEXT) | instid1(VALU_DEP_1)
	v_cmp_le_u16_e64 s5, v15, v14
	s_and_b32 s3, s3, s5
	s_delay_alu instid0(SALU_CYCLE_1) | instskip(NEXT) | instid1(SALU_CYCLE_1)
	s_or_b32 s3, s4, s3
	v_cndmask_b32_e64 v14, v36, v37, s3
	v_cndmask_b32_e64 v15, v35, v34, s3
	s_delay_alu instid0(VALU_DEP_2) | instskip(NEXT) | instid1(VALU_DEP_2)
	v_add_nc_u32_e32 v17, 1, v14
	v_add_nc_u32_e32 v15, -1, v15
	s_delay_alu instid0(VALU_DEP_2) | instskip(NEXT) | instid1(VALU_DEP_2)
	v_cndmask_b32_e64 v20, v37, v17, s3
	v_min_u32_e32 v15, v17, v15
	v_cndmask_b32_e64 v21, v17, v36, s3
	s_delay_alu instid0(VALU_DEP_2) | instskip(NEXT) | instid1(VALU_DEP_1)
	v_add_co_u32 v15, s4, v9, v15
	v_add_co_ci_u32_e64 v16, s4, 0, v10, s4
	v_cmp_lt_u32_e64 s4, v20, v34
	s_delay_alu instid0(VALU_DEP_4)
	v_cmp_ge_u32_e64 s6, v21, v35
	flat_load_u8 v15, v[15:16]
	s_waitcnt vmcnt(0) lgkmcnt(0)
	v_cndmask_b32_e64 v38, v15, v30, s3
	v_cndmask_b32_e64 v39, v29, v15, s3
	;; [unrolled: 1-line block ×3, first 2 shown]
	s_delay_alu instid0(VALU_DEP_3) | instskip(NEXT) | instid1(VALU_DEP_3)
	v_and_b32_e32 v15, v38, v31
	v_and_b32_e32 v16, v39, v31
	s_delay_alu instid0(VALU_DEP_2) | instskip(NEXT) | instid1(VALU_DEP_2)
	v_and_b32_e32 v15, 0xff, v15
	v_and_b32_e32 v16, 0xff, v16
	s_delay_alu instid0(VALU_DEP_1) | instskip(SKIP_1) | instid1(VALU_DEP_2)
	v_cmp_le_u16_e64 s5, v16, v15
	v_mov_b32_e32 v15, 0
	s_and_b32 s4, s4, s5
	s_delay_alu instid0(VALU_DEP_1) | instskip(SKIP_1) | instid1(SALU_CYCLE_1)
	v_lshlrev_b64 v[16:17], 3, v[14:15]
	s_or_b32 s4, s6, s4
	v_cndmask_b32_e64 v14, v21, v20, s4
	v_cndmask_b32_e64 v18, v35, v34, s4
	;; [unrolled: 1-line block ×3, first 2 shown]
	s_delay_alu instid0(VALU_DEP_4) | instskip(NEXT) | instid1(VALU_DEP_4)
	v_add_co_u32 v16, s11, v4, v16
	v_add_nc_u32_e32 v32, 1, v14
	s_delay_alu instid0(VALU_DEP_4) | instskip(SKIP_1) | instid1(VALU_DEP_3)
	v_add_nc_u32_e32 v18, -1, v18
	v_add_co_ci_u32_e64 v17, s11, v5, v17, s11
	v_cndmask_b32_e64 v33, v20, v32, s4
	s_delay_alu instid0(VALU_DEP_3) | instskip(SKIP_1) | instid1(VALU_DEP_2)
	v_min_u32_e32 v18, v32, v18
	v_cndmask_b32_e64 v32, v32, v21, s4
	v_add_co_u32 v18, s5, v9, v18
	s_delay_alu instid0(VALU_DEP_1) | instskip(SKIP_1) | instid1(VALU_DEP_4)
	v_add_co_ci_u32_e64 v19, s5, 0, v10, s5
	v_cmp_lt_u32_e64 s5, v33, v34
	v_cmp_ge_u32_e64 s7, v32, v35
	flat_load_u8 v18, v[18:19]
	s_waitcnt vmcnt(0) lgkmcnt(0)
	v_cndmask_b32_e64 v36, v18, v38, s4
	v_cndmask_b32_e64 v37, v39, v18, s4
	s_delay_alu instid0(VALU_DEP_2) | instskip(NEXT) | instid1(VALU_DEP_2)
	v_and_b32_e32 v18, v36, v31
	v_and_b32_e32 v19, v37, v31
	s_delay_alu instid0(VALU_DEP_2) | instskip(NEXT) | instid1(VALU_DEP_2)
	v_and_b32_e32 v18, 0xff, v18
	v_and_b32_e32 v19, 0xff, v19
	s_delay_alu instid0(VALU_DEP_1) | instskip(SKIP_1) | instid1(VALU_DEP_2)
	v_cmp_le_u16_e64 s6, v19, v18
	v_lshlrev_b64 v[18:19], 3, v[14:15]
	s_and_b32 s5, s5, s6
	s_delay_alu instid0(SALU_CYCLE_1) | instskip(NEXT) | instid1(SALU_CYCLE_1)
	s_or_b32 s5, s7, s5
	v_cndmask_b32_e64 v14, v32, v33, s5
	v_cndmask_b32_e64 v20, v35, v34, s5
	s_delay_alu instid0(VALU_DEP_2) | instskip(NEXT) | instid1(VALU_DEP_2)
	v_add_nc_u32_e32 v48, 1, v14
	v_add_nc_u32_e32 v20, -1, v20
	s_delay_alu instid0(VALU_DEP_2) | instskip(NEXT) | instid1(VALU_DEP_2)
	v_cndmask_b32_e64 v33, v33, v48, s5
	v_min_u32_e32 v20, v48, v20
	v_cndmask_b32_e64 v32, v48, v32, s5
	s_delay_alu instid0(VALU_DEP_3) | instskip(NEXT) | instid1(VALU_DEP_3)
	v_cmp_lt_u32_e64 s7, v33, v34
	v_add_co_u32 v20, s6, v9, v20
	s_delay_alu instid0(VALU_DEP_1) | instskip(NEXT) | instid1(VALU_DEP_4)
	v_add_co_ci_u32_e64 v21, s6, 0, v10, s6
	v_cmp_ge_u32_e64 s6, v32, v35
	flat_load_u8 v20, v[20:21]
	s_waitcnt vmcnt(0) lgkmcnt(0)
	v_cndmask_b32_e64 v49, v20, v36, s5
	v_cndmask_b32_e64 v50, v37, v20, s5
	s_delay_alu instid0(VALU_DEP_2) | instskip(NEXT) | instid1(VALU_DEP_2)
	v_and_b32_e32 v20, v49, v31
	v_and_b32_e32 v21, v50, v31
	s_delay_alu instid0(VALU_DEP_2) | instskip(NEXT) | instid1(VALU_DEP_2)
	v_and_b32_e32 v20, 0xff, v20
	v_and_b32_e32 v21, 0xff, v21
	s_delay_alu instid0(VALU_DEP_1) | instskip(SKIP_1) | instid1(VALU_DEP_2)
	v_cmp_le_u16_e64 s10, v21, v20
	v_lshlrev_b64 v[20:21], 3, v[14:15]
	s_and_b32 s7, s7, s10
	s_delay_alu instid0(SALU_CYCLE_1) | instskip(SKIP_4) | instid1(VALU_DEP_3)
	s_or_b32 s6, s6, s7
	v_add_co_u32 v18, s7, v4, v18
	v_cndmask_b32_e64 v14, v32, v33, s6
	v_add_co_ci_u32_e64 v19, s7, v5, v19, s7
	v_add_co_u32 v20, s7, v4, v20
	v_lshlrev_b64 v[14:15], 3, v[14:15]
	v_add_co_ci_u32_e64 v21, s7, v5, v21, s7
	s_delay_alu instid0(VALU_DEP_2) | instskip(NEXT) | instid1(VALU_DEP_1)
	v_add_co_u32 v32, s7, v4, v14
	v_add_co_ci_u32_e64 v33, s7, v5, v15, s7
	s_clause 0x3
	flat_load_b64 v[14:15], v[16:17] offset:1024
	flat_load_b64 v[16:17], v[18:19] offset:1024
	;; [unrolled: 1-line block ×4, first 2 shown]
	v_cndmask_b32_e64 v32, v36, v37, s5
	v_cndmask_b32_e64 v33, v49, v50, s6
.LBB213_44:
	s_or_b32 exec_lo, exec_lo, s15
	v_and_b32_e32 v35, 0x60, v28
	v_lshlrev_b16 v36, 8, v30
	v_and_b32_e32 v37, 0xff, v29
	v_lshlrev_b16 v38, 8, v33
	v_and_b32_e32 v39, 0xff, v32
	v_or_b32_e32 v28, 16, v35
	s_mov_b32 s4, exec_lo
	v_or_b32_e32 v36, v37, v36
	s_delay_alu instid0(VALU_DEP_3) | instskip(NEXT) | instid1(VALU_DEP_3)
	v_or_b32_e32 v37, v39, v38
	v_min_u32_e32 v28, v13, v28
	; wave barrier
	s_delay_alu instid0(VALU_DEP_3) | instskip(NEXT) | instid1(VALU_DEP_3)
	v_and_b32_e32 v48, 0xffff, v36
	v_lshlrev_b32_e32 v49, 16, v37
	s_delay_alu instid0(VALU_DEP_3) | instskip(SKIP_1) | instid1(VALU_DEP_2)
	v_add_nc_u32_e32 v34, 16, v28
	v_sub_nc_u32_e32 v38, v28, v35
	v_min_u32_e32 v34, v13, v34
	v_min_u32_e32 v13, v13, v26
	s_delay_alu instid0(VALU_DEP_2) | instskip(NEXT) | instid1(VALU_DEP_2)
	v_sub_nc_u32_e32 v39, v34, v28
	v_min_u32_e32 v37, v13, v38
	v_or_b32_e32 v38, v48, v49
	s_waitcnt vmcnt(2) lgkmcnt(2)
	s_clause 0x1
	flat_store_b128 v[22:23], v[14:17] offset:1024
	flat_store_b32 v[11:12], v38
	s_waitcnt vmcnt(0) lgkmcnt(2)
	flat_store_b128 v[24:25], v[18:21] offset:16
	v_sub_nc_u32_e64 v36, v13, v39 clamp
	; wave barrier
	s_delay_alu instid0(VALU_DEP_1)
	v_cmpx_lt_u32_e64 v36, v37
	s_cbranch_execz .LBB213_48
; %bb.45:
	v_add_co_u32 v11, s3, v9, v35
	s_delay_alu instid0(VALU_DEP_1) | instskip(SKIP_1) | instid1(VALU_DEP_1)
	v_add_co_ci_u32_e64 v12, s3, 0, v10, s3
	v_add_co_u32 v22, s3, v9, v28
	v_add_co_ci_u32_e64 v23, s3, 0, v10, s3
	s_mov_b32 s5, 0
	s_set_inst_prefetch_distance 0x1
	.p2align	6
.LBB213_46:                             ; =>This Inner Loop Header: Depth=1
	v_add_nc_u32_e32 v24, v37, v36
	s_delay_alu instid0(VALU_DEP_1) | instskip(NEXT) | instid1(VALU_DEP_1)
	v_lshrrev_b32_e32 v48, 1, v24
	v_xad_u32 v38, v48, -1, v13
	v_add_co_u32 v24, s3, v11, v48
	s_delay_alu instid0(VALU_DEP_1) | instskip(NEXT) | instid1(VALU_DEP_3)
	v_add_co_ci_u32_e64 v25, s3, 0, v12, s3
	v_add_co_u32 v38, s3, v22, v38
	s_delay_alu instid0(VALU_DEP_1)
	v_add_co_ci_u32_e64 v39, s3, 0, v23, s3
	s_clause 0x1
	flat_load_u8 v24, v[24:25]
	flat_load_u8 v25, v[38:39]
	v_add_nc_u32_e32 v38, 1, v48
	s_waitcnt vmcnt(1) lgkmcnt(1)
	v_and_b32_e32 v24, v24, v31
	s_waitcnt vmcnt(0) lgkmcnt(0)
	v_and_b32_e32 v25, v25, v31
	s_delay_alu instid0(VALU_DEP_2) | instskip(NEXT) | instid1(VALU_DEP_2)
	v_and_b32_e32 v24, 0xff, v24
	v_and_b32_e32 v25, 0xff, v25
	s_delay_alu instid0(VALU_DEP_1) | instskip(NEXT) | instid1(VALU_DEP_1)
	v_cmp_gt_u16_e64 s3, v24, v25
	v_cndmask_b32_e64 v37, v37, v48, s3
	v_cndmask_b32_e64 v36, v38, v36, s3
	s_delay_alu instid0(VALU_DEP_1) | instskip(NEXT) | instid1(VALU_DEP_1)
	v_cmp_ge_u32_e64 s3, v36, v37
	s_or_b32 s5, s3, s5
	s_delay_alu instid0(SALU_CYCLE_1)
	s_and_not1_b32 exec_lo, exec_lo, s5
	s_cbranch_execnz .LBB213_46
; %bb.47:
	s_set_inst_prefetch_distance 0x2
	s_or_b32 exec_lo, exec_lo, s5
.LBB213_48:
	s_delay_alu instid0(SALU_CYCLE_1) | instskip(SKIP_2) | instid1(VALU_DEP_2)
	s_or_b32 exec_lo, exec_lo, s4
	v_add_nc_u32_e32 v11, v28, v13
	v_add_nc_u32_e32 v22, v36, v35
	v_sub_nc_u32_e32 v13, v11, v36
	s_delay_alu instid0(VALU_DEP_2) | instskip(NEXT) | instid1(VALU_DEP_2)
	v_cmp_le_u32_e64 s3, v22, v28
	v_cmp_le_u32_e64 s4, v13, v34
	s_delay_alu instid0(VALU_DEP_1) | instskip(NEXT) | instid1(SALU_CYCLE_1)
	s_or_b32 s3, s3, s4
	s_and_saveexec_b32 s15, s3
	s_cbranch_execz .LBB213_54
; %bb.49:
	v_cmp_lt_u32_e64 s3, v22, v28
                                        ; implicit-def: $vgpr11
	s_delay_alu instid0(VALU_DEP_1)
	s_and_saveexec_b32 s5, s3
	s_cbranch_execz .LBB213_51
; %bb.50:
	v_add_co_u32 v11, s4, v9, v22
	s_delay_alu instid0(VALU_DEP_1)
	v_add_co_ci_u32_e64 v12, s4, 0, v10, s4
	flat_load_u8 v11, v[11:12]
.LBB213_51:
	s_or_b32 exec_lo, exec_lo, s5
	v_cmp_ge_u32_e64 s4, v13, v34
	s_mov_b32 s6, exec_lo
                                        ; implicit-def: $vgpr12
	v_cmpx_lt_u32_e64 v13, v34
	s_cbranch_execz .LBB213_53
; %bb.52:
	v_add_co_u32 v14, s5, v9, v13
	s_delay_alu instid0(VALU_DEP_1)
	v_add_co_ci_u32_e64 v15, s5, 0, v10, s5
	flat_load_u8 v12, v[14:15]
.LBB213_53:
	s_or_b32 exec_lo, exec_lo, s6
	s_waitcnt vmcnt(0) lgkmcnt(0)
	v_and_b32_e32 v14, v12, v31
	v_and_b32_e32 v15, v11, v31
	s_delay_alu instid0(VALU_DEP_2) | instskip(NEXT) | instid1(VALU_DEP_2)
	v_and_b32_e32 v14, 0xff, v14
	v_and_b32_e32 v15, 0xff, v15
	s_delay_alu instid0(VALU_DEP_1) | instskip(NEXT) | instid1(VALU_DEP_1)
	v_cmp_le_u16_e64 s5, v15, v14
	s_and_b32 s3, s3, s5
	s_delay_alu instid0(SALU_CYCLE_1) | instskip(NEXT) | instid1(SALU_CYCLE_1)
	s_or_b32 s3, s4, s3
	v_cndmask_b32_e64 v14, v13, v22, s3
	v_cndmask_b32_e64 v15, v34, v28, s3
	s_delay_alu instid0(VALU_DEP_2) | instskip(NEXT) | instid1(VALU_DEP_2)
	v_add_nc_u32_e32 v17, 1, v14
	v_add_nc_u32_e32 v15, -1, v15
	s_delay_alu instid0(VALU_DEP_2) | instskip(NEXT) | instid1(VALU_DEP_2)
	v_cndmask_b32_e64 v20, v22, v17, s3
	v_min_u32_e32 v15, v17, v15
	v_cndmask_b32_e64 v13, v17, v13, s3
	s_delay_alu instid0(VALU_DEP_2) | instskip(NEXT) | instid1(VALU_DEP_1)
	v_add_co_u32 v15, s4, v9, v15
	v_add_co_ci_u32_e64 v16, s4, 0, v10, s4
	v_cmp_lt_u32_e64 s4, v20, v28
	s_delay_alu instid0(VALU_DEP_4) | instskip(SKIP_4) | instid1(VALU_DEP_2)
	v_cmp_ge_u32_e64 s6, v13, v34
	flat_load_u8 v15, v[15:16]
	s_waitcnt vmcnt(0) lgkmcnt(0)
	v_cndmask_b32_e64 v23, v15, v12, s3
	v_cndmask_b32_e64 v24, v11, v15, s3
	v_and_b32_e32 v15, v23, v31
	s_delay_alu instid0(VALU_DEP_2) | instskip(NEXT) | instid1(VALU_DEP_2)
	v_and_b32_e32 v16, v24, v31
	v_and_b32_e32 v15, 0xff, v15
	s_delay_alu instid0(VALU_DEP_2) | instskip(NEXT) | instid1(VALU_DEP_1)
	v_and_b32_e32 v16, 0xff, v16
	v_cmp_le_u16_e64 s5, v16, v15
	v_mov_b32_e32 v15, 0
	s_delay_alu instid0(VALU_DEP_2) | instskip(NEXT) | instid1(VALU_DEP_1)
	s_and_b32 s4, s4, s5
	v_lshlrev_b64 v[16:17], 3, v[14:15]
	s_or_b32 s4, s6, s4
	s_delay_alu instid0(SALU_CYCLE_1) | instskip(SKIP_2) | instid1(VALU_DEP_3)
	v_cndmask_b32_e64 v14, v13, v20, s4
	v_cndmask_b32_e64 v18, v34, v28, s4
	;; [unrolled: 1-line block ×3, first 2 shown]
	v_add_nc_u32_e32 v21, 1, v14
	s_delay_alu instid0(VALU_DEP_3) | instskip(NEXT) | instid1(VALU_DEP_2)
	v_add_nc_u32_e32 v18, -1, v18
	v_cndmask_b32_e64 v20, v20, v21, s4
	s_delay_alu instid0(VALU_DEP_2) | instskip(SKIP_1) | instid1(VALU_DEP_2)
	v_min_u32_e32 v18, v21, v18
	v_cndmask_b32_e64 v13, v21, v13, s4
	v_add_co_u32 v18, s5, v9, v18
	s_delay_alu instid0(VALU_DEP_1) | instskip(SKIP_1) | instid1(VALU_DEP_4)
	v_add_co_ci_u32_e64 v19, s5, 0, v10, s5
	v_cmp_lt_u32_e64 s5, v20, v28
	v_cmp_ge_u32_e64 s7, v13, v34
	flat_load_u8 v18, v[18:19]
	s_waitcnt vmcnt(0) lgkmcnt(0)
	v_cndmask_b32_e64 v22, v18, v23, s4
	v_cndmask_b32_e64 v25, v24, v18, s4
	s_delay_alu instid0(VALU_DEP_2) | instskip(NEXT) | instid1(VALU_DEP_2)
	v_and_b32_e32 v18, v22, v31
	v_and_b32_e32 v19, v25, v31
	s_delay_alu instid0(VALU_DEP_2) | instskip(NEXT) | instid1(VALU_DEP_2)
	v_and_b32_e32 v18, 0xff, v18
	v_and_b32_e32 v19, 0xff, v19
	s_delay_alu instid0(VALU_DEP_1) | instskip(SKIP_1) | instid1(VALU_DEP_2)
	v_cmp_le_u16_e64 s6, v19, v18
	v_lshlrev_b64 v[18:19], 3, v[14:15]
	s_and_b32 s5, s5, s6
	s_delay_alu instid0(SALU_CYCLE_1) | instskip(NEXT) | instid1(SALU_CYCLE_1)
	s_or_b32 s5, s7, s5
	v_cndmask_b32_e64 v14, v13, v20, s5
	v_cndmask_b32_e64 v21, v34, v28, s5
	;; [unrolled: 1-line block ×3, first 2 shown]
	s_delay_alu instid0(VALU_DEP_3) | instskip(NEXT) | instid1(VALU_DEP_3)
	v_add_nc_u32_e32 v29, 1, v14
	v_add_nc_u32_e32 v21, -1, v21
	s_delay_alu instid0(VALU_DEP_2) | instskip(NEXT) | instid1(VALU_DEP_2)
	v_cndmask_b32_e64 v20, v20, v29, s5
	v_min_u32_e32 v21, v29, v21
	v_cndmask_b32_e64 v13, v29, v13, s5
	v_cndmask_b32_e64 v29, v12, v11, s3
	s_delay_alu instid0(VALU_DEP_4) | instskip(NEXT) | instid1(VALU_DEP_4)
	v_cmp_lt_u32_e64 s7, v20, v28
	v_add_co_u32 v9, s6, v9, v21
	s_delay_alu instid0(VALU_DEP_1)
	v_add_co_ci_u32_e64 v10, s6, 0, v10, s6
	v_cmp_ge_u32_e64 s6, v13, v34
	flat_load_u8 v9, v[9:10]
	s_waitcnt vmcnt(0) lgkmcnt(0)
	v_cndmask_b32_e64 v33, v9, v22, s5
	v_cndmask_b32_e64 v35, v25, v9, s5
	s_delay_alu instid0(VALU_DEP_2) | instskip(NEXT) | instid1(VALU_DEP_2)
	v_and_b32_e32 v9, v33, v31
	v_and_b32_e32 v10, v35, v31
	s_delay_alu instid0(VALU_DEP_2) | instskip(NEXT) | instid1(VALU_DEP_2)
	v_and_b32_e32 v9, 0xff, v9
	v_and_b32_e32 v10, 0xff, v10
	s_delay_alu instid0(VALU_DEP_1) | instskip(SKIP_1) | instid1(VALU_DEP_1)
	v_cmp_le_u16_e64 s10, v10, v9
	v_add_co_u32 v9, s11, v4, v16
	v_add_co_ci_u32_e64 v10, s11, v5, v17, s11
	s_delay_alu instid0(VALU_DEP_3)
	s_and_b32 s7, s7, s10
	v_lshlrev_b64 v[16:17], 3, v[14:15]
	s_or_b32 s6, s6, s7
	v_add_co_u32 v18, s7, v4, v18
	v_cndmask_b32_e64 v14, v13, v20, s6
	v_add_co_ci_u32_e64 v19, s7, v5, v19, s7
	s_delay_alu instid0(VALU_DEP_4) | instskip(NEXT) | instid1(VALU_DEP_3)
	v_add_co_u32 v20, s7, v4, v16
	v_lshlrev_b64 v[13:14], 3, v[14:15]
	v_add_co_ci_u32_e64 v21, s7, v5, v17, s7
	v_cndmask_b32_e64 v33, v33, v35, s6
	s_delay_alu instid0(VALU_DEP_3) | instskip(NEXT) | instid1(VALU_DEP_1)
	v_add_co_u32 v4, s7, v4, v13
	v_add_co_ci_u32_e64 v5, s7, v5, v14, s7
	s_clause 0x3
	flat_load_b64 v[14:15], v[9:10] offset:1024
	flat_load_b64 v[16:17], v[18:19] offset:1024
	;; [unrolled: 1-line block ×4, first 2 shown]
.LBB213_54:
	s_or_b32 exec_lo, exec_lo, s15
	; wave barrier
	s_waitcnt vmcnt(0) lgkmcnt(0)
	s_waitcnt_vscnt null, 0x0
	s_barrier
                                        ; implicit-def: $vgpr28
                                        ; implicit-def: $vgpr12
                                        ; implicit-def: $vgpr13
                                        ; implicit-def: $vgpr5
                                        ; implicit-def: $vgpr9
                                        ; implicit-def: $vgpr4
.LBB213_55:
	s_and_not1_saveexec_b32 s10, s14
	s_cbranch_execz .LBB213_97
; %bb.56:
	s_load_b64 s[4:5], s[8:9], 0x0
	v_mov_b32_e32 v10, 0
	s_waitcnt lgkmcnt(0)
	s_cmp_lt_u32 s13, s5
	s_cselect_b32 s3, 14, 20
	s_delay_alu instid0(SALU_CYCLE_1)
	s_add_u32 s6, s8, s3
	s_addc_u32 s7, s9, 0
	s_cmp_lt_u32 s12, s4
	global_load_u16 v11, v10, s[6:7]
	s_cselect_b32 s3, 12, 18
	s_mov_b32 s6, exec_lo
	s_add_u32 s4, s8, s3
	s_addc_u32 s5, s9, 0
	global_load_u16 v10, v10, s[4:5]
	s_waitcnt vmcnt(1)
	v_mad_u32_u24 v5, v9, v11, v5
	s_waitcnt vmcnt(0)
	s_delay_alu instid0(VALU_DEP_1) | instskip(NEXT) | instid1(VALU_DEP_1)
	v_mul_lo_u32 v5, v5, v10
	v_add_lshl_u32 v11, v5, v4, 2
	s_delay_alu instid0(VALU_DEP_1)
	v_cmpx_gt_u32_e32 0x400, v11
	s_cbranch_execz .LBB213_66
; %bb.57:
	v_and_b32_e32 v4, 0xff, v32
	v_lshlrev_b16 v5, 8, v33
	v_and_b32_e32 v9, 0xff, v30
	v_lshlrev_b16 v10, 8, v29
	;; [unrolled: 2-line block ×3, first 2 shown]
	v_or_b32_e32 v4, v4, v5
	s_delay_alu instid0(VALU_DEP_4) | instskip(NEXT) | instid1(VALU_DEP_4)
	v_or_b32_e32 v5, v9, v10
	v_cmp_gt_u16_e64 s3, v22, v9
	s_delay_alu instid0(VALU_DEP_4) | instskip(NEXT) | instid1(VALU_DEP_4)
	v_or_b32_e32 v10, v22, v23
	v_lshlrev_b32_e32 v4, 16, v4
	s_delay_alu instid0(VALU_DEP_4) | instskip(NEXT) | instid1(VALU_DEP_3)
	v_and_b32_e32 v5, 0xffff, v5
	v_and_b32_e32 v10, 0xffff, v10
	s_delay_alu instid0(VALU_DEP_2) | instskip(NEXT) | instid1(VALU_DEP_2)
	v_or_b32_e32 v5, v5, v4
	v_or_b32_e32 v4, v10, v4
	s_delay_alu instid0(VALU_DEP_1) | instskip(NEXT) | instid1(VALU_DEP_1)
	v_cndmask_b32_e64 v22, v4, v5, s3
	v_lshrrev_b32_e32 v23, 16, v22
	v_lshrrev_b32_e32 v9, 24, v22
	s_delay_alu instid0(VALU_DEP_2) | instskip(NEXT) | instid1(VALU_DEP_1)
	v_and_b32_e32 v4, 0xff, v23
	v_cmp_gt_u16_e64 s4, v4, v9
	v_dual_mov_b32 v4, v18 :: v_dual_mov_b32 v5, v19
	s_delay_alu instid0(VALU_DEP_2)
	s_and_saveexec_b32 s5, s4
; %bb.58:
	v_perm_b32 v22, v22, v22, 0x6070504
	v_dual_mov_b32 v4, v20 :: v_dual_mov_b32 v5, v21
	v_dual_mov_b32 v21, v19 :: v_dual_mov_b32 v20, v18
	v_mov_b32_e32 v23, v9
; %bb.59:
	s_or_b32 exec_lo, exec_lo, s5
	v_lshrrev_b32_e32 v24, 8, v22
	v_cndmask_b32_e64 v19, v17, v15, s3
	v_cndmask_b32_e64 v18, v16, v14, s3
	v_and_b32_e32 v9, 0xff, v23
	s_delay_alu instid0(VALU_DEP_4) | instskip(NEXT) | instid1(VALU_DEP_1)
	v_and_b32_e32 v10, 0xff, v24
	v_cmp_gt_u16_e64 s4, v10, v9
	s_delay_alu instid0(VALU_DEP_4) | instskip(NEXT) | instid1(VALU_DEP_2)
	v_dual_mov_b32 v9, v18 :: v_dual_mov_b32 v10, v19
	s_and_saveexec_b32 s5, s4
	s_delay_alu instid0(SALU_CYCLE_1)
	s_xor_b32 s4, exec_lo, s5
; %bb.60:
	v_perm_b32 v22, v22, v23, 0x7050004
	v_dual_mov_b32 v10, v5 :: v_dual_mov_b32 v9, v4
	v_dual_mov_b32 v4, v18 :: v_dual_mov_b32 v5, v19
	v_mov_b32_e32 v24, v23
; %bb.61:
	s_or_b32 exec_lo, exec_lo, s4
	v_and_b32_e32 v18, 0xff, v22
	s_delay_alu instid0(VALU_DEP_2) | instskip(SKIP_2) | instid1(VALU_DEP_2)
	v_and_b32_e32 v19, 0xff, v24
	v_perm_b32 v23, v24, v22, 0x3020004
	s_mov_b32 s7, exec_lo
	v_cmp_gt_u16_e64 s4, v18, v19
	s_delay_alu instid0(VALU_DEP_1) | instskip(SKIP_1) | instid1(VALU_DEP_2)
	v_cndmask_b32_e64 v29, v22, v23, s4
	v_dual_mov_b32 v23, v5 :: v_dual_mov_b32 v22, v4
	v_lshrrev_b32_e32 v32, 16, v29
	v_lshrrev_b32_e32 v18, 24, v29
	;; [unrolled: 1-line block ×3, first 2 shown]
	s_delay_alu instid0(VALU_DEP_3) | instskip(NEXT) | instid1(VALU_DEP_3)
	v_and_b32_e32 v19, 0xff, v32
	v_mov_b32_e32 v33, v18
	s_delay_alu instid0(VALU_DEP_2)
	v_cmpx_gt_u16_e64 v19, v18
; %bb.62:
	v_dual_mov_b32 v33, v32 :: v_dual_mov_b32 v32, v18
	v_dual_mov_b32 v23, v21 :: v_dual_mov_b32 v22, v20
	;; [unrolled: 1-line block ×3, first 2 shown]
; %bb.63:
	s_or_b32 exec_lo, exec_lo, s7
	v_and_b32_e32 v18, 0xff, v30
	v_and_b32_e32 v19, 0xff, v32
	v_cndmask_b32_e64 v4, v15, v17, s3
	v_cndmask_b32_e64 v5, v14, v16, s3
	s_delay_alu instid0(VALU_DEP_3) | instskip(SKIP_1) | instid1(VALU_DEP_4)
	v_cmp_gt_u16_e64 s3, v18, v19
	v_dual_mov_b32 v18, v22 :: v_dual_mov_b32 v19, v23
	v_cndmask_b32_e64 v15, v4, v10, s4
	s_delay_alu instid0(VALU_DEP_4)
	v_cndmask_b32_e64 v14, v5, v9, s4
	v_cndmask_b32_e64 v17, v10, v4, s4
	;; [unrolled: 1-line block ×3, first 2 shown]
	s_and_saveexec_b32 s4, s3
; %bb.64:
	s_delay_alu instid0(VALU_DEP_2) | instskip(SKIP_1) | instid1(VALU_DEP_3)
	v_dual_mov_b32 v4, v30 :: v_dual_mov_b32 v19, v17
	v_swap_b32 v30, v32
	v_mov_b32_e32 v18, v16
	v_dual_mov_b32 v16, v22 :: v_dual_mov_b32 v17, v23
; %bb.65:
	s_or_b32 exec_lo, exec_lo, s4
.LBB213_66:
	s_delay_alu instid0(SALU_CYCLE_1)
	s_or_b32 exec_lo, exec_lo, s6
	v_and_b32_e32 v11, 0xffffff80, v11
	v_and_b32_e32 v22, 0xff, v29
	v_lshlrev_b16 v23, 8, v30
	v_and_b32_e32 v24, 0xff, v32
	v_lshlrev_b16 v25, 8, v33
	v_add_co_u32 v9, s3, v12, v11
	s_delay_alu instid0(VALU_DEP_1) | instskip(SKIP_3) | instid1(VALU_DEP_4)
	v_add_co_ci_u32_e64 v10, s3, 0, v13, s3
	v_or_b32_e32 v12, 4, v28
	v_sub_nc_u32_e64 v13, 0x400, v11 clamp
	v_lshlrev_b32_e32 v37, 3, v28
	v_mad_u64_u32 v[4:5], null, v11, 7, v[9:10]
	v_or_b32_e32 v22, v22, v23
	s_delay_alu instid0(VALU_DEP_4)
	v_min_u32_e32 v31, v13, v12
	v_or_b32_e32 v23, v24, v25
	v_and_b32_e32 v24, 4, v28
	v_and_b32_e32 v35, 0x78, v28
	v_add_co_u32 v11, s3, v9, v28
	v_add_nc_u32_e32 v34, 4, v31
	v_add_co_ci_u32_e64 v12, s3, 0, v10, s3
	v_and_b32_e32 v25, 0xffff, v22
	v_lshlrev_b32_e32 v38, 16, v23
	s_delay_alu instid0(VALU_DEP_4) | instskip(SKIP_3) | instid1(VALU_DEP_4)
	v_min_u32_e32 v34, v13, v34
	v_min_u32_e32 v36, v13, v24
	v_sub_nc_u32_e32 v24, v31, v35
	v_add_co_u32 v22, s3, v4, v37
	v_sub_nc_u32_e32 v39, v34, v31
	v_add_co_ci_u32_e64 v23, s3, 0, v5, s3
	v_or_b32_e32 v48, v25, v38
	v_min_u32_e32 v38, v36, v24
	v_add_co_u32 v24, s3, 0x400, v22
	v_sub_nc_u32_e64 v37, v36, v39 clamp
	v_add_co_ci_u32_e64 v25, s3, 0, v23, s3
	s_mov_b32 s4, exec_lo
	s_clause 0x2
	flat_store_b128 v[22:23], v[14:17] offset:1024
	flat_store_b32 v[11:12], v48
	flat_store_b128 v[22:23], v[18:21] offset:1040
	; wave barrier
	v_cmpx_lt_u32_e64 v37, v38
	s_cbranch_execz .LBB213_70
; %bb.67:
	v_add_co_u32 v39, s3, v9, v35
	s_delay_alu instid0(VALU_DEP_1) | instskip(SKIP_1) | instid1(VALU_DEP_1)
	v_add_co_ci_u32_e64 v48, s3, 0, v10, s3
	v_add_co_u32 v49, s3, v9, v31
	v_add_co_ci_u32_e64 v50, s3, 0, v10, s3
	s_mov_b32 s5, 0
	.p2align	6
.LBB213_68:                             ; =>This Inner Loop Header: Depth=1
	v_add_nc_u32_e32 v51, v38, v37
	s_delay_alu instid0(VALU_DEP_1) | instskip(NEXT) | instid1(VALU_DEP_1)
	v_lshrrev_b32_e32 v55, 1, v51
	v_xad_u32 v53, v55, -1, v36
	v_add_co_u32 v51, s3, v39, v55
	s_delay_alu instid0(VALU_DEP_1) | instskip(NEXT) | instid1(VALU_DEP_3)
	v_add_co_ci_u32_e64 v52, s3, 0, v48, s3
	v_add_co_u32 v53, s3, v49, v53
	s_delay_alu instid0(VALU_DEP_1)
	v_add_co_ci_u32_e64 v54, s3, 0, v50, s3
	s_clause 0x1
	flat_load_u8 v51, v[51:52]
	flat_load_u8 v52, v[53:54]
	v_add_nc_u32_e32 v53, 1, v55
	s_waitcnt vmcnt(0) lgkmcnt(0)
	v_cmp_gt_u16_e64 s3, v51, v52
	s_delay_alu instid0(VALU_DEP_1) | instskip(NEXT) | instid1(VALU_DEP_3)
	v_cndmask_b32_e64 v38, v38, v55, s3
	v_cndmask_b32_e64 v37, v53, v37, s3
	s_delay_alu instid0(VALU_DEP_1) | instskip(NEXT) | instid1(VALU_DEP_1)
	v_cmp_ge_u32_e64 s3, v37, v38
	s_or_b32 s5, s3, s5
	s_delay_alu instid0(SALU_CYCLE_1)
	s_and_not1_b32 exec_lo, exec_lo, s5
	s_cbranch_execnz .LBB213_68
; %bb.69:
	s_or_b32 exec_lo, exec_lo, s5
.LBB213_70:
	s_delay_alu instid0(SALU_CYCLE_1) | instskip(SKIP_2) | instid1(VALU_DEP_2)
	s_or_b32 exec_lo, exec_lo, s4
	v_add_nc_u32_e32 v38, v31, v36
	v_add_nc_u32_e32 v36, v37, v35
	v_sub_nc_u32_e32 v35, v38, v37
	s_delay_alu instid0(VALU_DEP_2) | instskip(NEXT) | instid1(VALU_DEP_2)
	v_cmp_le_u32_e64 s3, v36, v31
	v_cmp_le_u32_e64 s4, v35, v34
	s_delay_alu instid0(VALU_DEP_1) | instskip(NEXT) | instid1(SALU_CYCLE_1)
	s_or_b32 s3, s3, s4
	s_and_saveexec_b32 s11, s3
	s_cbranch_execz .LBB213_76
; %bb.71:
	v_cmp_lt_u32_e64 s3, v36, v31
                                        ; implicit-def: $vgpr29
	s_delay_alu instid0(VALU_DEP_1)
	s_and_saveexec_b32 s5, s3
	s_cbranch_execz .LBB213_73
; %bb.72:
	v_add_co_u32 v14, s4, v9, v36
	s_delay_alu instid0(VALU_DEP_1)
	v_add_co_ci_u32_e64 v15, s4, 0, v10, s4
	flat_load_u8 v29, v[14:15]
.LBB213_73:
	s_or_b32 exec_lo, exec_lo, s5
	v_cmp_ge_u32_e64 s4, v35, v34
	s_mov_b32 s6, exec_lo
                                        ; implicit-def: $vgpr30
	v_cmpx_lt_u32_e64 v35, v34
	s_cbranch_execz .LBB213_75
; %bb.74:
	v_add_co_u32 v14, s5, v9, v35
	s_delay_alu instid0(VALU_DEP_1)
	v_add_co_ci_u32_e64 v15, s5, 0, v10, s5
	flat_load_u8 v30, v[14:15]
.LBB213_75:
	s_or_b32 exec_lo, exec_lo, s6
	s_waitcnt vmcnt(0) lgkmcnt(0)
	v_and_b32_e32 v14, 0xff, v30
	v_and_b32_e32 v15, 0xff, v29
	s_delay_alu instid0(VALU_DEP_1) | instskip(NEXT) | instid1(VALU_DEP_1)
	v_cmp_le_u16_e64 s5, v15, v14
	s_and_b32 s3, s3, s5
	s_delay_alu instid0(SALU_CYCLE_1) | instskip(NEXT) | instid1(SALU_CYCLE_1)
	s_or_b32 s3, s4, s3
	v_cndmask_b32_e64 v14, v35, v36, s3
	v_cndmask_b32_e64 v15, v34, v31, s3
	s_delay_alu instid0(VALU_DEP_2) | instskip(NEXT) | instid1(VALU_DEP_2)
	v_add_nc_u32_e32 v17, 1, v14
	v_add_nc_u32_e32 v15, -1, v15
	s_delay_alu instid0(VALU_DEP_2) | instskip(NEXT) | instid1(VALU_DEP_2)
	v_cndmask_b32_e64 v20, v36, v17, s3
	v_min_u32_e32 v15, v17, v15
	v_cndmask_b32_e64 v21, v17, v35, s3
	s_delay_alu instid0(VALU_DEP_2) | instskip(NEXT) | instid1(VALU_DEP_1)
	v_add_co_u32 v15, s4, v9, v15
	v_add_co_ci_u32_e64 v16, s4, 0, v10, s4
	v_cmp_lt_u32_e64 s4, v20, v31
	s_delay_alu instid0(VALU_DEP_4)
	v_cmp_ge_u32_e64 s6, v21, v34
	flat_load_u8 v15, v[15:16]
	s_waitcnt vmcnt(0) lgkmcnt(0)
	v_cndmask_b32_e64 v33, v15, v30, s3
	v_cndmask_b32_e64 v37, v29, v15, s3
	;; [unrolled: 1-line block ×3, first 2 shown]
	s_delay_alu instid0(VALU_DEP_3) | instskip(NEXT) | instid1(VALU_DEP_3)
	v_and_b32_e32 v15, 0xff, v33
	v_and_b32_e32 v16, 0xff, v37
	s_delay_alu instid0(VALU_DEP_1) | instskip(SKIP_1) | instid1(VALU_DEP_2)
	v_cmp_le_u16_e64 s5, v16, v15
	v_mov_b32_e32 v15, 0
	s_and_b32 s4, s4, s5
	s_delay_alu instid0(VALU_DEP_1) | instskip(SKIP_1) | instid1(SALU_CYCLE_1)
	v_lshlrev_b64 v[16:17], 3, v[14:15]
	s_or_b32 s4, s6, s4
	v_cndmask_b32_e64 v14, v21, v20, s4
	v_cndmask_b32_e64 v18, v34, v31, s4
	;; [unrolled: 1-line block ×3, first 2 shown]
	s_delay_alu instid0(VALU_DEP_4) | instskip(NEXT) | instid1(VALU_DEP_4)
	v_add_co_u32 v16, s9, v4, v16
	v_add_nc_u32_e32 v32, 1, v14
	s_delay_alu instid0(VALU_DEP_4) | instskip(SKIP_1) | instid1(VALU_DEP_3)
	v_add_nc_u32_e32 v18, -1, v18
	v_add_co_ci_u32_e64 v17, s9, v5, v17, s9
	v_cndmask_b32_e64 v38, v20, v32, s4
	s_delay_alu instid0(VALU_DEP_3) | instskip(SKIP_1) | instid1(VALU_DEP_2)
	v_min_u32_e32 v18, v32, v18
	v_cndmask_b32_e64 v32, v32, v21, s4
	v_add_co_u32 v18, s5, v9, v18
	s_delay_alu instid0(VALU_DEP_1) | instskip(SKIP_1) | instid1(VALU_DEP_4)
	v_add_co_ci_u32_e64 v19, s5, 0, v10, s5
	v_cmp_lt_u32_e64 s5, v38, v31
	v_cmp_ge_u32_e64 s7, v32, v34
	flat_load_u8 v18, v[18:19]
	s_waitcnt vmcnt(0) lgkmcnt(0)
	v_cndmask_b32_e64 v35, v18, v33, s4
	v_cndmask_b32_e64 v36, v37, v18, s4
	s_delay_alu instid0(VALU_DEP_2) | instskip(NEXT) | instid1(VALU_DEP_2)
	v_and_b32_e32 v18, 0xff, v35
	v_and_b32_e32 v19, 0xff, v36
	s_delay_alu instid0(VALU_DEP_1) | instskip(SKIP_1) | instid1(VALU_DEP_2)
	v_cmp_le_u16_e64 s6, v19, v18
	v_lshlrev_b64 v[18:19], 3, v[14:15]
	s_and_b32 s5, s5, s6
	s_delay_alu instid0(SALU_CYCLE_1) | instskip(NEXT) | instid1(SALU_CYCLE_1)
	s_or_b32 s5, s7, s5
	v_cndmask_b32_e64 v14, v32, v38, s5
	v_cndmask_b32_e64 v20, v34, v31, s5
	s_delay_alu instid0(VALU_DEP_2) | instskip(NEXT) | instid1(VALU_DEP_2)
	v_add_nc_u32_e32 v39, 1, v14
	v_add_nc_u32_e32 v20, -1, v20
	s_delay_alu instid0(VALU_DEP_2) | instskip(NEXT) | instid1(VALU_DEP_2)
	v_cndmask_b32_e64 v38, v38, v39, s5
	v_min_u32_e32 v20, v39, v20
	v_cndmask_b32_e64 v32, v39, v32, s5
	s_delay_alu instid0(VALU_DEP_3) | instskip(NEXT) | instid1(VALU_DEP_3)
	v_cmp_lt_u32_e64 s7, v38, v31
	v_add_co_u32 v20, s6, v9, v20
	s_delay_alu instid0(VALU_DEP_1) | instskip(NEXT) | instid1(VALU_DEP_4)
	v_add_co_ci_u32_e64 v21, s6, 0, v10, s6
	v_cmp_ge_u32_e64 s6, v32, v34
	flat_load_u8 v20, v[20:21]
	s_waitcnt vmcnt(0) lgkmcnt(0)
	v_cndmask_b32_e64 v48, v20, v35, s5
	v_cndmask_b32_e64 v49, v36, v20, s5
	s_delay_alu instid0(VALU_DEP_2) | instskip(NEXT) | instid1(VALU_DEP_2)
	v_and_b32_e32 v20, 0xff, v48
	v_and_b32_e32 v21, 0xff, v49
	s_delay_alu instid0(VALU_DEP_1) | instskip(SKIP_1) | instid1(VALU_DEP_2)
	v_cmp_le_u16_e64 s8, v21, v20
	v_lshlrev_b64 v[20:21], 3, v[14:15]
	s_and_b32 s7, s7, s8
	s_delay_alu instid0(SALU_CYCLE_1) | instskip(SKIP_4) | instid1(VALU_DEP_3)
	s_or_b32 s6, s6, s7
	v_add_co_u32 v18, s7, v4, v18
	v_cndmask_b32_e64 v14, v32, v38, s6
	v_add_co_ci_u32_e64 v19, s7, v5, v19, s7
	v_add_co_u32 v20, s7, v4, v20
	v_lshlrev_b64 v[14:15], 3, v[14:15]
	v_add_co_ci_u32_e64 v21, s7, v5, v21, s7
	v_cndmask_b32_e64 v33, v48, v49, s6
	s_delay_alu instid0(VALU_DEP_3) | instskip(NEXT) | instid1(VALU_DEP_1)
	v_add_co_u32 v31, s7, v4, v14
	v_add_co_ci_u32_e64 v32, s7, v5, v15, s7
	s_clause 0x3
	flat_load_b64 v[14:15], v[16:17] offset:1024
	flat_load_b64 v[16:17], v[18:19] offset:1024
	;; [unrolled: 1-line block ×4, first 2 shown]
	v_cndmask_b32_e64 v32, v35, v36, s5
.LBB213_76:
	s_or_b32 exec_lo, exec_lo, s11
	v_and_b32_e32 v35, 0x70, v28
	v_lshlrev_b16 v36, 8, v30
	v_and_b32_e32 v37, 0xff, v29
	v_lshlrev_b16 v38, 8, v33
	v_and_b32_e32 v39, 0xff, v32
	v_or_b32_e32 v31, 8, v35
	v_and_b32_e32 v48, 12, v28
	v_or_b32_e32 v37, v37, v36
	s_mov_b32 s4, exec_lo
	v_or_b32_e32 v38, v39, v38
	v_min_u32_e32 v31, v13, v31
	v_min_u32_e32 v36, v13, v48
	v_and_b32_e32 v49, 0xffff, v37
	s_delay_alu instid0(VALU_DEP_4) | instskip(NEXT) | instid1(VALU_DEP_4)
	v_lshlrev_b32_e32 v50, 16, v38
	v_add_nc_u32_e32 v34, 8, v31
	v_sub_nc_u32_e32 v39, v31, v35
	; wave barrier
	s_delay_alu instid0(VALU_DEP_2) | instskip(NEXT) | instid1(VALU_DEP_2)
	v_min_u32_e32 v34, v13, v34
	v_min_u32_e32 v38, v36, v39
	v_or_b32_e32 v39, v49, v50
	s_waitcnt vmcnt(2) lgkmcnt(2)
	s_clause 0x1
	flat_store_b128 v[22:23], v[14:17] offset:1024
	flat_store_b32 v[11:12], v39
	s_waitcnt vmcnt(0) lgkmcnt(2)
	flat_store_b128 v[24:25], v[18:21] offset:16
	v_sub_nc_u32_e32 v48, v34, v31
	; wave barrier
	s_delay_alu instid0(VALU_DEP_1) | instskip(NEXT) | instid1(VALU_DEP_1)
	v_sub_nc_u32_e64 v37, v36, v48 clamp
	v_cmpx_lt_u32_e64 v37, v38
	s_cbranch_execz .LBB213_80
; %bb.77:
	v_add_co_u32 v39, s3, v9, v35
	s_delay_alu instid0(VALU_DEP_1) | instskip(SKIP_1) | instid1(VALU_DEP_1)
	v_add_co_ci_u32_e64 v48, s3, 0, v10, s3
	v_add_co_u32 v49, s3, v9, v31
	v_add_co_ci_u32_e64 v50, s3, 0, v10, s3
	s_mov_b32 s5, 0
	.p2align	6
.LBB213_78:                             ; =>This Inner Loop Header: Depth=1
	v_add_nc_u32_e32 v51, v38, v37
	s_delay_alu instid0(VALU_DEP_1) | instskip(NEXT) | instid1(VALU_DEP_1)
	v_lshrrev_b32_e32 v55, 1, v51
	v_xad_u32 v53, v55, -1, v36
	v_add_co_u32 v51, s3, v39, v55
	s_delay_alu instid0(VALU_DEP_1) | instskip(NEXT) | instid1(VALU_DEP_3)
	v_add_co_ci_u32_e64 v52, s3, 0, v48, s3
	v_add_co_u32 v53, s3, v49, v53
	s_delay_alu instid0(VALU_DEP_1)
	v_add_co_ci_u32_e64 v54, s3, 0, v50, s3
	s_clause 0x1
	flat_load_u8 v51, v[51:52]
	flat_load_u8 v52, v[53:54]
	v_add_nc_u32_e32 v53, 1, v55
	s_waitcnt vmcnt(0) lgkmcnt(0)
	v_cmp_gt_u16_e64 s3, v51, v52
	s_delay_alu instid0(VALU_DEP_1) | instskip(NEXT) | instid1(VALU_DEP_3)
	v_cndmask_b32_e64 v38, v38, v55, s3
	v_cndmask_b32_e64 v37, v53, v37, s3
	s_delay_alu instid0(VALU_DEP_1) | instskip(NEXT) | instid1(VALU_DEP_1)
	v_cmp_ge_u32_e64 s3, v37, v38
	s_or_b32 s5, s3, s5
	s_delay_alu instid0(SALU_CYCLE_1)
	s_and_not1_b32 exec_lo, exec_lo, s5
	s_cbranch_execnz .LBB213_78
; %bb.79:
	s_or_b32 exec_lo, exec_lo, s5
.LBB213_80:
	s_delay_alu instid0(SALU_CYCLE_1) | instskip(SKIP_2) | instid1(VALU_DEP_2)
	s_or_b32 exec_lo, exec_lo, s4
	v_add_nc_u32_e32 v38, v31, v36
	v_add_nc_u32_e32 v36, v37, v35
	v_sub_nc_u32_e32 v35, v38, v37
	s_delay_alu instid0(VALU_DEP_2) | instskip(NEXT) | instid1(VALU_DEP_2)
	v_cmp_le_u32_e64 s3, v36, v31
	v_cmp_le_u32_e64 s4, v35, v34
	s_delay_alu instid0(VALU_DEP_1) | instskip(NEXT) | instid1(SALU_CYCLE_1)
	s_or_b32 s3, s3, s4
	s_and_saveexec_b32 s11, s3
	s_cbranch_execz .LBB213_86
; %bb.81:
	v_cmp_lt_u32_e64 s3, v36, v31
                                        ; implicit-def: $vgpr29
	s_delay_alu instid0(VALU_DEP_1)
	s_and_saveexec_b32 s5, s3
	s_cbranch_execz .LBB213_83
; %bb.82:
	v_add_co_u32 v14, s4, v9, v36
	s_delay_alu instid0(VALU_DEP_1)
	v_add_co_ci_u32_e64 v15, s4, 0, v10, s4
	flat_load_u8 v29, v[14:15]
.LBB213_83:
	s_or_b32 exec_lo, exec_lo, s5
	v_cmp_ge_u32_e64 s4, v35, v34
	s_mov_b32 s6, exec_lo
                                        ; implicit-def: $vgpr30
	v_cmpx_lt_u32_e64 v35, v34
	s_cbranch_execz .LBB213_85
; %bb.84:
	v_add_co_u32 v14, s5, v9, v35
	s_delay_alu instid0(VALU_DEP_1)
	v_add_co_ci_u32_e64 v15, s5, 0, v10, s5
	flat_load_u8 v30, v[14:15]
.LBB213_85:
	s_or_b32 exec_lo, exec_lo, s6
	s_waitcnt vmcnt(0) lgkmcnt(0)
	v_and_b32_e32 v14, 0xff, v30
	v_and_b32_e32 v15, 0xff, v29
	s_delay_alu instid0(VALU_DEP_1) | instskip(NEXT) | instid1(VALU_DEP_1)
	v_cmp_le_u16_e64 s5, v15, v14
	s_and_b32 s3, s3, s5
	s_delay_alu instid0(SALU_CYCLE_1) | instskip(NEXT) | instid1(SALU_CYCLE_1)
	s_or_b32 s3, s4, s3
	v_cndmask_b32_e64 v14, v35, v36, s3
	v_cndmask_b32_e64 v15, v34, v31, s3
	s_delay_alu instid0(VALU_DEP_2) | instskip(NEXT) | instid1(VALU_DEP_2)
	v_add_nc_u32_e32 v17, 1, v14
	v_add_nc_u32_e32 v15, -1, v15
	s_delay_alu instid0(VALU_DEP_2) | instskip(NEXT) | instid1(VALU_DEP_2)
	v_cndmask_b32_e64 v20, v36, v17, s3
	v_min_u32_e32 v15, v17, v15
	v_cndmask_b32_e64 v21, v17, v35, s3
	s_delay_alu instid0(VALU_DEP_2) | instskip(NEXT) | instid1(VALU_DEP_1)
	v_add_co_u32 v15, s4, v9, v15
	v_add_co_ci_u32_e64 v16, s4, 0, v10, s4
	v_cmp_lt_u32_e64 s4, v20, v31
	s_delay_alu instid0(VALU_DEP_4)
	v_cmp_ge_u32_e64 s6, v21, v34
	flat_load_u8 v15, v[15:16]
	s_waitcnt vmcnt(0) lgkmcnt(0)
	v_cndmask_b32_e64 v33, v15, v30, s3
	v_cndmask_b32_e64 v37, v29, v15, s3
	;; [unrolled: 1-line block ×3, first 2 shown]
	s_delay_alu instid0(VALU_DEP_3) | instskip(NEXT) | instid1(VALU_DEP_3)
	v_and_b32_e32 v15, 0xff, v33
	v_and_b32_e32 v16, 0xff, v37
	s_delay_alu instid0(VALU_DEP_1) | instskip(SKIP_1) | instid1(VALU_DEP_2)
	v_cmp_le_u16_e64 s5, v16, v15
	v_mov_b32_e32 v15, 0
	s_and_b32 s4, s4, s5
	s_delay_alu instid0(VALU_DEP_1) | instskip(SKIP_1) | instid1(SALU_CYCLE_1)
	v_lshlrev_b64 v[16:17], 3, v[14:15]
	s_or_b32 s4, s6, s4
	v_cndmask_b32_e64 v14, v21, v20, s4
	v_cndmask_b32_e64 v18, v34, v31, s4
	;; [unrolled: 1-line block ×3, first 2 shown]
	s_delay_alu instid0(VALU_DEP_4) | instskip(NEXT) | instid1(VALU_DEP_4)
	v_add_co_u32 v16, s9, v4, v16
	v_add_nc_u32_e32 v32, 1, v14
	s_delay_alu instid0(VALU_DEP_4) | instskip(SKIP_1) | instid1(VALU_DEP_3)
	v_add_nc_u32_e32 v18, -1, v18
	v_add_co_ci_u32_e64 v17, s9, v5, v17, s9
	v_cndmask_b32_e64 v38, v20, v32, s4
	s_delay_alu instid0(VALU_DEP_3) | instskip(SKIP_1) | instid1(VALU_DEP_2)
	v_min_u32_e32 v18, v32, v18
	v_cndmask_b32_e64 v32, v32, v21, s4
	v_add_co_u32 v18, s5, v9, v18
	s_delay_alu instid0(VALU_DEP_1) | instskip(SKIP_1) | instid1(VALU_DEP_4)
	v_add_co_ci_u32_e64 v19, s5, 0, v10, s5
	v_cmp_lt_u32_e64 s5, v38, v31
	v_cmp_ge_u32_e64 s7, v32, v34
	flat_load_u8 v18, v[18:19]
	s_waitcnt vmcnt(0) lgkmcnt(0)
	v_cndmask_b32_e64 v35, v18, v33, s4
	v_cndmask_b32_e64 v36, v37, v18, s4
	s_delay_alu instid0(VALU_DEP_2) | instskip(NEXT) | instid1(VALU_DEP_2)
	v_and_b32_e32 v18, 0xff, v35
	v_and_b32_e32 v19, 0xff, v36
	s_delay_alu instid0(VALU_DEP_1) | instskip(SKIP_1) | instid1(VALU_DEP_2)
	v_cmp_le_u16_e64 s6, v19, v18
	v_lshlrev_b64 v[18:19], 3, v[14:15]
	s_and_b32 s5, s5, s6
	s_delay_alu instid0(SALU_CYCLE_1) | instskip(NEXT) | instid1(SALU_CYCLE_1)
	s_or_b32 s5, s7, s5
	v_cndmask_b32_e64 v14, v32, v38, s5
	v_cndmask_b32_e64 v20, v34, v31, s5
	s_delay_alu instid0(VALU_DEP_2) | instskip(NEXT) | instid1(VALU_DEP_2)
	v_add_nc_u32_e32 v39, 1, v14
	v_add_nc_u32_e32 v20, -1, v20
	s_delay_alu instid0(VALU_DEP_2) | instskip(NEXT) | instid1(VALU_DEP_2)
	v_cndmask_b32_e64 v38, v38, v39, s5
	v_min_u32_e32 v20, v39, v20
	v_cndmask_b32_e64 v32, v39, v32, s5
	s_delay_alu instid0(VALU_DEP_3) | instskip(NEXT) | instid1(VALU_DEP_3)
	v_cmp_lt_u32_e64 s7, v38, v31
	v_add_co_u32 v20, s6, v9, v20
	s_delay_alu instid0(VALU_DEP_1) | instskip(NEXT) | instid1(VALU_DEP_4)
	v_add_co_ci_u32_e64 v21, s6, 0, v10, s6
	v_cmp_ge_u32_e64 s6, v32, v34
	flat_load_u8 v20, v[20:21]
	s_waitcnt vmcnt(0) lgkmcnt(0)
	v_cndmask_b32_e64 v48, v20, v35, s5
	v_cndmask_b32_e64 v49, v36, v20, s5
	s_delay_alu instid0(VALU_DEP_2) | instskip(NEXT) | instid1(VALU_DEP_2)
	v_and_b32_e32 v20, 0xff, v48
	v_and_b32_e32 v21, 0xff, v49
	s_delay_alu instid0(VALU_DEP_1) | instskip(SKIP_1) | instid1(VALU_DEP_2)
	v_cmp_le_u16_e64 s8, v21, v20
	v_lshlrev_b64 v[20:21], 3, v[14:15]
	s_and_b32 s7, s7, s8
	s_delay_alu instid0(SALU_CYCLE_1) | instskip(SKIP_4) | instid1(VALU_DEP_3)
	s_or_b32 s6, s6, s7
	v_add_co_u32 v18, s7, v4, v18
	v_cndmask_b32_e64 v14, v32, v38, s6
	v_add_co_ci_u32_e64 v19, s7, v5, v19, s7
	v_add_co_u32 v20, s7, v4, v20
	v_lshlrev_b64 v[14:15], 3, v[14:15]
	v_add_co_ci_u32_e64 v21, s7, v5, v21, s7
	v_cndmask_b32_e64 v33, v48, v49, s6
	s_delay_alu instid0(VALU_DEP_3) | instskip(NEXT) | instid1(VALU_DEP_1)
	v_add_co_u32 v31, s7, v4, v14
	v_add_co_ci_u32_e64 v32, s7, v5, v15, s7
	s_clause 0x3
	flat_load_b64 v[14:15], v[16:17] offset:1024
	flat_load_b64 v[16:17], v[18:19] offset:1024
	;; [unrolled: 1-line block ×4, first 2 shown]
	v_cndmask_b32_e64 v32, v35, v36, s5
.LBB213_86:
	s_or_b32 exec_lo, exec_lo, s11
	v_and_b32_e32 v34, 0x60, v28
	v_lshlrev_b16 v35, 8, v30
	v_and_b32_e32 v36, 0xff, v29
	v_lshlrev_b16 v37, 8, v33
	v_and_b32_e32 v38, 0xff, v32
	v_or_b32_e32 v28, 16, v34
	s_mov_b32 s4, exec_lo
	v_or_b32_e32 v35, v36, v35
	s_delay_alu instid0(VALU_DEP_3) | instskip(NEXT) | instid1(VALU_DEP_3)
	v_or_b32_e32 v36, v38, v37
	v_min_u32_e32 v28, v13, v28
	; wave barrier
	s_delay_alu instid0(VALU_DEP_3) | instskip(NEXT) | instid1(VALU_DEP_3)
	v_and_b32_e32 v39, 0xffff, v35
	v_lshlrev_b32_e32 v48, 16, v36
	s_delay_alu instid0(VALU_DEP_3) | instskip(SKIP_1) | instid1(VALU_DEP_2)
	v_add_nc_u32_e32 v31, 16, v28
	v_sub_nc_u32_e32 v37, v28, v34
	v_min_u32_e32 v31, v13, v31
	v_min_u32_e32 v13, v13, v26
	s_delay_alu instid0(VALU_DEP_2) | instskip(NEXT) | instid1(VALU_DEP_2)
	v_sub_nc_u32_e32 v38, v31, v28
	v_min_u32_e32 v36, v13, v37
	v_or_b32_e32 v37, v39, v48
	s_waitcnt vmcnt(2) lgkmcnt(2)
	s_clause 0x1
	flat_store_b128 v[22:23], v[14:17] offset:1024
	flat_store_b32 v[11:12], v37
	s_waitcnt vmcnt(0) lgkmcnt(2)
	flat_store_b128 v[24:25], v[18:21] offset:16
	v_sub_nc_u32_e64 v35, v13, v38 clamp
	; wave barrier
	s_delay_alu instid0(VALU_DEP_1)
	v_cmpx_lt_u32_e64 v35, v36
	s_cbranch_execz .LBB213_90
; %bb.87:
	v_add_co_u32 v11, s3, v9, v34
	s_delay_alu instid0(VALU_DEP_1) | instskip(SKIP_1) | instid1(VALU_DEP_1)
	v_add_co_ci_u32_e64 v12, s3, 0, v10, s3
	v_add_co_u32 v22, s3, v9, v28
	v_add_co_ci_u32_e64 v23, s3, 0, v10, s3
	s_mov_b32 s5, 0
	.p2align	6
.LBB213_88:                             ; =>This Inner Loop Header: Depth=1
	v_add_nc_u32_e32 v24, v36, v35
	s_delay_alu instid0(VALU_DEP_1) | instskip(NEXT) | instid1(VALU_DEP_1)
	v_lshrrev_b32_e32 v39, 1, v24
	v_xad_u32 v37, v39, -1, v13
	v_add_co_u32 v24, s3, v11, v39
	s_delay_alu instid0(VALU_DEP_1) | instskip(NEXT) | instid1(VALU_DEP_3)
	v_add_co_ci_u32_e64 v25, s3, 0, v12, s3
	v_add_co_u32 v37, s3, v22, v37
	s_delay_alu instid0(VALU_DEP_1)
	v_add_co_ci_u32_e64 v38, s3, 0, v23, s3
	s_clause 0x1
	flat_load_u8 v24, v[24:25]
	flat_load_u8 v25, v[37:38]
	v_add_nc_u32_e32 v37, 1, v39
	s_waitcnt vmcnt(0) lgkmcnt(0)
	v_cmp_gt_u16_e64 s3, v24, v25
	s_delay_alu instid0(VALU_DEP_1) | instskip(NEXT) | instid1(VALU_DEP_3)
	v_cndmask_b32_e64 v36, v36, v39, s3
	v_cndmask_b32_e64 v35, v37, v35, s3
	s_delay_alu instid0(VALU_DEP_1) | instskip(NEXT) | instid1(VALU_DEP_1)
	v_cmp_ge_u32_e64 s3, v35, v36
	s_or_b32 s5, s3, s5
	s_delay_alu instid0(SALU_CYCLE_1)
	s_and_not1_b32 exec_lo, exec_lo, s5
	s_cbranch_execnz .LBB213_88
; %bb.89:
	s_or_b32 exec_lo, exec_lo, s5
.LBB213_90:
	s_delay_alu instid0(SALU_CYCLE_1) | instskip(SKIP_2) | instid1(VALU_DEP_2)
	s_or_b32 exec_lo, exec_lo, s4
	v_add_nc_u32_e32 v11, v28, v13
	v_add_nc_u32_e32 v22, v35, v34
	v_sub_nc_u32_e32 v13, v11, v35
	s_delay_alu instid0(VALU_DEP_2) | instskip(NEXT) | instid1(VALU_DEP_2)
	v_cmp_le_u32_e64 s3, v22, v28
	v_cmp_le_u32_e64 s4, v13, v31
	s_delay_alu instid0(VALU_DEP_1) | instskip(NEXT) | instid1(SALU_CYCLE_1)
	s_or_b32 s3, s3, s4
	s_and_saveexec_b32 s11, s3
	s_cbranch_execz .LBB213_96
; %bb.91:
	v_cmp_lt_u32_e64 s3, v22, v28
                                        ; implicit-def: $vgpr11
	s_delay_alu instid0(VALU_DEP_1)
	s_and_saveexec_b32 s5, s3
	s_cbranch_execz .LBB213_93
; %bb.92:
	v_add_co_u32 v11, s4, v9, v22
	s_delay_alu instid0(VALU_DEP_1)
	v_add_co_ci_u32_e64 v12, s4, 0, v10, s4
	flat_load_u8 v11, v[11:12]
.LBB213_93:
	s_or_b32 exec_lo, exec_lo, s5
	v_cmp_ge_u32_e64 s4, v13, v31
	s_mov_b32 s6, exec_lo
                                        ; implicit-def: $vgpr12
	v_cmpx_lt_u32_e64 v13, v31
	s_cbranch_execz .LBB213_95
; %bb.94:
	v_add_co_u32 v14, s5, v9, v13
	s_delay_alu instid0(VALU_DEP_1)
	v_add_co_ci_u32_e64 v15, s5, 0, v10, s5
	flat_load_u8 v12, v[14:15]
.LBB213_95:
	s_or_b32 exec_lo, exec_lo, s6
	s_waitcnt vmcnt(0) lgkmcnt(0)
	v_and_b32_e32 v14, 0xff, v12
	v_and_b32_e32 v15, 0xff, v11
	s_delay_alu instid0(VALU_DEP_1) | instskip(NEXT) | instid1(VALU_DEP_1)
	v_cmp_le_u16_e64 s5, v15, v14
	s_and_b32 s3, s3, s5
	s_delay_alu instid0(SALU_CYCLE_1) | instskip(NEXT) | instid1(SALU_CYCLE_1)
	s_or_b32 s3, s4, s3
	v_cndmask_b32_e64 v14, v13, v22, s3
	v_cndmask_b32_e64 v15, v31, v28, s3
	s_delay_alu instid0(VALU_DEP_2) | instskip(NEXT) | instid1(VALU_DEP_2)
	v_add_nc_u32_e32 v17, 1, v14
	v_add_nc_u32_e32 v15, -1, v15
	s_delay_alu instid0(VALU_DEP_2) | instskip(NEXT) | instid1(VALU_DEP_2)
	v_cndmask_b32_e64 v20, v22, v17, s3
	v_min_u32_e32 v15, v17, v15
	v_cndmask_b32_e64 v13, v17, v13, s3
	s_delay_alu instid0(VALU_DEP_2) | instskip(NEXT) | instid1(VALU_DEP_1)
	v_add_co_u32 v15, s4, v9, v15
	v_add_co_ci_u32_e64 v16, s4, 0, v10, s4
	v_cmp_lt_u32_e64 s4, v20, v28
	s_delay_alu instid0(VALU_DEP_4) | instskip(SKIP_4) | instid1(VALU_DEP_2)
	v_cmp_ge_u32_e64 s6, v13, v31
	flat_load_u8 v15, v[15:16]
	s_waitcnt vmcnt(0) lgkmcnt(0)
	v_cndmask_b32_e64 v23, v15, v12, s3
	v_cndmask_b32_e64 v24, v11, v15, s3
	v_and_b32_e32 v15, 0xff, v23
	s_delay_alu instid0(VALU_DEP_2) | instskip(NEXT) | instid1(VALU_DEP_1)
	v_and_b32_e32 v16, 0xff, v24
	v_cmp_le_u16_e64 s5, v16, v15
	v_mov_b32_e32 v15, 0
	s_delay_alu instid0(VALU_DEP_2) | instskip(NEXT) | instid1(VALU_DEP_1)
	s_and_b32 s4, s4, s5
	v_lshlrev_b64 v[16:17], 3, v[14:15]
	s_or_b32 s4, s6, s4
	s_delay_alu instid0(SALU_CYCLE_1) | instskip(SKIP_2) | instid1(VALU_DEP_3)
	v_cndmask_b32_e64 v14, v13, v20, s4
	v_cndmask_b32_e64 v18, v31, v28, s4
	v_cndmask_b32_e64 v30, v23, v24, s4
	v_add_nc_u32_e32 v21, 1, v14
	s_delay_alu instid0(VALU_DEP_3) | instskip(NEXT) | instid1(VALU_DEP_2)
	v_add_nc_u32_e32 v18, -1, v18
	v_cndmask_b32_e64 v20, v20, v21, s4
	s_delay_alu instid0(VALU_DEP_2) | instskip(SKIP_1) | instid1(VALU_DEP_2)
	v_min_u32_e32 v18, v21, v18
	v_cndmask_b32_e64 v13, v21, v13, s4
	v_add_co_u32 v18, s5, v9, v18
	s_delay_alu instid0(VALU_DEP_1) | instskip(SKIP_1) | instid1(VALU_DEP_4)
	v_add_co_ci_u32_e64 v19, s5, 0, v10, s5
	v_cmp_lt_u32_e64 s5, v20, v28
	v_cmp_ge_u32_e64 s7, v13, v31
	flat_load_u8 v18, v[18:19]
	s_waitcnt vmcnt(0) lgkmcnt(0)
	v_cndmask_b32_e64 v22, v18, v23, s4
	v_cndmask_b32_e64 v25, v24, v18, s4
	s_delay_alu instid0(VALU_DEP_2) | instskip(NEXT) | instid1(VALU_DEP_2)
	v_and_b32_e32 v18, 0xff, v22
	v_and_b32_e32 v19, 0xff, v25
	s_delay_alu instid0(VALU_DEP_1) | instskip(SKIP_1) | instid1(VALU_DEP_2)
	v_cmp_le_u16_e64 s6, v19, v18
	v_lshlrev_b64 v[18:19], 3, v[14:15]
	s_and_b32 s5, s5, s6
	s_delay_alu instid0(SALU_CYCLE_1) | instskip(NEXT) | instid1(SALU_CYCLE_1)
	s_or_b32 s5, s7, s5
	v_cndmask_b32_e64 v14, v13, v20, s5
	v_cndmask_b32_e64 v21, v31, v28, s5
	;; [unrolled: 1-line block ×3, first 2 shown]
	s_delay_alu instid0(VALU_DEP_3) | instskip(NEXT) | instid1(VALU_DEP_3)
	v_add_nc_u32_e32 v29, 1, v14
	v_add_nc_u32_e32 v21, -1, v21
	s_delay_alu instid0(VALU_DEP_2) | instskip(NEXT) | instid1(VALU_DEP_2)
	v_cndmask_b32_e64 v20, v20, v29, s5
	v_min_u32_e32 v21, v29, v21
	v_cndmask_b32_e64 v13, v29, v13, s5
	v_cndmask_b32_e64 v29, v12, v11, s3
	s_delay_alu instid0(VALU_DEP_4) | instskip(NEXT) | instid1(VALU_DEP_4)
	v_cmp_lt_u32_e64 s7, v20, v28
	v_add_co_u32 v9, s6, v9, v21
	s_delay_alu instid0(VALU_DEP_1)
	v_add_co_ci_u32_e64 v10, s6, 0, v10, s6
	v_cmp_ge_u32_e64 s6, v13, v31
	flat_load_u8 v9, v[9:10]
	s_waitcnt vmcnt(0) lgkmcnt(0)
	v_cndmask_b32_e64 v33, v9, v22, s5
	v_cndmask_b32_e64 v34, v25, v9, s5
	s_delay_alu instid0(VALU_DEP_2) | instskip(NEXT) | instid1(VALU_DEP_2)
	v_and_b32_e32 v9, 0xff, v33
	v_and_b32_e32 v10, 0xff, v34
	s_delay_alu instid0(VALU_DEP_1) | instskip(SKIP_1) | instid1(VALU_DEP_1)
	v_cmp_le_u16_e64 s8, v10, v9
	v_add_co_u32 v9, s9, v4, v16
	v_add_co_ci_u32_e64 v10, s9, v5, v17, s9
	s_delay_alu instid0(VALU_DEP_3)
	s_and_b32 s7, s7, s8
	v_lshlrev_b64 v[16:17], 3, v[14:15]
	s_or_b32 s6, s6, s7
	v_add_co_u32 v18, s7, v4, v18
	v_cndmask_b32_e64 v14, v13, v20, s6
	v_add_co_ci_u32_e64 v19, s7, v5, v19, s7
	s_delay_alu instid0(VALU_DEP_4) | instskip(NEXT) | instid1(VALU_DEP_3)
	v_add_co_u32 v20, s7, v4, v16
	v_lshlrev_b64 v[13:14], 3, v[14:15]
	v_add_co_ci_u32_e64 v21, s7, v5, v17, s7
	v_cndmask_b32_e64 v33, v33, v34, s6
	s_delay_alu instid0(VALU_DEP_3) | instskip(NEXT) | instid1(VALU_DEP_1)
	v_add_co_u32 v4, s7, v4, v13
	v_add_co_ci_u32_e64 v5, s7, v5, v14, s7
	s_clause 0x3
	flat_load_b64 v[14:15], v[9:10] offset:1024
	flat_load_b64 v[16:17], v[18:19] offset:1024
	;; [unrolled: 1-line block ×4, first 2 shown]
.LBB213_96:
	s_or_b32 exec_lo, exec_lo, s11
	; wave barrier
	s_waitcnt vmcnt(0) lgkmcnt(0)
	s_waitcnt_vscnt null, 0x0
	s_barrier
.LBB213_97:
	s_or_b32 exec_lo, exec_lo, s10
	v_add_co_u32 v2, s3, v2, v8
	s_delay_alu instid0(VALU_DEP_1) | instskip(SKIP_4) | instid1(VALU_DEP_1)
	v_add_co_ci_u32_e64 v3, s3, 0, v3, s3
	s_waitcnt vmcnt(0) lgkmcnt(0)
	s_waitcnt_vscnt null, 0x0
	buffer_gl0_inv
	v_add_co_u32 v2, s3, v2, v26
	v_add_co_ci_u32_e64 v3, s3, 0, v3, s3
	; wave barrier
	s_and_saveexec_b32 s3, vcc_lo
	s_cbranch_execnz .LBB213_110
; %bb.98:
	s_or_b32 exec_lo, exec_lo, s3
	s_and_saveexec_b32 s3, s0
	s_cbranch_execnz .LBB213_111
.LBB213_99:
	s_or_b32 exec_lo, exec_lo, s3
	s_and_saveexec_b32 s3, s1
	s_cbranch_execnz .LBB213_112
.LBB213_100:
	s_or_b32 exec_lo, exec_lo, s3
	s_and_saveexec_b32 s3, s2
	s_cbranch_execz .LBB213_102
.LBB213_101:
	flat_store_b8 v[2:3], v33 offset:3
.LBB213_102:
	s_or_b32 exec_lo, exec_lo, s3
	v_add_co_u32 v0, s3, v6, v0
	s_delay_alu instid0(VALU_DEP_1) | instskip(NEXT) | instid1(VALU_DEP_2)
	v_add_co_ci_u32_e64 v1, s3, v7, v1, s3
	v_add_co_u32 v0, s3, v0, v27
	s_delay_alu instid0(VALU_DEP_1)
	v_add_co_ci_u32_e64 v1, s3, 0, v1, s3
	; wave barrier
	s_and_saveexec_b32 s3, vcc_lo
	s_cbranch_execnz .LBB213_113
; %bb.103:
	s_or_b32 exec_lo, exec_lo, s3
	s_and_saveexec_b32 s3, s0
	s_cbranch_execnz .LBB213_114
.LBB213_104:
	s_or_b32 exec_lo, exec_lo, s3
	s_and_saveexec_b32 s0, s1
	s_cbranch_execnz .LBB213_115
.LBB213_105:
	s_or_b32 exec_lo, exec_lo, s0
	s_and_saveexec_b32 s0, s2
	s_cbranch_execnz .LBB213_116
.LBB213_106:
	s_or_b32 exec_lo, exec_lo, s0
	s_waitcnt lgkmcnt(0)
	s_setpc_b64 s[30:31]
.LBB213_107:
	flat_load_b64 v[14:15], v[4:5]
	s_or_b32 exec_lo, exec_lo, s3
	s_and_saveexec_b32 s3, s0
	s_cbranch_execz .LBB213_10
.LBB213_108:
	flat_load_b64 v[16:17], v[4:5] offset:8
	s_or_b32 exec_lo, exec_lo, s3
                                        ; implicit-def: $vgpr18_vgpr19
	s_and_saveexec_b32 s3, s1
	s_cbranch_execz .LBB213_11
.LBB213_109:
	flat_load_b64 v[18:19], v[4:5] offset:16
	s_or_b32 exec_lo, exec_lo, s3
	s_and_saveexec_b32 s3, s2
	s_cbranch_execnz .LBB213_12
	s_branch .LBB213_13
.LBB213_110:
	flat_store_b8 v[2:3], v29
	s_or_b32 exec_lo, exec_lo, s3
	s_and_saveexec_b32 s3, s0
	s_cbranch_execz .LBB213_99
.LBB213_111:
	flat_store_b8 v[2:3], v30 offset:1
	s_or_b32 exec_lo, exec_lo, s3
	s_and_saveexec_b32 s3, s1
	s_cbranch_execz .LBB213_100
.LBB213_112:
	flat_store_b8 v[2:3], v32 offset:2
	s_or_b32 exec_lo, exec_lo, s3
	s_and_saveexec_b32 s3, s2
	s_cbranch_execnz .LBB213_101
	s_branch .LBB213_102
.LBB213_113:
	flat_store_b64 v[0:1], v[14:15]
	s_or_b32 exec_lo, exec_lo, s3
	s_and_saveexec_b32 s3, s0
	s_cbranch_execz .LBB213_104
.LBB213_114:
	flat_store_b64 v[0:1], v[16:17] offset:8
	s_or_b32 exec_lo, exec_lo, s3
	s_and_saveexec_b32 s0, s1
	s_cbranch_execz .LBB213_105
.LBB213_115:
	flat_store_b64 v[0:1], v[18:19] offset:16
	s_or_b32 exec_lo, exec_lo, s0
	s_and_saveexec_b32 s0, s2
	s_cbranch_execz .LBB213_106
.LBB213_116:
	flat_store_b64 v[0:1], v[20:21] offset:24
	s_or_b32 exec_lo, exec_lo, s0
	s_waitcnt lgkmcnt(0)
	s_setpc_b64 s[30:31]
.Lfunc_end213:
	.size	_ZN7rocprim17ROCPRIM_400000_NS6detail26segmented_warp_sort_helperINS1_20WarpSortHelperConfigILj8ELj4ELj256EEEhlLi256ELb0EvE4sortIPKhPhPKlPlEEvT_T0_T1_T2_jjjjRNS5_12storage_typeE, .Lfunc_end213-_ZN7rocprim17ROCPRIM_400000_NS6detail26segmented_warp_sort_helperINS1_20WarpSortHelperConfigILj8ELj4ELj256EEEhlLi256ELb0EvE4sortIPKhPhPKlPlEEvT_T0_T1_T2_jjjjRNS5_12storage_typeE
                                        ; -- End function
	.section	.AMDGPU.csdata,"",@progbits
; Function info:
; codeLenInByte = 10252
; NumSgprs: 34
; NumVgprs: 65
; ScratchSize: 0
; MemoryBound: 0
	.section	.text._ZN7rocprim17ROCPRIM_400000_NS6detail17trampoline_kernelINS0_14default_configENS1_36segmented_radix_sort_config_selectorIhlEEZNS1_25segmented_radix_sort_implIS3_Lb0EPKhPhPKlPlN2at6native12_GLOBAL__N_18offset_tEEE10hipError_tPvRmT1_PNSt15iterator_traitsISK_E10value_typeET2_T3_PNSL_ISQ_E10value_typeET4_jRbjT5_SW_jjP12ihipStream_tbEUlT_E1_NS1_11comp_targetILNS1_3genE9ELNS1_11target_archE1100ELNS1_3gpuE3ELNS1_3repE0EEENS1_59segmented_radix_sort_warp_sort_small_config_static_selectorELNS0_4arch9wavefront6targetE0EEEvSK_,"axG",@progbits,_ZN7rocprim17ROCPRIM_400000_NS6detail17trampoline_kernelINS0_14default_configENS1_36segmented_radix_sort_config_selectorIhlEEZNS1_25segmented_radix_sort_implIS3_Lb0EPKhPhPKlPlN2at6native12_GLOBAL__N_18offset_tEEE10hipError_tPvRmT1_PNSt15iterator_traitsISK_E10value_typeET2_T3_PNSL_ISQ_E10value_typeET4_jRbjT5_SW_jjP12ihipStream_tbEUlT_E1_NS1_11comp_targetILNS1_3genE9ELNS1_11target_archE1100ELNS1_3gpuE3ELNS1_3repE0EEENS1_59segmented_radix_sort_warp_sort_small_config_static_selectorELNS0_4arch9wavefront6targetE0EEEvSK_,comdat
	.globl	_ZN7rocprim17ROCPRIM_400000_NS6detail17trampoline_kernelINS0_14default_configENS1_36segmented_radix_sort_config_selectorIhlEEZNS1_25segmented_radix_sort_implIS3_Lb0EPKhPhPKlPlN2at6native12_GLOBAL__N_18offset_tEEE10hipError_tPvRmT1_PNSt15iterator_traitsISK_E10value_typeET2_T3_PNSL_ISQ_E10value_typeET4_jRbjT5_SW_jjP12ihipStream_tbEUlT_E1_NS1_11comp_targetILNS1_3genE9ELNS1_11target_archE1100ELNS1_3gpuE3ELNS1_3repE0EEENS1_59segmented_radix_sort_warp_sort_small_config_static_selectorELNS0_4arch9wavefront6targetE0EEEvSK_ ; -- Begin function _ZN7rocprim17ROCPRIM_400000_NS6detail17trampoline_kernelINS0_14default_configENS1_36segmented_radix_sort_config_selectorIhlEEZNS1_25segmented_radix_sort_implIS3_Lb0EPKhPhPKlPlN2at6native12_GLOBAL__N_18offset_tEEE10hipError_tPvRmT1_PNSt15iterator_traitsISK_E10value_typeET2_T3_PNSL_ISQ_E10value_typeET4_jRbjT5_SW_jjP12ihipStream_tbEUlT_E1_NS1_11comp_targetILNS1_3genE9ELNS1_11target_archE1100ELNS1_3gpuE3ELNS1_3repE0EEENS1_59segmented_radix_sort_warp_sort_small_config_static_selectorELNS0_4arch9wavefront6targetE0EEEvSK_
	.p2align	8
	.type	_ZN7rocprim17ROCPRIM_400000_NS6detail17trampoline_kernelINS0_14default_configENS1_36segmented_radix_sort_config_selectorIhlEEZNS1_25segmented_radix_sort_implIS3_Lb0EPKhPhPKlPlN2at6native12_GLOBAL__N_18offset_tEEE10hipError_tPvRmT1_PNSt15iterator_traitsISK_E10value_typeET2_T3_PNSL_ISQ_E10value_typeET4_jRbjT5_SW_jjP12ihipStream_tbEUlT_E1_NS1_11comp_targetILNS1_3genE9ELNS1_11target_archE1100ELNS1_3gpuE3ELNS1_3repE0EEENS1_59segmented_radix_sort_warp_sort_small_config_static_selectorELNS0_4arch9wavefront6targetE0EEEvSK_,@function
_ZN7rocprim17ROCPRIM_400000_NS6detail17trampoline_kernelINS0_14default_configENS1_36segmented_radix_sort_config_selectorIhlEEZNS1_25segmented_radix_sort_implIS3_Lb0EPKhPhPKlPlN2at6native12_GLOBAL__N_18offset_tEEE10hipError_tPvRmT1_PNSt15iterator_traitsISK_E10value_typeET2_T3_PNSL_ISQ_E10value_typeET4_jRbjT5_SW_jjP12ihipStream_tbEUlT_E1_NS1_11comp_targetILNS1_3genE9ELNS1_11target_archE1100ELNS1_3gpuE3ELNS1_3repE0EEENS1_59segmented_radix_sort_warp_sort_small_config_static_selectorELNS0_4arch9wavefront6targetE0EEEvSK_: ; @_ZN7rocprim17ROCPRIM_400000_NS6detail17trampoline_kernelINS0_14default_configENS1_36segmented_radix_sort_config_selectorIhlEEZNS1_25segmented_radix_sort_implIS3_Lb0EPKhPhPKlPlN2at6native12_GLOBAL__N_18offset_tEEE10hipError_tPvRmT1_PNSt15iterator_traitsISK_E10value_typeET2_T3_PNSL_ISQ_E10value_typeET4_jRbjT5_SW_jjP12ihipStream_tbEUlT_E1_NS1_11comp_targetILNS1_3genE9ELNS1_11target_archE1100ELNS1_3gpuE3ELNS1_3repE0EEENS1_59segmented_radix_sort_warp_sort_small_config_static_selectorELNS0_4arch9wavefront6targetE0EEEvSK_
; %bb.0:
	s_load_b32 s2, s[0:1], 0x64
	v_bfe_u32 v1, v0, 10, 10
	v_bfe_u32 v2, v0, 20, 10
	s_mov_b32 s12, s14
	s_mov_b32 s32, 0
	s_waitcnt lgkmcnt(0)
	s_lshr_b32 s3, s2, 16
	s_and_b32 s2, s2, 0xffff
	v_mad_u32_u24 v4, v2, s3, v1
	v_and_b32_e32 v1, 0x3ff, v0
	s_load_b32 s3, s[0:1], 0x34
	s_delay_alu instid0(VALU_DEP_1) | instskip(SKIP_1) | instid1(VALU_DEP_1)
	v_mad_u64_u32 v[2:3], null, v4, s2, v[1:2]
	s_mov_b32 s2, exec_lo
	v_lshrrev_b32_e32 v1, 3, v2
	s_delay_alu instid0(VALU_DEP_1) | instskip(SKIP_1) | instid1(VALU_DEP_1)
	v_lshl_add_u32 v1, s12, 5, v1
	s_waitcnt lgkmcnt(0)
	v_cmpx_gt_u32_e64 s3, v1
	s_cbranch_execz .LBB214_6
; %bb.1:
	s_clause 0x1
	s_load_b64 s[2:3], s[0:1], 0x38
	s_load_b128 s[4:7], s[0:1], 0x40
	v_mov_b32_e32 v2, 0
	s_delay_alu instid0(VALU_DEP_1) | instskip(SKIP_1) | instid1(VALU_DEP_1)
	v_lshlrev_b64 v[1:2], 2, v[1:2]
	s_waitcnt lgkmcnt(0)
	v_sub_co_u32 v1, vcc_lo, s2, v1
	s_delay_alu instid0(VALU_DEP_2) | instskip(SKIP_4) | instid1(VALU_DEP_2)
	v_sub_co_ci_u32_e32 v2, vcc_lo, s3, v2, vcc_lo
	global_load_b32 v1, v[1:2], off offset:-4
	s_waitcnt vmcnt(0)
	v_add_nc_u32_e32 v2, s5, v1
	v_add_nc_u32_e32 v1, s7, v1
	v_mul_lo_u32 v8, v2, s4
	s_delay_alu instid0(VALU_DEP_2) | instskip(NEXT) | instid1(VALU_DEP_1)
	v_mul_lo_u32 v40, v1, s6
	v_cmp_gt_u32_e32 vcc_lo, v40, v8
	s_and_b32 exec_lo, exec_lo, vcc_lo
	s_cbranch_execz .LBB214_6
; %bb.2:
	s_clause 0x3
	s_load_b32 s2, s[0:1], 0x30
	s_load_b128 s[24:27], s[0:1], 0x20
	s_load_b256 s[16:23], s[0:1], 0x0
	s_load_b64 s[28:29], s[0:1], 0x50
	s_mov_b32 s13, s15
	s_waitcnt lgkmcnt(0)
	s_bitcmp0_b32 s2, 0
	s_mov_b32 s2, -1
	s_cbranch_scc0 .LBB214_4
; %bb.3:
	s_mov_b64 s[2:3], src_shared_base
	v_mov_b32_e32 v31, v0
	v_dual_mov_b32 v41, v0 :: v_dual_mov_b32 v2, s18
	v_dual_mov_b32 v0, s16 :: v_dual_mov_b32 v1, s17
	;; [unrolled: 1-line block ×6, first 2 shown]
	v_mov_b32_e32 v11, s29
	v_mov_b32_e32 v13, s3
	s_add_u32 s8, s0, 0x58
	s_addc_u32 s9, s1, 0
	s_getpc_b64 s[4:5]
	s_add_u32 s4, s4, _ZN7rocprim17ROCPRIM_400000_NS6detail26segmented_warp_sort_helperINS1_20WarpSortHelperConfigILj8ELj4ELj256EEEhlLi256ELb0EvE4sortIPKhPhPKlPlEEvT_T0_T1_T2_jjjjRNS5_12storage_typeE@rel32@lo+4
	s_addc_u32 s5, s5, _ZN7rocprim17ROCPRIM_400000_NS6detail26segmented_warp_sort_helperINS1_20WarpSortHelperConfigILj8ELj4ELj256EEEhlLi256ELb0EvE4sortIPKhPhPKlPlEEvT_T0_T1_T2_jjjjRNS5_12storage_typeE@rel32@hi+12
	s_mov_b64 s[18:19], s[0:1]
	s_swappc_b64 s[30:31], s[4:5]
	v_mov_b32_e32 v0, v41
	s_mov_b64 s[0:1], s[18:19]
	s_mov_b32 s2, 0
.LBB214_4:
	s_delay_alu instid0(SALU_CYCLE_1)
	s_and_not1_b32 vcc_lo, exec_lo, s2
	s_cbranch_vccnz .LBB214_6
; %bb.5:
	s_add_u32 s8, s0, 0x58
	s_addc_u32 s9, s1, 0
	s_mov_b64 s[0:1], src_shared_base
	v_dual_mov_b32 v31, v0 :: v_dual_mov_b32 v0, s16
	v_dual_mov_b32 v1, s17 :: v_dual_mov_b32 v2, s20
	;; [unrolled: 1-line block ×6, first 2 shown]
	v_mov_b32_e32 v11, s29
	v_mov_b32_e32 v13, s1
	s_getpc_b64 s[2:3]
	s_add_u32 s2, s2, _ZN7rocprim17ROCPRIM_400000_NS6detail26segmented_warp_sort_helperINS1_20WarpSortHelperConfigILj8ELj4ELj256EEEhlLi256ELb0EvE4sortIPKhPhPKlPlEEvT_T0_T1_T2_jjjjRNS5_12storage_typeE@rel32@lo+4
	s_addc_u32 s3, s3, _ZN7rocprim17ROCPRIM_400000_NS6detail26segmented_warp_sort_helperINS1_20WarpSortHelperConfigILj8ELj4ELj256EEEhlLi256ELb0EvE4sortIPKhPhPKlPlEEvT_T0_T1_T2_jjjjRNS5_12storage_typeE@rel32@hi+12
	s_delay_alu instid0(SALU_CYCLE_1)
	s_swappc_b64 s[30:31], s[2:3]
.LBB214_6:
	s_endpgm
	.section	.rodata,"a",@progbits
	.p2align	6, 0x0
	.amdhsa_kernel _ZN7rocprim17ROCPRIM_400000_NS6detail17trampoline_kernelINS0_14default_configENS1_36segmented_radix_sort_config_selectorIhlEEZNS1_25segmented_radix_sort_implIS3_Lb0EPKhPhPKlPlN2at6native12_GLOBAL__N_18offset_tEEE10hipError_tPvRmT1_PNSt15iterator_traitsISK_E10value_typeET2_T3_PNSL_ISQ_E10value_typeET4_jRbjT5_SW_jjP12ihipStream_tbEUlT_E1_NS1_11comp_targetILNS1_3genE9ELNS1_11target_archE1100ELNS1_3gpuE3ELNS1_3repE0EEENS1_59segmented_radix_sort_warp_sort_small_config_static_selectorELNS0_4arch9wavefront6targetE0EEEvSK_
		.amdhsa_group_segment_fixed_size 9216
		.amdhsa_private_segment_fixed_size 0
		.amdhsa_kernarg_size 344
		.amdhsa_user_sgpr_count 14
		.amdhsa_user_sgpr_dispatch_ptr 0
		.amdhsa_user_sgpr_queue_ptr 0
		.amdhsa_user_sgpr_kernarg_segment_ptr 1
		.amdhsa_user_sgpr_dispatch_id 0
		.amdhsa_user_sgpr_private_segment_size 0
		.amdhsa_wavefront_size32 1
		.amdhsa_uses_dynamic_stack 0
		.amdhsa_enable_private_segment 0
		.amdhsa_system_sgpr_workgroup_id_x 1
		.amdhsa_system_sgpr_workgroup_id_y 1
		.amdhsa_system_sgpr_workgroup_id_z 0
		.amdhsa_system_sgpr_workgroup_info 0
		.amdhsa_system_vgpr_workitem_id 2
		.amdhsa_next_free_vgpr 65
		.amdhsa_next_free_sgpr 33
		.amdhsa_reserve_vcc 1
		.amdhsa_float_round_mode_32 0
		.amdhsa_float_round_mode_16_64 0
		.amdhsa_float_denorm_mode_32 3
		.amdhsa_float_denorm_mode_16_64 3
		.amdhsa_dx10_clamp 1
		.amdhsa_ieee_mode 1
		.amdhsa_fp16_overflow 0
		.amdhsa_workgroup_processor_mode 1
		.amdhsa_memory_ordered 1
		.amdhsa_forward_progress 0
		.amdhsa_shared_vgpr_count 0
		.amdhsa_exception_fp_ieee_invalid_op 0
		.amdhsa_exception_fp_denorm_src 0
		.amdhsa_exception_fp_ieee_div_zero 0
		.amdhsa_exception_fp_ieee_overflow 0
		.amdhsa_exception_fp_ieee_underflow 0
		.amdhsa_exception_fp_ieee_inexact 0
		.amdhsa_exception_int_div_zero 0
	.end_amdhsa_kernel
	.section	.text._ZN7rocprim17ROCPRIM_400000_NS6detail17trampoline_kernelINS0_14default_configENS1_36segmented_radix_sort_config_selectorIhlEEZNS1_25segmented_radix_sort_implIS3_Lb0EPKhPhPKlPlN2at6native12_GLOBAL__N_18offset_tEEE10hipError_tPvRmT1_PNSt15iterator_traitsISK_E10value_typeET2_T3_PNSL_ISQ_E10value_typeET4_jRbjT5_SW_jjP12ihipStream_tbEUlT_E1_NS1_11comp_targetILNS1_3genE9ELNS1_11target_archE1100ELNS1_3gpuE3ELNS1_3repE0EEENS1_59segmented_radix_sort_warp_sort_small_config_static_selectorELNS0_4arch9wavefront6targetE0EEEvSK_,"axG",@progbits,_ZN7rocprim17ROCPRIM_400000_NS6detail17trampoline_kernelINS0_14default_configENS1_36segmented_radix_sort_config_selectorIhlEEZNS1_25segmented_radix_sort_implIS3_Lb0EPKhPhPKlPlN2at6native12_GLOBAL__N_18offset_tEEE10hipError_tPvRmT1_PNSt15iterator_traitsISK_E10value_typeET2_T3_PNSL_ISQ_E10value_typeET4_jRbjT5_SW_jjP12ihipStream_tbEUlT_E1_NS1_11comp_targetILNS1_3genE9ELNS1_11target_archE1100ELNS1_3gpuE3ELNS1_3repE0EEENS1_59segmented_radix_sort_warp_sort_small_config_static_selectorELNS0_4arch9wavefront6targetE0EEEvSK_,comdat
.Lfunc_end214:
	.size	_ZN7rocprim17ROCPRIM_400000_NS6detail17trampoline_kernelINS0_14default_configENS1_36segmented_radix_sort_config_selectorIhlEEZNS1_25segmented_radix_sort_implIS3_Lb0EPKhPhPKlPlN2at6native12_GLOBAL__N_18offset_tEEE10hipError_tPvRmT1_PNSt15iterator_traitsISK_E10value_typeET2_T3_PNSL_ISQ_E10value_typeET4_jRbjT5_SW_jjP12ihipStream_tbEUlT_E1_NS1_11comp_targetILNS1_3genE9ELNS1_11target_archE1100ELNS1_3gpuE3ELNS1_3repE0EEENS1_59segmented_radix_sort_warp_sort_small_config_static_selectorELNS0_4arch9wavefront6targetE0EEEvSK_, .Lfunc_end214-_ZN7rocprim17ROCPRIM_400000_NS6detail17trampoline_kernelINS0_14default_configENS1_36segmented_radix_sort_config_selectorIhlEEZNS1_25segmented_radix_sort_implIS3_Lb0EPKhPhPKlPlN2at6native12_GLOBAL__N_18offset_tEEE10hipError_tPvRmT1_PNSt15iterator_traitsISK_E10value_typeET2_T3_PNSL_ISQ_E10value_typeET4_jRbjT5_SW_jjP12ihipStream_tbEUlT_E1_NS1_11comp_targetILNS1_3genE9ELNS1_11target_archE1100ELNS1_3gpuE3ELNS1_3repE0EEENS1_59segmented_radix_sort_warp_sort_small_config_static_selectorELNS0_4arch9wavefront6targetE0EEEvSK_
                                        ; -- End function
	.section	.AMDGPU.csdata,"",@progbits
; Kernel info:
; codeLenInByte = 516
; NumSgprs: 35
; NumVgprs: 65
; ScratchSize: 0
; MemoryBound: 0
; FloatMode: 240
; IeeeMode: 1
; LDSByteSize: 9216 bytes/workgroup (compile time only)
; SGPRBlocks: 4
; VGPRBlocks: 8
; NumSGPRsForWavesPerEU: 35
; NumVGPRsForWavesPerEU: 65
; Occupancy: 16
; WaveLimiterHint : 0
; COMPUTE_PGM_RSRC2:SCRATCH_EN: 0
; COMPUTE_PGM_RSRC2:USER_SGPR: 14
; COMPUTE_PGM_RSRC2:TRAP_HANDLER: 0
; COMPUTE_PGM_RSRC2:TGID_X_EN: 1
; COMPUTE_PGM_RSRC2:TGID_Y_EN: 1
; COMPUTE_PGM_RSRC2:TGID_Z_EN: 0
; COMPUTE_PGM_RSRC2:TIDIG_COMP_CNT: 2
	.section	.text._ZN7rocprim17ROCPRIM_400000_NS6detail17trampoline_kernelINS0_14default_configENS1_36segmented_radix_sort_config_selectorIhlEEZNS1_25segmented_radix_sort_implIS3_Lb0EPKhPhPKlPlN2at6native12_GLOBAL__N_18offset_tEEE10hipError_tPvRmT1_PNSt15iterator_traitsISK_E10value_typeET2_T3_PNSL_ISQ_E10value_typeET4_jRbjT5_SW_jjP12ihipStream_tbEUlT_E1_NS1_11comp_targetILNS1_3genE8ELNS1_11target_archE1030ELNS1_3gpuE2ELNS1_3repE0EEENS1_59segmented_radix_sort_warp_sort_small_config_static_selectorELNS0_4arch9wavefront6targetE0EEEvSK_,"axG",@progbits,_ZN7rocprim17ROCPRIM_400000_NS6detail17trampoline_kernelINS0_14default_configENS1_36segmented_radix_sort_config_selectorIhlEEZNS1_25segmented_radix_sort_implIS3_Lb0EPKhPhPKlPlN2at6native12_GLOBAL__N_18offset_tEEE10hipError_tPvRmT1_PNSt15iterator_traitsISK_E10value_typeET2_T3_PNSL_ISQ_E10value_typeET4_jRbjT5_SW_jjP12ihipStream_tbEUlT_E1_NS1_11comp_targetILNS1_3genE8ELNS1_11target_archE1030ELNS1_3gpuE2ELNS1_3repE0EEENS1_59segmented_radix_sort_warp_sort_small_config_static_selectorELNS0_4arch9wavefront6targetE0EEEvSK_,comdat
	.globl	_ZN7rocprim17ROCPRIM_400000_NS6detail17trampoline_kernelINS0_14default_configENS1_36segmented_radix_sort_config_selectorIhlEEZNS1_25segmented_radix_sort_implIS3_Lb0EPKhPhPKlPlN2at6native12_GLOBAL__N_18offset_tEEE10hipError_tPvRmT1_PNSt15iterator_traitsISK_E10value_typeET2_T3_PNSL_ISQ_E10value_typeET4_jRbjT5_SW_jjP12ihipStream_tbEUlT_E1_NS1_11comp_targetILNS1_3genE8ELNS1_11target_archE1030ELNS1_3gpuE2ELNS1_3repE0EEENS1_59segmented_radix_sort_warp_sort_small_config_static_selectorELNS0_4arch9wavefront6targetE0EEEvSK_ ; -- Begin function _ZN7rocprim17ROCPRIM_400000_NS6detail17trampoline_kernelINS0_14default_configENS1_36segmented_radix_sort_config_selectorIhlEEZNS1_25segmented_radix_sort_implIS3_Lb0EPKhPhPKlPlN2at6native12_GLOBAL__N_18offset_tEEE10hipError_tPvRmT1_PNSt15iterator_traitsISK_E10value_typeET2_T3_PNSL_ISQ_E10value_typeET4_jRbjT5_SW_jjP12ihipStream_tbEUlT_E1_NS1_11comp_targetILNS1_3genE8ELNS1_11target_archE1030ELNS1_3gpuE2ELNS1_3repE0EEENS1_59segmented_radix_sort_warp_sort_small_config_static_selectorELNS0_4arch9wavefront6targetE0EEEvSK_
	.p2align	8
	.type	_ZN7rocprim17ROCPRIM_400000_NS6detail17trampoline_kernelINS0_14default_configENS1_36segmented_radix_sort_config_selectorIhlEEZNS1_25segmented_radix_sort_implIS3_Lb0EPKhPhPKlPlN2at6native12_GLOBAL__N_18offset_tEEE10hipError_tPvRmT1_PNSt15iterator_traitsISK_E10value_typeET2_T3_PNSL_ISQ_E10value_typeET4_jRbjT5_SW_jjP12ihipStream_tbEUlT_E1_NS1_11comp_targetILNS1_3genE8ELNS1_11target_archE1030ELNS1_3gpuE2ELNS1_3repE0EEENS1_59segmented_radix_sort_warp_sort_small_config_static_selectorELNS0_4arch9wavefront6targetE0EEEvSK_,@function
_ZN7rocprim17ROCPRIM_400000_NS6detail17trampoline_kernelINS0_14default_configENS1_36segmented_radix_sort_config_selectorIhlEEZNS1_25segmented_radix_sort_implIS3_Lb0EPKhPhPKlPlN2at6native12_GLOBAL__N_18offset_tEEE10hipError_tPvRmT1_PNSt15iterator_traitsISK_E10value_typeET2_T3_PNSL_ISQ_E10value_typeET4_jRbjT5_SW_jjP12ihipStream_tbEUlT_E1_NS1_11comp_targetILNS1_3genE8ELNS1_11target_archE1030ELNS1_3gpuE2ELNS1_3repE0EEENS1_59segmented_radix_sort_warp_sort_small_config_static_selectorELNS0_4arch9wavefront6targetE0EEEvSK_: ; @_ZN7rocprim17ROCPRIM_400000_NS6detail17trampoline_kernelINS0_14default_configENS1_36segmented_radix_sort_config_selectorIhlEEZNS1_25segmented_radix_sort_implIS3_Lb0EPKhPhPKlPlN2at6native12_GLOBAL__N_18offset_tEEE10hipError_tPvRmT1_PNSt15iterator_traitsISK_E10value_typeET2_T3_PNSL_ISQ_E10value_typeET4_jRbjT5_SW_jjP12ihipStream_tbEUlT_E1_NS1_11comp_targetILNS1_3genE8ELNS1_11target_archE1030ELNS1_3gpuE2ELNS1_3repE0EEENS1_59segmented_radix_sort_warp_sort_small_config_static_selectorELNS0_4arch9wavefront6targetE0EEEvSK_
; %bb.0:
	.section	.rodata,"a",@progbits
	.p2align	6, 0x0
	.amdhsa_kernel _ZN7rocprim17ROCPRIM_400000_NS6detail17trampoline_kernelINS0_14default_configENS1_36segmented_radix_sort_config_selectorIhlEEZNS1_25segmented_radix_sort_implIS3_Lb0EPKhPhPKlPlN2at6native12_GLOBAL__N_18offset_tEEE10hipError_tPvRmT1_PNSt15iterator_traitsISK_E10value_typeET2_T3_PNSL_ISQ_E10value_typeET4_jRbjT5_SW_jjP12ihipStream_tbEUlT_E1_NS1_11comp_targetILNS1_3genE8ELNS1_11target_archE1030ELNS1_3gpuE2ELNS1_3repE0EEENS1_59segmented_radix_sort_warp_sort_small_config_static_selectorELNS0_4arch9wavefront6targetE0EEEvSK_
		.amdhsa_group_segment_fixed_size 0
		.amdhsa_private_segment_fixed_size 0
		.amdhsa_kernarg_size 88
		.amdhsa_user_sgpr_count 15
		.amdhsa_user_sgpr_dispatch_ptr 0
		.amdhsa_user_sgpr_queue_ptr 0
		.amdhsa_user_sgpr_kernarg_segment_ptr 1
		.amdhsa_user_sgpr_dispatch_id 0
		.amdhsa_user_sgpr_private_segment_size 0
		.amdhsa_wavefront_size32 1
		.amdhsa_uses_dynamic_stack 0
		.amdhsa_enable_private_segment 0
		.amdhsa_system_sgpr_workgroup_id_x 1
		.amdhsa_system_sgpr_workgroup_id_y 0
		.amdhsa_system_sgpr_workgroup_id_z 0
		.amdhsa_system_sgpr_workgroup_info 0
		.amdhsa_system_vgpr_workitem_id 0
		.amdhsa_next_free_vgpr 1
		.amdhsa_next_free_sgpr 1
		.amdhsa_reserve_vcc 0
		.amdhsa_float_round_mode_32 0
		.amdhsa_float_round_mode_16_64 0
		.amdhsa_float_denorm_mode_32 3
		.amdhsa_float_denorm_mode_16_64 3
		.amdhsa_dx10_clamp 1
		.amdhsa_ieee_mode 1
		.amdhsa_fp16_overflow 0
		.amdhsa_workgroup_processor_mode 1
		.amdhsa_memory_ordered 1
		.amdhsa_forward_progress 0
		.amdhsa_shared_vgpr_count 0
		.amdhsa_exception_fp_ieee_invalid_op 0
		.amdhsa_exception_fp_denorm_src 0
		.amdhsa_exception_fp_ieee_div_zero 0
		.amdhsa_exception_fp_ieee_overflow 0
		.amdhsa_exception_fp_ieee_underflow 0
		.amdhsa_exception_fp_ieee_inexact 0
		.amdhsa_exception_int_div_zero 0
	.end_amdhsa_kernel
	.section	.text._ZN7rocprim17ROCPRIM_400000_NS6detail17trampoline_kernelINS0_14default_configENS1_36segmented_radix_sort_config_selectorIhlEEZNS1_25segmented_radix_sort_implIS3_Lb0EPKhPhPKlPlN2at6native12_GLOBAL__N_18offset_tEEE10hipError_tPvRmT1_PNSt15iterator_traitsISK_E10value_typeET2_T3_PNSL_ISQ_E10value_typeET4_jRbjT5_SW_jjP12ihipStream_tbEUlT_E1_NS1_11comp_targetILNS1_3genE8ELNS1_11target_archE1030ELNS1_3gpuE2ELNS1_3repE0EEENS1_59segmented_radix_sort_warp_sort_small_config_static_selectorELNS0_4arch9wavefront6targetE0EEEvSK_,"axG",@progbits,_ZN7rocprim17ROCPRIM_400000_NS6detail17trampoline_kernelINS0_14default_configENS1_36segmented_radix_sort_config_selectorIhlEEZNS1_25segmented_radix_sort_implIS3_Lb0EPKhPhPKlPlN2at6native12_GLOBAL__N_18offset_tEEE10hipError_tPvRmT1_PNSt15iterator_traitsISK_E10value_typeET2_T3_PNSL_ISQ_E10value_typeET4_jRbjT5_SW_jjP12ihipStream_tbEUlT_E1_NS1_11comp_targetILNS1_3genE8ELNS1_11target_archE1030ELNS1_3gpuE2ELNS1_3repE0EEENS1_59segmented_radix_sort_warp_sort_small_config_static_selectorELNS0_4arch9wavefront6targetE0EEEvSK_,comdat
.Lfunc_end215:
	.size	_ZN7rocprim17ROCPRIM_400000_NS6detail17trampoline_kernelINS0_14default_configENS1_36segmented_radix_sort_config_selectorIhlEEZNS1_25segmented_radix_sort_implIS3_Lb0EPKhPhPKlPlN2at6native12_GLOBAL__N_18offset_tEEE10hipError_tPvRmT1_PNSt15iterator_traitsISK_E10value_typeET2_T3_PNSL_ISQ_E10value_typeET4_jRbjT5_SW_jjP12ihipStream_tbEUlT_E1_NS1_11comp_targetILNS1_3genE8ELNS1_11target_archE1030ELNS1_3gpuE2ELNS1_3repE0EEENS1_59segmented_radix_sort_warp_sort_small_config_static_selectorELNS0_4arch9wavefront6targetE0EEEvSK_, .Lfunc_end215-_ZN7rocprim17ROCPRIM_400000_NS6detail17trampoline_kernelINS0_14default_configENS1_36segmented_radix_sort_config_selectorIhlEEZNS1_25segmented_radix_sort_implIS3_Lb0EPKhPhPKlPlN2at6native12_GLOBAL__N_18offset_tEEE10hipError_tPvRmT1_PNSt15iterator_traitsISK_E10value_typeET2_T3_PNSL_ISQ_E10value_typeET4_jRbjT5_SW_jjP12ihipStream_tbEUlT_E1_NS1_11comp_targetILNS1_3genE8ELNS1_11target_archE1030ELNS1_3gpuE2ELNS1_3repE0EEENS1_59segmented_radix_sort_warp_sort_small_config_static_selectorELNS0_4arch9wavefront6targetE0EEEvSK_
                                        ; -- End function
	.section	.AMDGPU.csdata,"",@progbits
; Kernel info:
; codeLenInByte = 0
; NumSgprs: 0
; NumVgprs: 0
; ScratchSize: 0
; MemoryBound: 0
; FloatMode: 240
; IeeeMode: 1
; LDSByteSize: 0 bytes/workgroup (compile time only)
; SGPRBlocks: 0
; VGPRBlocks: 0
; NumSGPRsForWavesPerEU: 1
; NumVGPRsForWavesPerEU: 1
; Occupancy: 16
; WaveLimiterHint : 0
; COMPUTE_PGM_RSRC2:SCRATCH_EN: 0
; COMPUTE_PGM_RSRC2:USER_SGPR: 15
; COMPUTE_PGM_RSRC2:TRAP_HANDLER: 0
; COMPUTE_PGM_RSRC2:TGID_X_EN: 1
; COMPUTE_PGM_RSRC2:TGID_Y_EN: 0
; COMPUTE_PGM_RSRC2:TGID_Z_EN: 0
; COMPUTE_PGM_RSRC2:TIDIG_COMP_CNT: 0
	.section	.text._ZN7rocprim17ROCPRIM_400000_NS6detail17trampoline_kernelINS0_14default_configENS1_36segmented_radix_sort_config_selectorIhlEEZNS1_25segmented_radix_sort_implIS3_Lb0EPKhPhPKlPlN2at6native12_GLOBAL__N_18offset_tEEE10hipError_tPvRmT1_PNSt15iterator_traitsISK_E10value_typeET2_T3_PNSL_ISQ_E10value_typeET4_jRbjT5_SW_jjP12ihipStream_tbEUlT_E2_NS1_11comp_targetILNS1_3genE0ELNS1_11target_archE4294967295ELNS1_3gpuE0ELNS1_3repE0EEENS1_30default_config_static_selectorELNS0_4arch9wavefront6targetE0EEEvSK_,"axG",@progbits,_ZN7rocprim17ROCPRIM_400000_NS6detail17trampoline_kernelINS0_14default_configENS1_36segmented_radix_sort_config_selectorIhlEEZNS1_25segmented_radix_sort_implIS3_Lb0EPKhPhPKlPlN2at6native12_GLOBAL__N_18offset_tEEE10hipError_tPvRmT1_PNSt15iterator_traitsISK_E10value_typeET2_T3_PNSL_ISQ_E10value_typeET4_jRbjT5_SW_jjP12ihipStream_tbEUlT_E2_NS1_11comp_targetILNS1_3genE0ELNS1_11target_archE4294967295ELNS1_3gpuE0ELNS1_3repE0EEENS1_30default_config_static_selectorELNS0_4arch9wavefront6targetE0EEEvSK_,comdat
	.globl	_ZN7rocprim17ROCPRIM_400000_NS6detail17trampoline_kernelINS0_14default_configENS1_36segmented_radix_sort_config_selectorIhlEEZNS1_25segmented_radix_sort_implIS3_Lb0EPKhPhPKlPlN2at6native12_GLOBAL__N_18offset_tEEE10hipError_tPvRmT1_PNSt15iterator_traitsISK_E10value_typeET2_T3_PNSL_ISQ_E10value_typeET4_jRbjT5_SW_jjP12ihipStream_tbEUlT_E2_NS1_11comp_targetILNS1_3genE0ELNS1_11target_archE4294967295ELNS1_3gpuE0ELNS1_3repE0EEENS1_30default_config_static_selectorELNS0_4arch9wavefront6targetE0EEEvSK_ ; -- Begin function _ZN7rocprim17ROCPRIM_400000_NS6detail17trampoline_kernelINS0_14default_configENS1_36segmented_radix_sort_config_selectorIhlEEZNS1_25segmented_radix_sort_implIS3_Lb0EPKhPhPKlPlN2at6native12_GLOBAL__N_18offset_tEEE10hipError_tPvRmT1_PNSt15iterator_traitsISK_E10value_typeET2_T3_PNSL_ISQ_E10value_typeET4_jRbjT5_SW_jjP12ihipStream_tbEUlT_E2_NS1_11comp_targetILNS1_3genE0ELNS1_11target_archE4294967295ELNS1_3gpuE0ELNS1_3repE0EEENS1_30default_config_static_selectorELNS0_4arch9wavefront6targetE0EEEvSK_
	.p2align	8
	.type	_ZN7rocprim17ROCPRIM_400000_NS6detail17trampoline_kernelINS0_14default_configENS1_36segmented_radix_sort_config_selectorIhlEEZNS1_25segmented_radix_sort_implIS3_Lb0EPKhPhPKlPlN2at6native12_GLOBAL__N_18offset_tEEE10hipError_tPvRmT1_PNSt15iterator_traitsISK_E10value_typeET2_T3_PNSL_ISQ_E10value_typeET4_jRbjT5_SW_jjP12ihipStream_tbEUlT_E2_NS1_11comp_targetILNS1_3genE0ELNS1_11target_archE4294967295ELNS1_3gpuE0ELNS1_3repE0EEENS1_30default_config_static_selectorELNS0_4arch9wavefront6targetE0EEEvSK_,@function
_ZN7rocprim17ROCPRIM_400000_NS6detail17trampoline_kernelINS0_14default_configENS1_36segmented_radix_sort_config_selectorIhlEEZNS1_25segmented_radix_sort_implIS3_Lb0EPKhPhPKlPlN2at6native12_GLOBAL__N_18offset_tEEE10hipError_tPvRmT1_PNSt15iterator_traitsISK_E10value_typeET2_T3_PNSL_ISQ_E10value_typeET4_jRbjT5_SW_jjP12ihipStream_tbEUlT_E2_NS1_11comp_targetILNS1_3genE0ELNS1_11target_archE4294967295ELNS1_3gpuE0ELNS1_3repE0EEENS1_30default_config_static_selectorELNS0_4arch9wavefront6targetE0EEEvSK_: ; @_ZN7rocprim17ROCPRIM_400000_NS6detail17trampoline_kernelINS0_14default_configENS1_36segmented_radix_sort_config_selectorIhlEEZNS1_25segmented_radix_sort_implIS3_Lb0EPKhPhPKlPlN2at6native12_GLOBAL__N_18offset_tEEE10hipError_tPvRmT1_PNSt15iterator_traitsISK_E10value_typeET2_T3_PNSL_ISQ_E10value_typeET4_jRbjT5_SW_jjP12ihipStream_tbEUlT_E2_NS1_11comp_targetILNS1_3genE0ELNS1_11target_archE4294967295ELNS1_3gpuE0ELNS1_3repE0EEENS1_30default_config_static_selectorELNS0_4arch9wavefront6targetE0EEEvSK_
; %bb.0:
	.section	.rodata,"a",@progbits
	.p2align	6, 0x0
	.amdhsa_kernel _ZN7rocprim17ROCPRIM_400000_NS6detail17trampoline_kernelINS0_14default_configENS1_36segmented_radix_sort_config_selectorIhlEEZNS1_25segmented_radix_sort_implIS3_Lb0EPKhPhPKlPlN2at6native12_GLOBAL__N_18offset_tEEE10hipError_tPvRmT1_PNSt15iterator_traitsISK_E10value_typeET2_T3_PNSL_ISQ_E10value_typeET4_jRbjT5_SW_jjP12ihipStream_tbEUlT_E2_NS1_11comp_targetILNS1_3genE0ELNS1_11target_archE4294967295ELNS1_3gpuE0ELNS1_3repE0EEENS1_30default_config_static_selectorELNS0_4arch9wavefront6targetE0EEEvSK_
		.amdhsa_group_segment_fixed_size 0
		.amdhsa_private_segment_fixed_size 0
		.amdhsa_kernarg_size 80
		.amdhsa_user_sgpr_count 15
		.amdhsa_user_sgpr_dispatch_ptr 0
		.amdhsa_user_sgpr_queue_ptr 0
		.amdhsa_user_sgpr_kernarg_segment_ptr 1
		.amdhsa_user_sgpr_dispatch_id 0
		.amdhsa_user_sgpr_private_segment_size 0
		.amdhsa_wavefront_size32 1
		.amdhsa_uses_dynamic_stack 0
		.amdhsa_enable_private_segment 0
		.amdhsa_system_sgpr_workgroup_id_x 1
		.amdhsa_system_sgpr_workgroup_id_y 0
		.amdhsa_system_sgpr_workgroup_id_z 0
		.amdhsa_system_sgpr_workgroup_info 0
		.amdhsa_system_vgpr_workitem_id 0
		.amdhsa_next_free_vgpr 1
		.amdhsa_next_free_sgpr 1
		.amdhsa_reserve_vcc 0
		.amdhsa_float_round_mode_32 0
		.amdhsa_float_round_mode_16_64 0
		.amdhsa_float_denorm_mode_32 3
		.amdhsa_float_denorm_mode_16_64 3
		.amdhsa_dx10_clamp 1
		.amdhsa_ieee_mode 1
		.amdhsa_fp16_overflow 0
		.amdhsa_workgroup_processor_mode 1
		.amdhsa_memory_ordered 1
		.amdhsa_forward_progress 0
		.amdhsa_shared_vgpr_count 0
		.amdhsa_exception_fp_ieee_invalid_op 0
		.amdhsa_exception_fp_denorm_src 0
		.amdhsa_exception_fp_ieee_div_zero 0
		.amdhsa_exception_fp_ieee_overflow 0
		.amdhsa_exception_fp_ieee_underflow 0
		.amdhsa_exception_fp_ieee_inexact 0
		.amdhsa_exception_int_div_zero 0
	.end_amdhsa_kernel
	.section	.text._ZN7rocprim17ROCPRIM_400000_NS6detail17trampoline_kernelINS0_14default_configENS1_36segmented_radix_sort_config_selectorIhlEEZNS1_25segmented_radix_sort_implIS3_Lb0EPKhPhPKlPlN2at6native12_GLOBAL__N_18offset_tEEE10hipError_tPvRmT1_PNSt15iterator_traitsISK_E10value_typeET2_T3_PNSL_ISQ_E10value_typeET4_jRbjT5_SW_jjP12ihipStream_tbEUlT_E2_NS1_11comp_targetILNS1_3genE0ELNS1_11target_archE4294967295ELNS1_3gpuE0ELNS1_3repE0EEENS1_30default_config_static_selectorELNS0_4arch9wavefront6targetE0EEEvSK_,"axG",@progbits,_ZN7rocprim17ROCPRIM_400000_NS6detail17trampoline_kernelINS0_14default_configENS1_36segmented_radix_sort_config_selectorIhlEEZNS1_25segmented_radix_sort_implIS3_Lb0EPKhPhPKlPlN2at6native12_GLOBAL__N_18offset_tEEE10hipError_tPvRmT1_PNSt15iterator_traitsISK_E10value_typeET2_T3_PNSL_ISQ_E10value_typeET4_jRbjT5_SW_jjP12ihipStream_tbEUlT_E2_NS1_11comp_targetILNS1_3genE0ELNS1_11target_archE4294967295ELNS1_3gpuE0ELNS1_3repE0EEENS1_30default_config_static_selectorELNS0_4arch9wavefront6targetE0EEEvSK_,comdat
.Lfunc_end216:
	.size	_ZN7rocprim17ROCPRIM_400000_NS6detail17trampoline_kernelINS0_14default_configENS1_36segmented_radix_sort_config_selectorIhlEEZNS1_25segmented_radix_sort_implIS3_Lb0EPKhPhPKlPlN2at6native12_GLOBAL__N_18offset_tEEE10hipError_tPvRmT1_PNSt15iterator_traitsISK_E10value_typeET2_T3_PNSL_ISQ_E10value_typeET4_jRbjT5_SW_jjP12ihipStream_tbEUlT_E2_NS1_11comp_targetILNS1_3genE0ELNS1_11target_archE4294967295ELNS1_3gpuE0ELNS1_3repE0EEENS1_30default_config_static_selectorELNS0_4arch9wavefront6targetE0EEEvSK_, .Lfunc_end216-_ZN7rocprim17ROCPRIM_400000_NS6detail17trampoline_kernelINS0_14default_configENS1_36segmented_radix_sort_config_selectorIhlEEZNS1_25segmented_radix_sort_implIS3_Lb0EPKhPhPKlPlN2at6native12_GLOBAL__N_18offset_tEEE10hipError_tPvRmT1_PNSt15iterator_traitsISK_E10value_typeET2_T3_PNSL_ISQ_E10value_typeET4_jRbjT5_SW_jjP12ihipStream_tbEUlT_E2_NS1_11comp_targetILNS1_3genE0ELNS1_11target_archE4294967295ELNS1_3gpuE0ELNS1_3repE0EEENS1_30default_config_static_selectorELNS0_4arch9wavefront6targetE0EEEvSK_
                                        ; -- End function
	.section	.AMDGPU.csdata,"",@progbits
; Kernel info:
; codeLenInByte = 0
; NumSgprs: 0
; NumVgprs: 0
; ScratchSize: 0
; MemoryBound: 0
; FloatMode: 240
; IeeeMode: 1
; LDSByteSize: 0 bytes/workgroup (compile time only)
; SGPRBlocks: 0
; VGPRBlocks: 0
; NumSGPRsForWavesPerEU: 1
; NumVGPRsForWavesPerEU: 1
; Occupancy: 16
; WaveLimiterHint : 0
; COMPUTE_PGM_RSRC2:SCRATCH_EN: 0
; COMPUTE_PGM_RSRC2:USER_SGPR: 15
; COMPUTE_PGM_RSRC2:TRAP_HANDLER: 0
; COMPUTE_PGM_RSRC2:TGID_X_EN: 1
; COMPUTE_PGM_RSRC2:TGID_Y_EN: 0
; COMPUTE_PGM_RSRC2:TGID_Z_EN: 0
; COMPUTE_PGM_RSRC2:TIDIG_COMP_CNT: 0
	.section	.text._ZN7rocprim17ROCPRIM_400000_NS6detail17trampoline_kernelINS0_14default_configENS1_36segmented_radix_sort_config_selectorIhlEEZNS1_25segmented_radix_sort_implIS3_Lb0EPKhPhPKlPlN2at6native12_GLOBAL__N_18offset_tEEE10hipError_tPvRmT1_PNSt15iterator_traitsISK_E10value_typeET2_T3_PNSL_ISQ_E10value_typeET4_jRbjT5_SW_jjP12ihipStream_tbEUlT_E2_NS1_11comp_targetILNS1_3genE5ELNS1_11target_archE942ELNS1_3gpuE9ELNS1_3repE0EEENS1_30default_config_static_selectorELNS0_4arch9wavefront6targetE0EEEvSK_,"axG",@progbits,_ZN7rocprim17ROCPRIM_400000_NS6detail17trampoline_kernelINS0_14default_configENS1_36segmented_radix_sort_config_selectorIhlEEZNS1_25segmented_radix_sort_implIS3_Lb0EPKhPhPKlPlN2at6native12_GLOBAL__N_18offset_tEEE10hipError_tPvRmT1_PNSt15iterator_traitsISK_E10value_typeET2_T3_PNSL_ISQ_E10value_typeET4_jRbjT5_SW_jjP12ihipStream_tbEUlT_E2_NS1_11comp_targetILNS1_3genE5ELNS1_11target_archE942ELNS1_3gpuE9ELNS1_3repE0EEENS1_30default_config_static_selectorELNS0_4arch9wavefront6targetE0EEEvSK_,comdat
	.globl	_ZN7rocprim17ROCPRIM_400000_NS6detail17trampoline_kernelINS0_14default_configENS1_36segmented_radix_sort_config_selectorIhlEEZNS1_25segmented_radix_sort_implIS3_Lb0EPKhPhPKlPlN2at6native12_GLOBAL__N_18offset_tEEE10hipError_tPvRmT1_PNSt15iterator_traitsISK_E10value_typeET2_T3_PNSL_ISQ_E10value_typeET4_jRbjT5_SW_jjP12ihipStream_tbEUlT_E2_NS1_11comp_targetILNS1_3genE5ELNS1_11target_archE942ELNS1_3gpuE9ELNS1_3repE0EEENS1_30default_config_static_selectorELNS0_4arch9wavefront6targetE0EEEvSK_ ; -- Begin function _ZN7rocprim17ROCPRIM_400000_NS6detail17trampoline_kernelINS0_14default_configENS1_36segmented_radix_sort_config_selectorIhlEEZNS1_25segmented_radix_sort_implIS3_Lb0EPKhPhPKlPlN2at6native12_GLOBAL__N_18offset_tEEE10hipError_tPvRmT1_PNSt15iterator_traitsISK_E10value_typeET2_T3_PNSL_ISQ_E10value_typeET4_jRbjT5_SW_jjP12ihipStream_tbEUlT_E2_NS1_11comp_targetILNS1_3genE5ELNS1_11target_archE942ELNS1_3gpuE9ELNS1_3repE0EEENS1_30default_config_static_selectorELNS0_4arch9wavefront6targetE0EEEvSK_
	.p2align	8
	.type	_ZN7rocprim17ROCPRIM_400000_NS6detail17trampoline_kernelINS0_14default_configENS1_36segmented_radix_sort_config_selectorIhlEEZNS1_25segmented_radix_sort_implIS3_Lb0EPKhPhPKlPlN2at6native12_GLOBAL__N_18offset_tEEE10hipError_tPvRmT1_PNSt15iterator_traitsISK_E10value_typeET2_T3_PNSL_ISQ_E10value_typeET4_jRbjT5_SW_jjP12ihipStream_tbEUlT_E2_NS1_11comp_targetILNS1_3genE5ELNS1_11target_archE942ELNS1_3gpuE9ELNS1_3repE0EEENS1_30default_config_static_selectorELNS0_4arch9wavefront6targetE0EEEvSK_,@function
_ZN7rocprim17ROCPRIM_400000_NS6detail17trampoline_kernelINS0_14default_configENS1_36segmented_radix_sort_config_selectorIhlEEZNS1_25segmented_radix_sort_implIS3_Lb0EPKhPhPKlPlN2at6native12_GLOBAL__N_18offset_tEEE10hipError_tPvRmT1_PNSt15iterator_traitsISK_E10value_typeET2_T3_PNSL_ISQ_E10value_typeET4_jRbjT5_SW_jjP12ihipStream_tbEUlT_E2_NS1_11comp_targetILNS1_3genE5ELNS1_11target_archE942ELNS1_3gpuE9ELNS1_3repE0EEENS1_30default_config_static_selectorELNS0_4arch9wavefront6targetE0EEEvSK_: ; @_ZN7rocprim17ROCPRIM_400000_NS6detail17trampoline_kernelINS0_14default_configENS1_36segmented_radix_sort_config_selectorIhlEEZNS1_25segmented_radix_sort_implIS3_Lb0EPKhPhPKlPlN2at6native12_GLOBAL__N_18offset_tEEE10hipError_tPvRmT1_PNSt15iterator_traitsISK_E10value_typeET2_T3_PNSL_ISQ_E10value_typeET4_jRbjT5_SW_jjP12ihipStream_tbEUlT_E2_NS1_11comp_targetILNS1_3genE5ELNS1_11target_archE942ELNS1_3gpuE9ELNS1_3repE0EEENS1_30default_config_static_selectorELNS0_4arch9wavefront6targetE0EEEvSK_
; %bb.0:
	.section	.rodata,"a",@progbits
	.p2align	6, 0x0
	.amdhsa_kernel _ZN7rocprim17ROCPRIM_400000_NS6detail17trampoline_kernelINS0_14default_configENS1_36segmented_radix_sort_config_selectorIhlEEZNS1_25segmented_radix_sort_implIS3_Lb0EPKhPhPKlPlN2at6native12_GLOBAL__N_18offset_tEEE10hipError_tPvRmT1_PNSt15iterator_traitsISK_E10value_typeET2_T3_PNSL_ISQ_E10value_typeET4_jRbjT5_SW_jjP12ihipStream_tbEUlT_E2_NS1_11comp_targetILNS1_3genE5ELNS1_11target_archE942ELNS1_3gpuE9ELNS1_3repE0EEENS1_30default_config_static_selectorELNS0_4arch9wavefront6targetE0EEEvSK_
		.amdhsa_group_segment_fixed_size 0
		.amdhsa_private_segment_fixed_size 0
		.amdhsa_kernarg_size 80
		.amdhsa_user_sgpr_count 15
		.amdhsa_user_sgpr_dispatch_ptr 0
		.amdhsa_user_sgpr_queue_ptr 0
		.amdhsa_user_sgpr_kernarg_segment_ptr 1
		.amdhsa_user_sgpr_dispatch_id 0
		.amdhsa_user_sgpr_private_segment_size 0
		.amdhsa_wavefront_size32 1
		.amdhsa_uses_dynamic_stack 0
		.amdhsa_enable_private_segment 0
		.amdhsa_system_sgpr_workgroup_id_x 1
		.amdhsa_system_sgpr_workgroup_id_y 0
		.amdhsa_system_sgpr_workgroup_id_z 0
		.amdhsa_system_sgpr_workgroup_info 0
		.amdhsa_system_vgpr_workitem_id 0
		.amdhsa_next_free_vgpr 1
		.amdhsa_next_free_sgpr 1
		.amdhsa_reserve_vcc 0
		.amdhsa_float_round_mode_32 0
		.amdhsa_float_round_mode_16_64 0
		.amdhsa_float_denorm_mode_32 3
		.amdhsa_float_denorm_mode_16_64 3
		.amdhsa_dx10_clamp 1
		.amdhsa_ieee_mode 1
		.amdhsa_fp16_overflow 0
		.amdhsa_workgroup_processor_mode 1
		.amdhsa_memory_ordered 1
		.amdhsa_forward_progress 0
		.amdhsa_shared_vgpr_count 0
		.amdhsa_exception_fp_ieee_invalid_op 0
		.amdhsa_exception_fp_denorm_src 0
		.amdhsa_exception_fp_ieee_div_zero 0
		.amdhsa_exception_fp_ieee_overflow 0
		.amdhsa_exception_fp_ieee_underflow 0
		.amdhsa_exception_fp_ieee_inexact 0
		.amdhsa_exception_int_div_zero 0
	.end_amdhsa_kernel
	.section	.text._ZN7rocprim17ROCPRIM_400000_NS6detail17trampoline_kernelINS0_14default_configENS1_36segmented_radix_sort_config_selectorIhlEEZNS1_25segmented_radix_sort_implIS3_Lb0EPKhPhPKlPlN2at6native12_GLOBAL__N_18offset_tEEE10hipError_tPvRmT1_PNSt15iterator_traitsISK_E10value_typeET2_T3_PNSL_ISQ_E10value_typeET4_jRbjT5_SW_jjP12ihipStream_tbEUlT_E2_NS1_11comp_targetILNS1_3genE5ELNS1_11target_archE942ELNS1_3gpuE9ELNS1_3repE0EEENS1_30default_config_static_selectorELNS0_4arch9wavefront6targetE0EEEvSK_,"axG",@progbits,_ZN7rocprim17ROCPRIM_400000_NS6detail17trampoline_kernelINS0_14default_configENS1_36segmented_radix_sort_config_selectorIhlEEZNS1_25segmented_radix_sort_implIS3_Lb0EPKhPhPKlPlN2at6native12_GLOBAL__N_18offset_tEEE10hipError_tPvRmT1_PNSt15iterator_traitsISK_E10value_typeET2_T3_PNSL_ISQ_E10value_typeET4_jRbjT5_SW_jjP12ihipStream_tbEUlT_E2_NS1_11comp_targetILNS1_3genE5ELNS1_11target_archE942ELNS1_3gpuE9ELNS1_3repE0EEENS1_30default_config_static_selectorELNS0_4arch9wavefront6targetE0EEEvSK_,comdat
.Lfunc_end217:
	.size	_ZN7rocprim17ROCPRIM_400000_NS6detail17trampoline_kernelINS0_14default_configENS1_36segmented_radix_sort_config_selectorIhlEEZNS1_25segmented_radix_sort_implIS3_Lb0EPKhPhPKlPlN2at6native12_GLOBAL__N_18offset_tEEE10hipError_tPvRmT1_PNSt15iterator_traitsISK_E10value_typeET2_T3_PNSL_ISQ_E10value_typeET4_jRbjT5_SW_jjP12ihipStream_tbEUlT_E2_NS1_11comp_targetILNS1_3genE5ELNS1_11target_archE942ELNS1_3gpuE9ELNS1_3repE0EEENS1_30default_config_static_selectorELNS0_4arch9wavefront6targetE0EEEvSK_, .Lfunc_end217-_ZN7rocprim17ROCPRIM_400000_NS6detail17trampoline_kernelINS0_14default_configENS1_36segmented_radix_sort_config_selectorIhlEEZNS1_25segmented_radix_sort_implIS3_Lb0EPKhPhPKlPlN2at6native12_GLOBAL__N_18offset_tEEE10hipError_tPvRmT1_PNSt15iterator_traitsISK_E10value_typeET2_T3_PNSL_ISQ_E10value_typeET4_jRbjT5_SW_jjP12ihipStream_tbEUlT_E2_NS1_11comp_targetILNS1_3genE5ELNS1_11target_archE942ELNS1_3gpuE9ELNS1_3repE0EEENS1_30default_config_static_selectorELNS0_4arch9wavefront6targetE0EEEvSK_
                                        ; -- End function
	.section	.AMDGPU.csdata,"",@progbits
; Kernel info:
; codeLenInByte = 0
; NumSgprs: 0
; NumVgprs: 0
; ScratchSize: 0
; MemoryBound: 0
; FloatMode: 240
; IeeeMode: 1
; LDSByteSize: 0 bytes/workgroup (compile time only)
; SGPRBlocks: 0
; VGPRBlocks: 0
; NumSGPRsForWavesPerEU: 1
; NumVGPRsForWavesPerEU: 1
; Occupancy: 16
; WaveLimiterHint : 0
; COMPUTE_PGM_RSRC2:SCRATCH_EN: 0
; COMPUTE_PGM_RSRC2:USER_SGPR: 15
; COMPUTE_PGM_RSRC2:TRAP_HANDLER: 0
; COMPUTE_PGM_RSRC2:TGID_X_EN: 1
; COMPUTE_PGM_RSRC2:TGID_Y_EN: 0
; COMPUTE_PGM_RSRC2:TGID_Z_EN: 0
; COMPUTE_PGM_RSRC2:TIDIG_COMP_CNT: 0
	.section	.text._ZN7rocprim17ROCPRIM_400000_NS6detail17trampoline_kernelINS0_14default_configENS1_36segmented_radix_sort_config_selectorIhlEEZNS1_25segmented_radix_sort_implIS3_Lb0EPKhPhPKlPlN2at6native12_GLOBAL__N_18offset_tEEE10hipError_tPvRmT1_PNSt15iterator_traitsISK_E10value_typeET2_T3_PNSL_ISQ_E10value_typeET4_jRbjT5_SW_jjP12ihipStream_tbEUlT_E2_NS1_11comp_targetILNS1_3genE4ELNS1_11target_archE910ELNS1_3gpuE8ELNS1_3repE0EEENS1_30default_config_static_selectorELNS0_4arch9wavefront6targetE0EEEvSK_,"axG",@progbits,_ZN7rocprim17ROCPRIM_400000_NS6detail17trampoline_kernelINS0_14default_configENS1_36segmented_radix_sort_config_selectorIhlEEZNS1_25segmented_radix_sort_implIS3_Lb0EPKhPhPKlPlN2at6native12_GLOBAL__N_18offset_tEEE10hipError_tPvRmT1_PNSt15iterator_traitsISK_E10value_typeET2_T3_PNSL_ISQ_E10value_typeET4_jRbjT5_SW_jjP12ihipStream_tbEUlT_E2_NS1_11comp_targetILNS1_3genE4ELNS1_11target_archE910ELNS1_3gpuE8ELNS1_3repE0EEENS1_30default_config_static_selectorELNS0_4arch9wavefront6targetE0EEEvSK_,comdat
	.globl	_ZN7rocprim17ROCPRIM_400000_NS6detail17trampoline_kernelINS0_14default_configENS1_36segmented_radix_sort_config_selectorIhlEEZNS1_25segmented_radix_sort_implIS3_Lb0EPKhPhPKlPlN2at6native12_GLOBAL__N_18offset_tEEE10hipError_tPvRmT1_PNSt15iterator_traitsISK_E10value_typeET2_T3_PNSL_ISQ_E10value_typeET4_jRbjT5_SW_jjP12ihipStream_tbEUlT_E2_NS1_11comp_targetILNS1_3genE4ELNS1_11target_archE910ELNS1_3gpuE8ELNS1_3repE0EEENS1_30default_config_static_selectorELNS0_4arch9wavefront6targetE0EEEvSK_ ; -- Begin function _ZN7rocprim17ROCPRIM_400000_NS6detail17trampoline_kernelINS0_14default_configENS1_36segmented_radix_sort_config_selectorIhlEEZNS1_25segmented_radix_sort_implIS3_Lb0EPKhPhPKlPlN2at6native12_GLOBAL__N_18offset_tEEE10hipError_tPvRmT1_PNSt15iterator_traitsISK_E10value_typeET2_T3_PNSL_ISQ_E10value_typeET4_jRbjT5_SW_jjP12ihipStream_tbEUlT_E2_NS1_11comp_targetILNS1_3genE4ELNS1_11target_archE910ELNS1_3gpuE8ELNS1_3repE0EEENS1_30default_config_static_selectorELNS0_4arch9wavefront6targetE0EEEvSK_
	.p2align	8
	.type	_ZN7rocprim17ROCPRIM_400000_NS6detail17trampoline_kernelINS0_14default_configENS1_36segmented_radix_sort_config_selectorIhlEEZNS1_25segmented_radix_sort_implIS3_Lb0EPKhPhPKlPlN2at6native12_GLOBAL__N_18offset_tEEE10hipError_tPvRmT1_PNSt15iterator_traitsISK_E10value_typeET2_T3_PNSL_ISQ_E10value_typeET4_jRbjT5_SW_jjP12ihipStream_tbEUlT_E2_NS1_11comp_targetILNS1_3genE4ELNS1_11target_archE910ELNS1_3gpuE8ELNS1_3repE0EEENS1_30default_config_static_selectorELNS0_4arch9wavefront6targetE0EEEvSK_,@function
_ZN7rocprim17ROCPRIM_400000_NS6detail17trampoline_kernelINS0_14default_configENS1_36segmented_radix_sort_config_selectorIhlEEZNS1_25segmented_radix_sort_implIS3_Lb0EPKhPhPKlPlN2at6native12_GLOBAL__N_18offset_tEEE10hipError_tPvRmT1_PNSt15iterator_traitsISK_E10value_typeET2_T3_PNSL_ISQ_E10value_typeET4_jRbjT5_SW_jjP12ihipStream_tbEUlT_E2_NS1_11comp_targetILNS1_3genE4ELNS1_11target_archE910ELNS1_3gpuE8ELNS1_3repE0EEENS1_30default_config_static_selectorELNS0_4arch9wavefront6targetE0EEEvSK_: ; @_ZN7rocprim17ROCPRIM_400000_NS6detail17trampoline_kernelINS0_14default_configENS1_36segmented_radix_sort_config_selectorIhlEEZNS1_25segmented_radix_sort_implIS3_Lb0EPKhPhPKlPlN2at6native12_GLOBAL__N_18offset_tEEE10hipError_tPvRmT1_PNSt15iterator_traitsISK_E10value_typeET2_T3_PNSL_ISQ_E10value_typeET4_jRbjT5_SW_jjP12ihipStream_tbEUlT_E2_NS1_11comp_targetILNS1_3genE4ELNS1_11target_archE910ELNS1_3gpuE8ELNS1_3repE0EEENS1_30default_config_static_selectorELNS0_4arch9wavefront6targetE0EEEvSK_
; %bb.0:
	.section	.rodata,"a",@progbits
	.p2align	6, 0x0
	.amdhsa_kernel _ZN7rocprim17ROCPRIM_400000_NS6detail17trampoline_kernelINS0_14default_configENS1_36segmented_radix_sort_config_selectorIhlEEZNS1_25segmented_radix_sort_implIS3_Lb0EPKhPhPKlPlN2at6native12_GLOBAL__N_18offset_tEEE10hipError_tPvRmT1_PNSt15iterator_traitsISK_E10value_typeET2_T3_PNSL_ISQ_E10value_typeET4_jRbjT5_SW_jjP12ihipStream_tbEUlT_E2_NS1_11comp_targetILNS1_3genE4ELNS1_11target_archE910ELNS1_3gpuE8ELNS1_3repE0EEENS1_30default_config_static_selectorELNS0_4arch9wavefront6targetE0EEEvSK_
		.amdhsa_group_segment_fixed_size 0
		.amdhsa_private_segment_fixed_size 0
		.amdhsa_kernarg_size 80
		.amdhsa_user_sgpr_count 15
		.amdhsa_user_sgpr_dispatch_ptr 0
		.amdhsa_user_sgpr_queue_ptr 0
		.amdhsa_user_sgpr_kernarg_segment_ptr 1
		.amdhsa_user_sgpr_dispatch_id 0
		.amdhsa_user_sgpr_private_segment_size 0
		.amdhsa_wavefront_size32 1
		.amdhsa_uses_dynamic_stack 0
		.amdhsa_enable_private_segment 0
		.amdhsa_system_sgpr_workgroup_id_x 1
		.amdhsa_system_sgpr_workgroup_id_y 0
		.amdhsa_system_sgpr_workgroup_id_z 0
		.amdhsa_system_sgpr_workgroup_info 0
		.amdhsa_system_vgpr_workitem_id 0
		.amdhsa_next_free_vgpr 1
		.amdhsa_next_free_sgpr 1
		.amdhsa_reserve_vcc 0
		.amdhsa_float_round_mode_32 0
		.amdhsa_float_round_mode_16_64 0
		.amdhsa_float_denorm_mode_32 3
		.amdhsa_float_denorm_mode_16_64 3
		.amdhsa_dx10_clamp 1
		.amdhsa_ieee_mode 1
		.amdhsa_fp16_overflow 0
		.amdhsa_workgroup_processor_mode 1
		.amdhsa_memory_ordered 1
		.amdhsa_forward_progress 0
		.amdhsa_shared_vgpr_count 0
		.amdhsa_exception_fp_ieee_invalid_op 0
		.amdhsa_exception_fp_denorm_src 0
		.amdhsa_exception_fp_ieee_div_zero 0
		.amdhsa_exception_fp_ieee_overflow 0
		.amdhsa_exception_fp_ieee_underflow 0
		.amdhsa_exception_fp_ieee_inexact 0
		.amdhsa_exception_int_div_zero 0
	.end_amdhsa_kernel
	.section	.text._ZN7rocprim17ROCPRIM_400000_NS6detail17trampoline_kernelINS0_14default_configENS1_36segmented_radix_sort_config_selectorIhlEEZNS1_25segmented_radix_sort_implIS3_Lb0EPKhPhPKlPlN2at6native12_GLOBAL__N_18offset_tEEE10hipError_tPvRmT1_PNSt15iterator_traitsISK_E10value_typeET2_T3_PNSL_ISQ_E10value_typeET4_jRbjT5_SW_jjP12ihipStream_tbEUlT_E2_NS1_11comp_targetILNS1_3genE4ELNS1_11target_archE910ELNS1_3gpuE8ELNS1_3repE0EEENS1_30default_config_static_selectorELNS0_4arch9wavefront6targetE0EEEvSK_,"axG",@progbits,_ZN7rocprim17ROCPRIM_400000_NS6detail17trampoline_kernelINS0_14default_configENS1_36segmented_radix_sort_config_selectorIhlEEZNS1_25segmented_radix_sort_implIS3_Lb0EPKhPhPKlPlN2at6native12_GLOBAL__N_18offset_tEEE10hipError_tPvRmT1_PNSt15iterator_traitsISK_E10value_typeET2_T3_PNSL_ISQ_E10value_typeET4_jRbjT5_SW_jjP12ihipStream_tbEUlT_E2_NS1_11comp_targetILNS1_3genE4ELNS1_11target_archE910ELNS1_3gpuE8ELNS1_3repE0EEENS1_30default_config_static_selectorELNS0_4arch9wavefront6targetE0EEEvSK_,comdat
.Lfunc_end218:
	.size	_ZN7rocprim17ROCPRIM_400000_NS6detail17trampoline_kernelINS0_14default_configENS1_36segmented_radix_sort_config_selectorIhlEEZNS1_25segmented_radix_sort_implIS3_Lb0EPKhPhPKlPlN2at6native12_GLOBAL__N_18offset_tEEE10hipError_tPvRmT1_PNSt15iterator_traitsISK_E10value_typeET2_T3_PNSL_ISQ_E10value_typeET4_jRbjT5_SW_jjP12ihipStream_tbEUlT_E2_NS1_11comp_targetILNS1_3genE4ELNS1_11target_archE910ELNS1_3gpuE8ELNS1_3repE0EEENS1_30default_config_static_selectorELNS0_4arch9wavefront6targetE0EEEvSK_, .Lfunc_end218-_ZN7rocprim17ROCPRIM_400000_NS6detail17trampoline_kernelINS0_14default_configENS1_36segmented_radix_sort_config_selectorIhlEEZNS1_25segmented_radix_sort_implIS3_Lb0EPKhPhPKlPlN2at6native12_GLOBAL__N_18offset_tEEE10hipError_tPvRmT1_PNSt15iterator_traitsISK_E10value_typeET2_T3_PNSL_ISQ_E10value_typeET4_jRbjT5_SW_jjP12ihipStream_tbEUlT_E2_NS1_11comp_targetILNS1_3genE4ELNS1_11target_archE910ELNS1_3gpuE8ELNS1_3repE0EEENS1_30default_config_static_selectorELNS0_4arch9wavefront6targetE0EEEvSK_
                                        ; -- End function
	.section	.AMDGPU.csdata,"",@progbits
; Kernel info:
; codeLenInByte = 0
; NumSgprs: 0
; NumVgprs: 0
; ScratchSize: 0
; MemoryBound: 0
; FloatMode: 240
; IeeeMode: 1
; LDSByteSize: 0 bytes/workgroup (compile time only)
; SGPRBlocks: 0
; VGPRBlocks: 0
; NumSGPRsForWavesPerEU: 1
; NumVGPRsForWavesPerEU: 1
; Occupancy: 16
; WaveLimiterHint : 0
; COMPUTE_PGM_RSRC2:SCRATCH_EN: 0
; COMPUTE_PGM_RSRC2:USER_SGPR: 15
; COMPUTE_PGM_RSRC2:TRAP_HANDLER: 0
; COMPUTE_PGM_RSRC2:TGID_X_EN: 1
; COMPUTE_PGM_RSRC2:TGID_Y_EN: 0
; COMPUTE_PGM_RSRC2:TGID_Z_EN: 0
; COMPUTE_PGM_RSRC2:TIDIG_COMP_CNT: 0
	.section	.text._ZN7rocprim17ROCPRIM_400000_NS6detail17trampoline_kernelINS0_14default_configENS1_36segmented_radix_sort_config_selectorIhlEEZNS1_25segmented_radix_sort_implIS3_Lb0EPKhPhPKlPlN2at6native12_GLOBAL__N_18offset_tEEE10hipError_tPvRmT1_PNSt15iterator_traitsISK_E10value_typeET2_T3_PNSL_ISQ_E10value_typeET4_jRbjT5_SW_jjP12ihipStream_tbEUlT_E2_NS1_11comp_targetILNS1_3genE3ELNS1_11target_archE908ELNS1_3gpuE7ELNS1_3repE0EEENS1_30default_config_static_selectorELNS0_4arch9wavefront6targetE0EEEvSK_,"axG",@progbits,_ZN7rocprim17ROCPRIM_400000_NS6detail17trampoline_kernelINS0_14default_configENS1_36segmented_radix_sort_config_selectorIhlEEZNS1_25segmented_radix_sort_implIS3_Lb0EPKhPhPKlPlN2at6native12_GLOBAL__N_18offset_tEEE10hipError_tPvRmT1_PNSt15iterator_traitsISK_E10value_typeET2_T3_PNSL_ISQ_E10value_typeET4_jRbjT5_SW_jjP12ihipStream_tbEUlT_E2_NS1_11comp_targetILNS1_3genE3ELNS1_11target_archE908ELNS1_3gpuE7ELNS1_3repE0EEENS1_30default_config_static_selectorELNS0_4arch9wavefront6targetE0EEEvSK_,comdat
	.globl	_ZN7rocprim17ROCPRIM_400000_NS6detail17trampoline_kernelINS0_14default_configENS1_36segmented_radix_sort_config_selectorIhlEEZNS1_25segmented_radix_sort_implIS3_Lb0EPKhPhPKlPlN2at6native12_GLOBAL__N_18offset_tEEE10hipError_tPvRmT1_PNSt15iterator_traitsISK_E10value_typeET2_T3_PNSL_ISQ_E10value_typeET4_jRbjT5_SW_jjP12ihipStream_tbEUlT_E2_NS1_11comp_targetILNS1_3genE3ELNS1_11target_archE908ELNS1_3gpuE7ELNS1_3repE0EEENS1_30default_config_static_selectorELNS0_4arch9wavefront6targetE0EEEvSK_ ; -- Begin function _ZN7rocprim17ROCPRIM_400000_NS6detail17trampoline_kernelINS0_14default_configENS1_36segmented_radix_sort_config_selectorIhlEEZNS1_25segmented_radix_sort_implIS3_Lb0EPKhPhPKlPlN2at6native12_GLOBAL__N_18offset_tEEE10hipError_tPvRmT1_PNSt15iterator_traitsISK_E10value_typeET2_T3_PNSL_ISQ_E10value_typeET4_jRbjT5_SW_jjP12ihipStream_tbEUlT_E2_NS1_11comp_targetILNS1_3genE3ELNS1_11target_archE908ELNS1_3gpuE7ELNS1_3repE0EEENS1_30default_config_static_selectorELNS0_4arch9wavefront6targetE0EEEvSK_
	.p2align	8
	.type	_ZN7rocprim17ROCPRIM_400000_NS6detail17trampoline_kernelINS0_14default_configENS1_36segmented_radix_sort_config_selectorIhlEEZNS1_25segmented_radix_sort_implIS3_Lb0EPKhPhPKlPlN2at6native12_GLOBAL__N_18offset_tEEE10hipError_tPvRmT1_PNSt15iterator_traitsISK_E10value_typeET2_T3_PNSL_ISQ_E10value_typeET4_jRbjT5_SW_jjP12ihipStream_tbEUlT_E2_NS1_11comp_targetILNS1_3genE3ELNS1_11target_archE908ELNS1_3gpuE7ELNS1_3repE0EEENS1_30default_config_static_selectorELNS0_4arch9wavefront6targetE0EEEvSK_,@function
_ZN7rocprim17ROCPRIM_400000_NS6detail17trampoline_kernelINS0_14default_configENS1_36segmented_radix_sort_config_selectorIhlEEZNS1_25segmented_radix_sort_implIS3_Lb0EPKhPhPKlPlN2at6native12_GLOBAL__N_18offset_tEEE10hipError_tPvRmT1_PNSt15iterator_traitsISK_E10value_typeET2_T3_PNSL_ISQ_E10value_typeET4_jRbjT5_SW_jjP12ihipStream_tbEUlT_E2_NS1_11comp_targetILNS1_3genE3ELNS1_11target_archE908ELNS1_3gpuE7ELNS1_3repE0EEENS1_30default_config_static_selectorELNS0_4arch9wavefront6targetE0EEEvSK_: ; @_ZN7rocprim17ROCPRIM_400000_NS6detail17trampoline_kernelINS0_14default_configENS1_36segmented_radix_sort_config_selectorIhlEEZNS1_25segmented_radix_sort_implIS3_Lb0EPKhPhPKlPlN2at6native12_GLOBAL__N_18offset_tEEE10hipError_tPvRmT1_PNSt15iterator_traitsISK_E10value_typeET2_T3_PNSL_ISQ_E10value_typeET4_jRbjT5_SW_jjP12ihipStream_tbEUlT_E2_NS1_11comp_targetILNS1_3genE3ELNS1_11target_archE908ELNS1_3gpuE7ELNS1_3repE0EEENS1_30default_config_static_selectorELNS0_4arch9wavefront6targetE0EEEvSK_
; %bb.0:
	.section	.rodata,"a",@progbits
	.p2align	6, 0x0
	.amdhsa_kernel _ZN7rocprim17ROCPRIM_400000_NS6detail17trampoline_kernelINS0_14default_configENS1_36segmented_radix_sort_config_selectorIhlEEZNS1_25segmented_radix_sort_implIS3_Lb0EPKhPhPKlPlN2at6native12_GLOBAL__N_18offset_tEEE10hipError_tPvRmT1_PNSt15iterator_traitsISK_E10value_typeET2_T3_PNSL_ISQ_E10value_typeET4_jRbjT5_SW_jjP12ihipStream_tbEUlT_E2_NS1_11comp_targetILNS1_3genE3ELNS1_11target_archE908ELNS1_3gpuE7ELNS1_3repE0EEENS1_30default_config_static_selectorELNS0_4arch9wavefront6targetE0EEEvSK_
		.amdhsa_group_segment_fixed_size 0
		.amdhsa_private_segment_fixed_size 0
		.amdhsa_kernarg_size 80
		.amdhsa_user_sgpr_count 15
		.amdhsa_user_sgpr_dispatch_ptr 0
		.amdhsa_user_sgpr_queue_ptr 0
		.amdhsa_user_sgpr_kernarg_segment_ptr 1
		.amdhsa_user_sgpr_dispatch_id 0
		.amdhsa_user_sgpr_private_segment_size 0
		.amdhsa_wavefront_size32 1
		.amdhsa_uses_dynamic_stack 0
		.amdhsa_enable_private_segment 0
		.amdhsa_system_sgpr_workgroup_id_x 1
		.amdhsa_system_sgpr_workgroup_id_y 0
		.amdhsa_system_sgpr_workgroup_id_z 0
		.amdhsa_system_sgpr_workgroup_info 0
		.amdhsa_system_vgpr_workitem_id 0
		.amdhsa_next_free_vgpr 1
		.amdhsa_next_free_sgpr 1
		.amdhsa_reserve_vcc 0
		.amdhsa_float_round_mode_32 0
		.amdhsa_float_round_mode_16_64 0
		.amdhsa_float_denorm_mode_32 3
		.amdhsa_float_denorm_mode_16_64 3
		.amdhsa_dx10_clamp 1
		.amdhsa_ieee_mode 1
		.amdhsa_fp16_overflow 0
		.amdhsa_workgroup_processor_mode 1
		.amdhsa_memory_ordered 1
		.amdhsa_forward_progress 0
		.amdhsa_shared_vgpr_count 0
		.amdhsa_exception_fp_ieee_invalid_op 0
		.amdhsa_exception_fp_denorm_src 0
		.amdhsa_exception_fp_ieee_div_zero 0
		.amdhsa_exception_fp_ieee_overflow 0
		.amdhsa_exception_fp_ieee_underflow 0
		.amdhsa_exception_fp_ieee_inexact 0
		.amdhsa_exception_int_div_zero 0
	.end_amdhsa_kernel
	.section	.text._ZN7rocprim17ROCPRIM_400000_NS6detail17trampoline_kernelINS0_14default_configENS1_36segmented_radix_sort_config_selectorIhlEEZNS1_25segmented_radix_sort_implIS3_Lb0EPKhPhPKlPlN2at6native12_GLOBAL__N_18offset_tEEE10hipError_tPvRmT1_PNSt15iterator_traitsISK_E10value_typeET2_T3_PNSL_ISQ_E10value_typeET4_jRbjT5_SW_jjP12ihipStream_tbEUlT_E2_NS1_11comp_targetILNS1_3genE3ELNS1_11target_archE908ELNS1_3gpuE7ELNS1_3repE0EEENS1_30default_config_static_selectorELNS0_4arch9wavefront6targetE0EEEvSK_,"axG",@progbits,_ZN7rocprim17ROCPRIM_400000_NS6detail17trampoline_kernelINS0_14default_configENS1_36segmented_radix_sort_config_selectorIhlEEZNS1_25segmented_radix_sort_implIS3_Lb0EPKhPhPKlPlN2at6native12_GLOBAL__N_18offset_tEEE10hipError_tPvRmT1_PNSt15iterator_traitsISK_E10value_typeET2_T3_PNSL_ISQ_E10value_typeET4_jRbjT5_SW_jjP12ihipStream_tbEUlT_E2_NS1_11comp_targetILNS1_3genE3ELNS1_11target_archE908ELNS1_3gpuE7ELNS1_3repE0EEENS1_30default_config_static_selectorELNS0_4arch9wavefront6targetE0EEEvSK_,comdat
.Lfunc_end219:
	.size	_ZN7rocprim17ROCPRIM_400000_NS6detail17trampoline_kernelINS0_14default_configENS1_36segmented_radix_sort_config_selectorIhlEEZNS1_25segmented_radix_sort_implIS3_Lb0EPKhPhPKlPlN2at6native12_GLOBAL__N_18offset_tEEE10hipError_tPvRmT1_PNSt15iterator_traitsISK_E10value_typeET2_T3_PNSL_ISQ_E10value_typeET4_jRbjT5_SW_jjP12ihipStream_tbEUlT_E2_NS1_11comp_targetILNS1_3genE3ELNS1_11target_archE908ELNS1_3gpuE7ELNS1_3repE0EEENS1_30default_config_static_selectorELNS0_4arch9wavefront6targetE0EEEvSK_, .Lfunc_end219-_ZN7rocprim17ROCPRIM_400000_NS6detail17trampoline_kernelINS0_14default_configENS1_36segmented_radix_sort_config_selectorIhlEEZNS1_25segmented_radix_sort_implIS3_Lb0EPKhPhPKlPlN2at6native12_GLOBAL__N_18offset_tEEE10hipError_tPvRmT1_PNSt15iterator_traitsISK_E10value_typeET2_T3_PNSL_ISQ_E10value_typeET4_jRbjT5_SW_jjP12ihipStream_tbEUlT_E2_NS1_11comp_targetILNS1_3genE3ELNS1_11target_archE908ELNS1_3gpuE7ELNS1_3repE0EEENS1_30default_config_static_selectorELNS0_4arch9wavefront6targetE0EEEvSK_
                                        ; -- End function
	.section	.AMDGPU.csdata,"",@progbits
; Kernel info:
; codeLenInByte = 0
; NumSgprs: 0
; NumVgprs: 0
; ScratchSize: 0
; MemoryBound: 0
; FloatMode: 240
; IeeeMode: 1
; LDSByteSize: 0 bytes/workgroup (compile time only)
; SGPRBlocks: 0
; VGPRBlocks: 0
; NumSGPRsForWavesPerEU: 1
; NumVGPRsForWavesPerEU: 1
; Occupancy: 16
; WaveLimiterHint : 0
; COMPUTE_PGM_RSRC2:SCRATCH_EN: 0
; COMPUTE_PGM_RSRC2:USER_SGPR: 15
; COMPUTE_PGM_RSRC2:TRAP_HANDLER: 0
; COMPUTE_PGM_RSRC2:TGID_X_EN: 1
; COMPUTE_PGM_RSRC2:TGID_Y_EN: 0
; COMPUTE_PGM_RSRC2:TGID_Z_EN: 0
; COMPUTE_PGM_RSRC2:TIDIG_COMP_CNT: 0
	.section	.text._ZN7rocprim17ROCPRIM_400000_NS6detail17trampoline_kernelINS0_14default_configENS1_36segmented_radix_sort_config_selectorIhlEEZNS1_25segmented_radix_sort_implIS3_Lb0EPKhPhPKlPlN2at6native12_GLOBAL__N_18offset_tEEE10hipError_tPvRmT1_PNSt15iterator_traitsISK_E10value_typeET2_T3_PNSL_ISQ_E10value_typeET4_jRbjT5_SW_jjP12ihipStream_tbEUlT_E2_NS1_11comp_targetILNS1_3genE2ELNS1_11target_archE906ELNS1_3gpuE6ELNS1_3repE0EEENS1_30default_config_static_selectorELNS0_4arch9wavefront6targetE0EEEvSK_,"axG",@progbits,_ZN7rocprim17ROCPRIM_400000_NS6detail17trampoline_kernelINS0_14default_configENS1_36segmented_radix_sort_config_selectorIhlEEZNS1_25segmented_radix_sort_implIS3_Lb0EPKhPhPKlPlN2at6native12_GLOBAL__N_18offset_tEEE10hipError_tPvRmT1_PNSt15iterator_traitsISK_E10value_typeET2_T3_PNSL_ISQ_E10value_typeET4_jRbjT5_SW_jjP12ihipStream_tbEUlT_E2_NS1_11comp_targetILNS1_3genE2ELNS1_11target_archE906ELNS1_3gpuE6ELNS1_3repE0EEENS1_30default_config_static_selectorELNS0_4arch9wavefront6targetE0EEEvSK_,comdat
	.globl	_ZN7rocprim17ROCPRIM_400000_NS6detail17trampoline_kernelINS0_14default_configENS1_36segmented_radix_sort_config_selectorIhlEEZNS1_25segmented_radix_sort_implIS3_Lb0EPKhPhPKlPlN2at6native12_GLOBAL__N_18offset_tEEE10hipError_tPvRmT1_PNSt15iterator_traitsISK_E10value_typeET2_T3_PNSL_ISQ_E10value_typeET4_jRbjT5_SW_jjP12ihipStream_tbEUlT_E2_NS1_11comp_targetILNS1_3genE2ELNS1_11target_archE906ELNS1_3gpuE6ELNS1_3repE0EEENS1_30default_config_static_selectorELNS0_4arch9wavefront6targetE0EEEvSK_ ; -- Begin function _ZN7rocprim17ROCPRIM_400000_NS6detail17trampoline_kernelINS0_14default_configENS1_36segmented_radix_sort_config_selectorIhlEEZNS1_25segmented_radix_sort_implIS3_Lb0EPKhPhPKlPlN2at6native12_GLOBAL__N_18offset_tEEE10hipError_tPvRmT1_PNSt15iterator_traitsISK_E10value_typeET2_T3_PNSL_ISQ_E10value_typeET4_jRbjT5_SW_jjP12ihipStream_tbEUlT_E2_NS1_11comp_targetILNS1_3genE2ELNS1_11target_archE906ELNS1_3gpuE6ELNS1_3repE0EEENS1_30default_config_static_selectorELNS0_4arch9wavefront6targetE0EEEvSK_
	.p2align	8
	.type	_ZN7rocprim17ROCPRIM_400000_NS6detail17trampoline_kernelINS0_14default_configENS1_36segmented_radix_sort_config_selectorIhlEEZNS1_25segmented_radix_sort_implIS3_Lb0EPKhPhPKlPlN2at6native12_GLOBAL__N_18offset_tEEE10hipError_tPvRmT1_PNSt15iterator_traitsISK_E10value_typeET2_T3_PNSL_ISQ_E10value_typeET4_jRbjT5_SW_jjP12ihipStream_tbEUlT_E2_NS1_11comp_targetILNS1_3genE2ELNS1_11target_archE906ELNS1_3gpuE6ELNS1_3repE0EEENS1_30default_config_static_selectorELNS0_4arch9wavefront6targetE0EEEvSK_,@function
_ZN7rocprim17ROCPRIM_400000_NS6detail17trampoline_kernelINS0_14default_configENS1_36segmented_radix_sort_config_selectorIhlEEZNS1_25segmented_radix_sort_implIS3_Lb0EPKhPhPKlPlN2at6native12_GLOBAL__N_18offset_tEEE10hipError_tPvRmT1_PNSt15iterator_traitsISK_E10value_typeET2_T3_PNSL_ISQ_E10value_typeET4_jRbjT5_SW_jjP12ihipStream_tbEUlT_E2_NS1_11comp_targetILNS1_3genE2ELNS1_11target_archE906ELNS1_3gpuE6ELNS1_3repE0EEENS1_30default_config_static_selectorELNS0_4arch9wavefront6targetE0EEEvSK_: ; @_ZN7rocprim17ROCPRIM_400000_NS6detail17trampoline_kernelINS0_14default_configENS1_36segmented_radix_sort_config_selectorIhlEEZNS1_25segmented_radix_sort_implIS3_Lb0EPKhPhPKlPlN2at6native12_GLOBAL__N_18offset_tEEE10hipError_tPvRmT1_PNSt15iterator_traitsISK_E10value_typeET2_T3_PNSL_ISQ_E10value_typeET4_jRbjT5_SW_jjP12ihipStream_tbEUlT_E2_NS1_11comp_targetILNS1_3genE2ELNS1_11target_archE906ELNS1_3gpuE6ELNS1_3repE0EEENS1_30default_config_static_selectorELNS0_4arch9wavefront6targetE0EEEvSK_
; %bb.0:
	.section	.rodata,"a",@progbits
	.p2align	6, 0x0
	.amdhsa_kernel _ZN7rocprim17ROCPRIM_400000_NS6detail17trampoline_kernelINS0_14default_configENS1_36segmented_radix_sort_config_selectorIhlEEZNS1_25segmented_radix_sort_implIS3_Lb0EPKhPhPKlPlN2at6native12_GLOBAL__N_18offset_tEEE10hipError_tPvRmT1_PNSt15iterator_traitsISK_E10value_typeET2_T3_PNSL_ISQ_E10value_typeET4_jRbjT5_SW_jjP12ihipStream_tbEUlT_E2_NS1_11comp_targetILNS1_3genE2ELNS1_11target_archE906ELNS1_3gpuE6ELNS1_3repE0EEENS1_30default_config_static_selectorELNS0_4arch9wavefront6targetE0EEEvSK_
		.amdhsa_group_segment_fixed_size 0
		.amdhsa_private_segment_fixed_size 0
		.amdhsa_kernarg_size 80
		.amdhsa_user_sgpr_count 15
		.amdhsa_user_sgpr_dispatch_ptr 0
		.amdhsa_user_sgpr_queue_ptr 0
		.amdhsa_user_sgpr_kernarg_segment_ptr 1
		.amdhsa_user_sgpr_dispatch_id 0
		.amdhsa_user_sgpr_private_segment_size 0
		.amdhsa_wavefront_size32 1
		.amdhsa_uses_dynamic_stack 0
		.amdhsa_enable_private_segment 0
		.amdhsa_system_sgpr_workgroup_id_x 1
		.amdhsa_system_sgpr_workgroup_id_y 0
		.amdhsa_system_sgpr_workgroup_id_z 0
		.amdhsa_system_sgpr_workgroup_info 0
		.amdhsa_system_vgpr_workitem_id 0
		.amdhsa_next_free_vgpr 1
		.amdhsa_next_free_sgpr 1
		.amdhsa_reserve_vcc 0
		.amdhsa_float_round_mode_32 0
		.amdhsa_float_round_mode_16_64 0
		.amdhsa_float_denorm_mode_32 3
		.amdhsa_float_denorm_mode_16_64 3
		.amdhsa_dx10_clamp 1
		.amdhsa_ieee_mode 1
		.amdhsa_fp16_overflow 0
		.amdhsa_workgroup_processor_mode 1
		.amdhsa_memory_ordered 1
		.amdhsa_forward_progress 0
		.amdhsa_shared_vgpr_count 0
		.amdhsa_exception_fp_ieee_invalid_op 0
		.amdhsa_exception_fp_denorm_src 0
		.amdhsa_exception_fp_ieee_div_zero 0
		.amdhsa_exception_fp_ieee_overflow 0
		.amdhsa_exception_fp_ieee_underflow 0
		.amdhsa_exception_fp_ieee_inexact 0
		.amdhsa_exception_int_div_zero 0
	.end_amdhsa_kernel
	.section	.text._ZN7rocprim17ROCPRIM_400000_NS6detail17trampoline_kernelINS0_14default_configENS1_36segmented_radix_sort_config_selectorIhlEEZNS1_25segmented_radix_sort_implIS3_Lb0EPKhPhPKlPlN2at6native12_GLOBAL__N_18offset_tEEE10hipError_tPvRmT1_PNSt15iterator_traitsISK_E10value_typeET2_T3_PNSL_ISQ_E10value_typeET4_jRbjT5_SW_jjP12ihipStream_tbEUlT_E2_NS1_11comp_targetILNS1_3genE2ELNS1_11target_archE906ELNS1_3gpuE6ELNS1_3repE0EEENS1_30default_config_static_selectorELNS0_4arch9wavefront6targetE0EEEvSK_,"axG",@progbits,_ZN7rocprim17ROCPRIM_400000_NS6detail17trampoline_kernelINS0_14default_configENS1_36segmented_radix_sort_config_selectorIhlEEZNS1_25segmented_radix_sort_implIS3_Lb0EPKhPhPKlPlN2at6native12_GLOBAL__N_18offset_tEEE10hipError_tPvRmT1_PNSt15iterator_traitsISK_E10value_typeET2_T3_PNSL_ISQ_E10value_typeET4_jRbjT5_SW_jjP12ihipStream_tbEUlT_E2_NS1_11comp_targetILNS1_3genE2ELNS1_11target_archE906ELNS1_3gpuE6ELNS1_3repE0EEENS1_30default_config_static_selectorELNS0_4arch9wavefront6targetE0EEEvSK_,comdat
.Lfunc_end220:
	.size	_ZN7rocprim17ROCPRIM_400000_NS6detail17trampoline_kernelINS0_14default_configENS1_36segmented_radix_sort_config_selectorIhlEEZNS1_25segmented_radix_sort_implIS3_Lb0EPKhPhPKlPlN2at6native12_GLOBAL__N_18offset_tEEE10hipError_tPvRmT1_PNSt15iterator_traitsISK_E10value_typeET2_T3_PNSL_ISQ_E10value_typeET4_jRbjT5_SW_jjP12ihipStream_tbEUlT_E2_NS1_11comp_targetILNS1_3genE2ELNS1_11target_archE906ELNS1_3gpuE6ELNS1_3repE0EEENS1_30default_config_static_selectorELNS0_4arch9wavefront6targetE0EEEvSK_, .Lfunc_end220-_ZN7rocprim17ROCPRIM_400000_NS6detail17trampoline_kernelINS0_14default_configENS1_36segmented_radix_sort_config_selectorIhlEEZNS1_25segmented_radix_sort_implIS3_Lb0EPKhPhPKlPlN2at6native12_GLOBAL__N_18offset_tEEE10hipError_tPvRmT1_PNSt15iterator_traitsISK_E10value_typeET2_T3_PNSL_ISQ_E10value_typeET4_jRbjT5_SW_jjP12ihipStream_tbEUlT_E2_NS1_11comp_targetILNS1_3genE2ELNS1_11target_archE906ELNS1_3gpuE6ELNS1_3repE0EEENS1_30default_config_static_selectorELNS0_4arch9wavefront6targetE0EEEvSK_
                                        ; -- End function
	.section	.AMDGPU.csdata,"",@progbits
; Kernel info:
; codeLenInByte = 0
; NumSgprs: 0
; NumVgprs: 0
; ScratchSize: 0
; MemoryBound: 0
; FloatMode: 240
; IeeeMode: 1
; LDSByteSize: 0 bytes/workgroup (compile time only)
; SGPRBlocks: 0
; VGPRBlocks: 0
; NumSGPRsForWavesPerEU: 1
; NumVGPRsForWavesPerEU: 1
; Occupancy: 16
; WaveLimiterHint : 0
; COMPUTE_PGM_RSRC2:SCRATCH_EN: 0
; COMPUTE_PGM_RSRC2:USER_SGPR: 15
; COMPUTE_PGM_RSRC2:TRAP_HANDLER: 0
; COMPUTE_PGM_RSRC2:TGID_X_EN: 1
; COMPUTE_PGM_RSRC2:TGID_Y_EN: 0
; COMPUTE_PGM_RSRC2:TGID_Z_EN: 0
; COMPUTE_PGM_RSRC2:TIDIG_COMP_CNT: 0
	.section	.text._ZN7rocprim17ROCPRIM_400000_NS6detail17trampoline_kernelINS0_14default_configENS1_36segmented_radix_sort_config_selectorIhlEEZNS1_25segmented_radix_sort_implIS3_Lb0EPKhPhPKlPlN2at6native12_GLOBAL__N_18offset_tEEE10hipError_tPvRmT1_PNSt15iterator_traitsISK_E10value_typeET2_T3_PNSL_ISQ_E10value_typeET4_jRbjT5_SW_jjP12ihipStream_tbEUlT_E2_NS1_11comp_targetILNS1_3genE10ELNS1_11target_archE1201ELNS1_3gpuE5ELNS1_3repE0EEENS1_30default_config_static_selectorELNS0_4arch9wavefront6targetE0EEEvSK_,"axG",@progbits,_ZN7rocprim17ROCPRIM_400000_NS6detail17trampoline_kernelINS0_14default_configENS1_36segmented_radix_sort_config_selectorIhlEEZNS1_25segmented_radix_sort_implIS3_Lb0EPKhPhPKlPlN2at6native12_GLOBAL__N_18offset_tEEE10hipError_tPvRmT1_PNSt15iterator_traitsISK_E10value_typeET2_T3_PNSL_ISQ_E10value_typeET4_jRbjT5_SW_jjP12ihipStream_tbEUlT_E2_NS1_11comp_targetILNS1_3genE10ELNS1_11target_archE1201ELNS1_3gpuE5ELNS1_3repE0EEENS1_30default_config_static_selectorELNS0_4arch9wavefront6targetE0EEEvSK_,comdat
	.globl	_ZN7rocprim17ROCPRIM_400000_NS6detail17trampoline_kernelINS0_14default_configENS1_36segmented_radix_sort_config_selectorIhlEEZNS1_25segmented_radix_sort_implIS3_Lb0EPKhPhPKlPlN2at6native12_GLOBAL__N_18offset_tEEE10hipError_tPvRmT1_PNSt15iterator_traitsISK_E10value_typeET2_T3_PNSL_ISQ_E10value_typeET4_jRbjT5_SW_jjP12ihipStream_tbEUlT_E2_NS1_11comp_targetILNS1_3genE10ELNS1_11target_archE1201ELNS1_3gpuE5ELNS1_3repE0EEENS1_30default_config_static_selectorELNS0_4arch9wavefront6targetE0EEEvSK_ ; -- Begin function _ZN7rocprim17ROCPRIM_400000_NS6detail17trampoline_kernelINS0_14default_configENS1_36segmented_radix_sort_config_selectorIhlEEZNS1_25segmented_radix_sort_implIS3_Lb0EPKhPhPKlPlN2at6native12_GLOBAL__N_18offset_tEEE10hipError_tPvRmT1_PNSt15iterator_traitsISK_E10value_typeET2_T3_PNSL_ISQ_E10value_typeET4_jRbjT5_SW_jjP12ihipStream_tbEUlT_E2_NS1_11comp_targetILNS1_3genE10ELNS1_11target_archE1201ELNS1_3gpuE5ELNS1_3repE0EEENS1_30default_config_static_selectorELNS0_4arch9wavefront6targetE0EEEvSK_
	.p2align	8
	.type	_ZN7rocprim17ROCPRIM_400000_NS6detail17trampoline_kernelINS0_14default_configENS1_36segmented_radix_sort_config_selectorIhlEEZNS1_25segmented_radix_sort_implIS3_Lb0EPKhPhPKlPlN2at6native12_GLOBAL__N_18offset_tEEE10hipError_tPvRmT1_PNSt15iterator_traitsISK_E10value_typeET2_T3_PNSL_ISQ_E10value_typeET4_jRbjT5_SW_jjP12ihipStream_tbEUlT_E2_NS1_11comp_targetILNS1_3genE10ELNS1_11target_archE1201ELNS1_3gpuE5ELNS1_3repE0EEENS1_30default_config_static_selectorELNS0_4arch9wavefront6targetE0EEEvSK_,@function
_ZN7rocprim17ROCPRIM_400000_NS6detail17trampoline_kernelINS0_14default_configENS1_36segmented_radix_sort_config_selectorIhlEEZNS1_25segmented_radix_sort_implIS3_Lb0EPKhPhPKlPlN2at6native12_GLOBAL__N_18offset_tEEE10hipError_tPvRmT1_PNSt15iterator_traitsISK_E10value_typeET2_T3_PNSL_ISQ_E10value_typeET4_jRbjT5_SW_jjP12ihipStream_tbEUlT_E2_NS1_11comp_targetILNS1_3genE10ELNS1_11target_archE1201ELNS1_3gpuE5ELNS1_3repE0EEENS1_30default_config_static_selectorELNS0_4arch9wavefront6targetE0EEEvSK_: ; @_ZN7rocprim17ROCPRIM_400000_NS6detail17trampoline_kernelINS0_14default_configENS1_36segmented_radix_sort_config_selectorIhlEEZNS1_25segmented_radix_sort_implIS3_Lb0EPKhPhPKlPlN2at6native12_GLOBAL__N_18offset_tEEE10hipError_tPvRmT1_PNSt15iterator_traitsISK_E10value_typeET2_T3_PNSL_ISQ_E10value_typeET4_jRbjT5_SW_jjP12ihipStream_tbEUlT_E2_NS1_11comp_targetILNS1_3genE10ELNS1_11target_archE1201ELNS1_3gpuE5ELNS1_3repE0EEENS1_30default_config_static_selectorELNS0_4arch9wavefront6targetE0EEEvSK_
; %bb.0:
	.section	.rodata,"a",@progbits
	.p2align	6, 0x0
	.amdhsa_kernel _ZN7rocprim17ROCPRIM_400000_NS6detail17trampoline_kernelINS0_14default_configENS1_36segmented_radix_sort_config_selectorIhlEEZNS1_25segmented_radix_sort_implIS3_Lb0EPKhPhPKlPlN2at6native12_GLOBAL__N_18offset_tEEE10hipError_tPvRmT1_PNSt15iterator_traitsISK_E10value_typeET2_T3_PNSL_ISQ_E10value_typeET4_jRbjT5_SW_jjP12ihipStream_tbEUlT_E2_NS1_11comp_targetILNS1_3genE10ELNS1_11target_archE1201ELNS1_3gpuE5ELNS1_3repE0EEENS1_30default_config_static_selectorELNS0_4arch9wavefront6targetE0EEEvSK_
		.amdhsa_group_segment_fixed_size 0
		.amdhsa_private_segment_fixed_size 0
		.amdhsa_kernarg_size 80
		.amdhsa_user_sgpr_count 15
		.amdhsa_user_sgpr_dispatch_ptr 0
		.amdhsa_user_sgpr_queue_ptr 0
		.amdhsa_user_sgpr_kernarg_segment_ptr 1
		.amdhsa_user_sgpr_dispatch_id 0
		.amdhsa_user_sgpr_private_segment_size 0
		.amdhsa_wavefront_size32 1
		.amdhsa_uses_dynamic_stack 0
		.amdhsa_enable_private_segment 0
		.amdhsa_system_sgpr_workgroup_id_x 1
		.amdhsa_system_sgpr_workgroup_id_y 0
		.amdhsa_system_sgpr_workgroup_id_z 0
		.amdhsa_system_sgpr_workgroup_info 0
		.amdhsa_system_vgpr_workitem_id 0
		.amdhsa_next_free_vgpr 1
		.amdhsa_next_free_sgpr 1
		.amdhsa_reserve_vcc 0
		.amdhsa_float_round_mode_32 0
		.amdhsa_float_round_mode_16_64 0
		.amdhsa_float_denorm_mode_32 3
		.amdhsa_float_denorm_mode_16_64 3
		.amdhsa_dx10_clamp 1
		.amdhsa_ieee_mode 1
		.amdhsa_fp16_overflow 0
		.amdhsa_workgroup_processor_mode 1
		.amdhsa_memory_ordered 1
		.amdhsa_forward_progress 0
		.amdhsa_shared_vgpr_count 0
		.amdhsa_exception_fp_ieee_invalid_op 0
		.amdhsa_exception_fp_denorm_src 0
		.amdhsa_exception_fp_ieee_div_zero 0
		.amdhsa_exception_fp_ieee_overflow 0
		.amdhsa_exception_fp_ieee_underflow 0
		.amdhsa_exception_fp_ieee_inexact 0
		.amdhsa_exception_int_div_zero 0
	.end_amdhsa_kernel
	.section	.text._ZN7rocprim17ROCPRIM_400000_NS6detail17trampoline_kernelINS0_14default_configENS1_36segmented_radix_sort_config_selectorIhlEEZNS1_25segmented_radix_sort_implIS3_Lb0EPKhPhPKlPlN2at6native12_GLOBAL__N_18offset_tEEE10hipError_tPvRmT1_PNSt15iterator_traitsISK_E10value_typeET2_T3_PNSL_ISQ_E10value_typeET4_jRbjT5_SW_jjP12ihipStream_tbEUlT_E2_NS1_11comp_targetILNS1_3genE10ELNS1_11target_archE1201ELNS1_3gpuE5ELNS1_3repE0EEENS1_30default_config_static_selectorELNS0_4arch9wavefront6targetE0EEEvSK_,"axG",@progbits,_ZN7rocprim17ROCPRIM_400000_NS6detail17trampoline_kernelINS0_14default_configENS1_36segmented_radix_sort_config_selectorIhlEEZNS1_25segmented_radix_sort_implIS3_Lb0EPKhPhPKlPlN2at6native12_GLOBAL__N_18offset_tEEE10hipError_tPvRmT1_PNSt15iterator_traitsISK_E10value_typeET2_T3_PNSL_ISQ_E10value_typeET4_jRbjT5_SW_jjP12ihipStream_tbEUlT_E2_NS1_11comp_targetILNS1_3genE10ELNS1_11target_archE1201ELNS1_3gpuE5ELNS1_3repE0EEENS1_30default_config_static_selectorELNS0_4arch9wavefront6targetE0EEEvSK_,comdat
.Lfunc_end221:
	.size	_ZN7rocprim17ROCPRIM_400000_NS6detail17trampoline_kernelINS0_14default_configENS1_36segmented_radix_sort_config_selectorIhlEEZNS1_25segmented_radix_sort_implIS3_Lb0EPKhPhPKlPlN2at6native12_GLOBAL__N_18offset_tEEE10hipError_tPvRmT1_PNSt15iterator_traitsISK_E10value_typeET2_T3_PNSL_ISQ_E10value_typeET4_jRbjT5_SW_jjP12ihipStream_tbEUlT_E2_NS1_11comp_targetILNS1_3genE10ELNS1_11target_archE1201ELNS1_3gpuE5ELNS1_3repE0EEENS1_30default_config_static_selectorELNS0_4arch9wavefront6targetE0EEEvSK_, .Lfunc_end221-_ZN7rocprim17ROCPRIM_400000_NS6detail17trampoline_kernelINS0_14default_configENS1_36segmented_radix_sort_config_selectorIhlEEZNS1_25segmented_radix_sort_implIS3_Lb0EPKhPhPKlPlN2at6native12_GLOBAL__N_18offset_tEEE10hipError_tPvRmT1_PNSt15iterator_traitsISK_E10value_typeET2_T3_PNSL_ISQ_E10value_typeET4_jRbjT5_SW_jjP12ihipStream_tbEUlT_E2_NS1_11comp_targetILNS1_3genE10ELNS1_11target_archE1201ELNS1_3gpuE5ELNS1_3repE0EEENS1_30default_config_static_selectorELNS0_4arch9wavefront6targetE0EEEvSK_
                                        ; -- End function
	.section	.AMDGPU.csdata,"",@progbits
; Kernel info:
; codeLenInByte = 0
; NumSgprs: 0
; NumVgprs: 0
; ScratchSize: 0
; MemoryBound: 0
; FloatMode: 240
; IeeeMode: 1
; LDSByteSize: 0 bytes/workgroup (compile time only)
; SGPRBlocks: 0
; VGPRBlocks: 0
; NumSGPRsForWavesPerEU: 1
; NumVGPRsForWavesPerEU: 1
; Occupancy: 16
; WaveLimiterHint : 0
; COMPUTE_PGM_RSRC2:SCRATCH_EN: 0
; COMPUTE_PGM_RSRC2:USER_SGPR: 15
; COMPUTE_PGM_RSRC2:TRAP_HANDLER: 0
; COMPUTE_PGM_RSRC2:TGID_X_EN: 1
; COMPUTE_PGM_RSRC2:TGID_Y_EN: 0
; COMPUTE_PGM_RSRC2:TGID_Z_EN: 0
; COMPUTE_PGM_RSRC2:TIDIG_COMP_CNT: 0
	.section	.text._ZN7rocprim17ROCPRIM_400000_NS6detail17trampoline_kernelINS0_14default_configENS1_36segmented_radix_sort_config_selectorIhlEEZNS1_25segmented_radix_sort_implIS3_Lb0EPKhPhPKlPlN2at6native12_GLOBAL__N_18offset_tEEE10hipError_tPvRmT1_PNSt15iterator_traitsISK_E10value_typeET2_T3_PNSL_ISQ_E10value_typeET4_jRbjT5_SW_jjP12ihipStream_tbEUlT_E2_NS1_11comp_targetILNS1_3genE10ELNS1_11target_archE1200ELNS1_3gpuE4ELNS1_3repE0EEENS1_30default_config_static_selectorELNS0_4arch9wavefront6targetE0EEEvSK_,"axG",@progbits,_ZN7rocprim17ROCPRIM_400000_NS6detail17trampoline_kernelINS0_14default_configENS1_36segmented_radix_sort_config_selectorIhlEEZNS1_25segmented_radix_sort_implIS3_Lb0EPKhPhPKlPlN2at6native12_GLOBAL__N_18offset_tEEE10hipError_tPvRmT1_PNSt15iterator_traitsISK_E10value_typeET2_T3_PNSL_ISQ_E10value_typeET4_jRbjT5_SW_jjP12ihipStream_tbEUlT_E2_NS1_11comp_targetILNS1_3genE10ELNS1_11target_archE1200ELNS1_3gpuE4ELNS1_3repE0EEENS1_30default_config_static_selectorELNS0_4arch9wavefront6targetE0EEEvSK_,comdat
	.globl	_ZN7rocprim17ROCPRIM_400000_NS6detail17trampoline_kernelINS0_14default_configENS1_36segmented_radix_sort_config_selectorIhlEEZNS1_25segmented_radix_sort_implIS3_Lb0EPKhPhPKlPlN2at6native12_GLOBAL__N_18offset_tEEE10hipError_tPvRmT1_PNSt15iterator_traitsISK_E10value_typeET2_T3_PNSL_ISQ_E10value_typeET4_jRbjT5_SW_jjP12ihipStream_tbEUlT_E2_NS1_11comp_targetILNS1_3genE10ELNS1_11target_archE1200ELNS1_3gpuE4ELNS1_3repE0EEENS1_30default_config_static_selectorELNS0_4arch9wavefront6targetE0EEEvSK_ ; -- Begin function _ZN7rocprim17ROCPRIM_400000_NS6detail17trampoline_kernelINS0_14default_configENS1_36segmented_radix_sort_config_selectorIhlEEZNS1_25segmented_radix_sort_implIS3_Lb0EPKhPhPKlPlN2at6native12_GLOBAL__N_18offset_tEEE10hipError_tPvRmT1_PNSt15iterator_traitsISK_E10value_typeET2_T3_PNSL_ISQ_E10value_typeET4_jRbjT5_SW_jjP12ihipStream_tbEUlT_E2_NS1_11comp_targetILNS1_3genE10ELNS1_11target_archE1200ELNS1_3gpuE4ELNS1_3repE0EEENS1_30default_config_static_selectorELNS0_4arch9wavefront6targetE0EEEvSK_
	.p2align	8
	.type	_ZN7rocprim17ROCPRIM_400000_NS6detail17trampoline_kernelINS0_14default_configENS1_36segmented_radix_sort_config_selectorIhlEEZNS1_25segmented_radix_sort_implIS3_Lb0EPKhPhPKlPlN2at6native12_GLOBAL__N_18offset_tEEE10hipError_tPvRmT1_PNSt15iterator_traitsISK_E10value_typeET2_T3_PNSL_ISQ_E10value_typeET4_jRbjT5_SW_jjP12ihipStream_tbEUlT_E2_NS1_11comp_targetILNS1_3genE10ELNS1_11target_archE1200ELNS1_3gpuE4ELNS1_3repE0EEENS1_30default_config_static_selectorELNS0_4arch9wavefront6targetE0EEEvSK_,@function
_ZN7rocprim17ROCPRIM_400000_NS6detail17trampoline_kernelINS0_14default_configENS1_36segmented_radix_sort_config_selectorIhlEEZNS1_25segmented_radix_sort_implIS3_Lb0EPKhPhPKlPlN2at6native12_GLOBAL__N_18offset_tEEE10hipError_tPvRmT1_PNSt15iterator_traitsISK_E10value_typeET2_T3_PNSL_ISQ_E10value_typeET4_jRbjT5_SW_jjP12ihipStream_tbEUlT_E2_NS1_11comp_targetILNS1_3genE10ELNS1_11target_archE1200ELNS1_3gpuE4ELNS1_3repE0EEENS1_30default_config_static_selectorELNS0_4arch9wavefront6targetE0EEEvSK_: ; @_ZN7rocprim17ROCPRIM_400000_NS6detail17trampoline_kernelINS0_14default_configENS1_36segmented_radix_sort_config_selectorIhlEEZNS1_25segmented_radix_sort_implIS3_Lb0EPKhPhPKlPlN2at6native12_GLOBAL__N_18offset_tEEE10hipError_tPvRmT1_PNSt15iterator_traitsISK_E10value_typeET2_T3_PNSL_ISQ_E10value_typeET4_jRbjT5_SW_jjP12ihipStream_tbEUlT_E2_NS1_11comp_targetILNS1_3genE10ELNS1_11target_archE1200ELNS1_3gpuE4ELNS1_3repE0EEENS1_30default_config_static_selectorELNS0_4arch9wavefront6targetE0EEEvSK_
; %bb.0:
	.section	.rodata,"a",@progbits
	.p2align	6, 0x0
	.amdhsa_kernel _ZN7rocprim17ROCPRIM_400000_NS6detail17trampoline_kernelINS0_14default_configENS1_36segmented_radix_sort_config_selectorIhlEEZNS1_25segmented_radix_sort_implIS3_Lb0EPKhPhPKlPlN2at6native12_GLOBAL__N_18offset_tEEE10hipError_tPvRmT1_PNSt15iterator_traitsISK_E10value_typeET2_T3_PNSL_ISQ_E10value_typeET4_jRbjT5_SW_jjP12ihipStream_tbEUlT_E2_NS1_11comp_targetILNS1_3genE10ELNS1_11target_archE1200ELNS1_3gpuE4ELNS1_3repE0EEENS1_30default_config_static_selectorELNS0_4arch9wavefront6targetE0EEEvSK_
		.amdhsa_group_segment_fixed_size 0
		.amdhsa_private_segment_fixed_size 0
		.amdhsa_kernarg_size 80
		.amdhsa_user_sgpr_count 15
		.amdhsa_user_sgpr_dispatch_ptr 0
		.amdhsa_user_sgpr_queue_ptr 0
		.amdhsa_user_sgpr_kernarg_segment_ptr 1
		.amdhsa_user_sgpr_dispatch_id 0
		.amdhsa_user_sgpr_private_segment_size 0
		.amdhsa_wavefront_size32 1
		.amdhsa_uses_dynamic_stack 0
		.amdhsa_enable_private_segment 0
		.amdhsa_system_sgpr_workgroup_id_x 1
		.amdhsa_system_sgpr_workgroup_id_y 0
		.amdhsa_system_sgpr_workgroup_id_z 0
		.amdhsa_system_sgpr_workgroup_info 0
		.amdhsa_system_vgpr_workitem_id 0
		.amdhsa_next_free_vgpr 1
		.amdhsa_next_free_sgpr 1
		.amdhsa_reserve_vcc 0
		.amdhsa_float_round_mode_32 0
		.amdhsa_float_round_mode_16_64 0
		.amdhsa_float_denorm_mode_32 3
		.amdhsa_float_denorm_mode_16_64 3
		.amdhsa_dx10_clamp 1
		.amdhsa_ieee_mode 1
		.amdhsa_fp16_overflow 0
		.amdhsa_workgroup_processor_mode 1
		.amdhsa_memory_ordered 1
		.amdhsa_forward_progress 0
		.amdhsa_shared_vgpr_count 0
		.amdhsa_exception_fp_ieee_invalid_op 0
		.amdhsa_exception_fp_denorm_src 0
		.amdhsa_exception_fp_ieee_div_zero 0
		.amdhsa_exception_fp_ieee_overflow 0
		.amdhsa_exception_fp_ieee_underflow 0
		.amdhsa_exception_fp_ieee_inexact 0
		.amdhsa_exception_int_div_zero 0
	.end_amdhsa_kernel
	.section	.text._ZN7rocprim17ROCPRIM_400000_NS6detail17trampoline_kernelINS0_14default_configENS1_36segmented_radix_sort_config_selectorIhlEEZNS1_25segmented_radix_sort_implIS3_Lb0EPKhPhPKlPlN2at6native12_GLOBAL__N_18offset_tEEE10hipError_tPvRmT1_PNSt15iterator_traitsISK_E10value_typeET2_T3_PNSL_ISQ_E10value_typeET4_jRbjT5_SW_jjP12ihipStream_tbEUlT_E2_NS1_11comp_targetILNS1_3genE10ELNS1_11target_archE1200ELNS1_3gpuE4ELNS1_3repE0EEENS1_30default_config_static_selectorELNS0_4arch9wavefront6targetE0EEEvSK_,"axG",@progbits,_ZN7rocprim17ROCPRIM_400000_NS6detail17trampoline_kernelINS0_14default_configENS1_36segmented_radix_sort_config_selectorIhlEEZNS1_25segmented_radix_sort_implIS3_Lb0EPKhPhPKlPlN2at6native12_GLOBAL__N_18offset_tEEE10hipError_tPvRmT1_PNSt15iterator_traitsISK_E10value_typeET2_T3_PNSL_ISQ_E10value_typeET4_jRbjT5_SW_jjP12ihipStream_tbEUlT_E2_NS1_11comp_targetILNS1_3genE10ELNS1_11target_archE1200ELNS1_3gpuE4ELNS1_3repE0EEENS1_30default_config_static_selectorELNS0_4arch9wavefront6targetE0EEEvSK_,comdat
.Lfunc_end222:
	.size	_ZN7rocprim17ROCPRIM_400000_NS6detail17trampoline_kernelINS0_14default_configENS1_36segmented_radix_sort_config_selectorIhlEEZNS1_25segmented_radix_sort_implIS3_Lb0EPKhPhPKlPlN2at6native12_GLOBAL__N_18offset_tEEE10hipError_tPvRmT1_PNSt15iterator_traitsISK_E10value_typeET2_T3_PNSL_ISQ_E10value_typeET4_jRbjT5_SW_jjP12ihipStream_tbEUlT_E2_NS1_11comp_targetILNS1_3genE10ELNS1_11target_archE1200ELNS1_3gpuE4ELNS1_3repE0EEENS1_30default_config_static_selectorELNS0_4arch9wavefront6targetE0EEEvSK_, .Lfunc_end222-_ZN7rocprim17ROCPRIM_400000_NS6detail17trampoline_kernelINS0_14default_configENS1_36segmented_radix_sort_config_selectorIhlEEZNS1_25segmented_radix_sort_implIS3_Lb0EPKhPhPKlPlN2at6native12_GLOBAL__N_18offset_tEEE10hipError_tPvRmT1_PNSt15iterator_traitsISK_E10value_typeET2_T3_PNSL_ISQ_E10value_typeET4_jRbjT5_SW_jjP12ihipStream_tbEUlT_E2_NS1_11comp_targetILNS1_3genE10ELNS1_11target_archE1200ELNS1_3gpuE4ELNS1_3repE0EEENS1_30default_config_static_selectorELNS0_4arch9wavefront6targetE0EEEvSK_
                                        ; -- End function
	.section	.AMDGPU.csdata,"",@progbits
; Kernel info:
; codeLenInByte = 0
; NumSgprs: 0
; NumVgprs: 0
; ScratchSize: 0
; MemoryBound: 0
; FloatMode: 240
; IeeeMode: 1
; LDSByteSize: 0 bytes/workgroup (compile time only)
; SGPRBlocks: 0
; VGPRBlocks: 0
; NumSGPRsForWavesPerEU: 1
; NumVGPRsForWavesPerEU: 1
; Occupancy: 16
; WaveLimiterHint : 0
; COMPUTE_PGM_RSRC2:SCRATCH_EN: 0
; COMPUTE_PGM_RSRC2:USER_SGPR: 15
; COMPUTE_PGM_RSRC2:TRAP_HANDLER: 0
; COMPUTE_PGM_RSRC2:TGID_X_EN: 1
; COMPUTE_PGM_RSRC2:TGID_Y_EN: 0
; COMPUTE_PGM_RSRC2:TGID_Z_EN: 0
; COMPUTE_PGM_RSRC2:TIDIG_COMP_CNT: 0
	.section	.text._ZN7rocprim17ROCPRIM_400000_NS6detail17trampoline_kernelINS0_14default_configENS1_36segmented_radix_sort_config_selectorIhlEEZNS1_25segmented_radix_sort_implIS3_Lb0EPKhPhPKlPlN2at6native12_GLOBAL__N_18offset_tEEE10hipError_tPvRmT1_PNSt15iterator_traitsISK_E10value_typeET2_T3_PNSL_ISQ_E10value_typeET4_jRbjT5_SW_jjP12ihipStream_tbEUlT_E2_NS1_11comp_targetILNS1_3genE9ELNS1_11target_archE1100ELNS1_3gpuE3ELNS1_3repE0EEENS1_30default_config_static_selectorELNS0_4arch9wavefront6targetE0EEEvSK_,"axG",@progbits,_ZN7rocprim17ROCPRIM_400000_NS6detail17trampoline_kernelINS0_14default_configENS1_36segmented_radix_sort_config_selectorIhlEEZNS1_25segmented_radix_sort_implIS3_Lb0EPKhPhPKlPlN2at6native12_GLOBAL__N_18offset_tEEE10hipError_tPvRmT1_PNSt15iterator_traitsISK_E10value_typeET2_T3_PNSL_ISQ_E10value_typeET4_jRbjT5_SW_jjP12ihipStream_tbEUlT_E2_NS1_11comp_targetILNS1_3genE9ELNS1_11target_archE1100ELNS1_3gpuE3ELNS1_3repE0EEENS1_30default_config_static_selectorELNS0_4arch9wavefront6targetE0EEEvSK_,comdat
	.globl	_ZN7rocprim17ROCPRIM_400000_NS6detail17trampoline_kernelINS0_14default_configENS1_36segmented_radix_sort_config_selectorIhlEEZNS1_25segmented_radix_sort_implIS3_Lb0EPKhPhPKlPlN2at6native12_GLOBAL__N_18offset_tEEE10hipError_tPvRmT1_PNSt15iterator_traitsISK_E10value_typeET2_T3_PNSL_ISQ_E10value_typeET4_jRbjT5_SW_jjP12ihipStream_tbEUlT_E2_NS1_11comp_targetILNS1_3genE9ELNS1_11target_archE1100ELNS1_3gpuE3ELNS1_3repE0EEENS1_30default_config_static_selectorELNS0_4arch9wavefront6targetE0EEEvSK_ ; -- Begin function _ZN7rocprim17ROCPRIM_400000_NS6detail17trampoline_kernelINS0_14default_configENS1_36segmented_radix_sort_config_selectorIhlEEZNS1_25segmented_radix_sort_implIS3_Lb0EPKhPhPKlPlN2at6native12_GLOBAL__N_18offset_tEEE10hipError_tPvRmT1_PNSt15iterator_traitsISK_E10value_typeET2_T3_PNSL_ISQ_E10value_typeET4_jRbjT5_SW_jjP12ihipStream_tbEUlT_E2_NS1_11comp_targetILNS1_3genE9ELNS1_11target_archE1100ELNS1_3gpuE3ELNS1_3repE0EEENS1_30default_config_static_selectorELNS0_4arch9wavefront6targetE0EEEvSK_
	.p2align	8
	.type	_ZN7rocprim17ROCPRIM_400000_NS6detail17trampoline_kernelINS0_14default_configENS1_36segmented_radix_sort_config_selectorIhlEEZNS1_25segmented_radix_sort_implIS3_Lb0EPKhPhPKlPlN2at6native12_GLOBAL__N_18offset_tEEE10hipError_tPvRmT1_PNSt15iterator_traitsISK_E10value_typeET2_T3_PNSL_ISQ_E10value_typeET4_jRbjT5_SW_jjP12ihipStream_tbEUlT_E2_NS1_11comp_targetILNS1_3genE9ELNS1_11target_archE1100ELNS1_3gpuE3ELNS1_3repE0EEENS1_30default_config_static_selectorELNS0_4arch9wavefront6targetE0EEEvSK_,@function
_ZN7rocprim17ROCPRIM_400000_NS6detail17trampoline_kernelINS0_14default_configENS1_36segmented_radix_sort_config_selectorIhlEEZNS1_25segmented_radix_sort_implIS3_Lb0EPKhPhPKlPlN2at6native12_GLOBAL__N_18offset_tEEE10hipError_tPvRmT1_PNSt15iterator_traitsISK_E10value_typeET2_T3_PNSL_ISQ_E10value_typeET4_jRbjT5_SW_jjP12ihipStream_tbEUlT_E2_NS1_11comp_targetILNS1_3genE9ELNS1_11target_archE1100ELNS1_3gpuE3ELNS1_3repE0EEENS1_30default_config_static_selectorELNS0_4arch9wavefront6targetE0EEEvSK_: ; @_ZN7rocprim17ROCPRIM_400000_NS6detail17trampoline_kernelINS0_14default_configENS1_36segmented_radix_sort_config_selectorIhlEEZNS1_25segmented_radix_sort_implIS3_Lb0EPKhPhPKlPlN2at6native12_GLOBAL__N_18offset_tEEE10hipError_tPvRmT1_PNSt15iterator_traitsISK_E10value_typeET2_T3_PNSL_ISQ_E10value_typeET4_jRbjT5_SW_jjP12ihipStream_tbEUlT_E2_NS1_11comp_targetILNS1_3genE9ELNS1_11target_archE1100ELNS1_3gpuE3ELNS1_3repE0EEENS1_30default_config_static_selectorELNS0_4arch9wavefront6targetE0EEEvSK_
; %bb.0:
	s_load_b128 s[4:7], s[0:1], 0x34
	s_mov_b32 s32, 0
	s_waitcnt lgkmcnt(0)
	s_add_i32 s28, s5, s14
	s_add_i32 s29, s7, s14
	s_mul_i32 s28, s28, s4
	s_mul_i32 s29, s29, s6
	s_delay_alu instid0(SALU_CYCLE_1)
	s_cmp_le_u32 s29, s28
	s_cbranch_scc1 .LBB223_686
; %bb.1:
	s_clause 0x3
	s_load_b32 s2, s[0:1], 0x30
	s_load_b128 s[44:47], s[0:1], 0x20
	s_load_b128 s[48:51], s[0:1], 0x44
	s_load_b256 s[36:43], s[0:1], 0x0
	s_waitcnt lgkmcnt(0)
	s_bitcmp1_b32 s2, 0
	s_mov_b32 s2, -1
	s_cselect_b32 s33, -1, 0
	s_sub_i32 s34, s29, s28
	s_delay_alu instid0(SALU_CYCLE_1)
	s_cmpk_lt_u32 s34, 0x801
	s_cbranch_scc0 .LBB223_15
; %bb.2:
	s_cmp_lt_u32 s34, 33
	s_cbranch_scc0 .LBB223_9
; %bb.3:
	s_load_b32 s2, s[0:1], 0x5c
	v_bfe_u32 v1, v0, 10, 10
	v_bfe_u32 v2, v0, 20, 10
	s_mov_b32 s18, exec_lo
	s_waitcnt lgkmcnt(0)
	s_lshr_b32 s3, s2, 16
	s_and_b32 s2, s2, 0xffff
	v_mad_u32_u24 v4, v2, s3, v1
	v_and_b32_e32 v1, 0x3ff, v0
	s_delay_alu instid0(VALU_DEP_1) | instskip(NEXT) | instid1(VALU_DEP_1)
	v_mad_u64_u32 v[2:3], null, v4, s2, v[1:2]
	v_cmpx_gt_u32_e32 8, v2
	s_cbranch_execz .LBB223_8
; %bb.4:
	v_cndmask_b32_e64 v1, 0, 1, s33
	s_and_b32 s2, s48, 1
	s_delay_alu instid0(VALU_DEP_1) | instid1(SALU_CYCLE_1)
	v_cmp_ne_u32_e32 vcc_lo, s2, v1
	s_mov_b32 s2, -1
	s_cbranch_vccnz .LBB223_6
; %bb.5:
	s_mov_b64 s[2:3], src_shared_base
	v_mov_b32_e32 v31, v0
	v_dual_mov_b32 v40, v0 :: v_dual_mov_b32 v1, s37
	v_mov_b32_e32 v0, s36
	v_dual_mov_b32 v2, s40 :: v_dual_mov_b32 v3, s41
	v_dual_mov_b32 v4, s42 :: v_dual_mov_b32 v5, s43
	;; [unrolled: 1-line block ×6, first 2 shown]
	s_add_u32 s8, s0, 0x50
	s_addc_u32 s9, s1, 0
	s_mov_b32 s12, s14
	s_mov_b32 s13, s15
	s_getpc_b64 s[4:5]
	s_add_u32 s4, s4, _ZN7rocprim17ROCPRIM_400000_NS6detail26segmented_warp_sort_helperINS1_20WarpSortHelperConfigILj8ELj4ELj256EEEhlLi256ELb0EvE4sortIPKhPhPKlPlEEvT_T0_T1_T2_jjjjRNS5_12storage_typeE@rel32@lo+4
	s_addc_u32 s5, s5, _ZN7rocprim17ROCPRIM_400000_NS6detail26segmented_warp_sort_helperINS1_20WarpSortHelperConfigILj8ELj4ELj256EEEhlLi256ELb0EvE4sortIPKhPhPKlPlEEvT_T0_T1_T2_jjjjRNS5_12storage_typeE@rel32@hi+12
	s_mov_b64 s[16:17], s[0:1]
	s_mov_b32 s19, s15
	s_mov_b32 s20, s14
	s_swappc_b64 s[30:31], s[4:5]
	v_mov_b32_e32 v0, v40
	s_mov_b32 s14, s20
	s_mov_b32 s15, s19
	s_mov_b64 s[0:1], s[16:17]
	s_mov_b32 s2, 0
.LBB223_6:
	s_delay_alu instid0(SALU_CYCLE_1)
	s_and_not1_b32 vcc_lo, exec_lo, s2
	s_cbranch_vccnz .LBB223_8
; %bb.7:
	s_mov_b64 s[2:3], src_shared_base
	v_mov_b32_e32 v31, v0
	v_dual_mov_b32 v40, v0 :: v_dual_mov_b32 v1, s37
	v_mov_b32_e32 v0, s36
	v_dual_mov_b32 v2, s38 :: v_dual_mov_b32 v3, s39
	v_dual_mov_b32 v4, s42 :: v_dual_mov_b32 v5, s43
	;; [unrolled: 1-line block ×6, first 2 shown]
	s_add_u32 s8, s0, 0x50
	s_addc_u32 s9, s1, 0
	s_mov_b32 s12, s14
	s_mov_b32 s13, s15
	s_getpc_b64 s[4:5]
	s_add_u32 s4, s4, _ZN7rocprim17ROCPRIM_400000_NS6detail26segmented_warp_sort_helperINS1_20WarpSortHelperConfigILj8ELj4ELj256EEEhlLi256ELb0EvE4sortIPKhPhPKlPlEEvT_T0_T1_T2_jjjjRNS5_12storage_typeE@rel32@lo+4
	s_addc_u32 s5, s5, _ZN7rocprim17ROCPRIM_400000_NS6detail26segmented_warp_sort_helperINS1_20WarpSortHelperConfigILj8ELj4ELj256EEEhlLi256ELb0EvE4sortIPKhPhPKlPlEEvT_T0_T1_T2_jjjjRNS5_12storage_typeE@rel32@hi+12
	s_mov_b64 s[16:17], s[0:1]
	s_mov_b32 s20, s15
	s_mov_b32 s19, s14
	s_swappc_b64 s[30:31], s[4:5]
	v_mov_b32_e32 v0, v40
	s_mov_b32 s14, s19
	s_mov_b32 s15, s20
	s_mov_b64 s[0:1], s[16:17]
.LBB223_8:
	s_or_b32 exec_lo, exec_lo, s18
	s_mov_b32 s2, 0
.LBB223_9:
	s_delay_alu instid0(SALU_CYCLE_1)
	s_and_not1_b32 vcc_lo, exec_lo, s2
	s_cbranch_vccnz .LBB223_14
; %bb.10:
	v_cndmask_b32_e64 v1, 0, 1, s33
	s_and_b32 s2, s48, 1
	s_delay_alu instid0(VALU_DEP_1) | instid1(SALU_CYCLE_1)
	v_cmp_ne_u32_e32 vcc_lo, s2, v1
	s_mov_b32 s2, -1
	s_cbranch_vccnz .LBB223_12
; %bb.11:
	s_mov_b64 s[2:3], src_shared_base
	v_mov_b32_e32 v31, v0
	v_dual_mov_b32 v40, v0 :: v_dual_mov_b32 v1, s37
	v_mov_b32_e32 v0, s36
	v_dual_mov_b32 v2, s40 :: v_dual_mov_b32 v3, s41
	v_dual_mov_b32 v4, s42 :: v_dual_mov_b32 v5, s43
	;; [unrolled: 1-line block ×6, first 2 shown]
	s_add_u32 s8, s0, 0x50
	s_addc_u32 s9, s1, 0
	s_mov_b32 s12, s14
	s_mov_b32 s13, s15
	s_getpc_b64 s[4:5]
	s_add_u32 s4, s4, _ZN7rocprim17ROCPRIM_400000_NS6detail40segmented_radix_sort_single_block_helperIhlLj256ELj8ELb0EE4sortIPKhPhPKlPlEEbT_T0_T1_T2_jjjjRNS3_12storage_typeE@rel32@lo+4
	s_addc_u32 s5, s5, _ZN7rocprim17ROCPRIM_400000_NS6detail40segmented_radix_sort_single_block_helperIhlLj256ELj8ELb0EE4sortIPKhPhPKlPlEEbT_T0_T1_T2_jjjjRNS3_12storage_typeE@rel32@hi+12
	s_mov_b64 s[26:27], s[0:1]
	s_mov_b32 s35, s15
	s_mov_b32 s48, s14
	s_swappc_b64 s[30:31], s[4:5]
	v_mov_b32_e32 v0, v40
	s_mov_b32 s14, s48
	s_mov_b32 s15, s35
	s_mov_b64 s[0:1], s[26:27]
	s_mov_b32 s2, 0
.LBB223_12:
	s_delay_alu instid0(SALU_CYCLE_1)
	s_and_not1_b32 vcc_lo, exec_lo, s2
	s_cbranch_vccnz .LBB223_14
; %bb.13:
	s_mov_b64 s[2:3], src_shared_base
	v_mov_b32_e32 v31, v0
	v_dual_mov_b32 v40, v0 :: v_dual_mov_b32 v1, s37
	v_mov_b32_e32 v0, s36
	v_dual_mov_b32 v2, s38 :: v_dual_mov_b32 v3, s39
	v_dual_mov_b32 v4, s42 :: v_dual_mov_b32 v5, s43
	;; [unrolled: 1-line block ×6, first 2 shown]
	s_add_u32 s8, s0, 0x50
	s_addc_u32 s9, s1, 0
	s_mov_b32 s12, s14
	s_mov_b32 s13, s15
	s_getpc_b64 s[4:5]
	s_add_u32 s4, s4, _ZN7rocprim17ROCPRIM_400000_NS6detail40segmented_radix_sort_single_block_helperIhlLj256ELj8ELb0EE4sortIPKhPhPKlPlEEbT_T0_T1_T2_jjjjRNS3_12storage_typeE@rel32@lo+4
	s_addc_u32 s5, s5, _ZN7rocprim17ROCPRIM_400000_NS6detail40segmented_radix_sort_single_block_helperIhlLj256ELj8ELb0EE4sortIPKhPhPKlPlEEbT_T0_T1_T2_jjjjRNS3_12storage_typeE@rel32@hi+12
	s_mov_b64 s[26:27], s[0:1]
	s_mov_b32 s48, s15
	s_mov_b32 s35, s14
	s_swappc_b64 s[30:31], s[4:5]
	v_mov_b32_e32 v0, v40
	s_mov_b32 s14, s35
	s_mov_b32 s15, s48
	s_mov_b64 s[0:1], s[26:27]
.LBB223_14:
	s_mov_b32 s2, 0
.LBB223_15:
	s_delay_alu instid0(SALU_CYCLE_1)
	s_and_not1_b32 vcc_lo, exec_lo, s2
	s_cbranch_vccnz .LBB223_686
; %bb.16:
	s_cmp_ge_u32 s49, s50
	s_cbranch_scc1 .LBB223_686
; %bb.17:
	v_dual_mov_b32 v66, 1 :: v_dual_and_b32 v1, 0x3ff, v0
	v_mov_b32_e32 v3, 0
	v_mbcnt_lo_u32_b32 v63, -1, 0
	v_bfe_u32 v45, v0, 20, 10
	s_delay_alu instid0(VALU_DEP_4) | instskip(SKIP_4) | instid1(VALU_DEP_4)
	v_lshlrev_b32_e32 v28, 2, v1
	v_lshrrev_b32_e32 v2, 3, v1
	v_or_b32_e32 v4, 31, v1
	v_lshlrev_b32_e32 v5, 5, v1
	v_add_co_u32 v33, s2, s40, v1
	v_and_b32_e32 v38, 28, v2
	v_lshlrev_b32_e32 v2, 3, v1
	v_cmp_eq_u32_e64 s3, v4, v1
	v_add_nc_u32_e32 v4, 1, v1
	v_sub_nc_u32_e32 v48, 0, v5
	v_mad_u32_u24 v40, v1, 12, v28
	v_and_b32_e32 v44, 0x700, v2
	v_mul_u32_u24_e32 v2, 9, v1
	v_cmp_ne_u32_e64 s7, 0x100, v4
	v_or_b32_e32 v29, 0x100, v1
	v_or_b32_e32 v30, 0x200, v1
	v_lshlrev_b32_e32 v5, 3, v44
	v_lshl_add_u32 v47, v2, 2, 0x420
	v_mul_u32_u24_e32 v2, 9, v4
	v_or_b32_e32 v31, 0x300, v1
	v_and_b32_e32 v32, 3, v1
	v_add_co_u32 v50, s8, s46, v5
	s_delay_alu instid0(VALU_DEP_4) | instskip(SKIP_2) | instid1(VALU_DEP_1)
	v_lshlrev_b32_e32 v49, 2, v2
	v_add_co_ci_u32_e64 v51, null, s47, 0, s8
	v_add_co_u32 v2, s8, s40, v44
	v_add_co_ci_u32_e64 v4, null, s41, 0, s8
	v_add_co_u32 v53, s8, s38, v1
	s_delay_alu instid0(VALU_DEP_1) | instskip(SKIP_1) | instid1(VALU_DEP_1)
	v_add_co_ci_u32_e64 v54, null, s39, 0, s8
	v_add_co_u32 v55, s8, s44, v5
	v_add_co_ci_u32_e64 v56, null, s45, 0, s8
	v_add_co_u32 v57, s8, s38, v44
	s_delay_alu instid0(VALU_DEP_1) | instskip(SKIP_1) | instid1(VALU_DEP_1)
	v_add_co_ci_u32_e64 v58, null, s39, 0, s8
	v_add_co_u32 v59, s8, s36, v1
	v_add_co_ci_u32_e64 v60, null, s37, 0, s8
	v_add_co_u32 v61, s8, s42, v5
	s_delay_alu instid0(VALU_DEP_1)
	v_add_co_ci_u32_e64 v62, null, s43, 0, s8
	v_add_co_u32 v64, s8, s36, v44
	v_add_co_u32 v67, vcc_lo, v2, v63
	v_add_co_ci_u32_e64 v34, null, s41, 0, s2
	v_or_b32_e32 v35, 0x400, v1
	v_or_b32_e32 v36, 0x500, v1
	v_or_b32_e32 v37, 0x600, v1
	v_or_b32_e32 v39, 0x700, v1
	v_cmp_gt_u32_e64 s2, 0x100, v1
	v_or_b32_e32 v41, 0x4400, v38
	v_cmp_gt_u32_e64 s4, 8, v1
	v_add_nc_u32_e32 v42, 0x4400, v28
	v_cmp_lt_u32_e64 s5, 31, v1
	v_add_nc_u32_e32 v43, 0x43fc, v38
	v_bfe_u32 v0, v0, 10, 10
	v_mad_u32_u24 v46, v1, 20, v40
	v_cmp_eq_u32_e64 s6, 0, v1
	v_mul_u32_u24_e32 v52, 7, v1
	v_add_co_ci_u32_e64 v65, null, s37, 0, s8
	v_add_co_ci_u32_e32 v68, vcc_lo, 0, v4, vcc_lo
	s_add_u32 s26, s0, 0x50
	s_mov_b32 s25, 0
	s_addc_u32 s27, s1, 0
	s_mov_b32 s30, s49
	s_branch .LBB223_20
.LBB223_18:                             ;   in Loop: Header=BB223_20 Depth=1
	s_waitcnt lgkmcnt(0)
	s_barrier
.LBB223_19:                             ;   in Loop: Header=BB223_20 Depth=1
	s_add_i32 s30, s30, 8
	buffer_gl0_inv
	s_cmp_ge_u32 s30, s50
	s_cbranch_scc1 .LBB223_686
.LBB223_20:                             ; =>This Loop Header: Depth=1
                                        ;     Child Loop BB223_24 Depth 2
                                        ;     Child Loop BB223_74 Depth 2
	;; [unrolled: 1-line block ×8, first 2 shown]
	s_sub_i32 s0, s50, s30
	s_xor_b32 s33, s33, -1
	s_min_u32 s0, s0, 8
	ds_store_2addr_stride64_b32 v28, v3, v3 offset1:4
	s_lshl_b32 s0, -1, s0
	ds_store_2addr_stride64_b32 v28, v3, v3 offset0:8 offset1:12
	s_not_b32 s31, s0
	s_cmp_lg_u32 s30, s49
	s_mov_b32 s0, -1
	s_waitcnt lgkmcnt(0)
	s_waitcnt_vscnt null, 0x0
	s_cbranch_scc0 .LBB223_354
; %bb.21:                               ;   in Loop: Header=BB223_20 Depth=1
	s_and_b32 vcc_lo, exec_lo, s33
	s_cbranch_vccz .LBB223_187
; %bb.22:                               ;   in Loop: Header=BB223_20 Depth=1
	s_mov_b32 s0, s34
	s_mov_b32 s9, s28
	s_barrier
	buffer_gl0_inv
                                        ; implicit-def: $vgpr2
                                        ; implicit-def: $vgpr6
                                        ; implicit-def: $vgpr7
                                        ; implicit-def: $vgpr8
                                        ; implicit-def: $vgpr9
                                        ; implicit-def: $vgpr10
                                        ; implicit-def: $vgpr11
                                        ; implicit-def: $vgpr12
	s_branch .LBB223_24
.LBB223_23:                             ;   in Loop: Header=BB223_24 Depth=2
	s_or_b32 exec_lo, exec_lo, s8
	s_addk_i32 s0, 0xf800
	s_cmp_ge_u32 s1, s29
	s_mov_b32 s9, s1
	s_cbranch_scc1 .LBB223_62
.LBB223_24:                             ;   Parent Loop BB223_20 Depth=1
                                        ; =>  This Inner Loop Header: Depth=2
	s_add_i32 s1, s9, 0x800
	s_delay_alu instid0(SALU_CYCLE_1)
	s_cmp_gt_u32 s1, s29
	s_cbranch_scc1 .LBB223_27
; %bb.25:                               ;   in Loop: Header=BB223_24 Depth=2
	v_add_co_u32 v4, vcc_lo, v33, s9
	v_add_co_ci_u32_e32 v5, vcc_lo, 0, v34, vcc_lo
	s_mov_b32 s8, -1
	s_movk_i32 s12, 0x800
	s_clause 0x6
	global_load_u8 v20, v[4:5], off offset:1536
	global_load_u8 v19, v[4:5], off offset:1280
	;; [unrolled: 1-line block ×6, first 2 shown]
	global_load_u8 v14, v[4:5], off
	v_add_co_u32 v4, vcc_lo, 0x700, v4
	v_add_co_ci_u32_e32 v5, vcc_lo, 0, v5, vcc_lo
	s_cbranch_execz .LBB223_28
; %bb.26:                               ;   in Loop: Header=BB223_24 Depth=2
                                        ; implicit-def: $vgpr2
                                        ; implicit-def: $vgpr6
                                        ; implicit-def: $vgpr7
                                        ; implicit-def: $vgpr8
                                        ; implicit-def: $vgpr9
                                        ; implicit-def: $vgpr10
                                        ; implicit-def: $vgpr11
                                        ; implicit-def: $vgpr12
	v_mov_b32_e32 v13, s0
	s_and_saveexec_b32 s9, s8
	s_cbranch_execnz .LBB223_39
	s_branch .LBB223_40
.LBB223_27:                             ;   in Loop: Header=BB223_24 Depth=2
	s_mov_b32 s8, 0
                                        ; implicit-def: $sgpr12
                                        ; implicit-def: $vgpr14
                                        ; implicit-def: $vgpr15
                                        ; implicit-def: $vgpr16
                                        ; implicit-def: $vgpr17
                                        ; implicit-def: $vgpr18
                                        ; implicit-def: $vgpr19
                                        ; implicit-def: $vgpr20
                                        ; implicit-def: $vgpr4_vgpr5
.LBB223_28:                             ;   in Loop: Header=BB223_24 Depth=2
	s_add_u32 s10, s40, s9
	s_addc_u32 s11, s41, 0
	s_mov_b32 s12, exec_lo
	v_cmpx_gt_u32_e64 s0, v1
	s_cbranch_execz .LBB223_56
; %bb.29:                               ;   in Loop: Header=BB223_24 Depth=2
	v_add_co_u32 v4, s13, s10, v1
	s_delay_alu instid0(VALU_DEP_1) | instskip(SKIP_2) | instid1(SALU_CYCLE_1)
	v_add_co_ci_u32_e64 v5, null, s11, 0, s13
	global_load_u8 v2, v[4:5], off
	s_or_b32 exec_lo, exec_lo, s12
	s_mov_b32 s12, exec_lo
	v_cmpx_gt_u32_e64 s0, v29
	s_cbranch_execnz .LBB223_57
.LBB223_30:                             ;   in Loop: Header=BB223_24 Depth=2
	s_or_b32 exec_lo, exec_lo, s12
	s_delay_alu instid0(SALU_CYCLE_1)
	s_mov_b32 s12, exec_lo
	v_cmpx_gt_u32_e64 s0, v30
	s_cbranch_execz .LBB223_58
.LBB223_31:                             ;   in Loop: Header=BB223_24 Depth=2
	v_add_co_u32 v4, s13, s10, v1
	s_delay_alu instid0(VALU_DEP_1) | instskip(SKIP_2) | instid1(SALU_CYCLE_1)
	v_add_co_ci_u32_e64 v5, null, s11, 0, s13
	global_load_u8 v7, v[4:5], off offset:512
	s_or_b32 exec_lo, exec_lo, s12
	s_mov_b32 s12, exec_lo
	v_cmpx_gt_u32_e64 s0, v31
	s_cbranch_execnz .LBB223_59
.LBB223_32:                             ;   in Loop: Header=BB223_24 Depth=2
	s_or_b32 exec_lo, exec_lo, s12
	s_delay_alu instid0(SALU_CYCLE_1)
	s_mov_b32 s12, exec_lo
	v_cmpx_gt_u32_e64 s0, v35
	s_cbranch_execz .LBB223_60
.LBB223_33:                             ;   in Loop: Header=BB223_24 Depth=2
	v_add_co_u32 v4, s13, s10, v1
	s_delay_alu instid0(VALU_DEP_1) | instskip(SKIP_2) | instid1(SALU_CYCLE_1)
	v_add_co_ci_u32_e64 v5, null, s11, 0, s13
	global_load_u8 v9, v[4:5], off offset:1024
	s_or_b32 exec_lo, exec_lo, s12
	s_mov_b32 s12, exec_lo
	v_cmpx_gt_u32_e64 s0, v36
	s_cbranch_execnz .LBB223_61
.LBB223_34:                             ;   in Loop: Header=BB223_24 Depth=2
	s_or_b32 exec_lo, exec_lo, s12
	s_delay_alu instid0(SALU_CYCLE_1)
	s_mov_b32 s12, exec_lo
	v_cmpx_gt_u32_e64 s0, v37
	s_cbranch_execz .LBB223_36
.LBB223_35:                             ;   in Loop: Header=BB223_24 Depth=2
	v_add_co_u32 v4, s13, s10, v1
	s_delay_alu instid0(VALU_DEP_1)
	v_add_co_ci_u32_e64 v5, null, s11, 0, s13
	global_load_u8 v11, v[4:5], off offset:1536
.LBB223_36:                             ;   in Loop: Header=BB223_24 Depth=2
	s_or_b32 exec_lo, exec_lo, s12
	s_delay_alu instid0(SALU_CYCLE_1)
	s_mov_b32 s13, exec_lo
                                        ; implicit-def: $sgpr12
                                        ; implicit-def: $vgpr4_vgpr5
	v_cmpx_gt_u32_e64 s0, v39
; %bb.37:                               ;   in Loop: Header=BB223_24 Depth=2
	v_add_co_u32 v4, s10, s10, v1
	s_delay_alu instid0(VALU_DEP_1) | instskip(SKIP_1) | instid1(VALU_DEP_2)
	v_add_co_ci_u32_e64 v5, null, s11, 0, s10
	s_sub_i32 s12, s29, s9
	v_add_co_u32 v4, vcc_lo, 0x700, v4
	s_delay_alu instid0(VALU_DEP_2)
	v_add_co_ci_u32_e32 v5, vcc_lo, 0, v5, vcc_lo
	s_or_b32 s8, s8, exec_lo
                                        ; implicit-def: $vgpr12
; %bb.38:                               ;   in Loop: Header=BB223_24 Depth=2
	s_or_b32 exec_lo, exec_lo, s13
	s_waitcnt vmcnt(0)
	v_dual_mov_b32 v14, v2 :: v_dual_mov_b32 v17, v8
	v_dual_mov_b32 v15, v6 :: v_dual_mov_b32 v16, v7
	;; [unrolled: 1-line block ×4, first 2 shown]
	s_and_saveexec_b32 s9, s8
	s_cbranch_execz .LBB223_40
.LBB223_39:                             ;   in Loop: Header=BB223_24 Depth=2
	global_load_u8 v12, v[4:5], off
	s_waitcnt vmcnt(1)
	v_dual_mov_b32 v13, s12 :: v_dual_mov_b32 v2, v14
	v_dual_mov_b32 v6, v15 :: v_dual_mov_b32 v7, v16
	;; [unrolled: 1-line block ×4, first 2 shown]
.LBB223_40:                             ;   in Loop: Header=BB223_24 Depth=2
	s_or_b32 exec_lo, exec_lo, s9
	s_delay_alu instid0(SALU_CYCLE_1)
	s_mov_b32 s8, exec_lo
	v_cmpx_lt_u32_e64 v1, v13
	s_cbranch_execz .LBB223_48
; %bb.41:                               ;   in Loop: Header=BB223_24 Depth=2
	v_and_b32_e32 v4, 0xff, v2
	v_lshlrev_b32_e32 v5, 2, v32
	s_delay_alu instid0(VALU_DEP_2) | instskip(NEXT) | instid1(VALU_DEP_1)
	v_lshrrev_b32_e32 v4, s30, v4
	v_and_b32_e32 v4, s31, v4
	s_delay_alu instid0(VALU_DEP_1) | instskip(SKIP_2) | instid1(SALU_CYCLE_1)
	v_lshl_or_b32 v4, v4, 4, v5
	ds_add_u32 v4, v66
	s_or_b32 exec_lo, exec_lo, s8
	s_mov_b32 s8, exec_lo
	v_cmpx_lt_u32_e64 v29, v13
	s_cbranch_execnz .LBB223_49
.LBB223_42:                             ;   in Loop: Header=BB223_24 Depth=2
	s_or_b32 exec_lo, exec_lo, s8
	s_delay_alu instid0(SALU_CYCLE_1)
	s_mov_b32 s8, exec_lo
	v_cmpx_lt_u32_e64 v30, v13
	s_cbranch_execz .LBB223_50
.LBB223_43:                             ;   in Loop: Header=BB223_24 Depth=2
	v_and_b32_e32 v4, 0xff, v7
	v_lshlrev_b32_e32 v5, 2, v32
	s_delay_alu instid0(VALU_DEP_2) | instskip(NEXT) | instid1(VALU_DEP_1)
	v_lshrrev_b32_e32 v4, s30, v4
	v_and_b32_e32 v4, s31, v4
	s_delay_alu instid0(VALU_DEP_1) | instskip(SKIP_2) | instid1(SALU_CYCLE_1)
	v_lshl_or_b32 v4, v4, 4, v5
	ds_add_u32 v4, v66
	s_or_b32 exec_lo, exec_lo, s8
	s_mov_b32 s8, exec_lo
	v_cmpx_lt_u32_e64 v31, v13
	s_cbranch_execnz .LBB223_51
.LBB223_44:                             ;   in Loop: Header=BB223_24 Depth=2
	s_or_b32 exec_lo, exec_lo, s8
	s_delay_alu instid0(SALU_CYCLE_1)
	s_mov_b32 s8, exec_lo
	v_cmpx_lt_u32_e64 v35, v13
	s_cbranch_execz .LBB223_52
.LBB223_45:                             ;   in Loop: Header=BB223_24 Depth=2
	v_and_b32_e32 v4, 0xff, v9
	v_lshlrev_b32_e32 v5, 2, v32
	s_delay_alu instid0(VALU_DEP_2) | instskip(NEXT) | instid1(VALU_DEP_1)
	v_lshrrev_b32_e32 v4, s30, v4
	v_and_b32_e32 v4, s31, v4
	s_delay_alu instid0(VALU_DEP_1) | instskip(SKIP_2) | instid1(SALU_CYCLE_1)
	v_lshl_or_b32 v4, v4, 4, v5
	ds_add_u32 v4, v66
	s_or_b32 exec_lo, exec_lo, s8
	s_mov_b32 s8, exec_lo
	v_cmpx_lt_u32_e64 v36, v13
	s_cbranch_execnz .LBB223_53
.LBB223_46:                             ;   in Loop: Header=BB223_24 Depth=2
	s_or_b32 exec_lo, exec_lo, s8
	s_delay_alu instid0(SALU_CYCLE_1)
	s_mov_b32 s8, exec_lo
	v_cmpx_lt_u32_e64 v37, v13
	s_cbranch_execz .LBB223_54
.LBB223_47:                             ;   in Loop: Header=BB223_24 Depth=2
	v_and_b32_e32 v4, 0xff, v11
	v_lshlrev_b32_e32 v5, 2, v32
	s_delay_alu instid0(VALU_DEP_2) | instskip(NEXT) | instid1(VALU_DEP_1)
	v_lshrrev_b32_e32 v4, s30, v4
	v_and_b32_e32 v4, s31, v4
	s_delay_alu instid0(VALU_DEP_1) | instskip(SKIP_2) | instid1(SALU_CYCLE_1)
	v_lshl_or_b32 v4, v4, 4, v5
	ds_add_u32 v4, v66
	s_or_b32 exec_lo, exec_lo, s8
	s_mov_b32 s8, exec_lo
	v_cmpx_lt_u32_e64 v39, v13
	s_cbranch_execz .LBB223_23
	s_branch .LBB223_55
.LBB223_48:                             ;   in Loop: Header=BB223_24 Depth=2
	s_or_b32 exec_lo, exec_lo, s8
	s_delay_alu instid0(SALU_CYCLE_1)
	s_mov_b32 s8, exec_lo
	v_cmpx_lt_u32_e64 v29, v13
	s_cbranch_execz .LBB223_42
.LBB223_49:                             ;   in Loop: Header=BB223_24 Depth=2
	v_and_b32_e32 v4, 0xff, v6
	v_lshlrev_b32_e32 v5, 2, v32
	s_delay_alu instid0(VALU_DEP_2) | instskip(NEXT) | instid1(VALU_DEP_1)
	v_lshrrev_b32_e32 v4, s30, v4
	v_and_b32_e32 v4, s31, v4
	s_delay_alu instid0(VALU_DEP_1) | instskip(SKIP_2) | instid1(SALU_CYCLE_1)
	v_lshl_or_b32 v4, v4, 4, v5
	ds_add_u32 v4, v66
	s_or_b32 exec_lo, exec_lo, s8
	s_mov_b32 s8, exec_lo
	v_cmpx_lt_u32_e64 v30, v13
	s_cbranch_execnz .LBB223_43
.LBB223_50:                             ;   in Loop: Header=BB223_24 Depth=2
	s_or_b32 exec_lo, exec_lo, s8
	s_delay_alu instid0(SALU_CYCLE_1)
	s_mov_b32 s8, exec_lo
	v_cmpx_lt_u32_e64 v31, v13
	s_cbranch_execz .LBB223_44
.LBB223_51:                             ;   in Loop: Header=BB223_24 Depth=2
	v_and_b32_e32 v4, 0xff, v8
	v_lshlrev_b32_e32 v5, 2, v32
	s_delay_alu instid0(VALU_DEP_2) | instskip(NEXT) | instid1(VALU_DEP_1)
	v_lshrrev_b32_e32 v4, s30, v4
	v_and_b32_e32 v4, s31, v4
	s_delay_alu instid0(VALU_DEP_1) | instskip(SKIP_2) | instid1(SALU_CYCLE_1)
	v_lshl_or_b32 v4, v4, 4, v5
	ds_add_u32 v4, v66
	s_or_b32 exec_lo, exec_lo, s8
	s_mov_b32 s8, exec_lo
	v_cmpx_lt_u32_e64 v35, v13
	s_cbranch_execnz .LBB223_45
.LBB223_52:                             ;   in Loop: Header=BB223_24 Depth=2
	s_or_b32 exec_lo, exec_lo, s8
	s_delay_alu instid0(SALU_CYCLE_1)
	s_mov_b32 s8, exec_lo
	v_cmpx_lt_u32_e64 v36, v13
	s_cbranch_execz .LBB223_46
.LBB223_53:                             ;   in Loop: Header=BB223_24 Depth=2
	v_and_b32_e32 v4, 0xff, v10
	v_lshlrev_b32_e32 v5, 2, v32
	s_delay_alu instid0(VALU_DEP_2) | instskip(NEXT) | instid1(VALU_DEP_1)
	v_lshrrev_b32_e32 v4, s30, v4
	v_and_b32_e32 v4, s31, v4
	s_delay_alu instid0(VALU_DEP_1) | instskip(SKIP_2) | instid1(SALU_CYCLE_1)
	v_lshl_or_b32 v4, v4, 4, v5
	ds_add_u32 v4, v66
	s_or_b32 exec_lo, exec_lo, s8
	s_mov_b32 s8, exec_lo
	v_cmpx_lt_u32_e64 v37, v13
	s_cbranch_execnz .LBB223_47
.LBB223_54:                             ;   in Loop: Header=BB223_24 Depth=2
	s_or_b32 exec_lo, exec_lo, s8
	s_delay_alu instid0(SALU_CYCLE_1)
	s_mov_b32 s8, exec_lo
	v_cmpx_lt_u32_e64 v39, v13
	s_cbranch_execz .LBB223_23
.LBB223_55:                             ;   in Loop: Header=BB223_24 Depth=2
	s_waitcnt vmcnt(0)
	v_and_b32_e32 v4, 0xff, v12
	v_lshlrev_b32_e32 v5, 2, v32
	s_delay_alu instid0(VALU_DEP_2) | instskip(NEXT) | instid1(VALU_DEP_1)
	v_lshrrev_b32_e32 v4, s30, v4
	v_and_b32_e32 v4, s31, v4
	s_delay_alu instid0(VALU_DEP_1)
	v_lshl_or_b32 v4, v4, 4, v5
	ds_add_u32 v4, v66
	s_branch .LBB223_23
.LBB223_56:                             ;   in Loop: Header=BB223_24 Depth=2
	s_or_b32 exec_lo, exec_lo, s12
	s_delay_alu instid0(SALU_CYCLE_1)
	s_mov_b32 s12, exec_lo
	v_cmpx_gt_u32_e64 s0, v29
	s_cbranch_execz .LBB223_30
.LBB223_57:                             ;   in Loop: Header=BB223_24 Depth=2
	v_add_co_u32 v4, s13, s10, v1
	s_delay_alu instid0(VALU_DEP_1) | instskip(SKIP_2) | instid1(SALU_CYCLE_1)
	v_add_co_ci_u32_e64 v5, null, s11, 0, s13
	global_load_u8 v6, v[4:5], off offset:256
	s_or_b32 exec_lo, exec_lo, s12
	s_mov_b32 s12, exec_lo
	v_cmpx_gt_u32_e64 s0, v30
	s_cbranch_execnz .LBB223_31
.LBB223_58:                             ;   in Loop: Header=BB223_24 Depth=2
	s_or_b32 exec_lo, exec_lo, s12
	s_delay_alu instid0(SALU_CYCLE_1)
	s_mov_b32 s12, exec_lo
	v_cmpx_gt_u32_e64 s0, v31
	s_cbranch_execz .LBB223_32
.LBB223_59:                             ;   in Loop: Header=BB223_24 Depth=2
	v_add_co_u32 v4, s13, s10, v1
	s_delay_alu instid0(VALU_DEP_1) | instskip(SKIP_2) | instid1(SALU_CYCLE_1)
	v_add_co_ci_u32_e64 v5, null, s11, 0, s13
	global_load_u8 v8, v[4:5], off offset:768
	s_or_b32 exec_lo, exec_lo, s12
	s_mov_b32 s12, exec_lo
	v_cmpx_gt_u32_e64 s0, v35
	s_cbranch_execnz .LBB223_33
.LBB223_60:                             ;   in Loop: Header=BB223_24 Depth=2
	s_or_b32 exec_lo, exec_lo, s12
	s_delay_alu instid0(SALU_CYCLE_1)
	s_mov_b32 s12, exec_lo
	v_cmpx_gt_u32_e64 s0, v36
	s_cbranch_execz .LBB223_34
.LBB223_61:                             ;   in Loop: Header=BB223_24 Depth=2
	v_add_co_u32 v4, s13, s10, v1
	s_delay_alu instid0(VALU_DEP_1) | instskip(SKIP_2) | instid1(SALU_CYCLE_1)
	v_add_co_ci_u32_e64 v5, null, s11, 0, s13
	global_load_u8 v10, v[4:5], off offset:1280
	s_or_b32 exec_lo, exec_lo, s12
	s_mov_b32 s12, exec_lo
	v_cmpx_gt_u32_e64 s0, v37
	s_cbranch_execz .LBB223_36
	s_branch .LBB223_35
.LBB223_62:                             ;   in Loop: Header=BB223_20 Depth=1
	v_mov_b32_e32 v2, 0
	s_waitcnt vmcnt(0) lgkmcnt(0)
	s_barrier
	buffer_gl0_inv
	s_and_saveexec_b32 s0, s2
	s_cbranch_execz .LBB223_64
; %bb.63:                               ;   in Loop: Header=BB223_20 Depth=1
	ds_load_2addr_b64 v[4:7], v40 offset1:1
	s_waitcnt lgkmcnt(0)
	v_add_nc_u32_e32 v2, v5, v4
	s_delay_alu instid0(VALU_DEP_1)
	v_add3_u32 v2, v2, v6, v7
.LBB223_64:                             ;   in Loop: Header=BB223_20 Depth=1
	s_or_b32 exec_lo, exec_lo, s0
	v_and_b32_e32 v4, 15, v63
	s_delay_alu instid0(VALU_DEP_2) | instskip(SKIP_1) | instid1(VALU_DEP_3)
	v_mov_b32_dpp v5, v2 row_shr:1 row_mask:0xf bank_mask:0xf
	v_and_b32_e32 v6, 16, v63
	v_cmp_eq_u32_e64 s0, 0, v4
	v_cmp_lt_u32_e64 s1, 1, v4
	v_cmp_lt_u32_e64 s8, 3, v4
	;; [unrolled: 1-line block ×3, first 2 shown]
	v_cmp_eq_u32_e64 s10, 0, v6
	v_cndmask_b32_e64 v5, v5, 0, s0
	s_delay_alu instid0(VALU_DEP_1) | instskip(NEXT) | instid1(VALU_DEP_1)
	v_add_nc_u32_e32 v2, v5, v2
	v_mov_b32_dpp v5, v2 row_shr:2 row_mask:0xf bank_mask:0xf
	s_delay_alu instid0(VALU_DEP_1) | instskip(NEXT) | instid1(VALU_DEP_1)
	v_cndmask_b32_e64 v5, 0, v5, s1
	v_add_nc_u32_e32 v2, v2, v5
	s_delay_alu instid0(VALU_DEP_1) | instskip(NEXT) | instid1(VALU_DEP_1)
	v_mov_b32_dpp v5, v2 row_shr:4 row_mask:0xf bank_mask:0xf
	v_cndmask_b32_e64 v5, 0, v5, s8
	s_delay_alu instid0(VALU_DEP_1) | instskip(NEXT) | instid1(VALU_DEP_1)
	v_add_nc_u32_e32 v2, v2, v5
	v_mov_b32_dpp v5, v2 row_shr:8 row_mask:0xf bank_mask:0xf
	s_delay_alu instid0(VALU_DEP_1) | instskip(SKIP_1) | instid1(VALU_DEP_2)
	v_cndmask_b32_e64 v4, 0, v5, s9
	v_bfe_i32 v5, v63, 4, 1
	v_add_nc_u32_e32 v2, v2, v4
	ds_swizzle_b32 v4, v2 offset:swizzle(BROADCAST,32,15)
	s_waitcnt lgkmcnt(0)
	v_and_b32_e32 v4, v5, v4
	s_delay_alu instid0(VALU_DEP_1)
	v_add_nc_u32_e32 v4, v2, v4
	s_and_saveexec_b32 s11, s3
	s_cbranch_execz .LBB223_66
; %bb.65:                               ;   in Loop: Header=BB223_20 Depth=1
	ds_store_b32 v41, v4
.LBB223_66:                             ;   in Loop: Header=BB223_20 Depth=1
	s_or_b32 exec_lo, exec_lo, s11
	v_and_b32_e32 v2, 7, v63
	s_waitcnt lgkmcnt(0)
	s_barrier
	buffer_gl0_inv
	s_and_saveexec_b32 s11, s4
	s_cbranch_execz .LBB223_68
; %bb.67:                               ;   in Loop: Header=BB223_20 Depth=1
	ds_load_b32 v5, v42
	v_cmp_ne_u32_e32 vcc_lo, 0, v2
	s_waitcnt lgkmcnt(0)
	v_mov_b32_dpp v6, v5 row_shr:1 row_mask:0xf bank_mask:0xf
	s_delay_alu instid0(VALU_DEP_1) | instskip(SKIP_1) | instid1(VALU_DEP_2)
	v_cndmask_b32_e32 v6, 0, v6, vcc_lo
	v_cmp_lt_u32_e32 vcc_lo, 1, v2
	v_add_nc_u32_e32 v5, v6, v5
	s_delay_alu instid0(VALU_DEP_1) | instskip(NEXT) | instid1(VALU_DEP_1)
	v_mov_b32_dpp v6, v5 row_shr:2 row_mask:0xf bank_mask:0xf
	v_cndmask_b32_e32 v6, 0, v6, vcc_lo
	v_cmp_lt_u32_e32 vcc_lo, 3, v2
	s_delay_alu instid0(VALU_DEP_2) | instskip(NEXT) | instid1(VALU_DEP_1)
	v_add_nc_u32_e32 v5, v5, v6
	v_mov_b32_dpp v6, v5 row_shr:4 row_mask:0xf bank_mask:0xf
	s_delay_alu instid0(VALU_DEP_1) | instskip(NEXT) | instid1(VALU_DEP_1)
	v_cndmask_b32_e32 v6, 0, v6, vcc_lo
	v_add_nc_u32_e32 v5, v5, v6
	ds_store_b32 v42, v5
.LBB223_68:                             ;   in Loop: Header=BB223_20 Depth=1
	s_or_b32 exec_lo, exec_lo, s11
	v_mov_b32_e32 v5, 0
	s_waitcnt lgkmcnt(0)
	s_barrier
	buffer_gl0_inv
	s_and_saveexec_b32 s11, s5
	s_cbranch_execz .LBB223_70
; %bb.69:                               ;   in Loop: Header=BB223_20 Depth=1
	ds_load_b32 v5, v43
.LBB223_70:                             ;   in Loop: Header=BB223_20 Depth=1
	s_or_b32 exec_lo, exec_lo, s11
	v_add_nc_u32_e32 v6, -1, v63
	s_waitcnt lgkmcnt(0)
	v_add_nc_u32_e32 v4, v5, v4
	v_cmp_eq_u32_e64 s11, 0, v63
	s_barrier
	v_cmp_gt_i32_e32 vcc_lo, 0, v6
	buffer_gl0_inv
	v_cndmask_b32_e32 v6, v6, v63, vcc_lo
	s_delay_alu instid0(VALU_DEP_1)
	v_lshlrev_b32_e32 v69, 2, v6
	ds_bpermute_b32 v4, v69, v4
	s_and_saveexec_b32 s12, s2
	s_cbranch_execz .LBB223_72
; %bb.71:                               ;   in Loop: Header=BB223_20 Depth=1
	s_waitcnt lgkmcnt(0)
	v_cndmask_b32_e64 v4, v4, v5, s11
	s_delay_alu instid0(VALU_DEP_1)
	v_add_nc_u32_e32 v4, s28, v4
	ds_store_b32 v28, v4
.LBB223_72:                             ;   in Loop: Header=BB223_20 Depth=1
	s_or_b32 exec_lo, exec_lo, s12
	s_clause 0x1
	s_load_b32 s12, s[26:27], 0x4
	s_load_b32 s17, s[26:27], 0xc
	v_lshlrev_b32_e32 v5, 3, v63
	v_cmp_lt_u32_e64 s16, 3, v2
	v_or_b32_e32 v70, v63, v44
	s_mov_b32 s35, s34
	s_mov_b32 s24, s28
	v_add_co_u32 v71, vcc_lo, v50, v5
	v_add_co_ci_u32_e32 v72, vcc_lo, 0, v51, vcc_lo
	v_add_co_u32 v81, vcc_lo, 0xe0, v67
	v_or_b32_e32 v73, 32, v70
	v_or_b32_e32 v74, 64, v70
	;; [unrolled: 1-line block ×7, first 2 shown]
	s_waitcnt lgkmcnt(0)
	s_cmp_lt_u32 s15, s12
	v_add_co_ci_u32_e32 v82, vcc_lo, 0, v68, vcc_lo
	s_cselect_b32 s12, 14, 20
                                        ; implicit-def: $vgpr6_vgpr7
                                        ; implicit-def: $vgpr8_vgpr9
                                        ; implicit-def: $vgpr10_vgpr11
                                        ; implicit-def: $vgpr12_vgpr13
                                        ; implicit-def: $vgpr14_vgpr15
                                        ; implicit-def: $vgpr16_vgpr17
                                        ; implicit-def: $vgpr18_vgpr19
                                        ; implicit-def: $vgpr83
                                        ; implicit-def: $vgpr84
                                        ; implicit-def: $vgpr85
                                        ; implicit-def: $vgpr86
                                        ; implicit-def: $vgpr87
                                        ; implicit-def: $vgpr88
                                        ; implicit-def: $vgpr89
                                        ; implicit-def: $vgpr90
	s_delay_alu instid0(SALU_CYCLE_1)
	s_add_u32 s12, s26, s12
	s_addc_u32 s13, s27, 0
	s_and_b32 s17, s17, 0xffff
	global_load_u16 v4, v3, s[12:13]
	v_cmp_eq_u32_e64 s12, 0, v2
	v_cmp_lt_u32_e64 s13, 1, v2
	s_waitcnt vmcnt(0)
	v_mad_u32_u24 v2, v45, v4, v0
	s_delay_alu instid0(VALU_DEP_1) | instskip(NEXT) | instid1(VALU_DEP_1)
	v_mad_u64_u32 v[4:5], null, v2, s17, v[1:2]
	v_lshrrev_b32_e32 v80, 5, v4
                                        ; implicit-def: $vgpr4_vgpr5
	s_branch .LBB223_74
.LBB223_73:                             ;   in Loop: Header=BB223_74 Depth=2
	s_or_b32 exec_lo, exec_lo, s17
	s_addk_i32 s35, 0xf800
	s_cmp_lt_u32 s42, s29
	s_mov_b32 s24, s42
	s_cbranch_scc0 .LBB223_186
.LBB223_74:                             ;   Parent Loop BB223_20 Depth=1
                                        ; =>  This Inner Loop Header: Depth=2
	s_add_i32 s42, s24, 0x800
	s_delay_alu instid0(SALU_CYCLE_1)
	s_cmp_gt_u32 s42, s29
	s_cbranch_scc1 .LBB223_77
; %bb.75:                               ;   in Loop: Header=BB223_74 Depth=2
	v_add_co_u32 v20, vcc_lo, v67, s24
	v_add_co_ci_u32_e32 v21, vcc_lo, 0, v68, vcc_lo
	s_mov_b32 s19, 0
	s_mov_b32 s18, s24
	s_mov_b32 s20, -1
	s_clause 0x6
	global_load_u8 v91, v[20:21], off
	global_load_u8 v92, v[20:21], off offset:32
	global_load_u8 v93, v[20:21], off offset:64
	;; [unrolled: 1-line block ×6, first 2 shown]
	s_movk_i32 s17, 0x800
	s_cbranch_execz .LBB223_78
; %bb.76:                               ;   in Loop: Header=BB223_74 Depth=2
                                        ; implicit-def: $sgpr21
	v_mov_b32_e32 v98, s21
	v_mov_b32_e32 v2, s35
	s_and_saveexec_b32 s21, s20
	s_cbranch_execnz .LBB223_93
	s_branch .LBB223_94
.LBB223_77:                             ;   in Loop: Header=BB223_74 Depth=2
	s_mov_b32 s19, -1
	s_mov_b32 s20, 0
                                        ; implicit-def: $sgpr17
                                        ; implicit-def: $vgpr91
                                        ; implicit-def: $vgpr92
                                        ; implicit-def: $vgpr93
                                        ; implicit-def: $vgpr94
                                        ; implicit-def: $vgpr95
                                        ; implicit-def: $vgpr96
                                        ; implicit-def: $vgpr97
.LBB223_78:                             ;   in Loop: Header=BB223_74 Depth=2
	v_add_co_u32 v20, vcc_lo, v67, s24
	v_add_co_ci_u32_e32 v21, vcc_lo, 0, v68, vcc_lo
	s_waitcnt vmcnt(5)
	v_dual_mov_b32 v92, 0xff :: v_dual_mov_b32 v91, 0xff
	s_mov_b32 s17, exec_lo
	v_cmpx_gt_u32_e64 s35, v70
	s_cbranch_execz .LBB223_80
; %bb.79:                               ;   in Loop: Header=BB223_74 Depth=2
	global_load_u8 v91, v[20:21], off
.LBB223_80:                             ;   in Loop: Header=BB223_74 Depth=2
	s_or_b32 exec_lo, exec_lo, s17
	s_delay_alu instid0(SALU_CYCLE_1)
	s_mov_b32 s17, exec_lo
	v_cmpx_gt_u32_e64 s35, v73
	s_cbranch_execz .LBB223_82
; %bb.81:                               ;   in Loop: Header=BB223_74 Depth=2
	global_load_u8 v92, v[20:21], off offset:32
.LBB223_82:                             ;   in Loop: Header=BB223_74 Depth=2
	s_or_b32 exec_lo, exec_lo, s17
	s_waitcnt vmcnt(3)
	v_dual_mov_b32 v94, 0xff :: v_dual_mov_b32 v93, 0xff
	s_mov_b32 s17, exec_lo
	v_cmpx_gt_u32_e64 s35, v74
	s_cbranch_execz .LBB223_84
; %bb.83:                               ;   in Loop: Header=BB223_74 Depth=2
	global_load_u8 v93, v[20:21], off offset:64
.LBB223_84:                             ;   in Loop: Header=BB223_74 Depth=2
	s_or_b32 exec_lo, exec_lo, s17
	s_delay_alu instid0(SALU_CYCLE_1)
	s_mov_b32 s17, exec_lo
	v_cmpx_gt_u32_e64 s35, v75
	s_cbranch_execz .LBB223_86
; %bb.85:                               ;   in Loop: Header=BB223_74 Depth=2
	global_load_u8 v94, v[20:21], off offset:96
.LBB223_86:                             ;   in Loop: Header=BB223_74 Depth=2
	s_or_b32 exec_lo, exec_lo, s17
	s_waitcnt vmcnt(1)
	v_dual_mov_b32 v96, 0xff :: v_dual_mov_b32 v95, 0xff
	s_mov_b32 s17, exec_lo
	v_cmpx_gt_u32_e64 s35, v76
	s_cbranch_execz .LBB223_88
; %bb.87:                               ;   in Loop: Header=BB223_74 Depth=2
	global_load_u8 v95, v[20:21], off offset:128
.LBB223_88:                             ;   in Loop: Header=BB223_74 Depth=2
	s_or_b32 exec_lo, exec_lo, s17
	s_delay_alu instid0(SALU_CYCLE_1)
	s_mov_b32 s17, exec_lo
	v_cmpx_gt_u32_e64 s35, v77
	s_cbranch_execz .LBB223_90
; %bb.89:                               ;   in Loop: Header=BB223_74 Depth=2
	global_load_u8 v96, v[20:21], off offset:160
.LBB223_90:                             ;   in Loop: Header=BB223_74 Depth=2
	s_or_b32 exec_lo, exec_lo, s17
	s_waitcnt vmcnt(0)
	v_mov_b32_e32 v97, 0xff
	s_mov_b32 s17, exec_lo
	v_cmpx_gt_u32_e64 s35, v78
	s_cbranch_execz .LBB223_92
; %bb.91:                               ;   in Loop: Header=BB223_74 Depth=2
	global_load_u8 v97, v[20:21], off offset:192
.LBB223_92:                             ;   in Loop: Header=BB223_74 Depth=2
	s_or_b32 exec_lo, exec_lo, s17
	v_cmp_gt_u32_e64 s20, s35, v79
	s_sub_i32 s17, s29, s24
	s_movk_i32 s21, 0xff
	s_mov_b64 s[18:19], s[24:25]
	v_mov_b32_e32 v98, s21
	v_mov_b32_e32 v2, s35
	s_and_saveexec_b32 s21, s20
	s_cbranch_execz .LBB223_94
.LBB223_93:                             ;   in Loop: Header=BB223_74 Depth=2
	v_add_co_u32 v20, vcc_lo, v81, s18
	v_add_co_ci_u32_e32 v21, vcc_lo, s19, v82, vcc_lo
	v_mov_b32_e32 v2, s17
	global_load_u8 v98, v[20:21], off
.LBB223_94:                             ;   in Loop: Header=BB223_74 Depth=2
	s_or_b32 exec_lo, exec_lo, s21
	s_waitcnt vmcnt(6)
	v_and_b32_e32 v20, 0xff, v91
	ds_store_b32 v46, v3 offset:1056
	ds_store_2addr_b32 v47, v3, v3 offset0:1 offset1:2
	ds_store_2addr_b32 v47, v3, v3 offset0:3 offset1:4
	;; [unrolled: 1-line block ×4, first 2 shown]
	s_waitcnt vmcnt(0) lgkmcnt(0)
	s_barrier
	v_lshrrev_b32_e32 v20, s30, v20
	buffer_gl0_inv
	; wave barrier
	v_and_b32_e32 v21, s31, v20
	s_delay_alu instid0(VALU_DEP_1)
	v_and_b32_e32 v20, 1, v21
	v_lshlrev_b32_e32 v22, 30, v21
	v_lshlrev_b32_e32 v23, 29, v21
	;; [unrolled: 1-line block ×4, first 2 shown]
	v_add_co_u32 v20, s17, v20, -1
	s_delay_alu instid0(VALU_DEP_1)
	v_cndmask_b32_e64 v25, 0, 1, s17
	v_not_b32_e32 v100, v22
	v_cmp_gt_i32_e64 s17, 0, v22
	v_not_b32_e32 v22, v23
	v_lshlrev_b32_e32 v27, 26, v21
	v_cmp_ne_u32_e32 vcc_lo, 0, v25
	v_ashrrev_i32_e32 v100, 31, v100
	v_lshlrev_b32_e32 v99, 25, v21
	v_ashrrev_i32_e32 v22, 31, v22
	v_lshlrev_b32_e32 v25, 24, v21
	v_xor_b32_e32 v20, vcc_lo, v20
	v_cmp_gt_i32_e32 vcc_lo, 0, v23
	v_not_b32_e32 v23, v24
	v_xor_b32_e32 v100, s17, v100
	v_cmp_gt_i32_e64 s17, 0, v24
	v_and_b32_e32 v20, exec_lo, v20
	v_not_b32_e32 v24, v26
	v_ashrrev_i32_e32 v23, 31, v23
	v_xor_b32_e32 v22, vcc_lo, v22
	v_cmp_gt_i32_e32 vcc_lo, 0, v26
	v_and_b32_e32 v20, v20, v100
	v_not_b32_e32 v26, v27
	v_ashrrev_i32_e32 v24, 31, v24
	v_xor_b32_e32 v23, s17, v23
	v_cmp_gt_i32_e64 s17, 0, v27
	v_and_b32_e32 v20, v20, v22
	v_not_b32_e32 v22, v99
	v_ashrrev_i32_e32 v26, 31, v26
	v_xor_b32_e32 v24, vcc_lo, v24
	v_cmp_gt_i32_e32 vcc_lo, 0, v99
	v_and_b32_e32 v20, v20, v23
	v_not_b32_e32 v23, v25
	v_ashrrev_i32_e32 v22, 31, v22
	v_xor_b32_e32 v26, s17, v26
	v_cmp_gt_i32_e64 s17, 0, v25
	v_and_b32_e32 v20, v20, v24
	v_ashrrev_i32_e32 v23, 31, v23
	v_xor_b32_e32 v22, vcc_lo, v22
	v_mad_u32_u24 v21, v21, 9, v80
	s_delay_alu instid0(VALU_DEP_4) | instskip(NEXT) | instid1(VALU_DEP_4)
	v_and_b32_e32 v20, v20, v26
	v_xor_b32_e32 v23, s17, v23
	s_delay_alu instid0(VALU_DEP_3) | instskip(NEXT) | instid1(VALU_DEP_3)
	v_lshl_add_u32 v100, v21, 2, 0x420
	v_and_b32_e32 v20, v20, v22
	s_delay_alu instid0(VALU_DEP_1) | instskip(NEXT) | instid1(VALU_DEP_1)
	v_and_b32_e32 v20, v20, v23
	v_mbcnt_lo_u32_b32 v99, v20, 0
	v_cmp_ne_u32_e64 s17, 0, v20
	s_delay_alu instid0(VALU_DEP_2) | instskip(NEXT) | instid1(VALU_DEP_2)
	v_cmp_eq_u32_e32 vcc_lo, 0, v99
	s_and_b32 s18, s17, vcc_lo
	s_delay_alu instid0(SALU_CYCLE_1)
	s_and_saveexec_b32 s17, s18
	s_cbranch_execz .LBB223_96
; %bb.95:                               ;   in Loop: Header=BB223_74 Depth=2
	v_bcnt_u32_b32 v20, v20, 0
	ds_store_b32 v100, v20
.LBB223_96:                             ;   in Loop: Header=BB223_74 Depth=2
	s_or_b32 exec_lo, exec_lo, s17
	v_and_b32_e32 v20, 0xff, v92
	; wave barrier
	s_delay_alu instid0(VALU_DEP_1) | instskip(NEXT) | instid1(VALU_DEP_1)
	v_lshrrev_b32_e32 v20, s30, v20
	v_and_b32_e32 v20, s31, v20
	s_delay_alu instid0(VALU_DEP_1)
	v_and_b32_e32 v21, 1, v20
	v_lshlrev_b32_e32 v22, 30, v20
	v_lshlrev_b32_e32 v23, 29, v20
	;; [unrolled: 1-line block ×4, first 2 shown]
	v_add_co_u32 v21, s17, v21, -1
	s_delay_alu instid0(VALU_DEP_1)
	v_cndmask_b32_e64 v25, 0, 1, s17
	v_not_b32_e32 v102, v22
	v_cmp_gt_i32_e64 s17, 0, v22
	v_not_b32_e32 v22, v23
	v_lshlrev_b32_e32 v27, 26, v20
	v_cmp_ne_u32_e32 vcc_lo, 0, v25
	v_ashrrev_i32_e32 v102, 31, v102
	v_lshlrev_b32_e32 v101, 25, v20
	v_ashrrev_i32_e32 v22, 31, v22
	v_lshlrev_b32_e32 v25, 24, v20
	v_xor_b32_e32 v21, vcc_lo, v21
	v_cmp_gt_i32_e32 vcc_lo, 0, v23
	v_not_b32_e32 v23, v24
	v_xor_b32_e32 v102, s17, v102
	v_cmp_gt_i32_e64 s17, 0, v24
	v_and_b32_e32 v21, exec_lo, v21
	v_not_b32_e32 v24, v26
	v_ashrrev_i32_e32 v23, 31, v23
	v_xor_b32_e32 v22, vcc_lo, v22
	v_cmp_gt_i32_e32 vcc_lo, 0, v26
	v_and_b32_e32 v21, v21, v102
	v_not_b32_e32 v26, v27
	v_ashrrev_i32_e32 v24, 31, v24
	v_xor_b32_e32 v23, s17, v23
	v_cmp_gt_i32_e64 s17, 0, v27
	v_and_b32_e32 v21, v21, v22
	v_not_b32_e32 v22, v101
	v_ashrrev_i32_e32 v26, 31, v26
	v_xor_b32_e32 v24, vcc_lo, v24
	v_cmp_gt_i32_e32 vcc_lo, 0, v101
	v_and_b32_e32 v21, v21, v23
	v_not_b32_e32 v23, v25
	v_ashrrev_i32_e32 v22, 31, v22
	v_xor_b32_e32 v26, s17, v26
	v_mul_u32_u24_e32 v20, 9, v20
	v_and_b32_e32 v21, v21, v24
	v_cmp_gt_i32_e64 s17, 0, v25
	v_ashrrev_i32_e32 v23, 31, v23
	v_xor_b32_e32 v22, vcc_lo, v22
	v_add_lshl_u32 v24, v20, v80, 2
	v_and_b32_e32 v21, v21, v26
	s_delay_alu instid0(VALU_DEP_4) | instskip(SKIP_3) | instid1(VALU_DEP_2)
	v_xor_b32_e32 v20, s17, v23
	ds_load_b32 v101, v24 offset:1056
	v_and_b32_e32 v21, v21, v22
	v_add_nc_u32_e32 v103, 0x420, v24
	; wave barrier
	v_and_b32_e32 v20, v21, v20
	s_delay_alu instid0(VALU_DEP_1) | instskip(SKIP_1) | instid1(VALU_DEP_2)
	v_mbcnt_lo_u32_b32 v102, v20, 0
	v_cmp_ne_u32_e64 s17, 0, v20
	v_cmp_eq_u32_e32 vcc_lo, 0, v102
	s_delay_alu instid0(VALU_DEP_2) | instskip(NEXT) | instid1(SALU_CYCLE_1)
	s_and_b32 s18, s17, vcc_lo
	s_and_saveexec_b32 s17, s18
	s_cbranch_execz .LBB223_98
; %bb.97:                               ;   in Loop: Header=BB223_74 Depth=2
	s_waitcnt lgkmcnt(0)
	v_bcnt_u32_b32 v20, v20, v101
	ds_store_b32 v103, v20
.LBB223_98:                             ;   in Loop: Header=BB223_74 Depth=2
	s_or_b32 exec_lo, exec_lo, s17
	v_and_b32_e32 v20, 0xff, v93
	; wave barrier
	s_delay_alu instid0(VALU_DEP_1) | instskip(NEXT) | instid1(VALU_DEP_1)
	v_lshrrev_b32_e32 v20, s30, v20
	v_and_b32_e32 v20, s31, v20
	s_delay_alu instid0(VALU_DEP_1)
	v_and_b32_e32 v21, 1, v20
	v_lshlrev_b32_e32 v22, 30, v20
	v_lshlrev_b32_e32 v23, 29, v20
	;; [unrolled: 1-line block ×4, first 2 shown]
	v_add_co_u32 v21, s17, v21, -1
	s_delay_alu instid0(VALU_DEP_1)
	v_cndmask_b32_e64 v25, 0, 1, s17
	v_not_b32_e32 v105, v22
	v_cmp_gt_i32_e64 s17, 0, v22
	v_not_b32_e32 v22, v23
	v_lshlrev_b32_e32 v27, 26, v20
	v_cmp_ne_u32_e32 vcc_lo, 0, v25
	v_ashrrev_i32_e32 v105, 31, v105
	v_lshlrev_b32_e32 v104, 25, v20
	v_ashrrev_i32_e32 v22, 31, v22
	v_lshlrev_b32_e32 v25, 24, v20
	v_xor_b32_e32 v21, vcc_lo, v21
	v_cmp_gt_i32_e32 vcc_lo, 0, v23
	v_not_b32_e32 v23, v24
	v_xor_b32_e32 v105, s17, v105
	v_cmp_gt_i32_e64 s17, 0, v24
	v_and_b32_e32 v21, exec_lo, v21
	v_not_b32_e32 v24, v26
	v_ashrrev_i32_e32 v23, 31, v23
	v_xor_b32_e32 v22, vcc_lo, v22
	v_cmp_gt_i32_e32 vcc_lo, 0, v26
	v_and_b32_e32 v21, v21, v105
	v_not_b32_e32 v26, v27
	v_ashrrev_i32_e32 v24, 31, v24
	v_xor_b32_e32 v23, s17, v23
	v_cmp_gt_i32_e64 s17, 0, v27
	v_and_b32_e32 v21, v21, v22
	v_not_b32_e32 v22, v104
	v_ashrrev_i32_e32 v26, 31, v26
	v_xor_b32_e32 v24, vcc_lo, v24
	v_cmp_gt_i32_e32 vcc_lo, 0, v104
	v_and_b32_e32 v21, v21, v23
	v_not_b32_e32 v23, v25
	v_ashrrev_i32_e32 v22, 31, v22
	v_xor_b32_e32 v26, s17, v26
	v_mul_u32_u24_e32 v20, 9, v20
	v_and_b32_e32 v21, v21, v24
	v_cmp_gt_i32_e64 s17, 0, v25
	v_ashrrev_i32_e32 v23, 31, v23
	v_xor_b32_e32 v22, vcc_lo, v22
	v_add_lshl_u32 v24, v20, v80, 2
	v_and_b32_e32 v21, v21, v26
	s_delay_alu instid0(VALU_DEP_4) | instskip(SKIP_3) | instid1(VALU_DEP_2)
	v_xor_b32_e32 v20, s17, v23
	ds_load_b32 v104, v24 offset:1056
	v_and_b32_e32 v21, v21, v22
	v_add_nc_u32_e32 v106, 0x420, v24
	; wave barrier
	v_and_b32_e32 v20, v21, v20
	s_delay_alu instid0(VALU_DEP_1) | instskip(SKIP_1) | instid1(VALU_DEP_2)
	v_mbcnt_lo_u32_b32 v105, v20, 0
	v_cmp_ne_u32_e64 s17, 0, v20
	v_cmp_eq_u32_e32 vcc_lo, 0, v105
	s_delay_alu instid0(VALU_DEP_2) | instskip(NEXT) | instid1(SALU_CYCLE_1)
	s_and_b32 s18, s17, vcc_lo
	s_and_saveexec_b32 s17, s18
	s_cbranch_execz .LBB223_100
; %bb.99:                               ;   in Loop: Header=BB223_74 Depth=2
	s_waitcnt lgkmcnt(0)
	v_bcnt_u32_b32 v20, v20, v104
	ds_store_b32 v106, v20
.LBB223_100:                            ;   in Loop: Header=BB223_74 Depth=2
	s_or_b32 exec_lo, exec_lo, s17
	v_and_b32_e32 v20, 0xff, v94
	; wave barrier
	s_delay_alu instid0(VALU_DEP_1) | instskip(NEXT) | instid1(VALU_DEP_1)
	v_lshrrev_b32_e32 v20, s30, v20
	v_and_b32_e32 v20, s31, v20
	s_delay_alu instid0(VALU_DEP_1)
	v_and_b32_e32 v21, 1, v20
	v_lshlrev_b32_e32 v22, 30, v20
	v_lshlrev_b32_e32 v23, 29, v20
	;; [unrolled: 1-line block ×4, first 2 shown]
	v_add_co_u32 v21, s17, v21, -1
	s_delay_alu instid0(VALU_DEP_1)
	v_cndmask_b32_e64 v25, 0, 1, s17
	v_not_b32_e32 v108, v22
	v_cmp_gt_i32_e64 s17, 0, v22
	v_not_b32_e32 v22, v23
	v_lshlrev_b32_e32 v27, 26, v20
	v_cmp_ne_u32_e32 vcc_lo, 0, v25
	v_ashrrev_i32_e32 v108, 31, v108
	v_lshlrev_b32_e32 v107, 25, v20
	v_ashrrev_i32_e32 v22, 31, v22
	v_lshlrev_b32_e32 v25, 24, v20
	v_xor_b32_e32 v21, vcc_lo, v21
	v_cmp_gt_i32_e32 vcc_lo, 0, v23
	v_not_b32_e32 v23, v24
	v_xor_b32_e32 v108, s17, v108
	v_cmp_gt_i32_e64 s17, 0, v24
	v_and_b32_e32 v21, exec_lo, v21
	v_not_b32_e32 v24, v26
	v_ashrrev_i32_e32 v23, 31, v23
	v_xor_b32_e32 v22, vcc_lo, v22
	v_cmp_gt_i32_e32 vcc_lo, 0, v26
	v_and_b32_e32 v21, v21, v108
	v_not_b32_e32 v26, v27
	v_ashrrev_i32_e32 v24, 31, v24
	v_xor_b32_e32 v23, s17, v23
	v_cmp_gt_i32_e64 s17, 0, v27
	v_and_b32_e32 v21, v21, v22
	v_not_b32_e32 v22, v107
	v_ashrrev_i32_e32 v26, 31, v26
	v_xor_b32_e32 v24, vcc_lo, v24
	v_cmp_gt_i32_e32 vcc_lo, 0, v107
	v_and_b32_e32 v21, v21, v23
	v_not_b32_e32 v23, v25
	v_ashrrev_i32_e32 v22, 31, v22
	v_xor_b32_e32 v26, s17, v26
	v_mul_u32_u24_e32 v20, 9, v20
	v_and_b32_e32 v21, v21, v24
	v_cmp_gt_i32_e64 s17, 0, v25
	v_ashrrev_i32_e32 v23, 31, v23
	v_xor_b32_e32 v22, vcc_lo, v22
	v_add_lshl_u32 v24, v20, v80, 2
	v_and_b32_e32 v21, v21, v26
	s_delay_alu instid0(VALU_DEP_4) | instskip(SKIP_3) | instid1(VALU_DEP_2)
	v_xor_b32_e32 v20, s17, v23
	ds_load_b32 v107, v24 offset:1056
	v_and_b32_e32 v21, v21, v22
	v_add_nc_u32_e32 v109, 0x420, v24
	; wave barrier
	v_and_b32_e32 v20, v21, v20
	s_delay_alu instid0(VALU_DEP_1) | instskip(SKIP_1) | instid1(VALU_DEP_2)
	v_mbcnt_lo_u32_b32 v108, v20, 0
	v_cmp_ne_u32_e64 s17, 0, v20
	v_cmp_eq_u32_e32 vcc_lo, 0, v108
	s_delay_alu instid0(VALU_DEP_2) | instskip(NEXT) | instid1(SALU_CYCLE_1)
	s_and_b32 s18, s17, vcc_lo
	s_and_saveexec_b32 s17, s18
	s_cbranch_execz .LBB223_102
; %bb.101:                              ;   in Loop: Header=BB223_74 Depth=2
	s_waitcnt lgkmcnt(0)
	v_bcnt_u32_b32 v20, v20, v107
	ds_store_b32 v109, v20
.LBB223_102:                            ;   in Loop: Header=BB223_74 Depth=2
	s_or_b32 exec_lo, exec_lo, s17
	v_and_b32_e32 v20, 0xff, v95
	; wave barrier
	s_delay_alu instid0(VALU_DEP_1) | instskip(NEXT) | instid1(VALU_DEP_1)
	v_lshrrev_b32_e32 v20, s30, v20
	v_and_b32_e32 v20, s31, v20
	s_delay_alu instid0(VALU_DEP_1)
	v_and_b32_e32 v21, 1, v20
	v_lshlrev_b32_e32 v22, 30, v20
	v_lshlrev_b32_e32 v23, 29, v20
	;; [unrolled: 1-line block ×4, first 2 shown]
	v_add_co_u32 v21, s17, v21, -1
	s_delay_alu instid0(VALU_DEP_1)
	v_cndmask_b32_e64 v25, 0, 1, s17
	v_not_b32_e32 v111, v22
	v_cmp_gt_i32_e64 s17, 0, v22
	v_not_b32_e32 v22, v23
	v_lshlrev_b32_e32 v27, 26, v20
	v_cmp_ne_u32_e32 vcc_lo, 0, v25
	v_ashrrev_i32_e32 v111, 31, v111
	v_lshlrev_b32_e32 v110, 25, v20
	v_ashrrev_i32_e32 v22, 31, v22
	v_lshlrev_b32_e32 v25, 24, v20
	v_xor_b32_e32 v21, vcc_lo, v21
	v_cmp_gt_i32_e32 vcc_lo, 0, v23
	v_not_b32_e32 v23, v24
	v_xor_b32_e32 v111, s17, v111
	v_cmp_gt_i32_e64 s17, 0, v24
	v_and_b32_e32 v21, exec_lo, v21
	v_not_b32_e32 v24, v26
	v_ashrrev_i32_e32 v23, 31, v23
	v_xor_b32_e32 v22, vcc_lo, v22
	v_cmp_gt_i32_e32 vcc_lo, 0, v26
	v_and_b32_e32 v21, v21, v111
	v_not_b32_e32 v26, v27
	v_ashrrev_i32_e32 v24, 31, v24
	v_xor_b32_e32 v23, s17, v23
	v_cmp_gt_i32_e64 s17, 0, v27
	v_and_b32_e32 v21, v21, v22
	v_not_b32_e32 v22, v110
	v_ashrrev_i32_e32 v26, 31, v26
	v_xor_b32_e32 v24, vcc_lo, v24
	v_cmp_gt_i32_e32 vcc_lo, 0, v110
	v_and_b32_e32 v21, v21, v23
	v_not_b32_e32 v23, v25
	v_ashrrev_i32_e32 v22, 31, v22
	v_xor_b32_e32 v26, s17, v26
	v_mul_u32_u24_e32 v20, 9, v20
	v_and_b32_e32 v21, v21, v24
	v_cmp_gt_i32_e64 s17, 0, v25
	v_ashrrev_i32_e32 v23, 31, v23
	v_xor_b32_e32 v22, vcc_lo, v22
	v_add_lshl_u32 v24, v20, v80, 2
	v_and_b32_e32 v21, v21, v26
	s_delay_alu instid0(VALU_DEP_4) | instskip(SKIP_3) | instid1(VALU_DEP_2)
	v_xor_b32_e32 v20, s17, v23
	ds_load_b32 v110, v24 offset:1056
	v_and_b32_e32 v21, v21, v22
	v_add_nc_u32_e32 v112, 0x420, v24
	; wave barrier
	v_and_b32_e32 v20, v21, v20
	s_delay_alu instid0(VALU_DEP_1) | instskip(SKIP_1) | instid1(VALU_DEP_2)
	v_mbcnt_lo_u32_b32 v111, v20, 0
	v_cmp_ne_u32_e64 s17, 0, v20
	v_cmp_eq_u32_e32 vcc_lo, 0, v111
	s_delay_alu instid0(VALU_DEP_2) | instskip(NEXT) | instid1(SALU_CYCLE_1)
	s_and_b32 s18, s17, vcc_lo
	s_and_saveexec_b32 s17, s18
	s_cbranch_execz .LBB223_104
; %bb.103:                              ;   in Loop: Header=BB223_74 Depth=2
	s_waitcnt lgkmcnt(0)
	v_bcnt_u32_b32 v20, v20, v110
	ds_store_b32 v112, v20
.LBB223_104:                            ;   in Loop: Header=BB223_74 Depth=2
	s_or_b32 exec_lo, exec_lo, s17
	v_and_b32_e32 v20, 0xff, v96
	; wave barrier
	s_delay_alu instid0(VALU_DEP_1) | instskip(NEXT) | instid1(VALU_DEP_1)
	v_lshrrev_b32_e32 v20, s30, v20
	v_and_b32_e32 v20, s31, v20
	s_delay_alu instid0(VALU_DEP_1)
	v_and_b32_e32 v21, 1, v20
	v_lshlrev_b32_e32 v22, 30, v20
	v_lshlrev_b32_e32 v23, 29, v20
	v_lshlrev_b32_e32 v24, 28, v20
	v_lshlrev_b32_e32 v26, 27, v20
	v_add_co_u32 v21, s17, v21, -1
	s_delay_alu instid0(VALU_DEP_1)
	v_cndmask_b32_e64 v25, 0, 1, s17
	v_not_b32_e32 v114, v22
	v_cmp_gt_i32_e64 s17, 0, v22
	v_not_b32_e32 v22, v23
	v_lshlrev_b32_e32 v27, 26, v20
	v_cmp_ne_u32_e32 vcc_lo, 0, v25
	v_ashrrev_i32_e32 v114, 31, v114
	v_lshlrev_b32_e32 v113, 25, v20
	v_ashrrev_i32_e32 v22, 31, v22
	v_lshlrev_b32_e32 v25, 24, v20
	v_xor_b32_e32 v21, vcc_lo, v21
	v_cmp_gt_i32_e32 vcc_lo, 0, v23
	v_not_b32_e32 v23, v24
	v_xor_b32_e32 v114, s17, v114
	v_cmp_gt_i32_e64 s17, 0, v24
	v_and_b32_e32 v21, exec_lo, v21
	v_not_b32_e32 v24, v26
	v_ashrrev_i32_e32 v23, 31, v23
	v_xor_b32_e32 v22, vcc_lo, v22
	v_cmp_gt_i32_e32 vcc_lo, 0, v26
	v_and_b32_e32 v21, v21, v114
	v_not_b32_e32 v26, v27
	v_ashrrev_i32_e32 v24, 31, v24
	v_xor_b32_e32 v23, s17, v23
	v_cmp_gt_i32_e64 s17, 0, v27
	v_and_b32_e32 v21, v21, v22
	v_not_b32_e32 v22, v113
	v_ashrrev_i32_e32 v26, 31, v26
	v_xor_b32_e32 v24, vcc_lo, v24
	v_cmp_gt_i32_e32 vcc_lo, 0, v113
	v_and_b32_e32 v21, v21, v23
	v_not_b32_e32 v23, v25
	v_ashrrev_i32_e32 v22, 31, v22
	v_xor_b32_e32 v26, s17, v26
	v_mul_u32_u24_e32 v20, 9, v20
	v_and_b32_e32 v21, v21, v24
	v_cmp_gt_i32_e64 s17, 0, v25
	v_ashrrev_i32_e32 v23, 31, v23
	v_xor_b32_e32 v22, vcc_lo, v22
	v_add_lshl_u32 v24, v20, v80, 2
	v_and_b32_e32 v21, v21, v26
	s_delay_alu instid0(VALU_DEP_4) | instskip(SKIP_3) | instid1(VALU_DEP_2)
	v_xor_b32_e32 v20, s17, v23
	ds_load_b32 v113, v24 offset:1056
	v_and_b32_e32 v21, v21, v22
	v_add_nc_u32_e32 v115, 0x420, v24
	; wave barrier
	v_and_b32_e32 v20, v21, v20
	s_delay_alu instid0(VALU_DEP_1) | instskip(SKIP_1) | instid1(VALU_DEP_2)
	v_mbcnt_lo_u32_b32 v114, v20, 0
	v_cmp_ne_u32_e64 s17, 0, v20
	v_cmp_eq_u32_e32 vcc_lo, 0, v114
	s_delay_alu instid0(VALU_DEP_2) | instskip(NEXT) | instid1(SALU_CYCLE_1)
	s_and_b32 s18, s17, vcc_lo
	s_and_saveexec_b32 s17, s18
	s_cbranch_execz .LBB223_106
; %bb.105:                              ;   in Loop: Header=BB223_74 Depth=2
	s_waitcnt lgkmcnt(0)
	v_bcnt_u32_b32 v20, v20, v113
	ds_store_b32 v115, v20
.LBB223_106:                            ;   in Loop: Header=BB223_74 Depth=2
	s_or_b32 exec_lo, exec_lo, s17
	v_and_b32_e32 v20, 0xff, v97
	; wave barrier
	s_delay_alu instid0(VALU_DEP_1) | instskip(NEXT) | instid1(VALU_DEP_1)
	v_lshrrev_b32_e32 v20, s30, v20
	v_and_b32_e32 v20, s31, v20
	s_delay_alu instid0(VALU_DEP_1)
	v_and_b32_e32 v21, 1, v20
	v_lshlrev_b32_e32 v22, 30, v20
	v_lshlrev_b32_e32 v23, 29, v20
	v_lshlrev_b32_e32 v24, 28, v20
	v_lshlrev_b32_e32 v26, 27, v20
	v_add_co_u32 v21, s17, v21, -1
	s_delay_alu instid0(VALU_DEP_1)
	v_cndmask_b32_e64 v25, 0, 1, s17
	v_not_b32_e32 v117, v22
	v_cmp_gt_i32_e64 s17, 0, v22
	v_not_b32_e32 v22, v23
	v_lshlrev_b32_e32 v27, 26, v20
	v_cmp_ne_u32_e32 vcc_lo, 0, v25
	v_ashrrev_i32_e32 v117, 31, v117
	v_lshlrev_b32_e32 v116, 25, v20
	v_ashrrev_i32_e32 v22, 31, v22
	v_lshlrev_b32_e32 v25, 24, v20
	v_xor_b32_e32 v21, vcc_lo, v21
	v_cmp_gt_i32_e32 vcc_lo, 0, v23
	v_not_b32_e32 v23, v24
	v_xor_b32_e32 v117, s17, v117
	v_cmp_gt_i32_e64 s17, 0, v24
	v_and_b32_e32 v21, exec_lo, v21
	v_not_b32_e32 v24, v26
	v_ashrrev_i32_e32 v23, 31, v23
	v_xor_b32_e32 v22, vcc_lo, v22
	v_cmp_gt_i32_e32 vcc_lo, 0, v26
	v_and_b32_e32 v21, v21, v117
	v_not_b32_e32 v26, v27
	v_ashrrev_i32_e32 v24, 31, v24
	v_xor_b32_e32 v23, s17, v23
	v_cmp_gt_i32_e64 s17, 0, v27
	v_and_b32_e32 v21, v21, v22
	v_not_b32_e32 v22, v116
	v_ashrrev_i32_e32 v26, 31, v26
	v_xor_b32_e32 v24, vcc_lo, v24
	v_cmp_gt_i32_e32 vcc_lo, 0, v116
	v_and_b32_e32 v21, v21, v23
	v_not_b32_e32 v23, v25
	v_ashrrev_i32_e32 v22, 31, v22
	v_xor_b32_e32 v26, s17, v26
	v_mul_u32_u24_e32 v20, 9, v20
	v_and_b32_e32 v21, v21, v24
	v_cmp_gt_i32_e64 s17, 0, v25
	v_ashrrev_i32_e32 v23, 31, v23
	v_xor_b32_e32 v22, vcc_lo, v22
	v_add_lshl_u32 v24, v20, v80, 2
	v_and_b32_e32 v21, v21, v26
	s_delay_alu instid0(VALU_DEP_4) | instskip(SKIP_3) | instid1(VALU_DEP_2)
	v_xor_b32_e32 v20, s17, v23
	ds_load_b32 v116, v24 offset:1056
	v_and_b32_e32 v21, v21, v22
	v_add_nc_u32_e32 v118, 0x420, v24
	; wave barrier
	v_and_b32_e32 v20, v21, v20
	s_delay_alu instid0(VALU_DEP_1) | instskip(SKIP_1) | instid1(VALU_DEP_2)
	v_mbcnt_lo_u32_b32 v117, v20, 0
	v_cmp_ne_u32_e64 s17, 0, v20
	v_cmp_eq_u32_e32 vcc_lo, 0, v117
	s_delay_alu instid0(VALU_DEP_2) | instskip(NEXT) | instid1(SALU_CYCLE_1)
	s_and_b32 s18, s17, vcc_lo
	s_and_saveexec_b32 s17, s18
	s_cbranch_execz .LBB223_108
; %bb.107:                              ;   in Loop: Header=BB223_74 Depth=2
	s_waitcnt lgkmcnt(0)
	v_bcnt_u32_b32 v20, v20, v116
	ds_store_b32 v118, v20
.LBB223_108:                            ;   in Loop: Header=BB223_74 Depth=2
	s_or_b32 exec_lo, exec_lo, s17
	v_and_b32_e32 v20, 0xff, v98
	; wave barrier
	s_delay_alu instid0(VALU_DEP_1) | instskip(NEXT) | instid1(VALU_DEP_1)
	v_lshrrev_b32_e32 v20, s30, v20
	v_and_b32_e32 v20, s31, v20
	s_delay_alu instid0(VALU_DEP_1)
	v_and_b32_e32 v21, 1, v20
	v_lshlrev_b32_e32 v22, 30, v20
	v_lshlrev_b32_e32 v23, 29, v20
	;; [unrolled: 1-line block ×4, first 2 shown]
	v_add_co_u32 v21, s17, v21, -1
	s_delay_alu instid0(VALU_DEP_1)
	v_cndmask_b32_e64 v25, 0, 1, s17
	v_not_b32_e32 v120, v22
	v_cmp_gt_i32_e64 s17, 0, v22
	v_not_b32_e32 v22, v23
	v_lshlrev_b32_e32 v27, 26, v20
	v_cmp_ne_u32_e32 vcc_lo, 0, v25
	v_ashrrev_i32_e32 v120, 31, v120
	v_lshlrev_b32_e32 v119, 25, v20
	v_ashrrev_i32_e32 v22, 31, v22
	v_lshlrev_b32_e32 v25, 24, v20
	v_xor_b32_e32 v21, vcc_lo, v21
	v_cmp_gt_i32_e32 vcc_lo, 0, v23
	v_not_b32_e32 v23, v24
	v_xor_b32_e32 v120, s17, v120
	v_cmp_gt_i32_e64 s17, 0, v24
	v_and_b32_e32 v21, exec_lo, v21
	v_not_b32_e32 v24, v26
	v_ashrrev_i32_e32 v23, 31, v23
	v_xor_b32_e32 v22, vcc_lo, v22
	v_cmp_gt_i32_e32 vcc_lo, 0, v26
	v_and_b32_e32 v21, v21, v120
	v_not_b32_e32 v26, v27
	v_ashrrev_i32_e32 v24, 31, v24
	v_xor_b32_e32 v23, s17, v23
	v_cmp_gt_i32_e64 s17, 0, v27
	v_and_b32_e32 v21, v21, v22
	v_not_b32_e32 v22, v119
	v_ashrrev_i32_e32 v26, 31, v26
	v_xor_b32_e32 v24, vcc_lo, v24
	v_cmp_gt_i32_e32 vcc_lo, 0, v119
	v_and_b32_e32 v21, v21, v23
	v_not_b32_e32 v23, v25
	v_ashrrev_i32_e32 v22, 31, v22
	v_xor_b32_e32 v26, s17, v26
	v_mul_u32_u24_e32 v20, 9, v20
	v_and_b32_e32 v21, v21, v24
	v_cmp_gt_i32_e64 s17, 0, v25
	v_ashrrev_i32_e32 v23, 31, v23
	v_xor_b32_e32 v22, vcc_lo, v22
	v_add_lshl_u32 v24, v20, v80, 2
	v_and_b32_e32 v21, v21, v26
	s_delay_alu instid0(VALU_DEP_4) | instskip(SKIP_3) | instid1(VALU_DEP_2)
	v_xor_b32_e32 v20, s17, v23
	ds_load_b32 v119, v24 offset:1056
	v_and_b32_e32 v21, v21, v22
	v_add_nc_u32_e32 v121, 0x420, v24
	; wave barrier
	v_and_b32_e32 v20, v21, v20
	s_delay_alu instid0(VALU_DEP_1) | instskip(SKIP_1) | instid1(VALU_DEP_2)
	v_mbcnt_lo_u32_b32 v120, v20, 0
	v_cmp_ne_u32_e64 s17, 0, v20
	v_cmp_eq_u32_e32 vcc_lo, 0, v120
	s_delay_alu instid0(VALU_DEP_2) | instskip(NEXT) | instid1(SALU_CYCLE_1)
	s_and_b32 s18, s17, vcc_lo
	s_and_saveexec_b32 s17, s18
	s_cbranch_execz .LBB223_110
; %bb.109:                              ;   in Loop: Header=BB223_74 Depth=2
	s_waitcnt lgkmcnt(0)
	v_bcnt_u32_b32 v20, v20, v119
	ds_store_b32 v121, v20
.LBB223_110:                            ;   in Loop: Header=BB223_74 Depth=2
	s_or_b32 exec_lo, exec_lo, s17
	; wave barrier
	s_waitcnt lgkmcnt(0)
	s_barrier
	buffer_gl0_inv
	ds_load_b32 v122, v46 offset:1056
	ds_load_2addr_b32 v[26:27], v47 offset0:1 offset1:2
	ds_load_2addr_b32 v[24:25], v47 offset0:3 offset1:4
	;; [unrolled: 1-line block ×4, first 2 shown]
	s_waitcnt lgkmcnt(3)
	v_add3_u32 v123, v26, v122, v27
	s_waitcnt lgkmcnt(2)
	s_delay_alu instid0(VALU_DEP_1) | instskip(SKIP_1) | instid1(VALU_DEP_1)
	v_add3_u32 v123, v123, v24, v25
	s_waitcnt lgkmcnt(1)
	v_add3_u32 v123, v123, v20, v21
	s_waitcnt lgkmcnt(0)
	s_delay_alu instid0(VALU_DEP_1) | instskip(NEXT) | instid1(VALU_DEP_1)
	v_add3_u32 v23, v123, v22, v23
	v_mov_b32_dpp v123, v23 row_shr:1 row_mask:0xf bank_mask:0xf
	s_delay_alu instid0(VALU_DEP_1) | instskip(NEXT) | instid1(VALU_DEP_1)
	v_cndmask_b32_e64 v123, v123, 0, s0
	v_add_nc_u32_e32 v23, v123, v23
	s_delay_alu instid0(VALU_DEP_1) | instskip(NEXT) | instid1(VALU_DEP_1)
	v_mov_b32_dpp v123, v23 row_shr:2 row_mask:0xf bank_mask:0xf
	v_cndmask_b32_e64 v123, 0, v123, s1
	s_delay_alu instid0(VALU_DEP_1) | instskip(NEXT) | instid1(VALU_DEP_1)
	v_add_nc_u32_e32 v23, v23, v123
	v_mov_b32_dpp v123, v23 row_shr:4 row_mask:0xf bank_mask:0xf
	s_delay_alu instid0(VALU_DEP_1) | instskip(NEXT) | instid1(VALU_DEP_1)
	v_cndmask_b32_e64 v123, 0, v123, s8
	v_add_nc_u32_e32 v23, v23, v123
	s_delay_alu instid0(VALU_DEP_1) | instskip(NEXT) | instid1(VALU_DEP_1)
	v_mov_b32_dpp v123, v23 row_shr:8 row_mask:0xf bank_mask:0xf
	v_cndmask_b32_e64 v123, 0, v123, s9
	s_delay_alu instid0(VALU_DEP_1) | instskip(SKIP_3) | instid1(VALU_DEP_1)
	v_add_nc_u32_e32 v23, v23, v123
	ds_swizzle_b32 v123, v23 offset:swizzle(BROADCAST,32,15)
	s_waitcnt lgkmcnt(0)
	v_cndmask_b32_e64 v123, v123, 0, s10
	v_add_nc_u32_e32 v23, v23, v123
	s_and_saveexec_b32 s17, s3
	s_cbranch_execz .LBB223_112
; %bb.111:                              ;   in Loop: Header=BB223_74 Depth=2
	ds_store_b32 v38, v23 offset:1024
.LBB223_112:                            ;   in Loop: Header=BB223_74 Depth=2
	s_or_b32 exec_lo, exec_lo, s17
	s_waitcnt lgkmcnt(0)
	s_barrier
	buffer_gl0_inv
	s_and_saveexec_b32 s17, s4
	s_cbranch_execz .LBB223_114
; %bb.113:                              ;   in Loop: Header=BB223_74 Depth=2
	v_add_nc_u32_e32 v123, v46, v48
	ds_load_b32 v124, v123 offset:1024
	s_waitcnt lgkmcnt(0)
	v_mov_b32_dpp v125, v124 row_shr:1 row_mask:0xf bank_mask:0xf
	s_delay_alu instid0(VALU_DEP_1) | instskip(NEXT) | instid1(VALU_DEP_1)
	v_cndmask_b32_e64 v125, v125, 0, s12
	v_add_nc_u32_e32 v124, v125, v124
	s_delay_alu instid0(VALU_DEP_1) | instskip(NEXT) | instid1(VALU_DEP_1)
	v_mov_b32_dpp v125, v124 row_shr:2 row_mask:0xf bank_mask:0xf
	v_cndmask_b32_e64 v125, 0, v125, s13
	s_delay_alu instid0(VALU_DEP_1) | instskip(NEXT) | instid1(VALU_DEP_1)
	v_add_nc_u32_e32 v124, v124, v125
	v_mov_b32_dpp v125, v124 row_shr:4 row_mask:0xf bank_mask:0xf
	s_delay_alu instid0(VALU_DEP_1) | instskip(NEXT) | instid1(VALU_DEP_1)
	v_cndmask_b32_e64 v125, 0, v125, s16
	v_add_nc_u32_e32 v124, v124, v125
	ds_store_b32 v123, v124 offset:1024
.LBB223_114:                            ;   in Loop: Header=BB223_74 Depth=2
	s_or_b32 exec_lo, exec_lo, s17
	v_mov_b32_e32 v123, 0
	s_waitcnt lgkmcnt(0)
	s_barrier
	buffer_gl0_inv
	s_and_saveexec_b32 s17, s5
	s_cbranch_execz .LBB223_116
; %bb.115:                              ;   in Loop: Header=BB223_74 Depth=2
	ds_load_b32 v123, v38 offset:1020
.LBB223_116:                            ;   in Loop: Header=BB223_74 Depth=2
	s_or_b32 exec_lo, exec_lo, s17
	s_waitcnt lgkmcnt(0)
	v_add_nc_u32_e32 v23, v123, v23
	ds_bpermute_b32 v23, v69, v23
	s_waitcnt lgkmcnt(0)
	v_cndmask_b32_e64 v23, v23, v123, s11
	s_delay_alu instid0(VALU_DEP_1) | instskip(NEXT) | instid1(VALU_DEP_1)
	v_cndmask_b32_e64 v23, v23, 0, s6
	v_add_nc_u32_e32 v122, v23, v122
	s_delay_alu instid0(VALU_DEP_1) | instskip(NEXT) | instid1(VALU_DEP_1)
	v_add_nc_u32_e32 v26, v122, v26
	v_add_nc_u32_e32 v27, v26, v27
	s_delay_alu instid0(VALU_DEP_1) | instskip(NEXT) | instid1(VALU_DEP_1)
	v_add_nc_u32_e32 v24, v27, v24
	;; [unrolled: 3-line block ×3, first 2 shown]
	v_add_nc_u32_e32 v21, v20, v21
	s_delay_alu instid0(VALU_DEP_1)
	v_add_nc_u32_e32 v22, v21, v22
	ds_store_b32 v46, v23 offset:1056
	ds_store_2addr_b32 v47, v122, v26 offset0:1 offset1:2
	ds_store_2addr_b32 v47, v27, v24 offset0:3 offset1:4
	;; [unrolled: 1-line block ×4, first 2 shown]
	v_mov_b32_e32 v22, 0x800
	s_waitcnt lgkmcnt(0)
	s_barrier
	buffer_gl0_inv
	ds_load_b32 v20, v103
	ds_load_b32 v21, v106
	;; [unrolled: 1-line block ×8, first 2 shown]
	ds_load_b32 v27, v46 offset:1056
	s_and_saveexec_b32 s17, s7
	s_cbranch_execz .LBB223_118
; %bb.117:                              ;   in Loop: Header=BB223_74 Depth=2
	ds_load_b32 v22, v49 offset:1056
.LBB223_118:                            ;   in Loop: Header=BB223_74 Depth=2
	s_or_b32 exec_lo, exec_lo, s17
	s_waitcnt lgkmcnt(0)
	s_barrier
	buffer_gl0_inv
	s_and_saveexec_b32 s17, s2
	s_cbranch_execz .LBB223_120
; %bb.119:                              ;   in Loop: Header=BB223_74 Depth=2
	ds_load_b32 v100, v28
	s_waitcnt lgkmcnt(0)
	v_sub_nc_u32_e32 v27, v100, v27
	ds_store_b32 v28, v27
.LBB223_120:                            ;   in Loop: Header=BB223_74 Depth=2
	s_or_b32 exec_lo, exec_lo, s17
	v_add_nc_u32_e32 v103, v26, v99
	v_add3_u32 v100, v102, v101, v20
	v_add3_u32 v99, v105, v104, v21
	;; [unrolled: 1-line block ×7, first 2 shown]
	v_cmp_lt_u32_e64 s23, v1, v2
	ds_store_b8 v103, v91 offset:1024
	ds_store_b8 v100, v92 offset:1024
	;; [unrolled: 1-line block ×8, first 2 shown]
	s_waitcnt lgkmcnt(0)
	s_barrier
	buffer_gl0_inv
	s_and_saveexec_b32 s17, s23
	s_cbranch_execz .LBB223_128
; %bb.121:                              ;   in Loop: Header=BB223_74 Depth=2
	ds_load_u8 v20, v1 offset:1024
	s_waitcnt lgkmcnt(0)
	v_and_b32_e32 v21, 0xff, v20
	s_delay_alu instid0(VALU_DEP_1) | instskip(NEXT) | instid1(VALU_DEP_1)
	v_lshrrev_b32_e32 v21, s30, v21
	v_and_b32_e32 v21, s31, v21
	s_delay_alu instid0(VALU_DEP_1)
	v_lshlrev_b32_e32 v21, 2, v21
	ds_load_b32 v21, v21
	s_waitcnt lgkmcnt(0)
	v_add_nc_u32_e32 v21, v21, v1
	global_store_b8 v21, v20, s[38:39]
	s_or_b32 exec_lo, exec_lo, s17
	v_cmp_lt_u32_e64 s22, v29, v2
	s_delay_alu instid0(VALU_DEP_1)
	s_and_saveexec_b32 s17, s22
	s_cbranch_execnz .LBB223_129
.LBB223_122:                            ;   in Loop: Header=BB223_74 Depth=2
	s_or_b32 exec_lo, exec_lo, s17
	v_cmp_lt_u32_e64 s21, v30, v2
	s_delay_alu instid0(VALU_DEP_1)
	s_and_saveexec_b32 s17, s21
	s_cbranch_execz .LBB223_130
.LBB223_123:                            ;   in Loop: Header=BB223_74 Depth=2
	ds_load_u8 v20, v35 offset:512
	s_waitcnt lgkmcnt(0)
	v_and_b32_e32 v21, 0xff, v20
	s_delay_alu instid0(VALU_DEP_1) | instskip(NEXT) | instid1(VALU_DEP_1)
	v_lshrrev_b32_e32 v21, s30, v21
	v_and_b32_e32 v21, s31, v21
	s_delay_alu instid0(VALU_DEP_1)
	v_lshlrev_b32_e32 v21, 2, v21
	ds_load_b32 v21, v21
	s_waitcnt lgkmcnt(0)
	v_add_nc_u32_e32 v21, v21, v30
	global_store_b8 v21, v20, s[38:39]
	s_or_b32 exec_lo, exec_lo, s17
	v_cmp_lt_u32_e64 s20, v31, v2
	s_delay_alu instid0(VALU_DEP_1)
	s_and_saveexec_b32 s17, s20
	s_cbranch_execnz .LBB223_131
.LBB223_124:                            ;   in Loop: Header=BB223_74 Depth=2
	s_or_b32 exec_lo, exec_lo, s17
	v_cmp_lt_u32_e64 s19, v35, v2
	s_delay_alu instid0(VALU_DEP_1)
	s_and_saveexec_b32 s17, s19
	s_cbranch_execz .LBB223_132
.LBB223_125:                            ;   in Loop: Header=BB223_74 Depth=2
	ds_load_u8 v20, v35 offset:1024
	s_waitcnt lgkmcnt(0)
	v_and_b32_e32 v21, 0xff, v20
	s_delay_alu instid0(VALU_DEP_1) | instskip(NEXT) | instid1(VALU_DEP_1)
	v_lshrrev_b32_e32 v21, s30, v21
	v_and_b32_e32 v21, s31, v21
	s_delay_alu instid0(VALU_DEP_1)
	v_lshlrev_b32_e32 v21, 2, v21
	ds_load_b32 v21, v21
	s_waitcnt lgkmcnt(0)
	v_add_nc_u32_e32 v21, v21, v35
	global_store_b8 v21, v20, s[38:39]
	s_or_b32 exec_lo, exec_lo, s17
	v_cmp_lt_u32_e64 s18, v36, v2
	s_delay_alu instid0(VALU_DEP_1)
	s_and_saveexec_b32 s17, s18
	s_cbranch_execnz .LBB223_133
.LBB223_126:                            ;   in Loop: Header=BB223_74 Depth=2
	s_or_b32 exec_lo, exec_lo, s17
	v_cmp_lt_u32_e64 s17, v37, v2
	s_delay_alu instid0(VALU_DEP_1)
	s_and_saveexec_b32 s43, s17
	s_cbranch_execz .LBB223_134
.LBB223_127:                            ;   in Loop: Header=BB223_74 Depth=2
	ds_load_u8 v20, v35 offset:1536
	s_waitcnt lgkmcnt(0)
	v_and_b32_e32 v21, 0xff, v20
	s_delay_alu instid0(VALU_DEP_1) | instskip(NEXT) | instid1(VALU_DEP_1)
	v_lshrrev_b32_e32 v21, s30, v21
	v_and_b32_e32 v21, s31, v21
	s_delay_alu instid0(VALU_DEP_1)
	v_lshlrev_b32_e32 v21, 2, v21
	ds_load_b32 v21, v21
	s_waitcnt lgkmcnt(0)
	v_add_nc_u32_e32 v21, v21, v37
	global_store_b8 v21, v20, s[38:39]
	s_or_b32 exec_lo, exec_lo, s43
	v_cmp_lt_u32_e32 vcc_lo, v39, v2
	s_and_saveexec_b32 s43, vcc_lo
	s_cbranch_execnz .LBB223_135
	s_branch .LBB223_136
.LBB223_128:                            ;   in Loop: Header=BB223_74 Depth=2
	s_or_b32 exec_lo, exec_lo, s17
	v_cmp_lt_u32_e64 s22, v29, v2
	s_delay_alu instid0(VALU_DEP_1)
	s_and_saveexec_b32 s17, s22
	s_cbranch_execz .LBB223_122
.LBB223_129:                            ;   in Loop: Header=BB223_74 Depth=2
	ds_load_u8 v20, v35 offset:256
	s_waitcnt lgkmcnt(0)
	v_and_b32_e32 v21, 0xff, v20
	s_delay_alu instid0(VALU_DEP_1) | instskip(NEXT) | instid1(VALU_DEP_1)
	v_lshrrev_b32_e32 v21, s30, v21
	v_and_b32_e32 v21, s31, v21
	s_delay_alu instid0(VALU_DEP_1)
	v_lshlrev_b32_e32 v21, 2, v21
	ds_load_b32 v21, v21
	s_waitcnt lgkmcnt(0)
	v_add_nc_u32_e32 v21, v21, v29
	global_store_b8 v21, v20, s[38:39]
	s_or_b32 exec_lo, exec_lo, s17
	v_cmp_lt_u32_e64 s21, v30, v2
	s_delay_alu instid0(VALU_DEP_1)
	s_and_saveexec_b32 s17, s21
	s_cbranch_execnz .LBB223_123
.LBB223_130:                            ;   in Loop: Header=BB223_74 Depth=2
	s_or_b32 exec_lo, exec_lo, s17
	v_cmp_lt_u32_e64 s20, v31, v2
	s_delay_alu instid0(VALU_DEP_1)
	s_and_saveexec_b32 s17, s20
	s_cbranch_execz .LBB223_124
.LBB223_131:                            ;   in Loop: Header=BB223_74 Depth=2
	ds_load_u8 v20, v35 offset:768
	s_waitcnt lgkmcnt(0)
	v_and_b32_e32 v21, 0xff, v20
	s_delay_alu instid0(VALU_DEP_1) | instskip(NEXT) | instid1(VALU_DEP_1)
	v_lshrrev_b32_e32 v21, s30, v21
	v_and_b32_e32 v21, s31, v21
	s_delay_alu instid0(VALU_DEP_1)
	v_lshlrev_b32_e32 v21, 2, v21
	ds_load_b32 v21, v21
	s_waitcnt lgkmcnt(0)
	v_add_nc_u32_e32 v21, v21, v31
	global_store_b8 v21, v20, s[38:39]
	s_or_b32 exec_lo, exec_lo, s17
	v_cmp_lt_u32_e64 s19, v35, v2
	s_delay_alu instid0(VALU_DEP_1)
	s_and_saveexec_b32 s17, s19
	s_cbranch_execnz .LBB223_125
.LBB223_132:                            ;   in Loop: Header=BB223_74 Depth=2
	s_or_b32 exec_lo, exec_lo, s17
	v_cmp_lt_u32_e64 s18, v36, v2
	s_delay_alu instid0(VALU_DEP_1)
	s_and_saveexec_b32 s17, s18
	s_cbranch_execz .LBB223_126
.LBB223_133:                            ;   in Loop: Header=BB223_74 Depth=2
	ds_load_u8 v20, v35 offset:1280
	s_waitcnt lgkmcnt(0)
	v_and_b32_e32 v21, 0xff, v20
	s_delay_alu instid0(VALU_DEP_1) | instskip(NEXT) | instid1(VALU_DEP_1)
	v_lshrrev_b32_e32 v21, s30, v21
	v_and_b32_e32 v21, s31, v21
	s_delay_alu instid0(VALU_DEP_1)
	v_lshlrev_b32_e32 v21, 2, v21
	ds_load_b32 v21, v21
	s_waitcnt lgkmcnt(0)
	v_add_nc_u32_e32 v21, v21, v36
	global_store_b8 v21, v20, s[38:39]
	s_or_b32 exec_lo, exec_lo, s17
	v_cmp_lt_u32_e64 s17, v37, v2
	s_delay_alu instid0(VALU_DEP_1)
	s_and_saveexec_b32 s43, s17
	s_cbranch_execnz .LBB223_127
.LBB223_134:                            ;   in Loop: Header=BB223_74 Depth=2
	s_or_b32 exec_lo, exec_lo, s43
	v_cmp_lt_u32_e32 vcc_lo, v39, v2
	s_and_saveexec_b32 s43, vcc_lo
	s_cbranch_execz .LBB223_136
.LBB223_135:                            ;   in Loop: Header=BB223_74 Depth=2
	ds_load_u8 v20, v35 offset:1792
	s_waitcnt lgkmcnt(0)
	v_and_b32_e32 v21, 0xff, v20
	s_delay_alu instid0(VALU_DEP_1) | instskip(NEXT) | instid1(VALU_DEP_1)
	v_lshrrev_b32_e32 v21, s30, v21
	v_and_b32_e32 v21, s31, v21
	s_delay_alu instid0(VALU_DEP_1)
	v_lshlrev_b32_e32 v21, 2, v21
	ds_load_b32 v21, v21
	s_waitcnt lgkmcnt(0)
	v_add_nc_u32_e32 v21, v21, v39
	global_store_b8 v21, v20, s[38:39]
.LBB223_136:                            ;   in Loop: Header=BB223_74 Depth=2
	s_or_b32 exec_lo, exec_lo, s43
	s_lshl_b64 s[52:53], s[24:25], 3
	s_delay_alu instid0(SALU_CYCLE_1) | instskip(NEXT) | instid1(VALU_DEP_1)
	v_add_co_u32 v20, s24, v71, s52
	v_add_co_ci_u32_e64 v21, s24, s53, v72, s24
	v_cmp_lt_u32_e64 s24, v70, v2
	s_delay_alu instid0(VALU_DEP_1) | instskip(NEXT) | instid1(SALU_CYCLE_1)
	s_and_saveexec_b32 s43, s24
	s_xor_b32 s24, exec_lo, s43
	s_cbranch_execz .LBB223_152
; %bb.137:                              ;   in Loop: Header=BB223_74 Depth=2
	global_load_b64 v[18:19], v[20:21], off
	s_or_b32 exec_lo, exec_lo, s24
	s_delay_alu instid0(SALU_CYCLE_1)
	s_mov_b32 s43, exec_lo
	v_cmpx_lt_u32_e64 v73, v2
	s_cbranch_execnz .LBB223_153
.LBB223_138:                            ;   in Loop: Header=BB223_74 Depth=2
	s_or_b32 exec_lo, exec_lo, s43
	s_delay_alu instid0(SALU_CYCLE_1)
	s_mov_b32 s43, exec_lo
	v_cmpx_lt_u32_e64 v74, v2
	s_cbranch_execz .LBB223_154
.LBB223_139:                            ;   in Loop: Header=BB223_74 Depth=2
	global_load_b64 v[14:15], v[20:21], off offset:512
	s_or_b32 exec_lo, exec_lo, s43
	s_delay_alu instid0(SALU_CYCLE_1)
	s_mov_b32 s43, exec_lo
	v_cmpx_lt_u32_e64 v75, v2
	s_cbranch_execnz .LBB223_155
.LBB223_140:                            ;   in Loop: Header=BB223_74 Depth=2
	s_or_b32 exec_lo, exec_lo, s43
	s_delay_alu instid0(SALU_CYCLE_1)
	s_mov_b32 s43, exec_lo
	v_cmpx_lt_u32_e64 v76, v2
	s_cbranch_execz .LBB223_156
.LBB223_141:                            ;   in Loop: Header=BB223_74 Depth=2
	global_load_b64 v[10:11], v[20:21], off offset:1024
	s_or_b32 exec_lo, exec_lo, s43
	s_delay_alu instid0(SALU_CYCLE_1)
	s_mov_b32 s43, exec_lo
	v_cmpx_lt_u32_e64 v77, v2
	s_cbranch_execnz .LBB223_157
.LBB223_142:                            ;   in Loop: Header=BB223_74 Depth=2
	s_or_b32 exec_lo, exec_lo, s43
	s_delay_alu instid0(SALU_CYCLE_1)
	s_mov_b32 s43, exec_lo
	v_cmpx_lt_u32_e64 v78, v2
	s_cbranch_execz .LBB223_158
.LBB223_143:                            ;   in Loop: Header=BB223_74 Depth=2
	global_load_b64 v[6:7], v[20:21], off offset:1536
	s_or_b32 exec_lo, exec_lo, s43
	s_delay_alu instid0(SALU_CYCLE_1)
	s_mov_b32 s43, exec_lo
	v_cmpx_lt_u32_e64 v79, v2
	s_cbranch_execnz .LBB223_159
.LBB223_144:                            ;   in Loop: Header=BB223_74 Depth=2
	s_or_b32 exec_lo, exec_lo, s43
	s_and_saveexec_b32 s24, s23
	s_cbranch_execz .LBB223_160
.LBB223_145:                            ;   in Loop: Header=BB223_74 Depth=2
	ds_load_u8 v2, v1 offset:1024
	s_waitcnt lgkmcnt(0)
	v_lshrrev_b32_e32 v2, s30, v2
	s_delay_alu instid0(VALU_DEP_1)
	v_and_b32_e32 v90, s31, v2
	s_or_b32 exec_lo, exec_lo, s24
	s_and_saveexec_b32 s24, s22
	s_cbranch_execnz .LBB223_161
.LBB223_146:                            ;   in Loop: Header=BB223_74 Depth=2
	s_or_b32 exec_lo, exec_lo, s24
	s_and_saveexec_b32 s24, s21
	s_cbranch_execz .LBB223_162
.LBB223_147:                            ;   in Loop: Header=BB223_74 Depth=2
	ds_load_u8 v2, v35 offset:512
	s_waitcnt lgkmcnt(0)
	v_lshrrev_b32_e32 v2, s30, v2
	s_delay_alu instid0(VALU_DEP_1)
	v_and_b32_e32 v88, s31, v2
	s_or_b32 exec_lo, exec_lo, s24
	s_and_saveexec_b32 s24, s20
	s_cbranch_execnz .LBB223_163
.LBB223_148:                            ;   in Loop: Header=BB223_74 Depth=2
	s_or_b32 exec_lo, exec_lo, s24
	s_and_saveexec_b32 s24, s19
	s_cbranch_execz .LBB223_164
.LBB223_149:                            ;   in Loop: Header=BB223_74 Depth=2
	ds_load_u8 v2, v35 offset:1024
	s_waitcnt lgkmcnt(0)
	v_lshrrev_b32_e32 v2, s30, v2
	s_delay_alu instid0(VALU_DEP_1)
	v_and_b32_e32 v86, s31, v2
	s_or_b32 exec_lo, exec_lo, s24
	s_and_saveexec_b32 s24, s18
	s_cbranch_execnz .LBB223_165
.LBB223_150:                            ;   in Loop: Header=BB223_74 Depth=2
	s_or_b32 exec_lo, exec_lo, s24
	s_and_saveexec_b32 s24, s17
	s_cbranch_execz .LBB223_166
.LBB223_151:                            ;   in Loop: Header=BB223_74 Depth=2
	ds_load_u8 v2, v35 offset:1536
	s_waitcnt lgkmcnt(0)
	v_lshrrev_b32_e32 v2, s30, v2
	s_delay_alu instid0(VALU_DEP_1)
	v_and_b32_e32 v84, s31, v2
	s_or_b32 exec_lo, exec_lo, s24
	s_and_saveexec_b32 s24, vcc_lo
	s_cbranch_execnz .LBB223_167
	s_branch .LBB223_168
.LBB223_152:                            ;   in Loop: Header=BB223_74 Depth=2
	s_or_b32 exec_lo, exec_lo, s24
	s_delay_alu instid0(SALU_CYCLE_1)
	s_mov_b32 s43, exec_lo
	v_cmpx_lt_u32_e64 v73, v2
	s_cbranch_execz .LBB223_138
.LBB223_153:                            ;   in Loop: Header=BB223_74 Depth=2
	global_load_b64 v[16:17], v[20:21], off offset:256
	s_or_b32 exec_lo, exec_lo, s43
	s_delay_alu instid0(SALU_CYCLE_1)
	s_mov_b32 s43, exec_lo
	v_cmpx_lt_u32_e64 v74, v2
	s_cbranch_execnz .LBB223_139
.LBB223_154:                            ;   in Loop: Header=BB223_74 Depth=2
	s_or_b32 exec_lo, exec_lo, s43
	s_delay_alu instid0(SALU_CYCLE_1)
	s_mov_b32 s43, exec_lo
	v_cmpx_lt_u32_e64 v75, v2
	s_cbranch_execz .LBB223_140
.LBB223_155:                            ;   in Loop: Header=BB223_74 Depth=2
	global_load_b64 v[12:13], v[20:21], off offset:768
	s_or_b32 exec_lo, exec_lo, s43
	s_delay_alu instid0(SALU_CYCLE_1)
	s_mov_b32 s43, exec_lo
	v_cmpx_lt_u32_e64 v76, v2
	s_cbranch_execnz .LBB223_141
.LBB223_156:                            ;   in Loop: Header=BB223_74 Depth=2
	s_or_b32 exec_lo, exec_lo, s43
	s_delay_alu instid0(SALU_CYCLE_1)
	s_mov_b32 s43, exec_lo
	v_cmpx_lt_u32_e64 v77, v2
	s_cbranch_execz .LBB223_142
.LBB223_157:                            ;   in Loop: Header=BB223_74 Depth=2
	global_load_b64 v[8:9], v[20:21], off offset:1280
	s_or_b32 exec_lo, exec_lo, s43
	s_delay_alu instid0(SALU_CYCLE_1)
	s_mov_b32 s43, exec_lo
	v_cmpx_lt_u32_e64 v78, v2
	s_cbranch_execnz .LBB223_143
.LBB223_158:                            ;   in Loop: Header=BB223_74 Depth=2
	s_or_b32 exec_lo, exec_lo, s43
	s_delay_alu instid0(SALU_CYCLE_1)
	s_mov_b32 s43, exec_lo
	v_cmpx_lt_u32_e64 v79, v2
	s_cbranch_execz .LBB223_144
.LBB223_159:                            ;   in Loop: Header=BB223_74 Depth=2
	global_load_b64 v[4:5], v[20:21], off offset:1792
	s_or_b32 exec_lo, exec_lo, s43
	s_and_saveexec_b32 s24, s23
	s_cbranch_execnz .LBB223_145
.LBB223_160:                            ;   in Loop: Header=BB223_74 Depth=2
	s_or_b32 exec_lo, exec_lo, s24
	s_and_saveexec_b32 s24, s22
	s_cbranch_execz .LBB223_146
.LBB223_161:                            ;   in Loop: Header=BB223_74 Depth=2
	ds_load_u8 v2, v35 offset:256
	s_waitcnt lgkmcnt(0)
	v_lshrrev_b32_e32 v2, s30, v2
	s_delay_alu instid0(VALU_DEP_1)
	v_and_b32_e32 v89, s31, v2
	s_or_b32 exec_lo, exec_lo, s24
	s_and_saveexec_b32 s24, s21
	s_cbranch_execnz .LBB223_147
.LBB223_162:                            ;   in Loop: Header=BB223_74 Depth=2
	s_or_b32 exec_lo, exec_lo, s24
	s_and_saveexec_b32 s24, s20
	s_cbranch_execz .LBB223_148
.LBB223_163:                            ;   in Loop: Header=BB223_74 Depth=2
	ds_load_u8 v2, v35 offset:768
	s_waitcnt lgkmcnt(0)
	v_lshrrev_b32_e32 v2, s30, v2
	s_delay_alu instid0(VALU_DEP_1)
	v_and_b32_e32 v87, s31, v2
	s_or_b32 exec_lo, exec_lo, s24
	s_and_saveexec_b32 s24, s19
	s_cbranch_execnz .LBB223_149
.LBB223_164:                            ;   in Loop: Header=BB223_74 Depth=2
	s_or_b32 exec_lo, exec_lo, s24
	s_and_saveexec_b32 s24, s18
	s_cbranch_execz .LBB223_150
.LBB223_165:                            ;   in Loop: Header=BB223_74 Depth=2
	ds_load_u8 v2, v35 offset:1280
	s_waitcnt lgkmcnt(0)
	v_lshrrev_b32_e32 v2, s30, v2
	s_delay_alu instid0(VALU_DEP_1)
	v_and_b32_e32 v85, s31, v2
	s_or_b32 exec_lo, exec_lo, s24
	s_and_saveexec_b32 s24, s17
	s_cbranch_execnz .LBB223_151
.LBB223_166:                            ;   in Loop: Header=BB223_74 Depth=2
	s_or_b32 exec_lo, exec_lo, s24
	s_and_saveexec_b32 s24, vcc_lo
	s_cbranch_execz .LBB223_168
.LBB223_167:                            ;   in Loop: Header=BB223_74 Depth=2
	ds_load_u8 v2, v35 offset:1792
	s_waitcnt lgkmcnt(0)
	v_lshrrev_b32_e32 v2, s30, v2
	s_delay_alu instid0(VALU_DEP_1)
	v_and_b32_e32 v83, s31, v2
.LBB223_168:                            ;   in Loop: Header=BB223_74 Depth=2
	s_or_b32 exec_lo, exec_lo, s24
	v_lshlrev_b32_e32 v2, 3, v103
	v_lshlrev_b32_e32 v20, 3, v100
	;; [unrolled: 1-line block ×3, first 2 shown]
	s_waitcnt vmcnt(0)
	s_waitcnt_vscnt null, 0x0
	s_barrier
	buffer_gl0_inv
	ds_store_b64 v2, v[18:19] offset:1024
	ds_store_b64 v20, v[16:17] offset:1024
	;; [unrolled: 1-line block ×3, first 2 shown]
	v_lshlrev_b32_e32 v2, 3, v27
	v_lshlrev_b32_e32 v20, 3, v26
	;; [unrolled: 1-line block ×5, first 2 shown]
	ds_store_b64 v2, v[12:13] offset:1024
	ds_store_b64 v20, v[10:11] offset:1024
	ds_store_b64 v21, v[8:9] offset:1024
	ds_store_b64 v24, v[6:7] offset:1024
	ds_store_b64 v23, v[4:5] offset:1024
	s_waitcnt lgkmcnt(0)
	s_barrier
	buffer_gl0_inv
	s_and_saveexec_b32 s24, s23
	s_cbranch_execz .LBB223_176
; %bb.169:                              ;   in Loop: Header=BB223_74 Depth=2
	v_lshlrev_b32_e32 v2, 2, v90
	v_add_nc_u32_e32 v20, v1, v52
	ds_load_b32 v2, v2
	ds_load_b64 v[20:21], v20 offset:1024
	s_waitcnt lgkmcnt(1)
	v_add_nc_u32_e32 v2, v2, v1
	s_delay_alu instid0(VALU_DEP_1) | instskip(NEXT) | instid1(VALU_DEP_1)
	v_lshlrev_b64 v[23:24], 3, v[2:3]
	v_add_co_u32 v23, s23, s44, v23
	s_delay_alu instid0(VALU_DEP_1)
	v_add_co_ci_u32_e64 v24, s23, s45, v24, s23
	s_waitcnt lgkmcnt(0)
	global_store_b64 v[23:24], v[20:21], off
	s_or_b32 exec_lo, exec_lo, s24
	s_and_saveexec_b32 s23, s22
	s_cbranch_execnz .LBB223_177
.LBB223_170:                            ;   in Loop: Header=BB223_74 Depth=2
	s_or_b32 exec_lo, exec_lo, s23
	s_and_saveexec_b32 s22, s21
	s_cbranch_execz .LBB223_178
.LBB223_171:                            ;   in Loop: Header=BB223_74 Depth=2
	v_lshlrev_b32_e32 v2, 2, v88
	v_add_nc_u32_e32 v20, v35, v52
	ds_load_b32 v2, v2
	ds_load_b64 v[20:21], v20 offset:4096
	s_waitcnt lgkmcnt(1)
	v_add_nc_u32_e32 v2, v2, v30
	s_delay_alu instid0(VALU_DEP_1) | instskip(NEXT) | instid1(VALU_DEP_1)
	v_lshlrev_b64 v[23:24], 3, v[2:3]
	v_add_co_u32 v23, s21, s44, v23
	s_delay_alu instid0(VALU_DEP_1)
	v_add_co_ci_u32_e64 v24, s21, s45, v24, s21
	s_waitcnt lgkmcnt(0)
	global_store_b64 v[23:24], v[20:21], off
	s_or_b32 exec_lo, exec_lo, s22
	s_and_saveexec_b32 s21, s20
	s_cbranch_execnz .LBB223_179
.LBB223_172:                            ;   in Loop: Header=BB223_74 Depth=2
	s_or_b32 exec_lo, exec_lo, s21
	s_and_saveexec_b32 s20, s19
	s_cbranch_execz .LBB223_180
.LBB223_173:                            ;   in Loop: Header=BB223_74 Depth=2
	v_lshlrev_b32_e32 v2, 2, v86
	v_add_nc_u32_e32 v20, v35, v52
	ds_load_b32 v2, v2
	ds_load_b64 v[20:21], v20 offset:8192
	s_waitcnt lgkmcnt(1)
	v_add_nc_u32_e32 v2, v2, v35
	s_delay_alu instid0(VALU_DEP_1) | instskip(NEXT) | instid1(VALU_DEP_1)
	v_lshlrev_b64 v[23:24], 3, v[2:3]
	v_add_co_u32 v23, s19, s44, v23
	s_delay_alu instid0(VALU_DEP_1)
	v_add_co_ci_u32_e64 v24, s19, s45, v24, s19
	s_waitcnt lgkmcnt(0)
	global_store_b64 v[23:24], v[20:21], off
	s_or_b32 exec_lo, exec_lo, s20
	s_and_saveexec_b32 s19, s18
	s_cbranch_execnz .LBB223_181
.LBB223_174:                            ;   in Loop: Header=BB223_74 Depth=2
	s_or_b32 exec_lo, exec_lo, s19
	s_and_saveexec_b32 s18, s17
	s_cbranch_execz .LBB223_182
.LBB223_175:                            ;   in Loop: Header=BB223_74 Depth=2
	v_lshlrev_b32_e32 v2, 2, v84
	v_add_nc_u32_e32 v20, v35, v52
	ds_load_b32 v2, v2
	ds_load_b64 v[20:21], v20 offset:12288
	s_waitcnt lgkmcnt(1)
	v_add_nc_u32_e32 v2, v2, v37
	s_delay_alu instid0(VALU_DEP_1) | instskip(NEXT) | instid1(VALU_DEP_1)
	v_lshlrev_b64 v[23:24], 3, v[2:3]
	v_add_co_u32 v23, s17, s44, v23
	s_delay_alu instid0(VALU_DEP_1)
	v_add_co_ci_u32_e64 v24, s17, s45, v24, s17
	s_waitcnt lgkmcnt(0)
	global_store_b64 v[23:24], v[20:21], off
	s_or_b32 exec_lo, exec_lo, s18
	s_and_saveexec_b32 s17, vcc_lo
	s_cbranch_execnz .LBB223_183
	s_branch .LBB223_184
.LBB223_176:                            ;   in Loop: Header=BB223_74 Depth=2
	s_or_b32 exec_lo, exec_lo, s24
	s_and_saveexec_b32 s23, s22
	s_cbranch_execz .LBB223_170
.LBB223_177:                            ;   in Loop: Header=BB223_74 Depth=2
	v_lshlrev_b32_e32 v2, 2, v89
	v_add_nc_u32_e32 v20, v35, v52
	ds_load_b32 v2, v2
	ds_load_b64 v[20:21], v20 offset:2048
	s_waitcnt lgkmcnt(1)
	v_add_nc_u32_e32 v2, v2, v29
	s_delay_alu instid0(VALU_DEP_1) | instskip(NEXT) | instid1(VALU_DEP_1)
	v_lshlrev_b64 v[23:24], 3, v[2:3]
	v_add_co_u32 v23, s22, s44, v23
	s_delay_alu instid0(VALU_DEP_1)
	v_add_co_ci_u32_e64 v24, s22, s45, v24, s22
	s_waitcnt lgkmcnt(0)
	global_store_b64 v[23:24], v[20:21], off
	s_or_b32 exec_lo, exec_lo, s23
	s_and_saveexec_b32 s22, s21
	s_cbranch_execnz .LBB223_171
.LBB223_178:                            ;   in Loop: Header=BB223_74 Depth=2
	s_or_b32 exec_lo, exec_lo, s22
	s_and_saveexec_b32 s21, s20
	s_cbranch_execz .LBB223_172
.LBB223_179:                            ;   in Loop: Header=BB223_74 Depth=2
	v_lshlrev_b32_e32 v2, 2, v87
	v_add_nc_u32_e32 v20, v35, v52
	ds_load_b32 v2, v2
	ds_load_b64 v[20:21], v20 offset:6144
	s_waitcnt lgkmcnt(1)
	v_add_nc_u32_e32 v2, v2, v31
	s_delay_alu instid0(VALU_DEP_1) | instskip(NEXT) | instid1(VALU_DEP_1)
	v_lshlrev_b64 v[23:24], 3, v[2:3]
	v_add_co_u32 v23, s20, s44, v23
	s_delay_alu instid0(VALU_DEP_1)
	v_add_co_ci_u32_e64 v24, s20, s45, v24, s20
	s_waitcnt lgkmcnt(0)
	global_store_b64 v[23:24], v[20:21], off
	s_or_b32 exec_lo, exec_lo, s21
	s_and_saveexec_b32 s20, s19
	s_cbranch_execnz .LBB223_173
.LBB223_180:                            ;   in Loop: Header=BB223_74 Depth=2
	s_or_b32 exec_lo, exec_lo, s20
	s_and_saveexec_b32 s19, s18
	s_cbranch_execz .LBB223_174
.LBB223_181:                            ;   in Loop: Header=BB223_74 Depth=2
	v_lshlrev_b32_e32 v2, 2, v85
	v_add_nc_u32_e32 v20, v35, v52
	ds_load_b32 v2, v2
	ds_load_b64 v[20:21], v20 offset:10240
	s_waitcnt lgkmcnt(1)
	v_add_nc_u32_e32 v2, v2, v36
	s_delay_alu instid0(VALU_DEP_1) | instskip(NEXT) | instid1(VALU_DEP_1)
	v_lshlrev_b64 v[23:24], 3, v[2:3]
	v_add_co_u32 v23, s18, s44, v23
	s_delay_alu instid0(VALU_DEP_1)
	v_add_co_ci_u32_e64 v24, s18, s45, v24, s18
	s_waitcnt lgkmcnt(0)
	global_store_b64 v[23:24], v[20:21], off
	s_or_b32 exec_lo, exec_lo, s19
	s_and_saveexec_b32 s18, s17
	s_cbranch_execnz .LBB223_175
.LBB223_182:                            ;   in Loop: Header=BB223_74 Depth=2
	s_or_b32 exec_lo, exec_lo, s18
	s_and_saveexec_b32 s17, vcc_lo
	s_cbranch_execz .LBB223_184
.LBB223_183:                            ;   in Loop: Header=BB223_74 Depth=2
	v_lshlrev_b32_e32 v2, 2, v83
	v_add_nc_u32_e32 v20, v35, v52
	ds_load_b32 v2, v2
	ds_load_b64 v[20:21], v20 offset:14336
	s_waitcnt lgkmcnt(1)
	v_add_nc_u32_e32 v2, v2, v39
	s_delay_alu instid0(VALU_DEP_1) | instskip(NEXT) | instid1(VALU_DEP_1)
	v_lshlrev_b64 v[23:24], 3, v[2:3]
	v_add_co_u32 v23, vcc_lo, s44, v23
	s_delay_alu instid0(VALU_DEP_2)
	v_add_co_ci_u32_e32 v24, vcc_lo, s45, v24, vcc_lo
	s_waitcnt lgkmcnt(0)
	global_store_b64 v[23:24], v[20:21], off
.LBB223_184:                            ;   in Loop: Header=BB223_74 Depth=2
	s_or_b32 exec_lo, exec_lo, s17
	s_waitcnt_vscnt null, 0x0
	s_barrier
	buffer_gl0_inv
	s_and_saveexec_b32 s17, s2
	s_cbranch_execz .LBB223_73
; %bb.185:                              ;   in Loop: Header=BB223_74 Depth=2
	ds_load_b32 v2, v28
	s_waitcnt lgkmcnt(0)
	v_add_nc_u32_e32 v2, v2, v22
	ds_store_b32 v28, v2
	s_branch .LBB223_73
.LBB223_186:                            ;   in Loop: Header=BB223_20 Depth=1
	s_waitcnt lgkmcnt(0)
	s_mov_b32 s0, 0
	s_barrier
.LBB223_187:                            ;   in Loop: Header=BB223_20 Depth=1
	s_and_b32 vcc_lo, exec_lo, s0
	s_cbranch_vccz .LBB223_353
; %bb.188:                              ;   in Loop: Header=BB223_20 Depth=1
	s_mov_b32 s0, s34
	s_mov_b32 s9, s28
	s_barrier
	buffer_gl0_inv
                                        ; implicit-def: $vgpr2
                                        ; implicit-def: $vgpr6
                                        ; implicit-def: $vgpr7
                                        ; implicit-def: $vgpr8
                                        ; implicit-def: $vgpr9
                                        ; implicit-def: $vgpr10
                                        ; implicit-def: $vgpr11
                                        ; implicit-def: $vgpr12
	s_branch .LBB223_190
.LBB223_189:                            ;   in Loop: Header=BB223_190 Depth=2
	s_or_b32 exec_lo, exec_lo, s8
	s_addk_i32 s0, 0xf800
	s_cmp_ge_u32 s1, s29
	s_mov_b32 s9, s1
	s_cbranch_scc1 .LBB223_228
.LBB223_190:                            ;   Parent Loop BB223_20 Depth=1
                                        ; =>  This Inner Loop Header: Depth=2
	s_add_i32 s1, s9, 0x800
	s_delay_alu instid0(SALU_CYCLE_1)
	s_cmp_gt_u32 s1, s29
	s_cbranch_scc1 .LBB223_193
; %bb.191:                              ;   in Loop: Header=BB223_190 Depth=2
	v_add_co_u32 v4, vcc_lo, v53, s9
	v_add_co_ci_u32_e32 v5, vcc_lo, 0, v54, vcc_lo
	s_mov_b32 s8, -1
	s_movk_i32 s12, 0x800
	s_clause 0x6
	global_load_u8 v20, v[4:5], off offset:1536
	global_load_u8 v19, v[4:5], off offset:1280
	;; [unrolled: 1-line block ×6, first 2 shown]
	global_load_u8 v14, v[4:5], off
	v_add_co_u32 v4, vcc_lo, 0x700, v4
	v_add_co_ci_u32_e32 v5, vcc_lo, 0, v5, vcc_lo
	s_cbranch_execz .LBB223_194
; %bb.192:                              ;   in Loop: Header=BB223_190 Depth=2
                                        ; implicit-def: $vgpr2
                                        ; implicit-def: $vgpr6
                                        ; implicit-def: $vgpr7
                                        ; implicit-def: $vgpr8
                                        ; implicit-def: $vgpr9
                                        ; implicit-def: $vgpr10
                                        ; implicit-def: $vgpr11
                                        ; implicit-def: $vgpr12
	v_mov_b32_e32 v13, s0
	s_and_saveexec_b32 s9, s8
	s_cbranch_execnz .LBB223_205
	s_branch .LBB223_206
.LBB223_193:                            ;   in Loop: Header=BB223_190 Depth=2
	s_mov_b32 s8, 0
                                        ; implicit-def: $sgpr12
                                        ; implicit-def: $vgpr14
                                        ; implicit-def: $vgpr15
                                        ; implicit-def: $vgpr16
                                        ; implicit-def: $vgpr17
                                        ; implicit-def: $vgpr18
                                        ; implicit-def: $vgpr19
                                        ; implicit-def: $vgpr20
                                        ; implicit-def: $vgpr4_vgpr5
.LBB223_194:                            ;   in Loop: Header=BB223_190 Depth=2
	s_add_u32 s10, s38, s9
	s_addc_u32 s11, s39, 0
	s_mov_b32 s12, exec_lo
	v_cmpx_gt_u32_e64 s0, v1
	s_cbranch_execz .LBB223_222
; %bb.195:                              ;   in Loop: Header=BB223_190 Depth=2
	v_add_co_u32 v4, s13, s10, v1
	s_delay_alu instid0(VALU_DEP_1) | instskip(SKIP_2) | instid1(SALU_CYCLE_1)
	v_add_co_ci_u32_e64 v5, null, s11, 0, s13
	global_load_u8 v2, v[4:5], off
	s_or_b32 exec_lo, exec_lo, s12
	s_mov_b32 s12, exec_lo
	v_cmpx_gt_u32_e64 s0, v29
	s_cbranch_execnz .LBB223_223
.LBB223_196:                            ;   in Loop: Header=BB223_190 Depth=2
	s_or_b32 exec_lo, exec_lo, s12
	s_delay_alu instid0(SALU_CYCLE_1)
	s_mov_b32 s12, exec_lo
	v_cmpx_gt_u32_e64 s0, v30
	s_cbranch_execz .LBB223_224
.LBB223_197:                            ;   in Loop: Header=BB223_190 Depth=2
	v_add_co_u32 v4, s13, s10, v1
	s_delay_alu instid0(VALU_DEP_1) | instskip(SKIP_2) | instid1(SALU_CYCLE_1)
	v_add_co_ci_u32_e64 v5, null, s11, 0, s13
	global_load_u8 v7, v[4:5], off offset:512
	s_or_b32 exec_lo, exec_lo, s12
	s_mov_b32 s12, exec_lo
	v_cmpx_gt_u32_e64 s0, v31
	s_cbranch_execnz .LBB223_225
.LBB223_198:                            ;   in Loop: Header=BB223_190 Depth=2
	s_or_b32 exec_lo, exec_lo, s12
	s_delay_alu instid0(SALU_CYCLE_1)
	s_mov_b32 s12, exec_lo
	v_cmpx_gt_u32_e64 s0, v35
	s_cbranch_execz .LBB223_226
.LBB223_199:                            ;   in Loop: Header=BB223_190 Depth=2
	v_add_co_u32 v4, s13, s10, v1
	s_delay_alu instid0(VALU_DEP_1) | instskip(SKIP_2) | instid1(SALU_CYCLE_1)
	v_add_co_ci_u32_e64 v5, null, s11, 0, s13
	global_load_u8 v9, v[4:5], off offset:1024
	s_or_b32 exec_lo, exec_lo, s12
	s_mov_b32 s12, exec_lo
	v_cmpx_gt_u32_e64 s0, v36
	s_cbranch_execnz .LBB223_227
.LBB223_200:                            ;   in Loop: Header=BB223_190 Depth=2
	s_or_b32 exec_lo, exec_lo, s12
	s_delay_alu instid0(SALU_CYCLE_1)
	s_mov_b32 s12, exec_lo
	v_cmpx_gt_u32_e64 s0, v37
	s_cbranch_execz .LBB223_202
.LBB223_201:                            ;   in Loop: Header=BB223_190 Depth=2
	v_add_co_u32 v4, s13, s10, v1
	s_delay_alu instid0(VALU_DEP_1)
	v_add_co_ci_u32_e64 v5, null, s11, 0, s13
	global_load_u8 v11, v[4:5], off offset:1536
.LBB223_202:                            ;   in Loop: Header=BB223_190 Depth=2
	s_or_b32 exec_lo, exec_lo, s12
	s_delay_alu instid0(SALU_CYCLE_1)
	s_mov_b32 s13, exec_lo
                                        ; implicit-def: $sgpr12
                                        ; implicit-def: $vgpr4_vgpr5
	v_cmpx_gt_u32_e64 s0, v39
; %bb.203:                              ;   in Loop: Header=BB223_190 Depth=2
	v_add_co_u32 v4, s10, s10, v1
	s_delay_alu instid0(VALU_DEP_1) | instskip(SKIP_1) | instid1(VALU_DEP_2)
	v_add_co_ci_u32_e64 v5, null, s11, 0, s10
	s_sub_i32 s12, s29, s9
	v_add_co_u32 v4, vcc_lo, 0x700, v4
	s_delay_alu instid0(VALU_DEP_2)
	v_add_co_ci_u32_e32 v5, vcc_lo, 0, v5, vcc_lo
	s_or_b32 s8, s8, exec_lo
                                        ; implicit-def: $vgpr12
; %bb.204:                              ;   in Loop: Header=BB223_190 Depth=2
	s_or_b32 exec_lo, exec_lo, s13
	s_waitcnt vmcnt(0)
	v_dual_mov_b32 v14, v2 :: v_dual_mov_b32 v17, v8
	v_dual_mov_b32 v15, v6 :: v_dual_mov_b32 v16, v7
	v_dual_mov_b32 v18, v9 :: v_dual_mov_b32 v19, v10
	v_dual_mov_b32 v20, v11 :: v_dual_mov_b32 v13, s0
	s_and_saveexec_b32 s9, s8
	s_cbranch_execz .LBB223_206
.LBB223_205:                            ;   in Loop: Header=BB223_190 Depth=2
	global_load_u8 v12, v[4:5], off
	s_waitcnt vmcnt(1)
	v_dual_mov_b32 v13, s12 :: v_dual_mov_b32 v2, v14
	v_dual_mov_b32 v6, v15 :: v_dual_mov_b32 v7, v16
	v_dual_mov_b32 v8, v17 :: v_dual_mov_b32 v9, v18
	v_dual_mov_b32 v10, v19 :: v_dual_mov_b32 v11, v20
.LBB223_206:                            ;   in Loop: Header=BB223_190 Depth=2
	s_or_b32 exec_lo, exec_lo, s9
	s_delay_alu instid0(SALU_CYCLE_1)
	s_mov_b32 s8, exec_lo
	v_cmpx_lt_u32_e64 v1, v13
	s_cbranch_execz .LBB223_214
; %bb.207:                              ;   in Loop: Header=BB223_190 Depth=2
	v_and_b32_e32 v4, 0xff, v2
	v_lshlrev_b32_e32 v5, 2, v32
	s_delay_alu instid0(VALU_DEP_2) | instskip(NEXT) | instid1(VALU_DEP_1)
	v_lshrrev_b32_e32 v4, s30, v4
	v_and_b32_e32 v4, s31, v4
	s_delay_alu instid0(VALU_DEP_1) | instskip(SKIP_2) | instid1(SALU_CYCLE_1)
	v_lshl_or_b32 v4, v4, 4, v5
	ds_add_u32 v4, v66
	s_or_b32 exec_lo, exec_lo, s8
	s_mov_b32 s8, exec_lo
	v_cmpx_lt_u32_e64 v29, v13
	s_cbranch_execnz .LBB223_215
.LBB223_208:                            ;   in Loop: Header=BB223_190 Depth=2
	s_or_b32 exec_lo, exec_lo, s8
	s_delay_alu instid0(SALU_CYCLE_1)
	s_mov_b32 s8, exec_lo
	v_cmpx_lt_u32_e64 v30, v13
	s_cbranch_execz .LBB223_216
.LBB223_209:                            ;   in Loop: Header=BB223_190 Depth=2
	v_and_b32_e32 v4, 0xff, v7
	v_lshlrev_b32_e32 v5, 2, v32
	s_delay_alu instid0(VALU_DEP_2) | instskip(NEXT) | instid1(VALU_DEP_1)
	v_lshrrev_b32_e32 v4, s30, v4
	v_and_b32_e32 v4, s31, v4
	s_delay_alu instid0(VALU_DEP_1) | instskip(SKIP_2) | instid1(SALU_CYCLE_1)
	v_lshl_or_b32 v4, v4, 4, v5
	ds_add_u32 v4, v66
	s_or_b32 exec_lo, exec_lo, s8
	s_mov_b32 s8, exec_lo
	v_cmpx_lt_u32_e64 v31, v13
	s_cbranch_execnz .LBB223_217
.LBB223_210:                            ;   in Loop: Header=BB223_190 Depth=2
	s_or_b32 exec_lo, exec_lo, s8
	s_delay_alu instid0(SALU_CYCLE_1)
	s_mov_b32 s8, exec_lo
	v_cmpx_lt_u32_e64 v35, v13
	s_cbranch_execz .LBB223_218
.LBB223_211:                            ;   in Loop: Header=BB223_190 Depth=2
	v_and_b32_e32 v4, 0xff, v9
	v_lshlrev_b32_e32 v5, 2, v32
	s_delay_alu instid0(VALU_DEP_2) | instskip(NEXT) | instid1(VALU_DEP_1)
	v_lshrrev_b32_e32 v4, s30, v4
	v_and_b32_e32 v4, s31, v4
	s_delay_alu instid0(VALU_DEP_1) | instskip(SKIP_2) | instid1(SALU_CYCLE_1)
	v_lshl_or_b32 v4, v4, 4, v5
	ds_add_u32 v4, v66
	s_or_b32 exec_lo, exec_lo, s8
	s_mov_b32 s8, exec_lo
	v_cmpx_lt_u32_e64 v36, v13
	s_cbranch_execnz .LBB223_219
.LBB223_212:                            ;   in Loop: Header=BB223_190 Depth=2
	s_or_b32 exec_lo, exec_lo, s8
	s_delay_alu instid0(SALU_CYCLE_1)
	s_mov_b32 s8, exec_lo
	v_cmpx_lt_u32_e64 v37, v13
	s_cbranch_execz .LBB223_220
.LBB223_213:                            ;   in Loop: Header=BB223_190 Depth=2
	v_and_b32_e32 v4, 0xff, v11
	v_lshlrev_b32_e32 v5, 2, v32
	s_delay_alu instid0(VALU_DEP_2) | instskip(NEXT) | instid1(VALU_DEP_1)
	v_lshrrev_b32_e32 v4, s30, v4
	v_and_b32_e32 v4, s31, v4
	s_delay_alu instid0(VALU_DEP_1) | instskip(SKIP_2) | instid1(SALU_CYCLE_1)
	v_lshl_or_b32 v4, v4, 4, v5
	ds_add_u32 v4, v66
	s_or_b32 exec_lo, exec_lo, s8
	s_mov_b32 s8, exec_lo
	v_cmpx_lt_u32_e64 v39, v13
	s_cbranch_execz .LBB223_189
	s_branch .LBB223_221
.LBB223_214:                            ;   in Loop: Header=BB223_190 Depth=2
	s_or_b32 exec_lo, exec_lo, s8
	s_delay_alu instid0(SALU_CYCLE_1)
	s_mov_b32 s8, exec_lo
	v_cmpx_lt_u32_e64 v29, v13
	s_cbranch_execz .LBB223_208
.LBB223_215:                            ;   in Loop: Header=BB223_190 Depth=2
	v_and_b32_e32 v4, 0xff, v6
	v_lshlrev_b32_e32 v5, 2, v32
	s_delay_alu instid0(VALU_DEP_2) | instskip(NEXT) | instid1(VALU_DEP_1)
	v_lshrrev_b32_e32 v4, s30, v4
	v_and_b32_e32 v4, s31, v4
	s_delay_alu instid0(VALU_DEP_1) | instskip(SKIP_2) | instid1(SALU_CYCLE_1)
	v_lshl_or_b32 v4, v4, 4, v5
	ds_add_u32 v4, v66
	s_or_b32 exec_lo, exec_lo, s8
	s_mov_b32 s8, exec_lo
	v_cmpx_lt_u32_e64 v30, v13
	s_cbranch_execnz .LBB223_209
.LBB223_216:                            ;   in Loop: Header=BB223_190 Depth=2
	s_or_b32 exec_lo, exec_lo, s8
	s_delay_alu instid0(SALU_CYCLE_1)
	s_mov_b32 s8, exec_lo
	v_cmpx_lt_u32_e64 v31, v13
	s_cbranch_execz .LBB223_210
.LBB223_217:                            ;   in Loop: Header=BB223_190 Depth=2
	v_and_b32_e32 v4, 0xff, v8
	v_lshlrev_b32_e32 v5, 2, v32
	s_delay_alu instid0(VALU_DEP_2) | instskip(NEXT) | instid1(VALU_DEP_1)
	v_lshrrev_b32_e32 v4, s30, v4
	v_and_b32_e32 v4, s31, v4
	s_delay_alu instid0(VALU_DEP_1) | instskip(SKIP_2) | instid1(SALU_CYCLE_1)
	v_lshl_or_b32 v4, v4, 4, v5
	ds_add_u32 v4, v66
	s_or_b32 exec_lo, exec_lo, s8
	s_mov_b32 s8, exec_lo
	v_cmpx_lt_u32_e64 v35, v13
	s_cbranch_execnz .LBB223_211
.LBB223_218:                            ;   in Loop: Header=BB223_190 Depth=2
	s_or_b32 exec_lo, exec_lo, s8
	s_delay_alu instid0(SALU_CYCLE_1)
	s_mov_b32 s8, exec_lo
	v_cmpx_lt_u32_e64 v36, v13
	s_cbranch_execz .LBB223_212
.LBB223_219:                            ;   in Loop: Header=BB223_190 Depth=2
	v_and_b32_e32 v4, 0xff, v10
	v_lshlrev_b32_e32 v5, 2, v32
	s_delay_alu instid0(VALU_DEP_2) | instskip(NEXT) | instid1(VALU_DEP_1)
	v_lshrrev_b32_e32 v4, s30, v4
	v_and_b32_e32 v4, s31, v4
	s_delay_alu instid0(VALU_DEP_1) | instskip(SKIP_2) | instid1(SALU_CYCLE_1)
	v_lshl_or_b32 v4, v4, 4, v5
	ds_add_u32 v4, v66
	s_or_b32 exec_lo, exec_lo, s8
	s_mov_b32 s8, exec_lo
	v_cmpx_lt_u32_e64 v37, v13
	s_cbranch_execnz .LBB223_213
.LBB223_220:                            ;   in Loop: Header=BB223_190 Depth=2
	s_or_b32 exec_lo, exec_lo, s8
	s_delay_alu instid0(SALU_CYCLE_1)
	s_mov_b32 s8, exec_lo
	v_cmpx_lt_u32_e64 v39, v13
	s_cbranch_execz .LBB223_189
.LBB223_221:                            ;   in Loop: Header=BB223_190 Depth=2
	s_waitcnt vmcnt(0)
	v_and_b32_e32 v4, 0xff, v12
	v_lshlrev_b32_e32 v5, 2, v32
	s_delay_alu instid0(VALU_DEP_2) | instskip(NEXT) | instid1(VALU_DEP_1)
	v_lshrrev_b32_e32 v4, s30, v4
	v_and_b32_e32 v4, s31, v4
	s_delay_alu instid0(VALU_DEP_1)
	v_lshl_or_b32 v4, v4, 4, v5
	ds_add_u32 v4, v66
	s_branch .LBB223_189
.LBB223_222:                            ;   in Loop: Header=BB223_190 Depth=2
	s_or_b32 exec_lo, exec_lo, s12
	s_delay_alu instid0(SALU_CYCLE_1)
	s_mov_b32 s12, exec_lo
	v_cmpx_gt_u32_e64 s0, v29
	s_cbranch_execz .LBB223_196
.LBB223_223:                            ;   in Loop: Header=BB223_190 Depth=2
	v_add_co_u32 v4, s13, s10, v1
	s_delay_alu instid0(VALU_DEP_1) | instskip(SKIP_2) | instid1(SALU_CYCLE_1)
	v_add_co_ci_u32_e64 v5, null, s11, 0, s13
	global_load_u8 v6, v[4:5], off offset:256
	s_or_b32 exec_lo, exec_lo, s12
	s_mov_b32 s12, exec_lo
	v_cmpx_gt_u32_e64 s0, v30
	s_cbranch_execnz .LBB223_197
.LBB223_224:                            ;   in Loop: Header=BB223_190 Depth=2
	s_or_b32 exec_lo, exec_lo, s12
	s_delay_alu instid0(SALU_CYCLE_1)
	s_mov_b32 s12, exec_lo
	v_cmpx_gt_u32_e64 s0, v31
	s_cbranch_execz .LBB223_198
.LBB223_225:                            ;   in Loop: Header=BB223_190 Depth=2
	v_add_co_u32 v4, s13, s10, v1
	s_delay_alu instid0(VALU_DEP_1) | instskip(SKIP_2) | instid1(SALU_CYCLE_1)
	v_add_co_ci_u32_e64 v5, null, s11, 0, s13
	global_load_u8 v8, v[4:5], off offset:768
	s_or_b32 exec_lo, exec_lo, s12
	s_mov_b32 s12, exec_lo
	v_cmpx_gt_u32_e64 s0, v35
	s_cbranch_execnz .LBB223_199
.LBB223_226:                            ;   in Loop: Header=BB223_190 Depth=2
	s_or_b32 exec_lo, exec_lo, s12
	s_delay_alu instid0(SALU_CYCLE_1)
	s_mov_b32 s12, exec_lo
	v_cmpx_gt_u32_e64 s0, v36
	s_cbranch_execz .LBB223_200
.LBB223_227:                            ;   in Loop: Header=BB223_190 Depth=2
	v_add_co_u32 v4, s13, s10, v1
	s_delay_alu instid0(VALU_DEP_1) | instskip(SKIP_2) | instid1(SALU_CYCLE_1)
	v_add_co_ci_u32_e64 v5, null, s11, 0, s13
	global_load_u8 v10, v[4:5], off offset:1280
	s_or_b32 exec_lo, exec_lo, s12
	s_mov_b32 s12, exec_lo
	v_cmpx_gt_u32_e64 s0, v37
	s_cbranch_execz .LBB223_202
	s_branch .LBB223_201
.LBB223_228:                            ;   in Loop: Header=BB223_20 Depth=1
	v_mov_b32_e32 v2, 0
	s_waitcnt vmcnt(0) lgkmcnt(0)
	s_barrier
	buffer_gl0_inv
	s_and_saveexec_b32 s0, s2
	s_cbranch_execz .LBB223_230
; %bb.229:                              ;   in Loop: Header=BB223_20 Depth=1
	ds_load_2addr_b64 v[4:7], v40 offset1:1
	s_waitcnt lgkmcnt(0)
	v_add_nc_u32_e32 v2, v5, v4
	s_delay_alu instid0(VALU_DEP_1)
	v_add3_u32 v2, v2, v6, v7
.LBB223_230:                            ;   in Loop: Header=BB223_20 Depth=1
	s_or_b32 exec_lo, exec_lo, s0
	v_and_b32_e32 v4, 15, v63
	s_delay_alu instid0(VALU_DEP_2) | instskip(SKIP_1) | instid1(VALU_DEP_3)
	v_mov_b32_dpp v5, v2 row_shr:1 row_mask:0xf bank_mask:0xf
	v_and_b32_e32 v6, 16, v63
	v_cmp_eq_u32_e64 s0, 0, v4
	v_cmp_lt_u32_e64 s1, 1, v4
	v_cmp_lt_u32_e64 s8, 3, v4
	;; [unrolled: 1-line block ×3, first 2 shown]
	v_cmp_eq_u32_e64 s10, 0, v6
	v_cndmask_b32_e64 v5, v5, 0, s0
	s_delay_alu instid0(VALU_DEP_1) | instskip(NEXT) | instid1(VALU_DEP_1)
	v_add_nc_u32_e32 v2, v5, v2
	v_mov_b32_dpp v5, v2 row_shr:2 row_mask:0xf bank_mask:0xf
	s_delay_alu instid0(VALU_DEP_1) | instskip(NEXT) | instid1(VALU_DEP_1)
	v_cndmask_b32_e64 v5, 0, v5, s1
	v_add_nc_u32_e32 v2, v2, v5
	s_delay_alu instid0(VALU_DEP_1) | instskip(NEXT) | instid1(VALU_DEP_1)
	v_mov_b32_dpp v5, v2 row_shr:4 row_mask:0xf bank_mask:0xf
	v_cndmask_b32_e64 v5, 0, v5, s8
	s_delay_alu instid0(VALU_DEP_1) | instskip(NEXT) | instid1(VALU_DEP_1)
	v_add_nc_u32_e32 v2, v2, v5
	v_mov_b32_dpp v5, v2 row_shr:8 row_mask:0xf bank_mask:0xf
	s_delay_alu instid0(VALU_DEP_1) | instskip(SKIP_1) | instid1(VALU_DEP_2)
	v_cndmask_b32_e64 v4, 0, v5, s9
	v_bfe_i32 v5, v63, 4, 1
	v_add_nc_u32_e32 v2, v2, v4
	ds_swizzle_b32 v4, v2 offset:swizzle(BROADCAST,32,15)
	s_waitcnt lgkmcnt(0)
	v_and_b32_e32 v4, v5, v4
	s_delay_alu instid0(VALU_DEP_1)
	v_add_nc_u32_e32 v4, v2, v4
	s_and_saveexec_b32 s11, s3
	s_cbranch_execz .LBB223_232
; %bb.231:                              ;   in Loop: Header=BB223_20 Depth=1
	ds_store_b32 v41, v4
.LBB223_232:                            ;   in Loop: Header=BB223_20 Depth=1
	s_or_b32 exec_lo, exec_lo, s11
	v_and_b32_e32 v2, 7, v63
	s_waitcnt lgkmcnt(0)
	s_barrier
	buffer_gl0_inv
	s_and_saveexec_b32 s11, s4
	s_cbranch_execz .LBB223_234
; %bb.233:                              ;   in Loop: Header=BB223_20 Depth=1
	ds_load_b32 v5, v42
	v_cmp_ne_u32_e32 vcc_lo, 0, v2
	s_waitcnt lgkmcnt(0)
	v_mov_b32_dpp v6, v5 row_shr:1 row_mask:0xf bank_mask:0xf
	s_delay_alu instid0(VALU_DEP_1) | instskip(SKIP_1) | instid1(VALU_DEP_2)
	v_cndmask_b32_e32 v6, 0, v6, vcc_lo
	v_cmp_lt_u32_e32 vcc_lo, 1, v2
	v_add_nc_u32_e32 v5, v6, v5
	s_delay_alu instid0(VALU_DEP_1) | instskip(NEXT) | instid1(VALU_DEP_1)
	v_mov_b32_dpp v6, v5 row_shr:2 row_mask:0xf bank_mask:0xf
	v_cndmask_b32_e32 v6, 0, v6, vcc_lo
	v_cmp_lt_u32_e32 vcc_lo, 3, v2
	s_delay_alu instid0(VALU_DEP_2) | instskip(NEXT) | instid1(VALU_DEP_1)
	v_add_nc_u32_e32 v5, v5, v6
	v_mov_b32_dpp v6, v5 row_shr:4 row_mask:0xf bank_mask:0xf
	s_delay_alu instid0(VALU_DEP_1) | instskip(NEXT) | instid1(VALU_DEP_1)
	v_cndmask_b32_e32 v6, 0, v6, vcc_lo
	v_add_nc_u32_e32 v5, v5, v6
	ds_store_b32 v42, v5
.LBB223_234:                            ;   in Loop: Header=BB223_20 Depth=1
	s_or_b32 exec_lo, exec_lo, s11
	v_mov_b32_e32 v5, 0
	s_waitcnt lgkmcnt(0)
	s_barrier
	buffer_gl0_inv
	s_and_saveexec_b32 s11, s5
	s_cbranch_execz .LBB223_236
; %bb.235:                              ;   in Loop: Header=BB223_20 Depth=1
	ds_load_b32 v5, v43
.LBB223_236:                            ;   in Loop: Header=BB223_20 Depth=1
	s_or_b32 exec_lo, exec_lo, s11
	v_add_nc_u32_e32 v6, -1, v63
	s_waitcnt lgkmcnt(0)
	v_add_nc_u32_e32 v4, v5, v4
	v_cmp_eq_u32_e64 s11, 0, v63
	s_barrier
	v_cmp_gt_i32_e32 vcc_lo, 0, v6
	buffer_gl0_inv
	v_cndmask_b32_e32 v6, v6, v63, vcc_lo
	s_delay_alu instid0(VALU_DEP_1)
	v_lshlrev_b32_e32 v69, 2, v6
	ds_bpermute_b32 v4, v69, v4
	s_and_saveexec_b32 s12, s2
	s_cbranch_execz .LBB223_238
; %bb.237:                              ;   in Loop: Header=BB223_20 Depth=1
	s_waitcnt lgkmcnt(0)
	v_cndmask_b32_e64 v4, v4, v5, s11
	s_delay_alu instid0(VALU_DEP_1)
	v_add_nc_u32_e32 v4, s28, v4
	ds_store_b32 v28, v4
.LBB223_238:                            ;   in Loop: Header=BB223_20 Depth=1
	s_or_b32 exec_lo, exec_lo, s12
	s_load_b64 s[12:13], s[26:27], 0x0
	v_add_co_u32 v71, vcc_lo, v57, v63
	v_add_co_ci_u32_e32 v72, vcc_lo, 0, v58, vcc_lo
	v_or_b32_e32 v70, v63, v44
	s_mov_b32 s35, s34
	s_mov_b32 s24, s28
                                        ; implicit-def: $vgpr8_vgpr9
                                        ; implicit-def: $vgpr10_vgpr11
                                        ; implicit-def: $vgpr12_vgpr13
                                        ; implicit-def: $vgpr14_vgpr15
                                        ; implicit-def: $vgpr16_vgpr17
                                        ; implicit-def: $vgpr18_vgpr19
                                        ; implicit-def: $vgpr85
                                        ; implicit-def: $vgpr86
                                        ; implicit-def: $vgpr87
                                        ; implicit-def: $vgpr88
                                        ; implicit-def: $vgpr89
                                        ; implicit-def: $vgpr90
                                        ; implicit-def: $vgpr91
                                        ; implicit-def: $vgpr92
	s_delay_alu instid0(VALU_DEP_1)
	v_or_b32_e32 v75, 32, v70
	v_or_b32_e32 v76, 64, v70
	;; [unrolled: 1-line block ×7, first 2 shown]
	s_waitcnt lgkmcnt(0)
	s_cmp_lt_u32 s15, s13
	s_cselect_b32 s13, 14, 20
	s_delay_alu instid0(SALU_CYCLE_1) | instskip(SKIP_4) | instid1(SALU_CYCLE_1)
	s_add_u32 s16, s26, s13
	s_addc_u32 s17, s27, 0
	s_cmp_lt_u32 s14, s12
	global_load_u16 v4, v3, s[16:17]
	s_cselect_b32 s12, 12, 18
	s_add_u32 s12, s26, s12
	s_addc_u32 s13, s27, 0
	global_load_u16 v6, v3, s[12:13]
	v_cmp_eq_u32_e64 s12, 0, v2
	v_cmp_lt_u32_e64 s13, 1, v2
	v_cmp_lt_u32_e64 s16, 3, v2
	v_lshlrev_b32_e32 v2, 3, v63
	s_delay_alu instid0(VALU_DEP_1)
	v_add_co_u32 v73, vcc_lo, v55, v2
	v_add_co_ci_u32_e32 v74, vcc_lo, 0, v56, vcc_lo
	v_add_co_u32 v83, vcc_lo, 0xe0, v71
	v_add_co_ci_u32_e32 v84, vcc_lo, 0, v72, vcc_lo
	s_waitcnt vmcnt(1)
	v_mad_u32_u24 v7, v45, v4, v0
	s_waitcnt vmcnt(0)
	s_delay_alu instid0(VALU_DEP_1) | instskip(NEXT) | instid1(VALU_DEP_1)
	v_mad_u64_u32 v[4:5], null, v7, v6, v[1:2]
                                        ; implicit-def: $vgpr6_vgpr7
	v_lshrrev_b32_e32 v82, 5, v4
                                        ; implicit-def: $vgpr4_vgpr5
	s_branch .LBB223_240
.LBB223_239:                            ;   in Loop: Header=BB223_240 Depth=2
	s_or_b32 exec_lo, exec_lo, s17
	s_addk_i32 s35, 0xf800
	s_cmp_lt_u32 s42, s29
	s_mov_b32 s24, s42
	s_cbranch_scc0 .LBB223_352
.LBB223_240:                            ;   Parent Loop BB223_20 Depth=1
                                        ; =>  This Inner Loop Header: Depth=2
	s_add_i32 s42, s24, 0x800
	s_delay_alu instid0(SALU_CYCLE_1)
	s_cmp_gt_u32 s42, s29
	s_cbranch_scc1 .LBB223_243
; %bb.241:                              ;   in Loop: Header=BB223_240 Depth=2
	v_add_co_u32 v20, vcc_lo, v71, s24
	v_add_co_ci_u32_e32 v21, vcc_lo, 0, v72, vcc_lo
	s_mov_b32 s19, 0
	s_mov_b32 s18, s24
	s_mov_b32 s20, -1
	s_clause 0x6
	global_load_u8 v93, v[20:21], off
	global_load_u8 v94, v[20:21], off offset:32
	global_load_u8 v95, v[20:21], off offset:64
	global_load_u8 v96, v[20:21], off offset:96
	global_load_u8 v97, v[20:21], off offset:128
	global_load_u8 v98, v[20:21], off offset:160
	global_load_u8 v99, v[20:21], off offset:192
	s_movk_i32 s17, 0x800
	s_cbranch_execz .LBB223_244
; %bb.242:                              ;   in Loop: Header=BB223_240 Depth=2
                                        ; implicit-def: $sgpr21
	v_mov_b32_e32 v100, s21
	v_mov_b32_e32 v2, s35
	s_and_saveexec_b32 s21, s20
	s_cbranch_execnz .LBB223_259
	s_branch .LBB223_260
.LBB223_243:                            ;   in Loop: Header=BB223_240 Depth=2
	s_mov_b32 s19, -1
	s_mov_b32 s20, 0
                                        ; implicit-def: $sgpr17
                                        ; implicit-def: $vgpr93
                                        ; implicit-def: $vgpr94
                                        ; implicit-def: $vgpr95
                                        ; implicit-def: $vgpr96
                                        ; implicit-def: $vgpr97
                                        ; implicit-def: $vgpr98
                                        ; implicit-def: $vgpr99
.LBB223_244:                            ;   in Loop: Header=BB223_240 Depth=2
	v_add_co_u32 v20, vcc_lo, v71, s24
	v_add_co_ci_u32_e32 v21, vcc_lo, 0, v72, vcc_lo
	s_waitcnt vmcnt(5)
	v_dual_mov_b32 v94, 0xff :: v_dual_mov_b32 v93, 0xff
	s_mov_b32 s17, exec_lo
	v_cmpx_gt_u32_e64 s35, v70
	s_cbranch_execz .LBB223_246
; %bb.245:                              ;   in Loop: Header=BB223_240 Depth=2
	global_load_u8 v93, v[20:21], off
.LBB223_246:                            ;   in Loop: Header=BB223_240 Depth=2
	s_or_b32 exec_lo, exec_lo, s17
	s_delay_alu instid0(SALU_CYCLE_1)
	s_mov_b32 s17, exec_lo
	v_cmpx_gt_u32_e64 s35, v75
	s_cbranch_execz .LBB223_248
; %bb.247:                              ;   in Loop: Header=BB223_240 Depth=2
	global_load_u8 v94, v[20:21], off offset:32
.LBB223_248:                            ;   in Loop: Header=BB223_240 Depth=2
	s_or_b32 exec_lo, exec_lo, s17
	s_waitcnt vmcnt(3)
	v_dual_mov_b32 v96, 0xff :: v_dual_mov_b32 v95, 0xff
	s_mov_b32 s17, exec_lo
	v_cmpx_gt_u32_e64 s35, v76
	s_cbranch_execz .LBB223_250
; %bb.249:                              ;   in Loop: Header=BB223_240 Depth=2
	global_load_u8 v95, v[20:21], off offset:64
.LBB223_250:                            ;   in Loop: Header=BB223_240 Depth=2
	s_or_b32 exec_lo, exec_lo, s17
	s_delay_alu instid0(SALU_CYCLE_1)
	s_mov_b32 s17, exec_lo
	v_cmpx_gt_u32_e64 s35, v77
	s_cbranch_execz .LBB223_252
; %bb.251:                              ;   in Loop: Header=BB223_240 Depth=2
	global_load_u8 v96, v[20:21], off offset:96
.LBB223_252:                            ;   in Loop: Header=BB223_240 Depth=2
	s_or_b32 exec_lo, exec_lo, s17
	s_waitcnt vmcnt(1)
	v_dual_mov_b32 v98, 0xff :: v_dual_mov_b32 v97, 0xff
	s_mov_b32 s17, exec_lo
	v_cmpx_gt_u32_e64 s35, v78
	s_cbranch_execz .LBB223_254
; %bb.253:                              ;   in Loop: Header=BB223_240 Depth=2
	global_load_u8 v97, v[20:21], off offset:128
.LBB223_254:                            ;   in Loop: Header=BB223_240 Depth=2
	s_or_b32 exec_lo, exec_lo, s17
	s_delay_alu instid0(SALU_CYCLE_1)
	s_mov_b32 s17, exec_lo
	v_cmpx_gt_u32_e64 s35, v79
	s_cbranch_execz .LBB223_256
; %bb.255:                              ;   in Loop: Header=BB223_240 Depth=2
	global_load_u8 v98, v[20:21], off offset:160
.LBB223_256:                            ;   in Loop: Header=BB223_240 Depth=2
	s_or_b32 exec_lo, exec_lo, s17
	s_waitcnt vmcnt(0)
	v_mov_b32_e32 v99, 0xff
	s_mov_b32 s17, exec_lo
	v_cmpx_gt_u32_e64 s35, v80
	s_cbranch_execz .LBB223_258
; %bb.257:                              ;   in Loop: Header=BB223_240 Depth=2
	global_load_u8 v99, v[20:21], off offset:192
.LBB223_258:                            ;   in Loop: Header=BB223_240 Depth=2
	s_or_b32 exec_lo, exec_lo, s17
	v_cmp_gt_u32_e64 s20, s35, v81
	s_sub_i32 s17, s29, s24
	s_movk_i32 s21, 0xff
	s_mov_b64 s[18:19], s[24:25]
	v_mov_b32_e32 v100, s21
	v_mov_b32_e32 v2, s35
	s_and_saveexec_b32 s21, s20
	s_cbranch_execz .LBB223_260
.LBB223_259:                            ;   in Loop: Header=BB223_240 Depth=2
	v_add_co_u32 v20, vcc_lo, v83, s18
	v_add_co_ci_u32_e32 v21, vcc_lo, s19, v84, vcc_lo
	v_mov_b32_e32 v2, s17
	global_load_u8 v100, v[20:21], off
.LBB223_260:                            ;   in Loop: Header=BB223_240 Depth=2
	s_or_b32 exec_lo, exec_lo, s21
	s_waitcnt vmcnt(6)
	v_and_b32_e32 v20, 0xff, v93
	ds_store_b32 v46, v3 offset:1056
	ds_store_2addr_b32 v47, v3, v3 offset0:1 offset1:2
	ds_store_2addr_b32 v47, v3, v3 offset0:3 offset1:4
	;; [unrolled: 1-line block ×4, first 2 shown]
	s_waitcnt vmcnt(0) lgkmcnt(0)
	s_barrier
	v_lshrrev_b32_e32 v20, s30, v20
	buffer_gl0_inv
	; wave barrier
	v_and_b32_e32 v21, s31, v20
	s_delay_alu instid0(VALU_DEP_1)
	v_and_b32_e32 v20, 1, v21
	v_lshlrev_b32_e32 v22, 30, v21
	v_lshlrev_b32_e32 v23, 29, v21
	v_lshlrev_b32_e32 v24, 28, v21
	v_lshlrev_b32_e32 v26, 27, v21
	v_add_co_u32 v20, s17, v20, -1
	s_delay_alu instid0(VALU_DEP_1)
	v_cndmask_b32_e64 v25, 0, 1, s17
	v_not_b32_e32 v102, v22
	v_cmp_gt_i32_e64 s17, 0, v22
	v_not_b32_e32 v22, v23
	v_lshlrev_b32_e32 v27, 26, v21
	v_cmp_ne_u32_e32 vcc_lo, 0, v25
	v_ashrrev_i32_e32 v102, 31, v102
	v_lshlrev_b32_e32 v101, 25, v21
	v_ashrrev_i32_e32 v22, 31, v22
	v_lshlrev_b32_e32 v25, 24, v21
	v_xor_b32_e32 v20, vcc_lo, v20
	v_cmp_gt_i32_e32 vcc_lo, 0, v23
	v_not_b32_e32 v23, v24
	v_xor_b32_e32 v102, s17, v102
	v_cmp_gt_i32_e64 s17, 0, v24
	v_and_b32_e32 v20, exec_lo, v20
	v_not_b32_e32 v24, v26
	v_ashrrev_i32_e32 v23, 31, v23
	v_xor_b32_e32 v22, vcc_lo, v22
	v_cmp_gt_i32_e32 vcc_lo, 0, v26
	v_and_b32_e32 v20, v20, v102
	v_not_b32_e32 v26, v27
	v_ashrrev_i32_e32 v24, 31, v24
	v_xor_b32_e32 v23, s17, v23
	v_cmp_gt_i32_e64 s17, 0, v27
	v_and_b32_e32 v20, v20, v22
	v_not_b32_e32 v22, v101
	v_ashrrev_i32_e32 v26, 31, v26
	v_xor_b32_e32 v24, vcc_lo, v24
	v_cmp_gt_i32_e32 vcc_lo, 0, v101
	v_and_b32_e32 v20, v20, v23
	v_not_b32_e32 v23, v25
	v_ashrrev_i32_e32 v22, 31, v22
	v_xor_b32_e32 v26, s17, v26
	v_cmp_gt_i32_e64 s17, 0, v25
	v_and_b32_e32 v20, v20, v24
	v_ashrrev_i32_e32 v23, 31, v23
	v_xor_b32_e32 v22, vcc_lo, v22
	v_mad_u32_u24 v21, v21, 9, v82
	s_delay_alu instid0(VALU_DEP_4) | instskip(NEXT) | instid1(VALU_DEP_4)
	v_and_b32_e32 v20, v20, v26
	v_xor_b32_e32 v23, s17, v23
	s_delay_alu instid0(VALU_DEP_3) | instskip(NEXT) | instid1(VALU_DEP_3)
	v_lshl_add_u32 v102, v21, 2, 0x420
	v_and_b32_e32 v20, v20, v22
	s_delay_alu instid0(VALU_DEP_1) | instskip(NEXT) | instid1(VALU_DEP_1)
	v_and_b32_e32 v20, v20, v23
	v_mbcnt_lo_u32_b32 v101, v20, 0
	v_cmp_ne_u32_e64 s17, 0, v20
	s_delay_alu instid0(VALU_DEP_2) | instskip(NEXT) | instid1(VALU_DEP_2)
	v_cmp_eq_u32_e32 vcc_lo, 0, v101
	s_and_b32 s18, s17, vcc_lo
	s_delay_alu instid0(SALU_CYCLE_1)
	s_and_saveexec_b32 s17, s18
	s_cbranch_execz .LBB223_262
; %bb.261:                              ;   in Loop: Header=BB223_240 Depth=2
	v_bcnt_u32_b32 v20, v20, 0
	ds_store_b32 v102, v20
.LBB223_262:                            ;   in Loop: Header=BB223_240 Depth=2
	s_or_b32 exec_lo, exec_lo, s17
	v_and_b32_e32 v20, 0xff, v94
	; wave barrier
	s_delay_alu instid0(VALU_DEP_1) | instskip(NEXT) | instid1(VALU_DEP_1)
	v_lshrrev_b32_e32 v20, s30, v20
	v_and_b32_e32 v20, s31, v20
	s_delay_alu instid0(VALU_DEP_1)
	v_and_b32_e32 v21, 1, v20
	v_lshlrev_b32_e32 v22, 30, v20
	v_lshlrev_b32_e32 v23, 29, v20
	;; [unrolled: 1-line block ×4, first 2 shown]
	v_add_co_u32 v21, s17, v21, -1
	s_delay_alu instid0(VALU_DEP_1)
	v_cndmask_b32_e64 v25, 0, 1, s17
	v_not_b32_e32 v104, v22
	v_cmp_gt_i32_e64 s17, 0, v22
	v_not_b32_e32 v22, v23
	v_lshlrev_b32_e32 v27, 26, v20
	v_cmp_ne_u32_e32 vcc_lo, 0, v25
	v_ashrrev_i32_e32 v104, 31, v104
	v_lshlrev_b32_e32 v103, 25, v20
	v_ashrrev_i32_e32 v22, 31, v22
	v_lshlrev_b32_e32 v25, 24, v20
	v_xor_b32_e32 v21, vcc_lo, v21
	v_cmp_gt_i32_e32 vcc_lo, 0, v23
	v_not_b32_e32 v23, v24
	v_xor_b32_e32 v104, s17, v104
	v_cmp_gt_i32_e64 s17, 0, v24
	v_and_b32_e32 v21, exec_lo, v21
	v_not_b32_e32 v24, v26
	v_ashrrev_i32_e32 v23, 31, v23
	v_xor_b32_e32 v22, vcc_lo, v22
	v_cmp_gt_i32_e32 vcc_lo, 0, v26
	v_and_b32_e32 v21, v21, v104
	v_not_b32_e32 v26, v27
	v_ashrrev_i32_e32 v24, 31, v24
	v_xor_b32_e32 v23, s17, v23
	v_cmp_gt_i32_e64 s17, 0, v27
	v_and_b32_e32 v21, v21, v22
	v_not_b32_e32 v22, v103
	v_ashrrev_i32_e32 v26, 31, v26
	v_xor_b32_e32 v24, vcc_lo, v24
	v_cmp_gt_i32_e32 vcc_lo, 0, v103
	v_and_b32_e32 v21, v21, v23
	v_not_b32_e32 v23, v25
	v_ashrrev_i32_e32 v22, 31, v22
	v_xor_b32_e32 v26, s17, v26
	v_mul_u32_u24_e32 v20, 9, v20
	v_and_b32_e32 v21, v21, v24
	v_cmp_gt_i32_e64 s17, 0, v25
	v_ashrrev_i32_e32 v23, 31, v23
	v_xor_b32_e32 v22, vcc_lo, v22
	v_add_lshl_u32 v24, v20, v82, 2
	v_and_b32_e32 v21, v21, v26
	s_delay_alu instid0(VALU_DEP_4) | instskip(SKIP_3) | instid1(VALU_DEP_2)
	v_xor_b32_e32 v20, s17, v23
	ds_load_b32 v103, v24 offset:1056
	v_and_b32_e32 v21, v21, v22
	v_add_nc_u32_e32 v105, 0x420, v24
	; wave barrier
	v_and_b32_e32 v20, v21, v20
	s_delay_alu instid0(VALU_DEP_1) | instskip(SKIP_1) | instid1(VALU_DEP_2)
	v_mbcnt_lo_u32_b32 v104, v20, 0
	v_cmp_ne_u32_e64 s17, 0, v20
	v_cmp_eq_u32_e32 vcc_lo, 0, v104
	s_delay_alu instid0(VALU_DEP_2) | instskip(NEXT) | instid1(SALU_CYCLE_1)
	s_and_b32 s18, s17, vcc_lo
	s_and_saveexec_b32 s17, s18
	s_cbranch_execz .LBB223_264
; %bb.263:                              ;   in Loop: Header=BB223_240 Depth=2
	s_waitcnt lgkmcnt(0)
	v_bcnt_u32_b32 v20, v20, v103
	ds_store_b32 v105, v20
.LBB223_264:                            ;   in Loop: Header=BB223_240 Depth=2
	s_or_b32 exec_lo, exec_lo, s17
	v_and_b32_e32 v20, 0xff, v95
	; wave barrier
	s_delay_alu instid0(VALU_DEP_1) | instskip(NEXT) | instid1(VALU_DEP_1)
	v_lshrrev_b32_e32 v20, s30, v20
	v_and_b32_e32 v20, s31, v20
	s_delay_alu instid0(VALU_DEP_1)
	v_and_b32_e32 v21, 1, v20
	v_lshlrev_b32_e32 v22, 30, v20
	v_lshlrev_b32_e32 v23, 29, v20
	;; [unrolled: 1-line block ×4, first 2 shown]
	v_add_co_u32 v21, s17, v21, -1
	s_delay_alu instid0(VALU_DEP_1)
	v_cndmask_b32_e64 v25, 0, 1, s17
	v_not_b32_e32 v107, v22
	v_cmp_gt_i32_e64 s17, 0, v22
	v_not_b32_e32 v22, v23
	v_lshlrev_b32_e32 v27, 26, v20
	v_cmp_ne_u32_e32 vcc_lo, 0, v25
	v_ashrrev_i32_e32 v107, 31, v107
	v_lshlrev_b32_e32 v106, 25, v20
	v_ashrrev_i32_e32 v22, 31, v22
	v_lshlrev_b32_e32 v25, 24, v20
	v_xor_b32_e32 v21, vcc_lo, v21
	v_cmp_gt_i32_e32 vcc_lo, 0, v23
	v_not_b32_e32 v23, v24
	v_xor_b32_e32 v107, s17, v107
	v_cmp_gt_i32_e64 s17, 0, v24
	v_and_b32_e32 v21, exec_lo, v21
	v_not_b32_e32 v24, v26
	v_ashrrev_i32_e32 v23, 31, v23
	v_xor_b32_e32 v22, vcc_lo, v22
	v_cmp_gt_i32_e32 vcc_lo, 0, v26
	v_and_b32_e32 v21, v21, v107
	v_not_b32_e32 v26, v27
	v_ashrrev_i32_e32 v24, 31, v24
	v_xor_b32_e32 v23, s17, v23
	v_cmp_gt_i32_e64 s17, 0, v27
	v_and_b32_e32 v21, v21, v22
	v_not_b32_e32 v22, v106
	v_ashrrev_i32_e32 v26, 31, v26
	v_xor_b32_e32 v24, vcc_lo, v24
	v_cmp_gt_i32_e32 vcc_lo, 0, v106
	v_and_b32_e32 v21, v21, v23
	v_not_b32_e32 v23, v25
	v_ashrrev_i32_e32 v22, 31, v22
	v_xor_b32_e32 v26, s17, v26
	v_mul_u32_u24_e32 v20, 9, v20
	v_and_b32_e32 v21, v21, v24
	v_cmp_gt_i32_e64 s17, 0, v25
	v_ashrrev_i32_e32 v23, 31, v23
	v_xor_b32_e32 v22, vcc_lo, v22
	v_add_lshl_u32 v24, v20, v82, 2
	v_and_b32_e32 v21, v21, v26
	s_delay_alu instid0(VALU_DEP_4) | instskip(SKIP_3) | instid1(VALU_DEP_2)
	v_xor_b32_e32 v20, s17, v23
	ds_load_b32 v106, v24 offset:1056
	v_and_b32_e32 v21, v21, v22
	v_add_nc_u32_e32 v108, 0x420, v24
	; wave barrier
	v_and_b32_e32 v20, v21, v20
	s_delay_alu instid0(VALU_DEP_1) | instskip(SKIP_1) | instid1(VALU_DEP_2)
	v_mbcnt_lo_u32_b32 v107, v20, 0
	v_cmp_ne_u32_e64 s17, 0, v20
	v_cmp_eq_u32_e32 vcc_lo, 0, v107
	s_delay_alu instid0(VALU_DEP_2) | instskip(NEXT) | instid1(SALU_CYCLE_1)
	s_and_b32 s18, s17, vcc_lo
	s_and_saveexec_b32 s17, s18
	s_cbranch_execz .LBB223_266
; %bb.265:                              ;   in Loop: Header=BB223_240 Depth=2
	s_waitcnt lgkmcnt(0)
	v_bcnt_u32_b32 v20, v20, v106
	ds_store_b32 v108, v20
.LBB223_266:                            ;   in Loop: Header=BB223_240 Depth=2
	s_or_b32 exec_lo, exec_lo, s17
	v_and_b32_e32 v20, 0xff, v96
	; wave barrier
	s_delay_alu instid0(VALU_DEP_1) | instskip(NEXT) | instid1(VALU_DEP_1)
	v_lshrrev_b32_e32 v20, s30, v20
	v_and_b32_e32 v20, s31, v20
	s_delay_alu instid0(VALU_DEP_1)
	v_and_b32_e32 v21, 1, v20
	v_lshlrev_b32_e32 v22, 30, v20
	v_lshlrev_b32_e32 v23, 29, v20
	;; [unrolled: 1-line block ×4, first 2 shown]
	v_add_co_u32 v21, s17, v21, -1
	s_delay_alu instid0(VALU_DEP_1)
	v_cndmask_b32_e64 v25, 0, 1, s17
	v_not_b32_e32 v110, v22
	v_cmp_gt_i32_e64 s17, 0, v22
	v_not_b32_e32 v22, v23
	v_lshlrev_b32_e32 v27, 26, v20
	v_cmp_ne_u32_e32 vcc_lo, 0, v25
	v_ashrrev_i32_e32 v110, 31, v110
	v_lshlrev_b32_e32 v109, 25, v20
	v_ashrrev_i32_e32 v22, 31, v22
	v_lshlrev_b32_e32 v25, 24, v20
	v_xor_b32_e32 v21, vcc_lo, v21
	v_cmp_gt_i32_e32 vcc_lo, 0, v23
	v_not_b32_e32 v23, v24
	v_xor_b32_e32 v110, s17, v110
	v_cmp_gt_i32_e64 s17, 0, v24
	v_and_b32_e32 v21, exec_lo, v21
	v_not_b32_e32 v24, v26
	v_ashrrev_i32_e32 v23, 31, v23
	v_xor_b32_e32 v22, vcc_lo, v22
	v_cmp_gt_i32_e32 vcc_lo, 0, v26
	v_and_b32_e32 v21, v21, v110
	v_not_b32_e32 v26, v27
	v_ashrrev_i32_e32 v24, 31, v24
	v_xor_b32_e32 v23, s17, v23
	v_cmp_gt_i32_e64 s17, 0, v27
	v_and_b32_e32 v21, v21, v22
	v_not_b32_e32 v22, v109
	v_ashrrev_i32_e32 v26, 31, v26
	v_xor_b32_e32 v24, vcc_lo, v24
	v_cmp_gt_i32_e32 vcc_lo, 0, v109
	v_and_b32_e32 v21, v21, v23
	v_not_b32_e32 v23, v25
	v_ashrrev_i32_e32 v22, 31, v22
	v_xor_b32_e32 v26, s17, v26
	v_mul_u32_u24_e32 v20, 9, v20
	v_and_b32_e32 v21, v21, v24
	v_cmp_gt_i32_e64 s17, 0, v25
	v_ashrrev_i32_e32 v23, 31, v23
	v_xor_b32_e32 v22, vcc_lo, v22
	v_add_lshl_u32 v24, v20, v82, 2
	v_and_b32_e32 v21, v21, v26
	s_delay_alu instid0(VALU_DEP_4) | instskip(SKIP_3) | instid1(VALU_DEP_2)
	v_xor_b32_e32 v20, s17, v23
	ds_load_b32 v109, v24 offset:1056
	v_and_b32_e32 v21, v21, v22
	v_add_nc_u32_e32 v111, 0x420, v24
	; wave barrier
	v_and_b32_e32 v20, v21, v20
	s_delay_alu instid0(VALU_DEP_1) | instskip(SKIP_1) | instid1(VALU_DEP_2)
	v_mbcnt_lo_u32_b32 v110, v20, 0
	v_cmp_ne_u32_e64 s17, 0, v20
	v_cmp_eq_u32_e32 vcc_lo, 0, v110
	s_delay_alu instid0(VALU_DEP_2) | instskip(NEXT) | instid1(SALU_CYCLE_1)
	s_and_b32 s18, s17, vcc_lo
	s_and_saveexec_b32 s17, s18
	s_cbranch_execz .LBB223_268
; %bb.267:                              ;   in Loop: Header=BB223_240 Depth=2
	s_waitcnt lgkmcnt(0)
	v_bcnt_u32_b32 v20, v20, v109
	ds_store_b32 v111, v20
.LBB223_268:                            ;   in Loop: Header=BB223_240 Depth=2
	s_or_b32 exec_lo, exec_lo, s17
	v_and_b32_e32 v20, 0xff, v97
	; wave barrier
	s_delay_alu instid0(VALU_DEP_1) | instskip(NEXT) | instid1(VALU_DEP_1)
	v_lshrrev_b32_e32 v20, s30, v20
	v_and_b32_e32 v20, s31, v20
	s_delay_alu instid0(VALU_DEP_1)
	v_and_b32_e32 v21, 1, v20
	v_lshlrev_b32_e32 v22, 30, v20
	v_lshlrev_b32_e32 v23, 29, v20
	;; [unrolled: 1-line block ×4, first 2 shown]
	v_add_co_u32 v21, s17, v21, -1
	s_delay_alu instid0(VALU_DEP_1)
	v_cndmask_b32_e64 v25, 0, 1, s17
	v_not_b32_e32 v113, v22
	v_cmp_gt_i32_e64 s17, 0, v22
	v_not_b32_e32 v22, v23
	v_lshlrev_b32_e32 v27, 26, v20
	v_cmp_ne_u32_e32 vcc_lo, 0, v25
	v_ashrrev_i32_e32 v113, 31, v113
	v_lshlrev_b32_e32 v112, 25, v20
	v_ashrrev_i32_e32 v22, 31, v22
	v_lshlrev_b32_e32 v25, 24, v20
	v_xor_b32_e32 v21, vcc_lo, v21
	v_cmp_gt_i32_e32 vcc_lo, 0, v23
	v_not_b32_e32 v23, v24
	v_xor_b32_e32 v113, s17, v113
	v_cmp_gt_i32_e64 s17, 0, v24
	v_and_b32_e32 v21, exec_lo, v21
	v_not_b32_e32 v24, v26
	v_ashrrev_i32_e32 v23, 31, v23
	v_xor_b32_e32 v22, vcc_lo, v22
	v_cmp_gt_i32_e32 vcc_lo, 0, v26
	v_and_b32_e32 v21, v21, v113
	v_not_b32_e32 v26, v27
	v_ashrrev_i32_e32 v24, 31, v24
	v_xor_b32_e32 v23, s17, v23
	v_cmp_gt_i32_e64 s17, 0, v27
	v_and_b32_e32 v21, v21, v22
	v_not_b32_e32 v22, v112
	v_ashrrev_i32_e32 v26, 31, v26
	v_xor_b32_e32 v24, vcc_lo, v24
	v_cmp_gt_i32_e32 vcc_lo, 0, v112
	v_and_b32_e32 v21, v21, v23
	v_not_b32_e32 v23, v25
	v_ashrrev_i32_e32 v22, 31, v22
	v_xor_b32_e32 v26, s17, v26
	v_mul_u32_u24_e32 v20, 9, v20
	v_and_b32_e32 v21, v21, v24
	v_cmp_gt_i32_e64 s17, 0, v25
	v_ashrrev_i32_e32 v23, 31, v23
	v_xor_b32_e32 v22, vcc_lo, v22
	v_add_lshl_u32 v24, v20, v82, 2
	v_and_b32_e32 v21, v21, v26
	s_delay_alu instid0(VALU_DEP_4) | instskip(SKIP_3) | instid1(VALU_DEP_2)
	v_xor_b32_e32 v20, s17, v23
	ds_load_b32 v112, v24 offset:1056
	v_and_b32_e32 v21, v21, v22
	v_add_nc_u32_e32 v114, 0x420, v24
	; wave barrier
	v_and_b32_e32 v20, v21, v20
	s_delay_alu instid0(VALU_DEP_1) | instskip(SKIP_1) | instid1(VALU_DEP_2)
	v_mbcnt_lo_u32_b32 v113, v20, 0
	v_cmp_ne_u32_e64 s17, 0, v20
	v_cmp_eq_u32_e32 vcc_lo, 0, v113
	s_delay_alu instid0(VALU_DEP_2) | instskip(NEXT) | instid1(SALU_CYCLE_1)
	s_and_b32 s18, s17, vcc_lo
	s_and_saveexec_b32 s17, s18
	s_cbranch_execz .LBB223_270
; %bb.269:                              ;   in Loop: Header=BB223_240 Depth=2
	s_waitcnt lgkmcnt(0)
	v_bcnt_u32_b32 v20, v20, v112
	ds_store_b32 v114, v20
.LBB223_270:                            ;   in Loop: Header=BB223_240 Depth=2
	s_or_b32 exec_lo, exec_lo, s17
	v_and_b32_e32 v20, 0xff, v98
	; wave barrier
	s_delay_alu instid0(VALU_DEP_1) | instskip(NEXT) | instid1(VALU_DEP_1)
	v_lshrrev_b32_e32 v20, s30, v20
	v_and_b32_e32 v20, s31, v20
	s_delay_alu instid0(VALU_DEP_1)
	v_and_b32_e32 v21, 1, v20
	v_lshlrev_b32_e32 v22, 30, v20
	v_lshlrev_b32_e32 v23, 29, v20
	;; [unrolled: 1-line block ×4, first 2 shown]
	v_add_co_u32 v21, s17, v21, -1
	s_delay_alu instid0(VALU_DEP_1)
	v_cndmask_b32_e64 v25, 0, 1, s17
	v_not_b32_e32 v116, v22
	v_cmp_gt_i32_e64 s17, 0, v22
	v_not_b32_e32 v22, v23
	v_lshlrev_b32_e32 v27, 26, v20
	v_cmp_ne_u32_e32 vcc_lo, 0, v25
	v_ashrrev_i32_e32 v116, 31, v116
	v_lshlrev_b32_e32 v115, 25, v20
	v_ashrrev_i32_e32 v22, 31, v22
	v_lshlrev_b32_e32 v25, 24, v20
	v_xor_b32_e32 v21, vcc_lo, v21
	v_cmp_gt_i32_e32 vcc_lo, 0, v23
	v_not_b32_e32 v23, v24
	v_xor_b32_e32 v116, s17, v116
	v_cmp_gt_i32_e64 s17, 0, v24
	v_and_b32_e32 v21, exec_lo, v21
	v_not_b32_e32 v24, v26
	v_ashrrev_i32_e32 v23, 31, v23
	v_xor_b32_e32 v22, vcc_lo, v22
	v_cmp_gt_i32_e32 vcc_lo, 0, v26
	v_and_b32_e32 v21, v21, v116
	v_not_b32_e32 v26, v27
	v_ashrrev_i32_e32 v24, 31, v24
	v_xor_b32_e32 v23, s17, v23
	v_cmp_gt_i32_e64 s17, 0, v27
	v_and_b32_e32 v21, v21, v22
	v_not_b32_e32 v22, v115
	v_ashrrev_i32_e32 v26, 31, v26
	v_xor_b32_e32 v24, vcc_lo, v24
	v_cmp_gt_i32_e32 vcc_lo, 0, v115
	v_and_b32_e32 v21, v21, v23
	v_not_b32_e32 v23, v25
	v_ashrrev_i32_e32 v22, 31, v22
	v_xor_b32_e32 v26, s17, v26
	v_mul_u32_u24_e32 v20, 9, v20
	v_and_b32_e32 v21, v21, v24
	v_cmp_gt_i32_e64 s17, 0, v25
	v_ashrrev_i32_e32 v23, 31, v23
	v_xor_b32_e32 v22, vcc_lo, v22
	v_add_lshl_u32 v24, v20, v82, 2
	v_and_b32_e32 v21, v21, v26
	s_delay_alu instid0(VALU_DEP_4) | instskip(SKIP_3) | instid1(VALU_DEP_2)
	v_xor_b32_e32 v20, s17, v23
	ds_load_b32 v115, v24 offset:1056
	v_and_b32_e32 v21, v21, v22
	v_add_nc_u32_e32 v117, 0x420, v24
	; wave barrier
	v_and_b32_e32 v20, v21, v20
	s_delay_alu instid0(VALU_DEP_1) | instskip(SKIP_1) | instid1(VALU_DEP_2)
	v_mbcnt_lo_u32_b32 v116, v20, 0
	v_cmp_ne_u32_e64 s17, 0, v20
	v_cmp_eq_u32_e32 vcc_lo, 0, v116
	s_delay_alu instid0(VALU_DEP_2) | instskip(NEXT) | instid1(SALU_CYCLE_1)
	s_and_b32 s18, s17, vcc_lo
	s_and_saveexec_b32 s17, s18
	s_cbranch_execz .LBB223_272
; %bb.271:                              ;   in Loop: Header=BB223_240 Depth=2
	s_waitcnt lgkmcnt(0)
	v_bcnt_u32_b32 v20, v20, v115
	ds_store_b32 v117, v20
.LBB223_272:                            ;   in Loop: Header=BB223_240 Depth=2
	s_or_b32 exec_lo, exec_lo, s17
	v_and_b32_e32 v20, 0xff, v99
	; wave barrier
	s_delay_alu instid0(VALU_DEP_1) | instskip(NEXT) | instid1(VALU_DEP_1)
	v_lshrrev_b32_e32 v20, s30, v20
	v_and_b32_e32 v20, s31, v20
	s_delay_alu instid0(VALU_DEP_1)
	v_and_b32_e32 v21, 1, v20
	v_lshlrev_b32_e32 v22, 30, v20
	v_lshlrev_b32_e32 v23, 29, v20
	;; [unrolled: 1-line block ×4, first 2 shown]
	v_add_co_u32 v21, s17, v21, -1
	s_delay_alu instid0(VALU_DEP_1)
	v_cndmask_b32_e64 v25, 0, 1, s17
	v_not_b32_e32 v119, v22
	v_cmp_gt_i32_e64 s17, 0, v22
	v_not_b32_e32 v22, v23
	v_lshlrev_b32_e32 v27, 26, v20
	v_cmp_ne_u32_e32 vcc_lo, 0, v25
	v_ashrrev_i32_e32 v119, 31, v119
	v_lshlrev_b32_e32 v118, 25, v20
	v_ashrrev_i32_e32 v22, 31, v22
	v_lshlrev_b32_e32 v25, 24, v20
	v_xor_b32_e32 v21, vcc_lo, v21
	v_cmp_gt_i32_e32 vcc_lo, 0, v23
	v_not_b32_e32 v23, v24
	v_xor_b32_e32 v119, s17, v119
	v_cmp_gt_i32_e64 s17, 0, v24
	v_and_b32_e32 v21, exec_lo, v21
	v_not_b32_e32 v24, v26
	v_ashrrev_i32_e32 v23, 31, v23
	v_xor_b32_e32 v22, vcc_lo, v22
	v_cmp_gt_i32_e32 vcc_lo, 0, v26
	v_and_b32_e32 v21, v21, v119
	v_not_b32_e32 v26, v27
	v_ashrrev_i32_e32 v24, 31, v24
	v_xor_b32_e32 v23, s17, v23
	v_cmp_gt_i32_e64 s17, 0, v27
	v_and_b32_e32 v21, v21, v22
	v_not_b32_e32 v22, v118
	v_ashrrev_i32_e32 v26, 31, v26
	v_xor_b32_e32 v24, vcc_lo, v24
	v_cmp_gt_i32_e32 vcc_lo, 0, v118
	v_and_b32_e32 v21, v21, v23
	v_not_b32_e32 v23, v25
	v_ashrrev_i32_e32 v22, 31, v22
	v_xor_b32_e32 v26, s17, v26
	v_mul_u32_u24_e32 v20, 9, v20
	v_and_b32_e32 v21, v21, v24
	v_cmp_gt_i32_e64 s17, 0, v25
	v_ashrrev_i32_e32 v23, 31, v23
	v_xor_b32_e32 v22, vcc_lo, v22
	v_add_lshl_u32 v24, v20, v82, 2
	v_and_b32_e32 v21, v21, v26
	s_delay_alu instid0(VALU_DEP_4) | instskip(SKIP_3) | instid1(VALU_DEP_2)
	v_xor_b32_e32 v20, s17, v23
	ds_load_b32 v118, v24 offset:1056
	v_and_b32_e32 v21, v21, v22
	v_add_nc_u32_e32 v120, 0x420, v24
	; wave barrier
	v_and_b32_e32 v20, v21, v20
	s_delay_alu instid0(VALU_DEP_1) | instskip(SKIP_1) | instid1(VALU_DEP_2)
	v_mbcnt_lo_u32_b32 v119, v20, 0
	v_cmp_ne_u32_e64 s17, 0, v20
	v_cmp_eq_u32_e32 vcc_lo, 0, v119
	s_delay_alu instid0(VALU_DEP_2) | instskip(NEXT) | instid1(SALU_CYCLE_1)
	s_and_b32 s18, s17, vcc_lo
	s_and_saveexec_b32 s17, s18
	s_cbranch_execz .LBB223_274
; %bb.273:                              ;   in Loop: Header=BB223_240 Depth=2
	s_waitcnt lgkmcnt(0)
	v_bcnt_u32_b32 v20, v20, v118
	ds_store_b32 v120, v20
.LBB223_274:                            ;   in Loop: Header=BB223_240 Depth=2
	s_or_b32 exec_lo, exec_lo, s17
	v_and_b32_e32 v20, 0xff, v100
	; wave barrier
	s_delay_alu instid0(VALU_DEP_1) | instskip(NEXT) | instid1(VALU_DEP_1)
	v_lshrrev_b32_e32 v20, s30, v20
	v_and_b32_e32 v20, s31, v20
	s_delay_alu instid0(VALU_DEP_1)
	v_and_b32_e32 v21, 1, v20
	v_lshlrev_b32_e32 v22, 30, v20
	v_lshlrev_b32_e32 v23, 29, v20
	;; [unrolled: 1-line block ×4, first 2 shown]
	v_add_co_u32 v21, s17, v21, -1
	s_delay_alu instid0(VALU_DEP_1)
	v_cndmask_b32_e64 v25, 0, 1, s17
	v_not_b32_e32 v122, v22
	v_cmp_gt_i32_e64 s17, 0, v22
	v_not_b32_e32 v22, v23
	v_lshlrev_b32_e32 v27, 26, v20
	v_cmp_ne_u32_e32 vcc_lo, 0, v25
	v_ashrrev_i32_e32 v122, 31, v122
	v_lshlrev_b32_e32 v121, 25, v20
	v_ashrrev_i32_e32 v22, 31, v22
	v_lshlrev_b32_e32 v25, 24, v20
	v_xor_b32_e32 v21, vcc_lo, v21
	v_cmp_gt_i32_e32 vcc_lo, 0, v23
	v_not_b32_e32 v23, v24
	v_xor_b32_e32 v122, s17, v122
	v_cmp_gt_i32_e64 s17, 0, v24
	v_and_b32_e32 v21, exec_lo, v21
	v_not_b32_e32 v24, v26
	v_ashrrev_i32_e32 v23, 31, v23
	v_xor_b32_e32 v22, vcc_lo, v22
	v_cmp_gt_i32_e32 vcc_lo, 0, v26
	v_and_b32_e32 v21, v21, v122
	v_not_b32_e32 v26, v27
	v_ashrrev_i32_e32 v24, 31, v24
	v_xor_b32_e32 v23, s17, v23
	v_cmp_gt_i32_e64 s17, 0, v27
	v_and_b32_e32 v21, v21, v22
	v_not_b32_e32 v22, v121
	v_ashrrev_i32_e32 v26, 31, v26
	v_xor_b32_e32 v24, vcc_lo, v24
	v_cmp_gt_i32_e32 vcc_lo, 0, v121
	v_and_b32_e32 v21, v21, v23
	v_not_b32_e32 v23, v25
	v_ashrrev_i32_e32 v22, 31, v22
	v_xor_b32_e32 v26, s17, v26
	v_mul_u32_u24_e32 v20, 9, v20
	v_and_b32_e32 v21, v21, v24
	v_cmp_gt_i32_e64 s17, 0, v25
	v_ashrrev_i32_e32 v23, 31, v23
	v_xor_b32_e32 v22, vcc_lo, v22
	v_add_lshl_u32 v24, v20, v82, 2
	v_and_b32_e32 v21, v21, v26
	s_delay_alu instid0(VALU_DEP_4) | instskip(SKIP_3) | instid1(VALU_DEP_2)
	v_xor_b32_e32 v20, s17, v23
	ds_load_b32 v121, v24 offset:1056
	v_and_b32_e32 v21, v21, v22
	v_add_nc_u32_e32 v123, 0x420, v24
	; wave barrier
	v_and_b32_e32 v20, v21, v20
	s_delay_alu instid0(VALU_DEP_1) | instskip(SKIP_1) | instid1(VALU_DEP_2)
	v_mbcnt_lo_u32_b32 v122, v20, 0
	v_cmp_ne_u32_e64 s17, 0, v20
	v_cmp_eq_u32_e32 vcc_lo, 0, v122
	s_delay_alu instid0(VALU_DEP_2) | instskip(NEXT) | instid1(SALU_CYCLE_1)
	s_and_b32 s18, s17, vcc_lo
	s_and_saveexec_b32 s17, s18
	s_cbranch_execz .LBB223_276
; %bb.275:                              ;   in Loop: Header=BB223_240 Depth=2
	s_waitcnt lgkmcnt(0)
	v_bcnt_u32_b32 v20, v20, v121
	ds_store_b32 v123, v20
.LBB223_276:                            ;   in Loop: Header=BB223_240 Depth=2
	s_or_b32 exec_lo, exec_lo, s17
	; wave barrier
	s_waitcnt lgkmcnt(0)
	s_barrier
	buffer_gl0_inv
	ds_load_b32 v124, v46 offset:1056
	ds_load_2addr_b32 v[26:27], v47 offset0:1 offset1:2
	ds_load_2addr_b32 v[24:25], v47 offset0:3 offset1:4
	;; [unrolled: 1-line block ×4, first 2 shown]
	s_waitcnt lgkmcnt(3)
	v_add3_u32 v125, v26, v124, v27
	s_waitcnt lgkmcnt(2)
	s_delay_alu instid0(VALU_DEP_1) | instskip(SKIP_1) | instid1(VALU_DEP_1)
	v_add3_u32 v125, v125, v24, v25
	s_waitcnt lgkmcnt(1)
	v_add3_u32 v125, v125, v20, v21
	s_waitcnt lgkmcnt(0)
	s_delay_alu instid0(VALU_DEP_1) | instskip(NEXT) | instid1(VALU_DEP_1)
	v_add3_u32 v23, v125, v22, v23
	v_mov_b32_dpp v125, v23 row_shr:1 row_mask:0xf bank_mask:0xf
	s_delay_alu instid0(VALU_DEP_1) | instskip(NEXT) | instid1(VALU_DEP_1)
	v_cndmask_b32_e64 v125, v125, 0, s0
	v_add_nc_u32_e32 v23, v125, v23
	s_delay_alu instid0(VALU_DEP_1) | instskip(NEXT) | instid1(VALU_DEP_1)
	v_mov_b32_dpp v125, v23 row_shr:2 row_mask:0xf bank_mask:0xf
	v_cndmask_b32_e64 v125, 0, v125, s1
	s_delay_alu instid0(VALU_DEP_1) | instskip(NEXT) | instid1(VALU_DEP_1)
	v_add_nc_u32_e32 v23, v23, v125
	v_mov_b32_dpp v125, v23 row_shr:4 row_mask:0xf bank_mask:0xf
	s_delay_alu instid0(VALU_DEP_1) | instskip(NEXT) | instid1(VALU_DEP_1)
	v_cndmask_b32_e64 v125, 0, v125, s8
	v_add_nc_u32_e32 v23, v23, v125
	s_delay_alu instid0(VALU_DEP_1) | instskip(NEXT) | instid1(VALU_DEP_1)
	v_mov_b32_dpp v125, v23 row_shr:8 row_mask:0xf bank_mask:0xf
	v_cndmask_b32_e64 v125, 0, v125, s9
	s_delay_alu instid0(VALU_DEP_1) | instskip(SKIP_3) | instid1(VALU_DEP_1)
	v_add_nc_u32_e32 v23, v23, v125
	ds_swizzle_b32 v125, v23 offset:swizzle(BROADCAST,32,15)
	s_waitcnt lgkmcnt(0)
	v_cndmask_b32_e64 v125, v125, 0, s10
	v_add_nc_u32_e32 v23, v23, v125
	s_and_saveexec_b32 s17, s3
	s_cbranch_execz .LBB223_278
; %bb.277:                              ;   in Loop: Header=BB223_240 Depth=2
	ds_store_b32 v38, v23 offset:1024
.LBB223_278:                            ;   in Loop: Header=BB223_240 Depth=2
	s_or_b32 exec_lo, exec_lo, s17
	s_waitcnt lgkmcnt(0)
	s_barrier
	buffer_gl0_inv
	s_and_saveexec_b32 s17, s4
	s_cbranch_execz .LBB223_280
; %bb.279:                              ;   in Loop: Header=BB223_240 Depth=2
	v_add_nc_u32_e32 v125, v46, v48
	ds_load_b32 v126, v125 offset:1024
	s_waitcnt lgkmcnt(0)
	v_mov_b32_dpp v127, v126 row_shr:1 row_mask:0xf bank_mask:0xf
	s_delay_alu instid0(VALU_DEP_1) | instskip(NEXT) | instid1(VALU_DEP_1)
	v_cndmask_b32_e64 v127, v127, 0, s12
	v_add_nc_u32_e32 v126, v127, v126
	s_delay_alu instid0(VALU_DEP_1) | instskip(NEXT) | instid1(VALU_DEP_1)
	v_mov_b32_dpp v127, v126 row_shr:2 row_mask:0xf bank_mask:0xf
	v_cndmask_b32_e64 v127, 0, v127, s13
	s_delay_alu instid0(VALU_DEP_1) | instskip(NEXT) | instid1(VALU_DEP_1)
	v_add_nc_u32_e32 v126, v126, v127
	v_mov_b32_dpp v127, v126 row_shr:4 row_mask:0xf bank_mask:0xf
	s_delay_alu instid0(VALU_DEP_1) | instskip(NEXT) | instid1(VALU_DEP_1)
	v_cndmask_b32_e64 v127, 0, v127, s16
	v_add_nc_u32_e32 v126, v126, v127
	ds_store_b32 v125, v126 offset:1024
.LBB223_280:                            ;   in Loop: Header=BB223_240 Depth=2
	s_or_b32 exec_lo, exec_lo, s17
	v_mov_b32_e32 v125, 0
	s_waitcnt lgkmcnt(0)
	s_barrier
	buffer_gl0_inv
	s_and_saveexec_b32 s17, s5
	s_cbranch_execz .LBB223_282
; %bb.281:                              ;   in Loop: Header=BB223_240 Depth=2
	ds_load_b32 v125, v38 offset:1020
.LBB223_282:                            ;   in Loop: Header=BB223_240 Depth=2
	s_or_b32 exec_lo, exec_lo, s17
	s_waitcnt lgkmcnt(0)
	v_add_nc_u32_e32 v23, v125, v23
	ds_bpermute_b32 v23, v69, v23
	s_waitcnt lgkmcnt(0)
	v_cndmask_b32_e64 v23, v23, v125, s11
	s_delay_alu instid0(VALU_DEP_1) | instskip(NEXT) | instid1(VALU_DEP_1)
	v_cndmask_b32_e64 v23, v23, 0, s6
	v_add_nc_u32_e32 v124, v23, v124
	s_delay_alu instid0(VALU_DEP_1) | instskip(NEXT) | instid1(VALU_DEP_1)
	v_add_nc_u32_e32 v26, v124, v26
	v_add_nc_u32_e32 v27, v26, v27
	s_delay_alu instid0(VALU_DEP_1) | instskip(NEXT) | instid1(VALU_DEP_1)
	v_add_nc_u32_e32 v24, v27, v24
	;; [unrolled: 3-line block ×3, first 2 shown]
	v_add_nc_u32_e32 v21, v20, v21
	s_delay_alu instid0(VALU_DEP_1)
	v_add_nc_u32_e32 v22, v21, v22
	ds_store_b32 v46, v23 offset:1056
	ds_store_2addr_b32 v47, v124, v26 offset0:1 offset1:2
	ds_store_2addr_b32 v47, v27, v24 offset0:3 offset1:4
	;; [unrolled: 1-line block ×4, first 2 shown]
	v_mov_b32_e32 v22, 0x800
	s_waitcnt lgkmcnt(0)
	s_barrier
	buffer_gl0_inv
	ds_load_b32 v20, v105
	ds_load_b32 v21, v108
	;; [unrolled: 1-line block ×8, first 2 shown]
	ds_load_b32 v27, v46 offset:1056
	s_and_saveexec_b32 s17, s7
	s_cbranch_execz .LBB223_284
; %bb.283:                              ;   in Loop: Header=BB223_240 Depth=2
	ds_load_b32 v22, v49 offset:1056
.LBB223_284:                            ;   in Loop: Header=BB223_240 Depth=2
	s_or_b32 exec_lo, exec_lo, s17
	s_waitcnt lgkmcnt(0)
	s_barrier
	buffer_gl0_inv
	s_and_saveexec_b32 s17, s2
	s_cbranch_execz .LBB223_286
; %bb.285:                              ;   in Loop: Header=BB223_240 Depth=2
	ds_load_b32 v102, v28
	s_waitcnt lgkmcnt(0)
	v_sub_nc_u32_e32 v27, v102, v27
	ds_store_b32 v28, v27
.LBB223_286:                            ;   in Loop: Header=BB223_240 Depth=2
	s_or_b32 exec_lo, exec_lo, s17
	v_add_nc_u32_e32 v105, v26, v101
	v_add3_u32 v102, v104, v103, v20
	v_add3_u32 v101, v107, v106, v21
	;; [unrolled: 1-line block ×7, first 2 shown]
	v_cmp_lt_u32_e64 s23, v1, v2
	ds_store_b8 v105, v93 offset:1024
	ds_store_b8 v102, v94 offset:1024
	;; [unrolled: 1-line block ×8, first 2 shown]
	s_waitcnt lgkmcnt(0)
	s_barrier
	buffer_gl0_inv
	s_and_saveexec_b32 s17, s23
	s_cbranch_execz .LBB223_294
; %bb.287:                              ;   in Loop: Header=BB223_240 Depth=2
	ds_load_u8 v20, v1 offset:1024
	s_waitcnt lgkmcnt(0)
	v_and_b32_e32 v21, 0xff, v20
	s_delay_alu instid0(VALU_DEP_1) | instskip(NEXT) | instid1(VALU_DEP_1)
	v_lshrrev_b32_e32 v21, s30, v21
	v_and_b32_e32 v21, s31, v21
	s_delay_alu instid0(VALU_DEP_1)
	v_lshlrev_b32_e32 v21, 2, v21
	ds_load_b32 v21, v21
	s_waitcnt lgkmcnt(0)
	v_add_nc_u32_e32 v21, v21, v1
	global_store_b8 v21, v20, s[40:41]
	s_or_b32 exec_lo, exec_lo, s17
	v_cmp_lt_u32_e64 s22, v29, v2
	s_delay_alu instid0(VALU_DEP_1)
	s_and_saveexec_b32 s17, s22
	s_cbranch_execnz .LBB223_295
.LBB223_288:                            ;   in Loop: Header=BB223_240 Depth=2
	s_or_b32 exec_lo, exec_lo, s17
	v_cmp_lt_u32_e64 s21, v30, v2
	s_delay_alu instid0(VALU_DEP_1)
	s_and_saveexec_b32 s17, s21
	s_cbranch_execz .LBB223_296
.LBB223_289:                            ;   in Loop: Header=BB223_240 Depth=2
	ds_load_u8 v20, v35 offset:512
	s_waitcnt lgkmcnt(0)
	v_and_b32_e32 v21, 0xff, v20
	s_delay_alu instid0(VALU_DEP_1) | instskip(NEXT) | instid1(VALU_DEP_1)
	v_lshrrev_b32_e32 v21, s30, v21
	v_and_b32_e32 v21, s31, v21
	s_delay_alu instid0(VALU_DEP_1)
	v_lshlrev_b32_e32 v21, 2, v21
	ds_load_b32 v21, v21
	s_waitcnt lgkmcnt(0)
	v_add_nc_u32_e32 v21, v21, v30
	global_store_b8 v21, v20, s[40:41]
	s_or_b32 exec_lo, exec_lo, s17
	v_cmp_lt_u32_e64 s20, v31, v2
	s_delay_alu instid0(VALU_DEP_1)
	s_and_saveexec_b32 s17, s20
	s_cbranch_execnz .LBB223_297
.LBB223_290:                            ;   in Loop: Header=BB223_240 Depth=2
	s_or_b32 exec_lo, exec_lo, s17
	v_cmp_lt_u32_e64 s19, v35, v2
	s_delay_alu instid0(VALU_DEP_1)
	s_and_saveexec_b32 s17, s19
	s_cbranch_execz .LBB223_298
.LBB223_291:                            ;   in Loop: Header=BB223_240 Depth=2
	ds_load_u8 v20, v35 offset:1024
	s_waitcnt lgkmcnt(0)
	v_and_b32_e32 v21, 0xff, v20
	s_delay_alu instid0(VALU_DEP_1) | instskip(NEXT) | instid1(VALU_DEP_1)
	v_lshrrev_b32_e32 v21, s30, v21
	v_and_b32_e32 v21, s31, v21
	s_delay_alu instid0(VALU_DEP_1)
	v_lshlrev_b32_e32 v21, 2, v21
	ds_load_b32 v21, v21
	s_waitcnt lgkmcnt(0)
	v_add_nc_u32_e32 v21, v21, v35
	global_store_b8 v21, v20, s[40:41]
	s_or_b32 exec_lo, exec_lo, s17
	v_cmp_lt_u32_e64 s18, v36, v2
	s_delay_alu instid0(VALU_DEP_1)
	s_and_saveexec_b32 s17, s18
	s_cbranch_execnz .LBB223_299
.LBB223_292:                            ;   in Loop: Header=BB223_240 Depth=2
	s_or_b32 exec_lo, exec_lo, s17
	v_cmp_lt_u32_e64 s17, v37, v2
	s_delay_alu instid0(VALU_DEP_1)
	s_and_saveexec_b32 s43, s17
	s_cbranch_execz .LBB223_300
.LBB223_293:                            ;   in Loop: Header=BB223_240 Depth=2
	ds_load_u8 v20, v35 offset:1536
	s_waitcnt lgkmcnt(0)
	v_and_b32_e32 v21, 0xff, v20
	s_delay_alu instid0(VALU_DEP_1) | instskip(NEXT) | instid1(VALU_DEP_1)
	v_lshrrev_b32_e32 v21, s30, v21
	v_and_b32_e32 v21, s31, v21
	s_delay_alu instid0(VALU_DEP_1)
	v_lshlrev_b32_e32 v21, 2, v21
	ds_load_b32 v21, v21
	s_waitcnt lgkmcnt(0)
	v_add_nc_u32_e32 v21, v21, v37
	global_store_b8 v21, v20, s[40:41]
	s_or_b32 exec_lo, exec_lo, s43
	v_cmp_lt_u32_e32 vcc_lo, v39, v2
	s_and_saveexec_b32 s43, vcc_lo
	s_cbranch_execnz .LBB223_301
	s_branch .LBB223_302
.LBB223_294:                            ;   in Loop: Header=BB223_240 Depth=2
	s_or_b32 exec_lo, exec_lo, s17
	v_cmp_lt_u32_e64 s22, v29, v2
	s_delay_alu instid0(VALU_DEP_1)
	s_and_saveexec_b32 s17, s22
	s_cbranch_execz .LBB223_288
.LBB223_295:                            ;   in Loop: Header=BB223_240 Depth=2
	ds_load_u8 v20, v35 offset:256
	s_waitcnt lgkmcnt(0)
	v_and_b32_e32 v21, 0xff, v20
	s_delay_alu instid0(VALU_DEP_1) | instskip(NEXT) | instid1(VALU_DEP_1)
	v_lshrrev_b32_e32 v21, s30, v21
	v_and_b32_e32 v21, s31, v21
	s_delay_alu instid0(VALU_DEP_1)
	v_lshlrev_b32_e32 v21, 2, v21
	ds_load_b32 v21, v21
	s_waitcnt lgkmcnt(0)
	v_add_nc_u32_e32 v21, v21, v29
	global_store_b8 v21, v20, s[40:41]
	s_or_b32 exec_lo, exec_lo, s17
	v_cmp_lt_u32_e64 s21, v30, v2
	s_delay_alu instid0(VALU_DEP_1)
	s_and_saveexec_b32 s17, s21
	s_cbranch_execnz .LBB223_289
.LBB223_296:                            ;   in Loop: Header=BB223_240 Depth=2
	s_or_b32 exec_lo, exec_lo, s17
	v_cmp_lt_u32_e64 s20, v31, v2
	s_delay_alu instid0(VALU_DEP_1)
	s_and_saveexec_b32 s17, s20
	s_cbranch_execz .LBB223_290
.LBB223_297:                            ;   in Loop: Header=BB223_240 Depth=2
	ds_load_u8 v20, v35 offset:768
	s_waitcnt lgkmcnt(0)
	v_and_b32_e32 v21, 0xff, v20
	s_delay_alu instid0(VALU_DEP_1) | instskip(NEXT) | instid1(VALU_DEP_1)
	v_lshrrev_b32_e32 v21, s30, v21
	v_and_b32_e32 v21, s31, v21
	s_delay_alu instid0(VALU_DEP_1)
	v_lshlrev_b32_e32 v21, 2, v21
	ds_load_b32 v21, v21
	s_waitcnt lgkmcnt(0)
	v_add_nc_u32_e32 v21, v21, v31
	global_store_b8 v21, v20, s[40:41]
	s_or_b32 exec_lo, exec_lo, s17
	v_cmp_lt_u32_e64 s19, v35, v2
	s_delay_alu instid0(VALU_DEP_1)
	s_and_saveexec_b32 s17, s19
	s_cbranch_execnz .LBB223_291
.LBB223_298:                            ;   in Loop: Header=BB223_240 Depth=2
	s_or_b32 exec_lo, exec_lo, s17
	v_cmp_lt_u32_e64 s18, v36, v2
	s_delay_alu instid0(VALU_DEP_1)
	s_and_saveexec_b32 s17, s18
	s_cbranch_execz .LBB223_292
.LBB223_299:                            ;   in Loop: Header=BB223_240 Depth=2
	ds_load_u8 v20, v35 offset:1280
	s_waitcnt lgkmcnt(0)
	v_and_b32_e32 v21, 0xff, v20
	s_delay_alu instid0(VALU_DEP_1) | instskip(NEXT) | instid1(VALU_DEP_1)
	v_lshrrev_b32_e32 v21, s30, v21
	v_and_b32_e32 v21, s31, v21
	s_delay_alu instid0(VALU_DEP_1)
	v_lshlrev_b32_e32 v21, 2, v21
	ds_load_b32 v21, v21
	s_waitcnt lgkmcnt(0)
	v_add_nc_u32_e32 v21, v21, v36
	global_store_b8 v21, v20, s[40:41]
	s_or_b32 exec_lo, exec_lo, s17
	v_cmp_lt_u32_e64 s17, v37, v2
	s_delay_alu instid0(VALU_DEP_1)
	s_and_saveexec_b32 s43, s17
	s_cbranch_execnz .LBB223_293
.LBB223_300:                            ;   in Loop: Header=BB223_240 Depth=2
	s_or_b32 exec_lo, exec_lo, s43
	v_cmp_lt_u32_e32 vcc_lo, v39, v2
	s_and_saveexec_b32 s43, vcc_lo
	s_cbranch_execz .LBB223_302
.LBB223_301:                            ;   in Loop: Header=BB223_240 Depth=2
	ds_load_u8 v20, v35 offset:1792
	s_waitcnt lgkmcnt(0)
	v_and_b32_e32 v21, 0xff, v20
	s_delay_alu instid0(VALU_DEP_1) | instskip(NEXT) | instid1(VALU_DEP_1)
	v_lshrrev_b32_e32 v21, s30, v21
	v_and_b32_e32 v21, s31, v21
	s_delay_alu instid0(VALU_DEP_1)
	v_lshlrev_b32_e32 v21, 2, v21
	ds_load_b32 v21, v21
	s_waitcnt lgkmcnt(0)
	v_add_nc_u32_e32 v21, v21, v39
	global_store_b8 v21, v20, s[40:41]
.LBB223_302:                            ;   in Loop: Header=BB223_240 Depth=2
	s_or_b32 exec_lo, exec_lo, s43
	s_lshl_b64 s[52:53], s[24:25], 3
	s_delay_alu instid0(SALU_CYCLE_1) | instskip(NEXT) | instid1(VALU_DEP_1)
	v_add_co_u32 v20, s24, v73, s52
	v_add_co_ci_u32_e64 v21, s24, s53, v74, s24
	v_cmp_lt_u32_e64 s24, v70, v2
	s_delay_alu instid0(VALU_DEP_1) | instskip(NEXT) | instid1(SALU_CYCLE_1)
	s_and_saveexec_b32 s43, s24
	s_xor_b32 s24, exec_lo, s43
	s_cbranch_execz .LBB223_318
; %bb.303:                              ;   in Loop: Header=BB223_240 Depth=2
	global_load_b64 v[18:19], v[20:21], off
	s_or_b32 exec_lo, exec_lo, s24
	s_delay_alu instid0(SALU_CYCLE_1)
	s_mov_b32 s43, exec_lo
	v_cmpx_lt_u32_e64 v75, v2
	s_cbranch_execnz .LBB223_319
.LBB223_304:                            ;   in Loop: Header=BB223_240 Depth=2
	s_or_b32 exec_lo, exec_lo, s43
	s_delay_alu instid0(SALU_CYCLE_1)
	s_mov_b32 s43, exec_lo
	v_cmpx_lt_u32_e64 v76, v2
	s_cbranch_execz .LBB223_320
.LBB223_305:                            ;   in Loop: Header=BB223_240 Depth=2
	global_load_b64 v[14:15], v[20:21], off offset:512
	s_or_b32 exec_lo, exec_lo, s43
	s_delay_alu instid0(SALU_CYCLE_1)
	s_mov_b32 s43, exec_lo
	v_cmpx_lt_u32_e64 v77, v2
	s_cbranch_execnz .LBB223_321
.LBB223_306:                            ;   in Loop: Header=BB223_240 Depth=2
	s_or_b32 exec_lo, exec_lo, s43
	s_delay_alu instid0(SALU_CYCLE_1)
	s_mov_b32 s43, exec_lo
	v_cmpx_lt_u32_e64 v78, v2
	s_cbranch_execz .LBB223_322
.LBB223_307:                            ;   in Loop: Header=BB223_240 Depth=2
	global_load_b64 v[10:11], v[20:21], off offset:1024
	s_or_b32 exec_lo, exec_lo, s43
	s_delay_alu instid0(SALU_CYCLE_1)
	s_mov_b32 s43, exec_lo
	v_cmpx_lt_u32_e64 v79, v2
	s_cbranch_execnz .LBB223_323
.LBB223_308:                            ;   in Loop: Header=BB223_240 Depth=2
	s_or_b32 exec_lo, exec_lo, s43
	s_delay_alu instid0(SALU_CYCLE_1)
	s_mov_b32 s43, exec_lo
	v_cmpx_lt_u32_e64 v80, v2
	s_cbranch_execz .LBB223_324
.LBB223_309:                            ;   in Loop: Header=BB223_240 Depth=2
	global_load_b64 v[6:7], v[20:21], off offset:1536
	s_or_b32 exec_lo, exec_lo, s43
	s_delay_alu instid0(SALU_CYCLE_1)
	s_mov_b32 s43, exec_lo
	v_cmpx_lt_u32_e64 v81, v2
	s_cbranch_execnz .LBB223_325
.LBB223_310:                            ;   in Loop: Header=BB223_240 Depth=2
	s_or_b32 exec_lo, exec_lo, s43
	s_and_saveexec_b32 s24, s23
	s_cbranch_execz .LBB223_326
.LBB223_311:                            ;   in Loop: Header=BB223_240 Depth=2
	ds_load_u8 v2, v1 offset:1024
	s_waitcnt lgkmcnt(0)
	v_lshrrev_b32_e32 v2, s30, v2
	s_delay_alu instid0(VALU_DEP_1)
	v_and_b32_e32 v92, s31, v2
	s_or_b32 exec_lo, exec_lo, s24
	s_and_saveexec_b32 s24, s22
	s_cbranch_execnz .LBB223_327
.LBB223_312:                            ;   in Loop: Header=BB223_240 Depth=2
	s_or_b32 exec_lo, exec_lo, s24
	s_and_saveexec_b32 s24, s21
	s_cbranch_execz .LBB223_328
.LBB223_313:                            ;   in Loop: Header=BB223_240 Depth=2
	ds_load_u8 v2, v35 offset:512
	s_waitcnt lgkmcnt(0)
	v_lshrrev_b32_e32 v2, s30, v2
	s_delay_alu instid0(VALU_DEP_1)
	v_and_b32_e32 v90, s31, v2
	s_or_b32 exec_lo, exec_lo, s24
	s_and_saveexec_b32 s24, s20
	s_cbranch_execnz .LBB223_329
.LBB223_314:                            ;   in Loop: Header=BB223_240 Depth=2
	s_or_b32 exec_lo, exec_lo, s24
	s_and_saveexec_b32 s24, s19
	s_cbranch_execz .LBB223_330
.LBB223_315:                            ;   in Loop: Header=BB223_240 Depth=2
	ds_load_u8 v2, v35 offset:1024
	s_waitcnt lgkmcnt(0)
	v_lshrrev_b32_e32 v2, s30, v2
	s_delay_alu instid0(VALU_DEP_1)
	v_and_b32_e32 v88, s31, v2
	s_or_b32 exec_lo, exec_lo, s24
	s_and_saveexec_b32 s24, s18
	s_cbranch_execnz .LBB223_331
.LBB223_316:                            ;   in Loop: Header=BB223_240 Depth=2
	s_or_b32 exec_lo, exec_lo, s24
	s_and_saveexec_b32 s24, s17
	s_cbranch_execz .LBB223_332
.LBB223_317:                            ;   in Loop: Header=BB223_240 Depth=2
	ds_load_u8 v2, v35 offset:1536
	s_waitcnt lgkmcnt(0)
	v_lshrrev_b32_e32 v2, s30, v2
	s_delay_alu instid0(VALU_DEP_1)
	v_and_b32_e32 v86, s31, v2
	s_or_b32 exec_lo, exec_lo, s24
	s_and_saveexec_b32 s24, vcc_lo
	s_cbranch_execnz .LBB223_333
	s_branch .LBB223_334
.LBB223_318:                            ;   in Loop: Header=BB223_240 Depth=2
	s_or_b32 exec_lo, exec_lo, s24
	s_delay_alu instid0(SALU_CYCLE_1)
	s_mov_b32 s43, exec_lo
	v_cmpx_lt_u32_e64 v75, v2
	s_cbranch_execz .LBB223_304
.LBB223_319:                            ;   in Loop: Header=BB223_240 Depth=2
	global_load_b64 v[16:17], v[20:21], off offset:256
	s_or_b32 exec_lo, exec_lo, s43
	s_delay_alu instid0(SALU_CYCLE_1)
	s_mov_b32 s43, exec_lo
	v_cmpx_lt_u32_e64 v76, v2
	s_cbranch_execnz .LBB223_305
.LBB223_320:                            ;   in Loop: Header=BB223_240 Depth=2
	s_or_b32 exec_lo, exec_lo, s43
	s_delay_alu instid0(SALU_CYCLE_1)
	s_mov_b32 s43, exec_lo
	v_cmpx_lt_u32_e64 v77, v2
	s_cbranch_execz .LBB223_306
.LBB223_321:                            ;   in Loop: Header=BB223_240 Depth=2
	global_load_b64 v[12:13], v[20:21], off offset:768
	s_or_b32 exec_lo, exec_lo, s43
	s_delay_alu instid0(SALU_CYCLE_1)
	s_mov_b32 s43, exec_lo
	v_cmpx_lt_u32_e64 v78, v2
	s_cbranch_execnz .LBB223_307
.LBB223_322:                            ;   in Loop: Header=BB223_240 Depth=2
	s_or_b32 exec_lo, exec_lo, s43
	s_delay_alu instid0(SALU_CYCLE_1)
	s_mov_b32 s43, exec_lo
	v_cmpx_lt_u32_e64 v79, v2
	s_cbranch_execz .LBB223_308
.LBB223_323:                            ;   in Loop: Header=BB223_240 Depth=2
	global_load_b64 v[8:9], v[20:21], off offset:1280
	s_or_b32 exec_lo, exec_lo, s43
	s_delay_alu instid0(SALU_CYCLE_1)
	s_mov_b32 s43, exec_lo
	v_cmpx_lt_u32_e64 v80, v2
	s_cbranch_execnz .LBB223_309
.LBB223_324:                            ;   in Loop: Header=BB223_240 Depth=2
	s_or_b32 exec_lo, exec_lo, s43
	s_delay_alu instid0(SALU_CYCLE_1)
	s_mov_b32 s43, exec_lo
	v_cmpx_lt_u32_e64 v81, v2
	s_cbranch_execz .LBB223_310
.LBB223_325:                            ;   in Loop: Header=BB223_240 Depth=2
	global_load_b64 v[4:5], v[20:21], off offset:1792
	s_or_b32 exec_lo, exec_lo, s43
	s_and_saveexec_b32 s24, s23
	s_cbranch_execnz .LBB223_311
.LBB223_326:                            ;   in Loop: Header=BB223_240 Depth=2
	s_or_b32 exec_lo, exec_lo, s24
	s_and_saveexec_b32 s24, s22
	s_cbranch_execz .LBB223_312
.LBB223_327:                            ;   in Loop: Header=BB223_240 Depth=2
	ds_load_u8 v2, v35 offset:256
	s_waitcnt lgkmcnt(0)
	v_lshrrev_b32_e32 v2, s30, v2
	s_delay_alu instid0(VALU_DEP_1)
	v_and_b32_e32 v91, s31, v2
	s_or_b32 exec_lo, exec_lo, s24
	s_and_saveexec_b32 s24, s21
	s_cbranch_execnz .LBB223_313
.LBB223_328:                            ;   in Loop: Header=BB223_240 Depth=2
	s_or_b32 exec_lo, exec_lo, s24
	s_and_saveexec_b32 s24, s20
	s_cbranch_execz .LBB223_314
.LBB223_329:                            ;   in Loop: Header=BB223_240 Depth=2
	ds_load_u8 v2, v35 offset:768
	s_waitcnt lgkmcnt(0)
	v_lshrrev_b32_e32 v2, s30, v2
	s_delay_alu instid0(VALU_DEP_1)
	v_and_b32_e32 v89, s31, v2
	s_or_b32 exec_lo, exec_lo, s24
	s_and_saveexec_b32 s24, s19
	s_cbranch_execnz .LBB223_315
.LBB223_330:                            ;   in Loop: Header=BB223_240 Depth=2
	s_or_b32 exec_lo, exec_lo, s24
	s_and_saveexec_b32 s24, s18
	s_cbranch_execz .LBB223_316
.LBB223_331:                            ;   in Loop: Header=BB223_240 Depth=2
	ds_load_u8 v2, v35 offset:1280
	s_waitcnt lgkmcnt(0)
	v_lshrrev_b32_e32 v2, s30, v2
	s_delay_alu instid0(VALU_DEP_1)
	v_and_b32_e32 v87, s31, v2
	s_or_b32 exec_lo, exec_lo, s24
	s_and_saveexec_b32 s24, s17
	s_cbranch_execnz .LBB223_317
.LBB223_332:                            ;   in Loop: Header=BB223_240 Depth=2
	s_or_b32 exec_lo, exec_lo, s24
	s_and_saveexec_b32 s24, vcc_lo
	s_cbranch_execz .LBB223_334
.LBB223_333:                            ;   in Loop: Header=BB223_240 Depth=2
	ds_load_u8 v2, v35 offset:1792
	s_waitcnt lgkmcnt(0)
	v_lshrrev_b32_e32 v2, s30, v2
	s_delay_alu instid0(VALU_DEP_1)
	v_and_b32_e32 v85, s31, v2
.LBB223_334:                            ;   in Loop: Header=BB223_240 Depth=2
	s_or_b32 exec_lo, exec_lo, s24
	v_lshlrev_b32_e32 v2, 3, v105
	v_lshlrev_b32_e32 v20, 3, v102
	;; [unrolled: 1-line block ×3, first 2 shown]
	s_waitcnt vmcnt(0)
	s_waitcnt_vscnt null, 0x0
	s_barrier
	buffer_gl0_inv
	ds_store_b64 v2, v[18:19] offset:1024
	ds_store_b64 v20, v[16:17] offset:1024
	;; [unrolled: 1-line block ×3, first 2 shown]
	v_lshlrev_b32_e32 v2, 3, v27
	v_lshlrev_b32_e32 v20, 3, v26
	;; [unrolled: 1-line block ×5, first 2 shown]
	ds_store_b64 v2, v[12:13] offset:1024
	ds_store_b64 v20, v[10:11] offset:1024
	;; [unrolled: 1-line block ×5, first 2 shown]
	s_waitcnt lgkmcnt(0)
	s_barrier
	buffer_gl0_inv
	s_and_saveexec_b32 s24, s23
	s_cbranch_execz .LBB223_342
; %bb.335:                              ;   in Loop: Header=BB223_240 Depth=2
	v_lshlrev_b32_e32 v2, 2, v92
	v_add_nc_u32_e32 v20, v1, v52
	ds_load_b32 v2, v2
	ds_load_b64 v[20:21], v20 offset:1024
	s_waitcnt lgkmcnt(1)
	v_add_nc_u32_e32 v2, v2, v1
	s_delay_alu instid0(VALU_DEP_1) | instskip(NEXT) | instid1(VALU_DEP_1)
	v_lshlrev_b64 v[23:24], 3, v[2:3]
	v_add_co_u32 v23, s23, s46, v23
	s_delay_alu instid0(VALU_DEP_1)
	v_add_co_ci_u32_e64 v24, s23, s47, v24, s23
	s_waitcnt lgkmcnt(0)
	global_store_b64 v[23:24], v[20:21], off
	s_or_b32 exec_lo, exec_lo, s24
	s_and_saveexec_b32 s23, s22
	s_cbranch_execnz .LBB223_343
.LBB223_336:                            ;   in Loop: Header=BB223_240 Depth=2
	s_or_b32 exec_lo, exec_lo, s23
	s_and_saveexec_b32 s22, s21
	s_cbranch_execz .LBB223_344
.LBB223_337:                            ;   in Loop: Header=BB223_240 Depth=2
	v_lshlrev_b32_e32 v2, 2, v90
	v_add_nc_u32_e32 v20, v35, v52
	ds_load_b32 v2, v2
	ds_load_b64 v[20:21], v20 offset:4096
	s_waitcnt lgkmcnt(1)
	v_add_nc_u32_e32 v2, v2, v30
	s_delay_alu instid0(VALU_DEP_1) | instskip(NEXT) | instid1(VALU_DEP_1)
	v_lshlrev_b64 v[23:24], 3, v[2:3]
	v_add_co_u32 v23, s21, s46, v23
	s_delay_alu instid0(VALU_DEP_1)
	v_add_co_ci_u32_e64 v24, s21, s47, v24, s21
	s_waitcnt lgkmcnt(0)
	global_store_b64 v[23:24], v[20:21], off
	s_or_b32 exec_lo, exec_lo, s22
	s_and_saveexec_b32 s21, s20
	s_cbranch_execnz .LBB223_345
.LBB223_338:                            ;   in Loop: Header=BB223_240 Depth=2
	s_or_b32 exec_lo, exec_lo, s21
	s_and_saveexec_b32 s20, s19
	s_cbranch_execz .LBB223_346
.LBB223_339:                            ;   in Loop: Header=BB223_240 Depth=2
	v_lshlrev_b32_e32 v2, 2, v88
	v_add_nc_u32_e32 v20, v35, v52
	ds_load_b32 v2, v2
	ds_load_b64 v[20:21], v20 offset:8192
	s_waitcnt lgkmcnt(1)
	v_add_nc_u32_e32 v2, v2, v35
	s_delay_alu instid0(VALU_DEP_1) | instskip(NEXT) | instid1(VALU_DEP_1)
	v_lshlrev_b64 v[23:24], 3, v[2:3]
	v_add_co_u32 v23, s19, s46, v23
	s_delay_alu instid0(VALU_DEP_1)
	v_add_co_ci_u32_e64 v24, s19, s47, v24, s19
	s_waitcnt lgkmcnt(0)
	global_store_b64 v[23:24], v[20:21], off
	s_or_b32 exec_lo, exec_lo, s20
	s_and_saveexec_b32 s19, s18
	s_cbranch_execnz .LBB223_347
.LBB223_340:                            ;   in Loop: Header=BB223_240 Depth=2
	s_or_b32 exec_lo, exec_lo, s19
	s_and_saveexec_b32 s18, s17
	s_cbranch_execz .LBB223_348
.LBB223_341:                            ;   in Loop: Header=BB223_240 Depth=2
	v_lshlrev_b32_e32 v2, 2, v86
	v_add_nc_u32_e32 v20, v35, v52
	ds_load_b32 v2, v2
	ds_load_b64 v[20:21], v20 offset:12288
	s_waitcnt lgkmcnt(1)
	v_add_nc_u32_e32 v2, v2, v37
	s_delay_alu instid0(VALU_DEP_1) | instskip(NEXT) | instid1(VALU_DEP_1)
	v_lshlrev_b64 v[23:24], 3, v[2:3]
	v_add_co_u32 v23, s17, s46, v23
	s_delay_alu instid0(VALU_DEP_1)
	v_add_co_ci_u32_e64 v24, s17, s47, v24, s17
	s_waitcnt lgkmcnt(0)
	global_store_b64 v[23:24], v[20:21], off
	s_or_b32 exec_lo, exec_lo, s18
	s_and_saveexec_b32 s17, vcc_lo
	s_cbranch_execnz .LBB223_349
	s_branch .LBB223_350
.LBB223_342:                            ;   in Loop: Header=BB223_240 Depth=2
	s_or_b32 exec_lo, exec_lo, s24
	s_and_saveexec_b32 s23, s22
	s_cbranch_execz .LBB223_336
.LBB223_343:                            ;   in Loop: Header=BB223_240 Depth=2
	v_lshlrev_b32_e32 v2, 2, v91
	v_add_nc_u32_e32 v20, v35, v52
	ds_load_b32 v2, v2
	ds_load_b64 v[20:21], v20 offset:2048
	s_waitcnt lgkmcnt(1)
	v_add_nc_u32_e32 v2, v2, v29
	s_delay_alu instid0(VALU_DEP_1) | instskip(NEXT) | instid1(VALU_DEP_1)
	v_lshlrev_b64 v[23:24], 3, v[2:3]
	v_add_co_u32 v23, s22, s46, v23
	s_delay_alu instid0(VALU_DEP_1)
	v_add_co_ci_u32_e64 v24, s22, s47, v24, s22
	s_waitcnt lgkmcnt(0)
	global_store_b64 v[23:24], v[20:21], off
	s_or_b32 exec_lo, exec_lo, s23
	s_and_saveexec_b32 s22, s21
	s_cbranch_execnz .LBB223_337
.LBB223_344:                            ;   in Loop: Header=BB223_240 Depth=2
	s_or_b32 exec_lo, exec_lo, s22
	s_and_saveexec_b32 s21, s20
	s_cbranch_execz .LBB223_338
.LBB223_345:                            ;   in Loop: Header=BB223_240 Depth=2
	v_lshlrev_b32_e32 v2, 2, v89
	v_add_nc_u32_e32 v20, v35, v52
	ds_load_b32 v2, v2
	ds_load_b64 v[20:21], v20 offset:6144
	s_waitcnt lgkmcnt(1)
	v_add_nc_u32_e32 v2, v2, v31
	s_delay_alu instid0(VALU_DEP_1) | instskip(NEXT) | instid1(VALU_DEP_1)
	v_lshlrev_b64 v[23:24], 3, v[2:3]
	v_add_co_u32 v23, s20, s46, v23
	s_delay_alu instid0(VALU_DEP_1)
	v_add_co_ci_u32_e64 v24, s20, s47, v24, s20
	s_waitcnt lgkmcnt(0)
	global_store_b64 v[23:24], v[20:21], off
	s_or_b32 exec_lo, exec_lo, s21
	s_and_saveexec_b32 s20, s19
	s_cbranch_execnz .LBB223_339
.LBB223_346:                            ;   in Loop: Header=BB223_240 Depth=2
	s_or_b32 exec_lo, exec_lo, s20
	s_and_saveexec_b32 s19, s18
	s_cbranch_execz .LBB223_340
.LBB223_347:                            ;   in Loop: Header=BB223_240 Depth=2
	v_lshlrev_b32_e32 v2, 2, v87
	v_add_nc_u32_e32 v20, v35, v52
	ds_load_b32 v2, v2
	ds_load_b64 v[20:21], v20 offset:10240
	s_waitcnt lgkmcnt(1)
	v_add_nc_u32_e32 v2, v2, v36
	s_delay_alu instid0(VALU_DEP_1) | instskip(NEXT) | instid1(VALU_DEP_1)
	v_lshlrev_b64 v[23:24], 3, v[2:3]
	v_add_co_u32 v23, s18, s46, v23
	s_delay_alu instid0(VALU_DEP_1)
	v_add_co_ci_u32_e64 v24, s18, s47, v24, s18
	s_waitcnt lgkmcnt(0)
	global_store_b64 v[23:24], v[20:21], off
	s_or_b32 exec_lo, exec_lo, s19
	s_and_saveexec_b32 s18, s17
	s_cbranch_execnz .LBB223_341
.LBB223_348:                            ;   in Loop: Header=BB223_240 Depth=2
	s_or_b32 exec_lo, exec_lo, s18
	s_and_saveexec_b32 s17, vcc_lo
	s_cbranch_execz .LBB223_350
.LBB223_349:                            ;   in Loop: Header=BB223_240 Depth=2
	v_lshlrev_b32_e32 v2, 2, v85
	v_add_nc_u32_e32 v20, v35, v52
	ds_load_b32 v2, v2
	ds_load_b64 v[20:21], v20 offset:14336
	s_waitcnt lgkmcnt(1)
	v_add_nc_u32_e32 v2, v2, v39
	s_delay_alu instid0(VALU_DEP_1) | instskip(NEXT) | instid1(VALU_DEP_1)
	v_lshlrev_b64 v[23:24], 3, v[2:3]
	v_add_co_u32 v23, vcc_lo, s46, v23
	s_delay_alu instid0(VALU_DEP_2)
	v_add_co_ci_u32_e32 v24, vcc_lo, s47, v24, vcc_lo
	s_waitcnt lgkmcnt(0)
	global_store_b64 v[23:24], v[20:21], off
.LBB223_350:                            ;   in Loop: Header=BB223_240 Depth=2
	s_or_b32 exec_lo, exec_lo, s17
	s_waitcnt_vscnt null, 0x0
	s_barrier
	buffer_gl0_inv
	s_and_saveexec_b32 s17, s2
	s_cbranch_execz .LBB223_239
; %bb.351:                              ;   in Loop: Header=BB223_240 Depth=2
	ds_load_b32 v2, v28
	s_waitcnt lgkmcnt(0)
	v_add_nc_u32_e32 v2, v2, v22
	ds_store_b32 v28, v2
	s_branch .LBB223_239
.LBB223_352:                            ;   in Loop: Header=BB223_20 Depth=1
	s_waitcnt lgkmcnt(0)
	s_barrier
.LBB223_353:                            ;   in Loop: Header=BB223_20 Depth=1
	s_mov_b32 s0, 0
.LBB223_354:                            ;   in Loop: Header=BB223_20 Depth=1
	s_delay_alu instid0(SALU_CYCLE_1)
	s_and_not1_b32 vcc_lo, exec_lo, s0
	s_cbranch_vccnz .LBB223_19
; %bb.355:                              ;   in Loop: Header=BB223_20 Depth=1
	s_and_b32 vcc_lo, exec_lo, s33
	s_mov_b32 s0, -1
	s_cbranch_vccz .LBB223_521
; %bb.356:                              ;   in Loop: Header=BB223_20 Depth=1
	s_mov_b32 s0, s34
	s_mov_b32 s9, s28
	s_barrier
	buffer_gl0_inv
                                        ; implicit-def: $vgpr2
                                        ; implicit-def: $vgpr6
                                        ; implicit-def: $vgpr7
                                        ; implicit-def: $vgpr8
                                        ; implicit-def: $vgpr9
                                        ; implicit-def: $vgpr10
                                        ; implicit-def: $vgpr11
                                        ; implicit-def: $vgpr12
	s_branch .LBB223_358
.LBB223_357:                            ;   in Loop: Header=BB223_358 Depth=2
	s_or_b32 exec_lo, exec_lo, s8
	s_addk_i32 s0, 0xf800
	s_cmp_ge_u32 s1, s29
	s_mov_b32 s9, s1
	s_cbranch_scc1 .LBB223_396
.LBB223_358:                            ;   Parent Loop BB223_20 Depth=1
                                        ; =>  This Inner Loop Header: Depth=2
	s_add_i32 s1, s9, 0x800
	s_delay_alu instid0(SALU_CYCLE_1)
	s_cmp_gt_u32 s1, s29
	s_cbranch_scc1 .LBB223_361
; %bb.359:                              ;   in Loop: Header=BB223_358 Depth=2
	v_add_co_u32 v4, vcc_lo, v59, s9
	v_add_co_ci_u32_e32 v5, vcc_lo, 0, v60, vcc_lo
	s_mov_b32 s8, -1
	s_movk_i32 s12, 0x800
	s_clause 0x6
	global_load_u8 v20, v[4:5], off offset:1536
	global_load_u8 v19, v[4:5], off offset:1280
	;; [unrolled: 1-line block ×6, first 2 shown]
	global_load_u8 v14, v[4:5], off
	v_add_co_u32 v4, vcc_lo, 0x700, v4
	v_add_co_ci_u32_e32 v5, vcc_lo, 0, v5, vcc_lo
	s_cbranch_execz .LBB223_362
; %bb.360:                              ;   in Loop: Header=BB223_358 Depth=2
                                        ; implicit-def: $vgpr2
                                        ; implicit-def: $vgpr6
                                        ; implicit-def: $vgpr7
                                        ; implicit-def: $vgpr8
                                        ; implicit-def: $vgpr9
                                        ; implicit-def: $vgpr10
                                        ; implicit-def: $vgpr11
                                        ; implicit-def: $vgpr12
	v_mov_b32_e32 v13, s0
	s_and_saveexec_b32 s9, s8
	s_cbranch_execnz .LBB223_373
	s_branch .LBB223_374
.LBB223_361:                            ;   in Loop: Header=BB223_358 Depth=2
	s_mov_b32 s8, 0
                                        ; implicit-def: $sgpr12
                                        ; implicit-def: $vgpr14
                                        ; implicit-def: $vgpr15
                                        ; implicit-def: $vgpr16
                                        ; implicit-def: $vgpr17
                                        ; implicit-def: $vgpr18
                                        ; implicit-def: $vgpr19
                                        ; implicit-def: $vgpr20
                                        ; implicit-def: $vgpr4_vgpr5
.LBB223_362:                            ;   in Loop: Header=BB223_358 Depth=2
	s_add_u32 s10, s36, s9
	s_addc_u32 s11, s37, 0
	s_mov_b32 s12, exec_lo
	v_cmpx_gt_u32_e64 s0, v1
	s_cbranch_execz .LBB223_390
; %bb.363:                              ;   in Loop: Header=BB223_358 Depth=2
	v_add_co_u32 v4, s13, s10, v1
	s_delay_alu instid0(VALU_DEP_1) | instskip(SKIP_2) | instid1(SALU_CYCLE_1)
	v_add_co_ci_u32_e64 v5, null, s11, 0, s13
	global_load_u8 v2, v[4:5], off
	s_or_b32 exec_lo, exec_lo, s12
	s_mov_b32 s12, exec_lo
	v_cmpx_gt_u32_e64 s0, v29
	s_cbranch_execnz .LBB223_391
.LBB223_364:                            ;   in Loop: Header=BB223_358 Depth=2
	s_or_b32 exec_lo, exec_lo, s12
	s_delay_alu instid0(SALU_CYCLE_1)
	s_mov_b32 s12, exec_lo
	v_cmpx_gt_u32_e64 s0, v30
	s_cbranch_execz .LBB223_392
.LBB223_365:                            ;   in Loop: Header=BB223_358 Depth=2
	v_add_co_u32 v4, s13, s10, v1
	s_delay_alu instid0(VALU_DEP_1) | instskip(SKIP_2) | instid1(SALU_CYCLE_1)
	v_add_co_ci_u32_e64 v5, null, s11, 0, s13
	global_load_u8 v7, v[4:5], off offset:512
	s_or_b32 exec_lo, exec_lo, s12
	s_mov_b32 s12, exec_lo
	v_cmpx_gt_u32_e64 s0, v31
	s_cbranch_execnz .LBB223_393
.LBB223_366:                            ;   in Loop: Header=BB223_358 Depth=2
	s_or_b32 exec_lo, exec_lo, s12
	s_delay_alu instid0(SALU_CYCLE_1)
	s_mov_b32 s12, exec_lo
	v_cmpx_gt_u32_e64 s0, v35
	s_cbranch_execz .LBB223_394
.LBB223_367:                            ;   in Loop: Header=BB223_358 Depth=2
	v_add_co_u32 v4, s13, s10, v1
	s_delay_alu instid0(VALU_DEP_1) | instskip(SKIP_2) | instid1(SALU_CYCLE_1)
	v_add_co_ci_u32_e64 v5, null, s11, 0, s13
	global_load_u8 v9, v[4:5], off offset:1024
	s_or_b32 exec_lo, exec_lo, s12
	s_mov_b32 s12, exec_lo
	v_cmpx_gt_u32_e64 s0, v36
	s_cbranch_execnz .LBB223_395
.LBB223_368:                            ;   in Loop: Header=BB223_358 Depth=2
	s_or_b32 exec_lo, exec_lo, s12
	s_delay_alu instid0(SALU_CYCLE_1)
	s_mov_b32 s12, exec_lo
	v_cmpx_gt_u32_e64 s0, v37
	s_cbranch_execz .LBB223_370
.LBB223_369:                            ;   in Loop: Header=BB223_358 Depth=2
	v_add_co_u32 v4, s13, s10, v1
	s_delay_alu instid0(VALU_DEP_1)
	v_add_co_ci_u32_e64 v5, null, s11, 0, s13
	global_load_u8 v11, v[4:5], off offset:1536
.LBB223_370:                            ;   in Loop: Header=BB223_358 Depth=2
	s_or_b32 exec_lo, exec_lo, s12
	s_delay_alu instid0(SALU_CYCLE_1)
	s_mov_b32 s13, exec_lo
                                        ; implicit-def: $sgpr12
                                        ; implicit-def: $vgpr4_vgpr5
	v_cmpx_gt_u32_e64 s0, v39
; %bb.371:                              ;   in Loop: Header=BB223_358 Depth=2
	v_add_co_u32 v4, s10, s10, v1
	s_delay_alu instid0(VALU_DEP_1) | instskip(SKIP_1) | instid1(VALU_DEP_2)
	v_add_co_ci_u32_e64 v5, null, s11, 0, s10
	s_sub_i32 s12, s29, s9
	v_add_co_u32 v4, vcc_lo, 0x700, v4
	s_delay_alu instid0(VALU_DEP_2)
	v_add_co_ci_u32_e32 v5, vcc_lo, 0, v5, vcc_lo
	s_or_b32 s8, s8, exec_lo
                                        ; implicit-def: $vgpr12
; %bb.372:                              ;   in Loop: Header=BB223_358 Depth=2
	s_or_b32 exec_lo, exec_lo, s13
	s_waitcnt vmcnt(0)
	v_dual_mov_b32 v14, v2 :: v_dual_mov_b32 v17, v8
	v_dual_mov_b32 v15, v6 :: v_dual_mov_b32 v16, v7
	;; [unrolled: 1-line block ×4, first 2 shown]
	s_and_saveexec_b32 s9, s8
	s_cbranch_execz .LBB223_374
.LBB223_373:                            ;   in Loop: Header=BB223_358 Depth=2
	global_load_u8 v12, v[4:5], off
	s_waitcnt vmcnt(1)
	v_dual_mov_b32 v13, s12 :: v_dual_mov_b32 v2, v14
	v_dual_mov_b32 v6, v15 :: v_dual_mov_b32 v7, v16
	;; [unrolled: 1-line block ×4, first 2 shown]
.LBB223_374:                            ;   in Loop: Header=BB223_358 Depth=2
	s_or_b32 exec_lo, exec_lo, s9
	s_delay_alu instid0(SALU_CYCLE_1)
	s_mov_b32 s8, exec_lo
	v_cmpx_lt_u32_e64 v1, v13
	s_cbranch_execz .LBB223_382
; %bb.375:                              ;   in Loop: Header=BB223_358 Depth=2
	v_and_b32_e32 v4, 0xff, v2
	v_lshlrev_b32_e32 v5, 2, v32
	s_delay_alu instid0(VALU_DEP_2) | instskip(NEXT) | instid1(VALU_DEP_1)
	v_lshrrev_b32_e32 v4, s49, v4
	v_and_b32_e32 v4, s31, v4
	s_delay_alu instid0(VALU_DEP_1) | instskip(SKIP_2) | instid1(SALU_CYCLE_1)
	v_lshl_or_b32 v4, v4, 4, v5
	ds_add_u32 v4, v66
	s_or_b32 exec_lo, exec_lo, s8
	s_mov_b32 s8, exec_lo
	v_cmpx_lt_u32_e64 v29, v13
	s_cbranch_execnz .LBB223_383
.LBB223_376:                            ;   in Loop: Header=BB223_358 Depth=2
	s_or_b32 exec_lo, exec_lo, s8
	s_delay_alu instid0(SALU_CYCLE_1)
	s_mov_b32 s8, exec_lo
	v_cmpx_lt_u32_e64 v30, v13
	s_cbranch_execz .LBB223_384
.LBB223_377:                            ;   in Loop: Header=BB223_358 Depth=2
	v_and_b32_e32 v4, 0xff, v7
	v_lshlrev_b32_e32 v5, 2, v32
	s_delay_alu instid0(VALU_DEP_2) | instskip(NEXT) | instid1(VALU_DEP_1)
	v_lshrrev_b32_e32 v4, s49, v4
	v_and_b32_e32 v4, s31, v4
	s_delay_alu instid0(VALU_DEP_1) | instskip(SKIP_2) | instid1(SALU_CYCLE_1)
	v_lshl_or_b32 v4, v4, 4, v5
	ds_add_u32 v4, v66
	s_or_b32 exec_lo, exec_lo, s8
	s_mov_b32 s8, exec_lo
	v_cmpx_lt_u32_e64 v31, v13
	s_cbranch_execnz .LBB223_385
.LBB223_378:                            ;   in Loop: Header=BB223_358 Depth=2
	s_or_b32 exec_lo, exec_lo, s8
	s_delay_alu instid0(SALU_CYCLE_1)
	s_mov_b32 s8, exec_lo
	v_cmpx_lt_u32_e64 v35, v13
	s_cbranch_execz .LBB223_386
.LBB223_379:                            ;   in Loop: Header=BB223_358 Depth=2
	v_and_b32_e32 v4, 0xff, v9
	v_lshlrev_b32_e32 v5, 2, v32
	s_delay_alu instid0(VALU_DEP_2) | instskip(NEXT) | instid1(VALU_DEP_1)
	v_lshrrev_b32_e32 v4, s49, v4
	v_and_b32_e32 v4, s31, v4
	s_delay_alu instid0(VALU_DEP_1) | instskip(SKIP_2) | instid1(SALU_CYCLE_1)
	v_lshl_or_b32 v4, v4, 4, v5
	ds_add_u32 v4, v66
	s_or_b32 exec_lo, exec_lo, s8
	s_mov_b32 s8, exec_lo
	v_cmpx_lt_u32_e64 v36, v13
	s_cbranch_execnz .LBB223_387
.LBB223_380:                            ;   in Loop: Header=BB223_358 Depth=2
	s_or_b32 exec_lo, exec_lo, s8
	s_delay_alu instid0(SALU_CYCLE_1)
	s_mov_b32 s8, exec_lo
	v_cmpx_lt_u32_e64 v37, v13
	s_cbranch_execz .LBB223_388
.LBB223_381:                            ;   in Loop: Header=BB223_358 Depth=2
	v_and_b32_e32 v4, 0xff, v11
	v_lshlrev_b32_e32 v5, 2, v32
	s_delay_alu instid0(VALU_DEP_2) | instskip(NEXT) | instid1(VALU_DEP_1)
	v_lshrrev_b32_e32 v4, s49, v4
	v_and_b32_e32 v4, s31, v4
	s_delay_alu instid0(VALU_DEP_1) | instskip(SKIP_2) | instid1(SALU_CYCLE_1)
	v_lshl_or_b32 v4, v4, 4, v5
	ds_add_u32 v4, v66
	s_or_b32 exec_lo, exec_lo, s8
	s_mov_b32 s8, exec_lo
	v_cmpx_lt_u32_e64 v39, v13
	s_cbranch_execz .LBB223_357
	s_branch .LBB223_389
.LBB223_382:                            ;   in Loop: Header=BB223_358 Depth=2
	s_or_b32 exec_lo, exec_lo, s8
	s_delay_alu instid0(SALU_CYCLE_1)
	s_mov_b32 s8, exec_lo
	v_cmpx_lt_u32_e64 v29, v13
	s_cbranch_execz .LBB223_376
.LBB223_383:                            ;   in Loop: Header=BB223_358 Depth=2
	v_and_b32_e32 v4, 0xff, v6
	v_lshlrev_b32_e32 v5, 2, v32
	s_delay_alu instid0(VALU_DEP_2) | instskip(NEXT) | instid1(VALU_DEP_1)
	v_lshrrev_b32_e32 v4, s49, v4
	v_and_b32_e32 v4, s31, v4
	s_delay_alu instid0(VALU_DEP_1) | instskip(SKIP_2) | instid1(SALU_CYCLE_1)
	v_lshl_or_b32 v4, v4, 4, v5
	ds_add_u32 v4, v66
	s_or_b32 exec_lo, exec_lo, s8
	s_mov_b32 s8, exec_lo
	v_cmpx_lt_u32_e64 v30, v13
	s_cbranch_execnz .LBB223_377
.LBB223_384:                            ;   in Loop: Header=BB223_358 Depth=2
	s_or_b32 exec_lo, exec_lo, s8
	s_delay_alu instid0(SALU_CYCLE_1)
	s_mov_b32 s8, exec_lo
	v_cmpx_lt_u32_e64 v31, v13
	s_cbranch_execz .LBB223_378
.LBB223_385:                            ;   in Loop: Header=BB223_358 Depth=2
	v_and_b32_e32 v4, 0xff, v8
	v_lshlrev_b32_e32 v5, 2, v32
	s_delay_alu instid0(VALU_DEP_2) | instskip(NEXT) | instid1(VALU_DEP_1)
	v_lshrrev_b32_e32 v4, s49, v4
	v_and_b32_e32 v4, s31, v4
	s_delay_alu instid0(VALU_DEP_1) | instskip(SKIP_2) | instid1(SALU_CYCLE_1)
	v_lshl_or_b32 v4, v4, 4, v5
	ds_add_u32 v4, v66
	s_or_b32 exec_lo, exec_lo, s8
	s_mov_b32 s8, exec_lo
	v_cmpx_lt_u32_e64 v35, v13
	s_cbranch_execnz .LBB223_379
.LBB223_386:                            ;   in Loop: Header=BB223_358 Depth=2
	s_or_b32 exec_lo, exec_lo, s8
	s_delay_alu instid0(SALU_CYCLE_1)
	s_mov_b32 s8, exec_lo
	v_cmpx_lt_u32_e64 v36, v13
	s_cbranch_execz .LBB223_380
.LBB223_387:                            ;   in Loop: Header=BB223_358 Depth=2
	v_and_b32_e32 v4, 0xff, v10
	v_lshlrev_b32_e32 v5, 2, v32
	s_delay_alu instid0(VALU_DEP_2) | instskip(NEXT) | instid1(VALU_DEP_1)
	v_lshrrev_b32_e32 v4, s49, v4
	v_and_b32_e32 v4, s31, v4
	s_delay_alu instid0(VALU_DEP_1) | instskip(SKIP_2) | instid1(SALU_CYCLE_1)
	v_lshl_or_b32 v4, v4, 4, v5
	ds_add_u32 v4, v66
	s_or_b32 exec_lo, exec_lo, s8
	s_mov_b32 s8, exec_lo
	v_cmpx_lt_u32_e64 v37, v13
	s_cbranch_execnz .LBB223_381
.LBB223_388:                            ;   in Loop: Header=BB223_358 Depth=2
	s_or_b32 exec_lo, exec_lo, s8
	s_delay_alu instid0(SALU_CYCLE_1)
	s_mov_b32 s8, exec_lo
	v_cmpx_lt_u32_e64 v39, v13
	s_cbranch_execz .LBB223_357
.LBB223_389:                            ;   in Loop: Header=BB223_358 Depth=2
	s_waitcnt vmcnt(0)
	v_and_b32_e32 v4, 0xff, v12
	v_lshlrev_b32_e32 v5, 2, v32
	s_delay_alu instid0(VALU_DEP_2) | instskip(NEXT) | instid1(VALU_DEP_1)
	v_lshrrev_b32_e32 v4, s49, v4
	v_and_b32_e32 v4, s31, v4
	s_delay_alu instid0(VALU_DEP_1)
	v_lshl_or_b32 v4, v4, 4, v5
	ds_add_u32 v4, v66
	s_branch .LBB223_357
.LBB223_390:                            ;   in Loop: Header=BB223_358 Depth=2
	s_or_b32 exec_lo, exec_lo, s12
	s_delay_alu instid0(SALU_CYCLE_1)
	s_mov_b32 s12, exec_lo
	v_cmpx_gt_u32_e64 s0, v29
	s_cbranch_execz .LBB223_364
.LBB223_391:                            ;   in Loop: Header=BB223_358 Depth=2
	v_add_co_u32 v4, s13, s10, v1
	s_delay_alu instid0(VALU_DEP_1) | instskip(SKIP_2) | instid1(SALU_CYCLE_1)
	v_add_co_ci_u32_e64 v5, null, s11, 0, s13
	global_load_u8 v6, v[4:5], off offset:256
	s_or_b32 exec_lo, exec_lo, s12
	s_mov_b32 s12, exec_lo
	v_cmpx_gt_u32_e64 s0, v30
	s_cbranch_execnz .LBB223_365
.LBB223_392:                            ;   in Loop: Header=BB223_358 Depth=2
	s_or_b32 exec_lo, exec_lo, s12
	s_delay_alu instid0(SALU_CYCLE_1)
	s_mov_b32 s12, exec_lo
	v_cmpx_gt_u32_e64 s0, v31
	s_cbranch_execz .LBB223_366
.LBB223_393:                            ;   in Loop: Header=BB223_358 Depth=2
	v_add_co_u32 v4, s13, s10, v1
	s_delay_alu instid0(VALU_DEP_1) | instskip(SKIP_2) | instid1(SALU_CYCLE_1)
	v_add_co_ci_u32_e64 v5, null, s11, 0, s13
	global_load_u8 v8, v[4:5], off offset:768
	s_or_b32 exec_lo, exec_lo, s12
	s_mov_b32 s12, exec_lo
	v_cmpx_gt_u32_e64 s0, v35
	s_cbranch_execnz .LBB223_367
.LBB223_394:                            ;   in Loop: Header=BB223_358 Depth=2
	s_or_b32 exec_lo, exec_lo, s12
	s_delay_alu instid0(SALU_CYCLE_1)
	s_mov_b32 s12, exec_lo
	v_cmpx_gt_u32_e64 s0, v36
	s_cbranch_execz .LBB223_368
.LBB223_395:                            ;   in Loop: Header=BB223_358 Depth=2
	v_add_co_u32 v4, s13, s10, v1
	s_delay_alu instid0(VALU_DEP_1) | instskip(SKIP_2) | instid1(SALU_CYCLE_1)
	v_add_co_ci_u32_e64 v5, null, s11, 0, s13
	global_load_u8 v10, v[4:5], off offset:1280
	s_or_b32 exec_lo, exec_lo, s12
	s_mov_b32 s12, exec_lo
	v_cmpx_gt_u32_e64 s0, v37
	s_cbranch_execz .LBB223_370
	s_branch .LBB223_369
.LBB223_396:                            ;   in Loop: Header=BB223_20 Depth=1
	v_mov_b32_e32 v2, 0
	s_waitcnt vmcnt(0) lgkmcnt(0)
	s_barrier
	buffer_gl0_inv
	s_and_saveexec_b32 s0, s2
	s_cbranch_execz .LBB223_398
; %bb.397:                              ;   in Loop: Header=BB223_20 Depth=1
	ds_load_2addr_b64 v[4:7], v40 offset1:1
	s_waitcnt lgkmcnt(0)
	v_add_nc_u32_e32 v2, v5, v4
	s_delay_alu instid0(VALU_DEP_1)
	v_add3_u32 v2, v2, v6, v7
.LBB223_398:                            ;   in Loop: Header=BB223_20 Depth=1
	s_or_b32 exec_lo, exec_lo, s0
	v_and_b32_e32 v4, 15, v63
	s_delay_alu instid0(VALU_DEP_2) | instskip(SKIP_1) | instid1(VALU_DEP_3)
	v_mov_b32_dpp v5, v2 row_shr:1 row_mask:0xf bank_mask:0xf
	v_and_b32_e32 v6, 16, v63
	v_cmp_eq_u32_e64 s0, 0, v4
	v_cmp_lt_u32_e64 s1, 1, v4
	v_cmp_lt_u32_e64 s8, 3, v4
	;; [unrolled: 1-line block ×3, first 2 shown]
	v_cmp_eq_u32_e64 s10, 0, v6
	v_cndmask_b32_e64 v5, v5, 0, s0
	s_delay_alu instid0(VALU_DEP_1) | instskip(NEXT) | instid1(VALU_DEP_1)
	v_add_nc_u32_e32 v2, v5, v2
	v_mov_b32_dpp v5, v2 row_shr:2 row_mask:0xf bank_mask:0xf
	s_delay_alu instid0(VALU_DEP_1) | instskip(NEXT) | instid1(VALU_DEP_1)
	v_cndmask_b32_e64 v5, 0, v5, s1
	v_add_nc_u32_e32 v2, v2, v5
	s_delay_alu instid0(VALU_DEP_1) | instskip(NEXT) | instid1(VALU_DEP_1)
	v_mov_b32_dpp v5, v2 row_shr:4 row_mask:0xf bank_mask:0xf
	v_cndmask_b32_e64 v5, 0, v5, s8
	s_delay_alu instid0(VALU_DEP_1) | instskip(NEXT) | instid1(VALU_DEP_1)
	v_add_nc_u32_e32 v2, v2, v5
	v_mov_b32_dpp v5, v2 row_shr:8 row_mask:0xf bank_mask:0xf
	s_delay_alu instid0(VALU_DEP_1) | instskip(SKIP_1) | instid1(VALU_DEP_2)
	v_cndmask_b32_e64 v4, 0, v5, s9
	v_bfe_i32 v5, v63, 4, 1
	v_add_nc_u32_e32 v2, v2, v4
	ds_swizzle_b32 v4, v2 offset:swizzle(BROADCAST,32,15)
	s_waitcnt lgkmcnt(0)
	v_and_b32_e32 v4, v5, v4
	s_delay_alu instid0(VALU_DEP_1)
	v_add_nc_u32_e32 v4, v2, v4
	s_and_saveexec_b32 s11, s3
	s_cbranch_execz .LBB223_400
; %bb.399:                              ;   in Loop: Header=BB223_20 Depth=1
	ds_store_b32 v41, v4
.LBB223_400:                            ;   in Loop: Header=BB223_20 Depth=1
	s_or_b32 exec_lo, exec_lo, s11
	v_and_b32_e32 v2, 7, v63
	s_waitcnt lgkmcnt(0)
	s_barrier
	buffer_gl0_inv
	s_and_saveexec_b32 s11, s4
	s_cbranch_execz .LBB223_402
; %bb.401:                              ;   in Loop: Header=BB223_20 Depth=1
	ds_load_b32 v5, v42
	v_cmp_ne_u32_e32 vcc_lo, 0, v2
	s_waitcnt lgkmcnt(0)
	v_mov_b32_dpp v6, v5 row_shr:1 row_mask:0xf bank_mask:0xf
	s_delay_alu instid0(VALU_DEP_1) | instskip(SKIP_1) | instid1(VALU_DEP_2)
	v_cndmask_b32_e32 v6, 0, v6, vcc_lo
	v_cmp_lt_u32_e32 vcc_lo, 1, v2
	v_add_nc_u32_e32 v5, v6, v5
	s_delay_alu instid0(VALU_DEP_1) | instskip(NEXT) | instid1(VALU_DEP_1)
	v_mov_b32_dpp v6, v5 row_shr:2 row_mask:0xf bank_mask:0xf
	v_cndmask_b32_e32 v6, 0, v6, vcc_lo
	v_cmp_lt_u32_e32 vcc_lo, 3, v2
	s_delay_alu instid0(VALU_DEP_2) | instskip(NEXT) | instid1(VALU_DEP_1)
	v_add_nc_u32_e32 v5, v5, v6
	v_mov_b32_dpp v6, v5 row_shr:4 row_mask:0xf bank_mask:0xf
	s_delay_alu instid0(VALU_DEP_1) | instskip(NEXT) | instid1(VALU_DEP_1)
	v_cndmask_b32_e32 v6, 0, v6, vcc_lo
	v_add_nc_u32_e32 v5, v5, v6
	ds_store_b32 v42, v5
.LBB223_402:                            ;   in Loop: Header=BB223_20 Depth=1
	s_or_b32 exec_lo, exec_lo, s11
	v_mov_b32_e32 v5, 0
	s_waitcnt lgkmcnt(0)
	s_barrier
	buffer_gl0_inv
	s_and_saveexec_b32 s11, s5
	s_cbranch_execz .LBB223_404
; %bb.403:                              ;   in Loop: Header=BB223_20 Depth=1
	ds_load_b32 v5, v43
.LBB223_404:                            ;   in Loop: Header=BB223_20 Depth=1
	s_or_b32 exec_lo, exec_lo, s11
	v_add_nc_u32_e32 v6, -1, v63
	s_waitcnt lgkmcnt(0)
	v_add_nc_u32_e32 v4, v5, v4
	v_cmp_eq_u32_e64 s11, 0, v63
	s_barrier
	v_cmp_gt_i32_e32 vcc_lo, 0, v6
	buffer_gl0_inv
	v_cndmask_b32_e32 v6, v6, v63, vcc_lo
	s_delay_alu instid0(VALU_DEP_1)
	v_lshlrev_b32_e32 v69, 2, v6
	ds_bpermute_b32 v4, v69, v4
	s_and_saveexec_b32 s12, s2
	s_cbranch_execz .LBB223_406
; %bb.405:                              ;   in Loop: Header=BB223_20 Depth=1
	s_waitcnt lgkmcnt(0)
	v_cndmask_b32_e64 v4, v4, v5, s11
	s_delay_alu instid0(VALU_DEP_1)
	v_add_nc_u32_e32 v4, s28, v4
	ds_store_b32 v28, v4
.LBB223_406:                            ;   in Loop: Header=BB223_20 Depth=1
	s_or_b32 exec_lo, exec_lo, s12
	s_load_b64 s[12:13], s[26:27], 0x0
	v_add_co_u32 v71, vcc_lo, v64, v63
	v_add_co_ci_u32_e32 v72, vcc_lo, 0, v65, vcc_lo
	v_or_b32_e32 v70, v63, v44
	s_mov_b32 s35, s34
	s_mov_b32 s24, s28
                                        ; implicit-def: $vgpr8_vgpr9
                                        ; implicit-def: $vgpr10_vgpr11
                                        ; implicit-def: $vgpr12_vgpr13
                                        ; implicit-def: $vgpr14_vgpr15
                                        ; implicit-def: $vgpr16_vgpr17
                                        ; implicit-def: $vgpr18_vgpr19
                                        ; implicit-def: $vgpr85
                                        ; implicit-def: $vgpr86
                                        ; implicit-def: $vgpr87
                                        ; implicit-def: $vgpr88
                                        ; implicit-def: $vgpr89
                                        ; implicit-def: $vgpr90
                                        ; implicit-def: $vgpr91
                                        ; implicit-def: $vgpr92
	s_delay_alu instid0(VALU_DEP_1)
	v_or_b32_e32 v75, 32, v70
	v_or_b32_e32 v76, 64, v70
	;; [unrolled: 1-line block ×7, first 2 shown]
	s_waitcnt lgkmcnt(0)
	s_cmp_lt_u32 s15, s13
	s_cselect_b32 s13, 14, 20
	s_delay_alu instid0(SALU_CYCLE_1) | instskip(SKIP_4) | instid1(SALU_CYCLE_1)
	s_add_u32 s16, s26, s13
	s_addc_u32 s17, s27, 0
	s_cmp_lt_u32 s14, s12
	global_load_u16 v4, v3, s[16:17]
	s_cselect_b32 s12, 12, 18
	s_add_u32 s12, s26, s12
	s_addc_u32 s13, s27, 0
	global_load_u16 v6, v3, s[12:13]
	v_cmp_eq_u32_e64 s12, 0, v2
	v_cmp_lt_u32_e64 s13, 1, v2
	v_cmp_lt_u32_e64 s16, 3, v2
	v_lshlrev_b32_e32 v2, 3, v63
	s_delay_alu instid0(VALU_DEP_1)
	v_add_co_u32 v73, vcc_lo, v61, v2
	v_add_co_ci_u32_e32 v74, vcc_lo, 0, v62, vcc_lo
	v_add_co_u32 v83, vcc_lo, 0xe0, v71
	v_add_co_ci_u32_e32 v84, vcc_lo, 0, v72, vcc_lo
	s_waitcnt vmcnt(1)
	v_mad_u32_u24 v7, v45, v4, v0
	s_waitcnt vmcnt(0)
	s_delay_alu instid0(VALU_DEP_1) | instskip(NEXT) | instid1(VALU_DEP_1)
	v_mad_u64_u32 v[4:5], null, v7, v6, v[1:2]
                                        ; implicit-def: $vgpr6_vgpr7
	v_lshrrev_b32_e32 v82, 5, v4
                                        ; implicit-def: $vgpr4_vgpr5
	s_branch .LBB223_408
.LBB223_407:                            ;   in Loop: Header=BB223_408 Depth=2
	s_or_b32 exec_lo, exec_lo, s17
	s_addk_i32 s35, 0xf800
	s_cmp_lt_u32 s42, s29
	s_mov_b32 s24, s42
	s_cbranch_scc0 .LBB223_520
.LBB223_408:                            ;   Parent Loop BB223_20 Depth=1
                                        ; =>  This Inner Loop Header: Depth=2
	s_add_i32 s42, s24, 0x800
	s_delay_alu instid0(SALU_CYCLE_1)
	s_cmp_gt_u32 s42, s29
	s_cbranch_scc1 .LBB223_411
; %bb.409:                              ;   in Loop: Header=BB223_408 Depth=2
	v_add_co_u32 v20, vcc_lo, v71, s24
	v_add_co_ci_u32_e32 v21, vcc_lo, 0, v72, vcc_lo
	s_mov_b32 s19, 0
	s_mov_b32 s18, s24
	s_mov_b32 s20, -1
	s_clause 0x6
	global_load_u8 v93, v[20:21], off
	global_load_u8 v94, v[20:21], off offset:32
	global_load_u8 v95, v[20:21], off offset:64
	;; [unrolled: 1-line block ×6, first 2 shown]
	s_movk_i32 s17, 0x800
	s_cbranch_execz .LBB223_412
; %bb.410:                              ;   in Loop: Header=BB223_408 Depth=2
                                        ; implicit-def: $sgpr21
	v_mov_b32_e32 v100, s21
	v_mov_b32_e32 v2, s35
	s_and_saveexec_b32 s21, s20
	s_cbranch_execnz .LBB223_427
	s_branch .LBB223_428
.LBB223_411:                            ;   in Loop: Header=BB223_408 Depth=2
	s_mov_b32 s19, -1
	s_mov_b32 s20, 0
                                        ; implicit-def: $sgpr17
                                        ; implicit-def: $vgpr93
                                        ; implicit-def: $vgpr94
                                        ; implicit-def: $vgpr95
                                        ; implicit-def: $vgpr96
                                        ; implicit-def: $vgpr97
                                        ; implicit-def: $vgpr98
                                        ; implicit-def: $vgpr99
.LBB223_412:                            ;   in Loop: Header=BB223_408 Depth=2
	v_add_co_u32 v20, vcc_lo, v71, s24
	v_add_co_ci_u32_e32 v21, vcc_lo, 0, v72, vcc_lo
	s_waitcnt vmcnt(5)
	v_dual_mov_b32 v94, 0xff :: v_dual_mov_b32 v93, 0xff
	s_mov_b32 s17, exec_lo
	v_cmpx_gt_u32_e64 s35, v70
	s_cbranch_execz .LBB223_414
; %bb.413:                              ;   in Loop: Header=BB223_408 Depth=2
	global_load_u8 v93, v[20:21], off
.LBB223_414:                            ;   in Loop: Header=BB223_408 Depth=2
	s_or_b32 exec_lo, exec_lo, s17
	s_delay_alu instid0(SALU_CYCLE_1)
	s_mov_b32 s17, exec_lo
	v_cmpx_gt_u32_e64 s35, v75
	s_cbranch_execz .LBB223_416
; %bb.415:                              ;   in Loop: Header=BB223_408 Depth=2
	global_load_u8 v94, v[20:21], off offset:32
.LBB223_416:                            ;   in Loop: Header=BB223_408 Depth=2
	s_or_b32 exec_lo, exec_lo, s17
	s_waitcnt vmcnt(3)
	v_dual_mov_b32 v96, 0xff :: v_dual_mov_b32 v95, 0xff
	s_mov_b32 s17, exec_lo
	v_cmpx_gt_u32_e64 s35, v76
	s_cbranch_execz .LBB223_418
; %bb.417:                              ;   in Loop: Header=BB223_408 Depth=2
	global_load_u8 v95, v[20:21], off offset:64
.LBB223_418:                            ;   in Loop: Header=BB223_408 Depth=2
	s_or_b32 exec_lo, exec_lo, s17
	s_delay_alu instid0(SALU_CYCLE_1)
	s_mov_b32 s17, exec_lo
	v_cmpx_gt_u32_e64 s35, v77
	s_cbranch_execz .LBB223_420
; %bb.419:                              ;   in Loop: Header=BB223_408 Depth=2
	global_load_u8 v96, v[20:21], off offset:96
.LBB223_420:                            ;   in Loop: Header=BB223_408 Depth=2
	s_or_b32 exec_lo, exec_lo, s17
	s_waitcnt vmcnt(1)
	v_dual_mov_b32 v98, 0xff :: v_dual_mov_b32 v97, 0xff
	s_mov_b32 s17, exec_lo
	v_cmpx_gt_u32_e64 s35, v78
	s_cbranch_execz .LBB223_422
; %bb.421:                              ;   in Loop: Header=BB223_408 Depth=2
	global_load_u8 v97, v[20:21], off offset:128
.LBB223_422:                            ;   in Loop: Header=BB223_408 Depth=2
	s_or_b32 exec_lo, exec_lo, s17
	s_delay_alu instid0(SALU_CYCLE_1)
	s_mov_b32 s17, exec_lo
	v_cmpx_gt_u32_e64 s35, v79
	s_cbranch_execz .LBB223_424
; %bb.423:                              ;   in Loop: Header=BB223_408 Depth=2
	global_load_u8 v98, v[20:21], off offset:160
.LBB223_424:                            ;   in Loop: Header=BB223_408 Depth=2
	s_or_b32 exec_lo, exec_lo, s17
	s_waitcnt vmcnt(0)
	v_mov_b32_e32 v99, 0xff
	s_mov_b32 s17, exec_lo
	v_cmpx_gt_u32_e64 s35, v80
	s_cbranch_execz .LBB223_426
; %bb.425:                              ;   in Loop: Header=BB223_408 Depth=2
	global_load_u8 v99, v[20:21], off offset:192
.LBB223_426:                            ;   in Loop: Header=BB223_408 Depth=2
	s_or_b32 exec_lo, exec_lo, s17
	v_cmp_gt_u32_e64 s20, s35, v81
	s_sub_i32 s17, s29, s24
	s_movk_i32 s21, 0xff
	s_mov_b64 s[18:19], s[24:25]
	v_mov_b32_e32 v100, s21
	v_mov_b32_e32 v2, s35
	s_and_saveexec_b32 s21, s20
	s_cbranch_execz .LBB223_428
.LBB223_427:                            ;   in Loop: Header=BB223_408 Depth=2
	v_add_co_u32 v20, vcc_lo, v83, s18
	v_add_co_ci_u32_e32 v21, vcc_lo, s19, v84, vcc_lo
	v_mov_b32_e32 v2, s17
	global_load_u8 v100, v[20:21], off
.LBB223_428:                            ;   in Loop: Header=BB223_408 Depth=2
	s_or_b32 exec_lo, exec_lo, s21
	s_waitcnt vmcnt(6)
	v_and_b32_e32 v20, 0xff, v93
	ds_store_b32 v46, v3 offset:1056
	ds_store_2addr_b32 v47, v3, v3 offset0:1 offset1:2
	ds_store_2addr_b32 v47, v3, v3 offset0:3 offset1:4
	;; [unrolled: 1-line block ×4, first 2 shown]
	s_waitcnt vmcnt(0) lgkmcnt(0)
	s_barrier
	v_lshrrev_b32_e32 v20, s49, v20
	buffer_gl0_inv
	; wave barrier
	v_and_b32_e32 v21, s31, v20
	s_delay_alu instid0(VALU_DEP_1)
	v_and_b32_e32 v20, 1, v21
	v_lshlrev_b32_e32 v22, 30, v21
	v_lshlrev_b32_e32 v23, 29, v21
	v_lshlrev_b32_e32 v24, 28, v21
	v_lshlrev_b32_e32 v26, 27, v21
	v_add_co_u32 v20, s17, v20, -1
	s_delay_alu instid0(VALU_DEP_1)
	v_cndmask_b32_e64 v25, 0, 1, s17
	v_not_b32_e32 v102, v22
	v_cmp_gt_i32_e64 s17, 0, v22
	v_not_b32_e32 v22, v23
	v_lshlrev_b32_e32 v27, 26, v21
	v_cmp_ne_u32_e32 vcc_lo, 0, v25
	v_ashrrev_i32_e32 v102, 31, v102
	v_lshlrev_b32_e32 v101, 25, v21
	v_ashrrev_i32_e32 v22, 31, v22
	v_lshlrev_b32_e32 v25, 24, v21
	v_xor_b32_e32 v20, vcc_lo, v20
	v_cmp_gt_i32_e32 vcc_lo, 0, v23
	v_not_b32_e32 v23, v24
	v_xor_b32_e32 v102, s17, v102
	v_cmp_gt_i32_e64 s17, 0, v24
	v_and_b32_e32 v20, exec_lo, v20
	v_not_b32_e32 v24, v26
	v_ashrrev_i32_e32 v23, 31, v23
	v_xor_b32_e32 v22, vcc_lo, v22
	v_cmp_gt_i32_e32 vcc_lo, 0, v26
	v_and_b32_e32 v20, v20, v102
	v_not_b32_e32 v26, v27
	v_ashrrev_i32_e32 v24, 31, v24
	v_xor_b32_e32 v23, s17, v23
	v_cmp_gt_i32_e64 s17, 0, v27
	v_and_b32_e32 v20, v20, v22
	v_not_b32_e32 v22, v101
	v_ashrrev_i32_e32 v26, 31, v26
	v_xor_b32_e32 v24, vcc_lo, v24
	v_cmp_gt_i32_e32 vcc_lo, 0, v101
	v_and_b32_e32 v20, v20, v23
	v_not_b32_e32 v23, v25
	v_ashrrev_i32_e32 v22, 31, v22
	v_xor_b32_e32 v26, s17, v26
	v_cmp_gt_i32_e64 s17, 0, v25
	v_and_b32_e32 v20, v20, v24
	v_ashrrev_i32_e32 v23, 31, v23
	v_xor_b32_e32 v22, vcc_lo, v22
	v_mad_u32_u24 v21, v21, 9, v82
	s_delay_alu instid0(VALU_DEP_4) | instskip(NEXT) | instid1(VALU_DEP_4)
	v_and_b32_e32 v20, v20, v26
	v_xor_b32_e32 v23, s17, v23
	s_delay_alu instid0(VALU_DEP_3) | instskip(NEXT) | instid1(VALU_DEP_3)
	v_lshl_add_u32 v102, v21, 2, 0x420
	v_and_b32_e32 v20, v20, v22
	s_delay_alu instid0(VALU_DEP_1) | instskip(NEXT) | instid1(VALU_DEP_1)
	v_and_b32_e32 v20, v20, v23
	v_mbcnt_lo_u32_b32 v101, v20, 0
	v_cmp_ne_u32_e64 s17, 0, v20
	s_delay_alu instid0(VALU_DEP_2) | instskip(NEXT) | instid1(VALU_DEP_2)
	v_cmp_eq_u32_e32 vcc_lo, 0, v101
	s_and_b32 s18, s17, vcc_lo
	s_delay_alu instid0(SALU_CYCLE_1)
	s_and_saveexec_b32 s17, s18
	s_cbranch_execz .LBB223_430
; %bb.429:                              ;   in Loop: Header=BB223_408 Depth=2
	v_bcnt_u32_b32 v20, v20, 0
	ds_store_b32 v102, v20
.LBB223_430:                            ;   in Loop: Header=BB223_408 Depth=2
	s_or_b32 exec_lo, exec_lo, s17
	v_and_b32_e32 v20, 0xff, v94
	; wave barrier
	s_delay_alu instid0(VALU_DEP_1) | instskip(NEXT) | instid1(VALU_DEP_1)
	v_lshrrev_b32_e32 v20, s49, v20
	v_and_b32_e32 v20, s31, v20
	s_delay_alu instid0(VALU_DEP_1)
	v_and_b32_e32 v21, 1, v20
	v_lshlrev_b32_e32 v22, 30, v20
	v_lshlrev_b32_e32 v23, 29, v20
	;; [unrolled: 1-line block ×4, first 2 shown]
	v_add_co_u32 v21, s17, v21, -1
	s_delay_alu instid0(VALU_DEP_1)
	v_cndmask_b32_e64 v25, 0, 1, s17
	v_not_b32_e32 v104, v22
	v_cmp_gt_i32_e64 s17, 0, v22
	v_not_b32_e32 v22, v23
	v_lshlrev_b32_e32 v27, 26, v20
	v_cmp_ne_u32_e32 vcc_lo, 0, v25
	v_ashrrev_i32_e32 v104, 31, v104
	v_lshlrev_b32_e32 v103, 25, v20
	v_ashrrev_i32_e32 v22, 31, v22
	v_lshlrev_b32_e32 v25, 24, v20
	v_xor_b32_e32 v21, vcc_lo, v21
	v_cmp_gt_i32_e32 vcc_lo, 0, v23
	v_not_b32_e32 v23, v24
	v_xor_b32_e32 v104, s17, v104
	v_cmp_gt_i32_e64 s17, 0, v24
	v_and_b32_e32 v21, exec_lo, v21
	v_not_b32_e32 v24, v26
	v_ashrrev_i32_e32 v23, 31, v23
	v_xor_b32_e32 v22, vcc_lo, v22
	v_cmp_gt_i32_e32 vcc_lo, 0, v26
	v_and_b32_e32 v21, v21, v104
	v_not_b32_e32 v26, v27
	v_ashrrev_i32_e32 v24, 31, v24
	v_xor_b32_e32 v23, s17, v23
	v_cmp_gt_i32_e64 s17, 0, v27
	v_and_b32_e32 v21, v21, v22
	v_not_b32_e32 v22, v103
	v_ashrrev_i32_e32 v26, 31, v26
	v_xor_b32_e32 v24, vcc_lo, v24
	v_cmp_gt_i32_e32 vcc_lo, 0, v103
	v_and_b32_e32 v21, v21, v23
	v_not_b32_e32 v23, v25
	v_ashrrev_i32_e32 v22, 31, v22
	v_xor_b32_e32 v26, s17, v26
	v_mul_u32_u24_e32 v20, 9, v20
	v_and_b32_e32 v21, v21, v24
	v_cmp_gt_i32_e64 s17, 0, v25
	v_ashrrev_i32_e32 v23, 31, v23
	v_xor_b32_e32 v22, vcc_lo, v22
	v_add_lshl_u32 v24, v20, v82, 2
	v_and_b32_e32 v21, v21, v26
	s_delay_alu instid0(VALU_DEP_4) | instskip(SKIP_3) | instid1(VALU_DEP_2)
	v_xor_b32_e32 v20, s17, v23
	ds_load_b32 v103, v24 offset:1056
	v_and_b32_e32 v21, v21, v22
	v_add_nc_u32_e32 v105, 0x420, v24
	; wave barrier
	v_and_b32_e32 v20, v21, v20
	s_delay_alu instid0(VALU_DEP_1) | instskip(SKIP_1) | instid1(VALU_DEP_2)
	v_mbcnt_lo_u32_b32 v104, v20, 0
	v_cmp_ne_u32_e64 s17, 0, v20
	v_cmp_eq_u32_e32 vcc_lo, 0, v104
	s_delay_alu instid0(VALU_DEP_2) | instskip(NEXT) | instid1(SALU_CYCLE_1)
	s_and_b32 s18, s17, vcc_lo
	s_and_saveexec_b32 s17, s18
	s_cbranch_execz .LBB223_432
; %bb.431:                              ;   in Loop: Header=BB223_408 Depth=2
	s_waitcnt lgkmcnt(0)
	v_bcnt_u32_b32 v20, v20, v103
	ds_store_b32 v105, v20
.LBB223_432:                            ;   in Loop: Header=BB223_408 Depth=2
	s_or_b32 exec_lo, exec_lo, s17
	v_and_b32_e32 v20, 0xff, v95
	; wave barrier
	s_delay_alu instid0(VALU_DEP_1) | instskip(NEXT) | instid1(VALU_DEP_1)
	v_lshrrev_b32_e32 v20, s49, v20
	v_and_b32_e32 v20, s31, v20
	s_delay_alu instid0(VALU_DEP_1)
	v_and_b32_e32 v21, 1, v20
	v_lshlrev_b32_e32 v22, 30, v20
	v_lshlrev_b32_e32 v23, 29, v20
	;; [unrolled: 1-line block ×4, first 2 shown]
	v_add_co_u32 v21, s17, v21, -1
	s_delay_alu instid0(VALU_DEP_1)
	v_cndmask_b32_e64 v25, 0, 1, s17
	v_not_b32_e32 v107, v22
	v_cmp_gt_i32_e64 s17, 0, v22
	v_not_b32_e32 v22, v23
	v_lshlrev_b32_e32 v27, 26, v20
	v_cmp_ne_u32_e32 vcc_lo, 0, v25
	v_ashrrev_i32_e32 v107, 31, v107
	v_lshlrev_b32_e32 v106, 25, v20
	v_ashrrev_i32_e32 v22, 31, v22
	v_lshlrev_b32_e32 v25, 24, v20
	v_xor_b32_e32 v21, vcc_lo, v21
	v_cmp_gt_i32_e32 vcc_lo, 0, v23
	v_not_b32_e32 v23, v24
	v_xor_b32_e32 v107, s17, v107
	v_cmp_gt_i32_e64 s17, 0, v24
	v_and_b32_e32 v21, exec_lo, v21
	v_not_b32_e32 v24, v26
	v_ashrrev_i32_e32 v23, 31, v23
	v_xor_b32_e32 v22, vcc_lo, v22
	v_cmp_gt_i32_e32 vcc_lo, 0, v26
	v_and_b32_e32 v21, v21, v107
	v_not_b32_e32 v26, v27
	v_ashrrev_i32_e32 v24, 31, v24
	v_xor_b32_e32 v23, s17, v23
	v_cmp_gt_i32_e64 s17, 0, v27
	v_and_b32_e32 v21, v21, v22
	v_not_b32_e32 v22, v106
	v_ashrrev_i32_e32 v26, 31, v26
	v_xor_b32_e32 v24, vcc_lo, v24
	v_cmp_gt_i32_e32 vcc_lo, 0, v106
	v_and_b32_e32 v21, v21, v23
	v_not_b32_e32 v23, v25
	v_ashrrev_i32_e32 v22, 31, v22
	v_xor_b32_e32 v26, s17, v26
	v_mul_u32_u24_e32 v20, 9, v20
	v_and_b32_e32 v21, v21, v24
	v_cmp_gt_i32_e64 s17, 0, v25
	v_ashrrev_i32_e32 v23, 31, v23
	v_xor_b32_e32 v22, vcc_lo, v22
	v_add_lshl_u32 v24, v20, v82, 2
	v_and_b32_e32 v21, v21, v26
	s_delay_alu instid0(VALU_DEP_4) | instskip(SKIP_3) | instid1(VALU_DEP_2)
	v_xor_b32_e32 v20, s17, v23
	ds_load_b32 v106, v24 offset:1056
	v_and_b32_e32 v21, v21, v22
	v_add_nc_u32_e32 v108, 0x420, v24
	; wave barrier
	v_and_b32_e32 v20, v21, v20
	s_delay_alu instid0(VALU_DEP_1) | instskip(SKIP_1) | instid1(VALU_DEP_2)
	v_mbcnt_lo_u32_b32 v107, v20, 0
	v_cmp_ne_u32_e64 s17, 0, v20
	v_cmp_eq_u32_e32 vcc_lo, 0, v107
	s_delay_alu instid0(VALU_DEP_2) | instskip(NEXT) | instid1(SALU_CYCLE_1)
	s_and_b32 s18, s17, vcc_lo
	s_and_saveexec_b32 s17, s18
	s_cbranch_execz .LBB223_434
; %bb.433:                              ;   in Loop: Header=BB223_408 Depth=2
	s_waitcnt lgkmcnt(0)
	v_bcnt_u32_b32 v20, v20, v106
	ds_store_b32 v108, v20
.LBB223_434:                            ;   in Loop: Header=BB223_408 Depth=2
	s_or_b32 exec_lo, exec_lo, s17
	v_and_b32_e32 v20, 0xff, v96
	; wave barrier
	s_delay_alu instid0(VALU_DEP_1) | instskip(NEXT) | instid1(VALU_DEP_1)
	v_lshrrev_b32_e32 v20, s49, v20
	v_and_b32_e32 v20, s31, v20
	s_delay_alu instid0(VALU_DEP_1)
	v_and_b32_e32 v21, 1, v20
	v_lshlrev_b32_e32 v22, 30, v20
	v_lshlrev_b32_e32 v23, 29, v20
	;; [unrolled: 1-line block ×4, first 2 shown]
	v_add_co_u32 v21, s17, v21, -1
	s_delay_alu instid0(VALU_DEP_1)
	v_cndmask_b32_e64 v25, 0, 1, s17
	v_not_b32_e32 v110, v22
	v_cmp_gt_i32_e64 s17, 0, v22
	v_not_b32_e32 v22, v23
	v_lshlrev_b32_e32 v27, 26, v20
	v_cmp_ne_u32_e32 vcc_lo, 0, v25
	v_ashrrev_i32_e32 v110, 31, v110
	v_lshlrev_b32_e32 v109, 25, v20
	v_ashrrev_i32_e32 v22, 31, v22
	v_lshlrev_b32_e32 v25, 24, v20
	v_xor_b32_e32 v21, vcc_lo, v21
	v_cmp_gt_i32_e32 vcc_lo, 0, v23
	v_not_b32_e32 v23, v24
	v_xor_b32_e32 v110, s17, v110
	v_cmp_gt_i32_e64 s17, 0, v24
	v_and_b32_e32 v21, exec_lo, v21
	v_not_b32_e32 v24, v26
	v_ashrrev_i32_e32 v23, 31, v23
	v_xor_b32_e32 v22, vcc_lo, v22
	v_cmp_gt_i32_e32 vcc_lo, 0, v26
	v_and_b32_e32 v21, v21, v110
	v_not_b32_e32 v26, v27
	v_ashrrev_i32_e32 v24, 31, v24
	v_xor_b32_e32 v23, s17, v23
	v_cmp_gt_i32_e64 s17, 0, v27
	v_and_b32_e32 v21, v21, v22
	v_not_b32_e32 v22, v109
	v_ashrrev_i32_e32 v26, 31, v26
	v_xor_b32_e32 v24, vcc_lo, v24
	v_cmp_gt_i32_e32 vcc_lo, 0, v109
	v_and_b32_e32 v21, v21, v23
	v_not_b32_e32 v23, v25
	v_ashrrev_i32_e32 v22, 31, v22
	v_xor_b32_e32 v26, s17, v26
	v_mul_u32_u24_e32 v20, 9, v20
	v_and_b32_e32 v21, v21, v24
	v_cmp_gt_i32_e64 s17, 0, v25
	v_ashrrev_i32_e32 v23, 31, v23
	v_xor_b32_e32 v22, vcc_lo, v22
	v_add_lshl_u32 v24, v20, v82, 2
	v_and_b32_e32 v21, v21, v26
	s_delay_alu instid0(VALU_DEP_4) | instskip(SKIP_3) | instid1(VALU_DEP_2)
	v_xor_b32_e32 v20, s17, v23
	ds_load_b32 v109, v24 offset:1056
	v_and_b32_e32 v21, v21, v22
	v_add_nc_u32_e32 v111, 0x420, v24
	; wave barrier
	v_and_b32_e32 v20, v21, v20
	s_delay_alu instid0(VALU_DEP_1) | instskip(SKIP_1) | instid1(VALU_DEP_2)
	v_mbcnt_lo_u32_b32 v110, v20, 0
	v_cmp_ne_u32_e64 s17, 0, v20
	v_cmp_eq_u32_e32 vcc_lo, 0, v110
	s_delay_alu instid0(VALU_DEP_2) | instskip(NEXT) | instid1(SALU_CYCLE_1)
	s_and_b32 s18, s17, vcc_lo
	s_and_saveexec_b32 s17, s18
	s_cbranch_execz .LBB223_436
; %bb.435:                              ;   in Loop: Header=BB223_408 Depth=2
	s_waitcnt lgkmcnt(0)
	v_bcnt_u32_b32 v20, v20, v109
	ds_store_b32 v111, v20
.LBB223_436:                            ;   in Loop: Header=BB223_408 Depth=2
	s_or_b32 exec_lo, exec_lo, s17
	v_and_b32_e32 v20, 0xff, v97
	; wave barrier
	s_delay_alu instid0(VALU_DEP_1) | instskip(NEXT) | instid1(VALU_DEP_1)
	v_lshrrev_b32_e32 v20, s49, v20
	v_and_b32_e32 v20, s31, v20
	s_delay_alu instid0(VALU_DEP_1)
	v_and_b32_e32 v21, 1, v20
	v_lshlrev_b32_e32 v22, 30, v20
	v_lshlrev_b32_e32 v23, 29, v20
	;; [unrolled: 1-line block ×4, first 2 shown]
	v_add_co_u32 v21, s17, v21, -1
	s_delay_alu instid0(VALU_DEP_1)
	v_cndmask_b32_e64 v25, 0, 1, s17
	v_not_b32_e32 v113, v22
	v_cmp_gt_i32_e64 s17, 0, v22
	v_not_b32_e32 v22, v23
	v_lshlrev_b32_e32 v27, 26, v20
	v_cmp_ne_u32_e32 vcc_lo, 0, v25
	v_ashrrev_i32_e32 v113, 31, v113
	v_lshlrev_b32_e32 v112, 25, v20
	v_ashrrev_i32_e32 v22, 31, v22
	v_lshlrev_b32_e32 v25, 24, v20
	v_xor_b32_e32 v21, vcc_lo, v21
	v_cmp_gt_i32_e32 vcc_lo, 0, v23
	v_not_b32_e32 v23, v24
	v_xor_b32_e32 v113, s17, v113
	v_cmp_gt_i32_e64 s17, 0, v24
	v_and_b32_e32 v21, exec_lo, v21
	v_not_b32_e32 v24, v26
	v_ashrrev_i32_e32 v23, 31, v23
	v_xor_b32_e32 v22, vcc_lo, v22
	v_cmp_gt_i32_e32 vcc_lo, 0, v26
	v_and_b32_e32 v21, v21, v113
	v_not_b32_e32 v26, v27
	v_ashrrev_i32_e32 v24, 31, v24
	v_xor_b32_e32 v23, s17, v23
	v_cmp_gt_i32_e64 s17, 0, v27
	v_and_b32_e32 v21, v21, v22
	v_not_b32_e32 v22, v112
	v_ashrrev_i32_e32 v26, 31, v26
	v_xor_b32_e32 v24, vcc_lo, v24
	v_cmp_gt_i32_e32 vcc_lo, 0, v112
	v_and_b32_e32 v21, v21, v23
	v_not_b32_e32 v23, v25
	v_ashrrev_i32_e32 v22, 31, v22
	v_xor_b32_e32 v26, s17, v26
	v_mul_u32_u24_e32 v20, 9, v20
	v_and_b32_e32 v21, v21, v24
	v_cmp_gt_i32_e64 s17, 0, v25
	v_ashrrev_i32_e32 v23, 31, v23
	v_xor_b32_e32 v22, vcc_lo, v22
	v_add_lshl_u32 v24, v20, v82, 2
	v_and_b32_e32 v21, v21, v26
	s_delay_alu instid0(VALU_DEP_4) | instskip(SKIP_3) | instid1(VALU_DEP_2)
	v_xor_b32_e32 v20, s17, v23
	ds_load_b32 v112, v24 offset:1056
	v_and_b32_e32 v21, v21, v22
	v_add_nc_u32_e32 v114, 0x420, v24
	; wave barrier
	v_and_b32_e32 v20, v21, v20
	s_delay_alu instid0(VALU_DEP_1) | instskip(SKIP_1) | instid1(VALU_DEP_2)
	v_mbcnt_lo_u32_b32 v113, v20, 0
	v_cmp_ne_u32_e64 s17, 0, v20
	v_cmp_eq_u32_e32 vcc_lo, 0, v113
	s_delay_alu instid0(VALU_DEP_2) | instskip(NEXT) | instid1(SALU_CYCLE_1)
	s_and_b32 s18, s17, vcc_lo
	s_and_saveexec_b32 s17, s18
	s_cbranch_execz .LBB223_438
; %bb.437:                              ;   in Loop: Header=BB223_408 Depth=2
	s_waitcnt lgkmcnt(0)
	v_bcnt_u32_b32 v20, v20, v112
	ds_store_b32 v114, v20
.LBB223_438:                            ;   in Loop: Header=BB223_408 Depth=2
	s_or_b32 exec_lo, exec_lo, s17
	v_and_b32_e32 v20, 0xff, v98
	; wave barrier
	s_delay_alu instid0(VALU_DEP_1) | instskip(NEXT) | instid1(VALU_DEP_1)
	v_lshrrev_b32_e32 v20, s49, v20
	v_and_b32_e32 v20, s31, v20
	s_delay_alu instid0(VALU_DEP_1)
	v_and_b32_e32 v21, 1, v20
	v_lshlrev_b32_e32 v22, 30, v20
	v_lshlrev_b32_e32 v23, 29, v20
	v_lshlrev_b32_e32 v24, 28, v20
	v_lshlrev_b32_e32 v26, 27, v20
	v_add_co_u32 v21, s17, v21, -1
	s_delay_alu instid0(VALU_DEP_1)
	v_cndmask_b32_e64 v25, 0, 1, s17
	v_not_b32_e32 v116, v22
	v_cmp_gt_i32_e64 s17, 0, v22
	v_not_b32_e32 v22, v23
	v_lshlrev_b32_e32 v27, 26, v20
	v_cmp_ne_u32_e32 vcc_lo, 0, v25
	v_ashrrev_i32_e32 v116, 31, v116
	v_lshlrev_b32_e32 v115, 25, v20
	v_ashrrev_i32_e32 v22, 31, v22
	v_lshlrev_b32_e32 v25, 24, v20
	v_xor_b32_e32 v21, vcc_lo, v21
	v_cmp_gt_i32_e32 vcc_lo, 0, v23
	v_not_b32_e32 v23, v24
	v_xor_b32_e32 v116, s17, v116
	v_cmp_gt_i32_e64 s17, 0, v24
	v_and_b32_e32 v21, exec_lo, v21
	v_not_b32_e32 v24, v26
	v_ashrrev_i32_e32 v23, 31, v23
	v_xor_b32_e32 v22, vcc_lo, v22
	v_cmp_gt_i32_e32 vcc_lo, 0, v26
	v_and_b32_e32 v21, v21, v116
	v_not_b32_e32 v26, v27
	v_ashrrev_i32_e32 v24, 31, v24
	v_xor_b32_e32 v23, s17, v23
	v_cmp_gt_i32_e64 s17, 0, v27
	v_and_b32_e32 v21, v21, v22
	v_not_b32_e32 v22, v115
	v_ashrrev_i32_e32 v26, 31, v26
	v_xor_b32_e32 v24, vcc_lo, v24
	v_cmp_gt_i32_e32 vcc_lo, 0, v115
	v_and_b32_e32 v21, v21, v23
	v_not_b32_e32 v23, v25
	v_ashrrev_i32_e32 v22, 31, v22
	v_xor_b32_e32 v26, s17, v26
	v_mul_u32_u24_e32 v20, 9, v20
	v_and_b32_e32 v21, v21, v24
	v_cmp_gt_i32_e64 s17, 0, v25
	v_ashrrev_i32_e32 v23, 31, v23
	v_xor_b32_e32 v22, vcc_lo, v22
	v_add_lshl_u32 v24, v20, v82, 2
	v_and_b32_e32 v21, v21, v26
	s_delay_alu instid0(VALU_DEP_4) | instskip(SKIP_3) | instid1(VALU_DEP_2)
	v_xor_b32_e32 v20, s17, v23
	ds_load_b32 v115, v24 offset:1056
	v_and_b32_e32 v21, v21, v22
	v_add_nc_u32_e32 v117, 0x420, v24
	; wave barrier
	v_and_b32_e32 v20, v21, v20
	s_delay_alu instid0(VALU_DEP_1) | instskip(SKIP_1) | instid1(VALU_DEP_2)
	v_mbcnt_lo_u32_b32 v116, v20, 0
	v_cmp_ne_u32_e64 s17, 0, v20
	v_cmp_eq_u32_e32 vcc_lo, 0, v116
	s_delay_alu instid0(VALU_DEP_2) | instskip(NEXT) | instid1(SALU_CYCLE_1)
	s_and_b32 s18, s17, vcc_lo
	s_and_saveexec_b32 s17, s18
	s_cbranch_execz .LBB223_440
; %bb.439:                              ;   in Loop: Header=BB223_408 Depth=2
	s_waitcnt lgkmcnt(0)
	v_bcnt_u32_b32 v20, v20, v115
	ds_store_b32 v117, v20
.LBB223_440:                            ;   in Loop: Header=BB223_408 Depth=2
	s_or_b32 exec_lo, exec_lo, s17
	v_and_b32_e32 v20, 0xff, v99
	; wave barrier
	s_delay_alu instid0(VALU_DEP_1) | instskip(NEXT) | instid1(VALU_DEP_1)
	v_lshrrev_b32_e32 v20, s49, v20
	v_and_b32_e32 v20, s31, v20
	s_delay_alu instid0(VALU_DEP_1)
	v_and_b32_e32 v21, 1, v20
	v_lshlrev_b32_e32 v22, 30, v20
	v_lshlrev_b32_e32 v23, 29, v20
	;; [unrolled: 1-line block ×4, first 2 shown]
	v_add_co_u32 v21, s17, v21, -1
	s_delay_alu instid0(VALU_DEP_1)
	v_cndmask_b32_e64 v25, 0, 1, s17
	v_not_b32_e32 v119, v22
	v_cmp_gt_i32_e64 s17, 0, v22
	v_not_b32_e32 v22, v23
	v_lshlrev_b32_e32 v27, 26, v20
	v_cmp_ne_u32_e32 vcc_lo, 0, v25
	v_ashrrev_i32_e32 v119, 31, v119
	v_lshlrev_b32_e32 v118, 25, v20
	v_ashrrev_i32_e32 v22, 31, v22
	v_lshlrev_b32_e32 v25, 24, v20
	v_xor_b32_e32 v21, vcc_lo, v21
	v_cmp_gt_i32_e32 vcc_lo, 0, v23
	v_not_b32_e32 v23, v24
	v_xor_b32_e32 v119, s17, v119
	v_cmp_gt_i32_e64 s17, 0, v24
	v_and_b32_e32 v21, exec_lo, v21
	v_not_b32_e32 v24, v26
	v_ashrrev_i32_e32 v23, 31, v23
	v_xor_b32_e32 v22, vcc_lo, v22
	v_cmp_gt_i32_e32 vcc_lo, 0, v26
	v_and_b32_e32 v21, v21, v119
	v_not_b32_e32 v26, v27
	v_ashrrev_i32_e32 v24, 31, v24
	v_xor_b32_e32 v23, s17, v23
	v_cmp_gt_i32_e64 s17, 0, v27
	v_and_b32_e32 v21, v21, v22
	v_not_b32_e32 v22, v118
	v_ashrrev_i32_e32 v26, 31, v26
	v_xor_b32_e32 v24, vcc_lo, v24
	v_cmp_gt_i32_e32 vcc_lo, 0, v118
	v_and_b32_e32 v21, v21, v23
	v_not_b32_e32 v23, v25
	v_ashrrev_i32_e32 v22, 31, v22
	v_xor_b32_e32 v26, s17, v26
	v_mul_u32_u24_e32 v20, 9, v20
	v_and_b32_e32 v21, v21, v24
	v_cmp_gt_i32_e64 s17, 0, v25
	v_ashrrev_i32_e32 v23, 31, v23
	v_xor_b32_e32 v22, vcc_lo, v22
	v_add_lshl_u32 v24, v20, v82, 2
	v_and_b32_e32 v21, v21, v26
	s_delay_alu instid0(VALU_DEP_4) | instskip(SKIP_3) | instid1(VALU_DEP_2)
	v_xor_b32_e32 v20, s17, v23
	ds_load_b32 v118, v24 offset:1056
	v_and_b32_e32 v21, v21, v22
	v_add_nc_u32_e32 v120, 0x420, v24
	; wave barrier
	v_and_b32_e32 v20, v21, v20
	s_delay_alu instid0(VALU_DEP_1) | instskip(SKIP_1) | instid1(VALU_DEP_2)
	v_mbcnt_lo_u32_b32 v119, v20, 0
	v_cmp_ne_u32_e64 s17, 0, v20
	v_cmp_eq_u32_e32 vcc_lo, 0, v119
	s_delay_alu instid0(VALU_DEP_2) | instskip(NEXT) | instid1(SALU_CYCLE_1)
	s_and_b32 s18, s17, vcc_lo
	s_and_saveexec_b32 s17, s18
	s_cbranch_execz .LBB223_442
; %bb.441:                              ;   in Loop: Header=BB223_408 Depth=2
	s_waitcnt lgkmcnt(0)
	v_bcnt_u32_b32 v20, v20, v118
	ds_store_b32 v120, v20
.LBB223_442:                            ;   in Loop: Header=BB223_408 Depth=2
	s_or_b32 exec_lo, exec_lo, s17
	v_and_b32_e32 v20, 0xff, v100
	; wave barrier
	s_delay_alu instid0(VALU_DEP_1) | instskip(NEXT) | instid1(VALU_DEP_1)
	v_lshrrev_b32_e32 v20, s49, v20
	v_and_b32_e32 v20, s31, v20
	s_delay_alu instid0(VALU_DEP_1)
	v_and_b32_e32 v21, 1, v20
	v_lshlrev_b32_e32 v22, 30, v20
	v_lshlrev_b32_e32 v23, 29, v20
	;; [unrolled: 1-line block ×4, first 2 shown]
	v_add_co_u32 v21, s17, v21, -1
	s_delay_alu instid0(VALU_DEP_1)
	v_cndmask_b32_e64 v25, 0, 1, s17
	v_not_b32_e32 v122, v22
	v_cmp_gt_i32_e64 s17, 0, v22
	v_not_b32_e32 v22, v23
	v_lshlrev_b32_e32 v27, 26, v20
	v_cmp_ne_u32_e32 vcc_lo, 0, v25
	v_ashrrev_i32_e32 v122, 31, v122
	v_lshlrev_b32_e32 v121, 25, v20
	v_ashrrev_i32_e32 v22, 31, v22
	v_lshlrev_b32_e32 v25, 24, v20
	v_xor_b32_e32 v21, vcc_lo, v21
	v_cmp_gt_i32_e32 vcc_lo, 0, v23
	v_not_b32_e32 v23, v24
	v_xor_b32_e32 v122, s17, v122
	v_cmp_gt_i32_e64 s17, 0, v24
	v_and_b32_e32 v21, exec_lo, v21
	v_not_b32_e32 v24, v26
	v_ashrrev_i32_e32 v23, 31, v23
	v_xor_b32_e32 v22, vcc_lo, v22
	v_cmp_gt_i32_e32 vcc_lo, 0, v26
	v_and_b32_e32 v21, v21, v122
	v_not_b32_e32 v26, v27
	v_ashrrev_i32_e32 v24, 31, v24
	v_xor_b32_e32 v23, s17, v23
	v_cmp_gt_i32_e64 s17, 0, v27
	v_and_b32_e32 v21, v21, v22
	v_not_b32_e32 v22, v121
	v_ashrrev_i32_e32 v26, 31, v26
	v_xor_b32_e32 v24, vcc_lo, v24
	v_cmp_gt_i32_e32 vcc_lo, 0, v121
	v_and_b32_e32 v21, v21, v23
	v_not_b32_e32 v23, v25
	v_ashrrev_i32_e32 v22, 31, v22
	v_xor_b32_e32 v26, s17, v26
	v_mul_u32_u24_e32 v20, 9, v20
	v_and_b32_e32 v21, v21, v24
	v_cmp_gt_i32_e64 s17, 0, v25
	v_ashrrev_i32_e32 v23, 31, v23
	v_xor_b32_e32 v22, vcc_lo, v22
	v_add_lshl_u32 v24, v20, v82, 2
	v_and_b32_e32 v21, v21, v26
	s_delay_alu instid0(VALU_DEP_4) | instskip(SKIP_3) | instid1(VALU_DEP_2)
	v_xor_b32_e32 v20, s17, v23
	ds_load_b32 v121, v24 offset:1056
	v_and_b32_e32 v21, v21, v22
	v_add_nc_u32_e32 v123, 0x420, v24
	; wave barrier
	v_and_b32_e32 v20, v21, v20
	s_delay_alu instid0(VALU_DEP_1) | instskip(SKIP_1) | instid1(VALU_DEP_2)
	v_mbcnt_lo_u32_b32 v122, v20, 0
	v_cmp_ne_u32_e64 s17, 0, v20
	v_cmp_eq_u32_e32 vcc_lo, 0, v122
	s_delay_alu instid0(VALU_DEP_2) | instskip(NEXT) | instid1(SALU_CYCLE_1)
	s_and_b32 s18, s17, vcc_lo
	s_and_saveexec_b32 s17, s18
	s_cbranch_execz .LBB223_444
; %bb.443:                              ;   in Loop: Header=BB223_408 Depth=2
	s_waitcnt lgkmcnt(0)
	v_bcnt_u32_b32 v20, v20, v121
	ds_store_b32 v123, v20
.LBB223_444:                            ;   in Loop: Header=BB223_408 Depth=2
	s_or_b32 exec_lo, exec_lo, s17
	; wave barrier
	s_waitcnt lgkmcnt(0)
	s_barrier
	buffer_gl0_inv
	ds_load_b32 v124, v46 offset:1056
	ds_load_2addr_b32 v[26:27], v47 offset0:1 offset1:2
	ds_load_2addr_b32 v[24:25], v47 offset0:3 offset1:4
	;; [unrolled: 1-line block ×4, first 2 shown]
	s_waitcnt lgkmcnt(3)
	v_add3_u32 v125, v26, v124, v27
	s_waitcnt lgkmcnt(2)
	s_delay_alu instid0(VALU_DEP_1) | instskip(SKIP_1) | instid1(VALU_DEP_1)
	v_add3_u32 v125, v125, v24, v25
	s_waitcnt lgkmcnt(1)
	v_add3_u32 v125, v125, v20, v21
	s_waitcnt lgkmcnt(0)
	s_delay_alu instid0(VALU_DEP_1) | instskip(NEXT) | instid1(VALU_DEP_1)
	v_add3_u32 v23, v125, v22, v23
	v_mov_b32_dpp v125, v23 row_shr:1 row_mask:0xf bank_mask:0xf
	s_delay_alu instid0(VALU_DEP_1) | instskip(NEXT) | instid1(VALU_DEP_1)
	v_cndmask_b32_e64 v125, v125, 0, s0
	v_add_nc_u32_e32 v23, v125, v23
	s_delay_alu instid0(VALU_DEP_1) | instskip(NEXT) | instid1(VALU_DEP_1)
	v_mov_b32_dpp v125, v23 row_shr:2 row_mask:0xf bank_mask:0xf
	v_cndmask_b32_e64 v125, 0, v125, s1
	s_delay_alu instid0(VALU_DEP_1) | instskip(NEXT) | instid1(VALU_DEP_1)
	v_add_nc_u32_e32 v23, v23, v125
	v_mov_b32_dpp v125, v23 row_shr:4 row_mask:0xf bank_mask:0xf
	s_delay_alu instid0(VALU_DEP_1) | instskip(NEXT) | instid1(VALU_DEP_1)
	v_cndmask_b32_e64 v125, 0, v125, s8
	v_add_nc_u32_e32 v23, v23, v125
	s_delay_alu instid0(VALU_DEP_1) | instskip(NEXT) | instid1(VALU_DEP_1)
	v_mov_b32_dpp v125, v23 row_shr:8 row_mask:0xf bank_mask:0xf
	v_cndmask_b32_e64 v125, 0, v125, s9
	s_delay_alu instid0(VALU_DEP_1) | instskip(SKIP_3) | instid1(VALU_DEP_1)
	v_add_nc_u32_e32 v23, v23, v125
	ds_swizzle_b32 v125, v23 offset:swizzle(BROADCAST,32,15)
	s_waitcnt lgkmcnt(0)
	v_cndmask_b32_e64 v125, v125, 0, s10
	v_add_nc_u32_e32 v23, v23, v125
	s_and_saveexec_b32 s17, s3
	s_cbranch_execz .LBB223_446
; %bb.445:                              ;   in Loop: Header=BB223_408 Depth=2
	ds_store_b32 v38, v23 offset:1024
.LBB223_446:                            ;   in Loop: Header=BB223_408 Depth=2
	s_or_b32 exec_lo, exec_lo, s17
	s_waitcnt lgkmcnt(0)
	s_barrier
	buffer_gl0_inv
	s_and_saveexec_b32 s17, s4
	s_cbranch_execz .LBB223_448
; %bb.447:                              ;   in Loop: Header=BB223_408 Depth=2
	v_add_nc_u32_e32 v125, v46, v48
	ds_load_b32 v126, v125 offset:1024
	s_waitcnt lgkmcnt(0)
	v_mov_b32_dpp v127, v126 row_shr:1 row_mask:0xf bank_mask:0xf
	s_delay_alu instid0(VALU_DEP_1) | instskip(NEXT) | instid1(VALU_DEP_1)
	v_cndmask_b32_e64 v127, v127, 0, s12
	v_add_nc_u32_e32 v126, v127, v126
	s_delay_alu instid0(VALU_DEP_1) | instskip(NEXT) | instid1(VALU_DEP_1)
	v_mov_b32_dpp v127, v126 row_shr:2 row_mask:0xf bank_mask:0xf
	v_cndmask_b32_e64 v127, 0, v127, s13
	s_delay_alu instid0(VALU_DEP_1) | instskip(NEXT) | instid1(VALU_DEP_1)
	v_add_nc_u32_e32 v126, v126, v127
	v_mov_b32_dpp v127, v126 row_shr:4 row_mask:0xf bank_mask:0xf
	s_delay_alu instid0(VALU_DEP_1) | instskip(NEXT) | instid1(VALU_DEP_1)
	v_cndmask_b32_e64 v127, 0, v127, s16
	v_add_nc_u32_e32 v126, v126, v127
	ds_store_b32 v125, v126 offset:1024
.LBB223_448:                            ;   in Loop: Header=BB223_408 Depth=2
	s_or_b32 exec_lo, exec_lo, s17
	v_mov_b32_e32 v125, 0
	s_waitcnt lgkmcnt(0)
	s_barrier
	buffer_gl0_inv
	s_and_saveexec_b32 s17, s5
	s_cbranch_execz .LBB223_450
; %bb.449:                              ;   in Loop: Header=BB223_408 Depth=2
	ds_load_b32 v125, v38 offset:1020
.LBB223_450:                            ;   in Loop: Header=BB223_408 Depth=2
	s_or_b32 exec_lo, exec_lo, s17
	s_waitcnt lgkmcnt(0)
	v_add_nc_u32_e32 v23, v125, v23
	ds_bpermute_b32 v23, v69, v23
	s_waitcnt lgkmcnt(0)
	v_cndmask_b32_e64 v23, v23, v125, s11
	s_delay_alu instid0(VALU_DEP_1) | instskip(NEXT) | instid1(VALU_DEP_1)
	v_cndmask_b32_e64 v23, v23, 0, s6
	v_add_nc_u32_e32 v124, v23, v124
	s_delay_alu instid0(VALU_DEP_1) | instskip(NEXT) | instid1(VALU_DEP_1)
	v_add_nc_u32_e32 v26, v124, v26
	v_add_nc_u32_e32 v27, v26, v27
	s_delay_alu instid0(VALU_DEP_1) | instskip(NEXT) | instid1(VALU_DEP_1)
	v_add_nc_u32_e32 v24, v27, v24
	;; [unrolled: 3-line block ×3, first 2 shown]
	v_add_nc_u32_e32 v21, v20, v21
	s_delay_alu instid0(VALU_DEP_1)
	v_add_nc_u32_e32 v22, v21, v22
	ds_store_b32 v46, v23 offset:1056
	ds_store_2addr_b32 v47, v124, v26 offset0:1 offset1:2
	ds_store_2addr_b32 v47, v27, v24 offset0:3 offset1:4
	;; [unrolled: 1-line block ×4, first 2 shown]
	v_mov_b32_e32 v22, 0x800
	s_waitcnt lgkmcnt(0)
	s_barrier
	buffer_gl0_inv
	ds_load_b32 v20, v105
	ds_load_b32 v21, v108
	ds_load_b32 v23, v111
	ds_load_b32 v24, v114
	ds_load_b32 v25, v117
	ds_load_b32 v108, v120
	ds_load_b32 v111, v123
	ds_load_b32 v26, v102
	ds_load_b32 v27, v46 offset:1056
	s_and_saveexec_b32 s17, s7
	s_cbranch_execz .LBB223_452
; %bb.451:                              ;   in Loop: Header=BB223_408 Depth=2
	ds_load_b32 v22, v49 offset:1056
.LBB223_452:                            ;   in Loop: Header=BB223_408 Depth=2
	s_or_b32 exec_lo, exec_lo, s17
	s_waitcnt lgkmcnt(0)
	s_barrier
	buffer_gl0_inv
	s_and_saveexec_b32 s17, s2
	s_cbranch_execz .LBB223_454
; %bb.453:                              ;   in Loop: Header=BB223_408 Depth=2
	ds_load_b32 v102, v28
	s_waitcnt lgkmcnt(0)
	v_sub_nc_u32_e32 v27, v102, v27
	ds_store_b32 v28, v27
.LBB223_454:                            ;   in Loop: Header=BB223_408 Depth=2
	s_or_b32 exec_lo, exec_lo, s17
	v_add_nc_u32_e32 v105, v26, v101
	v_add3_u32 v102, v104, v103, v20
	v_add3_u32 v101, v107, v106, v21
	;; [unrolled: 1-line block ×7, first 2 shown]
	v_cmp_lt_u32_e64 s23, v1, v2
	ds_store_b8 v105, v93 offset:1024
	ds_store_b8 v102, v94 offset:1024
	;; [unrolled: 1-line block ×8, first 2 shown]
	s_waitcnt lgkmcnt(0)
	s_barrier
	buffer_gl0_inv
	s_and_saveexec_b32 s17, s23
	s_cbranch_execz .LBB223_462
; %bb.455:                              ;   in Loop: Header=BB223_408 Depth=2
	ds_load_u8 v20, v1 offset:1024
	s_waitcnt lgkmcnt(0)
	v_and_b32_e32 v21, 0xff, v20
	s_delay_alu instid0(VALU_DEP_1) | instskip(NEXT) | instid1(VALU_DEP_1)
	v_lshrrev_b32_e32 v21, s49, v21
	v_and_b32_e32 v21, s31, v21
	s_delay_alu instid0(VALU_DEP_1)
	v_lshlrev_b32_e32 v21, 2, v21
	ds_load_b32 v21, v21
	s_waitcnt lgkmcnt(0)
	v_add_nc_u32_e32 v21, v21, v1
	global_store_b8 v21, v20, s[38:39]
	s_or_b32 exec_lo, exec_lo, s17
	v_cmp_lt_u32_e64 s22, v29, v2
	s_delay_alu instid0(VALU_DEP_1)
	s_and_saveexec_b32 s17, s22
	s_cbranch_execnz .LBB223_463
.LBB223_456:                            ;   in Loop: Header=BB223_408 Depth=2
	s_or_b32 exec_lo, exec_lo, s17
	v_cmp_lt_u32_e64 s21, v30, v2
	s_delay_alu instid0(VALU_DEP_1)
	s_and_saveexec_b32 s17, s21
	s_cbranch_execz .LBB223_464
.LBB223_457:                            ;   in Loop: Header=BB223_408 Depth=2
	ds_load_u8 v20, v35 offset:512
	s_waitcnt lgkmcnt(0)
	v_and_b32_e32 v21, 0xff, v20
	s_delay_alu instid0(VALU_DEP_1) | instskip(NEXT) | instid1(VALU_DEP_1)
	v_lshrrev_b32_e32 v21, s49, v21
	v_and_b32_e32 v21, s31, v21
	s_delay_alu instid0(VALU_DEP_1)
	v_lshlrev_b32_e32 v21, 2, v21
	ds_load_b32 v21, v21
	s_waitcnt lgkmcnt(0)
	v_add_nc_u32_e32 v21, v21, v30
	global_store_b8 v21, v20, s[38:39]
	s_or_b32 exec_lo, exec_lo, s17
	v_cmp_lt_u32_e64 s20, v31, v2
	s_delay_alu instid0(VALU_DEP_1)
	s_and_saveexec_b32 s17, s20
	s_cbranch_execnz .LBB223_465
.LBB223_458:                            ;   in Loop: Header=BB223_408 Depth=2
	s_or_b32 exec_lo, exec_lo, s17
	v_cmp_lt_u32_e64 s19, v35, v2
	s_delay_alu instid0(VALU_DEP_1)
	s_and_saveexec_b32 s17, s19
	s_cbranch_execz .LBB223_466
.LBB223_459:                            ;   in Loop: Header=BB223_408 Depth=2
	ds_load_u8 v20, v35 offset:1024
	s_waitcnt lgkmcnt(0)
	v_and_b32_e32 v21, 0xff, v20
	s_delay_alu instid0(VALU_DEP_1) | instskip(NEXT) | instid1(VALU_DEP_1)
	v_lshrrev_b32_e32 v21, s49, v21
	v_and_b32_e32 v21, s31, v21
	s_delay_alu instid0(VALU_DEP_1)
	v_lshlrev_b32_e32 v21, 2, v21
	ds_load_b32 v21, v21
	s_waitcnt lgkmcnt(0)
	v_add_nc_u32_e32 v21, v21, v35
	global_store_b8 v21, v20, s[38:39]
	s_or_b32 exec_lo, exec_lo, s17
	v_cmp_lt_u32_e64 s18, v36, v2
	s_delay_alu instid0(VALU_DEP_1)
	s_and_saveexec_b32 s17, s18
	s_cbranch_execnz .LBB223_467
.LBB223_460:                            ;   in Loop: Header=BB223_408 Depth=2
	s_or_b32 exec_lo, exec_lo, s17
	v_cmp_lt_u32_e64 s17, v37, v2
	s_delay_alu instid0(VALU_DEP_1)
	s_and_saveexec_b32 s43, s17
	s_cbranch_execz .LBB223_468
.LBB223_461:                            ;   in Loop: Header=BB223_408 Depth=2
	ds_load_u8 v20, v35 offset:1536
	s_waitcnt lgkmcnt(0)
	v_and_b32_e32 v21, 0xff, v20
	s_delay_alu instid0(VALU_DEP_1) | instskip(NEXT) | instid1(VALU_DEP_1)
	v_lshrrev_b32_e32 v21, s49, v21
	v_and_b32_e32 v21, s31, v21
	s_delay_alu instid0(VALU_DEP_1)
	v_lshlrev_b32_e32 v21, 2, v21
	ds_load_b32 v21, v21
	s_waitcnt lgkmcnt(0)
	v_add_nc_u32_e32 v21, v21, v37
	global_store_b8 v21, v20, s[38:39]
	s_or_b32 exec_lo, exec_lo, s43
	v_cmp_lt_u32_e32 vcc_lo, v39, v2
	s_and_saveexec_b32 s43, vcc_lo
	s_cbranch_execnz .LBB223_469
	s_branch .LBB223_470
.LBB223_462:                            ;   in Loop: Header=BB223_408 Depth=2
	s_or_b32 exec_lo, exec_lo, s17
	v_cmp_lt_u32_e64 s22, v29, v2
	s_delay_alu instid0(VALU_DEP_1)
	s_and_saveexec_b32 s17, s22
	s_cbranch_execz .LBB223_456
.LBB223_463:                            ;   in Loop: Header=BB223_408 Depth=2
	ds_load_u8 v20, v35 offset:256
	s_waitcnt lgkmcnt(0)
	v_and_b32_e32 v21, 0xff, v20
	s_delay_alu instid0(VALU_DEP_1) | instskip(NEXT) | instid1(VALU_DEP_1)
	v_lshrrev_b32_e32 v21, s49, v21
	v_and_b32_e32 v21, s31, v21
	s_delay_alu instid0(VALU_DEP_1)
	v_lshlrev_b32_e32 v21, 2, v21
	ds_load_b32 v21, v21
	s_waitcnt lgkmcnt(0)
	v_add_nc_u32_e32 v21, v21, v29
	global_store_b8 v21, v20, s[38:39]
	s_or_b32 exec_lo, exec_lo, s17
	v_cmp_lt_u32_e64 s21, v30, v2
	s_delay_alu instid0(VALU_DEP_1)
	s_and_saveexec_b32 s17, s21
	s_cbranch_execnz .LBB223_457
.LBB223_464:                            ;   in Loop: Header=BB223_408 Depth=2
	s_or_b32 exec_lo, exec_lo, s17
	v_cmp_lt_u32_e64 s20, v31, v2
	s_delay_alu instid0(VALU_DEP_1)
	s_and_saveexec_b32 s17, s20
	s_cbranch_execz .LBB223_458
.LBB223_465:                            ;   in Loop: Header=BB223_408 Depth=2
	ds_load_u8 v20, v35 offset:768
	s_waitcnt lgkmcnt(0)
	v_and_b32_e32 v21, 0xff, v20
	s_delay_alu instid0(VALU_DEP_1) | instskip(NEXT) | instid1(VALU_DEP_1)
	v_lshrrev_b32_e32 v21, s49, v21
	v_and_b32_e32 v21, s31, v21
	s_delay_alu instid0(VALU_DEP_1)
	v_lshlrev_b32_e32 v21, 2, v21
	ds_load_b32 v21, v21
	s_waitcnt lgkmcnt(0)
	v_add_nc_u32_e32 v21, v21, v31
	global_store_b8 v21, v20, s[38:39]
	s_or_b32 exec_lo, exec_lo, s17
	v_cmp_lt_u32_e64 s19, v35, v2
	s_delay_alu instid0(VALU_DEP_1)
	s_and_saveexec_b32 s17, s19
	s_cbranch_execnz .LBB223_459
.LBB223_466:                            ;   in Loop: Header=BB223_408 Depth=2
	s_or_b32 exec_lo, exec_lo, s17
	v_cmp_lt_u32_e64 s18, v36, v2
	s_delay_alu instid0(VALU_DEP_1)
	s_and_saveexec_b32 s17, s18
	s_cbranch_execz .LBB223_460
.LBB223_467:                            ;   in Loop: Header=BB223_408 Depth=2
	ds_load_u8 v20, v35 offset:1280
	s_waitcnt lgkmcnt(0)
	v_and_b32_e32 v21, 0xff, v20
	s_delay_alu instid0(VALU_DEP_1) | instskip(NEXT) | instid1(VALU_DEP_1)
	v_lshrrev_b32_e32 v21, s49, v21
	v_and_b32_e32 v21, s31, v21
	s_delay_alu instid0(VALU_DEP_1)
	v_lshlrev_b32_e32 v21, 2, v21
	ds_load_b32 v21, v21
	s_waitcnt lgkmcnt(0)
	v_add_nc_u32_e32 v21, v21, v36
	global_store_b8 v21, v20, s[38:39]
	s_or_b32 exec_lo, exec_lo, s17
	v_cmp_lt_u32_e64 s17, v37, v2
	s_delay_alu instid0(VALU_DEP_1)
	s_and_saveexec_b32 s43, s17
	s_cbranch_execnz .LBB223_461
.LBB223_468:                            ;   in Loop: Header=BB223_408 Depth=2
	s_or_b32 exec_lo, exec_lo, s43
	v_cmp_lt_u32_e32 vcc_lo, v39, v2
	s_and_saveexec_b32 s43, vcc_lo
	s_cbranch_execz .LBB223_470
.LBB223_469:                            ;   in Loop: Header=BB223_408 Depth=2
	ds_load_u8 v20, v35 offset:1792
	s_waitcnt lgkmcnt(0)
	v_and_b32_e32 v21, 0xff, v20
	s_delay_alu instid0(VALU_DEP_1) | instskip(NEXT) | instid1(VALU_DEP_1)
	v_lshrrev_b32_e32 v21, s49, v21
	v_and_b32_e32 v21, s31, v21
	s_delay_alu instid0(VALU_DEP_1)
	v_lshlrev_b32_e32 v21, 2, v21
	ds_load_b32 v21, v21
	s_waitcnt lgkmcnt(0)
	v_add_nc_u32_e32 v21, v21, v39
	global_store_b8 v21, v20, s[38:39]
.LBB223_470:                            ;   in Loop: Header=BB223_408 Depth=2
	s_or_b32 exec_lo, exec_lo, s43
	s_lshl_b64 s[52:53], s[24:25], 3
	s_delay_alu instid0(SALU_CYCLE_1) | instskip(NEXT) | instid1(VALU_DEP_1)
	v_add_co_u32 v20, s24, v73, s52
	v_add_co_ci_u32_e64 v21, s24, s53, v74, s24
	v_cmp_lt_u32_e64 s24, v70, v2
	s_delay_alu instid0(VALU_DEP_1) | instskip(NEXT) | instid1(SALU_CYCLE_1)
	s_and_saveexec_b32 s43, s24
	s_xor_b32 s24, exec_lo, s43
	s_cbranch_execz .LBB223_486
; %bb.471:                              ;   in Loop: Header=BB223_408 Depth=2
	global_load_b64 v[18:19], v[20:21], off
	s_or_b32 exec_lo, exec_lo, s24
	s_delay_alu instid0(SALU_CYCLE_1)
	s_mov_b32 s43, exec_lo
	v_cmpx_lt_u32_e64 v75, v2
	s_cbranch_execnz .LBB223_487
.LBB223_472:                            ;   in Loop: Header=BB223_408 Depth=2
	s_or_b32 exec_lo, exec_lo, s43
	s_delay_alu instid0(SALU_CYCLE_1)
	s_mov_b32 s43, exec_lo
	v_cmpx_lt_u32_e64 v76, v2
	s_cbranch_execz .LBB223_488
.LBB223_473:                            ;   in Loop: Header=BB223_408 Depth=2
	global_load_b64 v[14:15], v[20:21], off offset:512
	s_or_b32 exec_lo, exec_lo, s43
	s_delay_alu instid0(SALU_CYCLE_1)
	s_mov_b32 s43, exec_lo
	v_cmpx_lt_u32_e64 v77, v2
	s_cbranch_execnz .LBB223_489
.LBB223_474:                            ;   in Loop: Header=BB223_408 Depth=2
	s_or_b32 exec_lo, exec_lo, s43
	s_delay_alu instid0(SALU_CYCLE_1)
	s_mov_b32 s43, exec_lo
	v_cmpx_lt_u32_e64 v78, v2
	s_cbranch_execz .LBB223_490
.LBB223_475:                            ;   in Loop: Header=BB223_408 Depth=2
	global_load_b64 v[10:11], v[20:21], off offset:1024
	s_or_b32 exec_lo, exec_lo, s43
	s_delay_alu instid0(SALU_CYCLE_1)
	s_mov_b32 s43, exec_lo
	v_cmpx_lt_u32_e64 v79, v2
	s_cbranch_execnz .LBB223_491
.LBB223_476:                            ;   in Loop: Header=BB223_408 Depth=2
	s_or_b32 exec_lo, exec_lo, s43
	s_delay_alu instid0(SALU_CYCLE_1)
	s_mov_b32 s43, exec_lo
	v_cmpx_lt_u32_e64 v80, v2
	s_cbranch_execz .LBB223_492
.LBB223_477:                            ;   in Loop: Header=BB223_408 Depth=2
	global_load_b64 v[6:7], v[20:21], off offset:1536
	s_or_b32 exec_lo, exec_lo, s43
	s_delay_alu instid0(SALU_CYCLE_1)
	s_mov_b32 s43, exec_lo
	v_cmpx_lt_u32_e64 v81, v2
	s_cbranch_execnz .LBB223_493
.LBB223_478:                            ;   in Loop: Header=BB223_408 Depth=2
	s_or_b32 exec_lo, exec_lo, s43
	s_and_saveexec_b32 s24, s23
	s_cbranch_execz .LBB223_494
.LBB223_479:                            ;   in Loop: Header=BB223_408 Depth=2
	ds_load_u8 v2, v1 offset:1024
	s_waitcnt lgkmcnt(0)
	v_lshrrev_b32_e32 v2, s49, v2
	s_delay_alu instid0(VALU_DEP_1)
	v_and_b32_e32 v92, s31, v2
	s_or_b32 exec_lo, exec_lo, s24
	s_and_saveexec_b32 s24, s22
	s_cbranch_execnz .LBB223_495
.LBB223_480:                            ;   in Loop: Header=BB223_408 Depth=2
	s_or_b32 exec_lo, exec_lo, s24
	s_and_saveexec_b32 s24, s21
	s_cbranch_execz .LBB223_496
.LBB223_481:                            ;   in Loop: Header=BB223_408 Depth=2
	ds_load_u8 v2, v35 offset:512
	s_waitcnt lgkmcnt(0)
	v_lshrrev_b32_e32 v2, s49, v2
	s_delay_alu instid0(VALU_DEP_1)
	v_and_b32_e32 v90, s31, v2
	s_or_b32 exec_lo, exec_lo, s24
	s_and_saveexec_b32 s24, s20
	s_cbranch_execnz .LBB223_497
.LBB223_482:                            ;   in Loop: Header=BB223_408 Depth=2
	s_or_b32 exec_lo, exec_lo, s24
	s_and_saveexec_b32 s24, s19
	s_cbranch_execz .LBB223_498
.LBB223_483:                            ;   in Loop: Header=BB223_408 Depth=2
	ds_load_u8 v2, v35 offset:1024
	s_waitcnt lgkmcnt(0)
	v_lshrrev_b32_e32 v2, s49, v2
	s_delay_alu instid0(VALU_DEP_1)
	v_and_b32_e32 v88, s31, v2
	s_or_b32 exec_lo, exec_lo, s24
	s_and_saveexec_b32 s24, s18
	s_cbranch_execnz .LBB223_499
.LBB223_484:                            ;   in Loop: Header=BB223_408 Depth=2
	s_or_b32 exec_lo, exec_lo, s24
	s_and_saveexec_b32 s24, s17
	s_cbranch_execz .LBB223_500
.LBB223_485:                            ;   in Loop: Header=BB223_408 Depth=2
	ds_load_u8 v2, v35 offset:1536
	s_waitcnt lgkmcnt(0)
	v_lshrrev_b32_e32 v2, s49, v2
	s_delay_alu instid0(VALU_DEP_1)
	v_and_b32_e32 v86, s31, v2
	s_or_b32 exec_lo, exec_lo, s24
	s_and_saveexec_b32 s24, vcc_lo
	s_cbranch_execnz .LBB223_501
	s_branch .LBB223_502
.LBB223_486:                            ;   in Loop: Header=BB223_408 Depth=2
	s_or_b32 exec_lo, exec_lo, s24
	s_delay_alu instid0(SALU_CYCLE_1)
	s_mov_b32 s43, exec_lo
	v_cmpx_lt_u32_e64 v75, v2
	s_cbranch_execz .LBB223_472
.LBB223_487:                            ;   in Loop: Header=BB223_408 Depth=2
	global_load_b64 v[16:17], v[20:21], off offset:256
	s_or_b32 exec_lo, exec_lo, s43
	s_delay_alu instid0(SALU_CYCLE_1)
	s_mov_b32 s43, exec_lo
	v_cmpx_lt_u32_e64 v76, v2
	s_cbranch_execnz .LBB223_473
.LBB223_488:                            ;   in Loop: Header=BB223_408 Depth=2
	s_or_b32 exec_lo, exec_lo, s43
	s_delay_alu instid0(SALU_CYCLE_1)
	s_mov_b32 s43, exec_lo
	v_cmpx_lt_u32_e64 v77, v2
	s_cbranch_execz .LBB223_474
.LBB223_489:                            ;   in Loop: Header=BB223_408 Depth=2
	global_load_b64 v[12:13], v[20:21], off offset:768
	s_or_b32 exec_lo, exec_lo, s43
	s_delay_alu instid0(SALU_CYCLE_1)
	s_mov_b32 s43, exec_lo
	v_cmpx_lt_u32_e64 v78, v2
	s_cbranch_execnz .LBB223_475
.LBB223_490:                            ;   in Loop: Header=BB223_408 Depth=2
	s_or_b32 exec_lo, exec_lo, s43
	s_delay_alu instid0(SALU_CYCLE_1)
	s_mov_b32 s43, exec_lo
	v_cmpx_lt_u32_e64 v79, v2
	s_cbranch_execz .LBB223_476
.LBB223_491:                            ;   in Loop: Header=BB223_408 Depth=2
	global_load_b64 v[8:9], v[20:21], off offset:1280
	s_or_b32 exec_lo, exec_lo, s43
	s_delay_alu instid0(SALU_CYCLE_1)
	s_mov_b32 s43, exec_lo
	v_cmpx_lt_u32_e64 v80, v2
	s_cbranch_execnz .LBB223_477
.LBB223_492:                            ;   in Loop: Header=BB223_408 Depth=2
	s_or_b32 exec_lo, exec_lo, s43
	s_delay_alu instid0(SALU_CYCLE_1)
	s_mov_b32 s43, exec_lo
	v_cmpx_lt_u32_e64 v81, v2
	s_cbranch_execz .LBB223_478
.LBB223_493:                            ;   in Loop: Header=BB223_408 Depth=2
	global_load_b64 v[4:5], v[20:21], off offset:1792
	s_or_b32 exec_lo, exec_lo, s43
	s_and_saveexec_b32 s24, s23
	s_cbranch_execnz .LBB223_479
.LBB223_494:                            ;   in Loop: Header=BB223_408 Depth=2
	s_or_b32 exec_lo, exec_lo, s24
	s_and_saveexec_b32 s24, s22
	s_cbranch_execz .LBB223_480
.LBB223_495:                            ;   in Loop: Header=BB223_408 Depth=2
	ds_load_u8 v2, v35 offset:256
	s_waitcnt lgkmcnt(0)
	v_lshrrev_b32_e32 v2, s49, v2
	s_delay_alu instid0(VALU_DEP_1)
	v_and_b32_e32 v91, s31, v2
	s_or_b32 exec_lo, exec_lo, s24
	s_and_saveexec_b32 s24, s21
	s_cbranch_execnz .LBB223_481
.LBB223_496:                            ;   in Loop: Header=BB223_408 Depth=2
	s_or_b32 exec_lo, exec_lo, s24
	s_and_saveexec_b32 s24, s20
	s_cbranch_execz .LBB223_482
.LBB223_497:                            ;   in Loop: Header=BB223_408 Depth=2
	ds_load_u8 v2, v35 offset:768
	s_waitcnt lgkmcnt(0)
	v_lshrrev_b32_e32 v2, s49, v2
	s_delay_alu instid0(VALU_DEP_1)
	v_and_b32_e32 v89, s31, v2
	s_or_b32 exec_lo, exec_lo, s24
	s_and_saveexec_b32 s24, s19
	s_cbranch_execnz .LBB223_483
.LBB223_498:                            ;   in Loop: Header=BB223_408 Depth=2
	s_or_b32 exec_lo, exec_lo, s24
	s_and_saveexec_b32 s24, s18
	s_cbranch_execz .LBB223_484
.LBB223_499:                            ;   in Loop: Header=BB223_408 Depth=2
	ds_load_u8 v2, v35 offset:1280
	s_waitcnt lgkmcnt(0)
	v_lshrrev_b32_e32 v2, s49, v2
	s_delay_alu instid0(VALU_DEP_1)
	v_and_b32_e32 v87, s31, v2
	s_or_b32 exec_lo, exec_lo, s24
	s_and_saveexec_b32 s24, s17
	s_cbranch_execnz .LBB223_485
.LBB223_500:                            ;   in Loop: Header=BB223_408 Depth=2
	s_or_b32 exec_lo, exec_lo, s24
	s_and_saveexec_b32 s24, vcc_lo
	s_cbranch_execz .LBB223_502
.LBB223_501:                            ;   in Loop: Header=BB223_408 Depth=2
	ds_load_u8 v2, v35 offset:1792
	s_waitcnt lgkmcnt(0)
	v_lshrrev_b32_e32 v2, s49, v2
	s_delay_alu instid0(VALU_DEP_1)
	v_and_b32_e32 v85, s31, v2
.LBB223_502:                            ;   in Loop: Header=BB223_408 Depth=2
	s_or_b32 exec_lo, exec_lo, s24
	v_lshlrev_b32_e32 v2, 3, v105
	v_lshlrev_b32_e32 v20, 3, v102
	;; [unrolled: 1-line block ×3, first 2 shown]
	s_waitcnt vmcnt(0)
	s_waitcnt_vscnt null, 0x0
	s_barrier
	buffer_gl0_inv
	ds_store_b64 v2, v[18:19] offset:1024
	ds_store_b64 v20, v[16:17] offset:1024
	ds_store_b64 v21, v[14:15] offset:1024
	v_lshlrev_b32_e32 v2, 3, v27
	v_lshlrev_b32_e32 v20, 3, v26
	;; [unrolled: 1-line block ×5, first 2 shown]
	ds_store_b64 v2, v[12:13] offset:1024
	ds_store_b64 v20, v[10:11] offset:1024
	;; [unrolled: 1-line block ×5, first 2 shown]
	s_waitcnt lgkmcnt(0)
	s_barrier
	buffer_gl0_inv
	s_and_saveexec_b32 s24, s23
	s_cbranch_execz .LBB223_510
; %bb.503:                              ;   in Loop: Header=BB223_408 Depth=2
	v_lshlrev_b32_e32 v2, 2, v92
	v_add_nc_u32_e32 v20, v1, v52
	ds_load_b32 v2, v2
	ds_load_b64 v[20:21], v20 offset:1024
	s_waitcnt lgkmcnt(1)
	v_add_nc_u32_e32 v2, v2, v1
	s_delay_alu instid0(VALU_DEP_1) | instskip(NEXT) | instid1(VALU_DEP_1)
	v_lshlrev_b64 v[23:24], 3, v[2:3]
	v_add_co_u32 v23, s23, s44, v23
	s_delay_alu instid0(VALU_DEP_1)
	v_add_co_ci_u32_e64 v24, s23, s45, v24, s23
	s_waitcnt lgkmcnt(0)
	global_store_b64 v[23:24], v[20:21], off
	s_or_b32 exec_lo, exec_lo, s24
	s_and_saveexec_b32 s23, s22
	s_cbranch_execnz .LBB223_511
.LBB223_504:                            ;   in Loop: Header=BB223_408 Depth=2
	s_or_b32 exec_lo, exec_lo, s23
	s_and_saveexec_b32 s22, s21
	s_cbranch_execz .LBB223_512
.LBB223_505:                            ;   in Loop: Header=BB223_408 Depth=2
	v_lshlrev_b32_e32 v2, 2, v90
	v_add_nc_u32_e32 v20, v35, v52
	ds_load_b32 v2, v2
	ds_load_b64 v[20:21], v20 offset:4096
	s_waitcnt lgkmcnt(1)
	v_add_nc_u32_e32 v2, v2, v30
	s_delay_alu instid0(VALU_DEP_1) | instskip(NEXT) | instid1(VALU_DEP_1)
	v_lshlrev_b64 v[23:24], 3, v[2:3]
	v_add_co_u32 v23, s21, s44, v23
	s_delay_alu instid0(VALU_DEP_1)
	v_add_co_ci_u32_e64 v24, s21, s45, v24, s21
	s_waitcnt lgkmcnt(0)
	global_store_b64 v[23:24], v[20:21], off
	s_or_b32 exec_lo, exec_lo, s22
	s_and_saveexec_b32 s21, s20
	s_cbranch_execnz .LBB223_513
.LBB223_506:                            ;   in Loop: Header=BB223_408 Depth=2
	s_or_b32 exec_lo, exec_lo, s21
	s_and_saveexec_b32 s20, s19
	s_cbranch_execz .LBB223_514
.LBB223_507:                            ;   in Loop: Header=BB223_408 Depth=2
	v_lshlrev_b32_e32 v2, 2, v88
	v_add_nc_u32_e32 v20, v35, v52
	ds_load_b32 v2, v2
	ds_load_b64 v[20:21], v20 offset:8192
	s_waitcnt lgkmcnt(1)
	v_add_nc_u32_e32 v2, v2, v35
	s_delay_alu instid0(VALU_DEP_1) | instskip(NEXT) | instid1(VALU_DEP_1)
	v_lshlrev_b64 v[23:24], 3, v[2:3]
	v_add_co_u32 v23, s19, s44, v23
	s_delay_alu instid0(VALU_DEP_1)
	v_add_co_ci_u32_e64 v24, s19, s45, v24, s19
	s_waitcnt lgkmcnt(0)
	global_store_b64 v[23:24], v[20:21], off
	s_or_b32 exec_lo, exec_lo, s20
	s_and_saveexec_b32 s19, s18
	s_cbranch_execnz .LBB223_515
.LBB223_508:                            ;   in Loop: Header=BB223_408 Depth=2
	s_or_b32 exec_lo, exec_lo, s19
	s_and_saveexec_b32 s18, s17
	s_cbranch_execz .LBB223_516
.LBB223_509:                            ;   in Loop: Header=BB223_408 Depth=2
	v_lshlrev_b32_e32 v2, 2, v86
	v_add_nc_u32_e32 v20, v35, v52
	ds_load_b32 v2, v2
	ds_load_b64 v[20:21], v20 offset:12288
	s_waitcnt lgkmcnt(1)
	v_add_nc_u32_e32 v2, v2, v37
	s_delay_alu instid0(VALU_DEP_1) | instskip(NEXT) | instid1(VALU_DEP_1)
	v_lshlrev_b64 v[23:24], 3, v[2:3]
	v_add_co_u32 v23, s17, s44, v23
	s_delay_alu instid0(VALU_DEP_1)
	v_add_co_ci_u32_e64 v24, s17, s45, v24, s17
	s_waitcnt lgkmcnt(0)
	global_store_b64 v[23:24], v[20:21], off
	s_or_b32 exec_lo, exec_lo, s18
	s_and_saveexec_b32 s17, vcc_lo
	s_cbranch_execnz .LBB223_517
	s_branch .LBB223_518
.LBB223_510:                            ;   in Loop: Header=BB223_408 Depth=2
	s_or_b32 exec_lo, exec_lo, s24
	s_and_saveexec_b32 s23, s22
	s_cbranch_execz .LBB223_504
.LBB223_511:                            ;   in Loop: Header=BB223_408 Depth=2
	v_lshlrev_b32_e32 v2, 2, v91
	v_add_nc_u32_e32 v20, v35, v52
	ds_load_b32 v2, v2
	ds_load_b64 v[20:21], v20 offset:2048
	s_waitcnt lgkmcnt(1)
	v_add_nc_u32_e32 v2, v2, v29
	s_delay_alu instid0(VALU_DEP_1) | instskip(NEXT) | instid1(VALU_DEP_1)
	v_lshlrev_b64 v[23:24], 3, v[2:3]
	v_add_co_u32 v23, s22, s44, v23
	s_delay_alu instid0(VALU_DEP_1)
	v_add_co_ci_u32_e64 v24, s22, s45, v24, s22
	s_waitcnt lgkmcnt(0)
	global_store_b64 v[23:24], v[20:21], off
	s_or_b32 exec_lo, exec_lo, s23
	s_and_saveexec_b32 s22, s21
	s_cbranch_execnz .LBB223_505
.LBB223_512:                            ;   in Loop: Header=BB223_408 Depth=2
	s_or_b32 exec_lo, exec_lo, s22
	s_and_saveexec_b32 s21, s20
	s_cbranch_execz .LBB223_506
.LBB223_513:                            ;   in Loop: Header=BB223_408 Depth=2
	v_lshlrev_b32_e32 v2, 2, v89
	v_add_nc_u32_e32 v20, v35, v52
	ds_load_b32 v2, v2
	ds_load_b64 v[20:21], v20 offset:6144
	s_waitcnt lgkmcnt(1)
	v_add_nc_u32_e32 v2, v2, v31
	s_delay_alu instid0(VALU_DEP_1) | instskip(NEXT) | instid1(VALU_DEP_1)
	v_lshlrev_b64 v[23:24], 3, v[2:3]
	v_add_co_u32 v23, s20, s44, v23
	s_delay_alu instid0(VALU_DEP_1)
	v_add_co_ci_u32_e64 v24, s20, s45, v24, s20
	s_waitcnt lgkmcnt(0)
	global_store_b64 v[23:24], v[20:21], off
	s_or_b32 exec_lo, exec_lo, s21
	s_and_saveexec_b32 s20, s19
	s_cbranch_execnz .LBB223_507
.LBB223_514:                            ;   in Loop: Header=BB223_408 Depth=2
	s_or_b32 exec_lo, exec_lo, s20
	s_and_saveexec_b32 s19, s18
	s_cbranch_execz .LBB223_508
.LBB223_515:                            ;   in Loop: Header=BB223_408 Depth=2
	v_lshlrev_b32_e32 v2, 2, v87
	v_add_nc_u32_e32 v20, v35, v52
	ds_load_b32 v2, v2
	ds_load_b64 v[20:21], v20 offset:10240
	s_waitcnt lgkmcnt(1)
	v_add_nc_u32_e32 v2, v2, v36
	s_delay_alu instid0(VALU_DEP_1) | instskip(NEXT) | instid1(VALU_DEP_1)
	v_lshlrev_b64 v[23:24], 3, v[2:3]
	v_add_co_u32 v23, s18, s44, v23
	s_delay_alu instid0(VALU_DEP_1)
	v_add_co_ci_u32_e64 v24, s18, s45, v24, s18
	s_waitcnt lgkmcnt(0)
	global_store_b64 v[23:24], v[20:21], off
	s_or_b32 exec_lo, exec_lo, s19
	s_and_saveexec_b32 s18, s17
	s_cbranch_execnz .LBB223_509
.LBB223_516:                            ;   in Loop: Header=BB223_408 Depth=2
	s_or_b32 exec_lo, exec_lo, s18
	s_and_saveexec_b32 s17, vcc_lo
	s_cbranch_execz .LBB223_518
.LBB223_517:                            ;   in Loop: Header=BB223_408 Depth=2
	v_lshlrev_b32_e32 v2, 2, v85
	v_add_nc_u32_e32 v20, v35, v52
	ds_load_b32 v2, v2
	ds_load_b64 v[20:21], v20 offset:14336
	s_waitcnt lgkmcnt(1)
	v_add_nc_u32_e32 v2, v2, v39
	s_delay_alu instid0(VALU_DEP_1) | instskip(NEXT) | instid1(VALU_DEP_1)
	v_lshlrev_b64 v[23:24], 3, v[2:3]
	v_add_co_u32 v23, vcc_lo, s44, v23
	s_delay_alu instid0(VALU_DEP_2)
	v_add_co_ci_u32_e32 v24, vcc_lo, s45, v24, vcc_lo
	s_waitcnt lgkmcnt(0)
	global_store_b64 v[23:24], v[20:21], off
.LBB223_518:                            ;   in Loop: Header=BB223_408 Depth=2
	s_or_b32 exec_lo, exec_lo, s17
	s_waitcnt_vscnt null, 0x0
	s_barrier
	buffer_gl0_inv
	s_and_saveexec_b32 s17, s2
	s_cbranch_execz .LBB223_407
; %bb.519:                              ;   in Loop: Header=BB223_408 Depth=2
	ds_load_b32 v2, v28
	s_waitcnt lgkmcnt(0)
	v_add_nc_u32_e32 v2, v2, v22
	ds_store_b32 v28, v2
	s_branch .LBB223_407
.LBB223_520:                            ;   in Loop: Header=BB223_20 Depth=1
	s_waitcnt lgkmcnt(0)
	s_mov_b32 s0, 0
	s_barrier
.LBB223_521:                            ;   in Loop: Header=BB223_20 Depth=1
	s_and_b32 vcc_lo, exec_lo, s0
	s_cbranch_vccz .LBB223_19
; %bb.522:                              ;   in Loop: Header=BB223_20 Depth=1
	s_mov_b32 s0, s34
	s_mov_b32 s9, s28
	s_barrier
	buffer_gl0_inv
                                        ; implicit-def: $vgpr2
                                        ; implicit-def: $vgpr6
                                        ; implicit-def: $vgpr7
                                        ; implicit-def: $vgpr8
                                        ; implicit-def: $vgpr9
                                        ; implicit-def: $vgpr10
                                        ; implicit-def: $vgpr11
                                        ; implicit-def: $vgpr12
	s_branch .LBB223_524
.LBB223_523:                            ;   in Loop: Header=BB223_524 Depth=2
	s_or_b32 exec_lo, exec_lo, s8
	s_addk_i32 s0, 0xf800
	s_cmp_ge_u32 s1, s29
	s_mov_b32 s9, s1
	s_cbranch_scc1 .LBB223_562
.LBB223_524:                            ;   Parent Loop BB223_20 Depth=1
                                        ; =>  This Inner Loop Header: Depth=2
	s_add_i32 s1, s9, 0x800
	s_delay_alu instid0(SALU_CYCLE_1)
	s_cmp_gt_u32 s1, s29
	s_cbranch_scc1 .LBB223_527
; %bb.525:                              ;   in Loop: Header=BB223_524 Depth=2
	v_add_co_u32 v4, vcc_lo, v59, s9
	v_add_co_ci_u32_e32 v5, vcc_lo, 0, v60, vcc_lo
	s_mov_b32 s8, -1
	s_movk_i32 s12, 0x800
	s_clause 0x6
	global_load_u8 v20, v[4:5], off offset:1536
	global_load_u8 v19, v[4:5], off offset:1280
	;; [unrolled: 1-line block ×6, first 2 shown]
	global_load_u8 v14, v[4:5], off
	v_add_co_u32 v4, vcc_lo, 0x700, v4
	v_add_co_ci_u32_e32 v5, vcc_lo, 0, v5, vcc_lo
	s_cbranch_execz .LBB223_528
; %bb.526:                              ;   in Loop: Header=BB223_524 Depth=2
                                        ; implicit-def: $vgpr2
                                        ; implicit-def: $vgpr6
                                        ; implicit-def: $vgpr7
                                        ; implicit-def: $vgpr8
                                        ; implicit-def: $vgpr9
                                        ; implicit-def: $vgpr10
                                        ; implicit-def: $vgpr11
                                        ; implicit-def: $vgpr12
	v_mov_b32_e32 v13, s0
	s_and_saveexec_b32 s9, s8
	s_cbranch_execnz .LBB223_539
	s_branch .LBB223_540
.LBB223_527:                            ;   in Loop: Header=BB223_524 Depth=2
	s_mov_b32 s8, 0
                                        ; implicit-def: $sgpr12
                                        ; implicit-def: $vgpr14
                                        ; implicit-def: $vgpr15
                                        ; implicit-def: $vgpr16
                                        ; implicit-def: $vgpr17
                                        ; implicit-def: $vgpr18
                                        ; implicit-def: $vgpr19
                                        ; implicit-def: $vgpr20
                                        ; implicit-def: $vgpr4_vgpr5
.LBB223_528:                            ;   in Loop: Header=BB223_524 Depth=2
	s_add_u32 s10, s36, s9
	s_addc_u32 s11, s37, 0
	s_mov_b32 s12, exec_lo
	v_cmpx_gt_u32_e64 s0, v1
	s_cbranch_execz .LBB223_556
; %bb.529:                              ;   in Loop: Header=BB223_524 Depth=2
	v_add_co_u32 v4, s13, s10, v1
	s_delay_alu instid0(VALU_DEP_1) | instskip(SKIP_2) | instid1(SALU_CYCLE_1)
	v_add_co_ci_u32_e64 v5, null, s11, 0, s13
	global_load_u8 v2, v[4:5], off
	s_or_b32 exec_lo, exec_lo, s12
	s_mov_b32 s12, exec_lo
	v_cmpx_gt_u32_e64 s0, v29
	s_cbranch_execnz .LBB223_557
.LBB223_530:                            ;   in Loop: Header=BB223_524 Depth=2
	s_or_b32 exec_lo, exec_lo, s12
	s_delay_alu instid0(SALU_CYCLE_1)
	s_mov_b32 s12, exec_lo
	v_cmpx_gt_u32_e64 s0, v30
	s_cbranch_execz .LBB223_558
.LBB223_531:                            ;   in Loop: Header=BB223_524 Depth=2
	v_add_co_u32 v4, s13, s10, v1
	s_delay_alu instid0(VALU_DEP_1) | instskip(SKIP_2) | instid1(SALU_CYCLE_1)
	v_add_co_ci_u32_e64 v5, null, s11, 0, s13
	global_load_u8 v7, v[4:5], off offset:512
	s_or_b32 exec_lo, exec_lo, s12
	s_mov_b32 s12, exec_lo
	v_cmpx_gt_u32_e64 s0, v31
	s_cbranch_execnz .LBB223_559
.LBB223_532:                            ;   in Loop: Header=BB223_524 Depth=2
	s_or_b32 exec_lo, exec_lo, s12
	s_delay_alu instid0(SALU_CYCLE_1)
	s_mov_b32 s12, exec_lo
	v_cmpx_gt_u32_e64 s0, v35
	s_cbranch_execz .LBB223_560
.LBB223_533:                            ;   in Loop: Header=BB223_524 Depth=2
	v_add_co_u32 v4, s13, s10, v1
	s_delay_alu instid0(VALU_DEP_1) | instskip(SKIP_2) | instid1(SALU_CYCLE_1)
	v_add_co_ci_u32_e64 v5, null, s11, 0, s13
	global_load_u8 v9, v[4:5], off offset:1024
	s_or_b32 exec_lo, exec_lo, s12
	s_mov_b32 s12, exec_lo
	v_cmpx_gt_u32_e64 s0, v36
	s_cbranch_execnz .LBB223_561
.LBB223_534:                            ;   in Loop: Header=BB223_524 Depth=2
	s_or_b32 exec_lo, exec_lo, s12
	s_delay_alu instid0(SALU_CYCLE_1)
	s_mov_b32 s12, exec_lo
	v_cmpx_gt_u32_e64 s0, v37
	s_cbranch_execz .LBB223_536
.LBB223_535:                            ;   in Loop: Header=BB223_524 Depth=2
	v_add_co_u32 v4, s13, s10, v1
	s_delay_alu instid0(VALU_DEP_1)
	v_add_co_ci_u32_e64 v5, null, s11, 0, s13
	global_load_u8 v11, v[4:5], off offset:1536
.LBB223_536:                            ;   in Loop: Header=BB223_524 Depth=2
	s_or_b32 exec_lo, exec_lo, s12
	s_delay_alu instid0(SALU_CYCLE_1)
	s_mov_b32 s13, exec_lo
                                        ; implicit-def: $sgpr12
                                        ; implicit-def: $vgpr4_vgpr5
	v_cmpx_gt_u32_e64 s0, v39
; %bb.537:                              ;   in Loop: Header=BB223_524 Depth=2
	v_add_co_u32 v4, s10, s10, v1
	s_delay_alu instid0(VALU_DEP_1) | instskip(SKIP_1) | instid1(VALU_DEP_2)
	v_add_co_ci_u32_e64 v5, null, s11, 0, s10
	s_sub_i32 s12, s29, s9
	v_add_co_u32 v4, vcc_lo, 0x700, v4
	s_delay_alu instid0(VALU_DEP_2)
	v_add_co_ci_u32_e32 v5, vcc_lo, 0, v5, vcc_lo
	s_or_b32 s8, s8, exec_lo
                                        ; implicit-def: $vgpr12
; %bb.538:                              ;   in Loop: Header=BB223_524 Depth=2
	s_or_b32 exec_lo, exec_lo, s13
	s_waitcnt vmcnt(0)
	v_dual_mov_b32 v14, v2 :: v_dual_mov_b32 v17, v8
	v_dual_mov_b32 v15, v6 :: v_dual_mov_b32 v16, v7
	v_dual_mov_b32 v18, v9 :: v_dual_mov_b32 v19, v10
	v_dual_mov_b32 v20, v11 :: v_dual_mov_b32 v13, s0
	s_and_saveexec_b32 s9, s8
	s_cbranch_execz .LBB223_540
.LBB223_539:                            ;   in Loop: Header=BB223_524 Depth=2
	global_load_u8 v12, v[4:5], off
	s_waitcnt vmcnt(1)
	v_dual_mov_b32 v13, s12 :: v_dual_mov_b32 v2, v14
	v_dual_mov_b32 v6, v15 :: v_dual_mov_b32 v7, v16
	;; [unrolled: 1-line block ×4, first 2 shown]
.LBB223_540:                            ;   in Loop: Header=BB223_524 Depth=2
	s_or_b32 exec_lo, exec_lo, s9
	v_lshlrev_b32_e32 v4, 2, v32
	s_mov_b32 s8, exec_lo
	v_cmpx_lt_u32_e64 v1, v13
	s_cbranch_execz .LBB223_548
; %bb.541:                              ;   in Loop: Header=BB223_524 Depth=2
	v_and_b32_e32 v5, 0xff, v2
	s_delay_alu instid0(VALU_DEP_1) | instskip(NEXT) | instid1(VALU_DEP_1)
	v_lshrrev_b32_e32 v5, s49, v5
	v_and_b32_e32 v5, s31, v5
	s_delay_alu instid0(VALU_DEP_1) | instskip(SKIP_2) | instid1(SALU_CYCLE_1)
	v_lshl_or_b32 v5, v5, 4, v4
	ds_add_u32 v5, v66
	s_or_b32 exec_lo, exec_lo, s8
	s_mov_b32 s8, exec_lo
	v_cmpx_lt_u32_e64 v29, v13
	s_cbranch_execnz .LBB223_549
.LBB223_542:                            ;   in Loop: Header=BB223_524 Depth=2
	s_or_b32 exec_lo, exec_lo, s8
	s_delay_alu instid0(SALU_CYCLE_1)
	s_mov_b32 s8, exec_lo
	v_cmpx_lt_u32_e64 v30, v13
	s_cbranch_execz .LBB223_550
.LBB223_543:                            ;   in Loop: Header=BB223_524 Depth=2
	v_and_b32_e32 v5, 0xff, v7
	s_delay_alu instid0(VALU_DEP_1) | instskip(NEXT) | instid1(VALU_DEP_1)
	v_lshrrev_b32_e32 v5, s49, v5
	v_and_b32_e32 v5, s31, v5
	s_delay_alu instid0(VALU_DEP_1) | instskip(SKIP_2) | instid1(SALU_CYCLE_1)
	v_lshl_or_b32 v5, v5, 4, v4
	ds_add_u32 v5, v66
	s_or_b32 exec_lo, exec_lo, s8
	s_mov_b32 s8, exec_lo
	v_cmpx_lt_u32_e64 v31, v13
	s_cbranch_execnz .LBB223_551
.LBB223_544:                            ;   in Loop: Header=BB223_524 Depth=2
	s_or_b32 exec_lo, exec_lo, s8
	s_delay_alu instid0(SALU_CYCLE_1)
	s_mov_b32 s8, exec_lo
	v_cmpx_lt_u32_e64 v35, v13
	s_cbranch_execz .LBB223_552
.LBB223_545:                            ;   in Loop: Header=BB223_524 Depth=2
	v_and_b32_e32 v5, 0xff, v9
	s_delay_alu instid0(VALU_DEP_1) | instskip(NEXT) | instid1(VALU_DEP_1)
	v_lshrrev_b32_e32 v5, s49, v5
	v_and_b32_e32 v5, s31, v5
	s_delay_alu instid0(VALU_DEP_1) | instskip(SKIP_2) | instid1(SALU_CYCLE_1)
	v_lshl_or_b32 v5, v5, 4, v4
	ds_add_u32 v5, v66
	s_or_b32 exec_lo, exec_lo, s8
	s_mov_b32 s8, exec_lo
	v_cmpx_lt_u32_e64 v36, v13
	s_cbranch_execnz .LBB223_553
.LBB223_546:                            ;   in Loop: Header=BB223_524 Depth=2
	s_or_b32 exec_lo, exec_lo, s8
	s_delay_alu instid0(SALU_CYCLE_1)
	s_mov_b32 s8, exec_lo
	v_cmpx_lt_u32_e64 v37, v13
	s_cbranch_execz .LBB223_554
.LBB223_547:                            ;   in Loop: Header=BB223_524 Depth=2
	v_and_b32_e32 v5, 0xff, v11
	s_delay_alu instid0(VALU_DEP_1) | instskip(NEXT) | instid1(VALU_DEP_1)
	v_lshrrev_b32_e32 v5, s49, v5
	v_and_b32_e32 v5, s31, v5
	s_delay_alu instid0(VALU_DEP_1) | instskip(SKIP_2) | instid1(SALU_CYCLE_1)
	v_lshl_or_b32 v5, v5, 4, v4
	ds_add_u32 v5, v66
	s_or_b32 exec_lo, exec_lo, s8
	s_mov_b32 s8, exec_lo
	v_cmpx_lt_u32_e64 v39, v13
	s_cbranch_execz .LBB223_523
	s_branch .LBB223_555
.LBB223_548:                            ;   in Loop: Header=BB223_524 Depth=2
	s_or_b32 exec_lo, exec_lo, s8
	s_delay_alu instid0(SALU_CYCLE_1)
	s_mov_b32 s8, exec_lo
	v_cmpx_lt_u32_e64 v29, v13
	s_cbranch_execz .LBB223_542
.LBB223_549:                            ;   in Loop: Header=BB223_524 Depth=2
	v_and_b32_e32 v5, 0xff, v6
	s_delay_alu instid0(VALU_DEP_1) | instskip(NEXT) | instid1(VALU_DEP_1)
	v_lshrrev_b32_e32 v5, s49, v5
	v_and_b32_e32 v5, s31, v5
	s_delay_alu instid0(VALU_DEP_1) | instskip(SKIP_2) | instid1(SALU_CYCLE_1)
	v_lshl_or_b32 v5, v5, 4, v4
	ds_add_u32 v5, v66
	s_or_b32 exec_lo, exec_lo, s8
	s_mov_b32 s8, exec_lo
	v_cmpx_lt_u32_e64 v30, v13
	s_cbranch_execnz .LBB223_543
.LBB223_550:                            ;   in Loop: Header=BB223_524 Depth=2
	s_or_b32 exec_lo, exec_lo, s8
	s_delay_alu instid0(SALU_CYCLE_1)
	s_mov_b32 s8, exec_lo
	v_cmpx_lt_u32_e64 v31, v13
	s_cbranch_execz .LBB223_544
.LBB223_551:                            ;   in Loop: Header=BB223_524 Depth=2
	v_and_b32_e32 v5, 0xff, v8
	s_delay_alu instid0(VALU_DEP_1) | instskip(NEXT) | instid1(VALU_DEP_1)
	v_lshrrev_b32_e32 v5, s49, v5
	v_and_b32_e32 v5, s31, v5
	s_delay_alu instid0(VALU_DEP_1) | instskip(SKIP_2) | instid1(SALU_CYCLE_1)
	v_lshl_or_b32 v5, v5, 4, v4
	ds_add_u32 v5, v66
	s_or_b32 exec_lo, exec_lo, s8
	s_mov_b32 s8, exec_lo
	v_cmpx_lt_u32_e64 v35, v13
	s_cbranch_execnz .LBB223_545
.LBB223_552:                            ;   in Loop: Header=BB223_524 Depth=2
	s_or_b32 exec_lo, exec_lo, s8
	s_delay_alu instid0(SALU_CYCLE_1)
	s_mov_b32 s8, exec_lo
	v_cmpx_lt_u32_e64 v36, v13
	s_cbranch_execz .LBB223_546
.LBB223_553:                            ;   in Loop: Header=BB223_524 Depth=2
	v_and_b32_e32 v5, 0xff, v10
	s_delay_alu instid0(VALU_DEP_1) | instskip(NEXT) | instid1(VALU_DEP_1)
	v_lshrrev_b32_e32 v5, s49, v5
	v_and_b32_e32 v5, s31, v5
	s_delay_alu instid0(VALU_DEP_1) | instskip(SKIP_2) | instid1(SALU_CYCLE_1)
	v_lshl_or_b32 v5, v5, 4, v4
	ds_add_u32 v5, v66
	s_or_b32 exec_lo, exec_lo, s8
	s_mov_b32 s8, exec_lo
	v_cmpx_lt_u32_e64 v37, v13
	s_cbranch_execnz .LBB223_547
.LBB223_554:                            ;   in Loop: Header=BB223_524 Depth=2
	s_or_b32 exec_lo, exec_lo, s8
	s_delay_alu instid0(SALU_CYCLE_1)
	s_mov_b32 s8, exec_lo
	v_cmpx_lt_u32_e64 v39, v13
	s_cbranch_execz .LBB223_523
.LBB223_555:                            ;   in Loop: Header=BB223_524 Depth=2
	s_waitcnt vmcnt(0)
	v_and_b32_e32 v5, 0xff, v12
	s_delay_alu instid0(VALU_DEP_1) | instskip(NEXT) | instid1(VALU_DEP_1)
	v_lshrrev_b32_e32 v5, s49, v5
	v_and_b32_e32 v5, s31, v5
	s_delay_alu instid0(VALU_DEP_1)
	v_lshl_or_b32 v4, v5, 4, v4
	ds_add_u32 v4, v66
	s_branch .LBB223_523
.LBB223_556:                            ;   in Loop: Header=BB223_524 Depth=2
	s_or_b32 exec_lo, exec_lo, s12
	s_delay_alu instid0(SALU_CYCLE_1)
	s_mov_b32 s12, exec_lo
	v_cmpx_gt_u32_e64 s0, v29
	s_cbranch_execz .LBB223_530
.LBB223_557:                            ;   in Loop: Header=BB223_524 Depth=2
	v_add_co_u32 v4, s13, s10, v1
	s_delay_alu instid0(VALU_DEP_1) | instskip(SKIP_2) | instid1(SALU_CYCLE_1)
	v_add_co_ci_u32_e64 v5, null, s11, 0, s13
	global_load_u8 v6, v[4:5], off offset:256
	s_or_b32 exec_lo, exec_lo, s12
	s_mov_b32 s12, exec_lo
	v_cmpx_gt_u32_e64 s0, v30
	s_cbranch_execnz .LBB223_531
.LBB223_558:                            ;   in Loop: Header=BB223_524 Depth=2
	s_or_b32 exec_lo, exec_lo, s12
	s_delay_alu instid0(SALU_CYCLE_1)
	s_mov_b32 s12, exec_lo
	v_cmpx_gt_u32_e64 s0, v31
	s_cbranch_execz .LBB223_532
.LBB223_559:                            ;   in Loop: Header=BB223_524 Depth=2
	v_add_co_u32 v4, s13, s10, v1
	s_delay_alu instid0(VALU_DEP_1) | instskip(SKIP_2) | instid1(SALU_CYCLE_1)
	v_add_co_ci_u32_e64 v5, null, s11, 0, s13
	global_load_u8 v8, v[4:5], off offset:768
	s_or_b32 exec_lo, exec_lo, s12
	s_mov_b32 s12, exec_lo
	v_cmpx_gt_u32_e64 s0, v35
	s_cbranch_execnz .LBB223_533
.LBB223_560:                            ;   in Loop: Header=BB223_524 Depth=2
	s_or_b32 exec_lo, exec_lo, s12
	s_delay_alu instid0(SALU_CYCLE_1)
	s_mov_b32 s12, exec_lo
	v_cmpx_gt_u32_e64 s0, v36
	s_cbranch_execz .LBB223_534
.LBB223_561:                            ;   in Loop: Header=BB223_524 Depth=2
	v_add_co_u32 v4, s13, s10, v1
	s_delay_alu instid0(VALU_DEP_1) | instskip(SKIP_2) | instid1(SALU_CYCLE_1)
	v_add_co_ci_u32_e64 v5, null, s11, 0, s13
	global_load_u8 v10, v[4:5], off offset:1280
	s_or_b32 exec_lo, exec_lo, s12
	s_mov_b32 s12, exec_lo
	v_cmpx_gt_u32_e64 s0, v37
	s_cbranch_execz .LBB223_536
	s_branch .LBB223_535
.LBB223_562:                            ;   in Loop: Header=BB223_20 Depth=1
	v_mov_b32_e32 v2, 0
	s_waitcnt vmcnt(0) lgkmcnt(0)
	s_barrier
	buffer_gl0_inv
	s_and_saveexec_b32 s0, s2
	s_cbranch_execz .LBB223_564
; %bb.563:                              ;   in Loop: Header=BB223_20 Depth=1
	ds_load_2addr_b64 v[4:7], v40 offset1:1
	s_waitcnt lgkmcnt(0)
	v_add_nc_u32_e32 v2, v5, v4
	s_delay_alu instid0(VALU_DEP_1)
	v_add3_u32 v2, v2, v6, v7
.LBB223_564:                            ;   in Loop: Header=BB223_20 Depth=1
	s_or_b32 exec_lo, exec_lo, s0
	v_and_b32_e32 v4, 15, v63
	s_delay_alu instid0(VALU_DEP_2) | instskip(SKIP_1) | instid1(VALU_DEP_3)
	v_mov_b32_dpp v5, v2 row_shr:1 row_mask:0xf bank_mask:0xf
	v_and_b32_e32 v6, 16, v63
	v_cmp_eq_u32_e64 s0, 0, v4
	v_cmp_lt_u32_e64 s1, 1, v4
	v_cmp_lt_u32_e64 s8, 3, v4
	;; [unrolled: 1-line block ×3, first 2 shown]
	v_cmp_eq_u32_e64 s10, 0, v6
	v_cndmask_b32_e64 v5, v5, 0, s0
	s_delay_alu instid0(VALU_DEP_1) | instskip(NEXT) | instid1(VALU_DEP_1)
	v_add_nc_u32_e32 v2, v5, v2
	v_mov_b32_dpp v5, v2 row_shr:2 row_mask:0xf bank_mask:0xf
	s_delay_alu instid0(VALU_DEP_1) | instskip(NEXT) | instid1(VALU_DEP_1)
	v_cndmask_b32_e64 v5, 0, v5, s1
	v_add_nc_u32_e32 v2, v2, v5
	s_delay_alu instid0(VALU_DEP_1) | instskip(NEXT) | instid1(VALU_DEP_1)
	v_mov_b32_dpp v5, v2 row_shr:4 row_mask:0xf bank_mask:0xf
	v_cndmask_b32_e64 v5, 0, v5, s8
	s_delay_alu instid0(VALU_DEP_1) | instskip(NEXT) | instid1(VALU_DEP_1)
	v_add_nc_u32_e32 v2, v2, v5
	v_mov_b32_dpp v5, v2 row_shr:8 row_mask:0xf bank_mask:0xf
	s_delay_alu instid0(VALU_DEP_1) | instskip(SKIP_1) | instid1(VALU_DEP_2)
	v_cndmask_b32_e64 v4, 0, v5, s9
	v_bfe_i32 v5, v63, 4, 1
	v_add_nc_u32_e32 v2, v2, v4
	ds_swizzle_b32 v4, v2 offset:swizzle(BROADCAST,32,15)
	s_waitcnt lgkmcnt(0)
	v_and_b32_e32 v4, v5, v4
	s_delay_alu instid0(VALU_DEP_1)
	v_add_nc_u32_e32 v4, v2, v4
	s_and_saveexec_b32 s11, s3
	s_cbranch_execz .LBB223_566
; %bb.565:                              ;   in Loop: Header=BB223_20 Depth=1
	ds_store_b32 v41, v4
.LBB223_566:                            ;   in Loop: Header=BB223_20 Depth=1
	s_or_b32 exec_lo, exec_lo, s11
	v_and_b32_e32 v2, 7, v63
	s_waitcnt lgkmcnt(0)
	s_barrier
	buffer_gl0_inv
	s_and_saveexec_b32 s11, s4
	s_cbranch_execz .LBB223_568
; %bb.567:                              ;   in Loop: Header=BB223_20 Depth=1
	ds_load_b32 v5, v42
	v_cmp_ne_u32_e32 vcc_lo, 0, v2
	s_waitcnt lgkmcnt(0)
	v_mov_b32_dpp v6, v5 row_shr:1 row_mask:0xf bank_mask:0xf
	s_delay_alu instid0(VALU_DEP_1) | instskip(SKIP_1) | instid1(VALU_DEP_2)
	v_cndmask_b32_e32 v6, 0, v6, vcc_lo
	v_cmp_lt_u32_e32 vcc_lo, 1, v2
	v_add_nc_u32_e32 v5, v6, v5
	s_delay_alu instid0(VALU_DEP_1) | instskip(NEXT) | instid1(VALU_DEP_1)
	v_mov_b32_dpp v6, v5 row_shr:2 row_mask:0xf bank_mask:0xf
	v_cndmask_b32_e32 v6, 0, v6, vcc_lo
	v_cmp_lt_u32_e32 vcc_lo, 3, v2
	s_delay_alu instid0(VALU_DEP_2) | instskip(NEXT) | instid1(VALU_DEP_1)
	v_add_nc_u32_e32 v5, v5, v6
	v_mov_b32_dpp v6, v5 row_shr:4 row_mask:0xf bank_mask:0xf
	s_delay_alu instid0(VALU_DEP_1) | instskip(NEXT) | instid1(VALU_DEP_1)
	v_cndmask_b32_e32 v6, 0, v6, vcc_lo
	v_add_nc_u32_e32 v5, v5, v6
	ds_store_b32 v42, v5
.LBB223_568:                            ;   in Loop: Header=BB223_20 Depth=1
	s_or_b32 exec_lo, exec_lo, s11
	v_mov_b32_e32 v5, 0
	s_waitcnt lgkmcnt(0)
	s_barrier
	buffer_gl0_inv
	s_and_saveexec_b32 s11, s5
	s_cbranch_execz .LBB223_570
; %bb.569:                              ;   in Loop: Header=BB223_20 Depth=1
	ds_load_b32 v5, v43
.LBB223_570:                            ;   in Loop: Header=BB223_20 Depth=1
	s_or_b32 exec_lo, exec_lo, s11
	v_add_nc_u32_e32 v6, -1, v63
	s_waitcnt lgkmcnt(0)
	v_add_nc_u32_e32 v4, v5, v4
	v_cmp_eq_u32_e64 s11, 0, v63
	s_barrier
	v_cmp_gt_i32_e32 vcc_lo, 0, v6
	buffer_gl0_inv
	v_cndmask_b32_e32 v6, v6, v63, vcc_lo
	s_delay_alu instid0(VALU_DEP_1)
	v_lshlrev_b32_e32 v69, 2, v6
	ds_bpermute_b32 v4, v69, v4
	s_and_saveexec_b32 s12, s2
	s_cbranch_execz .LBB223_572
; %bb.571:                              ;   in Loop: Header=BB223_20 Depth=1
	s_waitcnt lgkmcnt(0)
	v_cndmask_b32_e64 v4, v4, v5, s11
	s_delay_alu instid0(VALU_DEP_1)
	v_add_nc_u32_e32 v4, s28, v4
	ds_store_b32 v28, v4
.LBB223_572:                            ;   in Loop: Header=BB223_20 Depth=1
	s_or_b32 exec_lo, exec_lo, s12
	s_load_b64 s[12:13], s[26:27], 0x0
	v_add_co_u32 v71, vcc_lo, v64, v63
	v_add_co_ci_u32_e32 v72, vcc_lo, 0, v65, vcc_lo
	v_or_b32_e32 v70, v63, v44
	s_mov_b32 s35, s34
	s_mov_b32 s24, s28
                                        ; implicit-def: $vgpr8_vgpr9
                                        ; implicit-def: $vgpr10_vgpr11
                                        ; implicit-def: $vgpr12_vgpr13
                                        ; implicit-def: $vgpr14_vgpr15
                                        ; implicit-def: $vgpr16_vgpr17
                                        ; implicit-def: $vgpr18_vgpr19
                                        ; implicit-def: $vgpr85
                                        ; implicit-def: $vgpr86
                                        ; implicit-def: $vgpr87
                                        ; implicit-def: $vgpr88
                                        ; implicit-def: $vgpr89
                                        ; implicit-def: $vgpr90
                                        ; implicit-def: $vgpr91
                                        ; implicit-def: $vgpr92
	s_delay_alu instid0(VALU_DEP_1)
	v_or_b32_e32 v75, 32, v70
	v_or_b32_e32 v76, 64, v70
	;; [unrolled: 1-line block ×7, first 2 shown]
	s_waitcnt lgkmcnt(0)
	s_cmp_lt_u32 s15, s13
	s_cselect_b32 s13, 14, 20
	s_delay_alu instid0(SALU_CYCLE_1) | instskip(SKIP_4) | instid1(SALU_CYCLE_1)
	s_add_u32 s16, s26, s13
	s_addc_u32 s17, s27, 0
	s_cmp_lt_u32 s14, s12
	global_load_u16 v4, v3, s[16:17]
	s_cselect_b32 s12, 12, 18
	s_add_u32 s12, s26, s12
	s_addc_u32 s13, s27, 0
	global_load_u16 v6, v3, s[12:13]
	v_cmp_eq_u32_e64 s12, 0, v2
	v_cmp_lt_u32_e64 s13, 1, v2
	v_cmp_lt_u32_e64 s16, 3, v2
	v_lshlrev_b32_e32 v2, 3, v63
	s_delay_alu instid0(VALU_DEP_1)
	v_add_co_u32 v73, vcc_lo, v61, v2
	v_add_co_ci_u32_e32 v74, vcc_lo, 0, v62, vcc_lo
	v_add_co_u32 v83, vcc_lo, 0xe0, v71
	v_add_co_ci_u32_e32 v84, vcc_lo, 0, v72, vcc_lo
	s_waitcnt vmcnt(1)
	v_mad_u32_u24 v7, v45, v4, v0
	s_waitcnt vmcnt(0)
	s_delay_alu instid0(VALU_DEP_1) | instskip(NEXT) | instid1(VALU_DEP_1)
	v_mad_u64_u32 v[4:5], null, v7, v6, v[1:2]
                                        ; implicit-def: $vgpr6_vgpr7
	v_lshrrev_b32_e32 v82, 5, v4
                                        ; implicit-def: $vgpr4_vgpr5
	s_branch .LBB223_574
.LBB223_573:                            ;   in Loop: Header=BB223_574 Depth=2
	s_or_b32 exec_lo, exec_lo, s17
	s_addk_i32 s35, 0xf800
	s_cmp_lt_u32 s42, s29
	s_mov_b32 s24, s42
	s_cbranch_scc0 .LBB223_18
.LBB223_574:                            ;   Parent Loop BB223_20 Depth=1
                                        ; =>  This Inner Loop Header: Depth=2
	s_add_i32 s42, s24, 0x800
	s_delay_alu instid0(SALU_CYCLE_1)
	s_cmp_gt_u32 s42, s29
	s_cbranch_scc1 .LBB223_577
; %bb.575:                              ;   in Loop: Header=BB223_574 Depth=2
	v_add_co_u32 v20, vcc_lo, v71, s24
	v_add_co_ci_u32_e32 v21, vcc_lo, 0, v72, vcc_lo
	s_mov_b32 s19, 0
	s_mov_b32 s18, s24
	s_mov_b32 s20, -1
	s_clause 0x6
	global_load_u8 v93, v[20:21], off
	global_load_u8 v94, v[20:21], off offset:32
	global_load_u8 v95, v[20:21], off offset:64
	;; [unrolled: 1-line block ×6, first 2 shown]
	s_movk_i32 s17, 0x800
	s_cbranch_execz .LBB223_578
; %bb.576:                              ;   in Loop: Header=BB223_574 Depth=2
                                        ; implicit-def: $sgpr21
	v_mov_b32_e32 v100, s21
	v_mov_b32_e32 v2, s35
	s_and_saveexec_b32 s21, s20
	s_cbranch_execnz .LBB223_593
	s_branch .LBB223_594
.LBB223_577:                            ;   in Loop: Header=BB223_574 Depth=2
	s_mov_b32 s19, -1
	s_mov_b32 s20, 0
                                        ; implicit-def: $sgpr17
                                        ; implicit-def: $vgpr93
                                        ; implicit-def: $vgpr94
                                        ; implicit-def: $vgpr95
                                        ; implicit-def: $vgpr96
                                        ; implicit-def: $vgpr97
                                        ; implicit-def: $vgpr98
                                        ; implicit-def: $vgpr99
.LBB223_578:                            ;   in Loop: Header=BB223_574 Depth=2
	v_add_co_u32 v20, vcc_lo, v71, s24
	v_add_co_ci_u32_e32 v21, vcc_lo, 0, v72, vcc_lo
	s_waitcnt vmcnt(5)
	v_dual_mov_b32 v94, 0xff :: v_dual_mov_b32 v93, 0xff
	s_mov_b32 s17, exec_lo
	v_cmpx_gt_u32_e64 s35, v70
	s_cbranch_execz .LBB223_580
; %bb.579:                              ;   in Loop: Header=BB223_574 Depth=2
	global_load_u8 v93, v[20:21], off
.LBB223_580:                            ;   in Loop: Header=BB223_574 Depth=2
	s_or_b32 exec_lo, exec_lo, s17
	s_delay_alu instid0(SALU_CYCLE_1)
	s_mov_b32 s17, exec_lo
	v_cmpx_gt_u32_e64 s35, v75
	s_cbranch_execz .LBB223_582
; %bb.581:                              ;   in Loop: Header=BB223_574 Depth=2
	global_load_u8 v94, v[20:21], off offset:32
.LBB223_582:                            ;   in Loop: Header=BB223_574 Depth=2
	s_or_b32 exec_lo, exec_lo, s17
	s_waitcnt vmcnt(3)
	v_dual_mov_b32 v96, 0xff :: v_dual_mov_b32 v95, 0xff
	s_mov_b32 s17, exec_lo
	v_cmpx_gt_u32_e64 s35, v76
	s_cbranch_execz .LBB223_584
; %bb.583:                              ;   in Loop: Header=BB223_574 Depth=2
	global_load_u8 v95, v[20:21], off offset:64
.LBB223_584:                            ;   in Loop: Header=BB223_574 Depth=2
	s_or_b32 exec_lo, exec_lo, s17
	s_delay_alu instid0(SALU_CYCLE_1)
	s_mov_b32 s17, exec_lo
	v_cmpx_gt_u32_e64 s35, v77
	s_cbranch_execz .LBB223_586
; %bb.585:                              ;   in Loop: Header=BB223_574 Depth=2
	global_load_u8 v96, v[20:21], off offset:96
.LBB223_586:                            ;   in Loop: Header=BB223_574 Depth=2
	s_or_b32 exec_lo, exec_lo, s17
	s_waitcnt vmcnt(1)
	v_dual_mov_b32 v98, 0xff :: v_dual_mov_b32 v97, 0xff
	s_mov_b32 s17, exec_lo
	v_cmpx_gt_u32_e64 s35, v78
	s_cbranch_execz .LBB223_588
; %bb.587:                              ;   in Loop: Header=BB223_574 Depth=2
	global_load_u8 v97, v[20:21], off offset:128
.LBB223_588:                            ;   in Loop: Header=BB223_574 Depth=2
	s_or_b32 exec_lo, exec_lo, s17
	s_delay_alu instid0(SALU_CYCLE_1)
	s_mov_b32 s17, exec_lo
	v_cmpx_gt_u32_e64 s35, v79
	s_cbranch_execz .LBB223_590
; %bb.589:                              ;   in Loop: Header=BB223_574 Depth=2
	global_load_u8 v98, v[20:21], off offset:160
.LBB223_590:                            ;   in Loop: Header=BB223_574 Depth=2
	s_or_b32 exec_lo, exec_lo, s17
	s_waitcnt vmcnt(0)
	v_mov_b32_e32 v99, 0xff
	s_mov_b32 s17, exec_lo
	v_cmpx_gt_u32_e64 s35, v80
	s_cbranch_execz .LBB223_592
; %bb.591:                              ;   in Loop: Header=BB223_574 Depth=2
	global_load_u8 v99, v[20:21], off offset:192
.LBB223_592:                            ;   in Loop: Header=BB223_574 Depth=2
	s_or_b32 exec_lo, exec_lo, s17
	v_cmp_gt_u32_e64 s20, s35, v81
	s_sub_i32 s17, s29, s24
	s_movk_i32 s21, 0xff
	s_mov_b64 s[18:19], s[24:25]
	v_mov_b32_e32 v100, s21
	v_mov_b32_e32 v2, s35
	s_and_saveexec_b32 s21, s20
	s_cbranch_execz .LBB223_594
.LBB223_593:                            ;   in Loop: Header=BB223_574 Depth=2
	v_add_co_u32 v20, vcc_lo, v83, s18
	v_add_co_ci_u32_e32 v21, vcc_lo, s19, v84, vcc_lo
	v_mov_b32_e32 v2, s17
	global_load_u8 v100, v[20:21], off
.LBB223_594:                            ;   in Loop: Header=BB223_574 Depth=2
	s_or_b32 exec_lo, exec_lo, s21
	s_waitcnt vmcnt(6)
	v_and_b32_e32 v20, 0xff, v93
	ds_store_b32 v46, v3 offset:1056
	ds_store_2addr_b32 v47, v3, v3 offset0:1 offset1:2
	ds_store_2addr_b32 v47, v3, v3 offset0:3 offset1:4
	;; [unrolled: 1-line block ×4, first 2 shown]
	s_waitcnt vmcnt(0) lgkmcnt(0)
	s_barrier
	v_lshrrev_b32_e32 v20, s49, v20
	buffer_gl0_inv
	; wave barrier
	v_and_b32_e32 v21, s31, v20
	s_delay_alu instid0(VALU_DEP_1)
	v_and_b32_e32 v20, 1, v21
	v_lshlrev_b32_e32 v22, 30, v21
	v_lshlrev_b32_e32 v23, 29, v21
	;; [unrolled: 1-line block ×4, first 2 shown]
	v_add_co_u32 v20, s17, v20, -1
	s_delay_alu instid0(VALU_DEP_1)
	v_cndmask_b32_e64 v25, 0, 1, s17
	v_not_b32_e32 v102, v22
	v_cmp_gt_i32_e64 s17, 0, v22
	v_not_b32_e32 v22, v23
	v_lshlrev_b32_e32 v27, 26, v21
	v_cmp_ne_u32_e32 vcc_lo, 0, v25
	v_ashrrev_i32_e32 v102, 31, v102
	v_lshlrev_b32_e32 v101, 25, v21
	v_ashrrev_i32_e32 v22, 31, v22
	v_lshlrev_b32_e32 v25, 24, v21
	v_xor_b32_e32 v20, vcc_lo, v20
	v_cmp_gt_i32_e32 vcc_lo, 0, v23
	v_not_b32_e32 v23, v24
	v_xor_b32_e32 v102, s17, v102
	v_cmp_gt_i32_e64 s17, 0, v24
	v_and_b32_e32 v20, exec_lo, v20
	v_not_b32_e32 v24, v26
	v_ashrrev_i32_e32 v23, 31, v23
	v_xor_b32_e32 v22, vcc_lo, v22
	v_cmp_gt_i32_e32 vcc_lo, 0, v26
	v_and_b32_e32 v20, v20, v102
	v_not_b32_e32 v26, v27
	v_ashrrev_i32_e32 v24, 31, v24
	v_xor_b32_e32 v23, s17, v23
	v_cmp_gt_i32_e64 s17, 0, v27
	v_and_b32_e32 v20, v20, v22
	v_not_b32_e32 v22, v101
	v_ashrrev_i32_e32 v26, 31, v26
	v_xor_b32_e32 v24, vcc_lo, v24
	v_cmp_gt_i32_e32 vcc_lo, 0, v101
	v_and_b32_e32 v20, v20, v23
	v_not_b32_e32 v23, v25
	v_ashrrev_i32_e32 v22, 31, v22
	v_xor_b32_e32 v26, s17, v26
	v_cmp_gt_i32_e64 s17, 0, v25
	v_and_b32_e32 v20, v20, v24
	v_ashrrev_i32_e32 v23, 31, v23
	v_xor_b32_e32 v22, vcc_lo, v22
	v_mad_u32_u24 v21, v21, 9, v82
	s_delay_alu instid0(VALU_DEP_4) | instskip(NEXT) | instid1(VALU_DEP_4)
	v_and_b32_e32 v20, v20, v26
	v_xor_b32_e32 v23, s17, v23
	s_delay_alu instid0(VALU_DEP_3) | instskip(NEXT) | instid1(VALU_DEP_3)
	v_lshl_add_u32 v102, v21, 2, 0x420
	v_and_b32_e32 v20, v20, v22
	s_delay_alu instid0(VALU_DEP_1) | instskip(NEXT) | instid1(VALU_DEP_1)
	v_and_b32_e32 v20, v20, v23
	v_mbcnt_lo_u32_b32 v101, v20, 0
	v_cmp_ne_u32_e64 s17, 0, v20
	s_delay_alu instid0(VALU_DEP_2) | instskip(NEXT) | instid1(VALU_DEP_2)
	v_cmp_eq_u32_e32 vcc_lo, 0, v101
	s_and_b32 s18, s17, vcc_lo
	s_delay_alu instid0(SALU_CYCLE_1)
	s_and_saveexec_b32 s17, s18
	s_cbranch_execz .LBB223_596
; %bb.595:                              ;   in Loop: Header=BB223_574 Depth=2
	v_bcnt_u32_b32 v20, v20, 0
	ds_store_b32 v102, v20
.LBB223_596:                            ;   in Loop: Header=BB223_574 Depth=2
	s_or_b32 exec_lo, exec_lo, s17
	v_and_b32_e32 v20, 0xff, v94
	; wave barrier
	s_delay_alu instid0(VALU_DEP_1) | instskip(NEXT) | instid1(VALU_DEP_1)
	v_lshrrev_b32_e32 v20, s49, v20
	v_and_b32_e32 v20, s31, v20
	s_delay_alu instid0(VALU_DEP_1)
	v_and_b32_e32 v21, 1, v20
	v_lshlrev_b32_e32 v22, 30, v20
	v_lshlrev_b32_e32 v23, 29, v20
	;; [unrolled: 1-line block ×4, first 2 shown]
	v_add_co_u32 v21, s17, v21, -1
	s_delay_alu instid0(VALU_DEP_1)
	v_cndmask_b32_e64 v25, 0, 1, s17
	v_not_b32_e32 v104, v22
	v_cmp_gt_i32_e64 s17, 0, v22
	v_not_b32_e32 v22, v23
	v_lshlrev_b32_e32 v27, 26, v20
	v_cmp_ne_u32_e32 vcc_lo, 0, v25
	v_ashrrev_i32_e32 v104, 31, v104
	v_lshlrev_b32_e32 v103, 25, v20
	v_ashrrev_i32_e32 v22, 31, v22
	v_lshlrev_b32_e32 v25, 24, v20
	v_xor_b32_e32 v21, vcc_lo, v21
	v_cmp_gt_i32_e32 vcc_lo, 0, v23
	v_not_b32_e32 v23, v24
	v_xor_b32_e32 v104, s17, v104
	v_cmp_gt_i32_e64 s17, 0, v24
	v_and_b32_e32 v21, exec_lo, v21
	v_not_b32_e32 v24, v26
	v_ashrrev_i32_e32 v23, 31, v23
	v_xor_b32_e32 v22, vcc_lo, v22
	v_cmp_gt_i32_e32 vcc_lo, 0, v26
	v_and_b32_e32 v21, v21, v104
	v_not_b32_e32 v26, v27
	v_ashrrev_i32_e32 v24, 31, v24
	v_xor_b32_e32 v23, s17, v23
	v_cmp_gt_i32_e64 s17, 0, v27
	v_and_b32_e32 v21, v21, v22
	v_not_b32_e32 v22, v103
	v_ashrrev_i32_e32 v26, 31, v26
	v_xor_b32_e32 v24, vcc_lo, v24
	v_cmp_gt_i32_e32 vcc_lo, 0, v103
	v_and_b32_e32 v21, v21, v23
	v_not_b32_e32 v23, v25
	v_ashrrev_i32_e32 v22, 31, v22
	v_xor_b32_e32 v26, s17, v26
	v_mul_u32_u24_e32 v20, 9, v20
	v_and_b32_e32 v21, v21, v24
	v_cmp_gt_i32_e64 s17, 0, v25
	v_ashrrev_i32_e32 v23, 31, v23
	v_xor_b32_e32 v22, vcc_lo, v22
	v_add_lshl_u32 v24, v20, v82, 2
	v_and_b32_e32 v21, v21, v26
	s_delay_alu instid0(VALU_DEP_4) | instskip(SKIP_3) | instid1(VALU_DEP_2)
	v_xor_b32_e32 v20, s17, v23
	ds_load_b32 v103, v24 offset:1056
	v_and_b32_e32 v21, v21, v22
	v_add_nc_u32_e32 v105, 0x420, v24
	; wave barrier
	v_and_b32_e32 v20, v21, v20
	s_delay_alu instid0(VALU_DEP_1) | instskip(SKIP_1) | instid1(VALU_DEP_2)
	v_mbcnt_lo_u32_b32 v104, v20, 0
	v_cmp_ne_u32_e64 s17, 0, v20
	v_cmp_eq_u32_e32 vcc_lo, 0, v104
	s_delay_alu instid0(VALU_DEP_2) | instskip(NEXT) | instid1(SALU_CYCLE_1)
	s_and_b32 s18, s17, vcc_lo
	s_and_saveexec_b32 s17, s18
	s_cbranch_execz .LBB223_598
; %bb.597:                              ;   in Loop: Header=BB223_574 Depth=2
	s_waitcnt lgkmcnt(0)
	v_bcnt_u32_b32 v20, v20, v103
	ds_store_b32 v105, v20
.LBB223_598:                            ;   in Loop: Header=BB223_574 Depth=2
	s_or_b32 exec_lo, exec_lo, s17
	v_and_b32_e32 v20, 0xff, v95
	; wave barrier
	s_delay_alu instid0(VALU_DEP_1) | instskip(NEXT) | instid1(VALU_DEP_1)
	v_lshrrev_b32_e32 v20, s49, v20
	v_and_b32_e32 v20, s31, v20
	s_delay_alu instid0(VALU_DEP_1)
	v_and_b32_e32 v21, 1, v20
	v_lshlrev_b32_e32 v22, 30, v20
	v_lshlrev_b32_e32 v23, 29, v20
	;; [unrolled: 1-line block ×4, first 2 shown]
	v_add_co_u32 v21, s17, v21, -1
	s_delay_alu instid0(VALU_DEP_1)
	v_cndmask_b32_e64 v25, 0, 1, s17
	v_not_b32_e32 v107, v22
	v_cmp_gt_i32_e64 s17, 0, v22
	v_not_b32_e32 v22, v23
	v_lshlrev_b32_e32 v27, 26, v20
	v_cmp_ne_u32_e32 vcc_lo, 0, v25
	v_ashrrev_i32_e32 v107, 31, v107
	v_lshlrev_b32_e32 v106, 25, v20
	v_ashrrev_i32_e32 v22, 31, v22
	v_lshlrev_b32_e32 v25, 24, v20
	v_xor_b32_e32 v21, vcc_lo, v21
	v_cmp_gt_i32_e32 vcc_lo, 0, v23
	v_not_b32_e32 v23, v24
	v_xor_b32_e32 v107, s17, v107
	v_cmp_gt_i32_e64 s17, 0, v24
	v_and_b32_e32 v21, exec_lo, v21
	v_not_b32_e32 v24, v26
	v_ashrrev_i32_e32 v23, 31, v23
	v_xor_b32_e32 v22, vcc_lo, v22
	v_cmp_gt_i32_e32 vcc_lo, 0, v26
	v_and_b32_e32 v21, v21, v107
	v_not_b32_e32 v26, v27
	v_ashrrev_i32_e32 v24, 31, v24
	v_xor_b32_e32 v23, s17, v23
	v_cmp_gt_i32_e64 s17, 0, v27
	v_and_b32_e32 v21, v21, v22
	v_not_b32_e32 v22, v106
	v_ashrrev_i32_e32 v26, 31, v26
	v_xor_b32_e32 v24, vcc_lo, v24
	v_cmp_gt_i32_e32 vcc_lo, 0, v106
	v_and_b32_e32 v21, v21, v23
	v_not_b32_e32 v23, v25
	v_ashrrev_i32_e32 v22, 31, v22
	v_xor_b32_e32 v26, s17, v26
	v_mul_u32_u24_e32 v20, 9, v20
	v_and_b32_e32 v21, v21, v24
	v_cmp_gt_i32_e64 s17, 0, v25
	v_ashrrev_i32_e32 v23, 31, v23
	v_xor_b32_e32 v22, vcc_lo, v22
	v_add_lshl_u32 v24, v20, v82, 2
	v_and_b32_e32 v21, v21, v26
	s_delay_alu instid0(VALU_DEP_4) | instskip(SKIP_3) | instid1(VALU_DEP_2)
	v_xor_b32_e32 v20, s17, v23
	ds_load_b32 v106, v24 offset:1056
	v_and_b32_e32 v21, v21, v22
	v_add_nc_u32_e32 v108, 0x420, v24
	; wave barrier
	v_and_b32_e32 v20, v21, v20
	s_delay_alu instid0(VALU_DEP_1) | instskip(SKIP_1) | instid1(VALU_DEP_2)
	v_mbcnt_lo_u32_b32 v107, v20, 0
	v_cmp_ne_u32_e64 s17, 0, v20
	v_cmp_eq_u32_e32 vcc_lo, 0, v107
	s_delay_alu instid0(VALU_DEP_2) | instskip(NEXT) | instid1(SALU_CYCLE_1)
	s_and_b32 s18, s17, vcc_lo
	s_and_saveexec_b32 s17, s18
	s_cbranch_execz .LBB223_600
; %bb.599:                              ;   in Loop: Header=BB223_574 Depth=2
	s_waitcnt lgkmcnt(0)
	v_bcnt_u32_b32 v20, v20, v106
	ds_store_b32 v108, v20
.LBB223_600:                            ;   in Loop: Header=BB223_574 Depth=2
	s_or_b32 exec_lo, exec_lo, s17
	v_and_b32_e32 v20, 0xff, v96
	; wave barrier
	s_delay_alu instid0(VALU_DEP_1) | instskip(NEXT) | instid1(VALU_DEP_1)
	v_lshrrev_b32_e32 v20, s49, v20
	v_and_b32_e32 v20, s31, v20
	s_delay_alu instid0(VALU_DEP_1)
	v_and_b32_e32 v21, 1, v20
	v_lshlrev_b32_e32 v22, 30, v20
	v_lshlrev_b32_e32 v23, 29, v20
	;; [unrolled: 1-line block ×4, first 2 shown]
	v_add_co_u32 v21, s17, v21, -1
	s_delay_alu instid0(VALU_DEP_1)
	v_cndmask_b32_e64 v25, 0, 1, s17
	v_not_b32_e32 v110, v22
	v_cmp_gt_i32_e64 s17, 0, v22
	v_not_b32_e32 v22, v23
	v_lshlrev_b32_e32 v27, 26, v20
	v_cmp_ne_u32_e32 vcc_lo, 0, v25
	v_ashrrev_i32_e32 v110, 31, v110
	v_lshlrev_b32_e32 v109, 25, v20
	v_ashrrev_i32_e32 v22, 31, v22
	v_lshlrev_b32_e32 v25, 24, v20
	v_xor_b32_e32 v21, vcc_lo, v21
	v_cmp_gt_i32_e32 vcc_lo, 0, v23
	v_not_b32_e32 v23, v24
	v_xor_b32_e32 v110, s17, v110
	v_cmp_gt_i32_e64 s17, 0, v24
	v_and_b32_e32 v21, exec_lo, v21
	v_not_b32_e32 v24, v26
	v_ashrrev_i32_e32 v23, 31, v23
	v_xor_b32_e32 v22, vcc_lo, v22
	v_cmp_gt_i32_e32 vcc_lo, 0, v26
	v_and_b32_e32 v21, v21, v110
	v_not_b32_e32 v26, v27
	v_ashrrev_i32_e32 v24, 31, v24
	v_xor_b32_e32 v23, s17, v23
	v_cmp_gt_i32_e64 s17, 0, v27
	v_and_b32_e32 v21, v21, v22
	v_not_b32_e32 v22, v109
	v_ashrrev_i32_e32 v26, 31, v26
	v_xor_b32_e32 v24, vcc_lo, v24
	v_cmp_gt_i32_e32 vcc_lo, 0, v109
	v_and_b32_e32 v21, v21, v23
	v_not_b32_e32 v23, v25
	v_ashrrev_i32_e32 v22, 31, v22
	v_xor_b32_e32 v26, s17, v26
	v_mul_u32_u24_e32 v20, 9, v20
	v_and_b32_e32 v21, v21, v24
	v_cmp_gt_i32_e64 s17, 0, v25
	v_ashrrev_i32_e32 v23, 31, v23
	v_xor_b32_e32 v22, vcc_lo, v22
	v_add_lshl_u32 v24, v20, v82, 2
	v_and_b32_e32 v21, v21, v26
	s_delay_alu instid0(VALU_DEP_4) | instskip(SKIP_3) | instid1(VALU_DEP_2)
	v_xor_b32_e32 v20, s17, v23
	ds_load_b32 v109, v24 offset:1056
	v_and_b32_e32 v21, v21, v22
	v_add_nc_u32_e32 v111, 0x420, v24
	; wave barrier
	v_and_b32_e32 v20, v21, v20
	s_delay_alu instid0(VALU_DEP_1) | instskip(SKIP_1) | instid1(VALU_DEP_2)
	v_mbcnt_lo_u32_b32 v110, v20, 0
	v_cmp_ne_u32_e64 s17, 0, v20
	v_cmp_eq_u32_e32 vcc_lo, 0, v110
	s_delay_alu instid0(VALU_DEP_2) | instskip(NEXT) | instid1(SALU_CYCLE_1)
	s_and_b32 s18, s17, vcc_lo
	s_and_saveexec_b32 s17, s18
	s_cbranch_execz .LBB223_602
; %bb.601:                              ;   in Loop: Header=BB223_574 Depth=2
	s_waitcnt lgkmcnt(0)
	v_bcnt_u32_b32 v20, v20, v109
	ds_store_b32 v111, v20
.LBB223_602:                            ;   in Loop: Header=BB223_574 Depth=2
	s_or_b32 exec_lo, exec_lo, s17
	v_and_b32_e32 v20, 0xff, v97
	; wave barrier
	s_delay_alu instid0(VALU_DEP_1) | instskip(NEXT) | instid1(VALU_DEP_1)
	v_lshrrev_b32_e32 v20, s49, v20
	v_and_b32_e32 v20, s31, v20
	s_delay_alu instid0(VALU_DEP_1)
	v_and_b32_e32 v21, 1, v20
	v_lshlrev_b32_e32 v22, 30, v20
	v_lshlrev_b32_e32 v23, 29, v20
	;; [unrolled: 1-line block ×4, first 2 shown]
	v_add_co_u32 v21, s17, v21, -1
	s_delay_alu instid0(VALU_DEP_1)
	v_cndmask_b32_e64 v25, 0, 1, s17
	v_not_b32_e32 v113, v22
	v_cmp_gt_i32_e64 s17, 0, v22
	v_not_b32_e32 v22, v23
	v_lshlrev_b32_e32 v27, 26, v20
	v_cmp_ne_u32_e32 vcc_lo, 0, v25
	v_ashrrev_i32_e32 v113, 31, v113
	v_lshlrev_b32_e32 v112, 25, v20
	v_ashrrev_i32_e32 v22, 31, v22
	v_lshlrev_b32_e32 v25, 24, v20
	v_xor_b32_e32 v21, vcc_lo, v21
	v_cmp_gt_i32_e32 vcc_lo, 0, v23
	v_not_b32_e32 v23, v24
	v_xor_b32_e32 v113, s17, v113
	v_cmp_gt_i32_e64 s17, 0, v24
	v_and_b32_e32 v21, exec_lo, v21
	v_not_b32_e32 v24, v26
	v_ashrrev_i32_e32 v23, 31, v23
	v_xor_b32_e32 v22, vcc_lo, v22
	v_cmp_gt_i32_e32 vcc_lo, 0, v26
	v_and_b32_e32 v21, v21, v113
	v_not_b32_e32 v26, v27
	v_ashrrev_i32_e32 v24, 31, v24
	v_xor_b32_e32 v23, s17, v23
	v_cmp_gt_i32_e64 s17, 0, v27
	v_and_b32_e32 v21, v21, v22
	v_not_b32_e32 v22, v112
	v_ashrrev_i32_e32 v26, 31, v26
	v_xor_b32_e32 v24, vcc_lo, v24
	v_cmp_gt_i32_e32 vcc_lo, 0, v112
	v_and_b32_e32 v21, v21, v23
	v_not_b32_e32 v23, v25
	v_ashrrev_i32_e32 v22, 31, v22
	v_xor_b32_e32 v26, s17, v26
	v_mul_u32_u24_e32 v20, 9, v20
	v_and_b32_e32 v21, v21, v24
	v_cmp_gt_i32_e64 s17, 0, v25
	v_ashrrev_i32_e32 v23, 31, v23
	v_xor_b32_e32 v22, vcc_lo, v22
	v_add_lshl_u32 v24, v20, v82, 2
	v_and_b32_e32 v21, v21, v26
	s_delay_alu instid0(VALU_DEP_4) | instskip(SKIP_3) | instid1(VALU_DEP_2)
	v_xor_b32_e32 v20, s17, v23
	ds_load_b32 v112, v24 offset:1056
	v_and_b32_e32 v21, v21, v22
	v_add_nc_u32_e32 v114, 0x420, v24
	; wave barrier
	v_and_b32_e32 v20, v21, v20
	s_delay_alu instid0(VALU_DEP_1) | instskip(SKIP_1) | instid1(VALU_DEP_2)
	v_mbcnt_lo_u32_b32 v113, v20, 0
	v_cmp_ne_u32_e64 s17, 0, v20
	v_cmp_eq_u32_e32 vcc_lo, 0, v113
	s_delay_alu instid0(VALU_DEP_2) | instskip(NEXT) | instid1(SALU_CYCLE_1)
	s_and_b32 s18, s17, vcc_lo
	s_and_saveexec_b32 s17, s18
	s_cbranch_execz .LBB223_604
; %bb.603:                              ;   in Loop: Header=BB223_574 Depth=2
	s_waitcnt lgkmcnt(0)
	v_bcnt_u32_b32 v20, v20, v112
	ds_store_b32 v114, v20
.LBB223_604:                            ;   in Loop: Header=BB223_574 Depth=2
	s_or_b32 exec_lo, exec_lo, s17
	v_and_b32_e32 v20, 0xff, v98
	; wave barrier
	s_delay_alu instid0(VALU_DEP_1) | instskip(NEXT) | instid1(VALU_DEP_1)
	v_lshrrev_b32_e32 v20, s49, v20
	v_and_b32_e32 v20, s31, v20
	s_delay_alu instid0(VALU_DEP_1)
	v_and_b32_e32 v21, 1, v20
	v_lshlrev_b32_e32 v22, 30, v20
	v_lshlrev_b32_e32 v23, 29, v20
	;; [unrolled: 1-line block ×4, first 2 shown]
	v_add_co_u32 v21, s17, v21, -1
	s_delay_alu instid0(VALU_DEP_1)
	v_cndmask_b32_e64 v25, 0, 1, s17
	v_not_b32_e32 v116, v22
	v_cmp_gt_i32_e64 s17, 0, v22
	v_not_b32_e32 v22, v23
	v_lshlrev_b32_e32 v27, 26, v20
	v_cmp_ne_u32_e32 vcc_lo, 0, v25
	v_ashrrev_i32_e32 v116, 31, v116
	v_lshlrev_b32_e32 v115, 25, v20
	v_ashrrev_i32_e32 v22, 31, v22
	v_lshlrev_b32_e32 v25, 24, v20
	v_xor_b32_e32 v21, vcc_lo, v21
	v_cmp_gt_i32_e32 vcc_lo, 0, v23
	v_not_b32_e32 v23, v24
	v_xor_b32_e32 v116, s17, v116
	v_cmp_gt_i32_e64 s17, 0, v24
	v_and_b32_e32 v21, exec_lo, v21
	v_not_b32_e32 v24, v26
	v_ashrrev_i32_e32 v23, 31, v23
	v_xor_b32_e32 v22, vcc_lo, v22
	v_cmp_gt_i32_e32 vcc_lo, 0, v26
	v_and_b32_e32 v21, v21, v116
	v_not_b32_e32 v26, v27
	v_ashrrev_i32_e32 v24, 31, v24
	v_xor_b32_e32 v23, s17, v23
	v_cmp_gt_i32_e64 s17, 0, v27
	v_and_b32_e32 v21, v21, v22
	v_not_b32_e32 v22, v115
	v_ashrrev_i32_e32 v26, 31, v26
	v_xor_b32_e32 v24, vcc_lo, v24
	v_cmp_gt_i32_e32 vcc_lo, 0, v115
	v_and_b32_e32 v21, v21, v23
	v_not_b32_e32 v23, v25
	v_ashrrev_i32_e32 v22, 31, v22
	v_xor_b32_e32 v26, s17, v26
	v_mul_u32_u24_e32 v20, 9, v20
	v_and_b32_e32 v21, v21, v24
	v_cmp_gt_i32_e64 s17, 0, v25
	v_ashrrev_i32_e32 v23, 31, v23
	v_xor_b32_e32 v22, vcc_lo, v22
	v_add_lshl_u32 v24, v20, v82, 2
	v_and_b32_e32 v21, v21, v26
	s_delay_alu instid0(VALU_DEP_4) | instskip(SKIP_3) | instid1(VALU_DEP_2)
	v_xor_b32_e32 v20, s17, v23
	ds_load_b32 v115, v24 offset:1056
	v_and_b32_e32 v21, v21, v22
	v_add_nc_u32_e32 v117, 0x420, v24
	; wave barrier
	v_and_b32_e32 v20, v21, v20
	s_delay_alu instid0(VALU_DEP_1) | instskip(SKIP_1) | instid1(VALU_DEP_2)
	v_mbcnt_lo_u32_b32 v116, v20, 0
	v_cmp_ne_u32_e64 s17, 0, v20
	v_cmp_eq_u32_e32 vcc_lo, 0, v116
	s_delay_alu instid0(VALU_DEP_2) | instskip(NEXT) | instid1(SALU_CYCLE_1)
	s_and_b32 s18, s17, vcc_lo
	s_and_saveexec_b32 s17, s18
	s_cbranch_execz .LBB223_606
; %bb.605:                              ;   in Loop: Header=BB223_574 Depth=2
	s_waitcnt lgkmcnt(0)
	v_bcnt_u32_b32 v20, v20, v115
	ds_store_b32 v117, v20
.LBB223_606:                            ;   in Loop: Header=BB223_574 Depth=2
	s_or_b32 exec_lo, exec_lo, s17
	v_and_b32_e32 v20, 0xff, v99
	; wave barrier
	s_delay_alu instid0(VALU_DEP_1) | instskip(NEXT) | instid1(VALU_DEP_1)
	v_lshrrev_b32_e32 v20, s49, v20
	v_and_b32_e32 v20, s31, v20
	s_delay_alu instid0(VALU_DEP_1)
	v_and_b32_e32 v21, 1, v20
	v_lshlrev_b32_e32 v22, 30, v20
	v_lshlrev_b32_e32 v23, 29, v20
	;; [unrolled: 1-line block ×4, first 2 shown]
	v_add_co_u32 v21, s17, v21, -1
	s_delay_alu instid0(VALU_DEP_1)
	v_cndmask_b32_e64 v25, 0, 1, s17
	v_not_b32_e32 v119, v22
	v_cmp_gt_i32_e64 s17, 0, v22
	v_not_b32_e32 v22, v23
	v_lshlrev_b32_e32 v27, 26, v20
	v_cmp_ne_u32_e32 vcc_lo, 0, v25
	v_ashrrev_i32_e32 v119, 31, v119
	v_lshlrev_b32_e32 v118, 25, v20
	v_ashrrev_i32_e32 v22, 31, v22
	v_lshlrev_b32_e32 v25, 24, v20
	v_xor_b32_e32 v21, vcc_lo, v21
	v_cmp_gt_i32_e32 vcc_lo, 0, v23
	v_not_b32_e32 v23, v24
	v_xor_b32_e32 v119, s17, v119
	v_cmp_gt_i32_e64 s17, 0, v24
	v_and_b32_e32 v21, exec_lo, v21
	v_not_b32_e32 v24, v26
	v_ashrrev_i32_e32 v23, 31, v23
	v_xor_b32_e32 v22, vcc_lo, v22
	v_cmp_gt_i32_e32 vcc_lo, 0, v26
	v_and_b32_e32 v21, v21, v119
	v_not_b32_e32 v26, v27
	v_ashrrev_i32_e32 v24, 31, v24
	v_xor_b32_e32 v23, s17, v23
	v_cmp_gt_i32_e64 s17, 0, v27
	v_and_b32_e32 v21, v21, v22
	v_not_b32_e32 v22, v118
	v_ashrrev_i32_e32 v26, 31, v26
	v_xor_b32_e32 v24, vcc_lo, v24
	v_cmp_gt_i32_e32 vcc_lo, 0, v118
	v_and_b32_e32 v21, v21, v23
	v_not_b32_e32 v23, v25
	v_ashrrev_i32_e32 v22, 31, v22
	v_xor_b32_e32 v26, s17, v26
	v_mul_u32_u24_e32 v20, 9, v20
	v_and_b32_e32 v21, v21, v24
	v_cmp_gt_i32_e64 s17, 0, v25
	v_ashrrev_i32_e32 v23, 31, v23
	v_xor_b32_e32 v22, vcc_lo, v22
	v_add_lshl_u32 v24, v20, v82, 2
	v_and_b32_e32 v21, v21, v26
	s_delay_alu instid0(VALU_DEP_4) | instskip(SKIP_3) | instid1(VALU_DEP_2)
	v_xor_b32_e32 v20, s17, v23
	ds_load_b32 v118, v24 offset:1056
	v_and_b32_e32 v21, v21, v22
	v_add_nc_u32_e32 v120, 0x420, v24
	; wave barrier
	v_and_b32_e32 v20, v21, v20
	s_delay_alu instid0(VALU_DEP_1) | instskip(SKIP_1) | instid1(VALU_DEP_2)
	v_mbcnt_lo_u32_b32 v119, v20, 0
	v_cmp_ne_u32_e64 s17, 0, v20
	v_cmp_eq_u32_e32 vcc_lo, 0, v119
	s_delay_alu instid0(VALU_DEP_2) | instskip(NEXT) | instid1(SALU_CYCLE_1)
	s_and_b32 s18, s17, vcc_lo
	s_and_saveexec_b32 s17, s18
	s_cbranch_execz .LBB223_608
; %bb.607:                              ;   in Loop: Header=BB223_574 Depth=2
	s_waitcnt lgkmcnt(0)
	v_bcnt_u32_b32 v20, v20, v118
	ds_store_b32 v120, v20
.LBB223_608:                            ;   in Loop: Header=BB223_574 Depth=2
	s_or_b32 exec_lo, exec_lo, s17
	v_and_b32_e32 v20, 0xff, v100
	; wave barrier
	s_delay_alu instid0(VALU_DEP_1) | instskip(NEXT) | instid1(VALU_DEP_1)
	v_lshrrev_b32_e32 v20, s49, v20
	v_and_b32_e32 v20, s31, v20
	s_delay_alu instid0(VALU_DEP_1)
	v_and_b32_e32 v21, 1, v20
	v_lshlrev_b32_e32 v22, 30, v20
	v_lshlrev_b32_e32 v23, 29, v20
	;; [unrolled: 1-line block ×4, first 2 shown]
	v_add_co_u32 v21, s17, v21, -1
	s_delay_alu instid0(VALU_DEP_1)
	v_cndmask_b32_e64 v25, 0, 1, s17
	v_not_b32_e32 v122, v22
	v_cmp_gt_i32_e64 s17, 0, v22
	v_not_b32_e32 v22, v23
	v_lshlrev_b32_e32 v27, 26, v20
	v_cmp_ne_u32_e32 vcc_lo, 0, v25
	v_ashrrev_i32_e32 v122, 31, v122
	v_lshlrev_b32_e32 v121, 25, v20
	v_ashrrev_i32_e32 v22, 31, v22
	v_lshlrev_b32_e32 v25, 24, v20
	v_xor_b32_e32 v21, vcc_lo, v21
	v_cmp_gt_i32_e32 vcc_lo, 0, v23
	v_not_b32_e32 v23, v24
	v_xor_b32_e32 v122, s17, v122
	v_cmp_gt_i32_e64 s17, 0, v24
	v_and_b32_e32 v21, exec_lo, v21
	v_not_b32_e32 v24, v26
	v_ashrrev_i32_e32 v23, 31, v23
	v_xor_b32_e32 v22, vcc_lo, v22
	v_cmp_gt_i32_e32 vcc_lo, 0, v26
	v_and_b32_e32 v21, v21, v122
	v_not_b32_e32 v26, v27
	v_ashrrev_i32_e32 v24, 31, v24
	v_xor_b32_e32 v23, s17, v23
	v_cmp_gt_i32_e64 s17, 0, v27
	v_and_b32_e32 v21, v21, v22
	v_not_b32_e32 v22, v121
	v_ashrrev_i32_e32 v26, 31, v26
	v_xor_b32_e32 v24, vcc_lo, v24
	v_cmp_gt_i32_e32 vcc_lo, 0, v121
	v_and_b32_e32 v21, v21, v23
	v_not_b32_e32 v23, v25
	v_ashrrev_i32_e32 v22, 31, v22
	v_xor_b32_e32 v26, s17, v26
	v_mul_u32_u24_e32 v20, 9, v20
	v_and_b32_e32 v21, v21, v24
	v_cmp_gt_i32_e64 s17, 0, v25
	v_ashrrev_i32_e32 v23, 31, v23
	v_xor_b32_e32 v22, vcc_lo, v22
	v_add_lshl_u32 v24, v20, v82, 2
	v_and_b32_e32 v21, v21, v26
	s_delay_alu instid0(VALU_DEP_4) | instskip(SKIP_3) | instid1(VALU_DEP_2)
	v_xor_b32_e32 v20, s17, v23
	ds_load_b32 v121, v24 offset:1056
	v_and_b32_e32 v21, v21, v22
	v_add_nc_u32_e32 v123, 0x420, v24
	; wave barrier
	v_and_b32_e32 v20, v21, v20
	s_delay_alu instid0(VALU_DEP_1) | instskip(SKIP_1) | instid1(VALU_DEP_2)
	v_mbcnt_lo_u32_b32 v122, v20, 0
	v_cmp_ne_u32_e64 s17, 0, v20
	v_cmp_eq_u32_e32 vcc_lo, 0, v122
	s_delay_alu instid0(VALU_DEP_2) | instskip(NEXT) | instid1(SALU_CYCLE_1)
	s_and_b32 s18, s17, vcc_lo
	s_and_saveexec_b32 s17, s18
	s_cbranch_execz .LBB223_610
; %bb.609:                              ;   in Loop: Header=BB223_574 Depth=2
	s_waitcnt lgkmcnt(0)
	v_bcnt_u32_b32 v20, v20, v121
	ds_store_b32 v123, v20
.LBB223_610:                            ;   in Loop: Header=BB223_574 Depth=2
	s_or_b32 exec_lo, exec_lo, s17
	; wave barrier
	s_waitcnt lgkmcnt(0)
	s_barrier
	buffer_gl0_inv
	ds_load_b32 v124, v46 offset:1056
	ds_load_2addr_b32 v[26:27], v47 offset0:1 offset1:2
	ds_load_2addr_b32 v[24:25], v47 offset0:3 offset1:4
	;; [unrolled: 1-line block ×4, first 2 shown]
	s_waitcnt lgkmcnt(3)
	v_add3_u32 v125, v26, v124, v27
	s_waitcnt lgkmcnt(2)
	s_delay_alu instid0(VALU_DEP_1) | instskip(SKIP_1) | instid1(VALU_DEP_1)
	v_add3_u32 v125, v125, v24, v25
	s_waitcnt lgkmcnt(1)
	v_add3_u32 v125, v125, v20, v21
	s_waitcnt lgkmcnt(0)
	s_delay_alu instid0(VALU_DEP_1) | instskip(NEXT) | instid1(VALU_DEP_1)
	v_add3_u32 v23, v125, v22, v23
	v_mov_b32_dpp v125, v23 row_shr:1 row_mask:0xf bank_mask:0xf
	s_delay_alu instid0(VALU_DEP_1) | instskip(NEXT) | instid1(VALU_DEP_1)
	v_cndmask_b32_e64 v125, v125, 0, s0
	v_add_nc_u32_e32 v23, v125, v23
	s_delay_alu instid0(VALU_DEP_1) | instskip(NEXT) | instid1(VALU_DEP_1)
	v_mov_b32_dpp v125, v23 row_shr:2 row_mask:0xf bank_mask:0xf
	v_cndmask_b32_e64 v125, 0, v125, s1
	s_delay_alu instid0(VALU_DEP_1) | instskip(NEXT) | instid1(VALU_DEP_1)
	v_add_nc_u32_e32 v23, v23, v125
	v_mov_b32_dpp v125, v23 row_shr:4 row_mask:0xf bank_mask:0xf
	s_delay_alu instid0(VALU_DEP_1) | instskip(NEXT) | instid1(VALU_DEP_1)
	v_cndmask_b32_e64 v125, 0, v125, s8
	v_add_nc_u32_e32 v23, v23, v125
	s_delay_alu instid0(VALU_DEP_1) | instskip(NEXT) | instid1(VALU_DEP_1)
	v_mov_b32_dpp v125, v23 row_shr:8 row_mask:0xf bank_mask:0xf
	v_cndmask_b32_e64 v125, 0, v125, s9
	s_delay_alu instid0(VALU_DEP_1) | instskip(SKIP_3) | instid1(VALU_DEP_1)
	v_add_nc_u32_e32 v23, v23, v125
	ds_swizzle_b32 v125, v23 offset:swizzle(BROADCAST,32,15)
	s_waitcnt lgkmcnt(0)
	v_cndmask_b32_e64 v125, v125, 0, s10
	v_add_nc_u32_e32 v23, v23, v125
	s_and_saveexec_b32 s17, s3
	s_cbranch_execz .LBB223_612
; %bb.611:                              ;   in Loop: Header=BB223_574 Depth=2
	ds_store_b32 v38, v23 offset:1024
.LBB223_612:                            ;   in Loop: Header=BB223_574 Depth=2
	s_or_b32 exec_lo, exec_lo, s17
	s_waitcnt lgkmcnt(0)
	s_barrier
	buffer_gl0_inv
	s_and_saveexec_b32 s17, s4
	s_cbranch_execz .LBB223_614
; %bb.613:                              ;   in Loop: Header=BB223_574 Depth=2
	v_add_nc_u32_e32 v125, v46, v48
	ds_load_b32 v126, v125 offset:1024
	s_waitcnt lgkmcnt(0)
	v_mov_b32_dpp v127, v126 row_shr:1 row_mask:0xf bank_mask:0xf
	s_delay_alu instid0(VALU_DEP_1) | instskip(NEXT) | instid1(VALU_DEP_1)
	v_cndmask_b32_e64 v127, v127, 0, s12
	v_add_nc_u32_e32 v126, v127, v126
	s_delay_alu instid0(VALU_DEP_1) | instskip(NEXT) | instid1(VALU_DEP_1)
	v_mov_b32_dpp v127, v126 row_shr:2 row_mask:0xf bank_mask:0xf
	v_cndmask_b32_e64 v127, 0, v127, s13
	s_delay_alu instid0(VALU_DEP_1) | instskip(NEXT) | instid1(VALU_DEP_1)
	v_add_nc_u32_e32 v126, v126, v127
	v_mov_b32_dpp v127, v126 row_shr:4 row_mask:0xf bank_mask:0xf
	s_delay_alu instid0(VALU_DEP_1) | instskip(NEXT) | instid1(VALU_DEP_1)
	v_cndmask_b32_e64 v127, 0, v127, s16
	v_add_nc_u32_e32 v126, v126, v127
	ds_store_b32 v125, v126 offset:1024
.LBB223_614:                            ;   in Loop: Header=BB223_574 Depth=2
	s_or_b32 exec_lo, exec_lo, s17
	v_mov_b32_e32 v125, 0
	s_waitcnt lgkmcnt(0)
	s_barrier
	buffer_gl0_inv
	s_and_saveexec_b32 s17, s5
	s_cbranch_execz .LBB223_616
; %bb.615:                              ;   in Loop: Header=BB223_574 Depth=2
	ds_load_b32 v125, v38 offset:1020
.LBB223_616:                            ;   in Loop: Header=BB223_574 Depth=2
	s_or_b32 exec_lo, exec_lo, s17
	s_waitcnt lgkmcnt(0)
	v_add_nc_u32_e32 v23, v125, v23
	ds_bpermute_b32 v23, v69, v23
	s_waitcnt lgkmcnt(0)
	v_cndmask_b32_e64 v23, v23, v125, s11
	s_delay_alu instid0(VALU_DEP_1) | instskip(NEXT) | instid1(VALU_DEP_1)
	v_cndmask_b32_e64 v23, v23, 0, s6
	v_add_nc_u32_e32 v124, v23, v124
	s_delay_alu instid0(VALU_DEP_1) | instskip(NEXT) | instid1(VALU_DEP_1)
	v_add_nc_u32_e32 v26, v124, v26
	v_add_nc_u32_e32 v27, v26, v27
	s_delay_alu instid0(VALU_DEP_1) | instskip(NEXT) | instid1(VALU_DEP_1)
	v_add_nc_u32_e32 v24, v27, v24
	;; [unrolled: 3-line block ×3, first 2 shown]
	v_add_nc_u32_e32 v21, v20, v21
	s_delay_alu instid0(VALU_DEP_1)
	v_add_nc_u32_e32 v22, v21, v22
	ds_store_b32 v46, v23 offset:1056
	ds_store_2addr_b32 v47, v124, v26 offset0:1 offset1:2
	ds_store_2addr_b32 v47, v27, v24 offset0:3 offset1:4
	;; [unrolled: 1-line block ×4, first 2 shown]
	v_mov_b32_e32 v22, 0x800
	s_waitcnt lgkmcnt(0)
	s_barrier
	buffer_gl0_inv
	ds_load_b32 v20, v105
	ds_load_b32 v21, v108
	ds_load_b32 v23, v111
	ds_load_b32 v24, v114
	ds_load_b32 v25, v117
	ds_load_b32 v108, v120
	ds_load_b32 v111, v123
	ds_load_b32 v26, v102
	ds_load_b32 v27, v46 offset:1056
	s_and_saveexec_b32 s17, s7
	s_cbranch_execz .LBB223_618
; %bb.617:                              ;   in Loop: Header=BB223_574 Depth=2
	ds_load_b32 v22, v49 offset:1056
.LBB223_618:                            ;   in Loop: Header=BB223_574 Depth=2
	s_or_b32 exec_lo, exec_lo, s17
	s_waitcnt lgkmcnt(0)
	s_barrier
	buffer_gl0_inv
	s_and_saveexec_b32 s17, s2
	s_cbranch_execz .LBB223_620
; %bb.619:                              ;   in Loop: Header=BB223_574 Depth=2
	ds_load_b32 v102, v28
	s_waitcnt lgkmcnt(0)
	v_sub_nc_u32_e32 v27, v102, v27
	ds_store_b32 v28, v27
.LBB223_620:                            ;   in Loop: Header=BB223_574 Depth=2
	s_or_b32 exec_lo, exec_lo, s17
	v_add_nc_u32_e32 v105, v26, v101
	v_add3_u32 v102, v104, v103, v20
	v_add3_u32 v101, v107, v106, v21
	;; [unrolled: 1-line block ×7, first 2 shown]
	v_cmp_lt_u32_e64 s23, v1, v2
	ds_store_b8 v105, v93 offset:1024
	ds_store_b8 v102, v94 offset:1024
	;; [unrolled: 1-line block ×8, first 2 shown]
	s_waitcnt lgkmcnt(0)
	s_barrier
	buffer_gl0_inv
	s_and_saveexec_b32 s17, s23
	s_cbranch_execz .LBB223_628
; %bb.621:                              ;   in Loop: Header=BB223_574 Depth=2
	ds_load_u8 v20, v1 offset:1024
	s_waitcnt lgkmcnt(0)
	v_and_b32_e32 v21, 0xff, v20
	s_delay_alu instid0(VALU_DEP_1) | instskip(NEXT) | instid1(VALU_DEP_1)
	v_lshrrev_b32_e32 v21, s49, v21
	v_and_b32_e32 v21, s31, v21
	s_delay_alu instid0(VALU_DEP_1)
	v_lshlrev_b32_e32 v21, 2, v21
	ds_load_b32 v21, v21
	s_waitcnt lgkmcnt(0)
	v_add_nc_u32_e32 v21, v21, v1
	global_store_b8 v21, v20, s[40:41]
	s_or_b32 exec_lo, exec_lo, s17
	v_cmp_lt_u32_e64 s22, v29, v2
	s_delay_alu instid0(VALU_DEP_1)
	s_and_saveexec_b32 s17, s22
	s_cbranch_execnz .LBB223_629
.LBB223_622:                            ;   in Loop: Header=BB223_574 Depth=2
	s_or_b32 exec_lo, exec_lo, s17
	v_cmp_lt_u32_e64 s21, v30, v2
	s_delay_alu instid0(VALU_DEP_1)
	s_and_saveexec_b32 s17, s21
	s_cbranch_execz .LBB223_630
.LBB223_623:                            ;   in Loop: Header=BB223_574 Depth=2
	ds_load_u8 v20, v35 offset:512
	s_waitcnt lgkmcnt(0)
	v_and_b32_e32 v21, 0xff, v20
	s_delay_alu instid0(VALU_DEP_1) | instskip(NEXT) | instid1(VALU_DEP_1)
	v_lshrrev_b32_e32 v21, s49, v21
	v_and_b32_e32 v21, s31, v21
	s_delay_alu instid0(VALU_DEP_1)
	v_lshlrev_b32_e32 v21, 2, v21
	ds_load_b32 v21, v21
	s_waitcnt lgkmcnt(0)
	v_add_nc_u32_e32 v21, v21, v30
	global_store_b8 v21, v20, s[40:41]
	s_or_b32 exec_lo, exec_lo, s17
	v_cmp_lt_u32_e64 s20, v31, v2
	s_delay_alu instid0(VALU_DEP_1)
	s_and_saveexec_b32 s17, s20
	s_cbranch_execnz .LBB223_631
.LBB223_624:                            ;   in Loop: Header=BB223_574 Depth=2
	s_or_b32 exec_lo, exec_lo, s17
	v_cmp_lt_u32_e64 s19, v35, v2
	s_delay_alu instid0(VALU_DEP_1)
	s_and_saveexec_b32 s17, s19
	s_cbranch_execz .LBB223_632
.LBB223_625:                            ;   in Loop: Header=BB223_574 Depth=2
	ds_load_u8 v20, v35 offset:1024
	s_waitcnt lgkmcnt(0)
	v_and_b32_e32 v21, 0xff, v20
	s_delay_alu instid0(VALU_DEP_1) | instskip(NEXT) | instid1(VALU_DEP_1)
	v_lshrrev_b32_e32 v21, s49, v21
	v_and_b32_e32 v21, s31, v21
	s_delay_alu instid0(VALU_DEP_1)
	v_lshlrev_b32_e32 v21, 2, v21
	ds_load_b32 v21, v21
	s_waitcnt lgkmcnt(0)
	v_add_nc_u32_e32 v21, v21, v35
	global_store_b8 v21, v20, s[40:41]
	s_or_b32 exec_lo, exec_lo, s17
	v_cmp_lt_u32_e64 s18, v36, v2
	s_delay_alu instid0(VALU_DEP_1)
	s_and_saveexec_b32 s17, s18
	s_cbranch_execnz .LBB223_633
.LBB223_626:                            ;   in Loop: Header=BB223_574 Depth=2
	s_or_b32 exec_lo, exec_lo, s17
	v_cmp_lt_u32_e64 s17, v37, v2
	s_delay_alu instid0(VALU_DEP_1)
	s_and_saveexec_b32 s43, s17
	s_cbranch_execz .LBB223_634
.LBB223_627:                            ;   in Loop: Header=BB223_574 Depth=2
	ds_load_u8 v20, v35 offset:1536
	s_waitcnt lgkmcnt(0)
	v_and_b32_e32 v21, 0xff, v20
	s_delay_alu instid0(VALU_DEP_1) | instskip(NEXT) | instid1(VALU_DEP_1)
	v_lshrrev_b32_e32 v21, s49, v21
	v_and_b32_e32 v21, s31, v21
	s_delay_alu instid0(VALU_DEP_1)
	v_lshlrev_b32_e32 v21, 2, v21
	ds_load_b32 v21, v21
	s_waitcnt lgkmcnt(0)
	v_add_nc_u32_e32 v21, v21, v37
	global_store_b8 v21, v20, s[40:41]
	s_or_b32 exec_lo, exec_lo, s43
	v_cmp_lt_u32_e32 vcc_lo, v39, v2
	s_and_saveexec_b32 s43, vcc_lo
	s_cbranch_execnz .LBB223_635
	s_branch .LBB223_636
.LBB223_628:                            ;   in Loop: Header=BB223_574 Depth=2
	s_or_b32 exec_lo, exec_lo, s17
	v_cmp_lt_u32_e64 s22, v29, v2
	s_delay_alu instid0(VALU_DEP_1)
	s_and_saveexec_b32 s17, s22
	s_cbranch_execz .LBB223_622
.LBB223_629:                            ;   in Loop: Header=BB223_574 Depth=2
	ds_load_u8 v20, v35 offset:256
	s_waitcnt lgkmcnt(0)
	v_and_b32_e32 v21, 0xff, v20
	s_delay_alu instid0(VALU_DEP_1) | instskip(NEXT) | instid1(VALU_DEP_1)
	v_lshrrev_b32_e32 v21, s49, v21
	v_and_b32_e32 v21, s31, v21
	s_delay_alu instid0(VALU_DEP_1)
	v_lshlrev_b32_e32 v21, 2, v21
	ds_load_b32 v21, v21
	s_waitcnt lgkmcnt(0)
	v_add_nc_u32_e32 v21, v21, v29
	global_store_b8 v21, v20, s[40:41]
	s_or_b32 exec_lo, exec_lo, s17
	v_cmp_lt_u32_e64 s21, v30, v2
	s_delay_alu instid0(VALU_DEP_1)
	s_and_saveexec_b32 s17, s21
	s_cbranch_execnz .LBB223_623
.LBB223_630:                            ;   in Loop: Header=BB223_574 Depth=2
	s_or_b32 exec_lo, exec_lo, s17
	v_cmp_lt_u32_e64 s20, v31, v2
	s_delay_alu instid0(VALU_DEP_1)
	s_and_saveexec_b32 s17, s20
	s_cbranch_execz .LBB223_624
.LBB223_631:                            ;   in Loop: Header=BB223_574 Depth=2
	ds_load_u8 v20, v35 offset:768
	s_waitcnt lgkmcnt(0)
	v_and_b32_e32 v21, 0xff, v20
	s_delay_alu instid0(VALU_DEP_1) | instskip(NEXT) | instid1(VALU_DEP_1)
	v_lshrrev_b32_e32 v21, s49, v21
	v_and_b32_e32 v21, s31, v21
	s_delay_alu instid0(VALU_DEP_1)
	v_lshlrev_b32_e32 v21, 2, v21
	ds_load_b32 v21, v21
	s_waitcnt lgkmcnt(0)
	v_add_nc_u32_e32 v21, v21, v31
	global_store_b8 v21, v20, s[40:41]
	s_or_b32 exec_lo, exec_lo, s17
	v_cmp_lt_u32_e64 s19, v35, v2
	s_delay_alu instid0(VALU_DEP_1)
	s_and_saveexec_b32 s17, s19
	s_cbranch_execnz .LBB223_625
.LBB223_632:                            ;   in Loop: Header=BB223_574 Depth=2
	s_or_b32 exec_lo, exec_lo, s17
	v_cmp_lt_u32_e64 s18, v36, v2
	s_delay_alu instid0(VALU_DEP_1)
	s_and_saveexec_b32 s17, s18
	s_cbranch_execz .LBB223_626
.LBB223_633:                            ;   in Loop: Header=BB223_574 Depth=2
	ds_load_u8 v20, v35 offset:1280
	s_waitcnt lgkmcnt(0)
	v_and_b32_e32 v21, 0xff, v20
	s_delay_alu instid0(VALU_DEP_1) | instskip(NEXT) | instid1(VALU_DEP_1)
	v_lshrrev_b32_e32 v21, s49, v21
	v_and_b32_e32 v21, s31, v21
	s_delay_alu instid0(VALU_DEP_1)
	v_lshlrev_b32_e32 v21, 2, v21
	ds_load_b32 v21, v21
	s_waitcnt lgkmcnt(0)
	v_add_nc_u32_e32 v21, v21, v36
	global_store_b8 v21, v20, s[40:41]
	s_or_b32 exec_lo, exec_lo, s17
	v_cmp_lt_u32_e64 s17, v37, v2
	s_delay_alu instid0(VALU_DEP_1)
	s_and_saveexec_b32 s43, s17
	s_cbranch_execnz .LBB223_627
.LBB223_634:                            ;   in Loop: Header=BB223_574 Depth=2
	s_or_b32 exec_lo, exec_lo, s43
	v_cmp_lt_u32_e32 vcc_lo, v39, v2
	s_and_saveexec_b32 s43, vcc_lo
	s_cbranch_execz .LBB223_636
.LBB223_635:                            ;   in Loop: Header=BB223_574 Depth=2
	ds_load_u8 v20, v35 offset:1792
	s_waitcnt lgkmcnt(0)
	v_and_b32_e32 v21, 0xff, v20
	s_delay_alu instid0(VALU_DEP_1) | instskip(NEXT) | instid1(VALU_DEP_1)
	v_lshrrev_b32_e32 v21, s49, v21
	v_and_b32_e32 v21, s31, v21
	s_delay_alu instid0(VALU_DEP_1)
	v_lshlrev_b32_e32 v21, 2, v21
	ds_load_b32 v21, v21
	s_waitcnt lgkmcnt(0)
	v_add_nc_u32_e32 v21, v21, v39
	global_store_b8 v21, v20, s[40:41]
.LBB223_636:                            ;   in Loop: Header=BB223_574 Depth=2
	s_or_b32 exec_lo, exec_lo, s43
	s_lshl_b64 s[52:53], s[24:25], 3
	s_delay_alu instid0(SALU_CYCLE_1) | instskip(NEXT) | instid1(VALU_DEP_1)
	v_add_co_u32 v20, s24, v73, s52
	v_add_co_ci_u32_e64 v21, s24, s53, v74, s24
	v_cmp_lt_u32_e64 s24, v70, v2
	s_delay_alu instid0(VALU_DEP_1) | instskip(NEXT) | instid1(SALU_CYCLE_1)
	s_and_saveexec_b32 s43, s24
	s_xor_b32 s24, exec_lo, s43
	s_cbranch_execz .LBB223_652
; %bb.637:                              ;   in Loop: Header=BB223_574 Depth=2
	global_load_b64 v[18:19], v[20:21], off
	s_or_b32 exec_lo, exec_lo, s24
	s_delay_alu instid0(SALU_CYCLE_1)
	s_mov_b32 s43, exec_lo
	v_cmpx_lt_u32_e64 v75, v2
	s_cbranch_execnz .LBB223_653
.LBB223_638:                            ;   in Loop: Header=BB223_574 Depth=2
	s_or_b32 exec_lo, exec_lo, s43
	s_delay_alu instid0(SALU_CYCLE_1)
	s_mov_b32 s43, exec_lo
	v_cmpx_lt_u32_e64 v76, v2
	s_cbranch_execz .LBB223_654
.LBB223_639:                            ;   in Loop: Header=BB223_574 Depth=2
	global_load_b64 v[14:15], v[20:21], off offset:512
	s_or_b32 exec_lo, exec_lo, s43
	s_delay_alu instid0(SALU_CYCLE_1)
	s_mov_b32 s43, exec_lo
	v_cmpx_lt_u32_e64 v77, v2
	s_cbranch_execnz .LBB223_655
.LBB223_640:                            ;   in Loop: Header=BB223_574 Depth=2
	s_or_b32 exec_lo, exec_lo, s43
	s_delay_alu instid0(SALU_CYCLE_1)
	s_mov_b32 s43, exec_lo
	v_cmpx_lt_u32_e64 v78, v2
	s_cbranch_execz .LBB223_656
.LBB223_641:                            ;   in Loop: Header=BB223_574 Depth=2
	global_load_b64 v[10:11], v[20:21], off offset:1024
	s_or_b32 exec_lo, exec_lo, s43
	s_delay_alu instid0(SALU_CYCLE_1)
	s_mov_b32 s43, exec_lo
	v_cmpx_lt_u32_e64 v79, v2
	s_cbranch_execnz .LBB223_657
.LBB223_642:                            ;   in Loop: Header=BB223_574 Depth=2
	s_or_b32 exec_lo, exec_lo, s43
	s_delay_alu instid0(SALU_CYCLE_1)
	s_mov_b32 s43, exec_lo
	v_cmpx_lt_u32_e64 v80, v2
	s_cbranch_execz .LBB223_658
.LBB223_643:                            ;   in Loop: Header=BB223_574 Depth=2
	global_load_b64 v[6:7], v[20:21], off offset:1536
	s_or_b32 exec_lo, exec_lo, s43
	s_delay_alu instid0(SALU_CYCLE_1)
	s_mov_b32 s43, exec_lo
	v_cmpx_lt_u32_e64 v81, v2
	s_cbranch_execnz .LBB223_659
.LBB223_644:                            ;   in Loop: Header=BB223_574 Depth=2
	s_or_b32 exec_lo, exec_lo, s43
	s_and_saveexec_b32 s24, s23
	s_cbranch_execz .LBB223_660
.LBB223_645:                            ;   in Loop: Header=BB223_574 Depth=2
	ds_load_u8 v2, v1 offset:1024
	s_waitcnt lgkmcnt(0)
	v_lshrrev_b32_e32 v2, s49, v2
	s_delay_alu instid0(VALU_DEP_1)
	v_and_b32_e32 v92, s31, v2
	s_or_b32 exec_lo, exec_lo, s24
	s_and_saveexec_b32 s24, s22
	s_cbranch_execnz .LBB223_661
.LBB223_646:                            ;   in Loop: Header=BB223_574 Depth=2
	s_or_b32 exec_lo, exec_lo, s24
	s_and_saveexec_b32 s24, s21
	s_cbranch_execz .LBB223_662
.LBB223_647:                            ;   in Loop: Header=BB223_574 Depth=2
	ds_load_u8 v2, v35 offset:512
	s_waitcnt lgkmcnt(0)
	v_lshrrev_b32_e32 v2, s49, v2
	s_delay_alu instid0(VALU_DEP_1)
	v_and_b32_e32 v90, s31, v2
	s_or_b32 exec_lo, exec_lo, s24
	s_and_saveexec_b32 s24, s20
	s_cbranch_execnz .LBB223_663
.LBB223_648:                            ;   in Loop: Header=BB223_574 Depth=2
	s_or_b32 exec_lo, exec_lo, s24
	s_and_saveexec_b32 s24, s19
	s_cbranch_execz .LBB223_664
.LBB223_649:                            ;   in Loop: Header=BB223_574 Depth=2
	ds_load_u8 v2, v35 offset:1024
	s_waitcnt lgkmcnt(0)
	v_lshrrev_b32_e32 v2, s49, v2
	s_delay_alu instid0(VALU_DEP_1)
	v_and_b32_e32 v88, s31, v2
	s_or_b32 exec_lo, exec_lo, s24
	s_and_saveexec_b32 s24, s18
	s_cbranch_execnz .LBB223_665
.LBB223_650:                            ;   in Loop: Header=BB223_574 Depth=2
	s_or_b32 exec_lo, exec_lo, s24
	s_and_saveexec_b32 s24, s17
	s_cbranch_execz .LBB223_666
.LBB223_651:                            ;   in Loop: Header=BB223_574 Depth=2
	ds_load_u8 v2, v35 offset:1536
	s_waitcnt lgkmcnt(0)
	v_lshrrev_b32_e32 v2, s49, v2
	s_delay_alu instid0(VALU_DEP_1)
	v_and_b32_e32 v86, s31, v2
	s_or_b32 exec_lo, exec_lo, s24
	s_and_saveexec_b32 s24, vcc_lo
	s_cbranch_execnz .LBB223_667
	s_branch .LBB223_668
.LBB223_652:                            ;   in Loop: Header=BB223_574 Depth=2
	s_or_b32 exec_lo, exec_lo, s24
	s_delay_alu instid0(SALU_CYCLE_1)
	s_mov_b32 s43, exec_lo
	v_cmpx_lt_u32_e64 v75, v2
	s_cbranch_execz .LBB223_638
.LBB223_653:                            ;   in Loop: Header=BB223_574 Depth=2
	global_load_b64 v[16:17], v[20:21], off offset:256
	s_or_b32 exec_lo, exec_lo, s43
	s_delay_alu instid0(SALU_CYCLE_1)
	s_mov_b32 s43, exec_lo
	v_cmpx_lt_u32_e64 v76, v2
	s_cbranch_execnz .LBB223_639
.LBB223_654:                            ;   in Loop: Header=BB223_574 Depth=2
	s_or_b32 exec_lo, exec_lo, s43
	s_delay_alu instid0(SALU_CYCLE_1)
	s_mov_b32 s43, exec_lo
	v_cmpx_lt_u32_e64 v77, v2
	s_cbranch_execz .LBB223_640
.LBB223_655:                            ;   in Loop: Header=BB223_574 Depth=2
	global_load_b64 v[12:13], v[20:21], off offset:768
	s_or_b32 exec_lo, exec_lo, s43
	s_delay_alu instid0(SALU_CYCLE_1)
	s_mov_b32 s43, exec_lo
	v_cmpx_lt_u32_e64 v78, v2
	s_cbranch_execnz .LBB223_641
.LBB223_656:                            ;   in Loop: Header=BB223_574 Depth=2
	s_or_b32 exec_lo, exec_lo, s43
	s_delay_alu instid0(SALU_CYCLE_1)
	s_mov_b32 s43, exec_lo
	v_cmpx_lt_u32_e64 v79, v2
	s_cbranch_execz .LBB223_642
.LBB223_657:                            ;   in Loop: Header=BB223_574 Depth=2
	global_load_b64 v[8:9], v[20:21], off offset:1280
	s_or_b32 exec_lo, exec_lo, s43
	s_delay_alu instid0(SALU_CYCLE_1)
	s_mov_b32 s43, exec_lo
	v_cmpx_lt_u32_e64 v80, v2
	s_cbranch_execnz .LBB223_643
.LBB223_658:                            ;   in Loop: Header=BB223_574 Depth=2
	s_or_b32 exec_lo, exec_lo, s43
	s_delay_alu instid0(SALU_CYCLE_1)
	s_mov_b32 s43, exec_lo
	v_cmpx_lt_u32_e64 v81, v2
	s_cbranch_execz .LBB223_644
.LBB223_659:                            ;   in Loop: Header=BB223_574 Depth=2
	global_load_b64 v[4:5], v[20:21], off offset:1792
	s_or_b32 exec_lo, exec_lo, s43
	s_and_saveexec_b32 s24, s23
	s_cbranch_execnz .LBB223_645
.LBB223_660:                            ;   in Loop: Header=BB223_574 Depth=2
	s_or_b32 exec_lo, exec_lo, s24
	s_and_saveexec_b32 s24, s22
	s_cbranch_execz .LBB223_646
.LBB223_661:                            ;   in Loop: Header=BB223_574 Depth=2
	ds_load_u8 v2, v35 offset:256
	s_waitcnt lgkmcnt(0)
	v_lshrrev_b32_e32 v2, s49, v2
	s_delay_alu instid0(VALU_DEP_1)
	v_and_b32_e32 v91, s31, v2
	s_or_b32 exec_lo, exec_lo, s24
	s_and_saveexec_b32 s24, s21
	s_cbranch_execnz .LBB223_647
.LBB223_662:                            ;   in Loop: Header=BB223_574 Depth=2
	s_or_b32 exec_lo, exec_lo, s24
	s_and_saveexec_b32 s24, s20
	s_cbranch_execz .LBB223_648
.LBB223_663:                            ;   in Loop: Header=BB223_574 Depth=2
	ds_load_u8 v2, v35 offset:768
	s_waitcnt lgkmcnt(0)
	v_lshrrev_b32_e32 v2, s49, v2
	s_delay_alu instid0(VALU_DEP_1)
	v_and_b32_e32 v89, s31, v2
	s_or_b32 exec_lo, exec_lo, s24
	s_and_saveexec_b32 s24, s19
	s_cbranch_execnz .LBB223_649
.LBB223_664:                            ;   in Loop: Header=BB223_574 Depth=2
	s_or_b32 exec_lo, exec_lo, s24
	s_and_saveexec_b32 s24, s18
	s_cbranch_execz .LBB223_650
.LBB223_665:                            ;   in Loop: Header=BB223_574 Depth=2
	ds_load_u8 v2, v35 offset:1280
	s_waitcnt lgkmcnt(0)
	v_lshrrev_b32_e32 v2, s49, v2
	s_delay_alu instid0(VALU_DEP_1)
	v_and_b32_e32 v87, s31, v2
	s_or_b32 exec_lo, exec_lo, s24
	s_and_saveexec_b32 s24, s17
	s_cbranch_execnz .LBB223_651
.LBB223_666:                            ;   in Loop: Header=BB223_574 Depth=2
	s_or_b32 exec_lo, exec_lo, s24
	s_and_saveexec_b32 s24, vcc_lo
	s_cbranch_execz .LBB223_668
.LBB223_667:                            ;   in Loop: Header=BB223_574 Depth=2
	ds_load_u8 v2, v35 offset:1792
	s_waitcnt lgkmcnt(0)
	v_lshrrev_b32_e32 v2, s49, v2
	s_delay_alu instid0(VALU_DEP_1)
	v_and_b32_e32 v85, s31, v2
.LBB223_668:                            ;   in Loop: Header=BB223_574 Depth=2
	s_or_b32 exec_lo, exec_lo, s24
	v_lshlrev_b32_e32 v2, 3, v105
	v_lshlrev_b32_e32 v20, 3, v102
	v_lshlrev_b32_e32 v21, 3, v101
	s_waitcnt vmcnt(0)
	s_waitcnt_vscnt null, 0x0
	s_barrier
	buffer_gl0_inv
	ds_store_b64 v2, v[18:19] offset:1024
	ds_store_b64 v20, v[16:17] offset:1024
	;; [unrolled: 1-line block ×3, first 2 shown]
	v_lshlrev_b32_e32 v2, 3, v27
	v_lshlrev_b32_e32 v20, 3, v26
	;; [unrolled: 1-line block ×5, first 2 shown]
	ds_store_b64 v2, v[12:13] offset:1024
	ds_store_b64 v20, v[10:11] offset:1024
	;; [unrolled: 1-line block ×5, first 2 shown]
	s_waitcnt lgkmcnt(0)
	s_barrier
	buffer_gl0_inv
	s_and_saveexec_b32 s24, s23
	s_cbranch_execz .LBB223_676
; %bb.669:                              ;   in Loop: Header=BB223_574 Depth=2
	v_lshlrev_b32_e32 v2, 2, v92
	v_add_nc_u32_e32 v20, v1, v52
	ds_load_b32 v2, v2
	ds_load_b64 v[20:21], v20 offset:1024
	s_waitcnt lgkmcnt(1)
	v_add_nc_u32_e32 v2, v2, v1
	s_delay_alu instid0(VALU_DEP_1) | instskip(NEXT) | instid1(VALU_DEP_1)
	v_lshlrev_b64 v[23:24], 3, v[2:3]
	v_add_co_u32 v23, s23, s46, v23
	s_delay_alu instid0(VALU_DEP_1)
	v_add_co_ci_u32_e64 v24, s23, s47, v24, s23
	s_waitcnt lgkmcnt(0)
	global_store_b64 v[23:24], v[20:21], off
	s_or_b32 exec_lo, exec_lo, s24
	v_add_nc_u32_e32 v20, v35, v52
	s_and_saveexec_b32 s23, s22
	s_cbranch_execnz .LBB223_677
.LBB223_670:                            ;   in Loop: Header=BB223_574 Depth=2
	s_or_b32 exec_lo, exec_lo, s23
	s_and_saveexec_b32 s22, s21
	s_cbranch_execz .LBB223_678
.LBB223_671:                            ;   in Loop: Header=BB223_574 Depth=2
	v_lshlrev_b32_e32 v2, 2, v90
	ds_load_b32 v2, v2
	ds_load_b64 v[23:24], v20 offset:4096
	s_waitcnt lgkmcnt(1)
	v_add_nc_u32_e32 v2, v2, v30
	s_delay_alu instid0(VALU_DEP_1) | instskip(NEXT) | instid1(VALU_DEP_1)
	v_lshlrev_b64 v[25:26], 3, v[2:3]
	v_add_co_u32 v25, s21, s46, v25
	s_delay_alu instid0(VALU_DEP_1)
	v_add_co_ci_u32_e64 v26, s21, s47, v26, s21
	s_waitcnt lgkmcnt(0)
	global_store_b64 v[25:26], v[23:24], off
	s_or_b32 exec_lo, exec_lo, s22
	s_and_saveexec_b32 s21, s20
	s_cbranch_execnz .LBB223_679
.LBB223_672:                            ;   in Loop: Header=BB223_574 Depth=2
	s_or_b32 exec_lo, exec_lo, s21
	s_and_saveexec_b32 s20, s19
	s_cbranch_execz .LBB223_680
.LBB223_673:                            ;   in Loop: Header=BB223_574 Depth=2
	v_lshlrev_b32_e32 v2, 2, v88
	ds_load_b32 v2, v2
	ds_load_b64 v[23:24], v20 offset:8192
	s_waitcnt lgkmcnt(1)
	v_add_nc_u32_e32 v2, v2, v35
	s_delay_alu instid0(VALU_DEP_1) | instskip(NEXT) | instid1(VALU_DEP_1)
	v_lshlrev_b64 v[25:26], 3, v[2:3]
	v_add_co_u32 v25, s19, s46, v25
	s_delay_alu instid0(VALU_DEP_1)
	v_add_co_ci_u32_e64 v26, s19, s47, v26, s19
	s_waitcnt lgkmcnt(0)
	global_store_b64 v[25:26], v[23:24], off
	s_or_b32 exec_lo, exec_lo, s20
	s_and_saveexec_b32 s19, s18
	s_cbranch_execnz .LBB223_681
.LBB223_674:                            ;   in Loop: Header=BB223_574 Depth=2
	s_or_b32 exec_lo, exec_lo, s19
	s_and_saveexec_b32 s18, s17
	s_cbranch_execz .LBB223_682
.LBB223_675:                            ;   in Loop: Header=BB223_574 Depth=2
	v_lshlrev_b32_e32 v2, 2, v86
	ds_load_b32 v2, v2
	ds_load_b64 v[23:24], v20 offset:12288
	s_waitcnt lgkmcnt(1)
	v_add_nc_u32_e32 v2, v2, v37
	s_delay_alu instid0(VALU_DEP_1) | instskip(NEXT) | instid1(VALU_DEP_1)
	v_lshlrev_b64 v[25:26], 3, v[2:3]
	v_add_co_u32 v25, s17, s46, v25
	s_delay_alu instid0(VALU_DEP_1)
	v_add_co_ci_u32_e64 v26, s17, s47, v26, s17
	s_waitcnt lgkmcnt(0)
	global_store_b64 v[25:26], v[23:24], off
	s_or_b32 exec_lo, exec_lo, s18
	s_and_saveexec_b32 s17, vcc_lo
	s_cbranch_execnz .LBB223_683
	s_branch .LBB223_684
.LBB223_676:                            ;   in Loop: Header=BB223_574 Depth=2
	s_or_b32 exec_lo, exec_lo, s24
	v_add_nc_u32_e32 v20, v35, v52
	s_and_saveexec_b32 s23, s22
	s_cbranch_execz .LBB223_670
.LBB223_677:                            ;   in Loop: Header=BB223_574 Depth=2
	v_lshlrev_b32_e32 v2, 2, v91
	ds_load_b32 v2, v2
	ds_load_b64 v[23:24], v20 offset:2048
	s_waitcnt lgkmcnt(1)
	v_add_nc_u32_e32 v2, v2, v29
	s_delay_alu instid0(VALU_DEP_1) | instskip(NEXT) | instid1(VALU_DEP_1)
	v_lshlrev_b64 v[25:26], 3, v[2:3]
	v_add_co_u32 v25, s22, s46, v25
	s_delay_alu instid0(VALU_DEP_1)
	v_add_co_ci_u32_e64 v26, s22, s47, v26, s22
	s_waitcnt lgkmcnt(0)
	global_store_b64 v[25:26], v[23:24], off
	s_or_b32 exec_lo, exec_lo, s23
	s_and_saveexec_b32 s22, s21
	s_cbranch_execnz .LBB223_671
.LBB223_678:                            ;   in Loop: Header=BB223_574 Depth=2
	s_or_b32 exec_lo, exec_lo, s22
	s_and_saveexec_b32 s21, s20
	s_cbranch_execz .LBB223_672
.LBB223_679:                            ;   in Loop: Header=BB223_574 Depth=2
	v_lshlrev_b32_e32 v2, 2, v89
	ds_load_b32 v2, v2
	ds_load_b64 v[23:24], v20 offset:6144
	s_waitcnt lgkmcnt(1)
	v_add_nc_u32_e32 v2, v2, v31
	s_delay_alu instid0(VALU_DEP_1) | instskip(NEXT) | instid1(VALU_DEP_1)
	v_lshlrev_b64 v[25:26], 3, v[2:3]
	v_add_co_u32 v25, s20, s46, v25
	s_delay_alu instid0(VALU_DEP_1)
	v_add_co_ci_u32_e64 v26, s20, s47, v26, s20
	s_waitcnt lgkmcnt(0)
	global_store_b64 v[25:26], v[23:24], off
	s_or_b32 exec_lo, exec_lo, s21
	s_and_saveexec_b32 s20, s19
	s_cbranch_execnz .LBB223_673
.LBB223_680:                            ;   in Loop: Header=BB223_574 Depth=2
	s_or_b32 exec_lo, exec_lo, s20
	s_and_saveexec_b32 s19, s18
	s_cbranch_execz .LBB223_674
.LBB223_681:                            ;   in Loop: Header=BB223_574 Depth=2
	v_lshlrev_b32_e32 v2, 2, v87
	ds_load_b32 v2, v2
	ds_load_b64 v[23:24], v20 offset:10240
	s_waitcnt lgkmcnt(1)
	v_add_nc_u32_e32 v2, v2, v36
	s_delay_alu instid0(VALU_DEP_1) | instskip(NEXT) | instid1(VALU_DEP_1)
	v_lshlrev_b64 v[25:26], 3, v[2:3]
	v_add_co_u32 v25, s18, s46, v25
	s_delay_alu instid0(VALU_DEP_1)
	v_add_co_ci_u32_e64 v26, s18, s47, v26, s18
	s_waitcnt lgkmcnt(0)
	global_store_b64 v[25:26], v[23:24], off
	s_or_b32 exec_lo, exec_lo, s19
	s_and_saveexec_b32 s18, s17
	s_cbranch_execnz .LBB223_675
.LBB223_682:                            ;   in Loop: Header=BB223_574 Depth=2
	s_or_b32 exec_lo, exec_lo, s18
	s_and_saveexec_b32 s17, vcc_lo
	s_cbranch_execz .LBB223_684
.LBB223_683:                            ;   in Loop: Header=BB223_574 Depth=2
	v_lshlrev_b32_e32 v2, 2, v85
	ds_load_b32 v2, v2
	ds_load_b64 v[20:21], v20 offset:14336
	s_waitcnt lgkmcnt(1)
	v_add_nc_u32_e32 v2, v2, v39
	s_delay_alu instid0(VALU_DEP_1) | instskip(NEXT) | instid1(VALU_DEP_1)
	v_lshlrev_b64 v[23:24], 3, v[2:3]
	v_add_co_u32 v23, vcc_lo, s46, v23
	s_delay_alu instid0(VALU_DEP_2)
	v_add_co_ci_u32_e32 v24, vcc_lo, s47, v24, vcc_lo
	s_waitcnt lgkmcnt(0)
	global_store_b64 v[23:24], v[20:21], off
.LBB223_684:                            ;   in Loop: Header=BB223_574 Depth=2
	s_or_b32 exec_lo, exec_lo, s17
	s_waitcnt_vscnt null, 0x0
	s_barrier
	buffer_gl0_inv
	s_and_saveexec_b32 s17, s2
	s_cbranch_execz .LBB223_573
; %bb.685:                              ;   in Loop: Header=BB223_574 Depth=2
	ds_load_b32 v2, v28
	s_waitcnt lgkmcnt(0)
	v_add_nc_u32_e32 v2, v2, v22
	ds_store_b32 v28, v2
	s_branch .LBB223_573
.LBB223_686:
	s_endpgm
	.section	.rodata,"a",@progbits
	.p2align	6, 0x0
	.amdhsa_kernel _ZN7rocprim17ROCPRIM_400000_NS6detail17trampoline_kernelINS0_14default_configENS1_36segmented_radix_sort_config_selectorIhlEEZNS1_25segmented_radix_sort_implIS3_Lb0EPKhPhPKlPlN2at6native12_GLOBAL__N_18offset_tEEE10hipError_tPvRmT1_PNSt15iterator_traitsISK_E10value_typeET2_T3_PNSL_ISQ_E10value_typeET4_jRbjT5_SW_jjP12ihipStream_tbEUlT_E2_NS1_11comp_targetILNS1_3genE9ELNS1_11target_archE1100ELNS1_3gpuE3ELNS1_3repE0EEENS1_30default_config_static_selectorELNS0_4arch9wavefront6targetE0EEEvSK_
		.amdhsa_group_segment_fixed_size 17440
		.amdhsa_private_segment_fixed_size 0
		.amdhsa_kernarg_size 336
		.amdhsa_user_sgpr_count 14
		.amdhsa_user_sgpr_dispatch_ptr 0
		.amdhsa_user_sgpr_queue_ptr 0
		.amdhsa_user_sgpr_kernarg_segment_ptr 1
		.amdhsa_user_sgpr_dispatch_id 0
		.amdhsa_user_sgpr_private_segment_size 0
		.amdhsa_wavefront_size32 1
		.amdhsa_uses_dynamic_stack 0
		.amdhsa_enable_private_segment 0
		.amdhsa_system_sgpr_workgroup_id_x 1
		.amdhsa_system_sgpr_workgroup_id_y 1
		.amdhsa_system_sgpr_workgroup_id_z 0
		.amdhsa_system_sgpr_workgroup_info 0
		.amdhsa_system_vgpr_workitem_id 2
		.amdhsa_next_free_vgpr 193
		.amdhsa_next_free_sgpr 54
		.amdhsa_reserve_vcc 1
		.amdhsa_float_round_mode_32 0
		.amdhsa_float_round_mode_16_64 0
		.amdhsa_float_denorm_mode_32 3
		.amdhsa_float_denorm_mode_16_64 3
		.amdhsa_dx10_clamp 1
		.amdhsa_ieee_mode 1
		.amdhsa_fp16_overflow 0
		.amdhsa_workgroup_processor_mode 1
		.amdhsa_memory_ordered 1
		.amdhsa_forward_progress 0
		.amdhsa_shared_vgpr_count 0
		.amdhsa_exception_fp_ieee_invalid_op 0
		.amdhsa_exception_fp_denorm_src 0
		.amdhsa_exception_fp_ieee_div_zero 0
		.amdhsa_exception_fp_ieee_overflow 0
		.amdhsa_exception_fp_ieee_underflow 0
		.amdhsa_exception_fp_ieee_inexact 0
		.amdhsa_exception_int_div_zero 0
	.end_amdhsa_kernel
	.section	.text._ZN7rocprim17ROCPRIM_400000_NS6detail17trampoline_kernelINS0_14default_configENS1_36segmented_radix_sort_config_selectorIhlEEZNS1_25segmented_radix_sort_implIS3_Lb0EPKhPhPKlPlN2at6native12_GLOBAL__N_18offset_tEEE10hipError_tPvRmT1_PNSt15iterator_traitsISK_E10value_typeET2_T3_PNSL_ISQ_E10value_typeET4_jRbjT5_SW_jjP12ihipStream_tbEUlT_E2_NS1_11comp_targetILNS1_3genE9ELNS1_11target_archE1100ELNS1_3gpuE3ELNS1_3repE0EEENS1_30default_config_static_selectorELNS0_4arch9wavefront6targetE0EEEvSK_,"axG",@progbits,_ZN7rocprim17ROCPRIM_400000_NS6detail17trampoline_kernelINS0_14default_configENS1_36segmented_radix_sort_config_selectorIhlEEZNS1_25segmented_radix_sort_implIS3_Lb0EPKhPhPKlPlN2at6native12_GLOBAL__N_18offset_tEEE10hipError_tPvRmT1_PNSt15iterator_traitsISK_E10value_typeET2_T3_PNSL_ISQ_E10value_typeET4_jRbjT5_SW_jjP12ihipStream_tbEUlT_E2_NS1_11comp_targetILNS1_3genE9ELNS1_11target_archE1100ELNS1_3gpuE3ELNS1_3repE0EEENS1_30default_config_static_selectorELNS0_4arch9wavefront6targetE0EEEvSK_,comdat
.Lfunc_end223:
	.size	_ZN7rocprim17ROCPRIM_400000_NS6detail17trampoline_kernelINS0_14default_configENS1_36segmented_radix_sort_config_selectorIhlEEZNS1_25segmented_radix_sort_implIS3_Lb0EPKhPhPKlPlN2at6native12_GLOBAL__N_18offset_tEEE10hipError_tPvRmT1_PNSt15iterator_traitsISK_E10value_typeET2_T3_PNSL_ISQ_E10value_typeET4_jRbjT5_SW_jjP12ihipStream_tbEUlT_E2_NS1_11comp_targetILNS1_3genE9ELNS1_11target_archE1100ELNS1_3gpuE3ELNS1_3repE0EEENS1_30default_config_static_selectorELNS0_4arch9wavefront6targetE0EEEvSK_, .Lfunc_end223-_ZN7rocprim17ROCPRIM_400000_NS6detail17trampoline_kernelINS0_14default_configENS1_36segmented_radix_sort_config_selectorIhlEEZNS1_25segmented_radix_sort_implIS3_Lb0EPKhPhPKlPlN2at6native12_GLOBAL__N_18offset_tEEE10hipError_tPvRmT1_PNSt15iterator_traitsISK_E10value_typeET2_T3_PNSL_ISQ_E10value_typeET4_jRbjT5_SW_jjP12ihipStream_tbEUlT_E2_NS1_11comp_targetILNS1_3genE9ELNS1_11target_archE1100ELNS1_3gpuE3ELNS1_3repE0EEENS1_30default_config_static_selectorELNS0_4arch9wavefront6targetE0EEEvSK_
                                        ; -- End function
	.section	.AMDGPU.csdata,"",@progbits
; Kernel info:
; codeLenInByte = 37852
; NumSgprs: 56
; NumVgprs: 193
; ScratchSize: 0
; MemoryBound: 0
; FloatMode: 240
; IeeeMode: 1
; LDSByteSize: 17440 bytes/workgroup (compile time only)
; SGPRBlocks: 6
; VGPRBlocks: 24
; NumSGPRsForWavesPerEU: 56
; NumVGPRsForWavesPerEU: 193
; Occupancy: 7
; WaveLimiterHint : 1
; COMPUTE_PGM_RSRC2:SCRATCH_EN: 0
; COMPUTE_PGM_RSRC2:USER_SGPR: 14
; COMPUTE_PGM_RSRC2:TRAP_HANDLER: 0
; COMPUTE_PGM_RSRC2:TGID_X_EN: 1
; COMPUTE_PGM_RSRC2:TGID_Y_EN: 1
; COMPUTE_PGM_RSRC2:TGID_Z_EN: 0
; COMPUTE_PGM_RSRC2:TIDIG_COMP_CNT: 2
	.section	.text._ZN7rocprim17ROCPRIM_400000_NS6detail17trampoline_kernelINS0_14default_configENS1_36segmented_radix_sort_config_selectorIhlEEZNS1_25segmented_radix_sort_implIS3_Lb0EPKhPhPKlPlN2at6native12_GLOBAL__N_18offset_tEEE10hipError_tPvRmT1_PNSt15iterator_traitsISK_E10value_typeET2_T3_PNSL_ISQ_E10value_typeET4_jRbjT5_SW_jjP12ihipStream_tbEUlT_E2_NS1_11comp_targetILNS1_3genE8ELNS1_11target_archE1030ELNS1_3gpuE2ELNS1_3repE0EEENS1_30default_config_static_selectorELNS0_4arch9wavefront6targetE0EEEvSK_,"axG",@progbits,_ZN7rocprim17ROCPRIM_400000_NS6detail17trampoline_kernelINS0_14default_configENS1_36segmented_radix_sort_config_selectorIhlEEZNS1_25segmented_radix_sort_implIS3_Lb0EPKhPhPKlPlN2at6native12_GLOBAL__N_18offset_tEEE10hipError_tPvRmT1_PNSt15iterator_traitsISK_E10value_typeET2_T3_PNSL_ISQ_E10value_typeET4_jRbjT5_SW_jjP12ihipStream_tbEUlT_E2_NS1_11comp_targetILNS1_3genE8ELNS1_11target_archE1030ELNS1_3gpuE2ELNS1_3repE0EEENS1_30default_config_static_selectorELNS0_4arch9wavefront6targetE0EEEvSK_,comdat
	.globl	_ZN7rocprim17ROCPRIM_400000_NS6detail17trampoline_kernelINS0_14default_configENS1_36segmented_radix_sort_config_selectorIhlEEZNS1_25segmented_radix_sort_implIS3_Lb0EPKhPhPKlPlN2at6native12_GLOBAL__N_18offset_tEEE10hipError_tPvRmT1_PNSt15iterator_traitsISK_E10value_typeET2_T3_PNSL_ISQ_E10value_typeET4_jRbjT5_SW_jjP12ihipStream_tbEUlT_E2_NS1_11comp_targetILNS1_3genE8ELNS1_11target_archE1030ELNS1_3gpuE2ELNS1_3repE0EEENS1_30default_config_static_selectorELNS0_4arch9wavefront6targetE0EEEvSK_ ; -- Begin function _ZN7rocprim17ROCPRIM_400000_NS6detail17trampoline_kernelINS0_14default_configENS1_36segmented_radix_sort_config_selectorIhlEEZNS1_25segmented_radix_sort_implIS3_Lb0EPKhPhPKlPlN2at6native12_GLOBAL__N_18offset_tEEE10hipError_tPvRmT1_PNSt15iterator_traitsISK_E10value_typeET2_T3_PNSL_ISQ_E10value_typeET4_jRbjT5_SW_jjP12ihipStream_tbEUlT_E2_NS1_11comp_targetILNS1_3genE8ELNS1_11target_archE1030ELNS1_3gpuE2ELNS1_3repE0EEENS1_30default_config_static_selectorELNS0_4arch9wavefront6targetE0EEEvSK_
	.p2align	8
	.type	_ZN7rocprim17ROCPRIM_400000_NS6detail17trampoline_kernelINS0_14default_configENS1_36segmented_radix_sort_config_selectorIhlEEZNS1_25segmented_radix_sort_implIS3_Lb0EPKhPhPKlPlN2at6native12_GLOBAL__N_18offset_tEEE10hipError_tPvRmT1_PNSt15iterator_traitsISK_E10value_typeET2_T3_PNSL_ISQ_E10value_typeET4_jRbjT5_SW_jjP12ihipStream_tbEUlT_E2_NS1_11comp_targetILNS1_3genE8ELNS1_11target_archE1030ELNS1_3gpuE2ELNS1_3repE0EEENS1_30default_config_static_selectorELNS0_4arch9wavefront6targetE0EEEvSK_,@function
_ZN7rocprim17ROCPRIM_400000_NS6detail17trampoline_kernelINS0_14default_configENS1_36segmented_radix_sort_config_selectorIhlEEZNS1_25segmented_radix_sort_implIS3_Lb0EPKhPhPKlPlN2at6native12_GLOBAL__N_18offset_tEEE10hipError_tPvRmT1_PNSt15iterator_traitsISK_E10value_typeET2_T3_PNSL_ISQ_E10value_typeET4_jRbjT5_SW_jjP12ihipStream_tbEUlT_E2_NS1_11comp_targetILNS1_3genE8ELNS1_11target_archE1030ELNS1_3gpuE2ELNS1_3repE0EEENS1_30default_config_static_selectorELNS0_4arch9wavefront6targetE0EEEvSK_: ; @_ZN7rocprim17ROCPRIM_400000_NS6detail17trampoline_kernelINS0_14default_configENS1_36segmented_radix_sort_config_selectorIhlEEZNS1_25segmented_radix_sort_implIS3_Lb0EPKhPhPKlPlN2at6native12_GLOBAL__N_18offset_tEEE10hipError_tPvRmT1_PNSt15iterator_traitsISK_E10value_typeET2_T3_PNSL_ISQ_E10value_typeET4_jRbjT5_SW_jjP12ihipStream_tbEUlT_E2_NS1_11comp_targetILNS1_3genE8ELNS1_11target_archE1030ELNS1_3gpuE2ELNS1_3repE0EEENS1_30default_config_static_selectorELNS0_4arch9wavefront6targetE0EEEvSK_
; %bb.0:
	.section	.rodata,"a",@progbits
	.p2align	6, 0x0
	.amdhsa_kernel _ZN7rocprim17ROCPRIM_400000_NS6detail17trampoline_kernelINS0_14default_configENS1_36segmented_radix_sort_config_selectorIhlEEZNS1_25segmented_radix_sort_implIS3_Lb0EPKhPhPKlPlN2at6native12_GLOBAL__N_18offset_tEEE10hipError_tPvRmT1_PNSt15iterator_traitsISK_E10value_typeET2_T3_PNSL_ISQ_E10value_typeET4_jRbjT5_SW_jjP12ihipStream_tbEUlT_E2_NS1_11comp_targetILNS1_3genE8ELNS1_11target_archE1030ELNS1_3gpuE2ELNS1_3repE0EEENS1_30default_config_static_selectorELNS0_4arch9wavefront6targetE0EEEvSK_
		.amdhsa_group_segment_fixed_size 0
		.amdhsa_private_segment_fixed_size 0
		.amdhsa_kernarg_size 80
		.amdhsa_user_sgpr_count 15
		.amdhsa_user_sgpr_dispatch_ptr 0
		.amdhsa_user_sgpr_queue_ptr 0
		.amdhsa_user_sgpr_kernarg_segment_ptr 1
		.amdhsa_user_sgpr_dispatch_id 0
		.amdhsa_user_sgpr_private_segment_size 0
		.amdhsa_wavefront_size32 1
		.amdhsa_uses_dynamic_stack 0
		.amdhsa_enable_private_segment 0
		.amdhsa_system_sgpr_workgroup_id_x 1
		.amdhsa_system_sgpr_workgroup_id_y 0
		.amdhsa_system_sgpr_workgroup_id_z 0
		.amdhsa_system_sgpr_workgroup_info 0
		.amdhsa_system_vgpr_workitem_id 0
		.amdhsa_next_free_vgpr 1
		.amdhsa_next_free_sgpr 1
		.amdhsa_reserve_vcc 0
		.amdhsa_float_round_mode_32 0
		.amdhsa_float_round_mode_16_64 0
		.amdhsa_float_denorm_mode_32 3
		.amdhsa_float_denorm_mode_16_64 3
		.amdhsa_dx10_clamp 1
		.amdhsa_ieee_mode 1
		.amdhsa_fp16_overflow 0
		.amdhsa_workgroup_processor_mode 1
		.amdhsa_memory_ordered 1
		.amdhsa_forward_progress 0
		.amdhsa_shared_vgpr_count 0
		.amdhsa_exception_fp_ieee_invalid_op 0
		.amdhsa_exception_fp_denorm_src 0
		.amdhsa_exception_fp_ieee_div_zero 0
		.amdhsa_exception_fp_ieee_overflow 0
		.amdhsa_exception_fp_ieee_underflow 0
		.amdhsa_exception_fp_ieee_inexact 0
		.amdhsa_exception_int_div_zero 0
	.end_amdhsa_kernel
	.section	.text._ZN7rocprim17ROCPRIM_400000_NS6detail17trampoline_kernelINS0_14default_configENS1_36segmented_radix_sort_config_selectorIhlEEZNS1_25segmented_radix_sort_implIS3_Lb0EPKhPhPKlPlN2at6native12_GLOBAL__N_18offset_tEEE10hipError_tPvRmT1_PNSt15iterator_traitsISK_E10value_typeET2_T3_PNSL_ISQ_E10value_typeET4_jRbjT5_SW_jjP12ihipStream_tbEUlT_E2_NS1_11comp_targetILNS1_3genE8ELNS1_11target_archE1030ELNS1_3gpuE2ELNS1_3repE0EEENS1_30default_config_static_selectorELNS0_4arch9wavefront6targetE0EEEvSK_,"axG",@progbits,_ZN7rocprim17ROCPRIM_400000_NS6detail17trampoline_kernelINS0_14default_configENS1_36segmented_radix_sort_config_selectorIhlEEZNS1_25segmented_radix_sort_implIS3_Lb0EPKhPhPKlPlN2at6native12_GLOBAL__N_18offset_tEEE10hipError_tPvRmT1_PNSt15iterator_traitsISK_E10value_typeET2_T3_PNSL_ISQ_E10value_typeET4_jRbjT5_SW_jjP12ihipStream_tbEUlT_E2_NS1_11comp_targetILNS1_3genE8ELNS1_11target_archE1030ELNS1_3gpuE2ELNS1_3repE0EEENS1_30default_config_static_selectorELNS0_4arch9wavefront6targetE0EEEvSK_,comdat
.Lfunc_end224:
	.size	_ZN7rocprim17ROCPRIM_400000_NS6detail17trampoline_kernelINS0_14default_configENS1_36segmented_radix_sort_config_selectorIhlEEZNS1_25segmented_radix_sort_implIS3_Lb0EPKhPhPKlPlN2at6native12_GLOBAL__N_18offset_tEEE10hipError_tPvRmT1_PNSt15iterator_traitsISK_E10value_typeET2_T3_PNSL_ISQ_E10value_typeET4_jRbjT5_SW_jjP12ihipStream_tbEUlT_E2_NS1_11comp_targetILNS1_3genE8ELNS1_11target_archE1030ELNS1_3gpuE2ELNS1_3repE0EEENS1_30default_config_static_selectorELNS0_4arch9wavefront6targetE0EEEvSK_, .Lfunc_end224-_ZN7rocprim17ROCPRIM_400000_NS6detail17trampoline_kernelINS0_14default_configENS1_36segmented_radix_sort_config_selectorIhlEEZNS1_25segmented_radix_sort_implIS3_Lb0EPKhPhPKlPlN2at6native12_GLOBAL__N_18offset_tEEE10hipError_tPvRmT1_PNSt15iterator_traitsISK_E10value_typeET2_T3_PNSL_ISQ_E10value_typeET4_jRbjT5_SW_jjP12ihipStream_tbEUlT_E2_NS1_11comp_targetILNS1_3genE8ELNS1_11target_archE1030ELNS1_3gpuE2ELNS1_3repE0EEENS1_30default_config_static_selectorELNS0_4arch9wavefront6targetE0EEEvSK_
                                        ; -- End function
	.section	.AMDGPU.csdata,"",@progbits
; Kernel info:
; codeLenInByte = 0
; NumSgprs: 0
; NumVgprs: 0
; ScratchSize: 0
; MemoryBound: 0
; FloatMode: 240
; IeeeMode: 1
; LDSByteSize: 0 bytes/workgroup (compile time only)
; SGPRBlocks: 0
; VGPRBlocks: 0
; NumSGPRsForWavesPerEU: 1
; NumVGPRsForWavesPerEU: 1
; Occupancy: 16
; WaveLimiterHint : 0
; COMPUTE_PGM_RSRC2:SCRATCH_EN: 0
; COMPUTE_PGM_RSRC2:USER_SGPR: 15
; COMPUTE_PGM_RSRC2:TRAP_HANDLER: 0
; COMPUTE_PGM_RSRC2:TGID_X_EN: 1
; COMPUTE_PGM_RSRC2:TGID_Y_EN: 0
; COMPUTE_PGM_RSRC2:TGID_Z_EN: 0
; COMPUTE_PGM_RSRC2:TIDIG_COMP_CNT: 0
	.section	.text._ZN2at6native12_GLOBAL__N_123sort_postprocess_kernelIaEEvPKT_PS3_PlPK15HIP_vector_typeIiLj2EEii,"axG",@progbits,_ZN2at6native12_GLOBAL__N_123sort_postprocess_kernelIaEEvPKT_PS3_PlPK15HIP_vector_typeIiLj2EEii,comdat
	.globl	_ZN2at6native12_GLOBAL__N_123sort_postprocess_kernelIaEEvPKT_PS3_PlPK15HIP_vector_typeIiLj2EEii ; -- Begin function _ZN2at6native12_GLOBAL__N_123sort_postprocess_kernelIaEEvPKT_PS3_PlPK15HIP_vector_typeIiLj2EEii
	.p2align	8
	.type	_ZN2at6native12_GLOBAL__N_123sort_postprocess_kernelIaEEvPKT_PS3_PlPK15HIP_vector_typeIiLj2EEii,@function
_ZN2at6native12_GLOBAL__N_123sort_postprocess_kernelIaEEvPKT_PS3_PlPK15HIP_vector_typeIiLj2EEii: ; @_ZN2at6native12_GLOBAL__N_123sort_postprocess_kernelIaEEvPKT_PS3_PlPK15HIP_vector_typeIiLj2EEii
; %bb.0:
	s_clause 0x1
	s_load_b32 s2, s[0:1], 0x34
	s_load_b64 s[6:7], s[0:1], 0x20
	v_mov_b32_e32 v1, 0
	s_add_u32 s4, s0, 40
	s_addc_u32 s5, s1, 0
	s_waitcnt lgkmcnt(0)
	s_and_b32 s13, s2, 0xffff
	s_mul_i32 s2, s7, s6
	v_mad_u64_u32 v[2:3], null, s13, s15, v[0:1]
	s_ashr_i32 s3, s2, 31
	s_mov_b32 s6, exec_lo
	s_delay_alu instid0(VALU_DEP_1)
	v_cmpx_gt_i64_e64 s[2:3], v[2:3]
	s_cbranch_execz .LBB225_3
; %bb.1:
	s_abs_i32 s12, s7
	s_load_b32 s14, s[4:5], 0x0
	v_cvt_f32_u32_e32 v0, s12
	s_sub_i32 s4, 0, s12
	s_delay_alu instid0(VALU_DEP_1) | instskip(SKIP_2) | instid1(VALU_DEP_1)
	v_rcp_iflag_f32_e32 v0, v0
	s_waitcnt_depctr 0xfff
	v_mul_f32_e32 v0, 0x4f7ffffe, v0
	v_cvt_u32_f32_e32 v0, v0
	s_delay_alu instid0(VALU_DEP_1) | instskip(SKIP_4) | instid1(VALU_DEP_1)
	v_mul_lo_u32 v1, s4, v0
	s_load_b256 s[4:11], s[0:1], 0x0
	s_waitcnt lgkmcnt(0)
	s_mul_i32 s1, s14, s13
	s_mov_b32 s13, 0
	v_mul_hi_u32 v1, v0, v1
	s_delay_alu instid0(VALU_DEP_1)
	v_add_nc_u32_e32 v0, v0, v1
.LBB225_2:                              ; =>This Inner Loop Header: Depth=1
	v_sub_nc_u32_e32 v1, 0, v2
	v_ashrrev_i32_e32 v5, 31, v2
	s_delay_alu instid0(VALU_DEP_2) | instskip(NEXT) | instid1(VALU_DEP_1)
	v_max_i32_e32 v1, v2, v1
	v_mul_hi_u32 v4, v1, v0
	s_delay_alu instid0(VALU_DEP_1) | instskip(NEXT) | instid1(VALU_DEP_1)
	v_mul_lo_u32 v4, v4, s12
	v_sub_nc_u32_e32 v1, v1, v4
	s_delay_alu instid0(VALU_DEP_1) | instskip(SKIP_1) | instid1(VALU_DEP_2)
	v_subrev_nc_u32_e32 v4, s12, v1
	v_cmp_le_u32_e32 vcc_lo, s12, v1
	v_cndmask_b32_e32 v1, v1, v4, vcc_lo
	s_delay_alu instid0(VALU_DEP_1) | instskip(SKIP_1) | instid1(VALU_DEP_2)
	v_subrev_nc_u32_e32 v4, s12, v1
	v_cmp_le_u32_e32 vcc_lo, s12, v1
	v_dual_cndmask_b32 v1, v1, v4 :: v_dual_add_nc_u32 v4, v2, v5
	s_delay_alu instid0(VALU_DEP_1) | instskip(NEXT) | instid1(VALU_DEP_1)
	v_xor_b32_e32 v1, v1, v5
	v_sub_nc_u32_e32 v4, v4, v1
	v_sub_nc_u32_e32 v6, v1, v5
	s_delay_alu instid0(VALU_DEP_2) | instskip(NEXT) | instid1(VALU_DEP_2)
	v_ashrrev_i32_e32 v5, 31, v4
	v_ashrrev_i32_e32 v7, 31, v6
	s_delay_alu instid0(VALU_DEP_2) | instskip(NEXT) | instid1(VALU_DEP_2)
	v_lshlrev_b64 v[8:9], 3, v[4:5]
	v_lshlrev_b64 v[10:11], 3, v[6:7]
	s_delay_alu instid0(VALU_DEP_2) | instskip(NEXT) | instid1(VALU_DEP_3)
	v_add_co_u32 v1, vcc_lo, s10, v8
	v_add_co_ci_u32_e32 v13, vcc_lo, s11, v9, vcc_lo
	s_delay_alu instid0(VALU_DEP_2) | instskip(NEXT) | instid1(VALU_DEP_2)
	v_add_co_u32 v12, vcc_lo, v1, v10
	v_add_co_ci_u32_e32 v13, vcc_lo, v13, v11, vcc_lo
	v_add_co_u32 v1, vcc_lo, s4, v4
	v_add_co_ci_u32_e32 v14, vcc_lo, s5, v5, vcc_lo
	global_load_b32 v12, v[12:13], off offset:4
	v_add_co_u32 v8, vcc_lo, s8, v8
	v_add_co_ci_u32_e32 v9, vcc_lo, s9, v9, vcc_lo
	s_delay_alu instid0(VALU_DEP_2) | instskip(NEXT) | instid1(VALU_DEP_2)
	v_add_co_u32 v8, vcc_lo, v8, v10
	v_add_co_ci_u32_e32 v9, vcc_lo, v9, v11, vcc_lo
	s_waitcnt vmcnt(0)
	v_ashrrev_i32_e32 v13, 31, v12
	v_add_co_u32 v10, vcc_lo, v1, v12
	s_delay_alu instid0(VALU_DEP_2)
	v_add_co_ci_u32_e32 v11, vcc_lo, v14, v13, vcc_lo
	global_store_b64 v[8:9], v[12:13], off
	v_add_co_u32 v2, vcc_lo, v2, s1
	global_load_u8 v1, v[10:11], off
	v_add_co_ci_u32_e32 v3, vcc_lo, 0, v3, vcc_lo
	v_add_co_u32 v4, vcc_lo, s6, v4
	v_add_co_ci_u32_e32 v5, vcc_lo, s7, v5, vcc_lo
	s_delay_alu instid0(VALU_DEP_3) | instskip(NEXT) | instid1(VALU_DEP_3)
	v_cmp_le_i64_e32 vcc_lo, s[2:3], v[2:3]
	v_add_co_u32 v4, s0, v4, v6
	s_delay_alu instid0(VALU_DEP_1)
	v_add_co_ci_u32_e64 v5, s0, v5, v7, s0
	s_or_b32 s13, vcc_lo, s13
	s_waitcnt vmcnt(0)
	global_store_b8 v[4:5], v1, off
	s_and_not1_b32 exec_lo, exec_lo, s13
	s_cbranch_execnz .LBB225_2
.LBB225_3:
	s_nop 0
	s_sendmsg sendmsg(MSG_DEALLOC_VGPRS)
	s_endpgm
	.section	.rodata,"a",@progbits
	.p2align	6, 0x0
	.amdhsa_kernel _ZN2at6native12_GLOBAL__N_123sort_postprocess_kernelIaEEvPKT_PS3_PlPK15HIP_vector_typeIiLj2EEii
		.amdhsa_group_segment_fixed_size 0
		.amdhsa_private_segment_fixed_size 0
		.amdhsa_kernarg_size 296
		.amdhsa_user_sgpr_count 15
		.amdhsa_user_sgpr_dispatch_ptr 0
		.amdhsa_user_sgpr_queue_ptr 0
		.amdhsa_user_sgpr_kernarg_segment_ptr 1
		.amdhsa_user_sgpr_dispatch_id 0
		.amdhsa_user_sgpr_private_segment_size 0
		.amdhsa_wavefront_size32 1
		.amdhsa_uses_dynamic_stack 0
		.amdhsa_enable_private_segment 0
		.amdhsa_system_sgpr_workgroup_id_x 1
		.amdhsa_system_sgpr_workgroup_id_y 0
		.amdhsa_system_sgpr_workgroup_id_z 0
		.amdhsa_system_sgpr_workgroup_info 0
		.amdhsa_system_vgpr_workitem_id 0
		.amdhsa_next_free_vgpr 15
		.amdhsa_next_free_sgpr 16
		.amdhsa_reserve_vcc 1
		.amdhsa_float_round_mode_32 0
		.amdhsa_float_round_mode_16_64 0
		.amdhsa_float_denorm_mode_32 3
		.amdhsa_float_denorm_mode_16_64 3
		.amdhsa_dx10_clamp 1
		.amdhsa_ieee_mode 1
		.amdhsa_fp16_overflow 0
		.amdhsa_workgroup_processor_mode 1
		.amdhsa_memory_ordered 1
		.amdhsa_forward_progress 0
		.amdhsa_shared_vgpr_count 0
		.amdhsa_exception_fp_ieee_invalid_op 0
		.amdhsa_exception_fp_denorm_src 0
		.amdhsa_exception_fp_ieee_div_zero 0
		.amdhsa_exception_fp_ieee_overflow 0
		.amdhsa_exception_fp_ieee_underflow 0
		.amdhsa_exception_fp_ieee_inexact 0
		.amdhsa_exception_int_div_zero 0
	.end_amdhsa_kernel
	.section	.text._ZN2at6native12_GLOBAL__N_123sort_postprocess_kernelIaEEvPKT_PS3_PlPK15HIP_vector_typeIiLj2EEii,"axG",@progbits,_ZN2at6native12_GLOBAL__N_123sort_postprocess_kernelIaEEvPKT_PS3_PlPK15HIP_vector_typeIiLj2EEii,comdat
.Lfunc_end225:
	.size	_ZN2at6native12_GLOBAL__N_123sort_postprocess_kernelIaEEvPKT_PS3_PlPK15HIP_vector_typeIiLj2EEii, .Lfunc_end225-_ZN2at6native12_GLOBAL__N_123sort_postprocess_kernelIaEEvPKT_PS3_PlPK15HIP_vector_typeIiLj2EEii
                                        ; -- End function
	.section	.AMDGPU.csdata,"",@progbits
; Kernel info:
; codeLenInByte = 504
; NumSgprs: 18
; NumVgprs: 15
; ScratchSize: 0
; MemoryBound: 0
; FloatMode: 240
; IeeeMode: 1
; LDSByteSize: 0 bytes/workgroup (compile time only)
; SGPRBlocks: 2
; VGPRBlocks: 1
; NumSGPRsForWavesPerEU: 18
; NumVGPRsForWavesPerEU: 15
; Occupancy: 16
; WaveLimiterHint : 1
; COMPUTE_PGM_RSRC2:SCRATCH_EN: 0
; COMPUTE_PGM_RSRC2:USER_SGPR: 15
; COMPUTE_PGM_RSRC2:TRAP_HANDLER: 0
; COMPUTE_PGM_RSRC2:TGID_X_EN: 1
; COMPUTE_PGM_RSRC2:TGID_Y_EN: 0
; COMPUTE_PGM_RSRC2:TGID_Z_EN: 0
; COMPUTE_PGM_RSRC2:TIDIG_COMP_CNT: 0
	.section	.text._ZN7rocprim17ROCPRIM_400000_NS6detail17trampoline_kernelINS0_13select_configILj256ELj13ELNS0_17block_load_methodE3ELS4_3ELS4_3ELNS0_20block_scan_algorithmE0ELj4294967295EEENS1_25partition_config_selectorILNS1_17partition_subalgoE4EjNS0_10empty_typeEbEEZZNS1_14partition_implILS8_4ELb0ES6_15HIP_vector_typeIjLj2EENS0_17counting_iteratorIjlEEPS9_SG_NS0_5tupleIJPjSI_NS0_16reverse_iteratorISI_EEEEENSH_IJSG_SG_SG_EEES9_SI_JZNS1_25segmented_radix_sort_implINS0_14default_configELb1EPKaPaPKlPlN2at6native12_GLOBAL__N_18offset_tEEE10hipError_tPvRmT1_PNSt15iterator_traitsIS12_E10value_typeET2_T3_PNS13_IS18_E10value_typeET4_jRbjT5_S1E_jjP12ihipStream_tbEUljE_ZNSN_ISO_Lb1ESQ_SR_ST_SU_SY_EESZ_S10_S11_S12_S16_S17_S18_S1B_S1C_jS1D_jS1E_S1E_jjS1G_bEUljE0_EEESZ_S10_S11_S18_S1C_S1E_T6_T7_T9_mT8_S1G_bDpT10_ENKUlT_T0_E_clISt17integral_constantIbLb0EES1U_EEDaS1P_S1Q_EUlS1P_E_NS1_11comp_targetILNS1_3genE0ELNS1_11target_archE4294967295ELNS1_3gpuE0ELNS1_3repE0EEENS1_30default_config_static_selectorELNS0_4arch9wavefront6targetE0EEEvS12_,"axG",@progbits,_ZN7rocprim17ROCPRIM_400000_NS6detail17trampoline_kernelINS0_13select_configILj256ELj13ELNS0_17block_load_methodE3ELS4_3ELS4_3ELNS0_20block_scan_algorithmE0ELj4294967295EEENS1_25partition_config_selectorILNS1_17partition_subalgoE4EjNS0_10empty_typeEbEEZZNS1_14partition_implILS8_4ELb0ES6_15HIP_vector_typeIjLj2EENS0_17counting_iteratorIjlEEPS9_SG_NS0_5tupleIJPjSI_NS0_16reverse_iteratorISI_EEEEENSH_IJSG_SG_SG_EEES9_SI_JZNS1_25segmented_radix_sort_implINS0_14default_configELb1EPKaPaPKlPlN2at6native12_GLOBAL__N_18offset_tEEE10hipError_tPvRmT1_PNSt15iterator_traitsIS12_E10value_typeET2_T3_PNS13_IS18_E10value_typeET4_jRbjT5_S1E_jjP12ihipStream_tbEUljE_ZNSN_ISO_Lb1ESQ_SR_ST_SU_SY_EESZ_S10_S11_S12_S16_S17_S18_S1B_S1C_jS1D_jS1E_S1E_jjS1G_bEUljE0_EEESZ_S10_S11_S18_S1C_S1E_T6_T7_T9_mT8_S1G_bDpT10_ENKUlT_T0_E_clISt17integral_constantIbLb0EES1U_EEDaS1P_S1Q_EUlS1P_E_NS1_11comp_targetILNS1_3genE0ELNS1_11target_archE4294967295ELNS1_3gpuE0ELNS1_3repE0EEENS1_30default_config_static_selectorELNS0_4arch9wavefront6targetE0EEEvS12_,comdat
	.globl	_ZN7rocprim17ROCPRIM_400000_NS6detail17trampoline_kernelINS0_13select_configILj256ELj13ELNS0_17block_load_methodE3ELS4_3ELS4_3ELNS0_20block_scan_algorithmE0ELj4294967295EEENS1_25partition_config_selectorILNS1_17partition_subalgoE4EjNS0_10empty_typeEbEEZZNS1_14partition_implILS8_4ELb0ES6_15HIP_vector_typeIjLj2EENS0_17counting_iteratorIjlEEPS9_SG_NS0_5tupleIJPjSI_NS0_16reverse_iteratorISI_EEEEENSH_IJSG_SG_SG_EEES9_SI_JZNS1_25segmented_radix_sort_implINS0_14default_configELb1EPKaPaPKlPlN2at6native12_GLOBAL__N_18offset_tEEE10hipError_tPvRmT1_PNSt15iterator_traitsIS12_E10value_typeET2_T3_PNS13_IS18_E10value_typeET4_jRbjT5_S1E_jjP12ihipStream_tbEUljE_ZNSN_ISO_Lb1ESQ_SR_ST_SU_SY_EESZ_S10_S11_S12_S16_S17_S18_S1B_S1C_jS1D_jS1E_S1E_jjS1G_bEUljE0_EEESZ_S10_S11_S18_S1C_S1E_T6_T7_T9_mT8_S1G_bDpT10_ENKUlT_T0_E_clISt17integral_constantIbLb0EES1U_EEDaS1P_S1Q_EUlS1P_E_NS1_11comp_targetILNS1_3genE0ELNS1_11target_archE4294967295ELNS1_3gpuE0ELNS1_3repE0EEENS1_30default_config_static_selectorELNS0_4arch9wavefront6targetE0EEEvS12_ ; -- Begin function _ZN7rocprim17ROCPRIM_400000_NS6detail17trampoline_kernelINS0_13select_configILj256ELj13ELNS0_17block_load_methodE3ELS4_3ELS4_3ELNS0_20block_scan_algorithmE0ELj4294967295EEENS1_25partition_config_selectorILNS1_17partition_subalgoE4EjNS0_10empty_typeEbEEZZNS1_14partition_implILS8_4ELb0ES6_15HIP_vector_typeIjLj2EENS0_17counting_iteratorIjlEEPS9_SG_NS0_5tupleIJPjSI_NS0_16reverse_iteratorISI_EEEEENSH_IJSG_SG_SG_EEES9_SI_JZNS1_25segmented_radix_sort_implINS0_14default_configELb1EPKaPaPKlPlN2at6native12_GLOBAL__N_18offset_tEEE10hipError_tPvRmT1_PNSt15iterator_traitsIS12_E10value_typeET2_T3_PNS13_IS18_E10value_typeET4_jRbjT5_S1E_jjP12ihipStream_tbEUljE_ZNSN_ISO_Lb1ESQ_SR_ST_SU_SY_EESZ_S10_S11_S12_S16_S17_S18_S1B_S1C_jS1D_jS1E_S1E_jjS1G_bEUljE0_EEESZ_S10_S11_S18_S1C_S1E_T6_T7_T9_mT8_S1G_bDpT10_ENKUlT_T0_E_clISt17integral_constantIbLb0EES1U_EEDaS1P_S1Q_EUlS1P_E_NS1_11comp_targetILNS1_3genE0ELNS1_11target_archE4294967295ELNS1_3gpuE0ELNS1_3repE0EEENS1_30default_config_static_selectorELNS0_4arch9wavefront6targetE0EEEvS12_
	.p2align	8
	.type	_ZN7rocprim17ROCPRIM_400000_NS6detail17trampoline_kernelINS0_13select_configILj256ELj13ELNS0_17block_load_methodE3ELS4_3ELS4_3ELNS0_20block_scan_algorithmE0ELj4294967295EEENS1_25partition_config_selectorILNS1_17partition_subalgoE4EjNS0_10empty_typeEbEEZZNS1_14partition_implILS8_4ELb0ES6_15HIP_vector_typeIjLj2EENS0_17counting_iteratorIjlEEPS9_SG_NS0_5tupleIJPjSI_NS0_16reverse_iteratorISI_EEEEENSH_IJSG_SG_SG_EEES9_SI_JZNS1_25segmented_radix_sort_implINS0_14default_configELb1EPKaPaPKlPlN2at6native12_GLOBAL__N_18offset_tEEE10hipError_tPvRmT1_PNSt15iterator_traitsIS12_E10value_typeET2_T3_PNS13_IS18_E10value_typeET4_jRbjT5_S1E_jjP12ihipStream_tbEUljE_ZNSN_ISO_Lb1ESQ_SR_ST_SU_SY_EESZ_S10_S11_S12_S16_S17_S18_S1B_S1C_jS1D_jS1E_S1E_jjS1G_bEUljE0_EEESZ_S10_S11_S18_S1C_S1E_T6_T7_T9_mT8_S1G_bDpT10_ENKUlT_T0_E_clISt17integral_constantIbLb0EES1U_EEDaS1P_S1Q_EUlS1P_E_NS1_11comp_targetILNS1_3genE0ELNS1_11target_archE4294967295ELNS1_3gpuE0ELNS1_3repE0EEENS1_30default_config_static_selectorELNS0_4arch9wavefront6targetE0EEEvS12_,@function
_ZN7rocprim17ROCPRIM_400000_NS6detail17trampoline_kernelINS0_13select_configILj256ELj13ELNS0_17block_load_methodE3ELS4_3ELS4_3ELNS0_20block_scan_algorithmE0ELj4294967295EEENS1_25partition_config_selectorILNS1_17partition_subalgoE4EjNS0_10empty_typeEbEEZZNS1_14partition_implILS8_4ELb0ES6_15HIP_vector_typeIjLj2EENS0_17counting_iteratorIjlEEPS9_SG_NS0_5tupleIJPjSI_NS0_16reverse_iteratorISI_EEEEENSH_IJSG_SG_SG_EEES9_SI_JZNS1_25segmented_radix_sort_implINS0_14default_configELb1EPKaPaPKlPlN2at6native12_GLOBAL__N_18offset_tEEE10hipError_tPvRmT1_PNSt15iterator_traitsIS12_E10value_typeET2_T3_PNS13_IS18_E10value_typeET4_jRbjT5_S1E_jjP12ihipStream_tbEUljE_ZNSN_ISO_Lb1ESQ_SR_ST_SU_SY_EESZ_S10_S11_S12_S16_S17_S18_S1B_S1C_jS1D_jS1E_S1E_jjS1G_bEUljE0_EEESZ_S10_S11_S18_S1C_S1E_T6_T7_T9_mT8_S1G_bDpT10_ENKUlT_T0_E_clISt17integral_constantIbLb0EES1U_EEDaS1P_S1Q_EUlS1P_E_NS1_11comp_targetILNS1_3genE0ELNS1_11target_archE4294967295ELNS1_3gpuE0ELNS1_3repE0EEENS1_30default_config_static_selectorELNS0_4arch9wavefront6targetE0EEEvS12_: ; @_ZN7rocprim17ROCPRIM_400000_NS6detail17trampoline_kernelINS0_13select_configILj256ELj13ELNS0_17block_load_methodE3ELS4_3ELS4_3ELNS0_20block_scan_algorithmE0ELj4294967295EEENS1_25partition_config_selectorILNS1_17partition_subalgoE4EjNS0_10empty_typeEbEEZZNS1_14partition_implILS8_4ELb0ES6_15HIP_vector_typeIjLj2EENS0_17counting_iteratorIjlEEPS9_SG_NS0_5tupleIJPjSI_NS0_16reverse_iteratorISI_EEEEENSH_IJSG_SG_SG_EEES9_SI_JZNS1_25segmented_radix_sort_implINS0_14default_configELb1EPKaPaPKlPlN2at6native12_GLOBAL__N_18offset_tEEE10hipError_tPvRmT1_PNSt15iterator_traitsIS12_E10value_typeET2_T3_PNS13_IS18_E10value_typeET4_jRbjT5_S1E_jjP12ihipStream_tbEUljE_ZNSN_ISO_Lb1ESQ_SR_ST_SU_SY_EESZ_S10_S11_S12_S16_S17_S18_S1B_S1C_jS1D_jS1E_S1E_jjS1G_bEUljE0_EEESZ_S10_S11_S18_S1C_S1E_T6_T7_T9_mT8_S1G_bDpT10_ENKUlT_T0_E_clISt17integral_constantIbLb0EES1U_EEDaS1P_S1Q_EUlS1P_E_NS1_11comp_targetILNS1_3genE0ELNS1_11target_archE4294967295ELNS1_3gpuE0ELNS1_3repE0EEENS1_30default_config_static_selectorELNS0_4arch9wavefront6targetE0EEEvS12_
; %bb.0:
	.section	.rodata,"a",@progbits
	.p2align	6, 0x0
	.amdhsa_kernel _ZN7rocprim17ROCPRIM_400000_NS6detail17trampoline_kernelINS0_13select_configILj256ELj13ELNS0_17block_load_methodE3ELS4_3ELS4_3ELNS0_20block_scan_algorithmE0ELj4294967295EEENS1_25partition_config_selectorILNS1_17partition_subalgoE4EjNS0_10empty_typeEbEEZZNS1_14partition_implILS8_4ELb0ES6_15HIP_vector_typeIjLj2EENS0_17counting_iteratorIjlEEPS9_SG_NS0_5tupleIJPjSI_NS0_16reverse_iteratorISI_EEEEENSH_IJSG_SG_SG_EEES9_SI_JZNS1_25segmented_radix_sort_implINS0_14default_configELb1EPKaPaPKlPlN2at6native12_GLOBAL__N_18offset_tEEE10hipError_tPvRmT1_PNSt15iterator_traitsIS12_E10value_typeET2_T3_PNS13_IS18_E10value_typeET4_jRbjT5_S1E_jjP12ihipStream_tbEUljE_ZNSN_ISO_Lb1ESQ_SR_ST_SU_SY_EESZ_S10_S11_S12_S16_S17_S18_S1B_S1C_jS1D_jS1E_S1E_jjS1G_bEUljE0_EEESZ_S10_S11_S18_S1C_S1E_T6_T7_T9_mT8_S1G_bDpT10_ENKUlT_T0_E_clISt17integral_constantIbLb0EES1U_EEDaS1P_S1Q_EUlS1P_E_NS1_11comp_targetILNS1_3genE0ELNS1_11target_archE4294967295ELNS1_3gpuE0ELNS1_3repE0EEENS1_30default_config_static_selectorELNS0_4arch9wavefront6targetE0EEEvS12_
		.amdhsa_group_segment_fixed_size 0
		.amdhsa_private_segment_fixed_size 0
		.amdhsa_kernarg_size 176
		.amdhsa_user_sgpr_count 15
		.amdhsa_user_sgpr_dispatch_ptr 0
		.amdhsa_user_sgpr_queue_ptr 0
		.amdhsa_user_sgpr_kernarg_segment_ptr 1
		.amdhsa_user_sgpr_dispatch_id 0
		.amdhsa_user_sgpr_private_segment_size 0
		.amdhsa_wavefront_size32 1
		.amdhsa_uses_dynamic_stack 0
		.amdhsa_enable_private_segment 0
		.amdhsa_system_sgpr_workgroup_id_x 1
		.amdhsa_system_sgpr_workgroup_id_y 0
		.amdhsa_system_sgpr_workgroup_id_z 0
		.amdhsa_system_sgpr_workgroup_info 0
		.amdhsa_system_vgpr_workitem_id 0
		.amdhsa_next_free_vgpr 1
		.amdhsa_next_free_sgpr 1
		.amdhsa_reserve_vcc 0
		.amdhsa_float_round_mode_32 0
		.amdhsa_float_round_mode_16_64 0
		.amdhsa_float_denorm_mode_32 3
		.amdhsa_float_denorm_mode_16_64 3
		.amdhsa_dx10_clamp 1
		.amdhsa_ieee_mode 1
		.amdhsa_fp16_overflow 0
		.amdhsa_workgroup_processor_mode 1
		.amdhsa_memory_ordered 1
		.amdhsa_forward_progress 0
		.amdhsa_shared_vgpr_count 0
		.amdhsa_exception_fp_ieee_invalid_op 0
		.amdhsa_exception_fp_denorm_src 0
		.amdhsa_exception_fp_ieee_div_zero 0
		.amdhsa_exception_fp_ieee_overflow 0
		.amdhsa_exception_fp_ieee_underflow 0
		.amdhsa_exception_fp_ieee_inexact 0
		.amdhsa_exception_int_div_zero 0
	.end_amdhsa_kernel
	.section	.text._ZN7rocprim17ROCPRIM_400000_NS6detail17trampoline_kernelINS0_13select_configILj256ELj13ELNS0_17block_load_methodE3ELS4_3ELS4_3ELNS0_20block_scan_algorithmE0ELj4294967295EEENS1_25partition_config_selectorILNS1_17partition_subalgoE4EjNS0_10empty_typeEbEEZZNS1_14partition_implILS8_4ELb0ES6_15HIP_vector_typeIjLj2EENS0_17counting_iteratorIjlEEPS9_SG_NS0_5tupleIJPjSI_NS0_16reverse_iteratorISI_EEEEENSH_IJSG_SG_SG_EEES9_SI_JZNS1_25segmented_radix_sort_implINS0_14default_configELb1EPKaPaPKlPlN2at6native12_GLOBAL__N_18offset_tEEE10hipError_tPvRmT1_PNSt15iterator_traitsIS12_E10value_typeET2_T3_PNS13_IS18_E10value_typeET4_jRbjT5_S1E_jjP12ihipStream_tbEUljE_ZNSN_ISO_Lb1ESQ_SR_ST_SU_SY_EESZ_S10_S11_S12_S16_S17_S18_S1B_S1C_jS1D_jS1E_S1E_jjS1G_bEUljE0_EEESZ_S10_S11_S18_S1C_S1E_T6_T7_T9_mT8_S1G_bDpT10_ENKUlT_T0_E_clISt17integral_constantIbLb0EES1U_EEDaS1P_S1Q_EUlS1P_E_NS1_11comp_targetILNS1_3genE0ELNS1_11target_archE4294967295ELNS1_3gpuE0ELNS1_3repE0EEENS1_30default_config_static_selectorELNS0_4arch9wavefront6targetE0EEEvS12_,"axG",@progbits,_ZN7rocprim17ROCPRIM_400000_NS6detail17trampoline_kernelINS0_13select_configILj256ELj13ELNS0_17block_load_methodE3ELS4_3ELS4_3ELNS0_20block_scan_algorithmE0ELj4294967295EEENS1_25partition_config_selectorILNS1_17partition_subalgoE4EjNS0_10empty_typeEbEEZZNS1_14partition_implILS8_4ELb0ES6_15HIP_vector_typeIjLj2EENS0_17counting_iteratorIjlEEPS9_SG_NS0_5tupleIJPjSI_NS0_16reverse_iteratorISI_EEEEENSH_IJSG_SG_SG_EEES9_SI_JZNS1_25segmented_radix_sort_implINS0_14default_configELb1EPKaPaPKlPlN2at6native12_GLOBAL__N_18offset_tEEE10hipError_tPvRmT1_PNSt15iterator_traitsIS12_E10value_typeET2_T3_PNS13_IS18_E10value_typeET4_jRbjT5_S1E_jjP12ihipStream_tbEUljE_ZNSN_ISO_Lb1ESQ_SR_ST_SU_SY_EESZ_S10_S11_S12_S16_S17_S18_S1B_S1C_jS1D_jS1E_S1E_jjS1G_bEUljE0_EEESZ_S10_S11_S18_S1C_S1E_T6_T7_T9_mT8_S1G_bDpT10_ENKUlT_T0_E_clISt17integral_constantIbLb0EES1U_EEDaS1P_S1Q_EUlS1P_E_NS1_11comp_targetILNS1_3genE0ELNS1_11target_archE4294967295ELNS1_3gpuE0ELNS1_3repE0EEENS1_30default_config_static_selectorELNS0_4arch9wavefront6targetE0EEEvS12_,comdat
.Lfunc_end226:
	.size	_ZN7rocprim17ROCPRIM_400000_NS6detail17trampoline_kernelINS0_13select_configILj256ELj13ELNS0_17block_load_methodE3ELS4_3ELS4_3ELNS0_20block_scan_algorithmE0ELj4294967295EEENS1_25partition_config_selectorILNS1_17partition_subalgoE4EjNS0_10empty_typeEbEEZZNS1_14partition_implILS8_4ELb0ES6_15HIP_vector_typeIjLj2EENS0_17counting_iteratorIjlEEPS9_SG_NS0_5tupleIJPjSI_NS0_16reverse_iteratorISI_EEEEENSH_IJSG_SG_SG_EEES9_SI_JZNS1_25segmented_radix_sort_implINS0_14default_configELb1EPKaPaPKlPlN2at6native12_GLOBAL__N_18offset_tEEE10hipError_tPvRmT1_PNSt15iterator_traitsIS12_E10value_typeET2_T3_PNS13_IS18_E10value_typeET4_jRbjT5_S1E_jjP12ihipStream_tbEUljE_ZNSN_ISO_Lb1ESQ_SR_ST_SU_SY_EESZ_S10_S11_S12_S16_S17_S18_S1B_S1C_jS1D_jS1E_S1E_jjS1G_bEUljE0_EEESZ_S10_S11_S18_S1C_S1E_T6_T7_T9_mT8_S1G_bDpT10_ENKUlT_T0_E_clISt17integral_constantIbLb0EES1U_EEDaS1P_S1Q_EUlS1P_E_NS1_11comp_targetILNS1_3genE0ELNS1_11target_archE4294967295ELNS1_3gpuE0ELNS1_3repE0EEENS1_30default_config_static_selectorELNS0_4arch9wavefront6targetE0EEEvS12_, .Lfunc_end226-_ZN7rocprim17ROCPRIM_400000_NS6detail17trampoline_kernelINS0_13select_configILj256ELj13ELNS0_17block_load_methodE3ELS4_3ELS4_3ELNS0_20block_scan_algorithmE0ELj4294967295EEENS1_25partition_config_selectorILNS1_17partition_subalgoE4EjNS0_10empty_typeEbEEZZNS1_14partition_implILS8_4ELb0ES6_15HIP_vector_typeIjLj2EENS0_17counting_iteratorIjlEEPS9_SG_NS0_5tupleIJPjSI_NS0_16reverse_iteratorISI_EEEEENSH_IJSG_SG_SG_EEES9_SI_JZNS1_25segmented_radix_sort_implINS0_14default_configELb1EPKaPaPKlPlN2at6native12_GLOBAL__N_18offset_tEEE10hipError_tPvRmT1_PNSt15iterator_traitsIS12_E10value_typeET2_T3_PNS13_IS18_E10value_typeET4_jRbjT5_S1E_jjP12ihipStream_tbEUljE_ZNSN_ISO_Lb1ESQ_SR_ST_SU_SY_EESZ_S10_S11_S12_S16_S17_S18_S1B_S1C_jS1D_jS1E_S1E_jjS1G_bEUljE0_EEESZ_S10_S11_S18_S1C_S1E_T6_T7_T9_mT8_S1G_bDpT10_ENKUlT_T0_E_clISt17integral_constantIbLb0EES1U_EEDaS1P_S1Q_EUlS1P_E_NS1_11comp_targetILNS1_3genE0ELNS1_11target_archE4294967295ELNS1_3gpuE0ELNS1_3repE0EEENS1_30default_config_static_selectorELNS0_4arch9wavefront6targetE0EEEvS12_
                                        ; -- End function
	.section	.AMDGPU.csdata,"",@progbits
; Kernel info:
; codeLenInByte = 0
; NumSgprs: 0
; NumVgprs: 0
; ScratchSize: 0
; MemoryBound: 0
; FloatMode: 240
; IeeeMode: 1
; LDSByteSize: 0 bytes/workgroup (compile time only)
; SGPRBlocks: 0
; VGPRBlocks: 0
; NumSGPRsForWavesPerEU: 1
; NumVGPRsForWavesPerEU: 1
; Occupancy: 16
; WaveLimiterHint : 0
; COMPUTE_PGM_RSRC2:SCRATCH_EN: 0
; COMPUTE_PGM_RSRC2:USER_SGPR: 15
; COMPUTE_PGM_RSRC2:TRAP_HANDLER: 0
; COMPUTE_PGM_RSRC2:TGID_X_EN: 1
; COMPUTE_PGM_RSRC2:TGID_Y_EN: 0
; COMPUTE_PGM_RSRC2:TGID_Z_EN: 0
; COMPUTE_PGM_RSRC2:TIDIG_COMP_CNT: 0
	.section	.text._ZN7rocprim17ROCPRIM_400000_NS6detail17trampoline_kernelINS0_13select_configILj256ELj13ELNS0_17block_load_methodE3ELS4_3ELS4_3ELNS0_20block_scan_algorithmE0ELj4294967295EEENS1_25partition_config_selectorILNS1_17partition_subalgoE4EjNS0_10empty_typeEbEEZZNS1_14partition_implILS8_4ELb0ES6_15HIP_vector_typeIjLj2EENS0_17counting_iteratorIjlEEPS9_SG_NS0_5tupleIJPjSI_NS0_16reverse_iteratorISI_EEEEENSH_IJSG_SG_SG_EEES9_SI_JZNS1_25segmented_radix_sort_implINS0_14default_configELb1EPKaPaPKlPlN2at6native12_GLOBAL__N_18offset_tEEE10hipError_tPvRmT1_PNSt15iterator_traitsIS12_E10value_typeET2_T3_PNS13_IS18_E10value_typeET4_jRbjT5_S1E_jjP12ihipStream_tbEUljE_ZNSN_ISO_Lb1ESQ_SR_ST_SU_SY_EESZ_S10_S11_S12_S16_S17_S18_S1B_S1C_jS1D_jS1E_S1E_jjS1G_bEUljE0_EEESZ_S10_S11_S18_S1C_S1E_T6_T7_T9_mT8_S1G_bDpT10_ENKUlT_T0_E_clISt17integral_constantIbLb0EES1U_EEDaS1P_S1Q_EUlS1P_E_NS1_11comp_targetILNS1_3genE5ELNS1_11target_archE942ELNS1_3gpuE9ELNS1_3repE0EEENS1_30default_config_static_selectorELNS0_4arch9wavefront6targetE0EEEvS12_,"axG",@progbits,_ZN7rocprim17ROCPRIM_400000_NS6detail17trampoline_kernelINS0_13select_configILj256ELj13ELNS0_17block_load_methodE3ELS4_3ELS4_3ELNS0_20block_scan_algorithmE0ELj4294967295EEENS1_25partition_config_selectorILNS1_17partition_subalgoE4EjNS0_10empty_typeEbEEZZNS1_14partition_implILS8_4ELb0ES6_15HIP_vector_typeIjLj2EENS0_17counting_iteratorIjlEEPS9_SG_NS0_5tupleIJPjSI_NS0_16reverse_iteratorISI_EEEEENSH_IJSG_SG_SG_EEES9_SI_JZNS1_25segmented_radix_sort_implINS0_14default_configELb1EPKaPaPKlPlN2at6native12_GLOBAL__N_18offset_tEEE10hipError_tPvRmT1_PNSt15iterator_traitsIS12_E10value_typeET2_T3_PNS13_IS18_E10value_typeET4_jRbjT5_S1E_jjP12ihipStream_tbEUljE_ZNSN_ISO_Lb1ESQ_SR_ST_SU_SY_EESZ_S10_S11_S12_S16_S17_S18_S1B_S1C_jS1D_jS1E_S1E_jjS1G_bEUljE0_EEESZ_S10_S11_S18_S1C_S1E_T6_T7_T9_mT8_S1G_bDpT10_ENKUlT_T0_E_clISt17integral_constantIbLb0EES1U_EEDaS1P_S1Q_EUlS1P_E_NS1_11comp_targetILNS1_3genE5ELNS1_11target_archE942ELNS1_3gpuE9ELNS1_3repE0EEENS1_30default_config_static_selectorELNS0_4arch9wavefront6targetE0EEEvS12_,comdat
	.globl	_ZN7rocprim17ROCPRIM_400000_NS6detail17trampoline_kernelINS0_13select_configILj256ELj13ELNS0_17block_load_methodE3ELS4_3ELS4_3ELNS0_20block_scan_algorithmE0ELj4294967295EEENS1_25partition_config_selectorILNS1_17partition_subalgoE4EjNS0_10empty_typeEbEEZZNS1_14partition_implILS8_4ELb0ES6_15HIP_vector_typeIjLj2EENS0_17counting_iteratorIjlEEPS9_SG_NS0_5tupleIJPjSI_NS0_16reverse_iteratorISI_EEEEENSH_IJSG_SG_SG_EEES9_SI_JZNS1_25segmented_radix_sort_implINS0_14default_configELb1EPKaPaPKlPlN2at6native12_GLOBAL__N_18offset_tEEE10hipError_tPvRmT1_PNSt15iterator_traitsIS12_E10value_typeET2_T3_PNS13_IS18_E10value_typeET4_jRbjT5_S1E_jjP12ihipStream_tbEUljE_ZNSN_ISO_Lb1ESQ_SR_ST_SU_SY_EESZ_S10_S11_S12_S16_S17_S18_S1B_S1C_jS1D_jS1E_S1E_jjS1G_bEUljE0_EEESZ_S10_S11_S18_S1C_S1E_T6_T7_T9_mT8_S1G_bDpT10_ENKUlT_T0_E_clISt17integral_constantIbLb0EES1U_EEDaS1P_S1Q_EUlS1P_E_NS1_11comp_targetILNS1_3genE5ELNS1_11target_archE942ELNS1_3gpuE9ELNS1_3repE0EEENS1_30default_config_static_selectorELNS0_4arch9wavefront6targetE0EEEvS12_ ; -- Begin function _ZN7rocprim17ROCPRIM_400000_NS6detail17trampoline_kernelINS0_13select_configILj256ELj13ELNS0_17block_load_methodE3ELS4_3ELS4_3ELNS0_20block_scan_algorithmE0ELj4294967295EEENS1_25partition_config_selectorILNS1_17partition_subalgoE4EjNS0_10empty_typeEbEEZZNS1_14partition_implILS8_4ELb0ES6_15HIP_vector_typeIjLj2EENS0_17counting_iteratorIjlEEPS9_SG_NS0_5tupleIJPjSI_NS0_16reverse_iteratorISI_EEEEENSH_IJSG_SG_SG_EEES9_SI_JZNS1_25segmented_radix_sort_implINS0_14default_configELb1EPKaPaPKlPlN2at6native12_GLOBAL__N_18offset_tEEE10hipError_tPvRmT1_PNSt15iterator_traitsIS12_E10value_typeET2_T3_PNS13_IS18_E10value_typeET4_jRbjT5_S1E_jjP12ihipStream_tbEUljE_ZNSN_ISO_Lb1ESQ_SR_ST_SU_SY_EESZ_S10_S11_S12_S16_S17_S18_S1B_S1C_jS1D_jS1E_S1E_jjS1G_bEUljE0_EEESZ_S10_S11_S18_S1C_S1E_T6_T7_T9_mT8_S1G_bDpT10_ENKUlT_T0_E_clISt17integral_constantIbLb0EES1U_EEDaS1P_S1Q_EUlS1P_E_NS1_11comp_targetILNS1_3genE5ELNS1_11target_archE942ELNS1_3gpuE9ELNS1_3repE0EEENS1_30default_config_static_selectorELNS0_4arch9wavefront6targetE0EEEvS12_
	.p2align	8
	.type	_ZN7rocprim17ROCPRIM_400000_NS6detail17trampoline_kernelINS0_13select_configILj256ELj13ELNS0_17block_load_methodE3ELS4_3ELS4_3ELNS0_20block_scan_algorithmE0ELj4294967295EEENS1_25partition_config_selectorILNS1_17partition_subalgoE4EjNS0_10empty_typeEbEEZZNS1_14partition_implILS8_4ELb0ES6_15HIP_vector_typeIjLj2EENS0_17counting_iteratorIjlEEPS9_SG_NS0_5tupleIJPjSI_NS0_16reverse_iteratorISI_EEEEENSH_IJSG_SG_SG_EEES9_SI_JZNS1_25segmented_radix_sort_implINS0_14default_configELb1EPKaPaPKlPlN2at6native12_GLOBAL__N_18offset_tEEE10hipError_tPvRmT1_PNSt15iterator_traitsIS12_E10value_typeET2_T3_PNS13_IS18_E10value_typeET4_jRbjT5_S1E_jjP12ihipStream_tbEUljE_ZNSN_ISO_Lb1ESQ_SR_ST_SU_SY_EESZ_S10_S11_S12_S16_S17_S18_S1B_S1C_jS1D_jS1E_S1E_jjS1G_bEUljE0_EEESZ_S10_S11_S18_S1C_S1E_T6_T7_T9_mT8_S1G_bDpT10_ENKUlT_T0_E_clISt17integral_constantIbLb0EES1U_EEDaS1P_S1Q_EUlS1P_E_NS1_11comp_targetILNS1_3genE5ELNS1_11target_archE942ELNS1_3gpuE9ELNS1_3repE0EEENS1_30default_config_static_selectorELNS0_4arch9wavefront6targetE0EEEvS12_,@function
_ZN7rocprim17ROCPRIM_400000_NS6detail17trampoline_kernelINS0_13select_configILj256ELj13ELNS0_17block_load_methodE3ELS4_3ELS4_3ELNS0_20block_scan_algorithmE0ELj4294967295EEENS1_25partition_config_selectorILNS1_17partition_subalgoE4EjNS0_10empty_typeEbEEZZNS1_14partition_implILS8_4ELb0ES6_15HIP_vector_typeIjLj2EENS0_17counting_iteratorIjlEEPS9_SG_NS0_5tupleIJPjSI_NS0_16reverse_iteratorISI_EEEEENSH_IJSG_SG_SG_EEES9_SI_JZNS1_25segmented_radix_sort_implINS0_14default_configELb1EPKaPaPKlPlN2at6native12_GLOBAL__N_18offset_tEEE10hipError_tPvRmT1_PNSt15iterator_traitsIS12_E10value_typeET2_T3_PNS13_IS18_E10value_typeET4_jRbjT5_S1E_jjP12ihipStream_tbEUljE_ZNSN_ISO_Lb1ESQ_SR_ST_SU_SY_EESZ_S10_S11_S12_S16_S17_S18_S1B_S1C_jS1D_jS1E_S1E_jjS1G_bEUljE0_EEESZ_S10_S11_S18_S1C_S1E_T6_T7_T9_mT8_S1G_bDpT10_ENKUlT_T0_E_clISt17integral_constantIbLb0EES1U_EEDaS1P_S1Q_EUlS1P_E_NS1_11comp_targetILNS1_3genE5ELNS1_11target_archE942ELNS1_3gpuE9ELNS1_3repE0EEENS1_30default_config_static_selectorELNS0_4arch9wavefront6targetE0EEEvS12_: ; @_ZN7rocprim17ROCPRIM_400000_NS6detail17trampoline_kernelINS0_13select_configILj256ELj13ELNS0_17block_load_methodE3ELS4_3ELS4_3ELNS0_20block_scan_algorithmE0ELj4294967295EEENS1_25partition_config_selectorILNS1_17partition_subalgoE4EjNS0_10empty_typeEbEEZZNS1_14partition_implILS8_4ELb0ES6_15HIP_vector_typeIjLj2EENS0_17counting_iteratorIjlEEPS9_SG_NS0_5tupleIJPjSI_NS0_16reverse_iteratorISI_EEEEENSH_IJSG_SG_SG_EEES9_SI_JZNS1_25segmented_radix_sort_implINS0_14default_configELb1EPKaPaPKlPlN2at6native12_GLOBAL__N_18offset_tEEE10hipError_tPvRmT1_PNSt15iterator_traitsIS12_E10value_typeET2_T3_PNS13_IS18_E10value_typeET4_jRbjT5_S1E_jjP12ihipStream_tbEUljE_ZNSN_ISO_Lb1ESQ_SR_ST_SU_SY_EESZ_S10_S11_S12_S16_S17_S18_S1B_S1C_jS1D_jS1E_S1E_jjS1G_bEUljE0_EEESZ_S10_S11_S18_S1C_S1E_T6_T7_T9_mT8_S1G_bDpT10_ENKUlT_T0_E_clISt17integral_constantIbLb0EES1U_EEDaS1P_S1Q_EUlS1P_E_NS1_11comp_targetILNS1_3genE5ELNS1_11target_archE942ELNS1_3gpuE9ELNS1_3repE0EEENS1_30default_config_static_selectorELNS0_4arch9wavefront6targetE0EEEvS12_
; %bb.0:
	.section	.rodata,"a",@progbits
	.p2align	6, 0x0
	.amdhsa_kernel _ZN7rocprim17ROCPRIM_400000_NS6detail17trampoline_kernelINS0_13select_configILj256ELj13ELNS0_17block_load_methodE3ELS4_3ELS4_3ELNS0_20block_scan_algorithmE0ELj4294967295EEENS1_25partition_config_selectorILNS1_17partition_subalgoE4EjNS0_10empty_typeEbEEZZNS1_14partition_implILS8_4ELb0ES6_15HIP_vector_typeIjLj2EENS0_17counting_iteratorIjlEEPS9_SG_NS0_5tupleIJPjSI_NS0_16reverse_iteratorISI_EEEEENSH_IJSG_SG_SG_EEES9_SI_JZNS1_25segmented_radix_sort_implINS0_14default_configELb1EPKaPaPKlPlN2at6native12_GLOBAL__N_18offset_tEEE10hipError_tPvRmT1_PNSt15iterator_traitsIS12_E10value_typeET2_T3_PNS13_IS18_E10value_typeET4_jRbjT5_S1E_jjP12ihipStream_tbEUljE_ZNSN_ISO_Lb1ESQ_SR_ST_SU_SY_EESZ_S10_S11_S12_S16_S17_S18_S1B_S1C_jS1D_jS1E_S1E_jjS1G_bEUljE0_EEESZ_S10_S11_S18_S1C_S1E_T6_T7_T9_mT8_S1G_bDpT10_ENKUlT_T0_E_clISt17integral_constantIbLb0EES1U_EEDaS1P_S1Q_EUlS1P_E_NS1_11comp_targetILNS1_3genE5ELNS1_11target_archE942ELNS1_3gpuE9ELNS1_3repE0EEENS1_30default_config_static_selectorELNS0_4arch9wavefront6targetE0EEEvS12_
		.amdhsa_group_segment_fixed_size 0
		.amdhsa_private_segment_fixed_size 0
		.amdhsa_kernarg_size 176
		.amdhsa_user_sgpr_count 15
		.amdhsa_user_sgpr_dispatch_ptr 0
		.amdhsa_user_sgpr_queue_ptr 0
		.amdhsa_user_sgpr_kernarg_segment_ptr 1
		.amdhsa_user_sgpr_dispatch_id 0
		.amdhsa_user_sgpr_private_segment_size 0
		.amdhsa_wavefront_size32 1
		.amdhsa_uses_dynamic_stack 0
		.amdhsa_enable_private_segment 0
		.amdhsa_system_sgpr_workgroup_id_x 1
		.amdhsa_system_sgpr_workgroup_id_y 0
		.amdhsa_system_sgpr_workgroup_id_z 0
		.amdhsa_system_sgpr_workgroup_info 0
		.amdhsa_system_vgpr_workitem_id 0
		.amdhsa_next_free_vgpr 1
		.amdhsa_next_free_sgpr 1
		.amdhsa_reserve_vcc 0
		.amdhsa_float_round_mode_32 0
		.amdhsa_float_round_mode_16_64 0
		.amdhsa_float_denorm_mode_32 3
		.amdhsa_float_denorm_mode_16_64 3
		.amdhsa_dx10_clamp 1
		.amdhsa_ieee_mode 1
		.amdhsa_fp16_overflow 0
		.amdhsa_workgroup_processor_mode 1
		.amdhsa_memory_ordered 1
		.amdhsa_forward_progress 0
		.amdhsa_shared_vgpr_count 0
		.amdhsa_exception_fp_ieee_invalid_op 0
		.amdhsa_exception_fp_denorm_src 0
		.amdhsa_exception_fp_ieee_div_zero 0
		.amdhsa_exception_fp_ieee_overflow 0
		.amdhsa_exception_fp_ieee_underflow 0
		.amdhsa_exception_fp_ieee_inexact 0
		.amdhsa_exception_int_div_zero 0
	.end_amdhsa_kernel
	.section	.text._ZN7rocprim17ROCPRIM_400000_NS6detail17trampoline_kernelINS0_13select_configILj256ELj13ELNS0_17block_load_methodE3ELS4_3ELS4_3ELNS0_20block_scan_algorithmE0ELj4294967295EEENS1_25partition_config_selectorILNS1_17partition_subalgoE4EjNS0_10empty_typeEbEEZZNS1_14partition_implILS8_4ELb0ES6_15HIP_vector_typeIjLj2EENS0_17counting_iteratorIjlEEPS9_SG_NS0_5tupleIJPjSI_NS0_16reverse_iteratorISI_EEEEENSH_IJSG_SG_SG_EEES9_SI_JZNS1_25segmented_radix_sort_implINS0_14default_configELb1EPKaPaPKlPlN2at6native12_GLOBAL__N_18offset_tEEE10hipError_tPvRmT1_PNSt15iterator_traitsIS12_E10value_typeET2_T3_PNS13_IS18_E10value_typeET4_jRbjT5_S1E_jjP12ihipStream_tbEUljE_ZNSN_ISO_Lb1ESQ_SR_ST_SU_SY_EESZ_S10_S11_S12_S16_S17_S18_S1B_S1C_jS1D_jS1E_S1E_jjS1G_bEUljE0_EEESZ_S10_S11_S18_S1C_S1E_T6_T7_T9_mT8_S1G_bDpT10_ENKUlT_T0_E_clISt17integral_constantIbLb0EES1U_EEDaS1P_S1Q_EUlS1P_E_NS1_11comp_targetILNS1_3genE5ELNS1_11target_archE942ELNS1_3gpuE9ELNS1_3repE0EEENS1_30default_config_static_selectorELNS0_4arch9wavefront6targetE0EEEvS12_,"axG",@progbits,_ZN7rocprim17ROCPRIM_400000_NS6detail17trampoline_kernelINS0_13select_configILj256ELj13ELNS0_17block_load_methodE3ELS4_3ELS4_3ELNS0_20block_scan_algorithmE0ELj4294967295EEENS1_25partition_config_selectorILNS1_17partition_subalgoE4EjNS0_10empty_typeEbEEZZNS1_14partition_implILS8_4ELb0ES6_15HIP_vector_typeIjLj2EENS0_17counting_iteratorIjlEEPS9_SG_NS0_5tupleIJPjSI_NS0_16reverse_iteratorISI_EEEEENSH_IJSG_SG_SG_EEES9_SI_JZNS1_25segmented_radix_sort_implINS0_14default_configELb1EPKaPaPKlPlN2at6native12_GLOBAL__N_18offset_tEEE10hipError_tPvRmT1_PNSt15iterator_traitsIS12_E10value_typeET2_T3_PNS13_IS18_E10value_typeET4_jRbjT5_S1E_jjP12ihipStream_tbEUljE_ZNSN_ISO_Lb1ESQ_SR_ST_SU_SY_EESZ_S10_S11_S12_S16_S17_S18_S1B_S1C_jS1D_jS1E_S1E_jjS1G_bEUljE0_EEESZ_S10_S11_S18_S1C_S1E_T6_T7_T9_mT8_S1G_bDpT10_ENKUlT_T0_E_clISt17integral_constantIbLb0EES1U_EEDaS1P_S1Q_EUlS1P_E_NS1_11comp_targetILNS1_3genE5ELNS1_11target_archE942ELNS1_3gpuE9ELNS1_3repE0EEENS1_30default_config_static_selectorELNS0_4arch9wavefront6targetE0EEEvS12_,comdat
.Lfunc_end227:
	.size	_ZN7rocprim17ROCPRIM_400000_NS6detail17trampoline_kernelINS0_13select_configILj256ELj13ELNS0_17block_load_methodE3ELS4_3ELS4_3ELNS0_20block_scan_algorithmE0ELj4294967295EEENS1_25partition_config_selectorILNS1_17partition_subalgoE4EjNS0_10empty_typeEbEEZZNS1_14partition_implILS8_4ELb0ES6_15HIP_vector_typeIjLj2EENS0_17counting_iteratorIjlEEPS9_SG_NS0_5tupleIJPjSI_NS0_16reverse_iteratorISI_EEEEENSH_IJSG_SG_SG_EEES9_SI_JZNS1_25segmented_radix_sort_implINS0_14default_configELb1EPKaPaPKlPlN2at6native12_GLOBAL__N_18offset_tEEE10hipError_tPvRmT1_PNSt15iterator_traitsIS12_E10value_typeET2_T3_PNS13_IS18_E10value_typeET4_jRbjT5_S1E_jjP12ihipStream_tbEUljE_ZNSN_ISO_Lb1ESQ_SR_ST_SU_SY_EESZ_S10_S11_S12_S16_S17_S18_S1B_S1C_jS1D_jS1E_S1E_jjS1G_bEUljE0_EEESZ_S10_S11_S18_S1C_S1E_T6_T7_T9_mT8_S1G_bDpT10_ENKUlT_T0_E_clISt17integral_constantIbLb0EES1U_EEDaS1P_S1Q_EUlS1P_E_NS1_11comp_targetILNS1_3genE5ELNS1_11target_archE942ELNS1_3gpuE9ELNS1_3repE0EEENS1_30default_config_static_selectorELNS0_4arch9wavefront6targetE0EEEvS12_, .Lfunc_end227-_ZN7rocprim17ROCPRIM_400000_NS6detail17trampoline_kernelINS0_13select_configILj256ELj13ELNS0_17block_load_methodE3ELS4_3ELS4_3ELNS0_20block_scan_algorithmE0ELj4294967295EEENS1_25partition_config_selectorILNS1_17partition_subalgoE4EjNS0_10empty_typeEbEEZZNS1_14partition_implILS8_4ELb0ES6_15HIP_vector_typeIjLj2EENS0_17counting_iteratorIjlEEPS9_SG_NS0_5tupleIJPjSI_NS0_16reverse_iteratorISI_EEEEENSH_IJSG_SG_SG_EEES9_SI_JZNS1_25segmented_radix_sort_implINS0_14default_configELb1EPKaPaPKlPlN2at6native12_GLOBAL__N_18offset_tEEE10hipError_tPvRmT1_PNSt15iterator_traitsIS12_E10value_typeET2_T3_PNS13_IS18_E10value_typeET4_jRbjT5_S1E_jjP12ihipStream_tbEUljE_ZNSN_ISO_Lb1ESQ_SR_ST_SU_SY_EESZ_S10_S11_S12_S16_S17_S18_S1B_S1C_jS1D_jS1E_S1E_jjS1G_bEUljE0_EEESZ_S10_S11_S18_S1C_S1E_T6_T7_T9_mT8_S1G_bDpT10_ENKUlT_T0_E_clISt17integral_constantIbLb0EES1U_EEDaS1P_S1Q_EUlS1P_E_NS1_11comp_targetILNS1_3genE5ELNS1_11target_archE942ELNS1_3gpuE9ELNS1_3repE0EEENS1_30default_config_static_selectorELNS0_4arch9wavefront6targetE0EEEvS12_
                                        ; -- End function
	.section	.AMDGPU.csdata,"",@progbits
; Kernel info:
; codeLenInByte = 0
; NumSgprs: 0
; NumVgprs: 0
; ScratchSize: 0
; MemoryBound: 0
; FloatMode: 240
; IeeeMode: 1
; LDSByteSize: 0 bytes/workgroup (compile time only)
; SGPRBlocks: 0
; VGPRBlocks: 0
; NumSGPRsForWavesPerEU: 1
; NumVGPRsForWavesPerEU: 1
; Occupancy: 16
; WaveLimiterHint : 0
; COMPUTE_PGM_RSRC2:SCRATCH_EN: 0
; COMPUTE_PGM_RSRC2:USER_SGPR: 15
; COMPUTE_PGM_RSRC2:TRAP_HANDLER: 0
; COMPUTE_PGM_RSRC2:TGID_X_EN: 1
; COMPUTE_PGM_RSRC2:TGID_Y_EN: 0
; COMPUTE_PGM_RSRC2:TGID_Z_EN: 0
; COMPUTE_PGM_RSRC2:TIDIG_COMP_CNT: 0
	.section	.text._ZN7rocprim17ROCPRIM_400000_NS6detail17trampoline_kernelINS0_13select_configILj256ELj13ELNS0_17block_load_methodE3ELS4_3ELS4_3ELNS0_20block_scan_algorithmE0ELj4294967295EEENS1_25partition_config_selectorILNS1_17partition_subalgoE4EjNS0_10empty_typeEbEEZZNS1_14partition_implILS8_4ELb0ES6_15HIP_vector_typeIjLj2EENS0_17counting_iteratorIjlEEPS9_SG_NS0_5tupleIJPjSI_NS0_16reverse_iteratorISI_EEEEENSH_IJSG_SG_SG_EEES9_SI_JZNS1_25segmented_radix_sort_implINS0_14default_configELb1EPKaPaPKlPlN2at6native12_GLOBAL__N_18offset_tEEE10hipError_tPvRmT1_PNSt15iterator_traitsIS12_E10value_typeET2_T3_PNS13_IS18_E10value_typeET4_jRbjT5_S1E_jjP12ihipStream_tbEUljE_ZNSN_ISO_Lb1ESQ_SR_ST_SU_SY_EESZ_S10_S11_S12_S16_S17_S18_S1B_S1C_jS1D_jS1E_S1E_jjS1G_bEUljE0_EEESZ_S10_S11_S18_S1C_S1E_T6_T7_T9_mT8_S1G_bDpT10_ENKUlT_T0_E_clISt17integral_constantIbLb0EES1U_EEDaS1P_S1Q_EUlS1P_E_NS1_11comp_targetILNS1_3genE4ELNS1_11target_archE910ELNS1_3gpuE8ELNS1_3repE0EEENS1_30default_config_static_selectorELNS0_4arch9wavefront6targetE0EEEvS12_,"axG",@progbits,_ZN7rocprim17ROCPRIM_400000_NS6detail17trampoline_kernelINS0_13select_configILj256ELj13ELNS0_17block_load_methodE3ELS4_3ELS4_3ELNS0_20block_scan_algorithmE0ELj4294967295EEENS1_25partition_config_selectorILNS1_17partition_subalgoE4EjNS0_10empty_typeEbEEZZNS1_14partition_implILS8_4ELb0ES6_15HIP_vector_typeIjLj2EENS0_17counting_iteratorIjlEEPS9_SG_NS0_5tupleIJPjSI_NS0_16reverse_iteratorISI_EEEEENSH_IJSG_SG_SG_EEES9_SI_JZNS1_25segmented_radix_sort_implINS0_14default_configELb1EPKaPaPKlPlN2at6native12_GLOBAL__N_18offset_tEEE10hipError_tPvRmT1_PNSt15iterator_traitsIS12_E10value_typeET2_T3_PNS13_IS18_E10value_typeET4_jRbjT5_S1E_jjP12ihipStream_tbEUljE_ZNSN_ISO_Lb1ESQ_SR_ST_SU_SY_EESZ_S10_S11_S12_S16_S17_S18_S1B_S1C_jS1D_jS1E_S1E_jjS1G_bEUljE0_EEESZ_S10_S11_S18_S1C_S1E_T6_T7_T9_mT8_S1G_bDpT10_ENKUlT_T0_E_clISt17integral_constantIbLb0EES1U_EEDaS1P_S1Q_EUlS1P_E_NS1_11comp_targetILNS1_3genE4ELNS1_11target_archE910ELNS1_3gpuE8ELNS1_3repE0EEENS1_30default_config_static_selectorELNS0_4arch9wavefront6targetE0EEEvS12_,comdat
	.globl	_ZN7rocprim17ROCPRIM_400000_NS6detail17trampoline_kernelINS0_13select_configILj256ELj13ELNS0_17block_load_methodE3ELS4_3ELS4_3ELNS0_20block_scan_algorithmE0ELj4294967295EEENS1_25partition_config_selectorILNS1_17partition_subalgoE4EjNS0_10empty_typeEbEEZZNS1_14partition_implILS8_4ELb0ES6_15HIP_vector_typeIjLj2EENS0_17counting_iteratorIjlEEPS9_SG_NS0_5tupleIJPjSI_NS0_16reverse_iteratorISI_EEEEENSH_IJSG_SG_SG_EEES9_SI_JZNS1_25segmented_radix_sort_implINS0_14default_configELb1EPKaPaPKlPlN2at6native12_GLOBAL__N_18offset_tEEE10hipError_tPvRmT1_PNSt15iterator_traitsIS12_E10value_typeET2_T3_PNS13_IS18_E10value_typeET4_jRbjT5_S1E_jjP12ihipStream_tbEUljE_ZNSN_ISO_Lb1ESQ_SR_ST_SU_SY_EESZ_S10_S11_S12_S16_S17_S18_S1B_S1C_jS1D_jS1E_S1E_jjS1G_bEUljE0_EEESZ_S10_S11_S18_S1C_S1E_T6_T7_T9_mT8_S1G_bDpT10_ENKUlT_T0_E_clISt17integral_constantIbLb0EES1U_EEDaS1P_S1Q_EUlS1P_E_NS1_11comp_targetILNS1_3genE4ELNS1_11target_archE910ELNS1_3gpuE8ELNS1_3repE0EEENS1_30default_config_static_selectorELNS0_4arch9wavefront6targetE0EEEvS12_ ; -- Begin function _ZN7rocprim17ROCPRIM_400000_NS6detail17trampoline_kernelINS0_13select_configILj256ELj13ELNS0_17block_load_methodE3ELS4_3ELS4_3ELNS0_20block_scan_algorithmE0ELj4294967295EEENS1_25partition_config_selectorILNS1_17partition_subalgoE4EjNS0_10empty_typeEbEEZZNS1_14partition_implILS8_4ELb0ES6_15HIP_vector_typeIjLj2EENS0_17counting_iteratorIjlEEPS9_SG_NS0_5tupleIJPjSI_NS0_16reverse_iteratorISI_EEEEENSH_IJSG_SG_SG_EEES9_SI_JZNS1_25segmented_radix_sort_implINS0_14default_configELb1EPKaPaPKlPlN2at6native12_GLOBAL__N_18offset_tEEE10hipError_tPvRmT1_PNSt15iterator_traitsIS12_E10value_typeET2_T3_PNS13_IS18_E10value_typeET4_jRbjT5_S1E_jjP12ihipStream_tbEUljE_ZNSN_ISO_Lb1ESQ_SR_ST_SU_SY_EESZ_S10_S11_S12_S16_S17_S18_S1B_S1C_jS1D_jS1E_S1E_jjS1G_bEUljE0_EEESZ_S10_S11_S18_S1C_S1E_T6_T7_T9_mT8_S1G_bDpT10_ENKUlT_T0_E_clISt17integral_constantIbLb0EES1U_EEDaS1P_S1Q_EUlS1P_E_NS1_11comp_targetILNS1_3genE4ELNS1_11target_archE910ELNS1_3gpuE8ELNS1_3repE0EEENS1_30default_config_static_selectorELNS0_4arch9wavefront6targetE0EEEvS12_
	.p2align	8
	.type	_ZN7rocprim17ROCPRIM_400000_NS6detail17trampoline_kernelINS0_13select_configILj256ELj13ELNS0_17block_load_methodE3ELS4_3ELS4_3ELNS0_20block_scan_algorithmE0ELj4294967295EEENS1_25partition_config_selectorILNS1_17partition_subalgoE4EjNS0_10empty_typeEbEEZZNS1_14partition_implILS8_4ELb0ES6_15HIP_vector_typeIjLj2EENS0_17counting_iteratorIjlEEPS9_SG_NS0_5tupleIJPjSI_NS0_16reverse_iteratorISI_EEEEENSH_IJSG_SG_SG_EEES9_SI_JZNS1_25segmented_radix_sort_implINS0_14default_configELb1EPKaPaPKlPlN2at6native12_GLOBAL__N_18offset_tEEE10hipError_tPvRmT1_PNSt15iterator_traitsIS12_E10value_typeET2_T3_PNS13_IS18_E10value_typeET4_jRbjT5_S1E_jjP12ihipStream_tbEUljE_ZNSN_ISO_Lb1ESQ_SR_ST_SU_SY_EESZ_S10_S11_S12_S16_S17_S18_S1B_S1C_jS1D_jS1E_S1E_jjS1G_bEUljE0_EEESZ_S10_S11_S18_S1C_S1E_T6_T7_T9_mT8_S1G_bDpT10_ENKUlT_T0_E_clISt17integral_constantIbLb0EES1U_EEDaS1P_S1Q_EUlS1P_E_NS1_11comp_targetILNS1_3genE4ELNS1_11target_archE910ELNS1_3gpuE8ELNS1_3repE0EEENS1_30default_config_static_selectorELNS0_4arch9wavefront6targetE0EEEvS12_,@function
_ZN7rocprim17ROCPRIM_400000_NS6detail17trampoline_kernelINS0_13select_configILj256ELj13ELNS0_17block_load_methodE3ELS4_3ELS4_3ELNS0_20block_scan_algorithmE0ELj4294967295EEENS1_25partition_config_selectorILNS1_17partition_subalgoE4EjNS0_10empty_typeEbEEZZNS1_14partition_implILS8_4ELb0ES6_15HIP_vector_typeIjLj2EENS0_17counting_iteratorIjlEEPS9_SG_NS0_5tupleIJPjSI_NS0_16reverse_iteratorISI_EEEEENSH_IJSG_SG_SG_EEES9_SI_JZNS1_25segmented_radix_sort_implINS0_14default_configELb1EPKaPaPKlPlN2at6native12_GLOBAL__N_18offset_tEEE10hipError_tPvRmT1_PNSt15iterator_traitsIS12_E10value_typeET2_T3_PNS13_IS18_E10value_typeET4_jRbjT5_S1E_jjP12ihipStream_tbEUljE_ZNSN_ISO_Lb1ESQ_SR_ST_SU_SY_EESZ_S10_S11_S12_S16_S17_S18_S1B_S1C_jS1D_jS1E_S1E_jjS1G_bEUljE0_EEESZ_S10_S11_S18_S1C_S1E_T6_T7_T9_mT8_S1G_bDpT10_ENKUlT_T0_E_clISt17integral_constantIbLb0EES1U_EEDaS1P_S1Q_EUlS1P_E_NS1_11comp_targetILNS1_3genE4ELNS1_11target_archE910ELNS1_3gpuE8ELNS1_3repE0EEENS1_30default_config_static_selectorELNS0_4arch9wavefront6targetE0EEEvS12_: ; @_ZN7rocprim17ROCPRIM_400000_NS6detail17trampoline_kernelINS0_13select_configILj256ELj13ELNS0_17block_load_methodE3ELS4_3ELS4_3ELNS0_20block_scan_algorithmE0ELj4294967295EEENS1_25partition_config_selectorILNS1_17partition_subalgoE4EjNS0_10empty_typeEbEEZZNS1_14partition_implILS8_4ELb0ES6_15HIP_vector_typeIjLj2EENS0_17counting_iteratorIjlEEPS9_SG_NS0_5tupleIJPjSI_NS0_16reverse_iteratorISI_EEEEENSH_IJSG_SG_SG_EEES9_SI_JZNS1_25segmented_radix_sort_implINS0_14default_configELb1EPKaPaPKlPlN2at6native12_GLOBAL__N_18offset_tEEE10hipError_tPvRmT1_PNSt15iterator_traitsIS12_E10value_typeET2_T3_PNS13_IS18_E10value_typeET4_jRbjT5_S1E_jjP12ihipStream_tbEUljE_ZNSN_ISO_Lb1ESQ_SR_ST_SU_SY_EESZ_S10_S11_S12_S16_S17_S18_S1B_S1C_jS1D_jS1E_S1E_jjS1G_bEUljE0_EEESZ_S10_S11_S18_S1C_S1E_T6_T7_T9_mT8_S1G_bDpT10_ENKUlT_T0_E_clISt17integral_constantIbLb0EES1U_EEDaS1P_S1Q_EUlS1P_E_NS1_11comp_targetILNS1_3genE4ELNS1_11target_archE910ELNS1_3gpuE8ELNS1_3repE0EEENS1_30default_config_static_selectorELNS0_4arch9wavefront6targetE0EEEvS12_
; %bb.0:
	.section	.rodata,"a",@progbits
	.p2align	6, 0x0
	.amdhsa_kernel _ZN7rocprim17ROCPRIM_400000_NS6detail17trampoline_kernelINS0_13select_configILj256ELj13ELNS0_17block_load_methodE3ELS4_3ELS4_3ELNS0_20block_scan_algorithmE0ELj4294967295EEENS1_25partition_config_selectorILNS1_17partition_subalgoE4EjNS0_10empty_typeEbEEZZNS1_14partition_implILS8_4ELb0ES6_15HIP_vector_typeIjLj2EENS0_17counting_iteratorIjlEEPS9_SG_NS0_5tupleIJPjSI_NS0_16reverse_iteratorISI_EEEEENSH_IJSG_SG_SG_EEES9_SI_JZNS1_25segmented_radix_sort_implINS0_14default_configELb1EPKaPaPKlPlN2at6native12_GLOBAL__N_18offset_tEEE10hipError_tPvRmT1_PNSt15iterator_traitsIS12_E10value_typeET2_T3_PNS13_IS18_E10value_typeET4_jRbjT5_S1E_jjP12ihipStream_tbEUljE_ZNSN_ISO_Lb1ESQ_SR_ST_SU_SY_EESZ_S10_S11_S12_S16_S17_S18_S1B_S1C_jS1D_jS1E_S1E_jjS1G_bEUljE0_EEESZ_S10_S11_S18_S1C_S1E_T6_T7_T9_mT8_S1G_bDpT10_ENKUlT_T0_E_clISt17integral_constantIbLb0EES1U_EEDaS1P_S1Q_EUlS1P_E_NS1_11comp_targetILNS1_3genE4ELNS1_11target_archE910ELNS1_3gpuE8ELNS1_3repE0EEENS1_30default_config_static_selectorELNS0_4arch9wavefront6targetE0EEEvS12_
		.amdhsa_group_segment_fixed_size 0
		.amdhsa_private_segment_fixed_size 0
		.amdhsa_kernarg_size 176
		.amdhsa_user_sgpr_count 15
		.amdhsa_user_sgpr_dispatch_ptr 0
		.amdhsa_user_sgpr_queue_ptr 0
		.amdhsa_user_sgpr_kernarg_segment_ptr 1
		.amdhsa_user_sgpr_dispatch_id 0
		.amdhsa_user_sgpr_private_segment_size 0
		.amdhsa_wavefront_size32 1
		.amdhsa_uses_dynamic_stack 0
		.amdhsa_enable_private_segment 0
		.amdhsa_system_sgpr_workgroup_id_x 1
		.amdhsa_system_sgpr_workgroup_id_y 0
		.amdhsa_system_sgpr_workgroup_id_z 0
		.amdhsa_system_sgpr_workgroup_info 0
		.amdhsa_system_vgpr_workitem_id 0
		.amdhsa_next_free_vgpr 1
		.amdhsa_next_free_sgpr 1
		.amdhsa_reserve_vcc 0
		.amdhsa_float_round_mode_32 0
		.amdhsa_float_round_mode_16_64 0
		.amdhsa_float_denorm_mode_32 3
		.amdhsa_float_denorm_mode_16_64 3
		.amdhsa_dx10_clamp 1
		.amdhsa_ieee_mode 1
		.amdhsa_fp16_overflow 0
		.amdhsa_workgroup_processor_mode 1
		.amdhsa_memory_ordered 1
		.amdhsa_forward_progress 0
		.amdhsa_shared_vgpr_count 0
		.amdhsa_exception_fp_ieee_invalid_op 0
		.amdhsa_exception_fp_denorm_src 0
		.amdhsa_exception_fp_ieee_div_zero 0
		.amdhsa_exception_fp_ieee_overflow 0
		.amdhsa_exception_fp_ieee_underflow 0
		.amdhsa_exception_fp_ieee_inexact 0
		.amdhsa_exception_int_div_zero 0
	.end_amdhsa_kernel
	.section	.text._ZN7rocprim17ROCPRIM_400000_NS6detail17trampoline_kernelINS0_13select_configILj256ELj13ELNS0_17block_load_methodE3ELS4_3ELS4_3ELNS0_20block_scan_algorithmE0ELj4294967295EEENS1_25partition_config_selectorILNS1_17partition_subalgoE4EjNS0_10empty_typeEbEEZZNS1_14partition_implILS8_4ELb0ES6_15HIP_vector_typeIjLj2EENS0_17counting_iteratorIjlEEPS9_SG_NS0_5tupleIJPjSI_NS0_16reverse_iteratorISI_EEEEENSH_IJSG_SG_SG_EEES9_SI_JZNS1_25segmented_radix_sort_implINS0_14default_configELb1EPKaPaPKlPlN2at6native12_GLOBAL__N_18offset_tEEE10hipError_tPvRmT1_PNSt15iterator_traitsIS12_E10value_typeET2_T3_PNS13_IS18_E10value_typeET4_jRbjT5_S1E_jjP12ihipStream_tbEUljE_ZNSN_ISO_Lb1ESQ_SR_ST_SU_SY_EESZ_S10_S11_S12_S16_S17_S18_S1B_S1C_jS1D_jS1E_S1E_jjS1G_bEUljE0_EEESZ_S10_S11_S18_S1C_S1E_T6_T7_T9_mT8_S1G_bDpT10_ENKUlT_T0_E_clISt17integral_constantIbLb0EES1U_EEDaS1P_S1Q_EUlS1P_E_NS1_11comp_targetILNS1_3genE4ELNS1_11target_archE910ELNS1_3gpuE8ELNS1_3repE0EEENS1_30default_config_static_selectorELNS0_4arch9wavefront6targetE0EEEvS12_,"axG",@progbits,_ZN7rocprim17ROCPRIM_400000_NS6detail17trampoline_kernelINS0_13select_configILj256ELj13ELNS0_17block_load_methodE3ELS4_3ELS4_3ELNS0_20block_scan_algorithmE0ELj4294967295EEENS1_25partition_config_selectorILNS1_17partition_subalgoE4EjNS0_10empty_typeEbEEZZNS1_14partition_implILS8_4ELb0ES6_15HIP_vector_typeIjLj2EENS0_17counting_iteratorIjlEEPS9_SG_NS0_5tupleIJPjSI_NS0_16reverse_iteratorISI_EEEEENSH_IJSG_SG_SG_EEES9_SI_JZNS1_25segmented_radix_sort_implINS0_14default_configELb1EPKaPaPKlPlN2at6native12_GLOBAL__N_18offset_tEEE10hipError_tPvRmT1_PNSt15iterator_traitsIS12_E10value_typeET2_T3_PNS13_IS18_E10value_typeET4_jRbjT5_S1E_jjP12ihipStream_tbEUljE_ZNSN_ISO_Lb1ESQ_SR_ST_SU_SY_EESZ_S10_S11_S12_S16_S17_S18_S1B_S1C_jS1D_jS1E_S1E_jjS1G_bEUljE0_EEESZ_S10_S11_S18_S1C_S1E_T6_T7_T9_mT8_S1G_bDpT10_ENKUlT_T0_E_clISt17integral_constantIbLb0EES1U_EEDaS1P_S1Q_EUlS1P_E_NS1_11comp_targetILNS1_3genE4ELNS1_11target_archE910ELNS1_3gpuE8ELNS1_3repE0EEENS1_30default_config_static_selectorELNS0_4arch9wavefront6targetE0EEEvS12_,comdat
.Lfunc_end228:
	.size	_ZN7rocprim17ROCPRIM_400000_NS6detail17trampoline_kernelINS0_13select_configILj256ELj13ELNS0_17block_load_methodE3ELS4_3ELS4_3ELNS0_20block_scan_algorithmE0ELj4294967295EEENS1_25partition_config_selectorILNS1_17partition_subalgoE4EjNS0_10empty_typeEbEEZZNS1_14partition_implILS8_4ELb0ES6_15HIP_vector_typeIjLj2EENS0_17counting_iteratorIjlEEPS9_SG_NS0_5tupleIJPjSI_NS0_16reverse_iteratorISI_EEEEENSH_IJSG_SG_SG_EEES9_SI_JZNS1_25segmented_radix_sort_implINS0_14default_configELb1EPKaPaPKlPlN2at6native12_GLOBAL__N_18offset_tEEE10hipError_tPvRmT1_PNSt15iterator_traitsIS12_E10value_typeET2_T3_PNS13_IS18_E10value_typeET4_jRbjT5_S1E_jjP12ihipStream_tbEUljE_ZNSN_ISO_Lb1ESQ_SR_ST_SU_SY_EESZ_S10_S11_S12_S16_S17_S18_S1B_S1C_jS1D_jS1E_S1E_jjS1G_bEUljE0_EEESZ_S10_S11_S18_S1C_S1E_T6_T7_T9_mT8_S1G_bDpT10_ENKUlT_T0_E_clISt17integral_constantIbLb0EES1U_EEDaS1P_S1Q_EUlS1P_E_NS1_11comp_targetILNS1_3genE4ELNS1_11target_archE910ELNS1_3gpuE8ELNS1_3repE0EEENS1_30default_config_static_selectorELNS0_4arch9wavefront6targetE0EEEvS12_, .Lfunc_end228-_ZN7rocprim17ROCPRIM_400000_NS6detail17trampoline_kernelINS0_13select_configILj256ELj13ELNS0_17block_load_methodE3ELS4_3ELS4_3ELNS0_20block_scan_algorithmE0ELj4294967295EEENS1_25partition_config_selectorILNS1_17partition_subalgoE4EjNS0_10empty_typeEbEEZZNS1_14partition_implILS8_4ELb0ES6_15HIP_vector_typeIjLj2EENS0_17counting_iteratorIjlEEPS9_SG_NS0_5tupleIJPjSI_NS0_16reverse_iteratorISI_EEEEENSH_IJSG_SG_SG_EEES9_SI_JZNS1_25segmented_radix_sort_implINS0_14default_configELb1EPKaPaPKlPlN2at6native12_GLOBAL__N_18offset_tEEE10hipError_tPvRmT1_PNSt15iterator_traitsIS12_E10value_typeET2_T3_PNS13_IS18_E10value_typeET4_jRbjT5_S1E_jjP12ihipStream_tbEUljE_ZNSN_ISO_Lb1ESQ_SR_ST_SU_SY_EESZ_S10_S11_S12_S16_S17_S18_S1B_S1C_jS1D_jS1E_S1E_jjS1G_bEUljE0_EEESZ_S10_S11_S18_S1C_S1E_T6_T7_T9_mT8_S1G_bDpT10_ENKUlT_T0_E_clISt17integral_constantIbLb0EES1U_EEDaS1P_S1Q_EUlS1P_E_NS1_11comp_targetILNS1_3genE4ELNS1_11target_archE910ELNS1_3gpuE8ELNS1_3repE0EEENS1_30default_config_static_selectorELNS0_4arch9wavefront6targetE0EEEvS12_
                                        ; -- End function
	.section	.AMDGPU.csdata,"",@progbits
; Kernel info:
; codeLenInByte = 0
; NumSgprs: 0
; NumVgprs: 0
; ScratchSize: 0
; MemoryBound: 0
; FloatMode: 240
; IeeeMode: 1
; LDSByteSize: 0 bytes/workgroup (compile time only)
; SGPRBlocks: 0
; VGPRBlocks: 0
; NumSGPRsForWavesPerEU: 1
; NumVGPRsForWavesPerEU: 1
; Occupancy: 16
; WaveLimiterHint : 0
; COMPUTE_PGM_RSRC2:SCRATCH_EN: 0
; COMPUTE_PGM_RSRC2:USER_SGPR: 15
; COMPUTE_PGM_RSRC2:TRAP_HANDLER: 0
; COMPUTE_PGM_RSRC2:TGID_X_EN: 1
; COMPUTE_PGM_RSRC2:TGID_Y_EN: 0
; COMPUTE_PGM_RSRC2:TGID_Z_EN: 0
; COMPUTE_PGM_RSRC2:TIDIG_COMP_CNT: 0
	.section	.text._ZN7rocprim17ROCPRIM_400000_NS6detail17trampoline_kernelINS0_13select_configILj256ELj13ELNS0_17block_load_methodE3ELS4_3ELS4_3ELNS0_20block_scan_algorithmE0ELj4294967295EEENS1_25partition_config_selectorILNS1_17partition_subalgoE4EjNS0_10empty_typeEbEEZZNS1_14partition_implILS8_4ELb0ES6_15HIP_vector_typeIjLj2EENS0_17counting_iteratorIjlEEPS9_SG_NS0_5tupleIJPjSI_NS0_16reverse_iteratorISI_EEEEENSH_IJSG_SG_SG_EEES9_SI_JZNS1_25segmented_radix_sort_implINS0_14default_configELb1EPKaPaPKlPlN2at6native12_GLOBAL__N_18offset_tEEE10hipError_tPvRmT1_PNSt15iterator_traitsIS12_E10value_typeET2_T3_PNS13_IS18_E10value_typeET4_jRbjT5_S1E_jjP12ihipStream_tbEUljE_ZNSN_ISO_Lb1ESQ_SR_ST_SU_SY_EESZ_S10_S11_S12_S16_S17_S18_S1B_S1C_jS1D_jS1E_S1E_jjS1G_bEUljE0_EEESZ_S10_S11_S18_S1C_S1E_T6_T7_T9_mT8_S1G_bDpT10_ENKUlT_T0_E_clISt17integral_constantIbLb0EES1U_EEDaS1P_S1Q_EUlS1P_E_NS1_11comp_targetILNS1_3genE3ELNS1_11target_archE908ELNS1_3gpuE7ELNS1_3repE0EEENS1_30default_config_static_selectorELNS0_4arch9wavefront6targetE0EEEvS12_,"axG",@progbits,_ZN7rocprim17ROCPRIM_400000_NS6detail17trampoline_kernelINS0_13select_configILj256ELj13ELNS0_17block_load_methodE3ELS4_3ELS4_3ELNS0_20block_scan_algorithmE0ELj4294967295EEENS1_25partition_config_selectorILNS1_17partition_subalgoE4EjNS0_10empty_typeEbEEZZNS1_14partition_implILS8_4ELb0ES6_15HIP_vector_typeIjLj2EENS0_17counting_iteratorIjlEEPS9_SG_NS0_5tupleIJPjSI_NS0_16reverse_iteratorISI_EEEEENSH_IJSG_SG_SG_EEES9_SI_JZNS1_25segmented_radix_sort_implINS0_14default_configELb1EPKaPaPKlPlN2at6native12_GLOBAL__N_18offset_tEEE10hipError_tPvRmT1_PNSt15iterator_traitsIS12_E10value_typeET2_T3_PNS13_IS18_E10value_typeET4_jRbjT5_S1E_jjP12ihipStream_tbEUljE_ZNSN_ISO_Lb1ESQ_SR_ST_SU_SY_EESZ_S10_S11_S12_S16_S17_S18_S1B_S1C_jS1D_jS1E_S1E_jjS1G_bEUljE0_EEESZ_S10_S11_S18_S1C_S1E_T6_T7_T9_mT8_S1G_bDpT10_ENKUlT_T0_E_clISt17integral_constantIbLb0EES1U_EEDaS1P_S1Q_EUlS1P_E_NS1_11comp_targetILNS1_3genE3ELNS1_11target_archE908ELNS1_3gpuE7ELNS1_3repE0EEENS1_30default_config_static_selectorELNS0_4arch9wavefront6targetE0EEEvS12_,comdat
	.globl	_ZN7rocprim17ROCPRIM_400000_NS6detail17trampoline_kernelINS0_13select_configILj256ELj13ELNS0_17block_load_methodE3ELS4_3ELS4_3ELNS0_20block_scan_algorithmE0ELj4294967295EEENS1_25partition_config_selectorILNS1_17partition_subalgoE4EjNS0_10empty_typeEbEEZZNS1_14partition_implILS8_4ELb0ES6_15HIP_vector_typeIjLj2EENS0_17counting_iteratorIjlEEPS9_SG_NS0_5tupleIJPjSI_NS0_16reverse_iteratorISI_EEEEENSH_IJSG_SG_SG_EEES9_SI_JZNS1_25segmented_radix_sort_implINS0_14default_configELb1EPKaPaPKlPlN2at6native12_GLOBAL__N_18offset_tEEE10hipError_tPvRmT1_PNSt15iterator_traitsIS12_E10value_typeET2_T3_PNS13_IS18_E10value_typeET4_jRbjT5_S1E_jjP12ihipStream_tbEUljE_ZNSN_ISO_Lb1ESQ_SR_ST_SU_SY_EESZ_S10_S11_S12_S16_S17_S18_S1B_S1C_jS1D_jS1E_S1E_jjS1G_bEUljE0_EEESZ_S10_S11_S18_S1C_S1E_T6_T7_T9_mT8_S1G_bDpT10_ENKUlT_T0_E_clISt17integral_constantIbLb0EES1U_EEDaS1P_S1Q_EUlS1P_E_NS1_11comp_targetILNS1_3genE3ELNS1_11target_archE908ELNS1_3gpuE7ELNS1_3repE0EEENS1_30default_config_static_selectorELNS0_4arch9wavefront6targetE0EEEvS12_ ; -- Begin function _ZN7rocprim17ROCPRIM_400000_NS6detail17trampoline_kernelINS0_13select_configILj256ELj13ELNS0_17block_load_methodE3ELS4_3ELS4_3ELNS0_20block_scan_algorithmE0ELj4294967295EEENS1_25partition_config_selectorILNS1_17partition_subalgoE4EjNS0_10empty_typeEbEEZZNS1_14partition_implILS8_4ELb0ES6_15HIP_vector_typeIjLj2EENS0_17counting_iteratorIjlEEPS9_SG_NS0_5tupleIJPjSI_NS0_16reverse_iteratorISI_EEEEENSH_IJSG_SG_SG_EEES9_SI_JZNS1_25segmented_radix_sort_implINS0_14default_configELb1EPKaPaPKlPlN2at6native12_GLOBAL__N_18offset_tEEE10hipError_tPvRmT1_PNSt15iterator_traitsIS12_E10value_typeET2_T3_PNS13_IS18_E10value_typeET4_jRbjT5_S1E_jjP12ihipStream_tbEUljE_ZNSN_ISO_Lb1ESQ_SR_ST_SU_SY_EESZ_S10_S11_S12_S16_S17_S18_S1B_S1C_jS1D_jS1E_S1E_jjS1G_bEUljE0_EEESZ_S10_S11_S18_S1C_S1E_T6_T7_T9_mT8_S1G_bDpT10_ENKUlT_T0_E_clISt17integral_constantIbLb0EES1U_EEDaS1P_S1Q_EUlS1P_E_NS1_11comp_targetILNS1_3genE3ELNS1_11target_archE908ELNS1_3gpuE7ELNS1_3repE0EEENS1_30default_config_static_selectorELNS0_4arch9wavefront6targetE0EEEvS12_
	.p2align	8
	.type	_ZN7rocprim17ROCPRIM_400000_NS6detail17trampoline_kernelINS0_13select_configILj256ELj13ELNS0_17block_load_methodE3ELS4_3ELS4_3ELNS0_20block_scan_algorithmE0ELj4294967295EEENS1_25partition_config_selectorILNS1_17partition_subalgoE4EjNS0_10empty_typeEbEEZZNS1_14partition_implILS8_4ELb0ES6_15HIP_vector_typeIjLj2EENS0_17counting_iteratorIjlEEPS9_SG_NS0_5tupleIJPjSI_NS0_16reverse_iteratorISI_EEEEENSH_IJSG_SG_SG_EEES9_SI_JZNS1_25segmented_radix_sort_implINS0_14default_configELb1EPKaPaPKlPlN2at6native12_GLOBAL__N_18offset_tEEE10hipError_tPvRmT1_PNSt15iterator_traitsIS12_E10value_typeET2_T3_PNS13_IS18_E10value_typeET4_jRbjT5_S1E_jjP12ihipStream_tbEUljE_ZNSN_ISO_Lb1ESQ_SR_ST_SU_SY_EESZ_S10_S11_S12_S16_S17_S18_S1B_S1C_jS1D_jS1E_S1E_jjS1G_bEUljE0_EEESZ_S10_S11_S18_S1C_S1E_T6_T7_T9_mT8_S1G_bDpT10_ENKUlT_T0_E_clISt17integral_constantIbLb0EES1U_EEDaS1P_S1Q_EUlS1P_E_NS1_11comp_targetILNS1_3genE3ELNS1_11target_archE908ELNS1_3gpuE7ELNS1_3repE0EEENS1_30default_config_static_selectorELNS0_4arch9wavefront6targetE0EEEvS12_,@function
_ZN7rocprim17ROCPRIM_400000_NS6detail17trampoline_kernelINS0_13select_configILj256ELj13ELNS0_17block_load_methodE3ELS4_3ELS4_3ELNS0_20block_scan_algorithmE0ELj4294967295EEENS1_25partition_config_selectorILNS1_17partition_subalgoE4EjNS0_10empty_typeEbEEZZNS1_14partition_implILS8_4ELb0ES6_15HIP_vector_typeIjLj2EENS0_17counting_iteratorIjlEEPS9_SG_NS0_5tupleIJPjSI_NS0_16reverse_iteratorISI_EEEEENSH_IJSG_SG_SG_EEES9_SI_JZNS1_25segmented_radix_sort_implINS0_14default_configELb1EPKaPaPKlPlN2at6native12_GLOBAL__N_18offset_tEEE10hipError_tPvRmT1_PNSt15iterator_traitsIS12_E10value_typeET2_T3_PNS13_IS18_E10value_typeET4_jRbjT5_S1E_jjP12ihipStream_tbEUljE_ZNSN_ISO_Lb1ESQ_SR_ST_SU_SY_EESZ_S10_S11_S12_S16_S17_S18_S1B_S1C_jS1D_jS1E_S1E_jjS1G_bEUljE0_EEESZ_S10_S11_S18_S1C_S1E_T6_T7_T9_mT8_S1G_bDpT10_ENKUlT_T0_E_clISt17integral_constantIbLb0EES1U_EEDaS1P_S1Q_EUlS1P_E_NS1_11comp_targetILNS1_3genE3ELNS1_11target_archE908ELNS1_3gpuE7ELNS1_3repE0EEENS1_30default_config_static_selectorELNS0_4arch9wavefront6targetE0EEEvS12_: ; @_ZN7rocprim17ROCPRIM_400000_NS6detail17trampoline_kernelINS0_13select_configILj256ELj13ELNS0_17block_load_methodE3ELS4_3ELS4_3ELNS0_20block_scan_algorithmE0ELj4294967295EEENS1_25partition_config_selectorILNS1_17partition_subalgoE4EjNS0_10empty_typeEbEEZZNS1_14partition_implILS8_4ELb0ES6_15HIP_vector_typeIjLj2EENS0_17counting_iteratorIjlEEPS9_SG_NS0_5tupleIJPjSI_NS0_16reverse_iteratorISI_EEEEENSH_IJSG_SG_SG_EEES9_SI_JZNS1_25segmented_radix_sort_implINS0_14default_configELb1EPKaPaPKlPlN2at6native12_GLOBAL__N_18offset_tEEE10hipError_tPvRmT1_PNSt15iterator_traitsIS12_E10value_typeET2_T3_PNS13_IS18_E10value_typeET4_jRbjT5_S1E_jjP12ihipStream_tbEUljE_ZNSN_ISO_Lb1ESQ_SR_ST_SU_SY_EESZ_S10_S11_S12_S16_S17_S18_S1B_S1C_jS1D_jS1E_S1E_jjS1G_bEUljE0_EEESZ_S10_S11_S18_S1C_S1E_T6_T7_T9_mT8_S1G_bDpT10_ENKUlT_T0_E_clISt17integral_constantIbLb0EES1U_EEDaS1P_S1Q_EUlS1P_E_NS1_11comp_targetILNS1_3genE3ELNS1_11target_archE908ELNS1_3gpuE7ELNS1_3repE0EEENS1_30default_config_static_selectorELNS0_4arch9wavefront6targetE0EEEvS12_
; %bb.0:
	.section	.rodata,"a",@progbits
	.p2align	6, 0x0
	.amdhsa_kernel _ZN7rocprim17ROCPRIM_400000_NS6detail17trampoline_kernelINS0_13select_configILj256ELj13ELNS0_17block_load_methodE3ELS4_3ELS4_3ELNS0_20block_scan_algorithmE0ELj4294967295EEENS1_25partition_config_selectorILNS1_17partition_subalgoE4EjNS0_10empty_typeEbEEZZNS1_14partition_implILS8_4ELb0ES6_15HIP_vector_typeIjLj2EENS0_17counting_iteratorIjlEEPS9_SG_NS0_5tupleIJPjSI_NS0_16reverse_iteratorISI_EEEEENSH_IJSG_SG_SG_EEES9_SI_JZNS1_25segmented_radix_sort_implINS0_14default_configELb1EPKaPaPKlPlN2at6native12_GLOBAL__N_18offset_tEEE10hipError_tPvRmT1_PNSt15iterator_traitsIS12_E10value_typeET2_T3_PNS13_IS18_E10value_typeET4_jRbjT5_S1E_jjP12ihipStream_tbEUljE_ZNSN_ISO_Lb1ESQ_SR_ST_SU_SY_EESZ_S10_S11_S12_S16_S17_S18_S1B_S1C_jS1D_jS1E_S1E_jjS1G_bEUljE0_EEESZ_S10_S11_S18_S1C_S1E_T6_T7_T9_mT8_S1G_bDpT10_ENKUlT_T0_E_clISt17integral_constantIbLb0EES1U_EEDaS1P_S1Q_EUlS1P_E_NS1_11comp_targetILNS1_3genE3ELNS1_11target_archE908ELNS1_3gpuE7ELNS1_3repE0EEENS1_30default_config_static_selectorELNS0_4arch9wavefront6targetE0EEEvS12_
		.amdhsa_group_segment_fixed_size 0
		.amdhsa_private_segment_fixed_size 0
		.amdhsa_kernarg_size 176
		.amdhsa_user_sgpr_count 15
		.amdhsa_user_sgpr_dispatch_ptr 0
		.amdhsa_user_sgpr_queue_ptr 0
		.amdhsa_user_sgpr_kernarg_segment_ptr 1
		.amdhsa_user_sgpr_dispatch_id 0
		.amdhsa_user_sgpr_private_segment_size 0
		.amdhsa_wavefront_size32 1
		.amdhsa_uses_dynamic_stack 0
		.amdhsa_enable_private_segment 0
		.amdhsa_system_sgpr_workgroup_id_x 1
		.amdhsa_system_sgpr_workgroup_id_y 0
		.amdhsa_system_sgpr_workgroup_id_z 0
		.amdhsa_system_sgpr_workgroup_info 0
		.amdhsa_system_vgpr_workitem_id 0
		.amdhsa_next_free_vgpr 1
		.amdhsa_next_free_sgpr 1
		.amdhsa_reserve_vcc 0
		.amdhsa_float_round_mode_32 0
		.amdhsa_float_round_mode_16_64 0
		.amdhsa_float_denorm_mode_32 3
		.amdhsa_float_denorm_mode_16_64 3
		.amdhsa_dx10_clamp 1
		.amdhsa_ieee_mode 1
		.amdhsa_fp16_overflow 0
		.amdhsa_workgroup_processor_mode 1
		.amdhsa_memory_ordered 1
		.amdhsa_forward_progress 0
		.amdhsa_shared_vgpr_count 0
		.amdhsa_exception_fp_ieee_invalid_op 0
		.amdhsa_exception_fp_denorm_src 0
		.amdhsa_exception_fp_ieee_div_zero 0
		.amdhsa_exception_fp_ieee_overflow 0
		.amdhsa_exception_fp_ieee_underflow 0
		.amdhsa_exception_fp_ieee_inexact 0
		.amdhsa_exception_int_div_zero 0
	.end_amdhsa_kernel
	.section	.text._ZN7rocprim17ROCPRIM_400000_NS6detail17trampoline_kernelINS0_13select_configILj256ELj13ELNS0_17block_load_methodE3ELS4_3ELS4_3ELNS0_20block_scan_algorithmE0ELj4294967295EEENS1_25partition_config_selectorILNS1_17partition_subalgoE4EjNS0_10empty_typeEbEEZZNS1_14partition_implILS8_4ELb0ES6_15HIP_vector_typeIjLj2EENS0_17counting_iteratorIjlEEPS9_SG_NS0_5tupleIJPjSI_NS0_16reverse_iteratorISI_EEEEENSH_IJSG_SG_SG_EEES9_SI_JZNS1_25segmented_radix_sort_implINS0_14default_configELb1EPKaPaPKlPlN2at6native12_GLOBAL__N_18offset_tEEE10hipError_tPvRmT1_PNSt15iterator_traitsIS12_E10value_typeET2_T3_PNS13_IS18_E10value_typeET4_jRbjT5_S1E_jjP12ihipStream_tbEUljE_ZNSN_ISO_Lb1ESQ_SR_ST_SU_SY_EESZ_S10_S11_S12_S16_S17_S18_S1B_S1C_jS1D_jS1E_S1E_jjS1G_bEUljE0_EEESZ_S10_S11_S18_S1C_S1E_T6_T7_T9_mT8_S1G_bDpT10_ENKUlT_T0_E_clISt17integral_constantIbLb0EES1U_EEDaS1P_S1Q_EUlS1P_E_NS1_11comp_targetILNS1_3genE3ELNS1_11target_archE908ELNS1_3gpuE7ELNS1_3repE0EEENS1_30default_config_static_selectorELNS0_4arch9wavefront6targetE0EEEvS12_,"axG",@progbits,_ZN7rocprim17ROCPRIM_400000_NS6detail17trampoline_kernelINS0_13select_configILj256ELj13ELNS0_17block_load_methodE3ELS4_3ELS4_3ELNS0_20block_scan_algorithmE0ELj4294967295EEENS1_25partition_config_selectorILNS1_17partition_subalgoE4EjNS0_10empty_typeEbEEZZNS1_14partition_implILS8_4ELb0ES6_15HIP_vector_typeIjLj2EENS0_17counting_iteratorIjlEEPS9_SG_NS0_5tupleIJPjSI_NS0_16reverse_iteratorISI_EEEEENSH_IJSG_SG_SG_EEES9_SI_JZNS1_25segmented_radix_sort_implINS0_14default_configELb1EPKaPaPKlPlN2at6native12_GLOBAL__N_18offset_tEEE10hipError_tPvRmT1_PNSt15iterator_traitsIS12_E10value_typeET2_T3_PNS13_IS18_E10value_typeET4_jRbjT5_S1E_jjP12ihipStream_tbEUljE_ZNSN_ISO_Lb1ESQ_SR_ST_SU_SY_EESZ_S10_S11_S12_S16_S17_S18_S1B_S1C_jS1D_jS1E_S1E_jjS1G_bEUljE0_EEESZ_S10_S11_S18_S1C_S1E_T6_T7_T9_mT8_S1G_bDpT10_ENKUlT_T0_E_clISt17integral_constantIbLb0EES1U_EEDaS1P_S1Q_EUlS1P_E_NS1_11comp_targetILNS1_3genE3ELNS1_11target_archE908ELNS1_3gpuE7ELNS1_3repE0EEENS1_30default_config_static_selectorELNS0_4arch9wavefront6targetE0EEEvS12_,comdat
.Lfunc_end229:
	.size	_ZN7rocprim17ROCPRIM_400000_NS6detail17trampoline_kernelINS0_13select_configILj256ELj13ELNS0_17block_load_methodE3ELS4_3ELS4_3ELNS0_20block_scan_algorithmE0ELj4294967295EEENS1_25partition_config_selectorILNS1_17partition_subalgoE4EjNS0_10empty_typeEbEEZZNS1_14partition_implILS8_4ELb0ES6_15HIP_vector_typeIjLj2EENS0_17counting_iteratorIjlEEPS9_SG_NS0_5tupleIJPjSI_NS0_16reverse_iteratorISI_EEEEENSH_IJSG_SG_SG_EEES9_SI_JZNS1_25segmented_radix_sort_implINS0_14default_configELb1EPKaPaPKlPlN2at6native12_GLOBAL__N_18offset_tEEE10hipError_tPvRmT1_PNSt15iterator_traitsIS12_E10value_typeET2_T3_PNS13_IS18_E10value_typeET4_jRbjT5_S1E_jjP12ihipStream_tbEUljE_ZNSN_ISO_Lb1ESQ_SR_ST_SU_SY_EESZ_S10_S11_S12_S16_S17_S18_S1B_S1C_jS1D_jS1E_S1E_jjS1G_bEUljE0_EEESZ_S10_S11_S18_S1C_S1E_T6_T7_T9_mT8_S1G_bDpT10_ENKUlT_T0_E_clISt17integral_constantIbLb0EES1U_EEDaS1P_S1Q_EUlS1P_E_NS1_11comp_targetILNS1_3genE3ELNS1_11target_archE908ELNS1_3gpuE7ELNS1_3repE0EEENS1_30default_config_static_selectorELNS0_4arch9wavefront6targetE0EEEvS12_, .Lfunc_end229-_ZN7rocprim17ROCPRIM_400000_NS6detail17trampoline_kernelINS0_13select_configILj256ELj13ELNS0_17block_load_methodE3ELS4_3ELS4_3ELNS0_20block_scan_algorithmE0ELj4294967295EEENS1_25partition_config_selectorILNS1_17partition_subalgoE4EjNS0_10empty_typeEbEEZZNS1_14partition_implILS8_4ELb0ES6_15HIP_vector_typeIjLj2EENS0_17counting_iteratorIjlEEPS9_SG_NS0_5tupleIJPjSI_NS0_16reverse_iteratorISI_EEEEENSH_IJSG_SG_SG_EEES9_SI_JZNS1_25segmented_radix_sort_implINS0_14default_configELb1EPKaPaPKlPlN2at6native12_GLOBAL__N_18offset_tEEE10hipError_tPvRmT1_PNSt15iterator_traitsIS12_E10value_typeET2_T3_PNS13_IS18_E10value_typeET4_jRbjT5_S1E_jjP12ihipStream_tbEUljE_ZNSN_ISO_Lb1ESQ_SR_ST_SU_SY_EESZ_S10_S11_S12_S16_S17_S18_S1B_S1C_jS1D_jS1E_S1E_jjS1G_bEUljE0_EEESZ_S10_S11_S18_S1C_S1E_T6_T7_T9_mT8_S1G_bDpT10_ENKUlT_T0_E_clISt17integral_constantIbLb0EES1U_EEDaS1P_S1Q_EUlS1P_E_NS1_11comp_targetILNS1_3genE3ELNS1_11target_archE908ELNS1_3gpuE7ELNS1_3repE0EEENS1_30default_config_static_selectorELNS0_4arch9wavefront6targetE0EEEvS12_
                                        ; -- End function
	.section	.AMDGPU.csdata,"",@progbits
; Kernel info:
; codeLenInByte = 0
; NumSgprs: 0
; NumVgprs: 0
; ScratchSize: 0
; MemoryBound: 0
; FloatMode: 240
; IeeeMode: 1
; LDSByteSize: 0 bytes/workgroup (compile time only)
; SGPRBlocks: 0
; VGPRBlocks: 0
; NumSGPRsForWavesPerEU: 1
; NumVGPRsForWavesPerEU: 1
; Occupancy: 16
; WaveLimiterHint : 0
; COMPUTE_PGM_RSRC2:SCRATCH_EN: 0
; COMPUTE_PGM_RSRC2:USER_SGPR: 15
; COMPUTE_PGM_RSRC2:TRAP_HANDLER: 0
; COMPUTE_PGM_RSRC2:TGID_X_EN: 1
; COMPUTE_PGM_RSRC2:TGID_Y_EN: 0
; COMPUTE_PGM_RSRC2:TGID_Z_EN: 0
; COMPUTE_PGM_RSRC2:TIDIG_COMP_CNT: 0
	.section	.text._ZN7rocprim17ROCPRIM_400000_NS6detail17trampoline_kernelINS0_13select_configILj256ELj13ELNS0_17block_load_methodE3ELS4_3ELS4_3ELNS0_20block_scan_algorithmE0ELj4294967295EEENS1_25partition_config_selectorILNS1_17partition_subalgoE4EjNS0_10empty_typeEbEEZZNS1_14partition_implILS8_4ELb0ES6_15HIP_vector_typeIjLj2EENS0_17counting_iteratorIjlEEPS9_SG_NS0_5tupleIJPjSI_NS0_16reverse_iteratorISI_EEEEENSH_IJSG_SG_SG_EEES9_SI_JZNS1_25segmented_radix_sort_implINS0_14default_configELb1EPKaPaPKlPlN2at6native12_GLOBAL__N_18offset_tEEE10hipError_tPvRmT1_PNSt15iterator_traitsIS12_E10value_typeET2_T3_PNS13_IS18_E10value_typeET4_jRbjT5_S1E_jjP12ihipStream_tbEUljE_ZNSN_ISO_Lb1ESQ_SR_ST_SU_SY_EESZ_S10_S11_S12_S16_S17_S18_S1B_S1C_jS1D_jS1E_S1E_jjS1G_bEUljE0_EEESZ_S10_S11_S18_S1C_S1E_T6_T7_T9_mT8_S1G_bDpT10_ENKUlT_T0_E_clISt17integral_constantIbLb0EES1U_EEDaS1P_S1Q_EUlS1P_E_NS1_11comp_targetILNS1_3genE2ELNS1_11target_archE906ELNS1_3gpuE6ELNS1_3repE0EEENS1_30default_config_static_selectorELNS0_4arch9wavefront6targetE0EEEvS12_,"axG",@progbits,_ZN7rocprim17ROCPRIM_400000_NS6detail17trampoline_kernelINS0_13select_configILj256ELj13ELNS0_17block_load_methodE3ELS4_3ELS4_3ELNS0_20block_scan_algorithmE0ELj4294967295EEENS1_25partition_config_selectorILNS1_17partition_subalgoE4EjNS0_10empty_typeEbEEZZNS1_14partition_implILS8_4ELb0ES6_15HIP_vector_typeIjLj2EENS0_17counting_iteratorIjlEEPS9_SG_NS0_5tupleIJPjSI_NS0_16reverse_iteratorISI_EEEEENSH_IJSG_SG_SG_EEES9_SI_JZNS1_25segmented_radix_sort_implINS0_14default_configELb1EPKaPaPKlPlN2at6native12_GLOBAL__N_18offset_tEEE10hipError_tPvRmT1_PNSt15iterator_traitsIS12_E10value_typeET2_T3_PNS13_IS18_E10value_typeET4_jRbjT5_S1E_jjP12ihipStream_tbEUljE_ZNSN_ISO_Lb1ESQ_SR_ST_SU_SY_EESZ_S10_S11_S12_S16_S17_S18_S1B_S1C_jS1D_jS1E_S1E_jjS1G_bEUljE0_EEESZ_S10_S11_S18_S1C_S1E_T6_T7_T9_mT8_S1G_bDpT10_ENKUlT_T0_E_clISt17integral_constantIbLb0EES1U_EEDaS1P_S1Q_EUlS1P_E_NS1_11comp_targetILNS1_3genE2ELNS1_11target_archE906ELNS1_3gpuE6ELNS1_3repE0EEENS1_30default_config_static_selectorELNS0_4arch9wavefront6targetE0EEEvS12_,comdat
	.globl	_ZN7rocprim17ROCPRIM_400000_NS6detail17trampoline_kernelINS0_13select_configILj256ELj13ELNS0_17block_load_methodE3ELS4_3ELS4_3ELNS0_20block_scan_algorithmE0ELj4294967295EEENS1_25partition_config_selectorILNS1_17partition_subalgoE4EjNS0_10empty_typeEbEEZZNS1_14partition_implILS8_4ELb0ES6_15HIP_vector_typeIjLj2EENS0_17counting_iteratorIjlEEPS9_SG_NS0_5tupleIJPjSI_NS0_16reverse_iteratorISI_EEEEENSH_IJSG_SG_SG_EEES9_SI_JZNS1_25segmented_radix_sort_implINS0_14default_configELb1EPKaPaPKlPlN2at6native12_GLOBAL__N_18offset_tEEE10hipError_tPvRmT1_PNSt15iterator_traitsIS12_E10value_typeET2_T3_PNS13_IS18_E10value_typeET4_jRbjT5_S1E_jjP12ihipStream_tbEUljE_ZNSN_ISO_Lb1ESQ_SR_ST_SU_SY_EESZ_S10_S11_S12_S16_S17_S18_S1B_S1C_jS1D_jS1E_S1E_jjS1G_bEUljE0_EEESZ_S10_S11_S18_S1C_S1E_T6_T7_T9_mT8_S1G_bDpT10_ENKUlT_T0_E_clISt17integral_constantIbLb0EES1U_EEDaS1P_S1Q_EUlS1P_E_NS1_11comp_targetILNS1_3genE2ELNS1_11target_archE906ELNS1_3gpuE6ELNS1_3repE0EEENS1_30default_config_static_selectorELNS0_4arch9wavefront6targetE0EEEvS12_ ; -- Begin function _ZN7rocprim17ROCPRIM_400000_NS6detail17trampoline_kernelINS0_13select_configILj256ELj13ELNS0_17block_load_methodE3ELS4_3ELS4_3ELNS0_20block_scan_algorithmE0ELj4294967295EEENS1_25partition_config_selectorILNS1_17partition_subalgoE4EjNS0_10empty_typeEbEEZZNS1_14partition_implILS8_4ELb0ES6_15HIP_vector_typeIjLj2EENS0_17counting_iteratorIjlEEPS9_SG_NS0_5tupleIJPjSI_NS0_16reverse_iteratorISI_EEEEENSH_IJSG_SG_SG_EEES9_SI_JZNS1_25segmented_radix_sort_implINS0_14default_configELb1EPKaPaPKlPlN2at6native12_GLOBAL__N_18offset_tEEE10hipError_tPvRmT1_PNSt15iterator_traitsIS12_E10value_typeET2_T3_PNS13_IS18_E10value_typeET4_jRbjT5_S1E_jjP12ihipStream_tbEUljE_ZNSN_ISO_Lb1ESQ_SR_ST_SU_SY_EESZ_S10_S11_S12_S16_S17_S18_S1B_S1C_jS1D_jS1E_S1E_jjS1G_bEUljE0_EEESZ_S10_S11_S18_S1C_S1E_T6_T7_T9_mT8_S1G_bDpT10_ENKUlT_T0_E_clISt17integral_constantIbLb0EES1U_EEDaS1P_S1Q_EUlS1P_E_NS1_11comp_targetILNS1_3genE2ELNS1_11target_archE906ELNS1_3gpuE6ELNS1_3repE0EEENS1_30default_config_static_selectorELNS0_4arch9wavefront6targetE0EEEvS12_
	.p2align	8
	.type	_ZN7rocprim17ROCPRIM_400000_NS6detail17trampoline_kernelINS0_13select_configILj256ELj13ELNS0_17block_load_methodE3ELS4_3ELS4_3ELNS0_20block_scan_algorithmE0ELj4294967295EEENS1_25partition_config_selectorILNS1_17partition_subalgoE4EjNS0_10empty_typeEbEEZZNS1_14partition_implILS8_4ELb0ES6_15HIP_vector_typeIjLj2EENS0_17counting_iteratorIjlEEPS9_SG_NS0_5tupleIJPjSI_NS0_16reverse_iteratorISI_EEEEENSH_IJSG_SG_SG_EEES9_SI_JZNS1_25segmented_radix_sort_implINS0_14default_configELb1EPKaPaPKlPlN2at6native12_GLOBAL__N_18offset_tEEE10hipError_tPvRmT1_PNSt15iterator_traitsIS12_E10value_typeET2_T3_PNS13_IS18_E10value_typeET4_jRbjT5_S1E_jjP12ihipStream_tbEUljE_ZNSN_ISO_Lb1ESQ_SR_ST_SU_SY_EESZ_S10_S11_S12_S16_S17_S18_S1B_S1C_jS1D_jS1E_S1E_jjS1G_bEUljE0_EEESZ_S10_S11_S18_S1C_S1E_T6_T7_T9_mT8_S1G_bDpT10_ENKUlT_T0_E_clISt17integral_constantIbLb0EES1U_EEDaS1P_S1Q_EUlS1P_E_NS1_11comp_targetILNS1_3genE2ELNS1_11target_archE906ELNS1_3gpuE6ELNS1_3repE0EEENS1_30default_config_static_selectorELNS0_4arch9wavefront6targetE0EEEvS12_,@function
_ZN7rocprim17ROCPRIM_400000_NS6detail17trampoline_kernelINS0_13select_configILj256ELj13ELNS0_17block_load_methodE3ELS4_3ELS4_3ELNS0_20block_scan_algorithmE0ELj4294967295EEENS1_25partition_config_selectorILNS1_17partition_subalgoE4EjNS0_10empty_typeEbEEZZNS1_14partition_implILS8_4ELb0ES6_15HIP_vector_typeIjLj2EENS0_17counting_iteratorIjlEEPS9_SG_NS0_5tupleIJPjSI_NS0_16reverse_iteratorISI_EEEEENSH_IJSG_SG_SG_EEES9_SI_JZNS1_25segmented_radix_sort_implINS0_14default_configELb1EPKaPaPKlPlN2at6native12_GLOBAL__N_18offset_tEEE10hipError_tPvRmT1_PNSt15iterator_traitsIS12_E10value_typeET2_T3_PNS13_IS18_E10value_typeET4_jRbjT5_S1E_jjP12ihipStream_tbEUljE_ZNSN_ISO_Lb1ESQ_SR_ST_SU_SY_EESZ_S10_S11_S12_S16_S17_S18_S1B_S1C_jS1D_jS1E_S1E_jjS1G_bEUljE0_EEESZ_S10_S11_S18_S1C_S1E_T6_T7_T9_mT8_S1G_bDpT10_ENKUlT_T0_E_clISt17integral_constantIbLb0EES1U_EEDaS1P_S1Q_EUlS1P_E_NS1_11comp_targetILNS1_3genE2ELNS1_11target_archE906ELNS1_3gpuE6ELNS1_3repE0EEENS1_30default_config_static_selectorELNS0_4arch9wavefront6targetE0EEEvS12_: ; @_ZN7rocprim17ROCPRIM_400000_NS6detail17trampoline_kernelINS0_13select_configILj256ELj13ELNS0_17block_load_methodE3ELS4_3ELS4_3ELNS0_20block_scan_algorithmE0ELj4294967295EEENS1_25partition_config_selectorILNS1_17partition_subalgoE4EjNS0_10empty_typeEbEEZZNS1_14partition_implILS8_4ELb0ES6_15HIP_vector_typeIjLj2EENS0_17counting_iteratorIjlEEPS9_SG_NS0_5tupleIJPjSI_NS0_16reverse_iteratorISI_EEEEENSH_IJSG_SG_SG_EEES9_SI_JZNS1_25segmented_radix_sort_implINS0_14default_configELb1EPKaPaPKlPlN2at6native12_GLOBAL__N_18offset_tEEE10hipError_tPvRmT1_PNSt15iterator_traitsIS12_E10value_typeET2_T3_PNS13_IS18_E10value_typeET4_jRbjT5_S1E_jjP12ihipStream_tbEUljE_ZNSN_ISO_Lb1ESQ_SR_ST_SU_SY_EESZ_S10_S11_S12_S16_S17_S18_S1B_S1C_jS1D_jS1E_S1E_jjS1G_bEUljE0_EEESZ_S10_S11_S18_S1C_S1E_T6_T7_T9_mT8_S1G_bDpT10_ENKUlT_T0_E_clISt17integral_constantIbLb0EES1U_EEDaS1P_S1Q_EUlS1P_E_NS1_11comp_targetILNS1_3genE2ELNS1_11target_archE906ELNS1_3gpuE6ELNS1_3repE0EEENS1_30default_config_static_selectorELNS0_4arch9wavefront6targetE0EEEvS12_
; %bb.0:
	.section	.rodata,"a",@progbits
	.p2align	6, 0x0
	.amdhsa_kernel _ZN7rocprim17ROCPRIM_400000_NS6detail17trampoline_kernelINS0_13select_configILj256ELj13ELNS0_17block_load_methodE3ELS4_3ELS4_3ELNS0_20block_scan_algorithmE0ELj4294967295EEENS1_25partition_config_selectorILNS1_17partition_subalgoE4EjNS0_10empty_typeEbEEZZNS1_14partition_implILS8_4ELb0ES6_15HIP_vector_typeIjLj2EENS0_17counting_iteratorIjlEEPS9_SG_NS0_5tupleIJPjSI_NS0_16reverse_iteratorISI_EEEEENSH_IJSG_SG_SG_EEES9_SI_JZNS1_25segmented_radix_sort_implINS0_14default_configELb1EPKaPaPKlPlN2at6native12_GLOBAL__N_18offset_tEEE10hipError_tPvRmT1_PNSt15iterator_traitsIS12_E10value_typeET2_T3_PNS13_IS18_E10value_typeET4_jRbjT5_S1E_jjP12ihipStream_tbEUljE_ZNSN_ISO_Lb1ESQ_SR_ST_SU_SY_EESZ_S10_S11_S12_S16_S17_S18_S1B_S1C_jS1D_jS1E_S1E_jjS1G_bEUljE0_EEESZ_S10_S11_S18_S1C_S1E_T6_T7_T9_mT8_S1G_bDpT10_ENKUlT_T0_E_clISt17integral_constantIbLb0EES1U_EEDaS1P_S1Q_EUlS1P_E_NS1_11comp_targetILNS1_3genE2ELNS1_11target_archE906ELNS1_3gpuE6ELNS1_3repE0EEENS1_30default_config_static_selectorELNS0_4arch9wavefront6targetE0EEEvS12_
		.amdhsa_group_segment_fixed_size 0
		.amdhsa_private_segment_fixed_size 0
		.amdhsa_kernarg_size 176
		.amdhsa_user_sgpr_count 15
		.amdhsa_user_sgpr_dispatch_ptr 0
		.amdhsa_user_sgpr_queue_ptr 0
		.amdhsa_user_sgpr_kernarg_segment_ptr 1
		.amdhsa_user_sgpr_dispatch_id 0
		.amdhsa_user_sgpr_private_segment_size 0
		.amdhsa_wavefront_size32 1
		.amdhsa_uses_dynamic_stack 0
		.amdhsa_enable_private_segment 0
		.amdhsa_system_sgpr_workgroup_id_x 1
		.amdhsa_system_sgpr_workgroup_id_y 0
		.amdhsa_system_sgpr_workgroup_id_z 0
		.amdhsa_system_sgpr_workgroup_info 0
		.amdhsa_system_vgpr_workitem_id 0
		.amdhsa_next_free_vgpr 1
		.amdhsa_next_free_sgpr 1
		.amdhsa_reserve_vcc 0
		.amdhsa_float_round_mode_32 0
		.amdhsa_float_round_mode_16_64 0
		.amdhsa_float_denorm_mode_32 3
		.amdhsa_float_denorm_mode_16_64 3
		.amdhsa_dx10_clamp 1
		.amdhsa_ieee_mode 1
		.amdhsa_fp16_overflow 0
		.amdhsa_workgroup_processor_mode 1
		.amdhsa_memory_ordered 1
		.amdhsa_forward_progress 0
		.amdhsa_shared_vgpr_count 0
		.amdhsa_exception_fp_ieee_invalid_op 0
		.amdhsa_exception_fp_denorm_src 0
		.amdhsa_exception_fp_ieee_div_zero 0
		.amdhsa_exception_fp_ieee_overflow 0
		.amdhsa_exception_fp_ieee_underflow 0
		.amdhsa_exception_fp_ieee_inexact 0
		.amdhsa_exception_int_div_zero 0
	.end_amdhsa_kernel
	.section	.text._ZN7rocprim17ROCPRIM_400000_NS6detail17trampoline_kernelINS0_13select_configILj256ELj13ELNS0_17block_load_methodE3ELS4_3ELS4_3ELNS0_20block_scan_algorithmE0ELj4294967295EEENS1_25partition_config_selectorILNS1_17partition_subalgoE4EjNS0_10empty_typeEbEEZZNS1_14partition_implILS8_4ELb0ES6_15HIP_vector_typeIjLj2EENS0_17counting_iteratorIjlEEPS9_SG_NS0_5tupleIJPjSI_NS0_16reverse_iteratorISI_EEEEENSH_IJSG_SG_SG_EEES9_SI_JZNS1_25segmented_radix_sort_implINS0_14default_configELb1EPKaPaPKlPlN2at6native12_GLOBAL__N_18offset_tEEE10hipError_tPvRmT1_PNSt15iterator_traitsIS12_E10value_typeET2_T3_PNS13_IS18_E10value_typeET4_jRbjT5_S1E_jjP12ihipStream_tbEUljE_ZNSN_ISO_Lb1ESQ_SR_ST_SU_SY_EESZ_S10_S11_S12_S16_S17_S18_S1B_S1C_jS1D_jS1E_S1E_jjS1G_bEUljE0_EEESZ_S10_S11_S18_S1C_S1E_T6_T7_T9_mT8_S1G_bDpT10_ENKUlT_T0_E_clISt17integral_constantIbLb0EES1U_EEDaS1P_S1Q_EUlS1P_E_NS1_11comp_targetILNS1_3genE2ELNS1_11target_archE906ELNS1_3gpuE6ELNS1_3repE0EEENS1_30default_config_static_selectorELNS0_4arch9wavefront6targetE0EEEvS12_,"axG",@progbits,_ZN7rocprim17ROCPRIM_400000_NS6detail17trampoline_kernelINS0_13select_configILj256ELj13ELNS0_17block_load_methodE3ELS4_3ELS4_3ELNS0_20block_scan_algorithmE0ELj4294967295EEENS1_25partition_config_selectorILNS1_17partition_subalgoE4EjNS0_10empty_typeEbEEZZNS1_14partition_implILS8_4ELb0ES6_15HIP_vector_typeIjLj2EENS0_17counting_iteratorIjlEEPS9_SG_NS0_5tupleIJPjSI_NS0_16reverse_iteratorISI_EEEEENSH_IJSG_SG_SG_EEES9_SI_JZNS1_25segmented_radix_sort_implINS0_14default_configELb1EPKaPaPKlPlN2at6native12_GLOBAL__N_18offset_tEEE10hipError_tPvRmT1_PNSt15iterator_traitsIS12_E10value_typeET2_T3_PNS13_IS18_E10value_typeET4_jRbjT5_S1E_jjP12ihipStream_tbEUljE_ZNSN_ISO_Lb1ESQ_SR_ST_SU_SY_EESZ_S10_S11_S12_S16_S17_S18_S1B_S1C_jS1D_jS1E_S1E_jjS1G_bEUljE0_EEESZ_S10_S11_S18_S1C_S1E_T6_T7_T9_mT8_S1G_bDpT10_ENKUlT_T0_E_clISt17integral_constantIbLb0EES1U_EEDaS1P_S1Q_EUlS1P_E_NS1_11comp_targetILNS1_3genE2ELNS1_11target_archE906ELNS1_3gpuE6ELNS1_3repE0EEENS1_30default_config_static_selectorELNS0_4arch9wavefront6targetE0EEEvS12_,comdat
.Lfunc_end230:
	.size	_ZN7rocprim17ROCPRIM_400000_NS6detail17trampoline_kernelINS0_13select_configILj256ELj13ELNS0_17block_load_methodE3ELS4_3ELS4_3ELNS0_20block_scan_algorithmE0ELj4294967295EEENS1_25partition_config_selectorILNS1_17partition_subalgoE4EjNS0_10empty_typeEbEEZZNS1_14partition_implILS8_4ELb0ES6_15HIP_vector_typeIjLj2EENS0_17counting_iteratorIjlEEPS9_SG_NS0_5tupleIJPjSI_NS0_16reverse_iteratorISI_EEEEENSH_IJSG_SG_SG_EEES9_SI_JZNS1_25segmented_radix_sort_implINS0_14default_configELb1EPKaPaPKlPlN2at6native12_GLOBAL__N_18offset_tEEE10hipError_tPvRmT1_PNSt15iterator_traitsIS12_E10value_typeET2_T3_PNS13_IS18_E10value_typeET4_jRbjT5_S1E_jjP12ihipStream_tbEUljE_ZNSN_ISO_Lb1ESQ_SR_ST_SU_SY_EESZ_S10_S11_S12_S16_S17_S18_S1B_S1C_jS1D_jS1E_S1E_jjS1G_bEUljE0_EEESZ_S10_S11_S18_S1C_S1E_T6_T7_T9_mT8_S1G_bDpT10_ENKUlT_T0_E_clISt17integral_constantIbLb0EES1U_EEDaS1P_S1Q_EUlS1P_E_NS1_11comp_targetILNS1_3genE2ELNS1_11target_archE906ELNS1_3gpuE6ELNS1_3repE0EEENS1_30default_config_static_selectorELNS0_4arch9wavefront6targetE0EEEvS12_, .Lfunc_end230-_ZN7rocprim17ROCPRIM_400000_NS6detail17trampoline_kernelINS0_13select_configILj256ELj13ELNS0_17block_load_methodE3ELS4_3ELS4_3ELNS0_20block_scan_algorithmE0ELj4294967295EEENS1_25partition_config_selectorILNS1_17partition_subalgoE4EjNS0_10empty_typeEbEEZZNS1_14partition_implILS8_4ELb0ES6_15HIP_vector_typeIjLj2EENS0_17counting_iteratorIjlEEPS9_SG_NS0_5tupleIJPjSI_NS0_16reverse_iteratorISI_EEEEENSH_IJSG_SG_SG_EEES9_SI_JZNS1_25segmented_radix_sort_implINS0_14default_configELb1EPKaPaPKlPlN2at6native12_GLOBAL__N_18offset_tEEE10hipError_tPvRmT1_PNSt15iterator_traitsIS12_E10value_typeET2_T3_PNS13_IS18_E10value_typeET4_jRbjT5_S1E_jjP12ihipStream_tbEUljE_ZNSN_ISO_Lb1ESQ_SR_ST_SU_SY_EESZ_S10_S11_S12_S16_S17_S18_S1B_S1C_jS1D_jS1E_S1E_jjS1G_bEUljE0_EEESZ_S10_S11_S18_S1C_S1E_T6_T7_T9_mT8_S1G_bDpT10_ENKUlT_T0_E_clISt17integral_constantIbLb0EES1U_EEDaS1P_S1Q_EUlS1P_E_NS1_11comp_targetILNS1_3genE2ELNS1_11target_archE906ELNS1_3gpuE6ELNS1_3repE0EEENS1_30default_config_static_selectorELNS0_4arch9wavefront6targetE0EEEvS12_
                                        ; -- End function
	.section	.AMDGPU.csdata,"",@progbits
; Kernel info:
; codeLenInByte = 0
; NumSgprs: 0
; NumVgprs: 0
; ScratchSize: 0
; MemoryBound: 0
; FloatMode: 240
; IeeeMode: 1
; LDSByteSize: 0 bytes/workgroup (compile time only)
; SGPRBlocks: 0
; VGPRBlocks: 0
; NumSGPRsForWavesPerEU: 1
; NumVGPRsForWavesPerEU: 1
; Occupancy: 16
; WaveLimiterHint : 0
; COMPUTE_PGM_RSRC2:SCRATCH_EN: 0
; COMPUTE_PGM_RSRC2:USER_SGPR: 15
; COMPUTE_PGM_RSRC2:TRAP_HANDLER: 0
; COMPUTE_PGM_RSRC2:TGID_X_EN: 1
; COMPUTE_PGM_RSRC2:TGID_Y_EN: 0
; COMPUTE_PGM_RSRC2:TGID_Z_EN: 0
; COMPUTE_PGM_RSRC2:TIDIG_COMP_CNT: 0
	.section	.text._ZN7rocprim17ROCPRIM_400000_NS6detail17trampoline_kernelINS0_13select_configILj256ELj13ELNS0_17block_load_methodE3ELS4_3ELS4_3ELNS0_20block_scan_algorithmE0ELj4294967295EEENS1_25partition_config_selectorILNS1_17partition_subalgoE4EjNS0_10empty_typeEbEEZZNS1_14partition_implILS8_4ELb0ES6_15HIP_vector_typeIjLj2EENS0_17counting_iteratorIjlEEPS9_SG_NS0_5tupleIJPjSI_NS0_16reverse_iteratorISI_EEEEENSH_IJSG_SG_SG_EEES9_SI_JZNS1_25segmented_radix_sort_implINS0_14default_configELb1EPKaPaPKlPlN2at6native12_GLOBAL__N_18offset_tEEE10hipError_tPvRmT1_PNSt15iterator_traitsIS12_E10value_typeET2_T3_PNS13_IS18_E10value_typeET4_jRbjT5_S1E_jjP12ihipStream_tbEUljE_ZNSN_ISO_Lb1ESQ_SR_ST_SU_SY_EESZ_S10_S11_S12_S16_S17_S18_S1B_S1C_jS1D_jS1E_S1E_jjS1G_bEUljE0_EEESZ_S10_S11_S18_S1C_S1E_T6_T7_T9_mT8_S1G_bDpT10_ENKUlT_T0_E_clISt17integral_constantIbLb0EES1U_EEDaS1P_S1Q_EUlS1P_E_NS1_11comp_targetILNS1_3genE10ELNS1_11target_archE1200ELNS1_3gpuE4ELNS1_3repE0EEENS1_30default_config_static_selectorELNS0_4arch9wavefront6targetE0EEEvS12_,"axG",@progbits,_ZN7rocprim17ROCPRIM_400000_NS6detail17trampoline_kernelINS0_13select_configILj256ELj13ELNS0_17block_load_methodE3ELS4_3ELS4_3ELNS0_20block_scan_algorithmE0ELj4294967295EEENS1_25partition_config_selectorILNS1_17partition_subalgoE4EjNS0_10empty_typeEbEEZZNS1_14partition_implILS8_4ELb0ES6_15HIP_vector_typeIjLj2EENS0_17counting_iteratorIjlEEPS9_SG_NS0_5tupleIJPjSI_NS0_16reverse_iteratorISI_EEEEENSH_IJSG_SG_SG_EEES9_SI_JZNS1_25segmented_radix_sort_implINS0_14default_configELb1EPKaPaPKlPlN2at6native12_GLOBAL__N_18offset_tEEE10hipError_tPvRmT1_PNSt15iterator_traitsIS12_E10value_typeET2_T3_PNS13_IS18_E10value_typeET4_jRbjT5_S1E_jjP12ihipStream_tbEUljE_ZNSN_ISO_Lb1ESQ_SR_ST_SU_SY_EESZ_S10_S11_S12_S16_S17_S18_S1B_S1C_jS1D_jS1E_S1E_jjS1G_bEUljE0_EEESZ_S10_S11_S18_S1C_S1E_T6_T7_T9_mT8_S1G_bDpT10_ENKUlT_T0_E_clISt17integral_constantIbLb0EES1U_EEDaS1P_S1Q_EUlS1P_E_NS1_11comp_targetILNS1_3genE10ELNS1_11target_archE1200ELNS1_3gpuE4ELNS1_3repE0EEENS1_30default_config_static_selectorELNS0_4arch9wavefront6targetE0EEEvS12_,comdat
	.globl	_ZN7rocprim17ROCPRIM_400000_NS6detail17trampoline_kernelINS0_13select_configILj256ELj13ELNS0_17block_load_methodE3ELS4_3ELS4_3ELNS0_20block_scan_algorithmE0ELj4294967295EEENS1_25partition_config_selectorILNS1_17partition_subalgoE4EjNS0_10empty_typeEbEEZZNS1_14partition_implILS8_4ELb0ES6_15HIP_vector_typeIjLj2EENS0_17counting_iteratorIjlEEPS9_SG_NS0_5tupleIJPjSI_NS0_16reverse_iteratorISI_EEEEENSH_IJSG_SG_SG_EEES9_SI_JZNS1_25segmented_radix_sort_implINS0_14default_configELb1EPKaPaPKlPlN2at6native12_GLOBAL__N_18offset_tEEE10hipError_tPvRmT1_PNSt15iterator_traitsIS12_E10value_typeET2_T3_PNS13_IS18_E10value_typeET4_jRbjT5_S1E_jjP12ihipStream_tbEUljE_ZNSN_ISO_Lb1ESQ_SR_ST_SU_SY_EESZ_S10_S11_S12_S16_S17_S18_S1B_S1C_jS1D_jS1E_S1E_jjS1G_bEUljE0_EEESZ_S10_S11_S18_S1C_S1E_T6_T7_T9_mT8_S1G_bDpT10_ENKUlT_T0_E_clISt17integral_constantIbLb0EES1U_EEDaS1P_S1Q_EUlS1P_E_NS1_11comp_targetILNS1_3genE10ELNS1_11target_archE1200ELNS1_3gpuE4ELNS1_3repE0EEENS1_30default_config_static_selectorELNS0_4arch9wavefront6targetE0EEEvS12_ ; -- Begin function _ZN7rocprim17ROCPRIM_400000_NS6detail17trampoline_kernelINS0_13select_configILj256ELj13ELNS0_17block_load_methodE3ELS4_3ELS4_3ELNS0_20block_scan_algorithmE0ELj4294967295EEENS1_25partition_config_selectorILNS1_17partition_subalgoE4EjNS0_10empty_typeEbEEZZNS1_14partition_implILS8_4ELb0ES6_15HIP_vector_typeIjLj2EENS0_17counting_iteratorIjlEEPS9_SG_NS0_5tupleIJPjSI_NS0_16reverse_iteratorISI_EEEEENSH_IJSG_SG_SG_EEES9_SI_JZNS1_25segmented_radix_sort_implINS0_14default_configELb1EPKaPaPKlPlN2at6native12_GLOBAL__N_18offset_tEEE10hipError_tPvRmT1_PNSt15iterator_traitsIS12_E10value_typeET2_T3_PNS13_IS18_E10value_typeET4_jRbjT5_S1E_jjP12ihipStream_tbEUljE_ZNSN_ISO_Lb1ESQ_SR_ST_SU_SY_EESZ_S10_S11_S12_S16_S17_S18_S1B_S1C_jS1D_jS1E_S1E_jjS1G_bEUljE0_EEESZ_S10_S11_S18_S1C_S1E_T6_T7_T9_mT8_S1G_bDpT10_ENKUlT_T0_E_clISt17integral_constantIbLb0EES1U_EEDaS1P_S1Q_EUlS1P_E_NS1_11comp_targetILNS1_3genE10ELNS1_11target_archE1200ELNS1_3gpuE4ELNS1_3repE0EEENS1_30default_config_static_selectorELNS0_4arch9wavefront6targetE0EEEvS12_
	.p2align	8
	.type	_ZN7rocprim17ROCPRIM_400000_NS6detail17trampoline_kernelINS0_13select_configILj256ELj13ELNS0_17block_load_methodE3ELS4_3ELS4_3ELNS0_20block_scan_algorithmE0ELj4294967295EEENS1_25partition_config_selectorILNS1_17partition_subalgoE4EjNS0_10empty_typeEbEEZZNS1_14partition_implILS8_4ELb0ES6_15HIP_vector_typeIjLj2EENS0_17counting_iteratorIjlEEPS9_SG_NS0_5tupleIJPjSI_NS0_16reverse_iteratorISI_EEEEENSH_IJSG_SG_SG_EEES9_SI_JZNS1_25segmented_radix_sort_implINS0_14default_configELb1EPKaPaPKlPlN2at6native12_GLOBAL__N_18offset_tEEE10hipError_tPvRmT1_PNSt15iterator_traitsIS12_E10value_typeET2_T3_PNS13_IS18_E10value_typeET4_jRbjT5_S1E_jjP12ihipStream_tbEUljE_ZNSN_ISO_Lb1ESQ_SR_ST_SU_SY_EESZ_S10_S11_S12_S16_S17_S18_S1B_S1C_jS1D_jS1E_S1E_jjS1G_bEUljE0_EEESZ_S10_S11_S18_S1C_S1E_T6_T7_T9_mT8_S1G_bDpT10_ENKUlT_T0_E_clISt17integral_constantIbLb0EES1U_EEDaS1P_S1Q_EUlS1P_E_NS1_11comp_targetILNS1_3genE10ELNS1_11target_archE1200ELNS1_3gpuE4ELNS1_3repE0EEENS1_30default_config_static_selectorELNS0_4arch9wavefront6targetE0EEEvS12_,@function
_ZN7rocprim17ROCPRIM_400000_NS6detail17trampoline_kernelINS0_13select_configILj256ELj13ELNS0_17block_load_methodE3ELS4_3ELS4_3ELNS0_20block_scan_algorithmE0ELj4294967295EEENS1_25partition_config_selectorILNS1_17partition_subalgoE4EjNS0_10empty_typeEbEEZZNS1_14partition_implILS8_4ELb0ES6_15HIP_vector_typeIjLj2EENS0_17counting_iteratorIjlEEPS9_SG_NS0_5tupleIJPjSI_NS0_16reverse_iteratorISI_EEEEENSH_IJSG_SG_SG_EEES9_SI_JZNS1_25segmented_radix_sort_implINS0_14default_configELb1EPKaPaPKlPlN2at6native12_GLOBAL__N_18offset_tEEE10hipError_tPvRmT1_PNSt15iterator_traitsIS12_E10value_typeET2_T3_PNS13_IS18_E10value_typeET4_jRbjT5_S1E_jjP12ihipStream_tbEUljE_ZNSN_ISO_Lb1ESQ_SR_ST_SU_SY_EESZ_S10_S11_S12_S16_S17_S18_S1B_S1C_jS1D_jS1E_S1E_jjS1G_bEUljE0_EEESZ_S10_S11_S18_S1C_S1E_T6_T7_T9_mT8_S1G_bDpT10_ENKUlT_T0_E_clISt17integral_constantIbLb0EES1U_EEDaS1P_S1Q_EUlS1P_E_NS1_11comp_targetILNS1_3genE10ELNS1_11target_archE1200ELNS1_3gpuE4ELNS1_3repE0EEENS1_30default_config_static_selectorELNS0_4arch9wavefront6targetE0EEEvS12_: ; @_ZN7rocprim17ROCPRIM_400000_NS6detail17trampoline_kernelINS0_13select_configILj256ELj13ELNS0_17block_load_methodE3ELS4_3ELS4_3ELNS0_20block_scan_algorithmE0ELj4294967295EEENS1_25partition_config_selectorILNS1_17partition_subalgoE4EjNS0_10empty_typeEbEEZZNS1_14partition_implILS8_4ELb0ES6_15HIP_vector_typeIjLj2EENS0_17counting_iteratorIjlEEPS9_SG_NS0_5tupleIJPjSI_NS0_16reverse_iteratorISI_EEEEENSH_IJSG_SG_SG_EEES9_SI_JZNS1_25segmented_radix_sort_implINS0_14default_configELb1EPKaPaPKlPlN2at6native12_GLOBAL__N_18offset_tEEE10hipError_tPvRmT1_PNSt15iterator_traitsIS12_E10value_typeET2_T3_PNS13_IS18_E10value_typeET4_jRbjT5_S1E_jjP12ihipStream_tbEUljE_ZNSN_ISO_Lb1ESQ_SR_ST_SU_SY_EESZ_S10_S11_S12_S16_S17_S18_S1B_S1C_jS1D_jS1E_S1E_jjS1G_bEUljE0_EEESZ_S10_S11_S18_S1C_S1E_T6_T7_T9_mT8_S1G_bDpT10_ENKUlT_T0_E_clISt17integral_constantIbLb0EES1U_EEDaS1P_S1Q_EUlS1P_E_NS1_11comp_targetILNS1_3genE10ELNS1_11target_archE1200ELNS1_3gpuE4ELNS1_3repE0EEENS1_30default_config_static_selectorELNS0_4arch9wavefront6targetE0EEEvS12_
; %bb.0:
	.section	.rodata,"a",@progbits
	.p2align	6, 0x0
	.amdhsa_kernel _ZN7rocprim17ROCPRIM_400000_NS6detail17trampoline_kernelINS0_13select_configILj256ELj13ELNS0_17block_load_methodE3ELS4_3ELS4_3ELNS0_20block_scan_algorithmE0ELj4294967295EEENS1_25partition_config_selectorILNS1_17partition_subalgoE4EjNS0_10empty_typeEbEEZZNS1_14partition_implILS8_4ELb0ES6_15HIP_vector_typeIjLj2EENS0_17counting_iteratorIjlEEPS9_SG_NS0_5tupleIJPjSI_NS0_16reverse_iteratorISI_EEEEENSH_IJSG_SG_SG_EEES9_SI_JZNS1_25segmented_radix_sort_implINS0_14default_configELb1EPKaPaPKlPlN2at6native12_GLOBAL__N_18offset_tEEE10hipError_tPvRmT1_PNSt15iterator_traitsIS12_E10value_typeET2_T3_PNS13_IS18_E10value_typeET4_jRbjT5_S1E_jjP12ihipStream_tbEUljE_ZNSN_ISO_Lb1ESQ_SR_ST_SU_SY_EESZ_S10_S11_S12_S16_S17_S18_S1B_S1C_jS1D_jS1E_S1E_jjS1G_bEUljE0_EEESZ_S10_S11_S18_S1C_S1E_T6_T7_T9_mT8_S1G_bDpT10_ENKUlT_T0_E_clISt17integral_constantIbLb0EES1U_EEDaS1P_S1Q_EUlS1P_E_NS1_11comp_targetILNS1_3genE10ELNS1_11target_archE1200ELNS1_3gpuE4ELNS1_3repE0EEENS1_30default_config_static_selectorELNS0_4arch9wavefront6targetE0EEEvS12_
		.amdhsa_group_segment_fixed_size 0
		.amdhsa_private_segment_fixed_size 0
		.amdhsa_kernarg_size 176
		.amdhsa_user_sgpr_count 15
		.amdhsa_user_sgpr_dispatch_ptr 0
		.amdhsa_user_sgpr_queue_ptr 0
		.amdhsa_user_sgpr_kernarg_segment_ptr 1
		.amdhsa_user_sgpr_dispatch_id 0
		.amdhsa_user_sgpr_private_segment_size 0
		.amdhsa_wavefront_size32 1
		.amdhsa_uses_dynamic_stack 0
		.amdhsa_enable_private_segment 0
		.amdhsa_system_sgpr_workgroup_id_x 1
		.amdhsa_system_sgpr_workgroup_id_y 0
		.amdhsa_system_sgpr_workgroup_id_z 0
		.amdhsa_system_sgpr_workgroup_info 0
		.amdhsa_system_vgpr_workitem_id 0
		.amdhsa_next_free_vgpr 1
		.amdhsa_next_free_sgpr 1
		.amdhsa_reserve_vcc 0
		.amdhsa_float_round_mode_32 0
		.amdhsa_float_round_mode_16_64 0
		.amdhsa_float_denorm_mode_32 3
		.amdhsa_float_denorm_mode_16_64 3
		.amdhsa_dx10_clamp 1
		.amdhsa_ieee_mode 1
		.amdhsa_fp16_overflow 0
		.amdhsa_workgroup_processor_mode 1
		.amdhsa_memory_ordered 1
		.amdhsa_forward_progress 0
		.amdhsa_shared_vgpr_count 0
		.amdhsa_exception_fp_ieee_invalid_op 0
		.amdhsa_exception_fp_denorm_src 0
		.amdhsa_exception_fp_ieee_div_zero 0
		.amdhsa_exception_fp_ieee_overflow 0
		.amdhsa_exception_fp_ieee_underflow 0
		.amdhsa_exception_fp_ieee_inexact 0
		.amdhsa_exception_int_div_zero 0
	.end_amdhsa_kernel
	.section	.text._ZN7rocprim17ROCPRIM_400000_NS6detail17trampoline_kernelINS0_13select_configILj256ELj13ELNS0_17block_load_methodE3ELS4_3ELS4_3ELNS0_20block_scan_algorithmE0ELj4294967295EEENS1_25partition_config_selectorILNS1_17partition_subalgoE4EjNS0_10empty_typeEbEEZZNS1_14partition_implILS8_4ELb0ES6_15HIP_vector_typeIjLj2EENS0_17counting_iteratorIjlEEPS9_SG_NS0_5tupleIJPjSI_NS0_16reverse_iteratorISI_EEEEENSH_IJSG_SG_SG_EEES9_SI_JZNS1_25segmented_radix_sort_implINS0_14default_configELb1EPKaPaPKlPlN2at6native12_GLOBAL__N_18offset_tEEE10hipError_tPvRmT1_PNSt15iterator_traitsIS12_E10value_typeET2_T3_PNS13_IS18_E10value_typeET4_jRbjT5_S1E_jjP12ihipStream_tbEUljE_ZNSN_ISO_Lb1ESQ_SR_ST_SU_SY_EESZ_S10_S11_S12_S16_S17_S18_S1B_S1C_jS1D_jS1E_S1E_jjS1G_bEUljE0_EEESZ_S10_S11_S18_S1C_S1E_T6_T7_T9_mT8_S1G_bDpT10_ENKUlT_T0_E_clISt17integral_constantIbLb0EES1U_EEDaS1P_S1Q_EUlS1P_E_NS1_11comp_targetILNS1_3genE10ELNS1_11target_archE1200ELNS1_3gpuE4ELNS1_3repE0EEENS1_30default_config_static_selectorELNS0_4arch9wavefront6targetE0EEEvS12_,"axG",@progbits,_ZN7rocprim17ROCPRIM_400000_NS6detail17trampoline_kernelINS0_13select_configILj256ELj13ELNS0_17block_load_methodE3ELS4_3ELS4_3ELNS0_20block_scan_algorithmE0ELj4294967295EEENS1_25partition_config_selectorILNS1_17partition_subalgoE4EjNS0_10empty_typeEbEEZZNS1_14partition_implILS8_4ELb0ES6_15HIP_vector_typeIjLj2EENS0_17counting_iteratorIjlEEPS9_SG_NS0_5tupleIJPjSI_NS0_16reverse_iteratorISI_EEEEENSH_IJSG_SG_SG_EEES9_SI_JZNS1_25segmented_radix_sort_implINS0_14default_configELb1EPKaPaPKlPlN2at6native12_GLOBAL__N_18offset_tEEE10hipError_tPvRmT1_PNSt15iterator_traitsIS12_E10value_typeET2_T3_PNS13_IS18_E10value_typeET4_jRbjT5_S1E_jjP12ihipStream_tbEUljE_ZNSN_ISO_Lb1ESQ_SR_ST_SU_SY_EESZ_S10_S11_S12_S16_S17_S18_S1B_S1C_jS1D_jS1E_S1E_jjS1G_bEUljE0_EEESZ_S10_S11_S18_S1C_S1E_T6_T7_T9_mT8_S1G_bDpT10_ENKUlT_T0_E_clISt17integral_constantIbLb0EES1U_EEDaS1P_S1Q_EUlS1P_E_NS1_11comp_targetILNS1_3genE10ELNS1_11target_archE1200ELNS1_3gpuE4ELNS1_3repE0EEENS1_30default_config_static_selectorELNS0_4arch9wavefront6targetE0EEEvS12_,comdat
.Lfunc_end231:
	.size	_ZN7rocprim17ROCPRIM_400000_NS6detail17trampoline_kernelINS0_13select_configILj256ELj13ELNS0_17block_load_methodE3ELS4_3ELS4_3ELNS0_20block_scan_algorithmE0ELj4294967295EEENS1_25partition_config_selectorILNS1_17partition_subalgoE4EjNS0_10empty_typeEbEEZZNS1_14partition_implILS8_4ELb0ES6_15HIP_vector_typeIjLj2EENS0_17counting_iteratorIjlEEPS9_SG_NS0_5tupleIJPjSI_NS0_16reverse_iteratorISI_EEEEENSH_IJSG_SG_SG_EEES9_SI_JZNS1_25segmented_radix_sort_implINS0_14default_configELb1EPKaPaPKlPlN2at6native12_GLOBAL__N_18offset_tEEE10hipError_tPvRmT1_PNSt15iterator_traitsIS12_E10value_typeET2_T3_PNS13_IS18_E10value_typeET4_jRbjT5_S1E_jjP12ihipStream_tbEUljE_ZNSN_ISO_Lb1ESQ_SR_ST_SU_SY_EESZ_S10_S11_S12_S16_S17_S18_S1B_S1C_jS1D_jS1E_S1E_jjS1G_bEUljE0_EEESZ_S10_S11_S18_S1C_S1E_T6_T7_T9_mT8_S1G_bDpT10_ENKUlT_T0_E_clISt17integral_constantIbLb0EES1U_EEDaS1P_S1Q_EUlS1P_E_NS1_11comp_targetILNS1_3genE10ELNS1_11target_archE1200ELNS1_3gpuE4ELNS1_3repE0EEENS1_30default_config_static_selectorELNS0_4arch9wavefront6targetE0EEEvS12_, .Lfunc_end231-_ZN7rocprim17ROCPRIM_400000_NS6detail17trampoline_kernelINS0_13select_configILj256ELj13ELNS0_17block_load_methodE3ELS4_3ELS4_3ELNS0_20block_scan_algorithmE0ELj4294967295EEENS1_25partition_config_selectorILNS1_17partition_subalgoE4EjNS0_10empty_typeEbEEZZNS1_14partition_implILS8_4ELb0ES6_15HIP_vector_typeIjLj2EENS0_17counting_iteratorIjlEEPS9_SG_NS0_5tupleIJPjSI_NS0_16reverse_iteratorISI_EEEEENSH_IJSG_SG_SG_EEES9_SI_JZNS1_25segmented_radix_sort_implINS0_14default_configELb1EPKaPaPKlPlN2at6native12_GLOBAL__N_18offset_tEEE10hipError_tPvRmT1_PNSt15iterator_traitsIS12_E10value_typeET2_T3_PNS13_IS18_E10value_typeET4_jRbjT5_S1E_jjP12ihipStream_tbEUljE_ZNSN_ISO_Lb1ESQ_SR_ST_SU_SY_EESZ_S10_S11_S12_S16_S17_S18_S1B_S1C_jS1D_jS1E_S1E_jjS1G_bEUljE0_EEESZ_S10_S11_S18_S1C_S1E_T6_T7_T9_mT8_S1G_bDpT10_ENKUlT_T0_E_clISt17integral_constantIbLb0EES1U_EEDaS1P_S1Q_EUlS1P_E_NS1_11comp_targetILNS1_3genE10ELNS1_11target_archE1200ELNS1_3gpuE4ELNS1_3repE0EEENS1_30default_config_static_selectorELNS0_4arch9wavefront6targetE0EEEvS12_
                                        ; -- End function
	.section	.AMDGPU.csdata,"",@progbits
; Kernel info:
; codeLenInByte = 0
; NumSgprs: 0
; NumVgprs: 0
; ScratchSize: 0
; MemoryBound: 0
; FloatMode: 240
; IeeeMode: 1
; LDSByteSize: 0 bytes/workgroup (compile time only)
; SGPRBlocks: 0
; VGPRBlocks: 0
; NumSGPRsForWavesPerEU: 1
; NumVGPRsForWavesPerEU: 1
; Occupancy: 16
; WaveLimiterHint : 0
; COMPUTE_PGM_RSRC2:SCRATCH_EN: 0
; COMPUTE_PGM_RSRC2:USER_SGPR: 15
; COMPUTE_PGM_RSRC2:TRAP_HANDLER: 0
; COMPUTE_PGM_RSRC2:TGID_X_EN: 1
; COMPUTE_PGM_RSRC2:TGID_Y_EN: 0
; COMPUTE_PGM_RSRC2:TGID_Z_EN: 0
; COMPUTE_PGM_RSRC2:TIDIG_COMP_CNT: 0
	.section	.text._ZN7rocprim17ROCPRIM_400000_NS6detail17trampoline_kernelINS0_13select_configILj256ELj13ELNS0_17block_load_methodE3ELS4_3ELS4_3ELNS0_20block_scan_algorithmE0ELj4294967295EEENS1_25partition_config_selectorILNS1_17partition_subalgoE4EjNS0_10empty_typeEbEEZZNS1_14partition_implILS8_4ELb0ES6_15HIP_vector_typeIjLj2EENS0_17counting_iteratorIjlEEPS9_SG_NS0_5tupleIJPjSI_NS0_16reverse_iteratorISI_EEEEENSH_IJSG_SG_SG_EEES9_SI_JZNS1_25segmented_radix_sort_implINS0_14default_configELb1EPKaPaPKlPlN2at6native12_GLOBAL__N_18offset_tEEE10hipError_tPvRmT1_PNSt15iterator_traitsIS12_E10value_typeET2_T3_PNS13_IS18_E10value_typeET4_jRbjT5_S1E_jjP12ihipStream_tbEUljE_ZNSN_ISO_Lb1ESQ_SR_ST_SU_SY_EESZ_S10_S11_S12_S16_S17_S18_S1B_S1C_jS1D_jS1E_S1E_jjS1G_bEUljE0_EEESZ_S10_S11_S18_S1C_S1E_T6_T7_T9_mT8_S1G_bDpT10_ENKUlT_T0_E_clISt17integral_constantIbLb0EES1U_EEDaS1P_S1Q_EUlS1P_E_NS1_11comp_targetILNS1_3genE9ELNS1_11target_archE1100ELNS1_3gpuE3ELNS1_3repE0EEENS1_30default_config_static_selectorELNS0_4arch9wavefront6targetE0EEEvS12_,"axG",@progbits,_ZN7rocprim17ROCPRIM_400000_NS6detail17trampoline_kernelINS0_13select_configILj256ELj13ELNS0_17block_load_methodE3ELS4_3ELS4_3ELNS0_20block_scan_algorithmE0ELj4294967295EEENS1_25partition_config_selectorILNS1_17partition_subalgoE4EjNS0_10empty_typeEbEEZZNS1_14partition_implILS8_4ELb0ES6_15HIP_vector_typeIjLj2EENS0_17counting_iteratorIjlEEPS9_SG_NS0_5tupleIJPjSI_NS0_16reverse_iteratorISI_EEEEENSH_IJSG_SG_SG_EEES9_SI_JZNS1_25segmented_radix_sort_implINS0_14default_configELb1EPKaPaPKlPlN2at6native12_GLOBAL__N_18offset_tEEE10hipError_tPvRmT1_PNSt15iterator_traitsIS12_E10value_typeET2_T3_PNS13_IS18_E10value_typeET4_jRbjT5_S1E_jjP12ihipStream_tbEUljE_ZNSN_ISO_Lb1ESQ_SR_ST_SU_SY_EESZ_S10_S11_S12_S16_S17_S18_S1B_S1C_jS1D_jS1E_S1E_jjS1G_bEUljE0_EEESZ_S10_S11_S18_S1C_S1E_T6_T7_T9_mT8_S1G_bDpT10_ENKUlT_T0_E_clISt17integral_constantIbLb0EES1U_EEDaS1P_S1Q_EUlS1P_E_NS1_11comp_targetILNS1_3genE9ELNS1_11target_archE1100ELNS1_3gpuE3ELNS1_3repE0EEENS1_30default_config_static_selectorELNS0_4arch9wavefront6targetE0EEEvS12_,comdat
	.globl	_ZN7rocprim17ROCPRIM_400000_NS6detail17trampoline_kernelINS0_13select_configILj256ELj13ELNS0_17block_load_methodE3ELS4_3ELS4_3ELNS0_20block_scan_algorithmE0ELj4294967295EEENS1_25partition_config_selectorILNS1_17partition_subalgoE4EjNS0_10empty_typeEbEEZZNS1_14partition_implILS8_4ELb0ES6_15HIP_vector_typeIjLj2EENS0_17counting_iteratorIjlEEPS9_SG_NS0_5tupleIJPjSI_NS0_16reverse_iteratorISI_EEEEENSH_IJSG_SG_SG_EEES9_SI_JZNS1_25segmented_radix_sort_implINS0_14default_configELb1EPKaPaPKlPlN2at6native12_GLOBAL__N_18offset_tEEE10hipError_tPvRmT1_PNSt15iterator_traitsIS12_E10value_typeET2_T3_PNS13_IS18_E10value_typeET4_jRbjT5_S1E_jjP12ihipStream_tbEUljE_ZNSN_ISO_Lb1ESQ_SR_ST_SU_SY_EESZ_S10_S11_S12_S16_S17_S18_S1B_S1C_jS1D_jS1E_S1E_jjS1G_bEUljE0_EEESZ_S10_S11_S18_S1C_S1E_T6_T7_T9_mT8_S1G_bDpT10_ENKUlT_T0_E_clISt17integral_constantIbLb0EES1U_EEDaS1P_S1Q_EUlS1P_E_NS1_11comp_targetILNS1_3genE9ELNS1_11target_archE1100ELNS1_3gpuE3ELNS1_3repE0EEENS1_30default_config_static_selectorELNS0_4arch9wavefront6targetE0EEEvS12_ ; -- Begin function _ZN7rocprim17ROCPRIM_400000_NS6detail17trampoline_kernelINS0_13select_configILj256ELj13ELNS0_17block_load_methodE3ELS4_3ELS4_3ELNS0_20block_scan_algorithmE0ELj4294967295EEENS1_25partition_config_selectorILNS1_17partition_subalgoE4EjNS0_10empty_typeEbEEZZNS1_14partition_implILS8_4ELb0ES6_15HIP_vector_typeIjLj2EENS0_17counting_iteratorIjlEEPS9_SG_NS0_5tupleIJPjSI_NS0_16reverse_iteratorISI_EEEEENSH_IJSG_SG_SG_EEES9_SI_JZNS1_25segmented_radix_sort_implINS0_14default_configELb1EPKaPaPKlPlN2at6native12_GLOBAL__N_18offset_tEEE10hipError_tPvRmT1_PNSt15iterator_traitsIS12_E10value_typeET2_T3_PNS13_IS18_E10value_typeET4_jRbjT5_S1E_jjP12ihipStream_tbEUljE_ZNSN_ISO_Lb1ESQ_SR_ST_SU_SY_EESZ_S10_S11_S12_S16_S17_S18_S1B_S1C_jS1D_jS1E_S1E_jjS1G_bEUljE0_EEESZ_S10_S11_S18_S1C_S1E_T6_T7_T9_mT8_S1G_bDpT10_ENKUlT_T0_E_clISt17integral_constantIbLb0EES1U_EEDaS1P_S1Q_EUlS1P_E_NS1_11comp_targetILNS1_3genE9ELNS1_11target_archE1100ELNS1_3gpuE3ELNS1_3repE0EEENS1_30default_config_static_selectorELNS0_4arch9wavefront6targetE0EEEvS12_
	.p2align	8
	.type	_ZN7rocprim17ROCPRIM_400000_NS6detail17trampoline_kernelINS0_13select_configILj256ELj13ELNS0_17block_load_methodE3ELS4_3ELS4_3ELNS0_20block_scan_algorithmE0ELj4294967295EEENS1_25partition_config_selectorILNS1_17partition_subalgoE4EjNS0_10empty_typeEbEEZZNS1_14partition_implILS8_4ELb0ES6_15HIP_vector_typeIjLj2EENS0_17counting_iteratorIjlEEPS9_SG_NS0_5tupleIJPjSI_NS0_16reverse_iteratorISI_EEEEENSH_IJSG_SG_SG_EEES9_SI_JZNS1_25segmented_radix_sort_implINS0_14default_configELb1EPKaPaPKlPlN2at6native12_GLOBAL__N_18offset_tEEE10hipError_tPvRmT1_PNSt15iterator_traitsIS12_E10value_typeET2_T3_PNS13_IS18_E10value_typeET4_jRbjT5_S1E_jjP12ihipStream_tbEUljE_ZNSN_ISO_Lb1ESQ_SR_ST_SU_SY_EESZ_S10_S11_S12_S16_S17_S18_S1B_S1C_jS1D_jS1E_S1E_jjS1G_bEUljE0_EEESZ_S10_S11_S18_S1C_S1E_T6_T7_T9_mT8_S1G_bDpT10_ENKUlT_T0_E_clISt17integral_constantIbLb0EES1U_EEDaS1P_S1Q_EUlS1P_E_NS1_11comp_targetILNS1_3genE9ELNS1_11target_archE1100ELNS1_3gpuE3ELNS1_3repE0EEENS1_30default_config_static_selectorELNS0_4arch9wavefront6targetE0EEEvS12_,@function
_ZN7rocprim17ROCPRIM_400000_NS6detail17trampoline_kernelINS0_13select_configILj256ELj13ELNS0_17block_load_methodE3ELS4_3ELS4_3ELNS0_20block_scan_algorithmE0ELj4294967295EEENS1_25partition_config_selectorILNS1_17partition_subalgoE4EjNS0_10empty_typeEbEEZZNS1_14partition_implILS8_4ELb0ES6_15HIP_vector_typeIjLj2EENS0_17counting_iteratorIjlEEPS9_SG_NS0_5tupleIJPjSI_NS0_16reverse_iteratorISI_EEEEENSH_IJSG_SG_SG_EEES9_SI_JZNS1_25segmented_radix_sort_implINS0_14default_configELb1EPKaPaPKlPlN2at6native12_GLOBAL__N_18offset_tEEE10hipError_tPvRmT1_PNSt15iterator_traitsIS12_E10value_typeET2_T3_PNS13_IS18_E10value_typeET4_jRbjT5_S1E_jjP12ihipStream_tbEUljE_ZNSN_ISO_Lb1ESQ_SR_ST_SU_SY_EESZ_S10_S11_S12_S16_S17_S18_S1B_S1C_jS1D_jS1E_S1E_jjS1G_bEUljE0_EEESZ_S10_S11_S18_S1C_S1E_T6_T7_T9_mT8_S1G_bDpT10_ENKUlT_T0_E_clISt17integral_constantIbLb0EES1U_EEDaS1P_S1Q_EUlS1P_E_NS1_11comp_targetILNS1_3genE9ELNS1_11target_archE1100ELNS1_3gpuE3ELNS1_3repE0EEENS1_30default_config_static_selectorELNS0_4arch9wavefront6targetE0EEEvS12_: ; @_ZN7rocprim17ROCPRIM_400000_NS6detail17trampoline_kernelINS0_13select_configILj256ELj13ELNS0_17block_load_methodE3ELS4_3ELS4_3ELNS0_20block_scan_algorithmE0ELj4294967295EEENS1_25partition_config_selectorILNS1_17partition_subalgoE4EjNS0_10empty_typeEbEEZZNS1_14partition_implILS8_4ELb0ES6_15HIP_vector_typeIjLj2EENS0_17counting_iteratorIjlEEPS9_SG_NS0_5tupleIJPjSI_NS0_16reverse_iteratorISI_EEEEENSH_IJSG_SG_SG_EEES9_SI_JZNS1_25segmented_radix_sort_implINS0_14default_configELb1EPKaPaPKlPlN2at6native12_GLOBAL__N_18offset_tEEE10hipError_tPvRmT1_PNSt15iterator_traitsIS12_E10value_typeET2_T3_PNS13_IS18_E10value_typeET4_jRbjT5_S1E_jjP12ihipStream_tbEUljE_ZNSN_ISO_Lb1ESQ_SR_ST_SU_SY_EESZ_S10_S11_S12_S16_S17_S18_S1B_S1C_jS1D_jS1E_S1E_jjS1G_bEUljE0_EEESZ_S10_S11_S18_S1C_S1E_T6_T7_T9_mT8_S1G_bDpT10_ENKUlT_T0_E_clISt17integral_constantIbLb0EES1U_EEDaS1P_S1Q_EUlS1P_E_NS1_11comp_targetILNS1_3genE9ELNS1_11target_archE1100ELNS1_3gpuE3ELNS1_3repE0EEENS1_30default_config_static_selectorELNS0_4arch9wavefront6targetE0EEEvS12_
; %bb.0:
	s_clause 0x6
	s_load_b32 s5, s[0:1], 0x80
	s_load_b64 s[34:35], s[0:1], 0x10
	s_load_b64 s[2:3], s[0:1], 0x68
	s_load_b32 s8, s[0:1], 0x8
	s_load_b128 s[24:27], s[0:1], 0x58
	s_load_b64 s[40:41], s[0:1], 0xa8
	s_load_b256 s[16:23], s[0:1], 0x88
	s_mul_i32 s33, s15, 0xd00
	s_waitcnt lgkmcnt(0)
	s_mul_i32 s4, s5, 0xd00
	s_add_i32 s5, s5, -1
	s_add_u32 s6, s34, s4
	s_addc_u32 s7, s35, 0
	s_load_b128 s[28:31], s[26:27], 0x0
	s_cmp_eq_u32 s15, s5
	v_cmp_lt_u64_e64 s3, s[6:7], s[2:3]
	s_cselect_b32 s14, -1, 0
	s_cmp_lg_u32 s15, s5
	s_cselect_b32 s5, -1, 0
	s_add_i32 s6, s8, s33
	s_delay_alu instid0(VALU_DEP_1) | instskip(SKIP_4) | instid1(VALU_DEP_1)
	s_or_b32 s3, s5, s3
	s_add_i32 s6, s6, s34
	s_and_b32 vcc_lo, exec_lo, s3
	v_add_nc_u32_e32 v1, s6, v0
	s_mov_b32 s5, -1
	v_add_nc_u32_e32 v2, 0x100, v1
	v_add_nc_u32_e32 v3, 0x200, v1
	;; [unrolled: 1-line block ×12, first 2 shown]
	s_cbranch_vccz .LBB232_2
; %bb.1:
	v_lshlrev_b32_e32 v14, 2, v0
	s_mov_b32 s5, 0
	ds_store_2addr_stride64_b32 v14, v1, v2 offset1:4
	ds_store_2addr_stride64_b32 v14, v3, v4 offset0:8 offset1:12
	ds_store_2addr_stride64_b32 v14, v5, v6 offset0:16 offset1:20
	;; [unrolled: 1-line block ×5, first 2 shown]
	ds_store_b32 v14, v13 offset:12288
	s_waitcnt lgkmcnt(0)
	s_barrier
.LBB232_2:
	s_and_not1_b32 vcc_lo, exec_lo, s5
	s_add_i32 s4, s4, s34
	s_cbranch_vccnz .LBB232_4
; %bb.3:
	v_lshlrev_b32_e32 v14, 2, v0
	ds_store_2addr_stride64_b32 v14, v1, v2 offset1:4
	ds_store_2addr_stride64_b32 v14, v3, v4 offset0:8 offset1:12
	ds_store_2addr_stride64_b32 v14, v5, v6 offset0:16 offset1:20
	;; [unrolled: 1-line block ×5, first 2 shown]
	ds_store_b32 v14, v13 offset:12288
	s_waitcnt lgkmcnt(0)
	s_barrier
.LBB232_4:
	v_mul_u32_u24_e32 v28, 13, v0
	s_clause 0x1
	s_load_b128 s[36:39], s[0:1], 0x28
	s_load_b64 s[26:27], s[0:1], 0x38
	s_waitcnt lgkmcnt(0)
	buffer_gl0_inv
	v_cndmask_b32_e64 v26, 0, 1, s3
	s_sub_i32 s44, s2, s4
	v_lshlrev_b32_e32 v1, 2, v28
	s_and_not1_b32 vcc_lo, exec_lo, s3
	ds_load_2addr_b32 v[16:17], v1 offset1:1
	ds_load_2addr_b32 v[14:15], v1 offset0:2 offset1:3
	ds_load_2addr_b32 v[12:13], v1 offset0:4 offset1:5
	;; [unrolled: 1-line block ×5, first 2 shown]
	ds_load_b32 v27, v1 offset:48
	s_waitcnt lgkmcnt(0)
	s_barrier
	buffer_gl0_inv
	s_cbranch_vccnz .LBB232_32
; %bb.5:
	v_add_nc_u32_e32 v1, s17, v16
	v_add_nc_u32_e32 v2, s19, v16
	s_mov_b32 s46, 0
	s_mov_b32 s45, 0
	s_mov_b32 s3, exec_lo
	v_mul_lo_u32 v1, v1, s16
	v_mul_lo_u32 v2, v2, s18
	s_delay_alu instid0(VALU_DEP_1) | instskip(NEXT) | instid1(VALU_DEP_1)
	v_sub_nc_u32_e32 v1, v1, v2
	v_cmp_lt_u32_e32 vcc_lo, s20, v1
	v_cmpx_ge_u32_e64 s20, v1
; %bb.6:
	v_add_nc_u32_e32 v1, s22, v16
	v_add_nc_u32_e32 v2, s40, v16
	s_delay_alu instid0(VALU_DEP_2) | instskip(NEXT) | instid1(VALU_DEP_2)
	v_mul_lo_u32 v1, v1, s21
	v_mul_lo_u32 v2, v2, s23
	s_delay_alu instid0(VALU_DEP_1) | instskip(NEXT) | instid1(VALU_DEP_1)
	v_sub_nc_u32_e32 v1, v1, v2
	v_cmp_lt_u32_e64 s2, s41, v1
	s_delay_alu instid0(VALU_DEP_1)
	s_and_b32 s45, s2, exec_lo
; %bb.7:
	s_or_b32 exec_lo, exec_lo, s3
	v_add_nc_u32_e32 v1, s17, v17
	v_add_nc_u32_e32 v2, s19, v17
	s_mov_b32 s4, exec_lo
	s_delay_alu instid0(VALU_DEP_2) | instskip(NEXT) | instid1(VALU_DEP_2)
	v_mul_lo_u32 v1, v1, s16
	v_mul_lo_u32 v2, v2, s18
	s_delay_alu instid0(VALU_DEP_1) | instskip(NEXT) | instid1(VALU_DEP_1)
	v_sub_nc_u32_e32 v1, v1, v2
	v_cmp_lt_u32_e64 s2, s20, v1
	v_cmpx_ge_u32_e64 s20, v1
; %bb.8:
	v_add_nc_u32_e32 v1, s22, v17
	v_add_nc_u32_e32 v2, s40, v17
	s_delay_alu instid0(VALU_DEP_2) | instskip(NEXT) | instid1(VALU_DEP_2)
	v_mul_lo_u32 v1, v1, s21
	v_mul_lo_u32 v2, v2, s23
	s_delay_alu instid0(VALU_DEP_1) | instskip(NEXT) | instid1(VALU_DEP_1)
	v_sub_nc_u32_e32 v1, v1, v2
	v_cmp_lt_u32_e64 s3, s41, v1
	s_delay_alu instid0(VALU_DEP_1)
	s_and_b32 s46, s3, exec_lo
; %bb.9:
	s_or_b32 exec_lo, exec_lo, s4
	v_add_nc_u32_e32 v1, s17, v14
	v_add_nc_u32_e32 v2, s19, v14
	s_mov_b32 s48, 0
	s_mov_b32 s47, 0
	s_mov_b32 s5, exec_lo
	v_mul_lo_u32 v1, v1, s16
	v_mul_lo_u32 v2, v2, s18
	s_delay_alu instid0(VALU_DEP_1) | instskip(NEXT) | instid1(VALU_DEP_1)
	v_sub_nc_u32_e32 v1, v1, v2
	v_cmp_lt_u32_e64 s3, s20, v1
	v_cmpx_ge_u32_e64 s20, v1
; %bb.10:
	v_add_nc_u32_e32 v1, s22, v14
	v_add_nc_u32_e32 v2, s40, v14
	s_delay_alu instid0(VALU_DEP_2) | instskip(NEXT) | instid1(VALU_DEP_2)
	v_mul_lo_u32 v1, v1, s21
	v_mul_lo_u32 v2, v2, s23
	s_delay_alu instid0(VALU_DEP_1) | instskip(NEXT) | instid1(VALU_DEP_1)
	v_sub_nc_u32_e32 v1, v1, v2
	v_cmp_lt_u32_e64 s4, s41, v1
	s_delay_alu instid0(VALU_DEP_1)
	s_and_b32 s47, s4, exec_lo
; %bb.11:
	s_or_b32 exec_lo, exec_lo, s5
	v_add_nc_u32_e32 v1, s17, v15
	v_add_nc_u32_e32 v2, s19, v15
	s_mov_b32 s6, exec_lo
	s_delay_alu instid0(VALU_DEP_2) | instskip(NEXT) | instid1(VALU_DEP_2)
	v_mul_lo_u32 v1, v1, s16
	v_mul_lo_u32 v2, v2, s18
	s_delay_alu instid0(VALU_DEP_1) | instskip(NEXT) | instid1(VALU_DEP_1)
	v_sub_nc_u32_e32 v1, v1, v2
	v_cmp_lt_u32_e64 s4, s20, v1
	v_cmpx_ge_u32_e64 s20, v1
; %bb.12:
	v_add_nc_u32_e32 v1, s22, v15
	v_add_nc_u32_e32 v2, s40, v15
	s_delay_alu instid0(VALU_DEP_2) | instskip(NEXT) | instid1(VALU_DEP_2)
	v_mul_lo_u32 v1, v1, s21
	v_mul_lo_u32 v2, v2, s23
	s_delay_alu instid0(VALU_DEP_1) | instskip(NEXT) | instid1(VALU_DEP_1)
	v_sub_nc_u32_e32 v1, v1, v2
	v_cmp_lt_u32_e64 s5, s41, v1
	s_delay_alu instid0(VALU_DEP_1)
	s_and_b32 s48, s5, exec_lo
; %bb.13:
	s_or_b32 exec_lo, exec_lo, s6
	v_add_nc_u32_e32 v1, s17, v12
	v_add_nc_u32_e32 v2, s19, v12
	s_mov_b32 s50, 0
	s_mov_b32 s49, 0
	s_mov_b32 s7, exec_lo
	v_mul_lo_u32 v1, v1, s16
	v_mul_lo_u32 v2, v2, s18
	s_delay_alu instid0(VALU_DEP_1) | instskip(NEXT) | instid1(VALU_DEP_1)
	v_sub_nc_u32_e32 v1, v1, v2
	v_cmp_lt_u32_e64 s5, s20, v1
	v_cmpx_ge_u32_e64 s20, v1
; %bb.14:
	v_add_nc_u32_e32 v1, s22, v12
	v_add_nc_u32_e32 v2, s40, v12
	s_delay_alu instid0(VALU_DEP_2) | instskip(NEXT) | instid1(VALU_DEP_2)
	v_mul_lo_u32 v1, v1, s21
	v_mul_lo_u32 v2, v2, s23
	s_delay_alu instid0(VALU_DEP_1) | instskip(NEXT) | instid1(VALU_DEP_1)
	v_sub_nc_u32_e32 v1, v1, v2
	v_cmp_lt_u32_e64 s6, s41, v1
	s_delay_alu instid0(VALU_DEP_1)
	s_and_b32 s49, s6, exec_lo
; %bb.15:
	s_or_b32 exec_lo, exec_lo, s7
	v_add_nc_u32_e32 v1, s17, v13
	v_add_nc_u32_e32 v2, s19, v13
	s_mov_b32 s8, exec_lo
	s_delay_alu instid0(VALU_DEP_2) | instskip(NEXT) | instid1(VALU_DEP_2)
	v_mul_lo_u32 v1, v1, s16
	v_mul_lo_u32 v2, v2, s18
	s_delay_alu instid0(VALU_DEP_1) | instskip(NEXT) | instid1(VALU_DEP_1)
	v_sub_nc_u32_e32 v1, v1, v2
	v_cmp_lt_u32_e64 s6, s20, v1
	v_cmpx_ge_u32_e64 s20, v1
; %bb.16:
	v_add_nc_u32_e32 v1, s22, v13
	v_add_nc_u32_e32 v2, s40, v13
	s_delay_alu instid0(VALU_DEP_2) | instskip(NEXT) | instid1(VALU_DEP_2)
	v_mul_lo_u32 v1, v1, s21
	v_mul_lo_u32 v2, v2, s23
	s_delay_alu instid0(VALU_DEP_1) | instskip(NEXT) | instid1(VALU_DEP_1)
	v_sub_nc_u32_e32 v1, v1, v2
	v_cmp_lt_u32_e64 s7, s41, v1
	s_delay_alu instid0(VALU_DEP_1)
	s_and_b32 s50, s7, exec_lo
; %bb.17:
	s_or_b32 exec_lo, exec_lo, s8
	v_add_nc_u32_e32 v1, s17, v10
	v_add_nc_u32_e32 v2, s19, v10
	s_mov_b32 s52, 0
	s_mov_b32 s51, 0
	s_mov_b32 s9, exec_lo
	v_mul_lo_u32 v1, v1, s16
	v_mul_lo_u32 v2, v2, s18
	s_delay_alu instid0(VALU_DEP_1) | instskip(NEXT) | instid1(VALU_DEP_1)
	v_sub_nc_u32_e32 v1, v1, v2
	v_cmp_lt_u32_e64 s7, s20, v1
	v_cmpx_ge_u32_e64 s20, v1
; %bb.18:
	v_add_nc_u32_e32 v1, s22, v10
	v_add_nc_u32_e32 v2, s40, v10
	s_delay_alu instid0(VALU_DEP_2) | instskip(NEXT) | instid1(VALU_DEP_2)
	v_mul_lo_u32 v1, v1, s21
	v_mul_lo_u32 v2, v2, s23
	s_delay_alu instid0(VALU_DEP_1) | instskip(NEXT) | instid1(VALU_DEP_1)
	v_sub_nc_u32_e32 v1, v1, v2
	v_cmp_lt_u32_e64 s8, s41, v1
	s_delay_alu instid0(VALU_DEP_1)
	s_and_b32 s51, s8, exec_lo
; %bb.19:
	s_or_b32 exec_lo, exec_lo, s9
	v_add_nc_u32_e32 v1, s17, v11
	v_add_nc_u32_e32 v2, s19, v11
	s_mov_b32 s10, exec_lo
	s_delay_alu instid0(VALU_DEP_2) | instskip(NEXT) | instid1(VALU_DEP_2)
	v_mul_lo_u32 v1, v1, s16
	v_mul_lo_u32 v2, v2, s18
	s_delay_alu instid0(VALU_DEP_1) | instskip(NEXT) | instid1(VALU_DEP_1)
	v_sub_nc_u32_e32 v1, v1, v2
	v_cmp_lt_u32_e64 s8, s20, v1
	v_cmpx_ge_u32_e64 s20, v1
; %bb.20:
	v_add_nc_u32_e32 v1, s22, v11
	v_add_nc_u32_e32 v2, s40, v11
	s_delay_alu instid0(VALU_DEP_2) | instskip(NEXT) | instid1(VALU_DEP_2)
	v_mul_lo_u32 v1, v1, s21
	v_mul_lo_u32 v2, v2, s23
	s_delay_alu instid0(VALU_DEP_1) | instskip(NEXT) | instid1(VALU_DEP_1)
	v_sub_nc_u32_e32 v1, v1, v2
	v_cmp_lt_u32_e64 s9, s41, v1
	s_delay_alu instid0(VALU_DEP_1)
	s_and_b32 s52, s9, exec_lo
; %bb.21:
	s_or_b32 exec_lo, exec_lo, s10
	v_add_nc_u32_e32 v1, s17, v8
	v_add_nc_u32_e32 v2, s19, v8
	s_mov_b32 s55, 0
	s_mov_b32 s54, 0
	s_mov_b32 s11, exec_lo
	v_mul_lo_u32 v1, v1, s16
	v_mul_lo_u32 v2, v2, s18
	s_delay_alu instid0(VALU_DEP_1) | instskip(NEXT) | instid1(VALU_DEP_1)
	v_sub_nc_u32_e32 v1, v1, v2
	v_cmp_lt_u32_e64 s9, s20, v1
	v_cmpx_ge_u32_e64 s20, v1
; %bb.22:
	v_add_nc_u32_e32 v1, s22, v8
	v_add_nc_u32_e32 v2, s40, v8
	s_delay_alu instid0(VALU_DEP_2) | instskip(NEXT) | instid1(VALU_DEP_2)
	v_mul_lo_u32 v1, v1, s21
	v_mul_lo_u32 v2, v2, s23
	s_delay_alu instid0(VALU_DEP_1) | instskip(NEXT) | instid1(VALU_DEP_1)
	v_sub_nc_u32_e32 v1, v1, v2
	v_cmp_lt_u32_e64 s10, s41, v1
	s_delay_alu instid0(VALU_DEP_1)
	s_and_b32 s54, s10, exec_lo
; %bb.23:
	s_or_b32 exec_lo, exec_lo, s11
	v_add_nc_u32_e32 v1, s17, v9
	v_add_nc_u32_e32 v2, s19, v9
	s_mov_b32 s12, exec_lo
	s_delay_alu instid0(VALU_DEP_2) | instskip(NEXT) | instid1(VALU_DEP_2)
	v_mul_lo_u32 v1, v1, s16
	v_mul_lo_u32 v2, v2, s18
	s_delay_alu instid0(VALU_DEP_1) | instskip(NEXT) | instid1(VALU_DEP_1)
	v_sub_nc_u32_e32 v1, v1, v2
	v_cmp_lt_u32_e64 s10, s20, v1
	v_cmpx_ge_u32_e64 s20, v1
; %bb.24:
	v_add_nc_u32_e32 v1, s22, v9
	v_add_nc_u32_e32 v2, s40, v9
	s_delay_alu instid0(VALU_DEP_2) | instskip(NEXT) | instid1(VALU_DEP_2)
	v_mul_lo_u32 v1, v1, s21
	v_mul_lo_u32 v2, v2, s23
	s_delay_alu instid0(VALU_DEP_1) | instskip(NEXT) | instid1(VALU_DEP_1)
	v_sub_nc_u32_e32 v1, v1, v2
	v_cmp_lt_u32_e64 s11, s41, v1
	s_delay_alu instid0(VALU_DEP_1)
	s_and_b32 s55, s11, exec_lo
; %bb.25:
	s_or_b32 exec_lo, exec_lo, s12
	v_add_nc_u32_e32 v1, s17, v6
	v_add_nc_u32_e32 v2, s19, v6
	s_mov_b32 s56, 0
	s_mov_b32 s57, 0
	s_mov_b32 s13, exec_lo
	v_mul_lo_u32 v1, v1, s16
	v_mul_lo_u32 v2, v2, s18
	s_delay_alu instid0(VALU_DEP_1) | instskip(NEXT) | instid1(VALU_DEP_1)
	v_sub_nc_u32_e32 v1, v1, v2
	v_cmp_lt_u32_e64 s11, s20, v1
	v_cmpx_ge_u32_e64 s20, v1
; %bb.26:
	v_add_nc_u32_e32 v1, s22, v6
	v_add_nc_u32_e32 v2, s40, v6
	s_delay_alu instid0(VALU_DEP_2) | instskip(NEXT) | instid1(VALU_DEP_2)
	v_mul_lo_u32 v1, v1, s21
	v_mul_lo_u32 v2, v2, s23
	s_delay_alu instid0(VALU_DEP_1) | instskip(NEXT) | instid1(VALU_DEP_1)
	v_sub_nc_u32_e32 v1, v1, v2
	v_cmp_lt_u32_e64 s12, s41, v1
	s_delay_alu instid0(VALU_DEP_1)
	s_and_b32 s57, s12, exec_lo
; %bb.27:
	s_or_b32 exec_lo, exec_lo, s13
	v_add_nc_u32_e32 v1, s17, v7
	v_add_nc_u32_e32 v2, s19, v7
	s_mov_b32 s42, exec_lo
	s_delay_alu instid0(VALU_DEP_2) | instskip(NEXT) | instid1(VALU_DEP_2)
	v_mul_lo_u32 v1, v1, s16
	v_mul_lo_u32 v2, v2, s18
	s_delay_alu instid0(VALU_DEP_1) | instskip(NEXT) | instid1(VALU_DEP_1)
	v_sub_nc_u32_e32 v1, v1, v2
	v_cmp_lt_u32_e64 s12, s20, v1
	v_cmpx_ge_u32_e64 s20, v1
; %bb.28:
	v_add_nc_u32_e32 v1, s22, v7
	v_add_nc_u32_e32 v2, s40, v7
	s_delay_alu instid0(VALU_DEP_2) | instskip(NEXT) | instid1(VALU_DEP_2)
	v_mul_lo_u32 v1, v1, s21
	v_mul_lo_u32 v2, v2, s23
	s_delay_alu instid0(VALU_DEP_1) | instskip(NEXT) | instid1(VALU_DEP_1)
	v_sub_nc_u32_e32 v1, v1, v2
	v_cmp_lt_u32_e64 s13, s41, v1
	s_delay_alu instid0(VALU_DEP_1)
	s_and_b32 s56, s13, exec_lo
; %bb.29:
	s_or_b32 exec_lo, exec_lo, s42
	v_add_nc_u32_e32 v1, s17, v27
	v_add_nc_u32_e32 v2, s19, v27
	s_mov_b32 s42, -1
	s_mov_b32 s53, 0
	s_mov_b32 s43, 0
	v_mul_lo_u32 v1, v1, s16
	v_mul_lo_u32 v2, v2, s18
	s_mov_b32 s58, exec_lo
	s_delay_alu instid0(VALU_DEP_1) | instskip(NEXT) | instid1(VALU_DEP_1)
	v_sub_nc_u32_e32 v1, v1, v2
	v_cmpx_ge_u32_e64 s20, v1
; %bb.30:
	v_add_nc_u32_e32 v1, s22, v27
	v_add_nc_u32_e32 v2, s40, v27
	s_xor_b32 s42, exec_lo, -1
	s_delay_alu instid0(VALU_DEP_2) | instskip(NEXT) | instid1(VALU_DEP_2)
	v_mul_lo_u32 v1, v1, s21
	v_mul_lo_u32 v2, v2, s23
	s_delay_alu instid0(VALU_DEP_1) | instskip(NEXT) | instid1(VALU_DEP_1)
	v_sub_nc_u32_e32 v1, v1, v2
	v_cmp_lt_u32_e64 s13, s41, v1
	s_delay_alu instid0(VALU_DEP_1)
	s_and_b32 s43, s13, exec_lo
; %bb.31:
	s_or_b32 exec_lo, exec_lo, s58
	v_cndmask_b32_e64 v48, 0, 1, s57
	v_cndmask_b32_e64 v51, 0, 1, s12
	;; [unrolled: 1-line block ×22, first 2 shown]
	v_cndmask_b32_e64 v29, 0, 1, vcc_lo
	v_cndmask_b32_e64 v52, 0, 1, s56
	s_load_b64 s[4:5], s[0:1], 0x78
	s_and_b32 vcc_lo, exec_lo, s53
	s_add_i32 s3, s44, 0xd00
	s_cbranch_vccnz .LBB232_33
	s_branch .LBB232_86
.LBB232_32:
                                        ; implicit-def: $sgpr42
                                        ; implicit-def: $sgpr43
                                        ; implicit-def: $vgpr52
                                        ; implicit-def: $vgpr48
                                        ; implicit-def: $vgpr47
                                        ; implicit-def: $vgpr45
                                        ; implicit-def: $vgpr43
                                        ; implicit-def: $vgpr40
                                        ; implicit-def: $vgpr39
                                        ; implicit-def: $vgpr37
                                        ; implicit-def: $vgpr35
                                        ; implicit-def: $vgpr29
                                        ; implicit-def: $vgpr33
                                        ; implicit-def: $vgpr31
                                        ; implicit-def: $vgpr32
                                        ; implicit-def: $vgpr38
                                        ; implicit-def: $vgpr41
                                        ; implicit-def: $vgpr42
                                        ; implicit-def: $vgpr44
                                        ; implicit-def: $vgpr46
                                        ; implicit-def: $vgpr49
                                        ; implicit-def: $vgpr50
                                        ; implicit-def: $vgpr51
                                        ; implicit-def: $vgpr30
                                        ; implicit-def: $vgpr34
                                        ; implicit-def: $vgpr36
	s_load_b64 s[4:5], s[0:1], 0x78
	s_add_i32 s3, s44, 0xd00
	s_cbranch_execz .LBB232_86
.LBB232_33:
	v_dual_mov_b32 v30, 0 :: v_dual_mov_b32 v29, 0
	s_mov_b32 s2, 0
	s_mov_b32 s1, exec_lo
	v_cmpx_gt_u32_e64 s3, v28
	s_cbranch_execz .LBB232_37
; %bb.34:
	v_add_nc_u32_e32 v1, s17, v16
	v_add_nc_u32_e32 v2, s19, v16
	s_mov_b32 s6, exec_lo
	s_delay_alu instid0(VALU_DEP_2) | instskip(NEXT) | instid1(VALU_DEP_2)
	v_mul_lo_u32 v1, v1, s16
	v_mul_lo_u32 v2, v2, s18
	s_delay_alu instid0(VALU_DEP_1) | instskip(NEXT) | instid1(VALU_DEP_1)
	v_sub_nc_u32_e32 v1, v1, v2
	v_cmp_lt_u32_e32 vcc_lo, s20, v1
	v_cmpx_ge_u32_e64 s20, v1
; %bb.35:
	v_add_nc_u32_e32 v1, s22, v16
	v_add_nc_u32_e32 v2, s40, v16
	s_delay_alu instid0(VALU_DEP_2) | instskip(NEXT) | instid1(VALU_DEP_2)
	v_mul_lo_u32 v1, v1, s21
	v_mul_lo_u32 v2, v2, s23
	s_delay_alu instid0(VALU_DEP_1) | instskip(NEXT) | instid1(VALU_DEP_1)
	v_sub_nc_u32_e32 v1, v1, v2
	v_cmp_lt_u32_e64 s0, s41, v1
	s_delay_alu instid0(VALU_DEP_1)
	s_and_b32 s2, s0, exec_lo
; %bb.36:
	s_or_b32 exec_lo, exec_lo, s6
	v_cndmask_b32_e64 v29, 0, 1, vcc_lo
	v_cndmask_b32_e64 v30, 0, 1, s2
.LBB232_37:
	s_or_b32 exec_lo, exec_lo, s1
	v_dual_mov_b32 v34, 0 :: v_dual_add_nc_u32 v1, 1, v28
	v_mov_b32_e32 v33, 0
	s_mov_b32 s2, 0
	s_mov_b32 s1, exec_lo
	s_delay_alu instid0(VALU_DEP_2)
	v_cmpx_gt_u32_e64 s3, v1
	s_cbranch_execz .LBB232_41
; %bb.38:
	v_add_nc_u32_e32 v1, s17, v17
	v_add_nc_u32_e32 v2, s19, v17
	s_mov_b32 s6, exec_lo
	s_delay_alu instid0(VALU_DEP_2) | instskip(NEXT) | instid1(VALU_DEP_2)
	v_mul_lo_u32 v1, v1, s16
	v_mul_lo_u32 v2, v2, s18
	s_delay_alu instid0(VALU_DEP_1) | instskip(NEXT) | instid1(VALU_DEP_1)
	v_sub_nc_u32_e32 v1, v1, v2
	v_cmp_lt_u32_e32 vcc_lo, s20, v1
	v_cmpx_ge_u32_e64 s20, v1
; %bb.39:
	v_add_nc_u32_e32 v1, s22, v17
	v_add_nc_u32_e32 v2, s40, v17
	s_delay_alu instid0(VALU_DEP_2) | instskip(NEXT) | instid1(VALU_DEP_2)
	v_mul_lo_u32 v1, v1, s21
	v_mul_lo_u32 v2, v2, s23
	s_delay_alu instid0(VALU_DEP_1) | instskip(NEXT) | instid1(VALU_DEP_1)
	v_sub_nc_u32_e32 v1, v1, v2
	v_cmp_lt_u32_e64 s0, s41, v1
	s_delay_alu instid0(VALU_DEP_1)
	s_and_b32 s2, s0, exec_lo
; %bb.40:
	s_or_b32 exec_lo, exec_lo, s6
	v_cndmask_b32_e64 v33, 0, 1, vcc_lo
	v_cndmask_b32_e64 v34, 0, 1, s2
.LBB232_41:
	s_or_b32 exec_lo, exec_lo, s1
	v_dual_mov_b32 v36, 0 :: v_dual_add_nc_u32 v1, 2, v28
	v_mov_b32_e32 v31, 0
	s_mov_b32 s2, 0
	s_mov_b32 s1, exec_lo
	s_delay_alu instid0(VALU_DEP_2)
	;; [unrolled: 35-line block ×4, first 2 shown]
	v_cmpx_gt_u32_e64 s3, v1
	s_cbranch_execz .LBB232_53
; %bb.50:
	v_add_nc_u32_e32 v1, s17, v12
	v_add_nc_u32_e32 v2, s19, v12
	s_mov_b32 s6, exec_lo
	s_delay_alu instid0(VALU_DEP_2) | instskip(NEXT) | instid1(VALU_DEP_2)
	v_mul_lo_u32 v1, v1, s16
	v_mul_lo_u32 v2, v2, s18
	s_delay_alu instid0(VALU_DEP_1) | instskip(NEXT) | instid1(VALU_DEP_1)
	v_sub_nc_u32_e32 v1, v1, v2
	v_cmp_lt_u32_e32 vcc_lo, s20, v1
	v_cmpx_ge_u32_e64 s20, v1
; %bb.51:
	v_add_nc_u32_e32 v1, s22, v12
	v_add_nc_u32_e32 v2, s40, v12
	s_delay_alu instid0(VALU_DEP_2) | instskip(NEXT) | instid1(VALU_DEP_2)
	v_mul_lo_u32 v1, v1, s21
	v_mul_lo_u32 v2, v2, s23
	s_delay_alu instid0(VALU_DEP_1) | instskip(NEXT) | instid1(VALU_DEP_1)
	v_sub_nc_u32_e32 v1, v1, v2
	v_cmp_lt_u32_e64 s0, s41, v1
	s_delay_alu instid0(VALU_DEP_1)
	s_and_b32 s2, s0, exec_lo
; %bb.52:
	s_or_b32 exec_lo, exec_lo, s6
	v_cndmask_b32_e64 v38, 0, 1, vcc_lo
	v_cndmask_b32_e64 v37, 0, 1, s2
.LBB232_53:
	s_or_b32 exec_lo, exec_lo, s1
	v_add_nc_u32_e32 v1, 5, v28
	v_mov_b32_e32 v39, 0
	v_mov_b32_e32 v41, 0
	s_mov_b32 s2, 0
	s_mov_b32 s1, exec_lo
	v_cmpx_gt_u32_e64 s3, v1
	s_cbranch_execz .LBB232_57
; %bb.54:
	v_add_nc_u32_e32 v1, s17, v13
	v_add_nc_u32_e32 v2, s19, v13
	s_mov_b32 s6, exec_lo
	s_delay_alu instid0(VALU_DEP_2) | instskip(NEXT) | instid1(VALU_DEP_2)
	v_mul_lo_u32 v1, v1, s16
	v_mul_lo_u32 v2, v2, s18
	s_delay_alu instid0(VALU_DEP_1) | instskip(NEXT) | instid1(VALU_DEP_1)
	v_sub_nc_u32_e32 v1, v1, v2
	v_cmp_lt_u32_e32 vcc_lo, s20, v1
	v_cmpx_ge_u32_e64 s20, v1
; %bb.55:
	v_add_nc_u32_e32 v1, s22, v13
	v_add_nc_u32_e32 v2, s40, v13
	s_delay_alu instid0(VALU_DEP_2) | instskip(NEXT) | instid1(VALU_DEP_2)
	v_mul_lo_u32 v1, v1, s21
	v_mul_lo_u32 v2, v2, s23
	s_delay_alu instid0(VALU_DEP_1) | instskip(NEXT) | instid1(VALU_DEP_1)
	v_sub_nc_u32_e32 v1, v1, v2
	v_cmp_lt_u32_e64 s0, s41, v1
	s_delay_alu instid0(VALU_DEP_1)
	s_and_b32 s2, s0, exec_lo
; %bb.56:
	s_or_b32 exec_lo, exec_lo, s6
	v_cndmask_b32_e64 v41, 0, 1, vcc_lo
	v_cndmask_b32_e64 v39, 0, 1, s2
.LBB232_57:
	s_or_b32 exec_lo, exec_lo, s1
	v_dual_mov_b32 v40, 0 :: v_dual_add_nc_u32 v1, 6, v28
	v_mov_b32_e32 v42, 0
	s_mov_b32 s2, 0
	s_mov_b32 s1, exec_lo
	s_delay_alu instid0(VALU_DEP_2)
	v_cmpx_gt_u32_e64 s3, v1
	s_cbranch_execz .LBB232_61
; %bb.58:
	v_add_nc_u32_e32 v1, s17, v10
	v_add_nc_u32_e32 v2, s19, v10
	s_mov_b32 s6, exec_lo
	s_delay_alu instid0(VALU_DEP_2) | instskip(NEXT) | instid1(VALU_DEP_2)
	v_mul_lo_u32 v1, v1, s16
	v_mul_lo_u32 v2, v2, s18
	s_delay_alu instid0(VALU_DEP_1) | instskip(NEXT) | instid1(VALU_DEP_1)
	v_sub_nc_u32_e32 v1, v1, v2
	v_cmp_lt_u32_e32 vcc_lo, s20, v1
	v_cmpx_ge_u32_e64 s20, v1
; %bb.59:
	v_add_nc_u32_e32 v1, s22, v10
	v_add_nc_u32_e32 v2, s40, v10
	s_delay_alu instid0(VALU_DEP_2) | instskip(NEXT) | instid1(VALU_DEP_2)
	v_mul_lo_u32 v1, v1, s21
	v_mul_lo_u32 v2, v2, s23
	s_delay_alu instid0(VALU_DEP_1) | instskip(NEXT) | instid1(VALU_DEP_1)
	v_sub_nc_u32_e32 v1, v1, v2
	v_cmp_lt_u32_e64 s0, s41, v1
	s_delay_alu instid0(VALU_DEP_1)
	s_and_b32 s2, s0, exec_lo
; %bb.60:
	s_or_b32 exec_lo, exec_lo, s6
	v_cndmask_b32_e64 v42, 0, 1, vcc_lo
	v_cndmask_b32_e64 v40, 0, 1, s2
.LBB232_61:
	s_or_b32 exec_lo, exec_lo, s1
	v_dual_mov_b32 v44, 0 :: v_dual_add_nc_u32 v1, 7, v28
	v_mov_b32_e32 v43, 0
	s_mov_b32 s2, 0
	s_mov_b32 s1, exec_lo
	s_delay_alu instid0(VALU_DEP_2)
	;; [unrolled: 35-line block ×3, first 2 shown]
	v_cmpx_gt_u32_e64 s3, v1
	s_cbranch_execz .LBB232_69
; %bb.66:
	v_add_nc_u32_e32 v1, s17, v8
	v_add_nc_u32_e32 v2, s19, v8
	s_mov_b32 s6, exec_lo
	s_delay_alu instid0(VALU_DEP_2) | instskip(NEXT) | instid1(VALU_DEP_2)
	v_mul_lo_u32 v1, v1, s16
	v_mul_lo_u32 v2, v2, s18
	s_delay_alu instid0(VALU_DEP_1) | instskip(NEXT) | instid1(VALU_DEP_1)
	v_sub_nc_u32_e32 v1, v1, v2
	v_cmp_lt_u32_e32 vcc_lo, s20, v1
	v_cmpx_ge_u32_e64 s20, v1
; %bb.67:
	v_add_nc_u32_e32 v1, s22, v8
	v_add_nc_u32_e32 v2, s40, v8
	s_delay_alu instid0(VALU_DEP_2) | instskip(NEXT) | instid1(VALU_DEP_2)
	v_mul_lo_u32 v1, v1, s21
	v_mul_lo_u32 v2, v2, s23
	s_delay_alu instid0(VALU_DEP_1) | instskip(NEXT) | instid1(VALU_DEP_1)
	v_sub_nc_u32_e32 v1, v1, v2
	v_cmp_lt_u32_e64 s0, s41, v1
	s_delay_alu instid0(VALU_DEP_1)
	s_and_b32 s2, s0, exec_lo
; %bb.68:
	s_or_b32 exec_lo, exec_lo, s6
	v_cndmask_b32_e64 v46, 0, 1, vcc_lo
	v_cndmask_b32_e64 v45, 0, 1, s2
.LBB232_69:
	s_or_b32 exec_lo, exec_lo, s1
	v_add_nc_u32_e32 v1, 9, v28
	v_mov_b32_e32 v47, 0
	v_mov_b32_e32 v49, 0
	s_mov_b32 s2, 0
	s_mov_b32 s1, exec_lo
	v_cmpx_gt_u32_e64 s3, v1
	s_cbranch_execz .LBB232_73
; %bb.70:
	v_add_nc_u32_e32 v1, s17, v9
	v_add_nc_u32_e32 v2, s19, v9
	s_mov_b32 s6, exec_lo
	s_delay_alu instid0(VALU_DEP_2) | instskip(NEXT) | instid1(VALU_DEP_2)
	v_mul_lo_u32 v1, v1, s16
	v_mul_lo_u32 v2, v2, s18
	s_delay_alu instid0(VALU_DEP_1) | instskip(NEXT) | instid1(VALU_DEP_1)
	v_sub_nc_u32_e32 v1, v1, v2
	v_cmp_lt_u32_e32 vcc_lo, s20, v1
	v_cmpx_ge_u32_e64 s20, v1
; %bb.71:
	v_add_nc_u32_e32 v1, s22, v9
	v_add_nc_u32_e32 v2, s40, v9
	s_delay_alu instid0(VALU_DEP_2) | instskip(NEXT) | instid1(VALU_DEP_2)
	v_mul_lo_u32 v1, v1, s21
	v_mul_lo_u32 v2, v2, s23
	s_delay_alu instid0(VALU_DEP_1) | instskip(NEXT) | instid1(VALU_DEP_1)
	v_sub_nc_u32_e32 v1, v1, v2
	v_cmp_lt_u32_e64 s0, s41, v1
	s_delay_alu instid0(VALU_DEP_1)
	s_and_b32 s2, s0, exec_lo
; %bb.72:
	s_or_b32 exec_lo, exec_lo, s6
	v_cndmask_b32_e64 v49, 0, 1, vcc_lo
	v_cndmask_b32_e64 v47, 0, 1, s2
.LBB232_73:
	s_or_b32 exec_lo, exec_lo, s1
	v_dual_mov_b32 v48, 0 :: v_dual_add_nc_u32 v1, 10, v28
	v_mov_b32_e32 v50, 0
	s_mov_b32 s2, 0
	s_mov_b32 s1, exec_lo
	s_delay_alu instid0(VALU_DEP_2)
	v_cmpx_gt_u32_e64 s3, v1
	s_cbranch_execz .LBB232_77
; %bb.74:
	v_add_nc_u32_e32 v1, s17, v6
	v_add_nc_u32_e32 v2, s19, v6
	s_mov_b32 s6, exec_lo
	s_delay_alu instid0(VALU_DEP_2) | instskip(NEXT) | instid1(VALU_DEP_2)
	v_mul_lo_u32 v1, v1, s16
	v_mul_lo_u32 v2, v2, s18
	s_delay_alu instid0(VALU_DEP_1) | instskip(NEXT) | instid1(VALU_DEP_1)
	v_sub_nc_u32_e32 v1, v1, v2
	v_cmp_lt_u32_e32 vcc_lo, s20, v1
	v_cmpx_ge_u32_e64 s20, v1
; %bb.75:
	v_add_nc_u32_e32 v1, s22, v6
	v_add_nc_u32_e32 v2, s40, v6
	s_delay_alu instid0(VALU_DEP_2) | instskip(NEXT) | instid1(VALU_DEP_2)
	v_mul_lo_u32 v1, v1, s21
	v_mul_lo_u32 v2, v2, s23
	s_delay_alu instid0(VALU_DEP_1) | instskip(NEXT) | instid1(VALU_DEP_1)
	v_sub_nc_u32_e32 v1, v1, v2
	v_cmp_lt_u32_e64 s0, s41, v1
	s_delay_alu instid0(VALU_DEP_1)
	s_and_b32 s2, s0, exec_lo
; %bb.76:
	s_or_b32 exec_lo, exec_lo, s6
	v_cndmask_b32_e64 v50, 0, 1, vcc_lo
	v_cndmask_b32_e64 v48, 0, 1, s2
.LBB232_77:
	s_or_b32 exec_lo, exec_lo, s1
	v_dual_mov_b32 v52, 0 :: v_dual_add_nc_u32 v1, 11, v28
	v_mov_b32_e32 v51, 0
	s_mov_b32 s2, 0
	s_mov_b32 s1, exec_lo
	s_delay_alu instid0(VALU_DEP_2)
	v_cmpx_gt_u32_e64 s3, v1
	s_cbranch_execz .LBB232_81
; %bb.78:
	v_add_nc_u32_e32 v1, s17, v7
	v_add_nc_u32_e32 v2, s19, v7
	s_mov_b32 s6, exec_lo
	s_delay_alu instid0(VALU_DEP_2) | instskip(NEXT) | instid1(VALU_DEP_2)
	v_mul_lo_u32 v1, v1, s16
	v_mul_lo_u32 v2, v2, s18
	s_delay_alu instid0(VALU_DEP_1) | instskip(NEXT) | instid1(VALU_DEP_1)
	v_sub_nc_u32_e32 v1, v1, v2
	v_cmp_lt_u32_e32 vcc_lo, s20, v1
	v_cmpx_ge_u32_e64 s20, v1
; %bb.79:
	v_add_nc_u32_e32 v1, s22, v7
	v_add_nc_u32_e32 v2, s40, v7
	s_delay_alu instid0(VALU_DEP_2) | instskip(NEXT) | instid1(VALU_DEP_2)
	v_mul_lo_u32 v1, v1, s21
	v_mul_lo_u32 v2, v2, s23
	s_delay_alu instid0(VALU_DEP_1) | instskip(NEXT) | instid1(VALU_DEP_1)
	v_sub_nc_u32_e32 v1, v1, v2
	v_cmp_lt_u32_e64 s0, s41, v1
	s_delay_alu instid0(VALU_DEP_1)
	s_and_b32 s2, s0, exec_lo
; %bb.80:
	s_or_b32 exec_lo, exec_lo, s6
	v_cndmask_b32_e64 v51, 0, 1, vcc_lo
	v_cndmask_b32_e64 v52, 0, 1, s2
.LBB232_81:
	s_or_b32 exec_lo, exec_lo, s1
	v_add_nc_u32_e32 v1, 12, v28
	s_mov_b32 s42, 0
	s_mov_b32 s43, 0
	s_mov_b32 s0, exec_lo
	s_delay_alu instid0(VALU_DEP_1)
	v_cmpx_gt_u32_e64 s3, v1
	s_cbranch_execz .LBB232_85
; %bb.82:
	v_add_nc_u32_e32 v1, s17, v27
	v_add_nc_u32_e32 v2, s19, v27
	s_mov_b32 s2, -1
	s_mov_b32 s6, 0
	s_mov_b32 s1, exec_lo
	v_mul_lo_u32 v1, v1, s16
	v_mul_lo_u32 v2, v2, s18
	s_delay_alu instid0(VALU_DEP_1) | instskip(NEXT) | instid1(VALU_DEP_1)
	v_sub_nc_u32_e32 v1, v1, v2
	v_cmpx_ge_u32_e64 s20, v1
; %bb.83:
	v_add_nc_u32_e32 v1, s22, v27
	v_add_nc_u32_e32 v2, s40, v27
	s_xor_b32 s2, exec_lo, -1
	s_delay_alu instid0(VALU_DEP_2) | instskip(NEXT) | instid1(VALU_DEP_2)
	v_mul_lo_u32 v1, v1, s21
	v_mul_lo_u32 v2, v2, s23
	s_delay_alu instid0(VALU_DEP_1) | instskip(NEXT) | instid1(VALU_DEP_1)
	v_sub_nc_u32_e32 v1, v1, v2
	v_cmp_lt_u32_e32 vcc_lo, s41, v1
	s_and_b32 s6, vcc_lo, exec_lo
; %bb.84:
	s_or_b32 exec_lo, exec_lo, s1
	s_delay_alu instid0(SALU_CYCLE_1)
	s_and_b32 s43, s6, exec_lo
	s_and_b32 s42, s2, exec_lo
.LBB232_85:
	s_or_b32 exec_lo, exec_lo, s0
.LBB232_86:
	v_and_b32_e32 v75, 0xff, v29
	v_and_b32_e32 v76, 0xff, v30
	;; [unrolled: 1-line block ×10, first 2 shown]
	v_add3_u32 v1, v71, v73, v75
	v_add3_u32 v2, v72, v74, v76
	v_and_b32_e32 v65, 0xff, v41
	v_and_b32_e32 v66, 0xff, v39
	v_and_b32_e32 v61, 0xff, v42
	v_and_b32_e32 v62, 0xff, v40
	v_add3_u32 v1, v1, v69, v67
	v_add3_u32 v2, v2, v70, v68
	v_and_b32_e32 v63, 0xff, v44
	v_and_b32_e32 v64, 0xff, v43
	v_and_b32_e32 v59, 0xff, v46
	v_and_b32_e32 v60, 0xff, v45
	;; [unrolled: 6-line block ×3, first 2 shown]
	v_add3_u32 v1, v1, v63, v59
	v_add3_u32 v2, v2, v64, v60
	v_mbcnt_lo_u32_b32 v77, -1, 0
	v_and_b32_e32 v53, 0xff, v51
	v_and_b32_e32 v54, 0xff, v52
	v_cndmask_b32_e64 v3, 0, 1, s43
	v_add3_u32 v1, v1, v57, v55
	v_cndmask_b32_e64 v4, 0, 1, s42
	v_add3_u32 v2, v2, v58, v56
	v_and_b32_e32 v81, 15, v77
	v_and_b32_e32 v80, 16, v77
	v_lshrrev_b32_e32 v78, 5, v0
	v_add3_u32 v82, v1, v53, v4
	v_add3_u32 v83, v2, v54, v3
	v_cmp_eq_u32_e64 s1, 0, v81
	v_cmp_lt_u32_e64 s0, 1, v81
	v_cmp_lt_u32_e64 s2, 3, v81
	v_cmp_lt_u32_e32 vcc_lo, 7, v81
	v_or_b32_e32 v79, 31, v0
	s_cmp_lg_u32 s15, 0
	s_mov_b32 s6, -1
	s_cbranch_scc0 .LBB232_114
; %bb.87:
	v_mov_b32_dpp v1, v83 row_shr:1 row_mask:0xf bank_mask:0xf
	v_mov_b32_dpp v2, v82 row_shr:1 row_mask:0xf bank_mask:0xf
	s_delay_alu instid0(VALU_DEP_2) | instskip(NEXT) | instid1(VALU_DEP_1)
	v_add_nc_u32_e32 v1, v1, v83
	v_cndmask_b32_e64 v1, v1, v83, s1
	s_delay_alu instid0(VALU_DEP_1) | instskip(NEXT) | instid1(VALU_DEP_1)
	v_mov_b32_dpp v3, v1 row_shr:2 row_mask:0xf bank_mask:0xf
	v_add_nc_u32_e32 v3, v1, v3
	s_delay_alu instid0(VALU_DEP_1) | instskip(NEXT) | instid1(VALU_DEP_1)
	v_cndmask_b32_e64 v1, v1, v3, s0
	v_mov_b32_dpp v3, v1 row_shr:4 row_mask:0xf bank_mask:0xf
	s_delay_alu instid0(VALU_DEP_1) | instskip(NEXT) | instid1(VALU_DEP_1)
	v_add_nc_u32_e32 v3, v1, v3
	v_cndmask_b32_e64 v1, v1, v3, s2
	s_delay_alu instid0(VALU_DEP_1) | instskip(NEXT) | instid1(VALU_DEP_1)
	v_mov_b32_dpp v3, v1 row_shr:8 row_mask:0xf bank_mask:0xf
	v_add_nc_u32_e32 v3, v1, v3
	s_delay_alu instid0(VALU_DEP_1) | instskip(NEXT) | instid1(VALU_DEP_1)
	v_dual_cndmask_b32 v1, v1, v3 :: v_dual_add_nc_u32 v2, v2, v82
	v_cndmask_b32_e64 v2, v2, v82, s1
	s_delay_alu instid0(VALU_DEP_1) | instskip(NEXT) | instid1(VALU_DEP_1)
	v_mov_b32_dpp v4, v2 row_shr:2 row_mask:0xf bank_mask:0xf
	v_add_nc_u32_e32 v4, v2, v4
	s_delay_alu instid0(VALU_DEP_1) | instskip(NEXT) | instid1(VALU_DEP_1)
	v_cndmask_b32_e64 v2, v2, v4, s0
	v_mov_b32_dpp v4, v2 row_shr:4 row_mask:0xf bank_mask:0xf
	s_delay_alu instid0(VALU_DEP_1) | instskip(NEXT) | instid1(VALU_DEP_1)
	v_add_nc_u32_e32 v4, v2, v4
	v_cndmask_b32_e64 v2, v2, v4, s2
	s_mov_b32 s2, exec_lo
	s_delay_alu instid0(VALU_DEP_1) | instskip(NEXT) | instid1(VALU_DEP_1)
	v_mov_b32_dpp v4, v2 row_shr:8 row_mask:0xf bank_mask:0xf
	v_add_nc_u32_e32 v4, v2, v4
	s_delay_alu instid0(VALU_DEP_1)
	v_cndmask_b32_e32 v3, v2, v4, vcc_lo
	ds_swizzle_b32 v2, v1 offset:swizzle(BROADCAST,32,15)
	v_cmp_eq_u32_e32 vcc_lo, 0, v80
	s_waitcnt lgkmcnt(0)
	v_add_nc_u32_e32 v2, v1, v2
	ds_swizzle_b32 v4, v3 offset:swizzle(BROADCAST,32,15)
	v_cndmask_b32_e32 v2, v2, v1, vcc_lo
	s_waitcnt lgkmcnt(0)
	v_add_nc_u32_e32 v4, v3, v4
	s_delay_alu instid0(VALU_DEP_1)
	v_cndmask_b32_e32 v1, v4, v3, vcc_lo
	v_cmpx_eq_u32_e64 v79, v0
	s_cbranch_execz .LBB232_89
; %bb.88:
	v_lshlrev_b32_e32 v3, 3, v78
	ds_store_b64 v3, v[1:2]
.LBB232_89:
	s_or_b32 exec_lo, exec_lo, s2
	s_delay_alu instid0(SALU_CYCLE_1)
	s_mov_b32 s2, exec_lo
	s_waitcnt lgkmcnt(0)
	s_barrier
	buffer_gl0_inv
	v_cmpx_gt_u32_e32 8, v0
	s_cbranch_execz .LBB232_91
; %bb.90:
	v_lshlrev_b32_e32 v5, 3, v0
	ds_load_b64 v[3:4], v5
	s_waitcnt lgkmcnt(0)
	v_mov_b32_dpp v18, v3 row_shr:1 row_mask:0xf bank_mask:0xf
	v_mov_b32_dpp v19, v4 row_shr:1 row_mask:0xf bank_mask:0xf
	s_delay_alu instid0(VALU_DEP_2) | instskip(SKIP_1) | instid1(VALU_DEP_3)
	v_add_nc_u32_e32 v18, v18, v3
	v_and_b32_e32 v20, 7, v77
	v_add_nc_u32_e32 v19, v19, v4
	s_delay_alu instid0(VALU_DEP_2) | instskip(NEXT) | instid1(VALU_DEP_2)
	v_cmp_eq_u32_e32 vcc_lo, 0, v20
	v_dual_cndmask_b32 v4, v19, v4 :: v_dual_cndmask_b32 v3, v18, v3
	v_cmp_lt_u32_e32 vcc_lo, 1, v20
	s_delay_alu instid0(VALU_DEP_2) | instskip(NEXT) | instid1(VALU_DEP_3)
	v_mov_b32_dpp v19, v4 row_shr:2 row_mask:0xf bank_mask:0xf
	v_mov_b32_dpp v18, v3 row_shr:2 row_mask:0xf bank_mask:0xf
	s_delay_alu instid0(VALU_DEP_2) | instskip(NEXT) | instid1(VALU_DEP_2)
	v_add_nc_u32_e32 v19, v4, v19
	v_add_nc_u32_e32 v18, v3, v18
	s_delay_alu instid0(VALU_DEP_1) | instskip(SKIP_1) | instid1(VALU_DEP_2)
	v_dual_cndmask_b32 v4, v4, v19 :: v_dual_cndmask_b32 v3, v3, v18
	v_cmp_lt_u32_e32 vcc_lo, 3, v20
	v_mov_b32_dpp v19, v4 row_shr:4 row_mask:0xf bank_mask:0xf
	s_delay_alu instid0(VALU_DEP_3) | instskip(NEXT) | instid1(VALU_DEP_1)
	v_mov_b32_dpp v18, v3 row_shr:4 row_mask:0xf bank_mask:0xf
	v_dual_cndmask_b32 v19, 0, v19 :: v_dual_cndmask_b32 v18, 0, v18
	s_delay_alu instid0(VALU_DEP_1) | instskip(NEXT) | instid1(VALU_DEP_2)
	v_add_nc_u32_e32 v4, v19, v4
	v_add_nc_u32_e32 v3, v18, v3
	ds_store_b64 v5, v[3:4]
.LBB232_91:
	s_or_b32 exec_lo, exec_lo, s2
	v_cmp_gt_u32_e32 vcc_lo, 32, v0
	v_cmp_lt_u32_e64 s2, 31, v0
	s_waitcnt lgkmcnt(0)
	s_barrier
	buffer_gl0_inv
                                        ; implicit-def: $vgpr19
	s_and_saveexec_b32 s6, s2
	s_delay_alu instid0(SALU_CYCLE_1)
	s_xor_b32 s2, exec_lo, s6
	s_cbranch_execz .LBB232_93
; %bb.92:
	v_lshl_add_u32 v3, v78, 3, -8
	ds_load_b64 v[18:19], v3
	s_waitcnt lgkmcnt(0)
	v_add_nc_u32_e32 v2, v19, v2
	v_add_nc_u32_e32 v1, v18, v1
.LBB232_93:
	s_and_not1_saveexec_b32 s2, s2
; %bb.94:
                                        ; implicit-def: $vgpr18
; %bb.95:
	s_delay_alu instid0(SALU_CYCLE_1) | instskip(SKIP_1) | instid1(VALU_DEP_1)
	s_or_b32 exec_lo, exec_lo, s2
	v_add_nc_u32_e32 v3, -1, v77
	v_cmp_gt_i32_e64 s2, 0, v3
	s_delay_alu instid0(VALU_DEP_1) | instskip(SKIP_1) | instid1(VALU_DEP_2)
	v_cndmask_b32_e64 v3, v3, v77, s2
	v_cmp_eq_u32_e64 s2, 0, v77
	v_lshlrev_b32_e32 v3, 2, v3
	ds_bpermute_b32 v84, v3, v1
	ds_bpermute_b32 v85, v3, v2
	s_and_saveexec_b32 s6, vcc_lo
	s_cbranch_execz .LBB232_113
; %bb.96:
	v_mov_b32_e32 v4, 0
	ds_load_b64 v[1:2], v4 offset:56
	s_waitcnt lgkmcnt(0)
	v_readfirstlane_b32 s7, v2
	s_and_saveexec_b32 s8, s2
	s_cbranch_execz .LBB232_98
; %bb.97:
	s_add_i32 s10, s15, 32
	s_mov_b32 s11, 0
	v_mov_b32_e32 v3, 1
	s_lshl_b64 s[12:13], s[10:11], 4
	s_mov_b32 s16, s11
	s_add_u32 s12, s4, s12
	s_addc_u32 s13, s5, s13
	s_and_b32 s17, s7, 0xff000000
	s_and_b32 s19, s7, 0xff0000
	s_mov_b32 s18, s11
	v_dual_mov_b32 v21, s13 :: v_dual_mov_b32 v20, s12
	s_or_b64 s[16:17], s[18:19], s[16:17]
	s_and_b32 s19, s7, 0xff00
	s_delay_alu instid0(SALU_CYCLE_1) | instskip(SKIP_1) | instid1(SALU_CYCLE_1)
	s_or_b64 s[16:17], s[16:17], s[18:19]
	s_and_b32 s19, s7, 0xff
	s_or_b64 s[10:11], s[16:17], s[18:19]
	s_delay_alu instid0(SALU_CYCLE_1)
	v_mov_b32_e32 v2, s11
	;;#ASMSTART
	global_store_dwordx4 v[20:21], v[1:4] off	
s_waitcnt vmcnt(0)
	;;#ASMEND
.LBB232_98:
	s_or_b32 exec_lo, exec_lo, s8
	v_xad_u32 v20, v77, -1, s15
	s_mov_b32 s9, 0
	s_mov_b32 s8, exec_lo
	s_delay_alu instid0(VALU_DEP_1) | instskip(NEXT) | instid1(VALU_DEP_1)
	v_add_nc_u32_e32 v3, 32, v20
	v_lshlrev_b64 v[2:3], 4, v[3:4]
	s_delay_alu instid0(VALU_DEP_1) | instskip(NEXT) | instid1(VALU_DEP_2)
	v_add_co_u32 v21, vcc_lo, s4, v2
	v_add_co_ci_u32_e32 v22, vcc_lo, s5, v3, vcc_lo
	;;#ASMSTART
	global_load_dwordx4 v[2:5], v[21:22] off glc	
s_waitcnt vmcnt(0)
	;;#ASMEND
	v_and_b32_e32 v5, 0xff, v3
	v_and_b32_e32 v23, 0xff00, v3
	v_or3_b32 v2, v2, 0, 0
	v_and_b32_e32 v24, 0xff000000, v3
	v_and_b32_e32 v3, 0xff0000, v3
	s_delay_alu instid0(VALU_DEP_4) | instskip(SKIP_2) | instid1(VALU_DEP_3)
	v_or3_b32 v5, 0, v5, v23
	v_and_b32_e32 v23, 0xff, v4
	v_or3_b32 v2, v2, 0, 0
	v_or3_b32 v3, v5, v3, v24
	s_delay_alu instid0(VALU_DEP_3)
	v_cmpx_eq_u16_e32 0, v23
	s_cbranch_execz .LBB232_101
.LBB232_99:                             ; =>This Inner Loop Header: Depth=1
	;;#ASMSTART
	global_load_dwordx4 v[2:5], v[21:22] off glc	
s_waitcnt vmcnt(0)
	;;#ASMEND
	v_and_b32_e32 v5, 0xff, v4
	s_delay_alu instid0(VALU_DEP_1) | instskip(SKIP_1) | instid1(SALU_CYCLE_1)
	v_cmp_ne_u16_e32 vcc_lo, 0, v5
	s_or_b32 s9, vcc_lo, s9
	s_and_not1_b32 exec_lo, exec_lo, s9
	s_cbranch_execnz .LBB232_99
; %bb.100:
	s_or_b32 exec_lo, exec_lo, s9
.LBB232_101:
	s_delay_alu instid0(SALU_CYCLE_1)
	s_or_b32 exec_lo, exec_lo, s8
	v_cmp_ne_u32_e32 vcc_lo, 31, v77
	v_lshlrev_b32_e64 v87, v77, -1
	v_add_nc_u32_e32 v91, 4, v77
	v_add_nc_u32_e32 v93, 8, v77
	;; [unrolled: 1-line block ×3, first 2 shown]
	v_add_co_ci_u32_e32 v5, vcc_lo, 0, v77, vcc_lo
	s_delay_alu instid0(VALU_DEP_1)
	v_lshlrev_b32_e32 v86, 2, v5
	ds_bpermute_b32 v21, v86, v3
	ds_bpermute_b32 v5, v86, v2
	s_waitcnt lgkmcnt(1)
	v_add_nc_u32_e32 v21, v21, v3
	v_and_b32_e32 v22, 0xff, v4
	s_waitcnt lgkmcnt(0)
	v_add_nc_u32_e32 v5, v5, v2
	s_delay_alu instid0(VALU_DEP_2) | instskip(SKIP_2) | instid1(VALU_DEP_2)
	v_cmp_eq_u16_e32 vcc_lo, 2, v22
	v_and_or_b32 v22, vcc_lo, v87, 0x80000000
	v_cmp_gt_u32_e32 vcc_lo, 30, v77
	v_ctz_i32_b32_e32 v22, v22
	v_cndmask_b32_e64 v23, 0, 1, vcc_lo
	s_delay_alu instid0(VALU_DEP_2) | instskip(NEXT) | instid1(VALU_DEP_2)
	v_cmp_lt_u32_e32 vcc_lo, v77, v22
	v_dual_cndmask_b32 v2, v2, v5 :: v_dual_lshlrev_b32 v23, 1, v23
	s_delay_alu instid0(VALU_DEP_1)
	v_add_lshl_u32 v88, v23, v77, 2
	v_cndmask_b32_e32 v3, v3, v21, vcc_lo
	v_cmp_gt_u32_e32 vcc_lo, 28, v77
	ds_bpermute_b32 v5, v88, v2
	ds_bpermute_b32 v21, v88, v3
	v_cndmask_b32_e64 v23, 0, 1, vcc_lo
	s_waitcnt lgkmcnt(1)
	v_add_nc_u32_e32 v5, v2, v5
	v_add_nc_u32_e32 v89, 2, v77
	s_waitcnt lgkmcnt(0)
	v_add_nc_u32_e32 v21, v3, v21
	s_delay_alu instid0(VALU_DEP_2) | instskip(SKIP_1) | instid1(VALU_DEP_3)
	v_cmp_gt_u32_e32 vcc_lo, v89, v22
	v_dual_cndmask_b32 v2, v5, v2 :: v_dual_lshlrev_b32 v23, 2, v23
	v_cndmask_b32_e32 v3, v21, v3, vcc_lo
	v_cmp_gt_u32_e32 vcc_lo, 24, v77
	s_delay_alu instid0(VALU_DEP_3)
	v_add_lshl_u32 v90, v23, v77, 2
	v_cndmask_b32_e64 v23, 0, 1, vcc_lo
	v_cmp_gt_u32_e32 vcc_lo, v91, v22
	ds_bpermute_b32 v5, v90, v2
	ds_bpermute_b32 v21, v90, v3
	v_lshlrev_b32_e32 v23, 3, v23
	s_delay_alu instid0(VALU_DEP_1) | instskip(SKIP_3) | instid1(VALU_DEP_1)
	v_add_lshl_u32 v92, v23, v77, 2
	s_waitcnt lgkmcnt(1)
	v_add_nc_u32_e32 v5, v2, v5
	s_waitcnt lgkmcnt(0)
	v_dual_cndmask_b32 v2, v5, v2 :: v_dual_add_nc_u32 v21, v3, v21
	s_delay_alu instid0(VALU_DEP_1)
	v_cndmask_b32_e32 v3, v21, v3, vcc_lo
	v_cmp_gt_u32_e32 vcc_lo, 16, v77
	ds_bpermute_b32 v5, v92, v2
	ds_bpermute_b32 v21, v92, v3
	v_cndmask_b32_e64 v23, 0, 1, vcc_lo
	v_cmp_gt_u32_e32 vcc_lo, v93, v22
	s_delay_alu instid0(VALU_DEP_2) | instskip(NEXT) | instid1(VALU_DEP_1)
	v_lshlrev_b32_e32 v23, 4, v23
	v_add_lshl_u32 v94, v23, v77, 2
	s_waitcnt lgkmcnt(1)
	v_add_nc_u32_e32 v5, v2, v5
	s_waitcnt lgkmcnt(0)
	s_delay_alu instid0(VALU_DEP_1) | instskip(NEXT) | instid1(VALU_DEP_1)
	v_dual_cndmask_b32 v2, v5, v2 :: v_dual_add_nc_u32 v21, v3, v21
	v_cndmask_b32_e32 v3, v21, v3, vcc_lo
	v_cmp_le_u32_e32 vcc_lo, v95, v22
	ds_bpermute_b32 v5, v94, v2
	ds_bpermute_b32 v21, v94, v3
	s_waitcnt lgkmcnt(1)
	v_cndmask_b32_e32 v5, 0, v5, vcc_lo
	s_waitcnt lgkmcnt(0)
	s_delay_alu instid0(VALU_DEP_1) | instskip(NEXT) | instid1(VALU_DEP_1)
	v_dual_cndmask_b32 v21, 0, v21 :: v_dual_add_nc_u32 v2, v5, v2
	v_add_nc_u32_e32 v3, v21, v3
	v_mov_b32_e32 v21, 0
	s_branch .LBB232_103
.LBB232_102:                            ;   in Loop: Header=BB232_103 Depth=1
	s_or_b32 exec_lo, exec_lo, s8
	ds_bpermute_b32 v5, v86, v2
	ds_bpermute_b32 v24, v86, v3
	v_subrev_nc_u32_e32 v20, 32, v20
	s_waitcnt lgkmcnt(1)
	v_add_nc_u32_e32 v5, v5, v2
	v_and_b32_e32 v25, 0xff, v4
	s_waitcnt lgkmcnt(0)
	v_add_nc_u32_e32 v24, v24, v3
	s_delay_alu instid0(VALU_DEP_2) | instskip(SKIP_1) | instid1(VALU_DEP_1)
	v_cmp_eq_u16_e32 vcc_lo, 2, v25
	v_and_or_b32 v25, vcc_lo, v87, 0x80000000
	v_ctz_i32_b32_e32 v25, v25
	s_delay_alu instid0(VALU_DEP_1)
	v_cmp_lt_u32_e32 vcc_lo, v77, v25
	v_cndmask_b32_e32 v2, v2, v5, vcc_lo
	ds_bpermute_b32 v5, v88, v2
	s_waitcnt lgkmcnt(0)
	v_add_nc_u32_e32 v5, v2, v5
	v_cndmask_b32_e32 v3, v3, v24, vcc_lo
	v_cmp_gt_u32_e32 vcc_lo, v89, v25
	s_delay_alu instid0(VALU_DEP_3)
	v_cndmask_b32_e32 v2, v5, v2, vcc_lo
	ds_bpermute_b32 v24, v88, v3
	ds_bpermute_b32 v5, v90, v2
	s_waitcnt lgkmcnt(1)
	v_add_nc_u32_e32 v24, v3, v24
	s_waitcnt lgkmcnt(0)
	v_add_nc_u32_e32 v5, v2, v5
	s_delay_alu instid0(VALU_DEP_2) | instskip(SKIP_1) | instid1(VALU_DEP_3)
	v_cndmask_b32_e32 v3, v24, v3, vcc_lo
	v_cmp_gt_u32_e32 vcc_lo, v91, v25
	v_cndmask_b32_e32 v2, v5, v2, vcc_lo
	ds_bpermute_b32 v24, v90, v3
	ds_bpermute_b32 v5, v92, v2
	s_waitcnt lgkmcnt(1)
	v_add_nc_u32_e32 v24, v3, v24
	s_waitcnt lgkmcnt(0)
	v_add_nc_u32_e32 v5, v2, v5
	s_delay_alu instid0(VALU_DEP_2) | instskip(SKIP_1) | instid1(VALU_DEP_3)
	v_cndmask_b32_e32 v3, v24, v3, vcc_lo
	v_cmp_gt_u32_e32 vcc_lo, v93, v25
	v_cndmask_b32_e32 v2, v5, v2, vcc_lo
	ds_bpermute_b32 v24, v92, v3
	ds_bpermute_b32 v5, v94, v2
	s_waitcnt lgkmcnt(1)
	v_add_nc_u32_e32 v24, v3, v24
	s_delay_alu instid0(VALU_DEP_1) | instskip(SKIP_4) | instid1(VALU_DEP_1)
	v_cndmask_b32_e32 v3, v24, v3, vcc_lo
	v_cmp_le_u32_e32 vcc_lo, v95, v25
	ds_bpermute_b32 v24, v94, v3
	s_waitcnt lgkmcnt(1)
	v_cndmask_b32_e32 v5, 0, v5, vcc_lo
	v_add3_u32 v2, v2, v22, v5
	s_waitcnt lgkmcnt(0)
	v_cndmask_b32_e32 v24, 0, v24, vcc_lo
	s_delay_alu instid0(VALU_DEP_1)
	v_add3_u32 v3, v3, v23, v24
.LBB232_103:                            ; =>This Loop Header: Depth=1
                                        ;     Child Loop BB232_106 Depth 2
	s_delay_alu instid0(VALU_DEP_1) | instskip(SKIP_1) | instid1(VALU_DEP_2)
	v_dual_mov_b32 v23, v3 :: v_dual_and_b32 v4, 0xff, v4
	v_mov_b32_e32 v22, v2
	v_cmp_ne_u16_e32 vcc_lo, 2, v4
	v_cndmask_b32_e64 v4, 0, 1, vcc_lo
	;;#ASMSTART
	;;#ASMEND
	s_delay_alu instid0(VALU_DEP_1)
	v_cmp_ne_u32_e32 vcc_lo, 0, v4
	s_cmp_lg_u32 vcc_lo, exec_lo
	s_cbranch_scc1 .LBB232_108
; %bb.104:                              ;   in Loop: Header=BB232_103 Depth=1
	v_lshlrev_b64 v[2:3], 4, v[20:21]
	s_mov_b32 s8, exec_lo
	s_delay_alu instid0(VALU_DEP_1) | instskip(NEXT) | instid1(VALU_DEP_2)
	v_add_co_u32 v24, vcc_lo, s4, v2
	v_add_co_ci_u32_e32 v25, vcc_lo, s5, v3, vcc_lo
	;;#ASMSTART
	global_load_dwordx4 v[2:5], v[24:25] off glc	
s_waitcnt vmcnt(0)
	;;#ASMEND
	v_and_b32_e32 v5, 0xff, v3
	v_and_b32_e32 v96, 0xff00, v3
	v_or3_b32 v2, v2, 0, 0
	v_and_b32_e32 v97, 0xff000000, v3
	v_and_b32_e32 v3, 0xff0000, v3
	s_delay_alu instid0(VALU_DEP_4) | instskip(SKIP_2) | instid1(VALU_DEP_3)
	v_or3_b32 v5, 0, v5, v96
	v_and_b32_e32 v96, 0xff, v4
	v_or3_b32 v2, v2, 0, 0
	v_or3_b32 v3, v5, v3, v97
	s_delay_alu instid0(VALU_DEP_3)
	v_cmpx_eq_u16_e32 0, v96
	s_cbranch_execz .LBB232_102
; %bb.105:                              ;   in Loop: Header=BB232_103 Depth=1
	s_mov_b32 s9, 0
.LBB232_106:                            ;   Parent Loop BB232_103 Depth=1
                                        ; =>  This Inner Loop Header: Depth=2
	;;#ASMSTART
	global_load_dwordx4 v[2:5], v[24:25] off glc	
s_waitcnt vmcnt(0)
	;;#ASMEND
	v_and_b32_e32 v5, 0xff, v4
	s_delay_alu instid0(VALU_DEP_1) | instskip(SKIP_1) | instid1(SALU_CYCLE_1)
	v_cmp_ne_u16_e32 vcc_lo, 0, v5
	s_or_b32 s9, vcc_lo, s9
	s_and_not1_b32 exec_lo, exec_lo, s9
	s_cbranch_execnz .LBB232_106
; %bb.107:                              ;   in Loop: Header=BB232_103 Depth=1
	s_or_b32 exec_lo, exec_lo, s9
	s_branch .LBB232_102
.LBB232_108:                            ;   in Loop: Header=BB232_103 Depth=1
                                        ; implicit-def: $vgpr4
                                        ; implicit-def: $vgpr2_vgpr3
	s_cbranch_execz .LBB232_103
; %bb.109:
	s_and_saveexec_b32 s8, s2
	s_cbranch_execnz .LBB232_352
; %bb.110:
	s_or_b32 exec_lo, exec_lo, s8
	s_and_saveexec_b32 s8, s2
	s_cbranch_execnz .LBB232_353
.LBB232_111:
	s_or_b32 exec_lo, exec_lo, s8
	v_cmp_eq_u32_e32 vcc_lo, 0, v0
	s_and_b32 exec_lo, exec_lo, vcc_lo
	s_cbranch_execz .LBB232_113
.LBB232_112:
	v_mov_b32_e32 v1, 0
	ds_store_b64 v1, v[22:23] offset:56
.LBB232_113:
	s_or_b32 exec_lo, exec_lo, s6
	v_cmp_eq_u32_e32 vcc_lo, 0, v0
	v_mov_b32_e32 v1, 0
	s_waitcnt lgkmcnt(0)
	s_barrier
	buffer_gl0_inv
	v_add_nc_u32_e64 v3, 0x3400, 0
	ds_load_b64 v[20:21], v1 offset:56
	s_waitcnt lgkmcnt(0)
	s_barrier
	buffer_gl0_inv
	ds_load_2addr_b32 v[1:2], v3 offset1:2
	ds_load_2addr_b32 v[3:4], v3 offset0:4 offset1:6
	v_cndmask_b32_e64 v5, v84, v18, s2
	v_cndmask_b32_e64 v18, v85, v19, s2
	s_delay_alu instid0(VALU_DEP_2) | instskip(NEXT) | instid1(VALU_DEP_1)
	v_add_nc_u32_e32 v19, v20, v5
	v_dual_cndmask_b32 v20, v19, v20 :: v_dual_add_nc_u32 v5, v21, v18
	s_delay_alu instid0(VALU_DEP_1)
	v_cndmask_b32_e32 v5, v5, v21, vcc_lo
	s_branch .LBB232_124
.LBB232_114:
                                        ; implicit-def: $vgpr5
                                        ; implicit-def: $vgpr3
                                        ; implicit-def: $vgpr1
                                        ; implicit-def: $vgpr20_vgpr21
	s_and_b32 vcc_lo, exec_lo, s6
	s_cbranch_vccz .LBB232_124
; %bb.115:
	s_waitcnt lgkmcnt(0)
	v_mov_b32_dpp v2, v83 row_shr:1 row_mask:0xf bank_mask:0xf
	v_cmp_lt_u32_e32 vcc_lo, 3, v81
	v_mov_b32_dpp v1, v82 row_shr:1 row_mask:0xf bank_mask:0xf
	s_delay_alu instid0(VALU_DEP_3) | instskip(NEXT) | instid1(VALU_DEP_1)
	v_add_nc_u32_e32 v2, v2, v83
	v_cndmask_b32_e64 v2, v2, v83, s1
	s_delay_alu instid0(VALU_DEP_1) | instskip(NEXT) | instid1(VALU_DEP_1)
	v_mov_b32_dpp v4, v2 row_shr:2 row_mask:0xf bank_mask:0xf
	v_add_nc_u32_e32 v4, v2, v4
	s_delay_alu instid0(VALU_DEP_1) | instskip(NEXT) | instid1(VALU_DEP_1)
	v_cndmask_b32_e64 v2, v2, v4, s0
	v_mov_b32_dpp v4, v2 row_shr:4 row_mask:0xf bank_mask:0xf
	s_delay_alu instid0(VALU_DEP_1) | instskip(NEXT) | instid1(VALU_DEP_1)
	v_add_nc_u32_e32 v4, v2, v4
	v_dual_cndmask_b32 v2, v2, v4 :: v_dual_add_nc_u32 v1, v1, v82
	s_delay_alu instid0(VALU_DEP_1) | instskip(NEXT) | instid1(VALU_DEP_2)
	v_cndmask_b32_e64 v1, v1, v82, s1
	v_mov_b32_dpp v4, v2 row_shr:8 row_mask:0xf bank_mask:0xf
	s_delay_alu instid0(VALU_DEP_2) | instskip(NEXT) | instid1(VALU_DEP_2)
	v_mov_b32_dpp v3, v1 row_shr:2 row_mask:0xf bank_mask:0xf
	v_add_nc_u32_e32 v4, v2, v4
	s_delay_alu instid0(VALU_DEP_2) | instskip(NEXT) | instid1(VALU_DEP_1)
	v_add_nc_u32_e32 v3, v1, v3
	v_cndmask_b32_e64 v1, v1, v3, s0
	s_mov_b32 s0, exec_lo
	s_delay_alu instid0(VALU_DEP_1) | instskip(NEXT) | instid1(VALU_DEP_1)
	v_mov_b32_dpp v3, v1 row_shr:4 row_mask:0xf bank_mask:0xf
	v_add_nc_u32_e32 v3, v1, v3
	s_delay_alu instid0(VALU_DEP_1) | instskip(SKIP_1) | instid1(VALU_DEP_2)
	v_cndmask_b32_e32 v1, v1, v3, vcc_lo
	v_cmp_lt_u32_e32 vcc_lo, 7, v81
	v_mov_b32_dpp v3, v1 row_shr:8 row_mask:0xf bank_mask:0xf
	s_delay_alu instid0(VALU_DEP_1) | instskip(NEXT) | instid1(VALU_DEP_1)
	v_dual_cndmask_b32 v2, v2, v4 :: v_dual_add_nc_u32 v3, v1, v3
	v_cndmask_b32_e32 v1, v1, v3, vcc_lo
	ds_swizzle_b32 v3, v2 offset:swizzle(BROADCAST,32,15)
	v_cmp_eq_u32_e32 vcc_lo, 0, v80
	ds_swizzle_b32 v4, v1 offset:swizzle(BROADCAST,32,15)
	s_waitcnt lgkmcnt(1)
	v_add_nc_u32_e32 v3, v2, v3
	s_waitcnt lgkmcnt(0)
	v_add_nc_u32_e32 v4, v1, v4
	s_delay_alu instid0(VALU_DEP_1)
	v_dual_cndmask_b32 v2, v3, v2 :: v_dual_cndmask_b32 v1, v4, v1
	v_cmpx_eq_u32_e64 v79, v0
	s_cbranch_execz .LBB232_117
; %bb.116:
	v_lshlrev_b32_e32 v3, 3, v78
	ds_store_b64 v3, v[1:2]
.LBB232_117:
	s_or_b32 exec_lo, exec_lo, s0
	s_delay_alu instid0(SALU_CYCLE_1)
	s_mov_b32 s0, exec_lo
	s_waitcnt lgkmcnt(0)
	s_barrier
	buffer_gl0_inv
	v_cmpx_gt_u32_e32 8, v0
	s_cbranch_execz .LBB232_119
; %bb.118:
	v_lshlrev_b32_e32 v5, 3, v0
	ds_load_b64 v[3:4], v5
	s_waitcnt lgkmcnt(0)
	v_mov_b32_dpp v18, v3 row_shr:1 row_mask:0xf bank_mask:0xf
	v_mov_b32_dpp v19, v4 row_shr:1 row_mask:0xf bank_mask:0xf
	s_delay_alu instid0(VALU_DEP_2) | instskip(SKIP_1) | instid1(VALU_DEP_3)
	v_add_nc_u32_e32 v18, v18, v3
	v_and_b32_e32 v20, 7, v77
	v_add_nc_u32_e32 v19, v19, v4
	s_delay_alu instid0(VALU_DEP_2) | instskip(NEXT) | instid1(VALU_DEP_2)
	v_cmp_eq_u32_e32 vcc_lo, 0, v20
	v_dual_cndmask_b32 v4, v19, v4 :: v_dual_cndmask_b32 v3, v18, v3
	v_cmp_lt_u32_e32 vcc_lo, 1, v20
	s_delay_alu instid0(VALU_DEP_2) | instskip(NEXT) | instid1(VALU_DEP_3)
	v_mov_b32_dpp v19, v4 row_shr:2 row_mask:0xf bank_mask:0xf
	v_mov_b32_dpp v18, v3 row_shr:2 row_mask:0xf bank_mask:0xf
	s_delay_alu instid0(VALU_DEP_2) | instskip(NEXT) | instid1(VALU_DEP_2)
	v_add_nc_u32_e32 v19, v4, v19
	v_add_nc_u32_e32 v18, v3, v18
	s_delay_alu instid0(VALU_DEP_1) | instskip(SKIP_1) | instid1(VALU_DEP_2)
	v_dual_cndmask_b32 v4, v4, v19 :: v_dual_cndmask_b32 v3, v3, v18
	v_cmp_lt_u32_e32 vcc_lo, 3, v20
	v_mov_b32_dpp v19, v4 row_shr:4 row_mask:0xf bank_mask:0xf
	s_delay_alu instid0(VALU_DEP_3) | instskip(NEXT) | instid1(VALU_DEP_1)
	v_mov_b32_dpp v18, v3 row_shr:4 row_mask:0xf bank_mask:0xf
	v_dual_cndmask_b32 v19, 0, v19 :: v_dual_cndmask_b32 v18, 0, v18
	s_delay_alu instid0(VALU_DEP_1) | instskip(NEXT) | instid1(VALU_DEP_2)
	v_add_nc_u32_e32 v4, v19, v4
	v_add_nc_u32_e32 v3, v18, v3
	ds_store_b64 v5, v[3:4]
.LBB232_119:
	s_or_b32 exec_lo, exec_lo, s0
	v_dual_mov_b32 v3, 0 :: v_dual_mov_b32 v18, 0
	v_mov_b32_e32 v19, 0
	s_mov_b32 s0, exec_lo
	s_waitcnt lgkmcnt(0)
	s_barrier
	buffer_gl0_inv
	v_cmpx_lt_u32_e32 31, v0
	s_cbranch_execz .LBB232_121
; %bb.120:
	v_lshl_add_u32 v4, v78, 3, -8
	ds_load_b64 v[18:19], v4
.LBB232_121:
	s_or_b32 exec_lo, exec_lo, s0
	v_add_nc_u32_e32 v4, -1, v77
	s_waitcnt lgkmcnt(0)
	v_add_nc_u32_e32 v20, v19, v2
	v_add_nc_u32_e32 v5, v18, v1
	ds_load_b64 v[1:2], v3 offset:56
	v_cmp_gt_i32_e32 vcc_lo, 0, v4
	v_cndmask_b32_e32 v4, v4, v77, vcc_lo
	v_cmp_eq_u32_e32 vcc_lo, 0, v0
	s_delay_alu instid0(VALU_DEP_2)
	v_lshlrev_b32_e32 v4, 2, v4
	ds_bpermute_b32 v5, v4, v5
	ds_bpermute_b32 v20, v4, v20
	s_waitcnt lgkmcnt(2)
	v_readfirstlane_b32 s1, v2
	s_and_saveexec_b32 s0, vcc_lo
	s_cbranch_execz .LBB232_123
; %bb.122:
	s_mov_b32 s6, 0
	s_add_u32 s4, s4, 0x200
	s_addc_u32 s5, s5, 0
	s_and_b32 s7, s1, 0xff000000
	s_and_b32 s9, s1, 0xff0000
	s_mov_b32 s8, s6
	v_mov_b32_e32 v22, s5
	s_or_b64 s[8:9], s[8:9], s[6:7]
	s_and_b32 s7, s1, 0xff00
	v_dual_mov_b32 v4, 0 :: v_dual_mov_b32 v21, s4
	s_or_b64 s[8:9], s[8:9], s[6:7]
	s_and_b32 s7, s1, 0xff
	v_mov_b32_e32 v3, 2
	s_or_b64 s[6:7], s[8:9], s[6:7]
	s_delay_alu instid0(SALU_CYCLE_1)
	v_mov_b32_e32 v2, s7
	;;#ASMSTART
	global_store_dwordx4 v[21:22], v[1:4] off	
s_waitcnt vmcnt(0)
	;;#ASMEND
.LBB232_123:
	s_or_b32 exec_lo, exec_lo, s0
	v_cmp_eq_u32_e64 s0, 0, v77
	v_dual_mov_b32 v3, 0 :: v_dual_mov_b32 v2, s1
	s_waitcnt lgkmcnt(0)
	s_barrier
	s_delay_alu instid0(VALU_DEP_2)
	v_cndmask_b32_e64 v4, v5, v18, s0
	v_cndmask_b32_e64 v5, v20, v19, s0
	buffer_gl0_inv
	v_cndmask_b32_e64 v20, v4, 0, vcc_lo
	v_cndmask_b32_e64 v5, v5, 0, vcc_lo
	v_mov_b32_e32 v4, 0
.LBB232_124:
	v_and_b32_e32 v30, 1, v30
	v_and_b32_e32 v34, 1, v34
	;; [unrolled: 1-line block ×4, first 2 shown]
	s_waitcnt lgkmcnt(0)
	v_add_co_u32 v18, s0, s28, v3
	v_cmp_eq_u32_e32 vcc_lo, 1, v30
	v_add_nc_u32_e32 v22, v5, v76
	v_sub_nc_u32_e32 v5, v5, v4
	v_add_co_ci_u32_e64 v19, null, s29, 0, s0
	s_mov_b32 s2, -1
	s_delay_alu instid0(VALU_DEP_3) | instskip(SKIP_3) | instid1(VALU_DEP_3)
	v_add_nc_u32_e32 v24, v22, v72
	v_sub_nc_u32_e32 v22, v22, v4
	v_add_nc_u32_e32 v5, v5, v1
	v_sub_co_u32 v72, s0, s30, v1
	v_add_nc_u32_e32 v22, v22, v1
	v_add_nc_u32_e32 v21, v20, v75
	v_sub_nc_u32_e32 v20, v20, v3
	s_delay_alu instid0(VALU_DEP_2)
	v_add_nc_u32_e32 v23, v21, v71
	v_add_nc_u32_e32 v71, v24, v74
	v_lshlrev_b32_e32 v74, 1, v1
	v_sub_nc_u32_e32 v21, v21, v3
	v_add_nc_u32_e32 v75, v20, v5
	v_sub_nc_u32_e32 v24, v24, v4
	s_delay_alu instid0(VALU_DEP_4) | instskip(NEXT) | instid1(VALU_DEP_4)
	v_add3_u32 v28, v74, v2, v28
	v_add_nc_u32_e32 v76, v22, v21
	s_delay_alu instid0(VALU_DEP_3) | instskip(NEXT) | instid1(VALU_DEP_3)
	v_add_nc_u32_e32 v24, v24, v1
	v_sub_nc_u32_e32 v75, v28, v75
	s_delay_alu instid0(VALU_DEP_3) | instskip(NEXT) | instid1(VALU_DEP_1)
	v_sub_nc_u32_e32 v76, v28, v76
	v_dual_cndmask_b32 v5, v75, v5 :: v_dual_add_nc_u32 v30, 1, v76
	v_cmp_eq_u32_e32 vcc_lo, 1, v34
	s_delay_alu instid0(VALU_DEP_2) | instskip(SKIP_1) | instid1(VALU_DEP_4)
	v_cndmask_b32_e32 v22, v30, v22, vcc_lo
	v_cmp_eq_u32_e32 vcc_lo, 1, v29
	v_cndmask_b32_e32 v5, v5, v20, vcc_lo
	v_and_b32_e32 v20, 1, v36
	v_cmp_eq_u32_e32 vcc_lo, 1, v33
	s_delay_alu instid0(VALU_DEP_3) | instskip(SKIP_1) | instid1(VALU_DEP_4)
	v_lshlrev_b32_e32 v5, 2, v5
	v_cndmask_b32_e32 v21, v22, v21, vcc_lo
	v_cmp_eq_u32_e32 vcc_lo, 1, v20
	v_add_nc_u32_e32 v25, v23, v73
	v_sub_nc_u32_e32 v23, v23, v3
	v_and_b32_e32 v22, 1, v31
	v_sub_co_ci_u32_e64 v73, null, s31, 0, s0
	v_and_b32_e32 v31, 1, v32
	s_delay_alu instid0(VALU_DEP_4) | instskip(NEXT) | instid1(VALU_DEP_1)
	v_add_nc_u32_e32 v77, v24, v23
	v_sub_nc_u32_e32 v75, v28, v77
	s_delay_alu instid0(VALU_DEP_1) | instskip(NEXT) | instid1(VALU_DEP_1)
	v_add_nc_u32_e32 v29, 2, v75
	v_cndmask_b32_e32 v20, v29, v24, vcc_lo
	v_sub_nc_u32_e32 v24, v71, v4
	v_cmp_eq_u32_e32 vcc_lo, 1, v22
	v_add_nc_u32_e32 v69, v25, v69
	v_lshlrev_b32_e32 v29, 2, v21
	ds_store_b32 v5, v16
	ds_store_b32 v29, v17
	v_cndmask_b32_e32 v22, v20, v23, vcc_lo
	v_sub_nc_u32_e32 v23, v25, v3
	v_add_nc_u32_e32 v24, v24, v1
	v_add_co_u32 v20, vcc_lo, v72, v4
	s_delay_alu instid0(VALU_DEP_4) | instskip(SKIP_1) | instid1(VALU_DEP_4)
	v_lshlrev_b32_e32 v5, 2, v22
	v_and_b32_e32 v22, 1, v35
	v_add_nc_u32_e32 v25, v23, v24
	v_add_co_ci_u32_e32 v21, vcc_lo, 0, v73, vcc_lo
	ds_store_b32 v5, v14
	v_cmp_eq_u32_e32 vcc_lo, 1, v22
	v_sub_nc_u32_e32 v17, v28, v25
	v_sub_nc_u32_e32 v29, v69, v3
	v_add_nc_u32_e32 v67, v69, v67
	s_delay_alu instid0(VALU_DEP_3) | instskip(NEXT) | instid1(VALU_DEP_2)
	v_add_nc_u32_e32 v17, 3, v17
	v_sub_nc_u32_e32 v30, v67, v3
	s_delay_alu instid0(VALU_DEP_2) | instskip(SKIP_2) | instid1(VALU_DEP_3)
	v_cndmask_b32_e32 v17, v17, v24, vcc_lo
	v_cmp_eq_u32_e32 vcc_lo, 1, v31
	v_and_b32_e32 v24, 1, v39
	v_cndmask_b32_e32 v14, v17, v23, vcc_lo
	v_add_nc_u32_e32 v70, v71, v70
	v_and_b32_e32 v23, 1, v38
	s_delay_alu instid0(VALU_DEP_3) | instskip(NEXT) | instid1(VALU_DEP_3)
	v_lshlrev_b32_e32 v14, 2, v14
	v_add_nc_u32_e32 v68, v70, v68
	v_sub_nc_u32_e32 v16, v70, v4
	ds_store_b32 v14, v15
	v_sub_nc_u32_e32 v25, v68, v4
	v_add_nc_u32_e32 v16, v16, v1
	s_delay_alu instid0(VALU_DEP_2) | instskip(NEXT) | instid1(VALU_DEP_2)
	v_add_nc_u32_e32 v25, v25, v1
	v_add_nc_u32_e32 v32, v29, v16
	s_delay_alu instid0(VALU_DEP_2) | instskip(NEXT) | instid1(VALU_DEP_2)
	v_add_nc_u32_e32 v22, v30, v25
	v_sub_nc_u32_e32 v5, v28, v32
	s_delay_alu instid0(VALU_DEP_2) | instskip(SKIP_1) | instid1(VALU_DEP_3)
	v_sub_nc_u32_e32 v17, v28, v22
	v_and_b32_e32 v22, 1, v37
	v_add_nc_u32_e32 v5, 4, v5
	s_delay_alu instid0(VALU_DEP_3) | instskip(NEXT) | instid1(VALU_DEP_3)
	v_add_nc_u32_e32 v17, 5, v17
	v_cmp_eq_u32_e32 vcc_lo, 1, v22
	s_delay_alu instid0(VALU_DEP_3)
	v_cndmask_b32_e32 v5, v5, v16, vcc_lo
	v_cmp_eq_u32_e32 vcc_lo, 1, v24
	v_and_b32_e32 v16, 1, v41
	v_cndmask_b32_e32 v17, v17, v25, vcc_lo
	v_cmp_eq_u32_e32 vcc_lo, 1, v23
	v_cndmask_b32_e32 v5, v5, v29, vcc_lo
	s_delay_alu instid0(VALU_DEP_4) | instskip(SKIP_1) | instid1(VALU_DEP_3)
	v_cmp_eq_u32_e32 vcc_lo, 1, v16
	v_add_nc_u32_e32 v66, v68, v66
	v_dual_cndmask_b32 v16, v17, v30 :: v_dual_lshlrev_b32 v5, 2, v5
	s_delay_alu instid0(VALU_DEP_2) | instskip(SKIP_1) | instid1(VALU_DEP_3)
	v_sub_nc_u32_e32 v22, v66, v4
	v_add_nc_u32_e32 v62, v66, v62
	v_lshlrev_b32_e32 v16, 2, v16
	ds_store_b32 v5, v12
	ds_store_b32 v16, v13
	v_and_b32_e32 v12, 1, v40
	v_add_nc_u32_e32 v22, v22, v1
	v_add_nc_u32_e32 v64, v62, v64
	v_sub_nc_u32_e32 v17, v62, v4
	v_and_b32_e32 v16, 1, v43
	v_cmp_eq_u32_e32 vcc_lo, 1, v12
	v_add_nc_u32_e32 v65, v67, v65
	v_sub_nc_u32_e32 v15, v64, v4
	v_add_nc_u32_e32 v17, v17, v1
	s_delay_alu instid0(VALU_DEP_3) | instskip(NEXT) | instid1(VALU_DEP_3)
	v_sub_nc_u32_e32 v23, v65, v3
	v_add_nc_u32_e32 v15, v15, v1
	s_delay_alu instid0(VALU_DEP_2) | instskip(NEXT) | instid1(VALU_DEP_1)
	v_add_nc_u32_e32 v24, v23, v22
	v_sub_nc_u32_e32 v14, v28, v24
	v_and_b32_e32 v24, 1, v48
	s_delay_alu instid0(VALU_DEP_2) | instskip(SKIP_1) | instid1(VALU_DEP_2)
	v_add_nc_u32_e32 v13, 6, v14
	v_and_b32_e32 v14, 1, v42
	v_cndmask_b32_e32 v12, v13, v22, vcc_lo
	v_add_nc_u32_e32 v61, v65, v61
	s_delay_alu instid0(VALU_DEP_3) | instskip(SKIP_1) | instid1(VALU_DEP_3)
	v_cmp_eq_u32_e32 vcc_lo, 1, v14
	v_and_b32_e32 v22, 1, v44
	v_sub_nc_u32_e32 v25, v61, v3
	v_add_nc_u32_e32 v63, v61, v63
	v_cndmask_b32_e32 v12, v12, v23, vcc_lo
	v_cmp_eq_u32_e32 vcc_lo, 1, v16
	v_and_b32_e32 v23, 1, v46
	v_add_nc_u32_e32 v5, v25, v17
	v_sub_nc_u32_e32 v13, v63, v3
	v_lshlrev_b32_e32 v12, 2, v12
	v_add_nc_u32_e32 v59, v63, v59
	s_delay_alu instid0(VALU_DEP_4) | instskip(NEXT) | instid1(VALU_DEP_4)
	v_sub_nc_u32_e32 v5, v28, v5
	v_add_nc_u32_e32 v14, v13, v15
	s_delay_alu instid0(VALU_DEP_3) | instskip(NEXT) | instid1(VALU_DEP_3)
	v_add_nc_u32_e32 v57, v59, v57
	v_add_nc_u32_e32 v5, 7, v5
	s_delay_alu instid0(VALU_DEP_3) | instskip(NEXT) | instid1(VALU_DEP_3)
	v_sub_nc_u32_e32 v14, v28, v14
	v_add_nc_u32_e32 v55, v57, v55
	s_delay_alu instid0(VALU_DEP_3)
	v_cndmask_b32_e32 v5, v5, v17, vcc_lo
	v_cmp_eq_u32_e32 vcc_lo, 1, v22
	v_and_b32_e32 v17, 1, v45
	v_add_nc_u32_e32 v14, 8, v14
	v_sub_nc_u32_e32 v22, v59, v3
	v_add_nc_u32_e32 v53, v55, v53
	v_cndmask_b32_e32 v5, v5, v25, vcc_lo
	v_cmp_eq_u32_e32 vcc_lo, 1, v17
	v_sub_nc_u32_e32 v17, v55, v3
	v_and_b32_e32 v25, 1, v52
	s_delay_alu instid0(VALU_DEP_4)
	v_dual_cndmask_b32 v14, v14, v15 :: v_dual_lshlrev_b32 v5, 2, v5
	v_cmp_eq_u32_e32 vcc_lo, 1, v23
	v_add_nc_u32_e32 v60, v64, v60
	ds_store_b32 v12, v10
	ds_store_b32 v5, v11
	v_and_b32_e32 v11, 1, v49
	v_cndmask_b32_e32 v5, v14, v13, vcc_lo
	v_sub_nc_u32_e32 v16, v60, v4
	v_add_nc_u32_e32 v58, v60, v58
	v_and_b32_e32 v13, 1, v47
	s_delay_alu instid0(VALU_DEP_4) | instskip(NEXT) | instid1(VALU_DEP_4)
	v_lshlrev_b32_e32 v5, 2, v5
	v_add_nc_u32_e32 v16, v16, v1
	s_delay_alu instid0(VALU_DEP_4) | instskip(SKIP_2) | instid1(VALU_DEP_4)
	v_add_nc_u32_e32 v56, v58, v56
	v_sub_nc_u32_e32 v12, v58, v4
	v_cmp_eq_u32_e32 vcc_lo, 1, v13
	v_add_nc_u32_e32 v15, v22, v16
	s_delay_alu instid0(VALU_DEP_4) | instskip(NEXT) | instid1(VALU_DEP_4)
	v_sub_nc_u32_e32 v14, v56, v4
	v_add_nc_u32_e32 v12, v12, v1
	v_add_nc_u32_e32 v54, v56, v54
	s_delay_alu instid0(VALU_DEP_4) | instskip(SKIP_2) | instid1(VALU_DEP_4)
	v_sub_nc_u32_e32 v10, v28, v15
	v_sub_nc_u32_e32 v15, v57, v3
	v_add_nc_u32_e32 v14, v14, v1
	v_sub_nc_u32_e32 v23, v54, v4
	v_sub_nc_u32_e32 v3, v53, v3
	v_add_nc_u32_e32 v10, 9, v10
	v_add_nc_u32_e32 v13, v15, v12
	s_delay_alu instid0(VALU_DEP_2) | instskip(SKIP_2) | instid1(VALU_DEP_4)
	v_dual_cndmask_b32 v10, v10, v16 :: v_dual_add_nc_u32 v23, v23, v1
	v_add_nc_u32_e32 v16, v17, v14
	v_cmp_eq_u32_e32 vcc_lo, 1, v11
	v_sub_nc_u32_e32 v11, v28, v13
	v_and_b32_e32 v13, 1, v50
	s_delay_alu instid0(VALU_DEP_4) | instskip(NEXT) | instid1(VALU_DEP_3)
	v_sub_nc_u32_e32 v16, v28, v16
	v_dual_cndmask_b32 v10, v10, v22 :: v_dual_add_nc_u32 v11, 10, v11
	v_cmp_eq_u32_e32 vcc_lo, 1, v24
	v_add_nc_u32_e32 v22, v3, v23
	s_delay_alu instid0(VALU_DEP_4) | instskip(NEXT) | instid1(VALU_DEP_4)
	v_add_nc_u32_e32 v16, 11, v16
	v_dual_cndmask_b32 v11, v11, v12 :: v_dual_lshlrev_b32 v10, 2, v10
	v_cmp_eq_u32_e32 vcc_lo, 1, v25
	s_delay_alu instid0(VALU_DEP_4) | instskip(SKIP_3) | instid1(VALU_DEP_4)
	v_sub_nc_u32_e32 v22, v28, v22
	v_and_b32_e32 v12, 1, v51
	v_cndmask_b32_e32 v14, v16, v14, vcc_lo
	v_cmp_eq_u32_e32 vcc_lo, 1, v13
	v_dual_cndmask_b32 v11, v11, v15 :: v_dual_add_nc_u32 v16, 12, v22
	s_delay_alu instid0(VALU_DEP_4) | instskip(NEXT) | instid1(VALU_DEP_2)
	v_cmp_eq_u32_e32 vcc_lo, 1, v12
	v_cndmask_b32_e64 v13, v16, v23, s43
	s_delay_alu instid0(VALU_DEP_3) | instskip(NEXT) | instid1(VALU_DEP_2)
	v_dual_cndmask_b32 v12, v14, v17 :: v_dual_lshlrev_b32 v11, 2, v11
	v_cndmask_b32_e64 v3, v13, v3, s42
	s_delay_alu instid0(VALU_DEP_2)
	v_lshlrev_b32_e32 v12, 2, v12
	ds_store_b32 v5, v8
	ds_store_b32 v10, v9
	;; [unrolled: 1-line block ×4, first 2 shown]
	v_lshlrev_b32_e32 v3, 2, v3
	v_add_co_u32 v5, s0, v2, v74
	s_delay_alu instid0(VALU_DEP_1) | instskip(SKIP_4) | instid1(VALU_DEP_2)
	v_add_co_ci_u32_e64 v6, null, 0, 0, s0
	ds_store_b32 v3, v27
	v_add_co_u32 v3, vcc_lo, v5, v20
	v_add_co_ci_u32_e32 v5, vcc_lo, v6, v21, vcc_lo
	s_add_u32 s0, s34, s33
	v_add_co_u32 v3, vcc_lo, v3, v18
	s_delay_alu instid0(VALU_DEP_2) | instskip(SKIP_1) | instid1(VALU_DEP_2)
	v_add_co_ci_u32_e32 v5, vcc_lo, v5, v19, vcc_lo
	s_addc_u32 s1, s35, 0
	v_sub_co_u32 v3, vcc_lo, s0, v3
	s_delay_alu instid0(VALU_DEP_2)
	v_sub_co_ci_u32_e32 v9, vcc_lo, s1, v5, vcc_lo
	v_lshlrev_b64 v[5:6], 2, v[20:21]
	v_lshlrev_b64 v[7:8], 2, v[18:19]
	v_add_nc_u32_e32 v10, v1, v2
	s_add_u32 s1, s26, -4
	s_waitcnt lgkmcnt(0)
	s_barrier
	v_add_co_u32 v5, vcc_lo, s38, v5
	v_add_co_ci_u32_e32 v6, vcc_lo, s39, v6, vcc_lo
	v_cmp_ne_u32_e32 vcc_lo, 1, v26
	v_add_co_u32 v7, s0, s36, v7
	s_delay_alu instid0(VALU_DEP_1)
	v_add_co_ci_u32_e64 v8, s0, s37, v8, s0
	s_addc_u32 s0, s27, -1
	buffer_gl0_inv
	s_cbranch_vccz .LBB232_128
; %bb.125:
	s_and_b32 vcc_lo, exec_lo, s2
	s_cbranch_vccnz .LBB232_233
.LBB232_126:
	v_cmp_eq_u32_e32 vcc_lo, 0, v0
	s_and_b32 s0, vcc_lo, s14
	s_delay_alu instid0(SALU_CYCLE_1)
	s_and_saveexec_b32 s1, s0
	s_cbranch_execnz .LBB232_351
.LBB232_127:
	s_nop 0
	s_sendmsg sendmsg(MSG_DEALLOC_VGPRS)
	s_endpgm
.LBB232_128:
	s_mov_b32 s2, exec_lo
	v_cmpx_le_u32_e64 v1, v0
	s_xor_b32 s2, exec_lo, s2
	s_cbranch_execz .LBB232_134
; %bb.129:
	s_mov_b32 s4, exec_lo
	v_cmpx_le_u32_e64 v10, v0
	s_xor_b32 s4, exec_lo, s4
	s_cbranch_execz .LBB232_131
; %bb.130:
	v_lshlrev_b32_e32 v11, 2, v0
	ds_load_b32 v13, v11
	v_add_co_u32 v11, vcc_lo, v3, v0
	v_add_co_ci_u32_e32 v12, vcc_lo, 0, v9, vcc_lo
	s_delay_alu instid0(VALU_DEP_1) | instskip(NEXT) | instid1(VALU_DEP_1)
	v_lshlrev_b64 v[11:12], 2, v[11:12]
	v_sub_co_u32 v11, vcc_lo, s26, v11
	s_delay_alu instid0(VALU_DEP_2)
	v_sub_co_ci_u32_e32 v12, vcc_lo, s27, v12, vcc_lo
	s_waitcnt lgkmcnt(0)
	global_store_b32 v[11:12], v13, off offset:-4
.LBB232_131:
	s_and_not1_saveexec_b32 s4, s4
	s_cbranch_execz .LBB232_133
; %bb.132:
	v_lshlrev_b32_e32 v11, 2, v0
	v_readfirstlane_b32 s6, v5
	v_readfirstlane_b32 s7, v6
	ds_load_b32 v12, v11
	s_waitcnt lgkmcnt(0)
	global_store_b32 v11, v12, s[6:7]
.LBB232_133:
	s_or_b32 exec_lo, exec_lo, s4
.LBB232_134:
	s_and_not1_saveexec_b32 s2, s2
	s_cbranch_execz .LBB232_136
; %bb.135:
	v_lshlrev_b32_e32 v11, 2, v0
	v_readfirstlane_b32 s4, v7
	v_readfirstlane_b32 s5, v8
	ds_load_b32 v12, v11
	s_waitcnt lgkmcnt(0)
	global_store_b32 v11, v12, s[4:5]
.LBB232_136:
	s_or_b32 exec_lo, exec_lo, s2
	v_or_b32_e32 v11, 0x100, v0
	s_mov_b32 s2, exec_lo
	s_delay_alu instid0(VALU_DEP_1)
	v_cmpx_le_u32_e64 v1, v11
	s_xor_b32 s2, exec_lo, s2
	s_cbranch_execz .LBB232_142
; %bb.137:
	s_mov_b32 s4, exec_lo
	v_cmpx_le_u32_e64 v10, v11
	s_xor_b32 s4, exec_lo, s4
	s_cbranch_execz .LBB232_139
; %bb.138:
	v_lshlrev_b32_e32 v11, 2, v0
	ds_load_b32 v13, v11 offset:1024
	v_add_co_u32 v11, vcc_lo, v3, v0
	v_add_co_ci_u32_e32 v12, vcc_lo, 0, v9, vcc_lo
	s_delay_alu instid0(VALU_DEP_1) | instskip(NEXT) | instid1(VALU_DEP_1)
	v_lshlrev_b64 v[11:12], 2, v[11:12]
	v_sub_co_u32 v11, vcc_lo, s1, v11
	s_delay_alu instid0(VALU_DEP_2)
	v_sub_co_ci_u32_e32 v12, vcc_lo, s0, v12, vcc_lo
	s_waitcnt lgkmcnt(0)
	global_store_b32 v[11:12], v13, off offset:-1024
.LBB232_139:
	s_and_not1_saveexec_b32 s4, s4
	s_cbranch_execz .LBB232_141
; %bb.140:
	v_lshlrev_b32_e32 v11, 2, v0
	v_readfirstlane_b32 s6, v5
	v_readfirstlane_b32 s7, v6
	ds_load_b32 v12, v11 offset:1024
	s_waitcnt lgkmcnt(0)
	global_store_b32 v11, v12, s[6:7] offset:1024
.LBB232_141:
	s_or_b32 exec_lo, exec_lo, s4
.LBB232_142:
	s_and_not1_saveexec_b32 s2, s2
	s_cbranch_execz .LBB232_144
; %bb.143:
	v_lshlrev_b32_e32 v11, 2, v0
	v_readfirstlane_b32 s4, v7
	v_readfirstlane_b32 s5, v8
	ds_load_b32 v12, v11 offset:1024
	s_waitcnt lgkmcnt(0)
	global_store_b32 v11, v12, s[4:5] offset:1024
.LBB232_144:
	s_or_b32 exec_lo, exec_lo, s2
	v_or_b32_e32 v11, 0x200, v0
	s_mov_b32 s2, exec_lo
	s_delay_alu instid0(VALU_DEP_1)
	v_cmpx_le_u32_e64 v1, v11
	s_xor_b32 s2, exec_lo, s2
	s_cbranch_execz .LBB232_150
; %bb.145:
	s_mov_b32 s4, exec_lo
	v_cmpx_le_u32_e64 v10, v11
	s_xor_b32 s4, exec_lo, s4
	s_cbranch_execz .LBB232_147
; %bb.146:
	v_lshlrev_b32_e32 v11, 2, v0
	ds_load_b32 v13, v11 offset:2048
	v_add_co_u32 v11, vcc_lo, v3, v0
	v_add_co_ci_u32_e32 v12, vcc_lo, 0, v9, vcc_lo
	s_delay_alu instid0(VALU_DEP_1) | instskip(NEXT) | instid1(VALU_DEP_1)
	v_lshlrev_b64 v[11:12], 2, v[11:12]
	v_sub_co_u32 v11, vcc_lo, s1, v11
	s_delay_alu instid0(VALU_DEP_2)
	v_sub_co_ci_u32_e32 v12, vcc_lo, s0, v12, vcc_lo
	s_waitcnt lgkmcnt(0)
	global_store_b32 v[11:12], v13, off offset:-2048
.LBB232_147:
	s_and_not1_saveexec_b32 s4, s4
	s_cbranch_execz .LBB232_149
; %bb.148:
	v_lshlrev_b32_e32 v11, 2, v0
	v_readfirstlane_b32 s6, v5
	v_readfirstlane_b32 s7, v6
	ds_load_b32 v12, v11 offset:2048
	s_waitcnt lgkmcnt(0)
	global_store_b32 v11, v12, s[6:7] offset:2048
.LBB232_149:
	s_or_b32 exec_lo, exec_lo, s4
.LBB232_150:
	s_and_not1_saveexec_b32 s2, s2
	s_cbranch_execz .LBB232_152
; %bb.151:
	v_lshlrev_b32_e32 v11, 2, v0
	v_readfirstlane_b32 s4, v7
	v_readfirstlane_b32 s5, v8
	ds_load_b32 v12, v11 offset:2048
	s_waitcnt lgkmcnt(0)
	global_store_b32 v11, v12, s[4:5] offset:2048
.LBB232_152:
	;; [unrolled: 47-line block ×3, first 2 shown]
	s_or_b32 exec_lo, exec_lo, s2
	v_or_b32_e32 v11, 0x400, v0
	s_mov_b32 s2, exec_lo
	s_delay_alu instid0(VALU_DEP_1)
	v_cmpx_le_u32_e64 v1, v11
	s_xor_b32 s2, exec_lo, s2
	s_cbranch_execz .LBB232_166
; %bb.161:
	s_mov_b32 s4, exec_lo
	v_cmpx_le_u32_e64 v10, v11
	s_xor_b32 s4, exec_lo, s4
	s_cbranch_execz .LBB232_163
; %bb.162:
	v_lshlrev_b32_e32 v11, 2, v0
	ds_load_b32 v13, v11 offset:4096
	v_add_co_u32 v11, vcc_lo, v3, v0
	v_add_co_ci_u32_e32 v12, vcc_lo, 0, v9, vcc_lo
	s_delay_alu instid0(VALU_DEP_1) | instskip(NEXT) | instid1(VALU_DEP_1)
	v_lshlrev_b64 v[11:12], 2, v[11:12]
	v_sub_co_u32 v11, vcc_lo, s1, v11
	s_delay_alu instid0(VALU_DEP_2)
	v_sub_co_ci_u32_e32 v12, vcc_lo, s0, v12, vcc_lo
	s_waitcnt lgkmcnt(0)
	global_store_b32 v[11:12], v13, off offset:-4096
                                        ; implicit-def: $vgpr11
.LBB232_163:
	s_and_not1_saveexec_b32 s4, s4
	s_cbranch_execz .LBB232_165
; %bb.164:
	v_lshlrev_b32_e32 v12, 2, v0
	v_lshlrev_b32_e32 v11, 2, v11
	v_readfirstlane_b32 s6, v5
	v_readfirstlane_b32 s7, v6
	ds_load_b32 v12, v12 offset:4096
	s_waitcnt lgkmcnt(0)
	global_store_b32 v11, v12, s[6:7]
.LBB232_165:
	s_or_b32 exec_lo, exec_lo, s4
                                        ; implicit-def: $vgpr11
.LBB232_166:
	s_and_not1_saveexec_b32 s2, s2
	s_cbranch_execz .LBB232_168
; %bb.167:
	v_lshlrev_b32_e32 v12, 2, v0
	v_lshlrev_b32_e32 v11, 2, v11
	v_readfirstlane_b32 s4, v7
	v_readfirstlane_b32 s5, v8
	ds_load_b32 v12, v12 offset:4096
	s_waitcnt lgkmcnt(0)
	global_store_b32 v11, v12, s[4:5]
.LBB232_168:
	s_or_b32 exec_lo, exec_lo, s2
	v_or_b32_e32 v11, 0x500, v0
	s_mov_b32 s2, exec_lo
	s_delay_alu instid0(VALU_DEP_1)
	v_cmpx_le_u32_e64 v1, v11
	s_xor_b32 s2, exec_lo, s2
	s_cbranch_execz .LBB232_174
; %bb.169:
	s_mov_b32 s4, exec_lo
	v_cmpx_le_u32_e64 v10, v11
	s_xor_b32 s4, exec_lo, s4
	s_cbranch_execz .LBB232_171
; %bb.170:
	v_lshlrev_b32_e32 v12, 2, v0
	v_add_co_u32 v11, vcc_lo, v3, v11
	ds_load_b32 v13, v12 offset:5120
	v_add_co_ci_u32_e32 v12, vcc_lo, 0, v9, vcc_lo
	s_delay_alu instid0(VALU_DEP_1) | instskip(NEXT) | instid1(VALU_DEP_1)
	v_lshlrev_b64 v[11:12], 2, v[11:12]
	v_sub_co_u32 v11, vcc_lo, s1, v11
	s_delay_alu instid0(VALU_DEP_2)
	v_sub_co_ci_u32_e32 v12, vcc_lo, s0, v12, vcc_lo
	s_waitcnt lgkmcnt(0)
	global_store_b32 v[11:12], v13, off
                                        ; implicit-def: $vgpr11
.LBB232_171:
	s_and_not1_saveexec_b32 s4, s4
	s_cbranch_execz .LBB232_173
; %bb.172:
	v_lshlrev_b32_e32 v12, 2, v0
	v_lshlrev_b32_e32 v11, 2, v11
	v_readfirstlane_b32 s6, v5
	v_readfirstlane_b32 s7, v6
	ds_load_b32 v12, v12 offset:5120
	s_waitcnt lgkmcnt(0)
	global_store_b32 v11, v12, s[6:7]
.LBB232_173:
	s_or_b32 exec_lo, exec_lo, s4
                                        ; implicit-def: $vgpr11
.LBB232_174:
	s_and_not1_saveexec_b32 s2, s2
	s_cbranch_execz .LBB232_176
; %bb.175:
	v_lshlrev_b32_e32 v12, 2, v0
	v_lshlrev_b32_e32 v11, 2, v11
	v_readfirstlane_b32 s4, v7
	v_readfirstlane_b32 s5, v8
	ds_load_b32 v12, v12 offset:5120
	s_waitcnt lgkmcnt(0)
	global_store_b32 v11, v12, s[4:5]
.LBB232_176:
	s_or_b32 exec_lo, exec_lo, s2
	v_or_b32_e32 v11, 0x600, v0
	s_mov_b32 s2, exec_lo
	s_delay_alu instid0(VALU_DEP_1)
	v_cmpx_le_u32_e64 v1, v11
	s_xor_b32 s2, exec_lo, s2
	s_cbranch_execz .LBB232_182
; %bb.177:
	s_mov_b32 s4, exec_lo
	v_cmpx_le_u32_e64 v10, v11
	s_xor_b32 s4, exec_lo, s4
	s_cbranch_execz .LBB232_179
; %bb.178:
	v_lshlrev_b32_e32 v12, 2, v0
	v_add_co_u32 v11, vcc_lo, v3, v11
	ds_load_b32 v13, v12 offset:6144
	v_add_co_ci_u32_e32 v12, vcc_lo, 0, v9, vcc_lo
	s_delay_alu instid0(VALU_DEP_1) | instskip(NEXT) | instid1(VALU_DEP_1)
	v_lshlrev_b64 v[11:12], 2, v[11:12]
	v_sub_co_u32 v11, vcc_lo, s1, v11
	s_delay_alu instid0(VALU_DEP_2)
	v_sub_co_ci_u32_e32 v12, vcc_lo, s0, v12, vcc_lo
	s_waitcnt lgkmcnt(0)
	global_store_b32 v[11:12], v13, off
                                        ; implicit-def: $vgpr11
.LBB232_179:
	s_and_not1_saveexec_b32 s4, s4
	s_cbranch_execz .LBB232_181
; %bb.180:
	v_lshlrev_b32_e32 v12, 2, v0
	v_lshlrev_b32_e32 v11, 2, v11
	v_readfirstlane_b32 s6, v5
	v_readfirstlane_b32 s7, v6
	ds_load_b32 v12, v12 offset:6144
	s_waitcnt lgkmcnt(0)
	global_store_b32 v11, v12, s[6:7]
.LBB232_181:
	s_or_b32 exec_lo, exec_lo, s4
                                        ; implicit-def: $vgpr11
.LBB232_182:
	;; [unrolled: 51-line block ×8, first 2 shown]
	s_and_not1_saveexec_b32 s2, s2
	s_cbranch_execz .LBB232_232
; %bb.231:
	v_lshlrev_b32_e32 v12, 2, v0
	v_lshlrev_b32_e32 v11, 2, v11
	v_readfirstlane_b32 s4, v7
	v_readfirstlane_b32 s5, v8
	ds_load_b32 v12, v12 offset:12288
	s_waitcnt lgkmcnt(0)
	global_store_b32 v11, v12, s[4:5]
.LBB232_232:
	s_or_b32 exec_lo, exec_lo, s2
	s_branch .LBB232_126
.LBB232_233:
	s_mov_b32 s2, exec_lo
	v_cmpx_gt_u32_e64 s3, v0
	s_cbranch_execz .LBB232_242
; %bb.234:
	s_mov_b32 s4, exec_lo
	v_cmpx_le_u32_e64 v1, v0
	s_xor_b32 s4, exec_lo, s4
	s_cbranch_execz .LBB232_240
; %bb.235:
	s_mov_b32 s5, exec_lo
	v_cmpx_le_u32_e64 v10, v0
	s_xor_b32 s5, exec_lo, s5
	s_cbranch_execz .LBB232_237
; %bb.236:
	v_lshlrev_b32_e32 v11, 2, v0
	ds_load_b32 v13, v11
	v_add_co_u32 v11, vcc_lo, v3, v0
	v_add_co_ci_u32_e32 v12, vcc_lo, 0, v9, vcc_lo
	s_delay_alu instid0(VALU_DEP_1) | instskip(NEXT) | instid1(VALU_DEP_1)
	v_lshlrev_b64 v[11:12], 2, v[11:12]
	v_sub_co_u32 v11, vcc_lo, s26, v11
	s_delay_alu instid0(VALU_DEP_2)
	v_sub_co_ci_u32_e32 v12, vcc_lo, s27, v12, vcc_lo
	s_waitcnt lgkmcnt(0)
	global_store_b32 v[11:12], v13, off offset:-4
.LBB232_237:
	s_and_not1_saveexec_b32 s5, s5
	s_cbranch_execz .LBB232_239
; %bb.238:
	v_lshlrev_b32_e32 v11, 2, v0
	v_readfirstlane_b32 s6, v5
	v_readfirstlane_b32 s7, v6
	ds_load_b32 v12, v11
	s_waitcnt lgkmcnt(0)
	global_store_b32 v11, v12, s[6:7]
.LBB232_239:
	s_or_b32 exec_lo, exec_lo, s5
.LBB232_240:
	s_and_not1_saveexec_b32 s4, s4
	s_cbranch_execz .LBB232_242
; %bb.241:
	v_lshlrev_b32_e32 v11, 2, v0
	v_readfirstlane_b32 s4, v7
	v_readfirstlane_b32 s5, v8
	ds_load_b32 v12, v11
	s_waitcnt lgkmcnt(0)
	global_store_b32 v11, v12, s[4:5]
.LBB232_242:
	s_or_b32 exec_lo, exec_lo, s2
	v_or_b32_e32 v11, 0x100, v0
	s_mov_b32 s2, exec_lo
	s_delay_alu instid0(VALU_DEP_1)
	v_cmpx_gt_u32_e64 s3, v11
	s_cbranch_execz .LBB232_251
; %bb.243:
	s_mov_b32 s4, exec_lo
	v_cmpx_le_u32_e64 v1, v11
	s_xor_b32 s4, exec_lo, s4
	s_cbranch_execz .LBB232_249
; %bb.244:
	s_mov_b32 s5, exec_lo
	v_cmpx_le_u32_e64 v10, v11
	s_xor_b32 s5, exec_lo, s5
	s_cbranch_execz .LBB232_246
; %bb.245:
	v_lshlrev_b32_e32 v11, 2, v0
	ds_load_b32 v13, v11 offset:1024
	v_add_co_u32 v11, vcc_lo, v3, v0
	v_add_co_ci_u32_e32 v12, vcc_lo, 0, v9, vcc_lo
	s_delay_alu instid0(VALU_DEP_1) | instskip(NEXT) | instid1(VALU_DEP_1)
	v_lshlrev_b64 v[11:12], 2, v[11:12]
	v_sub_co_u32 v11, vcc_lo, s1, v11
	s_delay_alu instid0(VALU_DEP_2)
	v_sub_co_ci_u32_e32 v12, vcc_lo, s0, v12, vcc_lo
	s_waitcnt lgkmcnt(0)
	global_store_b32 v[11:12], v13, off offset:-1024
.LBB232_246:
	s_and_not1_saveexec_b32 s5, s5
	s_cbranch_execz .LBB232_248
; %bb.247:
	v_lshlrev_b32_e32 v11, 2, v0
	v_readfirstlane_b32 s6, v5
	v_readfirstlane_b32 s7, v6
	ds_load_b32 v12, v11 offset:1024
	s_waitcnt lgkmcnt(0)
	global_store_b32 v11, v12, s[6:7] offset:1024
.LBB232_248:
	s_or_b32 exec_lo, exec_lo, s5
.LBB232_249:
	s_and_not1_saveexec_b32 s4, s4
	s_cbranch_execz .LBB232_251
; %bb.250:
	v_lshlrev_b32_e32 v11, 2, v0
	v_readfirstlane_b32 s4, v7
	v_readfirstlane_b32 s5, v8
	ds_load_b32 v12, v11 offset:1024
	s_waitcnt lgkmcnt(0)
	global_store_b32 v11, v12, s[4:5] offset:1024
.LBB232_251:
	s_or_b32 exec_lo, exec_lo, s2
	v_or_b32_e32 v11, 0x200, v0
	s_mov_b32 s2, exec_lo
	s_delay_alu instid0(VALU_DEP_1)
	v_cmpx_gt_u32_e64 s3, v11
	s_cbranch_execz .LBB232_260
; %bb.252:
	s_mov_b32 s4, exec_lo
	v_cmpx_le_u32_e64 v1, v11
	s_xor_b32 s4, exec_lo, s4
	s_cbranch_execz .LBB232_258
; %bb.253:
	s_mov_b32 s5, exec_lo
	v_cmpx_le_u32_e64 v10, v11
	s_xor_b32 s5, exec_lo, s5
	s_cbranch_execz .LBB232_255
; %bb.254:
	v_lshlrev_b32_e32 v11, 2, v0
	ds_load_b32 v13, v11 offset:2048
	v_add_co_u32 v11, vcc_lo, v3, v0
	v_add_co_ci_u32_e32 v12, vcc_lo, 0, v9, vcc_lo
	s_delay_alu instid0(VALU_DEP_1) | instskip(NEXT) | instid1(VALU_DEP_1)
	v_lshlrev_b64 v[11:12], 2, v[11:12]
	v_sub_co_u32 v11, vcc_lo, s1, v11
	s_delay_alu instid0(VALU_DEP_2)
	v_sub_co_ci_u32_e32 v12, vcc_lo, s0, v12, vcc_lo
	s_waitcnt lgkmcnt(0)
	global_store_b32 v[11:12], v13, off offset:-2048
.LBB232_255:
	s_and_not1_saveexec_b32 s5, s5
	s_cbranch_execz .LBB232_257
; %bb.256:
	v_lshlrev_b32_e32 v11, 2, v0
	v_readfirstlane_b32 s6, v5
	v_readfirstlane_b32 s7, v6
	ds_load_b32 v12, v11 offset:2048
	s_waitcnt lgkmcnt(0)
	global_store_b32 v11, v12, s[6:7] offset:2048
.LBB232_257:
	s_or_b32 exec_lo, exec_lo, s5
.LBB232_258:
	s_and_not1_saveexec_b32 s4, s4
	s_cbranch_execz .LBB232_260
; %bb.259:
	v_lshlrev_b32_e32 v11, 2, v0
	v_readfirstlane_b32 s4, v7
	v_readfirstlane_b32 s5, v8
	ds_load_b32 v12, v11 offset:2048
	s_waitcnt lgkmcnt(0)
	global_store_b32 v11, v12, s[4:5] offset:2048
.LBB232_260:
	;; [unrolled: 51-line block ×3, first 2 shown]
	s_or_b32 exec_lo, exec_lo, s2
	v_or_b32_e32 v11, 0x400, v0
	s_mov_b32 s2, exec_lo
	s_delay_alu instid0(VALU_DEP_1)
	v_cmpx_gt_u32_e64 s3, v11
	s_cbranch_execz .LBB232_278
; %bb.270:
	s_mov_b32 s4, exec_lo
	v_cmpx_le_u32_e64 v1, v11
	s_xor_b32 s4, exec_lo, s4
	s_cbranch_execz .LBB232_276
; %bb.271:
	s_mov_b32 s5, exec_lo
	v_cmpx_le_u32_e64 v10, v11
	s_xor_b32 s5, exec_lo, s5
	s_cbranch_execz .LBB232_273
; %bb.272:
	v_lshlrev_b32_e32 v11, 2, v0
	ds_load_b32 v13, v11 offset:4096
	v_add_co_u32 v11, vcc_lo, v3, v0
	v_add_co_ci_u32_e32 v12, vcc_lo, 0, v9, vcc_lo
	s_delay_alu instid0(VALU_DEP_1) | instskip(NEXT) | instid1(VALU_DEP_1)
	v_lshlrev_b64 v[11:12], 2, v[11:12]
	v_sub_co_u32 v11, vcc_lo, s1, v11
	s_delay_alu instid0(VALU_DEP_2)
	v_sub_co_ci_u32_e32 v12, vcc_lo, s0, v12, vcc_lo
	s_waitcnt lgkmcnt(0)
	global_store_b32 v[11:12], v13, off offset:-4096
                                        ; implicit-def: $vgpr11
.LBB232_273:
	s_and_not1_saveexec_b32 s5, s5
	s_cbranch_execz .LBB232_275
; %bb.274:
	v_lshlrev_b32_e32 v12, 2, v0
	v_lshlrev_b32_e32 v11, 2, v11
	v_readfirstlane_b32 s6, v5
	v_readfirstlane_b32 s7, v6
	ds_load_b32 v12, v12 offset:4096
	s_waitcnt lgkmcnt(0)
	global_store_b32 v11, v12, s[6:7]
.LBB232_275:
	s_or_b32 exec_lo, exec_lo, s5
                                        ; implicit-def: $vgpr11
.LBB232_276:
	s_and_not1_saveexec_b32 s4, s4
	s_cbranch_execz .LBB232_278
; %bb.277:
	v_lshlrev_b32_e32 v12, 2, v0
	v_lshlrev_b32_e32 v11, 2, v11
	v_readfirstlane_b32 s4, v7
	v_readfirstlane_b32 s5, v8
	ds_load_b32 v12, v12 offset:4096
	s_waitcnt lgkmcnt(0)
	global_store_b32 v11, v12, s[4:5]
.LBB232_278:
	s_or_b32 exec_lo, exec_lo, s2
	v_or_b32_e32 v11, 0x500, v0
	s_mov_b32 s2, exec_lo
	s_delay_alu instid0(VALU_DEP_1)
	v_cmpx_gt_u32_e64 s3, v11
	s_cbranch_execz .LBB232_287
; %bb.279:
	s_mov_b32 s4, exec_lo
	v_cmpx_le_u32_e64 v1, v11
	s_xor_b32 s4, exec_lo, s4
	s_cbranch_execz .LBB232_285
; %bb.280:
	s_mov_b32 s5, exec_lo
	v_cmpx_le_u32_e64 v10, v11
	s_xor_b32 s5, exec_lo, s5
	s_cbranch_execz .LBB232_282
; %bb.281:
	v_lshlrev_b32_e32 v12, 2, v0
	v_add_co_u32 v11, vcc_lo, v3, v11
	ds_load_b32 v13, v12 offset:5120
	v_add_co_ci_u32_e32 v12, vcc_lo, 0, v9, vcc_lo
	s_delay_alu instid0(VALU_DEP_1) | instskip(NEXT) | instid1(VALU_DEP_1)
	v_lshlrev_b64 v[11:12], 2, v[11:12]
	v_sub_co_u32 v11, vcc_lo, s1, v11
	s_delay_alu instid0(VALU_DEP_2)
	v_sub_co_ci_u32_e32 v12, vcc_lo, s0, v12, vcc_lo
	s_waitcnt lgkmcnt(0)
	global_store_b32 v[11:12], v13, off
                                        ; implicit-def: $vgpr11
.LBB232_282:
	s_and_not1_saveexec_b32 s5, s5
	s_cbranch_execz .LBB232_284
; %bb.283:
	v_lshlrev_b32_e32 v12, 2, v0
	v_lshlrev_b32_e32 v11, 2, v11
	v_readfirstlane_b32 s6, v5
	v_readfirstlane_b32 s7, v6
	ds_load_b32 v12, v12 offset:5120
	s_waitcnt lgkmcnt(0)
	global_store_b32 v11, v12, s[6:7]
.LBB232_284:
	s_or_b32 exec_lo, exec_lo, s5
                                        ; implicit-def: $vgpr11
.LBB232_285:
	s_and_not1_saveexec_b32 s4, s4
	s_cbranch_execz .LBB232_287
; %bb.286:
	v_lshlrev_b32_e32 v12, 2, v0
	v_lshlrev_b32_e32 v11, 2, v11
	v_readfirstlane_b32 s4, v7
	v_readfirstlane_b32 s5, v8
	ds_load_b32 v12, v12 offset:5120
	s_waitcnt lgkmcnt(0)
	global_store_b32 v11, v12, s[4:5]
.LBB232_287:
	s_or_b32 exec_lo, exec_lo, s2
	v_or_b32_e32 v11, 0x600, v0
	s_mov_b32 s2, exec_lo
	s_delay_alu instid0(VALU_DEP_1)
	v_cmpx_gt_u32_e64 s3, v11
	s_cbranch_execz .LBB232_296
; %bb.288:
	s_mov_b32 s4, exec_lo
	v_cmpx_le_u32_e64 v1, v11
	s_xor_b32 s4, exec_lo, s4
	s_cbranch_execz .LBB232_294
; %bb.289:
	s_mov_b32 s5, exec_lo
	v_cmpx_le_u32_e64 v10, v11
	s_xor_b32 s5, exec_lo, s5
	s_cbranch_execz .LBB232_291
; %bb.290:
	v_lshlrev_b32_e32 v12, 2, v0
	v_add_co_u32 v11, vcc_lo, v3, v11
	ds_load_b32 v13, v12 offset:6144
	v_add_co_ci_u32_e32 v12, vcc_lo, 0, v9, vcc_lo
	s_delay_alu instid0(VALU_DEP_1) | instskip(NEXT) | instid1(VALU_DEP_1)
	v_lshlrev_b64 v[11:12], 2, v[11:12]
	v_sub_co_u32 v11, vcc_lo, s1, v11
	s_delay_alu instid0(VALU_DEP_2)
	v_sub_co_ci_u32_e32 v12, vcc_lo, s0, v12, vcc_lo
	s_waitcnt lgkmcnt(0)
	global_store_b32 v[11:12], v13, off
                                        ; implicit-def: $vgpr11
.LBB232_291:
	s_and_not1_saveexec_b32 s5, s5
	s_cbranch_execz .LBB232_293
; %bb.292:
	v_lshlrev_b32_e32 v12, 2, v0
	v_lshlrev_b32_e32 v11, 2, v11
	v_readfirstlane_b32 s6, v5
	v_readfirstlane_b32 s7, v6
	ds_load_b32 v12, v12 offset:6144
	s_waitcnt lgkmcnt(0)
	global_store_b32 v11, v12, s[6:7]
.LBB232_293:
	s_or_b32 exec_lo, exec_lo, s5
                                        ; implicit-def: $vgpr11
.LBB232_294:
	s_and_not1_saveexec_b32 s4, s4
	s_cbranch_execz .LBB232_296
; %bb.295:
	v_lshlrev_b32_e32 v12, 2, v0
	v_lshlrev_b32_e32 v11, 2, v11
	v_readfirstlane_b32 s4, v7
	v_readfirstlane_b32 s5, v8
	ds_load_b32 v12, v12 offset:6144
	s_waitcnt lgkmcnt(0)
	global_store_b32 v11, v12, s[4:5]
.LBB232_296:
	;; [unrolled: 55-line block ×7, first 2 shown]
	s_or_b32 exec_lo, exec_lo, s2
	v_or_b32_e32 v11, 0xc00, v0
	s_mov_b32 s2, exec_lo
	s_delay_alu instid0(VALU_DEP_1)
	v_cmpx_gt_u32_e64 s3, v11
	s_cbranch_execz .LBB232_350
; %bb.342:
	s_mov_b32 s3, exec_lo
	v_cmpx_le_u32_e64 v1, v11
	s_xor_b32 s3, exec_lo, s3
	s_cbranch_execz .LBB232_348
; %bb.343:
	s_mov_b32 s4, exec_lo
	v_cmpx_le_u32_e64 v10, v11
	s_xor_b32 s4, exec_lo, s4
	s_cbranch_execz .LBB232_345
; %bb.344:
	v_lshlrev_b32_e32 v5, 2, v0
	ds_load_b32 v7, v5 offset:12288
	v_add_co_u32 v5, vcc_lo, v3, v11
	v_add_co_ci_u32_e32 v6, vcc_lo, 0, v9, vcc_lo
                                        ; implicit-def: $vgpr11
	s_delay_alu instid0(VALU_DEP_1) | instskip(NEXT) | instid1(VALU_DEP_1)
	v_lshlrev_b64 v[5:6], 2, v[5:6]
	v_sub_co_u32 v5, vcc_lo, s1, v5
	s_delay_alu instid0(VALU_DEP_2)
	v_sub_co_ci_u32_e32 v6, vcc_lo, s0, v6, vcc_lo
	s_waitcnt lgkmcnt(0)
	global_store_b32 v[5:6], v7, off
                                        ; implicit-def: $vgpr5_vgpr6
.LBB232_345:
	s_and_not1_saveexec_b32 s0, s4
	s_cbranch_execz .LBB232_347
; %bb.346:
	v_lshlrev_b32_e32 v3, 2, v0
	v_lshlrev_b32_e32 v7, 2, v11
	v_readfirstlane_b32 s4, v5
	v_readfirstlane_b32 s5, v6
	ds_load_b32 v3, v3 offset:12288
	s_waitcnt lgkmcnt(0)
	global_store_b32 v7, v3, s[4:5]
.LBB232_347:
	s_or_b32 exec_lo, exec_lo, s0
                                        ; implicit-def: $vgpr11
                                        ; implicit-def: $vgpr7_vgpr8
.LBB232_348:
	s_and_not1_saveexec_b32 s0, s3
	s_cbranch_execz .LBB232_350
; %bb.349:
	v_lshlrev_b32_e32 v3, 2, v0
	v_lshlrev_b32_e32 v5, 2, v11
	v_readfirstlane_b32 s0, v7
	v_readfirstlane_b32 s1, v8
	ds_load_b32 v3, v3 offset:12288
	s_waitcnt lgkmcnt(0)
	global_store_b32 v5, v3, s[0:1]
.LBB232_350:
	s_or_b32 exec_lo, exec_lo, s2
	v_cmp_eq_u32_e32 vcc_lo, 0, v0
	s_and_b32 s0, vcc_lo, s14
	s_delay_alu instid0(SALU_CYCLE_1)
	s_and_saveexec_b32 s1, s0
	s_cbranch_execz .LBB232_127
.LBB232_351:
	v_add_co_u32 v2, s0, s30, v2
	s_delay_alu instid0(VALU_DEP_1) | instskip(SKIP_2) | instid1(VALU_DEP_4)
	v_add_co_ci_u32_e64 v3, null, s31, 0, s0
	v_add_co_u32 v0, vcc_lo, v18, v1
	v_add_co_ci_u32_e32 v1, vcc_lo, 0, v19, vcc_lo
	v_add_co_u32 v2, vcc_lo, v2, v4
	v_mov_b32_e32 v5, 0
	v_add_co_ci_u32_e32 v3, vcc_lo, 0, v3, vcc_lo
	global_store_b128 v5, v[0:3], s[24:25]
	s_nop 0
	s_sendmsg sendmsg(MSG_DEALLOC_VGPRS)
	s_endpgm
.LBB232_352:
	v_add_nc_u32_e32 v3, s7, v23
	s_add_i32 s10, s15, 32
	s_mov_b32 s11, 0
	v_dual_mov_b32 v5, 0 :: v_dual_add_nc_u32 v2, v22, v1
	s_lshl_b64 s[10:11], s[10:11], 4
	v_and_b32_e32 v20, 0xff0000, v3
	s_add_u32 s10, s4, s10
	s_addc_u32 s11, s5, s11
	v_and_b32_e32 v4, 0xff000000, v3
	s_delay_alu instid0(VALU_DEP_1) | instskip(SKIP_2) | instid1(VALU_DEP_1)
	v_or_b32_e32 v20, v20, v4
	v_dual_mov_b32 v4, 2 :: v_dual_and_b32 v21, 0xff00, v3
	v_and_b32_e32 v3, 0xff, v3
	v_or3_b32 v3, v20, v21, v3
	v_dual_mov_b32 v21, s11 :: v_dual_mov_b32 v20, s10
	;;#ASMSTART
	global_store_dwordx4 v[20:21], v[2:5] off	
s_waitcnt vmcnt(0)
	;;#ASMEND
	s_or_b32 exec_lo, exec_lo, s8
	s_and_saveexec_b32 s8, s2
	s_cbranch_execz .LBB232_111
.LBB232_353:
	v_mov_b32_e32 v2, s7
	v_add_nc_u32_e64 v3, 0x3400, 0
	ds_store_2addr_b32 v3, v1, v2 offset1:2
	ds_store_2addr_b32 v3, v22, v23 offset0:4 offset1:6
	s_or_b32 exec_lo, exec_lo, s8
	v_cmp_eq_u32_e32 vcc_lo, 0, v0
	s_and_b32 exec_lo, exec_lo, vcc_lo
	s_cbranch_execnz .LBB232_112
	s_branch .LBB232_113
	.section	.rodata,"a",@progbits
	.p2align	6, 0x0
	.amdhsa_kernel _ZN7rocprim17ROCPRIM_400000_NS6detail17trampoline_kernelINS0_13select_configILj256ELj13ELNS0_17block_load_methodE3ELS4_3ELS4_3ELNS0_20block_scan_algorithmE0ELj4294967295EEENS1_25partition_config_selectorILNS1_17partition_subalgoE4EjNS0_10empty_typeEbEEZZNS1_14partition_implILS8_4ELb0ES6_15HIP_vector_typeIjLj2EENS0_17counting_iteratorIjlEEPS9_SG_NS0_5tupleIJPjSI_NS0_16reverse_iteratorISI_EEEEENSH_IJSG_SG_SG_EEES9_SI_JZNS1_25segmented_radix_sort_implINS0_14default_configELb1EPKaPaPKlPlN2at6native12_GLOBAL__N_18offset_tEEE10hipError_tPvRmT1_PNSt15iterator_traitsIS12_E10value_typeET2_T3_PNS13_IS18_E10value_typeET4_jRbjT5_S1E_jjP12ihipStream_tbEUljE_ZNSN_ISO_Lb1ESQ_SR_ST_SU_SY_EESZ_S10_S11_S12_S16_S17_S18_S1B_S1C_jS1D_jS1E_S1E_jjS1G_bEUljE0_EEESZ_S10_S11_S18_S1C_S1E_T6_T7_T9_mT8_S1G_bDpT10_ENKUlT_T0_E_clISt17integral_constantIbLb0EES1U_EEDaS1P_S1Q_EUlS1P_E_NS1_11comp_targetILNS1_3genE9ELNS1_11target_archE1100ELNS1_3gpuE3ELNS1_3repE0EEENS1_30default_config_static_selectorELNS0_4arch9wavefront6targetE0EEEvS12_
		.amdhsa_group_segment_fixed_size 13340
		.amdhsa_private_segment_fixed_size 0
		.amdhsa_kernarg_size 176
		.amdhsa_user_sgpr_count 15
		.amdhsa_user_sgpr_dispatch_ptr 0
		.amdhsa_user_sgpr_queue_ptr 0
		.amdhsa_user_sgpr_kernarg_segment_ptr 1
		.amdhsa_user_sgpr_dispatch_id 0
		.amdhsa_user_sgpr_private_segment_size 0
		.amdhsa_wavefront_size32 1
		.amdhsa_uses_dynamic_stack 0
		.amdhsa_enable_private_segment 0
		.amdhsa_system_sgpr_workgroup_id_x 1
		.amdhsa_system_sgpr_workgroup_id_y 0
		.amdhsa_system_sgpr_workgroup_id_z 0
		.amdhsa_system_sgpr_workgroup_info 0
		.amdhsa_system_vgpr_workitem_id 0
		.amdhsa_next_free_vgpr 98
		.amdhsa_next_free_sgpr 59
		.amdhsa_reserve_vcc 1
		.amdhsa_float_round_mode_32 0
		.amdhsa_float_round_mode_16_64 0
		.amdhsa_float_denorm_mode_32 3
		.amdhsa_float_denorm_mode_16_64 3
		.amdhsa_dx10_clamp 1
		.amdhsa_ieee_mode 1
		.amdhsa_fp16_overflow 0
		.amdhsa_workgroup_processor_mode 1
		.amdhsa_memory_ordered 1
		.amdhsa_forward_progress 0
		.amdhsa_shared_vgpr_count 0
		.amdhsa_exception_fp_ieee_invalid_op 0
		.amdhsa_exception_fp_denorm_src 0
		.amdhsa_exception_fp_ieee_div_zero 0
		.amdhsa_exception_fp_ieee_overflow 0
		.amdhsa_exception_fp_ieee_underflow 0
		.amdhsa_exception_fp_ieee_inexact 0
		.amdhsa_exception_int_div_zero 0
	.end_amdhsa_kernel
	.section	.text._ZN7rocprim17ROCPRIM_400000_NS6detail17trampoline_kernelINS0_13select_configILj256ELj13ELNS0_17block_load_methodE3ELS4_3ELS4_3ELNS0_20block_scan_algorithmE0ELj4294967295EEENS1_25partition_config_selectorILNS1_17partition_subalgoE4EjNS0_10empty_typeEbEEZZNS1_14partition_implILS8_4ELb0ES6_15HIP_vector_typeIjLj2EENS0_17counting_iteratorIjlEEPS9_SG_NS0_5tupleIJPjSI_NS0_16reverse_iteratorISI_EEEEENSH_IJSG_SG_SG_EEES9_SI_JZNS1_25segmented_radix_sort_implINS0_14default_configELb1EPKaPaPKlPlN2at6native12_GLOBAL__N_18offset_tEEE10hipError_tPvRmT1_PNSt15iterator_traitsIS12_E10value_typeET2_T3_PNS13_IS18_E10value_typeET4_jRbjT5_S1E_jjP12ihipStream_tbEUljE_ZNSN_ISO_Lb1ESQ_SR_ST_SU_SY_EESZ_S10_S11_S12_S16_S17_S18_S1B_S1C_jS1D_jS1E_S1E_jjS1G_bEUljE0_EEESZ_S10_S11_S18_S1C_S1E_T6_T7_T9_mT8_S1G_bDpT10_ENKUlT_T0_E_clISt17integral_constantIbLb0EES1U_EEDaS1P_S1Q_EUlS1P_E_NS1_11comp_targetILNS1_3genE9ELNS1_11target_archE1100ELNS1_3gpuE3ELNS1_3repE0EEENS1_30default_config_static_selectorELNS0_4arch9wavefront6targetE0EEEvS12_,"axG",@progbits,_ZN7rocprim17ROCPRIM_400000_NS6detail17trampoline_kernelINS0_13select_configILj256ELj13ELNS0_17block_load_methodE3ELS4_3ELS4_3ELNS0_20block_scan_algorithmE0ELj4294967295EEENS1_25partition_config_selectorILNS1_17partition_subalgoE4EjNS0_10empty_typeEbEEZZNS1_14partition_implILS8_4ELb0ES6_15HIP_vector_typeIjLj2EENS0_17counting_iteratorIjlEEPS9_SG_NS0_5tupleIJPjSI_NS0_16reverse_iteratorISI_EEEEENSH_IJSG_SG_SG_EEES9_SI_JZNS1_25segmented_radix_sort_implINS0_14default_configELb1EPKaPaPKlPlN2at6native12_GLOBAL__N_18offset_tEEE10hipError_tPvRmT1_PNSt15iterator_traitsIS12_E10value_typeET2_T3_PNS13_IS18_E10value_typeET4_jRbjT5_S1E_jjP12ihipStream_tbEUljE_ZNSN_ISO_Lb1ESQ_SR_ST_SU_SY_EESZ_S10_S11_S12_S16_S17_S18_S1B_S1C_jS1D_jS1E_S1E_jjS1G_bEUljE0_EEESZ_S10_S11_S18_S1C_S1E_T6_T7_T9_mT8_S1G_bDpT10_ENKUlT_T0_E_clISt17integral_constantIbLb0EES1U_EEDaS1P_S1Q_EUlS1P_E_NS1_11comp_targetILNS1_3genE9ELNS1_11target_archE1100ELNS1_3gpuE3ELNS1_3repE0EEENS1_30default_config_static_selectorELNS0_4arch9wavefront6targetE0EEEvS12_,comdat
.Lfunc_end232:
	.size	_ZN7rocprim17ROCPRIM_400000_NS6detail17trampoline_kernelINS0_13select_configILj256ELj13ELNS0_17block_load_methodE3ELS4_3ELS4_3ELNS0_20block_scan_algorithmE0ELj4294967295EEENS1_25partition_config_selectorILNS1_17partition_subalgoE4EjNS0_10empty_typeEbEEZZNS1_14partition_implILS8_4ELb0ES6_15HIP_vector_typeIjLj2EENS0_17counting_iteratorIjlEEPS9_SG_NS0_5tupleIJPjSI_NS0_16reverse_iteratorISI_EEEEENSH_IJSG_SG_SG_EEES9_SI_JZNS1_25segmented_radix_sort_implINS0_14default_configELb1EPKaPaPKlPlN2at6native12_GLOBAL__N_18offset_tEEE10hipError_tPvRmT1_PNSt15iterator_traitsIS12_E10value_typeET2_T3_PNS13_IS18_E10value_typeET4_jRbjT5_S1E_jjP12ihipStream_tbEUljE_ZNSN_ISO_Lb1ESQ_SR_ST_SU_SY_EESZ_S10_S11_S12_S16_S17_S18_S1B_S1C_jS1D_jS1E_S1E_jjS1G_bEUljE0_EEESZ_S10_S11_S18_S1C_S1E_T6_T7_T9_mT8_S1G_bDpT10_ENKUlT_T0_E_clISt17integral_constantIbLb0EES1U_EEDaS1P_S1Q_EUlS1P_E_NS1_11comp_targetILNS1_3genE9ELNS1_11target_archE1100ELNS1_3gpuE3ELNS1_3repE0EEENS1_30default_config_static_selectorELNS0_4arch9wavefront6targetE0EEEvS12_, .Lfunc_end232-_ZN7rocprim17ROCPRIM_400000_NS6detail17trampoline_kernelINS0_13select_configILj256ELj13ELNS0_17block_load_methodE3ELS4_3ELS4_3ELNS0_20block_scan_algorithmE0ELj4294967295EEENS1_25partition_config_selectorILNS1_17partition_subalgoE4EjNS0_10empty_typeEbEEZZNS1_14partition_implILS8_4ELb0ES6_15HIP_vector_typeIjLj2EENS0_17counting_iteratorIjlEEPS9_SG_NS0_5tupleIJPjSI_NS0_16reverse_iteratorISI_EEEEENSH_IJSG_SG_SG_EEES9_SI_JZNS1_25segmented_radix_sort_implINS0_14default_configELb1EPKaPaPKlPlN2at6native12_GLOBAL__N_18offset_tEEE10hipError_tPvRmT1_PNSt15iterator_traitsIS12_E10value_typeET2_T3_PNS13_IS18_E10value_typeET4_jRbjT5_S1E_jjP12ihipStream_tbEUljE_ZNSN_ISO_Lb1ESQ_SR_ST_SU_SY_EESZ_S10_S11_S12_S16_S17_S18_S1B_S1C_jS1D_jS1E_S1E_jjS1G_bEUljE0_EEESZ_S10_S11_S18_S1C_S1E_T6_T7_T9_mT8_S1G_bDpT10_ENKUlT_T0_E_clISt17integral_constantIbLb0EES1U_EEDaS1P_S1Q_EUlS1P_E_NS1_11comp_targetILNS1_3genE9ELNS1_11target_archE1100ELNS1_3gpuE3ELNS1_3repE0EEENS1_30default_config_static_selectorELNS0_4arch9wavefront6targetE0EEEvS12_
                                        ; -- End function
	.section	.AMDGPU.csdata,"",@progbits
; Kernel info:
; codeLenInByte = 14984
; NumSgprs: 61
; NumVgprs: 98
; ScratchSize: 0
; MemoryBound: 0
; FloatMode: 240
; IeeeMode: 1
; LDSByteSize: 13340 bytes/workgroup (compile time only)
; SGPRBlocks: 7
; VGPRBlocks: 12
; NumSGPRsForWavesPerEU: 61
; NumVGPRsForWavesPerEU: 98
; Occupancy: 12
; WaveLimiterHint : 1
; COMPUTE_PGM_RSRC2:SCRATCH_EN: 0
; COMPUTE_PGM_RSRC2:USER_SGPR: 15
; COMPUTE_PGM_RSRC2:TRAP_HANDLER: 0
; COMPUTE_PGM_RSRC2:TGID_X_EN: 1
; COMPUTE_PGM_RSRC2:TGID_Y_EN: 0
; COMPUTE_PGM_RSRC2:TGID_Z_EN: 0
; COMPUTE_PGM_RSRC2:TIDIG_COMP_CNT: 0
	.section	.text._ZN7rocprim17ROCPRIM_400000_NS6detail17trampoline_kernelINS0_13select_configILj256ELj13ELNS0_17block_load_methodE3ELS4_3ELS4_3ELNS0_20block_scan_algorithmE0ELj4294967295EEENS1_25partition_config_selectorILNS1_17partition_subalgoE4EjNS0_10empty_typeEbEEZZNS1_14partition_implILS8_4ELb0ES6_15HIP_vector_typeIjLj2EENS0_17counting_iteratorIjlEEPS9_SG_NS0_5tupleIJPjSI_NS0_16reverse_iteratorISI_EEEEENSH_IJSG_SG_SG_EEES9_SI_JZNS1_25segmented_radix_sort_implINS0_14default_configELb1EPKaPaPKlPlN2at6native12_GLOBAL__N_18offset_tEEE10hipError_tPvRmT1_PNSt15iterator_traitsIS12_E10value_typeET2_T3_PNS13_IS18_E10value_typeET4_jRbjT5_S1E_jjP12ihipStream_tbEUljE_ZNSN_ISO_Lb1ESQ_SR_ST_SU_SY_EESZ_S10_S11_S12_S16_S17_S18_S1B_S1C_jS1D_jS1E_S1E_jjS1G_bEUljE0_EEESZ_S10_S11_S18_S1C_S1E_T6_T7_T9_mT8_S1G_bDpT10_ENKUlT_T0_E_clISt17integral_constantIbLb0EES1U_EEDaS1P_S1Q_EUlS1P_E_NS1_11comp_targetILNS1_3genE8ELNS1_11target_archE1030ELNS1_3gpuE2ELNS1_3repE0EEENS1_30default_config_static_selectorELNS0_4arch9wavefront6targetE0EEEvS12_,"axG",@progbits,_ZN7rocprim17ROCPRIM_400000_NS6detail17trampoline_kernelINS0_13select_configILj256ELj13ELNS0_17block_load_methodE3ELS4_3ELS4_3ELNS0_20block_scan_algorithmE0ELj4294967295EEENS1_25partition_config_selectorILNS1_17partition_subalgoE4EjNS0_10empty_typeEbEEZZNS1_14partition_implILS8_4ELb0ES6_15HIP_vector_typeIjLj2EENS0_17counting_iteratorIjlEEPS9_SG_NS0_5tupleIJPjSI_NS0_16reverse_iteratorISI_EEEEENSH_IJSG_SG_SG_EEES9_SI_JZNS1_25segmented_radix_sort_implINS0_14default_configELb1EPKaPaPKlPlN2at6native12_GLOBAL__N_18offset_tEEE10hipError_tPvRmT1_PNSt15iterator_traitsIS12_E10value_typeET2_T3_PNS13_IS18_E10value_typeET4_jRbjT5_S1E_jjP12ihipStream_tbEUljE_ZNSN_ISO_Lb1ESQ_SR_ST_SU_SY_EESZ_S10_S11_S12_S16_S17_S18_S1B_S1C_jS1D_jS1E_S1E_jjS1G_bEUljE0_EEESZ_S10_S11_S18_S1C_S1E_T6_T7_T9_mT8_S1G_bDpT10_ENKUlT_T0_E_clISt17integral_constantIbLb0EES1U_EEDaS1P_S1Q_EUlS1P_E_NS1_11comp_targetILNS1_3genE8ELNS1_11target_archE1030ELNS1_3gpuE2ELNS1_3repE0EEENS1_30default_config_static_selectorELNS0_4arch9wavefront6targetE0EEEvS12_,comdat
	.globl	_ZN7rocprim17ROCPRIM_400000_NS6detail17trampoline_kernelINS0_13select_configILj256ELj13ELNS0_17block_load_methodE3ELS4_3ELS4_3ELNS0_20block_scan_algorithmE0ELj4294967295EEENS1_25partition_config_selectorILNS1_17partition_subalgoE4EjNS0_10empty_typeEbEEZZNS1_14partition_implILS8_4ELb0ES6_15HIP_vector_typeIjLj2EENS0_17counting_iteratorIjlEEPS9_SG_NS0_5tupleIJPjSI_NS0_16reverse_iteratorISI_EEEEENSH_IJSG_SG_SG_EEES9_SI_JZNS1_25segmented_radix_sort_implINS0_14default_configELb1EPKaPaPKlPlN2at6native12_GLOBAL__N_18offset_tEEE10hipError_tPvRmT1_PNSt15iterator_traitsIS12_E10value_typeET2_T3_PNS13_IS18_E10value_typeET4_jRbjT5_S1E_jjP12ihipStream_tbEUljE_ZNSN_ISO_Lb1ESQ_SR_ST_SU_SY_EESZ_S10_S11_S12_S16_S17_S18_S1B_S1C_jS1D_jS1E_S1E_jjS1G_bEUljE0_EEESZ_S10_S11_S18_S1C_S1E_T6_T7_T9_mT8_S1G_bDpT10_ENKUlT_T0_E_clISt17integral_constantIbLb0EES1U_EEDaS1P_S1Q_EUlS1P_E_NS1_11comp_targetILNS1_3genE8ELNS1_11target_archE1030ELNS1_3gpuE2ELNS1_3repE0EEENS1_30default_config_static_selectorELNS0_4arch9wavefront6targetE0EEEvS12_ ; -- Begin function _ZN7rocprim17ROCPRIM_400000_NS6detail17trampoline_kernelINS0_13select_configILj256ELj13ELNS0_17block_load_methodE3ELS4_3ELS4_3ELNS0_20block_scan_algorithmE0ELj4294967295EEENS1_25partition_config_selectorILNS1_17partition_subalgoE4EjNS0_10empty_typeEbEEZZNS1_14partition_implILS8_4ELb0ES6_15HIP_vector_typeIjLj2EENS0_17counting_iteratorIjlEEPS9_SG_NS0_5tupleIJPjSI_NS0_16reverse_iteratorISI_EEEEENSH_IJSG_SG_SG_EEES9_SI_JZNS1_25segmented_radix_sort_implINS0_14default_configELb1EPKaPaPKlPlN2at6native12_GLOBAL__N_18offset_tEEE10hipError_tPvRmT1_PNSt15iterator_traitsIS12_E10value_typeET2_T3_PNS13_IS18_E10value_typeET4_jRbjT5_S1E_jjP12ihipStream_tbEUljE_ZNSN_ISO_Lb1ESQ_SR_ST_SU_SY_EESZ_S10_S11_S12_S16_S17_S18_S1B_S1C_jS1D_jS1E_S1E_jjS1G_bEUljE0_EEESZ_S10_S11_S18_S1C_S1E_T6_T7_T9_mT8_S1G_bDpT10_ENKUlT_T0_E_clISt17integral_constantIbLb0EES1U_EEDaS1P_S1Q_EUlS1P_E_NS1_11comp_targetILNS1_3genE8ELNS1_11target_archE1030ELNS1_3gpuE2ELNS1_3repE0EEENS1_30default_config_static_selectorELNS0_4arch9wavefront6targetE0EEEvS12_
	.p2align	8
	.type	_ZN7rocprim17ROCPRIM_400000_NS6detail17trampoline_kernelINS0_13select_configILj256ELj13ELNS0_17block_load_methodE3ELS4_3ELS4_3ELNS0_20block_scan_algorithmE0ELj4294967295EEENS1_25partition_config_selectorILNS1_17partition_subalgoE4EjNS0_10empty_typeEbEEZZNS1_14partition_implILS8_4ELb0ES6_15HIP_vector_typeIjLj2EENS0_17counting_iteratorIjlEEPS9_SG_NS0_5tupleIJPjSI_NS0_16reverse_iteratorISI_EEEEENSH_IJSG_SG_SG_EEES9_SI_JZNS1_25segmented_radix_sort_implINS0_14default_configELb1EPKaPaPKlPlN2at6native12_GLOBAL__N_18offset_tEEE10hipError_tPvRmT1_PNSt15iterator_traitsIS12_E10value_typeET2_T3_PNS13_IS18_E10value_typeET4_jRbjT5_S1E_jjP12ihipStream_tbEUljE_ZNSN_ISO_Lb1ESQ_SR_ST_SU_SY_EESZ_S10_S11_S12_S16_S17_S18_S1B_S1C_jS1D_jS1E_S1E_jjS1G_bEUljE0_EEESZ_S10_S11_S18_S1C_S1E_T6_T7_T9_mT8_S1G_bDpT10_ENKUlT_T0_E_clISt17integral_constantIbLb0EES1U_EEDaS1P_S1Q_EUlS1P_E_NS1_11comp_targetILNS1_3genE8ELNS1_11target_archE1030ELNS1_3gpuE2ELNS1_3repE0EEENS1_30default_config_static_selectorELNS0_4arch9wavefront6targetE0EEEvS12_,@function
_ZN7rocprim17ROCPRIM_400000_NS6detail17trampoline_kernelINS0_13select_configILj256ELj13ELNS0_17block_load_methodE3ELS4_3ELS4_3ELNS0_20block_scan_algorithmE0ELj4294967295EEENS1_25partition_config_selectorILNS1_17partition_subalgoE4EjNS0_10empty_typeEbEEZZNS1_14partition_implILS8_4ELb0ES6_15HIP_vector_typeIjLj2EENS0_17counting_iteratorIjlEEPS9_SG_NS0_5tupleIJPjSI_NS0_16reverse_iteratorISI_EEEEENSH_IJSG_SG_SG_EEES9_SI_JZNS1_25segmented_radix_sort_implINS0_14default_configELb1EPKaPaPKlPlN2at6native12_GLOBAL__N_18offset_tEEE10hipError_tPvRmT1_PNSt15iterator_traitsIS12_E10value_typeET2_T3_PNS13_IS18_E10value_typeET4_jRbjT5_S1E_jjP12ihipStream_tbEUljE_ZNSN_ISO_Lb1ESQ_SR_ST_SU_SY_EESZ_S10_S11_S12_S16_S17_S18_S1B_S1C_jS1D_jS1E_S1E_jjS1G_bEUljE0_EEESZ_S10_S11_S18_S1C_S1E_T6_T7_T9_mT8_S1G_bDpT10_ENKUlT_T0_E_clISt17integral_constantIbLb0EES1U_EEDaS1P_S1Q_EUlS1P_E_NS1_11comp_targetILNS1_3genE8ELNS1_11target_archE1030ELNS1_3gpuE2ELNS1_3repE0EEENS1_30default_config_static_selectorELNS0_4arch9wavefront6targetE0EEEvS12_: ; @_ZN7rocprim17ROCPRIM_400000_NS6detail17trampoline_kernelINS0_13select_configILj256ELj13ELNS0_17block_load_methodE3ELS4_3ELS4_3ELNS0_20block_scan_algorithmE0ELj4294967295EEENS1_25partition_config_selectorILNS1_17partition_subalgoE4EjNS0_10empty_typeEbEEZZNS1_14partition_implILS8_4ELb0ES6_15HIP_vector_typeIjLj2EENS0_17counting_iteratorIjlEEPS9_SG_NS0_5tupleIJPjSI_NS0_16reverse_iteratorISI_EEEEENSH_IJSG_SG_SG_EEES9_SI_JZNS1_25segmented_radix_sort_implINS0_14default_configELb1EPKaPaPKlPlN2at6native12_GLOBAL__N_18offset_tEEE10hipError_tPvRmT1_PNSt15iterator_traitsIS12_E10value_typeET2_T3_PNS13_IS18_E10value_typeET4_jRbjT5_S1E_jjP12ihipStream_tbEUljE_ZNSN_ISO_Lb1ESQ_SR_ST_SU_SY_EESZ_S10_S11_S12_S16_S17_S18_S1B_S1C_jS1D_jS1E_S1E_jjS1G_bEUljE0_EEESZ_S10_S11_S18_S1C_S1E_T6_T7_T9_mT8_S1G_bDpT10_ENKUlT_T0_E_clISt17integral_constantIbLb0EES1U_EEDaS1P_S1Q_EUlS1P_E_NS1_11comp_targetILNS1_3genE8ELNS1_11target_archE1030ELNS1_3gpuE2ELNS1_3repE0EEENS1_30default_config_static_selectorELNS0_4arch9wavefront6targetE0EEEvS12_
; %bb.0:
	.section	.rodata,"a",@progbits
	.p2align	6, 0x0
	.amdhsa_kernel _ZN7rocprim17ROCPRIM_400000_NS6detail17trampoline_kernelINS0_13select_configILj256ELj13ELNS0_17block_load_methodE3ELS4_3ELS4_3ELNS0_20block_scan_algorithmE0ELj4294967295EEENS1_25partition_config_selectorILNS1_17partition_subalgoE4EjNS0_10empty_typeEbEEZZNS1_14partition_implILS8_4ELb0ES6_15HIP_vector_typeIjLj2EENS0_17counting_iteratorIjlEEPS9_SG_NS0_5tupleIJPjSI_NS0_16reverse_iteratorISI_EEEEENSH_IJSG_SG_SG_EEES9_SI_JZNS1_25segmented_radix_sort_implINS0_14default_configELb1EPKaPaPKlPlN2at6native12_GLOBAL__N_18offset_tEEE10hipError_tPvRmT1_PNSt15iterator_traitsIS12_E10value_typeET2_T3_PNS13_IS18_E10value_typeET4_jRbjT5_S1E_jjP12ihipStream_tbEUljE_ZNSN_ISO_Lb1ESQ_SR_ST_SU_SY_EESZ_S10_S11_S12_S16_S17_S18_S1B_S1C_jS1D_jS1E_S1E_jjS1G_bEUljE0_EEESZ_S10_S11_S18_S1C_S1E_T6_T7_T9_mT8_S1G_bDpT10_ENKUlT_T0_E_clISt17integral_constantIbLb0EES1U_EEDaS1P_S1Q_EUlS1P_E_NS1_11comp_targetILNS1_3genE8ELNS1_11target_archE1030ELNS1_3gpuE2ELNS1_3repE0EEENS1_30default_config_static_selectorELNS0_4arch9wavefront6targetE0EEEvS12_
		.amdhsa_group_segment_fixed_size 0
		.amdhsa_private_segment_fixed_size 0
		.amdhsa_kernarg_size 176
		.amdhsa_user_sgpr_count 15
		.amdhsa_user_sgpr_dispatch_ptr 0
		.amdhsa_user_sgpr_queue_ptr 0
		.amdhsa_user_sgpr_kernarg_segment_ptr 1
		.amdhsa_user_sgpr_dispatch_id 0
		.amdhsa_user_sgpr_private_segment_size 0
		.amdhsa_wavefront_size32 1
		.amdhsa_uses_dynamic_stack 0
		.amdhsa_enable_private_segment 0
		.amdhsa_system_sgpr_workgroup_id_x 1
		.amdhsa_system_sgpr_workgroup_id_y 0
		.amdhsa_system_sgpr_workgroup_id_z 0
		.amdhsa_system_sgpr_workgroup_info 0
		.amdhsa_system_vgpr_workitem_id 0
		.amdhsa_next_free_vgpr 1
		.amdhsa_next_free_sgpr 1
		.amdhsa_reserve_vcc 0
		.amdhsa_float_round_mode_32 0
		.amdhsa_float_round_mode_16_64 0
		.amdhsa_float_denorm_mode_32 3
		.amdhsa_float_denorm_mode_16_64 3
		.amdhsa_dx10_clamp 1
		.amdhsa_ieee_mode 1
		.amdhsa_fp16_overflow 0
		.amdhsa_workgroup_processor_mode 1
		.amdhsa_memory_ordered 1
		.amdhsa_forward_progress 0
		.amdhsa_shared_vgpr_count 0
		.amdhsa_exception_fp_ieee_invalid_op 0
		.amdhsa_exception_fp_denorm_src 0
		.amdhsa_exception_fp_ieee_div_zero 0
		.amdhsa_exception_fp_ieee_overflow 0
		.amdhsa_exception_fp_ieee_underflow 0
		.amdhsa_exception_fp_ieee_inexact 0
		.amdhsa_exception_int_div_zero 0
	.end_amdhsa_kernel
	.section	.text._ZN7rocprim17ROCPRIM_400000_NS6detail17trampoline_kernelINS0_13select_configILj256ELj13ELNS0_17block_load_methodE3ELS4_3ELS4_3ELNS0_20block_scan_algorithmE0ELj4294967295EEENS1_25partition_config_selectorILNS1_17partition_subalgoE4EjNS0_10empty_typeEbEEZZNS1_14partition_implILS8_4ELb0ES6_15HIP_vector_typeIjLj2EENS0_17counting_iteratorIjlEEPS9_SG_NS0_5tupleIJPjSI_NS0_16reverse_iteratorISI_EEEEENSH_IJSG_SG_SG_EEES9_SI_JZNS1_25segmented_radix_sort_implINS0_14default_configELb1EPKaPaPKlPlN2at6native12_GLOBAL__N_18offset_tEEE10hipError_tPvRmT1_PNSt15iterator_traitsIS12_E10value_typeET2_T3_PNS13_IS18_E10value_typeET4_jRbjT5_S1E_jjP12ihipStream_tbEUljE_ZNSN_ISO_Lb1ESQ_SR_ST_SU_SY_EESZ_S10_S11_S12_S16_S17_S18_S1B_S1C_jS1D_jS1E_S1E_jjS1G_bEUljE0_EEESZ_S10_S11_S18_S1C_S1E_T6_T7_T9_mT8_S1G_bDpT10_ENKUlT_T0_E_clISt17integral_constantIbLb0EES1U_EEDaS1P_S1Q_EUlS1P_E_NS1_11comp_targetILNS1_3genE8ELNS1_11target_archE1030ELNS1_3gpuE2ELNS1_3repE0EEENS1_30default_config_static_selectorELNS0_4arch9wavefront6targetE0EEEvS12_,"axG",@progbits,_ZN7rocprim17ROCPRIM_400000_NS6detail17trampoline_kernelINS0_13select_configILj256ELj13ELNS0_17block_load_methodE3ELS4_3ELS4_3ELNS0_20block_scan_algorithmE0ELj4294967295EEENS1_25partition_config_selectorILNS1_17partition_subalgoE4EjNS0_10empty_typeEbEEZZNS1_14partition_implILS8_4ELb0ES6_15HIP_vector_typeIjLj2EENS0_17counting_iteratorIjlEEPS9_SG_NS0_5tupleIJPjSI_NS0_16reverse_iteratorISI_EEEEENSH_IJSG_SG_SG_EEES9_SI_JZNS1_25segmented_radix_sort_implINS0_14default_configELb1EPKaPaPKlPlN2at6native12_GLOBAL__N_18offset_tEEE10hipError_tPvRmT1_PNSt15iterator_traitsIS12_E10value_typeET2_T3_PNS13_IS18_E10value_typeET4_jRbjT5_S1E_jjP12ihipStream_tbEUljE_ZNSN_ISO_Lb1ESQ_SR_ST_SU_SY_EESZ_S10_S11_S12_S16_S17_S18_S1B_S1C_jS1D_jS1E_S1E_jjS1G_bEUljE0_EEESZ_S10_S11_S18_S1C_S1E_T6_T7_T9_mT8_S1G_bDpT10_ENKUlT_T0_E_clISt17integral_constantIbLb0EES1U_EEDaS1P_S1Q_EUlS1P_E_NS1_11comp_targetILNS1_3genE8ELNS1_11target_archE1030ELNS1_3gpuE2ELNS1_3repE0EEENS1_30default_config_static_selectorELNS0_4arch9wavefront6targetE0EEEvS12_,comdat
.Lfunc_end233:
	.size	_ZN7rocprim17ROCPRIM_400000_NS6detail17trampoline_kernelINS0_13select_configILj256ELj13ELNS0_17block_load_methodE3ELS4_3ELS4_3ELNS0_20block_scan_algorithmE0ELj4294967295EEENS1_25partition_config_selectorILNS1_17partition_subalgoE4EjNS0_10empty_typeEbEEZZNS1_14partition_implILS8_4ELb0ES6_15HIP_vector_typeIjLj2EENS0_17counting_iteratorIjlEEPS9_SG_NS0_5tupleIJPjSI_NS0_16reverse_iteratorISI_EEEEENSH_IJSG_SG_SG_EEES9_SI_JZNS1_25segmented_radix_sort_implINS0_14default_configELb1EPKaPaPKlPlN2at6native12_GLOBAL__N_18offset_tEEE10hipError_tPvRmT1_PNSt15iterator_traitsIS12_E10value_typeET2_T3_PNS13_IS18_E10value_typeET4_jRbjT5_S1E_jjP12ihipStream_tbEUljE_ZNSN_ISO_Lb1ESQ_SR_ST_SU_SY_EESZ_S10_S11_S12_S16_S17_S18_S1B_S1C_jS1D_jS1E_S1E_jjS1G_bEUljE0_EEESZ_S10_S11_S18_S1C_S1E_T6_T7_T9_mT8_S1G_bDpT10_ENKUlT_T0_E_clISt17integral_constantIbLb0EES1U_EEDaS1P_S1Q_EUlS1P_E_NS1_11comp_targetILNS1_3genE8ELNS1_11target_archE1030ELNS1_3gpuE2ELNS1_3repE0EEENS1_30default_config_static_selectorELNS0_4arch9wavefront6targetE0EEEvS12_, .Lfunc_end233-_ZN7rocprim17ROCPRIM_400000_NS6detail17trampoline_kernelINS0_13select_configILj256ELj13ELNS0_17block_load_methodE3ELS4_3ELS4_3ELNS0_20block_scan_algorithmE0ELj4294967295EEENS1_25partition_config_selectorILNS1_17partition_subalgoE4EjNS0_10empty_typeEbEEZZNS1_14partition_implILS8_4ELb0ES6_15HIP_vector_typeIjLj2EENS0_17counting_iteratorIjlEEPS9_SG_NS0_5tupleIJPjSI_NS0_16reverse_iteratorISI_EEEEENSH_IJSG_SG_SG_EEES9_SI_JZNS1_25segmented_radix_sort_implINS0_14default_configELb1EPKaPaPKlPlN2at6native12_GLOBAL__N_18offset_tEEE10hipError_tPvRmT1_PNSt15iterator_traitsIS12_E10value_typeET2_T3_PNS13_IS18_E10value_typeET4_jRbjT5_S1E_jjP12ihipStream_tbEUljE_ZNSN_ISO_Lb1ESQ_SR_ST_SU_SY_EESZ_S10_S11_S12_S16_S17_S18_S1B_S1C_jS1D_jS1E_S1E_jjS1G_bEUljE0_EEESZ_S10_S11_S18_S1C_S1E_T6_T7_T9_mT8_S1G_bDpT10_ENKUlT_T0_E_clISt17integral_constantIbLb0EES1U_EEDaS1P_S1Q_EUlS1P_E_NS1_11comp_targetILNS1_3genE8ELNS1_11target_archE1030ELNS1_3gpuE2ELNS1_3repE0EEENS1_30default_config_static_selectorELNS0_4arch9wavefront6targetE0EEEvS12_
                                        ; -- End function
	.section	.AMDGPU.csdata,"",@progbits
; Kernel info:
; codeLenInByte = 0
; NumSgprs: 0
; NumVgprs: 0
; ScratchSize: 0
; MemoryBound: 0
; FloatMode: 240
; IeeeMode: 1
; LDSByteSize: 0 bytes/workgroup (compile time only)
; SGPRBlocks: 0
; VGPRBlocks: 0
; NumSGPRsForWavesPerEU: 1
; NumVGPRsForWavesPerEU: 1
; Occupancy: 16
; WaveLimiterHint : 0
; COMPUTE_PGM_RSRC2:SCRATCH_EN: 0
; COMPUTE_PGM_RSRC2:USER_SGPR: 15
; COMPUTE_PGM_RSRC2:TRAP_HANDLER: 0
; COMPUTE_PGM_RSRC2:TGID_X_EN: 1
; COMPUTE_PGM_RSRC2:TGID_Y_EN: 0
; COMPUTE_PGM_RSRC2:TGID_Z_EN: 0
; COMPUTE_PGM_RSRC2:TIDIG_COMP_CNT: 0
	.section	.text._ZN7rocprim17ROCPRIM_400000_NS6detail17trampoline_kernelINS0_13select_configILj256ELj13ELNS0_17block_load_methodE3ELS4_3ELS4_3ELNS0_20block_scan_algorithmE0ELj4294967295EEENS1_25partition_config_selectorILNS1_17partition_subalgoE4EjNS0_10empty_typeEbEEZZNS1_14partition_implILS8_4ELb0ES6_15HIP_vector_typeIjLj2EENS0_17counting_iteratorIjlEEPS9_SG_NS0_5tupleIJPjSI_NS0_16reverse_iteratorISI_EEEEENSH_IJSG_SG_SG_EEES9_SI_JZNS1_25segmented_radix_sort_implINS0_14default_configELb1EPKaPaPKlPlN2at6native12_GLOBAL__N_18offset_tEEE10hipError_tPvRmT1_PNSt15iterator_traitsIS12_E10value_typeET2_T3_PNS13_IS18_E10value_typeET4_jRbjT5_S1E_jjP12ihipStream_tbEUljE_ZNSN_ISO_Lb1ESQ_SR_ST_SU_SY_EESZ_S10_S11_S12_S16_S17_S18_S1B_S1C_jS1D_jS1E_S1E_jjS1G_bEUljE0_EEESZ_S10_S11_S18_S1C_S1E_T6_T7_T9_mT8_S1G_bDpT10_ENKUlT_T0_E_clISt17integral_constantIbLb1EES1U_EEDaS1P_S1Q_EUlS1P_E_NS1_11comp_targetILNS1_3genE0ELNS1_11target_archE4294967295ELNS1_3gpuE0ELNS1_3repE0EEENS1_30default_config_static_selectorELNS0_4arch9wavefront6targetE0EEEvS12_,"axG",@progbits,_ZN7rocprim17ROCPRIM_400000_NS6detail17trampoline_kernelINS0_13select_configILj256ELj13ELNS0_17block_load_methodE3ELS4_3ELS4_3ELNS0_20block_scan_algorithmE0ELj4294967295EEENS1_25partition_config_selectorILNS1_17partition_subalgoE4EjNS0_10empty_typeEbEEZZNS1_14partition_implILS8_4ELb0ES6_15HIP_vector_typeIjLj2EENS0_17counting_iteratorIjlEEPS9_SG_NS0_5tupleIJPjSI_NS0_16reverse_iteratorISI_EEEEENSH_IJSG_SG_SG_EEES9_SI_JZNS1_25segmented_radix_sort_implINS0_14default_configELb1EPKaPaPKlPlN2at6native12_GLOBAL__N_18offset_tEEE10hipError_tPvRmT1_PNSt15iterator_traitsIS12_E10value_typeET2_T3_PNS13_IS18_E10value_typeET4_jRbjT5_S1E_jjP12ihipStream_tbEUljE_ZNSN_ISO_Lb1ESQ_SR_ST_SU_SY_EESZ_S10_S11_S12_S16_S17_S18_S1B_S1C_jS1D_jS1E_S1E_jjS1G_bEUljE0_EEESZ_S10_S11_S18_S1C_S1E_T6_T7_T9_mT8_S1G_bDpT10_ENKUlT_T0_E_clISt17integral_constantIbLb1EES1U_EEDaS1P_S1Q_EUlS1P_E_NS1_11comp_targetILNS1_3genE0ELNS1_11target_archE4294967295ELNS1_3gpuE0ELNS1_3repE0EEENS1_30default_config_static_selectorELNS0_4arch9wavefront6targetE0EEEvS12_,comdat
	.globl	_ZN7rocprim17ROCPRIM_400000_NS6detail17trampoline_kernelINS0_13select_configILj256ELj13ELNS0_17block_load_methodE3ELS4_3ELS4_3ELNS0_20block_scan_algorithmE0ELj4294967295EEENS1_25partition_config_selectorILNS1_17partition_subalgoE4EjNS0_10empty_typeEbEEZZNS1_14partition_implILS8_4ELb0ES6_15HIP_vector_typeIjLj2EENS0_17counting_iteratorIjlEEPS9_SG_NS0_5tupleIJPjSI_NS0_16reverse_iteratorISI_EEEEENSH_IJSG_SG_SG_EEES9_SI_JZNS1_25segmented_radix_sort_implINS0_14default_configELb1EPKaPaPKlPlN2at6native12_GLOBAL__N_18offset_tEEE10hipError_tPvRmT1_PNSt15iterator_traitsIS12_E10value_typeET2_T3_PNS13_IS18_E10value_typeET4_jRbjT5_S1E_jjP12ihipStream_tbEUljE_ZNSN_ISO_Lb1ESQ_SR_ST_SU_SY_EESZ_S10_S11_S12_S16_S17_S18_S1B_S1C_jS1D_jS1E_S1E_jjS1G_bEUljE0_EEESZ_S10_S11_S18_S1C_S1E_T6_T7_T9_mT8_S1G_bDpT10_ENKUlT_T0_E_clISt17integral_constantIbLb1EES1U_EEDaS1P_S1Q_EUlS1P_E_NS1_11comp_targetILNS1_3genE0ELNS1_11target_archE4294967295ELNS1_3gpuE0ELNS1_3repE0EEENS1_30default_config_static_selectorELNS0_4arch9wavefront6targetE0EEEvS12_ ; -- Begin function _ZN7rocprim17ROCPRIM_400000_NS6detail17trampoline_kernelINS0_13select_configILj256ELj13ELNS0_17block_load_methodE3ELS4_3ELS4_3ELNS0_20block_scan_algorithmE0ELj4294967295EEENS1_25partition_config_selectorILNS1_17partition_subalgoE4EjNS0_10empty_typeEbEEZZNS1_14partition_implILS8_4ELb0ES6_15HIP_vector_typeIjLj2EENS0_17counting_iteratorIjlEEPS9_SG_NS0_5tupleIJPjSI_NS0_16reverse_iteratorISI_EEEEENSH_IJSG_SG_SG_EEES9_SI_JZNS1_25segmented_radix_sort_implINS0_14default_configELb1EPKaPaPKlPlN2at6native12_GLOBAL__N_18offset_tEEE10hipError_tPvRmT1_PNSt15iterator_traitsIS12_E10value_typeET2_T3_PNS13_IS18_E10value_typeET4_jRbjT5_S1E_jjP12ihipStream_tbEUljE_ZNSN_ISO_Lb1ESQ_SR_ST_SU_SY_EESZ_S10_S11_S12_S16_S17_S18_S1B_S1C_jS1D_jS1E_S1E_jjS1G_bEUljE0_EEESZ_S10_S11_S18_S1C_S1E_T6_T7_T9_mT8_S1G_bDpT10_ENKUlT_T0_E_clISt17integral_constantIbLb1EES1U_EEDaS1P_S1Q_EUlS1P_E_NS1_11comp_targetILNS1_3genE0ELNS1_11target_archE4294967295ELNS1_3gpuE0ELNS1_3repE0EEENS1_30default_config_static_selectorELNS0_4arch9wavefront6targetE0EEEvS12_
	.p2align	8
	.type	_ZN7rocprim17ROCPRIM_400000_NS6detail17trampoline_kernelINS0_13select_configILj256ELj13ELNS0_17block_load_methodE3ELS4_3ELS4_3ELNS0_20block_scan_algorithmE0ELj4294967295EEENS1_25partition_config_selectorILNS1_17partition_subalgoE4EjNS0_10empty_typeEbEEZZNS1_14partition_implILS8_4ELb0ES6_15HIP_vector_typeIjLj2EENS0_17counting_iteratorIjlEEPS9_SG_NS0_5tupleIJPjSI_NS0_16reverse_iteratorISI_EEEEENSH_IJSG_SG_SG_EEES9_SI_JZNS1_25segmented_radix_sort_implINS0_14default_configELb1EPKaPaPKlPlN2at6native12_GLOBAL__N_18offset_tEEE10hipError_tPvRmT1_PNSt15iterator_traitsIS12_E10value_typeET2_T3_PNS13_IS18_E10value_typeET4_jRbjT5_S1E_jjP12ihipStream_tbEUljE_ZNSN_ISO_Lb1ESQ_SR_ST_SU_SY_EESZ_S10_S11_S12_S16_S17_S18_S1B_S1C_jS1D_jS1E_S1E_jjS1G_bEUljE0_EEESZ_S10_S11_S18_S1C_S1E_T6_T7_T9_mT8_S1G_bDpT10_ENKUlT_T0_E_clISt17integral_constantIbLb1EES1U_EEDaS1P_S1Q_EUlS1P_E_NS1_11comp_targetILNS1_3genE0ELNS1_11target_archE4294967295ELNS1_3gpuE0ELNS1_3repE0EEENS1_30default_config_static_selectorELNS0_4arch9wavefront6targetE0EEEvS12_,@function
_ZN7rocprim17ROCPRIM_400000_NS6detail17trampoline_kernelINS0_13select_configILj256ELj13ELNS0_17block_load_methodE3ELS4_3ELS4_3ELNS0_20block_scan_algorithmE0ELj4294967295EEENS1_25partition_config_selectorILNS1_17partition_subalgoE4EjNS0_10empty_typeEbEEZZNS1_14partition_implILS8_4ELb0ES6_15HIP_vector_typeIjLj2EENS0_17counting_iteratorIjlEEPS9_SG_NS0_5tupleIJPjSI_NS0_16reverse_iteratorISI_EEEEENSH_IJSG_SG_SG_EEES9_SI_JZNS1_25segmented_radix_sort_implINS0_14default_configELb1EPKaPaPKlPlN2at6native12_GLOBAL__N_18offset_tEEE10hipError_tPvRmT1_PNSt15iterator_traitsIS12_E10value_typeET2_T3_PNS13_IS18_E10value_typeET4_jRbjT5_S1E_jjP12ihipStream_tbEUljE_ZNSN_ISO_Lb1ESQ_SR_ST_SU_SY_EESZ_S10_S11_S12_S16_S17_S18_S1B_S1C_jS1D_jS1E_S1E_jjS1G_bEUljE0_EEESZ_S10_S11_S18_S1C_S1E_T6_T7_T9_mT8_S1G_bDpT10_ENKUlT_T0_E_clISt17integral_constantIbLb1EES1U_EEDaS1P_S1Q_EUlS1P_E_NS1_11comp_targetILNS1_3genE0ELNS1_11target_archE4294967295ELNS1_3gpuE0ELNS1_3repE0EEENS1_30default_config_static_selectorELNS0_4arch9wavefront6targetE0EEEvS12_: ; @_ZN7rocprim17ROCPRIM_400000_NS6detail17trampoline_kernelINS0_13select_configILj256ELj13ELNS0_17block_load_methodE3ELS4_3ELS4_3ELNS0_20block_scan_algorithmE0ELj4294967295EEENS1_25partition_config_selectorILNS1_17partition_subalgoE4EjNS0_10empty_typeEbEEZZNS1_14partition_implILS8_4ELb0ES6_15HIP_vector_typeIjLj2EENS0_17counting_iteratorIjlEEPS9_SG_NS0_5tupleIJPjSI_NS0_16reverse_iteratorISI_EEEEENSH_IJSG_SG_SG_EEES9_SI_JZNS1_25segmented_radix_sort_implINS0_14default_configELb1EPKaPaPKlPlN2at6native12_GLOBAL__N_18offset_tEEE10hipError_tPvRmT1_PNSt15iterator_traitsIS12_E10value_typeET2_T3_PNS13_IS18_E10value_typeET4_jRbjT5_S1E_jjP12ihipStream_tbEUljE_ZNSN_ISO_Lb1ESQ_SR_ST_SU_SY_EESZ_S10_S11_S12_S16_S17_S18_S1B_S1C_jS1D_jS1E_S1E_jjS1G_bEUljE0_EEESZ_S10_S11_S18_S1C_S1E_T6_T7_T9_mT8_S1G_bDpT10_ENKUlT_T0_E_clISt17integral_constantIbLb1EES1U_EEDaS1P_S1Q_EUlS1P_E_NS1_11comp_targetILNS1_3genE0ELNS1_11target_archE4294967295ELNS1_3gpuE0ELNS1_3repE0EEENS1_30default_config_static_selectorELNS0_4arch9wavefront6targetE0EEEvS12_
; %bb.0:
	.section	.rodata,"a",@progbits
	.p2align	6, 0x0
	.amdhsa_kernel _ZN7rocprim17ROCPRIM_400000_NS6detail17trampoline_kernelINS0_13select_configILj256ELj13ELNS0_17block_load_methodE3ELS4_3ELS4_3ELNS0_20block_scan_algorithmE0ELj4294967295EEENS1_25partition_config_selectorILNS1_17partition_subalgoE4EjNS0_10empty_typeEbEEZZNS1_14partition_implILS8_4ELb0ES6_15HIP_vector_typeIjLj2EENS0_17counting_iteratorIjlEEPS9_SG_NS0_5tupleIJPjSI_NS0_16reverse_iteratorISI_EEEEENSH_IJSG_SG_SG_EEES9_SI_JZNS1_25segmented_radix_sort_implINS0_14default_configELb1EPKaPaPKlPlN2at6native12_GLOBAL__N_18offset_tEEE10hipError_tPvRmT1_PNSt15iterator_traitsIS12_E10value_typeET2_T3_PNS13_IS18_E10value_typeET4_jRbjT5_S1E_jjP12ihipStream_tbEUljE_ZNSN_ISO_Lb1ESQ_SR_ST_SU_SY_EESZ_S10_S11_S12_S16_S17_S18_S1B_S1C_jS1D_jS1E_S1E_jjS1G_bEUljE0_EEESZ_S10_S11_S18_S1C_S1E_T6_T7_T9_mT8_S1G_bDpT10_ENKUlT_T0_E_clISt17integral_constantIbLb1EES1U_EEDaS1P_S1Q_EUlS1P_E_NS1_11comp_targetILNS1_3genE0ELNS1_11target_archE4294967295ELNS1_3gpuE0ELNS1_3repE0EEENS1_30default_config_static_selectorELNS0_4arch9wavefront6targetE0EEEvS12_
		.amdhsa_group_segment_fixed_size 0
		.amdhsa_private_segment_fixed_size 0
		.amdhsa_kernarg_size 184
		.amdhsa_user_sgpr_count 15
		.amdhsa_user_sgpr_dispatch_ptr 0
		.amdhsa_user_sgpr_queue_ptr 0
		.amdhsa_user_sgpr_kernarg_segment_ptr 1
		.amdhsa_user_sgpr_dispatch_id 0
		.amdhsa_user_sgpr_private_segment_size 0
		.amdhsa_wavefront_size32 1
		.amdhsa_uses_dynamic_stack 0
		.amdhsa_enable_private_segment 0
		.amdhsa_system_sgpr_workgroup_id_x 1
		.amdhsa_system_sgpr_workgroup_id_y 0
		.amdhsa_system_sgpr_workgroup_id_z 0
		.amdhsa_system_sgpr_workgroup_info 0
		.amdhsa_system_vgpr_workitem_id 0
		.amdhsa_next_free_vgpr 1
		.amdhsa_next_free_sgpr 1
		.amdhsa_reserve_vcc 0
		.amdhsa_float_round_mode_32 0
		.amdhsa_float_round_mode_16_64 0
		.amdhsa_float_denorm_mode_32 3
		.amdhsa_float_denorm_mode_16_64 3
		.amdhsa_dx10_clamp 1
		.amdhsa_ieee_mode 1
		.amdhsa_fp16_overflow 0
		.amdhsa_workgroup_processor_mode 1
		.amdhsa_memory_ordered 1
		.amdhsa_forward_progress 0
		.amdhsa_shared_vgpr_count 0
		.amdhsa_exception_fp_ieee_invalid_op 0
		.amdhsa_exception_fp_denorm_src 0
		.amdhsa_exception_fp_ieee_div_zero 0
		.amdhsa_exception_fp_ieee_overflow 0
		.amdhsa_exception_fp_ieee_underflow 0
		.amdhsa_exception_fp_ieee_inexact 0
		.amdhsa_exception_int_div_zero 0
	.end_amdhsa_kernel
	.section	.text._ZN7rocprim17ROCPRIM_400000_NS6detail17trampoline_kernelINS0_13select_configILj256ELj13ELNS0_17block_load_methodE3ELS4_3ELS4_3ELNS0_20block_scan_algorithmE0ELj4294967295EEENS1_25partition_config_selectorILNS1_17partition_subalgoE4EjNS0_10empty_typeEbEEZZNS1_14partition_implILS8_4ELb0ES6_15HIP_vector_typeIjLj2EENS0_17counting_iteratorIjlEEPS9_SG_NS0_5tupleIJPjSI_NS0_16reverse_iteratorISI_EEEEENSH_IJSG_SG_SG_EEES9_SI_JZNS1_25segmented_radix_sort_implINS0_14default_configELb1EPKaPaPKlPlN2at6native12_GLOBAL__N_18offset_tEEE10hipError_tPvRmT1_PNSt15iterator_traitsIS12_E10value_typeET2_T3_PNS13_IS18_E10value_typeET4_jRbjT5_S1E_jjP12ihipStream_tbEUljE_ZNSN_ISO_Lb1ESQ_SR_ST_SU_SY_EESZ_S10_S11_S12_S16_S17_S18_S1B_S1C_jS1D_jS1E_S1E_jjS1G_bEUljE0_EEESZ_S10_S11_S18_S1C_S1E_T6_T7_T9_mT8_S1G_bDpT10_ENKUlT_T0_E_clISt17integral_constantIbLb1EES1U_EEDaS1P_S1Q_EUlS1P_E_NS1_11comp_targetILNS1_3genE0ELNS1_11target_archE4294967295ELNS1_3gpuE0ELNS1_3repE0EEENS1_30default_config_static_selectorELNS0_4arch9wavefront6targetE0EEEvS12_,"axG",@progbits,_ZN7rocprim17ROCPRIM_400000_NS6detail17trampoline_kernelINS0_13select_configILj256ELj13ELNS0_17block_load_methodE3ELS4_3ELS4_3ELNS0_20block_scan_algorithmE0ELj4294967295EEENS1_25partition_config_selectorILNS1_17partition_subalgoE4EjNS0_10empty_typeEbEEZZNS1_14partition_implILS8_4ELb0ES6_15HIP_vector_typeIjLj2EENS0_17counting_iteratorIjlEEPS9_SG_NS0_5tupleIJPjSI_NS0_16reverse_iteratorISI_EEEEENSH_IJSG_SG_SG_EEES9_SI_JZNS1_25segmented_radix_sort_implINS0_14default_configELb1EPKaPaPKlPlN2at6native12_GLOBAL__N_18offset_tEEE10hipError_tPvRmT1_PNSt15iterator_traitsIS12_E10value_typeET2_T3_PNS13_IS18_E10value_typeET4_jRbjT5_S1E_jjP12ihipStream_tbEUljE_ZNSN_ISO_Lb1ESQ_SR_ST_SU_SY_EESZ_S10_S11_S12_S16_S17_S18_S1B_S1C_jS1D_jS1E_S1E_jjS1G_bEUljE0_EEESZ_S10_S11_S18_S1C_S1E_T6_T7_T9_mT8_S1G_bDpT10_ENKUlT_T0_E_clISt17integral_constantIbLb1EES1U_EEDaS1P_S1Q_EUlS1P_E_NS1_11comp_targetILNS1_3genE0ELNS1_11target_archE4294967295ELNS1_3gpuE0ELNS1_3repE0EEENS1_30default_config_static_selectorELNS0_4arch9wavefront6targetE0EEEvS12_,comdat
.Lfunc_end234:
	.size	_ZN7rocprim17ROCPRIM_400000_NS6detail17trampoline_kernelINS0_13select_configILj256ELj13ELNS0_17block_load_methodE3ELS4_3ELS4_3ELNS0_20block_scan_algorithmE0ELj4294967295EEENS1_25partition_config_selectorILNS1_17partition_subalgoE4EjNS0_10empty_typeEbEEZZNS1_14partition_implILS8_4ELb0ES6_15HIP_vector_typeIjLj2EENS0_17counting_iteratorIjlEEPS9_SG_NS0_5tupleIJPjSI_NS0_16reverse_iteratorISI_EEEEENSH_IJSG_SG_SG_EEES9_SI_JZNS1_25segmented_radix_sort_implINS0_14default_configELb1EPKaPaPKlPlN2at6native12_GLOBAL__N_18offset_tEEE10hipError_tPvRmT1_PNSt15iterator_traitsIS12_E10value_typeET2_T3_PNS13_IS18_E10value_typeET4_jRbjT5_S1E_jjP12ihipStream_tbEUljE_ZNSN_ISO_Lb1ESQ_SR_ST_SU_SY_EESZ_S10_S11_S12_S16_S17_S18_S1B_S1C_jS1D_jS1E_S1E_jjS1G_bEUljE0_EEESZ_S10_S11_S18_S1C_S1E_T6_T7_T9_mT8_S1G_bDpT10_ENKUlT_T0_E_clISt17integral_constantIbLb1EES1U_EEDaS1P_S1Q_EUlS1P_E_NS1_11comp_targetILNS1_3genE0ELNS1_11target_archE4294967295ELNS1_3gpuE0ELNS1_3repE0EEENS1_30default_config_static_selectorELNS0_4arch9wavefront6targetE0EEEvS12_, .Lfunc_end234-_ZN7rocprim17ROCPRIM_400000_NS6detail17trampoline_kernelINS0_13select_configILj256ELj13ELNS0_17block_load_methodE3ELS4_3ELS4_3ELNS0_20block_scan_algorithmE0ELj4294967295EEENS1_25partition_config_selectorILNS1_17partition_subalgoE4EjNS0_10empty_typeEbEEZZNS1_14partition_implILS8_4ELb0ES6_15HIP_vector_typeIjLj2EENS0_17counting_iteratorIjlEEPS9_SG_NS0_5tupleIJPjSI_NS0_16reverse_iteratorISI_EEEEENSH_IJSG_SG_SG_EEES9_SI_JZNS1_25segmented_radix_sort_implINS0_14default_configELb1EPKaPaPKlPlN2at6native12_GLOBAL__N_18offset_tEEE10hipError_tPvRmT1_PNSt15iterator_traitsIS12_E10value_typeET2_T3_PNS13_IS18_E10value_typeET4_jRbjT5_S1E_jjP12ihipStream_tbEUljE_ZNSN_ISO_Lb1ESQ_SR_ST_SU_SY_EESZ_S10_S11_S12_S16_S17_S18_S1B_S1C_jS1D_jS1E_S1E_jjS1G_bEUljE0_EEESZ_S10_S11_S18_S1C_S1E_T6_T7_T9_mT8_S1G_bDpT10_ENKUlT_T0_E_clISt17integral_constantIbLb1EES1U_EEDaS1P_S1Q_EUlS1P_E_NS1_11comp_targetILNS1_3genE0ELNS1_11target_archE4294967295ELNS1_3gpuE0ELNS1_3repE0EEENS1_30default_config_static_selectorELNS0_4arch9wavefront6targetE0EEEvS12_
                                        ; -- End function
	.section	.AMDGPU.csdata,"",@progbits
; Kernel info:
; codeLenInByte = 0
; NumSgprs: 0
; NumVgprs: 0
; ScratchSize: 0
; MemoryBound: 0
; FloatMode: 240
; IeeeMode: 1
; LDSByteSize: 0 bytes/workgroup (compile time only)
; SGPRBlocks: 0
; VGPRBlocks: 0
; NumSGPRsForWavesPerEU: 1
; NumVGPRsForWavesPerEU: 1
; Occupancy: 16
; WaveLimiterHint : 0
; COMPUTE_PGM_RSRC2:SCRATCH_EN: 0
; COMPUTE_PGM_RSRC2:USER_SGPR: 15
; COMPUTE_PGM_RSRC2:TRAP_HANDLER: 0
; COMPUTE_PGM_RSRC2:TGID_X_EN: 1
; COMPUTE_PGM_RSRC2:TGID_Y_EN: 0
; COMPUTE_PGM_RSRC2:TGID_Z_EN: 0
; COMPUTE_PGM_RSRC2:TIDIG_COMP_CNT: 0
	.section	.text._ZN7rocprim17ROCPRIM_400000_NS6detail17trampoline_kernelINS0_13select_configILj256ELj13ELNS0_17block_load_methodE3ELS4_3ELS4_3ELNS0_20block_scan_algorithmE0ELj4294967295EEENS1_25partition_config_selectorILNS1_17partition_subalgoE4EjNS0_10empty_typeEbEEZZNS1_14partition_implILS8_4ELb0ES6_15HIP_vector_typeIjLj2EENS0_17counting_iteratorIjlEEPS9_SG_NS0_5tupleIJPjSI_NS0_16reverse_iteratorISI_EEEEENSH_IJSG_SG_SG_EEES9_SI_JZNS1_25segmented_radix_sort_implINS0_14default_configELb1EPKaPaPKlPlN2at6native12_GLOBAL__N_18offset_tEEE10hipError_tPvRmT1_PNSt15iterator_traitsIS12_E10value_typeET2_T3_PNS13_IS18_E10value_typeET4_jRbjT5_S1E_jjP12ihipStream_tbEUljE_ZNSN_ISO_Lb1ESQ_SR_ST_SU_SY_EESZ_S10_S11_S12_S16_S17_S18_S1B_S1C_jS1D_jS1E_S1E_jjS1G_bEUljE0_EEESZ_S10_S11_S18_S1C_S1E_T6_T7_T9_mT8_S1G_bDpT10_ENKUlT_T0_E_clISt17integral_constantIbLb1EES1U_EEDaS1P_S1Q_EUlS1P_E_NS1_11comp_targetILNS1_3genE5ELNS1_11target_archE942ELNS1_3gpuE9ELNS1_3repE0EEENS1_30default_config_static_selectorELNS0_4arch9wavefront6targetE0EEEvS12_,"axG",@progbits,_ZN7rocprim17ROCPRIM_400000_NS6detail17trampoline_kernelINS0_13select_configILj256ELj13ELNS0_17block_load_methodE3ELS4_3ELS4_3ELNS0_20block_scan_algorithmE0ELj4294967295EEENS1_25partition_config_selectorILNS1_17partition_subalgoE4EjNS0_10empty_typeEbEEZZNS1_14partition_implILS8_4ELb0ES6_15HIP_vector_typeIjLj2EENS0_17counting_iteratorIjlEEPS9_SG_NS0_5tupleIJPjSI_NS0_16reverse_iteratorISI_EEEEENSH_IJSG_SG_SG_EEES9_SI_JZNS1_25segmented_radix_sort_implINS0_14default_configELb1EPKaPaPKlPlN2at6native12_GLOBAL__N_18offset_tEEE10hipError_tPvRmT1_PNSt15iterator_traitsIS12_E10value_typeET2_T3_PNS13_IS18_E10value_typeET4_jRbjT5_S1E_jjP12ihipStream_tbEUljE_ZNSN_ISO_Lb1ESQ_SR_ST_SU_SY_EESZ_S10_S11_S12_S16_S17_S18_S1B_S1C_jS1D_jS1E_S1E_jjS1G_bEUljE0_EEESZ_S10_S11_S18_S1C_S1E_T6_T7_T9_mT8_S1G_bDpT10_ENKUlT_T0_E_clISt17integral_constantIbLb1EES1U_EEDaS1P_S1Q_EUlS1P_E_NS1_11comp_targetILNS1_3genE5ELNS1_11target_archE942ELNS1_3gpuE9ELNS1_3repE0EEENS1_30default_config_static_selectorELNS0_4arch9wavefront6targetE0EEEvS12_,comdat
	.globl	_ZN7rocprim17ROCPRIM_400000_NS6detail17trampoline_kernelINS0_13select_configILj256ELj13ELNS0_17block_load_methodE3ELS4_3ELS4_3ELNS0_20block_scan_algorithmE0ELj4294967295EEENS1_25partition_config_selectorILNS1_17partition_subalgoE4EjNS0_10empty_typeEbEEZZNS1_14partition_implILS8_4ELb0ES6_15HIP_vector_typeIjLj2EENS0_17counting_iteratorIjlEEPS9_SG_NS0_5tupleIJPjSI_NS0_16reverse_iteratorISI_EEEEENSH_IJSG_SG_SG_EEES9_SI_JZNS1_25segmented_radix_sort_implINS0_14default_configELb1EPKaPaPKlPlN2at6native12_GLOBAL__N_18offset_tEEE10hipError_tPvRmT1_PNSt15iterator_traitsIS12_E10value_typeET2_T3_PNS13_IS18_E10value_typeET4_jRbjT5_S1E_jjP12ihipStream_tbEUljE_ZNSN_ISO_Lb1ESQ_SR_ST_SU_SY_EESZ_S10_S11_S12_S16_S17_S18_S1B_S1C_jS1D_jS1E_S1E_jjS1G_bEUljE0_EEESZ_S10_S11_S18_S1C_S1E_T6_T7_T9_mT8_S1G_bDpT10_ENKUlT_T0_E_clISt17integral_constantIbLb1EES1U_EEDaS1P_S1Q_EUlS1P_E_NS1_11comp_targetILNS1_3genE5ELNS1_11target_archE942ELNS1_3gpuE9ELNS1_3repE0EEENS1_30default_config_static_selectorELNS0_4arch9wavefront6targetE0EEEvS12_ ; -- Begin function _ZN7rocprim17ROCPRIM_400000_NS6detail17trampoline_kernelINS0_13select_configILj256ELj13ELNS0_17block_load_methodE3ELS4_3ELS4_3ELNS0_20block_scan_algorithmE0ELj4294967295EEENS1_25partition_config_selectorILNS1_17partition_subalgoE4EjNS0_10empty_typeEbEEZZNS1_14partition_implILS8_4ELb0ES6_15HIP_vector_typeIjLj2EENS0_17counting_iteratorIjlEEPS9_SG_NS0_5tupleIJPjSI_NS0_16reverse_iteratorISI_EEEEENSH_IJSG_SG_SG_EEES9_SI_JZNS1_25segmented_radix_sort_implINS0_14default_configELb1EPKaPaPKlPlN2at6native12_GLOBAL__N_18offset_tEEE10hipError_tPvRmT1_PNSt15iterator_traitsIS12_E10value_typeET2_T3_PNS13_IS18_E10value_typeET4_jRbjT5_S1E_jjP12ihipStream_tbEUljE_ZNSN_ISO_Lb1ESQ_SR_ST_SU_SY_EESZ_S10_S11_S12_S16_S17_S18_S1B_S1C_jS1D_jS1E_S1E_jjS1G_bEUljE0_EEESZ_S10_S11_S18_S1C_S1E_T6_T7_T9_mT8_S1G_bDpT10_ENKUlT_T0_E_clISt17integral_constantIbLb1EES1U_EEDaS1P_S1Q_EUlS1P_E_NS1_11comp_targetILNS1_3genE5ELNS1_11target_archE942ELNS1_3gpuE9ELNS1_3repE0EEENS1_30default_config_static_selectorELNS0_4arch9wavefront6targetE0EEEvS12_
	.p2align	8
	.type	_ZN7rocprim17ROCPRIM_400000_NS6detail17trampoline_kernelINS0_13select_configILj256ELj13ELNS0_17block_load_methodE3ELS4_3ELS4_3ELNS0_20block_scan_algorithmE0ELj4294967295EEENS1_25partition_config_selectorILNS1_17partition_subalgoE4EjNS0_10empty_typeEbEEZZNS1_14partition_implILS8_4ELb0ES6_15HIP_vector_typeIjLj2EENS0_17counting_iteratorIjlEEPS9_SG_NS0_5tupleIJPjSI_NS0_16reverse_iteratorISI_EEEEENSH_IJSG_SG_SG_EEES9_SI_JZNS1_25segmented_radix_sort_implINS0_14default_configELb1EPKaPaPKlPlN2at6native12_GLOBAL__N_18offset_tEEE10hipError_tPvRmT1_PNSt15iterator_traitsIS12_E10value_typeET2_T3_PNS13_IS18_E10value_typeET4_jRbjT5_S1E_jjP12ihipStream_tbEUljE_ZNSN_ISO_Lb1ESQ_SR_ST_SU_SY_EESZ_S10_S11_S12_S16_S17_S18_S1B_S1C_jS1D_jS1E_S1E_jjS1G_bEUljE0_EEESZ_S10_S11_S18_S1C_S1E_T6_T7_T9_mT8_S1G_bDpT10_ENKUlT_T0_E_clISt17integral_constantIbLb1EES1U_EEDaS1P_S1Q_EUlS1P_E_NS1_11comp_targetILNS1_3genE5ELNS1_11target_archE942ELNS1_3gpuE9ELNS1_3repE0EEENS1_30default_config_static_selectorELNS0_4arch9wavefront6targetE0EEEvS12_,@function
_ZN7rocprim17ROCPRIM_400000_NS6detail17trampoline_kernelINS0_13select_configILj256ELj13ELNS0_17block_load_methodE3ELS4_3ELS4_3ELNS0_20block_scan_algorithmE0ELj4294967295EEENS1_25partition_config_selectorILNS1_17partition_subalgoE4EjNS0_10empty_typeEbEEZZNS1_14partition_implILS8_4ELb0ES6_15HIP_vector_typeIjLj2EENS0_17counting_iteratorIjlEEPS9_SG_NS0_5tupleIJPjSI_NS0_16reverse_iteratorISI_EEEEENSH_IJSG_SG_SG_EEES9_SI_JZNS1_25segmented_radix_sort_implINS0_14default_configELb1EPKaPaPKlPlN2at6native12_GLOBAL__N_18offset_tEEE10hipError_tPvRmT1_PNSt15iterator_traitsIS12_E10value_typeET2_T3_PNS13_IS18_E10value_typeET4_jRbjT5_S1E_jjP12ihipStream_tbEUljE_ZNSN_ISO_Lb1ESQ_SR_ST_SU_SY_EESZ_S10_S11_S12_S16_S17_S18_S1B_S1C_jS1D_jS1E_S1E_jjS1G_bEUljE0_EEESZ_S10_S11_S18_S1C_S1E_T6_T7_T9_mT8_S1G_bDpT10_ENKUlT_T0_E_clISt17integral_constantIbLb1EES1U_EEDaS1P_S1Q_EUlS1P_E_NS1_11comp_targetILNS1_3genE5ELNS1_11target_archE942ELNS1_3gpuE9ELNS1_3repE0EEENS1_30default_config_static_selectorELNS0_4arch9wavefront6targetE0EEEvS12_: ; @_ZN7rocprim17ROCPRIM_400000_NS6detail17trampoline_kernelINS0_13select_configILj256ELj13ELNS0_17block_load_methodE3ELS4_3ELS4_3ELNS0_20block_scan_algorithmE0ELj4294967295EEENS1_25partition_config_selectorILNS1_17partition_subalgoE4EjNS0_10empty_typeEbEEZZNS1_14partition_implILS8_4ELb0ES6_15HIP_vector_typeIjLj2EENS0_17counting_iteratorIjlEEPS9_SG_NS0_5tupleIJPjSI_NS0_16reverse_iteratorISI_EEEEENSH_IJSG_SG_SG_EEES9_SI_JZNS1_25segmented_radix_sort_implINS0_14default_configELb1EPKaPaPKlPlN2at6native12_GLOBAL__N_18offset_tEEE10hipError_tPvRmT1_PNSt15iterator_traitsIS12_E10value_typeET2_T3_PNS13_IS18_E10value_typeET4_jRbjT5_S1E_jjP12ihipStream_tbEUljE_ZNSN_ISO_Lb1ESQ_SR_ST_SU_SY_EESZ_S10_S11_S12_S16_S17_S18_S1B_S1C_jS1D_jS1E_S1E_jjS1G_bEUljE0_EEESZ_S10_S11_S18_S1C_S1E_T6_T7_T9_mT8_S1G_bDpT10_ENKUlT_T0_E_clISt17integral_constantIbLb1EES1U_EEDaS1P_S1Q_EUlS1P_E_NS1_11comp_targetILNS1_3genE5ELNS1_11target_archE942ELNS1_3gpuE9ELNS1_3repE0EEENS1_30default_config_static_selectorELNS0_4arch9wavefront6targetE0EEEvS12_
; %bb.0:
	.section	.rodata,"a",@progbits
	.p2align	6, 0x0
	.amdhsa_kernel _ZN7rocprim17ROCPRIM_400000_NS6detail17trampoline_kernelINS0_13select_configILj256ELj13ELNS0_17block_load_methodE3ELS4_3ELS4_3ELNS0_20block_scan_algorithmE0ELj4294967295EEENS1_25partition_config_selectorILNS1_17partition_subalgoE4EjNS0_10empty_typeEbEEZZNS1_14partition_implILS8_4ELb0ES6_15HIP_vector_typeIjLj2EENS0_17counting_iteratorIjlEEPS9_SG_NS0_5tupleIJPjSI_NS0_16reverse_iteratorISI_EEEEENSH_IJSG_SG_SG_EEES9_SI_JZNS1_25segmented_radix_sort_implINS0_14default_configELb1EPKaPaPKlPlN2at6native12_GLOBAL__N_18offset_tEEE10hipError_tPvRmT1_PNSt15iterator_traitsIS12_E10value_typeET2_T3_PNS13_IS18_E10value_typeET4_jRbjT5_S1E_jjP12ihipStream_tbEUljE_ZNSN_ISO_Lb1ESQ_SR_ST_SU_SY_EESZ_S10_S11_S12_S16_S17_S18_S1B_S1C_jS1D_jS1E_S1E_jjS1G_bEUljE0_EEESZ_S10_S11_S18_S1C_S1E_T6_T7_T9_mT8_S1G_bDpT10_ENKUlT_T0_E_clISt17integral_constantIbLb1EES1U_EEDaS1P_S1Q_EUlS1P_E_NS1_11comp_targetILNS1_3genE5ELNS1_11target_archE942ELNS1_3gpuE9ELNS1_3repE0EEENS1_30default_config_static_selectorELNS0_4arch9wavefront6targetE0EEEvS12_
		.amdhsa_group_segment_fixed_size 0
		.amdhsa_private_segment_fixed_size 0
		.amdhsa_kernarg_size 184
		.amdhsa_user_sgpr_count 15
		.amdhsa_user_sgpr_dispatch_ptr 0
		.amdhsa_user_sgpr_queue_ptr 0
		.amdhsa_user_sgpr_kernarg_segment_ptr 1
		.amdhsa_user_sgpr_dispatch_id 0
		.amdhsa_user_sgpr_private_segment_size 0
		.amdhsa_wavefront_size32 1
		.amdhsa_uses_dynamic_stack 0
		.amdhsa_enable_private_segment 0
		.amdhsa_system_sgpr_workgroup_id_x 1
		.amdhsa_system_sgpr_workgroup_id_y 0
		.amdhsa_system_sgpr_workgroup_id_z 0
		.amdhsa_system_sgpr_workgroup_info 0
		.amdhsa_system_vgpr_workitem_id 0
		.amdhsa_next_free_vgpr 1
		.amdhsa_next_free_sgpr 1
		.amdhsa_reserve_vcc 0
		.amdhsa_float_round_mode_32 0
		.amdhsa_float_round_mode_16_64 0
		.amdhsa_float_denorm_mode_32 3
		.amdhsa_float_denorm_mode_16_64 3
		.amdhsa_dx10_clamp 1
		.amdhsa_ieee_mode 1
		.amdhsa_fp16_overflow 0
		.amdhsa_workgroup_processor_mode 1
		.amdhsa_memory_ordered 1
		.amdhsa_forward_progress 0
		.amdhsa_shared_vgpr_count 0
		.amdhsa_exception_fp_ieee_invalid_op 0
		.amdhsa_exception_fp_denorm_src 0
		.amdhsa_exception_fp_ieee_div_zero 0
		.amdhsa_exception_fp_ieee_overflow 0
		.amdhsa_exception_fp_ieee_underflow 0
		.amdhsa_exception_fp_ieee_inexact 0
		.amdhsa_exception_int_div_zero 0
	.end_amdhsa_kernel
	.section	.text._ZN7rocprim17ROCPRIM_400000_NS6detail17trampoline_kernelINS0_13select_configILj256ELj13ELNS0_17block_load_methodE3ELS4_3ELS4_3ELNS0_20block_scan_algorithmE0ELj4294967295EEENS1_25partition_config_selectorILNS1_17partition_subalgoE4EjNS0_10empty_typeEbEEZZNS1_14partition_implILS8_4ELb0ES6_15HIP_vector_typeIjLj2EENS0_17counting_iteratorIjlEEPS9_SG_NS0_5tupleIJPjSI_NS0_16reverse_iteratorISI_EEEEENSH_IJSG_SG_SG_EEES9_SI_JZNS1_25segmented_radix_sort_implINS0_14default_configELb1EPKaPaPKlPlN2at6native12_GLOBAL__N_18offset_tEEE10hipError_tPvRmT1_PNSt15iterator_traitsIS12_E10value_typeET2_T3_PNS13_IS18_E10value_typeET4_jRbjT5_S1E_jjP12ihipStream_tbEUljE_ZNSN_ISO_Lb1ESQ_SR_ST_SU_SY_EESZ_S10_S11_S12_S16_S17_S18_S1B_S1C_jS1D_jS1E_S1E_jjS1G_bEUljE0_EEESZ_S10_S11_S18_S1C_S1E_T6_T7_T9_mT8_S1G_bDpT10_ENKUlT_T0_E_clISt17integral_constantIbLb1EES1U_EEDaS1P_S1Q_EUlS1P_E_NS1_11comp_targetILNS1_3genE5ELNS1_11target_archE942ELNS1_3gpuE9ELNS1_3repE0EEENS1_30default_config_static_selectorELNS0_4arch9wavefront6targetE0EEEvS12_,"axG",@progbits,_ZN7rocprim17ROCPRIM_400000_NS6detail17trampoline_kernelINS0_13select_configILj256ELj13ELNS0_17block_load_methodE3ELS4_3ELS4_3ELNS0_20block_scan_algorithmE0ELj4294967295EEENS1_25partition_config_selectorILNS1_17partition_subalgoE4EjNS0_10empty_typeEbEEZZNS1_14partition_implILS8_4ELb0ES6_15HIP_vector_typeIjLj2EENS0_17counting_iteratorIjlEEPS9_SG_NS0_5tupleIJPjSI_NS0_16reverse_iteratorISI_EEEEENSH_IJSG_SG_SG_EEES9_SI_JZNS1_25segmented_radix_sort_implINS0_14default_configELb1EPKaPaPKlPlN2at6native12_GLOBAL__N_18offset_tEEE10hipError_tPvRmT1_PNSt15iterator_traitsIS12_E10value_typeET2_T3_PNS13_IS18_E10value_typeET4_jRbjT5_S1E_jjP12ihipStream_tbEUljE_ZNSN_ISO_Lb1ESQ_SR_ST_SU_SY_EESZ_S10_S11_S12_S16_S17_S18_S1B_S1C_jS1D_jS1E_S1E_jjS1G_bEUljE0_EEESZ_S10_S11_S18_S1C_S1E_T6_T7_T9_mT8_S1G_bDpT10_ENKUlT_T0_E_clISt17integral_constantIbLb1EES1U_EEDaS1P_S1Q_EUlS1P_E_NS1_11comp_targetILNS1_3genE5ELNS1_11target_archE942ELNS1_3gpuE9ELNS1_3repE0EEENS1_30default_config_static_selectorELNS0_4arch9wavefront6targetE0EEEvS12_,comdat
.Lfunc_end235:
	.size	_ZN7rocprim17ROCPRIM_400000_NS6detail17trampoline_kernelINS0_13select_configILj256ELj13ELNS0_17block_load_methodE3ELS4_3ELS4_3ELNS0_20block_scan_algorithmE0ELj4294967295EEENS1_25partition_config_selectorILNS1_17partition_subalgoE4EjNS0_10empty_typeEbEEZZNS1_14partition_implILS8_4ELb0ES6_15HIP_vector_typeIjLj2EENS0_17counting_iteratorIjlEEPS9_SG_NS0_5tupleIJPjSI_NS0_16reverse_iteratorISI_EEEEENSH_IJSG_SG_SG_EEES9_SI_JZNS1_25segmented_radix_sort_implINS0_14default_configELb1EPKaPaPKlPlN2at6native12_GLOBAL__N_18offset_tEEE10hipError_tPvRmT1_PNSt15iterator_traitsIS12_E10value_typeET2_T3_PNS13_IS18_E10value_typeET4_jRbjT5_S1E_jjP12ihipStream_tbEUljE_ZNSN_ISO_Lb1ESQ_SR_ST_SU_SY_EESZ_S10_S11_S12_S16_S17_S18_S1B_S1C_jS1D_jS1E_S1E_jjS1G_bEUljE0_EEESZ_S10_S11_S18_S1C_S1E_T6_T7_T9_mT8_S1G_bDpT10_ENKUlT_T0_E_clISt17integral_constantIbLb1EES1U_EEDaS1P_S1Q_EUlS1P_E_NS1_11comp_targetILNS1_3genE5ELNS1_11target_archE942ELNS1_3gpuE9ELNS1_3repE0EEENS1_30default_config_static_selectorELNS0_4arch9wavefront6targetE0EEEvS12_, .Lfunc_end235-_ZN7rocprim17ROCPRIM_400000_NS6detail17trampoline_kernelINS0_13select_configILj256ELj13ELNS0_17block_load_methodE3ELS4_3ELS4_3ELNS0_20block_scan_algorithmE0ELj4294967295EEENS1_25partition_config_selectorILNS1_17partition_subalgoE4EjNS0_10empty_typeEbEEZZNS1_14partition_implILS8_4ELb0ES6_15HIP_vector_typeIjLj2EENS0_17counting_iteratorIjlEEPS9_SG_NS0_5tupleIJPjSI_NS0_16reverse_iteratorISI_EEEEENSH_IJSG_SG_SG_EEES9_SI_JZNS1_25segmented_radix_sort_implINS0_14default_configELb1EPKaPaPKlPlN2at6native12_GLOBAL__N_18offset_tEEE10hipError_tPvRmT1_PNSt15iterator_traitsIS12_E10value_typeET2_T3_PNS13_IS18_E10value_typeET4_jRbjT5_S1E_jjP12ihipStream_tbEUljE_ZNSN_ISO_Lb1ESQ_SR_ST_SU_SY_EESZ_S10_S11_S12_S16_S17_S18_S1B_S1C_jS1D_jS1E_S1E_jjS1G_bEUljE0_EEESZ_S10_S11_S18_S1C_S1E_T6_T7_T9_mT8_S1G_bDpT10_ENKUlT_T0_E_clISt17integral_constantIbLb1EES1U_EEDaS1P_S1Q_EUlS1P_E_NS1_11comp_targetILNS1_3genE5ELNS1_11target_archE942ELNS1_3gpuE9ELNS1_3repE0EEENS1_30default_config_static_selectorELNS0_4arch9wavefront6targetE0EEEvS12_
                                        ; -- End function
	.section	.AMDGPU.csdata,"",@progbits
; Kernel info:
; codeLenInByte = 0
; NumSgprs: 0
; NumVgprs: 0
; ScratchSize: 0
; MemoryBound: 0
; FloatMode: 240
; IeeeMode: 1
; LDSByteSize: 0 bytes/workgroup (compile time only)
; SGPRBlocks: 0
; VGPRBlocks: 0
; NumSGPRsForWavesPerEU: 1
; NumVGPRsForWavesPerEU: 1
; Occupancy: 16
; WaveLimiterHint : 0
; COMPUTE_PGM_RSRC2:SCRATCH_EN: 0
; COMPUTE_PGM_RSRC2:USER_SGPR: 15
; COMPUTE_PGM_RSRC2:TRAP_HANDLER: 0
; COMPUTE_PGM_RSRC2:TGID_X_EN: 1
; COMPUTE_PGM_RSRC2:TGID_Y_EN: 0
; COMPUTE_PGM_RSRC2:TGID_Z_EN: 0
; COMPUTE_PGM_RSRC2:TIDIG_COMP_CNT: 0
	.section	.text._ZN7rocprim17ROCPRIM_400000_NS6detail17trampoline_kernelINS0_13select_configILj256ELj13ELNS0_17block_load_methodE3ELS4_3ELS4_3ELNS0_20block_scan_algorithmE0ELj4294967295EEENS1_25partition_config_selectorILNS1_17partition_subalgoE4EjNS0_10empty_typeEbEEZZNS1_14partition_implILS8_4ELb0ES6_15HIP_vector_typeIjLj2EENS0_17counting_iteratorIjlEEPS9_SG_NS0_5tupleIJPjSI_NS0_16reverse_iteratorISI_EEEEENSH_IJSG_SG_SG_EEES9_SI_JZNS1_25segmented_radix_sort_implINS0_14default_configELb1EPKaPaPKlPlN2at6native12_GLOBAL__N_18offset_tEEE10hipError_tPvRmT1_PNSt15iterator_traitsIS12_E10value_typeET2_T3_PNS13_IS18_E10value_typeET4_jRbjT5_S1E_jjP12ihipStream_tbEUljE_ZNSN_ISO_Lb1ESQ_SR_ST_SU_SY_EESZ_S10_S11_S12_S16_S17_S18_S1B_S1C_jS1D_jS1E_S1E_jjS1G_bEUljE0_EEESZ_S10_S11_S18_S1C_S1E_T6_T7_T9_mT8_S1G_bDpT10_ENKUlT_T0_E_clISt17integral_constantIbLb1EES1U_EEDaS1P_S1Q_EUlS1P_E_NS1_11comp_targetILNS1_3genE4ELNS1_11target_archE910ELNS1_3gpuE8ELNS1_3repE0EEENS1_30default_config_static_selectorELNS0_4arch9wavefront6targetE0EEEvS12_,"axG",@progbits,_ZN7rocprim17ROCPRIM_400000_NS6detail17trampoline_kernelINS0_13select_configILj256ELj13ELNS0_17block_load_methodE3ELS4_3ELS4_3ELNS0_20block_scan_algorithmE0ELj4294967295EEENS1_25partition_config_selectorILNS1_17partition_subalgoE4EjNS0_10empty_typeEbEEZZNS1_14partition_implILS8_4ELb0ES6_15HIP_vector_typeIjLj2EENS0_17counting_iteratorIjlEEPS9_SG_NS0_5tupleIJPjSI_NS0_16reverse_iteratorISI_EEEEENSH_IJSG_SG_SG_EEES9_SI_JZNS1_25segmented_radix_sort_implINS0_14default_configELb1EPKaPaPKlPlN2at6native12_GLOBAL__N_18offset_tEEE10hipError_tPvRmT1_PNSt15iterator_traitsIS12_E10value_typeET2_T3_PNS13_IS18_E10value_typeET4_jRbjT5_S1E_jjP12ihipStream_tbEUljE_ZNSN_ISO_Lb1ESQ_SR_ST_SU_SY_EESZ_S10_S11_S12_S16_S17_S18_S1B_S1C_jS1D_jS1E_S1E_jjS1G_bEUljE0_EEESZ_S10_S11_S18_S1C_S1E_T6_T7_T9_mT8_S1G_bDpT10_ENKUlT_T0_E_clISt17integral_constantIbLb1EES1U_EEDaS1P_S1Q_EUlS1P_E_NS1_11comp_targetILNS1_3genE4ELNS1_11target_archE910ELNS1_3gpuE8ELNS1_3repE0EEENS1_30default_config_static_selectorELNS0_4arch9wavefront6targetE0EEEvS12_,comdat
	.globl	_ZN7rocprim17ROCPRIM_400000_NS6detail17trampoline_kernelINS0_13select_configILj256ELj13ELNS0_17block_load_methodE3ELS4_3ELS4_3ELNS0_20block_scan_algorithmE0ELj4294967295EEENS1_25partition_config_selectorILNS1_17partition_subalgoE4EjNS0_10empty_typeEbEEZZNS1_14partition_implILS8_4ELb0ES6_15HIP_vector_typeIjLj2EENS0_17counting_iteratorIjlEEPS9_SG_NS0_5tupleIJPjSI_NS0_16reverse_iteratorISI_EEEEENSH_IJSG_SG_SG_EEES9_SI_JZNS1_25segmented_radix_sort_implINS0_14default_configELb1EPKaPaPKlPlN2at6native12_GLOBAL__N_18offset_tEEE10hipError_tPvRmT1_PNSt15iterator_traitsIS12_E10value_typeET2_T3_PNS13_IS18_E10value_typeET4_jRbjT5_S1E_jjP12ihipStream_tbEUljE_ZNSN_ISO_Lb1ESQ_SR_ST_SU_SY_EESZ_S10_S11_S12_S16_S17_S18_S1B_S1C_jS1D_jS1E_S1E_jjS1G_bEUljE0_EEESZ_S10_S11_S18_S1C_S1E_T6_T7_T9_mT8_S1G_bDpT10_ENKUlT_T0_E_clISt17integral_constantIbLb1EES1U_EEDaS1P_S1Q_EUlS1P_E_NS1_11comp_targetILNS1_3genE4ELNS1_11target_archE910ELNS1_3gpuE8ELNS1_3repE0EEENS1_30default_config_static_selectorELNS0_4arch9wavefront6targetE0EEEvS12_ ; -- Begin function _ZN7rocprim17ROCPRIM_400000_NS6detail17trampoline_kernelINS0_13select_configILj256ELj13ELNS0_17block_load_methodE3ELS4_3ELS4_3ELNS0_20block_scan_algorithmE0ELj4294967295EEENS1_25partition_config_selectorILNS1_17partition_subalgoE4EjNS0_10empty_typeEbEEZZNS1_14partition_implILS8_4ELb0ES6_15HIP_vector_typeIjLj2EENS0_17counting_iteratorIjlEEPS9_SG_NS0_5tupleIJPjSI_NS0_16reverse_iteratorISI_EEEEENSH_IJSG_SG_SG_EEES9_SI_JZNS1_25segmented_radix_sort_implINS0_14default_configELb1EPKaPaPKlPlN2at6native12_GLOBAL__N_18offset_tEEE10hipError_tPvRmT1_PNSt15iterator_traitsIS12_E10value_typeET2_T3_PNS13_IS18_E10value_typeET4_jRbjT5_S1E_jjP12ihipStream_tbEUljE_ZNSN_ISO_Lb1ESQ_SR_ST_SU_SY_EESZ_S10_S11_S12_S16_S17_S18_S1B_S1C_jS1D_jS1E_S1E_jjS1G_bEUljE0_EEESZ_S10_S11_S18_S1C_S1E_T6_T7_T9_mT8_S1G_bDpT10_ENKUlT_T0_E_clISt17integral_constantIbLb1EES1U_EEDaS1P_S1Q_EUlS1P_E_NS1_11comp_targetILNS1_3genE4ELNS1_11target_archE910ELNS1_3gpuE8ELNS1_3repE0EEENS1_30default_config_static_selectorELNS0_4arch9wavefront6targetE0EEEvS12_
	.p2align	8
	.type	_ZN7rocprim17ROCPRIM_400000_NS6detail17trampoline_kernelINS0_13select_configILj256ELj13ELNS0_17block_load_methodE3ELS4_3ELS4_3ELNS0_20block_scan_algorithmE0ELj4294967295EEENS1_25partition_config_selectorILNS1_17partition_subalgoE4EjNS0_10empty_typeEbEEZZNS1_14partition_implILS8_4ELb0ES6_15HIP_vector_typeIjLj2EENS0_17counting_iteratorIjlEEPS9_SG_NS0_5tupleIJPjSI_NS0_16reverse_iteratorISI_EEEEENSH_IJSG_SG_SG_EEES9_SI_JZNS1_25segmented_radix_sort_implINS0_14default_configELb1EPKaPaPKlPlN2at6native12_GLOBAL__N_18offset_tEEE10hipError_tPvRmT1_PNSt15iterator_traitsIS12_E10value_typeET2_T3_PNS13_IS18_E10value_typeET4_jRbjT5_S1E_jjP12ihipStream_tbEUljE_ZNSN_ISO_Lb1ESQ_SR_ST_SU_SY_EESZ_S10_S11_S12_S16_S17_S18_S1B_S1C_jS1D_jS1E_S1E_jjS1G_bEUljE0_EEESZ_S10_S11_S18_S1C_S1E_T6_T7_T9_mT8_S1G_bDpT10_ENKUlT_T0_E_clISt17integral_constantIbLb1EES1U_EEDaS1P_S1Q_EUlS1P_E_NS1_11comp_targetILNS1_3genE4ELNS1_11target_archE910ELNS1_3gpuE8ELNS1_3repE0EEENS1_30default_config_static_selectorELNS0_4arch9wavefront6targetE0EEEvS12_,@function
_ZN7rocprim17ROCPRIM_400000_NS6detail17trampoline_kernelINS0_13select_configILj256ELj13ELNS0_17block_load_methodE3ELS4_3ELS4_3ELNS0_20block_scan_algorithmE0ELj4294967295EEENS1_25partition_config_selectorILNS1_17partition_subalgoE4EjNS0_10empty_typeEbEEZZNS1_14partition_implILS8_4ELb0ES6_15HIP_vector_typeIjLj2EENS0_17counting_iteratorIjlEEPS9_SG_NS0_5tupleIJPjSI_NS0_16reverse_iteratorISI_EEEEENSH_IJSG_SG_SG_EEES9_SI_JZNS1_25segmented_radix_sort_implINS0_14default_configELb1EPKaPaPKlPlN2at6native12_GLOBAL__N_18offset_tEEE10hipError_tPvRmT1_PNSt15iterator_traitsIS12_E10value_typeET2_T3_PNS13_IS18_E10value_typeET4_jRbjT5_S1E_jjP12ihipStream_tbEUljE_ZNSN_ISO_Lb1ESQ_SR_ST_SU_SY_EESZ_S10_S11_S12_S16_S17_S18_S1B_S1C_jS1D_jS1E_S1E_jjS1G_bEUljE0_EEESZ_S10_S11_S18_S1C_S1E_T6_T7_T9_mT8_S1G_bDpT10_ENKUlT_T0_E_clISt17integral_constantIbLb1EES1U_EEDaS1P_S1Q_EUlS1P_E_NS1_11comp_targetILNS1_3genE4ELNS1_11target_archE910ELNS1_3gpuE8ELNS1_3repE0EEENS1_30default_config_static_selectorELNS0_4arch9wavefront6targetE0EEEvS12_: ; @_ZN7rocprim17ROCPRIM_400000_NS6detail17trampoline_kernelINS0_13select_configILj256ELj13ELNS0_17block_load_methodE3ELS4_3ELS4_3ELNS0_20block_scan_algorithmE0ELj4294967295EEENS1_25partition_config_selectorILNS1_17partition_subalgoE4EjNS0_10empty_typeEbEEZZNS1_14partition_implILS8_4ELb0ES6_15HIP_vector_typeIjLj2EENS0_17counting_iteratorIjlEEPS9_SG_NS0_5tupleIJPjSI_NS0_16reverse_iteratorISI_EEEEENSH_IJSG_SG_SG_EEES9_SI_JZNS1_25segmented_radix_sort_implINS0_14default_configELb1EPKaPaPKlPlN2at6native12_GLOBAL__N_18offset_tEEE10hipError_tPvRmT1_PNSt15iterator_traitsIS12_E10value_typeET2_T3_PNS13_IS18_E10value_typeET4_jRbjT5_S1E_jjP12ihipStream_tbEUljE_ZNSN_ISO_Lb1ESQ_SR_ST_SU_SY_EESZ_S10_S11_S12_S16_S17_S18_S1B_S1C_jS1D_jS1E_S1E_jjS1G_bEUljE0_EEESZ_S10_S11_S18_S1C_S1E_T6_T7_T9_mT8_S1G_bDpT10_ENKUlT_T0_E_clISt17integral_constantIbLb1EES1U_EEDaS1P_S1Q_EUlS1P_E_NS1_11comp_targetILNS1_3genE4ELNS1_11target_archE910ELNS1_3gpuE8ELNS1_3repE0EEENS1_30default_config_static_selectorELNS0_4arch9wavefront6targetE0EEEvS12_
; %bb.0:
	.section	.rodata,"a",@progbits
	.p2align	6, 0x0
	.amdhsa_kernel _ZN7rocprim17ROCPRIM_400000_NS6detail17trampoline_kernelINS0_13select_configILj256ELj13ELNS0_17block_load_methodE3ELS4_3ELS4_3ELNS0_20block_scan_algorithmE0ELj4294967295EEENS1_25partition_config_selectorILNS1_17partition_subalgoE4EjNS0_10empty_typeEbEEZZNS1_14partition_implILS8_4ELb0ES6_15HIP_vector_typeIjLj2EENS0_17counting_iteratorIjlEEPS9_SG_NS0_5tupleIJPjSI_NS0_16reverse_iteratorISI_EEEEENSH_IJSG_SG_SG_EEES9_SI_JZNS1_25segmented_radix_sort_implINS0_14default_configELb1EPKaPaPKlPlN2at6native12_GLOBAL__N_18offset_tEEE10hipError_tPvRmT1_PNSt15iterator_traitsIS12_E10value_typeET2_T3_PNS13_IS18_E10value_typeET4_jRbjT5_S1E_jjP12ihipStream_tbEUljE_ZNSN_ISO_Lb1ESQ_SR_ST_SU_SY_EESZ_S10_S11_S12_S16_S17_S18_S1B_S1C_jS1D_jS1E_S1E_jjS1G_bEUljE0_EEESZ_S10_S11_S18_S1C_S1E_T6_T7_T9_mT8_S1G_bDpT10_ENKUlT_T0_E_clISt17integral_constantIbLb1EES1U_EEDaS1P_S1Q_EUlS1P_E_NS1_11comp_targetILNS1_3genE4ELNS1_11target_archE910ELNS1_3gpuE8ELNS1_3repE0EEENS1_30default_config_static_selectorELNS0_4arch9wavefront6targetE0EEEvS12_
		.amdhsa_group_segment_fixed_size 0
		.amdhsa_private_segment_fixed_size 0
		.amdhsa_kernarg_size 184
		.amdhsa_user_sgpr_count 15
		.amdhsa_user_sgpr_dispatch_ptr 0
		.amdhsa_user_sgpr_queue_ptr 0
		.amdhsa_user_sgpr_kernarg_segment_ptr 1
		.amdhsa_user_sgpr_dispatch_id 0
		.amdhsa_user_sgpr_private_segment_size 0
		.amdhsa_wavefront_size32 1
		.amdhsa_uses_dynamic_stack 0
		.amdhsa_enable_private_segment 0
		.amdhsa_system_sgpr_workgroup_id_x 1
		.amdhsa_system_sgpr_workgroup_id_y 0
		.amdhsa_system_sgpr_workgroup_id_z 0
		.amdhsa_system_sgpr_workgroup_info 0
		.amdhsa_system_vgpr_workitem_id 0
		.amdhsa_next_free_vgpr 1
		.amdhsa_next_free_sgpr 1
		.amdhsa_reserve_vcc 0
		.amdhsa_float_round_mode_32 0
		.amdhsa_float_round_mode_16_64 0
		.amdhsa_float_denorm_mode_32 3
		.amdhsa_float_denorm_mode_16_64 3
		.amdhsa_dx10_clamp 1
		.amdhsa_ieee_mode 1
		.amdhsa_fp16_overflow 0
		.amdhsa_workgroup_processor_mode 1
		.amdhsa_memory_ordered 1
		.amdhsa_forward_progress 0
		.amdhsa_shared_vgpr_count 0
		.amdhsa_exception_fp_ieee_invalid_op 0
		.amdhsa_exception_fp_denorm_src 0
		.amdhsa_exception_fp_ieee_div_zero 0
		.amdhsa_exception_fp_ieee_overflow 0
		.amdhsa_exception_fp_ieee_underflow 0
		.amdhsa_exception_fp_ieee_inexact 0
		.amdhsa_exception_int_div_zero 0
	.end_amdhsa_kernel
	.section	.text._ZN7rocprim17ROCPRIM_400000_NS6detail17trampoline_kernelINS0_13select_configILj256ELj13ELNS0_17block_load_methodE3ELS4_3ELS4_3ELNS0_20block_scan_algorithmE0ELj4294967295EEENS1_25partition_config_selectorILNS1_17partition_subalgoE4EjNS0_10empty_typeEbEEZZNS1_14partition_implILS8_4ELb0ES6_15HIP_vector_typeIjLj2EENS0_17counting_iteratorIjlEEPS9_SG_NS0_5tupleIJPjSI_NS0_16reverse_iteratorISI_EEEEENSH_IJSG_SG_SG_EEES9_SI_JZNS1_25segmented_radix_sort_implINS0_14default_configELb1EPKaPaPKlPlN2at6native12_GLOBAL__N_18offset_tEEE10hipError_tPvRmT1_PNSt15iterator_traitsIS12_E10value_typeET2_T3_PNS13_IS18_E10value_typeET4_jRbjT5_S1E_jjP12ihipStream_tbEUljE_ZNSN_ISO_Lb1ESQ_SR_ST_SU_SY_EESZ_S10_S11_S12_S16_S17_S18_S1B_S1C_jS1D_jS1E_S1E_jjS1G_bEUljE0_EEESZ_S10_S11_S18_S1C_S1E_T6_T7_T9_mT8_S1G_bDpT10_ENKUlT_T0_E_clISt17integral_constantIbLb1EES1U_EEDaS1P_S1Q_EUlS1P_E_NS1_11comp_targetILNS1_3genE4ELNS1_11target_archE910ELNS1_3gpuE8ELNS1_3repE0EEENS1_30default_config_static_selectorELNS0_4arch9wavefront6targetE0EEEvS12_,"axG",@progbits,_ZN7rocprim17ROCPRIM_400000_NS6detail17trampoline_kernelINS0_13select_configILj256ELj13ELNS0_17block_load_methodE3ELS4_3ELS4_3ELNS0_20block_scan_algorithmE0ELj4294967295EEENS1_25partition_config_selectorILNS1_17partition_subalgoE4EjNS0_10empty_typeEbEEZZNS1_14partition_implILS8_4ELb0ES6_15HIP_vector_typeIjLj2EENS0_17counting_iteratorIjlEEPS9_SG_NS0_5tupleIJPjSI_NS0_16reverse_iteratorISI_EEEEENSH_IJSG_SG_SG_EEES9_SI_JZNS1_25segmented_radix_sort_implINS0_14default_configELb1EPKaPaPKlPlN2at6native12_GLOBAL__N_18offset_tEEE10hipError_tPvRmT1_PNSt15iterator_traitsIS12_E10value_typeET2_T3_PNS13_IS18_E10value_typeET4_jRbjT5_S1E_jjP12ihipStream_tbEUljE_ZNSN_ISO_Lb1ESQ_SR_ST_SU_SY_EESZ_S10_S11_S12_S16_S17_S18_S1B_S1C_jS1D_jS1E_S1E_jjS1G_bEUljE0_EEESZ_S10_S11_S18_S1C_S1E_T6_T7_T9_mT8_S1G_bDpT10_ENKUlT_T0_E_clISt17integral_constantIbLb1EES1U_EEDaS1P_S1Q_EUlS1P_E_NS1_11comp_targetILNS1_3genE4ELNS1_11target_archE910ELNS1_3gpuE8ELNS1_3repE0EEENS1_30default_config_static_selectorELNS0_4arch9wavefront6targetE0EEEvS12_,comdat
.Lfunc_end236:
	.size	_ZN7rocprim17ROCPRIM_400000_NS6detail17trampoline_kernelINS0_13select_configILj256ELj13ELNS0_17block_load_methodE3ELS4_3ELS4_3ELNS0_20block_scan_algorithmE0ELj4294967295EEENS1_25partition_config_selectorILNS1_17partition_subalgoE4EjNS0_10empty_typeEbEEZZNS1_14partition_implILS8_4ELb0ES6_15HIP_vector_typeIjLj2EENS0_17counting_iteratorIjlEEPS9_SG_NS0_5tupleIJPjSI_NS0_16reverse_iteratorISI_EEEEENSH_IJSG_SG_SG_EEES9_SI_JZNS1_25segmented_radix_sort_implINS0_14default_configELb1EPKaPaPKlPlN2at6native12_GLOBAL__N_18offset_tEEE10hipError_tPvRmT1_PNSt15iterator_traitsIS12_E10value_typeET2_T3_PNS13_IS18_E10value_typeET4_jRbjT5_S1E_jjP12ihipStream_tbEUljE_ZNSN_ISO_Lb1ESQ_SR_ST_SU_SY_EESZ_S10_S11_S12_S16_S17_S18_S1B_S1C_jS1D_jS1E_S1E_jjS1G_bEUljE0_EEESZ_S10_S11_S18_S1C_S1E_T6_T7_T9_mT8_S1G_bDpT10_ENKUlT_T0_E_clISt17integral_constantIbLb1EES1U_EEDaS1P_S1Q_EUlS1P_E_NS1_11comp_targetILNS1_3genE4ELNS1_11target_archE910ELNS1_3gpuE8ELNS1_3repE0EEENS1_30default_config_static_selectorELNS0_4arch9wavefront6targetE0EEEvS12_, .Lfunc_end236-_ZN7rocprim17ROCPRIM_400000_NS6detail17trampoline_kernelINS0_13select_configILj256ELj13ELNS0_17block_load_methodE3ELS4_3ELS4_3ELNS0_20block_scan_algorithmE0ELj4294967295EEENS1_25partition_config_selectorILNS1_17partition_subalgoE4EjNS0_10empty_typeEbEEZZNS1_14partition_implILS8_4ELb0ES6_15HIP_vector_typeIjLj2EENS0_17counting_iteratorIjlEEPS9_SG_NS0_5tupleIJPjSI_NS0_16reverse_iteratorISI_EEEEENSH_IJSG_SG_SG_EEES9_SI_JZNS1_25segmented_radix_sort_implINS0_14default_configELb1EPKaPaPKlPlN2at6native12_GLOBAL__N_18offset_tEEE10hipError_tPvRmT1_PNSt15iterator_traitsIS12_E10value_typeET2_T3_PNS13_IS18_E10value_typeET4_jRbjT5_S1E_jjP12ihipStream_tbEUljE_ZNSN_ISO_Lb1ESQ_SR_ST_SU_SY_EESZ_S10_S11_S12_S16_S17_S18_S1B_S1C_jS1D_jS1E_S1E_jjS1G_bEUljE0_EEESZ_S10_S11_S18_S1C_S1E_T6_T7_T9_mT8_S1G_bDpT10_ENKUlT_T0_E_clISt17integral_constantIbLb1EES1U_EEDaS1P_S1Q_EUlS1P_E_NS1_11comp_targetILNS1_3genE4ELNS1_11target_archE910ELNS1_3gpuE8ELNS1_3repE0EEENS1_30default_config_static_selectorELNS0_4arch9wavefront6targetE0EEEvS12_
                                        ; -- End function
	.section	.AMDGPU.csdata,"",@progbits
; Kernel info:
; codeLenInByte = 0
; NumSgprs: 0
; NumVgprs: 0
; ScratchSize: 0
; MemoryBound: 0
; FloatMode: 240
; IeeeMode: 1
; LDSByteSize: 0 bytes/workgroup (compile time only)
; SGPRBlocks: 0
; VGPRBlocks: 0
; NumSGPRsForWavesPerEU: 1
; NumVGPRsForWavesPerEU: 1
; Occupancy: 16
; WaveLimiterHint : 0
; COMPUTE_PGM_RSRC2:SCRATCH_EN: 0
; COMPUTE_PGM_RSRC2:USER_SGPR: 15
; COMPUTE_PGM_RSRC2:TRAP_HANDLER: 0
; COMPUTE_PGM_RSRC2:TGID_X_EN: 1
; COMPUTE_PGM_RSRC2:TGID_Y_EN: 0
; COMPUTE_PGM_RSRC2:TGID_Z_EN: 0
; COMPUTE_PGM_RSRC2:TIDIG_COMP_CNT: 0
	.section	.text._ZN7rocprim17ROCPRIM_400000_NS6detail17trampoline_kernelINS0_13select_configILj256ELj13ELNS0_17block_load_methodE3ELS4_3ELS4_3ELNS0_20block_scan_algorithmE0ELj4294967295EEENS1_25partition_config_selectorILNS1_17partition_subalgoE4EjNS0_10empty_typeEbEEZZNS1_14partition_implILS8_4ELb0ES6_15HIP_vector_typeIjLj2EENS0_17counting_iteratorIjlEEPS9_SG_NS0_5tupleIJPjSI_NS0_16reverse_iteratorISI_EEEEENSH_IJSG_SG_SG_EEES9_SI_JZNS1_25segmented_radix_sort_implINS0_14default_configELb1EPKaPaPKlPlN2at6native12_GLOBAL__N_18offset_tEEE10hipError_tPvRmT1_PNSt15iterator_traitsIS12_E10value_typeET2_T3_PNS13_IS18_E10value_typeET4_jRbjT5_S1E_jjP12ihipStream_tbEUljE_ZNSN_ISO_Lb1ESQ_SR_ST_SU_SY_EESZ_S10_S11_S12_S16_S17_S18_S1B_S1C_jS1D_jS1E_S1E_jjS1G_bEUljE0_EEESZ_S10_S11_S18_S1C_S1E_T6_T7_T9_mT8_S1G_bDpT10_ENKUlT_T0_E_clISt17integral_constantIbLb1EES1U_EEDaS1P_S1Q_EUlS1P_E_NS1_11comp_targetILNS1_3genE3ELNS1_11target_archE908ELNS1_3gpuE7ELNS1_3repE0EEENS1_30default_config_static_selectorELNS0_4arch9wavefront6targetE0EEEvS12_,"axG",@progbits,_ZN7rocprim17ROCPRIM_400000_NS6detail17trampoline_kernelINS0_13select_configILj256ELj13ELNS0_17block_load_methodE3ELS4_3ELS4_3ELNS0_20block_scan_algorithmE0ELj4294967295EEENS1_25partition_config_selectorILNS1_17partition_subalgoE4EjNS0_10empty_typeEbEEZZNS1_14partition_implILS8_4ELb0ES6_15HIP_vector_typeIjLj2EENS0_17counting_iteratorIjlEEPS9_SG_NS0_5tupleIJPjSI_NS0_16reverse_iteratorISI_EEEEENSH_IJSG_SG_SG_EEES9_SI_JZNS1_25segmented_radix_sort_implINS0_14default_configELb1EPKaPaPKlPlN2at6native12_GLOBAL__N_18offset_tEEE10hipError_tPvRmT1_PNSt15iterator_traitsIS12_E10value_typeET2_T3_PNS13_IS18_E10value_typeET4_jRbjT5_S1E_jjP12ihipStream_tbEUljE_ZNSN_ISO_Lb1ESQ_SR_ST_SU_SY_EESZ_S10_S11_S12_S16_S17_S18_S1B_S1C_jS1D_jS1E_S1E_jjS1G_bEUljE0_EEESZ_S10_S11_S18_S1C_S1E_T6_T7_T9_mT8_S1G_bDpT10_ENKUlT_T0_E_clISt17integral_constantIbLb1EES1U_EEDaS1P_S1Q_EUlS1P_E_NS1_11comp_targetILNS1_3genE3ELNS1_11target_archE908ELNS1_3gpuE7ELNS1_3repE0EEENS1_30default_config_static_selectorELNS0_4arch9wavefront6targetE0EEEvS12_,comdat
	.globl	_ZN7rocprim17ROCPRIM_400000_NS6detail17trampoline_kernelINS0_13select_configILj256ELj13ELNS0_17block_load_methodE3ELS4_3ELS4_3ELNS0_20block_scan_algorithmE0ELj4294967295EEENS1_25partition_config_selectorILNS1_17partition_subalgoE4EjNS0_10empty_typeEbEEZZNS1_14partition_implILS8_4ELb0ES6_15HIP_vector_typeIjLj2EENS0_17counting_iteratorIjlEEPS9_SG_NS0_5tupleIJPjSI_NS0_16reverse_iteratorISI_EEEEENSH_IJSG_SG_SG_EEES9_SI_JZNS1_25segmented_radix_sort_implINS0_14default_configELb1EPKaPaPKlPlN2at6native12_GLOBAL__N_18offset_tEEE10hipError_tPvRmT1_PNSt15iterator_traitsIS12_E10value_typeET2_T3_PNS13_IS18_E10value_typeET4_jRbjT5_S1E_jjP12ihipStream_tbEUljE_ZNSN_ISO_Lb1ESQ_SR_ST_SU_SY_EESZ_S10_S11_S12_S16_S17_S18_S1B_S1C_jS1D_jS1E_S1E_jjS1G_bEUljE0_EEESZ_S10_S11_S18_S1C_S1E_T6_T7_T9_mT8_S1G_bDpT10_ENKUlT_T0_E_clISt17integral_constantIbLb1EES1U_EEDaS1P_S1Q_EUlS1P_E_NS1_11comp_targetILNS1_3genE3ELNS1_11target_archE908ELNS1_3gpuE7ELNS1_3repE0EEENS1_30default_config_static_selectorELNS0_4arch9wavefront6targetE0EEEvS12_ ; -- Begin function _ZN7rocprim17ROCPRIM_400000_NS6detail17trampoline_kernelINS0_13select_configILj256ELj13ELNS0_17block_load_methodE3ELS4_3ELS4_3ELNS0_20block_scan_algorithmE0ELj4294967295EEENS1_25partition_config_selectorILNS1_17partition_subalgoE4EjNS0_10empty_typeEbEEZZNS1_14partition_implILS8_4ELb0ES6_15HIP_vector_typeIjLj2EENS0_17counting_iteratorIjlEEPS9_SG_NS0_5tupleIJPjSI_NS0_16reverse_iteratorISI_EEEEENSH_IJSG_SG_SG_EEES9_SI_JZNS1_25segmented_radix_sort_implINS0_14default_configELb1EPKaPaPKlPlN2at6native12_GLOBAL__N_18offset_tEEE10hipError_tPvRmT1_PNSt15iterator_traitsIS12_E10value_typeET2_T3_PNS13_IS18_E10value_typeET4_jRbjT5_S1E_jjP12ihipStream_tbEUljE_ZNSN_ISO_Lb1ESQ_SR_ST_SU_SY_EESZ_S10_S11_S12_S16_S17_S18_S1B_S1C_jS1D_jS1E_S1E_jjS1G_bEUljE0_EEESZ_S10_S11_S18_S1C_S1E_T6_T7_T9_mT8_S1G_bDpT10_ENKUlT_T0_E_clISt17integral_constantIbLb1EES1U_EEDaS1P_S1Q_EUlS1P_E_NS1_11comp_targetILNS1_3genE3ELNS1_11target_archE908ELNS1_3gpuE7ELNS1_3repE0EEENS1_30default_config_static_selectorELNS0_4arch9wavefront6targetE0EEEvS12_
	.p2align	8
	.type	_ZN7rocprim17ROCPRIM_400000_NS6detail17trampoline_kernelINS0_13select_configILj256ELj13ELNS0_17block_load_methodE3ELS4_3ELS4_3ELNS0_20block_scan_algorithmE0ELj4294967295EEENS1_25partition_config_selectorILNS1_17partition_subalgoE4EjNS0_10empty_typeEbEEZZNS1_14partition_implILS8_4ELb0ES6_15HIP_vector_typeIjLj2EENS0_17counting_iteratorIjlEEPS9_SG_NS0_5tupleIJPjSI_NS0_16reverse_iteratorISI_EEEEENSH_IJSG_SG_SG_EEES9_SI_JZNS1_25segmented_radix_sort_implINS0_14default_configELb1EPKaPaPKlPlN2at6native12_GLOBAL__N_18offset_tEEE10hipError_tPvRmT1_PNSt15iterator_traitsIS12_E10value_typeET2_T3_PNS13_IS18_E10value_typeET4_jRbjT5_S1E_jjP12ihipStream_tbEUljE_ZNSN_ISO_Lb1ESQ_SR_ST_SU_SY_EESZ_S10_S11_S12_S16_S17_S18_S1B_S1C_jS1D_jS1E_S1E_jjS1G_bEUljE0_EEESZ_S10_S11_S18_S1C_S1E_T6_T7_T9_mT8_S1G_bDpT10_ENKUlT_T0_E_clISt17integral_constantIbLb1EES1U_EEDaS1P_S1Q_EUlS1P_E_NS1_11comp_targetILNS1_3genE3ELNS1_11target_archE908ELNS1_3gpuE7ELNS1_3repE0EEENS1_30default_config_static_selectorELNS0_4arch9wavefront6targetE0EEEvS12_,@function
_ZN7rocprim17ROCPRIM_400000_NS6detail17trampoline_kernelINS0_13select_configILj256ELj13ELNS0_17block_load_methodE3ELS4_3ELS4_3ELNS0_20block_scan_algorithmE0ELj4294967295EEENS1_25partition_config_selectorILNS1_17partition_subalgoE4EjNS0_10empty_typeEbEEZZNS1_14partition_implILS8_4ELb0ES6_15HIP_vector_typeIjLj2EENS0_17counting_iteratorIjlEEPS9_SG_NS0_5tupleIJPjSI_NS0_16reverse_iteratorISI_EEEEENSH_IJSG_SG_SG_EEES9_SI_JZNS1_25segmented_radix_sort_implINS0_14default_configELb1EPKaPaPKlPlN2at6native12_GLOBAL__N_18offset_tEEE10hipError_tPvRmT1_PNSt15iterator_traitsIS12_E10value_typeET2_T3_PNS13_IS18_E10value_typeET4_jRbjT5_S1E_jjP12ihipStream_tbEUljE_ZNSN_ISO_Lb1ESQ_SR_ST_SU_SY_EESZ_S10_S11_S12_S16_S17_S18_S1B_S1C_jS1D_jS1E_S1E_jjS1G_bEUljE0_EEESZ_S10_S11_S18_S1C_S1E_T6_T7_T9_mT8_S1G_bDpT10_ENKUlT_T0_E_clISt17integral_constantIbLb1EES1U_EEDaS1P_S1Q_EUlS1P_E_NS1_11comp_targetILNS1_3genE3ELNS1_11target_archE908ELNS1_3gpuE7ELNS1_3repE0EEENS1_30default_config_static_selectorELNS0_4arch9wavefront6targetE0EEEvS12_: ; @_ZN7rocprim17ROCPRIM_400000_NS6detail17trampoline_kernelINS0_13select_configILj256ELj13ELNS0_17block_load_methodE3ELS4_3ELS4_3ELNS0_20block_scan_algorithmE0ELj4294967295EEENS1_25partition_config_selectorILNS1_17partition_subalgoE4EjNS0_10empty_typeEbEEZZNS1_14partition_implILS8_4ELb0ES6_15HIP_vector_typeIjLj2EENS0_17counting_iteratorIjlEEPS9_SG_NS0_5tupleIJPjSI_NS0_16reverse_iteratorISI_EEEEENSH_IJSG_SG_SG_EEES9_SI_JZNS1_25segmented_radix_sort_implINS0_14default_configELb1EPKaPaPKlPlN2at6native12_GLOBAL__N_18offset_tEEE10hipError_tPvRmT1_PNSt15iterator_traitsIS12_E10value_typeET2_T3_PNS13_IS18_E10value_typeET4_jRbjT5_S1E_jjP12ihipStream_tbEUljE_ZNSN_ISO_Lb1ESQ_SR_ST_SU_SY_EESZ_S10_S11_S12_S16_S17_S18_S1B_S1C_jS1D_jS1E_S1E_jjS1G_bEUljE0_EEESZ_S10_S11_S18_S1C_S1E_T6_T7_T9_mT8_S1G_bDpT10_ENKUlT_T0_E_clISt17integral_constantIbLb1EES1U_EEDaS1P_S1Q_EUlS1P_E_NS1_11comp_targetILNS1_3genE3ELNS1_11target_archE908ELNS1_3gpuE7ELNS1_3repE0EEENS1_30default_config_static_selectorELNS0_4arch9wavefront6targetE0EEEvS12_
; %bb.0:
	.section	.rodata,"a",@progbits
	.p2align	6, 0x0
	.amdhsa_kernel _ZN7rocprim17ROCPRIM_400000_NS6detail17trampoline_kernelINS0_13select_configILj256ELj13ELNS0_17block_load_methodE3ELS4_3ELS4_3ELNS0_20block_scan_algorithmE0ELj4294967295EEENS1_25partition_config_selectorILNS1_17partition_subalgoE4EjNS0_10empty_typeEbEEZZNS1_14partition_implILS8_4ELb0ES6_15HIP_vector_typeIjLj2EENS0_17counting_iteratorIjlEEPS9_SG_NS0_5tupleIJPjSI_NS0_16reverse_iteratorISI_EEEEENSH_IJSG_SG_SG_EEES9_SI_JZNS1_25segmented_radix_sort_implINS0_14default_configELb1EPKaPaPKlPlN2at6native12_GLOBAL__N_18offset_tEEE10hipError_tPvRmT1_PNSt15iterator_traitsIS12_E10value_typeET2_T3_PNS13_IS18_E10value_typeET4_jRbjT5_S1E_jjP12ihipStream_tbEUljE_ZNSN_ISO_Lb1ESQ_SR_ST_SU_SY_EESZ_S10_S11_S12_S16_S17_S18_S1B_S1C_jS1D_jS1E_S1E_jjS1G_bEUljE0_EEESZ_S10_S11_S18_S1C_S1E_T6_T7_T9_mT8_S1G_bDpT10_ENKUlT_T0_E_clISt17integral_constantIbLb1EES1U_EEDaS1P_S1Q_EUlS1P_E_NS1_11comp_targetILNS1_3genE3ELNS1_11target_archE908ELNS1_3gpuE7ELNS1_3repE0EEENS1_30default_config_static_selectorELNS0_4arch9wavefront6targetE0EEEvS12_
		.amdhsa_group_segment_fixed_size 0
		.amdhsa_private_segment_fixed_size 0
		.amdhsa_kernarg_size 184
		.amdhsa_user_sgpr_count 15
		.amdhsa_user_sgpr_dispatch_ptr 0
		.amdhsa_user_sgpr_queue_ptr 0
		.amdhsa_user_sgpr_kernarg_segment_ptr 1
		.amdhsa_user_sgpr_dispatch_id 0
		.amdhsa_user_sgpr_private_segment_size 0
		.amdhsa_wavefront_size32 1
		.amdhsa_uses_dynamic_stack 0
		.amdhsa_enable_private_segment 0
		.amdhsa_system_sgpr_workgroup_id_x 1
		.amdhsa_system_sgpr_workgroup_id_y 0
		.amdhsa_system_sgpr_workgroup_id_z 0
		.amdhsa_system_sgpr_workgroup_info 0
		.amdhsa_system_vgpr_workitem_id 0
		.amdhsa_next_free_vgpr 1
		.amdhsa_next_free_sgpr 1
		.amdhsa_reserve_vcc 0
		.amdhsa_float_round_mode_32 0
		.amdhsa_float_round_mode_16_64 0
		.amdhsa_float_denorm_mode_32 3
		.amdhsa_float_denorm_mode_16_64 3
		.amdhsa_dx10_clamp 1
		.amdhsa_ieee_mode 1
		.amdhsa_fp16_overflow 0
		.amdhsa_workgroup_processor_mode 1
		.amdhsa_memory_ordered 1
		.amdhsa_forward_progress 0
		.amdhsa_shared_vgpr_count 0
		.amdhsa_exception_fp_ieee_invalid_op 0
		.amdhsa_exception_fp_denorm_src 0
		.amdhsa_exception_fp_ieee_div_zero 0
		.amdhsa_exception_fp_ieee_overflow 0
		.amdhsa_exception_fp_ieee_underflow 0
		.amdhsa_exception_fp_ieee_inexact 0
		.amdhsa_exception_int_div_zero 0
	.end_amdhsa_kernel
	.section	.text._ZN7rocprim17ROCPRIM_400000_NS6detail17trampoline_kernelINS0_13select_configILj256ELj13ELNS0_17block_load_methodE3ELS4_3ELS4_3ELNS0_20block_scan_algorithmE0ELj4294967295EEENS1_25partition_config_selectorILNS1_17partition_subalgoE4EjNS0_10empty_typeEbEEZZNS1_14partition_implILS8_4ELb0ES6_15HIP_vector_typeIjLj2EENS0_17counting_iteratorIjlEEPS9_SG_NS0_5tupleIJPjSI_NS0_16reverse_iteratorISI_EEEEENSH_IJSG_SG_SG_EEES9_SI_JZNS1_25segmented_radix_sort_implINS0_14default_configELb1EPKaPaPKlPlN2at6native12_GLOBAL__N_18offset_tEEE10hipError_tPvRmT1_PNSt15iterator_traitsIS12_E10value_typeET2_T3_PNS13_IS18_E10value_typeET4_jRbjT5_S1E_jjP12ihipStream_tbEUljE_ZNSN_ISO_Lb1ESQ_SR_ST_SU_SY_EESZ_S10_S11_S12_S16_S17_S18_S1B_S1C_jS1D_jS1E_S1E_jjS1G_bEUljE0_EEESZ_S10_S11_S18_S1C_S1E_T6_T7_T9_mT8_S1G_bDpT10_ENKUlT_T0_E_clISt17integral_constantIbLb1EES1U_EEDaS1P_S1Q_EUlS1P_E_NS1_11comp_targetILNS1_3genE3ELNS1_11target_archE908ELNS1_3gpuE7ELNS1_3repE0EEENS1_30default_config_static_selectorELNS0_4arch9wavefront6targetE0EEEvS12_,"axG",@progbits,_ZN7rocprim17ROCPRIM_400000_NS6detail17trampoline_kernelINS0_13select_configILj256ELj13ELNS0_17block_load_methodE3ELS4_3ELS4_3ELNS0_20block_scan_algorithmE0ELj4294967295EEENS1_25partition_config_selectorILNS1_17partition_subalgoE4EjNS0_10empty_typeEbEEZZNS1_14partition_implILS8_4ELb0ES6_15HIP_vector_typeIjLj2EENS0_17counting_iteratorIjlEEPS9_SG_NS0_5tupleIJPjSI_NS0_16reverse_iteratorISI_EEEEENSH_IJSG_SG_SG_EEES9_SI_JZNS1_25segmented_radix_sort_implINS0_14default_configELb1EPKaPaPKlPlN2at6native12_GLOBAL__N_18offset_tEEE10hipError_tPvRmT1_PNSt15iterator_traitsIS12_E10value_typeET2_T3_PNS13_IS18_E10value_typeET4_jRbjT5_S1E_jjP12ihipStream_tbEUljE_ZNSN_ISO_Lb1ESQ_SR_ST_SU_SY_EESZ_S10_S11_S12_S16_S17_S18_S1B_S1C_jS1D_jS1E_S1E_jjS1G_bEUljE0_EEESZ_S10_S11_S18_S1C_S1E_T6_T7_T9_mT8_S1G_bDpT10_ENKUlT_T0_E_clISt17integral_constantIbLb1EES1U_EEDaS1P_S1Q_EUlS1P_E_NS1_11comp_targetILNS1_3genE3ELNS1_11target_archE908ELNS1_3gpuE7ELNS1_3repE0EEENS1_30default_config_static_selectorELNS0_4arch9wavefront6targetE0EEEvS12_,comdat
.Lfunc_end237:
	.size	_ZN7rocprim17ROCPRIM_400000_NS6detail17trampoline_kernelINS0_13select_configILj256ELj13ELNS0_17block_load_methodE3ELS4_3ELS4_3ELNS0_20block_scan_algorithmE0ELj4294967295EEENS1_25partition_config_selectorILNS1_17partition_subalgoE4EjNS0_10empty_typeEbEEZZNS1_14partition_implILS8_4ELb0ES6_15HIP_vector_typeIjLj2EENS0_17counting_iteratorIjlEEPS9_SG_NS0_5tupleIJPjSI_NS0_16reverse_iteratorISI_EEEEENSH_IJSG_SG_SG_EEES9_SI_JZNS1_25segmented_radix_sort_implINS0_14default_configELb1EPKaPaPKlPlN2at6native12_GLOBAL__N_18offset_tEEE10hipError_tPvRmT1_PNSt15iterator_traitsIS12_E10value_typeET2_T3_PNS13_IS18_E10value_typeET4_jRbjT5_S1E_jjP12ihipStream_tbEUljE_ZNSN_ISO_Lb1ESQ_SR_ST_SU_SY_EESZ_S10_S11_S12_S16_S17_S18_S1B_S1C_jS1D_jS1E_S1E_jjS1G_bEUljE0_EEESZ_S10_S11_S18_S1C_S1E_T6_T7_T9_mT8_S1G_bDpT10_ENKUlT_T0_E_clISt17integral_constantIbLb1EES1U_EEDaS1P_S1Q_EUlS1P_E_NS1_11comp_targetILNS1_3genE3ELNS1_11target_archE908ELNS1_3gpuE7ELNS1_3repE0EEENS1_30default_config_static_selectorELNS0_4arch9wavefront6targetE0EEEvS12_, .Lfunc_end237-_ZN7rocprim17ROCPRIM_400000_NS6detail17trampoline_kernelINS0_13select_configILj256ELj13ELNS0_17block_load_methodE3ELS4_3ELS4_3ELNS0_20block_scan_algorithmE0ELj4294967295EEENS1_25partition_config_selectorILNS1_17partition_subalgoE4EjNS0_10empty_typeEbEEZZNS1_14partition_implILS8_4ELb0ES6_15HIP_vector_typeIjLj2EENS0_17counting_iteratorIjlEEPS9_SG_NS0_5tupleIJPjSI_NS0_16reverse_iteratorISI_EEEEENSH_IJSG_SG_SG_EEES9_SI_JZNS1_25segmented_radix_sort_implINS0_14default_configELb1EPKaPaPKlPlN2at6native12_GLOBAL__N_18offset_tEEE10hipError_tPvRmT1_PNSt15iterator_traitsIS12_E10value_typeET2_T3_PNS13_IS18_E10value_typeET4_jRbjT5_S1E_jjP12ihipStream_tbEUljE_ZNSN_ISO_Lb1ESQ_SR_ST_SU_SY_EESZ_S10_S11_S12_S16_S17_S18_S1B_S1C_jS1D_jS1E_S1E_jjS1G_bEUljE0_EEESZ_S10_S11_S18_S1C_S1E_T6_T7_T9_mT8_S1G_bDpT10_ENKUlT_T0_E_clISt17integral_constantIbLb1EES1U_EEDaS1P_S1Q_EUlS1P_E_NS1_11comp_targetILNS1_3genE3ELNS1_11target_archE908ELNS1_3gpuE7ELNS1_3repE0EEENS1_30default_config_static_selectorELNS0_4arch9wavefront6targetE0EEEvS12_
                                        ; -- End function
	.section	.AMDGPU.csdata,"",@progbits
; Kernel info:
; codeLenInByte = 0
; NumSgprs: 0
; NumVgprs: 0
; ScratchSize: 0
; MemoryBound: 0
; FloatMode: 240
; IeeeMode: 1
; LDSByteSize: 0 bytes/workgroup (compile time only)
; SGPRBlocks: 0
; VGPRBlocks: 0
; NumSGPRsForWavesPerEU: 1
; NumVGPRsForWavesPerEU: 1
; Occupancy: 16
; WaveLimiterHint : 0
; COMPUTE_PGM_RSRC2:SCRATCH_EN: 0
; COMPUTE_PGM_RSRC2:USER_SGPR: 15
; COMPUTE_PGM_RSRC2:TRAP_HANDLER: 0
; COMPUTE_PGM_RSRC2:TGID_X_EN: 1
; COMPUTE_PGM_RSRC2:TGID_Y_EN: 0
; COMPUTE_PGM_RSRC2:TGID_Z_EN: 0
; COMPUTE_PGM_RSRC2:TIDIG_COMP_CNT: 0
	.section	.text._ZN7rocprim17ROCPRIM_400000_NS6detail17trampoline_kernelINS0_13select_configILj256ELj13ELNS0_17block_load_methodE3ELS4_3ELS4_3ELNS0_20block_scan_algorithmE0ELj4294967295EEENS1_25partition_config_selectorILNS1_17partition_subalgoE4EjNS0_10empty_typeEbEEZZNS1_14partition_implILS8_4ELb0ES6_15HIP_vector_typeIjLj2EENS0_17counting_iteratorIjlEEPS9_SG_NS0_5tupleIJPjSI_NS0_16reverse_iteratorISI_EEEEENSH_IJSG_SG_SG_EEES9_SI_JZNS1_25segmented_radix_sort_implINS0_14default_configELb1EPKaPaPKlPlN2at6native12_GLOBAL__N_18offset_tEEE10hipError_tPvRmT1_PNSt15iterator_traitsIS12_E10value_typeET2_T3_PNS13_IS18_E10value_typeET4_jRbjT5_S1E_jjP12ihipStream_tbEUljE_ZNSN_ISO_Lb1ESQ_SR_ST_SU_SY_EESZ_S10_S11_S12_S16_S17_S18_S1B_S1C_jS1D_jS1E_S1E_jjS1G_bEUljE0_EEESZ_S10_S11_S18_S1C_S1E_T6_T7_T9_mT8_S1G_bDpT10_ENKUlT_T0_E_clISt17integral_constantIbLb1EES1U_EEDaS1P_S1Q_EUlS1P_E_NS1_11comp_targetILNS1_3genE2ELNS1_11target_archE906ELNS1_3gpuE6ELNS1_3repE0EEENS1_30default_config_static_selectorELNS0_4arch9wavefront6targetE0EEEvS12_,"axG",@progbits,_ZN7rocprim17ROCPRIM_400000_NS6detail17trampoline_kernelINS0_13select_configILj256ELj13ELNS0_17block_load_methodE3ELS4_3ELS4_3ELNS0_20block_scan_algorithmE0ELj4294967295EEENS1_25partition_config_selectorILNS1_17partition_subalgoE4EjNS0_10empty_typeEbEEZZNS1_14partition_implILS8_4ELb0ES6_15HIP_vector_typeIjLj2EENS0_17counting_iteratorIjlEEPS9_SG_NS0_5tupleIJPjSI_NS0_16reverse_iteratorISI_EEEEENSH_IJSG_SG_SG_EEES9_SI_JZNS1_25segmented_radix_sort_implINS0_14default_configELb1EPKaPaPKlPlN2at6native12_GLOBAL__N_18offset_tEEE10hipError_tPvRmT1_PNSt15iterator_traitsIS12_E10value_typeET2_T3_PNS13_IS18_E10value_typeET4_jRbjT5_S1E_jjP12ihipStream_tbEUljE_ZNSN_ISO_Lb1ESQ_SR_ST_SU_SY_EESZ_S10_S11_S12_S16_S17_S18_S1B_S1C_jS1D_jS1E_S1E_jjS1G_bEUljE0_EEESZ_S10_S11_S18_S1C_S1E_T6_T7_T9_mT8_S1G_bDpT10_ENKUlT_T0_E_clISt17integral_constantIbLb1EES1U_EEDaS1P_S1Q_EUlS1P_E_NS1_11comp_targetILNS1_3genE2ELNS1_11target_archE906ELNS1_3gpuE6ELNS1_3repE0EEENS1_30default_config_static_selectorELNS0_4arch9wavefront6targetE0EEEvS12_,comdat
	.globl	_ZN7rocprim17ROCPRIM_400000_NS6detail17trampoline_kernelINS0_13select_configILj256ELj13ELNS0_17block_load_methodE3ELS4_3ELS4_3ELNS0_20block_scan_algorithmE0ELj4294967295EEENS1_25partition_config_selectorILNS1_17partition_subalgoE4EjNS0_10empty_typeEbEEZZNS1_14partition_implILS8_4ELb0ES6_15HIP_vector_typeIjLj2EENS0_17counting_iteratorIjlEEPS9_SG_NS0_5tupleIJPjSI_NS0_16reverse_iteratorISI_EEEEENSH_IJSG_SG_SG_EEES9_SI_JZNS1_25segmented_radix_sort_implINS0_14default_configELb1EPKaPaPKlPlN2at6native12_GLOBAL__N_18offset_tEEE10hipError_tPvRmT1_PNSt15iterator_traitsIS12_E10value_typeET2_T3_PNS13_IS18_E10value_typeET4_jRbjT5_S1E_jjP12ihipStream_tbEUljE_ZNSN_ISO_Lb1ESQ_SR_ST_SU_SY_EESZ_S10_S11_S12_S16_S17_S18_S1B_S1C_jS1D_jS1E_S1E_jjS1G_bEUljE0_EEESZ_S10_S11_S18_S1C_S1E_T6_T7_T9_mT8_S1G_bDpT10_ENKUlT_T0_E_clISt17integral_constantIbLb1EES1U_EEDaS1P_S1Q_EUlS1P_E_NS1_11comp_targetILNS1_3genE2ELNS1_11target_archE906ELNS1_3gpuE6ELNS1_3repE0EEENS1_30default_config_static_selectorELNS0_4arch9wavefront6targetE0EEEvS12_ ; -- Begin function _ZN7rocprim17ROCPRIM_400000_NS6detail17trampoline_kernelINS0_13select_configILj256ELj13ELNS0_17block_load_methodE3ELS4_3ELS4_3ELNS0_20block_scan_algorithmE0ELj4294967295EEENS1_25partition_config_selectorILNS1_17partition_subalgoE4EjNS0_10empty_typeEbEEZZNS1_14partition_implILS8_4ELb0ES6_15HIP_vector_typeIjLj2EENS0_17counting_iteratorIjlEEPS9_SG_NS0_5tupleIJPjSI_NS0_16reverse_iteratorISI_EEEEENSH_IJSG_SG_SG_EEES9_SI_JZNS1_25segmented_radix_sort_implINS0_14default_configELb1EPKaPaPKlPlN2at6native12_GLOBAL__N_18offset_tEEE10hipError_tPvRmT1_PNSt15iterator_traitsIS12_E10value_typeET2_T3_PNS13_IS18_E10value_typeET4_jRbjT5_S1E_jjP12ihipStream_tbEUljE_ZNSN_ISO_Lb1ESQ_SR_ST_SU_SY_EESZ_S10_S11_S12_S16_S17_S18_S1B_S1C_jS1D_jS1E_S1E_jjS1G_bEUljE0_EEESZ_S10_S11_S18_S1C_S1E_T6_T7_T9_mT8_S1G_bDpT10_ENKUlT_T0_E_clISt17integral_constantIbLb1EES1U_EEDaS1P_S1Q_EUlS1P_E_NS1_11comp_targetILNS1_3genE2ELNS1_11target_archE906ELNS1_3gpuE6ELNS1_3repE0EEENS1_30default_config_static_selectorELNS0_4arch9wavefront6targetE0EEEvS12_
	.p2align	8
	.type	_ZN7rocprim17ROCPRIM_400000_NS6detail17trampoline_kernelINS0_13select_configILj256ELj13ELNS0_17block_load_methodE3ELS4_3ELS4_3ELNS0_20block_scan_algorithmE0ELj4294967295EEENS1_25partition_config_selectorILNS1_17partition_subalgoE4EjNS0_10empty_typeEbEEZZNS1_14partition_implILS8_4ELb0ES6_15HIP_vector_typeIjLj2EENS0_17counting_iteratorIjlEEPS9_SG_NS0_5tupleIJPjSI_NS0_16reverse_iteratorISI_EEEEENSH_IJSG_SG_SG_EEES9_SI_JZNS1_25segmented_radix_sort_implINS0_14default_configELb1EPKaPaPKlPlN2at6native12_GLOBAL__N_18offset_tEEE10hipError_tPvRmT1_PNSt15iterator_traitsIS12_E10value_typeET2_T3_PNS13_IS18_E10value_typeET4_jRbjT5_S1E_jjP12ihipStream_tbEUljE_ZNSN_ISO_Lb1ESQ_SR_ST_SU_SY_EESZ_S10_S11_S12_S16_S17_S18_S1B_S1C_jS1D_jS1E_S1E_jjS1G_bEUljE0_EEESZ_S10_S11_S18_S1C_S1E_T6_T7_T9_mT8_S1G_bDpT10_ENKUlT_T0_E_clISt17integral_constantIbLb1EES1U_EEDaS1P_S1Q_EUlS1P_E_NS1_11comp_targetILNS1_3genE2ELNS1_11target_archE906ELNS1_3gpuE6ELNS1_3repE0EEENS1_30default_config_static_selectorELNS0_4arch9wavefront6targetE0EEEvS12_,@function
_ZN7rocprim17ROCPRIM_400000_NS6detail17trampoline_kernelINS0_13select_configILj256ELj13ELNS0_17block_load_methodE3ELS4_3ELS4_3ELNS0_20block_scan_algorithmE0ELj4294967295EEENS1_25partition_config_selectorILNS1_17partition_subalgoE4EjNS0_10empty_typeEbEEZZNS1_14partition_implILS8_4ELb0ES6_15HIP_vector_typeIjLj2EENS0_17counting_iteratorIjlEEPS9_SG_NS0_5tupleIJPjSI_NS0_16reverse_iteratorISI_EEEEENSH_IJSG_SG_SG_EEES9_SI_JZNS1_25segmented_radix_sort_implINS0_14default_configELb1EPKaPaPKlPlN2at6native12_GLOBAL__N_18offset_tEEE10hipError_tPvRmT1_PNSt15iterator_traitsIS12_E10value_typeET2_T3_PNS13_IS18_E10value_typeET4_jRbjT5_S1E_jjP12ihipStream_tbEUljE_ZNSN_ISO_Lb1ESQ_SR_ST_SU_SY_EESZ_S10_S11_S12_S16_S17_S18_S1B_S1C_jS1D_jS1E_S1E_jjS1G_bEUljE0_EEESZ_S10_S11_S18_S1C_S1E_T6_T7_T9_mT8_S1G_bDpT10_ENKUlT_T0_E_clISt17integral_constantIbLb1EES1U_EEDaS1P_S1Q_EUlS1P_E_NS1_11comp_targetILNS1_3genE2ELNS1_11target_archE906ELNS1_3gpuE6ELNS1_3repE0EEENS1_30default_config_static_selectorELNS0_4arch9wavefront6targetE0EEEvS12_: ; @_ZN7rocprim17ROCPRIM_400000_NS6detail17trampoline_kernelINS0_13select_configILj256ELj13ELNS0_17block_load_methodE3ELS4_3ELS4_3ELNS0_20block_scan_algorithmE0ELj4294967295EEENS1_25partition_config_selectorILNS1_17partition_subalgoE4EjNS0_10empty_typeEbEEZZNS1_14partition_implILS8_4ELb0ES6_15HIP_vector_typeIjLj2EENS0_17counting_iteratorIjlEEPS9_SG_NS0_5tupleIJPjSI_NS0_16reverse_iteratorISI_EEEEENSH_IJSG_SG_SG_EEES9_SI_JZNS1_25segmented_radix_sort_implINS0_14default_configELb1EPKaPaPKlPlN2at6native12_GLOBAL__N_18offset_tEEE10hipError_tPvRmT1_PNSt15iterator_traitsIS12_E10value_typeET2_T3_PNS13_IS18_E10value_typeET4_jRbjT5_S1E_jjP12ihipStream_tbEUljE_ZNSN_ISO_Lb1ESQ_SR_ST_SU_SY_EESZ_S10_S11_S12_S16_S17_S18_S1B_S1C_jS1D_jS1E_S1E_jjS1G_bEUljE0_EEESZ_S10_S11_S18_S1C_S1E_T6_T7_T9_mT8_S1G_bDpT10_ENKUlT_T0_E_clISt17integral_constantIbLb1EES1U_EEDaS1P_S1Q_EUlS1P_E_NS1_11comp_targetILNS1_3genE2ELNS1_11target_archE906ELNS1_3gpuE6ELNS1_3repE0EEENS1_30default_config_static_selectorELNS0_4arch9wavefront6targetE0EEEvS12_
; %bb.0:
	.section	.rodata,"a",@progbits
	.p2align	6, 0x0
	.amdhsa_kernel _ZN7rocprim17ROCPRIM_400000_NS6detail17trampoline_kernelINS0_13select_configILj256ELj13ELNS0_17block_load_methodE3ELS4_3ELS4_3ELNS0_20block_scan_algorithmE0ELj4294967295EEENS1_25partition_config_selectorILNS1_17partition_subalgoE4EjNS0_10empty_typeEbEEZZNS1_14partition_implILS8_4ELb0ES6_15HIP_vector_typeIjLj2EENS0_17counting_iteratorIjlEEPS9_SG_NS0_5tupleIJPjSI_NS0_16reverse_iteratorISI_EEEEENSH_IJSG_SG_SG_EEES9_SI_JZNS1_25segmented_radix_sort_implINS0_14default_configELb1EPKaPaPKlPlN2at6native12_GLOBAL__N_18offset_tEEE10hipError_tPvRmT1_PNSt15iterator_traitsIS12_E10value_typeET2_T3_PNS13_IS18_E10value_typeET4_jRbjT5_S1E_jjP12ihipStream_tbEUljE_ZNSN_ISO_Lb1ESQ_SR_ST_SU_SY_EESZ_S10_S11_S12_S16_S17_S18_S1B_S1C_jS1D_jS1E_S1E_jjS1G_bEUljE0_EEESZ_S10_S11_S18_S1C_S1E_T6_T7_T9_mT8_S1G_bDpT10_ENKUlT_T0_E_clISt17integral_constantIbLb1EES1U_EEDaS1P_S1Q_EUlS1P_E_NS1_11comp_targetILNS1_3genE2ELNS1_11target_archE906ELNS1_3gpuE6ELNS1_3repE0EEENS1_30default_config_static_selectorELNS0_4arch9wavefront6targetE0EEEvS12_
		.amdhsa_group_segment_fixed_size 0
		.amdhsa_private_segment_fixed_size 0
		.amdhsa_kernarg_size 184
		.amdhsa_user_sgpr_count 15
		.amdhsa_user_sgpr_dispatch_ptr 0
		.amdhsa_user_sgpr_queue_ptr 0
		.amdhsa_user_sgpr_kernarg_segment_ptr 1
		.amdhsa_user_sgpr_dispatch_id 0
		.amdhsa_user_sgpr_private_segment_size 0
		.amdhsa_wavefront_size32 1
		.amdhsa_uses_dynamic_stack 0
		.amdhsa_enable_private_segment 0
		.amdhsa_system_sgpr_workgroup_id_x 1
		.amdhsa_system_sgpr_workgroup_id_y 0
		.amdhsa_system_sgpr_workgroup_id_z 0
		.amdhsa_system_sgpr_workgroup_info 0
		.amdhsa_system_vgpr_workitem_id 0
		.amdhsa_next_free_vgpr 1
		.amdhsa_next_free_sgpr 1
		.amdhsa_reserve_vcc 0
		.amdhsa_float_round_mode_32 0
		.amdhsa_float_round_mode_16_64 0
		.amdhsa_float_denorm_mode_32 3
		.amdhsa_float_denorm_mode_16_64 3
		.amdhsa_dx10_clamp 1
		.amdhsa_ieee_mode 1
		.amdhsa_fp16_overflow 0
		.amdhsa_workgroup_processor_mode 1
		.amdhsa_memory_ordered 1
		.amdhsa_forward_progress 0
		.amdhsa_shared_vgpr_count 0
		.amdhsa_exception_fp_ieee_invalid_op 0
		.amdhsa_exception_fp_denorm_src 0
		.amdhsa_exception_fp_ieee_div_zero 0
		.amdhsa_exception_fp_ieee_overflow 0
		.amdhsa_exception_fp_ieee_underflow 0
		.amdhsa_exception_fp_ieee_inexact 0
		.amdhsa_exception_int_div_zero 0
	.end_amdhsa_kernel
	.section	.text._ZN7rocprim17ROCPRIM_400000_NS6detail17trampoline_kernelINS0_13select_configILj256ELj13ELNS0_17block_load_methodE3ELS4_3ELS4_3ELNS0_20block_scan_algorithmE0ELj4294967295EEENS1_25partition_config_selectorILNS1_17partition_subalgoE4EjNS0_10empty_typeEbEEZZNS1_14partition_implILS8_4ELb0ES6_15HIP_vector_typeIjLj2EENS0_17counting_iteratorIjlEEPS9_SG_NS0_5tupleIJPjSI_NS0_16reverse_iteratorISI_EEEEENSH_IJSG_SG_SG_EEES9_SI_JZNS1_25segmented_radix_sort_implINS0_14default_configELb1EPKaPaPKlPlN2at6native12_GLOBAL__N_18offset_tEEE10hipError_tPvRmT1_PNSt15iterator_traitsIS12_E10value_typeET2_T3_PNS13_IS18_E10value_typeET4_jRbjT5_S1E_jjP12ihipStream_tbEUljE_ZNSN_ISO_Lb1ESQ_SR_ST_SU_SY_EESZ_S10_S11_S12_S16_S17_S18_S1B_S1C_jS1D_jS1E_S1E_jjS1G_bEUljE0_EEESZ_S10_S11_S18_S1C_S1E_T6_T7_T9_mT8_S1G_bDpT10_ENKUlT_T0_E_clISt17integral_constantIbLb1EES1U_EEDaS1P_S1Q_EUlS1P_E_NS1_11comp_targetILNS1_3genE2ELNS1_11target_archE906ELNS1_3gpuE6ELNS1_3repE0EEENS1_30default_config_static_selectorELNS0_4arch9wavefront6targetE0EEEvS12_,"axG",@progbits,_ZN7rocprim17ROCPRIM_400000_NS6detail17trampoline_kernelINS0_13select_configILj256ELj13ELNS0_17block_load_methodE3ELS4_3ELS4_3ELNS0_20block_scan_algorithmE0ELj4294967295EEENS1_25partition_config_selectorILNS1_17partition_subalgoE4EjNS0_10empty_typeEbEEZZNS1_14partition_implILS8_4ELb0ES6_15HIP_vector_typeIjLj2EENS0_17counting_iteratorIjlEEPS9_SG_NS0_5tupleIJPjSI_NS0_16reverse_iteratorISI_EEEEENSH_IJSG_SG_SG_EEES9_SI_JZNS1_25segmented_radix_sort_implINS0_14default_configELb1EPKaPaPKlPlN2at6native12_GLOBAL__N_18offset_tEEE10hipError_tPvRmT1_PNSt15iterator_traitsIS12_E10value_typeET2_T3_PNS13_IS18_E10value_typeET4_jRbjT5_S1E_jjP12ihipStream_tbEUljE_ZNSN_ISO_Lb1ESQ_SR_ST_SU_SY_EESZ_S10_S11_S12_S16_S17_S18_S1B_S1C_jS1D_jS1E_S1E_jjS1G_bEUljE0_EEESZ_S10_S11_S18_S1C_S1E_T6_T7_T9_mT8_S1G_bDpT10_ENKUlT_T0_E_clISt17integral_constantIbLb1EES1U_EEDaS1P_S1Q_EUlS1P_E_NS1_11comp_targetILNS1_3genE2ELNS1_11target_archE906ELNS1_3gpuE6ELNS1_3repE0EEENS1_30default_config_static_selectorELNS0_4arch9wavefront6targetE0EEEvS12_,comdat
.Lfunc_end238:
	.size	_ZN7rocprim17ROCPRIM_400000_NS6detail17trampoline_kernelINS0_13select_configILj256ELj13ELNS0_17block_load_methodE3ELS4_3ELS4_3ELNS0_20block_scan_algorithmE0ELj4294967295EEENS1_25partition_config_selectorILNS1_17partition_subalgoE4EjNS0_10empty_typeEbEEZZNS1_14partition_implILS8_4ELb0ES6_15HIP_vector_typeIjLj2EENS0_17counting_iteratorIjlEEPS9_SG_NS0_5tupleIJPjSI_NS0_16reverse_iteratorISI_EEEEENSH_IJSG_SG_SG_EEES9_SI_JZNS1_25segmented_radix_sort_implINS0_14default_configELb1EPKaPaPKlPlN2at6native12_GLOBAL__N_18offset_tEEE10hipError_tPvRmT1_PNSt15iterator_traitsIS12_E10value_typeET2_T3_PNS13_IS18_E10value_typeET4_jRbjT5_S1E_jjP12ihipStream_tbEUljE_ZNSN_ISO_Lb1ESQ_SR_ST_SU_SY_EESZ_S10_S11_S12_S16_S17_S18_S1B_S1C_jS1D_jS1E_S1E_jjS1G_bEUljE0_EEESZ_S10_S11_S18_S1C_S1E_T6_T7_T9_mT8_S1G_bDpT10_ENKUlT_T0_E_clISt17integral_constantIbLb1EES1U_EEDaS1P_S1Q_EUlS1P_E_NS1_11comp_targetILNS1_3genE2ELNS1_11target_archE906ELNS1_3gpuE6ELNS1_3repE0EEENS1_30default_config_static_selectorELNS0_4arch9wavefront6targetE0EEEvS12_, .Lfunc_end238-_ZN7rocprim17ROCPRIM_400000_NS6detail17trampoline_kernelINS0_13select_configILj256ELj13ELNS0_17block_load_methodE3ELS4_3ELS4_3ELNS0_20block_scan_algorithmE0ELj4294967295EEENS1_25partition_config_selectorILNS1_17partition_subalgoE4EjNS0_10empty_typeEbEEZZNS1_14partition_implILS8_4ELb0ES6_15HIP_vector_typeIjLj2EENS0_17counting_iteratorIjlEEPS9_SG_NS0_5tupleIJPjSI_NS0_16reverse_iteratorISI_EEEEENSH_IJSG_SG_SG_EEES9_SI_JZNS1_25segmented_radix_sort_implINS0_14default_configELb1EPKaPaPKlPlN2at6native12_GLOBAL__N_18offset_tEEE10hipError_tPvRmT1_PNSt15iterator_traitsIS12_E10value_typeET2_T3_PNS13_IS18_E10value_typeET4_jRbjT5_S1E_jjP12ihipStream_tbEUljE_ZNSN_ISO_Lb1ESQ_SR_ST_SU_SY_EESZ_S10_S11_S12_S16_S17_S18_S1B_S1C_jS1D_jS1E_S1E_jjS1G_bEUljE0_EEESZ_S10_S11_S18_S1C_S1E_T6_T7_T9_mT8_S1G_bDpT10_ENKUlT_T0_E_clISt17integral_constantIbLb1EES1U_EEDaS1P_S1Q_EUlS1P_E_NS1_11comp_targetILNS1_3genE2ELNS1_11target_archE906ELNS1_3gpuE6ELNS1_3repE0EEENS1_30default_config_static_selectorELNS0_4arch9wavefront6targetE0EEEvS12_
                                        ; -- End function
	.section	.AMDGPU.csdata,"",@progbits
; Kernel info:
; codeLenInByte = 0
; NumSgprs: 0
; NumVgprs: 0
; ScratchSize: 0
; MemoryBound: 0
; FloatMode: 240
; IeeeMode: 1
; LDSByteSize: 0 bytes/workgroup (compile time only)
; SGPRBlocks: 0
; VGPRBlocks: 0
; NumSGPRsForWavesPerEU: 1
; NumVGPRsForWavesPerEU: 1
; Occupancy: 16
; WaveLimiterHint : 0
; COMPUTE_PGM_RSRC2:SCRATCH_EN: 0
; COMPUTE_PGM_RSRC2:USER_SGPR: 15
; COMPUTE_PGM_RSRC2:TRAP_HANDLER: 0
; COMPUTE_PGM_RSRC2:TGID_X_EN: 1
; COMPUTE_PGM_RSRC2:TGID_Y_EN: 0
; COMPUTE_PGM_RSRC2:TGID_Z_EN: 0
; COMPUTE_PGM_RSRC2:TIDIG_COMP_CNT: 0
	.section	.text._ZN7rocprim17ROCPRIM_400000_NS6detail17trampoline_kernelINS0_13select_configILj256ELj13ELNS0_17block_load_methodE3ELS4_3ELS4_3ELNS0_20block_scan_algorithmE0ELj4294967295EEENS1_25partition_config_selectorILNS1_17partition_subalgoE4EjNS0_10empty_typeEbEEZZNS1_14partition_implILS8_4ELb0ES6_15HIP_vector_typeIjLj2EENS0_17counting_iteratorIjlEEPS9_SG_NS0_5tupleIJPjSI_NS0_16reverse_iteratorISI_EEEEENSH_IJSG_SG_SG_EEES9_SI_JZNS1_25segmented_radix_sort_implINS0_14default_configELb1EPKaPaPKlPlN2at6native12_GLOBAL__N_18offset_tEEE10hipError_tPvRmT1_PNSt15iterator_traitsIS12_E10value_typeET2_T3_PNS13_IS18_E10value_typeET4_jRbjT5_S1E_jjP12ihipStream_tbEUljE_ZNSN_ISO_Lb1ESQ_SR_ST_SU_SY_EESZ_S10_S11_S12_S16_S17_S18_S1B_S1C_jS1D_jS1E_S1E_jjS1G_bEUljE0_EEESZ_S10_S11_S18_S1C_S1E_T6_T7_T9_mT8_S1G_bDpT10_ENKUlT_T0_E_clISt17integral_constantIbLb1EES1U_EEDaS1P_S1Q_EUlS1P_E_NS1_11comp_targetILNS1_3genE10ELNS1_11target_archE1200ELNS1_3gpuE4ELNS1_3repE0EEENS1_30default_config_static_selectorELNS0_4arch9wavefront6targetE0EEEvS12_,"axG",@progbits,_ZN7rocprim17ROCPRIM_400000_NS6detail17trampoline_kernelINS0_13select_configILj256ELj13ELNS0_17block_load_methodE3ELS4_3ELS4_3ELNS0_20block_scan_algorithmE0ELj4294967295EEENS1_25partition_config_selectorILNS1_17partition_subalgoE4EjNS0_10empty_typeEbEEZZNS1_14partition_implILS8_4ELb0ES6_15HIP_vector_typeIjLj2EENS0_17counting_iteratorIjlEEPS9_SG_NS0_5tupleIJPjSI_NS0_16reverse_iteratorISI_EEEEENSH_IJSG_SG_SG_EEES9_SI_JZNS1_25segmented_radix_sort_implINS0_14default_configELb1EPKaPaPKlPlN2at6native12_GLOBAL__N_18offset_tEEE10hipError_tPvRmT1_PNSt15iterator_traitsIS12_E10value_typeET2_T3_PNS13_IS18_E10value_typeET4_jRbjT5_S1E_jjP12ihipStream_tbEUljE_ZNSN_ISO_Lb1ESQ_SR_ST_SU_SY_EESZ_S10_S11_S12_S16_S17_S18_S1B_S1C_jS1D_jS1E_S1E_jjS1G_bEUljE0_EEESZ_S10_S11_S18_S1C_S1E_T6_T7_T9_mT8_S1G_bDpT10_ENKUlT_T0_E_clISt17integral_constantIbLb1EES1U_EEDaS1P_S1Q_EUlS1P_E_NS1_11comp_targetILNS1_3genE10ELNS1_11target_archE1200ELNS1_3gpuE4ELNS1_3repE0EEENS1_30default_config_static_selectorELNS0_4arch9wavefront6targetE0EEEvS12_,comdat
	.globl	_ZN7rocprim17ROCPRIM_400000_NS6detail17trampoline_kernelINS0_13select_configILj256ELj13ELNS0_17block_load_methodE3ELS4_3ELS4_3ELNS0_20block_scan_algorithmE0ELj4294967295EEENS1_25partition_config_selectorILNS1_17partition_subalgoE4EjNS0_10empty_typeEbEEZZNS1_14partition_implILS8_4ELb0ES6_15HIP_vector_typeIjLj2EENS0_17counting_iteratorIjlEEPS9_SG_NS0_5tupleIJPjSI_NS0_16reverse_iteratorISI_EEEEENSH_IJSG_SG_SG_EEES9_SI_JZNS1_25segmented_radix_sort_implINS0_14default_configELb1EPKaPaPKlPlN2at6native12_GLOBAL__N_18offset_tEEE10hipError_tPvRmT1_PNSt15iterator_traitsIS12_E10value_typeET2_T3_PNS13_IS18_E10value_typeET4_jRbjT5_S1E_jjP12ihipStream_tbEUljE_ZNSN_ISO_Lb1ESQ_SR_ST_SU_SY_EESZ_S10_S11_S12_S16_S17_S18_S1B_S1C_jS1D_jS1E_S1E_jjS1G_bEUljE0_EEESZ_S10_S11_S18_S1C_S1E_T6_T7_T9_mT8_S1G_bDpT10_ENKUlT_T0_E_clISt17integral_constantIbLb1EES1U_EEDaS1P_S1Q_EUlS1P_E_NS1_11comp_targetILNS1_3genE10ELNS1_11target_archE1200ELNS1_3gpuE4ELNS1_3repE0EEENS1_30default_config_static_selectorELNS0_4arch9wavefront6targetE0EEEvS12_ ; -- Begin function _ZN7rocprim17ROCPRIM_400000_NS6detail17trampoline_kernelINS0_13select_configILj256ELj13ELNS0_17block_load_methodE3ELS4_3ELS4_3ELNS0_20block_scan_algorithmE0ELj4294967295EEENS1_25partition_config_selectorILNS1_17partition_subalgoE4EjNS0_10empty_typeEbEEZZNS1_14partition_implILS8_4ELb0ES6_15HIP_vector_typeIjLj2EENS0_17counting_iteratorIjlEEPS9_SG_NS0_5tupleIJPjSI_NS0_16reverse_iteratorISI_EEEEENSH_IJSG_SG_SG_EEES9_SI_JZNS1_25segmented_radix_sort_implINS0_14default_configELb1EPKaPaPKlPlN2at6native12_GLOBAL__N_18offset_tEEE10hipError_tPvRmT1_PNSt15iterator_traitsIS12_E10value_typeET2_T3_PNS13_IS18_E10value_typeET4_jRbjT5_S1E_jjP12ihipStream_tbEUljE_ZNSN_ISO_Lb1ESQ_SR_ST_SU_SY_EESZ_S10_S11_S12_S16_S17_S18_S1B_S1C_jS1D_jS1E_S1E_jjS1G_bEUljE0_EEESZ_S10_S11_S18_S1C_S1E_T6_T7_T9_mT8_S1G_bDpT10_ENKUlT_T0_E_clISt17integral_constantIbLb1EES1U_EEDaS1P_S1Q_EUlS1P_E_NS1_11comp_targetILNS1_3genE10ELNS1_11target_archE1200ELNS1_3gpuE4ELNS1_3repE0EEENS1_30default_config_static_selectorELNS0_4arch9wavefront6targetE0EEEvS12_
	.p2align	8
	.type	_ZN7rocprim17ROCPRIM_400000_NS6detail17trampoline_kernelINS0_13select_configILj256ELj13ELNS0_17block_load_methodE3ELS4_3ELS4_3ELNS0_20block_scan_algorithmE0ELj4294967295EEENS1_25partition_config_selectorILNS1_17partition_subalgoE4EjNS0_10empty_typeEbEEZZNS1_14partition_implILS8_4ELb0ES6_15HIP_vector_typeIjLj2EENS0_17counting_iteratorIjlEEPS9_SG_NS0_5tupleIJPjSI_NS0_16reverse_iteratorISI_EEEEENSH_IJSG_SG_SG_EEES9_SI_JZNS1_25segmented_radix_sort_implINS0_14default_configELb1EPKaPaPKlPlN2at6native12_GLOBAL__N_18offset_tEEE10hipError_tPvRmT1_PNSt15iterator_traitsIS12_E10value_typeET2_T3_PNS13_IS18_E10value_typeET4_jRbjT5_S1E_jjP12ihipStream_tbEUljE_ZNSN_ISO_Lb1ESQ_SR_ST_SU_SY_EESZ_S10_S11_S12_S16_S17_S18_S1B_S1C_jS1D_jS1E_S1E_jjS1G_bEUljE0_EEESZ_S10_S11_S18_S1C_S1E_T6_T7_T9_mT8_S1G_bDpT10_ENKUlT_T0_E_clISt17integral_constantIbLb1EES1U_EEDaS1P_S1Q_EUlS1P_E_NS1_11comp_targetILNS1_3genE10ELNS1_11target_archE1200ELNS1_3gpuE4ELNS1_3repE0EEENS1_30default_config_static_selectorELNS0_4arch9wavefront6targetE0EEEvS12_,@function
_ZN7rocprim17ROCPRIM_400000_NS6detail17trampoline_kernelINS0_13select_configILj256ELj13ELNS0_17block_load_methodE3ELS4_3ELS4_3ELNS0_20block_scan_algorithmE0ELj4294967295EEENS1_25partition_config_selectorILNS1_17partition_subalgoE4EjNS0_10empty_typeEbEEZZNS1_14partition_implILS8_4ELb0ES6_15HIP_vector_typeIjLj2EENS0_17counting_iteratorIjlEEPS9_SG_NS0_5tupleIJPjSI_NS0_16reverse_iteratorISI_EEEEENSH_IJSG_SG_SG_EEES9_SI_JZNS1_25segmented_radix_sort_implINS0_14default_configELb1EPKaPaPKlPlN2at6native12_GLOBAL__N_18offset_tEEE10hipError_tPvRmT1_PNSt15iterator_traitsIS12_E10value_typeET2_T3_PNS13_IS18_E10value_typeET4_jRbjT5_S1E_jjP12ihipStream_tbEUljE_ZNSN_ISO_Lb1ESQ_SR_ST_SU_SY_EESZ_S10_S11_S12_S16_S17_S18_S1B_S1C_jS1D_jS1E_S1E_jjS1G_bEUljE0_EEESZ_S10_S11_S18_S1C_S1E_T6_T7_T9_mT8_S1G_bDpT10_ENKUlT_T0_E_clISt17integral_constantIbLb1EES1U_EEDaS1P_S1Q_EUlS1P_E_NS1_11comp_targetILNS1_3genE10ELNS1_11target_archE1200ELNS1_3gpuE4ELNS1_3repE0EEENS1_30default_config_static_selectorELNS0_4arch9wavefront6targetE0EEEvS12_: ; @_ZN7rocprim17ROCPRIM_400000_NS6detail17trampoline_kernelINS0_13select_configILj256ELj13ELNS0_17block_load_methodE3ELS4_3ELS4_3ELNS0_20block_scan_algorithmE0ELj4294967295EEENS1_25partition_config_selectorILNS1_17partition_subalgoE4EjNS0_10empty_typeEbEEZZNS1_14partition_implILS8_4ELb0ES6_15HIP_vector_typeIjLj2EENS0_17counting_iteratorIjlEEPS9_SG_NS0_5tupleIJPjSI_NS0_16reverse_iteratorISI_EEEEENSH_IJSG_SG_SG_EEES9_SI_JZNS1_25segmented_radix_sort_implINS0_14default_configELb1EPKaPaPKlPlN2at6native12_GLOBAL__N_18offset_tEEE10hipError_tPvRmT1_PNSt15iterator_traitsIS12_E10value_typeET2_T3_PNS13_IS18_E10value_typeET4_jRbjT5_S1E_jjP12ihipStream_tbEUljE_ZNSN_ISO_Lb1ESQ_SR_ST_SU_SY_EESZ_S10_S11_S12_S16_S17_S18_S1B_S1C_jS1D_jS1E_S1E_jjS1G_bEUljE0_EEESZ_S10_S11_S18_S1C_S1E_T6_T7_T9_mT8_S1G_bDpT10_ENKUlT_T0_E_clISt17integral_constantIbLb1EES1U_EEDaS1P_S1Q_EUlS1P_E_NS1_11comp_targetILNS1_3genE10ELNS1_11target_archE1200ELNS1_3gpuE4ELNS1_3repE0EEENS1_30default_config_static_selectorELNS0_4arch9wavefront6targetE0EEEvS12_
; %bb.0:
	.section	.rodata,"a",@progbits
	.p2align	6, 0x0
	.amdhsa_kernel _ZN7rocprim17ROCPRIM_400000_NS6detail17trampoline_kernelINS0_13select_configILj256ELj13ELNS0_17block_load_methodE3ELS4_3ELS4_3ELNS0_20block_scan_algorithmE0ELj4294967295EEENS1_25partition_config_selectorILNS1_17partition_subalgoE4EjNS0_10empty_typeEbEEZZNS1_14partition_implILS8_4ELb0ES6_15HIP_vector_typeIjLj2EENS0_17counting_iteratorIjlEEPS9_SG_NS0_5tupleIJPjSI_NS0_16reverse_iteratorISI_EEEEENSH_IJSG_SG_SG_EEES9_SI_JZNS1_25segmented_radix_sort_implINS0_14default_configELb1EPKaPaPKlPlN2at6native12_GLOBAL__N_18offset_tEEE10hipError_tPvRmT1_PNSt15iterator_traitsIS12_E10value_typeET2_T3_PNS13_IS18_E10value_typeET4_jRbjT5_S1E_jjP12ihipStream_tbEUljE_ZNSN_ISO_Lb1ESQ_SR_ST_SU_SY_EESZ_S10_S11_S12_S16_S17_S18_S1B_S1C_jS1D_jS1E_S1E_jjS1G_bEUljE0_EEESZ_S10_S11_S18_S1C_S1E_T6_T7_T9_mT8_S1G_bDpT10_ENKUlT_T0_E_clISt17integral_constantIbLb1EES1U_EEDaS1P_S1Q_EUlS1P_E_NS1_11comp_targetILNS1_3genE10ELNS1_11target_archE1200ELNS1_3gpuE4ELNS1_3repE0EEENS1_30default_config_static_selectorELNS0_4arch9wavefront6targetE0EEEvS12_
		.amdhsa_group_segment_fixed_size 0
		.amdhsa_private_segment_fixed_size 0
		.amdhsa_kernarg_size 184
		.amdhsa_user_sgpr_count 15
		.amdhsa_user_sgpr_dispatch_ptr 0
		.amdhsa_user_sgpr_queue_ptr 0
		.amdhsa_user_sgpr_kernarg_segment_ptr 1
		.amdhsa_user_sgpr_dispatch_id 0
		.amdhsa_user_sgpr_private_segment_size 0
		.amdhsa_wavefront_size32 1
		.amdhsa_uses_dynamic_stack 0
		.amdhsa_enable_private_segment 0
		.amdhsa_system_sgpr_workgroup_id_x 1
		.amdhsa_system_sgpr_workgroup_id_y 0
		.amdhsa_system_sgpr_workgroup_id_z 0
		.amdhsa_system_sgpr_workgroup_info 0
		.amdhsa_system_vgpr_workitem_id 0
		.amdhsa_next_free_vgpr 1
		.amdhsa_next_free_sgpr 1
		.amdhsa_reserve_vcc 0
		.amdhsa_float_round_mode_32 0
		.amdhsa_float_round_mode_16_64 0
		.amdhsa_float_denorm_mode_32 3
		.amdhsa_float_denorm_mode_16_64 3
		.amdhsa_dx10_clamp 1
		.amdhsa_ieee_mode 1
		.amdhsa_fp16_overflow 0
		.amdhsa_workgroup_processor_mode 1
		.amdhsa_memory_ordered 1
		.amdhsa_forward_progress 0
		.amdhsa_shared_vgpr_count 0
		.amdhsa_exception_fp_ieee_invalid_op 0
		.amdhsa_exception_fp_denorm_src 0
		.amdhsa_exception_fp_ieee_div_zero 0
		.amdhsa_exception_fp_ieee_overflow 0
		.amdhsa_exception_fp_ieee_underflow 0
		.amdhsa_exception_fp_ieee_inexact 0
		.amdhsa_exception_int_div_zero 0
	.end_amdhsa_kernel
	.section	.text._ZN7rocprim17ROCPRIM_400000_NS6detail17trampoline_kernelINS0_13select_configILj256ELj13ELNS0_17block_load_methodE3ELS4_3ELS4_3ELNS0_20block_scan_algorithmE0ELj4294967295EEENS1_25partition_config_selectorILNS1_17partition_subalgoE4EjNS0_10empty_typeEbEEZZNS1_14partition_implILS8_4ELb0ES6_15HIP_vector_typeIjLj2EENS0_17counting_iteratorIjlEEPS9_SG_NS0_5tupleIJPjSI_NS0_16reverse_iteratorISI_EEEEENSH_IJSG_SG_SG_EEES9_SI_JZNS1_25segmented_radix_sort_implINS0_14default_configELb1EPKaPaPKlPlN2at6native12_GLOBAL__N_18offset_tEEE10hipError_tPvRmT1_PNSt15iterator_traitsIS12_E10value_typeET2_T3_PNS13_IS18_E10value_typeET4_jRbjT5_S1E_jjP12ihipStream_tbEUljE_ZNSN_ISO_Lb1ESQ_SR_ST_SU_SY_EESZ_S10_S11_S12_S16_S17_S18_S1B_S1C_jS1D_jS1E_S1E_jjS1G_bEUljE0_EEESZ_S10_S11_S18_S1C_S1E_T6_T7_T9_mT8_S1G_bDpT10_ENKUlT_T0_E_clISt17integral_constantIbLb1EES1U_EEDaS1P_S1Q_EUlS1P_E_NS1_11comp_targetILNS1_3genE10ELNS1_11target_archE1200ELNS1_3gpuE4ELNS1_3repE0EEENS1_30default_config_static_selectorELNS0_4arch9wavefront6targetE0EEEvS12_,"axG",@progbits,_ZN7rocprim17ROCPRIM_400000_NS6detail17trampoline_kernelINS0_13select_configILj256ELj13ELNS0_17block_load_methodE3ELS4_3ELS4_3ELNS0_20block_scan_algorithmE0ELj4294967295EEENS1_25partition_config_selectorILNS1_17partition_subalgoE4EjNS0_10empty_typeEbEEZZNS1_14partition_implILS8_4ELb0ES6_15HIP_vector_typeIjLj2EENS0_17counting_iteratorIjlEEPS9_SG_NS0_5tupleIJPjSI_NS0_16reverse_iteratorISI_EEEEENSH_IJSG_SG_SG_EEES9_SI_JZNS1_25segmented_radix_sort_implINS0_14default_configELb1EPKaPaPKlPlN2at6native12_GLOBAL__N_18offset_tEEE10hipError_tPvRmT1_PNSt15iterator_traitsIS12_E10value_typeET2_T3_PNS13_IS18_E10value_typeET4_jRbjT5_S1E_jjP12ihipStream_tbEUljE_ZNSN_ISO_Lb1ESQ_SR_ST_SU_SY_EESZ_S10_S11_S12_S16_S17_S18_S1B_S1C_jS1D_jS1E_S1E_jjS1G_bEUljE0_EEESZ_S10_S11_S18_S1C_S1E_T6_T7_T9_mT8_S1G_bDpT10_ENKUlT_T0_E_clISt17integral_constantIbLb1EES1U_EEDaS1P_S1Q_EUlS1P_E_NS1_11comp_targetILNS1_3genE10ELNS1_11target_archE1200ELNS1_3gpuE4ELNS1_3repE0EEENS1_30default_config_static_selectorELNS0_4arch9wavefront6targetE0EEEvS12_,comdat
.Lfunc_end239:
	.size	_ZN7rocprim17ROCPRIM_400000_NS6detail17trampoline_kernelINS0_13select_configILj256ELj13ELNS0_17block_load_methodE3ELS4_3ELS4_3ELNS0_20block_scan_algorithmE0ELj4294967295EEENS1_25partition_config_selectorILNS1_17partition_subalgoE4EjNS0_10empty_typeEbEEZZNS1_14partition_implILS8_4ELb0ES6_15HIP_vector_typeIjLj2EENS0_17counting_iteratorIjlEEPS9_SG_NS0_5tupleIJPjSI_NS0_16reverse_iteratorISI_EEEEENSH_IJSG_SG_SG_EEES9_SI_JZNS1_25segmented_radix_sort_implINS0_14default_configELb1EPKaPaPKlPlN2at6native12_GLOBAL__N_18offset_tEEE10hipError_tPvRmT1_PNSt15iterator_traitsIS12_E10value_typeET2_T3_PNS13_IS18_E10value_typeET4_jRbjT5_S1E_jjP12ihipStream_tbEUljE_ZNSN_ISO_Lb1ESQ_SR_ST_SU_SY_EESZ_S10_S11_S12_S16_S17_S18_S1B_S1C_jS1D_jS1E_S1E_jjS1G_bEUljE0_EEESZ_S10_S11_S18_S1C_S1E_T6_T7_T9_mT8_S1G_bDpT10_ENKUlT_T0_E_clISt17integral_constantIbLb1EES1U_EEDaS1P_S1Q_EUlS1P_E_NS1_11comp_targetILNS1_3genE10ELNS1_11target_archE1200ELNS1_3gpuE4ELNS1_3repE0EEENS1_30default_config_static_selectorELNS0_4arch9wavefront6targetE0EEEvS12_, .Lfunc_end239-_ZN7rocprim17ROCPRIM_400000_NS6detail17trampoline_kernelINS0_13select_configILj256ELj13ELNS0_17block_load_methodE3ELS4_3ELS4_3ELNS0_20block_scan_algorithmE0ELj4294967295EEENS1_25partition_config_selectorILNS1_17partition_subalgoE4EjNS0_10empty_typeEbEEZZNS1_14partition_implILS8_4ELb0ES6_15HIP_vector_typeIjLj2EENS0_17counting_iteratorIjlEEPS9_SG_NS0_5tupleIJPjSI_NS0_16reverse_iteratorISI_EEEEENSH_IJSG_SG_SG_EEES9_SI_JZNS1_25segmented_radix_sort_implINS0_14default_configELb1EPKaPaPKlPlN2at6native12_GLOBAL__N_18offset_tEEE10hipError_tPvRmT1_PNSt15iterator_traitsIS12_E10value_typeET2_T3_PNS13_IS18_E10value_typeET4_jRbjT5_S1E_jjP12ihipStream_tbEUljE_ZNSN_ISO_Lb1ESQ_SR_ST_SU_SY_EESZ_S10_S11_S12_S16_S17_S18_S1B_S1C_jS1D_jS1E_S1E_jjS1G_bEUljE0_EEESZ_S10_S11_S18_S1C_S1E_T6_T7_T9_mT8_S1G_bDpT10_ENKUlT_T0_E_clISt17integral_constantIbLb1EES1U_EEDaS1P_S1Q_EUlS1P_E_NS1_11comp_targetILNS1_3genE10ELNS1_11target_archE1200ELNS1_3gpuE4ELNS1_3repE0EEENS1_30default_config_static_selectorELNS0_4arch9wavefront6targetE0EEEvS12_
                                        ; -- End function
	.section	.AMDGPU.csdata,"",@progbits
; Kernel info:
; codeLenInByte = 0
; NumSgprs: 0
; NumVgprs: 0
; ScratchSize: 0
; MemoryBound: 0
; FloatMode: 240
; IeeeMode: 1
; LDSByteSize: 0 bytes/workgroup (compile time only)
; SGPRBlocks: 0
; VGPRBlocks: 0
; NumSGPRsForWavesPerEU: 1
; NumVGPRsForWavesPerEU: 1
; Occupancy: 16
; WaveLimiterHint : 0
; COMPUTE_PGM_RSRC2:SCRATCH_EN: 0
; COMPUTE_PGM_RSRC2:USER_SGPR: 15
; COMPUTE_PGM_RSRC2:TRAP_HANDLER: 0
; COMPUTE_PGM_RSRC2:TGID_X_EN: 1
; COMPUTE_PGM_RSRC2:TGID_Y_EN: 0
; COMPUTE_PGM_RSRC2:TGID_Z_EN: 0
; COMPUTE_PGM_RSRC2:TIDIG_COMP_CNT: 0
	.section	.text._ZN7rocprim17ROCPRIM_400000_NS6detail17trampoline_kernelINS0_13select_configILj256ELj13ELNS0_17block_load_methodE3ELS4_3ELS4_3ELNS0_20block_scan_algorithmE0ELj4294967295EEENS1_25partition_config_selectorILNS1_17partition_subalgoE4EjNS0_10empty_typeEbEEZZNS1_14partition_implILS8_4ELb0ES6_15HIP_vector_typeIjLj2EENS0_17counting_iteratorIjlEEPS9_SG_NS0_5tupleIJPjSI_NS0_16reverse_iteratorISI_EEEEENSH_IJSG_SG_SG_EEES9_SI_JZNS1_25segmented_radix_sort_implINS0_14default_configELb1EPKaPaPKlPlN2at6native12_GLOBAL__N_18offset_tEEE10hipError_tPvRmT1_PNSt15iterator_traitsIS12_E10value_typeET2_T3_PNS13_IS18_E10value_typeET4_jRbjT5_S1E_jjP12ihipStream_tbEUljE_ZNSN_ISO_Lb1ESQ_SR_ST_SU_SY_EESZ_S10_S11_S12_S16_S17_S18_S1B_S1C_jS1D_jS1E_S1E_jjS1G_bEUljE0_EEESZ_S10_S11_S18_S1C_S1E_T6_T7_T9_mT8_S1G_bDpT10_ENKUlT_T0_E_clISt17integral_constantIbLb1EES1U_EEDaS1P_S1Q_EUlS1P_E_NS1_11comp_targetILNS1_3genE9ELNS1_11target_archE1100ELNS1_3gpuE3ELNS1_3repE0EEENS1_30default_config_static_selectorELNS0_4arch9wavefront6targetE0EEEvS12_,"axG",@progbits,_ZN7rocprim17ROCPRIM_400000_NS6detail17trampoline_kernelINS0_13select_configILj256ELj13ELNS0_17block_load_methodE3ELS4_3ELS4_3ELNS0_20block_scan_algorithmE0ELj4294967295EEENS1_25partition_config_selectorILNS1_17partition_subalgoE4EjNS0_10empty_typeEbEEZZNS1_14partition_implILS8_4ELb0ES6_15HIP_vector_typeIjLj2EENS0_17counting_iteratorIjlEEPS9_SG_NS0_5tupleIJPjSI_NS0_16reverse_iteratorISI_EEEEENSH_IJSG_SG_SG_EEES9_SI_JZNS1_25segmented_radix_sort_implINS0_14default_configELb1EPKaPaPKlPlN2at6native12_GLOBAL__N_18offset_tEEE10hipError_tPvRmT1_PNSt15iterator_traitsIS12_E10value_typeET2_T3_PNS13_IS18_E10value_typeET4_jRbjT5_S1E_jjP12ihipStream_tbEUljE_ZNSN_ISO_Lb1ESQ_SR_ST_SU_SY_EESZ_S10_S11_S12_S16_S17_S18_S1B_S1C_jS1D_jS1E_S1E_jjS1G_bEUljE0_EEESZ_S10_S11_S18_S1C_S1E_T6_T7_T9_mT8_S1G_bDpT10_ENKUlT_T0_E_clISt17integral_constantIbLb1EES1U_EEDaS1P_S1Q_EUlS1P_E_NS1_11comp_targetILNS1_3genE9ELNS1_11target_archE1100ELNS1_3gpuE3ELNS1_3repE0EEENS1_30default_config_static_selectorELNS0_4arch9wavefront6targetE0EEEvS12_,comdat
	.globl	_ZN7rocprim17ROCPRIM_400000_NS6detail17trampoline_kernelINS0_13select_configILj256ELj13ELNS0_17block_load_methodE3ELS4_3ELS4_3ELNS0_20block_scan_algorithmE0ELj4294967295EEENS1_25partition_config_selectorILNS1_17partition_subalgoE4EjNS0_10empty_typeEbEEZZNS1_14partition_implILS8_4ELb0ES6_15HIP_vector_typeIjLj2EENS0_17counting_iteratorIjlEEPS9_SG_NS0_5tupleIJPjSI_NS0_16reverse_iteratorISI_EEEEENSH_IJSG_SG_SG_EEES9_SI_JZNS1_25segmented_radix_sort_implINS0_14default_configELb1EPKaPaPKlPlN2at6native12_GLOBAL__N_18offset_tEEE10hipError_tPvRmT1_PNSt15iterator_traitsIS12_E10value_typeET2_T3_PNS13_IS18_E10value_typeET4_jRbjT5_S1E_jjP12ihipStream_tbEUljE_ZNSN_ISO_Lb1ESQ_SR_ST_SU_SY_EESZ_S10_S11_S12_S16_S17_S18_S1B_S1C_jS1D_jS1E_S1E_jjS1G_bEUljE0_EEESZ_S10_S11_S18_S1C_S1E_T6_T7_T9_mT8_S1G_bDpT10_ENKUlT_T0_E_clISt17integral_constantIbLb1EES1U_EEDaS1P_S1Q_EUlS1P_E_NS1_11comp_targetILNS1_3genE9ELNS1_11target_archE1100ELNS1_3gpuE3ELNS1_3repE0EEENS1_30default_config_static_selectorELNS0_4arch9wavefront6targetE0EEEvS12_ ; -- Begin function _ZN7rocprim17ROCPRIM_400000_NS6detail17trampoline_kernelINS0_13select_configILj256ELj13ELNS0_17block_load_methodE3ELS4_3ELS4_3ELNS0_20block_scan_algorithmE0ELj4294967295EEENS1_25partition_config_selectorILNS1_17partition_subalgoE4EjNS0_10empty_typeEbEEZZNS1_14partition_implILS8_4ELb0ES6_15HIP_vector_typeIjLj2EENS0_17counting_iteratorIjlEEPS9_SG_NS0_5tupleIJPjSI_NS0_16reverse_iteratorISI_EEEEENSH_IJSG_SG_SG_EEES9_SI_JZNS1_25segmented_radix_sort_implINS0_14default_configELb1EPKaPaPKlPlN2at6native12_GLOBAL__N_18offset_tEEE10hipError_tPvRmT1_PNSt15iterator_traitsIS12_E10value_typeET2_T3_PNS13_IS18_E10value_typeET4_jRbjT5_S1E_jjP12ihipStream_tbEUljE_ZNSN_ISO_Lb1ESQ_SR_ST_SU_SY_EESZ_S10_S11_S12_S16_S17_S18_S1B_S1C_jS1D_jS1E_S1E_jjS1G_bEUljE0_EEESZ_S10_S11_S18_S1C_S1E_T6_T7_T9_mT8_S1G_bDpT10_ENKUlT_T0_E_clISt17integral_constantIbLb1EES1U_EEDaS1P_S1Q_EUlS1P_E_NS1_11comp_targetILNS1_3genE9ELNS1_11target_archE1100ELNS1_3gpuE3ELNS1_3repE0EEENS1_30default_config_static_selectorELNS0_4arch9wavefront6targetE0EEEvS12_
	.p2align	8
	.type	_ZN7rocprim17ROCPRIM_400000_NS6detail17trampoline_kernelINS0_13select_configILj256ELj13ELNS0_17block_load_methodE3ELS4_3ELS4_3ELNS0_20block_scan_algorithmE0ELj4294967295EEENS1_25partition_config_selectorILNS1_17partition_subalgoE4EjNS0_10empty_typeEbEEZZNS1_14partition_implILS8_4ELb0ES6_15HIP_vector_typeIjLj2EENS0_17counting_iteratorIjlEEPS9_SG_NS0_5tupleIJPjSI_NS0_16reverse_iteratorISI_EEEEENSH_IJSG_SG_SG_EEES9_SI_JZNS1_25segmented_radix_sort_implINS0_14default_configELb1EPKaPaPKlPlN2at6native12_GLOBAL__N_18offset_tEEE10hipError_tPvRmT1_PNSt15iterator_traitsIS12_E10value_typeET2_T3_PNS13_IS18_E10value_typeET4_jRbjT5_S1E_jjP12ihipStream_tbEUljE_ZNSN_ISO_Lb1ESQ_SR_ST_SU_SY_EESZ_S10_S11_S12_S16_S17_S18_S1B_S1C_jS1D_jS1E_S1E_jjS1G_bEUljE0_EEESZ_S10_S11_S18_S1C_S1E_T6_T7_T9_mT8_S1G_bDpT10_ENKUlT_T0_E_clISt17integral_constantIbLb1EES1U_EEDaS1P_S1Q_EUlS1P_E_NS1_11comp_targetILNS1_3genE9ELNS1_11target_archE1100ELNS1_3gpuE3ELNS1_3repE0EEENS1_30default_config_static_selectorELNS0_4arch9wavefront6targetE0EEEvS12_,@function
_ZN7rocprim17ROCPRIM_400000_NS6detail17trampoline_kernelINS0_13select_configILj256ELj13ELNS0_17block_load_methodE3ELS4_3ELS4_3ELNS0_20block_scan_algorithmE0ELj4294967295EEENS1_25partition_config_selectorILNS1_17partition_subalgoE4EjNS0_10empty_typeEbEEZZNS1_14partition_implILS8_4ELb0ES6_15HIP_vector_typeIjLj2EENS0_17counting_iteratorIjlEEPS9_SG_NS0_5tupleIJPjSI_NS0_16reverse_iteratorISI_EEEEENSH_IJSG_SG_SG_EEES9_SI_JZNS1_25segmented_radix_sort_implINS0_14default_configELb1EPKaPaPKlPlN2at6native12_GLOBAL__N_18offset_tEEE10hipError_tPvRmT1_PNSt15iterator_traitsIS12_E10value_typeET2_T3_PNS13_IS18_E10value_typeET4_jRbjT5_S1E_jjP12ihipStream_tbEUljE_ZNSN_ISO_Lb1ESQ_SR_ST_SU_SY_EESZ_S10_S11_S12_S16_S17_S18_S1B_S1C_jS1D_jS1E_S1E_jjS1G_bEUljE0_EEESZ_S10_S11_S18_S1C_S1E_T6_T7_T9_mT8_S1G_bDpT10_ENKUlT_T0_E_clISt17integral_constantIbLb1EES1U_EEDaS1P_S1Q_EUlS1P_E_NS1_11comp_targetILNS1_3genE9ELNS1_11target_archE1100ELNS1_3gpuE3ELNS1_3repE0EEENS1_30default_config_static_selectorELNS0_4arch9wavefront6targetE0EEEvS12_: ; @_ZN7rocprim17ROCPRIM_400000_NS6detail17trampoline_kernelINS0_13select_configILj256ELj13ELNS0_17block_load_methodE3ELS4_3ELS4_3ELNS0_20block_scan_algorithmE0ELj4294967295EEENS1_25partition_config_selectorILNS1_17partition_subalgoE4EjNS0_10empty_typeEbEEZZNS1_14partition_implILS8_4ELb0ES6_15HIP_vector_typeIjLj2EENS0_17counting_iteratorIjlEEPS9_SG_NS0_5tupleIJPjSI_NS0_16reverse_iteratorISI_EEEEENSH_IJSG_SG_SG_EEES9_SI_JZNS1_25segmented_radix_sort_implINS0_14default_configELb1EPKaPaPKlPlN2at6native12_GLOBAL__N_18offset_tEEE10hipError_tPvRmT1_PNSt15iterator_traitsIS12_E10value_typeET2_T3_PNS13_IS18_E10value_typeET4_jRbjT5_S1E_jjP12ihipStream_tbEUljE_ZNSN_ISO_Lb1ESQ_SR_ST_SU_SY_EESZ_S10_S11_S12_S16_S17_S18_S1B_S1C_jS1D_jS1E_S1E_jjS1G_bEUljE0_EEESZ_S10_S11_S18_S1C_S1E_T6_T7_T9_mT8_S1G_bDpT10_ENKUlT_T0_E_clISt17integral_constantIbLb1EES1U_EEDaS1P_S1Q_EUlS1P_E_NS1_11comp_targetILNS1_3genE9ELNS1_11target_archE1100ELNS1_3gpuE3ELNS1_3repE0EEENS1_30default_config_static_selectorELNS0_4arch9wavefront6targetE0EEEvS12_
; %bb.0:
	s_clause 0x7
	s_load_b64 s[34:35], s[0:1], 0x10
	s_load_b128 s[28:31], s[0:1], 0x28
	s_load_b64 s[14:15], s[0:1], 0x38
	s_load_b128 s[24:27], s[0:1], 0x58
	s_load_b64 s[4:5], s[0:1], 0x68
	s_load_b64 s[36:37], s[0:1], 0x78
	;; [unrolled: 1-line block ×3, first 2 shown]
	s_load_b256 s[16:23], s[0:1], 0x90
	v_cmp_eq_u32_e64 s2, 0, v0
	s_delay_alu instid0(VALU_DEP_1)
	s_and_saveexec_b32 s3, s2
	s_cbranch_execz .LBB240_4
; %bb.1:
	s_mov_b32 s7, exec_lo
	s_mov_b32 s6, exec_lo
	v_mbcnt_lo_u32_b32 v1, s7, 0
                                        ; implicit-def: $vgpr2
	s_delay_alu instid0(VALU_DEP_1)
	v_cmpx_eq_u32_e32 0, v1
	s_cbranch_execz .LBB240_3
; %bb.2:
	s_load_b64 s[8:9], s[0:1], 0x88
	s_bcnt1_i32_b32 s7, s7
	s_delay_alu instid0(SALU_CYCLE_1)
	v_dual_mov_b32 v2, 0 :: v_dual_mov_b32 v3, s7
	s_waitcnt lgkmcnt(0)
	global_atomic_add_u32 v2, v2, v3, s[8:9] glc
.LBB240_3:
	s_or_b32 exec_lo, exec_lo, s6
	s_waitcnt vmcnt(0)
	v_readfirstlane_b32 s6, v2
	s_delay_alu instid0(VALU_DEP_1)
	v_dual_mov_b32 v2, 0 :: v_dual_add_nc_u32 v1, s6, v1
	ds_store_b32 v2, v1
.LBB240_4:
	s_or_b32 exec_lo, exec_lo, s3
	v_mov_b32_e32 v1, 0
	s_clause 0x1
	s_load_b32 s3, s[0:1], 0x8
	s_load_b32 s0, s[0:1], 0x80
	s_waitcnt lgkmcnt(0)
	s_barrier
	buffer_gl0_inv
	ds_load_b32 v5, v1
	s_waitcnt lgkmcnt(0)
	s_barrier
	buffer_gl0_inv
	global_load_b128 v[1:4], v1, s[26:27]
	s_add_i32 s3, s3, s34
	s_mul_i32 s1, s0, 0xd00
	s_add_i32 s0, s0, -1
	s_add_u32 s6, s34, s1
	s_addc_u32 s7, s35, 0
	v_mul_lo_u32 v30, 0xd00, v5
	v_readfirstlane_b32 s26, v5
	v_cmp_lt_u64_e64 s5, s[6:7], s[4:5]
	v_cmp_ne_u32_e32 vcc_lo, s0, v5
	s_delay_alu instid0(VALU_DEP_3) | instskip(SKIP_1) | instid1(VALU_DEP_4)
	s_cmp_eq_u32 s26, s0
	s_cselect_b32 s13, -1, 0
	v_add3_u32 v5, v30, s3, v0
	s_delay_alu instid0(VALU_DEP_3) | instskip(SKIP_2) | instid1(VALU_DEP_1)
	s_or_b32 s0, s5, vcc_lo
	s_mov_b32 s3, -1
	s_and_b32 vcc_lo, exec_lo, s0
	v_add_nc_u32_e32 v6, 0x100, v5
	v_add_nc_u32_e32 v7, 0x200, v5
	;; [unrolled: 1-line block ×12, first 2 shown]
	s_cbranch_vccz .LBB240_6
; %bb.5:
	v_lshlrev_b32_e32 v18, 2, v0
	s_mov_b32 s3, 0
	ds_store_2addr_stride64_b32 v18, v5, v6 offset1:4
	ds_store_2addr_stride64_b32 v18, v7, v8 offset0:8 offset1:12
	ds_store_2addr_stride64_b32 v18, v9, v10 offset0:16 offset1:20
	;; [unrolled: 1-line block ×5, first 2 shown]
	ds_store_b32 v18, v17 offset:12288
	s_waitcnt vmcnt(0) lgkmcnt(0)
	s_barrier
.LBB240_6:
	s_and_not1_b32 vcc_lo, exec_lo, s3
	s_add_i32 s1, s1, s34
	s_cbranch_vccnz .LBB240_8
; %bb.7:
	v_lshlrev_b32_e32 v18, 2, v0
	ds_store_2addr_stride64_b32 v18, v5, v6 offset1:4
	ds_store_2addr_stride64_b32 v18, v7, v8 offset0:8 offset1:12
	ds_store_2addr_stride64_b32 v18, v9, v10 offset0:16 offset1:20
	;; [unrolled: 1-line block ×5, first 2 shown]
	ds_store_b32 v18, v17 offset:12288
	s_waitcnt vmcnt(0) lgkmcnt(0)
	s_barrier
.LBB240_8:
	v_mul_u32_u24_e32 v33, 13, v0
	s_waitcnt vmcnt(0)
	buffer_gl0_inv
	v_cndmask_b32_e64 v31, 0, 1, s0
	s_sub_i32 s40, s4, s1
	s_and_not1_b32 vcc_lo, exec_lo, s0
	v_lshlrev_b32_e32 v5, 2, v33
	ds_load_2addr_b32 v[20:21], v5 offset1:1
	ds_load_2addr_b32 v[18:19], v5 offset0:2 offset1:3
	ds_load_2addr_b32 v[16:17], v5 offset0:4 offset1:5
	;; [unrolled: 1-line block ×5, first 2 shown]
	ds_load_b32 v32, v5 offset:48
	s_waitcnt lgkmcnt(0)
	s_barrier
	buffer_gl0_inv
	s_cbranch_vccnz .LBB240_36
; %bb.9:
	v_add_nc_u32_e32 v5, s17, v20
	v_add_nc_u32_e32 v6, s19, v20
	s_mov_b32 s42, 0
	s_mov_b32 s41, 0
	s_mov_b32 s1, exec_lo
	v_mul_lo_u32 v5, v5, s16
	v_mul_lo_u32 v6, v6, s18
	s_delay_alu instid0(VALU_DEP_1) | instskip(NEXT) | instid1(VALU_DEP_1)
	v_sub_nc_u32_e32 v5, v5, v6
	v_cmp_lt_u32_e32 vcc_lo, s20, v5
	v_cmpx_ge_u32_e64 s20, v5
; %bb.10:
	v_add_nc_u32_e32 v5, s22, v20
	v_add_nc_u32_e32 v6, s38, v20
	s_delay_alu instid0(VALU_DEP_2) | instskip(NEXT) | instid1(VALU_DEP_2)
	v_mul_lo_u32 v5, v5, s21
	v_mul_lo_u32 v6, v6, s23
	s_delay_alu instid0(VALU_DEP_1) | instskip(NEXT) | instid1(VALU_DEP_1)
	v_sub_nc_u32_e32 v5, v5, v6
	v_cmp_lt_u32_e64 s0, s39, v5
	s_delay_alu instid0(VALU_DEP_1)
	s_and_b32 s41, s0, exec_lo
; %bb.11:
	s_or_b32 exec_lo, exec_lo, s1
	v_add_nc_u32_e32 v5, s17, v21
	v_add_nc_u32_e32 v6, s19, v21
	s_mov_b32 s3, exec_lo
	s_delay_alu instid0(VALU_DEP_2) | instskip(NEXT) | instid1(VALU_DEP_2)
	v_mul_lo_u32 v5, v5, s16
	v_mul_lo_u32 v6, v6, s18
	s_delay_alu instid0(VALU_DEP_1) | instskip(NEXT) | instid1(VALU_DEP_1)
	v_sub_nc_u32_e32 v5, v5, v6
	v_cmp_lt_u32_e64 s0, s20, v5
	v_cmpx_ge_u32_e64 s20, v5
; %bb.12:
	v_add_nc_u32_e32 v5, s22, v21
	v_add_nc_u32_e32 v6, s38, v21
	s_delay_alu instid0(VALU_DEP_2) | instskip(NEXT) | instid1(VALU_DEP_2)
	v_mul_lo_u32 v5, v5, s21
	v_mul_lo_u32 v6, v6, s23
	s_delay_alu instid0(VALU_DEP_1) | instskip(NEXT) | instid1(VALU_DEP_1)
	v_sub_nc_u32_e32 v5, v5, v6
	v_cmp_lt_u32_e64 s1, s39, v5
	s_delay_alu instid0(VALU_DEP_1)
	s_and_b32 s42, s1, exec_lo
; %bb.13:
	s_or_b32 exec_lo, exec_lo, s3
	v_add_nc_u32_e32 v5, s17, v18
	v_add_nc_u32_e32 v6, s19, v18
	s_mov_b32 s44, 0
	s_mov_b32 s43, 0
	s_mov_b32 s4, exec_lo
	v_mul_lo_u32 v5, v5, s16
	v_mul_lo_u32 v6, v6, s18
	s_delay_alu instid0(VALU_DEP_1) | instskip(NEXT) | instid1(VALU_DEP_1)
	v_sub_nc_u32_e32 v5, v5, v6
	v_cmp_lt_u32_e64 s1, s20, v5
	v_cmpx_ge_u32_e64 s20, v5
; %bb.14:
	v_add_nc_u32_e32 v5, s22, v18
	v_add_nc_u32_e32 v6, s38, v18
	s_delay_alu instid0(VALU_DEP_2) | instskip(NEXT) | instid1(VALU_DEP_2)
	v_mul_lo_u32 v5, v5, s21
	v_mul_lo_u32 v6, v6, s23
	s_delay_alu instid0(VALU_DEP_1) | instskip(NEXT) | instid1(VALU_DEP_1)
	v_sub_nc_u32_e32 v5, v5, v6
	v_cmp_lt_u32_e64 s3, s39, v5
	s_delay_alu instid0(VALU_DEP_1)
	s_and_b32 s43, s3, exec_lo
; %bb.15:
	s_or_b32 exec_lo, exec_lo, s4
	v_add_nc_u32_e32 v5, s17, v19
	v_add_nc_u32_e32 v6, s19, v19
	s_mov_b32 s5, exec_lo
	s_delay_alu instid0(VALU_DEP_2) | instskip(NEXT) | instid1(VALU_DEP_2)
	v_mul_lo_u32 v5, v5, s16
	v_mul_lo_u32 v6, v6, s18
	s_delay_alu instid0(VALU_DEP_1) | instskip(NEXT) | instid1(VALU_DEP_1)
	v_sub_nc_u32_e32 v5, v5, v6
	v_cmp_lt_u32_e64 s3, s20, v5
	v_cmpx_ge_u32_e64 s20, v5
; %bb.16:
	v_add_nc_u32_e32 v5, s22, v19
	v_add_nc_u32_e32 v6, s38, v19
	s_delay_alu instid0(VALU_DEP_2) | instskip(NEXT) | instid1(VALU_DEP_2)
	v_mul_lo_u32 v5, v5, s21
	v_mul_lo_u32 v6, v6, s23
	s_delay_alu instid0(VALU_DEP_1) | instskip(NEXT) | instid1(VALU_DEP_1)
	v_sub_nc_u32_e32 v5, v5, v6
	v_cmp_lt_u32_e64 s4, s39, v5
	s_delay_alu instid0(VALU_DEP_1)
	s_and_b32 s44, s4, exec_lo
; %bb.17:
	s_or_b32 exec_lo, exec_lo, s5
	v_add_nc_u32_e32 v5, s17, v16
	v_add_nc_u32_e32 v6, s19, v16
	s_mov_b32 s46, 0
	s_mov_b32 s45, 0
	s_mov_b32 s6, exec_lo
	v_mul_lo_u32 v5, v5, s16
	v_mul_lo_u32 v6, v6, s18
	s_delay_alu instid0(VALU_DEP_1) | instskip(NEXT) | instid1(VALU_DEP_1)
	v_sub_nc_u32_e32 v5, v5, v6
	v_cmp_lt_u32_e64 s4, s20, v5
	;; [unrolled: 47-line block ×5, first 2 shown]
	v_cmpx_ge_u32_e64 s20, v5
; %bb.30:
	v_add_nc_u32_e32 v5, s22, v10
	v_add_nc_u32_e32 v6, s38, v10
	s_delay_alu instid0(VALU_DEP_2) | instskip(NEXT) | instid1(VALU_DEP_2)
	v_mul_lo_u32 v5, v5, s21
	v_mul_lo_u32 v6, v6, s23
	s_delay_alu instid0(VALU_DEP_1) | instskip(NEXT) | instid1(VALU_DEP_1)
	v_sub_nc_u32_e32 v5, v5, v6
	v_cmp_lt_u32_e64 s11, s39, v5
	s_delay_alu instid0(VALU_DEP_1)
	s_and_b32 s53, s11, exec_lo
; %bb.31:
	s_or_b32 exec_lo, exec_lo, s12
	v_add_nc_u32_e32 v5, s17, v11
	v_add_nc_u32_e32 v6, s19, v11
	s_mov_b32 s27, exec_lo
	s_delay_alu instid0(VALU_DEP_2) | instskip(NEXT) | instid1(VALU_DEP_2)
	v_mul_lo_u32 v5, v5, s16
	v_mul_lo_u32 v6, v6, s18
	s_delay_alu instid0(VALU_DEP_1) | instskip(NEXT) | instid1(VALU_DEP_1)
	v_sub_nc_u32_e32 v5, v5, v6
	v_cmp_lt_u32_e64 s11, s20, v5
	v_cmpx_ge_u32_e64 s20, v5
; %bb.32:
	v_add_nc_u32_e32 v5, s22, v11
	v_add_nc_u32_e32 v6, s38, v11
	s_delay_alu instid0(VALU_DEP_2) | instskip(NEXT) | instid1(VALU_DEP_2)
	v_mul_lo_u32 v5, v5, s21
	v_mul_lo_u32 v6, v6, s23
	s_delay_alu instid0(VALU_DEP_1) | instskip(NEXT) | instid1(VALU_DEP_1)
	v_sub_nc_u32_e32 v5, v5, v6
	v_cmp_lt_u32_e64 s12, s39, v5
	s_delay_alu instid0(VALU_DEP_1)
	s_and_b32 s52, s12, exec_lo
; %bb.33:
	s_or_b32 exec_lo, exec_lo, s27
	v_add_nc_u32_e32 v5, s17, v32
	v_add_nc_u32_e32 v6, s19, v32
	s_mov_b32 s27, -1
	s_mov_b32 s49, 0
	s_mov_b32 s33, 0
	v_mul_lo_u32 v5, v5, s16
	v_mul_lo_u32 v6, v6, s18
	s_mov_b32 s54, exec_lo
	s_delay_alu instid0(VALU_DEP_1) | instskip(NEXT) | instid1(VALU_DEP_1)
	v_sub_nc_u32_e32 v5, v5, v6
	v_cmpx_ge_u32_e64 s20, v5
; %bb.34:
	v_add_nc_u32_e32 v5, s22, v32
	v_add_nc_u32_e32 v6, s38, v32
	s_xor_b32 s27, exec_lo, -1
	s_delay_alu instid0(VALU_DEP_2) | instskip(NEXT) | instid1(VALU_DEP_2)
	v_mul_lo_u32 v5, v5, s21
	v_mul_lo_u32 v6, v6, s23
	s_delay_alu instid0(VALU_DEP_1) | instskip(NEXT) | instid1(VALU_DEP_1)
	v_sub_nc_u32_e32 v5, v5, v6
	v_cmp_lt_u32_e64 s12, s39, v5
	s_delay_alu instid0(VALU_DEP_1)
	s_and_b32 s33, s12, exec_lo
; %bb.35:
	s_or_b32 exec_lo, exec_lo, s54
	v_cndmask_b32_e64 v53, 0, 1, s53
	v_cndmask_b32_e64 v56, 0, 1, s11
	;; [unrolled: 1-line block ×22, first 2 shown]
	v_cndmask_b32_e64 v34, 0, 1, vcc_lo
	v_cndmask_b32_e64 v57, 0, 1, s52
	s_and_b32 vcc_lo, exec_lo, s49
	s_add_i32 s4, s40, 0xd00
	s_cbranch_vccnz .LBB240_37
	s_branch .LBB240_90
.LBB240_36:
                                        ; implicit-def: $sgpr27
                                        ; implicit-def: $sgpr33
                                        ; implicit-def: $vgpr57
                                        ; implicit-def: $vgpr53
                                        ; implicit-def: $vgpr52
                                        ; implicit-def: $vgpr50
                                        ; implicit-def: $vgpr48
                                        ; implicit-def: $vgpr46
                                        ; implicit-def: $vgpr44
                                        ; implicit-def: $vgpr42
                                        ; implicit-def: $vgpr39
                                        ; implicit-def: $vgpr34
                                        ; implicit-def: $vgpr37
                                        ; implicit-def: $vgpr36
                                        ; implicit-def: $vgpr41
                                        ; implicit-def: $vgpr43
                                        ; implicit-def: $vgpr45
                                        ; implicit-def: $vgpr47
                                        ; implicit-def: $vgpr49
                                        ; implicit-def: $vgpr51
                                        ; implicit-def: $vgpr54
                                        ; implicit-def: $vgpr55
                                        ; implicit-def: $vgpr56
                                        ; implicit-def: $vgpr35
                                        ; implicit-def: $vgpr40
                                        ; implicit-def: $vgpr38
	s_add_i32 s4, s40, 0xd00
	s_cbranch_execz .LBB240_90
.LBB240_37:
	v_dual_mov_b32 v35, 0 :: v_dual_mov_b32 v34, 0
	s_mov_b32 s3, 0
	s_mov_b32 s1, exec_lo
	v_cmpx_gt_u32_e64 s4, v33
	s_cbranch_execz .LBB240_41
; %bb.38:
	v_add_nc_u32_e32 v5, s17, v20
	v_add_nc_u32_e32 v6, s19, v20
	s_mov_b32 s5, exec_lo
	s_delay_alu instid0(VALU_DEP_2) | instskip(NEXT) | instid1(VALU_DEP_2)
	v_mul_lo_u32 v5, v5, s16
	v_mul_lo_u32 v6, v6, s18
	s_delay_alu instid0(VALU_DEP_1) | instskip(NEXT) | instid1(VALU_DEP_1)
	v_sub_nc_u32_e32 v5, v5, v6
	v_cmp_lt_u32_e32 vcc_lo, s20, v5
	v_cmpx_ge_u32_e64 s20, v5
; %bb.39:
	v_add_nc_u32_e32 v5, s22, v20
	v_add_nc_u32_e32 v6, s38, v20
	s_delay_alu instid0(VALU_DEP_2) | instskip(NEXT) | instid1(VALU_DEP_2)
	v_mul_lo_u32 v5, v5, s21
	v_mul_lo_u32 v6, v6, s23
	s_delay_alu instid0(VALU_DEP_1) | instskip(NEXT) | instid1(VALU_DEP_1)
	v_sub_nc_u32_e32 v5, v5, v6
	v_cmp_lt_u32_e64 s0, s39, v5
	s_delay_alu instid0(VALU_DEP_1)
	s_and_b32 s3, s0, exec_lo
; %bb.40:
	s_or_b32 exec_lo, exec_lo, s5
	v_cndmask_b32_e64 v34, 0, 1, vcc_lo
	v_cndmask_b32_e64 v35, 0, 1, s3
.LBB240_41:
	s_or_b32 exec_lo, exec_lo, s1
	v_dual_mov_b32 v40, 0 :: v_dual_add_nc_u32 v5, 1, v33
	v_mov_b32_e32 v37, 0
	s_mov_b32 s3, 0
	s_mov_b32 s1, exec_lo
	s_delay_alu instid0(VALU_DEP_2)
	v_cmpx_gt_u32_e64 s4, v5
	s_cbranch_execz .LBB240_45
; %bb.42:
	v_add_nc_u32_e32 v5, s17, v21
	v_add_nc_u32_e32 v6, s19, v21
	s_mov_b32 s5, exec_lo
	s_delay_alu instid0(VALU_DEP_2) | instskip(NEXT) | instid1(VALU_DEP_2)
	v_mul_lo_u32 v5, v5, s16
	v_mul_lo_u32 v6, v6, s18
	s_delay_alu instid0(VALU_DEP_1) | instskip(NEXT) | instid1(VALU_DEP_1)
	v_sub_nc_u32_e32 v5, v5, v6
	v_cmp_lt_u32_e32 vcc_lo, s20, v5
	v_cmpx_ge_u32_e64 s20, v5
; %bb.43:
	v_add_nc_u32_e32 v5, s22, v21
	v_add_nc_u32_e32 v6, s38, v21
	s_delay_alu instid0(VALU_DEP_2) | instskip(NEXT) | instid1(VALU_DEP_2)
	v_mul_lo_u32 v5, v5, s21
	v_mul_lo_u32 v6, v6, s23
	s_delay_alu instid0(VALU_DEP_1) | instskip(NEXT) | instid1(VALU_DEP_1)
	v_sub_nc_u32_e32 v5, v5, v6
	v_cmp_lt_u32_e64 s0, s39, v5
	s_delay_alu instid0(VALU_DEP_1)
	s_and_b32 s3, s0, exec_lo
; %bb.44:
	s_or_b32 exec_lo, exec_lo, s5
	v_cndmask_b32_e64 v37, 0, 1, vcc_lo
	v_cndmask_b32_e64 v40, 0, 1, s3
.LBB240_45:
	s_or_b32 exec_lo, exec_lo, s1
	v_dual_mov_b32 v36, 0 :: v_dual_add_nc_u32 v5, 2, v33
	v_mov_b32_e32 v38, 0
	s_mov_b32 s3, 0
	s_mov_b32 s1, exec_lo
	s_delay_alu instid0(VALU_DEP_2)
	v_cmpx_gt_u32_e64 s4, v5
	s_cbranch_execz .LBB240_49
; %bb.46:
	v_add_nc_u32_e32 v5, s17, v18
	v_add_nc_u32_e32 v6, s19, v18
	s_mov_b32 s5, exec_lo
	s_delay_alu instid0(VALU_DEP_2) | instskip(NEXT) | instid1(VALU_DEP_2)
	v_mul_lo_u32 v5, v5, s16
	v_mul_lo_u32 v6, v6, s18
	s_delay_alu instid0(VALU_DEP_1) | instskip(NEXT) | instid1(VALU_DEP_1)
	v_sub_nc_u32_e32 v5, v5, v6
	v_cmp_lt_u32_e32 vcc_lo, s20, v5
	v_cmpx_ge_u32_e64 s20, v5
; %bb.47:
	v_add_nc_u32_e32 v5, s22, v18
	v_add_nc_u32_e32 v6, s38, v18
	s_delay_alu instid0(VALU_DEP_2) | instskip(NEXT) | instid1(VALU_DEP_2)
	v_mul_lo_u32 v5, v5, s21
	v_mul_lo_u32 v6, v6, s23
	s_delay_alu instid0(VALU_DEP_1) | instskip(NEXT) | instid1(VALU_DEP_1)
	v_sub_nc_u32_e32 v5, v5, v6
	v_cmp_lt_u32_e64 s0, s39, v5
	s_delay_alu instid0(VALU_DEP_1)
	s_and_b32 s3, s0, exec_lo
; %bb.48:
	s_or_b32 exec_lo, exec_lo, s5
	v_cndmask_b32_e64 v36, 0, 1, vcc_lo
	v_cndmask_b32_e64 v38, 0, 1, s3
.LBB240_49:
	s_or_b32 exec_lo, exec_lo, s1
	v_add_nc_u32_e32 v5, 3, v33
	v_mov_b32_e32 v39, 0
	v_mov_b32_e32 v41, 0
	s_mov_b32 s3, 0
	s_mov_b32 s1, exec_lo
	v_cmpx_gt_u32_e64 s4, v5
	s_cbranch_execz .LBB240_53
; %bb.50:
	v_add_nc_u32_e32 v5, s17, v19
	v_add_nc_u32_e32 v6, s19, v19
	s_mov_b32 s5, exec_lo
	s_delay_alu instid0(VALU_DEP_2) | instskip(NEXT) | instid1(VALU_DEP_2)
	v_mul_lo_u32 v5, v5, s16
	v_mul_lo_u32 v6, v6, s18
	s_delay_alu instid0(VALU_DEP_1) | instskip(NEXT) | instid1(VALU_DEP_1)
	v_sub_nc_u32_e32 v5, v5, v6
	v_cmp_lt_u32_e32 vcc_lo, s20, v5
	v_cmpx_ge_u32_e64 s20, v5
; %bb.51:
	v_add_nc_u32_e32 v5, s22, v19
	v_add_nc_u32_e32 v6, s38, v19
	s_delay_alu instid0(VALU_DEP_2) | instskip(NEXT) | instid1(VALU_DEP_2)
	v_mul_lo_u32 v5, v5, s21
	v_mul_lo_u32 v6, v6, s23
	s_delay_alu instid0(VALU_DEP_1) | instskip(NEXT) | instid1(VALU_DEP_1)
	v_sub_nc_u32_e32 v5, v5, v6
	v_cmp_lt_u32_e64 s0, s39, v5
	s_delay_alu instid0(VALU_DEP_1)
	s_and_b32 s3, s0, exec_lo
; %bb.52:
	s_or_b32 exec_lo, exec_lo, s5
	v_cndmask_b32_e64 v41, 0, 1, vcc_lo
	v_cndmask_b32_e64 v39, 0, 1, s3
.LBB240_53:
	s_or_b32 exec_lo, exec_lo, s1
	v_dual_mov_b32 v42, 0 :: v_dual_add_nc_u32 v5, 4, v33
	v_mov_b32_e32 v43, 0
	s_mov_b32 s3, 0
	s_mov_b32 s1, exec_lo
	s_delay_alu instid0(VALU_DEP_2)
	v_cmpx_gt_u32_e64 s4, v5
	s_cbranch_execz .LBB240_57
; %bb.54:
	v_add_nc_u32_e32 v5, s17, v16
	v_add_nc_u32_e32 v6, s19, v16
	s_mov_b32 s5, exec_lo
	s_delay_alu instid0(VALU_DEP_2) | instskip(NEXT) | instid1(VALU_DEP_2)
	v_mul_lo_u32 v5, v5, s16
	v_mul_lo_u32 v6, v6, s18
	s_delay_alu instid0(VALU_DEP_1) | instskip(NEXT) | instid1(VALU_DEP_1)
	v_sub_nc_u32_e32 v5, v5, v6
	v_cmp_lt_u32_e32 vcc_lo, s20, v5
	v_cmpx_ge_u32_e64 s20, v5
; %bb.55:
	v_add_nc_u32_e32 v5, s22, v16
	v_add_nc_u32_e32 v6, s38, v16
	s_delay_alu instid0(VALU_DEP_2) | instskip(NEXT) | instid1(VALU_DEP_2)
	v_mul_lo_u32 v5, v5, s21
	v_mul_lo_u32 v6, v6, s23
	s_delay_alu instid0(VALU_DEP_1) | instskip(NEXT) | instid1(VALU_DEP_1)
	v_sub_nc_u32_e32 v5, v5, v6
	v_cmp_lt_u32_e64 s0, s39, v5
	s_delay_alu instid0(VALU_DEP_1)
	s_and_b32 s3, s0, exec_lo
; %bb.56:
	s_or_b32 exec_lo, exec_lo, s5
	v_cndmask_b32_e64 v43, 0, 1, vcc_lo
	v_cndmask_b32_e64 v42, 0, 1, s3
.LBB240_57:
	s_or_b32 exec_lo, exec_lo, s1
	v_dual_mov_b32 v44, 0 :: v_dual_add_nc_u32 v5, 5, v33
	v_mov_b32_e32 v45, 0
	s_mov_b32 s3, 0
	s_mov_b32 s1, exec_lo
	s_delay_alu instid0(VALU_DEP_2)
	;; [unrolled: 35-line block ×6, first 2 shown]
	v_cmpx_gt_u32_e64 s4, v5
	s_cbranch_execz .LBB240_77
; %bb.74:
	v_add_nc_u32_e32 v5, s17, v13
	v_add_nc_u32_e32 v6, s19, v13
	s_mov_b32 s5, exec_lo
	s_delay_alu instid0(VALU_DEP_2) | instskip(NEXT) | instid1(VALU_DEP_2)
	v_mul_lo_u32 v5, v5, s16
	v_mul_lo_u32 v6, v6, s18
	s_delay_alu instid0(VALU_DEP_1) | instskip(NEXT) | instid1(VALU_DEP_1)
	v_sub_nc_u32_e32 v5, v5, v6
	v_cmp_lt_u32_e32 vcc_lo, s20, v5
	v_cmpx_ge_u32_e64 s20, v5
; %bb.75:
	v_add_nc_u32_e32 v5, s22, v13
	v_add_nc_u32_e32 v6, s38, v13
	s_delay_alu instid0(VALU_DEP_2) | instskip(NEXT) | instid1(VALU_DEP_2)
	v_mul_lo_u32 v5, v5, s21
	v_mul_lo_u32 v6, v6, s23
	s_delay_alu instid0(VALU_DEP_1) | instskip(NEXT) | instid1(VALU_DEP_1)
	v_sub_nc_u32_e32 v5, v5, v6
	v_cmp_lt_u32_e64 s0, s39, v5
	s_delay_alu instid0(VALU_DEP_1)
	s_and_b32 s3, s0, exec_lo
; %bb.76:
	s_or_b32 exec_lo, exec_lo, s5
	v_cndmask_b32_e64 v54, 0, 1, vcc_lo
	v_cndmask_b32_e64 v52, 0, 1, s3
.LBB240_77:
	s_or_b32 exec_lo, exec_lo, s1
	v_add_nc_u32_e32 v5, 10, v33
	v_mov_b32_e32 v53, 0
	v_mov_b32_e32 v55, 0
	s_mov_b32 s3, 0
	s_mov_b32 s1, exec_lo
	v_cmpx_gt_u32_e64 s4, v5
	s_cbranch_execz .LBB240_81
; %bb.78:
	v_add_nc_u32_e32 v5, s17, v10
	v_add_nc_u32_e32 v6, s19, v10
	s_mov_b32 s5, exec_lo
	s_delay_alu instid0(VALU_DEP_2) | instskip(NEXT) | instid1(VALU_DEP_2)
	v_mul_lo_u32 v5, v5, s16
	v_mul_lo_u32 v6, v6, s18
	s_delay_alu instid0(VALU_DEP_1) | instskip(NEXT) | instid1(VALU_DEP_1)
	v_sub_nc_u32_e32 v5, v5, v6
	v_cmp_lt_u32_e32 vcc_lo, s20, v5
	v_cmpx_ge_u32_e64 s20, v5
; %bb.79:
	v_add_nc_u32_e32 v5, s22, v10
	v_add_nc_u32_e32 v6, s38, v10
	s_delay_alu instid0(VALU_DEP_2) | instskip(NEXT) | instid1(VALU_DEP_2)
	v_mul_lo_u32 v5, v5, s21
	v_mul_lo_u32 v6, v6, s23
	s_delay_alu instid0(VALU_DEP_1) | instskip(NEXT) | instid1(VALU_DEP_1)
	v_sub_nc_u32_e32 v5, v5, v6
	v_cmp_lt_u32_e64 s0, s39, v5
	s_delay_alu instid0(VALU_DEP_1)
	s_and_b32 s3, s0, exec_lo
; %bb.80:
	s_or_b32 exec_lo, exec_lo, s5
	v_cndmask_b32_e64 v55, 0, 1, vcc_lo
	v_cndmask_b32_e64 v53, 0, 1, s3
.LBB240_81:
	s_or_b32 exec_lo, exec_lo, s1
	v_dual_mov_b32 v56, 0 :: v_dual_add_nc_u32 v5, 11, v33
	v_mov_b32_e32 v57, 0
	s_mov_b32 s3, 0
	s_mov_b32 s1, exec_lo
	s_delay_alu instid0(VALU_DEP_2)
	v_cmpx_gt_u32_e64 s4, v5
	s_cbranch_execz .LBB240_85
; %bb.82:
	v_add_nc_u32_e32 v5, s17, v11
	v_add_nc_u32_e32 v6, s19, v11
	s_mov_b32 s5, exec_lo
	s_delay_alu instid0(VALU_DEP_2) | instskip(NEXT) | instid1(VALU_DEP_2)
	v_mul_lo_u32 v5, v5, s16
	v_mul_lo_u32 v6, v6, s18
	s_delay_alu instid0(VALU_DEP_1) | instskip(NEXT) | instid1(VALU_DEP_1)
	v_sub_nc_u32_e32 v5, v5, v6
	v_cmp_lt_u32_e32 vcc_lo, s20, v5
	v_cmpx_ge_u32_e64 s20, v5
; %bb.83:
	v_add_nc_u32_e32 v5, s22, v11
	v_add_nc_u32_e32 v6, s38, v11
	s_delay_alu instid0(VALU_DEP_2) | instskip(NEXT) | instid1(VALU_DEP_2)
	v_mul_lo_u32 v5, v5, s21
	v_mul_lo_u32 v6, v6, s23
	s_delay_alu instid0(VALU_DEP_1) | instskip(NEXT) | instid1(VALU_DEP_1)
	v_sub_nc_u32_e32 v5, v5, v6
	v_cmp_lt_u32_e64 s0, s39, v5
	s_delay_alu instid0(VALU_DEP_1)
	s_and_b32 s3, s0, exec_lo
; %bb.84:
	s_or_b32 exec_lo, exec_lo, s5
	v_cndmask_b32_e64 v56, 0, 1, vcc_lo
	v_cndmask_b32_e64 v57, 0, 1, s3
.LBB240_85:
	s_or_b32 exec_lo, exec_lo, s1
	v_add_nc_u32_e32 v5, 12, v33
	s_mov_b32 s27, 0
	s_mov_b32 s33, 0
	s_mov_b32 s0, exec_lo
	s_delay_alu instid0(VALU_DEP_1)
	v_cmpx_gt_u32_e64 s4, v5
	s_cbranch_execz .LBB240_89
; %bb.86:
	v_add_nc_u32_e32 v5, s17, v32
	v_add_nc_u32_e32 v6, s19, v32
	s_mov_b32 s3, -1
	s_mov_b32 s5, 0
	s_mov_b32 s1, exec_lo
	v_mul_lo_u32 v5, v5, s16
	v_mul_lo_u32 v6, v6, s18
	s_delay_alu instid0(VALU_DEP_1) | instskip(NEXT) | instid1(VALU_DEP_1)
	v_sub_nc_u32_e32 v5, v5, v6
	v_cmpx_ge_u32_e64 s20, v5
; %bb.87:
	v_add_nc_u32_e32 v5, s22, v32
	v_add_nc_u32_e32 v6, s38, v32
	s_xor_b32 s3, exec_lo, -1
	s_delay_alu instid0(VALU_DEP_2) | instskip(NEXT) | instid1(VALU_DEP_2)
	v_mul_lo_u32 v5, v5, s21
	v_mul_lo_u32 v6, v6, s23
	s_delay_alu instid0(VALU_DEP_1) | instskip(NEXT) | instid1(VALU_DEP_1)
	v_sub_nc_u32_e32 v5, v5, v6
	v_cmp_lt_u32_e32 vcc_lo, s39, v5
	s_and_b32 s5, vcc_lo, exec_lo
; %bb.88:
	s_or_b32 exec_lo, exec_lo, s1
	s_delay_alu instid0(SALU_CYCLE_1)
	s_and_b32 s33, s5, exec_lo
	s_and_b32 s27, s3, exec_lo
.LBB240_89:
	s_or_b32 exec_lo, exec_lo, s0
.LBB240_90:
	v_and_b32_e32 v80, 0xff, v34
	v_and_b32_e32 v81, 0xff, v35
	;; [unrolled: 1-line block ×10, first 2 shown]
	v_add3_u32 v5, v76, v78, v80
	v_add3_u32 v6, v77, v79, v81
	v_and_b32_e32 v70, 0xff, v45
	v_and_b32_e32 v71, 0xff, v44
	v_and_b32_e32 v64, 0xff, v47
	v_and_b32_e32 v65, 0xff, v46
	v_add3_u32 v5, v5, v74, v72
	v_add3_u32 v6, v6, v75, v73
	v_and_b32_e32 v68, 0xff, v49
	v_and_b32_e32 v69, 0xff, v48
	v_and_b32_e32 v66, 0xff, v51
	v_and_b32_e32 v67, 0xff, v50
	;; [unrolled: 6-line block ×3, first 2 shown]
	v_add3_u32 v5, v5, v68, v66
	v_add3_u32 v6, v6, v69, v67
	v_mbcnt_lo_u32_b32 v82, -1, 0
	v_and_b32_e32 v58, 0xff, v56
	v_and_b32_e32 v59, 0xff, v57
	v_cndmask_b32_e64 v7, 0, 1, s33
	v_add3_u32 v5, v5, v61, v60
	v_cndmask_b32_e64 v8, 0, 1, s27
	v_add3_u32 v6, v6, v62, v63
	v_and_b32_e32 v86, 15, v82
	v_and_b32_e32 v85, 16, v82
	v_lshrrev_b32_e32 v83, 5, v0
	v_add3_u32 v87, v5, v58, v8
	v_add3_u32 v88, v6, v59, v7
	v_cmp_eq_u32_e64 s1, 0, v86
	v_cmp_lt_u32_e64 s0, 1, v86
	v_cmp_lt_u32_e64 s3, 3, v86
	v_cmp_lt_u32_e32 vcc_lo, 7, v86
	v_or_b32_e32 v84, 31, v0
	s_cmp_lg_u32 s26, 0
	s_mov_b32 s5, -1
	s_cbranch_scc0 .LBB240_123
; %bb.91:
	v_mov_b32_dpp v5, v88 row_shr:1 row_mask:0xf bank_mask:0xf
	v_mov_b32_dpp v6, v87 row_shr:1 row_mask:0xf bank_mask:0xf
	s_delay_alu instid0(VALU_DEP_2) | instskip(NEXT) | instid1(VALU_DEP_2)
	v_add_nc_u32_e32 v5, v5, v88
	v_add_nc_u32_e32 v6, v6, v87
	s_delay_alu instid0(VALU_DEP_2) | instskip(NEXT) | instid1(VALU_DEP_2)
	v_cndmask_b32_e64 v5, v5, v88, s1
	v_cndmask_b32_e64 v6, v6, v87, s1
	s_delay_alu instid0(VALU_DEP_2) | instskip(NEXT) | instid1(VALU_DEP_2)
	v_mov_b32_dpp v7, v5 row_shr:2 row_mask:0xf bank_mask:0xf
	v_mov_b32_dpp v8, v6 row_shr:2 row_mask:0xf bank_mask:0xf
	s_delay_alu instid0(VALU_DEP_2) | instskip(NEXT) | instid1(VALU_DEP_1)
	v_add_nc_u32_e32 v7, v5, v7
	v_cndmask_b32_e64 v5, v5, v7, s0
	s_delay_alu instid0(VALU_DEP_1) | instskip(NEXT) | instid1(VALU_DEP_1)
	v_mov_b32_dpp v7, v5 row_shr:4 row_mask:0xf bank_mask:0xf
	v_add_nc_u32_e32 v7, v5, v7
	s_delay_alu instid0(VALU_DEP_1) | instskip(NEXT) | instid1(VALU_DEP_1)
	v_cndmask_b32_e64 v5, v5, v7, s3
	v_mov_b32_dpp v7, v5 row_shr:8 row_mask:0xf bank_mask:0xf
	s_delay_alu instid0(VALU_DEP_1) | instskip(NEXT) | instid1(VALU_DEP_1)
	v_add_nc_u32_e32 v7, v5, v7
	v_dual_cndmask_b32 v5, v5, v7 :: v_dual_add_nc_u32 v8, v6, v8
	s_delay_alu instid0(VALU_DEP_1) | instskip(NEXT) | instid1(VALU_DEP_1)
	v_cndmask_b32_e64 v6, v6, v8, s0
	v_mov_b32_dpp v8, v6 row_shr:4 row_mask:0xf bank_mask:0xf
	s_delay_alu instid0(VALU_DEP_1) | instskip(NEXT) | instid1(VALU_DEP_1)
	v_add_nc_u32_e32 v8, v6, v8
	v_cndmask_b32_e64 v6, v6, v8, s3
	s_mov_b32 s3, exec_lo
	s_delay_alu instid0(VALU_DEP_1) | instskip(NEXT) | instid1(VALU_DEP_1)
	v_mov_b32_dpp v8, v6 row_shr:8 row_mask:0xf bank_mask:0xf
	v_add_nc_u32_e32 v8, v6, v8
	s_delay_alu instid0(VALU_DEP_1)
	v_cndmask_b32_e32 v7, v6, v8, vcc_lo
	ds_swizzle_b32 v6, v5 offset:swizzle(BROADCAST,32,15)
	v_cmp_eq_u32_e32 vcc_lo, 0, v85
	s_waitcnt lgkmcnt(0)
	v_add_nc_u32_e32 v6, v5, v6
	ds_swizzle_b32 v8, v7 offset:swizzle(BROADCAST,32,15)
	v_cndmask_b32_e32 v6, v6, v5, vcc_lo
	s_waitcnt lgkmcnt(0)
	v_add_nc_u32_e32 v8, v7, v8
	s_delay_alu instid0(VALU_DEP_1)
	v_cndmask_b32_e32 v5, v8, v7, vcc_lo
	v_cmpx_eq_u32_e64 v84, v0
	s_cbranch_execz .LBB240_93
; %bb.92:
	v_lshlrev_b32_e32 v7, 3, v83
	ds_store_b64 v7, v[5:6]
.LBB240_93:
	s_or_b32 exec_lo, exec_lo, s3
	s_delay_alu instid0(SALU_CYCLE_1)
	s_mov_b32 s3, exec_lo
	s_waitcnt lgkmcnt(0)
	s_barrier
	buffer_gl0_inv
	v_cmpx_gt_u32_e32 8, v0
	s_cbranch_execz .LBB240_95
; %bb.94:
	v_lshlrev_b32_e32 v9, 3, v0
	ds_load_b64 v[7:8], v9
	s_waitcnt lgkmcnt(0)
	v_mov_b32_dpp v22, v7 row_shr:1 row_mask:0xf bank_mask:0xf
	v_mov_b32_dpp v23, v8 row_shr:1 row_mask:0xf bank_mask:0xf
	s_delay_alu instid0(VALU_DEP_2) | instskip(SKIP_1) | instid1(VALU_DEP_3)
	v_add_nc_u32_e32 v22, v22, v7
	v_and_b32_e32 v24, 7, v82
	v_add_nc_u32_e32 v23, v23, v8
	s_delay_alu instid0(VALU_DEP_2) | instskip(NEXT) | instid1(VALU_DEP_2)
	v_cmp_eq_u32_e32 vcc_lo, 0, v24
	v_dual_cndmask_b32 v8, v23, v8 :: v_dual_cndmask_b32 v7, v22, v7
	v_cmp_lt_u32_e32 vcc_lo, 1, v24
	s_delay_alu instid0(VALU_DEP_2) | instskip(NEXT) | instid1(VALU_DEP_3)
	v_mov_b32_dpp v23, v8 row_shr:2 row_mask:0xf bank_mask:0xf
	v_mov_b32_dpp v22, v7 row_shr:2 row_mask:0xf bank_mask:0xf
	s_delay_alu instid0(VALU_DEP_2) | instskip(NEXT) | instid1(VALU_DEP_2)
	v_add_nc_u32_e32 v23, v8, v23
	v_add_nc_u32_e32 v22, v7, v22
	s_delay_alu instid0(VALU_DEP_1) | instskip(SKIP_1) | instid1(VALU_DEP_2)
	v_dual_cndmask_b32 v8, v8, v23 :: v_dual_cndmask_b32 v7, v7, v22
	v_cmp_lt_u32_e32 vcc_lo, 3, v24
	v_mov_b32_dpp v23, v8 row_shr:4 row_mask:0xf bank_mask:0xf
	s_delay_alu instid0(VALU_DEP_3) | instskip(NEXT) | instid1(VALU_DEP_1)
	v_mov_b32_dpp v22, v7 row_shr:4 row_mask:0xf bank_mask:0xf
	v_dual_cndmask_b32 v23, 0, v23 :: v_dual_cndmask_b32 v22, 0, v22
	s_delay_alu instid0(VALU_DEP_1) | instskip(NEXT) | instid1(VALU_DEP_2)
	v_add_nc_u32_e32 v8, v23, v8
	v_add_nc_u32_e32 v7, v22, v7
	ds_store_b64 v9, v[7:8]
.LBB240_95:
	s_or_b32 exec_lo, exec_lo, s3
	v_cmp_gt_u32_e32 vcc_lo, 32, v0
	v_cmp_lt_u32_e64 s3, 31, v0
	s_waitcnt lgkmcnt(0)
	s_barrier
	buffer_gl0_inv
                                        ; implicit-def: $vgpr23
	s_and_saveexec_b32 s5, s3
	s_delay_alu instid0(SALU_CYCLE_1)
	s_xor_b32 s3, exec_lo, s5
	s_cbranch_execz .LBB240_97
; %bb.96:
	v_lshl_add_u32 v7, v83, 3, -8
	ds_load_b64 v[22:23], v7
	s_waitcnt lgkmcnt(0)
	v_add_nc_u32_e32 v6, v23, v6
	v_add_nc_u32_e32 v5, v22, v5
.LBB240_97:
	s_and_not1_saveexec_b32 s3, s3
; %bb.98:
                                        ; implicit-def: $vgpr22
; %bb.99:
	s_delay_alu instid0(SALU_CYCLE_1) | instskip(SKIP_1) | instid1(VALU_DEP_1)
	s_or_b32 exec_lo, exec_lo, s3
	v_add_nc_u32_e32 v7, -1, v82
	v_cmp_gt_i32_e64 s3, 0, v7
	s_delay_alu instid0(VALU_DEP_1) | instskip(SKIP_1) | instid1(VALU_DEP_2)
	v_cndmask_b32_e64 v7, v7, v82, s3
	v_cmp_eq_u32_e64 s3, 0, v82
	v_lshlrev_b32_e32 v7, 2, v7
	ds_bpermute_b32 v89, v7, v5
	ds_bpermute_b32 v90, v7, v6
	s_and_saveexec_b32 s5, vcc_lo
	s_cbranch_execz .LBB240_122
; %bb.100:
	v_mov_b32_e32 v8, 0
	ds_load_b64 v[5:6], v8 offset:56
	s_waitcnt lgkmcnt(0)
	v_readfirstlane_b32 s6, v6
	s_and_saveexec_b32 s7, s3
	s_cbranch_execz .LBB240_102
; %bb.101:
	s_add_i32 s8, s26, 32
	s_mov_b32 s9, 0
	v_mov_b32_e32 v7, 1
	s_lshl_b64 s[10:11], s[8:9], 4
	s_mov_b32 s16, s9
	s_add_u32 s10, s36, s10
	s_addc_u32 s11, s37, s11
	s_and_b32 s17, s6, 0xff000000
	s_and_b32 s19, s6, 0xff0000
	s_mov_b32 s18, s9
	v_dual_mov_b32 v25, s11 :: v_dual_mov_b32 v24, s10
	s_or_b64 s[16:17], s[18:19], s[16:17]
	s_and_b32 s19, s6, 0xff00
	s_delay_alu instid0(SALU_CYCLE_1) | instskip(SKIP_1) | instid1(SALU_CYCLE_1)
	s_or_b64 s[16:17], s[16:17], s[18:19]
	s_and_b32 s19, s6, 0xff
	s_or_b64 s[8:9], s[16:17], s[18:19]
	s_delay_alu instid0(SALU_CYCLE_1)
	v_mov_b32_e32 v6, s9
	;;#ASMSTART
	global_store_dwordx4 v[24:25], v[5:8] off	
s_waitcnt vmcnt(0)
	;;#ASMEND
.LBB240_102:
	s_or_b32 exec_lo, exec_lo, s7
	v_xad_u32 v24, v82, -1, s26
	s_mov_b32 s8, 0
	s_mov_b32 s7, exec_lo
	s_delay_alu instid0(VALU_DEP_1) | instskip(NEXT) | instid1(VALU_DEP_1)
	v_add_nc_u32_e32 v7, 32, v24
	v_lshlrev_b64 v[6:7], 4, v[7:8]
	s_delay_alu instid0(VALU_DEP_1) | instskip(NEXT) | instid1(VALU_DEP_2)
	v_add_co_u32 v25, vcc_lo, s36, v6
	v_add_co_ci_u32_e32 v26, vcc_lo, s37, v7, vcc_lo
	;;#ASMSTART
	global_load_dwordx4 v[6:9], v[25:26] off glc	
s_waitcnt vmcnt(0)
	;;#ASMEND
	v_and_b32_e32 v9, 0xff, v7
	v_and_b32_e32 v27, 0xff00, v7
	v_or3_b32 v6, v6, 0, 0
	v_and_b32_e32 v28, 0xff000000, v7
	v_and_b32_e32 v7, 0xff0000, v7
	s_delay_alu instid0(VALU_DEP_4) | instskip(SKIP_2) | instid1(VALU_DEP_3)
	v_or3_b32 v9, 0, v9, v27
	v_and_b32_e32 v27, 0xff, v8
	v_or3_b32 v6, v6, 0, 0
	v_or3_b32 v7, v9, v7, v28
	s_delay_alu instid0(VALU_DEP_3)
	v_cmpx_eq_u16_e32 0, v27
	s_cbranch_execz .LBB240_108
; %bb.103:
	s_mov_b32 s9, 1
	.p2align	6
.LBB240_104:                            ; =>This Loop Header: Depth=1
                                        ;     Child Loop BB240_105 Depth 2
	s_delay_alu instid0(SALU_CYCLE_1)
	s_max_u32 s10, s9, 1
.LBB240_105:                            ;   Parent Loop BB240_104 Depth=1
                                        ; =>  This Inner Loop Header: Depth=2
	s_delay_alu instid0(SALU_CYCLE_1)
	s_add_i32 s10, s10, -1
	s_sleep 1
	s_cmp_eq_u32 s10, 0
	s_cbranch_scc0 .LBB240_105
; %bb.106:                              ;   in Loop: Header=BB240_104 Depth=1
	;;#ASMSTART
	global_load_dwordx4 v[6:9], v[25:26] off glc	
s_waitcnt vmcnt(0)
	;;#ASMEND
	v_and_b32_e32 v9, 0xff, v8
	s_cmp_lt_u32 s9, 32
	s_cselect_b32 s10, -1, 0
	s_delay_alu instid0(SALU_CYCLE_1) | instskip(NEXT) | instid1(VALU_DEP_1)
	s_cmp_lg_u32 s10, 0
	v_cmp_ne_u16_e32 vcc_lo, 0, v9
	s_addc_u32 s9, s9, 0
	s_or_b32 s8, vcc_lo, s8
	s_delay_alu instid0(SALU_CYCLE_1)
	s_and_not1_b32 exec_lo, exec_lo, s8
	s_cbranch_execnz .LBB240_104
; %bb.107:
	s_or_b32 exec_lo, exec_lo, s8
.LBB240_108:
	s_delay_alu instid0(SALU_CYCLE_1) | instskip(SKIP_3) | instid1(VALU_DEP_1)
	s_or_b32 exec_lo, exec_lo, s7
	v_cmp_ne_u32_e32 vcc_lo, 31, v82
	v_lshlrev_b32_e64 v92, v82, -1
	v_add_co_ci_u32_e32 v9, vcc_lo, 0, v82, vcc_lo
	v_lshlrev_b32_e32 v91, 2, v9
	ds_bpermute_b32 v25, v91, v7
	ds_bpermute_b32 v9, v91, v6
	s_waitcnt lgkmcnt(1)
	v_add_nc_u32_e32 v25, v25, v7
	v_and_b32_e32 v26, 0xff, v8
	s_waitcnt lgkmcnt(0)
	v_add_nc_u32_e32 v9, v9, v6
	s_delay_alu instid0(VALU_DEP_2) | instskip(SKIP_2) | instid1(VALU_DEP_2)
	v_cmp_eq_u16_e32 vcc_lo, 2, v26
	v_and_or_b32 v26, vcc_lo, v92, 0x80000000
	v_cmp_gt_u32_e32 vcc_lo, 30, v82
	v_ctz_i32_b32_e32 v26, v26
	v_cndmask_b32_e64 v27, 0, 1, vcc_lo
	s_delay_alu instid0(VALU_DEP_2) | instskip(NEXT) | instid1(VALU_DEP_2)
	v_cmp_lt_u32_e32 vcc_lo, v82, v26
	v_dual_cndmask_b32 v6, v6, v9 :: v_dual_lshlrev_b32 v27, 1, v27
	s_delay_alu instid0(VALU_DEP_1)
	v_add_lshl_u32 v93, v27, v82, 2
	v_cndmask_b32_e32 v7, v7, v25, vcc_lo
	v_cmp_gt_u32_e32 vcc_lo, 28, v82
	ds_bpermute_b32 v9, v93, v6
	ds_bpermute_b32 v25, v93, v7
	v_cndmask_b32_e64 v27, 0, 1, vcc_lo
	s_waitcnt lgkmcnt(1)
	v_add_nc_u32_e32 v9, v6, v9
	s_waitcnt lgkmcnt(0)
	v_add_nc_u32_e32 v25, v7, v25
	v_add_nc_u32_e32 v94, 2, v82
	s_delay_alu instid0(VALU_DEP_1) | instskip(NEXT) | instid1(VALU_DEP_3)
	v_cmp_gt_u32_e32 vcc_lo, v94, v26
	v_cndmask_b32_e32 v7, v25, v7, vcc_lo
	v_dual_cndmask_b32 v6, v9, v6 :: v_dual_lshlrev_b32 v27, 2, v27
	v_cmp_gt_u32_e32 vcc_lo, 24, v82
	s_delay_alu instid0(VALU_DEP_2) | instskip(SKIP_4) | instid1(VALU_DEP_1)
	v_add_lshl_u32 v95, v27, v82, 2
	v_cndmask_b32_e64 v27, 0, 1, vcc_lo
	ds_bpermute_b32 v25, v95, v7
	ds_bpermute_b32 v9, v95, v6
	v_lshlrev_b32_e32 v27, 3, v27
	v_add_lshl_u32 v97, v27, v82, 2
	s_waitcnt lgkmcnt(1)
	v_add_nc_u32_e32 v25, v7, v25
	v_add_nc_u32_e32 v96, 4, v82
	s_waitcnt lgkmcnt(0)
	v_add_nc_u32_e32 v9, v6, v9
	s_delay_alu instid0(VALU_DEP_2) | instskip(SKIP_1) | instid1(VALU_DEP_3)
	v_cmp_gt_u32_e32 vcc_lo, v96, v26
	v_cndmask_b32_e32 v7, v25, v7, vcc_lo
	v_cndmask_b32_e32 v6, v9, v6, vcc_lo
	v_cmp_gt_u32_e32 vcc_lo, 16, v82
	ds_bpermute_b32 v25, v97, v7
	ds_bpermute_b32 v9, v97, v6
	v_cndmask_b32_e64 v27, 0, 1, vcc_lo
	s_delay_alu instid0(VALU_DEP_1) | instskip(NEXT) | instid1(VALU_DEP_1)
	v_lshlrev_b32_e32 v27, 4, v27
	v_add_lshl_u32 v99, v27, v82, 2
	s_waitcnt lgkmcnt(1)
	v_add_nc_u32_e32 v25, v7, v25
	v_add_nc_u32_e32 v98, 8, v82
	s_waitcnt lgkmcnt(0)
	v_add_nc_u32_e32 v9, v6, v9
	s_delay_alu instid0(VALU_DEP_2) | instskip(SKIP_1) | instid1(VALU_DEP_3)
	v_cmp_gt_u32_e32 vcc_lo, v98, v26
	v_cndmask_b32_e32 v7, v25, v7, vcc_lo
	v_cndmask_b32_e32 v6, v9, v6, vcc_lo
	ds_bpermute_b32 v25, v99, v7
	ds_bpermute_b32 v9, v99, v6
	v_add_nc_u32_e32 v100, 16, v82
	s_delay_alu instid0(VALU_DEP_1) | instskip(SKIP_2) | instid1(VALU_DEP_1)
	v_cmp_le_u32_e32 vcc_lo, v100, v26
	s_waitcnt lgkmcnt(0)
	v_cndmask_b32_e32 v9, 0, v9, vcc_lo
	v_dual_cndmask_b32 v25, 0, v25 :: v_dual_add_nc_u32 v6, v9, v6
	s_delay_alu instid0(VALU_DEP_1)
	v_add_nc_u32_e32 v7, v25, v7
	v_mov_b32_e32 v25, 0
	s_branch .LBB240_110
.LBB240_109:                            ;   in Loop: Header=BB240_110 Depth=1
	s_or_b32 exec_lo, exec_lo, s7
	ds_bpermute_b32 v9, v91, v6
	ds_bpermute_b32 v28, v91, v7
	v_subrev_nc_u32_e32 v24, 32, v24
	s_waitcnt lgkmcnt(1)
	v_add_nc_u32_e32 v9, v9, v6
	v_and_b32_e32 v29, 0xff, v8
	s_waitcnt lgkmcnt(0)
	v_add_nc_u32_e32 v28, v28, v7
	s_delay_alu instid0(VALU_DEP_2) | instskip(SKIP_1) | instid1(VALU_DEP_1)
	v_cmp_eq_u16_e32 vcc_lo, 2, v29
	v_and_or_b32 v29, vcc_lo, v92, 0x80000000
	v_ctz_i32_b32_e32 v29, v29
	s_delay_alu instid0(VALU_DEP_1)
	v_cmp_lt_u32_e32 vcc_lo, v82, v29
	v_cndmask_b32_e32 v6, v6, v9, vcc_lo
	ds_bpermute_b32 v9, v93, v6
	s_waitcnt lgkmcnt(0)
	v_add_nc_u32_e32 v9, v6, v9
	v_cndmask_b32_e32 v7, v7, v28, vcc_lo
	v_cmp_gt_u32_e32 vcc_lo, v94, v29
	s_delay_alu instid0(VALU_DEP_3)
	v_cndmask_b32_e32 v6, v9, v6, vcc_lo
	ds_bpermute_b32 v28, v93, v7
	ds_bpermute_b32 v9, v95, v6
	s_waitcnt lgkmcnt(1)
	v_add_nc_u32_e32 v28, v7, v28
	s_waitcnt lgkmcnt(0)
	v_add_nc_u32_e32 v9, v6, v9
	s_delay_alu instid0(VALU_DEP_2) | instskip(SKIP_1) | instid1(VALU_DEP_3)
	v_cndmask_b32_e32 v7, v28, v7, vcc_lo
	v_cmp_gt_u32_e32 vcc_lo, v96, v29
	v_cndmask_b32_e32 v6, v9, v6, vcc_lo
	ds_bpermute_b32 v28, v95, v7
	ds_bpermute_b32 v9, v97, v6
	s_waitcnt lgkmcnt(1)
	v_add_nc_u32_e32 v28, v7, v28
	s_waitcnt lgkmcnt(0)
	v_add_nc_u32_e32 v9, v6, v9
	s_delay_alu instid0(VALU_DEP_2) | instskip(SKIP_1) | instid1(VALU_DEP_3)
	v_cndmask_b32_e32 v7, v28, v7, vcc_lo
	v_cmp_gt_u32_e32 vcc_lo, v98, v29
	v_cndmask_b32_e32 v6, v9, v6, vcc_lo
	ds_bpermute_b32 v28, v97, v7
	ds_bpermute_b32 v9, v99, v6
	s_waitcnt lgkmcnt(1)
	v_add_nc_u32_e32 v28, v7, v28
	s_delay_alu instid0(VALU_DEP_1) | instskip(SKIP_4) | instid1(VALU_DEP_1)
	v_cndmask_b32_e32 v7, v28, v7, vcc_lo
	v_cmp_le_u32_e32 vcc_lo, v100, v29
	ds_bpermute_b32 v28, v99, v7
	s_waitcnt lgkmcnt(1)
	v_cndmask_b32_e32 v9, 0, v9, vcc_lo
	v_add3_u32 v6, v6, v26, v9
	s_waitcnt lgkmcnt(0)
	v_cndmask_b32_e32 v28, 0, v28, vcc_lo
	s_delay_alu instid0(VALU_DEP_1)
	v_add3_u32 v7, v7, v27, v28
.LBB240_110:                            ; =>This Loop Header: Depth=1
                                        ;     Child Loop BB240_113 Depth 2
                                        ;       Child Loop BB240_114 Depth 3
	s_delay_alu instid0(VALU_DEP_1) | instskip(SKIP_1) | instid1(VALU_DEP_2)
	v_dual_mov_b32 v27, v7 :: v_dual_and_b32 v8, 0xff, v8
	v_mov_b32_e32 v26, v6
	v_cmp_ne_u16_e32 vcc_lo, 2, v8
	v_cndmask_b32_e64 v8, 0, 1, vcc_lo
	;;#ASMSTART
	;;#ASMEND
	s_delay_alu instid0(VALU_DEP_1)
	v_cmp_ne_u32_e32 vcc_lo, 0, v8
	s_cmp_lg_u32 vcc_lo, exec_lo
	s_cbranch_scc1 .LBB240_117
; %bb.111:                              ;   in Loop: Header=BB240_110 Depth=1
	v_lshlrev_b64 v[6:7], 4, v[24:25]
	s_mov_b32 s7, exec_lo
	s_delay_alu instid0(VALU_DEP_1) | instskip(NEXT) | instid1(VALU_DEP_2)
	v_add_co_u32 v28, vcc_lo, s36, v6
	v_add_co_ci_u32_e32 v29, vcc_lo, s37, v7, vcc_lo
	;;#ASMSTART
	global_load_dwordx4 v[6:9], v[28:29] off glc	
s_waitcnt vmcnt(0)
	;;#ASMEND
	v_and_b32_e32 v9, 0xff, v7
	v_and_b32_e32 v101, 0xff00, v7
	v_or3_b32 v6, v6, 0, 0
	v_and_b32_e32 v102, 0xff000000, v7
	v_and_b32_e32 v7, 0xff0000, v7
	s_delay_alu instid0(VALU_DEP_4) | instskip(SKIP_2) | instid1(VALU_DEP_3)
	v_or3_b32 v9, 0, v9, v101
	v_and_b32_e32 v101, 0xff, v8
	v_or3_b32 v6, v6, 0, 0
	v_or3_b32 v7, v9, v7, v102
	s_delay_alu instid0(VALU_DEP_3)
	v_cmpx_eq_u16_e32 0, v101
	s_cbranch_execz .LBB240_109
; %bb.112:                              ;   in Loop: Header=BB240_110 Depth=1
	s_mov_b32 s9, 1
	s_mov_b32 s8, 0
	.p2align	6
.LBB240_113:                            ;   Parent Loop BB240_110 Depth=1
                                        ; =>  This Loop Header: Depth=2
                                        ;       Child Loop BB240_114 Depth 3
	s_max_u32 s10, s9, 1
.LBB240_114:                            ;   Parent Loop BB240_110 Depth=1
                                        ;     Parent Loop BB240_113 Depth=2
                                        ; =>    This Inner Loop Header: Depth=3
	s_delay_alu instid0(SALU_CYCLE_1)
	s_add_i32 s10, s10, -1
	s_sleep 1
	s_cmp_eq_u32 s10, 0
	s_cbranch_scc0 .LBB240_114
; %bb.115:                              ;   in Loop: Header=BB240_113 Depth=2
	;;#ASMSTART
	global_load_dwordx4 v[6:9], v[28:29] off glc	
s_waitcnt vmcnt(0)
	;;#ASMEND
	v_and_b32_e32 v9, 0xff, v8
	s_cmp_lt_u32 s9, 32
	s_cselect_b32 s10, -1, 0
	s_delay_alu instid0(SALU_CYCLE_1) | instskip(NEXT) | instid1(VALU_DEP_1)
	s_cmp_lg_u32 s10, 0
	v_cmp_ne_u16_e32 vcc_lo, 0, v9
	s_addc_u32 s9, s9, 0
	s_or_b32 s8, vcc_lo, s8
	s_delay_alu instid0(SALU_CYCLE_1)
	s_and_not1_b32 exec_lo, exec_lo, s8
	s_cbranch_execnz .LBB240_113
; %bb.116:                              ;   in Loop: Header=BB240_110 Depth=1
	s_or_b32 exec_lo, exec_lo, s8
	s_branch .LBB240_109
.LBB240_117:                            ;   in Loop: Header=BB240_110 Depth=1
                                        ; implicit-def: $vgpr8
                                        ; implicit-def: $vgpr6_vgpr7
	s_cbranch_execz .LBB240_110
; %bb.118:
	s_and_saveexec_b32 s7, s3
	s_cbranch_execnz .LBB240_361
; %bb.119:
	s_or_b32 exec_lo, exec_lo, s7
	s_and_saveexec_b32 s7, s3
	s_cbranch_execnz .LBB240_362
.LBB240_120:
	s_or_b32 exec_lo, exec_lo, s7
	s_delay_alu instid0(SALU_CYCLE_1)
	s_and_b32 exec_lo, exec_lo, s2
	s_cbranch_execz .LBB240_122
.LBB240_121:
	v_mov_b32_e32 v5, 0
	ds_store_b64 v5, v[26:27] offset:56
.LBB240_122:
	s_or_b32 exec_lo, exec_lo, s5
	s_waitcnt lgkmcnt(1)
	v_cndmask_b32_e64 v22, v89, v22, s3
	v_mov_b32_e32 v5, 0
	s_waitcnt lgkmcnt(0)
	s_barrier
	buffer_gl0_inv
	v_add_nc_u32_e64 v7, 0x3400, 0
	ds_load_b64 v[24:25], v5 offset:56
	s_waitcnt lgkmcnt(0)
	s_barrier
	buffer_gl0_inv
	ds_load_2addr_b32 v[5:6], v7 offset1:2
	ds_load_2addr_b32 v[7:8], v7 offset0:4 offset1:6
	v_cndmask_b32_e64 v9, v90, v23, s3
	v_add_nc_u32_e32 v22, v24, v22
	s_delay_alu instid0(VALU_DEP_2) | instskip(NEXT) | instid1(VALU_DEP_2)
	v_add_nc_u32_e32 v9, v25, v9
	v_cndmask_b32_e64 v22, v22, v24, s2
	s_delay_alu instid0(VALU_DEP_2)
	v_cndmask_b32_e64 v9, v9, v25, s2
	s_branch .LBB240_133
.LBB240_123:
                                        ; implicit-def: $vgpr9
                                        ; implicit-def: $vgpr7
                                        ; implicit-def: $vgpr5
                                        ; implicit-def: $vgpr22_vgpr23
	s_and_b32 vcc_lo, exec_lo, s5
	s_cbranch_vccz .LBB240_133
; %bb.124:
	s_waitcnt lgkmcnt(1)
	v_mov_b32_dpp v6, v88 row_shr:1 row_mask:0xf bank_mask:0xf
	v_cmp_lt_u32_e32 vcc_lo, 3, v86
	v_mov_b32_dpp v5, v87 row_shr:1 row_mask:0xf bank_mask:0xf
	s_delay_alu instid0(VALU_DEP_3) | instskip(NEXT) | instid1(VALU_DEP_1)
	v_add_nc_u32_e32 v6, v6, v88
	v_cndmask_b32_e64 v6, v6, v88, s1
	s_waitcnt lgkmcnt(0)
	s_delay_alu instid0(VALU_DEP_1) | instskip(NEXT) | instid1(VALU_DEP_1)
	v_mov_b32_dpp v8, v6 row_shr:2 row_mask:0xf bank_mask:0xf
	v_add_nc_u32_e32 v8, v6, v8
	s_delay_alu instid0(VALU_DEP_1) | instskip(NEXT) | instid1(VALU_DEP_1)
	v_cndmask_b32_e64 v6, v6, v8, s0
	v_mov_b32_dpp v8, v6 row_shr:4 row_mask:0xf bank_mask:0xf
	s_delay_alu instid0(VALU_DEP_1) | instskip(NEXT) | instid1(VALU_DEP_1)
	v_add_nc_u32_e32 v8, v6, v8
	v_dual_cndmask_b32 v6, v6, v8 :: v_dual_add_nc_u32 v5, v5, v87
	s_delay_alu instid0(VALU_DEP_1) | instskip(NEXT) | instid1(VALU_DEP_2)
	v_cndmask_b32_e64 v5, v5, v87, s1
	v_mov_b32_dpp v8, v6 row_shr:8 row_mask:0xf bank_mask:0xf
	s_delay_alu instid0(VALU_DEP_2) | instskip(NEXT) | instid1(VALU_DEP_2)
	v_mov_b32_dpp v7, v5 row_shr:2 row_mask:0xf bank_mask:0xf
	v_add_nc_u32_e32 v8, v6, v8
	s_delay_alu instid0(VALU_DEP_2) | instskip(NEXT) | instid1(VALU_DEP_1)
	v_add_nc_u32_e32 v7, v5, v7
	v_cndmask_b32_e64 v5, v5, v7, s0
	s_mov_b32 s0, exec_lo
	s_delay_alu instid0(VALU_DEP_1) | instskip(NEXT) | instid1(VALU_DEP_1)
	v_mov_b32_dpp v7, v5 row_shr:4 row_mask:0xf bank_mask:0xf
	v_add_nc_u32_e32 v7, v5, v7
	s_delay_alu instid0(VALU_DEP_1) | instskip(SKIP_1) | instid1(VALU_DEP_2)
	v_cndmask_b32_e32 v5, v5, v7, vcc_lo
	v_cmp_lt_u32_e32 vcc_lo, 7, v86
	v_mov_b32_dpp v7, v5 row_shr:8 row_mask:0xf bank_mask:0xf
	s_delay_alu instid0(VALU_DEP_1) | instskip(NEXT) | instid1(VALU_DEP_1)
	v_dual_cndmask_b32 v6, v6, v8 :: v_dual_add_nc_u32 v7, v5, v7
	v_cndmask_b32_e32 v5, v5, v7, vcc_lo
	ds_swizzle_b32 v7, v6 offset:swizzle(BROADCAST,32,15)
	v_cmp_eq_u32_e32 vcc_lo, 0, v85
	ds_swizzle_b32 v8, v5 offset:swizzle(BROADCAST,32,15)
	s_waitcnt lgkmcnt(1)
	v_add_nc_u32_e32 v7, v6, v7
	s_waitcnt lgkmcnt(0)
	v_add_nc_u32_e32 v8, v5, v8
	s_delay_alu instid0(VALU_DEP_1)
	v_dual_cndmask_b32 v6, v7, v6 :: v_dual_cndmask_b32 v5, v8, v5
	v_cmpx_eq_u32_e64 v84, v0
	s_cbranch_execz .LBB240_126
; %bb.125:
	v_lshlrev_b32_e32 v7, 3, v83
	ds_store_b64 v7, v[5:6]
.LBB240_126:
	s_or_b32 exec_lo, exec_lo, s0
	s_delay_alu instid0(SALU_CYCLE_1)
	s_mov_b32 s0, exec_lo
	s_waitcnt lgkmcnt(0)
	s_barrier
	buffer_gl0_inv
	v_cmpx_gt_u32_e32 8, v0
	s_cbranch_execz .LBB240_128
; %bb.127:
	v_lshlrev_b32_e32 v9, 3, v0
	ds_load_b64 v[7:8], v9
	s_waitcnt lgkmcnt(0)
	v_mov_b32_dpp v22, v7 row_shr:1 row_mask:0xf bank_mask:0xf
	v_mov_b32_dpp v23, v8 row_shr:1 row_mask:0xf bank_mask:0xf
	s_delay_alu instid0(VALU_DEP_2) | instskip(SKIP_1) | instid1(VALU_DEP_3)
	v_add_nc_u32_e32 v22, v22, v7
	v_and_b32_e32 v24, 7, v82
	v_add_nc_u32_e32 v23, v23, v8
	s_delay_alu instid0(VALU_DEP_2) | instskip(NEXT) | instid1(VALU_DEP_2)
	v_cmp_eq_u32_e32 vcc_lo, 0, v24
	v_dual_cndmask_b32 v8, v23, v8 :: v_dual_cndmask_b32 v7, v22, v7
	v_cmp_lt_u32_e32 vcc_lo, 1, v24
	s_delay_alu instid0(VALU_DEP_2) | instskip(NEXT) | instid1(VALU_DEP_3)
	v_mov_b32_dpp v23, v8 row_shr:2 row_mask:0xf bank_mask:0xf
	v_mov_b32_dpp v22, v7 row_shr:2 row_mask:0xf bank_mask:0xf
	s_delay_alu instid0(VALU_DEP_2) | instskip(NEXT) | instid1(VALU_DEP_2)
	v_add_nc_u32_e32 v23, v8, v23
	v_add_nc_u32_e32 v22, v7, v22
	s_delay_alu instid0(VALU_DEP_1) | instskip(SKIP_1) | instid1(VALU_DEP_2)
	v_dual_cndmask_b32 v8, v8, v23 :: v_dual_cndmask_b32 v7, v7, v22
	v_cmp_lt_u32_e32 vcc_lo, 3, v24
	v_mov_b32_dpp v23, v8 row_shr:4 row_mask:0xf bank_mask:0xf
	s_delay_alu instid0(VALU_DEP_3) | instskip(NEXT) | instid1(VALU_DEP_1)
	v_mov_b32_dpp v22, v7 row_shr:4 row_mask:0xf bank_mask:0xf
	v_dual_cndmask_b32 v23, 0, v23 :: v_dual_cndmask_b32 v22, 0, v22
	s_delay_alu instid0(VALU_DEP_1) | instskip(NEXT) | instid1(VALU_DEP_2)
	v_add_nc_u32_e32 v8, v23, v8
	v_add_nc_u32_e32 v7, v22, v7
	ds_store_b64 v9, v[7:8]
.LBB240_128:
	s_or_b32 exec_lo, exec_lo, s0
	v_dual_mov_b32 v7, 0 :: v_dual_mov_b32 v22, 0
	v_mov_b32_e32 v23, 0
	s_mov_b32 s0, exec_lo
	s_waitcnt lgkmcnt(0)
	s_barrier
	buffer_gl0_inv
	v_cmpx_lt_u32_e32 31, v0
	s_cbranch_execz .LBB240_130
; %bb.129:
	v_lshl_add_u32 v8, v83, 3, -8
	ds_load_b64 v[22:23], v8
.LBB240_130:
	s_or_b32 exec_lo, exec_lo, s0
	v_add_nc_u32_e32 v8, -1, v82
	s_waitcnt lgkmcnt(0)
	v_add_nc_u32_e32 v24, v23, v6
	v_add_nc_u32_e32 v9, v22, v5
	ds_load_b64 v[5:6], v7 offset:56
	v_cmp_gt_i32_e32 vcc_lo, 0, v8
	v_cndmask_b32_e32 v8, v8, v82, vcc_lo
	s_delay_alu instid0(VALU_DEP_1)
	v_lshlrev_b32_e32 v8, 2, v8
	ds_bpermute_b32 v9, v8, v9
	ds_bpermute_b32 v24, v8, v24
	s_waitcnt lgkmcnt(2)
	v_readfirstlane_b32 s0, v6
	s_and_saveexec_b32 s1, s2
	s_cbranch_execz .LBB240_132
; %bb.131:
	s_mov_b32 s8, 0
	s_add_u32 s6, s36, 0x200
	s_addc_u32 s7, s37, 0
	s_and_b32 s9, s0, 0xff000000
	s_and_b32 s11, s0, 0xff0000
	s_mov_b32 s10, s8
	v_mov_b32_e32 v26, s7
	s_or_b64 s[10:11], s[10:11], s[8:9]
	s_and_b32 s9, s0, 0xff00
	v_dual_mov_b32 v8, 0 :: v_dual_mov_b32 v25, s6
	s_or_b64 s[10:11], s[10:11], s[8:9]
	s_and_b32 s9, s0, 0xff
	v_mov_b32_e32 v7, 2
	s_or_b64 s[8:9], s[10:11], s[8:9]
	s_delay_alu instid0(SALU_CYCLE_1)
	v_mov_b32_e32 v6, s9
	;;#ASMSTART
	global_store_dwordx4 v[25:26], v[5:8] off	
s_waitcnt vmcnt(0)
	;;#ASMEND
.LBB240_132:
	s_or_b32 exec_lo, exec_lo, s1
	v_cmp_eq_u32_e32 vcc_lo, 0, v82
	v_dual_mov_b32 v7, 0 :: v_dual_mov_b32 v6, s0
	s_waitcnt lgkmcnt(0)
	s_barrier
	v_dual_cndmask_b32 v8, v9, v22 :: v_dual_cndmask_b32 v9, v24, v23
	buffer_gl0_inv
	v_cndmask_b32_e64 v22, v8, 0, s2
	v_cndmask_b32_e64 v9, v9, 0, s2
	v_mov_b32_e32 v8, 0
.LBB240_133:
	s_delay_alu instid0(VALU_DEP_1) | instskip(SKIP_1) | instid1(VALU_DEP_2)
	v_add_nc_u32_e32 v24, v9, v81
	s_waitcnt lgkmcnt(0)
	v_sub_nc_u32_e32 v9, v9, v8
	v_add_co_u32 v1, vcc_lo, v1, v7
	v_and_b32_e32 v35, 1, v35
	v_add_nc_u32_e32 v26, v24, v77
	v_sub_nc_u32_e32 v24, v24, v8
	v_lshlrev_b32_e32 v77, 1, v5
	v_add_nc_u32_e32 v9, v9, v5
	v_add_co_ci_u32_e32 v2, vcc_lo, 0, v2, vcc_lo
	v_add_nc_u32_e32 v28, v26, v79
	s_delay_alu instid0(VALU_DEP_4)
	v_add3_u32 v33, v77, v6, v33
	v_and_b32_e32 v40, 1, v40
	v_and_b32_e32 v37, 1, v37
	;; [unrolled: 1-line block ×3, first 2 shown]
	v_add_nc_u32_e32 v29, v28, v75
	v_sub_nc_u32_e32 v28, v28, v8
	v_sub_co_u32 v75, vcc_lo, v3, v5
	s_add_u32 s1, s14, -4
	s_delay_alu instid0(VALU_DEP_3) | instskip(SKIP_4) | instid1(VALU_DEP_3)
	v_add_nc_u32_e32 v73, v29, v73
	v_sub_nc_u32_e32 v29, v29, v8
	v_add_nc_u32_e32 v28, v28, v5
	v_add_nc_u32_e32 v24, v24, v5
	s_mov_b32 s3, -1
	v_add_nc_u32_e32 v29, v29, v5
	v_add_nc_u32_e32 v23, v22, v80
	v_sub_nc_u32_e32 v22, v22, v7
	s_delay_alu instid0(VALU_DEP_2) | instskip(SKIP_3) | instid1(VALU_DEP_3)
	v_add_nc_u32_e32 v25, v23, v76
	v_sub_nc_u32_e32 v23, v23, v7
	v_subrev_co_ci_u32_e32 v76, vcc_lo, 0, v4, vcc_lo
	v_cmp_eq_u32_e32 vcc_lo, 1, v35
	v_add_nc_u32_e32 v79, v24, v23
	s_delay_alu instid0(VALU_DEP_1) | instskip(NEXT) | instid1(VALU_DEP_1)
	v_sub_nc_u32_e32 v79, v33, v79
	v_add_nc_u32_e32 v79, 1, v79
	v_add_nc_u32_e32 v27, v25, v78
	;; [unrolled: 1-line block ×3, first 2 shown]
	s_delay_alu instid0(VALU_DEP_1) | instskip(NEXT) | instid1(VALU_DEP_1)
	v_sub_nc_u32_e32 v78, v33, v78
	v_dual_cndmask_b32 v9, v78, v9 :: v_dual_and_b32 v34, 1, v34
	v_cmp_eq_u32_e32 vcc_lo, 1, v40
	v_cndmask_b32_e32 v24, v79, v24, vcc_lo
	s_delay_alu instid0(VALU_DEP_3) | instskip(NEXT) | instid1(VALU_DEP_4)
	v_cmp_eq_u32_e32 vcc_lo, 1, v34
	v_cndmask_b32_e32 v9, v9, v22, vcc_lo
	v_sub_nc_u32_e32 v26, v26, v8
	v_cmp_eq_u32_e32 vcc_lo, 1, v37
	v_and_b32_e32 v37, 1, v38
	s_delay_alu instid0(VALU_DEP_4) | instskip(NEXT) | instid1(VALU_DEP_4)
	v_lshlrev_b32_e32 v9, 2, v9
	v_add_nc_u32_e32 v26, v26, v5
	v_cndmask_b32_e32 v24, v24, v23, vcc_lo
	v_sub_nc_u32_e32 v25, v25, v7
	v_add_co_u32 v22, vcc_lo, v75, v8
	v_add_co_ci_u32_e32 v23, vcc_lo, 0, v76, vcc_lo
	s_delay_alu instid0(VALU_DEP_3)
	v_add_nc_u32_e32 v34, v26, v25
	v_cmp_eq_u32_e32 vcc_lo, 1, v37
	v_lshlrev_b32_e32 v24, 2, v24
	ds_store_b32 v9, v20
	v_sub_nc_u32_e32 v34, v33, v34
	ds_store_b32 v24, v21
	v_and_b32_e32 v24, 1, v39
	v_add_nc_u32_e32 v34, 2, v34
	s_delay_alu instid0(VALU_DEP_1) | instskip(SKIP_3) | instid1(VALU_DEP_4)
	v_cndmask_b32_e32 v26, v34, v26, vcc_lo
	v_cmp_eq_u32_e32 vcc_lo, 1, v36
	v_add_nc_u32_e32 v74, v27, v74
	v_sub_nc_u32_e32 v27, v27, v7
	v_cndmask_b32_e32 v25, v26, v25, vcc_lo
	s_delay_alu instid0(VALU_DEP_3) | instskip(NEXT) | instid1(VALU_DEP_3)
	v_sub_nc_u32_e32 v37, v74, v7
	v_add_nc_u32_e32 v34, v27, v28
	v_cmp_eq_u32_e32 vcc_lo, 1, v24
	v_sub_nc_u32_e32 v26, v73, v8
	v_lshlrev_b32_e32 v21, 2, v25
	v_and_b32_e32 v25, 1, v41
	v_sub_nc_u32_e32 v9, v33, v34
	v_add_nc_u32_e32 v20, v37, v29
	v_and_b32_e32 v24, 1, v42
	v_add_nc_u32_e32 v26, v26, v5
	ds_store_b32 v21, v18
	v_add_nc_u32_e32 v9, 3, v9
	v_sub_nc_u32_e32 v20, v33, v20
	s_delay_alu instid0(VALU_DEP_2) | instskip(SKIP_2) | instid1(VALU_DEP_4)
	v_cndmask_b32_e32 v9, v9, v28, vcc_lo
	v_cmp_eq_u32_e32 vcc_lo, 1, v25
	v_add_nc_u32_e32 v72, v74, v72
	v_add_nc_u32_e32 v20, 4, v20
	v_and_b32_e32 v25, 1, v43
	v_cndmask_b32_e32 v9, v9, v27, vcc_lo
	s_delay_alu instid0(VALU_DEP_4)
	v_sub_nc_u32_e32 v28, v72, v7
	v_cmp_eq_u32_e32 vcc_lo, 1, v24
	v_and_b32_e32 v24, 1, v44
	v_add_nc_u32_e32 v70, v72, v70
	v_lshlrev_b32_e32 v9, 2, v9
	v_add_nc_u32_e32 v27, v28, v26
	v_cndmask_b32_e32 v20, v20, v29, vcc_lo
	v_cmp_eq_u32_e32 vcc_lo, 1, v25
	v_and_b32_e32 v25, 1, v45
	v_add_nc_u32_e32 v64, v70, v64
	v_sub_nc_u32_e32 v18, v33, v27
	v_sub_nc_u32_e32 v27, v70, v7
	v_cndmask_b32_e32 v20, v20, v37, vcc_lo
	v_cmp_eq_u32_e32 vcc_lo, 1, v24
	ds_store_b32 v9, v19
	v_add_nc_u32_e32 v18, 5, v18
	v_and_b32_e32 v19, 1, v46
	v_lshlrev_b32_e32 v20, 2, v20
	v_add_nc_u32_e32 v68, v64, v68
	s_delay_alu instid0(VALU_DEP_4)
	v_cndmask_b32_e32 v18, v18, v26, vcc_lo
	v_cmp_eq_u32_e32 vcc_lo, 1, v25
	v_sub_nc_u32_e32 v25, v64, v7
	ds_store_b32 v20, v16
	v_and_b32_e32 v20, 1, v49
	v_add_nc_u32_e32 v66, v68, v66
	v_dual_cndmask_b32 v18, v18, v28 :: v_dual_add_nc_u32 v71, v73, v71
	v_cmp_eq_u32_e32 vcc_lo, 1, v19
	v_and_b32_e32 v19, 1, v48
	s_delay_alu instid0(VALU_DEP_4) | instskip(NEXT) | instid1(VALU_DEP_4)
	v_add_nc_u32_e32 v61, v66, v61
	v_lshlrev_b32_e32 v18, 2, v18
	v_add_nc_u32_e32 v65, v71, v65
	v_sub_nc_u32_e32 v21, v71, v8
	s_delay_alu instid0(VALU_DEP_4)
	v_add_nc_u32_e32 v60, v61, v60
	ds_store_b32 v18, v17
	v_sub_nc_u32_e32 v24, v65, v8
	v_add_nc_u32_e32 v21, v21, v5
	v_add_nc_u32_e32 v69, v65, v69
	v_and_b32_e32 v17, 1, v47
	s_delay_alu instid0(VALU_DEP_4) | instskip(NEXT) | instid1(VALU_DEP_4)
	v_add_nc_u32_e32 v24, v24, v5
	v_add_nc_u32_e32 v26, v27, v21
	s_delay_alu instid0(VALU_DEP_4) | instskip(NEXT) | instid1(VALU_DEP_3)
	v_sub_nc_u32_e32 v18, v69, v8
	v_add_nc_u32_e32 v16, v25, v24
	s_delay_alu instid0(VALU_DEP_3) | instskip(NEXT) | instid1(VALU_DEP_3)
	v_sub_nc_u32_e32 v9, v33, v26
	v_add_nc_u32_e32 v18, v18, v5
	v_sub_nc_u32_e32 v26, v60, v7
	s_delay_alu instid0(VALU_DEP_4) | instskip(NEXT) | instid1(VALU_DEP_4)
	v_sub_nc_u32_e32 v16, v33, v16
	v_add_nc_u32_e32 v9, 6, v9
	s_delay_alu instid0(VALU_DEP_1) | instskip(SKIP_2) | instid1(VALU_DEP_3)
	v_dual_cndmask_b32 v9, v9, v21 :: v_dual_add_nc_u32 v16, 7, v16
	v_cmp_eq_u32_e32 vcc_lo, 1, v19
	v_sub_nc_u32_e32 v21, v68, v7
	v_cndmask_b32_e32 v16, v16, v24, vcc_lo
	v_cmp_eq_u32_e32 vcc_lo, 1, v17
	s_delay_alu instid0(VALU_DEP_3) | instskip(SKIP_3) | instid1(VALU_DEP_4)
	v_add_nc_u32_e32 v17, v21, v18
	v_cndmask_b32_e32 v9, v9, v27, vcc_lo
	v_cmp_eq_u32_e32 vcc_lo, 1, v20
	v_add_nc_u32_e32 v67, v69, v67
	v_sub_nc_u32_e32 v17, v33, v17
	v_sub_nc_u32_e32 v20, v66, v7
	v_lshlrev_b32_e32 v9, 2, v9
	v_cndmask_b32_e32 v16, v16, v25, vcc_lo
	v_sub_nc_u32_e32 v19, v67, v8
	v_add_nc_u32_e32 v62, v67, v62
	v_sub_nc_u32_e32 v25, v61, v7
	ds_store_b32 v9, v14
	v_and_b32_e32 v9, 1, v50
	v_add_nc_u32_e32 v19, v19, v5
	v_add_nc_u32_e32 v14, 8, v17
	v_lshlrev_b32_e32 v16, 2, v16
	v_add_nc_u32_e32 v63, v62, v63
	v_cmp_eq_u32_e32 vcc_lo, 1, v9
	v_add_nc_u32_e32 v17, v20, v19
	ds_store_b32 v16, v15
	v_and_b32_e32 v15, 1, v51
	v_cndmask_b32_e32 v9, v14, v18, vcc_lo
	v_sub_nc_u32_e32 v14, v33, v17
	v_and_b32_e32 v18, 1, v52
	v_sub_nc_u32_e32 v17, v62, v8
	v_and_b32_e32 v16, 1, v54
	v_sub_nc_u32_e32 v24, v63, v8
	v_add_nc_u32_e32 v14, 9, v14
	v_cmp_eq_u32_e32 vcc_lo, 1, v18
	v_add_nc_u32_e32 v17, v17, v5
	v_add_nc_u32_e32 v35, v63, v59
	;; [unrolled: 1-line block ×3, first 2 shown]
	v_cndmask_b32_e32 v14, v14, v19, vcc_lo
	v_cmp_eq_u32_e32 vcc_lo, 1, v15
	v_add_nc_u32_e32 v15, v25, v17
	s_delay_alu instid0(VALU_DEP_4)
	v_add_nc_u32_e32 v18, v26, v24
	v_and_b32_e32 v19, 1, v55
	v_cndmask_b32_e32 v9, v9, v21, vcc_lo
	v_cmp_eq_u32_e32 vcc_lo, 1, v16
	v_sub_nc_u32_e32 v15, v33, v15
	v_sub_nc_u32_e32 v18, v33, v18
	v_and_b32_e32 v21, 1, v57
	v_sub_nc_u32_e32 v16, v35, v8
	v_cndmask_b32_e32 v14, v14, v20, vcc_lo
	v_and_b32_e32 v20, 1, v53
	v_add_nc_u32_e32 v15, 10, v15
	v_add_nc_u32_e32 v18, 11, v18
	;; [unrolled: 1-line block ×3, first 2 shown]
	v_lshlrev_b32_e32 v9, 2, v9
	v_cmp_eq_u32_e32 vcc_lo, 1, v20
	v_dual_cndmask_b32 v15, v15, v17 :: v_dual_lshlrev_b32 v14, 2, v14
	v_cmp_eq_u32_e32 vcc_lo, 1, v21
	v_and_b32_e32 v17, 1, v56
	v_cndmask_b32_e32 v18, v18, v24, vcc_lo
	v_cmp_eq_u32_e32 vcc_lo, 1, v19
	v_cndmask_b32_e32 v15, v15, v25, vcc_lo
	s_delay_alu instid0(VALU_DEP_4) | instskip(NEXT) | instid1(VALU_DEP_2)
	v_cmp_eq_u32_e32 vcc_lo, 1, v17
	v_lshlrev_b32_e32 v15, 2, v15
	v_cndmask_b32_e32 v17, v18, v26, vcc_lo
	v_add_nc_u32_e32 v40, v60, v58
	s_delay_alu instid0(VALU_DEP_2) | instskip(NEXT) | instid1(VALU_DEP_2)
	v_lshlrev_b32_e32 v17, 2, v17
	v_sub_nc_u32_e32 v7, v40, v7
	ds_store_b32 v9, v12
	ds_store_b32 v14, v13
	;; [unrolled: 1-line block ×4, first 2 shown]
	v_add_co_u32 v9, s0, v6, v77
	s_delay_alu instid0(VALU_DEP_1) | instskip(SKIP_1) | instid1(VALU_DEP_3)
	v_add_co_ci_u32_e64 v10, null, 0, 0, s0
	v_add_nc_u32_e32 v27, v7, v16
	v_add_co_u32 v9, vcc_lo, v9, v22
	s_delay_alu instid0(VALU_DEP_3) | instskip(NEXT) | instid1(VALU_DEP_3)
	v_add_co_ci_u32_e32 v10, vcc_lo, v10, v23, vcc_lo
	v_sub_nc_u32_e32 v20, v33, v27
	v_add_co_u32 v11, s0, s34, v30
	s_delay_alu instid0(VALU_DEP_4) | instskip(NEXT) | instid1(VALU_DEP_3)
	v_add_co_u32 v9, vcc_lo, v9, v1
	v_add_nc_u32_e32 v18, 12, v20
	v_add_co_ci_u32_e64 v12, null, s35, 0, s0
	v_add_co_ci_u32_e32 v10, vcc_lo, v10, v2, vcc_lo
	s_delay_alu instid0(VALU_DEP_3) | instskip(SKIP_1) | instid1(VALU_DEP_2)
	v_cndmask_b32_e64 v16, v18, v16, s33
	v_add_nc_u32_e32 v14, v5, v6
	v_cndmask_b32_e64 v7, v16, v7, s27
	s_delay_alu instid0(VALU_DEP_1)
	v_lshlrev_b32_e32 v7, 2, v7
	ds_store_b32 v7, v32
	v_sub_co_u32 v7, vcc_lo, v11, v9
	v_sub_co_ci_u32_e32 v13, vcc_lo, v12, v10, vcc_lo
	v_lshlrev_b64 v[9:10], 2, v[22:23]
	v_lshlrev_b64 v[11:12], 2, v[1:2]
	s_waitcnt lgkmcnt(0)
	s_barrier
	buffer_gl0_inv
	v_add_co_u32 v9, vcc_lo, s30, v9
	v_add_co_ci_u32_e32 v10, vcc_lo, s31, v10, vcc_lo
	v_cmp_ne_u32_e32 vcc_lo, 1, v31
	v_add_co_u32 v11, s0, s28, v11
	s_delay_alu instid0(VALU_DEP_1)
	v_add_co_ci_u32_e64 v12, s0, s29, v12, s0
	s_addc_u32 s0, s15, -1
	s_cbranch_vccz .LBB240_137
; %bb.134:
	s_and_b32 vcc_lo, exec_lo, s3
	s_cbranch_vccnz .LBB240_242
.LBB240_135:
	s_and_b32 s0, s2, s13
	s_delay_alu instid0(SALU_CYCLE_1)
	s_and_saveexec_b32 s1, s0
	s_cbranch_execnz .LBB240_360
.LBB240_136:
	s_nop 0
	s_sendmsg sendmsg(MSG_DEALLOC_VGPRS)
	s_endpgm
.LBB240_137:
	s_mov_b32 s3, exec_lo
	v_cmpx_le_u32_e64 v5, v0
	s_xor_b32 s3, exec_lo, s3
	s_cbranch_execz .LBB240_143
; %bb.138:
	s_mov_b32 s5, exec_lo
	v_cmpx_le_u32_e64 v14, v0
	s_xor_b32 s5, exec_lo, s5
	s_cbranch_execz .LBB240_140
; %bb.139:
	v_lshlrev_b32_e32 v15, 2, v0
	ds_load_b32 v17, v15
	v_add_co_u32 v15, vcc_lo, v7, v0
	v_add_co_ci_u32_e32 v16, vcc_lo, 0, v13, vcc_lo
	s_delay_alu instid0(VALU_DEP_1) | instskip(NEXT) | instid1(VALU_DEP_1)
	v_lshlrev_b64 v[15:16], 2, v[15:16]
	v_sub_co_u32 v15, vcc_lo, s14, v15
	s_delay_alu instid0(VALU_DEP_2)
	v_sub_co_ci_u32_e32 v16, vcc_lo, s15, v16, vcc_lo
	s_waitcnt lgkmcnt(0)
	global_store_b32 v[15:16], v17, off offset:-4
.LBB240_140:
	s_and_not1_saveexec_b32 s5, s5
	s_cbranch_execz .LBB240_142
; %bb.141:
	v_lshlrev_b32_e32 v15, 2, v0
	v_readfirstlane_b32 s6, v9
	v_readfirstlane_b32 s7, v10
	ds_load_b32 v16, v15
	s_waitcnt lgkmcnt(0)
	global_store_b32 v15, v16, s[6:7]
.LBB240_142:
	s_or_b32 exec_lo, exec_lo, s5
.LBB240_143:
	s_and_not1_saveexec_b32 s3, s3
	s_cbranch_execz .LBB240_145
; %bb.144:
	v_lshlrev_b32_e32 v15, 2, v0
	v_readfirstlane_b32 s6, v11
	v_readfirstlane_b32 s7, v12
	ds_load_b32 v16, v15
	s_waitcnt lgkmcnt(0)
	global_store_b32 v15, v16, s[6:7]
.LBB240_145:
	s_or_b32 exec_lo, exec_lo, s3
	v_or_b32_e32 v15, 0x100, v0
	s_mov_b32 s3, exec_lo
	s_delay_alu instid0(VALU_DEP_1)
	v_cmpx_le_u32_e64 v5, v15
	s_xor_b32 s3, exec_lo, s3
	s_cbranch_execz .LBB240_151
; %bb.146:
	s_mov_b32 s5, exec_lo
	v_cmpx_le_u32_e64 v14, v15
	s_xor_b32 s5, exec_lo, s5
	s_cbranch_execz .LBB240_148
; %bb.147:
	v_lshlrev_b32_e32 v15, 2, v0
	ds_load_b32 v17, v15 offset:1024
	v_add_co_u32 v15, vcc_lo, v7, v0
	v_add_co_ci_u32_e32 v16, vcc_lo, 0, v13, vcc_lo
	s_delay_alu instid0(VALU_DEP_1) | instskip(NEXT) | instid1(VALU_DEP_1)
	v_lshlrev_b64 v[15:16], 2, v[15:16]
	v_sub_co_u32 v15, vcc_lo, s1, v15
	s_delay_alu instid0(VALU_DEP_2)
	v_sub_co_ci_u32_e32 v16, vcc_lo, s0, v16, vcc_lo
	s_waitcnt lgkmcnt(0)
	global_store_b32 v[15:16], v17, off offset:-1024
.LBB240_148:
	s_and_not1_saveexec_b32 s5, s5
	s_cbranch_execz .LBB240_150
; %bb.149:
	v_lshlrev_b32_e32 v15, 2, v0
	v_readfirstlane_b32 s6, v9
	v_readfirstlane_b32 s7, v10
	ds_load_b32 v16, v15 offset:1024
	s_waitcnt lgkmcnt(0)
	global_store_b32 v15, v16, s[6:7] offset:1024
.LBB240_150:
	s_or_b32 exec_lo, exec_lo, s5
.LBB240_151:
	s_and_not1_saveexec_b32 s3, s3
	s_cbranch_execz .LBB240_153
; %bb.152:
	v_lshlrev_b32_e32 v15, 2, v0
	v_readfirstlane_b32 s6, v11
	v_readfirstlane_b32 s7, v12
	ds_load_b32 v16, v15 offset:1024
	s_waitcnt lgkmcnt(0)
	global_store_b32 v15, v16, s[6:7] offset:1024
.LBB240_153:
	s_or_b32 exec_lo, exec_lo, s3
	v_or_b32_e32 v15, 0x200, v0
	s_mov_b32 s3, exec_lo
	s_delay_alu instid0(VALU_DEP_1)
	v_cmpx_le_u32_e64 v5, v15
	s_xor_b32 s3, exec_lo, s3
	s_cbranch_execz .LBB240_159
; %bb.154:
	s_mov_b32 s5, exec_lo
	v_cmpx_le_u32_e64 v14, v15
	s_xor_b32 s5, exec_lo, s5
	s_cbranch_execz .LBB240_156
; %bb.155:
	v_lshlrev_b32_e32 v15, 2, v0
	ds_load_b32 v17, v15 offset:2048
	v_add_co_u32 v15, vcc_lo, v7, v0
	v_add_co_ci_u32_e32 v16, vcc_lo, 0, v13, vcc_lo
	s_delay_alu instid0(VALU_DEP_1) | instskip(NEXT) | instid1(VALU_DEP_1)
	v_lshlrev_b64 v[15:16], 2, v[15:16]
	v_sub_co_u32 v15, vcc_lo, s1, v15
	s_delay_alu instid0(VALU_DEP_2)
	v_sub_co_ci_u32_e32 v16, vcc_lo, s0, v16, vcc_lo
	s_waitcnt lgkmcnt(0)
	global_store_b32 v[15:16], v17, off offset:-2048
.LBB240_156:
	s_and_not1_saveexec_b32 s5, s5
	s_cbranch_execz .LBB240_158
; %bb.157:
	v_lshlrev_b32_e32 v15, 2, v0
	v_readfirstlane_b32 s6, v9
	v_readfirstlane_b32 s7, v10
	ds_load_b32 v16, v15 offset:2048
	s_waitcnt lgkmcnt(0)
	global_store_b32 v15, v16, s[6:7] offset:2048
.LBB240_158:
	s_or_b32 exec_lo, exec_lo, s5
.LBB240_159:
	s_and_not1_saveexec_b32 s3, s3
	s_cbranch_execz .LBB240_161
; %bb.160:
	v_lshlrev_b32_e32 v15, 2, v0
	v_readfirstlane_b32 s6, v11
	v_readfirstlane_b32 s7, v12
	ds_load_b32 v16, v15 offset:2048
	s_waitcnt lgkmcnt(0)
	global_store_b32 v15, v16, s[6:7] offset:2048
.LBB240_161:
	;; [unrolled: 47-line block ×3, first 2 shown]
	s_or_b32 exec_lo, exec_lo, s3
	v_or_b32_e32 v15, 0x400, v0
	s_mov_b32 s3, exec_lo
	s_delay_alu instid0(VALU_DEP_1)
	v_cmpx_le_u32_e64 v5, v15
	s_xor_b32 s3, exec_lo, s3
	s_cbranch_execz .LBB240_175
; %bb.170:
	s_mov_b32 s5, exec_lo
	v_cmpx_le_u32_e64 v14, v15
	s_xor_b32 s5, exec_lo, s5
	s_cbranch_execz .LBB240_172
; %bb.171:
	v_lshlrev_b32_e32 v15, 2, v0
	ds_load_b32 v17, v15 offset:4096
	v_add_co_u32 v15, vcc_lo, v7, v0
	v_add_co_ci_u32_e32 v16, vcc_lo, 0, v13, vcc_lo
	s_delay_alu instid0(VALU_DEP_1) | instskip(NEXT) | instid1(VALU_DEP_1)
	v_lshlrev_b64 v[15:16], 2, v[15:16]
	v_sub_co_u32 v15, vcc_lo, s1, v15
	s_delay_alu instid0(VALU_DEP_2)
	v_sub_co_ci_u32_e32 v16, vcc_lo, s0, v16, vcc_lo
	s_waitcnt lgkmcnt(0)
	global_store_b32 v[15:16], v17, off offset:-4096
                                        ; implicit-def: $vgpr15
.LBB240_172:
	s_and_not1_saveexec_b32 s5, s5
	s_cbranch_execz .LBB240_174
; %bb.173:
	v_lshlrev_b32_e32 v16, 2, v0
	v_lshlrev_b32_e32 v15, 2, v15
	v_readfirstlane_b32 s6, v9
	v_readfirstlane_b32 s7, v10
	ds_load_b32 v16, v16 offset:4096
	s_waitcnt lgkmcnt(0)
	global_store_b32 v15, v16, s[6:7]
.LBB240_174:
	s_or_b32 exec_lo, exec_lo, s5
                                        ; implicit-def: $vgpr15
.LBB240_175:
	s_and_not1_saveexec_b32 s3, s3
	s_cbranch_execz .LBB240_177
; %bb.176:
	v_lshlrev_b32_e32 v16, 2, v0
	v_lshlrev_b32_e32 v15, 2, v15
	v_readfirstlane_b32 s6, v11
	v_readfirstlane_b32 s7, v12
	ds_load_b32 v16, v16 offset:4096
	s_waitcnt lgkmcnt(0)
	global_store_b32 v15, v16, s[6:7]
.LBB240_177:
	s_or_b32 exec_lo, exec_lo, s3
	v_or_b32_e32 v15, 0x500, v0
	s_mov_b32 s3, exec_lo
	s_delay_alu instid0(VALU_DEP_1)
	v_cmpx_le_u32_e64 v5, v15
	s_xor_b32 s3, exec_lo, s3
	s_cbranch_execz .LBB240_183
; %bb.178:
	s_mov_b32 s5, exec_lo
	v_cmpx_le_u32_e64 v14, v15
	s_xor_b32 s5, exec_lo, s5
	s_cbranch_execz .LBB240_180
; %bb.179:
	v_lshlrev_b32_e32 v16, 2, v0
	v_add_co_u32 v15, vcc_lo, v7, v15
	ds_load_b32 v17, v16 offset:5120
	v_add_co_ci_u32_e32 v16, vcc_lo, 0, v13, vcc_lo
	s_delay_alu instid0(VALU_DEP_1) | instskip(NEXT) | instid1(VALU_DEP_1)
	v_lshlrev_b64 v[15:16], 2, v[15:16]
	v_sub_co_u32 v15, vcc_lo, s1, v15
	s_delay_alu instid0(VALU_DEP_2)
	v_sub_co_ci_u32_e32 v16, vcc_lo, s0, v16, vcc_lo
	s_waitcnt lgkmcnt(0)
	global_store_b32 v[15:16], v17, off
                                        ; implicit-def: $vgpr15
.LBB240_180:
	s_and_not1_saveexec_b32 s5, s5
	s_cbranch_execz .LBB240_182
; %bb.181:
	v_lshlrev_b32_e32 v16, 2, v0
	v_lshlrev_b32_e32 v15, 2, v15
	v_readfirstlane_b32 s6, v9
	v_readfirstlane_b32 s7, v10
	ds_load_b32 v16, v16 offset:5120
	s_waitcnt lgkmcnt(0)
	global_store_b32 v15, v16, s[6:7]
.LBB240_182:
	s_or_b32 exec_lo, exec_lo, s5
                                        ; implicit-def: $vgpr15
.LBB240_183:
	s_and_not1_saveexec_b32 s3, s3
	s_cbranch_execz .LBB240_185
; %bb.184:
	v_lshlrev_b32_e32 v16, 2, v0
	v_lshlrev_b32_e32 v15, 2, v15
	v_readfirstlane_b32 s6, v11
	v_readfirstlane_b32 s7, v12
	ds_load_b32 v16, v16 offset:5120
	s_waitcnt lgkmcnt(0)
	global_store_b32 v15, v16, s[6:7]
.LBB240_185:
	s_or_b32 exec_lo, exec_lo, s3
	v_or_b32_e32 v15, 0x600, v0
	s_mov_b32 s3, exec_lo
	s_delay_alu instid0(VALU_DEP_1)
	v_cmpx_le_u32_e64 v5, v15
	s_xor_b32 s3, exec_lo, s3
	s_cbranch_execz .LBB240_191
; %bb.186:
	s_mov_b32 s5, exec_lo
	v_cmpx_le_u32_e64 v14, v15
	s_xor_b32 s5, exec_lo, s5
	s_cbranch_execz .LBB240_188
; %bb.187:
	v_lshlrev_b32_e32 v16, 2, v0
	v_add_co_u32 v15, vcc_lo, v7, v15
	ds_load_b32 v17, v16 offset:6144
	v_add_co_ci_u32_e32 v16, vcc_lo, 0, v13, vcc_lo
	s_delay_alu instid0(VALU_DEP_1) | instskip(NEXT) | instid1(VALU_DEP_1)
	v_lshlrev_b64 v[15:16], 2, v[15:16]
	v_sub_co_u32 v15, vcc_lo, s1, v15
	s_delay_alu instid0(VALU_DEP_2)
	v_sub_co_ci_u32_e32 v16, vcc_lo, s0, v16, vcc_lo
	s_waitcnt lgkmcnt(0)
	global_store_b32 v[15:16], v17, off
                                        ; implicit-def: $vgpr15
.LBB240_188:
	s_and_not1_saveexec_b32 s5, s5
	s_cbranch_execz .LBB240_190
; %bb.189:
	v_lshlrev_b32_e32 v16, 2, v0
	v_lshlrev_b32_e32 v15, 2, v15
	v_readfirstlane_b32 s6, v9
	v_readfirstlane_b32 s7, v10
	ds_load_b32 v16, v16 offset:6144
	s_waitcnt lgkmcnt(0)
	global_store_b32 v15, v16, s[6:7]
.LBB240_190:
	s_or_b32 exec_lo, exec_lo, s5
                                        ; implicit-def: $vgpr15
.LBB240_191:
	;; [unrolled: 51-line block ×8, first 2 shown]
	s_and_not1_saveexec_b32 s3, s3
	s_cbranch_execz .LBB240_241
; %bb.240:
	v_lshlrev_b32_e32 v16, 2, v0
	v_lshlrev_b32_e32 v15, 2, v15
	v_readfirstlane_b32 s6, v11
	v_readfirstlane_b32 s7, v12
	ds_load_b32 v16, v16 offset:12288
	s_waitcnt lgkmcnt(0)
	global_store_b32 v15, v16, s[6:7]
.LBB240_241:
	s_or_b32 exec_lo, exec_lo, s3
	s_branch .LBB240_135
.LBB240_242:
	s_mov_b32 s3, exec_lo
	v_cmpx_gt_u32_e64 s4, v0
	s_cbranch_execz .LBB240_251
; %bb.243:
	s_mov_b32 s5, exec_lo
	v_cmpx_le_u32_e64 v5, v0
	s_xor_b32 s5, exec_lo, s5
	s_cbranch_execz .LBB240_249
; %bb.244:
	s_mov_b32 s6, exec_lo
	v_cmpx_le_u32_e64 v14, v0
	s_xor_b32 s6, exec_lo, s6
	s_cbranch_execz .LBB240_246
; %bb.245:
	v_lshlrev_b32_e32 v15, 2, v0
	ds_load_b32 v17, v15
	v_add_co_u32 v15, vcc_lo, v7, v0
	v_add_co_ci_u32_e32 v16, vcc_lo, 0, v13, vcc_lo
	s_delay_alu instid0(VALU_DEP_1) | instskip(NEXT) | instid1(VALU_DEP_1)
	v_lshlrev_b64 v[15:16], 2, v[15:16]
	v_sub_co_u32 v15, vcc_lo, s14, v15
	s_delay_alu instid0(VALU_DEP_2)
	v_sub_co_ci_u32_e32 v16, vcc_lo, s15, v16, vcc_lo
	s_waitcnt lgkmcnt(0)
	global_store_b32 v[15:16], v17, off offset:-4
.LBB240_246:
	s_and_not1_saveexec_b32 s6, s6
	s_cbranch_execz .LBB240_248
; %bb.247:
	v_lshlrev_b32_e32 v15, 2, v0
	v_readfirstlane_b32 s8, v9
	v_readfirstlane_b32 s9, v10
	ds_load_b32 v16, v15
	s_waitcnt lgkmcnt(0)
	global_store_b32 v15, v16, s[8:9]
.LBB240_248:
	s_or_b32 exec_lo, exec_lo, s6
.LBB240_249:
	s_and_not1_saveexec_b32 s5, s5
	s_cbranch_execz .LBB240_251
; %bb.250:
	v_lshlrev_b32_e32 v15, 2, v0
	v_readfirstlane_b32 s6, v11
	v_readfirstlane_b32 s7, v12
	ds_load_b32 v16, v15
	s_waitcnt lgkmcnt(0)
	global_store_b32 v15, v16, s[6:7]
.LBB240_251:
	s_or_b32 exec_lo, exec_lo, s3
	v_or_b32_e32 v15, 0x100, v0
	s_mov_b32 s3, exec_lo
	s_delay_alu instid0(VALU_DEP_1)
	v_cmpx_gt_u32_e64 s4, v15
	s_cbranch_execz .LBB240_260
; %bb.252:
	s_mov_b32 s5, exec_lo
	v_cmpx_le_u32_e64 v5, v15
	s_xor_b32 s5, exec_lo, s5
	s_cbranch_execz .LBB240_258
; %bb.253:
	s_mov_b32 s6, exec_lo
	v_cmpx_le_u32_e64 v14, v15
	s_xor_b32 s6, exec_lo, s6
	s_cbranch_execz .LBB240_255
; %bb.254:
	v_lshlrev_b32_e32 v15, 2, v0
	ds_load_b32 v17, v15 offset:1024
	v_add_co_u32 v15, vcc_lo, v7, v0
	v_add_co_ci_u32_e32 v16, vcc_lo, 0, v13, vcc_lo
	s_delay_alu instid0(VALU_DEP_1) | instskip(NEXT) | instid1(VALU_DEP_1)
	v_lshlrev_b64 v[15:16], 2, v[15:16]
	v_sub_co_u32 v15, vcc_lo, s1, v15
	s_delay_alu instid0(VALU_DEP_2)
	v_sub_co_ci_u32_e32 v16, vcc_lo, s0, v16, vcc_lo
	s_waitcnt lgkmcnt(0)
	global_store_b32 v[15:16], v17, off offset:-1024
.LBB240_255:
	s_and_not1_saveexec_b32 s6, s6
	s_cbranch_execz .LBB240_257
; %bb.256:
	v_lshlrev_b32_e32 v15, 2, v0
	v_readfirstlane_b32 s8, v9
	v_readfirstlane_b32 s9, v10
	ds_load_b32 v16, v15 offset:1024
	s_waitcnt lgkmcnt(0)
	global_store_b32 v15, v16, s[8:9] offset:1024
.LBB240_257:
	s_or_b32 exec_lo, exec_lo, s6
.LBB240_258:
	s_and_not1_saveexec_b32 s5, s5
	s_cbranch_execz .LBB240_260
; %bb.259:
	v_lshlrev_b32_e32 v15, 2, v0
	v_readfirstlane_b32 s6, v11
	v_readfirstlane_b32 s7, v12
	ds_load_b32 v16, v15 offset:1024
	s_waitcnt lgkmcnt(0)
	global_store_b32 v15, v16, s[6:7] offset:1024
.LBB240_260:
	s_or_b32 exec_lo, exec_lo, s3
	v_or_b32_e32 v15, 0x200, v0
	s_mov_b32 s3, exec_lo
	s_delay_alu instid0(VALU_DEP_1)
	v_cmpx_gt_u32_e64 s4, v15
	s_cbranch_execz .LBB240_269
; %bb.261:
	s_mov_b32 s5, exec_lo
	v_cmpx_le_u32_e64 v5, v15
	s_xor_b32 s5, exec_lo, s5
	s_cbranch_execz .LBB240_267
; %bb.262:
	s_mov_b32 s6, exec_lo
	v_cmpx_le_u32_e64 v14, v15
	s_xor_b32 s6, exec_lo, s6
	s_cbranch_execz .LBB240_264
; %bb.263:
	v_lshlrev_b32_e32 v15, 2, v0
	ds_load_b32 v17, v15 offset:2048
	v_add_co_u32 v15, vcc_lo, v7, v0
	v_add_co_ci_u32_e32 v16, vcc_lo, 0, v13, vcc_lo
	s_delay_alu instid0(VALU_DEP_1) | instskip(NEXT) | instid1(VALU_DEP_1)
	v_lshlrev_b64 v[15:16], 2, v[15:16]
	v_sub_co_u32 v15, vcc_lo, s1, v15
	s_delay_alu instid0(VALU_DEP_2)
	v_sub_co_ci_u32_e32 v16, vcc_lo, s0, v16, vcc_lo
	s_waitcnt lgkmcnt(0)
	global_store_b32 v[15:16], v17, off offset:-2048
.LBB240_264:
	s_and_not1_saveexec_b32 s6, s6
	s_cbranch_execz .LBB240_266
; %bb.265:
	v_lshlrev_b32_e32 v15, 2, v0
	v_readfirstlane_b32 s8, v9
	v_readfirstlane_b32 s9, v10
	ds_load_b32 v16, v15 offset:2048
	s_waitcnt lgkmcnt(0)
	global_store_b32 v15, v16, s[8:9] offset:2048
.LBB240_266:
	s_or_b32 exec_lo, exec_lo, s6
.LBB240_267:
	s_and_not1_saveexec_b32 s5, s5
	s_cbranch_execz .LBB240_269
; %bb.268:
	v_lshlrev_b32_e32 v15, 2, v0
	v_readfirstlane_b32 s6, v11
	v_readfirstlane_b32 s7, v12
	ds_load_b32 v16, v15 offset:2048
	s_waitcnt lgkmcnt(0)
	global_store_b32 v15, v16, s[6:7] offset:2048
.LBB240_269:
	;; [unrolled: 51-line block ×3, first 2 shown]
	s_or_b32 exec_lo, exec_lo, s3
	v_or_b32_e32 v15, 0x400, v0
	s_mov_b32 s3, exec_lo
	s_delay_alu instid0(VALU_DEP_1)
	v_cmpx_gt_u32_e64 s4, v15
	s_cbranch_execz .LBB240_287
; %bb.279:
	s_mov_b32 s5, exec_lo
	v_cmpx_le_u32_e64 v5, v15
	s_xor_b32 s5, exec_lo, s5
	s_cbranch_execz .LBB240_285
; %bb.280:
	s_mov_b32 s6, exec_lo
	v_cmpx_le_u32_e64 v14, v15
	s_xor_b32 s6, exec_lo, s6
	s_cbranch_execz .LBB240_282
; %bb.281:
	v_lshlrev_b32_e32 v15, 2, v0
	ds_load_b32 v17, v15 offset:4096
	v_add_co_u32 v15, vcc_lo, v7, v0
	v_add_co_ci_u32_e32 v16, vcc_lo, 0, v13, vcc_lo
	s_delay_alu instid0(VALU_DEP_1) | instskip(NEXT) | instid1(VALU_DEP_1)
	v_lshlrev_b64 v[15:16], 2, v[15:16]
	v_sub_co_u32 v15, vcc_lo, s1, v15
	s_delay_alu instid0(VALU_DEP_2)
	v_sub_co_ci_u32_e32 v16, vcc_lo, s0, v16, vcc_lo
	s_waitcnt lgkmcnt(0)
	global_store_b32 v[15:16], v17, off offset:-4096
                                        ; implicit-def: $vgpr15
.LBB240_282:
	s_and_not1_saveexec_b32 s6, s6
	s_cbranch_execz .LBB240_284
; %bb.283:
	v_lshlrev_b32_e32 v16, 2, v0
	v_lshlrev_b32_e32 v15, 2, v15
	v_readfirstlane_b32 s8, v9
	v_readfirstlane_b32 s9, v10
	ds_load_b32 v16, v16 offset:4096
	s_waitcnt lgkmcnt(0)
	global_store_b32 v15, v16, s[8:9]
.LBB240_284:
	s_or_b32 exec_lo, exec_lo, s6
                                        ; implicit-def: $vgpr15
.LBB240_285:
	s_and_not1_saveexec_b32 s5, s5
	s_cbranch_execz .LBB240_287
; %bb.286:
	v_lshlrev_b32_e32 v16, 2, v0
	v_lshlrev_b32_e32 v15, 2, v15
	v_readfirstlane_b32 s6, v11
	v_readfirstlane_b32 s7, v12
	ds_load_b32 v16, v16 offset:4096
	s_waitcnt lgkmcnt(0)
	global_store_b32 v15, v16, s[6:7]
.LBB240_287:
	s_or_b32 exec_lo, exec_lo, s3
	v_or_b32_e32 v15, 0x500, v0
	s_mov_b32 s3, exec_lo
	s_delay_alu instid0(VALU_DEP_1)
	v_cmpx_gt_u32_e64 s4, v15
	s_cbranch_execz .LBB240_296
; %bb.288:
	s_mov_b32 s5, exec_lo
	v_cmpx_le_u32_e64 v5, v15
	s_xor_b32 s5, exec_lo, s5
	s_cbranch_execz .LBB240_294
; %bb.289:
	s_mov_b32 s6, exec_lo
	v_cmpx_le_u32_e64 v14, v15
	s_xor_b32 s6, exec_lo, s6
	s_cbranch_execz .LBB240_291
; %bb.290:
	v_lshlrev_b32_e32 v16, 2, v0
	v_add_co_u32 v15, vcc_lo, v7, v15
	ds_load_b32 v17, v16 offset:5120
	v_add_co_ci_u32_e32 v16, vcc_lo, 0, v13, vcc_lo
	s_delay_alu instid0(VALU_DEP_1) | instskip(NEXT) | instid1(VALU_DEP_1)
	v_lshlrev_b64 v[15:16], 2, v[15:16]
	v_sub_co_u32 v15, vcc_lo, s1, v15
	s_delay_alu instid0(VALU_DEP_2)
	v_sub_co_ci_u32_e32 v16, vcc_lo, s0, v16, vcc_lo
	s_waitcnt lgkmcnt(0)
	global_store_b32 v[15:16], v17, off
                                        ; implicit-def: $vgpr15
.LBB240_291:
	s_and_not1_saveexec_b32 s6, s6
	s_cbranch_execz .LBB240_293
; %bb.292:
	v_lshlrev_b32_e32 v16, 2, v0
	v_lshlrev_b32_e32 v15, 2, v15
	v_readfirstlane_b32 s8, v9
	v_readfirstlane_b32 s9, v10
	ds_load_b32 v16, v16 offset:5120
	s_waitcnt lgkmcnt(0)
	global_store_b32 v15, v16, s[8:9]
.LBB240_293:
	s_or_b32 exec_lo, exec_lo, s6
                                        ; implicit-def: $vgpr15
.LBB240_294:
	s_and_not1_saveexec_b32 s5, s5
	s_cbranch_execz .LBB240_296
; %bb.295:
	v_lshlrev_b32_e32 v16, 2, v0
	v_lshlrev_b32_e32 v15, 2, v15
	v_readfirstlane_b32 s6, v11
	v_readfirstlane_b32 s7, v12
	ds_load_b32 v16, v16 offset:5120
	s_waitcnt lgkmcnt(0)
	global_store_b32 v15, v16, s[6:7]
.LBB240_296:
	s_or_b32 exec_lo, exec_lo, s3
	v_or_b32_e32 v15, 0x600, v0
	s_mov_b32 s3, exec_lo
	s_delay_alu instid0(VALU_DEP_1)
	v_cmpx_gt_u32_e64 s4, v15
	s_cbranch_execz .LBB240_305
; %bb.297:
	s_mov_b32 s5, exec_lo
	v_cmpx_le_u32_e64 v5, v15
	s_xor_b32 s5, exec_lo, s5
	s_cbranch_execz .LBB240_303
; %bb.298:
	s_mov_b32 s6, exec_lo
	v_cmpx_le_u32_e64 v14, v15
	s_xor_b32 s6, exec_lo, s6
	s_cbranch_execz .LBB240_300
; %bb.299:
	v_lshlrev_b32_e32 v16, 2, v0
	v_add_co_u32 v15, vcc_lo, v7, v15
	ds_load_b32 v17, v16 offset:6144
	v_add_co_ci_u32_e32 v16, vcc_lo, 0, v13, vcc_lo
	s_delay_alu instid0(VALU_DEP_1) | instskip(NEXT) | instid1(VALU_DEP_1)
	v_lshlrev_b64 v[15:16], 2, v[15:16]
	v_sub_co_u32 v15, vcc_lo, s1, v15
	s_delay_alu instid0(VALU_DEP_2)
	v_sub_co_ci_u32_e32 v16, vcc_lo, s0, v16, vcc_lo
	s_waitcnt lgkmcnt(0)
	global_store_b32 v[15:16], v17, off
                                        ; implicit-def: $vgpr15
.LBB240_300:
	s_and_not1_saveexec_b32 s6, s6
	s_cbranch_execz .LBB240_302
; %bb.301:
	v_lshlrev_b32_e32 v16, 2, v0
	v_lshlrev_b32_e32 v15, 2, v15
	v_readfirstlane_b32 s8, v9
	v_readfirstlane_b32 s9, v10
	ds_load_b32 v16, v16 offset:6144
	s_waitcnt lgkmcnt(0)
	global_store_b32 v15, v16, s[8:9]
.LBB240_302:
	s_or_b32 exec_lo, exec_lo, s6
                                        ; implicit-def: $vgpr15
.LBB240_303:
	s_and_not1_saveexec_b32 s5, s5
	s_cbranch_execz .LBB240_305
; %bb.304:
	v_lshlrev_b32_e32 v16, 2, v0
	v_lshlrev_b32_e32 v15, 2, v15
	v_readfirstlane_b32 s6, v11
	v_readfirstlane_b32 s7, v12
	ds_load_b32 v16, v16 offset:6144
	s_waitcnt lgkmcnt(0)
	global_store_b32 v15, v16, s[6:7]
.LBB240_305:
	;; [unrolled: 55-line block ×7, first 2 shown]
	s_or_b32 exec_lo, exec_lo, s3
	v_or_b32_e32 v15, 0xc00, v0
	s_mov_b32 s3, exec_lo
	s_delay_alu instid0(VALU_DEP_1)
	v_cmpx_gt_u32_e64 s4, v15
	s_cbranch_execz .LBB240_359
; %bb.351:
	s_mov_b32 s4, exec_lo
	v_cmpx_le_u32_e64 v5, v15
	s_xor_b32 s4, exec_lo, s4
	s_cbranch_execz .LBB240_357
; %bb.352:
	s_mov_b32 s5, exec_lo
	v_cmpx_le_u32_e64 v14, v15
	s_xor_b32 s5, exec_lo, s5
	s_cbranch_execz .LBB240_354
; %bb.353:
	v_lshlrev_b32_e32 v0, 2, v0
	v_add_co_u32 v9, vcc_lo, v7, v15
	v_add_co_ci_u32_e32 v10, vcc_lo, 0, v13, vcc_lo
	ds_load_b32 v0, v0 offset:12288
                                        ; implicit-def: $vgpr15
	v_lshlrev_b64 v[9:10], 2, v[9:10]
	s_delay_alu instid0(VALU_DEP_1) | instskip(NEXT) | instid1(VALU_DEP_2)
	v_sub_co_u32 v9, vcc_lo, s1, v9
	v_sub_co_ci_u32_e32 v10, vcc_lo, s0, v10, vcc_lo
	s_waitcnt lgkmcnt(0)
	global_store_b32 v[9:10], v0, off
                                        ; implicit-def: $vgpr0
                                        ; implicit-def: $vgpr9_vgpr10
.LBB240_354:
	s_and_not1_saveexec_b32 s0, s5
	s_cbranch_execz .LBB240_356
; %bb.355:
	v_lshlrev_b32_e32 v0, 2, v0
	v_lshlrev_b32_e32 v7, 2, v15
	v_readfirstlane_b32 s6, v9
	v_readfirstlane_b32 s7, v10
	ds_load_b32 v0, v0 offset:12288
	s_waitcnt lgkmcnt(0)
	global_store_b32 v7, v0, s[6:7]
.LBB240_356:
	s_or_b32 exec_lo, exec_lo, s0
                                        ; implicit-def: $vgpr0
                                        ; implicit-def: $vgpr15
                                        ; implicit-def: $vgpr11_vgpr12
.LBB240_357:
	s_and_not1_saveexec_b32 s0, s4
	s_cbranch_execz .LBB240_359
; %bb.358:
	v_lshlrev_b32_e32 v0, 2, v0
	v_lshlrev_b32_e32 v7, 2, v15
	v_readfirstlane_b32 s0, v11
	v_readfirstlane_b32 s1, v12
	ds_load_b32 v0, v0 offset:12288
	s_waitcnt lgkmcnt(0)
	global_store_b32 v7, v0, s[0:1]
.LBB240_359:
	s_or_b32 exec_lo, exec_lo, s3
	s_and_b32 s0, s2, s13
	s_delay_alu instid0(SALU_CYCLE_1)
	s_and_saveexec_b32 s1, s0
	s_cbranch_execz .LBB240_136
.LBB240_360:
	v_add_co_u32 v3, vcc_lo, v3, v6
	v_add_co_ci_u32_e32 v4, vcc_lo, 0, v4, vcc_lo
	v_add_co_u32 v0, vcc_lo, v1, v5
	v_add_co_ci_u32_e32 v1, vcc_lo, 0, v2, vcc_lo
	s_delay_alu instid0(VALU_DEP_4)
	v_add_co_u32 v2, vcc_lo, v3, v8
	v_mov_b32_e32 v7, 0
	v_add_co_ci_u32_e32 v3, vcc_lo, 0, v4, vcc_lo
	global_store_b128 v7, v[0:3], s[24:25]
	s_nop 0
	s_sendmsg sendmsg(MSG_DEALLOC_VGPRS)
	s_endpgm
.LBB240_361:
	v_add_nc_u32_e32 v7, s6, v27
	s_add_i32 s8, s26, 32
	s_mov_b32 s9, 0
	v_dual_mov_b32 v9, 0 :: v_dual_add_nc_u32 v6, v26, v5
	s_lshl_b64 s[8:9], s[8:9], 4
	v_and_b32_e32 v24, 0xff0000, v7
	s_add_u32 s8, s36, s8
	s_addc_u32 s9, s37, s9
	v_and_b32_e32 v8, 0xff000000, v7
	s_delay_alu instid0(VALU_DEP_1) | instskip(SKIP_2) | instid1(VALU_DEP_1)
	v_or_b32_e32 v24, v24, v8
	v_dual_mov_b32 v8, 2 :: v_dual_and_b32 v25, 0xff00, v7
	v_and_b32_e32 v7, 0xff, v7
	v_or3_b32 v7, v24, v25, v7
	v_dual_mov_b32 v25, s9 :: v_dual_mov_b32 v24, s8
	;;#ASMSTART
	global_store_dwordx4 v[24:25], v[6:9] off	
s_waitcnt vmcnt(0)
	;;#ASMEND
	s_or_b32 exec_lo, exec_lo, s7
	s_and_saveexec_b32 s7, s3
	s_cbranch_execz .LBB240_120
.LBB240_362:
	v_mov_b32_e32 v6, s6
	v_add_nc_u32_e64 v7, 0x3400, 0
	ds_store_2addr_b32 v7, v5, v6 offset1:2
	ds_store_2addr_b32 v7, v26, v27 offset0:4 offset1:6
	s_or_b32 exec_lo, exec_lo, s7
	s_delay_alu instid0(SALU_CYCLE_1)
	s_and_b32 exec_lo, exec_lo, s2
	s_cbranch_execnz .LBB240_121
	s_branch .LBB240_122
	.section	.rodata,"a",@progbits
	.p2align	6, 0x0
	.amdhsa_kernel _ZN7rocprim17ROCPRIM_400000_NS6detail17trampoline_kernelINS0_13select_configILj256ELj13ELNS0_17block_load_methodE3ELS4_3ELS4_3ELNS0_20block_scan_algorithmE0ELj4294967295EEENS1_25partition_config_selectorILNS1_17partition_subalgoE4EjNS0_10empty_typeEbEEZZNS1_14partition_implILS8_4ELb0ES6_15HIP_vector_typeIjLj2EENS0_17counting_iteratorIjlEEPS9_SG_NS0_5tupleIJPjSI_NS0_16reverse_iteratorISI_EEEEENSH_IJSG_SG_SG_EEES9_SI_JZNS1_25segmented_radix_sort_implINS0_14default_configELb1EPKaPaPKlPlN2at6native12_GLOBAL__N_18offset_tEEE10hipError_tPvRmT1_PNSt15iterator_traitsIS12_E10value_typeET2_T3_PNS13_IS18_E10value_typeET4_jRbjT5_S1E_jjP12ihipStream_tbEUljE_ZNSN_ISO_Lb1ESQ_SR_ST_SU_SY_EESZ_S10_S11_S12_S16_S17_S18_S1B_S1C_jS1D_jS1E_S1E_jjS1G_bEUljE0_EEESZ_S10_S11_S18_S1C_S1E_T6_T7_T9_mT8_S1G_bDpT10_ENKUlT_T0_E_clISt17integral_constantIbLb1EES1U_EEDaS1P_S1Q_EUlS1P_E_NS1_11comp_targetILNS1_3genE9ELNS1_11target_archE1100ELNS1_3gpuE3ELNS1_3repE0EEENS1_30default_config_static_selectorELNS0_4arch9wavefront6targetE0EEEvS12_
		.amdhsa_group_segment_fixed_size 13340
		.amdhsa_private_segment_fixed_size 0
		.amdhsa_kernarg_size 184
		.amdhsa_user_sgpr_count 15
		.amdhsa_user_sgpr_dispatch_ptr 0
		.amdhsa_user_sgpr_queue_ptr 0
		.amdhsa_user_sgpr_kernarg_segment_ptr 1
		.amdhsa_user_sgpr_dispatch_id 0
		.amdhsa_user_sgpr_private_segment_size 0
		.amdhsa_wavefront_size32 1
		.amdhsa_uses_dynamic_stack 0
		.amdhsa_enable_private_segment 0
		.amdhsa_system_sgpr_workgroup_id_x 1
		.amdhsa_system_sgpr_workgroup_id_y 0
		.amdhsa_system_sgpr_workgroup_id_z 0
		.amdhsa_system_sgpr_workgroup_info 0
		.amdhsa_system_vgpr_workitem_id 0
		.amdhsa_next_free_vgpr 103
		.amdhsa_next_free_sgpr 55
		.amdhsa_reserve_vcc 1
		.amdhsa_float_round_mode_32 0
		.amdhsa_float_round_mode_16_64 0
		.amdhsa_float_denorm_mode_32 3
		.amdhsa_float_denorm_mode_16_64 3
		.amdhsa_dx10_clamp 1
		.amdhsa_ieee_mode 1
		.amdhsa_fp16_overflow 0
		.amdhsa_workgroup_processor_mode 1
		.amdhsa_memory_ordered 1
		.amdhsa_forward_progress 0
		.amdhsa_shared_vgpr_count 0
		.amdhsa_exception_fp_ieee_invalid_op 0
		.amdhsa_exception_fp_denorm_src 0
		.amdhsa_exception_fp_ieee_div_zero 0
		.amdhsa_exception_fp_ieee_overflow 0
		.amdhsa_exception_fp_ieee_underflow 0
		.amdhsa_exception_fp_ieee_inexact 0
		.amdhsa_exception_int_div_zero 0
	.end_amdhsa_kernel
	.section	.text._ZN7rocprim17ROCPRIM_400000_NS6detail17trampoline_kernelINS0_13select_configILj256ELj13ELNS0_17block_load_methodE3ELS4_3ELS4_3ELNS0_20block_scan_algorithmE0ELj4294967295EEENS1_25partition_config_selectorILNS1_17partition_subalgoE4EjNS0_10empty_typeEbEEZZNS1_14partition_implILS8_4ELb0ES6_15HIP_vector_typeIjLj2EENS0_17counting_iteratorIjlEEPS9_SG_NS0_5tupleIJPjSI_NS0_16reverse_iteratorISI_EEEEENSH_IJSG_SG_SG_EEES9_SI_JZNS1_25segmented_radix_sort_implINS0_14default_configELb1EPKaPaPKlPlN2at6native12_GLOBAL__N_18offset_tEEE10hipError_tPvRmT1_PNSt15iterator_traitsIS12_E10value_typeET2_T3_PNS13_IS18_E10value_typeET4_jRbjT5_S1E_jjP12ihipStream_tbEUljE_ZNSN_ISO_Lb1ESQ_SR_ST_SU_SY_EESZ_S10_S11_S12_S16_S17_S18_S1B_S1C_jS1D_jS1E_S1E_jjS1G_bEUljE0_EEESZ_S10_S11_S18_S1C_S1E_T6_T7_T9_mT8_S1G_bDpT10_ENKUlT_T0_E_clISt17integral_constantIbLb1EES1U_EEDaS1P_S1Q_EUlS1P_E_NS1_11comp_targetILNS1_3genE9ELNS1_11target_archE1100ELNS1_3gpuE3ELNS1_3repE0EEENS1_30default_config_static_selectorELNS0_4arch9wavefront6targetE0EEEvS12_,"axG",@progbits,_ZN7rocprim17ROCPRIM_400000_NS6detail17trampoline_kernelINS0_13select_configILj256ELj13ELNS0_17block_load_methodE3ELS4_3ELS4_3ELNS0_20block_scan_algorithmE0ELj4294967295EEENS1_25partition_config_selectorILNS1_17partition_subalgoE4EjNS0_10empty_typeEbEEZZNS1_14partition_implILS8_4ELb0ES6_15HIP_vector_typeIjLj2EENS0_17counting_iteratorIjlEEPS9_SG_NS0_5tupleIJPjSI_NS0_16reverse_iteratorISI_EEEEENSH_IJSG_SG_SG_EEES9_SI_JZNS1_25segmented_radix_sort_implINS0_14default_configELb1EPKaPaPKlPlN2at6native12_GLOBAL__N_18offset_tEEE10hipError_tPvRmT1_PNSt15iterator_traitsIS12_E10value_typeET2_T3_PNS13_IS18_E10value_typeET4_jRbjT5_S1E_jjP12ihipStream_tbEUljE_ZNSN_ISO_Lb1ESQ_SR_ST_SU_SY_EESZ_S10_S11_S12_S16_S17_S18_S1B_S1C_jS1D_jS1E_S1E_jjS1G_bEUljE0_EEESZ_S10_S11_S18_S1C_S1E_T6_T7_T9_mT8_S1G_bDpT10_ENKUlT_T0_E_clISt17integral_constantIbLb1EES1U_EEDaS1P_S1Q_EUlS1P_E_NS1_11comp_targetILNS1_3genE9ELNS1_11target_archE1100ELNS1_3gpuE3ELNS1_3repE0EEENS1_30default_config_static_selectorELNS0_4arch9wavefront6targetE0EEEvS12_,comdat
.Lfunc_end240:
	.size	_ZN7rocprim17ROCPRIM_400000_NS6detail17trampoline_kernelINS0_13select_configILj256ELj13ELNS0_17block_load_methodE3ELS4_3ELS4_3ELNS0_20block_scan_algorithmE0ELj4294967295EEENS1_25partition_config_selectorILNS1_17partition_subalgoE4EjNS0_10empty_typeEbEEZZNS1_14partition_implILS8_4ELb0ES6_15HIP_vector_typeIjLj2EENS0_17counting_iteratorIjlEEPS9_SG_NS0_5tupleIJPjSI_NS0_16reverse_iteratorISI_EEEEENSH_IJSG_SG_SG_EEES9_SI_JZNS1_25segmented_radix_sort_implINS0_14default_configELb1EPKaPaPKlPlN2at6native12_GLOBAL__N_18offset_tEEE10hipError_tPvRmT1_PNSt15iterator_traitsIS12_E10value_typeET2_T3_PNS13_IS18_E10value_typeET4_jRbjT5_S1E_jjP12ihipStream_tbEUljE_ZNSN_ISO_Lb1ESQ_SR_ST_SU_SY_EESZ_S10_S11_S12_S16_S17_S18_S1B_S1C_jS1D_jS1E_S1E_jjS1G_bEUljE0_EEESZ_S10_S11_S18_S1C_S1E_T6_T7_T9_mT8_S1G_bDpT10_ENKUlT_T0_E_clISt17integral_constantIbLb1EES1U_EEDaS1P_S1Q_EUlS1P_E_NS1_11comp_targetILNS1_3genE9ELNS1_11target_archE1100ELNS1_3gpuE3ELNS1_3repE0EEENS1_30default_config_static_selectorELNS0_4arch9wavefront6targetE0EEEvS12_, .Lfunc_end240-_ZN7rocprim17ROCPRIM_400000_NS6detail17trampoline_kernelINS0_13select_configILj256ELj13ELNS0_17block_load_methodE3ELS4_3ELS4_3ELNS0_20block_scan_algorithmE0ELj4294967295EEENS1_25partition_config_selectorILNS1_17partition_subalgoE4EjNS0_10empty_typeEbEEZZNS1_14partition_implILS8_4ELb0ES6_15HIP_vector_typeIjLj2EENS0_17counting_iteratorIjlEEPS9_SG_NS0_5tupleIJPjSI_NS0_16reverse_iteratorISI_EEEEENSH_IJSG_SG_SG_EEES9_SI_JZNS1_25segmented_radix_sort_implINS0_14default_configELb1EPKaPaPKlPlN2at6native12_GLOBAL__N_18offset_tEEE10hipError_tPvRmT1_PNSt15iterator_traitsIS12_E10value_typeET2_T3_PNS13_IS18_E10value_typeET4_jRbjT5_S1E_jjP12ihipStream_tbEUljE_ZNSN_ISO_Lb1ESQ_SR_ST_SU_SY_EESZ_S10_S11_S12_S16_S17_S18_S1B_S1C_jS1D_jS1E_S1E_jjS1G_bEUljE0_EEESZ_S10_S11_S18_S1C_S1E_T6_T7_T9_mT8_S1G_bDpT10_ENKUlT_T0_E_clISt17integral_constantIbLb1EES1U_EEDaS1P_S1Q_EUlS1P_E_NS1_11comp_targetILNS1_3genE9ELNS1_11target_archE1100ELNS1_3gpuE3ELNS1_3repE0EEENS1_30default_config_static_selectorELNS0_4arch9wavefront6targetE0EEEvS12_
                                        ; -- End function
	.section	.AMDGPU.csdata,"",@progbits
; Kernel info:
; codeLenInByte = 15160
; NumSgprs: 57
; NumVgprs: 103
; ScratchSize: 0
; MemoryBound: 0
; FloatMode: 240
; IeeeMode: 1
; LDSByteSize: 13340 bytes/workgroup (compile time only)
; SGPRBlocks: 7
; VGPRBlocks: 12
; NumSGPRsForWavesPerEU: 57
; NumVGPRsForWavesPerEU: 103
; Occupancy: 12
; WaveLimiterHint : 1
; COMPUTE_PGM_RSRC2:SCRATCH_EN: 0
; COMPUTE_PGM_RSRC2:USER_SGPR: 15
; COMPUTE_PGM_RSRC2:TRAP_HANDLER: 0
; COMPUTE_PGM_RSRC2:TGID_X_EN: 1
; COMPUTE_PGM_RSRC2:TGID_Y_EN: 0
; COMPUTE_PGM_RSRC2:TGID_Z_EN: 0
; COMPUTE_PGM_RSRC2:TIDIG_COMP_CNT: 0
	.section	.text._ZN7rocprim17ROCPRIM_400000_NS6detail17trampoline_kernelINS0_13select_configILj256ELj13ELNS0_17block_load_methodE3ELS4_3ELS4_3ELNS0_20block_scan_algorithmE0ELj4294967295EEENS1_25partition_config_selectorILNS1_17partition_subalgoE4EjNS0_10empty_typeEbEEZZNS1_14partition_implILS8_4ELb0ES6_15HIP_vector_typeIjLj2EENS0_17counting_iteratorIjlEEPS9_SG_NS0_5tupleIJPjSI_NS0_16reverse_iteratorISI_EEEEENSH_IJSG_SG_SG_EEES9_SI_JZNS1_25segmented_radix_sort_implINS0_14default_configELb1EPKaPaPKlPlN2at6native12_GLOBAL__N_18offset_tEEE10hipError_tPvRmT1_PNSt15iterator_traitsIS12_E10value_typeET2_T3_PNS13_IS18_E10value_typeET4_jRbjT5_S1E_jjP12ihipStream_tbEUljE_ZNSN_ISO_Lb1ESQ_SR_ST_SU_SY_EESZ_S10_S11_S12_S16_S17_S18_S1B_S1C_jS1D_jS1E_S1E_jjS1G_bEUljE0_EEESZ_S10_S11_S18_S1C_S1E_T6_T7_T9_mT8_S1G_bDpT10_ENKUlT_T0_E_clISt17integral_constantIbLb1EES1U_EEDaS1P_S1Q_EUlS1P_E_NS1_11comp_targetILNS1_3genE8ELNS1_11target_archE1030ELNS1_3gpuE2ELNS1_3repE0EEENS1_30default_config_static_selectorELNS0_4arch9wavefront6targetE0EEEvS12_,"axG",@progbits,_ZN7rocprim17ROCPRIM_400000_NS6detail17trampoline_kernelINS0_13select_configILj256ELj13ELNS0_17block_load_methodE3ELS4_3ELS4_3ELNS0_20block_scan_algorithmE0ELj4294967295EEENS1_25partition_config_selectorILNS1_17partition_subalgoE4EjNS0_10empty_typeEbEEZZNS1_14partition_implILS8_4ELb0ES6_15HIP_vector_typeIjLj2EENS0_17counting_iteratorIjlEEPS9_SG_NS0_5tupleIJPjSI_NS0_16reverse_iteratorISI_EEEEENSH_IJSG_SG_SG_EEES9_SI_JZNS1_25segmented_radix_sort_implINS0_14default_configELb1EPKaPaPKlPlN2at6native12_GLOBAL__N_18offset_tEEE10hipError_tPvRmT1_PNSt15iterator_traitsIS12_E10value_typeET2_T3_PNS13_IS18_E10value_typeET4_jRbjT5_S1E_jjP12ihipStream_tbEUljE_ZNSN_ISO_Lb1ESQ_SR_ST_SU_SY_EESZ_S10_S11_S12_S16_S17_S18_S1B_S1C_jS1D_jS1E_S1E_jjS1G_bEUljE0_EEESZ_S10_S11_S18_S1C_S1E_T6_T7_T9_mT8_S1G_bDpT10_ENKUlT_T0_E_clISt17integral_constantIbLb1EES1U_EEDaS1P_S1Q_EUlS1P_E_NS1_11comp_targetILNS1_3genE8ELNS1_11target_archE1030ELNS1_3gpuE2ELNS1_3repE0EEENS1_30default_config_static_selectorELNS0_4arch9wavefront6targetE0EEEvS12_,comdat
	.globl	_ZN7rocprim17ROCPRIM_400000_NS6detail17trampoline_kernelINS0_13select_configILj256ELj13ELNS0_17block_load_methodE3ELS4_3ELS4_3ELNS0_20block_scan_algorithmE0ELj4294967295EEENS1_25partition_config_selectorILNS1_17partition_subalgoE4EjNS0_10empty_typeEbEEZZNS1_14partition_implILS8_4ELb0ES6_15HIP_vector_typeIjLj2EENS0_17counting_iteratorIjlEEPS9_SG_NS0_5tupleIJPjSI_NS0_16reverse_iteratorISI_EEEEENSH_IJSG_SG_SG_EEES9_SI_JZNS1_25segmented_radix_sort_implINS0_14default_configELb1EPKaPaPKlPlN2at6native12_GLOBAL__N_18offset_tEEE10hipError_tPvRmT1_PNSt15iterator_traitsIS12_E10value_typeET2_T3_PNS13_IS18_E10value_typeET4_jRbjT5_S1E_jjP12ihipStream_tbEUljE_ZNSN_ISO_Lb1ESQ_SR_ST_SU_SY_EESZ_S10_S11_S12_S16_S17_S18_S1B_S1C_jS1D_jS1E_S1E_jjS1G_bEUljE0_EEESZ_S10_S11_S18_S1C_S1E_T6_T7_T9_mT8_S1G_bDpT10_ENKUlT_T0_E_clISt17integral_constantIbLb1EES1U_EEDaS1P_S1Q_EUlS1P_E_NS1_11comp_targetILNS1_3genE8ELNS1_11target_archE1030ELNS1_3gpuE2ELNS1_3repE0EEENS1_30default_config_static_selectorELNS0_4arch9wavefront6targetE0EEEvS12_ ; -- Begin function _ZN7rocprim17ROCPRIM_400000_NS6detail17trampoline_kernelINS0_13select_configILj256ELj13ELNS0_17block_load_methodE3ELS4_3ELS4_3ELNS0_20block_scan_algorithmE0ELj4294967295EEENS1_25partition_config_selectorILNS1_17partition_subalgoE4EjNS0_10empty_typeEbEEZZNS1_14partition_implILS8_4ELb0ES6_15HIP_vector_typeIjLj2EENS0_17counting_iteratorIjlEEPS9_SG_NS0_5tupleIJPjSI_NS0_16reverse_iteratorISI_EEEEENSH_IJSG_SG_SG_EEES9_SI_JZNS1_25segmented_radix_sort_implINS0_14default_configELb1EPKaPaPKlPlN2at6native12_GLOBAL__N_18offset_tEEE10hipError_tPvRmT1_PNSt15iterator_traitsIS12_E10value_typeET2_T3_PNS13_IS18_E10value_typeET4_jRbjT5_S1E_jjP12ihipStream_tbEUljE_ZNSN_ISO_Lb1ESQ_SR_ST_SU_SY_EESZ_S10_S11_S12_S16_S17_S18_S1B_S1C_jS1D_jS1E_S1E_jjS1G_bEUljE0_EEESZ_S10_S11_S18_S1C_S1E_T6_T7_T9_mT8_S1G_bDpT10_ENKUlT_T0_E_clISt17integral_constantIbLb1EES1U_EEDaS1P_S1Q_EUlS1P_E_NS1_11comp_targetILNS1_3genE8ELNS1_11target_archE1030ELNS1_3gpuE2ELNS1_3repE0EEENS1_30default_config_static_selectorELNS0_4arch9wavefront6targetE0EEEvS12_
	.p2align	8
	.type	_ZN7rocprim17ROCPRIM_400000_NS6detail17trampoline_kernelINS0_13select_configILj256ELj13ELNS0_17block_load_methodE3ELS4_3ELS4_3ELNS0_20block_scan_algorithmE0ELj4294967295EEENS1_25partition_config_selectorILNS1_17partition_subalgoE4EjNS0_10empty_typeEbEEZZNS1_14partition_implILS8_4ELb0ES6_15HIP_vector_typeIjLj2EENS0_17counting_iteratorIjlEEPS9_SG_NS0_5tupleIJPjSI_NS0_16reverse_iteratorISI_EEEEENSH_IJSG_SG_SG_EEES9_SI_JZNS1_25segmented_radix_sort_implINS0_14default_configELb1EPKaPaPKlPlN2at6native12_GLOBAL__N_18offset_tEEE10hipError_tPvRmT1_PNSt15iterator_traitsIS12_E10value_typeET2_T3_PNS13_IS18_E10value_typeET4_jRbjT5_S1E_jjP12ihipStream_tbEUljE_ZNSN_ISO_Lb1ESQ_SR_ST_SU_SY_EESZ_S10_S11_S12_S16_S17_S18_S1B_S1C_jS1D_jS1E_S1E_jjS1G_bEUljE0_EEESZ_S10_S11_S18_S1C_S1E_T6_T7_T9_mT8_S1G_bDpT10_ENKUlT_T0_E_clISt17integral_constantIbLb1EES1U_EEDaS1P_S1Q_EUlS1P_E_NS1_11comp_targetILNS1_3genE8ELNS1_11target_archE1030ELNS1_3gpuE2ELNS1_3repE0EEENS1_30default_config_static_selectorELNS0_4arch9wavefront6targetE0EEEvS12_,@function
_ZN7rocprim17ROCPRIM_400000_NS6detail17trampoline_kernelINS0_13select_configILj256ELj13ELNS0_17block_load_methodE3ELS4_3ELS4_3ELNS0_20block_scan_algorithmE0ELj4294967295EEENS1_25partition_config_selectorILNS1_17partition_subalgoE4EjNS0_10empty_typeEbEEZZNS1_14partition_implILS8_4ELb0ES6_15HIP_vector_typeIjLj2EENS0_17counting_iteratorIjlEEPS9_SG_NS0_5tupleIJPjSI_NS0_16reverse_iteratorISI_EEEEENSH_IJSG_SG_SG_EEES9_SI_JZNS1_25segmented_radix_sort_implINS0_14default_configELb1EPKaPaPKlPlN2at6native12_GLOBAL__N_18offset_tEEE10hipError_tPvRmT1_PNSt15iterator_traitsIS12_E10value_typeET2_T3_PNS13_IS18_E10value_typeET4_jRbjT5_S1E_jjP12ihipStream_tbEUljE_ZNSN_ISO_Lb1ESQ_SR_ST_SU_SY_EESZ_S10_S11_S12_S16_S17_S18_S1B_S1C_jS1D_jS1E_S1E_jjS1G_bEUljE0_EEESZ_S10_S11_S18_S1C_S1E_T6_T7_T9_mT8_S1G_bDpT10_ENKUlT_T0_E_clISt17integral_constantIbLb1EES1U_EEDaS1P_S1Q_EUlS1P_E_NS1_11comp_targetILNS1_3genE8ELNS1_11target_archE1030ELNS1_3gpuE2ELNS1_3repE0EEENS1_30default_config_static_selectorELNS0_4arch9wavefront6targetE0EEEvS12_: ; @_ZN7rocprim17ROCPRIM_400000_NS6detail17trampoline_kernelINS0_13select_configILj256ELj13ELNS0_17block_load_methodE3ELS4_3ELS4_3ELNS0_20block_scan_algorithmE0ELj4294967295EEENS1_25partition_config_selectorILNS1_17partition_subalgoE4EjNS0_10empty_typeEbEEZZNS1_14partition_implILS8_4ELb0ES6_15HIP_vector_typeIjLj2EENS0_17counting_iteratorIjlEEPS9_SG_NS0_5tupleIJPjSI_NS0_16reverse_iteratorISI_EEEEENSH_IJSG_SG_SG_EEES9_SI_JZNS1_25segmented_radix_sort_implINS0_14default_configELb1EPKaPaPKlPlN2at6native12_GLOBAL__N_18offset_tEEE10hipError_tPvRmT1_PNSt15iterator_traitsIS12_E10value_typeET2_T3_PNS13_IS18_E10value_typeET4_jRbjT5_S1E_jjP12ihipStream_tbEUljE_ZNSN_ISO_Lb1ESQ_SR_ST_SU_SY_EESZ_S10_S11_S12_S16_S17_S18_S1B_S1C_jS1D_jS1E_S1E_jjS1G_bEUljE0_EEESZ_S10_S11_S18_S1C_S1E_T6_T7_T9_mT8_S1G_bDpT10_ENKUlT_T0_E_clISt17integral_constantIbLb1EES1U_EEDaS1P_S1Q_EUlS1P_E_NS1_11comp_targetILNS1_3genE8ELNS1_11target_archE1030ELNS1_3gpuE2ELNS1_3repE0EEENS1_30default_config_static_selectorELNS0_4arch9wavefront6targetE0EEEvS12_
; %bb.0:
	.section	.rodata,"a",@progbits
	.p2align	6, 0x0
	.amdhsa_kernel _ZN7rocprim17ROCPRIM_400000_NS6detail17trampoline_kernelINS0_13select_configILj256ELj13ELNS0_17block_load_methodE3ELS4_3ELS4_3ELNS0_20block_scan_algorithmE0ELj4294967295EEENS1_25partition_config_selectorILNS1_17partition_subalgoE4EjNS0_10empty_typeEbEEZZNS1_14partition_implILS8_4ELb0ES6_15HIP_vector_typeIjLj2EENS0_17counting_iteratorIjlEEPS9_SG_NS0_5tupleIJPjSI_NS0_16reverse_iteratorISI_EEEEENSH_IJSG_SG_SG_EEES9_SI_JZNS1_25segmented_radix_sort_implINS0_14default_configELb1EPKaPaPKlPlN2at6native12_GLOBAL__N_18offset_tEEE10hipError_tPvRmT1_PNSt15iterator_traitsIS12_E10value_typeET2_T3_PNS13_IS18_E10value_typeET4_jRbjT5_S1E_jjP12ihipStream_tbEUljE_ZNSN_ISO_Lb1ESQ_SR_ST_SU_SY_EESZ_S10_S11_S12_S16_S17_S18_S1B_S1C_jS1D_jS1E_S1E_jjS1G_bEUljE0_EEESZ_S10_S11_S18_S1C_S1E_T6_T7_T9_mT8_S1G_bDpT10_ENKUlT_T0_E_clISt17integral_constantIbLb1EES1U_EEDaS1P_S1Q_EUlS1P_E_NS1_11comp_targetILNS1_3genE8ELNS1_11target_archE1030ELNS1_3gpuE2ELNS1_3repE0EEENS1_30default_config_static_selectorELNS0_4arch9wavefront6targetE0EEEvS12_
		.amdhsa_group_segment_fixed_size 0
		.amdhsa_private_segment_fixed_size 0
		.amdhsa_kernarg_size 184
		.amdhsa_user_sgpr_count 15
		.amdhsa_user_sgpr_dispatch_ptr 0
		.amdhsa_user_sgpr_queue_ptr 0
		.amdhsa_user_sgpr_kernarg_segment_ptr 1
		.amdhsa_user_sgpr_dispatch_id 0
		.amdhsa_user_sgpr_private_segment_size 0
		.amdhsa_wavefront_size32 1
		.amdhsa_uses_dynamic_stack 0
		.amdhsa_enable_private_segment 0
		.amdhsa_system_sgpr_workgroup_id_x 1
		.amdhsa_system_sgpr_workgroup_id_y 0
		.amdhsa_system_sgpr_workgroup_id_z 0
		.amdhsa_system_sgpr_workgroup_info 0
		.amdhsa_system_vgpr_workitem_id 0
		.amdhsa_next_free_vgpr 1
		.amdhsa_next_free_sgpr 1
		.amdhsa_reserve_vcc 0
		.amdhsa_float_round_mode_32 0
		.amdhsa_float_round_mode_16_64 0
		.amdhsa_float_denorm_mode_32 3
		.amdhsa_float_denorm_mode_16_64 3
		.amdhsa_dx10_clamp 1
		.amdhsa_ieee_mode 1
		.amdhsa_fp16_overflow 0
		.amdhsa_workgroup_processor_mode 1
		.amdhsa_memory_ordered 1
		.amdhsa_forward_progress 0
		.amdhsa_shared_vgpr_count 0
		.amdhsa_exception_fp_ieee_invalid_op 0
		.amdhsa_exception_fp_denorm_src 0
		.amdhsa_exception_fp_ieee_div_zero 0
		.amdhsa_exception_fp_ieee_overflow 0
		.amdhsa_exception_fp_ieee_underflow 0
		.amdhsa_exception_fp_ieee_inexact 0
		.amdhsa_exception_int_div_zero 0
	.end_amdhsa_kernel
	.section	.text._ZN7rocprim17ROCPRIM_400000_NS6detail17trampoline_kernelINS0_13select_configILj256ELj13ELNS0_17block_load_methodE3ELS4_3ELS4_3ELNS0_20block_scan_algorithmE0ELj4294967295EEENS1_25partition_config_selectorILNS1_17partition_subalgoE4EjNS0_10empty_typeEbEEZZNS1_14partition_implILS8_4ELb0ES6_15HIP_vector_typeIjLj2EENS0_17counting_iteratorIjlEEPS9_SG_NS0_5tupleIJPjSI_NS0_16reverse_iteratorISI_EEEEENSH_IJSG_SG_SG_EEES9_SI_JZNS1_25segmented_radix_sort_implINS0_14default_configELb1EPKaPaPKlPlN2at6native12_GLOBAL__N_18offset_tEEE10hipError_tPvRmT1_PNSt15iterator_traitsIS12_E10value_typeET2_T3_PNS13_IS18_E10value_typeET4_jRbjT5_S1E_jjP12ihipStream_tbEUljE_ZNSN_ISO_Lb1ESQ_SR_ST_SU_SY_EESZ_S10_S11_S12_S16_S17_S18_S1B_S1C_jS1D_jS1E_S1E_jjS1G_bEUljE0_EEESZ_S10_S11_S18_S1C_S1E_T6_T7_T9_mT8_S1G_bDpT10_ENKUlT_T0_E_clISt17integral_constantIbLb1EES1U_EEDaS1P_S1Q_EUlS1P_E_NS1_11comp_targetILNS1_3genE8ELNS1_11target_archE1030ELNS1_3gpuE2ELNS1_3repE0EEENS1_30default_config_static_selectorELNS0_4arch9wavefront6targetE0EEEvS12_,"axG",@progbits,_ZN7rocprim17ROCPRIM_400000_NS6detail17trampoline_kernelINS0_13select_configILj256ELj13ELNS0_17block_load_methodE3ELS4_3ELS4_3ELNS0_20block_scan_algorithmE0ELj4294967295EEENS1_25partition_config_selectorILNS1_17partition_subalgoE4EjNS0_10empty_typeEbEEZZNS1_14partition_implILS8_4ELb0ES6_15HIP_vector_typeIjLj2EENS0_17counting_iteratorIjlEEPS9_SG_NS0_5tupleIJPjSI_NS0_16reverse_iteratorISI_EEEEENSH_IJSG_SG_SG_EEES9_SI_JZNS1_25segmented_radix_sort_implINS0_14default_configELb1EPKaPaPKlPlN2at6native12_GLOBAL__N_18offset_tEEE10hipError_tPvRmT1_PNSt15iterator_traitsIS12_E10value_typeET2_T3_PNS13_IS18_E10value_typeET4_jRbjT5_S1E_jjP12ihipStream_tbEUljE_ZNSN_ISO_Lb1ESQ_SR_ST_SU_SY_EESZ_S10_S11_S12_S16_S17_S18_S1B_S1C_jS1D_jS1E_S1E_jjS1G_bEUljE0_EEESZ_S10_S11_S18_S1C_S1E_T6_T7_T9_mT8_S1G_bDpT10_ENKUlT_T0_E_clISt17integral_constantIbLb1EES1U_EEDaS1P_S1Q_EUlS1P_E_NS1_11comp_targetILNS1_3genE8ELNS1_11target_archE1030ELNS1_3gpuE2ELNS1_3repE0EEENS1_30default_config_static_selectorELNS0_4arch9wavefront6targetE0EEEvS12_,comdat
.Lfunc_end241:
	.size	_ZN7rocprim17ROCPRIM_400000_NS6detail17trampoline_kernelINS0_13select_configILj256ELj13ELNS0_17block_load_methodE3ELS4_3ELS4_3ELNS0_20block_scan_algorithmE0ELj4294967295EEENS1_25partition_config_selectorILNS1_17partition_subalgoE4EjNS0_10empty_typeEbEEZZNS1_14partition_implILS8_4ELb0ES6_15HIP_vector_typeIjLj2EENS0_17counting_iteratorIjlEEPS9_SG_NS0_5tupleIJPjSI_NS0_16reverse_iteratorISI_EEEEENSH_IJSG_SG_SG_EEES9_SI_JZNS1_25segmented_radix_sort_implINS0_14default_configELb1EPKaPaPKlPlN2at6native12_GLOBAL__N_18offset_tEEE10hipError_tPvRmT1_PNSt15iterator_traitsIS12_E10value_typeET2_T3_PNS13_IS18_E10value_typeET4_jRbjT5_S1E_jjP12ihipStream_tbEUljE_ZNSN_ISO_Lb1ESQ_SR_ST_SU_SY_EESZ_S10_S11_S12_S16_S17_S18_S1B_S1C_jS1D_jS1E_S1E_jjS1G_bEUljE0_EEESZ_S10_S11_S18_S1C_S1E_T6_T7_T9_mT8_S1G_bDpT10_ENKUlT_T0_E_clISt17integral_constantIbLb1EES1U_EEDaS1P_S1Q_EUlS1P_E_NS1_11comp_targetILNS1_3genE8ELNS1_11target_archE1030ELNS1_3gpuE2ELNS1_3repE0EEENS1_30default_config_static_selectorELNS0_4arch9wavefront6targetE0EEEvS12_, .Lfunc_end241-_ZN7rocprim17ROCPRIM_400000_NS6detail17trampoline_kernelINS0_13select_configILj256ELj13ELNS0_17block_load_methodE3ELS4_3ELS4_3ELNS0_20block_scan_algorithmE0ELj4294967295EEENS1_25partition_config_selectorILNS1_17partition_subalgoE4EjNS0_10empty_typeEbEEZZNS1_14partition_implILS8_4ELb0ES6_15HIP_vector_typeIjLj2EENS0_17counting_iteratorIjlEEPS9_SG_NS0_5tupleIJPjSI_NS0_16reverse_iteratorISI_EEEEENSH_IJSG_SG_SG_EEES9_SI_JZNS1_25segmented_radix_sort_implINS0_14default_configELb1EPKaPaPKlPlN2at6native12_GLOBAL__N_18offset_tEEE10hipError_tPvRmT1_PNSt15iterator_traitsIS12_E10value_typeET2_T3_PNS13_IS18_E10value_typeET4_jRbjT5_S1E_jjP12ihipStream_tbEUljE_ZNSN_ISO_Lb1ESQ_SR_ST_SU_SY_EESZ_S10_S11_S12_S16_S17_S18_S1B_S1C_jS1D_jS1E_S1E_jjS1G_bEUljE0_EEESZ_S10_S11_S18_S1C_S1E_T6_T7_T9_mT8_S1G_bDpT10_ENKUlT_T0_E_clISt17integral_constantIbLb1EES1U_EEDaS1P_S1Q_EUlS1P_E_NS1_11comp_targetILNS1_3genE8ELNS1_11target_archE1030ELNS1_3gpuE2ELNS1_3repE0EEENS1_30default_config_static_selectorELNS0_4arch9wavefront6targetE0EEEvS12_
                                        ; -- End function
	.section	.AMDGPU.csdata,"",@progbits
; Kernel info:
; codeLenInByte = 0
; NumSgprs: 0
; NumVgprs: 0
; ScratchSize: 0
; MemoryBound: 0
; FloatMode: 240
; IeeeMode: 1
; LDSByteSize: 0 bytes/workgroup (compile time only)
; SGPRBlocks: 0
; VGPRBlocks: 0
; NumSGPRsForWavesPerEU: 1
; NumVGPRsForWavesPerEU: 1
; Occupancy: 16
; WaveLimiterHint : 0
; COMPUTE_PGM_RSRC2:SCRATCH_EN: 0
; COMPUTE_PGM_RSRC2:USER_SGPR: 15
; COMPUTE_PGM_RSRC2:TRAP_HANDLER: 0
; COMPUTE_PGM_RSRC2:TGID_X_EN: 1
; COMPUTE_PGM_RSRC2:TGID_Y_EN: 0
; COMPUTE_PGM_RSRC2:TGID_Z_EN: 0
; COMPUTE_PGM_RSRC2:TIDIG_COMP_CNT: 0
	.section	.text._ZN7rocprim17ROCPRIM_400000_NS6detail17trampoline_kernelINS0_13select_configILj256ELj13ELNS0_17block_load_methodE3ELS4_3ELS4_3ELNS0_20block_scan_algorithmE0ELj4294967295EEENS1_25partition_config_selectorILNS1_17partition_subalgoE4EjNS0_10empty_typeEbEEZZNS1_14partition_implILS8_4ELb0ES6_15HIP_vector_typeIjLj2EENS0_17counting_iteratorIjlEEPS9_SG_NS0_5tupleIJPjSI_NS0_16reverse_iteratorISI_EEEEENSH_IJSG_SG_SG_EEES9_SI_JZNS1_25segmented_radix_sort_implINS0_14default_configELb1EPKaPaPKlPlN2at6native12_GLOBAL__N_18offset_tEEE10hipError_tPvRmT1_PNSt15iterator_traitsIS12_E10value_typeET2_T3_PNS13_IS18_E10value_typeET4_jRbjT5_S1E_jjP12ihipStream_tbEUljE_ZNSN_ISO_Lb1ESQ_SR_ST_SU_SY_EESZ_S10_S11_S12_S16_S17_S18_S1B_S1C_jS1D_jS1E_S1E_jjS1G_bEUljE0_EEESZ_S10_S11_S18_S1C_S1E_T6_T7_T9_mT8_S1G_bDpT10_ENKUlT_T0_E_clISt17integral_constantIbLb1EES1T_IbLb0EEEEDaS1P_S1Q_EUlS1P_E_NS1_11comp_targetILNS1_3genE0ELNS1_11target_archE4294967295ELNS1_3gpuE0ELNS1_3repE0EEENS1_30default_config_static_selectorELNS0_4arch9wavefront6targetE0EEEvS12_,"axG",@progbits,_ZN7rocprim17ROCPRIM_400000_NS6detail17trampoline_kernelINS0_13select_configILj256ELj13ELNS0_17block_load_methodE3ELS4_3ELS4_3ELNS0_20block_scan_algorithmE0ELj4294967295EEENS1_25partition_config_selectorILNS1_17partition_subalgoE4EjNS0_10empty_typeEbEEZZNS1_14partition_implILS8_4ELb0ES6_15HIP_vector_typeIjLj2EENS0_17counting_iteratorIjlEEPS9_SG_NS0_5tupleIJPjSI_NS0_16reverse_iteratorISI_EEEEENSH_IJSG_SG_SG_EEES9_SI_JZNS1_25segmented_radix_sort_implINS0_14default_configELb1EPKaPaPKlPlN2at6native12_GLOBAL__N_18offset_tEEE10hipError_tPvRmT1_PNSt15iterator_traitsIS12_E10value_typeET2_T3_PNS13_IS18_E10value_typeET4_jRbjT5_S1E_jjP12ihipStream_tbEUljE_ZNSN_ISO_Lb1ESQ_SR_ST_SU_SY_EESZ_S10_S11_S12_S16_S17_S18_S1B_S1C_jS1D_jS1E_S1E_jjS1G_bEUljE0_EEESZ_S10_S11_S18_S1C_S1E_T6_T7_T9_mT8_S1G_bDpT10_ENKUlT_T0_E_clISt17integral_constantIbLb1EES1T_IbLb0EEEEDaS1P_S1Q_EUlS1P_E_NS1_11comp_targetILNS1_3genE0ELNS1_11target_archE4294967295ELNS1_3gpuE0ELNS1_3repE0EEENS1_30default_config_static_selectorELNS0_4arch9wavefront6targetE0EEEvS12_,comdat
	.globl	_ZN7rocprim17ROCPRIM_400000_NS6detail17trampoline_kernelINS0_13select_configILj256ELj13ELNS0_17block_load_methodE3ELS4_3ELS4_3ELNS0_20block_scan_algorithmE0ELj4294967295EEENS1_25partition_config_selectorILNS1_17partition_subalgoE4EjNS0_10empty_typeEbEEZZNS1_14partition_implILS8_4ELb0ES6_15HIP_vector_typeIjLj2EENS0_17counting_iteratorIjlEEPS9_SG_NS0_5tupleIJPjSI_NS0_16reverse_iteratorISI_EEEEENSH_IJSG_SG_SG_EEES9_SI_JZNS1_25segmented_radix_sort_implINS0_14default_configELb1EPKaPaPKlPlN2at6native12_GLOBAL__N_18offset_tEEE10hipError_tPvRmT1_PNSt15iterator_traitsIS12_E10value_typeET2_T3_PNS13_IS18_E10value_typeET4_jRbjT5_S1E_jjP12ihipStream_tbEUljE_ZNSN_ISO_Lb1ESQ_SR_ST_SU_SY_EESZ_S10_S11_S12_S16_S17_S18_S1B_S1C_jS1D_jS1E_S1E_jjS1G_bEUljE0_EEESZ_S10_S11_S18_S1C_S1E_T6_T7_T9_mT8_S1G_bDpT10_ENKUlT_T0_E_clISt17integral_constantIbLb1EES1T_IbLb0EEEEDaS1P_S1Q_EUlS1P_E_NS1_11comp_targetILNS1_3genE0ELNS1_11target_archE4294967295ELNS1_3gpuE0ELNS1_3repE0EEENS1_30default_config_static_selectorELNS0_4arch9wavefront6targetE0EEEvS12_ ; -- Begin function _ZN7rocprim17ROCPRIM_400000_NS6detail17trampoline_kernelINS0_13select_configILj256ELj13ELNS0_17block_load_methodE3ELS4_3ELS4_3ELNS0_20block_scan_algorithmE0ELj4294967295EEENS1_25partition_config_selectorILNS1_17partition_subalgoE4EjNS0_10empty_typeEbEEZZNS1_14partition_implILS8_4ELb0ES6_15HIP_vector_typeIjLj2EENS0_17counting_iteratorIjlEEPS9_SG_NS0_5tupleIJPjSI_NS0_16reverse_iteratorISI_EEEEENSH_IJSG_SG_SG_EEES9_SI_JZNS1_25segmented_radix_sort_implINS0_14default_configELb1EPKaPaPKlPlN2at6native12_GLOBAL__N_18offset_tEEE10hipError_tPvRmT1_PNSt15iterator_traitsIS12_E10value_typeET2_T3_PNS13_IS18_E10value_typeET4_jRbjT5_S1E_jjP12ihipStream_tbEUljE_ZNSN_ISO_Lb1ESQ_SR_ST_SU_SY_EESZ_S10_S11_S12_S16_S17_S18_S1B_S1C_jS1D_jS1E_S1E_jjS1G_bEUljE0_EEESZ_S10_S11_S18_S1C_S1E_T6_T7_T9_mT8_S1G_bDpT10_ENKUlT_T0_E_clISt17integral_constantIbLb1EES1T_IbLb0EEEEDaS1P_S1Q_EUlS1P_E_NS1_11comp_targetILNS1_3genE0ELNS1_11target_archE4294967295ELNS1_3gpuE0ELNS1_3repE0EEENS1_30default_config_static_selectorELNS0_4arch9wavefront6targetE0EEEvS12_
	.p2align	8
	.type	_ZN7rocprim17ROCPRIM_400000_NS6detail17trampoline_kernelINS0_13select_configILj256ELj13ELNS0_17block_load_methodE3ELS4_3ELS4_3ELNS0_20block_scan_algorithmE0ELj4294967295EEENS1_25partition_config_selectorILNS1_17partition_subalgoE4EjNS0_10empty_typeEbEEZZNS1_14partition_implILS8_4ELb0ES6_15HIP_vector_typeIjLj2EENS0_17counting_iteratorIjlEEPS9_SG_NS0_5tupleIJPjSI_NS0_16reverse_iteratorISI_EEEEENSH_IJSG_SG_SG_EEES9_SI_JZNS1_25segmented_radix_sort_implINS0_14default_configELb1EPKaPaPKlPlN2at6native12_GLOBAL__N_18offset_tEEE10hipError_tPvRmT1_PNSt15iterator_traitsIS12_E10value_typeET2_T3_PNS13_IS18_E10value_typeET4_jRbjT5_S1E_jjP12ihipStream_tbEUljE_ZNSN_ISO_Lb1ESQ_SR_ST_SU_SY_EESZ_S10_S11_S12_S16_S17_S18_S1B_S1C_jS1D_jS1E_S1E_jjS1G_bEUljE0_EEESZ_S10_S11_S18_S1C_S1E_T6_T7_T9_mT8_S1G_bDpT10_ENKUlT_T0_E_clISt17integral_constantIbLb1EES1T_IbLb0EEEEDaS1P_S1Q_EUlS1P_E_NS1_11comp_targetILNS1_3genE0ELNS1_11target_archE4294967295ELNS1_3gpuE0ELNS1_3repE0EEENS1_30default_config_static_selectorELNS0_4arch9wavefront6targetE0EEEvS12_,@function
_ZN7rocprim17ROCPRIM_400000_NS6detail17trampoline_kernelINS0_13select_configILj256ELj13ELNS0_17block_load_methodE3ELS4_3ELS4_3ELNS0_20block_scan_algorithmE0ELj4294967295EEENS1_25partition_config_selectorILNS1_17partition_subalgoE4EjNS0_10empty_typeEbEEZZNS1_14partition_implILS8_4ELb0ES6_15HIP_vector_typeIjLj2EENS0_17counting_iteratorIjlEEPS9_SG_NS0_5tupleIJPjSI_NS0_16reverse_iteratorISI_EEEEENSH_IJSG_SG_SG_EEES9_SI_JZNS1_25segmented_radix_sort_implINS0_14default_configELb1EPKaPaPKlPlN2at6native12_GLOBAL__N_18offset_tEEE10hipError_tPvRmT1_PNSt15iterator_traitsIS12_E10value_typeET2_T3_PNS13_IS18_E10value_typeET4_jRbjT5_S1E_jjP12ihipStream_tbEUljE_ZNSN_ISO_Lb1ESQ_SR_ST_SU_SY_EESZ_S10_S11_S12_S16_S17_S18_S1B_S1C_jS1D_jS1E_S1E_jjS1G_bEUljE0_EEESZ_S10_S11_S18_S1C_S1E_T6_T7_T9_mT8_S1G_bDpT10_ENKUlT_T0_E_clISt17integral_constantIbLb1EES1T_IbLb0EEEEDaS1P_S1Q_EUlS1P_E_NS1_11comp_targetILNS1_3genE0ELNS1_11target_archE4294967295ELNS1_3gpuE0ELNS1_3repE0EEENS1_30default_config_static_selectorELNS0_4arch9wavefront6targetE0EEEvS12_: ; @_ZN7rocprim17ROCPRIM_400000_NS6detail17trampoline_kernelINS0_13select_configILj256ELj13ELNS0_17block_load_methodE3ELS4_3ELS4_3ELNS0_20block_scan_algorithmE0ELj4294967295EEENS1_25partition_config_selectorILNS1_17partition_subalgoE4EjNS0_10empty_typeEbEEZZNS1_14partition_implILS8_4ELb0ES6_15HIP_vector_typeIjLj2EENS0_17counting_iteratorIjlEEPS9_SG_NS0_5tupleIJPjSI_NS0_16reverse_iteratorISI_EEEEENSH_IJSG_SG_SG_EEES9_SI_JZNS1_25segmented_radix_sort_implINS0_14default_configELb1EPKaPaPKlPlN2at6native12_GLOBAL__N_18offset_tEEE10hipError_tPvRmT1_PNSt15iterator_traitsIS12_E10value_typeET2_T3_PNS13_IS18_E10value_typeET4_jRbjT5_S1E_jjP12ihipStream_tbEUljE_ZNSN_ISO_Lb1ESQ_SR_ST_SU_SY_EESZ_S10_S11_S12_S16_S17_S18_S1B_S1C_jS1D_jS1E_S1E_jjS1G_bEUljE0_EEESZ_S10_S11_S18_S1C_S1E_T6_T7_T9_mT8_S1G_bDpT10_ENKUlT_T0_E_clISt17integral_constantIbLb1EES1T_IbLb0EEEEDaS1P_S1Q_EUlS1P_E_NS1_11comp_targetILNS1_3genE0ELNS1_11target_archE4294967295ELNS1_3gpuE0ELNS1_3repE0EEENS1_30default_config_static_selectorELNS0_4arch9wavefront6targetE0EEEvS12_
; %bb.0:
	.section	.rodata,"a",@progbits
	.p2align	6, 0x0
	.amdhsa_kernel _ZN7rocprim17ROCPRIM_400000_NS6detail17trampoline_kernelINS0_13select_configILj256ELj13ELNS0_17block_load_methodE3ELS4_3ELS4_3ELNS0_20block_scan_algorithmE0ELj4294967295EEENS1_25partition_config_selectorILNS1_17partition_subalgoE4EjNS0_10empty_typeEbEEZZNS1_14partition_implILS8_4ELb0ES6_15HIP_vector_typeIjLj2EENS0_17counting_iteratorIjlEEPS9_SG_NS0_5tupleIJPjSI_NS0_16reverse_iteratorISI_EEEEENSH_IJSG_SG_SG_EEES9_SI_JZNS1_25segmented_radix_sort_implINS0_14default_configELb1EPKaPaPKlPlN2at6native12_GLOBAL__N_18offset_tEEE10hipError_tPvRmT1_PNSt15iterator_traitsIS12_E10value_typeET2_T3_PNS13_IS18_E10value_typeET4_jRbjT5_S1E_jjP12ihipStream_tbEUljE_ZNSN_ISO_Lb1ESQ_SR_ST_SU_SY_EESZ_S10_S11_S12_S16_S17_S18_S1B_S1C_jS1D_jS1E_S1E_jjS1G_bEUljE0_EEESZ_S10_S11_S18_S1C_S1E_T6_T7_T9_mT8_S1G_bDpT10_ENKUlT_T0_E_clISt17integral_constantIbLb1EES1T_IbLb0EEEEDaS1P_S1Q_EUlS1P_E_NS1_11comp_targetILNS1_3genE0ELNS1_11target_archE4294967295ELNS1_3gpuE0ELNS1_3repE0EEENS1_30default_config_static_selectorELNS0_4arch9wavefront6targetE0EEEvS12_
		.amdhsa_group_segment_fixed_size 0
		.amdhsa_private_segment_fixed_size 0
		.amdhsa_kernarg_size 176
		.amdhsa_user_sgpr_count 15
		.amdhsa_user_sgpr_dispatch_ptr 0
		.amdhsa_user_sgpr_queue_ptr 0
		.amdhsa_user_sgpr_kernarg_segment_ptr 1
		.amdhsa_user_sgpr_dispatch_id 0
		.amdhsa_user_sgpr_private_segment_size 0
		.amdhsa_wavefront_size32 1
		.amdhsa_uses_dynamic_stack 0
		.amdhsa_enable_private_segment 0
		.amdhsa_system_sgpr_workgroup_id_x 1
		.amdhsa_system_sgpr_workgroup_id_y 0
		.amdhsa_system_sgpr_workgroup_id_z 0
		.amdhsa_system_sgpr_workgroup_info 0
		.amdhsa_system_vgpr_workitem_id 0
		.amdhsa_next_free_vgpr 1
		.amdhsa_next_free_sgpr 1
		.amdhsa_reserve_vcc 0
		.amdhsa_float_round_mode_32 0
		.amdhsa_float_round_mode_16_64 0
		.amdhsa_float_denorm_mode_32 3
		.amdhsa_float_denorm_mode_16_64 3
		.amdhsa_dx10_clamp 1
		.amdhsa_ieee_mode 1
		.amdhsa_fp16_overflow 0
		.amdhsa_workgroup_processor_mode 1
		.amdhsa_memory_ordered 1
		.amdhsa_forward_progress 0
		.amdhsa_shared_vgpr_count 0
		.amdhsa_exception_fp_ieee_invalid_op 0
		.amdhsa_exception_fp_denorm_src 0
		.amdhsa_exception_fp_ieee_div_zero 0
		.amdhsa_exception_fp_ieee_overflow 0
		.amdhsa_exception_fp_ieee_underflow 0
		.amdhsa_exception_fp_ieee_inexact 0
		.amdhsa_exception_int_div_zero 0
	.end_amdhsa_kernel
	.section	.text._ZN7rocprim17ROCPRIM_400000_NS6detail17trampoline_kernelINS0_13select_configILj256ELj13ELNS0_17block_load_methodE3ELS4_3ELS4_3ELNS0_20block_scan_algorithmE0ELj4294967295EEENS1_25partition_config_selectorILNS1_17partition_subalgoE4EjNS0_10empty_typeEbEEZZNS1_14partition_implILS8_4ELb0ES6_15HIP_vector_typeIjLj2EENS0_17counting_iteratorIjlEEPS9_SG_NS0_5tupleIJPjSI_NS0_16reverse_iteratorISI_EEEEENSH_IJSG_SG_SG_EEES9_SI_JZNS1_25segmented_radix_sort_implINS0_14default_configELb1EPKaPaPKlPlN2at6native12_GLOBAL__N_18offset_tEEE10hipError_tPvRmT1_PNSt15iterator_traitsIS12_E10value_typeET2_T3_PNS13_IS18_E10value_typeET4_jRbjT5_S1E_jjP12ihipStream_tbEUljE_ZNSN_ISO_Lb1ESQ_SR_ST_SU_SY_EESZ_S10_S11_S12_S16_S17_S18_S1B_S1C_jS1D_jS1E_S1E_jjS1G_bEUljE0_EEESZ_S10_S11_S18_S1C_S1E_T6_T7_T9_mT8_S1G_bDpT10_ENKUlT_T0_E_clISt17integral_constantIbLb1EES1T_IbLb0EEEEDaS1P_S1Q_EUlS1P_E_NS1_11comp_targetILNS1_3genE0ELNS1_11target_archE4294967295ELNS1_3gpuE0ELNS1_3repE0EEENS1_30default_config_static_selectorELNS0_4arch9wavefront6targetE0EEEvS12_,"axG",@progbits,_ZN7rocprim17ROCPRIM_400000_NS6detail17trampoline_kernelINS0_13select_configILj256ELj13ELNS0_17block_load_methodE3ELS4_3ELS4_3ELNS0_20block_scan_algorithmE0ELj4294967295EEENS1_25partition_config_selectorILNS1_17partition_subalgoE4EjNS0_10empty_typeEbEEZZNS1_14partition_implILS8_4ELb0ES6_15HIP_vector_typeIjLj2EENS0_17counting_iteratorIjlEEPS9_SG_NS0_5tupleIJPjSI_NS0_16reverse_iteratorISI_EEEEENSH_IJSG_SG_SG_EEES9_SI_JZNS1_25segmented_radix_sort_implINS0_14default_configELb1EPKaPaPKlPlN2at6native12_GLOBAL__N_18offset_tEEE10hipError_tPvRmT1_PNSt15iterator_traitsIS12_E10value_typeET2_T3_PNS13_IS18_E10value_typeET4_jRbjT5_S1E_jjP12ihipStream_tbEUljE_ZNSN_ISO_Lb1ESQ_SR_ST_SU_SY_EESZ_S10_S11_S12_S16_S17_S18_S1B_S1C_jS1D_jS1E_S1E_jjS1G_bEUljE0_EEESZ_S10_S11_S18_S1C_S1E_T6_T7_T9_mT8_S1G_bDpT10_ENKUlT_T0_E_clISt17integral_constantIbLb1EES1T_IbLb0EEEEDaS1P_S1Q_EUlS1P_E_NS1_11comp_targetILNS1_3genE0ELNS1_11target_archE4294967295ELNS1_3gpuE0ELNS1_3repE0EEENS1_30default_config_static_selectorELNS0_4arch9wavefront6targetE0EEEvS12_,comdat
.Lfunc_end242:
	.size	_ZN7rocprim17ROCPRIM_400000_NS6detail17trampoline_kernelINS0_13select_configILj256ELj13ELNS0_17block_load_methodE3ELS4_3ELS4_3ELNS0_20block_scan_algorithmE0ELj4294967295EEENS1_25partition_config_selectorILNS1_17partition_subalgoE4EjNS0_10empty_typeEbEEZZNS1_14partition_implILS8_4ELb0ES6_15HIP_vector_typeIjLj2EENS0_17counting_iteratorIjlEEPS9_SG_NS0_5tupleIJPjSI_NS0_16reverse_iteratorISI_EEEEENSH_IJSG_SG_SG_EEES9_SI_JZNS1_25segmented_radix_sort_implINS0_14default_configELb1EPKaPaPKlPlN2at6native12_GLOBAL__N_18offset_tEEE10hipError_tPvRmT1_PNSt15iterator_traitsIS12_E10value_typeET2_T3_PNS13_IS18_E10value_typeET4_jRbjT5_S1E_jjP12ihipStream_tbEUljE_ZNSN_ISO_Lb1ESQ_SR_ST_SU_SY_EESZ_S10_S11_S12_S16_S17_S18_S1B_S1C_jS1D_jS1E_S1E_jjS1G_bEUljE0_EEESZ_S10_S11_S18_S1C_S1E_T6_T7_T9_mT8_S1G_bDpT10_ENKUlT_T0_E_clISt17integral_constantIbLb1EES1T_IbLb0EEEEDaS1P_S1Q_EUlS1P_E_NS1_11comp_targetILNS1_3genE0ELNS1_11target_archE4294967295ELNS1_3gpuE0ELNS1_3repE0EEENS1_30default_config_static_selectorELNS0_4arch9wavefront6targetE0EEEvS12_, .Lfunc_end242-_ZN7rocprim17ROCPRIM_400000_NS6detail17trampoline_kernelINS0_13select_configILj256ELj13ELNS0_17block_load_methodE3ELS4_3ELS4_3ELNS0_20block_scan_algorithmE0ELj4294967295EEENS1_25partition_config_selectorILNS1_17partition_subalgoE4EjNS0_10empty_typeEbEEZZNS1_14partition_implILS8_4ELb0ES6_15HIP_vector_typeIjLj2EENS0_17counting_iteratorIjlEEPS9_SG_NS0_5tupleIJPjSI_NS0_16reverse_iteratorISI_EEEEENSH_IJSG_SG_SG_EEES9_SI_JZNS1_25segmented_radix_sort_implINS0_14default_configELb1EPKaPaPKlPlN2at6native12_GLOBAL__N_18offset_tEEE10hipError_tPvRmT1_PNSt15iterator_traitsIS12_E10value_typeET2_T3_PNS13_IS18_E10value_typeET4_jRbjT5_S1E_jjP12ihipStream_tbEUljE_ZNSN_ISO_Lb1ESQ_SR_ST_SU_SY_EESZ_S10_S11_S12_S16_S17_S18_S1B_S1C_jS1D_jS1E_S1E_jjS1G_bEUljE0_EEESZ_S10_S11_S18_S1C_S1E_T6_T7_T9_mT8_S1G_bDpT10_ENKUlT_T0_E_clISt17integral_constantIbLb1EES1T_IbLb0EEEEDaS1P_S1Q_EUlS1P_E_NS1_11comp_targetILNS1_3genE0ELNS1_11target_archE4294967295ELNS1_3gpuE0ELNS1_3repE0EEENS1_30default_config_static_selectorELNS0_4arch9wavefront6targetE0EEEvS12_
                                        ; -- End function
	.section	.AMDGPU.csdata,"",@progbits
; Kernel info:
; codeLenInByte = 0
; NumSgprs: 0
; NumVgprs: 0
; ScratchSize: 0
; MemoryBound: 0
; FloatMode: 240
; IeeeMode: 1
; LDSByteSize: 0 bytes/workgroup (compile time only)
; SGPRBlocks: 0
; VGPRBlocks: 0
; NumSGPRsForWavesPerEU: 1
; NumVGPRsForWavesPerEU: 1
; Occupancy: 16
; WaveLimiterHint : 0
; COMPUTE_PGM_RSRC2:SCRATCH_EN: 0
; COMPUTE_PGM_RSRC2:USER_SGPR: 15
; COMPUTE_PGM_RSRC2:TRAP_HANDLER: 0
; COMPUTE_PGM_RSRC2:TGID_X_EN: 1
; COMPUTE_PGM_RSRC2:TGID_Y_EN: 0
; COMPUTE_PGM_RSRC2:TGID_Z_EN: 0
; COMPUTE_PGM_RSRC2:TIDIG_COMP_CNT: 0
	.section	.text._ZN7rocprim17ROCPRIM_400000_NS6detail17trampoline_kernelINS0_13select_configILj256ELj13ELNS0_17block_load_methodE3ELS4_3ELS4_3ELNS0_20block_scan_algorithmE0ELj4294967295EEENS1_25partition_config_selectorILNS1_17partition_subalgoE4EjNS0_10empty_typeEbEEZZNS1_14partition_implILS8_4ELb0ES6_15HIP_vector_typeIjLj2EENS0_17counting_iteratorIjlEEPS9_SG_NS0_5tupleIJPjSI_NS0_16reverse_iteratorISI_EEEEENSH_IJSG_SG_SG_EEES9_SI_JZNS1_25segmented_radix_sort_implINS0_14default_configELb1EPKaPaPKlPlN2at6native12_GLOBAL__N_18offset_tEEE10hipError_tPvRmT1_PNSt15iterator_traitsIS12_E10value_typeET2_T3_PNS13_IS18_E10value_typeET4_jRbjT5_S1E_jjP12ihipStream_tbEUljE_ZNSN_ISO_Lb1ESQ_SR_ST_SU_SY_EESZ_S10_S11_S12_S16_S17_S18_S1B_S1C_jS1D_jS1E_S1E_jjS1G_bEUljE0_EEESZ_S10_S11_S18_S1C_S1E_T6_T7_T9_mT8_S1G_bDpT10_ENKUlT_T0_E_clISt17integral_constantIbLb1EES1T_IbLb0EEEEDaS1P_S1Q_EUlS1P_E_NS1_11comp_targetILNS1_3genE5ELNS1_11target_archE942ELNS1_3gpuE9ELNS1_3repE0EEENS1_30default_config_static_selectorELNS0_4arch9wavefront6targetE0EEEvS12_,"axG",@progbits,_ZN7rocprim17ROCPRIM_400000_NS6detail17trampoline_kernelINS0_13select_configILj256ELj13ELNS0_17block_load_methodE3ELS4_3ELS4_3ELNS0_20block_scan_algorithmE0ELj4294967295EEENS1_25partition_config_selectorILNS1_17partition_subalgoE4EjNS0_10empty_typeEbEEZZNS1_14partition_implILS8_4ELb0ES6_15HIP_vector_typeIjLj2EENS0_17counting_iteratorIjlEEPS9_SG_NS0_5tupleIJPjSI_NS0_16reverse_iteratorISI_EEEEENSH_IJSG_SG_SG_EEES9_SI_JZNS1_25segmented_radix_sort_implINS0_14default_configELb1EPKaPaPKlPlN2at6native12_GLOBAL__N_18offset_tEEE10hipError_tPvRmT1_PNSt15iterator_traitsIS12_E10value_typeET2_T3_PNS13_IS18_E10value_typeET4_jRbjT5_S1E_jjP12ihipStream_tbEUljE_ZNSN_ISO_Lb1ESQ_SR_ST_SU_SY_EESZ_S10_S11_S12_S16_S17_S18_S1B_S1C_jS1D_jS1E_S1E_jjS1G_bEUljE0_EEESZ_S10_S11_S18_S1C_S1E_T6_T7_T9_mT8_S1G_bDpT10_ENKUlT_T0_E_clISt17integral_constantIbLb1EES1T_IbLb0EEEEDaS1P_S1Q_EUlS1P_E_NS1_11comp_targetILNS1_3genE5ELNS1_11target_archE942ELNS1_3gpuE9ELNS1_3repE0EEENS1_30default_config_static_selectorELNS0_4arch9wavefront6targetE0EEEvS12_,comdat
	.globl	_ZN7rocprim17ROCPRIM_400000_NS6detail17trampoline_kernelINS0_13select_configILj256ELj13ELNS0_17block_load_methodE3ELS4_3ELS4_3ELNS0_20block_scan_algorithmE0ELj4294967295EEENS1_25partition_config_selectorILNS1_17partition_subalgoE4EjNS0_10empty_typeEbEEZZNS1_14partition_implILS8_4ELb0ES6_15HIP_vector_typeIjLj2EENS0_17counting_iteratorIjlEEPS9_SG_NS0_5tupleIJPjSI_NS0_16reverse_iteratorISI_EEEEENSH_IJSG_SG_SG_EEES9_SI_JZNS1_25segmented_radix_sort_implINS0_14default_configELb1EPKaPaPKlPlN2at6native12_GLOBAL__N_18offset_tEEE10hipError_tPvRmT1_PNSt15iterator_traitsIS12_E10value_typeET2_T3_PNS13_IS18_E10value_typeET4_jRbjT5_S1E_jjP12ihipStream_tbEUljE_ZNSN_ISO_Lb1ESQ_SR_ST_SU_SY_EESZ_S10_S11_S12_S16_S17_S18_S1B_S1C_jS1D_jS1E_S1E_jjS1G_bEUljE0_EEESZ_S10_S11_S18_S1C_S1E_T6_T7_T9_mT8_S1G_bDpT10_ENKUlT_T0_E_clISt17integral_constantIbLb1EES1T_IbLb0EEEEDaS1P_S1Q_EUlS1P_E_NS1_11comp_targetILNS1_3genE5ELNS1_11target_archE942ELNS1_3gpuE9ELNS1_3repE0EEENS1_30default_config_static_selectorELNS0_4arch9wavefront6targetE0EEEvS12_ ; -- Begin function _ZN7rocprim17ROCPRIM_400000_NS6detail17trampoline_kernelINS0_13select_configILj256ELj13ELNS0_17block_load_methodE3ELS4_3ELS4_3ELNS0_20block_scan_algorithmE0ELj4294967295EEENS1_25partition_config_selectorILNS1_17partition_subalgoE4EjNS0_10empty_typeEbEEZZNS1_14partition_implILS8_4ELb0ES6_15HIP_vector_typeIjLj2EENS0_17counting_iteratorIjlEEPS9_SG_NS0_5tupleIJPjSI_NS0_16reverse_iteratorISI_EEEEENSH_IJSG_SG_SG_EEES9_SI_JZNS1_25segmented_radix_sort_implINS0_14default_configELb1EPKaPaPKlPlN2at6native12_GLOBAL__N_18offset_tEEE10hipError_tPvRmT1_PNSt15iterator_traitsIS12_E10value_typeET2_T3_PNS13_IS18_E10value_typeET4_jRbjT5_S1E_jjP12ihipStream_tbEUljE_ZNSN_ISO_Lb1ESQ_SR_ST_SU_SY_EESZ_S10_S11_S12_S16_S17_S18_S1B_S1C_jS1D_jS1E_S1E_jjS1G_bEUljE0_EEESZ_S10_S11_S18_S1C_S1E_T6_T7_T9_mT8_S1G_bDpT10_ENKUlT_T0_E_clISt17integral_constantIbLb1EES1T_IbLb0EEEEDaS1P_S1Q_EUlS1P_E_NS1_11comp_targetILNS1_3genE5ELNS1_11target_archE942ELNS1_3gpuE9ELNS1_3repE0EEENS1_30default_config_static_selectorELNS0_4arch9wavefront6targetE0EEEvS12_
	.p2align	8
	.type	_ZN7rocprim17ROCPRIM_400000_NS6detail17trampoline_kernelINS0_13select_configILj256ELj13ELNS0_17block_load_methodE3ELS4_3ELS4_3ELNS0_20block_scan_algorithmE0ELj4294967295EEENS1_25partition_config_selectorILNS1_17partition_subalgoE4EjNS0_10empty_typeEbEEZZNS1_14partition_implILS8_4ELb0ES6_15HIP_vector_typeIjLj2EENS0_17counting_iteratorIjlEEPS9_SG_NS0_5tupleIJPjSI_NS0_16reverse_iteratorISI_EEEEENSH_IJSG_SG_SG_EEES9_SI_JZNS1_25segmented_radix_sort_implINS0_14default_configELb1EPKaPaPKlPlN2at6native12_GLOBAL__N_18offset_tEEE10hipError_tPvRmT1_PNSt15iterator_traitsIS12_E10value_typeET2_T3_PNS13_IS18_E10value_typeET4_jRbjT5_S1E_jjP12ihipStream_tbEUljE_ZNSN_ISO_Lb1ESQ_SR_ST_SU_SY_EESZ_S10_S11_S12_S16_S17_S18_S1B_S1C_jS1D_jS1E_S1E_jjS1G_bEUljE0_EEESZ_S10_S11_S18_S1C_S1E_T6_T7_T9_mT8_S1G_bDpT10_ENKUlT_T0_E_clISt17integral_constantIbLb1EES1T_IbLb0EEEEDaS1P_S1Q_EUlS1P_E_NS1_11comp_targetILNS1_3genE5ELNS1_11target_archE942ELNS1_3gpuE9ELNS1_3repE0EEENS1_30default_config_static_selectorELNS0_4arch9wavefront6targetE0EEEvS12_,@function
_ZN7rocprim17ROCPRIM_400000_NS6detail17trampoline_kernelINS0_13select_configILj256ELj13ELNS0_17block_load_methodE3ELS4_3ELS4_3ELNS0_20block_scan_algorithmE0ELj4294967295EEENS1_25partition_config_selectorILNS1_17partition_subalgoE4EjNS0_10empty_typeEbEEZZNS1_14partition_implILS8_4ELb0ES6_15HIP_vector_typeIjLj2EENS0_17counting_iteratorIjlEEPS9_SG_NS0_5tupleIJPjSI_NS0_16reverse_iteratorISI_EEEEENSH_IJSG_SG_SG_EEES9_SI_JZNS1_25segmented_radix_sort_implINS0_14default_configELb1EPKaPaPKlPlN2at6native12_GLOBAL__N_18offset_tEEE10hipError_tPvRmT1_PNSt15iterator_traitsIS12_E10value_typeET2_T3_PNS13_IS18_E10value_typeET4_jRbjT5_S1E_jjP12ihipStream_tbEUljE_ZNSN_ISO_Lb1ESQ_SR_ST_SU_SY_EESZ_S10_S11_S12_S16_S17_S18_S1B_S1C_jS1D_jS1E_S1E_jjS1G_bEUljE0_EEESZ_S10_S11_S18_S1C_S1E_T6_T7_T9_mT8_S1G_bDpT10_ENKUlT_T0_E_clISt17integral_constantIbLb1EES1T_IbLb0EEEEDaS1P_S1Q_EUlS1P_E_NS1_11comp_targetILNS1_3genE5ELNS1_11target_archE942ELNS1_3gpuE9ELNS1_3repE0EEENS1_30default_config_static_selectorELNS0_4arch9wavefront6targetE0EEEvS12_: ; @_ZN7rocprim17ROCPRIM_400000_NS6detail17trampoline_kernelINS0_13select_configILj256ELj13ELNS0_17block_load_methodE3ELS4_3ELS4_3ELNS0_20block_scan_algorithmE0ELj4294967295EEENS1_25partition_config_selectorILNS1_17partition_subalgoE4EjNS0_10empty_typeEbEEZZNS1_14partition_implILS8_4ELb0ES6_15HIP_vector_typeIjLj2EENS0_17counting_iteratorIjlEEPS9_SG_NS0_5tupleIJPjSI_NS0_16reverse_iteratorISI_EEEEENSH_IJSG_SG_SG_EEES9_SI_JZNS1_25segmented_radix_sort_implINS0_14default_configELb1EPKaPaPKlPlN2at6native12_GLOBAL__N_18offset_tEEE10hipError_tPvRmT1_PNSt15iterator_traitsIS12_E10value_typeET2_T3_PNS13_IS18_E10value_typeET4_jRbjT5_S1E_jjP12ihipStream_tbEUljE_ZNSN_ISO_Lb1ESQ_SR_ST_SU_SY_EESZ_S10_S11_S12_S16_S17_S18_S1B_S1C_jS1D_jS1E_S1E_jjS1G_bEUljE0_EEESZ_S10_S11_S18_S1C_S1E_T6_T7_T9_mT8_S1G_bDpT10_ENKUlT_T0_E_clISt17integral_constantIbLb1EES1T_IbLb0EEEEDaS1P_S1Q_EUlS1P_E_NS1_11comp_targetILNS1_3genE5ELNS1_11target_archE942ELNS1_3gpuE9ELNS1_3repE0EEENS1_30default_config_static_selectorELNS0_4arch9wavefront6targetE0EEEvS12_
; %bb.0:
	.section	.rodata,"a",@progbits
	.p2align	6, 0x0
	.amdhsa_kernel _ZN7rocprim17ROCPRIM_400000_NS6detail17trampoline_kernelINS0_13select_configILj256ELj13ELNS0_17block_load_methodE3ELS4_3ELS4_3ELNS0_20block_scan_algorithmE0ELj4294967295EEENS1_25partition_config_selectorILNS1_17partition_subalgoE4EjNS0_10empty_typeEbEEZZNS1_14partition_implILS8_4ELb0ES6_15HIP_vector_typeIjLj2EENS0_17counting_iteratorIjlEEPS9_SG_NS0_5tupleIJPjSI_NS0_16reverse_iteratorISI_EEEEENSH_IJSG_SG_SG_EEES9_SI_JZNS1_25segmented_radix_sort_implINS0_14default_configELb1EPKaPaPKlPlN2at6native12_GLOBAL__N_18offset_tEEE10hipError_tPvRmT1_PNSt15iterator_traitsIS12_E10value_typeET2_T3_PNS13_IS18_E10value_typeET4_jRbjT5_S1E_jjP12ihipStream_tbEUljE_ZNSN_ISO_Lb1ESQ_SR_ST_SU_SY_EESZ_S10_S11_S12_S16_S17_S18_S1B_S1C_jS1D_jS1E_S1E_jjS1G_bEUljE0_EEESZ_S10_S11_S18_S1C_S1E_T6_T7_T9_mT8_S1G_bDpT10_ENKUlT_T0_E_clISt17integral_constantIbLb1EES1T_IbLb0EEEEDaS1P_S1Q_EUlS1P_E_NS1_11comp_targetILNS1_3genE5ELNS1_11target_archE942ELNS1_3gpuE9ELNS1_3repE0EEENS1_30default_config_static_selectorELNS0_4arch9wavefront6targetE0EEEvS12_
		.amdhsa_group_segment_fixed_size 0
		.amdhsa_private_segment_fixed_size 0
		.amdhsa_kernarg_size 176
		.amdhsa_user_sgpr_count 15
		.amdhsa_user_sgpr_dispatch_ptr 0
		.amdhsa_user_sgpr_queue_ptr 0
		.amdhsa_user_sgpr_kernarg_segment_ptr 1
		.amdhsa_user_sgpr_dispatch_id 0
		.amdhsa_user_sgpr_private_segment_size 0
		.amdhsa_wavefront_size32 1
		.amdhsa_uses_dynamic_stack 0
		.amdhsa_enable_private_segment 0
		.amdhsa_system_sgpr_workgroup_id_x 1
		.amdhsa_system_sgpr_workgroup_id_y 0
		.amdhsa_system_sgpr_workgroup_id_z 0
		.amdhsa_system_sgpr_workgroup_info 0
		.amdhsa_system_vgpr_workitem_id 0
		.amdhsa_next_free_vgpr 1
		.amdhsa_next_free_sgpr 1
		.amdhsa_reserve_vcc 0
		.amdhsa_float_round_mode_32 0
		.amdhsa_float_round_mode_16_64 0
		.amdhsa_float_denorm_mode_32 3
		.amdhsa_float_denorm_mode_16_64 3
		.amdhsa_dx10_clamp 1
		.amdhsa_ieee_mode 1
		.amdhsa_fp16_overflow 0
		.amdhsa_workgroup_processor_mode 1
		.amdhsa_memory_ordered 1
		.amdhsa_forward_progress 0
		.amdhsa_shared_vgpr_count 0
		.amdhsa_exception_fp_ieee_invalid_op 0
		.amdhsa_exception_fp_denorm_src 0
		.amdhsa_exception_fp_ieee_div_zero 0
		.amdhsa_exception_fp_ieee_overflow 0
		.amdhsa_exception_fp_ieee_underflow 0
		.amdhsa_exception_fp_ieee_inexact 0
		.amdhsa_exception_int_div_zero 0
	.end_amdhsa_kernel
	.section	.text._ZN7rocprim17ROCPRIM_400000_NS6detail17trampoline_kernelINS0_13select_configILj256ELj13ELNS0_17block_load_methodE3ELS4_3ELS4_3ELNS0_20block_scan_algorithmE0ELj4294967295EEENS1_25partition_config_selectorILNS1_17partition_subalgoE4EjNS0_10empty_typeEbEEZZNS1_14partition_implILS8_4ELb0ES6_15HIP_vector_typeIjLj2EENS0_17counting_iteratorIjlEEPS9_SG_NS0_5tupleIJPjSI_NS0_16reverse_iteratorISI_EEEEENSH_IJSG_SG_SG_EEES9_SI_JZNS1_25segmented_radix_sort_implINS0_14default_configELb1EPKaPaPKlPlN2at6native12_GLOBAL__N_18offset_tEEE10hipError_tPvRmT1_PNSt15iterator_traitsIS12_E10value_typeET2_T3_PNS13_IS18_E10value_typeET4_jRbjT5_S1E_jjP12ihipStream_tbEUljE_ZNSN_ISO_Lb1ESQ_SR_ST_SU_SY_EESZ_S10_S11_S12_S16_S17_S18_S1B_S1C_jS1D_jS1E_S1E_jjS1G_bEUljE0_EEESZ_S10_S11_S18_S1C_S1E_T6_T7_T9_mT8_S1G_bDpT10_ENKUlT_T0_E_clISt17integral_constantIbLb1EES1T_IbLb0EEEEDaS1P_S1Q_EUlS1P_E_NS1_11comp_targetILNS1_3genE5ELNS1_11target_archE942ELNS1_3gpuE9ELNS1_3repE0EEENS1_30default_config_static_selectorELNS0_4arch9wavefront6targetE0EEEvS12_,"axG",@progbits,_ZN7rocprim17ROCPRIM_400000_NS6detail17trampoline_kernelINS0_13select_configILj256ELj13ELNS0_17block_load_methodE3ELS4_3ELS4_3ELNS0_20block_scan_algorithmE0ELj4294967295EEENS1_25partition_config_selectorILNS1_17partition_subalgoE4EjNS0_10empty_typeEbEEZZNS1_14partition_implILS8_4ELb0ES6_15HIP_vector_typeIjLj2EENS0_17counting_iteratorIjlEEPS9_SG_NS0_5tupleIJPjSI_NS0_16reverse_iteratorISI_EEEEENSH_IJSG_SG_SG_EEES9_SI_JZNS1_25segmented_radix_sort_implINS0_14default_configELb1EPKaPaPKlPlN2at6native12_GLOBAL__N_18offset_tEEE10hipError_tPvRmT1_PNSt15iterator_traitsIS12_E10value_typeET2_T3_PNS13_IS18_E10value_typeET4_jRbjT5_S1E_jjP12ihipStream_tbEUljE_ZNSN_ISO_Lb1ESQ_SR_ST_SU_SY_EESZ_S10_S11_S12_S16_S17_S18_S1B_S1C_jS1D_jS1E_S1E_jjS1G_bEUljE0_EEESZ_S10_S11_S18_S1C_S1E_T6_T7_T9_mT8_S1G_bDpT10_ENKUlT_T0_E_clISt17integral_constantIbLb1EES1T_IbLb0EEEEDaS1P_S1Q_EUlS1P_E_NS1_11comp_targetILNS1_3genE5ELNS1_11target_archE942ELNS1_3gpuE9ELNS1_3repE0EEENS1_30default_config_static_selectorELNS0_4arch9wavefront6targetE0EEEvS12_,comdat
.Lfunc_end243:
	.size	_ZN7rocprim17ROCPRIM_400000_NS6detail17trampoline_kernelINS0_13select_configILj256ELj13ELNS0_17block_load_methodE3ELS4_3ELS4_3ELNS0_20block_scan_algorithmE0ELj4294967295EEENS1_25partition_config_selectorILNS1_17partition_subalgoE4EjNS0_10empty_typeEbEEZZNS1_14partition_implILS8_4ELb0ES6_15HIP_vector_typeIjLj2EENS0_17counting_iteratorIjlEEPS9_SG_NS0_5tupleIJPjSI_NS0_16reverse_iteratorISI_EEEEENSH_IJSG_SG_SG_EEES9_SI_JZNS1_25segmented_radix_sort_implINS0_14default_configELb1EPKaPaPKlPlN2at6native12_GLOBAL__N_18offset_tEEE10hipError_tPvRmT1_PNSt15iterator_traitsIS12_E10value_typeET2_T3_PNS13_IS18_E10value_typeET4_jRbjT5_S1E_jjP12ihipStream_tbEUljE_ZNSN_ISO_Lb1ESQ_SR_ST_SU_SY_EESZ_S10_S11_S12_S16_S17_S18_S1B_S1C_jS1D_jS1E_S1E_jjS1G_bEUljE0_EEESZ_S10_S11_S18_S1C_S1E_T6_T7_T9_mT8_S1G_bDpT10_ENKUlT_T0_E_clISt17integral_constantIbLb1EES1T_IbLb0EEEEDaS1P_S1Q_EUlS1P_E_NS1_11comp_targetILNS1_3genE5ELNS1_11target_archE942ELNS1_3gpuE9ELNS1_3repE0EEENS1_30default_config_static_selectorELNS0_4arch9wavefront6targetE0EEEvS12_, .Lfunc_end243-_ZN7rocprim17ROCPRIM_400000_NS6detail17trampoline_kernelINS0_13select_configILj256ELj13ELNS0_17block_load_methodE3ELS4_3ELS4_3ELNS0_20block_scan_algorithmE0ELj4294967295EEENS1_25partition_config_selectorILNS1_17partition_subalgoE4EjNS0_10empty_typeEbEEZZNS1_14partition_implILS8_4ELb0ES6_15HIP_vector_typeIjLj2EENS0_17counting_iteratorIjlEEPS9_SG_NS0_5tupleIJPjSI_NS0_16reverse_iteratorISI_EEEEENSH_IJSG_SG_SG_EEES9_SI_JZNS1_25segmented_radix_sort_implINS0_14default_configELb1EPKaPaPKlPlN2at6native12_GLOBAL__N_18offset_tEEE10hipError_tPvRmT1_PNSt15iterator_traitsIS12_E10value_typeET2_T3_PNS13_IS18_E10value_typeET4_jRbjT5_S1E_jjP12ihipStream_tbEUljE_ZNSN_ISO_Lb1ESQ_SR_ST_SU_SY_EESZ_S10_S11_S12_S16_S17_S18_S1B_S1C_jS1D_jS1E_S1E_jjS1G_bEUljE0_EEESZ_S10_S11_S18_S1C_S1E_T6_T7_T9_mT8_S1G_bDpT10_ENKUlT_T0_E_clISt17integral_constantIbLb1EES1T_IbLb0EEEEDaS1P_S1Q_EUlS1P_E_NS1_11comp_targetILNS1_3genE5ELNS1_11target_archE942ELNS1_3gpuE9ELNS1_3repE0EEENS1_30default_config_static_selectorELNS0_4arch9wavefront6targetE0EEEvS12_
                                        ; -- End function
	.section	.AMDGPU.csdata,"",@progbits
; Kernel info:
; codeLenInByte = 0
; NumSgprs: 0
; NumVgprs: 0
; ScratchSize: 0
; MemoryBound: 0
; FloatMode: 240
; IeeeMode: 1
; LDSByteSize: 0 bytes/workgroup (compile time only)
; SGPRBlocks: 0
; VGPRBlocks: 0
; NumSGPRsForWavesPerEU: 1
; NumVGPRsForWavesPerEU: 1
; Occupancy: 16
; WaveLimiterHint : 0
; COMPUTE_PGM_RSRC2:SCRATCH_EN: 0
; COMPUTE_PGM_RSRC2:USER_SGPR: 15
; COMPUTE_PGM_RSRC2:TRAP_HANDLER: 0
; COMPUTE_PGM_RSRC2:TGID_X_EN: 1
; COMPUTE_PGM_RSRC2:TGID_Y_EN: 0
; COMPUTE_PGM_RSRC2:TGID_Z_EN: 0
; COMPUTE_PGM_RSRC2:TIDIG_COMP_CNT: 0
	.section	.text._ZN7rocprim17ROCPRIM_400000_NS6detail17trampoline_kernelINS0_13select_configILj256ELj13ELNS0_17block_load_methodE3ELS4_3ELS4_3ELNS0_20block_scan_algorithmE0ELj4294967295EEENS1_25partition_config_selectorILNS1_17partition_subalgoE4EjNS0_10empty_typeEbEEZZNS1_14partition_implILS8_4ELb0ES6_15HIP_vector_typeIjLj2EENS0_17counting_iteratorIjlEEPS9_SG_NS0_5tupleIJPjSI_NS0_16reverse_iteratorISI_EEEEENSH_IJSG_SG_SG_EEES9_SI_JZNS1_25segmented_radix_sort_implINS0_14default_configELb1EPKaPaPKlPlN2at6native12_GLOBAL__N_18offset_tEEE10hipError_tPvRmT1_PNSt15iterator_traitsIS12_E10value_typeET2_T3_PNS13_IS18_E10value_typeET4_jRbjT5_S1E_jjP12ihipStream_tbEUljE_ZNSN_ISO_Lb1ESQ_SR_ST_SU_SY_EESZ_S10_S11_S12_S16_S17_S18_S1B_S1C_jS1D_jS1E_S1E_jjS1G_bEUljE0_EEESZ_S10_S11_S18_S1C_S1E_T6_T7_T9_mT8_S1G_bDpT10_ENKUlT_T0_E_clISt17integral_constantIbLb1EES1T_IbLb0EEEEDaS1P_S1Q_EUlS1P_E_NS1_11comp_targetILNS1_3genE4ELNS1_11target_archE910ELNS1_3gpuE8ELNS1_3repE0EEENS1_30default_config_static_selectorELNS0_4arch9wavefront6targetE0EEEvS12_,"axG",@progbits,_ZN7rocprim17ROCPRIM_400000_NS6detail17trampoline_kernelINS0_13select_configILj256ELj13ELNS0_17block_load_methodE3ELS4_3ELS4_3ELNS0_20block_scan_algorithmE0ELj4294967295EEENS1_25partition_config_selectorILNS1_17partition_subalgoE4EjNS0_10empty_typeEbEEZZNS1_14partition_implILS8_4ELb0ES6_15HIP_vector_typeIjLj2EENS0_17counting_iteratorIjlEEPS9_SG_NS0_5tupleIJPjSI_NS0_16reverse_iteratorISI_EEEEENSH_IJSG_SG_SG_EEES9_SI_JZNS1_25segmented_radix_sort_implINS0_14default_configELb1EPKaPaPKlPlN2at6native12_GLOBAL__N_18offset_tEEE10hipError_tPvRmT1_PNSt15iterator_traitsIS12_E10value_typeET2_T3_PNS13_IS18_E10value_typeET4_jRbjT5_S1E_jjP12ihipStream_tbEUljE_ZNSN_ISO_Lb1ESQ_SR_ST_SU_SY_EESZ_S10_S11_S12_S16_S17_S18_S1B_S1C_jS1D_jS1E_S1E_jjS1G_bEUljE0_EEESZ_S10_S11_S18_S1C_S1E_T6_T7_T9_mT8_S1G_bDpT10_ENKUlT_T0_E_clISt17integral_constantIbLb1EES1T_IbLb0EEEEDaS1P_S1Q_EUlS1P_E_NS1_11comp_targetILNS1_3genE4ELNS1_11target_archE910ELNS1_3gpuE8ELNS1_3repE0EEENS1_30default_config_static_selectorELNS0_4arch9wavefront6targetE0EEEvS12_,comdat
	.globl	_ZN7rocprim17ROCPRIM_400000_NS6detail17trampoline_kernelINS0_13select_configILj256ELj13ELNS0_17block_load_methodE3ELS4_3ELS4_3ELNS0_20block_scan_algorithmE0ELj4294967295EEENS1_25partition_config_selectorILNS1_17partition_subalgoE4EjNS0_10empty_typeEbEEZZNS1_14partition_implILS8_4ELb0ES6_15HIP_vector_typeIjLj2EENS0_17counting_iteratorIjlEEPS9_SG_NS0_5tupleIJPjSI_NS0_16reverse_iteratorISI_EEEEENSH_IJSG_SG_SG_EEES9_SI_JZNS1_25segmented_radix_sort_implINS0_14default_configELb1EPKaPaPKlPlN2at6native12_GLOBAL__N_18offset_tEEE10hipError_tPvRmT1_PNSt15iterator_traitsIS12_E10value_typeET2_T3_PNS13_IS18_E10value_typeET4_jRbjT5_S1E_jjP12ihipStream_tbEUljE_ZNSN_ISO_Lb1ESQ_SR_ST_SU_SY_EESZ_S10_S11_S12_S16_S17_S18_S1B_S1C_jS1D_jS1E_S1E_jjS1G_bEUljE0_EEESZ_S10_S11_S18_S1C_S1E_T6_T7_T9_mT8_S1G_bDpT10_ENKUlT_T0_E_clISt17integral_constantIbLb1EES1T_IbLb0EEEEDaS1P_S1Q_EUlS1P_E_NS1_11comp_targetILNS1_3genE4ELNS1_11target_archE910ELNS1_3gpuE8ELNS1_3repE0EEENS1_30default_config_static_selectorELNS0_4arch9wavefront6targetE0EEEvS12_ ; -- Begin function _ZN7rocprim17ROCPRIM_400000_NS6detail17trampoline_kernelINS0_13select_configILj256ELj13ELNS0_17block_load_methodE3ELS4_3ELS4_3ELNS0_20block_scan_algorithmE0ELj4294967295EEENS1_25partition_config_selectorILNS1_17partition_subalgoE4EjNS0_10empty_typeEbEEZZNS1_14partition_implILS8_4ELb0ES6_15HIP_vector_typeIjLj2EENS0_17counting_iteratorIjlEEPS9_SG_NS0_5tupleIJPjSI_NS0_16reverse_iteratorISI_EEEEENSH_IJSG_SG_SG_EEES9_SI_JZNS1_25segmented_radix_sort_implINS0_14default_configELb1EPKaPaPKlPlN2at6native12_GLOBAL__N_18offset_tEEE10hipError_tPvRmT1_PNSt15iterator_traitsIS12_E10value_typeET2_T3_PNS13_IS18_E10value_typeET4_jRbjT5_S1E_jjP12ihipStream_tbEUljE_ZNSN_ISO_Lb1ESQ_SR_ST_SU_SY_EESZ_S10_S11_S12_S16_S17_S18_S1B_S1C_jS1D_jS1E_S1E_jjS1G_bEUljE0_EEESZ_S10_S11_S18_S1C_S1E_T6_T7_T9_mT8_S1G_bDpT10_ENKUlT_T0_E_clISt17integral_constantIbLb1EES1T_IbLb0EEEEDaS1P_S1Q_EUlS1P_E_NS1_11comp_targetILNS1_3genE4ELNS1_11target_archE910ELNS1_3gpuE8ELNS1_3repE0EEENS1_30default_config_static_selectorELNS0_4arch9wavefront6targetE0EEEvS12_
	.p2align	8
	.type	_ZN7rocprim17ROCPRIM_400000_NS6detail17trampoline_kernelINS0_13select_configILj256ELj13ELNS0_17block_load_methodE3ELS4_3ELS4_3ELNS0_20block_scan_algorithmE0ELj4294967295EEENS1_25partition_config_selectorILNS1_17partition_subalgoE4EjNS0_10empty_typeEbEEZZNS1_14partition_implILS8_4ELb0ES6_15HIP_vector_typeIjLj2EENS0_17counting_iteratorIjlEEPS9_SG_NS0_5tupleIJPjSI_NS0_16reverse_iteratorISI_EEEEENSH_IJSG_SG_SG_EEES9_SI_JZNS1_25segmented_radix_sort_implINS0_14default_configELb1EPKaPaPKlPlN2at6native12_GLOBAL__N_18offset_tEEE10hipError_tPvRmT1_PNSt15iterator_traitsIS12_E10value_typeET2_T3_PNS13_IS18_E10value_typeET4_jRbjT5_S1E_jjP12ihipStream_tbEUljE_ZNSN_ISO_Lb1ESQ_SR_ST_SU_SY_EESZ_S10_S11_S12_S16_S17_S18_S1B_S1C_jS1D_jS1E_S1E_jjS1G_bEUljE0_EEESZ_S10_S11_S18_S1C_S1E_T6_T7_T9_mT8_S1G_bDpT10_ENKUlT_T0_E_clISt17integral_constantIbLb1EES1T_IbLb0EEEEDaS1P_S1Q_EUlS1P_E_NS1_11comp_targetILNS1_3genE4ELNS1_11target_archE910ELNS1_3gpuE8ELNS1_3repE0EEENS1_30default_config_static_selectorELNS0_4arch9wavefront6targetE0EEEvS12_,@function
_ZN7rocprim17ROCPRIM_400000_NS6detail17trampoline_kernelINS0_13select_configILj256ELj13ELNS0_17block_load_methodE3ELS4_3ELS4_3ELNS0_20block_scan_algorithmE0ELj4294967295EEENS1_25partition_config_selectorILNS1_17partition_subalgoE4EjNS0_10empty_typeEbEEZZNS1_14partition_implILS8_4ELb0ES6_15HIP_vector_typeIjLj2EENS0_17counting_iteratorIjlEEPS9_SG_NS0_5tupleIJPjSI_NS0_16reverse_iteratorISI_EEEEENSH_IJSG_SG_SG_EEES9_SI_JZNS1_25segmented_radix_sort_implINS0_14default_configELb1EPKaPaPKlPlN2at6native12_GLOBAL__N_18offset_tEEE10hipError_tPvRmT1_PNSt15iterator_traitsIS12_E10value_typeET2_T3_PNS13_IS18_E10value_typeET4_jRbjT5_S1E_jjP12ihipStream_tbEUljE_ZNSN_ISO_Lb1ESQ_SR_ST_SU_SY_EESZ_S10_S11_S12_S16_S17_S18_S1B_S1C_jS1D_jS1E_S1E_jjS1G_bEUljE0_EEESZ_S10_S11_S18_S1C_S1E_T6_T7_T9_mT8_S1G_bDpT10_ENKUlT_T0_E_clISt17integral_constantIbLb1EES1T_IbLb0EEEEDaS1P_S1Q_EUlS1P_E_NS1_11comp_targetILNS1_3genE4ELNS1_11target_archE910ELNS1_3gpuE8ELNS1_3repE0EEENS1_30default_config_static_selectorELNS0_4arch9wavefront6targetE0EEEvS12_: ; @_ZN7rocprim17ROCPRIM_400000_NS6detail17trampoline_kernelINS0_13select_configILj256ELj13ELNS0_17block_load_methodE3ELS4_3ELS4_3ELNS0_20block_scan_algorithmE0ELj4294967295EEENS1_25partition_config_selectorILNS1_17partition_subalgoE4EjNS0_10empty_typeEbEEZZNS1_14partition_implILS8_4ELb0ES6_15HIP_vector_typeIjLj2EENS0_17counting_iteratorIjlEEPS9_SG_NS0_5tupleIJPjSI_NS0_16reverse_iteratorISI_EEEEENSH_IJSG_SG_SG_EEES9_SI_JZNS1_25segmented_radix_sort_implINS0_14default_configELb1EPKaPaPKlPlN2at6native12_GLOBAL__N_18offset_tEEE10hipError_tPvRmT1_PNSt15iterator_traitsIS12_E10value_typeET2_T3_PNS13_IS18_E10value_typeET4_jRbjT5_S1E_jjP12ihipStream_tbEUljE_ZNSN_ISO_Lb1ESQ_SR_ST_SU_SY_EESZ_S10_S11_S12_S16_S17_S18_S1B_S1C_jS1D_jS1E_S1E_jjS1G_bEUljE0_EEESZ_S10_S11_S18_S1C_S1E_T6_T7_T9_mT8_S1G_bDpT10_ENKUlT_T0_E_clISt17integral_constantIbLb1EES1T_IbLb0EEEEDaS1P_S1Q_EUlS1P_E_NS1_11comp_targetILNS1_3genE4ELNS1_11target_archE910ELNS1_3gpuE8ELNS1_3repE0EEENS1_30default_config_static_selectorELNS0_4arch9wavefront6targetE0EEEvS12_
; %bb.0:
	.section	.rodata,"a",@progbits
	.p2align	6, 0x0
	.amdhsa_kernel _ZN7rocprim17ROCPRIM_400000_NS6detail17trampoline_kernelINS0_13select_configILj256ELj13ELNS0_17block_load_methodE3ELS4_3ELS4_3ELNS0_20block_scan_algorithmE0ELj4294967295EEENS1_25partition_config_selectorILNS1_17partition_subalgoE4EjNS0_10empty_typeEbEEZZNS1_14partition_implILS8_4ELb0ES6_15HIP_vector_typeIjLj2EENS0_17counting_iteratorIjlEEPS9_SG_NS0_5tupleIJPjSI_NS0_16reverse_iteratorISI_EEEEENSH_IJSG_SG_SG_EEES9_SI_JZNS1_25segmented_radix_sort_implINS0_14default_configELb1EPKaPaPKlPlN2at6native12_GLOBAL__N_18offset_tEEE10hipError_tPvRmT1_PNSt15iterator_traitsIS12_E10value_typeET2_T3_PNS13_IS18_E10value_typeET4_jRbjT5_S1E_jjP12ihipStream_tbEUljE_ZNSN_ISO_Lb1ESQ_SR_ST_SU_SY_EESZ_S10_S11_S12_S16_S17_S18_S1B_S1C_jS1D_jS1E_S1E_jjS1G_bEUljE0_EEESZ_S10_S11_S18_S1C_S1E_T6_T7_T9_mT8_S1G_bDpT10_ENKUlT_T0_E_clISt17integral_constantIbLb1EES1T_IbLb0EEEEDaS1P_S1Q_EUlS1P_E_NS1_11comp_targetILNS1_3genE4ELNS1_11target_archE910ELNS1_3gpuE8ELNS1_3repE0EEENS1_30default_config_static_selectorELNS0_4arch9wavefront6targetE0EEEvS12_
		.amdhsa_group_segment_fixed_size 0
		.amdhsa_private_segment_fixed_size 0
		.amdhsa_kernarg_size 176
		.amdhsa_user_sgpr_count 15
		.amdhsa_user_sgpr_dispatch_ptr 0
		.amdhsa_user_sgpr_queue_ptr 0
		.amdhsa_user_sgpr_kernarg_segment_ptr 1
		.amdhsa_user_sgpr_dispatch_id 0
		.amdhsa_user_sgpr_private_segment_size 0
		.amdhsa_wavefront_size32 1
		.amdhsa_uses_dynamic_stack 0
		.amdhsa_enable_private_segment 0
		.amdhsa_system_sgpr_workgroup_id_x 1
		.amdhsa_system_sgpr_workgroup_id_y 0
		.amdhsa_system_sgpr_workgroup_id_z 0
		.amdhsa_system_sgpr_workgroup_info 0
		.amdhsa_system_vgpr_workitem_id 0
		.amdhsa_next_free_vgpr 1
		.amdhsa_next_free_sgpr 1
		.amdhsa_reserve_vcc 0
		.amdhsa_float_round_mode_32 0
		.amdhsa_float_round_mode_16_64 0
		.amdhsa_float_denorm_mode_32 3
		.amdhsa_float_denorm_mode_16_64 3
		.amdhsa_dx10_clamp 1
		.amdhsa_ieee_mode 1
		.amdhsa_fp16_overflow 0
		.amdhsa_workgroup_processor_mode 1
		.amdhsa_memory_ordered 1
		.amdhsa_forward_progress 0
		.amdhsa_shared_vgpr_count 0
		.amdhsa_exception_fp_ieee_invalid_op 0
		.amdhsa_exception_fp_denorm_src 0
		.amdhsa_exception_fp_ieee_div_zero 0
		.amdhsa_exception_fp_ieee_overflow 0
		.amdhsa_exception_fp_ieee_underflow 0
		.amdhsa_exception_fp_ieee_inexact 0
		.amdhsa_exception_int_div_zero 0
	.end_amdhsa_kernel
	.section	.text._ZN7rocprim17ROCPRIM_400000_NS6detail17trampoline_kernelINS0_13select_configILj256ELj13ELNS0_17block_load_methodE3ELS4_3ELS4_3ELNS0_20block_scan_algorithmE0ELj4294967295EEENS1_25partition_config_selectorILNS1_17partition_subalgoE4EjNS0_10empty_typeEbEEZZNS1_14partition_implILS8_4ELb0ES6_15HIP_vector_typeIjLj2EENS0_17counting_iteratorIjlEEPS9_SG_NS0_5tupleIJPjSI_NS0_16reverse_iteratorISI_EEEEENSH_IJSG_SG_SG_EEES9_SI_JZNS1_25segmented_radix_sort_implINS0_14default_configELb1EPKaPaPKlPlN2at6native12_GLOBAL__N_18offset_tEEE10hipError_tPvRmT1_PNSt15iterator_traitsIS12_E10value_typeET2_T3_PNS13_IS18_E10value_typeET4_jRbjT5_S1E_jjP12ihipStream_tbEUljE_ZNSN_ISO_Lb1ESQ_SR_ST_SU_SY_EESZ_S10_S11_S12_S16_S17_S18_S1B_S1C_jS1D_jS1E_S1E_jjS1G_bEUljE0_EEESZ_S10_S11_S18_S1C_S1E_T6_T7_T9_mT8_S1G_bDpT10_ENKUlT_T0_E_clISt17integral_constantIbLb1EES1T_IbLb0EEEEDaS1P_S1Q_EUlS1P_E_NS1_11comp_targetILNS1_3genE4ELNS1_11target_archE910ELNS1_3gpuE8ELNS1_3repE0EEENS1_30default_config_static_selectorELNS0_4arch9wavefront6targetE0EEEvS12_,"axG",@progbits,_ZN7rocprim17ROCPRIM_400000_NS6detail17trampoline_kernelINS0_13select_configILj256ELj13ELNS0_17block_load_methodE3ELS4_3ELS4_3ELNS0_20block_scan_algorithmE0ELj4294967295EEENS1_25partition_config_selectorILNS1_17partition_subalgoE4EjNS0_10empty_typeEbEEZZNS1_14partition_implILS8_4ELb0ES6_15HIP_vector_typeIjLj2EENS0_17counting_iteratorIjlEEPS9_SG_NS0_5tupleIJPjSI_NS0_16reverse_iteratorISI_EEEEENSH_IJSG_SG_SG_EEES9_SI_JZNS1_25segmented_radix_sort_implINS0_14default_configELb1EPKaPaPKlPlN2at6native12_GLOBAL__N_18offset_tEEE10hipError_tPvRmT1_PNSt15iterator_traitsIS12_E10value_typeET2_T3_PNS13_IS18_E10value_typeET4_jRbjT5_S1E_jjP12ihipStream_tbEUljE_ZNSN_ISO_Lb1ESQ_SR_ST_SU_SY_EESZ_S10_S11_S12_S16_S17_S18_S1B_S1C_jS1D_jS1E_S1E_jjS1G_bEUljE0_EEESZ_S10_S11_S18_S1C_S1E_T6_T7_T9_mT8_S1G_bDpT10_ENKUlT_T0_E_clISt17integral_constantIbLb1EES1T_IbLb0EEEEDaS1P_S1Q_EUlS1P_E_NS1_11comp_targetILNS1_3genE4ELNS1_11target_archE910ELNS1_3gpuE8ELNS1_3repE0EEENS1_30default_config_static_selectorELNS0_4arch9wavefront6targetE0EEEvS12_,comdat
.Lfunc_end244:
	.size	_ZN7rocprim17ROCPRIM_400000_NS6detail17trampoline_kernelINS0_13select_configILj256ELj13ELNS0_17block_load_methodE3ELS4_3ELS4_3ELNS0_20block_scan_algorithmE0ELj4294967295EEENS1_25partition_config_selectorILNS1_17partition_subalgoE4EjNS0_10empty_typeEbEEZZNS1_14partition_implILS8_4ELb0ES6_15HIP_vector_typeIjLj2EENS0_17counting_iteratorIjlEEPS9_SG_NS0_5tupleIJPjSI_NS0_16reverse_iteratorISI_EEEEENSH_IJSG_SG_SG_EEES9_SI_JZNS1_25segmented_radix_sort_implINS0_14default_configELb1EPKaPaPKlPlN2at6native12_GLOBAL__N_18offset_tEEE10hipError_tPvRmT1_PNSt15iterator_traitsIS12_E10value_typeET2_T3_PNS13_IS18_E10value_typeET4_jRbjT5_S1E_jjP12ihipStream_tbEUljE_ZNSN_ISO_Lb1ESQ_SR_ST_SU_SY_EESZ_S10_S11_S12_S16_S17_S18_S1B_S1C_jS1D_jS1E_S1E_jjS1G_bEUljE0_EEESZ_S10_S11_S18_S1C_S1E_T6_T7_T9_mT8_S1G_bDpT10_ENKUlT_T0_E_clISt17integral_constantIbLb1EES1T_IbLb0EEEEDaS1P_S1Q_EUlS1P_E_NS1_11comp_targetILNS1_3genE4ELNS1_11target_archE910ELNS1_3gpuE8ELNS1_3repE0EEENS1_30default_config_static_selectorELNS0_4arch9wavefront6targetE0EEEvS12_, .Lfunc_end244-_ZN7rocprim17ROCPRIM_400000_NS6detail17trampoline_kernelINS0_13select_configILj256ELj13ELNS0_17block_load_methodE3ELS4_3ELS4_3ELNS0_20block_scan_algorithmE0ELj4294967295EEENS1_25partition_config_selectorILNS1_17partition_subalgoE4EjNS0_10empty_typeEbEEZZNS1_14partition_implILS8_4ELb0ES6_15HIP_vector_typeIjLj2EENS0_17counting_iteratorIjlEEPS9_SG_NS0_5tupleIJPjSI_NS0_16reverse_iteratorISI_EEEEENSH_IJSG_SG_SG_EEES9_SI_JZNS1_25segmented_radix_sort_implINS0_14default_configELb1EPKaPaPKlPlN2at6native12_GLOBAL__N_18offset_tEEE10hipError_tPvRmT1_PNSt15iterator_traitsIS12_E10value_typeET2_T3_PNS13_IS18_E10value_typeET4_jRbjT5_S1E_jjP12ihipStream_tbEUljE_ZNSN_ISO_Lb1ESQ_SR_ST_SU_SY_EESZ_S10_S11_S12_S16_S17_S18_S1B_S1C_jS1D_jS1E_S1E_jjS1G_bEUljE0_EEESZ_S10_S11_S18_S1C_S1E_T6_T7_T9_mT8_S1G_bDpT10_ENKUlT_T0_E_clISt17integral_constantIbLb1EES1T_IbLb0EEEEDaS1P_S1Q_EUlS1P_E_NS1_11comp_targetILNS1_3genE4ELNS1_11target_archE910ELNS1_3gpuE8ELNS1_3repE0EEENS1_30default_config_static_selectorELNS0_4arch9wavefront6targetE0EEEvS12_
                                        ; -- End function
	.section	.AMDGPU.csdata,"",@progbits
; Kernel info:
; codeLenInByte = 0
; NumSgprs: 0
; NumVgprs: 0
; ScratchSize: 0
; MemoryBound: 0
; FloatMode: 240
; IeeeMode: 1
; LDSByteSize: 0 bytes/workgroup (compile time only)
; SGPRBlocks: 0
; VGPRBlocks: 0
; NumSGPRsForWavesPerEU: 1
; NumVGPRsForWavesPerEU: 1
; Occupancy: 16
; WaveLimiterHint : 0
; COMPUTE_PGM_RSRC2:SCRATCH_EN: 0
; COMPUTE_PGM_RSRC2:USER_SGPR: 15
; COMPUTE_PGM_RSRC2:TRAP_HANDLER: 0
; COMPUTE_PGM_RSRC2:TGID_X_EN: 1
; COMPUTE_PGM_RSRC2:TGID_Y_EN: 0
; COMPUTE_PGM_RSRC2:TGID_Z_EN: 0
; COMPUTE_PGM_RSRC2:TIDIG_COMP_CNT: 0
	.section	.text._ZN7rocprim17ROCPRIM_400000_NS6detail17trampoline_kernelINS0_13select_configILj256ELj13ELNS0_17block_load_methodE3ELS4_3ELS4_3ELNS0_20block_scan_algorithmE0ELj4294967295EEENS1_25partition_config_selectorILNS1_17partition_subalgoE4EjNS0_10empty_typeEbEEZZNS1_14partition_implILS8_4ELb0ES6_15HIP_vector_typeIjLj2EENS0_17counting_iteratorIjlEEPS9_SG_NS0_5tupleIJPjSI_NS0_16reverse_iteratorISI_EEEEENSH_IJSG_SG_SG_EEES9_SI_JZNS1_25segmented_radix_sort_implINS0_14default_configELb1EPKaPaPKlPlN2at6native12_GLOBAL__N_18offset_tEEE10hipError_tPvRmT1_PNSt15iterator_traitsIS12_E10value_typeET2_T3_PNS13_IS18_E10value_typeET4_jRbjT5_S1E_jjP12ihipStream_tbEUljE_ZNSN_ISO_Lb1ESQ_SR_ST_SU_SY_EESZ_S10_S11_S12_S16_S17_S18_S1B_S1C_jS1D_jS1E_S1E_jjS1G_bEUljE0_EEESZ_S10_S11_S18_S1C_S1E_T6_T7_T9_mT8_S1G_bDpT10_ENKUlT_T0_E_clISt17integral_constantIbLb1EES1T_IbLb0EEEEDaS1P_S1Q_EUlS1P_E_NS1_11comp_targetILNS1_3genE3ELNS1_11target_archE908ELNS1_3gpuE7ELNS1_3repE0EEENS1_30default_config_static_selectorELNS0_4arch9wavefront6targetE0EEEvS12_,"axG",@progbits,_ZN7rocprim17ROCPRIM_400000_NS6detail17trampoline_kernelINS0_13select_configILj256ELj13ELNS0_17block_load_methodE3ELS4_3ELS4_3ELNS0_20block_scan_algorithmE0ELj4294967295EEENS1_25partition_config_selectorILNS1_17partition_subalgoE4EjNS0_10empty_typeEbEEZZNS1_14partition_implILS8_4ELb0ES6_15HIP_vector_typeIjLj2EENS0_17counting_iteratorIjlEEPS9_SG_NS0_5tupleIJPjSI_NS0_16reverse_iteratorISI_EEEEENSH_IJSG_SG_SG_EEES9_SI_JZNS1_25segmented_radix_sort_implINS0_14default_configELb1EPKaPaPKlPlN2at6native12_GLOBAL__N_18offset_tEEE10hipError_tPvRmT1_PNSt15iterator_traitsIS12_E10value_typeET2_T3_PNS13_IS18_E10value_typeET4_jRbjT5_S1E_jjP12ihipStream_tbEUljE_ZNSN_ISO_Lb1ESQ_SR_ST_SU_SY_EESZ_S10_S11_S12_S16_S17_S18_S1B_S1C_jS1D_jS1E_S1E_jjS1G_bEUljE0_EEESZ_S10_S11_S18_S1C_S1E_T6_T7_T9_mT8_S1G_bDpT10_ENKUlT_T0_E_clISt17integral_constantIbLb1EES1T_IbLb0EEEEDaS1P_S1Q_EUlS1P_E_NS1_11comp_targetILNS1_3genE3ELNS1_11target_archE908ELNS1_3gpuE7ELNS1_3repE0EEENS1_30default_config_static_selectorELNS0_4arch9wavefront6targetE0EEEvS12_,comdat
	.globl	_ZN7rocprim17ROCPRIM_400000_NS6detail17trampoline_kernelINS0_13select_configILj256ELj13ELNS0_17block_load_methodE3ELS4_3ELS4_3ELNS0_20block_scan_algorithmE0ELj4294967295EEENS1_25partition_config_selectorILNS1_17partition_subalgoE4EjNS0_10empty_typeEbEEZZNS1_14partition_implILS8_4ELb0ES6_15HIP_vector_typeIjLj2EENS0_17counting_iteratorIjlEEPS9_SG_NS0_5tupleIJPjSI_NS0_16reverse_iteratorISI_EEEEENSH_IJSG_SG_SG_EEES9_SI_JZNS1_25segmented_radix_sort_implINS0_14default_configELb1EPKaPaPKlPlN2at6native12_GLOBAL__N_18offset_tEEE10hipError_tPvRmT1_PNSt15iterator_traitsIS12_E10value_typeET2_T3_PNS13_IS18_E10value_typeET4_jRbjT5_S1E_jjP12ihipStream_tbEUljE_ZNSN_ISO_Lb1ESQ_SR_ST_SU_SY_EESZ_S10_S11_S12_S16_S17_S18_S1B_S1C_jS1D_jS1E_S1E_jjS1G_bEUljE0_EEESZ_S10_S11_S18_S1C_S1E_T6_T7_T9_mT8_S1G_bDpT10_ENKUlT_T0_E_clISt17integral_constantIbLb1EES1T_IbLb0EEEEDaS1P_S1Q_EUlS1P_E_NS1_11comp_targetILNS1_3genE3ELNS1_11target_archE908ELNS1_3gpuE7ELNS1_3repE0EEENS1_30default_config_static_selectorELNS0_4arch9wavefront6targetE0EEEvS12_ ; -- Begin function _ZN7rocprim17ROCPRIM_400000_NS6detail17trampoline_kernelINS0_13select_configILj256ELj13ELNS0_17block_load_methodE3ELS4_3ELS4_3ELNS0_20block_scan_algorithmE0ELj4294967295EEENS1_25partition_config_selectorILNS1_17partition_subalgoE4EjNS0_10empty_typeEbEEZZNS1_14partition_implILS8_4ELb0ES6_15HIP_vector_typeIjLj2EENS0_17counting_iteratorIjlEEPS9_SG_NS0_5tupleIJPjSI_NS0_16reverse_iteratorISI_EEEEENSH_IJSG_SG_SG_EEES9_SI_JZNS1_25segmented_radix_sort_implINS0_14default_configELb1EPKaPaPKlPlN2at6native12_GLOBAL__N_18offset_tEEE10hipError_tPvRmT1_PNSt15iterator_traitsIS12_E10value_typeET2_T3_PNS13_IS18_E10value_typeET4_jRbjT5_S1E_jjP12ihipStream_tbEUljE_ZNSN_ISO_Lb1ESQ_SR_ST_SU_SY_EESZ_S10_S11_S12_S16_S17_S18_S1B_S1C_jS1D_jS1E_S1E_jjS1G_bEUljE0_EEESZ_S10_S11_S18_S1C_S1E_T6_T7_T9_mT8_S1G_bDpT10_ENKUlT_T0_E_clISt17integral_constantIbLb1EES1T_IbLb0EEEEDaS1P_S1Q_EUlS1P_E_NS1_11comp_targetILNS1_3genE3ELNS1_11target_archE908ELNS1_3gpuE7ELNS1_3repE0EEENS1_30default_config_static_selectorELNS0_4arch9wavefront6targetE0EEEvS12_
	.p2align	8
	.type	_ZN7rocprim17ROCPRIM_400000_NS6detail17trampoline_kernelINS0_13select_configILj256ELj13ELNS0_17block_load_methodE3ELS4_3ELS4_3ELNS0_20block_scan_algorithmE0ELj4294967295EEENS1_25partition_config_selectorILNS1_17partition_subalgoE4EjNS0_10empty_typeEbEEZZNS1_14partition_implILS8_4ELb0ES6_15HIP_vector_typeIjLj2EENS0_17counting_iteratorIjlEEPS9_SG_NS0_5tupleIJPjSI_NS0_16reverse_iteratorISI_EEEEENSH_IJSG_SG_SG_EEES9_SI_JZNS1_25segmented_radix_sort_implINS0_14default_configELb1EPKaPaPKlPlN2at6native12_GLOBAL__N_18offset_tEEE10hipError_tPvRmT1_PNSt15iterator_traitsIS12_E10value_typeET2_T3_PNS13_IS18_E10value_typeET4_jRbjT5_S1E_jjP12ihipStream_tbEUljE_ZNSN_ISO_Lb1ESQ_SR_ST_SU_SY_EESZ_S10_S11_S12_S16_S17_S18_S1B_S1C_jS1D_jS1E_S1E_jjS1G_bEUljE0_EEESZ_S10_S11_S18_S1C_S1E_T6_T7_T9_mT8_S1G_bDpT10_ENKUlT_T0_E_clISt17integral_constantIbLb1EES1T_IbLb0EEEEDaS1P_S1Q_EUlS1P_E_NS1_11comp_targetILNS1_3genE3ELNS1_11target_archE908ELNS1_3gpuE7ELNS1_3repE0EEENS1_30default_config_static_selectorELNS0_4arch9wavefront6targetE0EEEvS12_,@function
_ZN7rocprim17ROCPRIM_400000_NS6detail17trampoline_kernelINS0_13select_configILj256ELj13ELNS0_17block_load_methodE3ELS4_3ELS4_3ELNS0_20block_scan_algorithmE0ELj4294967295EEENS1_25partition_config_selectorILNS1_17partition_subalgoE4EjNS0_10empty_typeEbEEZZNS1_14partition_implILS8_4ELb0ES6_15HIP_vector_typeIjLj2EENS0_17counting_iteratorIjlEEPS9_SG_NS0_5tupleIJPjSI_NS0_16reverse_iteratorISI_EEEEENSH_IJSG_SG_SG_EEES9_SI_JZNS1_25segmented_radix_sort_implINS0_14default_configELb1EPKaPaPKlPlN2at6native12_GLOBAL__N_18offset_tEEE10hipError_tPvRmT1_PNSt15iterator_traitsIS12_E10value_typeET2_T3_PNS13_IS18_E10value_typeET4_jRbjT5_S1E_jjP12ihipStream_tbEUljE_ZNSN_ISO_Lb1ESQ_SR_ST_SU_SY_EESZ_S10_S11_S12_S16_S17_S18_S1B_S1C_jS1D_jS1E_S1E_jjS1G_bEUljE0_EEESZ_S10_S11_S18_S1C_S1E_T6_T7_T9_mT8_S1G_bDpT10_ENKUlT_T0_E_clISt17integral_constantIbLb1EES1T_IbLb0EEEEDaS1P_S1Q_EUlS1P_E_NS1_11comp_targetILNS1_3genE3ELNS1_11target_archE908ELNS1_3gpuE7ELNS1_3repE0EEENS1_30default_config_static_selectorELNS0_4arch9wavefront6targetE0EEEvS12_: ; @_ZN7rocprim17ROCPRIM_400000_NS6detail17trampoline_kernelINS0_13select_configILj256ELj13ELNS0_17block_load_methodE3ELS4_3ELS4_3ELNS0_20block_scan_algorithmE0ELj4294967295EEENS1_25partition_config_selectorILNS1_17partition_subalgoE4EjNS0_10empty_typeEbEEZZNS1_14partition_implILS8_4ELb0ES6_15HIP_vector_typeIjLj2EENS0_17counting_iteratorIjlEEPS9_SG_NS0_5tupleIJPjSI_NS0_16reverse_iteratorISI_EEEEENSH_IJSG_SG_SG_EEES9_SI_JZNS1_25segmented_radix_sort_implINS0_14default_configELb1EPKaPaPKlPlN2at6native12_GLOBAL__N_18offset_tEEE10hipError_tPvRmT1_PNSt15iterator_traitsIS12_E10value_typeET2_T3_PNS13_IS18_E10value_typeET4_jRbjT5_S1E_jjP12ihipStream_tbEUljE_ZNSN_ISO_Lb1ESQ_SR_ST_SU_SY_EESZ_S10_S11_S12_S16_S17_S18_S1B_S1C_jS1D_jS1E_S1E_jjS1G_bEUljE0_EEESZ_S10_S11_S18_S1C_S1E_T6_T7_T9_mT8_S1G_bDpT10_ENKUlT_T0_E_clISt17integral_constantIbLb1EES1T_IbLb0EEEEDaS1P_S1Q_EUlS1P_E_NS1_11comp_targetILNS1_3genE3ELNS1_11target_archE908ELNS1_3gpuE7ELNS1_3repE0EEENS1_30default_config_static_selectorELNS0_4arch9wavefront6targetE0EEEvS12_
; %bb.0:
	.section	.rodata,"a",@progbits
	.p2align	6, 0x0
	.amdhsa_kernel _ZN7rocprim17ROCPRIM_400000_NS6detail17trampoline_kernelINS0_13select_configILj256ELj13ELNS0_17block_load_methodE3ELS4_3ELS4_3ELNS0_20block_scan_algorithmE0ELj4294967295EEENS1_25partition_config_selectorILNS1_17partition_subalgoE4EjNS0_10empty_typeEbEEZZNS1_14partition_implILS8_4ELb0ES6_15HIP_vector_typeIjLj2EENS0_17counting_iteratorIjlEEPS9_SG_NS0_5tupleIJPjSI_NS0_16reverse_iteratorISI_EEEEENSH_IJSG_SG_SG_EEES9_SI_JZNS1_25segmented_radix_sort_implINS0_14default_configELb1EPKaPaPKlPlN2at6native12_GLOBAL__N_18offset_tEEE10hipError_tPvRmT1_PNSt15iterator_traitsIS12_E10value_typeET2_T3_PNS13_IS18_E10value_typeET4_jRbjT5_S1E_jjP12ihipStream_tbEUljE_ZNSN_ISO_Lb1ESQ_SR_ST_SU_SY_EESZ_S10_S11_S12_S16_S17_S18_S1B_S1C_jS1D_jS1E_S1E_jjS1G_bEUljE0_EEESZ_S10_S11_S18_S1C_S1E_T6_T7_T9_mT8_S1G_bDpT10_ENKUlT_T0_E_clISt17integral_constantIbLb1EES1T_IbLb0EEEEDaS1P_S1Q_EUlS1P_E_NS1_11comp_targetILNS1_3genE3ELNS1_11target_archE908ELNS1_3gpuE7ELNS1_3repE0EEENS1_30default_config_static_selectorELNS0_4arch9wavefront6targetE0EEEvS12_
		.amdhsa_group_segment_fixed_size 0
		.amdhsa_private_segment_fixed_size 0
		.amdhsa_kernarg_size 176
		.amdhsa_user_sgpr_count 15
		.amdhsa_user_sgpr_dispatch_ptr 0
		.amdhsa_user_sgpr_queue_ptr 0
		.amdhsa_user_sgpr_kernarg_segment_ptr 1
		.amdhsa_user_sgpr_dispatch_id 0
		.amdhsa_user_sgpr_private_segment_size 0
		.amdhsa_wavefront_size32 1
		.amdhsa_uses_dynamic_stack 0
		.amdhsa_enable_private_segment 0
		.amdhsa_system_sgpr_workgroup_id_x 1
		.amdhsa_system_sgpr_workgroup_id_y 0
		.amdhsa_system_sgpr_workgroup_id_z 0
		.amdhsa_system_sgpr_workgroup_info 0
		.amdhsa_system_vgpr_workitem_id 0
		.amdhsa_next_free_vgpr 1
		.amdhsa_next_free_sgpr 1
		.amdhsa_reserve_vcc 0
		.amdhsa_float_round_mode_32 0
		.amdhsa_float_round_mode_16_64 0
		.amdhsa_float_denorm_mode_32 3
		.amdhsa_float_denorm_mode_16_64 3
		.amdhsa_dx10_clamp 1
		.amdhsa_ieee_mode 1
		.amdhsa_fp16_overflow 0
		.amdhsa_workgroup_processor_mode 1
		.amdhsa_memory_ordered 1
		.amdhsa_forward_progress 0
		.amdhsa_shared_vgpr_count 0
		.amdhsa_exception_fp_ieee_invalid_op 0
		.amdhsa_exception_fp_denorm_src 0
		.amdhsa_exception_fp_ieee_div_zero 0
		.amdhsa_exception_fp_ieee_overflow 0
		.amdhsa_exception_fp_ieee_underflow 0
		.amdhsa_exception_fp_ieee_inexact 0
		.amdhsa_exception_int_div_zero 0
	.end_amdhsa_kernel
	.section	.text._ZN7rocprim17ROCPRIM_400000_NS6detail17trampoline_kernelINS0_13select_configILj256ELj13ELNS0_17block_load_methodE3ELS4_3ELS4_3ELNS0_20block_scan_algorithmE0ELj4294967295EEENS1_25partition_config_selectorILNS1_17partition_subalgoE4EjNS0_10empty_typeEbEEZZNS1_14partition_implILS8_4ELb0ES6_15HIP_vector_typeIjLj2EENS0_17counting_iteratorIjlEEPS9_SG_NS0_5tupleIJPjSI_NS0_16reverse_iteratorISI_EEEEENSH_IJSG_SG_SG_EEES9_SI_JZNS1_25segmented_radix_sort_implINS0_14default_configELb1EPKaPaPKlPlN2at6native12_GLOBAL__N_18offset_tEEE10hipError_tPvRmT1_PNSt15iterator_traitsIS12_E10value_typeET2_T3_PNS13_IS18_E10value_typeET4_jRbjT5_S1E_jjP12ihipStream_tbEUljE_ZNSN_ISO_Lb1ESQ_SR_ST_SU_SY_EESZ_S10_S11_S12_S16_S17_S18_S1B_S1C_jS1D_jS1E_S1E_jjS1G_bEUljE0_EEESZ_S10_S11_S18_S1C_S1E_T6_T7_T9_mT8_S1G_bDpT10_ENKUlT_T0_E_clISt17integral_constantIbLb1EES1T_IbLb0EEEEDaS1P_S1Q_EUlS1P_E_NS1_11comp_targetILNS1_3genE3ELNS1_11target_archE908ELNS1_3gpuE7ELNS1_3repE0EEENS1_30default_config_static_selectorELNS0_4arch9wavefront6targetE0EEEvS12_,"axG",@progbits,_ZN7rocprim17ROCPRIM_400000_NS6detail17trampoline_kernelINS0_13select_configILj256ELj13ELNS0_17block_load_methodE3ELS4_3ELS4_3ELNS0_20block_scan_algorithmE0ELj4294967295EEENS1_25partition_config_selectorILNS1_17partition_subalgoE4EjNS0_10empty_typeEbEEZZNS1_14partition_implILS8_4ELb0ES6_15HIP_vector_typeIjLj2EENS0_17counting_iteratorIjlEEPS9_SG_NS0_5tupleIJPjSI_NS0_16reverse_iteratorISI_EEEEENSH_IJSG_SG_SG_EEES9_SI_JZNS1_25segmented_radix_sort_implINS0_14default_configELb1EPKaPaPKlPlN2at6native12_GLOBAL__N_18offset_tEEE10hipError_tPvRmT1_PNSt15iterator_traitsIS12_E10value_typeET2_T3_PNS13_IS18_E10value_typeET4_jRbjT5_S1E_jjP12ihipStream_tbEUljE_ZNSN_ISO_Lb1ESQ_SR_ST_SU_SY_EESZ_S10_S11_S12_S16_S17_S18_S1B_S1C_jS1D_jS1E_S1E_jjS1G_bEUljE0_EEESZ_S10_S11_S18_S1C_S1E_T6_T7_T9_mT8_S1G_bDpT10_ENKUlT_T0_E_clISt17integral_constantIbLb1EES1T_IbLb0EEEEDaS1P_S1Q_EUlS1P_E_NS1_11comp_targetILNS1_3genE3ELNS1_11target_archE908ELNS1_3gpuE7ELNS1_3repE0EEENS1_30default_config_static_selectorELNS0_4arch9wavefront6targetE0EEEvS12_,comdat
.Lfunc_end245:
	.size	_ZN7rocprim17ROCPRIM_400000_NS6detail17trampoline_kernelINS0_13select_configILj256ELj13ELNS0_17block_load_methodE3ELS4_3ELS4_3ELNS0_20block_scan_algorithmE0ELj4294967295EEENS1_25partition_config_selectorILNS1_17partition_subalgoE4EjNS0_10empty_typeEbEEZZNS1_14partition_implILS8_4ELb0ES6_15HIP_vector_typeIjLj2EENS0_17counting_iteratorIjlEEPS9_SG_NS0_5tupleIJPjSI_NS0_16reverse_iteratorISI_EEEEENSH_IJSG_SG_SG_EEES9_SI_JZNS1_25segmented_radix_sort_implINS0_14default_configELb1EPKaPaPKlPlN2at6native12_GLOBAL__N_18offset_tEEE10hipError_tPvRmT1_PNSt15iterator_traitsIS12_E10value_typeET2_T3_PNS13_IS18_E10value_typeET4_jRbjT5_S1E_jjP12ihipStream_tbEUljE_ZNSN_ISO_Lb1ESQ_SR_ST_SU_SY_EESZ_S10_S11_S12_S16_S17_S18_S1B_S1C_jS1D_jS1E_S1E_jjS1G_bEUljE0_EEESZ_S10_S11_S18_S1C_S1E_T6_T7_T9_mT8_S1G_bDpT10_ENKUlT_T0_E_clISt17integral_constantIbLb1EES1T_IbLb0EEEEDaS1P_S1Q_EUlS1P_E_NS1_11comp_targetILNS1_3genE3ELNS1_11target_archE908ELNS1_3gpuE7ELNS1_3repE0EEENS1_30default_config_static_selectorELNS0_4arch9wavefront6targetE0EEEvS12_, .Lfunc_end245-_ZN7rocprim17ROCPRIM_400000_NS6detail17trampoline_kernelINS0_13select_configILj256ELj13ELNS0_17block_load_methodE3ELS4_3ELS4_3ELNS0_20block_scan_algorithmE0ELj4294967295EEENS1_25partition_config_selectorILNS1_17partition_subalgoE4EjNS0_10empty_typeEbEEZZNS1_14partition_implILS8_4ELb0ES6_15HIP_vector_typeIjLj2EENS0_17counting_iteratorIjlEEPS9_SG_NS0_5tupleIJPjSI_NS0_16reverse_iteratorISI_EEEEENSH_IJSG_SG_SG_EEES9_SI_JZNS1_25segmented_radix_sort_implINS0_14default_configELb1EPKaPaPKlPlN2at6native12_GLOBAL__N_18offset_tEEE10hipError_tPvRmT1_PNSt15iterator_traitsIS12_E10value_typeET2_T3_PNS13_IS18_E10value_typeET4_jRbjT5_S1E_jjP12ihipStream_tbEUljE_ZNSN_ISO_Lb1ESQ_SR_ST_SU_SY_EESZ_S10_S11_S12_S16_S17_S18_S1B_S1C_jS1D_jS1E_S1E_jjS1G_bEUljE0_EEESZ_S10_S11_S18_S1C_S1E_T6_T7_T9_mT8_S1G_bDpT10_ENKUlT_T0_E_clISt17integral_constantIbLb1EES1T_IbLb0EEEEDaS1P_S1Q_EUlS1P_E_NS1_11comp_targetILNS1_3genE3ELNS1_11target_archE908ELNS1_3gpuE7ELNS1_3repE0EEENS1_30default_config_static_selectorELNS0_4arch9wavefront6targetE0EEEvS12_
                                        ; -- End function
	.section	.AMDGPU.csdata,"",@progbits
; Kernel info:
; codeLenInByte = 0
; NumSgprs: 0
; NumVgprs: 0
; ScratchSize: 0
; MemoryBound: 0
; FloatMode: 240
; IeeeMode: 1
; LDSByteSize: 0 bytes/workgroup (compile time only)
; SGPRBlocks: 0
; VGPRBlocks: 0
; NumSGPRsForWavesPerEU: 1
; NumVGPRsForWavesPerEU: 1
; Occupancy: 16
; WaveLimiterHint : 0
; COMPUTE_PGM_RSRC2:SCRATCH_EN: 0
; COMPUTE_PGM_RSRC2:USER_SGPR: 15
; COMPUTE_PGM_RSRC2:TRAP_HANDLER: 0
; COMPUTE_PGM_RSRC2:TGID_X_EN: 1
; COMPUTE_PGM_RSRC2:TGID_Y_EN: 0
; COMPUTE_PGM_RSRC2:TGID_Z_EN: 0
; COMPUTE_PGM_RSRC2:TIDIG_COMP_CNT: 0
	.section	.text._ZN7rocprim17ROCPRIM_400000_NS6detail17trampoline_kernelINS0_13select_configILj256ELj13ELNS0_17block_load_methodE3ELS4_3ELS4_3ELNS0_20block_scan_algorithmE0ELj4294967295EEENS1_25partition_config_selectorILNS1_17partition_subalgoE4EjNS0_10empty_typeEbEEZZNS1_14partition_implILS8_4ELb0ES6_15HIP_vector_typeIjLj2EENS0_17counting_iteratorIjlEEPS9_SG_NS0_5tupleIJPjSI_NS0_16reverse_iteratorISI_EEEEENSH_IJSG_SG_SG_EEES9_SI_JZNS1_25segmented_radix_sort_implINS0_14default_configELb1EPKaPaPKlPlN2at6native12_GLOBAL__N_18offset_tEEE10hipError_tPvRmT1_PNSt15iterator_traitsIS12_E10value_typeET2_T3_PNS13_IS18_E10value_typeET4_jRbjT5_S1E_jjP12ihipStream_tbEUljE_ZNSN_ISO_Lb1ESQ_SR_ST_SU_SY_EESZ_S10_S11_S12_S16_S17_S18_S1B_S1C_jS1D_jS1E_S1E_jjS1G_bEUljE0_EEESZ_S10_S11_S18_S1C_S1E_T6_T7_T9_mT8_S1G_bDpT10_ENKUlT_T0_E_clISt17integral_constantIbLb1EES1T_IbLb0EEEEDaS1P_S1Q_EUlS1P_E_NS1_11comp_targetILNS1_3genE2ELNS1_11target_archE906ELNS1_3gpuE6ELNS1_3repE0EEENS1_30default_config_static_selectorELNS0_4arch9wavefront6targetE0EEEvS12_,"axG",@progbits,_ZN7rocprim17ROCPRIM_400000_NS6detail17trampoline_kernelINS0_13select_configILj256ELj13ELNS0_17block_load_methodE3ELS4_3ELS4_3ELNS0_20block_scan_algorithmE0ELj4294967295EEENS1_25partition_config_selectorILNS1_17partition_subalgoE4EjNS0_10empty_typeEbEEZZNS1_14partition_implILS8_4ELb0ES6_15HIP_vector_typeIjLj2EENS0_17counting_iteratorIjlEEPS9_SG_NS0_5tupleIJPjSI_NS0_16reverse_iteratorISI_EEEEENSH_IJSG_SG_SG_EEES9_SI_JZNS1_25segmented_radix_sort_implINS0_14default_configELb1EPKaPaPKlPlN2at6native12_GLOBAL__N_18offset_tEEE10hipError_tPvRmT1_PNSt15iterator_traitsIS12_E10value_typeET2_T3_PNS13_IS18_E10value_typeET4_jRbjT5_S1E_jjP12ihipStream_tbEUljE_ZNSN_ISO_Lb1ESQ_SR_ST_SU_SY_EESZ_S10_S11_S12_S16_S17_S18_S1B_S1C_jS1D_jS1E_S1E_jjS1G_bEUljE0_EEESZ_S10_S11_S18_S1C_S1E_T6_T7_T9_mT8_S1G_bDpT10_ENKUlT_T0_E_clISt17integral_constantIbLb1EES1T_IbLb0EEEEDaS1P_S1Q_EUlS1P_E_NS1_11comp_targetILNS1_3genE2ELNS1_11target_archE906ELNS1_3gpuE6ELNS1_3repE0EEENS1_30default_config_static_selectorELNS0_4arch9wavefront6targetE0EEEvS12_,comdat
	.globl	_ZN7rocprim17ROCPRIM_400000_NS6detail17trampoline_kernelINS0_13select_configILj256ELj13ELNS0_17block_load_methodE3ELS4_3ELS4_3ELNS0_20block_scan_algorithmE0ELj4294967295EEENS1_25partition_config_selectorILNS1_17partition_subalgoE4EjNS0_10empty_typeEbEEZZNS1_14partition_implILS8_4ELb0ES6_15HIP_vector_typeIjLj2EENS0_17counting_iteratorIjlEEPS9_SG_NS0_5tupleIJPjSI_NS0_16reverse_iteratorISI_EEEEENSH_IJSG_SG_SG_EEES9_SI_JZNS1_25segmented_radix_sort_implINS0_14default_configELb1EPKaPaPKlPlN2at6native12_GLOBAL__N_18offset_tEEE10hipError_tPvRmT1_PNSt15iterator_traitsIS12_E10value_typeET2_T3_PNS13_IS18_E10value_typeET4_jRbjT5_S1E_jjP12ihipStream_tbEUljE_ZNSN_ISO_Lb1ESQ_SR_ST_SU_SY_EESZ_S10_S11_S12_S16_S17_S18_S1B_S1C_jS1D_jS1E_S1E_jjS1G_bEUljE0_EEESZ_S10_S11_S18_S1C_S1E_T6_T7_T9_mT8_S1G_bDpT10_ENKUlT_T0_E_clISt17integral_constantIbLb1EES1T_IbLb0EEEEDaS1P_S1Q_EUlS1P_E_NS1_11comp_targetILNS1_3genE2ELNS1_11target_archE906ELNS1_3gpuE6ELNS1_3repE0EEENS1_30default_config_static_selectorELNS0_4arch9wavefront6targetE0EEEvS12_ ; -- Begin function _ZN7rocprim17ROCPRIM_400000_NS6detail17trampoline_kernelINS0_13select_configILj256ELj13ELNS0_17block_load_methodE3ELS4_3ELS4_3ELNS0_20block_scan_algorithmE0ELj4294967295EEENS1_25partition_config_selectorILNS1_17partition_subalgoE4EjNS0_10empty_typeEbEEZZNS1_14partition_implILS8_4ELb0ES6_15HIP_vector_typeIjLj2EENS0_17counting_iteratorIjlEEPS9_SG_NS0_5tupleIJPjSI_NS0_16reverse_iteratorISI_EEEEENSH_IJSG_SG_SG_EEES9_SI_JZNS1_25segmented_radix_sort_implINS0_14default_configELb1EPKaPaPKlPlN2at6native12_GLOBAL__N_18offset_tEEE10hipError_tPvRmT1_PNSt15iterator_traitsIS12_E10value_typeET2_T3_PNS13_IS18_E10value_typeET4_jRbjT5_S1E_jjP12ihipStream_tbEUljE_ZNSN_ISO_Lb1ESQ_SR_ST_SU_SY_EESZ_S10_S11_S12_S16_S17_S18_S1B_S1C_jS1D_jS1E_S1E_jjS1G_bEUljE0_EEESZ_S10_S11_S18_S1C_S1E_T6_T7_T9_mT8_S1G_bDpT10_ENKUlT_T0_E_clISt17integral_constantIbLb1EES1T_IbLb0EEEEDaS1P_S1Q_EUlS1P_E_NS1_11comp_targetILNS1_3genE2ELNS1_11target_archE906ELNS1_3gpuE6ELNS1_3repE0EEENS1_30default_config_static_selectorELNS0_4arch9wavefront6targetE0EEEvS12_
	.p2align	8
	.type	_ZN7rocprim17ROCPRIM_400000_NS6detail17trampoline_kernelINS0_13select_configILj256ELj13ELNS0_17block_load_methodE3ELS4_3ELS4_3ELNS0_20block_scan_algorithmE0ELj4294967295EEENS1_25partition_config_selectorILNS1_17partition_subalgoE4EjNS0_10empty_typeEbEEZZNS1_14partition_implILS8_4ELb0ES6_15HIP_vector_typeIjLj2EENS0_17counting_iteratorIjlEEPS9_SG_NS0_5tupleIJPjSI_NS0_16reverse_iteratorISI_EEEEENSH_IJSG_SG_SG_EEES9_SI_JZNS1_25segmented_radix_sort_implINS0_14default_configELb1EPKaPaPKlPlN2at6native12_GLOBAL__N_18offset_tEEE10hipError_tPvRmT1_PNSt15iterator_traitsIS12_E10value_typeET2_T3_PNS13_IS18_E10value_typeET4_jRbjT5_S1E_jjP12ihipStream_tbEUljE_ZNSN_ISO_Lb1ESQ_SR_ST_SU_SY_EESZ_S10_S11_S12_S16_S17_S18_S1B_S1C_jS1D_jS1E_S1E_jjS1G_bEUljE0_EEESZ_S10_S11_S18_S1C_S1E_T6_T7_T9_mT8_S1G_bDpT10_ENKUlT_T0_E_clISt17integral_constantIbLb1EES1T_IbLb0EEEEDaS1P_S1Q_EUlS1P_E_NS1_11comp_targetILNS1_3genE2ELNS1_11target_archE906ELNS1_3gpuE6ELNS1_3repE0EEENS1_30default_config_static_selectorELNS0_4arch9wavefront6targetE0EEEvS12_,@function
_ZN7rocprim17ROCPRIM_400000_NS6detail17trampoline_kernelINS0_13select_configILj256ELj13ELNS0_17block_load_methodE3ELS4_3ELS4_3ELNS0_20block_scan_algorithmE0ELj4294967295EEENS1_25partition_config_selectorILNS1_17partition_subalgoE4EjNS0_10empty_typeEbEEZZNS1_14partition_implILS8_4ELb0ES6_15HIP_vector_typeIjLj2EENS0_17counting_iteratorIjlEEPS9_SG_NS0_5tupleIJPjSI_NS0_16reverse_iteratorISI_EEEEENSH_IJSG_SG_SG_EEES9_SI_JZNS1_25segmented_radix_sort_implINS0_14default_configELb1EPKaPaPKlPlN2at6native12_GLOBAL__N_18offset_tEEE10hipError_tPvRmT1_PNSt15iterator_traitsIS12_E10value_typeET2_T3_PNS13_IS18_E10value_typeET4_jRbjT5_S1E_jjP12ihipStream_tbEUljE_ZNSN_ISO_Lb1ESQ_SR_ST_SU_SY_EESZ_S10_S11_S12_S16_S17_S18_S1B_S1C_jS1D_jS1E_S1E_jjS1G_bEUljE0_EEESZ_S10_S11_S18_S1C_S1E_T6_T7_T9_mT8_S1G_bDpT10_ENKUlT_T0_E_clISt17integral_constantIbLb1EES1T_IbLb0EEEEDaS1P_S1Q_EUlS1P_E_NS1_11comp_targetILNS1_3genE2ELNS1_11target_archE906ELNS1_3gpuE6ELNS1_3repE0EEENS1_30default_config_static_selectorELNS0_4arch9wavefront6targetE0EEEvS12_: ; @_ZN7rocprim17ROCPRIM_400000_NS6detail17trampoline_kernelINS0_13select_configILj256ELj13ELNS0_17block_load_methodE3ELS4_3ELS4_3ELNS0_20block_scan_algorithmE0ELj4294967295EEENS1_25partition_config_selectorILNS1_17partition_subalgoE4EjNS0_10empty_typeEbEEZZNS1_14partition_implILS8_4ELb0ES6_15HIP_vector_typeIjLj2EENS0_17counting_iteratorIjlEEPS9_SG_NS0_5tupleIJPjSI_NS0_16reverse_iteratorISI_EEEEENSH_IJSG_SG_SG_EEES9_SI_JZNS1_25segmented_radix_sort_implINS0_14default_configELb1EPKaPaPKlPlN2at6native12_GLOBAL__N_18offset_tEEE10hipError_tPvRmT1_PNSt15iterator_traitsIS12_E10value_typeET2_T3_PNS13_IS18_E10value_typeET4_jRbjT5_S1E_jjP12ihipStream_tbEUljE_ZNSN_ISO_Lb1ESQ_SR_ST_SU_SY_EESZ_S10_S11_S12_S16_S17_S18_S1B_S1C_jS1D_jS1E_S1E_jjS1G_bEUljE0_EEESZ_S10_S11_S18_S1C_S1E_T6_T7_T9_mT8_S1G_bDpT10_ENKUlT_T0_E_clISt17integral_constantIbLb1EES1T_IbLb0EEEEDaS1P_S1Q_EUlS1P_E_NS1_11comp_targetILNS1_3genE2ELNS1_11target_archE906ELNS1_3gpuE6ELNS1_3repE0EEENS1_30default_config_static_selectorELNS0_4arch9wavefront6targetE0EEEvS12_
; %bb.0:
	.section	.rodata,"a",@progbits
	.p2align	6, 0x0
	.amdhsa_kernel _ZN7rocprim17ROCPRIM_400000_NS6detail17trampoline_kernelINS0_13select_configILj256ELj13ELNS0_17block_load_methodE3ELS4_3ELS4_3ELNS0_20block_scan_algorithmE0ELj4294967295EEENS1_25partition_config_selectorILNS1_17partition_subalgoE4EjNS0_10empty_typeEbEEZZNS1_14partition_implILS8_4ELb0ES6_15HIP_vector_typeIjLj2EENS0_17counting_iteratorIjlEEPS9_SG_NS0_5tupleIJPjSI_NS0_16reverse_iteratorISI_EEEEENSH_IJSG_SG_SG_EEES9_SI_JZNS1_25segmented_radix_sort_implINS0_14default_configELb1EPKaPaPKlPlN2at6native12_GLOBAL__N_18offset_tEEE10hipError_tPvRmT1_PNSt15iterator_traitsIS12_E10value_typeET2_T3_PNS13_IS18_E10value_typeET4_jRbjT5_S1E_jjP12ihipStream_tbEUljE_ZNSN_ISO_Lb1ESQ_SR_ST_SU_SY_EESZ_S10_S11_S12_S16_S17_S18_S1B_S1C_jS1D_jS1E_S1E_jjS1G_bEUljE0_EEESZ_S10_S11_S18_S1C_S1E_T6_T7_T9_mT8_S1G_bDpT10_ENKUlT_T0_E_clISt17integral_constantIbLb1EES1T_IbLb0EEEEDaS1P_S1Q_EUlS1P_E_NS1_11comp_targetILNS1_3genE2ELNS1_11target_archE906ELNS1_3gpuE6ELNS1_3repE0EEENS1_30default_config_static_selectorELNS0_4arch9wavefront6targetE0EEEvS12_
		.amdhsa_group_segment_fixed_size 0
		.amdhsa_private_segment_fixed_size 0
		.amdhsa_kernarg_size 176
		.amdhsa_user_sgpr_count 15
		.amdhsa_user_sgpr_dispatch_ptr 0
		.amdhsa_user_sgpr_queue_ptr 0
		.amdhsa_user_sgpr_kernarg_segment_ptr 1
		.amdhsa_user_sgpr_dispatch_id 0
		.amdhsa_user_sgpr_private_segment_size 0
		.amdhsa_wavefront_size32 1
		.amdhsa_uses_dynamic_stack 0
		.amdhsa_enable_private_segment 0
		.amdhsa_system_sgpr_workgroup_id_x 1
		.amdhsa_system_sgpr_workgroup_id_y 0
		.amdhsa_system_sgpr_workgroup_id_z 0
		.amdhsa_system_sgpr_workgroup_info 0
		.amdhsa_system_vgpr_workitem_id 0
		.amdhsa_next_free_vgpr 1
		.amdhsa_next_free_sgpr 1
		.amdhsa_reserve_vcc 0
		.amdhsa_float_round_mode_32 0
		.amdhsa_float_round_mode_16_64 0
		.amdhsa_float_denorm_mode_32 3
		.amdhsa_float_denorm_mode_16_64 3
		.amdhsa_dx10_clamp 1
		.amdhsa_ieee_mode 1
		.amdhsa_fp16_overflow 0
		.amdhsa_workgroup_processor_mode 1
		.amdhsa_memory_ordered 1
		.amdhsa_forward_progress 0
		.amdhsa_shared_vgpr_count 0
		.amdhsa_exception_fp_ieee_invalid_op 0
		.amdhsa_exception_fp_denorm_src 0
		.amdhsa_exception_fp_ieee_div_zero 0
		.amdhsa_exception_fp_ieee_overflow 0
		.amdhsa_exception_fp_ieee_underflow 0
		.amdhsa_exception_fp_ieee_inexact 0
		.amdhsa_exception_int_div_zero 0
	.end_amdhsa_kernel
	.section	.text._ZN7rocprim17ROCPRIM_400000_NS6detail17trampoline_kernelINS0_13select_configILj256ELj13ELNS0_17block_load_methodE3ELS4_3ELS4_3ELNS0_20block_scan_algorithmE0ELj4294967295EEENS1_25partition_config_selectorILNS1_17partition_subalgoE4EjNS0_10empty_typeEbEEZZNS1_14partition_implILS8_4ELb0ES6_15HIP_vector_typeIjLj2EENS0_17counting_iteratorIjlEEPS9_SG_NS0_5tupleIJPjSI_NS0_16reverse_iteratorISI_EEEEENSH_IJSG_SG_SG_EEES9_SI_JZNS1_25segmented_radix_sort_implINS0_14default_configELb1EPKaPaPKlPlN2at6native12_GLOBAL__N_18offset_tEEE10hipError_tPvRmT1_PNSt15iterator_traitsIS12_E10value_typeET2_T3_PNS13_IS18_E10value_typeET4_jRbjT5_S1E_jjP12ihipStream_tbEUljE_ZNSN_ISO_Lb1ESQ_SR_ST_SU_SY_EESZ_S10_S11_S12_S16_S17_S18_S1B_S1C_jS1D_jS1E_S1E_jjS1G_bEUljE0_EEESZ_S10_S11_S18_S1C_S1E_T6_T7_T9_mT8_S1G_bDpT10_ENKUlT_T0_E_clISt17integral_constantIbLb1EES1T_IbLb0EEEEDaS1P_S1Q_EUlS1P_E_NS1_11comp_targetILNS1_3genE2ELNS1_11target_archE906ELNS1_3gpuE6ELNS1_3repE0EEENS1_30default_config_static_selectorELNS0_4arch9wavefront6targetE0EEEvS12_,"axG",@progbits,_ZN7rocprim17ROCPRIM_400000_NS6detail17trampoline_kernelINS0_13select_configILj256ELj13ELNS0_17block_load_methodE3ELS4_3ELS4_3ELNS0_20block_scan_algorithmE0ELj4294967295EEENS1_25partition_config_selectorILNS1_17partition_subalgoE4EjNS0_10empty_typeEbEEZZNS1_14partition_implILS8_4ELb0ES6_15HIP_vector_typeIjLj2EENS0_17counting_iteratorIjlEEPS9_SG_NS0_5tupleIJPjSI_NS0_16reverse_iteratorISI_EEEEENSH_IJSG_SG_SG_EEES9_SI_JZNS1_25segmented_radix_sort_implINS0_14default_configELb1EPKaPaPKlPlN2at6native12_GLOBAL__N_18offset_tEEE10hipError_tPvRmT1_PNSt15iterator_traitsIS12_E10value_typeET2_T3_PNS13_IS18_E10value_typeET4_jRbjT5_S1E_jjP12ihipStream_tbEUljE_ZNSN_ISO_Lb1ESQ_SR_ST_SU_SY_EESZ_S10_S11_S12_S16_S17_S18_S1B_S1C_jS1D_jS1E_S1E_jjS1G_bEUljE0_EEESZ_S10_S11_S18_S1C_S1E_T6_T7_T9_mT8_S1G_bDpT10_ENKUlT_T0_E_clISt17integral_constantIbLb1EES1T_IbLb0EEEEDaS1P_S1Q_EUlS1P_E_NS1_11comp_targetILNS1_3genE2ELNS1_11target_archE906ELNS1_3gpuE6ELNS1_3repE0EEENS1_30default_config_static_selectorELNS0_4arch9wavefront6targetE0EEEvS12_,comdat
.Lfunc_end246:
	.size	_ZN7rocprim17ROCPRIM_400000_NS6detail17trampoline_kernelINS0_13select_configILj256ELj13ELNS0_17block_load_methodE3ELS4_3ELS4_3ELNS0_20block_scan_algorithmE0ELj4294967295EEENS1_25partition_config_selectorILNS1_17partition_subalgoE4EjNS0_10empty_typeEbEEZZNS1_14partition_implILS8_4ELb0ES6_15HIP_vector_typeIjLj2EENS0_17counting_iteratorIjlEEPS9_SG_NS0_5tupleIJPjSI_NS0_16reverse_iteratorISI_EEEEENSH_IJSG_SG_SG_EEES9_SI_JZNS1_25segmented_radix_sort_implINS0_14default_configELb1EPKaPaPKlPlN2at6native12_GLOBAL__N_18offset_tEEE10hipError_tPvRmT1_PNSt15iterator_traitsIS12_E10value_typeET2_T3_PNS13_IS18_E10value_typeET4_jRbjT5_S1E_jjP12ihipStream_tbEUljE_ZNSN_ISO_Lb1ESQ_SR_ST_SU_SY_EESZ_S10_S11_S12_S16_S17_S18_S1B_S1C_jS1D_jS1E_S1E_jjS1G_bEUljE0_EEESZ_S10_S11_S18_S1C_S1E_T6_T7_T9_mT8_S1G_bDpT10_ENKUlT_T0_E_clISt17integral_constantIbLb1EES1T_IbLb0EEEEDaS1P_S1Q_EUlS1P_E_NS1_11comp_targetILNS1_3genE2ELNS1_11target_archE906ELNS1_3gpuE6ELNS1_3repE0EEENS1_30default_config_static_selectorELNS0_4arch9wavefront6targetE0EEEvS12_, .Lfunc_end246-_ZN7rocprim17ROCPRIM_400000_NS6detail17trampoline_kernelINS0_13select_configILj256ELj13ELNS0_17block_load_methodE3ELS4_3ELS4_3ELNS0_20block_scan_algorithmE0ELj4294967295EEENS1_25partition_config_selectorILNS1_17partition_subalgoE4EjNS0_10empty_typeEbEEZZNS1_14partition_implILS8_4ELb0ES6_15HIP_vector_typeIjLj2EENS0_17counting_iteratorIjlEEPS9_SG_NS0_5tupleIJPjSI_NS0_16reverse_iteratorISI_EEEEENSH_IJSG_SG_SG_EEES9_SI_JZNS1_25segmented_radix_sort_implINS0_14default_configELb1EPKaPaPKlPlN2at6native12_GLOBAL__N_18offset_tEEE10hipError_tPvRmT1_PNSt15iterator_traitsIS12_E10value_typeET2_T3_PNS13_IS18_E10value_typeET4_jRbjT5_S1E_jjP12ihipStream_tbEUljE_ZNSN_ISO_Lb1ESQ_SR_ST_SU_SY_EESZ_S10_S11_S12_S16_S17_S18_S1B_S1C_jS1D_jS1E_S1E_jjS1G_bEUljE0_EEESZ_S10_S11_S18_S1C_S1E_T6_T7_T9_mT8_S1G_bDpT10_ENKUlT_T0_E_clISt17integral_constantIbLb1EES1T_IbLb0EEEEDaS1P_S1Q_EUlS1P_E_NS1_11comp_targetILNS1_3genE2ELNS1_11target_archE906ELNS1_3gpuE6ELNS1_3repE0EEENS1_30default_config_static_selectorELNS0_4arch9wavefront6targetE0EEEvS12_
                                        ; -- End function
	.section	.AMDGPU.csdata,"",@progbits
; Kernel info:
; codeLenInByte = 0
; NumSgprs: 0
; NumVgprs: 0
; ScratchSize: 0
; MemoryBound: 0
; FloatMode: 240
; IeeeMode: 1
; LDSByteSize: 0 bytes/workgroup (compile time only)
; SGPRBlocks: 0
; VGPRBlocks: 0
; NumSGPRsForWavesPerEU: 1
; NumVGPRsForWavesPerEU: 1
; Occupancy: 16
; WaveLimiterHint : 0
; COMPUTE_PGM_RSRC2:SCRATCH_EN: 0
; COMPUTE_PGM_RSRC2:USER_SGPR: 15
; COMPUTE_PGM_RSRC2:TRAP_HANDLER: 0
; COMPUTE_PGM_RSRC2:TGID_X_EN: 1
; COMPUTE_PGM_RSRC2:TGID_Y_EN: 0
; COMPUTE_PGM_RSRC2:TGID_Z_EN: 0
; COMPUTE_PGM_RSRC2:TIDIG_COMP_CNT: 0
	.section	.text._ZN7rocprim17ROCPRIM_400000_NS6detail17trampoline_kernelINS0_13select_configILj256ELj13ELNS0_17block_load_methodE3ELS4_3ELS4_3ELNS0_20block_scan_algorithmE0ELj4294967295EEENS1_25partition_config_selectorILNS1_17partition_subalgoE4EjNS0_10empty_typeEbEEZZNS1_14partition_implILS8_4ELb0ES6_15HIP_vector_typeIjLj2EENS0_17counting_iteratorIjlEEPS9_SG_NS0_5tupleIJPjSI_NS0_16reverse_iteratorISI_EEEEENSH_IJSG_SG_SG_EEES9_SI_JZNS1_25segmented_radix_sort_implINS0_14default_configELb1EPKaPaPKlPlN2at6native12_GLOBAL__N_18offset_tEEE10hipError_tPvRmT1_PNSt15iterator_traitsIS12_E10value_typeET2_T3_PNS13_IS18_E10value_typeET4_jRbjT5_S1E_jjP12ihipStream_tbEUljE_ZNSN_ISO_Lb1ESQ_SR_ST_SU_SY_EESZ_S10_S11_S12_S16_S17_S18_S1B_S1C_jS1D_jS1E_S1E_jjS1G_bEUljE0_EEESZ_S10_S11_S18_S1C_S1E_T6_T7_T9_mT8_S1G_bDpT10_ENKUlT_T0_E_clISt17integral_constantIbLb1EES1T_IbLb0EEEEDaS1P_S1Q_EUlS1P_E_NS1_11comp_targetILNS1_3genE10ELNS1_11target_archE1200ELNS1_3gpuE4ELNS1_3repE0EEENS1_30default_config_static_selectorELNS0_4arch9wavefront6targetE0EEEvS12_,"axG",@progbits,_ZN7rocprim17ROCPRIM_400000_NS6detail17trampoline_kernelINS0_13select_configILj256ELj13ELNS0_17block_load_methodE3ELS4_3ELS4_3ELNS0_20block_scan_algorithmE0ELj4294967295EEENS1_25partition_config_selectorILNS1_17partition_subalgoE4EjNS0_10empty_typeEbEEZZNS1_14partition_implILS8_4ELb0ES6_15HIP_vector_typeIjLj2EENS0_17counting_iteratorIjlEEPS9_SG_NS0_5tupleIJPjSI_NS0_16reverse_iteratorISI_EEEEENSH_IJSG_SG_SG_EEES9_SI_JZNS1_25segmented_radix_sort_implINS0_14default_configELb1EPKaPaPKlPlN2at6native12_GLOBAL__N_18offset_tEEE10hipError_tPvRmT1_PNSt15iterator_traitsIS12_E10value_typeET2_T3_PNS13_IS18_E10value_typeET4_jRbjT5_S1E_jjP12ihipStream_tbEUljE_ZNSN_ISO_Lb1ESQ_SR_ST_SU_SY_EESZ_S10_S11_S12_S16_S17_S18_S1B_S1C_jS1D_jS1E_S1E_jjS1G_bEUljE0_EEESZ_S10_S11_S18_S1C_S1E_T6_T7_T9_mT8_S1G_bDpT10_ENKUlT_T0_E_clISt17integral_constantIbLb1EES1T_IbLb0EEEEDaS1P_S1Q_EUlS1P_E_NS1_11comp_targetILNS1_3genE10ELNS1_11target_archE1200ELNS1_3gpuE4ELNS1_3repE0EEENS1_30default_config_static_selectorELNS0_4arch9wavefront6targetE0EEEvS12_,comdat
	.globl	_ZN7rocprim17ROCPRIM_400000_NS6detail17trampoline_kernelINS0_13select_configILj256ELj13ELNS0_17block_load_methodE3ELS4_3ELS4_3ELNS0_20block_scan_algorithmE0ELj4294967295EEENS1_25partition_config_selectorILNS1_17partition_subalgoE4EjNS0_10empty_typeEbEEZZNS1_14partition_implILS8_4ELb0ES6_15HIP_vector_typeIjLj2EENS0_17counting_iteratorIjlEEPS9_SG_NS0_5tupleIJPjSI_NS0_16reverse_iteratorISI_EEEEENSH_IJSG_SG_SG_EEES9_SI_JZNS1_25segmented_radix_sort_implINS0_14default_configELb1EPKaPaPKlPlN2at6native12_GLOBAL__N_18offset_tEEE10hipError_tPvRmT1_PNSt15iterator_traitsIS12_E10value_typeET2_T3_PNS13_IS18_E10value_typeET4_jRbjT5_S1E_jjP12ihipStream_tbEUljE_ZNSN_ISO_Lb1ESQ_SR_ST_SU_SY_EESZ_S10_S11_S12_S16_S17_S18_S1B_S1C_jS1D_jS1E_S1E_jjS1G_bEUljE0_EEESZ_S10_S11_S18_S1C_S1E_T6_T7_T9_mT8_S1G_bDpT10_ENKUlT_T0_E_clISt17integral_constantIbLb1EES1T_IbLb0EEEEDaS1P_S1Q_EUlS1P_E_NS1_11comp_targetILNS1_3genE10ELNS1_11target_archE1200ELNS1_3gpuE4ELNS1_3repE0EEENS1_30default_config_static_selectorELNS0_4arch9wavefront6targetE0EEEvS12_ ; -- Begin function _ZN7rocprim17ROCPRIM_400000_NS6detail17trampoline_kernelINS0_13select_configILj256ELj13ELNS0_17block_load_methodE3ELS4_3ELS4_3ELNS0_20block_scan_algorithmE0ELj4294967295EEENS1_25partition_config_selectorILNS1_17partition_subalgoE4EjNS0_10empty_typeEbEEZZNS1_14partition_implILS8_4ELb0ES6_15HIP_vector_typeIjLj2EENS0_17counting_iteratorIjlEEPS9_SG_NS0_5tupleIJPjSI_NS0_16reverse_iteratorISI_EEEEENSH_IJSG_SG_SG_EEES9_SI_JZNS1_25segmented_radix_sort_implINS0_14default_configELb1EPKaPaPKlPlN2at6native12_GLOBAL__N_18offset_tEEE10hipError_tPvRmT1_PNSt15iterator_traitsIS12_E10value_typeET2_T3_PNS13_IS18_E10value_typeET4_jRbjT5_S1E_jjP12ihipStream_tbEUljE_ZNSN_ISO_Lb1ESQ_SR_ST_SU_SY_EESZ_S10_S11_S12_S16_S17_S18_S1B_S1C_jS1D_jS1E_S1E_jjS1G_bEUljE0_EEESZ_S10_S11_S18_S1C_S1E_T6_T7_T9_mT8_S1G_bDpT10_ENKUlT_T0_E_clISt17integral_constantIbLb1EES1T_IbLb0EEEEDaS1P_S1Q_EUlS1P_E_NS1_11comp_targetILNS1_3genE10ELNS1_11target_archE1200ELNS1_3gpuE4ELNS1_3repE0EEENS1_30default_config_static_selectorELNS0_4arch9wavefront6targetE0EEEvS12_
	.p2align	8
	.type	_ZN7rocprim17ROCPRIM_400000_NS6detail17trampoline_kernelINS0_13select_configILj256ELj13ELNS0_17block_load_methodE3ELS4_3ELS4_3ELNS0_20block_scan_algorithmE0ELj4294967295EEENS1_25partition_config_selectorILNS1_17partition_subalgoE4EjNS0_10empty_typeEbEEZZNS1_14partition_implILS8_4ELb0ES6_15HIP_vector_typeIjLj2EENS0_17counting_iteratorIjlEEPS9_SG_NS0_5tupleIJPjSI_NS0_16reverse_iteratorISI_EEEEENSH_IJSG_SG_SG_EEES9_SI_JZNS1_25segmented_radix_sort_implINS0_14default_configELb1EPKaPaPKlPlN2at6native12_GLOBAL__N_18offset_tEEE10hipError_tPvRmT1_PNSt15iterator_traitsIS12_E10value_typeET2_T3_PNS13_IS18_E10value_typeET4_jRbjT5_S1E_jjP12ihipStream_tbEUljE_ZNSN_ISO_Lb1ESQ_SR_ST_SU_SY_EESZ_S10_S11_S12_S16_S17_S18_S1B_S1C_jS1D_jS1E_S1E_jjS1G_bEUljE0_EEESZ_S10_S11_S18_S1C_S1E_T6_T7_T9_mT8_S1G_bDpT10_ENKUlT_T0_E_clISt17integral_constantIbLb1EES1T_IbLb0EEEEDaS1P_S1Q_EUlS1P_E_NS1_11comp_targetILNS1_3genE10ELNS1_11target_archE1200ELNS1_3gpuE4ELNS1_3repE0EEENS1_30default_config_static_selectorELNS0_4arch9wavefront6targetE0EEEvS12_,@function
_ZN7rocprim17ROCPRIM_400000_NS6detail17trampoline_kernelINS0_13select_configILj256ELj13ELNS0_17block_load_methodE3ELS4_3ELS4_3ELNS0_20block_scan_algorithmE0ELj4294967295EEENS1_25partition_config_selectorILNS1_17partition_subalgoE4EjNS0_10empty_typeEbEEZZNS1_14partition_implILS8_4ELb0ES6_15HIP_vector_typeIjLj2EENS0_17counting_iteratorIjlEEPS9_SG_NS0_5tupleIJPjSI_NS0_16reverse_iteratorISI_EEEEENSH_IJSG_SG_SG_EEES9_SI_JZNS1_25segmented_radix_sort_implINS0_14default_configELb1EPKaPaPKlPlN2at6native12_GLOBAL__N_18offset_tEEE10hipError_tPvRmT1_PNSt15iterator_traitsIS12_E10value_typeET2_T3_PNS13_IS18_E10value_typeET4_jRbjT5_S1E_jjP12ihipStream_tbEUljE_ZNSN_ISO_Lb1ESQ_SR_ST_SU_SY_EESZ_S10_S11_S12_S16_S17_S18_S1B_S1C_jS1D_jS1E_S1E_jjS1G_bEUljE0_EEESZ_S10_S11_S18_S1C_S1E_T6_T7_T9_mT8_S1G_bDpT10_ENKUlT_T0_E_clISt17integral_constantIbLb1EES1T_IbLb0EEEEDaS1P_S1Q_EUlS1P_E_NS1_11comp_targetILNS1_3genE10ELNS1_11target_archE1200ELNS1_3gpuE4ELNS1_3repE0EEENS1_30default_config_static_selectorELNS0_4arch9wavefront6targetE0EEEvS12_: ; @_ZN7rocprim17ROCPRIM_400000_NS6detail17trampoline_kernelINS0_13select_configILj256ELj13ELNS0_17block_load_methodE3ELS4_3ELS4_3ELNS0_20block_scan_algorithmE0ELj4294967295EEENS1_25partition_config_selectorILNS1_17partition_subalgoE4EjNS0_10empty_typeEbEEZZNS1_14partition_implILS8_4ELb0ES6_15HIP_vector_typeIjLj2EENS0_17counting_iteratorIjlEEPS9_SG_NS0_5tupleIJPjSI_NS0_16reverse_iteratorISI_EEEEENSH_IJSG_SG_SG_EEES9_SI_JZNS1_25segmented_radix_sort_implINS0_14default_configELb1EPKaPaPKlPlN2at6native12_GLOBAL__N_18offset_tEEE10hipError_tPvRmT1_PNSt15iterator_traitsIS12_E10value_typeET2_T3_PNS13_IS18_E10value_typeET4_jRbjT5_S1E_jjP12ihipStream_tbEUljE_ZNSN_ISO_Lb1ESQ_SR_ST_SU_SY_EESZ_S10_S11_S12_S16_S17_S18_S1B_S1C_jS1D_jS1E_S1E_jjS1G_bEUljE0_EEESZ_S10_S11_S18_S1C_S1E_T6_T7_T9_mT8_S1G_bDpT10_ENKUlT_T0_E_clISt17integral_constantIbLb1EES1T_IbLb0EEEEDaS1P_S1Q_EUlS1P_E_NS1_11comp_targetILNS1_3genE10ELNS1_11target_archE1200ELNS1_3gpuE4ELNS1_3repE0EEENS1_30default_config_static_selectorELNS0_4arch9wavefront6targetE0EEEvS12_
; %bb.0:
	.section	.rodata,"a",@progbits
	.p2align	6, 0x0
	.amdhsa_kernel _ZN7rocprim17ROCPRIM_400000_NS6detail17trampoline_kernelINS0_13select_configILj256ELj13ELNS0_17block_load_methodE3ELS4_3ELS4_3ELNS0_20block_scan_algorithmE0ELj4294967295EEENS1_25partition_config_selectorILNS1_17partition_subalgoE4EjNS0_10empty_typeEbEEZZNS1_14partition_implILS8_4ELb0ES6_15HIP_vector_typeIjLj2EENS0_17counting_iteratorIjlEEPS9_SG_NS0_5tupleIJPjSI_NS0_16reverse_iteratorISI_EEEEENSH_IJSG_SG_SG_EEES9_SI_JZNS1_25segmented_radix_sort_implINS0_14default_configELb1EPKaPaPKlPlN2at6native12_GLOBAL__N_18offset_tEEE10hipError_tPvRmT1_PNSt15iterator_traitsIS12_E10value_typeET2_T3_PNS13_IS18_E10value_typeET4_jRbjT5_S1E_jjP12ihipStream_tbEUljE_ZNSN_ISO_Lb1ESQ_SR_ST_SU_SY_EESZ_S10_S11_S12_S16_S17_S18_S1B_S1C_jS1D_jS1E_S1E_jjS1G_bEUljE0_EEESZ_S10_S11_S18_S1C_S1E_T6_T7_T9_mT8_S1G_bDpT10_ENKUlT_T0_E_clISt17integral_constantIbLb1EES1T_IbLb0EEEEDaS1P_S1Q_EUlS1P_E_NS1_11comp_targetILNS1_3genE10ELNS1_11target_archE1200ELNS1_3gpuE4ELNS1_3repE0EEENS1_30default_config_static_selectorELNS0_4arch9wavefront6targetE0EEEvS12_
		.amdhsa_group_segment_fixed_size 0
		.amdhsa_private_segment_fixed_size 0
		.amdhsa_kernarg_size 176
		.amdhsa_user_sgpr_count 15
		.amdhsa_user_sgpr_dispatch_ptr 0
		.amdhsa_user_sgpr_queue_ptr 0
		.amdhsa_user_sgpr_kernarg_segment_ptr 1
		.amdhsa_user_sgpr_dispatch_id 0
		.amdhsa_user_sgpr_private_segment_size 0
		.amdhsa_wavefront_size32 1
		.amdhsa_uses_dynamic_stack 0
		.amdhsa_enable_private_segment 0
		.amdhsa_system_sgpr_workgroup_id_x 1
		.amdhsa_system_sgpr_workgroup_id_y 0
		.amdhsa_system_sgpr_workgroup_id_z 0
		.amdhsa_system_sgpr_workgroup_info 0
		.amdhsa_system_vgpr_workitem_id 0
		.amdhsa_next_free_vgpr 1
		.amdhsa_next_free_sgpr 1
		.amdhsa_reserve_vcc 0
		.amdhsa_float_round_mode_32 0
		.amdhsa_float_round_mode_16_64 0
		.amdhsa_float_denorm_mode_32 3
		.amdhsa_float_denorm_mode_16_64 3
		.amdhsa_dx10_clamp 1
		.amdhsa_ieee_mode 1
		.amdhsa_fp16_overflow 0
		.amdhsa_workgroup_processor_mode 1
		.amdhsa_memory_ordered 1
		.amdhsa_forward_progress 0
		.amdhsa_shared_vgpr_count 0
		.amdhsa_exception_fp_ieee_invalid_op 0
		.amdhsa_exception_fp_denorm_src 0
		.amdhsa_exception_fp_ieee_div_zero 0
		.amdhsa_exception_fp_ieee_overflow 0
		.amdhsa_exception_fp_ieee_underflow 0
		.amdhsa_exception_fp_ieee_inexact 0
		.amdhsa_exception_int_div_zero 0
	.end_amdhsa_kernel
	.section	.text._ZN7rocprim17ROCPRIM_400000_NS6detail17trampoline_kernelINS0_13select_configILj256ELj13ELNS0_17block_load_methodE3ELS4_3ELS4_3ELNS0_20block_scan_algorithmE0ELj4294967295EEENS1_25partition_config_selectorILNS1_17partition_subalgoE4EjNS0_10empty_typeEbEEZZNS1_14partition_implILS8_4ELb0ES6_15HIP_vector_typeIjLj2EENS0_17counting_iteratorIjlEEPS9_SG_NS0_5tupleIJPjSI_NS0_16reverse_iteratorISI_EEEEENSH_IJSG_SG_SG_EEES9_SI_JZNS1_25segmented_radix_sort_implINS0_14default_configELb1EPKaPaPKlPlN2at6native12_GLOBAL__N_18offset_tEEE10hipError_tPvRmT1_PNSt15iterator_traitsIS12_E10value_typeET2_T3_PNS13_IS18_E10value_typeET4_jRbjT5_S1E_jjP12ihipStream_tbEUljE_ZNSN_ISO_Lb1ESQ_SR_ST_SU_SY_EESZ_S10_S11_S12_S16_S17_S18_S1B_S1C_jS1D_jS1E_S1E_jjS1G_bEUljE0_EEESZ_S10_S11_S18_S1C_S1E_T6_T7_T9_mT8_S1G_bDpT10_ENKUlT_T0_E_clISt17integral_constantIbLb1EES1T_IbLb0EEEEDaS1P_S1Q_EUlS1P_E_NS1_11comp_targetILNS1_3genE10ELNS1_11target_archE1200ELNS1_3gpuE4ELNS1_3repE0EEENS1_30default_config_static_selectorELNS0_4arch9wavefront6targetE0EEEvS12_,"axG",@progbits,_ZN7rocprim17ROCPRIM_400000_NS6detail17trampoline_kernelINS0_13select_configILj256ELj13ELNS0_17block_load_methodE3ELS4_3ELS4_3ELNS0_20block_scan_algorithmE0ELj4294967295EEENS1_25partition_config_selectorILNS1_17partition_subalgoE4EjNS0_10empty_typeEbEEZZNS1_14partition_implILS8_4ELb0ES6_15HIP_vector_typeIjLj2EENS0_17counting_iteratorIjlEEPS9_SG_NS0_5tupleIJPjSI_NS0_16reverse_iteratorISI_EEEEENSH_IJSG_SG_SG_EEES9_SI_JZNS1_25segmented_radix_sort_implINS0_14default_configELb1EPKaPaPKlPlN2at6native12_GLOBAL__N_18offset_tEEE10hipError_tPvRmT1_PNSt15iterator_traitsIS12_E10value_typeET2_T3_PNS13_IS18_E10value_typeET4_jRbjT5_S1E_jjP12ihipStream_tbEUljE_ZNSN_ISO_Lb1ESQ_SR_ST_SU_SY_EESZ_S10_S11_S12_S16_S17_S18_S1B_S1C_jS1D_jS1E_S1E_jjS1G_bEUljE0_EEESZ_S10_S11_S18_S1C_S1E_T6_T7_T9_mT8_S1G_bDpT10_ENKUlT_T0_E_clISt17integral_constantIbLb1EES1T_IbLb0EEEEDaS1P_S1Q_EUlS1P_E_NS1_11comp_targetILNS1_3genE10ELNS1_11target_archE1200ELNS1_3gpuE4ELNS1_3repE0EEENS1_30default_config_static_selectorELNS0_4arch9wavefront6targetE0EEEvS12_,comdat
.Lfunc_end247:
	.size	_ZN7rocprim17ROCPRIM_400000_NS6detail17trampoline_kernelINS0_13select_configILj256ELj13ELNS0_17block_load_methodE3ELS4_3ELS4_3ELNS0_20block_scan_algorithmE0ELj4294967295EEENS1_25partition_config_selectorILNS1_17partition_subalgoE4EjNS0_10empty_typeEbEEZZNS1_14partition_implILS8_4ELb0ES6_15HIP_vector_typeIjLj2EENS0_17counting_iteratorIjlEEPS9_SG_NS0_5tupleIJPjSI_NS0_16reverse_iteratorISI_EEEEENSH_IJSG_SG_SG_EEES9_SI_JZNS1_25segmented_radix_sort_implINS0_14default_configELb1EPKaPaPKlPlN2at6native12_GLOBAL__N_18offset_tEEE10hipError_tPvRmT1_PNSt15iterator_traitsIS12_E10value_typeET2_T3_PNS13_IS18_E10value_typeET4_jRbjT5_S1E_jjP12ihipStream_tbEUljE_ZNSN_ISO_Lb1ESQ_SR_ST_SU_SY_EESZ_S10_S11_S12_S16_S17_S18_S1B_S1C_jS1D_jS1E_S1E_jjS1G_bEUljE0_EEESZ_S10_S11_S18_S1C_S1E_T6_T7_T9_mT8_S1G_bDpT10_ENKUlT_T0_E_clISt17integral_constantIbLb1EES1T_IbLb0EEEEDaS1P_S1Q_EUlS1P_E_NS1_11comp_targetILNS1_3genE10ELNS1_11target_archE1200ELNS1_3gpuE4ELNS1_3repE0EEENS1_30default_config_static_selectorELNS0_4arch9wavefront6targetE0EEEvS12_, .Lfunc_end247-_ZN7rocprim17ROCPRIM_400000_NS6detail17trampoline_kernelINS0_13select_configILj256ELj13ELNS0_17block_load_methodE3ELS4_3ELS4_3ELNS0_20block_scan_algorithmE0ELj4294967295EEENS1_25partition_config_selectorILNS1_17partition_subalgoE4EjNS0_10empty_typeEbEEZZNS1_14partition_implILS8_4ELb0ES6_15HIP_vector_typeIjLj2EENS0_17counting_iteratorIjlEEPS9_SG_NS0_5tupleIJPjSI_NS0_16reverse_iteratorISI_EEEEENSH_IJSG_SG_SG_EEES9_SI_JZNS1_25segmented_radix_sort_implINS0_14default_configELb1EPKaPaPKlPlN2at6native12_GLOBAL__N_18offset_tEEE10hipError_tPvRmT1_PNSt15iterator_traitsIS12_E10value_typeET2_T3_PNS13_IS18_E10value_typeET4_jRbjT5_S1E_jjP12ihipStream_tbEUljE_ZNSN_ISO_Lb1ESQ_SR_ST_SU_SY_EESZ_S10_S11_S12_S16_S17_S18_S1B_S1C_jS1D_jS1E_S1E_jjS1G_bEUljE0_EEESZ_S10_S11_S18_S1C_S1E_T6_T7_T9_mT8_S1G_bDpT10_ENKUlT_T0_E_clISt17integral_constantIbLb1EES1T_IbLb0EEEEDaS1P_S1Q_EUlS1P_E_NS1_11comp_targetILNS1_3genE10ELNS1_11target_archE1200ELNS1_3gpuE4ELNS1_3repE0EEENS1_30default_config_static_selectorELNS0_4arch9wavefront6targetE0EEEvS12_
                                        ; -- End function
	.section	.AMDGPU.csdata,"",@progbits
; Kernel info:
; codeLenInByte = 0
; NumSgprs: 0
; NumVgprs: 0
; ScratchSize: 0
; MemoryBound: 0
; FloatMode: 240
; IeeeMode: 1
; LDSByteSize: 0 bytes/workgroup (compile time only)
; SGPRBlocks: 0
; VGPRBlocks: 0
; NumSGPRsForWavesPerEU: 1
; NumVGPRsForWavesPerEU: 1
; Occupancy: 16
; WaveLimiterHint : 0
; COMPUTE_PGM_RSRC2:SCRATCH_EN: 0
; COMPUTE_PGM_RSRC2:USER_SGPR: 15
; COMPUTE_PGM_RSRC2:TRAP_HANDLER: 0
; COMPUTE_PGM_RSRC2:TGID_X_EN: 1
; COMPUTE_PGM_RSRC2:TGID_Y_EN: 0
; COMPUTE_PGM_RSRC2:TGID_Z_EN: 0
; COMPUTE_PGM_RSRC2:TIDIG_COMP_CNT: 0
	.section	.text._ZN7rocprim17ROCPRIM_400000_NS6detail17trampoline_kernelINS0_13select_configILj256ELj13ELNS0_17block_load_methodE3ELS4_3ELS4_3ELNS0_20block_scan_algorithmE0ELj4294967295EEENS1_25partition_config_selectorILNS1_17partition_subalgoE4EjNS0_10empty_typeEbEEZZNS1_14partition_implILS8_4ELb0ES6_15HIP_vector_typeIjLj2EENS0_17counting_iteratorIjlEEPS9_SG_NS0_5tupleIJPjSI_NS0_16reverse_iteratorISI_EEEEENSH_IJSG_SG_SG_EEES9_SI_JZNS1_25segmented_radix_sort_implINS0_14default_configELb1EPKaPaPKlPlN2at6native12_GLOBAL__N_18offset_tEEE10hipError_tPvRmT1_PNSt15iterator_traitsIS12_E10value_typeET2_T3_PNS13_IS18_E10value_typeET4_jRbjT5_S1E_jjP12ihipStream_tbEUljE_ZNSN_ISO_Lb1ESQ_SR_ST_SU_SY_EESZ_S10_S11_S12_S16_S17_S18_S1B_S1C_jS1D_jS1E_S1E_jjS1G_bEUljE0_EEESZ_S10_S11_S18_S1C_S1E_T6_T7_T9_mT8_S1G_bDpT10_ENKUlT_T0_E_clISt17integral_constantIbLb1EES1T_IbLb0EEEEDaS1P_S1Q_EUlS1P_E_NS1_11comp_targetILNS1_3genE9ELNS1_11target_archE1100ELNS1_3gpuE3ELNS1_3repE0EEENS1_30default_config_static_selectorELNS0_4arch9wavefront6targetE0EEEvS12_,"axG",@progbits,_ZN7rocprim17ROCPRIM_400000_NS6detail17trampoline_kernelINS0_13select_configILj256ELj13ELNS0_17block_load_methodE3ELS4_3ELS4_3ELNS0_20block_scan_algorithmE0ELj4294967295EEENS1_25partition_config_selectorILNS1_17partition_subalgoE4EjNS0_10empty_typeEbEEZZNS1_14partition_implILS8_4ELb0ES6_15HIP_vector_typeIjLj2EENS0_17counting_iteratorIjlEEPS9_SG_NS0_5tupleIJPjSI_NS0_16reverse_iteratorISI_EEEEENSH_IJSG_SG_SG_EEES9_SI_JZNS1_25segmented_radix_sort_implINS0_14default_configELb1EPKaPaPKlPlN2at6native12_GLOBAL__N_18offset_tEEE10hipError_tPvRmT1_PNSt15iterator_traitsIS12_E10value_typeET2_T3_PNS13_IS18_E10value_typeET4_jRbjT5_S1E_jjP12ihipStream_tbEUljE_ZNSN_ISO_Lb1ESQ_SR_ST_SU_SY_EESZ_S10_S11_S12_S16_S17_S18_S1B_S1C_jS1D_jS1E_S1E_jjS1G_bEUljE0_EEESZ_S10_S11_S18_S1C_S1E_T6_T7_T9_mT8_S1G_bDpT10_ENKUlT_T0_E_clISt17integral_constantIbLb1EES1T_IbLb0EEEEDaS1P_S1Q_EUlS1P_E_NS1_11comp_targetILNS1_3genE9ELNS1_11target_archE1100ELNS1_3gpuE3ELNS1_3repE0EEENS1_30default_config_static_selectorELNS0_4arch9wavefront6targetE0EEEvS12_,comdat
	.globl	_ZN7rocprim17ROCPRIM_400000_NS6detail17trampoline_kernelINS0_13select_configILj256ELj13ELNS0_17block_load_methodE3ELS4_3ELS4_3ELNS0_20block_scan_algorithmE0ELj4294967295EEENS1_25partition_config_selectorILNS1_17partition_subalgoE4EjNS0_10empty_typeEbEEZZNS1_14partition_implILS8_4ELb0ES6_15HIP_vector_typeIjLj2EENS0_17counting_iteratorIjlEEPS9_SG_NS0_5tupleIJPjSI_NS0_16reverse_iteratorISI_EEEEENSH_IJSG_SG_SG_EEES9_SI_JZNS1_25segmented_radix_sort_implINS0_14default_configELb1EPKaPaPKlPlN2at6native12_GLOBAL__N_18offset_tEEE10hipError_tPvRmT1_PNSt15iterator_traitsIS12_E10value_typeET2_T3_PNS13_IS18_E10value_typeET4_jRbjT5_S1E_jjP12ihipStream_tbEUljE_ZNSN_ISO_Lb1ESQ_SR_ST_SU_SY_EESZ_S10_S11_S12_S16_S17_S18_S1B_S1C_jS1D_jS1E_S1E_jjS1G_bEUljE0_EEESZ_S10_S11_S18_S1C_S1E_T6_T7_T9_mT8_S1G_bDpT10_ENKUlT_T0_E_clISt17integral_constantIbLb1EES1T_IbLb0EEEEDaS1P_S1Q_EUlS1P_E_NS1_11comp_targetILNS1_3genE9ELNS1_11target_archE1100ELNS1_3gpuE3ELNS1_3repE0EEENS1_30default_config_static_selectorELNS0_4arch9wavefront6targetE0EEEvS12_ ; -- Begin function _ZN7rocprim17ROCPRIM_400000_NS6detail17trampoline_kernelINS0_13select_configILj256ELj13ELNS0_17block_load_methodE3ELS4_3ELS4_3ELNS0_20block_scan_algorithmE0ELj4294967295EEENS1_25partition_config_selectorILNS1_17partition_subalgoE4EjNS0_10empty_typeEbEEZZNS1_14partition_implILS8_4ELb0ES6_15HIP_vector_typeIjLj2EENS0_17counting_iteratorIjlEEPS9_SG_NS0_5tupleIJPjSI_NS0_16reverse_iteratorISI_EEEEENSH_IJSG_SG_SG_EEES9_SI_JZNS1_25segmented_radix_sort_implINS0_14default_configELb1EPKaPaPKlPlN2at6native12_GLOBAL__N_18offset_tEEE10hipError_tPvRmT1_PNSt15iterator_traitsIS12_E10value_typeET2_T3_PNS13_IS18_E10value_typeET4_jRbjT5_S1E_jjP12ihipStream_tbEUljE_ZNSN_ISO_Lb1ESQ_SR_ST_SU_SY_EESZ_S10_S11_S12_S16_S17_S18_S1B_S1C_jS1D_jS1E_S1E_jjS1G_bEUljE0_EEESZ_S10_S11_S18_S1C_S1E_T6_T7_T9_mT8_S1G_bDpT10_ENKUlT_T0_E_clISt17integral_constantIbLb1EES1T_IbLb0EEEEDaS1P_S1Q_EUlS1P_E_NS1_11comp_targetILNS1_3genE9ELNS1_11target_archE1100ELNS1_3gpuE3ELNS1_3repE0EEENS1_30default_config_static_selectorELNS0_4arch9wavefront6targetE0EEEvS12_
	.p2align	8
	.type	_ZN7rocprim17ROCPRIM_400000_NS6detail17trampoline_kernelINS0_13select_configILj256ELj13ELNS0_17block_load_methodE3ELS4_3ELS4_3ELNS0_20block_scan_algorithmE0ELj4294967295EEENS1_25partition_config_selectorILNS1_17partition_subalgoE4EjNS0_10empty_typeEbEEZZNS1_14partition_implILS8_4ELb0ES6_15HIP_vector_typeIjLj2EENS0_17counting_iteratorIjlEEPS9_SG_NS0_5tupleIJPjSI_NS0_16reverse_iteratorISI_EEEEENSH_IJSG_SG_SG_EEES9_SI_JZNS1_25segmented_radix_sort_implINS0_14default_configELb1EPKaPaPKlPlN2at6native12_GLOBAL__N_18offset_tEEE10hipError_tPvRmT1_PNSt15iterator_traitsIS12_E10value_typeET2_T3_PNS13_IS18_E10value_typeET4_jRbjT5_S1E_jjP12ihipStream_tbEUljE_ZNSN_ISO_Lb1ESQ_SR_ST_SU_SY_EESZ_S10_S11_S12_S16_S17_S18_S1B_S1C_jS1D_jS1E_S1E_jjS1G_bEUljE0_EEESZ_S10_S11_S18_S1C_S1E_T6_T7_T9_mT8_S1G_bDpT10_ENKUlT_T0_E_clISt17integral_constantIbLb1EES1T_IbLb0EEEEDaS1P_S1Q_EUlS1P_E_NS1_11comp_targetILNS1_3genE9ELNS1_11target_archE1100ELNS1_3gpuE3ELNS1_3repE0EEENS1_30default_config_static_selectorELNS0_4arch9wavefront6targetE0EEEvS12_,@function
_ZN7rocprim17ROCPRIM_400000_NS6detail17trampoline_kernelINS0_13select_configILj256ELj13ELNS0_17block_load_methodE3ELS4_3ELS4_3ELNS0_20block_scan_algorithmE0ELj4294967295EEENS1_25partition_config_selectorILNS1_17partition_subalgoE4EjNS0_10empty_typeEbEEZZNS1_14partition_implILS8_4ELb0ES6_15HIP_vector_typeIjLj2EENS0_17counting_iteratorIjlEEPS9_SG_NS0_5tupleIJPjSI_NS0_16reverse_iteratorISI_EEEEENSH_IJSG_SG_SG_EEES9_SI_JZNS1_25segmented_radix_sort_implINS0_14default_configELb1EPKaPaPKlPlN2at6native12_GLOBAL__N_18offset_tEEE10hipError_tPvRmT1_PNSt15iterator_traitsIS12_E10value_typeET2_T3_PNS13_IS18_E10value_typeET4_jRbjT5_S1E_jjP12ihipStream_tbEUljE_ZNSN_ISO_Lb1ESQ_SR_ST_SU_SY_EESZ_S10_S11_S12_S16_S17_S18_S1B_S1C_jS1D_jS1E_S1E_jjS1G_bEUljE0_EEESZ_S10_S11_S18_S1C_S1E_T6_T7_T9_mT8_S1G_bDpT10_ENKUlT_T0_E_clISt17integral_constantIbLb1EES1T_IbLb0EEEEDaS1P_S1Q_EUlS1P_E_NS1_11comp_targetILNS1_3genE9ELNS1_11target_archE1100ELNS1_3gpuE3ELNS1_3repE0EEENS1_30default_config_static_selectorELNS0_4arch9wavefront6targetE0EEEvS12_: ; @_ZN7rocprim17ROCPRIM_400000_NS6detail17trampoline_kernelINS0_13select_configILj256ELj13ELNS0_17block_load_methodE3ELS4_3ELS4_3ELNS0_20block_scan_algorithmE0ELj4294967295EEENS1_25partition_config_selectorILNS1_17partition_subalgoE4EjNS0_10empty_typeEbEEZZNS1_14partition_implILS8_4ELb0ES6_15HIP_vector_typeIjLj2EENS0_17counting_iteratorIjlEEPS9_SG_NS0_5tupleIJPjSI_NS0_16reverse_iteratorISI_EEEEENSH_IJSG_SG_SG_EEES9_SI_JZNS1_25segmented_radix_sort_implINS0_14default_configELb1EPKaPaPKlPlN2at6native12_GLOBAL__N_18offset_tEEE10hipError_tPvRmT1_PNSt15iterator_traitsIS12_E10value_typeET2_T3_PNS13_IS18_E10value_typeET4_jRbjT5_S1E_jjP12ihipStream_tbEUljE_ZNSN_ISO_Lb1ESQ_SR_ST_SU_SY_EESZ_S10_S11_S12_S16_S17_S18_S1B_S1C_jS1D_jS1E_S1E_jjS1G_bEUljE0_EEESZ_S10_S11_S18_S1C_S1E_T6_T7_T9_mT8_S1G_bDpT10_ENKUlT_T0_E_clISt17integral_constantIbLb1EES1T_IbLb0EEEEDaS1P_S1Q_EUlS1P_E_NS1_11comp_targetILNS1_3genE9ELNS1_11target_archE1100ELNS1_3gpuE3ELNS1_3repE0EEENS1_30default_config_static_selectorELNS0_4arch9wavefront6targetE0EEEvS12_
; %bb.0:
	s_clause 0x6
	s_load_b32 s5, s[0:1], 0x80
	s_load_b64 s[34:35], s[0:1], 0x10
	s_load_b64 s[2:3], s[0:1], 0x68
	s_load_b32 s8, s[0:1], 0x8
	s_load_b128 s[24:27], s[0:1], 0x58
	s_load_b64 s[40:41], s[0:1], 0xa8
	s_load_b256 s[16:23], s[0:1], 0x88
	s_mul_i32 s33, s15, 0xd00
	s_waitcnt lgkmcnt(0)
	s_mul_i32 s4, s5, 0xd00
	s_add_i32 s5, s5, -1
	s_add_u32 s6, s34, s4
	s_addc_u32 s7, s35, 0
	s_load_b128 s[28:31], s[26:27], 0x0
	s_cmp_eq_u32 s15, s5
	v_cmp_lt_u64_e64 s3, s[6:7], s[2:3]
	s_cselect_b32 s14, -1, 0
	s_cmp_lg_u32 s15, s5
	s_cselect_b32 s5, -1, 0
	s_add_i32 s6, s8, s33
	s_delay_alu instid0(VALU_DEP_1) | instskip(SKIP_4) | instid1(VALU_DEP_1)
	s_or_b32 s3, s5, s3
	s_add_i32 s6, s6, s34
	s_and_b32 vcc_lo, exec_lo, s3
	v_add_nc_u32_e32 v1, s6, v0
	s_mov_b32 s5, -1
	v_add_nc_u32_e32 v2, 0x100, v1
	v_add_nc_u32_e32 v3, 0x200, v1
	;; [unrolled: 1-line block ×12, first 2 shown]
	s_cbranch_vccz .LBB248_2
; %bb.1:
	v_lshlrev_b32_e32 v14, 2, v0
	s_mov_b32 s5, 0
	ds_store_2addr_stride64_b32 v14, v1, v2 offset1:4
	ds_store_2addr_stride64_b32 v14, v3, v4 offset0:8 offset1:12
	ds_store_2addr_stride64_b32 v14, v5, v6 offset0:16 offset1:20
	;; [unrolled: 1-line block ×5, first 2 shown]
	ds_store_b32 v14, v13 offset:12288
	s_waitcnt lgkmcnt(0)
	s_barrier
.LBB248_2:
	s_and_not1_b32 vcc_lo, exec_lo, s5
	s_add_i32 s4, s4, s34
	s_cbranch_vccnz .LBB248_4
; %bb.3:
	v_lshlrev_b32_e32 v14, 2, v0
	ds_store_2addr_stride64_b32 v14, v1, v2 offset1:4
	ds_store_2addr_stride64_b32 v14, v3, v4 offset0:8 offset1:12
	ds_store_2addr_stride64_b32 v14, v5, v6 offset0:16 offset1:20
	;; [unrolled: 1-line block ×5, first 2 shown]
	ds_store_b32 v14, v13 offset:12288
	s_waitcnt lgkmcnt(0)
	s_barrier
.LBB248_4:
	v_mul_u32_u24_e32 v28, 13, v0
	s_clause 0x1
	s_load_b128 s[36:39], s[0:1], 0x28
	s_load_b64 s[26:27], s[0:1], 0x38
	s_waitcnt lgkmcnt(0)
	buffer_gl0_inv
	v_cndmask_b32_e64 v26, 0, 1, s3
	s_sub_i32 s44, s2, s4
	v_lshlrev_b32_e32 v1, 2, v28
	s_and_not1_b32 vcc_lo, exec_lo, s3
	ds_load_2addr_b32 v[16:17], v1 offset1:1
	ds_load_2addr_b32 v[14:15], v1 offset0:2 offset1:3
	ds_load_2addr_b32 v[12:13], v1 offset0:4 offset1:5
	;; [unrolled: 1-line block ×5, first 2 shown]
	ds_load_b32 v27, v1 offset:48
	s_waitcnt lgkmcnt(0)
	s_barrier
	buffer_gl0_inv
	s_cbranch_vccnz .LBB248_32
; %bb.5:
	v_add_nc_u32_e32 v1, s17, v16
	v_add_nc_u32_e32 v2, s19, v16
	s_mov_b32 s46, 0
	s_mov_b32 s45, 0
	s_mov_b32 s3, exec_lo
	v_mul_lo_u32 v1, v1, s16
	v_mul_lo_u32 v2, v2, s18
	s_delay_alu instid0(VALU_DEP_1) | instskip(NEXT) | instid1(VALU_DEP_1)
	v_sub_nc_u32_e32 v1, v1, v2
	v_cmp_lt_u32_e32 vcc_lo, s20, v1
	v_cmpx_ge_u32_e64 s20, v1
; %bb.6:
	v_add_nc_u32_e32 v1, s22, v16
	v_add_nc_u32_e32 v2, s40, v16
	s_delay_alu instid0(VALU_DEP_2) | instskip(NEXT) | instid1(VALU_DEP_2)
	v_mul_lo_u32 v1, v1, s21
	v_mul_lo_u32 v2, v2, s23
	s_delay_alu instid0(VALU_DEP_1) | instskip(NEXT) | instid1(VALU_DEP_1)
	v_sub_nc_u32_e32 v1, v1, v2
	v_cmp_lt_u32_e64 s2, s41, v1
	s_delay_alu instid0(VALU_DEP_1)
	s_and_b32 s45, s2, exec_lo
; %bb.7:
	s_or_b32 exec_lo, exec_lo, s3
	v_add_nc_u32_e32 v1, s17, v17
	v_add_nc_u32_e32 v2, s19, v17
	s_mov_b32 s4, exec_lo
	s_delay_alu instid0(VALU_DEP_2) | instskip(NEXT) | instid1(VALU_DEP_2)
	v_mul_lo_u32 v1, v1, s16
	v_mul_lo_u32 v2, v2, s18
	s_delay_alu instid0(VALU_DEP_1) | instskip(NEXT) | instid1(VALU_DEP_1)
	v_sub_nc_u32_e32 v1, v1, v2
	v_cmp_lt_u32_e64 s2, s20, v1
	v_cmpx_ge_u32_e64 s20, v1
; %bb.8:
	v_add_nc_u32_e32 v1, s22, v17
	v_add_nc_u32_e32 v2, s40, v17
	s_delay_alu instid0(VALU_DEP_2) | instskip(NEXT) | instid1(VALU_DEP_2)
	v_mul_lo_u32 v1, v1, s21
	v_mul_lo_u32 v2, v2, s23
	s_delay_alu instid0(VALU_DEP_1) | instskip(NEXT) | instid1(VALU_DEP_1)
	v_sub_nc_u32_e32 v1, v1, v2
	v_cmp_lt_u32_e64 s3, s41, v1
	s_delay_alu instid0(VALU_DEP_1)
	s_and_b32 s46, s3, exec_lo
; %bb.9:
	s_or_b32 exec_lo, exec_lo, s4
	v_add_nc_u32_e32 v1, s17, v14
	v_add_nc_u32_e32 v2, s19, v14
	s_mov_b32 s48, 0
	s_mov_b32 s47, 0
	s_mov_b32 s5, exec_lo
	v_mul_lo_u32 v1, v1, s16
	v_mul_lo_u32 v2, v2, s18
	s_delay_alu instid0(VALU_DEP_1) | instskip(NEXT) | instid1(VALU_DEP_1)
	v_sub_nc_u32_e32 v1, v1, v2
	v_cmp_lt_u32_e64 s3, s20, v1
	v_cmpx_ge_u32_e64 s20, v1
; %bb.10:
	v_add_nc_u32_e32 v1, s22, v14
	v_add_nc_u32_e32 v2, s40, v14
	s_delay_alu instid0(VALU_DEP_2) | instskip(NEXT) | instid1(VALU_DEP_2)
	v_mul_lo_u32 v1, v1, s21
	v_mul_lo_u32 v2, v2, s23
	s_delay_alu instid0(VALU_DEP_1) | instskip(NEXT) | instid1(VALU_DEP_1)
	v_sub_nc_u32_e32 v1, v1, v2
	v_cmp_lt_u32_e64 s4, s41, v1
	s_delay_alu instid0(VALU_DEP_1)
	s_and_b32 s47, s4, exec_lo
; %bb.11:
	s_or_b32 exec_lo, exec_lo, s5
	v_add_nc_u32_e32 v1, s17, v15
	v_add_nc_u32_e32 v2, s19, v15
	s_mov_b32 s6, exec_lo
	s_delay_alu instid0(VALU_DEP_2) | instskip(NEXT) | instid1(VALU_DEP_2)
	v_mul_lo_u32 v1, v1, s16
	v_mul_lo_u32 v2, v2, s18
	s_delay_alu instid0(VALU_DEP_1) | instskip(NEXT) | instid1(VALU_DEP_1)
	v_sub_nc_u32_e32 v1, v1, v2
	v_cmp_lt_u32_e64 s4, s20, v1
	v_cmpx_ge_u32_e64 s20, v1
; %bb.12:
	v_add_nc_u32_e32 v1, s22, v15
	v_add_nc_u32_e32 v2, s40, v15
	s_delay_alu instid0(VALU_DEP_2) | instskip(NEXT) | instid1(VALU_DEP_2)
	v_mul_lo_u32 v1, v1, s21
	v_mul_lo_u32 v2, v2, s23
	s_delay_alu instid0(VALU_DEP_1) | instskip(NEXT) | instid1(VALU_DEP_1)
	v_sub_nc_u32_e32 v1, v1, v2
	v_cmp_lt_u32_e64 s5, s41, v1
	s_delay_alu instid0(VALU_DEP_1)
	s_and_b32 s48, s5, exec_lo
; %bb.13:
	s_or_b32 exec_lo, exec_lo, s6
	v_add_nc_u32_e32 v1, s17, v12
	v_add_nc_u32_e32 v2, s19, v12
	s_mov_b32 s50, 0
	s_mov_b32 s49, 0
	s_mov_b32 s7, exec_lo
	v_mul_lo_u32 v1, v1, s16
	v_mul_lo_u32 v2, v2, s18
	s_delay_alu instid0(VALU_DEP_1) | instskip(NEXT) | instid1(VALU_DEP_1)
	v_sub_nc_u32_e32 v1, v1, v2
	v_cmp_lt_u32_e64 s5, s20, v1
	;; [unrolled: 47-line block ×5, first 2 shown]
	v_cmpx_ge_u32_e64 s20, v1
; %bb.26:
	v_add_nc_u32_e32 v1, s22, v6
	v_add_nc_u32_e32 v2, s40, v6
	s_delay_alu instid0(VALU_DEP_2) | instskip(NEXT) | instid1(VALU_DEP_2)
	v_mul_lo_u32 v1, v1, s21
	v_mul_lo_u32 v2, v2, s23
	s_delay_alu instid0(VALU_DEP_1) | instskip(NEXT) | instid1(VALU_DEP_1)
	v_sub_nc_u32_e32 v1, v1, v2
	v_cmp_lt_u32_e64 s12, s41, v1
	s_delay_alu instid0(VALU_DEP_1)
	s_and_b32 s57, s12, exec_lo
; %bb.27:
	s_or_b32 exec_lo, exec_lo, s13
	v_add_nc_u32_e32 v1, s17, v7
	v_add_nc_u32_e32 v2, s19, v7
	s_mov_b32 s42, exec_lo
	s_delay_alu instid0(VALU_DEP_2) | instskip(NEXT) | instid1(VALU_DEP_2)
	v_mul_lo_u32 v1, v1, s16
	v_mul_lo_u32 v2, v2, s18
	s_delay_alu instid0(VALU_DEP_1) | instskip(NEXT) | instid1(VALU_DEP_1)
	v_sub_nc_u32_e32 v1, v1, v2
	v_cmp_lt_u32_e64 s12, s20, v1
	v_cmpx_ge_u32_e64 s20, v1
; %bb.28:
	v_add_nc_u32_e32 v1, s22, v7
	v_add_nc_u32_e32 v2, s40, v7
	s_delay_alu instid0(VALU_DEP_2) | instskip(NEXT) | instid1(VALU_DEP_2)
	v_mul_lo_u32 v1, v1, s21
	v_mul_lo_u32 v2, v2, s23
	s_delay_alu instid0(VALU_DEP_1) | instskip(NEXT) | instid1(VALU_DEP_1)
	v_sub_nc_u32_e32 v1, v1, v2
	v_cmp_lt_u32_e64 s13, s41, v1
	s_delay_alu instid0(VALU_DEP_1)
	s_and_b32 s56, s13, exec_lo
; %bb.29:
	s_or_b32 exec_lo, exec_lo, s42
	v_add_nc_u32_e32 v1, s17, v27
	v_add_nc_u32_e32 v2, s19, v27
	s_mov_b32 s42, -1
	s_mov_b32 s53, 0
	s_mov_b32 s43, 0
	v_mul_lo_u32 v1, v1, s16
	v_mul_lo_u32 v2, v2, s18
	s_mov_b32 s58, exec_lo
	s_delay_alu instid0(VALU_DEP_1) | instskip(NEXT) | instid1(VALU_DEP_1)
	v_sub_nc_u32_e32 v1, v1, v2
	v_cmpx_ge_u32_e64 s20, v1
; %bb.30:
	v_add_nc_u32_e32 v1, s22, v27
	v_add_nc_u32_e32 v2, s40, v27
	s_xor_b32 s42, exec_lo, -1
	s_delay_alu instid0(VALU_DEP_2) | instskip(NEXT) | instid1(VALU_DEP_2)
	v_mul_lo_u32 v1, v1, s21
	v_mul_lo_u32 v2, v2, s23
	s_delay_alu instid0(VALU_DEP_1) | instskip(NEXT) | instid1(VALU_DEP_1)
	v_sub_nc_u32_e32 v1, v1, v2
	v_cmp_lt_u32_e64 s13, s41, v1
	s_delay_alu instid0(VALU_DEP_1)
	s_and_b32 s43, s13, exec_lo
; %bb.31:
	s_or_b32 exec_lo, exec_lo, s58
	v_cndmask_b32_e64 v48, 0, 1, s57
	v_cndmask_b32_e64 v51, 0, 1, s12
	v_cndmask_b32_e64 v47, 0, 1, s55
	v_cndmask_b32_e64 v50, 0, 1, s11
	v_cndmask_b32_e64 v45, 0, 1, s54
	v_cndmask_b32_e64 v49, 0, 1, s10
	v_cndmask_b32_e64 v43, 0, 1, s52
	v_cndmask_b32_e64 v46, 0, 1, s9
	v_cndmask_b32_e64 v40, 0, 1, s51
	v_cndmask_b32_e64 v44, 0, 1, s8
	v_cndmask_b32_e64 v39, 0, 1, s50
	v_cndmask_b32_e64 v42, 0, 1, s7
	v_cndmask_b32_e64 v37, 0, 1, s49
	v_cndmask_b32_e64 v41, 0, 1, s6
	v_cndmask_b32_e64 v35, 0, 1, s48
	v_cndmask_b32_e64 v38, 0, 1, s5
	v_cndmask_b32_e64 v36, 0, 1, s47
	v_cndmask_b32_e64 v32, 0, 1, s4
	v_cndmask_b32_e64 v34, 0, 1, s46
	v_cndmask_b32_e64 v31, 0, 1, s3
	v_cndmask_b32_e64 v30, 0, 1, s45
	v_cndmask_b32_e64 v33, 0, 1, s2
	v_cndmask_b32_e64 v29, 0, 1, vcc_lo
	v_cndmask_b32_e64 v52, 0, 1, s56
	s_load_b64 s[4:5], s[0:1], 0x78
	s_and_b32 vcc_lo, exec_lo, s53
	s_add_i32 s3, s44, 0xd00
	s_cbranch_vccnz .LBB248_33
	s_branch .LBB248_86
.LBB248_32:
                                        ; implicit-def: $sgpr42
                                        ; implicit-def: $sgpr43
                                        ; implicit-def: $vgpr52
                                        ; implicit-def: $vgpr48
                                        ; implicit-def: $vgpr47
                                        ; implicit-def: $vgpr45
                                        ; implicit-def: $vgpr43
                                        ; implicit-def: $vgpr40
                                        ; implicit-def: $vgpr39
                                        ; implicit-def: $vgpr37
                                        ; implicit-def: $vgpr35
                                        ; implicit-def: $vgpr29
                                        ; implicit-def: $vgpr33
                                        ; implicit-def: $vgpr31
                                        ; implicit-def: $vgpr32
                                        ; implicit-def: $vgpr38
                                        ; implicit-def: $vgpr41
                                        ; implicit-def: $vgpr42
                                        ; implicit-def: $vgpr44
                                        ; implicit-def: $vgpr46
                                        ; implicit-def: $vgpr49
                                        ; implicit-def: $vgpr50
                                        ; implicit-def: $vgpr51
                                        ; implicit-def: $vgpr30
                                        ; implicit-def: $vgpr34
                                        ; implicit-def: $vgpr36
	s_load_b64 s[4:5], s[0:1], 0x78
	s_add_i32 s3, s44, 0xd00
	s_cbranch_execz .LBB248_86
.LBB248_33:
	v_dual_mov_b32 v30, 0 :: v_dual_mov_b32 v29, 0
	s_mov_b32 s2, 0
	s_mov_b32 s1, exec_lo
	v_cmpx_gt_u32_e64 s3, v28
	s_cbranch_execz .LBB248_37
; %bb.34:
	v_add_nc_u32_e32 v1, s17, v16
	v_add_nc_u32_e32 v2, s19, v16
	s_mov_b32 s6, exec_lo
	s_delay_alu instid0(VALU_DEP_2) | instskip(NEXT) | instid1(VALU_DEP_2)
	v_mul_lo_u32 v1, v1, s16
	v_mul_lo_u32 v2, v2, s18
	s_delay_alu instid0(VALU_DEP_1) | instskip(NEXT) | instid1(VALU_DEP_1)
	v_sub_nc_u32_e32 v1, v1, v2
	v_cmp_lt_u32_e32 vcc_lo, s20, v1
	v_cmpx_ge_u32_e64 s20, v1
; %bb.35:
	v_add_nc_u32_e32 v1, s22, v16
	v_add_nc_u32_e32 v2, s40, v16
	s_delay_alu instid0(VALU_DEP_2) | instskip(NEXT) | instid1(VALU_DEP_2)
	v_mul_lo_u32 v1, v1, s21
	v_mul_lo_u32 v2, v2, s23
	s_delay_alu instid0(VALU_DEP_1) | instskip(NEXT) | instid1(VALU_DEP_1)
	v_sub_nc_u32_e32 v1, v1, v2
	v_cmp_lt_u32_e64 s0, s41, v1
	s_delay_alu instid0(VALU_DEP_1)
	s_and_b32 s2, s0, exec_lo
; %bb.36:
	s_or_b32 exec_lo, exec_lo, s6
	v_cndmask_b32_e64 v29, 0, 1, vcc_lo
	v_cndmask_b32_e64 v30, 0, 1, s2
.LBB248_37:
	s_or_b32 exec_lo, exec_lo, s1
	v_dual_mov_b32 v34, 0 :: v_dual_add_nc_u32 v1, 1, v28
	v_mov_b32_e32 v33, 0
	s_mov_b32 s2, 0
	s_mov_b32 s1, exec_lo
	s_delay_alu instid0(VALU_DEP_2)
	v_cmpx_gt_u32_e64 s3, v1
	s_cbranch_execz .LBB248_41
; %bb.38:
	v_add_nc_u32_e32 v1, s17, v17
	v_add_nc_u32_e32 v2, s19, v17
	s_mov_b32 s6, exec_lo
	s_delay_alu instid0(VALU_DEP_2) | instskip(NEXT) | instid1(VALU_DEP_2)
	v_mul_lo_u32 v1, v1, s16
	v_mul_lo_u32 v2, v2, s18
	s_delay_alu instid0(VALU_DEP_1) | instskip(NEXT) | instid1(VALU_DEP_1)
	v_sub_nc_u32_e32 v1, v1, v2
	v_cmp_lt_u32_e32 vcc_lo, s20, v1
	v_cmpx_ge_u32_e64 s20, v1
; %bb.39:
	v_add_nc_u32_e32 v1, s22, v17
	v_add_nc_u32_e32 v2, s40, v17
	s_delay_alu instid0(VALU_DEP_2) | instskip(NEXT) | instid1(VALU_DEP_2)
	v_mul_lo_u32 v1, v1, s21
	v_mul_lo_u32 v2, v2, s23
	s_delay_alu instid0(VALU_DEP_1) | instskip(NEXT) | instid1(VALU_DEP_1)
	v_sub_nc_u32_e32 v1, v1, v2
	v_cmp_lt_u32_e64 s0, s41, v1
	s_delay_alu instid0(VALU_DEP_1)
	s_and_b32 s2, s0, exec_lo
; %bb.40:
	s_or_b32 exec_lo, exec_lo, s6
	v_cndmask_b32_e64 v33, 0, 1, vcc_lo
	v_cndmask_b32_e64 v34, 0, 1, s2
.LBB248_41:
	s_or_b32 exec_lo, exec_lo, s1
	v_dual_mov_b32 v36, 0 :: v_dual_add_nc_u32 v1, 2, v28
	v_mov_b32_e32 v31, 0
	s_mov_b32 s2, 0
	s_mov_b32 s1, exec_lo
	s_delay_alu instid0(VALU_DEP_2)
	;; [unrolled: 35-line block ×4, first 2 shown]
	v_cmpx_gt_u32_e64 s3, v1
	s_cbranch_execz .LBB248_53
; %bb.50:
	v_add_nc_u32_e32 v1, s17, v12
	v_add_nc_u32_e32 v2, s19, v12
	s_mov_b32 s6, exec_lo
	s_delay_alu instid0(VALU_DEP_2) | instskip(NEXT) | instid1(VALU_DEP_2)
	v_mul_lo_u32 v1, v1, s16
	v_mul_lo_u32 v2, v2, s18
	s_delay_alu instid0(VALU_DEP_1) | instskip(NEXT) | instid1(VALU_DEP_1)
	v_sub_nc_u32_e32 v1, v1, v2
	v_cmp_lt_u32_e32 vcc_lo, s20, v1
	v_cmpx_ge_u32_e64 s20, v1
; %bb.51:
	v_add_nc_u32_e32 v1, s22, v12
	v_add_nc_u32_e32 v2, s40, v12
	s_delay_alu instid0(VALU_DEP_2) | instskip(NEXT) | instid1(VALU_DEP_2)
	v_mul_lo_u32 v1, v1, s21
	v_mul_lo_u32 v2, v2, s23
	s_delay_alu instid0(VALU_DEP_1) | instskip(NEXT) | instid1(VALU_DEP_1)
	v_sub_nc_u32_e32 v1, v1, v2
	v_cmp_lt_u32_e64 s0, s41, v1
	s_delay_alu instid0(VALU_DEP_1)
	s_and_b32 s2, s0, exec_lo
; %bb.52:
	s_or_b32 exec_lo, exec_lo, s6
	v_cndmask_b32_e64 v38, 0, 1, vcc_lo
	v_cndmask_b32_e64 v37, 0, 1, s2
.LBB248_53:
	s_or_b32 exec_lo, exec_lo, s1
	v_add_nc_u32_e32 v1, 5, v28
	v_mov_b32_e32 v39, 0
	v_mov_b32_e32 v41, 0
	s_mov_b32 s2, 0
	s_mov_b32 s1, exec_lo
	v_cmpx_gt_u32_e64 s3, v1
	s_cbranch_execz .LBB248_57
; %bb.54:
	v_add_nc_u32_e32 v1, s17, v13
	v_add_nc_u32_e32 v2, s19, v13
	s_mov_b32 s6, exec_lo
	s_delay_alu instid0(VALU_DEP_2) | instskip(NEXT) | instid1(VALU_DEP_2)
	v_mul_lo_u32 v1, v1, s16
	v_mul_lo_u32 v2, v2, s18
	s_delay_alu instid0(VALU_DEP_1) | instskip(NEXT) | instid1(VALU_DEP_1)
	v_sub_nc_u32_e32 v1, v1, v2
	v_cmp_lt_u32_e32 vcc_lo, s20, v1
	v_cmpx_ge_u32_e64 s20, v1
; %bb.55:
	v_add_nc_u32_e32 v1, s22, v13
	v_add_nc_u32_e32 v2, s40, v13
	s_delay_alu instid0(VALU_DEP_2) | instskip(NEXT) | instid1(VALU_DEP_2)
	v_mul_lo_u32 v1, v1, s21
	v_mul_lo_u32 v2, v2, s23
	s_delay_alu instid0(VALU_DEP_1) | instskip(NEXT) | instid1(VALU_DEP_1)
	v_sub_nc_u32_e32 v1, v1, v2
	v_cmp_lt_u32_e64 s0, s41, v1
	s_delay_alu instid0(VALU_DEP_1)
	s_and_b32 s2, s0, exec_lo
; %bb.56:
	s_or_b32 exec_lo, exec_lo, s6
	v_cndmask_b32_e64 v41, 0, 1, vcc_lo
	v_cndmask_b32_e64 v39, 0, 1, s2
.LBB248_57:
	s_or_b32 exec_lo, exec_lo, s1
	v_dual_mov_b32 v40, 0 :: v_dual_add_nc_u32 v1, 6, v28
	v_mov_b32_e32 v42, 0
	s_mov_b32 s2, 0
	s_mov_b32 s1, exec_lo
	s_delay_alu instid0(VALU_DEP_2)
	v_cmpx_gt_u32_e64 s3, v1
	s_cbranch_execz .LBB248_61
; %bb.58:
	v_add_nc_u32_e32 v1, s17, v10
	v_add_nc_u32_e32 v2, s19, v10
	s_mov_b32 s6, exec_lo
	s_delay_alu instid0(VALU_DEP_2) | instskip(NEXT) | instid1(VALU_DEP_2)
	v_mul_lo_u32 v1, v1, s16
	v_mul_lo_u32 v2, v2, s18
	s_delay_alu instid0(VALU_DEP_1) | instskip(NEXT) | instid1(VALU_DEP_1)
	v_sub_nc_u32_e32 v1, v1, v2
	v_cmp_lt_u32_e32 vcc_lo, s20, v1
	v_cmpx_ge_u32_e64 s20, v1
; %bb.59:
	v_add_nc_u32_e32 v1, s22, v10
	v_add_nc_u32_e32 v2, s40, v10
	s_delay_alu instid0(VALU_DEP_2) | instskip(NEXT) | instid1(VALU_DEP_2)
	v_mul_lo_u32 v1, v1, s21
	v_mul_lo_u32 v2, v2, s23
	s_delay_alu instid0(VALU_DEP_1) | instskip(NEXT) | instid1(VALU_DEP_1)
	v_sub_nc_u32_e32 v1, v1, v2
	v_cmp_lt_u32_e64 s0, s41, v1
	s_delay_alu instid0(VALU_DEP_1)
	s_and_b32 s2, s0, exec_lo
; %bb.60:
	s_or_b32 exec_lo, exec_lo, s6
	v_cndmask_b32_e64 v42, 0, 1, vcc_lo
	v_cndmask_b32_e64 v40, 0, 1, s2
.LBB248_61:
	s_or_b32 exec_lo, exec_lo, s1
	v_dual_mov_b32 v44, 0 :: v_dual_add_nc_u32 v1, 7, v28
	v_mov_b32_e32 v43, 0
	s_mov_b32 s2, 0
	s_mov_b32 s1, exec_lo
	s_delay_alu instid0(VALU_DEP_2)
	;; [unrolled: 35-line block ×3, first 2 shown]
	v_cmpx_gt_u32_e64 s3, v1
	s_cbranch_execz .LBB248_69
; %bb.66:
	v_add_nc_u32_e32 v1, s17, v8
	v_add_nc_u32_e32 v2, s19, v8
	s_mov_b32 s6, exec_lo
	s_delay_alu instid0(VALU_DEP_2) | instskip(NEXT) | instid1(VALU_DEP_2)
	v_mul_lo_u32 v1, v1, s16
	v_mul_lo_u32 v2, v2, s18
	s_delay_alu instid0(VALU_DEP_1) | instskip(NEXT) | instid1(VALU_DEP_1)
	v_sub_nc_u32_e32 v1, v1, v2
	v_cmp_lt_u32_e32 vcc_lo, s20, v1
	v_cmpx_ge_u32_e64 s20, v1
; %bb.67:
	v_add_nc_u32_e32 v1, s22, v8
	v_add_nc_u32_e32 v2, s40, v8
	s_delay_alu instid0(VALU_DEP_2) | instskip(NEXT) | instid1(VALU_DEP_2)
	v_mul_lo_u32 v1, v1, s21
	v_mul_lo_u32 v2, v2, s23
	s_delay_alu instid0(VALU_DEP_1) | instskip(NEXT) | instid1(VALU_DEP_1)
	v_sub_nc_u32_e32 v1, v1, v2
	v_cmp_lt_u32_e64 s0, s41, v1
	s_delay_alu instid0(VALU_DEP_1)
	s_and_b32 s2, s0, exec_lo
; %bb.68:
	s_or_b32 exec_lo, exec_lo, s6
	v_cndmask_b32_e64 v46, 0, 1, vcc_lo
	v_cndmask_b32_e64 v45, 0, 1, s2
.LBB248_69:
	s_or_b32 exec_lo, exec_lo, s1
	v_add_nc_u32_e32 v1, 9, v28
	v_mov_b32_e32 v47, 0
	v_mov_b32_e32 v49, 0
	s_mov_b32 s2, 0
	s_mov_b32 s1, exec_lo
	v_cmpx_gt_u32_e64 s3, v1
	s_cbranch_execz .LBB248_73
; %bb.70:
	v_add_nc_u32_e32 v1, s17, v9
	v_add_nc_u32_e32 v2, s19, v9
	s_mov_b32 s6, exec_lo
	s_delay_alu instid0(VALU_DEP_2) | instskip(NEXT) | instid1(VALU_DEP_2)
	v_mul_lo_u32 v1, v1, s16
	v_mul_lo_u32 v2, v2, s18
	s_delay_alu instid0(VALU_DEP_1) | instskip(NEXT) | instid1(VALU_DEP_1)
	v_sub_nc_u32_e32 v1, v1, v2
	v_cmp_lt_u32_e32 vcc_lo, s20, v1
	v_cmpx_ge_u32_e64 s20, v1
; %bb.71:
	v_add_nc_u32_e32 v1, s22, v9
	v_add_nc_u32_e32 v2, s40, v9
	s_delay_alu instid0(VALU_DEP_2) | instskip(NEXT) | instid1(VALU_DEP_2)
	v_mul_lo_u32 v1, v1, s21
	v_mul_lo_u32 v2, v2, s23
	s_delay_alu instid0(VALU_DEP_1) | instskip(NEXT) | instid1(VALU_DEP_1)
	v_sub_nc_u32_e32 v1, v1, v2
	v_cmp_lt_u32_e64 s0, s41, v1
	s_delay_alu instid0(VALU_DEP_1)
	s_and_b32 s2, s0, exec_lo
; %bb.72:
	s_or_b32 exec_lo, exec_lo, s6
	v_cndmask_b32_e64 v49, 0, 1, vcc_lo
	v_cndmask_b32_e64 v47, 0, 1, s2
.LBB248_73:
	s_or_b32 exec_lo, exec_lo, s1
	v_dual_mov_b32 v48, 0 :: v_dual_add_nc_u32 v1, 10, v28
	v_mov_b32_e32 v50, 0
	s_mov_b32 s2, 0
	s_mov_b32 s1, exec_lo
	s_delay_alu instid0(VALU_DEP_2)
	v_cmpx_gt_u32_e64 s3, v1
	s_cbranch_execz .LBB248_77
; %bb.74:
	v_add_nc_u32_e32 v1, s17, v6
	v_add_nc_u32_e32 v2, s19, v6
	s_mov_b32 s6, exec_lo
	s_delay_alu instid0(VALU_DEP_2) | instskip(NEXT) | instid1(VALU_DEP_2)
	v_mul_lo_u32 v1, v1, s16
	v_mul_lo_u32 v2, v2, s18
	s_delay_alu instid0(VALU_DEP_1) | instskip(NEXT) | instid1(VALU_DEP_1)
	v_sub_nc_u32_e32 v1, v1, v2
	v_cmp_lt_u32_e32 vcc_lo, s20, v1
	v_cmpx_ge_u32_e64 s20, v1
; %bb.75:
	v_add_nc_u32_e32 v1, s22, v6
	v_add_nc_u32_e32 v2, s40, v6
	s_delay_alu instid0(VALU_DEP_2) | instskip(NEXT) | instid1(VALU_DEP_2)
	v_mul_lo_u32 v1, v1, s21
	v_mul_lo_u32 v2, v2, s23
	s_delay_alu instid0(VALU_DEP_1) | instskip(NEXT) | instid1(VALU_DEP_1)
	v_sub_nc_u32_e32 v1, v1, v2
	v_cmp_lt_u32_e64 s0, s41, v1
	s_delay_alu instid0(VALU_DEP_1)
	s_and_b32 s2, s0, exec_lo
; %bb.76:
	s_or_b32 exec_lo, exec_lo, s6
	v_cndmask_b32_e64 v50, 0, 1, vcc_lo
	v_cndmask_b32_e64 v48, 0, 1, s2
.LBB248_77:
	s_or_b32 exec_lo, exec_lo, s1
	v_dual_mov_b32 v52, 0 :: v_dual_add_nc_u32 v1, 11, v28
	v_mov_b32_e32 v51, 0
	s_mov_b32 s2, 0
	s_mov_b32 s1, exec_lo
	s_delay_alu instid0(VALU_DEP_2)
	v_cmpx_gt_u32_e64 s3, v1
	s_cbranch_execz .LBB248_81
; %bb.78:
	v_add_nc_u32_e32 v1, s17, v7
	v_add_nc_u32_e32 v2, s19, v7
	s_mov_b32 s6, exec_lo
	s_delay_alu instid0(VALU_DEP_2) | instskip(NEXT) | instid1(VALU_DEP_2)
	v_mul_lo_u32 v1, v1, s16
	v_mul_lo_u32 v2, v2, s18
	s_delay_alu instid0(VALU_DEP_1) | instskip(NEXT) | instid1(VALU_DEP_1)
	v_sub_nc_u32_e32 v1, v1, v2
	v_cmp_lt_u32_e32 vcc_lo, s20, v1
	v_cmpx_ge_u32_e64 s20, v1
; %bb.79:
	v_add_nc_u32_e32 v1, s22, v7
	v_add_nc_u32_e32 v2, s40, v7
	s_delay_alu instid0(VALU_DEP_2) | instskip(NEXT) | instid1(VALU_DEP_2)
	v_mul_lo_u32 v1, v1, s21
	v_mul_lo_u32 v2, v2, s23
	s_delay_alu instid0(VALU_DEP_1) | instskip(NEXT) | instid1(VALU_DEP_1)
	v_sub_nc_u32_e32 v1, v1, v2
	v_cmp_lt_u32_e64 s0, s41, v1
	s_delay_alu instid0(VALU_DEP_1)
	s_and_b32 s2, s0, exec_lo
; %bb.80:
	s_or_b32 exec_lo, exec_lo, s6
	v_cndmask_b32_e64 v51, 0, 1, vcc_lo
	v_cndmask_b32_e64 v52, 0, 1, s2
.LBB248_81:
	s_or_b32 exec_lo, exec_lo, s1
	v_add_nc_u32_e32 v1, 12, v28
	s_mov_b32 s42, 0
	s_mov_b32 s43, 0
	s_mov_b32 s0, exec_lo
	s_delay_alu instid0(VALU_DEP_1)
	v_cmpx_gt_u32_e64 s3, v1
	s_cbranch_execz .LBB248_85
; %bb.82:
	v_add_nc_u32_e32 v1, s17, v27
	v_add_nc_u32_e32 v2, s19, v27
	s_mov_b32 s2, -1
	s_mov_b32 s6, 0
	s_mov_b32 s1, exec_lo
	v_mul_lo_u32 v1, v1, s16
	v_mul_lo_u32 v2, v2, s18
	s_delay_alu instid0(VALU_DEP_1) | instskip(NEXT) | instid1(VALU_DEP_1)
	v_sub_nc_u32_e32 v1, v1, v2
	v_cmpx_ge_u32_e64 s20, v1
; %bb.83:
	v_add_nc_u32_e32 v1, s22, v27
	v_add_nc_u32_e32 v2, s40, v27
	s_xor_b32 s2, exec_lo, -1
	s_delay_alu instid0(VALU_DEP_2) | instskip(NEXT) | instid1(VALU_DEP_2)
	v_mul_lo_u32 v1, v1, s21
	v_mul_lo_u32 v2, v2, s23
	s_delay_alu instid0(VALU_DEP_1) | instskip(NEXT) | instid1(VALU_DEP_1)
	v_sub_nc_u32_e32 v1, v1, v2
	v_cmp_lt_u32_e32 vcc_lo, s41, v1
	s_and_b32 s6, vcc_lo, exec_lo
; %bb.84:
	s_or_b32 exec_lo, exec_lo, s1
	s_delay_alu instid0(SALU_CYCLE_1)
	s_and_b32 s43, s6, exec_lo
	s_and_b32 s42, s2, exec_lo
.LBB248_85:
	s_or_b32 exec_lo, exec_lo, s0
.LBB248_86:
	v_and_b32_e32 v75, 0xff, v29
	v_and_b32_e32 v76, 0xff, v30
	;; [unrolled: 1-line block ×10, first 2 shown]
	v_add3_u32 v1, v71, v73, v75
	v_add3_u32 v2, v72, v74, v76
	v_and_b32_e32 v65, 0xff, v41
	v_and_b32_e32 v66, 0xff, v39
	v_and_b32_e32 v61, 0xff, v42
	v_and_b32_e32 v62, 0xff, v40
	v_add3_u32 v1, v1, v69, v67
	v_add3_u32 v2, v2, v70, v68
	v_and_b32_e32 v63, 0xff, v44
	v_and_b32_e32 v64, 0xff, v43
	v_and_b32_e32 v59, 0xff, v46
	v_and_b32_e32 v60, 0xff, v45
	;; [unrolled: 6-line block ×3, first 2 shown]
	v_add3_u32 v1, v1, v63, v59
	v_add3_u32 v2, v2, v64, v60
	v_mbcnt_lo_u32_b32 v77, -1, 0
	v_and_b32_e32 v53, 0xff, v51
	v_and_b32_e32 v54, 0xff, v52
	v_cndmask_b32_e64 v3, 0, 1, s43
	v_add3_u32 v1, v1, v57, v55
	v_cndmask_b32_e64 v4, 0, 1, s42
	v_add3_u32 v2, v2, v58, v56
	v_and_b32_e32 v81, 15, v77
	v_and_b32_e32 v80, 16, v77
	v_lshrrev_b32_e32 v78, 5, v0
	v_add3_u32 v82, v1, v53, v4
	v_add3_u32 v83, v2, v54, v3
	v_cmp_eq_u32_e64 s1, 0, v81
	v_cmp_lt_u32_e64 s0, 1, v81
	v_cmp_lt_u32_e64 s2, 3, v81
	v_cmp_lt_u32_e32 vcc_lo, 7, v81
	v_or_b32_e32 v79, 31, v0
	s_cmp_lg_u32 s15, 0
	s_mov_b32 s6, -1
	s_cbranch_scc0 .LBB248_119
; %bb.87:
	v_mov_b32_dpp v1, v83 row_shr:1 row_mask:0xf bank_mask:0xf
	v_mov_b32_dpp v2, v82 row_shr:1 row_mask:0xf bank_mask:0xf
	s_delay_alu instid0(VALU_DEP_2) | instskip(NEXT) | instid1(VALU_DEP_1)
	v_add_nc_u32_e32 v1, v1, v83
	v_cndmask_b32_e64 v1, v1, v83, s1
	s_delay_alu instid0(VALU_DEP_1) | instskip(NEXT) | instid1(VALU_DEP_1)
	v_mov_b32_dpp v3, v1 row_shr:2 row_mask:0xf bank_mask:0xf
	v_add_nc_u32_e32 v3, v1, v3
	s_delay_alu instid0(VALU_DEP_1) | instskip(NEXT) | instid1(VALU_DEP_1)
	v_cndmask_b32_e64 v1, v1, v3, s0
	v_mov_b32_dpp v3, v1 row_shr:4 row_mask:0xf bank_mask:0xf
	s_delay_alu instid0(VALU_DEP_1) | instskip(NEXT) | instid1(VALU_DEP_1)
	v_add_nc_u32_e32 v3, v1, v3
	v_cndmask_b32_e64 v1, v1, v3, s2
	s_delay_alu instid0(VALU_DEP_1) | instskip(NEXT) | instid1(VALU_DEP_1)
	v_mov_b32_dpp v3, v1 row_shr:8 row_mask:0xf bank_mask:0xf
	v_add_nc_u32_e32 v3, v1, v3
	s_delay_alu instid0(VALU_DEP_1) | instskip(NEXT) | instid1(VALU_DEP_1)
	v_dual_cndmask_b32 v1, v1, v3 :: v_dual_add_nc_u32 v2, v2, v82
	v_cndmask_b32_e64 v2, v2, v82, s1
	s_delay_alu instid0(VALU_DEP_1) | instskip(NEXT) | instid1(VALU_DEP_1)
	v_mov_b32_dpp v4, v2 row_shr:2 row_mask:0xf bank_mask:0xf
	v_add_nc_u32_e32 v4, v2, v4
	s_delay_alu instid0(VALU_DEP_1) | instskip(NEXT) | instid1(VALU_DEP_1)
	v_cndmask_b32_e64 v2, v2, v4, s0
	v_mov_b32_dpp v4, v2 row_shr:4 row_mask:0xf bank_mask:0xf
	s_delay_alu instid0(VALU_DEP_1) | instskip(NEXT) | instid1(VALU_DEP_1)
	v_add_nc_u32_e32 v4, v2, v4
	v_cndmask_b32_e64 v2, v2, v4, s2
	s_mov_b32 s2, exec_lo
	s_delay_alu instid0(VALU_DEP_1) | instskip(NEXT) | instid1(VALU_DEP_1)
	v_mov_b32_dpp v4, v2 row_shr:8 row_mask:0xf bank_mask:0xf
	v_add_nc_u32_e32 v4, v2, v4
	s_delay_alu instid0(VALU_DEP_1)
	v_cndmask_b32_e32 v3, v2, v4, vcc_lo
	ds_swizzle_b32 v2, v1 offset:swizzle(BROADCAST,32,15)
	v_cmp_eq_u32_e32 vcc_lo, 0, v80
	s_waitcnt lgkmcnt(0)
	v_add_nc_u32_e32 v2, v1, v2
	ds_swizzle_b32 v4, v3 offset:swizzle(BROADCAST,32,15)
	v_cndmask_b32_e32 v2, v2, v1, vcc_lo
	s_waitcnt lgkmcnt(0)
	v_add_nc_u32_e32 v4, v3, v4
	s_delay_alu instid0(VALU_DEP_1)
	v_cndmask_b32_e32 v1, v4, v3, vcc_lo
	v_cmpx_eq_u32_e64 v79, v0
	s_cbranch_execz .LBB248_89
; %bb.88:
	v_lshlrev_b32_e32 v3, 3, v78
	ds_store_b64 v3, v[1:2]
.LBB248_89:
	s_or_b32 exec_lo, exec_lo, s2
	s_delay_alu instid0(SALU_CYCLE_1)
	s_mov_b32 s2, exec_lo
	s_waitcnt lgkmcnt(0)
	s_barrier
	buffer_gl0_inv
	v_cmpx_gt_u32_e32 8, v0
	s_cbranch_execz .LBB248_91
; %bb.90:
	v_lshlrev_b32_e32 v5, 3, v0
	ds_load_b64 v[3:4], v5
	s_waitcnt lgkmcnt(0)
	v_mov_b32_dpp v18, v3 row_shr:1 row_mask:0xf bank_mask:0xf
	v_mov_b32_dpp v19, v4 row_shr:1 row_mask:0xf bank_mask:0xf
	s_delay_alu instid0(VALU_DEP_2) | instskip(SKIP_1) | instid1(VALU_DEP_3)
	v_add_nc_u32_e32 v18, v18, v3
	v_and_b32_e32 v20, 7, v77
	v_add_nc_u32_e32 v19, v19, v4
	s_delay_alu instid0(VALU_DEP_2) | instskip(NEXT) | instid1(VALU_DEP_2)
	v_cmp_eq_u32_e32 vcc_lo, 0, v20
	v_dual_cndmask_b32 v4, v19, v4 :: v_dual_cndmask_b32 v3, v18, v3
	v_cmp_lt_u32_e32 vcc_lo, 1, v20
	s_delay_alu instid0(VALU_DEP_2) | instskip(NEXT) | instid1(VALU_DEP_3)
	v_mov_b32_dpp v19, v4 row_shr:2 row_mask:0xf bank_mask:0xf
	v_mov_b32_dpp v18, v3 row_shr:2 row_mask:0xf bank_mask:0xf
	s_delay_alu instid0(VALU_DEP_2) | instskip(NEXT) | instid1(VALU_DEP_2)
	v_add_nc_u32_e32 v19, v4, v19
	v_add_nc_u32_e32 v18, v3, v18
	s_delay_alu instid0(VALU_DEP_1) | instskip(SKIP_1) | instid1(VALU_DEP_2)
	v_dual_cndmask_b32 v4, v4, v19 :: v_dual_cndmask_b32 v3, v3, v18
	v_cmp_lt_u32_e32 vcc_lo, 3, v20
	v_mov_b32_dpp v19, v4 row_shr:4 row_mask:0xf bank_mask:0xf
	s_delay_alu instid0(VALU_DEP_3) | instskip(NEXT) | instid1(VALU_DEP_1)
	v_mov_b32_dpp v18, v3 row_shr:4 row_mask:0xf bank_mask:0xf
	v_dual_cndmask_b32 v19, 0, v19 :: v_dual_cndmask_b32 v18, 0, v18
	s_delay_alu instid0(VALU_DEP_1) | instskip(NEXT) | instid1(VALU_DEP_2)
	v_add_nc_u32_e32 v4, v19, v4
	v_add_nc_u32_e32 v3, v18, v3
	ds_store_b64 v5, v[3:4]
.LBB248_91:
	s_or_b32 exec_lo, exec_lo, s2
	v_cmp_gt_u32_e32 vcc_lo, 32, v0
	v_cmp_lt_u32_e64 s2, 31, v0
	s_waitcnt lgkmcnt(0)
	s_barrier
	buffer_gl0_inv
                                        ; implicit-def: $vgpr19
	s_and_saveexec_b32 s6, s2
	s_delay_alu instid0(SALU_CYCLE_1)
	s_xor_b32 s2, exec_lo, s6
	s_cbranch_execz .LBB248_93
; %bb.92:
	v_lshl_add_u32 v3, v78, 3, -8
	ds_load_b64 v[18:19], v3
	s_waitcnt lgkmcnt(0)
	v_add_nc_u32_e32 v2, v19, v2
	v_add_nc_u32_e32 v1, v18, v1
.LBB248_93:
	s_and_not1_saveexec_b32 s2, s2
; %bb.94:
                                        ; implicit-def: $vgpr18
; %bb.95:
	s_delay_alu instid0(SALU_CYCLE_1) | instskip(SKIP_1) | instid1(VALU_DEP_1)
	s_or_b32 exec_lo, exec_lo, s2
	v_add_nc_u32_e32 v3, -1, v77
	v_cmp_gt_i32_e64 s2, 0, v3
	s_delay_alu instid0(VALU_DEP_1) | instskip(SKIP_1) | instid1(VALU_DEP_2)
	v_cndmask_b32_e64 v3, v3, v77, s2
	v_cmp_eq_u32_e64 s2, 0, v77
	v_lshlrev_b32_e32 v3, 2, v3
	ds_bpermute_b32 v84, v3, v1
	ds_bpermute_b32 v85, v3, v2
	s_and_saveexec_b32 s6, vcc_lo
	s_cbranch_execz .LBB248_118
; %bb.96:
	v_mov_b32_e32 v4, 0
	ds_load_b64 v[1:2], v4 offset:56
	s_waitcnt lgkmcnt(0)
	v_readfirstlane_b32 s7, v2
	s_and_saveexec_b32 s8, s2
	s_cbranch_execz .LBB248_98
; %bb.97:
	s_add_i32 s10, s15, 32
	s_mov_b32 s11, 0
	v_mov_b32_e32 v3, 1
	s_lshl_b64 s[12:13], s[10:11], 4
	s_mov_b32 s16, s11
	s_add_u32 s12, s4, s12
	s_addc_u32 s13, s5, s13
	s_and_b32 s17, s7, 0xff000000
	s_and_b32 s19, s7, 0xff0000
	s_mov_b32 s18, s11
	v_dual_mov_b32 v21, s13 :: v_dual_mov_b32 v20, s12
	s_or_b64 s[16:17], s[18:19], s[16:17]
	s_and_b32 s19, s7, 0xff00
	s_delay_alu instid0(SALU_CYCLE_1) | instskip(SKIP_1) | instid1(SALU_CYCLE_1)
	s_or_b64 s[16:17], s[16:17], s[18:19]
	s_and_b32 s19, s7, 0xff
	s_or_b64 s[10:11], s[16:17], s[18:19]
	s_delay_alu instid0(SALU_CYCLE_1)
	v_mov_b32_e32 v2, s11
	;;#ASMSTART
	global_store_dwordx4 v[20:21], v[1:4] off	
s_waitcnt vmcnt(0)
	;;#ASMEND
.LBB248_98:
	s_or_b32 exec_lo, exec_lo, s8
	v_xad_u32 v20, v77, -1, s15
	s_mov_b32 s9, 0
	s_mov_b32 s8, exec_lo
	s_delay_alu instid0(VALU_DEP_1) | instskip(NEXT) | instid1(VALU_DEP_1)
	v_add_nc_u32_e32 v3, 32, v20
	v_lshlrev_b64 v[2:3], 4, v[3:4]
	s_delay_alu instid0(VALU_DEP_1) | instskip(NEXT) | instid1(VALU_DEP_2)
	v_add_co_u32 v21, vcc_lo, s4, v2
	v_add_co_ci_u32_e32 v22, vcc_lo, s5, v3, vcc_lo
	;;#ASMSTART
	global_load_dwordx4 v[2:5], v[21:22] off glc	
s_waitcnt vmcnt(0)
	;;#ASMEND
	v_and_b32_e32 v5, 0xff, v3
	v_and_b32_e32 v23, 0xff00, v3
	v_or3_b32 v2, v2, 0, 0
	v_and_b32_e32 v24, 0xff000000, v3
	v_and_b32_e32 v3, 0xff0000, v3
	s_delay_alu instid0(VALU_DEP_4) | instskip(SKIP_2) | instid1(VALU_DEP_3)
	v_or3_b32 v5, 0, v5, v23
	v_and_b32_e32 v23, 0xff, v4
	v_or3_b32 v2, v2, 0, 0
	v_or3_b32 v3, v5, v3, v24
	s_delay_alu instid0(VALU_DEP_3)
	v_cmpx_eq_u16_e32 0, v23
	s_cbranch_execz .LBB248_104
; %bb.99:
	s_mov_b32 s10, 1
	.p2align	6
.LBB248_100:                            ; =>This Loop Header: Depth=1
                                        ;     Child Loop BB248_101 Depth 2
	s_delay_alu instid0(SALU_CYCLE_1)
	s_max_u32 s11, s10, 1
.LBB248_101:                            ;   Parent Loop BB248_100 Depth=1
                                        ; =>  This Inner Loop Header: Depth=2
	s_delay_alu instid0(SALU_CYCLE_1)
	s_add_i32 s11, s11, -1
	s_sleep 1
	s_cmp_eq_u32 s11, 0
	s_cbranch_scc0 .LBB248_101
; %bb.102:                              ;   in Loop: Header=BB248_100 Depth=1
	;;#ASMSTART
	global_load_dwordx4 v[2:5], v[21:22] off glc	
s_waitcnt vmcnt(0)
	;;#ASMEND
	v_and_b32_e32 v5, 0xff, v4
	s_cmp_lt_u32 s10, 32
	s_cselect_b32 s11, -1, 0
	s_delay_alu instid0(SALU_CYCLE_1) | instskip(NEXT) | instid1(VALU_DEP_1)
	s_cmp_lg_u32 s11, 0
	v_cmp_ne_u16_e32 vcc_lo, 0, v5
	s_addc_u32 s10, s10, 0
	s_or_b32 s9, vcc_lo, s9
	s_delay_alu instid0(SALU_CYCLE_1)
	s_and_not1_b32 exec_lo, exec_lo, s9
	s_cbranch_execnz .LBB248_100
; %bb.103:
	s_or_b32 exec_lo, exec_lo, s9
.LBB248_104:
	s_delay_alu instid0(SALU_CYCLE_1)
	s_or_b32 exec_lo, exec_lo, s8
	v_cmp_ne_u32_e32 vcc_lo, 31, v77
	v_lshlrev_b32_e64 v87, v77, -1
	v_add_nc_u32_e32 v91, 4, v77
	v_add_nc_u32_e32 v93, 8, v77
	;; [unrolled: 1-line block ×3, first 2 shown]
	v_add_co_ci_u32_e32 v5, vcc_lo, 0, v77, vcc_lo
	s_delay_alu instid0(VALU_DEP_1)
	v_lshlrev_b32_e32 v86, 2, v5
	ds_bpermute_b32 v21, v86, v3
	ds_bpermute_b32 v5, v86, v2
	s_waitcnt lgkmcnt(1)
	v_add_nc_u32_e32 v21, v21, v3
	v_and_b32_e32 v22, 0xff, v4
	s_waitcnt lgkmcnt(0)
	v_add_nc_u32_e32 v5, v5, v2
	s_delay_alu instid0(VALU_DEP_2) | instskip(SKIP_2) | instid1(VALU_DEP_2)
	v_cmp_eq_u16_e32 vcc_lo, 2, v22
	v_and_or_b32 v22, vcc_lo, v87, 0x80000000
	v_cmp_gt_u32_e32 vcc_lo, 30, v77
	v_ctz_i32_b32_e32 v22, v22
	v_cndmask_b32_e64 v23, 0, 1, vcc_lo
	s_delay_alu instid0(VALU_DEP_2) | instskip(NEXT) | instid1(VALU_DEP_2)
	v_cmp_lt_u32_e32 vcc_lo, v77, v22
	v_dual_cndmask_b32 v2, v2, v5 :: v_dual_lshlrev_b32 v23, 1, v23
	s_delay_alu instid0(VALU_DEP_1)
	v_add_lshl_u32 v88, v23, v77, 2
	v_cndmask_b32_e32 v3, v3, v21, vcc_lo
	v_cmp_gt_u32_e32 vcc_lo, 28, v77
	ds_bpermute_b32 v5, v88, v2
	ds_bpermute_b32 v21, v88, v3
	v_cndmask_b32_e64 v23, 0, 1, vcc_lo
	s_waitcnt lgkmcnt(1)
	v_add_nc_u32_e32 v5, v2, v5
	v_add_nc_u32_e32 v89, 2, v77
	s_waitcnt lgkmcnt(0)
	v_add_nc_u32_e32 v21, v3, v21
	s_delay_alu instid0(VALU_DEP_2) | instskip(SKIP_1) | instid1(VALU_DEP_3)
	v_cmp_gt_u32_e32 vcc_lo, v89, v22
	v_dual_cndmask_b32 v2, v5, v2 :: v_dual_lshlrev_b32 v23, 2, v23
	v_cndmask_b32_e32 v3, v21, v3, vcc_lo
	v_cmp_gt_u32_e32 vcc_lo, 24, v77
	s_delay_alu instid0(VALU_DEP_3)
	v_add_lshl_u32 v90, v23, v77, 2
	v_cndmask_b32_e64 v23, 0, 1, vcc_lo
	v_cmp_gt_u32_e32 vcc_lo, v91, v22
	ds_bpermute_b32 v5, v90, v2
	ds_bpermute_b32 v21, v90, v3
	v_lshlrev_b32_e32 v23, 3, v23
	s_delay_alu instid0(VALU_DEP_1) | instskip(SKIP_3) | instid1(VALU_DEP_1)
	v_add_lshl_u32 v92, v23, v77, 2
	s_waitcnt lgkmcnt(1)
	v_add_nc_u32_e32 v5, v2, v5
	s_waitcnt lgkmcnt(0)
	v_dual_cndmask_b32 v2, v5, v2 :: v_dual_add_nc_u32 v21, v3, v21
	s_delay_alu instid0(VALU_DEP_1)
	v_cndmask_b32_e32 v3, v21, v3, vcc_lo
	v_cmp_gt_u32_e32 vcc_lo, 16, v77
	ds_bpermute_b32 v5, v92, v2
	ds_bpermute_b32 v21, v92, v3
	v_cndmask_b32_e64 v23, 0, 1, vcc_lo
	v_cmp_gt_u32_e32 vcc_lo, v93, v22
	s_delay_alu instid0(VALU_DEP_2) | instskip(NEXT) | instid1(VALU_DEP_1)
	v_lshlrev_b32_e32 v23, 4, v23
	v_add_lshl_u32 v94, v23, v77, 2
	s_waitcnt lgkmcnt(1)
	v_add_nc_u32_e32 v5, v2, v5
	s_waitcnt lgkmcnt(0)
	s_delay_alu instid0(VALU_DEP_1) | instskip(NEXT) | instid1(VALU_DEP_1)
	v_dual_cndmask_b32 v2, v5, v2 :: v_dual_add_nc_u32 v21, v3, v21
	v_cndmask_b32_e32 v3, v21, v3, vcc_lo
	v_cmp_le_u32_e32 vcc_lo, v95, v22
	ds_bpermute_b32 v5, v94, v2
	ds_bpermute_b32 v21, v94, v3
	s_waitcnt lgkmcnt(1)
	v_cndmask_b32_e32 v5, 0, v5, vcc_lo
	s_waitcnt lgkmcnt(0)
	s_delay_alu instid0(VALU_DEP_1) | instskip(NEXT) | instid1(VALU_DEP_1)
	v_dual_cndmask_b32 v21, 0, v21 :: v_dual_add_nc_u32 v2, v5, v2
	v_add_nc_u32_e32 v3, v21, v3
	v_mov_b32_e32 v21, 0
	s_branch .LBB248_106
.LBB248_105:                            ;   in Loop: Header=BB248_106 Depth=1
	s_or_b32 exec_lo, exec_lo, s8
	ds_bpermute_b32 v5, v86, v2
	ds_bpermute_b32 v24, v86, v3
	v_subrev_nc_u32_e32 v20, 32, v20
	s_waitcnt lgkmcnt(1)
	v_add_nc_u32_e32 v5, v5, v2
	v_and_b32_e32 v25, 0xff, v4
	s_waitcnt lgkmcnt(0)
	v_add_nc_u32_e32 v24, v24, v3
	s_delay_alu instid0(VALU_DEP_2) | instskip(SKIP_1) | instid1(VALU_DEP_1)
	v_cmp_eq_u16_e32 vcc_lo, 2, v25
	v_and_or_b32 v25, vcc_lo, v87, 0x80000000
	v_ctz_i32_b32_e32 v25, v25
	s_delay_alu instid0(VALU_DEP_1)
	v_cmp_lt_u32_e32 vcc_lo, v77, v25
	v_cndmask_b32_e32 v2, v2, v5, vcc_lo
	ds_bpermute_b32 v5, v88, v2
	s_waitcnt lgkmcnt(0)
	v_add_nc_u32_e32 v5, v2, v5
	v_cndmask_b32_e32 v3, v3, v24, vcc_lo
	v_cmp_gt_u32_e32 vcc_lo, v89, v25
	s_delay_alu instid0(VALU_DEP_3)
	v_cndmask_b32_e32 v2, v5, v2, vcc_lo
	ds_bpermute_b32 v24, v88, v3
	ds_bpermute_b32 v5, v90, v2
	s_waitcnt lgkmcnt(1)
	v_add_nc_u32_e32 v24, v3, v24
	s_waitcnt lgkmcnt(0)
	v_add_nc_u32_e32 v5, v2, v5
	s_delay_alu instid0(VALU_DEP_2) | instskip(SKIP_1) | instid1(VALU_DEP_3)
	v_cndmask_b32_e32 v3, v24, v3, vcc_lo
	v_cmp_gt_u32_e32 vcc_lo, v91, v25
	v_cndmask_b32_e32 v2, v5, v2, vcc_lo
	ds_bpermute_b32 v24, v90, v3
	ds_bpermute_b32 v5, v92, v2
	s_waitcnt lgkmcnt(1)
	v_add_nc_u32_e32 v24, v3, v24
	s_waitcnt lgkmcnt(0)
	v_add_nc_u32_e32 v5, v2, v5
	s_delay_alu instid0(VALU_DEP_2) | instskip(SKIP_1) | instid1(VALU_DEP_3)
	v_cndmask_b32_e32 v3, v24, v3, vcc_lo
	v_cmp_gt_u32_e32 vcc_lo, v93, v25
	v_cndmask_b32_e32 v2, v5, v2, vcc_lo
	ds_bpermute_b32 v24, v92, v3
	ds_bpermute_b32 v5, v94, v2
	s_waitcnt lgkmcnt(1)
	v_add_nc_u32_e32 v24, v3, v24
	s_delay_alu instid0(VALU_DEP_1) | instskip(SKIP_4) | instid1(VALU_DEP_1)
	v_cndmask_b32_e32 v3, v24, v3, vcc_lo
	v_cmp_le_u32_e32 vcc_lo, v95, v25
	ds_bpermute_b32 v24, v94, v3
	s_waitcnt lgkmcnt(1)
	v_cndmask_b32_e32 v5, 0, v5, vcc_lo
	v_add3_u32 v2, v2, v22, v5
	s_waitcnt lgkmcnt(0)
	v_cndmask_b32_e32 v24, 0, v24, vcc_lo
	s_delay_alu instid0(VALU_DEP_1)
	v_add3_u32 v3, v3, v23, v24
.LBB248_106:                            ; =>This Loop Header: Depth=1
                                        ;     Child Loop BB248_109 Depth 2
                                        ;       Child Loop BB248_110 Depth 3
	s_delay_alu instid0(VALU_DEP_1) | instskip(SKIP_1) | instid1(VALU_DEP_2)
	v_dual_mov_b32 v23, v3 :: v_dual_and_b32 v4, 0xff, v4
	v_mov_b32_e32 v22, v2
	v_cmp_ne_u16_e32 vcc_lo, 2, v4
	v_cndmask_b32_e64 v4, 0, 1, vcc_lo
	;;#ASMSTART
	;;#ASMEND
	s_delay_alu instid0(VALU_DEP_1)
	v_cmp_ne_u32_e32 vcc_lo, 0, v4
	s_cmp_lg_u32 vcc_lo, exec_lo
	s_cbranch_scc1 .LBB248_113
; %bb.107:                              ;   in Loop: Header=BB248_106 Depth=1
	v_lshlrev_b64 v[2:3], 4, v[20:21]
	s_mov_b32 s8, exec_lo
	s_delay_alu instid0(VALU_DEP_1) | instskip(NEXT) | instid1(VALU_DEP_2)
	v_add_co_u32 v24, vcc_lo, s4, v2
	v_add_co_ci_u32_e32 v25, vcc_lo, s5, v3, vcc_lo
	;;#ASMSTART
	global_load_dwordx4 v[2:5], v[24:25] off glc	
s_waitcnt vmcnt(0)
	;;#ASMEND
	v_and_b32_e32 v5, 0xff, v3
	v_and_b32_e32 v96, 0xff00, v3
	v_or3_b32 v2, v2, 0, 0
	v_and_b32_e32 v97, 0xff000000, v3
	v_and_b32_e32 v3, 0xff0000, v3
	s_delay_alu instid0(VALU_DEP_4) | instskip(SKIP_2) | instid1(VALU_DEP_3)
	v_or3_b32 v5, 0, v5, v96
	v_and_b32_e32 v96, 0xff, v4
	v_or3_b32 v2, v2, 0, 0
	v_or3_b32 v3, v5, v3, v97
	s_delay_alu instid0(VALU_DEP_3)
	v_cmpx_eq_u16_e32 0, v96
	s_cbranch_execz .LBB248_105
; %bb.108:                              ;   in Loop: Header=BB248_106 Depth=1
	s_mov_b32 s10, 1
	s_mov_b32 s9, 0
	.p2align	6
.LBB248_109:                            ;   Parent Loop BB248_106 Depth=1
                                        ; =>  This Loop Header: Depth=2
                                        ;       Child Loop BB248_110 Depth 3
	s_max_u32 s11, s10, 1
.LBB248_110:                            ;   Parent Loop BB248_106 Depth=1
                                        ;     Parent Loop BB248_109 Depth=2
                                        ; =>    This Inner Loop Header: Depth=3
	s_delay_alu instid0(SALU_CYCLE_1)
	s_add_i32 s11, s11, -1
	s_sleep 1
	s_cmp_eq_u32 s11, 0
	s_cbranch_scc0 .LBB248_110
; %bb.111:                              ;   in Loop: Header=BB248_109 Depth=2
	;;#ASMSTART
	global_load_dwordx4 v[2:5], v[24:25] off glc	
s_waitcnt vmcnt(0)
	;;#ASMEND
	v_and_b32_e32 v5, 0xff, v4
	s_cmp_lt_u32 s10, 32
	s_cselect_b32 s11, -1, 0
	s_delay_alu instid0(SALU_CYCLE_1) | instskip(NEXT) | instid1(VALU_DEP_1)
	s_cmp_lg_u32 s11, 0
	v_cmp_ne_u16_e32 vcc_lo, 0, v5
	s_addc_u32 s10, s10, 0
	s_or_b32 s9, vcc_lo, s9
	s_delay_alu instid0(SALU_CYCLE_1)
	s_and_not1_b32 exec_lo, exec_lo, s9
	s_cbranch_execnz .LBB248_109
; %bb.112:                              ;   in Loop: Header=BB248_106 Depth=1
	s_or_b32 exec_lo, exec_lo, s9
	s_branch .LBB248_105
.LBB248_113:                            ;   in Loop: Header=BB248_106 Depth=1
                                        ; implicit-def: $vgpr4
                                        ; implicit-def: $vgpr2_vgpr3
	s_cbranch_execz .LBB248_106
; %bb.114:
	s_and_saveexec_b32 s8, s2
	s_cbranch_execnz .LBB248_357
; %bb.115:
	s_or_b32 exec_lo, exec_lo, s8
	s_and_saveexec_b32 s8, s2
	s_cbranch_execnz .LBB248_358
.LBB248_116:
	s_or_b32 exec_lo, exec_lo, s8
	v_cmp_eq_u32_e32 vcc_lo, 0, v0
	s_and_b32 exec_lo, exec_lo, vcc_lo
	s_cbranch_execz .LBB248_118
.LBB248_117:
	v_mov_b32_e32 v1, 0
	ds_store_b64 v1, v[22:23] offset:56
.LBB248_118:
	s_or_b32 exec_lo, exec_lo, s6
	v_cmp_eq_u32_e32 vcc_lo, 0, v0
	v_mov_b32_e32 v1, 0
	s_waitcnt lgkmcnt(0)
	s_barrier
	buffer_gl0_inv
	v_add_nc_u32_e64 v3, 0x3400, 0
	ds_load_b64 v[20:21], v1 offset:56
	s_waitcnt lgkmcnt(0)
	s_barrier
	buffer_gl0_inv
	ds_load_2addr_b32 v[1:2], v3 offset1:2
	ds_load_2addr_b32 v[3:4], v3 offset0:4 offset1:6
	v_cndmask_b32_e64 v5, v84, v18, s2
	v_cndmask_b32_e64 v18, v85, v19, s2
	s_delay_alu instid0(VALU_DEP_2) | instskip(NEXT) | instid1(VALU_DEP_1)
	v_add_nc_u32_e32 v19, v20, v5
	v_dual_cndmask_b32 v20, v19, v20 :: v_dual_add_nc_u32 v5, v21, v18
	s_delay_alu instid0(VALU_DEP_1)
	v_cndmask_b32_e32 v5, v5, v21, vcc_lo
	s_branch .LBB248_129
.LBB248_119:
                                        ; implicit-def: $vgpr5
                                        ; implicit-def: $vgpr3
                                        ; implicit-def: $vgpr1
                                        ; implicit-def: $vgpr20_vgpr21
	s_and_b32 vcc_lo, exec_lo, s6
	s_cbranch_vccz .LBB248_129
; %bb.120:
	s_waitcnt lgkmcnt(0)
	v_mov_b32_dpp v2, v83 row_shr:1 row_mask:0xf bank_mask:0xf
	v_cmp_lt_u32_e32 vcc_lo, 3, v81
	v_mov_b32_dpp v1, v82 row_shr:1 row_mask:0xf bank_mask:0xf
	s_delay_alu instid0(VALU_DEP_3) | instskip(NEXT) | instid1(VALU_DEP_1)
	v_add_nc_u32_e32 v2, v2, v83
	v_cndmask_b32_e64 v2, v2, v83, s1
	s_delay_alu instid0(VALU_DEP_1) | instskip(NEXT) | instid1(VALU_DEP_1)
	v_mov_b32_dpp v4, v2 row_shr:2 row_mask:0xf bank_mask:0xf
	v_add_nc_u32_e32 v4, v2, v4
	s_delay_alu instid0(VALU_DEP_1) | instskip(NEXT) | instid1(VALU_DEP_1)
	v_cndmask_b32_e64 v2, v2, v4, s0
	v_mov_b32_dpp v4, v2 row_shr:4 row_mask:0xf bank_mask:0xf
	s_delay_alu instid0(VALU_DEP_1) | instskip(NEXT) | instid1(VALU_DEP_1)
	v_add_nc_u32_e32 v4, v2, v4
	v_dual_cndmask_b32 v2, v2, v4 :: v_dual_add_nc_u32 v1, v1, v82
	s_delay_alu instid0(VALU_DEP_1) | instskip(NEXT) | instid1(VALU_DEP_2)
	v_cndmask_b32_e64 v1, v1, v82, s1
	v_mov_b32_dpp v4, v2 row_shr:8 row_mask:0xf bank_mask:0xf
	s_delay_alu instid0(VALU_DEP_2) | instskip(NEXT) | instid1(VALU_DEP_2)
	v_mov_b32_dpp v3, v1 row_shr:2 row_mask:0xf bank_mask:0xf
	v_add_nc_u32_e32 v4, v2, v4
	s_delay_alu instid0(VALU_DEP_2) | instskip(NEXT) | instid1(VALU_DEP_1)
	v_add_nc_u32_e32 v3, v1, v3
	v_cndmask_b32_e64 v1, v1, v3, s0
	s_mov_b32 s0, exec_lo
	s_delay_alu instid0(VALU_DEP_1) | instskip(NEXT) | instid1(VALU_DEP_1)
	v_mov_b32_dpp v3, v1 row_shr:4 row_mask:0xf bank_mask:0xf
	v_add_nc_u32_e32 v3, v1, v3
	s_delay_alu instid0(VALU_DEP_1) | instskip(SKIP_1) | instid1(VALU_DEP_2)
	v_cndmask_b32_e32 v1, v1, v3, vcc_lo
	v_cmp_lt_u32_e32 vcc_lo, 7, v81
	v_mov_b32_dpp v3, v1 row_shr:8 row_mask:0xf bank_mask:0xf
	s_delay_alu instid0(VALU_DEP_1) | instskip(NEXT) | instid1(VALU_DEP_1)
	v_dual_cndmask_b32 v2, v2, v4 :: v_dual_add_nc_u32 v3, v1, v3
	v_cndmask_b32_e32 v1, v1, v3, vcc_lo
	ds_swizzle_b32 v3, v2 offset:swizzle(BROADCAST,32,15)
	v_cmp_eq_u32_e32 vcc_lo, 0, v80
	ds_swizzle_b32 v4, v1 offset:swizzle(BROADCAST,32,15)
	s_waitcnt lgkmcnt(1)
	v_add_nc_u32_e32 v3, v2, v3
	s_waitcnt lgkmcnt(0)
	v_add_nc_u32_e32 v4, v1, v4
	s_delay_alu instid0(VALU_DEP_1)
	v_dual_cndmask_b32 v2, v3, v2 :: v_dual_cndmask_b32 v1, v4, v1
	v_cmpx_eq_u32_e64 v79, v0
	s_cbranch_execz .LBB248_122
; %bb.121:
	v_lshlrev_b32_e32 v3, 3, v78
	ds_store_b64 v3, v[1:2]
.LBB248_122:
	s_or_b32 exec_lo, exec_lo, s0
	s_delay_alu instid0(SALU_CYCLE_1)
	s_mov_b32 s0, exec_lo
	s_waitcnt lgkmcnt(0)
	s_barrier
	buffer_gl0_inv
	v_cmpx_gt_u32_e32 8, v0
	s_cbranch_execz .LBB248_124
; %bb.123:
	v_lshlrev_b32_e32 v5, 3, v0
	ds_load_b64 v[3:4], v5
	s_waitcnt lgkmcnt(0)
	v_mov_b32_dpp v18, v3 row_shr:1 row_mask:0xf bank_mask:0xf
	v_mov_b32_dpp v19, v4 row_shr:1 row_mask:0xf bank_mask:0xf
	s_delay_alu instid0(VALU_DEP_2) | instskip(SKIP_1) | instid1(VALU_DEP_3)
	v_add_nc_u32_e32 v18, v18, v3
	v_and_b32_e32 v20, 7, v77
	v_add_nc_u32_e32 v19, v19, v4
	s_delay_alu instid0(VALU_DEP_2) | instskip(NEXT) | instid1(VALU_DEP_2)
	v_cmp_eq_u32_e32 vcc_lo, 0, v20
	v_dual_cndmask_b32 v4, v19, v4 :: v_dual_cndmask_b32 v3, v18, v3
	v_cmp_lt_u32_e32 vcc_lo, 1, v20
	s_delay_alu instid0(VALU_DEP_2) | instskip(NEXT) | instid1(VALU_DEP_3)
	v_mov_b32_dpp v19, v4 row_shr:2 row_mask:0xf bank_mask:0xf
	v_mov_b32_dpp v18, v3 row_shr:2 row_mask:0xf bank_mask:0xf
	s_delay_alu instid0(VALU_DEP_2) | instskip(NEXT) | instid1(VALU_DEP_2)
	v_add_nc_u32_e32 v19, v4, v19
	v_add_nc_u32_e32 v18, v3, v18
	s_delay_alu instid0(VALU_DEP_1) | instskip(SKIP_1) | instid1(VALU_DEP_2)
	v_dual_cndmask_b32 v4, v4, v19 :: v_dual_cndmask_b32 v3, v3, v18
	v_cmp_lt_u32_e32 vcc_lo, 3, v20
	v_mov_b32_dpp v19, v4 row_shr:4 row_mask:0xf bank_mask:0xf
	s_delay_alu instid0(VALU_DEP_3) | instskip(NEXT) | instid1(VALU_DEP_1)
	v_mov_b32_dpp v18, v3 row_shr:4 row_mask:0xf bank_mask:0xf
	v_dual_cndmask_b32 v19, 0, v19 :: v_dual_cndmask_b32 v18, 0, v18
	s_delay_alu instid0(VALU_DEP_1) | instskip(NEXT) | instid1(VALU_DEP_2)
	v_add_nc_u32_e32 v4, v19, v4
	v_add_nc_u32_e32 v3, v18, v3
	ds_store_b64 v5, v[3:4]
.LBB248_124:
	s_or_b32 exec_lo, exec_lo, s0
	v_dual_mov_b32 v3, 0 :: v_dual_mov_b32 v18, 0
	v_mov_b32_e32 v19, 0
	s_mov_b32 s0, exec_lo
	s_waitcnt lgkmcnt(0)
	s_barrier
	buffer_gl0_inv
	v_cmpx_lt_u32_e32 31, v0
	s_cbranch_execz .LBB248_126
; %bb.125:
	v_lshl_add_u32 v4, v78, 3, -8
	ds_load_b64 v[18:19], v4
.LBB248_126:
	s_or_b32 exec_lo, exec_lo, s0
	v_add_nc_u32_e32 v4, -1, v77
	s_waitcnt lgkmcnt(0)
	v_add_nc_u32_e32 v20, v19, v2
	v_add_nc_u32_e32 v5, v18, v1
	ds_load_b64 v[1:2], v3 offset:56
	v_cmp_gt_i32_e32 vcc_lo, 0, v4
	v_cndmask_b32_e32 v4, v4, v77, vcc_lo
	v_cmp_eq_u32_e32 vcc_lo, 0, v0
	s_delay_alu instid0(VALU_DEP_2)
	v_lshlrev_b32_e32 v4, 2, v4
	ds_bpermute_b32 v5, v4, v5
	ds_bpermute_b32 v20, v4, v20
	s_waitcnt lgkmcnt(2)
	v_readfirstlane_b32 s1, v2
	s_and_saveexec_b32 s0, vcc_lo
	s_cbranch_execz .LBB248_128
; %bb.127:
	s_mov_b32 s6, 0
	s_add_u32 s4, s4, 0x200
	s_addc_u32 s5, s5, 0
	s_and_b32 s7, s1, 0xff000000
	s_and_b32 s9, s1, 0xff0000
	s_mov_b32 s8, s6
	v_mov_b32_e32 v22, s5
	s_or_b64 s[8:9], s[8:9], s[6:7]
	s_and_b32 s7, s1, 0xff00
	v_dual_mov_b32 v4, 0 :: v_dual_mov_b32 v21, s4
	s_or_b64 s[8:9], s[8:9], s[6:7]
	s_and_b32 s7, s1, 0xff
	v_mov_b32_e32 v3, 2
	s_or_b64 s[6:7], s[8:9], s[6:7]
	s_delay_alu instid0(SALU_CYCLE_1)
	v_mov_b32_e32 v2, s7
	;;#ASMSTART
	global_store_dwordx4 v[21:22], v[1:4] off	
s_waitcnt vmcnt(0)
	;;#ASMEND
.LBB248_128:
	s_or_b32 exec_lo, exec_lo, s0
	v_cmp_eq_u32_e64 s0, 0, v77
	v_dual_mov_b32 v3, 0 :: v_dual_mov_b32 v2, s1
	s_waitcnt lgkmcnt(0)
	s_barrier
	s_delay_alu instid0(VALU_DEP_2)
	v_cndmask_b32_e64 v4, v5, v18, s0
	v_cndmask_b32_e64 v5, v20, v19, s0
	buffer_gl0_inv
	v_cndmask_b32_e64 v20, v4, 0, vcc_lo
	v_cndmask_b32_e64 v5, v5, 0, vcc_lo
	v_mov_b32_e32 v4, 0
.LBB248_129:
	v_and_b32_e32 v30, 1, v30
	v_and_b32_e32 v34, 1, v34
	;; [unrolled: 1-line block ×4, first 2 shown]
	s_waitcnt lgkmcnt(0)
	v_add_co_u32 v18, s0, s28, v3
	v_cmp_eq_u32_e32 vcc_lo, 1, v30
	v_add_nc_u32_e32 v22, v5, v76
	v_sub_nc_u32_e32 v5, v5, v4
	v_add_co_ci_u32_e64 v19, null, s29, 0, s0
	s_mov_b32 s2, -1
	s_delay_alu instid0(VALU_DEP_3) | instskip(SKIP_3) | instid1(VALU_DEP_3)
	v_add_nc_u32_e32 v24, v22, v72
	v_sub_nc_u32_e32 v22, v22, v4
	v_add_nc_u32_e32 v5, v5, v1
	v_sub_co_u32 v72, s0, s30, v1
	v_add_nc_u32_e32 v22, v22, v1
	v_add_nc_u32_e32 v21, v20, v75
	v_sub_nc_u32_e32 v20, v20, v3
	s_delay_alu instid0(VALU_DEP_2)
	v_add_nc_u32_e32 v23, v21, v71
	v_add_nc_u32_e32 v71, v24, v74
	v_lshlrev_b32_e32 v74, 1, v1
	v_sub_nc_u32_e32 v21, v21, v3
	v_add_nc_u32_e32 v75, v20, v5
	v_sub_nc_u32_e32 v24, v24, v4
	s_delay_alu instid0(VALU_DEP_4) | instskip(NEXT) | instid1(VALU_DEP_4)
	v_add3_u32 v28, v74, v2, v28
	v_add_nc_u32_e32 v76, v22, v21
	s_delay_alu instid0(VALU_DEP_3) | instskip(NEXT) | instid1(VALU_DEP_3)
	v_add_nc_u32_e32 v24, v24, v1
	v_sub_nc_u32_e32 v75, v28, v75
	s_delay_alu instid0(VALU_DEP_3) | instskip(NEXT) | instid1(VALU_DEP_1)
	v_sub_nc_u32_e32 v76, v28, v76
	v_dual_cndmask_b32 v5, v75, v5 :: v_dual_add_nc_u32 v30, 1, v76
	v_cmp_eq_u32_e32 vcc_lo, 1, v34
	s_delay_alu instid0(VALU_DEP_2) | instskip(SKIP_1) | instid1(VALU_DEP_4)
	v_cndmask_b32_e32 v22, v30, v22, vcc_lo
	v_cmp_eq_u32_e32 vcc_lo, 1, v29
	v_cndmask_b32_e32 v5, v5, v20, vcc_lo
	v_and_b32_e32 v20, 1, v36
	v_cmp_eq_u32_e32 vcc_lo, 1, v33
	s_delay_alu instid0(VALU_DEP_3) | instskip(SKIP_1) | instid1(VALU_DEP_4)
	v_lshlrev_b32_e32 v5, 2, v5
	v_cndmask_b32_e32 v21, v22, v21, vcc_lo
	v_cmp_eq_u32_e32 vcc_lo, 1, v20
	v_add_nc_u32_e32 v25, v23, v73
	v_sub_nc_u32_e32 v23, v23, v3
	v_and_b32_e32 v22, 1, v31
	v_sub_co_ci_u32_e64 v73, null, s31, 0, s0
	v_and_b32_e32 v31, 1, v32
	s_delay_alu instid0(VALU_DEP_4) | instskip(NEXT) | instid1(VALU_DEP_1)
	v_add_nc_u32_e32 v77, v24, v23
	v_sub_nc_u32_e32 v75, v28, v77
	s_delay_alu instid0(VALU_DEP_1) | instskip(NEXT) | instid1(VALU_DEP_1)
	v_add_nc_u32_e32 v29, 2, v75
	v_cndmask_b32_e32 v20, v29, v24, vcc_lo
	v_sub_nc_u32_e32 v24, v71, v4
	v_cmp_eq_u32_e32 vcc_lo, 1, v22
	v_add_nc_u32_e32 v69, v25, v69
	v_lshlrev_b32_e32 v29, 2, v21
	ds_store_b32 v5, v16
	ds_store_b32 v29, v17
	v_cndmask_b32_e32 v22, v20, v23, vcc_lo
	v_sub_nc_u32_e32 v23, v25, v3
	v_add_nc_u32_e32 v24, v24, v1
	v_add_co_u32 v20, vcc_lo, v72, v4
	s_delay_alu instid0(VALU_DEP_4) | instskip(SKIP_1) | instid1(VALU_DEP_4)
	v_lshlrev_b32_e32 v5, 2, v22
	v_and_b32_e32 v22, 1, v35
	v_add_nc_u32_e32 v25, v23, v24
	v_add_co_ci_u32_e32 v21, vcc_lo, 0, v73, vcc_lo
	ds_store_b32 v5, v14
	v_cmp_eq_u32_e32 vcc_lo, 1, v22
	v_sub_nc_u32_e32 v17, v28, v25
	v_sub_nc_u32_e32 v29, v69, v3
	v_add_nc_u32_e32 v67, v69, v67
	s_delay_alu instid0(VALU_DEP_3) | instskip(NEXT) | instid1(VALU_DEP_2)
	v_add_nc_u32_e32 v17, 3, v17
	v_sub_nc_u32_e32 v30, v67, v3
	s_delay_alu instid0(VALU_DEP_2) | instskip(SKIP_2) | instid1(VALU_DEP_3)
	v_cndmask_b32_e32 v17, v17, v24, vcc_lo
	v_cmp_eq_u32_e32 vcc_lo, 1, v31
	v_and_b32_e32 v24, 1, v39
	v_cndmask_b32_e32 v14, v17, v23, vcc_lo
	v_add_nc_u32_e32 v70, v71, v70
	v_and_b32_e32 v23, 1, v38
	s_delay_alu instid0(VALU_DEP_3) | instskip(NEXT) | instid1(VALU_DEP_3)
	v_lshlrev_b32_e32 v14, 2, v14
	v_add_nc_u32_e32 v68, v70, v68
	v_sub_nc_u32_e32 v16, v70, v4
	ds_store_b32 v14, v15
	v_sub_nc_u32_e32 v25, v68, v4
	v_add_nc_u32_e32 v16, v16, v1
	s_delay_alu instid0(VALU_DEP_2) | instskip(NEXT) | instid1(VALU_DEP_2)
	v_add_nc_u32_e32 v25, v25, v1
	v_add_nc_u32_e32 v32, v29, v16
	s_delay_alu instid0(VALU_DEP_2) | instskip(NEXT) | instid1(VALU_DEP_2)
	v_add_nc_u32_e32 v22, v30, v25
	v_sub_nc_u32_e32 v5, v28, v32
	s_delay_alu instid0(VALU_DEP_2) | instskip(SKIP_1) | instid1(VALU_DEP_3)
	v_sub_nc_u32_e32 v17, v28, v22
	v_and_b32_e32 v22, 1, v37
	v_add_nc_u32_e32 v5, 4, v5
	s_delay_alu instid0(VALU_DEP_3) | instskip(NEXT) | instid1(VALU_DEP_3)
	v_add_nc_u32_e32 v17, 5, v17
	v_cmp_eq_u32_e32 vcc_lo, 1, v22
	s_delay_alu instid0(VALU_DEP_3)
	v_cndmask_b32_e32 v5, v5, v16, vcc_lo
	v_cmp_eq_u32_e32 vcc_lo, 1, v24
	v_and_b32_e32 v16, 1, v41
	v_cndmask_b32_e32 v17, v17, v25, vcc_lo
	v_cmp_eq_u32_e32 vcc_lo, 1, v23
	v_cndmask_b32_e32 v5, v5, v29, vcc_lo
	s_delay_alu instid0(VALU_DEP_4) | instskip(SKIP_1) | instid1(VALU_DEP_3)
	v_cmp_eq_u32_e32 vcc_lo, 1, v16
	v_add_nc_u32_e32 v66, v68, v66
	v_dual_cndmask_b32 v16, v17, v30 :: v_dual_lshlrev_b32 v5, 2, v5
	s_delay_alu instid0(VALU_DEP_2) | instskip(SKIP_1) | instid1(VALU_DEP_3)
	v_sub_nc_u32_e32 v22, v66, v4
	v_add_nc_u32_e32 v62, v66, v62
	v_lshlrev_b32_e32 v16, 2, v16
	ds_store_b32 v5, v12
	ds_store_b32 v16, v13
	v_and_b32_e32 v12, 1, v40
	v_add_nc_u32_e32 v22, v22, v1
	v_add_nc_u32_e32 v64, v62, v64
	v_sub_nc_u32_e32 v17, v62, v4
	v_and_b32_e32 v16, 1, v43
	v_cmp_eq_u32_e32 vcc_lo, 1, v12
	v_add_nc_u32_e32 v65, v67, v65
	v_sub_nc_u32_e32 v15, v64, v4
	v_add_nc_u32_e32 v17, v17, v1
	s_delay_alu instid0(VALU_DEP_3) | instskip(NEXT) | instid1(VALU_DEP_3)
	v_sub_nc_u32_e32 v23, v65, v3
	v_add_nc_u32_e32 v15, v15, v1
	s_delay_alu instid0(VALU_DEP_2) | instskip(NEXT) | instid1(VALU_DEP_1)
	v_add_nc_u32_e32 v24, v23, v22
	v_sub_nc_u32_e32 v14, v28, v24
	v_and_b32_e32 v24, 1, v48
	s_delay_alu instid0(VALU_DEP_2) | instskip(SKIP_1) | instid1(VALU_DEP_2)
	v_add_nc_u32_e32 v13, 6, v14
	v_and_b32_e32 v14, 1, v42
	v_cndmask_b32_e32 v12, v13, v22, vcc_lo
	v_add_nc_u32_e32 v61, v65, v61
	s_delay_alu instid0(VALU_DEP_3) | instskip(SKIP_1) | instid1(VALU_DEP_3)
	v_cmp_eq_u32_e32 vcc_lo, 1, v14
	v_and_b32_e32 v22, 1, v44
	v_sub_nc_u32_e32 v25, v61, v3
	v_add_nc_u32_e32 v63, v61, v63
	v_cndmask_b32_e32 v12, v12, v23, vcc_lo
	v_cmp_eq_u32_e32 vcc_lo, 1, v16
	v_and_b32_e32 v23, 1, v46
	v_add_nc_u32_e32 v5, v25, v17
	v_sub_nc_u32_e32 v13, v63, v3
	v_lshlrev_b32_e32 v12, 2, v12
	v_add_nc_u32_e32 v59, v63, v59
	s_delay_alu instid0(VALU_DEP_4) | instskip(NEXT) | instid1(VALU_DEP_4)
	v_sub_nc_u32_e32 v5, v28, v5
	v_add_nc_u32_e32 v14, v13, v15
	s_delay_alu instid0(VALU_DEP_3) | instskip(NEXT) | instid1(VALU_DEP_3)
	v_add_nc_u32_e32 v57, v59, v57
	v_add_nc_u32_e32 v5, 7, v5
	s_delay_alu instid0(VALU_DEP_3) | instskip(NEXT) | instid1(VALU_DEP_3)
	v_sub_nc_u32_e32 v14, v28, v14
	v_add_nc_u32_e32 v55, v57, v55
	s_delay_alu instid0(VALU_DEP_3)
	v_cndmask_b32_e32 v5, v5, v17, vcc_lo
	v_cmp_eq_u32_e32 vcc_lo, 1, v22
	v_and_b32_e32 v17, 1, v45
	v_add_nc_u32_e32 v14, 8, v14
	v_sub_nc_u32_e32 v22, v59, v3
	v_add_nc_u32_e32 v53, v55, v53
	v_cndmask_b32_e32 v5, v5, v25, vcc_lo
	v_cmp_eq_u32_e32 vcc_lo, 1, v17
	v_sub_nc_u32_e32 v17, v55, v3
	v_and_b32_e32 v25, 1, v52
	s_delay_alu instid0(VALU_DEP_4)
	v_dual_cndmask_b32 v14, v14, v15 :: v_dual_lshlrev_b32 v5, 2, v5
	v_cmp_eq_u32_e32 vcc_lo, 1, v23
	v_add_nc_u32_e32 v60, v64, v60
	ds_store_b32 v12, v10
	ds_store_b32 v5, v11
	v_and_b32_e32 v11, 1, v49
	v_cndmask_b32_e32 v5, v14, v13, vcc_lo
	v_sub_nc_u32_e32 v16, v60, v4
	v_add_nc_u32_e32 v58, v60, v58
	v_and_b32_e32 v13, 1, v47
	s_delay_alu instid0(VALU_DEP_4) | instskip(NEXT) | instid1(VALU_DEP_4)
	v_lshlrev_b32_e32 v5, 2, v5
	v_add_nc_u32_e32 v16, v16, v1
	s_delay_alu instid0(VALU_DEP_4) | instskip(SKIP_2) | instid1(VALU_DEP_4)
	v_add_nc_u32_e32 v56, v58, v56
	v_sub_nc_u32_e32 v12, v58, v4
	v_cmp_eq_u32_e32 vcc_lo, 1, v13
	v_add_nc_u32_e32 v15, v22, v16
	s_delay_alu instid0(VALU_DEP_4) | instskip(NEXT) | instid1(VALU_DEP_4)
	v_sub_nc_u32_e32 v14, v56, v4
	v_add_nc_u32_e32 v12, v12, v1
	v_add_nc_u32_e32 v54, v56, v54
	s_delay_alu instid0(VALU_DEP_4) | instskip(SKIP_2) | instid1(VALU_DEP_4)
	v_sub_nc_u32_e32 v10, v28, v15
	v_sub_nc_u32_e32 v15, v57, v3
	v_add_nc_u32_e32 v14, v14, v1
	v_sub_nc_u32_e32 v23, v54, v4
	v_sub_nc_u32_e32 v3, v53, v3
	v_add_nc_u32_e32 v10, 9, v10
	v_add_nc_u32_e32 v13, v15, v12
	s_delay_alu instid0(VALU_DEP_2) | instskip(SKIP_2) | instid1(VALU_DEP_4)
	v_dual_cndmask_b32 v10, v10, v16 :: v_dual_add_nc_u32 v23, v23, v1
	v_add_nc_u32_e32 v16, v17, v14
	v_cmp_eq_u32_e32 vcc_lo, 1, v11
	v_sub_nc_u32_e32 v11, v28, v13
	v_and_b32_e32 v13, 1, v50
	s_delay_alu instid0(VALU_DEP_4) | instskip(NEXT) | instid1(VALU_DEP_3)
	v_sub_nc_u32_e32 v16, v28, v16
	v_dual_cndmask_b32 v10, v10, v22 :: v_dual_add_nc_u32 v11, 10, v11
	v_cmp_eq_u32_e32 vcc_lo, 1, v24
	v_add_nc_u32_e32 v22, v3, v23
	s_delay_alu instid0(VALU_DEP_4) | instskip(NEXT) | instid1(VALU_DEP_4)
	v_add_nc_u32_e32 v16, 11, v16
	v_dual_cndmask_b32 v11, v11, v12 :: v_dual_lshlrev_b32 v10, 2, v10
	v_cmp_eq_u32_e32 vcc_lo, 1, v25
	s_delay_alu instid0(VALU_DEP_4) | instskip(SKIP_3) | instid1(VALU_DEP_4)
	v_sub_nc_u32_e32 v22, v28, v22
	v_and_b32_e32 v12, 1, v51
	v_cndmask_b32_e32 v14, v16, v14, vcc_lo
	v_cmp_eq_u32_e32 vcc_lo, 1, v13
	v_dual_cndmask_b32 v11, v11, v15 :: v_dual_add_nc_u32 v16, 12, v22
	s_delay_alu instid0(VALU_DEP_4) | instskip(NEXT) | instid1(VALU_DEP_2)
	v_cmp_eq_u32_e32 vcc_lo, 1, v12
	v_cndmask_b32_e64 v13, v16, v23, s43
	s_delay_alu instid0(VALU_DEP_3) | instskip(NEXT) | instid1(VALU_DEP_2)
	v_dual_cndmask_b32 v12, v14, v17 :: v_dual_lshlrev_b32 v11, 2, v11
	v_cndmask_b32_e64 v3, v13, v3, s42
	s_delay_alu instid0(VALU_DEP_2)
	v_lshlrev_b32_e32 v12, 2, v12
	ds_store_b32 v5, v8
	ds_store_b32 v10, v9
	;; [unrolled: 1-line block ×4, first 2 shown]
	v_lshlrev_b32_e32 v3, 2, v3
	v_add_co_u32 v5, s0, v2, v74
	s_delay_alu instid0(VALU_DEP_1) | instskip(SKIP_4) | instid1(VALU_DEP_2)
	v_add_co_ci_u32_e64 v6, null, 0, 0, s0
	ds_store_b32 v3, v27
	v_add_co_u32 v3, vcc_lo, v5, v20
	v_add_co_ci_u32_e32 v5, vcc_lo, v6, v21, vcc_lo
	s_add_u32 s0, s34, s33
	v_add_co_u32 v3, vcc_lo, v3, v18
	s_delay_alu instid0(VALU_DEP_2) | instskip(SKIP_1) | instid1(VALU_DEP_2)
	v_add_co_ci_u32_e32 v5, vcc_lo, v5, v19, vcc_lo
	s_addc_u32 s1, s35, 0
	v_sub_co_u32 v3, vcc_lo, s0, v3
	s_delay_alu instid0(VALU_DEP_2)
	v_sub_co_ci_u32_e32 v9, vcc_lo, s1, v5, vcc_lo
	v_lshlrev_b64 v[5:6], 2, v[20:21]
	v_lshlrev_b64 v[7:8], 2, v[18:19]
	v_add_nc_u32_e32 v10, v1, v2
	s_add_u32 s1, s26, -4
	s_waitcnt lgkmcnt(0)
	s_barrier
	v_add_co_u32 v5, vcc_lo, s38, v5
	v_add_co_ci_u32_e32 v6, vcc_lo, s39, v6, vcc_lo
	v_cmp_ne_u32_e32 vcc_lo, 1, v26
	v_add_co_u32 v7, s0, s36, v7
	s_delay_alu instid0(VALU_DEP_1)
	v_add_co_ci_u32_e64 v8, s0, s37, v8, s0
	s_addc_u32 s0, s27, -1
	buffer_gl0_inv
	s_cbranch_vccz .LBB248_133
; %bb.130:
	s_and_b32 vcc_lo, exec_lo, s2
	s_cbranch_vccnz .LBB248_238
.LBB248_131:
	v_cmp_eq_u32_e32 vcc_lo, 0, v0
	s_and_b32 s0, vcc_lo, s14
	s_delay_alu instid0(SALU_CYCLE_1)
	s_and_saveexec_b32 s1, s0
	s_cbranch_execnz .LBB248_356
.LBB248_132:
	s_nop 0
	s_sendmsg sendmsg(MSG_DEALLOC_VGPRS)
	s_endpgm
.LBB248_133:
	s_mov_b32 s2, exec_lo
	v_cmpx_le_u32_e64 v1, v0
	s_xor_b32 s2, exec_lo, s2
	s_cbranch_execz .LBB248_139
; %bb.134:
	s_mov_b32 s4, exec_lo
	v_cmpx_le_u32_e64 v10, v0
	s_xor_b32 s4, exec_lo, s4
	s_cbranch_execz .LBB248_136
; %bb.135:
	v_lshlrev_b32_e32 v11, 2, v0
	ds_load_b32 v13, v11
	v_add_co_u32 v11, vcc_lo, v3, v0
	v_add_co_ci_u32_e32 v12, vcc_lo, 0, v9, vcc_lo
	s_delay_alu instid0(VALU_DEP_1) | instskip(NEXT) | instid1(VALU_DEP_1)
	v_lshlrev_b64 v[11:12], 2, v[11:12]
	v_sub_co_u32 v11, vcc_lo, s26, v11
	s_delay_alu instid0(VALU_DEP_2)
	v_sub_co_ci_u32_e32 v12, vcc_lo, s27, v12, vcc_lo
	s_waitcnt lgkmcnt(0)
	global_store_b32 v[11:12], v13, off offset:-4
.LBB248_136:
	s_and_not1_saveexec_b32 s4, s4
	s_cbranch_execz .LBB248_138
; %bb.137:
	v_lshlrev_b32_e32 v11, 2, v0
	v_readfirstlane_b32 s6, v5
	v_readfirstlane_b32 s7, v6
	ds_load_b32 v12, v11
	s_waitcnt lgkmcnt(0)
	global_store_b32 v11, v12, s[6:7]
.LBB248_138:
	s_or_b32 exec_lo, exec_lo, s4
.LBB248_139:
	s_and_not1_saveexec_b32 s2, s2
	s_cbranch_execz .LBB248_141
; %bb.140:
	v_lshlrev_b32_e32 v11, 2, v0
	v_readfirstlane_b32 s4, v7
	v_readfirstlane_b32 s5, v8
	ds_load_b32 v12, v11
	s_waitcnt lgkmcnt(0)
	global_store_b32 v11, v12, s[4:5]
.LBB248_141:
	s_or_b32 exec_lo, exec_lo, s2
	v_or_b32_e32 v11, 0x100, v0
	s_mov_b32 s2, exec_lo
	s_delay_alu instid0(VALU_DEP_1)
	v_cmpx_le_u32_e64 v1, v11
	s_xor_b32 s2, exec_lo, s2
	s_cbranch_execz .LBB248_147
; %bb.142:
	s_mov_b32 s4, exec_lo
	v_cmpx_le_u32_e64 v10, v11
	s_xor_b32 s4, exec_lo, s4
	s_cbranch_execz .LBB248_144
; %bb.143:
	v_lshlrev_b32_e32 v11, 2, v0
	ds_load_b32 v13, v11 offset:1024
	v_add_co_u32 v11, vcc_lo, v3, v0
	v_add_co_ci_u32_e32 v12, vcc_lo, 0, v9, vcc_lo
	s_delay_alu instid0(VALU_DEP_1) | instskip(NEXT) | instid1(VALU_DEP_1)
	v_lshlrev_b64 v[11:12], 2, v[11:12]
	v_sub_co_u32 v11, vcc_lo, s1, v11
	s_delay_alu instid0(VALU_DEP_2)
	v_sub_co_ci_u32_e32 v12, vcc_lo, s0, v12, vcc_lo
	s_waitcnt lgkmcnt(0)
	global_store_b32 v[11:12], v13, off offset:-1024
.LBB248_144:
	s_and_not1_saveexec_b32 s4, s4
	s_cbranch_execz .LBB248_146
; %bb.145:
	v_lshlrev_b32_e32 v11, 2, v0
	v_readfirstlane_b32 s6, v5
	v_readfirstlane_b32 s7, v6
	ds_load_b32 v12, v11 offset:1024
	s_waitcnt lgkmcnt(0)
	global_store_b32 v11, v12, s[6:7] offset:1024
.LBB248_146:
	s_or_b32 exec_lo, exec_lo, s4
.LBB248_147:
	s_and_not1_saveexec_b32 s2, s2
	s_cbranch_execz .LBB248_149
; %bb.148:
	v_lshlrev_b32_e32 v11, 2, v0
	v_readfirstlane_b32 s4, v7
	v_readfirstlane_b32 s5, v8
	ds_load_b32 v12, v11 offset:1024
	s_waitcnt lgkmcnt(0)
	global_store_b32 v11, v12, s[4:5] offset:1024
.LBB248_149:
	s_or_b32 exec_lo, exec_lo, s2
	v_or_b32_e32 v11, 0x200, v0
	s_mov_b32 s2, exec_lo
	s_delay_alu instid0(VALU_DEP_1)
	v_cmpx_le_u32_e64 v1, v11
	s_xor_b32 s2, exec_lo, s2
	s_cbranch_execz .LBB248_155
; %bb.150:
	s_mov_b32 s4, exec_lo
	v_cmpx_le_u32_e64 v10, v11
	s_xor_b32 s4, exec_lo, s4
	s_cbranch_execz .LBB248_152
; %bb.151:
	v_lshlrev_b32_e32 v11, 2, v0
	ds_load_b32 v13, v11 offset:2048
	v_add_co_u32 v11, vcc_lo, v3, v0
	v_add_co_ci_u32_e32 v12, vcc_lo, 0, v9, vcc_lo
	s_delay_alu instid0(VALU_DEP_1) | instskip(NEXT) | instid1(VALU_DEP_1)
	v_lshlrev_b64 v[11:12], 2, v[11:12]
	v_sub_co_u32 v11, vcc_lo, s1, v11
	s_delay_alu instid0(VALU_DEP_2)
	v_sub_co_ci_u32_e32 v12, vcc_lo, s0, v12, vcc_lo
	s_waitcnt lgkmcnt(0)
	global_store_b32 v[11:12], v13, off offset:-2048
.LBB248_152:
	s_and_not1_saveexec_b32 s4, s4
	s_cbranch_execz .LBB248_154
; %bb.153:
	v_lshlrev_b32_e32 v11, 2, v0
	v_readfirstlane_b32 s6, v5
	v_readfirstlane_b32 s7, v6
	ds_load_b32 v12, v11 offset:2048
	s_waitcnt lgkmcnt(0)
	global_store_b32 v11, v12, s[6:7] offset:2048
.LBB248_154:
	s_or_b32 exec_lo, exec_lo, s4
.LBB248_155:
	s_and_not1_saveexec_b32 s2, s2
	s_cbranch_execz .LBB248_157
; %bb.156:
	v_lshlrev_b32_e32 v11, 2, v0
	v_readfirstlane_b32 s4, v7
	v_readfirstlane_b32 s5, v8
	ds_load_b32 v12, v11 offset:2048
	s_waitcnt lgkmcnt(0)
	global_store_b32 v11, v12, s[4:5] offset:2048
.LBB248_157:
	;; [unrolled: 47-line block ×3, first 2 shown]
	s_or_b32 exec_lo, exec_lo, s2
	v_or_b32_e32 v11, 0x400, v0
	s_mov_b32 s2, exec_lo
	s_delay_alu instid0(VALU_DEP_1)
	v_cmpx_le_u32_e64 v1, v11
	s_xor_b32 s2, exec_lo, s2
	s_cbranch_execz .LBB248_171
; %bb.166:
	s_mov_b32 s4, exec_lo
	v_cmpx_le_u32_e64 v10, v11
	s_xor_b32 s4, exec_lo, s4
	s_cbranch_execz .LBB248_168
; %bb.167:
	v_lshlrev_b32_e32 v11, 2, v0
	ds_load_b32 v13, v11 offset:4096
	v_add_co_u32 v11, vcc_lo, v3, v0
	v_add_co_ci_u32_e32 v12, vcc_lo, 0, v9, vcc_lo
	s_delay_alu instid0(VALU_DEP_1) | instskip(NEXT) | instid1(VALU_DEP_1)
	v_lshlrev_b64 v[11:12], 2, v[11:12]
	v_sub_co_u32 v11, vcc_lo, s1, v11
	s_delay_alu instid0(VALU_DEP_2)
	v_sub_co_ci_u32_e32 v12, vcc_lo, s0, v12, vcc_lo
	s_waitcnt lgkmcnt(0)
	global_store_b32 v[11:12], v13, off offset:-4096
                                        ; implicit-def: $vgpr11
.LBB248_168:
	s_and_not1_saveexec_b32 s4, s4
	s_cbranch_execz .LBB248_170
; %bb.169:
	v_lshlrev_b32_e32 v12, 2, v0
	v_lshlrev_b32_e32 v11, 2, v11
	v_readfirstlane_b32 s6, v5
	v_readfirstlane_b32 s7, v6
	ds_load_b32 v12, v12 offset:4096
	s_waitcnt lgkmcnt(0)
	global_store_b32 v11, v12, s[6:7]
.LBB248_170:
	s_or_b32 exec_lo, exec_lo, s4
                                        ; implicit-def: $vgpr11
.LBB248_171:
	s_and_not1_saveexec_b32 s2, s2
	s_cbranch_execz .LBB248_173
; %bb.172:
	v_lshlrev_b32_e32 v12, 2, v0
	v_lshlrev_b32_e32 v11, 2, v11
	v_readfirstlane_b32 s4, v7
	v_readfirstlane_b32 s5, v8
	ds_load_b32 v12, v12 offset:4096
	s_waitcnt lgkmcnt(0)
	global_store_b32 v11, v12, s[4:5]
.LBB248_173:
	s_or_b32 exec_lo, exec_lo, s2
	v_or_b32_e32 v11, 0x500, v0
	s_mov_b32 s2, exec_lo
	s_delay_alu instid0(VALU_DEP_1)
	v_cmpx_le_u32_e64 v1, v11
	s_xor_b32 s2, exec_lo, s2
	s_cbranch_execz .LBB248_179
; %bb.174:
	s_mov_b32 s4, exec_lo
	v_cmpx_le_u32_e64 v10, v11
	s_xor_b32 s4, exec_lo, s4
	s_cbranch_execz .LBB248_176
; %bb.175:
	v_lshlrev_b32_e32 v12, 2, v0
	v_add_co_u32 v11, vcc_lo, v3, v11
	ds_load_b32 v13, v12 offset:5120
	v_add_co_ci_u32_e32 v12, vcc_lo, 0, v9, vcc_lo
	s_delay_alu instid0(VALU_DEP_1) | instskip(NEXT) | instid1(VALU_DEP_1)
	v_lshlrev_b64 v[11:12], 2, v[11:12]
	v_sub_co_u32 v11, vcc_lo, s1, v11
	s_delay_alu instid0(VALU_DEP_2)
	v_sub_co_ci_u32_e32 v12, vcc_lo, s0, v12, vcc_lo
	s_waitcnt lgkmcnt(0)
	global_store_b32 v[11:12], v13, off
                                        ; implicit-def: $vgpr11
.LBB248_176:
	s_and_not1_saveexec_b32 s4, s4
	s_cbranch_execz .LBB248_178
; %bb.177:
	v_lshlrev_b32_e32 v12, 2, v0
	v_lshlrev_b32_e32 v11, 2, v11
	v_readfirstlane_b32 s6, v5
	v_readfirstlane_b32 s7, v6
	ds_load_b32 v12, v12 offset:5120
	s_waitcnt lgkmcnt(0)
	global_store_b32 v11, v12, s[6:7]
.LBB248_178:
	s_or_b32 exec_lo, exec_lo, s4
                                        ; implicit-def: $vgpr11
.LBB248_179:
	s_and_not1_saveexec_b32 s2, s2
	s_cbranch_execz .LBB248_181
; %bb.180:
	v_lshlrev_b32_e32 v12, 2, v0
	v_lshlrev_b32_e32 v11, 2, v11
	v_readfirstlane_b32 s4, v7
	v_readfirstlane_b32 s5, v8
	ds_load_b32 v12, v12 offset:5120
	s_waitcnt lgkmcnt(0)
	global_store_b32 v11, v12, s[4:5]
.LBB248_181:
	s_or_b32 exec_lo, exec_lo, s2
	v_or_b32_e32 v11, 0x600, v0
	s_mov_b32 s2, exec_lo
	s_delay_alu instid0(VALU_DEP_1)
	v_cmpx_le_u32_e64 v1, v11
	s_xor_b32 s2, exec_lo, s2
	s_cbranch_execz .LBB248_187
; %bb.182:
	s_mov_b32 s4, exec_lo
	v_cmpx_le_u32_e64 v10, v11
	s_xor_b32 s4, exec_lo, s4
	s_cbranch_execz .LBB248_184
; %bb.183:
	v_lshlrev_b32_e32 v12, 2, v0
	v_add_co_u32 v11, vcc_lo, v3, v11
	ds_load_b32 v13, v12 offset:6144
	v_add_co_ci_u32_e32 v12, vcc_lo, 0, v9, vcc_lo
	s_delay_alu instid0(VALU_DEP_1) | instskip(NEXT) | instid1(VALU_DEP_1)
	v_lshlrev_b64 v[11:12], 2, v[11:12]
	v_sub_co_u32 v11, vcc_lo, s1, v11
	s_delay_alu instid0(VALU_DEP_2)
	v_sub_co_ci_u32_e32 v12, vcc_lo, s0, v12, vcc_lo
	s_waitcnt lgkmcnt(0)
	global_store_b32 v[11:12], v13, off
                                        ; implicit-def: $vgpr11
.LBB248_184:
	s_and_not1_saveexec_b32 s4, s4
	s_cbranch_execz .LBB248_186
; %bb.185:
	v_lshlrev_b32_e32 v12, 2, v0
	v_lshlrev_b32_e32 v11, 2, v11
	v_readfirstlane_b32 s6, v5
	v_readfirstlane_b32 s7, v6
	ds_load_b32 v12, v12 offset:6144
	s_waitcnt lgkmcnt(0)
	global_store_b32 v11, v12, s[6:7]
.LBB248_186:
	s_or_b32 exec_lo, exec_lo, s4
                                        ; implicit-def: $vgpr11
.LBB248_187:
	s_and_not1_saveexec_b32 s2, s2
	s_cbranch_execz .LBB248_189
; %bb.188:
	v_lshlrev_b32_e32 v12, 2, v0
	v_lshlrev_b32_e32 v11, 2, v11
	v_readfirstlane_b32 s4, v7
	v_readfirstlane_b32 s5, v8
	ds_load_b32 v12, v12 offset:6144
	s_waitcnt lgkmcnt(0)
	global_store_b32 v11, v12, s[4:5]
.LBB248_189:
	s_or_b32 exec_lo, exec_lo, s2
	v_or_b32_e32 v11, 0x700, v0
	s_mov_b32 s2, exec_lo
	s_delay_alu instid0(VALU_DEP_1)
	v_cmpx_le_u32_e64 v1, v11
	s_xor_b32 s2, exec_lo, s2
	s_cbranch_execz .LBB248_195
; %bb.190:
	s_mov_b32 s4, exec_lo
	v_cmpx_le_u32_e64 v10, v11
	s_xor_b32 s4, exec_lo, s4
	s_cbranch_execz .LBB248_192
; %bb.191:
	v_lshlrev_b32_e32 v12, 2, v0
	v_add_co_u32 v11, vcc_lo, v3, v11
	ds_load_b32 v13, v12 offset:7168
	v_add_co_ci_u32_e32 v12, vcc_lo, 0, v9, vcc_lo
	s_delay_alu instid0(VALU_DEP_1) | instskip(NEXT) | instid1(VALU_DEP_1)
	v_lshlrev_b64 v[11:12], 2, v[11:12]
	v_sub_co_u32 v11, vcc_lo, s1, v11
	s_delay_alu instid0(VALU_DEP_2)
	v_sub_co_ci_u32_e32 v12, vcc_lo, s0, v12, vcc_lo
	s_waitcnt lgkmcnt(0)
	global_store_b32 v[11:12], v13, off
                                        ; implicit-def: $vgpr11
.LBB248_192:
	s_and_not1_saveexec_b32 s4, s4
	s_cbranch_execz .LBB248_194
; %bb.193:
	v_lshlrev_b32_e32 v12, 2, v0
	v_lshlrev_b32_e32 v11, 2, v11
	v_readfirstlane_b32 s6, v5
	v_readfirstlane_b32 s7, v6
	ds_load_b32 v12, v12 offset:7168
	s_waitcnt lgkmcnt(0)
	global_store_b32 v11, v12, s[6:7]
.LBB248_194:
	s_or_b32 exec_lo, exec_lo, s4
                                        ; implicit-def: $vgpr11
.LBB248_195:
	s_and_not1_saveexec_b32 s2, s2
	s_cbranch_execz .LBB248_197
; %bb.196:
	v_lshlrev_b32_e32 v12, 2, v0
	v_lshlrev_b32_e32 v11, 2, v11
	v_readfirstlane_b32 s4, v7
	v_readfirstlane_b32 s5, v8
	ds_load_b32 v12, v12 offset:7168
	s_waitcnt lgkmcnt(0)
	global_store_b32 v11, v12, s[4:5]
.LBB248_197:
	s_or_b32 exec_lo, exec_lo, s2
	v_or_b32_e32 v11, 0x800, v0
	s_mov_b32 s2, exec_lo
	s_delay_alu instid0(VALU_DEP_1)
	v_cmpx_le_u32_e64 v1, v11
	s_xor_b32 s2, exec_lo, s2
	s_cbranch_execz .LBB248_203
; %bb.198:
	s_mov_b32 s4, exec_lo
	v_cmpx_le_u32_e64 v10, v11
	s_xor_b32 s4, exec_lo, s4
	s_cbranch_execz .LBB248_200
; %bb.199:
	v_lshlrev_b32_e32 v12, 2, v0
	v_add_co_u32 v11, vcc_lo, v3, v11
	ds_load_b32 v13, v12 offset:8192
	v_add_co_ci_u32_e32 v12, vcc_lo, 0, v9, vcc_lo
	s_delay_alu instid0(VALU_DEP_1) | instskip(NEXT) | instid1(VALU_DEP_1)
	v_lshlrev_b64 v[11:12], 2, v[11:12]
	v_sub_co_u32 v11, vcc_lo, s1, v11
	s_delay_alu instid0(VALU_DEP_2)
	v_sub_co_ci_u32_e32 v12, vcc_lo, s0, v12, vcc_lo
	s_waitcnt lgkmcnt(0)
	global_store_b32 v[11:12], v13, off
                                        ; implicit-def: $vgpr11
.LBB248_200:
	s_and_not1_saveexec_b32 s4, s4
	s_cbranch_execz .LBB248_202
; %bb.201:
	v_lshlrev_b32_e32 v12, 2, v0
	v_lshlrev_b32_e32 v11, 2, v11
	v_readfirstlane_b32 s6, v5
	v_readfirstlane_b32 s7, v6
	ds_load_b32 v12, v12 offset:8192
	s_waitcnt lgkmcnt(0)
	global_store_b32 v11, v12, s[6:7]
.LBB248_202:
	s_or_b32 exec_lo, exec_lo, s4
                                        ; implicit-def: $vgpr11
.LBB248_203:
	s_and_not1_saveexec_b32 s2, s2
	s_cbranch_execz .LBB248_205
; %bb.204:
	v_lshlrev_b32_e32 v12, 2, v0
	v_lshlrev_b32_e32 v11, 2, v11
	v_readfirstlane_b32 s4, v7
	v_readfirstlane_b32 s5, v8
	ds_load_b32 v12, v12 offset:8192
	s_waitcnt lgkmcnt(0)
	global_store_b32 v11, v12, s[4:5]
.LBB248_205:
	s_or_b32 exec_lo, exec_lo, s2
	v_or_b32_e32 v11, 0x900, v0
	s_mov_b32 s2, exec_lo
	s_delay_alu instid0(VALU_DEP_1)
	v_cmpx_le_u32_e64 v1, v11
	s_xor_b32 s2, exec_lo, s2
	s_cbranch_execz .LBB248_211
; %bb.206:
	s_mov_b32 s4, exec_lo
	v_cmpx_le_u32_e64 v10, v11
	s_xor_b32 s4, exec_lo, s4
	s_cbranch_execz .LBB248_208
; %bb.207:
	v_lshlrev_b32_e32 v12, 2, v0
	v_add_co_u32 v11, vcc_lo, v3, v11
	ds_load_b32 v13, v12 offset:9216
	v_add_co_ci_u32_e32 v12, vcc_lo, 0, v9, vcc_lo
	s_delay_alu instid0(VALU_DEP_1) | instskip(NEXT) | instid1(VALU_DEP_1)
	v_lshlrev_b64 v[11:12], 2, v[11:12]
	v_sub_co_u32 v11, vcc_lo, s1, v11
	s_delay_alu instid0(VALU_DEP_2)
	v_sub_co_ci_u32_e32 v12, vcc_lo, s0, v12, vcc_lo
	s_waitcnt lgkmcnt(0)
	global_store_b32 v[11:12], v13, off
                                        ; implicit-def: $vgpr11
.LBB248_208:
	s_and_not1_saveexec_b32 s4, s4
	s_cbranch_execz .LBB248_210
; %bb.209:
	v_lshlrev_b32_e32 v12, 2, v0
	v_lshlrev_b32_e32 v11, 2, v11
	v_readfirstlane_b32 s6, v5
	v_readfirstlane_b32 s7, v6
	ds_load_b32 v12, v12 offset:9216
	s_waitcnt lgkmcnt(0)
	global_store_b32 v11, v12, s[6:7]
.LBB248_210:
	s_or_b32 exec_lo, exec_lo, s4
                                        ; implicit-def: $vgpr11
.LBB248_211:
	s_and_not1_saveexec_b32 s2, s2
	s_cbranch_execz .LBB248_213
; %bb.212:
	v_lshlrev_b32_e32 v12, 2, v0
	v_lshlrev_b32_e32 v11, 2, v11
	v_readfirstlane_b32 s4, v7
	v_readfirstlane_b32 s5, v8
	ds_load_b32 v12, v12 offset:9216
	s_waitcnt lgkmcnt(0)
	global_store_b32 v11, v12, s[4:5]
.LBB248_213:
	s_or_b32 exec_lo, exec_lo, s2
	v_or_b32_e32 v11, 0xa00, v0
	s_mov_b32 s2, exec_lo
	s_delay_alu instid0(VALU_DEP_1)
	v_cmpx_le_u32_e64 v1, v11
	s_xor_b32 s2, exec_lo, s2
	s_cbranch_execz .LBB248_219
; %bb.214:
	s_mov_b32 s4, exec_lo
	v_cmpx_le_u32_e64 v10, v11
	s_xor_b32 s4, exec_lo, s4
	s_cbranch_execz .LBB248_216
; %bb.215:
	v_lshlrev_b32_e32 v12, 2, v0
	v_add_co_u32 v11, vcc_lo, v3, v11
	ds_load_b32 v13, v12 offset:10240
	v_add_co_ci_u32_e32 v12, vcc_lo, 0, v9, vcc_lo
	s_delay_alu instid0(VALU_DEP_1) | instskip(NEXT) | instid1(VALU_DEP_1)
	v_lshlrev_b64 v[11:12], 2, v[11:12]
	v_sub_co_u32 v11, vcc_lo, s1, v11
	s_delay_alu instid0(VALU_DEP_2)
	v_sub_co_ci_u32_e32 v12, vcc_lo, s0, v12, vcc_lo
	s_waitcnt lgkmcnt(0)
	global_store_b32 v[11:12], v13, off
                                        ; implicit-def: $vgpr11
.LBB248_216:
	s_and_not1_saveexec_b32 s4, s4
	s_cbranch_execz .LBB248_218
; %bb.217:
	v_lshlrev_b32_e32 v12, 2, v0
	v_lshlrev_b32_e32 v11, 2, v11
	v_readfirstlane_b32 s6, v5
	v_readfirstlane_b32 s7, v6
	ds_load_b32 v12, v12 offset:10240
	s_waitcnt lgkmcnt(0)
	global_store_b32 v11, v12, s[6:7]
.LBB248_218:
	s_or_b32 exec_lo, exec_lo, s4
                                        ; implicit-def: $vgpr11
.LBB248_219:
	s_and_not1_saveexec_b32 s2, s2
	s_cbranch_execz .LBB248_221
; %bb.220:
	v_lshlrev_b32_e32 v12, 2, v0
	v_lshlrev_b32_e32 v11, 2, v11
	v_readfirstlane_b32 s4, v7
	v_readfirstlane_b32 s5, v8
	ds_load_b32 v12, v12 offset:10240
	s_waitcnt lgkmcnt(0)
	global_store_b32 v11, v12, s[4:5]
.LBB248_221:
	s_or_b32 exec_lo, exec_lo, s2
	v_or_b32_e32 v11, 0xb00, v0
	s_mov_b32 s2, exec_lo
	s_delay_alu instid0(VALU_DEP_1)
	v_cmpx_le_u32_e64 v1, v11
	s_xor_b32 s2, exec_lo, s2
	s_cbranch_execz .LBB248_227
; %bb.222:
	s_mov_b32 s4, exec_lo
	v_cmpx_le_u32_e64 v10, v11
	s_xor_b32 s4, exec_lo, s4
	s_cbranch_execz .LBB248_224
; %bb.223:
	v_lshlrev_b32_e32 v12, 2, v0
	v_add_co_u32 v11, vcc_lo, v3, v11
	ds_load_b32 v13, v12 offset:11264
	v_add_co_ci_u32_e32 v12, vcc_lo, 0, v9, vcc_lo
	s_delay_alu instid0(VALU_DEP_1) | instskip(NEXT) | instid1(VALU_DEP_1)
	v_lshlrev_b64 v[11:12], 2, v[11:12]
	v_sub_co_u32 v11, vcc_lo, s1, v11
	s_delay_alu instid0(VALU_DEP_2)
	v_sub_co_ci_u32_e32 v12, vcc_lo, s0, v12, vcc_lo
	s_waitcnt lgkmcnt(0)
	global_store_b32 v[11:12], v13, off
                                        ; implicit-def: $vgpr11
.LBB248_224:
	s_and_not1_saveexec_b32 s4, s4
	s_cbranch_execz .LBB248_226
; %bb.225:
	v_lshlrev_b32_e32 v12, 2, v0
	v_lshlrev_b32_e32 v11, 2, v11
	v_readfirstlane_b32 s6, v5
	v_readfirstlane_b32 s7, v6
	ds_load_b32 v12, v12 offset:11264
	s_waitcnt lgkmcnt(0)
	global_store_b32 v11, v12, s[6:7]
.LBB248_226:
	s_or_b32 exec_lo, exec_lo, s4
                                        ; implicit-def: $vgpr11
.LBB248_227:
	s_and_not1_saveexec_b32 s2, s2
	s_cbranch_execz .LBB248_229
; %bb.228:
	v_lshlrev_b32_e32 v12, 2, v0
	v_lshlrev_b32_e32 v11, 2, v11
	v_readfirstlane_b32 s4, v7
	v_readfirstlane_b32 s5, v8
	ds_load_b32 v12, v12 offset:11264
	s_waitcnt lgkmcnt(0)
	global_store_b32 v11, v12, s[4:5]
.LBB248_229:
	s_or_b32 exec_lo, exec_lo, s2
	v_or_b32_e32 v11, 0xc00, v0
	s_mov_b32 s2, exec_lo
	s_delay_alu instid0(VALU_DEP_1)
	v_cmpx_le_u32_e64 v1, v11
	s_xor_b32 s2, exec_lo, s2
	s_cbranch_execz .LBB248_235
; %bb.230:
	s_mov_b32 s4, exec_lo
	v_cmpx_le_u32_e64 v10, v11
	s_xor_b32 s4, exec_lo, s4
	s_cbranch_execz .LBB248_232
; %bb.231:
	v_lshlrev_b32_e32 v12, 2, v0
	v_add_co_u32 v11, vcc_lo, v3, v11
	ds_load_b32 v13, v12 offset:12288
	v_add_co_ci_u32_e32 v12, vcc_lo, 0, v9, vcc_lo
	s_delay_alu instid0(VALU_DEP_1) | instskip(NEXT) | instid1(VALU_DEP_1)
	v_lshlrev_b64 v[11:12], 2, v[11:12]
	v_sub_co_u32 v11, vcc_lo, s1, v11
	s_delay_alu instid0(VALU_DEP_2)
	v_sub_co_ci_u32_e32 v12, vcc_lo, s0, v12, vcc_lo
	s_waitcnt lgkmcnt(0)
	global_store_b32 v[11:12], v13, off
                                        ; implicit-def: $vgpr11
.LBB248_232:
	s_and_not1_saveexec_b32 s4, s4
	s_cbranch_execz .LBB248_234
; %bb.233:
	v_lshlrev_b32_e32 v12, 2, v0
	v_lshlrev_b32_e32 v11, 2, v11
	v_readfirstlane_b32 s6, v5
	v_readfirstlane_b32 s7, v6
	ds_load_b32 v12, v12 offset:12288
	s_waitcnt lgkmcnt(0)
	global_store_b32 v11, v12, s[6:7]
.LBB248_234:
	s_or_b32 exec_lo, exec_lo, s4
                                        ; implicit-def: $vgpr11
.LBB248_235:
	s_and_not1_saveexec_b32 s2, s2
	s_cbranch_execz .LBB248_237
; %bb.236:
	v_lshlrev_b32_e32 v12, 2, v0
	v_lshlrev_b32_e32 v11, 2, v11
	v_readfirstlane_b32 s4, v7
	v_readfirstlane_b32 s5, v8
	ds_load_b32 v12, v12 offset:12288
	s_waitcnt lgkmcnt(0)
	global_store_b32 v11, v12, s[4:5]
.LBB248_237:
	s_or_b32 exec_lo, exec_lo, s2
	s_branch .LBB248_131
.LBB248_238:
	s_mov_b32 s2, exec_lo
	v_cmpx_gt_u32_e64 s3, v0
	s_cbranch_execz .LBB248_247
; %bb.239:
	s_mov_b32 s4, exec_lo
	v_cmpx_le_u32_e64 v1, v0
	s_xor_b32 s4, exec_lo, s4
	s_cbranch_execz .LBB248_245
; %bb.240:
	s_mov_b32 s5, exec_lo
	v_cmpx_le_u32_e64 v10, v0
	s_xor_b32 s5, exec_lo, s5
	s_cbranch_execz .LBB248_242
; %bb.241:
	v_lshlrev_b32_e32 v11, 2, v0
	ds_load_b32 v13, v11
	v_add_co_u32 v11, vcc_lo, v3, v0
	v_add_co_ci_u32_e32 v12, vcc_lo, 0, v9, vcc_lo
	s_delay_alu instid0(VALU_DEP_1) | instskip(NEXT) | instid1(VALU_DEP_1)
	v_lshlrev_b64 v[11:12], 2, v[11:12]
	v_sub_co_u32 v11, vcc_lo, s26, v11
	s_delay_alu instid0(VALU_DEP_2)
	v_sub_co_ci_u32_e32 v12, vcc_lo, s27, v12, vcc_lo
	s_waitcnt lgkmcnt(0)
	global_store_b32 v[11:12], v13, off offset:-4
.LBB248_242:
	s_and_not1_saveexec_b32 s5, s5
	s_cbranch_execz .LBB248_244
; %bb.243:
	v_lshlrev_b32_e32 v11, 2, v0
	v_readfirstlane_b32 s6, v5
	v_readfirstlane_b32 s7, v6
	ds_load_b32 v12, v11
	s_waitcnt lgkmcnt(0)
	global_store_b32 v11, v12, s[6:7]
.LBB248_244:
	s_or_b32 exec_lo, exec_lo, s5
.LBB248_245:
	s_and_not1_saveexec_b32 s4, s4
	s_cbranch_execz .LBB248_247
; %bb.246:
	v_lshlrev_b32_e32 v11, 2, v0
	v_readfirstlane_b32 s4, v7
	v_readfirstlane_b32 s5, v8
	ds_load_b32 v12, v11
	s_waitcnt lgkmcnt(0)
	global_store_b32 v11, v12, s[4:5]
.LBB248_247:
	s_or_b32 exec_lo, exec_lo, s2
	v_or_b32_e32 v11, 0x100, v0
	s_mov_b32 s2, exec_lo
	s_delay_alu instid0(VALU_DEP_1)
	v_cmpx_gt_u32_e64 s3, v11
	s_cbranch_execz .LBB248_256
; %bb.248:
	s_mov_b32 s4, exec_lo
	v_cmpx_le_u32_e64 v1, v11
	s_xor_b32 s4, exec_lo, s4
	s_cbranch_execz .LBB248_254
; %bb.249:
	s_mov_b32 s5, exec_lo
	v_cmpx_le_u32_e64 v10, v11
	s_xor_b32 s5, exec_lo, s5
	s_cbranch_execz .LBB248_251
; %bb.250:
	v_lshlrev_b32_e32 v11, 2, v0
	ds_load_b32 v13, v11 offset:1024
	v_add_co_u32 v11, vcc_lo, v3, v0
	v_add_co_ci_u32_e32 v12, vcc_lo, 0, v9, vcc_lo
	s_delay_alu instid0(VALU_DEP_1) | instskip(NEXT) | instid1(VALU_DEP_1)
	v_lshlrev_b64 v[11:12], 2, v[11:12]
	v_sub_co_u32 v11, vcc_lo, s1, v11
	s_delay_alu instid0(VALU_DEP_2)
	v_sub_co_ci_u32_e32 v12, vcc_lo, s0, v12, vcc_lo
	s_waitcnt lgkmcnt(0)
	global_store_b32 v[11:12], v13, off offset:-1024
.LBB248_251:
	s_and_not1_saveexec_b32 s5, s5
	s_cbranch_execz .LBB248_253
; %bb.252:
	v_lshlrev_b32_e32 v11, 2, v0
	v_readfirstlane_b32 s6, v5
	v_readfirstlane_b32 s7, v6
	ds_load_b32 v12, v11 offset:1024
	s_waitcnt lgkmcnt(0)
	global_store_b32 v11, v12, s[6:7] offset:1024
.LBB248_253:
	s_or_b32 exec_lo, exec_lo, s5
.LBB248_254:
	s_and_not1_saveexec_b32 s4, s4
	s_cbranch_execz .LBB248_256
; %bb.255:
	v_lshlrev_b32_e32 v11, 2, v0
	v_readfirstlane_b32 s4, v7
	v_readfirstlane_b32 s5, v8
	ds_load_b32 v12, v11 offset:1024
	s_waitcnt lgkmcnt(0)
	global_store_b32 v11, v12, s[4:5] offset:1024
.LBB248_256:
	s_or_b32 exec_lo, exec_lo, s2
	v_or_b32_e32 v11, 0x200, v0
	s_mov_b32 s2, exec_lo
	s_delay_alu instid0(VALU_DEP_1)
	v_cmpx_gt_u32_e64 s3, v11
	s_cbranch_execz .LBB248_265
; %bb.257:
	s_mov_b32 s4, exec_lo
	v_cmpx_le_u32_e64 v1, v11
	s_xor_b32 s4, exec_lo, s4
	s_cbranch_execz .LBB248_263
; %bb.258:
	s_mov_b32 s5, exec_lo
	v_cmpx_le_u32_e64 v10, v11
	s_xor_b32 s5, exec_lo, s5
	s_cbranch_execz .LBB248_260
; %bb.259:
	v_lshlrev_b32_e32 v11, 2, v0
	ds_load_b32 v13, v11 offset:2048
	v_add_co_u32 v11, vcc_lo, v3, v0
	v_add_co_ci_u32_e32 v12, vcc_lo, 0, v9, vcc_lo
	s_delay_alu instid0(VALU_DEP_1) | instskip(NEXT) | instid1(VALU_DEP_1)
	v_lshlrev_b64 v[11:12], 2, v[11:12]
	v_sub_co_u32 v11, vcc_lo, s1, v11
	s_delay_alu instid0(VALU_DEP_2)
	v_sub_co_ci_u32_e32 v12, vcc_lo, s0, v12, vcc_lo
	s_waitcnt lgkmcnt(0)
	global_store_b32 v[11:12], v13, off offset:-2048
.LBB248_260:
	s_and_not1_saveexec_b32 s5, s5
	s_cbranch_execz .LBB248_262
; %bb.261:
	v_lshlrev_b32_e32 v11, 2, v0
	v_readfirstlane_b32 s6, v5
	v_readfirstlane_b32 s7, v6
	ds_load_b32 v12, v11 offset:2048
	s_waitcnt lgkmcnt(0)
	global_store_b32 v11, v12, s[6:7] offset:2048
.LBB248_262:
	s_or_b32 exec_lo, exec_lo, s5
.LBB248_263:
	s_and_not1_saveexec_b32 s4, s4
	s_cbranch_execz .LBB248_265
; %bb.264:
	v_lshlrev_b32_e32 v11, 2, v0
	v_readfirstlane_b32 s4, v7
	v_readfirstlane_b32 s5, v8
	ds_load_b32 v12, v11 offset:2048
	s_waitcnt lgkmcnt(0)
	global_store_b32 v11, v12, s[4:5] offset:2048
.LBB248_265:
	;; [unrolled: 51-line block ×3, first 2 shown]
	s_or_b32 exec_lo, exec_lo, s2
	v_or_b32_e32 v11, 0x400, v0
	s_mov_b32 s2, exec_lo
	s_delay_alu instid0(VALU_DEP_1)
	v_cmpx_gt_u32_e64 s3, v11
	s_cbranch_execz .LBB248_283
; %bb.275:
	s_mov_b32 s4, exec_lo
	v_cmpx_le_u32_e64 v1, v11
	s_xor_b32 s4, exec_lo, s4
	s_cbranch_execz .LBB248_281
; %bb.276:
	s_mov_b32 s5, exec_lo
	v_cmpx_le_u32_e64 v10, v11
	s_xor_b32 s5, exec_lo, s5
	s_cbranch_execz .LBB248_278
; %bb.277:
	v_lshlrev_b32_e32 v11, 2, v0
	ds_load_b32 v13, v11 offset:4096
	v_add_co_u32 v11, vcc_lo, v3, v0
	v_add_co_ci_u32_e32 v12, vcc_lo, 0, v9, vcc_lo
	s_delay_alu instid0(VALU_DEP_1) | instskip(NEXT) | instid1(VALU_DEP_1)
	v_lshlrev_b64 v[11:12], 2, v[11:12]
	v_sub_co_u32 v11, vcc_lo, s1, v11
	s_delay_alu instid0(VALU_DEP_2)
	v_sub_co_ci_u32_e32 v12, vcc_lo, s0, v12, vcc_lo
	s_waitcnt lgkmcnt(0)
	global_store_b32 v[11:12], v13, off offset:-4096
                                        ; implicit-def: $vgpr11
.LBB248_278:
	s_and_not1_saveexec_b32 s5, s5
	s_cbranch_execz .LBB248_280
; %bb.279:
	v_lshlrev_b32_e32 v12, 2, v0
	v_lshlrev_b32_e32 v11, 2, v11
	v_readfirstlane_b32 s6, v5
	v_readfirstlane_b32 s7, v6
	ds_load_b32 v12, v12 offset:4096
	s_waitcnt lgkmcnt(0)
	global_store_b32 v11, v12, s[6:7]
.LBB248_280:
	s_or_b32 exec_lo, exec_lo, s5
                                        ; implicit-def: $vgpr11
.LBB248_281:
	s_and_not1_saveexec_b32 s4, s4
	s_cbranch_execz .LBB248_283
; %bb.282:
	v_lshlrev_b32_e32 v12, 2, v0
	v_lshlrev_b32_e32 v11, 2, v11
	v_readfirstlane_b32 s4, v7
	v_readfirstlane_b32 s5, v8
	ds_load_b32 v12, v12 offset:4096
	s_waitcnt lgkmcnt(0)
	global_store_b32 v11, v12, s[4:5]
.LBB248_283:
	s_or_b32 exec_lo, exec_lo, s2
	v_or_b32_e32 v11, 0x500, v0
	s_mov_b32 s2, exec_lo
	s_delay_alu instid0(VALU_DEP_1)
	v_cmpx_gt_u32_e64 s3, v11
	s_cbranch_execz .LBB248_292
; %bb.284:
	s_mov_b32 s4, exec_lo
	v_cmpx_le_u32_e64 v1, v11
	s_xor_b32 s4, exec_lo, s4
	s_cbranch_execz .LBB248_290
; %bb.285:
	s_mov_b32 s5, exec_lo
	v_cmpx_le_u32_e64 v10, v11
	s_xor_b32 s5, exec_lo, s5
	s_cbranch_execz .LBB248_287
; %bb.286:
	v_lshlrev_b32_e32 v12, 2, v0
	v_add_co_u32 v11, vcc_lo, v3, v11
	ds_load_b32 v13, v12 offset:5120
	v_add_co_ci_u32_e32 v12, vcc_lo, 0, v9, vcc_lo
	s_delay_alu instid0(VALU_DEP_1) | instskip(NEXT) | instid1(VALU_DEP_1)
	v_lshlrev_b64 v[11:12], 2, v[11:12]
	v_sub_co_u32 v11, vcc_lo, s1, v11
	s_delay_alu instid0(VALU_DEP_2)
	v_sub_co_ci_u32_e32 v12, vcc_lo, s0, v12, vcc_lo
	s_waitcnt lgkmcnt(0)
	global_store_b32 v[11:12], v13, off
                                        ; implicit-def: $vgpr11
.LBB248_287:
	s_and_not1_saveexec_b32 s5, s5
	s_cbranch_execz .LBB248_289
; %bb.288:
	v_lshlrev_b32_e32 v12, 2, v0
	v_lshlrev_b32_e32 v11, 2, v11
	v_readfirstlane_b32 s6, v5
	v_readfirstlane_b32 s7, v6
	ds_load_b32 v12, v12 offset:5120
	s_waitcnt lgkmcnt(0)
	global_store_b32 v11, v12, s[6:7]
.LBB248_289:
	s_or_b32 exec_lo, exec_lo, s5
                                        ; implicit-def: $vgpr11
.LBB248_290:
	s_and_not1_saveexec_b32 s4, s4
	s_cbranch_execz .LBB248_292
; %bb.291:
	v_lshlrev_b32_e32 v12, 2, v0
	v_lshlrev_b32_e32 v11, 2, v11
	v_readfirstlane_b32 s4, v7
	v_readfirstlane_b32 s5, v8
	ds_load_b32 v12, v12 offset:5120
	s_waitcnt lgkmcnt(0)
	global_store_b32 v11, v12, s[4:5]
.LBB248_292:
	s_or_b32 exec_lo, exec_lo, s2
	v_or_b32_e32 v11, 0x600, v0
	s_mov_b32 s2, exec_lo
	s_delay_alu instid0(VALU_DEP_1)
	v_cmpx_gt_u32_e64 s3, v11
	s_cbranch_execz .LBB248_301
; %bb.293:
	s_mov_b32 s4, exec_lo
	v_cmpx_le_u32_e64 v1, v11
	s_xor_b32 s4, exec_lo, s4
	s_cbranch_execz .LBB248_299
; %bb.294:
	s_mov_b32 s5, exec_lo
	v_cmpx_le_u32_e64 v10, v11
	s_xor_b32 s5, exec_lo, s5
	s_cbranch_execz .LBB248_296
; %bb.295:
	v_lshlrev_b32_e32 v12, 2, v0
	v_add_co_u32 v11, vcc_lo, v3, v11
	ds_load_b32 v13, v12 offset:6144
	v_add_co_ci_u32_e32 v12, vcc_lo, 0, v9, vcc_lo
	s_delay_alu instid0(VALU_DEP_1) | instskip(NEXT) | instid1(VALU_DEP_1)
	v_lshlrev_b64 v[11:12], 2, v[11:12]
	v_sub_co_u32 v11, vcc_lo, s1, v11
	s_delay_alu instid0(VALU_DEP_2)
	v_sub_co_ci_u32_e32 v12, vcc_lo, s0, v12, vcc_lo
	s_waitcnt lgkmcnt(0)
	global_store_b32 v[11:12], v13, off
                                        ; implicit-def: $vgpr11
.LBB248_296:
	s_and_not1_saveexec_b32 s5, s5
	s_cbranch_execz .LBB248_298
; %bb.297:
	v_lshlrev_b32_e32 v12, 2, v0
	v_lshlrev_b32_e32 v11, 2, v11
	v_readfirstlane_b32 s6, v5
	v_readfirstlane_b32 s7, v6
	ds_load_b32 v12, v12 offset:6144
	s_waitcnt lgkmcnt(0)
	global_store_b32 v11, v12, s[6:7]
.LBB248_298:
	s_or_b32 exec_lo, exec_lo, s5
                                        ; implicit-def: $vgpr11
.LBB248_299:
	s_and_not1_saveexec_b32 s4, s4
	s_cbranch_execz .LBB248_301
; %bb.300:
	v_lshlrev_b32_e32 v12, 2, v0
	v_lshlrev_b32_e32 v11, 2, v11
	v_readfirstlane_b32 s4, v7
	v_readfirstlane_b32 s5, v8
	ds_load_b32 v12, v12 offset:6144
	s_waitcnt lgkmcnt(0)
	global_store_b32 v11, v12, s[4:5]
.LBB248_301:
	;; [unrolled: 55-line block ×7, first 2 shown]
	s_or_b32 exec_lo, exec_lo, s2
	v_or_b32_e32 v11, 0xc00, v0
	s_mov_b32 s2, exec_lo
	s_delay_alu instid0(VALU_DEP_1)
	v_cmpx_gt_u32_e64 s3, v11
	s_cbranch_execz .LBB248_355
; %bb.347:
	s_mov_b32 s3, exec_lo
	v_cmpx_le_u32_e64 v1, v11
	s_xor_b32 s3, exec_lo, s3
	s_cbranch_execz .LBB248_353
; %bb.348:
	s_mov_b32 s4, exec_lo
	v_cmpx_le_u32_e64 v10, v11
	s_xor_b32 s4, exec_lo, s4
	s_cbranch_execz .LBB248_350
; %bb.349:
	v_lshlrev_b32_e32 v5, 2, v0
	ds_load_b32 v7, v5 offset:12288
	v_add_co_u32 v5, vcc_lo, v3, v11
	v_add_co_ci_u32_e32 v6, vcc_lo, 0, v9, vcc_lo
                                        ; implicit-def: $vgpr11
	s_delay_alu instid0(VALU_DEP_1) | instskip(NEXT) | instid1(VALU_DEP_1)
	v_lshlrev_b64 v[5:6], 2, v[5:6]
	v_sub_co_u32 v5, vcc_lo, s1, v5
	s_delay_alu instid0(VALU_DEP_2)
	v_sub_co_ci_u32_e32 v6, vcc_lo, s0, v6, vcc_lo
	s_waitcnt lgkmcnt(0)
	global_store_b32 v[5:6], v7, off
                                        ; implicit-def: $vgpr5_vgpr6
.LBB248_350:
	s_and_not1_saveexec_b32 s0, s4
	s_cbranch_execz .LBB248_352
; %bb.351:
	v_lshlrev_b32_e32 v3, 2, v0
	v_lshlrev_b32_e32 v7, 2, v11
	v_readfirstlane_b32 s4, v5
	v_readfirstlane_b32 s5, v6
	ds_load_b32 v3, v3 offset:12288
	s_waitcnt lgkmcnt(0)
	global_store_b32 v7, v3, s[4:5]
.LBB248_352:
	s_or_b32 exec_lo, exec_lo, s0
                                        ; implicit-def: $vgpr11
                                        ; implicit-def: $vgpr7_vgpr8
.LBB248_353:
	s_and_not1_saveexec_b32 s0, s3
	s_cbranch_execz .LBB248_355
; %bb.354:
	v_lshlrev_b32_e32 v3, 2, v0
	v_lshlrev_b32_e32 v5, 2, v11
	v_readfirstlane_b32 s0, v7
	v_readfirstlane_b32 s1, v8
	ds_load_b32 v3, v3 offset:12288
	s_waitcnt lgkmcnt(0)
	global_store_b32 v5, v3, s[0:1]
.LBB248_355:
	s_or_b32 exec_lo, exec_lo, s2
	v_cmp_eq_u32_e32 vcc_lo, 0, v0
	s_and_b32 s0, vcc_lo, s14
	s_delay_alu instid0(SALU_CYCLE_1)
	s_and_saveexec_b32 s1, s0
	s_cbranch_execz .LBB248_132
.LBB248_356:
	v_add_co_u32 v2, s0, s30, v2
	s_delay_alu instid0(VALU_DEP_1) | instskip(SKIP_2) | instid1(VALU_DEP_4)
	v_add_co_ci_u32_e64 v3, null, s31, 0, s0
	v_add_co_u32 v0, vcc_lo, v18, v1
	v_add_co_ci_u32_e32 v1, vcc_lo, 0, v19, vcc_lo
	v_add_co_u32 v2, vcc_lo, v2, v4
	v_mov_b32_e32 v5, 0
	v_add_co_ci_u32_e32 v3, vcc_lo, 0, v3, vcc_lo
	global_store_b128 v5, v[0:3], s[24:25]
	s_nop 0
	s_sendmsg sendmsg(MSG_DEALLOC_VGPRS)
	s_endpgm
.LBB248_357:
	v_add_nc_u32_e32 v3, s7, v23
	s_add_i32 s10, s15, 32
	s_mov_b32 s11, 0
	v_dual_mov_b32 v5, 0 :: v_dual_add_nc_u32 v2, v22, v1
	s_lshl_b64 s[10:11], s[10:11], 4
	v_and_b32_e32 v20, 0xff0000, v3
	s_add_u32 s10, s4, s10
	s_addc_u32 s11, s5, s11
	v_and_b32_e32 v4, 0xff000000, v3
	s_delay_alu instid0(VALU_DEP_1) | instskip(SKIP_2) | instid1(VALU_DEP_1)
	v_or_b32_e32 v20, v20, v4
	v_dual_mov_b32 v4, 2 :: v_dual_and_b32 v21, 0xff00, v3
	v_and_b32_e32 v3, 0xff, v3
	v_or3_b32 v3, v20, v21, v3
	v_dual_mov_b32 v21, s11 :: v_dual_mov_b32 v20, s10
	;;#ASMSTART
	global_store_dwordx4 v[20:21], v[2:5] off	
s_waitcnt vmcnt(0)
	;;#ASMEND
	s_or_b32 exec_lo, exec_lo, s8
	s_and_saveexec_b32 s8, s2
	s_cbranch_execz .LBB248_116
.LBB248_358:
	v_mov_b32_e32 v2, s7
	v_add_nc_u32_e64 v3, 0x3400, 0
	ds_store_2addr_b32 v3, v1, v2 offset1:2
	ds_store_2addr_b32 v3, v22, v23 offset0:4 offset1:6
	s_or_b32 exec_lo, exec_lo, s8
	v_cmp_eq_u32_e32 vcc_lo, 0, v0
	s_and_b32 exec_lo, exec_lo, vcc_lo
	s_cbranch_execnz .LBB248_117
	s_branch .LBB248_118
	.section	.rodata,"a",@progbits
	.p2align	6, 0x0
	.amdhsa_kernel _ZN7rocprim17ROCPRIM_400000_NS6detail17trampoline_kernelINS0_13select_configILj256ELj13ELNS0_17block_load_methodE3ELS4_3ELS4_3ELNS0_20block_scan_algorithmE0ELj4294967295EEENS1_25partition_config_selectorILNS1_17partition_subalgoE4EjNS0_10empty_typeEbEEZZNS1_14partition_implILS8_4ELb0ES6_15HIP_vector_typeIjLj2EENS0_17counting_iteratorIjlEEPS9_SG_NS0_5tupleIJPjSI_NS0_16reverse_iteratorISI_EEEEENSH_IJSG_SG_SG_EEES9_SI_JZNS1_25segmented_radix_sort_implINS0_14default_configELb1EPKaPaPKlPlN2at6native12_GLOBAL__N_18offset_tEEE10hipError_tPvRmT1_PNSt15iterator_traitsIS12_E10value_typeET2_T3_PNS13_IS18_E10value_typeET4_jRbjT5_S1E_jjP12ihipStream_tbEUljE_ZNSN_ISO_Lb1ESQ_SR_ST_SU_SY_EESZ_S10_S11_S12_S16_S17_S18_S1B_S1C_jS1D_jS1E_S1E_jjS1G_bEUljE0_EEESZ_S10_S11_S18_S1C_S1E_T6_T7_T9_mT8_S1G_bDpT10_ENKUlT_T0_E_clISt17integral_constantIbLb1EES1T_IbLb0EEEEDaS1P_S1Q_EUlS1P_E_NS1_11comp_targetILNS1_3genE9ELNS1_11target_archE1100ELNS1_3gpuE3ELNS1_3repE0EEENS1_30default_config_static_selectorELNS0_4arch9wavefront6targetE0EEEvS12_
		.amdhsa_group_segment_fixed_size 13340
		.amdhsa_private_segment_fixed_size 0
		.amdhsa_kernarg_size 176
		.amdhsa_user_sgpr_count 15
		.amdhsa_user_sgpr_dispatch_ptr 0
		.amdhsa_user_sgpr_queue_ptr 0
		.amdhsa_user_sgpr_kernarg_segment_ptr 1
		.amdhsa_user_sgpr_dispatch_id 0
		.amdhsa_user_sgpr_private_segment_size 0
		.amdhsa_wavefront_size32 1
		.amdhsa_uses_dynamic_stack 0
		.amdhsa_enable_private_segment 0
		.amdhsa_system_sgpr_workgroup_id_x 1
		.amdhsa_system_sgpr_workgroup_id_y 0
		.amdhsa_system_sgpr_workgroup_id_z 0
		.amdhsa_system_sgpr_workgroup_info 0
		.amdhsa_system_vgpr_workitem_id 0
		.amdhsa_next_free_vgpr 98
		.amdhsa_next_free_sgpr 59
		.amdhsa_reserve_vcc 1
		.amdhsa_float_round_mode_32 0
		.amdhsa_float_round_mode_16_64 0
		.amdhsa_float_denorm_mode_32 3
		.amdhsa_float_denorm_mode_16_64 3
		.amdhsa_dx10_clamp 1
		.amdhsa_ieee_mode 1
		.amdhsa_fp16_overflow 0
		.amdhsa_workgroup_processor_mode 1
		.amdhsa_memory_ordered 1
		.amdhsa_forward_progress 0
		.amdhsa_shared_vgpr_count 0
		.amdhsa_exception_fp_ieee_invalid_op 0
		.amdhsa_exception_fp_denorm_src 0
		.amdhsa_exception_fp_ieee_div_zero 0
		.amdhsa_exception_fp_ieee_overflow 0
		.amdhsa_exception_fp_ieee_underflow 0
		.amdhsa_exception_fp_ieee_inexact 0
		.amdhsa_exception_int_div_zero 0
	.end_amdhsa_kernel
	.section	.text._ZN7rocprim17ROCPRIM_400000_NS6detail17trampoline_kernelINS0_13select_configILj256ELj13ELNS0_17block_load_methodE3ELS4_3ELS4_3ELNS0_20block_scan_algorithmE0ELj4294967295EEENS1_25partition_config_selectorILNS1_17partition_subalgoE4EjNS0_10empty_typeEbEEZZNS1_14partition_implILS8_4ELb0ES6_15HIP_vector_typeIjLj2EENS0_17counting_iteratorIjlEEPS9_SG_NS0_5tupleIJPjSI_NS0_16reverse_iteratorISI_EEEEENSH_IJSG_SG_SG_EEES9_SI_JZNS1_25segmented_radix_sort_implINS0_14default_configELb1EPKaPaPKlPlN2at6native12_GLOBAL__N_18offset_tEEE10hipError_tPvRmT1_PNSt15iterator_traitsIS12_E10value_typeET2_T3_PNS13_IS18_E10value_typeET4_jRbjT5_S1E_jjP12ihipStream_tbEUljE_ZNSN_ISO_Lb1ESQ_SR_ST_SU_SY_EESZ_S10_S11_S12_S16_S17_S18_S1B_S1C_jS1D_jS1E_S1E_jjS1G_bEUljE0_EEESZ_S10_S11_S18_S1C_S1E_T6_T7_T9_mT8_S1G_bDpT10_ENKUlT_T0_E_clISt17integral_constantIbLb1EES1T_IbLb0EEEEDaS1P_S1Q_EUlS1P_E_NS1_11comp_targetILNS1_3genE9ELNS1_11target_archE1100ELNS1_3gpuE3ELNS1_3repE0EEENS1_30default_config_static_selectorELNS0_4arch9wavefront6targetE0EEEvS12_,"axG",@progbits,_ZN7rocprim17ROCPRIM_400000_NS6detail17trampoline_kernelINS0_13select_configILj256ELj13ELNS0_17block_load_methodE3ELS4_3ELS4_3ELNS0_20block_scan_algorithmE0ELj4294967295EEENS1_25partition_config_selectorILNS1_17partition_subalgoE4EjNS0_10empty_typeEbEEZZNS1_14partition_implILS8_4ELb0ES6_15HIP_vector_typeIjLj2EENS0_17counting_iteratorIjlEEPS9_SG_NS0_5tupleIJPjSI_NS0_16reverse_iteratorISI_EEEEENSH_IJSG_SG_SG_EEES9_SI_JZNS1_25segmented_radix_sort_implINS0_14default_configELb1EPKaPaPKlPlN2at6native12_GLOBAL__N_18offset_tEEE10hipError_tPvRmT1_PNSt15iterator_traitsIS12_E10value_typeET2_T3_PNS13_IS18_E10value_typeET4_jRbjT5_S1E_jjP12ihipStream_tbEUljE_ZNSN_ISO_Lb1ESQ_SR_ST_SU_SY_EESZ_S10_S11_S12_S16_S17_S18_S1B_S1C_jS1D_jS1E_S1E_jjS1G_bEUljE0_EEESZ_S10_S11_S18_S1C_S1E_T6_T7_T9_mT8_S1G_bDpT10_ENKUlT_T0_E_clISt17integral_constantIbLb1EES1T_IbLb0EEEEDaS1P_S1Q_EUlS1P_E_NS1_11comp_targetILNS1_3genE9ELNS1_11target_archE1100ELNS1_3gpuE3ELNS1_3repE0EEENS1_30default_config_static_selectorELNS0_4arch9wavefront6targetE0EEEvS12_,comdat
.Lfunc_end248:
	.size	_ZN7rocprim17ROCPRIM_400000_NS6detail17trampoline_kernelINS0_13select_configILj256ELj13ELNS0_17block_load_methodE3ELS4_3ELS4_3ELNS0_20block_scan_algorithmE0ELj4294967295EEENS1_25partition_config_selectorILNS1_17partition_subalgoE4EjNS0_10empty_typeEbEEZZNS1_14partition_implILS8_4ELb0ES6_15HIP_vector_typeIjLj2EENS0_17counting_iteratorIjlEEPS9_SG_NS0_5tupleIJPjSI_NS0_16reverse_iteratorISI_EEEEENSH_IJSG_SG_SG_EEES9_SI_JZNS1_25segmented_radix_sort_implINS0_14default_configELb1EPKaPaPKlPlN2at6native12_GLOBAL__N_18offset_tEEE10hipError_tPvRmT1_PNSt15iterator_traitsIS12_E10value_typeET2_T3_PNS13_IS18_E10value_typeET4_jRbjT5_S1E_jjP12ihipStream_tbEUljE_ZNSN_ISO_Lb1ESQ_SR_ST_SU_SY_EESZ_S10_S11_S12_S16_S17_S18_S1B_S1C_jS1D_jS1E_S1E_jjS1G_bEUljE0_EEESZ_S10_S11_S18_S1C_S1E_T6_T7_T9_mT8_S1G_bDpT10_ENKUlT_T0_E_clISt17integral_constantIbLb1EES1T_IbLb0EEEEDaS1P_S1Q_EUlS1P_E_NS1_11comp_targetILNS1_3genE9ELNS1_11target_archE1100ELNS1_3gpuE3ELNS1_3repE0EEENS1_30default_config_static_selectorELNS0_4arch9wavefront6targetE0EEEvS12_, .Lfunc_end248-_ZN7rocprim17ROCPRIM_400000_NS6detail17trampoline_kernelINS0_13select_configILj256ELj13ELNS0_17block_load_methodE3ELS4_3ELS4_3ELNS0_20block_scan_algorithmE0ELj4294967295EEENS1_25partition_config_selectorILNS1_17partition_subalgoE4EjNS0_10empty_typeEbEEZZNS1_14partition_implILS8_4ELb0ES6_15HIP_vector_typeIjLj2EENS0_17counting_iteratorIjlEEPS9_SG_NS0_5tupleIJPjSI_NS0_16reverse_iteratorISI_EEEEENSH_IJSG_SG_SG_EEES9_SI_JZNS1_25segmented_radix_sort_implINS0_14default_configELb1EPKaPaPKlPlN2at6native12_GLOBAL__N_18offset_tEEE10hipError_tPvRmT1_PNSt15iterator_traitsIS12_E10value_typeET2_T3_PNS13_IS18_E10value_typeET4_jRbjT5_S1E_jjP12ihipStream_tbEUljE_ZNSN_ISO_Lb1ESQ_SR_ST_SU_SY_EESZ_S10_S11_S12_S16_S17_S18_S1B_S1C_jS1D_jS1E_S1E_jjS1G_bEUljE0_EEESZ_S10_S11_S18_S1C_S1E_T6_T7_T9_mT8_S1G_bDpT10_ENKUlT_T0_E_clISt17integral_constantIbLb1EES1T_IbLb0EEEEDaS1P_S1Q_EUlS1P_E_NS1_11comp_targetILNS1_3genE9ELNS1_11target_archE1100ELNS1_3gpuE3ELNS1_3repE0EEENS1_30default_config_static_selectorELNS0_4arch9wavefront6targetE0EEEvS12_
                                        ; -- End function
	.section	.AMDGPU.csdata,"",@progbits
; Kernel info:
; codeLenInByte = 15084
; NumSgprs: 61
; NumVgprs: 98
; ScratchSize: 0
; MemoryBound: 0
; FloatMode: 240
; IeeeMode: 1
; LDSByteSize: 13340 bytes/workgroup (compile time only)
; SGPRBlocks: 7
; VGPRBlocks: 12
; NumSGPRsForWavesPerEU: 61
; NumVGPRsForWavesPerEU: 98
; Occupancy: 12
; WaveLimiterHint : 1
; COMPUTE_PGM_RSRC2:SCRATCH_EN: 0
; COMPUTE_PGM_RSRC2:USER_SGPR: 15
; COMPUTE_PGM_RSRC2:TRAP_HANDLER: 0
; COMPUTE_PGM_RSRC2:TGID_X_EN: 1
; COMPUTE_PGM_RSRC2:TGID_Y_EN: 0
; COMPUTE_PGM_RSRC2:TGID_Z_EN: 0
; COMPUTE_PGM_RSRC2:TIDIG_COMP_CNT: 0
	.section	.text._ZN7rocprim17ROCPRIM_400000_NS6detail17trampoline_kernelINS0_13select_configILj256ELj13ELNS0_17block_load_methodE3ELS4_3ELS4_3ELNS0_20block_scan_algorithmE0ELj4294967295EEENS1_25partition_config_selectorILNS1_17partition_subalgoE4EjNS0_10empty_typeEbEEZZNS1_14partition_implILS8_4ELb0ES6_15HIP_vector_typeIjLj2EENS0_17counting_iteratorIjlEEPS9_SG_NS0_5tupleIJPjSI_NS0_16reverse_iteratorISI_EEEEENSH_IJSG_SG_SG_EEES9_SI_JZNS1_25segmented_radix_sort_implINS0_14default_configELb1EPKaPaPKlPlN2at6native12_GLOBAL__N_18offset_tEEE10hipError_tPvRmT1_PNSt15iterator_traitsIS12_E10value_typeET2_T3_PNS13_IS18_E10value_typeET4_jRbjT5_S1E_jjP12ihipStream_tbEUljE_ZNSN_ISO_Lb1ESQ_SR_ST_SU_SY_EESZ_S10_S11_S12_S16_S17_S18_S1B_S1C_jS1D_jS1E_S1E_jjS1G_bEUljE0_EEESZ_S10_S11_S18_S1C_S1E_T6_T7_T9_mT8_S1G_bDpT10_ENKUlT_T0_E_clISt17integral_constantIbLb1EES1T_IbLb0EEEEDaS1P_S1Q_EUlS1P_E_NS1_11comp_targetILNS1_3genE8ELNS1_11target_archE1030ELNS1_3gpuE2ELNS1_3repE0EEENS1_30default_config_static_selectorELNS0_4arch9wavefront6targetE0EEEvS12_,"axG",@progbits,_ZN7rocprim17ROCPRIM_400000_NS6detail17trampoline_kernelINS0_13select_configILj256ELj13ELNS0_17block_load_methodE3ELS4_3ELS4_3ELNS0_20block_scan_algorithmE0ELj4294967295EEENS1_25partition_config_selectorILNS1_17partition_subalgoE4EjNS0_10empty_typeEbEEZZNS1_14partition_implILS8_4ELb0ES6_15HIP_vector_typeIjLj2EENS0_17counting_iteratorIjlEEPS9_SG_NS0_5tupleIJPjSI_NS0_16reverse_iteratorISI_EEEEENSH_IJSG_SG_SG_EEES9_SI_JZNS1_25segmented_radix_sort_implINS0_14default_configELb1EPKaPaPKlPlN2at6native12_GLOBAL__N_18offset_tEEE10hipError_tPvRmT1_PNSt15iterator_traitsIS12_E10value_typeET2_T3_PNS13_IS18_E10value_typeET4_jRbjT5_S1E_jjP12ihipStream_tbEUljE_ZNSN_ISO_Lb1ESQ_SR_ST_SU_SY_EESZ_S10_S11_S12_S16_S17_S18_S1B_S1C_jS1D_jS1E_S1E_jjS1G_bEUljE0_EEESZ_S10_S11_S18_S1C_S1E_T6_T7_T9_mT8_S1G_bDpT10_ENKUlT_T0_E_clISt17integral_constantIbLb1EES1T_IbLb0EEEEDaS1P_S1Q_EUlS1P_E_NS1_11comp_targetILNS1_3genE8ELNS1_11target_archE1030ELNS1_3gpuE2ELNS1_3repE0EEENS1_30default_config_static_selectorELNS0_4arch9wavefront6targetE0EEEvS12_,comdat
	.globl	_ZN7rocprim17ROCPRIM_400000_NS6detail17trampoline_kernelINS0_13select_configILj256ELj13ELNS0_17block_load_methodE3ELS4_3ELS4_3ELNS0_20block_scan_algorithmE0ELj4294967295EEENS1_25partition_config_selectorILNS1_17partition_subalgoE4EjNS0_10empty_typeEbEEZZNS1_14partition_implILS8_4ELb0ES6_15HIP_vector_typeIjLj2EENS0_17counting_iteratorIjlEEPS9_SG_NS0_5tupleIJPjSI_NS0_16reverse_iteratorISI_EEEEENSH_IJSG_SG_SG_EEES9_SI_JZNS1_25segmented_radix_sort_implINS0_14default_configELb1EPKaPaPKlPlN2at6native12_GLOBAL__N_18offset_tEEE10hipError_tPvRmT1_PNSt15iterator_traitsIS12_E10value_typeET2_T3_PNS13_IS18_E10value_typeET4_jRbjT5_S1E_jjP12ihipStream_tbEUljE_ZNSN_ISO_Lb1ESQ_SR_ST_SU_SY_EESZ_S10_S11_S12_S16_S17_S18_S1B_S1C_jS1D_jS1E_S1E_jjS1G_bEUljE0_EEESZ_S10_S11_S18_S1C_S1E_T6_T7_T9_mT8_S1G_bDpT10_ENKUlT_T0_E_clISt17integral_constantIbLb1EES1T_IbLb0EEEEDaS1P_S1Q_EUlS1P_E_NS1_11comp_targetILNS1_3genE8ELNS1_11target_archE1030ELNS1_3gpuE2ELNS1_3repE0EEENS1_30default_config_static_selectorELNS0_4arch9wavefront6targetE0EEEvS12_ ; -- Begin function _ZN7rocprim17ROCPRIM_400000_NS6detail17trampoline_kernelINS0_13select_configILj256ELj13ELNS0_17block_load_methodE3ELS4_3ELS4_3ELNS0_20block_scan_algorithmE0ELj4294967295EEENS1_25partition_config_selectorILNS1_17partition_subalgoE4EjNS0_10empty_typeEbEEZZNS1_14partition_implILS8_4ELb0ES6_15HIP_vector_typeIjLj2EENS0_17counting_iteratorIjlEEPS9_SG_NS0_5tupleIJPjSI_NS0_16reverse_iteratorISI_EEEEENSH_IJSG_SG_SG_EEES9_SI_JZNS1_25segmented_radix_sort_implINS0_14default_configELb1EPKaPaPKlPlN2at6native12_GLOBAL__N_18offset_tEEE10hipError_tPvRmT1_PNSt15iterator_traitsIS12_E10value_typeET2_T3_PNS13_IS18_E10value_typeET4_jRbjT5_S1E_jjP12ihipStream_tbEUljE_ZNSN_ISO_Lb1ESQ_SR_ST_SU_SY_EESZ_S10_S11_S12_S16_S17_S18_S1B_S1C_jS1D_jS1E_S1E_jjS1G_bEUljE0_EEESZ_S10_S11_S18_S1C_S1E_T6_T7_T9_mT8_S1G_bDpT10_ENKUlT_T0_E_clISt17integral_constantIbLb1EES1T_IbLb0EEEEDaS1P_S1Q_EUlS1P_E_NS1_11comp_targetILNS1_3genE8ELNS1_11target_archE1030ELNS1_3gpuE2ELNS1_3repE0EEENS1_30default_config_static_selectorELNS0_4arch9wavefront6targetE0EEEvS12_
	.p2align	8
	.type	_ZN7rocprim17ROCPRIM_400000_NS6detail17trampoline_kernelINS0_13select_configILj256ELj13ELNS0_17block_load_methodE3ELS4_3ELS4_3ELNS0_20block_scan_algorithmE0ELj4294967295EEENS1_25partition_config_selectorILNS1_17partition_subalgoE4EjNS0_10empty_typeEbEEZZNS1_14partition_implILS8_4ELb0ES6_15HIP_vector_typeIjLj2EENS0_17counting_iteratorIjlEEPS9_SG_NS0_5tupleIJPjSI_NS0_16reverse_iteratorISI_EEEEENSH_IJSG_SG_SG_EEES9_SI_JZNS1_25segmented_radix_sort_implINS0_14default_configELb1EPKaPaPKlPlN2at6native12_GLOBAL__N_18offset_tEEE10hipError_tPvRmT1_PNSt15iterator_traitsIS12_E10value_typeET2_T3_PNS13_IS18_E10value_typeET4_jRbjT5_S1E_jjP12ihipStream_tbEUljE_ZNSN_ISO_Lb1ESQ_SR_ST_SU_SY_EESZ_S10_S11_S12_S16_S17_S18_S1B_S1C_jS1D_jS1E_S1E_jjS1G_bEUljE0_EEESZ_S10_S11_S18_S1C_S1E_T6_T7_T9_mT8_S1G_bDpT10_ENKUlT_T0_E_clISt17integral_constantIbLb1EES1T_IbLb0EEEEDaS1P_S1Q_EUlS1P_E_NS1_11comp_targetILNS1_3genE8ELNS1_11target_archE1030ELNS1_3gpuE2ELNS1_3repE0EEENS1_30default_config_static_selectorELNS0_4arch9wavefront6targetE0EEEvS12_,@function
_ZN7rocprim17ROCPRIM_400000_NS6detail17trampoline_kernelINS0_13select_configILj256ELj13ELNS0_17block_load_methodE3ELS4_3ELS4_3ELNS0_20block_scan_algorithmE0ELj4294967295EEENS1_25partition_config_selectorILNS1_17partition_subalgoE4EjNS0_10empty_typeEbEEZZNS1_14partition_implILS8_4ELb0ES6_15HIP_vector_typeIjLj2EENS0_17counting_iteratorIjlEEPS9_SG_NS0_5tupleIJPjSI_NS0_16reverse_iteratorISI_EEEEENSH_IJSG_SG_SG_EEES9_SI_JZNS1_25segmented_radix_sort_implINS0_14default_configELb1EPKaPaPKlPlN2at6native12_GLOBAL__N_18offset_tEEE10hipError_tPvRmT1_PNSt15iterator_traitsIS12_E10value_typeET2_T3_PNS13_IS18_E10value_typeET4_jRbjT5_S1E_jjP12ihipStream_tbEUljE_ZNSN_ISO_Lb1ESQ_SR_ST_SU_SY_EESZ_S10_S11_S12_S16_S17_S18_S1B_S1C_jS1D_jS1E_S1E_jjS1G_bEUljE0_EEESZ_S10_S11_S18_S1C_S1E_T6_T7_T9_mT8_S1G_bDpT10_ENKUlT_T0_E_clISt17integral_constantIbLb1EES1T_IbLb0EEEEDaS1P_S1Q_EUlS1P_E_NS1_11comp_targetILNS1_3genE8ELNS1_11target_archE1030ELNS1_3gpuE2ELNS1_3repE0EEENS1_30default_config_static_selectorELNS0_4arch9wavefront6targetE0EEEvS12_: ; @_ZN7rocprim17ROCPRIM_400000_NS6detail17trampoline_kernelINS0_13select_configILj256ELj13ELNS0_17block_load_methodE3ELS4_3ELS4_3ELNS0_20block_scan_algorithmE0ELj4294967295EEENS1_25partition_config_selectorILNS1_17partition_subalgoE4EjNS0_10empty_typeEbEEZZNS1_14partition_implILS8_4ELb0ES6_15HIP_vector_typeIjLj2EENS0_17counting_iteratorIjlEEPS9_SG_NS0_5tupleIJPjSI_NS0_16reverse_iteratorISI_EEEEENSH_IJSG_SG_SG_EEES9_SI_JZNS1_25segmented_radix_sort_implINS0_14default_configELb1EPKaPaPKlPlN2at6native12_GLOBAL__N_18offset_tEEE10hipError_tPvRmT1_PNSt15iterator_traitsIS12_E10value_typeET2_T3_PNS13_IS18_E10value_typeET4_jRbjT5_S1E_jjP12ihipStream_tbEUljE_ZNSN_ISO_Lb1ESQ_SR_ST_SU_SY_EESZ_S10_S11_S12_S16_S17_S18_S1B_S1C_jS1D_jS1E_S1E_jjS1G_bEUljE0_EEESZ_S10_S11_S18_S1C_S1E_T6_T7_T9_mT8_S1G_bDpT10_ENKUlT_T0_E_clISt17integral_constantIbLb1EES1T_IbLb0EEEEDaS1P_S1Q_EUlS1P_E_NS1_11comp_targetILNS1_3genE8ELNS1_11target_archE1030ELNS1_3gpuE2ELNS1_3repE0EEENS1_30default_config_static_selectorELNS0_4arch9wavefront6targetE0EEEvS12_
; %bb.0:
	.section	.rodata,"a",@progbits
	.p2align	6, 0x0
	.amdhsa_kernel _ZN7rocprim17ROCPRIM_400000_NS6detail17trampoline_kernelINS0_13select_configILj256ELj13ELNS0_17block_load_methodE3ELS4_3ELS4_3ELNS0_20block_scan_algorithmE0ELj4294967295EEENS1_25partition_config_selectorILNS1_17partition_subalgoE4EjNS0_10empty_typeEbEEZZNS1_14partition_implILS8_4ELb0ES6_15HIP_vector_typeIjLj2EENS0_17counting_iteratorIjlEEPS9_SG_NS0_5tupleIJPjSI_NS0_16reverse_iteratorISI_EEEEENSH_IJSG_SG_SG_EEES9_SI_JZNS1_25segmented_radix_sort_implINS0_14default_configELb1EPKaPaPKlPlN2at6native12_GLOBAL__N_18offset_tEEE10hipError_tPvRmT1_PNSt15iterator_traitsIS12_E10value_typeET2_T3_PNS13_IS18_E10value_typeET4_jRbjT5_S1E_jjP12ihipStream_tbEUljE_ZNSN_ISO_Lb1ESQ_SR_ST_SU_SY_EESZ_S10_S11_S12_S16_S17_S18_S1B_S1C_jS1D_jS1E_S1E_jjS1G_bEUljE0_EEESZ_S10_S11_S18_S1C_S1E_T6_T7_T9_mT8_S1G_bDpT10_ENKUlT_T0_E_clISt17integral_constantIbLb1EES1T_IbLb0EEEEDaS1P_S1Q_EUlS1P_E_NS1_11comp_targetILNS1_3genE8ELNS1_11target_archE1030ELNS1_3gpuE2ELNS1_3repE0EEENS1_30default_config_static_selectorELNS0_4arch9wavefront6targetE0EEEvS12_
		.amdhsa_group_segment_fixed_size 0
		.amdhsa_private_segment_fixed_size 0
		.amdhsa_kernarg_size 176
		.amdhsa_user_sgpr_count 15
		.amdhsa_user_sgpr_dispatch_ptr 0
		.amdhsa_user_sgpr_queue_ptr 0
		.amdhsa_user_sgpr_kernarg_segment_ptr 1
		.amdhsa_user_sgpr_dispatch_id 0
		.amdhsa_user_sgpr_private_segment_size 0
		.amdhsa_wavefront_size32 1
		.amdhsa_uses_dynamic_stack 0
		.amdhsa_enable_private_segment 0
		.amdhsa_system_sgpr_workgroup_id_x 1
		.amdhsa_system_sgpr_workgroup_id_y 0
		.amdhsa_system_sgpr_workgroup_id_z 0
		.amdhsa_system_sgpr_workgroup_info 0
		.amdhsa_system_vgpr_workitem_id 0
		.amdhsa_next_free_vgpr 1
		.amdhsa_next_free_sgpr 1
		.amdhsa_reserve_vcc 0
		.amdhsa_float_round_mode_32 0
		.amdhsa_float_round_mode_16_64 0
		.amdhsa_float_denorm_mode_32 3
		.amdhsa_float_denorm_mode_16_64 3
		.amdhsa_dx10_clamp 1
		.amdhsa_ieee_mode 1
		.amdhsa_fp16_overflow 0
		.amdhsa_workgroup_processor_mode 1
		.amdhsa_memory_ordered 1
		.amdhsa_forward_progress 0
		.amdhsa_shared_vgpr_count 0
		.amdhsa_exception_fp_ieee_invalid_op 0
		.amdhsa_exception_fp_denorm_src 0
		.amdhsa_exception_fp_ieee_div_zero 0
		.amdhsa_exception_fp_ieee_overflow 0
		.amdhsa_exception_fp_ieee_underflow 0
		.amdhsa_exception_fp_ieee_inexact 0
		.amdhsa_exception_int_div_zero 0
	.end_amdhsa_kernel
	.section	.text._ZN7rocprim17ROCPRIM_400000_NS6detail17trampoline_kernelINS0_13select_configILj256ELj13ELNS0_17block_load_methodE3ELS4_3ELS4_3ELNS0_20block_scan_algorithmE0ELj4294967295EEENS1_25partition_config_selectorILNS1_17partition_subalgoE4EjNS0_10empty_typeEbEEZZNS1_14partition_implILS8_4ELb0ES6_15HIP_vector_typeIjLj2EENS0_17counting_iteratorIjlEEPS9_SG_NS0_5tupleIJPjSI_NS0_16reverse_iteratorISI_EEEEENSH_IJSG_SG_SG_EEES9_SI_JZNS1_25segmented_radix_sort_implINS0_14default_configELb1EPKaPaPKlPlN2at6native12_GLOBAL__N_18offset_tEEE10hipError_tPvRmT1_PNSt15iterator_traitsIS12_E10value_typeET2_T3_PNS13_IS18_E10value_typeET4_jRbjT5_S1E_jjP12ihipStream_tbEUljE_ZNSN_ISO_Lb1ESQ_SR_ST_SU_SY_EESZ_S10_S11_S12_S16_S17_S18_S1B_S1C_jS1D_jS1E_S1E_jjS1G_bEUljE0_EEESZ_S10_S11_S18_S1C_S1E_T6_T7_T9_mT8_S1G_bDpT10_ENKUlT_T0_E_clISt17integral_constantIbLb1EES1T_IbLb0EEEEDaS1P_S1Q_EUlS1P_E_NS1_11comp_targetILNS1_3genE8ELNS1_11target_archE1030ELNS1_3gpuE2ELNS1_3repE0EEENS1_30default_config_static_selectorELNS0_4arch9wavefront6targetE0EEEvS12_,"axG",@progbits,_ZN7rocprim17ROCPRIM_400000_NS6detail17trampoline_kernelINS0_13select_configILj256ELj13ELNS0_17block_load_methodE3ELS4_3ELS4_3ELNS0_20block_scan_algorithmE0ELj4294967295EEENS1_25partition_config_selectorILNS1_17partition_subalgoE4EjNS0_10empty_typeEbEEZZNS1_14partition_implILS8_4ELb0ES6_15HIP_vector_typeIjLj2EENS0_17counting_iteratorIjlEEPS9_SG_NS0_5tupleIJPjSI_NS0_16reverse_iteratorISI_EEEEENSH_IJSG_SG_SG_EEES9_SI_JZNS1_25segmented_radix_sort_implINS0_14default_configELb1EPKaPaPKlPlN2at6native12_GLOBAL__N_18offset_tEEE10hipError_tPvRmT1_PNSt15iterator_traitsIS12_E10value_typeET2_T3_PNS13_IS18_E10value_typeET4_jRbjT5_S1E_jjP12ihipStream_tbEUljE_ZNSN_ISO_Lb1ESQ_SR_ST_SU_SY_EESZ_S10_S11_S12_S16_S17_S18_S1B_S1C_jS1D_jS1E_S1E_jjS1G_bEUljE0_EEESZ_S10_S11_S18_S1C_S1E_T6_T7_T9_mT8_S1G_bDpT10_ENKUlT_T0_E_clISt17integral_constantIbLb1EES1T_IbLb0EEEEDaS1P_S1Q_EUlS1P_E_NS1_11comp_targetILNS1_3genE8ELNS1_11target_archE1030ELNS1_3gpuE2ELNS1_3repE0EEENS1_30default_config_static_selectorELNS0_4arch9wavefront6targetE0EEEvS12_,comdat
.Lfunc_end249:
	.size	_ZN7rocprim17ROCPRIM_400000_NS6detail17trampoline_kernelINS0_13select_configILj256ELj13ELNS0_17block_load_methodE3ELS4_3ELS4_3ELNS0_20block_scan_algorithmE0ELj4294967295EEENS1_25partition_config_selectorILNS1_17partition_subalgoE4EjNS0_10empty_typeEbEEZZNS1_14partition_implILS8_4ELb0ES6_15HIP_vector_typeIjLj2EENS0_17counting_iteratorIjlEEPS9_SG_NS0_5tupleIJPjSI_NS0_16reverse_iteratorISI_EEEEENSH_IJSG_SG_SG_EEES9_SI_JZNS1_25segmented_radix_sort_implINS0_14default_configELb1EPKaPaPKlPlN2at6native12_GLOBAL__N_18offset_tEEE10hipError_tPvRmT1_PNSt15iterator_traitsIS12_E10value_typeET2_T3_PNS13_IS18_E10value_typeET4_jRbjT5_S1E_jjP12ihipStream_tbEUljE_ZNSN_ISO_Lb1ESQ_SR_ST_SU_SY_EESZ_S10_S11_S12_S16_S17_S18_S1B_S1C_jS1D_jS1E_S1E_jjS1G_bEUljE0_EEESZ_S10_S11_S18_S1C_S1E_T6_T7_T9_mT8_S1G_bDpT10_ENKUlT_T0_E_clISt17integral_constantIbLb1EES1T_IbLb0EEEEDaS1P_S1Q_EUlS1P_E_NS1_11comp_targetILNS1_3genE8ELNS1_11target_archE1030ELNS1_3gpuE2ELNS1_3repE0EEENS1_30default_config_static_selectorELNS0_4arch9wavefront6targetE0EEEvS12_, .Lfunc_end249-_ZN7rocprim17ROCPRIM_400000_NS6detail17trampoline_kernelINS0_13select_configILj256ELj13ELNS0_17block_load_methodE3ELS4_3ELS4_3ELNS0_20block_scan_algorithmE0ELj4294967295EEENS1_25partition_config_selectorILNS1_17partition_subalgoE4EjNS0_10empty_typeEbEEZZNS1_14partition_implILS8_4ELb0ES6_15HIP_vector_typeIjLj2EENS0_17counting_iteratorIjlEEPS9_SG_NS0_5tupleIJPjSI_NS0_16reverse_iteratorISI_EEEEENSH_IJSG_SG_SG_EEES9_SI_JZNS1_25segmented_radix_sort_implINS0_14default_configELb1EPKaPaPKlPlN2at6native12_GLOBAL__N_18offset_tEEE10hipError_tPvRmT1_PNSt15iterator_traitsIS12_E10value_typeET2_T3_PNS13_IS18_E10value_typeET4_jRbjT5_S1E_jjP12ihipStream_tbEUljE_ZNSN_ISO_Lb1ESQ_SR_ST_SU_SY_EESZ_S10_S11_S12_S16_S17_S18_S1B_S1C_jS1D_jS1E_S1E_jjS1G_bEUljE0_EEESZ_S10_S11_S18_S1C_S1E_T6_T7_T9_mT8_S1G_bDpT10_ENKUlT_T0_E_clISt17integral_constantIbLb1EES1T_IbLb0EEEEDaS1P_S1Q_EUlS1P_E_NS1_11comp_targetILNS1_3genE8ELNS1_11target_archE1030ELNS1_3gpuE2ELNS1_3repE0EEENS1_30default_config_static_selectorELNS0_4arch9wavefront6targetE0EEEvS12_
                                        ; -- End function
	.section	.AMDGPU.csdata,"",@progbits
; Kernel info:
; codeLenInByte = 0
; NumSgprs: 0
; NumVgprs: 0
; ScratchSize: 0
; MemoryBound: 0
; FloatMode: 240
; IeeeMode: 1
; LDSByteSize: 0 bytes/workgroup (compile time only)
; SGPRBlocks: 0
; VGPRBlocks: 0
; NumSGPRsForWavesPerEU: 1
; NumVGPRsForWavesPerEU: 1
; Occupancy: 16
; WaveLimiterHint : 0
; COMPUTE_PGM_RSRC2:SCRATCH_EN: 0
; COMPUTE_PGM_RSRC2:USER_SGPR: 15
; COMPUTE_PGM_RSRC2:TRAP_HANDLER: 0
; COMPUTE_PGM_RSRC2:TGID_X_EN: 1
; COMPUTE_PGM_RSRC2:TGID_Y_EN: 0
; COMPUTE_PGM_RSRC2:TGID_Z_EN: 0
; COMPUTE_PGM_RSRC2:TIDIG_COMP_CNT: 0
	.section	.text._ZN7rocprim17ROCPRIM_400000_NS6detail17trampoline_kernelINS0_13select_configILj256ELj13ELNS0_17block_load_methodE3ELS4_3ELS4_3ELNS0_20block_scan_algorithmE0ELj4294967295EEENS1_25partition_config_selectorILNS1_17partition_subalgoE4EjNS0_10empty_typeEbEEZZNS1_14partition_implILS8_4ELb0ES6_15HIP_vector_typeIjLj2EENS0_17counting_iteratorIjlEEPS9_SG_NS0_5tupleIJPjSI_NS0_16reverse_iteratorISI_EEEEENSH_IJSG_SG_SG_EEES9_SI_JZNS1_25segmented_radix_sort_implINS0_14default_configELb1EPKaPaPKlPlN2at6native12_GLOBAL__N_18offset_tEEE10hipError_tPvRmT1_PNSt15iterator_traitsIS12_E10value_typeET2_T3_PNS13_IS18_E10value_typeET4_jRbjT5_S1E_jjP12ihipStream_tbEUljE_ZNSN_ISO_Lb1ESQ_SR_ST_SU_SY_EESZ_S10_S11_S12_S16_S17_S18_S1B_S1C_jS1D_jS1E_S1E_jjS1G_bEUljE0_EEESZ_S10_S11_S18_S1C_S1E_T6_T7_T9_mT8_S1G_bDpT10_ENKUlT_T0_E_clISt17integral_constantIbLb0EES1T_IbLb1EEEEDaS1P_S1Q_EUlS1P_E_NS1_11comp_targetILNS1_3genE0ELNS1_11target_archE4294967295ELNS1_3gpuE0ELNS1_3repE0EEENS1_30default_config_static_selectorELNS0_4arch9wavefront6targetE0EEEvS12_,"axG",@progbits,_ZN7rocprim17ROCPRIM_400000_NS6detail17trampoline_kernelINS0_13select_configILj256ELj13ELNS0_17block_load_methodE3ELS4_3ELS4_3ELNS0_20block_scan_algorithmE0ELj4294967295EEENS1_25partition_config_selectorILNS1_17partition_subalgoE4EjNS0_10empty_typeEbEEZZNS1_14partition_implILS8_4ELb0ES6_15HIP_vector_typeIjLj2EENS0_17counting_iteratorIjlEEPS9_SG_NS0_5tupleIJPjSI_NS0_16reverse_iteratorISI_EEEEENSH_IJSG_SG_SG_EEES9_SI_JZNS1_25segmented_radix_sort_implINS0_14default_configELb1EPKaPaPKlPlN2at6native12_GLOBAL__N_18offset_tEEE10hipError_tPvRmT1_PNSt15iterator_traitsIS12_E10value_typeET2_T3_PNS13_IS18_E10value_typeET4_jRbjT5_S1E_jjP12ihipStream_tbEUljE_ZNSN_ISO_Lb1ESQ_SR_ST_SU_SY_EESZ_S10_S11_S12_S16_S17_S18_S1B_S1C_jS1D_jS1E_S1E_jjS1G_bEUljE0_EEESZ_S10_S11_S18_S1C_S1E_T6_T7_T9_mT8_S1G_bDpT10_ENKUlT_T0_E_clISt17integral_constantIbLb0EES1T_IbLb1EEEEDaS1P_S1Q_EUlS1P_E_NS1_11comp_targetILNS1_3genE0ELNS1_11target_archE4294967295ELNS1_3gpuE0ELNS1_3repE0EEENS1_30default_config_static_selectorELNS0_4arch9wavefront6targetE0EEEvS12_,comdat
	.globl	_ZN7rocprim17ROCPRIM_400000_NS6detail17trampoline_kernelINS0_13select_configILj256ELj13ELNS0_17block_load_methodE3ELS4_3ELS4_3ELNS0_20block_scan_algorithmE0ELj4294967295EEENS1_25partition_config_selectorILNS1_17partition_subalgoE4EjNS0_10empty_typeEbEEZZNS1_14partition_implILS8_4ELb0ES6_15HIP_vector_typeIjLj2EENS0_17counting_iteratorIjlEEPS9_SG_NS0_5tupleIJPjSI_NS0_16reverse_iteratorISI_EEEEENSH_IJSG_SG_SG_EEES9_SI_JZNS1_25segmented_radix_sort_implINS0_14default_configELb1EPKaPaPKlPlN2at6native12_GLOBAL__N_18offset_tEEE10hipError_tPvRmT1_PNSt15iterator_traitsIS12_E10value_typeET2_T3_PNS13_IS18_E10value_typeET4_jRbjT5_S1E_jjP12ihipStream_tbEUljE_ZNSN_ISO_Lb1ESQ_SR_ST_SU_SY_EESZ_S10_S11_S12_S16_S17_S18_S1B_S1C_jS1D_jS1E_S1E_jjS1G_bEUljE0_EEESZ_S10_S11_S18_S1C_S1E_T6_T7_T9_mT8_S1G_bDpT10_ENKUlT_T0_E_clISt17integral_constantIbLb0EES1T_IbLb1EEEEDaS1P_S1Q_EUlS1P_E_NS1_11comp_targetILNS1_3genE0ELNS1_11target_archE4294967295ELNS1_3gpuE0ELNS1_3repE0EEENS1_30default_config_static_selectorELNS0_4arch9wavefront6targetE0EEEvS12_ ; -- Begin function _ZN7rocprim17ROCPRIM_400000_NS6detail17trampoline_kernelINS0_13select_configILj256ELj13ELNS0_17block_load_methodE3ELS4_3ELS4_3ELNS0_20block_scan_algorithmE0ELj4294967295EEENS1_25partition_config_selectorILNS1_17partition_subalgoE4EjNS0_10empty_typeEbEEZZNS1_14partition_implILS8_4ELb0ES6_15HIP_vector_typeIjLj2EENS0_17counting_iteratorIjlEEPS9_SG_NS0_5tupleIJPjSI_NS0_16reverse_iteratorISI_EEEEENSH_IJSG_SG_SG_EEES9_SI_JZNS1_25segmented_radix_sort_implINS0_14default_configELb1EPKaPaPKlPlN2at6native12_GLOBAL__N_18offset_tEEE10hipError_tPvRmT1_PNSt15iterator_traitsIS12_E10value_typeET2_T3_PNS13_IS18_E10value_typeET4_jRbjT5_S1E_jjP12ihipStream_tbEUljE_ZNSN_ISO_Lb1ESQ_SR_ST_SU_SY_EESZ_S10_S11_S12_S16_S17_S18_S1B_S1C_jS1D_jS1E_S1E_jjS1G_bEUljE0_EEESZ_S10_S11_S18_S1C_S1E_T6_T7_T9_mT8_S1G_bDpT10_ENKUlT_T0_E_clISt17integral_constantIbLb0EES1T_IbLb1EEEEDaS1P_S1Q_EUlS1P_E_NS1_11comp_targetILNS1_3genE0ELNS1_11target_archE4294967295ELNS1_3gpuE0ELNS1_3repE0EEENS1_30default_config_static_selectorELNS0_4arch9wavefront6targetE0EEEvS12_
	.p2align	8
	.type	_ZN7rocprim17ROCPRIM_400000_NS6detail17trampoline_kernelINS0_13select_configILj256ELj13ELNS0_17block_load_methodE3ELS4_3ELS4_3ELNS0_20block_scan_algorithmE0ELj4294967295EEENS1_25partition_config_selectorILNS1_17partition_subalgoE4EjNS0_10empty_typeEbEEZZNS1_14partition_implILS8_4ELb0ES6_15HIP_vector_typeIjLj2EENS0_17counting_iteratorIjlEEPS9_SG_NS0_5tupleIJPjSI_NS0_16reverse_iteratorISI_EEEEENSH_IJSG_SG_SG_EEES9_SI_JZNS1_25segmented_radix_sort_implINS0_14default_configELb1EPKaPaPKlPlN2at6native12_GLOBAL__N_18offset_tEEE10hipError_tPvRmT1_PNSt15iterator_traitsIS12_E10value_typeET2_T3_PNS13_IS18_E10value_typeET4_jRbjT5_S1E_jjP12ihipStream_tbEUljE_ZNSN_ISO_Lb1ESQ_SR_ST_SU_SY_EESZ_S10_S11_S12_S16_S17_S18_S1B_S1C_jS1D_jS1E_S1E_jjS1G_bEUljE0_EEESZ_S10_S11_S18_S1C_S1E_T6_T7_T9_mT8_S1G_bDpT10_ENKUlT_T0_E_clISt17integral_constantIbLb0EES1T_IbLb1EEEEDaS1P_S1Q_EUlS1P_E_NS1_11comp_targetILNS1_3genE0ELNS1_11target_archE4294967295ELNS1_3gpuE0ELNS1_3repE0EEENS1_30default_config_static_selectorELNS0_4arch9wavefront6targetE0EEEvS12_,@function
_ZN7rocprim17ROCPRIM_400000_NS6detail17trampoline_kernelINS0_13select_configILj256ELj13ELNS0_17block_load_methodE3ELS4_3ELS4_3ELNS0_20block_scan_algorithmE0ELj4294967295EEENS1_25partition_config_selectorILNS1_17partition_subalgoE4EjNS0_10empty_typeEbEEZZNS1_14partition_implILS8_4ELb0ES6_15HIP_vector_typeIjLj2EENS0_17counting_iteratorIjlEEPS9_SG_NS0_5tupleIJPjSI_NS0_16reverse_iteratorISI_EEEEENSH_IJSG_SG_SG_EEES9_SI_JZNS1_25segmented_radix_sort_implINS0_14default_configELb1EPKaPaPKlPlN2at6native12_GLOBAL__N_18offset_tEEE10hipError_tPvRmT1_PNSt15iterator_traitsIS12_E10value_typeET2_T3_PNS13_IS18_E10value_typeET4_jRbjT5_S1E_jjP12ihipStream_tbEUljE_ZNSN_ISO_Lb1ESQ_SR_ST_SU_SY_EESZ_S10_S11_S12_S16_S17_S18_S1B_S1C_jS1D_jS1E_S1E_jjS1G_bEUljE0_EEESZ_S10_S11_S18_S1C_S1E_T6_T7_T9_mT8_S1G_bDpT10_ENKUlT_T0_E_clISt17integral_constantIbLb0EES1T_IbLb1EEEEDaS1P_S1Q_EUlS1P_E_NS1_11comp_targetILNS1_3genE0ELNS1_11target_archE4294967295ELNS1_3gpuE0ELNS1_3repE0EEENS1_30default_config_static_selectorELNS0_4arch9wavefront6targetE0EEEvS12_: ; @_ZN7rocprim17ROCPRIM_400000_NS6detail17trampoline_kernelINS0_13select_configILj256ELj13ELNS0_17block_load_methodE3ELS4_3ELS4_3ELNS0_20block_scan_algorithmE0ELj4294967295EEENS1_25partition_config_selectorILNS1_17partition_subalgoE4EjNS0_10empty_typeEbEEZZNS1_14partition_implILS8_4ELb0ES6_15HIP_vector_typeIjLj2EENS0_17counting_iteratorIjlEEPS9_SG_NS0_5tupleIJPjSI_NS0_16reverse_iteratorISI_EEEEENSH_IJSG_SG_SG_EEES9_SI_JZNS1_25segmented_radix_sort_implINS0_14default_configELb1EPKaPaPKlPlN2at6native12_GLOBAL__N_18offset_tEEE10hipError_tPvRmT1_PNSt15iterator_traitsIS12_E10value_typeET2_T3_PNS13_IS18_E10value_typeET4_jRbjT5_S1E_jjP12ihipStream_tbEUljE_ZNSN_ISO_Lb1ESQ_SR_ST_SU_SY_EESZ_S10_S11_S12_S16_S17_S18_S1B_S1C_jS1D_jS1E_S1E_jjS1G_bEUljE0_EEESZ_S10_S11_S18_S1C_S1E_T6_T7_T9_mT8_S1G_bDpT10_ENKUlT_T0_E_clISt17integral_constantIbLb0EES1T_IbLb1EEEEDaS1P_S1Q_EUlS1P_E_NS1_11comp_targetILNS1_3genE0ELNS1_11target_archE4294967295ELNS1_3gpuE0ELNS1_3repE0EEENS1_30default_config_static_selectorELNS0_4arch9wavefront6targetE0EEEvS12_
; %bb.0:
	.section	.rodata,"a",@progbits
	.p2align	6, 0x0
	.amdhsa_kernel _ZN7rocprim17ROCPRIM_400000_NS6detail17trampoline_kernelINS0_13select_configILj256ELj13ELNS0_17block_load_methodE3ELS4_3ELS4_3ELNS0_20block_scan_algorithmE0ELj4294967295EEENS1_25partition_config_selectorILNS1_17partition_subalgoE4EjNS0_10empty_typeEbEEZZNS1_14partition_implILS8_4ELb0ES6_15HIP_vector_typeIjLj2EENS0_17counting_iteratorIjlEEPS9_SG_NS0_5tupleIJPjSI_NS0_16reverse_iteratorISI_EEEEENSH_IJSG_SG_SG_EEES9_SI_JZNS1_25segmented_radix_sort_implINS0_14default_configELb1EPKaPaPKlPlN2at6native12_GLOBAL__N_18offset_tEEE10hipError_tPvRmT1_PNSt15iterator_traitsIS12_E10value_typeET2_T3_PNS13_IS18_E10value_typeET4_jRbjT5_S1E_jjP12ihipStream_tbEUljE_ZNSN_ISO_Lb1ESQ_SR_ST_SU_SY_EESZ_S10_S11_S12_S16_S17_S18_S1B_S1C_jS1D_jS1E_S1E_jjS1G_bEUljE0_EEESZ_S10_S11_S18_S1C_S1E_T6_T7_T9_mT8_S1G_bDpT10_ENKUlT_T0_E_clISt17integral_constantIbLb0EES1T_IbLb1EEEEDaS1P_S1Q_EUlS1P_E_NS1_11comp_targetILNS1_3genE0ELNS1_11target_archE4294967295ELNS1_3gpuE0ELNS1_3repE0EEENS1_30default_config_static_selectorELNS0_4arch9wavefront6targetE0EEEvS12_
		.amdhsa_group_segment_fixed_size 0
		.amdhsa_private_segment_fixed_size 0
		.amdhsa_kernarg_size 184
		.amdhsa_user_sgpr_count 15
		.amdhsa_user_sgpr_dispatch_ptr 0
		.amdhsa_user_sgpr_queue_ptr 0
		.amdhsa_user_sgpr_kernarg_segment_ptr 1
		.amdhsa_user_sgpr_dispatch_id 0
		.amdhsa_user_sgpr_private_segment_size 0
		.amdhsa_wavefront_size32 1
		.amdhsa_uses_dynamic_stack 0
		.amdhsa_enable_private_segment 0
		.amdhsa_system_sgpr_workgroup_id_x 1
		.amdhsa_system_sgpr_workgroup_id_y 0
		.amdhsa_system_sgpr_workgroup_id_z 0
		.amdhsa_system_sgpr_workgroup_info 0
		.amdhsa_system_vgpr_workitem_id 0
		.amdhsa_next_free_vgpr 1
		.amdhsa_next_free_sgpr 1
		.amdhsa_reserve_vcc 0
		.amdhsa_float_round_mode_32 0
		.amdhsa_float_round_mode_16_64 0
		.amdhsa_float_denorm_mode_32 3
		.amdhsa_float_denorm_mode_16_64 3
		.amdhsa_dx10_clamp 1
		.amdhsa_ieee_mode 1
		.amdhsa_fp16_overflow 0
		.amdhsa_workgroup_processor_mode 1
		.amdhsa_memory_ordered 1
		.amdhsa_forward_progress 0
		.amdhsa_shared_vgpr_count 0
		.amdhsa_exception_fp_ieee_invalid_op 0
		.amdhsa_exception_fp_denorm_src 0
		.amdhsa_exception_fp_ieee_div_zero 0
		.amdhsa_exception_fp_ieee_overflow 0
		.amdhsa_exception_fp_ieee_underflow 0
		.amdhsa_exception_fp_ieee_inexact 0
		.amdhsa_exception_int_div_zero 0
	.end_amdhsa_kernel
	.section	.text._ZN7rocprim17ROCPRIM_400000_NS6detail17trampoline_kernelINS0_13select_configILj256ELj13ELNS0_17block_load_methodE3ELS4_3ELS4_3ELNS0_20block_scan_algorithmE0ELj4294967295EEENS1_25partition_config_selectorILNS1_17partition_subalgoE4EjNS0_10empty_typeEbEEZZNS1_14partition_implILS8_4ELb0ES6_15HIP_vector_typeIjLj2EENS0_17counting_iteratorIjlEEPS9_SG_NS0_5tupleIJPjSI_NS0_16reverse_iteratorISI_EEEEENSH_IJSG_SG_SG_EEES9_SI_JZNS1_25segmented_radix_sort_implINS0_14default_configELb1EPKaPaPKlPlN2at6native12_GLOBAL__N_18offset_tEEE10hipError_tPvRmT1_PNSt15iterator_traitsIS12_E10value_typeET2_T3_PNS13_IS18_E10value_typeET4_jRbjT5_S1E_jjP12ihipStream_tbEUljE_ZNSN_ISO_Lb1ESQ_SR_ST_SU_SY_EESZ_S10_S11_S12_S16_S17_S18_S1B_S1C_jS1D_jS1E_S1E_jjS1G_bEUljE0_EEESZ_S10_S11_S18_S1C_S1E_T6_T7_T9_mT8_S1G_bDpT10_ENKUlT_T0_E_clISt17integral_constantIbLb0EES1T_IbLb1EEEEDaS1P_S1Q_EUlS1P_E_NS1_11comp_targetILNS1_3genE0ELNS1_11target_archE4294967295ELNS1_3gpuE0ELNS1_3repE0EEENS1_30default_config_static_selectorELNS0_4arch9wavefront6targetE0EEEvS12_,"axG",@progbits,_ZN7rocprim17ROCPRIM_400000_NS6detail17trampoline_kernelINS0_13select_configILj256ELj13ELNS0_17block_load_methodE3ELS4_3ELS4_3ELNS0_20block_scan_algorithmE0ELj4294967295EEENS1_25partition_config_selectorILNS1_17partition_subalgoE4EjNS0_10empty_typeEbEEZZNS1_14partition_implILS8_4ELb0ES6_15HIP_vector_typeIjLj2EENS0_17counting_iteratorIjlEEPS9_SG_NS0_5tupleIJPjSI_NS0_16reverse_iteratorISI_EEEEENSH_IJSG_SG_SG_EEES9_SI_JZNS1_25segmented_radix_sort_implINS0_14default_configELb1EPKaPaPKlPlN2at6native12_GLOBAL__N_18offset_tEEE10hipError_tPvRmT1_PNSt15iterator_traitsIS12_E10value_typeET2_T3_PNS13_IS18_E10value_typeET4_jRbjT5_S1E_jjP12ihipStream_tbEUljE_ZNSN_ISO_Lb1ESQ_SR_ST_SU_SY_EESZ_S10_S11_S12_S16_S17_S18_S1B_S1C_jS1D_jS1E_S1E_jjS1G_bEUljE0_EEESZ_S10_S11_S18_S1C_S1E_T6_T7_T9_mT8_S1G_bDpT10_ENKUlT_T0_E_clISt17integral_constantIbLb0EES1T_IbLb1EEEEDaS1P_S1Q_EUlS1P_E_NS1_11comp_targetILNS1_3genE0ELNS1_11target_archE4294967295ELNS1_3gpuE0ELNS1_3repE0EEENS1_30default_config_static_selectorELNS0_4arch9wavefront6targetE0EEEvS12_,comdat
.Lfunc_end250:
	.size	_ZN7rocprim17ROCPRIM_400000_NS6detail17trampoline_kernelINS0_13select_configILj256ELj13ELNS0_17block_load_methodE3ELS4_3ELS4_3ELNS0_20block_scan_algorithmE0ELj4294967295EEENS1_25partition_config_selectorILNS1_17partition_subalgoE4EjNS0_10empty_typeEbEEZZNS1_14partition_implILS8_4ELb0ES6_15HIP_vector_typeIjLj2EENS0_17counting_iteratorIjlEEPS9_SG_NS0_5tupleIJPjSI_NS0_16reverse_iteratorISI_EEEEENSH_IJSG_SG_SG_EEES9_SI_JZNS1_25segmented_radix_sort_implINS0_14default_configELb1EPKaPaPKlPlN2at6native12_GLOBAL__N_18offset_tEEE10hipError_tPvRmT1_PNSt15iterator_traitsIS12_E10value_typeET2_T3_PNS13_IS18_E10value_typeET4_jRbjT5_S1E_jjP12ihipStream_tbEUljE_ZNSN_ISO_Lb1ESQ_SR_ST_SU_SY_EESZ_S10_S11_S12_S16_S17_S18_S1B_S1C_jS1D_jS1E_S1E_jjS1G_bEUljE0_EEESZ_S10_S11_S18_S1C_S1E_T6_T7_T9_mT8_S1G_bDpT10_ENKUlT_T0_E_clISt17integral_constantIbLb0EES1T_IbLb1EEEEDaS1P_S1Q_EUlS1P_E_NS1_11comp_targetILNS1_3genE0ELNS1_11target_archE4294967295ELNS1_3gpuE0ELNS1_3repE0EEENS1_30default_config_static_selectorELNS0_4arch9wavefront6targetE0EEEvS12_, .Lfunc_end250-_ZN7rocprim17ROCPRIM_400000_NS6detail17trampoline_kernelINS0_13select_configILj256ELj13ELNS0_17block_load_methodE3ELS4_3ELS4_3ELNS0_20block_scan_algorithmE0ELj4294967295EEENS1_25partition_config_selectorILNS1_17partition_subalgoE4EjNS0_10empty_typeEbEEZZNS1_14partition_implILS8_4ELb0ES6_15HIP_vector_typeIjLj2EENS0_17counting_iteratorIjlEEPS9_SG_NS0_5tupleIJPjSI_NS0_16reverse_iteratorISI_EEEEENSH_IJSG_SG_SG_EEES9_SI_JZNS1_25segmented_radix_sort_implINS0_14default_configELb1EPKaPaPKlPlN2at6native12_GLOBAL__N_18offset_tEEE10hipError_tPvRmT1_PNSt15iterator_traitsIS12_E10value_typeET2_T3_PNS13_IS18_E10value_typeET4_jRbjT5_S1E_jjP12ihipStream_tbEUljE_ZNSN_ISO_Lb1ESQ_SR_ST_SU_SY_EESZ_S10_S11_S12_S16_S17_S18_S1B_S1C_jS1D_jS1E_S1E_jjS1G_bEUljE0_EEESZ_S10_S11_S18_S1C_S1E_T6_T7_T9_mT8_S1G_bDpT10_ENKUlT_T0_E_clISt17integral_constantIbLb0EES1T_IbLb1EEEEDaS1P_S1Q_EUlS1P_E_NS1_11comp_targetILNS1_3genE0ELNS1_11target_archE4294967295ELNS1_3gpuE0ELNS1_3repE0EEENS1_30default_config_static_selectorELNS0_4arch9wavefront6targetE0EEEvS12_
                                        ; -- End function
	.section	.AMDGPU.csdata,"",@progbits
; Kernel info:
; codeLenInByte = 0
; NumSgprs: 0
; NumVgprs: 0
; ScratchSize: 0
; MemoryBound: 0
; FloatMode: 240
; IeeeMode: 1
; LDSByteSize: 0 bytes/workgroup (compile time only)
; SGPRBlocks: 0
; VGPRBlocks: 0
; NumSGPRsForWavesPerEU: 1
; NumVGPRsForWavesPerEU: 1
; Occupancy: 16
; WaveLimiterHint : 0
; COMPUTE_PGM_RSRC2:SCRATCH_EN: 0
; COMPUTE_PGM_RSRC2:USER_SGPR: 15
; COMPUTE_PGM_RSRC2:TRAP_HANDLER: 0
; COMPUTE_PGM_RSRC2:TGID_X_EN: 1
; COMPUTE_PGM_RSRC2:TGID_Y_EN: 0
; COMPUTE_PGM_RSRC2:TGID_Z_EN: 0
; COMPUTE_PGM_RSRC2:TIDIG_COMP_CNT: 0
	.section	.text._ZN7rocprim17ROCPRIM_400000_NS6detail17trampoline_kernelINS0_13select_configILj256ELj13ELNS0_17block_load_methodE3ELS4_3ELS4_3ELNS0_20block_scan_algorithmE0ELj4294967295EEENS1_25partition_config_selectorILNS1_17partition_subalgoE4EjNS0_10empty_typeEbEEZZNS1_14partition_implILS8_4ELb0ES6_15HIP_vector_typeIjLj2EENS0_17counting_iteratorIjlEEPS9_SG_NS0_5tupleIJPjSI_NS0_16reverse_iteratorISI_EEEEENSH_IJSG_SG_SG_EEES9_SI_JZNS1_25segmented_radix_sort_implINS0_14default_configELb1EPKaPaPKlPlN2at6native12_GLOBAL__N_18offset_tEEE10hipError_tPvRmT1_PNSt15iterator_traitsIS12_E10value_typeET2_T3_PNS13_IS18_E10value_typeET4_jRbjT5_S1E_jjP12ihipStream_tbEUljE_ZNSN_ISO_Lb1ESQ_SR_ST_SU_SY_EESZ_S10_S11_S12_S16_S17_S18_S1B_S1C_jS1D_jS1E_S1E_jjS1G_bEUljE0_EEESZ_S10_S11_S18_S1C_S1E_T6_T7_T9_mT8_S1G_bDpT10_ENKUlT_T0_E_clISt17integral_constantIbLb0EES1T_IbLb1EEEEDaS1P_S1Q_EUlS1P_E_NS1_11comp_targetILNS1_3genE5ELNS1_11target_archE942ELNS1_3gpuE9ELNS1_3repE0EEENS1_30default_config_static_selectorELNS0_4arch9wavefront6targetE0EEEvS12_,"axG",@progbits,_ZN7rocprim17ROCPRIM_400000_NS6detail17trampoline_kernelINS0_13select_configILj256ELj13ELNS0_17block_load_methodE3ELS4_3ELS4_3ELNS0_20block_scan_algorithmE0ELj4294967295EEENS1_25partition_config_selectorILNS1_17partition_subalgoE4EjNS0_10empty_typeEbEEZZNS1_14partition_implILS8_4ELb0ES6_15HIP_vector_typeIjLj2EENS0_17counting_iteratorIjlEEPS9_SG_NS0_5tupleIJPjSI_NS0_16reverse_iteratorISI_EEEEENSH_IJSG_SG_SG_EEES9_SI_JZNS1_25segmented_radix_sort_implINS0_14default_configELb1EPKaPaPKlPlN2at6native12_GLOBAL__N_18offset_tEEE10hipError_tPvRmT1_PNSt15iterator_traitsIS12_E10value_typeET2_T3_PNS13_IS18_E10value_typeET4_jRbjT5_S1E_jjP12ihipStream_tbEUljE_ZNSN_ISO_Lb1ESQ_SR_ST_SU_SY_EESZ_S10_S11_S12_S16_S17_S18_S1B_S1C_jS1D_jS1E_S1E_jjS1G_bEUljE0_EEESZ_S10_S11_S18_S1C_S1E_T6_T7_T9_mT8_S1G_bDpT10_ENKUlT_T0_E_clISt17integral_constantIbLb0EES1T_IbLb1EEEEDaS1P_S1Q_EUlS1P_E_NS1_11comp_targetILNS1_3genE5ELNS1_11target_archE942ELNS1_3gpuE9ELNS1_3repE0EEENS1_30default_config_static_selectorELNS0_4arch9wavefront6targetE0EEEvS12_,comdat
	.globl	_ZN7rocprim17ROCPRIM_400000_NS6detail17trampoline_kernelINS0_13select_configILj256ELj13ELNS0_17block_load_methodE3ELS4_3ELS4_3ELNS0_20block_scan_algorithmE0ELj4294967295EEENS1_25partition_config_selectorILNS1_17partition_subalgoE4EjNS0_10empty_typeEbEEZZNS1_14partition_implILS8_4ELb0ES6_15HIP_vector_typeIjLj2EENS0_17counting_iteratorIjlEEPS9_SG_NS0_5tupleIJPjSI_NS0_16reverse_iteratorISI_EEEEENSH_IJSG_SG_SG_EEES9_SI_JZNS1_25segmented_radix_sort_implINS0_14default_configELb1EPKaPaPKlPlN2at6native12_GLOBAL__N_18offset_tEEE10hipError_tPvRmT1_PNSt15iterator_traitsIS12_E10value_typeET2_T3_PNS13_IS18_E10value_typeET4_jRbjT5_S1E_jjP12ihipStream_tbEUljE_ZNSN_ISO_Lb1ESQ_SR_ST_SU_SY_EESZ_S10_S11_S12_S16_S17_S18_S1B_S1C_jS1D_jS1E_S1E_jjS1G_bEUljE0_EEESZ_S10_S11_S18_S1C_S1E_T6_T7_T9_mT8_S1G_bDpT10_ENKUlT_T0_E_clISt17integral_constantIbLb0EES1T_IbLb1EEEEDaS1P_S1Q_EUlS1P_E_NS1_11comp_targetILNS1_3genE5ELNS1_11target_archE942ELNS1_3gpuE9ELNS1_3repE0EEENS1_30default_config_static_selectorELNS0_4arch9wavefront6targetE0EEEvS12_ ; -- Begin function _ZN7rocprim17ROCPRIM_400000_NS6detail17trampoline_kernelINS0_13select_configILj256ELj13ELNS0_17block_load_methodE3ELS4_3ELS4_3ELNS0_20block_scan_algorithmE0ELj4294967295EEENS1_25partition_config_selectorILNS1_17partition_subalgoE4EjNS0_10empty_typeEbEEZZNS1_14partition_implILS8_4ELb0ES6_15HIP_vector_typeIjLj2EENS0_17counting_iteratorIjlEEPS9_SG_NS0_5tupleIJPjSI_NS0_16reverse_iteratorISI_EEEEENSH_IJSG_SG_SG_EEES9_SI_JZNS1_25segmented_radix_sort_implINS0_14default_configELb1EPKaPaPKlPlN2at6native12_GLOBAL__N_18offset_tEEE10hipError_tPvRmT1_PNSt15iterator_traitsIS12_E10value_typeET2_T3_PNS13_IS18_E10value_typeET4_jRbjT5_S1E_jjP12ihipStream_tbEUljE_ZNSN_ISO_Lb1ESQ_SR_ST_SU_SY_EESZ_S10_S11_S12_S16_S17_S18_S1B_S1C_jS1D_jS1E_S1E_jjS1G_bEUljE0_EEESZ_S10_S11_S18_S1C_S1E_T6_T7_T9_mT8_S1G_bDpT10_ENKUlT_T0_E_clISt17integral_constantIbLb0EES1T_IbLb1EEEEDaS1P_S1Q_EUlS1P_E_NS1_11comp_targetILNS1_3genE5ELNS1_11target_archE942ELNS1_3gpuE9ELNS1_3repE0EEENS1_30default_config_static_selectorELNS0_4arch9wavefront6targetE0EEEvS12_
	.p2align	8
	.type	_ZN7rocprim17ROCPRIM_400000_NS6detail17trampoline_kernelINS0_13select_configILj256ELj13ELNS0_17block_load_methodE3ELS4_3ELS4_3ELNS0_20block_scan_algorithmE0ELj4294967295EEENS1_25partition_config_selectorILNS1_17partition_subalgoE4EjNS0_10empty_typeEbEEZZNS1_14partition_implILS8_4ELb0ES6_15HIP_vector_typeIjLj2EENS0_17counting_iteratorIjlEEPS9_SG_NS0_5tupleIJPjSI_NS0_16reverse_iteratorISI_EEEEENSH_IJSG_SG_SG_EEES9_SI_JZNS1_25segmented_radix_sort_implINS0_14default_configELb1EPKaPaPKlPlN2at6native12_GLOBAL__N_18offset_tEEE10hipError_tPvRmT1_PNSt15iterator_traitsIS12_E10value_typeET2_T3_PNS13_IS18_E10value_typeET4_jRbjT5_S1E_jjP12ihipStream_tbEUljE_ZNSN_ISO_Lb1ESQ_SR_ST_SU_SY_EESZ_S10_S11_S12_S16_S17_S18_S1B_S1C_jS1D_jS1E_S1E_jjS1G_bEUljE0_EEESZ_S10_S11_S18_S1C_S1E_T6_T7_T9_mT8_S1G_bDpT10_ENKUlT_T0_E_clISt17integral_constantIbLb0EES1T_IbLb1EEEEDaS1P_S1Q_EUlS1P_E_NS1_11comp_targetILNS1_3genE5ELNS1_11target_archE942ELNS1_3gpuE9ELNS1_3repE0EEENS1_30default_config_static_selectorELNS0_4arch9wavefront6targetE0EEEvS12_,@function
_ZN7rocprim17ROCPRIM_400000_NS6detail17trampoline_kernelINS0_13select_configILj256ELj13ELNS0_17block_load_methodE3ELS4_3ELS4_3ELNS0_20block_scan_algorithmE0ELj4294967295EEENS1_25partition_config_selectorILNS1_17partition_subalgoE4EjNS0_10empty_typeEbEEZZNS1_14partition_implILS8_4ELb0ES6_15HIP_vector_typeIjLj2EENS0_17counting_iteratorIjlEEPS9_SG_NS0_5tupleIJPjSI_NS0_16reverse_iteratorISI_EEEEENSH_IJSG_SG_SG_EEES9_SI_JZNS1_25segmented_radix_sort_implINS0_14default_configELb1EPKaPaPKlPlN2at6native12_GLOBAL__N_18offset_tEEE10hipError_tPvRmT1_PNSt15iterator_traitsIS12_E10value_typeET2_T3_PNS13_IS18_E10value_typeET4_jRbjT5_S1E_jjP12ihipStream_tbEUljE_ZNSN_ISO_Lb1ESQ_SR_ST_SU_SY_EESZ_S10_S11_S12_S16_S17_S18_S1B_S1C_jS1D_jS1E_S1E_jjS1G_bEUljE0_EEESZ_S10_S11_S18_S1C_S1E_T6_T7_T9_mT8_S1G_bDpT10_ENKUlT_T0_E_clISt17integral_constantIbLb0EES1T_IbLb1EEEEDaS1P_S1Q_EUlS1P_E_NS1_11comp_targetILNS1_3genE5ELNS1_11target_archE942ELNS1_3gpuE9ELNS1_3repE0EEENS1_30default_config_static_selectorELNS0_4arch9wavefront6targetE0EEEvS12_: ; @_ZN7rocprim17ROCPRIM_400000_NS6detail17trampoline_kernelINS0_13select_configILj256ELj13ELNS0_17block_load_methodE3ELS4_3ELS4_3ELNS0_20block_scan_algorithmE0ELj4294967295EEENS1_25partition_config_selectorILNS1_17partition_subalgoE4EjNS0_10empty_typeEbEEZZNS1_14partition_implILS8_4ELb0ES6_15HIP_vector_typeIjLj2EENS0_17counting_iteratorIjlEEPS9_SG_NS0_5tupleIJPjSI_NS0_16reverse_iteratorISI_EEEEENSH_IJSG_SG_SG_EEES9_SI_JZNS1_25segmented_radix_sort_implINS0_14default_configELb1EPKaPaPKlPlN2at6native12_GLOBAL__N_18offset_tEEE10hipError_tPvRmT1_PNSt15iterator_traitsIS12_E10value_typeET2_T3_PNS13_IS18_E10value_typeET4_jRbjT5_S1E_jjP12ihipStream_tbEUljE_ZNSN_ISO_Lb1ESQ_SR_ST_SU_SY_EESZ_S10_S11_S12_S16_S17_S18_S1B_S1C_jS1D_jS1E_S1E_jjS1G_bEUljE0_EEESZ_S10_S11_S18_S1C_S1E_T6_T7_T9_mT8_S1G_bDpT10_ENKUlT_T0_E_clISt17integral_constantIbLb0EES1T_IbLb1EEEEDaS1P_S1Q_EUlS1P_E_NS1_11comp_targetILNS1_3genE5ELNS1_11target_archE942ELNS1_3gpuE9ELNS1_3repE0EEENS1_30default_config_static_selectorELNS0_4arch9wavefront6targetE0EEEvS12_
; %bb.0:
	.section	.rodata,"a",@progbits
	.p2align	6, 0x0
	.amdhsa_kernel _ZN7rocprim17ROCPRIM_400000_NS6detail17trampoline_kernelINS0_13select_configILj256ELj13ELNS0_17block_load_methodE3ELS4_3ELS4_3ELNS0_20block_scan_algorithmE0ELj4294967295EEENS1_25partition_config_selectorILNS1_17partition_subalgoE4EjNS0_10empty_typeEbEEZZNS1_14partition_implILS8_4ELb0ES6_15HIP_vector_typeIjLj2EENS0_17counting_iteratorIjlEEPS9_SG_NS0_5tupleIJPjSI_NS0_16reverse_iteratorISI_EEEEENSH_IJSG_SG_SG_EEES9_SI_JZNS1_25segmented_radix_sort_implINS0_14default_configELb1EPKaPaPKlPlN2at6native12_GLOBAL__N_18offset_tEEE10hipError_tPvRmT1_PNSt15iterator_traitsIS12_E10value_typeET2_T3_PNS13_IS18_E10value_typeET4_jRbjT5_S1E_jjP12ihipStream_tbEUljE_ZNSN_ISO_Lb1ESQ_SR_ST_SU_SY_EESZ_S10_S11_S12_S16_S17_S18_S1B_S1C_jS1D_jS1E_S1E_jjS1G_bEUljE0_EEESZ_S10_S11_S18_S1C_S1E_T6_T7_T9_mT8_S1G_bDpT10_ENKUlT_T0_E_clISt17integral_constantIbLb0EES1T_IbLb1EEEEDaS1P_S1Q_EUlS1P_E_NS1_11comp_targetILNS1_3genE5ELNS1_11target_archE942ELNS1_3gpuE9ELNS1_3repE0EEENS1_30default_config_static_selectorELNS0_4arch9wavefront6targetE0EEEvS12_
		.amdhsa_group_segment_fixed_size 0
		.amdhsa_private_segment_fixed_size 0
		.amdhsa_kernarg_size 184
		.amdhsa_user_sgpr_count 15
		.amdhsa_user_sgpr_dispatch_ptr 0
		.amdhsa_user_sgpr_queue_ptr 0
		.amdhsa_user_sgpr_kernarg_segment_ptr 1
		.amdhsa_user_sgpr_dispatch_id 0
		.amdhsa_user_sgpr_private_segment_size 0
		.amdhsa_wavefront_size32 1
		.amdhsa_uses_dynamic_stack 0
		.amdhsa_enable_private_segment 0
		.amdhsa_system_sgpr_workgroup_id_x 1
		.amdhsa_system_sgpr_workgroup_id_y 0
		.amdhsa_system_sgpr_workgroup_id_z 0
		.amdhsa_system_sgpr_workgroup_info 0
		.amdhsa_system_vgpr_workitem_id 0
		.amdhsa_next_free_vgpr 1
		.amdhsa_next_free_sgpr 1
		.amdhsa_reserve_vcc 0
		.amdhsa_float_round_mode_32 0
		.amdhsa_float_round_mode_16_64 0
		.amdhsa_float_denorm_mode_32 3
		.amdhsa_float_denorm_mode_16_64 3
		.amdhsa_dx10_clamp 1
		.amdhsa_ieee_mode 1
		.amdhsa_fp16_overflow 0
		.amdhsa_workgroup_processor_mode 1
		.amdhsa_memory_ordered 1
		.amdhsa_forward_progress 0
		.amdhsa_shared_vgpr_count 0
		.amdhsa_exception_fp_ieee_invalid_op 0
		.amdhsa_exception_fp_denorm_src 0
		.amdhsa_exception_fp_ieee_div_zero 0
		.amdhsa_exception_fp_ieee_overflow 0
		.amdhsa_exception_fp_ieee_underflow 0
		.amdhsa_exception_fp_ieee_inexact 0
		.amdhsa_exception_int_div_zero 0
	.end_amdhsa_kernel
	.section	.text._ZN7rocprim17ROCPRIM_400000_NS6detail17trampoline_kernelINS0_13select_configILj256ELj13ELNS0_17block_load_methodE3ELS4_3ELS4_3ELNS0_20block_scan_algorithmE0ELj4294967295EEENS1_25partition_config_selectorILNS1_17partition_subalgoE4EjNS0_10empty_typeEbEEZZNS1_14partition_implILS8_4ELb0ES6_15HIP_vector_typeIjLj2EENS0_17counting_iteratorIjlEEPS9_SG_NS0_5tupleIJPjSI_NS0_16reverse_iteratorISI_EEEEENSH_IJSG_SG_SG_EEES9_SI_JZNS1_25segmented_radix_sort_implINS0_14default_configELb1EPKaPaPKlPlN2at6native12_GLOBAL__N_18offset_tEEE10hipError_tPvRmT1_PNSt15iterator_traitsIS12_E10value_typeET2_T3_PNS13_IS18_E10value_typeET4_jRbjT5_S1E_jjP12ihipStream_tbEUljE_ZNSN_ISO_Lb1ESQ_SR_ST_SU_SY_EESZ_S10_S11_S12_S16_S17_S18_S1B_S1C_jS1D_jS1E_S1E_jjS1G_bEUljE0_EEESZ_S10_S11_S18_S1C_S1E_T6_T7_T9_mT8_S1G_bDpT10_ENKUlT_T0_E_clISt17integral_constantIbLb0EES1T_IbLb1EEEEDaS1P_S1Q_EUlS1P_E_NS1_11comp_targetILNS1_3genE5ELNS1_11target_archE942ELNS1_3gpuE9ELNS1_3repE0EEENS1_30default_config_static_selectorELNS0_4arch9wavefront6targetE0EEEvS12_,"axG",@progbits,_ZN7rocprim17ROCPRIM_400000_NS6detail17trampoline_kernelINS0_13select_configILj256ELj13ELNS0_17block_load_methodE3ELS4_3ELS4_3ELNS0_20block_scan_algorithmE0ELj4294967295EEENS1_25partition_config_selectorILNS1_17partition_subalgoE4EjNS0_10empty_typeEbEEZZNS1_14partition_implILS8_4ELb0ES6_15HIP_vector_typeIjLj2EENS0_17counting_iteratorIjlEEPS9_SG_NS0_5tupleIJPjSI_NS0_16reverse_iteratorISI_EEEEENSH_IJSG_SG_SG_EEES9_SI_JZNS1_25segmented_radix_sort_implINS0_14default_configELb1EPKaPaPKlPlN2at6native12_GLOBAL__N_18offset_tEEE10hipError_tPvRmT1_PNSt15iterator_traitsIS12_E10value_typeET2_T3_PNS13_IS18_E10value_typeET4_jRbjT5_S1E_jjP12ihipStream_tbEUljE_ZNSN_ISO_Lb1ESQ_SR_ST_SU_SY_EESZ_S10_S11_S12_S16_S17_S18_S1B_S1C_jS1D_jS1E_S1E_jjS1G_bEUljE0_EEESZ_S10_S11_S18_S1C_S1E_T6_T7_T9_mT8_S1G_bDpT10_ENKUlT_T0_E_clISt17integral_constantIbLb0EES1T_IbLb1EEEEDaS1P_S1Q_EUlS1P_E_NS1_11comp_targetILNS1_3genE5ELNS1_11target_archE942ELNS1_3gpuE9ELNS1_3repE0EEENS1_30default_config_static_selectorELNS0_4arch9wavefront6targetE0EEEvS12_,comdat
.Lfunc_end251:
	.size	_ZN7rocprim17ROCPRIM_400000_NS6detail17trampoline_kernelINS0_13select_configILj256ELj13ELNS0_17block_load_methodE3ELS4_3ELS4_3ELNS0_20block_scan_algorithmE0ELj4294967295EEENS1_25partition_config_selectorILNS1_17partition_subalgoE4EjNS0_10empty_typeEbEEZZNS1_14partition_implILS8_4ELb0ES6_15HIP_vector_typeIjLj2EENS0_17counting_iteratorIjlEEPS9_SG_NS0_5tupleIJPjSI_NS0_16reverse_iteratorISI_EEEEENSH_IJSG_SG_SG_EEES9_SI_JZNS1_25segmented_radix_sort_implINS0_14default_configELb1EPKaPaPKlPlN2at6native12_GLOBAL__N_18offset_tEEE10hipError_tPvRmT1_PNSt15iterator_traitsIS12_E10value_typeET2_T3_PNS13_IS18_E10value_typeET4_jRbjT5_S1E_jjP12ihipStream_tbEUljE_ZNSN_ISO_Lb1ESQ_SR_ST_SU_SY_EESZ_S10_S11_S12_S16_S17_S18_S1B_S1C_jS1D_jS1E_S1E_jjS1G_bEUljE0_EEESZ_S10_S11_S18_S1C_S1E_T6_T7_T9_mT8_S1G_bDpT10_ENKUlT_T0_E_clISt17integral_constantIbLb0EES1T_IbLb1EEEEDaS1P_S1Q_EUlS1P_E_NS1_11comp_targetILNS1_3genE5ELNS1_11target_archE942ELNS1_3gpuE9ELNS1_3repE0EEENS1_30default_config_static_selectorELNS0_4arch9wavefront6targetE0EEEvS12_, .Lfunc_end251-_ZN7rocprim17ROCPRIM_400000_NS6detail17trampoline_kernelINS0_13select_configILj256ELj13ELNS0_17block_load_methodE3ELS4_3ELS4_3ELNS0_20block_scan_algorithmE0ELj4294967295EEENS1_25partition_config_selectorILNS1_17partition_subalgoE4EjNS0_10empty_typeEbEEZZNS1_14partition_implILS8_4ELb0ES6_15HIP_vector_typeIjLj2EENS0_17counting_iteratorIjlEEPS9_SG_NS0_5tupleIJPjSI_NS0_16reverse_iteratorISI_EEEEENSH_IJSG_SG_SG_EEES9_SI_JZNS1_25segmented_radix_sort_implINS0_14default_configELb1EPKaPaPKlPlN2at6native12_GLOBAL__N_18offset_tEEE10hipError_tPvRmT1_PNSt15iterator_traitsIS12_E10value_typeET2_T3_PNS13_IS18_E10value_typeET4_jRbjT5_S1E_jjP12ihipStream_tbEUljE_ZNSN_ISO_Lb1ESQ_SR_ST_SU_SY_EESZ_S10_S11_S12_S16_S17_S18_S1B_S1C_jS1D_jS1E_S1E_jjS1G_bEUljE0_EEESZ_S10_S11_S18_S1C_S1E_T6_T7_T9_mT8_S1G_bDpT10_ENKUlT_T0_E_clISt17integral_constantIbLb0EES1T_IbLb1EEEEDaS1P_S1Q_EUlS1P_E_NS1_11comp_targetILNS1_3genE5ELNS1_11target_archE942ELNS1_3gpuE9ELNS1_3repE0EEENS1_30default_config_static_selectorELNS0_4arch9wavefront6targetE0EEEvS12_
                                        ; -- End function
	.section	.AMDGPU.csdata,"",@progbits
; Kernel info:
; codeLenInByte = 0
; NumSgprs: 0
; NumVgprs: 0
; ScratchSize: 0
; MemoryBound: 0
; FloatMode: 240
; IeeeMode: 1
; LDSByteSize: 0 bytes/workgroup (compile time only)
; SGPRBlocks: 0
; VGPRBlocks: 0
; NumSGPRsForWavesPerEU: 1
; NumVGPRsForWavesPerEU: 1
; Occupancy: 16
; WaveLimiterHint : 0
; COMPUTE_PGM_RSRC2:SCRATCH_EN: 0
; COMPUTE_PGM_RSRC2:USER_SGPR: 15
; COMPUTE_PGM_RSRC2:TRAP_HANDLER: 0
; COMPUTE_PGM_RSRC2:TGID_X_EN: 1
; COMPUTE_PGM_RSRC2:TGID_Y_EN: 0
; COMPUTE_PGM_RSRC2:TGID_Z_EN: 0
; COMPUTE_PGM_RSRC2:TIDIG_COMP_CNT: 0
	.section	.text._ZN7rocprim17ROCPRIM_400000_NS6detail17trampoline_kernelINS0_13select_configILj256ELj13ELNS0_17block_load_methodE3ELS4_3ELS4_3ELNS0_20block_scan_algorithmE0ELj4294967295EEENS1_25partition_config_selectorILNS1_17partition_subalgoE4EjNS0_10empty_typeEbEEZZNS1_14partition_implILS8_4ELb0ES6_15HIP_vector_typeIjLj2EENS0_17counting_iteratorIjlEEPS9_SG_NS0_5tupleIJPjSI_NS0_16reverse_iteratorISI_EEEEENSH_IJSG_SG_SG_EEES9_SI_JZNS1_25segmented_radix_sort_implINS0_14default_configELb1EPKaPaPKlPlN2at6native12_GLOBAL__N_18offset_tEEE10hipError_tPvRmT1_PNSt15iterator_traitsIS12_E10value_typeET2_T3_PNS13_IS18_E10value_typeET4_jRbjT5_S1E_jjP12ihipStream_tbEUljE_ZNSN_ISO_Lb1ESQ_SR_ST_SU_SY_EESZ_S10_S11_S12_S16_S17_S18_S1B_S1C_jS1D_jS1E_S1E_jjS1G_bEUljE0_EEESZ_S10_S11_S18_S1C_S1E_T6_T7_T9_mT8_S1G_bDpT10_ENKUlT_T0_E_clISt17integral_constantIbLb0EES1T_IbLb1EEEEDaS1P_S1Q_EUlS1P_E_NS1_11comp_targetILNS1_3genE4ELNS1_11target_archE910ELNS1_3gpuE8ELNS1_3repE0EEENS1_30default_config_static_selectorELNS0_4arch9wavefront6targetE0EEEvS12_,"axG",@progbits,_ZN7rocprim17ROCPRIM_400000_NS6detail17trampoline_kernelINS0_13select_configILj256ELj13ELNS0_17block_load_methodE3ELS4_3ELS4_3ELNS0_20block_scan_algorithmE0ELj4294967295EEENS1_25partition_config_selectorILNS1_17partition_subalgoE4EjNS0_10empty_typeEbEEZZNS1_14partition_implILS8_4ELb0ES6_15HIP_vector_typeIjLj2EENS0_17counting_iteratorIjlEEPS9_SG_NS0_5tupleIJPjSI_NS0_16reverse_iteratorISI_EEEEENSH_IJSG_SG_SG_EEES9_SI_JZNS1_25segmented_radix_sort_implINS0_14default_configELb1EPKaPaPKlPlN2at6native12_GLOBAL__N_18offset_tEEE10hipError_tPvRmT1_PNSt15iterator_traitsIS12_E10value_typeET2_T3_PNS13_IS18_E10value_typeET4_jRbjT5_S1E_jjP12ihipStream_tbEUljE_ZNSN_ISO_Lb1ESQ_SR_ST_SU_SY_EESZ_S10_S11_S12_S16_S17_S18_S1B_S1C_jS1D_jS1E_S1E_jjS1G_bEUljE0_EEESZ_S10_S11_S18_S1C_S1E_T6_T7_T9_mT8_S1G_bDpT10_ENKUlT_T0_E_clISt17integral_constantIbLb0EES1T_IbLb1EEEEDaS1P_S1Q_EUlS1P_E_NS1_11comp_targetILNS1_3genE4ELNS1_11target_archE910ELNS1_3gpuE8ELNS1_3repE0EEENS1_30default_config_static_selectorELNS0_4arch9wavefront6targetE0EEEvS12_,comdat
	.globl	_ZN7rocprim17ROCPRIM_400000_NS6detail17trampoline_kernelINS0_13select_configILj256ELj13ELNS0_17block_load_methodE3ELS4_3ELS4_3ELNS0_20block_scan_algorithmE0ELj4294967295EEENS1_25partition_config_selectorILNS1_17partition_subalgoE4EjNS0_10empty_typeEbEEZZNS1_14partition_implILS8_4ELb0ES6_15HIP_vector_typeIjLj2EENS0_17counting_iteratorIjlEEPS9_SG_NS0_5tupleIJPjSI_NS0_16reverse_iteratorISI_EEEEENSH_IJSG_SG_SG_EEES9_SI_JZNS1_25segmented_radix_sort_implINS0_14default_configELb1EPKaPaPKlPlN2at6native12_GLOBAL__N_18offset_tEEE10hipError_tPvRmT1_PNSt15iterator_traitsIS12_E10value_typeET2_T3_PNS13_IS18_E10value_typeET4_jRbjT5_S1E_jjP12ihipStream_tbEUljE_ZNSN_ISO_Lb1ESQ_SR_ST_SU_SY_EESZ_S10_S11_S12_S16_S17_S18_S1B_S1C_jS1D_jS1E_S1E_jjS1G_bEUljE0_EEESZ_S10_S11_S18_S1C_S1E_T6_T7_T9_mT8_S1G_bDpT10_ENKUlT_T0_E_clISt17integral_constantIbLb0EES1T_IbLb1EEEEDaS1P_S1Q_EUlS1P_E_NS1_11comp_targetILNS1_3genE4ELNS1_11target_archE910ELNS1_3gpuE8ELNS1_3repE0EEENS1_30default_config_static_selectorELNS0_4arch9wavefront6targetE0EEEvS12_ ; -- Begin function _ZN7rocprim17ROCPRIM_400000_NS6detail17trampoline_kernelINS0_13select_configILj256ELj13ELNS0_17block_load_methodE3ELS4_3ELS4_3ELNS0_20block_scan_algorithmE0ELj4294967295EEENS1_25partition_config_selectorILNS1_17partition_subalgoE4EjNS0_10empty_typeEbEEZZNS1_14partition_implILS8_4ELb0ES6_15HIP_vector_typeIjLj2EENS0_17counting_iteratorIjlEEPS9_SG_NS0_5tupleIJPjSI_NS0_16reverse_iteratorISI_EEEEENSH_IJSG_SG_SG_EEES9_SI_JZNS1_25segmented_radix_sort_implINS0_14default_configELb1EPKaPaPKlPlN2at6native12_GLOBAL__N_18offset_tEEE10hipError_tPvRmT1_PNSt15iterator_traitsIS12_E10value_typeET2_T3_PNS13_IS18_E10value_typeET4_jRbjT5_S1E_jjP12ihipStream_tbEUljE_ZNSN_ISO_Lb1ESQ_SR_ST_SU_SY_EESZ_S10_S11_S12_S16_S17_S18_S1B_S1C_jS1D_jS1E_S1E_jjS1G_bEUljE0_EEESZ_S10_S11_S18_S1C_S1E_T6_T7_T9_mT8_S1G_bDpT10_ENKUlT_T0_E_clISt17integral_constantIbLb0EES1T_IbLb1EEEEDaS1P_S1Q_EUlS1P_E_NS1_11comp_targetILNS1_3genE4ELNS1_11target_archE910ELNS1_3gpuE8ELNS1_3repE0EEENS1_30default_config_static_selectorELNS0_4arch9wavefront6targetE0EEEvS12_
	.p2align	8
	.type	_ZN7rocprim17ROCPRIM_400000_NS6detail17trampoline_kernelINS0_13select_configILj256ELj13ELNS0_17block_load_methodE3ELS4_3ELS4_3ELNS0_20block_scan_algorithmE0ELj4294967295EEENS1_25partition_config_selectorILNS1_17partition_subalgoE4EjNS0_10empty_typeEbEEZZNS1_14partition_implILS8_4ELb0ES6_15HIP_vector_typeIjLj2EENS0_17counting_iteratorIjlEEPS9_SG_NS0_5tupleIJPjSI_NS0_16reverse_iteratorISI_EEEEENSH_IJSG_SG_SG_EEES9_SI_JZNS1_25segmented_radix_sort_implINS0_14default_configELb1EPKaPaPKlPlN2at6native12_GLOBAL__N_18offset_tEEE10hipError_tPvRmT1_PNSt15iterator_traitsIS12_E10value_typeET2_T3_PNS13_IS18_E10value_typeET4_jRbjT5_S1E_jjP12ihipStream_tbEUljE_ZNSN_ISO_Lb1ESQ_SR_ST_SU_SY_EESZ_S10_S11_S12_S16_S17_S18_S1B_S1C_jS1D_jS1E_S1E_jjS1G_bEUljE0_EEESZ_S10_S11_S18_S1C_S1E_T6_T7_T9_mT8_S1G_bDpT10_ENKUlT_T0_E_clISt17integral_constantIbLb0EES1T_IbLb1EEEEDaS1P_S1Q_EUlS1P_E_NS1_11comp_targetILNS1_3genE4ELNS1_11target_archE910ELNS1_3gpuE8ELNS1_3repE0EEENS1_30default_config_static_selectorELNS0_4arch9wavefront6targetE0EEEvS12_,@function
_ZN7rocprim17ROCPRIM_400000_NS6detail17trampoline_kernelINS0_13select_configILj256ELj13ELNS0_17block_load_methodE3ELS4_3ELS4_3ELNS0_20block_scan_algorithmE0ELj4294967295EEENS1_25partition_config_selectorILNS1_17partition_subalgoE4EjNS0_10empty_typeEbEEZZNS1_14partition_implILS8_4ELb0ES6_15HIP_vector_typeIjLj2EENS0_17counting_iteratorIjlEEPS9_SG_NS0_5tupleIJPjSI_NS0_16reverse_iteratorISI_EEEEENSH_IJSG_SG_SG_EEES9_SI_JZNS1_25segmented_radix_sort_implINS0_14default_configELb1EPKaPaPKlPlN2at6native12_GLOBAL__N_18offset_tEEE10hipError_tPvRmT1_PNSt15iterator_traitsIS12_E10value_typeET2_T3_PNS13_IS18_E10value_typeET4_jRbjT5_S1E_jjP12ihipStream_tbEUljE_ZNSN_ISO_Lb1ESQ_SR_ST_SU_SY_EESZ_S10_S11_S12_S16_S17_S18_S1B_S1C_jS1D_jS1E_S1E_jjS1G_bEUljE0_EEESZ_S10_S11_S18_S1C_S1E_T6_T7_T9_mT8_S1G_bDpT10_ENKUlT_T0_E_clISt17integral_constantIbLb0EES1T_IbLb1EEEEDaS1P_S1Q_EUlS1P_E_NS1_11comp_targetILNS1_3genE4ELNS1_11target_archE910ELNS1_3gpuE8ELNS1_3repE0EEENS1_30default_config_static_selectorELNS0_4arch9wavefront6targetE0EEEvS12_: ; @_ZN7rocprim17ROCPRIM_400000_NS6detail17trampoline_kernelINS0_13select_configILj256ELj13ELNS0_17block_load_methodE3ELS4_3ELS4_3ELNS0_20block_scan_algorithmE0ELj4294967295EEENS1_25partition_config_selectorILNS1_17partition_subalgoE4EjNS0_10empty_typeEbEEZZNS1_14partition_implILS8_4ELb0ES6_15HIP_vector_typeIjLj2EENS0_17counting_iteratorIjlEEPS9_SG_NS0_5tupleIJPjSI_NS0_16reverse_iteratorISI_EEEEENSH_IJSG_SG_SG_EEES9_SI_JZNS1_25segmented_radix_sort_implINS0_14default_configELb1EPKaPaPKlPlN2at6native12_GLOBAL__N_18offset_tEEE10hipError_tPvRmT1_PNSt15iterator_traitsIS12_E10value_typeET2_T3_PNS13_IS18_E10value_typeET4_jRbjT5_S1E_jjP12ihipStream_tbEUljE_ZNSN_ISO_Lb1ESQ_SR_ST_SU_SY_EESZ_S10_S11_S12_S16_S17_S18_S1B_S1C_jS1D_jS1E_S1E_jjS1G_bEUljE0_EEESZ_S10_S11_S18_S1C_S1E_T6_T7_T9_mT8_S1G_bDpT10_ENKUlT_T0_E_clISt17integral_constantIbLb0EES1T_IbLb1EEEEDaS1P_S1Q_EUlS1P_E_NS1_11comp_targetILNS1_3genE4ELNS1_11target_archE910ELNS1_3gpuE8ELNS1_3repE0EEENS1_30default_config_static_selectorELNS0_4arch9wavefront6targetE0EEEvS12_
; %bb.0:
	.section	.rodata,"a",@progbits
	.p2align	6, 0x0
	.amdhsa_kernel _ZN7rocprim17ROCPRIM_400000_NS6detail17trampoline_kernelINS0_13select_configILj256ELj13ELNS0_17block_load_methodE3ELS4_3ELS4_3ELNS0_20block_scan_algorithmE0ELj4294967295EEENS1_25partition_config_selectorILNS1_17partition_subalgoE4EjNS0_10empty_typeEbEEZZNS1_14partition_implILS8_4ELb0ES6_15HIP_vector_typeIjLj2EENS0_17counting_iteratorIjlEEPS9_SG_NS0_5tupleIJPjSI_NS0_16reverse_iteratorISI_EEEEENSH_IJSG_SG_SG_EEES9_SI_JZNS1_25segmented_radix_sort_implINS0_14default_configELb1EPKaPaPKlPlN2at6native12_GLOBAL__N_18offset_tEEE10hipError_tPvRmT1_PNSt15iterator_traitsIS12_E10value_typeET2_T3_PNS13_IS18_E10value_typeET4_jRbjT5_S1E_jjP12ihipStream_tbEUljE_ZNSN_ISO_Lb1ESQ_SR_ST_SU_SY_EESZ_S10_S11_S12_S16_S17_S18_S1B_S1C_jS1D_jS1E_S1E_jjS1G_bEUljE0_EEESZ_S10_S11_S18_S1C_S1E_T6_T7_T9_mT8_S1G_bDpT10_ENKUlT_T0_E_clISt17integral_constantIbLb0EES1T_IbLb1EEEEDaS1P_S1Q_EUlS1P_E_NS1_11comp_targetILNS1_3genE4ELNS1_11target_archE910ELNS1_3gpuE8ELNS1_3repE0EEENS1_30default_config_static_selectorELNS0_4arch9wavefront6targetE0EEEvS12_
		.amdhsa_group_segment_fixed_size 0
		.amdhsa_private_segment_fixed_size 0
		.amdhsa_kernarg_size 184
		.amdhsa_user_sgpr_count 15
		.amdhsa_user_sgpr_dispatch_ptr 0
		.amdhsa_user_sgpr_queue_ptr 0
		.amdhsa_user_sgpr_kernarg_segment_ptr 1
		.amdhsa_user_sgpr_dispatch_id 0
		.amdhsa_user_sgpr_private_segment_size 0
		.amdhsa_wavefront_size32 1
		.amdhsa_uses_dynamic_stack 0
		.amdhsa_enable_private_segment 0
		.amdhsa_system_sgpr_workgroup_id_x 1
		.amdhsa_system_sgpr_workgroup_id_y 0
		.amdhsa_system_sgpr_workgroup_id_z 0
		.amdhsa_system_sgpr_workgroup_info 0
		.amdhsa_system_vgpr_workitem_id 0
		.amdhsa_next_free_vgpr 1
		.amdhsa_next_free_sgpr 1
		.amdhsa_reserve_vcc 0
		.amdhsa_float_round_mode_32 0
		.amdhsa_float_round_mode_16_64 0
		.amdhsa_float_denorm_mode_32 3
		.amdhsa_float_denorm_mode_16_64 3
		.amdhsa_dx10_clamp 1
		.amdhsa_ieee_mode 1
		.amdhsa_fp16_overflow 0
		.amdhsa_workgroup_processor_mode 1
		.amdhsa_memory_ordered 1
		.amdhsa_forward_progress 0
		.amdhsa_shared_vgpr_count 0
		.amdhsa_exception_fp_ieee_invalid_op 0
		.amdhsa_exception_fp_denorm_src 0
		.amdhsa_exception_fp_ieee_div_zero 0
		.amdhsa_exception_fp_ieee_overflow 0
		.amdhsa_exception_fp_ieee_underflow 0
		.amdhsa_exception_fp_ieee_inexact 0
		.amdhsa_exception_int_div_zero 0
	.end_amdhsa_kernel
	.section	.text._ZN7rocprim17ROCPRIM_400000_NS6detail17trampoline_kernelINS0_13select_configILj256ELj13ELNS0_17block_load_methodE3ELS4_3ELS4_3ELNS0_20block_scan_algorithmE0ELj4294967295EEENS1_25partition_config_selectorILNS1_17partition_subalgoE4EjNS0_10empty_typeEbEEZZNS1_14partition_implILS8_4ELb0ES6_15HIP_vector_typeIjLj2EENS0_17counting_iteratorIjlEEPS9_SG_NS0_5tupleIJPjSI_NS0_16reverse_iteratorISI_EEEEENSH_IJSG_SG_SG_EEES9_SI_JZNS1_25segmented_radix_sort_implINS0_14default_configELb1EPKaPaPKlPlN2at6native12_GLOBAL__N_18offset_tEEE10hipError_tPvRmT1_PNSt15iterator_traitsIS12_E10value_typeET2_T3_PNS13_IS18_E10value_typeET4_jRbjT5_S1E_jjP12ihipStream_tbEUljE_ZNSN_ISO_Lb1ESQ_SR_ST_SU_SY_EESZ_S10_S11_S12_S16_S17_S18_S1B_S1C_jS1D_jS1E_S1E_jjS1G_bEUljE0_EEESZ_S10_S11_S18_S1C_S1E_T6_T7_T9_mT8_S1G_bDpT10_ENKUlT_T0_E_clISt17integral_constantIbLb0EES1T_IbLb1EEEEDaS1P_S1Q_EUlS1P_E_NS1_11comp_targetILNS1_3genE4ELNS1_11target_archE910ELNS1_3gpuE8ELNS1_3repE0EEENS1_30default_config_static_selectorELNS0_4arch9wavefront6targetE0EEEvS12_,"axG",@progbits,_ZN7rocprim17ROCPRIM_400000_NS6detail17trampoline_kernelINS0_13select_configILj256ELj13ELNS0_17block_load_methodE3ELS4_3ELS4_3ELNS0_20block_scan_algorithmE0ELj4294967295EEENS1_25partition_config_selectorILNS1_17partition_subalgoE4EjNS0_10empty_typeEbEEZZNS1_14partition_implILS8_4ELb0ES6_15HIP_vector_typeIjLj2EENS0_17counting_iteratorIjlEEPS9_SG_NS0_5tupleIJPjSI_NS0_16reverse_iteratorISI_EEEEENSH_IJSG_SG_SG_EEES9_SI_JZNS1_25segmented_radix_sort_implINS0_14default_configELb1EPKaPaPKlPlN2at6native12_GLOBAL__N_18offset_tEEE10hipError_tPvRmT1_PNSt15iterator_traitsIS12_E10value_typeET2_T3_PNS13_IS18_E10value_typeET4_jRbjT5_S1E_jjP12ihipStream_tbEUljE_ZNSN_ISO_Lb1ESQ_SR_ST_SU_SY_EESZ_S10_S11_S12_S16_S17_S18_S1B_S1C_jS1D_jS1E_S1E_jjS1G_bEUljE0_EEESZ_S10_S11_S18_S1C_S1E_T6_T7_T9_mT8_S1G_bDpT10_ENKUlT_T0_E_clISt17integral_constantIbLb0EES1T_IbLb1EEEEDaS1P_S1Q_EUlS1P_E_NS1_11comp_targetILNS1_3genE4ELNS1_11target_archE910ELNS1_3gpuE8ELNS1_3repE0EEENS1_30default_config_static_selectorELNS0_4arch9wavefront6targetE0EEEvS12_,comdat
.Lfunc_end252:
	.size	_ZN7rocprim17ROCPRIM_400000_NS6detail17trampoline_kernelINS0_13select_configILj256ELj13ELNS0_17block_load_methodE3ELS4_3ELS4_3ELNS0_20block_scan_algorithmE0ELj4294967295EEENS1_25partition_config_selectorILNS1_17partition_subalgoE4EjNS0_10empty_typeEbEEZZNS1_14partition_implILS8_4ELb0ES6_15HIP_vector_typeIjLj2EENS0_17counting_iteratorIjlEEPS9_SG_NS0_5tupleIJPjSI_NS0_16reverse_iteratorISI_EEEEENSH_IJSG_SG_SG_EEES9_SI_JZNS1_25segmented_radix_sort_implINS0_14default_configELb1EPKaPaPKlPlN2at6native12_GLOBAL__N_18offset_tEEE10hipError_tPvRmT1_PNSt15iterator_traitsIS12_E10value_typeET2_T3_PNS13_IS18_E10value_typeET4_jRbjT5_S1E_jjP12ihipStream_tbEUljE_ZNSN_ISO_Lb1ESQ_SR_ST_SU_SY_EESZ_S10_S11_S12_S16_S17_S18_S1B_S1C_jS1D_jS1E_S1E_jjS1G_bEUljE0_EEESZ_S10_S11_S18_S1C_S1E_T6_T7_T9_mT8_S1G_bDpT10_ENKUlT_T0_E_clISt17integral_constantIbLb0EES1T_IbLb1EEEEDaS1P_S1Q_EUlS1P_E_NS1_11comp_targetILNS1_3genE4ELNS1_11target_archE910ELNS1_3gpuE8ELNS1_3repE0EEENS1_30default_config_static_selectorELNS0_4arch9wavefront6targetE0EEEvS12_, .Lfunc_end252-_ZN7rocprim17ROCPRIM_400000_NS6detail17trampoline_kernelINS0_13select_configILj256ELj13ELNS0_17block_load_methodE3ELS4_3ELS4_3ELNS0_20block_scan_algorithmE0ELj4294967295EEENS1_25partition_config_selectorILNS1_17partition_subalgoE4EjNS0_10empty_typeEbEEZZNS1_14partition_implILS8_4ELb0ES6_15HIP_vector_typeIjLj2EENS0_17counting_iteratorIjlEEPS9_SG_NS0_5tupleIJPjSI_NS0_16reverse_iteratorISI_EEEEENSH_IJSG_SG_SG_EEES9_SI_JZNS1_25segmented_radix_sort_implINS0_14default_configELb1EPKaPaPKlPlN2at6native12_GLOBAL__N_18offset_tEEE10hipError_tPvRmT1_PNSt15iterator_traitsIS12_E10value_typeET2_T3_PNS13_IS18_E10value_typeET4_jRbjT5_S1E_jjP12ihipStream_tbEUljE_ZNSN_ISO_Lb1ESQ_SR_ST_SU_SY_EESZ_S10_S11_S12_S16_S17_S18_S1B_S1C_jS1D_jS1E_S1E_jjS1G_bEUljE0_EEESZ_S10_S11_S18_S1C_S1E_T6_T7_T9_mT8_S1G_bDpT10_ENKUlT_T0_E_clISt17integral_constantIbLb0EES1T_IbLb1EEEEDaS1P_S1Q_EUlS1P_E_NS1_11comp_targetILNS1_3genE4ELNS1_11target_archE910ELNS1_3gpuE8ELNS1_3repE0EEENS1_30default_config_static_selectorELNS0_4arch9wavefront6targetE0EEEvS12_
                                        ; -- End function
	.section	.AMDGPU.csdata,"",@progbits
; Kernel info:
; codeLenInByte = 0
; NumSgprs: 0
; NumVgprs: 0
; ScratchSize: 0
; MemoryBound: 0
; FloatMode: 240
; IeeeMode: 1
; LDSByteSize: 0 bytes/workgroup (compile time only)
; SGPRBlocks: 0
; VGPRBlocks: 0
; NumSGPRsForWavesPerEU: 1
; NumVGPRsForWavesPerEU: 1
; Occupancy: 16
; WaveLimiterHint : 0
; COMPUTE_PGM_RSRC2:SCRATCH_EN: 0
; COMPUTE_PGM_RSRC2:USER_SGPR: 15
; COMPUTE_PGM_RSRC2:TRAP_HANDLER: 0
; COMPUTE_PGM_RSRC2:TGID_X_EN: 1
; COMPUTE_PGM_RSRC2:TGID_Y_EN: 0
; COMPUTE_PGM_RSRC2:TGID_Z_EN: 0
; COMPUTE_PGM_RSRC2:TIDIG_COMP_CNT: 0
	.section	.text._ZN7rocprim17ROCPRIM_400000_NS6detail17trampoline_kernelINS0_13select_configILj256ELj13ELNS0_17block_load_methodE3ELS4_3ELS4_3ELNS0_20block_scan_algorithmE0ELj4294967295EEENS1_25partition_config_selectorILNS1_17partition_subalgoE4EjNS0_10empty_typeEbEEZZNS1_14partition_implILS8_4ELb0ES6_15HIP_vector_typeIjLj2EENS0_17counting_iteratorIjlEEPS9_SG_NS0_5tupleIJPjSI_NS0_16reverse_iteratorISI_EEEEENSH_IJSG_SG_SG_EEES9_SI_JZNS1_25segmented_radix_sort_implINS0_14default_configELb1EPKaPaPKlPlN2at6native12_GLOBAL__N_18offset_tEEE10hipError_tPvRmT1_PNSt15iterator_traitsIS12_E10value_typeET2_T3_PNS13_IS18_E10value_typeET4_jRbjT5_S1E_jjP12ihipStream_tbEUljE_ZNSN_ISO_Lb1ESQ_SR_ST_SU_SY_EESZ_S10_S11_S12_S16_S17_S18_S1B_S1C_jS1D_jS1E_S1E_jjS1G_bEUljE0_EEESZ_S10_S11_S18_S1C_S1E_T6_T7_T9_mT8_S1G_bDpT10_ENKUlT_T0_E_clISt17integral_constantIbLb0EES1T_IbLb1EEEEDaS1P_S1Q_EUlS1P_E_NS1_11comp_targetILNS1_3genE3ELNS1_11target_archE908ELNS1_3gpuE7ELNS1_3repE0EEENS1_30default_config_static_selectorELNS0_4arch9wavefront6targetE0EEEvS12_,"axG",@progbits,_ZN7rocprim17ROCPRIM_400000_NS6detail17trampoline_kernelINS0_13select_configILj256ELj13ELNS0_17block_load_methodE3ELS4_3ELS4_3ELNS0_20block_scan_algorithmE0ELj4294967295EEENS1_25partition_config_selectorILNS1_17partition_subalgoE4EjNS0_10empty_typeEbEEZZNS1_14partition_implILS8_4ELb0ES6_15HIP_vector_typeIjLj2EENS0_17counting_iteratorIjlEEPS9_SG_NS0_5tupleIJPjSI_NS0_16reverse_iteratorISI_EEEEENSH_IJSG_SG_SG_EEES9_SI_JZNS1_25segmented_radix_sort_implINS0_14default_configELb1EPKaPaPKlPlN2at6native12_GLOBAL__N_18offset_tEEE10hipError_tPvRmT1_PNSt15iterator_traitsIS12_E10value_typeET2_T3_PNS13_IS18_E10value_typeET4_jRbjT5_S1E_jjP12ihipStream_tbEUljE_ZNSN_ISO_Lb1ESQ_SR_ST_SU_SY_EESZ_S10_S11_S12_S16_S17_S18_S1B_S1C_jS1D_jS1E_S1E_jjS1G_bEUljE0_EEESZ_S10_S11_S18_S1C_S1E_T6_T7_T9_mT8_S1G_bDpT10_ENKUlT_T0_E_clISt17integral_constantIbLb0EES1T_IbLb1EEEEDaS1P_S1Q_EUlS1P_E_NS1_11comp_targetILNS1_3genE3ELNS1_11target_archE908ELNS1_3gpuE7ELNS1_3repE0EEENS1_30default_config_static_selectorELNS0_4arch9wavefront6targetE0EEEvS12_,comdat
	.globl	_ZN7rocprim17ROCPRIM_400000_NS6detail17trampoline_kernelINS0_13select_configILj256ELj13ELNS0_17block_load_methodE3ELS4_3ELS4_3ELNS0_20block_scan_algorithmE0ELj4294967295EEENS1_25partition_config_selectorILNS1_17partition_subalgoE4EjNS0_10empty_typeEbEEZZNS1_14partition_implILS8_4ELb0ES6_15HIP_vector_typeIjLj2EENS0_17counting_iteratorIjlEEPS9_SG_NS0_5tupleIJPjSI_NS0_16reverse_iteratorISI_EEEEENSH_IJSG_SG_SG_EEES9_SI_JZNS1_25segmented_radix_sort_implINS0_14default_configELb1EPKaPaPKlPlN2at6native12_GLOBAL__N_18offset_tEEE10hipError_tPvRmT1_PNSt15iterator_traitsIS12_E10value_typeET2_T3_PNS13_IS18_E10value_typeET4_jRbjT5_S1E_jjP12ihipStream_tbEUljE_ZNSN_ISO_Lb1ESQ_SR_ST_SU_SY_EESZ_S10_S11_S12_S16_S17_S18_S1B_S1C_jS1D_jS1E_S1E_jjS1G_bEUljE0_EEESZ_S10_S11_S18_S1C_S1E_T6_T7_T9_mT8_S1G_bDpT10_ENKUlT_T0_E_clISt17integral_constantIbLb0EES1T_IbLb1EEEEDaS1P_S1Q_EUlS1P_E_NS1_11comp_targetILNS1_3genE3ELNS1_11target_archE908ELNS1_3gpuE7ELNS1_3repE0EEENS1_30default_config_static_selectorELNS0_4arch9wavefront6targetE0EEEvS12_ ; -- Begin function _ZN7rocprim17ROCPRIM_400000_NS6detail17trampoline_kernelINS0_13select_configILj256ELj13ELNS0_17block_load_methodE3ELS4_3ELS4_3ELNS0_20block_scan_algorithmE0ELj4294967295EEENS1_25partition_config_selectorILNS1_17partition_subalgoE4EjNS0_10empty_typeEbEEZZNS1_14partition_implILS8_4ELb0ES6_15HIP_vector_typeIjLj2EENS0_17counting_iteratorIjlEEPS9_SG_NS0_5tupleIJPjSI_NS0_16reverse_iteratorISI_EEEEENSH_IJSG_SG_SG_EEES9_SI_JZNS1_25segmented_radix_sort_implINS0_14default_configELb1EPKaPaPKlPlN2at6native12_GLOBAL__N_18offset_tEEE10hipError_tPvRmT1_PNSt15iterator_traitsIS12_E10value_typeET2_T3_PNS13_IS18_E10value_typeET4_jRbjT5_S1E_jjP12ihipStream_tbEUljE_ZNSN_ISO_Lb1ESQ_SR_ST_SU_SY_EESZ_S10_S11_S12_S16_S17_S18_S1B_S1C_jS1D_jS1E_S1E_jjS1G_bEUljE0_EEESZ_S10_S11_S18_S1C_S1E_T6_T7_T9_mT8_S1G_bDpT10_ENKUlT_T0_E_clISt17integral_constantIbLb0EES1T_IbLb1EEEEDaS1P_S1Q_EUlS1P_E_NS1_11comp_targetILNS1_3genE3ELNS1_11target_archE908ELNS1_3gpuE7ELNS1_3repE0EEENS1_30default_config_static_selectorELNS0_4arch9wavefront6targetE0EEEvS12_
	.p2align	8
	.type	_ZN7rocprim17ROCPRIM_400000_NS6detail17trampoline_kernelINS0_13select_configILj256ELj13ELNS0_17block_load_methodE3ELS4_3ELS4_3ELNS0_20block_scan_algorithmE0ELj4294967295EEENS1_25partition_config_selectorILNS1_17partition_subalgoE4EjNS0_10empty_typeEbEEZZNS1_14partition_implILS8_4ELb0ES6_15HIP_vector_typeIjLj2EENS0_17counting_iteratorIjlEEPS9_SG_NS0_5tupleIJPjSI_NS0_16reverse_iteratorISI_EEEEENSH_IJSG_SG_SG_EEES9_SI_JZNS1_25segmented_radix_sort_implINS0_14default_configELb1EPKaPaPKlPlN2at6native12_GLOBAL__N_18offset_tEEE10hipError_tPvRmT1_PNSt15iterator_traitsIS12_E10value_typeET2_T3_PNS13_IS18_E10value_typeET4_jRbjT5_S1E_jjP12ihipStream_tbEUljE_ZNSN_ISO_Lb1ESQ_SR_ST_SU_SY_EESZ_S10_S11_S12_S16_S17_S18_S1B_S1C_jS1D_jS1E_S1E_jjS1G_bEUljE0_EEESZ_S10_S11_S18_S1C_S1E_T6_T7_T9_mT8_S1G_bDpT10_ENKUlT_T0_E_clISt17integral_constantIbLb0EES1T_IbLb1EEEEDaS1P_S1Q_EUlS1P_E_NS1_11comp_targetILNS1_3genE3ELNS1_11target_archE908ELNS1_3gpuE7ELNS1_3repE0EEENS1_30default_config_static_selectorELNS0_4arch9wavefront6targetE0EEEvS12_,@function
_ZN7rocprim17ROCPRIM_400000_NS6detail17trampoline_kernelINS0_13select_configILj256ELj13ELNS0_17block_load_methodE3ELS4_3ELS4_3ELNS0_20block_scan_algorithmE0ELj4294967295EEENS1_25partition_config_selectorILNS1_17partition_subalgoE4EjNS0_10empty_typeEbEEZZNS1_14partition_implILS8_4ELb0ES6_15HIP_vector_typeIjLj2EENS0_17counting_iteratorIjlEEPS9_SG_NS0_5tupleIJPjSI_NS0_16reverse_iteratorISI_EEEEENSH_IJSG_SG_SG_EEES9_SI_JZNS1_25segmented_radix_sort_implINS0_14default_configELb1EPKaPaPKlPlN2at6native12_GLOBAL__N_18offset_tEEE10hipError_tPvRmT1_PNSt15iterator_traitsIS12_E10value_typeET2_T3_PNS13_IS18_E10value_typeET4_jRbjT5_S1E_jjP12ihipStream_tbEUljE_ZNSN_ISO_Lb1ESQ_SR_ST_SU_SY_EESZ_S10_S11_S12_S16_S17_S18_S1B_S1C_jS1D_jS1E_S1E_jjS1G_bEUljE0_EEESZ_S10_S11_S18_S1C_S1E_T6_T7_T9_mT8_S1G_bDpT10_ENKUlT_T0_E_clISt17integral_constantIbLb0EES1T_IbLb1EEEEDaS1P_S1Q_EUlS1P_E_NS1_11comp_targetILNS1_3genE3ELNS1_11target_archE908ELNS1_3gpuE7ELNS1_3repE0EEENS1_30default_config_static_selectorELNS0_4arch9wavefront6targetE0EEEvS12_: ; @_ZN7rocprim17ROCPRIM_400000_NS6detail17trampoline_kernelINS0_13select_configILj256ELj13ELNS0_17block_load_methodE3ELS4_3ELS4_3ELNS0_20block_scan_algorithmE0ELj4294967295EEENS1_25partition_config_selectorILNS1_17partition_subalgoE4EjNS0_10empty_typeEbEEZZNS1_14partition_implILS8_4ELb0ES6_15HIP_vector_typeIjLj2EENS0_17counting_iteratorIjlEEPS9_SG_NS0_5tupleIJPjSI_NS0_16reverse_iteratorISI_EEEEENSH_IJSG_SG_SG_EEES9_SI_JZNS1_25segmented_radix_sort_implINS0_14default_configELb1EPKaPaPKlPlN2at6native12_GLOBAL__N_18offset_tEEE10hipError_tPvRmT1_PNSt15iterator_traitsIS12_E10value_typeET2_T3_PNS13_IS18_E10value_typeET4_jRbjT5_S1E_jjP12ihipStream_tbEUljE_ZNSN_ISO_Lb1ESQ_SR_ST_SU_SY_EESZ_S10_S11_S12_S16_S17_S18_S1B_S1C_jS1D_jS1E_S1E_jjS1G_bEUljE0_EEESZ_S10_S11_S18_S1C_S1E_T6_T7_T9_mT8_S1G_bDpT10_ENKUlT_T0_E_clISt17integral_constantIbLb0EES1T_IbLb1EEEEDaS1P_S1Q_EUlS1P_E_NS1_11comp_targetILNS1_3genE3ELNS1_11target_archE908ELNS1_3gpuE7ELNS1_3repE0EEENS1_30default_config_static_selectorELNS0_4arch9wavefront6targetE0EEEvS12_
; %bb.0:
	.section	.rodata,"a",@progbits
	.p2align	6, 0x0
	.amdhsa_kernel _ZN7rocprim17ROCPRIM_400000_NS6detail17trampoline_kernelINS0_13select_configILj256ELj13ELNS0_17block_load_methodE3ELS4_3ELS4_3ELNS0_20block_scan_algorithmE0ELj4294967295EEENS1_25partition_config_selectorILNS1_17partition_subalgoE4EjNS0_10empty_typeEbEEZZNS1_14partition_implILS8_4ELb0ES6_15HIP_vector_typeIjLj2EENS0_17counting_iteratorIjlEEPS9_SG_NS0_5tupleIJPjSI_NS0_16reverse_iteratorISI_EEEEENSH_IJSG_SG_SG_EEES9_SI_JZNS1_25segmented_radix_sort_implINS0_14default_configELb1EPKaPaPKlPlN2at6native12_GLOBAL__N_18offset_tEEE10hipError_tPvRmT1_PNSt15iterator_traitsIS12_E10value_typeET2_T3_PNS13_IS18_E10value_typeET4_jRbjT5_S1E_jjP12ihipStream_tbEUljE_ZNSN_ISO_Lb1ESQ_SR_ST_SU_SY_EESZ_S10_S11_S12_S16_S17_S18_S1B_S1C_jS1D_jS1E_S1E_jjS1G_bEUljE0_EEESZ_S10_S11_S18_S1C_S1E_T6_T7_T9_mT8_S1G_bDpT10_ENKUlT_T0_E_clISt17integral_constantIbLb0EES1T_IbLb1EEEEDaS1P_S1Q_EUlS1P_E_NS1_11comp_targetILNS1_3genE3ELNS1_11target_archE908ELNS1_3gpuE7ELNS1_3repE0EEENS1_30default_config_static_selectorELNS0_4arch9wavefront6targetE0EEEvS12_
		.amdhsa_group_segment_fixed_size 0
		.amdhsa_private_segment_fixed_size 0
		.amdhsa_kernarg_size 184
		.amdhsa_user_sgpr_count 15
		.amdhsa_user_sgpr_dispatch_ptr 0
		.amdhsa_user_sgpr_queue_ptr 0
		.amdhsa_user_sgpr_kernarg_segment_ptr 1
		.amdhsa_user_sgpr_dispatch_id 0
		.amdhsa_user_sgpr_private_segment_size 0
		.amdhsa_wavefront_size32 1
		.amdhsa_uses_dynamic_stack 0
		.amdhsa_enable_private_segment 0
		.amdhsa_system_sgpr_workgroup_id_x 1
		.amdhsa_system_sgpr_workgroup_id_y 0
		.amdhsa_system_sgpr_workgroup_id_z 0
		.amdhsa_system_sgpr_workgroup_info 0
		.amdhsa_system_vgpr_workitem_id 0
		.amdhsa_next_free_vgpr 1
		.amdhsa_next_free_sgpr 1
		.amdhsa_reserve_vcc 0
		.amdhsa_float_round_mode_32 0
		.amdhsa_float_round_mode_16_64 0
		.amdhsa_float_denorm_mode_32 3
		.amdhsa_float_denorm_mode_16_64 3
		.amdhsa_dx10_clamp 1
		.amdhsa_ieee_mode 1
		.amdhsa_fp16_overflow 0
		.amdhsa_workgroup_processor_mode 1
		.amdhsa_memory_ordered 1
		.amdhsa_forward_progress 0
		.amdhsa_shared_vgpr_count 0
		.amdhsa_exception_fp_ieee_invalid_op 0
		.amdhsa_exception_fp_denorm_src 0
		.amdhsa_exception_fp_ieee_div_zero 0
		.amdhsa_exception_fp_ieee_overflow 0
		.amdhsa_exception_fp_ieee_underflow 0
		.amdhsa_exception_fp_ieee_inexact 0
		.amdhsa_exception_int_div_zero 0
	.end_amdhsa_kernel
	.section	.text._ZN7rocprim17ROCPRIM_400000_NS6detail17trampoline_kernelINS0_13select_configILj256ELj13ELNS0_17block_load_methodE3ELS4_3ELS4_3ELNS0_20block_scan_algorithmE0ELj4294967295EEENS1_25partition_config_selectorILNS1_17partition_subalgoE4EjNS0_10empty_typeEbEEZZNS1_14partition_implILS8_4ELb0ES6_15HIP_vector_typeIjLj2EENS0_17counting_iteratorIjlEEPS9_SG_NS0_5tupleIJPjSI_NS0_16reverse_iteratorISI_EEEEENSH_IJSG_SG_SG_EEES9_SI_JZNS1_25segmented_radix_sort_implINS0_14default_configELb1EPKaPaPKlPlN2at6native12_GLOBAL__N_18offset_tEEE10hipError_tPvRmT1_PNSt15iterator_traitsIS12_E10value_typeET2_T3_PNS13_IS18_E10value_typeET4_jRbjT5_S1E_jjP12ihipStream_tbEUljE_ZNSN_ISO_Lb1ESQ_SR_ST_SU_SY_EESZ_S10_S11_S12_S16_S17_S18_S1B_S1C_jS1D_jS1E_S1E_jjS1G_bEUljE0_EEESZ_S10_S11_S18_S1C_S1E_T6_T7_T9_mT8_S1G_bDpT10_ENKUlT_T0_E_clISt17integral_constantIbLb0EES1T_IbLb1EEEEDaS1P_S1Q_EUlS1P_E_NS1_11comp_targetILNS1_3genE3ELNS1_11target_archE908ELNS1_3gpuE7ELNS1_3repE0EEENS1_30default_config_static_selectorELNS0_4arch9wavefront6targetE0EEEvS12_,"axG",@progbits,_ZN7rocprim17ROCPRIM_400000_NS6detail17trampoline_kernelINS0_13select_configILj256ELj13ELNS0_17block_load_methodE3ELS4_3ELS4_3ELNS0_20block_scan_algorithmE0ELj4294967295EEENS1_25partition_config_selectorILNS1_17partition_subalgoE4EjNS0_10empty_typeEbEEZZNS1_14partition_implILS8_4ELb0ES6_15HIP_vector_typeIjLj2EENS0_17counting_iteratorIjlEEPS9_SG_NS0_5tupleIJPjSI_NS0_16reverse_iteratorISI_EEEEENSH_IJSG_SG_SG_EEES9_SI_JZNS1_25segmented_radix_sort_implINS0_14default_configELb1EPKaPaPKlPlN2at6native12_GLOBAL__N_18offset_tEEE10hipError_tPvRmT1_PNSt15iterator_traitsIS12_E10value_typeET2_T3_PNS13_IS18_E10value_typeET4_jRbjT5_S1E_jjP12ihipStream_tbEUljE_ZNSN_ISO_Lb1ESQ_SR_ST_SU_SY_EESZ_S10_S11_S12_S16_S17_S18_S1B_S1C_jS1D_jS1E_S1E_jjS1G_bEUljE0_EEESZ_S10_S11_S18_S1C_S1E_T6_T7_T9_mT8_S1G_bDpT10_ENKUlT_T0_E_clISt17integral_constantIbLb0EES1T_IbLb1EEEEDaS1P_S1Q_EUlS1P_E_NS1_11comp_targetILNS1_3genE3ELNS1_11target_archE908ELNS1_3gpuE7ELNS1_3repE0EEENS1_30default_config_static_selectorELNS0_4arch9wavefront6targetE0EEEvS12_,comdat
.Lfunc_end253:
	.size	_ZN7rocprim17ROCPRIM_400000_NS6detail17trampoline_kernelINS0_13select_configILj256ELj13ELNS0_17block_load_methodE3ELS4_3ELS4_3ELNS0_20block_scan_algorithmE0ELj4294967295EEENS1_25partition_config_selectorILNS1_17partition_subalgoE4EjNS0_10empty_typeEbEEZZNS1_14partition_implILS8_4ELb0ES6_15HIP_vector_typeIjLj2EENS0_17counting_iteratorIjlEEPS9_SG_NS0_5tupleIJPjSI_NS0_16reverse_iteratorISI_EEEEENSH_IJSG_SG_SG_EEES9_SI_JZNS1_25segmented_radix_sort_implINS0_14default_configELb1EPKaPaPKlPlN2at6native12_GLOBAL__N_18offset_tEEE10hipError_tPvRmT1_PNSt15iterator_traitsIS12_E10value_typeET2_T3_PNS13_IS18_E10value_typeET4_jRbjT5_S1E_jjP12ihipStream_tbEUljE_ZNSN_ISO_Lb1ESQ_SR_ST_SU_SY_EESZ_S10_S11_S12_S16_S17_S18_S1B_S1C_jS1D_jS1E_S1E_jjS1G_bEUljE0_EEESZ_S10_S11_S18_S1C_S1E_T6_T7_T9_mT8_S1G_bDpT10_ENKUlT_T0_E_clISt17integral_constantIbLb0EES1T_IbLb1EEEEDaS1P_S1Q_EUlS1P_E_NS1_11comp_targetILNS1_3genE3ELNS1_11target_archE908ELNS1_3gpuE7ELNS1_3repE0EEENS1_30default_config_static_selectorELNS0_4arch9wavefront6targetE0EEEvS12_, .Lfunc_end253-_ZN7rocprim17ROCPRIM_400000_NS6detail17trampoline_kernelINS0_13select_configILj256ELj13ELNS0_17block_load_methodE3ELS4_3ELS4_3ELNS0_20block_scan_algorithmE0ELj4294967295EEENS1_25partition_config_selectorILNS1_17partition_subalgoE4EjNS0_10empty_typeEbEEZZNS1_14partition_implILS8_4ELb0ES6_15HIP_vector_typeIjLj2EENS0_17counting_iteratorIjlEEPS9_SG_NS0_5tupleIJPjSI_NS0_16reverse_iteratorISI_EEEEENSH_IJSG_SG_SG_EEES9_SI_JZNS1_25segmented_radix_sort_implINS0_14default_configELb1EPKaPaPKlPlN2at6native12_GLOBAL__N_18offset_tEEE10hipError_tPvRmT1_PNSt15iterator_traitsIS12_E10value_typeET2_T3_PNS13_IS18_E10value_typeET4_jRbjT5_S1E_jjP12ihipStream_tbEUljE_ZNSN_ISO_Lb1ESQ_SR_ST_SU_SY_EESZ_S10_S11_S12_S16_S17_S18_S1B_S1C_jS1D_jS1E_S1E_jjS1G_bEUljE0_EEESZ_S10_S11_S18_S1C_S1E_T6_T7_T9_mT8_S1G_bDpT10_ENKUlT_T0_E_clISt17integral_constantIbLb0EES1T_IbLb1EEEEDaS1P_S1Q_EUlS1P_E_NS1_11comp_targetILNS1_3genE3ELNS1_11target_archE908ELNS1_3gpuE7ELNS1_3repE0EEENS1_30default_config_static_selectorELNS0_4arch9wavefront6targetE0EEEvS12_
                                        ; -- End function
	.section	.AMDGPU.csdata,"",@progbits
; Kernel info:
; codeLenInByte = 0
; NumSgprs: 0
; NumVgprs: 0
; ScratchSize: 0
; MemoryBound: 0
; FloatMode: 240
; IeeeMode: 1
; LDSByteSize: 0 bytes/workgroup (compile time only)
; SGPRBlocks: 0
; VGPRBlocks: 0
; NumSGPRsForWavesPerEU: 1
; NumVGPRsForWavesPerEU: 1
; Occupancy: 16
; WaveLimiterHint : 0
; COMPUTE_PGM_RSRC2:SCRATCH_EN: 0
; COMPUTE_PGM_RSRC2:USER_SGPR: 15
; COMPUTE_PGM_RSRC2:TRAP_HANDLER: 0
; COMPUTE_PGM_RSRC2:TGID_X_EN: 1
; COMPUTE_PGM_RSRC2:TGID_Y_EN: 0
; COMPUTE_PGM_RSRC2:TGID_Z_EN: 0
; COMPUTE_PGM_RSRC2:TIDIG_COMP_CNT: 0
	.section	.text._ZN7rocprim17ROCPRIM_400000_NS6detail17trampoline_kernelINS0_13select_configILj256ELj13ELNS0_17block_load_methodE3ELS4_3ELS4_3ELNS0_20block_scan_algorithmE0ELj4294967295EEENS1_25partition_config_selectorILNS1_17partition_subalgoE4EjNS0_10empty_typeEbEEZZNS1_14partition_implILS8_4ELb0ES6_15HIP_vector_typeIjLj2EENS0_17counting_iteratorIjlEEPS9_SG_NS0_5tupleIJPjSI_NS0_16reverse_iteratorISI_EEEEENSH_IJSG_SG_SG_EEES9_SI_JZNS1_25segmented_radix_sort_implINS0_14default_configELb1EPKaPaPKlPlN2at6native12_GLOBAL__N_18offset_tEEE10hipError_tPvRmT1_PNSt15iterator_traitsIS12_E10value_typeET2_T3_PNS13_IS18_E10value_typeET4_jRbjT5_S1E_jjP12ihipStream_tbEUljE_ZNSN_ISO_Lb1ESQ_SR_ST_SU_SY_EESZ_S10_S11_S12_S16_S17_S18_S1B_S1C_jS1D_jS1E_S1E_jjS1G_bEUljE0_EEESZ_S10_S11_S18_S1C_S1E_T6_T7_T9_mT8_S1G_bDpT10_ENKUlT_T0_E_clISt17integral_constantIbLb0EES1T_IbLb1EEEEDaS1P_S1Q_EUlS1P_E_NS1_11comp_targetILNS1_3genE2ELNS1_11target_archE906ELNS1_3gpuE6ELNS1_3repE0EEENS1_30default_config_static_selectorELNS0_4arch9wavefront6targetE0EEEvS12_,"axG",@progbits,_ZN7rocprim17ROCPRIM_400000_NS6detail17trampoline_kernelINS0_13select_configILj256ELj13ELNS0_17block_load_methodE3ELS4_3ELS4_3ELNS0_20block_scan_algorithmE0ELj4294967295EEENS1_25partition_config_selectorILNS1_17partition_subalgoE4EjNS0_10empty_typeEbEEZZNS1_14partition_implILS8_4ELb0ES6_15HIP_vector_typeIjLj2EENS0_17counting_iteratorIjlEEPS9_SG_NS0_5tupleIJPjSI_NS0_16reverse_iteratorISI_EEEEENSH_IJSG_SG_SG_EEES9_SI_JZNS1_25segmented_radix_sort_implINS0_14default_configELb1EPKaPaPKlPlN2at6native12_GLOBAL__N_18offset_tEEE10hipError_tPvRmT1_PNSt15iterator_traitsIS12_E10value_typeET2_T3_PNS13_IS18_E10value_typeET4_jRbjT5_S1E_jjP12ihipStream_tbEUljE_ZNSN_ISO_Lb1ESQ_SR_ST_SU_SY_EESZ_S10_S11_S12_S16_S17_S18_S1B_S1C_jS1D_jS1E_S1E_jjS1G_bEUljE0_EEESZ_S10_S11_S18_S1C_S1E_T6_T7_T9_mT8_S1G_bDpT10_ENKUlT_T0_E_clISt17integral_constantIbLb0EES1T_IbLb1EEEEDaS1P_S1Q_EUlS1P_E_NS1_11comp_targetILNS1_3genE2ELNS1_11target_archE906ELNS1_3gpuE6ELNS1_3repE0EEENS1_30default_config_static_selectorELNS0_4arch9wavefront6targetE0EEEvS12_,comdat
	.globl	_ZN7rocprim17ROCPRIM_400000_NS6detail17trampoline_kernelINS0_13select_configILj256ELj13ELNS0_17block_load_methodE3ELS4_3ELS4_3ELNS0_20block_scan_algorithmE0ELj4294967295EEENS1_25partition_config_selectorILNS1_17partition_subalgoE4EjNS0_10empty_typeEbEEZZNS1_14partition_implILS8_4ELb0ES6_15HIP_vector_typeIjLj2EENS0_17counting_iteratorIjlEEPS9_SG_NS0_5tupleIJPjSI_NS0_16reverse_iteratorISI_EEEEENSH_IJSG_SG_SG_EEES9_SI_JZNS1_25segmented_radix_sort_implINS0_14default_configELb1EPKaPaPKlPlN2at6native12_GLOBAL__N_18offset_tEEE10hipError_tPvRmT1_PNSt15iterator_traitsIS12_E10value_typeET2_T3_PNS13_IS18_E10value_typeET4_jRbjT5_S1E_jjP12ihipStream_tbEUljE_ZNSN_ISO_Lb1ESQ_SR_ST_SU_SY_EESZ_S10_S11_S12_S16_S17_S18_S1B_S1C_jS1D_jS1E_S1E_jjS1G_bEUljE0_EEESZ_S10_S11_S18_S1C_S1E_T6_T7_T9_mT8_S1G_bDpT10_ENKUlT_T0_E_clISt17integral_constantIbLb0EES1T_IbLb1EEEEDaS1P_S1Q_EUlS1P_E_NS1_11comp_targetILNS1_3genE2ELNS1_11target_archE906ELNS1_3gpuE6ELNS1_3repE0EEENS1_30default_config_static_selectorELNS0_4arch9wavefront6targetE0EEEvS12_ ; -- Begin function _ZN7rocprim17ROCPRIM_400000_NS6detail17trampoline_kernelINS0_13select_configILj256ELj13ELNS0_17block_load_methodE3ELS4_3ELS4_3ELNS0_20block_scan_algorithmE0ELj4294967295EEENS1_25partition_config_selectorILNS1_17partition_subalgoE4EjNS0_10empty_typeEbEEZZNS1_14partition_implILS8_4ELb0ES6_15HIP_vector_typeIjLj2EENS0_17counting_iteratorIjlEEPS9_SG_NS0_5tupleIJPjSI_NS0_16reverse_iteratorISI_EEEEENSH_IJSG_SG_SG_EEES9_SI_JZNS1_25segmented_radix_sort_implINS0_14default_configELb1EPKaPaPKlPlN2at6native12_GLOBAL__N_18offset_tEEE10hipError_tPvRmT1_PNSt15iterator_traitsIS12_E10value_typeET2_T3_PNS13_IS18_E10value_typeET4_jRbjT5_S1E_jjP12ihipStream_tbEUljE_ZNSN_ISO_Lb1ESQ_SR_ST_SU_SY_EESZ_S10_S11_S12_S16_S17_S18_S1B_S1C_jS1D_jS1E_S1E_jjS1G_bEUljE0_EEESZ_S10_S11_S18_S1C_S1E_T6_T7_T9_mT8_S1G_bDpT10_ENKUlT_T0_E_clISt17integral_constantIbLb0EES1T_IbLb1EEEEDaS1P_S1Q_EUlS1P_E_NS1_11comp_targetILNS1_3genE2ELNS1_11target_archE906ELNS1_3gpuE6ELNS1_3repE0EEENS1_30default_config_static_selectorELNS0_4arch9wavefront6targetE0EEEvS12_
	.p2align	8
	.type	_ZN7rocprim17ROCPRIM_400000_NS6detail17trampoline_kernelINS0_13select_configILj256ELj13ELNS0_17block_load_methodE3ELS4_3ELS4_3ELNS0_20block_scan_algorithmE0ELj4294967295EEENS1_25partition_config_selectorILNS1_17partition_subalgoE4EjNS0_10empty_typeEbEEZZNS1_14partition_implILS8_4ELb0ES6_15HIP_vector_typeIjLj2EENS0_17counting_iteratorIjlEEPS9_SG_NS0_5tupleIJPjSI_NS0_16reverse_iteratorISI_EEEEENSH_IJSG_SG_SG_EEES9_SI_JZNS1_25segmented_radix_sort_implINS0_14default_configELb1EPKaPaPKlPlN2at6native12_GLOBAL__N_18offset_tEEE10hipError_tPvRmT1_PNSt15iterator_traitsIS12_E10value_typeET2_T3_PNS13_IS18_E10value_typeET4_jRbjT5_S1E_jjP12ihipStream_tbEUljE_ZNSN_ISO_Lb1ESQ_SR_ST_SU_SY_EESZ_S10_S11_S12_S16_S17_S18_S1B_S1C_jS1D_jS1E_S1E_jjS1G_bEUljE0_EEESZ_S10_S11_S18_S1C_S1E_T6_T7_T9_mT8_S1G_bDpT10_ENKUlT_T0_E_clISt17integral_constantIbLb0EES1T_IbLb1EEEEDaS1P_S1Q_EUlS1P_E_NS1_11comp_targetILNS1_3genE2ELNS1_11target_archE906ELNS1_3gpuE6ELNS1_3repE0EEENS1_30default_config_static_selectorELNS0_4arch9wavefront6targetE0EEEvS12_,@function
_ZN7rocprim17ROCPRIM_400000_NS6detail17trampoline_kernelINS0_13select_configILj256ELj13ELNS0_17block_load_methodE3ELS4_3ELS4_3ELNS0_20block_scan_algorithmE0ELj4294967295EEENS1_25partition_config_selectorILNS1_17partition_subalgoE4EjNS0_10empty_typeEbEEZZNS1_14partition_implILS8_4ELb0ES6_15HIP_vector_typeIjLj2EENS0_17counting_iteratorIjlEEPS9_SG_NS0_5tupleIJPjSI_NS0_16reverse_iteratorISI_EEEEENSH_IJSG_SG_SG_EEES9_SI_JZNS1_25segmented_radix_sort_implINS0_14default_configELb1EPKaPaPKlPlN2at6native12_GLOBAL__N_18offset_tEEE10hipError_tPvRmT1_PNSt15iterator_traitsIS12_E10value_typeET2_T3_PNS13_IS18_E10value_typeET4_jRbjT5_S1E_jjP12ihipStream_tbEUljE_ZNSN_ISO_Lb1ESQ_SR_ST_SU_SY_EESZ_S10_S11_S12_S16_S17_S18_S1B_S1C_jS1D_jS1E_S1E_jjS1G_bEUljE0_EEESZ_S10_S11_S18_S1C_S1E_T6_T7_T9_mT8_S1G_bDpT10_ENKUlT_T0_E_clISt17integral_constantIbLb0EES1T_IbLb1EEEEDaS1P_S1Q_EUlS1P_E_NS1_11comp_targetILNS1_3genE2ELNS1_11target_archE906ELNS1_3gpuE6ELNS1_3repE0EEENS1_30default_config_static_selectorELNS0_4arch9wavefront6targetE0EEEvS12_: ; @_ZN7rocprim17ROCPRIM_400000_NS6detail17trampoline_kernelINS0_13select_configILj256ELj13ELNS0_17block_load_methodE3ELS4_3ELS4_3ELNS0_20block_scan_algorithmE0ELj4294967295EEENS1_25partition_config_selectorILNS1_17partition_subalgoE4EjNS0_10empty_typeEbEEZZNS1_14partition_implILS8_4ELb0ES6_15HIP_vector_typeIjLj2EENS0_17counting_iteratorIjlEEPS9_SG_NS0_5tupleIJPjSI_NS0_16reverse_iteratorISI_EEEEENSH_IJSG_SG_SG_EEES9_SI_JZNS1_25segmented_radix_sort_implINS0_14default_configELb1EPKaPaPKlPlN2at6native12_GLOBAL__N_18offset_tEEE10hipError_tPvRmT1_PNSt15iterator_traitsIS12_E10value_typeET2_T3_PNS13_IS18_E10value_typeET4_jRbjT5_S1E_jjP12ihipStream_tbEUljE_ZNSN_ISO_Lb1ESQ_SR_ST_SU_SY_EESZ_S10_S11_S12_S16_S17_S18_S1B_S1C_jS1D_jS1E_S1E_jjS1G_bEUljE0_EEESZ_S10_S11_S18_S1C_S1E_T6_T7_T9_mT8_S1G_bDpT10_ENKUlT_T0_E_clISt17integral_constantIbLb0EES1T_IbLb1EEEEDaS1P_S1Q_EUlS1P_E_NS1_11comp_targetILNS1_3genE2ELNS1_11target_archE906ELNS1_3gpuE6ELNS1_3repE0EEENS1_30default_config_static_selectorELNS0_4arch9wavefront6targetE0EEEvS12_
; %bb.0:
	.section	.rodata,"a",@progbits
	.p2align	6, 0x0
	.amdhsa_kernel _ZN7rocprim17ROCPRIM_400000_NS6detail17trampoline_kernelINS0_13select_configILj256ELj13ELNS0_17block_load_methodE3ELS4_3ELS4_3ELNS0_20block_scan_algorithmE0ELj4294967295EEENS1_25partition_config_selectorILNS1_17partition_subalgoE4EjNS0_10empty_typeEbEEZZNS1_14partition_implILS8_4ELb0ES6_15HIP_vector_typeIjLj2EENS0_17counting_iteratorIjlEEPS9_SG_NS0_5tupleIJPjSI_NS0_16reverse_iteratorISI_EEEEENSH_IJSG_SG_SG_EEES9_SI_JZNS1_25segmented_radix_sort_implINS0_14default_configELb1EPKaPaPKlPlN2at6native12_GLOBAL__N_18offset_tEEE10hipError_tPvRmT1_PNSt15iterator_traitsIS12_E10value_typeET2_T3_PNS13_IS18_E10value_typeET4_jRbjT5_S1E_jjP12ihipStream_tbEUljE_ZNSN_ISO_Lb1ESQ_SR_ST_SU_SY_EESZ_S10_S11_S12_S16_S17_S18_S1B_S1C_jS1D_jS1E_S1E_jjS1G_bEUljE0_EEESZ_S10_S11_S18_S1C_S1E_T6_T7_T9_mT8_S1G_bDpT10_ENKUlT_T0_E_clISt17integral_constantIbLb0EES1T_IbLb1EEEEDaS1P_S1Q_EUlS1P_E_NS1_11comp_targetILNS1_3genE2ELNS1_11target_archE906ELNS1_3gpuE6ELNS1_3repE0EEENS1_30default_config_static_selectorELNS0_4arch9wavefront6targetE0EEEvS12_
		.amdhsa_group_segment_fixed_size 0
		.amdhsa_private_segment_fixed_size 0
		.amdhsa_kernarg_size 184
		.amdhsa_user_sgpr_count 15
		.amdhsa_user_sgpr_dispatch_ptr 0
		.amdhsa_user_sgpr_queue_ptr 0
		.amdhsa_user_sgpr_kernarg_segment_ptr 1
		.amdhsa_user_sgpr_dispatch_id 0
		.amdhsa_user_sgpr_private_segment_size 0
		.amdhsa_wavefront_size32 1
		.amdhsa_uses_dynamic_stack 0
		.amdhsa_enable_private_segment 0
		.amdhsa_system_sgpr_workgroup_id_x 1
		.amdhsa_system_sgpr_workgroup_id_y 0
		.amdhsa_system_sgpr_workgroup_id_z 0
		.amdhsa_system_sgpr_workgroup_info 0
		.amdhsa_system_vgpr_workitem_id 0
		.amdhsa_next_free_vgpr 1
		.amdhsa_next_free_sgpr 1
		.amdhsa_reserve_vcc 0
		.amdhsa_float_round_mode_32 0
		.amdhsa_float_round_mode_16_64 0
		.amdhsa_float_denorm_mode_32 3
		.amdhsa_float_denorm_mode_16_64 3
		.amdhsa_dx10_clamp 1
		.amdhsa_ieee_mode 1
		.amdhsa_fp16_overflow 0
		.amdhsa_workgroup_processor_mode 1
		.amdhsa_memory_ordered 1
		.amdhsa_forward_progress 0
		.amdhsa_shared_vgpr_count 0
		.amdhsa_exception_fp_ieee_invalid_op 0
		.amdhsa_exception_fp_denorm_src 0
		.amdhsa_exception_fp_ieee_div_zero 0
		.amdhsa_exception_fp_ieee_overflow 0
		.amdhsa_exception_fp_ieee_underflow 0
		.amdhsa_exception_fp_ieee_inexact 0
		.amdhsa_exception_int_div_zero 0
	.end_amdhsa_kernel
	.section	.text._ZN7rocprim17ROCPRIM_400000_NS6detail17trampoline_kernelINS0_13select_configILj256ELj13ELNS0_17block_load_methodE3ELS4_3ELS4_3ELNS0_20block_scan_algorithmE0ELj4294967295EEENS1_25partition_config_selectorILNS1_17partition_subalgoE4EjNS0_10empty_typeEbEEZZNS1_14partition_implILS8_4ELb0ES6_15HIP_vector_typeIjLj2EENS0_17counting_iteratorIjlEEPS9_SG_NS0_5tupleIJPjSI_NS0_16reverse_iteratorISI_EEEEENSH_IJSG_SG_SG_EEES9_SI_JZNS1_25segmented_radix_sort_implINS0_14default_configELb1EPKaPaPKlPlN2at6native12_GLOBAL__N_18offset_tEEE10hipError_tPvRmT1_PNSt15iterator_traitsIS12_E10value_typeET2_T3_PNS13_IS18_E10value_typeET4_jRbjT5_S1E_jjP12ihipStream_tbEUljE_ZNSN_ISO_Lb1ESQ_SR_ST_SU_SY_EESZ_S10_S11_S12_S16_S17_S18_S1B_S1C_jS1D_jS1E_S1E_jjS1G_bEUljE0_EEESZ_S10_S11_S18_S1C_S1E_T6_T7_T9_mT8_S1G_bDpT10_ENKUlT_T0_E_clISt17integral_constantIbLb0EES1T_IbLb1EEEEDaS1P_S1Q_EUlS1P_E_NS1_11comp_targetILNS1_3genE2ELNS1_11target_archE906ELNS1_3gpuE6ELNS1_3repE0EEENS1_30default_config_static_selectorELNS0_4arch9wavefront6targetE0EEEvS12_,"axG",@progbits,_ZN7rocprim17ROCPRIM_400000_NS6detail17trampoline_kernelINS0_13select_configILj256ELj13ELNS0_17block_load_methodE3ELS4_3ELS4_3ELNS0_20block_scan_algorithmE0ELj4294967295EEENS1_25partition_config_selectorILNS1_17partition_subalgoE4EjNS0_10empty_typeEbEEZZNS1_14partition_implILS8_4ELb0ES6_15HIP_vector_typeIjLj2EENS0_17counting_iteratorIjlEEPS9_SG_NS0_5tupleIJPjSI_NS0_16reverse_iteratorISI_EEEEENSH_IJSG_SG_SG_EEES9_SI_JZNS1_25segmented_radix_sort_implINS0_14default_configELb1EPKaPaPKlPlN2at6native12_GLOBAL__N_18offset_tEEE10hipError_tPvRmT1_PNSt15iterator_traitsIS12_E10value_typeET2_T3_PNS13_IS18_E10value_typeET4_jRbjT5_S1E_jjP12ihipStream_tbEUljE_ZNSN_ISO_Lb1ESQ_SR_ST_SU_SY_EESZ_S10_S11_S12_S16_S17_S18_S1B_S1C_jS1D_jS1E_S1E_jjS1G_bEUljE0_EEESZ_S10_S11_S18_S1C_S1E_T6_T7_T9_mT8_S1G_bDpT10_ENKUlT_T0_E_clISt17integral_constantIbLb0EES1T_IbLb1EEEEDaS1P_S1Q_EUlS1P_E_NS1_11comp_targetILNS1_3genE2ELNS1_11target_archE906ELNS1_3gpuE6ELNS1_3repE0EEENS1_30default_config_static_selectorELNS0_4arch9wavefront6targetE0EEEvS12_,comdat
.Lfunc_end254:
	.size	_ZN7rocprim17ROCPRIM_400000_NS6detail17trampoline_kernelINS0_13select_configILj256ELj13ELNS0_17block_load_methodE3ELS4_3ELS4_3ELNS0_20block_scan_algorithmE0ELj4294967295EEENS1_25partition_config_selectorILNS1_17partition_subalgoE4EjNS0_10empty_typeEbEEZZNS1_14partition_implILS8_4ELb0ES6_15HIP_vector_typeIjLj2EENS0_17counting_iteratorIjlEEPS9_SG_NS0_5tupleIJPjSI_NS0_16reverse_iteratorISI_EEEEENSH_IJSG_SG_SG_EEES9_SI_JZNS1_25segmented_radix_sort_implINS0_14default_configELb1EPKaPaPKlPlN2at6native12_GLOBAL__N_18offset_tEEE10hipError_tPvRmT1_PNSt15iterator_traitsIS12_E10value_typeET2_T3_PNS13_IS18_E10value_typeET4_jRbjT5_S1E_jjP12ihipStream_tbEUljE_ZNSN_ISO_Lb1ESQ_SR_ST_SU_SY_EESZ_S10_S11_S12_S16_S17_S18_S1B_S1C_jS1D_jS1E_S1E_jjS1G_bEUljE0_EEESZ_S10_S11_S18_S1C_S1E_T6_T7_T9_mT8_S1G_bDpT10_ENKUlT_T0_E_clISt17integral_constantIbLb0EES1T_IbLb1EEEEDaS1P_S1Q_EUlS1P_E_NS1_11comp_targetILNS1_3genE2ELNS1_11target_archE906ELNS1_3gpuE6ELNS1_3repE0EEENS1_30default_config_static_selectorELNS0_4arch9wavefront6targetE0EEEvS12_, .Lfunc_end254-_ZN7rocprim17ROCPRIM_400000_NS6detail17trampoline_kernelINS0_13select_configILj256ELj13ELNS0_17block_load_methodE3ELS4_3ELS4_3ELNS0_20block_scan_algorithmE0ELj4294967295EEENS1_25partition_config_selectorILNS1_17partition_subalgoE4EjNS0_10empty_typeEbEEZZNS1_14partition_implILS8_4ELb0ES6_15HIP_vector_typeIjLj2EENS0_17counting_iteratorIjlEEPS9_SG_NS0_5tupleIJPjSI_NS0_16reverse_iteratorISI_EEEEENSH_IJSG_SG_SG_EEES9_SI_JZNS1_25segmented_radix_sort_implINS0_14default_configELb1EPKaPaPKlPlN2at6native12_GLOBAL__N_18offset_tEEE10hipError_tPvRmT1_PNSt15iterator_traitsIS12_E10value_typeET2_T3_PNS13_IS18_E10value_typeET4_jRbjT5_S1E_jjP12ihipStream_tbEUljE_ZNSN_ISO_Lb1ESQ_SR_ST_SU_SY_EESZ_S10_S11_S12_S16_S17_S18_S1B_S1C_jS1D_jS1E_S1E_jjS1G_bEUljE0_EEESZ_S10_S11_S18_S1C_S1E_T6_T7_T9_mT8_S1G_bDpT10_ENKUlT_T0_E_clISt17integral_constantIbLb0EES1T_IbLb1EEEEDaS1P_S1Q_EUlS1P_E_NS1_11comp_targetILNS1_3genE2ELNS1_11target_archE906ELNS1_3gpuE6ELNS1_3repE0EEENS1_30default_config_static_selectorELNS0_4arch9wavefront6targetE0EEEvS12_
                                        ; -- End function
	.section	.AMDGPU.csdata,"",@progbits
; Kernel info:
; codeLenInByte = 0
; NumSgprs: 0
; NumVgprs: 0
; ScratchSize: 0
; MemoryBound: 0
; FloatMode: 240
; IeeeMode: 1
; LDSByteSize: 0 bytes/workgroup (compile time only)
; SGPRBlocks: 0
; VGPRBlocks: 0
; NumSGPRsForWavesPerEU: 1
; NumVGPRsForWavesPerEU: 1
; Occupancy: 16
; WaveLimiterHint : 0
; COMPUTE_PGM_RSRC2:SCRATCH_EN: 0
; COMPUTE_PGM_RSRC2:USER_SGPR: 15
; COMPUTE_PGM_RSRC2:TRAP_HANDLER: 0
; COMPUTE_PGM_RSRC2:TGID_X_EN: 1
; COMPUTE_PGM_RSRC2:TGID_Y_EN: 0
; COMPUTE_PGM_RSRC2:TGID_Z_EN: 0
; COMPUTE_PGM_RSRC2:TIDIG_COMP_CNT: 0
	.section	.text._ZN7rocprim17ROCPRIM_400000_NS6detail17trampoline_kernelINS0_13select_configILj256ELj13ELNS0_17block_load_methodE3ELS4_3ELS4_3ELNS0_20block_scan_algorithmE0ELj4294967295EEENS1_25partition_config_selectorILNS1_17partition_subalgoE4EjNS0_10empty_typeEbEEZZNS1_14partition_implILS8_4ELb0ES6_15HIP_vector_typeIjLj2EENS0_17counting_iteratorIjlEEPS9_SG_NS0_5tupleIJPjSI_NS0_16reverse_iteratorISI_EEEEENSH_IJSG_SG_SG_EEES9_SI_JZNS1_25segmented_radix_sort_implINS0_14default_configELb1EPKaPaPKlPlN2at6native12_GLOBAL__N_18offset_tEEE10hipError_tPvRmT1_PNSt15iterator_traitsIS12_E10value_typeET2_T3_PNS13_IS18_E10value_typeET4_jRbjT5_S1E_jjP12ihipStream_tbEUljE_ZNSN_ISO_Lb1ESQ_SR_ST_SU_SY_EESZ_S10_S11_S12_S16_S17_S18_S1B_S1C_jS1D_jS1E_S1E_jjS1G_bEUljE0_EEESZ_S10_S11_S18_S1C_S1E_T6_T7_T9_mT8_S1G_bDpT10_ENKUlT_T0_E_clISt17integral_constantIbLb0EES1T_IbLb1EEEEDaS1P_S1Q_EUlS1P_E_NS1_11comp_targetILNS1_3genE10ELNS1_11target_archE1200ELNS1_3gpuE4ELNS1_3repE0EEENS1_30default_config_static_selectorELNS0_4arch9wavefront6targetE0EEEvS12_,"axG",@progbits,_ZN7rocprim17ROCPRIM_400000_NS6detail17trampoline_kernelINS0_13select_configILj256ELj13ELNS0_17block_load_methodE3ELS4_3ELS4_3ELNS0_20block_scan_algorithmE0ELj4294967295EEENS1_25partition_config_selectorILNS1_17partition_subalgoE4EjNS0_10empty_typeEbEEZZNS1_14partition_implILS8_4ELb0ES6_15HIP_vector_typeIjLj2EENS0_17counting_iteratorIjlEEPS9_SG_NS0_5tupleIJPjSI_NS0_16reverse_iteratorISI_EEEEENSH_IJSG_SG_SG_EEES9_SI_JZNS1_25segmented_radix_sort_implINS0_14default_configELb1EPKaPaPKlPlN2at6native12_GLOBAL__N_18offset_tEEE10hipError_tPvRmT1_PNSt15iterator_traitsIS12_E10value_typeET2_T3_PNS13_IS18_E10value_typeET4_jRbjT5_S1E_jjP12ihipStream_tbEUljE_ZNSN_ISO_Lb1ESQ_SR_ST_SU_SY_EESZ_S10_S11_S12_S16_S17_S18_S1B_S1C_jS1D_jS1E_S1E_jjS1G_bEUljE0_EEESZ_S10_S11_S18_S1C_S1E_T6_T7_T9_mT8_S1G_bDpT10_ENKUlT_T0_E_clISt17integral_constantIbLb0EES1T_IbLb1EEEEDaS1P_S1Q_EUlS1P_E_NS1_11comp_targetILNS1_3genE10ELNS1_11target_archE1200ELNS1_3gpuE4ELNS1_3repE0EEENS1_30default_config_static_selectorELNS0_4arch9wavefront6targetE0EEEvS12_,comdat
	.globl	_ZN7rocprim17ROCPRIM_400000_NS6detail17trampoline_kernelINS0_13select_configILj256ELj13ELNS0_17block_load_methodE3ELS4_3ELS4_3ELNS0_20block_scan_algorithmE0ELj4294967295EEENS1_25partition_config_selectorILNS1_17partition_subalgoE4EjNS0_10empty_typeEbEEZZNS1_14partition_implILS8_4ELb0ES6_15HIP_vector_typeIjLj2EENS0_17counting_iteratorIjlEEPS9_SG_NS0_5tupleIJPjSI_NS0_16reverse_iteratorISI_EEEEENSH_IJSG_SG_SG_EEES9_SI_JZNS1_25segmented_radix_sort_implINS0_14default_configELb1EPKaPaPKlPlN2at6native12_GLOBAL__N_18offset_tEEE10hipError_tPvRmT1_PNSt15iterator_traitsIS12_E10value_typeET2_T3_PNS13_IS18_E10value_typeET4_jRbjT5_S1E_jjP12ihipStream_tbEUljE_ZNSN_ISO_Lb1ESQ_SR_ST_SU_SY_EESZ_S10_S11_S12_S16_S17_S18_S1B_S1C_jS1D_jS1E_S1E_jjS1G_bEUljE0_EEESZ_S10_S11_S18_S1C_S1E_T6_T7_T9_mT8_S1G_bDpT10_ENKUlT_T0_E_clISt17integral_constantIbLb0EES1T_IbLb1EEEEDaS1P_S1Q_EUlS1P_E_NS1_11comp_targetILNS1_3genE10ELNS1_11target_archE1200ELNS1_3gpuE4ELNS1_3repE0EEENS1_30default_config_static_selectorELNS0_4arch9wavefront6targetE0EEEvS12_ ; -- Begin function _ZN7rocprim17ROCPRIM_400000_NS6detail17trampoline_kernelINS0_13select_configILj256ELj13ELNS0_17block_load_methodE3ELS4_3ELS4_3ELNS0_20block_scan_algorithmE0ELj4294967295EEENS1_25partition_config_selectorILNS1_17partition_subalgoE4EjNS0_10empty_typeEbEEZZNS1_14partition_implILS8_4ELb0ES6_15HIP_vector_typeIjLj2EENS0_17counting_iteratorIjlEEPS9_SG_NS0_5tupleIJPjSI_NS0_16reverse_iteratorISI_EEEEENSH_IJSG_SG_SG_EEES9_SI_JZNS1_25segmented_radix_sort_implINS0_14default_configELb1EPKaPaPKlPlN2at6native12_GLOBAL__N_18offset_tEEE10hipError_tPvRmT1_PNSt15iterator_traitsIS12_E10value_typeET2_T3_PNS13_IS18_E10value_typeET4_jRbjT5_S1E_jjP12ihipStream_tbEUljE_ZNSN_ISO_Lb1ESQ_SR_ST_SU_SY_EESZ_S10_S11_S12_S16_S17_S18_S1B_S1C_jS1D_jS1E_S1E_jjS1G_bEUljE0_EEESZ_S10_S11_S18_S1C_S1E_T6_T7_T9_mT8_S1G_bDpT10_ENKUlT_T0_E_clISt17integral_constantIbLb0EES1T_IbLb1EEEEDaS1P_S1Q_EUlS1P_E_NS1_11comp_targetILNS1_3genE10ELNS1_11target_archE1200ELNS1_3gpuE4ELNS1_3repE0EEENS1_30default_config_static_selectorELNS0_4arch9wavefront6targetE0EEEvS12_
	.p2align	8
	.type	_ZN7rocprim17ROCPRIM_400000_NS6detail17trampoline_kernelINS0_13select_configILj256ELj13ELNS0_17block_load_methodE3ELS4_3ELS4_3ELNS0_20block_scan_algorithmE0ELj4294967295EEENS1_25partition_config_selectorILNS1_17partition_subalgoE4EjNS0_10empty_typeEbEEZZNS1_14partition_implILS8_4ELb0ES6_15HIP_vector_typeIjLj2EENS0_17counting_iteratorIjlEEPS9_SG_NS0_5tupleIJPjSI_NS0_16reverse_iteratorISI_EEEEENSH_IJSG_SG_SG_EEES9_SI_JZNS1_25segmented_radix_sort_implINS0_14default_configELb1EPKaPaPKlPlN2at6native12_GLOBAL__N_18offset_tEEE10hipError_tPvRmT1_PNSt15iterator_traitsIS12_E10value_typeET2_T3_PNS13_IS18_E10value_typeET4_jRbjT5_S1E_jjP12ihipStream_tbEUljE_ZNSN_ISO_Lb1ESQ_SR_ST_SU_SY_EESZ_S10_S11_S12_S16_S17_S18_S1B_S1C_jS1D_jS1E_S1E_jjS1G_bEUljE0_EEESZ_S10_S11_S18_S1C_S1E_T6_T7_T9_mT8_S1G_bDpT10_ENKUlT_T0_E_clISt17integral_constantIbLb0EES1T_IbLb1EEEEDaS1P_S1Q_EUlS1P_E_NS1_11comp_targetILNS1_3genE10ELNS1_11target_archE1200ELNS1_3gpuE4ELNS1_3repE0EEENS1_30default_config_static_selectorELNS0_4arch9wavefront6targetE0EEEvS12_,@function
_ZN7rocprim17ROCPRIM_400000_NS6detail17trampoline_kernelINS0_13select_configILj256ELj13ELNS0_17block_load_methodE3ELS4_3ELS4_3ELNS0_20block_scan_algorithmE0ELj4294967295EEENS1_25partition_config_selectorILNS1_17partition_subalgoE4EjNS0_10empty_typeEbEEZZNS1_14partition_implILS8_4ELb0ES6_15HIP_vector_typeIjLj2EENS0_17counting_iteratorIjlEEPS9_SG_NS0_5tupleIJPjSI_NS0_16reverse_iteratorISI_EEEEENSH_IJSG_SG_SG_EEES9_SI_JZNS1_25segmented_radix_sort_implINS0_14default_configELb1EPKaPaPKlPlN2at6native12_GLOBAL__N_18offset_tEEE10hipError_tPvRmT1_PNSt15iterator_traitsIS12_E10value_typeET2_T3_PNS13_IS18_E10value_typeET4_jRbjT5_S1E_jjP12ihipStream_tbEUljE_ZNSN_ISO_Lb1ESQ_SR_ST_SU_SY_EESZ_S10_S11_S12_S16_S17_S18_S1B_S1C_jS1D_jS1E_S1E_jjS1G_bEUljE0_EEESZ_S10_S11_S18_S1C_S1E_T6_T7_T9_mT8_S1G_bDpT10_ENKUlT_T0_E_clISt17integral_constantIbLb0EES1T_IbLb1EEEEDaS1P_S1Q_EUlS1P_E_NS1_11comp_targetILNS1_3genE10ELNS1_11target_archE1200ELNS1_3gpuE4ELNS1_3repE0EEENS1_30default_config_static_selectorELNS0_4arch9wavefront6targetE0EEEvS12_: ; @_ZN7rocprim17ROCPRIM_400000_NS6detail17trampoline_kernelINS0_13select_configILj256ELj13ELNS0_17block_load_methodE3ELS4_3ELS4_3ELNS0_20block_scan_algorithmE0ELj4294967295EEENS1_25partition_config_selectorILNS1_17partition_subalgoE4EjNS0_10empty_typeEbEEZZNS1_14partition_implILS8_4ELb0ES6_15HIP_vector_typeIjLj2EENS0_17counting_iteratorIjlEEPS9_SG_NS0_5tupleIJPjSI_NS0_16reverse_iteratorISI_EEEEENSH_IJSG_SG_SG_EEES9_SI_JZNS1_25segmented_radix_sort_implINS0_14default_configELb1EPKaPaPKlPlN2at6native12_GLOBAL__N_18offset_tEEE10hipError_tPvRmT1_PNSt15iterator_traitsIS12_E10value_typeET2_T3_PNS13_IS18_E10value_typeET4_jRbjT5_S1E_jjP12ihipStream_tbEUljE_ZNSN_ISO_Lb1ESQ_SR_ST_SU_SY_EESZ_S10_S11_S12_S16_S17_S18_S1B_S1C_jS1D_jS1E_S1E_jjS1G_bEUljE0_EEESZ_S10_S11_S18_S1C_S1E_T6_T7_T9_mT8_S1G_bDpT10_ENKUlT_T0_E_clISt17integral_constantIbLb0EES1T_IbLb1EEEEDaS1P_S1Q_EUlS1P_E_NS1_11comp_targetILNS1_3genE10ELNS1_11target_archE1200ELNS1_3gpuE4ELNS1_3repE0EEENS1_30default_config_static_selectorELNS0_4arch9wavefront6targetE0EEEvS12_
; %bb.0:
	.section	.rodata,"a",@progbits
	.p2align	6, 0x0
	.amdhsa_kernel _ZN7rocprim17ROCPRIM_400000_NS6detail17trampoline_kernelINS0_13select_configILj256ELj13ELNS0_17block_load_methodE3ELS4_3ELS4_3ELNS0_20block_scan_algorithmE0ELj4294967295EEENS1_25partition_config_selectorILNS1_17partition_subalgoE4EjNS0_10empty_typeEbEEZZNS1_14partition_implILS8_4ELb0ES6_15HIP_vector_typeIjLj2EENS0_17counting_iteratorIjlEEPS9_SG_NS0_5tupleIJPjSI_NS0_16reverse_iteratorISI_EEEEENSH_IJSG_SG_SG_EEES9_SI_JZNS1_25segmented_radix_sort_implINS0_14default_configELb1EPKaPaPKlPlN2at6native12_GLOBAL__N_18offset_tEEE10hipError_tPvRmT1_PNSt15iterator_traitsIS12_E10value_typeET2_T3_PNS13_IS18_E10value_typeET4_jRbjT5_S1E_jjP12ihipStream_tbEUljE_ZNSN_ISO_Lb1ESQ_SR_ST_SU_SY_EESZ_S10_S11_S12_S16_S17_S18_S1B_S1C_jS1D_jS1E_S1E_jjS1G_bEUljE0_EEESZ_S10_S11_S18_S1C_S1E_T6_T7_T9_mT8_S1G_bDpT10_ENKUlT_T0_E_clISt17integral_constantIbLb0EES1T_IbLb1EEEEDaS1P_S1Q_EUlS1P_E_NS1_11comp_targetILNS1_3genE10ELNS1_11target_archE1200ELNS1_3gpuE4ELNS1_3repE0EEENS1_30default_config_static_selectorELNS0_4arch9wavefront6targetE0EEEvS12_
		.amdhsa_group_segment_fixed_size 0
		.amdhsa_private_segment_fixed_size 0
		.amdhsa_kernarg_size 184
		.amdhsa_user_sgpr_count 15
		.amdhsa_user_sgpr_dispatch_ptr 0
		.amdhsa_user_sgpr_queue_ptr 0
		.amdhsa_user_sgpr_kernarg_segment_ptr 1
		.amdhsa_user_sgpr_dispatch_id 0
		.amdhsa_user_sgpr_private_segment_size 0
		.amdhsa_wavefront_size32 1
		.amdhsa_uses_dynamic_stack 0
		.amdhsa_enable_private_segment 0
		.amdhsa_system_sgpr_workgroup_id_x 1
		.amdhsa_system_sgpr_workgroup_id_y 0
		.amdhsa_system_sgpr_workgroup_id_z 0
		.amdhsa_system_sgpr_workgroup_info 0
		.amdhsa_system_vgpr_workitem_id 0
		.amdhsa_next_free_vgpr 1
		.amdhsa_next_free_sgpr 1
		.amdhsa_reserve_vcc 0
		.amdhsa_float_round_mode_32 0
		.amdhsa_float_round_mode_16_64 0
		.amdhsa_float_denorm_mode_32 3
		.amdhsa_float_denorm_mode_16_64 3
		.amdhsa_dx10_clamp 1
		.amdhsa_ieee_mode 1
		.amdhsa_fp16_overflow 0
		.amdhsa_workgroup_processor_mode 1
		.amdhsa_memory_ordered 1
		.amdhsa_forward_progress 0
		.amdhsa_shared_vgpr_count 0
		.amdhsa_exception_fp_ieee_invalid_op 0
		.amdhsa_exception_fp_denorm_src 0
		.amdhsa_exception_fp_ieee_div_zero 0
		.amdhsa_exception_fp_ieee_overflow 0
		.amdhsa_exception_fp_ieee_underflow 0
		.amdhsa_exception_fp_ieee_inexact 0
		.amdhsa_exception_int_div_zero 0
	.end_amdhsa_kernel
	.section	.text._ZN7rocprim17ROCPRIM_400000_NS6detail17trampoline_kernelINS0_13select_configILj256ELj13ELNS0_17block_load_methodE3ELS4_3ELS4_3ELNS0_20block_scan_algorithmE0ELj4294967295EEENS1_25partition_config_selectorILNS1_17partition_subalgoE4EjNS0_10empty_typeEbEEZZNS1_14partition_implILS8_4ELb0ES6_15HIP_vector_typeIjLj2EENS0_17counting_iteratorIjlEEPS9_SG_NS0_5tupleIJPjSI_NS0_16reverse_iteratorISI_EEEEENSH_IJSG_SG_SG_EEES9_SI_JZNS1_25segmented_radix_sort_implINS0_14default_configELb1EPKaPaPKlPlN2at6native12_GLOBAL__N_18offset_tEEE10hipError_tPvRmT1_PNSt15iterator_traitsIS12_E10value_typeET2_T3_PNS13_IS18_E10value_typeET4_jRbjT5_S1E_jjP12ihipStream_tbEUljE_ZNSN_ISO_Lb1ESQ_SR_ST_SU_SY_EESZ_S10_S11_S12_S16_S17_S18_S1B_S1C_jS1D_jS1E_S1E_jjS1G_bEUljE0_EEESZ_S10_S11_S18_S1C_S1E_T6_T7_T9_mT8_S1G_bDpT10_ENKUlT_T0_E_clISt17integral_constantIbLb0EES1T_IbLb1EEEEDaS1P_S1Q_EUlS1P_E_NS1_11comp_targetILNS1_3genE10ELNS1_11target_archE1200ELNS1_3gpuE4ELNS1_3repE0EEENS1_30default_config_static_selectorELNS0_4arch9wavefront6targetE0EEEvS12_,"axG",@progbits,_ZN7rocprim17ROCPRIM_400000_NS6detail17trampoline_kernelINS0_13select_configILj256ELj13ELNS0_17block_load_methodE3ELS4_3ELS4_3ELNS0_20block_scan_algorithmE0ELj4294967295EEENS1_25partition_config_selectorILNS1_17partition_subalgoE4EjNS0_10empty_typeEbEEZZNS1_14partition_implILS8_4ELb0ES6_15HIP_vector_typeIjLj2EENS0_17counting_iteratorIjlEEPS9_SG_NS0_5tupleIJPjSI_NS0_16reverse_iteratorISI_EEEEENSH_IJSG_SG_SG_EEES9_SI_JZNS1_25segmented_radix_sort_implINS0_14default_configELb1EPKaPaPKlPlN2at6native12_GLOBAL__N_18offset_tEEE10hipError_tPvRmT1_PNSt15iterator_traitsIS12_E10value_typeET2_T3_PNS13_IS18_E10value_typeET4_jRbjT5_S1E_jjP12ihipStream_tbEUljE_ZNSN_ISO_Lb1ESQ_SR_ST_SU_SY_EESZ_S10_S11_S12_S16_S17_S18_S1B_S1C_jS1D_jS1E_S1E_jjS1G_bEUljE0_EEESZ_S10_S11_S18_S1C_S1E_T6_T7_T9_mT8_S1G_bDpT10_ENKUlT_T0_E_clISt17integral_constantIbLb0EES1T_IbLb1EEEEDaS1P_S1Q_EUlS1P_E_NS1_11comp_targetILNS1_3genE10ELNS1_11target_archE1200ELNS1_3gpuE4ELNS1_3repE0EEENS1_30default_config_static_selectorELNS0_4arch9wavefront6targetE0EEEvS12_,comdat
.Lfunc_end255:
	.size	_ZN7rocprim17ROCPRIM_400000_NS6detail17trampoline_kernelINS0_13select_configILj256ELj13ELNS0_17block_load_methodE3ELS4_3ELS4_3ELNS0_20block_scan_algorithmE0ELj4294967295EEENS1_25partition_config_selectorILNS1_17partition_subalgoE4EjNS0_10empty_typeEbEEZZNS1_14partition_implILS8_4ELb0ES6_15HIP_vector_typeIjLj2EENS0_17counting_iteratorIjlEEPS9_SG_NS0_5tupleIJPjSI_NS0_16reverse_iteratorISI_EEEEENSH_IJSG_SG_SG_EEES9_SI_JZNS1_25segmented_radix_sort_implINS0_14default_configELb1EPKaPaPKlPlN2at6native12_GLOBAL__N_18offset_tEEE10hipError_tPvRmT1_PNSt15iterator_traitsIS12_E10value_typeET2_T3_PNS13_IS18_E10value_typeET4_jRbjT5_S1E_jjP12ihipStream_tbEUljE_ZNSN_ISO_Lb1ESQ_SR_ST_SU_SY_EESZ_S10_S11_S12_S16_S17_S18_S1B_S1C_jS1D_jS1E_S1E_jjS1G_bEUljE0_EEESZ_S10_S11_S18_S1C_S1E_T6_T7_T9_mT8_S1G_bDpT10_ENKUlT_T0_E_clISt17integral_constantIbLb0EES1T_IbLb1EEEEDaS1P_S1Q_EUlS1P_E_NS1_11comp_targetILNS1_3genE10ELNS1_11target_archE1200ELNS1_3gpuE4ELNS1_3repE0EEENS1_30default_config_static_selectorELNS0_4arch9wavefront6targetE0EEEvS12_, .Lfunc_end255-_ZN7rocprim17ROCPRIM_400000_NS6detail17trampoline_kernelINS0_13select_configILj256ELj13ELNS0_17block_load_methodE3ELS4_3ELS4_3ELNS0_20block_scan_algorithmE0ELj4294967295EEENS1_25partition_config_selectorILNS1_17partition_subalgoE4EjNS0_10empty_typeEbEEZZNS1_14partition_implILS8_4ELb0ES6_15HIP_vector_typeIjLj2EENS0_17counting_iteratorIjlEEPS9_SG_NS0_5tupleIJPjSI_NS0_16reverse_iteratorISI_EEEEENSH_IJSG_SG_SG_EEES9_SI_JZNS1_25segmented_radix_sort_implINS0_14default_configELb1EPKaPaPKlPlN2at6native12_GLOBAL__N_18offset_tEEE10hipError_tPvRmT1_PNSt15iterator_traitsIS12_E10value_typeET2_T3_PNS13_IS18_E10value_typeET4_jRbjT5_S1E_jjP12ihipStream_tbEUljE_ZNSN_ISO_Lb1ESQ_SR_ST_SU_SY_EESZ_S10_S11_S12_S16_S17_S18_S1B_S1C_jS1D_jS1E_S1E_jjS1G_bEUljE0_EEESZ_S10_S11_S18_S1C_S1E_T6_T7_T9_mT8_S1G_bDpT10_ENKUlT_T0_E_clISt17integral_constantIbLb0EES1T_IbLb1EEEEDaS1P_S1Q_EUlS1P_E_NS1_11comp_targetILNS1_3genE10ELNS1_11target_archE1200ELNS1_3gpuE4ELNS1_3repE0EEENS1_30default_config_static_selectorELNS0_4arch9wavefront6targetE0EEEvS12_
                                        ; -- End function
	.section	.AMDGPU.csdata,"",@progbits
; Kernel info:
; codeLenInByte = 0
; NumSgprs: 0
; NumVgprs: 0
; ScratchSize: 0
; MemoryBound: 0
; FloatMode: 240
; IeeeMode: 1
; LDSByteSize: 0 bytes/workgroup (compile time only)
; SGPRBlocks: 0
; VGPRBlocks: 0
; NumSGPRsForWavesPerEU: 1
; NumVGPRsForWavesPerEU: 1
; Occupancy: 16
; WaveLimiterHint : 0
; COMPUTE_PGM_RSRC2:SCRATCH_EN: 0
; COMPUTE_PGM_RSRC2:USER_SGPR: 15
; COMPUTE_PGM_RSRC2:TRAP_HANDLER: 0
; COMPUTE_PGM_RSRC2:TGID_X_EN: 1
; COMPUTE_PGM_RSRC2:TGID_Y_EN: 0
; COMPUTE_PGM_RSRC2:TGID_Z_EN: 0
; COMPUTE_PGM_RSRC2:TIDIG_COMP_CNT: 0
	.section	.text._ZN7rocprim17ROCPRIM_400000_NS6detail17trampoline_kernelINS0_13select_configILj256ELj13ELNS0_17block_load_methodE3ELS4_3ELS4_3ELNS0_20block_scan_algorithmE0ELj4294967295EEENS1_25partition_config_selectorILNS1_17partition_subalgoE4EjNS0_10empty_typeEbEEZZNS1_14partition_implILS8_4ELb0ES6_15HIP_vector_typeIjLj2EENS0_17counting_iteratorIjlEEPS9_SG_NS0_5tupleIJPjSI_NS0_16reverse_iteratorISI_EEEEENSH_IJSG_SG_SG_EEES9_SI_JZNS1_25segmented_radix_sort_implINS0_14default_configELb1EPKaPaPKlPlN2at6native12_GLOBAL__N_18offset_tEEE10hipError_tPvRmT1_PNSt15iterator_traitsIS12_E10value_typeET2_T3_PNS13_IS18_E10value_typeET4_jRbjT5_S1E_jjP12ihipStream_tbEUljE_ZNSN_ISO_Lb1ESQ_SR_ST_SU_SY_EESZ_S10_S11_S12_S16_S17_S18_S1B_S1C_jS1D_jS1E_S1E_jjS1G_bEUljE0_EEESZ_S10_S11_S18_S1C_S1E_T6_T7_T9_mT8_S1G_bDpT10_ENKUlT_T0_E_clISt17integral_constantIbLb0EES1T_IbLb1EEEEDaS1P_S1Q_EUlS1P_E_NS1_11comp_targetILNS1_3genE9ELNS1_11target_archE1100ELNS1_3gpuE3ELNS1_3repE0EEENS1_30default_config_static_selectorELNS0_4arch9wavefront6targetE0EEEvS12_,"axG",@progbits,_ZN7rocprim17ROCPRIM_400000_NS6detail17trampoline_kernelINS0_13select_configILj256ELj13ELNS0_17block_load_methodE3ELS4_3ELS4_3ELNS0_20block_scan_algorithmE0ELj4294967295EEENS1_25partition_config_selectorILNS1_17partition_subalgoE4EjNS0_10empty_typeEbEEZZNS1_14partition_implILS8_4ELb0ES6_15HIP_vector_typeIjLj2EENS0_17counting_iteratorIjlEEPS9_SG_NS0_5tupleIJPjSI_NS0_16reverse_iteratorISI_EEEEENSH_IJSG_SG_SG_EEES9_SI_JZNS1_25segmented_radix_sort_implINS0_14default_configELb1EPKaPaPKlPlN2at6native12_GLOBAL__N_18offset_tEEE10hipError_tPvRmT1_PNSt15iterator_traitsIS12_E10value_typeET2_T3_PNS13_IS18_E10value_typeET4_jRbjT5_S1E_jjP12ihipStream_tbEUljE_ZNSN_ISO_Lb1ESQ_SR_ST_SU_SY_EESZ_S10_S11_S12_S16_S17_S18_S1B_S1C_jS1D_jS1E_S1E_jjS1G_bEUljE0_EEESZ_S10_S11_S18_S1C_S1E_T6_T7_T9_mT8_S1G_bDpT10_ENKUlT_T0_E_clISt17integral_constantIbLb0EES1T_IbLb1EEEEDaS1P_S1Q_EUlS1P_E_NS1_11comp_targetILNS1_3genE9ELNS1_11target_archE1100ELNS1_3gpuE3ELNS1_3repE0EEENS1_30default_config_static_selectorELNS0_4arch9wavefront6targetE0EEEvS12_,comdat
	.globl	_ZN7rocprim17ROCPRIM_400000_NS6detail17trampoline_kernelINS0_13select_configILj256ELj13ELNS0_17block_load_methodE3ELS4_3ELS4_3ELNS0_20block_scan_algorithmE0ELj4294967295EEENS1_25partition_config_selectorILNS1_17partition_subalgoE4EjNS0_10empty_typeEbEEZZNS1_14partition_implILS8_4ELb0ES6_15HIP_vector_typeIjLj2EENS0_17counting_iteratorIjlEEPS9_SG_NS0_5tupleIJPjSI_NS0_16reverse_iteratorISI_EEEEENSH_IJSG_SG_SG_EEES9_SI_JZNS1_25segmented_radix_sort_implINS0_14default_configELb1EPKaPaPKlPlN2at6native12_GLOBAL__N_18offset_tEEE10hipError_tPvRmT1_PNSt15iterator_traitsIS12_E10value_typeET2_T3_PNS13_IS18_E10value_typeET4_jRbjT5_S1E_jjP12ihipStream_tbEUljE_ZNSN_ISO_Lb1ESQ_SR_ST_SU_SY_EESZ_S10_S11_S12_S16_S17_S18_S1B_S1C_jS1D_jS1E_S1E_jjS1G_bEUljE0_EEESZ_S10_S11_S18_S1C_S1E_T6_T7_T9_mT8_S1G_bDpT10_ENKUlT_T0_E_clISt17integral_constantIbLb0EES1T_IbLb1EEEEDaS1P_S1Q_EUlS1P_E_NS1_11comp_targetILNS1_3genE9ELNS1_11target_archE1100ELNS1_3gpuE3ELNS1_3repE0EEENS1_30default_config_static_selectorELNS0_4arch9wavefront6targetE0EEEvS12_ ; -- Begin function _ZN7rocprim17ROCPRIM_400000_NS6detail17trampoline_kernelINS0_13select_configILj256ELj13ELNS0_17block_load_methodE3ELS4_3ELS4_3ELNS0_20block_scan_algorithmE0ELj4294967295EEENS1_25partition_config_selectorILNS1_17partition_subalgoE4EjNS0_10empty_typeEbEEZZNS1_14partition_implILS8_4ELb0ES6_15HIP_vector_typeIjLj2EENS0_17counting_iteratorIjlEEPS9_SG_NS0_5tupleIJPjSI_NS0_16reverse_iteratorISI_EEEEENSH_IJSG_SG_SG_EEES9_SI_JZNS1_25segmented_radix_sort_implINS0_14default_configELb1EPKaPaPKlPlN2at6native12_GLOBAL__N_18offset_tEEE10hipError_tPvRmT1_PNSt15iterator_traitsIS12_E10value_typeET2_T3_PNS13_IS18_E10value_typeET4_jRbjT5_S1E_jjP12ihipStream_tbEUljE_ZNSN_ISO_Lb1ESQ_SR_ST_SU_SY_EESZ_S10_S11_S12_S16_S17_S18_S1B_S1C_jS1D_jS1E_S1E_jjS1G_bEUljE0_EEESZ_S10_S11_S18_S1C_S1E_T6_T7_T9_mT8_S1G_bDpT10_ENKUlT_T0_E_clISt17integral_constantIbLb0EES1T_IbLb1EEEEDaS1P_S1Q_EUlS1P_E_NS1_11comp_targetILNS1_3genE9ELNS1_11target_archE1100ELNS1_3gpuE3ELNS1_3repE0EEENS1_30default_config_static_selectorELNS0_4arch9wavefront6targetE0EEEvS12_
	.p2align	8
	.type	_ZN7rocprim17ROCPRIM_400000_NS6detail17trampoline_kernelINS0_13select_configILj256ELj13ELNS0_17block_load_methodE3ELS4_3ELS4_3ELNS0_20block_scan_algorithmE0ELj4294967295EEENS1_25partition_config_selectorILNS1_17partition_subalgoE4EjNS0_10empty_typeEbEEZZNS1_14partition_implILS8_4ELb0ES6_15HIP_vector_typeIjLj2EENS0_17counting_iteratorIjlEEPS9_SG_NS0_5tupleIJPjSI_NS0_16reverse_iteratorISI_EEEEENSH_IJSG_SG_SG_EEES9_SI_JZNS1_25segmented_radix_sort_implINS0_14default_configELb1EPKaPaPKlPlN2at6native12_GLOBAL__N_18offset_tEEE10hipError_tPvRmT1_PNSt15iterator_traitsIS12_E10value_typeET2_T3_PNS13_IS18_E10value_typeET4_jRbjT5_S1E_jjP12ihipStream_tbEUljE_ZNSN_ISO_Lb1ESQ_SR_ST_SU_SY_EESZ_S10_S11_S12_S16_S17_S18_S1B_S1C_jS1D_jS1E_S1E_jjS1G_bEUljE0_EEESZ_S10_S11_S18_S1C_S1E_T6_T7_T9_mT8_S1G_bDpT10_ENKUlT_T0_E_clISt17integral_constantIbLb0EES1T_IbLb1EEEEDaS1P_S1Q_EUlS1P_E_NS1_11comp_targetILNS1_3genE9ELNS1_11target_archE1100ELNS1_3gpuE3ELNS1_3repE0EEENS1_30default_config_static_selectorELNS0_4arch9wavefront6targetE0EEEvS12_,@function
_ZN7rocprim17ROCPRIM_400000_NS6detail17trampoline_kernelINS0_13select_configILj256ELj13ELNS0_17block_load_methodE3ELS4_3ELS4_3ELNS0_20block_scan_algorithmE0ELj4294967295EEENS1_25partition_config_selectorILNS1_17partition_subalgoE4EjNS0_10empty_typeEbEEZZNS1_14partition_implILS8_4ELb0ES6_15HIP_vector_typeIjLj2EENS0_17counting_iteratorIjlEEPS9_SG_NS0_5tupleIJPjSI_NS0_16reverse_iteratorISI_EEEEENSH_IJSG_SG_SG_EEES9_SI_JZNS1_25segmented_radix_sort_implINS0_14default_configELb1EPKaPaPKlPlN2at6native12_GLOBAL__N_18offset_tEEE10hipError_tPvRmT1_PNSt15iterator_traitsIS12_E10value_typeET2_T3_PNS13_IS18_E10value_typeET4_jRbjT5_S1E_jjP12ihipStream_tbEUljE_ZNSN_ISO_Lb1ESQ_SR_ST_SU_SY_EESZ_S10_S11_S12_S16_S17_S18_S1B_S1C_jS1D_jS1E_S1E_jjS1G_bEUljE0_EEESZ_S10_S11_S18_S1C_S1E_T6_T7_T9_mT8_S1G_bDpT10_ENKUlT_T0_E_clISt17integral_constantIbLb0EES1T_IbLb1EEEEDaS1P_S1Q_EUlS1P_E_NS1_11comp_targetILNS1_3genE9ELNS1_11target_archE1100ELNS1_3gpuE3ELNS1_3repE0EEENS1_30default_config_static_selectorELNS0_4arch9wavefront6targetE0EEEvS12_: ; @_ZN7rocprim17ROCPRIM_400000_NS6detail17trampoline_kernelINS0_13select_configILj256ELj13ELNS0_17block_load_methodE3ELS4_3ELS4_3ELNS0_20block_scan_algorithmE0ELj4294967295EEENS1_25partition_config_selectorILNS1_17partition_subalgoE4EjNS0_10empty_typeEbEEZZNS1_14partition_implILS8_4ELb0ES6_15HIP_vector_typeIjLj2EENS0_17counting_iteratorIjlEEPS9_SG_NS0_5tupleIJPjSI_NS0_16reverse_iteratorISI_EEEEENSH_IJSG_SG_SG_EEES9_SI_JZNS1_25segmented_radix_sort_implINS0_14default_configELb1EPKaPaPKlPlN2at6native12_GLOBAL__N_18offset_tEEE10hipError_tPvRmT1_PNSt15iterator_traitsIS12_E10value_typeET2_T3_PNS13_IS18_E10value_typeET4_jRbjT5_S1E_jjP12ihipStream_tbEUljE_ZNSN_ISO_Lb1ESQ_SR_ST_SU_SY_EESZ_S10_S11_S12_S16_S17_S18_S1B_S1C_jS1D_jS1E_S1E_jjS1G_bEUljE0_EEESZ_S10_S11_S18_S1C_S1E_T6_T7_T9_mT8_S1G_bDpT10_ENKUlT_T0_E_clISt17integral_constantIbLb0EES1T_IbLb1EEEEDaS1P_S1Q_EUlS1P_E_NS1_11comp_targetILNS1_3genE9ELNS1_11target_archE1100ELNS1_3gpuE3ELNS1_3repE0EEENS1_30default_config_static_selectorELNS0_4arch9wavefront6targetE0EEEvS12_
; %bb.0:
	s_clause 0x7
	s_load_b64 s[34:35], s[0:1], 0x10
	s_load_b128 s[28:31], s[0:1], 0x28
	s_load_b64 s[14:15], s[0:1], 0x38
	s_load_b128 s[24:27], s[0:1], 0x58
	s_load_b64 s[4:5], s[0:1], 0x68
	s_load_b64 s[36:37], s[0:1], 0x78
	;; [unrolled: 1-line block ×3, first 2 shown]
	s_load_b256 s[16:23], s[0:1], 0x90
	v_cmp_eq_u32_e64 s2, 0, v0
	s_delay_alu instid0(VALU_DEP_1)
	s_and_saveexec_b32 s3, s2
	s_cbranch_execz .LBB256_4
; %bb.1:
	s_mov_b32 s7, exec_lo
	s_mov_b32 s6, exec_lo
	v_mbcnt_lo_u32_b32 v1, s7, 0
                                        ; implicit-def: $vgpr2
	s_delay_alu instid0(VALU_DEP_1)
	v_cmpx_eq_u32_e32 0, v1
	s_cbranch_execz .LBB256_3
; %bb.2:
	s_load_b64 s[8:9], s[0:1], 0x88
	s_bcnt1_i32_b32 s7, s7
	s_delay_alu instid0(SALU_CYCLE_1)
	v_dual_mov_b32 v2, 0 :: v_dual_mov_b32 v3, s7
	s_waitcnt lgkmcnt(0)
	global_atomic_add_u32 v2, v2, v3, s[8:9] glc
.LBB256_3:
	s_or_b32 exec_lo, exec_lo, s6
	s_waitcnt vmcnt(0)
	v_readfirstlane_b32 s6, v2
	s_delay_alu instid0(VALU_DEP_1)
	v_dual_mov_b32 v2, 0 :: v_dual_add_nc_u32 v1, s6, v1
	ds_store_b32 v2, v1
.LBB256_4:
	s_or_b32 exec_lo, exec_lo, s3
	v_mov_b32_e32 v1, 0
	s_clause 0x1
	s_load_b32 s3, s[0:1], 0x8
	s_load_b32 s0, s[0:1], 0x80
	s_waitcnt lgkmcnt(0)
	s_barrier
	buffer_gl0_inv
	ds_load_b32 v5, v1
	s_waitcnt lgkmcnt(0)
	s_barrier
	buffer_gl0_inv
	global_load_b128 v[1:4], v1, s[26:27]
	s_add_i32 s3, s3, s34
	s_mul_i32 s1, s0, 0xd00
	s_add_i32 s0, s0, -1
	s_add_u32 s6, s34, s1
	s_addc_u32 s7, s35, 0
	v_mul_lo_u32 v30, 0xd00, v5
	v_readfirstlane_b32 s26, v5
	v_cmp_lt_u64_e64 s5, s[6:7], s[4:5]
	v_cmp_ne_u32_e32 vcc_lo, s0, v5
	s_delay_alu instid0(VALU_DEP_3) | instskip(SKIP_1) | instid1(VALU_DEP_4)
	s_cmp_eq_u32 s26, s0
	s_cselect_b32 s13, -1, 0
	v_add3_u32 v5, v30, s3, v0
	s_delay_alu instid0(VALU_DEP_3) | instskip(SKIP_2) | instid1(VALU_DEP_1)
	s_or_b32 s0, s5, vcc_lo
	s_mov_b32 s3, -1
	s_and_b32 vcc_lo, exec_lo, s0
	v_add_nc_u32_e32 v6, 0x100, v5
	v_add_nc_u32_e32 v7, 0x200, v5
	;; [unrolled: 1-line block ×12, first 2 shown]
	s_cbranch_vccz .LBB256_6
; %bb.5:
	v_lshlrev_b32_e32 v18, 2, v0
	s_mov_b32 s3, 0
	ds_store_2addr_stride64_b32 v18, v5, v6 offset1:4
	ds_store_2addr_stride64_b32 v18, v7, v8 offset0:8 offset1:12
	ds_store_2addr_stride64_b32 v18, v9, v10 offset0:16 offset1:20
	;; [unrolled: 1-line block ×5, first 2 shown]
	ds_store_b32 v18, v17 offset:12288
	s_waitcnt vmcnt(0) lgkmcnt(0)
	s_barrier
.LBB256_6:
	s_and_not1_b32 vcc_lo, exec_lo, s3
	s_add_i32 s1, s1, s34
	s_cbranch_vccnz .LBB256_8
; %bb.7:
	v_lshlrev_b32_e32 v18, 2, v0
	ds_store_2addr_stride64_b32 v18, v5, v6 offset1:4
	ds_store_2addr_stride64_b32 v18, v7, v8 offset0:8 offset1:12
	ds_store_2addr_stride64_b32 v18, v9, v10 offset0:16 offset1:20
	;; [unrolled: 1-line block ×5, first 2 shown]
	ds_store_b32 v18, v17 offset:12288
	s_waitcnt vmcnt(0) lgkmcnt(0)
	s_barrier
.LBB256_8:
	v_mul_u32_u24_e32 v33, 13, v0
	s_waitcnt vmcnt(0)
	buffer_gl0_inv
	v_cndmask_b32_e64 v31, 0, 1, s0
	s_sub_i32 s40, s4, s1
	s_and_not1_b32 vcc_lo, exec_lo, s0
	v_lshlrev_b32_e32 v5, 2, v33
	ds_load_2addr_b32 v[20:21], v5 offset1:1
	ds_load_2addr_b32 v[18:19], v5 offset0:2 offset1:3
	ds_load_2addr_b32 v[16:17], v5 offset0:4 offset1:5
	;; [unrolled: 1-line block ×5, first 2 shown]
	ds_load_b32 v32, v5 offset:48
	s_waitcnt lgkmcnt(0)
	s_barrier
	buffer_gl0_inv
	s_cbranch_vccnz .LBB256_36
; %bb.9:
	v_add_nc_u32_e32 v5, s17, v20
	v_add_nc_u32_e32 v6, s19, v20
	s_mov_b32 s42, 0
	s_mov_b32 s41, 0
	s_mov_b32 s1, exec_lo
	v_mul_lo_u32 v5, v5, s16
	v_mul_lo_u32 v6, v6, s18
	s_delay_alu instid0(VALU_DEP_1) | instskip(NEXT) | instid1(VALU_DEP_1)
	v_sub_nc_u32_e32 v5, v5, v6
	v_cmp_lt_u32_e32 vcc_lo, s20, v5
	v_cmpx_ge_u32_e64 s20, v5
; %bb.10:
	v_add_nc_u32_e32 v5, s22, v20
	v_add_nc_u32_e32 v6, s38, v20
	s_delay_alu instid0(VALU_DEP_2) | instskip(NEXT) | instid1(VALU_DEP_2)
	v_mul_lo_u32 v5, v5, s21
	v_mul_lo_u32 v6, v6, s23
	s_delay_alu instid0(VALU_DEP_1) | instskip(NEXT) | instid1(VALU_DEP_1)
	v_sub_nc_u32_e32 v5, v5, v6
	v_cmp_lt_u32_e64 s0, s39, v5
	s_delay_alu instid0(VALU_DEP_1)
	s_and_b32 s41, s0, exec_lo
; %bb.11:
	s_or_b32 exec_lo, exec_lo, s1
	v_add_nc_u32_e32 v5, s17, v21
	v_add_nc_u32_e32 v6, s19, v21
	s_mov_b32 s3, exec_lo
	s_delay_alu instid0(VALU_DEP_2) | instskip(NEXT) | instid1(VALU_DEP_2)
	v_mul_lo_u32 v5, v5, s16
	v_mul_lo_u32 v6, v6, s18
	s_delay_alu instid0(VALU_DEP_1) | instskip(NEXT) | instid1(VALU_DEP_1)
	v_sub_nc_u32_e32 v5, v5, v6
	v_cmp_lt_u32_e64 s0, s20, v5
	v_cmpx_ge_u32_e64 s20, v5
; %bb.12:
	v_add_nc_u32_e32 v5, s22, v21
	v_add_nc_u32_e32 v6, s38, v21
	s_delay_alu instid0(VALU_DEP_2) | instskip(NEXT) | instid1(VALU_DEP_2)
	v_mul_lo_u32 v5, v5, s21
	v_mul_lo_u32 v6, v6, s23
	s_delay_alu instid0(VALU_DEP_1) | instskip(NEXT) | instid1(VALU_DEP_1)
	v_sub_nc_u32_e32 v5, v5, v6
	v_cmp_lt_u32_e64 s1, s39, v5
	s_delay_alu instid0(VALU_DEP_1)
	s_and_b32 s42, s1, exec_lo
; %bb.13:
	s_or_b32 exec_lo, exec_lo, s3
	v_add_nc_u32_e32 v5, s17, v18
	v_add_nc_u32_e32 v6, s19, v18
	s_mov_b32 s44, 0
	s_mov_b32 s43, 0
	s_mov_b32 s4, exec_lo
	v_mul_lo_u32 v5, v5, s16
	v_mul_lo_u32 v6, v6, s18
	s_delay_alu instid0(VALU_DEP_1) | instskip(NEXT) | instid1(VALU_DEP_1)
	v_sub_nc_u32_e32 v5, v5, v6
	v_cmp_lt_u32_e64 s1, s20, v5
	v_cmpx_ge_u32_e64 s20, v5
; %bb.14:
	v_add_nc_u32_e32 v5, s22, v18
	v_add_nc_u32_e32 v6, s38, v18
	s_delay_alu instid0(VALU_DEP_2) | instskip(NEXT) | instid1(VALU_DEP_2)
	v_mul_lo_u32 v5, v5, s21
	v_mul_lo_u32 v6, v6, s23
	s_delay_alu instid0(VALU_DEP_1) | instskip(NEXT) | instid1(VALU_DEP_1)
	v_sub_nc_u32_e32 v5, v5, v6
	v_cmp_lt_u32_e64 s3, s39, v5
	s_delay_alu instid0(VALU_DEP_1)
	s_and_b32 s43, s3, exec_lo
; %bb.15:
	s_or_b32 exec_lo, exec_lo, s4
	v_add_nc_u32_e32 v5, s17, v19
	v_add_nc_u32_e32 v6, s19, v19
	s_mov_b32 s5, exec_lo
	s_delay_alu instid0(VALU_DEP_2) | instskip(NEXT) | instid1(VALU_DEP_2)
	v_mul_lo_u32 v5, v5, s16
	v_mul_lo_u32 v6, v6, s18
	s_delay_alu instid0(VALU_DEP_1) | instskip(NEXT) | instid1(VALU_DEP_1)
	v_sub_nc_u32_e32 v5, v5, v6
	v_cmp_lt_u32_e64 s3, s20, v5
	v_cmpx_ge_u32_e64 s20, v5
; %bb.16:
	v_add_nc_u32_e32 v5, s22, v19
	v_add_nc_u32_e32 v6, s38, v19
	s_delay_alu instid0(VALU_DEP_2) | instskip(NEXT) | instid1(VALU_DEP_2)
	v_mul_lo_u32 v5, v5, s21
	v_mul_lo_u32 v6, v6, s23
	s_delay_alu instid0(VALU_DEP_1) | instskip(NEXT) | instid1(VALU_DEP_1)
	v_sub_nc_u32_e32 v5, v5, v6
	v_cmp_lt_u32_e64 s4, s39, v5
	s_delay_alu instid0(VALU_DEP_1)
	s_and_b32 s44, s4, exec_lo
; %bb.17:
	s_or_b32 exec_lo, exec_lo, s5
	v_add_nc_u32_e32 v5, s17, v16
	v_add_nc_u32_e32 v6, s19, v16
	s_mov_b32 s46, 0
	s_mov_b32 s45, 0
	s_mov_b32 s6, exec_lo
	v_mul_lo_u32 v5, v5, s16
	v_mul_lo_u32 v6, v6, s18
	s_delay_alu instid0(VALU_DEP_1) | instskip(NEXT) | instid1(VALU_DEP_1)
	v_sub_nc_u32_e32 v5, v5, v6
	v_cmp_lt_u32_e64 s4, s20, v5
	;; [unrolled: 47-line block ×5, first 2 shown]
	v_cmpx_ge_u32_e64 s20, v5
; %bb.30:
	v_add_nc_u32_e32 v5, s22, v10
	v_add_nc_u32_e32 v6, s38, v10
	s_delay_alu instid0(VALU_DEP_2) | instskip(NEXT) | instid1(VALU_DEP_2)
	v_mul_lo_u32 v5, v5, s21
	v_mul_lo_u32 v6, v6, s23
	s_delay_alu instid0(VALU_DEP_1) | instskip(NEXT) | instid1(VALU_DEP_1)
	v_sub_nc_u32_e32 v5, v5, v6
	v_cmp_lt_u32_e64 s11, s39, v5
	s_delay_alu instid0(VALU_DEP_1)
	s_and_b32 s53, s11, exec_lo
; %bb.31:
	s_or_b32 exec_lo, exec_lo, s12
	v_add_nc_u32_e32 v5, s17, v11
	v_add_nc_u32_e32 v6, s19, v11
	s_mov_b32 s27, exec_lo
	s_delay_alu instid0(VALU_DEP_2) | instskip(NEXT) | instid1(VALU_DEP_2)
	v_mul_lo_u32 v5, v5, s16
	v_mul_lo_u32 v6, v6, s18
	s_delay_alu instid0(VALU_DEP_1) | instskip(NEXT) | instid1(VALU_DEP_1)
	v_sub_nc_u32_e32 v5, v5, v6
	v_cmp_lt_u32_e64 s11, s20, v5
	v_cmpx_ge_u32_e64 s20, v5
; %bb.32:
	v_add_nc_u32_e32 v5, s22, v11
	v_add_nc_u32_e32 v6, s38, v11
	s_delay_alu instid0(VALU_DEP_2) | instskip(NEXT) | instid1(VALU_DEP_2)
	v_mul_lo_u32 v5, v5, s21
	v_mul_lo_u32 v6, v6, s23
	s_delay_alu instid0(VALU_DEP_1) | instskip(NEXT) | instid1(VALU_DEP_1)
	v_sub_nc_u32_e32 v5, v5, v6
	v_cmp_lt_u32_e64 s12, s39, v5
	s_delay_alu instid0(VALU_DEP_1)
	s_and_b32 s52, s12, exec_lo
; %bb.33:
	s_or_b32 exec_lo, exec_lo, s27
	v_add_nc_u32_e32 v5, s17, v32
	v_add_nc_u32_e32 v6, s19, v32
	s_mov_b32 s27, -1
	s_mov_b32 s49, 0
	s_mov_b32 s33, 0
	v_mul_lo_u32 v5, v5, s16
	v_mul_lo_u32 v6, v6, s18
	s_mov_b32 s54, exec_lo
	s_delay_alu instid0(VALU_DEP_1) | instskip(NEXT) | instid1(VALU_DEP_1)
	v_sub_nc_u32_e32 v5, v5, v6
	v_cmpx_ge_u32_e64 s20, v5
; %bb.34:
	v_add_nc_u32_e32 v5, s22, v32
	v_add_nc_u32_e32 v6, s38, v32
	s_xor_b32 s27, exec_lo, -1
	s_delay_alu instid0(VALU_DEP_2) | instskip(NEXT) | instid1(VALU_DEP_2)
	v_mul_lo_u32 v5, v5, s21
	v_mul_lo_u32 v6, v6, s23
	s_delay_alu instid0(VALU_DEP_1) | instskip(NEXT) | instid1(VALU_DEP_1)
	v_sub_nc_u32_e32 v5, v5, v6
	v_cmp_lt_u32_e64 s12, s39, v5
	s_delay_alu instid0(VALU_DEP_1)
	s_and_b32 s33, s12, exec_lo
; %bb.35:
	s_or_b32 exec_lo, exec_lo, s54
	v_cndmask_b32_e64 v53, 0, 1, s53
	v_cndmask_b32_e64 v56, 0, 1, s11
	;; [unrolled: 1-line block ×22, first 2 shown]
	v_cndmask_b32_e64 v34, 0, 1, vcc_lo
	v_cndmask_b32_e64 v57, 0, 1, s52
	s_and_b32 vcc_lo, exec_lo, s49
	s_add_i32 s4, s40, 0xd00
	s_cbranch_vccnz .LBB256_37
	s_branch .LBB256_90
.LBB256_36:
                                        ; implicit-def: $sgpr27
                                        ; implicit-def: $sgpr33
                                        ; implicit-def: $vgpr57
                                        ; implicit-def: $vgpr53
                                        ; implicit-def: $vgpr52
                                        ; implicit-def: $vgpr50
                                        ; implicit-def: $vgpr48
                                        ; implicit-def: $vgpr46
                                        ; implicit-def: $vgpr44
                                        ; implicit-def: $vgpr42
                                        ; implicit-def: $vgpr39
                                        ; implicit-def: $vgpr34
                                        ; implicit-def: $vgpr37
                                        ; implicit-def: $vgpr36
                                        ; implicit-def: $vgpr41
                                        ; implicit-def: $vgpr43
                                        ; implicit-def: $vgpr45
                                        ; implicit-def: $vgpr47
                                        ; implicit-def: $vgpr49
                                        ; implicit-def: $vgpr51
                                        ; implicit-def: $vgpr54
                                        ; implicit-def: $vgpr55
                                        ; implicit-def: $vgpr56
                                        ; implicit-def: $vgpr35
                                        ; implicit-def: $vgpr40
                                        ; implicit-def: $vgpr38
	s_add_i32 s4, s40, 0xd00
	s_cbranch_execz .LBB256_90
.LBB256_37:
	v_dual_mov_b32 v35, 0 :: v_dual_mov_b32 v34, 0
	s_mov_b32 s3, 0
	s_mov_b32 s1, exec_lo
	v_cmpx_gt_u32_e64 s4, v33
	s_cbranch_execz .LBB256_41
; %bb.38:
	v_add_nc_u32_e32 v5, s17, v20
	v_add_nc_u32_e32 v6, s19, v20
	s_mov_b32 s5, exec_lo
	s_delay_alu instid0(VALU_DEP_2) | instskip(NEXT) | instid1(VALU_DEP_2)
	v_mul_lo_u32 v5, v5, s16
	v_mul_lo_u32 v6, v6, s18
	s_delay_alu instid0(VALU_DEP_1) | instskip(NEXT) | instid1(VALU_DEP_1)
	v_sub_nc_u32_e32 v5, v5, v6
	v_cmp_lt_u32_e32 vcc_lo, s20, v5
	v_cmpx_ge_u32_e64 s20, v5
; %bb.39:
	v_add_nc_u32_e32 v5, s22, v20
	v_add_nc_u32_e32 v6, s38, v20
	s_delay_alu instid0(VALU_DEP_2) | instskip(NEXT) | instid1(VALU_DEP_2)
	v_mul_lo_u32 v5, v5, s21
	v_mul_lo_u32 v6, v6, s23
	s_delay_alu instid0(VALU_DEP_1) | instskip(NEXT) | instid1(VALU_DEP_1)
	v_sub_nc_u32_e32 v5, v5, v6
	v_cmp_lt_u32_e64 s0, s39, v5
	s_delay_alu instid0(VALU_DEP_1)
	s_and_b32 s3, s0, exec_lo
; %bb.40:
	s_or_b32 exec_lo, exec_lo, s5
	v_cndmask_b32_e64 v34, 0, 1, vcc_lo
	v_cndmask_b32_e64 v35, 0, 1, s3
.LBB256_41:
	s_or_b32 exec_lo, exec_lo, s1
	v_dual_mov_b32 v40, 0 :: v_dual_add_nc_u32 v5, 1, v33
	v_mov_b32_e32 v37, 0
	s_mov_b32 s3, 0
	s_mov_b32 s1, exec_lo
	s_delay_alu instid0(VALU_DEP_2)
	v_cmpx_gt_u32_e64 s4, v5
	s_cbranch_execz .LBB256_45
; %bb.42:
	v_add_nc_u32_e32 v5, s17, v21
	v_add_nc_u32_e32 v6, s19, v21
	s_mov_b32 s5, exec_lo
	s_delay_alu instid0(VALU_DEP_2) | instskip(NEXT) | instid1(VALU_DEP_2)
	v_mul_lo_u32 v5, v5, s16
	v_mul_lo_u32 v6, v6, s18
	s_delay_alu instid0(VALU_DEP_1) | instskip(NEXT) | instid1(VALU_DEP_1)
	v_sub_nc_u32_e32 v5, v5, v6
	v_cmp_lt_u32_e32 vcc_lo, s20, v5
	v_cmpx_ge_u32_e64 s20, v5
; %bb.43:
	v_add_nc_u32_e32 v5, s22, v21
	v_add_nc_u32_e32 v6, s38, v21
	s_delay_alu instid0(VALU_DEP_2) | instskip(NEXT) | instid1(VALU_DEP_2)
	v_mul_lo_u32 v5, v5, s21
	v_mul_lo_u32 v6, v6, s23
	s_delay_alu instid0(VALU_DEP_1) | instskip(NEXT) | instid1(VALU_DEP_1)
	v_sub_nc_u32_e32 v5, v5, v6
	v_cmp_lt_u32_e64 s0, s39, v5
	s_delay_alu instid0(VALU_DEP_1)
	s_and_b32 s3, s0, exec_lo
; %bb.44:
	s_or_b32 exec_lo, exec_lo, s5
	v_cndmask_b32_e64 v37, 0, 1, vcc_lo
	v_cndmask_b32_e64 v40, 0, 1, s3
.LBB256_45:
	s_or_b32 exec_lo, exec_lo, s1
	v_dual_mov_b32 v36, 0 :: v_dual_add_nc_u32 v5, 2, v33
	v_mov_b32_e32 v38, 0
	s_mov_b32 s3, 0
	s_mov_b32 s1, exec_lo
	s_delay_alu instid0(VALU_DEP_2)
	v_cmpx_gt_u32_e64 s4, v5
	s_cbranch_execz .LBB256_49
; %bb.46:
	v_add_nc_u32_e32 v5, s17, v18
	v_add_nc_u32_e32 v6, s19, v18
	s_mov_b32 s5, exec_lo
	s_delay_alu instid0(VALU_DEP_2) | instskip(NEXT) | instid1(VALU_DEP_2)
	v_mul_lo_u32 v5, v5, s16
	v_mul_lo_u32 v6, v6, s18
	s_delay_alu instid0(VALU_DEP_1) | instskip(NEXT) | instid1(VALU_DEP_1)
	v_sub_nc_u32_e32 v5, v5, v6
	v_cmp_lt_u32_e32 vcc_lo, s20, v5
	v_cmpx_ge_u32_e64 s20, v5
; %bb.47:
	v_add_nc_u32_e32 v5, s22, v18
	v_add_nc_u32_e32 v6, s38, v18
	s_delay_alu instid0(VALU_DEP_2) | instskip(NEXT) | instid1(VALU_DEP_2)
	v_mul_lo_u32 v5, v5, s21
	v_mul_lo_u32 v6, v6, s23
	s_delay_alu instid0(VALU_DEP_1) | instskip(NEXT) | instid1(VALU_DEP_1)
	v_sub_nc_u32_e32 v5, v5, v6
	v_cmp_lt_u32_e64 s0, s39, v5
	s_delay_alu instid0(VALU_DEP_1)
	s_and_b32 s3, s0, exec_lo
; %bb.48:
	s_or_b32 exec_lo, exec_lo, s5
	v_cndmask_b32_e64 v36, 0, 1, vcc_lo
	v_cndmask_b32_e64 v38, 0, 1, s3
.LBB256_49:
	s_or_b32 exec_lo, exec_lo, s1
	v_add_nc_u32_e32 v5, 3, v33
	v_mov_b32_e32 v39, 0
	v_mov_b32_e32 v41, 0
	s_mov_b32 s3, 0
	s_mov_b32 s1, exec_lo
	v_cmpx_gt_u32_e64 s4, v5
	s_cbranch_execz .LBB256_53
; %bb.50:
	v_add_nc_u32_e32 v5, s17, v19
	v_add_nc_u32_e32 v6, s19, v19
	s_mov_b32 s5, exec_lo
	s_delay_alu instid0(VALU_DEP_2) | instskip(NEXT) | instid1(VALU_DEP_2)
	v_mul_lo_u32 v5, v5, s16
	v_mul_lo_u32 v6, v6, s18
	s_delay_alu instid0(VALU_DEP_1) | instskip(NEXT) | instid1(VALU_DEP_1)
	v_sub_nc_u32_e32 v5, v5, v6
	v_cmp_lt_u32_e32 vcc_lo, s20, v5
	v_cmpx_ge_u32_e64 s20, v5
; %bb.51:
	v_add_nc_u32_e32 v5, s22, v19
	v_add_nc_u32_e32 v6, s38, v19
	s_delay_alu instid0(VALU_DEP_2) | instskip(NEXT) | instid1(VALU_DEP_2)
	v_mul_lo_u32 v5, v5, s21
	v_mul_lo_u32 v6, v6, s23
	s_delay_alu instid0(VALU_DEP_1) | instskip(NEXT) | instid1(VALU_DEP_1)
	v_sub_nc_u32_e32 v5, v5, v6
	v_cmp_lt_u32_e64 s0, s39, v5
	s_delay_alu instid0(VALU_DEP_1)
	s_and_b32 s3, s0, exec_lo
; %bb.52:
	s_or_b32 exec_lo, exec_lo, s5
	v_cndmask_b32_e64 v41, 0, 1, vcc_lo
	v_cndmask_b32_e64 v39, 0, 1, s3
.LBB256_53:
	s_or_b32 exec_lo, exec_lo, s1
	v_dual_mov_b32 v42, 0 :: v_dual_add_nc_u32 v5, 4, v33
	v_mov_b32_e32 v43, 0
	s_mov_b32 s3, 0
	s_mov_b32 s1, exec_lo
	s_delay_alu instid0(VALU_DEP_2)
	v_cmpx_gt_u32_e64 s4, v5
	s_cbranch_execz .LBB256_57
; %bb.54:
	v_add_nc_u32_e32 v5, s17, v16
	v_add_nc_u32_e32 v6, s19, v16
	s_mov_b32 s5, exec_lo
	s_delay_alu instid0(VALU_DEP_2) | instskip(NEXT) | instid1(VALU_DEP_2)
	v_mul_lo_u32 v5, v5, s16
	v_mul_lo_u32 v6, v6, s18
	s_delay_alu instid0(VALU_DEP_1) | instskip(NEXT) | instid1(VALU_DEP_1)
	v_sub_nc_u32_e32 v5, v5, v6
	v_cmp_lt_u32_e32 vcc_lo, s20, v5
	v_cmpx_ge_u32_e64 s20, v5
; %bb.55:
	v_add_nc_u32_e32 v5, s22, v16
	v_add_nc_u32_e32 v6, s38, v16
	s_delay_alu instid0(VALU_DEP_2) | instskip(NEXT) | instid1(VALU_DEP_2)
	v_mul_lo_u32 v5, v5, s21
	v_mul_lo_u32 v6, v6, s23
	s_delay_alu instid0(VALU_DEP_1) | instskip(NEXT) | instid1(VALU_DEP_1)
	v_sub_nc_u32_e32 v5, v5, v6
	v_cmp_lt_u32_e64 s0, s39, v5
	s_delay_alu instid0(VALU_DEP_1)
	s_and_b32 s3, s0, exec_lo
; %bb.56:
	s_or_b32 exec_lo, exec_lo, s5
	v_cndmask_b32_e64 v43, 0, 1, vcc_lo
	v_cndmask_b32_e64 v42, 0, 1, s3
.LBB256_57:
	s_or_b32 exec_lo, exec_lo, s1
	v_dual_mov_b32 v44, 0 :: v_dual_add_nc_u32 v5, 5, v33
	v_mov_b32_e32 v45, 0
	s_mov_b32 s3, 0
	s_mov_b32 s1, exec_lo
	s_delay_alu instid0(VALU_DEP_2)
	;; [unrolled: 35-line block ×6, first 2 shown]
	v_cmpx_gt_u32_e64 s4, v5
	s_cbranch_execz .LBB256_77
; %bb.74:
	v_add_nc_u32_e32 v5, s17, v13
	v_add_nc_u32_e32 v6, s19, v13
	s_mov_b32 s5, exec_lo
	s_delay_alu instid0(VALU_DEP_2) | instskip(NEXT) | instid1(VALU_DEP_2)
	v_mul_lo_u32 v5, v5, s16
	v_mul_lo_u32 v6, v6, s18
	s_delay_alu instid0(VALU_DEP_1) | instskip(NEXT) | instid1(VALU_DEP_1)
	v_sub_nc_u32_e32 v5, v5, v6
	v_cmp_lt_u32_e32 vcc_lo, s20, v5
	v_cmpx_ge_u32_e64 s20, v5
; %bb.75:
	v_add_nc_u32_e32 v5, s22, v13
	v_add_nc_u32_e32 v6, s38, v13
	s_delay_alu instid0(VALU_DEP_2) | instskip(NEXT) | instid1(VALU_DEP_2)
	v_mul_lo_u32 v5, v5, s21
	v_mul_lo_u32 v6, v6, s23
	s_delay_alu instid0(VALU_DEP_1) | instskip(NEXT) | instid1(VALU_DEP_1)
	v_sub_nc_u32_e32 v5, v5, v6
	v_cmp_lt_u32_e64 s0, s39, v5
	s_delay_alu instid0(VALU_DEP_1)
	s_and_b32 s3, s0, exec_lo
; %bb.76:
	s_or_b32 exec_lo, exec_lo, s5
	v_cndmask_b32_e64 v54, 0, 1, vcc_lo
	v_cndmask_b32_e64 v52, 0, 1, s3
.LBB256_77:
	s_or_b32 exec_lo, exec_lo, s1
	v_add_nc_u32_e32 v5, 10, v33
	v_mov_b32_e32 v53, 0
	v_mov_b32_e32 v55, 0
	s_mov_b32 s3, 0
	s_mov_b32 s1, exec_lo
	v_cmpx_gt_u32_e64 s4, v5
	s_cbranch_execz .LBB256_81
; %bb.78:
	v_add_nc_u32_e32 v5, s17, v10
	v_add_nc_u32_e32 v6, s19, v10
	s_mov_b32 s5, exec_lo
	s_delay_alu instid0(VALU_DEP_2) | instskip(NEXT) | instid1(VALU_DEP_2)
	v_mul_lo_u32 v5, v5, s16
	v_mul_lo_u32 v6, v6, s18
	s_delay_alu instid0(VALU_DEP_1) | instskip(NEXT) | instid1(VALU_DEP_1)
	v_sub_nc_u32_e32 v5, v5, v6
	v_cmp_lt_u32_e32 vcc_lo, s20, v5
	v_cmpx_ge_u32_e64 s20, v5
; %bb.79:
	v_add_nc_u32_e32 v5, s22, v10
	v_add_nc_u32_e32 v6, s38, v10
	s_delay_alu instid0(VALU_DEP_2) | instskip(NEXT) | instid1(VALU_DEP_2)
	v_mul_lo_u32 v5, v5, s21
	v_mul_lo_u32 v6, v6, s23
	s_delay_alu instid0(VALU_DEP_1) | instskip(NEXT) | instid1(VALU_DEP_1)
	v_sub_nc_u32_e32 v5, v5, v6
	v_cmp_lt_u32_e64 s0, s39, v5
	s_delay_alu instid0(VALU_DEP_1)
	s_and_b32 s3, s0, exec_lo
; %bb.80:
	s_or_b32 exec_lo, exec_lo, s5
	v_cndmask_b32_e64 v55, 0, 1, vcc_lo
	v_cndmask_b32_e64 v53, 0, 1, s3
.LBB256_81:
	s_or_b32 exec_lo, exec_lo, s1
	v_dual_mov_b32 v56, 0 :: v_dual_add_nc_u32 v5, 11, v33
	v_mov_b32_e32 v57, 0
	s_mov_b32 s3, 0
	s_mov_b32 s1, exec_lo
	s_delay_alu instid0(VALU_DEP_2)
	v_cmpx_gt_u32_e64 s4, v5
	s_cbranch_execz .LBB256_85
; %bb.82:
	v_add_nc_u32_e32 v5, s17, v11
	v_add_nc_u32_e32 v6, s19, v11
	s_mov_b32 s5, exec_lo
	s_delay_alu instid0(VALU_DEP_2) | instskip(NEXT) | instid1(VALU_DEP_2)
	v_mul_lo_u32 v5, v5, s16
	v_mul_lo_u32 v6, v6, s18
	s_delay_alu instid0(VALU_DEP_1) | instskip(NEXT) | instid1(VALU_DEP_1)
	v_sub_nc_u32_e32 v5, v5, v6
	v_cmp_lt_u32_e32 vcc_lo, s20, v5
	v_cmpx_ge_u32_e64 s20, v5
; %bb.83:
	v_add_nc_u32_e32 v5, s22, v11
	v_add_nc_u32_e32 v6, s38, v11
	s_delay_alu instid0(VALU_DEP_2) | instskip(NEXT) | instid1(VALU_DEP_2)
	v_mul_lo_u32 v5, v5, s21
	v_mul_lo_u32 v6, v6, s23
	s_delay_alu instid0(VALU_DEP_1) | instskip(NEXT) | instid1(VALU_DEP_1)
	v_sub_nc_u32_e32 v5, v5, v6
	v_cmp_lt_u32_e64 s0, s39, v5
	s_delay_alu instid0(VALU_DEP_1)
	s_and_b32 s3, s0, exec_lo
; %bb.84:
	s_or_b32 exec_lo, exec_lo, s5
	v_cndmask_b32_e64 v56, 0, 1, vcc_lo
	v_cndmask_b32_e64 v57, 0, 1, s3
.LBB256_85:
	s_or_b32 exec_lo, exec_lo, s1
	v_add_nc_u32_e32 v5, 12, v33
	s_mov_b32 s27, 0
	s_mov_b32 s33, 0
	s_mov_b32 s0, exec_lo
	s_delay_alu instid0(VALU_DEP_1)
	v_cmpx_gt_u32_e64 s4, v5
	s_cbranch_execz .LBB256_89
; %bb.86:
	v_add_nc_u32_e32 v5, s17, v32
	v_add_nc_u32_e32 v6, s19, v32
	s_mov_b32 s3, -1
	s_mov_b32 s5, 0
	s_mov_b32 s1, exec_lo
	v_mul_lo_u32 v5, v5, s16
	v_mul_lo_u32 v6, v6, s18
	s_delay_alu instid0(VALU_DEP_1) | instskip(NEXT) | instid1(VALU_DEP_1)
	v_sub_nc_u32_e32 v5, v5, v6
	v_cmpx_ge_u32_e64 s20, v5
; %bb.87:
	v_add_nc_u32_e32 v5, s22, v32
	v_add_nc_u32_e32 v6, s38, v32
	s_xor_b32 s3, exec_lo, -1
	s_delay_alu instid0(VALU_DEP_2) | instskip(NEXT) | instid1(VALU_DEP_2)
	v_mul_lo_u32 v5, v5, s21
	v_mul_lo_u32 v6, v6, s23
	s_delay_alu instid0(VALU_DEP_1) | instskip(NEXT) | instid1(VALU_DEP_1)
	v_sub_nc_u32_e32 v5, v5, v6
	v_cmp_lt_u32_e32 vcc_lo, s39, v5
	s_and_b32 s5, vcc_lo, exec_lo
; %bb.88:
	s_or_b32 exec_lo, exec_lo, s1
	s_delay_alu instid0(SALU_CYCLE_1)
	s_and_b32 s33, s5, exec_lo
	s_and_b32 s27, s3, exec_lo
.LBB256_89:
	s_or_b32 exec_lo, exec_lo, s0
.LBB256_90:
	v_and_b32_e32 v80, 0xff, v34
	v_and_b32_e32 v81, 0xff, v35
	;; [unrolled: 1-line block ×10, first 2 shown]
	v_add3_u32 v5, v76, v78, v80
	v_add3_u32 v6, v77, v79, v81
	v_and_b32_e32 v70, 0xff, v45
	v_and_b32_e32 v71, 0xff, v44
	v_and_b32_e32 v64, 0xff, v47
	v_and_b32_e32 v65, 0xff, v46
	v_add3_u32 v5, v5, v74, v72
	v_add3_u32 v6, v6, v75, v73
	v_and_b32_e32 v68, 0xff, v49
	v_and_b32_e32 v69, 0xff, v48
	v_and_b32_e32 v66, 0xff, v51
	v_and_b32_e32 v67, 0xff, v50
	;; [unrolled: 6-line block ×3, first 2 shown]
	v_add3_u32 v5, v5, v68, v66
	v_add3_u32 v6, v6, v69, v67
	v_mbcnt_lo_u32_b32 v82, -1, 0
	v_and_b32_e32 v58, 0xff, v56
	v_and_b32_e32 v59, 0xff, v57
	v_cndmask_b32_e64 v7, 0, 1, s33
	v_add3_u32 v5, v5, v61, v60
	v_cndmask_b32_e64 v8, 0, 1, s27
	v_add3_u32 v6, v6, v62, v63
	v_and_b32_e32 v86, 15, v82
	v_and_b32_e32 v85, 16, v82
	v_lshrrev_b32_e32 v83, 5, v0
	v_add3_u32 v87, v5, v58, v8
	v_add3_u32 v88, v6, v59, v7
	v_cmp_eq_u32_e64 s1, 0, v86
	v_cmp_lt_u32_e64 s0, 1, v86
	v_cmp_lt_u32_e64 s3, 3, v86
	v_cmp_lt_u32_e32 vcc_lo, 7, v86
	v_or_b32_e32 v84, 31, v0
	s_cmp_lg_u32 s26, 0
	s_mov_b32 s5, -1
	s_cbranch_scc0 .LBB256_118
; %bb.91:
	v_mov_b32_dpp v5, v88 row_shr:1 row_mask:0xf bank_mask:0xf
	v_mov_b32_dpp v6, v87 row_shr:1 row_mask:0xf bank_mask:0xf
	s_delay_alu instid0(VALU_DEP_2) | instskip(NEXT) | instid1(VALU_DEP_2)
	v_add_nc_u32_e32 v5, v5, v88
	v_add_nc_u32_e32 v6, v6, v87
	s_delay_alu instid0(VALU_DEP_2) | instskip(NEXT) | instid1(VALU_DEP_2)
	v_cndmask_b32_e64 v5, v5, v88, s1
	v_cndmask_b32_e64 v6, v6, v87, s1
	s_delay_alu instid0(VALU_DEP_2) | instskip(NEXT) | instid1(VALU_DEP_2)
	v_mov_b32_dpp v7, v5 row_shr:2 row_mask:0xf bank_mask:0xf
	v_mov_b32_dpp v8, v6 row_shr:2 row_mask:0xf bank_mask:0xf
	s_delay_alu instid0(VALU_DEP_2) | instskip(NEXT) | instid1(VALU_DEP_1)
	v_add_nc_u32_e32 v7, v5, v7
	v_cndmask_b32_e64 v5, v5, v7, s0
	s_delay_alu instid0(VALU_DEP_1) | instskip(NEXT) | instid1(VALU_DEP_1)
	v_mov_b32_dpp v7, v5 row_shr:4 row_mask:0xf bank_mask:0xf
	v_add_nc_u32_e32 v7, v5, v7
	s_delay_alu instid0(VALU_DEP_1) | instskip(NEXT) | instid1(VALU_DEP_1)
	v_cndmask_b32_e64 v5, v5, v7, s3
	v_mov_b32_dpp v7, v5 row_shr:8 row_mask:0xf bank_mask:0xf
	s_delay_alu instid0(VALU_DEP_1) | instskip(NEXT) | instid1(VALU_DEP_1)
	v_add_nc_u32_e32 v7, v5, v7
	v_dual_cndmask_b32 v5, v5, v7 :: v_dual_add_nc_u32 v8, v6, v8
	s_delay_alu instid0(VALU_DEP_1) | instskip(NEXT) | instid1(VALU_DEP_1)
	v_cndmask_b32_e64 v6, v6, v8, s0
	v_mov_b32_dpp v8, v6 row_shr:4 row_mask:0xf bank_mask:0xf
	s_delay_alu instid0(VALU_DEP_1) | instskip(NEXT) | instid1(VALU_DEP_1)
	v_add_nc_u32_e32 v8, v6, v8
	v_cndmask_b32_e64 v6, v6, v8, s3
	s_mov_b32 s3, exec_lo
	s_delay_alu instid0(VALU_DEP_1) | instskip(NEXT) | instid1(VALU_DEP_1)
	v_mov_b32_dpp v8, v6 row_shr:8 row_mask:0xf bank_mask:0xf
	v_add_nc_u32_e32 v8, v6, v8
	s_delay_alu instid0(VALU_DEP_1)
	v_cndmask_b32_e32 v7, v6, v8, vcc_lo
	ds_swizzle_b32 v6, v5 offset:swizzle(BROADCAST,32,15)
	v_cmp_eq_u32_e32 vcc_lo, 0, v85
	s_waitcnt lgkmcnt(0)
	v_add_nc_u32_e32 v6, v5, v6
	ds_swizzle_b32 v8, v7 offset:swizzle(BROADCAST,32,15)
	v_cndmask_b32_e32 v6, v6, v5, vcc_lo
	s_waitcnt lgkmcnt(0)
	v_add_nc_u32_e32 v8, v7, v8
	s_delay_alu instid0(VALU_DEP_1)
	v_cndmask_b32_e32 v5, v8, v7, vcc_lo
	v_cmpx_eq_u32_e64 v84, v0
	s_cbranch_execz .LBB256_93
; %bb.92:
	v_lshlrev_b32_e32 v7, 3, v83
	ds_store_b64 v7, v[5:6]
.LBB256_93:
	s_or_b32 exec_lo, exec_lo, s3
	s_delay_alu instid0(SALU_CYCLE_1)
	s_mov_b32 s3, exec_lo
	s_waitcnt lgkmcnt(0)
	s_barrier
	buffer_gl0_inv
	v_cmpx_gt_u32_e32 8, v0
	s_cbranch_execz .LBB256_95
; %bb.94:
	v_lshlrev_b32_e32 v9, 3, v0
	ds_load_b64 v[7:8], v9
	s_waitcnt lgkmcnt(0)
	v_mov_b32_dpp v22, v7 row_shr:1 row_mask:0xf bank_mask:0xf
	v_mov_b32_dpp v23, v8 row_shr:1 row_mask:0xf bank_mask:0xf
	s_delay_alu instid0(VALU_DEP_2) | instskip(SKIP_1) | instid1(VALU_DEP_3)
	v_add_nc_u32_e32 v22, v22, v7
	v_and_b32_e32 v24, 7, v82
	v_add_nc_u32_e32 v23, v23, v8
	s_delay_alu instid0(VALU_DEP_2) | instskip(NEXT) | instid1(VALU_DEP_2)
	v_cmp_eq_u32_e32 vcc_lo, 0, v24
	v_dual_cndmask_b32 v8, v23, v8 :: v_dual_cndmask_b32 v7, v22, v7
	v_cmp_lt_u32_e32 vcc_lo, 1, v24
	s_delay_alu instid0(VALU_DEP_2) | instskip(NEXT) | instid1(VALU_DEP_3)
	v_mov_b32_dpp v23, v8 row_shr:2 row_mask:0xf bank_mask:0xf
	v_mov_b32_dpp v22, v7 row_shr:2 row_mask:0xf bank_mask:0xf
	s_delay_alu instid0(VALU_DEP_2) | instskip(NEXT) | instid1(VALU_DEP_2)
	v_add_nc_u32_e32 v23, v8, v23
	v_add_nc_u32_e32 v22, v7, v22
	s_delay_alu instid0(VALU_DEP_1) | instskip(SKIP_1) | instid1(VALU_DEP_2)
	v_dual_cndmask_b32 v8, v8, v23 :: v_dual_cndmask_b32 v7, v7, v22
	v_cmp_lt_u32_e32 vcc_lo, 3, v24
	v_mov_b32_dpp v23, v8 row_shr:4 row_mask:0xf bank_mask:0xf
	s_delay_alu instid0(VALU_DEP_3) | instskip(NEXT) | instid1(VALU_DEP_1)
	v_mov_b32_dpp v22, v7 row_shr:4 row_mask:0xf bank_mask:0xf
	v_dual_cndmask_b32 v23, 0, v23 :: v_dual_cndmask_b32 v22, 0, v22
	s_delay_alu instid0(VALU_DEP_1) | instskip(NEXT) | instid1(VALU_DEP_2)
	v_add_nc_u32_e32 v8, v23, v8
	v_add_nc_u32_e32 v7, v22, v7
	ds_store_b64 v9, v[7:8]
.LBB256_95:
	s_or_b32 exec_lo, exec_lo, s3
	v_cmp_gt_u32_e32 vcc_lo, 32, v0
	v_cmp_lt_u32_e64 s3, 31, v0
	s_waitcnt lgkmcnt(0)
	s_barrier
	buffer_gl0_inv
                                        ; implicit-def: $vgpr23
	s_and_saveexec_b32 s5, s3
	s_delay_alu instid0(SALU_CYCLE_1)
	s_xor_b32 s3, exec_lo, s5
	s_cbranch_execz .LBB256_97
; %bb.96:
	v_lshl_add_u32 v7, v83, 3, -8
	ds_load_b64 v[22:23], v7
	s_waitcnt lgkmcnt(0)
	v_add_nc_u32_e32 v6, v23, v6
	v_add_nc_u32_e32 v5, v22, v5
.LBB256_97:
	s_and_not1_saveexec_b32 s3, s3
; %bb.98:
                                        ; implicit-def: $vgpr22
; %bb.99:
	s_delay_alu instid0(SALU_CYCLE_1) | instskip(SKIP_1) | instid1(VALU_DEP_1)
	s_or_b32 exec_lo, exec_lo, s3
	v_add_nc_u32_e32 v7, -1, v82
	v_cmp_gt_i32_e64 s3, 0, v7
	s_delay_alu instid0(VALU_DEP_1) | instskip(SKIP_1) | instid1(VALU_DEP_2)
	v_cndmask_b32_e64 v7, v7, v82, s3
	v_cmp_eq_u32_e64 s3, 0, v82
	v_lshlrev_b32_e32 v7, 2, v7
	ds_bpermute_b32 v89, v7, v5
	ds_bpermute_b32 v90, v7, v6
	s_and_saveexec_b32 s5, vcc_lo
	s_cbranch_execz .LBB256_117
; %bb.100:
	v_mov_b32_e32 v8, 0
	ds_load_b64 v[5:6], v8 offset:56
	s_waitcnt lgkmcnt(0)
	v_readfirstlane_b32 s6, v6
	s_and_saveexec_b32 s7, s3
	s_cbranch_execz .LBB256_102
; %bb.101:
	s_add_i32 s8, s26, 32
	s_mov_b32 s9, 0
	v_mov_b32_e32 v7, 1
	s_lshl_b64 s[10:11], s[8:9], 4
	s_mov_b32 s16, s9
	s_add_u32 s10, s36, s10
	s_addc_u32 s11, s37, s11
	s_and_b32 s17, s6, 0xff000000
	s_and_b32 s19, s6, 0xff0000
	s_mov_b32 s18, s9
	v_dual_mov_b32 v25, s11 :: v_dual_mov_b32 v24, s10
	s_or_b64 s[16:17], s[18:19], s[16:17]
	s_and_b32 s19, s6, 0xff00
	s_delay_alu instid0(SALU_CYCLE_1) | instskip(SKIP_1) | instid1(SALU_CYCLE_1)
	s_or_b64 s[16:17], s[16:17], s[18:19]
	s_and_b32 s19, s6, 0xff
	s_or_b64 s[8:9], s[16:17], s[18:19]
	s_delay_alu instid0(SALU_CYCLE_1)
	v_mov_b32_e32 v6, s9
	;;#ASMSTART
	global_store_dwordx4 v[24:25], v[5:8] off	
s_waitcnt vmcnt(0)
	;;#ASMEND
.LBB256_102:
	s_or_b32 exec_lo, exec_lo, s7
	v_xad_u32 v24, v82, -1, s26
	s_mov_b32 s8, 0
	s_mov_b32 s7, exec_lo
	s_delay_alu instid0(VALU_DEP_1) | instskip(NEXT) | instid1(VALU_DEP_1)
	v_add_nc_u32_e32 v7, 32, v24
	v_lshlrev_b64 v[6:7], 4, v[7:8]
	s_delay_alu instid0(VALU_DEP_1) | instskip(NEXT) | instid1(VALU_DEP_2)
	v_add_co_u32 v25, vcc_lo, s36, v6
	v_add_co_ci_u32_e32 v26, vcc_lo, s37, v7, vcc_lo
	;;#ASMSTART
	global_load_dwordx4 v[6:9], v[25:26] off glc	
s_waitcnt vmcnt(0)
	;;#ASMEND
	v_and_b32_e32 v9, 0xff, v7
	v_and_b32_e32 v27, 0xff00, v7
	v_or3_b32 v6, v6, 0, 0
	v_and_b32_e32 v28, 0xff000000, v7
	v_and_b32_e32 v7, 0xff0000, v7
	s_delay_alu instid0(VALU_DEP_4) | instskip(SKIP_2) | instid1(VALU_DEP_3)
	v_or3_b32 v9, 0, v9, v27
	v_and_b32_e32 v27, 0xff, v8
	v_or3_b32 v6, v6, 0, 0
	v_or3_b32 v7, v9, v7, v28
	s_delay_alu instid0(VALU_DEP_3)
	v_cmpx_eq_u16_e32 0, v27
	s_cbranch_execz .LBB256_105
.LBB256_103:                            ; =>This Inner Loop Header: Depth=1
	;;#ASMSTART
	global_load_dwordx4 v[6:9], v[25:26] off glc	
s_waitcnt vmcnt(0)
	;;#ASMEND
	v_and_b32_e32 v9, 0xff, v8
	s_delay_alu instid0(VALU_DEP_1) | instskip(SKIP_1) | instid1(SALU_CYCLE_1)
	v_cmp_ne_u16_e32 vcc_lo, 0, v9
	s_or_b32 s8, vcc_lo, s8
	s_and_not1_b32 exec_lo, exec_lo, s8
	s_cbranch_execnz .LBB256_103
; %bb.104:
	s_or_b32 exec_lo, exec_lo, s8
.LBB256_105:
	s_delay_alu instid0(SALU_CYCLE_1) | instskip(SKIP_3) | instid1(VALU_DEP_1)
	s_or_b32 exec_lo, exec_lo, s7
	v_cmp_ne_u32_e32 vcc_lo, 31, v82
	v_lshlrev_b32_e64 v92, v82, -1
	v_add_co_ci_u32_e32 v9, vcc_lo, 0, v82, vcc_lo
	v_lshlrev_b32_e32 v91, 2, v9
	ds_bpermute_b32 v25, v91, v7
	ds_bpermute_b32 v9, v91, v6
	s_waitcnt lgkmcnt(1)
	v_add_nc_u32_e32 v25, v25, v7
	v_and_b32_e32 v26, 0xff, v8
	s_waitcnt lgkmcnt(0)
	v_add_nc_u32_e32 v9, v9, v6
	s_delay_alu instid0(VALU_DEP_2) | instskip(SKIP_2) | instid1(VALU_DEP_2)
	v_cmp_eq_u16_e32 vcc_lo, 2, v26
	v_and_or_b32 v26, vcc_lo, v92, 0x80000000
	v_cmp_gt_u32_e32 vcc_lo, 30, v82
	v_ctz_i32_b32_e32 v26, v26
	v_cndmask_b32_e64 v27, 0, 1, vcc_lo
	s_delay_alu instid0(VALU_DEP_2) | instskip(NEXT) | instid1(VALU_DEP_2)
	v_cmp_lt_u32_e32 vcc_lo, v82, v26
	v_dual_cndmask_b32 v6, v6, v9 :: v_dual_lshlrev_b32 v27, 1, v27
	s_delay_alu instid0(VALU_DEP_1)
	v_add_lshl_u32 v93, v27, v82, 2
	v_cndmask_b32_e32 v7, v7, v25, vcc_lo
	v_cmp_gt_u32_e32 vcc_lo, 28, v82
	ds_bpermute_b32 v9, v93, v6
	ds_bpermute_b32 v25, v93, v7
	v_cndmask_b32_e64 v27, 0, 1, vcc_lo
	s_waitcnt lgkmcnt(1)
	v_add_nc_u32_e32 v9, v6, v9
	s_waitcnt lgkmcnt(0)
	v_add_nc_u32_e32 v25, v7, v25
	v_add_nc_u32_e32 v94, 2, v82
	s_delay_alu instid0(VALU_DEP_1) | instskip(NEXT) | instid1(VALU_DEP_3)
	v_cmp_gt_u32_e32 vcc_lo, v94, v26
	v_cndmask_b32_e32 v7, v25, v7, vcc_lo
	v_dual_cndmask_b32 v6, v9, v6 :: v_dual_lshlrev_b32 v27, 2, v27
	v_cmp_gt_u32_e32 vcc_lo, 24, v82
	s_delay_alu instid0(VALU_DEP_2) | instskip(SKIP_4) | instid1(VALU_DEP_1)
	v_add_lshl_u32 v95, v27, v82, 2
	v_cndmask_b32_e64 v27, 0, 1, vcc_lo
	ds_bpermute_b32 v25, v95, v7
	ds_bpermute_b32 v9, v95, v6
	v_lshlrev_b32_e32 v27, 3, v27
	v_add_lshl_u32 v97, v27, v82, 2
	s_waitcnt lgkmcnt(1)
	v_add_nc_u32_e32 v25, v7, v25
	v_add_nc_u32_e32 v96, 4, v82
	s_waitcnt lgkmcnt(0)
	v_add_nc_u32_e32 v9, v6, v9
	s_delay_alu instid0(VALU_DEP_2) | instskip(SKIP_1) | instid1(VALU_DEP_3)
	v_cmp_gt_u32_e32 vcc_lo, v96, v26
	v_cndmask_b32_e32 v7, v25, v7, vcc_lo
	v_cndmask_b32_e32 v6, v9, v6, vcc_lo
	v_cmp_gt_u32_e32 vcc_lo, 16, v82
	ds_bpermute_b32 v25, v97, v7
	ds_bpermute_b32 v9, v97, v6
	v_cndmask_b32_e64 v27, 0, 1, vcc_lo
	s_delay_alu instid0(VALU_DEP_1) | instskip(NEXT) | instid1(VALU_DEP_1)
	v_lshlrev_b32_e32 v27, 4, v27
	v_add_lshl_u32 v99, v27, v82, 2
	s_waitcnt lgkmcnt(1)
	v_add_nc_u32_e32 v25, v7, v25
	v_add_nc_u32_e32 v98, 8, v82
	s_waitcnt lgkmcnt(0)
	v_add_nc_u32_e32 v9, v6, v9
	s_delay_alu instid0(VALU_DEP_2) | instskip(SKIP_1) | instid1(VALU_DEP_3)
	v_cmp_gt_u32_e32 vcc_lo, v98, v26
	v_cndmask_b32_e32 v7, v25, v7, vcc_lo
	v_cndmask_b32_e32 v6, v9, v6, vcc_lo
	ds_bpermute_b32 v25, v99, v7
	ds_bpermute_b32 v9, v99, v6
	v_add_nc_u32_e32 v100, 16, v82
	s_delay_alu instid0(VALU_DEP_1) | instskip(SKIP_2) | instid1(VALU_DEP_1)
	v_cmp_le_u32_e32 vcc_lo, v100, v26
	s_waitcnt lgkmcnt(0)
	v_cndmask_b32_e32 v9, 0, v9, vcc_lo
	v_dual_cndmask_b32 v25, 0, v25 :: v_dual_add_nc_u32 v6, v9, v6
	s_delay_alu instid0(VALU_DEP_1)
	v_add_nc_u32_e32 v7, v25, v7
	v_mov_b32_e32 v25, 0
	s_branch .LBB256_107
.LBB256_106:                            ;   in Loop: Header=BB256_107 Depth=1
	s_or_b32 exec_lo, exec_lo, s7
	ds_bpermute_b32 v9, v91, v6
	ds_bpermute_b32 v28, v91, v7
	v_subrev_nc_u32_e32 v24, 32, v24
	s_waitcnt lgkmcnt(1)
	v_add_nc_u32_e32 v9, v9, v6
	v_and_b32_e32 v29, 0xff, v8
	s_waitcnt lgkmcnt(0)
	v_add_nc_u32_e32 v28, v28, v7
	s_delay_alu instid0(VALU_DEP_2) | instskip(SKIP_1) | instid1(VALU_DEP_1)
	v_cmp_eq_u16_e32 vcc_lo, 2, v29
	v_and_or_b32 v29, vcc_lo, v92, 0x80000000
	v_ctz_i32_b32_e32 v29, v29
	s_delay_alu instid0(VALU_DEP_1)
	v_cmp_lt_u32_e32 vcc_lo, v82, v29
	v_cndmask_b32_e32 v6, v6, v9, vcc_lo
	ds_bpermute_b32 v9, v93, v6
	s_waitcnt lgkmcnt(0)
	v_add_nc_u32_e32 v9, v6, v9
	v_cndmask_b32_e32 v7, v7, v28, vcc_lo
	v_cmp_gt_u32_e32 vcc_lo, v94, v29
	s_delay_alu instid0(VALU_DEP_3)
	v_cndmask_b32_e32 v6, v9, v6, vcc_lo
	ds_bpermute_b32 v28, v93, v7
	ds_bpermute_b32 v9, v95, v6
	s_waitcnt lgkmcnt(1)
	v_add_nc_u32_e32 v28, v7, v28
	s_waitcnt lgkmcnt(0)
	v_add_nc_u32_e32 v9, v6, v9
	s_delay_alu instid0(VALU_DEP_2) | instskip(SKIP_1) | instid1(VALU_DEP_3)
	v_cndmask_b32_e32 v7, v28, v7, vcc_lo
	v_cmp_gt_u32_e32 vcc_lo, v96, v29
	v_cndmask_b32_e32 v6, v9, v6, vcc_lo
	ds_bpermute_b32 v28, v95, v7
	ds_bpermute_b32 v9, v97, v6
	s_waitcnt lgkmcnt(1)
	v_add_nc_u32_e32 v28, v7, v28
	s_waitcnt lgkmcnt(0)
	v_add_nc_u32_e32 v9, v6, v9
	s_delay_alu instid0(VALU_DEP_2) | instskip(SKIP_1) | instid1(VALU_DEP_3)
	v_cndmask_b32_e32 v7, v28, v7, vcc_lo
	v_cmp_gt_u32_e32 vcc_lo, v98, v29
	v_cndmask_b32_e32 v6, v9, v6, vcc_lo
	ds_bpermute_b32 v28, v97, v7
	ds_bpermute_b32 v9, v99, v6
	s_waitcnt lgkmcnt(1)
	v_add_nc_u32_e32 v28, v7, v28
	s_delay_alu instid0(VALU_DEP_1) | instskip(SKIP_4) | instid1(VALU_DEP_1)
	v_cndmask_b32_e32 v7, v28, v7, vcc_lo
	v_cmp_le_u32_e32 vcc_lo, v100, v29
	ds_bpermute_b32 v28, v99, v7
	s_waitcnt lgkmcnt(1)
	v_cndmask_b32_e32 v9, 0, v9, vcc_lo
	v_add3_u32 v6, v6, v26, v9
	s_waitcnt lgkmcnt(0)
	v_cndmask_b32_e32 v28, 0, v28, vcc_lo
	s_delay_alu instid0(VALU_DEP_1)
	v_add3_u32 v7, v7, v27, v28
.LBB256_107:                            ; =>This Loop Header: Depth=1
                                        ;     Child Loop BB256_110 Depth 2
	s_delay_alu instid0(VALU_DEP_1) | instskip(SKIP_1) | instid1(VALU_DEP_2)
	v_dual_mov_b32 v27, v7 :: v_dual_and_b32 v8, 0xff, v8
	v_mov_b32_e32 v26, v6
	v_cmp_ne_u16_e32 vcc_lo, 2, v8
	v_cndmask_b32_e64 v8, 0, 1, vcc_lo
	;;#ASMSTART
	;;#ASMEND
	s_delay_alu instid0(VALU_DEP_1)
	v_cmp_ne_u32_e32 vcc_lo, 0, v8
	s_cmp_lg_u32 vcc_lo, exec_lo
	s_cbranch_scc1 .LBB256_112
; %bb.108:                              ;   in Loop: Header=BB256_107 Depth=1
	v_lshlrev_b64 v[6:7], 4, v[24:25]
	s_mov_b32 s7, exec_lo
	s_delay_alu instid0(VALU_DEP_1) | instskip(NEXT) | instid1(VALU_DEP_2)
	v_add_co_u32 v28, vcc_lo, s36, v6
	v_add_co_ci_u32_e32 v29, vcc_lo, s37, v7, vcc_lo
	;;#ASMSTART
	global_load_dwordx4 v[6:9], v[28:29] off glc	
s_waitcnt vmcnt(0)
	;;#ASMEND
	v_and_b32_e32 v9, 0xff, v7
	v_and_b32_e32 v101, 0xff00, v7
	v_or3_b32 v6, v6, 0, 0
	v_and_b32_e32 v102, 0xff000000, v7
	v_and_b32_e32 v7, 0xff0000, v7
	s_delay_alu instid0(VALU_DEP_4) | instskip(SKIP_2) | instid1(VALU_DEP_3)
	v_or3_b32 v9, 0, v9, v101
	v_and_b32_e32 v101, 0xff, v8
	v_or3_b32 v6, v6, 0, 0
	v_or3_b32 v7, v9, v7, v102
	s_delay_alu instid0(VALU_DEP_3)
	v_cmpx_eq_u16_e32 0, v101
	s_cbranch_execz .LBB256_106
; %bb.109:                              ;   in Loop: Header=BB256_107 Depth=1
	s_mov_b32 s8, 0
.LBB256_110:                            ;   Parent Loop BB256_107 Depth=1
                                        ; =>  This Inner Loop Header: Depth=2
	;;#ASMSTART
	global_load_dwordx4 v[6:9], v[28:29] off glc	
s_waitcnt vmcnt(0)
	;;#ASMEND
	v_and_b32_e32 v9, 0xff, v8
	s_delay_alu instid0(VALU_DEP_1) | instskip(SKIP_1) | instid1(SALU_CYCLE_1)
	v_cmp_ne_u16_e32 vcc_lo, 0, v9
	s_or_b32 s8, vcc_lo, s8
	s_and_not1_b32 exec_lo, exec_lo, s8
	s_cbranch_execnz .LBB256_110
; %bb.111:                              ;   in Loop: Header=BB256_107 Depth=1
	s_or_b32 exec_lo, exec_lo, s8
	s_branch .LBB256_106
.LBB256_112:                            ;   in Loop: Header=BB256_107 Depth=1
                                        ; implicit-def: $vgpr8
                                        ; implicit-def: $vgpr6_vgpr7
	s_cbranch_execz .LBB256_107
; %bb.113:
	s_and_saveexec_b32 s7, s3
	s_cbranch_execnz .LBB256_356
; %bb.114:
	s_or_b32 exec_lo, exec_lo, s7
	s_and_saveexec_b32 s7, s3
	s_cbranch_execnz .LBB256_357
.LBB256_115:
	s_or_b32 exec_lo, exec_lo, s7
	s_delay_alu instid0(SALU_CYCLE_1)
	s_and_b32 exec_lo, exec_lo, s2
	s_cbranch_execz .LBB256_117
.LBB256_116:
	v_mov_b32_e32 v5, 0
	ds_store_b64 v5, v[26:27] offset:56
.LBB256_117:
	s_or_b32 exec_lo, exec_lo, s5
	s_waitcnt lgkmcnt(1)
	v_cndmask_b32_e64 v22, v89, v22, s3
	v_mov_b32_e32 v5, 0
	s_waitcnt lgkmcnt(0)
	s_barrier
	buffer_gl0_inv
	v_add_nc_u32_e64 v7, 0x3400, 0
	ds_load_b64 v[24:25], v5 offset:56
	s_waitcnt lgkmcnt(0)
	s_barrier
	buffer_gl0_inv
	ds_load_2addr_b32 v[5:6], v7 offset1:2
	ds_load_2addr_b32 v[7:8], v7 offset0:4 offset1:6
	v_cndmask_b32_e64 v9, v90, v23, s3
	v_add_nc_u32_e32 v22, v24, v22
	s_delay_alu instid0(VALU_DEP_2) | instskip(NEXT) | instid1(VALU_DEP_2)
	v_add_nc_u32_e32 v9, v25, v9
	v_cndmask_b32_e64 v22, v22, v24, s2
	s_delay_alu instid0(VALU_DEP_2)
	v_cndmask_b32_e64 v9, v9, v25, s2
	s_branch .LBB256_128
.LBB256_118:
                                        ; implicit-def: $vgpr9
                                        ; implicit-def: $vgpr7
                                        ; implicit-def: $vgpr5
                                        ; implicit-def: $vgpr22_vgpr23
	s_and_b32 vcc_lo, exec_lo, s5
	s_cbranch_vccz .LBB256_128
; %bb.119:
	s_waitcnt lgkmcnt(1)
	v_mov_b32_dpp v6, v88 row_shr:1 row_mask:0xf bank_mask:0xf
	v_cmp_lt_u32_e32 vcc_lo, 3, v86
	v_mov_b32_dpp v5, v87 row_shr:1 row_mask:0xf bank_mask:0xf
	s_delay_alu instid0(VALU_DEP_3) | instskip(NEXT) | instid1(VALU_DEP_1)
	v_add_nc_u32_e32 v6, v6, v88
	v_cndmask_b32_e64 v6, v6, v88, s1
	s_waitcnt lgkmcnt(0)
	s_delay_alu instid0(VALU_DEP_1) | instskip(NEXT) | instid1(VALU_DEP_1)
	v_mov_b32_dpp v8, v6 row_shr:2 row_mask:0xf bank_mask:0xf
	v_add_nc_u32_e32 v8, v6, v8
	s_delay_alu instid0(VALU_DEP_1) | instskip(NEXT) | instid1(VALU_DEP_1)
	v_cndmask_b32_e64 v6, v6, v8, s0
	v_mov_b32_dpp v8, v6 row_shr:4 row_mask:0xf bank_mask:0xf
	s_delay_alu instid0(VALU_DEP_1) | instskip(NEXT) | instid1(VALU_DEP_1)
	v_add_nc_u32_e32 v8, v6, v8
	v_dual_cndmask_b32 v6, v6, v8 :: v_dual_add_nc_u32 v5, v5, v87
	s_delay_alu instid0(VALU_DEP_1) | instskip(NEXT) | instid1(VALU_DEP_2)
	v_cndmask_b32_e64 v5, v5, v87, s1
	v_mov_b32_dpp v8, v6 row_shr:8 row_mask:0xf bank_mask:0xf
	s_delay_alu instid0(VALU_DEP_2) | instskip(NEXT) | instid1(VALU_DEP_2)
	v_mov_b32_dpp v7, v5 row_shr:2 row_mask:0xf bank_mask:0xf
	v_add_nc_u32_e32 v8, v6, v8
	s_delay_alu instid0(VALU_DEP_2) | instskip(NEXT) | instid1(VALU_DEP_1)
	v_add_nc_u32_e32 v7, v5, v7
	v_cndmask_b32_e64 v5, v5, v7, s0
	s_mov_b32 s0, exec_lo
	s_delay_alu instid0(VALU_DEP_1) | instskip(NEXT) | instid1(VALU_DEP_1)
	v_mov_b32_dpp v7, v5 row_shr:4 row_mask:0xf bank_mask:0xf
	v_add_nc_u32_e32 v7, v5, v7
	s_delay_alu instid0(VALU_DEP_1) | instskip(SKIP_1) | instid1(VALU_DEP_2)
	v_cndmask_b32_e32 v5, v5, v7, vcc_lo
	v_cmp_lt_u32_e32 vcc_lo, 7, v86
	v_mov_b32_dpp v7, v5 row_shr:8 row_mask:0xf bank_mask:0xf
	s_delay_alu instid0(VALU_DEP_1) | instskip(NEXT) | instid1(VALU_DEP_1)
	v_dual_cndmask_b32 v6, v6, v8 :: v_dual_add_nc_u32 v7, v5, v7
	v_cndmask_b32_e32 v5, v5, v7, vcc_lo
	ds_swizzle_b32 v7, v6 offset:swizzle(BROADCAST,32,15)
	v_cmp_eq_u32_e32 vcc_lo, 0, v85
	ds_swizzle_b32 v8, v5 offset:swizzle(BROADCAST,32,15)
	s_waitcnt lgkmcnt(1)
	v_add_nc_u32_e32 v7, v6, v7
	s_waitcnt lgkmcnt(0)
	v_add_nc_u32_e32 v8, v5, v8
	s_delay_alu instid0(VALU_DEP_1)
	v_dual_cndmask_b32 v6, v7, v6 :: v_dual_cndmask_b32 v5, v8, v5
	v_cmpx_eq_u32_e64 v84, v0
	s_cbranch_execz .LBB256_121
; %bb.120:
	v_lshlrev_b32_e32 v7, 3, v83
	ds_store_b64 v7, v[5:6]
.LBB256_121:
	s_or_b32 exec_lo, exec_lo, s0
	s_delay_alu instid0(SALU_CYCLE_1)
	s_mov_b32 s0, exec_lo
	s_waitcnt lgkmcnt(0)
	s_barrier
	buffer_gl0_inv
	v_cmpx_gt_u32_e32 8, v0
	s_cbranch_execz .LBB256_123
; %bb.122:
	v_lshlrev_b32_e32 v9, 3, v0
	ds_load_b64 v[7:8], v9
	s_waitcnt lgkmcnt(0)
	v_mov_b32_dpp v22, v7 row_shr:1 row_mask:0xf bank_mask:0xf
	v_mov_b32_dpp v23, v8 row_shr:1 row_mask:0xf bank_mask:0xf
	s_delay_alu instid0(VALU_DEP_2) | instskip(SKIP_1) | instid1(VALU_DEP_3)
	v_add_nc_u32_e32 v22, v22, v7
	v_and_b32_e32 v24, 7, v82
	v_add_nc_u32_e32 v23, v23, v8
	s_delay_alu instid0(VALU_DEP_2) | instskip(NEXT) | instid1(VALU_DEP_2)
	v_cmp_eq_u32_e32 vcc_lo, 0, v24
	v_dual_cndmask_b32 v8, v23, v8 :: v_dual_cndmask_b32 v7, v22, v7
	v_cmp_lt_u32_e32 vcc_lo, 1, v24
	s_delay_alu instid0(VALU_DEP_2) | instskip(NEXT) | instid1(VALU_DEP_3)
	v_mov_b32_dpp v23, v8 row_shr:2 row_mask:0xf bank_mask:0xf
	v_mov_b32_dpp v22, v7 row_shr:2 row_mask:0xf bank_mask:0xf
	s_delay_alu instid0(VALU_DEP_2) | instskip(NEXT) | instid1(VALU_DEP_2)
	v_add_nc_u32_e32 v23, v8, v23
	v_add_nc_u32_e32 v22, v7, v22
	s_delay_alu instid0(VALU_DEP_1) | instskip(SKIP_1) | instid1(VALU_DEP_2)
	v_dual_cndmask_b32 v8, v8, v23 :: v_dual_cndmask_b32 v7, v7, v22
	v_cmp_lt_u32_e32 vcc_lo, 3, v24
	v_mov_b32_dpp v23, v8 row_shr:4 row_mask:0xf bank_mask:0xf
	s_delay_alu instid0(VALU_DEP_3) | instskip(NEXT) | instid1(VALU_DEP_1)
	v_mov_b32_dpp v22, v7 row_shr:4 row_mask:0xf bank_mask:0xf
	v_dual_cndmask_b32 v23, 0, v23 :: v_dual_cndmask_b32 v22, 0, v22
	s_delay_alu instid0(VALU_DEP_1) | instskip(NEXT) | instid1(VALU_DEP_2)
	v_add_nc_u32_e32 v8, v23, v8
	v_add_nc_u32_e32 v7, v22, v7
	ds_store_b64 v9, v[7:8]
.LBB256_123:
	s_or_b32 exec_lo, exec_lo, s0
	v_dual_mov_b32 v7, 0 :: v_dual_mov_b32 v22, 0
	v_mov_b32_e32 v23, 0
	s_mov_b32 s0, exec_lo
	s_waitcnt lgkmcnt(0)
	s_barrier
	buffer_gl0_inv
	v_cmpx_lt_u32_e32 31, v0
	s_cbranch_execz .LBB256_125
; %bb.124:
	v_lshl_add_u32 v8, v83, 3, -8
	ds_load_b64 v[22:23], v8
.LBB256_125:
	s_or_b32 exec_lo, exec_lo, s0
	v_add_nc_u32_e32 v8, -1, v82
	s_waitcnt lgkmcnt(0)
	v_add_nc_u32_e32 v24, v23, v6
	v_add_nc_u32_e32 v9, v22, v5
	ds_load_b64 v[5:6], v7 offset:56
	v_cmp_gt_i32_e32 vcc_lo, 0, v8
	v_cndmask_b32_e32 v8, v8, v82, vcc_lo
	s_delay_alu instid0(VALU_DEP_1)
	v_lshlrev_b32_e32 v8, 2, v8
	ds_bpermute_b32 v9, v8, v9
	ds_bpermute_b32 v24, v8, v24
	s_waitcnt lgkmcnt(2)
	v_readfirstlane_b32 s0, v6
	s_and_saveexec_b32 s1, s2
	s_cbranch_execz .LBB256_127
; %bb.126:
	s_mov_b32 s8, 0
	s_add_u32 s6, s36, 0x200
	s_addc_u32 s7, s37, 0
	s_and_b32 s9, s0, 0xff000000
	s_and_b32 s11, s0, 0xff0000
	s_mov_b32 s10, s8
	v_mov_b32_e32 v26, s7
	s_or_b64 s[10:11], s[10:11], s[8:9]
	s_and_b32 s9, s0, 0xff00
	v_dual_mov_b32 v8, 0 :: v_dual_mov_b32 v25, s6
	s_or_b64 s[10:11], s[10:11], s[8:9]
	s_and_b32 s9, s0, 0xff
	v_mov_b32_e32 v7, 2
	s_or_b64 s[8:9], s[10:11], s[8:9]
	s_delay_alu instid0(SALU_CYCLE_1)
	v_mov_b32_e32 v6, s9
	;;#ASMSTART
	global_store_dwordx4 v[25:26], v[5:8] off	
s_waitcnt vmcnt(0)
	;;#ASMEND
.LBB256_127:
	s_or_b32 exec_lo, exec_lo, s1
	v_cmp_eq_u32_e32 vcc_lo, 0, v82
	v_dual_mov_b32 v7, 0 :: v_dual_mov_b32 v6, s0
	s_waitcnt lgkmcnt(0)
	s_barrier
	v_dual_cndmask_b32 v8, v9, v22 :: v_dual_cndmask_b32 v9, v24, v23
	buffer_gl0_inv
	v_cndmask_b32_e64 v22, v8, 0, s2
	v_cndmask_b32_e64 v9, v9, 0, s2
	v_mov_b32_e32 v8, 0
.LBB256_128:
	s_delay_alu instid0(VALU_DEP_1) | instskip(SKIP_1) | instid1(VALU_DEP_2)
	v_add_nc_u32_e32 v24, v9, v81
	s_waitcnt lgkmcnt(0)
	v_sub_nc_u32_e32 v9, v9, v8
	v_add_co_u32 v1, vcc_lo, v1, v7
	v_and_b32_e32 v35, 1, v35
	v_add_nc_u32_e32 v26, v24, v77
	v_sub_nc_u32_e32 v24, v24, v8
	v_lshlrev_b32_e32 v77, 1, v5
	v_add_nc_u32_e32 v9, v9, v5
	v_add_co_ci_u32_e32 v2, vcc_lo, 0, v2, vcc_lo
	v_add_nc_u32_e32 v28, v26, v79
	s_delay_alu instid0(VALU_DEP_4)
	v_add3_u32 v33, v77, v6, v33
	v_and_b32_e32 v40, 1, v40
	v_and_b32_e32 v37, 1, v37
	;; [unrolled: 1-line block ×3, first 2 shown]
	v_add_nc_u32_e32 v29, v28, v75
	v_sub_nc_u32_e32 v28, v28, v8
	v_sub_co_u32 v75, vcc_lo, v3, v5
	s_add_u32 s1, s14, -4
	s_delay_alu instid0(VALU_DEP_3) | instskip(SKIP_4) | instid1(VALU_DEP_3)
	v_add_nc_u32_e32 v73, v29, v73
	v_sub_nc_u32_e32 v29, v29, v8
	v_add_nc_u32_e32 v28, v28, v5
	v_add_nc_u32_e32 v24, v24, v5
	s_mov_b32 s3, -1
	v_add_nc_u32_e32 v29, v29, v5
	v_add_nc_u32_e32 v23, v22, v80
	v_sub_nc_u32_e32 v22, v22, v7
	s_delay_alu instid0(VALU_DEP_2) | instskip(SKIP_3) | instid1(VALU_DEP_3)
	v_add_nc_u32_e32 v25, v23, v76
	v_sub_nc_u32_e32 v23, v23, v7
	v_subrev_co_ci_u32_e32 v76, vcc_lo, 0, v4, vcc_lo
	v_cmp_eq_u32_e32 vcc_lo, 1, v35
	v_add_nc_u32_e32 v79, v24, v23
	s_delay_alu instid0(VALU_DEP_1) | instskip(NEXT) | instid1(VALU_DEP_1)
	v_sub_nc_u32_e32 v79, v33, v79
	v_add_nc_u32_e32 v79, 1, v79
	v_add_nc_u32_e32 v27, v25, v78
	;; [unrolled: 1-line block ×3, first 2 shown]
	s_delay_alu instid0(VALU_DEP_1) | instskip(NEXT) | instid1(VALU_DEP_1)
	v_sub_nc_u32_e32 v78, v33, v78
	v_dual_cndmask_b32 v9, v78, v9 :: v_dual_and_b32 v34, 1, v34
	v_cmp_eq_u32_e32 vcc_lo, 1, v40
	v_cndmask_b32_e32 v24, v79, v24, vcc_lo
	s_delay_alu instid0(VALU_DEP_3) | instskip(NEXT) | instid1(VALU_DEP_4)
	v_cmp_eq_u32_e32 vcc_lo, 1, v34
	v_cndmask_b32_e32 v9, v9, v22, vcc_lo
	v_sub_nc_u32_e32 v26, v26, v8
	v_cmp_eq_u32_e32 vcc_lo, 1, v37
	v_and_b32_e32 v37, 1, v38
	s_delay_alu instid0(VALU_DEP_4) | instskip(NEXT) | instid1(VALU_DEP_4)
	v_lshlrev_b32_e32 v9, 2, v9
	v_add_nc_u32_e32 v26, v26, v5
	v_cndmask_b32_e32 v24, v24, v23, vcc_lo
	v_sub_nc_u32_e32 v25, v25, v7
	v_add_co_u32 v22, vcc_lo, v75, v8
	v_add_co_ci_u32_e32 v23, vcc_lo, 0, v76, vcc_lo
	s_delay_alu instid0(VALU_DEP_3)
	v_add_nc_u32_e32 v34, v26, v25
	v_cmp_eq_u32_e32 vcc_lo, 1, v37
	v_lshlrev_b32_e32 v24, 2, v24
	ds_store_b32 v9, v20
	v_sub_nc_u32_e32 v34, v33, v34
	ds_store_b32 v24, v21
	v_and_b32_e32 v24, 1, v39
	v_add_nc_u32_e32 v34, 2, v34
	s_delay_alu instid0(VALU_DEP_1) | instskip(SKIP_3) | instid1(VALU_DEP_4)
	v_cndmask_b32_e32 v26, v34, v26, vcc_lo
	v_cmp_eq_u32_e32 vcc_lo, 1, v36
	v_add_nc_u32_e32 v74, v27, v74
	v_sub_nc_u32_e32 v27, v27, v7
	v_cndmask_b32_e32 v25, v26, v25, vcc_lo
	s_delay_alu instid0(VALU_DEP_3) | instskip(NEXT) | instid1(VALU_DEP_3)
	v_sub_nc_u32_e32 v37, v74, v7
	v_add_nc_u32_e32 v34, v27, v28
	v_cmp_eq_u32_e32 vcc_lo, 1, v24
	v_sub_nc_u32_e32 v26, v73, v8
	v_lshlrev_b32_e32 v21, 2, v25
	v_and_b32_e32 v25, 1, v41
	v_sub_nc_u32_e32 v9, v33, v34
	v_add_nc_u32_e32 v20, v37, v29
	v_and_b32_e32 v24, 1, v42
	v_add_nc_u32_e32 v26, v26, v5
	ds_store_b32 v21, v18
	v_add_nc_u32_e32 v9, 3, v9
	v_sub_nc_u32_e32 v20, v33, v20
	s_delay_alu instid0(VALU_DEP_2) | instskip(SKIP_2) | instid1(VALU_DEP_4)
	v_cndmask_b32_e32 v9, v9, v28, vcc_lo
	v_cmp_eq_u32_e32 vcc_lo, 1, v25
	v_add_nc_u32_e32 v72, v74, v72
	v_add_nc_u32_e32 v20, 4, v20
	v_and_b32_e32 v25, 1, v43
	v_cndmask_b32_e32 v9, v9, v27, vcc_lo
	s_delay_alu instid0(VALU_DEP_4)
	v_sub_nc_u32_e32 v28, v72, v7
	v_cmp_eq_u32_e32 vcc_lo, 1, v24
	v_and_b32_e32 v24, 1, v44
	v_add_nc_u32_e32 v70, v72, v70
	v_lshlrev_b32_e32 v9, 2, v9
	v_add_nc_u32_e32 v27, v28, v26
	v_cndmask_b32_e32 v20, v20, v29, vcc_lo
	v_cmp_eq_u32_e32 vcc_lo, 1, v25
	v_and_b32_e32 v25, 1, v45
	v_add_nc_u32_e32 v64, v70, v64
	v_sub_nc_u32_e32 v18, v33, v27
	v_sub_nc_u32_e32 v27, v70, v7
	v_cndmask_b32_e32 v20, v20, v37, vcc_lo
	v_cmp_eq_u32_e32 vcc_lo, 1, v24
	ds_store_b32 v9, v19
	v_add_nc_u32_e32 v18, 5, v18
	v_and_b32_e32 v19, 1, v46
	v_lshlrev_b32_e32 v20, 2, v20
	v_add_nc_u32_e32 v68, v64, v68
	s_delay_alu instid0(VALU_DEP_4)
	v_cndmask_b32_e32 v18, v18, v26, vcc_lo
	v_cmp_eq_u32_e32 vcc_lo, 1, v25
	v_sub_nc_u32_e32 v25, v64, v7
	ds_store_b32 v20, v16
	v_and_b32_e32 v20, 1, v49
	v_add_nc_u32_e32 v66, v68, v66
	v_dual_cndmask_b32 v18, v18, v28 :: v_dual_add_nc_u32 v71, v73, v71
	v_cmp_eq_u32_e32 vcc_lo, 1, v19
	v_and_b32_e32 v19, 1, v48
	s_delay_alu instid0(VALU_DEP_4) | instskip(NEXT) | instid1(VALU_DEP_4)
	v_add_nc_u32_e32 v61, v66, v61
	v_lshlrev_b32_e32 v18, 2, v18
	v_add_nc_u32_e32 v65, v71, v65
	v_sub_nc_u32_e32 v21, v71, v8
	s_delay_alu instid0(VALU_DEP_4)
	v_add_nc_u32_e32 v60, v61, v60
	ds_store_b32 v18, v17
	v_sub_nc_u32_e32 v24, v65, v8
	v_add_nc_u32_e32 v21, v21, v5
	v_add_nc_u32_e32 v69, v65, v69
	v_and_b32_e32 v17, 1, v47
	s_delay_alu instid0(VALU_DEP_4) | instskip(NEXT) | instid1(VALU_DEP_4)
	v_add_nc_u32_e32 v24, v24, v5
	v_add_nc_u32_e32 v26, v27, v21
	s_delay_alu instid0(VALU_DEP_4) | instskip(NEXT) | instid1(VALU_DEP_3)
	v_sub_nc_u32_e32 v18, v69, v8
	v_add_nc_u32_e32 v16, v25, v24
	s_delay_alu instid0(VALU_DEP_3) | instskip(NEXT) | instid1(VALU_DEP_3)
	v_sub_nc_u32_e32 v9, v33, v26
	v_add_nc_u32_e32 v18, v18, v5
	v_sub_nc_u32_e32 v26, v60, v7
	s_delay_alu instid0(VALU_DEP_4) | instskip(NEXT) | instid1(VALU_DEP_4)
	v_sub_nc_u32_e32 v16, v33, v16
	v_add_nc_u32_e32 v9, 6, v9
	s_delay_alu instid0(VALU_DEP_1) | instskip(SKIP_2) | instid1(VALU_DEP_3)
	v_dual_cndmask_b32 v9, v9, v21 :: v_dual_add_nc_u32 v16, 7, v16
	v_cmp_eq_u32_e32 vcc_lo, 1, v19
	v_sub_nc_u32_e32 v21, v68, v7
	v_cndmask_b32_e32 v16, v16, v24, vcc_lo
	v_cmp_eq_u32_e32 vcc_lo, 1, v17
	s_delay_alu instid0(VALU_DEP_3) | instskip(SKIP_3) | instid1(VALU_DEP_4)
	v_add_nc_u32_e32 v17, v21, v18
	v_cndmask_b32_e32 v9, v9, v27, vcc_lo
	v_cmp_eq_u32_e32 vcc_lo, 1, v20
	v_add_nc_u32_e32 v67, v69, v67
	v_sub_nc_u32_e32 v17, v33, v17
	v_sub_nc_u32_e32 v20, v66, v7
	v_lshlrev_b32_e32 v9, 2, v9
	v_cndmask_b32_e32 v16, v16, v25, vcc_lo
	v_sub_nc_u32_e32 v19, v67, v8
	v_add_nc_u32_e32 v62, v67, v62
	v_sub_nc_u32_e32 v25, v61, v7
	ds_store_b32 v9, v14
	v_and_b32_e32 v9, 1, v50
	v_add_nc_u32_e32 v19, v19, v5
	v_add_nc_u32_e32 v14, 8, v17
	v_lshlrev_b32_e32 v16, 2, v16
	v_add_nc_u32_e32 v63, v62, v63
	v_cmp_eq_u32_e32 vcc_lo, 1, v9
	v_add_nc_u32_e32 v17, v20, v19
	ds_store_b32 v16, v15
	v_and_b32_e32 v15, 1, v51
	v_cndmask_b32_e32 v9, v14, v18, vcc_lo
	v_sub_nc_u32_e32 v14, v33, v17
	v_and_b32_e32 v18, 1, v52
	v_sub_nc_u32_e32 v17, v62, v8
	v_and_b32_e32 v16, 1, v54
	v_sub_nc_u32_e32 v24, v63, v8
	v_add_nc_u32_e32 v14, 9, v14
	v_cmp_eq_u32_e32 vcc_lo, 1, v18
	v_add_nc_u32_e32 v17, v17, v5
	v_add_nc_u32_e32 v35, v63, v59
	;; [unrolled: 1-line block ×3, first 2 shown]
	v_cndmask_b32_e32 v14, v14, v19, vcc_lo
	v_cmp_eq_u32_e32 vcc_lo, 1, v15
	v_add_nc_u32_e32 v15, v25, v17
	s_delay_alu instid0(VALU_DEP_4)
	v_add_nc_u32_e32 v18, v26, v24
	v_and_b32_e32 v19, 1, v55
	v_cndmask_b32_e32 v9, v9, v21, vcc_lo
	v_cmp_eq_u32_e32 vcc_lo, 1, v16
	v_sub_nc_u32_e32 v15, v33, v15
	v_sub_nc_u32_e32 v18, v33, v18
	v_and_b32_e32 v21, 1, v57
	v_sub_nc_u32_e32 v16, v35, v8
	v_cndmask_b32_e32 v14, v14, v20, vcc_lo
	v_and_b32_e32 v20, 1, v53
	v_add_nc_u32_e32 v15, 10, v15
	v_add_nc_u32_e32 v18, 11, v18
	;; [unrolled: 1-line block ×3, first 2 shown]
	v_lshlrev_b32_e32 v9, 2, v9
	v_cmp_eq_u32_e32 vcc_lo, 1, v20
	v_dual_cndmask_b32 v15, v15, v17 :: v_dual_lshlrev_b32 v14, 2, v14
	v_cmp_eq_u32_e32 vcc_lo, 1, v21
	v_and_b32_e32 v17, 1, v56
	v_cndmask_b32_e32 v18, v18, v24, vcc_lo
	v_cmp_eq_u32_e32 vcc_lo, 1, v19
	v_cndmask_b32_e32 v15, v15, v25, vcc_lo
	s_delay_alu instid0(VALU_DEP_4) | instskip(NEXT) | instid1(VALU_DEP_2)
	v_cmp_eq_u32_e32 vcc_lo, 1, v17
	v_lshlrev_b32_e32 v15, 2, v15
	v_cndmask_b32_e32 v17, v18, v26, vcc_lo
	v_add_nc_u32_e32 v40, v60, v58
	s_delay_alu instid0(VALU_DEP_2) | instskip(NEXT) | instid1(VALU_DEP_2)
	v_lshlrev_b32_e32 v17, 2, v17
	v_sub_nc_u32_e32 v7, v40, v7
	ds_store_b32 v9, v12
	ds_store_b32 v14, v13
	;; [unrolled: 1-line block ×4, first 2 shown]
	v_add_co_u32 v9, s0, v6, v77
	s_delay_alu instid0(VALU_DEP_1) | instskip(SKIP_1) | instid1(VALU_DEP_3)
	v_add_co_ci_u32_e64 v10, null, 0, 0, s0
	v_add_nc_u32_e32 v27, v7, v16
	v_add_co_u32 v9, vcc_lo, v9, v22
	s_delay_alu instid0(VALU_DEP_3) | instskip(NEXT) | instid1(VALU_DEP_3)
	v_add_co_ci_u32_e32 v10, vcc_lo, v10, v23, vcc_lo
	v_sub_nc_u32_e32 v20, v33, v27
	v_add_co_u32 v11, s0, s34, v30
	s_delay_alu instid0(VALU_DEP_4) | instskip(NEXT) | instid1(VALU_DEP_3)
	v_add_co_u32 v9, vcc_lo, v9, v1
	v_add_nc_u32_e32 v18, 12, v20
	v_add_co_ci_u32_e64 v12, null, s35, 0, s0
	v_add_co_ci_u32_e32 v10, vcc_lo, v10, v2, vcc_lo
	s_delay_alu instid0(VALU_DEP_3) | instskip(SKIP_1) | instid1(VALU_DEP_2)
	v_cndmask_b32_e64 v16, v18, v16, s33
	v_add_nc_u32_e32 v14, v5, v6
	v_cndmask_b32_e64 v7, v16, v7, s27
	s_delay_alu instid0(VALU_DEP_1)
	v_lshlrev_b32_e32 v7, 2, v7
	ds_store_b32 v7, v32
	v_sub_co_u32 v7, vcc_lo, v11, v9
	v_sub_co_ci_u32_e32 v13, vcc_lo, v12, v10, vcc_lo
	v_lshlrev_b64 v[9:10], 2, v[22:23]
	v_lshlrev_b64 v[11:12], 2, v[1:2]
	s_waitcnt lgkmcnt(0)
	s_barrier
	buffer_gl0_inv
	v_add_co_u32 v9, vcc_lo, s30, v9
	v_add_co_ci_u32_e32 v10, vcc_lo, s31, v10, vcc_lo
	v_cmp_ne_u32_e32 vcc_lo, 1, v31
	v_add_co_u32 v11, s0, s28, v11
	s_delay_alu instid0(VALU_DEP_1)
	v_add_co_ci_u32_e64 v12, s0, s29, v12, s0
	s_addc_u32 s0, s15, -1
	s_cbranch_vccz .LBB256_132
; %bb.129:
	s_and_b32 vcc_lo, exec_lo, s3
	s_cbranch_vccnz .LBB256_237
.LBB256_130:
	s_and_b32 s0, s2, s13
	s_delay_alu instid0(SALU_CYCLE_1)
	s_and_saveexec_b32 s1, s0
	s_cbranch_execnz .LBB256_355
.LBB256_131:
	s_nop 0
	s_sendmsg sendmsg(MSG_DEALLOC_VGPRS)
	s_endpgm
.LBB256_132:
	s_mov_b32 s3, exec_lo
	v_cmpx_le_u32_e64 v5, v0
	s_xor_b32 s3, exec_lo, s3
	s_cbranch_execz .LBB256_138
; %bb.133:
	s_mov_b32 s5, exec_lo
	v_cmpx_le_u32_e64 v14, v0
	s_xor_b32 s5, exec_lo, s5
	s_cbranch_execz .LBB256_135
; %bb.134:
	v_lshlrev_b32_e32 v15, 2, v0
	ds_load_b32 v17, v15
	v_add_co_u32 v15, vcc_lo, v7, v0
	v_add_co_ci_u32_e32 v16, vcc_lo, 0, v13, vcc_lo
	s_delay_alu instid0(VALU_DEP_1) | instskip(NEXT) | instid1(VALU_DEP_1)
	v_lshlrev_b64 v[15:16], 2, v[15:16]
	v_sub_co_u32 v15, vcc_lo, s14, v15
	s_delay_alu instid0(VALU_DEP_2)
	v_sub_co_ci_u32_e32 v16, vcc_lo, s15, v16, vcc_lo
	s_waitcnt lgkmcnt(0)
	global_store_b32 v[15:16], v17, off offset:-4
.LBB256_135:
	s_and_not1_saveexec_b32 s5, s5
	s_cbranch_execz .LBB256_137
; %bb.136:
	v_lshlrev_b32_e32 v15, 2, v0
	v_readfirstlane_b32 s6, v9
	v_readfirstlane_b32 s7, v10
	ds_load_b32 v16, v15
	s_waitcnt lgkmcnt(0)
	global_store_b32 v15, v16, s[6:7]
.LBB256_137:
	s_or_b32 exec_lo, exec_lo, s5
.LBB256_138:
	s_and_not1_saveexec_b32 s3, s3
	s_cbranch_execz .LBB256_140
; %bb.139:
	v_lshlrev_b32_e32 v15, 2, v0
	v_readfirstlane_b32 s6, v11
	v_readfirstlane_b32 s7, v12
	ds_load_b32 v16, v15
	s_waitcnt lgkmcnt(0)
	global_store_b32 v15, v16, s[6:7]
.LBB256_140:
	s_or_b32 exec_lo, exec_lo, s3
	v_or_b32_e32 v15, 0x100, v0
	s_mov_b32 s3, exec_lo
	s_delay_alu instid0(VALU_DEP_1)
	v_cmpx_le_u32_e64 v5, v15
	s_xor_b32 s3, exec_lo, s3
	s_cbranch_execz .LBB256_146
; %bb.141:
	s_mov_b32 s5, exec_lo
	v_cmpx_le_u32_e64 v14, v15
	s_xor_b32 s5, exec_lo, s5
	s_cbranch_execz .LBB256_143
; %bb.142:
	v_lshlrev_b32_e32 v15, 2, v0
	ds_load_b32 v17, v15 offset:1024
	v_add_co_u32 v15, vcc_lo, v7, v0
	v_add_co_ci_u32_e32 v16, vcc_lo, 0, v13, vcc_lo
	s_delay_alu instid0(VALU_DEP_1) | instskip(NEXT) | instid1(VALU_DEP_1)
	v_lshlrev_b64 v[15:16], 2, v[15:16]
	v_sub_co_u32 v15, vcc_lo, s1, v15
	s_delay_alu instid0(VALU_DEP_2)
	v_sub_co_ci_u32_e32 v16, vcc_lo, s0, v16, vcc_lo
	s_waitcnt lgkmcnt(0)
	global_store_b32 v[15:16], v17, off offset:-1024
.LBB256_143:
	s_and_not1_saveexec_b32 s5, s5
	s_cbranch_execz .LBB256_145
; %bb.144:
	v_lshlrev_b32_e32 v15, 2, v0
	v_readfirstlane_b32 s6, v9
	v_readfirstlane_b32 s7, v10
	ds_load_b32 v16, v15 offset:1024
	s_waitcnt lgkmcnt(0)
	global_store_b32 v15, v16, s[6:7] offset:1024
.LBB256_145:
	s_or_b32 exec_lo, exec_lo, s5
.LBB256_146:
	s_and_not1_saveexec_b32 s3, s3
	s_cbranch_execz .LBB256_148
; %bb.147:
	v_lshlrev_b32_e32 v15, 2, v0
	v_readfirstlane_b32 s6, v11
	v_readfirstlane_b32 s7, v12
	ds_load_b32 v16, v15 offset:1024
	s_waitcnt lgkmcnt(0)
	global_store_b32 v15, v16, s[6:7] offset:1024
.LBB256_148:
	s_or_b32 exec_lo, exec_lo, s3
	v_or_b32_e32 v15, 0x200, v0
	s_mov_b32 s3, exec_lo
	s_delay_alu instid0(VALU_DEP_1)
	v_cmpx_le_u32_e64 v5, v15
	s_xor_b32 s3, exec_lo, s3
	s_cbranch_execz .LBB256_154
; %bb.149:
	s_mov_b32 s5, exec_lo
	v_cmpx_le_u32_e64 v14, v15
	s_xor_b32 s5, exec_lo, s5
	s_cbranch_execz .LBB256_151
; %bb.150:
	v_lshlrev_b32_e32 v15, 2, v0
	ds_load_b32 v17, v15 offset:2048
	v_add_co_u32 v15, vcc_lo, v7, v0
	v_add_co_ci_u32_e32 v16, vcc_lo, 0, v13, vcc_lo
	s_delay_alu instid0(VALU_DEP_1) | instskip(NEXT) | instid1(VALU_DEP_1)
	v_lshlrev_b64 v[15:16], 2, v[15:16]
	v_sub_co_u32 v15, vcc_lo, s1, v15
	s_delay_alu instid0(VALU_DEP_2)
	v_sub_co_ci_u32_e32 v16, vcc_lo, s0, v16, vcc_lo
	s_waitcnt lgkmcnt(0)
	global_store_b32 v[15:16], v17, off offset:-2048
.LBB256_151:
	s_and_not1_saveexec_b32 s5, s5
	s_cbranch_execz .LBB256_153
; %bb.152:
	v_lshlrev_b32_e32 v15, 2, v0
	v_readfirstlane_b32 s6, v9
	v_readfirstlane_b32 s7, v10
	ds_load_b32 v16, v15 offset:2048
	s_waitcnt lgkmcnt(0)
	global_store_b32 v15, v16, s[6:7] offset:2048
.LBB256_153:
	s_or_b32 exec_lo, exec_lo, s5
.LBB256_154:
	s_and_not1_saveexec_b32 s3, s3
	s_cbranch_execz .LBB256_156
; %bb.155:
	v_lshlrev_b32_e32 v15, 2, v0
	v_readfirstlane_b32 s6, v11
	v_readfirstlane_b32 s7, v12
	ds_load_b32 v16, v15 offset:2048
	s_waitcnt lgkmcnt(0)
	global_store_b32 v15, v16, s[6:7] offset:2048
.LBB256_156:
	;; [unrolled: 47-line block ×3, first 2 shown]
	s_or_b32 exec_lo, exec_lo, s3
	v_or_b32_e32 v15, 0x400, v0
	s_mov_b32 s3, exec_lo
	s_delay_alu instid0(VALU_DEP_1)
	v_cmpx_le_u32_e64 v5, v15
	s_xor_b32 s3, exec_lo, s3
	s_cbranch_execz .LBB256_170
; %bb.165:
	s_mov_b32 s5, exec_lo
	v_cmpx_le_u32_e64 v14, v15
	s_xor_b32 s5, exec_lo, s5
	s_cbranch_execz .LBB256_167
; %bb.166:
	v_lshlrev_b32_e32 v15, 2, v0
	ds_load_b32 v17, v15 offset:4096
	v_add_co_u32 v15, vcc_lo, v7, v0
	v_add_co_ci_u32_e32 v16, vcc_lo, 0, v13, vcc_lo
	s_delay_alu instid0(VALU_DEP_1) | instskip(NEXT) | instid1(VALU_DEP_1)
	v_lshlrev_b64 v[15:16], 2, v[15:16]
	v_sub_co_u32 v15, vcc_lo, s1, v15
	s_delay_alu instid0(VALU_DEP_2)
	v_sub_co_ci_u32_e32 v16, vcc_lo, s0, v16, vcc_lo
	s_waitcnt lgkmcnt(0)
	global_store_b32 v[15:16], v17, off offset:-4096
                                        ; implicit-def: $vgpr15
.LBB256_167:
	s_and_not1_saveexec_b32 s5, s5
	s_cbranch_execz .LBB256_169
; %bb.168:
	v_lshlrev_b32_e32 v16, 2, v0
	v_lshlrev_b32_e32 v15, 2, v15
	v_readfirstlane_b32 s6, v9
	v_readfirstlane_b32 s7, v10
	ds_load_b32 v16, v16 offset:4096
	s_waitcnt lgkmcnt(0)
	global_store_b32 v15, v16, s[6:7]
.LBB256_169:
	s_or_b32 exec_lo, exec_lo, s5
                                        ; implicit-def: $vgpr15
.LBB256_170:
	s_and_not1_saveexec_b32 s3, s3
	s_cbranch_execz .LBB256_172
; %bb.171:
	v_lshlrev_b32_e32 v16, 2, v0
	v_lshlrev_b32_e32 v15, 2, v15
	v_readfirstlane_b32 s6, v11
	v_readfirstlane_b32 s7, v12
	ds_load_b32 v16, v16 offset:4096
	s_waitcnt lgkmcnt(0)
	global_store_b32 v15, v16, s[6:7]
.LBB256_172:
	s_or_b32 exec_lo, exec_lo, s3
	v_or_b32_e32 v15, 0x500, v0
	s_mov_b32 s3, exec_lo
	s_delay_alu instid0(VALU_DEP_1)
	v_cmpx_le_u32_e64 v5, v15
	s_xor_b32 s3, exec_lo, s3
	s_cbranch_execz .LBB256_178
; %bb.173:
	s_mov_b32 s5, exec_lo
	v_cmpx_le_u32_e64 v14, v15
	s_xor_b32 s5, exec_lo, s5
	s_cbranch_execz .LBB256_175
; %bb.174:
	v_lshlrev_b32_e32 v16, 2, v0
	v_add_co_u32 v15, vcc_lo, v7, v15
	ds_load_b32 v17, v16 offset:5120
	v_add_co_ci_u32_e32 v16, vcc_lo, 0, v13, vcc_lo
	s_delay_alu instid0(VALU_DEP_1) | instskip(NEXT) | instid1(VALU_DEP_1)
	v_lshlrev_b64 v[15:16], 2, v[15:16]
	v_sub_co_u32 v15, vcc_lo, s1, v15
	s_delay_alu instid0(VALU_DEP_2)
	v_sub_co_ci_u32_e32 v16, vcc_lo, s0, v16, vcc_lo
	s_waitcnt lgkmcnt(0)
	global_store_b32 v[15:16], v17, off
                                        ; implicit-def: $vgpr15
.LBB256_175:
	s_and_not1_saveexec_b32 s5, s5
	s_cbranch_execz .LBB256_177
; %bb.176:
	v_lshlrev_b32_e32 v16, 2, v0
	v_lshlrev_b32_e32 v15, 2, v15
	v_readfirstlane_b32 s6, v9
	v_readfirstlane_b32 s7, v10
	ds_load_b32 v16, v16 offset:5120
	s_waitcnt lgkmcnt(0)
	global_store_b32 v15, v16, s[6:7]
.LBB256_177:
	s_or_b32 exec_lo, exec_lo, s5
                                        ; implicit-def: $vgpr15
.LBB256_178:
	s_and_not1_saveexec_b32 s3, s3
	s_cbranch_execz .LBB256_180
; %bb.179:
	v_lshlrev_b32_e32 v16, 2, v0
	v_lshlrev_b32_e32 v15, 2, v15
	v_readfirstlane_b32 s6, v11
	v_readfirstlane_b32 s7, v12
	ds_load_b32 v16, v16 offset:5120
	s_waitcnt lgkmcnt(0)
	global_store_b32 v15, v16, s[6:7]
.LBB256_180:
	s_or_b32 exec_lo, exec_lo, s3
	v_or_b32_e32 v15, 0x600, v0
	s_mov_b32 s3, exec_lo
	s_delay_alu instid0(VALU_DEP_1)
	v_cmpx_le_u32_e64 v5, v15
	s_xor_b32 s3, exec_lo, s3
	s_cbranch_execz .LBB256_186
; %bb.181:
	s_mov_b32 s5, exec_lo
	v_cmpx_le_u32_e64 v14, v15
	s_xor_b32 s5, exec_lo, s5
	s_cbranch_execz .LBB256_183
; %bb.182:
	v_lshlrev_b32_e32 v16, 2, v0
	v_add_co_u32 v15, vcc_lo, v7, v15
	ds_load_b32 v17, v16 offset:6144
	v_add_co_ci_u32_e32 v16, vcc_lo, 0, v13, vcc_lo
	s_delay_alu instid0(VALU_DEP_1) | instskip(NEXT) | instid1(VALU_DEP_1)
	v_lshlrev_b64 v[15:16], 2, v[15:16]
	v_sub_co_u32 v15, vcc_lo, s1, v15
	s_delay_alu instid0(VALU_DEP_2)
	v_sub_co_ci_u32_e32 v16, vcc_lo, s0, v16, vcc_lo
	s_waitcnt lgkmcnt(0)
	global_store_b32 v[15:16], v17, off
                                        ; implicit-def: $vgpr15
.LBB256_183:
	s_and_not1_saveexec_b32 s5, s5
	s_cbranch_execz .LBB256_185
; %bb.184:
	v_lshlrev_b32_e32 v16, 2, v0
	v_lshlrev_b32_e32 v15, 2, v15
	v_readfirstlane_b32 s6, v9
	v_readfirstlane_b32 s7, v10
	ds_load_b32 v16, v16 offset:6144
	s_waitcnt lgkmcnt(0)
	global_store_b32 v15, v16, s[6:7]
.LBB256_185:
	s_or_b32 exec_lo, exec_lo, s5
                                        ; implicit-def: $vgpr15
.LBB256_186:
	s_and_not1_saveexec_b32 s3, s3
	s_cbranch_execz .LBB256_188
; %bb.187:
	v_lshlrev_b32_e32 v16, 2, v0
	v_lshlrev_b32_e32 v15, 2, v15
	v_readfirstlane_b32 s6, v11
	v_readfirstlane_b32 s7, v12
	ds_load_b32 v16, v16 offset:6144
	s_waitcnt lgkmcnt(0)
	global_store_b32 v15, v16, s[6:7]
.LBB256_188:
	s_or_b32 exec_lo, exec_lo, s3
	v_or_b32_e32 v15, 0x700, v0
	s_mov_b32 s3, exec_lo
	s_delay_alu instid0(VALU_DEP_1)
	v_cmpx_le_u32_e64 v5, v15
	s_xor_b32 s3, exec_lo, s3
	s_cbranch_execz .LBB256_194
; %bb.189:
	s_mov_b32 s5, exec_lo
	v_cmpx_le_u32_e64 v14, v15
	s_xor_b32 s5, exec_lo, s5
	s_cbranch_execz .LBB256_191
; %bb.190:
	v_lshlrev_b32_e32 v16, 2, v0
	v_add_co_u32 v15, vcc_lo, v7, v15
	ds_load_b32 v17, v16 offset:7168
	v_add_co_ci_u32_e32 v16, vcc_lo, 0, v13, vcc_lo
	s_delay_alu instid0(VALU_DEP_1) | instskip(NEXT) | instid1(VALU_DEP_1)
	v_lshlrev_b64 v[15:16], 2, v[15:16]
	v_sub_co_u32 v15, vcc_lo, s1, v15
	s_delay_alu instid0(VALU_DEP_2)
	v_sub_co_ci_u32_e32 v16, vcc_lo, s0, v16, vcc_lo
	s_waitcnt lgkmcnt(0)
	global_store_b32 v[15:16], v17, off
                                        ; implicit-def: $vgpr15
.LBB256_191:
	s_and_not1_saveexec_b32 s5, s5
	s_cbranch_execz .LBB256_193
; %bb.192:
	v_lshlrev_b32_e32 v16, 2, v0
	v_lshlrev_b32_e32 v15, 2, v15
	v_readfirstlane_b32 s6, v9
	v_readfirstlane_b32 s7, v10
	ds_load_b32 v16, v16 offset:7168
	s_waitcnt lgkmcnt(0)
	global_store_b32 v15, v16, s[6:7]
.LBB256_193:
	s_or_b32 exec_lo, exec_lo, s5
                                        ; implicit-def: $vgpr15
.LBB256_194:
	s_and_not1_saveexec_b32 s3, s3
	s_cbranch_execz .LBB256_196
; %bb.195:
	v_lshlrev_b32_e32 v16, 2, v0
	v_lshlrev_b32_e32 v15, 2, v15
	v_readfirstlane_b32 s6, v11
	v_readfirstlane_b32 s7, v12
	ds_load_b32 v16, v16 offset:7168
	s_waitcnt lgkmcnt(0)
	global_store_b32 v15, v16, s[6:7]
.LBB256_196:
	s_or_b32 exec_lo, exec_lo, s3
	v_or_b32_e32 v15, 0x800, v0
	s_mov_b32 s3, exec_lo
	s_delay_alu instid0(VALU_DEP_1)
	v_cmpx_le_u32_e64 v5, v15
	s_xor_b32 s3, exec_lo, s3
	s_cbranch_execz .LBB256_202
; %bb.197:
	s_mov_b32 s5, exec_lo
	v_cmpx_le_u32_e64 v14, v15
	s_xor_b32 s5, exec_lo, s5
	s_cbranch_execz .LBB256_199
; %bb.198:
	v_lshlrev_b32_e32 v16, 2, v0
	v_add_co_u32 v15, vcc_lo, v7, v15
	ds_load_b32 v17, v16 offset:8192
	v_add_co_ci_u32_e32 v16, vcc_lo, 0, v13, vcc_lo
	s_delay_alu instid0(VALU_DEP_1) | instskip(NEXT) | instid1(VALU_DEP_1)
	v_lshlrev_b64 v[15:16], 2, v[15:16]
	v_sub_co_u32 v15, vcc_lo, s1, v15
	s_delay_alu instid0(VALU_DEP_2)
	v_sub_co_ci_u32_e32 v16, vcc_lo, s0, v16, vcc_lo
	s_waitcnt lgkmcnt(0)
	global_store_b32 v[15:16], v17, off
                                        ; implicit-def: $vgpr15
.LBB256_199:
	s_and_not1_saveexec_b32 s5, s5
	s_cbranch_execz .LBB256_201
; %bb.200:
	v_lshlrev_b32_e32 v16, 2, v0
	v_lshlrev_b32_e32 v15, 2, v15
	v_readfirstlane_b32 s6, v9
	v_readfirstlane_b32 s7, v10
	ds_load_b32 v16, v16 offset:8192
	s_waitcnt lgkmcnt(0)
	global_store_b32 v15, v16, s[6:7]
.LBB256_201:
	s_or_b32 exec_lo, exec_lo, s5
                                        ; implicit-def: $vgpr15
.LBB256_202:
	s_and_not1_saveexec_b32 s3, s3
	s_cbranch_execz .LBB256_204
; %bb.203:
	v_lshlrev_b32_e32 v16, 2, v0
	v_lshlrev_b32_e32 v15, 2, v15
	v_readfirstlane_b32 s6, v11
	v_readfirstlane_b32 s7, v12
	ds_load_b32 v16, v16 offset:8192
	s_waitcnt lgkmcnt(0)
	global_store_b32 v15, v16, s[6:7]
.LBB256_204:
	s_or_b32 exec_lo, exec_lo, s3
	v_or_b32_e32 v15, 0x900, v0
	s_mov_b32 s3, exec_lo
	s_delay_alu instid0(VALU_DEP_1)
	v_cmpx_le_u32_e64 v5, v15
	s_xor_b32 s3, exec_lo, s3
	s_cbranch_execz .LBB256_210
; %bb.205:
	s_mov_b32 s5, exec_lo
	v_cmpx_le_u32_e64 v14, v15
	s_xor_b32 s5, exec_lo, s5
	s_cbranch_execz .LBB256_207
; %bb.206:
	v_lshlrev_b32_e32 v16, 2, v0
	v_add_co_u32 v15, vcc_lo, v7, v15
	ds_load_b32 v17, v16 offset:9216
	v_add_co_ci_u32_e32 v16, vcc_lo, 0, v13, vcc_lo
	s_delay_alu instid0(VALU_DEP_1) | instskip(NEXT) | instid1(VALU_DEP_1)
	v_lshlrev_b64 v[15:16], 2, v[15:16]
	v_sub_co_u32 v15, vcc_lo, s1, v15
	s_delay_alu instid0(VALU_DEP_2)
	v_sub_co_ci_u32_e32 v16, vcc_lo, s0, v16, vcc_lo
	s_waitcnt lgkmcnt(0)
	global_store_b32 v[15:16], v17, off
                                        ; implicit-def: $vgpr15
.LBB256_207:
	s_and_not1_saveexec_b32 s5, s5
	s_cbranch_execz .LBB256_209
; %bb.208:
	v_lshlrev_b32_e32 v16, 2, v0
	v_lshlrev_b32_e32 v15, 2, v15
	v_readfirstlane_b32 s6, v9
	v_readfirstlane_b32 s7, v10
	ds_load_b32 v16, v16 offset:9216
	s_waitcnt lgkmcnt(0)
	global_store_b32 v15, v16, s[6:7]
.LBB256_209:
	s_or_b32 exec_lo, exec_lo, s5
                                        ; implicit-def: $vgpr15
.LBB256_210:
	s_and_not1_saveexec_b32 s3, s3
	s_cbranch_execz .LBB256_212
; %bb.211:
	v_lshlrev_b32_e32 v16, 2, v0
	v_lshlrev_b32_e32 v15, 2, v15
	v_readfirstlane_b32 s6, v11
	v_readfirstlane_b32 s7, v12
	ds_load_b32 v16, v16 offset:9216
	s_waitcnt lgkmcnt(0)
	global_store_b32 v15, v16, s[6:7]
.LBB256_212:
	s_or_b32 exec_lo, exec_lo, s3
	v_or_b32_e32 v15, 0xa00, v0
	s_mov_b32 s3, exec_lo
	s_delay_alu instid0(VALU_DEP_1)
	v_cmpx_le_u32_e64 v5, v15
	s_xor_b32 s3, exec_lo, s3
	s_cbranch_execz .LBB256_218
; %bb.213:
	s_mov_b32 s5, exec_lo
	v_cmpx_le_u32_e64 v14, v15
	s_xor_b32 s5, exec_lo, s5
	s_cbranch_execz .LBB256_215
; %bb.214:
	v_lshlrev_b32_e32 v16, 2, v0
	v_add_co_u32 v15, vcc_lo, v7, v15
	ds_load_b32 v17, v16 offset:10240
	v_add_co_ci_u32_e32 v16, vcc_lo, 0, v13, vcc_lo
	s_delay_alu instid0(VALU_DEP_1) | instskip(NEXT) | instid1(VALU_DEP_1)
	v_lshlrev_b64 v[15:16], 2, v[15:16]
	v_sub_co_u32 v15, vcc_lo, s1, v15
	s_delay_alu instid0(VALU_DEP_2)
	v_sub_co_ci_u32_e32 v16, vcc_lo, s0, v16, vcc_lo
	s_waitcnt lgkmcnt(0)
	global_store_b32 v[15:16], v17, off
                                        ; implicit-def: $vgpr15
.LBB256_215:
	s_and_not1_saveexec_b32 s5, s5
	s_cbranch_execz .LBB256_217
; %bb.216:
	v_lshlrev_b32_e32 v16, 2, v0
	v_lshlrev_b32_e32 v15, 2, v15
	v_readfirstlane_b32 s6, v9
	v_readfirstlane_b32 s7, v10
	ds_load_b32 v16, v16 offset:10240
	s_waitcnt lgkmcnt(0)
	global_store_b32 v15, v16, s[6:7]
.LBB256_217:
	s_or_b32 exec_lo, exec_lo, s5
                                        ; implicit-def: $vgpr15
.LBB256_218:
	s_and_not1_saveexec_b32 s3, s3
	s_cbranch_execz .LBB256_220
; %bb.219:
	v_lshlrev_b32_e32 v16, 2, v0
	v_lshlrev_b32_e32 v15, 2, v15
	v_readfirstlane_b32 s6, v11
	v_readfirstlane_b32 s7, v12
	ds_load_b32 v16, v16 offset:10240
	s_waitcnt lgkmcnt(0)
	global_store_b32 v15, v16, s[6:7]
.LBB256_220:
	s_or_b32 exec_lo, exec_lo, s3
	v_or_b32_e32 v15, 0xb00, v0
	s_mov_b32 s3, exec_lo
	s_delay_alu instid0(VALU_DEP_1)
	v_cmpx_le_u32_e64 v5, v15
	s_xor_b32 s3, exec_lo, s3
	s_cbranch_execz .LBB256_226
; %bb.221:
	s_mov_b32 s5, exec_lo
	v_cmpx_le_u32_e64 v14, v15
	s_xor_b32 s5, exec_lo, s5
	s_cbranch_execz .LBB256_223
; %bb.222:
	v_lshlrev_b32_e32 v16, 2, v0
	v_add_co_u32 v15, vcc_lo, v7, v15
	ds_load_b32 v17, v16 offset:11264
	v_add_co_ci_u32_e32 v16, vcc_lo, 0, v13, vcc_lo
	s_delay_alu instid0(VALU_DEP_1) | instskip(NEXT) | instid1(VALU_DEP_1)
	v_lshlrev_b64 v[15:16], 2, v[15:16]
	v_sub_co_u32 v15, vcc_lo, s1, v15
	s_delay_alu instid0(VALU_DEP_2)
	v_sub_co_ci_u32_e32 v16, vcc_lo, s0, v16, vcc_lo
	s_waitcnt lgkmcnt(0)
	global_store_b32 v[15:16], v17, off
                                        ; implicit-def: $vgpr15
.LBB256_223:
	s_and_not1_saveexec_b32 s5, s5
	s_cbranch_execz .LBB256_225
; %bb.224:
	v_lshlrev_b32_e32 v16, 2, v0
	v_lshlrev_b32_e32 v15, 2, v15
	v_readfirstlane_b32 s6, v9
	v_readfirstlane_b32 s7, v10
	ds_load_b32 v16, v16 offset:11264
	s_waitcnt lgkmcnt(0)
	global_store_b32 v15, v16, s[6:7]
.LBB256_225:
	s_or_b32 exec_lo, exec_lo, s5
                                        ; implicit-def: $vgpr15
.LBB256_226:
	s_and_not1_saveexec_b32 s3, s3
	s_cbranch_execz .LBB256_228
; %bb.227:
	v_lshlrev_b32_e32 v16, 2, v0
	v_lshlrev_b32_e32 v15, 2, v15
	v_readfirstlane_b32 s6, v11
	v_readfirstlane_b32 s7, v12
	ds_load_b32 v16, v16 offset:11264
	s_waitcnt lgkmcnt(0)
	global_store_b32 v15, v16, s[6:7]
.LBB256_228:
	s_or_b32 exec_lo, exec_lo, s3
	v_or_b32_e32 v15, 0xc00, v0
	s_mov_b32 s3, exec_lo
	s_delay_alu instid0(VALU_DEP_1)
	v_cmpx_le_u32_e64 v5, v15
	s_xor_b32 s3, exec_lo, s3
	s_cbranch_execz .LBB256_234
; %bb.229:
	s_mov_b32 s5, exec_lo
	v_cmpx_le_u32_e64 v14, v15
	s_xor_b32 s5, exec_lo, s5
	s_cbranch_execz .LBB256_231
; %bb.230:
	v_lshlrev_b32_e32 v16, 2, v0
	v_add_co_u32 v15, vcc_lo, v7, v15
	ds_load_b32 v17, v16 offset:12288
	v_add_co_ci_u32_e32 v16, vcc_lo, 0, v13, vcc_lo
	s_delay_alu instid0(VALU_DEP_1) | instskip(NEXT) | instid1(VALU_DEP_1)
	v_lshlrev_b64 v[15:16], 2, v[15:16]
	v_sub_co_u32 v15, vcc_lo, s1, v15
	s_delay_alu instid0(VALU_DEP_2)
	v_sub_co_ci_u32_e32 v16, vcc_lo, s0, v16, vcc_lo
	s_waitcnt lgkmcnt(0)
	global_store_b32 v[15:16], v17, off
                                        ; implicit-def: $vgpr15
.LBB256_231:
	s_and_not1_saveexec_b32 s5, s5
	s_cbranch_execz .LBB256_233
; %bb.232:
	v_lshlrev_b32_e32 v16, 2, v0
	v_lshlrev_b32_e32 v15, 2, v15
	v_readfirstlane_b32 s6, v9
	v_readfirstlane_b32 s7, v10
	ds_load_b32 v16, v16 offset:12288
	s_waitcnt lgkmcnt(0)
	global_store_b32 v15, v16, s[6:7]
.LBB256_233:
	s_or_b32 exec_lo, exec_lo, s5
                                        ; implicit-def: $vgpr15
.LBB256_234:
	s_and_not1_saveexec_b32 s3, s3
	s_cbranch_execz .LBB256_236
; %bb.235:
	v_lshlrev_b32_e32 v16, 2, v0
	v_lshlrev_b32_e32 v15, 2, v15
	v_readfirstlane_b32 s6, v11
	v_readfirstlane_b32 s7, v12
	ds_load_b32 v16, v16 offset:12288
	s_waitcnt lgkmcnt(0)
	global_store_b32 v15, v16, s[6:7]
.LBB256_236:
	s_or_b32 exec_lo, exec_lo, s3
	s_branch .LBB256_130
.LBB256_237:
	s_mov_b32 s3, exec_lo
	v_cmpx_gt_u32_e64 s4, v0
	s_cbranch_execz .LBB256_246
; %bb.238:
	s_mov_b32 s5, exec_lo
	v_cmpx_le_u32_e64 v5, v0
	s_xor_b32 s5, exec_lo, s5
	s_cbranch_execz .LBB256_244
; %bb.239:
	s_mov_b32 s6, exec_lo
	v_cmpx_le_u32_e64 v14, v0
	s_xor_b32 s6, exec_lo, s6
	s_cbranch_execz .LBB256_241
; %bb.240:
	v_lshlrev_b32_e32 v15, 2, v0
	ds_load_b32 v17, v15
	v_add_co_u32 v15, vcc_lo, v7, v0
	v_add_co_ci_u32_e32 v16, vcc_lo, 0, v13, vcc_lo
	s_delay_alu instid0(VALU_DEP_1) | instskip(NEXT) | instid1(VALU_DEP_1)
	v_lshlrev_b64 v[15:16], 2, v[15:16]
	v_sub_co_u32 v15, vcc_lo, s14, v15
	s_delay_alu instid0(VALU_DEP_2)
	v_sub_co_ci_u32_e32 v16, vcc_lo, s15, v16, vcc_lo
	s_waitcnt lgkmcnt(0)
	global_store_b32 v[15:16], v17, off offset:-4
.LBB256_241:
	s_and_not1_saveexec_b32 s6, s6
	s_cbranch_execz .LBB256_243
; %bb.242:
	v_lshlrev_b32_e32 v15, 2, v0
	v_readfirstlane_b32 s8, v9
	v_readfirstlane_b32 s9, v10
	ds_load_b32 v16, v15
	s_waitcnt lgkmcnt(0)
	global_store_b32 v15, v16, s[8:9]
.LBB256_243:
	s_or_b32 exec_lo, exec_lo, s6
.LBB256_244:
	s_and_not1_saveexec_b32 s5, s5
	s_cbranch_execz .LBB256_246
; %bb.245:
	v_lshlrev_b32_e32 v15, 2, v0
	v_readfirstlane_b32 s6, v11
	v_readfirstlane_b32 s7, v12
	ds_load_b32 v16, v15
	s_waitcnt lgkmcnt(0)
	global_store_b32 v15, v16, s[6:7]
.LBB256_246:
	s_or_b32 exec_lo, exec_lo, s3
	v_or_b32_e32 v15, 0x100, v0
	s_mov_b32 s3, exec_lo
	s_delay_alu instid0(VALU_DEP_1)
	v_cmpx_gt_u32_e64 s4, v15
	s_cbranch_execz .LBB256_255
; %bb.247:
	s_mov_b32 s5, exec_lo
	v_cmpx_le_u32_e64 v5, v15
	s_xor_b32 s5, exec_lo, s5
	s_cbranch_execz .LBB256_253
; %bb.248:
	s_mov_b32 s6, exec_lo
	v_cmpx_le_u32_e64 v14, v15
	s_xor_b32 s6, exec_lo, s6
	s_cbranch_execz .LBB256_250
; %bb.249:
	v_lshlrev_b32_e32 v15, 2, v0
	ds_load_b32 v17, v15 offset:1024
	v_add_co_u32 v15, vcc_lo, v7, v0
	v_add_co_ci_u32_e32 v16, vcc_lo, 0, v13, vcc_lo
	s_delay_alu instid0(VALU_DEP_1) | instskip(NEXT) | instid1(VALU_DEP_1)
	v_lshlrev_b64 v[15:16], 2, v[15:16]
	v_sub_co_u32 v15, vcc_lo, s1, v15
	s_delay_alu instid0(VALU_DEP_2)
	v_sub_co_ci_u32_e32 v16, vcc_lo, s0, v16, vcc_lo
	s_waitcnt lgkmcnt(0)
	global_store_b32 v[15:16], v17, off offset:-1024
.LBB256_250:
	s_and_not1_saveexec_b32 s6, s6
	s_cbranch_execz .LBB256_252
; %bb.251:
	v_lshlrev_b32_e32 v15, 2, v0
	v_readfirstlane_b32 s8, v9
	v_readfirstlane_b32 s9, v10
	ds_load_b32 v16, v15 offset:1024
	s_waitcnt lgkmcnt(0)
	global_store_b32 v15, v16, s[8:9] offset:1024
.LBB256_252:
	s_or_b32 exec_lo, exec_lo, s6
.LBB256_253:
	s_and_not1_saveexec_b32 s5, s5
	s_cbranch_execz .LBB256_255
; %bb.254:
	v_lshlrev_b32_e32 v15, 2, v0
	v_readfirstlane_b32 s6, v11
	v_readfirstlane_b32 s7, v12
	ds_load_b32 v16, v15 offset:1024
	s_waitcnt lgkmcnt(0)
	global_store_b32 v15, v16, s[6:7] offset:1024
.LBB256_255:
	s_or_b32 exec_lo, exec_lo, s3
	v_or_b32_e32 v15, 0x200, v0
	s_mov_b32 s3, exec_lo
	s_delay_alu instid0(VALU_DEP_1)
	v_cmpx_gt_u32_e64 s4, v15
	s_cbranch_execz .LBB256_264
; %bb.256:
	s_mov_b32 s5, exec_lo
	v_cmpx_le_u32_e64 v5, v15
	s_xor_b32 s5, exec_lo, s5
	s_cbranch_execz .LBB256_262
; %bb.257:
	s_mov_b32 s6, exec_lo
	v_cmpx_le_u32_e64 v14, v15
	s_xor_b32 s6, exec_lo, s6
	s_cbranch_execz .LBB256_259
; %bb.258:
	v_lshlrev_b32_e32 v15, 2, v0
	ds_load_b32 v17, v15 offset:2048
	v_add_co_u32 v15, vcc_lo, v7, v0
	v_add_co_ci_u32_e32 v16, vcc_lo, 0, v13, vcc_lo
	s_delay_alu instid0(VALU_DEP_1) | instskip(NEXT) | instid1(VALU_DEP_1)
	v_lshlrev_b64 v[15:16], 2, v[15:16]
	v_sub_co_u32 v15, vcc_lo, s1, v15
	s_delay_alu instid0(VALU_DEP_2)
	v_sub_co_ci_u32_e32 v16, vcc_lo, s0, v16, vcc_lo
	s_waitcnt lgkmcnt(0)
	global_store_b32 v[15:16], v17, off offset:-2048
.LBB256_259:
	s_and_not1_saveexec_b32 s6, s6
	s_cbranch_execz .LBB256_261
; %bb.260:
	v_lshlrev_b32_e32 v15, 2, v0
	v_readfirstlane_b32 s8, v9
	v_readfirstlane_b32 s9, v10
	ds_load_b32 v16, v15 offset:2048
	s_waitcnt lgkmcnt(0)
	global_store_b32 v15, v16, s[8:9] offset:2048
.LBB256_261:
	s_or_b32 exec_lo, exec_lo, s6
.LBB256_262:
	s_and_not1_saveexec_b32 s5, s5
	s_cbranch_execz .LBB256_264
; %bb.263:
	v_lshlrev_b32_e32 v15, 2, v0
	v_readfirstlane_b32 s6, v11
	v_readfirstlane_b32 s7, v12
	ds_load_b32 v16, v15 offset:2048
	s_waitcnt lgkmcnt(0)
	global_store_b32 v15, v16, s[6:7] offset:2048
.LBB256_264:
	;; [unrolled: 51-line block ×3, first 2 shown]
	s_or_b32 exec_lo, exec_lo, s3
	v_or_b32_e32 v15, 0x400, v0
	s_mov_b32 s3, exec_lo
	s_delay_alu instid0(VALU_DEP_1)
	v_cmpx_gt_u32_e64 s4, v15
	s_cbranch_execz .LBB256_282
; %bb.274:
	s_mov_b32 s5, exec_lo
	v_cmpx_le_u32_e64 v5, v15
	s_xor_b32 s5, exec_lo, s5
	s_cbranch_execz .LBB256_280
; %bb.275:
	s_mov_b32 s6, exec_lo
	v_cmpx_le_u32_e64 v14, v15
	s_xor_b32 s6, exec_lo, s6
	s_cbranch_execz .LBB256_277
; %bb.276:
	v_lshlrev_b32_e32 v15, 2, v0
	ds_load_b32 v17, v15 offset:4096
	v_add_co_u32 v15, vcc_lo, v7, v0
	v_add_co_ci_u32_e32 v16, vcc_lo, 0, v13, vcc_lo
	s_delay_alu instid0(VALU_DEP_1) | instskip(NEXT) | instid1(VALU_DEP_1)
	v_lshlrev_b64 v[15:16], 2, v[15:16]
	v_sub_co_u32 v15, vcc_lo, s1, v15
	s_delay_alu instid0(VALU_DEP_2)
	v_sub_co_ci_u32_e32 v16, vcc_lo, s0, v16, vcc_lo
	s_waitcnt lgkmcnt(0)
	global_store_b32 v[15:16], v17, off offset:-4096
                                        ; implicit-def: $vgpr15
.LBB256_277:
	s_and_not1_saveexec_b32 s6, s6
	s_cbranch_execz .LBB256_279
; %bb.278:
	v_lshlrev_b32_e32 v16, 2, v0
	v_lshlrev_b32_e32 v15, 2, v15
	v_readfirstlane_b32 s8, v9
	v_readfirstlane_b32 s9, v10
	ds_load_b32 v16, v16 offset:4096
	s_waitcnt lgkmcnt(0)
	global_store_b32 v15, v16, s[8:9]
.LBB256_279:
	s_or_b32 exec_lo, exec_lo, s6
                                        ; implicit-def: $vgpr15
.LBB256_280:
	s_and_not1_saveexec_b32 s5, s5
	s_cbranch_execz .LBB256_282
; %bb.281:
	v_lshlrev_b32_e32 v16, 2, v0
	v_lshlrev_b32_e32 v15, 2, v15
	v_readfirstlane_b32 s6, v11
	v_readfirstlane_b32 s7, v12
	ds_load_b32 v16, v16 offset:4096
	s_waitcnt lgkmcnt(0)
	global_store_b32 v15, v16, s[6:7]
.LBB256_282:
	s_or_b32 exec_lo, exec_lo, s3
	v_or_b32_e32 v15, 0x500, v0
	s_mov_b32 s3, exec_lo
	s_delay_alu instid0(VALU_DEP_1)
	v_cmpx_gt_u32_e64 s4, v15
	s_cbranch_execz .LBB256_291
; %bb.283:
	s_mov_b32 s5, exec_lo
	v_cmpx_le_u32_e64 v5, v15
	s_xor_b32 s5, exec_lo, s5
	s_cbranch_execz .LBB256_289
; %bb.284:
	s_mov_b32 s6, exec_lo
	v_cmpx_le_u32_e64 v14, v15
	s_xor_b32 s6, exec_lo, s6
	s_cbranch_execz .LBB256_286
; %bb.285:
	v_lshlrev_b32_e32 v16, 2, v0
	v_add_co_u32 v15, vcc_lo, v7, v15
	ds_load_b32 v17, v16 offset:5120
	v_add_co_ci_u32_e32 v16, vcc_lo, 0, v13, vcc_lo
	s_delay_alu instid0(VALU_DEP_1) | instskip(NEXT) | instid1(VALU_DEP_1)
	v_lshlrev_b64 v[15:16], 2, v[15:16]
	v_sub_co_u32 v15, vcc_lo, s1, v15
	s_delay_alu instid0(VALU_DEP_2)
	v_sub_co_ci_u32_e32 v16, vcc_lo, s0, v16, vcc_lo
	s_waitcnt lgkmcnt(0)
	global_store_b32 v[15:16], v17, off
                                        ; implicit-def: $vgpr15
.LBB256_286:
	s_and_not1_saveexec_b32 s6, s6
	s_cbranch_execz .LBB256_288
; %bb.287:
	v_lshlrev_b32_e32 v16, 2, v0
	v_lshlrev_b32_e32 v15, 2, v15
	v_readfirstlane_b32 s8, v9
	v_readfirstlane_b32 s9, v10
	ds_load_b32 v16, v16 offset:5120
	s_waitcnt lgkmcnt(0)
	global_store_b32 v15, v16, s[8:9]
.LBB256_288:
	s_or_b32 exec_lo, exec_lo, s6
                                        ; implicit-def: $vgpr15
.LBB256_289:
	s_and_not1_saveexec_b32 s5, s5
	s_cbranch_execz .LBB256_291
; %bb.290:
	v_lshlrev_b32_e32 v16, 2, v0
	v_lshlrev_b32_e32 v15, 2, v15
	v_readfirstlane_b32 s6, v11
	v_readfirstlane_b32 s7, v12
	ds_load_b32 v16, v16 offset:5120
	s_waitcnt lgkmcnt(0)
	global_store_b32 v15, v16, s[6:7]
.LBB256_291:
	s_or_b32 exec_lo, exec_lo, s3
	v_or_b32_e32 v15, 0x600, v0
	s_mov_b32 s3, exec_lo
	s_delay_alu instid0(VALU_DEP_1)
	v_cmpx_gt_u32_e64 s4, v15
	s_cbranch_execz .LBB256_300
; %bb.292:
	s_mov_b32 s5, exec_lo
	v_cmpx_le_u32_e64 v5, v15
	s_xor_b32 s5, exec_lo, s5
	s_cbranch_execz .LBB256_298
; %bb.293:
	s_mov_b32 s6, exec_lo
	v_cmpx_le_u32_e64 v14, v15
	s_xor_b32 s6, exec_lo, s6
	s_cbranch_execz .LBB256_295
; %bb.294:
	v_lshlrev_b32_e32 v16, 2, v0
	v_add_co_u32 v15, vcc_lo, v7, v15
	ds_load_b32 v17, v16 offset:6144
	v_add_co_ci_u32_e32 v16, vcc_lo, 0, v13, vcc_lo
	s_delay_alu instid0(VALU_DEP_1) | instskip(NEXT) | instid1(VALU_DEP_1)
	v_lshlrev_b64 v[15:16], 2, v[15:16]
	v_sub_co_u32 v15, vcc_lo, s1, v15
	s_delay_alu instid0(VALU_DEP_2)
	v_sub_co_ci_u32_e32 v16, vcc_lo, s0, v16, vcc_lo
	s_waitcnt lgkmcnt(0)
	global_store_b32 v[15:16], v17, off
                                        ; implicit-def: $vgpr15
.LBB256_295:
	s_and_not1_saveexec_b32 s6, s6
	s_cbranch_execz .LBB256_297
; %bb.296:
	v_lshlrev_b32_e32 v16, 2, v0
	v_lshlrev_b32_e32 v15, 2, v15
	v_readfirstlane_b32 s8, v9
	v_readfirstlane_b32 s9, v10
	ds_load_b32 v16, v16 offset:6144
	s_waitcnt lgkmcnt(0)
	global_store_b32 v15, v16, s[8:9]
.LBB256_297:
	s_or_b32 exec_lo, exec_lo, s6
                                        ; implicit-def: $vgpr15
.LBB256_298:
	s_and_not1_saveexec_b32 s5, s5
	s_cbranch_execz .LBB256_300
; %bb.299:
	v_lshlrev_b32_e32 v16, 2, v0
	v_lshlrev_b32_e32 v15, 2, v15
	v_readfirstlane_b32 s6, v11
	v_readfirstlane_b32 s7, v12
	ds_load_b32 v16, v16 offset:6144
	s_waitcnt lgkmcnt(0)
	global_store_b32 v15, v16, s[6:7]
.LBB256_300:
	;; [unrolled: 55-line block ×7, first 2 shown]
	s_or_b32 exec_lo, exec_lo, s3
	v_or_b32_e32 v15, 0xc00, v0
	s_mov_b32 s3, exec_lo
	s_delay_alu instid0(VALU_DEP_1)
	v_cmpx_gt_u32_e64 s4, v15
	s_cbranch_execz .LBB256_354
; %bb.346:
	s_mov_b32 s4, exec_lo
	v_cmpx_le_u32_e64 v5, v15
	s_xor_b32 s4, exec_lo, s4
	s_cbranch_execz .LBB256_352
; %bb.347:
	s_mov_b32 s5, exec_lo
	v_cmpx_le_u32_e64 v14, v15
	s_xor_b32 s5, exec_lo, s5
	s_cbranch_execz .LBB256_349
; %bb.348:
	v_lshlrev_b32_e32 v0, 2, v0
	v_add_co_u32 v9, vcc_lo, v7, v15
	v_add_co_ci_u32_e32 v10, vcc_lo, 0, v13, vcc_lo
	ds_load_b32 v0, v0 offset:12288
                                        ; implicit-def: $vgpr15
	v_lshlrev_b64 v[9:10], 2, v[9:10]
	s_delay_alu instid0(VALU_DEP_1) | instskip(NEXT) | instid1(VALU_DEP_2)
	v_sub_co_u32 v9, vcc_lo, s1, v9
	v_sub_co_ci_u32_e32 v10, vcc_lo, s0, v10, vcc_lo
	s_waitcnt lgkmcnt(0)
	global_store_b32 v[9:10], v0, off
                                        ; implicit-def: $vgpr0
                                        ; implicit-def: $vgpr9_vgpr10
.LBB256_349:
	s_and_not1_saveexec_b32 s0, s5
	s_cbranch_execz .LBB256_351
; %bb.350:
	v_lshlrev_b32_e32 v0, 2, v0
	v_lshlrev_b32_e32 v7, 2, v15
	v_readfirstlane_b32 s6, v9
	v_readfirstlane_b32 s7, v10
	ds_load_b32 v0, v0 offset:12288
	s_waitcnt lgkmcnt(0)
	global_store_b32 v7, v0, s[6:7]
.LBB256_351:
	s_or_b32 exec_lo, exec_lo, s0
                                        ; implicit-def: $vgpr0
                                        ; implicit-def: $vgpr15
                                        ; implicit-def: $vgpr11_vgpr12
.LBB256_352:
	s_and_not1_saveexec_b32 s0, s4
	s_cbranch_execz .LBB256_354
; %bb.353:
	v_lshlrev_b32_e32 v0, 2, v0
	v_lshlrev_b32_e32 v7, 2, v15
	v_readfirstlane_b32 s0, v11
	v_readfirstlane_b32 s1, v12
	ds_load_b32 v0, v0 offset:12288
	s_waitcnt lgkmcnt(0)
	global_store_b32 v7, v0, s[0:1]
.LBB256_354:
	s_or_b32 exec_lo, exec_lo, s3
	s_and_b32 s0, s2, s13
	s_delay_alu instid0(SALU_CYCLE_1)
	s_and_saveexec_b32 s1, s0
	s_cbranch_execz .LBB256_131
.LBB256_355:
	v_add_co_u32 v3, vcc_lo, v3, v6
	v_add_co_ci_u32_e32 v4, vcc_lo, 0, v4, vcc_lo
	v_add_co_u32 v0, vcc_lo, v1, v5
	v_add_co_ci_u32_e32 v1, vcc_lo, 0, v2, vcc_lo
	s_delay_alu instid0(VALU_DEP_4)
	v_add_co_u32 v2, vcc_lo, v3, v8
	v_mov_b32_e32 v7, 0
	v_add_co_ci_u32_e32 v3, vcc_lo, 0, v4, vcc_lo
	global_store_b128 v7, v[0:3], s[24:25]
	s_nop 0
	s_sendmsg sendmsg(MSG_DEALLOC_VGPRS)
	s_endpgm
.LBB256_356:
	v_add_nc_u32_e32 v7, s6, v27
	s_add_i32 s8, s26, 32
	s_mov_b32 s9, 0
	v_dual_mov_b32 v9, 0 :: v_dual_add_nc_u32 v6, v26, v5
	s_lshl_b64 s[8:9], s[8:9], 4
	v_and_b32_e32 v24, 0xff0000, v7
	s_add_u32 s8, s36, s8
	s_addc_u32 s9, s37, s9
	v_and_b32_e32 v8, 0xff000000, v7
	s_delay_alu instid0(VALU_DEP_1) | instskip(SKIP_2) | instid1(VALU_DEP_1)
	v_or_b32_e32 v24, v24, v8
	v_dual_mov_b32 v8, 2 :: v_dual_and_b32 v25, 0xff00, v7
	v_and_b32_e32 v7, 0xff, v7
	v_or3_b32 v7, v24, v25, v7
	v_dual_mov_b32 v25, s9 :: v_dual_mov_b32 v24, s8
	;;#ASMSTART
	global_store_dwordx4 v[24:25], v[6:9] off	
s_waitcnt vmcnt(0)
	;;#ASMEND
	s_or_b32 exec_lo, exec_lo, s7
	s_and_saveexec_b32 s7, s3
	s_cbranch_execz .LBB256_115
.LBB256_357:
	v_mov_b32_e32 v6, s6
	v_add_nc_u32_e64 v7, 0x3400, 0
	ds_store_2addr_b32 v7, v5, v6 offset1:2
	ds_store_2addr_b32 v7, v26, v27 offset0:4 offset1:6
	s_or_b32 exec_lo, exec_lo, s7
	s_delay_alu instid0(SALU_CYCLE_1)
	s_and_b32 exec_lo, exec_lo, s2
	s_cbranch_execnz .LBB256_116
	s_branch .LBB256_117
	.section	.rodata,"a",@progbits
	.p2align	6, 0x0
	.amdhsa_kernel _ZN7rocprim17ROCPRIM_400000_NS6detail17trampoline_kernelINS0_13select_configILj256ELj13ELNS0_17block_load_methodE3ELS4_3ELS4_3ELNS0_20block_scan_algorithmE0ELj4294967295EEENS1_25partition_config_selectorILNS1_17partition_subalgoE4EjNS0_10empty_typeEbEEZZNS1_14partition_implILS8_4ELb0ES6_15HIP_vector_typeIjLj2EENS0_17counting_iteratorIjlEEPS9_SG_NS0_5tupleIJPjSI_NS0_16reverse_iteratorISI_EEEEENSH_IJSG_SG_SG_EEES9_SI_JZNS1_25segmented_radix_sort_implINS0_14default_configELb1EPKaPaPKlPlN2at6native12_GLOBAL__N_18offset_tEEE10hipError_tPvRmT1_PNSt15iterator_traitsIS12_E10value_typeET2_T3_PNS13_IS18_E10value_typeET4_jRbjT5_S1E_jjP12ihipStream_tbEUljE_ZNSN_ISO_Lb1ESQ_SR_ST_SU_SY_EESZ_S10_S11_S12_S16_S17_S18_S1B_S1C_jS1D_jS1E_S1E_jjS1G_bEUljE0_EEESZ_S10_S11_S18_S1C_S1E_T6_T7_T9_mT8_S1G_bDpT10_ENKUlT_T0_E_clISt17integral_constantIbLb0EES1T_IbLb1EEEEDaS1P_S1Q_EUlS1P_E_NS1_11comp_targetILNS1_3genE9ELNS1_11target_archE1100ELNS1_3gpuE3ELNS1_3repE0EEENS1_30default_config_static_selectorELNS0_4arch9wavefront6targetE0EEEvS12_
		.amdhsa_group_segment_fixed_size 13340
		.amdhsa_private_segment_fixed_size 0
		.amdhsa_kernarg_size 184
		.amdhsa_user_sgpr_count 15
		.amdhsa_user_sgpr_dispatch_ptr 0
		.amdhsa_user_sgpr_queue_ptr 0
		.amdhsa_user_sgpr_kernarg_segment_ptr 1
		.amdhsa_user_sgpr_dispatch_id 0
		.amdhsa_user_sgpr_private_segment_size 0
		.amdhsa_wavefront_size32 1
		.amdhsa_uses_dynamic_stack 0
		.amdhsa_enable_private_segment 0
		.amdhsa_system_sgpr_workgroup_id_x 1
		.amdhsa_system_sgpr_workgroup_id_y 0
		.amdhsa_system_sgpr_workgroup_id_z 0
		.amdhsa_system_sgpr_workgroup_info 0
		.amdhsa_system_vgpr_workitem_id 0
		.amdhsa_next_free_vgpr 103
		.amdhsa_next_free_sgpr 55
		.amdhsa_reserve_vcc 1
		.amdhsa_float_round_mode_32 0
		.amdhsa_float_round_mode_16_64 0
		.amdhsa_float_denorm_mode_32 3
		.amdhsa_float_denorm_mode_16_64 3
		.amdhsa_dx10_clamp 1
		.amdhsa_ieee_mode 1
		.amdhsa_fp16_overflow 0
		.amdhsa_workgroup_processor_mode 1
		.amdhsa_memory_ordered 1
		.amdhsa_forward_progress 0
		.amdhsa_shared_vgpr_count 0
		.amdhsa_exception_fp_ieee_invalid_op 0
		.amdhsa_exception_fp_denorm_src 0
		.amdhsa_exception_fp_ieee_div_zero 0
		.amdhsa_exception_fp_ieee_overflow 0
		.amdhsa_exception_fp_ieee_underflow 0
		.amdhsa_exception_fp_ieee_inexact 0
		.amdhsa_exception_int_div_zero 0
	.end_amdhsa_kernel
	.section	.text._ZN7rocprim17ROCPRIM_400000_NS6detail17trampoline_kernelINS0_13select_configILj256ELj13ELNS0_17block_load_methodE3ELS4_3ELS4_3ELNS0_20block_scan_algorithmE0ELj4294967295EEENS1_25partition_config_selectorILNS1_17partition_subalgoE4EjNS0_10empty_typeEbEEZZNS1_14partition_implILS8_4ELb0ES6_15HIP_vector_typeIjLj2EENS0_17counting_iteratorIjlEEPS9_SG_NS0_5tupleIJPjSI_NS0_16reverse_iteratorISI_EEEEENSH_IJSG_SG_SG_EEES9_SI_JZNS1_25segmented_radix_sort_implINS0_14default_configELb1EPKaPaPKlPlN2at6native12_GLOBAL__N_18offset_tEEE10hipError_tPvRmT1_PNSt15iterator_traitsIS12_E10value_typeET2_T3_PNS13_IS18_E10value_typeET4_jRbjT5_S1E_jjP12ihipStream_tbEUljE_ZNSN_ISO_Lb1ESQ_SR_ST_SU_SY_EESZ_S10_S11_S12_S16_S17_S18_S1B_S1C_jS1D_jS1E_S1E_jjS1G_bEUljE0_EEESZ_S10_S11_S18_S1C_S1E_T6_T7_T9_mT8_S1G_bDpT10_ENKUlT_T0_E_clISt17integral_constantIbLb0EES1T_IbLb1EEEEDaS1P_S1Q_EUlS1P_E_NS1_11comp_targetILNS1_3genE9ELNS1_11target_archE1100ELNS1_3gpuE3ELNS1_3repE0EEENS1_30default_config_static_selectorELNS0_4arch9wavefront6targetE0EEEvS12_,"axG",@progbits,_ZN7rocprim17ROCPRIM_400000_NS6detail17trampoline_kernelINS0_13select_configILj256ELj13ELNS0_17block_load_methodE3ELS4_3ELS4_3ELNS0_20block_scan_algorithmE0ELj4294967295EEENS1_25partition_config_selectorILNS1_17partition_subalgoE4EjNS0_10empty_typeEbEEZZNS1_14partition_implILS8_4ELb0ES6_15HIP_vector_typeIjLj2EENS0_17counting_iteratorIjlEEPS9_SG_NS0_5tupleIJPjSI_NS0_16reverse_iteratorISI_EEEEENSH_IJSG_SG_SG_EEES9_SI_JZNS1_25segmented_radix_sort_implINS0_14default_configELb1EPKaPaPKlPlN2at6native12_GLOBAL__N_18offset_tEEE10hipError_tPvRmT1_PNSt15iterator_traitsIS12_E10value_typeET2_T3_PNS13_IS18_E10value_typeET4_jRbjT5_S1E_jjP12ihipStream_tbEUljE_ZNSN_ISO_Lb1ESQ_SR_ST_SU_SY_EESZ_S10_S11_S12_S16_S17_S18_S1B_S1C_jS1D_jS1E_S1E_jjS1G_bEUljE0_EEESZ_S10_S11_S18_S1C_S1E_T6_T7_T9_mT8_S1G_bDpT10_ENKUlT_T0_E_clISt17integral_constantIbLb0EES1T_IbLb1EEEEDaS1P_S1Q_EUlS1P_E_NS1_11comp_targetILNS1_3genE9ELNS1_11target_archE1100ELNS1_3gpuE3ELNS1_3repE0EEENS1_30default_config_static_selectorELNS0_4arch9wavefront6targetE0EEEvS12_,comdat
.Lfunc_end256:
	.size	_ZN7rocprim17ROCPRIM_400000_NS6detail17trampoline_kernelINS0_13select_configILj256ELj13ELNS0_17block_load_methodE3ELS4_3ELS4_3ELNS0_20block_scan_algorithmE0ELj4294967295EEENS1_25partition_config_selectorILNS1_17partition_subalgoE4EjNS0_10empty_typeEbEEZZNS1_14partition_implILS8_4ELb0ES6_15HIP_vector_typeIjLj2EENS0_17counting_iteratorIjlEEPS9_SG_NS0_5tupleIJPjSI_NS0_16reverse_iteratorISI_EEEEENSH_IJSG_SG_SG_EEES9_SI_JZNS1_25segmented_radix_sort_implINS0_14default_configELb1EPKaPaPKlPlN2at6native12_GLOBAL__N_18offset_tEEE10hipError_tPvRmT1_PNSt15iterator_traitsIS12_E10value_typeET2_T3_PNS13_IS18_E10value_typeET4_jRbjT5_S1E_jjP12ihipStream_tbEUljE_ZNSN_ISO_Lb1ESQ_SR_ST_SU_SY_EESZ_S10_S11_S12_S16_S17_S18_S1B_S1C_jS1D_jS1E_S1E_jjS1G_bEUljE0_EEESZ_S10_S11_S18_S1C_S1E_T6_T7_T9_mT8_S1G_bDpT10_ENKUlT_T0_E_clISt17integral_constantIbLb0EES1T_IbLb1EEEEDaS1P_S1Q_EUlS1P_E_NS1_11comp_targetILNS1_3genE9ELNS1_11target_archE1100ELNS1_3gpuE3ELNS1_3repE0EEENS1_30default_config_static_selectorELNS0_4arch9wavefront6targetE0EEEvS12_, .Lfunc_end256-_ZN7rocprim17ROCPRIM_400000_NS6detail17trampoline_kernelINS0_13select_configILj256ELj13ELNS0_17block_load_methodE3ELS4_3ELS4_3ELNS0_20block_scan_algorithmE0ELj4294967295EEENS1_25partition_config_selectorILNS1_17partition_subalgoE4EjNS0_10empty_typeEbEEZZNS1_14partition_implILS8_4ELb0ES6_15HIP_vector_typeIjLj2EENS0_17counting_iteratorIjlEEPS9_SG_NS0_5tupleIJPjSI_NS0_16reverse_iteratorISI_EEEEENSH_IJSG_SG_SG_EEES9_SI_JZNS1_25segmented_radix_sort_implINS0_14default_configELb1EPKaPaPKlPlN2at6native12_GLOBAL__N_18offset_tEEE10hipError_tPvRmT1_PNSt15iterator_traitsIS12_E10value_typeET2_T3_PNS13_IS18_E10value_typeET4_jRbjT5_S1E_jjP12ihipStream_tbEUljE_ZNSN_ISO_Lb1ESQ_SR_ST_SU_SY_EESZ_S10_S11_S12_S16_S17_S18_S1B_S1C_jS1D_jS1E_S1E_jjS1G_bEUljE0_EEESZ_S10_S11_S18_S1C_S1E_T6_T7_T9_mT8_S1G_bDpT10_ENKUlT_T0_E_clISt17integral_constantIbLb0EES1T_IbLb1EEEEDaS1P_S1Q_EUlS1P_E_NS1_11comp_targetILNS1_3genE9ELNS1_11target_archE1100ELNS1_3gpuE3ELNS1_3repE0EEENS1_30default_config_static_selectorELNS0_4arch9wavefront6targetE0EEEvS12_
                                        ; -- End function
	.section	.AMDGPU.csdata,"",@progbits
; Kernel info:
; codeLenInByte = 15060
; NumSgprs: 57
; NumVgprs: 103
; ScratchSize: 0
; MemoryBound: 0
; FloatMode: 240
; IeeeMode: 1
; LDSByteSize: 13340 bytes/workgroup (compile time only)
; SGPRBlocks: 7
; VGPRBlocks: 12
; NumSGPRsForWavesPerEU: 57
; NumVGPRsForWavesPerEU: 103
; Occupancy: 12
; WaveLimiterHint : 1
; COMPUTE_PGM_RSRC2:SCRATCH_EN: 0
; COMPUTE_PGM_RSRC2:USER_SGPR: 15
; COMPUTE_PGM_RSRC2:TRAP_HANDLER: 0
; COMPUTE_PGM_RSRC2:TGID_X_EN: 1
; COMPUTE_PGM_RSRC2:TGID_Y_EN: 0
; COMPUTE_PGM_RSRC2:TGID_Z_EN: 0
; COMPUTE_PGM_RSRC2:TIDIG_COMP_CNT: 0
	.section	.text._ZN7rocprim17ROCPRIM_400000_NS6detail17trampoline_kernelINS0_13select_configILj256ELj13ELNS0_17block_load_methodE3ELS4_3ELS4_3ELNS0_20block_scan_algorithmE0ELj4294967295EEENS1_25partition_config_selectorILNS1_17partition_subalgoE4EjNS0_10empty_typeEbEEZZNS1_14partition_implILS8_4ELb0ES6_15HIP_vector_typeIjLj2EENS0_17counting_iteratorIjlEEPS9_SG_NS0_5tupleIJPjSI_NS0_16reverse_iteratorISI_EEEEENSH_IJSG_SG_SG_EEES9_SI_JZNS1_25segmented_radix_sort_implINS0_14default_configELb1EPKaPaPKlPlN2at6native12_GLOBAL__N_18offset_tEEE10hipError_tPvRmT1_PNSt15iterator_traitsIS12_E10value_typeET2_T3_PNS13_IS18_E10value_typeET4_jRbjT5_S1E_jjP12ihipStream_tbEUljE_ZNSN_ISO_Lb1ESQ_SR_ST_SU_SY_EESZ_S10_S11_S12_S16_S17_S18_S1B_S1C_jS1D_jS1E_S1E_jjS1G_bEUljE0_EEESZ_S10_S11_S18_S1C_S1E_T6_T7_T9_mT8_S1G_bDpT10_ENKUlT_T0_E_clISt17integral_constantIbLb0EES1T_IbLb1EEEEDaS1P_S1Q_EUlS1P_E_NS1_11comp_targetILNS1_3genE8ELNS1_11target_archE1030ELNS1_3gpuE2ELNS1_3repE0EEENS1_30default_config_static_selectorELNS0_4arch9wavefront6targetE0EEEvS12_,"axG",@progbits,_ZN7rocprim17ROCPRIM_400000_NS6detail17trampoline_kernelINS0_13select_configILj256ELj13ELNS0_17block_load_methodE3ELS4_3ELS4_3ELNS0_20block_scan_algorithmE0ELj4294967295EEENS1_25partition_config_selectorILNS1_17partition_subalgoE4EjNS0_10empty_typeEbEEZZNS1_14partition_implILS8_4ELb0ES6_15HIP_vector_typeIjLj2EENS0_17counting_iteratorIjlEEPS9_SG_NS0_5tupleIJPjSI_NS0_16reverse_iteratorISI_EEEEENSH_IJSG_SG_SG_EEES9_SI_JZNS1_25segmented_radix_sort_implINS0_14default_configELb1EPKaPaPKlPlN2at6native12_GLOBAL__N_18offset_tEEE10hipError_tPvRmT1_PNSt15iterator_traitsIS12_E10value_typeET2_T3_PNS13_IS18_E10value_typeET4_jRbjT5_S1E_jjP12ihipStream_tbEUljE_ZNSN_ISO_Lb1ESQ_SR_ST_SU_SY_EESZ_S10_S11_S12_S16_S17_S18_S1B_S1C_jS1D_jS1E_S1E_jjS1G_bEUljE0_EEESZ_S10_S11_S18_S1C_S1E_T6_T7_T9_mT8_S1G_bDpT10_ENKUlT_T0_E_clISt17integral_constantIbLb0EES1T_IbLb1EEEEDaS1P_S1Q_EUlS1P_E_NS1_11comp_targetILNS1_3genE8ELNS1_11target_archE1030ELNS1_3gpuE2ELNS1_3repE0EEENS1_30default_config_static_selectorELNS0_4arch9wavefront6targetE0EEEvS12_,comdat
	.globl	_ZN7rocprim17ROCPRIM_400000_NS6detail17trampoline_kernelINS0_13select_configILj256ELj13ELNS0_17block_load_methodE3ELS4_3ELS4_3ELNS0_20block_scan_algorithmE0ELj4294967295EEENS1_25partition_config_selectorILNS1_17partition_subalgoE4EjNS0_10empty_typeEbEEZZNS1_14partition_implILS8_4ELb0ES6_15HIP_vector_typeIjLj2EENS0_17counting_iteratorIjlEEPS9_SG_NS0_5tupleIJPjSI_NS0_16reverse_iteratorISI_EEEEENSH_IJSG_SG_SG_EEES9_SI_JZNS1_25segmented_radix_sort_implINS0_14default_configELb1EPKaPaPKlPlN2at6native12_GLOBAL__N_18offset_tEEE10hipError_tPvRmT1_PNSt15iterator_traitsIS12_E10value_typeET2_T3_PNS13_IS18_E10value_typeET4_jRbjT5_S1E_jjP12ihipStream_tbEUljE_ZNSN_ISO_Lb1ESQ_SR_ST_SU_SY_EESZ_S10_S11_S12_S16_S17_S18_S1B_S1C_jS1D_jS1E_S1E_jjS1G_bEUljE0_EEESZ_S10_S11_S18_S1C_S1E_T6_T7_T9_mT8_S1G_bDpT10_ENKUlT_T0_E_clISt17integral_constantIbLb0EES1T_IbLb1EEEEDaS1P_S1Q_EUlS1P_E_NS1_11comp_targetILNS1_3genE8ELNS1_11target_archE1030ELNS1_3gpuE2ELNS1_3repE0EEENS1_30default_config_static_selectorELNS0_4arch9wavefront6targetE0EEEvS12_ ; -- Begin function _ZN7rocprim17ROCPRIM_400000_NS6detail17trampoline_kernelINS0_13select_configILj256ELj13ELNS0_17block_load_methodE3ELS4_3ELS4_3ELNS0_20block_scan_algorithmE0ELj4294967295EEENS1_25partition_config_selectorILNS1_17partition_subalgoE4EjNS0_10empty_typeEbEEZZNS1_14partition_implILS8_4ELb0ES6_15HIP_vector_typeIjLj2EENS0_17counting_iteratorIjlEEPS9_SG_NS0_5tupleIJPjSI_NS0_16reverse_iteratorISI_EEEEENSH_IJSG_SG_SG_EEES9_SI_JZNS1_25segmented_radix_sort_implINS0_14default_configELb1EPKaPaPKlPlN2at6native12_GLOBAL__N_18offset_tEEE10hipError_tPvRmT1_PNSt15iterator_traitsIS12_E10value_typeET2_T3_PNS13_IS18_E10value_typeET4_jRbjT5_S1E_jjP12ihipStream_tbEUljE_ZNSN_ISO_Lb1ESQ_SR_ST_SU_SY_EESZ_S10_S11_S12_S16_S17_S18_S1B_S1C_jS1D_jS1E_S1E_jjS1G_bEUljE0_EEESZ_S10_S11_S18_S1C_S1E_T6_T7_T9_mT8_S1G_bDpT10_ENKUlT_T0_E_clISt17integral_constantIbLb0EES1T_IbLb1EEEEDaS1P_S1Q_EUlS1P_E_NS1_11comp_targetILNS1_3genE8ELNS1_11target_archE1030ELNS1_3gpuE2ELNS1_3repE0EEENS1_30default_config_static_selectorELNS0_4arch9wavefront6targetE0EEEvS12_
	.p2align	8
	.type	_ZN7rocprim17ROCPRIM_400000_NS6detail17trampoline_kernelINS0_13select_configILj256ELj13ELNS0_17block_load_methodE3ELS4_3ELS4_3ELNS0_20block_scan_algorithmE0ELj4294967295EEENS1_25partition_config_selectorILNS1_17partition_subalgoE4EjNS0_10empty_typeEbEEZZNS1_14partition_implILS8_4ELb0ES6_15HIP_vector_typeIjLj2EENS0_17counting_iteratorIjlEEPS9_SG_NS0_5tupleIJPjSI_NS0_16reverse_iteratorISI_EEEEENSH_IJSG_SG_SG_EEES9_SI_JZNS1_25segmented_radix_sort_implINS0_14default_configELb1EPKaPaPKlPlN2at6native12_GLOBAL__N_18offset_tEEE10hipError_tPvRmT1_PNSt15iterator_traitsIS12_E10value_typeET2_T3_PNS13_IS18_E10value_typeET4_jRbjT5_S1E_jjP12ihipStream_tbEUljE_ZNSN_ISO_Lb1ESQ_SR_ST_SU_SY_EESZ_S10_S11_S12_S16_S17_S18_S1B_S1C_jS1D_jS1E_S1E_jjS1G_bEUljE0_EEESZ_S10_S11_S18_S1C_S1E_T6_T7_T9_mT8_S1G_bDpT10_ENKUlT_T0_E_clISt17integral_constantIbLb0EES1T_IbLb1EEEEDaS1P_S1Q_EUlS1P_E_NS1_11comp_targetILNS1_3genE8ELNS1_11target_archE1030ELNS1_3gpuE2ELNS1_3repE0EEENS1_30default_config_static_selectorELNS0_4arch9wavefront6targetE0EEEvS12_,@function
_ZN7rocprim17ROCPRIM_400000_NS6detail17trampoline_kernelINS0_13select_configILj256ELj13ELNS0_17block_load_methodE3ELS4_3ELS4_3ELNS0_20block_scan_algorithmE0ELj4294967295EEENS1_25partition_config_selectorILNS1_17partition_subalgoE4EjNS0_10empty_typeEbEEZZNS1_14partition_implILS8_4ELb0ES6_15HIP_vector_typeIjLj2EENS0_17counting_iteratorIjlEEPS9_SG_NS0_5tupleIJPjSI_NS0_16reverse_iteratorISI_EEEEENSH_IJSG_SG_SG_EEES9_SI_JZNS1_25segmented_radix_sort_implINS0_14default_configELb1EPKaPaPKlPlN2at6native12_GLOBAL__N_18offset_tEEE10hipError_tPvRmT1_PNSt15iterator_traitsIS12_E10value_typeET2_T3_PNS13_IS18_E10value_typeET4_jRbjT5_S1E_jjP12ihipStream_tbEUljE_ZNSN_ISO_Lb1ESQ_SR_ST_SU_SY_EESZ_S10_S11_S12_S16_S17_S18_S1B_S1C_jS1D_jS1E_S1E_jjS1G_bEUljE0_EEESZ_S10_S11_S18_S1C_S1E_T6_T7_T9_mT8_S1G_bDpT10_ENKUlT_T0_E_clISt17integral_constantIbLb0EES1T_IbLb1EEEEDaS1P_S1Q_EUlS1P_E_NS1_11comp_targetILNS1_3genE8ELNS1_11target_archE1030ELNS1_3gpuE2ELNS1_3repE0EEENS1_30default_config_static_selectorELNS0_4arch9wavefront6targetE0EEEvS12_: ; @_ZN7rocprim17ROCPRIM_400000_NS6detail17trampoline_kernelINS0_13select_configILj256ELj13ELNS0_17block_load_methodE3ELS4_3ELS4_3ELNS0_20block_scan_algorithmE0ELj4294967295EEENS1_25partition_config_selectorILNS1_17partition_subalgoE4EjNS0_10empty_typeEbEEZZNS1_14partition_implILS8_4ELb0ES6_15HIP_vector_typeIjLj2EENS0_17counting_iteratorIjlEEPS9_SG_NS0_5tupleIJPjSI_NS0_16reverse_iteratorISI_EEEEENSH_IJSG_SG_SG_EEES9_SI_JZNS1_25segmented_radix_sort_implINS0_14default_configELb1EPKaPaPKlPlN2at6native12_GLOBAL__N_18offset_tEEE10hipError_tPvRmT1_PNSt15iterator_traitsIS12_E10value_typeET2_T3_PNS13_IS18_E10value_typeET4_jRbjT5_S1E_jjP12ihipStream_tbEUljE_ZNSN_ISO_Lb1ESQ_SR_ST_SU_SY_EESZ_S10_S11_S12_S16_S17_S18_S1B_S1C_jS1D_jS1E_S1E_jjS1G_bEUljE0_EEESZ_S10_S11_S18_S1C_S1E_T6_T7_T9_mT8_S1G_bDpT10_ENKUlT_T0_E_clISt17integral_constantIbLb0EES1T_IbLb1EEEEDaS1P_S1Q_EUlS1P_E_NS1_11comp_targetILNS1_3genE8ELNS1_11target_archE1030ELNS1_3gpuE2ELNS1_3repE0EEENS1_30default_config_static_selectorELNS0_4arch9wavefront6targetE0EEEvS12_
; %bb.0:
	.section	.rodata,"a",@progbits
	.p2align	6, 0x0
	.amdhsa_kernel _ZN7rocprim17ROCPRIM_400000_NS6detail17trampoline_kernelINS0_13select_configILj256ELj13ELNS0_17block_load_methodE3ELS4_3ELS4_3ELNS0_20block_scan_algorithmE0ELj4294967295EEENS1_25partition_config_selectorILNS1_17partition_subalgoE4EjNS0_10empty_typeEbEEZZNS1_14partition_implILS8_4ELb0ES6_15HIP_vector_typeIjLj2EENS0_17counting_iteratorIjlEEPS9_SG_NS0_5tupleIJPjSI_NS0_16reverse_iteratorISI_EEEEENSH_IJSG_SG_SG_EEES9_SI_JZNS1_25segmented_radix_sort_implINS0_14default_configELb1EPKaPaPKlPlN2at6native12_GLOBAL__N_18offset_tEEE10hipError_tPvRmT1_PNSt15iterator_traitsIS12_E10value_typeET2_T3_PNS13_IS18_E10value_typeET4_jRbjT5_S1E_jjP12ihipStream_tbEUljE_ZNSN_ISO_Lb1ESQ_SR_ST_SU_SY_EESZ_S10_S11_S12_S16_S17_S18_S1B_S1C_jS1D_jS1E_S1E_jjS1G_bEUljE0_EEESZ_S10_S11_S18_S1C_S1E_T6_T7_T9_mT8_S1G_bDpT10_ENKUlT_T0_E_clISt17integral_constantIbLb0EES1T_IbLb1EEEEDaS1P_S1Q_EUlS1P_E_NS1_11comp_targetILNS1_3genE8ELNS1_11target_archE1030ELNS1_3gpuE2ELNS1_3repE0EEENS1_30default_config_static_selectorELNS0_4arch9wavefront6targetE0EEEvS12_
		.amdhsa_group_segment_fixed_size 0
		.amdhsa_private_segment_fixed_size 0
		.amdhsa_kernarg_size 184
		.amdhsa_user_sgpr_count 15
		.amdhsa_user_sgpr_dispatch_ptr 0
		.amdhsa_user_sgpr_queue_ptr 0
		.amdhsa_user_sgpr_kernarg_segment_ptr 1
		.amdhsa_user_sgpr_dispatch_id 0
		.amdhsa_user_sgpr_private_segment_size 0
		.amdhsa_wavefront_size32 1
		.amdhsa_uses_dynamic_stack 0
		.amdhsa_enable_private_segment 0
		.amdhsa_system_sgpr_workgroup_id_x 1
		.amdhsa_system_sgpr_workgroup_id_y 0
		.amdhsa_system_sgpr_workgroup_id_z 0
		.amdhsa_system_sgpr_workgroup_info 0
		.amdhsa_system_vgpr_workitem_id 0
		.amdhsa_next_free_vgpr 1
		.amdhsa_next_free_sgpr 1
		.amdhsa_reserve_vcc 0
		.amdhsa_float_round_mode_32 0
		.amdhsa_float_round_mode_16_64 0
		.amdhsa_float_denorm_mode_32 3
		.amdhsa_float_denorm_mode_16_64 3
		.amdhsa_dx10_clamp 1
		.amdhsa_ieee_mode 1
		.amdhsa_fp16_overflow 0
		.amdhsa_workgroup_processor_mode 1
		.amdhsa_memory_ordered 1
		.amdhsa_forward_progress 0
		.amdhsa_shared_vgpr_count 0
		.amdhsa_exception_fp_ieee_invalid_op 0
		.amdhsa_exception_fp_denorm_src 0
		.amdhsa_exception_fp_ieee_div_zero 0
		.amdhsa_exception_fp_ieee_overflow 0
		.amdhsa_exception_fp_ieee_underflow 0
		.amdhsa_exception_fp_ieee_inexact 0
		.amdhsa_exception_int_div_zero 0
	.end_amdhsa_kernel
	.section	.text._ZN7rocprim17ROCPRIM_400000_NS6detail17trampoline_kernelINS0_13select_configILj256ELj13ELNS0_17block_load_methodE3ELS4_3ELS4_3ELNS0_20block_scan_algorithmE0ELj4294967295EEENS1_25partition_config_selectorILNS1_17partition_subalgoE4EjNS0_10empty_typeEbEEZZNS1_14partition_implILS8_4ELb0ES6_15HIP_vector_typeIjLj2EENS0_17counting_iteratorIjlEEPS9_SG_NS0_5tupleIJPjSI_NS0_16reverse_iteratorISI_EEEEENSH_IJSG_SG_SG_EEES9_SI_JZNS1_25segmented_radix_sort_implINS0_14default_configELb1EPKaPaPKlPlN2at6native12_GLOBAL__N_18offset_tEEE10hipError_tPvRmT1_PNSt15iterator_traitsIS12_E10value_typeET2_T3_PNS13_IS18_E10value_typeET4_jRbjT5_S1E_jjP12ihipStream_tbEUljE_ZNSN_ISO_Lb1ESQ_SR_ST_SU_SY_EESZ_S10_S11_S12_S16_S17_S18_S1B_S1C_jS1D_jS1E_S1E_jjS1G_bEUljE0_EEESZ_S10_S11_S18_S1C_S1E_T6_T7_T9_mT8_S1G_bDpT10_ENKUlT_T0_E_clISt17integral_constantIbLb0EES1T_IbLb1EEEEDaS1P_S1Q_EUlS1P_E_NS1_11comp_targetILNS1_3genE8ELNS1_11target_archE1030ELNS1_3gpuE2ELNS1_3repE0EEENS1_30default_config_static_selectorELNS0_4arch9wavefront6targetE0EEEvS12_,"axG",@progbits,_ZN7rocprim17ROCPRIM_400000_NS6detail17trampoline_kernelINS0_13select_configILj256ELj13ELNS0_17block_load_methodE3ELS4_3ELS4_3ELNS0_20block_scan_algorithmE0ELj4294967295EEENS1_25partition_config_selectorILNS1_17partition_subalgoE4EjNS0_10empty_typeEbEEZZNS1_14partition_implILS8_4ELb0ES6_15HIP_vector_typeIjLj2EENS0_17counting_iteratorIjlEEPS9_SG_NS0_5tupleIJPjSI_NS0_16reverse_iteratorISI_EEEEENSH_IJSG_SG_SG_EEES9_SI_JZNS1_25segmented_radix_sort_implINS0_14default_configELb1EPKaPaPKlPlN2at6native12_GLOBAL__N_18offset_tEEE10hipError_tPvRmT1_PNSt15iterator_traitsIS12_E10value_typeET2_T3_PNS13_IS18_E10value_typeET4_jRbjT5_S1E_jjP12ihipStream_tbEUljE_ZNSN_ISO_Lb1ESQ_SR_ST_SU_SY_EESZ_S10_S11_S12_S16_S17_S18_S1B_S1C_jS1D_jS1E_S1E_jjS1G_bEUljE0_EEESZ_S10_S11_S18_S1C_S1E_T6_T7_T9_mT8_S1G_bDpT10_ENKUlT_T0_E_clISt17integral_constantIbLb0EES1T_IbLb1EEEEDaS1P_S1Q_EUlS1P_E_NS1_11comp_targetILNS1_3genE8ELNS1_11target_archE1030ELNS1_3gpuE2ELNS1_3repE0EEENS1_30default_config_static_selectorELNS0_4arch9wavefront6targetE0EEEvS12_,comdat
.Lfunc_end257:
	.size	_ZN7rocprim17ROCPRIM_400000_NS6detail17trampoline_kernelINS0_13select_configILj256ELj13ELNS0_17block_load_methodE3ELS4_3ELS4_3ELNS0_20block_scan_algorithmE0ELj4294967295EEENS1_25partition_config_selectorILNS1_17partition_subalgoE4EjNS0_10empty_typeEbEEZZNS1_14partition_implILS8_4ELb0ES6_15HIP_vector_typeIjLj2EENS0_17counting_iteratorIjlEEPS9_SG_NS0_5tupleIJPjSI_NS0_16reverse_iteratorISI_EEEEENSH_IJSG_SG_SG_EEES9_SI_JZNS1_25segmented_radix_sort_implINS0_14default_configELb1EPKaPaPKlPlN2at6native12_GLOBAL__N_18offset_tEEE10hipError_tPvRmT1_PNSt15iterator_traitsIS12_E10value_typeET2_T3_PNS13_IS18_E10value_typeET4_jRbjT5_S1E_jjP12ihipStream_tbEUljE_ZNSN_ISO_Lb1ESQ_SR_ST_SU_SY_EESZ_S10_S11_S12_S16_S17_S18_S1B_S1C_jS1D_jS1E_S1E_jjS1G_bEUljE0_EEESZ_S10_S11_S18_S1C_S1E_T6_T7_T9_mT8_S1G_bDpT10_ENKUlT_T0_E_clISt17integral_constantIbLb0EES1T_IbLb1EEEEDaS1P_S1Q_EUlS1P_E_NS1_11comp_targetILNS1_3genE8ELNS1_11target_archE1030ELNS1_3gpuE2ELNS1_3repE0EEENS1_30default_config_static_selectorELNS0_4arch9wavefront6targetE0EEEvS12_, .Lfunc_end257-_ZN7rocprim17ROCPRIM_400000_NS6detail17trampoline_kernelINS0_13select_configILj256ELj13ELNS0_17block_load_methodE3ELS4_3ELS4_3ELNS0_20block_scan_algorithmE0ELj4294967295EEENS1_25partition_config_selectorILNS1_17partition_subalgoE4EjNS0_10empty_typeEbEEZZNS1_14partition_implILS8_4ELb0ES6_15HIP_vector_typeIjLj2EENS0_17counting_iteratorIjlEEPS9_SG_NS0_5tupleIJPjSI_NS0_16reverse_iteratorISI_EEEEENSH_IJSG_SG_SG_EEES9_SI_JZNS1_25segmented_radix_sort_implINS0_14default_configELb1EPKaPaPKlPlN2at6native12_GLOBAL__N_18offset_tEEE10hipError_tPvRmT1_PNSt15iterator_traitsIS12_E10value_typeET2_T3_PNS13_IS18_E10value_typeET4_jRbjT5_S1E_jjP12ihipStream_tbEUljE_ZNSN_ISO_Lb1ESQ_SR_ST_SU_SY_EESZ_S10_S11_S12_S16_S17_S18_S1B_S1C_jS1D_jS1E_S1E_jjS1G_bEUljE0_EEESZ_S10_S11_S18_S1C_S1E_T6_T7_T9_mT8_S1G_bDpT10_ENKUlT_T0_E_clISt17integral_constantIbLb0EES1T_IbLb1EEEEDaS1P_S1Q_EUlS1P_E_NS1_11comp_targetILNS1_3genE8ELNS1_11target_archE1030ELNS1_3gpuE2ELNS1_3repE0EEENS1_30default_config_static_selectorELNS0_4arch9wavefront6targetE0EEEvS12_
                                        ; -- End function
	.section	.AMDGPU.csdata,"",@progbits
; Kernel info:
; codeLenInByte = 0
; NumSgprs: 0
; NumVgprs: 0
; ScratchSize: 0
; MemoryBound: 0
; FloatMode: 240
; IeeeMode: 1
; LDSByteSize: 0 bytes/workgroup (compile time only)
; SGPRBlocks: 0
; VGPRBlocks: 0
; NumSGPRsForWavesPerEU: 1
; NumVGPRsForWavesPerEU: 1
; Occupancy: 16
; WaveLimiterHint : 0
; COMPUTE_PGM_RSRC2:SCRATCH_EN: 0
; COMPUTE_PGM_RSRC2:USER_SGPR: 15
; COMPUTE_PGM_RSRC2:TRAP_HANDLER: 0
; COMPUTE_PGM_RSRC2:TGID_X_EN: 1
; COMPUTE_PGM_RSRC2:TGID_Y_EN: 0
; COMPUTE_PGM_RSRC2:TGID_Z_EN: 0
; COMPUTE_PGM_RSRC2:TIDIG_COMP_CNT: 0
	.section	.text._ZN7rocprim17ROCPRIM_400000_NS6detail17trampoline_kernelINS0_13select_configILj256ELj13ELNS0_17block_load_methodE3ELS4_3ELS4_3ELNS0_20block_scan_algorithmE0ELj4294967295EEENS1_25partition_config_selectorILNS1_17partition_subalgoE3EjNS0_10empty_typeEbEEZZNS1_14partition_implILS8_3ELb0ES6_jNS0_17counting_iteratorIjlEEPS9_SE_NS0_5tupleIJPjSE_EEENSF_IJSE_SE_EEES9_SG_JZNS1_25segmented_radix_sort_implINS0_14default_configELb1EPKaPaPKlPlN2at6native12_GLOBAL__N_18offset_tEEE10hipError_tPvRmT1_PNSt15iterator_traitsISY_E10value_typeET2_T3_PNSZ_IS14_E10value_typeET4_jRbjT5_S1A_jjP12ihipStream_tbEUljE_EEESV_SW_SX_S14_S18_S1A_T6_T7_T9_mT8_S1C_bDpT10_ENKUlT_T0_E_clISt17integral_constantIbLb0EES1P_EEDaS1K_S1L_EUlS1K_E_NS1_11comp_targetILNS1_3genE0ELNS1_11target_archE4294967295ELNS1_3gpuE0ELNS1_3repE0EEENS1_30default_config_static_selectorELNS0_4arch9wavefront6targetE0EEEvSY_,"axG",@progbits,_ZN7rocprim17ROCPRIM_400000_NS6detail17trampoline_kernelINS0_13select_configILj256ELj13ELNS0_17block_load_methodE3ELS4_3ELS4_3ELNS0_20block_scan_algorithmE0ELj4294967295EEENS1_25partition_config_selectorILNS1_17partition_subalgoE3EjNS0_10empty_typeEbEEZZNS1_14partition_implILS8_3ELb0ES6_jNS0_17counting_iteratorIjlEEPS9_SE_NS0_5tupleIJPjSE_EEENSF_IJSE_SE_EEES9_SG_JZNS1_25segmented_radix_sort_implINS0_14default_configELb1EPKaPaPKlPlN2at6native12_GLOBAL__N_18offset_tEEE10hipError_tPvRmT1_PNSt15iterator_traitsISY_E10value_typeET2_T3_PNSZ_IS14_E10value_typeET4_jRbjT5_S1A_jjP12ihipStream_tbEUljE_EEESV_SW_SX_S14_S18_S1A_T6_T7_T9_mT8_S1C_bDpT10_ENKUlT_T0_E_clISt17integral_constantIbLb0EES1P_EEDaS1K_S1L_EUlS1K_E_NS1_11comp_targetILNS1_3genE0ELNS1_11target_archE4294967295ELNS1_3gpuE0ELNS1_3repE0EEENS1_30default_config_static_selectorELNS0_4arch9wavefront6targetE0EEEvSY_,comdat
	.globl	_ZN7rocprim17ROCPRIM_400000_NS6detail17trampoline_kernelINS0_13select_configILj256ELj13ELNS0_17block_load_methodE3ELS4_3ELS4_3ELNS0_20block_scan_algorithmE0ELj4294967295EEENS1_25partition_config_selectorILNS1_17partition_subalgoE3EjNS0_10empty_typeEbEEZZNS1_14partition_implILS8_3ELb0ES6_jNS0_17counting_iteratorIjlEEPS9_SE_NS0_5tupleIJPjSE_EEENSF_IJSE_SE_EEES9_SG_JZNS1_25segmented_radix_sort_implINS0_14default_configELb1EPKaPaPKlPlN2at6native12_GLOBAL__N_18offset_tEEE10hipError_tPvRmT1_PNSt15iterator_traitsISY_E10value_typeET2_T3_PNSZ_IS14_E10value_typeET4_jRbjT5_S1A_jjP12ihipStream_tbEUljE_EEESV_SW_SX_S14_S18_S1A_T6_T7_T9_mT8_S1C_bDpT10_ENKUlT_T0_E_clISt17integral_constantIbLb0EES1P_EEDaS1K_S1L_EUlS1K_E_NS1_11comp_targetILNS1_3genE0ELNS1_11target_archE4294967295ELNS1_3gpuE0ELNS1_3repE0EEENS1_30default_config_static_selectorELNS0_4arch9wavefront6targetE0EEEvSY_ ; -- Begin function _ZN7rocprim17ROCPRIM_400000_NS6detail17trampoline_kernelINS0_13select_configILj256ELj13ELNS0_17block_load_methodE3ELS4_3ELS4_3ELNS0_20block_scan_algorithmE0ELj4294967295EEENS1_25partition_config_selectorILNS1_17partition_subalgoE3EjNS0_10empty_typeEbEEZZNS1_14partition_implILS8_3ELb0ES6_jNS0_17counting_iteratorIjlEEPS9_SE_NS0_5tupleIJPjSE_EEENSF_IJSE_SE_EEES9_SG_JZNS1_25segmented_radix_sort_implINS0_14default_configELb1EPKaPaPKlPlN2at6native12_GLOBAL__N_18offset_tEEE10hipError_tPvRmT1_PNSt15iterator_traitsISY_E10value_typeET2_T3_PNSZ_IS14_E10value_typeET4_jRbjT5_S1A_jjP12ihipStream_tbEUljE_EEESV_SW_SX_S14_S18_S1A_T6_T7_T9_mT8_S1C_bDpT10_ENKUlT_T0_E_clISt17integral_constantIbLb0EES1P_EEDaS1K_S1L_EUlS1K_E_NS1_11comp_targetILNS1_3genE0ELNS1_11target_archE4294967295ELNS1_3gpuE0ELNS1_3repE0EEENS1_30default_config_static_selectorELNS0_4arch9wavefront6targetE0EEEvSY_
	.p2align	8
	.type	_ZN7rocprim17ROCPRIM_400000_NS6detail17trampoline_kernelINS0_13select_configILj256ELj13ELNS0_17block_load_methodE3ELS4_3ELS4_3ELNS0_20block_scan_algorithmE0ELj4294967295EEENS1_25partition_config_selectorILNS1_17partition_subalgoE3EjNS0_10empty_typeEbEEZZNS1_14partition_implILS8_3ELb0ES6_jNS0_17counting_iteratorIjlEEPS9_SE_NS0_5tupleIJPjSE_EEENSF_IJSE_SE_EEES9_SG_JZNS1_25segmented_radix_sort_implINS0_14default_configELb1EPKaPaPKlPlN2at6native12_GLOBAL__N_18offset_tEEE10hipError_tPvRmT1_PNSt15iterator_traitsISY_E10value_typeET2_T3_PNSZ_IS14_E10value_typeET4_jRbjT5_S1A_jjP12ihipStream_tbEUljE_EEESV_SW_SX_S14_S18_S1A_T6_T7_T9_mT8_S1C_bDpT10_ENKUlT_T0_E_clISt17integral_constantIbLb0EES1P_EEDaS1K_S1L_EUlS1K_E_NS1_11comp_targetILNS1_3genE0ELNS1_11target_archE4294967295ELNS1_3gpuE0ELNS1_3repE0EEENS1_30default_config_static_selectorELNS0_4arch9wavefront6targetE0EEEvSY_,@function
_ZN7rocprim17ROCPRIM_400000_NS6detail17trampoline_kernelINS0_13select_configILj256ELj13ELNS0_17block_load_methodE3ELS4_3ELS4_3ELNS0_20block_scan_algorithmE0ELj4294967295EEENS1_25partition_config_selectorILNS1_17partition_subalgoE3EjNS0_10empty_typeEbEEZZNS1_14partition_implILS8_3ELb0ES6_jNS0_17counting_iteratorIjlEEPS9_SE_NS0_5tupleIJPjSE_EEENSF_IJSE_SE_EEES9_SG_JZNS1_25segmented_radix_sort_implINS0_14default_configELb1EPKaPaPKlPlN2at6native12_GLOBAL__N_18offset_tEEE10hipError_tPvRmT1_PNSt15iterator_traitsISY_E10value_typeET2_T3_PNSZ_IS14_E10value_typeET4_jRbjT5_S1A_jjP12ihipStream_tbEUljE_EEESV_SW_SX_S14_S18_S1A_T6_T7_T9_mT8_S1C_bDpT10_ENKUlT_T0_E_clISt17integral_constantIbLb0EES1P_EEDaS1K_S1L_EUlS1K_E_NS1_11comp_targetILNS1_3genE0ELNS1_11target_archE4294967295ELNS1_3gpuE0ELNS1_3repE0EEENS1_30default_config_static_selectorELNS0_4arch9wavefront6targetE0EEEvSY_: ; @_ZN7rocprim17ROCPRIM_400000_NS6detail17trampoline_kernelINS0_13select_configILj256ELj13ELNS0_17block_load_methodE3ELS4_3ELS4_3ELNS0_20block_scan_algorithmE0ELj4294967295EEENS1_25partition_config_selectorILNS1_17partition_subalgoE3EjNS0_10empty_typeEbEEZZNS1_14partition_implILS8_3ELb0ES6_jNS0_17counting_iteratorIjlEEPS9_SE_NS0_5tupleIJPjSE_EEENSF_IJSE_SE_EEES9_SG_JZNS1_25segmented_radix_sort_implINS0_14default_configELb1EPKaPaPKlPlN2at6native12_GLOBAL__N_18offset_tEEE10hipError_tPvRmT1_PNSt15iterator_traitsISY_E10value_typeET2_T3_PNSZ_IS14_E10value_typeET4_jRbjT5_S1A_jjP12ihipStream_tbEUljE_EEESV_SW_SX_S14_S18_S1A_T6_T7_T9_mT8_S1C_bDpT10_ENKUlT_T0_E_clISt17integral_constantIbLb0EES1P_EEDaS1K_S1L_EUlS1K_E_NS1_11comp_targetILNS1_3genE0ELNS1_11target_archE4294967295ELNS1_3gpuE0ELNS1_3repE0EEENS1_30default_config_static_selectorELNS0_4arch9wavefront6targetE0EEEvSY_
; %bb.0:
	.section	.rodata,"a",@progbits
	.p2align	6, 0x0
	.amdhsa_kernel _ZN7rocprim17ROCPRIM_400000_NS6detail17trampoline_kernelINS0_13select_configILj256ELj13ELNS0_17block_load_methodE3ELS4_3ELS4_3ELNS0_20block_scan_algorithmE0ELj4294967295EEENS1_25partition_config_selectorILNS1_17partition_subalgoE3EjNS0_10empty_typeEbEEZZNS1_14partition_implILS8_3ELb0ES6_jNS0_17counting_iteratorIjlEEPS9_SE_NS0_5tupleIJPjSE_EEENSF_IJSE_SE_EEES9_SG_JZNS1_25segmented_radix_sort_implINS0_14default_configELb1EPKaPaPKlPlN2at6native12_GLOBAL__N_18offset_tEEE10hipError_tPvRmT1_PNSt15iterator_traitsISY_E10value_typeET2_T3_PNSZ_IS14_E10value_typeET4_jRbjT5_S1A_jjP12ihipStream_tbEUljE_EEESV_SW_SX_S14_S18_S1A_T6_T7_T9_mT8_S1C_bDpT10_ENKUlT_T0_E_clISt17integral_constantIbLb0EES1P_EEDaS1K_S1L_EUlS1K_E_NS1_11comp_targetILNS1_3genE0ELNS1_11target_archE4294967295ELNS1_3gpuE0ELNS1_3repE0EEENS1_30default_config_static_selectorELNS0_4arch9wavefront6targetE0EEEvSY_
		.amdhsa_group_segment_fixed_size 0
		.amdhsa_private_segment_fixed_size 0
		.amdhsa_kernarg_size 144
		.amdhsa_user_sgpr_count 15
		.amdhsa_user_sgpr_dispatch_ptr 0
		.amdhsa_user_sgpr_queue_ptr 0
		.amdhsa_user_sgpr_kernarg_segment_ptr 1
		.amdhsa_user_sgpr_dispatch_id 0
		.amdhsa_user_sgpr_private_segment_size 0
		.amdhsa_wavefront_size32 1
		.amdhsa_uses_dynamic_stack 0
		.amdhsa_enable_private_segment 0
		.amdhsa_system_sgpr_workgroup_id_x 1
		.amdhsa_system_sgpr_workgroup_id_y 0
		.amdhsa_system_sgpr_workgroup_id_z 0
		.amdhsa_system_sgpr_workgroup_info 0
		.amdhsa_system_vgpr_workitem_id 0
		.amdhsa_next_free_vgpr 1
		.amdhsa_next_free_sgpr 1
		.amdhsa_reserve_vcc 0
		.amdhsa_float_round_mode_32 0
		.amdhsa_float_round_mode_16_64 0
		.amdhsa_float_denorm_mode_32 3
		.amdhsa_float_denorm_mode_16_64 3
		.amdhsa_dx10_clamp 1
		.amdhsa_ieee_mode 1
		.amdhsa_fp16_overflow 0
		.amdhsa_workgroup_processor_mode 1
		.amdhsa_memory_ordered 1
		.amdhsa_forward_progress 0
		.amdhsa_shared_vgpr_count 0
		.amdhsa_exception_fp_ieee_invalid_op 0
		.amdhsa_exception_fp_denorm_src 0
		.amdhsa_exception_fp_ieee_div_zero 0
		.amdhsa_exception_fp_ieee_overflow 0
		.amdhsa_exception_fp_ieee_underflow 0
		.amdhsa_exception_fp_ieee_inexact 0
		.amdhsa_exception_int_div_zero 0
	.end_amdhsa_kernel
	.section	.text._ZN7rocprim17ROCPRIM_400000_NS6detail17trampoline_kernelINS0_13select_configILj256ELj13ELNS0_17block_load_methodE3ELS4_3ELS4_3ELNS0_20block_scan_algorithmE0ELj4294967295EEENS1_25partition_config_selectorILNS1_17partition_subalgoE3EjNS0_10empty_typeEbEEZZNS1_14partition_implILS8_3ELb0ES6_jNS0_17counting_iteratorIjlEEPS9_SE_NS0_5tupleIJPjSE_EEENSF_IJSE_SE_EEES9_SG_JZNS1_25segmented_radix_sort_implINS0_14default_configELb1EPKaPaPKlPlN2at6native12_GLOBAL__N_18offset_tEEE10hipError_tPvRmT1_PNSt15iterator_traitsISY_E10value_typeET2_T3_PNSZ_IS14_E10value_typeET4_jRbjT5_S1A_jjP12ihipStream_tbEUljE_EEESV_SW_SX_S14_S18_S1A_T6_T7_T9_mT8_S1C_bDpT10_ENKUlT_T0_E_clISt17integral_constantIbLb0EES1P_EEDaS1K_S1L_EUlS1K_E_NS1_11comp_targetILNS1_3genE0ELNS1_11target_archE4294967295ELNS1_3gpuE0ELNS1_3repE0EEENS1_30default_config_static_selectorELNS0_4arch9wavefront6targetE0EEEvSY_,"axG",@progbits,_ZN7rocprim17ROCPRIM_400000_NS6detail17trampoline_kernelINS0_13select_configILj256ELj13ELNS0_17block_load_methodE3ELS4_3ELS4_3ELNS0_20block_scan_algorithmE0ELj4294967295EEENS1_25partition_config_selectorILNS1_17partition_subalgoE3EjNS0_10empty_typeEbEEZZNS1_14partition_implILS8_3ELb0ES6_jNS0_17counting_iteratorIjlEEPS9_SE_NS0_5tupleIJPjSE_EEENSF_IJSE_SE_EEES9_SG_JZNS1_25segmented_radix_sort_implINS0_14default_configELb1EPKaPaPKlPlN2at6native12_GLOBAL__N_18offset_tEEE10hipError_tPvRmT1_PNSt15iterator_traitsISY_E10value_typeET2_T3_PNSZ_IS14_E10value_typeET4_jRbjT5_S1A_jjP12ihipStream_tbEUljE_EEESV_SW_SX_S14_S18_S1A_T6_T7_T9_mT8_S1C_bDpT10_ENKUlT_T0_E_clISt17integral_constantIbLb0EES1P_EEDaS1K_S1L_EUlS1K_E_NS1_11comp_targetILNS1_3genE0ELNS1_11target_archE4294967295ELNS1_3gpuE0ELNS1_3repE0EEENS1_30default_config_static_selectorELNS0_4arch9wavefront6targetE0EEEvSY_,comdat
.Lfunc_end258:
	.size	_ZN7rocprim17ROCPRIM_400000_NS6detail17trampoline_kernelINS0_13select_configILj256ELj13ELNS0_17block_load_methodE3ELS4_3ELS4_3ELNS0_20block_scan_algorithmE0ELj4294967295EEENS1_25partition_config_selectorILNS1_17partition_subalgoE3EjNS0_10empty_typeEbEEZZNS1_14partition_implILS8_3ELb0ES6_jNS0_17counting_iteratorIjlEEPS9_SE_NS0_5tupleIJPjSE_EEENSF_IJSE_SE_EEES9_SG_JZNS1_25segmented_radix_sort_implINS0_14default_configELb1EPKaPaPKlPlN2at6native12_GLOBAL__N_18offset_tEEE10hipError_tPvRmT1_PNSt15iterator_traitsISY_E10value_typeET2_T3_PNSZ_IS14_E10value_typeET4_jRbjT5_S1A_jjP12ihipStream_tbEUljE_EEESV_SW_SX_S14_S18_S1A_T6_T7_T9_mT8_S1C_bDpT10_ENKUlT_T0_E_clISt17integral_constantIbLb0EES1P_EEDaS1K_S1L_EUlS1K_E_NS1_11comp_targetILNS1_3genE0ELNS1_11target_archE4294967295ELNS1_3gpuE0ELNS1_3repE0EEENS1_30default_config_static_selectorELNS0_4arch9wavefront6targetE0EEEvSY_, .Lfunc_end258-_ZN7rocprim17ROCPRIM_400000_NS6detail17trampoline_kernelINS0_13select_configILj256ELj13ELNS0_17block_load_methodE3ELS4_3ELS4_3ELNS0_20block_scan_algorithmE0ELj4294967295EEENS1_25partition_config_selectorILNS1_17partition_subalgoE3EjNS0_10empty_typeEbEEZZNS1_14partition_implILS8_3ELb0ES6_jNS0_17counting_iteratorIjlEEPS9_SE_NS0_5tupleIJPjSE_EEENSF_IJSE_SE_EEES9_SG_JZNS1_25segmented_radix_sort_implINS0_14default_configELb1EPKaPaPKlPlN2at6native12_GLOBAL__N_18offset_tEEE10hipError_tPvRmT1_PNSt15iterator_traitsISY_E10value_typeET2_T3_PNSZ_IS14_E10value_typeET4_jRbjT5_S1A_jjP12ihipStream_tbEUljE_EEESV_SW_SX_S14_S18_S1A_T6_T7_T9_mT8_S1C_bDpT10_ENKUlT_T0_E_clISt17integral_constantIbLb0EES1P_EEDaS1K_S1L_EUlS1K_E_NS1_11comp_targetILNS1_3genE0ELNS1_11target_archE4294967295ELNS1_3gpuE0ELNS1_3repE0EEENS1_30default_config_static_selectorELNS0_4arch9wavefront6targetE0EEEvSY_
                                        ; -- End function
	.section	.AMDGPU.csdata,"",@progbits
; Kernel info:
; codeLenInByte = 0
; NumSgprs: 0
; NumVgprs: 0
; ScratchSize: 0
; MemoryBound: 0
; FloatMode: 240
; IeeeMode: 1
; LDSByteSize: 0 bytes/workgroup (compile time only)
; SGPRBlocks: 0
; VGPRBlocks: 0
; NumSGPRsForWavesPerEU: 1
; NumVGPRsForWavesPerEU: 1
; Occupancy: 16
; WaveLimiterHint : 0
; COMPUTE_PGM_RSRC2:SCRATCH_EN: 0
; COMPUTE_PGM_RSRC2:USER_SGPR: 15
; COMPUTE_PGM_RSRC2:TRAP_HANDLER: 0
; COMPUTE_PGM_RSRC2:TGID_X_EN: 1
; COMPUTE_PGM_RSRC2:TGID_Y_EN: 0
; COMPUTE_PGM_RSRC2:TGID_Z_EN: 0
; COMPUTE_PGM_RSRC2:TIDIG_COMP_CNT: 0
	.section	.text._ZN7rocprim17ROCPRIM_400000_NS6detail17trampoline_kernelINS0_13select_configILj256ELj13ELNS0_17block_load_methodE3ELS4_3ELS4_3ELNS0_20block_scan_algorithmE0ELj4294967295EEENS1_25partition_config_selectorILNS1_17partition_subalgoE3EjNS0_10empty_typeEbEEZZNS1_14partition_implILS8_3ELb0ES6_jNS0_17counting_iteratorIjlEEPS9_SE_NS0_5tupleIJPjSE_EEENSF_IJSE_SE_EEES9_SG_JZNS1_25segmented_radix_sort_implINS0_14default_configELb1EPKaPaPKlPlN2at6native12_GLOBAL__N_18offset_tEEE10hipError_tPvRmT1_PNSt15iterator_traitsISY_E10value_typeET2_T3_PNSZ_IS14_E10value_typeET4_jRbjT5_S1A_jjP12ihipStream_tbEUljE_EEESV_SW_SX_S14_S18_S1A_T6_T7_T9_mT8_S1C_bDpT10_ENKUlT_T0_E_clISt17integral_constantIbLb0EES1P_EEDaS1K_S1L_EUlS1K_E_NS1_11comp_targetILNS1_3genE5ELNS1_11target_archE942ELNS1_3gpuE9ELNS1_3repE0EEENS1_30default_config_static_selectorELNS0_4arch9wavefront6targetE0EEEvSY_,"axG",@progbits,_ZN7rocprim17ROCPRIM_400000_NS6detail17trampoline_kernelINS0_13select_configILj256ELj13ELNS0_17block_load_methodE3ELS4_3ELS4_3ELNS0_20block_scan_algorithmE0ELj4294967295EEENS1_25partition_config_selectorILNS1_17partition_subalgoE3EjNS0_10empty_typeEbEEZZNS1_14partition_implILS8_3ELb0ES6_jNS0_17counting_iteratorIjlEEPS9_SE_NS0_5tupleIJPjSE_EEENSF_IJSE_SE_EEES9_SG_JZNS1_25segmented_radix_sort_implINS0_14default_configELb1EPKaPaPKlPlN2at6native12_GLOBAL__N_18offset_tEEE10hipError_tPvRmT1_PNSt15iterator_traitsISY_E10value_typeET2_T3_PNSZ_IS14_E10value_typeET4_jRbjT5_S1A_jjP12ihipStream_tbEUljE_EEESV_SW_SX_S14_S18_S1A_T6_T7_T9_mT8_S1C_bDpT10_ENKUlT_T0_E_clISt17integral_constantIbLb0EES1P_EEDaS1K_S1L_EUlS1K_E_NS1_11comp_targetILNS1_3genE5ELNS1_11target_archE942ELNS1_3gpuE9ELNS1_3repE0EEENS1_30default_config_static_selectorELNS0_4arch9wavefront6targetE0EEEvSY_,comdat
	.globl	_ZN7rocprim17ROCPRIM_400000_NS6detail17trampoline_kernelINS0_13select_configILj256ELj13ELNS0_17block_load_methodE3ELS4_3ELS4_3ELNS0_20block_scan_algorithmE0ELj4294967295EEENS1_25partition_config_selectorILNS1_17partition_subalgoE3EjNS0_10empty_typeEbEEZZNS1_14partition_implILS8_3ELb0ES6_jNS0_17counting_iteratorIjlEEPS9_SE_NS0_5tupleIJPjSE_EEENSF_IJSE_SE_EEES9_SG_JZNS1_25segmented_radix_sort_implINS0_14default_configELb1EPKaPaPKlPlN2at6native12_GLOBAL__N_18offset_tEEE10hipError_tPvRmT1_PNSt15iterator_traitsISY_E10value_typeET2_T3_PNSZ_IS14_E10value_typeET4_jRbjT5_S1A_jjP12ihipStream_tbEUljE_EEESV_SW_SX_S14_S18_S1A_T6_T7_T9_mT8_S1C_bDpT10_ENKUlT_T0_E_clISt17integral_constantIbLb0EES1P_EEDaS1K_S1L_EUlS1K_E_NS1_11comp_targetILNS1_3genE5ELNS1_11target_archE942ELNS1_3gpuE9ELNS1_3repE0EEENS1_30default_config_static_selectorELNS0_4arch9wavefront6targetE0EEEvSY_ ; -- Begin function _ZN7rocprim17ROCPRIM_400000_NS6detail17trampoline_kernelINS0_13select_configILj256ELj13ELNS0_17block_load_methodE3ELS4_3ELS4_3ELNS0_20block_scan_algorithmE0ELj4294967295EEENS1_25partition_config_selectorILNS1_17partition_subalgoE3EjNS0_10empty_typeEbEEZZNS1_14partition_implILS8_3ELb0ES6_jNS0_17counting_iteratorIjlEEPS9_SE_NS0_5tupleIJPjSE_EEENSF_IJSE_SE_EEES9_SG_JZNS1_25segmented_radix_sort_implINS0_14default_configELb1EPKaPaPKlPlN2at6native12_GLOBAL__N_18offset_tEEE10hipError_tPvRmT1_PNSt15iterator_traitsISY_E10value_typeET2_T3_PNSZ_IS14_E10value_typeET4_jRbjT5_S1A_jjP12ihipStream_tbEUljE_EEESV_SW_SX_S14_S18_S1A_T6_T7_T9_mT8_S1C_bDpT10_ENKUlT_T0_E_clISt17integral_constantIbLb0EES1P_EEDaS1K_S1L_EUlS1K_E_NS1_11comp_targetILNS1_3genE5ELNS1_11target_archE942ELNS1_3gpuE9ELNS1_3repE0EEENS1_30default_config_static_selectorELNS0_4arch9wavefront6targetE0EEEvSY_
	.p2align	8
	.type	_ZN7rocprim17ROCPRIM_400000_NS6detail17trampoline_kernelINS0_13select_configILj256ELj13ELNS0_17block_load_methodE3ELS4_3ELS4_3ELNS0_20block_scan_algorithmE0ELj4294967295EEENS1_25partition_config_selectorILNS1_17partition_subalgoE3EjNS0_10empty_typeEbEEZZNS1_14partition_implILS8_3ELb0ES6_jNS0_17counting_iteratorIjlEEPS9_SE_NS0_5tupleIJPjSE_EEENSF_IJSE_SE_EEES9_SG_JZNS1_25segmented_radix_sort_implINS0_14default_configELb1EPKaPaPKlPlN2at6native12_GLOBAL__N_18offset_tEEE10hipError_tPvRmT1_PNSt15iterator_traitsISY_E10value_typeET2_T3_PNSZ_IS14_E10value_typeET4_jRbjT5_S1A_jjP12ihipStream_tbEUljE_EEESV_SW_SX_S14_S18_S1A_T6_T7_T9_mT8_S1C_bDpT10_ENKUlT_T0_E_clISt17integral_constantIbLb0EES1P_EEDaS1K_S1L_EUlS1K_E_NS1_11comp_targetILNS1_3genE5ELNS1_11target_archE942ELNS1_3gpuE9ELNS1_3repE0EEENS1_30default_config_static_selectorELNS0_4arch9wavefront6targetE0EEEvSY_,@function
_ZN7rocprim17ROCPRIM_400000_NS6detail17trampoline_kernelINS0_13select_configILj256ELj13ELNS0_17block_load_methodE3ELS4_3ELS4_3ELNS0_20block_scan_algorithmE0ELj4294967295EEENS1_25partition_config_selectorILNS1_17partition_subalgoE3EjNS0_10empty_typeEbEEZZNS1_14partition_implILS8_3ELb0ES6_jNS0_17counting_iteratorIjlEEPS9_SE_NS0_5tupleIJPjSE_EEENSF_IJSE_SE_EEES9_SG_JZNS1_25segmented_radix_sort_implINS0_14default_configELb1EPKaPaPKlPlN2at6native12_GLOBAL__N_18offset_tEEE10hipError_tPvRmT1_PNSt15iterator_traitsISY_E10value_typeET2_T3_PNSZ_IS14_E10value_typeET4_jRbjT5_S1A_jjP12ihipStream_tbEUljE_EEESV_SW_SX_S14_S18_S1A_T6_T7_T9_mT8_S1C_bDpT10_ENKUlT_T0_E_clISt17integral_constantIbLb0EES1P_EEDaS1K_S1L_EUlS1K_E_NS1_11comp_targetILNS1_3genE5ELNS1_11target_archE942ELNS1_3gpuE9ELNS1_3repE0EEENS1_30default_config_static_selectorELNS0_4arch9wavefront6targetE0EEEvSY_: ; @_ZN7rocprim17ROCPRIM_400000_NS6detail17trampoline_kernelINS0_13select_configILj256ELj13ELNS0_17block_load_methodE3ELS4_3ELS4_3ELNS0_20block_scan_algorithmE0ELj4294967295EEENS1_25partition_config_selectorILNS1_17partition_subalgoE3EjNS0_10empty_typeEbEEZZNS1_14partition_implILS8_3ELb0ES6_jNS0_17counting_iteratorIjlEEPS9_SE_NS0_5tupleIJPjSE_EEENSF_IJSE_SE_EEES9_SG_JZNS1_25segmented_radix_sort_implINS0_14default_configELb1EPKaPaPKlPlN2at6native12_GLOBAL__N_18offset_tEEE10hipError_tPvRmT1_PNSt15iterator_traitsISY_E10value_typeET2_T3_PNSZ_IS14_E10value_typeET4_jRbjT5_S1A_jjP12ihipStream_tbEUljE_EEESV_SW_SX_S14_S18_S1A_T6_T7_T9_mT8_S1C_bDpT10_ENKUlT_T0_E_clISt17integral_constantIbLb0EES1P_EEDaS1K_S1L_EUlS1K_E_NS1_11comp_targetILNS1_3genE5ELNS1_11target_archE942ELNS1_3gpuE9ELNS1_3repE0EEENS1_30default_config_static_selectorELNS0_4arch9wavefront6targetE0EEEvSY_
; %bb.0:
	.section	.rodata,"a",@progbits
	.p2align	6, 0x0
	.amdhsa_kernel _ZN7rocprim17ROCPRIM_400000_NS6detail17trampoline_kernelINS0_13select_configILj256ELj13ELNS0_17block_load_methodE3ELS4_3ELS4_3ELNS0_20block_scan_algorithmE0ELj4294967295EEENS1_25partition_config_selectorILNS1_17partition_subalgoE3EjNS0_10empty_typeEbEEZZNS1_14partition_implILS8_3ELb0ES6_jNS0_17counting_iteratorIjlEEPS9_SE_NS0_5tupleIJPjSE_EEENSF_IJSE_SE_EEES9_SG_JZNS1_25segmented_radix_sort_implINS0_14default_configELb1EPKaPaPKlPlN2at6native12_GLOBAL__N_18offset_tEEE10hipError_tPvRmT1_PNSt15iterator_traitsISY_E10value_typeET2_T3_PNSZ_IS14_E10value_typeET4_jRbjT5_S1A_jjP12ihipStream_tbEUljE_EEESV_SW_SX_S14_S18_S1A_T6_T7_T9_mT8_S1C_bDpT10_ENKUlT_T0_E_clISt17integral_constantIbLb0EES1P_EEDaS1K_S1L_EUlS1K_E_NS1_11comp_targetILNS1_3genE5ELNS1_11target_archE942ELNS1_3gpuE9ELNS1_3repE0EEENS1_30default_config_static_selectorELNS0_4arch9wavefront6targetE0EEEvSY_
		.amdhsa_group_segment_fixed_size 0
		.amdhsa_private_segment_fixed_size 0
		.amdhsa_kernarg_size 144
		.amdhsa_user_sgpr_count 15
		.amdhsa_user_sgpr_dispatch_ptr 0
		.amdhsa_user_sgpr_queue_ptr 0
		.amdhsa_user_sgpr_kernarg_segment_ptr 1
		.amdhsa_user_sgpr_dispatch_id 0
		.amdhsa_user_sgpr_private_segment_size 0
		.amdhsa_wavefront_size32 1
		.amdhsa_uses_dynamic_stack 0
		.amdhsa_enable_private_segment 0
		.amdhsa_system_sgpr_workgroup_id_x 1
		.amdhsa_system_sgpr_workgroup_id_y 0
		.amdhsa_system_sgpr_workgroup_id_z 0
		.amdhsa_system_sgpr_workgroup_info 0
		.amdhsa_system_vgpr_workitem_id 0
		.amdhsa_next_free_vgpr 1
		.amdhsa_next_free_sgpr 1
		.amdhsa_reserve_vcc 0
		.amdhsa_float_round_mode_32 0
		.amdhsa_float_round_mode_16_64 0
		.amdhsa_float_denorm_mode_32 3
		.amdhsa_float_denorm_mode_16_64 3
		.amdhsa_dx10_clamp 1
		.amdhsa_ieee_mode 1
		.amdhsa_fp16_overflow 0
		.amdhsa_workgroup_processor_mode 1
		.amdhsa_memory_ordered 1
		.amdhsa_forward_progress 0
		.amdhsa_shared_vgpr_count 0
		.amdhsa_exception_fp_ieee_invalid_op 0
		.amdhsa_exception_fp_denorm_src 0
		.amdhsa_exception_fp_ieee_div_zero 0
		.amdhsa_exception_fp_ieee_overflow 0
		.amdhsa_exception_fp_ieee_underflow 0
		.amdhsa_exception_fp_ieee_inexact 0
		.amdhsa_exception_int_div_zero 0
	.end_amdhsa_kernel
	.section	.text._ZN7rocprim17ROCPRIM_400000_NS6detail17trampoline_kernelINS0_13select_configILj256ELj13ELNS0_17block_load_methodE3ELS4_3ELS4_3ELNS0_20block_scan_algorithmE0ELj4294967295EEENS1_25partition_config_selectorILNS1_17partition_subalgoE3EjNS0_10empty_typeEbEEZZNS1_14partition_implILS8_3ELb0ES6_jNS0_17counting_iteratorIjlEEPS9_SE_NS0_5tupleIJPjSE_EEENSF_IJSE_SE_EEES9_SG_JZNS1_25segmented_radix_sort_implINS0_14default_configELb1EPKaPaPKlPlN2at6native12_GLOBAL__N_18offset_tEEE10hipError_tPvRmT1_PNSt15iterator_traitsISY_E10value_typeET2_T3_PNSZ_IS14_E10value_typeET4_jRbjT5_S1A_jjP12ihipStream_tbEUljE_EEESV_SW_SX_S14_S18_S1A_T6_T7_T9_mT8_S1C_bDpT10_ENKUlT_T0_E_clISt17integral_constantIbLb0EES1P_EEDaS1K_S1L_EUlS1K_E_NS1_11comp_targetILNS1_3genE5ELNS1_11target_archE942ELNS1_3gpuE9ELNS1_3repE0EEENS1_30default_config_static_selectorELNS0_4arch9wavefront6targetE0EEEvSY_,"axG",@progbits,_ZN7rocprim17ROCPRIM_400000_NS6detail17trampoline_kernelINS0_13select_configILj256ELj13ELNS0_17block_load_methodE3ELS4_3ELS4_3ELNS0_20block_scan_algorithmE0ELj4294967295EEENS1_25partition_config_selectorILNS1_17partition_subalgoE3EjNS0_10empty_typeEbEEZZNS1_14partition_implILS8_3ELb0ES6_jNS0_17counting_iteratorIjlEEPS9_SE_NS0_5tupleIJPjSE_EEENSF_IJSE_SE_EEES9_SG_JZNS1_25segmented_radix_sort_implINS0_14default_configELb1EPKaPaPKlPlN2at6native12_GLOBAL__N_18offset_tEEE10hipError_tPvRmT1_PNSt15iterator_traitsISY_E10value_typeET2_T3_PNSZ_IS14_E10value_typeET4_jRbjT5_S1A_jjP12ihipStream_tbEUljE_EEESV_SW_SX_S14_S18_S1A_T6_T7_T9_mT8_S1C_bDpT10_ENKUlT_T0_E_clISt17integral_constantIbLb0EES1P_EEDaS1K_S1L_EUlS1K_E_NS1_11comp_targetILNS1_3genE5ELNS1_11target_archE942ELNS1_3gpuE9ELNS1_3repE0EEENS1_30default_config_static_selectorELNS0_4arch9wavefront6targetE0EEEvSY_,comdat
.Lfunc_end259:
	.size	_ZN7rocprim17ROCPRIM_400000_NS6detail17trampoline_kernelINS0_13select_configILj256ELj13ELNS0_17block_load_methodE3ELS4_3ELS4_3ELNS0_20block_scan_algorithmE0ELj4294967295EEENS1_25partition_config_selectorILNS1_17partition_subalgoE3EjNS0_10empty_typeEbEEZZNS1_14partition_implILS8_3ELb0ES6_jNS0_17counting_iteratorIjlEEPS9_SE_NS0_5tupleIJPjSE_EEENSF_IJSE_SE_EEES9_SG_JZNS1_25segmented_radix_sort_implINS0_14default_configELb1EPKaPaPKlPlN2at6native12_GLOBAL__N_18offset_tEEE10hipError_tPvRmT1_PNSt15iterator_traitsISY_E10value_typeET2_T3_PNSZ_IS14_E10value_typeET4_jRbjT5_S1A_jjP12ihipStream_tbEUljE_EEESV_SW_SX_S14_S18_S1A_T6_T7_T9_mT8_S1C_bDpT10_ENKUlT_T0_E_clISt17integral_constantIbLb0EES1P_EEDaS1K_S1L_EUlS1K_E_NS1_11comp_targetILNS1_3genE5ELNS1_11target_archE942ELNS1_3gpuE9ELNS1_3repE0EEENS1_30default_config_static_selectorELNS0_4arch9wavefront6targetE0EEEvSY_, .Lfunc_end259-_ZN7rocprim17ROCPRIM_400000_NS6detail17trampoline_kernelINS0_13select_configILj256ELj13ELNS0_17block_load_methodE3ELS4_3ELS4_3ELNS0_20block_scan_algorithmE0ELj4294967295EEENS1_25partition_config_selectorILNS1_17partition_subalgoE3EjNS0_10empty_typeEbEEZZNS1_14partition_implILS8_3ELb0ES6_jNS0_17counting_iteratorIjlEEPS9_SE_NS0_5tupleIJPjSE_EEENSF_IJSE_SE_EEES9_SG_JZNS1_25segmented_radix_sort_implINS0_14default_configELb1EPKaPaPKlPlN2at6native12_GLOBAL__N_18offset_tEEE10hipError_tPvRmT1_PNSt15iterator_traitsISY_E10value_typeET2_T3_PNSZ_IS14_E10value_typeET4_jRbjT5_S1A_jjP12ihipStream_tbEUljE_EEESV_SW_SX_S14_S18_S1A_T6_T7_T9_mT8_S1C_bDpT10_ENKUlT_T0_E_clISt17integral_constantIbLb0EES1P_EEDaS1K_S1L_EUlS1K_E_NS1_11comp_targetILNS1_3genE5ELNS1_11target_archE942ELNS1_3gpuE9ELNS1_3repE0EEENS1_30default_config_static_selectorELNS0_4arch9wavefront6targetE0EEEvSY_
                                        ; -- End function
	.section	.AMDGPU.csdata,"",@progbits
; Kernel info:
; codeLenInByte = 0
; NumSgprs: 0
; NumVgprs: 0
; ScratchSize: 0
; MemoryBound: 0
; FloatMode: 240
; IeeeMode: 1
; LDSByteSize: 0 bytes/workgroup (compile time only)
; SGPRBlocks: 0
; VGPRBlocks: 0
; NumSGPRsForWavesPerEU: 1
; NumVGPRsForWavesPerEU: 1
; Occupancy: 16
; WaveLimiterHint : 0
; COMPUTE_PGM_RSRC2:SCRATCH_EN: 0
; COMPUTE_PGM_RSRC2:USER_SGPR: 15
; COMPUTE_PGM_RSRC2:TRAP_HANDLER: 0
; COMPUTE_PGM_RSRC2:TGID_X_EN: 1
; COMPUTE_PGM_RSRC2:TGID_Y_EN: 0
; COMPUTE_PGM_RSRC2:TGID_Z_EN: 0
; COMPUTE_PGM_RSRC2:TIDIG_COMP_CNT: 0
	.section	.text._ZN7rocprim17ROCPRIM_400000_NS6detail17trampoline_kernelINS0_13select_configILj256ELj13ELNS0_17block_load_methodE3ELS4_3ELS4_3ELNS0_20block_scan_algorithmE0ELj4294967295EEENS1_25partition_config_selectorILNS1_17partition_subalgoE3EjNS0_10empty_typeEbEEZZNS1_14partition_implILS8_3ELb0ES6_jNS0_17counting_iteratorIjlEEPS9_SE_NS0_5tupleIJPjSE_EEENSF_IJSE_SE_EEES9_SG_JZNS1_25segmented_radix_sort_implINS0_14default_configELb1EPKaPaPKlPlN2at6native12_GLOBAL__N_18offset_tEEE10hipError_tPvRmT1_PNSt15iterator_traitsISY_E10value_typeET2_T3_PNSZ_IS14_E10value_typeET4_jRbjT5_S1A_jjP12ihipStream_tbEUljE_EEESV_SW_SX_S14_S18_S1A_T6_T7_T9_mT8_S1C_bDpT10_ENKUlT_T0_E_clISt17integral_constantIbLb0EES1P_EEDaS1K_S1L_EUlS1K_E_NS1_11comp_targetILNS1_3genE4ELNS1_11target_archE910ELNS1_3gpuE8ELNS1_3repE0EEENS1_30default_config_static_selectorELNS0_4arch9wavefront6targetE0EEEvSY_,"axG",@progbits,_ZN7rocprim17ROCPRIM_400000_NS6detail17trampoline_kernelINS0_13select_configILj256ELj13ELNS0_17block_load_methodE3ELS4_3ELS4_3ELNS0_20block_scan_algorithmE0ELj4294967295EEENS1_25partition_config_selectorILNS1_17partition_subalgoE3EjNS0_10empty_typeEbEEZZNS1_14partition_implILS8_3ELb0ES6_jNS0_17counting_iteratorIjlEEPS9_SE_NS0_5tupleIJPjSE_EEENSF_IJSE_SE_EEES9_SG_JZNS1_25segmented_radix_sort_implINS0_14default_configELb1EPKaPaPKlPlN2at6native12_GLOBAL__N_18offset_tEEE10hipError_tPvRmT1_PNSt15iterator_traitsISY_E10value_typeET2_T3_PNSZ_IS14_E10value_typeET4_jRbjT5_S1A_jjP12ihipStream_tbEUljE_EEESV_SW_SX_S14_S18_S1A_T6_T7_T9_mT8_S1C_bDpT10_ENKUlT_T0_E_clISt17integral_constantIbLb0EES1P_EEDaS1K_S1L_EUlS1K_E_NS1_11comp_targetILNS1_3genE4ELNS1_11target_archE910ELNS1_3gpuE8ELNS1_3repE0EEENS1_30default_config_static_selectorELNS0_4arch9wavefront6targetE0EEEvSY_,comdat
	.globl	_ZN7rocprim17ROCPRIM_400000_NS6detail17trampoline_kernelINS0_13select_configILj256ELj13ELNS0_17block_load_methodE3ELS4_3ELS4_3ELNS0_20block_scan_algorithmE0ELj4294967295EEENS1_25partition_config_selectorILNS1_17partition_subalgoE3EjNS0_10empty_typeEbEEZZNS1_14partition_implILS8_3ELb0ES6_jNS0_17counting_iteratorIjlEEPS9_SE_NS0_5tupleIJPjSE_EEENSF_IJSE_SE_EEES9_SG_JZNS1_25segmented_radix_sort_implINS0_14default_configELb1EPKaPaPKlPlN2at6native12_GLOBAL__N_18offset_tEEE10hipError_tPvRmT1_PNSt15iterator_traitsISY_E10value_typeET2_T3_PNSZ_IS14_E10value_typeET4_jRbjT5_S1A_jjP12ihipStream_tbEUljE_EEESV_SW_SX_S14_S18_S1A_T6_T7_T9_mT8_S1C_bDpT10_ENKUlT_T0_E_clISt17integral_constantIbLb0EES1P_EEDaS1K_S1L_EUlS1K_E_NS1_11comp_targetILNS1_3genE4ELNS1_11target_archE910ELNS1_3gpuE8ELNS1_3repE0EEENS1_30default_config_static_selectorELNS0_4arch9wavefront6targetE0EEEvSY_ ; -- Begin function _ZN7rocprim17ROCPRIM_400000_NS6detail17trampoline_kernelINS0_13select_configILj256ELj13ELNS0_17block_load_methodE3ELS4_3ELS4_3ELNS0_20block_scan_algorithmE0ELj4294967295EEENS1_25partition_config_selectorILNS1_17partition_subalgoE3EjNS0_10empty_typeEbEEZZNS1_14partition_implILS8_3ELb0ES6_jNS0_17counting_iteratorIjlEEPS9_SE_NS0_5tupleIJPjSE_EEENSF_IJSE_SE_EEES9_SG_JZNS1_25segmented_radix_sort_implINS0_14default_configELb1EPKaPaPKlPlN2at6native12_GLOBAL__N_18offset_tEEE10hipError_tPvRmT1_PNSt15iterator_traitsISY_E10value_typeET2_T3_PNSZ_IS14_E10value_typeET4_jRbjT5_S1A_jjP12ihipStream_tbEUljE_EEESV_SW_SX_S14_S18_S1A_T6_T7_T9_mT8_S1C_bDpT10_ENKUlT_T0_E_clISt17integral_constantIbLb0EES1P_EEDaS1K_S1L_EUlS1K_E_NS1_11comp_targetILNS1_3genE4ELNS1_11target_archE910ELNS1_3gpuE8ELNS1_3repE0EEENS1_30default_config_static_selectorELNS0_4arch9wavefront6targetE0EEEvSY_
	.p2align	8
	.type	_ZN7rocprim17ROCPRIM_400000_NS6detail17trampoline_kernelINS0_13select_configILj256ELj13ELNS0_17block_load_methodE3ELS4_3ELS4_3ELNS0_20block_scan_algorithmE0ELj4294967295EEENS1_25partition_config_selectorILNS1_17partition_subalgoE3EjNS0_10empty_typeEbEEZZNS1_14partition_implILS8_3ELb0ES6_jNS0_17counting_iteratorIjlEEPS9_SE_NS0_5tupleIJPjSE_EEENSF_IJSE_SE_EEES9_SG_JZNS1_25segmented_radix_sort_implINS0_14default_configELb1EPKaPaPKlPlN2at6native12_GLOBAL__N_18offset_tEEE10hipError_tPvRmT1_PNSt15iterator_traitsISY_E10value_typeET2_T3_PNSZ_IS14_E10value_typeET4_jRbjT5_S1A_jjP12ihipStream_tbEUljE_EEESV_SW_SX_S14_S18_S1A_T6_T7_T9_mT8_S1C_bDpT10_ENKUlT_T0_E_clISt17integral_constantIbLb0EES1P_EEDaS1K_S1L_EUlS1K_E_NS1_11comp_targetILNS1_3genE4ELNS1_11target_archE910ELNS1_3gpuE8ELNS1_3repE0EEENS1_30default_config_static_selectorELNS0_4arch9wavefront6targetE0EEEvSY_,@function
_ZN7rocprim17ROCPRIM_400000_NS6detail17trampoline_kernelINS0_13select_configILj256ELj13ELNS0_17block_load_methodE3ELS4_3ELS4_3ELNS0_20block_scan_algorithmE0ELj4294967295EEENS1_25partition_config_selectorILNS1_17partition_subalgoE3EjNS0_10empty_typeEbEEZZNS1_14partition_implILS8_3ELb0ES6_jNS0_17counting_iteratorIjlEEPS9_SE_NS0_5tupleIJPjSE_EEENSF_IJSE_SE_EEES9_SG_JZNS1_25segmented_radix_sort_implINS0_14default_configELb1EPKaPaPKlPlN2at6native12_GLOBAL__N_18offset_tEEE10hipError_tPvRmT1_PNSt15iterator_traitsISY_E10value_typeET2_T3_PNSZ_IS14_E10value_typeET4_jRbjT5_S1A_jjP12ihipStream_tbEUljE_EEESV_SW_SX_S14_S18_S1A_T6_T7_T9_mT8_S1C_bDpT10_ENKUlT_T0_E_clISt17integral_constantIbLb0EES1P_EEDaS1K_S1L_EUlS1K_E_NS1_11comp_targetILNS1_3genE4ELNS1_11target_archE910ELNS1_3gpuE8ELNS1_3repE0EEENS1_30default_config_static_selectorELNS0_4arch9wavefront6targetE0EEEvSY_: ; @_ZN7rocprim17ROCPRIM_400000_NS6detail17trampoline_kernelINS0_13select_configILj256ELj13ELNS0_17block_load_methodE3ELS4_3ELS4_3ELNS0_20block_scan_algorithmE0ELj4294967295EEENS1_25partition_config_selectorILNS1_17partition_subalgoE3EjNS0_10empty_typeEbEEZZNS1_14partition_implILS8_3ELb0ES6_jNS0_17counting_iteratorIjlEEPS9_SE_NS0_5tupleIJPjSE_EEENSF_IJSE_SE_EEES9_SG_JZNS1_25segmented_radix_sort_implINS0_14default_configELb1EPKaPaPKlPlN2at6native12_GLOBAL__N_18offset_tEEE10hipError_tPvRmT1_PNSt15iterator_traitsISY_E10value_typeET2_T3_PNSZ_IS14_E10value_typeET4_jRbjT5_S1A_jjP12ihipStream_tbEUljE_EEESV_SW_SX_S14_S18_S1A_T6_T7_T9_mT8_S1C_bDpT10_ENKUlT_T0_E_clISt17integral_constantIbLb0EES1P_EEDaS1K_S1L_EUlS1K_E_NS1_11comp_targetILNS1_3genE4ELNS1_11target_archE910ELNS1_3gpuE8ELNS1_3repE0EEENS1_30default_config_static_selectorELNS0_4arch9wavefront6targetE0EEEvSY_
; %bb.0:
	.section	.rodata,"a",@progbits
	.p2align	6, 0x0
	.amdhsa_kernel _ZN7rocprim17ROCPRIM_400000_NS6detail17trampoline_kernelINS0_13select_configILj256ELj13ELNS0_17block_load_methodE3ELS4_3ELS4_3ELNS0_20block_scan_algorithmE0ELj4294967295EEENS1_25partition_config_selectorILNS1_17partition_subalgoE3EjNS0_10empty_typeEbEEZZNS1_14partition_implILS8_3ELb0ES6_jNS0_17counting_iteratorIjlEEPS9_SE_NS0_5tupleIJPjSE_EEENSF_IJSE_SE_EEES9_SG_JZNS1_25segmented_radix_sort_implINS0_14default_configELb1EPKaPaPKlPlN2at6native12_GLOBAL__N_18offset_tEEE10hipError_tPvRmT1_PNSt15iterator_traitsISY_E10value_typeET2_T3_PNSZ_IS14_E10value_typeET4_jRbjT5_S1A_jjP12ihipStream_tbEUljE_EEESV_SW_SX_S14_S18_S1A_T6_T7_T9_mT8_S1C_bDpT10_ENKUlT_T0_E_clISt17integral_constantIbLb0EES1P_EEDaS1K_S1L_EUlS1K_E_NS1_11comp_targetILNS1_3genE4ELNS1_11target_archE910ELNS1_3gpuE8ELNS1_3repE0EEENS1_30default_config_static_selectorELNS0_4arch9wavefront6targetE0EEEvSY_
		.amdhsa_group_segment_fixed_size 0
		.amdhsa_private_segment_fixed_size 0
		.amdhsa_kernarg_size 144
		.amdhsa_user_sgpr_count 15
		.amdhsa_user_sgpr_dispatch_ptr 0
		.amdhsa_user_sgpr_queue_ptr 0
		.amdhsa_user_sgpr_kernarg_segment_ptr 1
		.amdhsa_user_sgpr_dispatch_id 0
		.amdhsa_user_sgpr_private_segment_size 0
		.amdhsa_wavefront_size32 1
		.amdhsa_uses_dynamic_stack 0
		.amdhsa_enable_private_segment 0
		.amdhsa_system_sgpr_workgroup_id_x 1
		.amdhsa_system_sgpr_workgroup_id_y 0
		.amdhsa_system_sgpr_workgroup_id_z 0
		.amdhsa_system_sgpr_workgroup_info 0
		.amdhsa_system_vgpr_workitem_id 0
		.amdhsa_next_free_vgpr 1
		.amdhsa_next_free_sgpr 1
		.amdhsa_reserve_vcc 0
		.amdhsa_float_round_mode_32 0
		.amdhsa_float_round_mode_16_64 0
		.amdhsa_float_denorm_mode_32 3
		.amdhsa_float_denorm_mode_16_64 3
		.amdhsa_dx10_clamp 1
		.amdhsa_ieee_mode 1
		.amdhsa_fp16_overflow 0
		.amdhsa_workgroup_processor_mode 1
		.amdhsa_memory_ordered 1
		.amdhsa_forward_progress 0
		.amdhsa_shared_vgpr_count 0
		.amdhsa_exception_fp_ieee_invalid_op 0
		.amdhsa_exception_fp_denorm_src 0
		.amdhsa_exception_fp_ieee_div_zero 0
		.amdhsa_exception_fp_ieee_overflow 0
		.amdhsa_exception_fp_ieee_underflow 0
		.amdhsa_exception_fp_ieee_inexact 0
		.amdhsa_exception_int_div_zero 0
	.end_amdhsa_kernel
	.section	.text._ZN7rocprim17ROCPRIM_400000_NS6detail17trampoline_kernelINS0_13select_configILj256ELj13ELNS0_17block_load_methodE3ELS4_3ELS4_3ELNS0_20block_scan_algorithmE0ELj4294967295EEENS1_25partition_config_selectorILNS1_17partition_subalgoE3EjNS0_10empty_typeEbEEZZNS1_14partition_implILS8_3ELb0ES6_jNS0_17counting_iteratorIjlEEPS9_SE_NS0_5tupleIJPjSE_EEENSF_IJSE_SE_EEES9_SG_JZNS1_25segmented_radix_sort_implINS0_14default_configELb1EPKaPaPKlPlN2at6native12_GLOBAL__N_18offset_tEEE10hipError_tPvRmT1_PNSt15iterator_traitsISY_E10value_typeET2_T3_PNSZ_IS14_E10value_typeET4_jRbjT5_S1A_jjP12ihipStream_tbEUljE_EEESV_SW_SX_S14_S18_S1A_T6_T7_T9_mT8_S1C_bDpT10_ENKUlT_T0_E_clISt17integral_constantIbLb0EES1P_EEDaS1K_S1L_EUlS1K_E_NS1_11comp_targetILNS1_3genE4ELNS1_11target_archE910ELNS1_3gpuE8ELNS1_3repE0EEENS1_30default_config_static_selectorELNS0_4arch9wavefront6targetE0EEEvSY_,"axG",@progbits,_ZN7rocprim17ROCPRIM_400000_NS6detail17trampoline_kernelINS0_13select_configILj256ELj13ELNS0_17block_load_methodE3ELS4_3ELS4_3ELNS0_20block_scan_algorithmE0ELj4294967295EEENS1_25partition_config_selectorILNS1_17partition_subalgoE3EjNS0_10empty_typeEbEEZZNS1_14partition_implILS8_3ELb0ES6_jNS0_17counting_iteratorIjlEEPS9_SE_NS0_5tupleIJPjSE_EEENSF_IJSE_SE_EEES9_SG_JZNS1_25segmented_radix_sort_implINS0_14default_configELb1EPKaPaPKlPlN2at6native12_GLOBAL__N_18offset_tEEE10hipError_tPvRmT1_PNSt15iterator_traitsISY_E10value_typeET2_T3_PNSZ_IS14_E10value_typeET4_jRbjT5_S1A_jjP12ihipStream_tbEUljE_EEESV_SW_SX_S14_S18_S1A_T6_T7_T9_mT8_S1C_bDpT10_ENKUlT_T0_E_clISt17integral_constantIbLb0EES1P_EEDaS1K_S1L_EUlS1K_E_NS1_11comp_targetILNS1_3genE4ELNS1_11target_archE910ELNS1_3gpuE8ELNS1_3repE0EEENS1_30default_config_static_selectorELNS0_4arch9wavefront6targetE0EEEvSY_,comdat
.Lfunc_end260:
	.size	_ZN7rocprim17ROCPRIM_400000_NS6detail17trampoline_kernelINS0_13select_configILj256ELj13ELNS0_17block_load_methodE3ELS4_3ELS4_3ELNS0_20block_scan_algorithmE0ELj4294967295EEENS1_25partition_config_selectorILNS1_17partition_subalgoE3EjNS0_10empty_typeEbEEZZNS1_14partition_implILS8_3ELb0ES6_jNS0_17counting_iteratorIjlEEPS9_SE_NS0_5tupleIJPjSE_EEENSF_IJSE_SE_EEES9_SG_JZNS1_25segmented_radix_sort_implINS0_14default_configELb1EPKaPaPKlPlN2at6native12_GLOBAL__N_18offset_tEEE10hipError_tPvRmT1_PNSt15iterator_traitsISY_E10value_typeET2_T3_PNSZ_IS14_E10value_typeET4_jRbjT5_S1A_jjP12ihipStream_tbEUljE_EEESV_SW_SX_S14_S18_S1A_T6_T7_T9_mT8_S1C_bDpT10_ENKUlT_T0_E_clISt17integral_constantIbLb0EES1P_EEDaS1K_S1L_EUlS1K_E_NS1_11comp_targetILNS1_3genE4ELNS1_11target_archE910ELNS1_3gpuE8ELNS1_3repE0EEENS1_30default_config_static_selectorELNS0_4arch9wavefront6targetE0EEEvSY_, .Lfunc_end260-_ZN7rocprim17ROCPRIM_400000_NS6detail17trampoline_kernelINS0_13select_configILj256ELj13ELNS0_17block_load_methodE3ELS4_3ELS4_3ELNS0_20block_scan_algorithmE0ELj4294967295EEENS1_25partition_config_selectorILNS1_17partition_subalgoE3EjNS0_10empty_typeEbEEZZNS1_14partition_implILS8_3ELb0ES6_jNS0_17counting_iteratorIjlEEPS9_SE_NS0_5tupleIJPjSE_EEENSF_IJSE_SE_EEES9_SG_JZNS1_25segmented_radix_sort_implINS0_14default_configELb1EPKaPaPKlPlN2at6native12_GLOBAL__N_18offset_tEEE10hipError_tPvRmT1_PNSt15iterator_traitsISY_E10value_typeET2_T3_PNSZ_IS14_E10value_typeET4_jRbjT5_S1A_jjP12ihipStream_tbEUljE_EEESV_SW_SX_S14_S18_S1A_T6_T7_T9_mT8_S1C_bDpT10_ENKUlT_T0_E_clISt17integral_constantIbLb0EES1P_EEDaS1K_S1L_EUlS1K_E_NS1_11comp_targetILNS1_3genE4ELNS1_11target_archE910ELNS1_3gpuE8ELNS1_3repE0EEENS1_30default_config_static_selectorELNS0_4arch9wavefront6targetE0EEEvSY_
                                        ; -- End function
	.section	.AMDGPU.csdata,"",@progbits
; Kernel info:
; codeLenInByte = 0
; NumSgprs: 0
; NumVgprs: 0
; ScratchSize: 0
; MemoryBound: 0
; FloatMode: 240
; IeeeMode: 1
; LDSByteSize: 0 bytes/workgroup (compile time only)
; SGPRBlocks: 0
; VGPRBlocks: 0
; NumSGPRsForWavesPerEU: 1
; NumVGPRsForWavesPerEU: 1
; Occupancy: 16
; WaveLimiterHint : 0
; COMPUTE_PGM_RSRC2:SCRATCH_EN: 0
; COMPUTE_PGM_RSRC2:USER_SGPR: 15
; COMPUTE_PGM_RSRC2:TRAP_HANDLER: 0
; COMPUTE_PGM_RSRC2:TGID_X_EN: 1
; COMPUTE_PGM_RSRC2:TGID_Y_EN: 0
; COMPUTE_PGM_RSRC2:TGID_Z_EN: 0
; COMPUTE_PGM_RSRC2:TIDIG_COMP_CNT: 0
	.section	.text._ZN7rocprim17ROCPRIM_400000_NS6detail17trampoline_kernelINS0_13select_configILj256ELj13ELNS0_17block_load_methodE3ELS4_3ELS4_3ELNS0_20block_scan_algorithmE0ELj4294967295EEENS1_25partition_config_selectorILNS1_17partition_subalgoE3EjNS0_10empty_typeEbEEZZNS1_14partition_implILS8_3ELb0ES6_jNS0_17counting_iteratorIjlEEPS9_SE_NS0_5tupleIJPjSE_EEENSF_IJSE_SE_EEES9_SG_JZNS1_25segmented_radix_sort_implINS0_14default_configELb1EPKaPaPKlPlN2at6native12_GLOBAL__N_18offset_tEEE10hipError_tPvRmT1_PNSt15iterator_traitsISY_E10value_typeET2_T3_PNSZ_IS14_E10value_typeET4_jRbjT5_S1A_jjP12ihipStream_tbEUljE_EEESV_SW_SX_S14_S18_S1A_T6_T7_T9_mT8_S1C_bDpT10_ENKUlT_T0_E_clISt17integral_constantIbLb0EES1P_EEDaS1K_S1L_EUlS1K_E_NS1_11comp_targetILNS1_3genE3ELNS1_11target_archE908ELNS1_3gpuE7ELNS1_3repE0EEENS1_30default_config_static_selectorELNS0_4arch9wavefront6targetE0EEEvSY_,"axG",@progbits,_ZN7rocprim17ROCPRIM_400000_NS6detail17trampoline_kernelINS0_13select_configILj256ELj13ELNS0_17block_load_methodE3ELS4_3ELS4_3ELNS0_20block_scan_algorithmE0ELj4294967295EEENS1_25partition_config_selectorILNS1_17partition_subalgoE3EjNS0_10empty_typeEbEEZZNS1_14partition_implILS8_3ELb0ES6_jNS0_17counting_iteratorIjlEEPS9_SE_NS0_5tupleIJPjSE_EEENSF_IJSE_SE_EEES9_SG_JZNS1_25segmented_radix_sort_implINS0_14default_configELb1EPKaPaPKlPlN2at6native12_GLOBAL__N_18offset_tEEE10hipError_tPvRmT1_PNSt15iterator_traitsISY_E10value_typeET2_T3_PNSZ_IS14_E10value_typeET4_jRbjT5_S1A_jjP12ihipStream_tbEUljE_EEESV_SW_SX_S14_S18_S1A_T6_T7_T9_mT8_S1C_bDpT10_ENKUlT_T0_E_clISt17integral_constantIbLb0EES1P_EEDaS1K_S1L_EUlS1K_E_NS1_11comp_targetILNS1_3genE3ELNS1_11target_archE908ELNS1_3gpuE7ELNS1_3repE0EEENS1_30default_config_static_selectorELNS0_4arch9wavefront6targetE0EEEvSY_,comdat
	.globl	_ZN7rocprim17ROCPRIM_400000_NS6detail17trampoline_kernelINS0_13select_configILj256ELj13ELNS0_17block_load_methodE3ELS4_3ELS4_3ELNS0_20block_scan_algorithmE0ELj4294967295EEENS1_25partition_config_selectorILNS1_17partition_subalgoE3EjNS0_10empty_typeEbEEZZNS1_14partition_implILS8_3ELb0ES6_jNS0_17counting_iteratorIjlEEPS9_SE_NS0_5tupleIJPjSE_EEENSF_IJSE_SE_EEES9_SG_JZNS1_25segmented_radix_sort_implINS0_14default_configELb1EPKaPaPKlPlN2at6native12_GLOBAL__N_18offset_tEEE10hipError_tPvRmT1_PNSt15iterator_traitsISY_E10value_typeET2_T3_PNSZ_IS14_E10value_typeET4_jRbjT5_S1A_jjP12ihipStream_tbEUljE_EEESV_SW_SX_S14_S18_S1A_T6_T7_T9_mT8_S1C_bDpT10_ENKUlT_T0_E_clISt17integral_constantIbLb0EES1P_EEDaS1K_S1L_EUlS1K_E_NS1_11comp_targetILNS1_3genE3ELNS1_11target_archE908ELNS1_3gpuE7ELNS1_3repE0EEENS1_30default_config_static_selectorELNS0_4arch9wavefront6targetE0EEEvSY_ ; -- Begin function _ZN7rocprim17ROCPRIM_400000_NS6detail17trampoline_kernelINS0_13select_configILj256ELj13ELNS0_17block_load_methodE3ELS4_3ELS4_3ELNS0_20block_scan_algorithmE0ELj4294967295EEENS1_25partition_config_selectorILNS1_17partition_subalgoE3EjNS0_10empty_typeEbEEZZNS1_14partition_implILS8_3ELb0ES6_jNS0_17counting_iteratorIjlEEPS9_SE_NS0_5tupleIJPjSE_EEENSF_IJSE_SE_EEES9_SG_JZNS1_25segmented_radix_sort_implINS0_14default_configELb1EPKaPaPKlPlN2at6native12_GLOBAL__N_18offset_tEEE10hipError_tPvRmT1_PNSt15iterator_traitsISY_E10value_typeET2_T3_PNSZ_IS14_E10value_typeET4_jRbjT5_S1A_jjP12ihipStream_tbEUljE_EEESV_SW_SX_S14_S18_S1A_T6_T7_T9_mT8_S1C_bDpT10_ENKUlT_T0_E_clISt17integral_constantIbLb0EES1P_EEDaS1K_S1L_EUlS1K_E_NS1_11comp_targetILNS1_3genE3ELNS1_11target_archE908ELNS1_3gpuE7ELNS1_3repE0EEENS1_30default_config_static_selectorELNS0_4arch9wavefront6targetE0EEEvSY_
	.p2align	8
	.type	_ZN7rocprim17ROCPRIM_400000_NS6detail17trampoline_kernelINS0_13select_configILj256ELj13ELNS0_17block_load_methodE3ELS4_3ELS4_3ELNS0_20block_scan_algorithmE0ELj4294967295EEENS1_25partition_config_selectorILNS1_17partition_subalgoE3EjNS0_10empty_typeEbEEZZNS1_14partition_implILS8_3ELb0ES6_jNS0_17counting_iteratorIjlEEPS9_SE_NS0_5tupleIJPjSE_EEENSF_IJSE_SE_EEES9_SG_JZNS1_25segmented_radix_sort_implINS0_14default_configELb1EPKaPaPKlPlN2at6native12_GLOBAL__N_18offset_tEEE10hipError_tPvRmT1_PNSt15iterator_traitsISY_E10value_typeET2_T3_PNSZ_IS14_E10value_typeET4_jRbjT5_S1A_jjP12ihipStream_tbEUljE_EEESV_SW_SX_S14_S18_S1A_T6_T7_T9_mT8_S1C_bDpT10_ENKUlT_T0_E_clISt17integral_constantIbLb0EES1P_EEDaS1K_S1L_EUlS1K_E_NS1_11comp_targetILNS1_3genE3ELNS1_11target_archE908ELNS1_3gpuE7ELNS1_3repE0EEENS1_30default_config_static_selectorELNS0_4arch9wavefront6targetE0EEEvSY_,@function
_ZN7rocprim17ROCPRIM_400000_NS6detail17trampoline_kernelINS0_13select_configILj256ELj13ELNS0_17block_load_methodE3ELS4_3ELS4_3ELNS0_20block_scan_algorithmE0ELj4294967295EEENS1_25partition_config_selectorILNS1_17partition_subalgoE3EjNS0_10empty_typeEbEEZZNS1_14partition_implILS8_3ELb0ES6_jNS0_17counting_iteratorIjlEEPS9_SE_NS0_5tupleIJPjSE_EEENSF_IJSE_SE_EEES9_SG_JZNS1_25segmented_radix_sort_implINS0_14default_configELb1EPKaPaPKlPlN2at6native12_GLOBAL__N_18offset_tEEE10hipError_tPvRmT1_PNSt15iterator_traitsISY_E10value_typeET2_T3_PNSZ_IS14_E10value_typeET4_jRbjT5_S1A_jjP12ihipStream_tbEUljE_EEESV_SW_SX_S14_S18_S1A_T6_T7_T9_mT8_S1C_bDpT10_ENKUlT_T0_E_clISt17integral_constantIbLb0EES1P_EEDaS1K_S1L_EUlS1K_E_NS1_11comp_targetILNS1_3genE3ELNS1_11target_archE908ELNS1_3gpuE7ELNS1_3repE0EEENS1_30default_config_static_selectorELNS0_4arch9wavefront6targetE0EEEvSY_: ; @_ZN7rocprim17ROCPRIM_400000_NS6detail17trampoline_kernelINS0_13select_configILj256ELj13ELNS0_17block_load_methodE3ELS4_3ELS4_3ELNS0_20block_scan_algorithmE0ELj4294967295EEENS1_25partition_config_selectorILNS1_17partition_subalgoE3EjNS0_10empty_typeEbEEZZNS1_14partition_implILS8_3ELb0ES6_jNS0_17counting_iteratorIjlEEPS9_SE_NS0_5tupleIJPjSE_EEENSF_IJSE_SE_EEES9_SG_JZNS1_25segmented_radix_sort_implINS0_14default_configELb1EPKaPaPKlPlN2at6native12_GLOBAL__N_18offset_tEEE10hipError_tPvRmT1_PNSt15iterator_traitsISY_E10value_typeET2_T3_PNSZ_IS14_E10value_typeET4_jRbjT5_S1A_jjP12ihipStream_tbEUljE_EEESV_SW_SX_S14_S18_S1A_T6_T7_T9_mT8_S1C_bDpT10_ENKUlT_T0_E_clISt17integral_constantIbLb0EES1P_EEDaS1K_S1L_EUlS1K_E_NS1_11comp_targetILNS1_3genE3ELNS1_11target_archE908ELNS1_3gpuE7ELNS1_3repE0EEENS1_30default_config_static_selectorELNS0_4arch9wavefront6targetE0EEEvSY_
; %bb.0:
	.section	.rodata,"a",@progbits
	.p2align	6, 0x0
	.amdhsa_kernel _ZN7rocprim17ROCPRIM_400000_NS6detail17trampoline_kernelINS0_13select_configILj256ELj13ELNS0_17block_load_methodE3ELS4_3ELS4_3ELNS0_20block_scan_algorithmE0ELj4294967295EEENS1_25partition_config_selectorILNS1_17partition_subalgoE3EjNS0_10empty_typeEbEEZZNS1_14partition_implILS8_3ELb0ES6_jNS0_17counting_iteratorIjlEEPS9_SE_NS0_5tupleIJPjSE_EEENSF_IJSE_SE_EEES9_SG_JZNS1_25segmented_radix_sort_implINS0_14default_configELb1EPKaPaPKlPlN2at6native12_GLOBAL__N_18offset_tEEE10hipError_tPvRmT1_PNSt15iterator_traitsISY_E10value_typeET2_T3_PNSZ_IS14_E10value_typeET4_jRbjT5_S1A_jjP12ihipStream_tbEUljE_EEESV_SW_SX_S14_S18_S1A_T6_T7_T9_mT8_S1C_bDpT10_ENKUlT_T0_E_clISt17integral_constantIbLb0EES1P_EEDaS1K_S1L_EUlS1K_E_NS1_11comp_targetILNS1_3genE3ELNS1_11target_archE908ELNS1_3gpuE7ELNS1_3repE0EEENS1_30default_config_static_selectorELNS0_4arch9wavefront6targetE0EEEvSY_
		.amdhsa_group_segment_fixed_size 0
		.amdhsa_private_segment_fixed_size 0
		.amdhsa_kernarg_size 144
		.amdhsa_user_sgpr_count 15
		.amdhsa_user_sgpr_dispatch_ptr 0
		.amdhsa_user_sgpr_queue_ptr 0
		.amdhsa_user_sgpr_kernarg_segment_ptr 1
		.amdhsa_user_sgpr_dispatch_id 0
		.amdhsa_user_sgpr_private_segment_size 0
		.amdhsa_wavefront_size32 1
		.amdhsa_uses_dynamic_stack 0
		.amdhsa_enable_private_segment 0
		.amdhsa_system_sgpr_workgroup_id_x 1
		.amdhsa_system_sgpr_workgroup_id_y 0
		.amdhsa_system_sgpr_workgroup_id_z 0
		.amdhsa_system_sgpr_workgroup_info 0
		.amdhsa_system_vgpr_workitem_id 0
		.amdhsa_next_free_vgpr 1
		.amdhsa_next_free_sgpr 1
		.amdhsa_reserve_vcc 0
		.amdhsa_float_round_mode_32 0
		.amdhsa_float_round_mode_16_64 0
		.amdhsa_float_denorm_mode_32 3
		.amdhsa_float_denorm_mode_16_64 3
		.amdhsa_dx10_clamp 1
		.amdhsa_ieee_mode 1
		.amdhsa_fp16_overflow 0
		.amdhsa_workgroup_processor_mode 1
		.amdhsa_memory_ordered 1
		.amdhsa_forward_progress 0
		.amdhsa_shared_vgpr_count 0
		.amdhsa_exception_fp_ieee_invalid_op 0
		.amdhsa_exception_fp_denorm_src 0
		.amdhsa_exception_fp_ieee_div_zero 0
		.amdhsa_exception_fp_ieee_overflow 0
		.amdhsa_exception_fp_ieee_underflow 0
		.amdhsa_exception_fp_ieee_inexact 0
		.amdhsa_exception_int_div_zero 0
	.end_amdhsa_kernel
	.section	.text._ZN7rocprim17ROCPRIM_400000_NS6detail17trampoline_kernelINS0_13select_configILj256ELj13ELNS0_17block_load_methodE3ELS4_3ELS4_3ELNS0_20block_scan_algorithmE0ELj4294967295EEENS1_25partition_config_selectorILNS1_17partition_subalgoE3EjNS0_10empty_typeEbEEZZNS1_14partition_implILS8_3ELb0ES6_jNS0_17counting_iteratorIjlEEPS9_SE_NS0_5tupleIJPjSE_EEENSF_IJSE_SE_EEES9_SG_JZNS1_25segmented_radix_sort_implINS0_14default_configELb1EPKaPaPKlPlN2at6native12_GLOBAL__N_18offset_tEEE10hipError_tPvRmT1_PNSt15iterator_traitsISY_E10value_typeET2_T3_PNSZ_IS14_E10value_typeET4_jRbjT5_S1A_jjP12ihipStream_tbEUljE_EEESV_SW_SX_S14_S18_S1A_T6_T7_T9_mT8_S1C_bDpT10_ENKUlT_T0_E_clISt17integral_constantIbLb0EES1P_EEDaS1K_S1L_EUlS1K_E_NS1_11comp_targetILNS1_3genE3ELNS1_11target_archE908ELNS1_3gpuE7ELNS1_3repE0EEENS1_30default_config_static_selectorELNS0_4arch9wavefront6targetE0EEEvSY_,"axG",@progbits,_ZN7rocprim17ROCPRIM_400000_NS6detail17trampoline_kernelINS0_13select_configILj256ELj13ELNS0_17block_load_methodE3ELS4_3ELS4_3ELNS0_20block_scan_algorithmE0ELj4294967295EEENS1_25partition_config_selectorILNS1_17partition_subalgoE3EjNS0_10empty_typeEbEEZZNS1_14partition_implILS8_3ELb0ES6_jNS0_17counting_iteratorIjlEEPS9_SE_NS0_5tupleIJPjSE_EEENSF_IJSE_SE_EEES9_SG_JZNS1_25segmented_radix_sort_implINS0_14default_configELb1EPKaPaPKlPlN2at6native12_GLOBAL__N_18offset_tEEE10hipError_tPvRmT1_PNSt15iterator_traitsISY_E10value_typeET2_T3_PNSZ_IS14_E10value_typeET4_jRbjT5_S1A_jjP12ihipStream_tbEUljE_EEESV_SW_SX_S14_S18_S1A_T6_T7_T9_mT8_S1C_bDpT10_ENKUlT_T0_E_clISt17integral_constantIbLb0EES1P_EEDaS1K_S1L_EUlS1K_E_NS1_11comp_targetILNS1_3genE3ELNS1_11target_archE908ELNS1_3gpuE7ELNS1_3repE0EEENS1_30default_config_static_selectorELNS0_4arch9wavefront6targetE0EEEvSY_,comdat
.Lfunc_end261:
	.size	_ZN7rocprim17ROCPRIM_400000_NS6detail17trampoline_kernelINS0_13select_configILj256ELj13ELNS0_17block_load_methodE3ELS4_3ELS4_3ELNS0_20block_scan_algorithmE0ELj4294967295EEENS1_25partition_config_selectorILNS1_17partition_subalgoE3EjNS0_10empty_typeEbEEZZNS1_14partition_implILS8_3ELb0ES6_jNS0_17counting_iteratorIjlEEPS9_SE_NS0_5tupleIJPjSE_EEENSF_IJSE_SE_EEES9_SG_JZNS1_25segmented_radix_sort_implINS0_14default_configELb1EPKaPaPKlPlN2at6native12_GLOBAL__N_18offset_tEEE10hipError_tPvRmT1_PNSt15iterator_traitsISY_E10value_typeET2_T3_PNSZ_IS14_E10value_typeET4_jRbjT5_S1A_jjP12ihipStream_tbEUljE_EEESV_SW_SX_S14_S18_S1A_T6_T7_T9_mT8_S1C_bDpT10_ENKUlT_T0_E_clISt17integral_constantIbLb0EES1P_EEDaS1K_S1L_EUlS1K_E_NS1_11comp_targetILNS1_3genE3ELNS1_11target_archE908ELNS1_3gpuE7ELNS1_3repE0EEENS1_30default_config_static_selectorELNS0_4arch9wavefront6targetE0EEEvSY_, .Lfunc_end261-_ZN7rocprim17ROCPRIM_400000_NS6detail17trampoline_kernelINS0_13select_configILj256ELj13ELNS0_17block_load_methodE3ELS4_3ELS4_3ELNS0_20block_scan_algorithmE0ELj4294967295EEENS1_25partition_config_selectorILNS1_17partition_subalgoE3EjNS0_10empty_typeEbEEZZNS1_14partition_implILS8_3ELb0ES6_jNS0_17counting_iteratorIjlEEPS9_SE_NS0_5tupleIJPjSE_EEENSF_IJSE_SE_EEES9_SG_JZNS1_25segmented_radix_sort_implINS0_14default_configELb1EPKaPaPKlPlN2at6native12_GLOBAL__N_18offset_tEEE10hipError_tPvRmT1_PNSt15iterator_traitsISY_E10value_typeET2_T3_PNSZ_IS14_E10value_typeET4_jRbjT5_S1A_jjP12ihipStream_tbEUljE_EEESV_SW_SX_S14_S18_S1A_T6_T7_T9_mT8_S1C_bDpT10_ENKUlT_T0_E_clISt17integral_constantIbLb0EES1P_EEDaS1K_S1L_EUlS1K_E_NS1_11comp_targetILNS1_3genE3ELNS1_11target_archE908ELNS1_3gpuE7ELNS1_3repE0EEENS1_30default_config_static_selectorELNS0_4arch9wavefront6targetE0EEEvSY_
                                        ; -- End function
	.section	.AMDGPU.csdata,"",@progbits
; Kernel info:
; codeLenInByte = 0
; NumSgprs: 0
; NumVgprs: 0
; ScratchSize: 0
; MemoryBound: 0
; FloatMode: 240
; IeeeMode: 1
; LDSByteSize: 0 bytes/workgroup (compile time only)
; SGPRBlocks: 0
; VGPRBlocks: 0
; NumSGPRsForWavesPerEU: 1
; NumVGPRsForWavesPerEU: 1
; Occupancy: 16
; WaveLimiterHint : 0
; COMPUTE_PGM_RSRC2:SCRATCH_EN: 0
; COMPUTE_PGM_RSRC2:USER_SGPR: 15
; COMPUTE_PGM_RSRC2:TRAP_HANDLER: 0
; COMPUTE_PGM_RSRC2:TGID_X_EN: 1
; COMPUTE_PGM_RSRC2:TGID_Y_EN: 0
; COMPUTE_PGM_RSRC2:TGID_Z_EN: 0
; COMPUTE_PGM_RSRC2:TIDIG_COMP_CNT: 0
	.section	.text._ZN7rocprim17ROCPRIM_400000_NS6detail17trampoline_kernelINS0_13select_configILj256ELj13ELNS0_17block_load_methodE3ELS4_3ELS4_3ELNS0_20block_scan_algorithmE0ELj4294967295EEENS1_25partition_config_selectorILNS1_17partition_subalgoE3EjNS0_10empty_typeEbEEZZNS1_14partition_implILS8_3ELb0ES6_jNS0_17counting_iteratorIjlEEPS9_SE_NS0_5tupleIJPjSE_EEENSF_IJSE_SE_EEES9_SG_JZNS1_25segmented_radix_sort_implINS0_14default_configELb1EPKaPaPKlPlN2at6native12_GLOBAL__N_18offset_tEEE10hipError_tPvRmT1_PNSt15iterator_traitsISY_E10value_typeET2_T3_PNSZ_IS14_E10value_typeET4_jRbjT5_S1A_jjP12ihipStream_tbEUljE_EEESV_SW_SX_S14_S18_S1A_T6_T7_T9_mT8_S1C_bDpT10_ENKUlT_T0_E_clISt17integral_constantIbLb0EES1P_EEDaS1K_S1L_EUlS1K_E_NS1_11comp_targetILNS1_3genE2ELNS1_11target_archE906ELNS1_3gpuE6ELNS1_3repE0EEENS1_30default_config_static_selectorELNS0_4arch9wavefront6targetE0EEEvSY_,"axG",@progbits,_ZN7rocprim17ROCPRIM_400000_NS6detail17trampoline_kernelINS0_13select_configILj256ELj13ELNS0_17block_load_methodE3ELS4_3ELS4_3ELNS0_20block_scan_algorithmE0ELj4294967295EEENS1_25partition_config_selectorILNS1_17partition_subalgoE3EjNS0_10empty_typeEbEEZZNS1_14partition_implILS8_3ELb0ES6_jNS0_17counting_iteratorIjlEEPS9_SE_NS0_5tupleIJPjSE_EEENSF_IJSE_SE_EEES9_SG_JZNS1_25segmented_radix_sort_implINS0_14default_configELb1EPKaPaPKlPlN2at6native12_GLOBAL__N_18offset_tEEE10hipError_tPvRmT1_PNSt15iterator_traitsISY_E10value_typeET2_T3_PNSZ_IS14_E10value_typeET4_jRbjT5_S1A_jjP12ihipStream_tbEUljE_EEESV_SW_SX_S14_S18_S1A_T6_T7_T9_mT8_S1C_bDpT10_ENKUlT_T0_E_clISt17integral_constantIbLb0EES1P_EEDaS1K_S1L_EUlS1K_E_NS1_11comp_targetILNS1_3genE2ELNS1_11target_archE906ELNS1_3gpuE6ELNS1_3repE0EEENS1_30default_config_static_selectorELNS0_4arch9wavefront6targetE0EEEvSY_,comdat
	.globl	_ZN7rocprim17ROCPRIM_400000_NS6detail17trampoline_kernelINS0_13select_configILj256ELj13ELNS0_17block_load_methodE3ELS4_3ELS4_3ELNS0_20block_scan_algorithmE0ELj4294967295EEENS1_25partition_config_selectorILNS1_17partition_subalgoE3EjNS0_10empty_typeEbEEZZNS1_14partition_implILS8_3ELb0ES6_jNS0_17counting_iteratorIjlEEPS9_SE_NS0_5tupleIJPjSE_EEENSF_IJSE_SE_EEES9_SG_JZNS1_25segmented_radix_sort_implINS0_14default_configELb1EPKaPaPKlPlN2at6native12_GLOBAL__N_18offset_tEEE10hipError_tPvRmT1_PNSt15iterator_traitsISY_E10value_typeET2_T3_PNSZ_IS14_E10value_typeET4_jRbjT5_S1A_jjP12ihipStream_tbEUljE_EEESV_SW_SX_S14_S18_S1A_T6_T7_T9_mT8_S1C_bDpT10_ENKUlT_T0_E_clISt17integral_constantIbLb0EES1P_EEDaS1K_S1L_EUlS1K_E_NS1_11comp_targetILNS1_3genE2ELNS1_11target_archE906ELNS1_3gpuE6ELNS1_3repE0EEENS1_30default_config_static_selectorELNS0_4arch9wavefront6targetE0EEEvSY_ ; -- Begin function _ZN7rocprim17ROCPRIM_400000_NS6detail17trampoline_kernelINS0_13select_configILj256ELj13ELNS0_17block_load_methodE3ELS4_3ELS4_3ELNS0_20block_scan_algorithmE0ELj4294967295EEENS1_25partition_config_selectorILNS1_17partition_subalgoE3EjNS0_10empty_typeEbEEZZNS1_14partition_implILS8_3ELb0ES6_jNS0_17counting_iteratorIjlEEPS9_SE_NS0_5tupleIJPjSE_EEENSF_IJSE_SE_EEES9_SG_JZNS1_25segmented_radix_sort_implINS0_14default_configELb1EPKaPaPKlPlN2at6native12_GLOBAL__N_18offset_tEEE10hipError_tPvRmT1_PNSt15iterator_traitsISY_E10value_typeET2_T3_PNSZ_IS14_E10value_typeET4_jRbjT5_S1A_jjP12ihipStream_tbEUljE_EEESV_SW_SX_S14_S18_S1A_T6_T7_T9_mT8_S1C_bDpT10_ENKUlT_T0_E_clISt17integral_constantIbLb0EES1P_EEDaS1K_S1L_EUlS1K_E_NS1_11comp_targetILNS1_3genE2ELNS1_11target_archE906ELNS1_3gpuE6ELNS1_3repE0EEENS1_30default_config_static_selectorELNS0_4arch9wavefront6targetE0EEEvSY_
	.p2align	8
	.type	_ZN7rocprim17ROCPRIM_400000_NS6detail17trampoline_kernelINS0_13select_configILj256ELj13ELNS0_17block_load_methodE3ELS4_3ELS4_3ELNS0_20block_scan_algorithmE0ELj4294967295EEENS1_25partition_config_selectorILNS1_17partition_subalgoE3EjNS0_10empty_typeEbEEZZNS1_14partition_implILS8_3ELb0ES6_jNS0_17counting_iteratorIjlEEPS9_SE_NS0_5tupleIJPjSE_EEENSF_IJSE_SE_EEES9_SG_JZNS1_25segmented_radix_sort_implINS0_14default_configELb1EPKaPaPKlPlN2at6native12_GLOBAL__N_18offset_tEEE10hipError_tPvRmT1_PNSt15iterator_traitsISY_E10value_typeET2_T3_PNSZ_IS14_E10value_typeET4_jRbjT5_S1A_jjP12ihipStream_tbEUljE_EEESV_SW_SX_S14_S18_S1A_T6_T7_T9_mT8_S1C_bDpT10_ENKUlT_T0_E_clISt17integral_constantIbLb0EES1P_EEDaS1K_S1L_EUlS1K_E_NS1_11comp_targetILNS1_3genE2ELNS1_11target_archE906ELNS1_3gpuE6ELNS1_3repE0EEENS1_30default_config_static_selectorELNS0_4arch9wavefront6targetE0EEEvSY_,@function
_ZN7rocprim17ROCPRIM_400000_NS6detail17trampoline_kernelINS0_13select_configILj256ELj13ELNS0_17block_load_methodE3ELS4_3ELS4_3ELNS0_20block_scan_algorithmE0ELj4294967295EEENS1_25partition_config_selectorILNS1_17partition_subalgoE3EjNS0_10empty_typeEbEEZZNS1_14partition_implILS8_3ELb0ES6_jNS0_17counting_iteratorIjlEEPS9_SE_NS0_5tupleIJPjSE_EEENSF_IJSE_SE_EEES9_SG_JZNS1_25segmented_radix_sort_implINS0_14default_configELb1EPKaPaPKlPlN2at6native12_GLOBAL__N_18offset_tEEE10hipError_tPvRmT1_PNSt15iterator_traitsISY_E10value_typeET2_T3_PNSZ_IS14_E10value_typeET4_jRbjT5_S1A_jjP12ihipStream_tbEUljE_EEESV_SW_SX_S14_S18_S1A_T6_T7_T9_mT8_S1C_bDpT10_ENKUlT_T0_E_clISt17integral_constantIbLb0EES1P_EEDaS1K_S1L_EUlS1K_E_NS1_11comp_targetILNS1_3genE2ELNS1_11target_archE906ELNS1_3gpuE6ELNS1_3repE0EEENS1_30default_config_static_selectorELNS0_4arch9wavefront6targetE0EEEvSY_: ; @_ZN7rocprim17ROCPRIM_400000_NS6detail17trampoline_kernelINS0_13select_configILj256ELj13ELNS0_17block_load_methodE3ELS4_3ELS4_3ELNS0_20block_scan_algorithmE0ELj4294967295EEENS1_25partition_config_selectorILNS1_17partition_subalgoE3EjNS0_10empty_typeEbEEZZNS1_14partition_implILS8_3ELb0ES6_jNS0_17counting_iteratorIjlEEPS9_SE_NS0_5tupleIJPjSE_EEENSF_IJSE_SE_EEES9_SG_JZNS1_25segmented_radix_sort_implINS0_14default_configELb1EPKaPaPKlPlN2at6native12_GLOBAL__N_18offset_tEEE10hipError_tPvRmT1_PNSt15iterator_traitsISY_E10value_typeET2_T3_PNSZ_IS14_E10value_typeET4_jRbjT5_S1A_jjP12ihipStream_tbEUljE_EEESV_SW_SX_S14_S18_S1A_T6_T7_T9_mT8_S1C_bDpT10_ENKUlT_T0_E_clISt17integral_constantIbLb0EES1P_EEDaS1K_S1L_EUlS1K_E_NS1_11comp_targetILNS1_3genE2ELNS1_11target_archE906ELNS1_3gpuE6ELNS1_3repE0EEENS1_30default_config_static_selectorELNS0_4arch9wavefront6targetE0EEEvSY_
; %bb.0:
	.section	.rodata,"a",@progbits
	.p2align	6, 0x0
	.amdhsa_kernel _ZN7rocprim17ROCPRIM_400000_NS6detail17trampoline_kernelINS0_13select_configILj256ELj13ELNS0_17block_load_methodE3ELS4_3ELS4_3ELNS0_20block_scan_algorithmE0ELj4294967295EEENS1_25partition_config_selectorILNS1_17partition_subalgoE3EjNS0_10empty_typeEbEEZZNS1_14partition_implILS8_3ELb0ES6_jNS0_17counting_iteratorIjlEEPS9_SE_NS0_5tupleIJPjSE_EEENSF_IJSE_SE_EEES9_SG_JZNS1_25segmented_radix_sort_implINS0_14default_configELb1EPKaPaPKlPlN2at6native12_GLOBAL__N_18offset_tEEE10hipError_tPvRmT1_PNSt15iterator_traitsISY_E10value_typeET2_T3_PNSZ_IS14_E10value_typeET4_jRbjT5_S1A_jjP12ihipStream_tbEUljE_EEESV_SW_SX_S14_S18_S1A_T6_T7_T9_mT8_S1C_bDpT10_ENKUlT_T0_E_clISt17integral_constantIbLb0EES1P_EEDaS1K_S1L_EUlS1K_E_NS1_11comp_targetILNS1_3genE2ELNS1_11target_archE906ELNS1_3gpuE6ELNS1_3repE0EEENS1_30default_config_static_selectorELNS0_4arch9wavefront6targetE0EEEvSY_
		.amdhsa_group_segment_fixed_size 0
		.amdhsa_private_segment_fixed_size 0
		.amdhsa_kernarg_size 144
		.amdhsa_user_sgpr_count 15
		.amdhsa_user_sgpr_dispatch_ptr 0
		.amdhsa_user_sgpr_queue_ptr 0
		.amdhsa_user_sgpr_kernarg_segment_ptr 1
		.amdhsa_user_sgpr_dispatch_id 0
		.amdhsa_user_sgpr_private_segment_size 0
		.amdhsa_wavefront_size32 1
		.amdhsa_uses_dynamic_stack 0
		.amdhsa_enable_private_segment 0
		.amdhsa_system_sgpr_workgroup_id_x 1
		.amdhsa_system_sgpr_workgroup_id_y 0
		.amdhsa_system_sgpr_workgroup_id_z 0
		.amdhsa_system_sgpr_workgroup_info 0
		.amdhsa_system_vgpr_workitem_id 0
		.amdhsa_next_free_vgpr 1
		.amdhsa_next_free_sgpr 1
		.amdhsa_reserve_vcc 0
		.amdhsa_float_round_mode_32 0
		.amdhsa_float_round_mode_16_64 0
		.amdhsa_float_denorm_mode_32 3
		.amdhsa_float_denorm_mode_16_64 3
		.amdhsa_dx10_clamp 1
		.amdhsa_ieee_mode 1
		.amdhsa_fp16_overflow 0
		.amdhsa_workgroup_processor_mode 1
		.amdhsa_memory_ordered 1
		.amdhsa_forward_progress 0
		.amdhsa_shared_vgpr_count 0
		.amdhsa_exception_fp_ieee_invalid_op 0
		.amdhsa_exception_fp_denorm_src 0
		.amdhsa_exception_fp_ieee_div_zero 0
		.amdhsa_exception_fp_ieee_overflow 0
		.amdhsa_exception_fp_ieee_underflow 0
		.amdhsa_exception_fp_ieee_inexact 0
		.amdhsa_exception_int_div_zero 0
	.end_amdhsa_kernel
	.section	.text._ZN7rocprim17ROCPRIM_400000_NS6detail17trampoline_kernelINS0_13select_configILj256ELj13ELNS0_17block_load_methodE3ELS4_3ELS4_3ELNS0_20block_scan_algorithmE0ELj4294967295EEENS1_25partition_config_selectorILNS1_17partition_subalgoE3EjNS0_10empty_typeEbEEZZNS1_14partition_implILS8_3ELb0ES6_jNS0_17counting_iteratorIjlEEPS9_SE_NS0_5tupleIJPjSE_EEENSF_IJSE_SE_EEES9_SG_JZNS1_25segmented_radix_sort_implINS0_14default_configELb1EPKaPaPKlPlN2at6native12_GLOBAL__N_18offset_tEEE10hipError_tPvRmT1_PNSt15iterator_traitsISY_E10value_typeET2_T3_PNSZ_IS14_E10value_typeET4_jRbjT5_S1A_jjP12ihipStream_tbEUljE_EEESV_SW_SX_S14_S18_S1A_T6_T7_T9_mT8_S1C_bDpT10_ENKUlT_T0_E_clISt17integral_constantIbLb0EES1P_EEDaS1K_S1L_EUlS1K_E_NS1_11comp_targetILNS1_3genE2ELNS1_11target_archE906ELNS1_3gpuE6ELNS1_3repE0EEENS1_30default_config_static_selectorELNS0_4arch9wavefront6targetE0EEEvSY_,"axG",@progbits,_ZN7rocprim17ROCPRIM_400000_NS6detail17trampoline_kernelINS0_13select_configILj256ELj13ELNS0_17block_load_methodE3ELS4_3ELS4_3ELNS0_20block_scan_algorithmE0ELj4294967295EEENS1_25partition_config_selectorILNS1_17partition_subalgoE3EjNS0_10empty_typeEbEEZZNS1_14partition_implILS8_3ELb0ES6_jNS0_17counting_iteratorIjlEEPS9_SE_NS0_5tupleIJPjSE_EEENSF_IJSE_SE_EEES9_SG_JZNS1_25segmented_radix_sort_implINS0_14default_configELb1EPKaPaPKlPlN2at6native12_GLOBAL__N_18offset_tEEE10hipError_tPvRmT1_PNSt15iterator_traitsISY_E10value_typeET2_T3_PNSZ_IS14_E10value_typeET4_jRbjT5_S1A_jjP12ihipStream_tbEUljE_EEESV_SW_SX_S14_S18_S1A_T6_T7_T9_mT8_S1C_bDpT10_ENKUlT_T0_E_clISt17integral_constantIbLb0EES1P_EEDaS1K_S1L_EUlS1K_E_NS1_11comp_targetILNS1_3genE2ELNS1_11target_archE906ELNS1_3gpuE6ELNS1_3repE0EEENS1_30default_config_static_selectorELNS0_4arch9wavefront6targetE0EEEvSY_,comdat
.Lfunc_end262:
	.size	_ZN7rocprim17ROCPRIM_400000_NS6detail17trampoline_kernelINS0_13select_configILj256ELj13ELNS0_17block_load_methodE3ELS4_3ELS4_3ELNS0_20block_scan_algorithmE0ELj4294967295EEENS1_25partition_config_selectorILNS1_17partition_subalgoE3EjNS0_10empty_typeEbEEZZNS1_14partition_implILS8_3ELb0ES6_jNS0_17counting_iteratorIjlEEPS9_SE_NS0_5tupleIJPjSE_EEENSF_IJSE_SE_EEES9_SG_JZNS1_25segmented_radix_sort_implINS0_14default_configELb1EPKaPaPKlPlN2at6native12_GLOBAL__N_18offset_tEEE10hipError_tPvRmT1_PNSt15iterator_traitsISY_E10value_typeET2_T3_PNSZ_IS14_E10value_typeET4_jRbjT5_S1A_jjP12ihipStream_tbEUljE_EEESV_SW_SX_S14_S18_S1A_T6_T7_T9_mT8_S1C_bDpT10_ENKUlT_T0_E_clISt17integral_constantIbLb0EES1P_EEDaS1K_S1L_EUlS1K_E_NS1_11comp_targetILNS1_3genE2ELNS1_11target_archE906ELNS1_3gpuE6ELNS1_3repE0EEENS1_30default_config_static_selectorELNS0_4arch9wavefront6targetE0EEEvSY_, .Lfunc_end262-_ZN7rocprim17ROCPRIM_400000_NS6detail17trampoline_kernelINS0_13select_configILj256ELj13ELNS0_17block_load_methodE3ELS4_3ELS4_3ELNS0_20block_scan_algorithmE0ELj4294967295EEENS1_25partition_config_selectorILNS1_17partition_subalgoE3EjNS0_10empty_typeEbEEZZNS1_14partition_implILS8_3ELb0ES6_jNS0_17counting_iteratorIjlEEPS9_SE_NS0_5tupleIJPjSE_EEENSF_IJSE_SE_EEES9_SG_JZNS1_25segmented_radix_sort_implINS0_14default_configELb1EPKaPaPKlPlN2at6native12_GLOBAL__N_18offset_tEEE10hipError_tPvRmT1_PNSt15iterator_traitsISY_E10value_typeET2_T3_PNSZ_IS14_E10value_typeET4_jRbjT5_S1A_jjP12ihipStream_tbEUljE_EEESV_SW_SX_S14_S18_S1A_T6_T7_T9_mT8_S1C_bDpT10_ENKUlT_T0_E_clISt17integral_constantIbLb0EES1P_EEDaS1K_S1L_EUlS1K_E_NS1_11comp_targetILNS1_3genE2ELNS1_11target_archE906ELNS1_3gpuE6ELNS1_3repE0EEENS1_30default_config_static_selectorELNS0_4arch9wavefront6targetE0EEEvSY_
                                        ; -- End function
	.section	.AMDGPU.csdata,"",@progbits
; Kernel info:
; codeLenInByte = 0
; NumSgprs: 0
; NumVgprs: 0
; ScratchSize: 0
; MemoryBound: 0
; FloatMode: 240
; IeeeMode: 1
; LDSByteSize: 0 bytes/workgroup (compile time only)
; SGPRBlocks: 0
; VGPRBlocks: 0
; NumSGPRsForWavesPerEU: 1
; NumVGPRsForWavesPerEU: 1
; Occupancy: 16
; WaveLimiterHint : 0
; COMPUTE_PGM_RSRC2:SCRATCH_EN: 0
; COMPUTE_PGM_RSRC2:USER_SGPR: 15
; COMPUTE_PGM_RSRC2:TRAP_HANDLER: 0
; COMPUTE_PGM_RSRC2:TGID_X_EN: 1
; COMPUTE_PGM_RSRC2:TGID_Y_EN: 0
; COMPUTE_PGM_RSRC2:TGID_Z_EN: 0
; COMPUTE_PGM_RSRC2:TIDIG_COMP_CNT: 0
	.section	.text._ZN7rocprim17ROCPRIM_400000_NS6detail17trampoline_kernelINS0_13select_configILj256ELj13ELNS0_17block_load_methodE3ELS4_3ELS4_3ELNS0_20block_scan_algorithmE0ELj4294967295EEENS1_25partition_config_selectorILNS1_17partition_subalgoE3EjNS0_10empty_typeEbEEZZNS1_14partition_implILS8_3ELb0ES6_jNS0_17counting_iteratorIjlEEPS9_SE_NS0_5tupleIJPjSE_EEENSF_IJSE_SE_EEES9_SG_JZNS1_25segmented_radix_sort_implINS0_14default_configELb1EPKaPaPKlPlN2at6native12_GLOBAL__N_18offset_tEEE10hipError_tPvRmT1_PNSt15iterator_traitsISY_E10value_typeET2_T3_PNSZ_IS14_E10value_typeET4_jRbjT5_S1A_jjP12ihipStream_tbEUljE_EEESV_SW_SX_S14_S18_S1A_T6_T7_T9_mT8_S1C_bDpT10_ENKUlT_T0_E_clISt17integral_constantIbLb0EES1P_EEDaS1K_S1L_EUlS1K_E_NS1_11comp_targetILNS1_3genE10ELNS1_11target_archE1200ELNS1_3gpuE4ELNS1_3repE0EEENS1_30default_config_static_selectorELNS0_4arch9wavefront6targetE0EEEvSY_,"axG",@progbits,_ZN7rocprim17ROCPRIM_400000_NS6detail17trampoline_kernelINS0_13select_configILj256ELj13ELNS0_17block_load_methodE3ELS4_3ELS4_3ELNS0_20block_scan_algorithmE0ELj4294967295EEENS1_25partition_config_selectorILNS1_17partition_subalgoE3EjNS0_10empty_typeEbEEZZNS1_14partition_implILS8_3ELb0ES6_jNS0_17counting_iteratorIjlEEPS9_SE_NS0_5tupleIJPjSE_EEENSF_IJSE_SE_EEES9_SG_JZNS1_25segmented_radix_sort_implINS0_14default_configELb1EPKaPaPKlPlN2at6native12_GLOBAL__N_18offset_tEEE10hipError_tPvRmT1_PNSt15iterator_traitsISY_E10value_typeET2_T3_PNSZ_IS14_E10value_typeET4_jRbjT5_S1A_jjP12ihipStream_tbEUljE_EEESV_SW_SX_S14_S18_S1A_T6_T7_T9_mT8_S1C_bDpT10_ENKUlT_T0_E_clISt17integral_constantIbLb0EES1P_EEDaS1K_S1L_EUlS1K_E_NS1_11comp_targetILNS1_3genE10ELNS1_11target_archE1200ELNS1_3gpuE4ELNS1_3repE0EEENS1_30default_config_static_selectorELNS0_4arch9wavefront6targetE0EEEvSY_,comdat
	.globl	_ZN7rocprim17ROCPRIM_400000_NS6detail17trampoline_kernelINS0_13select_configILj256ELj13ELNS0_17block_load_methodE3ELS4_3ELS4_3ELNS0_20block_scan_algorithmE0ELj4294967295EEENS1_25partition_config_selectorILNS1_17partition_subalgoE3EjNS0_10empty_typeEbEEZZNS1_14partition_implILS8_3ELb0ES6_jNS0_17counting_iteratorIjlEEPS9_SE_NS0_5tupleIJPjSE_EEENSF_IJSE_SE_EEES9_SG_JZNS1_25segmented_radix_sort_implINS0_14default_configELb1EPKaPaPKlPlN2at6native12_GLOBAL__N_18offset_tEEE10hipError_tPvRmT1_PNSt15iterator_traitsISY_E10value_typeET2_T3_PNSZ_IS14_E10value_typeET4_jRbjT5_S1A_jjP12ihipStream_tbEUljE_EEESV_SW_SX_S14_S18_S1A_T6_T7_T9_mT8_S1C_bDpT10_ENKUlT_T0_E_clISt17integral_constantIbLb0EES1P_EEDaS1K_S1L_EUlS1K_E_NS1_11comp_targetILNS1_3genE10ELNS1_11target_archE1200ELNS1_3gpuE4ELNS1_3repE0EEENS1_30default_config_static_selectorELNS0_4arch9wavefront6targetE0EEEvSY_ ; -- Begin function _ZN7rocprim17ROCPRIM_400000_NS6detail17trampoline_kernelINS0_13select_configILj256ELj13ELNS0_17block_load_methodE3ELS4_3ELS4_3ELNS0_20block_scan_algorithmE0ELj4294967295EEENS1_25partition_config_selectorILNS1_17partition_subalgoE3EjNS0_10empty_typeEbEEZZNS1_14partition_implILS8_3ELb0ES6_jNS0_17counting_iteratorIjlEEPS9_SE_NS0_5tupleIJPjSE_EEENSF_IJSE_SE_EEES9_SG_JZNS1_25segmented_radix_sort_implINS0_14default_configELb1EPKaPaPKlPlN2at6native12_GLOBAL__N_18offset_tEEE10hipError_tPvRmT1_PNSt15iterator_traitsISY_E10value_typeET2_T3_PNSZ_IS14_E10value_typeET4_jRbjT5_S1A_jjP12ihipStream_tbEUljE_EEESV_SW_SX_S14_S18_S1A_T6_T7_T9_mT8_S1C_bDpT10_ENKUlT_T0_E_clISt17integral_constantIbLb0EES1P_EEDaS1K_S1L_EUlS1K_E_NS1_11comp_targetILNS1_3genE10ELNS1_11target_archE1200ELNS1_3gpuE4ELNS1_3repE0EEENS1_30default_config_static_selectorELNS0_4arch9wavefront6targetE0EEEvSY_
	.p2align	8
	.type	_ZN7rocprim17ROCPRIM_400000_NS6detail17trampoline_kernelINS0_13select_configILj256ELj13ELNS0_17block_load_methodE3ELS4_3ELS4_3ELNS0_20block_scan_algorithmE0ELj4294967295EEENS1_25partition_config_selectorILNS1_17partition_subalgoE3EjNS0_10empty_typeEbEEZZNS1_14partition_implILS8_3ELb0ES6_jNS0_17counting_iteratorIjlEEPS9_SE_NS0_5tupleIJPjSE_EEENSF_IJSE_SE_EEES9_SG_JZNS1_25segmented_radix_sort_implINS0_14default_configELb1EPKaPaPKlPlN2at6native12_GLOBAL__N_18offset_tEEE10hipError_tPvRmT1_PNSt15iterator_traitsISY_E10value_typeET2_T3_PNSZ_IS14_E10value_typeET4_jRbjT5_S1A_jjP12ihipStream_tbEUljE_EEESV_SW_SX_S14_S18_S1A_T6_T7_T9_mT8_S1C_bDpT10_ENKUlT_T0_E_clISt17integral_constantIbLb0EES1P_EEDaS1K_S1L_EUlS1K_E_NS1_11comp_targetILNS1_3genE10ELNS1_11target_archE1200ELNS1_3gpuE4ELNS1_3repE0EEENS1_30default_config_static_selectorELNS0_4arch9wavefront6targetE0EEEvSY_,@function
_ZN7rocprim17ROCPRIM_400000_NS6detail17trampoline_kernelINS0_13select_configILj256ELj13ELNS0_17block_load_methodE3ELS4_3ELS4_3ELNS0_20block_scan_algorithmE0ELj4294967295EEENS1_25partition_config_selectorILNS1_17partition_subalgoE3EjNS0_10empty_typeEbEEZZNS1_14partition_implILS8_3ELb0ES6_jNS0_17counting_iteratorIjlEEPS9_SE_NS0_5tupleIJPjSE_EEENSF_IJSE_SE_EEES9_SG_JZNS1_25segmented_radix_sort_implINS0_14default_configELb1EPKaPaPKlPlN2at6native12_GLOBAL__N_18offset_tEEE10hipError_tPvRmT1_PNSt15iterator_traitsISY_E10value_typeET2_T3_PNSZ_IS14_E10value_typeET4_jRbjT5_S1A_jjP12ihipStream_tbEUljE_EEESV_SW_SX_S14_S18_S1A_T6_T7_T9_mT8_S1C_bDpT10_ENKUlT_T0_E_clISt17integral_constantIbLb0EES1P_EEDaS1K_S1L_EUlS1K_E_NS1_11comp_targetILNS1_3genE10ELNS1_11target_archE1200ELNS1_3gpuE4ELNS1_3repE0EEENS1_30default_config_static_selectorELNS0_4arch9wavefront6targetE0EEEvSY_: ; @_ZN7rocprim17ROCPRIM_400000_NS6detail17trampoline_kernelINS0_13select_configILj256ELj13ELNS0_17block_load_methodE3ELS4_3ELS4_3ELNS0_20block_scan_algorithmE0ELj4294967295EEENS1_25partition_config_selectorILNS1_17partition_subalgoE3EjNS0_10empty_typeEbEEZZNS1_14partition_implILS8_3ELb0ES6_jNS0_17counting_iteratorIjlEEPS9_SE_NS0_5tupleIJPjSE_EEENSF_IJSE_SE_EEES9_SG_JZNS1_25segmented_radix_sort_implINS0_14default_configELb1EPKaPaPKlPlN2at6native12_GLOBAL__N_18offset_tEEE10hipError_tPvRmT1_PNSt15iterator_traitsISY_E10value_typeET2_T3_PNSZ_IS14_E10value_typeET4_jRbjT5_S1A_jjP12ihipStream_tbEUljE_EEESV_SW_SX_S14_S18_S1A_T6_T7_T9_mT8_S1C_bDpT10_ENKUlT_T0_E_clISt17integral_constantIbLb0EES1P_EEDaS1K_S1L_EUlS1K_E_NS1_11comp_targetILNS1_3genE10ELNS1_11target_archE1200ELNS1_3gpuE4ELNS1_3repE0EEENS1_30default_config_static_selectorELNS0_4arch9wavefront6targetE0EEEvSY_
; %bb.0:
	.section	.rodata,"a",@progbits
	.p2align	6, 0x0
	.amdhsa_kernel _ZN7rocprim17ROCPRIM_400000_NS6detail17trampoline_kernelINS0_13select_configILj256ELj13ELNS0_17block_load_methodE3ELS4_3ELS4_3ELNS0_20block_scan_algorithmE0ELj4294967295EEENS1_25partition_config_selectorILNS1_17partition_subalgoE3EjNS0_10empty_typeEbEEZZNS1_14partition_implILS8_3ELb0ES6_jNS0_17counting_iteratorIjlEEPS9_SE_NS0_5tupleIJPjSE_EEENSF_IJSE_SE_EEES9_SG_JZNS1_25segmented_radix_sort_implINS0_14default_configELb1EPKaPaPKlPlN2at6native12_GLOBAL__N_18offset_tEEE10hipError_tPvRmT1_PNSt15iterator_traitsISY_E10value_typeET2_T3_PNSZ_IS14_E10value_typeET4_jRbjT5_S1A_jjP12ihipStream_tbEUljE_EEESV_SW_SX_S14_S18_S1A_T6_T7_T9_mT8_S1C_bDpT10_ENKUlT_T0_E_clISt17integral_constantIbLb0EES1P_EEDaS1K_S1L_EUlS1K_E_NS1_11comp_targetILNS1_3genE10ELNS1_11target_archE1200ELNS1_3gpuE4ELNS1_3repE0EEENS1_30default_config_static_selectorELNS0_4arch9wavefront6targetE0EEEvSY_
		.amdhsa_group_segment_fixed_size 0
		.amdhsa_private_segment_fixed_size 0
		.amdhsa_kernarg_size 144
		.amdhsa_user_sgpr_count 15
		.amdhsa_user_sgpr_dispatch_ptr 0
		.amdhsa_user_sgpr_queue_ptr 0
		.amdhsa_user_sgpr_kernarg_segment_ptr 1
		.amdhsa_user_sgpr_dispatch_id 0
		.amdhsa_user_sgpr_private_segment_size 0
		.amdhsa_wavefront_size32 1
		.amdhsa_uses_dynamic_stack 0
		.amdhsa_enable_private_segment 0
		.amdhsa_system_sgpr_workgroup_id_x 1
		.amdhsa_system_sgpr_workgroup_id_y 0
		.amdhsa_system_sgpr_workgroup_id_z 0
		.amdhsa_system_sgpr_workgroup_info 0
		.amdhsa_system_vgpr_workitem_id 0
		.amdhsa_next_free_vgpr 1
		.amdhsa_next_free_sgpr 1
		.amdhsa_reserve_vcc 0
		.amdhsa_float_round_mode_32 0
		.amdhsa_float_round_mode_16_64 0
		.amdhsa_float_denorm_mode_32 3
		.amdhsa_float_denorm_mode_16_64 3
		.amdhsa_dx10_clamp 1
		.amdhsa_ieee_mode 1
		.amdhsa_fp16_overflow 0
		.amdhsa_workgroup_processor_mode 1
		.amdhsa_memory_ordered 1
		.amdhsa_forward_progress 0
		.amdhsa_shared_vgpr_count 0
		.amdhsa_exception_fp_ieee_invalid_op 0
		.amdhsa_exception_fp_denorm_src 0
		.amdhsa_exception_fp_ieee_div_zero 0
		.amdhsa_exception_fp_ieee_overflow 0
		.amdhsa_exception_fp_ieee_underflow 0
		.amdhsa_exception_fp_ieee_inexact 0
		.amdhsa_exception_int_div_zero 0
	.end_amdhsa_kernel
	.section	.text._ZN7rocprim17ROCPRIM_400000_NS6detail17trampoline_kernelINS0_13select_configILj256ELj13ELNS0_17block_load_methodE3ELS4_3ELS4_3ELNS0_20block_scan_algorithmE0ELj4294967295EEENS1_25partition_config_selectorILNS1_17partition_subalgoE3EjNS0_10empty_typeEbEEZZNS1_14partition_implILS8_3ELb0ES6_jNS0_17counting_iteratorIjlEEPS9_SE_NS0_5tupleIJPjSE_EEENSF_IJSE_SE_EEES9_SG_JZNS1_25segmented_radix_sort_implINS0_14default_configELb1EPKaPaPKlPlN2at6native12_GLOBAL__N_18offset_tEEE10hipError_tPvRmT1_PNSt15iterator_traitsISY_E10value_typeET2_T3_PNSZ_IS14_E10value_typeET4_jRbjT5_S1A_jjP12ihipStream_tbEUljE_EEESV_SW_SX_S14_S18_S1A_T6_T7_T9_mT8_S1C_bDpT10_ENKUlT_T0_E_clISt17integral_constantIbLb0EES1P_EEDaS1K_S1L_EUlS1K_E_NS1_11comp_targetILNS1_3genE10ELNS1_11target_archE1200ELNS1_3gpuE4ELNS1_3repE0EEENS1_30default_config_static_selectorELNS0_4arch9wavefront6targetE0EEEvSY_,"axG",@progbits,_ZN7rocprim17ROCPRIM_400000_NS6detail17trampoline_kernelINS0_13select_configILj256ELj13ELNS0_17block_load_methodE3ELS4_3ELS4_3ELNS0_20block_scan_algorithmE0ELj4294967295EEENS1_25partition_config_selectorILNS1_17partition_subalgoE3EjNS0_10empty_typeEbEEZZNS1_14partition_implILS8_3ELb0ES6_jNS0_17counting_iteratorIjlEEPS9_SE_NS0_5tupleIJPjSE_EEENSF_IJSE_SE_EEES9_SG_JZNS1_25segmented_radix_sort_implINS0_14default_configELb1EPKaPaPKlPlN2at6native12_GLOBAL__N_18offset_tEEE10hipError_tPvRmT1_PNSt15iterator_traitsISY_E10value_typeET2_T3_PNSZ_IS14_E10value_typeET4_jRbjT5_S1A_jjP12ihipStream_tbEUljE_EEESV_SW_SX_S14_S18_S1A_T6_T7_T9_mT8_S1C_bDpT10_ENKUlT_T0_E_clISt17integral_constantIbLb0EES1P_EEDaS1K_S1L_EUlS1K_E_NS1_11comp_targetILNS1_3genE10ELNS1_11target_archE1200ELNS1_3gpuE4ELNS1_3repE0EEENS1_30default_config_static_selectorELNS0_4arch9wavefront6targetE0EEEvSY_,comdat
.Lfunc_end263:
	.size	_ZN7rocprim17ROCPRIM_400000_NS6detail17trampoline_kernelINS0_13select_configILj256ELj13ELNS0_17block_load_methodE3ELS4_3ELS4_3ELNS0_20block_scan_algorithmE0ELj4294967295EEENS1_25partition_config_selectorILNS1_17partition_subalgoE3EjNS0_10empty_typeEbEEZZNS1_14partition_implILS8_3ELb0ES6_jNS0_17counting_iteratorIjlEEPS9_SE_NS0_5tupleIJPjSE_EEENSF_IJSE_SE_EEES9_SG_JZNS1_25segmented_radix_sort_implINS0_14default_configELb1EPKaPaPKlPlN2at6native12_GLOBAL__N_18offset_tEEE10hipError_tPvRmT1_PNSt15iterator_traitsISY_E10value_typeET2_T3_PNSZ_IS14_E10value_typeET4_jRbjT5_S1A_jjP12ihipStream_tbEUljE_EEESV_SW_SX_S14_S18_S1A_T6_T7_T9_mT8_S1C_bDpT10_ENKUlT_T0_E_clISt17integral_constantIbLb0EES1P_EEDaS1K_S1L_EUlS1K_E_NS1_11comp_targetILNS1_3genE10ELNS1_11target_archE1200ELNS1_3gpuE4ELNS1_3repE0EEENS1_30default_config_static_selectorELNS0_4arch9wavefront6targetE0EEEvSY_, .Lfunc_end263-_ZN7rocprim17ROCPRIM_400000_NS6detail17trampoline_kernelINS0_13select_configILj256ELj13ELNS0_17block_load_methodE3ELS4_3ELS4_3ELNS0_20block_scan_algorithmE0ELj4294967295EEENS1_25partition_config_selectorILNS1_17partition_subalgoE3EjNS0_10empty_typeEbEEZZNS1_14partition_implILS8_3ELb0ES6_jNS0_17counting_iteratorIjlEEPS9_SE_NS0_5tupleIJPjSE_EEENSF_IJSE_SE_EEES9_SG_JZNS1_25segmented_radix_sort_implINS0_14default_configELb1EPKaPaPKlPlN2at6native12_GLOBAL__N_18offset_tEEE10hipError_tPvRmT1_PNSt15iterator_traitsISY_E10value_typeET2_T3_PNSZ_IS14_E10value_typeET4_jRbjT5_S1A_jjP12ihipStream_tbEUljE_EEESV_SW_SX_S14_S18_S1A_T6_T7_T9_mT8_S1C_bDpT10_ENKUlT_T0_E_clISt17integral_constantIbLb0EES1P_EEDaS1K_S1L_EUlS1K_E_NS1_11comp_targetILNS1_3genE10ELNS1_11target_archE1200ELNS1_3gpuE4ELNS1_3repE0EEENS1_30default_config_static_selectorELNS0_4arch9wavefront6targetE0EEEvSY_
                                        ; -- End function
	.section	.AMDGPU.csdata,"",@progbits
; Kernel info:
; codeLenInByte = 0
; NumSgprs: 0
; NumVgprs: 0
; ScratchSize: 0
; MemoryBound: 0
; FloatMode: 240
; IeeeMode: 1
; LDSByteSize: 0 bytes/workgroup (compile time only)
; SGPRBlocks: 0
; VGPRBlocks: 0
; NumSGPRsForWavesPerEU: 1
; NumVGPRsForWavesPerEU: 1
; Occupancy: 16
; WaveLimiterHint : 0
; COMPUTE_PGM_RSRC2:SCRATCH_EN: 0
; COMPUTE_PGM_RSRC2:USER_SGPR: 15
; COMPUTE_PGM_RSRC2:TRAP_HANDLER: 0
; COMPUTE_PGM_RSRC2:TGID_X_EN: 1
; COMPUTE_PGM_RSRC2:TGID_Y_EN: 0
; COMPUTE_PGM_RSRC2:TGID_Z_EN: 0
; COMPUTE_PGM_RSRC2:TIDIG_COMP_CNT: 0
	.section	.text._ZN7rocprim17ROCPRIM_400000_NS6detail17trampoline_kernelINS0_13select_configILj256ELj13ELNS0_17block_load_methodE3ELS4_3ELS4_3ELNS0_20block_scan_algorithmE0ELj4294967295EEENS1_25partition_config_selectorILNS1_17partition_subalgoE3EjNS0_10empty_typeEbEEZZNS1_14partition_implILS8_3ELb0ES6_jNS0_17counting_iteratorIjlEEPS9_SE_NS0_5tupleIJPjSE_EEENSF_IJSE_SE_EEES9_SG_JZNS1_25segmented_radix_sort_implINS0_14default_configELb1EPKaPaPKlPlN2at6native12_GLOBAL__N_18offset_tEEE10hipError_tPvRmT1_PNSt15iterator_traitsISY_E10value_typeET2_T3_PNSZ_IS14_E10value_typeET4_jRbjT5_S1A_jjP12ihipStream_tbEUljE_EEESV_SW_SX_S14_S18_S1A_T6_T7_T9_mT8_S1C_bDpT10_ENKUlT_T0_E_clISt17integral_constantIbLb0EES1P_EEDaS1K_S1L_EUlS1K_E_NS1_11comp_targetILNS1_3genE9ELNS1_11target_archE1100ELNS1_3gpuE3ELNS1_3repE0EEENS1_30default_config_static_selectorELNS0_4arch9wavefront6targetE0EEEvSY_,"axG",@progbits,_ZN7rocprim17ROCPRIM_400000_NS6detail17trampoline_kernelINS0_13select_configILj256ELj13ELNS0_17block_load_methodE3ELS4_3ELS4_3ELNS0_20block_scan_algorithmE0ELj4294967295EEENS1_25partition_config_selectorILNS1_17partition_subalgoE3EjNS0_10empty_typeEbEEZZNS1_14partition_implILS8_3ELb0ES6_jNS0_17counting_iteratorIjlEEPS9_SE_NS0_5tupleIJPjSE_EEENSF_IJSE_SE_EEES9_SG_JZNS1_25segmented_radix_sort_implINS0_14default_configELb1EPKaPaPKlPlN2at6native12_GLOBAL__N_18offset_tEEE10hipError_tPvRmT1_PNSt15iterator_traitsISY_E10value_typeET2_T3_PNSZ_IS14_E10value_typeET4_jRbjT5_S1A_jjP12ihipStream_tbEUljE_EEESV_SW_SX_S14_S18_S1A_T6_T7_T9_mT8_S1C_bDpT10_ENKUlT_T0_E_clISt17integral_constantIbLb0EES1P_EEDaS1K_S1L_EUlS1K_E_NS1_11comp_targetILNS1_3genE9ELNS1_11target_archE1100ELNS1_3gpuE3ELNS1_3repE0EEENS1_30default_config_static_selectorELNS0_4arch9wavefront6targetE0EEEvSY_,comdat
	.globl	_ZN7rocprim17ROCPRIM_400000_NS6detail17trampoline_kernelINS0_13select_configILj256ELj13ELNS0_17block_load_methodE3ELS4_3ELS4_3ELNS0_20block_scan_algorithmE0ELj4294967295EEENS1_25partition_config_selectorILNS1_17partition_subalgoE3EjNS0_10empty_typeEbEEZZNS1_14partition_implILS8_3ELb0ES6_jNS0_17counting_iteratorIjlEEPS9_SE_NS0_5tupleIJPjSE_EEENSF_IJSE_SE_EEES9_SG_JZNS1_25segmented_radix_sort_implINS0_14default_configELb1EPKaPaPKlPlN2at6native12_GLOBAL__N_18offset_tEEE10hipError_tPvRmT1_PNSt15iterator_traitsISY_E10value_typeET2_T3_PNSZ_IS14_E10value_typeET4_jRbjT5_S1A_jjP12ihipStream_tbEUljE_EEESV_SW_SX_S14_S18_S1A_T6_T7_T9_mT8_S1C_bDpT10_ENKUlT_T0_E_clISt17integral_constantIbLb0EES1P_EEDaS1K_S1L_EUlS1K_E_NS1_11comp_targetILNS1_3genE9ELNS1_11target_archE1100ELNS1_3gpuE3ELNS1_3repE0EEENS1_30default_config_static_selectorELNS0_4arch9wavefront6targetE0EEEvSY_ ; -- Begin function _ZN7rocprim17ROCPRIM_400000_NS6detail17trampoline_kernelINS0_13select_configILj256ELj13ELNS0_17block_load_methodE3ELS4_3ELS4_3ELNS0_20block_scan_algorithmE0ELj4294967295EEENS1_25partition_config_selectorILNS1_17partition_subalgoE3EjNS0_10empty_typeEbEEZZNS1_14partition_implILS8_3ELb0ES6_jNS0_17counting_iteratorIjlEEPS9_SE_NS0_5tupleIJPjSE_EEENSF_IJSE_SE_EEES9_SG_JZNS1_25segmented_radix_sort_implINS0_14default_configELb1EPKaPaPKlPlN2at6native12_GLOBAL__N_18offset_tEEE10hipError_tPvRmT1_PNSt15iterator_traitsISY_E10value_typeET2_T3_PNSZ_IS14_E10value_typeET4_jRbjT5_S1A_jjP12ihipStream_tbEUljE_EEESV_SW_SX_S14_S18_S1A_T6_T7_T9_mT8_S1C_bDpT10_ENKUlT_T0_E_clISt17integral_constantIbLb0EES1P_EEDaS1K_S1L_EUlS1K_E_NS1_11comp_targetILNS1_3genE9ELNS1_11target_archE1100ELNS1_3gpuE3ELNS1_3repE0EEENS1_30default_config_static_selectorELNS0_4arch9wavefront6targetE0EEEvSY_
	.p2align	8
	.type	_ZN7rocprim17ROCPRIM_400000_NS6detail17trampoline_kernelINS0_13select_configILj256ELj13ELNS0_17block_load_methodE3ELS4_3ELS4_3ELNS0_20block_scan_algorithmE0ELj4294967295EEENS1_25partition_config_selectorILNS1_17partition_subalgoE3EjNS0_10empty_typeEbEEZZNS1_14partition_implILS8_3ELb0ES6_jNS0_17counting_iteratorIjlEEPS9_SE_NS0_5tupleIJPjSE_EEENSF_IJSE_SE_EEES9_SG_JZNS1_25segmented_radix_sort_implINS0_14default_configELb1EPKaPaPKlPlN2at6native12_GLOBAL__N_18offset_tEEE10hipError_tPvRmT1_PNSt15iterator_traitsISY_E10value_typeET2_T3_PNSZ_IS14_E10value_typeET4_jRbjT5_S1A_jjP12ihipStream_tbEUljE_EEESV_SW_SX_S14_S18_S1A_T6_T7_T9_mT8_S1C_bDpT10_ENKUlT_T0_E_clISt17integral_constantIbLb0EES1P_EEDaS1K_S1L_EUlS1K_E_NS1_11comp_targetILNS1_3genE9ELNS1_11target_archE1100ELNS1_3gpuE3ELNS1_3repE0EEENS1_30default_config_static_selectorELNS0_4arch9wavefront6targetE0EEEvSY_,@function
_ZN7rocprim17ROCPRIM_400000_NS6detail17trampoline_kernelINS0_13select_configILj256ELj13ELNS0_17block_load_methodE3ELS4_3ELS4_3ELNS0_20block_scan_algorithmE0ELj4294967295EEENS1_25partition_config_selectorILNS1_17partition_subalgoE3EjNS0_10empty_typeEbEEZZNS1_14partition_implILS8_3ELb0ES6_jNS0_17counting_iteratorIjlEEPS9_SE_NS0_5tupleIJPjSE_EEENSF_IJSE_SE_EEES9_SG_JZNS1_25segmented_radix_sort_implINS0_14default_configELb1EPKaPaPKlPlN2at6native12_GLOBAL__N_18offset_tEEE10hipError_tPvRmT1_PNSt15iterator_traitsISY_E10value_typeET2_T3_PNSZ_IS14_E10value_typeET4_jRbjT5_S1A_jjP12ihipStream_tbEUljE_EEESV_SW_SX_S14_S18_S1A_T6_T7_T9_mT8_S1C_bDpT10_ENKUlT_T0_E_clISt17integral_constantIbLb0EES1P_EEDaS1K_S1L_EUlS1K_E_NS1_11comp_targetILNS1_3genE9ELNS1_11target_archE1100ELNS1_3gpuE3ELNS1_3repE0EEENS1_30default_config_static_selectorELNS0_4arch9wavefront6targetE0EEEvSY_: ; @_ZN7rocprim17ROCPRIM_400000_NS6detail17trampoline_kernelINS0_13select_configILj256ELj13ELNS0_17block_load_methodE3ELS4_3ELS4_3ELNS0_20block_scan_algorithmE0ELj4294967295EEENS1_25partition_config_selectorILNS1_17partition_subalgoE3EjNS0_10empty_typeEbEEZZNS1_14partition_implILS8_3ELb0ES6_jNS0_17counting_iteratorIjlEEPS9_SE_NS0_5tupleIJPjSE_EEENSF_IJSE_SE_EEES9_SG_JZNS1_25segmented_radix_sort_implINS0_14default_configELb1EPKaPaPKlPlN2at6native12_GLOBAL__N_18offset_tEEE10hipError_tPvRmT1_PNSt15iterator_traitsISY_E10value_typeET2_T3_PNSZ_IS14_E10value_typeET4_jRbjT5_S1A_jjP12ihipStream_tbEUljE_EEESV_SW_SX_S14_S18_S1A_T6_T7_T9_mT8_S1C_bDpT10_ENKUlT_T0_E_clISt17integral_constantIbLb0EES1P_EEDaS1K_S1L_EUlS1K_E_NS1_11comp_targetILNS1_3genE9ELNS1_11target_archE1100ELNS1_3gpuE3ELNS1_3repE0EEENS1_30default_config_static_selectorELNS0_4arch9wavefront6targetE0EEEvSY_
; %bb.0:
	s_clause 0x5
	s_load_b32 s2, s[0:1], 0x70
	s_load_b64 s[16:17], s[0:1], 0x10
	s_load_b64 s[12:13], s[0:1], 0x58
	s_load_b32 s18, s[0:1], 0x8
	s_load_b128 s[8:11], s[0:1], 0x48
	s_load_b128 s[4:7], s[0:1], 0x78
	s_mul_i32 s23, s15, 0xd00
	v_lshlrev_b32_e32 v30, 2, v0
	s_waitcnt lgkmcnt(0)
	s_mul_i32 s20, s2, 0xd00
	s_add_i32 s19, s2, -1
	s_add_u32 s2, s16, s20
	s_addc_u32 s3, s17, 0
	s_cmp_eq_u32 s15, s19
	v_cmp_lt_u64_e64 s3, s[2:3], s[12:13]
	s_cselect_b32 s14, -1, 0
	s_cmp_lg_u32 s15, s19
	s_cselect_b32 s21, -1, 0
	s_add_i32 s2, s18, s23
	s_delay_alu instid0(VALU_DEP_1)
	s_or_b32 s3, s21, s3
	s_add_i32 s18, s2, s16
	s_load_b32 s2, s[0:1], 0x88
	v_add_nc_u32_e32 v1, s18, v0
	s_load_b64 s[18:19], s[10:11], 0x0
	s_and_b32 vcc_lo, exec_lo, s3
	s_mov_b32 s10, -1
	s_delay_alu instid0(VALU_DEP_1)
	v_add_nc_u32_e32 v2, 0x100, v1
	v_add_nc_u32_e32 v3, 0x200, v1
	;; [unrolled: 1-line block ×12, first 2 shown]
	s_cbranch_vccz .LBB264_2
; %bb.1:
	ds_store_2addr_stride64_b32 v30, v1, v2 offset1:4
	ds_store_2addr_stride64_b32 v30, v3, v4 offset0:8 offset1:12
	ds_store_2addr_stride64_b32 v30, v5, v6 offset0:16 offset1:20
	;; [unrolled: 1-line block ×5, first 2 shown]
	ds_store_b32 v30, v13 offset:12288
	s_waitcnt lgkmcnt(0)
	s_mov_b32 s10, 0
	s_barrier
.LBB264_2:
	s_and_not1_b32 vcc_lo, exec_lo, s10
	s_add_i32 s20, s20, s16
	s_cbranch_vccnz .LBB264_4
; %bb.3:
	ds_store_2addr_stride64_b32 v30, v1, v2 offset1:4
	ds_store_2addr_stride64_b32 v30, v3, v4 offset0:8 offset1:12
	ds_store_2addr_stride64_b32 v30, v5, v6 offset0:16 offset1:20
	;; [unrolled: 1-line block ×5, first 2 shown]
	ds_store_b32 v30, v13 offset:12288
	s_waitcnt lgkmcnt(0)
	s_barrier
.LBB264_4:
	v_mul_u32_u24_e32 v33, 13, v0
	s_waitcnt lgkmcnt(0)
	buffer_gl0_inv
	v_cndmask_b32_e64 v31, 0, 1, s3
	s_sub_i32 s22, s12, s20
	s_and_not1_b32 vcc_lo, exec_lo, s3
	v_lshlrev_b32_e32 v1, 2, v33
	ds_load_2addr_b32 v[28:29], v1 offset1:1
	ds_load_2addr_b32 v[26:27], v1 offset0:2 offset1:3
	ds_load_2addr_b32 v[24:25], v1 offset0:4 offset1:5
	;; [unrolled: 1-line block ×5, first 2 shown]
	ds_load_b32 v32, v1 offset:48
	s_waitcnt lgkmcnt(0)
	s_barrier
	buffer_gl0_inv
	s_cbranch_vccnz .LBB264_6
; %bb.5:
	v_add_nc_u32_e32 v1, s5, v28
	v_add_nc_u32_e32 v2, s7, v28
	;; [unrolled: 1-line block ×5, first 2 shown]
	v_mul_lo_u32 v1, v1, s4
	v_mul_lo_u32 v2, v2, s6
	v_mul_lo_u32 v3, v3, s4
	v_mul_lo_u32 v4, v4, s6
	v_add_nc_u32_e32 v6, s7, v26
	v_add_nc_u32_e32 v7, s5, v27
	;; [unrolled: 1-line block ×3, first 2 shown]
	v_mul_lo_u32 v5, v5, s4
	v_add_nc_u32_e32 v9, s5, v22
	v_sub_nc_u32_e32 v1, v1, v2
	v_mul_lo_u32 v2, v6, s6
	v_sub_nc_u32_e32 v3, v3, v4
	v_mul_lo_u32 v4, v7, s4
	v_mul_lo_u32 v6, v8, s6
	v_add_nc_u32_e32 v7, s5, v24
	v_cmp_lt_u32_e32 vcc_lo, s2, v1
	v_add_nc_u32_e32 v8, s5, v25
	v_add_nc_u32_e32 v10, s7, v22
	v_sub_nc_u32_e32 v2, v5, v2
	v_add_nc_u32_e32 v5, s7, v24
	v_cndmask_b32_e64 v1, 0, 1, vcc_lo
	v_sub_nc_u32_e32 v4, v4, v6
	v_mul_lo_u32 v6, v7, s4
	v_add_nc_u32_e32 v7, s7, v25
	v_cmp_lt_u32_e32 vcc_lo, s2, v3
	v_mul_lo_u32 v5, v5, s6
	v_mul_lo_u32 v8, v8, s4
	;; [unrolled: 1-line block ×4, first 2 shown]
	v_cndmask_b32_e64 v3, 0, 1, vcc_lo
	v_cmp_lt_u32_e32 vcc_lo, s2, v2
	v_mul_lo_u32 v10, v10, s6
	v_add_nc_u32_e32 v11, s5, v20
	v_sub_nc_u32_e32 v5, v6, v5
	v_add_nc_u32_e32 v12, s7, v20
	v_cndmask_b32_e64 v2, 0, 1, vcc_lo
	v_sub_nc_u32_e32 v6, v8, v7
	v_add_nc_u32_e32 v7, s5, v23
	v_add_nc_u32_e32 v8, s7, v23
	v_cmp_lt_u32_e32 vcc_lo, s2, v4
	v_sub_nc_u32_e32 v9, v9, v10
	v_mul_lo_u32 v10, v11, s4
	v_mul_lo_u32 v7, v7, s4
	;; [unrolled: 1-line block ×4, first 2 shown]
	v_cndmask_b32_e64 v4, 0, 1, vcc_lo
	v_cmp_lt_u32_e32 vcc_lo, s2, v5
	v_add_nc_u32_e32 v12, s5, v21
	v_add_nc_u32_e32 v13, s7, v18
	v_add_nc_u32_e32 v14, s5, v19
	v_add_nc_u32_e32 v15, s7, v19
	v_cndmask_b32_e64 v5, 0, 1, vcc_lo
	v_cmp_lt_u32_e32 vcc_lo, s2, v6
	v_sub_nc_u32_e32 v7, v7, v8
	v_sub_nc_u32_e32 v8, v10, v11
	v_add_nc_u32_e32 v11, s7, v21
	v_mul_lo_u32 v10, v12, s4
	v_cndmask_b32_e64 v6, 0, 1, vcc_lo
	v_cmp_lt_u32_e32 vcc_lo, s2, v9
	v_add_nc_u32_e32 v12, s5, v18
	v_mul_lo_u32 v11, v11, s6
	v_mul_lo_u32 v13, v13, s6
	;; [unrolled: 1-line block ×3, first 2 shown]
	v_cndmask_b32_e64 v9, 0, 1, vcc_lo
	v_cmp_lt_u32_e32 vcc_lo, s2, v7
	v_mul_lo_u32 v12, v12, s4
	v_mul_lo_u32 v15, v15, s6
	v_lshlrev_b16 v3, 8, v3
	v_sub_nc_u32_e32 v10, v10, v11
	v_cndmask_b32_e64 v7, 0, 1, vcc_lo
	v_cmp_lt_u32_e32 vcc_lo, s2, v8
	v_add_nc_u32_e32 v11, s5, v32
	v_or_b32_e32 v1, v1, v3
	v_sub_nc_u32_e32 v12, v12, v13
	v_sub_nc_u32_e32 v13, v14, v15
	v_cndmask_b32_e64 v8, 0, 1, vcc_lo
	v_cmp_lt_u32_e32 vcc_lo, s2, v10
	v_add_nc_u32_e32 v16, s7, v32
	v_mul_lo_u32 v11, v11, s4
	v_lshlrev_b16 v4, 8, v4
	v_lshlrev_b16 v6, 8, v6
	v_cndmask_b32_e64 v10, 0, 1, vcc_lo
	v_cmp_lt_u32_e32 vcc_lo, s2, v12
	v_mul_lo_u32 v14, v16, s6
	v_lshlrev_b16 v7, 8, v7
	v_or_b32_e32 v2, v2, v4
	v_lshlrev_b16 v10, 8, v10
	v_cndmask_b32_e64 v3, 0, 1, vcc_lo
	v_cmp_lt_u32_e32 vcc_lo, s2, v13
	v_or_b32_e32 v4, v5, v6
	v_or_b32_e32 v5, v9, v7
	v_sub_nc_u32_e32 v11, v11, v14
	v_or_b32_e32 v6, v8, v10
	v_cndmask_b32_e64 v12, 0, 1, vcc_lo
	v_and_b32_e32 v1, 0xffff, v1
	v_lshlrev_b32_e32 v2, 16, v2
	v_and_b32_e32 v4, 0xffff, v4
	v_lshlrev_b32_e32 v5, 16, v5
	v_lshlrev_b16 v12, 8, v12
	v_and_b32_e32 v6, 0xffff, v6
	v_cmp_lt_u32_e32 vcc_lo, s2, v11
	v_or_b32_e32 v39, v1, v2
	v_or_b32_e32 v37, v4, v5
	;; [unrolled: 1-line block ×3, first 2 shown]
	s_mov_b32 s3, 0
	v_cndmask_b32_e64 v34, 0, 1, vcc_lo
	s_delay_alu instid0(VALU_DEP_2) | instskip(NEXT) | instid1(VALU_DEP_1)
	v_lshlrev_b32_e32 v3, 16, v3
	v_or_b32_e32 v35, v6, v3
	s_branch .LBB264_7
.LBB264_6:
	s_mov_b32 s3, -1
                                        ; implicit-def: $vgpr34
                                        ; implicit-def: $vgpr35
                                        ; implicit-def: $vgpr37
                                        ; implicit-def: $vgpr39
.LBB264_7:
	s_clause 0x1
	s_load_b64 s[10:11], s[0:1], 0x28
	s_load_b64 s[20:21], s[0:1], 0x68
	s_and_not1_b32 vcc_lo, exec_lo, s3
	s_addk_i32 s22, 0xd00
	s_cbranch_vccnz .LBB264_35
; %bb.8:
	v_dual_mov_b32 v2, 0 :: v_dual_mov_b32 v1, 0
	s_mov_b32 s0, exec_lo
	v_cmpx_gt_u32_e64 s22, v33
; %bb.9:
	v_add_nc_u32_e32 v1, s5, v28
	v_add_nc_u32_e32 v3, s7, v28
	s_delay_alu instid0(VALU_DEP_2) | instskip(NEXT) | instid1(VALU_DEP_2)
	v_mul_lo_u32 v1, v1, s4
	v_mul_lo_u32 v3, v3, s6
	s_delay_alu instid0(VALU_DEP_1) | instskip(NEXT) | instid1(VALU_DEP_1)
	v_sub_nc_u32_e32 v1, v1, v3
	v_cmp_lt_u32_e32 vcc_lo, s2, v1
	v_cndmask_b32_e64 v1, 0, 1, vcc_lo
; %bb.10:
	s_or_b32 exec_lo, exec_lo, s0
	v_add_nc_u32_e32 v3, 1, v33
	s_mov_b32 s0, exec_lo
	s_delay_alu instid0(VALU_DEP_1)
	v_cmpx_gt_u32_e64 s22, v3
; %bb.11:
	v_add_nc_u32_e32 v2, s5, v29
	v_add_nc_u32_e32 v3, s7, v29
	s_delay_alu instid0(VALU_DEP_2) | instskip(NEXT) | instid1(VALU_DEP_2)
	v_mul_lo_u32 v2, v2, s4
	v_mul_lo_u32 v3, v3, s6
	s_delay_alu instid0(VALU_DEP_1) | instskip(NEXT) | instid1(VALU_DEP_1)
	v_sub_nc_u32_e32 v2, v2, v3
	v_cmp_lt_u32_e32 vcc_lo, s2, v2
	v_cndmask_b32_e64 v2, 0, 1, vcc_lo
; %bb.12:
	s_or_b32 exec_lo, exec_lo, s0
	v_dual_mov_b32 v4, 0 :: v_dual_add_nc_u32 v3, 2, v33
	s_delay_alu instid0(VALU_DEP_1)
	v_cmp_gt_u32_e32 vcc_lo, s22, v3
	v_mov_b32_e32 v3, 0
	s_and_saveexec_b32 s0, vcc_lo
; %bb.13:
	v_add_nc_u32_e32 v3, s5, v26
	v_add_nc_u32_e32 v5, s7, v26
	s_delay_alu instid0(VALU_DEP_2) | instskip(NEXT) | instid1(VALU_DEP_2)
	v_mul_lo_u32 v3, v3, s4
	v_mul_lo_u32 v5, v5, s6
	s_delay_alu instid0(VALU_DEP_1) | instskip(NEXT) | instid1(VALU_DEP_1)
	v_sub_nc_u32_e32 v3, v3, v5
	v_cmp_lt_u32_e32 vcc_lo, s2, v3
	v_cndmask_b32_e64 v3, 0, 1, vcc_lo
; %bb.14:
	s_or_b32 exec_lo, exec_lo, s0
	v_add_nc_u32_e32 v5, 3, v33
	s_mov_b32 s0, exec_lo
	s_delay_alu instid0(VALU_DEP_1)
	v_cmpx_gt_u32_e64 s22, v5
; %bb.15:
	v_add_nc_u32_e32 v4, s5, v27
	v_add_nc_u32_e32 v5, s7, v27
	s_delay_alu instid0(VALU_DEP_2) | instskip(NEXT) | instid1(VALU_DEP_2)
	v_mul_lo_u32 v4, v4, s4
	v_mul_lo_u32 v5, v5, s6
	s_delay_alu instid0(VALU_DEP_1) | instskip(NEXT) | instid1(VALU_DEP_1)
	v_sub_nc_u32_e32 v4, v4, v5
	v_cmp_lt_u32_e32 vcc_lo, s2, v4
	v_cndmask_b32_e64 v4, 0, 1, vcc_lo
; %bb.16:
	s_or_b32 exec_lo, exec_lo, s0
	v_dual_mov_b32 v6, 0 :: v_dual_add_nc_u32 v5, 4, v33
	s_delay_alu instid0(VALU_DEP_1)
	v_cmp_gt_u32_e32 vcc_lo, s22, v5
	v_mov_b32_e32 v5, 0
	s_and_saveexec_b32 s0, vcc_lo
	;; [unrolled: 33-line block ×5, first 2 shown]
; %bb.29:
	v_add_nc_u32_e32 v11, s5, v18
	v_add_nc_u32_e32 v13, s7, v18
	s_delay_alu instid0(VALU_DEP_2) | instskip(NEXT) | instid1(VALU_DEP_2)
	v_mul_lo_u32 v11, v11, s4
	v_mul_lo_u32 v13, v13, s6
	s_delay_alu instid0(VALU_DEP_1) | instskip(NEXT) | instid1(VALU_DEP_1)
	v_sub_nc_u32_e32 v11, v11, v13
	v_cmp_lt_u32_e32 vcc_lo, s2, v11
	v_cndmask_b32_e64 v11, 0, 1, vcc_lo
; %bb.30:
	s_or_b32 exec_lo, exec_lo, s0
	v_add_nc_u32_e32 v13, 11, v33
	s_mov_b32 s0, exec_lo
	s_delay_alu instid0(VALU_DEP_1)
	v_cmpx_gt_u32_e64 s22, v13
; %bb.31:
	v_add_nc_u32_e32 v12, s5, v19
	v_add_nc_u32_e32 v13, s7, v19
	s_delay_alu instid0(VALU_DEP_2) | instskip(NEXT) | instid1(VALU_DEP_2)
	v_mul_lo_u32 v12, v12, s4
	v_mul_lo_u32 v13, v13, s6
	s_delay_alu instid0(VALU_DEP_1) | instskip(NEXT) | instid1(VALU_DEP_1)
	v_sub_nc_u32_e32 v12, v12, v13
	v_cmp_lt_u32_e32 vcc_lo, s2, v12
	v_cndmask_b32_e64 v12, 0, 1, vcc_lo
; %bb.32:
	s_or_b32 exec_lo, exec_lo, s0
	v_dual_mov_b32 v34, 0 :: v_dual_add_nc_u32 v13, 12, v33
	s_mov_b32 s0, exec_lo
	s_delay_alu instid0(VALU_DEP_1)
	v_cmpx_gt_u32_e64 s22, v13
; %bb.33:
	v_add_nc_u32_e32 v13, s5, v32
	v_add_nc_u32_e32 v14, s7, v32
	s_delay_alu instid0(VALU_DEP_2) | instskip(NEXT) | instid1(VALU_DEP_2)
	v_mul_lo_u32 v13, v13, s4
	v_mul_lo_u32 v14, v14, s6
	s_delay_alu instid0(VALU_DEP_1) | instskip(NEXT) | instid1(VALU_DEP_1)
	v_sub_nc_u32_e32 v13, v13, v14
	v_cmp_lt_u32_e32 vcc_lo, s2, v13
	v_cndmask_b32_e64 v34, 0, 1, vcc_lo
; %bb.34:
	s_or_b32 exec_lo, exec_lo, s0
	v_lshlrev_b16 v2, 8, v2
	v_lshlrev_b16 v4, 8, v4
	;; [unrolled: 1-line block ×5, first 2 shown]
	v_or_b32_e32 v1, v1, v2
	v_lshlrev_b16 v2, 8, v12
	v_or_b32_e32 v3, v3, v4
	v_or_b32_e32 v4, v5, v6
	;; [unrolled: 1-line block ×5, first 2 shown]
	v_and_b32_e32 v1, 0xffff, v1
	v_lshlrev_b32_e32 v3, 16, v3
	v_and_b32_e32 v4, 0xffff, v4
	v_lshlrev_b32_e32 v5, 16, v5
	;; [unrolled: 2-line block ×3, first 2 shown]
	v_or_b32_e32 v39, v1, v3
	s_delay_alu instid0(VALU_DEP_4) | instskip(NEXT) | instid1(VALU_DEP_3)
	v_or_b32_e32 v37, v4, v5
	v_or_b32_e32 v35, v6, v2
.LBB264_35:
	s_delay_alu instid0(VALU_DEP_3)
	v_and_b32_e32 v41, 0xff, v39
	v_bfe_u32 v42, v39, 8, 8
	v_bfe_u32 v43, v39, 16, 8
	v_lshrrev_b32_e32 v40, 24, v39
	v_and_b32_e32 v44, 0xff, v37
	v_bfe_u32 v45, v37, 8, 8
	v_bfe_u32 v46, v37, 16, 8
	v_add3_u32 v1, v42, v41, v43
	v_lshrrev_b32_e32 v38, 24, v37
	v_and_b32_e32 v47, 0xff, v35
	v_bfe_u32 v48, v35, 8, 8
	v_mbcnt_lo_u32_b32 v50, -1, 0
	v_add3_u32 v1, v1, v40, v44
	v_bfe_u32 v49, v35, 16, 8
	v_lshrrev_b32_e32 v36, 24, v35
	v_and_b32_e32 v2, 0xff, v34
	v_and_b32_e32 v3, 15, v50
	v_add3_u32 v1, v1, v45, v46
	v_or_b32_e32 v4, 31, v0
	v_and_b32_e32 v5, 16, v50
	v_lshrrev_b32_e32 v51, 5, v0
	v_cmp_eq_u32_e64 s5, 0, v3
	v_add3_u32 v1, v1, v38, v47
	v_cmp_lt_u32_e64 s4, 1, v3
	v_cmp_lt_u32_e64 s3, 3, v3
	;; [unrolled: 1-line block ×3, first 2 shown]
	v_cmp_eq_u32_e64 s1, 0, v5
	v_add3_u32 v1, v1, v48, v49
	v_cmp_eq_u32_e64 s0, v4, v0
	s_cmp_lg_u32 s15, 0
	s_mov_b32 s6, -1
	s_delay_alu instid0(VALU_DEP_2)
	v_add3_u32 v52, v1, v36, v2
	s_cbranch_scc0 .LBB264_61
; %bb.36:
	s_delay_alu instid0(VALU_DEP_1) | instskip(NEXT) | instid1(VALU_DEP_1)
	v_mov_b32_dpp v1, v52 row_shr:1 row_mask:0xf bank_mask:0xf
	v_cndmask_b32_e64 v1, v1, 0, s5
	s_delay_alu instid0(VALU_DEP_1) | instskip(NEXT) | instid1(VALU_DEP_1)
	v_add_nc_u32_e32 v1, v1, v52
	v_mov_b32_dpp v2, v1 row_shr:2 row_mask:0xf bank_mask:0xf
	s_delay_alu instid0(VALU_DEP_1) | instskip(NEXT) | instid1(VALU_DEP_1)
	v_cndmask_b32_e64 v2, 0, v2, s4
	v_add_nc_u32_e32 v1, v1, v2
	s_delay_alu instid0(VALU_DEP_1) | instskip(NEXT) | instid1(VALU_DEP_1)
	v_mov_b32_dpp v2, v1 row_shr:4 row_mask:0xf bank_mask:0xf
	v_cndmask_b32_e64 v2, 0, v2, s3
	s_delay_alu instid0(VALU_DEP_1) | instskip(NEXT) | instid1(VALU_DEP_1)
	v_add_nc_u32_e32 v1, v1, v2
	v_mov_b32_dpp v2, v1 row_shr:8 row_mask:0xf bank_mask:0xf
	s_delay_alu instid0(VALU_DEP_1) | instskip(NEXT) | instid1(VALU_DEP_1)
	v_cndmask_b32_e64 v2, 0, v2, s2
	v_add_nc_u32_e32 v1, v1, v2
	ds_swizzle_b32 v2, v1 offset:swizzle(BROADCAST,32,15)
	s_waitcnt lgkmcnt(0)
	v_cndmask_b32_e64 v2, v2, 0, s1
	s_delay_alu instid0(VALU_DEP_1)
	v_add_nc_u32_e32 v1, v1, v2
	s_and_saveexec_b32 s6, s0
	s_cbranch_execz .LBB264_38
; %bb.37:
	v_lshlrev_b32_e32 v2, 2, v51
	ds_store_b32 v2, v1
.LBB264_38:
	s_or_b32 exec_lo, exec_lo, s6
	s_delay_alu instid0(SALU_CYCLE_1)
	s_mov_b32 s6, exec_lo
	s_waitcnt lgkmcnt(0)
	s_barrier
	buffer_gl0_inv
	v_cmpx_gt_u32_e32 8, v0
	s_cbranch_execz .LBB264_40
; %bb.39:
	ds_load_b32 v2, v30
	s_waitcnt lgkmcnt(0)
	v_mov_b32_dpp v4, v2 row_shr:1 row_mask:0xf bank_mask:0xf
	v_and_b32_e32 v3, 7, v50
	s_delay_alu instid0(VALU_DEP_1) | instskip(NEXT) | instid1(VALU_DEP_3)
	v_cmp_ne_u32_e32 vcc_lo, 0, v3
	v_cndmask_b32_e32 v4, 0, v4, vcc_lo
	v_cmp_lt_u32_e32 vcc_lo, 1, v3
	s_delay_alu instid0(VALU_DEP_2) | instskip(NEXT) | instid1(VALU_DEP_1)
	v_add_nc_u32_e32 v2, v4, v2
	v_mov_b32_dpp v4, v2 row_shr:2 row_mask:0xf bank_mask:0xf
	s_delay_alu instid0(VALU_DEP_1) | instskip(SKIP_1) | instid1(VALU_DEP_2)
	v_cndmask_b32_e32 v4, 0, v4, vcc_lo
	v_cmp_lt_u32_e32 vcc_lo, 3, v3
	v_add_nc_u32_e32 v2, v2, v4
	s_delay_alu instid0(VALU_DEP_1) | instskip(NEXT) | instid1(VALU_DEP_1)
	v_mov_b32_dpp v4, v2 row_shr:4 row_mask:0xf bank_mask:0xf
	v_cndmask_b32_e32 v3, 0, v4, vcc_lo
	s_delay_alu instid0(VALU_DEP_1)
	v_add_nc_u32_e32 v2, v2, v3
	ds_store_b32 v30, v2
.LBB264_40:
	s_or_b32 exec_lo, exec_lo, s6
	v_cmp_gt_u32_e32 vcc_lo, 32, v0
	s_mov_b32 s7, exec_lo
	s_waitcnt lgkmcnt(0)
	s_barrier
	buffer_gl0_inv
                                        ; implicit-def: $vgpr8
	v_cmpx_lt_u32_e32 31, v0
	s_cbranch_execz .LBB264_42
; %bb.41:
	v_lshl_add_u32 v2, v51, 2, -4
	ds_load_b32 v8, v2
	s_waitcnt lgkmcnt(0)
	v_add_nc_u32_e32 v1, v8, v1
.LBB264_42:
	s_or_b32 exec_lo, exec_lo, s7
	v_add_nc_u32_e32 v2, -1, v50
	s_delay_alu instid0(VALU_DEP_1) | instskip(NEXT) | instid1(VALU_DEP_1)
	v_cmp_gt_i32_e64 s6, 0, v2
	v_cndmask_b32_e64 v2, v2, v50, s6
	v_cmp_eq_u32_e64 s6, 0, v50
	s_delay_alu instid0(VALU_DEP_2)
	v_lshlrev_b32_e32 v2, 2, v2
	ds_bpermute_b32 v9, v2, v1
	s_and_saveexec_b32 s7, vcc_lo
	s_cbranch_execz .LBB264_60
; %bb.43:
	v_mov_b32_e32 v4, 0
	ds_load_b32 v1, v4 offset:28
	s_and_saveexec_b32 s24, s6
	s_cbranch_execz .LBB264_45
; %bb.44:
	s_add_i32 s26, s15, 32
	s_mov_b32 s27, 0
	v_mov_b32_e32 v2, 1
	s_lshl_b64 s[26:27], s[26:27], 3
	s_delay_alu instid0(SALU_CYCLE_1)
	s_add_u32 s26, s20, s26
	s_addc_u32 s27, s21, s27
	s_waitcnt lgkmcnt(0)
	global_store_b64 v4, v[1:2], s[26:27]
.LBB264_45:
	s_or_b32 exec_lo, exec_lo, s24
	v_xad_u32 v2, v50, -1, s15
	s_mov_b32 s25, 0
	s_mov_b32 s24, exec_lo
	s_delay_alu instid0(VALU_DEP_1) | instskip(NEXT) | instid1(VALU_DEP_1)
	v_add_nc_u32_e32 v3, 32, v2
	v_lshlrev_b64 v[3:4], 3, v[3:4]
	s_delay_alu instid0(VALU_DEP_1) | instskip(NEXT) | instid1(VALU_DEP_2)
	v_add_co_u32 v6, vcc_lo, s20, v3
	v_add_co_ci_u32_e32 v7, vcc_lo, s21, v4, vcc_lo
	global_load_b64 v[4:5], v[6:7], off glc
	s_waitcnt vmcnt(0)
	v_and_b32_e32 v3, 0xff, v5
	s_delay_alu instid0(VALU_DEP_1)
	v_cmpx_eq_u16_e32 0, v3
	s_cbranch_execz .LBB264_48
.LBB264_46:                             ; =>This Inner Loop Header: Depth=1
	global_load_b64 v[4:5], v[6:7], off glc
	s_waitcnt vmcnt(0)
	v_and_b32_e32 v3, 0xff, v5
	s_delay_alu instid0(VALU_DEP_1) | instskip(SKIP_1) | instid1(SALU_CYCLE_1)
	v_cmp_ne_u16_e32 vcc_lo, 0, v3
	s_or_b32 s25, vcc_lo, s25
	s_and_not1_b32 exec_lo, exec_lo, s25
	s_cbranch_execnz .LBB264_46
; %bb.47:
	s_or_b32 exec_lo, exec_lo, s25
.LBB264_48:
	s_delay_alu instid0(SALU_CYCLE_1)
	s_or_b32 exec_lo, exec_lo, s24
	v_cmp_ne_u32_e32 vcc_lo, 31, v50
	v_lshlrev_b32_e64 v11, v50, -1
	v_add_nc_u32_e32 v13, 2, v50
	v_add_nc_u32_e32 v16, 4, v50
	;; [unrolled: 1-line block ×3, first 2 shown]
	v_add_co_ci_u32_e32 v3, vcc_lo, 0, v50, vcc_lo
	v_add_nc_u32_e32 v55, 16, v50
	s_delay_alu instid0(VALU_DEP_2) | instskip(SKIP_2) | instid1(VALU_DEP_1)
	v_lshlrev_b32_e32 v10, 2, v3
	ds_bpermute_b32 v6, v10, v4
	v_and_b32_e32 v3, 0xff, v5
	v_cmp_eq_u16_e32 vcc_lo, 2, v3
	v_and_or_b32 v3, vcc_lo, v11, 0x80000000
	v_cmp_gt_u32_e32 vcc_lo, 30, v50
	s_delay_alu instid0(VALU_DEP_2) | instskip(SKIP_1) | instid1(VALU_DEP_2)
	v_ctz_i32_b32_e32 v3, v3
	v_cndmask_b32_e64 v7, 0, 1, vcc_lo
	v_cmp_lt_u32_e32 vcc_lo, v50, v3
	s_waitcnt lgkmcnt(0)
	s_delay_alu instid0(VALU_DEP_2) | instskip(NEXT) | instid1(VALU_DEP_1)
	v_dual_cndmask_b32 v6, 0, v6 :: v_dual_lshlrev_b32 v7, 1, v7
	v_add_lshl_u32 v12, v7, v50, 2
	v_cmp_gt_u32_e32 vcc_lo, 28, v50
	s_delay_alu instid0(VALU_DEP_3) | instskip(SKIP_4) | instid1(VALU_DEP_1)
	v_add_nc_u32_e32 v4, v6, v4
	v_cndmask_b32_e64 v7, 0, 1, vcc_lo
	v_cmp_le_u32_e32 vcc_lo, v13, v3
	ds_bpermute_b32 v6, v12, v4
	v_lshlrev_b32_e32 v7, 2, v7
	v_add_lshl_u32 v14, v7, v50, 2
	s_waitcnt lgkmcnt(0)
	v_cndmask_b32_e32 v6, 0, v6, vcc_lo
	v_cmp_gt_u32_e32 vcc_lo, 24, v50
	s_delay_alu instid0(VALU_DEP_2) | instskip(SKIP_4) | instid1(VALU_DEP_1)
	v_add_nc_u32_e32 v4, v4, v6
	v_cndmask_b32_e64 v7, 0, 1, vcc_lo
	v_cmp_le_u32_e32 vcc_lo, v16, v3
	ds_bpermute_b32 v6, v14, v4
	v_lshlrev_b32_e32 v7, 3, v7
	v_add_lshl_u32 v17, v7, v50, 2
	s_waitcnt lgkmcnt(0)
	v_cndmask_b32_e32 v6, 0, v6, vcc_lo
	v_cmp_gt_u32_e32 vcc_lo, 16, v50
	s_delay_alu instid0(VALU_DEP_2) | instskip(SKIP_4) | instid1(VALU_DEP_1)
	v_add_nc_u32_e32 v4, v4, v6
	v_cndmask_b32_e64 v7, 0, 1, vcc_lo
	v_cmp_le_u32_e32 vcc_lo, v53, v3
	ds_bpermute_b32 v6, v17, v4
	v_lshlrev_b32_e32 v7, 4, v7
	v_add_lshl_u32 v54, v7, v50, 2
	s_waitcnt lgkmcnt(0)
	v_cndmask_b32_e32 v6, 0, v6, vcc_lo
	v_cmp_le_u32_e32 vcc_lo, v55, v3
	s_delay_alu instid0(VALU_DEP_2) | instskip(SKIP_3) | instid1(VALU_DEP_1)
	v_add_nc_u32_e32 v4, v4, v6
	ds_bpermute_b32 v6, v54, v4
	s_waitcnt lgkmcnt(0)
	v_cndmask_b32_e32 v3, 0, v6, vcc_lo
	v_dual_mov_b32 v3, 0 :: v_dual_add_nc_u32 v4, v4, v3
	s_branch .LBB264_50
.LBB264_49:                             ;   in Loop: Header=BB264_50 Depth=1
	s_or_b32 exec_lo, exec_lo, s24
	ds_bpermute_b32 v7, v10, v4
	v_and_b32_e32 v6, 0xff, v5
	v_subrev_nc_u32_e32 v2, 32, v2
	s_delay_alu instid0(VALU_DEP_2) | instskip(SKIP_1) | instid1(VALU_DEP_1)
	v_cmp_eq_u16_e32 vcc_lo, 2, v6
	v_and_or_b32 v6, vcc_lo, v11, 0x80000000
	v_ctz_i32_b32_e32 v6, v6
	s_delay_alu instid0(VALU_DEP_1) | instskip(SKIP_3) | instid1(VALU_DEP_2)
	v_cmp_lt_u32_e32 vcc_lo, v50, v6
	s_waitcnt lgkmcnt(0)
	v_cndmask_b32_e32 v7, 0, v7, vcc_lo
	v_cmp_le_u32_e32 vcc_lo, v13, v6
	v_add_nc_u32_e32 v4, v7, v4
	ds_bpermute_b32 v7, v12, v4
	s_waitcnt lgkmcnt(0)
	v_cndmask_b32_e32 v7, 0, v7, vcc_lo
	v_cmp_le_u32_e32 vcc_lo, v16, v6
	s_delay_alu instid0(VALU_DEP_2) | instskip(SKIP_4) | instid1(VALU_DEP_2)
	v_add_nc_u32_e32 v4, v4, v7
	ds_bpermute_b32 v7, v14, v4
	s_waitcnt lgkmcnt(0)
	v_cndmask_b32_e32 v7, 0, v7, vcc_lo
	v_cmp_le_u32_e32 vcc_lo, v53, v6
	v_add_nc_u32_e32 v4, v4, v7
	ds_bpermute_b32 v7, v17, v4
	s_waitcnt lgkmcnt(0)
	v_cndmask_b32_e32 v7, 0, v7, vcc_lo
	v_cmp_le_u32_e32 vcc_lo, v55, v6
	s_delay_alu instid0(VALU_DEP_2) | instskip(SKIP_3) | instid1(VALU_DEP_1)
	v_add_nc_u32_e32 v4, v4, v7
	ds_bpermute_b32 v7, v54, v4
	s_waitcnt lgkmcnt(0)
	v_cndmask_b32_e32 v6, 0, v7, vcc_lo
	v_add3_u32 v4, v6, v15, v4
.LBB264_50:                             ; =>This Loop Header: Depth=1
                                        ;     Child Loop BB264_53 Depth 2
	v_and_b32_e32 v5, 0xff, v5
	s_delay_alu instid0(VALU_DEP_2) | instskip(NEXT) | instid1(VALU_DEP_2)
	v_mov_b32_e32 v15, v4
	v_cmp_ne_u16_e32 vcc_lo, 2, v5
	v_cndmask_b32_e64 v5, 0, 1, vcc_lo
	;;#ASMSTART
	;;#ASMEND
	s_delay_alu instid0(VALU_DEP_1)
	v_cmp_ne_u32_e32 vcc_lo, 0, v5
	s_cmp_lg_u32 vcc_lo, exec_lo
	s_cbranch_scc1 .LBB264_55
; %bb.51:                               ;   in Loop: Header=BB264_50 Depth=1
	v_lshlrev_b64 v[4:5], 3, v[2:3]
	s_mov_b32 s24, exec_lo
	s_delay_alu instid0(VALU_DEP_1) | instskip(NEXT) | instid1(VALU_DEP_2)
	v_add_co_u32 v6, vcc_lo, s20, v4
	v_add_co_ci_u32_e32 v7, vcc_lo, s21, v5, vcc_lo
	global_load_b64 v[4:5], v[6:7], off glc
	s_waitcnt vmcnt(0)
	v_and_b32_e32 v56, 0xff, v5
	s_delay_alu instid0(VALU_DEP_1)
	v_cmpx_eq_u16_e32 0, v56
	s_cbranch_execz .LBB264_49
; %bb.52:                               ;   in Loop: Header=BB264_50 Depth=1
	s_mov_b32 s25, 0
.LBB264_53:                             ;   Parent Loop BB264_50 Depth=1
                                        ; =>  This Inner Loop Header: Depth=2
	global_load_b64 v[4:5], v[6:7], off glc
	s_waitcnt vmcnt(0)
	v_and_b32_e32 v56, 0xff, v5
	s_delay_alu instid0(VALU_DEP_1) | instskip(SKIP_1) | instid1(SALU_CYCLE_1)
	v_cmp_ne_u16_e32 vcc_lo, 0, v56
	s_or_b32 s25, vcc_lo, s25
	s_and_not1_b32 exec_lo, exec_lo, s25
	s_cbranch_execnz .LBB264_53
; %bb.54:                               ;   in Loop: Header=BB264_50 Depth=1
	s_or_b32 exec_lo, exec_lo, s25
	s_branch .LBB264_49
.LBB264_55:                             ;   in Loop: Header=BB264_50 Depth=1
                                        ; implicit-def: $vgpr4
                                        ; implicit-def: $vgpr5
	s_cbranch_execz .LBB264_50
; %bb.56:
	s_and_saveexec_b32 s24, s6
	s_cbranch_execz .LBB264_58
; %bb.57:
	s_add_i32 s26, s15, 32
	s_mov_b32 s27, 0
	v_dual_mov_b32 v3, 2 :: v_dual_add_nc_u32 v2, v15, v1
	s_lshl_b64 s[26:27], s[26:27], 3
	v_mov_b32_e32 v4, 0
	v_add_nc_u32_e64 v5, 0x3400, 0
	s_add_u32 s26, s20, s26
	s_addc_u32 s27, s21, s27
	global_store_b64 v4, v[2:3], s[26:27]
	ds_store_2addr_b32 v5, v1, v15 offset1:2
.LBB264_58:
	s_or_b32 exec_lo, exec_lo, s24
	v_cmp_eq_u32_e32 vcc_lo, 0, v0
	s_and_b32 exec_lo, exec_lo, vcc_lo
	s_cbranch_execz .LBB264_60
; %bb.59:
	v_mov_b32_e32 v1, 0
	ds_store_b32 v1, v15 offset:28
.LBB264_60:
	s_or_b32 exec_lo, exec_lo, s7
	s_waitcnt lgkmcnt(0)
	v_cndmask_b32_e64 v2, v9, v8, s6
	v_cmp_ne_u32_e32 vcc_lo, 0, v0
	v_mov_b32_e32 v1, 0
	s_waitcnt_vscnt null, 0x0
	s_barrier
	buffer_gl0_inv
	v_cndmask_b32_e32 v2, 0, v2, vcc_lo
	ds_load_b32 v1, v1 offset:28
	v_add_nc_u32_e64 v11, 0x3400, 0
	s_waitcnt lgkmcnt(0)
	s_barrier
	buffer_gl0_inv
	ds_load_2addr_b32 v[16:17], v11 offset1:2
	v_add_nc_u32_e32 v1, v1, v2
	s_delay_alu instid0(VALU_DEP_1) | instskip(NEXT) | instid1(VALU_DEP_1)
	v_add_nc_u32_e32 v2, v1, v41
	v_add_nc_u32_e32 v3, v2, v42
	s_delay_alu instid0(VALU_DEP_1) | instskip(NEXT) | instid1(VALU_DEP_1)
	v_add_nc_u32_e32 v4, v3, v43
	v_add_nc_u32_e32 v5, v4, v40
	s_delay_alu instid0(VALU_DEP_1) | instskip(NEXT) | instid1(VALU_DEP_1)
	v_add_nc_u32_e32 v6, v5, v44
	v_add_nc_u32_e32 v7, v6, v45
	s_delay_alu instid0(VALU_DEP_1) | instskip(NEXT) | instid1(VALU_DEP_1)
	v_add_nc_u32_e32 v8, v7, v46
	v_add_nc_u32_e32 v9, v8, v38
	s_delay_alu instid0(VALU_DEP_1) | instskip(NEXT) | instid1(VALU_DEP_1)
	v_add_nc_u32_e32 v10, v9, v47
	v_add_nc_u32_e32 v11, v10, v48
	s_delay_alu instid0(VALU_DEP_1) | instskip(NEXT) | instid1(VALU_DEP_1)
	v_add_nc_u32_e32 v12, v11, v49
	v_add_nc_u32_e32 v13, v12, v36
	s_branch .LBB264_71
.LBB264_61:
                                        ; implicit-def: $vgpr17
                                        ; implicit-def: $vgpr1_vgpr2_vgpr3_vgpr4_vgpr5_vgpr6_vgpr7_vgpr8_vgpr9_vgpr10_vgpr11_vgpr12_vgpr13_vgpr14_vgpr15_vgpr16
	s_and_b32 vcc_lo, exec_lo, s6
	s_cbranch_vccz .LBB264_71
; %bb.62:
	s_delay_alu instid0(VALU_DEP_1) | instskip(NEXT) | instid1(VALU_DEP_1)
	v_mov_b32_dpp v1, v52 row_shr:1 row_mask:0xf bank_mask:0xf
	v_cndmask_b32_e64 v1, v1, 0, s5
	s_delay_alu instid0(VALU_DEP_1) | instskip(NEXT) | instid1(VALU_DEP_1)
	v_add_nc_u32_e32 v1, v1, v52
	v_mov_b32_dpp v2, v1 row_shr:2 row_mask:0xf bank_mask:0xf
	s_delay_alu instid0(VALU_DEP_1) | instskip(NEXT) | instid1(VALU_DEP_1)
	v_cndmask_b32_e64 v2, 0, v2, s4
	v_add_nc_u32_e32 v1, v1, v2
	s_delay_alu instid0(VALU_DEP_1) | instskip(NEXT) | instid1(VALU_DEP_1)
	v_mov_b32_dpp v2, v1 row_shr:4 row_mask:0xf bank_mask:0xf
	v_cndmask_b32_e64 v2, 0, v2, s3
	s_delay_alu instid0(VALU_DEP_1) | instskip(NEXT) | instid1(VALU_DEP_1)
	v_add_nc_u32_e32 v1, v1, v2
	v_mov_b32_dpp v2, v1 row_shr:8 row_mask:0xf bank_mask:0xf
	s_delay_alu instid0(VALU_DEP_1) | instskip(NEXT) | instid1(VALU_DEP_1)
	v_cndmask_b32_e64 v2, 0, v2, s2
	v_add_nc_u32_e32 v1, v1, v2
	ds_swizzle_b32 v2, v1 offset:swizzle(BROADCAST,32,15)
	s_waitcnt lgkmcnt(0)
	v_cndmask_b32_e64 v2, v2, 0, s1
	s_delay_alu instid0(VALU_DEP_1)
	v_add_nc_u32_e32 v1, v1, v2
	s_and_saveexec_b32 s1, s0
	s_cbranch_execz .LBB264_64
; %bb.63:
	v_lshlrev_b32_e32 v2, 2, v51
	ds_store_b32 v2, v1
.LBB264_64:
	s_or_b32 exec_lo, exec_lo, s1
	s_delay_alu instid0(SALU_CYCLE_1)
	s_mov_b32 s0, exec_lo
	s_waitcnt lgkmcnt(0)
	s_barrier
	buffer_gl0_inv
	v_cmpx_gt_u32_e32 8, v0
	s_cbranch_execz .LBB264_66
; %bb.65:
	ds_load_b32 v2, v30
	s_waitcnt lgkmcnt(0)
	v_mov_b32_dpp v4, v2 row_shr:1 row_mask:0xf bank_mask:0xf
	v_and_b32_e32 v3, 7, v50
	s_delay_alu instid0(VALU_DEP_1) | instskip(NEXT) | instid1(VALU_DEP_3)
	v_cmp_ne_u32_e32 vcc_lo, 0, v3
	v_cndmask_b32_e32 v4, 0, v4, vcc_lo
	v_cmp_lt_u32_e32 vcc_lo, 1, v3
	s_delay_alu instid0(VALU_DEP_2) | instskip(NEXT) | instid1(VALU_DEP_1)
	v_add_nc_u32_e32 v2, v4, v2
	v_mov_b32_dpp v4, v2 row_shr:2 row_mask:0xf bank_mask:0xf
	s_delay_alu instid0(VALU_DEP_1) | instskip(SKIP_1) | instid1(VALU_DEP_2)
	v_cndmask_b32_e32 v4, 0, v4, vcc_lo
	v_cmp_lt_u32_e32 vcc_lo, 3, v3
	v_add_nc_u32_e32 v2, v2, v4
	s_delay_alu instid0(VALU_DEP_1) | instskip(NEXT) | instid1(VALU_DEP_1)
	v_mov_b32_dpp v4, v2 row_shr:4 row_mask:0xf bank_mask:0xf
	v_cndmask_b32_e32 v3, 0, v4, vcc_lo
	s_delay_alu instid0(VALU_DEP_1)
	v_add_nc_u32_e32 v2, v2, v3
	ds_store_b32 v30, v2
.LBB264_66:
	s_or_b32 exec_lo, exec_lo, s0
	v_dual_mov_b32 v3, 0 :: v_dual_mov_b32 v2, 0
	s_mov_b32 s0, exec_lo
	s_waitcnt lgkmcnt(0)
	s_barrier
	buffer_gl0_inv
	v_cmpx_lt_u32_e32 31, v0
	s_cbranch_execz .LBB264_68
; %bb.67:
	v_lshl_add_u32 v2, v51, 2, -4
	ds_load_b32 v2, v2
.LBB264_68:
	s_or_b32 exec_lo, exec_lo, s0
	v_add_nc_u32_e32 v4, -1, v50
	ds_load_b32 v16, v3 offset:28
	s_waitcnt lgkmcnt(1)
	v_add_nc_u32_e32 v1, v2, v1
	v_cmp_gt_i32_e32 vcc_lo, 0, v4
	v_cndmask_b32_e32 v4, v4, v50, vcc_lo
	v_cmp_eq_u32_e32 vcc_lo, 0, v0
	s_delay_alu instid0(VALU_DEP_2)
	v_lshlrev_b32_e32 v4, 2, v4
	ds_bpermute_b32 v1, v4, v1
	s_and_saveexec_b32 s0, vcc_lo
	s_cbranch_execz .LBB264_70
; %bb.69:
	v_mov_b32_e32 v3, 0
	v_mov_b32_e32 v17, 2
	s_waitcnt lgkmcnt(1)
	global_store_b64 v3, v[16:17], s[20:21] offset:256
.LBB264_70:
	s_or_b32 exec_lo, exec_lo, s0
	v_cmp_eq_u32_e64 s0, 0, v50
	s_waitcnt lgkmcnt(0)
	s_waitcnt_vscnt null, 0x0
	s_barrier
	buffer_gl0_inv
	v_mov_b32_e32 v17, 0
	v_cndmask_b32_e64 v1, v1, v2, s0
	s_delay_alu instid0(VALU_DEP_1) | instskip(NEXT) | instid1(VALU_DEP_1)
	v_cndmask_b32_e64 v1, v1, 0, vcc_lo
	v_add_nc_u32_e32 v2, v1, v41
	s_delay_alu instid0(VALU_DEP_1) | instskip(NEXT) | instid1(VALU_DEP_1)
	v_add_nc_u32_e32 v3, v2, v42
	v_add_nc_u32_e32 v4, v3, v43
	s_delay_alu instid0(VALU_DEP_1) | instskip(NEXT) | instid1(VALU_DEP_1)
	v_add_nc_u32_e32 v5, v4, v40
	;; [unrolled: 3-line block ×5, first 2 shown]
	v_add_nc_u32_e32 v12, v11, v49
	s_delay_alu instid0(VALU_DEP_1)
	v_add_nc_u32_e32 v13, v12, v36
.LBB264_71:
	v_lshrrev_b32_e32 v44, 8, v39
	v_lshrrev_b32_e32 v43, 16, v39
	s_waitcnt lgkmcnt(0)
	v_sub_nc_u32_e32 v1, v1, v17
	v_and_b32_e32 v39, 1, v39
	v_sub_nc_u32_e32 v3, v3, v17
	v_add_nc_u32_e32 v33, v16, v33
	v_sub_nc_u32_e32 v2, v2, v17
	v_sub_nc_u32_e32 v4, v4, v17
	v_cmp_eq_u32_e32 vcc_lo, 1, v39
	v_and_b32_e32 v39, 1, v43
	v_sub_nc_u32_e32 v45, v33, v1
	v_and_b32_e32 v44, 1, v44
	v_sub_nc_u32_e32 v43, v33, v2
	v_lshrrev_b32_e32 v42, 8, v37
	v_lshrrev_b32_e32 v41, 16, v37
	v_cndmask_b32_e32 v1, v45, v1, vcc_lo
	v_sub_nc_u32_e32 v45, v33, v3
	v_add_nc_u32_e32 v43, 1, v43
	v_cmp_eq_u32_e32 vcc_lo, 1, v44
	v_and_b32_e32 v40, 1, v40
	v_lshlrev_b32_e32 v1, 2, v1
	v_add_nc_u32_e32 v45, 2, v45
	v_lshrrev_b32_e32 v15, 8, v35
	v_lshrrev_b32_e32 v14, 16, v35
	ds_store_b32 v1, v28
	v_cndmask_b32_e32 v1, v43, v2, vcc_lo
	v_cmp_eq_u32_e32 vcc_lo, 1, v39
	v_or_b32_e32 v28, 0x500, v0
	s_delay_alu instid0(VALU_DEP_3)
	v_dual_cndmask_b32 v2, v45, v3 :: v_dual_lshlrev_b32 v1, 2, v1
	v_sub_nc_u32_e32 v46, v33, v4
	v_cmp_eq_u32_e32 vcc_lo, 1, v40
	ds_store_b32 v1, v29
	v_lshlrev_b32_e32 v2, 2, v2
	v_add_nc_u32_e32 v46, 3, v46
	v_or_b32_e32 v29, 0x400, v0
	s_delay_alu instid0(VALU_DEP_2) | instskip(SKIP_2) | instid1(VALU_DEP_3)
	v_cndmask_b32_e32 v3, v46, v4, vcc_lo
	v_sub_nc_u32_e32 v4, v5, v17
	v_sub_nc_u32_e32 v5, v6, v17
	v_lshlrev_b32_e32 v3, 2, v3
	s_delay_alu instid0(VALU_DEP_3) | instskip(NEXT) | instid1(VALU_DEP_3)
	v_sub_nc_u32_e32 v1, v33, v4
	v_sub_nc_u32_e32 v6, v33, v5
	ds_store_b32 v2, v26
	ds_store_b32 v3, v27
	v_and_b32_e32 v2, 1, v37
	v_add_nc_u32_e32 v1, 4, v1
	v_add_nc_u32_e32 v3, 5, v6
	v_sub_nc_u32_e32 v6, v7, v17
	v_and_b32_e32 v7, 1, v42
	v_cmp_eq_u32_e32 vcc_lo, 1, v2
	v_sub_nc_u32_e32 v2, v8, v17
	v_and_b32_e32 v8, 1, v38
	v_or_b32_e32 v27, 0x600, v0
	v_or_b32_e32 v26, 0x700, v0
	v_cndmask_b32_e32 v1, v1, v4, vcc_lo
	v_sub_nc_u32_e32 v4, v33, v6
	v_cmp_eq_u32_e32 vcc_lo, 1, v7
	v_and_b32_e32 v7, 1, v41
	s_delay_alu instid0(VALU_DEP_4) | instskip(NEXT) | instid1(VALU_DEP_4)
	v_lshlrev_b32_e32 v1, 2, v1
	v_dual_cndmask_b32 v3, v3, v5 :: v_dual_add_nc_u32 v4, 6, v4
	v_sub_nc_u32_e32 v5, v33, v2
	s_delay_alu instid0(VALU_DEP_4) | instskip(SKIP_1) | instid1(VALU_DEP_4)
	v_cmp_eq_u32_e32 vcc_lo, 1, v7
	v_sub_nc_u32_e32 v7, v13, v17
	v_lshlrev_b32_e32 v3, 2, v3
	s_delay_alu instid0(VALU_DEP_4)
	v_dual_cndmask_b32 v4, v4, v6 :: v_dual_add_nc_u32 v5, 7, v5
	v_cmp_eq_u32_e32 vcc_lo, 1, v8
	v_sub_nc_u32_e32 v6, v9, v17
	ds_store_b32 v1, v24
	ds_store_b32 v3, v25
	v_or_b32_e32 v25, 0x800, v0
	v_dual_cndmask_b32 v2, v5, v2 :: v_dual_lshlrev_b32 v3, 2, v4
	v_and_b32_e32 v5, 1, v35
	v_sub_nc_u32_e32 v1, v33, v6
	v_sub_nc_u32_e32 v4, v10, v17
	v_and_b32_e32 v10, 1, v36
	v_or_b32_e32 v24, 0x900, v0
	v_cmp_eq_u32_e32 vcc_lo, 1, v5
	v_sub_nc_u32_e32 v5, v12, v17
	v_add_nc_u32_e32 v1, 8, v1
	s_delay_alu instid0(VALU_DEP_2) | instskip(NEXT) | instid1(VALU_DEP_2)
	v_sub_nc_u32_e32 v9, v33, v5
	v_dual_cndmask_b32 v1, v1, v6 :: v_dual_and_b32 v6, 1, v15
	v_add_co_u32 v15, s0, s18, v17
	s_delay_alu instid0(VALU_DEP_3)
	v_add_nc_u32_e32 v9, 11, v9
	v_lshlrev_b32_e32 v2, 2, v2
	ds_store_b32 v3, v22
	ds_store_b32 v2, v23
	v_sub_nc_u32_e32 v3, v11, v17
	v_sub_nc_u32_e32 v2, v33, v4
	v_cmp_eq_u32_e32 vcc_lo, 1, v6
	v_and_b32_e32 v11, 1, v34
	v_lshlrev_b32_e32 v1, 2, v1
	v_sub_nc_u32_e32 v8, v33, v3
	v_add_nc_u32_e32 v2, 9, v2
	v_add_co_ci_u32_e64 v17, null, s19, 0, s0
	s_add_u32 s0, s16, s23
	s_delay_alu instid0(VALU_DEP_3)
	v_add_nc_u32_e32 v6, 10, v8
	v_and_b32_e32 v8, 1, v14
	v_cndmask_b32_e32 v2, v2, v4, vcc_lo
	v_sub_nc_u32_e32 v4, v33, v7
	s_addc_u32 s1, s17, 0
	s_sub_u32 s0, s12, s0
	v_cmp_eq_u32_e32 vcc_lo, 1, v8
	v_lshlrev_b32_e32 v2, 2, v2
	v_add_nc_u32_e32 v4, 12, v4
	s_subb_u32 s1, s13, s1
	v_add_co_u32 v13, s0, s0, v16
	v_cndmask_b32_e32 v3, v6, v3, vcc_lo
	v_cmp_eq_u32_e32 vcc_lo, 1, v10
	v_add_co_ci_u32_e64 v14, null, s1, 0, s0
	v_or_b32_e32 v34, 0x100, v0
	s_delay_alu instid0(VALU_DEP_4)
	v_lshlrev_b32_e32 v3, 2, v3
	v_cndmask_b32_e32 v5, v9, v5, vcc_lo
	v_cmp_eq_u32_e32 vcc_lo, 1, v11
	v_or_b32_e32 v33, 0x200, v0
	v_or_b32_e32 v23, 0xa00, v0
	;; [unrolled: 1-line block ×3, first 2 shown]
	v_dual_cndmask_b32 v4, v4, v7 :: v_dual_lshlrev_b32 v5, 2, v5
	v_cmp_ne_u32_e32 vcc_lo, 1, v31
	s_delay_alu instid0(VALU_DEP_2)
	v_lshlrev_b32_e32 v4, 2, v4
	ds_store_b32 v1, v20
	ds_store_b32 v2, v21
	;; [unrolled: 1-line block ×5, first 2 shown]
	s_waitcnt lgkmcnt(0)
	s_barrier
	buffer_gl0_inv
	ds_load_2addr_stride64_b32 v[11:12], v30 offset1:4
	ds_load_2addr_stride64_b32 v[9:10], v30 offset0:8 offset1:12
	ds_load_2addr_stride64_b32 v[7:8], v30 offset0:16 offset1:20
	ds_load_2addr_stride64_b32 v[5:6], v30 offset0:24 offset1:28
	ds_load_2addr_stride64_b32 v[3:4], v30 offset0:32 offset1:36
	ds_load_2addr_stride64_b32 v[1:2], v30 offset0:40 offset1:44
	ds_load_b32 v18, v30 offset:12288
	v_add_co_u32 v20, s0, v13, v15
	v_or_b32_e32 v32, 0x300, v0
	v_or_b32_e32 v19, 0xc00, v0
	v_add_co_ci_u32_e64 v21, s0, v14, v17, s0
	s_mov_b32 s0, 0
	s_cbranch_vccnz .LBB264_125
; %bb.72:
	s_mov_b32 s0, exec_lo
                                        ; implicit-def: $vgpr13_vgpr14
	v_cmpx_ge_u32_e64 v0, v16
	s_xor_b32 s0, exec_lo, s0
; %bb.73:
	v_not_b32_e32 v13, v0
	s_delay_alu instid0(VALU_DEP_1) | instskip(SKIP_1) | instid1(VALU_DEP_2)
	v_ashrrev_i32_e32 v14, 31, v13
	v_add_co_u32 v13, vcc_lo, v20, v13
	v_add_co_ci_u32_e32 v14, vcc_lo, v21, v14, vcc_lo
; %bb.74:
	s_and_not1_saveexec_b32 s0, s0
; %bb.75:
	v_add_co_u32 v13, vcc_lo, v15, v0
	v_add_co_ci_u32_e32 v14, vcc_lo, 0, v17, vcc_lo
; %bb.76:
	s_or_b32 exec_lo, exec_lo, s0
	s_delay_alu instid0(VALU_DEP_1) | instskip(SKIP_1) | instid1(VALU_DEP_1)
	v_lshlrev_b64 v[13:14], 2, v[13:14]
	s_mov_b32 s0, exec_lo
	v_add_co_u32 v13, vcc_lo, s10, v13
	s_delay_alu instid0(VALU_DEP_2)
	v_add_co_ci_u32_e32 v14, vcc_lo, s11, v14, vcc_lo
	s_waitcnt lgkmcnt(6)
	global_store_b32 v[13:14], v11, off
                                        ; implicit-def: $vgpr13_vgpr14
	v_cmpx_ge_u32_e64 v34, v16
	s_xor_b32 s0, exec_lo, s0
; %bb.77:
	v_xor_b32_e32 v13, 0xfffffeff, v0
	s_delay_alu instid0(VALU_DEP_1) | instskip(SKIP_1) | instid1(VALU_DEP_2)
	v_ashrrev_i32_e32 v14, 31, v13
	v_add_co_u32 v13, vcc_lo, v20, v13
	v_add_co_ci_u32_e32 v14, vcc_lo, v21, v14, vcc_lo
; %bb.78:
	s_and_not1_saveexec_b32 s0, s0
; %bb.79:
	v_add_co_u32 v13, vcc_lo, v15, v34
	v_add_co_ci_u32_e32 v14, vcc_lo, 0, v17, vcc_lo
; %bb.80:
	s_or_b32 exec_lo, exec_lo, s0
	s_delay_alu instid0(VALU_DEP_1) | instskip(SKIP_1) | instid1(VALU_DEP_1)
	v_lshlrev_b64 v[13:14], 2, v[13:14]
	s_mov_b32 s0, exec_lo
	v_add_co_u32 v13, vcc_lo, s10, v13
	s_delay_alu instid0(VALU_DEP_2)
	v_add_co_ci_u32_e32 v14, vcc_lo, s11, v14, vcc_lo
	global_store_b32 v[13:14], v12, off
                                        ; implicit-def: $vgpr13_vgpr14
	v_cmpx_ge_u32_e64 v33, v16
	s_xor_b32 s0, exec_lo, s0
; %bb.81:
	v_xor_b32_e32 v13, 0xfffffdff, v0
	s_delay_alu instid0(VALU_DEP_1) | instskip(SKIP_1) | instid1(VALU_DEP_2)
	v_ashrrev_i32_e32 v14, 31, v13
	v_add_co_u32 v13, vcc_lo, v20, v13
	v_add_co_ci_u32_e32 v14, vcc_lo, v21, v14, vcc_lo
; %bb.82:
	s_and_not1_saveexec_b32 s0, s0
; %bb.83:
	v_add_co_u32 v13, vcc_lo, v15, v33
	v_add_co_ci_u32_e32 v14, vcc_lo, 0, v17, vcc_lo
; %bb.84:
	s_or_b32 exec_lo, exec_lo, s0
	s_delay_alu instid0(VALU_DEP_1) | instskip(SKIP_1) | instid1(VALU_DEP_1)
	v_lshlrev_b64 v[13:14], 2, v[13:14]
	s_mov_b32 s0, exec_lo
	v_add_co_u32 v13, vcc_lo, s10, v13
	s_delay_alu instid0(VALU_DEP_2)
	v_add_co_ci_u32_e32 v14, vcc_lo, s11, v14, vcc_lo
	s_waitcnt lgkmcnt(5)
	global_store_b32 v[13:14], v9, off
                                        ; implicit-def: $vgpr13_vgpr14
	v_cmpx_ge_u32_e64 v32, v16
	s_xor_b32 s0, exec_lo, s0
; %bb.85:
	v_xor_b32_e32 v13, 0xfffffcff, v0
	s_delay_alu instid0(VALU_DEP_1) | instskip(SKIP_1) | instid1(VALU_DEP_2)
	v_ashrrev_i32_e32 v14, 31, v13
	v_add_co_u32 v13, vcc_lo, v20, v13
	v_add_co_ci_u32_e32 v14, vcc_lo, v21, v14, vcc_lo
; %bb.86:
	s_and_not1_saveexec_b32 s0, s0
; %bb.87:
	v_add_co_u32 v13, vcc_lo, v15, v32
	v_add_co_ci_u32_e32 v14, vcc_lo, 0, v17, vcc_lo
; %bb.88:
	s_or_b32 exec_lo, exec_lo, s0
	s_delay_alu instid0(VALU_DEP_1) | instskip(SKIP_1) | instid1(VALU_DEP_1)
	v_lshlrev_b64 v[13:14], 2, v[13:14]
	s_mov_b32 s0, exec_lo
	v_add_co_u32 v13, vcc_lo, s10, v13
	s_delay_alu instid0(VALU_DEP_2)
	v_add_co_ci_u32_e32 v14, vcc_lo, s11, v14, vcc_lo
	global_store_b32 v[13:14], v10, off
                                        ; implicit-def: $vgpr13_vgpr14
	v_cmpx_ge_u32_e64 v29, v16
	s_xor_b32 s0, exec_lo, s0
; %bb.89:
	v_xor_b32_e32 v13, 0xfffffbff, v0
	s_delay_alu instid0(VALU_DEP_1) | instskip(SKIP_1) | instid1(VALU_DEP_2)
	v_ashrrev_i32_e32 v14, 31, v13
	v_add_co_u32 v13, vcc_lo, v20, v13
	v_add_co_ci_u32_e32 v14, vcc_lo, v21, v14, vcc_lo
; %bb.90:
	s_and_not1_saveexec_b32 s0, s0
; %bb.91:
	v_add_co_u32 v13, vcc_lo, v15, v29
	v_add_co_ci_u32_e32 v14, vcc_lo, 0, v17, vcc_lo
; %bb.92:
	s_or_b32 exec_lo, exec_lo, s0
	s_delay_alu instid0(VALU_DEP_1) | instskip(SKIP_1) | instid1(VALU_DEP_1)
	v_lshlrev_b64 v[13:14], 2, v[13:14]
	s_mov_b32 s0, exec_lo
	v_add_co_u32 v13, vcc_lo, s10, v13
	s_delay_alu instid0(VALU_DEP_2)
	v_add_co_ci_u32_e32 v14, vcc_lo, s11, v14, vcc_lo
	s_waitcnt lgkmcnt(4)
	global_store_b32 v[13:14], v7, off
                                        ; implicit-def: $vgpr13_vgpr14
	v_cmpx_ge_u32_e64 v28, v16
	s_xor_b32 s0, exec_lo, s0
; %bb.93:
	v_xor_b32_e32 v13, 0xfffffaff, v0
	s_delay_alu instid0(VALU_DEP_1) | instskip(SKIP_1) | instid1(VALU_DEP_2)
	v_ashrrev_i32_e32 v14, 31, v13
	v_add_co_u32 v13, vcc_lo, v20, v13
	v_add_co_ci_u32_e32 v14, vcc_lo, v21, v14, vcc_lo
; %bb.94:
	s_and_not1_saveexec_b32 s0, s0
; %bb.95:
	v_add_co_u32 v13, vcc_lo, v15, v28
	v_add_co_ci_u32_e32 v14, vcc_lo, 0, v17, vcc_lo
; %bb.96:
	s_or_b32 exec_lo, exec_lo, s0
	s_delay_alu instid0(VALU_DEP_1) | instskip(SKIP_1) | instid1(VALU_DEP_1)
	v_lshlrev_b64 v[13:14], 2, v[13:14]
	s_mov_b32 s0, exec_lo
	v_add_co_u32 v13, vcc_lo, s10, v13
	s_delay_alu instid0(VALU_DEP_2)
	v_add_co_ci_u32_e32 v14, vcc_lo, s11, v14, vcc_lo
	global_store_b32 v[13:14], v8, off
                                        ; implicit-def: $vgpr13_vgpr14
	v_cmpx_ge_u32_e64 v27, v16
	s_xor_b32 s0, exec_lo, s0
; %bb.97:
	v_xor_b32_e32 v13, 0xfffff9ff, v0
	s_delay_alu instid0(VALU_DEP_1) | instskip(SKIP_1) | instid1(VALU_DEP_2)
	v_ashrrev_i32_e32 v14, 31, v13
	v_add_co_u32 v13, vcc_lo, v20, v13
	v_add_co_ci_u32_e32 v14, vcc_lo, v21, v14, vcc_lo
; %bb.98:
	s_and_not1_saveexec_b32 s0, s0
; %bb.99:
	v_add_co_u32 v13, vcc_lo, v15, v27
	v_add_co_ci_u32_e32 v14, vcc_lo, 0, v17, vcc_lo
; %bb.100:
	s_or_b32 exec_lo, exec_lo, s0
	s_delay_alu instid0(VALU_DEP_1) | instskip(SKIP_1) | instid1(VALU_DEP_1)
	v_lshlrev_b64 v[13:14], 2, v[13:14]
	s_mov_b32 s0, exec_lo
	v_add_co_u32 v13, vcc_lo, s10, v13
	s_delay_alu instid0(VALU_DEP_2)
	v_add_co_ci_u32_e32 v14, vcc_lo, s11, v14, vcc_lo
	s_waitcnt lgkmcnt(3)
	global_store_b32 v[13:14], v5, off
                                        ; implicit-def: $vgpr13_vgpr14
	v_cmpx_ge_u32_e64 v26, v16
	s_xor_b32 s0, exec_lo, s0
; %bb.101:
	v_xor_b32_e32 v13, 0xfffff8ff, v0
	s_delay_alu instid0(VALU_DEP_1) | instskip(SKIP_1) | instid1(VALU_DEP_2)
	v_ashrrev_i32_e32 v14, 31, v13
	v_add_co_u32 v13, vcc_lo, v20, v13
	v_add_co_ci_u32_e32 v14, vcc_lo, v21, v14, vcc_lo
; %bb.102:
	s_and_not1_saveexec_b32 s0, s0
; %bb.103:
	v_add_co_u32 v13, vcc_lo, v15, v26
	v_add_co_ci_u32_e32 v14, vcc_lo, 0, v17, vcc_lo
; %bb.104:
	s_or_b32 exec_lo, exec_lo, s0
	s_delay_alu instid0(VALU_DEP_1) | instskip(SKIP_1) | instid1(VALU_DEP_1)
	v_lshlrev_b64 v[13:14], 2, v[13:14]
	s_mov_b32 s0, exec_lo
	v_add_co_u32 v13, vcc_lo, s10, v13
	s_delay_alu instid0(VALU_DEP_2)
	v_add_co_ci_u32_e32 v14, vcc_lo, s11, v14, vcc_lo
	global_store_b32 v[13:14], v6, off
                                        ; implicit-def: $vgpr13_vgpr14
	v_cmpx_ge_u32_e64 v25, v16
	s_xor_b32 s0, exec_lo, s0
; %bb.105:
	v_xor_b32_e32 v13, 0xfffff7ff, v0
	s_delay_alu instid0(VALU_DEP_1) | instskip(SKIP_1) | instid1(VALU_DEP_2)
	v_ashrrev_i32_e32 v14, 31, v13
	v_add_co_u32 v13, vcc_lo, v20, v13
	v_add_co_ci_u32_e32 v14, vcc_lo, v21, v14, vcc_lo
; %bb.106:
	s_and_not1_saveexec_b32 s0, s0
; %bb.107:
	v_add_co_u32 v13, vcc_lo, v15, v25
	v_add_co_ci_u32_e32 v14, vcc_lo, 0, v17, vcc_lo
; %bb.108:
	s_or_b32 exec_lo, exec_lo, s0
	s_delay_alu instid0(VALU_DEP_1) | instskip(SKIP_1) | instid1(VALU_DEP_1)
	v_lshlrev_b64 v[13:14], 2, v[13:14]
	s_mov_b32 s0, exec_lo
	v_add_co_u32 v13, vcc_lo, s10, v13
	s_delay_alu instid0(VALU_DEP_2)
	v_add_co_ci_u32_e32 v14, vcc_lo, s11, v14, vcc_lo
	s_waitcnt lgkmcnt(2)
	global_store_b32 v[13:14], v3, off
                                        ; implicit-def: $vgpr13_vgpr14
	v_cmpx_ge_u32_e64 v24, v16
	s_xor_b32 s0, exec_lo, s0
; %bb.109:
	v_xor_b32_e32 v13, 0xfffff6ff, v0
	s_delay_alu instid0(VALU_DEP_1) | instskip(SKIP_1) | instid1(VALU_DEP_2)
	v_ashrrev_i32_e32 v14, 31, v13
	v_add_co_u32 v13, vcc_lo, v20, v13
	v_add_co_ci_u32_e32 v14, vcc_lo, v21, v14, vcc_lo
; %bb.110:
	s_and_not1_saveexec_b32 s0, s0
; %bb.111:
	v_add_co_u32 v13, vcc_lo, v15, v24
	v_add_co_ci_u32_e32 v14, vcc_lo, 0, v17, vcc_lo
; %bb.112:
	s_or_b32 exec_lo, exec_lo, s0
	s_delay_alu instid0(VALU_DEP_1) | instskip(SKIP_1) | instid1(VALU_DEP_1)
	v_lshlrev_b64 v[13:14], 2, v[13:14]
	s_mov_b32 s0, exec_lo
	v_add_co_u32 v13, vcc_lo, s10, v13
	s_delay_alu instid0(VALU_DEP_2)
	v_add_co_ci_u32_e32 v14, vcc_lo, s11, v14, vcc_lo
	global_store_b32 v[13:14], v4, off
                                        ; implicit-def: $vgpr13_vgpr14
	v_cmpx_ge_u32_e64 v23, v16
	s_xor_b32 s0, exec_lo, s0
; %bb.113:
	v_xor_b32_e32 v13, 0xfffff5ff, v0
	s_delay_alu instid0(VALU_DEP_1) | instskip(SKIP_1) | instid1(VALU_DEP_2)
	v_ashrrev_i32_e32 v14, 31, v13
	v_add_co_u32 v13, vcc_lo, v20, v13
	v_add_co_ci_u32_e32 v14, vcc_lo, v21, v14, vcc_lo
; %bb.114:
	s_and_not1_saveexec_b32 s0, s0
; %bb.115:
	v_add_co_u32 v13, vcc_lo, v15, v23
	v_add_co_ci_u32_e32 v14, vcc_lo, 0, v17, vcc_lo
; %bb.116:
	s_or_b32 exec_lo, exec_lo, s0
	s_delay_alu instid0(VALU_DEP_1) | instskip(SKIP_1) | instid1(VALU_DEP_1)
	v_lshlrev_b64 v[13:14], 2, v[13:14]
	s_mov_b32 s0, exec_lo
	v_add_co_u32 v13, vcc_lo, s10, v13
	s_delay_alu instid0(VALU_DEP_2)
	v_add_co_ci_u32_e32 v14, vcc_lo, s11, v14, vcc_lo
	s_waitcnt lgkmcnt(1)
	global_store_b32 v[13:14], v1, off
                                        ; implicit-def: $vgpr13_vgpr14
	v_cmpx_ge_u32_e64 v22, v16
	s_xor_b32 s0, exec_lo, s0
; %bb.117:
	v_xor_b32_e32 v13, 0xfffff4ff, v0
	s_delay_alu instid0(VALU_DEP_1) | instskip(SKIP_1) | instid1(VALU_DEP_2)
	v_ashrrev_i32_e32 v14, 31, v13
	v_add_co_u32 v13, vcc_lo, v20, v13
	v_add_co_ci_u32_e32 v14, vcc_lo, v21, v14, vcc_lo
; %bb.118:
	s_and_not1_saveexec_b32 s0, s0
; %bb.119:
	v_add_co_u32 v13, vcc_lo, v15, v22
	v_add_co_ci_u32_e32 v14, vcc_lo, 0, v17, vcc_lo
; %bb.120:
	s_or_b32 exec_lo, exec_lo, s0
	s_delay_alu instid0(VALU_DEP_1) | instskip(SKIP_1) | instid1(VALU_DEP_1)
	v_lshlrev_b64 v[13:14], 2, v[13:14]
	s_mov_b32 s0, exec_lo
	v_add_co_u32 v13, vcc_lo, s10, v13
	s_delay_alu instid0(VALU_DEP_2)
	v_add_co_ci_u32_e32 v14, vcc_lo, s11, v14, vcc_lo
	global_store_b32 v[13:14], v2, off
                                        ; implicit-def: $vgpr13_vgpr14
	v_cmpx_ge_u32_e64 v19, v16
	s_xor_b32 s0, exec_lo, s0
; %bb.121:
	v_xor_b32_e32 v13, 0xfffff3ff, v0
	s_delay_alu instid0(VALU_DEP_1) | instskip(SKIP_1) | instid1(VALU_DEP_2)
	v_ashrrev_i32_e32 v14, 31, v13
	v_add_co_u32 v13, vcc_lo, v20, v13
	v_add_co_ci_u32_e32 v14, vcc_lo, v21, v14, vcc_lo
; %bb.122:
	s_and_not1_saveexec_b32 s0, s0
; %bb.123:
	v_add_co_u32 v13, vcc_lo, v15, v19
	v_add_co_ci_u32_e32 v14, vcc_lo, 0, v17, vcc_lo
; %bb.124:
	s_or_b32 exec_lo, exec_lo, s0
	s_mov_b32 s0, -1
	s_branch .LBB264_205
.LBB264_125:
                                        ; implicit-def: $vgpr13_vgpr14
	s_cbranch_execz .LBB264_205
; %bb.126:
	s_mov_b32 s1, exec_lo
	v_cmpx_gt_u32_e64 s22, v0
	s_cbranch_execz .LBB264_162
; %bb.127:
	s_mov_b32 s2, exec_lo
                                        ; implicit-def: $vgpr13_vgpr14
	v_cmpx_ge_u32_e64 v0, v16
	s_xor_b32 s2, exec_lo, s2
; %bb.128:
	v_not_b32_e32 v13, v0
	s_delay_alu instid0(VALU_DEP_1) | instskip(SKIP_1) | instid1(VALU_DEP_2)
	v_ashrrev_i32_e32 v14, 31, v13
	v_add_co_u32 v13, vcc_lo, v20, v13
	v_add_co_ci_u32_e32 v14, vcc_lo, v21, v14, vcc_lo
; %bb.129:
	s_and_not1_saveexec_b32 s2, s2
; %bb.130:
	v_add_co_u32 v13, vcc_lo, v15, v0
	v_add_co_ci_u32_e32 v14, vcc_lo, 0, v17, vcc_lo
; %bb.131:
	s_or_b32 exec_lo, exec_lo, s2
	s_delay_alu instid0(VALU_DEP_1) | instskip(NEXT) | instid1(VALU_DEP_1)
	v_lshlrev_b64 v[13:14], 2, v[13:14]
	v_add_co_u32 v13, vcc_lo, s10, v13
	s_delay_alu instid0(VALU_DEP_2) | instskip(SKIP_3) | instid1(SALU_CYCLE_1)
	v_add_co_ci_u32_e32 v14, vcc_lo, s11, v14, vcc_lo
	s_waitcnt lgkmcnt(6)
	global_store_b32 v[13:14], v11, off
	s_or_b32 exec_lo, exec_lo, s1
	s_mov_b32 s1, exec_lo
	v_cmpx_gt_u32_e64 s22, v34
	s_cbranch_execnz .LBB264_163
.LBB264_132:
	s_or_b32 exec_lo, exec_lo, s1
	s_delay_alu instid0(SALU_CYCLE_1)
	s_mov_b32 s1, exec_lo
	v_cmpx_gt_u32_e64 s22, v33
	s_cbranch_execz .LBB264_168
.LBB264_133:
	s_mov_b32 s2, exec_lo
                                        ; implicit-def: $vgpr11_vgpr12
	v_cmpx_ge_u32_e64 v33, v16
	s_xor_b32 s2, exec_lo, s2
	s_cbranch_execz .LBB264_135
; %bb.134:
	s_waitcnt lgkmcnt(6)
	v_xor_b32_e32 v11, 0xfffffdff, v0
                                        ; implicit-def: $vgpr33
	s_delay_alu instid0(VALU_DEP_1) | instskip(SKIP_1) | instid1(VALU_DEP_2)
	v_ashrrev_i32_e32 v12, 31, v11
	v_add_co_u32 v11, vcc_lo, v20, v11
	v_add_co_ci_u32_e32 v12, vcc_lo, v21, v12, vcc_lo
.LBB264_135:
	s_and_not1_saveexec_b32 s2, s2
	s_cbranch_execz .LBB264_137
; %bb.136:
	s_waitcnt lgkmcnt(6)
	v_add_co_u32 v11, vcc_lo, v15, v33
	v_add_co_ci_u32_e32 v12, vcc_lo, 0, v17, vcc_lo
.LBB264_137:
	s_or_b32 exec_lo, exec_lo, s2
	s_waitcnt lgkmcnt(6)
	s_delay_alu instid0(VALU_DEP_1) | instskip(NEXT) | instid1(VALU_DEP_1)
	v_lshlrev_b64 v[11:12], 2, v[11:12]
	v_add_co_u32 v11, vcc_lo, s10, v11
	s_delay_alu instid0(VALU_DEP_2) | instskip(SKIP_3) | instid1(SALU_CYCLE_1)
	v_add_co_ci_u32_e32 v12, vcc_lo, s11, v12, vcc_lo
	s_waitcnt lgkmcnt(5)
	global_store_b32 v[11:12], v9, off
	s_or_b32 exec_lo, exec_lo, s1
	s_mov_b32 s1, exec_lo
	v_cmpx_gt_u32_e64 s22, v32
	s_cbranch_execnz .LBB264_169
.LBB264_138:
	s_or_b32 exec_lo, exec_lo, s1
	s_delay_alu instid0(SALU_CYCLE_1)
	s_mov_b32 s1, exec_lo
	v_cmpx_gt_u32_e64 s22, v29
	s_cbranch_execz .LBB264_174
.LBB264_139:
	s_mov_b32 s2, exec_lo
                                        ; implicit-def: $vgpr9_vgpr10
	v_cmpx_ge_u32_e64 v29, v16
	s_xor_b32 s2, exec_lo, s2
	s_cbranch_execz .LBB264_141
; %bb.140:
	s_waitcnt lgkmcnt(5)
	v_xor_b32_e32 v9, 0xfffffbff, v0
                                        ; implicit-def: $vgpr29
	s_delay_alu instid0(VALU_DEP_1) | instskip(SKIP_1) | instid1(VALU_DEP_2)
	v_ashrrev_i32_e32 v10, 31, v9
	v_add_co_u32 v9, vcc_lo, v20, v9
	v_add_co_ci_u32_e32 v10, vcc_lo, v21, v10, vcc_lo
.LBB264_141:
	s_and_not1_saveexec_b32 s2, s2
	s_cbranch_execz .LBB264_143
; %bb.142:
	s_waitcnt lgkmcnt(5)
	v_add_co_u32 v9, vcc_lo, v15, v29
	v_add_co_ci_u32_e32 v10, vcc_lo, 0, v17, vcc_lo
.LBB264_143:
	s_or_b32 exec_lo, exec_lo, s2
	s_waitcnt lgkmcnt(5)
	s_delay_alu instid0(VALU_DEP_1) | instskip(NEXT) | instid1(VALU_DEP_1)
	v_lshlrev_b64 v[9:10], 2, v[9:10]
	v_add_co_u32 v9, vcc_lo, s10, v9
	s_delay_alu instid0(VALU_DEP_2) | instskip(SKIP_3) | instid1(SALU_CYCLE_1)
	v_add_co_ci_u32_e32 v10, vcc_lo, s11, v10, vcc_lo
	s_waitcnt lgkmcnt(4)
	global_store_b32 v[9:10], v7, off
	s_or_b32 exec_lo, exec_lo, s1
	s_mov_b32 s1, exec_lo
	v_cmpx_gt_u32_e64 s22, v28
	s_cbranch_execnz .LBB264_175
.LBB264_144:
	s_or_b32 exec_lo, exec_lo, s1
	s_delay_alu instid0(SALU_CYCLE_1)
	s_mov_b32 s1, exec_lo
	v_cmpx_gt_u32_e64 s22, v27
	s_cbranch_execz .LBB264_180
.LBB264_145:
	s_mov_b32 s2, exec_lo
                                        ; implicit-def: $vgpr7_vgpr8
	v_cmpx_ge_u32_e64 v27, v16
	s_xor_b32 s2, exec_lo, s2
	s_cbranch_execz .LBB264_147
; %bb.146:
	s_waitcnt lgkmcnt(4)
	v_xor_b32_e32 v7, 0xfffff9ff, v0
                                        ; implicit-def: $vgpr27
	s_delay_alu instid0(VALU_DEP_1) | instskip(SKIP_1) | instid1(VALU_DEP_2)
	v_ashrrev_i32_e32 v8, 31, v7
	v_add_co_u32 v7, vcc_lo, v20, v7
	v_add_co_ci_u32_e32 v8, vcc_lo, v21, v8, vcc_lo
.LBB264_147:
	s_and_not1_saveexec_b32 s2, s2
	s_cbranch_execz .LBB264_149
; %bb.148:
	s_waitcnt lgkmcnt(4)
	v_add_co_u32 v7, vcc_lo, v15, v27
	v_add_co_ci_u32_e32 v8, vcc_lo, 0, v17, vcc_lo
.LBB264_149:
	s_or_b32 exec_lo, exec_lo, s2
	s_waitcnt lgkmcnt(4)
	s_delay_alu instid0(VALU_DEP_1) | instskip(NEXT) | instid1(VALU_DEP_1)
	v_lshlrev_b64 v[7:8], 2, v[7:8]
	v_add_co_u32 v7, vcc_lo, s10, v7
	s_delay_alu instid0(VALU_DEP_2) | instskip(SKIP_3) | instid1(SALU_CYCLE_1)
	v_add_co_ci_u32_e32 v8, vcc_lo, s11, v8, vcc_lo
	s_waitcnt lgkmcnt(3)
	global_store_b32 v[7:8], v5, off
	s_or_b32 exec_lo, exec_lo, s1
	s_mov_b32 s1, exec_lo
	v_cmpx_gt_u32_e64 s22, v26
	s_cbranch_execnz .LBB264_181
.LBB264_150:
	s_or_b32 exec_lo, exec_lo, s1
	s_delay_alu instid0(SALU_CYCLE_1)
	s_mov_b32 s1, exec_lo
	v_cmpx_gt_u32_e64 s22, v25
	s_cbranch_execz .LBB264_186
.LBB264_151:
	s_mov_b32 s2, exec_lo
                                        ; implicit-def: $vgpr5_vgpr6
	v_cmpx_ge_u32_e64 v25, v16
	s_xor_b32 s2, exec_lo, s2
	s_cbranch_execz .LBB264_153
; %bb.152:
	s_waitcnt lgkmcnt(3)
	v_xor_b32_e32 v5, 0xfffff7ff, v0
                                        ; implicit-def: $vgpr25
	s_delay_alu instid0(VALU_DEP_1) | instskip(SKIP_1) | instid1(VALU_DEP_2)
	v_ashrrev_i32_e32 v6, 31, v5
	v_add_co_u32 v5, vcc_lo, v20, v5
	v_add_co_ci_u32_e32 v6, vcc_lo, v21, v6, vcc_lo
.LBB264_153:
	s_and_not1_saveexec_b32 s2, s2
	s_cbranch_execz .LBB264_155
; %bb.154:
	s_waitcnt lgkmcnt(3)
	v_add_co_u32 v5, vcc_lo, v15, v25
	v_add_co_ci_u32_e32 v6, vcc_lo, 0, v17, vcc_lo
.LBB264_155:
	s_or_b32 exec_lo, exec_lo, s2
	s_waitcnt lgkmcnt(3)
	s_delay_alu instid0(VALU_DEP_1) | instskip(NEXT) | instid1(VALU_DEP_1)
	v_lshlrev_b64 v[5:6], 2, v[5:6]
	v_add_co_u32 v5, vcc_lo, s10, v5
	s_delay_alu instid0(VALU_DEP_2) | instskip(SKIP_3) | instid1(SALU_CYCLE_1)
	v_add_co_ci_u32_e32 v6, vcc_lo, s11, v6, vcc_lo
	s_waitcnt lgkmcnt(2)
	global_store_b32 v[5:6], v3, off
	s_or_b32 exec_lo, exec_lo, s1
	s_mov_b32 s1, exec_lo
	v_cmpx_gt_u32_e64 s22, v24
	s_cbranch_execnz .LBB264_187
.LBB264_156:
	s_or_b32 exec_lo, exec_lo, s1
	s_delay_alu instid0(SALU_CYCLE_1)
	s_mov_b32 s1, exec_lo
	v_cmpx_gt_u32_e64 s22, v23
	s_cbranch_execz .LBB264_192
.LBB264_157:
	s_mov_b32 s2, exec_lo
                                        ; implicit-def: $vgpr3_vgpr4
	v_cmpx_ge_u32_e64 v23, v16
	s_xor_b32 s2, exec_lo, s2
	s_cbranch_execz .LBB264_159
; %bb.158:
	s_waitcnt lgkmcnt(2)
	v_xor_b32_e32 v3, 0xfffff5ff, v0
                                        ; implicit-def: $vgpr23
	s_delay_alu instid0(VALU_DEP_1) | instskip(SKIP_1) | instid1(VALU_DEP_2)
	v_ashrrev_i32_e32 v4, 31, v3
	v_add_co_u32 v3, vcc_lo, v20, v3
	v_add_co_ci_u32_e32 v4, vcc_lo, v21, v4, vcc_lo
.LBB264_159:
	s_and_not1_saveexec_b32 s2, s2
	s_cbranch_execz .LBB264_161
; %bb.160:
	s_waitcnt lgkmcnt(2)
	v_add_co_u32 v3, vcc_lo, v15, v23
	v_add_co_ci_u32_e32 v4, vcc_lo, 0, v17, vcc_lo
.LBB264_161:
	s_or_b32 exec_lo, exec_lo, s2
	s_waitcnt lgkmcnt(2)
	s_delay_alu instid0(VALU_DEP_1) | instskip(NEXT) | instid1(VALU_DEP_1)
	v_lshlrev_b64 v[3:4], 2, v[3:4]
	v_add_co_u32 v3, vcc_lo, s10, v3
	s_delay_alu instid0(VALU_DEP_2) | instskip(SKIP_3) | instid1(SALU_CYCLE_1)
	v_add_co_ci_u32_e32 v4, vcc_lo, s11, v4, vcc_lo
	s_waitcnt lgkmcnt(1)
	global_store_b32 v[3:4], v1, off
	s_or_b32 exec_lo, exec_lo, s1
	s_mov_b32 s1, exec_lo
	v_cmpx_gt_u32_e64 s22, v22
	s_cbranch_execz .LBB264_198
	s_branch .LBB264_193
.LBB264_162:
	s_or_b32 exec_lo, exec_lo, s1
	s_delay_alu instid0(SALU_CYCLE_1)
	s_mov_b32 s1, exec_lo
	v_cmpx_gt_u32_e64 s22, v34
	s_cbranch_execz .LBB264_132
.LBB264_163:
	s_mov_b32 s2, exec_lo
                                        ; implicit-def: $vgpr13_vgpr14
	v_cmpx_ge_u32_e64 v34, v16
	s_xor_b32 s2, exec_lo, s2
	s_cbranch_execz .LBB264_165
; %bb.164:
	s_waitcnt lgkmcnt(6)
	v_xor_b32_e32 v11, 0xfffffeff, v0
                                        ; implicit-def: $vgpr34
	s_delay_alu instid0(VALU_DEP_1) | instskip(SKIP_1) | instid1(VALU_DEP_2)
	v_ashrrev_i32_e32 v14, 31, v11
	v_add_co_u32 v13, vcc_lo, v20, v11
	v_add_co_ci_u32_e32 v14, vcc_lo, v21, v14, vcc_lo
.LBB264_165:
	s_and_not1_saveexec_b32 s2, s2
; %bb.166:
	v_add_co_u32 v13, vcc_lo, v15, v34
	v_add_co_ci_u32_e32 v14, vcc_lo, 0, v17, vcc_lo
; %bb.167:
	s_or_b32 exec_lo, exec_lo, s2
	s_delay_alu instid0(VALU_DEP_1) | instskip(NEXT) | instid1(VALU_DEP_1)
	v_lshlrev_b64 v[13:14], 2, v[13:14]
	v_add_co_u32 v13, vcc_lo, s10, v13
	s_delay_alu instid0(VALU_DEP_2) | instskip(SKIP_3) | instid1(SALU_CYCLE_1)
	v_add_co_ci_u32_e32 v14, vcc_lo, s11, v14, vcc_lo
	s_waitcnt lgkmcnt(6)
	global_store_b32 v[13:14], v12, off
	s_or_b32 exec_lo, exec_lo, s1
	s_mov_b32 s1, exec_lo
	v_cmpx_gt_u32_e64 s22, v33
	s_cbranch_execnz .LBB264_133
.LBB264_168:
	s_or_b32 exec_lo, exec_lo, s1
	s_delay_alu instid0(SALU_CYCLE_1)
	s_mov_b32 s1, exec_lo
	v_cmpx_gt_u32_e64 s22, v32
	s_cbranch_execz .LBB264_138
.LBB264_169:
	s_mov_b32 s2, exec_lo
                                        ; implicit-def: $vgpr11_vgpr12
	v_cmpx_ge_u32_e64 v32, v16
	s_xor_b32 s2, exec_lo, s2
	s_cbranch_execz .LBB264_171
; %bb.170:
	s_waitcnt lgkmcnt(5)
	v_xor_b32_e32 v9, 0xfffffcff, v0
                                        ; implicit-def: $vgpr32
	s_delay_alu instid0(VALU_DEP_1) | instskip(SKIP_1) | instid1(VALU_DEP_2)
	v_ashrrev_i32_e32 v12, 31, v9
	v_add_co_u32 v11, vcc_lo, v20, v9
	v_add_co_ci_u32_e32 v12, vcc_lo, v21, v12, vcc_lo
.LBB264_171:
	s_and_not1_saveexec_b32 s2, s2
	s_cbranch_execz .LBB264_173
; %bb.172:
	s_waitcnt lgkmcnt(6)
	v_add_co_u32 v11, vcc_lo, v15, v32
	v_add_co_ci_u32_e32 v12, vcc_lo, 0, v17, vcc_lo
.LBB264_173:
	s_or_b32 exec_lo, exec_lo, s2
	s_waitcnt lgkmcnt(6)
	s_delay_alu instid0(VALU_DEP_1) | instskip(NEXT) | instid1(VALU_DEP_1)
	v_lshlrev_b64 v[11:12], 2, v[11:12]
	v_add_co_u32 v11, vcc_lo, s10, v11
	s_delay_alu instid0(VALU_DEP_2) | instskip(SKIP_3) | instid1(SALU_CYCLE_1)
	v_add_co_ci_u32_e32 v12, vcc_lo, s11, v12, vcc_lo
	s_waitcnt lgkmcnt(5)
	global_store_b32 v[11:12], v10, off
	s_or_b32 exec_lo, exec_lo, s1
	s_mov_b32 s1, exec_lo
	v_cmpx_gt_u32_e64 s22, v29
	s_cbranch_execnz .LBB264_139
.LBB264_174:
	s_or_b32 exec_lo, exec_lo, s1
	s_delay_alu instid0(SALU_CYCLE_1)
	s_mov_b32 s1, exec_lo
	v_cmpx_gt_u32_e64 s22, v28
	s_cbranch_execz .LBB264_144
.LBB264_175:
	s_mov_b32 s2, exec_lo
                                        ; implicit-def: $vgpr9_vgpr10
	v_cmpx_ge_u32_e64 v28, v16
	s_xor_b32 s2, exec_lo, s2
	s_cbranch_execz .LBB264_177
; %bb.176:
	s_waitcnt lgkmcnt(4)
	v_xor_b32_e32 v7, 0xfffffaff, v0
                                        ; implicit-def: $vgpr28
	s_delay_alu instid0(VALU_DEP_1) | instskip(SKIP_1) | instid1(VALU_DEP_2)
	v_ashrrev_i32_e32 v10, 31, v7
	v_add_co_u32 v9, vcc_lo, v20, v7
	v_add_co_ci_u32_e32 v10, vcc_lo, v21, v10, vcc_lo
.LBB264_177:
	s_and_not1_saveexec_b32 s2, s2
	s_cbranch_execz .LBB264_179
; %bb.178:
	s_waitcnt lgkmcnt(5)
	v_add_co_u32 v9, vcc_lo, v15, v28
	v_add_co_ci_u32_e32 v10, vcc_lo, 0, v17, vcc_lo
.LBB264_179:
	s_or_b32 exec_lo, exec_lo, s2
	s_waitcnt lgkmcnt(5)
	s_delay_alu instid0(VALU_DEP_1) | instskip(NEXT) | instid1(VALU_DEP_1)
	v_lshlrev_b64 v[9:10], 2, v[9:10]
	v_add_co_u32 v9, vcc_lo, s10, v9
	s_delay_alu instid0(VALU_DEP_2) | instskip(SKIP_3) | instid1(SALU_CYCLE_1)
	v_add_co_ci_u32_e32 v10, vcc_lo, s11, v10, vcc_lo
	s_waitcnt lgkmcnt(4)
	global_store_b32 v[9:10], v8, off
	s_or_b32 exec_lo, exec_lo, s1
	s_mov_b32 s1, exec_lo
	v_cmpx_gt_u32_e64 s22, v27
	s_cbranch_execnz .LBB264_145
.LBB264_180:
	s_or_b32 exec_lo, exec_lo, s1
	s_delay_alu instid0(SALU_CYCLE_1)
	s_mov_b32 s1, exec_lo
	v_cmpx_gt_u32_e64 s22, v26
	s_cbranch_execz .LBB264_150
.LBB264_181:
	s_mov_b32 s2, exec_lo
                                        ; implicit-def: $vgpr7_vgpr8
	v_cmpx_ge_u32_e64 v26, v16
	s_xor_b32 s2, exec_lo, s2
	s_cbranch_execz .LBB264_183
; %bb.182:
	s_waitcnt lgkmcnt(3)
	v_xor_b32_e32 v5, 0xfffff8ff, v0
                                        ; implicit-def: $vgpr26
	s_delay_alu instid0(VALU_DEP_1) | instskip(SKIP_1) | instid1(VALU_DEP_2)
	v_ashrrev_i32_e32 v8, 31, v5
	v_add_co_u32 v7, vcc_lo, v20, v5
	v_add_co_ci_u32_e32 v8, vcc_lo, v21, v8, vcc_lo
.LBB264_183:
	s_and_not1_saveexec_b32 s2, s2
	s_cbranch_execz .LBB264_185
; %bb.184:
	s_waitcnt lgkmcnt(4)
	v_add_co_u32 v7, vcc_lo, v15, v26
	v_add_co_ci_u32_e32 v8, vcc_lo, 0, v17, vcc_lo
.LBB264_185:
	s_or_b32 exec_lo, exec_lo, s2
	s_waitcnt lgkmcnt(4)
	s_delay_alu instid0(VALU_DEP_1) | instskip(NEXT) | instid1(VALU_DEP_1)
	v_lshlrev_b64 v[7:8], 2, v[7:8]
	v_add_co_u32 v7, vcc_lo, s10, v7
	s_delay_alu instid0(VALU_DEP_2) | instskip(SKIP_3) | instid1(SALU_CYCLE_1)
	v_add_co_ci_u32_e32 v8, vcc_lo, s11, v8, vcc_lo
	s_waitcnt lgkmcnt(3)
	global_store_b32 v[7:8], v6, off
	s_or_b32 exec_lo, exec_lo, s1
	s_mov_b32 s1, exec_lo
	v_cmpx_gt_u32_e64 s22, v25
	s_cbranch_execnz .LBB264_151
.LBB264_186:
	s_or_b32 exec_lo, exec_lo, s1
	s_delay_alu instid0(SALU_CYCLE_1)
	s_mov_b32 s1, exec_lo
	v_cmpx_gt_u32_e64 s22, v24
	s_cbranch_execz .LBB264_156
.LBB264_187:
	s_mov_b32 s2, exec_lo
                                        ; implicit-def: $vgpr5_vgpr6
	v_cmpx_ge_u32_e64 v24, v16
	s_xor_b32 s2, exec_lo, s2
	s_cbranch_execz .LBB264_189
; %bb.188:
	s_waitcnt lgkmcnt(2)
	v_xor_b32_e32 v3, 0xfffff6ff, v0
                                        ; implicit-def: $vgpr24
	s_delay_alu instid0(VALU_DEP_1) | instskip(SKIP_1) | instid1(VALU_DEP_2)
	v_ashrrev_i32_e32 v6, 31, v3
	v_add_co_u32 v5, vcc_lo, v20, v3
	v_add_co_ci_u32_e32 v6, vcc_lo, v21, v6, vcc_lo
.LBB264_189:
	s_and_not1_saveexec_b32 s2, s2
	s_cbranch_execz .LBB264_191
; %bb.190:
	s_waitcnt lgkmcnt(3)
	v_add_co_u32 v5, vcc_lo, v15, v24
	v_add_co_ci_u32_e32 v6, vcc_lo, 0, v17, vcc_lo
.LBB264_191:
	s_or_b32 exec_lo, exec_lo, s2
	s_waitcnt lgkmcnt(3)
	s_delay_alu instid0(VALU_DEP_1) | instskip(NEXT) | instid1(VALU_DEP_1)
	v_lshlrev_b64 v[5:6], 2, v[5:6]
	v_add_co_u32 v5, vcc_lo, s10, v5
	s_delay_alu instid0(VALU_DEP_2) | instskip(SKIP_3) | instid1(SALU_CYCLE_1)
	v_add_co_ci_u32_e32 v6, vcc_lo, s11, v6, vcc_lo
	s_waitcnt lgkmcnt(2)
	global_store_b32 v[5:6], v4, off
	s_or_b32 exec_lo, exec_lo, s1
	s_mov_b32 s1, exec_lo
	v_cmpx_gt_u32_e64 s22, v23
	s_cbranch_execnz .LBB264_157
.LBB264_192:
	s_or_b32 exec_lo, exec_lo, s1
	s_delay_alu instid0(SALU_CYCLE_1)
	s_mov_b32 s1, exec_lo
	v_cmpx_gt_u32_e64 s22, v22
	s_cbranch_execz .LBB264_198
.LBB264_193:
	s_mov_b32 s2, exec_lo
                                        ; implicit-def: $vgpr3_vgpr4
	v_cmpx_ge_u32_e64 v22, v16
	s_xor_b32 s2, exec_lo, s2
	s_cbranch_execz .LBB264_195
; %bb.194:
	s_waitcnt lgkmcnt(1)
	v_xor_b32_e32 v1, 0xfffff4ff, v0
                                        ; implicit-def: $vgpr22
	s_delay_alu instid0(VALU_DEP_1) | instskip(SKIP_1) | instid1(VALU_DEP_2)
	v_ashrrev_i32_e32 v4, 31, v1
	v_add_co_u32 v3, vcc_lo, v20, v1
	v_add_co_ci_u32_e32 v4, vcc_lo, v21, v4, vcc_lo
.LBB264_195:
	s_and_not1_saveexec_b32 s2, s2
	s_cbranch_execz .LBB264_197
; %bb.196:
	s_waitcnt lgkmcnt(2)
	v_add_co_u32 v3, vcc_lo, v15, v22
	v_add_co_ci_u32_e32 v4, vcc_lo, 0, v17, vcc_lo
.LBB264_197:
	s_or_b32 exec_lo, exec_lo, s2
	s_waitcnt lgkmcnt(2)
	s_delay_alu instid0(VALU_DEP_1) | instskip(NEXT) | instid1(VALU_DEP_1)
	v_lshlrev_b64 v[3:4], 2, v[3:4]
	v_add_co_u32 v3, vcc_lo, s10, v3
	s_delay_alu instid0(VALU_DEP_2)
	v_add_co_ci_u32_e32 v4, vcc_lo, s11, v4, vcc_lo
	s_waitcnt lgkmcnt(1)
	global_store_b32 v[3:4], v2, off
.LBB264_198:
	s_or_b32 exec_lo, exec_lo, s1
	s_delay_alu instid0(SALU_CYCLE_1)
	s_mov_b32 s1, exec_lo
                                        ; implicit-def: $vgpr13_vgpr14
	v_cmpx_gt_u32_e64 s22, v19
	s_cbranch_execz .LBB264_204
; %bb.199:
	s_mov_b32 s2, exec_lo
                                        ; implicit-def: $vgpr13_vgpr14
	v_cmpx_ge_u32_e64 v19, v16
	s_xor_b32 s2, exec_lo, s2
	s_cbranch_execz .LBB264_201
; %bb.200:
	s_waitcnt lgkmcnt(1)
	v_xor_b32_e32 v1, 0xfffff3ff, v0
                                        ; implicit-def: $vgpr19
	s_delay_alu instid0(VALU_DEP_1) | instskip(SKIP_1) | instid1(VALU_DEP_2)
	v_ashrrev_i32_e32 v2, 31, v1
	v_add_co_u32 v13, vcc_lo, v20, v1
	v_add_co_ci_u32_e32 v14, vcc_lo, v21, v2, vcc_lo
.LBB264_201:
	s_and_not1_saveexec_b32 s2, s2
; %bb.202:
	v_add_co_u32 v13, vcc_lo, v15, v19
	v_add_co_ci_u32_e32 v14, vcc_lo, 0, v17, vcc_lo
; %bb.203:
	s_or_b32 exec_lo, exec_lo, s2
	s_delay_alu instid0(SALU_CYCLE_1)
	s_or_b32 s0, s0, exec_lo
.LBB264_204:
	s_or_b32 exec_lo, exec_lo, s1
.LBB264_205:
	s_and_saveexec_b32 s1, s0
	s_cbranch_execz .LBB264_207
; %bb.206:
	s_waitcnt lgkmcnt(1)
	v_lshlrev_b64 v[1:2], 2, v[13:14]
	s_delay_alu instid0(VALU_DEP_1) | instskip(NEXT) | instid1(VALU_DEP_2)
	v_add_co_u32 v1, vcc_lo, s10, v1
	v_add_co_ci_u32_e32 v2, vcc_lo, s11, v2, vcc_lo
	s_waitcnt lgkmcnt(0)
	global_store_b32 v[1:2], v18, off
.LBB264_207:
	s_or_b32 exec_lo, exec_lo, s1
	v_cmp_eq_u32_e32 vcc_lo, 0, v0
	s_and_b32 s0, vcc_lo, s14
	s_delay_alu instid0(SALU_CYCLE_1)
	s_and_saveexec_b32 s1, s0
	s_cbranch_execz .LBB264_209
; %bb.208:
	v_add_co_u32 v0, vcc_lo, v15, v16
	s_waitcnt lgkmcnt(1)
	v_mov_b32_e32 v2, 0
	v_add_co_ci_u32_e32 v1, vcc_lo, 0, v17, vcc_lo
	global_store_b64 v2, v[0:1], s[8:9]
.LBB264_209:
	s_nop 0
	s_sendmsg sendmsg(MSG_DEALLOC_VGPRS)
	s_endpgm
	.section	.rodata,"a",@progbits
	.p2align	6, 0x0
	.amdhsa_kernel _ZN7rocprim17ROCPRIM_400000_NS6detail17trampoline_kernelINS0_13select_configILj256ELj13ELNS0_17block_load_methodE3ELS4_3ELS4_3ELNS0_20block_scan_algorithmE0ELj4294967295EEENS1_25partition_config_selectorILNS1_17partition_subalgoE3EjNS0_10empty_typeEbEEZZNS1_14partition_implILS8_3ELb0ES6_jNS0_17counting_iteratorIjlEEPS9_SE_NS0_5tupleIJPjSE_EEENSF_IJSE_SE_EEES9_SG_JZNS1_25segmented_radix_sort_implINS0_14default_configELb1EPKaPaPKlPlN2at6native12_GLOBAL__N_18offset_tEEE10hipError_tPvRmT1_PNSt15iterator_traitsISY_E10value_typeET2_T3_PNSZ_IS14_E10value_typeET4_jRbjT5_S1A_jjP12ihipStream_tbEUljE_EEESV_SW_SX_S14_S18_S1A_T6_T7_T9_mT8_S1C_bDpT10_ENKUlT_T0_E_clISt17integral_constantIbLb0EES1P_EEDaS1K_S1L_EUlS1K_E_NS1_11comp_targetILNS1_3genE9ELNS1_11target_archE1100ELNS1_3gpuE3ELNS1_3repE0EEENS1_30default_config_static_selectorELNS0_4arch9wavefront6targetE0EEEvSY_
		.amdhsa_group_segment_fixed_size 13324
		.amdhsa_private_segment_fixed_size 0
		.amdhsa_kernarg_size 144
		.amdhsa_user_sgpr_count 15
		.amdhsa_user_sgpr_dispatch_ptr 0
		.amdhsa_user_sgpr_queue_ptr 0
		.amdhsa_user_sgpr_kernarg_segment_ptr 1
		.amdhsa_user_sgpr_dispatch_id 0
		.amdhsa_user_sgpr_private_segment_size 0
		.amdhsa_wavefront_size32 1
		.amdhsa_uses_dynamic_stack 0
		.amdhsa_enable_private_segment 0
		.amdhsa_system_sgpr_workgroup_id_x 1
		.amdhsa_system_sgpr_workgroup_id_y 0
		.amdhsa_system_sgpr_workgroup_id_z 0
		.amdhsa_system_sgpr_workgroup_info 0
		.amdhsa_system_vgpr_workitem_id 0
		.amdhsa_next_free_vgpr 57
		.amdhsa_next_free_sgpr 28
		.amdhsa_reserve_vcc 1
		.amdhsa_float_round_mode_32 0
		.amdhsa_float_round_mode_16_64 0
		.amdhsa_float_denorm_mode_32 3
		.amdhsa_float_denorm_mode_16_64 3
		.amdhsa_dx10_clamp 1
		.amdhsa_ieee_mode 1
		.amdhsa_fp16_overflow 0
		.amdhsa_workgroup_processor_mode 1
		.amdhsa_memory_ordered 1
		.amdhsa_forward_progress 0
		.amdhsa_shared_vgpr_count 0
		.amdhsa_exception_fp_ieee_invalid_op 0
		.amdhsa_exception_fp_denorm_src 0
		.amdhsa_exception_fp_ieee_div_zero 0
		.amdhsa_exception_fp_ieee_overflow 0
		.amdhsa_exception_fp_ieee_underflow 0
		.amdhsa_exception_fp_ieee_inexact 0
		.amdhsa_exception_int_div_zero 0
	.end_amdhsa_kernel
	.section	.text._ZN7rocprim17ROCPRIM_400000_NS6detail17trampoline_kernelINS0_13select_configILj256ELj13ELNS0_17block_load_methodE3ELS4_3ELS4_3ELNS0_20block_scan_algorithmE0ELj4294967295EEENS1_25partition_config_selectorILNS1_17partition_subalgoE3EjNS0_10empty_typeEbEEZZNS1_14partition_implILS8_3ELb0ES6_jNS0_17counting_iteratorIjlEEPS9_SE_NS0_5tupleIJPjSE_EEENSF_IJSE_SE_EEES9_SG_JZNS1_25segmented_radix_sort_implINS0_14default_configELb1EPKaPaPKlPlN2at6native12_GLOBAL__N_18offset_tEEE10hipError_tPvRmT1_PNSt15iterator_traitsISY_E10value_typeET2_T3_PNSZ_IS14_E10value_typeET4_jRbjT5_S1A_jjP12ihipStream_tbEUljE_EEESV_SW_SX_S14_S18_S1A_T6_T7_T9_mT8_S1C_bDpT10_ENKUlT_T0_E_clISt17integral_constantIbLb0EES1P_EEDaS1K_S1L_EUlS1K_E_NS1_11comp_targetILNS1_3genE9ELNS1_11target_archE1100ELNS1_3gpuE3ELNS1_3repE0EEENS1_30default_config_static_selectorELNS0_4arch9wavefront6targetE0EEEvSY_,"axG",@progbits,_ZN7rocprim17ROCPRIM_400000_NS6detail17trampoline_kernelINS0_13select_configILj256ELj13ELNS0_17block_load_methodE3ELS4_3ELS4_3ELNS0_20block_scan_algorithmE0ELj4294967295EEENS1_25partition_config_selectorILNS1_17partition_subalgoE3EjNS0_10empty_typeEbEEZZNS1_14partition_implILS8_3ELb0ES6_jNS0_17counting_iteratorIjlEEPS9_SE_NS0_5tupleIJPjSE_EEENSF_IJSE_SE_EEES9_SG_JZNS1_25segmented_radix_sort_implINS0_14default_configELb1EPKaPaPKlPlN2at6native12_GLOBAL__N_18offset_tEEE10hipError_tPvRmT1_PNSt15iterator_traitsISY_E10value_typeET2_T3_PNSZ_IS14_E10value_typeET4_jRbjT5_S1A_jjP12ihipStream_tbEUljE_EEESV_SW_SX_S14_S18_S1A_T6_T7_T9_mT8_S1C_bDpT10_ENKUlT_T0_E_clISt17integral_constantIbLb0EES1P_EEDaS1K_S1L_EUlS1K_E_NS1_11comp_targetILNS1_3genE9ELNS1_11target_archE1100ELNS1_3gpuE3ELNS1_3repE0EEENS1_30default_config_static_selectorELNS0_4arch9wavefront6targetE0EEEvSY_,comdat
.Lfunc_end264:
	.size	_ZN7rocprim17ROCPRIM_400000_NS6detail17trampoline_kernelINS0_13select_configILj256ELj13ELNS0_17block_load_methodE3ELS4_3ELS4_3ELNS0_20block_scan_algorithmE0ELj4294967295EEENS1_25partition_config_selectorILNS1_17partition_subalgoE3EjNS0_10empty_typeEbEEZZNS1_14partition_implILS8_3ELb0ES6_jNS0_17counting_iteratorIjlEEPS9_SE_NS0_5tupleIJPjSE_EEENSF_IJSE_SE_EEES9_SG_JZNS1_25segmented_radix_sort_implINS0_14default_configELb1EPKaPaPKlPlN2at6native12_GLOBAL__N_18offset_tEEE10hipError_tPvRmT1_PNSt15iterator_traitsISY_E10value_typeET2_T3_PNSZ_IS14_E10value_typeET4_jRbjT5_S1A_jjP12ihipStream_tbEUljE_EEESV_SW_SX_S14_S18_S1A_T6_T7_T9_mT8_S1C_bDpT10_ENKUlT_T0_E_clISt17integral_constantIbLb0EES1P_EEDaS1K_S1L_EUlS1K_E_NS1_11comp_targetILNS1_3genE9ELNS1_11target_archE1100ELNS1_3gpuE3ELNS1_3repE0EEENS1_30default_config_static_selectorELNS0_4arch9wavefront6targetE0EEEvSY_, .Lfunc_end264-_ZN7rocprim17ROCPRIM_400000_NS6detail17trampoline_kernelINS0_13select_configILj256ELj13ELNS0_17block_load_methodE3ELS4_3ELS4_3ELNS0_20block_scan_algorithmE0ELj4294967295EEENS1_25partition_config_selectorILNS1_17partition_subalgoE3EjNS0_10empty_typeEbEEZZNS1_14partition_implILS8_3ELb0ES6_jNS0_17counting_iteratorIjlEEPS9_SE_NS0_5tupleIJPjSE_EEENSF_IJSE_SE_EEES9_SG_JZNS1_25segmented_radix_sort_implINS0_14default_configELb1EPKaPaPKlPlN2at6native12_GLOBAL__N_18offset_tEEE10hipError_tPvRmT1_PNSt15iterator_traitsISY_E10value_typeET2_T3_PNSZ_IS14_E10value_typeET4_jRbjT5_S1A_jjP12ihipStream_tbEUljE_EEESV_SW_SX_S14_S18_S1A_T6_T7_T9_mT8_S1C_bDpT10_ENKUlT_T0_E_clISt17integral_constantIbLb0EES1P_EEDaS1K_S1L_EUlS1K_E_NS1_11comp_targetILNS1_3genE9ELNS1_11target_archE1100ELNS1_3gpuE3ELNS1_3repE0EEENS1_30default_config_static_selectorELNS0_4arch9wavefront6targetE0EEEvSY_
                                        ; -- End function
	.section	.AMDGPU.csdata,"",@progbits
; Kernel info:
; codeLenInByte = 8864
; NumSgprs: 30
; NumVgprs: 57
; ScratchSize: 0
; MemoryBound: 0
; FloatMode: 240
; IeeeMode: 1
; LDSByteSize: 13324 bytes/workgroup (compile time only)
; SGPRBlocks: 3
; VGPRBlocks: 7
; NumSGPRsForWavesPerEU: 30
; NumVGPRsForWavesPerEU: 57
; Occupancy: 16
; WaveLimiterHint : 0
; COMPUTE_PGM_RSRC2:SCRATCH_EN: 0
; COMPUTE_PGM_RSRC2:USER_SGPR: 15
; COMPUTE_PGM_RSRC2:TRAP_HANDLER: 0
; COMPUTE_PGM_RSRC2:TGID_X_EN: 1
; COMPUTE_PGM_RSRC2:TGID_Y_EN: 0
; COMPUTE_PGM_RSRC2:TGID_Z_EN: 0
; COMPUTE_PGM_RSRC2:TIDIG_COMP_CNT: 0
	.section	.text._ZN7rocprim17ROCPRIM_400000_NS6detail17trampoline_kernelINS0_13select_configILj256ELj13ELNS0_17block_load_methodE3ELS4_3ELS4_3ELNS0_20block_scan_algorithmE0ELj4294967295EEENS1_25partition_config_selectorILNS1_17partition_subalgoE3EjNS0_10empty_typeEbEEZZNS1_14partition_implILS8_3ELb0ES6_jNS0_17counting_iteratorIjlEEPS9_SE_NS0_5tupleIJPjSE_EEENSF_IJSE_SE_EEES9_SG_JZNS1_25segmented_radix_sort_implINS0_14default_configELb1EPKaPaPKlPlN2at6native12_GLOBAL__N_18offset_tEEE10hipError_tPvRmT1_PNSt15iterator_traitsISY_E10value_typeET2_T3_PNSZ_IS14_E10value_typeET4_jRbjT5_S1A_jjP12ihipStream_tbEUljE_EEESV_SW_SX_S14_S18_S1A_T6_T7_T9_mT8_S1C_bDpT10_ENKUlT_T0_E_clISt17integral_constantIbLb0EES1P_EEDaS1K_S1L_EUlS1K_E_NS1_11comp_targetILNS1_3genE8ELNS1_11target_archE1030ELNS1_3gpuE2ELNS1_3repE0EEENS1_30default_config_static_selectorELNS0_4arch9wavefront6targetE0EEEvSY_,"axG",@progbits,_ZN7rocprim17ROCPRIM_400000_NS6detail17trampoline_kernelINS0_13select_configILj256ELj13ELNS0_17block_load_methodE3ELS4_3ELS4_3ELNS0_20block_scan_algorithmE0ELj4294967295EEENS1_25partition_config_selectorILNS1_17partition_subalgoE3EjNS0_10empty_typeEbEEZZNS1_14partition_implILS8_3ELb0ES6_jNS0_17counting_iteratorIjlEEPS9_SE_NS0_5tupleIJPjSE_EEENSF_IJSE_SE_EEES9_SG_JZNS1_25segmented_radix_sort_implINS0_14default_configELb1EPKaPaPKlPlN2at6native12_GLOBAL__N_18offset_tEEE10hipError_tPvRmT1_PNSt15iterator_traitsISY_E10value_typeET2_T3_PNSZ_IS14_E10value_typeET4_jRbjT5_S1A_jjP12ihipStream_tbEUljE_EEESV_SW_SX_S14_S18_S1A_T6_T7_T9_mT8_S1C_bDpT10_ENKUlT_T0_E_clISt17integral_constantIbLb0EES1P_EEDaS1K_S1L_EUlS1K_E_NS1_11comp_targetILNS1_3genE8ELNS1_11target_archE1030ELNS1_3gpuE2ELNS1_3repE0EEENS1_30default_config_static_selectorELNS0_4arch9wavefront6targetE0EEEvSY_,comdat
	.globl	_ZN7rocprim17ROCPRIM_400000_NS6detail17trampoline_kernelINS0_13select_configILj256ELj13ELNS0_17block_load_methodE3ELS4_3ELS4_3ELNS0_20block_scan_algorithmE0ELj4294967295EEENS1_25partition_config_selectorILNS1_17partition_subalgoE3EjNS0_10empty_typeEbEEZZNS1_14partition_implILS8_3ELb0ES6_jNS0_17counting_iteratorIjlEEPS9_SE_NS0_5tupleIJPjSE_EEENSF_IJSE_SE_EEES9_SG_JZNS1_25segmented_radix_sort_implINS0_14default_configELb1EPKaPaPKlPlN2at6native12_GLOBAL__N_18offset_tEEE10hipError_tPvRmT1_PNSt15iterator_traitsISY_E10value_typeET2_T3_PNSZ_IS14_E10value_typeET4_jRbjT5_S1A_jjP12ihipStream_tbEUljE_EEESV_SW_SX_S14_S18_S1A_T6_T7_T9_mT8_S1C_bDpT10_ENKUlT_T0_E_clISt17integral_constantIbLb0EES1P_EEDaS1K_S1L_EUlS1K_E_NS1_11comp_targetILNS1_3genE8ELNS1_11target_archE1030ELNS1_3gpuE2ELNS1_3repE0EEENS1_30default_config_static_selectorELNS0_4arch9wavefront6targetE0EEEvSY_ ; -- Begin function _ZN7rocprim17ROCPRIM_400000_NS6detail17trampoline_kernelINS0_13select_configILj256ELj13ELNS0_17block_load_methodE3ELS4_3ELS4_3ELNS0_20block_scan_algorithmE0ELj4294967295EEENS1_25partition_config_selectorILNS1_17partition_subalgoE3EjNS0_10empty_typeEbEEZZNS1_14partition_implILS8_3ELb0ES6_jNS0_17counting_iteratorIjlEEPS9_SE_NS0_5tupleIJPjSE_EEENSF_IJSE_SE_EEES9_SG_JZNS1_25segmented_radix_sort_implINS0_14default_configELb1EPKaPaPKlPlN2at6native12_GLOBAL__N_18offset_tEEE10hipError_tPvRmT1_PNSt15iterator_traitsISY_E10value_typeET2_T3_PNSZ_IS14_E10value_typeET4_jRbjT5_S1A_jjP12ihipStream_tbEUljE_EEESV_SW_SX_S14_S18_S1A_T6_T7_T9_mT8_S1C_bDpT10_ENKUlT_T0_E_clISt17integral_constantIbLb0EES1P_EEDaS1K_S1L_EUlS1K_E_NS1_11comp_targetILNS1_3genE8ELNS1_11target_archE1030ELNS1_3gpuE2ELNS1_3repE0EEENS1_30default_config_static_selectorELNS0_4arch9wavefront6targetE0EEEvSY_
	.p2align	8
	.type	_ZN7rocprim17ROCPRIM_400000_NS6detail17trampoline_kernelINS0_13select_configILj256ELj13ELNS0_17block_load_methodE3ELS4_3ELS4_3ELNS0_20block_scan_algorithmE0ELj4294967295EEENS1_25partition_config_selectorILNS1_17partition_subalgoE3EjNS0_10empty_typeEbEEZZNS1_14partition_implILS8_3ELb0ES6_jNS0_17counting_iteratorIjlEEPS9_SE_NS0_5tupleIJPjSE_EEENSF_IJSE_SE_EEES9_SG_JZNS1_25segmented_radix_sort_implINS0_14default_configELb1EPKaPaPKlPlN2at6native12_GLOBAL__N_18offset_tEEE10hipError_tPvRmT1_PNSt15iterator_traitsISY_E10value_typeET2_T3_PNSZ_IS14_E10value_typeET4_jRbjT5_S1A_jjP12ihipStream_tbEUljE_EEESV_SW_SX_S14_S18_S1A_T6_T7_T9_mT8_S1C_bDpT10_ENKUlT_T0_E_clISt17integral_constantIbLb0EES1P_EEDaS1K_S1L_EUlS1K_E_NS1_11comp_targetILNS1_3genE8ELNS1_11target_archE1030ELNS1_3gpuE2ELNS1_3repE0EEENS1_30default_config_static_selectorELNS0_4arch9wavefront6targetE0EEEvSY_,@function
_ZN7rocprim17ROCPRIM_400000_NS6detail17trampoline_kernelINS0_13select_configILj256ELj13ELNS0_17block_load_methodE3ELS4_3ELS4_3ELNS0_20block_scan_algorithmE0ELj4294967295EEENS1_25partition_config_selectorILNS1_17partition_subalgoE3EjNS0_10empty_typeEbEEZZNS1_14partition_implILS8_3ELb0ES6_jNS0_17counting_iteratorIjlEEPS9_SE_NS0_5tupleIJPjSE_EEENSF_IJSE_SE_EEES9_SG_JZNS1_25segmented_radix_sort_implINS0_14default_configELb1EPKaPaPKlPlN2at6native12_GLOBAL__N_18offset_tEEE10hipError_tPvRmT1_PNSt15iterator_traitsISY_E10value_typeET2_T3_PNSZ_IS14_E10value_typeET4_jRbjT5_S1A_jjP12ihipStream_tbEUljE_EEESV_SW_SX_S14_S18_S1A_T6_T7_T9_mT8_S1C_bDpT10_ENKUlT_T0_E_clISt17integral_constantIbLb0EES1P_EEDaS1K_S1L_EUlS1K_E_NS1_11comp_targetILNS1_3genE8ELNS1_11target_archE1030ELNS1_3gpuE2ELNS1_3repE0EEENS1_30default_config_static_selectorELNS0_4arch9wavefront6targetE0EEEvSY_: ; @_ZN7rocprim17ROCPRIM_400000_NS6detail17trampoline_kernelINS0_13select_configILj256ELj13ELNS0_17block_load_methodE3ELS4_3ELS4_3ELNS0_20block_scan_algorithmE0ELj4294967295EEENS1_25partition_config_selectorILNS1_17partition_subalgoE3EjNS0_10empty_typeEbEEZZNS1_14partition_implILS8_3ELb0ES6_jNS0_17counting_iteratorIjlEEPS9_SE_NS0_5tupleIJPjSE_EEENSF_IJSE_SE_EEES9_SG_JZNS1_25segmented_radix_sort_implINS0_14default_configELb1EPKaPaPKlPlN2at6native12_GLOBAL__N_18offset_tEEE10hipError_tPvRmT1_PNSt15iterator_traitsISY_E10value_typeET2_T3_PNSZ_IS14_E10value_typeET4_jRbjT5_S1A_jjP12ihipStream_tbEUljE_EEESV_SW_SX_S14_S18_S1A_T6_T7_T9_mT8_S1C_bDpT10_ENKUlT_T0_E_clISt17integral_constantIbLb0EES1P_EEDaS1K_S1L_EUlS1K_E_NS1_11comp_targetILNS1_3genE8ELNS1_11target_archE1030ELNS1_3gpuE2ELNS1_3repE0EEENS1_30default_config_static_selectorELNS0_4arch9wavefront6targetE0EEEvSY_
; %bb.0:
	.section	.rodata,"a",@progbits
	.p2align	6, 0x0
	.amdhsa_kernel _ZN7rocprim17ROCPRIM_400000_NS6detail17trampoline_kernelINS0_13select_configILj256ELj13ELNS0_17block_load_methodE3ELS4_3ELS4_3ELNS0_20block_scan_algorithmE0ELj4294967295EEENS1_25partition_config_selectorILNS1_17partition_subalgoE3EjNS0_10empty_typeEbEEZZNS1_14partition_implILS8_3ELb0ES6_jNS0_17counting_iteratorIjlEEPS9_SE_NS0_5tupleIJPjSE_EEENSF_IJSE_SE_EEES9_SG_JZNS1_25segmented_radix_sort_implINS0_14default_configELb1EPKaPaPKlPlN2at6native12_GLOBAL__N_18offset_tEEE10hipError_tPvRmT1_PNSt15iterator_traitsISY_E10value_typeET2_T3_PNSZ_IS14_E10value_typeET4_jRbjT5_S1A_jjP12ihipStream_tbEUljE_EEESV_SW_SX_S14_S18_S1A_T6_T7_T9_mT8_S1C_bDpT10_ENKUlT_T0_E_clISt17integral_constantIbLb0EES1P_EEDaS1K_S1L_EUlS1K_E_NS1_11comp_targetILNS1_3genE8ELNS1_11target_archE1030ELNS1_3gpuE2ELNS1_3repE0EEENS1_30default_config_static_selectorELNS0_4arch9wavefront6targetE0EEEvSY_
		.amdhsa_group_segment_fixed_size 0
		.amdhsa_private_segment_fixed_size 0
		.amdhsa_kernarg_size 144
		.amdhsa_user_sgpr_count 15
		.amdhsa_user_sgpr_dispatch_ptr 0
		.amdhsa_user_sgpr_queue_ptr 0
		.amdhsa_user_sgpr_kernarg_segment_ptr 1
		.amdhsa_user_sgpr_dispatch_id 0
		.amdhsa_user_sgpr_private_segment_size 0
		.amdhsa_wavefront_size32 1
		.amdhsa_uses_dynamic_stack 0
		.amdhsa_enable_private_segment 0
		.amdhsa_system_sgpr_workgroup_id_x 1
		.amdhsa_system_sgpr_workgroup_id_y 0
		.amdhsa_system_sgpr_workgroup_id_z 0
		.amdhsa_system_sgpr_workgroup_info 0
		.amdhsa_system_vgpr_workitem_id 0
		.amdhsa_next_free_vgpr 1
		.amdhsa_next_free_sgpr 1
		.amdhsa_reserve_vcc 0
		.amdhsa_float_round_mode_32 0
		.amdhsa_float_round_mode_16_64 0
		.amdhsa_float_denorm_mode_32 3
		.amdhsa_float_denorm_mode_16_64 3
		.amdhsa_dx10_clamp 1
		.amdhsa_ieee_mode 1
		.amdhsa_fp16_overflow 0
		.amdhsa_workgroup_processor_mode 1
		.amdhsa_memory_ordered 1
		.amdhsa_forward_progress 0
		.amdhsa_shared_vgpr_count 0
		.amdhsa_exception_fp_ieee_invalid_op 0
		.amdhsa_exception_fp_denorm_src 0
		.amdhsa_exception_fp_ieee_div_zero 0
		.amdhsa_exception_fp_ieee_overflow 0
		.amdhsa_exception_fp_ieee_underflow 0
		.amdhsa_exception_fp_ieee_inexact 0
		.amdhsa_exception_int_div_zero 0
	.end_amdhsa_kernel
	.section	.text._ZN7rocprim17ROCPRIM_400000_NS6detail17trampoline_kernelINS0_13select_configILj256ELj13ELNS0_17block_load_methodE3ELS4_3ELS4_3ELNS0_20block_scan_algorithmE0ELj4294967295EEENS1_25partition_config_selectorILNS1_17partition_subalgoE3EjNS0_10empty_typeEbEEZZNS1_14partition_implILS8_3ELb0ES6_jNS0_17counting_iteratorIjlEEPS9_SE_NS0_5tupleIJPjSE_EEENSF_IJSE_SE_EEES9_SG_JZNS1_25segmented_radix_sort_implINS0_14default_configELb1EPKaPaPKlPlN2at6native12_GLOBAL__N_18offset_tEEE10hipError_tPvRmT1_PNSt15iterator_traitsISY_E10value_typeET2_T3_PNSZ_IS14_E10value_typeET4_jRbjT5_S1A_jjP12ihipStream_tbEUljE_EEESV_SW_SX_S14_S18_S1A_T6_T7_T9_mT8_S1C_bDpT10_ENKUlT_T0_E_clISt17integral_constantIbLb0EES1P_EEDaS1K_S1L_EUlS1K_E_NS1_11comp_targetILNS1_3genE8ELNS1_11target_archE1030ELNS1_3gpuE2ELNS1_3repE0EEENS1_30default_config_static_selectorELNS0_4arch9wavefront6targetE0EEEvSY_,"axG",@progbits,_ZN7rocprim17ROCPRIM_400000_NS6detail17trampoline_kernelINS0_13select_configILj256ELj13ELNS0_17block_load_methodE3ELS4_3ELS4_3ELNS0_20block_scan_algorithmE0ELj4294967295EEENS1_25partition_config_selectorILNS1_17partition_subalgoE3EjNS0_10empty_typeEbEEZZNS1_14partition_implILS8_3ELb0ES6_jNS0_17counting_iteratorIjlEEPS9_SE_NS0_5tupleIJPjSE_EEENSF_IJSE_SE_EEES9_SG_JZNS1_25segmented_radix_sort_implINS0_14default_configELb1EPKaPaPKlPlN2at6native12_GLOBAL__N_18offset_tEEE10hipError_tPvRmT1_PNSt15iterator_traitsISY_E10value_typeET2_T3_PNSZ_IS14_E10value_typeET4_jRbjT5_S1A_jjP12ihipStream_tbEUljE_EEESV_SW_SX_S14_S18_S1A_T6_T7_T9_mT8_S1C_bDpT10_ENKUlT_T0_E_clISt17integral_constantIbLb0EES1P_EEDaS1K_S1L_EUlS1K_E_NS1_11comp_targetILNS1_3genE8ELNS1_11target_archE1030ELNS1_3gpuE2ELNS1_3repE0EEENS1_30default_config_static_selectorELNS0_4arch9wavefront6targetE0EEEvSY_,comdat
.Lfunc_end265:
	.size	_ZN7rocprim17ROCPRIM_400000_NS6detail17trampoline_kernelINS0_13select_configILj256ELj13ELNS0_17block_load_methodE3ELS4_3ELS4_3ELNS0_20block_scan_algorithmE0ELj4294967295EEENS1_25partition_config_selectorILNS1_17partition_subalgoE3EjNS0_10empty_typeEbEEZZNS1_14partition_implILS8_3ELb0ES6_jNS0_17counting_iteratorIjlEEPS9_SE_NS0_5tupleIJPjSE_EEENSF_IJSE_SE_EEES9_SG_JZNS1_25segmented_radix_sort_implINS0_14default_configELb1EPKaPaPKlPlN2at6native12_GLOBAL__N_18offset_tEEE10hipError_tPvRmT1_PNSt15iterator_traitsISY_E10value_typeET2_T3_PNSZ_IS14_E10value_typeET4_jRbjT5_S1A_jjP12ihipStream_tbEUljE_EEESV_SW_SX_S14_S18_S1A_T6_T7_T9_mT8_S1C_bDpT10_ENKUlT_T0_E_clISt17integral_constantIbLb0EES1P_EEDaS1K_S1L_EUlS1K_E_NS1_11comp_targetILNS1_3genE8ELNS1_11target_archE1030ELNS1_3gpuE2ELNS1_3repE0EEENS1_30default_config_static_selectorELNS0_4arch9wavefront6targetE0EEEvSY_, .Lfunc_end265-_ZN7rocprim17ROCPRIM_400000_NS6detail17trampoline_kernelINS0_13select_configILj256ELj13ELNS0_17block_load_methodE3ELS4_3ELS4_3ELNS0_20block_scan_algorithmE0ELj4294967295EEENS1_25partition_config_selectorILNS1_17partition_subalgoE3EjNS0_10empty_typeEbEEZZNS1_14partition_implILS8_3ELb0ES6_jNS0_17counting_iteratorIjlEEPS9_SE_NS0_5tupleIJPjSE_EEENSF_IJSE_SE_EEES9_SG_JZNS1_25segmented_radix_sort_implINS0_14default_configELb1EPKaPaPKlPlN2at6native12_GLOBAL__N_18offset_tEEE10hipError_tPvRmT1_PNSt15iterator_traitsISY_E10value_typeET2_T3_PNSZ_IS14_E10value_typeET4_jRbjT5_S1A_jjP12ihipStream_tbEUljE_EEESV_SW_SX_S14_S18_S1A_T6_T7_T9_mT8_S1C_bDpT10_ENKUlT_T0_E_clISt17integral_constantIbLb0EES1P_EEDaS1K_S1L_EUlS1K_E_NS1_11comp_targetILNS1_3genE8ELNS1_11target_archE1030ELNS1_3gpuE2ELNS1_3repE0EEENS1_30default_config_static_selectorELNS0_4arch9wavefront6targetE0EEEvSY_
                                        ; -- End function
	.section	.AMDGPU.csdata,"",@progbits
; Kernel info:
; codeLenInByte = 0
; NumSgprs: 0
; NumVgprs: 0
; ScratchSize: 0
; MemoryBound: 0
; FloatMode: 240
; IeeeMode: 1
; LDSByteSize: 0 bytes/workgroup (compile time only)
; SGPRBlocks: 0
; VGPRBlocks: 0
; NumSGPRsForWavesPerEU: 1
; NumVGPRsForWavesPerEU: 1
; Occupancy: 16
; WaveLimiterHint : 0
; COMPUTE_PGM_RSRC2:SCRATCH_EN: 0
; COMPUTE_PGM_RSRC2:USER_SGPR: 15
; COMPUTE_PGM_RSRC2:TRAP_HANDLER: 0
; COMPUTE_PGM_RSRC2:TGID_X_EN: 1
; COMPUTE_PGM_RSRC2:TGID_Y_EN: 0
; COMPUTE_PGM_RSRC2:TGID_Z_EN: 0
; COMPUTE_PGM_RSRC2:TIDIG_COMP_CNT: 0
	.section	.text._ZN7rocprim17ROCPRIM_400000_NS6detail17trampoline_kernelINS0_13select_configILj256ELj13ELNS0_17block_load_methodE3ELS4_3ELS4_3ELNS0_20block_scan_algorithmE0ELj4294967295EEENS1_25partition_config_selectorILNS1_17partition_subalgoE3EjNS0_10empty_typeEbEEZZNS1_14partition_implILS8_3ELb0ES6_jNS0_17counting_iteratorIjlEEPS9_SE_NS0_5tupleIJPjSE_EEENSF_IJSE_SE_EEES9_SG_JZNS1_25segmented_radix_sort_implINS0_14default_configELb1EPKaPaPKlPlN2at6native12_GLOBAL__N_18offset_tEEE10hipError_tPvRmT1_PNSt15iterator_traitsISY_E10value_typeET2_T3_PNSZ_IS14_E10value_typeET4_jRbjT5_S1A_jjP12ihipStream_tbEUljE_EEESV_SW_SX_S14_S18_S1A_T6_T7_T9_mT8_S1C_bDpT10_ENKUlT_T0_E_clISt17integral_constantIbLb1EES1P_EEDaS1K_S1L_EUlS1K_E_NS1_11comp_targetILNS1_3genE0ELNS1_11target_archE4294967295ELNS1_3gpuE0ELNS1_3repE0EEENS1_30default_config_static_selectorELNS0_4arch9wavefront6targetE0EEEvSY_,"axG",@progbits,_ZN7rocprim17ROCPRIM_400000_NS6detail17trampoline_kernelINS0_13select_configILj256ELj13ELNS0_17block_load_methodE3ELS4_3ELS4_3ELNS0_20block_scan_algorithmE0ELj4294967295EEENS1_25partition_config_selectorILNS1_17partition_subalgoE3EjNS0_10empty_typeEbEEZZNS1_14partition_implILS8_3ELb0ES6_jNS0_17counting_iteratorIjlEEPS9_SE_NS0_5tupleIJPjSE_EEENSF_IJSE_SE_EEES9_SG_JZNS1_25segmented_radix_sort_implINS0_14default_configELb1EPKaPaPKlPlN2at6native12_GLOBAL__N_18offset_tEEE10hipError_tPvRmT1_PNSt15iterator_traitsISY_E10value_typeET2_T3_PNSZ_IS14_E10value_typeET4_jRbjT5_S1A_jjP12ihipStream_tbEUljE_EEESV_SW_SX_S14_S18_S1A_T6_T7_T9_mT8_S1C_bDpT10_ENKUlT_T0_E_clISt17integral_constantIbLb1EES1P_EEDaS1K_S1L_EUlS1K_E_NS1_11comp_targetILNS1_3genE0ELNS1_11target_archE4294967295ELNS1_3gpuE0ELNS1_3repE0EEENS1_30default_config_static_selectorELNS0_4arch9wavefront6targetE0EEEvSY_,comdat
	.globl	_ZN7rocprim17ROCPRIM_400000_NS6detail17trampoline_kernelINS0_13select_configILj256ELj13ELNS0_17block_load_methodE3ELS4_3ELS4_3ELNS0_20block_scan_algorithmE0ELj4294967295EEENS1_25partition_config_selectorILNS1_17partition_subalgoE3EjNS0_10empty_typeEbEEZZNS1_14partition_implILS8_3ELb0ES6_jNS0_17counting_iteratorIjlEEPS9_SE_NS0_5tupleIJPjSE_EEENSF_IJSE_SE_EEES9_SG_JZNS1_25segmented_radix_sort_implINS0_14default_configELb1EPKaPaPKlPlN2at6native12_GLOBAL__N_18offset_tEEE10hipError_tPvRmT1_PNSt15iterator_traitsISY_E10value_typeET2_T3_PNSZ_IS14_E10value_typeET4_jRbjT5_S1A_jjP12ihipStream_tbEUljE_EEESV_SW_SX_S14_S18_S1A_T6_T7_T9_mT8_S1C_bDpT10_ENKUlT_T0_E_clISt17integral_constantIbLb1EES1P_EEDaS1K_S1L_EUlS1K_E_NS1_11comp_targetILNS1_3genE0ELNS1_11target_archE4294967295ELNS1_3gpuE0ELNS1_3repE0EEENS1_30default_config_static_selectorELNS0_4arch9wavefront6targetE0EEEvSY_ ; -- Begin function _ZN7rocprim17ROCPRIM_400000_NS6detail17trampoline_kernelINS0_13select_configILj256ELj13ELNS0_17block_load_methodE3ELS4_3ELS4_3ELNS0_20block_scan_algorithmE0ELj4294967295EEENS1_25partition_config_selectorILNS1_17partition_subalgoE3EjNS0_10empty_typeEbEEZZNS1_14partition_implILS8_3ELb0ES6_jNS0_17counting_iteratorIjlEEPS9_SE_NS0_5tupleIJPjSE_EEENSF_IJSE_SE_EEES9_SG_JZNS1_25segmented_radix_sort_implINS0_14default_configELb1EPKaPaPKlPlN2at6native12_GLOBAL__N_18offset_tEEE10hipError_tPvRmT1_PNSt15iterator_traitsISY_E10value_typeET2_T3_PNSZ_IS14_E10value_typeET4_jRbjT5_S1A_jjP12ihipStream_tbEUljE_EEESV_SW_SX_S14_S18_S1A_T6_T7_T9_mT8_S1C_bDpT10_ENKUlT_T0_E_clISt17integral_constantIbLb1EES1P_EEDaS1K_S1L_EUlS1K_E_NS1_11comp_targetILNS1_3genE0ELNS1_11target_archE4294967295ELNS1_3gpuE0ELNS1_3repE0EEENS1_30default_config_static_selectorELNS0_4arch9wavefront6targetE0EEEvSY_
	.p2align	8
	.type	_ZN7rocprim17ROCPRIM_400000_NS6detail17trampoline_kernelINS0_13select_configILj256ELj13ELNS0_17block_load_methodE3ELS4_3ELS4_3ELNS0_20block_scan_algorithmE0ELj4294967295EEENS1_25partition_config_selectorILNS1_17partition_subalgoE3EjNS0_10empty_typeEbEEZZNS1_14partition_implILS8_3ELb0ES6_jNS0_17counting_iteratorIjlEEPS9_SE_NS0_5tupleIJPjSE_EEENSF_IJSE_SE_EEES9_SG_JZNS1_25segmented_radix_sort_implINS0_14default_configELb1EPKaPaPKlPlN2at6native12_GLOBAL__N_18offset_tEEE10hipError_tPvRmT1_PNSt15iterator_traitsISY_E10value_typeET2_T3_PNSZ_IS14_E10value_typeET4_jRbjT5_S1A_jjP12ihipStream_tbEUljE_EEESV_SW_SX_S14_S18_S1A_T6_T7_T9_mT8_S1C_bDpT10_ENKUlT_T0_E_clISt17integral_constantIbLb1EES1P_EEDaS1K_S1L_EUlS1K_E_NS1_11comp_targetILNS1_3genE0ELNS1_11target_archE4294967295ELNS1_3gpuE0ELNS1_3repE0EEENS1_30default_config_static_selectorELNS0_4arch9wavefront6targetE0EEEvSY_,@function
_ZN7rocprim17ROCPRIM_400000_NS6detail17trampoline_kernelINS0_13select_configILj256ELj13ELNS0_17block_load_methodE3ELS4_3ELS4_3ELNS0_20block_scan_algorithmE0ELj4294967295EEENS1_25partition_config_selectorILNS1_17partition_subalgoE3EjNS0_10empty_typeEbEEZZNS1_14partition_implILS8_3ELb0ES6_jNS0_17counting_iteratorIjlEEPS9_SE_NS0_5tupleIJPjSE_EEENSF_IJSE_SE_EEES9_SG_JZNS1_25segmented_radix_sort_implINS0_14default_configELb1EPKaPaPKlPlN2at6native12_GLOBAL__N_18offset_tEEE10hipError_tPvRmT1_PNSt15iterator_traitsISY_E10value_typeET2_T3_PNSZ_IS14_E10value_typeET4_jRbjT5_S1A_jjP12ihipStream_tbEUljE_EEESV_SW_SX_S14_S18_S1A_T6_T7_T9_mT8_S1C_bDpT10_ENKUlT_T0_E_clISt17integral_constantIbLb1EES1P_EEDaS1K_S1L_EUlS1K_E_NS1_11comp_targetILNS1_3genE0ELNS1_11target_archE4294967295ELNS1_3gpuE0ELNS1_3repE0EEENS1_30default_config_static_selectorELNS0_4arch9wavefront6targetE0EEEvSY_: ; @_ZN7rocprim17ROCPRIM_400000_NS6detail17trampoline_kernelINS0_13select_configILj256ELj13ELNS0_17block_load_methodE3ELS4_3ELS4_3ELNS0_20block_scan_algorithmE0ELj4294967295EEENS1_25partition_config_selectorILNS1_17partition_subalgoE3EjNS0_10empty_typeEbEEZZNS1_14partition_implILS8_3ELb0ES6_jNS0_17counting_iteratorIjlEEPS9_SE_NS0_5tupleIJPjSE_EEENSF_IJSE_SE_EEES9_SG_JZNS1_25segmented_radix_sort_implINS0_14default_configELb1EPKaPaPKlPlN2at6native12_GLOBAL__N_18offset_tEEE10hipError_tPvRmT1_PNSt15iterator_traitsISY_E10value_typeET2_T3_PNSZ_IS14_E10value_typeET4_jRbjT5_S1A_jjP12ihipStream_tbEUljE_EEESV_SW_SX_S14_S18_S1A_T6_T7_T9_mT8_S1C_bDpT10_ENKUlT_T0_E_clISt17integral_constantIbLb1EES1P_EEDaS1K_S1L_EUlS1K_E_NS1_11comp_targetILNS1_3genE0ELNS1_11target_archE4294967295ELNS1_3gpuE0ELNS1_3repE0EEENS1_30default_config_static_selectorELNS0_4arch9wavefront6targetE0EEEvSY_
; %bb.0:
	.section	.rodata,"a",@progbits
	.p2align	6, 0x0
	.amdhsa_kernel _ZN7rocprim17ROCPRIM_400000_NS6detail17trampoline_kernelINS0_13select_configILj256ELj13ELNS0_17block_load_methodE3ELS4_3ELS4_3ELNS0_20block_scan_algorithmE0ELj4294967295EEENS1_25partition_config_selectorILNS1_17partition_subalgoE3EjNS0_10empty_typeEbEEZZNS1_14partition_implILS8_3ELb0ES6_jNS0_17counting_iteratorIjlEEPS9_SE_NS0_5tupleIJPjSE_EEENSF_IJSE_SE_EEES9_SG_JZNS1_25segmented_radix_sort_implINS0_14default_configELb1EPKaPaPKlPlN2at6native12_GLOBAL__N_18offset_tEEE10hipError_tPvRmT1_PNSt15iterator_traitsISY_E10value_typeET2_T3_PNSZ_IS14_E10value_typeET4_jRbjT5_S1A_jjP12ihipStream_tbEUljE_EEESV_SW_SX_S14_S18_S1A_T6_T7_T9_mT8_S1C_bDpT10_ENKUlT_T0_E_clISt17integral_constantIbLb1EES1P_EEDaS1K_S1L_EUlS1K_E_NS1_11comp_targetILNS1_3genE0ELNS1_11target_archE4294967295ELNS1_3gpuE0ELNS1_3repE0EEENS1_30default_config_static_selectorELNS0_4arch9wavefront6targetE0EEEvSY_
		.amdhsa_group_segment_fixed_size 0
		.amdhsa_private_segment_fixed_size 0
		.amdhsa_kernarg_size 152
		.amdhsa_user_sgpr_count 15
		.amdhsa_user_sgpr_dispatch_ptr 0
		.amdhsa_user_sgpr_queue_ptr 0
		.amdhsa_user_sgpr_kernarg_segment_ptr 1
		.amdhsa_user_sgpr_dispatch_id 0
		.amdhsa_user_sgpr_private_segment_size 0
		.amdhsa_wavefront_size32 1
		.amdhsa_uses_dynamic_stack 0
		.amdhsa_enable_private_segment 0
		.amdhsa_system_sgpr_workgroup_id_x 1
		.amdhsa_system_sgpr_workgroup_id_y 0
		.amdhsa_system_sgpr_workgroup_id_z 0
		.amdhsa_system_sgpr_workgroup_info 0
		.amdhsa_system_vgpr_workitem_id 0
		.amdhsa_next_free_vgpr 1
		.amdhsa_next_free_sgpr 1
		.amdhsa_reserve_vcc 0
		.amdhsa_float_round_mode_32 0
		.amdhsa_float_round_mode_16_64 0
		.amdhsa_float_denorm_mode_32 3
		.amdhsa_float_denorm_mode_16_64 3
		.amdhsa_dx10_clamp 1
		.amdhsa_ieee_mode 1
		.amdhsa_fp16_overflow 0
		.amdhsa_workgroup_processor_mode 1
		.amdhsa_memory_ordered 1
		.amdhsa_forward_progress 0
		.amdhsa_shared_vgpr_count 0
		.amdhsa_exception_fp_ieee_invalid_op 0
		.amdhsa_exception_fp_denorm_src 0
		.amdhsa_exception_fp_ieee_div_zero 0
		.amdhsa_exception_fp_ieee_overflow 0
		.amdhsa_exception_fp_ieee_underflow 0
		.amdhsa_exception_fp_ieee_inexact 0
		.amdhsa_exception_int_div_zero 0
	.end_amdhsa_kernel
	.section	.text._ZN7rocprim17ROCPRIM_400000_NS6detail17trampoline_kernelINS0_13select_configILj256ELj13ELNS0_17block_load_methodE3ELS4_3ELS4_3ELNS0_20block_scan_algorithmE0ELj4294967295EEENS1_25partition_config_selectorILNS1_17partition_subalgoE3EjNS0_10empty_typeEbEEZZNS1_14partition_implILS8_3ELb0ES6_jNS0_17counting_iteratorIjlEEPS9_SE_NS0_5tupleIJPjSE_EEENSF_IJSE_SE_EEES9_SG_JZNS1_25segmented_radix_sort_implINS0_14default_configELb1EPKaPaPKlPlN2at6native12_GLOBAL__N_18offset_tEEE10hipError_tPvRmT1_PNSt15iterator_traitsISY_E10value_typeET2_T3_PNSZ_IS14_E10value_typeET4_jRbjT5_S1A_jjP12ihipStream_tbEUljE_EEESV_SW_SX_S14_S18_S1A_T6_T7_T9_mT8_S1C_bDpT10_ENKUlT_T0_E_clISt17integral_constantIbLb1EES1P_EEDaS1K_S1L_EUlS1K_E_NS1_11comp_targetILNS1_3genE0ELNS1_11target_archE4294967295ELNS1_3gpuE0ELNS1_3repE0EEENS1_30default_config_static_selectorELNS0_4arch9wavefront6targetE0EEEvSY_,"axG",@progbits,_ZN7rocprim17ROCPRIM_400000_NS6detail17trampoline_kernelINS0_13select_configILj256ELj13ELNS0_17block_load_methodE3ELS4_3ELS4_3ELNS0_20block_scan_algorithmE0ELj4294967295EEENS1_25partition_config_selectorILNS1_17partition_subalgoE3EjNS0_10empty_typeEbEEZZNS1_14partition_implILS8_3ELb0ES6_jNS0_17counting_iteratorIjlEEPS9_SE_NS0_5tupleIJPjSE_EEENSF_IJSE_SE_EEES9_SG_JZNS1_25segmented_radix_sort_implINS0_14default_configELb1EPKaPaPKlPlN2at6native12_GLOBAL__N_18offset_tEEE10hipError_tPvRmT1_PNSt15iterator_traitsISY_E10value_typeET2_T3_PNSZ_IS14_E10value_typeET4_jRbjT5_S1A_jjP12ihipStream_tbEUljE_EEESV_SW_SX_S14_S18_S1A_T6_T7_T9_mT8_S1C_bDpT10_ENKUlT_T0_E_clISt17integral_constantIbLb1EES1P_EEDaS1K_S1L_EUlS1K_E_NS1_11comp_targetILNS1_3genE0ELNS1_11target_archE4294967295ELNS1_3gpuE0ELNS1_3repE0EEENS1_30default_config_static_selectorELNS0_4arch9wavefront6targetE0EEEvSY_,comdat
.Lfunc_end266:
	.size	_ZN7rocprim17ROCPRIM_400000_NS6detail17trampoline_kernelINS0_13select_configILj256ELj13ELNS0_17block_load_methodE3ELS4_3ELS4_3ELNS0_20block_scan_algorithmE0ELj4294967295EEENS1_25partition_config_selectorILNS1_17partition_subalgoE3EjNS0_10empty_typeEbEEZZNS1_14partition_implILS8_3ELb0ES6_jNS0_17counting_iteratorIjlEEPS9_SE_NS0_5tupleIJPjSE_EEENSF_IJSE_SE_EEES9_SG_JZNS1_25segmented_radix_sort_implINS0_14default_configELb1EPKaPaPKlPlN2at6native12_GLOBAL__N_18offset_tEEE10hipError_tPvRmT1_PNSt15iterator_traitsISY_E10value_typeET2_T3_PNSZ_IS14_E10value_typeET4_jRbjT5_S1A_jjP12ihipStream_tbEUljE_EEESV_SW_SX_S14_S18_S1A_T6_T7_T9_mT8_S1C_bDpT10_ENKUlT_T0_E_clISt17integral_constantIbLb1EES1P_EEDaS1K_S1L_EUlS1K_E_NS1_11comp_targetILNS1_3genE0ELNS1_11target_archE4294967295ELNS1_3gpuE0ELNS1_3repE0EEENS1_30default_config_static_selectorELNS0_4arch9wavefront6targetE0EEEvSY_, .Lfunc_end266-_ZN7rocprim17ROCPRIM_400000_NS6detail17trampoline_kernelINS0_13select_configILj256ELj13ELNS0_17block_load_methodE3ELS4_3ELS4_3ELNS0_20block_scan_algorithmE0ELj4294967295EEENS1_25partition_config_selectorILNS1_17partition_subalgoE3EjNS0_10empty_typeEbEEZZNS1_14partition_implILS8_3ELb0ES6_jNS0_17counting_iteratorIjlEEPS9_SE_NS0_5tupleIJPjSE_EEENSF_IJSE_SE_EEES9_SG_JZNS1_25segmented_radix_sort_implINS0_14default_configELb1EPKaPaPKlPlN2at6native12_GLOBAL__N_18offset_tEEE10hipError_tPvRmT1_PNSt15iterator_traitsISY_E10value_typeET2_T3_PNSZ_IS14_E10value_typeET4_jRbjT5_S1A_jjP12ihipStream_tbEUljE_EEESV_SW_SX_S14_S18_S1A_T6_T7_T9_mT8_S1C_bDpT10_ENKUlT_T0_E_clISt17integral_constantIbLb1EES1P_EEDaS1K_S1L_EUlS1K_E_NS1_11comp_targetILNS1_3genE0ELNS1_11target_archE4294967295ELNS1_3gpuE0ELNS1_3repE0EEENS1_30default_config_static_selectorELNS0_4arch9wavefront6targetE0EEEvSY_
                                        ; -- End function
	.section	.AMDGPU.csdata,"",@progbits
; Kernel info:
; codeLenInByte = 0
; NumSgprs: 0
; NumVgprs: 0
; ScratchSize: 0
; MemoryBound: 0
; FloatMode: 240
; IeeeMode: 1
; LDSByteSize: 0 bytes/workgroup (compile time only)
; SGPRBlocks: 0
; VGPRBlocks: 0
; NumSGPRsForWavesPerEU: 1
; NumVGPRsForWavesPerEU: 1
; Occupancy: 16
; WaveLimiterHint : 0
; COMPUTE_PGM_RSRC2:SCRATCH_EN: 0
; COMPUTE_PGM_RSRC2:USER_SGPR: 15
; COMPUTE_PGM_RSRC2:TRAP_HANDLER: 0
; COMPUTE_PGM_RSRC2:TGID_X_EN: 1
; COMPUTE_PGM_RSRC2:TGID_Y_EN: 0
; COMPUTE_PGM_RSRC2:TGID_Z_EN: 0
; COMPUTE_PGM_RSRC2:TIDIG_COMP_CNT: 0
	.section	.text._ZN7rocprim17ROCPRIM_400000_NS6detail17trampoline_kernelINS0_13select_configILj256ELj13ELNS0_17block_load_methodE3ELS4_3ELS4_3ELNS0_20block_scan_algorithmE0ELj4294967295EEENS1_25partition_config_selectorILNS1_17partition_subalgoE3EjNS0_10empty_typeEbEEZZNS1_14partition_implILS8_3ELb0ES6_jNS0_17counting_iteratorIjlEEPS9_SE_NS0_5tupleIJPjSE_EEENSF_IJSE_SE_EEES9_SG_JZNS1_25segmented_radix_sort_implINS0_14default_configELb1EPKaPaPKlPlN2at6native12_GLOBAL__N_18offset_tEEE10hipError_tPvRmT1_PNSt15iterator_traitsISY_E10value_typeET2_T3_PNSZ_IS14_E10value_typeET4_jRbjT5_S1A_jjP12ihipStream_tbEUljE_EEESV_SW_SX_S14_S18_S1A_T6_T7_T9_mT8_S1C_bDpT10_ENKUlT_T0_E_clISt17integral_constantIbLb1EES1P_EEDaS1K_S1L_EUlS1K_E_NS1_11comp_targetILNS1_3genE5ELNS1_11target_archE942ELNS1_3gpuE9ELNS1_3repE0EEENS1_30default_config_static_selectorELNS0_4arch9wavefront6targetE0EEEvSY_,"axG",@progbits,_ZN7rocprim17ROCPRIM_400000_NS6detail17trampoline_kernelINS0_13select_configILj256ELj13ELNS0_17block_load_methodE3ELS4_3ELS4_3ELNS0_20block_scan_algorithmE0ELj4294967295EEENS1_25partition_config_selectorILNS1_17partition_subalgoE3EjNS0_10empty_typeEbEEZZNS1_14partition_implILS8_3ELb0ES6_jNS0_17counting_iteratorIjlEEPS9_SE_NS0_5tupleIJPjSE_EEENSF_IJSE_SE_EEES9_SG_JZNS1_25segmented_radix_sort_implINS0_14default_configELb1EPKaPaPKlPlN2at6native12_GLOBAL__N_18offset_tEEE10hipError_tPvRmT1_PNSt15iterator_traitsISY_E10value_typeET2_T3_PNSZ_IS14_E10value_typeET4_jRbjT5_S1A_jjP12ihipStream_tbEUljE_EEESV_SW_SX_S14_S18_S1A_T6_T7_T9_mT8_S1C_bDpT10_ENKUlT_T0_E_clISt17integral_constantIbLb1EES1P_EEDaS1K_S1L_EUlS1K_E_NS1_11comp_targetILNS1_3genE5ELNS1_11target_archE942ELNS1_3gpuE9ELNS1_3repE0EEENS1_30default_config_static_selectorELNS0_4arch9wavefront6targetE0EEEvSY_,comdat
	.globl	_ZN7rocprim17ROCPRIM_400000_NS6detail17trampoline_kernelINS0_13select_configILj256ELj13ELNS0_17block_load_methodE3ELS4_3ELS4_3ELNS0_20block_scan_algorithmE0ELj4294967295EEENS1_25partition_config_selectorILNS1_17partition_subalgoE3EjNS0_10empty_typeEbEEZZNS1_14partition_implILS8_3ELb0ES6_jNS0_17counting_iteratorIjlEEPS9_SE_NS0_5tupleIJPjSE_EEENSF_IJSE_SE_EEES9_SG_JZNS1_25segmented_radix_sort_implINS0_14default_configELb1EPKaPaPKlPlN2at6native12_GLOBAL__N_18offset_tEEE10hipError_tPvRmT1_PNSt15iterator_traitsISY_E10value_typeET2_T3_PNSZ_IS14_E10value_typeET4_jRbjT5_S1A_jjP12ihipStream_tbEUljE_EEESV_SW_SX_S14_S18_S1A_T6_T7_T9_mT8_S1C_bDpT10_ENKUlT_T0_E_clISt17integral_constantIbLb1EES1P_EEDaS1K_S1L_EUlS1K_E_NS1_11comp_targetILNS1_3genE5ELNS1_11target_archE942ELNS1_3gpuE9ELNS1_3repE0EEENS1_30default_config_static_selectorELNS0_4arch9wavefront6targetE0EEEvSY_ ; -- Begin function _ZN7rocprim17ROCPRIM_400000_NS6detail17trampoline_kernelINS0_13select_configILj256ELj13ELNS0_17block_load_methodE3ELS4_3ELS4_3ELNS0_20block_scan_algorithmE0ELj4294967295EEENS1_25partition_config_selectorILNS1_17partition_subalgoE3EjNS0_10empty_typeEbEEZZNS1_14partition_implILS8_3ELb0ES6_jNS0_17counting_iteratorIjlEEPS9_SE_NS0_5tupleIJPjSE_EEENSF_IJSE_SE_EEES9_SG_JZNS1_25segmented_radix_sort_implINS0_14default_configELb1EPKaPaPKlPlN2at6native12_GLOBAL__N_18offset_tEEE10hipError_tPvRmT1_PNSt15iterator_traitsISY_E10value_typeET2_T3_PNSZ_IS14_E10value_typeET4_jRbjT5_S1A_jjP12ihipStream_tbEUljE_EEESV_SW_SX_S14_S18_S1A_T6_T7_T9_mT8_S1C_bDpT10_ENKUlT_T0_E_clISt17integral_constantIbLb1EES1P_EEDaS1K_S1L_EUlS1K_E_NS1_11comp_targetILNS1_3genE5ELNS1_11target_archE942ELNS1_3gpuE9ELNS1_3repE0EEENS1_30default_config_static_selectorELNS0_4arch9wavefront6targetE0EEEvSY_
	.p2align	8
	.type	_ZN7rocprim17ROCPRIM_400000_NS6detail17trampoline_kernelINS0_13select_configILj256ELj13ELNS0_17block_load_methodE3ELS4_3ELS4_3ELNS0_20block_scan_algorithmE0ELj4294967295EEENS1_25partition_config_selectorILNS1_17partition_subalgoE3EjNS0_10empty_typeEbEEZZNS1_14partition_implILS8_3ELb0ES6_jNS0_17counting_iteratorIjlEEPS9_SE_NS0_5tupleIJPjSE_EEENSF_IJSE_SE_EEES9_SG_JZNS1_25segmented_radix_sort_implINS0_14default_configELb1EPKaPaPKlPlN2at6native12_GLOBAL__N_18offset_tEEE10hipError_tPvRmT1_PNSt15iterator_traitsISY_E10value_typeET2_T3_PNSZ_IS14_E10value_typeET4_jRbjT5_S1A_jjP12ihipStream_tbEUljE_EEESV_SW_SX_S14_S18_S1A_T6_T7_T9_mT8_S1C_bDpT10_ENKUlT_T0_E_clISt17integral_constantIbLb1EES1P_EEDaS1K_S1L_EUlS1K_E_NS1_11comp_targetILNS1_3genE5ELNS1_11target_archE942ELNS1_3gpuE9ELNS1_3repE0EEENS1_30default_config_static_selectorELNS0_4arch9wavefront6targetE0EEEvSY_,@function
_ZN7rocprim17ROCPRIM_400000_NS6detail17trampoline_kernelINS0_13select_configILj256ELj13ELNS0_17block_load_methodE3ELS4_3ELS4_3ELNS0_20block_scan_algorithmE0ELj4294967295EEENS1_25partition_config_selectorILNS1_17partition_subalgoE3EjNS0_10empty_typeEbEEZZNS1_14partition_implILS8_3ELb0ES6_jNS0_17counting_iteratorIjlEEPS9_SE_NS0_5tupleIJPjSE_EEENSF_IJSE_SE_EEES9_SG_JZNS1_25segmented_radix_sort_implINS0_14default_configELb1EPKaPaPKlPlN2at6native12_GLOBAL__N_18offset_tEEE10hipError_tPvRmT1_PNSt15iterator_traitsISY_E10value_typeET2_T3_PNSZ_IS14_E10value_typeET4_jRbjT5_S1A_jjP12ihipStream_tbEUljE_EEESV_SW_SX_S14_S18_S1A_T6_T7_T9_mT8_S1C_bDpT10_ENKUlT_T0_E_clISt17integral_constantIbLb1EES1P_EEDaS1K_S1L_EUlS1K_E_NS1_11comp_targetILNS1_3genE5ELNS1_11target_archE942ELNS1_3gpuE9ELNS1_3repE0EEENS1_30default_config_static_selectorELNS0_4arch9wavefront6targetE0EEEvSY_: ; @_ZN7rocprim17ROCPRIM_400000_NS6detail17trampoline_kernelINS0_13select_configILj256ELj13ELNS0_17block_load_methodE3ELS4_3ELS4_3ELNS0_20block_scan_algorithmE0ELj4294967295EEENS1_25partition_config_selectorILNS1_17partition_subalgoE3EjNS0_10empty_typeEbEEZZNS1_14partition_implILS8_3ELb0ES6_jNS0_17counting_iteratorIjlEEPS9_SE_NS0_5tupleIJPjSE_EEENSF_IJSE_SE_EEES9_SG_JZNS1_25segmented_radix_sort_implINS0_14default_configELb1EPKaPaPKlPlN2at6native12_GLOBAL__N_18offset_tEEE10hipError_tPvRmT1_PNSt15iterator_traitsISY_E10value_typeET2_T3_PNSZ_IS14_E10value_typeET4_jRbjT5_S1A_jjP12ihipStream_tbEUljE_EEESV_SW_SX_S14_S18_S1A_T6_T7_T9_mT8_S1C_bDpT10_ENKUlT_T0_E_clISt17integral_constantIbLb1EES1P_EEDaS1K_S1L_EUlS1K_E_NS1_11comp_targetILNS1_3genE5ELNS1_11target_archE942ELNS1_3gpuE9ELNS1_3repE0EEENS1_30default_config_static_selectorELNS0_4arch9wavefront6targetE0EEEvSY_
; %bb.0:
	.section	.rodata,"a",@progbits
	.p2align	6, 0x0
	.amdhsa_kernel _ZN7rocprim17ROCPRIM_400000_NS6detail17trampoline_kernelINS0_13select_configILj256ELj13ELNS0_17block_load_methodE3ELS4_3ELS4_3ELNS0_20block_scan_algorithmE0ELj4294967295EEENS1_25partition_config_selectorILNS1_17partition_subalgoE3EjNS0_10empty_typeEbEEZZNS1_14partition_implILS8_3ELb0ES6_jNS0_17counting_iteratorIjlEEPS9_SE_NS0_5tupleIJPjSE_EEENSF_IJSE_SE_EEES9_SG_JZNS1_25segmented_radix_sort_implINS0_14default_configELb1EPKaPaPKlPlN2at6native12_GLOBAL__N_18offset_tEEE10hipError_tPvRmT1_PNSt15iterator_traitsISY_E10value_typeET2_T3_PNSZ_IS14_E10value_typeET4_jRbjT5_S1A_jjP12ihipStream_tbEUljE_EEESV_SW_SX_S14_S18_S1A_T6_T7_T9_mT8_S1C_bDpT10_ENKUlT_T0_E_clISt17integral_constantIbLb1EES1P_EEDaS1K_S1L_EUlS1K_E_NS1_11comp_targetILNS1_3genE5ELNS1_11target_archE942ELNS1_3gpuE9ELNS1_3repE0EEENS1_30default_config_static_selectorELNS0_4arch9wavefront6targetE0EEEvSY_
		.amdhsa_group_segment_fixed_size 0
		.amdhsa_private_segment_fixed_size 0
		.amdhsa_kernarg_size 152
		.amdhsa_user_sgpr_count 15
		.amdhsa_user_sgpr_dispatch_ptr 0
		.amdhsa_user_sgpr_queue_ptr 0
		.amdhsa_user_sgpr_kernarg_segment_ptr 1
		.amdhsa_user_sgpr_dispatch_id 0
		.amdhsa_user_sgpr_private_segment_size 0
		.amdhsa_wavefront_size32 1
		.amdhsa_uses_dynamic_stack 0
		.amdhsa_enable_private_segment 0
		.amdhsa_system_sgpr_workgroup_id_x 1
		.amdhsa_system_sgpr_workgroup_id_y 0
		.amdhsa_system_sgpr_workgroup_id_z 0
		.amdhsa_system_sgpr_workgroup_info 0
		.amdhsa_system_vgpr_workitem_id 0
		.amdhsa_next_free_vgpr 1
		.amdhsa_next_free_sgpr 1
		.amdhsa_reserve_vcc 0
		.amdhsa_float_round_mode_32 0
		.amdhsa_float_round_mode_16_64 0
		.amdhsa_float_denorm_mode_32 3
		.amdhsa_float_denorm_mode_16_64 3
		.amdhsa_dx10_clamp 1
		.amdhsa_ieee_mode 1
		.amdhsa_fp16_overflow 0
		.amdhsa_workgroup_processor_mode 1
		.amdhsa_memory_ordered 1
		.amdhsa_forward_progress 0
		.amdhsa_shared_vgpr_count 0
		.amdhsa_exception_fp_ieee_invalid_op 0
		.amdhsa_exception_fp_denorm_src 0
		.amdhsa_exception_fp_ieee_div_zero 0
		.amdhsa_exception_fp_ieee_overflow 0
		.amdhsa_exception_fp_ieee_underflow 0
		.amdhsa_exception_fp_ieee_inexact 0
		.amdhsa_exception_int_div_zero 0
	.end_amdhsa_kernel
	.section	.text._ZN7rocprim17ROCPRIM_400000_NS6detail17trampoline_kernelINS0_13select_configILj256ELj13ELNS0_17block_load_methodE3ELS4_3ELS4_3ELNS0_20block_scan_algorithmE0ELj4294967295EEENS1_25partition_config_selectorILNS1_17partition_subalgoE3EjNS0_10empty_typeEbEEZZNS1_14partition_implILS8_3ELb0ES6_jNS0_17counting_iteratorIjlEEPS9_SE_NS0_5tupleIJPjSE_EEENSF_IJSE_SE_EEES9_SG_JZNS1_25segmented_radix_sort_implINS0_14default_configELb1EPKaPaPKlPlN2at6native12_GLOBAL__N_18offset_tEEE10hipError_tPvRmT1_PNSt15iterator_traitsISY_E10value_typeET2_T3_PNSZ_IS14_E10value_typeET4_jRbjT5_S1A_jjP12ihipStream_tbEUljE_EEESV_SW_SX_S14_S18_S1A_T6_T7_T9_mT8_S1C_bDpT10_ENKUlT_T0_E_clISt17integral_constantIbLb1EES1P_EEDaS1K_S1L_EUlS1K_E_NS1_11comp_targetILNS1_3genE5ELNS1_11target_archE942ELNS1_3gpuE9ELNS1_3repE0EEENS1_30default_config_static_selectorELNS0_4arch9wavefront6targetE0EEEvSY_,"axG",@progbits,_ZN7rocprim17ROCPRIM_400000_NS6detail17trampoline_kernelINS0_13select_configILj256ELj13ELNS0_17block_load_methodE3ELS4_3ELS4_3ELNS0_20block_scan_algorithmE0ELj4294967295EEENS1_25partition_config_selectorILNS1_17partition_subalgoE3EjNS0_10empty_typeEbEEZZNS1_14partition_implILS8_3ELb0ES6_jNS0_17counting_iteratorIjlEEPS9_SE_NS0_5tupleIJPjSE_EEENSF_IJSE_SE_EEES9_SG_JZNS1_25segmented_radix_sort_implINS0_14default_configELb1EPKaPaPKlPlN2at6native12_GLOBAL__N_18offset_tEEE10hipError_tPvRmT1_PNSt15iterator_traitsISY_E10value_typeET2_T3_PNSZ_IS14_E10value_typeET4_jRbjT5_S1A_jjP12ihipStream_tbEUljE_EEESV_SW_SX_S14_S18_S1A_T6_T7_T9_mT8_S1C_bDpT10_ENKUlT_T0_E_clISt17integral_constantIbLb1EES1P_EEDaS1K_S1L_EUlS1K_E_NS1_11comp_targetILNS1_3genE5ELNS1_11target_archE942ELNS1_3gpuE9ELNS1_3repE0EEENS1_30default_config_static_selectorELNS0_4arch9wavefront6targetE0EEEvSY_,comdat
.Lfunc_end267:
	.size	_ZN7rocprim17ROCPRIM_400000_NS6detail17trampoline_kernelINS0_13select_configILj256ELj13ELNS0_17block_load_methodE3ELS4_3ELS4_3ELNS0_20block_scan_algorithmE0ELj4294967295EEENS1_25partition_config_selectorILNS1_17partition_subalgoE3EjNS0_10empty_typeEbEEZZNS1_14partition_implILS8_3ELb0ES6_jNS0_17counting_iteratorIjlEEPS9_SE_NS0_5tupleIJPjSE_EEENSF_IJSE_SE_EEES9_SG_JZNS1_25segmented_radix_sort_implINS0_14default_configELb1EPKaPaPKlPlN2at6native12_GLOBAL__N_18offset_tEEE10hipError_tPvRmT1_PNSt15iterator_traitsISY_E10value_typeET2_T3_PNSZ_IS14_E10value_typeET4_jRbjT5_S1A_jjP12ihipStream_tbEUljE_EEESV_SW_SX_S14_S18_S1A_T6_T7_T9_mT8_S1C_bDpT10_ENKUlT_T0_E_clISt17integral_constantIbLb1EES1P_EEDaS1K_S1L_EUlS1K_E_NS1_11comp_targetILNS1_3genE5ELNS1_11target_archE942ELNS1_3gpuE9ELNS1_3repE0EEENS1_30default_config_static_selectorELNS0_4arch9wavefront6targetE0EEEvSY_, .Lfunc_end267-_ZN7rocprim17ROCPRIM_400000_NS6detail17trampoline_kernelINS0_13select_configILj256ELj13ELNS0_17block_load_methodE3ELS4_3ELS4_3ELNS0_20block_scan_algorithmE0ELj4294967295EEENS1_25partition_config_selectorILNS1_17partition_subalgoE3EjNS0_10empty_typeEbEEZZNS1_14partition_implILS8_3ELb0ES6_jNS0_17counting_iteratorIjlEEPS9_SE_NS0_5tupleIJPjSE_EEENSF_IJSE_SE_EEES9_SG_JZNS1_25segmented_radix_sort_implINS0_14default_configELb1EPKaPaPKlPlN2at6native12_GLOBAL__N_18offset_tEEE10hipError_tPvRmT1_PNSt15iterator_traitsISY_E10value_typeET2_T3_PNSZ_IS14_E10value_typeET4_jRbjT5_S1A_jjP12ihipStream_tbEUljE_EEESV_SW_SX_S14_S18_S1A_T6_T7_T9_mT8_S1C_bDpT10_ENKUlT_T0_E_clISt17integral_constantIbLb1EES1P_EEDaS1K_S1L_EUlS1K_E_NS1_11comp_targetILNS1_3genE5ELNS1_11target_archE942ELNS1_3gpuE9ELNS1_3repE0EEENS1_30default_config_static_selectorELNS0_4arch9wavefront6targetE0EEEvSY_
                                        ; -- End function
	.section	.AMDGPU.csdata,"",@progbits
; Kernel info:
; codeLenInByte = 0
; NumSgprs: 0
; NumVgprs: 0
; ScratchSize: 0
; MemoryBound: 0
; FloatMode: 240
; IeeeMode: 1
; LDSByteSize: 0 bytes/workgroup (compile time only)
; SGPRBlocks: 0
; VGPRBlocks: 0
; NumSGPRsForWavesPerEU: 1
; NumVGPRsForWavesPerEU: 1
; Occupancy: 16
; WaveLimiterHint : 0
; COMPUTE_PGM_RSRC2:SCRATCH_EN: 0
; COMPUTE_PGM_RSRC2:USER_SGPR: 15
; COMPUTE_PGM_RSRC2:TRAP_HANDLER: 0
; COMPUTE_PGM_RSRC2:TGID_X_EN: 1
; COMPUTE_PGM_RSRC2:TGID_Y_EN: 0
; COMPUTE_PGM_RSRC2:TGID_Z_EN: 0
; COMPUTE_PGM_RSRC2:TIDIG_COMP_CNT: 0
	.section	.text._ZN7rocprim17ROCPRIM_400000_NS6detail17trampoline_kernelINS0_13select_configILj256ELj13ELNS0_17block_load_methodE3ELS4_3ELS4_3ELNS0_20block_scan_algorithmE0ELj4294967295EEENS1_25partition_config_selectorILNS1_17partition_subalgoE3EjNS0_10empty_typeEbEEZZNS1_14partition_implILS8_3ELb0ES6_jNS0_17counting_iteratorIjlEEPS9_SE_NS0_5tupleIJPjSE_EEENSF_IJSE_SE_EEES9_SG_JZNS1_25segmented_radix_sort_implINS0_14default_configELb1EPKaPaPKlPlN2at6native12_GLOBAL__N_18offset_tEEE10hipError_tPvRmT1_PNSt15iterator_traitsISY_E10value_typeET2_T3_PNSZ_IS14_E10value_typeET4_jRbjT5_S1A_jjP12ihipStream_tbEUljE_EEESV_SW_SX_S14_S18_S1A_T6_T7_T9_mT8_S1C_bDpT10_ENKUlT_T0_E_clISt17integral_constantIbLb1EES1P_EEDaS1K_S1L_EUlS1K_E_NS1_11comp_targetILNS1_3genE4ELNS1_11target_archE910ELNS1_3gpuE8ELNS1_3repE0EEENS1_30default_config_static_selectorELNS0_4arch9wavefront6targetE0EEEvSY_,"axG",@progbits,_ZN7rocprim17ROCPRIM_400000_NS6detail17trampoline_kernelINS0_13select_configILj256ELj13ELNS0_17block_load_methodE3ELS4_3ELS4_3ELNS0_20block_scan_algorithmE0ELj4294967295EEENS1_25partition_config_selectorILNS1_17partition_subalgoE3EjNS0_10empty_typeEbEEZZNS1_14partition_implILS8_3ELb0ES6_jNS0_17counting_iteratorIjlEEPS9_SE_NS0_5tupleIJPjSE_EEENSF_IJSE_SE_EEES9_SG_JZNS1_25segmented_radix_sort_implINS0_14default_configELb1EPKaPaPKlPlN2at6native12_GLOBAL__N_18offset_tEEE10hipError_tPvRmT1_PNSt15iterator_traitsISY_E10value_typeET2_T3_PNSZ_IS14_E10value_typeET4_jRbjT5_S1A_jjP12ihipStream_tbEUljE_EEESV_SW_SX_S14_S18_S1A_T6_T7_T9_mT8_S1C_bDpT10_ENKUlT_T0_E_clISt17integral_constantIbLb1EES1P_EEDaS1K_S1L_EUlS1K_E_NS1_11comp_targetILNS1_3genE4ELNS1_11target_archE910ELNS1_3gpuE8ELNS1_3repE0EEENS1_30default_config_static_selectorELNS0_4arch9wavefront6targetE0EEEvSY_,comdat
	.globl	_ZN7rocprim17ROCPRIM_400000_NS6detail17trampoline_kernelINS0_13select_configILj256ELj13ELNS0_17block_load_methodE3ELS4_3ELS4_3ELNS0_20block_scan_algorithmE0ELj4294967295EEENS1_25partition_config_selectorILNS1_17partition_subalgoE3EjNS0_10empty_typeEbEEZZNS1_14partition_implILS8_3ELb0ES6_jNS0_17counting_iteratorIjlEEPS9_SE_NS0_5tupleIJPjSE_EEENSF_IJSE_SE_EEES9_SG_JZNS1_25segmented_radix_sort_implINS0_14default_configELb1EPKaPaPKlPlN2at6native12_GLOBAL__N_18offset_tEEE10hipError_tPvRmT1_PNSt15iterator_traitsISY_E10value_typeET2_T3_PNSZ_IS14_E10value_typeET4_jRbjT5_S1A_jjP12ihipStream_tbEUljE_EEESV_SW_SX_S14_S18_S1A_T6_T7_T9_mT8_S1C_bDpT10_ENKUlT_T0_E_clISt17integral_constantIbLb1EES1P_EEDaS1K_S1L_EUlS1K_E_NS1_11comp_targetILNS1_3genE4ELNS1_11target_archE910ELNS1_3gpuE8ELNS1_3repE0EEENS1_30default_config_static_selectorELNS0_4arch9wavefront6targetE0EEEvSY_ ; -- Begin function _ZN7rocprim17ROCPRIM_400000_NS6detail17trampoline_kernelINS0_13select_configILj256ELj13ELNS0_17block_load_methodE3ELS4_3ELS4_3ELNS0_20block_scan_algorithmE0ELj4294967295EEENS1_25partition_config_selectorILNS1_17partition_subalgoE3EjNS0_10empty_typeEbEEZZNS1_14partition_implILS8_3ELb0ES6_jNS0_17counting_iteratorIjlEEPS9_SE_NS0_5tupleIJPjSE_EEENSF_IJSE_SE_EEES9_SG_JZNS1_25segmented_radix_sort_implINS0_14default_configELb1EPKaPaPKlPlN2at6native12_GLOBAL__N_18offset_tEEE10hipError_tPvRmT1_PNSt15iterator_traitsISY_E10value_typeET2_T3_PNSZ_IS14_E10value_typeET4_jRbjT5_S1A_jjP12ihipStream_tbEUljE_EEESV_SW_SX_S14_S18_S1A_T6_T7_T9_mT8_S1C_bDpT10_ENKUlT_T0_E_clISt17integral_constantIbLb1EES1P_EEDaS1K_S1L_EUlS1K_E_NS1_11comp_targetILNS1_3genE4ELNS1_11target_archE910ELNS1_3gpuE8ELNS1_3repE0EEENS1_30default_config_static_selectorELNS0_4arch9wavefront6targetE0EEEvSY_
	.p2align	8
	.type	_ZN7rocprim17ROCPRIM_400000_NS6detail17trampoline_kernelINS0_13select_configILj256ELj13ELNS0_17block_load_methodE3ELS4_3ELS4_3ELNS0_20block_scan_algorithmE0ELj4294967295EEENS1_25partition_config_selectorILNS1_17partition_subalgoE3EjNS0_10empty_typeEbEEZZNS1_14partition_implILS8_3ELb0ES6_jNS0_17counting_iteratorIjlEEPS9_SE_NS0_5tupleIJPjSE_EEENSF_IJSE_SE_EEES9_SG_JZNS1_25segmented_radix_sort_implINS0_14default_configELb1EPKaPaPKlPlN2at6native12_GLOBAL__N_18offset_tEEE10hipError_tPvRmT1_PNSt15iterator_traitsISY_E10value_typeET2_T3_PNSZ_IS14_E10value_typeET4_jRbjT5_S1A_jjP12ihipStream_tbEUljE_EEESV_SW_SX_S14_S18_S1A_T6_T7_T9_mT8_S1C_bDpT10_ENKUlT_T0_E_clISt17integral_constantIbLb1EES1P_EEDaS1K_S1L_EUlS1K_E_NS1_11comp_targetILNS1_3genE4ELNS1_11target_archE910ELNS1_3gpuE8ELNS1_3repE0EEENS1_30default_config_static_selectorELNS0_4arch9wavefront6targetE0EEEvSY_,@function
_ZN7rocprim17ROCPRIM_400000_NS6detail17trampoline_kernelINS0_13select_configILj256ELj13ELNS0_17block_load_methodE3ELS4_3ELS4_3ELNS0_20block_scan_algorithmE0ELj4294967295EEENS1_25partition_config_selectorILNS1_17partition_subalgoE3EjNS0_10empty_typeEbEEZZNS1_14partition_implILS8_3ELb0ES6_jNS0_17counting_iteratorIjlEEPS9_SE_NS0_5tupleIJPjSE_EEENSF_IJSE_SE_EEES9_SG_JZNS1_25segmented_radix_sort_implINS0_14default_configELb1EPKaPaPKlPlN2at6native12_GLOBAL__N_18offset_tEEE10hipError_tPvRmT1_PNSt15iterator_traitsISY_E10value_typeET2_T3_PNSZ_IS14_E10value_typeET4_jRbjT5_S1A_jjP12ihipStream_tbEUljE_EEESV_SW_SX_S14_S18_S1A_T6_T7_T9_mT8_S1C_bDpT10_ENKUlT_T0_E_clISt17integral_constantIbLb1EES1P_EEDaS1K_S1L_EUlS1K_E_NS1_11comp_targetILNS1_3genE4ELNS1_11target_archE910ELNS1_3gpuE8ELNS1_3repE0EEENS1_30default_config_static_selectorELNS0_4arch9wavefront6targetE0EEEvSY_: ; @_ZN7rocprim17ROCPRIM_400000_NS6detail17trampoline_kernelINS0_13select_configILj256ELj13ELNS0_17block_load_methodE3ELS4_3ELS4_3ELNS0_20block_scan_algorithmE0ELj4294967295EEENS1_25partition_config_selectorILNS1_17partition_subalgoE3EjNS0_10empty_typeEbEEZZNS1_14partition_implILS8_3ELb0ES6_jNS0_17counting_iteratorIjlEEPS9_SE_NS0_5tupleIJPjSE_EEENSF_IJSE_SE_EEES9_SG_JZNS1_25segmented_radix_sort_implINS0_14default_configELb1EPKaPaPKlPlN2at6native12_GLOBAL__N_18offset_tEEE10hipError_tPvRmT1_PNSt15iterator_traitsISY_E10value_typeET2_T3_PNSZ_IS14_E10value_typeET4_jRbjT5_S1A_jjP12ihipStream_tbEUljE_EEESV_SW_SX_S14_S18_S1A_T6_T7_T9_mT8_S1C_bDpT10_ENKUlT_T0_E_clISt17integral_constantIbLb1EES1P_EEDaS1K_S1L_EUlS1K_E_NS1_11comp_targetILNS1_3genE4ELNS1_11target_archE910ELNS1_3gpuE8ELNS1_3repE0EEENS1_30default_config_static_selectorELNS0_4arch9wavefront6targetE0EEEvSY_
; %bb.0:
	.section	.rodata,"a",@progbits
	.p2align	6, 0x0
	.amdhsa_kernel _ZN7rocprim17ROCPRIM_400000_NS6detail17trampoline_kernelINS0_13select_configILj256ELj13ELNS0_17block_load_methodE3ELS4_3ELS4_3ELNS0_20block_scan_algorithmE0ELj4294967295EEENS1_25partition_config_selectorILNS1_17partition_subalgoE3EjNS0_10empty_typeEbEEZZNS1_14partition_implILS8_3ELb0ES6_jNS0_17counting_iteratorIjlEEPS9_SE_NS0_5tupleIJPjSE_EEENSF_IJSE_SE_EEES9_SG_JZNS1_25segmented_radix_sort_implINS0_14default_configELb1EPKaPaPKlPlN2at6native12_GLOBAL__N_18offset_tEEE10hipError_tPvRmT1_PNSt15iterator_traitsISY_E10value_typeET2_T3_PNSZ_IS14_E10value_typeET4_jRbjT5_S1A_jjP12ihipStream_tbEUljE_EEESV_SW_SX_S14_S18_S1A_T6_T7_T9_mT8_S1C_bDpT10_ENKUlT_T0_E_clISt17integral_constantIbLb1EES1P_EEDaS1K_S1L_EUlS1K_E_NS1_11comp_targetILNS1_3genE4ELNS1_11target_archE910ELNS1_3gpuE8ELNS1_3repE0EEENS1_30default_config_static_selectorELNS0_4arch9wavefront6targetE0EEEvSY_
		.amdhsa_group_segment_fixed_size 0
		.amdhsa_private_segment_fixed_size 0
		.amdhsa_kernarg_size 152
		.amdhsa_user_sgpr_count 15
		.amdhsa_user_sgpr_dispatch_ptr 0
		.amdhsa_user_sgpr_queue_ptr 0
		.amdhsa_user_sgpr_kernarg_segment_ptr 1
		.amdhsa_user_sgpr_dispatch_id 0
		.amdhsa_user_sgpr_private_segment_size 0
		.amdhsa_wavefront_size32 1
		.amdhsa_uses_dynamic_stack 0
		.amdhsa_enable_private_segment 0
		.amdhsa_system_sgpr_workgroup_id_x 1
		.amdhsa_system_sgpr_workgroup_id_y 0
		.amdhsa_system_sgpr_workgroup_id_z 0
		.amdhsa_system_sgpr_workgroup_info 0
		.amdhsa_system_vgpr_workitem_id 0
		.amdhsa_next_free_vgpr 1
		.amdhsa_next_free_sgpr 1
		.amdhsa_reserve_vcc 0
		.amdhsa_float_round_mode_32 0
		.amdhsa_float_round_mode_16_64 0
		.amdhsa_float_denorm_mode_32 3
		.amdhsa_float_denorm_mode_16_64 3
		.amdhsa_dx10_clamp 1
		.amdhsa_ieee_mode 1
		.amdhsa_fp16_overflow 0
		.amdhsa_workgroup_processor_mode 1
		.amdhsa_memory_ordered 1
		.amdhsa_forward_progress 0
		.amdhsa_shared_vgpr_count 0
		.amdhsa_exception_fp_ieee_invalid_op 0
		.amdhsa_exception_fp_denorm_src 0
		.amdhsa_exception_fp_ieee_div_zero 0
		.amdhsa_exception_fp_ieee_overflow 0
		.amdhsa_exception_fp_ieee_underflow 0
		.amdhsa_exception_fp_ieee_inexact 0
		.amdhsa_exception_int_div_zero 0
	.end_amdhsa_kernel
	.section	.text._ZN7rocprim17ROCPRIM_400000_NS6detail17trampoline_kernelINS0_13select_configILj256ELj13ELNS0_17block_load_methodE3ELS4_3ELS4_3ELNS0_20block_scan_algorithmE0ELj4294967295EEENS1_25partition_config_selectorILNS1_17partition_subalgoE3EjNS0_10empty_typeEbEEZZNS1_14partition_implILS8_3ELb0ES6_jNS0_17counting_iteratorIjlEEPS9_SE_NS0_5tupleIJPjSE_EEENSF_IJSE_SE_EEES9_SG_JZNS1_25segmented_radix_sort_implINS0_14default_configELb1EPKaPaPKlPlN2at6native12_GLOBAL__N_18offset_tEEE10hipError_tPvRmT1_PNSt15iterator_traitsISY_E10value_typeET2_T3_PNSZ_IS14_E10value_typeET4_jRbjT5_S1A_jjP12ihipStream_tbEUljE_EEESV_SW_SX_S14_S18_S1A_T6_T7_T9_mT8_S1C_bDpT10_ENKUlT_T0_E_clISt17integral_constantIbLb1EES1P_EEDaS1K_S1L_EUlS1K_E_NS1_11comp_targetILNS1_3genE4ELNS1_11target_archE910ELNS1_3gpuE8ELNS1_3repE0EEENS1_30default_config_static_selectorELNS0_4arch9wavefront6targetE0EEEvSY_,"axG",@progbits,_ZN7rocprim17ROCPRIM_400000_NS6detail17trampoline_kernelINS0_13select_configILj256ELj13ELNS0_17block_load_methodE3ELS4_3ELS4_3ELNS0_20block_scan_algorithmE0ELj4294967295EEENS1_25partition_config_selectorILNS1_17partition_subalgoE3EjNS0_10empty_typeEbEEZZNS1_14partition_implILS8_3ELb0ES6_jNS0_17counting_iteratorIjlEEPS9_SE_NS0_5tupleIJPjSE_EEENSF_IJSE_SE_EEES9_SG_JZNS1_25segmented_radix_sort_implINS0_14default_configELb1EPKaPaPKlPlN2at6native12_GLOBAL__N_18offset_tEEE10hipError_tPvRmT1_PNSt15iterator_traitsISY_E10value_typeET2_T3_PNSZ_IS14_E10value_typeET4_jRbjT5_S1A_jjP12ihipStream_tbEUljE_EEESV_SW_SX_S14_S18_S1A_T6_T7_T9_mT8_S1C_bDpT10_ENKUlT_T0_E_clISt17integral_constantIbLb1EES1P_EEDaS1K_S1L_EUlS1K_E_NS1_11comp_targetILNS1_3genE4ELNS1_11target_archE910ELNS1_3gpuE8ELNS1_3repE0EEENS1_30default_config_static_selectorELNS0_4arch9wavefront6targetE0EEEvSY_,comdat
.Lfunc_end268:
	.size	_ZN7rocprim17ROCPRIM_400000_NS6detail17trampoline_kernelINS0_13select_configILj256ELj13ELNS0_17block_load_methodE3ELS4_3ELS4_3ELNS0_20block_scan_algorithmE0ELj4294967295EEENS1_25partition_config_selectorILNS1_17partition_subalgoE3EjNS0_10empty_typeEbEEZZNS1_14partition_implILS8_3ELb0ES6_jNS0_17counting_iteratorIjlEEPS9_SE_NS0_5tupleIJPjSE_EEENSF_IJSE_SE_EEES9_SG_JZNS1_25segmented_radix_sort_implINS0_14default_configELb1EPKaPaPKlPlN2at6native12_GLOBAL__N_18offset_tEEE10hipError_tPvRmT1_PNSt15iterator_traitsISY_E10value_typeET2_T3_PNSZ_IS14_E10value_typeET4_jRbjT5_S1A_jjP12ihipStream_tbEUljE_EEESV_SW_SX_S14_S18_S1A_T6_T7_T9_mT8_S1C_bDpT10_ENKUlT_T0_E_clISt17integral_constantIbLb1EES1P_EEDaS1K_S1L_EUlS1K_E_NS1_11comp_targetILNS1_3genE4ELNS1_11target_archE910ELNS1_3gpuE8ELNS1_3repE0EEENS1_30default_config_static_selectorELNS0_4arch9wavefront6targetE0EEEvSY_, .Lfunc_end268-_ZN7rocprim17ROCPRIM_400000_NS6detail17trampoline_kernelINS0_13select_configILj256ELj13ELNS0_17block_load_methodE3ELS4_3ELS4_3ELNS0_20block_scan_algorithmE0ELj4294967295EEENS1_25partition_config_selectorILNS1_17partition_subalgoE3EjNS0_10empty_typeEbEEZZNS1_14partition_implILS8_3ELb0ES6_jNS0_17counting_iteratorIjlEEPS9_SE_NS0_5tupleIJPjSE_EEENSF_IJSE_SE_EEES9_SG_JZNS1_25segmented_radix_sort_implINS0_14default_configELb1EPKaPaPKlPlN2at6native12_GLOBAL__N_18offset_tEEE10hipError_tPvRmT1_PNSt15iterator_traitsISY_E10value_typeET2_T3_PNSZ_IS14_E10value_typeET4_jRbjT5_S1A_jjP12ihipStream_tbEUljE_EEESV_SW_SX_S14_S18_S1A_T6_T7_T9_mT8_S1C_bDpT10_ENKUlT_T0_E_clISt17integral_constantIbLb1EES1P_EEDaS1K_S1L_EUlS1K_E_NS1_11comp_targetILNS1_3genE4ELNS1_11target_archE910ELNS1_3gpuE8ELNS1_3repE0EEENS1_30default_config_static_selectorELNS0_4arch9wavefront6targetE0EEEvSY_
                                        ; -- End function
	.section	.AMDGPU.csdata,"",@progbits
; Kernel info:
; codeLenInByte = 0
; NumSgprs: 0
; NumVgprs: 0
; ScratchSize: 0
; MemoryBound: 0
; FloatMode: 240
; IeeeMode: 1
; LDSByteSize: 0 bytes/workgroup (compile time only)
; SGPRBlocks: 0
; VGPRBlocks: 0
; NumSGPRsForWavesPerEU: 1
; NumVGPRsForWavesPerEU: 1
; Occupancy: 16
; WaveLimiterHint : 0
; COMPUTE_PGM_RSRC2:SCRATCH_EN: 0
; COMPUTE_PGM_RSRC2:USER_SGPR: 15
; COMPUTE_PGM_RSRC2:TRAP_HANDLER: 0
; COMPUTE_PGM_RSRC2:TGID_X_EN: 1
; COMPUTE_PGM_RSRC2:TGID_Y_EN: 0
; COMPUTE_PGM_RSRC2:TGID_Z_EN: 0
; COMPUTE_PGM_RSRC2:TIDIG_COMP_CNT: 0
	.section	.text._ZN7rocprim17ROCPRIM_400000_NS6detail17trampoline_kernelINS0_13select_configILj256ELj13ELNS0_17block_load_methodE3ELS4_3ELS4_3ELNS0_20block_scan_algorithmE0ELj4294967295EEENS1_25partition_config_selectorILNS1_17partition_subalgoE3EjNS0_10empty_typeEbEEZZNS1_14partition_implILS8_3ELb0ES6_jNS0_17counting_iteratorIjlEEPS9_SE_NS0_5tupleIJPjSE_EEENSF_IJSE_SE_EEES9_SG_JZNS1_25segmented_radix_sort_implINS0_14default_configELb1EPKaPaPKlPlN2at6native12_GLOBAL__N_18offset_tEEE10hipError_tPvRmT1_PNSt15iterator_traitsISY_E10value_typeET2_T3_PNSZ_IS14_E10value_typeET4_jRbjT5_S1A_jjP12ihipStream_tbEUljE_EEESV_SW_SX_S14_S18_S1A_T6_T7_T9_mT8_S1C_bDpT10_ENKUlT_T0_E_clISt17integral_constantIbLb1EES1P_EEDaS1K_S1L_EUlS1K_E_NS1_11comp_targetILNS1_3genE3ELNS1_11target_archE908ELNS1_3gpuE7ELNS1_3repE0EEENS1_30default_config_static_selectorELNS0_4arch9wavefront6targetE0EEEvSY_,"axG",@progbits,_ZN7rocprim17ROCPRIM_400000_NS6detail17trampoline_kernelINS0_13select_configILj256ELj13ELNS0_17block_load_methodE3ELS4_3ELS4_3ELNS0_20block_scan_algorithmE0ELj4294967295EEENS1_25partition_config_selectorILNS1_17partition_subalgoE3EjNS0_10empty_typeEbEEZZNS1_14partition_implILS8_3ELb0ES6_jNS0_17counting_iteratorIjlEEPS9_SE_NS0_5tupleIJPjSE_EEENSF_IJSE_SE_EEES9_SG_JZNS1_25segmented_radix_sort_implINS0_14default_configELb1EPKaPaPKlPlN2at6native12_GLOBAL__N_18offset_tEEE10hipError_tPvRmT1_PNSt15iterator_traitsISY_E10value_typeET2_T3_PNSZ_IS14_E10value_typeET4_jRbjT5_S1A_jjP12ihipStream_tbEUljE_EEESV_SW_SX_S14_S18_S1A_T6_T7_T9_mT8_S1C_bDpT10_ENKUlT_T0_E_clISt17integral_constantIbLb1EES1P_EEDaS1K_S1L_EUlS1K_E_NS1_11comp_targetILNS1_3genE3ELNS1_11target_archE908ELNS1_3gpuE7ELNS1_3repE0EEENS1_30default_config_static_selectorELNS0_4arch9wavefront6targetE0EEEvSY_,comdat
	.globl	_ZN7rocprim17ROCPRIM_400000_NS6detail17trampoline_kernelINS0_13select_configILj256ELj13ELNS0_17block_load_methodE3ELS4_3ELS4_3ELNS0_20block_scan_algorithmE0ELj4294967295EEENS1_25partition_config_selectorILNS1_17partition_subalgoE3EjNS0_10empty_typeEbEEZZNS1_14partition_implILS8_3ELb0ES6_jNS0_17counting_iteratorIjlEEPS9_SE_NS0_5tupleIJPjSE_EEENSF_IJSE_SE_EEES9_SG_JZNS1_25segmented_radix_sort_implINS0_14default_configELb1EPKaPaPKlPlN2at6native12_GLOBAL__N_18offset_tEEE10hipError_tPvRmT1_PNSt15iterator_traitsISY_E10value_typeET2_T3_PNSZ_IS14_E10value_typeET4_jRbjT5_S1A_jjP12ihipStream_tbEUljE_EEESV_SW_SX_S14_S18_S1A_T6_T7_T9_mT8_S1C_bDpT10_ENKUlT_T0_E_clISt17integral_constantIbLb1EES1P_EEDaS1K_S1L_EUlS1K_E_NS1_11comp_targetILNS1_3genE3ELNS1_11target_archE908ELNS1_3gpuE7ELNS1_3repE0EEENS1_30default_config_static_selectorELNS0_4arch9wavefront6targetE0EEEvSY_ ; -- Begin function _ZN7rocprim17ROCPRIM_400000_NS6detail17trampoline_kernelINS0_13select_configILj256ELj13ELNS0_17block_load_methodE3ELS4_3ELS4_3ELNS0_20block_scan_algorithmE0ELj4294967295EEENS1_25partition_config_selectorILNS1_17partition_subalgoE3EjNS0_10empty_typeEbEEZZNS1_14partition_implILS8_3ELb0ES6_jNS0_17counting_iteratorIjlEEPS9_SE_NS0_5tupleIJPjSE_EEENSF_IJSE_SE_EEES9_SG_JZNS1_25segmented_radix_sort_implINS0_14default_configELb1EPKaPaPKlPlN2at6native12_GLOBAL__N_18offset_tEEE10hipError_tPvRmT1_PNSt15iterator_traitsISY_E10value_typeET2_T3_PNSZ_IS14_E10value_typeET4_jRbjT5_S1A_jjP12ihipStream_tbEUljE_EEESV_SW_SX_S14_S18_S1A_T6_T7_T9_mT8_S1C_bDpT10_ENKUlT_T0_E_clISt17integral_constantIbLb1EES1P_EEDaS1K_S1L_EUlS1K_E_NS1_11comp_targetILNS1_3genE3ELNS1_11target_archE908ELNS1_3gpuE7ELNS1_3repE0EEENS1_30default_config_static_selectorELNS0_4arch9wavefront6targetE0EEEvSY_
	.p2align	8
	.type	_ZN7rocprim17ROCPRIM_400000_NS6detail17trampoline_kernelINS0_13select_configILj256ELj13ELNS0_17block_load_methodE3ELS4_3ELS4_3ELNS0_20block_scan_algorithmE0ELj4294967295EEENS1_25partition_config_selectorILNS1_17partition_subalgoE3EjNS0_10empty_typeEbEEZZNS1_14partition_implILS8_3ELb0ES6_jNS0_17counting_iteratorIjlEEPS9_SE_NS0_5tupleIJPjSE_EEENSF_IJSE_SE_EEES9_SG_JZNS1_25segmented_radix_sort_implINS0_14default_configELb1EPKaPaPKlPlN2at6native12_GLOBAL__N_18offset_tEEE10hipError_tPvRmT1_PNSt15iterator_traitsISY_E10value_typeET2_T3_PNSZ_IS14_E10value_typeET4_jRbjT5_S1A_jjP12ihipStream_tbEUljE_EEESV_SW_SX_S14_S18_S1A_T6_T7_T9_mT8_S1C_bDpT10_ENKUlT_T0_E_clISt17integral_constantIbLb1EES1P_EEDaS1K_S1L_EUlS1K_E_NS1_11comp_targetILNS1_3genE3ELNS1_11target_archE908ELNS1_3gpuE7ELNS1_3repE0EEENS1_30default_config_static_selectorELNS0_4arch9wavefront6targetE0EEEvSY_,@function
_ZN7rocprim17ROCPRIM_400000_NS6detail17trampoline_kernelINS0_13select_configILj256ELj13ELNS0_17block_load_methodE3ELS4_3ELS4_3ELNS0_20block_scan_algorithmE0ELj4294967295EEENS1_25partition_config_selectorILNS1_17partition_subalgoE3EjNS0_10empty_typeEbEEZZNS1_14partition_implILS8_3ELb0ES6_jNS0_17counting_iteratorIjlEEPS9_SE_NS0_5tupleIJPjSE_EEENSF_IJSE_SE_EEES9_SG_JZNS1_25segmented_radix_sort_implINS0_14default_configELb1EPKaPaPKlPlN2at6native12_GLOBAL__N_18offset_tEEE10hipError_tPvRmT1_PNSt15iterator_traitsISY_E10value_typeET2_T3_PNSZ_IS14_E10value_typeET4_jRbjT5_S1A_jjP12ihipStream_tbEUljE_EEESV_SW_SX_S14_S18_S1A_T6_T7_T9_mT8_S1C_bDpT10_ENKUlT_T0_E_clISt17integral_constantIbLb1EES1P_EEDaS1K_S1L_EUlS1K_E_NS1_11comp_targetILNS1_3genE3ELNS1_11target_archE908ELNS1_3gpuE7ELNS1_3repE0EEENS1_30default_config_static_selectorELNS0_4arch9wavefront6targetE0EEEvSY_: ; @_ZN7rocprim17ROCPRIM_400000_NS6detail17trampoline_kernelINS0_13select_configILj256ELj13ELNS0_17block_load_methodE3ELS4_3ELS4_3ELNS0_20block_scan_algorithmE0ELj4294967295EEENS1_25partition_config_selectorILNS1_17partition_subalgoE3EjNS0_10empty_typeEbEEZZNS1_14partition_implILS8_3ELb0ES6_jNS0_17counting_iteratorIjlEEPS9_SE_NS0_5tupleIJPjSE_EEENSF_IJSE_SE_EEES9_SG_JZNS1_25segmented_radix_sort_implINS0_14default_configELb1EPKaPaPKlPlN2at6native12_GLOBAL__N_18offset_tEEE10hipError_tPvRmT1_PNSt15iterator_traitsISY_E10value_typeET2_T3_PNSZ_IS14_E10value_typeET4_jRbjT5_S1A_jjP12ihipStream_tbEUljE_EEESV_SW_SX_S14_S18_S1A_T6_T7_T9_mT8_S1C_bDpT10_ENKUlT_T0_E_clISt17integral_constantIbLb1EES1P_EEDaS1K_S1L_EUlS1K_E_NS1_11comp_targetILNS1_3genE3ELNS1_11target_archE908ELNS1_3gpuE7ELNS1_3repE0EEENS1_30default_config_static_selectorELNS0_4arch9wavefront6targetE0EEEvSY_
; %bb.0:
	.section	.rodata,"a",@progbits
	.p2align	6, 0x0
	.amdhsa_kernel _ZN7rocprim17ROCPRIM_400000_NS6detail17trampoline_kernelINS0_13select_configILj256ELj13ELNS0_17block_load_methodE3ELS4_3ELS4_3ELNS0_20block_scan_algorithmE0ELj4294967295EEENS1_25partition_config_selectorILNS1_17partition_subalgoE3EjNS0_10empty_typeEbEEZZNS1_14partition_implILS8_3ELb0ES6_jNS0_17counting_iteratorIjlEEPS9_SE_NS0_5tupleIJPjSE_EEENSF_IJSE_SE_EEES9_SG_JZNS1_25segmented_radix_sort_implINS0_14default_configELb1EPKaPaPKlPlN2at6native12_GLOBAL__N_18offset_tEEE10hipError_tPvRmT1_PNSt15iterator_traitsISY_E10value_typeET2_T3_PNSZ_IS14_E10value_typeET4_jRbjT5_S1A_jjP12ihipStream_tbEUljE_EEESV_SW_SX_S14_S18_S1A_T6_T7_T9_mT8_S1C_bDpT10_ENKUlT_T0_E_clISt17integral_constantIbLb1EES1P_EEDaS1K_S1L_EUlS1K_E_NS1_11comp_targetILNS1_3genE3ELNS1_11target_archE908ELNS1_3gpuE7ELNS1_3repE0EEENS1_30default_config_static_selectorELNS0_4arch9wavefront6targetE0EEEvSY_
		.amdhsa_group_segment_fixed_size 0
		.amdhsa_private_segment_fixed_size 0
		.amdhsa_kernarg_size 152
		.amdhsa_user_sgpr_count 15
		.amdhsa_user_sgpr_dispatch_ptr 0
		.amdhsa_user_sgpr_queue_ptr 0
		.amdhsa_user_sgpr_kernarg_segment_ptr 1
		.amdhsa_user_sgpr_dispatch_id 0
		.amdhsa_user_sgpr_private_segment_size 0
		.amdhsa_wavefront_size32 1
		.amdhsa_uses_dynamic_stack 0
		.amdhsa_enable_private_segment 0
		.amdhsa_system_sgpr_workgroup_id_x 1
		.amdhsa_system_sgpr_workgroup_id_y 0
		.amdhsa_system_sgpr_workgroup_id_z 0
		.amdhsa_system_sgpr_workgroup_info 0
		.amdhsa_system_vgpr_workitem_id 0
		.amdhsa_next_free_vgpr 1
		.amdhsa_next_free_sgpr 1
		.amdhsa_reserve_vcc 0
		.amdhsa_float_round_mode_32 0
		.amdhsa_float_round_mode_16_64 0
		.amdhsa_float_denorm_mode_32 3
		.amdhsa_float_denorm_mode_16_64 3
		.amdhsa_dx10_clamp 1
		.amdhsa_ieee_mode 1
		.amdhsa_fp16_overflow 0
		.amdhsa_workgroup_processor_mode 1
		.amdhsa_memory_ordered 1
		.amdhsa_forward_progress 0
		.amdhsa_shared_vgpr_count 0
		.amdhsa_exception_fp_ieee_invalid_op 0
		.amdhsa_exception_fp_denorm_src 0
		.amdhsa_exception_fp_ieee_div_zero 0
		.amdhsa_exception_fp_ieee_overflow 0
		.amdhsa_exception_fp_ieee_underflow 0
		.amdhsa_exception_fp_ieee_inexact 0
		.amdhsa_exception_int_div_zero 0
	.end_amdhsa_kernel
	.section	.text._ZN7rocprim17ROCPRIM_400000_NS6detail17trampoline_kernelINS0_13select_configILj256ELj13ELNS0_17block_load_methodE3ELS4_3ELS4_3ELNS0_20block_scan_algorithmE0ELj4294967295EEENS1_25partition_config_selectorILNS1_17partition_subalgoE3EjNS0_10empty_typeEbEEZZNS1_14partition_implILS8_3ELb0ES6_jNS0_17counting_iteratorIjlEEPS9_SE_NS0_5tupleIJPjSE_EEENSF_IJSE_SE_EEES9_SG_JZNS1_25segmented_radix_sort_implINS0_14default_configELb1EPKaPaPKlPlN2at6native12_GLOBAL__N_18offset_tEEE10hipError_tPvRmT1_PNSt15iterator_traitsISY_E10value_typeET2_T3_PNSZ_IS14_E10value_typeET4_jRbjT5_S1A_jjP12ihipStream_tbEUljE_EEESV_SW_SX_S14_S18_S1A_T6_T7_T9_mT8_S1C_bDpT10_ENKUlT_T0_E_clISt17integral_constantIbLb1EES1P_EEDaS1K_S1L_EUlS1K_E_NS1_11comp_targetILNS1_3genE3ELNS1_11target_archE908ELNS1_3gpuE7ELNS1_3repE0EEENS1_30default_config_static_selectorELNS0_4arch9wavefront6targetE0EEEvSY_,"axG",@progbits,_ZN7rocprim17ROCPRIM_400000_NS6detail17trampoline_kernelINS0_13select_configILj256ELj13ELNS0_17block_load_methodE3ELS4_3ELS4_3ELNS0_20block_scan_algorithmE0ELj4294967295EEENS1_25partition_config_selectorILNS1_17partition_subalgoE3EjNS0_10empty_typeEbEEZZNS1_14partition_implILS8_3ELb0ES6_jNS0_17counting_iteratorIjlEEPS9_SE_NS0_5tupleIJPjSE_EEENSF_IJSE_SE_EEES9_SG_JZNS1_25segmented_radix_sort_implINS0_14default_configELb1EPKaPaPKlPlN2at6native12_GLOBAL__N_18offset_tEEE10hipError_tPvRmT1_PNSt15iterator_traitsISY_E10value_typeET2_T3_PNSZ_IS14_E10value_typeET4_jRbjT5_S1A_jjP12ihipStream_tbEUljE_EEESV_SW_SX_S14_S18_S1A_T6_T7_T9_mT8_S1C_bDpT10_ENKUlT_T0_E_clISt17integral_constantIbLb1EES1P_EEDaS1K_S1L_EUlS1K_E_NS1_11comp_targetILNS1_3genE3ELNS1_11target_archE908ELNS1_3gpuE7ELNS1_3repE0EEENS1_30default_config_static_selectorELNS0_4arch9wavefront6targetE0EEEvSY_,comdat
.Lfunc_end269:
	.size	_ZN7rocprim17ROCPRIM_400000_NS6detail17trampoline_kernelINS0_13select_configILj256ELj13ELNS0_17block_load_methodE3ELS4_3ELS4_3ELNS0_20block_scan_algorithmE0ELj4294967295EEENS1_25partition_config_selectorILNS1_17partition_subalgoE3EjNS0_10empty_typeEbEEZZNS1_14partition_implILS8_3ELb0ES6_jNS0_17counting_iteratorIjlEEPS9_SE_NS0_5tupleIJPjSE_EEENSF_IJSE_SE_EEES9_SG_JZNS1_25segmented_radix_sort_implINS0_14default_configELb1EPKaPaPKlPlN2at6native12_GLOBAL__N_18offset_tEEE10hipError_tPvRmT1_PNSt15iterator_traitsISY_E10value_typeET2_T3_PNSZ_IS14_E10value_typeET4_jRbjT5_S1A_jjP12ihipStream_tbEUljE_EEESV_SW_SX_S14_S18_S1A_T6_T7_T9_mT8_S1C_bDpT10_ENKUlT_T0_E_clISt17integral_constantIbLb1EES1P_EEDaS1K_S1L_EUlS1K_E_NS1_11comp_targetILNS1_3genE3ELNS1_11target_archE908ELNS1_3gpuE7ELNS1_3repE0EEENS1_30default_config_static_selectorELNS0_4arch9wavefront6targetE0EEEvSY_, .Lfunc_end269-_ZN7rocprim17ROCPRIM_400000_NS6detail17trampoline_kernelINS0_13select_configILj256ELj13ELNS0_17block_load_methodE3ELS4_3ELS4_3ELNS0_20block_scan_algorithmE0ELj4294967295EEENS1_25partition_config_selectorILNS1_17partition_subalgoE3EjNS0_10empty_typeEbEEZZNS1_14partition_implILS8_3ELb0ES6_jNS0_17counting_iteratorIjlEEPS9_SE_NS0_5tupleIJPjSE_EEENSF_IJSE_SE_EEES9_SG_JZNS1_25segmented_radix_sort_implINS0_14default_configELb1EPKaPaPKlPlN2at6native12_GLOBAL__N_18offset_tEEE10hipError_tPvRmT1_PNSt15iterator_traitsISY_E10value_typeET2_T3_PNSZ_IS14_E10value_typeET4_jRbjT5_S1A_jjP12ihipStream_tbEUljE_EEESV_SW_SX_S14_S18_S1A_T6_T7_T9_mT8_S1C_bDpT10_ENKUlT_T0_E_clISt17integral_constantIbLb1EES1P_EEDaS1K_S1L_EUlS1K_E_NS1_11comp_targetILNS1_3genE3ELNS1_11target_archE908ELNS1_3gpuE7ELNS1_3repE0EEENS1_30default_config_static_selectorELNS0_4arch9wavefront6targetE0EEEvSY_
                                        ; -- End function
	.section	.AMDGPU.csdata,"",@progbits
; Kernel info:
; codeLenInByte = 0
; NumSgprs: 0
; NumVgprs: 0
; ScratchSize: 0
; MemoryBound: 0
; FloatMode: 240
; IeeeMode: 1
; LDSByteSize: 0 bytes/workgroup (compile time only)
; SGPRBlocks: 0
; VGPRBlocks: 0
; NumSGPRsForWavesPerEU: 1
; NumVGPRsForWavesPerEU: 1
; Occupancy: 16
; WaveLimiterHint : 0
; COMPUTE_PGM_RSRC2:SCRATCH_EN: 0
; COMPUTE_PGM_RSRC2:USER_SGPR: 15
; COMPUTE_PGM_RSRC2:TRAP_HANDLER: 0
; COMPUTE_PGM_RSRC2:TGID_X_EN: 1
; COMPUTE_PGM_RSRC2:TGID_Y_EN: 0
; COMPUTE_PGM_RSRC2:TGID_Z_EN: 0
; COMPUTE_PGM_RSRC2:TIDIG_COMP_CNT: 0
	.section	.text._ZN7rocprim17ROCPRIM_400000_NS6detail17trampoline_kernelINS0_13select_configILj256ELj13ELNS0_17block_load_methodE3ELS4_3ELS4_3ELNS0_20block_scan_algorithmE0ELj4294967295EEENS1_25partition_config_selectorILNS1_17partition_subalgoE3EjNS0_10empty_typeEbEEZZNS1_14partition_implILS8_3ELb0ES6_jNS0_17counting_iteratorIjlEEPS9_SE_NS0_5tupleIJPjSE_EEENSF_IJSE_SE_EEES9_SG_JZNS1_25segmented_radix_sort_implINS0_14default_configELb1EPKaPaPKlPlN2at6native12_GLOBAL__N_18offset_tEEE10hipError_tPvRmT1_PNSt15iterator_traitsISY_E10value_typeET2_T3_PNSZ_IS14_E10value_typeET4_jRbjT5_S1A_jjP12ihipStream_tbEUljE_EEESV_SW_SX_S14_S18_S1A_T6_T7_T9_mT8_S1C_bDpT10_ENKUlT_T0_E_clISt17integral_constantIbLb1EES1P_EEDaS1K_S1L_EUlS1K_E_NS1_11comp_targetILNS1_3genE2ELNS1_11target_archE906ELNS1_3gpuE6ELNS1_3repE0EEENS1_30default_config_static_selectorELNS0_4arch9wavefront6targetE0EEEvSY_,"axG",@progbits,_ZN7rocprim17ROCPRIM_400000_NS6detail17trampoline_kernelINS0_13select_configILj256ELj13ELNS0_17block_load_methodE3ELS4_3ELS4_3ELNS0_20block_scan_algorithmE0ELj4294967295EEENS1_25partition_config_selectorILNS1_17partition_subalgoE3EjNS0_10empty_typeEbEEZZNS1_14partition_implILS8_3ELb0ES6_jNS0_17counting_iteratorIjlEEPS9_SE_NS0_5tupleIJPjSE_EEENSF_IJSE_SE_EEES9_SG_JZNS1_25segmented_radix_sort_implINS0_14default_configELb1EPKaPaPKlPlN2at6native12_GLOBAL__N_18offset_tEEE10hipError_tPvRmT1_PNSt15iterator_traitsISY_E10value_typeET2_T3_PNSZ_IS14_E10value_typeET4_jRbjT5_S1A_jjP12ihipStream_tbEUljE_EEESV_SW_SX_S14_S18_S1A_T6_T7_T9_mT8_S1C_bDpT10_ENKUlT_T0_E_clISt17integral_constantIbLb1EES1P_EEDaS1K_S1L_EUlS1K_E_NS1_11comp_targetILNS1_3genE2ELNS1_11target_archE906ELNS1_3gpuE6ELNS1_3repE0EEENS1_30default_config_static_selectorELNS0_4arch9wavefront6targetE0EEEvSY_,comdat
	.globl	_ZN7rocprim17ROCPRIM_400000_NS6detail17trampoline_kernelINS0_13select_configILj256ELj13ELNS0_17block_load_methodE3ELS4_3ELS4_3ELNS0_20block_scan_algorithmE0ELj4294967295EEENS1_25partition_config_selectorILNS1_17partition_subalgoE3EjNS0_10empty_typeEbEEZZNS1_14partition_implILS8_3ELb0ES6_jNS0_17counting_iteratorIjlEEPS9_SE_NS0_5tupleIJPjSE_EEENSF_IJSE_SE_EEES9_SG_JZNS1_25segmented_radix_sort_implINS0_14default_configELb1EPKaPaPKlPlN2at6native12_GLOBAL__N_18offset_tEEE10hipError_tPvRmT1_PNSt15iterator_traitsISY_E10value_typeET2_T3_PNSZ_IS14_E10value_typeET4_jRbjT5_S1A_jjP12ihipStream_tbEUljE_EEESV_SW_SX_S14_S18_S1A_T6_T7_T9_mT8_S1C_bDpT10_ENKUlT_T0_E_clISt17integral_constantIbLb1EES1P_EEDaS1K_S1L_EUlS1K_E_NS1_11comp_targetILNS1_3genE2ELNS1_11target_archE906ELNS1_3gpuE6ELNS1_3repE0EEENS1_30default_config_static_selectorELNS0_4arch9wavefront6targetE0EEEvSY_ ; -- Begin function _ZN7rocprim17ROCPRIM_400000_NS6detail17trampoline_kernelINS0_13select_configILj256ELj13ELNS0_17block_load_methodE3ELS4_3ELS4_3ELNS0_20block_scan_algorithmE0ELj4294967295EEENS1_25partition_config_selectorILNS1_17partition_subalgoE3EjNS0_10empty_typeEbEEZZNS1_14partition_implILS8_3ELb0ES6_jNS0_17counting_iteratorIjlEEPS9_SE_NS0_5tupleIJPjSE_EEENSF_IJSE_SE_EEES9_SG_JZNS1_25segmented_radix_sort_implINS0_14default_configELb1EPKaPaPKlPlN2at6native12_GLOBAL__N_18offset_tEEE10hipError_tPvRmT1_PNSt15iterator_traitsISY_E10value_typeET2_T3_PNSZ_IS14_E10value_typeET4_jRbjT5_S1A_jjP12ihipStream_tbEUljE_EEESV_SW_SX_S14_S18_S1A_T6_T7_T9_mT8_S1C_bDpT10_ENKUlT_T0_E_clISt17integral_constantIbLb1EES1P_EEDaS1K_S1L_EUlS1K_E_NS1_11comp_targetILNS1_3genE2ELNS1_11target_archE906ELNS1_3gpuE6ELNS1_3repE0EEENS1_30default_config_static_selectorELNS0_4arch9wavefront6targetE0EEEvSY_
	.p2align	8
	.type	_ZN7rocprim17ROCPRIM_400000_NS6detail17trampoline_kernelINS0_13select_configILj256ELj13ELNS0_17block_load_methodE3ELS4_3ELS4_3ELNS0_20block_scan_algorithmE0ELj4294967295EEENS1_25partition_config_selectorILNS1_17partition_subalgoE3EjNS0_10empty_typeEbEEZZNS1_14partition_implILS8_3ELb0ES6_jNS0_17counting_iteratorIjlEEPS9_SE_NS0_5tupleIJPjSE_EEENSF_IJSE_SE_EEES9_SG_JZNS1_25segmented_radix_sort_implINS0_14default_configELb1EPKaPaPKlPlN2at6native12_GLOBAL__N_18offset_tEEE10hipError_tPvRmT1_PNSt15iterator_traitsISY_E10value_typeET2_T3_PNSZ_IS14_E10value_typeET4_jRbjT5_S1A_jjP12ihipStream_tbEUljE_EEESV_SW_SX_S14_S18_S1A_T6_T7_T9_mT8_S1C_bDpT10_ENKUlT_T0_E_clISt17integral_constantIbLb1EES1P_EEDaS1K_S1L_EUlS1K_E_NS1_11comp_targetILNS1_3genE2ELNS1_11target_archE906ELNS1_3gpuE6ELNS1_3repE0EEENS1_30default_config_static_selectorELNS0_4arch9wavefront6targetE0EEEvSY_,@function
_ZN7rocprim17ROCPRIM_400000_NS6detail17trampoline_kernelINS0_13select_configILj256ELj13ELNS0_17block_load_methodE3ELS4_3ELS4_3ELNS0_20block_scan_algorithmE0ELj4294967295EEENS1_25partition_config_selectorILNS1_17partition_subalgoE3EjNS0_10empty_typeEbEEZZNS1_14partition_implILS8_3ELb0ES6_jNS0_17counting_iteratorIjlEEPS9_SE_NS0_5tupleIJPjSE_EEENSF_IJSE_SE_EEES9_SG_JZNS1_25segmented_radix_sort_implINS0_14default_configELb1EPKaPaPKlPlN2at6native12_GLOBAL__N_18offset_tEEE10hipError_tPvRmT1_PNSt15iterator_traitsISY_E10value_typeET2_T3_PNSZ_IS14_E10value_typeET4_jRbjT5_S1A_jjP12ihipStream_tbEUljE_EEESV_SW_SX_S14_S18_S1A_T6_T7_T9_mT8_S1C_bDpT10_ENKUlT_T0_E_clISt17integral_constantIbLb1EES1P_EEDaS1K_S1L_EUlS1K_E_NS1_11comp_targetILNS1_3genE2ELNS1_11target_archE906ELNS1_3gpuE6ELNS1_3repE0EEENS1_30default_config_static_selectorELNS0_4arch9wavefront6targetE0EEEvSY_: ; @_ZN7rocprim17ROCPRIM_400000_NS6detail17trampoline_kernelINS0_13select_configILj256ELj13ELNS0_17block_load_methodE3ELS4_3ELS4_3ELNS0_20block_scan_algorithmE0ELj4294967295EEENS1_25partition_config_selectorILNS1_17partition_subalgoE3EjNS0_10empty_typeEbEEZZNS1_14partition_implILS8_3ELb0ES6_jNS0_17counting_iteratorIjlEEPS9_SE_NS0_5tupleIJPjSE_EEENSF_IJSE_SE_EEES9_SG_JZNS1_25segmented_radix_sort_implINS0_14default_configELb1EPKaPaPKlPlN2at6native12_GLOBAL__N_18offset_tEEE10hipError_tPvRmT1_PNSt15iterator_traitsISY_E10value_typeET2_T3_PNSZ_IS14_E10value_typeET4_jRbjT5_S1A_jjP12ihipStream_tbEUljE_EEESV_SW_SX_S14_S18_S1A_T6_T7_T9_mT8_S1C_bDpT10_ENKUlT_T0_E_clISt17integral_constantIbLb1EES1P_EEDaS1K_S1L_EUlS1K_E_NS1_11comp_targetILNS1_3genE2ELNS1_11target_archE906ELNS1_3gpuE6ELNS1_3repE0EEENS1_30default_config_static_selectorELNS0_4arch9wavefront6targetE0EEEvSY_
; %bb.0:
	.section	.rodata,"a",@progbits
	.p2align	6, 0x0
	.amdhsa_kernel _ZN7rocprim17ROCPRIM_400000_NS6detail17trampoline_kernelINS0_13select_configILj256ELj13ELNS0_17block_load_methodE3ELS4_3ELS4_3ELNS0_20block_scan_algorithmE0ELj4294967295EEENS1_25partition_config_selectorILNS1_17partition_subalgoE3EjNS0_10empty_typeEbEEZZNS1_14partition_implILS8_3ELb0ES6_jNS0_17counting_iteratorIjlEEPS9_SE_NS0_5tupleIJPjSE_EEENSF_IJSE_SE_EEES9_SG_JZNS1_25segmented_radix_sort_implINS0_14default_configELb1EPKaPaPKlPlN2at6native12_GLOBAL__N_18offset_tEEE10hipError_tPvRmT1_PNSt15iterator_traitsISY_E10value_typeET2_T3_PNSZ_IS14_E10value_typeET4_jRbjT5_S1A_jjP12ihipStream_tbEUljE_EEESV_SW_SX_S14_S18_S1A_T6_T7_T9_mT8_S1C_bDpT10_ENKUlT_T0_E_clISt17integral_constantIbLb1EES1P_EEDaS1K_S1L_EUlS1K_E_NS1_11comp_targetILNS1_3genE2ELNS1_11target_archE906ELNS1_3gpuE6ELNS1_3repE0EEENS1_30default_config_static_selectorELNS0_4arch9wavefront6targetE0EEEvSY_
		.amdhsa_group_segment_fixed_size 0
		.amdhsa_private_segment_fixed_size 0
		.amdhsa_kernarg_size 152
		.amdhsa_user_sgpr_count 15
		.amdhsa_user_sgpr_dispatch_ptr 0
		.amdhsa_user_sgpr_queue_ptr 0
		.amdhsa_user_sgpr_kernarg_segment_ptr 1
		.amdhsa_user_sgpr_dispatch_id 0
		.amdhsa_user_sgpr_private_segment_size 0
		.amdhsa_wavefront_size32 1
		.amdhsa_uses_dynamic_stack 0
		.amdhsa_enable_private_segment 0
		.amdhsa_system_sgpr_workgroup_id_x 1
		.amdhsa_system_sgpr_workgroup_id_y 0
		.amdhsa_system_sgpr_workgroup_id_z 0
		.amdhsa_system_sgpr_workgroup_info 0
		.amdhsa_system_vgpr_workitem_id 0
		.amdhsa_next_free_vgpr 1
		.amdhsa_next_free_sgpr 1
		.amdhsa_reserve_vcc 0
		.amdhsa_float_round_mode_32 0
		.amdhsa_float_round_mode_16_64 0
		.amdhsa_float_denorm_mode_32 3
		.amdhsa_float_denorm_mode_16_64 3
		.amdhsa_dx10_clamp 1
		.amdhsa_ieee_mode 1
		.amdhsa_fp16_overflow 0
		.amdhsa_workgroup_processor_mode 1
		.amdhsa_memory_ordered 1
		.amdhsa_forward_progress 0
		.amdhsa_shared_vgpr_count 0
		.amdhsa_exception_fp_ieee_invalid_op 0
		.amdhsa_exception_fp_denorm_src 0
		.amdhsa_exception_fp_ieee_div_zero 0
		.amdhsa_exception_fp_ieee_overflow 0
		.amdhsa_exception_fp_ieee_underflow 0
		.amdhsa_exception_fp_ieee_inexact 0
		.amdhsa_exception_int_div_zero 0
	.end_amdhsa_kernel
	.section	.text._ZN7rocprim17ROCPRIM_400000_NS6detail17trampoline_kernelINS0_13select_configILj256ELj13ELNS0_17block_load_methodE3ELS4_3ELS4_3ELNS0_20block_scan_algorithmE0ELj4294967295EEENS1_25partition_config_selectorILNS1_17partition_subalgoE3EjNS0_10empty_typeEbEEZZNS1_14partition_implILS8_3ELb0ES6_jNS0_17counting_iteratorIjlEEPS9_SE_NS0_5tupleIJPjSE_EEENSF_IJSE_SE_EEES9_SG_JZNS1_25segmented_radix_sort_implINS0_14default_configELb1EPKaPaPKlPlN2at6native12_GLOBAL__N_18offset_tEEE10hipError_tPvRmT1_PNSt15iterator_traitsISY_E10value_typeET2_T3_PNSZ_IS14_E10value_typeET4_jRbjT5_S1A_jjP12ihipStream_tbEUljE_EEESV_SW_SX_S14_S18_S1A_T6_T7_T9_mT8_S1C_bDpT10_ENKUlT_T0_E_clISt17integral_constantIbLb1EES1P_EEDaS1K_S1L_EUlS1K_E_NS1_11comp_targetILNS1_3genE2ELNS1_11target_archE906ELNS1_3gpuE6ELNS1_3repE0EEENS1_30default_config_static_selectorELNS0_4arch9wavefront6targetE0EEEvSY_,"axG",@progbits,_ZN7rocprim17ROCPRIM_400000_NS6detail17trampoline_kernelINS0_13select_configILj256ELj13ELNS0_17block_load_methodE3ELS4_3ELS4_3ELNS0_20block_scan_algorithmE0ELj4294967295EEENS1_25partition_config_selectorILNS1_17partition_subalgoE3EjNS0_10empty_typeEbEEZZNS1_14partition_implILS8_3ELb0ES6_jNS0_17counting_iteratorIjlEEPS9_SE_NS0_5tupleIJPjSE_EEENSF_IJSE_SE_EEES9_SG_JZNS1_25segmented_radix_sort_implINS0_14default_configELb1EPKaPaPKlPlN2at6native12_GLOBAL__N_18offset_tEEE10hipError_tPvRmT1_PNSt15iterator_traitsISY_E10value_typeET2_T3_PNSZ_IS14_E10value_typeET4_jRbjT5_S1A_jjP12ihipStream_tbEUljE_EEESV_SW_SX_S14_S18_S1A_T6_T7_T9_mT8_S1C_bDpT10_ENKUlT_T0_E_clISt17integral_constantIbLb1EES1P_EEDaS1K_S1L_EUlS1K_E_NS1_11comp_targetILNS1_3genE2ELNS1_11target_archE906ELNS1_3gpuE6ELNS1_3repE0EEENS1_30default_config_static_selectorELNS0_4arch9wavefront6targetE0EEEvSY_,comdat
.Lfunc_end270:
	.size	_ZN7rocprim17ROCPRIM_400000_NS6detail17trampoline_kernelINS0_13select_configILj256ELj13ELNS0_17block_load_methodE3ELS4_3ELS4_3ELNS0_20block_scan_algorithmE0ELj4294967295EEENS1_25partition_config_selectorILNS1_17partition_subalgoE3EjNS0_10empty_typeEbEEZZNS1_14partition_implILS8_3ELb0ES6_jNS0_17counting_iteratorIjlEEPS9_SE_NS0_5tupleIJPjSE_EEENSF_IJSE_SE_EEES9_SG_JZNS1_25segmented_radix_sort_implINS0_14default_configELb1EPKaPaPKlPlN2at6native12_GLOBAL__N_18offset_tEEE10hipError_tPvRmT1_PNSt15iterator_traitsISY_E10value_typeET2_T3_PNSZ_IS14_E10value_typeET4_jRbjT5_S1A_jjP12ihipStream_tbEUljE_EEESV_SW_SX_S14_S18_S1A_T6_T7_T9_mT8_S1C_bDpT10_ENKUlT_T0_E_clISt17integral_constantIbLb1EES1P_EEDaS1K_S1L_EUlS1K_E_NS1_11comp_targetILNS1_3genE2ELNS1_11target_archE906ELNS1_3gpuE6ELNS1_3repE0EEENS1_30default_config_static_selectorELNS0_4arch9wavefront6targetE0EEEvSY_, .Lfunc_end270-_ZN7rocprim17ROCPRIM_400000_NS6detail17trampoline_kernelINS0_13select_configILj256ELj13ELNS0_17block_load_methodE3ELS4_3ELS4_3ELNS0_20block_scan_algorithmE0ELj4294967295EEENS1_25partition_config_selectorILNS1_17partition_subalgoE3EjNS0_10empty_typeEbEEZZNS1_14partition_implILS8_3ELb0ES6_jNS0_17counting_iteratorIjlEEPS9_SE_NS0_5tupleIJPjSE_EEENSF_IJSE_SE_EEES9_SG_JZNS1_25segmented_radix_sort_implINS0_14default_configELb1EPKaPaPKlPlN2at6native12_GLOBAL__N_18offset_tEEE10hipError_tPvRmT1_PNSt15iterator_traitsISY_E10value_typeET2_T3_PNSZ_IS14_E10value_typeET4_jRbjT5_S1A_jjP12ihipStream_tbEUljE_EEESV_SW_SX_S14_S18_S1A_T6_T7_T9_mT8_S1C_bDpT10_ENKUlT_T0_E_clISt17integral_constantIbLb1EES1P_EEDaS1K_S1L_EUlS1K_E_NS1_11comp_targetILNS1_3genE2ELNS1_11target_archE906ELNS1_3gpuE6ELNS1_3repE0EEENS1_30default_config_static_selectorELNS0_4arch9wavefront6targetE0EEEvSY_
                                        ; -- End function
	.section	.AMDGPU.csdata,"",@progbits
; Kernel info:
; codeLenInByte = 0
; NumSgprs: 0
; NumVgprs: 0
; ScratchSize: 0
; MemoryBound: 0
; FloatMode: 240
; IeeeMode: 1
; LDSByteSize: 0 bytes/workgroup (compile time only)
; SGPRBlocks: 0
; VGPRBlocks: 0
; NumSGPRsForWavesPerEU: 1
; NumVGPRsForWavesPerEU: 1
; Occupancy: 16
; WaveLimiterHint : 0
; COMPUTE_PGM_RSRC2:SCRATCH_EN: 0
; COMPUTE_PGM_RSRC2:USER_SGPR: 15
; COMPUTE_PGM_RSRC2:TRAP_HANDLER: 0
; COMPUTE_PGM_RSRC2:TGID_X_EN: 1
; COMPUTE_PGM_RSRC2:TGID_Y_EN: 0
; COMPUTE_PGM_RSRC2:TGID_Z_EN: 0
; COMPUTE_PGM_RSRC2:TIDIG_COMP_CNT: 0
	.section	.text._ZN7rocprim17ROCPRIM_400000_NS6detail17trampoline_kernelINS0_13select_configILj256ELj13ELNS0_17block_load_methodE3ELS4_3ELS4_3ELNS0_20block_scan_algorithmE0ELj4294967295EEENS1_25partition_config_selectorILNS1_17partition_subalgoE3EjNS0_10empty_typeEbEEZZNS1_14partition_implILS8_3ELb0ES6_jNS0_17counting_iteratorIjlEEPS9_SE_NS0_5tupleIJPjSE_EEENSF_IJSE_SE_EEES9_SG_JZNS1_25segmented_radix_sort_implINS0_14default_configELb1EPKaPaPKlPlN2at6native12_GLOBAL__N_18offset_tEEE10hipError_tPvRmT1_PNSt15iterator_traitsISY_E10value_typeET2_T3_PNSZ_IS14_E10value_typeET4_jRbjT5_S1A_jjP12ihipStream_tbEUljE_EEESV_SW_SX_S14_S18_S1A_T6_T7_T9_mT8_S1C_bDpT10_ENKUlT_T0_E_clISt17integral_constantIbLb1EES1P_EEDaS1K_S1L_EUlS1K_E_NS1_11comp_targetILNS1_3genE10ELNS1_11target_archE1200ELNS1_3gpuE4ELNS1_3repE0EEENS1_30default_config_static_selectorELNS0_4arch9wavefront6targetE0EEEvSY_,"axG",@progbits,_ZN7rocprim17ROCPRIM_400000_NS6detail17trampoline_kernelINS0_13select_configILj256ELj13ELNS0_17block_load_methodE3ELS4_3ELS4_3ELNS0_20block_scan_algorithmE0ELj4294967295EEENS1_25partition_config_selectorILNS1_17partition_subalgoE3EjNS0_10empty_typeEbEEZZNS1_14partition_implILS8_3ELb0ES6_jNS0_17counting_iteratorIjlEEPS9_SE_NS0_5tupleIJPjSE_EEENSF_IJSE_SE_EEES9_SG_JZNS1_25segmented_radix_sort_implINS0_14default_configELb1EPKaPaPKlPlN2at6native12_GLOBAL__N_18offset_tEEE10hipError_tPvRmT1_PNSt15iterator_traitsISY_E10value_typeET2_T3_PNSZ_IS14_E10value_typeET4_jRbjT5_S1A_jjP12ihipStream_tbEUljE_EEESV_SW_SX_S14_S18_S1A_T6_T7_T9_mT8_S1C_bDpT10_ENKUlT_T0_E_clISt17integral_constantIbLb1EES1P_EEDaS1K_S1L_EUlS1K_E_NS1_11comp_targetILNS1_3genE10ELNS1_11target_archE1200ELNS1_3gpuE4ELNS1_3repE0EEENS1_30default_config_static_selectorELNS0_4arch9wavefront6targetE0EEEvSY_,comdat
	.globl	_ZN7rocprim17ROCPRIM_400000_NS6detail17trampoline_kernelINS0_13select_configILj256ELj13ELNS0_17block_load_methodE3ELS4_3ELS4_3ELNS0_20block_scan_algorithmE0ELj4294967295EEENS1_25partition_config_selectorILNS1_17partition_subalgoE3EjNS0_10empty_typeEbEEZZNS1_14partition_implILS8_3ELb0ES6_jNS0_17counting_iteratorIjlEEPS9_SE_NS0_5tupleIJPjSE_EEENSF_IJSE_SE_EEES9_SG_JZNS1_25segmented_radix_sort_implINS0_14default_configELb1EPKaPaPKlPlN2at6native12_GLOBAL__N_18offset_tEEE10hipError_tPvRmT1_PNSt15iterator_traitsISY_E10value_typeET2_T3_PNSZ_IS14_E10value_typeET4_jRbjT5_S1A_jjP12ihipStream_tbEUljE_EEESV_SW_SX_S14_S18_S1A_T6_T7_T9_mT8_S1C_bDpT10_ENKUlT_T0_E_clISt17integral_constantIbLb1EES1P_EEDaS1K_S1L_EUlS1K_E_NS1_11comp_targetILNS1_3genE10ELNS1_11target_archE1200ELNS1_3gpuE4ELNS1_3repE0EEENS1_30default_config_static_selectorELNS0_4arch9wavefront6targetE0EEEvSY_ ; -- Begin function _ZN7rocprim17ROCPRIM_400000_NS6detail17trampoline_kernelINS0_13select_configILj256ELj13ELNS0_17block_load_methodE3ELS4_3ELS4_3ELNS0_20block_scan_algorithmE0ELj4294967295EEENS1_25partition_config_selectorILNS1_17partition_subalgoE3EjNS0_10empty_typeEbEEZZNS1_14partition_implILS8_3ELb0ES6_jNS0_17counting_iteratorIjlEEPS9_SE_NS0_5tupleIJPjSE_EEENSF_IJSE_SE_EEES9_SG_JZNS1_25segmented_radix_sort_implINS0_14default_configELb1EPKaPaPKlPlN2at6native12_GLOBAL__N_18offset_tEEE10hipError_tPvRmT1_PNSt15iterator_traitsISY_E10value_typeET2_T3_PNSZ_IS14_E10value_typeET4_jRbjT5_S1A_jjP12ihipStream_tbEUljE_EEESV_SW_SX_S14_S18_S1A_T6_T7_T9_mT8_S1C_bDpT10_ENKUlT_T0_E_clISt17integral_constantIbLb1EES1P_EEDaS1K_S1L_EUlS1K_E_NS1_11comp_targetILNS1_3genE10ELNS1_11target_archE1200ELNS1_3gpuE4ELNS1_3repE0EEENS1_30default_config_static_selectorELNS0_4arch9wavefront6targetE0EEEvSY_
	.p2align	8
	.type	_ZN7rocprim17ROCPRIM_400000_NS6detail17trampoline_kernelINS0_13select_configILj256ELj13ELNS0_17block_load_methodE3ELS4_3ELS4_3ELNS0_20block_scan_algorithmE0ELj4294967295EEENS1_25partition_config_selectorILNS1_17partition_subalgoE3EjNS0_10empty_typeEbEEZZNS1_14partition_implILS8_3ELb0ES6_jNS0_17counting_iteratorIjlEEPS9_SE_NS0_5tupleIJPjSE_EEENSF_IJSE_SE_EEES9_SG_JZNS1_25segmented_radix_sort_implINS0_14default_configELb1EPKaPaPKlPlN2at6native12_GLOBAL__N_18offset_tEEE10hipError_tPvRmT1_PNSt15iterator_traitsISY_E10value_typeET2_T3_PNSZ_IS14_E10value_typeET4_jRbjT5_S1A_jjP12ihipStream_tbEUljE_EEESV_SW_SX_S14_S18_S1A_T6_T7_T9_mT8_S1C_bDpT10_ENKUlT_T0_E_clISt17integral_constantIbLb1EES1P_EEDaS1K_S1L_EUlS1K_E_NS1_11comp_targetILNS1_3genE10ELNS1_11target_archE1200ELNS1_3gpuE4ELNS1_3repE0EEENS1_30default_config_static_selectorELNS0_4arch9wavefront6targetE0EEEvSY_,@function
_ZN7rocprim17ROCPRIM_400000_NS6detail17trampoline_kernelINS0_13select_configILj256ELj13ELNS0_17block_load_methodE3ELS4_3ELS4_3ELNS0_20block_scan_algorithmE0ELj4294967295EEENS1_25partition_config_selectorILNS1_17partition_subalgoE3EjNS0_10empty_typeEbEEZZNS1_14partition_implILS8_3ELb0ES6_jNS0_17counting_iteratorIjlEEPS9_SE_NS0_5tupleIJPjSE_EEENSF_IJSE_SE_EEES9_SG_JZNS1_25segmented_radix_sort_implINS0_14default_configELb1EPKaPaPKlPlN2at6native12_GLOBAL__N_18offset_tEEE10hipError_tPvRmT1_PNSt15iterator_traitsISY_E10value_typeET2_T3_PNSZ_IS14_E10value_typeET4_jRbjT5_S1A_jjP12ihipStream_tbEUljE_EEESV_SW_SX_S14_S18_S1A_T6_T7_T9_mT8_S1C_bDpT10_ENKUlT_T0_E_clISt17integral_constantIbLb1EES1P_EEDaS1K_S1L_EUlS1K_E_NS1_11comp_targetILNS1_3genE10ELNS1_11target_archE1200ELNS1_3gpuE4ELNS1_3repE0EEENS1_30default_config_static_selectorELNS0_4arch9wavefront6targetE0EEEvSY_: ; @_ZN7rocprim17ROCPRIM_400000_NS6detail17trampoline_kernelINS0_13select_configILj256ELj13ELNS0_17block_load_methodE3ELS4_3ELS4_3ELNS0_20block_scan_algorithmE0ELj4294967295EEENS1_25partition_config_selectorILNS1_17partition_subalgoE3EjNS0_10empty_typeEbEEZZNS1_14partition_implILS8_3ELb0ES6_jNS0_17counting_iteratorIjlEEPS9_SE_NS0_5tupleIJPjSE_EEENSF_IJSE_SE_EEES9_SG_JZNS1_25segmented_radix_sort_implINS0_14default_configELb1EPKaPaPKlPlN2at6native12_GLOBAL__N_18offset_tEEE10hipError_tPvRmT1_PNSt15iterator_traitsISY_E10value_typeET2_T3_PNSZ_IS14_E10value_typeET4_jRbjT5_S1A_jjP12ihipStream_tbEUljE_EEESV_SW_SX_S14_S18_S1A_T6_T7_T9_mT8_S1C_bDpT10_ENKUlT_T0_E_clISt17integral_constantIbLb1EES1P_EEDaS1K_S1L_EUlS1K_E_NS1_11comp_targetILNS1_3genE10ELNS1_11target_archE1200ELNS1_3gpuE4ELNS1_3repE0EEENS1_30default_config_static_selectorELNS0_4arch9wavefront6targetE0EEEvSY_
; %bb.0:
	.section	.rodata,"a",@progbits
	.p2align	6, 0x0
	.amdhsa_kernel _ZN7rocprim17ROCPRIM_400000_NS6detail17trampoline_kernelINS0_13select_configILj256ELj13ELNS0_17block_load_methodE3ELS4_3ELS4_3ELNS0_20block_scan_algorithmE0ELj4294967295EEENS1_25partition_config_selectorILNS1_17partition_subalgoE3EjNS0_10empty_typeEbEEZZNS1_14partition_implILS8_3ELb0ES6_jNS0_17counting_iteratorIjlEEPS9_SE_NS0_5tupleIJPjSE_EEENSF_IJSE_SE_EEES9_SG_JZNS1_25segmented_radix_sort_implINS0_14default_configELb1EPKaPaPKlPlN2at6native12_GLOBAL__N_18offset_tEEE10hipError_tPvRmT1_PNSt15iterator_traitsISY_E10value_typeET2_T3_PNSZ_IS14_E10value_typeET4_jRbjT5_S1A_jjP12ihipStream_tbEUljE_EEESV_SW_SX_S14_S18_S1A_T6_T7_T9_mT8_S1C_bDpT10_ENKUlT_T0_E_clISt17integral_constantIbLb1EES1P_EEDaS1K_S1L_EUlS1K_E_NS1_11comp_targetILNS1_3genE10ELNS1_11target_archE1200ELNS1_3gpuE4ELNS1_3repE0EEENS1_30default_config_static_selectorELNS0_4arch9wavefront6targetE0EEEvSY_
		.amdhsa_group_segment_fixed_size 0
		.amdhsa_private_segment_fixed_size 0
		.amdhsa_kernarg_size 152
		.amdhsa_user_sgpr_count 15
		.amdhsa_user_sgpr_dispatch_ptr 0
		.amdhsa_user_sgpr_queue_ptr 0
		.amdhsa_user_sgpr_kernarg_segment_ptr 1
		.amdhsa_user_sgpr_dispatch_id 0
		.amdhsa_user_sgpr_private_segment_size 0
		.amdhsa_wavefront_size32 1
		.amdhsa_uses_dynamic_stack 0
		.amdhsa_enable_private_segment 0
		.amdhsa_system_sgpr_workgroup_id_x 1
		.amdhsa_system_sgpr_workgroup_id_y 0
		.amdhsa_system_sgpr_workgroup_id_z 0
		.amdhsa_system_sgpr_workgroup_info 0
		.amdhsa_system_vgpr_workitem_id 0
		.amdhsa_next_free_vgpr 1
		.amdhsa_next_free_sgpr 1
		.amdhsa_reserve_vcc 0
		.amdhsa_float_round_mode_32 0
		.amdhsa_float_round_mode_16_64 0
		.amdhsa_float_denorm_mode_32 3
		.amdhsa_float_denorm_mode_16_64 3
		.amdhsa_dx10_clamp 1
		.amdhsa_ieee_mode 1
		.amdhsa_fp16_overflow 0
		.amdhsa_workgroup_processor_mode 1
		.amdhsa_memory_ordered 1
		.amdhsa_forward_progress 0
		.amdhsa_shared_vgpr_count 0
		.amdhsa_exception_fp_ieee_invalid_op 0
		.amdhsa_exception_fp_denorm_src 0
		.amdhsa_exception_fp_ieee_div_zero 0
		.amdhsa_exception_fp_ieee_overflow 0
		.amdhsa_exception_fp_ieee_underflow 0
		.amdhsa_exception_fp_ieee_inexact 0
		.amdhsa_exception_int_div_zero 0
	.end_amdhsa_kernel
	.section	.text._ZN7rocprim17ROCPRIM_400000_NS6detail17trampoline_kernelINS0_13select_configILj256ELj13ELNS0_17block_load_methodE3ELS4_3ELS4_3ELNS0_20block_scan_algorithmE0ELj4294967295EEENS1_25partition_config_selectorILNS1_17partition_subalgoE3EjNS0_10empty_typeEbEEZZNS1_14partition_implILS8_3ELb0ES6_jNS0_17counting_iteratorIjlEEPS9_SE_NS0_5tupleIJPjSE_EEENSF_IJSE_SE_EEES9_SG_JZNS1_25segmented_radix_sort_implINS0_14default_configELb1EPKaPaPKlPlN2at6native12_GLOBAL__N_18offset_tEEE10hipError_tPvRmT1_PNSt15iterator_traitsISY_E10value_typeET2_T3_PNSZ_IS14_E10value_typeET4_jRbjT5_S1A_jjP12ihipStream_tbEUljE_EEESV_SW_SX_S14_S18_S1A_T6_T7_T9_mT8_S1C_bDpT10_ENKUlT_T0_E_clISt17integral_constantIbLb1EES1P_EEDaS1K_S1L_EUlS1K_E_NS1_11comp_targetILNS1_3genE10ELNS1_11target_archE1200ELNS1_3gpuE4ELNS1_3repE0EEENS1_30default_config_static_selectorELNS0_4arch9wavefront6targetE0EEEvSY_,"axG",@progbits,_ZN7rocprim17ROCPRIM_400000_NS6detail17trampoline_kernelINS0_13select_configILj256ELj13ELNS0_17block_load_methodE3ELS4_3ELS4_3ELNS0_20block_scan_algorithmE0ELj4294967295EEENS1_25partition_config_selectorILNS1_17partition_subalgoE3EjNS0_10empty_typeEbEEZZNS1_14partition_implILS8_3ELb0ES6_jNS0_17counting_iteratorIjlEEPS9_SE_NS0_5tupleIJPjSE_EEENSF_IJSE_SE_EEES9_SG_JZNS1_25segmented_radix_sort_implINS0_14default_configELb1EPKaPaPKlPlN2at6native12_GLOBAL__N_18offset_tEEE10hipError_tPvRmT1_PNSt15iterator_traitsISY_E10value_typeET2_T3_PNSZ_IS14_E10value_typeET4_jRbjT5_S1A_jjP12ihipStream_tbEUljE_EEESV_SW_SX_S14_S18_S1A_T6_T7_T9_mT8_S1C_bDpT10_ENKUlT_T0_E_clISt17integral_constantIbLb1EES1P_EEDaS1K_S1L_EUlS1K_E_NS1_11comp_targetILNS1_3genE10ELNS1_11target_archE1200ELNS1_3gpuE4ELNS1_3repE0EEENS1_30default_config_static_selectorELNS0_4arch9wavefront6targetE0EEEvSY_,comdat
.Lfunc_end271:
	.size	_ZN7rocprim17ROCPRIM_400000_NS6detail17trampoline_kernelINS0_13select_configILj256ELj13ELNS0_17block_load_methodE3ELS4_3ELS4_3ELNS0_20block_scan_algorithmE0ELj4294967295EEENS1_25partition_config_selectorILNS1_17partition_subalgoE3EjNS0_10empty_typeEbEEZZNS1_14partition_implILS8_3ELb0ES6_jNS0_17counting_iteratorIjlEEPS9_SE_NS0_5tupleIJPjSE_EEENSF_IJSE_SE_EEES9_SG_JZNS1_25segmented_radix_sort_implINS0_14default_configELb1EPKaPaPKlPlN2at6native12_GLOBAL__N_18offset_tEEE10hipError_tPvRmT1_PNSt15iterator_traitsISY_E10value_typeET2_T3_PNSZ_IS14_E10value_typeET4_jRbjT5_S1A_jjP12ihipStream_tbEUljE_EEESV_SW_SX_S14_S18_S1A_T6_T7_T9_mT8_S1C_bDpT10_ENKUlT_T0_E_clISt17integral_constantIbLb1EES1P_EEDaS1K_S1L_EUlS1K_E_NS1_11comp_targetILNS1_3genE10ELNS1_11target_archE1200ELNS1_3gpuE4ELNS1_3repE0EEENS1_30default_config_static_selectorELNS0_4arch9wavefront6targetE0EEEvSY_, .Lfunc_end271-_ZN7rocprim17ROCPRIM_400000_NS6detail17trampoline_kernelINS0_13select_configILj256ELj13ELNS0_17block_load_methodE3ELS4_3ELS4_3ELNS0_20block_scan_algorithmE0ELj4294967295EEENS1_25partition_config_selectorILNS1_17partition_subalgoE3EjNS0_10empty_typeEbEEZZNS1_14partition_implILS8_3ELb0ES6_jNS0_17counting_iteratorIjlEEPS9_SE_NS0_5tupleIJPjSE_EEENSF_IJSE_SE_EEES9_SG_JZNS1_25segmented_radix_sort_implINS0_14default_configELb1EPKaPaPKlPlN2at6native12_GLOBAL__N_18offset_tEEE10hipError_tPvRmT1_PNSt15iterator_traitsISY_E10value_typeET2_T3_PNSZ_IS14_E10value_typeET4_jRbjT5_S1A_jjP12ihipStream_tbEUljE_EEESV_SW_SX_S14_S18_S1A_T6_T7_T9_mT8_S1C_bDpT10_ENKUlT_T0_E_clISt17integral_constantIbLb1EES1P_EEDaS1K_S1L_EUlS1K_E_NS1_11comp_targetILNS1_3genE10ELNS1_11target_archE1200ELNS1_3gpuE4ELNS1_3repE0EEENS1_30default_config_static_selectorELNS0_4arch9wavefront6targetE0EEEvSY_
                                        ; -- End function
	.section	.AMDGPU.csdata,"",@progbits
; Kernel info:
; codeLenInByte = 0
; NumSgprs: 0
; NumVgprs: 0
; ScratchSize: 0
; MemoryBound: 0
; FloatMode: 240
; IeeeMode: 1
; LDSByteSize: 0 bytes/workgroup (compile time only)
; SGPRBlocks: 0
; VGPRBlocks: 0
; NumSGPRsForWavesPerEU: 1
; NumVGPRsForWavesPerEU: 1
; Occupancy: 16
; WaveLimiterHint : 0
; COMPUTE_PGM_RSRC2:SCRATCH_EN: 0
; COMPUTE_PGM_RSRC2:USER_SGPR: 15
; COMPUTE_PGM_RSRC2:TRAP_HANDLER: 0
; COMPUTE_PGM_RSRC2:TGID_X_EN: 1
; COMPUTE_PGM_RSRC2:TGID_Y_EN: 0
; COMPUTE_PGM_RSRC2:TGID_Z_EN: 0
; COMPUTE_PGM_RSRC2:TIDIG_COMP_CNT: 0
	.section	.text._ZN7rocprim17ROCPRIM_400000_NS6detail17trampoline_kernelINS0_13select_configILj256ELj13ELNS0_17block_load_methodE3ELS4_3ELS4_3ELNS0_20block_scan_algorithmE0ELj4294967295EEENS1_25partition_config_selectorILNS1_17partition_subalgoE3EjNS0_10empty_typeEbEEZZNS1_14partition_implILS8_3ELb0ES6_jNS0_17counting_iteratorIjlEEPS9_SE_NS0_5tupleIJPjSE_EEENSF_IJSE_SE_EEES9_SG_JZNS1_25segmented_radix_sort_implINS0_14default_configELb1EPKaPaPKlPlN2at6native12_GLOBAL__N_18offset_tEEE10hipError_tPvRmT1_PNSt15iterator_traitsISY_E10value_typeET2_T3_PNSZ_IS14_E10value_typeET4_jRbjT5_S1A_jjP12ihipStream_tbEUljE_EEESV_SW_SX_S14_S18_S1A_T6_T7_T9_mT8_S1C_bDpT10_ENKUlT_T0_E_clISt17integral_constantIbLb1EES1P_EEDaS1K_S1L_EUlS1K_E_NS1_11comp_targetILNS1_3genE9ELNS1_11target_archE1100ELNS1_3gpuE3ELNS1_3repE0EEENS1_30default_config_static_selectorELNS0_4arch9wavefront6targetE0EEEvSY_,"axG",@progbits,_ZN7rocprim17ROCPRIM_400000_NS6detail17trampoline_kernelINS0_13select_configILj256ELj13ELNS0_17block_load_methodE3ELS4_3ELS4_3ELNS0_20block_scan_algorithmE0ELj4294967295EEENS1_25partition_config_selectorILNS1_17partition_subalgoE3EjNS0_10empty_typeEbEEZZNS1_14partition_implILS8_3ELb0ES6_jNS0_17counting_iteratorIjlEEPS9_SE_NS0_5tupleIJPjSE_EEENSF_IJSE_SE_EEES9_SG_JZNS1_25segmented_radix_sort_implINS0_14default_configELb1EPKaPaPKlPlN2at6native12_GLOBAL__N_18offset_tEEE10hipError_tPvRmT1_PNSt15iterator_traitsISY_E10value_typeET2_T3_PNSZ_IS14_E10value_typeET4_jRbjT5_S1A_jjP12ihipStream_tbEUljE_EEESV_SW_SX_S14_S18_S1A_T6_T7_T9_mT8_S1C_bDpT10_ENKUlT_T0_E_clISt17integral_constantIbLb1EES1P_EEDaS1K_S1L_EUlS1K_E_NS1_11comp_targetILNS1_3genE9ELNS1_11target_archE1100ELNS1_3gpuE3ELNS1_3repE0EEENS1_30default_config_static_selectorELNS0_4arch9wavefront6targetE0EEEvSY_,comdat
	.globl	_ZN7rocprim17ROCPRIM_400000_NS6detail17trampoline_kernelINS0_13select_configILj256ELj13ELNS0_17block_load_methodE3ELS4_3ELS4_3ELNS0_20block_scan_algorithmE0ELj4294967295EEENS1_25partition_config_selectorILNS1_17partition_subalgoE3EjNS0_10empty_typeEbEEZZNS1_14partition_implILS8_3ELb0ES6_jNS0_17counting_iteratorIjlEEPS9_SE_NS0_5tupleIJPjSE_EEENSF_IJSE_SE_EEES9_SG_JZNS1_25segmented_radix_sort_implINS0_14default_configELb1EPKaPaPKlPlN2at6native12_GLOBAL__N_18offset_tEEE10hipError_tPvRmT1_PNSt15iterator_traitsISY_E10value_typeET2_T3_PNSZ_IS14_E10value_typeET4_jRbjT5_S1A_jjP12ihipStream_tbEUljE_EEESV_SW_SX_S14_S18_S1A_T6_T7_T9_mT8_S1C_bDpT10_ENKUlT_T0_E_clISt17integral_constantIbLb1EES1P_EEDaS1K_S1L_EUlS1K_E_NS1_11comp_targetILNS1_3genE9ELNS1_11target_archE1100ELNS1_3gpuE3ELNS1_3repE0EEENS1_30default_config_static_selectorELNS0_4arch9wavefront6targetE0EEEvSY_ ; -- Begin function _ZN7rocprim17ROCPRIM_400000_NS6detail17trampoline_kernelINS0_13select_configILj256ELj13ELNS0_17block_load_methodE3ELS4_3ELS4_3ELNS0_20block_scan_algorithmE0ELj4294967295EEENS1_25partition_config_selectorILNS1_17partition_subalgoE3EjNS0_10empty_typeEbEEZZNS1_14partition_implILS8_3ELb0ES6_jNS0_17counting_iteratorIjlEEPS9_SE_NS0_5tupleIJPjSE_EEENSF_IJSE_SE_EEES9_SG_JZNS1_25segmented_radix_sort_implINS0_14default_configELb1EPKaPaPKlPlN2at6native12_GLOBAL__N_18offset_tEEE10hipError_tPvRmT1_PNSt15iterator_traitsISY_E10value_typeET2_T3_PNSZ_IS14_E10value_typeET4_jRbjT5_S1A_jjP12ihipStream_tbEUljE_EEESV_SW_SX_S14_S18_S1A_T6_T7_T9_mT8_S1C_bDpT10_ENKUlT_T0_E_clISt17integral_constantIbLb1EES1P_EEDaS1K_S1L_EUlS1K_E_NS1_11comp_targetILNS1_3genE9ELNS1_11target_archE1100ELNS1_3gpuE3ELNS1_3repE0EEENS1_30default_config_static_selectorELNS0_4arch9wavefront6targetE0EEEvSY_
	.p2align	8
	.type	_ZN7rocprim17ROCPRIM_400000_NS6detail17trampoline_kernelINS0_13select_configILj256ELj13ELNS0_17block_load_methodE3ELS4_3ELS4_3ELNS0_20block_scan_algorithmE0ELj4294967295EEENS1_25partition_config_selectorILNS1_17partition_subalgoE3EjNS0_10empty_typeEbEEZZNS1_14partition_implILS8_3ELb0ES6_jNS0_17counting_iteratorIjlEEPS9_SE_NS0_5tupleIJPjSE_EEENSF_IJSE_SE_EEES9_SG_JZNS1_25segmented_radix_sort_implINS0_14default_configELb1EPKaPaPKlPlN2at6native12_GLOBAL__N_18offset_tEEE10hipError_tPvRmT1_PNSt15iterator_traitsISY_E10value_typeET2_T3_PNSZ_IS14_E10value_typeET4_jRbjT5_S1A_jjP12ihipStream_tbEUljE_EEESV_SW_SX_S14_S18_S1A_T6_T7_T9_mT8_S1C_bDpT10_ENKUlT_T0_E_clISt17integral_constantIbLb1EES1P_EEDaS1K_S1L_EUlS1K_E_NS1_11comp_targetILNS1_3genE9ELNS1_11target_archE1100ELNS1_3gpuE3ELNS1_3repE0EEENS1_30default_config_static_selectorELNS0_4arch9wavefront6targetE0EEEvSY_,@function
_ZN7rocprim17ROCPRIM_400000_NS6detail17trampoline_kernelINS0_13select_configILj256ELj13ELNS0_17block_load_methodE3ELS4_3ELS4_3ELNS0_20block_scan_algorithmE0ELj4294967295EEENS1_25partition_config_selectorILNS1_17partition_subalgoE3EjNS0_10empty_typeEbEEZZNS1_14partition_implILS8_3ELb0ES6_jNS0_17counting_iteratorIjlEEPS9_SE_NS0_5tupleIJPjSE_EEENSF_IJSE_SE_EEES9_SG_JZNS1_25segmented_radix_sort_implINS0_14default_configELb1EPKaPaPKlPlN2at6native12_GLOBAL__N_18offset_tEEE10hipError_tPvRmT1_PNSt15iterator_traitsISY_E10value_typeET2_T3_PNSZ_IS14_E10value_typeET4_jRbjT5_S1A_jjP12ihipStream_tbEUljE_EEESV_SW_SX_S14_S18_S1A_T6_T7_T9_mT8_S1C_bDpT10_ENKUlT_T0_E_clISt17integral_constantIbLb1EES1P_EEDaS1K_S1L_EUlS1K_E_NS1_11comp_targetILNS1_3genE9ELNS1_11target_archE1100ELNS1_3gpuE3ELNS1_3repE0EEENS1_30default_config_static_selectorELNS0_4arch9wavefront6targetE0EEEvSY_: ; @_ZN7rocprim17ROCPRIM_400000_NS6detail17trampoline_kernelINS0_13select_configILj256ELj13ELNS0_17block_load_methodE3ELS4_3ELS4_3ELNS0_20block_scan_algorithmE0ELj4294967295EEENS1_25partition_config_selectorILNS1_17partition_subalgoE3EjNS0_10empty_typeEbEEZZNS1_14partition_implILS8_3ELb0ES6_jNS0_17counting_iteratorIjlEEPS9_SE_NS0_5tupleIJPjSE_EEENSF_IJSE_SE_EEES9_SG_JZNS1_25segmented_radix_sort_implINS0_14default_configELb1EPKaPaPKlPlN2at6native12_GLOBAL__N_18offset_tEEE10hipError_tPvRmT1_PNSt15iterator_traitsISY_E10value_typeET2_T3_PNSZ_IS14_E10value_typeET4_jRbjT5_S1A_jjP12ihipStream_tbEUljE_EEESV_SW_SX_S14_S18_S1A_T6_T7_T9_mT8_S1C_bDpT10_ENKUlT_T0_E_clISt17integral_constantIbLb1EES1P_EEDaS1K_S1L_EUlS1K_E_NS1_11comp_targetILNS1_3genE9ELNS1_11target_archE1100ELNS1_3gpuE3ELNS1_3repE0EEENS1_30default_config_static_selectorELNS0_4arch9wavefront6targetE0EEEvSY_
; %bb.0:
	s_clause 0x6
	s_load_b64 s[16:17], s[0:1], 0x10
	s_load_b64 s[12:13], s[0:1], 0x28
	;; [unrolled: 1-line block ×3, first 2 shown]
	s_load_b128 s[8:11], s[0:1], 0x48
	s_load_b32 s3, s[0:1], 0x90
	s_load_b64 s[18:19], s[0:1], 0x68
	s_load_b128 s[4:7], s[0:1], 0x80
	v_cmp_eq_u32_e64 s2, 0, v0
	s_delay_alu instid0(VALU_DEP_1)
	s_and_saveexec_b32 s20, s2
	s_cbranch_execz .LBB272_4
; %bb.1:
	s_mov_b32 s22, exec_lo
	s_mov_b32 s21, exec_lo
	v_mbcnt_lo_u32_b32 v1, s22, 0
                                        ; implicit-def: $vgpr2
	s_delay_alu instid0(VALU_DEP_1)
	v_cmpx_eq_u32_e32 0, v1
	s_cbranch_execz .LBB272_3
; %bb.2:
	s_load_b64 s[24:25], s[0:1], 0x78
	s_bcnt1_i32_b32 s22, s22
	s_delay_alu instid0(SALU_CYCLE_1)
	v_dual_mov_b32 v2, 0 :: v_dual_mov_b32 v3, s22
	s_waitcnt lgkmcnt(0)
	global_atomic_add_u32 v2, v2, v3, s[24:25] glc
.LBB272_3:
	s_or_b32 exec_lo, exec_lo, s21
	s_waitcnt vmcnt(0)
	v_readfirstlane_b32 s21, v2
	s_delay_alu instid0(VALU_DEP_1)
	v_dual_mov_b32 v2, 0 :: v_dual_add_nc_u32 v1, s21, v1
	ds_store_b32 v2, v1
.LBB272_4:
	s_or_b32 exec_lo, exec_lo, s20
	v_mov_b32_e32 v1, 0
	s_clause 0x1
	s_load_b32 s20, s[0:1], 0x8
	s_load_b32 s0, s[0:1], 0x70
	s_waitcnt lgkmcnt(0)
	s_barrier
	buffer_gl0_inv
	ds_load_b32 v2, v1
	s_waitcnt lgkmcnt(0)
	s_barrier
	buffer_gl0_inv
	global_load_b64 v[18:19], v1, s[10:11]
	v_lshlrev_b32_e32 v33, 2, v0
	s_add_i32 s21, s20, s16
	s_mul_i32 s1, s0, 0xd00
	s_add_i32 s0, s0, -1
	s_add_u32 s10, s16, s1
	s_addc_u32 s11, s17, 0
	v_mul_lo_u32 v32, 0xd00, v2
	v_readfirstlane_b32 s20, v2
	v_cmp_lt_u64_e64 s11, s[10:11], s[14:15]
	v_cmp_ne_u32_e32 vcc_lo, s0, v2
	s_delay_alu instid0(VALU_DEP_3) | instskip(SKIP_1) | instid1(VALU_DEP_4)
	s_cmp_eq_u32 s20, s0
	s_cselect_b32 s10, -1, 0
	v_add3_u32 v1, v32, s21, v0
	s_delay_alu instid0(VALU_DEP_3) | instskip(SKIP_2) | instid1(VALU_DEP_1)
	s_or_b32 s0, s11, vcc_lo
	s_mov_b32 s11, -1
	s_and_b32 vcc_lo, exec_lo, s0
	v_add_nc_u32_e32 v2, 0x100, v1
	v_add_nc_u32_e32 v3, 0x200, v1
	;; [unrolled: 1-line block ×12, first 2 shown]
	s_cbranch_vccz .LBB272_6
; %bb.5:
	ds_store_2addr_stride64_b32 v33, v1, v2 offset1:4
	ds_store_2addr_stride64_b32 v33, v3, v4 offset0:8 offset1:12
	ds_store_2addr_stride64_b32 v33, v5, v6 offset0:16 offset1:20
	;; [unrolled: 1-line block ×5, first 2 shown]
	ds_store_b32 v33, v13 offset:12288
	s_waitcnt vmcnt(0) lgkmcnt(0)
	s_mov_b32 s11, 0
	s_barrier
.LBB272_6:
	s_and_not1_b32 vcc_lo, exec_lo, s11
	s_add_i32 s1, s1, s16
	s_cbranch_vccnz .LBB272_8
; %bb.7:
	ds_store_2addr_stride64_b32 v33, v1, v2 offset1:4
	ds_store_2addr_stride64_b32 v33, v3, v4 offset0:8 offset1:12
	ds_store_2addr_stride64_b32 v33, v5, v6 offset0:16 offset1:20
	;; [unrolled: 1-line block ×5, first 2 shown]
	ds_store_b32 v33, v13 offset:12288
	s_waitcnt vmcnt(0) lgkmcnt(0)
	s_barrier
.LBB272_8:
	v_mul_u32_u24_e32 v36, 13, v0
	s_waitcnt vmcnt(0)
	buffer_gl0_inv
	v_cndmask_b32_e64 v34, 0, 1, s0
	s_sub_i32 s11, s14, s1
	s_and_not1_b32 vcc_lo, exec_lo, s0
	v_lshlrev_b32_e32 v1, 2, v36
	ds_load_2addr_b32 v[30:31], v1 offset1:1
	ds_load_2addr_b32 v[28:29], v1 offset0:2 offset1:3
	ds_load_2addr_b32 v[26:27], v1 offset0:4 offset1:5
	;; [unrolled: 1-line block ×5, first 2 shown]
	ds_load_b32 v35, v1 offset:48
	s_waitcnt lgkmcnt(0)
	s_barrier
	buffer_gl0_inv
	s_cbranch_vccnz .LBB272_10
; %bb.9:
	v_add_nc_u32_e32 v1, s5, v30
	v_add_nc_u32_e32 v2, s7, v30
	v_add_nc_u32_e32 v3, s5, v31
	v_add_nc_u32_e32 v4, s7, v31
	v_add_nc_u32_e32 v5, s5, v28
	v_mul_lo_u32 v1, v1, s4
	v_mul_lo_u32 v2, v2, s6
	;; [unrolled: 1-line block ×4, first 2 shown]
	v_add_nc_u32_e32 v6, s7, v28
	v_add_nc_u32_e32 v7, s5, v29
	;; [unrolled: 1-line block ×3, first 2 shown]
	v_mul_lo_u32 v5, v5, s4
	v_add_nc_u32_e32 v9, s5, v24
	v_sub_nc_u32_e32 v1, v1, v2
	v_mul_lo_u32 v2, v6, s6
	v_sub_nc_u32_e32 v3, v3, v4
	v_mul_lo_u32 v4, v7, s4
	v_mul_lo_u32 v6, v8, s6
	v_add_nc_u32_e32 v7, s5, v26
	v_cmp_lt_u32_e32 vcc_lo, s3, v1
	v_add_nc_u32_e32 v8, s5, v27
	v_add_nc_u32_e32 v10, s7, v24
	v_sub_nc_u32_e32 v2, v5, v2
	v_add_nc_u32_e32 v5, s7, v26
	v_cndmask_b32_e64 v1, 0, 1, vcc_lo
	v_sub_nc_u32_e32 v4, v4, v6
	v_mul_lo_u32 v6, v7, s4
	v_add_nc_u32_e32 v7, s7, v27
	v_cmp_lt_u32_e32 vcc_lo, s3, v3
	v_mul_lo_u32 v5, v5, s6
	v_mul_lo_u32 v8, v8, s4
	;; [unrolled: 1-line block ×4, first 2 shown]
	v_cndmask_b32_e64 v3, 0, 1, vcc_lo
	v_cmp_lt_u32_e32 vcc_lo, s3, v2
	v_mul_lo_u32 v10, v10, s6
	v_add_nc_u32_e32 v11, s5, v22
	v_sub_nc_u32_e32 v5, v6, v5
	v_add_nc_u32_e32 v12, s7, v22
	v_cndmask_b32_e64 v2, 0, 1, vcc_lo
	v_sub_nc_u32_e32 v6, v8, v7
	v_add_nc_u32_e32 v7, s5, v25
	v_add_nc_u32_e32 v8, s7, v25
	v_cmp_lt_u32_e32 vcc_lo, s3, v4
	v_sub_nc_u32_e32 v9, v9, v10
	v_mul_lo_u32 v10, v11, s4
	v_mul_lo_u32 v7, v7, s4
	;; [unrolled: 1-line block ×4, first 2 shown]
	v_cndmask_b32_e64 v4, 0, 1, vcc_lo
	v_cmp_lt_u32_e32 vcc_lo, s3, v5
	v_add_nc_u32_e32 v12, s5, v23
	v_add_nc_u32_e32 v13, s7, v20
	;; [unrolled: 1-line block ×4, first 2 shown]
	v_cndmask_b32_e64 v5, 0, 1, vcc_lo
	v_cmp_lt_u32_e32 vcc_lo, s3, v6
	v_sub_nc_u32_e32 v7, v7, v8
	v_sub_nc_u32_e32 v8, v10, v11
	v_add_nc_u32_e32 v11, s7, v23
	v_mul_lo_u32 v10, v12, s4
	v_cndmask_b32_e64 v6, 0, 1, vcc_lo
	v_cmp_lt_u32_e32 vcc_lo, s3, v9
	v_add_nc_u32_e32 v12, s5, v20
	v_mul_lo_u32 v11, v11, s6
	v_mul_lo_u32 v13, v13, s6
	;; [unrolled: 1-line block ×3, first 2 shown]
	v_cndmask_b32_e64 v9, 0, 1, vcc_lo
	v_cmp_lt_u32_e32 vcc_lo, s3, v7
	v_mul_lo_u32 v12, v12, s4
	v_mul_lo_u32 v15, v15, s6
	v_lshlrev_b16 v3, 8, v3
	v_sub_nc_u32_e32 v10, v10, v11
	v_cndmask_b32_e64 v7, 0, 1, vcc_lo
	v_cmp_lt_u32_e32 vcc_lo, s3, v8
	v_add_nc_u32_e32 v11, s5, v35
	v_or_b32_e32 v1, v1, v3
	v_sub_nc_u32_e32 v12, v12, v13
	v_sub_nc_u32_e32 v13, v14, v15
	v_cndmask_b32_e64 v8, 0, 1, vcc_lo
	v_cmp_lt_u32_e32 vcc_lo, s3, v10
	v_add_nc_u32_e32 v16, s7, v35
	v_mul_lo_u32 v11, v11, s4
	v_lshlrev_b16 v4, 8, v4
	v_lshlrev_b16 v6, 8, v6
	v_cndmask_b32_e64 v10, 0, 1, vcc_lo
	v_cmp_lt_u32_e32 vcc_lo, s3, v12
	v_mul_lo_u32 v14, v16, s6
	v_lshlrev_b16 v7, 8, v7
	v_or_b32_e32 v2, v2, v4
	v_lshlrev_b16 v10, 8, v10
	v_cndmask_b32_e64 v3, 0, 1, vcc_lo
	v_cmp_lt_u32_e32 vcc_lo, s3, v13
	v_or_b32_e32 v4, v5, v6
	v_or_b32_e32 v5, v9, v7
	v_sub_nc_u32_e32 v11, v11, v14
	v_or_b32_e32 v6, v8, v10
	v_cndmask_b32_e64 v12, 0, 1, vcc_lo
	v_and_b32_e32 v1, 0xffff, v1
	v_lshlrev_b32_e32 v2, 16, v2
	v_and_b32_e32 v4, 0xffff, v4
	v_lshlrev_b32_e32 v5, 16, v5
	v_lshlrev_b16 v12, 8, v12
	v_and_b32_e32 v6, 0xffff, v6
	v_cmp_lt_u32_e32 vcc_lo, s3, v11
	v_or_b32_e32 v42, v1, v2
	v_or_b32_e32 v40, v4, v5
	;; [unrolled: 1-line block ×3, first 2 shown]
	v_cndmask_b32_e64 v37, 0, 1, vcc_lo
	s_delay_alu instid0(VALU_DEP_2) | instskip(NEXT) | instid1(VALU_DEP_1)
	v_lshlrev_b32_e32 v3, 16, v3
	v_or_b32_e32 v38, v6, v3
	s_addk_i32 s11, 0xd00
	s_cbranch_execz .LBB272_11
	s_branch .LBB272_38
.LBB272_10:
                                        ; implicit-def: $vgpr37
                                        ; implicit-def: $vgpr38
                                        ; implicit-def: $vgpr40
                                        ; implicit-def: $vgpr42
	s_addk_i32 s11, 0xd00
.LBB272_11:
	v_dual_mov_b32 v2, 0 :: v_dual_mov_b32 v1, 0
	s_mov_b32 s0, exec_lo
	v_cmpx_gt_u32_e64 s11, v36
; %bb.12:
	v_add_nc_u32_e32 v1, s5, v30
	v_add_nc_u32_e32 v3, s7, v30
	s_delay_alu instid0(VALU_DEP_2) | instskip(NEXT) | instid1(VALU_DEP_2)
	v_mul_lo_u32 v1, v1, s4
	v_mul_lo_u32 v3, v3, s6
	s_delay_alu instid0(VALU_DEP_1) | instskip(NEXT) | instid1(VALU_DEP_1)
	v_sub_nc_u32_e32 v1, v1, v3
	v_cmp_lt_u32_e32 vcc_lo, s3, v1
	v_cndmask_b32_e64 v1, 0, 1, vcc_lo
; %bb.13:
	s_or_b32 exec_lo, exec_lo, s0
	v_add_nc_u32_e32 v3, 1, v36
	s_mov_b32 s0, exec_lo
	s_delay_alu instid0(VALU_DEP_1)
	v_cmpx_gt_u32_e64 s11, v3
; %bb.14:
	v_add_nc_u32_e32 v2, s5, v31
	v_add_nc_u32_e32 v3, s7, v31
	s_delay_alu instid0(VALU_DEP_2) | instskip(NEXT) | instid1(VALU_DEP_2)
	v_mul_lo_u32 v2, v2, s4
	v_mul_lo_u32 v3, v3, s6
	s_delay_alu instid0(VALU_DEP_1) | instskip(NEXT) | instid1(VALU_DEP_1)
	v_sub_nc_u32_e32 v2, v2, v3
	v_cmp_lt_u32_e32 vcc_lo, s3, v2
	v_cndmask_b32_e64 v2, 0, 1, vcc_lo
; %bb.15:
	s_or_b32 exec_lo, exec_lo, s0
	v_dual_mov_b32 v4, 0 :: v_dual_add_nc_u32 v3, 2, v36
	s_delay_alu instid0(VALU_DEP_1)
	v_cmp_gt_u32_e32 vcc_lo, s11, v3
	v_mov_b32_e32 v3, 0
	s_and_saveexec_b32 s0, vcc_lo
; %bb.16:
	v_add_nc_u32_e32 v3, s5, v28
	v_add_nc_u32_e32 v5, s7, v28
	s_delay_alu instid0(VALU_DEP_2) | instskip(NEXT) | instid1(VALU_DEP_2)
	v_mul_lo_u32 v3, v3, s4
	v_mul_lo_u32 v5, v5, s6
	s_delay_alu instid0(VALU_DEP_1) | instskip(NEXT) | instid1(VALU_DEP_1)
	v_sub_nc_u32_e32 v3, v3, v5
	v_cmp_lt_u32_e32 vcc_lo, s3, v3
	v_cndmask_b32_e64 v3, 0, 1, vcc_lo
; %bb.17:
	s_or_b32 exec_lo, exec_lo, s0
	v_add_nc_u32_e32 v5, 3, v36
	s_mov_b32 s0, exec_lo
	s_delay_alu instid0(VALU_DEP_1)
	v_cmpx_gt_u32_e64 s11, v5
; %bb.18:
	v_add_nc_u32_e32 v4, s5, v29
	v_add_nc_u32_e32 v5, s7, v29
	s_delay_alu instid0(VALU_DEP_2) | instskip(NEXT) | instid1(VALU_DEP_2)
	v_mul_lo_u32 v4, v4, s4
	v_mul_lo_u32 v5, v5, s6
	s_delay_alu instid0(VALU_DEP_1) | instskip(NEXT) | instid1(VALU_DEP_1)
	v_sub_nc_u32_e32 v4, v4, v5
	v_cmp_lt_u32_e32 vcc_lo, s3, v4
	v_cndmask_b32_e64 v4, 0, 1, vcc_lo
; %bb.19:
	s_or_b32 exec_lo, exec_lo, s0
	v_dual_mov_b32 v6, 0 :: v_dual_add_nc_u32 v5, 4, v36
	s_delay_alu instid0(VALU_DEP_1)
	v_cmp_gt_u32_e32 vcc_lo, s11, v5
	v_mov_b32_e32 v5, 0
	s_and_saveexec_b32 s0, vcc_lo
	;; [unrolled: 33-line block ×5, first 2 shown]
; %bb.32:
	v_add_nc_u32_e32 v11, s5, v20
	v_add_nc_u32_e32 v13, s7, v20
	s_delay_alu instid0(VALU_DEP_2) | instskip(NEXT) | instid1(VALU_DEP_2)
	v_mul_lo_u32 v11, v11, s4
	v_mul_lo_u32 v13, v13, s6
	s_delay_alu instid0(VALU_DEP_1) | instskip(NEXT) | instid1(VALU_DEP_1)
	v_sub_nc_u32_e32 v11, v11, v13
	v_cmp_lt_u32_e32 vcc_lo, s3, v11
	v_cndmask_b32_e64 v11, 0, 1, vcc_lo
; %bb.33:
	s_or_b32 exec_lo, exec_lo, s0
	v_add_nc_u32_e32 v13, 11, v36
	s_mov_b32 s0, exec_lo
	s_delay_alu instid0(VALU_DEP_1)
	v_cmpx_gt_u32_e64 s11, v13
; %bb.34:
	v_add_nc_u32_e32 v12, s5, v21
	v_add_nc_u32_e32 v13, s7, v21
	s_delay_alu instid0(VALU_DEP_2) | instskip(NEXT) | instid1(VALU_DEP_2)
	v_mul_lo_u32 v12, v12, s4
	v_mul_lo_u32 v13, v13, s6
	s_delay_alu instid0(VALU_DEP_1) | instskip(NEXT) | instid1(VALU_DEP_1)
	v_sub_nc_u32_e32 v12, v12, v13
	v_cmp_lt_u32_e32 vcc_lo, s3, v12
	v_cndmask_b32_e64 v12, 0, 1, vcc_lo
; %bb.35:
	s_or_b32 exec_lo, exec_lo, s0
	v_add_nc_u32_e32 v13, 12, v36
	v_mov_b32_e32 v37, 0
	s_mov_b32 s0, exec_lo
	s_delay_alu instid0(VALU_DEP_2)
	v_cmpx_gt_u32_e64 s11, v13
; %bb.36:
	v_add_nc_u32_e32 v13, s5, v35
	v_add_nc_u32_e32 v14, s7, v35
	s_delay_alu instid0(VALU_DEP_2) | instskip(NEXT) | instid1(VALU_DEP_2)
	v_mul_lo_u32 v13, v13, s4
	v_mul_lo_u32 v14, v14, s6
	s_delay_alu instid0(VALU_DEP_1) | instskip(NEXT) | instid1(VALU_DEP_1)
	v_sub_nc_u32_e32 v13, v13, v14
	v_cmp_lt_u32_e32 vcc_lo, s3, v13
	v_cndmask_b32_e64 v37, 0, 1, vcc_lo
; %bb.37:
	s_or_b32 exec_lo, exec_lo, s0
	v_lshlrev_b16 v2, 8, v2
	v_lshlrev_b16 v4, 8, v4
	;; [unrolled: 1-line block ×5, first 2 shown]
	v_or_b32_e32 v1, v1, v2
	v_lshlrev_b16 v2, 8, v12
	v_or_b32_e32 v3, v3, v4
	v_or_b32_e32 v4, v5, v6
	v_or_b32_e32 v5, v7, v8
	v_or_b32_e32 v6, v9, v10
	v_or_b32_e32 v2, v11, v2
	v_and_b32_e32 v1, 0xffff, v1
	v_lshlrev_b32_e32 v3, 16, v3
	v_and_b32_e32 v4, 0xffff, v4
	v_lshlrev_b32_e32 v5, 16, v5
	;; [unrolled: 2-line block ×3, first 2 shown]
	v_or_b32_e32 v42, v1, v3
	s_delay_alu instid0(VALU_DEP_4) | instskip(NEXT) | instid1(VALU_DEP_3)
	v_or_b32_e32 v40, v4, v5
	v_or_b32_e32 v38, v6, v2
.LBB272_38:
	s_delay_alu instid0(VALU_DEP_3)
	v_and_b32_e32 v44, 0xff, v42
	v_bfe_u32 v45, v42, 8, 8
	v_bfe_u32 v46, v42, 16, 8
	v_lshrrev_b32_e32 v43, 24, v42
	v_and_b32_e32 v47, 0xff, v40
	v_bfe_u32 v48, v40, 8, 8
	v_bfe_u32 v49, v40, 16, 8
	v_add3_u32 v1, v45, v44, v46
	v_lshrrev_b32_e32 v41, 24, v40
	v_and_b32_e32 v50, 0xff, v38
	v_bfe_u32 v51, v38, 8, 8
	v_mbcnt_lo_u32_b32 v53, -1, 0
	v_add3_u32 v1, v1, v43, v47
	v_bfe_u32 v52, v38, 16, 8
	v_lshrrev_b32_e32 v39, 24, v38
	v_and_b32_e32 v2, 0xff, v37
	v_and_b32_e32 v3, 15, v53
	v_add3_u32 v1, v1, v48, v49
	v_or_b32_e32 v4, 31, v0
	v_and_b32_e32 v5, 16, v53
	v_lshrrev_b32_e32 v54, 5, v0
	v_cmp_eq_u32_e64 s6, 0, v3
	v_add3_u32 v1, v1, v41, v50
	v_cmp_lt_u32_e64 s5, 1, v3
	v_cmp_lt_u32_e64 s4, 3, v3
	;; [unrolled: 1-line block ×3, first 2 shown]
	v_cmp_eq_u32_e64 s1, 0, v5
	v_add3_u32 v1, v1, v51, v52
	v_cmp_eq_u32_e64 s0, v4, v0
	s_cmp_lg_u32 s20, 0
	s_mov_b32 s7, -1
	s_delay_alu instid0(VALU_DEP_2)
	v_add3_u32 v55, v1, v39, v2
	s_cbranch_scc0 .LBB272_69
; %bb.39:
	s_delay_alu instid0(VALU_DEP_1) | instskip(NEXT) | instid1(VALU_DEP_1)
	v_mov_b32_dpp v1, v55 row_shr:1 row_mask:0xf bank_mask:0xf
	v_cndmask_b32_e64 v1, v1, 0, s6
	s_delay_alu instid0(VALU_DEP_1) | instskip(NEXT) | instid1(VALU_DEP_1)
	v_add_nc_u32_e32 v1, v1, v55
	v_mov_b32_dpp v2, v1 row_shr:2 row_mask:0xf bank_mask:0xf
	s_delay_alu instid0(VALU_DEP_1) | instskip(NEXT) | instid1(VALU_DEP_1)
	v_cndmask_b32_e64 v2, 0, v2, s5
	v_add_nc_u32_e32 v1, v1, v2
	s_delay_alu instid0(VALU_DEP_1) | instskip(NEXT) | instid1(VALU_DEP_1)
	v_mov_b32_dpp v2, v1 row_shr:4 row_mask:0xf bank_mask:0xf
	v_cndmask_b32_e64 v2, 0, v2, s4
	s_delay_alu instid0(VALU_DEP_1) | instskip(NEXT) | instid1(VALU_DEP_1)
	v_add_nc_u32_e32 v1, v1, v2
	v_mov_b32_dpp v2, v1 row_shr:8 row_mask:0xf bank_mask:0xf
	s_delay_alu instid0(VALU_DEP_1) | instskip(NEXT) | instid1(VALU_DEP_1)
	v_cndmask_b32_e64 v2, 0, v2, s3
	v_add_nc_u32_e32 v1, v1, v2
	ds_swizzle_b32 v2, v1 offset:swizzle(BROADCAST,32,15)
	s_waitcnt lgkmcnt(0)
	v_cndmask_b32_e64 v2, v2, 0, s1
	s_delay_alu instid0(VALU_DEP_1)
	v_add_nc_u32_e32 v1, v1, v2
	s_and_saveexec_b32 s7, s0
	s_cbranch_execz .LBB272_41
; %bb.40:
	v_lshlrev_b32_e32 v2, 2, v54
	ds_store_b32 v2, v1
.LBB272_41:
	s_or_b32 exec_lo, exec_lo, s7
	s_delay_alu instid0(SALU_CYCLE_1)
	s_mov_b32 s7, exec_lo
	s_waitcnt lgkmcnt(0)
	s_barrier
	buffer_gl0_inv
	v_cmpx_gt_u32_e32 8, v0
	s_cbranch_execz .LBB272_43
; %bb.42:
	ds_load_b32 v2, v33
	s_waitcnt lgkmcnt(0)
	v_mov_b32_dpp v4, v2 row_shr:1 row_mask:0xf bank_mask:0xf
	v_and_b32_e32 v3, 7, v53
	s_delay_alu instid0(VALU_DEP_1) | instskip(NEXT) | instid1(VALU_DEP_3)
	v_cmp_ne_u32_e32 vcc_lo, 0, v3
	v_cndmask_b32_e32 v4, 0, v4, vcc_lo
	v_cmp_lt_u32_e32 vcc_lo, 1, v3
	s_delay_alu instid0(VALU_DEP_2) | instskip(NEXT) | instid1(VALU_DEP_1)
	v_add_nc_u32_e32 v2, v4, v2
	v_mov_b32_dpp v4, v2 row_shr:2 row_mask:0xf bank_mask:0xf
	s_delay_alu instid0(VALU_DEP_1) | instskip(SKIP_1) | instid1(VALU_DEP_2)
	v_cndmask_b32_e32 v4, 0, v4, vcc_lo
	v_cmp_lt_u32_e32 vcc_lo, 3, v3
	v_add_nc_u32_e32 v2, v2, v4
	s_delay_alu instid0(VALU_DEP_1) | instskip(NEXT) | instid1(VALU_DEP_1)
	v_mov_b32_dpp v4, v2 row_shr:4 row_mask:0xf bank_mask:0xf
	v_cndmask_b32_e32 v3, 0, v4, vcc_lo
	s_delay_alu instid0(VALU_DEP_1)
	v_add_nc_u32_e32 v2, v2, v3
	ds_store_b32 v33, v2
.LBB272_43:
	s_or_b32 exec_lo, exec_lo, s7
	v_cmp_gt_u32_e32 vcc_lo, 32, v0
	s_mov_b32 s21, exec_lo
	s_waitcnt lgkmcnt(0)
	s_barrier
	buffer_gl0_inv
                                        ; implicit-def: $vgpr8
	v_cmpx_lt_u32_e32 31, v0
	s_cbranch_execz .LBB272_45
; %bb.44:
	v_lshl_add_u32 v2, v54, 2, -4
	ds_load_b32 v8, v2
	s_waitcnt lgkmcnt(0)
	v_add_nc_u32_e32 v1, v8, v1
.LBB272_45:
	s_or_b32 exec_lo, exec_lo, s21
	v_add_nc_u32_e32 v2, -1, v53
	s_delay_alu instid0(VALU_DEP_1) | instskip(NEXT) | instid1(VALU_DEP_1)
	v_cmp_gt_i32_e64 s7, 0, v2
	v_cndmask_b32_e64 v2, v2, v53, s7
	v_cmp_eq_u32_e64 s7, 0, v53
	s_delay_alu instid0(VALU_DEP_2)
	v_lshlrev_b32_e32 v2, 2, v2
	ds_bpermute_b32 v9, v2, v1
	s_and_saveexec_b32 s21, vcc_lo
	s_cbranch_execz .LBB272_68
; %bb.46:
	v_mov_b32_e32 v4, 0
	ds_load_b32 v1, v4 offset:28
	s_and_saveexec_b32 s22, s7
	s_cbranch_execz .LBB272_48
; %bb.47:
	s_add_i32 s24, s20, 32
	s_mov_b32 s25, 0
	v_mov_b32_e32 v2, 1
	s_lshl_b64 s[24:25], s[24:25], 3
	s_delay_alu instid0(SALU_CYCLE_1)
	s_add_u32 s24, s18, s24
	s_addc_u32 s25, s19, s25
	s_waitcnt lgkmcnt(0)
	global_store_b64 v4, v[1:2], s[24:25]
.LBB272_48:
	s_or_b32 exec_lo, exec_lo, s22
	v_xad_u32 v2, v53, -1, s20
	s_mov_b32 s23, 0
	s_mov_b32 s22, exec_lo
	s_delay_alu instid0(VALU_DEP_1) | instskip(NEXT) | instid1(VALU_DEP_1)
	v_add_nc_u32_e32 v3, 32, v2
	v_lshlrev_b64 v[3:4], 3, v[3:4]
	s_delay_alu instid0(VALU_DEP_1) | instskip(NEXT) | instid1(VALU_DEP_2)
	v_add_co_u32 v6, vcc_lo, s18, v3
	v_add_co_ci_u32_e32 v7, vcc_lo, s19, v4, vcc_lo
	global_load_b64 v[4:5], v[6:7], off glc
	s_waitcnt vmcnt(0)
	v_and_b32_e32 v3, 0xff, v5
	s_delay_alu instid0(VALU_DEP_1)
	v_cmpx_eq_u16_e32 0, v3
	s_cbranch_execz .LBB272_54
; %bb.49:
	s_mov_b32 s24, 1
	.p2align	6
.LBB272_50:                             ; =>This Loop Header: Depth=1
                                        ;     Child Loop BB272_51 Depth 2
	s_delay_alu instid0(SALU_CYCLE_1)
	s_max_u32 s25, s24, 1
.LBB272_51:                             ;   Parent Loop BB272_50 Depth=1
                                        ; =>  This Inner Loop Header: Depth=2
	s_delay_alu instid0(SALU_CYCLE_1)
	s_add_i32 s25, s25, -1
	s_sleep 1
	s_cmp_eq_u32 s25, 0
	s_cbranch_scc0 .LBB272_51
; %bb.52:                               ;   in Loop: Header=BB272_50 Depth=1
	global_load_b64 v[4:5], v[6:7], off glc
	s_cmp_lt_u32 s24, 32
	s_cselect_b32 s25, -1, 0
	s_delay_alu instid0(SALU_CYCLE_1) | instskip(SKIP_3) | instid1(VALU_DEP_1)
	s_cmp_lg_u32 s25, 0
	s_addc_u32 s24, s24, 0
	s_waitcnt vmcnt(0)
	v_and_b32_e32 v3, 0xff, v5
	v_cmp_ne_u16_e32 vcc_lo, 0, v3
	s_or_b32 s23, vcc_lo, s23
	s_delay_alu instid0(SALU_CYCLE_1)
	s_and_not1_b32 exec_lo, exec_lo, s23
	s_cbranch_execnz .LBB272_50
; %bb.53:
	s_or_b32 exec_lo, exec_lo, s23
.LBB272_54:
	s_delay_alu instid0(SALU_CYCLE_1)
	s_or_b32 exec_lo, exec_lo, s22
	v_cmp_ne_u32_e32 vcc_lo, 31, v53
	v_lshlrev_b32_e64 v11, v53, -1
	v_add_nc_u32_e32 v13, 2, v53
	v_add_nc_u32_e32 v15, 4, v53
	v_add_nc_u32_e32 v56, 8, v53
	v_add_co_ci_u32_e32 v3, vcc_lo, 0, v53, vcc_lo
	v_add_nc_u32_e32 v58, 16, v53
	s_delay_alu instid0(VALU_DEP_2) | instskip(SKIP_2) | instid1(VALU_DEP_1)
	v_lshlrev_b32_e32 v10, 2, v3
	ds_bpermute_b32 v6, v10, v4
	v_and_b32_e32 v3, 0xff, v5
	v_cmp_eq_u16_e32 vcc_lo, 2, v3
	v_and_or_b32 v3, vcc_lo, v11, 0x80000000
	v_cmp_gt_u32_e32 vcc_lo, 30, v53
	s_delay_alu instid0(VALU_DEP_2) | instskip(SKIP_1) | instid1(VALU_DEP_2)
	v_ctz_i32_b32_e32 v3, v3
	v_cndmask_b32_e64 v7, 0, 1, vcc_lo
	v_cmp_lt_u32_e32 vcc_lo, v53, v3
	s_waitcnt lgkmcnt(0)
	s_delay_alu instid0(VALU_DEP_2) | instskip(NEXT) | instid1(VALU_DEP_1)
	v_dual_cndmask_b32 v6, 0, v6 :: v_dual_lshlrev_b32 v7, 1, v7
	v_add_lshl_u32 v12, v7, v53, 2
	v_cmp_gt_u32_e32 vcc_lo, 28, v53
	s_delay_alu instid0(VALU_DEP_3) | instskip(SKIP_4) | instid1(VALU_DEP_1)
	v_add_nc_u32_e32 v4, v6, v4
	v_cndmask_b32_e64 v7, 0, 1, vcc_lo
	v_cmp_le_u32_e32 vcc_lo, v13, v3
	ds_bpermute_b32 v6, v12, v4
	v_lshlrev_b32_e32 v7, 2, v7
	v_add_lshl_u32 v14, v7, v53, 2
	s_waitcnt lgkmcnt(0)
	v_cndmask_b32_e32 v6, 0, v6, vcc_lo
	v_cmp_gt_u32_e32 vcc_lo, 24, v53
	s_delay_alu instid0(VALU_DEP_2) | instskip(SKIP_4) | instid1(VALU_DEP_1)
	v_add_nc_u32_e32 v4, v4, v6
	v_cndmask_b32_e64 v7, 0, 1, vcc_lo
	v_cmp_le_u32_e32 vcc_lo, v15, v3
	ds_bpermute_b32 v6, v14, v4
	v_lshlrev_b32_e32 v7, 3, v7
	v_add_lshl_u32 v17, v7, v53, 2
	s_waitcnt lgkmcnt(0)
	v_cndmask_b32_e32 v6, 0, v6, vcc_lo
	v_cmp_gt_u32_e32 vcc_lo, 16, v53
	s_delay_alu instid0(VALU_DEP_2) | instskip(SKIP_4) | instid1(VALU_DEP_1)
	v_add_nc_u32_e32 v4, v4, v6
	v_cndmask_b32_e64 v7, 0, 1, vcc_lo
	v_cmp_le_u32_e32 vcc_lo, v56, v3
	ds_bpermute_b32 v6, v17, v4
	v_lshlrev_b32_e32 v7, 4, v7
	v_add_lshl_u32 v57, v7, v53, 2
	s_waitcnt lgkmcnt(0)
	v_cndmask_b32_e32 v6, 0, v6, vcc_lo
	v_cmp_le_u32_e32 vcc_lo, v58, v3
	s_delay_alu instid0(VALU_DEP_2) | instskip(SKIP_3) | instid1(VALU_DEP_1)
	v_add_nc_u32_e32 v4, v4, v6
	ds_bpermute_b32 v6, v57, v4
	s_waitcnt lgkmcnt(0)
	v_cndmask_b32_e32 v3, 0, v6, vcc_lo
	v_dual_mov_b32 v3, 0 :: v_dual_add_nc_u32 v4, v4, v3
	s_branch .LBB272_56
.LBB272_55:                             ;   in Loop: Header=BB272_56 Depth=1
	s_or_b32 exec_lo, exec_lo, s22
	ds_bpermute_b32 v7, v10, v4
	v_and_b32_e32 v6, 0xff, v5
	v_subrev_nc_u32_e32 v2, 32, v2
	s_delay_alu instid0(VALU_DEP_2) | instskip(SKIP_1) | instid1(VALU_DEP_1)
	v_cmp_eq_u16_e32 vcc_lo, 2, v6
	v_and_or_b32 v6, vcc_lo, v11, 0x80000000
	v_ctz_i32_b32_e32 v6, v6
	s_delay_alu instid0(VALU_DEP_1) | instskip(SKIP_3) | instid1(VALU_DEP_2)
	v_cmp_lt_u32_e32 vcc_lo, v53, v6
	s_waitcnt lgkmcnt(0)
	v_cndmask_b32_e32 v7, 0, v7, vcc_lo
	v_cmp_le_u32_e32 vcc_lo, v13, v6
	v_add_nc_u32_e32 v4, v7, v4
	ds_bpermute_b32 v7, v12, v4
	s_waitcnt lgkmcnt(0)
	v_cndmask_b32_e32 v7, 0, v7, vcc_lo
	v_cmp_le_u32_e32 vcc_lo, v15, v6
	s_delay_alu instid0(VALU_DEP_2) | instskip(SKIP_4) | instid1(VALU_DEP_2)
	v_add_nc_u32_e32 v4, v4, v7
	ds_bpermute_b32 v7, v14, v4
	s_waitcnt lgkmcnt(0)
	v_cndmask_b32_e32 v7, 0, v7, vcc_lo
	v_cmp_le_u32_e32 vcc_lo, v56, v6
	v_add_nc_u32_e32 v4, v4, v7
	ds_bpermute_b32 v7, v17, v4
	s_waitcnt lgkmcnt(0)
	v_cndmask_b32_e32 v7, 0, v7, vcc_lo
	v_cmp_le_u32_e32 vcc_lo, v58, v6
	s_delay_alu instid0(VALU_DEP_2) | instskip(SKIP_3) | instid1(VALU_DEP_1)
	v_add_nc_u32_e32 v4, v4, v7
	ds_bpermute_b32 v7, v57, v4
	s_waitcnt lgkmcnt(0)
	v_cndmask_b32_e32 v6, 0, v7, vcc_lo
	v_add3_u32 v4, v6, v16, v4
.LBB272_56:                             ; =>This Loop Header: Depth=1
                                        ;     Child Loop BB272_59 Depth 2
                                        ;       Child Loop BB272_60 Depth 3
	s_delay_alu instid0(VALU_DEP_1) | instskip(NEXT) | instid1(VALU_DEP_1)
	v_dual_mov_b32 v16, v4 :: v_dual_and_b32 v5, 0xff, v5
	v_cmp_ne_u16_e32 vcc_lo, 2, v5
	v_cndmask_b32_e64 v5, 0, 1, vcc_lo
	;;#ASMSTART
	;;#ASMEND
	s_delay_alu instid0(VALU_DEP_1)
	v_cmp_ne_u32_e32 vcc_lo, 0, v5
	s_cmp_lg_u32 vcc_lo, exec_lo
	s_cbranch_scc1 .LBB272_63
; %bb.57:                               ;   in Loop: Header=BB272_56 Depth=1
	v_lshlrev_b64 v[4:5], 3, v[2:3]
	s_mov_b32 s22, exec_lo
	s_delay_alu instid0(VALU_DEP_1) | instskip(NEXT) | instid1(VALU_DEP_2)
	v_add_co_u32 v6, vcc_lo, s18, v4
	v_add_co_ci_u32_e32 v7, vcc_lo, s19, v5, vcc_lo
	global_load_b64 v[4:5], v[6:7], off glc
	s_waitcnt vmcnt(0)
	v_and_b32_e32 v59, 0xff, v5
	s_delay_alu instid0(VALU_DEP_1)
	v_cmpx_eq_u16_e32 0, v59
	s_cbranch_execz .LBB272_55
; %bb.58:                               ;   in Loop: Header=BB272_56 Depth=1
	s_mov_b32 s24, 1
	s_mov_b32 s23, 0
	.p2align	6
.LBB272_59:                             ;   Parent Loop BB272_56 Depth=1
                                        ; =>  This Loop Header: Depth=2
                                        ;       Child Loop BB272_60 Depth 3
	s_max_u32 s25, s24, 1
.LBB272_60:                             ;   Parent Loop BB272_56 Depth=1
                                        ;     Parent Loop BB272_59 Depth=2
                                        ; =>    This Inner Loop Header: Depth=3
	s_delay_alu instid0(SALU_CYCLE_1)
	s_add_i32 s25, s25, -1
	s_sleep 1
	s_cmp_eq_u32 s25, 0
	s_cbranch_scc0 .LBB272_60
; %bb.61:                               ;   in Loop: Header=BB272_59 Depth=2
	global_load_b64 v[4:5], v[6:7], off glc
	s_cmp_lt_u32 s24, 32
	s_cselect_b32 s25, -1, 0
	s_delay_alu instid0(SALU_CYCLE_1) | instskip(SKIP_3) | instid1(VALU_DEP_1)
	s_cmp_lg_u32 s25, 0
	s_addc_u32 s24, s24, 0
	s_waitcnt vmcnt(0)
	v_and_b32_e32 v59, 0xff, v5
	v_cmp_ne_u16_e32 vcc_lo, 0, v59
	s_or_b32 s23, vcc_lo, s23
	s_delay_alu instid0(SALU_CYCLE_1)
	s_and_not1_b32 exec_lo, exec_lo, s23
	s_cbranch_execnz .LBB272_59
; %bb.62:                               ;   in Loop: Header=BB272_56 Depth=1
	s_or_b32 exec_lo, exec_lo, s23
	s_branch .LBB272_55
.LBB272_63:                             ;   in Loop: Header=BB272_56 Depth=1
                                        ; implicit-def: $vgpr4
                                        ; implicit-def: $vgpr5
	s_cbranch_execz .LBB272_56
; %bb.64:
	s_and_saveexec_b32 s22, s7
	s_cbranch_execz .LBB272_66
; %bb.65:
	s_add_i32 s24, s20, 32
	s_mov_b32 s25, 0
	v_dual_mov_b32 v3, 2 :: v_dual_add_nc_u32 v2, v16, v1
	s_lshl_b64 s[24:25], s[24:25], 3
	v_mov_b32_e32 v4, 0
	v_add_nc_u32_e64 v5, 0x3400, 0
	s_add_u32 s24, s18, s24
	s_addc_u32 s25, s19, s25
	global_store_b64 v4, v[2:3], s[24:25]
	ds_store_2addr_b32 v5, v1, v16 offset1:2
.LBB272_66:
	s_or_b32 exec_lo, exec_lo, s22
	s_delay_alu instid0(SALU_CYCLE_1)
	s_and_b32 exec_lo, exec_lo, s2
	s_cbranch_execz .LBB272_68
; %bb.67:
	v_mov_b32_e32 v1, 0
	ds_store_b32 v1, v16 offset:28
.LBB272_68:
	s_or_b32 exec_lo, exec_lo, s21
	v_mov_b32_e32 v1, 0
	s_waitcnt lgkmcnt(0)
	s_waitcnt_vscnt null, 0x0
	s_barrier
	buffer_gl0_inv
	v_cndmask_b32_e64 v2, v9, v8, s7
	ds_load_b32 v1, v1 offset:28
	v_add_nc_u32_e64 v11, 0x3400, 0
	s_waitcnt lgkmcnt(0)
	s_barrier
	v_cndmask_b32_e64 v2, v2, 0, s2
	buffer_gl0_inv
	ds_load_2addr_b32 v[16:17], v11 offset1:2
	v_add_nc_u32_e32 v1, v1, v2
	s_delay_alu instid0(VALU_DEP_1) | instskip(NEXT) | instid1(VALU_DEP_1)
	v_add_nc_u32_e32 v2, v1, v44
	v_add_nc_u32_e32 v3, v2, v45
	s_delay_alu instid0(VALU_DEP_1) | instskip(NEXT) | instid1(VALU_DEP_1)
	v_add_nc_u32_e32 v4, v3, v46
	;; [unrolled: 3-line block ×6, first 2 shown]
	v_add_nc_u32_e32 v13, v12, v39
	s_branch .LBB272_79
.LBB272_69:
                                        ; implicit-def: $vgpr17
                                        ; implicit-def: $vgpr1_vgpr2_vgpr3_vgpr4_vgpr5_vgpr6_vgpr7_vgpr8_vgpr9_vgpr10_vgpr11_vgpr12_vgpr13_vgpr14_vgpr15_vgpr16
	s_and_b32 vcc_lo, exec_lo, s7
	s_cbranch_vccz .LBB272_79
; %bb.70:
	s_delay_alu instid0(VALU_DEP_1) | instskip(NEXT) | instid1(VALU_DEP_1)
	v_mov_b32_dpp v1, v55 row_shr:1 row_mask:0xf bank_mask:0xf
	v_cndmask_b32_e64 v1, v1, 0, s6
	s_delay_alu instid0(VALU_DEP_1) | instskip(NEXT) | instid1(VALU_DEP_1)
	v_add_nc_u32_e32 v1, v1, v55
	v_mov_b32_dpp v2, v1 row_shr:2 row_mask:0xf bank_mask:0xf
	s_delay_alu instid0(VALU_DEP_1) | instskip(NEXT) | instid1(VALU_DEP_1)
	v_cndmask_b32_e64 v2, 0, v2, s5
	v_add_nc_u32_e32 v1, v1, v2
	s_delay_alu instid0(VALU_DEP_1) | instskip(NEXT) | instid1(VALU_DEP_1)
	v_mov_b32_dpp v2, v1 row_shr:4 row_mask:0xf bank_mask:0xf
	v_cndmask_b32_e64 v2, 0, v2, s4
	s_delay_alu instid0(VALU_DEP_1) | instskip(NEXT) | instid1(VALU_DEP_1)
	v_add_nc_u32_e32 v1, v1, v2
	v_mov_b32_dpp v2, v1 row_shr:8 row_mask:0xf bank_mask:0xf
	s_delay_alu instid0(VALU_DEP_1) | instskip(NEXT) | instid1(VALU_DEP_1)
	v_cndmask_b32_e64 v2, 0, v2, s3
	v_add_nc_u32_e32 v1, v1, v2
	ds_swizzle_b32 v2, v1 offset:swizzle(BROADCAST,32,15)
	s_waitcnt lgkmcnt(0)
	v_cndmask_b32_e64 v2, v2, 0, s1
	s_delay_alu instid0(VALU_DEP_1)
	v_add_nc_u32_e32 v1, v1, v2
	s_and_saveexec_b32 s1, s0
	s_cbranch_execz .LBB272_72
; %bb.71:
	v_lshlrev_b32_e32 v2, 2, v54
	ds_store_b32 v2, v1
.LBB272_72:
	s_or_b32 exec_lo, exec_lo, s1
	s_delay_alu instid0(SALU_CYCLE_1)
	s_mov_b32 s0, exec_lo
	s_waitcnt lgkmcnt(0)
	s_barrier
	buffer_gl0_inv
	v_cmpx_gt_u32_e32 8, v0
	s_cbranch_execz .LBB272_74
; %bb.73:
	ds_load_b32 v2, v33
	s_waitcnt lgkmcnt(0)
	v_mov_b32_dpp v4, v2 row_shr:1 row_mask:0xf bank_mask:0xf
	v_and_b32_e32 v3, 7, v53
	s_delay_alu instid0(VALU_DEP_1) | instskip(NEXT) | instid1(VALU_DEP_3)
	v_cmp_ne_u32_e32 vcc_lo, 0, v3
	v_cndmask_b32_e32 v4, 0, v4, vcc_lo
	v_cmp_lt_u32_e32 vcc_lo, 1, v3
	s_delay_alu instid0(VALU_DEP_2) | instskip(NEXT) | instid1(VALU_DEP_1)
	v_add_nc_u32_e32 v2, v4, v2
	v_mov_b32_dpp v4, v2 row_shr:2 row_mask:0xf bank_mask:0xf
	s_delay_alu instid0(VALU_DEP_1) | instskip(SKIP_1) | instid1(VALU_DEP_2)
	v_cndmask_b32_e32 v4, 0, v4, vcc_lo
	v_cmp_lt_u32_e32 vcc_lo, 3, v3
	v_add_nc_u32_e32 v2, v2, v4
	s_delay_alu instid0(VALU_DEP_1) | instskip(NEXT) | instid1(VALU_DEP_1)
	v_mov_b32_dpp v4, v2 row_shr:4 row_mask:0xf bank_mask:0xf
	v_cndmask_b32_e32 v3, 0, v4, vcc_lo
	s_delay_alu instid0(VALU_DEP_1)
	v_add_nc_u32_e32 v2, v2, v3
	ds_store_b32 v33, v2
.LBB272_74:
	s_or_b32 exec_lo, exec_lo, s0
	v_dual_mov_b32 v3, 0 :: v_dual_mov_b32 v2, 0
	s_mov_b32 s0, exec_lo
	s_waitcnt lgkmcnt(0)
	s_barrier
	buffer_gl0_inv
	v_cmpx_lt_u32_e32 31, v0
	s_cbranch_execz .LBB272_76
; %bb.75:
	v_lshl_add_u32 v2, v54, 2, -4
	ds_load_b32 v2, v2
.LBB272_76:
	s_or_b32 exec_lo, exec_lo, s0
	v_add_nc_u32_e32 v4, -1, v53
	s_waitcnt lgkmcnt(0)
	v_add_nc_u32_e32 v1, v2, v1
	ds_load_b32 v16, v3 offset:28
	v_cmp_gt_i32_e32 vcc_lo, 0, v4
	v_cndmask_b32_e32 v4, v4, v53, vcc_lo
	s_delay_alu instid0(VALU_DEP_1)
	v_lshlrev_b32_e32 v4, 2, v4
	ds_bpermute_b32 v1, v4, v1
	s_and_saveexec_b32 s0, s2
	s_cbranch_execz .LBB272_78
; %bb.77:
	v_mov_b32_e32 v3, 0
	v_mov_b32_e32 v17, 2
	s_waitcnt lgkmcnt(1)
	global_store_b64 v3, v[16:17], s[18:19] offset:256
.LBB272_78:
	s_or_b32 exec_lo, exec_lo, s0
	v_cmp_eq_u32_e32 vcc_lo, 0, v53
	s_waitcnt lgkmcnt(0)
	s_waitcnt_vscnt null, 0x0
	s_barrier
	buffer_gl0_inv
	v_mov_b32_e32 v17, 0
	v_cndmask_b32_e32 v1, v1, v2, vcc_lo
	s_delay_alu instid0(VALU_DEP_1) | instskip(NEXT) | instid1(VALU_DEP_1)
	v_cndmask_b32_e64 v1, v1, 0, s2
	v_add_nc_u32_e32 v2, v1, v44
	s_delay_alu instid0(VALU_DEP_1) | instskip(NEXT) | instid1(VALU_DEP_1)
	v_add_nc_u32_e32 v3, v2, v45
	v_add_nc_u32_e32 v4, v3, v46
	s_delay_alu instid0(VALU_DEP_1) | instskip(NEXT) | instid1(VALU_DEP_1)
	v_add_nc_u32_e32 v5, v4, v43
	;; [unrolled: 3-line block ×5, first 2 shown]
	v_add_nc_u32_e32 v12, v11, v52
	s_delay_alu instid0(VALU_DEP_1)
	v_add_nc_u32_e32 v13, v12, v39
.LBB272_79:
	s_waitcnt lgkmcnt(0)
	v_sub_nc_u32_e32 v1, v1, v17
	v_sub_nc_u32_e32 v2, v2, v17
	v_add_nc_u32_e32 v36, v16, v36
	v_lshrrev_b32_e32 v47, 8, v42
	v_lshrrev_b32_e32 v46, 16, v42
	v_sub_nc_u32_e32 v4, v4, v17
	v_sub_nc_u32_e32 v3, v3, v17
	v_sub_nc_u32_e32 v48, v36, v1
	v_and_b32_e32 v42, 1, v42
	v_and_b32_e32 v47, 1, v47
	;; [unrolled: 1-line block ×3, first 2 shown]
	v_lshrrev_b32_e32 v45, 8, v40
	v_lshrrev_b32_e32 v44, 16, v40
	v_cmp_eq_u32_e32 vcc_lo, 1, v42
	v_and_b32_e32 v42, 1, v46
	v_sub_nc_u32_e32 v46, v36, v2
	v_lshrrev_b32_e32 v15, 8, v38
	v_lshrrev_b32_e32 v14, 16, v38
	v_cndmask_b32_e32 v1, v48, v1, vcc_lo
	v_cmp_eq_u32_e32 vcc_lo, 1, v47
	v_add_nc_u32_e32 v46, 1, v46
	s_delay_alu instid0(VALU_DEP_3)
	v_lshlrev_b32_e32 v1, 2, v1
	ds_store_b32 v1, v30
	v_cndmask_b32_e32 v1, v46, v2, vcc_lo
	v_sub_nc_u32_e32 v48, v36, v3
	v_sub_nc_u32_e32 v49, v36, v4
	v_cmp_eq_u32_e32 vcc_lo, 1, v42
	v_or_b32_e32 v30, 0x300, v0
	v_lshlrev_b32_e32 v1, 2, v1
	v_add_nc_u32_e32 v48, 2, v48
	v_add_nc_u32_e32 v49, 3, v49
	ds_store_b32 v1, v31
	v_cndmask_b32_e32 v2, v48, v3, vcc_lo
	v_cmp_eq_u32_e32 vcc_lo, 1, v43
	v_or_b32_e32 v31, 0x200, v0
	s_delay_alu instid0(VALU_DEP_3) | instskip(SKIP_2) | instid1(VALU_DEP_3)
	v_dual_cndmask_b32 v3, v49, v4 :: v_dual_lshlrev_b32 v2, 2, v2
	v_sub_nc_u32_e32 v4, v5, v17
	v_sub_nc_u32_e32 v5, v6, v17
	v_lshlrev_b32_e32 v3, 2, v3
	s_delay_alu instid0(VALU_DEP_3) | instskip(NEXT) | instid1(VALU_DEP_3)
	v_sub_nc_u32_e32 v1, v36, v4
	v_sub_nc_u32_e32 v6, v36, v5
	ds_store_b32 v2, v28
	ds_store_b32 v3, v29
	v_and_b32_e32 v2, 1, v40
	v_add_nc_u32_e32 v1, 4, v1
	v_add_nc_u32_e32 v3, 5, v6
	v_sub_nc_u32_e32 v6, v7, v17
	v_and_b32_e32 v7, 1, v45
	v_cmp_eq_u32_e32 vcc_lo, 1, v2
	v_sub_nc_u32_e32 v2, v8, v17
	v_and_b32_e32 v8, 1, v41
	v_or_b32_e32 v29, 0x400, v0
	v_or_b32_e32 v28, 0x500, v0
	v_cndmask_b32_e32 v1, v1, v4, vcc_lo
	v_sub_nc_u32_e32 v4, v36, v6
	v_cmp_eq_u32_e32 vcc_lo, 1, v7
	v_and_b32_e32 v7, 1, v44
	s_delay_alu instid0(VALU_DEP_4) | instskip(NEXT) | instid1(VALU_DEP_4)
	v_lshlrev_b32_e32 v1, 2, v1
	v_dual_cndmask_b32 v3, v3, v5 :: v_dual_add_nc_u32 v4, 6, v4
	v_sub_nc_u32_e32 v5, v36, v2
	s_delay_alu instid0(VALU_DEP_4) | instskip(SKIP_2) | instid1(VALU_DEP_4)
	v_cmp_eq_u32_e32 vcc_lo, 1, v7
	v_sub_nc_u32_e32 v7, v13, v17
	v_add_co_u32 v13, s0, s16, v32
	v_dual_cndmask_b32 v4, v4, v6 :: v_dual_add_nc_u32 v5, 7, v5
	v_cmp_eq_u32_e32 vcc_lo, 1, v8
	v_sub_nc_u32_e32 v6, v9, v17
	v_lshlrev_b32_e32 v3, 2, v3
	ds_store_b32 v1, v26
	ds_store_b32 v3, v27
	v_cndmask_b32_e32 v2, v5, v2, vcc_lo
	v_sub_nc_u32_e32 v1, v36, v6
	v_lshlrev_b32_e32 v3, 2, v4
	v_and_b32_e32 v5, 1, v38
	v_sub_nc_u32_e32 v4, v10, v17
	v_lshlrev_b32_e32 v2, 2, v2
	v_add_nc_u32_e32 v1, 8, v1
	ds_store_b32 v3, v24
	ds_store_b32 v2, v25
	v_cmp_eq_u32_e32 vcc_lo, 1, v5
	v_sub_nc_u32_e32 v3, v11, v17
	v_sub_nc_u32_e32 v2, v36, v4
	;; [unrolled: 1-line block ×3, first 2 shown]
	v_dual_cndmask_b32 v1, v1, v6 :: v_dual_and_b32 v10, 1, v39
	v_and_b32_e32 v6, 1, v15
	v_sub_nc_u32_e32 v8, v36, v3
	v_add_nc_u32_e32 v2, 9, v2
	v_sub_nc_u32_e32 v9, v36, v5
	v_and_b32_e32 v11, 1, v37
	v_cmp_eq_u32_e32 vcc_lo, 1, v6
	v_add_nc_u32_e32 v6, 10, v8
	v_and_b32_e32 v8, 1, v14
	v_add_nc_u32_e32 v9, 11, v9
	v_dual_cndmask_b32 v2, v2, v4 :: v_dual_lshlrev_b32 v1, 2, v1
	v_sub_nc_u32_e32 v4, v36, v7
	s_delay_alu instid0(VALU_DEP_4) | instskip(SKIP_1) | instid1(VALU_DEP_4)
	v_cmp_eq_u32_e32 vcc_lo, 1, v8
	v_add_co_ci_u32_e64 v14, null, s17, 0, s0
	v_lshlrev_b32_e32 v2, 2, v2
	s_delay_alu instid0(VALU_DEP_4)
	v_dual_cndmask_b32 v3, v6, v3 :: v_dual_add_nc_u32 v4, 12, v4
	v_cmp_eq_u32_e32 vcc_lo, 1, v10
	v_or_b32_e32 v27, 0x600, v0
	v_or_b32_e32 v26, 0x700, v0
	;; [unrolled: 1-line block ×3, first 2 shown]
	v_lshlrev_b32_e32 v3, 2, v3
	v_cndmask_b32_e32 v5, v9, v5, vcc_lo
	v_cmp_eq_u32_e32 vcc_lo, 1, v11
	v_or_b32_e32 v24, 0x900, v0
	s_delay_alu instid0(VALU_DEP_3) | instskip(SKIP_2) | instid1(VALU_DEP_3)
	v_dual_cndmask_b32 v4, v4, v7 :: v_dual_lshlrev_b32 v5, 2, v5
	v_sub_co_u32 v13, vcc_lo, s14, v13
	v_sub_co_ci_u32_e32 v14, vcc_lo, s15, v14, vcc_lo
	v_lshlrev_b32_e32 v4, 2, v4
	ds_store_b32 v1, v22
	ds_store_b32 v2, v23
	;; [unrolled: 1-line block ×5, first 2 shown]
	s_waitcnt lgkmcnt(0)
	s_barrier
	buffer_gl0_inv
	ds_load_2addr_stride64_b32 v[11:12], v33 offset1:4
	ds_load_2addr_stride64_b32 v[9:10], v33 offset0:8 offset1:12
	ds_load_2addr_stride64_b32 v[7:8], v33 offset0:16 offset1:20
	ds_load_2addr_stride64_b32 v[5:6], v33 offset0:24 offset1:28
	ds_load_2addr_stride64_b32 v[3:4], v33 offset0:32 offset1:36
	ds_load_2addr_stride64_b32 v[1:2], v33 offset0:40 offset1:44
	ds_load_b32 v20, v33 offset:12288
	v_add_co_u32 v15, vcc_lo, v18, v17
	v_add_co_ci_u32_e32 v17, vcc_lo, 0, v19, vcc_lo
	v_add_co_u32 v13, vcc_lo, v13, v16
	v_add_co_ci_u32_e32 v14, vcc_lo, 0, v14, vcc_lo
	v_cmp_ne_u32_e32 vcc_lo, 1, v34
	s_delay_alu instid0(VALU_DEP_3)
	v_add_co_u32 v18, s0, v13, v15
	v_or_b32_e32 v35, 0x100, v0
	v_or_b32_e32 v23, 0xa00, v0
	;; [unrolled: 1-line block ×4, first 2 shown]
	v_add_co_ci_u32_e64 v19, s0, v14, v17, s0
	s_mov_b32 s0, 0
	s_cbranch_vccnz .LBB272_136
; %bb.80:
	s_mov_b32 s0, exec_lo
                                        ; implicit-def: $vgpr13_vgpr14
	v_cmpx_ge_u32_e64 v0, v16
	s_xor_b32 s0, exec_lo, s0
; %bb.81:
	v_not_b32_e32 v13, v0
	s_delay_alu instid0(VALU_DEP_1) | instskip(SKIP_1) | instid1(VALU_DEP_2)
	v_ashrrev_i32_e32 v14, 31, v13
	v_add_co_u32 v13, vcc_lo, v18, v13
	v_add_co_ci_u32_e32 v14, vcc_lo, v19, v14, vcc_lo
; %bb.82:
	s_and_not1_saveexec_b32 s0, s0
; %bb.83:
	v_add_co_u32 v13, vcc_lo, v15, v0
	v_add_co_ci_u32_e32 v14, vcc_lo, 0, v17, vcc_lo
; %bb.84:
	s_or_b32 exec_lo, exec_lo, s0
	s_delay_alu instid0(VALU_DEP_1) | instskip(SKIP_1) | instid1(VALU_DEP_1)
	v_lshlrev_b64 v[13:14], 2, v[13:14]
	s_mov_b32 s0, exec_lo
	v_add_co_u32 v13, vcc_lo, s12, v13
	s_delay_alu instid0(VALU_DEP_2)
	v_add_co_ci_u32_e32 v14, vcc_lo, s13, v14, vcc_lo
	s_waitcnt lgkmcnt(6)
	global_store_b32 v[13:14], v11, off
                                        ; implicit-def: $vgpr13_vgpr14
	v_cmpx_ge_u32_e64 v35, v16
	s_xor_b32 s0, exec_lo, s0
; %bb.85:
	v_xor_b32_e32 v13, 0xfffffeff, v0
	s_delay_alu instid0(VALU_DEP_1) | instskip(SKIP_1) | instid1(VALU_DEP_2)
	v_ashrrev_i32_e32 v14, 31, v13
	v_add_co_u32 v13, vcc_lo, v18, v13
	v_add_co_ci_u32_e32 v14, vcc_lo, v19, v14, vcc_lo
; %bb.86:
	s_and_not1_saveexec_b32 s0, s0
; %bb.87:
	v_add_co_u32 v13, vcc_lo, v15, v35
	v_add_co_ci_u32_e32 v14, vcc_lo, 0, v17, vcc_lo
; %bb.88:
	s_or_b32 exec_lo, exec_lo, s0
	s_delay_alu instid0(VALU_DEP_1) | instskip(SKIP_1) | instid1(VALU_DEP_1)
	v_lshlrev_b64 v[13:14], 2, v[13:14]
	s_mov_b32 s0, exec_lo
	v_add_co_u32 v13, vcc_lo, s12, v13
	s_delay_alu instid0(VALU_DEP_2)
	v_add_co_ci_u32_e32 v14, vcc_lo, s13, v14, vcc_lo
	global_store_b32 v[13:14], v12, off
                                        ; implicit-def: $vgpr13_vgpr14
	v_cmpx_ge_u32_e64 v31, v16
	s_xor_b32 s0, exec_lo, s0
; %bb.89:
	v_xor_b32_e32 v13, 0xfffffdff, v0
	s_delay_alu instid0(VALU_DEP_1) | instskip(SKIP_1) | instid1(VALU_DEP_2)
	v_ashrrev_i32_e32 v14, 31, v13
	v_add_co_u32 v13, vcc_lo, v18, v13
	v_add_co_ci_u32_e32 v14, vcc_lo, v19, v14, vcc_lo
; %bb.90:
	s_and_not1_saveexec_b32 s0, s0
; %bb.91:
	v_add_co_u32 v13, vcc_lo, v15, v31
	v_add_co_ci_u32_e32 v14, vcc_lo, 0, v17, vcc_lo
; %bb.92:
	s_or_b32 exec_lo, exec_lo, s0
	s_delay_alu instid0(VALU_DEP_1) | instskip(SKIP_1) | instid1(VALU_DEP_1)
	v_lshlrev_b64 v[13:14], 2, v[13:14]
	s_mov_b32 s0, exec_lo
	v_add_co_u32 v13, vcc_lo, s12, v13
	s_delay_alu instid0(VALU_DEP_2)
	v_add_co_ci_u32_e32 v14, vcc_lo, s13, v14, vcc_lo
	s_waitcnt lgkmcnt(5)
	global_store_b32 v[13:14], v9, off
                                        ; implicit-def: $vgpr13_vgpr14
	v_cmpx_ge_u32_e64 v30, v16
	s_xor_b32 s0, exec_lo, s0
; %bb.93:
	v_xor_b32_e32 v13, 0xfffffcff, v0
	s_delay_alu instid0(VALU_DEP_1) | instskip(SKIP_1) | instid1(VALU_DEP_2)
	v_ashrrev_i32_e32 v14, 31, v13
	v_add_co_u32 v13, vcc_lo, v18, v13
	v_add_co_ci_u32_e32 v14, vcc_lo, v19, v14, vcc_lo
; %bb.94:
	s_and_not1_saveexec_b32 s0, s0
; %bb.95:
	v_add_co_u32 v13, vcc_lo, v15, v30
	v_add_co_ci_u32_e32 v14, vcc_lo, 0, v17, vcc_lo
; %bb.96:
	s_or_b32 exec_lo, exec_lo, s0
	s_delay_alu instid0(VALU_DEP_1) | instskip(SKIP_1) | instid1(VALU_DEP_1)
	v_lshlrev_b64 v[13:14], 2, v[13:14]
	s_mov_b32 s0, exec_lo
	v_add_co_u32 v13, vcc_lo, s12, v13
	s_delay_alu instid0(VALU_DEP_2)
	v_add_co_ci_u32_e32 v14, vcc_lo, s13, v14, vcc_lo
	global_store_b32 v[13:14], v10, off
                                        ; implicit-def: $vgpr13_vgpr14
	v_cmpx_ge_u32_e64 v29, v16
	s_xor_b32 s0, exec_lo, s0
; %bb.97:
	v_xor_b32_e32 v13, 0xfffffbff, v0
	;; [unrolled: 47-line block ×6, first 2 shown]
	s_delay_alu instid0(VALU_DEP_1) | instskip(SKIP_1) | instid1(VALU_DEP_2)
	v_ashrrev_i32_e32 v14, 31, v13
	v_add_co_u32 v13, vcc_lo, v18, v13
	v_add_co_ci_u32_e32 v14, vcc_lo, v19, v14, vcc_lo
; %bb.130:
	s_and_not1_saveexec_b32 s0, s0
; %bb.131:
	v_add_co_u32 v13, vcc_lo, v15, v21
	v_add_co_ci_u32_e32 v14, vcc_lo, 0, v17, vcc_lo
; %bb.132:
	s_or_b32 exec_lo, exec_lo, s0
	s_mov_b32 s0, -1
.LBB272_133:
	s_delay_alu instid0(SALU_CYCLE_1)
	s_and_saveexec_b32 s1, s0
	s_cbranch_execz .LBB272_216
.LBB272_134:
	s_waitcnt lgkmcnt(1)
	v_lshlrev_b64 v[0:1], 2, v[13:14]
	s_delay_alu instid0(VALU_DEP_1) | instskip(NEXT) | instid1(VALU_DEP_2)
	v_add_co_u32 v0, vcc_lo, s12, v0
	v_add_co_ci_u32_e32 v1, vcc_lo, s13, v1, vcc_lo
	s_waitcnt lgkmcnt(0)
	global_store_b32 v[0:1], v20, off
	s_or_b32 exec_lo, exec_lo, s1
	s_and_b32 s0, s2, s10
	s_delay_alu instid0(SALU_CYCLE_1)
	s_and_saveexec_b32 s1, s0
	s_cbranch_execnz .LBB272_217
.LBB272_135:
	s_nop 0
	s_sendmsg sendmsg(MSG_DEALLOC_VGPRS)
	s_endpgm
.LBB272_136:
                                        ; implicit-def: $vgpr13_vgpr14
	s_cbranch_execz .LBB272_133
; %bb.137:
	s_mov_b32 s1, exec_lo
	v_cmpx_gt_u32_e64 s11, v0
	s_cbranch_execz .LBB272_173
; %bb.138:
	s_mov_b32 s3, exec_lo
                                        ; implicit-def: $vgpr13_vgpr14
	v_cmpx_ge_u32_e64 v0, v16
	s_xor_b32 s3, exec_lo, s3
; %bb.139:
	v_not_b32_e32 v13, v0
	s_delay_alu instid0(VALU_DEP_1) | instskip(SKIP_1) | instid1(VALU_DEP_2)
	v_ashrrev_i32_e32 v14, 31, v13
	v_add_co_u32 v13, vcc_lo, v18, v13
	v_add_co_ci_u32_e32 v14, vcc_lo, v19, v14, vcc_lo
; %bb.140:
	s_and_not1_saveexec_b32 s3, s3
; %bb.141:
	v_add_co_u32 v13, vcc_lo, v15, v0
	v_add_co_ci_u32_e32 v14, vcc_lo, 0, v17, vcc_lo
; %bb.142:
	s_or_b32 exec_lo, exec_lo, s3
	s_delay_alu instid0(VALU_DEP_1) | instskip(NEXT) | instid1(VALU_DEP_1)
	v_lshlrev_b64 v[13:14], 2, v[13:14]
	v_add_co_u32 v13, vcc_lo, s12, v13
	s_delay_alu instid0(VALU_DEP_2) | instskip(SKIP_3) | instid1(SALU_CYCLE_1)
	v_add_co_ci_u32_e32 v14, vcc_lo, s13, v14, vcc_lo
	s_waitcnt lgkmcnt(6)
	global_store_b32 v[13:14], v11, off
	s_or_b32 exec_lo, exec_lo, s1
	s_mov_b32 s1, exec_lo
	v_cmpx_gt_u32_e64 s11, v35
	s_cbranch_execnz .LBB272_174
.LBB272_143:
	s_or_b32 exec_lo, exec_lo, s1
	s_delay_alu instid0(SALU_CYCLE_1)
	s_mov_b32 s1, exec_lo
	v_cmpx_gt_u32_e64 s11, v31
	s_cbranch_execz .LBB272_179
.LBB272_144:
	s_mov_b32 s3, exec_lo
                                        ; implicit-def: $vgpr11_vgpr12
	v_cmpx_ge_u32_e64 v31, v16
	s_xor_b32 s3, exec_lo, s3
	s_cbranch_execz .LBB272_146
; %bb.145:
	s_waitcnt lgkmcnt(6)
	v_xor_b32_e32 v11, 0xfffffdff, v0
                                        ; implicit-def: $vgpr31
	s_delay_alu instid0(VALU_DEP_1) | instskip(SKIP_1) | instid1(VALU_DEP_2)
	v_ashrrev_i32_e32 v12, 31, v11
	v_add_co_u32 v11, vcc_lo, v18, v11
	v_add_co_ci_u32_e32 v12, vcc_lo, v19, v12, vcc_lo
.LBB272_146:
	s_and_not1_saveexec_b32 s3, s3
	s_cbranch_execz .LBB272_148
; %bb.147:
	s_waitcnt lgkmcnt(6)
	v_add_co_u32 v11, vcc_lo, v15, v31
	v_add_co_ci_u32_e32 v12, vcc_lo, 0, v17, vcc_lo
.LBB272_148:
	s_or_b32 exec_lo, exec_lo, s3
	s_waitcnt lgkmcnt(6)
	s_delay_alu instid0(VALU_DEP_1) | instskip(NEXT) | instid1(VALU_DEP_1)
	v_lshlrev_b64 v[11:12], 2, v[11:12]
	v_add_co_u32 v11, vcc_lo, s12, v11
	s_delay_alu instid0(VALU_DEP_2) | instskip(SKIP_3) | instid1(SALU_CYCLE_1)
	v_add_co_ci_u32_e32 v12, vcc_lo, s13, v12, vcc_lo
	s_waitcnt lgkmcnt(5)
	global_store_b32 v[11:12], v9, off
	s_or_b32 exec_lo, exec_lo, s1
	s_mov_b32 s1, exec_lo
	v_cmpx_gt_u32_e64 s11, v30
	s_cbranch_execnz .LBB272_180
.LBB272_149:
	s_or_b32 exec_lo, exec_lo, s1
	s_delay_alu instid0(SALU_CYCLE_1)
	s_mov_b32 s1, exec_lo
	v_cmpx_gt_u32_e64 s11, v29
	s_cbranch_execz .LBB272_185
.LBB272_150:
	s_mov_b32 s3, exec_lo
                                        ; implicit-def: $vgpr9_vgpr10
	v_cmpx_ge_u32_e64 v29, v16
	s_xor_b32 s3, exec_lo, s3
	s_cbranch_execz .LBB272_152
; %bb.151:
	s_waitcnt lgkmcnt(5)
	v_xor_b32_e32 v9, 0xfffffbff, v0
                                        ; implicit-def: $vgpr29
	s_delay_alu instid0(VALU_DEP_1) | instskip(SKIP_1) | instid1(VALU_DEP_2)
	v_ashrrev_i32_e32 v10, 31, v9
	v_add_co_u32 v9, vcc_lo, v18, v9
	v_add_co_ci_u32_e32 v10, vcc_lo, v19, v10, vcc_lo
.LBB272_152:
	s_and_not1_saveexec_b32 s3, s3
	s_cbranch_execz .LBB272_154
; %bb.153:
	s_waitcnt lgkmcnt(5)
	v_add_co_u32 v9, vcc_lo, v15, v29
	v_add_co_ci_u32_e32 v10, vcc_lo, 0, v17, vcc_lo
.LBB272_154:
	s_or_b32 exec_lo, exec_lo, s3
	s_waitcnt lgkmcnt(5)
	s_delay_alu instid0(VALU_DEP_1) | instskip(NEXT) | instid1(VALU_DEP_1)
	v_lshlrev_b64 v[9:10], 2, v[9:10]
	v_add_co_u32 v9, vcc_lo, s12, v9
	s_delay_alu instid0(VALU_DEP_2) | instskip(SKIP_3) | instid1(SALU_CYCLE_1)
	v_add_co_ci_u32_e32 v10, vcc_lo, s13, v10, vcc_lo
	s_waitcnt lgkmcnt(4)
	global_store_b32 v[9:10], v7, off
	s_or_b32 exec_lo, exec_lo, s1
	s_mov_b32 s1, exec_lo
	v_cmpx_gt_u32_e64 s11, v28
	s_cbranch_execnz .LBB272_186
.LBB272_155:
	s_or_b32 exec_lo, exec_lo, s1
	s_delay_alu instid0(SALU_CYCLE_1)
	s_mov_b32 s1, exec_lo
	v_cmpx_gt_u32_e64 s11, v27
	s_cbranch_execz .LBB272_191
.LBB272_156:
	s_mov_b32 s3, exec_lo
                                        ; implicit-def: $vgpr7_vgpr8
	v_cmpx_ge_u32_e64 v27, v16
	s_xor_b32 s3, exec_lo, s3
	s_cbranch_execz .LBB272_158
; %bb.157:
	s_waitcnt lgkmcnt(4)
	v_xor_b32_e32 v7, 0xfffff9ff, v0
                                        ; implicit-def: $vgpr27
	s_delay_alu instid0(VALU_DEP_1) | instskip(SKIP_1) | instid1(VALU_DEP_2)
	v_ashrrev_i32_e32 v8, 31, v7
	v_add_co_u32 v7, vcc_lo, v18, v7
	v_add_co_ci_u32_e32 v8, vcc_lo, v19, v8, vcc_lo
.LBB272_158:
	s_and_not1_saveexec_b32 s3, s3
	s_cbranch_execz .LBB272_160
; %bb.159:
	s_waitcnt lgkmcnt(4)
	v_add_co_u32 v7, vcc_lo, v15, v27
	v_add_co_ci_u32_e32 v8, vcc_lo, 0, v17, vcc_lo
.LBB272_160:
	s_or_b32 exec_lo, exec_lo, s3
	s_waitcnt lgkmcnt(4)
	s_delay_alu instid0(VALU_DEP_1) | instskip(NEXT) | instid1(VALU_DEP_1)
	v_lshlrev_b64 v[7:8], 2, v[7:8]
	v_add_co_u32 v7, vcc_lo, s12, v7
	s_delay_alu instid0(VALU_DEP_2) | instskip(SKIP_3) | instid1(SALU_CYCLE_1)
	v_add_co_ci_u32_e32 v8, vcc_lo, s13, v8, vcc_lo
	s_waitcnt lgkmcnt(3)
	global_store_b32 v[7:8], v5, off
	s_or_b32 exec_lo, exec_lo, s1
	s_mov_b32 s1, exec_lo
	v_cmpx_gt_u32_e64 s11, v26
	s_cbranch_execnz .LBB272_192
.LBB272_161:
	s_or_b32 exec_lo, exec_lo, s1
	s_delay_alu instid0(SALU_CYCLE_1)
	s_mov_b32 s1, exec_lo
	v_cmpx_gt_u32_e64 s11, v25
	s_cbranch_execz .LBB272_197
.LBB272_162:
	s_mov_b32 s3, exec_lo
                                        ; implicit-def: $vgpr5_vgpr6
	v_cmpx_ge_u32_e64 v25, v16
	s_xor_b32 s3, exec_lo, s3
	s_cbranch_execz .LBB272_164
; %bb.163:
	s_waitcnt lgkmcnt(3)
	v_xor_b32_e32 v5, 0xfffff7ff, v0
                                        ; implicit-def: $vgpr25
	s_delay_alu instid0(VALU_DEP_1) | instskip(SKIP_1) | instid1(VALU_DEP_2)
	v_ashrrev_i32_e32 v6, 31, v5
	v_add_co_u32 v5, vcc_lo, v18, v5
	v_add_co_ci_u32_e32 v6, vcc_lo, v19, v6, vcc_lo
.LBB272_164:
	s_and_not1_saveexec_b32 s3, s3
	s_cbranch_execz .LBB272_166
; %bb.165:
	s_waitcnt lgkmcnt(3)
	v_add_co_u32 v5, vcc_lo, v15, v25
	v_add_co_ci_u32_e32 v6, vcc_lo, 0, v17, vcc_lo
.LBB272_166:
	s_or_b32 exec_lo, exec_lo, s3
	s_waitcnt lgkmcnt(3)
	s_delay_alu instid0(VALU_DEP_1) | instskip(NEXT) | instid1(VALU_DEP_1)
	v_lshlrev_b64 v[5:6], 2, v[5:6]
	v_add_co_u32 v5, vcc_lo, s12, v5
	s_delay_alu instid0(VALU_DEP_2) | instskip(SKIP_3) | instid1(SALU_CYCLE_1)
	v_add_co_ci_u32_e32 v6, vcc_lo, s13, v6, vcc_lo
	s_waitcnt lgkmcnt(2)
	global_store_b32 v[5:6], v3, off
	s_or_b32 exec_lo, exec_lo, s1
	s_mov_b32 s1, exec_lo
	v_cmpx_gt_u32_e64 s11, v24
	s_cbranch_execnz .LBB272_198
.LBB272_167:
	s_or_b32 exec_lo, exec_lo, s1
	s_delay_alu instid0(SALU_CYCLE_1)
	s_mov_b32 s1, exec_lo
	v_cmpx_gt_u32_e64 s11, v23
	s_cbranch_execz .LBB272_203
.LBB272_168:
	s_mov_b32 s3, exec_lo
                                        ; implicit-def: $vgpr3_vgpr4
	v_cmpx_ge_u32_e64 v23, v16
	s_xor_b32 s3, exec_lo, s3
	s_cbranch_execz .LBB272_170
; %bb.169:
	s_waitcnt lgkmcnt(2)
	v_xor_b32_e32 v3, 0xfffff5ff, v0
                                        ; implicit-def: $vgpr23
	s_delay_alu instid0(VALU_DEP_1) | instskip(SKIP_1) | instid1(VALU_DEP_2)
	v_ashrrev_i32_e32 v4, 31, v3
	v_add_co_u32 v3, vcc_lo, v18, v3
	v_add_co_ci_u32_e32 v4, vcc_lo, v19, v4, vcc_lo
.LBB272_170:
	s_and_not1_saveexec_b32 s3, s3
	s_cbranch_execz .LBB272_172
; %bb.171:
	s_waitcnt lgkmcnt(2)
	v_add_co_u32 v3, vcc_lo, v15, v23
	v_add_co_ci_u32_e32 v4, vcc_lo, 0, v17, vcc_lo
.LBB272_172:
	s_or_b32 exec_lo, exec_lo, s3
	s_waitcnt lgkmcnt(2)
	s_delay_alu instid0(VALU_DEP_1) | instskip(NEXT) | instid1(VALU_DEP_1)
	v_lshlrev_b64 v[3:4], 2, v[3:4]
	v_add_co_u32 v3, vcc_lo, s12, v3
	s_delay_alu instid0(VALU_DEP_2) | instskip(SKIP_3) | instid1(SALU_CYCLE_1)
	v_add_co_ci_u32_e32 v4, vcc_lo, s13, v4, vcc_lo
	s_waitcnt lgkmcnt(1)
	global_store_b32 v[3:4], v1, off
	s_or_b32 exec_lo, exec_lo, s1
	s_mov_b32 s1, exec_lo
	v_cmpx_gt_u32_e64 s11, v22
	s_cbranch_execz .LBB272_209
	s_branch .LBB272_204
.LBB272_173:
	s_or_b32 exec_lo, exec_lo, s1
	s_delay_alu instid0(SALU_CYCLE_1)
	s_mov_b32 s1, exec_lo
	v_cmpx_gt_u32_e64 s11, v35
	s_cbranch_execz .LBB272_143
.LBB272_174:
	s_mov_b32 s3, exec_lo
                                        ; implicit-def: $vgpr13_vgpr14
	v_cmpx_ge_u32_e64 v35, v16
	s_xor_b32 s3, exec_lo, s3
	s_cbranch_execz .LBB272_176
; %bb.175:
	s_waitcnt lgkmcnt(6)
	v_xor_b32_e32 v11, 0xfffffeff, v0
                                        ; implicit-def: $vgpr35
	s_delay_alu instid0(VALU_DEP_1) | instskip(SKIP_1) | instid1(VALU_DEP_2)
	v_ashrrev_i32_e32 v14, 31, v11
	v_add_co_u32 v13, vcc_lo, v18, v11
	v_add_co_ci_u32_e32 v14, vcc_lo, v19, v14, vcc_lo
.LBB272_176:
	s_and_not1_saveexec_b32 s3, s3
; %bb.177:
	v_add_co_u32 v13, vcc_lo, v15, v35
	v_add_co_ci_u32_e32 v14, vcc_lo, 0, v17, vcc_lo
; %bb.178:
	s_or_b32 exec_lo, exec_lo, s3
	s_delay_alu instid0(VALU_DEP_1) | instskip(NEXT) | instid1(VALU_DEP_1)
	v_lshlrev_b64 v[13:14], 2, v[13:14]
	v_add_co_u32 v13, vcc_lo, s12, v13
	s_delay_alu instid0(VALU_DEP_2) | instskip(SKIP_3) | instid1(SALU_CYCLE_1)
	v_add_co_ci_u32_e32 v14, vcc_lo, s13, v14, vcc_lo
	s_waitcnt lgkmcnt(6)
	global_store_b32 v[13:14], v12, off
	s_or_b32 exec_lo, exec_lo, s1
	s_mov_b32 s1, exec_lo
	v_cmpx_gt_u32_e64 s11, v31
	s_cbranch_execnz .LBB272_144
.LBB272_179:
	s_or_b32 exec_lo, exec_lo, s1
	s_delay_alu instid0(SALU_CYCLE_1)
	s_mov_b32 s1, exec_lo
	v_cmpx_gt_u32_e64 s11, v30
	s_cbranch_execz .LBB272_149
.LBB272_180:
	s_mov_b32 s3, exec_lo
                                        ; implicit-def: $vgpr11_vgpr12
	v_cmpx_ge_u32_e64 v30, v16
	s_xor_b32 s3, exec_lo, s3
	s_cbranch_execz .LBB272_182
; %bb.181:
	s_waitcnt lgkmcnt(5)
	v_xor_b32_e32 v9, 0xfffffcff, v0
                                        ; implicit-def: $vgpr30
	s_delay_alu instid0(VALU_DEP_1) | instskip(SKIP_1) | instid1(VALU_DEP_2)
	v_ashrrev_i32_e32 v12, 31, v9
	v_add_co_u32 v11, vcc_lo, v18, v9
	v_add_co_ci_u32_e32 v12, vcc_lo, v19, v12, vcc_lo
.LBB272_182:
	s_and_not1_saveexec_b32 s3, s3
	s_cbranch_execz .LBB272_184
; %bb.183:
	s_waitcnt lgkmcnt(6)
	v_add_co_u32 v11, vcc_lo, v15, v30
	v_add_co_ci_u32_e32 v12, vcc_lo, 0, v17, vcc_lo
.LBB272_184:
	s_or_b32 exec_lo, exec_lo, s3
	s_waitcnt lgkmcnt(6)
	s_delay_alu instid0(VALU_DEP_1) | instskip(NEXT) | instid1(VALU_DEP_1)
	v_lshlrev_b64 v[11:12], 2, v[11:12]
	v_add_co_u32 v11, vcc_lo, s12, v11
	s_delay_alu instid0(VALU_DEP_2) | instskip(SKIP_3) | instid1(SALU_CYCLE_1)
	v_add_co_ci_u32_e32 v12, vcc_lo, s13, v12, vcc_lo
	s_waitcnt lgkmcnt(5)
	global_store_b32 v[11:12], v10, off
	s_or_b32 exec_lo, exec_lo, s1
	s_mov_b32 s1, exec_lo
	v_cmpx_gt_u32_e64 s11, v29
	s_cbranch_execnz .LBB272_150
.LBB272_185:
	s_or_b32 exec_lo, exec_lo, s1
	s_delay_alu instid0(SALU_CYCLE_1)
	s_mov_b32 s1, exec_lo
	v_cmpx_gt_u32_e64 s11, v28
	s_cbranch_execz .LBB272_155
.LBB272_186:
	s_mov_b32 s3, exec_lo
                                        ; implicit-def: $vgpr9_vgpr10
	v_cmpx_ge_u32_e64 v28, v16
	s_xor_b32 s3, exec_lo, s3
	s_cbranch_execz .LBB272_188
; %bb.187:
	s_waitcnt lgkmcnt(4)
	v_xor_b32_e32 v7, 0xfffffaff, v0
                                        ; implicit-def: $vgpr28
	s_delay_alu instid0(VALU_DEP_1) | instskip(SKIP_1) | instid1(VALU_DEP_2)
	v_ashrrev_i32_e32 v10, 31, v7
	v_add_co_u32 v9, vcc_lo, v18, v7
	v_add_co_ci_u32_e32 v10, vcc_lo, v19, v10, vcc_lo
.LBB272_188:
	s_and_not1_saveexec_b32 s3, s3
	s_cbranch_execz .LBB272_190
; %bb.189:
	s_waitcnt lgkmcnt(5)
	v_add_co_u32 v9, vcc_lo, v15, v28
	v_add_co_ci_u32_e32 v10, vcc_lo, 0, v17, vcc_lo
.LBB272_190:
	s_or_b32 exec_lo, exec_lo, s3
	s_waitcnt lgkmcnt(5)
	s_delay_alu instid0(VALU_DEP_1) | instskip(NEXT) | instid1(VALU_DEP_1)
	v_lshlrev_b64 v[9:10], 2, v[9:10]
	v_add_co_u32 v9, vcc_lo, s12, v9
	s_delay_alu instid0(VALU_DEP_2) | instskip(SKIP_3) | instid1(SALU_CYCLE_1)
	v_add_co_ci_u32_e32 v10, vcc_lo, s13, v10, vcc_lo
	s_waitcnt lgkmcnt(4)
	global_store_b32 v[9:10], v8, off
	s_or_b32 exec_lo, exec_lo, s1
	s_mov_b32 s1, exec_lo
	v_cmpx_gt_u32_e64 s11, v27
	s_cbranch_execnz .LBB272_156
.LBB272_191:
	s_or_b32 exec_lo, exec_lo, s1
	s_delay_alu instid0(SALU_CYCLE_1)
	s_mov_b32 s1, exec_lo
	v_cmpx_gt_u32_e64 s11, v26
	s_cbranch_execz .LBB272_161
.LBB272_192:
	s_mov_b32 s3, exec_lo
                                        ; implicit-def: $vgpr7_vgpr8
	v_cmpx_ge_u32_e64 v26, v16
	s_xor_b32 s3, exec_lo, s3
	s_cbranch_execz .LBB272_194
; %bb.193:
	s_waitcnt lgkmcnt(3)
	v_xor_b32_e32 v5, 0xfffff8ff, v0
                                        ; implicit-def: $vgpr26
	s_delay_alu instid0(VALU_DEP_1) | instskip(SKIP_1) | instid1(VALU_DEP_2)
	v_ashrrev_i32_e32 v8, 31, v5
	v_add_co_u32 v7, vcc_lo, v18, v5
	v_add_co_ci_u32_e32 v8, vcc_lo, v19, v8, vcc_lo
.LBB272_194:
	s_and_not1_saveexec_b32 s3, s3
	s_cbranch_execz .LBB272_196
; %bb.195:
	s_waitcnt lgkmcnt(4)
	v_add_co_u32 v7, vcc_lo, v15, v26
	v_add_co_ci_u32_e32 v8, vcc_lo, 0, v17, vcc_lo
.LBB272_196:
	s_or_b32 exec_lo, exec_lo, s3
	s_waitcnt lgkmcnt(4)
	s_delay_alu instid0(VALU_DEP_1) | instskip(NEXT) | instid1(VALU_DEP_1)
	v_lshlrev_b64 v[7:8], 2, v[7:8]
	v_add_co_u32 v7, vcc_lo, s12, v7
	s_delay_alu instid0(VALU_DEP_2) | instskip(SKIP_3) | instid1(SALU_CYCLE_1)
	v_add_co_ci_u32_e32 v8, vcc_lo, s13, v8, vcc_lo
	s_waitcnt lgkmcnt(3)
	global_store_b32 v[7:8], v6, off
	s_or_b32 exec_lo, exec_lo, s1
	s_mov_b32 s1, exec_lo
	v_cmpx_gt_u32_e64 s11, v25
	s_cbranch_execnz .LBB272_162
.LBB272_197:
	s_or_b32 exec_lo, exec_lo, s1
	s_delay_alu instid0(SALU_CYCLE_1)
	s_mov_b32 s1, exec_lo
	v_cmpx_gt_u32_e64 s11, v24
	s_cbranch_execz .LBB272_167
.LBB272_198:
	s_mov_b32 s3, exec_lo
                                        ; implicit-def: $vgpr5_vgpr6
	v_cmpx_ge_u32_e64 v24, v16
	s_xor_b32 s3, exec_lo, s3
	s_cbranch_execz .LBB272_200
; %bb.199:
	s_waitcnt lgkmcnt(2)
	v_xor_b32_e32 v3, 0xfffff6ff, v0
                                        ; implicit-def: $vgpr24
	s_delay_alu instid0(VALU_DEP_1) | instskip(SKIP_1) | instid1(VALU_DEP_2)
	v_ashrrev_i32_e32 v6, 31, v3
	v_add_co_u32 v5, vcc_lo, v18, v3
	v_add_co_ci_u32_e32 v6, vcc_lo, v19, v6, vcc_lo
.LBB272_200:
	s_and_not1_saveexec_b32 s3, s3
	s_cbranch_execz .LBB272_202
; %bb.201:
	s_waitcnt lgkmcnt(3)
	v_add_co_u32 v5, vcc_lo, v15, v24
	v_add_co_ci_u32_e32 v6, vcc_lo, 0, v17, vcc_lo
.LBB272_202:
	s_or_b32 exec_lo, exec_lo, s3
	s_waitcnt lgkmcnt(3)
	s_delay_alu instid0(VALU_DEP_1) | instskip(NEXT) | instid1(VALU_DEP_1)
	v_lshlrev_b64 v[5:6], 2, v[5:6]
	v_add_co_u32 v5, vcc_lo, s12, v5
	s_delay_alu instid0(VALU_DEP_2) | instskip(SKIP_3) | instid1(SALU_CYCLE_1)
	v_add_co_ci_u32_e32 v6, vcc_lo, s13, v6, vcc_lo
	s_waitcnt lgkmcnt(2)
	global_store_b32 v[5:6], v4, off
	s_or_b32 exec_lo, exec_lo, s1
	s_mov_b32 s1, exec_lo
	v_cmpx_gt_u32_e64 s11, v23
	s_cbranch_execnz .LBB272_168
.LBB272_203:
	s_or_b32 exec_lo, exec_lo, s1
	s_delay_alu instid0(SALU_CYCLE_1)
	s_mov_b32 s1, exec_lo
	v_cmpx_gt_u32_e64 s11, v22
	s_cbranch_execz .LBB272_209
.LBB272_204:
	s_mov_b32 s3, exec_lo
                                        ; implicit-def: $vgpr3_vgpr4
	v_cmpx_ge_u32_e64 v22, v16
	s_xor_b32 s3, exec_lo, s3
	s_cbranch_execz .LBB272_206
; %bb.205:
	s_waitcnt lgkmcnt(1)
	v_xor_b32_e32 v1, 0xfffff4ff, v0
                                        ; implicit-def: $vgpr22
	s_delay_alu instid0(VALU_DEP_1) | instskip(SKIP_1) | instid1(VALU_DEP_2)
	v_ashrrev_i32_e32 v4, 31, v1
	v_add_co_u32 v3, vcc_lo, v18, v1
	v_add_co_ci_u32_e32 v4, vcc_lo, v19, v4, vcc_lo
.LBB272_206:
	s_and_not1_saveexec_b32 s3, s3
	s_cbranch_execz .LBB272_208
; %bb.207:
	s_waitcnt lgkmcnt(2)
	v_add_co_u32 v3, vcc_lo, v15, v22
	v_add_co_ci_u32_e32 v4, vcc_lo, 0, v17, vcc_lo
.LBB272_208:
	s_or_b32 exec_lo, exec_lo, s3
	s_waitcnt lgkmcnt(2)
	s_delay_alu instid0(VALU_DEP_1) | instskip(NEXT) | instid1(VALU_DEP_1)
	v_lshlrev_b64 v[3:4], 2, v[3:4]
	v_add_co_u32 v3, vcc_lo, s12, v3
	s_delay_alu instid0(VALU_DEP_2)
	v_add_co_ci_u32_e32 v4, vcc_lo, s13, v4, vcc_lo
	s_waitcnt lgkmcnt(1)
	global_store_b32 v[3:4], v2, off
.LBB272_209:
	s_or_b32 exec_lo, exec_lo, s1
	s_delay_alu instid0(SALU_CYCLE_1)
	s_mov_b32 s1, exec_lo
                                        ; implicit-def: $vgpr13_vgpr14
	v_cmpx_gt_u32_e64 s11, v21
	s_cbranch_execz .LBB272_215
; %bb.210:
	s_mov_b32 s3, exec_lo
                                        ; implicit-def: $vgpr13_vgpr14
	v_cmpx_ge_u32_e64 v21, v16
	s_xor_b32 s3, exec_lo, s3
	s_cbranch_execz .LBB272_212
; %bb.211:
	v_xor_b32_e32 v0, 0xfffff3ff, v0
                                        ; implicit-def: $vgpr21
	s_waitcnt lgkmcnt(1)
	s_delay_alu instid0(VALU_DEP_1) | instskip(SKIP_1) | instid1(VALU_DEP_2)
	v_ashrrev_i32_e32 v1, 31, v0
	v_add_co_u32 v13, vcc_lo, v18, v0
	v_add_co_ci_u32_e32 v14, vcc_lo, v19, v1, vcc_lo
.LBB272_212:
	s_and_not1_saveexec_b32 s3, s3
; %bb.213:
	v_add_co_u32 v13, vcc_lo, v15, v21
	v_add_co_ci_u32_e32 v14, vcc_lo, 0, v17, vcc_lo
; %bb.214:
	s_or_b32 exec_lo, exec_lo, s3
	s_delay_alu instid0(SALU_CYCLE_1)
	s_or_b32 s0, s0, exec_lo
.LBB272_215:
	s_or_b32 exec_lo, exec_lo, s1
	s_and_saveexec_b32 s1, s0
	s_cbranch_execnz .LBB272_134
.LBB272_216:
	s_or_b32 exec_lo, exec_lo, s1
	s_and_b32 s0, s2, s10
	s_delay_alu instid0(SALU_CYCLE_1)
	s_and_saveexec_b32 s1, s0
	s_cbranch_execz .LBB272_135
.LBB272_217:
	v_add_co_u32 v0, vcc_lo, v15, v16
	s_waitcnt lgkmcnt(1)
	v_mov_b32_e32 v2, 0
	v_add_co_ci_u32_e32 v1, vcc_lo, 0, v17, vcc_lo
	global_store_b64 v2, v[0:1], s[8:9]
	s_nop 0
	s_sendmsg sendmsg(MSG_DEALLOC_VGPRS)
	s_endpgm
	.section	.rodata,"a",@progbits
	.p2align	6, 0x0
	.amdhsa_kernel _ZN7rocprim17ROCPRIM_400000_NS6detail17trampoline_kernelINS0_13select_configILj256ELj13ELNS0_17block_load_methodE3ELS4_3ELS4_3ELNS0_20block_scan_algorithmE0ELj4294967295EEENS1_25partition_config_selectorILNS1_17partition_subalgoE3EjNS0_10empty_typeEbEEZZNS1_14partition_implILS8_3ELb0ES6_jNS0_17counting_iteratorIjlEEPS9_SE_NS0_5tupleIJPjSE_EEENSF_IJSE_SE_EEES9_SG_JZNS1_25segmented_radix_sort_implINS0_14default_configELb1EPKaPaPKlPlN2at6native12_GLOBAL__N_18offset_tEEE10hipError_tPvRmT1_PNSt15iterator_traitsISY_E10value_typeET2_T3_PNSZ_IS14_E10value_typeET4_jRbjT5_S1A_jjP12ihipStream_tbEUljE_EEESV_SW_SX_S14_S18_S1A_T6_T7_T9_mT8_S1C_bDpT10_ENKUlT_T0_E_clISt17integral_constantIbLb1EES1P_EEDaS1K_S1L_EUlS1K_E_NS1_11comp_targetILNS1_3genE9ELNS1_11target_archE1100ELNS1_3gpuE3ELNS1_3repE0EEENS1_30default_config_static_selectorELNS0_4arch9wavefront6targetE0EEEvSY_
		.amdhsa_group_segment_fixed_size 13324
		.amdhsa_private_segment_fixed_size 0
		.amdhsa_kernarg_size 152
		.amdhsa_user_sgpr_count 15
		.amdhsa_user_sgpr_dispatch_ptr 0
		.amdhsa_user_sgpr_queue_ptr 0
		.amdhsa_user_sgpr_kernarg_segment_ptr 1
		.amdhsa_user_sgpr_dispatch_id 0
		.amdhsa_user_sgpr_private_segment_size 0
		.amdhsa_wavefront_size32 1
		.amdhsa_uses_dynamic_stack 0
		.amdhsa_enable_private_segment 0
		.amdhsa_system_sgpr_workgroup_id_x 1
		.amdhsa_system_sgpr_workgroup_id_y 0
		.amdhsa_system_sgpr_workgroup_id_z 0
		.amdhsa_system_sgpr_workgroup_info 0
		.amdhsa_system_vgpr_workitem_id 0
		.amdhsa_next_free_vgpr 60
		.amdhsa_next_free_sgpr 26
		.amdhsa_reserve_vcc 1
		.amdhsa_float_round_mode_32 0
		.amdhsa_float_round_mode_16_64 0
		.amdhsa_float_denorm_mode_32 3
		.amdhsa_float_denorm_mode_16_64 3
		.amdhsa_dx10_clamp 1
		.amdhsa_ieee_mode 1
		.amdhsa_fp16_overflow 0
		.amdhsa_workgroup_processor_mode 1
		.amdhsa_memory_ordered 1
		.amdhsa_forward_progress 0
		.amdhsa_shared_vgpr_count 0
		.amdhsa_exception_fp_ieee_invalid_op 0
		.amdhsa_exception_fp_denorm_src 0
		.amdhsa_exception_fp_ieee_div_zero 0
		.amdhsa_exception_fp_ieee_overflow 0
		.amdhsa_exception_fp_ieee_underflow 0
		.amdhsa_exception_fp_ieee_inexact 0
		.amdhsa_exception_int_div_zero 0
	.end_amdhsa_kernel
	.section	.text._ZN7rocprim17ROCPRIM_400000_NS6detail17trampoline_kernelINS0_13select_configILj256ELj13ELNS0_17block_load_methodE3ELS4_3ELS4_3ELNS0_20block_scan_algorithmE0ELj4294967295EEENS1_25partition_config_selectorILNS1_17partition_subalgoE3EjNS0_10empty_typeEbEEZZNS1_14partition_implILS8_3ELb0ES6_jNS0_17counting_iteratorIjlEEPS9_SE_NS0_5tupleIJPjSE_EEENSF_IJSE_SE_EEES9_SG_JZNS1_25segmented_radix_sort_implINS0_14default_configELb1EPKaPaPKlPlN2at6native12_GLOBAL__N_18offset_tEEE10hipError_tPvRmT1_PNSt15iterator_traitsISY_E10value_typeET2_T3_PNSZ_IS14_E10value_typeET4_jRbjT5_S1A_jjP12ihipStream_tbEUljE_EEESV_SW_SX_S14_S18_S1A_T6_T7_T9_mT8_S1C_bDpT10_ENKUlT_T0_E_clISt17integral_constantIbLb1EES1P_EEDaS1K_S1L_EUlS1K_E_NS1_11comp_targetILNS1_3genE9ELNS1_11target_archE1100ELNS1_3gpuE3ELNS1_3repE0EEENS1_30default_config_static_selectorELNS0_4arch9wavefront6targetE0EEEvSY_,"axG",@progbits,_ZN7rocprim17ROCPRIM_400000_NS6detail17trampoline_kernelINS0_13select_configILj256ELj13ELNS0_17block_load_methodE3ELS4_3ELS4_3ELNS0_20block_scan_algorithmE0ELj4294967295EEENS1_25partition_config_selectorILNS1_17partition_subalgoE3EjNS0_10empty_typeEbEEZZNS1_14partition_implILS8_3ELb0ES6_jNS0_17counting_iteratorIjlEEPS9_SE_NS0_5tupleIJPjSE_EEENSF_IJSE_SE_EEES9_SG_JZNS1_25segmented_radix_sort_implINS0_14default_configELb1EPKaPaPKlPlN2at6native12_GLOBAL__N_18offset_tEEE10hipError_tPvRmT1_PNSt15iterator_traitsISY_E10value_typeET2_T3_PNSZ_IS14_E10value_typeET4_jRbjT5_S1A_jjP12ihipStream_tbEUljE_EEESV_SW_SX_S14_S18_S1A_T6_T7_T9_mT8_S1C_bDpT10_ENKUlT_T0_E_clISt17integral_constantIbLb1EES1P_EEDaS1K_S1L_EUlS1K_E_NS1_11comp_targetILNS1_3genE9ELNS1_11target_archE1100ELNS1_3gpuE3ELNS1_3repE0EEENS1_30default_config_static_selectorELNS0_4arch9wavefront6targetE0EEEvSY_,comdat
.Lfunc_end272:
	.size	_ZN7rocprim17ROCPRIM_400000_NS6detail17trampoline_kernelINS0_13select_configILj256ELj13ELNS0_17block_load_methodE3ELS4_3ELS4_3ELNS0_20block_scan_algorithmE0ELj4294967295EEENS1_25partition_config_selectorILNS1_17partition_subalgoE3EjNS0_10empty_typeEbEEZZNS1_14partition_implILS8_3ELb0ES6_jNS0_17counting_iteratorIjlEEPS9_SE_NS0_5tupleIJPjSE_EEENSF_IJSE_SE_EEES9_SG_JZNS1_25segmented_radix_sort_implINS0_14default_configELb1EPKaPaPKlPlN2at6native12_GLOBAL__N_18offset_tEEE10hipError_tPvRmT1_PNSt15iterator_traitsISY_E10value_typeET2_T3_PNSZ_IS14_E10value_typeET4_jRbjT5_S1A_jjP12ihipStream_tbEUljE_EEESV_SW_SX_S14_S18_S1A_T6_T7_T9_mT8_S1C_bDpT10_ENKUlT_T0_E_clISt17integral_constantIbLb1EES1P_EEDaS1K_S1L_EUlS1K_E_NS1_11comp_targetILNS1_3genE9ELNS1_11target_archE1100ELNS1_3gpuE3ELNS1_3repE0EEENS1_30default_config_static_selectorELNS0_4arch9wavefront6targetE0EEEvSY_, .Lfunc_end272-_ZN7rocprim17ROCPRIM_400000_NS6detail17trampoline_kernelINS0_13select_configILj256ELj13ELNS0_17block_load_methodE3ELS4_3ELS4_3ELNS0_20block_scan_algorithmE0ELj4294967295EEENS1_25partition_config_selectorILNS1_17partition_subalgoE3EjNS0_10empty_typeEbEEZZNS1_14partition_implILS8_3ELb0ES6_jNS0_17counting_iteratorIjlEEPS9_SE_NS0_5tupleIJPjSE_EEENSF_IJSE_SE_EEES9_SG_JZNS1_25segmented_radix_sort_implINS0_14default_configELb1EPKaPaPKlPlN2at6native12_GLOBAL__N_18offset_tEEE10hipError_tPvRmT1_PNSt15iterator_traitsISY_E10value_typeET2_T3_PNSZ_IS14_E10value_typeET4_jRbjT5_S1A_jjP12ihipStream_tbEUljE_EEESV_SW_SX_S14_S18_S1A_T6_T7_T9_mT8_S1C_bDpT10_ENKUlT_T0_E_clISt17integral_constantIbLb1EES1P_EEDaS1K_S1L_EUlS1K_E_NS1_11comp_targetILNS1_3genE9ELNS1_11target_archE1100ELNS1_3gpuE3ELNS1_3repE0EEENS1_30default_config_static_selectorELNS0_4arch9wavefront6targetE0EEEvSY_
                                        ; -- End function
	.section	.AMDGPU.csdata,"",@progbits
; Kernel info:
; codeLenInByte = 9140
; NumSgprs: 28
; NumVgprs: 60
; ScratchSize: 0
; MemoryBound: 0
; FloatMode: 240
; IeeeMode: 1
; LDSByteSize: 13324 bytes/workgroup (compile time only)
; SGPRBlocks: 3
; VGPRBlocks: 7
; NumSGPRsForWavesPerEU: 28
; NumVGPRsForWavesPerEU: 60
; Occupancy: 16
; WaveLimiterHint : 0
; COMPUTE_PGM_RSRC2:SCRATCH_EN: 0
; COMPUTE_PGM_RSRC2:USER_SGPR: 15
; COMPUTE_PGM_RSRC2:TRAP_HANDLER: 0
; COMPUTE_PGM_RSRC2:TGID_X_EN: 1
; COMPUTE_PGM_RSRC2:TGID_Y_EN: 0
; COMPUTE_PGM_RSRC2:TGID_Z_EN: 0
; COMPUTE_PGM_RSRC2:TIDIG_COMP_CNT: 0
	.section	.text._ZN7rocprim17ROCPRIM_400000_NS6detail17trampoline_kernelINS0_13select_configILj256ELj13ELNS0_17block_load_methodE3ELS4_3ELS4_3ELNS0_20block_scan_algorithmE0ELj4294967295EEENS1_25partition_config_selectorILNS1_17partition_subalgoE3EjNS0_10empty_typeEbEEZZNS1_14partition_implILS8_3ELb0ES6_jNS0_17counting_iteratorIjlEEPS9_SE_NS0_5tupleIJPjSE_EEENSF_IJSE_SE_EEES9_SG_JZNS1_25segmented_radix_sort_implINS0_14default_configELb1EPKaPaPKlPlN2at6native12_GLOBAL__N_18offset_tEEE10hipError_tPvRmT1_PNSt15iterator_traitsISY_E10value_typeET2_T3_PNSZ_IS14_E10value_typeET4_jRbjT5_S1A_jjP12ihipStream_tbEUljE_EEESV_SW_SX_S14_S18_S1A_T6_T7_T9_mT8_S1C_bDpT10_ENKUlT_T0_E_clISt17integral_constantIbLb1EES1P_EEDaS1K_S1L_EUlS1K_E_NS1_11comp_targetILNS1_3genE8ELNS1_11target_archE1030ELNS1_3gpuE2ELNS1_3repE0EEENS1_30default_config_static_selectorELNS0_4arch9wavefront6targetE0EEEvSY_,"axG",@progbits,_ZN7rocprim17ROCPRIM_400000_NS6detail17trampoline_kernelINS0_13select_configILj256ELj13ELNS0_17block_load_methodE3ELS4_3ELS4_3ELNS0_20block_scan_algorithmE0ELj4294967295EEENS1_25partition_config_selectorILNS1_17partition_subalgoE3EjNS0_10empty_typeEbEEZZNS1_14partition_implILS8_3ELb0ES6_jNS0_17counting_iteratorIjlEEPS9_SE_NS0_5tupleIJPjSE_EEENSF_IJSE_SE_EEES9_SG_JZNS1_25segmented_radix_sort_implINS0_14default_configELb1EPKaPaPKlPlN2at6native12_GLOBAL__N_18offset_tEEE10hipError_tPvRmT1_PNSt15iterator_traitsISY_E10value_typeET2_T3_PNSZ_IS14_E10value_typeET4_jRbjT5_S1A_jjP12ihipStream_tbEUljE_EEESV_SW_SX_S14_S18_S1A_T6_T7_T9_mT8_S1C_bDpT10_ENKUlT_T0_E_clISt17integral_constantIbLb1EES1P_EEDaS1K_S1L_EUlS1K_E_NS1_11comp_targetILNS1_3genE8ELNS1_11target_archE1030ELNS1_3gpuE2ELNS1_3repE0EEENS1_30default_config_static_selectorELNS0_4arch9wavefront6targetE0EEEvSY_,comdat
	.globl	_ZN7rocprim17ROCPRIM_400000_NS6detail17trampoline_kernelINS0_13select_configILj256ELj13ELNS0_17block_load_methodE3ELS4_3ELS4_3ELNS0_20block_scan_algorithmE0ELj4294967295EEENS1_25partition_config_selectorILNS1_17partition_subalgoE3EjNS0_10empty_typeEbEEZZNS1_14partition_implILS8_3ELb0ES6_jNS0_17counting_iteratorIjlEEPS9_SE_NS0_5tupleIJPjSE_EEENSF_IJSE_SE_EEES9_SG_JZNS1_25segmented_radix_sort_implINS0_14default_configELb1EPKaPaPKlPlN2at6native12_GLOBAL__N_18offset_tEEE10hipError_tPvRmT1_PNSt15iterator_traitsISY_E10value_typeET2_T3_PNSZ_IS14_E10value_typeET4_jRbjT5_S1A_jjP12ihipStream_tbEUljE_EEESV_SW_SX_S14_S18_S1A_T6_T7_T9_mT8_S1C_bDpT10_ENKUlT_T0_E_clISt17integral_constantIbLb1EES1P_EEDaS1K_S1L_EUlS1K_E_NS1_11comp_targetILNS1_3genE8ELNS1_11target_archE1030ELNS1_3gpuE2ELNS1_3repE0EEENS1_30default_config_static_selectorELNS0_4arch9wavefront6targetE0EEEvSY_ ; -- Begin function _ZN7rocprim17ROCPRIM_400000_NS6detail17trampoline_kernelINS0_13select_configILj256ELj13ELNS0_17block_load_methodE3ELS4_3ELS4_3ELNS0_20block_scan_algorithmE0ELj4294967295EEENS1_25partition_config_selectorILNS1_17partition_subalgoE3EjNS0_10empty_typeEbEEZZNS1_14partition_implILS8_3ELb0ES6_jNS0_17counting_iteratorIjlEEPS9_SE_NS0_5tupleIJPjSE_EEENSF_IJSE_SE_EEES9_SG_JZNS1_25segmented_radix_sort_implINS0_14default_configELb1EPKaPaPKlPlN2at6native12_GLOBAL__N_18offset_tEEE10hipError_tPvRmT1_PNSt15iterator_traitsISY_E10value_typeET2_T3_PNSZ_IS14_E10value_typeET4_jRbjT5_S1A_jjP12ihipStream_tbEUljE_EEESV_SW_SX_S14_S18_S1A_T6_T7_T9_mT8_S1C_bDpT10_ENKUlT_T0_E_clISt17integral_constantIbLb1EES1P_EEDaS1K_S1L_EUlS1K_E_NS1_11comp_targetILNS1_3genE8ELNS1_11target_archE1030ELNS1_3gpuE2ELNS1_3repE0EEENS1_30default_config_static_selectorELNS0_4arch9wavefront6targetE0EEEvSY_
	.p2align	8
	.type	_ZN7rocprim17ROCPRIM_400000_NS6detail17trampoline_kernelINS0_13select_configILj256ELj13ELNS0_17block_load_methodE3ELS4_3ELS4_3ELNS0_20block_scan_algorithmE0ELj4294967295EEENS1_25partition_config_selectorILNS1_17partition_subalgoE3EjNS0_10empty_typeEbEEZZNS1_14partition_implILS8_3ELb0ES6_jNS0_17counting_iteratorIjlEEPS9_SE_NS0_5tupleIJPjSE_EEENSF_IJSE_SE_EEES9_SG_JZNS1_25segmented_radix_sort_implINS0_14default_configELb1EPKaPaPKlPlN2at6native12_GLOBAL__N_18offset_tEEE10hipError_tPvRmT1_PNSt15iterator_traitsISY_E10value_typeET2_T3_PNSZ_IS14_E10value_typeET4_jRbjT5_S1A_jjP12ihipStream_tbEUljE_EEESV_SW_SX_S14_S18_S1A_T6_T7_T9_mT8_S1C_bDpT10_ENKUlT_T0_E_clISt17integral_constantIbLb1EES1P_EEDaS1K_S1L_EUlS1K_E_NS1_11comp_targetILNS1_3genE8ELNS1_11target_archE1030ELNS1_3gpuE2ELNS1_3repE0EEENS1_30default_config_static_selectorELNS0_4arch9wavefront6targetE0EEEvSY_,@function
_ZN7rocprim17ROCPRIM_400000_NS6detail17trampoline_kernelINS0_13select_configILj256ELj13ELNS0_17block_load_methodE3ELS4_3ELS4_3ELNS0_20block_scan_algorithmE0ELj4294967295EEENS1_25partition_config_selectorILNS1_17partition_subalgoE3EjNS0_10empty_typeEbEEZZNS1_14partition_implILS8_3ELb0ES6_jNS0_17counting_iteratorIjlEEPS9_SE_NS0_5tupleIJPjSE_EEENSF_IJSE_SE_EEES9_SG_JZNS1_25segmented_radix_sort_implINS0_14default_configELb1EPKaPaPKlPlN2at6native12_GLOBAL__N_18offset_tEEE10hipError_tPvRmT1_PNSt15iterator_traitsISY_E10value_typeET2_T3_PNSZ_IS14_E10value_typeET4_jRbjT5_S1A_jjP12ihipStream_tbEUljE_EEESV_SW_SX_S14_S18_S1A_T6_T7_T9_mT8_S1C_bDpT10_ENKUlT_T0_E_clISt17integral_constantIbLb1EES1P_EEDaS1K_S1L_EUlS1K_E_NS1_11comp_targetILNS1_3genE8ELNS1_11target_archE1030ELNS1_3gpuE2ELNS1_3repE0EEENS1_30default_config_static_selectorELNS0_4arch9wavefront6targetE0EEEvSY_: ; @_ZN7rocprim17ROCPRIM_400000_NS6detail17trampoline_kernelINS0_13select_configILj256ELj13ELNS0_17block_load_methodE3ELS4_3ELS4_3ELNS0_20block_scan_algorithmE0ELj4294967295EEENS1_25partition_config_selectorILNS1_17partition_subalgoE3EjNS0_10empty_typeEbEEZZNS1_14partition_implILS8_3ELb0ES6_jNS0_17counting_iteratorIjlEEPS9_SE_NS0_5tupleIJPjSE_EEENSF_IJSE_SE_EEES9_SG_JZNS1_25segmented_radix_sort_implINS0_14default_configELb1EPKaPaPKlPlN2at6native12_GLOBAL__N_18offset_tEEE10hipError_tPvRmT1_PNSt15iterator_traitsISY_E10value_typeET2_T3_PNSZ_IS14_E10value_typeET4_jRbjT5_S1A_jjP12ihipStream_tbEUljE_EEESV_SW_SX_S14_S18_S1A_T6_T7_T9_mT8_S1C_bDpT10_ENKUlT_T0_E_clISt17integral_constantIbLb1EES1P_EEDaS1K_S1L_EUlS1K_E_NS1_11comp_targetILNS1_3genE8ELNS1_11target_archE1030ELNS1_3gpuE2ELNS1_3repE0EEENS1_30default_config_static_selectorELNS0_4arch9wavefront6targetE0EEEvSY_
; %bb.0:
	.section	.rodata,"a",@progbits
	.p2align	6, 0x0
	.amdhsa_kernel _ZN7rocprim17ROCPRIM_400000_NS6detail17trampoline_kernelINS0_13select_configILj256ELj13ELNS0_17block_load_methodE3ELS4_3ELS4_3ELNS0_20block_scan_algorithmE0ELj4294967295EEENS1_25partition_config_selectorILNS1_17partition_subalgoE3EjNS0_10empty_typeEbEEZZNS1_14partition_implILS8_3ELb0ES6_jNS0_17counting_iteratorIjlEEPS9_SE_NS0_5tupleIJPjSE_EEENSF_IJSE_SE_EEES9_SG_JZNS1_25segmented_radix_sort_implINS0_14default_configELb1EPKaPaPKlPlN2at6native12_GLOBAL__N_18offset_tEEE10hipError_tPvRmT1_PNSt15iterator_traitsISY_E10value_typeET2_T3_PNSZ_IS14_E10value_typeET4_jRbjT5_S1A_jjP12ihipStream_tbEUljE_EEESV_SW_SX_S14_S18_S1A_T6_T7_T9_mT8_S1C_bDpT10_ENKUlT_T0_E_clISt17integral_constantIbLb1EES1P_EEDaS1K_S1L_EUlS1K_E_NS1_11comp_targetILNS1_3genE8ELNS1_11target_archE1030ELNS1_3gpuE2ELNS1_3repE0EEENS1_30default_config_static_selectorELNS0_4arch9wavefront6targetE0EEEvSY_
		.amdhsa_group_segment_fixed_size 0
		.amdhsa_private_segment_fixed_size 0
		.amdhsa_kernarg_size 152
		.amdhsa_user_sgpr_count 15
		.amdhsa_user_sgpr_dispatch_ptr 0
		.amdhsa_user_sgpr_queue_ptr 0
		.amdhsa_user_sgpr_kernarg_segment_ptr 1
		.amdhsa_user_sgpr_dispatch_id 0
		.amdhsa_user_sgpr_private_segment_size 0
		.amdhsa_wavefront_size32 1
		.amdhsa_uses_dynamic_stack 0
		.amdhsa_enable_private_segment 0
		.amdhsa_system_sgpr_workgroup_id_x 1
		.amdhsa_system_sgpr_workgroup_id_y 0
		.amdhsa_system_sgpr_workgroup_id_z 0
		.amdhsa_system_sgpr_workgroup_info 0
		.amdhsa_system_vgpr_workitem_id 0
		.amdhsa_next_free_vgpr 1
		.amdhsa_next_free_sgpr 1
		.amdhsa_reserve_vcc 0
		.amdhsa_float_round_mode_32 0
		.amdhsa_float_round_mode_16_64 0
		.amdhsa_float_denorm_mode_32 3
		.amdhsa_float_denorm_mode_16_64 3
		.amdhsa_dx10_clamp 1
		.amdhsa_ieee_mode 1
		.amdhsa_fp16_overflow 0
		.amdhsa_workgroup_processor_mode 1
		.amdhsa_memory_ordered 1
		.amdhsa_forward_progress 0
		.amdhsa_shared_vgpr_count 0
		.amdhsa_exception_fp_ieee_invalid_op 0
		.amdhsa_exception_fp_denorm_src 0
		.amdhsa_exception_fp_ieee_div_zero 0
		.amdhsa_exception_fp_ieee_overflow 0
		.amdhsa_exception_fp_ieee_underflow 0
		.amdhsa_exception_fp_ieee_inexact 0
		.amdhsa_exception_int_div_zero 0
	.end_amdhsa_kernel
	.section	.text._ZN7rocprim17ROCPRIM_400000_NS6detail17trampoline_kernelINS0_13select_configILj256ELj13ELNS0_17block_load_methodE3ELS4_3ELS4_3ELNS0_20block_scan_algorithmE0ELj4294967295EEENS1_25partition_config_selectorILNS1_17partition_subalgoE3EjNS0_10empty_typeEbEEZZNS1_14partition_implILS8_3ELb0ES6_jNS0_17counting_iteratorIjlEEPS9_SE_NS0_5tupleIJPjSE_EEENSF_IJSE_SE_EEES9_SG_JZNS1_25segmented_radix_sort_implINS0_14default_configELb1EPKaPaPKlPlN2at6native12_GLOBAL__N_18offset_tEEE10hipError_tPvRmT1_PNSt15iterator_traitsISY_E10value_typeET2_T3_PNSZ_IS14_E10value_typeET4_jRbjT5_S1A_jjP12ihipStream_tbEUljE_EEESV_SW_SX_S14_S18_S1A_T6_T7_T9_mT8_S1C_bDpT10_ENKUlT_T0_E_clISt17integral_constantIbLb1EES1P_EEDaS1K_S1L_EUlS1K_E_NS1_11comp_targetILNS1_3genE8ELNS1_11target_archE1030ELNS1_3gpuE2ELNS1_3repE0EEENS1_30default_config_static_selectorELNS0_4arch9wavefront6targetE0EEEvSY_,"axG",@progbits,_ZN7rocprim17ROCPRIM_400000_NS6detail17trampoline_kernelINS0_13select_configILj256ELj13ELNS0_17block_load_methodE3ELS4_3ELS4_3ELNS0_20block_scan_algorithmE0ELj4294967295EEENS1_25partition_config_selectorILNS1_17partition_subalgoE3EjNS0_10empty_typeEbEEZZNS1_14partition_implILS8_3ELb0ES6_jNS0_17counting_iteratorIjlEEPS9_SE_NS0_5tupleIJPjSE_EEENSF_IJSE_SE_EEES9_SG_JZNS1_25segmented_radix_sort_implINS0_14default_configELb1EPKaPaPKlPlN2at6native12_GLOBAL__N_18offset_tEEE10hipError_tPvRmT1_PNSt15iterator_traitsISY_E10value_typeET2_T3_PNSZ_IS14_E10value_typeET4_jRbjT5_S1A_jjP12ihipStream_tbEUljE_EEESV_SW_SX_S14_S18_S1A_T6_T7_T9_mT8_S1C_bDpT10_ENKUlT_T0_E_clISt17integral_constantIbLb1EES1P_EEDaS1K_S1L_EUlS1K_E_NS1_11comp_targetILNS1_3genE8ELNS1_11target_archE1030ELNS1_3gpuE2ELNS1_3repE0EEENS1_30default_config_static_selectorELNS0_4arch9wavefront6targetE0EEEvSY_,comdat
.Lfunc_end273:
	.size	_ZN7rocprim17ROCPRIM_400000_NS6detail17trampoline_kernelINS0_13select_configILj256ELj13ELNS0_17block_load_methodE3ELS4_3ELS4_3ELNS0_20block_scan_algorithmE0ELj4294967295EEENS1_25partition_config_selectorILNS1_17partition_subalgoE3EjNS0_10empty_typeEbEEZZNS1_14partition_implILS8_3ELb0ES6_jNS0_17counting_iteratorIjlEEPS9_SE_NS0_5tupleIJPjSE_EEENSF_IJSE_SE_EEES9_SG_JZNS1_25segmented_radix_sort_implINS0_14default_configELb1EPKaPaPKlPlN2at6native12_GLOBAL__N_18offset_tEEE10hipError_tPvRmT1_PNSt15iterator_traitsISY_E10value_typeET2_T3_PNSZ_IS14_E10value_typeET4_jRbjT5_S1A_jjP12ihipStream_tbEUljE_EEESV_SW_SX_S14_S18_S1A_T6_T7_T9_mT8_S1C_bDpT10_ENKUlT_T0_E_clISt17integral_constantIbLb1EES1P_EEDaS1K_S1L_EUlS1K_E_NS1_11comp_targetILNS1_3genE8ELNS1_11target_archE1030ELNS1_3gpuE2ELNS1_3repE0EEENS1_30default_config_static_selectorELNS0_4arch9wavefront6targetE0EEEvSY_, .Lfunc_end273-_ZN7rocprim17ROCPRIM_400000_NS6detail17trampoline_kernelINS0_13select_configILj256ELj13ELNS0_17block_load_methodE3ELS4_3ELS4_3ELNS0_20block_scan_algorithmE0ELj4294967295EEENS1_25partition_config_selectorILNS1_17partition_subalgoE3EjNS0_10empty_typeEbEEZZNS1_14partition_implILS8_3ELb0ES6_jNS0_17counting_iteratorIjlEEPS9_SE_NS0_5tupleIJPjSE_EEENSF_IJSE_SE_EEES9_SG_JZNS1_25segmented_radix_sort_implINS0_14default_configELb1EPKaPaPKlPlN2at6native12_GLOBAL__N_18offset_tEEE10hipError_tPvRmT1_PNSt15iterator_traitsISY_E10value_typeET2_T3_PNSZ_IS14_E10value_typeET4_jRbjT5_S1A_jjP12ihipStream_tbEUljE_EEESV_SW_SX_S14_S18_S1A_T6_T7_T9_mT8_S1C_bDpT10_ENKUlT_T0_E_clISt17integral_constantIbLb1EES1P_EEDaS1K_S1L_EUlS1K_E_NS1_11comp_targetILNS1_3genE8ELNS1_11target_archE1030ELNS1_3gpuE2ELNS1_3repE0EEENS1_30default_config_static_selectorELNS0_4arch9wavefront6targetE0EEEvSY_
                                        ; -- End function
	.section	.AMDGPU.csdata,"",@progbits
; Kernel info:
; codeLenInByte = 0
; NumSgprs: 0
; NumVgprs: 0
; ScratchSize: 0
; MemoryBound: 0
; FloatMode: 240
; IeeeMode: 1
; LDSByteSize: 0 bytes/workgroup (compile time only)
; SGPRBlocks: 0
; VGPRBlocks: 0
; NumSGPRsForWavesPerEU: 1
; NumVGPRsForWavesPerEU: 1
; Occupancy: 16
; WaveLimiterHint : 0
; COMPUTE_PGM_RSRC2:SCRATCH_EN: 0
; COMPUTE_PGM_RSRC2:USER_SGPR: 15
; COMPUTE_PGM_RSRC2:TRAP_HANDLER: 0
; COMPUTE_PGM_RSRC2:TGID_X_EN: 1
; COMPUTE_PGM_RSRC2:TGID_Y_EN: 0
; COMPUTE_PGM_RSRC2:TGID_Z_EN: 0
; COMPUTE_PGM_RSRC2:TIDIG_COMP_CNT: 0
	.section	.text._ZN7rocprim17ROCPRIM_400000_NS6detail17trampoline_kernelINS0_13select_configILj256ELj13ELNS0_17block_load_methodE3ELS4_3ELS4_3ELNS0_20block_scan_algorithmE0ELj4294967295EEENS1_25partition_config_selectorILNS1_17partition_subalgoE3EjNS0_10empty_typeEbEEZZNS1_14partition_implILS8_3ELb0ES6_jNS0_17counting_iteratorIjlEEPS9_SE_NS0_5tupleIJPjSE_EEENSF_IJSE_SE_EEES9_SG_JZNS1_25segmented_radix_sort_implINS0_14default_configELb1EPKaPaPKlPlN2at6native12_GLOBAL__N_18offset_tEEE10hipError_tPvRmT1_PNSt15iterator_traitsISY_E10value_typeET2_T3_PNSZ_IS14_E10value_typeET4_jRbjT5_S1A_jjP12ihipStream_tbEUljE_EEESV_SW_SX_S14_S18_S1A_T6_T7_T9_mT8_S1C_bDpT10_ENKUlT_T0_E_clISt17integral_constantIbLb1EES1O_IbLb0EEEEDaS1K_S1L_EUlS1K_E_NS1_11comp_targetILNS1_3genE0ELNS1_11target_archE4294967295ELNS1_3gpuE0ELNS1_3repE0EEENS1_30default_config_static_selectorELNS0_4arch9wavefront6targetE0EEEvSY_,"axG",@progbits,_ZN7rocprim17ROCPRIM_400000_NS6detail17trampoline_kernelINS0_13select_configILj256ELj13ELNS0_17block_load_methodE3ELS4_3ELS4_3ELNS0_20block_scan_algorithmE0ELj4294967295EEENS1_25partition_config_selectorILNS1_17partition_subalgoE3EjNS0_10empty_typeEbEEZZNS1_14partition_implILS8_3ELb0ES6_jNS0_17counting_iteratorIjlEEPS9_SE_NS0_5tupleIJPjSE_EEENSF_IJSE_SE_EEES9_SG_JZNS1_25segmented_radix_sort_implINS0_14default_configELb1EPKaPaPKlPlN2at6native12_GLOBAL__N_18offset_tEEE10hipError_tPvRmT1_PNSt15iterator_traitsISY_E10value_typeET2_T3_PNSZ_IS14_E10value_typeET4_jRbjT5_S1A_jjP12ihipStream_tbEUljE_EEESV_SW_SX_S14_S18_S1A_T6_T7_T9_mT8_S1C_bDpT10_ENKUlT_T0_E_clISt17integral_constantIbLb1EES1O_IbLb0EEEEDaS1K_S1L_EUlS1K_E_NS1_11comp_targetILNS1_3genE0ELNS1_11target_archE4294967295ELNS1_3gpuE0ELNS1_3repE0EEENS1_30default_config_static_selectorELNS0_4arch9wavefront6targetE0EEEvSY_,comdat
	.globl	_ZN7rocprim17ROCPRIM_400000_NS6detail17trampoline_kernelINS0_13select_configILj256ELj13ELNS0_17block_load_methodE3ELS4_3ELS4_3ELNS0_20block_scan_algorithmE0ELj4294967295EEENS1_25partition_config_selectorILNS1_17partition_subalgoE3EjNS0_10empty_typeEbEEZZNS1_14partition_implILS8_3ELb0ES6_jNS0_17counting_iteratorIjlEEPS9_SE_NS0_5tupleIJPjSE_EEENSF_IJSE_SE_EEES9_SG_JZNS1_25segmented_radix_sort_implINS0_14default_configELb1EPKaPaPKlPlN2at6native12_GLOBAL__N_18offset_tEEE10hipError_tPvRmT1_PNSt15iterator_traitsISY_E10value_typeET2_T3_PNSZ_IS14_E10value_typeET4_jRbjT5_S1A_jjP12ihipStream_tbEUljE_EEESV_SW_SX_S14_S18_S1A_T6_T7_T9_mT8_S1C_bDpT10_ENKUlT_T0_E_clISt17integral_constantIbLb1EES1O_IbLb0EEEEDaS1K_S1L_EUlS1K_E_NS1_11comp_targetILNS1_3genE0ELNS1_11target_archE4294967295ELNS1_3gpuE0ELNS1_3repE0EEENS1_30default_config_static_selectorELNS0_4arch9wavefront6targetE0EEEvSY_ ; -- Begin function _ZN7rocprim17ROCPRIM_400000_NS6detail17trampoline_kernelINS0_13select_configILj256ELj13ELNS0_17block_load_methodE3ELS4_3ELS4_3ELNS0_20block_scan_algorithmE0ELj4294967295EEENS1_25partition_config_selectorILNS1_17partition_subalgoE3EjNS0_10empty_typeEbEEZZNS1_14partition_implILS8_3ELb0ES6_jNS0_17counting_iteratorIjlEEPS9_SE_NS0_5tupleIJPjSE_EEENSF_IJSE_SE_EEES9_SG_JZNS1_25segmented_radix_sort_implINS0_14default_configELb1EPKaPaPKlPlN2at6native12_GLOBAL__N_18offset_tEEE10hipError_tPvRmT1_PNSt15iterator_traitsISY_E10value_typeET2_T3_PNSZ_IS14_E10value_typeET4_jRbjT5_S1A_jjP12ihipStream_tbEUljE_EEESV_SW_SX_S14_S18_S1A_T6_T7_T9_mT8_S1C_bDpT10_ENKUlT_T0_E_clISt17integral_constantIbLb1EES1O_IbLb0EEEEDaS1K_S1L_EUlS1K_E_NS1_11comp_targetILNS1_3genE0ELNS1_11target_archE4294967295ELNS1_3gpuE0ELNS1_3repE0EEENS1_30default_config_static_selectorELNS0_4arch9wavefront6targetE0EEEvSY_
	.p2align	8
	.type	_ZN7rocprim17ROCPRIM_400000_NS6detail17trampoline_kernelINS0_13select_configILj256ELj13ELNS0_17block_load_methodE3ELS4_3ELS4_3ELNS0_20block_scan_algorithmE0ELj4294967295EEENS1_25partition_config_selectorILNS1_17partition_subalgoE3EjNS0_10empty_typeEbEEZZNS1_14partition_implILS8_3ELb0ES6_jNS0_17counting_iteratorIjlEEPS9_SE_NS0_5tupleIJPjSE_EEENSF_IJSE_SE_EEES9_SG_JZNS1_25segmented_radix_sort_implINS0_14default_configELb1EPKaPaPKlPlN2at6native12_GLOBAL__N_18offset_tEEE10hipError_tPvRmT1_PNSt15iterator_traitsISY_E10value_typeET2_T3_PNSZ_IS14_E10value_typeET4_jRbjT5_S1A_jjP12ihipStream_tbEUljE_EEESV_SW_SX_S14_S18_S1A_T6_T7_T9_mT8_S1C_bDpT10_ENKUlT_T0_E_clISt17integral_constantIbLb1EES1O_IbLb0EEEEDaS1K_S1L_EUlS1K_E_NS1_11comp_targetILNS1_3genE0ELNS1_11target_archE4294967295ELNS1_3gpuE0ELNS1_3repE0EEENS1_30default_config_static_selectorELNS0_4arch9wavefront6targetE0EEEvSY_,@function
_ZN7rocprim17ROCPRIM_400000_NS6detail17trampoline_kernelINS0_13select_configILj256ELj13ELNS0_17block_load_methodE3ELS4_3ELS4_3ELNS0_20block_scan_algorithmE0ELj4294967295EEENS1_25partition_config_selectorILNS1_17partition_subalgoE3EjNS0_10empty_typeEbEEZZNS1_14partition_implILS8_3ELb0ES6_jNS0_17counting_iteratorIjlEEPS9_SE_NS0_5tupleIJPjSE_EEENSF_IJSE_SE_EEES9_SG_JZNS1_25segmented_radix_sort_implINS0_14default_configELb1EPKaPaPKlPlN2at6native12_GLOBAL__N_18offset_tEEE10hipError_tPvRmT1_PNSt15iterator_traitsISY_E10value_typeET2_T3_PNSZ_IS14_E10value_typeET4_jRbjT5_S1A_jjP12ihipStream_tbEUljE_EEESV_SW_SX_S14_S18_S1A_T6_T7_T9_mT8_S1C_bDpT10_ENKUlT_T0_E_clISt17integral_constantIbLb1EES1O_IbLb0EEEEDaS1K_S1L_EUlS1K_E_NS1_11comp_targetILNS1_3genE0ELNS1_11target_archE4294967295ELNS1_3gpuE0ELNS1_3repE0EEENS1_30default_config_static_selectorELNS0_4arch9wavefront6targetE0EEEvSY_: ; @_ZN7rocprim17ROCPRIM_400000_NS6detail17trampoline_kernelINS0_13select_configILj256ELj13ELNS0_17block_load_methodE3ELS4_3ELS4_3ELNS0_20block_scan_algorithmE0ELj4294967295EEENS1_25partition_config_selectorILNS1_17partition_subalgoE3EjNS0_10empty_typeEbEEZZNS1_14partition_implILS8_3ELb0ES6_jNS0_17counting_iteratorIjlEEPS9_SE_NS0_5tupleIJPjSE_EEENSF_IJSE_SE_EEES9_SG_JZNS1_25segmented_radix_sort_implINS0_14default_configELb1EPKaPaPKlPlN2at6native12_GLOBAL__N_18offset_tEEE10hipError_tPvRmT1_PNSt15iterator_traitsISY_E10value_typeET2_T3_PNSZ_IS14_E10value_typeET4_jRbjT5_S1A_jjP12ihipStream_tbEUljE_EEESV_SW_SX_S14_S18_S1A_T6_T7_T9_mT8_S1C_bDpT10_ENKUlT_T0_E_clISt17integral_constantIbLb1EES1O_IbLb0EEEEDaS1K_S1L_EUlS1K_E_NS1_11comp_targetILNS1_3genE0ELNS1_11target_archE4294967295ELNS1_3gpuE0ELNS1_3repE0EEENS1_30default_config_static_selectorELNS0_4arch9wavefront6targetE0EEEvSY_
; %bb.0:
	.section	.rodata,"a",@progbits
	.p2align	6, 0x0
	.amdhsa_kernel _ZN7rocprim17ROCPRIM_400000_NS6detail17trampoline_kernelINS0_13select_configILj256ELj13ELNS0_17block_load_methodE3ELS4_3ELS4_3ELNS0_20block_scan_algorithmE0ELj4294967295EEENS1_25partition_config_selectorILNS1_17partition_subalgoE3EjNS0_10empty_typeEbEEZZNS1_14partition_implILS8_3ELb0ES6_jNS0_17counting_iteratorIjlEEPS9_SE_NS0_5tupleIJPjSE_EEENSF_IJSE_SE_EEES9_SG_JZNS1_25segmented_radix_sort_implINS0_14default_configELb1EPKaPaPKlPlN2at6native12_GLOBAL__N_18offset_tEEE10hipError_tPvRmT1_PNSt15iterator_traitsISY_E10value_typeET2_T3_PNSZ_IS14_E10value_typeET4_jRbjT5_S1A_jjP12ihipStream_tbEUljE_EEESV_SW_SX_S14_S18_S1A_T6_T7_T9_mT8_S1C_bDpT10_ENKUlT_T0_E_clISt17integral_constantIbLb1EES1O_IbLb0EEEEDaS1K_S1L_EUlS1K_E_NS1_11comp_targetILNS1_3genE0ELNS1_11target_archE4294967295ELNS1_3gpuE0ELNS1_3repE0EEENS1_30default_config_static_selectorELNS0_4arch9wavefront6targetE0EEEvSY_
		.amdhsa_group_segment_fixed_size 0
		.amdhsa_private_segment_fixed_size 0
		.amdhsa_kernarg_size 144
		.amdhsa_user_sgpr_count 15
		.amdhsa_user_sgpr_dispatch_ptr 0
		.amdhsa_user_sgpr_queue_ptr 0
		.amdhsa_user_sgpr_kernarg_segment_ptr 1
		.amdhsa_user_sgpr_dispatch_id 0
		.amdhsa_user_sgpr_private_segment_size 0
		.amdhsa_wavefront_size32 1
		.amdhsa_uses_dynamic_stack 0
		.amdhsa_enable_private_segment 0
		.amdhsa_system_sgpr_workgroup_id_x 1
		.amdhsa_system_sgpr_workgroup_id_y 0
		.amdhsa_system_sgpr_workgroup_id_z 0
		.amdhsa_system_sgpr_workgroup_info 0
		.amdhsa_system_vgpr_workitem_id 0
		.amdhsa_next_free_vgpr 1
		.amdhsa_next_free_sgpr 1
		.amdhsa_reserve_vcc 0
		.amdhsa_float_round_mode_32 0
		.amdhsa_float_round_mode_16_64 0
		.amdhsa_float_denorm_mode_32 3
		.amdhsa_float_denorm_mode_16_64 3
		.amdhsa_dx10_clamp 1
		.amdhsa_ieee_mode 1
		.amdhsa_fp16_overflow 0
		.amdhsa_workgroup_processor_mode 1
		.amdhsa_memory_ordered 1
		.amdhsa_forward_progress 0
		.amdhsa_shared_vgpr_count 0
		.amdhsa_exception_fp_ieee_invalid_op 0
		.amdhsa_exception_fp_denorm_src 0
		.amdhsa_exception_fp_ieee_div_zero 0
		.amdhsa_exception_fp_ieee_overflow 0
		.amdhsa_exception_fp_ieee_underflow 0
		.amdhsa_exception_fp_ieee_inexact 0
		.amdhsa_exception_int_div_zero 0
	.end_amdhsa_kernel
	.section	.text._ZN7rocprim17ROCPRIM_400000_NS6detail17trampoline_kernelINS0_13select_configILj256ELj13ELNS0_17block_load_methodE3ELS4_3ELS4_3ELNS0_20block_scan_algorithmE0ELj4294967295EEENS1_25partition_config_selectorILNS1_17partition_subalgoE3EjNS0_10empty_typeEbEEZZNS1_14partition_implILS8_3ELb0ES6_jNS0_17counting_iteratorIjlEEPS9_SE_NS0_5tupleIJPjSE_EEENSF_IJSE_SE_EEES9_SG_JZNS1_25segmented_radix_sort_implINS0_14default_configELb1EPKaPaPKlPlN2at6native12_GLOBAL__N_18offset_tEEE10hipError_tPvRmT1_PNSt15iterator_traitsISY_E10value_typeET2_T3_PNSZ_IS14_E10value_typeET4_jRbjT5_S1A_jjP12ihipStream_tbEUljE_EEESV_SW_SX_S14_S18_S1A_T6_T7_T9_mT8_S1C_bDpT10_ENKUlT_T0_E_clISt17integral_constantIbLb1EES1O_IbLb0EEEEDaS1K_S1L_EUlS1K_E_NS1_11comp_targetILNS1_3genE0ELNS1_11target_archE4294967295ELNS1_3gpuE0ELNS1_3repE0EEENS1_30default_config_static_selectorELNS0_4arch9wavefront6targetE0EEEvSY_,"axG",@progbits,_ZN7rocprim17ROCPRIM_400000_NS6detail17trampoline_kernelINS0_13select_configILj256ELj13ELNS0_17block_load_methodE3ELS4_3ELS4_3ELNS0_20block_scan_algorithmE0ELj4294967295EEENS1_25partition_config_selectorILNS1_17partition_subalgoE3EjNS0_10empty_typeEbEEZZNS1_14partition_implILS8_3ELb0ES6_jNS0_17counting_iteratorIjlEEPS9_SE_NS0_5tupleIJPjSE_EEENSF_IJSE_SE_EEES9_SG_JZNS1_25segmented_radix_sort_implINS0_14default_configELb1EPKaPaPKlPlN2at6native12_GLOBAL__N_18offset_tEEE10hipError_tPvRmT1_PNSt15iterator_traitsISY_E10value_typeET2_T3_PNSZ_IS14_E10value_typeET4_jRbjT5_S1A_jjP12ihipStream_tbEUljE_EEESV_SW_SX_S14_S18_S1A_T6_T7_T9_mT8_S1C_bDpT10_ENKUlT_T0_E_clISt17integral_constantIbLb1EES1O_IbLb0EEEEDaS1K_S1L_EUlS1K_E_NS1_11comp_targetILNS1_3genE0ELNS1_11target_archE4294967295ELNS1_3gpuE0ELNS1_3repE0EEENS1_30default_config_static_selectorELNS0_4arch9wavefront6targetE0EEEvSY_,comdat
.Lfunc_end274:
	.size	_ZN7rocprim17ROCPRIM_400000_NS6detail17trampoline_kernelINS0_13select_configILj256ELj13ELNS0_17block_load_methodE3ELS4_3ELS4_3ELNS0_20block_scan_algorithmE0ELj4294967295EEENS1_25partition_config_selectorILNS1_17partition_subalgoE3EjNS0_10empty_typeEbEEZZNS1_14partition_implILS8_3ELb0ES6_jNS0_17counting_iteratorIjlEEPS9_SE_NS0_5tupleIJPjSE_EEENSF_IJSE_SE_EEES9_SG_JZNS1_25segmented_radix_sort_implINS0_14default_configELb1EPKaPaPKlPlN2at6native12_GLOBAL__N_18offset_tEEE10hipError_tPvRmT1_PNSt15iterator_traitsISY_E10value_typeET2_T3_PNSZ_IS14_E10value_typeET4_jRbjT5_S1A_jjP12ihipStream_tbEUljE_EEESV_SW_SX_S14_S18_S1A_T6_T7_T9_mT8_S1C_bDpT10_ENKUlT_T0_E_clISt17integral_constantIbLb1EES1O_IbLb0EEEEDaS1K_S1L_EUlS1K_E_NS1_11comp_targetILNS1_3genE0ELNS1_11target_archE4294967295ELNS1_3gpuE0ELNS1_3repE0EEENS1_30default_config_static_selectorELNS0_4arch9wavefront6targetE0EEEvSY_, .Lfunc_end274-_ZN7rocprim17ROCPRIM_400000_NS6detail17trampoline_kernelINS0_13select_configILj256ELj13ELNS0_17block_load_methodE3ELS4_3ELS4_3ELNS0_20block_scan_algorithmE0ELj4294967295EEENS1_25partition_config_selectorILNS1_17partition_subalgoE3EjNS0_10empty_typeEbEEZZNS1_14partition_implILS8_3ELb0ES6_jNS0_17counting_iteratorIjlEEPS9_SE_NS0_5tupleIJPjSE_EEENSF_IJSE_SE_EEES9_SG_JZNS1_25segmented_radix_sort_implINS0_14default_configELb1EPKaPaPKlPlN2at6native12_GLOBAL__N_18offset_tEEE10hipError_tPvRmT1_PNSt15iterator_traitsISY_E10value_typeET2_T3_PNSZ_IS14_E10value_typeET4_jRbjT5_S1A_jjP12ihipStream_tbEUljE_EEESV_SW_SX_S14_S18_S1A_T6_T7_T9_mT8_S1C_bDpT10_ENKUlT_T0_E_clISt17integral_constantIbLb1EES1O_IbLb0EEEEDaS1K_S1L_EUlS1K_E_NS1_11comp_targetILNS1_3genE0ELNS1_11target_archE4294967295ELNS1_3gpuE0ELNS1_3repE0EEENS1_30default_config_static_selectorELNS0_4arch9wavefront6targetE0EEEvSY_
                                        ; -- End function
	.section	.AMDGPU.csdata,"",@progbits
; Kernel info:
; codeLenInByte = 0
; NumSgprs: 0
; NumVgprs: 0
; ScratchSize: 0
; MemoryBound: 0
; FloatMode: 240
; IeeeMode: 1
; LDSByteSize: 0 bytes/workgroup (compile time only)
; SGPRBlocks: 0
; VGPRBlocks: 0
; NumSGPRsForWavesPerEU: 1
; NumVGPRsForWavesPerEU: 1
; Occupancy: 16
; WaveLimiterHint : 0
; COMPUTE_PGM_RSRC2:SCRATCH_EN: 0
; COMPUTE_PGM_RSRC2:USER_SGPR: 15
; COMPUTE_PGM_RSRC2:TRAP_HANDLER: 0
; COMPUTE_PGM_RSRC2:TGID_X_EN: 1
; COMPUTE_PGM_RSRC2:TGID_Y_EN: 0
; COMPUTE_PGM_RSRC2:TGID_Z_EN: 0
; COMPUTE_PGM_RSRC2:TIDIG_COMP_CNT: 0
	.section	.text._ZN7rocprim17ROCPRIM_400000_NS6detail17trampoline_kernelINS0_13select_configILj256ELj13ELNS0_17block_load_methodE3ELS4_3ELS4_3ELNS0_20block_scan_algorithmE0ELj4294967295EEENS1_25partition_config_selectorILNS1_17partition_subalgoE3EjNS0_10empty_typeEbEEZZNS1_14partition_implILS8_3ELb0ES6_jNS0_17counting_iteratorIjlEEPS9_SE_NS0_5tupleIJPjSE_EEENSF_IJSE_SE_EEES9_SG_JZNS1_25segmented_radix_sort_implINS0_14default_configELb1EPKaPaPKlPlN2at6native12_GLOBAL__N_18offset_tEEE10hipError_tPvRmT1_PNSt15iterator_traitsISY_E10value_typeET2_T3_PNSZ_IS14_E10value_typeET4_jRbjT5_S1A_jjP12ihipStream_tbEUljE_EEESV_SW_SX_S14_S18_S1A_T6_T7_T9_mT8_S1C_bDpT10_ENKUlT_T0_E_clISt17integral_constantIbLb1EES1O_IbLb0EEEEDaS1K_S1L_EUlS1K_E_NS1_11comp_targetILNS1_3genE5ELNS1_11target_archE942ELNS1_3gpuE9ELNS1_3repE0EEENS1_30default_config_static_selectorELNS0_4arch9wavefront6targetE0EEEvSY_,"axG",@progbits,_ZN7rocprim17ROCPRIM_400000_NS6detail17trampoline_kernelINS0_13select_configILj256ELj13ELNS0_17block_load_methodE3ELS4_3ELS4_3ELNS0_20block_scan_algorithmE0ELj4294967295EEENS1_25partition_config_selectorILNS1_17partition_subalgoE3EjNS0_10empty_typeEbEEZZNS1_14partition_implILS8_3ELb0ES6_jNS0_17counting_iteratorIjlEEPS9_SE_NS0_5tupleIJPjSE_EEENSF_IJSE_SE_EEES9_SG_JZNS1_25segmented_radix_sort_implINS0_14default_configELb1EPKaPaPKlPlN2at6native12_GLOBAL__N_18offset_tEEE10hipError_tPvRmT1_PNSt15iterator_traitsISY_E10value_typeET2_T3_PNSZ_IS14_E10value_typeET4_jRbjT5_S1A_jjP12ihipStream_tbEUljE_EEESV_SW_SX_S14_S18_S1A_T6_T7_T9_mT8_S1C_bDpT10_ENKUlT_T0_E_clISt17integral_constantIbLb1EES1O_IbLb0EEEEDaS1K_S1L_EUlS1K_E_NS1_11comp_targetILNS1_3genE5ELNS1_11target_archE942ELNS1_3gpuE9ELNS1_3repE0EEENS1_30default_config_static_selectorELNS0_4arch9wavefront6targetE0EEEvSY_,comdat
	.globl	_ZN7rocprim17ROCPRIM_400000_NS6detail17trampoline_kernelINS0_13select_configILj256ELj13ELNS0_17block_load_methodE3ELS4_3ELS4_3ELNS0_20block_scan_algorithmE0ELj4294967295EEENS1_25partition_config_selectorILNS1_17partition_subalgoE3EjNS0_10empty_typeEbEEZZNS1_14partition_implILS8_3ELb0ES6_jNS0_17counting_iteratorIjlEEPS9_SE_NS0_5tupleIJPjSE_EEENSF_IJSE_SE_EEES9_SG_JZNS1_25segmented_radix_sort_implINS0_14default_configELb1EPKaPaPKlPlN2at6native12_GLOBAL__N_18offset_tEEE10hipError_tPvRmT1_PNSt15iterator_traitsISY_E10value_typeET2_T3_PNSZ_IS14_E10value_typeET4_jRbjT5_S1A_jjP12ihipStream_tbEUljE_EEESV_SW_SX_S14_S18_S1A_T6_T7_T9_mT8_S1C_bDpT10_ENKUlT_T0_E_clISt17integral_constantIbLb1EES1O_IbLb0EEEEDaS1K_S1L_EUlS1K_E_NS1_11comp_targetILNS1_3genE5ELNS1_11target_archE942ELNS1_3gpuE9ELNS1_3repE0EEENS1_30default_config_static_selectorELNS0_4arch9wavefront6targetE0EEEvSY_ ; -- Begin function _ZN7rocprim17ROCPRIM_400000_NS6detail17trampoline_kernelINS0_13select_configILj256ELj13ELNS0_17block_load_methodE3ELS4_3ELS4_3ELNS0_20block_scan_algorithmE0ELj4294967295EEENS1_25partition_config_selectorILNS1_17partition_subalgoE3EjNS0_10empty_typeEbEEZZNS1_14partition_implILS8_3ELb0ES6_jNS0_17counting_iteratorIjlEEPS9_SE_NS0_5tupleIJPjSE_EEENSF_IJSE_SE_EEES9_SG_JZNS1_25segmented_radix_sort_implINS0_14default_configELb1EPKaPaPKlPlN2at6native12_GLOBAL__N_18offset_tEEE10hipError_tPvRmT1_PNSt15iterator_traitsISY_E10value_typeET2_T3_PNSZ_IS14_E10value_typeET4_jRbjT5_S1A_jjP12ihipStream_tbEUljE_EEESV_SW_SX_S14_S18_S1A_T6_T7_T9_mT8_S1C_bDpT10_ENKUlT_T0_E_clISt17integral_constantIbLb1EES1O_IbLb0EEEEDaS1K_S1L_EUlS1K_E_NS1_11comp_targetILNS1_3genE5ELNS1_11target_archE942ELNS1_3gpuE9ELNS1_3repE0EEENS1_30default_config_static_selectorELNS0_4arch9wavefront6targetE0EEEvSY_
	.p2align	8
	.type	_ZN7rocprim17ROCPRIM_400000_NS6detail17trampoline_kernelINS0_13select_configILj256ELj13ELNS0_17block_load_methodE3ELS4_3ELS4_3ELNS0_20block_scan_algorithmE0ELj4294967295EEENS1_25partition_config_selectorILNS1_17partition_subalgoE3EjNS0_10empty_typeEbEEZZNS1_14partition_implILS8_3ELb0ES6_jNS0_17counting_iteratorIjlEEPS9_SE_NS0_5tupleIJPjSE_EEENSF_IJSE_SE_EEES9_SG_JZNS1_25segmented_radix_sort_implINS0_14default_configELb1EPKaPaPKlPlN2at6native12_GLOBAL__N_18offset_tEEE10hipError_tPvRmT1_PNSt15iterator_traitsISY_E10value_typeET2_T3_PNSZ_IS14_E10value_typeET4_jRbjT5_S1A_jjP12ihipStream_tbEUljE_EEESV_SW_SX_S14_S18_S1A_T6_T7_T9_mT8_S1C_bDpT10_ENKUlT_T0_E_clISt17integral_constantIbLb1EES1O_IbLb0EEEEDaS1K_S1L_EUlS1K_E_NS1_11comp_targetILNS1_3genE5ELNS1_11target_archE942ELNS1_3gpuE9ELNS1_3repE0EEENS1_30default_config_static_selectorELNS0_4arch9wavefront6targetE0EEEvSY_,@function
_ZN7rocprim17ROCPRIM_400000_NS6detail17trampoline_kernelINS0_13select_configILj256ELj13ELNS0_17block_load_methodE3ELS4_3ELS4_3ELNS0_20block_scan_algorithmE0ELj4294967295EEENS1_25partition_config_selectorILNS1_17partition_subalgoE3EjNS0_10empty_typeEbEEZZNS1_14partition_implILS8_3ELb0ES6_jNS0_17counting_iteratorIjlEEPS9_SE_NS0_5tupleIJPjSE_EEENSF_IJSE_SE_EEES9_SG_JZNS1_25segmented_radix_sort_implINS0_14default_configELb1EPKaPaPKlPlN2at6native12_GLOBAL__N_18offset_tEEE10hipError_tPvRmT1_PNSt15iterator_traitsISY_E10value_typeET2_T3_PNSZ_IS14_E10value_typeET4_jRbjT5_S1A_jjP12ihipStream_tbEUljE_EEESV_SW_SX_S14_S18_S1A_T6_T7_T9_mT8_S1C_bDpT10_ENKUlT_T0_E_clISt17integral_constantIbLb1EES1O_IbLb0EEEEDaS1K_S1L_EUlS1K_E_NS1_11comp_targetILNS1_3genE5ELNS1_11target_archE942ELNS1_3gpuE9ELNS1_3repE0EEENS1_30default_config_static_selectorELNS0_4arch9wavefront6targetE0EEEvSY_: ; @_ZN7rocprim17ROCPRIM_400000_NS6detail17trampoline_kernelINS0_13select_configILj256ELj13ELNS0_17block_load_methodE3ELS4_3ELS4_3ELNS0_20block_scan_algorithmE0ELj4294967295EEENS1_25partition_config_selectorILNS1_17partition_subalgoE3EjNS0_10empty_typeEbEEZZNS1_14partition_implILS8_3ELb0ES6_jNS0_17counting_iteratorIjlEEPS9_SE_NS0_5tupleIJPjSE_EEENSF_IJSE_SE_EEES9_SG_JZNS1_25segmented_radix_sort_implINS0_14default_configELb1EPKaPaPKlPlN2at6native12_GLOBAL__N_18offset_tEEE10hipError_tPvRmT1_PNSt15iterator_traitsISY_E10value_typeET2_T3_PNSZ_IS14_E10value_typeET4_jRbjT5_S1A_jjP12ihipStream_tbEUljE_EEESV_SW_SX_S14_S18_S1A_T6_T7_T9_mT8_S1C_bDpT10_ENKUlT_T0_E_clISt17integral_constantIbLb1EES1O_IbLb0EEEEDaS1K_S1L_EUlS1K_E_NS1_11comp_targetILNS1_3genE5ELNS1_11target_archE942ELNS1_3gpuE9ELNS1_3repE0EEENS1_30default_config_static_selectorELNS0_4arch9wavefront6targetE0EEEvSY_
; %bb.0:
	.section	.rodata,"a",@progbits
	.p2align	6, 0x0
	.amdhsa_kernel _ZN7rocprim17ROCPRIM_400000_NS6detail17trampoline_kernelINS0_13select_configILj256ELj13ELNS0_17block_load_methodE3ELS4_3ELS4_3ELNS0_20block_scan_algorithmE0ELj4294967295EEENS1_25partition_config_selectorILNS1_17partition_subalgoE3EjNS0_10empty_typeEbEEZZNS1_14partition_implILS8_3ELb0ES6_jNS0_17counting_iteratorIjlEEPS9_SE_NS0_5tupleIJPjSE_EEENSF_IJSE_SE_EEES9_SG_JZNS1_25segmented_radix_sort_implINS0_14default_configELb1EPKaPaPKlPlN2at6native12_GLOBAL__N_18offset_tEEE10hipError_tPvRmT1_PNSt15iterator_traitsISY_E10value_typeET2_T3_PNSZ_IS14_E10value_typeET4_jRbjT5_S1A_jjP12ihipStream_tbEUljE_EEESV_SW_SX_S14_S18_S1A_T6_T7_T9_mT8_S1C_bDpT10_ENKUlT_T0_E_clISt17integral_constantIbLb1EES1O_IbLb0EEEEDaS1K_S1L_EUlS1K_E_NS1_11comp_targetILNS1_3genE5ELNS1_11target_archE942ELNS1_3gpuE9ELNS1_3repE0EEENS1_30default_config_static_selectorELNS0_4arch9wavefront6targetE0EEEvSY_
		.amdhsa_group_segment_fixed_size 0
		.amdhsa_private_segment_fixed_size 0
		.amdhsa_kernarg_size 144
		.amdhsa_user_sgpr_count 15
		.amdhsa_user_sgpr_dispatch_ptr 0
		.amdhsa_user_sgpr_queue_ptr 0
		.amdhsa_user_sgpr_kernarg_segment_ptr 1
		.amdhsa_user_sgpr_dispatch_id 0
		.amdhsa_user_sgpr_private_segment_size 0
		.amdhsa_wavefront_size32 1
		.amdhsa_uses_dynamic_stack 0
		.amdhsa_enable_private_segment 0
		.amdhsa_system_sgpr_workgroup_id_x 1
		.amdhsa_system_sgpr_workgroup_id_y 0
		.amdhsa_system_sgpr_workgroup_id_z 0
		.amdhsa_system_sgpr_workgroup_info 0
		.amdhsa_system_vgpr_workitem_id 0
		.amdhsa_next_free_vgpr 1
		.amdhsa_next_free_sgpr 1
		.amdhsa_reserve_vcc 0
		.amdhsa_float_round_mode_32 0
		.amdhsa_float_round_mode_16_64 0
		.amdhsa_float_denorm_mode_32 3
		.amdhsa_float_denorm_mode_16_64 3
		.amdhsa_dx10_clamp 1
		.amdhsa_ieee_mode 1
		.amdhsa_fp16_overflow 0
		.amdhsa_workgroup_processor_mode 1
		.amdhsa_memory_ordered 1
		.amdhsa_forward_progress 0
		.amdhsa_shared_vgpr_count 0
		.amdhsa_exception_fp_ieee_invalid_op 0
		.amdhsa_exception_fp_denorm_src 0
		.amdhsa_exception_fp_ieee_div_zero 0
		.amdhsa_exception_fp_ieee_overflow 0
		.amdhsa_exception_fp_ieee_underflow 0
		.amdhsa_exception_fp_ieee_inexact 0
		.amdhsa_exception_int_div_zero 0
	.end_amdhsa_kernel
	.section	.text._ZN7rocprim17ROCPRIM_400000_NS6detail17trampoline_kernelINS0_13select_configILj256ELj13ELNS0_17block_load_methodE3ELS4_3ELS4_3ELNS0_20block_scan_algorithmE0ELj4294967295EEENS1_25partition_config_selectorILNS1_17partition_subalgoE3EjNS0_10empty_typeEbEEZZNS1_14partition_implILS8_3ELb0ES6_jNS0_17counting_iteratorIjlEEPS9_SE_NS0_5tupleIJPjSE_EEENSF_IJSE_SE_EEES9_SG_JZNS1_25segmented_radix_sort_implINS0_14default_configELb1EPKaPaPKlPlN2at6native12_GLOBAL__N_18offset_tEEE10hipError_tPvRmT1_PNSt15iterator_traitsISY_E10value_typeET2_T3_PNSZ_IS14_E10value_typeET4_jRbjT5_S1A_jjP12ihipStream_tbEUljE_EEESV_SW_SX_S14_S18_S1A_T6_T7_T9_mT8_S1C_bDpT10_ENKUlT_T0_E_clISt17integral_constantIbLb1EES1O_IbLb0EEEEDaS1K_S1L_EUlS1K_E_NS1_11comp_targetILNS1_3genE5ELNS1_11target_archE942ELNS1_3gpuE9ELNS1_3repE0EEENS1_30default_config_static_selectorELNS0_4arch9wavefront6targetE0EEEvSY_,"axG",@progbits,_ZN7rocprim17ROCPRIM_400000_NS6detail17trampoline_kernelINS0_13select_configILj256ELj13ELNS0_17block_load_methodE3ELS4_3ELS4_3ELNS0_20block_scan_algorithmE0ELj4294967295EEENS1_25partition_config_selectorILNS1_17partition_subalgoE3EjNS0_10empty_typeEbEEZZNS1_14partition_implILS8_3ELb0ES6_jNS0_17counting_iteratorIjlEEPS9_SE_NS0_5tupleIJPjSE_EEENSF_IJSE_SE_EEES9_SG_JZNS1_25segmented_radix_sort_implINS0_14default_configELb1EPKaPaPKlPlN2at6native12_GLOBAL__N_18offset_tEEE10hipError_tPvRmT1_PNSt15iterator_traitsISY_E10value_typeET2_T3_PNSZ_IS14_E10value_typeET4_jRbjT5_S1A_jjP12ihipStream_tbEUljE_EEESV_SW_SX_S14_S18_S1A_T6_T7_T9_mT8_S1C_bDpT10_ENKUlT_T0_E_clISt17integral_constantIbLb1EES1O_IbLb0EEEEDaS1K_S1L_EUlS1K_E_NS1_11comp_targetILNS1_3genE5ELNS1_11target_archE942ELNS1_3gpuE9ELNS1_3repE0EEENS1_30default_config_static_selectorELNS0_4arch9wavefront6targetE0EEEvSY_,comdat
.Lfunc_end275:
	.size	_ZN7rocprim17ROCPRIM_400000_NS6detail17trampoline_kernelINS0_13select_configILj256ELj13ELNS0_17block_load_methodE3ELS4_3ELS4_3ELNS0_20block_scan_algorithmE0ELj4294967295EEENS1_25partition_config_selectorILNS1_17partition_subalgoE3EjNS0_10empty_typeEbEEZZNS1_14partition_implILS8_3ELb0ES6_jNS0_17counting_iteratorIjlEEPS9_SE_NS0_5tupleIJPjSE_EEENSF_IJSE_SE_EEES9_SG_JZNS1_25segmented_radix_sort_implINS0_14default_configELb1EPKaPaPKlPlN2at6native12_GLOBAL__N_18offset_tEEE10hipError_tPvRmT1_PNSt15iterator_traitsISY_E10value_typeET2_T3_PNSZ_IS14_E10value_typeET4_jRbjT5_S1A_jjP12ihipStream_tbEUljE_EEESV_SW_SX_S14_S18_S1A_T6_T7_T9_mT8_S1C_bDpT10_ENKUlT_T0_E_clISt17integral_constantIbLb1EES1O_IbLb0EEEEDaS1K_S1L_EUlS1K_E_NS1_11comp_targetILNS1_3genE5ELNS1_11target_archE942ELNS1_3gpuE9ELNS1_3repE0EEENS1_30default_config_static_selectorELNS0_4arch9wavefront6targetE0EEEvSY_, .Lfunc_end275-_ZN7rocprim17ROCPRIM_400000_NS6detail17trampoline_kernelINS0_13select_configILj256ELj13ELNS0_17block_load_methodE3ELS4_3ELS4_3ELNS0_20block_scan_algorithmE0ELj4294967295EEENS1_25partition_config_selectorILNS1_17partition_subalgoE3EjNS0_10empty_typeEbEEZZNS1_14partition_implILS8_3ELb0ES6_jNS0_17counting_iteratorIjlEEPS9_SE_NS0_5tupleIJPjSE_EEENSF_IJSE_SE_EEES9_SG_JZNS1_25segmented_radix_sort_implINS0_14default_configELb1EPKaPaPKlPlN2at6native12_GLOBAL__N_18offset_tEEE10hipError_tPvRmT1_PNSt15iterator_traitsISY_E10value_typeET2_T3_PNSZ_IS14_E10value_typeET4_jRbjT5_S1A_jjP12ihipStream_tbEUljE_EEESV_SW_SX_S14_S18_S1A_T6_T7_T9_mT8_S1C_bDpT10_ENKUlT_T0_E_clISt17integral_constantIbLb1EES1O_IbLb0EEEEDaS1K_S1L_EUlS1K_E_NS1_11comp_targetILNS1_3genE5ELNS1_11target_archE942ELNS1_3gpuE9ELNS1_3repE0EEENS1_30default_config_static_selectorELNS0_4arch9wavefront6targetE0EEEvSY_
                                        ; -- End function
	.section	.AMDGPU.csdata,"",@progbits
; Kernel info:
; codeLenInByte = 0
; NumSgprs: 0
; NumVgprs: 0
; ScratchSize: 0
; MemoryBound: 0
; FloatMode: 240
; IeeeMode: 1
; LDSByteSize: 0 bytes/workgroup (compile time only)
; SGPRBlocks: 0
; VGPRBlocks: 0
; NumSGPRsForWavesPerEU: 1
; NumVGPRsForWavesPerEU: 1
; Occupancy: 16
; WaveLimiterHint : 0
; COMPUTE_PGM_RSRC2:SCRATCH_EN: 0
; COMPUTE_PGM_RSRC2:USER_SGPR: 15
; COMPUTE_PGM_RSRC2:TRAP_HANDLER: 0
; COMPUTE_PGM_RSRC2:TGID_X_EN: 1
; COMPUTE_PGM_RSRC2:TGID_Y_EN: 0
; COMPUTE_PGM_RSRC2:TGID_Z_EN: 0
; COMPUTE_PGM_RSRC2:TIDIG_COMP_CNT: 0
	.section	.text._ZN7rocprim17ROCPRIM_400000_NS6detail17trampoline_kernelINS0_13select_configILj256ELj13ELNS0_17block_load_methodE3ELS4_3ELS4_3ELNS0_20block_scan_algorithmE0ELj4294967295EEENS1_25partition_config_selectorILNS1_17partition_subalgoE3EjNS0_10empty_typeEbEEZZNS1_14partition_implILS8_3ELb0ES6_jNS0_17counting_iteratorIjlEEPS9_SE_NS0_5tupleIJPjSE_EEENSF_IJSE_SE_EEES9_SG_JZNS1_25segmented_radix_sort_implINS0_14default_configELb1EPKaPaPKlPlN2at6native12_GLOBAL__N_18offset_tEEE10hipError_tPvRmT1_PNSt15iterator_traitsISY_E10value_typeET2_T3_PNSZ_IS14_E10value_typeET4_jRbjT5_S1A_jjP12ihipStream_tbEUljE_EEESV_SW_SX_S14_S18_S1A_T6_T7_T9_mT8_S1C_bDpT10_ENKUlT_T0_E_clISt17integral_constantIbLb1EES1O_IbLb0EEEEDaS1K_S1L_EUlS1K_E_NS1_11comp_targetILNS1_3genE4ELNS1_11target_archE910ELNS1_3gpuE8ELNS1_3repE0EEENS1_30default_config_static_selectorELNS0_4arch9wavefront6targetE0EEEvSY_,"axG",@progbits,_ZN7rocprim17ROCPRIM_400000_NS6detail17trampoline_kernelINS0_13select_configILj256ELj13ELNS0_17block_load_methodE3ELS4_3ELS4_3ELNS0_20block_scan_algorithmE0ELj4294967295EEENS1_25partition_config_selectorILNS1_17partition_subalgoE3EjNS0_10empty_typeEbEEZZNS1_14partition_implILS8_3ELb0ES6_jNS0_17counting_iteratorIjlEEPS9_SE_NS0_5tupleIJPjSE_EEENSF_IJSE_SE_EEES9_SG_JZNS1_25segmented_radix_sort_implINS0_14default_configELb1EPKaPaPKlPlN2at6native12_GLOBAL__N_18offset_tEEE10hipError_tPvRmT1_PNSt15iterator_traitsISY_E10value_typeET2_T3_PNSZ_IS14_E10value_typeET4_jRbjT5_S1A_jjP12ihipStream_tbEUljE_EEESV_SW_SX_S14_S18_S1A_T6_T7_T9_mT8_S1C_bDpT10_ENKUlT_T0_E_clISt17integral_constantIbLb1EES1O_IbLb0EEEEDaS1K_S1L_EUlS1K_E_NS1_11comp_targetILNS1_3genE4ELNS1_11target_archE910ELNS1_3gpuE8ELNS1_3repE0EEENS1_30default_config_static_selectorELNS0_4arch9wavefront6targetE0EEEvSY_,comdat
	.globl	_ZN7rocprim17ROCPRIM_400000_NS6detail17trampoline_kernelINS0_13select_configILj256ELj13ELNS0_17block_load_methodE3ELS4_3ELS4_3ELNS0_20block_scan_algorithmE0ELj4294967295EEENS1_25partition_config_selectorILNS1_17partition_subalgoE3EjNS0_10empty_typeEbEEZZNS1_14partition_implILS8_3ELb0ES6_jNS0_17counting_iteratorIjlEEPS9_SE_NS0_5tupleIJPjSE_EEENSF_IJSE_SE_EEES9_SG_JZNS1_25segmented_radix_sort_implINS0_14default_configELb1EPKaPaPKlPlN2at6native12_GLOBAL__N_18offset_tEEE10hipError_tPvRmT1_PNSt15iterator_traitsISY_E10value_typeET2_T3_PNSZ_IS14_E10value_typeET4_jRbjT5_S1A_jjP12ihipStream_tbEUljE_EEESV_SW_SX_S14_S18_S1A_T6_T7_T9_mT8_S1C_bDpT10_ENKUlT_T0_E_clISt17integral_constantIbLb1EES1O_IbLb0EEEEDaS1K_S1L_EUlS1K_E_NS1_11comp_targetILNS1_3genE4ELNS1_11target_archE910ELNS1_3gpuE8ELNS1_3repE0EEENS1_30default_config_static_selectorELNS0_4arch9wavefront6targetE0EEEvSY_ ; -- Begin function _ZN7rocprim17ROCPRIM_400000_NS6detail17trampoline_kernelINS0_13select_configILj256ELj13ELNS0_17block_load_methodE3ELS4_3ELS4_3ELNS0_20block_scan_algorithmE0ELj4294967295EEENS1_25partition_config_selectorILNS1_17partition_subalgoE3EjNS0_10empty_typeEbEEZZNS1_14partition_implILS8_3ELb0ES6_jNS0_17counting_iteratorIjlEEPS9_SE_NS0_5tupleIJPjSE_EEENSF_IJSE_SE_EEES9_SG_JZNS1_25segmented_radix_sort_implINS0_14default_configELb1EPKaPaPKlPlN2at6native12_GLOBAL__N_18offset_tEEE10hipError_tPvRmT1_PNSt15iterator_traitsISY_E10value_typeET2_T3_PNSZ_IS14_E10value_typeET4_jRbjT5_S1A_jjP12ihipStream_tbEUljE_EEESV_SW_SX_S14_S18_S1A_T6_T7_T9_mT8_S1C_bDpT10_ENKUlT_T0_E_clISt17integral_constantIbLb1EES1O_IbLb0EEEEDaS1K_S1L_EUlS1K_E_NS1_11comp_targetILNS1_3genE4ELNS1_11target_archE910ELNS1_3gpuE8ELNS1_3repE0EEENS1_30default_config_static_selectorELNS0_4arch9wavefront6targetE0EEEvSY_
	.p2align	8
	.type	_ZN7rocprim17ROCPRIM_400000_NS6detail17trampoline_kernelINS0_13select_configILj256ELj13ELNS0_17block_load_methodE3ELS4_3ELS4_3ELNS0_20block_scan_algorithmE0ELj4294967295EEENS1_25partition_config_selectorILNS1_17partition_subalgoE3EjNS0_10empty_typeEbEEZZNS1_14partition_implILS8_3ELb0ES6_jNS0_17counting_iteratorIjlEEPS9_SE_NS0_5tupleIJPjSE_EEENSF_IJSE_SE_EEES9_SG_JZNS1_25segmented_radix_sort_implINS0_14default_configELb1EPKaPaPKlPlN2at6native12_GLOBAL__N_18offset_tEEE10hipError_tPvRmT1_PNSt15iterator_traitsISY_E10value_typeET2_T3_PNSZ_IS14_E10value_typeET4_jRbjT5_S1A_jjP12ihipStream_tbEUljE_EEESV_SW_SX_S14_S18_S1A_T6_T7_T9_mT8_S1C_bDpT10_ENKUlT_T0_E_clISt17integral_constantIbLb1EES1O_IbLb0EEEEDaS1K_S1L_EUlS1K_E_NS1_11comp_targetILNS1_3genE4ELNS1_11target_archE910ELNS1_3gpuE8ELNS1_3repE0EEENS1_30default_config_static_selectorELNS0_4arch9wavefront6targetE0EEEvSY_,@function
_ZN7rocprim17ROCPRIM_400000_NS6detail17trampoline_kernelINS0_13select_configILj256ELj13ELNS0_17block_load_methodE3ELS4_3ELS4_3ELNS0_20block_scan_algorithmE0ELj4294967295EEENS1_25partition_config_selectorILNS1_17partition_subalgoE3EjNS0_10empty_typeEbEEZZNS1_14partition_implILS8_3ELb0ES6_jNS0_17counting_iteratorIjlEEPS9_SE_NS0_5tupleIJPjSE_EEENSF_IJSE_SE_EEES9_SG_JZNS1_25segmented_radix_sort_implINS0_14default_configELb1EPKaPaPKlPlN2at6native12_GLOBAL__N_18offset_tEEE10hipError_tPvRmT1_PNSt15iterator_traitsISY_E10value_typeET2_T3_PNSZ_IS14_E10value_typeET4_jRbjT5_S1A_jjP12ihipStream_tbEUljE_EEESV_SW_SX_S14_S18_S1A_T6_T7_T9_mT8_S1C_bDpT10_ENKUlT_T0_E_clISt17integral_constantIbLb1EES1O_IbLb0EEEEDaS1K_S1L_EUlS1K_E_NS1_11comp_targetILNS1_3genE4ELNS1_11target_archE910ELNS1_3gpuE8ELNS1_3repE0EEENS1_30default_config_static_selectorELNS0_4arch9wavefront6targetE0EEEvSY_: ; @_ZN7rocprim17ROCPRIM_400000_NS6detail17trampoline_kernelINS0_13select_configILj256ELj13ELNS0_17block_load_methodE3ELS4_3ELS4_3ELNS0_20block_scan_algorithmE0ELj4294967295EEENS1_25partition_config_selectorILNS1_17partition_subalgoE3EjNS0_10empty_typeEbEEZZNS1_14partition_implILS8_3ELb0ES6_jNS0_17counting_iteratorIjlEEPS9_SE_NS0_5tupleIJPjSE_EEENSF_IJSE_SE_EEES9_SG_JZNS1_25segmented_radix_sort_implINS0_14default_configELb1EPKaPaPKlPlN2at6native12_GLOBAL__N_18offset_tEEE10hipError_tPvRmT1_PNSt15iterator_traitsISY_E10value_typeET2_T3_PNSZ_IS14_E10value_typeET4_jRbjT5_S1A_jjP12ihipStream_tbEUljE_EEESV_SW_SX_S14_S18_S1A_T6_T7_T9_mT8_S1C_bDpT10_ENKUlT_T0_E_clISt17integral_constantIbLb1EES1O_IbLb0EEEEDaS1K_S1L_EUlS1K_E_NS1_11comp_targetILNS1_3genE4ELNS1_11target_archE910ELNS1_3gpuE8ELNS1_3repE0EEENS1_30default_config_static_selectorELNS0_4arch9wavefront6targetE0EEEvSY_
; %bb.0:
	.section	.rodata,"a",@progbits
	.p2align	6, 0x0
	.amdhsa_kernel _ZN7rocprim17ROCPRIM_400000_NS6detail17trampoline_kernelINS0_13select_configILj256ELj13ELNS0_17block_load_methodE3ELS4_3ELS4_3ELNS0_20block_scan_algorithmE0ELj4294967295EEENS1_25partition_config_selectorILNS1_17partition_subalgoE3EjNS0_10empty_typeEbEEZZNS1_14partition_implILS8_3ELb0ES6_jNS0_17counting_iteratorIjlEEPS9_SE_NS0_5tupleIJPjSE_EEENSF_IJSE_SE_EEES9_SG_JZNS1_25segmented_radix_sort_implINS0_14default_configELb1EPKaPaPKlPlN2at6native12_GLOBAL__N_18offset_tEEE10hipError_tPvRmT1_PNSt15iterator_traitsISY_E10value_typeET2_T3_PNSZ_IS14_E10value_typeET4_jRbjT5_S1A_jjP12ihipStream_tbEUljE_EEESV_SW_SX_S14_S18_S1A_T6_T7_T9_mT8_S1C_bDpT10_ENKUlT_T0_E_clISt17integral_constantIbLb1EES1O_IbLb0EEEEDaS1K_S1L_EUlS1K_E_NS1_11comp_targetILNS1_3genE4ELNS1_11target_archE910ELNS1_3gpuE8ELNS1_3repE0EEENS1_30default_config_static_selectorELNS0_4arch9wavefront6targetE0EEEvSY_
		.amdhsa_group_segment_fixed_size 0
		.amdhsa_private_segment_fixed_size 0
		.amdhsa_kernarg_size 144
		.amdhsa_user_sgpr_count 15
		.amdhsa_user_sgpr_dispatch_ptr 0
		.amdhsa_user_sgpr_queue_ptr 0
		.amdhsa_user_sgpr_kernarg_segment_ptr 1
		.amdhsa_user_sgpr_dispatch_id 0
		.amdhsa_user_sgpr_private_segment_size 0
		.amdhsa_wavefront_size32 1
		.amdhsa_uses_dynamic_stack 0
		.amdhsa_enable_private_segment 0
		.amdhsa_system_sgpr_workgroup_id_x 1
		.amdhsa_system_sgpr_workgroup_id_y 0
		.amdhsa_system_sgpr_workgroup_id_z 0
		.amdhsa_system_sgpr_workgroup_info 0
		.amdhsa_system_vgpr_workitem_id 0
		.amdhsa_next_free_vgpr 1
		.amdhsa_next_free_sgpr 1
		.amdhsa_reserve_vcc 0
		.amdhsa_float_round_mode_32 0
		.amdhsa_float_round_mode_16_64 0
		.amdhsa_float_denorm_mode_32 3
		.amdhsa_float_denorm_mode_16_64 3
		.amdhsa_dx10_clamp 1
		.amdhsa_ieee_mode 1
		.amdhsa_fp16_overflow 0
		.amdhsa_workgroup_processor_mode 1
		.amdhsa_memory_ordered 1
		.amdhsa_forward_progress 0
		.amdhsa_shared_vgpr_count 0
		.amdhsa_exception_fp_ieee_invalid_op 0
		.amdhsa_exception_fp_denorm_src 0
		.amdhsa_exception_fp_ieee_div_zero 0
		.amdhsa_exception_fp_ieee_overflow 0
		.amdhsa_exception_fp_ieee_underflow 0
		.amdhsa_exception_fp_ieee_inexact 0
		.amdhsa_exception_int_div_zero 0
	.end_amdhsa_kernel
	.section	.text._ZN7rocprim17ROCPRIM_400000_NS6detail17trampoline_kernelINS0_13select_configILj256ELj13ELNS0_17block_load_methodE3ELS4_3ELS4_3ELNS0_20block_scan_algorithmE0ELj4294967295EEENS1_25partition_config_selectorILNS1_17partition_subalgoE3EjNS0_10empty_typeEbEEZZNS1_14partition_implILS8_3ELb0ES6_jNS0_17counting_iteratorIjlEEPS9_SE_NS0_5tupleIJPjSE_EEENSF_IJSE_SE_EEES9_SG_JZNS1_25segmented_radix_sort_implINS0_14default_configELb1EPKaPaPKlPlN2at6native12_GLOBAL__N_18offset_tEEE10hipError_tPvRmT1_PNSt15iterator_traitsISY_E10value_typeET2_T3_PNSZ_IS14_E10value_typeET4_jRbjT5_S1A_jjP12ihipStream_tbEUljE_EEESV_SW_SX_S14_S18_S1A_T6_T7_T9_mT8_S1C_bDpT10_ENKUlT_T0_E_clISt17integral_constantIbLb1EES1O_IbLb0EEEEDaS1K_S1L_EUlS1K_E_NS1_11comp_targetILNS1_3genE4ELNS1_11target_archE910ELNS1_3gpuE8ELNS1_3repE0EEENS1_30default_config_static_selectorELNS0_4arch9wavefront6targetE0EEEvSY_,"axG",@progbits,_ZN7rocprim17ROCPRIM_400000_NS6detail17trampoline_kernelINS0_13select_configILj256ELj13ELNS0_17block_load_methodE3ELS4_3ELS4_3ELNS0_20block_scan_algorithmE0ELj4294967295EEENS1_25partition_config_selectorILNS1_17partition_subalgoE3EjNS0_10empty_typeEbEEZZNS1_14partition_implILS8_3ELb0ES6_jNS0_17counting_iteratorIjlEEPS9_SE_NS0_5tupleIJPjSE_EEENSF_IJSE_SE_EEES9_SG_JZNS1_25segmented_radix_sort_implINS0_14default_configELb1EPKaPaPKlPlN2at6native12_GLOBAL__N_18offset_tEEE10hipError_tPvRmT1_PNSt15iterator_traitsISY_E10value_typeET2_T3_PNSZ_IS14_E10value_typeET4_jRbjT5_S1A_jjP12ihipStream_tbEUljE_EEESV_SW_SX_S14_S18_S1A_T6_T7_T9_mT8_S1C_bDpT10_ENKUlT_T0_E_clISt17integral_constantIbLb1EES1O_IbLb0EEEEDaS1K_S1L_EUlS1K_E_NS1_11comp_targetILNS1_3genE4ELNS1_11target_archE910ELNS1_3gpuE8ELNS1_3repE0EEENS1_30default_config_static_selectorELNS0_4arch9wavefront6targetE0EEEvSY_,comdat
.Lfunc_end276:
	.size	_ZN7rocprim17ROCPRIM_400000_NS6detail17trampoline_kernelINS0_13select_configILj256ELj13ELNS0_17block_load_methodE3ELS4_3ELS4_3ELNS0_20block_scan_algorithmE0ELj4294967295EEENS1_25partition_config_selectorILNS1_17partition_subalgoE3EjNS0_10empty_typeEbEEZZNS1_14partition_implILS8_3ELb0ES6_jNS0_17counting_iteratorIjlEEPS9_SE_NS0_5tupleIJPjSE_EEENSF_IJSE_SE_EEES9_SG_JZNS1_25segmented_radix_sort_implINS0_14default_configELb1EPKaPaPKlPlN2at6native12_GLOBAL__N_18offset_tEEE10hipError_tPvRmT1_PNSt15iterator_traitsISY_E10value_typeET2_T3_PNSZ_IS14_E10value_typeET4_jRbjT5_S1A_jjP12ihipStream_tbEUljE_EEESV_SW_SX_S14_S18_S1A_T6_T7_T9_mT8_S1C_bDpT10_ENKUlT_T0_E_clISt17integral_constantIbLb1EES1O_IbLb0EEEEDaS1K_S1L_EUlS1K_E_NS1_11comp_targetILNS1_3genE4ELNS1_11target_archE910ELNS1_3gpuE8ELNS1_3repE0EEENS1_30default_config_static_selectorELNS0_4arch9wavefront6targetE0EEEvSY_, .Lfunc_end276-_ZN7rocprim17ROCPRIM_400000_NS6detail17trampoline_kernelINS0_13select_configILj256ELj13ELNS0_17block_load_methodE3ELS4_3ELS4_3ELNS0_20block_scan_algorithmE0ELj4294967295EEENS1_25partition_config_selectorILNS1_17partition_subalgoE3EjNS0_10empty_typeEbEEZZNS1_14partition_implILS8_3ELb0ES6_jNS0_17counting_iteratorIjlEEPS9_SE_NS0_5tupleIJPjSE_EEENSF_IJSE_SE_EEES9_SG_JZNS1_25segmented_radix_sort_implINS0_14default_configELb1EPKaPaPKlPlN2at6native12_GLOBAL__N_18offset_tEEE10hipError_tPvRmT1_PNSt15iterator_traitsISY_E10value_typeET2_T3_PNSZ_IS14_E10value_typeET4_jRbjT5_S1A_jjP12ihipStream_tbEUljE_EEESV_SW_SX_S14_S18_S1A_T6_T7_T9_mT8_S1C_bDpT10_ENKUlT_T0_E_clISt17integral_constantIbLb1EES1O_IbLb0EEEEDaS1K_S1L_EUlS1K_E_NS1_11comp_targetILNS1_3genE4ELNS1_11target_archE910ELNS1_3gpuE8ELNS1_3repE0EEENS1_30default_config_static_selectorELNS0_4arch9wavefront6targetE0EEEvSY_
                                        ; -- End function
	.section	.AMDGPU.csdata,"",@progbits
; Kernel info:
; codeLenInByte = 0
; NumSgprs: 0
; NumVgprs: 0
; ScratchSize: 0
; MemoryBound: 0
; FloatMode: 240
; IeeeMode: 1
; LDSByteSize: 0 bytes/workgroup (compile time only)
; SGPRBlocks: 0
; VGPRBlocks: 0
; NumSGPRsForWavesPerEU: 1
; NumVGPRsForWavesPerEU: 1
; Occupancy: 16
; WaveLimiterHint : 0
; COMPUTE_PGM_RSRC2:SCRATCH_EN: 0
; COMPUTE_PGM_RSRC2:USER_SGPR: 15
; COMPUTE_PGM_RSRC2:TRAP_HANDLER: 0
; COMPUTE_PGM_RSRC2:TGID_X_EN: 1
; COMPUTE_PGM_RSRC2:TGID_Y_EN: 0
; COMPUTE_PGM_RSRC2:TGID_Z_EN: 0
; COMPUTE_PGM_RSRC2:TIDIG_COMP_CNT: 0
	.section	.text._ZN7rocprim17ROCPRIM_400000_NS6detail17trampoline_kernelINS0_13select_configILj256ELj13ELNS0_17block_load_methodE3ELS4_3ELS4_3ELNS0_20block_scan_algorithmE0ELj4294967295EEENS1_25partition_config_selectorILNS1_17partition_subalgoE3EjNS0_10empty_typeEbEEZZNS1_14partition_implILS8_3ELb0ES6_jNS0_17counting_iteratorIjlEEPS9_SE_NS0_5tupleIJPjSE_EEENSF_IJSE_SE_EEES9_SG_JZNS1_25segmented_radix_sort_implINS0_14default_configELb1EPKaPaPKlPlN2at6native12_GLOBAL__N_18offset_tEEE10hipError_tPvRmT1_PNSt15iterator_traitsISY_E10value_typeET2_T3_PNSZ_IS14_E10value_typeET4_jRbjT5_S1A_jjP12ihipStream_tbEUljE_EEESV_SW_SX_S14_S18_S1A_T6_T7_T9_mT8_S1C_bDpT10_ENKUlT_T0_E_clISt17integral_constantIbLb1EES1O_IbLb0EEEEDaS1K_S1L_EUlS1K_E_NS1_11comp_targetILNS1_3genE3ELNS1_11target_archE908ELNS1_3gpuE7ELNS1_3repE0EEENS1_30default_config_static_selectorELNS0_4arch9wavefront6targetE0EEEvSY_,"axG",@progbits,_ZN7rocprim17ROCPRIM_400000_NS6detail17trampoline_kernelINS0_13select_configILj256ELj13ELNS0_17block_load_methodE3ELS4_3ELS4_3ELNS0_20block_scan_algorithmE0ELj4294967295EEENS1_25partition_config_selectorILNS1_17partition_subalgoE3EjNS0_10empty_typeEbEEZZNS1_14partition_implILS8_3ELb0ES6_jNS0_17counting_iteratorIjlEEPS9_SE_NS0_5tupleIJPjSE_EEENSF_IJSE_SE_EEES9_SG_JZNS1_25segmented_radix_sort_implINS0_14default_configELb1EPKaPaPKlPlN2at6native12_GLOBAL__N_18offset_tEEE10hipError_tPvRmT1_PNSt15iterator_traitsISY_E10value_typeET2_T3_PNSZ_IS14_E10value_typeET4_jRbjT5_S1A_jjP12ihipStream_tbEUljE_EEESV_SW_SX_S14_S18_S1A_T6_T7_T9_mT8_S1C_bDpT10_ENKUlT_T0_E_clISt17integral_constantIbLb1EES1O_IbLb0EEEEDaS1K_S1L_EUlS1K_E_NS1_11comp_targetILNS1_3genE3ELNS1_11target_archE908ELNS1_3gpuE7ELNS1_3repE0EEENS1_30default_config_static_selectorELNS0_4arch9wavefront6targetE0EEEvSY_,comdat
	.globl	_ZN7rocprim17ROCPRIM_400000_NS6detail17trampoline_kernelINS0_13select_configILj256ELj13ELNS0_17block_load_methodE3ELS4_3ELS4_3ELNS0_20block_scan_algorithmE0ELj4294967295EEENS1_25partition_config_selectorILNS1_17partition_subalgoE3EjNS0_10empty_typeEbEEZZNS1_14partition_implILS8_3ELb0ES6_jNS0_17counting_iteratorIjlEEPS9_SE_NS0_5tupleIJPjSE_EEENSF_IJSE_SE_EEES9_SG_JZNS1_25segmented_radix_sort_implINS0_14default_configELb1EPKaPaPKlPlN2at6native12_GLOBAL__N_18offset_tEEE10hipError_tPvRmT1_PNSt15iterator_traitsISY_E10value_typeET2_T3_PNSZ_IS14_E10value_typeET4_jRbjT5_S1A_jjP12ihipStream_tbEUljE_EEESV_SW_SX_S14_S18_S1A_T6_T7_T9_mT8_S1C_bDpT10_ENKUlT_T0_E_clISt17integral_constantIbLb1EES1O_IbLb0EEEEDaS1K_S1L_EUlS1K_E_NS1_11comp_targetILNS1_3genE3ELNS1_11target_archE908ELNS1_3gpuE7ELNS1_3repE0EEENS1_30default_config_static_selectorELNS0_4arch9wavefront6targetE0EEEvSY_ ; -- Begin function _ZN7rocprim17ROCPRIM_400000_NS6detail17trampoline_kernelINS0_13select_configILj256ELj13ELNS0_17block_load_methodE3ELS4_3ELS4_3ELNS0_20block_scan_algorithmE0ELj4294967295EEENS1_25partition_config_selectorILNS1_17partition_subalgoE3EjNS0_10empty_typeEbEEZZNS1_14partition_implILS8_3ELb0ES6_jNS0_17counting_iteratorIjlEEPS9_SE_NS0_5tupleIJPjSE_EEENSF_IJSE_SE_EEES9_SG_JZNS1_25segmented_radix_sort_implINS0_14default_configELb1EPKaPaPKlPlN2at6native12_GLOBAL__N_18offset_tEEE10hipError_tPvRmT1_PNSt15iterator_traitsISY_E10value_typeET2_T3_PNSZ_IS14_E10value_typeET4_jRbjT5_S1A_jjP12ihipStream_tbEUljE_EEESV_SW_SX_S14_S18_S1A_T6_T7_T9_mT8_S1C_bDpT10_ENKUlT_T0_E_clISt17integral_constantIbLb1EES1O_IbLb0EEEEDaS1K_S1L_EUlS1K_E_NS1_11comp_targetILNS1_3genE3ELNS1_11target_archE908ELNS1_3gpuE7ELNS1_3repE0EEENS1_30default_config_static_selectorELNS0_4arch9wavefront6targetE0EEEvSY_
	.p2align	8
	.type	_ZN7rocprim17ROCPRIM_400000_NS6detail17trampoline_kernelINS0_13select_configILj256ELj13ELNS0_17block_load_methodE3ELS4_3ELS4_3ELNS0_20block_scan_algorithmE0ELj4294967295EEENS1_25partition_config_selectorILNS1_17partition_subalgoE3EjNS0_10empty_typeEbEEZZNS1_14partition_implILS8_3ELb0ES6_jNS0_17counting_iteratorIjlEEPS9_SE_NS0_5tupleIJPjSE_EEENSF_IJSE_SE_EEES9_SG_JZNS1_25segmented_radix_sort_implINS0_14default_configELb1EPKaPaPKlPlN2at6native12_GLOBAL__N_18offset_tEEE10hipError_tPvRmT1_PNSt15iterator_traitsISY_E10value_typeET2_T3_PNSZ_IS14_E10value_typeET4_jRbjT5_S1A_jjP12ihipStream_tbEUljE_EEESV_SW_SX_S14_S18_S1A_T6_T7_T9_mT8_S1C_bDpT10_ENKUlT_T0_E_clISt17integral_constantIbLb1EES1O_IbLb0EEEEDaS1K_S1L_EUlS1K_E_NS1_11comp_targetILNS1_3genE3ELNS1_11target_archE908ELNS1_3gpuE7ELNS1_3repE0EEENS1_30default_config_static_selectorELNS0_4arch9wavefront6targetE0EEEvSY_,@function
_ZN7rocprim17ROCPRIM_400000_NS6detail17trampoline_kernelINS0_13select_configILj256ELj13ELNS0_17block_load_methodE3ELS4_3ELS4_3ELNS0_20block_scan_algorithmE0ELj4294967295EEENS1_25partition_config_selectorILNS1_17partition_subalgoE3EjNS0_10empty_typeEbEEZZNS1_14partition_implILS8_3ELb0ES6_jNS0_17counting_iteratorIjlEEPS9_SE_NS0_5tupleIJPjSE_EEENSF_IJSE_SE_EEES9_SG_JZNS1_25segmented_radix_sort_implINS0_14default_configELb1EPKaPaPKlPlN2at6native12_GLOBAL__N_18offset_tEEE10hipError_tPvRmT1_PNSt15iterator_traitsISY_E10value_typeET2_T3_PNSZ_IS14_E10value_typeET4_jRbjT5_S1A_jjP12ihipStream_tbEUljE_EEESV_SW_SX_S14_S18_S1A_T6_T7_T9_mT8_S1C_bDpT10_ENKUlT_T0_E_clISt17integral_constantIbLb1EES1O_IbLb0EEEEDaS1K_S1L_EUlS1K_E_NS1_11comp_targetILNS1_3genE3ELNS1_11target_archE908ELNS1_3gpuE7ELNS1_3repE0EEENS1_30default_config_static_selectorELNS0_4arch9wavefront6targetE0EEEvSY_: ; @_ZN7rocprim17ROCPRIM_400000_NS6detail17trampoline_kernelINS0_13select_configILj256ELj13ELNS0_17block_load_methodE3ELS4_3ELS4_3ELNS0_20block_scan_algorithmE0ELj4294967295EEENS1_25partition_config_selectorILNS1_17partition_subalgoE3EjNS0_10empty_typeEbEEZZNS1_14partition_implILS8_3ELb0ES6_jNS0_17counting_iteratorIjlEEPS9_SE_NS0_5tupleIJPjSE_EEENSF_IJSE_SE_EEES9_SG_JZNS1_25segmented_radix_sort_implINS0_14default_configELb1EPKaPaPKlPlN2at6native12_GLOBAL__N_18offset_tEEE10hipError_tPvRmT1_PNSt15iterator_traitsISY_E10value_typeET2_T3_PNSZ_IS14_E10value_typeET4_jRbjT5_S1A_jjP12ihipStream_tbEUljE_EEESV_SW_SX_S14_S18_S1A_T6_T7_T9_mT8_S1C_bDpT10_ENKUlT_T0_E_clISt17integral_constantIbLb1EES1O_IbLb0EEEEDaS1K_S1L_EUlS1K_E_NS1_11comp_targetILNS1_3genE3ELNS1_11target_archE908ELNS1_3gpuE7ELNS1_3repE0EEENS1_30default_config_static_selectorELNS0_4arch9wavefront6targetE0EEEvSY_
; %bb.0:
	.section	.rodata,"a",@progbits
	.p2align	6, 0x0
	.amdhsa_kernel _ZN7rocprim17ROCPRIM_400000_NS6detail17trampoline_kernelINS0_13select_configILj256ELj13ELNS0_17block_load_methodE3ELS4_3ELS4_3ELNS0_20block_scan_algorithmE0ELj4294967295EEENS1_25partition_config_selectorILNS1_17partition_subalgoE3EjNS0_10empty_typeEbEEZZNS1_14partition_implILS8_3ELb0ES6_jNS0_17counting_iteratorIjlEEPS9_SE_NS0_5tupleIJPjSE_EEENSF_IJSE_SE_EEES9_SG_JZNS1_25segmented_radix_sort_implINS0_14default_configELb1EPKaPaPKlPlN2at6native12_GLOBAL__N_18offset_tEEE10hipError_tPvRmT1_PNSt15iterator_traitsISY_E10value_typeET2_T3_PNSZ_IS14_E10value_typeET4_jRbjT5_S1A_jjP12ihipStream_tbEUljE_EEESV_SW_SX_S14_S18_S1A_T6_T7_T9_mT8_S1C_bDpT10_ENKUlT_T0_E_clISt17integral_constantIbLb1EES1O_IbLb0EEEEDaS1K_S1L_EUlS1K_E_NS1_11comp_targetILNS1_3genE3ELNS1_11target_archE908ELNS1_3gpuE7ELNS1_3repE0EEENS1_30default_config_static_selectorELNS0_4arch9wavefront6targetE0EEEvSY_
		.amdhsa_group_segment_fixed_size 0
		.amdhsa_private_segment_fixed_size 0
		.amdhsa_kernarg_size 144
		.amdhsa_user_sgpr_count 15
		.amdhsa_user_sgpr_dispatch_ptr 0
		.amdhsa_user_sgpr_queue_ptr 0
		.amdhsa_user_sgpr_kernarg_segment_ptr 1
		.amdhsa_user_sgpr_dispatch_id 0
		.amdhsa_user_sgpr_private_segment_size 0
		.amdhsa_wavefront_size32 1
		.amdhsa_uses_dynamic_stack 0
		.amdhsa_enable_private_segment 0
		.amdhsa_system_sgpr_workgroup_id_x 1
		.amdhsa_system_sgpr_workgroup_id_y 0
		.amdhsa_system_sgpr_workgroup_id_z 0
		.amdhsa_system_sgpr_workgroup_info 0
		.amdhsa_system_vgpr_workitem_id 0
		.amdhsa_next_free_vgpr 1
		.amdhsa_next_free_sgpr 1
		.amdhsa_reserve_vcc 0
		.amdhsa_float_round_mode_32 0
		.amdhsa_float_round_mode_16_64 0
		.amdhsa_float_denorm_mode_32 3
		.amdhsa_float_denorm_mode_16_64 3
		.amdhsa_dx10_clamp 1
		.amdhsa_ieee_mode 1
		.amdhsa_fp16_overflow 0
		.amdhsa_workgroup_processor_mode 1
		.amdhsa_memory_ordered 1
		.amdhsa_forward_progress 0
		.amdhsa_shared_vgpr_count 0
		.amdhsa_exception_fp_ieee_invalid_op 0
		.amdhsa_exception_fp_denorm_src 0
		.amdhsa_exception_fp_ieee_div_zero 0
		.amdhsa_exception_fp_ieee_overflow 0
		.amdhsa_exception_fp_ieee_underflow 0
		.amdhsa_exception_fp_ieee_inexact 0
		.amdhsa_exception_int_div_zero 0
	.end_amdhsa_kernel
	.section	.text._ZN7rocprim17ROCPRIM_400000_NS6detail17trampoline_kernelINS0_13select_configILj256ELj13ELNS0_17block_load_methodE3ELS4_3ELS4_3ELNS0_20block_scan_algorithmE0ELj4294967295EEENS1_25partition_config_selectorILNS1_17partition_subalgoE3EjNS0_10empty_typeEbEEZZNS1_14partition_implILS8_3ELb0ES6_jNS0_17counting_iteratorIjlEEPS9_SE_NS0_5tupleIJPjSE_EEENSF_IJSE_SE_EEES9_SG_JZNS1_25segmented_radix_sort_implINS0_14default_configELb1EPKaPaPKlPlN2at6native12_GLOBAL__N_18offset_tEEE10hipError_tPvRmT1_PNSt15iterator_traitsISY_E10value_typeET2_T3_PNSZ_IS14_E10value_typeET4_jRbjT5_S1A_jjP12ihipStream_tbEUljE_EEESV_SW_SX_S14_S18_S1A_T6_T7_T9_mT8_S1C_bDpT10_ENKUlT_T0_E_clISt17integral_constantIbLb1EES1O_IbLb0EEEEDaS1K_S1L_EUlS1K_E_NS1_11comp_targetILNS1_3genE3ELNS1_11target_archE908ELNS1_3gpuE7ELNS1_3repE0EEENS1_30default_config_static_selectorELNS0_4arch9wavefront6targetE0EEEvSY_,"axG",@progbits,_ZN7rocprim17ROCPRIM_400000_NS6detail17trampoline_kernelINS0_13select_configILj256ELj13ELNS0_17block_load_methodE3ELS4_3ELS4_3ELNS0_20block_scan_algorithmE0ELj4294967295EEENS1_25partition_config_selectorILNS1_17partition_subalgoE3EjNS0_10empty_typeEbEEZZNS1_14partition_implILS8_3ELb0ES6_jNS0_17counting_iteratorIjlEEPS9_SE_NS0_5tupleIJPjSE_EEENSF_IJSE_SE_EEES9_SG_JZNS1_25segmented_radix_sort_implINS0_14default_configELb1EPKaPaPKlPlN2at6native12_GLOBAL__N_18offset_tEEE10hipError_tPvRmT1_PNSt15iterator_traitsISY_E10value_typeET2_T3_PNSZ_IS14_E10value_typeET4_jRbjT5_S1A_jjP12ihipStream_tbEUljE_EEESV_SW_SX_S14_S18_S1A_T6_T7_T9_mT8_S1C_bDpT10_ENKUlT_T0_E_clISt17integral_constantIbLb1EES1O_IbLb0EEEEDaS1K_S1L_EUlS1K_E_NS1_11comp_targetILNS1_3genE3ELNS1_11target_archE908ELNS1_3gpuE7ELNS1_3repE0EEENS1_30default_config_static_selectorELNS0_4arch9wavefront6targetE0EEEvSY_,comdat
.Lfunc_end277:
	.size	_ZN7rocprim17ROCPRIM_400000_NS6detail17trampoline_kernelINS0_13select_configILj256ELj13ELNS0_17block_load_methodE3ELS4_3ELS4_3ELNS0_20block_scan_algorithmE0ELj4294967295EEENS1_25partition_config_selectorILNS1_17partition_subalgoE3EjNS0_10empty_typeEbEEZZNS1_14partition_implILS8_3ELb0ES6_jNS0_17counting_iteratorIjlEEPS9_SE_NS0_5tupleIJPjSE_EEENSF_IJSE_SE_EEES9_SG_JZNS1_25segmented_radix_sort_implINS0_14default_configELb1EPKaPaPKlPlN2at6native12_GLOBAL__N_18offset_tEEE10hipError_tPvRmT1_PNSt15iterator_traitsISY_E10value_typeET2_T3_PNSZ_IS14_E10value_typeET4_jRbjT5_S1A_jjP12ihipStream_tbEUljE_EEESV_SW_SX_S14_S18_S1A_T6_T7_T9_mT8_S1C_bDpT10_ENKUlT_T0_E_clISt17integral_constantIbLb1EES1O_IbLb0EEEEDaS1K_S1L_EUlS1K_E_NS1_11comp_targetILNS1_3genE3ELNS1_11target_archE908ELNS1_3gpuE7ELNS1_3repE0EEENS1_30default_config_static_selectorELNS0_4arch9wavefront6targetE0EEEvSY_, .Lfunc_end277-_ZN7rocprim17ROCPRIM_400000_NS6detail17trampoline_kernelINS0_13select_configILj256ELj13ELNS0_17block_load_methodE3ELS4_3ELS4_3ELNS0_20block_scan_algorithmE0ELj4294967295EEENS1_25partition_config_selectorILNS1_17partition_subalgoE3EjNS0_10empty_typeEbEEZZNS1_14partition_implILS8_3ELb0ES6_jNS0_17counting_iteratorIjlEEPS9_SE_NS0_5tupleIJPjSE_EEENSF_IJSE_SE_EEES9_SG_JZNS1_25segmented_radix_sort_implINS0_14default_configELb1EPKaPaPKlPlN2at6native12_GLOBAL__N_18offset_tEEE10hipError_tPvRmT1_PNSt15iterator_traitsISY_E10value_typeET2_T3_PNSZ_IS14_E10value_typeET4_jRbjT5_S1A_jjP12ihipStream_tbEUljE_EEESV_SW_SX_S14_S18_S1A_T6_T7_T9_mT8_S1C_bDpT10_ENKUlT_T0_E_clISt17integral_constantIbLb1EES1O_IbLb0EEEEDaS1K_S1L_EUlS1K_E_NS1_11comp_targetILNS1_3genE3ELNS1_11target_archE908ELNS1_3gpuE7ELNS1_3repE0EEENS1_30default_config_static_selectorELNS0_4arch9wavefront6targetE0EEEvSY_
                                        ; -- End function
	.section	.AMDGPU.csdata,"",@progbits
; Kernel info:
; codeLenInByte = 0
; NumSgprs: 0
; NumVgprs: 0
; ScratchSize: 0
; MemoryBound: 0
; FloatMode: 240
; IeeeMode: 1
; LDSByteSize: 0 bytes/workgroup (compile time only)
; SGPRBlocks: 0
; VGPRBlocks: 0
; NumSGPRsForWavesPerEU: 1
; NumVGPRsForWavesPerEU: 1
; Occupancy: 16
; WaveLimiterHint : 0
; COMPUTE_PGM_RSRC2:SCRATCH_EN: 0
; COMPUTE_PGM_RSRC2:USER_SGPR: 15
; COMPUTE_PGM_RSRC2:TRAP_HANDLER: 0
; COMPUTE_PGM_RSRC2:TGID_X_EN: 1
; COMPUTE_PGM_RSRC2:TGID_Y_EN: 0
; COMPUTE_PGM_RSRC2:TGID_Z_EN: 0
; COMPUTE_PGM_RSRC2:TIDIG_COMP_CNT: 0
	.section	.text._ZN7rocprim17ROCPRIM_400000_NS6detail17trampoline_kernelINS0_13select_configILj256ELj13ELNS0_17block_load_methodE3ELS4_3ELS4_3ELNS0_20block_scan_algorithmE0ELj4294967295EEENS1_25partition_config_selectorILNS1_17partition_subalgoE3EjNS0_10empty_typeEbEEZZNS1_14partition_implILS8_3ELb0ES6_jNS0_17counting_iteratorIjlEEPS9_SE_NS0_5tupleIJPjSE_EEENSF_IJSE_SE_EEES9_SG_JZNS1_25segmented_radix_sort_implINS0_14default_configELb1EPKaPaPKlPlN2at6native12_GLOBAL__N_18offset_tEEE10hipError_tPvRmT1_PNSt15iterator_traitsISY_E10value_typeET2_T3_PNSZ_IS14_E10value_typeET4_jRbjT5_S1A_jjP12ihipStream_tbEUljE_EEESV_SW_SX_S14_S18_S1A_T6_T7_T9_mT8_S1C_bDpT10_ENKUlT_T0_E_clISt17integral_constantIbLb1EES1O_IbLb0EEEEDaS1K_S1L_EUlS1K_E_NS1_11comp_targetILNS1_3genE2ELNS1_11target_archE906ELNS1_3gpuE6ELNS1_3repE0EEENS1_30default_config_static_selectorELNS0_4arch9wavefront6targetE0EEEvSY_,"axG",@progbits,_ZN7rocprim17ROCPRIM_400000_NS6detail17trampoline_kernelINS0_13select_configILj256ELj13ELNS0_17block_load_methodE3ELS4_3ELS4_3ELNS0_20block_scan_algorithmE0ELj4294967295EEENS1_25partition_config_selectorILNS1_17partition_subalgoE3EjNS0_10empty_typeEbEEZZNS1_14partition_implILS8_3ELb0ES6_jNS0_17counting_iteratorIjlEEPS9_SE_NS0_5tupleIJPjSE_EEENSF_IJSE_SE_EEES9_SG_JZNS1_25segmented_radix_sort_implINS0_14default_configELb1EPKaPaPKlPlN2at6native12_GLOBAL__N_18offset_tEEE10hipError_tPvRmT1_PNSt15iterator_traitsISY_E10value_typeET2_T3_PNSZ_IS14_E10value_typeET4_jRbjT5_S1A_jjP12ihipStream_tbEUljE_EEESV_SW_SX_S14_S18_S1A_T6_T7_T9_mT8_S1C_bDpT10_ENKUlT_T0_E_clISt17integral_constantIbLb1EES1O_IbLb0EEEEDaS1K_S1L_EUlS1K_E_NS1_11comp_targetILNS1_3genE2ELNS1_11target_archE906ELNS1_3gpuE6ELNS1_3repE0EEENS1_30default_config_static_selectorELNS0_4arch9wavefront6targetE0EEEvSY_,comdat
	.globl	_ZN7rocprim17ROCPRIM_400000_NS6detail17trampoline_kernelINS0_13select_configILj256ELj13ELNS0_17block_load_methodE3ELS4_3ELS4_3ELNS0_20block_scan_algorithmE0ELj4294967295EEENS1_25partition_config_selectorILNS1_17partition_subalgoE3EjNS0_10empty_typeEbEEZZNS1_14partition_implILS8_3ELb0ES6_jNS0_17counting_iteratorIjlEEPS9_SE_NS0_5tupleIJPjSE_EEENSF_IJSE_SE_EEES9_SG_JZNS1_25segmented_radix_sort_implINS0_14default_configELb1EPKaPaPKlPlN2at6native12_GLOBAL__N_18offset_tEEE10hipError_tPvRmT1_PNSt15iterator_traitsISY_E10value_typeET2_T3_PNSZ_IS14_E10value_typeET4_jRbjT5_S1A_jjP12ihipStream_tbEUljE_EEESV_SW_SX_S14_S18_S1A_T6_T7_T9_mT8_S1C_bDpT10_ENKUlT_T0_E_clISt17integral_constantIbLb1EES1O_IbLb0EEEEDaS1K_S1L_EUlS1K_E_NS1_11comp_targetILNS1_3genE2ELNS1_11target_archE906ELNS1_3gpuE6ELNS1_3repE0EEENS1_30default_config_static_selectorELNS0_4arch9wavefront6targetE0EEEvSY_ ; -- Begin function _ZN7rocprim17ROCPRIM_400000_NS6detail17trampoline_kernelINS0_13select_configILj256ELj13ELNS0_17block_load_methodE3ELS4_3ELS4_3ELNS0_20block_scan_algorithmE0ELj4294967295EEENS1_25partition_config_selectorILNS1_17partition_subalgoE3EjNS0_10empty_typeEbEEZZNS1_14partition_implILS8_3ELb0ES6_jNS0_17counting_iteratorIjlEEPS9_SE_NS0_5tupleIJPjSE_EEENSF_IJSE_SE_EEES9_SG_JZNS1_25segmented_radix_sort_implINS0_14default_configELb1EPKaPaPKlPlN2at6native12_GLOBAL__N_18offset_tEEE10hipError_tPvRmT1_PNSt15iterator_traitsISY_E10value_typeET2_T3_PNSZ_IS14_E10value_typeET4_jRbjT5_S1A_jjP12ihipStream_tbEUljE_EEESV_SW_SX_S14_S18_S1A_T6_T7_T9_mT8_S1C_bDpT10_ENKUlT_T0_E_clISt17integral_constantIbLb1EES1O_IbLb0EEEEDaS1K_S1L_EUlS1K_E_NS1_11comp_targetILNS1_3genE2ELNS1_11target_archE906ELNS1_3gpuE6ELNS1_3repE0EEENS1_30default_config_static_selectorELNS0_4arch9wavefront6targetE0EEEvSY_
	.p2align	8
	.type	_ZN7rocprim17ROCPRIM_400000_NS6detail17trampoline_kernelINS0_13select_configILj256ELj13ELNS0_17block_load_methodE3ELS4_3ELS4_3ELNS0_20block_scan_algorithmE0ELj4294967295EEENS1_25partition_config_selectorILNS1_17partition_subalgoE3EjNS0_10empty_typeEbEEZZNS1_14partition_implILS8_3ELb0ES6_jNS0_17counting_iteratorIjlEEPS9_SE_NS0_5tupleIJPjSE_EEENSF_IJSE_SE_EEES9_SG_JZNS1_25segmented_radix_sort_implINS0_14default_configELb1EPKaPaPKlPlN2at6native12_GLOBAL__N_18offset_tEEE10hipError_tPvRmT1_PNSt15iterator_traitsISY_E10value_typeET2_T3_PNSZ_IS14_E10value_typeET4_jRbjT5_S1A_jjP12ihipStream_tbEUljE_EEESV_SW_SX_S14_S18_S1A_T6_T7_T9_mT8_S1C_bDpT10_ENKUlT_T0_E_clISt17integral_constantIbLb1EES1O_IbLb0EEEEDaS1K_S1L_EUlS1K_E_NS1_11comp_targetILNS1_3genE2ELNS1_11target_archE906ELNS1_3gpuE6ELNS1_3repE0EEENS1_30default_config_static_selectorELNS0_4arch9wavefront6targetE0EEEvSY_,@function
_ZN7rocprim17ROCPRIM_400000_NS6detail17trampoline_kernelINS0_13select_configILj256ELj13ELNS0_17block_load_methodE3ELS4_3ELS4_3ELNS0_20block_scan_algorithmE0ELj4294967295EEENS1_25partition_config_selectorILNS1_17partition_subalgoE3EjNS0_10empty_typeEbEEZZNS1_14partition_implILS8_3ELb0ES6_jNS0_17counting_iteratorIjlEEPS9_SE_NS0_5tupleIJPjSE_EEENSF_IJSE_SE_EEES9_SG_JZNS1_25segmented_radix_sort_implINS0_14default_configELb1EPKaPaPKlPlN2at6native12_GLOBAL__N_18offset_tEEE10hipError_tPvRmT1_PNSt15iterator_traitsISY_E10value_typeET2_T3_PNSZ_IS14_E10value_typeET4_jRbjT5_S1A_jjP12ihipStream_tbEUljE_EEESV_SW_SX_S14_S18_S1A_T6_T7_T9_mT8_S1C_bDpT10_ENKUlT_T0_E_clISt17integral_constantIbLb1EES1O_IbLb0EEEEDaS1K_S1L_EUlS1K_E_NS1_11comp_targetILNS1_3genE2ELNS1_11target_archE906ELNS1_3gpuE6ELNS1_3repE0EEENS1_30default_config_static_selectorELNS0_4arch9wavefront6targetE0EEEvSY_: ; @_ZN7rocprim17ROCPRIM_400000_NS6detail17trampoline_kernelINS0_13select_configILj256ELj13ELNS0_17block_load_methodE3ELS4_3ELS4_3ELNS0_20block_scan_algorithmE0ELj4294967295EEENS1_25partition_config_selectorILNS1_17partition_subalgoE3EjNS0_10empty_typeEbEEZZNS1_14partition_implILS8_3ELb0ES6_jNS0_17counting_iteratorIjlEEPS9_SE_NS0_5tupleIJPjSE_EEENSF_IJSE_SE_EEES9_SG_JZNS1_25segmented_radix_sort_implINS0_14default_configELb1EPKaPaPKlPlN2at6native12_GLOBAL__N_18offset_tEEE10hipError_tPvRmT1_PNSt15iterator_traitsISY_E10value_typeET2_T3_PNSZ_IS14_E10value_typeET4_jRbjT5_S1A_jjP12ihipStream_tbEUljE_EEESV_SW_SX_S14_S18_S1A_T6_T7_T9_mT8_S1C_bDpT10_ENKUlT_T0_E_clISt17integral_constantIbLb1EES1O_IbLb0EEEEDaS1K_S1L_EUlS1K_E_NS1_11comp_targetILNS1_3genE2ELNS1_11target_archE906ELNS1_3gpuE6ELNS1_3repE0EEENS1_30default_config_static_selectorELNS0_4arch9wavefront6targetE0EEEvSY_
; %bb.0:
	.section	.rodata,"a",@progbits
	.p2align	6, 0x0
	.amdhsa_kernel _ZN7rocprim17ROCPRIM_400000_NS6detail17trampoline_kernelINS0_13select_configILj256ELj13ELNS0_17block_load_methodE3ELS4_3ELS4_3ELNS0_20block_scan_algorithmE0ELj4294967295EEENS1_25partition_config_selectorILNS1_17partition_subalgoE3EjNS0_10empty_typeEbEEZZNS1_14partition_implILS8_3ELb0ES6_jNS0_17counting_iteratorIjlEEPS9_SE_NS0_5tupleIJPjSE_EEENSF_IJSE_SE_EEES9_SG_JZNS1_25segmented_radix_sort_implINS0_14default_configELb1EPKaPaPKlPlN2at6native12_GLOBAL__N_18offset_tEEE10hipError_tPvRmT1_PNSt15iterator_traitsISY_E10value_typeET2_T3_PNSZ_IS14_E10value_typeET4_jRbjT5_S1A_jjP12ihipStream_tbEUljE_EEESV_SW_SX_S14_S18_S1A_T6_T7_T9_mT8_S1C_bDpT10_ENKUlT_T0_E_clISt17integral_constantIbLb1EES1O_IbLb0EEEEDaS1K_S1L_EUlS1K_E_NS1_11comp_targetILNS1_3genE2ELNS1_11target_archE906ELNS1_3gpuE6ELNS1_3repE0EEENS1_30default_config_static_selectorELNS0_4arch9wavefront6targetE0EEEvSY_
		.amdhsa_group_segment_fixed_size 0
		.amdhsa_private_segment_fixed_size 0
		.amdhsa_kernarg_size 144
		.amdhsa_user_sgpr_count 15
		.amdhsa_user_sgpr_dispatch_ptr 0
		.amdhsa_user_sgpr_queue_ptr 0
		.amdhsa_user_sgpr_kernarg_segment_ptr 1
		.amdhsa_user_sgpr_dispatch_id 0
		.amdhsa_user_sgpr_private_segment_size 0
		.amdhsa_wavefront_size32 1
		.amdhsa_uses_dynamic_stack 0
		.amdhsa_enable_private_segment 0
		.amdhsa_system_sgpr_workgroup_id_x 1
		.amdhsa_system_sgpr_workgroup_id_y 0
		.amdhsa_system_sgpr_workgroup_id_z 0
		.amdhsa_system_sgpr_workgroup_info 0
		.amdhsa_system_vgpr_workitem_id 0
		.amdhsa_next_free_vgpr 1
		.amdhsa_next_free_sgpr 1
		.amdhsa_reserve_vcc 0
		.amdhsa_float_round_mode_32 0
		.amdhsa_float_round_mode_16_64 0
		.amdhsa_float_denorm_mode_32 3
		.amdhsa_float_denorm_mode_16_64 3
		.amdhsa_dx10_clamp 1
		.amdhsa_ieee_mode 1
		.amdhsa_fp16_overflow 0
		.amdhsa_workgroup_processor_mode 1
		.amdhsa_memory_ordered 1
		.amdhsa_forward_progress 0
		.amdhsa_shared_vgpr_count 0
		.amdhsa_exception_fp_ieee_invalid_op 0
		.amdhsa_exception_fp_denorm_src 0
		.amdhsa_exception_fp_ieee_div_zero 0
		.amdhsa_exception_fp_ieee_overflow 0
		.amdhsa_exception_fp_ieee_underflow 0
		.amdhsa_exception_fp_ieee_inexact 0
		.amdhsa_exception_int_div_zero 0
	.end_amdhsa_kernel
	.section	.text._ZN7rocprim17ROCPRIM_400000_NS6detail17trampoline_kernelINS0_13select_configILj256ELj13ELNS0_17block_load_methodE3ELS4_3ELS4_3ELNS0_20block_scan_algorithmE0ELj4294967295EEENS1_25partition_config_selectorILNS1_17partition_subalgoE3EjNS0_10empty_typeEbEEZZNS1_14partition_implILS8_3ELb0ES6_jNS0_17counting_iteratorIjlEEPS9_SE_NS0_5tupleIJPjSE_EEENSF_IJSE_SE_EEES9_SG_JZNS1_25segmented_radix_sort_implINS0_14default_configELb1EPKaPaPKlPlN2at6native12_GLOBAL__N_18offset_tEEE10hipError_tPvRmT1_PNSt15iterator_traitsISY_E10value_typeET2_T3_PNSZ_IS14_E10value_typeET4_jRbjT5_S1A_jjP12ihipStream_tbEUljE_EEESV_SW_SX_S14_S18_S1A_T6_T7_T9_mT8_S1C_bDpT10_ENKUlT_T0_E_clISt17integral_constantIbLb1EES1O_IbLb0EEEEDaS1K_S1L_EUlS1K_E_NS1_11comp_targetILNS1_3genE2ELNS1_11target_archE906ELNS1_3gpuE6ELNS1_3repE0EEENS1_30default_config_static_selectorELNS0_4arch9wavefront6targetE0EEEvSY_,"axG",@progbits,_ZN7rocprim17ROCPRIM_400000_NS6detail17trampoline_kernelINS0_13select_configILj256ELj13ELNS0_17block_load_methodE3ELS4_3ELS4_3ELNS0_20block_scan_algorithmE0ELj4294967295EEENS1_25partition_config_selectorILNS1_17partition_subalgoE3EjNS0_10empty_typeEbEEZZNS1_14partition_implILS8_3ELb0ES6_jNS0_17counting_iteratorIjlEEPS9_SE_NS0_5tupleIJPjSE_EEENSF_IJSE_SE_EEES9_SG_JZNS1_25segmented_radix_sort_implINS0_14default_configELb1EPKaPaPKlPlN2at6native12_GLOBAL__N_18offset_tEEE10hipError_tPvRmT1_PNSt15iterator_traitsISY_E10value_typeET2_T3_PNSZ_IS14_E10value_typeET4_jRbjT5_S1A_jjP12ihipStream_tbEUljE_EEESV_SW_SX_S14_S18_S1A_T6_T7_T9_mT8_S1C_bDpT10_ENKUlT_T0_E_clISt17integral_constantIbLb1EES1O_IbLb0EEEEDaS1K_S1L_EUlS1K_E_NS1_11comp_targetILNS1_3genE2ELNS1_11target_archE906ELNS1_3gpuE6ELNS1_3repE0EEENS1_30default_config_static_selectorELNS0_4arch9wavefront6targetE0EEEvSY_,comdat
.Lfunc_end278:
	.size	_ZN7rocprim17ROCPRIM_400000_NS6detail17trampoline_kernelINS0_13select_configILj256ELj13ELNS0_17block_load_methodE3ELS4_3ELS4_3ELNS0_20block_scan_algorithmE0ELj4294967295EEENS1_25partition_config_selectorILNS1_17partition_subalgoE3EjNS0_10empty_typeEbEEZZNS1_14partition_implILS8_3ELb0ES6_jNS0_17counting_iteratorIjlEEPS9_SE_NS0_5tupleIJPjSE_EEENSF_IJSE_SE_EEES9_SG_JZNS1_25segmented_radix_sort_implINS0_14default_configELb1EPKaPaPKlPlN2at6native12_GLOBAL__N_18offset_tEEE10hipError_tPvRmT1_PNSt15iterator_traitsISY_E10value_typeET2_T3_PNSZ_IS14_E10value_typeET4_jRbjT5_S1A_jjP12ihipStream_tbEUljE_EEESV_SW_SX_S14_S18_S1A_T6_T7_T9_mT8_S1C_bDpT10_ENKUlT_T0_E_clISt17integral_constantIbLb1EES1O_IbLb0EEEEDaS1K_S1L_EUlS1K_E_NS1_11comp_targetILNS1_3genE2ELNS1_11target_archE906ELNS1_3gpuE6ELNS1_3repE0EEENS1_30default_config_static_selectorELNS0_4arch9wavefront6targetE0EEEvSY_, .Lfunc_end278-_ZN7rocprim17ROCPRIM_400000_NS6detail17trampoline_kernelINS0_13select_configILj256ELj13ELNS0_17block_load_methodE3ELS4_3ELS4_3ELNS0_20block_scan_algorithmE0ELj4294967295EEENS1_25partition_config_selectorILNS1_17partition_subalgoE3EjNS0_10empty_typeEbEEZZNS1_14partition_implILS8_3ELb0ES6_jNS0_17counting_iteratorIjlEEPS9_SE_NS0_5tupleIJPjSE_EEENSF_IJSE_SE_EEES9_SG_JZNS1_25segmented_radix_sort_implINS0_14default_configELb1EPKaPaPKlPlN2at6native12_GLOBAL__N_18offset_tEEE10hipError_tPvRmT1_PNSt15iterator_traitsISY_E10value_typeET2_T3_PNSZ_IS14_E10value_typeET4_jRbjT5_S1A_jjP12ihipStream_tbEUljE_EEESV_SW_SX_S14_S18_S1A_T6_T7_T9_mT8_S1C_bDpT10_ENKUlT_T0_E_clISt17integral_constantIbLb1EES1O_IbLb0EEEEDaS1K_S1L_EUlS1K_E_NS1_11comp_targetILNS1_3genE2ELNS1_11target_archE906ELNS1_3gpuE6ELNS1_3repE0EEENS1_30default_config_static_selectorELNS0_4arch9wavefront6targetE0EEEvSY_
                                        ; -- End function
	.section	.AMDGPU.csdata,"",@progbits
; Kernel info:
; codeLenInByte = 0
; NumSgprs: 0
; NumVgprs: 0
; ScratchSize: 0
; MemoryBound: 0
; FloatMode: 240
; IeeeMode: 1
; LDSByteSize: 0 bytes/workgroup (compile time only)
; SGPRBlocks: 0
; VGPRBlocks: 0
; NumSGPRsForWavesPerEU: 1
; NumVGPRsForWavesPerEU: 1
; Occupancy: 16
; WaveLimiterHint : 0
; COMPUTE_PGM_RSRC2:SCRATCH_EN: 0
; COMPUTE_PGM_RSRC2:USER_SGPR: 15
; COMPUTE_PGM_RSRC2:TRAP_HANDLER: 0
; COMPUTE_PGM_RSRC2:TGID_X_EN: 1
; COMPUTE_PGM_RSRC2:TGID_Y_EN: 0
; COMPUTE_PGM_RSRC2:TGID_Z_EN: 0
; COMPUTE_PGM_RSRC2:TIDIG_COMP_CNT: 0
	.section	.text._ZN7rocprim17ROCPRIM_400000_NS6detail17trampoline_kernelINS0_13select_configILj256ELj13ELNS0_17block_load_methodE3ELS4_3ELS4_3ELNS0_20block_scan_algorithmE0ELj4294967295EEENS1_25partition_config_selectorILNS1_17partition_subalgoE3EjNS0_10empty_typeEbEEZZNS1_14partition_implILS8_3ELb0ES6_jNS0_17counting_iteratorIjlEEPS9_SE_NS0_5tupleIJPjSE_EEENSF_IJSE_SE_EEES9_SG_JZNS1_25segmented_radix_sort_implINS0_14default_configELb1EPKaPaPKlPlN2at6native12_GLOBAL__N_18offset_tEEE10hipError_tPvRmT1_PNSt15iterator_traitsISY_E10value_typeET2_T3_PNSZ_IS14_E10value_typeET4_jRbjT5_S1A_jjP12ihipStream_tbEUljE_EEESV_SW_SX_S14_S18_S1A_T6_T7_T9_mT8_S1C_bDpT10_ENKUlT_T0_E_clISt17integral_constantIbLb1EES1O_IbLb0EEEEDaS1K_S1L_EUlS1K_E_NS1_11comp_targetILNS1_3genE10ELNS1_11target_archE1200ELNS1_3gpuE4ELNS1_3repE0EEENS1_30default_config_static_selectorELNS0_4arch9wavefront6targetE0EEEvSY_,"axG",@progbits,_ZN7rocprim17ROCPRIM_400000_NS6detail17trampoline_kernelINS0_13select_configILj256ELj13ELNS0_17block_load_methodE3ELS4_3ELS4_3ELNS0_20block_scan_algorithmE0ELj4294967295EEENS1_25partition_config_selectorILNS1_17partition_subalgoE3EjNS0_10empty_typeEbEEZZNS1_14partition_implILS8_3ELb0ES6_jNS0_17counting_iteratorIjlEEPS9_SE_NS0_5tupleIJPjSE_EEENSF_IJSE_SE_EEES9_SG_JZNS1_25segmented_radix_sort_implINS0_14default_configELb1EPKaPaPKlPlN2at6native12_GLOBAL__N_18offset_tEEE10hipError_tPvRmT1_PNSt15iterator_traitsISY_E10value_typeET2_T3_PNSZ_IS14_E10value_typeET4_jRbjT5_S1A_jjP12ihipStream_tbEUljE_EEESV_SW_SX_S14_S18_S1A_T6_T7_T9_mT8_S1C_bDpT10_ENKUlT_T0_E_clISt17integral_constantIbLb1EES1O_IbLb0EEEEDaS1K_S1L_EUlS1K_E_NS1_11comp_targetILNS1_3genE10ELNS1_11target_archE1200ELNS1_3gpuE4ELNS1_3repE0EEENS1_30default_config_static_selectorELNS0_4arch9wavefront6targetE0EEEvSY_,comdat
	.globl	_ZN7rocprim17ROCPRIM_400000_NS6detail17trampoline_kernelINS0_13select_configILj256ELj13ELNS0_17block_load_methodE3ELS4_3ELS4_3ELNS0_20block_scan_algorithmE0ELj4294967295EEENS1_25partition_config_selectorILNS1_17partition_subalgoE3EjNS0_10empty_typeEbEEZZNS1_14partition_implILS8_3ELb0ES6_jNS0_17counting_iteratorIjlEEPS9_SE_NS0_5tupleIJPjSE_EEENSF_IJSE_SE_EEES9_SG_JZNS1_25segmented_radix_sort_implINS0_14default_configELb1EPKaPaPKlPlN2at6native12_GLOBAL__N_18offset_tEEE10hipError_tPvRmT1_PNSt15iterator_traitsISY_E10value_typeET2_T3_PNSZ_IS14_E10value_typeET4_jRbjT5_S1A_jjP12ihipStream_tbEUljE_EEESV_SW_SX_S14_S18_S1A_T6_T7_T9_mT8_S1C_bDpT10_ENKUlT_T0_E_clISt17integral_constantIbLb1EES1O_IbLb0EEEEDaS1K_S1L_EUlS1K_E_NS1_11comp_targetILNS1_3genE10ELNS1_11target_archE1200ELNS1_3gpuE4ELNS1_3repE0EEENS1_30default_config_static_selectorELNS0_4arch9wavefront6targetE0EEEvSY_ ; -- Begin function _ZN7rocprim17ROCPRIM_400000_NS6detail17trampoline_kernelINS0_13select_configILj256ELj13ELNS0_17block_load_methodE3ELS4_3ELS4_3ELNS0_20block_scan_algorithmE0ELj4294967295EEENS1_25partition_config_selectorILNS1_17partition_subalgoE3EjNS0_10empty_typeEbEEZZNS1_14partition_implILS8_3ELb0ES6_jNS0_17counting_iteratorIjlEEPS9_SE_NS0_5tupleIJPjSE_EEENSF_IJSE_SE_EEES9_SG_JZNS1_25segmented_radix_sort_implINS0_14default_configELb1EPKaPaPKlPlN2at6native12_GLOBAL__N_18offset_tEEE10hipError_tPvRmT1_PNSt15iterator_traitsISY_E10value_typeET2_T3_PNSZ_IS14_E10value_typeET4_jRbjT5_S1A_jjP12ihipStream_tbEUljE_EEESV_SW_SX_S14_S18_S1A_T6_T7_T9_mT8_S1C_bDpT10_ENKUlT_T0_E_clISt17integral_constantIbLb1EES1O_IbLb0EEEEDaS1K_S1L_EUlS1K_E_NS1_11comp_targetILNS1_3genE10ELNS1_11target_archE1200ELNS1_3gpuE4ELNS1_3repE0EEENS1_30default_config_static_selectorELNS0_4arch9wavefront6targetE0EEEvSY_
	.p2align	8
	.type	_ZN7rocprim17ROCPRIM_400000_NS6detail17trampoline_kernelINS0_13select_configILj256ELj13ELNS0_17block_load_methodE3ELS4_3ELS4_3ELNS0_20block_scan_algorithmE0ELj4294967295EEENS1_25partition_config_selectorILNS1_17partition_subalgoE3EjNS0_10empty_typeEbEEZZNS1_14partition_implILS8_3ELb0ES6_jNS0_17counting_iteratorIjlEEPS9_SE_NS0_5tupleIJPjSE_EEENSF_IJSE_SE_EEES9_SG_JZNS1_25segmented_radix_sort_implINS0_14default_configELb1EPKaPaPKlPlN2at6native12_GLOBAL__N_18offset_tEEE10hipError_tPvRmT1_PNSt15iterator_traitsISY_E10value_typeET2_T3_PNSZ_IS14_E10value_typeET4_jRbjT5_S1A_jjP12ihipStream_tbEUljE_EEESV_SW_SX_S14_S18_S1A_T6_T7_T9_mT8_S1C_bDpT10_ENKUlT_T0_E_clISt17integral_constantIbLb1EES1O_IbLb0EEEEDaS1K_S1L_EUlS1K_E_NS1_11comp_targetILNS1_3genE10ELNS1_11target_archE1200ELNS1_3gpuE4ELNS1_3repE0EEENS1_30default_config_static_selectorELNS0_4arch9wavefront6targetE0EEEvSY_,@function
_ZN7rocprim17ROCPRIM_400000_NS6detail17trampoline_kernelINS0_13select_configILj256ELj13ELNS0_17block_load_methodE3ELS4_3ELS4_3ELNS0_20block_scan_algorithmE0ELj4294967295EEENS1_25partition_config_selectorILNS1_17partition_subalgoE3EjNS0_10empty_typeEbEEZZNS1_14partition_implILS8_3ELb0ES6_jNS0_17counting_iteratorIjlEEPS9_SE_NS0_5tupleIJPjSE_EEENSF_IJSE_SE_EEES9_SG_JZNS1_25segmented_radix_sort_implINS0_14default_configELb1EPKaPaPKlPlN2at6native12_GLOBAL__N_18offset_tEEE10hipError_tPvRmT1_PNSt15iterator_traitsISY_E10value_typeET2_T3_PNSZ_IS14_E10value_typeET4_jRbjT5_S1A_jjP12ihipStream_tbEUljE_EEESV_SW_SX_S14_S18_S1A_T6_T7_T9_mT8_S1C_bDpT10_ENKUlT_T0_E_clISt17integral_constantIbLb1EES1O_IbLb0EEEEDaS1K_S1L_EUlS1K_E_NS1_11comp_targetILNS1_3genE10ELNS1_11target_archE1200ELNS1_3gpuE4ELNS1_3repE0EEENS1_30default_config_static_selectorELNS0_4arch9wavefront6targetE0EEEvSY_: ; @_ZN7rocprim17ROCPRIM_400000_NS6detail17trampoline_kernelINS0_13select_configILj256ELj13ELNS0_17block_load_methodE3ELS4_3ELS4_3ELNS0_20block_scan_algorithmE0ELj4294967295EEENS1_25partition_config_selectorILNS1_17partition_subalgoE3EjNS0_10empty_typeEbEEZZNS1_14partition_implILS8_3ELb0ES6_jNS0_17counting_iteratorIjlEEPS9_SE_NS0_5tupleIJPjSE_EEENSF_IJSE_SE_EEES9_SG_JZNS1_25segmented_radix_sort_implINS0_14default_configELb1EPKaPaPKlPlN2at6native12_GLOBAL__N_18offset_tEEE10hipError_tPvRmT1_PNSt15iterator_traitsISY_E10value_typeET2_T3_PNSZ_IS14_E10value_typeET4_jRbjT5_S1A_jjP12ihipStream_tbEUljE_EEESV_SW_SX_S14_S18_S1A_T6_T7_T9_mT8_S1C_bDpT10_ENKUlT_T0_E_clISt17integral_constantIbLb1EES1O_IbLb0EEEEDaS1K_S1L_EUlS1K_E_NS1_11comp_targetILNS1_3genE10ELNS1_11target_archE1200ELNS1_3gpuE4ELNS1_3repE0EEENS1_30default_config_static_selectorELNS0_4arch9wavefront6targetE0EEEvSY_
; %bb.0:
	.section	.rodata,"a",@progbits
	.p2align	6, 0x0
	.amdhsa_kernel _ZN7rocprim17ROCPRIM_400000_NS6detail17trampoline_kernelINS0_13select_configILj256ELj13ELNS0_17block_load_methodE3ELS4_3ELS4_3ELNS0_20block_scan_algorithmE0ELj4294967295EEENS1_25partition_config_selectorILNS1_17partition_subalgoE3EjNS0_10empty_typeEbEEZZNS1_14partition_implILS8_3ELb0ES6_jNS0_17counting_iteratorIjlEEPS9_SE_NS0_5tupleIJPjSE_EEENSF_IJSE_SE_EEES9_SG_JZNS1_25segmented_radix_sort_implINS0_14default_configELb1EPKaPaPKlPlN2at6native12_GLOBAL__N_18offset_tEEE10hipError_tPvRmT1_PNSt15iterator_traitsISY_E10value_typeET2_T3_PNSZ_IS14_E10value_typeET4_jRbjT5_S1A_jjP12ihipStream_tbEUljE_EEESV_SW_SX_S14_S18_S1A_T6_T7_T9_mT8_S1C_bDpT10_ENKUlT_T0_E_clISt17integral_constantIbLb1EES1O_IbLb0EEEEDaS1K_S1L_EUlS1K_E_NS1_11comp_targetILNS1_3genE10ELNS1_11target_archE1200ELNS1_3gpuE4ELNS1_3repE0EEENS1_30default_config_static_selectorELNS0_4arch9wavefront6targetE0EEEvSY_
		.amdhsa_group_segment_fixed_size 0
		.amdhsa_private_segment_fixed_size 0
		.amdhsa_kernarg_size 144
		.amdhsa_user_sgpr_count 15
		.amdhsa_user_sgpr_dispatch_ptr 0
		.amdhsa_user_sgpr_queue_ptr 0
		.amdhsa_user_sgpr_kernarg_segment_ptr 1
		.amdhsa_user_sgpr_dispatch_id 0
		.amdhsa_user_sgpr_private_segment_size 0
		.amdhsa_wavefront_size32 1
		.amdhsa_uses_dynamic_stack 0
		.amdhsa_enable_private_segment 0
		.amdhsa_system_sgpr_workgroup_id_x 1
		.amdhsa_system_sgpr_workgroup_id_y 0
		.amdhsa_system_sgpr_workgroup_id_z 0
		.amdhsa_system_sgpr_workgroup_info 0
		.amdhsa_system_vgpr_workitem_id 0
		.amdhsa_next_free_vgpr 1
		.amdhsa_next_free_sgpr 1
		.amdhsa_reserve_vcc 0
		.amdhsa_float_round_mode_32 0
		.amdhsa_float_round_mode_16_64 0
		.amdhsa_float_denorm_mode_32 3
		.amdhsa_float_denorm_mode_16_64 3
		.amdhsa_dx10_clamp 1
		.amdhsa_ieee_mode 1
		.amdhsa_fp16_overflow 0
		.amdhsa_workgroup_processor_mode 1
		.amdhsa_memory_ordered 1
		.amdhsa_forward_progress 0
		.amdhsa_shared_vgpr_count 0
		.amdhsa_exception_fp_ieee_invalid_op 0
		.amdhsa_exception_fp_denorm_src 0
		.amdhsa_exception_fp_ieee_div_zero 0
		.amdhsa_exception_fp_ieee_overflow 0
		.amdhsa_exception_fp_ieee_underflow 0
		.amdhsa_exception_fp_ieee_inexact 0
		.amdhsa_exception_int_div_zero 0
	.end_amdhsa_kernel
	.section	.text._ZN7rocprim17ROCPRIM_400000_NS6detail17trampoline_kernelINS0_13select_configILj256ELj13ELNS0_17block_load_methodE3ELS4_3ELS4_3ELNS0_20block_scan_algorithmE0ELj4294967295EEENS1_25partition_config_selectorILNS1_17partition_subalgoE3EjNS0_10empty_typeEbEEZZNS1_14partition_implILS8_3ELb0ES6_jNS0_17counting_iteratorIjlEEPS9_SE_NS0_5tupleIJPjSE_EEENSF_IJSE_SE_EEES9_SG_JZNS1_25segmented_radix_sort_implINS0_14default_configELb1EPKaPaPKlPlN2at6native12_GLOBAL__N_18offset_tEEE10hipError_tPvRmT1_PNSt15iterator_traitsISY_E10value_typeET2_T3_PNSZ_IS14_E10value_typeET4_jRbjT5_S1A_jjP12ihipStream_tbEUljE_EEESV_SW_SX_S14_S18_S1A_T6_T7_T9_mT8_S1C_bDpT10_ENKUlT_T0_E_clISt17integral_constantIbLb1EES1O_IbLb0EEEEDaS1K_S1L_EUlS1K_E_NS1_11comp_targetILNS1_3genE10ELNS1_11target_archE1200ELNS1_3gpuE4ELNS1_3repE0EEENS1_30default_config_static_selectorELNS0_4arch9wavefront6targetE0EEEvSY_,"axG",@progbits,_ZN7rocprim17ROCPRIM_400000_NS6detail17trampoline_kernelINS0_13select_configILj256ELj13ELNS0_17block_load_methodE3ELS4_3ELS4_3ELNS0_20block_scan_algorithmE0ELj4294967295EEENS1_25partition_config_selectorILNS1_17partition_subalgoE3EjNS0_10empty_typeEbEEZZNS1_14partition_implILS8_3ELb0ES6_jNS0_17counting_iteratorIjlEEPS9_SE_NS0_5tupleIJPjSE_EEENSF_IJSE_SE_EEES9_SG_JZNS1_25segmented_radix_sort_implINS0_14default_configELb1EPKaPaPKlPlN2at6native12_GLOBAL__N_18offset_tEEE10hipError_tPvRmT1_PNSt15iterator_traitsISY_E10value_typeET2_T3_PNSZ_IS14_E10value_typeET4_jRbjT5_S1A_jjP12ihipStream_tbEUljE_EEESV_SW_SX_S14_S18_S1A_T6_T7_T9_mT8_S1C_bDpT10_ENKUlT_T0_E_clISt17integral_constantIbLb1EES1O_IbLb0EEEEDaS1K_S1L_EUlS1K_E_NS1_11comp_targetILNS1_3genE10ELNS1_11target_archE1200ELNS1_3gpuE4ELNS1_3repE0EEENS1_30default_config_static_selectorELNS0_4arch9wavefront6targetE0EEEvSY_,comdat
.Lfunc_end279:
	.size	_ZN7rocprim17ROCPRIM_400000_NS6detail17trampoline_kernelINS0_13select_configILj256ELj13ELNS0_17block_load_methodE3ELS4_3ELS4_3ELNS0_20block_scan_algorithmE0ELj4294967295EEENS1_25partition_config_selectorILNS1_17partition_subalgoE3EjNS0_10empty_typeEbEEZZNS1_14partition_implILS8_3ELb0ES6_jNS0_17counting_iteratorIjlEEPS9_SE_NS0_5tupleIJPjSE_EEENSF_IJSE_SE_EEES9_SG_JZNS1_25segmented_radix_sort_implINS0_14default_configELb1EPKaPaPKlPlN2at6native12_GLOBAL__N_18offset_tEEE10hipError_tPvRmT1_PNSt15iterator_traitsISY_E10value_typeET2_T3_PNSZ_IS14_E10value_typeET4_jRbjT5_S1A_jjP12ihipStream_tbEUljE_EEESV_SW_SX_S14_S18_S1A_T6_T7_T9_mT8_S1C_bDpT10_ENKUlT_T0_E_clISt17integral_constantIbLb1EES1O_IbLb0EEEEDaS1K_S1L_EUlS1K_E_NS1_11comp_targetILNS1_3genE10ELNS1_11target_archE1200ELNS1_3gpuE4ELNS1_3repE0EEENS1_30default_config_static_selectorELNS0_4arch9wavefront6targetE0EEEvSY_, .Lfunc_end279-_ZN7rocprim17ROCPRIM_400000_NS6detail17trampoline_kernelINS0_13select_configILj256ELj13ELNS0_17block_load_methodE3ELS4_3ELS4_3ELNS0_20block_scan_algorithmE0ELj4294967295EEENS1_25partition_config_selectorILNS1_17partition_subalgoE3EjNS0_10empty_typeEbEEZZNS1_14partition_implILS8_3ELb0ES6_jNS0_17counting_iteratorIjlEEPS9_SE_NS0_5tupleIJPjSE_EEENSF_IJSE_SE_EEES9_SG_JZNS1_25segmented_radix_sort_implINS0_14default_configELb1EPKaPaPKlPlN2at6native12_GLOBAL__N_18offset_tEEE10hipError_tPvRmT1_PNSt15iterator_traitsISY_E10value_typeET2_T3_PNSZ_IS14_E10value_typeET4_jRbjT5_S1A_jjP12ihipStream_tbEUljE_EEESV_SW_SX_S14_S18_S1A_T6_T7_T9_mT8_S1C_bDpT10_ENKUlT_T0_E_clISt17integral_constantIbLb1EES1O_IbLb0EEEEDaS1K_S1L_EUlS1K_E_NS1_11comp_targetILNS1_3genE10ELNS1_11target_archE1200ELNS1_3gpuE4ELNS1_3repE0EEENS1_30default_config_static_selectorELNS0_4arch9wavefront6targetE0EEEvSY_
                                        ; -- End function
	.section	.AMDGPU.csdata,"",@progbits
; Kernel info:
; codeLenInByte = 0
; NumSgprs: 0
; NumVgprs: 0
; ScratchSize: 0
; MemoryBound: 0
; FloatMode: 240
; IeeeMode: 1
; LDSByteSize: 0 bytes/workgroup (compile time only)
; SGPRBlocks: 0
; VGPRBlocks: 0
; NumSGPRsForWavesPerEU: 1
; NumVGPRsForWavesPerEU: 1
; Occupancy: 16
; WaveLimiterHint : 0
; COMPUTE_PGM_RSRC2:SCRATCH_EN: 0
; COMPUTE_PGM_RSRC2:USER_SGPR: 15
; COMPUTE_PGM_RSRC2:TRAP_HANDLER: 0
; COMPUTE_PGM_RSRC2:TGID_X_EN: 1
; COMPUTE_PGM_RSRC2:TGID_Y_EN: 0
; COMPUTE_PGM_RSRC2:TGID_Z_EN: 0
; COMPUTE_PGM_RSRC2:TIDIG_COMP_CNT: 0
	.section	.text._ZN7rocprim17ROCPRIM_400000_NS6detail17trampoline_kernelINS0_13select_configILj256ELj13ELNS0_17block_load_methodE3ELS4_3ELS4_3ELNS0_20block_scan_algorithmE0ELj4294967295EEENS1_25partition_config_selectorILNS1_17partition_subalgoE3EjNS0_10empty_typeEbEEZZNS1_14partition_implILS8_3ELb0ES6_jNS0_17counting_iteratorIjlEEPS9_SE_NS0_5tupleIJPjSE_EEENSF_IJSE_SE_EEES9_SG_JZNS1_25segmented_radix_sort_implINS0_14default_configELb1EPKaPaPKlPlN2at6native12_GLOBAL__N_18offset_tEEE10hipError_tPvRmT1_PNSt15iterator_traitsISY_E10value_typeET2_T3_PNSZ_IS14_E10value_typeET4_jRbjT5_S1A_jjP12ihipStream_tbEUljE_EEESV_SW_SX_S14_S18_S1A_T6_T7_T9_mT8_S1C_bDpT10_ENKUlT_T0_E_clISt17integral_constantIbLb1EES1O_IbLb0EEEEDaS1K_S1L_EUlS1K_E_NS1_11comp_targetILNS1_3genE9ELNS1_11target_archE1100ELNS1_3gpuE3ELNS1_3repE0EEENS1_30default_config_static_selectorELNS0_4arch9wavefront6targetE0EEEvSY_,"axG",@progbits,_ZN7rocprim17ROCPRIM_400000_NS6detail17trampoline_kernelINS0_13select_configILj256ELj13ELNS0_17block_load_methodE3ELS4_3ELS4_3ELNS0_20block_scan_algorithmE0ELj4294967295EEENS1_25partition_config_selectorILNS1_17partition_subalgoE3EjNS0_10empty_typeEbEEZZNS1_14partition_implILS8_3ELb0ES6_jNS0_17counting_iteratorIjlEEPS9_SE_NS0_5tupleIJPjSE_EEENSF_IJSE_SE_EEES9_SG_JZNS1_25segmented_radix_sort_implINS0_14default_configELb1EPKaPaPKlPlN2at6native12_GLOBAL__N_18offset_tEEE10hipError_tPvRmT1_PNSt15iterator_traitsISY_E10value_typeET2_T3_PNSZ_IS14_E10value_typeET4_jRbjT5_S1A_jjP12ihipStream_tbEUljE_EEESV_SW_SX_S14_S18_S1A_T6_T7_T9_mT8_S1C_bDpT10_ENKUlT_T0_E_clISt17integral_constantIbLb1EES1O_IbLb0EEEEDaS1K_S1L_EUlS1K_E_NS1_11comp_targetILNS1_3genE9ELNS1_11target_archE1100ELNS1_3gpuE3ELNS1_3repE0EEENS1_30default_config_static_selectorELNS0_4arch9wavefront6targetE0EEEvSY_,comdat
	.globl	_ZN7rocprim17ROCPRIM_400000_NS6detail17trampoline_kernelINS0_13select_configILj256ELj13ELNS0_17block_load_methodE3ELS4_3ELS4_3ELNS0_20block_scan_algorithmE0ELj4294967295EEENS1_25partition_config_selectorILNS1_17partition_subalgoE3EjNS0_10empty_typeEbEEZZNS1_14partition_implILS8_3ELb0ES6_jNS0_17counting_iteratorIjlEEPS9_SE_NS0_5tupleIJPjSE_EEENSF_IJSE_SE_EEES9_SG_JZNS1_25segmented_radix_sort_implINS0_14default_configELb1EPKaPaPKlPlN2at6native12_GLOBAL__N_18offset_tEEE10hipError_tPvRmT1_PNSt15iterator_traitsISY_E10value_typeET2_T3_PNSZ_IS14_E10value_typeET4_jRbjT5_S1A_jjP12ihipStream_tbEUljE_EEESV_SW_SX_S14_S18_S1A_T6_T7_T9_mT8_S1C_bDpT10_ENKUlT_T0_E_clISt17integral_constantIbLb1EES1O_IbLb0EEEEDaS1K_S1L_EUlS1K_E_NS1_11comp_targetILNS1_3genE9ELNS1_11target_archE1100ELNS1_3gpuE3ELNS1_3repE0EEENS1_30default_config_static_selectorELNS0_4arch9wavefront6targetE0EEEvSY_ ; -- Begin function _ZN7rocprim17ROCPRIM_400000_NS6detail17trampoline_kernelINS0_13select_configILj256ELj13ELNS0_17block_load_methodE3ELS4_3ELS4_3ELNS0_20block_scan_algorithmE0ELj4294967295EEENS1_25partition_config_selectorILNS1_17partition_subalgoE3EjNS0_10empty_typeEbEEZZNS1_14partition_implILS8_3ELb0ES6_jNS0_17counting_iteratorIjlEEPS9_SE_NS0_5tupleIJPjSE_EEENSF_IJSE_SE_EEES9_SG_JZNS1_25segmented_radix_sort_implINS0_14default_configELb1EPKaPaPKlPlN2at6native12_GLOBAL__N_18offset_tEEE10hipError_tPvRmT1_PNSt15iterator_traitsISY_E10value_typeET2_T3_PNSZ_IS14_E10value_typeET4_jRbjT5_S1A_jjP12ihipStream_tbEUljE_EEESV_SW_SX_S14_S18_S1A_T6_T7_T9_mT8_S1C_bDpT10_ENKUlT_T0_E_clISt17integral_constantIbLb1EES1O_IbLb0EEEEDaS1K_S1L_EUlS1K_E_NS1_11comp_targetILNS1_3genE9ELNS1_11target_archE1100ELNS1_3gpuE3ELNS1_3repE0EEENS1_30default_config_static_selectorELNS0_4arch9wavefront6targetE0EEEvSY_
	.p2align	8
	.type	_ZN7rocprim17ROCPRIM_400000_NS6detail17trampoline_kernelINS0_13select_configILj256ELj13ELNS0_17block_load_methodE3ELS4_3ELS4_3ELNS0_20block_scan_algorithmE0ELj4294967295EEENS1_25partition_config_selectorILNS1_17partition_subalgoE3EjNS0_10empty_typeEbEEZZNS1_14partition_implILS8_3ELb0ES6_jNS0_17counting_iteratorIjlEEPS9_SE_NS0_5tupleIJPjSE_EEENSF_IJSE_SE_EEES9_SG_JZNS1_25segmented_radix_sort_implINS0_14default_configELb1EPKaPaPKlPlN2at6native12_GLOBAL__N_18offset_tEEE10hipError_tPvRmT1_PNSt15iterator_traitsISY_E10value_typeET2_T3_PNSZ_IS14_E10value_typeET4_jRbjT5_S1A_jjP12ihipStream_tbEUljE_EEESV_SW_SX_S14_S18_S1A_T6_T7_T9_mT8_S1C_bDpT10_ENKUlT_T0_E_clISt17integral_constantIbLb1EES1O_IbLb0EEEEDaS1K_S1L_EUlS1K_E_NS1_11comp_targetILNS1_3genE9ELNS1_11target_archE1100ELNS1_3gpuE3ELNS1_3repE0EEENS1_30default_config_static_selectorELNS0_4arch9wavefront6targetE0EEEvSY_,@function
_ZN7rocprim17ROCPRIM_400000_NS6detail17trampoline_kernelINS0_13select_configILj256ELj13ELNS0_17block_load_methodE3ELS4_3ELS4_3ELNS0_20block_scan_algorithmE0ELj4294967295EEENS1_25partition_config_selectorILNS1_17partition_subalgoE3EjNS0_10empty_typeEbEEZZNS1_14partition_implILS8_3ELb0ES6_jNS0_17counting_iteratorIjlEEPS9_SE_NS0_5tupleIJPjSE_EEENSF_IJSE_SE_EEES9_SG_JZNS1_25segmented_radix_sort_implINS0_14default_configELb1EPKaPaPKlPlN2at6native12_GLOBAL__N_18offset_tEEE10hipError_tPvRmT1_PNSt15iterator_traitsISY_E10value_typeET2_T3_PNSZ_IS14_E10value_typeET4_jRbjT5_S1A_jjP12ihipStream_tbEUljE_EEESV_SW_SX_S14_S18_S1A_T6_T7_T9_mT8_S1C_bDpT10_ENKUlT_T0_E_clISt17integral_constantIbLb1EES1O_IbLb0EEEEDaS1K_S1L_EUlS1K_E_NS1_11comp_targetILNS1_3genE9ELNS1_11target_archE1100ELNS1_3gpuE3ELNS1_3repE0EEENS1_30default_config_static_selectorELNS0_4arch9wavefront6targetE0EEEvSY_: ; @_ZN7rocprim17ROCPRIM_400000_NS6detail17trampoline_kernelINS0_13select_configILj256ELj13ELNS0_17block_load_methodE3ELS4_3ELS4_3ELNS0_20block_scan_algorithmE0ELj4294967295EEENS1_25partition_config_selectorILNS1_17partition_subalgoE3EjNS0_10empty_typeEbEEZZNS1_14partition_implILS8_3ELb0ES6_jNS0_17counting_iteratorIjlEEPS9_SE_NS0_5tupleIJPjSE_EEENSF_IJSE_SE_EEES9_SG_JZNS1_25segmented_radix_sort_implINS0_14default_configELb1EPKaPaPKlPlN2at6native12_GLOBAL__N_18offset_tEEE10hipError_tPvRmT1_PNSt15iterator_traitsISY_E10value_typeET2_T3_PNSZ_IS14_E10value_typeET4_jRbjT5_S1A_jjP12ihipStream_tbEUljE_EEESV_SW_SX_S14_S18_S1A_T6_T7_T9_mT8_S1C_bDpT10_ENKUlT_T0_E_clISt17integral_constantIbLb1EES1O_IbLb0EEEEDaS1K_S1L_EUlS1K_E_NS1_11comp_targetILNS1_3genE9ELNS1_11target_archE1100ELNS1_3gpuE3ELNS1_3repE0EEENS1_30default_config_static_selectorELNS0_4arch9wavefront6targetE0EEEvSY_
; %bb.0:
	s_clause 0x5
	s_load_b32 s2, s[0:1], 0x70
	s_load_b64 s[16:17], s[0:1], 0x10
	s_load_b64 s[12:13], s[0:1], 0x58
	s_load_b32 s18, s[0:1], 0x8
	s_load_b128 s[8:11], s[0:1], 0x48
	s_load_b128 s[4:7], s[0:1], 0x78
	s_mul_i32 s23, s15, 0xd00
	v_lshlrev_b32_e32 v30, 2, v0
	s_waitcnt lgkmcnt(0)
	s_mul_i32 s20, s2, 0xd00
	s_add_i32 s19, s2, -1
	s_add_u32 s2, s16, s20
	s_addc_u32 s3, s17, 0
	s_cmp_eq_u32 s15, s19
	v_cmp_lt_u64_e64 s3, s[2:3], s[12:13]
	s_cselect_b32 s14, -1, 0
	s_cmp_lg_u32 s15, s19
	s_cselect_b32 s21, -1, 0
	s_add_i32 s2, s18, s23
	s_delay_alu instid0(VALU_DEP_1)
	s_or_b32 s3, s21, s3
	s_add_i32 s18, s2, s16
	s_load_b32 s2, s[0:1], 0x88
	v_add_nc_u32_e32 v1, s18, v0
	s_load_b64 s[18:19], s[10:11], 0x0
	s_and_b32 vcc_lo, exec_lo, s3
	s_mov_b32 s10, -1
	s_delay_alu instid0(VALU_DEP_1)
	v_add_nc_u32_e32 v2, 0x100, v1
	v_add_nc_u32_e32 v3, 0x200, v1
	v_add_nc_u32_e32 v4, 0x300, v1
	v_add_nc_u32_e32 v5, 0x400, v1
	v_add_nc_u32_e32 v6, 0x500, v1
	v_add_nc_u32_e32 v7, 0x600, v1
	v_add_nc_u32_e32 v8, 0x700, v1
	v_add_nc_u32_e32 v9, 0x800, v1
	v_add_nc_u32_e32 v10, 0x900, v1
	v_add_nc_u32_e32 v11, 0xa00, v1
	v_add_nc_u32_e32 v12, 0xb00, v1
	v_add_nc_u32_e32 v13, 0xc00, v1
	s_cbranch_vccz .LBB280_2
; %bb.1:
	ds_store_2addr_stride64_b32 v30, v1, v2 offset1:4
	ds_store_2addr_stride64_b32 v30, v3, v4 offset0:8 offset1:12
	ds_store_2addr_stride64_b32 v30, v5, v6 offset0:16 offset1:20
	ds_store_2addr_stride64_b32 v30, v7, v8 offset0:24 offset1:28
	ds_store_2addr_stride64_b32 v30, v9, v10 offset0:32 offset1:36
	ds_store_2addr_stride64_b32 v30, v11, v12 offset0:40 offset1:44
	ds_store_b32 v30, v13 offset:12288
	s_waitcnt lgkmcnt(0)
	s_mov_b32 s10, 0
	s_barrier
.LBB280_2:
	s_and_not1_b32 vcc_lo, exec_lo, s10
	s_add_i32 s20, s20, s16
	s_cbranch_vccnz .LBB280_4
; %bb.3:
	ds_store_2addr_stride64_b32 v30, v1, v2 offset1:4
	ds_store_2addr_stride64_b32 v30, v3, v4 offset0:8 offset1:12
	ds_store_2addr_stride64_b32 v30, v5, v6 offset0:16 offset1:20
	;; [unrolled: 1-line block ×5, first 2 shown]
	ds_store_b32 v30, v13 offset:12288
	s_waitcnt lgkmcnt(0)
	s_barrier
.LBB280_4:
	v_mul_u32_u24_e32 v33, 13, v0
	s_waitcnt lgkmcnt(0)
	buffer_gl0_inv
	v_cndmask_b32_e64 v31, 0, 1, s3
	s_sub_i32 s22, s12, s20
	s_and_not1_b32 vcc_lo, exec_lo, s3
	v_lshlrev_b32_e32 v1, 2, v33
	ds_load_2addr_b32 v[28:29], v1 offset1:1
	ds_load_2addr_b32 v[26:27], v1 offset0:2 offset1:3
	ds_load_2addr_b32 v[24:25], v1 offset0:4 offset1:5
	;; [unrolled: 1-line block ×5, first 2 shown]
	ds_load_b32 v32, v1 offset:48
	s_waitcnt lgkmcnt(0)
	s_barrier
	buffer_gl0_inv
	s_cbranch_vccnz .LBB280_6
; %bb.5:
	v_add_nc_u32_e32 v1, s5, v28
	v_add_nc_u32_e32 v2, s7, v28
	;; [unrolled: 1-line block ×5, first 2 shown]
	v_mul_lo_u32 v1, v1, s4
	v_mul_lo_u32 v2, v2, s6
	;; [unrolled: 1-line block ×4, first 2 shown]
	v_add_nc_u32_e32 v6, s7, v26
	v_add_nc_u32_e32 v7, s5, v27
	;; [unrolled: 1-line block ×3, first 2 shown]
	v_mul_lo_u32 v5, v5, s4
	v_add_nc_u32_e32 v9, s5, v22
	v_sub_nc_u32_e32 v1, v1, v2
	v_mul_lo_u32 v2, v6, s6
	v_sub_nc_u32_e32 v3, v3, v4
	v_mul_lo_u32 v4, v7, s4
	v_mul_lo_u32 v6, v8, s6
	v_add_nc_u32_e32 v7, s5, v24
	v_cmp_lt_u32_e32 vcc_lo, s2, v1
	v_add_nc_u32_e32 v8, s5, v25
	v_add_nc_u32_e32 v10, s7, v22
	v_sub_nc_u32_e32 v2, v5, v2
	v_add_nc_u32_e32 v5, s7, v24
	v_cndmask_b32_e64 v1, 0, 1, vcc_lo
	v_sub_nc_u32_e32 v4, v4, v6
	v_mul_lo_u32 v6, v7, s4
	v_add_nc_u32_e32 v7, s7, v25
	v_cmp_lt_u32_e32 vcc_lo, s2, v3
	v_mul_lo_u32 v5, v5, s6
	v_mul_lo_u32 v8, v8, s4
	;; [unrolled: 1-line block ×4, first 2 shown]
	v_cndmask_b32_e64 v3, 0, 1, vcc_lo
	v_cmp_lt_u32_e32 vcc_lo, s2, v2
	v_mul_lo_u32 v10, v10, s6
	v_add_nc_u32_e32 v11, s5, v20
	v_sub_nc_u32_e32 v5, v6, v5
	v_add_nc_u32_e32 v12, s7, v20
	v_cndmask_b32_e64 v2, 0, 1, vcc_lo
	v_sub_nc_u32_e32 v6, v8, v7
	v_add_nc_u32_e32 v7, s5, v23
	v_add_nc_u32_e32 v8, s7, v23
	v_cmp_lt_u32_e32 vcc_lo, s2, v4
	v_sub_nc_u32_e32 v9, v9, v10
	v_mul_lo_u32 v10, v11, s4
	v_mul_lo_u32 v7, v7, s4
	;; [unrolled: 1-line block ×4, first 2 shown]
	v_cndmask_b32_e64 v4, 0, 1, vcc_lo
	v_cmp_lt_u32_e32 vcc_lo, s2, v5
	v_add_nc_u32_e32 v12, s5, v21
	v_add_nc_u32_e32 v13, s7, v18
	;; [unrolled: 1-line block ×4, first 2 shown]
	v_cndmask_b32_e64 v5, 0, 1, vcc_lo
	v_cmp_lt_u32_e32 vcc_lo, s2, v6
	v_sub_nc_u32_e32 v7, v7, v8
	v_sub_nc_u32_e32 v8, v10, v11
	v_add_nc_u32_e32 v11, s7, v21
	v_mul_lo_u32 v10, v12, s4
	v_cndmask_b32_e64 v6, 0, 1, vcc_lo
	v_cmp_lt_u32_e32 vcc_lo, s2, v9
	v_add_nc_u32_e32 v12, s5, v18
	v_mul_lo_u32 v11, v11, s6
	v_mul_lo_u32 v13, v13, s6
	;; [unrolled: 1-line block ×3, first 2 shown]
	v_cndmask_b32_e64 v9, 0, 1, vcc_lo
	v_cmp_lt_u32_e32 vcc_lo, s2, v7
	v_mul_lo_u32 v12, v12, s4
	v_mul_lo_u32 v15, v15, s6
	v_lshlrev_b16 v3, 8, v3
	v_sub_nc_u32_e32 v10, v10, v11
	v_cndmask_b32_e64 v7, 0, 1, vcc_lo
	v_cmp_lt_u32_e32 vcc_lo, s2, v8
	v_add_nc_u32_e32 v11, s5, v32
	v_or_b32_e32 v1, v1, v3
	v_sub_nc_u32_e32 v12, v12, v13
	v_sub_nc_u32_e32 v13, v14, v15
	v_cndmask_b32_e64 v8, 0, 1, vcc_lo
	v_cmp_lt_u32_e32 vcc_lo, s2, v10
	v_add_nc_u32_e32 v16, s7, v32
	v_mul_lo_u32 v11, v11, s4
	v_lshlrev_b16 v4, 8, v4
	v_lshlrev_b16 v6, 8, v6
	v_cndmask_b32_e64 v10, 0, 1, vcc_lo
	v_cmp_lt_u32_e32 vcc_lo, s2, v12
	v_mul_lo_u32 v14, v16, s6
	v_lshlrev_b16 v7, 8, v7
	v_or_b32_e32 v2, v2, v4
	v_lshlrev_b16 v10, 8, v10
	v_cndmask_b32_e64 v3, 0, 1, vcc_lo
	v_cmp_lt_u32_e32 vcc_lo, s2, v13
	v_or_b32_e32 v4, v5, v6
	v_or_b32_e32 v5, v9, v7
	v_sub_nc_u32_e32 v11, v11, v14
	v_or_b32_e32 v6, v8, v10
	v_cndmask_b32_e64 v12, 0, 1, vcc_lo
	v_and_b32_e32 v1, 0xffff, v1
	v_lshlrev_b32_e32 v2, 16, v2
	v_and_b32_e32 v4, 0xffff, v4
	v_lshlrev_b32_e32 v5, 16, v5
	v_lshlrev_b16 v12, 8, v12
	v_and_b32_e32 v6, 0xffff, v6
	v_cmp_lt_u32_e32 vcc_lo, s2, v11
	v_or_b32_e32 v39, v1, v2
	v_or_b32_e32 v37, v4, v5
	;; [unrolled: 1-line block ×3, first 2 shown]
	s_mov_b32 s3, 0
	v_cndmask_b32_e64 v34, 0, 1, vcc_lo
	s_delay_alu instid0(VALU_DEP_2) | instskip(NEXT) | instid1(VALU_DEP_1)
	v_lshlrev_b32_e32 v3, 16, v3
	v_or_b32_e32 v35, v6, v3
	s_branch .LBB280_7
.LBB280_6:
	s_mov_b32 s3, -1
                                        ; implicit-def: $vgpr34
                                        ; implicit-def: $vgpr35
                                        ; implicit-def: $vgpr37
                                        ; implicit-def: $vgpr39
.LBB280_7:
	s_clause 0x1
	s_load_b64 s[10:11], s[0:1], 0x28
	s_load_b64 s[20:21], s[0:1], 0x68
	s_and_not1_b32 vcc_lo, exec_lo, s3
	s_addk_i32 s22, 0xd00
	s_cbranch_vccnz .LBB280_35
; %bb.8:
	v_dual_mov_b32 v2, 0 :: v_dual_mov_b32 v1, 0
	s_mov_b32 s0, exec_lo
	v_cmpx_gt_u32_e64 s22, v33
; %bb.9:
	v_add_nc_u32_e32 v1, s5, v28
	v_add_nc_u32_e32 v3, s7, v28
	s_delay_alu instid0(VALU_DEP_2) | instskip(NEXT) | instid1(VALU_DEP_2)
	v_mul_lo_u32 v1, v1, s4
	v_mul_lo_u32 v3, v3, s6
	s_delay_alu instid0(VALU_DEP_1) | instskip(NEXT) | instid1(VALU_DEP_1)
	v_sub_nc_u32_e32 v1, v1, v3
	v_cmp_lt_u32_e32 vcc_lo, s2, v1
	v_cndmask_b32_e64 v1, 0, 1, vcc_lo
; %bb.10:
	s_or_b32 exec_lo, exec_lo, s0
	v_add_nc_u32_e32 v3, 1, v33
	s_mov_b32 s0, exec_lo
	s_delay_alu instid0(VALU_DEP_1)
	v_cmpx_gt_u32_e64 s22, v3
; %bb.11:
	v_add_nc_u32_e32 v2, s5, v29
	v_add_nc_u32_e32 v3, s7, v29
	s_delay_alu instid0(VALU_DEP_2) | instskip(NEXT) | instid1(VALU_DEP_2)
	v_mul_lo_u32 v2, v2, s4
	v_mul_lo_u32 v3, v3, s6
	s_delay_alu instid0(VALU_DEP_1) | instskip(NEXT) | instid1(VALU_DEP_1)
	v_sub_nc_u32_e32 v2, v2, v3
	v_cmp_lt_u32_e32 vcc_lo, s2, v2
	v_cndmask_b32_e64 v2, 0, 1, vcc_lo
; %bb.12:
	s_or_b32 exec_lo, exec_lo, s0
	v_dual_mov_b32 v4, 0 :: v_dual_add_nc_u32 v3, 2, v33
	s_delay_alu instid0(VALU_DEP_1)
	v_cmp_gt_u32_e32 vcc_lo, s22, v3
	v_mov_b32_e32 v3, 0
	s_and_saveexec_b32 s0, vcc_lo
; %bb.13:
	v_add_nc_u32_e32 v3, s5, v26
	v_add_nc_u32_e32 v5, s7, v26
	s_delay_alu instid0(VALU_DEP_2) | instskip(NEXT) | instid1(VALU_DEP_2)
	v_mul_lo_u32 v3, v3, s4
	v_mul_lo_u32 v5, v5, s6
	s_delay_alu instid0(VALU_DEP_1) | instskip(NEXT) | instid1(VALU_DEP_1)
	v_sub_nc_u32_e32 v3, v3, v5
	v_cmp_lt_u32_e32 vcc_lo, s2, v3
	v_cndmask_b32_e64 v3, 0, 1, vcc_lo
; %bb.14:
	s_or_b32 exec_lo, exec_lo, s0
	v_add_nc_u32_e32 v5, 3, v33
	s_mov_b32 s0, exec_lo
	s_delay_alu instid0(VALU_DEP_1)
	v_cmpx_gt_u32_e64 s22, v5
; %bb.15:
	v_add_nc_u32_e32 v4, s5, v27
	v_add_nc_u32_e32 v5, s7, v27
	s_delay_alu instid0(VALU_DEP_2) | instskip(NEXT) | instid1(VALU_DEP_2)
	v_mul_lo_u32 v4, v4, s4
	v_mul_lo_u32 v5, v5, s6
	s_delay_alu instid0(VALU_DEP_1) | instskip(NEXT) | instid1(VALU_DEP_1)
	v_sub_nc_u32_e32 v4, v4, v5
	v_cmp_lt_u32_e32 vcc_lo, s2, v4
	v_cndmask_b32_e64 v4, 0, 1, vcc_lo
; %bb.16:
	s_or_b32 exec_lo, exec_lo, s0
	v_dual_mov_b32 v6, 0 :: v_dual_add_nc_u32 v5, 4, v33
	s_delay_alu instid0(VALU_DEP_1)
	v_cmp_gt_u32_e32 vcc_lo, s22, v5
	v_mov_b32_e32 v5, 0
	s_and_saveexec_b32 s0, vcc_lo
	;; [unrolled: 33-line block ×5, first 2 shown]
; %bb.29:
	v_add_nc_u32_e32 v11, s5, v18
	v_add_nc_u32_e32 v13, s7, v18
	s_delay_alu instid0(VALU_DEP_2) | instskip(NEXT) | instid1(VALU_DEP_2)
	v_mul_lo_u32 v11, v11, s4
	v_mul_lo_u32 v13, v13, s6
	s_delay_alu instid0(VALU_DEP_1) | instskip(NEXT) | instid1(VALU_DEP_1)
	v_sub_nc_u32_e32 v11, v11, v13
	v_cmp_lt_u32_e32 vcc_lo, s2, v11
	v_cndmask_b32_e64 v11, 0, 1, vcc_lo
; %bb.30:
	s_or_b32 exec_lo, exec_lo, s0
	v_add_nc_u32_e32 v13, 11, v33
	s_mov_b32 s0, exec_lo
	s_delay_alu instid0(VALU_DEP_1)
	v_cmpx_gt_u32_e64 s22, v13
; %bb.31:
	v_add_nc_u32_e32 v12, s5, v19
	v_add_nc_u32_e32 v13, s7, v19
	s_delay_alu instid0(VALU_DEP_2) | instskip(NEXT) | instid1(VALU_DEP_2)
	v_mul_lo_u32 v12, v12, s4
	v_mul_lo_u32 v13, v13, s6
	s_delay_alu instid0(VALU_DEP_1) | instskip(NEXT) | instid1(VALU_DEP_1)
	v_sub_nc_u32_e32 v12, v12, v13
	v_cmp_lt_u32_e32 vcc_lo, s2, v12
	v_cndmask_b32_e64 v12, 0, 1, vcc_lo
; %bb.32:
	s_or_b32 exec_lo, exec_lo, s0
	v_dual_mov_b32 v34, 0 :: v_dual_add_nc_u32 v13, 12, v33
	s_mov_b32 s0, exec_lo
	s_delay_alu instid0(VALU_DEP_1)
	v_cmpx_gt_u32_e64 s22, v13
; %bb.33:
	v_add_nc_u32_e32 v13, s5, v32
	v_add_nc_u32_e32 v14, s7, v32
	s_delay_alu instid0(VALU_DEP_2) | instskip(NEXT) | instid1(VALU_DEP_2)
	v_mul_lo_u32 v13, v13, s4
	v_mul_lo_u32 v14, v14, s6
	s_delay_alu instid0(VALU_DEP_1) | instskip(NEXT) | instid1(VALU_DEP_1)
	v_sub_nc_u32_e32 v13, v13, v14
	v_cmp_lt_u32_e32 vcc_lo, s2, v13
	v_cndmask_b32_e64 v34, 0, 1, vcc_lo
; %bb.34:
	s_or_b32 exec_lo, exec_lo, s0
	v_lshlrev_b16 v2, 8, v2
	v_lshlrev_b16 v4, 8, v4
	;; [unrolled: 1-line block ×5, first 2 shown]
	v_or_b32_e32 v1, v1, v2
	v_lshlrev_b16 v2, 8, v12
	v_or_b32_e32 v3, v3, v4
	v_or_b32_e32 v4, v5, v6
	;; [unrolled: 1-line block ×5, first 2 shown]
	v_and_b32_e32 v1, 0xffff, v1
	v_lshlrev_b32_e32 v3, 16, v3
	v_and_b32_e32 v4, 0xffff, v4
	v_lshlrev_b32_e32 v5, 16, v5
	;; [unrolled: 2-line block ×3, first 2 shown]
	v_or_b32_e32 v39, v1, v3
	s_delay_alu instid0(VALU_DEP_4) | instskip(NEXT) | instid1(VALU_DEP_3)
	v_or_b32_e32 v37, v4, v5
	v_or_b32_e32 v35, v6, v2
.LBB280_35:
	s_delay_alu instid0(VALU_DEP_3)
	v_and_b32_e32 v41, 0xff, v39
	v_bfe_u32 v42, v39, 8, 8
	v_bfe_u32 v43, v39, 16, 8
	v_lshrrev_b32_e32 v40, 24, v39
	v_and_b32_e32 v44, 0xff, v37
	v_bfe_u32 v45, v37, 8, 8
	v_bfe_u32 v46, v37, 16, 8
	v_add3_u32 v1, v42, v41, v43
	v_lshrrev_b32_e32 v38, 24, v37
	v_and_b32_e32 v47, 0xff, v35
	v_bfe_u32 v48, v35, 8, 8
	v_mbcnt_lo_u32_b32 v50, -1, 0
	v_add3_u32 v1, v1, v40, v44
	v_bfe_u32 v49, v35, 16, 8
	v_lshrrev_b32_e32 v36, 24, v35
	v_and_b32_e32 v2, 0xff, v34
	v_and_b32_e32 v3, 15, v50
	v_add3_u32 v1, v1, v45, v46
	v_or_b32_e32 v4, 31, v0
	v_and_b32_e32 v5, 16, v50
	v_lshrrev_b32_e32 v51, 5, v0
	v_cmp_eq_u32_e64 s5, 0, v3
	v_add3_u32 v1, v1, v38, v47
	v_cmp_lt_u32_e64 s4, 1, v3
	v_cmp_lt_u32_e64 s3, 3, v3
	;; [unrolled: 1-line block ×3, first 2 shown]
	v_cmp_eq_u32_e64 s1, 0, v5
	v_add3_u32 v1, v1, v48, v49
	v_cmp_eq_u32_e64 s0, v4, v0
	s_cmp_lg_u32 s15, 0
	s_mov_b32 s6, -1
	s_delay_alu instid0(VALU_DEP_2)
	v_add3_u32 v52, v1, v36, v2
	s_cbranch_scc0 .LBB280_66
; %bb.36:
	s_delay_alu instid0(VALU_DEP_1) | instskip(NEXT) | instid1(VALU_DEP_1)
	v_mov_b32_dpp v1, v52 row_shr:1 row_mask:0xf bank_mask:0xf
	v_cndmask_b32_e64 v1, v1, 0, s5
	s_delay_alu instid0(VALU_DEP_1) | instskip(NEXT) | instid1(VALU_DEP_1)
	v_add_nc_u32_e32 v1, v1, v52
	v_mov_b32_dpp v2, v1 row_shr:2 row_mask:0xf bank_mask:0xf
	s_delay_alu instid0(VALU_DEP_1) | instskip(NEXT) | instid1(VALU_DEP_1)
	v_cndmask_b32_e64 v2, 0, v2, s4
	v_add_nc_u32_e32 v1, v1, v2
	s_delay_alu instid0(VALU_DEP_1) | instskip(NEXT) | instid1(VALU_DEP_1)
	v_mov_b32_dpp v2, v1 row_shr:4 row_mask:0xf bank_mask:0xf
	v_cndmask_b32_e64 v2, 0, v2, s3
	s_delay_alu instid0(VALU_DEP_1) | instskip(NEXT) | instid1(VALU_DEP_1)
	v_add_nc_u32_e32 v1, v1, v2
	v_mov_b32_dpp v2, v1 row_shr:8 row_mask:0xf bank_mask:0xf
	s_delay_alu instid0(VALU_DEP_1) | instskip(NEXT) | instid1(VALU_DEP_1)
	v_cndmask_b32_e64 v2, 0, v2, s2
	v_add_nc_u32_e32 v1, v1, v2
	ds_swizzle_b32 v2, v1 offset:swizzle(BROADCAST,32,15)
	s_waitcnt lgkmcnt(0)
	v_cndmask_b32_e64 v2, v2, 0, s1
	s_delay_alu instid0(VALU_DEP_1)
	v_add_nc_u32_e32 v1, v1, v2
	s_and_saveexec_b32 s6, s0
	s_cbranch_execz .LBB280_38
; %bb.37:
	v_lshlrev_b32_e32 v2, 2, v51
	ds_store_b32 v2, v1
.LBB280_38:
	s_or_b32 exec_lo, exec_lo, s6
	s_delay_alu instid0(SALU_CYCLE_1)
	s_mov_b32 s6, exec_lo
	s_waitcnt lgkmcnt(0)
	s_barrier
	buffer_gl0_inv
	v_cmpx_gt_u32_e32 8, v0
	s_cbranch_execz .LBB280_40
; %bb.39:
	ds_load_b32 v2, v30
	s_waitcnt lgkmcnt(0)
	v_mov_b32_dpp v4, v2 row_shr:1 row_mask:0xf bank_mask:0xf
	v_and_b32_e32 v3, 7, v50
	s_delay_alu instid0(VALU_DEP_1) | instskip(NEXT) | instid1(VALU_DEP_3)
	v_cmp_ne_u32_e32 vcc_lo, 0, v3
	v_cndmask_b32_e32 v4, 0, v4, vcc_lo
	v_cmp_lt_u32_e32 vcc_lo, 1, v3
	s_delay_alu instid0(VALU_DEP_2) | instskip(NEXT) | instid1(VALU_DEP_1)
	v_add_nc_u32_e32 v2, v4, v2
	v_mov_b32_dpp v4, v2 row_shr:2 row_mask:0xf bank_mask:0xf
	s_delay_alu instid0(VALU_DEP_1) | instskip(SKIP_1) | instid1(VALU_DEP_2)
	v_cndmask_b32_e32 v4, 0, v4, vcc_lo
	v_cmp_lt_u32_e32 vcc_lo, 3, v3
	v_add_nc_u32_e32 v2, v2, v4
	s_delay_alu instid0(VALU_DEP_1) | instskip(NEXT) | instid1(VALU_DEP_1)
	v_mov_b32_dpp v4, v2 row_shr:4 row_mask:0xf bank_mask:0xf
	v_cndmask_b32_e32 v3, 0, v4, vcc_lo
	s_delay_alu instid0(VALU_DEP_1)
	v_add_nc_u32_e32 v2, v2, v3
	ds_store_b32 v30, v2
.LBB280_40:
	s_or_b32 exec_lo, exec_lo, s6
	v_cmp_gt_u32_e32 vcc_lo, 32, v0
	s_mov_b32 s7, exec_lo
	s_waitcnt lgkmcnt(0)
	s_barrier
	buffer_gl0_inv
                                        ; implicit-def: $vgpr8
	v_cmpx_lt_u32_e32 31, v0
	s_cbranch_execz .LBB280_42
; %bb.41:
	v_lshl_add_u32 v2, v51, 2, -4
	ds_load_b32 v8, v2
	s_waitcnt lgkmcnt(0)
	v_add_nc_u32_e32 v1, v8, v1
.LBB280_42:
	s_or_b32 exec_lo, exec_lo, s7
	v_add_nc_u32_e32 v2, -1, v50
	s_delay_alu instid0(VALU_DEP_1) | instskip(NEXT) | instid1(VALU_DEP_1)
	v_cmp_gt_i32_e64 s6, 0, v2
	v_cndmask_b32_e64 v2, v2, v50, s6
	v_cmp_eq_u32_e64 s6, 0, v50
	s_delay_alu instid0(VALU_DEP_2)
	v_lshlrev_b32_e32 v2, 2, v2
	ds_bpermute_b32 v9, v2, v1
	s_and_saveexec_b32 s7, vcc_lo
	s_cbranch_execz .LBB280_65
; %bb.43:
	v_mov_b32_e32 v4, 0
	ds_load_b32 v1, v4 offset:28
	s_and_saveexec_b32 s24, s6
	s_cbranch_execz .LBB280_45
; %bb.44:
	s_add_i32 s26, s15, 32
	s_mov_b32 s27, 0
	v_mov_b32_e32 v2, 1
	s_lshl_b64 s[26:27], s[26:27], 3
	s_delay_alu instid0(SALU_CYCLE_1)
	s_add_u32 s26, s20, s26
	s_addc_u32 s27, s21, s27
	s_waitcnt lgkmcnt(0)
	global_store_b64 v4, v[1:2], s[26:27]
.LBB280_45:
	s_or_b32 exec_lo, exec_lo, s24
	v_xad_u32 v2, v50, -1, s15
	s_mov_b32 s25, 0
	s_mov_b32 s24, exec_lo
	s_delay_alu instid0(VALU_DEP_1) | instskip(NEXT) | instid1(VALU_DEP_1)
	v_add_nc_u32_e32 v3, 32, v2
	v_lshlrev_b64 v[3:4], 3, v[3:4]
	s_delay_alu instid0(VALU_DEP_1) | instskip(NEXT) | instid1(VALU_DEP_2)
	v_add_co_u32 v6, vcc_lo, s20, v3
	v_add_co_ci_u32_e32 v7, vcc_lo, s21, v4, vcc_lo
	global_load_b64 v[4:5], v[6:7], off glc
	s_waitcnt vmcnt(0)
	v_and_b32_e32 v3, 0xff, v5
	s_delay_alu instid0(VALU_DEP_1)
	v_cmpx_eq_u16_e32 0, v3
	s_cbranch_execz .LBB280_51
; %bb.46:
	s_mov_b32 s26, 1
	.p2align	6
.LBB280_47:                             ; =>This Loop Header: Depth=1
                                        ;     Child Loop BB280_48 Depth 2
	s_delay_alu instid0(SALU_CYCLE_1)
	s_max_u32 s27, s26, 1
.LBB280_48:                             ;   Parent Loop BB280_47 Depth=1
                                        ; =>  This Inner Loop Header: Depth=2
	s_delay_alu instid0(SALU_CYCLE_1)
	s_add_i32 s27, s27, -1
	s_sleep 1
	s_cmp_eq_u32 s27, 0
	s_cbranch_scc0 .LBB280_48
; %bb.49:                               ;   in Loop: Header=BB280_47 Depth=1
	global_load_b64 v[4:5], v[6:7], off glc
	s_cmp_lt_u32 s26, 32
	s_cselect_b32 s27, -1, 0
	s_delay_alu instid0(SALU_CYCLE_1) | instskip(SKIP_3) | instid1(VALU_DEP_1)
	s_cmp_lg_u32 s27, 0
	s_addc_u32 s26, s26, 0
	s_waitcnt vmcnt(0)
	v_and_b32_e32 v3, 0xff, v5
	v_cmp_ne_u16_e32 vcc_lo, 0, v3
	s_or_b32 s25, vcc_lo, s25
	s_delay_alu instid0(SALU_CYCLE_1)
	s_and_not1_b32 exec_lo, exec_lo, s25
	s_cbranch_execnz .LBB280_47
; %bb.50:
	s_or_b32 exec_lo, exec_lo, s25
.LBB280_51:
	s_delay_alu instid0(SALU_CYCLE_1)
	s_or_b32 exec_lo, exec_lo, s24
	v_cmp_ne_u32_e32 vcc_lo, 31, v50
	v_lshlrev_b32_e64 v11, v50, -1
	v_add_nc_u32_e32 v13, 2, v50
	v_add_nc_u32_e32 v16, 4, v50
	;; [unrolled: 1-line block ×3, first 2 shown]
	v_add_co_ci_u32_e32 v3, vcc_lo, 0, v50, vcc_lo
	v_add_nc_u32_e32 v55, 16, v50
	s_delay_alu instid0(VALU_DEP_2) | instskip(SKIP_2) | instid1(VALU_DEP_1)
	v_lshlrev_b32_e32 v10, 2, v3
	ds_bpermute_b32 v6, v10, v4
	v_and_b32_e32 v3, 0xff, v5
	v_cmp_eq_u16_e32 vcc_lo, 2, v3
	v_and_or_b32 v3, vcc_lo, v11, 0x80000000
	v_cmp_gt_u32_e32 vcc_lo, 30, v50
	s_delay_alu instid0(VALU_DEP_2) | instskip(SKIP_1) | instid1(VALU_DEP_2)
	v_ctz_i32_b32_e32 v3, v3
	v_cndmask_b32_e64 v7, 0, 1, vcc_lo
	v_cmp_lt_u32_e32 vcc_lo, v50, v3
	s_waitcnt lgkmcnt(0)
	s_delay_alu instid0(VALU_DEP_2) | instskip(NEXT) | instid1(VALU_DEP_1)
	v_dual_cndmask_b32 v6, 0, v6 :: v_dual_lshlrev_b32 v7, 1, v7
	v_add_lshl_u32 v12, v7, v50, 2
	v_cmp_gt_u32_e32 vcc_lo, 28, v50
	s_delay_alu instid0(VALU_DEP_3) | instskip(SKIP_4) | instid1(VALU_DEP_1)
	v_add_nc_u32_e32 v4, v6, v4
	v_cndmask_b32_e64 v7, 0, 1, vcc_lo
	v_cmp_le_u32_e32 vcc_lo, v13, v3
	ds_bpermute_b32 v6, v12, v4
	v_lshlrev_b32_e32 v7, 2, v7
	v_add_lshl_u32 v14, v7, v50, 2
	s_waitcnt lgkmcnt(0)
	v_cndmask_b32_e32 v6, 0, v6, vcc_lo
	v_cmp_gt_u32_e32 vcc_lo, 24, v50
	s_delay_alu instid0(VALU_DEP_2) | instskip(SKIP_4) | instid1(VALU_DEP_1)
	v_add_nc_u32_e32 v4, v4, v6
	v_cndmask_b32_e64 v7, 0, 1, vcc_lo
	v_cmp_le_u32_e32 vcc_lo, v16, v3
	ds_bpermute_b32 v6, v14, v4
	v_lshlrev_b32_e32 v7, 3, v7
	v_add_lshl_u32 v17, v7, v50, 2
	s_waitcnt lgkmcnt(0)
	v_cndmask_b32_e32 v6, 0, v6, vcc_lo
	v_cmp_gt_u32_e32 vcc_lo, 16, v50
	s_delay_alu instid0(VALU_DEP_2) | instskip(SKIP_4) | instid1(VALU_DEP_1)
	v_add_nc_u32_e32 v4, v4, v6
	v_cndmask_b32_e64 v7, 0, 1, vcc_lo
	v_cmp_le_u32_e32 vcc_lo, v53, v3
	ds_bpermute_b32 v6, v17, v4
	v_lshlrev_b32_e32 v7, 4, v7
	v_add_lshl_u32 v54, v7, v50, 2
	s_waitcnt lgkmcnt(0)
	v_cndmask_b32_e32 v6, 0, v6, vcc_lo
	v_cmp_le_u32_e32 vcc_lo, v55, v3
	s_delay_alu instid0(VALU_DEP_2) | instskip(SKIP_3) | instid1(VALU_DEP_1)
	v_add_nc_u32_e32 v4, v4, v6
	ds_bpermute_b32 v6, v54, v4
	s_waitcnt lgkmcnt(0)
	v_cndmask_b32_e32 v3, 0, v6, vcc_lo
	v_dual_mov_b32 v3, 0 :: v_dual_add_nc_u32 v4, v4, v3
	s_branch .LBB280_53
.LBB280_52:                             ;   in Loop: Header=BB280_53 Depth=1
	s_or_b32 exec_lo, exec_lo, s24
	ds_bpermute_b32 v7, v10, v4
	v_and_b32_e32 v6, 0xff, v5
	v_subrev_nc_u32_e32 v2, 32, v2
	s_delay_alu instid0(VALU_DEP_2) | instskip(SKIP_1) | instid1(VALU_DEP_1)
	v_cmp_eq_u16_e32 vcc_lo, 2, v6
	v_and_or_b32 v6, vcc_lo, v11, 0x80000000
	v_ctz_i32_b32_e32 v6, v6
	s_delay_alu instid0(VALU_DEP_1) | instskip(SKIP_3) | instid1(VALU_DEP_2)
	v_cmp_lt_u32_e32 vcc_lo, v50, v6
	s_waitcnt lgkmcnt(0)
	v_cndmask_b32_e32 v7, 0, v7, vcc_lo
	v_cmp_le_u32_e32 vcc_lo, v13, v6
	v_add_nc_u32_e32 v4, v7, v4
	ds_bpermute_b32 v7, v12, v4
	s_waitcnt lgkmcnt(0)
	v_cndmask_b32_e32 v7, 0, v7, vcc_lo
	v_cmp_le_u32_e32 vcc_lo, v16, v6
	s_delay_alu instid0(VALU_DEP_2) | instskip(SKIP_4) | instid1(VALU_DEP_2)
	v_add_nc_u32_e32 v4, v4, v7
	ds_bpermute_b32 v7, v14, v4
	s_waitcnt lgkmcnt(0)
	v_cndmask_b32_e32 v7, 0, v7, vcc_lo
	v_cmp_le_u32_e32 vcc_lo, v53, v6
	v_add_nc_u32_e32 v4, v4, v7
	ds_bpermute_b32 v7, v17, v4
	s_waitcnt lgkmcnt(0)
	v_cndmask_b32_e32 v7, 0, v7, vcc_lo
	v_cmp_le_u32_e32 vcc_lo, v55, v6
	s_delay_alu instid0(VALU_DEP_2) | instskip(SKIP_3) | instid1(VALU_DEP_1)
	v_add_nc_u32_e32 v4, v4, v7
	ds_bpermute_b32 v7, v54, v4
	s_waitcnt lgkmcnt(0)
	v_cndmask_b32_e32 v6, 0, v7, vcc_lo
	v_add3_u32 v4, v6, v15, v4
.LBB280_53:                             ; =>This Loop Header: Depth=1
                                        ;     Child Loop BB280_56 Depth 2
                                        ;       Child Loop BB280_57 Depth 3
	v_and_b32_e32 v5, 0xff, v5
	s_delay_alu instid0(VALU_DEP_2) | instskip(NEXT) | instid1(VALU_DEP_2)
	v_mov_b32_e32 v15, v4
	v_cmp_ne_u16_e32 vcc_lo, 2, v5
	v_cndmask_b32_e64 v5, 0, 1, vcc_lo
	;;#ASMSTART
	;;#ASMEND
	s_delay_alu instid0(VALU_DEP_1)
	v_cmp_ne_u32_e32 vcc_lo, 0, v5
	s_cmp_lg_u32 vcc_lo, exec_lo
	s_cbranch_scc1 .LBB280_60
; %bb.54:                               ;   in Loop: Header=BB280_53 Depth=1
	v_lshlrev_b64 v[4:5], 3, v[2:3]
	s_mov_b32 s24, exec_lo
	s_delay_alu instid0(VALU_DEP_1) | instskip(NEXT) | instid1(VALU_DEP_2)
	v_add_co_u32 v6, vcc_lo, s20, v4
	v_add_co_ci_u32_e32 v7, vcc_lo, s21, v5, vcc_lo
	global_load_b64 v[4:5], v[6:7], off glc
	s_waitcnt vmcnt(0)
	v_and_b32_e32 v56, 0xff, v5
	s_delay_alu instid0(VALU_DEP_1)
	v_cmpx_eq_u16_e32 0, v56
	s_cbranch_execz .LBB280_52
; %bb.55:                               ;   in Loop: Header=BB280_53 Depth=1
	s_mov_b32 s26, 1
	s_mov_b32 s25, 0
	.p2align	6
.LBB280_56:                             ;   Parent Loop BB280_53 Depth=1
                                        ; =>  This Loop Header: Depth=2
                                        ;       Child Loop BB280_57 Depth 3
	s_max_u32 s27, s26, 1
.LBB280_57:                             ;   Parent Loop BB280_53 Depth=1
                                        ;     Parent Loop BB280_56 Depth=2
                                        ; =>    This Inner Loop Header: Depth=3
	s_delay_alu instid0(SALU_CYCLE_1)
	s_add_i32 s27, s27, -1
	s_sleep 1
	s_cmp_eq_u32 s27, 0
	s_cbranch_scc0 .LBB280_57
; %bb.58:                               ;   in Loop: Header=BB280_56 Depth=2
	global_load_b64 v[4:5], v[6:7], off glc
	s_cmp_lt_u32 s26, 32
	s_cselect_b32 s27, -1, 0
	s_delay_alu instid0(SALU_CYCLE_1) | instskip(SKIP_3) | instid1(VALU_DEP_1)
	s_cmp_lg_u32 s27, 0
	s_addc_u32 s26, s26, 0
	s_waitcnt vmcnt(0)
	v_and_b32_e32 v56, 0xff, v5
	v_cmp_ne_u16_e32 vcc_lo, 0, v56
	s_or_b32 s25, vcc_lo, s25
	s_delay_alu instid0(SALU_CYCLE_1)
	s_and_not1_b32 exec_lo, exec_lo, s25
	s_cbranch_execnz .LBB280_56
; %bb.59:                               ;   in Loop: Header=BB280_53 Depth=1
	s_or_b32 exec_lo, exec_lo, s25
	s_branch .LBB280_52
.LBB280_60:                             ;   in Loop: Header=BB280_53 Depth=1
                                        ; implicit-def: $vgpr4
                                        ; implicit-def: $vgpr5
	s_cbranch_execz .LBB280_53
; %bb.61:
	s_and_saveexec_b32 s24, s6
	s_cbranch_execz .LBB280_63
; %bb.62:
	s_add_i32 s26, s15, 32
	s_mov_b32 s27, 0
	v_dual_mov_b32 v3, 2 :: v_dual_add_nc_u32 v2, v15, v1
	s_lshl_b64 s[26:27], s[26:27], 3
	v_mov_b32_e32 v4, 0
	v_add_nc_u32_e64 v5, 0x3400, 0
	s_add_u32 s26, s20, s26
	s_addc_u32 s27, s21, s27
	global_store_b64 v4, v[2:3], s[26:27]
	ds_store_2addr_b32 v5, v1, v15 offset1:2
.LBB280_63:
	s_or_b32 exec_lo, exec_lo, s24
	v_cmp_eq_u32_e32 vcc_lo, 0, v0
	s_and_b32 exec_lo, exec_lo, vcc_lo
	s_cbranch_execz .LBB280_65
; %bb.64:
	v_mov_b32_e32 v1, 0
	ds_store_b32 v1, v15 offset:28
.LBB280_65:
	s_or_b32 exec_lo, exec_lo, s7
	s_waitcnt lgkmcnt(0)
	v_cndmask_b32_e64 v2, v9, v8, s6
	v_cmp_ne_u32_e32 vcc_lo, 0, v0
	v_mov_b32_e32 v1, 0
	s_waitcnt_vscnt null, 0x0
	s_barrier
	buffer_gl0_inv
	v_cndmask_b32_e32 v2, 0, v2, vcc_lo
	ds_load_b32 v1, v1 offset:28
	v_add_nc_u32_e64 v11, 0x3400, 0
	s_waitcnt lgkmcnt(0)
	s_barrier
	buffer_gl0_inv
	ds_load_2addr_b32 v[16:17], v11 offset1:2
	v_add_nc_u32_e32 v1, v1, v2
	s_delay_alu instid0(VALU_DEP_1) | instskip(NEXT) | instid1(VALU_DEP_1)
	v_add_nc_u32_e32 v2, v1, v41
	v_add_nc_u32_e32 v3, v2, v42
	s_delay_alu instid0(VALU_DEP_1) | instskip(NEXT) | instid1(VALU_DEP_1)
	v_add_nc_u32_e32 v4, v3, v43
	;; [unrolled: 3-line block ×6, first 2 shown]
	v_add_nc_u32_e32 v13, v12, v36
	s_branch .LBB280_76
.LBB280_66:
                                        ; implicit-def: $vgpr17
                                        ; implicit-def: $vgpr1_vgpr2_vgpr3_vgpr4_vgpr5_vgpr6_vgpr7_vgpr8_vgpr9_vgpr10_vgpr11_vgpr12_vgpr13_vgpr14_vgpr15_vgpr16
	s_and_b32 vcc_lo, exec_lo, s6
	s_cbranch_vccz .LBB280_76
; %bb.67:
	s_delay_alu instid0(VALU_DEP_1) | instskip(NEXT) | instid1(VALU_DEP_1)
	v_mov_b32_dpp v1, v52 row_shr:1 row_mask:0xf bank_mask:0xf
	v_cndmask_b32_e64 v1, v1, 0, s5
	s_delay_alu instid0(VALU_DEP_1) | instskip(NEXT) | instid1(VALU_DEP_1)
	v_add_nc_u32_e32 v1, v1, v52
	v_mov_b32_dpp v2, v1 row_shr:2 row_mask:0xf bank_mask:0xf
	s_delay_alu instid0(VALU_DEP_1) | instskip(NEXT) | instid1(VALU_DEP_1)
	v_cndmask_b32_e64 v2, 0, v2, s4
	v_add_nc_u32_e32 v1, v1, v2
	s_delay_alu instid0(VALU_DEP_1) | instskip(NEXT) | instid1(VALU_DEP_1)
	v_mov_b32_dpp v2, v1 row_shr:4 row_mask:0xf bank_mask:0xf
	v_cndmask_b32_e64 v2, 0, v2, s3
	s_delay_alu instid0(VALU_DEP_1) | instskip(NEXT) | instid1(VALU_DEP_1)
	v_add_nc_u32_e32 v1, v1, v2
	v_mov_b32_dpp v2, v1 row_shr:8 row_mask:0xf bank_mask:0xf
	s_delay_alu instid0(VALU_DEP_1) | instskip(NEXT) | instid1(VALU_DEP_1)
	v_cndmask_b32_e64 v2, 0, v2, s2
	v_add_nc_u32_e32 v1, v1, v2
	ds_swizzle_b32 v2, v1 offset:swizzle(BROADCAST,32,15)
	s_waitcnt lgkmcnt(0)
	v_cndmask_b32_e64 v2, v2, 0, s1
	s_delay_alu instid0(VALU_DEP_1)
	v_add_nc_u32_e32 v1, v1, v2
	s_and_saveexec_b32 s1, s0
	s_cbranch_execz .LBB280_69
; %bb.68:
	v_lshlrev_b32_e32 v2, 2, v51
	ds_store_b32 v2, v1
.LBB280_69:
	s_or_b32 exec_lo, exec_lo, s1
	s_delay_alu instid0(SALU_CYCLE_1)
	s_mov_b32 s0, exec_lo
	s_waitcnt lgkmcnt(0)
	s_barrier
	buffer_gl0_inv
	v_cmpx_gt_u32_e32 8, v0
	s_cbranch_execz .LBB280_71
; %bb.70:
	ds_load_b32 v2, v30
	s_waitcnt lgkmcnt(0)
	v_mov_b32_dpp v4, v2 row_shr:1 row_mask:0xf bank_mask:0xf
	v_and_b32_e32 v3, 7, v50
	s_delay_alu instid0(VALU_DEP_1) | instskip(NEXT) | instid1(VALU_DEP_3)
	v_cmp_ne_u32_e32 vcc_lo, 0, v3
	v_cndmask_b32_e32 v4, 0, v4, vcc_lo
	v_cmp_lt_u32_e32 vcc_lo, 1, v3
	s_delay_alu instid0(VALU_DEP_2) | instskip(NEXT) | instid1(VALU_DEP_1)
	v_add_nc_u32_e32 v2, v4, v2
	v_mov_b32_dpp v4, v2 row_shr:2 row_mask:0xf bank_mask:0xf
	s_delay_alu instid0(VALU_DEP_1) | instskip(SKIP_1) | instid1(VALU_DEP_2)
	v_cndmask_b32_e32 v4, 0, v4, vcc_lo
	v_cmp_lt_u32_e32 vcc_lo, 3, v3
	v_add_nc_u32_e32 v2, v2, v4
	s_delay_alu instid0(VALU_DEP_1) | instskip(NEXT) | instid1(VALU_DEP_1)
	v_mov_b32_dpp v4, v2 row_shr:4 row_mask:0xf bank_mask:0xf
	v_cndmask_b32_e32 v3, 0, v4, vcc_lo
	s_delay_alu instid0(VALU_DEP_1)
	v_add_nc_u32_e32 v2, v2, v3
	ds_store_b32 v30, v2
.LBB280_71:
	s_or_b32 exec_lo, exec_lo, s0
	v_dual_mov_b32 v3, 0 :: v_dual_mov_b32 v2, 0
	s_mov_b32 s0, exec_lo
	s_waitcnt lgkmcnt(0)
	s_barrier
	buffer_gl0_inv
	v_cmpx_lt_u32_e32 31, v0
	s_cbranch_execz .LBB280_73
; %bb.72:
	v_lshl_add_u32 v2, v51, 2, -4
	ds_load_b32 v2, v2
.LBB280_73:
	s_or_b32 exec_lo, exec_lo, s0
	v_add_nc_u32_e32 v4, -1, v50
	ds_load_b32 v16, v3 offset:28
	s_waitcnt lgkmcnt(1)
	v_add_nc_u32_e32 v1, v2, v1
	v_cmp_gt_i32_e32 vcc_lo, 0, v4
	v_cndmask_b32_e32 v4, v4, v50, vcc_lo
	v_cmp_eq_u32_e32 vcc_lo, 0, v0
	s_delay_alu instid0(VALU_DEP_2)
	v_lshlrev_b32_e32 v4, 2, v4
	ds_bpermute_b32 v1, v4, v1
	s_and_saveexec_b32 s0, vcc_lo
	s_cbranch_execz .LBB280_75
; %bb.74:
	v_mov_b32_e32 v3, 0
	v_mov_b32_e32 v17, 2
	s_waitcnt lgkmcnt(1)
	global_store_b64 v3, v[16:17], s[20:21] offset:256
.LBB280_75:
	s_or_b32 exec_lo, exec_lo, s0
	v_cmp_eq_u32_e64 s0, 0, v50
	s_waitcnt lgkmcnt(0)
	s_waitcnt_vscnt null, 0x0
	s_barrier
	buffer_gl0_inv
	v_mov_b32_e32 v17, 0
	v_cndmask_b32_e64 v1, v1, v2, s0
	s_delay_alu instid0(VALU_DEP_1) | instskip(NEXT) | instid1(VALU_DEP_1)
	v_cndmask_b32_e64 v1, v1, 0, vcc_lo
	v_add_nc_u32_e32 v2, v1, v41
	s_delay_alu instid0(VALU_DEP_1) | instskip(NEXT) | instid1(VALU_DEP_1)
	v_add_nc_u32_e32 v3, v2, v42
	v_add_nc_u32_e32 v4, v3, v43
	s_delay_alu instid0(VALU_DEP_1) | instskip(NEXT) | instid1(VALU_DEP_1)
	v_add_nc_u32_e32 v5, v4, v40
	;; [unrolled: 3-line block ×5, first 2 shown]
	v_add_nc_u32_e32 v12, v11, v49
	s_delay_alu instid0(VALU_DEP_1)
	v_add_nc_u32_e32 v13, v12, v36
.LBB280_76:
	v_lshrrev_b32_e32 v44, 8, v39
	v_lshrrev_b32_e32 v43, 16, v39
	s_waitcnt lgkmcnt(0)
	v_sub_nc_u32_e32 v1, v1, v17
	v_and_b32_e32 v39, 1, v39
	v_sub_nc_u32_e32 v3, v3, v17
	v_add_nc_u32_e32 v33, v16, v33
	v_sub_nc_u32_e32 v2, v2, v17
	v_sub_nc_u32_e32 v4, v4, v17
	v_cmp_eq_u32_e32 vcc_lo, 1, v39
	v_and_b32_e32 v39, 1, v43
	v_sub_nc_u32_e32 v45, v33, v1
	v_and_b32_e32 v44, 1, v44
	v_sub_nc_u32_e32 v43, v33, v2
	v_lshrrev_b32_e32 v42, 8, v37
	v_lshrrev_b32_e32 v41, 16, v37
	v_cndmask_b32_e32 v1, v45, v1, vcc_lo
	v_sub_nc_u32_e32 v45, v33, v3
	v_add_nc_u32_e32 v43, 1, v43
	v_cmp_eq_u32_e32 vcc_lo, 1, v44
	v_and_b32_e32 v40, 1, v40
	v_lshlrev_b32_e32 v1, 2, v1
	v_add_nc_u32_e32 v45, 2, v45
	v_lshrrev_b32_e32 v15, 8, v35
	v_lshrrev_b32_e32 v14, 16, v35
	ds_store_b32 v1, v28
	v_cndmask_b32_e32 v1, v43, v2, vcc_lo
	v_cmp_eq_u32_e32 vcc_lo, 1, v39
	v_or_b32_e32 v28, 0x500, v0
	s_delay_alu instid0(VALU_DEP_3)
	v_dual_cndmask_b32 v2, v45, v3 :: v_dual_lshlrev_b32 v1, 2, v1
	v_sub_nc_u32_e32 v46, v33, v4
	v_cmp_eq_u32_e32 vcc_lo, 1, v40
	ds_store_b32 v1, v29
	v_lshlrev_b32_e32 v2, 2, v2
	v_add_nc_u32_e32 v46, 3, v46
	v_or_b32_e32 v29, 0x400, v0
	s_delay_alu instid0(VALU_DEP_2) | instskip(SKIP_2) | instid1(VALU_DEP_3)
	v_cndmask_b32_e32 v3, v46, v4, vcc_lo
	v_sub_nc_u32_e32 v4, v5, v17
	v_sub_nc_u32_e32 v5, v6, v17
	v_lshlrev_b32_e32 v3, 2, v3
	s_delay_alu instid0(VALU_DEP_3) | instskip(NEXT) | instid1(VALU_DEP_3)
	v_sub_nc_u32_e32 v1, v33, v4
	v_sub_nc_u32_e32 v6, v33, v5
	ds_store_b32 v2, v26
	ds_store_b32 v3, v27
	v_and_b32_e32 v2, 1, v37
	v_add_nc_u32_e32 v1, 4, v1
	v_add_nc_u32_e32 v3, 5, v6
	v_sub_nc_u32_e32 v6, v7, v17
	v_and_b32_e32 v7, 1, v42
	v_cmp_eq_u32_e32 vcc_lo, 1, v2
	v_sub_nc_u32_e32 v2, v8, v17
	v_and_b32_e32 v8, 1, v38
	v_or_b32_e32 v27, 0x600, v0
	v_or_b32_e32 v26, 0x700, v0
	v_cndmask_b32_e32 v1, v1, v4, vcc_lo
	v_sub_nc_u32_e32 v4, v33, v6
	v_cmp_eq_u32_e32 vcc_lo, 1, v7
	v_and_b32_e32 v7, 1, v41
	s_delay_alu instid0(VALU_DEP_4) | instskip(NEXT) | instid1(VALU_DEP_4)
	v_lshlrev_b32_e32 v1, 2, v1
	v_dual_cndmask_b32 v3, v3, v5 :: v_dual_add_nc_u32 v4, 6, v4
	v_sub_nc_u32_e32 v5, v33, v2
	s_delay_alu instid0(VALU_DEP_4) | instskip(SKIP_1) | instid1(VALU_DEP_4)
	v_cmp_eq_u32_e32 vcc_lo, 1, v7
	v_sub_nc_u32_e32 v7, v13, v17
	v_lshlrev_b32_e32 v3, 2, v3
	s_delay_alu instid0(VALU_DEP_4)
	v_dual_cndmask_b32 v4, v4, v6 :: v_dual_add_nc_u32 v5, 7, v5
	v_cmp_eq_u32_e32 vcc_lo, 1, v8
	v_sub_nc_u32_e32 v6, v9, v17
	ds_store_b32 v1, v24
	ds_store_b32 v3, v25
	v_or_b32_e32 v25, 0x800, v0
	v_dual_cndmask_b32 v2, v5, v2 :: v_dual_lshlrev_b32 v3, 2, v4
	v_and_b32_e32 v5, 1, v35
	v_sub_nc_u32_e32 v1, v33, v6
	v_sub_nc_u32_e32 v4, v10, v17
	v_and_b32_e32 v10, 1, v36
	v_or_b32_e32 v24, 0x900, v0
	v_cmp_eq_u32_e32 vcc_lo, 1, v5
	v_sub_nc_u32_e32 v5, v12, v17
	v_add_nc_u32_e32 v1, 8, v1
	s_delay_alu instid0(VALU_DEP_2) | instskip(NEXT) | instid1(VALU_DEP_2)
	v_sub_nc_u32_e32 v9, v33, v5
	v_dual_cndmask_b32 v1, v1, v6 :: v_dual_and_b32 v6, 1, v15
	v_add_co_u32 v15, s0, s18, v17
	s_delay_alu instid0(VALU_DEP_3)
	v_add_nc_u32_e32 v9, 11, v9
	v_lshlrev_b32_e32 v2, 2, v2
	ds_store_b32 v3, v22
	ds_store_b32 v2, v23
	v_sub_nc_u32_e32 v3, v11, v17
	v_sub_nc_u32_e32 v2, v33, v4
	v_cmp_eq_u32_e32 vcc_lo, 1, v6
	v_and_b32_e32 v11, 1, v34
	v_lshlrev_b32_e32 v1, 2, v1
	v_sub_nc_u32_e32 v8, v33, v3
	v_add_nc_u32_e32 v2, 9, v2
	v_add_co_ci_u32_e64 v17, null, s19, 0, s0
	s_add_u32 s0, s16, s23
	s_delay_alu instid0(VALU_DEP_3)
	v_add_nc_u32_e32 v6, 10, v8
	v_and_b32_e32 v8, 1, v14
	v_cndmask_b32_e32 v2, v2, v4, vcc_lo
	v_sub_nc_u32_e32 v4, v33, v7
	s_addc_u32 s1, s17, 0
	s_sub_u32 s0, s12, s0
	v_cmp_eq_u32_e32 vcc_lo, 1, v8
	v_lshlrev_b32_e32 v2, 2, v2
	v_add_nc_u32_e32 v4, 12, v4
	s_subb_u32 s1, s13, s1
	v_add_co_u32 v13, s0, s0, v16
	v_cndmask_b32_e32 v3, v6, v3, vcc_lo
	v_cmp_eq_u32_e32 vcc_lo, 1, v10
	v_add_co_ci_u32_e64 v14, null, s1, 0, s0
	v_or_b32_e32 v34, 0x100, v0
	s_delay_alu instid0(VALU_DEP_4)
	v_lshlrev_b32_e32 v3, 2, v3
	v_cndmask_b32_e32 v5, v9, v5, vcc_lo
	v_cmp_eq_u32_e32 vcc_lo, 1, v11
	v_or_b32_e32 v33, 0x200, v0
	v_or_b32_e32 v23, 0xa00, v0
	;; [unrolled: 1-line block ×3, first 2 shown]
	v_dual_cndmask_b32 v4, v4, v7 :: v_dual_lshlrev_b32 v5, 2, v5
	v_cmp_ne_u32_e32 vcc_lo, 1, v31
	s_delay_alu instid0(VALU_DEP_2)
	v_lshlrev_b32_e32 v4, 2, v4
	ds_store_b32 v1, v20
	ds_store_b32 v2, v21
	;; [unrolled: 1-line block ×5, first 2 shown]
	s_waitcnt lgkmcnt(0)
	s_barrier
	buffer_gl0_inv
	ds_load_2addr_stride64_b32 v[11:12], v30 offset1:4
	ds_load_2addr_stride64_b32 v[9:10], v30 offset0:8 offset1:12
	ds_load_2addr_stride64_b32 v[7:8], v30 offset0:16 offset1:20
	;; [unrolled: 1-line block ×5, first 2 shown]
	ds_load_b32 v18, v30 offset:12288
	v_add_co_u32 v20, s0, v13, v15
	v_or_b32_e32 v32, 0x300, v0
	v_or_b32_e32 v19, 0xc00, v0
	v_add_co_ci_u32_e64 v21, s0, v14, v17, s0
	s_mov_b32 s0, 0
	s_cbranch_vccnz .LBB280_130
; %bb.77:
	s_mov_b32 s0, exec_lo
                                        ; implicit-def: $vgpr13_vgpr14
	v_cmpx_ge_u32_e64 v0, v16
	s_xor_b32 s0, exec_lo, s0
; %bb.78:
	v_not_b32_e32 v13, v0
	s_delay_alu instid0(VALU_DEP_1) | instskip(SKIP_1) | instid1(VALU_DEP_2)
	v_ashrrev_i32_e32 v14, 31, v13
	v_add_co_u32 v13, vcc_lo, v20, v13
	v_add_co_ci_u32_e32 v14, vcc_lo, v21, v14, vcc_lo
; %bb.79:
	s_and_not1_saveexec_b32 s0, s0
; %bb.80:
	v_add_co_u32 v13, vcc_lo, v15, v0
	v_add_co_ci_u32_e32 v14, vcc_lo, 0, v17, vcc_lo
; %bb.81:
	s_or_b32 exec_lo, exec_lo, s0
	s_delay_alu instid0(VALU_DEP_1) | instskip(SKIP_1) | instid1(VALU_DEP_1)
	v_lshlrev_b64 v[13:14], 2, v[13:14]
	s_mov_b32 s0, exec_lo
	v_add_co_u32 v13, vcc_lo, s10, v13
	s_delay_alu instid0(VALU_DEP_2)
	v_add_co_ci_u32_e32 v14, vcc_lo, s11, v14, vcc_lo
	s_waitcnt lgkmcnt(6)
	global_store_b32 v[13:14], v11, off
                                        ; implicit-def: $vgpr13_vgpr14
	v_cmpx_ge_u32_e64 v34, v16
	s_xor_b32 s0, exec_lo, s0
; %bb.82:
	v_xor_b32_e32 v13, 0xfffffeff, v0
	s_delay_alu instid0(VALU_DEP_1) | instskip(SKIP_1) | instid1(VALU_DEP_2)
	v_ashrrev_i32_e32 v14, 31, v13
	v_add_co_u32 v13, vcc_lo, v20, v13
	v_add_co_ci_u32_e32 v14, vcc_lo, v21, v14, vcc_lo
; %bb.83:
	s_and_not1_saveexec_b32 s0, s0
; %bb.84:
	v_add_co_u32 v13, vcc_lo, v15, v34
	v_add_co_ci_u32_e32 v14, vcc_lo, 0, v17, vcc_lo
; %bb.85:
	s_or_b32 exec_lo, exec_lo, s0
	s_delay_alu instid0(VALU_DEP_1) | instskip(SKIP_1) | instid1(VALU_DEP_1)
	v_lshlrev_b64 v[13:14], 2, v[13:14]
	s_mov_b32 s0, exec_lo
	v_add_co_u32 v13, vcc_lo, s10, v13
	s_delay_alu instid0(VALU_DEP_2)
	v_add_co_ci_u32_e32 v14, vcc_lo, s11, v14, vcc_lo
	global_store_b32 v[13:14], v12, off
                                        ; implicit-def: $vgpr13_vgpr14
	v_cmpx_ge_u32_e64 v33, v16
	s_xor_b32 s0, exec_lo, s0
; %bb.86:
	v_xor_b32_e32 v13, 0xfffffdff, v0
	s_delay_alu instid0(VALU_DEP_1) | instskip(SKIP_1) | instid1(VALU_DEP_2)
	v_ashrrev_i32_e32 v14, 31, v13
	v_add_co_u32 v13, vcc_lo, v20, v13
	v_add_co_ci_u32_e32 v14, vcc_lo, v21, v14, vcc_lo
; %bb.87:
	s_and_not1_saveexec_b32 s0, s0
; %bb.88:
	v_add_co_u32 v13, vcc_lo, v15, v33
	v_add_co_ci_u32_e32 v14, vcc_lo, 0, v17, vcc_lo
; %bb.89:
	s_or_b32 exec_lo, exec_lo, s0
	s_delay_alu instid0(VALU_DEP_1) | instskip(SKIP_1) | instid1(VALU_DEP_1)
	v_lshlrev_b64 v[13:14], 2, v[13:14]
	s_mov_b32 s0, exec_lo
	v_add_co_u32 v13, vcc_lo, s10, v13
	s_delay_alu instid0(VALU_DEP_2)
	v_add_co_ci_u32_e32 v14, vcc_lo, s11, v14, vcc_lo
	s_waitcnt lgkmcnt(5)
	global_store_b32 v[13:14], v9, off
                                        ; implicit-def: $vgpr13_vgpr14
	v_cmpx_ge_u32_e64 v32, v16
	s_xor_b32 s0, exec_lo, s0
; %bb.90:
	v_xor_b32_e32 v13, 0xfffffcff, v0
	s_delay_alu instid0(VALU_DEP_1) | instskip(SKIP_1) | instid1(VALU_DEP_2)
	v_ashrrev_i32_e32 v14, 31, v13
	v_add_co_u32 v13, vcc_lo, v20, v13
	v_add_co_ci_u32_e32 v14, vcc_lo, v21, v14, vcc_lo
; %bb.91:
	s_and_not1_saveexec_b32 s0, s0
; %bb.92:
	v_add_co_u32 v13, vcc_lo, v15, v32
	v_add_co_ci_u32_e32 v14, vcc_lo, 0, v17, vcc_lo
; %bb.93:
	s_or_b32 exec_lo, exec_lo, s0
	s_delay_alu instid0(VALU_DEP_1) | instskip(SKIP_1) | instid1(VALU_DEP_1)
	v_lshlrev_b64 v[13:14], 2, v[13:14]
	s_mov_b32 s0, exec_lo
	v_add_co_u32 v13, vcc_lo, s10, v13
	s_delay_alu instid0(VALU_DEP_2)
	v_add_co_ci_u32_e32 v14, vcc_lo, s11, v14, vcc_lo
	global_store_b32 v[13:14], v10, off
                                        ; implicit-def: $vgpr13_vgpr14
	v_cmpx_ge_u32_e64 v29, v16
	s_xor_b32 s0, exec_lo, s0
; %bb.94:
	v_xor_b32_e32 v13, 0xfffffbff, v0
	s_delay_alu instid0(VALU_DEP_1) | instskip(SKIP_1) | instid1(VALU_DEP_2)
	v_ashrrev_i32_e32 v14, 31, v13
	v_add_co_u32 v13, vcc_lo, v20, v13
	v_add_co_ci_u32_e32 v14, vcc_lo, v21, v14, vcc_lo
; %bb.95:
	s_and_not1_saveexec_b32 s0, s0
; %bb.96:
	v_add_co_u32 v13, vcc_lo, v15, v29
	v_add_co_ci_u32_e32 v14, vcc_lo, 0, v17, vcc_lo
; %bb.97:
	s_or_b32 exec_lo, exec_lo, s0
	s_delay_alu instid0(VALU_DEP_1) | instskip(SKIP_1) | instid1(VALU_DEP_1)
	v_lshlrev_b64 v[13:14], 2, v[13:14]
	s_mov_b32 s0, exec_lo
	v_add_co_u32 v13, vcc_lo, s10, v13
	s_delay_alu instid0(VALU_DEP_2)
	v_add_co_ci_u32_e32 v14, vcc_lo, s11, v14, vcc_lo
	s_waitcnt lgkmcnt(4)
	global_store_b32 v[13:14], v7, off
                                        ; implicit-def: $vgpr13_vgpr14
	v_cmpx_ge_u32_e64 v28, v16
	s_xor_b32 s0, exec_lo, s0
; %bb.98:
	v_xor_b32_e32 v13, 0xfffffaff, v0
	s_delay_alu instid0(VALU_DEP_1) | instskip(SKIP_1) | instid1(VALU_DEP_2)
	v_ashrrev_i32_e32 v14, 31, v13
	v_add_co_u32 v13, vcc_lo, v20, v13
	v_add_co_ci_u32_e32 v14, vcc_lo, v21, v14, vcc_lo
; %bb.99:
	s_and_not1_saveexec_b32 s0, s0
; %bb.100:
	v_add_co_u32 v13, vcc_lo, v15, v28
	v_add_co_ci_u32_e32 v14, vcc_lo, 0, v17, vcc_lo
; %bb.101:
	s_or_b32 exec_lo, exec_lo, s0
	s_delay_alu instid0(VALU_DEP_1) | instskip(SKIP_1) | instid1(VALU_DEP_1)
	v_lshlrev_b64 v[13:14], 2, v[13:14]
	s_mov_b32 s0, exec_lo
	v_add_co_u32 v13, vcc_lo, s10, v13
	s_delay_alu instid0(VALU_DEP_2)
	v_add_co_ci_u32_e32 v14, vcc_lo, s11, v14, vcc_lo
	global_store_b32 v[13:14], v8, off
                                        ; implicit-def: $vgpr13_vgpr14
	v_cmpx_ge_u32_e64 v27, v16
	s_xor_b32 s0, exec_lo, s0
; %bb.102:
	v_xor_b32_e32 v13, 0xfffff9ff, v0
	s_delay_alu instid0(VALU_DEP_1) | instskip(SKIP_1) | instid1(VALU_DEP_2)
	v_ashrrev_i32_e32 v14, 31, v13
	v_add_co_u32 v13, vcc_lo, v20, v13
	v_add_co_ci_u32_e32 v14, vcc_lo, v21, v14, vcc_lo
; %bb.103:
	s_and_not1_saveexec_b32 s0, s0
; %bb.104:
	v_add_co_u32 v13, vcc_lo, v15, v27
	v_add_co_ci_u32_e32 v14, vcc_lo, 0, v17, vcc_lo
; %bb.105:
	s_or_b32 exec_lo, exec_lo, s0
	s_delay_alu instid0(VALU_DEP_1) | instskip(SKIP_1) | instid1(VALU_DEP_1)
	v_lshlrev_b64 v[13:14], 2, v[13:14]
	s_mov_b32 s0, exec_lo
	v_add_co_u32 v13, vcc_lo, s10, v13
	s_delay_alu instid0(VALU_DEP_2)
	v_add_co_ci_u32_e32 v14, vcc_lo, s11, v14, vcc_lo
	s_waitcnt lgkmcnt(3)
	global_store_b32 v[13:14], v5, off
                                        ; implicit-def: $vgpr13_vgpr14
	v_cmpx_ge_u32_e64 v26, v16
	s_xor_b32 s0, exec_lo, s0
; %bb.106:
	v_xor_b32_e32 v13, 0xfffff8ff, v0
	s_delay_alu instid0(VALU_DEP_1) | instskip(SKIP_1) | instid1(VALU_DEP_2)
	v_ashrrev_i32_e32 v14, 31, v13
	v_add_co_u32 v13, vcc_lo, v20, v13
	v_add_co_ci_u32_e32 v14, vcc_lo, v21, v14, vcc_lo
; %bb.107:
	s_and_not1_saveexec_b32 s0, s0
; %bb.108:
	v_add_co_u32 v13, vcc_lo, v15, v26
	v_add_co_ci_u32_e32 v14, vcc_lo, 0, v17, vcc_lo
; %bb.109:
	s_or_b32 exec_lo, exec_lo, s0
	s_delay_alu instid0(VALU_DEP_1) | instskip(SKIP_1) | instid1(VALU_DEP_1)
	v_lshlrev_b64 v[13:14], 2, v[13:14]
	s_mov_b32 s0, exec_lo
	v_add_co_u32 v13, vcc_lo, s10, v13
	s_delay_alu instid0(VALU_DEP_2)
	v_add_co_ci_u32_e32 v14, vcc_lo, s11, v14, vcc_lo
	global_store_b32 v[13:14], v6, off
                                        ; implicit-def: $vgpr13_vgpr14
	v_cmpx_ge_u32_e64 v25, v16
	s_xor_b32 s0, exec_lo, s0
; %bb.110:
	v_xor_b32_e32 v13, 0xfffff7ff, v0
	s_delay_alu instid0(VALU_DEP_1) | instskip(SKIP_1) | instid1(VALU_DEP_2)
	v_ashrrev_i32_e32 v14, 31, v13
	v_add_co_u32 v13, vcc_lo, v20, v13
	v_add_co_ci_u32_e32 v14, vcc_lo, v21, v14, vcc_lo
; %bb.111:
	s_and_not1_saveexec_b32 s0, s0
; %bb.112:
	v_add_co_u32 v13, vcc_lo, v15, v25
	v_add_co_ci_u32_e32 v14, vcc_lo, 0, v17, vcc_lo
; %bb.113:
	s_or_b32 exec_lo, exec_lo, s0
	s_delay_alu instid0(VALU_DEP_1) | instskip(SKIP_1) | instid1(VALU_DEP_1)
	v_lshlrev_b64 v[13:14], 2, v[13:14]
	s_mov_b32 s0, exec_lo
	v_add_co_u32 v13, vcc_lo, s10, v13
	s_delay_alu instid0(VALU_DEP_2)
	v_add_co_ci_u32_e32 v14, vcc_lo, s11, v14, vcc_lo
	s_waitcnt lgkmcnt(2)
	global_store_b32 v[13:14], v3, off
                                        ; implicit-def: $vgpr13_vgpr14
	v_cmpx_ge_u32_e64 v24, v16
	s_xor_b32 s0, exec_lo, s0
; %bb.114:
	v_xor_b32_e32 v13, 0xfffff6ff, v0
	s_delay_alu instid0(VALU_DEP_1) | instskip(SKIP_1) | instid1(VALU_DEP_2)
	v_ashrrev_i32_e32 v14, 31, v13
	v_add_co_u32 v13, vcc_lo, v20, v13
	v_add_co_ci_u32_e32 v14, vcc_lo, v21, v14, vcc_lo
; %bb.115:
	s_and_not1_saveexec_b32 s0, s0
; %bb.116:
	v_add_co_u32 v13, vcc_lo, v15, v24
	v_add_co_ci_u32_e32 v14, vcc_lo, 0, v17, vcc_lo
; %bb.117:
	s_or_b32 exec_lo, exec_lo, s0
	s_delay_alu instid0(VALU_DEP_1) | instskip(SKIP_1) | instid1(VALU_DEP_1)
	v_lshlrev_b64 v[13:14], 2, v[13:14]
	s_mov_b32 s0, exec_lo
	v_add_co_u32 v13, vcc_lo, s10, v13
	s_delay_alu instid0(VALU_DEP_2)
	v_add_co_ci_u32_e32 v14, vcc_lo, s11, v14, vcc_lo
	global_store_b32 v[13:14], v4, off
                                        ; implicit-def: $vgpr13_vgpr14
	v_cmpx_ge_u32_e64 v23, v16
	s_xor_b32 s0, exec_lo, s0
; %bb.118:
	v_xor_b32_e32 v13, 0xfffff5ff, v0
	s_delay_alu instid0(VALU_DEP_1) | instskip(SKIP_1) | instid1(VALU_DEP_2)
	v_ashrrev_i32_e32 v14, 31, v13
	v_add_co_u32 v13, vcc_lo, v20, v13
	v_add_co_ci_u32_e32 v14, vcc_lo, v21, v14, vcc_lo
; %bb.119:
	s_and_not1_saveexec_b32 s0, s0
; %bb.120:
	v_add_co_u32 v13, vcc_lo, v15, v23
	v_add_co_ci_u32_e32 v14, vcc_lo, 0, v17, vcc_lo
; %bb.121:
	s_or_b32 exec_lo, exec_lo, s0
	s_delay_alu instid0(VALU_DEP_1) | instskip(SKIP_1) | instid1(VALU_DEP_1)
	v_lshlrev_b64 v[13:14], 2, v[13:14]
	s_mov_b32 s0, exec_lo
	v_add_co_u32 v13, vcc_lo, s10, v13
	s_delay_alu instid0(VALU_DEP_2)
	v_add_co_ci_u32_e32 v14, vcc_lo, s11, v14, vcc_lo
	s_waitcnt lgkmcnt(1)
	global_store_b32 v[13:14], v1, off
                                        ; implicit-def: $vgpr13_vgpr14
	v_cmpx_ge_u32_e64 v22, v16
	s_xor_b32 s0, exec_lo, s0
; %bb.122:
	v_xor_b32_e32 v13, 0xfffff4ff, v0
	s_delay_alu instid0(VALU_DEP_1) | instskip(SKIP_1) | instid1(VALU_DEP_2)
	v_ashrrev_i32_e32 v14, 31, v13
	v_add_co_u32 v13, vcc_lo, v20, v13
	v_add_co_ci_u32_e32 v14, vcc_lo, v21, v14, vcc_lo
; %bb.123:
	s_and_not1_saveexec_b32 s0, s0
; %bb.124:
	v_add_co_u32 v13, vcc_lo, v15, v22
	v_add_co_ci_u32_e32 v14, vcc_lo, 0, v17, vcc_lo
; %bb.125:
	s_or_b32 exec_lo, exec_lo, s0
	s_delay_alu instid0(VALU_DEP_1) | instskip(SKIP_1) | instid1(VALU_DEP_1)
	v_lshlrev_b64 v[13:14], 2, v[13:14]
	s_mov_b32 s0, exec_lo
	v_add_co_u32 v13, vcc_lo, s10, v13
	s_delay_alu instid0(VALU_DEP_2)
	v_add_co_ci_u32_e32 v14, vcc_lo, s11, v14, vcc_lo
	global_store_b32 v[13:14], v2, off
                                        ; implicit-def: $vgpr13_vgpr14
	v_cmpx_ge_u32_e64 v19, v16
	s_xor_b32 s0, exec_lo, s0
; %bb.126:
	v_xor_b32_e32 v13, 0xfffff3ff, v0
	s_delay_alu instid0(VALU_DEP_1) | instskip(SKIP_1) | instid1(VALU_DEP_2)
	v_ashrrev_i32_e32 v14, 31, v13
	v_add_co_u32 v13, vcc_lo, v20, v13
	v_add_co_ci_u32_e32 v14, vcc_lo, v21, v14, vcc_lo
; %bb.127:
	s_and_not1_saveexec_b32 s0, s0
; %bb.128:
	v_add_co_u32 v13, vcc_lo, v15, v19
	v_add_co_ci_u32_e32 v14, vcc_lo, 0, v17, vcc_lo
; %bb.129:
	s_or_b32 exec_lo, exec_lo, s0
	s_mov_b32 s0, -1
	s_branch .LBB280_210
.LBB280_130:
                                        ; implicit-def: $vgpr13_vgpr14
	s_cbranch_execz .LBB280_210
; %bb.131:
	s_mov_b32 s1, exec_lo
	v_cmpx_gt_u32_e64 s22, v0
	s_cbranch_execz .LBB280_167
; %bb.132:
	s_mov_b32 s2, exec_lo
                                        ; implicit-def: $vgpr13_vgpr14
	v_cmpx_ge_u32_e64 v0, v16
	s_xor_b32 s2, exec_lo, s2
; %bb.133:
	v_not_b32_e32 v13, v0
	s_delay_alu instid0(VALU_DEP_1) | instskip(SKIP_1) | instid1(VALU_DEP_2)
	v_ashrrev_i32_e32 v14, 31, v13
	v_add_co_u32 v13, vcc_lo, v20, v13
	v_add_co_ci_u32_e32 v14, vcc_lo, v21, v14, vcc_lo
; %bb.134:
	s_and_not1_saveexec_b32 s2, s2
; %bb.135:
	v_add_co_u32 v13, vcc_lo, v15, v0
	v_add_co_ci_u32_e32 v14, vcc_lo, 0, v17, vcc_lo
; %bb.136:
	s_or_b32 exec_lo, exec_lo, s2
	s_delay_alu instid0(VALU_DEP_1) | instskip(NEXT) | instid1(VALU_DEP_1)
	v_lshlrev_b64 v[13:14], 2, v[13:14]
	v_add_co_u32 v13, vcc_lo, s10, v13
	s_delay_alu instid0(VALU_DEP_2) | instskip(SKIP_3) | instid1(SALU_CYCLE_1)
	v_add_co_ci_u32_e32 v14, vcc_lo, s11, v14, vcc_lo
	s_waitcnt lgkmcnt(6)
	global_store_b32 v[13:14], v11, off
	s_or_b32 exec_lo, exec_lo, s1
	s_mov_b32 s1, exec_lo
	v_cmpx_gt_u32_e64 s22, v34
	s_cbranch_execnz .LBB280_168
.LBB280_137:
	s_or_b32 exec_lo, exec_lo, s1
	s_delay_alu instid0(SALU_CYCLE_1)
	s_mov_b32 s1, exec_lo
	v_cmpx_gt_u32_e64 s22, v33
	s_cbranch_execz .LBB280_173
.LBB280_138:
	s_mov_b32 s2, exec_lo
                                        ; implicit-def: $vgpr11_vgpr12
	v_cmpx_ge_u32_e64 v33, v16
	s_xor_b32 s2, exec_lo, s2
	s_cbranch_execz .LBB280_140
; %bb.139:
	s_waitcnt lgkmcnt(6)
	v_xor_b32_e32 v11, 0xfffffdff, v0
                                        ; implicit-def: $vgpr33
	s_delay_alu instid0(VALU_DEP_1) | instskip(SKIP_1) | instid1(VALU_DEP_2)
	v_ashrrev_i32_e32 v12, 31, v11
	v_add_co_u32 v11, vcc_lo, v20, v11
	v_add_co_ci_u32_e32 v12, vcc_lo, v21, v12, vcc_lo
.LBB280_140:
	s_and_not1_saveexec_b32 s2, s2
	s_cbranch_execz .LBB280_142
; %bb.141:
	s_waitcnt lgkmcnt(6)
	v_add_co_u32 v11, vcc_lo, v15, v33
	v_add_co_ci_u32_e32 v12, vcc_lo, 0, v17, vcc_lo
.LBB280_142:
	s_or_b32 exec_lo, exec_lo, s2
	s_waitcnt lgkmcnt(6)
	s_delay_alu instid0(VALU_DEP_1) | instskip(NEXT) | instid1(VALU_DEP_1)
	v_lshlrev_b64 v[11:12], 2, v[11:12]
	v_add_co_u32 v11, vcc_lo, s10, v11
	s_delay_alu instid0(VALU_DEP_2) | instskip(SKIP_3) | instid1(SALU_CYCLE_1)
	v_add_co_ci_u32_e32 v12, vcc_lo, s11, v12, vcc_lo
	s_waitcnt lgkmcnt(5)
	global_store_b32 v[11:12], v9, off
	s_or_b32 exec_lo, exec_lo, s1
	s_mov_b32 s1, exec_lo
	v_cmpx_gt_u32_e64 s22, v32
	s_cbranch_execnz .LBB280_174
.LBB280_143:
	s_or_b32 exec_lo, exec_lo, s1
	s_delay_alu instid0(SALU_CYCLE_1)
	s_mov_b32 s1, exec_lo
	v_cmpx_gt_u32_e64 s22, v29
	s_cbranch_execz .LBB280_179
.LBB280_144:
	s_mov_b32 s2, exec_lo
                                        ; implicit-def: $vgpr9_vgpr10
	v_cmpx_ge_u32_e64 v29, v16
	s_xor_b32 s2, exec_lo, s2
	s_cbranch_execz .LBB280_146
; %bb.145:
	s_waitcnt lgkmcnt(5)
	v_xor_b32_e32 v9, 0xfffffbff, v0
                                        ; implicit-def: $vgpr29
	s_delay_alu instid0(VALU_DEP_1) | instskip(SKIP_1) | instid1(VALU_DEP_2)
	v_ashrrev_i32_e32 v10, 31, v9
	v_add_co_u32 v9, vcc_lo, v20, v9
	v_add_co_ci_u32_e32 v10, vcc_lo, v21, v10, vcc_lo
.LBB280_146:
	s_and_not1_saveexec_b32 s2, s2
	s_cbranch_execz .LBB280_148
; %bb.147:
	s_waitcnt lgkmcnt(5)
	v_add_co_u32 v9, vcc_lo, v15, v29
	v_add_co_ci_u32_e32 v10, vcc_lo, 0, v17, vcc_lo
.LBB280_148:
	s_or_b32 exec_lo, exec_lo, s2
	s_waitcnt lgkmcnt(5)
	s_delay_alu instid0(VALU_DEP_1) | instskip(NEXT) | instid1(VALU_DEP_1)
	v_lshlrev_b64 v[9:10], 2, v[9:10]
	v_add_co_u32 v9, vcc_lo, s10, v9
	s_delay_alu instid0(VALU_DEP_2) | instskip(SKIP_3) | instid1(SALU_CYCLE_1)
	v_add_co_ci_u32_e32 v10, vcc_lo, s11, v10, vcc_lo
	s_waitcnt lgkmcnt(4)
	global_store_b32 v[9:10], v7, off
	s_or_b32 exec_lo, exec_lo, s1
	s_mov_b32 s1, exec_lo
	v_cmpx_gt_u32_e64 s22, v28
	s_cbranch_execnz .LBB280_180
.LBB280_149:
	s_or_b32 exec_lo, exec_lo, s1
	s_delay_alu instid0(SALU_CYCLE_1)
	s_mov_b32 s1, exec_lo
	v_cmpx_gt_u32_e64 s22, v27
	s_cbranch_execz .LBB280_185
.LBB280_150:
	s_mov_b32 s2, exec_lo
                                        ; implicit-def: $vgpr7_vgpr8
	v_cmpx_ge_u32_e64 v27, v16
	s_xor_b32 s2, exec_lo, s2
	s_cbranch_execz .LBB280_152
; %bb.151:
	s_waitcnt lgkmcnt(4)
	v_xor_b32_e32 v7, 0xfffff9ff, v0
                                        ; implicit-def: $vgpr27
	s_delay_alu instid0(VALU_DEP_1) | instskip(SKIP_1) | instid1(VALU_DEP_2)
	v_ashrrev_i32_e32 v8, 31, v7
	v_add_co_u32 v7, vcc_lo, v20, v7
	v_add_co_ci_u32_e32 v8, vcc_lo, v21, v8, vcc_lo
.LBB280_152:
	s_and_not1_saveexec_b32 s2, s2
	s_cbranch_execz .LBB280_154
; %bb.153:
	s_waitcnt lgkmcnt(4)
	v_add_co_u32 v7, vcc_lo, v15, v27
	v_add_co_ci_u32_e32 v8, vcc_lo, 0, v17, vcc_lo
.LBB280_154:
	s_or_b32 exec_lo, exec_lo, s2
	s_waitcnt lgkmcnt(4)
	s_delay_alu instid0(VALU_DEP_1) | instskip(NEXT) | instid1(VALU_DEP_1)
	v_lshlrev_b64 v[7:8], 2, v[7:8]
	v_add_co_u32 v7, vcc_lo, s10, v7
	s_delay_alu instid0(VALU_DEP_2) | instskip(SKIP_3) | instid1(SALU_CYCLE_1)
	v_add_co_ci_u32_e32 v8, vcc_lo, s11, v8, vcc_lo
	s_waitcnt lgkmcnt(3)
	global_store_b32 v[7:8], v5, off
	s_or_b32 exec_lo, exec_lo, s1
	s_mov_b32 s1, exec_lo
	v_cmpx_gt_u32_e64 s22, v26
	s_cbranch_execnz .LBB280_186
.LBB280_155:
	s_or_b32 exec_lo, exec_lo, s1
	s_delay_alu instid0(SALU_CYCLE_1)
	s_mov_b32 s1, exec_lo
	v_cmpx_gt_u32_e64 s22, v25
	s_cbranch_execz .LBB280_191
.LBB280_156:
	s_mov_b32 s2, exec_lo
                                        ; implicit-def: $vgpr5_vgpr6
	v_cmpx_ge_u32_e64 v25, v16
	s_xor_b32 s2, exec_lo, s2
	s_cbranch_execz .LBB280_158
; %bb.157:
	s_waitcnt lgkmcnt(3)
	v_xor_b32_e32 v5, 0xfffff7ff, v0
                                        ; implicit-def: $vgpr25
	s_delay_alu instid0(VALU_DEP_1) | instskip(SKIP_1) | instid1(VALU_DEP_2)
	v_ashrrev_i32_e32 v6, 31, v5
	v_add_co_u32 v5, vcc_lo, v20, v5
	v_add_co_ci_u32_e32 v6, vcc_lo, v21, v6, vcc_lo
.LBB280_158:
	s_and_not1_saveexec_b32 s2, s2
	s_cbranch_execz .LBB280_160
; %bb.159:
	s_waitcnt lgkmcnt(3)
	v_add_co_u32 v5, vcc_lo, v15, v25
	v_add_co_ci_u32_e32 v6, vcc_lo, 0, v17, vcc_lo
.LBB280_160:
	s_or_b32 exec_lo, exec_lo, s2
	s_waitcnt lgkmcnt(3)
	s_delay_alu instid0(VALU_DEP_1) | instskip(NEXT) | instid1(VALU_DEP_1)
	v_lshlrev_b64 v[5:6], 2, v[5:6]
	v_add_co_u32 v5, vcc_lo, s10, v5
	s_delay_alu instid0(VALU_DEP_2) | instskip(SKIP_3) | instid1(SALU_CYCLE_1)
	v_add_co_ci_u32_e32 v6, vcc_lo, s11, v6, vcc_lo
	s_waitcnt lgkmcnt(2)
	global_store_b32 v[5:6], v3, off
	s_or_b32 exec_lo, exec_lo, s1
	s_mov_b32 s1, exec_lo
	v_cmpx_gt_u32_e64 s22, v24
	s_cbranch_execnz .LBB280_192
.LBB280_161:
	s_or_b32 exec_lo, exec_lo, s1
	s_delay_alu instid0(SALU_CYCLE_1)
	s_mov_b32 s1, exec_lo
	v_cmpx_gt_u32_e64 s22, v23
	s_cbranch_execz .LBB280_197
.LBB280_162:
	s_mov_b32 s2, exec_lo
                                        ; implicit-def: $vgpr3_vgpr4
	v_cmpx_ge_u32_e64 v23, v16
	s_xor_b32 s2, exec_lo, s2
	s_cbranch_execz .LBB280_164
; %bb.163:
	s_waitcnt lgkmcnt(2)
	v_xor_b32_e32 v3, 0xfffff5ff, v0
                                        ; implicit-def: $vgpr23
	s_delay_alu instid0(VALU_DEP_1) | instskip(SKIP_1) | instid1(VALU_DEP_2)
	v_ashrrev_i32_e32 v4, 31, v3
	v_add_co_u32 v3, vcc_lo, v20, v3
	v_add_co_ci_u32_e32 v4, vcc_lo, v21, v4, vcc_lo
.LBB280_164:
	s_and_not1_saveexec_b32 s2, s2
	s_cbranch_execz .LBB280_166
; %bb.165:
	s_waitcnt lgkmcnt(2)
	v_add_co_u32 v3, vcc_lo, v15, v23
	v_add_co_ci_u32_e32 v4, vcc_lo, 0, v17, vcc_lo
.LBB280_166:
	s_or_b32 exec_lo, exec_lo, s2
	s_waitcnt lgkmcnt(2)
	s_delay_alu instid0(VALU_DEP_1) | instskip(NEXT) | instid1(VALU_DEP_1)
	v_lshlrev_b64 v[3:4], 2, v[3:4]
	v_add_co_u32 v3, vcc_lo, s10, v3
	s_delay_alu instid0(VALU_DEP_2) | instskip(SKIP_3) | instid1(SALU_CYCLE_1)
	v_add_co_ci_u32_e32 v4, vcc_lo, s11, v4, vcc_lo
	s_waitcnt lgkmcnt(1)
	global_store_b32 v[3:4], v1, off
	s_or_b32 exec_lo, exec_lo, s1
	s_mov_b32 s1, exec_lo
	v_cmpx_gt_u32_e64 s22, v22
	s_cbranch_execz .LBB280_203
	s_branch .LBB280_198
.LBB280_167:
	s_or_b32 exec_lo, exec_lo, s1
	s_delay_alu instid0(SALU_CYCLE_1)
	s_mov_b32 s1, exec_lo
	v_cmpx_gt_u32_e64 s22, v34
	s_cbranch_execz .LBB280_137
.LBB280_168:
	s_mov_b32 s2, exec_lo
                                        ; implicit-def: $vgpr13_vgpr14
	v_cmpx_ge_u32_e64 v34, v16
	s_xor_b32 s2, exec_lo, s2
	s_cbranch_execz .LBB280_170
; %bb.169:
	s_waitcnt lgkmcnt(6)
	v_xor_b32_e32 v11, 0xfffffeff, v0
                                        ; implicit-def: $vgpr34
	s_delay_alu instid0(VALU_DEP_1) | instskip(SKIP_1) | instid1(VALU_DEP_2)
	v_ashrrev_i32_e32 v14, 31, v11
	v_add_co_u32 v13, vcc_lo, v20, v11
	v_add_co_ci_u32_e32 v14, vcc_lo, v21, v14, vcc_lo
.LBB280_170:
	s_and_not1_saveexec_b32 s2, s2
; %bb.171:
	v_add_co_u32 v13, vcc_lo, v15, v34
	v_add_co_ci_u32_e32 v14, vcc_lo, 0, v17, vcc_lo
; %bb.172:
	s_or_b32 exec_lo, exec_lo, s2
	s_delay_alu instid0(VALU_DEP_1) | instskip(NEXT) | instid1(VALU_DEP_1)
	v_lshlrev_b64 v[13:14], 2, v[13:14]
	v_add_co_u32 v13, vcc_lo, s10, v13
	s_delay_alu instid0(VALU_DEP_2) | instskip(SKIP_3) | instid1(SALU_CYCLE_1)
	v_add_co_ci_u32_e32 v14, vcc_lo, s11, v14, vcc_lo
	s_waitcnt lgkmcnt(6)
	global_store_b32 v[13:14], v12, off
	s_or_b32 exec_lo, exec_lo, s1
	s_mov_b32 s1, exec_lo
	v_cmpx_gt_u32_e64 s22, v33
	s_cbranch_execnz .LBB280_138
.LBB280_173:
	s_or_b32 exec_lo, exec_lo, s1
	s_delay_alu instid0(SALU_CYCLE_1)
	s_mov_b32 s1, exec_lo
	v_cmpx_gt_u32_e64 s22, v32
	s_cbranch_execz .LBB280_143
.LBB280_174:
	s_mov_b32 s2, exec_lo
                                        ; implicit-def: $vgpr11_vgpr12
	v_cmpx_ge_u32_e64 v32, v16
	s_xor_b32 s2, exec_lo, s2
	s_cbranch_execz .LBB280_176
; %bb.175:
	s_waitcnt lgkmcnt(5)
	v_xor_b32_e32 v9, 0xfffffcff, v0
                                        ; implicit-def: $vgpr32
	s_delay_alu instid0(VALU_DEP_1) | instskip(SKIP_1) | instid1(VALU_DEP_2)
	v_ashrrev_i32_e32 v12, 31, v9
	v_add_co_u32 v11, vcc_lo, v20, v9
	v_add_co_ci_u32_e32 v12, vcc_lo, v21, v12, vcc_lo
.LBB280_176:
	s_and_not1_saveexec_b32 s2, s2
	s_cbranch_execz .LBB280_178
; %bb.177:
	s_waitcnt lgkmcnt(6)
	v_add_co_u32 v11, vcc_lo, v15, v32
	v_add_co_ci_u32_e32 v12, vcc_lo, 0, v17, vcc_lo
.LBB280_178:
	s_or_b32 exec_lo, exec_lo, s2
	s_waitcnt lgkmcnt(6)
	s_delay_alu instid0(VALU_DEP_1) | instskip(NEXT) | instid1(VALU_DEP_1)
	v_lshlrev_b64 v[11:12], 2, v[11:12]
	v_add_co_u32 v11, vcc_lo, s10, v11
	s_delay_alu instid0(VALU_DEP_2) | instskip(SKIP_3) | instid1(SALU_CYCLE_1)
	v_add_co_ci_u32_e32 v12, vcc_lo, s11, v12, vcc_lo
	s_waitcnt lgkmcnt(5)
	global_store_b32 v[11:12], v10, off
	s_or_b32 exec_lo, exec_lo, s1
	s_mov_b32 s1, exec_lo
	v_cmpx_gt_u32_e64 s22, v29
	s_cbranch_execnz .LBB280_144
.LBB280_179:
	s_or_b32 exec_lo, exec_lo, s1
	s_delay_alu instid0(SALU_CYCLE_1)
	s_mov_b32 s1, exec_lo
	v_cmpx_gt_u32_e64 s22, v28
	s_cbranch_execz .LBB280_149
.LBB280_180:
	s_mov_b32 s2, exec_lo
                                        ; implicit-def: $vgpr9_vgpr10
	v_cmpx_ge_u32_e64 v28, v16
	s_xor_b32 s2, exec_lo, s2
	s_cbranch_execz .LBB280_182
; %bb.181:
	s_waitcnt lgkmcnt(4)
	v_xor_b32_e32 v7, 0xfffffaff, v0
                                        ; implicit-def: $vgpr28
	s_delay_alu instid0(VALU_DEP_1) | instskip(SKIP_1) | instid1(VALU_DEP_2)
	v_ashrrev_i32_e32 v10, 31, v7
	v_add_co_u32 v9, vcc_lo, v20, v7
	v_add_co_ci_u32_e32 v10, vcc_lo, v21, v10, vcc_lo
.LBB280_182:
	s_and_not1_saveexec_b32 s2, s2
	s_cbranch_execz .LBB280_184
; %bb.183:
	s_waitcnt lgkmcnt(5)
	v_add_co_u32 v9, vcc_lo, v15, v28
	v_add_co_ci_u32_e32 v10, vcc_lo, 0, v17, vcc_lo
.LBB280_184:
	s_or_b32 exec_lo, exec_lo, s2
	s_waitcnt lgkmcnt(5)
	s_delay_alu instid0(VALU_DEP_1) | instskip(NEXT) | instid1(VALU_DEP_1)
	v_lshlrev_b64 v[9:10], 2, v[9:10]
	v_add_co_u32 v9, vcc_lo, s10, v9
	s_delay_alu instid0(VALU_DEP_2) | instskip(SKIP_3) | instid1(SALU_CYCLE_1)
	v_add_co_ci_u32_e32 v10, vcc_lo, s11, v10, vcc_lo
	s_waitcnt lgkmcnt(4)
	global_store_b32 v[9:10], v8, off
	s_or_b32 exec_lo, exec_lo, s1
	s_mov_b32 s1, exec_lo
	v_cmpx_gt_u32_e64 s22, v27
	s_cbranch_execnz .LBB280_150
.LBB280_185:
	s_or_b32 exec_lo, exec_lo, s1
	s_delay_alu instid0(SALU_CYCLE_1)
	s_mov_b32 s1, exec_lo
	v_cmpx_gt_u32_e64 s22, v26
	s_cbranch_execz .LBB280_155
.LBB280_186:
	s_mov_b32 s2, exec_lo
                                        ; implicit-def: $vgpr7_vgpr8
	v_cmpx_ge_u32_e64 v26, v16
	s_xor_b32 s2, exec_lo, s2
	s_cbranch_execz .LBB280_188
; %bb.187:
	s_waitcnt lgkmcnt(3)
	v_xor_b32_e32 v5, 0xfffff8ff, v0
                                        ; implicit-def: $vgpr26
	s_delay_alu instid0(VALU_DEP_1) | instskip(SKIP_1) | instid1(VALU_DEP_2)
	v_ashrrev_i32_e32 v8, 31, v5
	v_add_co_u32 v7, vcc_lo, v20, v5
	v_add_co_ci_u32_e32 v8, vcc_lo, v21, v8, vcc_lo
.LBB280_188:
	s_and_not1_saveexec_b32 s2, s2
	s_cbranch_execz .LBB280_190
; %bb.189:
	s_waitcnt lgkmcnt(4)
	v_add_co_u32 v7, vcc_lo, v15, v26
	v_add_co_ci_u32_e32 v8, vcc_lo, 0, v17, vcc_lo
.LBB280_190:
	s_or_b32 exec_lo, exec_lo, s2
	s_waitcnt lgkmcnt(4)
	s_delay_alu instid0(VALU_DEP_1) | instskip(NEXT) | instid1(VALU_DEP_1)
	v_lshlrev_b64 v[7:8], 2, v[7:8]
	v_add_co_u32 v7, vcc_lo, s10, v7
	s_delay_alu instid0(VALU_DEP_2) | instskip(SKIP_3) | instid1(SALU_CYCLE_1)
	v_add_co_ci_u32_e32 v8, vcc_lo, s11, v8, vcc_lo
	s_waitcnt lgkmcnt(3)
	global_store_b32 v[7:8], v6, off
	s_or_b32 exec_lo, exec_lo, s1
	s_mov_b32 s1, exec_lo
	v_cmpx_gt_u32_e64 s22, v25
	s_cbranch_execnz .LBB280_156
.LBB280_191:
	s_or_b32 exec_lo, exec_lo, s1
	s_delay_alu instid0(SALU_CYCLE_1)
	s_mov_b32 s1, exec_lo
	v_cmpx_gt_u32_e64 s22, v24
	s_cbranch_execz .LBB280_161
.LBB280_192:
	s_mov_b32 s2, exec_lo
                                        ; implicit-def: $vgpr5_vgpr6
	v_cmpx_ge_u32_e64 v24, v16
	s_xor_b32 s2, exec_lo, s2
	s_cbranch_execz .LBB280_194
; %bb.193:
	s_waitcnt lgkmcnt(2)
	v_xor_b32_e32 v3, 0xfffff6ff, v0
                                        ; implicit-def: $vgpr24
	s_delay_alu instid0(VALU_DEP_1) | instskip(SKIP_1) | instid1(VALU_DEP_2)
	v_ashrrev_i32_e32 v6, 31, v3
	v_add_co_u32 v5, vcc_lo, v20, v3
	v_add_co_ci_u32_e32 v6, vcc_lo, v21, v6, vcc_lo
.LBB280_194:
	s_and_not1_saveexec_b32 s2, s2
	s_cbranch_execz .LBB280_196
; %bb.195:
	s_waitcnt lgkmcnt(3)
	v_add_co_u32 v5, vcc_lo, v15, v24
	v_add_co_ci_u32_e32 v6, vcc_lo, 0, v17, vcc_lo
.LBB280_196:
	s_or_b32 exec_lo, exec_lo, s2
	s_waitcnt lgkmcnt(3)
	s_delay_alu instid0(VALU_DEP_1) | instskip(NEXT) | instid1(VALU_DEP_1)
	v_lshlrev_b64 v[5:6], 2, v[5:6]
	v_add_co_u32 v5, vcc_lo, s10, v5
	s_delay_alu instid0(VALU_DEP_2) | instskip(SKIP_3) | instid1(SALU_CYCLE_1)
	v_add_co_ci_u32_e32 v6, vcc_lo, s11, v6, vcc_lo
	s_waitcnt lgkmcnt(2)
	global_store_b32 v[5:6], v4, off
	s_or_b32 exec_lo, exec_lo, s1
	s_mov_b32 s1, exec_lo
	v_cmpx_gt_u32_e64 s22, v23
	s_cbranch_execnz .LBB280_162
.LBB280_197:
	s_or_b32 exec_lo, exec_lo, s1
	s_delay_alu instid0(SALU_CYCLE_1)
	s_mov_b32 s1, exec_lo
	v_cmpx_gt_u32_e64 s22, v22
	s_cbranch_execz .LBB280_203
.LBB280_198:
	s_mov_b32 s2, exec_lo
                                        ; implicit-def: $vgpr3_vgpr4
	v_cmpx_ge_u32_e64 v22, v16
	s_xor_b32 s2, exec_lo, s2
	s_cbranch_execz .LBB280_200
; %bb.199:
	s_waitcnt lgkmcnt(1)
	v_xor_b32_e32 v1, 0xfffff4ff, v0
                                        ; implicit-def: $vgpr22
	s_delay_alu instid0(VALU_DEP_1) | instskip(SKIP_1) | instid1(VALU_DEP_2)
	v_ashrrev_i32_e32 v4, 31, v1
	v_add_co_u32 v3, vcc_lo, v20, v1
	v_add_co_ci_u32_e32 v4, vcc_lo, v21, v4, vcc_lo
.LBB280_200:
	s_and_not1_saveexec_b32 s2, s2
	s_cbranch_execz .LBB280_202
; %bb.201:
	s_waitcnt lgkmcnt(2)
	v_add_co_u32 v3, vcc_lo, v15, v22
	v_add_co_ci_u32_e32 v4, vcc_lo, 0, v17, vcc_lo
.LBB280_202:
	s_or_b32 exec_lo, exec_lo, s2
	s_waitcnt lgkmcnt(2)
	s_delay_alu instid0(VALU_DEP_1) | instskip(NEXT) | instid1(VALU_DEP_1)
	v_lshlrev_b64 v[3:4], 2, v[3:4]
	v_add_co_u32 v3, vcc_lo, s10, v3
	s_delay_alu instid0(VALU_DEP_2)
	v_add_co_ci_u32_e32 v4, vcc_lo, s11, v4, vcc_lo
	s_waitcnt lgkmcnt(1)
	global_store_b32 v[3:4], v2, off
.LBB280_203:
	s_or_b32 exec_lo, exec_lo, s1
	s_delay_alu instid0(SALU_CYCLE_1)
	s_mov_b32 s1, exec_lo
                                        ; implicit-def: $vgpr13_vgpr14
	v_cmpx_gt_u32_e64 s22, v19
	s_cbranch_execz .LBB280_209
; %bb.204:
	s_mov_b32 s2, exec_lo
                                        ; implicit-def: $vgpr13_vgpr14
	v_cmpx_ge_u32_e64 v19, v16
	s_xor_b32 s2, exec_lo, s2
	s_cbranch_execz .LBB280_206
; %bb.205:
	s_waitcnt lgkmcnt(1)
	v_xor_b32_e32 v1, 0xfffff3ff, v0
                                        ; implicit-def: $vgpr19
	s_delay_alu instid0(VALU_DEP_1) | instskip(SKIP_1) | instid1(VALU_DEP_2)
	v_ashrrev_i32_e32 v2, 31, v1
	v_add_co_u32 v13, vcc_lo, v20, v1
	v_add_co_ci_u32_e32 v14, vcc_lo, v21, v2, vcc_lo
.LBB280_206:
	s_and_not1_saveexec_b32 s2, s2
; %bb.207:
	v_add_co_u32 v13, vcc_lo, v15, v19
	v_add_co_ci_u32_e32 v14, vcc_lo, 0, v17, vcc_lo
; %bb.208:
	s_or_b32 exec_lo, exec_lo, s2
	s_delay_alu instid0(SALU_CYCLE_1)
	s_or_b32 s0, s0, exec_lo
.LBB280_209:
	s_or_b32 exec_lo, exec_lo, s1
.LBB280_210:
	s_and_saveexec_b32 s1, s0
	s_cbranch_execz .LBB280_212
; %bb.211:
	s_waitcnt lgkmcnt(1)
	v_lshlrev_b64 v[1:2], 2, v[13:14]
	s_delay_alu instid0(VALU_DEP_1) | instskip(NEXT) | instid1(VALU_DEP_2)
	v_add_co_u32 v1, vcc_lo, s10, v1
	v_add_co_ci_u32_e32 v2, vcc_lo, s11, v2, vcc_lo
	s_waitcnt lgkmcnt(0)
	global_store_b32 v[1:2], v18, off
.LBB280_212:
	s_or_b32 exec_lo, exec_lo, s1
	v_cmp_eq_u32_e32 vcc_lo, 0, v0
	s_and_b32 s0, vcc_lo, s14
	s_delay_alu instid0(SALU_CYCLE_1)
	s_and_saveexec_b32 s1, s0
	s_cbranch_execz .LBB280_214
; %bb.213:
	v_add_co_u32 v0, vcc_lo, v15, v16
	s_waitcnt lgkmcnt(1)
	v_mov_b32_e32 v2, 0
	v_add_co_ci_u32_e32 v1, vcc_lo, 0, v17, vcc_lo
	global_store_b64 v2, v[0:1], s[8:9]
.LBB280_214:
	s_nop 0
	s_sendmsg sendmsg(MSG_DEALLOC_VGPRS)
	s_endpgm
	.section	.rodata,"a",@progbits
	.p2align	6, 0x0
	.amdhsa_kernel _ZN7rocprim17ROCPRIM_400000_NS6detail17trampoline_kernelINS0_13select_configILj256ELj13ELNS0_17block_load_methodE3ELS4_3ELS4_3ELNS0_20block_scan_algorithmE0ELj4294967295EEENS1_25partition_config_selectorILNS1_17partition_subalgoE3EjNS0_10empty_typeEbEEZZNS1_14partition_implILS8_3ELb0ES6_jNS0_17counting_iteratorIjlEEPS9_SE_NS0_5tupleIJPjSE_EEENSF_IJSE_SE_EEES9_SG_JZNS1_25segmented_radix_sort_implINS0_14default_configELb1EPKaPaPKlPlN2at6native12_GLOBAL__N_18offset_tEEE10hipError_tPvRmT1_PNSt15iterator_traitsISY_E10value_typeET2_T3_PNSZ_IS14_E10value_typeET4_jRbjT5_S1A_jjP12ihipStream_tbEUljE_EEESV_SW_SX_S14_S18_S1A_T6_T7_T9_mT8_S1C_bDpT10_ENKUlT_T0_E_clISt17integral_constantIbLb1EES1O_IbLb0EEEEDaS1K_S1L_EUlS1K_E_NS1_11comp_targetILNS1_3genE9ELNS1_11target_archE1100ELNS1_3gpuE3ELNS1_3repE0EEENS1_30default_config_static_selectorELNS0_4arch9wavefront6targetE0EEEvSY_
		.amdhsa_group_segment_fixed_size 13324
		.amdhsa_private_segment_fixed_size 0
		.amdhsa_kernarg_size 144
		.amdhsa_user_sgpr_count 15
		.amdhsa_user_sgpr_dispatch_ptr 0
		.amdhsa_user_sgpr_queue_ptr 0
		.amdhsa_user_sgpr_kernarg_segment_ptr 1
		.amdhsa_user_sgpr_dispatch_id 0
		.amdhsa_user_sgpr_private_segment_size 0
		.amdhsa_wavefront_size32 1
		.amdhsa_uses_dynamic_stack 0
		.amdhsa_enable_private_segment 0
		.amdhsa_system_sgpr_workgroup_id_x 1
		.amdhsa_system_sgpr_workgroup_id_y 0
		.amdhsa_system_sgpr_workgroup_id_z 0
		.amdhsa_system_sgpr_workgroup_info 0
		.amdhsa_system_vgpr_workitem_id 0
		.amdhsa_next_free_vgpr 57
		.amdhsa_next_free_sgpr 28
		.amdhsa_reserve_vcc 1
		.amdhsa_float_round_mode_32 0
		.amdhsa_float_round_mode_16_64 0
		.amdhsa_float_denorm_mode_32 3
		.amdhsa_float_denorm_mode_16_64 3
		.amdhsa_dx10_clamp 1
		.amdhsa_ieee_mode 1
		.amdhsa_fp16_overflow 0
		.amdhsa_workgroup_processor_mode 1
		.amdhsa_memory_ordered 1
		.amdhsa_forward_progress 0
		.amdhsa_shared_vgpr_count 0
		.amdhsa_exception_fp_ieee_invalid_op 0
		.amdhsa_exception_fp_denorm_src 0
		.amdhsa_exception_fp_ieee_div_zero 0
		.amdhsa_exception_fp_ieee_overflow 0
		.amdhsa_exception_fp_ieee_underflow 0
		.amdhsa_exception_fp_ieee_inexact 0
		.amdhsa_exception_int_div_zero 0
	.end_amdhsa_kernel
	.section	.text._ZN7rocprim17ROCPRIM_400000_NS6detail17trampoline_kernelINS0_13select_configILj256ELj13ELNS0_17block_load_methodE3ELS4_3ELS4_3ELNS0_20block_scan_algorithmE0ELj4294967295EEENS1_25partition_config_selectorILNS1_17partition_subalgoE3EjNS0_10empty_typeEbEEZZNS1_14partition_implILS8_3ELb0ES6_jNS0_17counting_iteratorIjlEEPS9_SE_NS0_5tupleIJPjSE_EEENSF_IJSE_SE_EEES9_SG_JZNS1_25segmented_radix_sort_implINS0_14default_configELb1EPKaPaPKlPlN2at6native12_GLOBAL__N_18offset_tEEE10hipError_tPvRmT1_PNSt15iterator_traitsISY_E10value_typeET2_T3_PNSZ_IS14_E10value_typeET4_jRbjT5_S1A_jjP12ihipStream_tbEUljE_EEESV_SW_SX_S14_S18_S1A_T6_T7_T9_mT8_S1C_bDpT10_ENKUlT_T0_E_clISt17integral_constantIbLb1EES1O_IbLb0EEEEDaS1K_S1L_EUlS1K_E_NS1_11comp_targetILNS1_3genE9ELNS1_11target_archE1100ELNS1_3gpuE3ELNS1_3repE0EEENS1_30default_config_static_selectorELNS0_4arch9wavefront6targetE0EEEvSY_,"axG",@progbits,_ZN7rocprim17ROCPRIM_400000_NS6detail17trampoline_kernelINS0_13select_configILj256ELj13ELNS0_17block_load_methodE3ELS4_3ELS4_3ELNS0_20block_scan_algorithmE0ELj4294967295EEENS1_25partition_config_selectorILNS1_17partition_subalgoE3EjNS0_10empty_typeEbEEZZNS1_14partition_implILS8_3ELb0ES6_jNS0_17counting_iteratorIjlEEPS9_SE_NS0_5tupleIJPjSE_EEENSF_IJSE_SE_EEES9_SG_JZNS1_25segmented_radix_sort_implINS0_14default_configELb1EPKaPaPKlPlN2at6native12_GLOBAL__N_18offset_tEEE10hipError_tPvRmT1_PNSt15iterator_traitsISY_E10value_typeET2_T3_PNSZ_IS14_E10value_typeET4_jRbjT5_S1A_jjP12ihipStream_tbEUljE_EEESV_SW_SX_S14_S18_S1A_T6_T7_T9_mT8_S1C_bDpT10_ENKUlT_T0_E_clISt17integral_constantIbLb1EES1O_IbLb0EEEEDaS1K_S1L_EUlS1K_E_NS1_11comp_targetILNS1_3genE9ELNS1_11target_archE1100ELNS1_3gpuE3ELNS1_3repE0EEENS1_30default_config_static_selectorELNS0_4arch9wavefront6targetE0EEEvSY_,comdat
.Lfunc_end280:
	.size	_ZN7rocprim17ROCPRIM_400000_NS6detail17trampoline_kernelINS0_13select_configILj256ELj13ELNS0_17block_load_methodE3ELS4_3ELS4_3ELNS0_20block_scan_algorithmE0ELj4294967295EEENS1_25partition_config_selectorILNS1_17partition_subalgoE3EjNS0_10empty_typeEbEEZZNS1_14partition_implILS8_3ELb0ES6_jNS0_17counting_iteratorIjlEEPS9_SE_NS0_5tupleIJPjSE_EEENSF_IJSE_SE_EEES9_SG_JZNS1_25segmented_radix_sort_implINS0_14default_configELb1EPKaPaPKlPlN2at6native12_GLOBAL__N_18offset_tEEE10hipError_tPvRmT1_PNSt15iterator_traitsISY_E10value_typeET2_T3_PNSZ_IS14_E10value_typeET4_jRbjT5_S1A_jjP12ihipStream_tbEUljE_EEESV_SW_SX_S14_S18_S1A_T6_T7_T9_mT8_S1C_bDpT10_ENKUlT_T0_E_clISt17integral_constantIbLb1EES1O_IbLb0EEEEDaS1K_S1L_EUlS1K_E_NS1_11comp_targetILNS1_3genE9ELNS1_11target_archE1100ELNS1_3gpuE3ELNS1_3repE0EEENS1_30default_config_static_selectorELNS0_4arch9wavefront6targetE0EEEvSY_, .Lfunc_end280-_ZN7rocprim17ROCPRIM_400000_NS6detail17trampoline_kernelINS0_13select_configILj256ELj13ELNS0_17block_load_methodE3ELS4_3ELS4_3ELNS0_20block_scan_algorithmE0ELj4294967295EEENS1_25partition_config_selectorILNS1_17partition_subalgoE3EjNS0_10empty_typeEbEEZZNS1_14partition_implILS8_3ELb0ES6_jNS0_17counting_iteratorIjlEEPS9_SE_NS0_5tupleIJPjSE_EEENSF_IJSE_SE_EEES9_SG_JZNS1_25segmented_radix_sort_implINS0_14default_configELb1EPKaPaPKlPlN2at6native12_GLOBAL__N_18offset_tEEE10hipError_tPvRmT1_PNSt15iterator_traitsISY_E10value_typeET2_T3_PNSZ_IS14_E10value_typeET4_jRbjT5_S1A_jjP12ihipStream_tbEUljE_EEESV_SW_SX_S14_S18_S1A_T6_T7_T9_mT8_S1C_bDpT10_ENKUlT_T0_E_clISt17integral_constantIbLb1EES1O_IbLb0EEEEDaS1K_S1L_EUlS1K_E_NS1_11comp_targetILNS1_3genE9ELNS1_11target_archE1100ELNS1_3gpuE3ELNS1_3repE0EEENS1_30default_config_static_selectorELNS0_4arch9wavefront6targetE0EEEvSY_
                                        ; -- End function
	.section	.AMDGPU.csdata,"",@progbits
; Kernel info:
; codeLenInByte = 8964
; NumSgprs: 30
; NumVgprs: 57
; ScratchSize: 0
; MemoryBound: 0
; FloatMode: 240
; IeeeMode: 1
; LDSByteSize: 13324 bytes/workgroup (compile time only)
; SGPRBlocks: 3
; VGPRBlocks: 7
; NumSGPRsForWavesPerEU: 30
; NumVGPRsForWavesPerEU: 57
; Occupancy: 16
; WaveLimiterHint : 0
; COMPUTE_PGM_RSRC2:SCRATCH_EN: 0
; COMPUTE_PGM_RSRC2:USER_SGPR: 15
; COMPUTE_PGM_RSRC2:TRAP_HANDLER: 0
; COMPUTE_PGM_RSRC2:TGID_X_EN: 1
; COMPUTE_PGM_RSRC2:TGID_Y_EN: 0
; COMPUTE_PGM_RSRC2:TGID_Z_EN: 0
; COMPUTE_PGM_RSRC2:TIDIG_COMP_CNT: 0
	.section	.text._ZN7rocprim17ROCPRIM_400000_NS6detail17trampoline_kernelINS0_13select_configILj256ELj13ELNS0_17block_load_methodE3ELS4_3ELS4_3ELNS0_20block_scan_algorithmE0ELj4294967295EEENS1_25partition_config_selectorILNS1_17partition_subalgoE3EjNS0_10empty_typeEbEEZZNS1_14partition_implILS8_3ELb0ES6_jNS0_17counting_iteratorIjlEEPS9_SE_NS0_5tupleIJPjSE_EEENSF_IJSE_SE_EEES9_SG_JZNS1_25segmented_radix_sort_implINS0_14default_configELb1EPKaPaPKlPlN2at6native12_GLOBAL__N_18offset_tEEE10hipError_tPvRmT1_PNSt15iterator_traitsISY_E10value_typeET2_T3_PNSZ_IS14_E10value_typeET4_jRbjT5_S1A_jjP12ihipStream_tbEUljE_EEESV_SW_SX_S14_S18_S1A_T6_T7_T9_mT8_S1C_bDpT10_ENKUlT_T0_E_clISt17integral_constantIbLb1EES1O_IbLb0EEEEDaS1K_S1L_EUlS1K_E_NS1_11comp_targetILNS1_3genE8ELNS1_11target_archE1030ELNS1_3gpuE2ELNS1_3repE0EEENS1_30default_config_static_selectorELNS0_4arch9wavefront6targetE0EEEvSY_,"axG",@progbits,_ZN7rocprim17ROCPRIM_400000_NS6detail17trampoline_kernelINS0_13select_configILj256ELj13ELNS0_17block_load_methodE3ELS4_3ELS4_3ELNS0_20block_scan_algorithmE0ELj4294967295EEENS1_25partition_config_selectorILNS1_17partition_subalgoE3EjNS0_10empty_typeEbEEZZNS1_14partition_implILS8_3ELb0ES6_jNS0_17counting_iteratorIjlEEPS9_SE_NS0_5tupleIJPjSE_EEENSF_IJSE_SE_EEES9_SG_JZNS1_25segmented_radix_sort_implINS0_14default_configELb1EPKaPaPKlPlN2at6native12_GLOBAL__N_18offset_tEEE10hipError_tPvRmT1_PNSt15iterator_traitsISY_E10value_typeET2_T3_PNSZ_IS14_E10value_typeET4_jRbjT5_S1A_jjP12ihipStream_tbEUljE_EEESV_SW_SX_S14_S18_S1A_T6_T7_T9_mT8_S1C_bDpT10_ENKUlT_T0_E_clISt17integral_constantIbLb1EES1O_IbLb0EEEEDaS1K_S1L_EUlS1K_E_NS1_11comp_targetILNS1_3genE8ELNS1_11target_archE1030ELNS1_3gpuE2ELNS1_3repE0EEENS1_30default_config_static_selectorELNS0_4arch9wavefront6targetE0EEEvSY_,comdat
	.globl	_ZN7rocprim17ROCPRIM_400000_NS6detail17trampoline_kernelINS0_13select_configILj256ELj13ELNS0_17block_load_methodE3ELS4_3ELS4_3ELNS0_20block_scan_algorithmE0ELj4294967295EEENS1_25partition_config_selectorILNS1_17partition_subalgoE3EjNS0_10empty_typeEbEEZZNS1_14partition_implILS8_3ELb0ES6_jNS0_17counting_iteratorIjlEEPS9_SE_NS0_5tupleIJPjSE_EEENSF_IJSE_SE_EEES9_SG_JZNS1_25segmented_radix_sort_implINS0_14default_configELb1EPKaPaPKlPlN2at6native12_GLOBAL__N_18offset_tEEE10hipError_tPvRmT1_PNSt15iterator_traitsISY_E10value_typeET2_T3_PNSZ_IS14_E10value_typeET4_jRbjT5_S1A_jjP12ihipStream_tbEUljE_EEESV_SW_SX_S14_S18_S1A_T6_T7_T9_mT8_S1C_bDpT10_ENKUlT_T0_E_clISt17integral_constantIbLb1EES1O_IbLb0EEEEDaS1K_S1L_EUlS1K_E_NS1_11comp_targetILNS1_3genE8ELNS1_11target_archE1030ELNS1_3gpuE2ELNS1_3repE0EEENS1_30default_config_static_selectorELNS0_4arch9wavefront6targetE0EEEvSY_ ; -- Begin function _ZN7rocprim17ROCPRIM_400000_NS6detail17trampoline_kernelINS0_13select_configILj256ELj13ELNS0_17block_load_methodE3ELS4_3ELS4_3ELNS0_20block_scan_algorithmE0ELj4294967295EEENS1_25partition_config_selectorILNS1_17partition_subalgoE3EjNS0_10empty_typeEbEEZZNS1_14partition_implILS8_3ELb0ES6_jNS0_17counting_iteratorIjlEEPS9_SE_NS0_5tupleIJPjSE_EEENSF_IJSE_SE_EEES9_SG_JZNS1_25segmented_radix_sort_implINS0_14default_configELb1EPKaPaPKlPlN2at6native12_GLOBAL__N_18offset_tEEE10hipError_tPvRmT1_PNSt15iterator_traitsISY_E10value_typeET2_T3_PNSZ_IS14_E10value_typeET4_jRbjT5_S1A_jjP12ihipStream_tbEUljE_EEESV_SW_SX_S14_S18_S1A_T6_T7_T9_mT8_S1C_bDpT10_ENKUlT_T0_E_clISt17integral_constantIbLb1EES1O_IbLb0EEEEDaS1K_S1L_EUlS1K_E_NS1_11comp_targetILNS1_3genE8ELNS1_11target_archE1030ELNS1_3gpuE2ELNS1_3repE0EEENS1_30default_config_static_selectorELNS0_4arch9wavefront6targetE0EEEvSY_
	.p2align	8
	.type	_ZN7rocprim17ROCPRIM_400000_NS6detail17trampoline_kernelINS0_13select_configILj256ELj13ELNS0_17block_load_methodE3ELS4_3ELS4_3ELNS0_20block_scan_algorithmE0ELj4294967295EEENS1_25partition_config_selectorILNS1_17partition_subalgoE3EjNS0_10empty_typeEbEEZZNS1_14partition_implILS8_3ELb0ES6_jNS0_17counting_iteratorIjlEEPS9_SE_NS0_5tupleIJPjSE_EEENSF_IJSE_SE_EEES9_SG_JZNS1_25segmented_radix_sort_implINS0_14default_configELb1EPKaPaPKlPlN2at6native12_GLOBAL__N_18offset_tEEE10hipError_tPvRmT1_PNSt15iterator_traitsISY_E10value_typeET2_T3_PNSZ_IS14_E10value_typeET4_jRbjT5_S1A_jjP12ihipStream_tbEUljE_EEESV_SW_SX_S14_S18_S1A_T6_T7_T9_mT8_S1C_bDpT10_ENKUlT_T0_E_clISt17integral_constantIbLb1EES1O_IbLb0EEEEDaS1K_S1L_EUlS1K_E_NS1_11comp_targetILNS1_3genE8ELNS1_11target_archE1030ELNS1_3gpuE2ELNS1_3repE0EEENS1_30default_config_static_selectorELNS0_4arch9wavefront6targetE0EEEvSY_,@function
_ZN7rocprim17ROCPRIM_400000_NS6detail17trampoline_kernelINS0_13select_configILj256ELj13ELNS0_17block_load_methodE3ELS4_3ELS4_3ELNS0_20block_scan_algorithmE0ELj4294967295EEENS1_25partition_config_selectorILNS1_17partition_subalgoE3EjNS0_10empty_typeEbEEZZNS1_14partition_implILS8_3ELb0ES6_jNS0_17counting_iteratorIjlEEPS9_SE_NS0_5tupleIJPjSE_EEENSF_IJSE_SE_EEES9_SG_JZNS1_25segmented_radix_sort_implINS0_14default_configELb1EPKaPaPKlPlN2at6native12_GLOBAL__N_18offset_tEEE10hipError_tPvRmT1_PNSt15iterator_traitsISY_E10value_typeET2_T3_PNSZ_IS14_E10value_typeET4_jRbjT5_S1A_jjP12ihipStream_tbEUljE_EEESV_SW_SX_S14_S18_S1A_T6_T7_T9_mT8_S1C_bDpT10_ENKUlT_T0_E_clISt17integral_constantIbLb1EES1O_IbLb0EEEEDaS1K_S1L_EUlS1K_E_NS1_11comp_targetILNS1_3genE8ELNS1_11target_archE1030ELNS1_3gpuE2ELNS1_3repE0EEENS1_30default_config_static_selectorELNS0_4arch9wavefront6targetE0EEEvSY_: ; @_ZN7rocprim17ROCPRIM_400000_NS6detail17trampoline_kernelINS0_13select_configILj256ELj13ELNS0_17block_load_methodE3ELS4_3ELS4_3ELNS0_20block_scan_algorithmE0ELj4294967295EEENS1_25partition_config_selectorILNS1_17partition_subalgoE3EjNS0_10empty_typeEbEEZZNS1_14partition_implILS8_3ELb0ES6_jNS0_17counting_iteratorIjlEEPS9_SE_NS0_5tupleIJPjSE_EEENSF_IJSE_SE_EEES9_SG_JZNS1_25segmented_radix_sort_implINS0_14default_configELb1EPKaPaPKlPlN2at6native12_GLOBAL__N_18offset_tEEE10hipError_tPvRmT1_PNSt15iterator_traitsISY_E10value_typeET2_T3_PNSZ_IS14_E10value_typeET4_jRbjT5_S1A_jjP12ihipStream_tbEUljE_EEESV_SW_SX_S14_S18_S1A_T6_T7_T9_mT8_S1C_bDpT10_ENKUlT_T0_E_clISt17integral_constantIbLb1EES1O_IbLb0EEEEDaS1K_S1L_EUlS1K_E_NS1_11comp_targetILNS1_3genE8ELNS1_11target_archE1030ELNS1_3gpuE2ELNS1_3repE0EEENS1_30default_config_static_selectorELNS0_4arch9wavefront6targetE0EEEvSY_
; %bb.0:
	.section	.rodata,"a",@progbits
	.p2align	6, 0x0
	.amdhsa_kernel _ZN7rocprim17ROCPRIM_400000_NS6detail17trampoline_kernelINS0_13select_configILj256ELj13ELNS0_17block_load_methodE3ELS4_3ELS4_3ELNS0_20block_scan_algorithmE0ELj4294967295EEENS1_25partition_config_selectorILNS1_17partition_subalgoE3EjNS0_10empty_typeEbEEZZNS1_14partition_implILS8_3ELb0ES6_jNS0_17counting_iteratorIjlEEPS9_SE_NS0_5tupleIJPjSE_EEENSF_IJSE_SE_EEES9_SG_JZNS1_25segmented_radix_sort_implINS0_14default_configELb1EPKaPaPKlPlN2at6native12_GLOBAL__N_18offset_tEEE10hipError_tPvRmT1_PNSt15iterator_traitsISY_E10value_typeET2_T3_PNSZ_IS14_E10value_typeET4_jRbjT5_S1A_jjP12ihipStream_tbEUljE_EEESV_SW_SX_S14_S18_S1A_T6_T7_T9_mT8_S1C_bDpT10_ENKUlT_T0_E_clISt17integral_constantIbLb1EES1O_IbLb0EEEEDaS1K_S1L_EUlS1K_E_NS1_11comp_targetILNS1_3genE8ELNS1_11target_archE1030ELNS1_3gpuE2ELNS1_3repE0EEENS1_30default_config_static_selectorELNS0_4arch9wavefront6targetE0EEEvSY_
		.amdhsa_group_segment_fixed_size 0
		.amdhsa_private_segment_fixed_size 0
		.amdhsa_kernarg_size 144
		.amdhsa_user_sgpr_count 15
		.amdhsa_user_sgpr_dispatch_ptr 0
		.amdhsa_user_sgpr_queue_ptr 0
		.amdhsa_user_sgpr_kernarg_segment_ptr 1
		.amdhsa_user_sgpr_dispatch_id 0
		.amdhsa_user_sgpr_private_segment_size 0
		.amdhsa_wavefront_size32 1
		.amdhsa_uses_dynamic_stack 0
		.amdhsa_enable_private_segment 0
		.amdhsa_system_sgpr_workgroup_id_x 1
		.amdhsa_system_sgpr_workgroup_id_y 0
		.amdhsa_system_sgpr_workgroup_id_z 0
		.amdhsa_system_sgpr_workgroup_info 0
		.amdhsa_system_vgpr_workitem_id 0
		.amdhsa_next_free_vgpr 1
		.amdhsa_next_free_sgpr 1
		.amdhsa_reserve_vcc 0
		.amdhsa_float_round_mode_32 0
		.amdhsa_float_round_mode_16_64 0
		.amdhsa_float_denorm_mode_32 3
		.amdhsa_float_denorm_mode_16_64 3
		.amdhsa_dx10_clamp 1
		.amdhsa_ieee_mode 1
		.amdhsa_fp16_overflow 0
		.amdhsa_workgroup_processor_mode 1
		.amdhsa_memory_ordered 1
		.amdhsa_forward_progress 0
		.amdhsa_shared_vgpr_count 0
		.amdhsa_exception_fp_ieee_invalid_op 0
		.amdhsa_exception_fp_denorm_src 0
		.amdhsa_exception_fp_ieee_div_zero 0
		.amdhsa_exception_fp_ieee_overflow 0
		.amdhsa_exception_fp_ieee_underflow 0
		.amdhsa_exception_fp_ieee_inexact 0
		.amdhsa_exception_int_div_zero 0
	.end_amdhsa_kernel
	.section	.text._ZN7rocprim17ROCPRIM_400000_NS6detail17trampoline_kernelINS0_13select_configILj256ELj13ELNS0_17block_load_methodE3ELS4_3ELS4_3ELNS0_20block_scan_algorithmE0ELj4294967295EEENS1_25partition_config_selectorILNS1_17partition_subalgoE3EjNS0_10empty_typeEbEEZZNS1_14partition_implILS8_3ELb0ES6_jNS0_17counting_iteratorIjlEEPS9_SE_NS0_5tupleIJPjSE_EEENSF_IJSE_SE_EEES9_SG_JZNS1_25segmented_radix_sort_implINS0_14default_configELb1EPKaPaPKlPlN2at6native12_GLOBAL__N_18offset_tEEE10hipError_tPvRmT1_PNSt15iterator_traitsISY_E10value_typeET2_T3_PNSZ_IS14_E10value_typeET4_jRbjT5_S1A_jjP12ihipStream_tbEUljE_EEESV_SW_SX_S14_S18_S1A_T6_T7_T9_mT8_S1C_bDpT10_ENKUlT_T0_E_clISt17integral_constantIbLb1EES1O_IbLb0EEEEDaS1K_S1L_EUlS1K_E_NS1_11comp_targetILNS1_3genE8ELNS1_11target_archE1030ELNS1_3gpuE2ELNS1_3repE0EEENS1_30default_config_static_selectorELNS0_4arch9wavefront6targetE0EEEvSY_,"axG",@progbits,_ZN7rocprim17ROCPRIM_400000_NS6detail17trampoline_kernelINS0_13select_configILj256ELj13ELNS0_17block_load_methodE3ELS4_3ELS4_3ELNS0_20block_scan_algorithmE0ELj4294967295EEENS1_25partition_config_selectorILNS1_17partition_subalgoE3EjNS0_10empty_typeEbEEZZNS1_14partition_implILS8_3ELb0ES6_jNS0_17counting_iteratorIjlEEPS9_SE_NS0_5tupleIJPjSE_EEENSF_IJSE_SE_EEES9_SG_JZNS1_25segmented_radix_sort_implINS0_14default_configELb1EPKaPaPKlPlN2at6native12_GLOBAL__N_18offset_tEEE10hipError_tPvRmT1_PNSt15iterator_traitsISY_E10value_typeET2_T3_PNSZ_IS14_E10value_typeET4_jRbjT5_S1A_jjP12ihipStream_tbEUljE_EEESV_SW_SX_S14_S18_S1A_T6_T7_T9_mT8_S1C_bDpT10_ENKUlT_T0_E_clISt17integral_constantIbLb1EES1O_IbLb0EEEEDaS1K_S1L_EUlS1K_E_NS1_11comp_targetILNS1_3genE8ELNS1_11target_archE1030ELNS1_3gpuE2ELNS1_3repE0EEENS1_30default_config_static_selectorELNS0_4arch9wavefront6targetE0EEEvSY_,comdat
.Lfunc_end281:
	.size	_ZN7rocprim17ROCPRIM_400000_NS6detail17trampoline_kernelINS0_13select_configILj256ELj13ELNS0_17block_load_methodE3ELS4_3ELS4_3ELNS0_20block_scan_algorithmE0ELj4294967295EEENS1_25partition_config_selectorILNS1_17partition_subalgoE3EjNS0_10empty_typeEbEEZZNS1_14partition_implILS8_3ELb0ES6_jNS0_17counting_iteratorIjlEEPS9_SE_NS0_5tupleIJPjSE_EEENSF_IJSE_SE_EEES9_SG_JZNS1_25segmented_radix_sort_implINS0_14default_configELb1EPKaPaPKlPlN2at6native12_GLOBAL__N_18offset_tEEE10hipError_tPvRmT1_PNSt15iterator_traitsISY_E10value_typeET2_T3_PNSZ_IS14_E10value_typeET4_jRbjT5_S1A_jjP12ihipStream_tbEUljE_EEESV_SW_SX_S14_S18_S1A_T6_T7_T9_mT8_S1C_bDpT10_ENKUlT_T0_E_clISt17integral_constantIbLb1EES1O_IbLb0EEEEDaS1K_S1L_EUlS1K_E_NS1_11comp_targetILNS1_3genE8ELNS1_11target_archE1030ELNS1_3gpuE2ELNS1_3repE0EEENS1_30default_config_static_selectorELNS0_4arch9wavefront6targetE0EEEvSY_, .Lfunc_end281-_ZN7rocprim17ROCPRIM_400000_NS6detail17trampoline_kernelINS0_13select_configILj256ELj13ELNS0_17block_load_methodE3ELS4_3ELS4_3ELNS0_20block_scan_algorithmE0ELj4294967295EEENS1_25partition_config_selectorILNS1_17partition_subalgoE3EjNS0_10empty_typeEbEEZZNS1_14partition_implILS8_3ELb0ES6_jNS0_17counting_iteratorIjlEEPS9_SE_NS0_5tupleIJPjSE_EEENSF_IJSE_SE_EEES9_SG_JZNS1_25segmented_radix_sort_implINS0_14default_configELb1EPKaPaPKlPlN2at6native12_GLOBAL__N_18offset_tEEE10hipError_tPvRmT1_PNSt15iterator_traitsISY_E10value_typeET2_T3_PNSZ_IS14_E10value_typeET4_jRbjT5_S1A_jjP12ihipStream_tbEUljE_EEESV_SW_SX_S14_S18_S1A_T6_T7_T9_mT8_S1C_bDpT10_ENKUlT_T0_E_clISt17integral_constantIbLb1EES1O_IbLb0EEEEDaS1K_S1L_EUlS1K_E_NS1_11comp_targetILNS1_3genE8ELNS1_11target_archE1030ELNS1_3gpuE2ELNS1_3repE0EEENS1_30default_config_static_selectorELNS0_4arch9wavefront6targetE0EEEvSY_
                                        ; -- End function
	.section	.AMDGPU.csdata,"",@progbits
; Kernel info:
; codeLenInByte = 0
; NumSgprs: 0
; NumVgprs: 0
; ScratchSize: 0
; MemoryBound: 0
; FloatMode: 240
; IeeeMode: 1
; LDSByteSize: 0 bytes/workgroup (compile time only)
; SGPRBlocks: 0
; VGPRBlocks: 0
; NumSGPRsForWavesPerEU: 1
; NumVGPRsForWavesPerEU: 1
; Occupancy: 16
; WaveLimiterHint : 0
; COMPUTE_PGM_RSRC2:SCRATCH_EN: 0
; COMPUTE_PGM_RSRC2:USER_SGPR: 15
; COMPUTE_PGM_RSRC2:TRAP_HANDLER: 0
; COMPUTE_PGM_RSRC2:TGID_X_EN: 1
; COMPUTE_PGM_RSRC2:TGID_Y_EN: 0
; COMPUTE_PGM_RSRC2:TGID_Z_EN: 0
; COMPUTE_PGM_RSRC2:TIDIG_COMP_CNT: 0
	.section	.text._ZN7rocprim17ROCPRIM_400000_NS6detail17trampoline_kernelINS0_13select_configILj256ELj13ELNS0_17block_load_methodE3ELS4_3ELS4_3ELNS0_20block_scan_algorithmE0ELj4294967295EEENS1_25partition_config_selectorILNS1_17partition_subalgoE3EjNS0_10empty_typeEbEEZZNS1_14partition_implILS8_3ELb0ES6_jNS0_17counting_iteratorIjlEEPS9_SE_NS0_5tupleIJPjSE_EEENSF_IJSE_SE_EEES9_SG_JZNS1_25segmented_radix_sort_implINS0_14default_configELb1EPKaPaPKlPlN2at6native12_GLOBAL__N_18offset_tEEE10hipError_tPvRmT1_PNSt15iterator_traitsISY_E10value_typeET2_T3_PNSZ_IS14_E10value_typeET4_jRbjT5_S1A_jjP12ihipStream_tbEUljE_EEESV_SW_SX_S14_S18_S1A_T6_T7_T9_mT8_S1C_bDpT10_ENKUlT_T0_E_clISt17integral_constantIbLb0EES1O_IbLb1EEEEDaS1K_S1L_EUlS1K_E_NS1_11comp_targetILNS1_3genE0ELNS1_11target_archE4294967295ELNS1_3gpuE0ELNS1_3repE0EEENS1_30default_config_static_selectorELNS0_4arch9wavefront6targetE0EEEvSY_,"axG",@progbits,_ZN7rocprim17ROCPRIM_400000_NS6detail17trampoline_kernelINS0_13select_configILj256ELj13ELNS0_17block_load_methodE3ELS4_3ELS4_3ELNS0_20block_scan_algorithmE0ELj4294967295EEENS1_25partition_config_selectorILNS1_17partition_subalgoE3EjNS0_10empty_typeEbEEZZNS1_14partition_implILS8_3ELb0ES6_jNS0_17counting_iteratorIjlEEPS9_SE_NS0_5tupleIJPjSE_EEENSF_IJSE_SE_EEES9_SG_JZNS1_25segmented_radix_sort_implINS0_14default_configELb1EPKaPaPKlPlN2at6native12_GLOBAL__N_18offset_tEEE10hipError_tPvRmT1_PNSt15iterator_traitsISY_E10value_typeET2_T3_PNSZ_IS14_E10value_typeET4_jRbjT5_S1A_jjP12ihipStream_tbEUljE_EEESV_SW_SX_S14_S18_S1A_T6_T7_T9_mT8_S1C_bDpT10_ENKUlT_T0_E_clISt17integral_constantIbLb0EES1O_IbLb1EEEEDaS1K_S1L_EUlS1K_E_NS1_11comp_targetILNS1_3genE0ELNS1_11target_archE4294967295ELNS1_3gpuE0ELNS1_3repE0EEENS1_30default_config_static_selectorELNS0_4arch9wavefront6targetE0EEEvSY_,comdat
	.globl	_ZN7rocprim17ROCPRIM_400000_NS6detail17trampoline_kernelINS0_13select_configILj256ELj13ELNS0_17block_load_methodE3ELS4_3ELS4_3ELNS0_20block_scan_algorithmE0ELj4294967295EEENS1_25partition_config_selectorILNS1_17partition_subalgoE3EjNS0_10empty_typeEbEEZZNS1_14partition_implILS8_3ELb0ES6_jNS0_17counting_iteratorIjlEEPS9_SE_NS0_5tupleIJPjSE_EEENSF_IJSE_SE_EEES9_SG_JZNS1_25segmented_radix_sort_implINS0_14default_configELb1EPKaPaPKlPlN2at6native12_GLOBAL__N_18offset_tEEE10hipError_tPvRmT1_PNSt15iterator_traitsISY_E10value_typeET2_T3_PNSZ_IS14_E10value_typeET4_jRbjT5_S1A_jjP12ihipStream_tbEUljE_EEESV_SW_SX_S14_S18_S1A_T6_T7_T9_mT8_S1C_bDpT10_ENKUlT_T0_E_clISt17integral_constantIbLb0EES1O_IbLb1EEEEDaS1K_S1L_EUlS1K_E_NS1_11comp_targetILNS1_3genE0ELNS1_11target_archE4294967295ELNS1_3gpuE0ELNS1_3repE0EEENS1_30default_config_static_selectorELNS0_4arch9wavefront6targetE0EEEvSY_ ; -- Begin function _ZN7rocprim17ROCPRIM_400000_NS6detail17trampoline_kernelINS0_13select_configILj256ELj13ELNS0_17block_load_methodE3ELS4_3ELS4_3ELNS0_20block_scan_algorithmE0ELj4294967295EEENS1_25partition_config_selectorILNS1_17partition_subalgoE3EjNS0_10empty_typeEbEEZZNS1_14partition_implILS8_3ELb0ES6_jNS0_17counting_iteratorIjlEEPS9_SE_NS0_5tupleIJPjSE_EEENSF_IJSE_SE_EEES9_SG_JZNS1_25segmented_radix_sort_implINS0_14default_configELb1EPKaPaPKlPlN2at6native12_GLOBAL__N_18offset_tEEE10hipError_tPvRmT1_PNSt15iterator_traitsISY_E10value_typeET2_T3_PNSZ_IS14_E10value_typeET4_jRbjT5_S1A_jjP12ihipStream_tbEUljE_EEESV_SW_SX_S14_S18_S1A_T6_T7_T9_mT8_S1C_bDpT10_ENKUlT_T0_E_clISt17integral_constantIbLb0EES1O_IbLb1EEEEDaS1K_S1L_EUlS1K_E_NS1_11comp_targetILNS1_3genE0ELNS1_11target_archE4294967295ELNS1_3gpuE0ELNS1_3repE0EEENS1_30default_config_static_selectorELNS0_4arch9wavefront6targetE0EEEvSY_
	.p2align	8
	.type	_ZN7rocprim17ROCPRIM_400000_NS6detail17trampoline_kernelINS0_13select_configILj256ELj13ELNS0_17block_load_methodE3ELS4_3ELS4_3ELNS0_20block_scan_algorithmE0ELj4294967295EEENS1_25partition_config_selectorILNS1_17partition_subalgoE3EjNS0_10empty_typeEbEEZZNS1_14partition_implILS8_3ELb0ES6_jNS0_17counting_iteratorIjlEEPS9_SE_NS0_5tupleIJPjSE_EEENSF_IJSE_SE_EEES9_SG_JZNS1_25segmented_radix_sort_implINS0_14default_configELb1EPKaPaPKlPlN2at6native12_GLOBAL__N_18offset_tEEE10hipError_tPvRmT1_PNSt15iterator_traitsISY_E10value_typeET2_T3_PNSZ_IS14_E10value_typeET4_jRbjT5_S1A_jjP12ihipStream_tbEUljE_EEESV_SW_SX_S14_S18_S1A_T6_T7_T9_mT8_S1C_bDpT10_ENKUlT_T0_E_clISt17integral_constantIbLb0EES1O_IbLb1EEEEDaS1K_S1L_EUlS1K_E_NS1_11comp_targetILNS1_3genE0ELNS1_11target_archE4294967295ELNS1_3gpuE0ELNS1_3repE0EEENS1_30default_config_static_selectorELNS0_4arch9wavefront6targetE0EEEvSY_,@function
_ZN7rocprim17ROCPRIM_400000_NS6detail17trampoline_kernelINS0_13select_configILj256ELj13ELNS0_17block_load_methodE3ELS4_3ELS4_3ELNS0_20block_scan_algorithmE0ELj4294967295EEENS1_25partition_config_selectorILNS1_17partition_subalgoE3EjNS0_10empty_typeEbEEZZNS1_14partition_implILS8_3ELb0ES6_jNS0_17counting_iteratorIjlEEPS9_SE_NS0_5tupleIJPjSE_EEENSF_IJSE_SE_EEES9_SG_JZNS1_25segmented_radix_sort_implINS0_14default_configELb1EPKaPaPKlPlN2at6native12_GLOBAL__N_18offset_tEEE10hipError_tPvRmT1_PNSt15iterator_traitsISY_E10value_typeET2_T3_PNSZ_IS14_E10value_typeET4_jRbjT5_S1A_jjP12ihipStream_tbEUljE_EEESV_SW_SX_S14_S18_S1A_T6_T7_T9_mT8_S1C_bDpT10_ENKUlT_T0_E_clISt17integral_constantIbLb0EES1O_IbLb1EEEEDaS1K_S1L_EUlS1K_E_NS1_11comp_targetILNS1_3genE0ELNS1_11target_archE4294967295ELNS1_3gpuE0ELNS1_3repE0EEENS1_30default_config_static_selectorELNS0_4arch9wavefront6targetE0EEEvSY_: ; @_ZN7rocprim17ROCPRIM_400000_NS6detail17trampoline_kernelINS0_13select_configILj256ELj13ELNS0_17block_load_methodE3ELS4_3ELS4_3ELNS0_20block_scan_algorithmE0ELj4294967295EEENS1_25partition_config_selectorILNS1_17partition_subalgoE3EjNS0_10empty_typeEbEEZZNS1_14partition_implILS8_3ELb0ES6_jNS0_17counting_iteratorIjlEEPS9_SE_NS0_5tupleIJPjSE_EEENSF_IJSE_SE_EEES9_SG_JZNS1_25segmented_radix_sort_implINS0_14default_configELb1EPKaPaPKlPlN2at6native12_GLOBAL__N_18offset_tEEE10hipError_tPvRmT1_PNSt15iterator_traitsISY_E10value_typeET2_T3_PNSZ_IS14_E10value_typeET4_jRbjT5_S1A_jjP12ihipStream_tbEUljE_EEESV_SW_SX_S14_S18_S1A_T6_T7_T9_mT8_S1C_bDpT10_ENKUlT_T0_E_clISt17integral_constantIbLb0EES1O_IbLb1EEEEDaS1K_S1L_EUlS1K_E_NS1_11comp_targetILNS1_3genE0ELNS1_11target_archE4294967295ELNS1_3gpuE0ELNS1_3repE0EEENS1_30default_config_static_selectorELNS0_4arch9wavefront6targetE0EEEvSY_
; %bb.0:
	.section	.rodata,"a",@progbits
	.p2align	6, 0x0
	.amdhsa_kernel _ZN7rocprim17ROCPRIM_400000_NS6detail17trampoline_kernelINS0_13select_configILj256ELj13ELNS0_17block_load_methodE3ELS4_3ELS4_3ELNS0_20block_scan_algorithmE0ELj4294967295EEENS1_25partition_config_selectorILNS1_17partition_subalgoE3EjNS0_10empty_typeEbEEZZNS1_14partition_implILS8_3ELb0ES6_jNS0_17counting_iteratorIjlEEPS9_SE_NS0_5tupleIJPjSE_EEENSF_IJSE_SE_EEES9_SG_JZNS1_25segmented_radix_sort_implINS0_14default_configELb1EPKaPaPKlPlN2at6native12_GLOBAL__N_18offset_tEEE10hipError_tPvRmT1_PNSt15iterator_traitsISY_E10value_typeET2_T3_PNSZ_IS14_E10value_typeET4_jRbjT5_S1A_jjP12ihipStream_tbEUljE_EEESV_SW_SX_S14_S18_S1A_T6_T7_T9_mT8_S1C_bDpT10_ENKUlT_T0_E_clISt17integral_constantIbLb0EES1O_IbLb1EEEEDaS1K_S1L_EUlS1K_E_NS1_11comp_targetILNS1_3genE0ELNS1_11target_archE4294967295ELNS1_3gpuE0ELNS1_3repE0EEENS1_30default_config_static_selectorELNS0_4arch9wavefront6targetE0EEEvSY_
		.amdhsa_group_segment_fixed_size 0
		.amdhsa_private_segment_fixed_size 0
		.amdhsa_kernarg_size 152
		.amdhsa_user_sgpr_count 15
		.amdhsa_user_sgpr_dispatch_ptr 0
		.amdhsa_user_sgpr_queue_ptr 0
		.amdhsa_user_sgpr_kernarg_segment_ptr 1
		.amdhsa_user_sgpr_dispatch_id 0
		.amdhsa_user_sgpr_private_segment_size 0
		.amdhsa_wavefront_size32 1
		.amdhsa_uses_dynamic_stack 0
		.amdhsa_enable_private_segment 0
		.amdhsa_system_sgpr_workgroup_id_x 1
		.amdhsa_system_sgpr_workgroup_id_y 0
		.amdhsa_system_sgpr_workgroup_id_z 0
		.amdhsa_system_sgpr_workgroup_info 0
		.amdhsa_system_vgpr_workitem_id 0
		.amdhsa_next_free_vgpr 1
		.amdhsa_next_free_sgpr 1
		.amdhsa_reserve_vcc 0
		.amdhsa_float_round_mode_32 0
		.amdhsa_float_round_mode_16_64 0
		.amdhsa_float_denorm_mode_32 3
		.amdhsa_float_denorm_mode_16_64 3
		.amdhsa_dx10_clamp 1
		.amdhsa_ieee_mode 1
		.amdhsa_fp16_overflow 0
		.amdhsa_workgroup_processor_mode 1
		.amdhsa_memory_ordered 1
		.amdhsa_forward_progress 0
		.amdhsa_shared_vgpr_count 0
		.amdhsa_exception_fp_ieee_invalid_op 0
		.amdhsa_exception_fp_denorm_src 0
		.amdhsa_exception_fp_ieee_div_zero 0
		.amdhsa_exception_fp_ieee_overflow 0
		.amdhsa_exception_fp_ieee_underflow 0
		.amdhsa_exception_fp_ieee_inexact 0
		.amdhsa_exception_int_div_zero 0
	.end_amdhsa_kernel
	.section	.text._ZN7rocprim17ROCPRIM_400000_NS6detail17trampoline_kernelINS0_13select_configILj256ELj13ELNS0_17block_load_methodE3ELS4_3ELS4_3ELNS0_20block_scan_algorithmE0ELj4294967295EEENS1_25partition_config_selectorILNS1_17partition_subalgoE3EjNS0_10empty_typeEbEEZZNS1_14partition_implILS8_3ELb0ES6_jNS0_17counting_iteratorIjlEEPS9_SE_NS0_5tupleIJPjSE_EEENSF_IJSE_SE_EEES9_SG_JZNS1_25segmented_radix_sort_implINS0_14default_configELb1EPKaPaPKlPlN2at6native12_GLOBAL__N_18offset_tEEE10hipError_tPvRmT1_PNSt15iterator_traitsISY_E10value_typeET2_T3_PNSZ_IS14_E10value_typeET4_jRbjT5_S1A_jjP12ihipStream_tbEUljE_EEESV_SW_SX_S14_S18_S1A_T6_T7_T9_mT8_S1C_bDpT10_ENKUlT_T0_E_clISt17integral_constantIbLb0EES1O_IbLb1EEEEDaS1K_S1L_EUlS1K_E_NS1_11comp_targetILNS1_3genE0ELNS1_11target_archE4294967295ELNS1_3gpuE0ELNS1_3repE0EEENS1_30default_config_static_selectorELNS0_4arch9wavefront6targetE0EEEvSY_,"axG",@progbits,_ZN7rocprim17ROCPRIM_400000_NS6detail17trampoline_kernelINS0_13select_configILj256ELj13ELNS0_17block_load_methodE3ELS4_3ELS4_3ELNS0_20block_scan_algorithmE0ELj4294967295EEENS1_25partition_config_selectorILNS1_17partition_subalgoE3EjNS0_10empty_typeEbEEZZNS1_14partition_implILS8_3ELb0ES6_jNS0_17counting_iteratorIjlEEPS9_SE_NS0_5tupleIJPjSE_EEENSF_IJSE_SE_EEES9_SG_JZNS1_25segmented_radix_sort_implINS0_14default_configELb1EPKaPaPKlPlN2at6native12_GLOBAL__N_18offset_tEEE10hipError_tPvRmT1_PNSt15iterator_traitsISY_E10value_typeET2_T3_PNSZ_IS14_E10value_typeET4_jRbjT5_S1A_jjP12ihipStream_tbEUljE_EEESV_SW_SX_S14_S18_S1A_T6_T7_T9_mT8_S1C_bDpT10_ENKUlT_T0_E_clISt17integral_constantIbLb0EES1O_IbLb1EEEEDaS1K_S1L_EUlS1K_E_NS1_11comp_targetILNS1_3genE0ELNS1_11target_archE4294967295ELNS1_3gpuE0ELNS1_3repE0EEENS1_30default_config_static_selectorELNS0_4arch9wavefront6targetE0EEEvSY_,comdat
.Lfunc_end282:
	.size	_ZN7rocprim17ROCPRIM_400000_NS6detail17trampoline_kernelINS0_13select_configILj256ELj13ELNS0_17block_load_methodE3ELS4_3ELS4_3ELNS0_20block_scan_algorithmE0ELj4294967295EEENS1_25partition_config_selectorILNS1_17partition_subalgoE3EjNS0_10empty_typeEbEEZZNS1_14partition_implILS8_3ELb0ES6_jNS0_17counting_iteratorIjlEEPS9_SE_NS0_5tupleIJPjSE_EEENSF_IJSE_SE_EEES9_SG_JZNS1_25segmented_radix_sort_implINS0_14default_configELb1EPKaPaPKlPlN2at6native12_GLOBAL__N_18offset_tEEE10hipError_tPvRmT1_PNSt15iterator_traitsISY_E10value_typeET2_T3_PNSZ_IS14_E10value_typeET4_jRbjT5_S1A_jjP12ihipStream_tbEUljE_EEESV_SW_SX_S14_S18_S1A_T6_T7_T9_mT8_S1C_bDpT10_ENKUlT_T0_E_clISt17integral_constantIbLb0EES1O_IbLb1EEEEDaS1K_S1L_EUlS1K_E_NS1_11comp_targetILNS1_3genE0ELNS1_11target_archE4294967295ELNS1_3gpuE0ELNS1_3repE0EEENS1_30default_config_static_selectorELNS0_4arch9wavefront6targetE0EEEvSY_, .Lfunc_end282-_ZN7rocprim17ROCPRIM_400000_NS6detail17trampoline_kernelINS0_13select_configILj256ELj13ELNS0_17block_load_methodE3ELS4_3ELS4_3ELNS0_20block_scan_algorithmE0ELj4294967295EEENS1_25partition_config_selectorILNS1_17partition_subalgoE3EjNS0_10empty_typeEbEEZZNS1_14partition_implILS8_3ELb0ES6_jNS0_17counting_iteratorIjlEEPS9_SE_NS0_5tupleIJPjSE_EEENSF_IJSE_SE_EEES9_SG_JZNS1_25segmented_radix_sort_implINS0_14default_configELb1EPKaPaPKlPlN2at6native12_GLOBAL__N_18offset_tEEE10hipError_tPvRmT1_PNSt15iterator_traitsISY_E10value_typeET2_T3_PNSZ_IS14_E10value_typeET4_jRbjT5_S1A_jjP12ihipStream_tbEUljE_EEESV_SW_SX_S14_S18_S1A_T6_T7_T9_mT8_S1C_bDpT10_ENKUlT_T0_E_clISt17integral_constantIbLb0EES1O_IbLb1EEEEDaS1K_S1L_EUlS1K_E_NS1_11comp_targetILNS1_3genE0ELNS1_11target_archE4294967295ELNS1_3gpuE0ELNS1_3repE0EEENS1_30default_config_static_selectorELNS0_4arch9wavefront6targetE0EEEvSY_
                                        ; -- End function
	.section	.AMDGPU.csdata,"",@progbits
; Kernel info:
; codeLenInByte = 0
; NumSgprs: 0
; NumVgprs: 0
; ScratchSize: 0
; MemoryBound: 0
; FloatMode: 240
; IeeeMode: 1
; LDSByteSize: 0 bytes/workgroup (compile time only)
; SGPRBlocks: 0
; VGPRBlocks: 0
; NumSGPRsForWavesPerEU: 1
; NumVGPRsForWavesPerEU: 1
; Occupancy: 16
; WaveLimiterHint : 0
; COMPUTE_PGM_RSRC2:SCRATCH_EN: 0
; COMPUTE_PGM_RSRC2:USER_SGPR: 15
; COMPUTE_PGM_RSRC2:TRAP_HANDLER: 0
; COMPUTE_PGM_RSRC2:TGID_X_EN: 1
; COMPUTE_PGM_RSRC2:TGID_Y_EN: 0
; COMPUTE_PGM_RSRC2:TGID_Z_EN: 0
; COMPUTE_PGM_RSRC2:TIDIG_COMP_CNT: 0
	.section	.text._ZN7rocprim17ROCPRIM_400000_NS6detail17trampoline_kernelINS0_13select_configILj256ELj13ELNS0_17block_load_methodE3ELS4_3ELS4_3ELNS0_20block_scan_algorithmE0ELj4294967295EEENS1_25partition_config_selectorILNS1_17partition_subalgoE3EjNS0_10empty_typeEbEEZZNS1_14partition_implILS8_3ELb0ES6_jNS0_17counting_iteratorIjlEEPS9_SE_NS0_5tupleIJPjSE_EEENSF_IJSE_SE_EEES9_SG_JZNS1_25segmented_radix_sort_implINS0_14default_configELb1EPKaPaPKlPlN2at6native12_GLOBAL__N_18offset_tEEE10hipError_tPvRmT1_PNSt15iterator_traitsISY_E10value_typeET2_T3_PNSZ_IS14_E10value_typeET4_jRbjT5_S1A_jjP12ihipStream_tbEUljE_EEESV_SW_SX_S14_S18_S1A_T6_T7_T9_mT8_S1C_bDpT10_ENKUlT_T0_E_clISt17integral_constantIbLb0EES1O_IbLb1EEEEDaS1K_S1L_EUlS1K_E_NS1_11comp_targetILNS1_3genE5ELNS1_11target_archE942ELNS1_3gpuE9ELNS1_3repE0EEENS1_30default_config_static_selectorELNS0_4arch9wavefront6targetE0EEEvSY_,"axG",@progbits,_ZN7rocprim17ROCPRIM_400000_NS6detail17trampoline_kernelINS0_13select_configILj256ELj13ELNS0_17block_load_methodE3ELS4_3ELS4_3ELNS0_20block_scan_algorithmE0ELj4294967295EEENS1_25partition_config_selectorILNS1_17partition_subalgoE3EjNS0_10empty_typeEbEEZZNS1_14partition_implILS8_3ELb0ES6_jNS0_17counting_iteratorIjlEEPS9_SE_NS0_5tupleIJPjSE_EEENSF_IJSE_SE_EEES9_SG_JZNS1_25segmented_radix_sort_implINS0_14default_configELb1EPKaPaPKlPlN2at6native12_GLOBAL__N_18offset_tEEE10hipError_tPvRmT1_PNSt15iterator_traitsISY_E10value_typeET2_T3_PNSZ_IS14_E10value_typeET4_jRbjT5_S1A_jjP12ihipStream_tbEUljE_EEESV_SW_SX_S14_S18_S1A_T6_T7_T9_mT8_S1C_bDpT10_ENKUlT_T0_E_clISt17integral_constantIbLb0EES1O_IbLb1EEEEDaS1K_S1L_EUlS1K_E_NS1_11comp_targetILNS1_3genE5ELNS1_11target_archE942ELNS1_3gpuE9ELNS1_3repE0EEENS1_30default_config_static_selectorELNS0_4arch9wavefront6targetE0EEEvSY_,comdat
	.globl	_ZN7rocprim17ROCPRIM_400000_NS6detail17trampoline_kernelINS0_13select_configILj256ELj13ELNS0_17block_load_methodE3ELS4_3ELS4_3ELNS0_20block_scan_algorithmE0ELj4294967295EEENS1_25partition_config_selectorILNS1_17partition_subalgoE3EjNS0_10empty_typeEbEEZZNS1_14partition_implILS8_3ELb0ES6_jNS0_17counting_iteratorIjlEEPS9_SE_NS0_5tupleIJPjSE_EEENSF_IJSE_SE_EEES9_SG_JZNS1_25segmented_radix_sort_implINS0_14default_configELb1EPKaPaPKlPlN2at6native12_GLOBAL__N_18offset_tEEE10hipError_tPvRmT1_PNSt15iterator_traitsISY_E10value_typeET2_T3_PNSZ_IS14_E10value_typeET4_jRbjT5_S1A_jjP12ihipStream_tbEUljE_EEESV_SW_SX_S14_S18_S1A_T6_T7_T9_mT8_S1C_bDpT10_ENKUlT_T0_E_clISt17integral_constantIbLb0EES1O_IbLb1EEEEDaS1K_S1L_EUlS1K_E_NS1_11comp_targetILNS1_3genE5ELNS1_11target_archE942ELNS1_3gpuE9ELNS1_3repE0EEENS1_30default_config_static_selectorELNS0_4arch9wavefront6targetE0EEEvSY_ ; -- Begin function _ZN7rocprim17ROCPRIM_400000_NS6detail17trampoline_kernelINS0_13select_configILj256ELj13ELNS0_17block_load_methodE3ELS4_3ELS4_3ELNS0_20block_scan_algorithmE0ELj4294967295EEENS1_25partition_config_selectorILNS1_17partition_subalgoE3EjNS0_10empty_typeEbEEZZNS1_14partition_implILS8_3ELb0ES6_jNS0_17counting_iteratorIjlEEPS9_SE_NS0_5tupleIJPjSE_EEENSF_IJSE_SE_EEES9_SG_JZNS1_25segmented_radix_sort_implINS0_14default_configELb1EPKaPaPKlPlN2at6native12_GLOBAL__N_18offset_tEEE10hipError_tPvRmT1_PNSt15iterator_traitsISY_E10value_typeET2_T3_PNSZ_IS14_E10value_typeET4_jRbjT5_S1A_jjP12ihipStream_tbEUljE_EEESV_SW_SX_S14_S18_S1A_T6_T7_T9_mT8_S1C_bDpT10_ENKUlT_T0_E_clISt17integral_constantIbLb0EES1O_IbLb1EEEEDaS1K_S1L_EUlS1K_E_NS1_11comp_targetILNS1_3genE5ELNS1_11target_archE942ELNS1_3gpuE9ELNS1_3repE0EEENS1_30default_config_static_selectorELNS0_4arch9wavefront6targetE0EEEvSY_
	.p2align	8
	.type	_ZN7rocprim17ROCPRIM_400000_NS6detail17trampoline_kernelINS0_13select_configILj256ELj13ELNS0_17block_load_methodE3ELS4_3ELS4_3ELNS0_20block_scan_algorithmE0ELj4294967295EEENS1_25partition_config_selectorILNS1_17partition_subalgoE3EjNS0_10empty_typeEbEEZZNS1_14partition_implILS8_3ELb0ES6_jNS0_17counting_iteratorIjlEEPS9_SE_NS0_5tupleIJPjSE_EEENSF_IJSE_SE_EEES9_SG_JZNS1_25segmented_radix_sort_implINS0_14default_configELb1EPKaPaPKlPlN2at6native12_GLOBAL__N_18offset_tEEE10hipError_tPvRmT1_PNSt15iterator_traitsISY_E10value_typeET2_T3_PNSZ_IS14_E10value_typeET4_jRbjT5_S1A_jjP12ihipStream_tbEUljE_EEESV_SW_SX_S14_S18_S1A_T6_T7_T9_mT8_S1C_bDpT10_ENKUlT_T0_E_clISt17integral_constantIbLb0EES1O_IbLb1EEEEDaS1K_S1L_EUlS1K_E_NS1_11comp_targetILNS1_3genE5ELNS1_11target_archE942ELNS1_3gpuE9ELNS1_3repE0EEENS1_30default_config_static_selectorELNS0_4arch9wavefront6targetE0EEEvSY_,@function
_ZN7rocprim17ROCPRIM_400000_NS6detail17trampoline_kernelINS0_13select_configILj256ELj13ELNS0_17block_load_methodE3ELS4_3ELS4_3ELNS0_20block_scan_algorithmE0ELj4294967295EEENS1_25partition_config_selectorILNS1_17partition_subalgoE3EjNS0_10empty_typeEbEEZZNS1_14partition_implILS8_3ELb0ES6_jNS0_17counting_iteratorIjlEEPS9_SE_NS0_5tupleIJPjSE_EEENSF_IJSE_SE_EEES9_SG_JZNS1_25segmented_radix_sort_implINS0_14default_configELb1EPKaPaPKlPlN2at6native12_GLOBAL__N_18offset_tEEE10hipError_tPvRmT1_PNSt15iterator_traitsISY_E10value_typeET2_T3_PNSZ_IS14_E10value_typeET4_jRbjT5_S1A_jjP12ihipStream_tbEUljE_EEESV_SW_SX_S14_S18_S1A_T6_T7_T9_mT8_S1C_bDpT10_ENKUlT_T0_E_clISt17integral_constantIbLb0EES1O_IbLb1EEEEDaS1K_S1L_EUlS1K_E_NS1_11comp_targetILNS1_3genE5ELNS1_11target_archE942ELNS1_3gpuE9ELNS1_3repE0EEENS1_30default_config_static_selectorELNS0_4arch9wavefront6targetE0EEEvSY_: ; @_ZN7rocprim17ROCPRIM_400000_NS6detail17trampoline_kernelINS0_13select_configILj256ELj13ELNS0_17block_load_methodE3ELS4_3ELS4_3ELNS0_20block_scan_algorithmE0ELj4294967295EEENS1_25partition_config_selectorILNS1_17partition_subalgoE3EjNS0_10empty_typeEbEEZZNS1_14partition_implILS8_3ELb0ES6_jNS0_17counting_iteratorIjlEEPS9_SE_NS0_5tupleIJPjSE_EEENSF_IJSE_SE_EEES9_SG_JZNS1_25segmented_radix_sort_implINS0_14default_configELb1EPKaPaPKlPlN2at6native12_GLOBAL__N_18offset_tEEE10hipError_tPvRmT1_PNSt15iterator_traitsISY_E10value_typeET2_T3_PNSZ_IS14_E10value_typeET4_jRbjT5_S1A_jjP12ihipStream_tbEUljE_EEESV_SW_SX_S14_S18_S1A_T6_T7_T9_mT8_S1C_bDpT10_ENKUlT_T0_E_clISt17integral_constantIbLb0EES1O_IbLb1EEEEDaS1K_S1L_EUlS1K_E_NS1_11comp_targetILNS1_3genE5ELNS1_11target_archE942ELNS1_3gpuE9ELNS1_3repE0EEENS1_30default_config_static_selectorELNS0_4arch9wavefront6targetE0EEEvSY_
; %bb.0:
	.section	.rodata,"a",@progbits
	.p2align	6, 0x0
	.amdhsa_kernel _ZN7rocprim17ROCPRIM_400000_NS6detail17trampoline_kernelINS0_13select_configILj256ELj13ELNS0_17block_load_methodE3ELS4_3ELS4_3ELNS0_20block_scan_algorithmE0ELj4294967295EEENS1_25partition_config_selectorILNS1_17partition_subalgoE3EjNS0_10empty_typeEbEEZZNS1_14partition_implILS8_3ELb0ES6_jNS0_17counting_iteratorIjlEEPS9_SE_NS0_5tupleIJPjSE_EEENSF_IJSE_SE_EEES9_SG_JZNS1_25segmented_radix_sort_implINS0_14default_configELb1EPKaPaPKlPlN2at6native12_GLOBAL__N_18offset_tEEE10hipError_tPvRmT1_PNSt15iterator_traitsISY_E10value_typeET2_T3_PNSZ_IS14_E10value_typeET4_jRbjT5_S1A_jjP12ihipStream_tbEUljE_EEESV_SW_SX_S14_S18_S1A_T6_T7_T9_mT8_S1C_bDpT10_ENKUlT_T0_E_clISt17integral_constantIbLb0EES1O_IbLb1EEEEDaS1K_S1L_EUlS1K_E_NS1_11comp_targetILNS1_3genE5ELNS1_11target_archE942ELNS1_3gpuE9ELNS1_3repE0EEENS1_30default_config_static_selectorELNS0_4arch9wavefront6targetE0EEEvSY_
		.amdhsa_group_segment_fixed_size 0
		.amdhsa_private_segment_fixed_size 0
		.amdhsa_kernarg_size 152
		.amdhsa_user_sgpr_count 15
		.amdhsa_user_sgpr_dispatch_ptr 0
		.amdhsa_user_sgpr_queue_ptr 0
		.amdhsa_user_sgpr_kernarg_segment_ptr 1
		.amdhsa_user_sgpr_dispatch_id 0
		.amdhsa_user_sgpr_private_segment_size 0
		.amdhsa_wavefront_size32 1
		.amdhsa_uses_dynamic_stack 0
		.amdhsa_enable_private_segment 0
		.amdhsa_system_sgpr_workgroup_id_x 1
		.amdhsa_system_sgpr_workgroup_id_y 0
		.amdhsa_system_sgpr_workgroup_id_z 0
		.amdhsa_system_sgpr_workgroup_info 0
		.amdhsa_system_vgpr_workitem_id 0
		.amdhsa_next_free_vgpr 1
		.amdhsa_next_free_sgpr 1
		.amdhsa_reserve_vcc 0
		.amdhsa_float_round_mode_32 0
		.amdhsa_float_round_mode_16_64 0
		.amdhsa_float_denorm_mode_32 3
		.amdhsa_float_denorm_mode_16_64 3
		.amdhsa_dx10_clamp 1
		.amdhsa_ieee_mode 1
		.amdhsa_fp16_overflow 0
		.amdhsa_workgroup_processor_mode 1
		.amdhsa_memory_ordered 1
		.amdhsa_forward_progress 0
		.amdhsa_shared_vgpr_count 0
		.amdhsa_exception_fp_ieee_invalid_op 0
		.amdhsa_exception_fp_denorm_src 0
		.amdhsa_exception_fp_ieee_div_zero 0
		.amdhsa_exception_fp_ieee_overflow 0
		.amdhsa_exception_fp_ieee_underflow 0
		.amdhsa_exception_fp_ieee_inexact 0
		.amdhsa_exception_int_div_zero 0
	.end_amdhsa_kernel
	.section	.text._ZN7rocprim17ROCPRIM_400000_NS6detail17trampoline_kernelINS0_13select_configILj256ELj13ELNS0_17block_load_methodE3ELS4_3ELS4_3ELNS0_20block_scan_algorithmE0ELj4294967295EEENS1_25partition_config_selectorILNS1_17partition_subalgoE3EjNS0_10empty_typeEbEEZZNS1_14partition_implILS8_3ELb0ES6_jNS0_17counting_iteratorIjlEEPS9_SE_NS0_5tupleIJPjSE_EEENSF_IJSE_SE_EEES9_SG_JZNS1_25segmented_radix_sort_implINS0_14default_configELb1EPKaPaPKlPlN2at6native12_GLOBAL__N_18offset_tEEE10hipError_tPvRmT1_PNSt15iterator_traitsISY_E10value_typeET2_T3_PNSZ_IS14_E10value_typeET4_jRbjT5_S1A_jjP12ihipStream_tbEUljE_EEESV_SW_SX_S14_S18_S1A_T6_T7_T9_mT8_S1C_bDpT10_ENKUlT_T0_E_clISt17integral_constantIbLb0EES1O_IbLb1EEEEDaS1K_S1L_EUlS1K_E_NS1_11comp_targetILNS1_3genE5ELNS1_11target_archE942ELNS1_3gpuE9ELNS1_3repE0EEENS1_30default_config_static_selectorELNS0_4arch9wavefront6targetE0EEEvSY_,"axG",@progbits,_ZN7rocprim17ROCPRIM_400000_NS6detail17trampoline_kernelINS0_13select_configILj256ELj13ELNS0_17block_load_methodE3ELS4_3ELS4_3ELNS0_20block_scan_algorithmE0ELj4294967295EEENS1_25partition_config_selectorILNS1_17partition_subalgoE3EjNS0_10empty_typeEbEEZZNS1_14partition_implILS8_3ELb0ES6_jNS0_17counting_iteratorIjlEEPS9_SE_NS0_5tupleIJPjSE_EEENSF_IJSE_SE_EEES9_SG_JZNS1_25segmented_radix_sort_implINS0_14default_configELb1EPKaPaPKlPlN2at6native12_GLOBAL__N_18offset_tEEE10hipError_tPvRmT1_PNSt15iterator_traitsISY_E10value_typeET2_T3_PNSZ_IS14_E10value_typeET4_jRbjT5_S1A_jjP12ihipStream_tbEUljE_EEESV_SW_SX_S14_S18_S1A_T6_T7_T9_mT8_S1C_bDpT10_ENKUlT_T0_E_clISt17integral_constantIbLb0EES1O_IbLb1EEEEDaS1K_S1L_EUlS1K_E_NS1_11comp_targetILNS1_3genE5ELNS1_11target_archE942ELNS1_3gpuE9ELNS1_3repE0EEENS1_30default_config_static_selectorELNS0_4arch9wavefront6targetE0EEEvSY_,comdat
.Lfunc_end283:
	.size	_ZN7rocprim17ROCPRIM_400000_NS6detail17trampoline_kernelINS0_13select_configILj256ELj13ELNS0_17block_load_methodE3ELS4_3ELS4_3ELNS0_20block_scan_algorithmE0ELj4294967295EEENS1_25partition_config_selectorILNS1_17partition_subalgoE3EjNS0_10empty_typeEbEEZZNS1_14partition_implILS8_3ELb0ES6_jNS0_17counting_iteratorIjlEEPS9_SE_NS0_5tupleIJPjSE_EEENSF_IJSE_SE_EEES9_SG_JZNS1_25segmented_radix_sort_implINS0_14default_configELb1EPKaPaPKlPlN2at6native12_GLOBAL__N_18offset_tEEE10hipError_tPvRmT1_PNSt15iterator_traitsISY_E10value_typeET2_T3_PNSZ_IS14_E10value_typeET4_jRbjT5_S1A_jjP12ihipStream_tbEUljE_EEESV_SW_SX_S14_S18_S1A_T6_T7_T9_mT8_S1C_bDpT10_ENKUlT_T0_E_clISt17integral_constantIbLb0EES1O_IbLb1EEEEDaS1K_S1L_EUlS1K_E_NS1_11comp_targetILNS1_3genE5ELNS1_11target_archE942ELNS1_3gpuE9ELNS1_3repE0EEENS1_30default_config_static_selectorELNS0_4arch9wavefront6targetE0EEEvSY_, .Lfunc_end283-_ZN7rocprim17ROCPRIM_400000_NS6detail17trampoline_kernelINS0_13select_configILj256ELj13ELNS0_17block_load_methodE3ELS4_3ELS4_3ELNS0_20block_scan_algorithmE0ELj4294967295EEENS1_25partition_config_selectorILNS1_17partition_subalgoE3EjNS0_10empty_typeEbEEZZNS1_14partition_implILS8_3ELb0ES6_jNS0_17counting_iteratorIjlEEPS9_SE_NS0_5tupleIJPjSE_EEENSF_IJSE_SE_EEES9_SG_JZNS1_25segmented_radix_sort_implINS0_14default_configELb1EPKaPaPKlPlN2at6native12_GLOBAL__N_18offset_tEEE10hipError_tPvRmT1_PNSt15iterator_traitsISY_E10value_typeET2_T3_PNSZ_IS14_E10value_typeET4_jRbjT5_S1A_jjP12ihipStream_tbEUljE_EEESV_SW_SX_S14_S18_S1A_T6_T7_T9_mT8_S1C_bDpT10_ENKUlT_T0_E_clISt17integral_constantIbLb0EES1O_IbLb1EEEEDaS1K_S1L_EUlS1K_E_NS1_11comp_targetILNS1_3genE5ELNS1_11target_archE942ELNS1_3gpuE9ELNS1_3repE0EEENS1_30default_config_static_selectorELNS0_4arch9wavefront6targetE0EEEvSY_
                                        ; -- End function
	.section	.AMDGPU.csdata,"",@progbits
; Kernel info:
; codeLenInByte = 0
; NumSgprs: 0
; NumVgprs: 0
; ScratchSize: 0
; MemoryBound: 0
; FloatMode: 240
; IeeeMode: 1
; LDSByteSize: 0 bytes/workgroup (compile time only)
; SGPRBlocks: 0
; VGPRBlocks: 0
; NumSGPRsForWavesPerEU: 1
; NumVGPRsForWavesPerEU: 1
; Occupancy: 16
; WaveLimiterHint : 0
; COMPUTE_PGM_RSRC2:SCRATCH_EN: 0
; COMPUTE_PGM_RSRC2:USER_SGPR: 15
; COMPUTE_PGM_RSRC2:TRAP_HANDLER: 0
; COMPUTE_PGM_RSRC2:TGID_X_EN: 1
; COMPUTE_PGM_RSRC2:TGID_Y_EN: 0
; COMPUTE_PGM_RSRC2:TGID_Z_EN: 0
; COMPUTE_PGM_RSRC2:TIDIG_COMP_CNT: 0
	.section	.text._ZN7rocprim17ROCPRIM_400000_NS6detail17trampoline_kernelINS0_13select_configILj256ELj13ELNS0_17block_load_methodE3ELS4_3ELS4_3ELNS0_20block_scan_algorithmE0ELj4294967295EEENS1_25partition_config_selectorILNS1_17partition_subalgoE3EjNS0_10empty_typeEbEEZZNS1_14partition_implILS8_3ELb0ES6_jNS0_17counting_iteratorIjlEEPS9_SE_NS0_5tupleIJPjSE_EEENSF_IJSE_SE_EEES9_SG_JZNS1_25segmented_radix_sort_implINS0_14default_configELb1EPKaPaPKlPlN2at6native12_GLOBAL__N_18offset_tEEE10hipError_tPvRmT1_PNSt15iterator_traitsISY_E10value_typeET2_T3_PNSZ_IS14_E10value_typeET4_jRbjT5_S1A_jjP12ihipStream_tbEUljE_EEESV_SW_SX_S14_S18_S1A_T6_T7_T9_mT8_S1C_bDpT10_ENKUlT_T0_E_clISt17integral_constantIbLb0EES1O_IbLb1EEEEDaS1K_S1L_EUlS1K_E_NS1_11comp_targetILNS1_3genE4ELNS1_11target_archE910ELNS1_3gpuE8ELNS1_3repE0EEENS1_30default_config_static_selectorELNS0_4arch9wavefront6targetE0EEEvSY_,"axG",@progbits,_ZN7rocprim17ROCPRIM_400000_NS6detail17trampoline_kernelINS0_13select_configILj256ELj13ELNS0_17block_load_methodE3ELS4_3ELS4_3ELNS0_20block_scan_algorithmE0ELj4294967295EEENS1_25partition_config_selectorILNS1_17partition_subalgoE3EjNS0_10empty_typeEbEEZZNS1_14partition_implILS8_3ELb0ES6_jNS0_17counting_iteratorIjlEEPS9_SE_NS0_5tupleIJPjSE_EEENSF_IJSE_SE_EEES9_SG_JZNS1_25segmented_radix_sort_implINS0_14default_configELb1EPKaPaPKlPlN2at6native12_GLOBAL__N_18offset_tEEE10hipError_tPvRmT1_PNSt15iterator_traitsISY_E10value_typeET2_T3_PNSZ_IS14_E10value_typeET4_jRbjT5_S1A_jjP12ihipStream_tbEUljE_EEESV_SW_SX_S14_S18_S1A_T6_T7_T9_mT8_S1C_bDpT10_ENKUlT_T0_E_clISt17integral_constantIbLb0EES1O_IbLb1EEEEDaS1K_S1L_EUlS1K_E_NS1_11comp_targetILNS1_3genE4ELNS1_11target_archE910ELNS1_3gpuE8ELNS1_3repE0EEENS1_30default_config_static_selectorELNS0_4arch9wavefront6targetE0EEEvSY_,comdat
	.globl	_ZN7rocprim17ROCPRIM_400000_NS6detail17trampoline_kernelINS0_13select_configILj256ELj13ELNS0_17block_load_methodE3ELS4_3ELS4_3ELNS0_20block_scan_algorithmE0ELj4294967295EEENS1_25partition_config_selectorILNS1_17partition_subalgoE3EjNS0_10empty_typeEbEEZZNS1_14partition_implILS8_3ELb0ES6_jNS0_17counting_iteratorIjlEEPS9_SE_NS0_5tupleIJPjSE_EEENSF_IJSE_SE_EEES9_SG_JZNS1_25segmented_radix_sort_implINS0_14default_configELb1EPKaPaPKlPlN2at6native12_GLOBAL__N_18offset_tEEE10hipError_tPvRmT1_PNSt15iterator_traitsISY_E10value_typeET2_T3_PNSZ_IS14_E10value_typeET4_jRbjT5_S1A_jjP12ihipStream_tbEUljE_EEESV_SW_SX_S14_S18_S1A_T6_T7_T9_mT8_S1C_bDpT10_ENKUlT_T0_E_clISt17integral_constantIbLb0EES1O_IbLb1EEEEDaS1K_S1L_EUlS1K_E_NS1_11comp_targetILNS1_3genE4ELNS1_11target_archE910ELNS1_3gpuE8ELNS1_3repE0EEENS1_30default_config_static_selectorELNS0_4arch9wavefront6targetE0EEEvSY_ ; -- Begin function _ZN7rocprim17ROCPRIM_400000_NS6detail17trampoline_kernelINS0_13select_configILj256ELj13ELNS0_17block_load_methodE3ELS4_3ELS4_3ELNS0_20block_scan_algorithmE0ELj4294967295EEENS1_25partition_config_selectorILNS1_17partition_subalgoE3EjNS0_10empty_typeEbEEZZNS1_14partition_implILS8_3ELb0ES6_jNS0_17counting_iteratorIjlEEPS9_SE_NS0_5tupleIJPjSE_EEENSF_IJSE_SE_EEES9_SG_JZNS1_25segmented_radix_sort_implINS0_14default_configELb1EPKaPaPKlPlN2at6native12_GLOBAL__N_18offset_tEEE10hipError_tPvRmT1_PNSt15iterator_traitsISY_E10value_typeET2_T3_PNSZ_IS14_E10value_typeET4_jRbjT5_S1A_jjP12ihipStream_tbEUljE_EEESV_SW_SX_S14_S18_S1A_T6_T7_T9_mT8_S1C_bDpT10_ENKUlT_T0_E_clISt17integral_constantIbLb0EES1O_IbLb1EEEEDaS1K_S1L_EUlS1K_E_NS1_11comp_targetILNS1_3genE4ELNS1_11target_archE910ELNS1_3gpuE8ELNS1_3repE0EEENS1_30default_config_static_selectorELNS0_4arch9wavefront6targetE0EEEvSY_
	.p2align	8
	.type	_ZN7rocprim17ROCPRIM_400000_NS6detail17trampoline_kernelINS0_13select_configILj256ELj13ELNS0_17block_load_methodE3ELS4_3ELS4_3ELNS0_20block_scan_algorithmE0ELj4294967295EEENS1_25partition_config_selectorILNS1_17partition_subalgoE3EjNS0_10empty_typeEbEEZZNS1_14partition_implILS8_3ELb0ES6_jNS0_17counting_iteratorIjlEEPS9_SE_NS0_5tupleIJPjSE_EEENSF_IJSE_SE_EEES9_SG_JZNS1_25segmented_radix_sort_implINS0_14default_configELb1EPKaPaPKlPlN2at6native12_GLOBAL__N_18offset_tEEE10hipError_tPvRmT1_PNSt15iterator_traitsISY_E10value_typeET2_T3_PNSZ_IS14_E10value_typeET4_jRbjT5_S1A_jjP12ihipStream_tbEUljE_EEESV_SW_SX_S14_S18_S1A_T6_T7_T9_mT8_S1C_bDpT10_ENKUlT_T0_E_clISt17integral_constantIbLb0EES1O_IbLb1EEEEDaS1K_S1L_EUlS1K_E_NS1_11comp_targetILNS1_3genE4ELNS1_11target_archE910ELNS1_3gpuE8ELNS1_3repE0EEENS1_30default_config_static_selectorELNS0_4arch9wavefront6targetE0EEEvSY_,@function
_ZN7rocprim17ROCPRIM_400000_NS6detail17trampoline_kernelINS0_13select_configILj256ELj13ELNS0_17block_load_methodE3ELS4_3ELS4_3ELNS0_20block_scan_algorithmE0ELj4294967295EEENS1_25partition_config_selectorILNS1_17partition_subalgoE3EjNS0_10empty_typeEbEEZZNS1_14partition_implILS8_3ELb0ES6_jNS0_17counting_iteratorIjlEEPS9_SE_NS0_5tupleIJPjSE_EEENSF_IJSE_SE_EEES9_SG_JZNS1_25segmented_radix_sort_implINS0_14default_configELb1EPKaPaPKlPlN2at6native12_GLOBAL__N_18offset_tEEE10hipError_tPvRmT1_PNSt15iterator_traitsISY_E10value_typeET2_T3_PNSZ_IS14_E10value_typeET4_jRbjT5_S1A_jjP12ihipStream_tbEUljE_EEESV_SW_SX_S14_S18_S1A_T6_T7_T9_mT8_S1C_bDpT10_ENKUlT_T0_E_clISt17integral_constantIbLb0EES1O_IbLb1EEEEDaS1K_S1L_EUlS1K_E_NS1_11comp_targetILNS1_3genE4ELNS1_11target_archE910ELNS1_3gpuE8ELNS1_3repE0EEENS1_30default_config_static_selectorELNS0_4arch9wavefront6targetE0EEEvSY_: ; @_ZN7rocprim17ROCPRIM_400000_NS6detail17trampoline_kernelINS0_13select_configILj256ELj13ELNS0_17block_load_methodE3ELS4_3ELS4_3ELNS0_20block_scan_algorithmE0ELj4294967295EEENS1_25partition_config_selectorILNS1_17partition_subalgoE3EjNS0_10empty_typeEbEEZZNS1_14partition_implILS8_3ELb0ES6_jNS0_17counting_iteratorIjlEEPS9_SE_NS0_5tupleIJPjSE_EEENSF_IJSE_SE_EEES9_SG_JZNS1_25segmented_radix_sort_implINS0_14default_configELb1EPKaPaPKlPlN2at6native12_GLOBAL__N_18offset_tEEE10hipError_tPvRmT1_PNSt15iterator_traitsISY_E10value_typeET2_T3_PNSZ_IS14_E10value_typeET4_jRbjT5_S1A_jjP12ihipStream_tbEUljE_EEESV_SW_SX_S14_S18_S1A_T6_T7_T9_mT8_S1C_bDpT10_ENKUlT_T0_E_clISt17integral_constantIbLb0EES1O_IbLb1EEEEDaS1K_S1L_EUlS1K_E_NS1_11comp_targetILNS1_3genE4ELNS1_11target_archE910ELNS1_3gpuE8ELNS1_3repE0EEENS1_30default_config_static_selectorELNS0_4arch9wavefront6targetE0EEEvSY_
; %bb.0:
	.section	.rodata,"a",@progbits
	.p2align	6, 0x0
	.amdhsa_kernel _ZN7rocprim17ROCPRIM_400000_NS6detail17trampoline_kernelINS0_13select_configILj256ELj13ELNS0_17block_load_methodE3ELS4_3ELS4_3ELNS0_20block_scan_algorithmE0ELj4294967295EEENS1_25partition_config_selectorILNS1_17partition_subalgoE3EjNS0_10empty_typeEbEEZZNS1_14partition_implILS8_3ELb0ES6_jNS0_17counting_iteratorIjlEEPS9_SE_NS0_5tupleIJPjSE_EEENSF_IJSE_SE_EEES9_SG_JZNS1_25segmented_radix_sort_implINS0_14default_configELb1EPKaPaPKlPlN2at6native12_GLOBAL__N_18offset_tEEE10hipError_tPvRmT1_PNSt15iterator_traitsISY_E10value_typeET2_T3_PNSZ_IS14_E10value_typeET4_jRbjT5_S1A_jjP12ihipStream_tbEUljE_EEESV_SW_SX_S14_S18_S1A_T6_T7_T9_mT8_S1C_bDpT10_ENKUlT_T0_E_clISt17integral_constantIbLb0EES1O_IbLb1EEEEDaS1K_S1L_EUlS1K_E_NS1_11comp_targetILNS1_3genE4ELNS1_11target_archE910ELNS1_3gpuE8ELNS1_3repE0EEENS1_30default_config_static_selectorELNS0_4arch9wavefront6targetE0EEEvSY_
		.amdhsa_group_segment_fixed_size 0
		.amdhsa_private_segment_fixed_size 0
		.amdhsa_kernarg_size 152
		.amdhsa_user_sgpr_count 15
		.amdhsa_user_sgpr_dispatch_ptr 0
		.amdhsa_user_sgpr_queue_ptr 0
		.amdhsa_user_sgpr_kernarg_segment_ptr 1
		.amdhsa_user_sgpr_dispatch_id 0
		.amdhsa_user_sgpr_private_segment_size 0
		.amdhsa_wavefront_size32 1
		.amdhsa_uses_dynamic_stack 0
		.amdhsa_enable_private_segment 0
		.amdhsa_system_sgpr_workgroup_id_x 1
		.amdhsa_system_sgpr_workgroup_id_y 0
		.amdhsa_system_sgpr_workgroup_id_z 0
		.amdhsa_system_sgpr_workgroup_info 0
		.amdhsa_system_vgpr_workitem_id 0
		.amdhsa_next_free_vgpr 1
		.amdhsa_next_free_sgpr 1
		.amdhsa_reserve_vcc 0
		.amdhsa_float_round_mode_32 0
		.amdhsa_float_round_mode_16_64 0
		.amdhsa_float_denorm_mode_32 3
		.amdhsa_float_denorm_mode_16_64 3
		.amdhsa_dx10_clamp 1
		.amdhsa_ieee_mode 1
		.amdhsa_fp16_overflow 0
		.amdhsa_workgroup_processor_mode 1
		.amdhsa_memory_ordered 1
		.amdhsa_forward_progress 0
		.amdhsa_shared_vgpr_count 0
		.amdhsa_exception_fp_ieee_invalid_op 0
		.amdhsa_exception_fp_denorm_src 0
		.amdhsa_exception_fp_ieee_div_zero 0
		.amdhsa_exception_fp_ieee_overflow 0
		.amdhsa_exception_fp_ieee_underflow 0
		.amdhsa_exception_fp_ieee_inexact 0
		.amdhsa_exception_int_div_zero 0
	.end_amdhsa_kernel
	.section	.text._ZN7rocprim17ROCPRIM_400000_NS6detail17trampoline_kernelINS0_13select_configILj256ELj13ELNS0_17block_load_methodE3ELS4_3ELS4_3ELNS0_20block_scan_algorithmE0ELj4294967295EEENS1_25partition_config_selectorILNS1_17partition_subalgoE3EjNS0_10empty_typeEbEEZZNS1_14partition_implILS8_3ELb0ES6_jNS0_17counting_iteratorIjlEEPS9_SE_NS0_5tupleIJPjSE_EEENSF_IJSE_SE_EEES9_SG_JZNS1_25segmented_radix_sort_implINS0_14default_configELb1EPKaPaPKlPlN2at6native12_GLOBAL__N_18offset_tEEE10hipError_tPvRmT1_PNSt15iterator_traitsISY_E10value_typeET2_T3_PNSZ_IS14_E10value_typeET4_jRbjT5_S1A_jjP12ihipStream_tbEUljE_EEESV_SW_SX_S14_S18_S1A_T6_T7_T9_mT8_S1C_bDpT10_ENKUlT_T0_E_clISt17integral_constantIbLb0EES1O_IbLb1EEEEDaS1K_S1L_EUlS1K_E_NS1_11comp_targetILNS1_3genE4ELNS1_11target_archE910ELNS1_3gpuE8ELNS1_3repE0EEENS1_30default_config_static_selectorELNS0_4arch9wavefront6targetE0EEEvSY_,"axG",@progbits,_ZN7rocprim17ROCPRIM_400000_NS6detail17trampoline_kernelINS0_13select_configILj256ELj13ELNS0_17block_load_methodE3ELS4_3ELS4_3ELNS0_20block_scan_algorithmE0ELj4294967295EEENS1_25partition_config_selectorILNS1_17partition_subalgoE3EjNS0_10empty_typeEbEEZZNS1_14partition_implILS8_3ELb0ES6_jNS0_17counting_iteratorIjlEEPS9_SE_NS0_5tupleIJPjSE_EEENSF_IJSE_SE_EEES9_SG_JZNS1_25segmented_radix_sort_implINS0_14default_configELb1EPKaPaPKlPlN2at6native12_GLOBAL__N_18offset_tEEE10hipError_tPvRmT1_PNSt15iterator_traitsISY_E10value_typeET2_T3_PNSZ_IS14_E10value_typeET4_jRbjT5_S1A_jjP12ihipStream_tbEUljE_EEESV_SW_SX_S14_S18_S1A_T6_T7_T9_mT8_S1C_bDpT10_ENKUlT_T0_E_clISt17integral_constantIbLb0EES1O_IbLb1EEEEDaS1K_S1L_EUlS1K_E_NS1_11comp_targetILNS1_3genE4ELNS1_11target_archE910ELNS1_3gpuE8ELNS1_3repE0EEENS1_30default_config_static_selectorELNS0_4arch9wavefront6targetE0EEEvSY_,comdat
.Lfunc_end284:
	.size	_ZN7rocprim17ROCPRIM_400000_NS6detail17trampoline_kernelINS0_13select_configILj256ELj13ELNS0_17block_load_methodE3ELS4_3ELS4_3ELNS0_20block_scan_algorithmE0ELj4294967295EEENS1_25partition_config_selectorILNS1_17partition_subalgoE3EjNS0_10empty_typeEbEEZZNS1_14partition_implILS8_3ELb0ES6_jNS0_17counting_iteratorIjlEEPS9_SE_NS0_5tupleIJPjSE_EEENSF_IJSE_SE_EEES9_SG_JZNS1_25segmented_radix_sort_implINS0_14default_configELb1EPKaPaPKlPlN2at6native12_GLOBAL__N_18offset_tEEE10hipError_tPvRmT1_PNSt15iterator_traitsISY_E10value_typeET2_T3_PNSZ_IS14_E10value_typeET4_jRbjT5_S1A_jjP12ihipStream_tbEUljE_EEESV_SW_SX_S14_S18_S1A_T6_T7_T9_mT8_S1C_bDpT10_ENKUlT_T0_E_clISt17integral_constantIbLb0EES1O_IbLb1EEEEDaS1K_S1L_EUlS1K_E_NS1_11comp_targetILNS1_3genE4ELNS1_11target_archE910ELNS1_3gpuE8ELNS1_3repE0EEENS1_30default_config_static_selectorELNS0_4arch9wavefront6targetE0EEEvSY_, .Lfunc_end284-_ZN7rocprim17ROCPRIM_400000_NS6detail17trampoline_kernelINS0_13select_configILj256ELj13ELNS0_17block_load_methodE3ELS4_3ELS4_3ELNS0_20block_scan_algorithmE0ELj4294967295EEENS1_25partition_config_selectorILNS1_17partition_subalgoE3EjNS0_10empty_typeEbEEZZNS1_14partition_implILS8_3ELb0ES6_jNS0_17counting_iteratorIjlEEPS9_SE_NS0_5tupleIJPjSE_EEENSF_IJSE_SE_EEES9_SG_JZNS1_25segmented_radix_sort_implINS0_14default_configELb1EPKaPaPKlPlN2at6native12_GLOBAL__N_18offset_tEEE10hipError_tPvRmT1_PNSt15iterator_traitsISY_E10value_typeET2_T3_PNSZ_IS14_E10value_typeET4_jRbjT5_S1A_jjP12ihipStream_tbEUljE_EEESV_SW_SX_S14_S18_S1A_T6_T7_T9_mT8_S1C_bDpT10_ENKUlT_T0_E_clISt17integral_constantIbLb0EES1O_IbLb1EEEEDaS1K_S1L_EUlS1K_E_NS1_11comp_targetILNS1_3genE4ELNS1_11target_archE910ELNS1_3gpuE8ELNS1_3repE0EEENS1_30default_config_static_selectorELNS0_4arch9wavefront6targetE0EEEvSY_
                                        ; -- End function
	.section	.AMDGPU.csdata,"",@progbits
; Kernel info:
; codeLenInByte = 0
; NumSgprs: 0
; NumVgprs: 0
; ScratchSize: 0
; MemoryBound: 0
; FloatMode: 240
; IeeeMode: 1
; LDSByteSize: 0 bytes/workgroup (compile time only)
; SGPRBlocks: 0
; VGPRBlocks: 0
; NumSGPRsForWavesPerEU: 1
; NumVGPRsForWavesPerEU: 1
; Occupancy: 16
; WaveLimiterHint : 0
; COMPUTE_PGM_RSRC2:SCRATCH_EN: 0
; COMPUTE_PGM_RSRC2:USER_SGPR: 15
; COMPUTE_PGM_RSRC2:TRAP_HANDLER: 0
; COMPUTE_PGM_RSRC2:TGID_X_EN: 1
; COMPUTE_PGM_RSRC2:TGID_Y_EN: 0
; COMPUTE_PGM_RSRC2:TGID_Z_EN: 0
; COMPUTE_PGM_RSRC2:TIDIG_COMP_CNT: 0
	.section	.text._ZN7rocprim17ROCPRIM_400000_NS6detail17trampoline_kernelINS0_13select_configILj256ELj13ELNS0_17block_load_methodE3ELS4_3ELS4_3ELNS0_20block_scan_algorithmE0ELj4294967295EEENS1_25partition_config_selectorILNS1_17partition_subalgoE3EjNS0_10empty_typeEbEEZZNS1_14partition_implILS8_3ELb0ES6_jNS0_17counting_iteratorIjlEEPS9_SE_NS0_5tupleIJPjSE_EEENSF_IJSE_SE_EEES9_SG_JZNS1_25segmented_radix_sort_implINS0_14default_configELb1EPKaPaPKlPlN2at6native12_GLOBAL__N_18offset_tEEE10hipError_tPvRmT1_PNSt15iterator_traitsISY_E10value_typeET2_T3_PNSZ_IS14_E10value_typeET4_jRbjT5_S1A_jjP12ihipStream_tbEUljE_EEESV_SW_SX_S14_S18_S1A_T6_T7_T9_mT8_S1C_bDpT10_ENKUlT_T0_E_clISt17integral_constantIbLb0EES1O_IbLb1EEEEDaS1K_S1L_EUlS1K_E_NS1_11comp_targetILNS1_3genE3ELNS1_11target_archE908ELNS1_3gpuE7ELNS1_3repE0EEENS1_30default_config_static_selectorELNS0_4arch9wavefront6targetE0EEEvSY_,"axG",@progbits,_ZN7rocprim17ROCPRIM_400000_NS6detail17trampoline_kernelINS0_13select_configILj256ELj13ELNS0_17block_load_methodE3ELS4_3ELS4_3ELNS0_20block_scan_algorithmE0ELj4294967295EEENS1_25partition_config_selectorILNS1_17partition_subalgoE3EjNS0_10empty_typeEbEEZZNS1_14partition_implILS8_3ELb0ES6_jNS0_17counting_iteratorIjlEEPS9_SE_NS0_5tupleIJPjSE_EEENSF_IJSE_SE_EEES9_SG_JZNS1_25segmented_radix_sort_implINS0_14default_configELb1EPKaPaPKlPlN2at6native12_GLOBAL__N_18offset_tEEE10hipError_tPvRmT1_PNSt15iterator_traitsISY_E10value_typeET2_T3_PNSZ_IS14_E10value_typeET4_jRbjT5_S1A_jjP12ihipStream_tbEUljE_EEESV_SW_SX_S14_S18_S1A_T6_T7_T9_mT8_S1C_bDpT10_ENKUlT_T0_E_clISt17integral_constantIbLb0EES1O_IbLb1EEEEDaS1K_S1L_EUlS1K_E_NS1_11comp_targetILNS1_3genE3ELNS1_11target_archE908ELNS1_3gpuE7ELNS1_3repE0EEENS1_30default_config_static_selectorELNS0_4arch9wavefront6targetE0EEEvSY_,comdat
	.globl	_ZN7rocprim17ROCPRIM_400000_NS6detail17trampoline_kernelINS0_13select_configILj256ELj13ELNS0_17block_load_methodE3ELS4_3ELS4_3ELNS0_20block_scan_algorithmE0ELj4294967295EEENS1_25partition_config_selectorILNS1_17partition_subalgoE3EjNS0_10empty_typeEbEEZZNS1_14partition_implILS8_3ELb0ES6_jNS0_17counting_iteratorIjlEEPS9_SE_NS0_5tupleIJPjSE_EEENSF_IJSE_SE_EEES9_SG_JZNS1_25segmented_radix_sort_implINS0_14default_configELb1EPKaPaPKlPlN2at6native12_GLOBAL__N_18offset_tEEE10hipError_tPvRmT1_PNSt15iterator_traitsISY_E10value_typeET2_T3_PNSZ_IS14_E10value_typeET4_jRbjT5_S1A_jjP12ihipStream_tbEUljE_EEESV_SW_SX_S14_S18_S1A_T6_T7_T9_mT8_S1C_bDpT10_ENKUlT_T0_E_clISt17integral_constantIbLb0EES1O_IbLb1EEEEDaS1K_S1L_EUlS1K_E_NS1_11comp_targetILNS1_3genE3ELNS1_11target_archE908ELNS1_3gpuE7ELNS1_3repE0EEENS1_30default_config_static_selectorELNS0_4arch9wavefront6targetE0EEEvSY_ ; -- Begin function _ZN7rocprim17ROCPRIM_400000_NS6detail17trampoline_kernelINS0_13select_configILj256ELj13ELNS0_17block_load_methodE3ELS4_3ELS4_3ELNS0_20block_scan_algorithmE0ELj4294967295EEENS1_25partition_config_selectorILNS1_17partition_subalgoE3EjNS0_10empty_typeEbEEZZNS1_14partition_implILS8_3ELb0ES6_jNS0_17counting_iteratorIjlEEPS9_SE_NS0_5tupleIJPjSE_EEENSF_IJSE_SE_EEES9_SG_JZNS1_25segmented_radix_sort_implINS0_14default_configELb1EPKaPaPKlPlN2at6native12_GLOBAL__N_18offset_tEEE10hipError_tPvRmT1_PNSt15iterator_traitsISY_E10value_typeET2_T3_PNSZ_IS14_E10value_typeET4_jRbjT5_S1A_jjP12ihipStream_tbEUljE_EEESV_SW_SX_S14_S18_S1A_T6_T7_T9_mT8_S1C_bDpT10_ENKUlT_T0_E_clISt17integral_constantIbLb0EES1O_IbLb1EEEEDaS1K_S1L_EUlS1K_E_NS1_11comp_targetILNS1_3genE3ELNS1_11target_archE908ELNS1_3gpuE7ELNS1_3repE0EEENS1_30default_config_static_selectorELNS0_4arch9wavefront6targetE0EEEvSY_
	.p2align	8
	.type	_ZN7rocprim17ROCPRIM_400000_NS6detail17trampoline_kernelINS0_13select_configILj256ELj13ELNS0_17block_load_methodE3ELS4_3ELS4_3ELNS0_20block_scan_algorithmE0ELj4294967295EEENS1_25partition_config_selectorILNS1_17partition_subalgoE3EjNS0_10empty_typeEbEEZZNS1_14partition_implILS8_3ELb0ES6_jNS0_17counting_iteratorIjlEEPS9_SE_NS0_5tupleIJPjSE_EEENSF_IJSE_SE_EEES9_SG_JZNS1_25segmented_radix_sort_implINS0_14default_configELb1EPKaPaPKlPlN2at6native12_GLOBAL__N_18offset_tEEE10hipError_tPvRmT1_PNSt15iterator_traitsISY_E10value_typeET2_T3_PNSZ_IS14_E10value_typeET4_jRbjT5_S1A_jjP12ihipStream_tbEUljE_EEESV_SW_SX_S14_S18_S1A_T6_T7_T9_mT8_S1C_bDpT10_ENKUlT_T0_E_clISt17integral_constantIbLb0EES1O_IbLb1EEEEDaS1K_S1L_EUlS1K_E_NS1_11comp_targetILNS1_3genE3ELNS1_11target_archE908ELNS1_3gpuE7ELNS1_3repE0EEENS1_30default_config_static_selectorELNS0_4arch9wavefront6targetE0EEEvSY_,@function
_ZN7rocprim17ROCPRIM_400000_NS6detail17trampoline_kernelINS0_13select_configILj256ELj13ELNS0_17block_load_methodE3ELS4_3ELS4_3ELNS0_20block_scan_algorithmE0ELj4294967295EEENS1_25partition_config_selectorILNS1_17partition_subalgoE3EjNS0_10empty_typeEbEEZZNS1_14partition_implILS8_3ELb0ES6_jNS0_17counting_iteratorIjlEEPS9_SE_NS0_5tupleIJPjSE_EEENSF_IJSE_SE_EEES9_SG_JZNS1_25segmented_radix_sort_implINS0_14default_configELb1EPKaPaPKlPlN2at6native12_GLOBAL__N_18offset_tEEE10hipError_tPvRmT1_PNSt15iterator_traitsISY_E10value_typeET2_T3_PNSZ_IS14_E10value_typeET4_jRbjT5_S1A_jjP12ihipStream_tbEUljE_EEESV_SW_SX_S14_S18_S1A_T6_T7_T9_mT8_S1C_bDpT10_ENKUlT_T0_E_clISt17integral_constantIbLb0EES1O_IbLb1EEEEDaS1K_S1L_EUlS1K_E_NS1_11comp_targetILNS1_3genE3ELNS1_11target_archE908ELNS1_3gpuE7ELNS1_3repE0EEENS1_30default_config_static_selectorELNS0_4arch9wavefront6targetE0EEEvSY_: ; @_ZN7rocprim17ROCPRIM_400000_NS6detail17trampoline_kernelINS0_13select_configILj256ELj13ELNS0_17block_load_methodE3ELS4_3ELS4_3ELNS0_20block_scan_algorithmE0ELj4294967295EEENS1_25partition_config_selectorILNS1_17partition_subalgoE3EjNS0_10empty_typeEbEEZZNS1_14partition_implILS8_3ELb0ES6_jNS0_17counting_iteratorIjlEEPS9_SE_NS0_5tupleIJPjSE_EEENSF_IJSE_SE_EEES9_SG_JZNS1_25segmented_radix_sort_implINS0_14default_configELb1EPKaPaPKlPlN2at6native12_GLOBAL__N_18offset_tEEE10hipError_tPvRmT1_PNSt15iterator_traitsISY_E10value_typeET2_T3_PNSZ_IS14_E10value_typeET4_jRbjT5_S1A_jjP12ihipStream_tbEUljE_EEESV_SW_SX_S14_S18_S1A_T6_T7_T9_mT8_S1C_bDpT10_ENKUlT_T0_E_clISt17integral_constantIbLb0EES1O_IbLb1EEEEDaS1K_S1L_EUlS1K_E_NS1_11comp_targetILNS1_3genE3ELNS1_11target_archE908ELNS1_3gpuE7ELNS1_3repE0EEENS1_30default_config_static_selectorELNS0_4arch9wavefront6targetE0EEEvSY_
; %bb.0:
	.section	.rodata,"a",@progbits
	.p2align	6, 0x0
	.amdhsa_kernel _ZN7rocprim17ROCPRIM_400000_NS6detail17trampoline_kernelINS0_13select_configILj256ELj13ELNS0_17block_load_methodE3ELS4_3ELS4_3ELNS0_20block_scan_algorithmE0ELj4294967295EEENS1_25partition_config_selectorILNS1_17partition_subalgoE3EjNS0_10empty_typeEbEEZZNS1_14partition_implILS8_3ELb0ES6_jNS0_17counting_iteratorIjlEEPS9_SE_NS0_5tupleIJPjSE_EEENSF_IJSE_SE_EEES9_SG_JZNS1_25segmented_radix_sort_implINS0_14default_configELb1EPKaPaPKlPlN2at6native12_GLOBAL__N_18offset_tEEE10hipError_tPvRmT1_PNSt15iterator_traitsISY_E10value_typeET2_T3_PNSZ_IS14_E10value_typeET4_jRbjT5_S1A_jjP12ihipStream_tbEUljE_EEESV_SW_SX_S14_S18_S1A_T6_T7_T9_mT8_S1C_bDpT10_ENKUlT_T0_E_clISt17integral_constantIbLb0EES1O_IbLb1EEEEDaS1K_S1L_EUlS1K_E_NS1_11comp_targetILNS1_3genE3ELNS1_11target_archE908ELNS1_3gpuE7ELNS1_3repE0EEENS1_30default_config_static_selectorELNS0_4arch9wavefront6targetE0EEEvSY_
		.amdhsa_group_segment_fixed_size 0
		.amdhsa_private_segment_fixed_size 0
		.amdhsa_kernarg_size 152
		.amdhsa_user_sgpr_count 15
		.amdhsa_user_sgpr_dispatch_ptr 0
		.amdhsa_user_sgpr_queue_ptr 0
		.amdhsa_user_sgpr_kernarg_segment_ptr 1
		.amdhsa_user_sgpr_dispatch_id 0
		.amdhsa_user_sgpr_private_segment_size 0
		.amdhsa_wavefront_size32 1
		.amdhsa_uses_dynamic_stack 0
		.amdhsa_enable_private_segment 0
		.amdhsa_system_sgpr_workgroup_id_x 1
		.amdhsa_system_sgpr_workgroup_id_y 0
		.amdhsa_system_sgpr_workgroup_id_z 0
		.amdhsa_system_sgpr_workgroup_info 0
		.amdhsa_system_vgpr_workitem_id 0
		.amdhsa_next_free_vgpr 1
		.amdhsa_next_free_sgpr 1
		.amdhsa_reserve_vcc 0
		.amdhsa_float_round_mode_32 0
		.amdhsa_float_round_mode_16_64 0
		.amdhsa_float_denorm_mode_32 3
		.amdhsa_float_denorm_mode_16_64 3
		.amdhsa_dx10_clamp 1
		.amdhsa_ieee_mode 1
		.amdhsa_fp16_overflow 0
		.amdhsa_workgroup_processor_mode 1
		.amdhsa_memory_ordered 1
		.amdhsa_forward_progress 0
		.amdhsa_shared_vgpr_count 0
		.amdhsa_exception_fp_ieee_invalid_op 0
		.amdhsa_exception_fp_denorm_src 0
		.amdhsa_exception_fp_ieee_div_zero 0
		.amdhsa_exception_fp_ieee_overflow 0
		.amdhsa_exception_fp_ieee_underflow 0
		.amdhsa_exception_fp_ieee_inexact 0
		.amdhsa_exception_int_div_zero 0
	.end_amdhsa_kernel
	.section	.text._ZN7rocprim17ROCPRIM_400000_NS6detail17trampoline_kernelINS0_13select_configILj256ELj13ELNS0_17block_load_methodE3ELS4_3ELS4_3ELNS0_20block_scan_algorithmE0ELj4294967295EEENS1_25partition_config_selectorILNS1_17partition_subalgoE3EjNS0_10empty_typeEbEEZZNS1_14partition_implILS8_3ELb0ES6_jNS0_17counting_iteratorIjlEEPS9_SE_NS0_5tupleIJPjSE_EEENSF_IJSE_SE_EEES9_SG_JZNS1_25segmented_radix_sort_implINS0_14default_configELb1EPKaPaPKlPlN2at6native12_GLOBAL__N_18offset_tEEE10hipError_tPvRmT1_PNSt15iterator_traitsISY_E10value_typeET2_T3_PNSZ_IS14_E10value_typeET4_jRbjT5_S1A_jjP12ihipStream_tbEUljE_EEESV_SW_SX_S14_S18_S1A_T6_T7_T9_mT8_S1C_bDpT10_ENKUlT_T0_E_clISt17integral_constantIbLb0EES1O_IbLb1EEEEDaS1K_S1L_EUlS1K_E_NS1_11comp_targetILNS1_3genE3ELNS1_11target_archE908ELNS1_3gpuE7ELNS1_3repE0EEENS1_30default_config_static_selectorELNS0_4arch9wavefront6targetE0EEEvSY_,"axG",@progbits,_ZN7rocprim17ROCPRIM_400000_NS6detail17trampoline_kernelINS0_13select_configILj256ELj13ELNS0_17block_load_methodE3ELS4_3ELS4_3ELNS0_20block_scan_algorithmE0ELj4294967295EEENS1_25partition_config_selectorILNS1_17partition_subalgoE3EjNS0_10empty_typeEbEEZZNS1_14partition_implILS8_3ELb0ES6_jNS0_17counting_iteratorIjlEEPS9_SE_NS0_5tupleIJPjSE_EEENSF_IJSE_SE_EEES9_SG_JZNS1_25segmented_radix_sort_implINS0_14default_configELb1EPKaPaPKlPlN2at6native12_GLOBAL__N_18offset_tEEE10hipError_tPvRmT1_PNSt15iterator_traitsISY_E10value_typeET2_T3_PNSZ_IS14_E10value_typeET4_jRbjT5_S1A_jjP12ihipStream_tbEUljE_EEESV_SW_SX_S14_S18_S1A_T6_T7_T9_mT8_S1C_bDpT10_ENKUlT_T0_E_clISt17integral_constantIbLb0EES1O_IbLb1EEEEDaS1K_S1L_EUlS1K_E_NS1_11comp_targetILNS1_3genE3ELNS1_11target_archE908ELNS1_3gpuE7ELNS1_3repE0EEENS1_30default_config_static_selectorELNS0_4arch9wavefront6targetE0EEEvSY_,comdat
.Lfunc_end285:
	.size	_ZN7rocprim17ROCPRIM_400000_NS6detail17trampoline_kernelINS0_13select_configILj256ELj13ELNS0_17block_load_methodE3ELS4_3ELS4_3ELNS0_20block_scan_algorithmE0ELj4294967295EEENS1_25partition_config_selectorILNS1_17partition_subalgoE3EjNS0_10empty_typeEbEEZZNS1_14partition_implILS8_3ELb0ES6_jNS0_17counting_iteratorIjlEEPS9_SE_NS0_5tupleIJPjSE_EEENSF_IJSE_SE_EEES9_SG_JZNS1_25segmented_radix_sort_implINS0_14default_configELb1EPKaPaPKlPlN2at6native12_GLOBAL__N_18offset_tEEE10hipError_tPvRmT1_PNSt15iterator_traitsISY_E10value_typeET2_T3_PNSZ_IS14_E10value_typeET4_jRbjT5_S1A_jjP12ihipStream_tbEUljE_EEESV_SW_SX_S14_S18_S1A_T6_T7_T9_mT8_S1C_bDpT10_ENKUlT_T0_E_clISt17integral_constantIbLb0EES1O_IbLb1EEEEDaS1K_S1L_EUlS1K_E_NS1_11comp_targetILNS1_3genE3ELNS1_11target_archE908ELNS1_3gpuE7ELNS1_3repE0EEENS1_30default_config_static_selectorELNS0_4arch9wavefront6targetE0EEEvSY_, .Lfunc_end285-_ZN7rocprim17ROCPRIM_400000_NS6detail17trampoline_kernelINS0_13select_configILj256ELj13ELNS0_17block_load_methodE3ELS4_3ELS4_3ELNS0_20block_scan_algorithmE0ELj4294967295EEENS1_25partition_config_selectorILNS1_17partition_subalgoE3EjNS0_10empty_typeEbEEZZNS1_14partition_implILS8_3ELb0ES6_jNS0_17counting_iteratorIjlEEPS9_SE_NS0_5tupleIJPjSE_EEENSF_IJSE_SE_EEES9_SG_JZNS1_25segmented_radix_sort_implINS0_14default_configELb1EPKaPaPKlPlN2at6native12_GLOBAL__N_18offset_tEEE10hipError_tPvRmT1_PNSt15iterator_traitsISY_E10value_typeET2_T3_PNSZ_IS14_E10value_typeET4_jRbjT5_S1A_jjP12ihipStream_tbEUljE_EEESV_SW_SX_S14_S18_S1A_T6_T7_T9_mT8_S1C_bDpT10_ENKUlT_T0_E_clISt17integral_constantIbLb0EES1O_IbLb1EEEEDaS1K_S1L_EUlS1K_E_NS1_11comp_targetILNS1_3genE3ELNS1_11target_archE908ELNS1_3gpuE7ELNS1_3repE0EEENS1_30default_config_static_selectorELNS0_4arch9wavefront6targetE0EEEvSY_
                                        ; -- End function
	.section	.AMDGPU.csdata,"",@progbits
; Kernel info:
; codeLenInByte = 0
; NumSgprs: 0
; NumVgprs: 0
; ScratchSize: 0
; MemoryBound: 0
; FloatMode: 240
; IeeeMode: 1
; LDSByteSize: 0 bytes/workgroup (compile time only)
; SGPRBlocks: 0
; VGPRBlocks: 0
; NumSGPRsForWavesPerEU: 1
; NumVGPRsForWavesPerEU: 1
; Occupancy: 16
; WaveLimiterHint : 0
; COMPUTE_PGM_RSRC2:SCRATCH_EN: 0
; COMPUTE_PGM_RSRC2:USER_SGPR: 15
; COMPUTE_PGM_RSRC2:TRAP_HANDLER: 0
; COMPUTE_PGM_RSRC2:TGID_X_EN: 1
; COMPUTE_PGM_RSRC2:TGID_Y_EN: 0
; COMPUTE_PGM_RSRC2:TGID_Z_EN: 0
; COMPUTE_PGM_RSRC2:TIDIG_COMP_CNT: 0
	.section	.text._ZN7rocprim17ROCPRIM_400000_NS6detail17trampoline_kernelINS0_13select_configILj256ELj13ELNS0_17block_load_methodE3ELS4_3ELS4_3ELNS0_20block_scan_algorithmE0ELj4294967295EEENS1_25partition_config_selectorILNS1_17partition_subalgoE3EjNS0_10empty_typeEbEEZZNS1_14partition_implILS8_3ELb0ES6_jNS0_17counting_iteratorIjlEEPS9_SE_NS0_5tupleIJPjSE_EEENSF_IJSE_SE_EEES9_SG_JZNS1_25segmented_radix_sort_implINS0_14default_configELb1EPKaPaPKlPlN2at6native12_GLOBAL__N_18offset_tEEE10hipError_tPvRmT1_PNSt15iterator_traitsISY_E10value_typeET2_T3_PNSZ_IS14_E10value_typeET4_jRbjT5_S1A_jjP12ihipStream_tbEUljE_EEESV_SW_SX_S14_S18_S1A_T6_T7_T9_mT8_S1C_bDpT10_ENKUlT_T0_E_clISt17integral_constantIbLb0EES1O_IbLb1EEEEDaS1K_S1L_EUlS1K_E_NS1_11comp_targetILNS1_3genE2ELNS1_11target_archE906ELNS1_3gpuE6ELNS1_3repE0EEENS1_30default_config_static_selectorELNS0_4arch9wavefront6targetE0EEEvSY_,"axG",@progbits,_ZN7rocprim17ROCPRIM_400000_NS6detail17trampoline_kernelINS0_13select_configILj256ELj13ELNS0_17block_load_methodE3ELS4_3ELS4_3ELNS0_20block_scan_algorithmE0ELj4294967295EEENS1_25partition_config_selectorILNS1_17partition_subalgoE3EjNS0_10empty_typeEbEEZZNS1_14partition_implILS8_3ELb0ES6_jNS0_17counting_iteratorIjlEEPS9_SE_NS0_5tupleIJPjSE_EEENSF_IJSE_SE_EEES9_SG_JZNS1_25segmented_radix_sort_implINS0_14default_configELb1EPKaPaPKlPlN2at6native12_GLOBAL__N_18offset_tEEE10hipError_tPvRmT1_PNSt15iterator_traitsISY_E10value_typeET2_T3_PNSZ_IS14_E10value_typeET4_jRbjT5_S1A_jjP12ihipStream_tbEUljE_EEESV_SW_SX_S14_S18_S1A_T6_T7_T9_mT8_S1C_bDpT10_ENKUlT_T0_E_clISt17integral_constantIbLb0EES1O_IbLb1EEEEDaS1K_S1L_EUlS1K_E_NS1_11comp_targetILNS1_3genE2ELNS1_11target_archE906ELNS1_3gpuE6ELNS1_3repE0EEENS1_30default_config_static_selectorELNS0_4arch9wavefront6targetE0EEEvSY_,comdat
	.globl	_ZN7rocprim17ROCPRIM_400000_NS6detail17trampoline_kernelINS0_13select_configILj256ELj13ELNS0_17block_load_methodE3ELS4_3ELS4_3ELNS0_20block_scan_algorithmE0ELj4294967295EEENS1_25partition_config_selectorILNS1_17partition_subalgoE3EjNS0_10empty_typeEbEEZZNS1_14partition_implILS8_3ELb0ES6_jNS0_17counting_iteratorIjlEEPS9_SE_NS0_5tupleIJPjSE_EEENSF_IJSE_SE_EEES9_SG_JZNS1_25segmented_radix_sort_implINS0_14default_configELb1EPKaPaPKlPlN2at6native12_GLOBAL__N_18offset_tEEE10hipError_tPvRmT1_PNSt15iterator_traitsISY_E10value_typeET2_T3_PNSZ_IS14_E10value_typeET4_jRbjT5_S1A_jjP12ihipStream_tbEUljE_EEESV_SW_SX_S14_S18_S1A_T6_T7_T9_mT8_S1C_bDpT10_ENKUlT_T0_E_clISt17integral_constantIbLb0EES1O_IbLb1EEEEDaS1K_S1L_EUlS1K_E_NS1_11comp_targetILNS1_3genE2ELNS1_11target_archE906ELNS1_3gpuE6ELNS1_3repE0EEENS1_30default_config_static_selectorELNS0_4arch9wavefront6targetE0EEEvSY_ ; -- Begin function _ZN7rocprim17ROCPRIM_400000_NS6detail17trampoline_kernelINS0_13select_configILj256ELj13ELNS0_17block_load_methodE3ELS4_3ELS4_3ELNS0_20block_scan_algorithmE0ELj4294967295EEENS1_25partition_config_selectorILNS1_17partition_subalgoE3EjNS0_10empty_typeEbEEZZNS1_14partition_implILS8_3ELb0ES6_jNS0_17counting_iteratorIjlEEPS9_SE_NS0_5tupleIJPjSE_EEENSF_IJSE_SE_EEES9_SG_JZNS1_25segmented_radix_sort_implINS0_14default_configELb1EPKaPaPKlPlN2at6native12_GLOBAL__N_18offset_tEEE10hipError_tPvRmT1_PNSt15iterator_traitsISY_E10value_typeET2_T3_PNSZ_IS14_E10value_typeET4_jRbjT5_S1A_jjP12ihipStream_tbEUljE_EEESV_SW_SX_S14_S18_S1A_T6_T7_T9_mT8_S1C_bDpT10_ENKUlT_T0_E_clISt17integral_constantIbLb0EES1O_IbLb1EEEEDaS1K_S1L_EUlS1K_E_NS1_11comp_targetILNS1_3genE2ELNS1_11target_archE906ELNS1_3gpuE6ELNS1_3repE0EEENS1_30default_config_static_selectorELNS0_4arch9wavefront6targetE0EEEvSY_
	.p2align	8
	.type	_ZN7rocprim17ROCPRIM_400000_NS6detail17trampoline_kernelINS0_13select_configILj256ELj13ELNS0_17block_load_methodE3ELS4_3ELS4_3ELNS0_20block_scan_algorithmE0ELj4294967295EEENS1_25partition_config_selectorILNS1_17partition_subalgoE3EjNS0_10empty_typeEbEEZZNS1_14partition_implILS8_3ELb0ES6_jNS0_17counting_iteratorIjlEEPS9_SE_NS0_5tupleIJPjSE_EEENSF_IJSE_SE_EEES9_SG_JZNS1_25segmented_radix_sort_implINS0_14default_configELb1EPKaPaPKlPlN2at6native12_GLOBAL__N_18offset_tEEE10hipError_tPvRmT1_PNSt15iterator_traitsISY_E10value_typeET2_T3_PNSZ_IS14_E10value_typeET4_jRbjT5_S1A_jjP12ihipStream_tbEUljE_EEESV_SW_SX_S14_S18_S1A_T6_T7_T9_mT8_S1C_bDpT10_ENKUlT_T0_E_clISt17integral_constantIbLb0EES1O_IbLb1EEEEDaS1K_S1L_EUlS1K_E_NS1_11comp_targetILNS1_3genE2ELNS1_11target_archE906ELNS1_3gpuE6ELNS1_3repE0EEENS1_30default_config_static_selectorELNS0_4arch9wavefront6targetE0EEEvSY_,@function
_ZN7rocprim17ROCPRIM_400000_NS6detail17trampoline_kernelINS0_13select_configILj256ELj13ELNS0_17block_load_methodE3ELS4_3ELS4_3ELNS0_20block_scan_algorithmE0ELj4294967295EEENS1_25partition_config_selectorILNS1_17partition_subalgoE3EjNS0_10empty_typeEbEEZZNS1_14partition_implILS8_3ELb0ES6_jNS0_17counting_iteratorIjlEEPS9_SE_NS0_5tupleIJPjSE_EEENSF_IJSE_SE_EEES9_SG_JZNS1_25segmented_radix_sort_implINS0_14default_configELb1EPKaPaPKlPlN2at6native12_GLOBAL__N_18offset_tEEE10hipError_tPvRmT1_PNSt15iterator_traitsISY_E10value_typeET2_T3_PNSZ_IS14_E10value_typeET4_jRbjT5_S1A_jjP12ihipStream_tbEUljE_EEESV_SW_SX_S14_S18_S1A_T6_T7_T9_mT8_S1C_bDpT10_ENKUlT_T0_E_clISt17integral_constantIbLb0EES1O_IbLb1EEEEDaS1K_S1L_EUlS1K_E_NS1_11comp_targetILNS1_3genE2ELNS1_11target_archE906ELNS1_3gpuE6ELNS1_3repE0EEENS1_30default_config_static_selectorELNS0_4arch9wavefront6targetE0EEEvSY_: ; @_ZN7rocprim17ROCPRIM_400000_NS6detail17trampoline_kernelINS0_13select_configILj256ELj13ELNS0_17block_load_methodE3ELS4_3ELS4_3ELNS0_20block_scan_algorithmE0ELj4294967295EEENS1_25partition_config_selectorILNS1_17partition_subalgoE3EjNS0_10empty_typeEbEEZZNS1_14partition_implILS8_3ELb0ES6_jNS0_17counting_iteratorIjlEEPS9_SE_NS0_5tupleIJPjSE_EEENSF_IJSE_SE_EEES9_SG_JZNS1_25segmented_radix_sort_implINS0_14default_configELb1EPKaPaPKlPlN2at6native12_GLOBAL__N_18offset_tEEE10hipError_tPvRmT1_PNSt15iterator_traitsISY_E10value_typeET2_T3_PNSZ_IS14_E10value_typeET4_jRbjT5_S1A_jjP12ihipStream_tbEUljE_EEESV_SW_SX_S14_S18_S1A_T6_T7_T9_mT8_S1C_bDpT10_ENKUlT_T0_E_clISt17integral_constantIbLb0EES1O_IbLb1EEEEDaS1K_S1L_EUlS1K_E_NS1_11comp_targetILNS1_3genE2ELNS1_11target_archE906ELNS1_3gpuE6ELNS1_3repE0EEENS1_30default_config_static_selectorELNS0_4arch9wavefront6targetE0EEEvSY_
; %bb.0:
	.section	.rodata,"a",@progbits
	.p2align	6, 0x0
	.amdhsa_kernel _ZN7rocprim17ROCPRIM_400000_NS6detail17trampoline_kernelINS0_13select_configILj256ELj13ELNS0_17block_load_methodE3ELS4_3ELS4_3ELNS0_20block_scan_algorithmE0ELj4294967295EEENS1_25partition_config_selectorILNS1_17partition_subalgoE3EjNS0_10empty_typeEbEEZZNS1_14partition_implILS8_3ELb0ES6_jNS0_17counting_iteratorIjlEEPS9_SE_NS0_5tupleIJPjSE_EEENSF_IJSE_SE_EEES9_SG_JZNS1_25segmented_radix_sort_implINS0_14default_configELb1EPKaPaPKlPlN2at6native12_GLOBAL__N_18offset_tEEE10hipError_tPvRmT1_PNSt15iterator_traitsISY_E10value_typeET2_T3_PNSZ_IS14_E10value_typeET4_jRbjT5_S1A_jjP12ihipStream_tbEUljE_EEESV_SW_SX_S14_S18_S1A_T6_T7_T9_mT8_S1C_bDpT10_ENKUlT_T0_E_clISt17integral_constantIbLb0EES1O_IbLb1EEEEDaS1K_S1L_EUlS1K_E_NS1_11comp_targetILNS1_3genE2ELNS1_11target_archE906ELNS1_3gpuE6ELNS1_3repE0EEENS1_30default_config_static_selectorELNS0_4arch9wavefront6targetE0EEEvSY_
		.amdhsa_group_segment_fixed_size 0
		.amdhsa_private_segment_fixed_size 0
		.amdhsa_kernarg_size 152
		.amdhsa_user_sgpr_count 15
		.amdhsa_user_sgpr_dispatch_ptr 0
		.amdhsa_user_sgpr_queue_ptr 0
		.amdhsa_user_sgpr_kernarg_segment_ptr 1
		.amdhsa_user_sgpr_dispatch_id 0
		.amdhsa_user_sgpr_private_segment_size 0
		.amdhsa_wavefront_size32 1
		.amdhsa_uses_dynamic_stack 0
		.amdhsa_enable_private_segment 0
		.amdhsa_system_sgpr_workgroup_id_x 1
		.amdhsa_system_sgpr_workgroup_id_y 0
		.amdhsa_system_sgpr_workgroup_id_z 0
		.amdhsa_system_sgpr_workgroup_info 0
		.amdhsa_system_vgpr_workitem_id 0
		.amdhsa_next_free_vgpr 1
		.amdhsa_next_free_sgpr 1
		.amdhsa_reserve_vcc 0
		.amdhsa_float_round_mode_32 0
		.amdhsa_float_round_mode_16_64 0
		.amdhsa_float_denorm_mode_32 3
		.amdhsa_float_denorm_mode_16_64 3
		.amdhsa_dx10_clamp 1
		.amdhsa_ieee_mode 1
		.amdhsa_fp16_overflow 0
		.amdhsa_workgroup_processor_mode 1
		.amdhsa_memory_ordered 1
		.amdhsa_forward_progress 0
		.amdhsa_shared_vgpr_count 0
		.amdhsa_exception_fp_ieee_invalid_op 0
		.amdhsa_exception_fp_denorm_src 0
		.amdhsa_exception_fp_ieee_div_zero 0
		.amdhsa_exception_fp_ieee_overflow 0
		.amdhsa_exception_fp_ieee_underflow 0
		.amdhsa_exception_fp_ieee_inexact 0
		.amdhsa_exception_int_div_zero 0
	.end_amdhsa_kernel
	.section	.text._ZN7rocprim17ROCPRIM_400000_NS6detail17trampoline_kernelINS0_13select_configILj256ELj13ELNS0_17block_load_methodE3ELS4_3ELS4_3ELNS0_20block_scan_algorithmE0ELj4294967295EEENS1_25partition_config_selectorILNS1_17partition_subalgoE3EjNS0_10empty_typeEbEEZZNS1_14partition_implILS8_3ELb0ES6_jNS0_17counting_iteratorIjlEEPS9_SE_NS0_5tupleIJPjSE_EEENSF_IJSE_SE_EEES9_SG_JZNS1_25segmented_radix_sort_implINS0_14default_configELb1EPKaPaPKlPlN2at6native12_GLOBAL__N_18offset_tEEE10hipError_tPvRmT1_PNSt15iterator_traitsISY_E10value_typeET2_T3_PNSZ_IS14_E10value_typeET4_jRbjT5_S1A_jjP12ihipStream_tbEUljE_EEESV_SW_SX_S14_S18_S1A_T6_T7_T9_mT8_S1C_bDpT10_ENKUlT_T0_E_clISt17integral_constantIbLb0EES1O_IbLb1EEEEDaS1K_S1L_EUlS1K_E_NS1_11comp_targetILNS1_3genE2ELNS1_11target_archE906ELNS1_3gpuE6ELNS1_3repE0EEENS1_30default_config_static_selectorELNS0_4arch9wavefront6targetE0EEEvSY_,"axG",@progbits,_ZN7rocprim17ROCPRIM_400000_NS6detail17trampoline_kernelINS0_13select_configILj256ELj13ELNS0_17block_load_methodE3ELS4_3ELS4_3ELNS0_20block_scan_algorithmE0ELj4294967295EEENS1_25partition_config_selectorILNS1_17partition_subalgoE3EjNS0_10empty_typeEbEEZZNS1_14partition_implILS8_3ELb0ES6_jNS0_17counting_iteratorIjlEEPS9_SE_NS0_5tupleIJPjSE_EEENSF_IJSE_SE_EEES9_SG_JZNS1_25segmented_radix_sort_implINS0_14default_configELb1EPKaPaPKlPlN2at6native12_GLOBAL__N_18offset_tEEE10hipError_tPvRmT1_PNSt15iterator_traitsISY_E10value_typeET2_T3_PNSZ_IS14_E10value_typeET4_jRbjT5_S1A_jjP12ihipStream_tbEUljE_EEESV_SW_SX_S14_S18_S1A_T6_T7_T9_mT8_S1C_bDpT10_ENKUlT_T0_E_clISt17integral_constantIbLb0EES1O_IbLb1EEEEDaS1K_S1L_EUlS1K_E_NS1_11comp_targetILNS1_3genE2ELNS1_11target_archE906ELNS1_3gpuE6ELNS1_3repE0EEENS1_30default_config_static_selectorELNS0_4arch9wavefront6targetE0EEEvSY_,comdat
.Lfunc_end286:
	.size	_ZN7rocprim17ROCPRIM_400000_NS6detail17trampoline_kernelINS0_13select_configILj256ELj13ELNS0_17block_load_methodE3ELS4_3ELS4_3ELNS0_20block_scan_algorithmE0ELj4294967295EEENS1_25partition_config_selectorILNS1_17partition_subalgoE3EjNS0_10empty_typeEbEEZZNS1_14partition_implILS8_3ELb0ES6_jNS0_17counting_iteratorIjlEEPS9_SE_NS0_5tupleIJPjSE_EEENSF_IJSE_SE_EEES9_SG_JZNS1_25segmented_radix_sort_implINS0_14default_configELb1EPKaPaPKlPlN2at6native12_GLOBAL__N_18offset_tEEE10hipError_tPvRmT1_PNSt15iterator_traitsISY_E10value_typeET2_T3_PNSZ_IS14_E10value_typeET4_jRbjT5_S1A_jjP12ihipStream_tbEUljE_EEESV_SW_SX_S14_S18_S1A_T6_T7_T9_mT8_S1C_bDpT10_ENKUlT_T0_E_clISt17integral_constantIbLb0EES1O_IbLb1EEEEDaS1K_S1L_EUlS1K_E_NS1_11comp_targetILNS1_3genE2ELNS1_11target_archE906ELNS1_3gpuE6ELNS1_3repE0EEENS1_30default_config_static_selectorELNS0_4arch9wavefront6targetE0EEEvSY_, .Lfunc_end286-_ZN7rocprim17ROCPRIM_400000_NS6detail17trampoline_kernelINS0_13select_configILj256ELj13ELNS0_17block_load_methodE3ELS4_3ELS4_3ELNS0_20block_scan_algorithmE0ELj4294967295EEENS1_25partition_config_selectorILNS1_17partition_subalgoE3EjNS0_10empty_typeEbEEZZNS1_14partition_implILS8_3ELb0ES6_jNS0_17counting_iteratorIjlEEPS9_SE_NS0_5tupleIJPjSE_EEENSF_IJSE_SE_EEES9_SG_JZNS1_25segmented_radix_sort_implINS0_14default_configELb1EPKaPaPKlPlN2at6native12_GLOBAL__N_18offset_tEEE10hipError_tPvRmT1_PNSt15iterator_traitsISY_E10value_typeET2_T3_PNSZ_IS14_E10value_typeET4_jRbjT5_S1A_jjP12ihipStream_tbEUljE_EEESV_SW_SX_S14_S18_S1A_T6_T7_T9_mT8_S1C_bDpT10_ENKUlT_T0_E_clISt17integral_constantIbLb0EES1O_IbLb1EEEEDaS1K_S1L_EUlS1K_E_NS1_11comp_targetILNS1_3genE2ELNS1_11target_archE906ELNS1_3gpuE6ELNS1_3repE0EEENS1_30default_config_static_selectorELNS0_4arch9wavefront6targetE0EEEvSY_
                                        ; -- End function
	.section	.AMDGPU.csdata,"",@progbits
; Kernel info:
; codeLenInByte = 0
; NumSgprs: 0
; NumVgprs: 0
; ScratchSize: 0
; MemoryBound: 0
; FloatMode: 240
; IeeeMode: 1
; LDSByteSize: 0 bytes/workgroup (compile time only)
; SGPRBlocks: 0
; VGPRBlocks: 0
; NumSGPRsForWavesPerEU: 1
; NumVGPRsForWavesPerEU: 1
; Occupancy: 16
; WaveLimiterHint : 0
; COMPUTE_PGM_RSRC2:SCRATCH_EN: 0
; COMPUTE_PGM_RSRC2:USER_SGPR: 15
; COMPUTE_PGM_RSRC2:TRAP_HANDLER: 0
; COMPUTE_PGM_RSRC2:TGID_X_EN: 1
; COMPUTE_PGM_RSRC2:TGID_Y_EN: 0
; COMPUTE_PGM_RSRC2:TGID_Z_EN: 0
; COMPUTE_PGM_RSRC2:TIDIG_COMP_CNT: 0
	.section	.text._ZN7rocprim17ROCPRIM_400000_NS6detail17trampoline_kernelINS0_13select_configILj256ELj13ELNS0_17block_load_methodE3ELS4_3ELS4_3ELNS0_20block_scan_algorithmE0ELj4294967295EEENS1_25partition_config_selectorILNS1_17partition_subalgoE3EjNS0_10empty_typeEbEEZZNS1_14partition_implILS8_3ELb0ES6_jNS0_17counting_iteratorIjlEEPS9_SE_NS0_5tupleIJPjSE_EEENSF_IJSE_SE_EEES9_SG_JZNS1_25segmented_radix_sort_implINS0_14default_configELb1EPKaPaPKlPlN2at6native12_GLOBAL__N_18offset_tEEE10hipError_tPvRmT1_PNSt15iterator_traitsISY_E10value_typeET2_T3_PNSZ_IS14_E10value_typeET4_jRbjT5_S1A_jjP12ihipStream_tbEUljE_EEESV_SW_SX_S14_S18_S1A_T6_T7_T9_mT8_S1C_bDpT10_ENKUlT_T0_E_clISt17integral_constantIbLb0EES1O_IbLb1EEEEDaS1K_S1L_EUlS1K_E_NS1_11comp_targetILNS1_3genE10ELNS1_11target_archE1200ELNS1_3gpuE4ELNS1_3repE0EEENS1_30default_config_static_selectorELNS0_4arch9wavefront6targetE0EEEvSY_,"axG",@progbits,_ZN7rocprim17ROCPRIM_400000_NS6detail17trampoline_kernelINS0_13select_configILj256ELj13ELNS0_17block_load_methodE3ELS4_3ELS4_3ELNS0_20block_scan_algorithmE0ELj4294967295EEENS1_25partition_config_selectorILNS1_17partition_subalgoE3EjNS0_10empty_typeEbEEZZNS1_14partition_implILS8_3ELb0ES6_jNS0_17counting_iteratorIjlEEPS9_SE_NS0_5tupleIJPjSE_EEENSF_IJSE_SE_EEES9_SG_JZNS1_25segmented_radix_sort_implINS0_14default_configELb1EPKaPaPKlPlN2at6native12_GLOBAL__N_18offset_tEEE10hipError_tPvRmT1_PNSt15iterator_traitsISY_E10value_typeET2_T3_PNSZ_IS14_E10value_typeET4_jRbjT5_S1A_jjP12ihipStream_tbEUljE_EEESV_SW_SX_S14_S18_S1A_T6_T7_T9_mT8_S1C_bDpT10_ENKUlT_T0_E_clISt17integral_constantIbLb0EES1O_IbLb1EEEEDaS1K_S1L_EUlS1K_E_NS1_11comp_targetILNS1_3genE10ELNS1_11target_archE1200ELNS1_3gpuE4ELNS1_3repE0EEENS1_30default_config_static_selectorELNS0_4arch9wavefront6targetE0EEEvSY_,comdat
	.globl	_ZN7rocprim17ROCPRIM_400000_NS6detail17trampoline_kernelINS0_13select_configILj256ELj13ELNS0_17block_load_methodE3ELS4_3ELS4_3ELNS0_20block_scan_algorithmE0ELj4294967295EEENS1_25partition_config_selectorILNS1_17partition_subalgoE3EjNS0_10empty_typeEbEEZZNS1_14partition_implILS8_3ELb0ES6_jNS0_17counting_iteratorIjlEEPS9_SE_NS0_5tupleIJPjSE_EEENSF_IJSE_SE_EEES9_SG_JZNS1_25segmented_radix_sort_implINS0_14default_configELb1EPKaPaPKlPlN2at6native12_GLOBAL__N_18offset_tEEE10hipError_tPvRmT1_PNSt15iterator_traitsISY_E10value_typeET2_T3_PNSZ_IS14_E10value_typeET4_jRbjT5_S1A_jjP12ihipStream_tbEUljE_EEESV_SW_SX_S14_S18_S1A_T6_T7_T9_mT8_S1C_bDpT10_ENKUlT_T0_E_clISt17integral_constantIbLb0EES1O_IbLb1EEEEDaS1K_S1L_EUlS1K_E_NS1_11comp_targetILNS1_3genE10ELNS1_11target_archE1200ELNS1_3gpuE4ELNS1_3repE0EEENS1_30default_config_static_selectorELNS0_4arch9wavefront6targetE0EEEvSY_ ; -- Begin function _ZN7rocprim17ROCPRIM_400000_NS6detail17trampoline_kernelINS0_13select_configILj256ELj13ELNS0_17block_load_methodE3ELS4_3ELS4_3ELNS0_20block_scan_algorithmE0ELj4294967295EEENS1_25partition_config_selectorILNS1_17partition_subalgoE3EjNS0_10empty_typeEbEEZZNS1_14partition_implILS8_3ELb0ES6_jNS0_17counting_iteratorIjlEEPS9_SE_NS0_5tupleIJPjSE_EEENSF_IJSE_SE_EEES9_SG_JZNS1_25segmented_radix_sort_implINS0_14default_configELb1EPKaPaPKlPlN2at6native12_GLOBAL__N_18offset_tEEE10hipError_tPvRmT1_PNSt15iterator_traitsISY_E10value_typeET2_T3_PNSZ_IS14_E10value_typeET4_jRbjT5_S1A_jjP12ihipStream_tbEUljE_EEESV_SW_SX_S14_S18_S1A_T6_T7_T9_mT8_S1C_bDpT10_ENKUlT_T0_E_clISt17integral_constantIbLb0EES1O_IbLb1EEEEDaS1K_S1L_EUlS1K_E_NS1_11comp_targetILNS1_3genE10ELNS1_11target_archE1200ELNS1_3gpuE4ELNS1_3repE0EEENS1_30default_config_static_selectorELNS0_4arch9wavefront6targetE0EEEvSY_
	.p2align	8
	.type	_ZN7rocprim17ROCPRIM_400000_NS6detail17trampoline_kernelINS0_13select_configILj256ELj13ELNS0_17block_load_methodE3ELS4_3ELS4_3ELNS0_20block_scan_algorithmE0ELj4294967295EEENS1_25partition_config_selectorILNS1_17partition_subalgoE3EjNS0_10empty_typeEbEEZZNS1_14partition_implILS8_3ELb0ES6_jNS0_17counting_iteratorIjlEEPS9_SE_NS0_5tupleIJPjSE_EEENSF_IJSE_SE_EEES9_SG_JZNS1_25segmented_radix_sort_implINS0_14default_configELb1EPKaPaPKlPlN2at6native12_GLOBAL__N_18offset_tEEE10hipError_tPvRmT1_PNSt15iterator_traitsISY_E10value_typeET2_T3_PNSZ_IS14_E10value_typeET4_jRbjT5_S1A_jjP12ihipStream_tbEUljE_EEESV_SW_SX_S14_S18_S1A_T6_T7_T9_mT8_S1C_bDpT10_ENKUlT_T0_E_clISt17integral_constantIbLb0EES1O_IbLb1EEEEDaS1K_S1L_EUlS1K_E_NS1_11comp_targetILNS1_3genE10ELNS1_11target_archE1200ELNS1_3gpuE4ELNS1_3repE0EEENS1_30default_config_static_selectorELNS0_4arch9wavefront6targetE0EEEvSY_,@function
_ZN7rocprim17ROCPRIM_400000_NS6detail17trampoline_kernelINS0_13select_configILj256ELj13ELNS0_17block_load_methodE3ELS4_3ELS4_3ELNS0_20block_scan_algorithmE0ELj4294967295EEENS1_25partition_config_selectorILNS1_17partition_subalgoE3EjNS0_10empty_typeEbEEZZNS1_14partition_implILS8_3ELb0ES6_jNS0_17counting_iteratorIjlEEPS9_SE_NS0_5tupleIJPjSE_EEENSF_IJSE_SE_EEES9_SG_JZNS1_25segmented_radix_sort_implINS0_14default_configELb1EPKaPaPKlPlN2at6native12_GLOBAL__N_18offset_tEEE10hipError_tPvRmT1_PNSt15iterator_traitsISY_E10value_typeET2_T3_PNSZ_IS14_E10value_typeET4_jRbjT5_S1A_jjP12ihipStream_tbEUljE_EEESV_SW_SX_S14_S18_S1A_T6_T7_T9_mT8_S1C_bDpT10_ENKUlT_T0_E_clISt17integral_constantIbLb0EES1O_IbLb1EEEEDaS1K_S1L_EUlS1K_E_NS1_11comp_targetILNS1_3genE10ELNS1_11target_archE1200ELNS1_3gpuE4ELNS1_3repE0EEENS1_30default_config_static_selectorELNS0_4arch9wavefront6targetE0EEEvSY_: ; @_ZN7rocprim17ROCPRIM_400000_NS6detail17trampoline_kernelINS0_13select_configILj256ELj13ELNS0_17block_load_methodE3ELS4_3ELS4_3ELNS0_20block_scan_algorithmE0ELj4294967295EEENS1_25partition_config_selectorILNS1_17partition_subalgoE3EjNS0_10empty_typeEbEEZZNS1_14partition_implILS8_3ELb0ES6_jNS0_17counting_iteratorIjlEEPS9_SE_NS0_5tupleIJPjSE_EEENSF_IJSE_SE_EEES9_SG_JZNS1_25segmented_radix_sort_implINS0_14default_configELb1EPKaPaPKlPlN2at6native12_GLOBAL__N_18offset_tEEE10hipError_tPvRmT1_PNSt15iterator_traitsISY_E10value_typeET2_T3_PNSZ_IS14_E10value_typeET4_jRbjT5_S1A_jjP12ihipStream_tbEUljE_EEESV_SW_SX_S14_S18_S1A_T6_T7_T9_mT8_S1C_bDpT10_ENKUlT_T0_E_clISt17integral_constantIbLb0EES1O_IbLb1EEEEDaS1K_S1L_EUlS1K_E_NS1_11comp_targetILNS1_3genE10ELNS1_11target_archE1200ELNS1_3gpuE4ELNS1_3repE0EEENS1_30default_config_static_selectorELNS0_4arch9wavefront6targetE0EEEvSY_
; %bb.0:
	.section	.rodata,"a",@progbits
	.p2align	6, 0x0
	.amdhsa_kernel _ZN7rocprim17ROCPRIM_400000_NS6detail17trampoline_kernelINS0_13select_configILj256ELj13ELNS0_17block_load_methodE3ELS4_3ELS4_3ELNS0_20block_scan_algorithmE0ELj4294967295EEENS1_25partition_config_selectorILNS1_17partition_subalgoE3EjNS0_10empty_typeEbEEZZNS1_14partition_implILS8_3ELb0ES6_jNS0_17counting_iteratorIjlEEPS9_SE_NS0_5tupleIJPjSE_EEENSF_IJSE_SE_EEES9_SG_JZNS1_25segmented_radix_sort_implINS0_14default_configELb1EPKaPaPKlPlN2at6native12_GLOBAL__N_18offset_tEEE10hipError_tPvRmT1_PNSt15iterator_traitsISY_E10value_typeET2_T3_PNSZ_IS14_E10value_typeET4_jRbjT5_S1A_jjP12ihipStream_tbEUljE_EEESV_SW_SX_S14_S18_S1A_T6_T7_T9_mT8_S1C_bDpT10_ENKUlT_T0_E_clISt17integral_constantIbLb0EES1O_IbLb1EEEEDaS1K_S1L_EUlS1K_E_NS1_11comp_targetILNS1_3genE10ELNS1_11target_archE1200ELNS1_3gpuE4ELNS1_3repE0EEENS1_30default_config_static_selectorELNS0_4arch9wavefront6targetE0EEEvSY_
		.amdhsa_group_segment_fixed_size 0
		.amdhsa_private_segment_fixed_size 0
		.amdhsa_kernarg_size 152
		.amdhsa_user_sgpr_count 15
		.amdhsa_user_sgpr_dispatch_ptr 0
		.amdhsa_user_sgpr_queue_ptr 0
		.amdhsa_user_sgpr_kernarg_segment_ptr 1
		.amdhsa_user_sgpr_dispatch_id 0
		.amdhsa_user_sgpr_private_segment_size 0
		.amdhsa_wavefront_size32 1
		.amdhsa_uses_dynamic_stack 0
		.amdhsa_enable_private_segment 0
		.amdhsa_system_sgpr_workgroup_id_x 1
		.amdhsa_system_sgpr_workgroup_id_y 0
		.amdhsa_system_sgpr_workgroup_id_z 0
		.amdhsa_system_sgpr_workgroup_info 0
		.amdhsa_system_vgpr_workitem_id 0
		.amdhsa_next_free_vgpr 1
		.amdhsa_next_free_sgpr 1
		.amdhsa_reserve_vcc 0
		.amdhsa_float_round_mode_32 0
		.amdhsa_float_round_mode_16_64 0
		.amdhsa_float_denorm_mode_32 3
		.amdhsa_float_denorm_mode_16_64 3
		.amdhsa_dx10_clamp 1
		.amdhsa_ieee_mode 1
		.amdhsa_fp16_overflow 0
		.amdhsa_workgroup_processor_mode 1
		.amdhsa_memory_ordered 1
		.amdhsa_forward_progress 0
		.amdhsa_shared_vgpr_count 0
		.amdhsa_exception_fp_ieee_invalid_op 0
		.amdhsa_exception_fp_denorm_src 0
		.amdhsa_exception_fp_ieee_div_zero 0
		.amdhsa_exception_fp_ieee_overflow 0
		.amdhsa_exception_fp_ieee_underflow 0
		.amdhsa_exception_fp_ieee_inexact 0
		.amdhsa_exception_int_div_zero 0
	.end_amdhsa_kernel
	.section	.text._ZN7rocprim17ROCPRIM_400000_NS6detail17trampoline_kernelINS0_13select_configILj256ELj13ELNS0_17block_load_methodE3ELS4_3ELS4_3ELNS0_20block_scan_algorithmE0ELj4294967295EEENS1_25partition_config_selectorILNS1_17partition_subalgoE3EjNS0_10empty_typeEbEEZZNS1_14partition_implILS8_3ELb0ES6_jNS0_17counting_iteratorIjlEEPS9_SE_NS0_5tupleIJPjSE_EEENSF_IJSE_SE_EEES9_SG_JZNS1_25segmented_radix_sort_implINS0_14default_configELb1EPKaPaPKlPlN2at6native12_GLOBAL__N_18offset_tEEE10hipError_tPvRmT1_PNSt15iterator_traitsISY_E10value_typeET2_T3_PNSZ_IS14_E10value_typeET4_jRbjT5_S1A_jjP12ihipStream_tbEUljE_EEESV_SW_SX_S14_S18_S1A_T6_T7_T9_mT8_S1C_bDpT10_ENKUlT_T0_E_clISt17integral_constantIbLb0EES1O_IbLb1EEEEDaS1K_S1L_EUlS1K_E_NS1_11comp_targetILNS1_3genE10ELNS1_11target_archE1200ELNS1_3gpuE4ELNS1_3repE0EEENS1_30default_config_static_selectorELNS0_4arch9wavefront6targetE0EEEvSY_,"axG",@progbits,_ZN7rocprim17ROCPRIM_400000_NS6detail17trampoline_kernelINS0_13select_configILj256ELj13ELNS0_17block_load_methodE3ELS4_3ELS4_3ELNS0_20block_scan_algorithmE0ELj4294967295EEENS1_25partition_config_selectorILNS1_17partition_subalgoE3EjNS0_10empty_typeEbEEZZNS1_14partition_implILS8_3ELb0ES6_jNS0_17counting_iteratorIjlEEPS9_SE_NS0_5tupleIJPjSE_EEENSF_IJSE_SE_EEES9_SG_JZNS1_25segmented_radix_sort_implINS0_14default_configELb1EPKaPaPKlPlN2at6native12_GLOBAL__N_18offset_tEEE10hipError_tPvRmT1_PNSt15iterator_traitsISY_E10value_typeET2_T3_PNSZ_IS14_E10value_typeET4_jRbjT5_S1A_jjP12ihipStream_tbEUljE_EEESV_SW_SX_S14_S18_S1A_T6_T7_T9_mT8_S1C_bDpT10_ENKUlT_T0_E_clISt17integral_constantIbLb0EES1O_IbLb1EEEEDaS1K_S1L_EUlS1K_E_NS1_11comp_targetILNS1_3genE10ELNS1_11target_archE1200ELNS1_3gpuE4ELNS1_3repE0EEENS1_30default_config_static_selectorELNS0_4arch9wavefront6targetE0EEEvSY_,comdat
.Lfunc_end287:
	.size	_ZN7rocprim17ROCPRIM_400000_NS6detail17trampoline_kernelINS0_13select_configILj256ELj13ELNS0_17block_load_methodE3ELS4_3ELS4_3ELNS0_20block_scan_algorithmE0ELj4294967295EEENS1_25partition_config_selectorILNS1_17partition_subalgoE3EjNS0_10empty_typeEbEEZZNS1_14partition_implILS8_3ELb0ES6_jNS0_17counting_iteratorIjlEEPS9_SE_NS0_5tupleIJPjSE_EEENSF_IJSE_SE_EEES9_SG_JZNS1_25segmented_radix_sort_implINS0_14default_configELb1EPKaPaPKlPlN2at6native12_GLOBAL__N_18offset_tEEE10hipError_tPvRmT1_PNSt15iterator_traitsISY_E10value_typeET2_T3_PNSZ_IS14_E10value_typeET4_jRbjT5_S1A_jjP12ihipStream_tbEUljE_EEESV_SW_SX_S14_S18_S1A_T6_T7_T9_mT8_S1C_bDpT10_ENKUlT_T0_E_clISt17integral_constantIbLb0EES1O_IbLb1EEEEDaS1K_S1L_EUlS1K_E_NS1_11comp_targetILNS1_3genE10ELNS1_11target_archE1200ELNS1_3gpuE4ELNS1_3repE0EEENS1_30default_config_static_selectorELNS0_4arch9wavefront6targetE0EEEvSY_, .Lfunc_end287-_ZN7rocprim17ROCPRIM_400000_NS6detail17trampoline_kernelINS0_13select_configILj256ELj13ELNS0_17block_load_methodE3ELS4_3ELS4_3ELNS0_20block_scan_algorithmE0ELj4294967295EEENS1_25partition_config_selectorILNS1_17partition_subalgoE3EjNS0_10empty_typeEbEEZZNS1_14partition_implILS8_3ELb0ES6_jNS0_17counting_iteratorIjlEEPS9_SE_NS0_5tupleIJPjSE_EEENSF_IJSE_SE_EEES9_SG_JZNS1_25segmented_radix_sort_implINS0_14default_configELb1EPKaPaPKlPlN2at6native12_GLOBAL__N_18offset_tEEE10hipError_tPvRmT1_PNSt15iterator_traitsISY_E10value_typeET2_T3_PNSZ_IS14_E10value_typeET4_jRbjT5_S1A_jjP12ihipStream_tbEUljE_EEESV_SW_SX_S14_S18_S1A_T6_T7_T9_mT8_S1C_bDpT10_ENKUlT_T0_E_clISt17integral_constantIbLb0EES1O_IbLb1EEEEDaS1K_S1L_EUlS1K_E_NS1_11comp_targetILNS1_3genE10ELNS1_11target_archE1200ELNS1_3gpuE4ELNS1_3repE0EEENS1_30default_config_static_selectorELNS0_4arch9wavefront6targetE0EEEvSY_
                                        ; -- End function
	.section	.AMDGPU.csdata,"",@progbits
; Kernel info:
; codeLenInByte = 0
; NumSgprs: 0
; NumVgprs: 0
; ScratchSize: 0
; MemoryBound: 0
; FloatMode: 240
; IeeeMode: 1
; LDSByteSize: 0 bytes/workgroup (compile time only)
; SGPRBlocks: 0
; VGPRBlocks: 0
; NumSGPRsForWavesPerEU: 1
; NumVGPRsForWavesPerEU: 1
; Occupancy: 16
; WaveLimiterHint : 0
; COMPUTE_PGM_RSRC2:SCRATCH_EN: 0
; COMPUTE_PGM_RSRC2:USER_SGPR: 15
; COMPUTE_PGM_RSRC2:TRAP_HANDLER: 0
; COMPUTE_PGM_RSRC2:TGID_X_EN: 1
; COMPUTE_PGM_RSRC2:TGID_Y_EN: 0
; COMPUTE_PGM_RSRC2:TGID_Z_EN: 0
; COMPUTE_PGM_RSRC2:TIDIG_COMP_CNT: 0
	.section	.text._ZN7rocprim17ROCPRIM_400000_NS6detail17trampoline_kernelINS0_13select_configILj256ELj13ELNS0_17block_load_methodE3ELS4_3ELS4_3ELNS0_20block_scan_algorithmE0ELj4294967295EEENS1_25partition_config_selectorILNS1_17partition_subalgoE3EjNS0_10empty_typeEbEEZZNS1_14partition_implILS8_3ELb0ES6_jNS0_17counting_iteratorIjlEEPS9_SE_NS0_5tupleIJPjSE_EEENSF_IJSE_SE_EEES9_SG_JZNS1_25segmented_radix_sort_implINS0_14default_configELb1EPKaPaPKlPlN2at6native12_GLOBAL__N_18offset_tEEE10hipError_tPvRmT1_PNSt15iterator_traitsISY_E10value_typeET2_T3_PNSZ_IS14_E10value_typeET4_jRbjT5_S1A_jjP12ihipStream_tbEUljE_EEESV_SW_SX_S14_S18_S1A_T6_T7_T9_mT8_S1C_bDpT10_ENKUlT_T0_E_clISt17integral_constantIbLb0EES1O_IbLb1EEEEDaS1K_S1L_EUlS1K_E_NS1_11comp_targetILNS1_3genE9ELNS1_11target_archE1100ELNS1_3gpuE3ELNS1_3repE0EEENS1_30default_config_static_selectorELNS0_4arch9wavefront6targetE0EEEvSY_,"axG",@progbits,_ZN7rocprim17ROCPRIM_400000_NS6detail17trampoline_kernelINS0_13select_configILj256ELj13ELNS0_17block_load_methodE3ELS4_3ELS4_3ELNS0_20block_scan_algorithmE0ELj4294967295EEENS1_25partition_config_selectorILNS1_17partition_subalgoE3EjNS0_10empty_typeEbEEZZNS1_14partition_implILS8_3ELb0ES6_jNS0_17counting_iteratorIjlEEPS9_SE_NS0_5tupleIJPjSE_EEENSF_IJSE_SE_EEES9_SG_JZNS1_25segmented_radix_sort_implINS0_14default_configELb1EPKaPaPKlPlN2at6native12_GLOBAL__N_18offset_tEEE10hipError_tPvRmT1_PNSt15iterator_traitsISY_E10value_typeET2_T3_PNSZ_IS14_E10value_typeET4_jRbjT5_S1A_jjP12ihipStream_tbEUljE_EEESV_SW_SX_S14_S18_S1A_T6_T7_T9_mT8_S1C_bDpT10_ENKUlT_T0_E_clISt17integral_constantIbLb0EES1O_IbLb1EEEEDaS1K_S1L_EUlS1K_E_NS1_11comp_targetILNS1_3genE9ELNS1_11target_archE1100ELNS1_3gpuE3ELNS1_3repE0EEENS1_30default_config_static_selectorELNS0_4arch9wavefront6targetE0EEEvSY_,comdat
	.globl	_ZN7rocprim17ROCPRIM_400000_NS6detail17trampoline_kernelINS0_13select_configILj256ELj13ELNS0_17block_load_methodE3ELS4_3ELS4_3ELNS0_20block_scan_algorithmE0ELj4294967295EEENS1_25partition_config_selectorILNS1_17partition_subalgoE3EjNS0_10empty_typeEbEEZZNS1_14partition_implILS8_3ELb0ES6_jNS0_17counting_iteratorIjlEEPS9_SE_NS0_5tupleIJPjSE_EEENSF_IJSE_SE_EEES9_SG_JZNS1_25segmented_radix_sort_implINS0_14default_configELb1EPKaPaPKlPlN2at6native12_GLOBAL__N_18offset_tEEE10hipError_tPvRmT1_PNSt15iterator_traitsISY_E10value_typeET2_T3_PNSZ_IS14_E10value_typeET4_jRbjT5_S1A_jjP12ihipStream_tbEUljE_EEESV_SW_SX_S14_S18_S1A_T6_T7_T9_mT8_S1C_bDpT10_ENKUlT_T0_E_clISt17integral_constantIbLb0EES1O_IbLb1EEEEDaS1K_S1L_EUlS1K_E_NS1_11comp_targetILNS1_3genE9ELNS1_11target_archE1100ELNS1_3gpuE3ELNS1_3repE0EEENS1_30default_config_static_selectorELNS0_4arch9wavefront6targetE0EEEvSY_ ; -- Begin function _ZN7rocprim17ROCPRIM_400000_NS6detail17trampoline_kernelINS0_13select_configILj256ELj13ELNS0_17block_load_methodE3ELS4_3ELS4_3ELNS0_20block_scan_algorithmE0ELj4294967295EEENS1_25partition_config_selectorILNS1_17partition_subalgoE3EjNS0_10empty_typeEbEEZZNS1_14partition_implILS8_3ELb0ES6_jNS0_17counting_iteratorIjlEEPS9_SE_NS0_5tupleIJPjSE_EEENSF_IJSE_SE_EEES9_SG_JZNS1_25segmented_radix_sort_implINS0_14default_configELb1EPKaPaPKlPlN2at6native12_GLOBAL__N_18offset_tEEE10hipError_tPvRmT1_PNSt15iterator_traitsISY_E10value_typeET2_T3_PNSZ_IS14_E10value_typeET4_jRbjT5_S1A_jjP12ihipStream_tbEUljE_EEESV_SW_SX_S14_S18_S1A_T6_T7_T9_mT8_S1C_bDpT10_ENKUlT_T0_E_clISt17integral_constantIbLb0EES1O_IbLb1EEEEDaS1K_S1L_EUlS1K_E_NS1_11comp_targetILNS1_3genE9ELNS1_11target_archE1100ELNS1_3gpuE3ELNS1_3repE0EEENS1_30default_config_static_selectorELNS0_4arch9wavefront6targetE0EEEvSY_
	.p2align	8
	.type	_ZN7rocprim17ROCPRIM_400000_NS6detail17trampoline_kernelINS0_13select_configILj256ELj13ELNS0_17block_load_methodE3ELS4_3ELS4_3ELNS0_20block_scan_algorithmE0ELj4294967295EEENS1_25partition_config_selectorILNS1_17partition_subalgoE3EjNS0_10empty_typeEbEEZZNS1_14partition_implILS8_3ELb0ES6_jNS0_17counting_iteratorIjlEEPS9_SE_NS0_5tupleIJPjSE_EEENSF_IJSE_SE_EEES9_SG_JZNS1_25segmented_radix_sort_implINS0_14default_configELb1EPKaPaPKlPlN2at6native12_GLOBAL__N_18offset_tEEE10hipError_tPvRmT1_PNSt15iterator_traitsISY_E10value_typeET2_T3_PNSZ_IS14_E10value_typeET4_jRbjT5_S1A_jjP12ihipStream_tbEUljE_EEESV_SW_SX_S14_S18_S1A_T6_T7_T9_mT8_S1C_bDpT10_ENKUlT_T0_E_clISt17integral_constantIbLb0EES1O_IbLb1EEEEDaS1K_S1L_EUlS1K_E_NS1_11comp_targetILNS1_3genE9ELNS1_11target_archE1100ELNS1_3gpuE3ELNS1_3repE0EEENS1_30default_config_static_selectorELNS0_4arch9wavefront6targetE0EEEvSY_,@function
_ZN7rocprim17ROCPRIM_400000_NS6detail17trampoline_kernelINS0_13select_configILj256ELj13ELNS0_17block_load_methodE3ELS4_3ELS4_3ELNS0_20block_scan_algorithmE0ELj4294967295EEENS1_25partition_config_selectorILNS1_17partition_subalgoE3EjNS0_10empty_typeEbEEZZNS1_14partition_implILS8_3ELb0ES6_jNS0_17counting_iteratorIjlEEPS9_SE_NS0_5tupleIJPjSE_EEENSF_IJSE_SE_EEES9_SG_JZNS1_25segmented_radix_sort_implINS0_14default_configELb1EPKaPaPKlPlN2at6native12_GLOBAL__N_18offset_tEEE10hipError_tPvRmT1_PNSt15iterator_traitsISY_E10value_typeET2_T3_PNSZ_IS14_E10value_typeET4_jRbjT5_S1A_jjP12ihipStream_tbEUljE_EEESV_SW_SX_S14_S18_S1A_T6_T7_T9_mT8_S1C_bDpT10_ENKUlT_T0_E_clISt17integral_constantIbLb0EES1O_IbLb1EEEEDaS1K_S1L_EUlS1K_E_NS1_11comp_targetILNS1_3genE9ELNS1_11target_archE1100ELNS1_3gpuE3ELNS1_3repE0EEENS1_30default_config_static_selectorELNS0_4arch9wavefront6targetE0EEEvSY_: ; @_ZN7rocprim17ROCPRIM_400000_NS6detail17trampoline_kernelINS0_13select_configILj256ELj13ELNS0_17block_load_methodE3ELS4_3ELS4_3ELNS0_20block_scan_algorithmE0ELj4294967295EEENS1_25partition_config_selectorILNS1_17partition_subalgoE3EjNS0_10empty_typeEbEEZZNS1_14partition_implILS8_3ELb0ES6_jNS0_17counting_iteratorIjlEEPS9_SE_NS0_5tupleIJPjSE_EEENSF_IJSE_SE_EEES9_SG_JZNS1_25segmented_radix_sort_implINS0_14default_configELb1EPKaPaPKlPlN2at6native12_GLOBAL__N_18offset_tEEE10hipError_tPvRmT1_PNSt15iterator_traitsISY_E10value_typeET2_T3_PNSZ_IS14_E10value_typeET4_jRbjT5_S1A_jjP12ihipStream_tbEUljE_EEESV_SW_SX_S14_S18_S1A_T6_T7_T9_mT8_S1C_bDpT10_ENKUlT_T0_E_clISt17integral_constantIbLb0EES1O_IbLb1EEEEDaS1K_S1L_EUlS1K_E_NS1_11comp_targetILNS1_3genE9ELNS1_11target_archE1100ELNS1_3gpuE3ELNS1_3repE0EEENS1_30default_config_static_selectorELNS0_4arch9wavefront6targetE0EEEvSY_
; %bb.0:
	s_clause 0x6
	s_load_b64 s[16:17], s[0:1], 0x10
	s_load_b64 s[12:13], s[0:1], 0x28
	;; [unrolled: 1-line block ×3, first 2 shown]
	s_load_b128 s[8:11], s[0:1], 0x48
	s_load_b32 s3, s[0:1], 0x90
	s_load_b64 s[18:19], s[0:1], 0x68
	s_load_b128 s[4:7], s[0:1], 0x80
	v_cmp_eq_u32_e64 s2, 0, v0
	s_delay_alu instid0(VALU_DEP_1)
	s_and_saveexec_b32 s20, s2
	s_cbranch_execz .LBB288_4
; %bb.1:
	s_mov_b32 s22, exec_lo
	s_mov_b32 s21, exec_lo
	v_mbcnt_lo_u32_b32 v1, s22, 0
                                        ; implicit-def: $vgpr2
	s_delay_alu instid0(VALU_DEP_1)
	v_cmpx_eq_u32_e32 0, v1
	s_cbranch_execz .LBB288_3
; %bb.2:
	s_load_b64 s[24:25], s[0:1], 0x78
	s_bcnt1_i32_b32 s22, s22
	s_delay_alu instid0(SALU_CYCLE_1)
	v_dual_mov_b32 v2, 0 :: v_dual_mov_b32 v3, s22
	s_waitcnt lgkmcnt(0)
	global_atomic_add_u32 v2, v2, v3, s[24:25] glc
.LBB288_3:
	s_or_b32 exec_lo, exec_lo, s21
	s_waitcnt vmcnt(0)
	v_readfirstlane_b32 s21, v2
	s_delay_alu instid0(VALU_DEP_1)
	v_dual_mov_b32 v2, 0 :: v_dual_add_nc_u32 v1, s21, v1
	ds_store_b32 v2, v1
.LBB288_4:
	s_or_b32 exec_lo, exec_lo, s20
	v_mov_b32_e32 v1, 0
	s_clause 0x1
	s_load_b32 s20, s[0:1], 0x8
	s_load_b32 s0, s[0:1], 0x70
	s_waitcnt lgkmcnt(0)
	s_barrier
	buffer_gl0_inv
	ds_load_b32 v2, v1
	s_waitcnt lgkmcnt(0)
	s_barrier
	buffer_gl0_inv
	global_load_b64 v[18:19], v1, s[10:11]
	v_lshlrev_b32_e32 v33, 2, v0
	s_add_i32 s21, s20, s16
	s_mul_i32 s1, s0, 0xd00
	s_add_i32 s0, s0, -1
	s_add_u32 s10, s16, s1
	s_addc_u32 s11, s17, 0
	v_mul_lo_u32 v32, 0xd00, v2
	v_readfirstlane_b32 s20, v2
	v_cmp_lt_u64_e64 s11, s[10:11], s[14:15]
	v_cmp_ne_u32_e32 vcc_lo, s0, v2
	s_delay_alu instid0(VALU_DEP_3) | instskip(SKIP_1) | instid1(VALU_DEP_4)
	s_cmp_eq_u32 s20, s0
	s_cselect_b32 s10, -1, 0
	v_add3_u32 v1, v32, s21, v0
	s_delay_alu instid0(VALU_DEP_3) | instskip(SKIP_2) | instid1(VALU_DEP_1)
	s_or_b32 s0, s11, vcc_lo
	s_mov_b32 s11, -1
	s_and_b32 vcc_lo, exec_lo, s0
	v_add_nc_u32_e32 v2, 0x100, v1
	v_add_nc_u32_e32 v3, 0x200, v1
	;; [unrolled: 1-line block ×12, first 2 shown]
	s_cbranch_vccz .LBB288_6
; %bb.5:
	ds_store_2addr_stride64_b32 v33, v1, v2 offset1:4
	ds_store_2addr_stride64_b32 v33, v3, v4 offset0:8 offset1:12
	ds_store_2addr_stride64_b32 v33, v5, v6 offset0:16 offset1:20
	;; [unrolled: 1-line block ×5, first 2 shown]
	ds_store_b32 v33, v13 offset:12288
	s_waitcnt vmcnt(0) lgkmcnt(0)
	s_mov_b32 s11, 0
	s_barrier
.LBB288_6:
	s_and_not1_b32 vcc_lo, exec_lo, s11
	s_add_i32 s1, s1, s16
	s_cbranch_vccnz .LBB288_8
; %bb.7:
	ds_store_2addr_stride64_b32 v33, v1, v2 offset1:4
	ds_store_2addr_stride64_b32 v33, v3, v4 offset0:8 offset1:12
	ds_store_2addr_stride64_b32 v33, v5, v6 offset0:16 offset1:20
	;; [unrolled: 1-line block ×5, first 2 shown]
	ds_store_b32 v33, v13 offset:12288
	s_waitcnt vmcnt(0) lgkmcnt(0)
	s_barrier
.LBB288_8:
	v_mul_u32_u24_e32 v36, 13, v0
	s_waitcnt vmcnt(0)
	buffer_gl0_inv
	v_cndmask_b32_e64 v34, 0, 1, s0
	s_sub_i32 s11, s14, s1
	s_and_not1_b32 vcc_lo, exec_lo, s0
	v_lshlrev_b32_e32 v1, 2, v36
	ds_load_2addr_b32 v[30:31], v1 offset1:1
	ds_load_2addr_b32 v[28:29], v1 offset0:2 offset1:3
	ds_load_2addr_b32 v[26:27], v1 offset0:4 offset1:5
	;; [unrolled: 1-line block ×5, first 2 shown]
	ds_load_b32 v35, v1 offset:48
	s_waitcnt lgkmcnt(0)
	s_barrier
	buffer_gl0_inv
	s_cbranch_vccnz .LBB288_10
; %bb.9:
	v_add_nc_u32_e32 v1, s5, v30
	v_add_nc_u32_e32 v2, s7, v30
	;; [unrolled: 1-line block ×5, first 2 shown]
	v_mul_lo_u32 v1, v1, s4
	v_mul_lo_u32 v2, v2, s6
	;; [unrolled: 1-line block ×4, first 2 shown]
	v_add_nc_u32_e32 v6, s7, v28
	v_add_nc_u32_e32 v7, s5, v29
	;; [unrolled: 1-line block ×3, first 2 shown]
	v_mul_lo_u32 v5, v5, s4
	v_add_nc_u32_e32 v9, s5, v24
	v_sub_nc_u32_e32 v1, v1, v2
	v_mul_lo_u32 v2, v6, s6
	v_sub_nc_u32_e32 v3, v3, v4
	v_mul_lo_u32 v4, v7, s4
	v_mul_lo_u32 v6, v8, s6
	v_add_nc_u32_e32 v7, s5, v26
	v_cmp_lt_u32_e32 vcc_lo, s3, v1
	v_add_nc_u32_e32 v8, s5, v27
	v_add_nc_u32_e32 v10, s7, v24
	v_sub_nc_u32_e32 v2, v5, v2
	v_add_nc_u32_e32 v5, s7, v26
	v_cndmask_b32_e64 v1, 0, 1, vcc_lo
	v_sub_nc_u32_e32 v4, v4, v6
	v_mul_lo_u32 v6, v7, s4
	v_add_nc_u32_e32 v7, s7, v27
	v_cmp_lt_u32_e32 vcc_lo, s3, v3
	v_mul_lo_u32 v5, v5, s6
	v_mul_lo_u32 v8, v8, s4
	;; [unrolled: 1-line block ×4, first 2 shown]
	v_cndmask_b32_e64 v3, 0, 1, vcc_lo
	v_cmp_lt_u32_e32 vcc_lo, s3, v2
	v_mul_lo_u32 v10, v10, s6
	v_add_nc_u32_e32 v11, s5, v22
	v_sub_nc_u32_e32 v5, v6, v5
	v_add_nc_u32_e32 v12, s7, v22
	v_cndmask_b32_e64 v2, 0, 1, vcc_lo
	v_sub_nc_u32_e32 v6, v8, v7
	v_add_nc_u32_e32 v7, s5, v25
	v_add_nc_u32_e32 v8, s7, v25
	v_cmp_lt_u32_e32 vcc_lo, s3, v4
	v_sub_nc_u32_e32 v9, v9, v10
	v_mul_lo_u32 v10, v11, s4
	v_mul_lo_u32 v7, v7, s4
	;; [unrolled: 1-line block ×4, first 2 shown]
	v_cndmask_b32_e64 v4, 0, 1, vcc_lo
	v_cmp_lt_u32_e32 vcc_lo, s3, v5
	v_add_nc_u32_e32 v12, s5, v23
	v_add_nc_u32_e32 v13, s7, v20
	;; [unrolled: 1-line block ×4, first 2 shown]
	v_cndmask_b32_e64 v5, 0, 1, vcc_lo
	v_cmp_lt_u32_e32 vcc_lo, s3, v6
	v_sub_nc_u32_e32 v7, v7, v8
	v_sub_nc_u32_e32 v8, v10, v11
	v_add_nc_u32_e32 v11, s7, v23
	v_mul_lo_u32 v10, v12, s4
	v_cndmask_b32_e64 v6, 0, 1, vcc_lo
	v_cmp_lt_u32_e32 vcc_lo, s3, v9
	v_add_nc_u32_e32 v12, s5, v20
	v_mul_lo_u32 v11, v11, s6
	v_mul_lo_u32 v13, v13, s6
	;; [unrolled: 1-line block ×3, first 2 shown]
	v_cndmask_b32_e64 v9, 0, 1, vcc_lo
	v_cmp_lt_u32_e32 vcc_lo, s3, v7
	v_mul_lo_u32 v12, v12, s4
	v_mul_lo_u32 v15, v15, s6
	v_lshlrev_b16 v3, 8, v3
	v_sub_nc_u32_e32 v10, v10, v11
	v_cndmask_b32_e64 v7, 0, 1, vcc_lo
	v_cmp_lt_u32_e32 vcc_lo, s3, v8
	v_add_nc_u32_e32 v11, s5, v35
	v_or_b32_e32 v1, v1, v3
	v_sub_nc_u32_e32 v12, v12, v13
	v_sub_nc_u32_e32 v13, v14, v15
	v_cndmask_b32_e64 v8, 0, 1, vcc_lo
	v_cmp_lt_u32_e32 vcc_lo, s3, v10
	v_add_nc_u32_e32 v16, s7, v35
	v_mul_lo_u32 v11, v11, s4
	v_lshlrev_b16 v4, 8, v4
	v_lshlrev_b16 v6, 8, v6
	v_cndmask_b32_e64 v10, 0, 1, vcc_lo
	v_cmp_lt_u32_e32 vcc_lo, s3, v12
	v_mul_lo_u32 v14, v16, s6
	v_lshlrev_b16 v7, 8, v7
	v_or_b32_e32 v2, v2, v4
	v_lshlrev_b16 v10, 8, v10
	v_cndmask_b32_e64 v3, 0, 1, vcc_lo
	v_cmp_lt_u32_e32 vcc_lo, s3, v13
	v_or_b32_e32 v4, v5, v6
	v_or_b32_e32 v5, v9, v7
	v_sub_nc_u32_e32 v11, v11, v14
	v_or_b32_e32 v6, v8, v10
	v_cndmask_b32_e64 v12, 0, 1, vcc_lo
	v_and_b32_e32 v1, 0xffff, v1
	v_lshlrev_b32_e32 v2, 16, v2
	v_and_b32_e32 v4, 0xffff, v4
	v_lshlrev_b32_e32 v5, 16, v5
	v_lshlrev_b16 v12, 8, v12
	v_and_b32_e32 v6, 0xffff, v6
	v_cmp_lt_u32_e32 vcc_lo, s3, v11
	v_or_b32_e32 v42, v1, v2
	v_or_b32_e32 v40, v4, v5
	;; [unrolled: 1-line block ×3, first 2 shown]
	v_cndmask_b32_e64 v37, 0, 1, vcc_lo
	s_delay_alu instid0(VALU_DEP_2) | instskip(NEXT) | instid1(VALU_DEP_1)
	v_lshlrev_b32_e32 v3, 16, v3
	v_or_b32_e32 v38, v6, v3
	s_addk_i32 s11, 0xd00
	s_cbranch_execz .LBB288_11
	s_branch .LBB288_38
.LBB288_10:
                                        ; implicit-def: $vgpr37
                                        ; implicit-def: $vgpr38
                                        ; implicit-def: $vgpr40
                                        ; implicit-def: $vgpr42
	s_addk_i32 s11, 0xd00
.LBB288_11:
	v_dual_mov_b32 v2, 0 :: v_dual_mov_b32 v1, 0
	s_mov_b32 s0, exec_lo
	v_cmpx_gt_u32_e64 s11, v36
; %bb.12:
	v_add_nc_u32_e32 v1, s5, v30
	v_add_nc_u32_e32 v3, s7, v30
	s_delay_alu instid0(VALU_DEP_2) | instskip(NEXT) | instid1(VALU_DEP_2)
	v_mul_lo_u32 v1, v1, s4
	v_mul_lo_u32 v3, v3, s6
	s_delay_alu instid0(VALU_DEP_1) | instskip(NEXT) | instid1(VALU_DEP_1)
	v_sub_nc_u32_e32 v1, v1, v3
	v_cmp_lt_u32_e32 vcc_lo, s3, v1
	v_cndmask_b32_e64 v1, 0, 1, vcc_lo
; %bb.13:
	s_or_b32 exec_lo, exec_lo, s0
	v_add_nc_u32_e32 v3, 1, v36
	s_mov_b32 s0, exec_lo
	s_delay_alu instid0(VALU_DEP_1)
	v_cmpx_gt_u32_e64 s11, v3
; %bb.14:
	v_add_nc_u32_e32 v2, s5, v31
	v_add_nc_u32_e32 v3, s7, v31
	s_delay_alu instid0(VALU_DEP_2) | instskip(NEXT) | instid1(VALU_DEP_2)
	v_mul_lo_u32 v2, v2, s4
	v_mul_lo_u32 v3, v3, s6
	s_delay_alu instid0(VALU_DEP_1) | instskip(NEXT) | instid1(VALU_DEP_1)
	v_sub_nc_u32_e32 v2, v2, v3
	v_cmp_lt_u32_e32 vcc_lo, s3, v2
	v_cndmask_b32_e64 v2, 0, 1, vcc_lo
; %bb.15:
	s_or_b32 exec_lo, exec_lo, s0
	v_dual_mov_b32 v4, 0 :: v_dual_add_nc_u32 v3, 2, v36
	s_delay_alu instid0(VALU_DEP_1)
	v_cmp_gt_u32_e32 vcc_lo, s11, v3
	v_mov_b32_e32 v3, 0
	s_and_saveexec_b32 s0, vcc_lo
; %bb.16:
	v_add_nc_u32_e32 v3, s5, v28
	v_add_nc_u32_e32 v5, s7, v28
	s_delay_alu instid0(VALU_DEP_2) | instskip(NEXT) | instid1(VALU_DEP_2)
	v_mul_lo_u32 v3, v3, s4
	v_mul_lo_u32 v5, v5, s6
	s_delay_alu instid0(VALU_DEP_1) | instskip(NEXT) | instid1(VALU_DEP_1)
	v_sub_nc_u32_e32 v3, v3, v5
	v_cmp_lt_u32_e32 vcc_lo, s3, v3
	v_cndmask_b32_e64 v3, 0, 1, vcc_lo
; %bb.17:
	s_or_b32 exec_lo, exec_lo, s0
	v_add_nc_u32_e32 v5, 3, v36
	s_mov_b32 s0, exec_lo
	s_delay_alu instid0(VALU_DEP_1)
	v_cmpx_gt_u32_e64 s11, v5
; %bb.18:
	v_add_nc_u32_e32 v4, s5, v29
	v_add_nc_u32_e32 v5, s7, v29
	s_delay_alu instid0(VALU_DEP_2) | instskip(NEXT) | instid1(VALU_DEP_2)
	v_mul_lo_u32 v4, v4, s4
	v_mul_lo_u32 v5, v5, s6
	s_delay_alu instid0(VALU_DEP_1) | instskip(NEXT) | instid1(VALU_DEP_1)
	v_sub_nc_u32_e32 v4, v4, v5
	v_cmp_lt_u32_e32 vcc_lo, s3, v4
	v_cndmask_b32_e64 v4, 0, 1, vcc_lo
; %bb.19:
	s_or_b32 exec_lo, exec_lo, s0
	v_dual_mov_b32 v6, 0 :: v_dual_add_nc_u32 v5, 4, v36
	s_delay_alu instid0(VALU_DEP_1)
	v_cmp_gt_u32_e32 vcc_lo, s11, v5
	v_mov_b32_e32 v5, 0
	s_and_saveexec_b32 s0, vcc_lo
	;; [unrolled: 33-line block ×5, first 2 shown]
; %bb.32:
	v_add_nc_u32_e32 v11, s5, v20
	v_add_nc_u32_e32 v13, s7, v20
	s_delay_alu instid0(VALU_DEP_2) | instskip(NEXT) | instid1(VALU_DEP_2)
	v_mul_lo_u32 v11, v11, s4
	v_mul_lo_u32 v13, v13, s6
	s_delay_alu instid0(VALU_DEP_1) | instskip(NEXT) | instid1(VALU_DEP_1)
	v_sub_nc_u32_e32 v11, v11, v13
	v_cmp_lt_u32_e32 vcc_lo, s3, v11
	v_cndmask_b32_e64 v11, 0, 1, vcc_lo
; %bb.33:
	s_or_b32 exec_lo, exec_lo, s0
	v_add_nc_u32_e32 v13, 11, v36
	s_mov_b32 s0, exec_lo
	s_delay_alu instid0(VALU_DEP_1)
	v_cmpx_gt_u32_e64 s11, v13
; %bb.34:
	v_add_nc_u32_e32 v12, s5, v21
	v_add_nc_u32_e32 v13, s7, v21
	s_delay_alu instid0(VALU_DEP_2) | instskip(NEXT) | instid1(VALU_DEP_2)
	v_mul_lo_u32 v12, v12, s4
	v_mul_lo_u32 v13, v13, s6
	s_delay_alu instid0(VALU_DEP_1) | instskip(NEXT) | instid1(VALU_DEP_1)
	v_sub_nc_u32_e32 v12, v12, v13
	v_cmp_lt_u32_e32 vcc_lo, s3, v12
	v_cndmask_b32_e64 v12, 0, 1, vcc_lo
; %bb.35:
	s_or_b32 exec_lo, exec_lo, s0
	v_add_nc_u32_e32 v13, 12, v36
	v_mov_b32_e32 v37, 0
	s_mov_b32 s0, exec_lo
	s_delay_alu instid0(VALU_DEP_2)
	v_cmpx_gt_u32_e64 s11, v13
; %bb.36:
	v_add_nc_u32_e32 v13, s5, v35
	v_add_nc_u32_e32 v14, s7, v35
	s_delay_alu instid0(VALU_DEP_2) | instskip(NEXT) | instid1(VALU_DEP_2)
	v_mul_lo_u32 v13, v13, s4
	v_mul_lo_u32 v14, v14, s6
	s_delay_alu instid0(VALU_DEP_1) | instskip(NEXT) | instid1(VALU_DEP_1)
	v_sub_nc_u32_e32 v13, v13, v14
	v_cmp_lt_u32_e32 vcc_lo, s3, v13
	v_cndmask_b32_e64 v37, 0, 1, vcc_lo
; %bb.37:
	s_or_b32 exec_lo, exec_lo, s0
	v_lshlrev_b16 v2, 8, v2
	v_lshlrev_b16 v4, 8, v4
	;; [unrolled: 1-line block ×5, first 2 shown]
	v_or_b32_e32 v1, v1, v2
	v_lshlrev_b16 v2, 8, v12
	v_or_b32_e32 v3, v3, v4
	v_or_b32_e32 v4, v5, v6
	;; [unrolled: 1-line block ×5, first 2 shown]
	v_and_b32_e32 v1, 0xffff, v1
	v_lshlrev_b32_e32 v3, 16, v3
	v_and_b32_e32 v4, 0xffff, v4
	v_lshlrev_b32_e32 v5, 16, v5
	;; [unrolled: 2-line block ×3, first 2 shown]
	v_or_b32_e32 v42, v1, v3
	s_delay_alu instid0(VALU_DEP_4) | instskip(NEXT) | instid1(VALU_DEP_3)
	v_or_b32_e32 v40, v4, v5
	v_or_b32_e32 v38, v6, v2
.LBB288_38:
	s_delay_alu instid0(VALU_DEP_3)
	v_and_b32_e32 v44, 0xff, v42
	v_bfe_u32 v45, v42, 8, 8
	v_bfe_u32 v46, v42, 16, 8
	v_lshrrev_b32_e32 v43, 24, v42
	v_and_b32_e32 v47, 0xff, v40
	v_bfe_u32 v48, v40, 8, 8
	v_bfe_u32 v49, v40, 16, 8
	v_add3_u32 v1, v45, v44, v46
	v_lshrrev_b32_e32 v41, 24, v40
	v_and_b32_e32 v50, 0xff, v38
	v_bfe_u32 v51, v38, 8, 8
	v_mbcnt_lo_u32_b32 v53, -1, 0
	v_add3_u32 v1, v1, v43, v47
	v_bfe_u32 v52, v38, 16, 8
	v_lshrrev_b32_e32 v39, 24, v38
	v_and_b32_e32 v2, 0xff, v37
	v_and_b32_e32 v3, 15, v53
	v_add3_u32 v1, v1, v48, v49
	v_or_b32_e32 v4, 31, v0
	v_and_b32_e32 v5, 16, v53
	v_lshrrev_b32_e32 v54, 5, v0
	v_cmp_eq_u32_e64 s6, 0, v3
	v_add3_u32 v1, v1, v41, v50
	v_cmp_lt_u32_e64 s5, 1, v3
	v_cmp_lt_u32_e64 s4, 3, v3
	;; [unrolled: 1-line block ×3, first 2 shown]
	v_cmp_eq_u32_e64 s1, 0, v5
	v_add3_u32 v1, v1, v51, v52
	v_cmp_eq_u32_e64 s0, v4, v0
	s_cmp_lg_u32 s20, 0
	s_mov_b32 s7, -1
	s_delay_alu instid0(VALU_DEP_2)
	v_add3_u32 v55, v1, v39, v2
	s_cbranch_scc0 .LBB288_64
; %bb.39:
	s_delay_alu instid0(VALU_DEP_1) | instskip(NEXT) | instid1(VALU_DEP_1)
	v_mov_b32_dpp v1, v55 row_shr:1 row_mask:0xf bank_mask:0xf
	v_cndmask_b32_e64 v1, v1, 0, s6
	s_delay_alu instid0(VALU_DEP_1) | instskip(NEXT) | instid1(VALU_DEP_1)
	v_add_nc_u32_e32 v1, v1, v55
	v_mov_b32_dpp v2, v1 row_shr:2 row_mask:0xf bank_mask:0xf
	s_delay_alu instid0(VALU_DEP_1) | instskip(NEXT) | instid1(VALU_DEP_1)
	v_cndmask_b32_e64 v2, 0, v2, s5
	v_add_nc_u32_e32 v1, v1, v2
	s_delay_alu instid0(VALU_DEP_1) | instskip(NEXT) | instid1(VALU_DEP_1)
	v_mov_b32_dpp v2, v1 row_shr:4 row_mask:0xf bank_mask:0xf
	v_cndmask_b32_e64 v2, 0, v2, s4
	s_delay_alu instid0(VALU_DEP_1) | instskip(NEXT) | instid1(VALU_DEP_1)
	v_add_nc_u32_e32 v1, v1, v2
	v_mov_b32_dpp v2, v1 row_shr:8 row_mask:0xf bank_mask:0xf
	s_delay_alu instid0(VALU_DEP_1) | instskip(NEXT) | instid1(VALU_DEP_1)
	v_cndmask_b32_e64 v2, 0, v2, s3
	v_add_nc_u32_e32 v1, v1, v2
	ds_swizzle_b32 v2, v1 offset:swizzle(BROADCAST,32,15)
	s_waitcnt lgkmcnt(0)
	v_cndmask_b32_e64 v2, v2, 0, s1
	s_delay_alu instid0(VALU_DEP_1)
	v_add_nc_u32_e32 v1, v1, v2
	s_and_saveexec_b32 s7, s0
	s_cbranch_execz .LBB288_41
; %bb.40:
	v_lshlrev_b32_e32 v2, 2, v54
	ds_store_b32 v2, v1
.LBB288_41:
	s_or_b32 exec_lo, exec_lo, s7
	s_delay_alu instid0(SALU_CYCLE_1)
	s_mov_b32 s7, exec_lo
	s_waitcnt lgkmcnt(0)
	s_barrier
	buffer_gl0_inv
	v_cmpx_gt_u32_e32 8, v0
	s_cbranch_execz .LBB288_43
; %bb.42:
	ds_load_b32 v2, v33
	s_waitcnt lgkmcnt(0)
	v_mov_b32_dpp v4, v2 row_shr:1 row_mask:0xf bank_mask:0xf
	v_and_b32_e32 v3, 7, v53
	s_delay_alu instid0(VALU_DEP_1) | instskip(NEXT) | instid1(VALU_DEP_3)
	v_cmp_ne_u32_e32 vcc_lo, 0, v3
	v_cndmask_b32_e32 v4, 0, v4, vcc_lo
	v_cmp_lt_u32_e32 vcc_lo, 1, v3
	s_delay_alu instid0(VALU_DEP_2) | instskip(NEXT) | instid1(VALU_DEP_1)
	v_add_nc_u32_e32 v2, v4, v2
	v_mov_b32_dpp v4, v2 row_shr:2 row_mask:0xf bank_mask:0xf
	s_delay_alu instid0(VALU_DEP_1) | instskip(SKIP_1) | instid1(VALU_DEP_2)
	v_cndmask_b32_e32 v4, 0, v4, vcc_lo
	v_cmp_lt_u32_e32 vcc_lo, 3, v3
	v_add_nc_u32_e32 v2, v2, v4
	s_delay_alu instid0(VALU_DEP_1) | instskip(NEXT) | instid1(VALU_DEP_1)
	v_mov_b32_dpp v4, v2 row_shr:4 row_mask:0xf bank_mask:0xf
	v_cndmask_b32_e32 v3, 0, v4, vcc_lo
	s_delay_alu instid0(VALU_DEP_1)
	v_add_nc_u32_e32 v2, v2, v3
	ds_store_b32 v33, v2
.LBB288_43:
	s_or_b32 exec_lo, exec_lo, s7
	v_cmp_gt_u32_e32 vcc_lo, 32, v0
	s_mov_b32 s21, exec_lo
	s_waitcnt lgkmcnt(0)
	s_barrier
	buffer_gl0_inv
                                        ; implicit-def: $vgpr8
	v_cmpx_lt_u32_e32 31, v0
	s_cbranch_execz .LBB288_45
; %bb.44:
	v_lshl_add_u32 v2, v54, 2, -4
	ds_load_b32 v8, v2
	s_waitcnt lgkmcnt(0)
	v_add_nc_u32_e32 v1, v8, v1
.LBB288_45:
	s_or_b32 exec_lo, exec_lo, s21
	v_add_nc_u32_e32 v2, -1, v53
	s_delay_alu instid0(VALU_DEP_1) | instskip(NEXT) | instid1(VALU_DEP_1)
	v_cmp_gt_i32_e64 s7, 0, v2
	v_cndmask_b32_e64 v2, v2, v53, s7
	v_cmp_eq_u32_e64 s7, 0, v53
	s_delay_alu instid0(VALU_DEP_2)
	v_lshlrev_b32_e32 v2, 2, v2
	ds_bpermute_b32 v9, v2, v1
	s_and_saveexec_b32 s21, vcc_lo
	s_cbranch_execz .LBB288_63
; %bb.46:
	v_mov_b32_e32 v4, 0
	ds_load_b32 v1, v4 offset:28
	s_and_saveexec_b32 s22, s7
	s_cbranch_execz .LBB288_48
; %bb.47:
	s_add_i32 s24, s20, 32
	s_mov_b32 s25, 0
	v_mov_b32_e32 v2, 1
	s_lshl_b64 s[24:25], s[24:25], 3
	s_delay_alu instid0(SALU_CYCLE_1)
	s_add_u32 s24, s18, s24
	s_addc_u32 s25, s19, s25
	s_waitcnt lgkmcnt(0)
	global_store_b64 v4, v[1:2], s[24:25]
.LBB288_48:
	s_or_b32 exec_lo, exec_lo, s22
	v_xad_u32 v2, v53, -1, s20
	s_mov_b32 s23, 0
	s_mov_b32 s22, exec_lo
	s_delay_alu instid0(VALU_DEP_1) | instskip(NEXT) | instid1(VALU_DEP_1)
	v_add_nc_u32_e32 v3, 32, v2
	v_lshlrev_b64 v[3:4], 3, v[3:4]
	s_delay_alu instid0(VALU_DEP_1) | instskip(NEXT) | instid1(VALU_DEP_2)
	v_add_co_u32 v6, vcc_lo, s18, v3
	v_add_co_ci_u32_e32 v7, vcc_lo, s19, v4, vcc_lo
	global_load_b64 v[4:5], v[6:7], off glc
	s_waitcnt vmcnt(0)
	v_and_b32_e32 v3, 0xff, v5
	s_delay_alu instid0(VALU_DEP_1)
	v_cmpx_eq_u16_e32 0, v3
	s_cbranch_execz .LBB288_51
.LBB288_49:                             ; =>This Inner Loop Header: Depth=1
	global_load_b64 v[4:5], v[6:7], off glc
	s_waitcnt vmcnt(0)
	v_and_b32_e32 v3, 0xff, v5
	s_delay_alu instid0(VALU_DEP_1) | instskip(SKIP_1) | instid1(SALU_CYCLE_1)
	v_cmp_ne_u16_e32 vcc_lo, 0, v3
	s_or_b32 s23, vcc_lo, s23
	s_and_not1_b32 exec_lo, exec_lo, s23
	s_cbranch_execnz .LBB288_49
; %bb.50:
	s_or_b32 exec_lo, exec_lo, s23
.LBB288_51:
	s_delay_alu instid0(SALU_CYCLE_1)
	s_or_b32 exec_lo, exec_lo, s22
	v_cmp_ne_u32_e32 vcc_lo, 31, v53
	v_lshlrev_b32_e64 v11, v53, -1
	v_add_nc_u32_e32 v13, 2, v53
	v_add_nc_u32_e32 v15, 4, v53
	;; [unrolled: 1-line block ×3, first 2 shown]
	v_add_co_ci_u32_e32 v3, vcc_lo, 0, v53, vcc_lo
	v_add_nc_u32_e32 v58, 16, v53
	s_delay_alu instid0(VALU_DEP_2) | instskip(SKIP_2) | instid1(VALU_DEP_1)
	v_lshlrev_b32_e32 v10, 2, v3
	ds_bpermute_b32 v6, v10, v4
	v_and_b32_e32 v3, 0xff, v5
	v_cmp_eq_u16_e32 vcc_lo, 2, v3
	v_and_or_b32 v3, vcc_lo, v11, 0x80000000
	v_cmp_gt_u32_e32 vcc_lo, 30, v53
	s_delay_alu instid0(VALU_DEP_2) | instskip(SKIP_1) | instid1(VALU_DEP_2)
	v_ctz_i32_b32_e32 v3, v3
	v_cndmask_b32_e64 v7, 0, 1, vcc_lo
	v_cmp_lt_u32_e32 vcc_lo, v53, v3
	s_waitcnt lgkmcnt(0)
	s_delay_alu instid0(VALU_DEP_2) | instskip(NEXT) | instid1(VALU_DEP_1)
	v_dual_cndmask_b32 v6, 0, v6 :: v_dual_lshlrev_b32 v7, 1, v7
	v_add_lshl_u32 v12, v7, v53, 2
	v_cmp_gt_u32_e32 vcc_lo, 28, v53
	s_delay_alu instid0(VALU_DEP_3) | instskip(SKIP_4) | instid1(VALU_DEP_1)
	v_add_nc_u32_e32 v4, v6, v4
	v_cndmask_b32_e64 v7, 0, 1, vcc_lo
	v_cmp_le_u32_e32 vcc_lo, v13, v3
	ds_bpermute_b32 v6, v12, v4
	v_lshlrev_b32_e32 v7, 2, v7
	v_add_lshl_u32 v14, v7, v53, 2
	s_waitcnt lgkmcnt(0)
	v_cndmask_b32_e32 v6, 0, v6, vcc_lo
	v_cmp_gt_u32_e32 vcc_lo, 24, v53
	s_delay_alu instid0(VALU_DEP_2) | instskip(SKIP_4) | instid1(VALU_DEP_1)
	v_add_nc_u32_e32 v4, v4, v6
	v_cndmask_b32_e64 v7, 0, 1, vcc_lo
	v_cmp_le_u32_e32 vcc_lo, v15, v3
	ds_bpermute_b32 v6, v14, v4
	v_lshlrev_b32_e32 v7, 3, v7
	v_add_lshl_u32 v17, v7, v53, 2
	s_waitcnt lgkmcnt(0)
	v_cndmask_b32_e32 v6, 0, v6, vcc_lo
	v_cmp_gt_u32_e32 vcc_lo, 16, v53
	s_delay_alu instid0(VALU_DEP_2) | instskip(SKIP_4) | instid1(VALU_DEP_1)
	v_add_nc_u32_e32 v4, v4, v6
	v_cndmask_b32_e64 v7, 0, 1, vcc_lo
	v_cmp_le_u32_e32 vcc_lo, v56, v3
	ds_bpermute_b32 v6, v17, v4
	v_lshlrev_b32_e32 v7, 4, v7
	v_add_lshl_u32 v57, v7, v53, 2
	s_waitcnt lgkmcnt(0)
	v_cndmask_b32_e32 v6, 0, v6, vcc_lo
	v_cmp_le_u32_e32 vcc_lo, v58, v3
	s_delay_alu instid0(VALU_DEP_2) | instskip(SKIP_3) | instid1(VALU_DEP_1)
	v_add_nc_u32_e32 v4, v4, v6
	ds_bpermute_b32 v6, v57, v4
	s_waitcnt lgkmcnt(0)
	v_cndmask_b32_e32 v3, 0, v6, vcc_lo
	v_dual_mov_b32 v3, 0 :: v_dual_add_nc_u32 v4, v4, v3
	s_branch .LBB288_53
.LBB288_52:                             ;   in Loop: Header=BB288_53 Depth=1
	s_or_b32 exec_lo, exec_lo, s22
	ds_bpermute_b32 v7, v10, v4
	v_and_b32_e32 v6, 0xff, v5
	v_subrev_nc_u32_e32 v2, 32, v2
	s_delay_alu instid0(VALU_DEP_2) | instskip(SKIP_1) | instid1(VALU_DEP_1)
	v_cmp_eq_u16_e32 vcc_lo, 2, v6
	v_and_or_b32 v6, vcc_lo, v11, 0x80000000
	v_ctz_i32_b32_e32 v6, v6
	s_delay_alu instid0(VALU_DEP_1) | instskip(SKIP_3) | instid1(VALU_DEP_2)
	v_cmp_lt_u32_e32 vcc_lo, v53, v6
	s_waitcnt lgkmcnt(0)
	v_cndmask_b32_e32 v7, 0, v7, vcc_lo
	v_cmp_le_u32_e32 vcc_lo, v13, v6
	v_add_nc_u32_e32 v4, v7, v4
	ds_bpermute_b32 v7, v12, v4
	s_waitcnt lgkmcnt(0)
	v_cndmask_b32_e32 v7, 0, v7, vcc_lo
	v_cmp_le_u32_e32 vcc_lo, v15, v6
	s_delay_alu instid0(VALU_DEP_2) | instskip(SKIP_4) | instid1(VALU_DEP_2)
	v_add_nc_u32_e32 v4, v4, v7
	ds_bpermute_b32 v7, v14, v4
	s_waitcnt lgkmcnt(0)
	v_cndmask_b32_e32 v7, 0, v7, vcc_lo
	v_cmp_le_u32_e32 vcc_lo, v56, v6
	v_add_nc_u32_e32 v4, v4, v7
	ds_bpermute_b32 v7, v17, v4
	s_waitcnt lgkmcnt(0)
	v_cndmask_b32_e32 v7, 0, v7, vcc_lo
	v_cmp_le_u32_e32 vcc_lo, v58, v6
	s_delay_alu instid0(VALU_DEP_2) | instskip(SKIP_3) | instid1(VALU_DEP_1)
	v_add_nc_u32_e32 v4, v4, v7
	ds_bpermute_b32 v7, v57, v4
	s_waitcnt lgkmcnt(0)
	v_cndmask_b32_e32 v6, 0, v7, vcc_lo
	v_add3_u32 v4, v6, v16, v4
.LBB288_53:                             ; =>This Loop Header: Depth=1
                                        ;     Child Loop BB288_56 Depth 2
	s_delay_alu instid0(VALU_DEP_1) | instskip(NEXT) | instid1(VALU_DEP_1)
	v_dual_mov_b32 v16, v4 :: v_dual_and_b32 v5, 0xff, v5
	v_cmp_ne_u16_e32 vcc_lo, 2, v5
	v_cndmask_b32_e64 v5, 0, 1, vcc_lo
	;;#ASMSTART
	;;#ASMEND
	s_delay_alu instid0(VALU_DEP_1)
	v_cmp_ne_u32_e32 vcc_lo, 0, v5
	s_cmp_lg_u32 vcc_lo, exec_lo
	s_cbranch_scc1 .LBB288_58
; %bb.54:                               ;   in Loop: Header=BB288_53 Depth=1
	v_lshlrev_b64 v[4:5], 3, v[2:3]
	s_mov_b32 s22, exec_lo
	s_delay_alu instid0(VALU_DEP_1) | instskip(NEXT) | instid1(VALU_DEP_2)
	v_add_co_u32 v6, vcc_lo, s18, v4
	v_add_co_ci_u32_e32 v7, vcc_lo, s19, v5, vcc_lo
	global_load_b64 v[4:5], v[6:7], off glc
	s_waitcnt vmcnt(0)
	v_and_b32_e32 v59, 0xff, v5
	s_delay_alu instid0(VALU_DEP_1)
	v_cmpx_eq_u16_e32 0, v59
	s_cbranch_execz .LBB288_52
; %bb.55:                               ;   in Loop: Header=BB288_53 Depth=1
	s_mov_b32 s23, 0
.LBB288_56:                             ;   Parent Loop BB288_53 Depth=1
                                        ; =>  This Inner Loop Header: Depth=2
	global_load_b64 v[4:5], v[6:7], off glc
	s_waitcnt vmcnt(0)
	v_and_b32_e32 v59, 0xff, v5
	s_delay_alu instid0(VALU_DEP_1) | instskip(SKIP_1) | instid1(SALU_CYCLE_1)
	v_cmp_ne_u16_e32 vcc_lo, 0, v59
	s_or_b32 s23, vcc_lo, s23
	s_and_not1_b32 exec_lo, exec_lo, s23
	s_cbranch_execnz .LBB288_56
; %bb.57:                               ;   in Loop: Header=BB288_53 Depth=1
	s_or_b32 exec_lo, exec_lo, s23
	s_branch .LBB288_52
.LBB288_58:                             ;   in Loop: Header=BB288_53 Depth=1
                                        ; implicit-def: $vgpr4
                                        ; implicit-def: $vgpr5
	s_cbranch_execz .LBB288_53
; %bb.59:
	s_and_saveexec_b32 s22, s7
	s_cbranch_execz .LBB288_61
; %bb.60:
	s_add_i32 s24, s20, 32
	s_mov_b32 s25, 0
	v_dual_mov_b32 v3, 2 :: v_dual_add_nc_u32 v2, v16, v1
	s_lshl_b64 s[24:25], s[24:25], 3
	v_mov_b32_e32 v4, 0
	v_add_nc_u32_e64 v5, 0x3400, 0
	s_add_u32 s24, s18, s24
	s_addc_u32 s25, s19, s25
	global_store_b64 v4, v[2:3], s[24:25]
	ds_store_2addr_b32 v5, v1, v16 offset1:2
.LBB288_61:
	s_or_b32 exec_lo, exec_lo, s22
	s_delay_alu instid0(SALU_CYCLE_1)
	s_and_b32 exec_lo, exec_lo, s2
	s_cbranch_execz .LBB288_63
; %bb.62:
	v_mov_b32_e32 v1, 0
	ds_store_b32 v1, v16 offset:28
.LBB288_63:
	s_or_b32 exec_lo, exec_lo, s21
	v_mov_b32_e32 v1, 0
	s_waitcnt lgkmcnt(0)
	s_waitcnt_vscnt null, 0x0
	s_barrier
	buffer_gl0_inv
	v_cndmask_b32_e64 v2, v9, v8, s7
	ds_load_b32 v1, v1 offset:28
	v_add_nc_u32_e64 v11, 0x3400, 0
	s_waitcnt lgkmcnt(0)
	s_barrier
	v_cndmask_b32_e64 v2, v2, 0, s2
	buffer_gl0_inv
	ds_load_2addr_b32 v[16:17], v11 offset1:2
	v_add_nc_u32_e32 v1, v1, v2
	s_delay_alu instid0(VALU_DEP_1) | instskip(NEXT) | instid1(VALU_DEP_1)
	v_add_nc_u32_e32 v2, v1, v44
	v_add_nc_u32_e32 v3, v2, v45
	s_delay_alu instid0(VALU_DEP_1) | instskip(NEXT) | instid1(VALU_DEP_1)
	v_add_nc_u32_e32 v4, v3, v46
	;; [unrolled: 3-line block ×6, first 2 shown]
	v_add_nc_u32_e32 v13, v12, v39
	s_branch .LBB288_74
.LBB288_64:
                                        ; implicit-def: $vgpr17
                                        ; implicit-def: $vgpr1_vgpr2_vgpr3_vgpr4_vgpr5_vgpr6_vgpr7_vgpr8_vgpr9_vgpr10_vgpr11_vgpr12_vgpr13_vgpr14_vgpr15_vgpr16
	s_and_b32 vcc_lo, exec_lo, s7
	s_cbranch_vccz .LBB288_74
; %bb.65:
	s_delay_alu instid0(VALU_DEP_1) | instskip(NEXT) | instid1(VALU_DEP_1)
	v_mov_b32_dpp v1, v55 row_shr:1 row_mask:0xf bank_mask:0xf
	v_cndmask_b32_e64 v1, v1, 0, s6
	s_delay_alu instid0(VALU_DEP_1) | instskip(NEXT) | instid1(VALU_DEP_1)
	v_add_nc_u32_e32 v1, v1, v55
	v_mov_b32_dpp v2, v1 row_shr:2 row_mask:0xf bank_mask:0xf
	s_delay_alu instid0(VALU_DEP_1) | instskip(NEXT) | instid1(VALU_DEP_1)
	v_cndmask_b32_e64 v2, 0, v2, s5
	v_add_nc_u32_e32 v1, v1, v2
	s_delay_alu instid0(VALU_DEP_1) | instskip(NEXT) | instid1(VALU_DEP_1)
	v_mov_b32_dpp v2, v1 row_shr:4 row_mask:0xf bank_mask:0xf
	v_cndmask_b32_e64 v2, 0, v2, s4
	s_delay_alu instid0(VALU_DEP_1) | instskip(NEXT) | instid1(VALU_DEP_1)
	v_add_nc_u32_e32 v1, v1, v2
	v_mov_b32_dpp v2, v1 row_shr:8 row_mask:0xf bank_mask:0xf
	s_delay_alu instid0(VALU_DEP_1) | instskip(NEXT) | instid1(VALU_DEP_1)
	v_cndmask_b32_e64 v2, 0, v2, s3
	v_add_nc_u32_e32 v1, v1, v2
	ds_swizzle_b32 v2, v1 offset:swizzle(BROADCAST,32,15)
	s_waitcnt lgkmcnt(0)
	v_cndmask_b32_e64 v2, v2, 0, s1
	s_delay_alu instid0(VALU_DEP_1)
	v_add_nc_u32_e32 v1, v1, v2
	s_and_saveexec_b32 s1, s0
	s_cbranch_execz .LBB288_67
; %bb.66:
	v_lshlrev_b32_e32 v2, 2, v54
	ds_store_b32 v2, v1
.LBB288_67:
	s_or_b32 exec_lo, exec_lo, s1
	s_delay_alu instid0(SALU_CYCLE_1)
	s_mov_b32 s0, exec_lo
	s_waitcnt lgkmcnt(0)
	s_barrier
	buffer_gl0_inv
	v_cmpx_gt_u32_e32 8, v0
	s_cbranch_execz .LBB288_69
; %bb.68:
	ds_load_b32 v2, v33
	s_waitcnt lgkmcnt(0)
	v_mov_b32_dpp v4, v2 row_shr:1 row_mask:0xf bank_mask:0xf
	v_and_b32_e32 v3, 7, v53
	s_delay_alu instid0(VALU_DEP_1) | instskip(NEXT) | instid1(VALU_DEP_3)
	v_cmp_ne_u32_e32 vcc_lo, 0, v3
	v_cndmask_b32_e32 v4, 0, v4, vcc_lo
	v_cmp_lt_u32_e32 vcc_lo, 1, v3
	s_delay_alu instid0(VALU_DEP_2) | instskip(NEXT) | instid1(VALU_DEP_1)
	v_add_nc_u32_e32 v2, v4, v2
	v_mov_b32_dpp v4, v2 row_shr:2 row_mask:0xf bank_mask:0xf
	s_delay_alu instid0(VALU_DEP_1) | instskip(SKIP_1) | instid1(VALU_DEP_2)
	v_cndmask_b32_e32 v4, 0, v4, vcc_lo
	v_cmp_lt_u32_e32 vcc_lo, 3, v3
	v_add_nc_u32_e32 v2, v2, v4
	s_delay_alu instid0(VALU_DEP_1) | instskip(NEXT) | instid1(VALU_DEP_1)
	v_mov_b32_dpp v4, v2 row_shr:4 row_mask:0xf bank_mask:0xf
	v_cndmask_b32_e32 v3, 0, v4, vcc_lo
	s_delay_alu instid0(VALU_DEP_1)
	v_add_nc_u32_e32 v2, v2, v3
	ds_store_b32 v33, v2
.LBB288_69:
	s_or_b32 exec_lo, exec_lo, s0
	v_dual_mov_b32 v3, 0 :: v_dual_mov_b32 v2, 0
	s_mov_b32 s0, exec_lo
	s_waitcnt lgkmcnt(0)
	s_barrier
	buffer_gl0_inv
	v_cmpx_lt_u32_e32 31, v0
	s_cbranch_execz .LBB288_71
; %bb.70:
	v_lshl_add_u32 v2, v54, 2, -4
	ds_load_b32 v2, v2
.LBB288_71:
	s_or_b32 exec_lo, exec_lo, s0
	v_add_nc_u32_e32 v4, -1, v53
	s_waitcnt lgkmcnt(0)
	v_add_nc_u32_e32 v1, v2, v1
	ds_load_b32 v16, v3 offset:28
	v_cmp_gt_i32_e32 vcc_lo, 0, v4
	v_cndmask_b32_e32 v4, v4, v53, vcc_lo
	s_delay_alu instid0(VALU_DEP_1)
	v_lshlrev_b32_e32 v4, 2, v4
	ds_bpermute_b32 v1, v4, v1
	s_and_saveexec_b32 s0, s2
	s_cbranch_execz .LBB288_73
; %bb.72:
	v_mov_b32_e32 v3, 0
	v_mov_b32_e32 v17, 2
	s_waitcnt lgkmcnt(1)
	global_store_b64 v3, v[16:17], s[18:19] offset:256
.LBB288_73:
	s_or_b32 exec_lo, exec_lo, s0
	v_cmp_eq_u32_e32 vcc_lo, 0, v53
	s_waitcnt lgkmcnt(0)
	s_waitcnt_vscnt null, 0x0
	s_barrier
	buffer_gl0_inv
	v_mov_b32_e32 v17, 0
	v_cndmask_b32_e32 v1, v1, v2, vcc_lo
	s_delay_alu instid0(VALU_DEP_1) | instskip(NEXT) | instid1(VALU_DEP_1)
	v_cndmask_b32_e64 v1, v1, 0, s2
	v_add_nc_u32_e32 v2, v1, v44
	s_delay_alu instid0(VALU_DEP_1) | instskip(NEXT) | instid1(VALU_DEP_1)
	v_add_nc_u32_e32 v3, v2, v45
	v_add_nc_u32_e32 v4, v3, v46
	s_delay_alu instid0(VALU_DEP_1) | instskip(NEXT) | instid1(VALU_DEP_1)
	v_add_nc_u32_e32 v5, v4, v43
	;; [unrolled: 3-line block ×5, first 2 shown]
	v_add_nc_u32_e32 v12, v11, v52
	s_delay_alu instid0(VALU_DEP_1)
	v_add_nc_u32_e32 v13, v12, v39
.LBB288_74:
	s_waitcnt lgkmcnt(0)
	v_sub_nc_u32_e32 v1, v1, v17
	v_sub_nc_u32_e32 v2, v2, v17
	v_add_nc_u32_e32 v36, v16, v36
	v_lshrrev_b32_e32 v47, 8, v42
	v_lshrrev_b32_e32 v46, 16, v42
	v_sub_nc_u32_e32 v4, v4, v17
	v_sub_nc_u32_e32 v3, v3, v17
	;; [unrolled: 1-line block ×3, first 2 shown]
	v_and_b32_e32 v42, 1, v42
	v_and_b32_e32 v47, 1, v47
	v_and_b32_e32 v43, 1, v43
	v_lshrrev_b32_e32 v45, 8, v40
	v_lshrrev_b32_e32 v44, 16, v40
	v_cmp_eq_u32_e32 vcc_lo, 1, v42
	v_and_b32_e32 v42, 1, v46
	v_sub_nc_u32_e32 v46, v36, v2
	v_lshrrev_b32_e32 v15, 8, v38
	v_lshrrev_b32_e32 v14, 16, v38
	v_cndmask_b32_e32 v1, v48, v1, vcc_lo
	v_cmp_eq_u32_e32 vcc_lo, 1, v47
	v_add_nc_u32_e32 v46, 1, v46
	s_delay_alu instid0(VALU_DEP_3)
	v_lshlrev_b32_e32 v1, 2, v1
	ds_store_b32 v1, v30
	v_cndmask_b32_e32 v1, v46, v2, vcc_lo
	v_sub_nc_u32_e32 v48, v36, v3
	v_sub_nc_u32_e32 v49, v36, v4
	v_cmp_eq_u32_e32 vcc_lo, 1, v42
	v_or_b32_e32 v30, 0x300, v0
	v_lshlrev_b32_e32 v1, 2, v1
	v_add_nc_u32_e32 v48, 2, v48
	v_add_nc_u32_e32 v49, 3, v49
	ds_store_b32 v1, v31
	v_cndmask_b32_e32 v2, v48, v3, vcc_lo
	v_cmp_eq_u32_e32 vcc_lo, 1, v43
	v_or_b32_e32 v31, 0x200, v0
	s_delay_alu instid0(VALU_DEP_3) | instskip(SKIP_2) | instid1(VALU_DEP_3)
	v_dual_cndmask_b32 v3, v49, v4 :: v_dual_lshlrev_b32 v2, 2, v2
	v_sub_nc_u32_e32 v4, v5, v17
	v_sub_nc_u32_e32 v5, v6, v17
	v_lshlrev_b32_e32 v3, 2, v3
	s_delay_alu instid0(VALU_DEP_3) | instskip(NEXT) | instid1(VALU_DEP_3)
	v_sub_nc_u32_e32 v1, v36, v4
	v_sub_nc_u32_e32 v6, v36, v5
	ds_store_b32 v2, v28
	ds_store_b32 v3, v29
	v_and_b32_e32 v2, 1, v40
	v_add_nc_u32_e32 v1, 4, v1
	v_add_nc_u32_e32 v3, 5, v6
	v_sub_nc_u32_e32 v6, v7, v17
	v_and_b32_e32 v7, 1, v45
	v_cmp_eq_u32_e32 vcc_lo, 1, v2
	v_sub_nc_u32_e32 v2, v8, v17
	v_and_b32_e32 v8, 1, v41
	v_or_b32_e32 v29, 0x400, v0
	v_or_b32_e32 v28, 0x500, v0
	v_cndmask_b32_e32 v1, v1, v4, vcc_lo
	v_sub_nc_u32_e32 v4, v36, v6
	v_cmp_eq_u32_e32 vcc_lo, 1, v7
	v_and_b32_e32 v7, 1, v44
	s_delay_alu instid0(VALU_DEP_4) | instskip(NEXT) | instid1(VALU_DEP_4)
	v_lshlrev_b32_e32 v1, 2, v1
	v_dual_cndmask_b32 v3, v3, v5 :: v_dual_add_nc_u32 v4, 6, v4
	v_sub_nc_u32_e32 v5, v36, v2
	s_delay_alu instid0(VALU_DEP_4) | instskip(SKIP_2) | instid1(VALU_DEP_4)
	v_cmp_eq_u32_e32 vcc_lo, 1, v7
	v_sub_nc_u32_e32 v7, v13, v17
	v_add_co_u32 v13, s0, s16, v32
	v_dual_cndmask_b32 v4, v4, v6 :: v_dual_add_nc_u32 v5, 7, v5
	v_cmp_eq_u32_e32 vcc_lo, 1, v8
	v_sub_nc_u32_e32 v6, v9, v17
	v_lshlrev_b32_e32 v3, 2, v3
	ds_store_b32 v1, v26
	ds_store_b32 v3, v27
	v_cndmask_b32_e32 v2, v5, v2, vcc_lo
	v_sub_nc_u32_e32 v1, v36, v6
	v_lshlrev_b32_e32 v3, 2, v4
	v_and_b32_e32 v5, 1, v38
	v_sub_nc_u32_e32 v4, v10, v17
	v_lshlrev_b32_e32 v2, 2, v2
	v_add_nc_u32_e32 v1, 8, v1
	ds_store_b32 v3, v24
	ds_store_b32 v2, v25
	v_cmp_eq_u32_e32 vcc_lo, 1, v5
	v_sub_nc_u32_e32 v3, v11, v17
	v_sub_nc_u32_e32 v2, v36, v4
	v_sub_nc_u32_e32 v5, v12, v17
	v_dual_cndmask_b32 v1, v1, v6 :: v_dual_and_b32 v10, 1, v39
	v_and_b32_e32 v6, 1, v15
	v_sub_nc_u32_e32 v8, v36, v3
	v_add_nc_u32_e32 v2, 9, v2
	v_sub_nc_u32_e32 v9, v36, v5
	v_and_b32_e32 v11, 1, v37
	v_cmp_eq_u32_e32 vcc_lo, 1, v6
	v_add_nc_u32_e32 v6, 10, v8
	v_and_b32_e32 v8, 1, v14
	v_add_nc_u32_e32 v9, 11, v9
	v_dual_cndmask_b32 v2, v2, v4 :: v_dual_lshlrev_b32 v1, 2, v1
	v_sub_nc_u32_e32 v4, v36, v7
	s_delay_alu instid0(VALU_DEP_4) | instskip(SKIP_1) | instid1(VALU_DEP_4)
	v_cmp_eq_u32_e32 vcc_lo, 1, v8
	v_add_co_ci_u32_e64 v14, null, s17, 0, s0
	v_lshlrev_b32_e32 v2, 2, v2
	s_delay_alu instid0(VALU_DEP_4)
	v_dual_cndmask_b32 v3, v6, v3 :: v_dual_add_nc_u32 v4, 12, v4
	v_cmp_eq_u32_e32 vcc_lo, 1, v10
	v_or_b32_e32 v27, 0x600, v0
	v_or_b32_e32 v26, 0x700, v0
	;; [unrolled: 1-line block ×3, first 2 shown]
	v_lshlrev_b32_e32 v3, 2, v3
	v_cndmask_b32_e32 v5, v9, v5, vcc_lo
	v_cmp_eq_u32_e32 vcc_lo, 1, v11
	v_or_b32_e32 v24, 0x900, v0
	s_delay_alu instid0(VALU_DEP_3) | instskip(SKIP_2) | instid1(VALU_DEP_3)
	v_dual_cndmask_b32 v4, v4, v7 :: v_dual_lshlrev_b32 v5, 2, v5
	v_sub_co_u32 v13, vcc_lo, s14, v13
	v_sub_co_ci_u32_e32 v14, vcc_lo, s15, v14, vcc_lo
	v_lshlrev_b32_e32 v4, 2, v4
	ds_store_b32 v1, v22
	ds_store_b32 v2, v23
	;; [unrolled: 1-line block ×5, first 2 shown]
	s_waitcnt lgkmcnt(0)
	s_barrier
	buffer_gl0_inv
	ds_load_2addr_stride64_b32 v[11:12], v33 offset1:4
	ds_load_2addr_stride64_b32 v[9:10], v33 offset0:8 offset1:12
	ds_load_2addr_stride64_b32 v[7:8], v33 offset0:16 offset1:20
	;; [unrolled: 1-line block ×5, first 2 shown]
	ds_load_b32 v20, v33 offset:12288
	v_add_co_u32 v15, vcc_lo, v18, v17
	v_add_co_ci_u32_e32 v17, vcc_lo, 0, v19, vcc_lo
	v_add_co_u32 v13, vcc_lo, v13, v16
	v_add_co_ci_u32_e32 v14, vcc_lo, 0, v14, vcc_lo
	v_cmp_ne_u32_e32 vcc_lo, 1, v34
	s_delay_alu instid0(VALU_DEP_3)
	v_add_co_u32 v18, s0, v13, v15
	v_or_b32_e32 v35, 0x100, v0
	v_or_b32_e32 v23, 0xa00, v0
	v_or_b32_e32 v22, 0xb00, v0
	v_or_b32_e32 v21, 0xc00, v0
	v_add_co_ci_u32_e64 v19, s0, v14, v17, s0
	s_mov_b32 s0, 0
	s_cbranch_vccnz .LBB288_131
; %bb.75:
	s_mov_b32 s0, exec_lo
                                        ; implicit-def: $vgpr13_vgpr14
	v_cmpx_ge_u32_e64 v0, v16
	s_xor_b32 s0, exec_lo, s0
; %bb.76:
	v_not_b32_e32 v13, v0
	s_delay_alu instid0(VALU_DEP_1) | instskip(SKIP_1) | instid1(VALU_DEP_2)
	v_ashrrev_i32_e32 v14, 31, v13
	v_add_co_u32 v13, vcc_lo, v18, v13
	v_add_co_ci_u32_e32 v14, vcc_lo, v19, v14, vcc_lo
; %bb.77:
	s_and_not1_saveexec_b32 s0, s0
; %bb.78:
	v_add_co_u32 v13, vcc_lo, v15, v0
	v_add_co_ci_u32_e32 v14, vcc_lo, 0, v17, vcc_lo
; %bb.79:
	s_or_b32 exec_lo, exec_lo, s0
	s_delay_alu instid0(VALU_DEP_1) | instskip(SKIP_1) | instid1(VALU_DEP_1)
	v_lshlrev_b64 v[13:14], 2, v[13:14]
	s_mov_b32 s0, exec_lo
	v_add_co_u32 v13, vcc_lo, s12, v13
	s_delay_alu instid0(VALU_DEP_2)
	v_add_co_ci_u32_e32 v14, vcc_lo, s13, v14, vcc_lo
	s_waitcnt lgkmcnt(6)
	global_store_b32 v[13:14], v11, off
                                        ; implicit-def: $vgpr13_vgpr14
	v_cmpx_ge_u32_e64 v35, v16
	s_xor_b32 s0, exec_lo, s0
; %bb.80:
	v_xor_b32_e32 v13, 0xfffffeff, v0
	s_delay_alu instid0(VALU_DEP_1) | instskip(SKIP_1) | instid1(VALU_DEP_2)
	v_ashrrev_i32_e32 v14, 31, v13
	v_add_co_u32 v13, vcc_lo, v18, v13
	v_add_co_ci_u32_e32 v14, vcc_lo, v19, v14, vcc_lo
; %bb.81:
	s_and_not1_saveexec_b32 s0, s0
; %bb.82:
	v_add_co_u32 v13, vcc_lo, v15, v35
	v_add_co_ci_u32_e32 v14, vcc_lo, 0, v17, vcc_lo
; %bb.83:
	s_or_b32 exec_lo, exec_lo, s0
	s_delay_alu instid0(VALU_DEP_1) | instskip(SKIP_1) | instid1(VALU_DEP_1)
	v_lshlrev_b64 v[13:14], 2, v[13:14]
	s_mov_b32 s0, exec_lo
	v_add_co_u32 v13, vcc_lo, s12, v13
	s_delay_alu instid0(VALU_DEP_2)
	v_add_co_ci_u32_e32 v14, vcc_lo, s13, v14, vcc_lo
	global_store_b32 v[13:14], v12, off
                                        ; implicit-def: $vgpr13_vgpr14
	v_cmpx_ge_u32_e64 v31, v16
	s_xor_b32 s0, exec_lo, s0
; %bb.84:
	v_xor_b32_e32 v13, 0xfffffdff, v0
	s_delay_alu instid0(VALU_DEP_1) | instskip(SKIP_1) | instid1(VALU_DEP_2)
	v_ashrrev_i32_e32 v14, 31, v13
	v_add_co_u32 v13, vcc_lo, v18, v13
	v_add_co_ci_u32_e32 v14, vcc_lo, v19, v14, vcc_lo
; %bb.85:
	s_and_not1_saveexec_b32 s0, s0
; %bb.86:
	v_add_co_u32 v13, vcc_lo, v15, v31
	v_add_co_ci_u32_e32 v14, vcc_lo, 0, v17, vcc_lo
; %bb.87:
	s_or_b32 exec_lo, exec_lo, s0
	s_delay_alu instid0(VALU_DEP_1) | instskip(SKIP_1) | instid1(VALU_DEP_1)
	v_lshlrev_b64 v[13:14], 2, v[13:14]
	s_mov_b32 s0, exec_lo
	v_add_co_u32 v13, vcc_lo, s12, v13
	s_delay_alu instid0(VALU_DEP_2)
	v_add_co_ci_u32_e32 v14, vcc_lo, s13, v14, vcc_lo
	s_waitcnt lgkmcnt(5)
	global_store_b32 v[13:14], v9, off
                                        ; implicit-def: $vgpr13_vgpr14
	v_cmpx_ge_u32_e64 v30, v16
	s_xor_b32 s0, exec_lo, s0
; %bb.88:
	v_xor_b32_e32 v13, 0xfffffcff, v0
	s_delay_alu instid0(VALU_DEP_1) | instskip(SKIP_1) | instid1(VALU_DEP_2)
	v_ashrrev_i32_e32 v14, 31, v13
	v_add_co_u32 v13, vcc_lo, v18, v13
	v_add_co_ci_u32_e32 v14, vcc_lo, v19, v14, vcc_lo
; %bb.89:
	s_and_not1_saveexec_b32 s0, s0
; %bb.90:
	v_add_co_u32 v13, vcc_lo, v15, v30
	v_add_co_ci_u32_e32 v14, vcc_lo, 0, v17, vcc_lo
; %bb.91:
	s_or_b32 exec_lo, exec_lo, s0
	s_delay_alu instid0(VALU_DEP_1) | instskip(SKIP_1) | instid1(VALU_DEP_1)
	v_lshlrev_b64 v[13:14], 2, v[13:14]
	s_mov_b32 s0, exec_lo
	v_add_co_u32 v13, vcc_lo, s12, v13
	s_delay_alu instid0(VALU_DEP_2)
	v_add_co_ci_u32_e32 v14, vcc_lo, s13, v14, vcc_lo
	global_store_b32 v[13:14], v10, off
                                        ; implicit-def: $vgpr13_vgpr14
	v_cmpx_ge_u32_e64 v29, v16
	s_xor_b32 s0, exec_lo, s0
; %bb.92:
	v_xor_b32_e32 v13, 0xfffffbff, v0
	s_delay_alu instid0(VALU_DEP_1) | instskip(SKIP_1) | instid1(VALU_DEP_2)
	v_ashrrev_i32_e32 v14, 31, v13
	v_add_co_u32 v13, vcc_lo, v18, v13
	v_add_co_ci_u32_e32 v14, vcc_lo, v19, v14, vcc_lo
; %bb.93:
	s_and_not1_saveexec_b32 s0, s0
; %bb.94:
	v_add_co_u32 v13, vcc_lo, v15, v29
	v_add_co_ci_u32_e32 v14, vcc_lo, 0, v17, vcc_lo
; %bb.95:
	s_or_b32 exec_lo, exec_lo, s0
	s_delay_alu instid0(VALU_DEP_1) | instskip(SKIP_1) | instid1(VALU_DEP_1)
	v_lshlrev_b64 v[13:14], 2, v[13:14]
	s_mov_b32 s0, exec_lo
	v_add_co_u32 v13, vcc_lo, s12, v13
	s_delay_alu instid0(VALU_DEP_2)
	v_add_co_ci_u32_e32 v14, vcc_lo, s13, v14, vcc_lo
	s_waitcnt lgkmcnt(4)
	global_store_b32 v[13:14], v7, off
                                        ; implicit-def: $vgpr13_vgpr14
	v_cmpx_ge_u32_e64 v28, v16
	s_xor_b32 s0, exec_lo, s0
; %bb.96:
	v_xor_b32_e32 v13, 0xfffffaff, v0
	s_delay_alu instid0(VALU_DEP_1) | instskip(SKIP_1) | instid1(VALU_DEP_2)
	v_ashrrev_i32_e32 v14, 31, v13
	v_add_co_u32 v13, vcc_lo, v18, v13
	v_add_co_ci_u32_e32 v14, vcc_lo, v19, v14, vcc_lo
; %bb.97:
	s_and_not1_saveexec_b32 s0, s0
; %bb.98:
	v_add_co_u32 v13, vcc_lo, v15, v28
	v_add_co_ci_u32_e32 v14, vcc_lo, 0, v17, vcc_lo
; %bb.99:
	s_or_b32 exec_lo, exec_lo, s0
	s_delay_alu instid0(VALU_DEP_1) | instskip(SKIP_1) | instid1(VALU_DEP_1)
	v_lshlrev_b64 v[13:14], 2, v[13:14]
	s_mov_b32 s0, exec_lo
	v_add_co_u32 v13, vcc_lo, s12, v13
	s_delay_alu instid0(VALU_DEP_2)
	v_add_co_ci_u32_e32 v14, vcc_lo, s13, v14, vcc_lo
	global_store_b32 v[13:14], v8, off
                                        ; implicit-def: $vgpr13_vgpr14
	v_cmpx_ge_u32_e64 v27, v16
	s_xor_b32 s0, exec_lo, s0
; %bb.100:
	v_xor_b32_e32 v13, 0xfffff9ff, v0
	s_delay_alu instid0(VALU_DEP_1) | instskip(SKIP_1) | instid1(VALU_DEP_2)
	v_ashrrev_i32_e32 v14, 31, v13
	v_add_co_u32 v13, vcc_lo, v18, v13
	v_add_co_ci_u32_e32 v14, vcc_lo, v19, v14, vcc_lo
; %bb.101:
	s_and_not1_saveexec_b32 s0, s0
; %bb.102:
	v_add_co_u32 v13, vcc_lo, v15, v27
	v_add_co_ci_u32_e32 v14, vcc_lo, 0, v17, vcc_lo
; %bb.103:
	s_or_b32 exec_lo, exec_lo, s0
	s_delay_alu instid0(VALU_DEP_1) | instskip(SKIP_1) | instid1(VALU_DEP_1)
	v_lshlrev_b64 v[13:14], 2, v[13:14]
	s_mov_b32 s0, exec_lo
	v_add_co_u32 v13, vcc_lo, s12, v13
	s_delay_alu instid0(VALU_DEP_2)
	v_add_co_ci_u32_e32 v14, vcc_lo, s13, v14, vcc_lo
	s_waitcnt lgkmcnt(3)
	global_store_b32 v[13:14], v5, off
                                        ; implicit-def: $vgpr13_vgpr14
	v_cmpx_ge_u32_e64 v26, v16
	s_xor_b32 s0, exec_lo, s0
; %bb.104:
	v_xor_b32_e32 v13, 0xfffff8ff, v0
	s_delay_alu instid0(VALU_DEP_1) | instskip(SKIP_1) | instid1(VALU_DEP_2)
	v_ashrrev_i32_e32 v14, 31, v13
	v_add_co_u32 v13, vcc_lo, v18, v13
	v_add_co_ci_u32_e32 v14, vcc_lo, v19, v14, vcc_lo
; %bb.105:
	s_and_not1_saveexec_b32 s0, s0
; %bb.106:
	v_add_co_u32 v13, vcc_lo, v15, v26
	v_add_co_ci_u32_e32 v14, vcc_lo, 0, v17, vcc_lo
; %bb.107:
	s_or_b32 exec_lo, exec_lo, s0
	s_delay_alu instid0(VALU_DEP_1) | instskip(SKIP_1) | instid1(VALU_DEP_1)
	v_lshlrev_b64 v[13:14], 2, v[13:14]
	s_mov_b32 s0, exec_lo
	v_add_co_u32 v13, vcc_lo, s12, v13
	s_delay_alu instid0(VALU_DEP_2)
	v_add_co_ci_u32_e32 v14, vcc_lo, s13, v14, vcc_lo
	global_store_b32 v[13:14], v6, off
                                        ; implicit-def: $vgpr13_vgpr14
	v_cmpx_ge_u32_e64 v25, v16
	s_xor_b32 s0, exec_lo, s0
; %bb.108:
	v_xor_b32_e32 v13, 0xfffff7ff, v0
	s_delay_alu instid0(VALU_DEP_1) | instskip(SKIP_1) | instid1(VALU_DEP_2)
	v_ashrrev_i32_e32 v14, 31, v13
	v_add_co_u32 v13, vcc_lo, v18, v13
	v_add_co_ci_u32_e32 v14, vcc_lo, v19, v14, vcc_lo
; %bb.109:
	s_and_not1_saveexec_b32 s0, s0
; %bb.110:
	v_add_co_u32 v13, vcc_lo, v15, v25
	v_add_co_ci_u32_e32 v14, vcc_lo, 0, v17, vcc_lo
; %bb.111:
	s_or_b32 exec_lo, exec_lo, s0
	s_delay_alu instid0(VALU_DEP_1) | instskip(SKIP_1) | instid1(VALU_DEP_1)
	v_lshlrev_b64 v[13:14], 2, v[13:14]
	s_mov_b32 s0, exec_lo
	v_add_co_u32 v13, vcc_lo, s12, v13
	s_delay_alu instid0(VALU_DEP_2)
	v_add_co_ci_u32_e32 v14, vcc_lo, s13, v14, vcc_lo
	s_waitcnt lgkmcnt(2)
	global_store_b32 v[13:14], v3, off
                                        ; implicit-def: $vgpr13_vgpr14
	v_cmpx_ge_u32_e64 v24, v16
	s_xor_b32 s0, exec_lo, s0
; %bb.112:
	v_xor_b32_e32 v13, 0xfffff6ff, v0
	s_delay_alu instid0(VALU_DEP_1) | instskip(SKIP_1) | instid1(VALU_DEP_2)
	v_ashrrev_i32_e32 v14, 31, v13
	v_add_co_u32 v13, vcc_lo, v18, v13
	v_add_co_ci_u32_e32 v14, vcc_lo, v19, v14, vcc_lo
; %bb.113:
	s_and_not1_saveexec_b32 s0, s0
; %bb.114:
	v_add_co_u32 v13, vcc_lo, v15, v24
	v_add_co_ci_u32_e32 v14, vcc_lo, 0, v17, vcc_lo
; %bb.115:
	s_or_b32 exec_lo, exec_lo, s0
	s_delay_alu instid0(VALU_DEP_1) | instskip(SKIP_1) | instid1(VALU_DEP_1)
	v_lshlrev_b64 v[13:14], 2, v[13:14]
	s_mov_b32 s0, exec_lo
	v_add_co_u32 v13, vcc_lo, s12, v13
	s_delay_alu instid0(VALU_DEP_2)
	v_add_co_ci_u32_e32 v14, vcc_lo, s13, v14, vcc_lo
	global_store_b32 v[13:14], v4, off
                                        ; implicit-def: $vgpr13_vgpr14
	v_cmpx_ge_u32_e64 v23, v16
	s_xor_b32 s0, exec_lo, s0
; %bb.116:
	v_xor_b32_e32 v13, 0xfffff5ff, v0
	s_delay_alu instid0(VALU_DEP_1) | instskip(SKIP_1) | instid1(VALU_DEP_2)
	v_ashrrev_i32_e32 v14, 31, v13
	v_add_co_u32 v13, vcc_lo, v18, v13
	v_add_co_ci_u32_e32 v14, vcc_lo, v19, v14, vcc_lo
; %bb.117:
	s_and_not1_saveexec_b32 s0, s0
; %bb.118:
	v_add_co_u32 v13, vcc_lo, v15, v23
	v_add_co_ci_u32_e32 v14, vcc_lo, 0, v17, vcc_lo
; %bb.119:
	s_or_b32 exec_lo, exec_lo, s0
	s_delay_alu instid0(VALU_DEP_1) | instskip(SKIP_1) | instid1(VALU_DEP_1)
	v_lshlrev_b64 v[13:14], 2, v[13:14]
	s_mov_b32 s0, exec_lo
	v_add_co_u32 v13, vcc_lo, s12, v13
	s_delay_alu instid0(VALU_DEP_2)
	v_add_co_ci_u32_e32 v14, vcc_lo, s13, v14, vcc_lo
	s_waitcnt lgkmcnt(1)
	global_store_b32 v[13:14], v1, off
                                        ; implicit-def: $vgpr13_vgpr14
	v_cmpx_ge_u32_e64 v22, v16
	s_xor_b32 s0, exec_lo, s0
; %bb.120:
	v_xor_b32_e32 v13, 0xfffff4ff, v0
	s_delay_alu instid0(VALU_DEP_1) | instskip(SKIP_1) | instid1(VALU_DEP_2)
	v_ashrrev_i32_e32 v14, 31, v13
	v_add_co_u32 v13, vcc_lo, v18, v13
	v_add_co_ci_u32_e32 v14, vcc_lo, v19, v14, vcc_lo
; %bb.121:
	s_and_not1_saveexec_b32 s0, s0
; %bb.122:
	v_add_co_u32 v13, vcc_lo, v15, v22
	v_add_co_ci_u32_e32 v14, vcc_lo, 0, v17, vcc_lo
; %bb.123:
	s_or_b32 exec_lo, exec_lo, s0
	s_delay_alu instid0(VALU_DEP_1) | instskip(SKIP_1) | instid1(VALU_DEP_1)
	v_lshlrev_b64 v[13:14], 2, v[13:14]
	s_mov_b32 s0, exec_lo
	v_add_co_u32 v13, vcc_lo, s12, v13
	s_delay_alu instid0(VALU_DEP_2)
	v_add_co_ci_u32_e32 v14, vcc_lo, s13, v14, vcc_lo
	global_store_b32 v[13:14], v2, off
                                        ; implicit-def: $vgpr13_vgpr14
	v_cmpx_ge_u32_e64 v21, v16
	s_xor_b32 s0, exec_lo, s0
; %bb.124:
	v_xor_b32_e32 v13, 0xfffff3ff, v0
	s_delay_alu instid0(VALU_DEP_1) | instskip(SKIP_1) | instid1(VALU_DEP_2)
	v_ashrrev_i32_e32 v14, 31, v13
	v_add_co_u32 v13, vcc_lo, v18, v13
	v_add_co_ci_u32_e32 v14, vcc_lo, v19, v14, vcc_lo
; %bb.125:
	s_and_not1_saveexec_b32 s0, s0
; %bb.126:
	v_add_co_u32 v13, vcc_lo, v15, v21
	v_add_co_ci_u32_e32 v14, vcc_lo, 0, v17, vcc_lo
; %bb.127:
	s_or_b32 exec_lo, exec_lo, s0
	s_mov_b32 s0, -1
.LBB288_128:
	s_delay_alu instid0(SALU_CYCLE_1)
	s_and_saveexec_b32 s1, s0
	s_cbranch_execz .LBB288_211
.LBB288_129:
	s_waitcnt lgkmcnt(1)
	v_lshlrev_b64 v[0:1], 2, v[13:14]
	s_delay_alu instid0(VALU_DEP_1) | instskip(NEXT) | instid1(VALU_DEP_2)
	v_add_co_u32 v0, vcc_lo, s12, v0
	v_add_co_ci_u32_e32 v1, vcc_lo, s13, v1, vcc_lo
	s_waitcnt lgkmcnt(0)
	global_store_b32 v[0:1], v20, off
	s_or_b32 exec_lo, exec_lo, s1
	s_and_b32 s0, s2, s10
	s_delay_alu instid0(SALU_CYCLE_1)
	s_and_saveexec_b32 s1, s0
	s_cbranch_execnz .LBB288_212
.LBB288_130:
	s_nop 0
	s_sendmsg sendmsg(MSG_DEALLOC_VGPRS)
	s_endpgm
.LBB288_131:
                                        ; implicit-def: $vgpr13_vgpr14
	s_cbranch_execz .LBB288_128
; %bb.132:
	s_mov_b32 s1, exec_lo
	v_cmpx_gt_u32_e64 s11, v0
	s_cbranch_execz .LBB288_168
; %bb.133:
	s_mov_b32 s3, exec_lo
                                        ; implicit-def: $vgpr13_vgpr14
	v_cmpx_ge_u32_e64 v0, v16
	s_xor_b32 s3, exec_lo, s3
; %bb.134:
	v_not_b32_e32 v13, v0
	s_delay_alu instid0(VALU_DEP_1) | instskip(SKIP_1) | instid1(VALU_DEP_2)
	v_ashrrev_i32_e32 v14, 31, v13
	v_add_co_u32 v13, vcc_lo, v18, v13
	v_add_co_ci_u32_e32 v14, vcc_lo, v19, v14, vcc_lo
; %bb.135:
	s_and_not1_saveexec_b32 s3, s3
; %bb.136:
	v_add_co_u32 v13, vcc_lo, v15, v0
	v_add_co_ci_u32_e32 v14, vcc_lo, 0, v17, vcc_lo
; %bb.137:
	s_or_b32 exec_lo, exec_lo, s3
	s_delay_alu instid0(VALU_DEP_1) | instskip(NEXT) | instid1(VALU_DEP_1)
	v_lshlrev_b64 v[13:14], 2, v[13:14]
	v_add_co_u32 v13, vcc_lo, s12, v13
	s_delay_alu instid0(VALU_DEP_2) | instskip(SKIP_3) | instid1(SALU_CYCLE_1)
	v_add_co_ci_u32_e32 v14, vcc_lo, s13, v14, vcc_lo
	s_waitcnt lgkmcnt(6)
	global_store_b32 v[13:14], v11, off
	s_or_b32 exec_lo, exec_lo, s1
	s_mov_b32 s1, exec_lo
	v_cmpx_gt_u32_e64 s11, v35
	s_cbranch_execnz .LBB288_169
.LBB288_138:
	s_or_b32 exec_lo, exec_lo, s1
	s_delay_alu instid0(SALU_CYCLE_1)
	s_mov_b32 s1, exec_lo
	v_cmpx_gt_u32_e64 s11, v31
	s_cbranch_execz .LBB288_174
.LBB288_139:
	s_mov_b32 s3, exec_lo
                                        ; implicit-def: $vgpr11_vgpr12
	v_cmpx_ge_u32_e64 v31, v16
	s_xor_b32 s3, exec_lo, s3
	s_cbranch_execz .LBB288_141
; %bb.140:
	s_waitcnt lgkmcnt(6)
	v_xor_b32_e32 v11, 0xfffffdff, v0
                                        ; implicit-def: $vgpr31
	s_delay_alu instid0(VALU_DEP_1) | instskip(SKIP_1) | instid1(VALU_DEP_2)
	v_ashrrev_i32_e32 v12, 31, v11
	v_add_co_u32 v11, vcc_lo, v18, v11
	v_add_co_ci_u32_e32 v12, vcc_lo, v19, v12, vcc_lo
.LBB288_141:
	s_and_not1_saveexec_b32 s3, s3
	s_cbranch_execz .LBB288_143
; %bb.142:
	s_waitcnt lgkmcnt(6)
	v_add_co_u32 v11, vcc_lo, v15, v31
	v_add_co_ci_u32_e32 v12, vcc_lo, 0, v17, vcc_lo
.LBB288_143:
	s_or_b32 exec_lo, exec_lo, s3
	s_waitcnt lgkmcnt(6)
	s_delay_alu instid0(VALU_DEP_1) | instskip(NEXT) | instid1(VALU_DEP_1)
	v_lshlrev_b64 v[11:12], 2, v[11:12]
	v_add_co_u32 v11, vcc_lo, s12, v11
	s_delay_alu instid0(VALU_DEP_2) | instskip(SKIP_3) | instid1(SALU_CYCLE_1)
	v_add_co_ci_u32_e32 v12, vcc_lo, s13, v12, vcc_lo
	s_waitcnt lgkmcnt(5)
	global_store_b32 v[11:12], v9, off
	s_or_b32 exec_lo, exec_lo, s1
	s_mov_b32 s1, exec_lo
	v_cmpx_gt_u32_e64 s11, v30
	s_cbranch_execnz .LBB288_175
.LBB288_144:
	s_or_b32 exec_lo, exec_lo, s1
	s_delay_alu instid0(SALU_CYCLE_1)
	s_mov_b32 s1, exec_lo
	v_cmpx_gt_u32_e64 s11, v29
	s_cbranch_execz .LBB288_180
.LBB288_145:
	s_mov_b32 s3, exec_lo
                                        ; implicit-def: $vgpr9_vgpr10
	v_cmpx_ge_u32_e64 v29, v16
	s_xor_b32 s3, exec_lo, s3
	s_cbranch_execz .LBB288_147
; %bb.146:
	s_waitcnt lgkmcnt(5)
	v_xor_b32_e32 v9, 0xfffffbff, v0
                                        ; implicit-def: $vgpr29
	s_delay_alu instid0(VALU_DEP_1) | instskip(SKIP_1) | instid1(VALU_DEP_2)
	v_ashrrev_i32_e32 v10, 31, v9
	v_add_co_u32 v9, vcc_lo, v18, v9
	v_add_co_ci_u32_e32 v10, vcc_lo, v19, v10, vcc_lo
.LBB288_147:
	s_and_not1_saveexec_b32 s3, s3
	s_cbranch_execz .LBB288_149
; %bb.148:
	s_waitcnt lgkmcnt(5)
	v_add_co_u32 v9, vcc_lo, v15, v29
	v_add_co_ci_u32_e32 v10, vcc_lo, 0, v17, vcc_lo
.LBB288_149:
	s_or_b32 exec_lo, exec_lo, s3
	s_waitcnt lgkmcnt(5)
	s_delay_alu instid0(VALU_DEP_1) | instskip(NEXT) | instid1(VALU_DEP_1)
	v_lshlrev_b64 v[9:10], 2, v[9:10]
	v_add_co_u32 v9, vcc_lo, s12, v9
	s_delay_alu instid0(VALU_DEP_2) | instskip(SKIP_3) | instid1(SALU_CYCLE_1)
	v_add_co_ci_u32_e32 v10, vcc_lo, s13, v10, vcc_lo
	s_waitcnt lgkmcnt(4)
	global_store_b32 v[9:10], v7, off
	s_or_b32 exec_lo, exec_lo, s1
	s_mov_b32 s1, exec_lo
	v_cmpx_gt_u32_e64 s11, v28
	s_cbranch_execnz .LBB288_181
.LBB288_150:
	s_or_b32 exec_lo, exec_lo, s1
	s_delay_alu instid0(SALU_CYCLE_1)
	s_mov_b32 s1, exec_lo
	v_cmpx_gt_u32_e64 s11, v27
	s_cbranch_execz .LBB288_186
.LBB288_151:
	s_mov_b32 s3, exec_lo
                                        ; implicit-def: $vgpr7_vgpr8
	v_cmpx_ge_u32_e64 v27, v16
	s_xor_b32 s3, exec_lo, s3
	s_cbranch_execz .LBB288_153
; %bb.152:
	s_waitcnt lgkmcnt(4)
	v_xor_b32_e32 v7, 0xfffff9ff, v0
                                        ; implicit-def: $vgpr27
	s_delay_alu instid0(VALU_DEP_1) | instskip(SKIP_1) | instid1(VALU_DEP_2)
	v_ashrrev_i32_e32 v8, 31, v7
	v_add_co_u32 v7, vcc_lo, v18, v7
	v_add_co_ci_u32_e32 v8, vcc_lo, v19, v8, vcc_lo
.LBB288_153:
	s_and_not1_saveexec_b32 s3, s3
	s_cbranch_execz .LBB288_155
; %bb.154:
	s_waitcnt lgkmcnt(4)
	v_add_co_u32 v7, vcc_lo, v15, v27
	v_add_co_ci_u32_e32 v8, vcc_lo, 0, v17, vcc_lo
.LBB288_155:
	s_or_b32 exec_lo, exec_lo, s3
	s_waitcnt lgkmcnt(4)
	s_delay_alu instid0(VALU_DEP_1) | instskip(NEXT) | instid1(VALU_DEP_1)
	v_lshlrev_b64 v[7:8], 2, v[7:8]
	v_add_co_u32 v7, vcc_lo, s12, v7
	s_delay_alu instid0(VALU_DEP_2) | instskip(SKIP_3) | instid1(SALU_CYCLE_1)
	v_add_co_ci_u32_e32 v8, vcc_lo, s13, v8, vcc_lo
	s_waitcnt lgkmcnt(3)
	global_store_b32 v[7:8], v5, off
	s_or_b32 exec_lo, exec_lo, s1
	s_mov_b32 s1, exec_lo
	v_cmpx_gt_u32_e64 s11, v26
	s_cbranch_execnz .LBB288_187
.LBB288_156:
	s_or_b32 exec_lo, exec_lo, s1
	s_delay_alu instid0(SALU_CYCLE_1)
	s_mov_b32 s1, exec_lo
	v_cmpx_gt_u32_e64 s11, v25
	s_cbranch_execz .LBB288_192
.LBB288_157:
	s_mov_b32 s3, exec_lo
                                        ; implicit-def: $vgpr5_vgpr6
	v_cmpx_ge_u32_e64 v25, v16
	s_xor_b32 s3, exec_lo, s3
	s_cbranch_execz .LBB288_159
; %bb.158:
	s_waitcnt lgkmcnt(3)
	v_xor_b32_e32 v5, 0xfffff7ff, v0
                                        ; implicit-def: $vgpr25
	s_delay_alu instid0(VALU_DEP_1) | instskip(SKIP_1) | instid1(VALU_DEP_2)
	v_ashrrev_i32_e32 v6, 31, v5
	v_add_co_u32 v5, vcc_lo, v18, v5
	v_add_co_ci_u32_e32 v6, vcc_lo, v19, v6, vcc_lo
.LBB288_159:
	s_and_not1_saveexec_b32 s3, s3
	s_cbranch_execz .LBB288_161
; %bb.160:
	s_waitcnt lgkmcnt(3)
	v_add_co_u32 v5, vcc_lo, v15, v25
	v_add_co_ci_u32_e32 v6, vcc_lo, 0, v17, vcc_lo
.LBB288_161:
	s_or_b32 exec_lo, exec_lo, s3
	s_waitcnt lgkmcnt(3)
	s_delay_alu instid0(VALU_DEP_1) | instskip(NEXT) | instid1(VALU_DEP_1)
	v_lshlrev_b64 v[5:6], 2, v[5:6]
	v_add_co_u32 v5, vcc_lo, s12, v5
	s_delay_alu instid0(VALU_DEP_2) | instskip(SKIP_3) | instid1(SALU_CYCLE_1)
	v_add_co_ci_u32_e32 v6, vcc_lo, s13, v6, vcc_lo
	s_waitcnt lgkmcnt(2)
	global_store_b32 v[5:6], v3, off
	s_or_b32 exec_lo, exec_lo, s1
	s_mov_b32 s1, exec_lo
	v_cmpx_gt_u32_e64 s11, v24
	s_cbranch_execnz .LBB288_193
.LBB288_162:
	s_or_b32 exec_lo, exec_lo, s1
	s_delay_alu instid0(SALU_CYCLE_1)
	s_mov_b32 s1, exec_lo
	v_cmpx_gt_u32_e64 s11, v23
	s_cbranch_execz .LBB288_198
.LBB288_163:
	s_mov_b32 s3, exec_lo
                                        ; implicit-def: $vgpr3_vgpr4
	v_cmpx_ge_u32_e64 v23, v16
	s_xor_b32 s3, exec_lo, s3
	s_cbranch_execz .LBB288_165
; %bb.164:
	s_waitcnt lgkmcnt(2)
	v_xor_b32_e32 v3, 0xfffff5ff, v0
                                        ; implicit-def: $vgpr23
	s_delay_alu instid0(VALU_DEP_1) | instskip(SKIP_1) | instid1(VALU_DEP_2)
	v_ashrrev_i32_e32 v4, 31, v3
	v_add_co_u32 v3, vcc_lo, v18, v3
	v_add_co_ci_u32_e32 v4, vcc_lo, v19, v4, vcc_lo
.LBB288_165:
	s_and_not1_saveexec_b32 s3, s3
	s_cbranch_execz .LBB288_167
; %bb.166:
	s_waitcnt lgkmcnt(2)
	v_add_co_u32 v3, vcc_lo, v15, v23
	v_add_co_ci_u32_e32 v4, vcc_lo, 0, v17, vcc_lo
.LBB288_167:
	s_or_b32 exec_lo, exec_lo, s3
	s_waitcnt lgkmcnt(2)
	s_delay_alu instid0(VALU_DEP_1) | instskip(NEXT) | instid1(VALU_DEP_1)
	v_lshlrev_b64 v[3:4], 2, v[3:4]
	v_add_co_u32 v3, vcc_lo, s12, v3
	s_delay_alu instid0(VALU_DEP_2) | instskip(SKIP_3) | instid1(SALU_CYCLE_1)
	v_add_co_ci_u32_e32 v4, vcc_lo, s13, v4, vcc_lo
	s_waitcnt lgkmcnt(1)
	global_store_b32 v[3:4], v1, off
	s_or_b32 exec_lo, exec_lo, s1
	s_mov_b32 s1, exec_lo
	v_cmpx_gt_u32_e64 s11, v22
	s_cbranch_execz .LBB288_204
	s_branch .LBB288_199
.LBB288_168:
	s_or_b32 exec_lo, exec_lo, s1
	s_delay_alu instid0(SALU_CYCLE_1)
	s_mov_b32 s1, exec_lo
	v_cmpx_gt_u32_e64 s11, v35
	s_cbranch_execz .LBB288_138
.LBB288_169:
	s_mov_b32 s3, exec_lo
                                        ; implicit-def: $vgpr13_vgpr14
	v_cmpx_ge_u32_e64 v35, v16
	s_xor_b32 s3, exec_lo, s3
	s_cbranch_execz .LBB288_171
; %bb.170:
	s_waitcnt lgkmcnt(6)
	v_xor_b32_e32 v11, 0xfffffeff, v0
                                        ; implicit-def: $vgpr35
	s_delay_alu instid0(VALU_DEP_1) | instskip(SKIP_1) | instid1(VALU_DEP_2)
	v_ashrrev_i32_e32 v14, 31, v11
	v_add_co_u32 v13, vcc_lo, v18, v11
	v_add_co_ci_u32_e32 v14, vcc_lo, v19, v14, vcc_lo
.LBB288_171:
	s_and_not1_saveexec_b32 s3, s3
; %bb.172:
	v_add_co_u32 v13, vcc_lo, v15, v35
	v_add_co_ci_u32_e32 v14, vcc_lo, 0, v17, vcc_lo
; %bb.173:
	s_or_b32 exec_lo, exec_lo, s3
	s_delay_alu instid0(VALU_DEP_1) | instskip(NEXT) | instid1(VALU_DEP_1)
	v_lshlrev_b64 v[13:14], 2, v[13:14]
	v_add_co_u32 v13, vcc_lo, s12, v13
	s_delay_alu instid0(VALU_DEP_2) | instskip(SKIP_3) | instid1(SALU_CYCLE_1)
	v_add_co_ci_u32_e32 v14, vcc_lo, s13, v14, vcc_lo
	s_waitcnt lgkmcnt(6)
	global_store_b32 v[13:14], v12, off
	s_or_b32 exec_lo, exec_lo, s1
	s_mov_b32 s1, exec_lo
	v_cmpx_gt_u32_e64 s11, v31
	s_cbranch_execnz .LBB288_139
.LBB288_174:
	s_or_b32 exec_lo, exec_lo, s1
	s_delay_alu instid0(SALU_CYCLE_1)
	s_mov_b32 s1, exec_lo
	v_cmpx_gt_u32_e64 s11, v30
	s_cbranch_execz .LBB288_144
.LBB288_175:
	s_mov_b32 s3, exec_lo
                                        ; implicit-def: $vgpr11_vgpr12
	v_cmpx_ge_u32_e64 v30, v16
	s_xor_b32 s3, exec_lo, s3
	s_cbranch_execz .LBB288_177
; %bb.176:
	s_waitcnt lgkmcnt(5)
	v_xor_b32_e32 v9, 0xfffffcff, v0
                                        ; implicit-def: $vgpr30
	s_delay_alu instid0(VALU_DEP_1) | instskip(SKIP_1) | instid1(VALU_DEP_2)
	v_ashrrev_i32_e32 v12, 31, v9
	v_add_co_u32 v11, vcc_lo, v18, v9
	v_add_co_ci_u32_e32 v12, vcc_lo, v19, v12, vcc_lo
.LBB288_177:
	s_and_not1_saveexec_b32 s3, s3
	s_cbranch_execz .LBB288_179
; %bb.178:
	s_waitcnt lgkmcnt(6)
	v_add_co_u32 v11, vcc_lo, v15, v30
	v_add_co_ci_u32_e32 v12, vcc_lo, 0, v17, vcc_lo
.LBB288_179:
	s_or_b32 exec_lo, exec_lo, s3
	s_waitcnt lgkmcnt(6)
	s_delay_alu instid0(VALU_DEP_1) | instskip(NEXT) | instid1(VALU_DEP_1)
	v_lshlrev_b64 v[11:12], 2, v[11:12]
	v_add_co_u32 v11, vcc_lo, s12, v11
	s_delay_alu instid0(VALU_DEP_2) | instskip(SKIP_3) | instid1(SALU_CYCLE_1)
	v_add_co_ci_u32_e32 v12, vcc_lo, s13, v12, vcc_lo
	s_waitcnt lgkmcnt(5)
	global_store_b32 v[11:12], v10, off
	s_or_b32 exec_lo, exec_lo, s1
	s_mov_b32 s1, exec_lo
	v_cmpx_gt_u32_e64 s11, v29
	s_cbranch_execnz .LBB288_145
.LBB288_180:
	s_or_b32 exec_lo, exec_lo, s1
	s_delay_alu instid0(SALU_CYCLE_1)
	s_mov_b32 s1, exec_lo
	v_cmpx_gt_u32_e64 s11, v28
	s_cbranch_execz .LBB288_150
.LBB288_181:
	s_mov_b32 s3, exec_lo
                                        ; implicit-def: $vgpr9_vgpr10
	v_cmpx_ge_u32_e64 v28, v16
	s_xor_b32 s3, exec_lo, s3
	s_cbranch_execz .LBB288_183
; %bb.182:
	s_waitcnt lgkmcnt(4)
	v_xor_b32_e32 v7, 0xfffffaff, v0
                                        ; implicit-def: $vgpr28
	s_delay_alu instid0(VALU_DEP_1) | instskip(SKIP_1) | instid1(VALU_DEP_2)
	v_ashrrev_i32_e32 v10, 31, v7
	v_add_co_u32 v9, vcc_lo, v18, v7
	v_add_co_ci_u32_e32 v10, vcc_lo, v19, v10, vcc_lo
.LBB288_183:
	s_and_not1_saveexec_b32 s3, s3
	s_cbranch_execz .LBB288_185
; %bb.184:
	s_waitcnt lgkmcnt(5)
	v_add_co_u32 v9, vcc_lo, v15, v28
	v_add_co_ci_u32_e32 v10, vcc_lo, 0, v17, vcc_lo
.LBB288_185:
	s_or_b32 exec_lo, exec_lo, s3
	s_waitcnt lgkmcnt(5)
	s_delay_alu instid0(VALU_DEP_1) | instskip(NEXT) | instid1(VALU_DEP_1)
	v_lshlrev_b64 v[9:10], 2, v[9:10]
	v_add_co_u32 v9, vcc_lo, s12, v9
	s_delay_alu instid0(VALU_DEP_2) | instskip(SKIP_3) | instid1(SALU_CYCLE_1)
	v_add_co_ci_u32_e32 v10, vcc_lo, s13, v10, vcc_lo
	s_waitcnt lgkmcnt(4)
	global_store_b32 v[9:10], v8, off
	s_or_b32 exec_lo, exec_lo, s1
	s_mov_b32 s1, exec_lo
	v_cmpx_gt_u32_e64 s11, v27
	s_cbranch_execnz .LBB288_151
.LBB288_186:
	s_or_b32 exec_lo, exec_lo, s1
	s_delay_alu instid0(SALU_CYCLE_1)
	s_mov_b32 s1, exec_lo
	v_cmpx_gt_u32_e64 s11, v26
	s_cbranch_execz .LBB288_156
.LBB288_187:
	s_mov_b32 s3, exec_lo
                                        ; implicit-def: $vgpr7_vgpr8
	v_cmpx_ge_u32_e64 v26, v16
	s_xor_b32 s3, exec_lo, s3
	s_cbranch_execz .LBB288_189
; %bb.188:
	s_waitcnt lgkmcnt(3)
	v_xor_b32_e32 v5, 0xfffff8ff, v0
                                        ; implicit-def: $vgpr26
	s_delay_alu instid0(VALU_DEP_1) | instskip(SKIP_1) | instid1(VALU_DEP_2)
	v_ashrrev_i32_e32 v8, 31, v5
	v_add_co_u32 v7, vcc_lo, v18, v5
	v_add_co_ci_u32_e32 v8, vcc_lo, v19, v8, vcc_lo
.LBB288_189:
	s_and_not1_saveexec_b32 s3, s3
	s_cbranch_execz .LBB288_191
; %bb.190:
	s_waitcnt lgkmcnt(4)
	v_add_co_u32 v7, vcc_lo, v15, v26
	v_add_co_ci_u32_e32 v8, vcc_lo, 0, v17, vcc_lo
.LBB288_191:
	s_or_b32 exec_lo, exec_lo, s3
	s_waitcnt lgkmcnt(4)
	s_delay_alu instid0(VALU_DEP_1) | instskip(NEXT) | instid1(VALU_DEP_1)
	v_lshlrev_b64 v[7:8], 2, v[7:8]
	v_add_co_u32 v7, vcc_lo, s12, v7
	s_delay_alu instid0(VALU_DEP_2) | instskip(SKIP_3) | instid1(SALU_CYCLE_1)
	v_add_co_ci_u32_e32 v8, vcc_lo, s13, v8, vcc_lo
	s_waitcnt lgkmcnt(3)
	global_store_b32 v[7:8], v6, off
	s_or_b32 exec_lo, exec_lo, s1
	s_mov_b32 s1, exec_lo
	v_cmpx_gt_u32_e64 s11, v25
	s_cbranch_execnz .LBB288_157
.LBB288_192:
	s_or_b32 exec_lo, exec_lo, s1
	s_delay_alu instid0(SALU_CYCLE_1)
	s_mov_b32 s1, exec_lo
	v_cmpx_gt_u32_e64 s11, v24
	s_cbranch_execz .LBB288_162
.LBB288_193:
	s_mov_b32 s3, exec_lo
                                        ; implicit-def: $vgpr5_vgpr6
	v_cmpx_ge_u32_e64 v24, v16
	s_xor_b32 s3, exec_lo, s3
	s_cbranch_execz .LBB288_195
; %bb.194:
	s_waitcnt lgkmcnt(2)
	v_xor_b32_e32 v3, 0xfffff6ff, v0
                                        ; implicit-def: $vgpr24
	s_delay_alu instid0(VALU_DEP_1) | instskip(SKIP_1) | instid1(VALU_DEP_2)
	v_ashrrev_i32_e32 v6, 31, v3
	v_add_co_u32 v5, vcc_lo, v18, v3
	v_add_co_ci_u32_e32 v6, vcc_lo, v19, v6, vcc_lo
.LBB288_195:
	s_and_not1_saveexec_b32 s3, s3
	s_cbranch_execz .LBB288_197
; %bb.196:
	s_waitcnt lgkmcnt(3)
	v_add_co_u32 v5, vcc_lo, v15, v24
	v_add_co_ci_u32_e32 v6, vcc_lo, 0, v17, vcc_lo
.LBB288_197:
	s_or_b32 exec_lo, exec_lo, s3
	s_waitcnt lgkmcnt(3)
	s_delay_alu instid0(VALU_DEP_1) | instskip(NEXT) | instid1(VALU_DEP_1)
	v_lshlrev_b64 v[5:6], 2, v[5:6]
	v_add_co_u32 v5, vcc_lo, s12, v5
	s_delay_alu instid0(VALU_DEP_2) | instskip(SKIP_3) | instid1(SALU_CYCLE_1)
	v_add_co_ci_u32_e32 v6, vcc_lo, s13, v6, vcc_lo
	s_waitcnt lgkmcnt(2)
	global_store_b32 v[5:6], v4, off
	s_or_b32 exec_lo, exec_lo, s1
	s_mov_b32 s1, exec_lo
	v_cmpx_gt_u32_e64 s11, v23
	s_cbranch_execnz .LBB288_163
.LBB288_198:
	s_or_b32 exec_lo, exec_lo, s1
	s_delay_alu instid0(SALU_CYCLE_1)
	s_mov_b32 s1, exec_lo
	v_cmpx_gt_u32_e64 s11, v22
	s_cbranch_execz .LBB288_204
.LBB288_199:
	s_mov_b32 s3, exec_lo
                                        ; implicit-def: $vgpr3_vgpr4
	v_cmpx_ge_u32_e64 v22, v16
	s_xor_b32 s3, exec_lo, s3
	s_cbranch_execz .LBB288_201
; %bb.200:
	s_waitcnt lgkmcnt(1)
	v_xor_b32_e32 v1, 0xfffff4ff, v0
                                        ; implicit-def: $vgpr22
	s_delay_alu instid0(VALU_DEP_1) | instskip(SKIP_1) | instid1(VALU_DEP_2)
	v_ashrrev_i32_e32 v4, 31, v1
	v_add_co_u32 v3, vcc_lo, v18, v1
	v_add_co_ci_u32_e32 v4, vcc_lo, v19, v4, vcc_lo
.LBB288_201:
	s_and_not1_saveexec_b32 s3, s3
	s_cbranch_execz .LBB288_203
; %bb.202:
	s_waitcnt lgkmcnt(2)
	v_add_co_u32 v3, vcc_lo, v15, v22
	v_add_co_ci_u32_e32 v4, vcc_lo, 0, v17, vcc_lo
.LBB288_203:
	s_or_b32 exec_lo, exec_lo, s3
	s_waitcnt lgkmcnt(2)
	s_delay_alu instid0(VALU_DEP_1) | instskip(NEXT) | instid1(VALU_DEP_1)
	v_lshlrev_b64 v[3:4], 2, v[3:4]
	v_add_co_u32 v3, vcc_lo, s12, v3
	s_delay_alu instid0(VALU_DEP_2)
	v_add_co_ci_u32_e32 v4, vcc_lo, s13, v4, vcc_lo
	s_waitcnt lgkmcnt(1)
	global_store_b32 v[3:4], v2, off
.LBB288_204:
	s_or_b32 exec_lo, exec_lo, s1
	s_delay_alu instid0(SALU_CYCLE_1)
	s_mov_b32 s1, exec_lo
                                        ; implicit-def: $vgpr13_vgpr14
	v_cmpx_gt_u32_e64 s11, v21
	s_cbranch_execz .LBB288_210
; %bb.205:
	s_mov_b32 s3, exec_lo
                                        ; implicit-def: $vgpr13_vgpr14
	v_cmpx_ge_u32_e64 v21, v16
	s_xor_b32 s3, exec_lo, s3
	s_cbranch_execz .LBB288_207
; %bb.206:
	v_xor_b32_e32 v0, 0xfffff3ff, v0
                                        ; implicit-def: $vgpr21
	s_waitcnt lgkmcnt(1)
	s_delay_alu instid0(VALU_DEP_1) | instskip(SKIP_1) | instid1(VALU_DEP_2)
	v_ashrrev_i32_e32 v1, 31, v0
	v_add_co_u32 v13, vcc_lo, v18, v0
	v_add_co_ci_u32_e32 v14, vcc_lo, v19, v1, vcc_lo
.LBB288_207:
	s_and_not1_saveexec_b32 s3, s3
; %bb.208:
	v_add_co_u32 v13, vcc_lo, v15, v21
	v_add_co_ci_u32_e32 v14, vcc_lo, 0, v17, vcc_lo
; %bb.209:
	s_or_b32 exec_lo, exec_lo, s3
	s_delay_alu instid0(SALU_CYCLE_1)
	s_or_b32 s0, s0, exec_lo
.LBB288_210:
	s_or_b32 exec_lo, exec_lo, s1
	s_and_saveexec_b32 s1, s0
	s_cbranch_execnz .LBB288_129
.LBB288_211:
	s_or_b32 exec_lo, exec_lo, s1
	s_and_b32 s0, s2, s10
	s_delay_alu instid0(SALU_CYCLE_1)
	s_and_saveexec_b32 s1, s0
	s_cbranch_execz .LBB288_130
.LBB288_212:
	v_add_co_u32 v0, vcc_lo, v15, v16
	s_waitcnt lgkmcnt(1)
	v_mov_b32_e32 v2, 0
	v_add_co_ci_u32_e32 v1, vcc_lo, 0, v17, vcc_lo
	global_store_b64 v2, v[0:1], s[8:9]
	s_nop 0
	s_sendmsg sendmsg(MSG_DEALLOC_VGPRS)
	s_endpgm
	.section	.rodata,"a",@progbits
	.p2align	6, 0x0
	.amdhsa_kernel _ZN7rocprim17ROCPRIM_400000_NS6detail17trampoline_kernelINS0_13select_configILj256ELj13ELNS0_17block_load_methodE3ELS4_3ELS4_3ELNS0_20block_scan_algorithmE0ELj4294967295EEENS1_25partition_config_selectorILNS1_17partition_subalgoE3EjNS0_10empty_typeEbEEZZNS1_14partition_implILS8_3ELb0ES6_jNS0_17counting_iteratorIjlEEPS9_SE_NS0_5tupleIJPjSE_EEENSF_IJSE_SE_EEES9_SG_JZNS1_25segmented_radix_sort_implINS0_14default_configELb1EPKaPaPKlPlN2at6native12_GLOBAL__N_18offset_tEEE10hipError_tPvRmT1_PNSt15iterator_traitsISY_E10value_typeET2_T3_PNSZ_IS14_E10value_typeET4_jRbjT5_S1A_jjP12ihipStream_tbEUljE_EEESV_SW_SX_S14_S18_S1A_T6_T7_T9_mT8_S1C_bDpT10_ENKUlT_T0_E_clISt17integral_constantIbLb0EES1O_IbLb1EEEEDaS1K_S1L_EUlS1K_E_NS1_11comp_targetILNS1_3genE9ELNS1_11target_archE1100ELNS1_3gpuE3ELNS1_3repE0EEENS1_30default_config_static_selectorELNS0_4arch9wavefront6targetE0EEEvSY_
		.amdhsa_group_segment_fixed_size 13324
		.amdhsa_private_segment_fixed_size 0
		.amdhsa_kernarg_size 152
		.amdhsa_user_sgpr_count 15
		.amdhsa_user_sgpr_dispatch_ptr 0
		.amdhsa_user_sgpr_queue_ptr 0
		.amdhsa_user_sgpr_kernarg_segment_ptr 1
		.amdhsa_user_sgpr_dispatch_id 0
		.amdhsa_user_sgpr_private_segment_size 0
		.amdhsa_wavefront_size32 1
		.amdhsa_uses_dynamic_stack 0
		.amdhsa_enable_private_segment 0
		.amdhsa_system_sgpr_workgroup_id_x 1
		.amdhsa_system_sgpr_workgroup_id_y 0
		.amdhsa_system_sgpr_workgroup_id_z 0
		.amdhsa_system_sgpr_workgroup_info 0
		.amdhsa_system_vgpr_workitem_id 0
		.amdhsa_next_free_vgpr 60
		.amdhsa_next_free_sgpr 26
		.amdhsa_reserve_vcc 1
		.amdhsa_float_round_mode_32 0
		.amdhsa_float_round_mode_16_64 0
		.amdhsa_float_denorm_mode_32 3
		.amdhsa_float_denorm_mode_16_64 3
		.amdhsa_dx10_clamp 1
		.amdhsa_ieee_mode 1
		.amdhsa_fp16_overflow 0
		.amdhsa_workgroup_processor_mode 1
		.amdhsa_memory_ordered 1
		.amdhsa_forward_progress 0
		.amdhsa_shared_vgpr_count 0
		.amdhsa_exception_fp_ieee_invalid_op 0
		.amdhsa_exception_fp_denorm_src 0
		.amdhsa_exception_fp_ieee_div_zero 0
		.amdhsa_exception_fp_ieee_overflow 0
		.amdhsa_exception_fp_ieee_underflow 0
		.amdhsa_exception_fp_ieee_inexact 0
		.amdhsa_exception_int_div_zero 0
	.end_amdhsa_kernel
	.section	.text._ZN7rocprim17ROCPRIM_400000_NS6detail17trampoline_kernelINS0_13select_configILj256ELj13ELNS0_17block_load_methodE3ELS4_3ELS4_3ELNS0_20block_scan_algorithmE0ELj4294967295EEENS1_25partition_config_selectorILNS1_17partition_subalgoE3EjNS0_10empty_typeEbEEZZNS1_14partition_implILS8_3ELb0ES6_jNS0_17counting_iteratorIjlEEPS9_SE_NS0_5tupleIJPjSE_EEENSF_IJSE_SE_EEES9_SG_JZNS1_25segmented_radix_sort_implINS0_14default_configELb1EPKaPaPKlPlN2at6native12_GLOBAL__N_18offset_tEEE10hipError_tPvRmT1_PNSt15iterator_traitsISY_E10value_typeET2_T3_PNSZ_IS14_E10value_typeET4_jRbjT5_S1A_jjP12ihipStream_tbEUljE_EEESV_SW_SX_S14_S18_S1A_T6_T7_T9_mT8_S1C_bDpT10_ENKUlT_T0_E_clISt17integral_constantIbLb0EES1O_IbLb1EEEEDaS1K_S1L_EUlS1K_E_NS1_11comp_targetILNS1_3genE9ELNS1_11target_archE1100ELNS1_3gpuE3ELNS1_3repE0EEENS1_30default_config_static_selectorELNS0_4arch9wavefront6targetE0EEEvSY_,"axG",@progbits,_ZN7rocprim17ROCPRIM_400000_NS6detail17trampoline_kernelINS0_13select_configILj256ELj13ELNS0_17block_load_methodE3ELS4_3ELS4_3ELNS0_20block_scan_algorithmE0ELj4294967295EEENS1_25partition_config_selectorILNS1_17partition_subalgoE3EjNS0_10empty_typeEbEEZZNS1_14partition_implILS8_3ELb0ES6_jNS0_17counting_iteratorIjlEEPS9_SE_NS0_5tupleIJPjSE_EEENSF_IJSE_SE_EEES9_SG_JZNS1_25segmented_radix_sort_implINS0_14default_configELb1EPKaPaPKlPlN2at6native12_GLOBAL__N_18offset_tEEE10hipError_tPvRmT1_PNSt15iterator_traitsISY_E10value_typeET2_T3_PNSZ_IS14_E10value_typeET4_jRbjT5_S1A_jjP12ihipStream_tbEUljE_EEESV_SW_SX_S14_S18_S1A_T6_T7_T9_mT8_S1C_bDpT10_ENKUlT_T0_E_clISt17integral_constantIbLb0EES1O_IbLb1EEEEDaS1K_S1L_EUlS1K_E_NS1_11comp_targetILNS1_3genE9ELNS1_11target_archE1100ELNS1_3gpuE3ELNS1_3repE0EEENS1_30default_config_static_selectorELNS0_4arch9wavefront6targetE0EEEvSY_,comdat
.Lfunc_end288:
	.size	_ZN7rocprim17ROCPRIM_400000_NS6detail17trampoline_kernelINS0_13select_configILj256ELj13ELNS0_17block_load_methodE3ELS4_3ELS4_3ELNS0_20block_scan_algorithmE0ELj4294967295EEENS1_25partition_config_selectorILNS1_17partition_subalgoE3EjNS0_10empty_typeEbEEZZNS1_14partition_implILS8_3ELb0ES6_jNS0_17counting_iteratorIjlEEPS9_SE_NS0_5tupleIJPjSE_EEENSF_IJSE_SE_EEES9_SG_JZNS1_25segmented_radix_sort_implINS0_14default_configELb1EPKaPaPKlPlN2at6native12_GLOBAL__N_18offset_tEEE10hipError_tPvRmT1_PNSt15iterator_traitsISY_E10value_typeET2_T3_PNSZ_IS14_E10value_typeET4_jRbjT5_S1A_jjP12ihipStream_tbEUljE_EEESV_SW_SX_S14_S18_S1A_T6_T7_T9_mT8_S1C_bDpT10_ENKUlT_T0_E_clISt17integral_constantIbLb0EES1O_IbLb1EEEEDaS1K_S1L_EUlS1K_E_NS1_11comp_targetILNS1_3genE9ELNS1_11target_archE1100ELNS1_3gpuE3ELNS1_3repE0EEENS1_30default_config_static_selectorELNS0_4arch9wavefront6targetE0EEEvSY_, .Lfunc_end288-_ZN7rocprim17ROCPRIM_400000_NS6detail17trampoline_kernelINS0_13select_configILj256ELj13ELNS0_17block_load_methodE3ELS4_3ELS4_3ELNS0_20block_scan_algorithmE0ELj4294967295EEENS1_25partition_config_selectorILNS1_17partition_subalgoE3EjNS0_10empty_typeEbEEZZNS1_14partition_implILS8_3ELb0ES6_jNS0_17counting_iteratorIjlEEPS9_SE_NS0_5tupleIJPjSE_EEENSF_IJSE_SE_EEES9_SG_JZNS1_25segmented_radix_sort_implINS0_14default_configELb1EPKaPaPKlPlN2at6native12_GLOBAL__N_18offset_tEEE10hipError_tPvRmT1_PNSt15iterator_traitsISY_E10value_typeET2_T3_PNSZ_IS14_E10value_typeET4_jRbjT5_S1A_jjP12ihipStream_tbEUljE_EEESV_SW_SX_S14_S18_S1A_T6_T7_T9_mT8_S1C_bDpT10_ENKUlT_T0_E_clISt17integral_constantIbLb0EES1O_IbLb1EEEEDaS1K_S1L_EUlS1K_E_NS1_11comp_targetILNS1_3genE9ELNS1_11target_archE1100ELNS1_3gpuE3ELNS1_3repE0EEENS1_30default_config_static_selectorELNS0_4arch9wavefront6targetE0EEEvSY_
                                        ; -- End function
	.section	.AMDGPU.csdata,"",@progbits
; Kernel info:
; codeLenInByte = 9040
; NumSgprs: 28
; NumVgprs: 60
; ScratchSize: 0
; MemoryBound: 0
; FloatMode: 240
; IeeeMode: 1
; LDSByteSize: 13324 bytes/workgroup (compile time only)
; SGPRBlocks: 3
; VGPRBlocks: 7
; NumSGPRsForWavesPerEU: 28
; NumVGPRsForWavesPerEU: 60
; Occupancy: 16
; WaveLimiterHint : 0
; COMPUTE_PGM_RSRC2:SCRATCH_EN: 0
; COMPUTE_PGM_RSRC2:USER_SGPR: 15
; COMPUTE_PGM_RSRC2:TRAP_HANDLER: 0
; COMPUTE_PGM_RSRC2:TGID_X_EN: 1
; COMPUTE_PGM_RSRC2:TGID_Y_EN: 0
; COMPUTE_PGM_RSRC2:TGID_Z_EN: 0
; COMPUTE_PGM_RSRC2:TIDIG_COMP_CNT: 0
	.section	.text._ZN7rocprim17ROCPRIM_400000_NS6detail17trampoline_kernelINS0_13select_configILj256ELj13ELNS0_17block_load_methodE3ELS4_3ELS4_3ELNS0_20block_scan_algorithmE0ELj4294967295EEENS1_25partition_config_selectorILNS1_17partition_subalgoE3EjNS0_10empty_typeEbEEZZNS1_14partition_implILS8_3ELb0ES6_jNS0_17counting_iteratorIjlEEPS9_SE_NS0_5tupleIJPjSE_EEENSF_IJSE_SE_EEES9_SG_JZNS1_25segmented_radix_sort_implINS0_14default_configELb1EPKaPaPKlPlN2at6native12_GLOBAL__N_18offset_tEEE10hipError_tPvRmT1_PNSt15iterator_traitsISY_E10value_typeET2_T3_PNSZ_IS14_E10value_typeET4_jRbjT5_S1A_jjP12ihipStream_tbEUljE_EEESV_SW_SX_S14_S18_S1A_T6_T7_T9_mT8_S1C_bDpT10_ENKUlT_T0_E_clISt17integral_constantIbLb0EES1O_IbLb1EEEEDaS1K_S1L_EUlS1K_E_NS1_11comp_targetILNS1_3genE8ELNS1_11target_archE1030ELNS1_3gpuE2ELNS1_3repE0EEENS1_30default_config_static_selectorELNS0_4arch9wavefront6targetE0EEEvSY_,"axG",@progbits,_ZN7rocprim17ROCPRIM_400000_NS6detail17trampoline_kernelINS0_13select_configILj256ELj13ELNS0_17block_load_methodE3ELS4_3ELS4_3ELNS0_20block_scan_algorithmE0ELj4294967295EEENS1_25partition_config_selectorILNS1_17partition_subalgoE3EjNS0_10empty_typeEbEEZZNS1_14partition_implILS8_3ELb0ES6_jNS0_17counting_iteratorIjlEEPS9_SE_NS0_5tupleIJPjSE_EEENSF_IJSE_SE_EEES9_SG_JZNS1_25segmented_radix_sort_implINS0_14default_configELb1EPKaPaPKlPlN2at6native12_GLOBAL__N_18offset_tEEE10hipError_tPvRmT1_PNSt15iterator_traitsISY_E10value_typeET2_T3_PNSZ_IS14_E10value_typeET4_jRbjT5_S1A_jjP12ihipStream_tbEUljE_EEESV_SW_SX_S14_S18_S1A_T6_T7_T9_mT8_S1C_bDpT10_ENKUlT_T0_E_clISt17integral_constantIbLb0EES1O_IbLb1EEEEDaS1K_S1L_EUlS1K_E_NS1_11comp_targetILNS1_3genE8ELNS1_11target_archE1030ELNS1_3gpuE2ELNS1_3repE0EEENS1_30default_config_static_selectorELNS0_4arch9wavefront6targetE0EEEvSY_,comdat
	.globl	_ZN7rocprim17ROCPRIM_400000_NS6detail17trampoline_kernelINS0_13select_configILj256ELj13ELNS0_17block_load_methodE3ELS4_3ELS4_3ELNS0_20block_scan_algorithmE0ELj4294967295EEENS1_25partition_config_selectorILNS1_17partition_subalgoE3EjNS0_10empty_typeEbEEZZNS1_14partition_implILS8_3ELb0ES6_jNS0_17counting_iteratorIjlEEPS9_SE_NS0_5tupleIJPjSE_EEENSF_IJSE_SE_EEES9_SG_JZNS1_25segmented_radix_sort_implINS0_14default_configELb1EPKaPaPKlPlN2at6native12_GLOBAL__N_18offset_tEEE10hipError_tPvRmT1_PNSt15iterator_traitsISY_E10value_typeET2_T3_PNSZ_IS14_E10value_typeET4_jRbjT5_S1A_jjP12ihipStream_tbEUljE_EEESV_SW_SX_S14_S18_S1A_T6_T7_T9_mT8_S1C_bDpT10_ENKUlT_T0_E_clISt17integral_constantIbLb0EES1O_IbLb1EEEEDaS1K_S1L_EUlS1K_E_NS1_11comp_targetILNS1_3genE8ELNS1_11target_archE1030ELNS1_3gpuE2ELNS1_3repE0EEENS1_30default_config_static_selectorELNS0_4arch9wavefront6targetE0EEEvSY_ ; -- Begin function _ZN7rocprim17ROCPRIM_400000_NS6detail17trampoline_kernelINS0_13select_configILj256ELj13ELNS0_17block_load_methodE3ELS4_3ELS4_3ELNS0_20block_scan_algorithmE0ELj4294967295EEENS1_25partition_config_selectorILNS1_17partition_subalgoE3EjNS0_10empty_typeEbEEZZNS1_14partition_implILS8_3ELb0ES6_jNS0_17counting_iteratorIjlEEPS9_SE_NS0_5tupleIJPjSE_EEENSF_IJSE_SE_EEES9_SG_JZNS1_25segmented_radix_sort_implINS0_14default_configELb1EPKaPaPKlPlN2at6native12_GLOBAL__N_18offset_tEEE10hipError_tPvRmT1_PNSt15iterator_traitsISY_E10value_typeET2_T3_PNSZ_IS14_E10value_typeET4_jRbjT5_S1A_jjP12ihipStream_tbEUljE_EEESV_SW_SX_S14_S18_S1A_T6_T7_T9_mT8_S1C_bDpT10_ENKUlT_T0_E_clISt17integral_constantIbLb0EES1O_IbLb1EEEEDaS1K_S1L_EUlS1K_E_NS1_11comp_targetILNS1_3genE8ELNS1_11target_archE1030ELNS1_3gpuE2ELNS1_3repE0EEENS1_30default_config_static_selectorELNS0_4arch9wavefront6targetE0EEEvSY_
	.p2align	8
	.type	_ZN7rocprim17ROCPRIM_400000_NS6detail17trampoline_kernelINS0_13select_configILj256ELj13ELNS0_17block_load_methodE3ELS4_3ELS4_3ELNS0_20block_scan_algorithmE0ELj4294967295EEENS1_25partition_config_selectorILNS1_17partition_subalgoE3EjNS0_10empty_typeEbEEZZNS1_14partition_implILS8_3ELb0ES6_jNS0_17counting_iteratorIjlEEPS9_SE_NS0_5tupleIJPjSE_EEENSF_IJSE_SE_EEES9_SG_JZNS1_25segmented_radix_sort_implINS0_14default_configELb1EPKaPaPKlPlN2at6native12_GLOBAL__N_18offset_tEEE10hipError_tPvRmT1_PNSt15iterator_traitsISY_E10value_typeET2_T3_PNSZ_IS14_E10value_typeET4_jRbjT5_S1A_jjP12ihipStream_tbEUljE_EEESV_SW_SX_S14_S18_S1A_T6_T7_T9_mT8_S1C_bDpT10_ENKUlT_T0_E_clISt17integral_constantIbLb0EES1O_IbLb1EEEEDaS1K_S1L_EUlS1K_E_NS1_11comp_targetILNS1_3genE8ELNS1_11target_archE1030ELNS1_3gpuE2ELNS1_3repE0EEENS1_30default_config_static_selectorELNS0_4arch9wavefront6targetE0EEEvSY_,@function
_ZN7rocprim17ROCPRIM_400000_NS6detail17trampoline_kernelINS0_13select_configILj256ELj13ELNS0_17block_load_methodE3ELS4_3ELS4_3ELNS0_20block_scan_algorithmE0ELj4294967295EEENS1_25partition_config_selectorILNS1_17partition_subalgoE3EjNS0_10empty_typeEbEEZZNS1_14partition_implILS8_3ELb0ES6_jNS0_17counting_iteratorIjlEEPS9_SE_NS0_5tupleIJPjSE_EEENSF_IJSE_SE_EEES9_SG_JZNS1_25segmented_radix_sort_implINS0_14default_configELb1EPKaPaPKlPlN2at6native12_GLOBAL__N_18offset_tEEE10hipError_tPvRmT1_PNSt15iterator_traitsISY_E10value_typeET2_T3_PNSZ_IS14_E10value_typeET4_jRbjT5_S1A_jjP12ihipStream_tbEUljE_EEESV_SW_SX_S14_S18_S1A_T6_T7_T9_mT8_S1C_bDpT10_ENKUlT_T0_E_clISt17integral_constantIbLb0EES1O_IbLb1EEEEDaS1K_S1L_EUlS1K_E_NS1_11comp_targetILNS1_3genE8ELNS1_11target_archE1030ELNS1_3gpuE2ELNS1_3repE0EEENS1_30default_config_static_selectorELNS0_4arch9wavefront6targetE0EEEvSY_: ; @_ZN7rocprim17ROCPRIM_400000_NS6detail17trampoline_kernelINS0_13select_configILj256ELj13ELNS0_17block_load_methodE3ELS4_3ELS4_3ELNS0_20block_scan_algorithmE0ELj4294967295EEENS1_25partition_config_selectorILNS1_17partition_subalgoE3EjNS0_10empty_typeEbEEZZNS1_14partition_implILS8_3ELb0ES6_jNS0_17counting_iteratorIjlEEPS9_SE_NS0_5tupleIJPjSE_EEENSF_IJSE_SE_EEES9_SG_JZNS1_25segmented_radix_sort_implINS0_14default_configELb1EPKaPaPKlPlN2at6native12_GLOBAL__N_18offset_tEEE10hipError_tPvRmT1_PNSt15iterator_traitsISY_E10value_typeET2_T3_PNSZ_IS14_E10value_typeET4_jRbjT5_S1A_jjP12ihipStream_tbEUljE_EEESV_SW_SX_S14_S18_S1A_T6_T7_T9_mT8_S1C_bDpT10_ENKUlT_T0_E_clISt17integral_constantIbLb0EES1O_IbLb1EEEEDaS1K_S1L_EUlS1K_E_NS1_11comp_targetILNS1_3genE8ELNS1_11target_archE1030ELNS1_3gpuE2ELNS1_3repE0EEENS1_30default_config_static_selectorELNS0_4arch9wavefront6targetE0EEEvSY_
; %bb.0:
	.section	.rodata,"a",@progbits
	.p2align	6, 0x0
	.amdhsa_kernel _ZN7rocprim17ROCPRIM_400000_NS6detail17trampoline_kernelINS0_13select_configILj256ELj13ELNS0_17block_load_methodE3ELS4_3ELS4_3ELNS0_20block_scan_algorithmE0ELj4294967295EEENS1_25partition_config_selectorILNS1_17partition_subalgoE3EjNS0_10empty_typeEbEEZZNS1_14partition_implILS8_3ELb0ES6_jNS0_17counting_iteratorIjlEEPS9_SE_NS0_5tupleIJPjSE_EEENSF_IJSE_SE_EEES9_SG_JZNS1_25segmented_radix_sort_implINS0_14default_configELb1EPKaPaPKlPlN2at6native12_GLOBAL__N_18offset_tEEE10hipError_tPvRmT1_PNSt15iterator_traitsISY_E10value_typeET2_T3_PNSZ_IS14_E10value_typeET4_jRbjT5_S1A_jjP12ihipStream_tbEUljE_EEESV_SW_SX_S14_S18_S1A_T6_T7_T9_mT8_S1C_bDpT10_ENKUlT_T0_E_clISt17integral_constantIbLb0EES1O_IbLb1EEEEDaS1K_S1L_EUlS1K_E_NS1_11comp_targetILNS1_3genE8ELNS1_11target_archE1030ELNS1_3gpuE2ELNS1_3repE0EEENS1_30default_config_static_selectorELNS0_4arch9wavefront6targetE0EEEvSY_
		.amdhsa_group_segment_fixed_size 0
		.amdhsa_private_segment_fixed_size 0
		.amdhsa_kernarg_size 152
		.amdhsa_user_sgpr_count 15
		.amdhsa_user_sgpr_dispatch_ptr 0
		.amdhsa_user_sgpr_queue_ptr 0
		.amdhsa_user_sgpr_kernarg_segment_ptr 1
		.amdhsa_user_sgpr_dispatch_id 0
		.amdhsa_user_sgpr_private_segment_size 0
		.amdhsa_wavefront_size32 1
		.amdhsa_uses_dynamic_stack 0
		.amdhsa_enable_private_segment 0
		.amdhsa_system_sgpr_workgroup_id_x 1
		.amdhsa_system_sgpr_workgroup_id_y 0
		.amdhsa_system_sgpr_workgroup_id_z 0
		.amdhsa_system_sgpr_workgroup_info 0
		.amdhsa_system_vgpr_workitem_id 0
		.amdhsa_next_free_vgpr 1
		.amdhsa_next_free_sgpr 1
		.amdhsa_reserve_vcc 0
		.amdhsa_float_round_mode_32 0
		.amdhsa_float_round_mode_16_64 0
		.amdhsa_float_denorm_mode_32 3
		.amdhsa_float_denorm_mode_16_64 3
		.amdhsa_dx10_clamp 1
		.amdhsa_ieee_mode 1
		.amdhsa_fp16_overflow 0
		.amdhsa_workgroup_processor_mode 1
		.amdhsa_memory_ordered 1
		.amdhsa_forward_progress 0
		.amdhsa_shared_vgpr_count 0
		.amdhsa_exception_fp_ieee_invalid_op 0
		.amdhsa_exception_fp_denorm_src 0
		.amdhsa_exception_fp_ieee_div_zero 0
		.amdhsa_exception_fp_ieee_overflow 0
		.amdhsa_exception_fp_ieee_underflow 0
		.amdhsa_exception_fp_ieee_inexact 0
		.amdhsa_exception_int_div_zero 0
	.end_amdhsa_kernel
	.section	.text._ZN7rocprim17ROCPRIM_400000_NS6detail17trampoline_kernelINS0_13select_configILj256ELj13ELNS0_17block_load_methodE3ELS4_3ELS4_3ELNS0_20block_scan_algorithmE0ELj4294967295EEENS1_25partition_config_selectorILNS1_17partition_subalgoE3EjNS0_10empty_typeEbEEZZNS1_14partition_implILS8_3ELb0ES6_jNS0_17counting_iteratorIjlEEPS9_SE_NS0_5tupleIJPjSE_EEENSF_IJSE_SE_EEES9_SG_JZNS1_25segmented_radix_sort_implINS0_14default_configELb1EPKaPaPKlPlN2at6native12_GLOBAL__N_18offset_tEEE10hipError_tPvRmT1_PNSt15iterator_traitsISY_E10value_typeET2_T3_PNSZ_IS14_E10value_typeET4_jRbjT5_S1A_jjP12ihipStream_tbEUljE_EEESV_SW_SX_S14_S18_S1A_T6_T7_T9_mT8_S1C_bDpT10_ENKUlT_T0_E_clISt17integral_constantIbLb0EES1O_IbLb1EEEEDaS1K_S1L_EUlS1K_E_NS1_11comp_targetILNS1_3genE8ELNS1_11target_archE1030ELNS1_3gpuE2ELNS1_3repE0EEENS1_30default_config_static_selectorELNS0_4arch9wavefront6targetE0EEEvSY_,"axG",@progbits,_ZN7rocprim17ROCPRIM_400000_NS6detail17trampoline_kernelINS0_13select_configILj256ELj13ELNS0_17block_load_methodE3ELS4_3ELS4_3ELNS0_20block_scan_algorithmE0ELj4294967295EEENS1_25partition_config_selectorILNS1_17partition_subalgoE3EjNS0_10empty_typeEbEEZZNS1_14partition_implILS8_3ELb0ES6_jNS0_17counting_iteratorIjlEEPS9_SE_NS0_5tupleIJPjSE_EEENSF_IJSE_SE_EEES9_SG_JZNS1_25segmented_radix_sort_implINS0_14default_configELb1EPKaPaPKlPlN2at6native12_GLOBAL__N_18offset_tEEE10hipError_tPvRmT1_PNSt15iterator_traitsISY_E10value_typeET2_T3_PNSZ_IS14_E10value_typeET4_jRbjT5_S1A_jjP12ihipStream_tbEUljE_EEESV_SW_SX_S14_S18_S1A_T6_T7_T9_mT8_S1C_bDpT10_ENKUlT_T0_E_clISt17integral_constantIbLb0EES1O_IbLb1EEEEDaS1K_S1L_EUlS1K_E_NS1_11comp_targetILNS1_3genE8ELNS1_11target_archE1030ELNS1_3gpuE2ELNS1_3repE0EEENS1_30default_config_static_selectorELNS0_4arch9wavefront6targetE0EEEvSY_,comdat
.Lfunc_end289:
	.size	_ZN7rocprim17ROCPRIM_400000_NS6detail17trampoline_kernelINS0_13select_configILj256ELj13ELNS0_17block_load_methodE3ELS4_3ELS4_3ELNS0_20block_scan_algorithmE0ELj4294967295EEENS1_25partition_config_selectorILNS1_17partition_subalgoE3EjNS0_10empty_typeEbEEZZNS1_14partition_implILS8_3ELb0ES6_jNS0_17counting_iteratorIjlEEPS9_SE_NS0_5tupleIJPjSE_EEENSF_IJSE_SE_EEES9_SG_JZNS1_25segmented_radix_sort_implINS0_14default_configELb1EPKaPaPKlPlN2at6native12_GLOBAL__N_18offset_tEEE10hipError_tPvRmT1_PNSt15iterator_traitsISY_E10value_typeET2_T3_PNSZ_IS14_E10value_typeET4_jRbjT5_S1A_jjP12ihipStream_tbEUljE_EEESV_SW_SX_S14_S18_S1A_T6_T7_T9_mT8_S1C_bDpT10_ENKUlT_T0_E_clISt17integral_constantIbLb0EES1O_IbLb1EEEEDaS1K_S1L_EUlS1K_E_NS1_11comp_targetILNS1_3genE8ELNS1_11target_archE1030ELNS1_3gpuE2ELNS1_3repE0EEENS1_30default_config_static_selectorELNS0_4arch9wavefront6targetE0EEEvSY_, .Lfunc_end289-_ZN7rocprim17ROCPRIM_400000_NS6detail17trampoline_kernelINS0_13select_configILj256ELj13ELNS0_17block_load_methodE3ELS4_3ELS4_3ELNS0_20block_scan_algorithmE0ELj4294967295EEENS1_25partition_config_selectorILNS1_17partition_subalgoE3EjNS0_10empty_typeEbEEZZNS1_14partition_implILS8_3ELb0ES6_jNS0_17counting_iteratorIjlEEPS9_SE_NS0_5tupleIJPjSE_EEENSF_IJSE_SE_EEES9_SG_JZNS1_25segmented_radix_sort_implINS0_14default_configELb1EPKaPaPKlPlN2at6native12_GLOBAL__N_18offset_tEEE10hipError_tPvRmT1_PNSt15iterator_traitsISY_E10value_typeET2_T3_PNSZ_IS14_E10value_typeET4_jRbjT5_S1A_jjP12ihipStream_tbEUljE_EEESV_SW_SX_S14_S18_S1A_T6_T7_T9_mT8_S1C_bDpT10_ENKUlT_T0_E_clISt17integral_constantIbLb0EES1O_IbLb1EEEEDaS1K_S1L_EUlS1K_E_NS1_11comp_targetILNS1_3genE8ELNS1_11target_archE1030ELNS1_3gpuE2ELNS1_3repE0EEENS1_30default_config_static_selectorELNS0_4arch9wavefront6targetE0EEEvSY_
                                        ; -- End function
	.section	.AMDGPU.csdata,"",@progbits
; Kernel info:
; codeLenInByte = 0
; NumSgprs: 0
; NumVgprs: 0
; ScratchSize: 0
; MemoryBound: 0
; FloatMode: 240
; IeeeMode: 1
; LDSByteSize: 0 bytes/workgroup (compile time only)
; SGPRBlocks: 0
; VGPRBlocks: 0
; NumSGPRsForWavesPerEU: 1
; NumVGPRsForWavesPerEU: 1
; Occupancy: 16
; WaveLimiterHint : 0
; COMPUTE_PGM_RSRC2:SCRATCH_EN: 0
; COMPUTE_PGM_RSRC2:USER_SGPR: 15
; COMPUTE_PGM_RSRC2:TRAP_HANDLER: 0
; COMPUTE_PGM_RSRC2:TGID_X_EN: 1
; COMPUTE_PGM_RSRC2:TGID_Y_EN: 0
; COMPUTE_PGM_RSRC2:TGID_Z_EN: 0
; COMPUTE_PGM_RSRC2:TIDIG_COMP_CNT: 0
	.section	.text._ZN7rocprim17ROCPRIM_400000_NS6detail17trampoline_kernelINS0_14default_configENS1_36segmented_radix_sort_config_selectorIalEEZNS1_25segmented_radix_sort_implIS3_Lb1EPKaPaPKlPlN2at6native12_GLOBAL__N_18offset_tEEE10hipError_tPvRmT1_PNSt15iterator_traitsISK_E10value_typeET2_T3_PNSL_ISQ_E10value_typeET4_jRbjT5_SW_jjP12ihipStream_tbEUlT_E_NS1_11comp_targetILNS1_3genE0ELNS1_11target_archE4294967295ELNS1_3gpuE0ELNS1_3repE0EEENS1_30default_config_static_selectorELNS0_4arch9wavefront6targetE0EEEvSK_,"axG",@progbits,_ZN7rocprim17ROCPRIM_400000_NS6detail17trampoline_kernelINS0_14default_configENS1_36segmented_radix_sort_config_selectorIalEEZNS1_25segmented_radix_sort_implIS3_Lb1EPKaPaPKlPlN2at6native12_GLOBAL__N_18offset_tEEE10hipError_tPvRmT1_PNSt15iterator_traitsISK_E10value_typeET2_T3_PNSL_ISQ_E10value_typeET4_jRbjT5_SW_jjP12ihipStream_tbEUlT_E_NS1_11comp_targetILNS1_3genE0ELNS1_11target_archE4294967295ELNS1_3gpuE0ELNS1_3repE0EEENS1_30default_config_static_selectorELNS0_4arch9wavefront6targetE0EEEvSK_,comdat
	.globl	_ZN7rocprim17ROCPRIM_400000_NS6detail17trampoline_kernelINS0_14default_configENS1_36segmented_radix_sort_config_selectorIalEEZNS1_25segmented_radix_sort_implIS3_Lb1EPKaPaPKlPlN2at6native12_GLOBAL__N_18offset_tEEE10hipError_tPvRmT1_PNSt15iterator_traitsISK_E10value_typeET2_T3_PNSL_ISQ_E10value_typeET4_jRbjT5_SW_jjP12ihipStream_tbEUlT_E_NS1_11comp_targetILNS1_3genE0ELNS1_11target_archE4294967295ELNS1_3gpuE0ELNS1_3repE0EEENS1_30default_config_static_selectorELNS0_4arch9wavefront6targetE0EEEvSK_ ; -- Begin function _ZN7rocprim17ROCPRIM_400000_NS6detail17trampoline_kernelINS0_14default_configENS1_36segmented_radix_sort_config_selectorIalEEZNS1_25segmented_radix_sort_implIS3_Lb1EPKaPaPKlPlN2at6native12_GLOBAL__N_18offset_tEEE10hipError_tPvRmT1_PNSt15iterator_traitsISK_E10value_typeET2_T3_PNSL_ISQ_E10value_typeET4_jRbjT5_SW_jjP12ihipStream_tbEUlT_E_NS1_11comp_targetILNS1_3genE0ELNS1_11target_archE4294967295ELNS1_3gpuE0ELNS1_3repE0EEENS1_30default_config_static_selectorELNS0_4arch9wavefront6targetE0EEEvSK_
	.p2align	8
	.type	_ZN7rocprim17ROCPRIM_400000_NS6detail17trampoline_kernelINS0_14default_configENS1_36segmented_radix_sort_config_selectorIalEEZNS1_25segmented_radix_sort_implIS3_Lb1EPKaPaPKlPlN2at6native12_GLOBAL__N_18offset_tEEE10hipError_tPvRmT1_PNSt15iterator_traitsISK_E10value_typeET2_T3_PNSL_ISQ_E10value_typeET4_jRbjT5_SW_jjP12ihipStream_tbEUlT_E_NS1_11comp_targetILNS1_3genE0ELNS1_11target_archE4294967295ELNS1_3gpuE0ELNS1_3repE0EEENS1_30default_config_static_selectorELNS0_4arch9wavefront6targetE0EEEvSK_,@function
_ZN7rocprim17ROCPRIM_400000_NS6detail17trampoline_kernelINS0_14default_configENS1_36segmented_radix_sort_config_selectorIalEEZNS1_25segmented_radix_sort_implIS3_Lb1EPKaPaPKlPlN2at6native12_GLOBAL__N_18offset_tEEE10hipError_tPvRmT1_PNSt15iterator_traitsISK_E10value_typeET2_T3_PNSL_ISQ_E10value_typeET4_jRbjT5_SW_jjP12ihipStream_tbEUlT_E_NS1_11comp_targetILNS1_3genE0ELNS1_11target_archE4294967295ELNS1_3gpuE0ELNS1_3repE0EEENS1_30default_config_static_selectorELNS0_4arch9wavefront6targetE0EEEvSK_: ; @_ZN7rocprim17ROCPRIM_400000_NS6detail17trampoline_kernelINS0_14default_configENS1_36segmented_radix_sort_config_selectorIalEEZNS1_25segmented_radix_sort_implIS3_Lb1EPKaPaPKlPlN2at6native12_GLOBAL__N_18offset_tEEE10hipError_tPvRmT1_PNSt15iterator_traitsISK_E10value_typeET2_T3_PNSL_ISQ_E10value_typeET4_jRbjT5_SW_jjP12ihipStream_tbEUlT_E_NS1_11comp_targetILNS1_3genE0ELNS1_11target_archE4294967295ELNS1_3gpuE0ELNS1_3repE0EEENS1_30default_config_static_selectorELNS0_4arch9wavefront6targetE0EEEvSK_
; %bb.0:
	.section	.rodata,"a",@progbits
	.p2align	6, 0x0
	.amdhsa_kernel _ZN7rocprim17ROCPRIM_400000_NS6detail17trampoline_kernelINS0_14default_configENS1_36segmented_radix_sort_config_selectorIalEEZNS1_25segmented_radix_sort_implIS3_Lb1EPKaPaPKlPlN2at6native12_GLOBAL__N_18offset_tEEE10hipError_tPvRmT1_PNSt15iterator_traitsISK_E10value_typeET2_T3_PNSL_ISQ_E10value_typeET4_jRbjT5_SW_jjP12ihipStream_tbEUlT_E_NS1_11comp_targetILNS1_3genE0ELNS1_11target_archE4294967295ELNS1_3gpuE0ELNS1_3repE0EEENS1_30default_config_static_selectorELNS0_4arch9wavefront6targetE0EEEvSK_
		.amdhsa_group_segment_fixed_size 0
		.amdhsa_private_segment_fixed_size 0
		.amdhsa_kernarg_size 96
		.amdhsa_user_sgpr_count 15
		.amdhsa_user_sgpr_dispatch_ptr 0
		.amdhsa_user_sgpr_queue_ptr 0
		.amdhsa_user_sgpr_kernarg_segment_ptr 1
		.amdhsa_user_sgpr_dispatch_id 0
		.amdhsa_user_sgpr_private_segment_size 0
		.amdhsa_wavefront_size32 1
		.amdhsa_uses_dynamic_stack 0
		.amdhsa_enable_private_segment 0
		.amdhsa_system_sgpr_workgroup_id_x 1
		.amdhsa_system_sgpr_workgroup_id_y 0
		.amdhsa_system_sgpr_workgroup_id_z 0
		.amdhsa_system_sgpr_workgroup_info 0
		.amdhsa_system_vgpr_workitem_id 0
		.amdhsa_next_free_vgpr 1
		.amdhsa_next_free_sgpr 1
		.amdhsa_reserve_vcc 0
		.amdhsa_float_round_mode_32 0
		.amdhsa_float_round_mode_16_64 0
		.amdhsa_float_denorm_mode_32 3
		.amdhsa_float_denorm_mode_16_64 3
		.amdhsa_dx10_clamp 1
		.amdhsa_ieee_mode 1
		.amdhsa_fp16_overflow 0
		.amdhsa_workgroup_processor_mode 1
		.amdhsa_memory_ordered 1
		.amdhsa_forward_progress 0
		.amdhsa_shared_vgpr_count 0
		.amdhsa_exception_fp_ieee_invalid_op 0
		.amdhsa_exception_fp_denorm_src 0
		.amdhsa_exception_fp_ieee_div_zero 0
		.amdhsa_exception_fp_ieee_overflow 0
		.amdhsa_exception_fp_ieee_underflow 0
		.amdhsa_exception_fp_ieee_inexact 0
		.amdhsa_exception_int_div_zero 0
	.end_amdhsa_kernel
	.section	.text._ZN7rocprim17ROCPRIM_400000_NS6detail17trampoline_kernelINS0_14default_configENS1_36segmented_radix_sort_config_selectorIalEEZNS1_25segmented_radix_sort_implIS3_Lb1EPKaPaPKlPlN2at6native12_GLOBAL__N_18offset_tEEE10hipError_tPvRmT1_PNSt15iterator_traitsISK_E10value_typeET2_T3_PNSL_ISQ_E10value_typeET4_jRbjT5_SW_jjP12ihipStream_tbEUlT_E_NS1_11comp_targetILNS1_3genE0ELNS1_11target_archE4294967295ELNS1_3gpuE0ELNS1_3repE0EEENS1_30default_config_static_selectorELNS0_4arch9wavefront6targetE0EEEvSK_,"axG",@progbits,_ZN7rocprim17ROCPRIM_400000_NS6detail17trampoline_kernelINS0_14default_configENS1_36segmented_radix_sort_config_selectorIalEEZNS1_25segmented_radix_sort_implIS3_Lb1EPKaPaPKlPlN2at6native12_GLOBAL__N_18offset_tEEE10hipError_tPvRmT1_PNSt15iterator_traitsISK_E10value_typeET2_T3_PNSL_ISQ_E10value_typeET4_jRbjT5_SW_jjP12ihipStream_tbEUlT_E_NS1_11comp_targetILNS1_3genE0ELNS1_11target_archE4294967295ELNS1_3gpuE0ELNS1_3repE0EEENS1_30default_config_static_selectorELNS0_4arch9wavefront6targetE0EEEvSK_,comdat
.Lfunc_end290:
	.size	_ZN7rocprim17ROCPRIM_400000_NS6detail17trampoline_kernelINS0_14default_configENS1_36segmented_radix_sort_config_selectorIalEEZNS1_25segmented_radix_sort_implIS3_Lb1EPKaPaPKlPlN2at6native12_GLOBAL__N_18offset_tEEE10hipError_tPvRmT1_PNSt15iterator_traitsISK_E10value_typeET2_T3_PNSL_ISQ_E10value_typeET4_jRbjT5_SW_jjP12ihipStream_tbEUlT_E_NS1_11comp_targetILNS1_3genE0ELNS1_11target_archE4294967295ELNS1_3gpuE0ELNS1_3repE0EEENS1_30default_config_static_selectorELNS0_4arch9wavefront6targetE0EEEvSK_, .Lfunc_end290-_ZN7rocprim17ROCPRIM_400000_NS6detail17trampoline_kernelINS0_14default_configENS1_36segmented_radix_sort_config_selectorIalEEZNS1_25segmented_radix_sort_implIS3_Lb1EPKaPaPKlPlN2at6native12_GLOBAL__N_18offset_tEEE10hipError_tPvRmT1_PNSt15iterator_traitsISK_E10value_typeET2_T3_PNSL_ISQ_E10value_typeET4_jRbjT5_SW_jjP12ihipStream_tbEUlT_E_NS1_11comp_targetILNS1_3genE0ELNS1_11target_archE4294967295ELNS1_3gpuE0ELNS1_3repE0EEENS1_30default_config_static_selectorELNS0_4arch9wavefront6targetE0EEEvSK_
                                        ; -- End function
	.section	.AMDGPU.csdata,"",@progbits
; Kernel info:
; codeLenInByte = 0
; NumSgprs: 0
; NumVgprs: 0
; ScratchSize: 0
; MemoryBound: 0
; FloatMode: 240
; IeeeMode: 1
; LDSByteSize: 0 bytes/workgroup (compile time only)
; SGPRBlocks: 0
; VGPRBlocks: 0
; NumSGPRsForWavesPerEU: 1
; NumVGPRsForWavesPerEU: 1
; Occupancy: 16
; WaveLimiterHint : 0
; COMPUTE_PGM_RSRC2:SCRATCH_EN: 0
; COMPUTE_PGM_RSRC2:USER_SGPR: 15
; COMPUTE_PGM_RSRC2:TRAP_HANDLER: 0
; COMPUTE_PGM_RSRC2:TGID_X_EN: 1
; COMPUTE_PGM_RSRC2:TGID_Y_EN: 0
; COMPUTE_PGM_RSRC2:TGID_Z_EN: 0
; COMPUTE_PGM_RSRC2:TIDIG_COMP_CNT: 0
	.section	.text._ZN7rocprim17ROCPRIM_400000_NS6detail17trampoline_kernelINS0_14default_configENS1_36segmented_radix_sort_config_selectorIalEEZNS1_25segmented_radix_sort_implIS3_Lb1EPKaPaPKlPlN2at6native12_GLOBAL__N_18offset_tEEE10hipError_tPvRmT1_PNSt15iterator_traitsISK_E10value_typeET2_T3_PNSL_ISQ_E10value_typeET4_jRbjT5_SW_jjP12ihipStream_tbEUlT_E_NS1_11comp_targetILNS1_3genE5ELNS1_11target_archE942ELNS1_3gpuE9ELNS1_3repE0EEENS1_30default_config_static_selectorELNS0_4arch9wavefront6targetE0EEEvSK_,"axG",@progbits,_ZN7rocprim17ROCPRIM_400000_NS6detail17trampoline_kernelINS0_14default_configENS1_36segmented_radix_sort_config_selectorIalEEZNS1_25segmented_radix_sort_implIS3_Lb1EPKaPaPKlPlN2at6native12_GLOBAL__N_18offset_tEEE10hipError_tPvRmT1_PNSt15iterator_traitsISK_E10value_typeET2_T3_PNSL_ISQ_E10value_typeET4_jRbjT5_SW_jjP12ihipStream_tbEUlT_E_NS1_11comp_targetILNS1_3genE5ELNS1_11target_archE942ELNS1_3gpuE9ELNS1_3repE0EEENS1_30default_config_static_selectorELNS0_4arch9wavefront6targetE0EEEvSK_,comdat
	.globl	_ZN7rocprim17ROCPRIM_400000_NS6detail17trampoline_kernelINS0_14default_configENS1_36segmented_radix_sort_config_selectorIalEEZNS1_25segmented_radix_sort_implIS3_Lb1EPKaPaPKlPlN2at6native12_GLOBAL__N_18offset_tEEE10hipError_tPvRmT1_PNSt15iterator_traitsISK_E10value_typeET2_T3_PNSL_ISQ_E10value_typeET4_jRbjT5_SW_jjP12ihipStream_tbEUlT_E_NS1_11comp_targetILNS1_3genE5ELNS1_11target_archE942ELNS1_3gpuE9ELNS1_3repE0EEENS1_30default_config_static_selectorELNS0_4arch9wavefront6targetE0EEEvSK_ ; -- Begin function _ZN7rocprim17ROCPRIM_400000_NS6detail17trampoline_kernelINS0_14default_configENS1_36segmented_radix_sort_config_selectorIalEEZNS1_25segmented_radix_sort_implIS3_Lb1EPKaPaPKlPlN2at6native12_GLOBAL__N_18offset_tEEE10hipError_tPvRmT1_PNSt15iterator_traitsISK_E10value_typeET2_T3_PNSL_ISQ_E10value_typeET4_jRbjT5_SW_jjP12ihipStream_tbEUlT_E_NS1_11comp_targetILNS1_3genE5ELNS1_11target_archE942ELNS1_3gpuE9ELNS1_3repE0EEENS1_30default_config_static_selectorELNS0_4arch9wavefront6targetE0EEEvSK_
	.p2align	8
	.type	_ZN7rocprim17ROCPRIM_400000_NS6detail17trampoline_kernelINS0_14default_configENS1_36segmented_radix_sort_config_selectorIalEEZNS1_25segmented_radix_sort_implIS3_Lb1EPKaPaPKlPlN2at6native12_GLOBAL__N_18offset_tEEE10hipError_tPvRmT1_PNSt15iterator_traitsISK_E10value_typeET2_T3_PNSL_ISQ_E10value_typeET4_jRbjT5_SW_jjP12ihipStream_tbEUlT_E_NS1_11comp_targetILNS1_3genE5ELNS1_11target_archE942ELNS1_3gpuE9ELNS1_3repE0EEENS1_30default_config_static_selectorELNS0_4arch9wavefront6targetE0EEEvSK_,@function
_ZN7rocprim17ROCPRIM_400000_NS6detail17trampoline_kernelINS0_14default_configENS1_36segmented_radix_sort_config_selectorIalEEZNS1_25segmented_radix_sort_implIS3_Lb1EPKaPaPKlPlN2at6native12_GLOBAL__N_18offset_tEEE10hipError_tPvRmT1_PNSt15iterator_traitsISK_E10value_typeET2_T3_PNSL_ISQ_E10value_typeET4_jRbjT5_SW_jjP12ihipStream_tbEUlT_E_NS1_11comp_targetILNS1_3genE5ELNS1_11target_archE942ELNS1_3gpuE9ELNS1_3repE0EEENS1_30default_config_static_selectorELNS0_4arch9wavefront6targetE0EEEvSK_: ; @_ZN7rocprim17ROCPRIM_400000_NS6detail17trampoline_kernelINS0_14default_configENS1_36segmented_radix_sort_config_selectorIalEEZNS1_25segmented_radix_sort_implIS3_Lb1EPKaPaPKlPlN2at6native12_GLOBAL__N_18offset_tEEE10hipError_tPvRmT1_PNSt15iterator_traitsISK_E10value_typeET2_T3_PNSL_ISQ_E10value_typeET4_jRbjT5_SW_jjP12ihipStream_tbEUlT_E_NS1_11comp_targetILNS1_3genE5ELNS1_11target_archE942ELNS1_3gpuE9ELNS1_3repE0EEENS1_30default_config_static_selectorELNS0_4arch9wavefront6targetE0EEEvSK_
; %bb.0:
	.section	.rodata,"a",@progbits
	.p2align	6, 0x0
	.amdhsa_kernel _ZN7rocprim17ROCPRIM_400000_NS6detail17trampoline_kernelINS0_14default_configENS1_36segmented_radix_sort_config_selectorIalEEZNS1_25segmented_radix_sort_implIS3_Lb1EPKaPaPKlPlN2at6native12_GLOBAL__N_18offset_tEEE10hipError_tPvRmT1_PNSt15iterator_traitsISK_E10value_typeET2_T3_PNSL_ISQ_E10value_typeET4_jRbjT5_SW_jjP12ihipStream_tbEUlT_E_NS1_11comp_targetILNS1_3genE5ELNS1_11target_archE942ELNS1_3gpuE9ELNS1_3repE0EEENS1_30default_config_static_selectorELNS0_4arch9wavefront6targetE0EEEvSK_
		.amdhsa_group_segment_fixed_size 0
		.amdhsa_private_segment_fixed_size 0
		.amdhsa_kernarg_size 96
		.amdhsa_user_sgpr_count 15
		.amdhsa_user_sgpr_dispatch_ptr 0
		.amdhsa_user_sgpr_queue_ptr 0
		.amdhsa_user_sgpr_kernarg_segment_ptr 1
		.amdhsa_user_sgpr_dispatch_id 0
		.amdhsa_user_sgpr_private_segment_size 0
		.amdhsa_wavefront_size32 1
		.amdhsa_uses_dynamic_stack 0
		.amdhsa_enable_private_segment 0
		.amdhsa_system_sgpr_workgroup_id_x 1
		.amdhsa_system_sgpr_workgroup_id_y 0
		.amdhsa_system_sgpr_workgroup_id_z 0
		.amdhsa_system_sgpr_workgroup_info 0
		.amdhsa_system_vgpr_workitem_id 0
		.amdhsa_next_free_vgpr 1
		.amdhsa_next_free_sgpr 1
		.amdhsa_reserve_vcc 0
		.amdhsa_float_round_mode_32 0
		.amdhsa_float_round_mode_16_64 0
		.amdhsa_float_denorm_mode_32 3
		.amdhsa_float_denorm_mode_16_64 3
		.amdhsa_dx10_clamp 1
		.amdhsa_ieee_mode 1
		.amdhsa_fp16_overflow 0
		.amdhsa_workgroup_processor_mode 1
		.amdhsa_memory_ordered 1
		.amdhsa_forward_progress 0
		.amdhsa_shared_vgpr_count 0
		.amdhsa_exception_fp_ieee_invalid_op 0
		.amdhsa_exception_fp_denorm_src 0
		.amdhsa_exception_fp_ieee_div_zero 0
		.amdhsa_exception_fp_ieee_overflow 0
		.amdhsa_exception_fp_ieee_underflow 0
		.amdhsa_exception_fp_ieee_inexact 0
		.amdhsa_exception_int_div_zero 0
	.end_amdhsa_kernel
	.section	.text._ZN7rocprim17ROCPRIM_400000_NS6detail17trampoline_kernelINS0_14default_configENS1_36segmented_radix_sort_config_selectorIalEEZNS1_25segmented_radix_sort_implIS3_Lb1EPKaPaPKlPlN2at6native12_GLOBAL__N_18offset_tEEE10hipError_tPvRmT1_PNSt15iterator_traitsISK_E10value_typeET2_T3_PNSL_ISQ_E10value_typeET4_jRbjT5_SW_jjP12ihipStream_tbEUlT_E_NS1_11comp_targetILNS1_3genE5ELNS1_11target_archE942ELNS1_3gpuE9ELNS1_3repE0EEENS1_30default_config_static_selectorELNS0_4arch9wavefront6targetE0EEEvSK_,"axG",@progbits,_ZN7rocprim17ROCPRIM_400000_NS6detail17trampoline_kernelINS0_14default_configENS1_36segmented_radix_sort_config_selectorIalEEZNS1_25segmented_radix_sort_implIS3_Lb1EPKaPaPKlPlN2at6native12_GLOBAL__N_18offset_tEEE10hipError_tPvRmT1_PNSt15iterator_traitsISK_E10value_typeET2_T3_PNSL_ISQ_E10value_typeET4_jRbjT5_SW_jjP12ihipStream_tbEUlT_E_NS1_11comp_targetILNS1_3genE5ELNS1_11target_archE942ELNS1_3gpuE9ELNS1_3repE0EEENS1_30default_config_static_selectorELNS0_4arch9wavefront6targetE0EEEvSK_,comdat
.Lfunc_end291:
	.size	_ZN7rocprim17ROCPRIM_400000_NS6detail17trampoline_kernelINS0_14default_configENS1_36segmented_radix_sort_config_selectorIalEEZNS1_25segmented_radix_sort_implIS3_Lb1EPKaPaPKlPlN2at6native12_GLOBAL__N_18offset_tEEE10hipError_tPvRmT1_PNSt15iterator_traitsISK_E10value_typeET2_T3_PNSL_ISQ_E10value_typeET4_jRbjT5_SW_jjP12ihipStream_tbEUlT_E_NS1_11comp_targetILNS1_3genE5ELNS1_11target_archE942ELNS1_3gpuE9ELNS1_3repE0EEENS1_30default_config_static_selectorELNS0_4arch9wavefront6targetE0EEEvSK_, .Lfunc_end291-_ZN7rocprim17ROCPRIM_400000_NS6detail17trampoline_kernelINS0_14default_configENS1_36segmented_radix_sort_config_selectorIalEEZNS1_25segmented_radix_sort_implIS3_Lb1EPKaPaPKlPlN2at6native12_GLOBAL__N_18offset_tEEE10hipError_tPvRmT1_PNSt15iterator_traitsISK_E10value_typeET2_T3_PNSL_ISQ_E10value_typeET4_jRbjT5_SW_jjP12ihipStream_tbEUlT_E_NS1_11comp_targetILNS1_3genE5ELNS1_11target_archE942ELNS1_3gpuE9ELNS1_3repE0EEENS1_30default_config_static_selectorELNS0_4arch9wavefront6targetE0EEEvSK_
                                        ; -- End function
	.section	.AMDGPU.csdata,"",@progbits
; Kernel info:
; codeLenInByte = 0
; NumSgprs: 0
; NumVgprs: 0
; ScratchSize: 0
; MemoryBound: 0
; FloatMode: 240
; IeeeMode: 1
; LDSByteSize: 0 bytes/workgroup (compile time only)
; SGPRBlocks: 0
; VGPRBlocks: 0
; NumSGPRsForWavesPerEU: 1
; NumVGPRsForWavesPerEU: 1
; Occupancy: 16
; WaveLimiterHint : 0
; COMPUTE_PGM_RSRC2:SCRATCH_EN: 0
; COMPUTE_PGM_RSRC2:USER_SGPR: 15
; COMPUTE_PGM_RSRC2:TRAP_HANDLER: 0
; COMPUTE_PGM_RSRC2:TGID_X_EN: 1
; COMPUTE_PGM_RSRC2:TGID_Y_EN: 0
; COMPUTE_PGM_RSRC2:TGID_Z_EN: 0
; COMPUTE_PGM_RSRC2:TIDIG_COMP_CNT: 0
	.section	.text._ZN7rocprim17ROCPRIM_400000_NS6detail17trampoline_kernelINS0_14default_configENS1_36segmented_radix_sort_config_selectorIalEEZNS1_25segmented_radix_sort_implIS3_Lb1EPKaPaPKlPlN2at6native12_GLOBAL__N_18offset_tEEE10hipError_tPvRmT1_PNSt15iterator_traitsISK_E10value_typeET2_T3_PNSL_ISQ_E10value_typeET4_jRbjT5_SW_jjP12ihipStream_tbEUlT_E_NS1_11comp_targetILNS1_3genE4ELNS1_11target_archE910ELNS1_3gpuE8ELNS1_3repE0EEENS1_30default_config_static_selectorELNS0_4arch9wavefront6targetE0EEEvSK_,"axG",@progbits,_ZN7rocprim17ROCPRIM_400000_NS6detail17trampoline_kernelINS0_14default_configENS1_36segmented_radix_sort_config_selectorIalEEZNS1_25segmented_radix_sort_implIS3_Lb1EPKaPaPKlPlN2at6native12_GLOBAL__N_18offset_tEEE10hipError_tPvRmT1_PNSt15iterator_traitsISK_E10value_typeET2_T3_PNSL_ISQ_E10value_typeET4_jRbjT5_SW_jjP12ihipStream_tbEUlT_E_NS1_11comp_targetILNS1_3genE4ELNS1_11target_archE910ELNS1_3gpuE8ELNS1_3repE0EEENS1_30default_config_static_selectorELNS0_4arch9wavefront6targetE0EEEvSK_,comdat
	.globl	_ZN7rocprim17ROCPRIM_400000_NS6detail17trampoline_kernelINS0_14default_configENS1_36segmented_radix_sort_config_selectorIalEEZNS1_25segmented_radix_sort_implIS3_Lb1EPKaPaPKlPlN2at6native12_GLOBAL__N_18offset_tEEE10hipError_tPvRmT1_PNSt15iterator_traitsISK_E10value_typeET2_T3_PNSL_ISQ_E10value_typeET4_jRbjT5_SW_jjP12ihipStream_tbEUlT_E_NS1_11comp_targetILNS1_3genE4ELNS1_11target_archE910ELNS1_3gpuE8ELNS1_3repE0EEENS1_30default_config_static_selectorELNS0_4arch9wavefront6targetE0EEEvSK_ ; -- Begin function _ZN7rocprim17ROCPRIM_400000_NS6detail17trampoline_kernelINS0_14default_configENS1_36segmented_radix_sort_config_selectorIalEEZNS1_25segmented_radix_sort_implIS3_Lb1EPKaPaPKlPlN2at6native12_GLOBAL__N_18offset_tEEE10hipError_tPvRmT1_PNSt15iterator_traitsISK_E10value_typeET2_T3_PNSL_ISQ_E10value_typeET4_jRbjT5_SW_jjP12ihipStream_tbEUlT_E_NS1_11comp_targetILNS1_3genE4ELNS1_11target_archE910ELNS1_3gpuE8ELNS1_3repE0EEENS1_30default_config_static_selectorELNS0_4arch9wavefront6targetE0EEEvSK_
	.p2align	8
	.type	_ZN7rocprim17ROCPRIM_400000_NS6detail17trampoline_kernelINS0_14default_configENS1_36segmented_radix_sort_config_selectorIalEEZNS1_25segmented_radix_sort_implIS3_Lb1EPKaPaPKlPlN2at6native12_GLOBAL__N_18offset_tEEE10hipError_tPvRmT1_PNSt15iterator_traitsISK_E10value_typeET2_T3_PNSL_ISQ_E10value_typeET4_jRbjT5_SW_jjP12ihipStream_tbEUlT_E_NS1_11comp_targetILNS1_3genE4ELNS1_11target_archE910ELNS1_3gpuE8ELNS1_3repE0EEENS1_30default_config_static_selectorELNS0_4arch9wavefront6targetE0EEEvSK_,@function
_ZN7rocprim17ROCPRIM_400000_NS6detail17trampoline_kernelINS0_14default_configENS1_36segmented_radix_sort_config_selectorIalEEZNS1_25segmented_radix_sort_implIS3_Lb1EPKaPaPKlPlN2at6native12_GLOBAL__N_18offset_tEEE10hipError_tPvRmT1_PNSt15iterator_traitsISK_E10value_typeET2_T3_PNSL_ISQ_E10value_typeET4_jRbjT5_SW_jjP12ihipStream_tbEUlT_E_NS1_11comp_targetILNS1_3genE4ELNS1_11target_archE910ELNS1_3gpuE8ELNS1_3repE0EEENS1_30default_config_static_selectorELNS0_4arch9wavefront6targetE0EEEvSK_: ; @_ZN7rocprim17ROCPRIM_400000_NS6detail17trampoline_kernelINS0_14default_configENS1_36segmented_radix_sort_config_selectorIalEEZNS1_25segmented_radix_sort_implIS3_Lb1EPKaPaPKlPlN2at6native12_GLOBAL__N_18offset_tEEE10hipError_tPvRmT1_PNSt15iterator_traitsISK_E10value_typeET2_T3_PNSL_ISQ_E10value_typeET4_jRbjT5_SW_jjP12ihipStream_tbEUlT_E_NS1_11comp_targetILNS1_3genE4ELNS1_11target_archE910ELNS1_3gpuE8ELNS1_3repE0EEENS1_30default_config_static_selectorELNS0_4arch9wavefront6targetE0EEEvSK_
; %bb.0:
	.section	.rodata,"a",@progbits
	.p2align	6, 0x0
	.amdhsa_kernel _ZN7rocprim17ROCPRIM_400000_NS6detail17trampoline_kernelINS0_14default_configENS1_36segmented_radix_sort_config_selectorIalEEZNS1_25segmented_radix_sort_implIS3_Lb1EPKaPaPKlPlN2at6native12_GLOBAL__N_18offset_tEEE10hipError_tPvRmT1_PNSt15iterator_traitsISK_E10value_typeET2_T3_PNSL_ISQ_E10value_typeET4_jRbjT5_SW_jjP12ihipStream_tbEUlT_E_NS1_11comp_targetILNS1_3genE4ELNS1_11target_archE910ELNS1_3gpuE8ELNS1_3repE0EEENS1_30default_config_static_selectorELNS0_4arch9wavefront6targetE0EEEvSK_
		.amdhsa_group_segment_fixed_size 0
		.amdhsa_private_segment_fixed_size 0
		.amdhsa_kernarg_size 96
		.amdhsa_user_sgpr_count 15
		.amdhsa_user_sgpr_dispatch_ptr 0
		.amdhsa_user_sgpr_queue_ptr 0
		.amdhsa_user_sgpr_kernarg_segment_ptr 1
		.amdhsa_user_sgpr_dispatch_id 0
		.amdhsa_user_sgpr_private_segment_size 0
		.amdhsa_wavefront_size32 1
		.amdhsa_uses_dynamic_stack 0
		.amdhsa_enable_private_segment 0
		.amdhsa_system_sgpr_workgroup_id_x 1
		.amdhsa_system_sgpr_workgroup_id_y 0
		.amdhsa_system_sgpr_workgroup_id_z 0
		.amdhsa_system_sgpr_workgroup_info 0
		.amdhsa_system_vgpr_workitem_id 0
		.amdhsa_next_free_vgpr 1
		.amdhsa_next_free_sgpr 1
		.amdhsa_reserve_vcc 0
		.amdhsa_float_round_mode_32 0
		.amdhsa_float_round_mode_16_64 0
		.amdhsa_float_denorm_mode_32 3
		.amdhsa_float_denorm_mode_16_64 3
		.amdhsa_dx10_clamp 1
		.amdhsa_ieee_mode 1
		.amdhsa_fp16_overflow 0
		.amdhsa_workgroup_processor_mode 1
		.amdhsa_memory_ordered 1
		.amdhsa_forward_progress 0
		.amdhsa_shared_vgpr_count 0
		.amdhsa_exception_fp_ieee_invalid_op 0
		.amdhsa_exception_fp_denorm_src 0
		.amdhsa_exception_fp_ieee_div_zero 0
		.amdhsa_exception_fp_ieee_overflow 0
		.amdhsa_exception_fp_ieee_underflow 0
		.amdhsa_exception_fp_ieee_inexact 0
		.amdhsa_exception_int_div_zero 0
	.end_amdhsa_kernel
	.section	.text._ZN7rocprim17ROCPRIM_400000_NS6detail17trampoline_kernelINS0_14default_configENS1_36segmented_radix_sort_config_selectorIalEEZNS1_25segmented_radix_sort_implIS3_Lb1EPKaPaPKlPlN2at6native12_GLOBAL__N_18offset_tEEE10hipError_tPvRmT1_PNSt15iterator_traitsISK_E10value_typeET2_T3_PNSL_ISQ_E10value_typeET4_jRbjT5_SW_jjP12ihipStream_tbEUlT_E_NS1_11comp_targetILNS1_3genE4ELNS1_11target_archE910ELNS1_3gpuE8ELNS1_3repE0EEENS1_30default_config_static_selectorELNS0_4arch9wavefront6targetE0EEEvSK_,"axG",@progbits,_ZN7rocprim17ROCPRIM_400000_NS6detail17trampoline_kernelINS0_14default_configENS1_36segmented_radix_sort_config_selectorIalEEZNS1_25segmented_radix_sort_implIS3_Lb1EPKaPaPKlPlN2at6native12_GLOBAL__N_18offset_tEEE10hipError_tPvRmT1_PNSt15iterator_traitsISK_E10value_typeET2_T3_PNSL_ISQ_E10value_typeET4_jRbjT5_SW_jjP12ihipStream_tbEUlT_E_NS1_11comp_targetILNS1_3genE4ELNS1_11target_archE910ELNS1_3gpuE8ELNS1_3repE0EEENS1_30default_config_static_selectorELNS0_4arch9wavefront6targetE0EEEvSK_,comdat
.Lfunc_end292:
	.size	_ZN7rocprim17ROCPRIM_400000_NS6detail17trampoline_kernelINS0_14default_configENS1_36segmented_radix_sort_config_selectorIalEEZNS1_25segmented_radix_sort_implIS3_Lb1EPKaPaPKlPlN2at6native12_GLOBAL__N_18offset_tEEE10hipError_tPvRmT1_PNSt15iterator_traitsISK_E10value_typeET2_T3_PNSL_ISQ_E10value_typeET4_jRbjT5_SW_jjP12ihipStream_tbEUlT_E_NS1_11comp_targetILNS1_3genE4ELNS1_11target_archE910ELNS1_3gpuE8ELNS1_3repE0EEENS1_30default_config_static_selectorELNS0_4arch9wavefront6targetE0EEEvSK_, .Lfunc_end292-_ZN7rocprim17ROCPRIM_400000_NS6detail17trampoline_kernelINS0_14default_configENS1_36segmented_radix_sort_config_selectorIalEEZNS1_25segmented_radix_sort_implIS3_Lb1EPKaPaPKlPlN2at6native12_GLOBAL__N_18offset_tEEE10hipError_tPvRmT1_PNSt15iterator_traitsISK_E10value_typeET2_T3_PNSL_ISQ_E10value_typeET4_jRbjT5_SW_jjP12ihipStream_tbEUlT_E_NS1_11comp_targetILNS1_3genE4ELNS1_11target_archE910ELNS1_3gpuE8ELNS1_3repE0EEENS1_30default_config_static_selectorELNS0_4arch9wavefront6targetE0EEEvSK_
                                        ; -- End function
	.section	.AMDGPU.csdata,"",@progbits
; Kernel info:
; codeLenInByte = 0
; NumSgprs: 0
; NumVgprs: 0
; ScratchSize: 0
; MemoryBound: 0
; FloatMode: 240
; IeeeMode: 1
; LDSByteSize: 0 bytes/workgroup (compile time only)
; SGPRBlocks: 0
; VGPRBlocks: 0
; NumSGPRsForWavesPerEU: 1
; NumVGPRsForWavesPerEU: 1
; Occupancy: 16
; WaveLimiterHint : 0
; COMPUTE_PGM_RSRC2:SCRATCH_EN: 0
; COMPUTE_PGM_RSRC2:USER_SGPR: 15
; COMPUTE_PGM_RSRC2:TRAP_HANDLER: 0
; COMPUTE_PGM_RSRC2:TGID_X_EN: 1
; COMPUTE_PGM_RSRC2:TGID_Y_EN: 0
; COMPUTE_PGM_RSRC2:TGID_Z_EN: 0
; COMPUTE_PGM_RSRC2:TIDIG_COMP_CNT: 0
	.section	.text._ZN7rocprim17ROCPRIM_400000_NS6detail17trampoline_kernelINS0_14default_configENS1_36segmented_radix_sort_config_selectorIalEEZNS1_25segmented_radix_sort_implIS3_Lb1EPKaPaPKlPlN2at6native12_GLOBAL__N_18offset_tEEE10hipError_tPvRmT1_PNSt15iterator_traitsISK_E10value_typeET2_T3_PNSL_ISQ_E10value_typeET4_jRbjT5_SW_jjP12ihipStream_tbEUlT_E_NS1_11comp_targetILNS1_3genE3ELNS1_11target_archE908ELNS1_3gpuE7ELNS1_3repE0EEENS1_30default_config_static_selectorELNS0_4arch9wavefront6targetE0EEEvSK_,"axG",@progbits,_ZN7rocprim17ROCPRIM_400000_NS6detail17trampoline_kernelINS0_14default_configENS1_36segmented_radix_sort_config_selectorIalEEZNS1_25segmented_radix_sort_implIS3_Lb1EPKaPaPKlPlN2at6native12_GLOBAL__N_18offset_tEEE10hipError_tPvRmT1_PNSt15iterator_traitsISK_E10value_typeET2_T3_PNSL_ISQ_E10value_typeET4_jRbjT5_SW_jjP12ihipStream_tbEUlT_E_NS1_11comp_targetILNS1_3genE3ELNS1_11target_archE908ELNS1_3gpuE7ELNS1_3repE0EEENS1_30default_config_static_selectorELNS0_4arch9wavefront6targetE0EEEvSK_,comdat
	.globl	_ZN7rocprim17ROCPRIM_400000_NS6detail17trampoline_kernelINS0_14default_configENS1_36segmented_radix_sort_config_selectorIalEEZNS1_25segmented_radix_sort_implIS3_Lb1EPKaPaPKlPlN2at6native12_GLOBAL__N_18offset_tEEE10hipError_tPvRmT1_PNSt15iterator_traitsISK_E10value_typeET2_T3_PNSL_ISQ_E10value_typeET4_jRbjT5_SW_jjP12ihipStream_tbEUlT_E_NS1_11comp_targetILNS1_3genE3ELNS1_11target_archE908ELNS1_3gpuE7ELNS1_3repE0EEENS1_30default_config_static_selectorELNS0_4arch9wavefront6targetE0EEEvSK_ ; -- Begin function _ZN7rocprim17ROCPRIM_400000_NS6detail17trampoline_kernelINS0_14default_configENS1_36segmented_radix_sort_config_selectorIalEEZNS1_25segmented_radix_sort_implIS3_Lb1EPKaPaPKlPlN2at6native12_GLOBAL__N_18offset_tEEE10hipError_tPvRmT1_PNSt15iterator_traitsISK_E10value_typeET2_T3_PNSL_ISQ_E10value_typeET4_jRbjT5_SW_jjP12ihipStream_tbEUlT_E_NS1_11comp_targetILNS1_3genE3ELNS1_11target_archE908ELNS1_3gpuE7ELNS1_3repE0EEENS1_30default_config_static_selectorELNS0_4arch9wavefront6targetE0EEEvSK_
	.p2align	8
	.type	_ZN7rocprim17ROCPRIM_400000_NS6detail17trampoline_kernelINS0_14default_configENS1_36segmented_radix_sort_config_selectorIalEEZNS1_25segmented_radix_sort_implIS3_Lb1EPKaPaPKlPlN2at6native12_GLOBAL__N_18offset_tEEE10hipError_tPvRmT1_PNSt15iterator_traitsISK_E10value_typeET2_T3_PNSL_ISQ_E10value_typeET4_jRbjT5_SW_jjP12ihipStream_tbEUlT_E_NS1_11comp_targetILNS1_3genE3ELNS1_11target_archE908ELNS1_3gpuE7ELNS1_3repE0EEENS1_30default_config_static_selectorELNS0_4arch9wavefront6targetE0EEEvSK_,@function
_ZN7rocprim17ROCPRIM_400000_NS6detail17trampoline_kernelINS0_14default_configENS1_36segmented_radix_sort_config_selectorIalEEZNS1_25segmented_radix_sort_implIS3_Lb1EPKaPaPKlPlN2at6native12_GLOBAL__N_18offset_tEEE10hipError_tPvRmT1_PNSt15iterator_traitsISK_E10value_typeET2_T3_PNSL_ISQ_E10value_typeET4_jRbjT5_SW_jjP12ihipStream_tbEUlT_E_NS1_11comp_targetILNS1_3genE3ELNS1_11target_archE908ELNS1_3gpuE7ELNS1_3repE0EEENS1_30default_config_static_selectorELNS0_4arch9wavefront6targetE0EEEvSK_: ; @_ZN7rocprim17ROCPRIM_400000_NS6detail17trampoline_kernelINS0_14default_configENS1_36segmented_radix_sort_config_selectorIalEEZNS1_25segmented_radix_sort_implIS3_Lb1EPKaPaPKlPlN2at6native12_GLOBAL__N_18offset_tEEE10hipError_tPvRmT1_PNSt15iterator_traitsISK_E10value_typeET2_T3_PNSL_ISQ_E10value_typeET4_jRbjT5_SW_jjP12ihipStream_tbEUlT_E_NS1_11comp_targetILNS1_3genE3ELNS1_11target_archE908ELNS1_3gpuE7ELNS1_3repE0EEENS1_30default_config_static_selectorELNS0_4arch9wavefront6targetE0EEEvSK_
; %bb.0:
	.section	.rodata,"a",@progbits
	.p2align	6, 0x0
	.amdhsa_kernel _ZN7rocprim17ROCPRIM_400000_NS6detail17trampoline_kernelINS0_14default_configENS1_36segmented_radix_sort_config_selectorIalEEZNS1_25segmented_radix_sort_implIS3_Lb1EPKaPaPKlPlN2at6native12_GLOBAL__N_18offset_tEEE10hipError_tPvRmT1_PNSt15iterator_traitsISK_E10value_typeET2_T3_PNSL_ISQ_E10value_typeET4_jRbjT5_SW_jjP12ihipStream_tbEUlT_E_NS1_11comp_targetILNS1_3genE3ELNS1_11target_archE908ELNS1_3gpuE7ELNS1_3repE0EEENS1_30default_config_static_selectorELNS0_4arch9wavefront6targetE0EEEvSK_
		.amdhsa_group_segment_fixed_size 0
		.amdhsa_private_segment_fixed_size 0
		.amdhsa_kernarg_size 96
		.amdhsa_user_sgpr_count 15
		.amdhsa_user_sgpr_dispatch_ptr 0
		.amdhsa_user_sgpr_queue_ptr 0
		.amdhsa_user_sgpr_kernarg_segment_ptr 1
		.amdhsa_user_sgpr_dispatch_id 0
		.amdhsa_user_sgpr_private_segment_size 0
		.amdhsa_wavefront_size32 1
		.amdhsa_uses_dynamic_stack 0
		.amdhsa_enable_private_segment 0
		.amdhsa_system_sgpr_workgroup_id_x 1
		.amdhsa_system_sgpr_workgroup_id_y 0
		.amdhsa_system_sgpr_workgroup_id_z 0
		.amdhsa_system_sgpr_workgroup_info 0
		.amdhsa_system_vgpr_workitem_id 0
		.amdhsa_next_free_vgpr 1
		.amdhsa_next_free_sgpr 1
		.amdhsa_reserve_vcc 0
		.amdhsa_float_round_mode_32 0
		.amdhsa_float_round_mode_16_64 0
		.amdhsa_float_denorm_mode_32 3
		.amdhsa_float_denorm_mode_16_64 3
		.amdhsa_dx10_clamp 1
		.amdhsa_ieee_mode 1
		.amdhsa_fp16_overflow 0
		.amdhsa_workgroup_processor_mode 1
		.amdhsa_memory_ordered 1
		.amdhsa_forward_progress 0
		.amdhsa_shared_vgpr_count 0
		.amdhsa_exception_fp_ieee_invalid_op 0
		.amdhsa_exception_fp_denorm_src 0
		.amdhsa_exception_fp_ieee_div_zero 0
		.amdhsa_exception_fp_ieee_overflow 0
		.amdhsa_exception_fp_ieee_underflow 0
		.amdhsa_exception_fp_ieee_inexact 0
		.amdhsa_exception_int_div_zero 0
	.end_amdhsa_kernel
	.section	.text._ZN7rocprim17ROCPRIM_400000_NS6detail17trampoline_kernelINS0_14default_configENS1_36segmented_radix_sort_config_selectorIalEEZNS1_25segmented_radix_sort_implIS3_Lb1EPKaPaPKlPlN2at6native12_GLOBAL__N_18offset_tEEE10hipError_tPvRmT1_PNSt15iterator_traitsISK_E10value_typeET2_T3_PNSL_ISQ_E10value_typeET4_jRbjT5_SW_jjP12ihipStream_tbEUlT_E_NS1_11comp_targetILNS1_3genE3ELNS1_11target_archE908ELNS1_3gpuE7ELNS1_3repE0EEENS1_30default_config_static_selectorELNS0_4arch9wavefront6targetE0EEEvSK_,"axG",@progbits,_ZN7rocprim17ROCPRIM_400000_NS6detail17trampoline_kernelINS0_14default_configENS1_36segmented_radix_sort_config_selectorIalEEZNS1_25segmented_radix_sort_implIS3_Lb1EPKaPaPKlPlN2at6native12_GLOBAL__N_18offset_tEEE10hipError_tPvRmT1_PNSt15iterator_traitsISK_E10value_typeET2_T3_PNSL_ISQ_E10value_typeET4_jRbjT5_SW_jjP12ihipStream_tbEUlT_E_NS1_11comp_targetILNS1_3genE3ELNS1_11target_archE908ELNS1_3gpuE7ELNS1_3repE0EEENS1_30default_config_static_selectorELNS0_4arch9wavefront6targetE0EEEvSK_,comdat
.Lfunc_end293:
	.size	_ZN7rocprim17ROCPRIM_400000_NS6detail17trampoline_kernelINS0_14default_configENS1_36segmented_radix_sort_config_selectorIalEEZNS1_25segmented_radix_sort_implIS3_Lb1EPKaPaPKlPlN2at6native12_GLOBAL__N_18offset_tEEE10hipError_tPvRmT1_PNSt15iterator_traitsISK_E10value_typeET2_T3_PNSL_ISQ_E10value_typeET4_jRbjT5_SW_jjP12ihipStream_tbEUlT_E_NS1_11comp_targetILNS1_3genE3ELNS1_11target_archE908ELNS1_3gpuE7ELNS1_3repE0EEENS1_30default_config_static_selectorELNS0_4arch9wavefront6targetE0EEEvSK_, .Lfunc_end293-_ZN7rocprim17ROCPRIM_400000_NS6detail17trampoline_kernelINS0_14default_configENS1_36segmented_radix_sort_config_selectorIalEEZNS1_25segmented_radix_sort_implIS3_Lb1EPKaPaPKlPlN2at6native12_GLOBAL__N_18offset_tEEE10hipError_tPvRmT1_PNSt15iterator_traitsISK_E10value_typeET2_T3_PNSL_ISQ_E10value_typeET4_jRbjT5_SW_jjP12ihipStream_tbEUlT_E_NS1_11comp_targetILNS1_3genE3ELNS1_11target_archE908ELNS1_3gpuE7ELNS1_3repE0EEENS1_30default_config_static_selectorELNS0_4arch9wavefront6targetE0EEEvSK_
                                        ; -- End function
	.section	.AMDGPU.csdata,"",@progbits
; Kernel info:
; codeLenInByte = 0
; NumSgprs: 0
; NumVgprs: 0
; ScratchSize: 0
; MemoryBound: 0
; FloatMode: 240
; IeeeMode: 1
; LDSByteSize: 0 bytes/workgroup (compile time only)
; SGPRBlocks: 0
; VGPRBlocks: 0
; NumSGPRsForWavesPerEU: 1
; NumVGPRsForWavesPerEU: 1
; Occupancy: 16
; WaveLimiterHint : 0
; COMPUTE_PGM_RSRC2:SCRATCH_EN: 0
; COMPUTE_PGM_RSRC2:USER_SGPR: 15
; COMPUTE_PGM_RSRC2:TRAP_HANDLER: 0
; COMPUTE_PGM_RSRC2:TGID_X_EN: 1
; COMPUTE_PGM_RSRC2:TGID_Y_EN: 0
; COMPUTE_PGM_RSRC2:TGID_Z_EN: 0
; COMPUTE_PGM_RSRC2:TIDIG_COMP_CNT: 0
	.section	.text._ZN7rocprim17ROCPRIM_400000_NS6detail17trampoline_kernelINS0_14default_configENS1_36segmented_radix_sort_config_selectorIalEEZNS1_25segmented_radix_sort_implIS3_Lb1EPKaPaPKlPlN2at6native12_GLOBAL__N_18offset_tEEE10hipError_tPvRmT1_PNSt15iterator_traitsISK_E10value_typeET2_T3_PNSL_ISQ_E10value_typeET4_jRbjT5_SW_jjP12ihipStream_tbEUlT_E_NS1_11comp_targetILNS1_3genE2ELNS1_11target_archE906ELNS1_3gpuE6ELNS1_3repE0EEENS1_30default_config_static_selectorELNS0_4arch9wavefront6targetE0EEEvSK_,"axG",@progbits,_ZN7rocprim17ROCPRIM_400000_NS6detail17trampoline_kernelINS0_14default_configENS1_36segmented_radix_sort_config_selectorIalEEZNS1_25segmented_radix_sort_implIS3_Lb1EPKaPaPKlPlN2at6native12_GLOBAL__N_18offset_tEEE10hipError_tPvRmT1_PNSt15iterator_traitsISK_E10value_typeET2_T3_PNSL_ISQ_E10value_typeET4_jRbjT5_SW_jjP12ihipStream_tbEUlT_E_NS1_11comp_targetILNS1_3genE2ELNS1_11target_archE906ELNS1_3gpuE6ELNS1_3repE0EEENS1_30default_config_static_selectorELNS0_4arch9wavefront6targetE0EEEvSK_,comdat
	.globl	_ZN7rocprim17ROCPRIM_400000_NS6detail17trampoline_kernelINS0_14default_configENS1_36segmented_radix_sort_config_selectorIalEEZNS1_25segmented_radix_sort_implIS3_Lb1EPKaPaPKlPlN2at6native12_GLOBAL__N_18offset_tEEE10hipError_tPvRmT1_PNSt15iterator_traitsISK_E10value_typeET2_T3_PNSL_ISQ_E10value_typeET4_jRbjT5_SW_jjP12ihipStream_tbEUlT_E_NS1_11comp_targetILNS1_3genE2ELNS1_11target_archE906ELNS1_3gpuE6ELNS1_3repE0EEENS1_30default_config_static_selectorELNS0_4arch9wavefront6targetE0EEEvSK_ ; -- Begin function _ZN7rocprim17ROCPRIM_400000_NS6detail17trampoline_kernelINS0_14default_configENS1_36segmented_radix_sort_config_selectorIalEEZNS1_25segmented_radix_sort_implIS3_Lb1EPKaPaPKlPlN2at6native12_GLOBAL__N_18offset_tEEE10hipError_tPvRmT1_PNSt15iterator_traitsISK_E10value_typeET2_T3_PNSL_ISQ_E10value_typeET4_jRbjT5_SW_jjP12ihipStream_tbEUlT_E_NS1_11comp_targetILNS1_3genE2ELNS1_11target_archE906ELNS1_3gpuE6ELNS1_3repE0EEENS1_30default_config_static_selectorELNS0_4arch9wavefront6targetE0EEEvSK_
	.p2align	8
	.type	_ZN7rocprim17ROCPRIM_400000_NS6detail17trampoline_kernelINS0_14default_configENS1_36segmented_radix_sort_config_selectorIalEEZNS1_25segmented_radix_sort_implIS3_Lb1EPKaPaPKlPlN2at6native12_GLOBAL__N_18offset_tEEE10hipError_tPvRmT1_PNSt15iterator_traitsISK_E10value_typeET2_T3_PNSL_ISQ_E10value_typeET4_jRbjT5_SW_jjP12ihipStream_tbEUlT_E_NS1_11comp_targetILNS1_3genE2ELNS1_11target_archE906ELNS1_3gpuE6ELNS1_3repE0EEENS1_30default_config_static_selectorELNS0_4arch9wavefront6targetE0EEEvSK_,@function
_ZN7rocprim17ROCPRIM_400000_NS6detail17trampoline_kernelINS0_14default_configENS1_36segmented_radix_sort_config_selectorIalEEZNS1_25segmented_radix_sort_implIS3_Lb1EPKaPaPKlPlN2at6native12_GLOBAL__N_18offset_tEEE10hipError_tPvRmT1_PNSt15iterator_traitsISK_E10value_typeET2_T3_PNSL_ISQ_E10value_typeET4_jRbjT5_SW_jjP12ihipStream_tbEUlT_E_NS1_11comp_targetILNS1_3genE2ELNS1_11target_archE906ELNS1_3gpuE6ELNS1_3repE0EEENS1_30default_config_static_selectorELNS0_4arch9wavefront6targetE0EEEvSK_: ; @_ZN7rocprim17ROCPRIM_400000_NS6detail17trampoline_kernelINS0_14default_configENS1_36segmented_radix_sort_config_selectorIalEEZNS1_25segmented_radix_sort_implIS3_Lb1EPKaPaPKlPlN2at6native12_GLOBAL__N_18offset_tEEE10hipError_tPvRmT1_PNSt15iterator_traitsISK_E10value_typeET2_T3_PNSL_ISQ_E10value_typeET4_jRbjT5_SW_jjP12ihipStream_tbEUlT_E_NS1_11comp_targetILNS1_3genE2ELNS1_11target_archE906ELNS1_3gpuE6ELNS1_3repE0EEENS1_30default_config_static_selectorELNS0_4arch9wavefront6targetE0EEEvSK_
; %bb.0:
	.section	.rodata,"a",@progbits
	.p2align	6, 0x0
	.amdhsa_kernel _ZN7rocprim17ROCPRIM_400000_NS6detail17trampoline_kernelINS0_14default_configENS1_36segmented_radix_sort_config_selectorIalEEZNS1_25segmented_radix_sort_implIS3_Lb1EPKaPaPKlPlN2at6native12_GLOBAL__N_18offset_tEEE10hipError_tPvRmT1_PNSt15iterator_traitsISK_E10value_typeET2_T3_PNSL_ISQ_E10value_typeET4_jRbjT5_SW_jjP12ihipStream_tbEUlT_E_NS1_11comp_targetILNS1_3genE2ELNS1_11target_archE906ELNS1_3gpuE6ELNS1_3repE0EEENS1_30default_config_static_selectorELNS0_4arch9wavefront6targetE0EEEvSK_
		.amdhsa_group_segment_fixed_size 0
		.amdhsa_private_segment_fixed_size 0
		.amdhsa_kernarg_size 96
		.amdhsa_user_sgpr_count 15
		.amdhsa_user_sgpr_dispatch_ptr 0
		.amdhsa_user_sgpr_queue_ptr 0
		.amdhsa_user_sgpr_kernarg_segment_ptr 1
		.amdhsa_user_sgpr_dispatch_id 0
		.amdhsa_user_sgpr_private_segment_size 0
		.amdhsa_wavefront_size32 1
		.amdhsa_uses_dynamic_stack 0
		.amdhsa_enable_private_segment 0
		.amdhsa_system_sgpr_workgroup_id_x 1
		.amdhsa_system_sgpr_workgroup_id_y 0
		.amdhsa_system_sgpr_workgroup_id_z 0
		.amdhsa_system_sgpr_workgroup_info 0
		.amdhsa_system_vgpr_workitem_id 0
		.amdhsa_next_free_vgpr 1
		.amdhsa_next_free_sgpr 1
		.amdhsa_reserve_vcc 0
		.amdhsa_float_round_mode_32 0
		.amdhsa_float_round_mode_16_64 0
		.amdhsa_float_denorm_mode_32 3
		.amdhsa_float_denorm_mode_16_64 3
		.amdhsa_dx10_clamp 1
		.amdhsa_ieee_mode 1
		.amdhsa_fp16_overflow 0
		.amdhsa_workgroup_processor_mode 1
		.amdhsa_memory_ordered 1
		.amdhsa_forward_progress 0
		.amdhsa_shared_vgpr_count 0
		.amdhsa_exception_fp_ieee_invalid_op 0
		.amdhsa_exception_fp_denorm_src 0
		.amdhsa_exception_fp_ieee_div_zero 0
		.amdhsa_exception_fp_ieee_overflow 0
		.amdhsa_exception_fp_ieee_underflow 0
		.amdhsa_exception_fp_ieee_inexact 0
		.amdhsa_exception_int_div_zero 0
	.end_amdhsa_kernel
	.section	.text._ZN7rocprim17ROCPRIM_400000_NS6detail17trampoline_kernelINS0_14default_configENS1_36segmented_radix_sort_config_selectorIalEEZNS1_25segmented_radix_sort_implIS3_Lb1EPKaPaPKlPlN2at6native12_GLOBAL__N_18offset_tEEE10hipError_tPvRmT1_PNSt15iterator_traitsISK_E10value_typeET2_T3_PNSL_ISQ_E10value_typeET4_jRbjT5_SW_jjP12ihipStream_tbEUlT_E_NS1_11comp_targetILNS1_3genE2ELNS1_11target_archE906ELNS1_3gpuE6ELNS1_3repE0EEENS1_30default_config_static_selectorELNS0_4arch9wavefront6targetE0EEEvSK_,"axG",@progbits,_ZN7rocprim17ROCPRIM_400000_NS6detail17trampoline_kernelINS0_14default_configENS1_36segmented_radix_sort_config_selectorIalEEZNS1_25segmented_radix_sort_implIS3_Lb1EPKaPaPKlPlN2at6native12_GLOBAL__N_18offset_tEEE10hipError_tPvRmT1_PNSt15iterator_traitsISK_E10value_typeET2_T3_PNSL_ISQ_E10value_typeET4_jRbjT5_SW_jjP12ihipStream_tbEUlT_E_NS1_11comp_targetILNS1_3genE2ELNS1_11target_archE906ELNS1_3gpuE6ELNS1_3repE0EEENS1_30default_config_static_selectorELNS0_4arch9wavefront6targetE0EEEvSK_,comdat
.Lfunc_end294:
	.size	_ZN7rocprim17ROCPRIM_400000_NS6detail17trampoline_kernelINS0_14default_configENS1_36segmented_radix_sort_config_selectorIalEEZNS1_25segmented_radix_sort_implIS3_Lb1EPKaPaPKlPlN2at6native12_GLOBAL__N_18offset_tEEE10hipError_tPvRmT1_PNSt15iterator_traitsISK_E10value_typeET2_T3_PNSL_ISQ_E10value_typeET4_jRbjT5_SW_jjP12ihipStream_tbEUlT_E_NS1_11comp_targetILNS1_3genE2ELNS1_11target_archE906ELNS1_3gpuE6ELNS1_3repE0EEENS1_30default_config_static_selectorELNS0_4arch9wavefront6targetE0EEEvSK_, .Lfunc_end294-_ZN7rocprim17ROCPRIM_400000_NS6detail17trampoline_kernelINS0_14default_configENS1_36segmented_radix_sort_config_selectorIalEEZNS1_25segmented_radix_sort_implIS3_Lb1EPKaPaPKlPlN2at6native12_GLOBAL__N_18offset_tEEE10hipError_tPvRmT1_PNSt15iterator_traitsISK_E10value_typeET2_T3_PNSL_ISQ_E10value_typeET4_jRbjT5_SW_jjP12ihipStream_tbEUlT_E_NS1_11comp_targetILNS1_3genE2ELNS1_11target_archE906ELNS1_3gpuE6ELNS1_3repE0EEENS1_30default_config_static_selectorELNS0_4arch9wavefront6targetE0EEEvSK_
                                        ; -- End function
	.section	.AMDGPU.csdata,"",@progbits
; Kernel info:
; codeLenInByte = 0
; NumSgprs: 0
; NumVgprs: 0
; ScratchSize: 0
; MemoryBound: 0
; FloatMode: 240
; IeeeMode: 1
; LDSByteSize: 0 bytes/workgroup (compile time only)
; SGPRBlocks: 0
; VGPRBlocks: 0
; NumSGPRsForWavesPerEU: 1
; NumVGPRsForWavesPerEU: 1
; Occupancy: 16
; WaveLimiterHint : 0
; COMPUTE_PGM_RSRC2:SCRATCH_EN: 0
; COMPUTE_PGM_RSRC2:USER_SGPR: 15
; COMPUTE_PGM_RSRC2:TRAP_HANDLER: 0
; COMPUTE_PGM_RSRC2:TGID_X_EN: 1
; COMPUTE_PGM_RSRC2:TGID_Y_EN: 0
; COMPUTE_PGM_RSRC2:TGID_Z_EN: 0
; COMPUTE_PGM_RSRC2:TIDIG_COMP_CNT: 0
	.section	.text._ZN7rocprim17ROCPRIM_400000_NS6detail17trampoline_kernelINS0_14default_configENS1_36segmented_radix_sort_config_selectorIalEEZNS1_25segmented_radix_sort_implIS3_Lb1EPKaPaPKlPlN2at6native12_GLOBAL__N_18offset_tEEE10hipError_tPvRmT1_PNSt15iterator_traitsISK_E10value_typeET2_T3_PNSL_ISQ_E10value_typeET4_jRbjT5_SW_jjP12ihipStream_tbEUlT_E_NS1_11comp_targetILNS1_3genE10ELNS1_11target_archE1201ELNS1_3gpuE5ELNS1_3repE0EEENS1_30default_config_static_selectorELNS0_4arch9wavefront6targetE0EEEvSK_,"axG",@progbits,_ZN7rocprim17ROCPRIM_400000_NS6detail17trampoline_kernelINS0_14default_configENS1_36segmented_radix_sort_config_selectorIalEEZNS1_25segmented_radix_sort_implIS3_Lb1EPKaPaPKlPlN2at6native12_GLOBAL__N_18offset_tEEE10hipError_tPvRmT1_PNSt15iterator_traitsISK_E10value_typeET2_T3_PNSL_ISQ_E10value_typeET4_jRbjT5_SW_jjP12ihipStream_tbEUlT_E_NS1_11comp_targetILNS1_3genE10ELNS1_11target_archE1201ELNS1_3gpuE5ELNS1_3repE0EEENS1_30default_config_static_selectorELNS0_4arch9wavefront6targetE0EEEvSK_,comdat
	.globl	_ZN7rocprim17ROCPRIM_400000_NS6detail17trampoline_kernelINS0_14default_configENS1_36segmented_radix_sort_config_selectorIalEEZNS1_25segmented_radix_sort_implIS3_Lb1EPKaPaPKlPlN2at6native12_GLOBAL__N_18offset_tEEE10hipError_tPvRmT1_PNSt15iterator_traitsISK_E10value_typeET2_T3_PNSL_ISQ_E10value_typeET4_jRbjT5_SW_jjP12ihipStream_tbEUlT_E_NS1_11comp_targetILNS1_3genE10ELNS1_11target_archE1201ELNS1_3gpuE5ELNS1_3repE0EEENS1_30default_config_static_selectorELNS0_4arch9wavefront6targetE0EEEvSK_ ; -- Begin function _ZN7rocprim17ROCPRIM_400000_NS6detail17trampoline_kernelINS0_14default_configENS1_36segmented_radix_sort_config_selectorIalEEZNS1_25segmented_radix_sort_implIS3_Lb1EPKaPaPKlPlN2at6native12_GLOBAL__N_18offset_tEEE10hipError_tPvRmT1_PNSt15iterator_traitsISK_E10value_typeET2_T3_PNSL_ISQ_E10value_typeET4_jRbjT5_SW_jjP12ihipStream_tbEUlT_E_NS1_11comp_targetILNS1_3genE10ELNS1_11target_archE1201ELNS1_3gpuE5ELNS1_3repE0EEENS1_30default_config_static_selectorELNS0_4arch9wavefront6targetE0EEEvSK_
	.p2align	8
	.type	_ZN7rocprim17ROCPRIM_400000_NS6detail17trampoline_kernelINS0_14default_configENS1_36segmented_radix_sort_config_selectorIalEEZNS1_25segmented_radix_sort_implIS3_Lb1EPKaPaPKlPlN2at6native12_GLOBAL__N_18offset_tEEE10hipError_tPvRmT1_PNSt15iterator_traitsISK_E10value_typeET2_T3_PNSL_ISQ_E10value_typeET4_jRbjT5_SW_jjP12ihipStream_tbEUlT_E_NS1_11comp_targetILNS1_3genE10ELNS1_11target_archE1201ELNS1_3gpuE5ELNS1_3repE0EEENS1_30default_config_static_selectorELNS0_4arch9wavefront6targetE0EEEvSK_,@function
_ZN7rocprim17ROCPRIM_400000_NS6detail17trampoline_kernelINS0_14default_configENS1_36segmented_radix_sort_config_selectorIalEEZNS1_25segmented_radix_sort_implIS3_Lb1EPKaPaPKlPlN2at6native12_GLOBAL__N_18offset_tEEE10hipError_tPvRmT1_PNSt15iterator_traitsISK_E10value_typeET2_T3_PNSL_ISQ_E10value_typeET4_jRbjT5_SW_jjP12ihipStream_tbEUlT_E_NS1_11comp_targetILNS1_3genE10ELNS1_11target_archE1201ELNS1_3gpuE5ELNS1_3repE0EEENS1_30default_config_static_selectorELNS0_4arch9wavefront6targetE0EEEvSK_: ; @_ZN7rocprim17ROCPRIM_400000_NS6detail17trampoline_kernelINS0_14default_configENS1_36segmented_radix_sort_config_selectorIalEEZNS1_25segmented_radix_sort_implIS3_Lb1EPKaPaPKlPlN2at6native12_GLOBAL__N_18offset_tEEE10hipError_tPvRmT1_PNSt15iterator_traitsISK_E10value_typeET2_T3_PNSL_ISQ_E10value_typeET4_jRbjT5_SW_jjP12ihipStream_tbEUlT_E_NS1_11comp_targetILNS1_3genE10ELNS1_11target_archE1201ELNS1_3gpuE5ELNS1_3repE0EEENS1_30default_config_static_selectorELNS0_4arch9wavefront6targetE0EEEvSK_
; %bb.0:
	.section	.rodata,"a",@progbits
	.p2align	6, 0x0
	.amdhsa_kernel _ZN7rocprim17ROCPRIM_400000_NS6detail17trampoline_kernelINS0_14default_configENS1_36segmented_radix_sort_config_selectorIalEEZNS1_25segmented_radix_sort_implIS3_Lb1EPKaPaPKlPlN2at6native12_GLOBAL__N_18offset_tEEE10hipError_tPvRmT1_PNSt15iterator_traitsISK_E10value_typeET2_T3_PNSL_ISQ_E10value_typeET4_jRbjT5_SW_jjP12ihipStream_tbEUlT_E_NS1_11comp_targetILNS1_3genE10ELNS1_11target_archE1201ELNS1_3gpuE5ELNS1_3repE0EEENS1_30default_config_static_selectorELNS0_4arch9wavefront6targetE0EEEvSK_
		.amdhsa_group_segment_fixed_size 0
		.amdhsa_private_segment_fixed_size 0
		.amdhsa_kernarg_size 96
		.amdhsa_user_sgpr_count 15
		.amdhsa_user_sgpr_dispatch_ptr 0
		.amdhsa_user_sgpr_queue_ptr 0
		.amdhsa_user_sgpr_kernarg_segment_ptr 1
		.amdhsa_user_sgpr_dispatch_id 0
		.amdhsa_user_sgpr_private_segment_size 0
		.amdhsa_wavefront_size32 1
		.amdhsa_uses_dynamic_stack 0
		.amdhsa_enable_private_segment 0
		.amdhsa_system_sgpr_workgroup_id_x 1
		.amdhsa_system_sgpr_workgroup_id_y 0
		.amdhsa_system_sgpr_workgroup_id_z 0
		.amdhsa_system_sgpr_workgroup_info 0
		.amdhsa_system_vgpr_workitem_id 0
		.amdhsa_next_free_vgpr 1
		.amdhsa_next_free_sgpr 1
		.amdhsa_reserve_vcc 0
		.amdhsa_float_round_mode_32 0
		.amdhsa_float_round_mode_16_64 0
		.amdhsa_float_denorm_mode_32 3
		.amdhsa_float_denorm_mode_16_64 3
		.amdhsa_dx10_clamp 1
		.amdhsa_ieee_mode 1
		.amdhsa_fp16_overflow 0
		.amdhsa_workgroup_processor_mode 1
		.amdhsa_memory_ordered 1
		.amdhsa_forward_progress 0
		.amdhsa_shared_vgpr_count 0
		.amdhsa_exception_fp_ieee_invalid_op 0
		.amdhsa_exception_fp_denorm_src 0
		.amdhsa_exception_fp_ieee_div_zero 0
		.amdhsa_exception_fp_ieee_overflow 0
		.amdhsa_exception_fp_ieee_underflow 0
		.amdhsa_exception_fp_ieee_inexact 0
		.amdhsa_exception_int_div_zero 0
	.end_amdhsa_kernel
	.section	.text._ZN7rocprim17ROCPRIM_400000_NS6detail17trampoline_kernelINS0_14default_configENS1_36segmented_radix_sort_config_selectorIalEEZNS1_25segmented_radix_sort_implIS3_Lb1EPKaPaPKlPlN2at6native12_GLOBAL__N_18offset_tEEE10hipError_tPvRmT1_PNSt15iterator_traitsISK_E10value_typeET2_T3_PNSL_ISQ_E10value_typeET4_jRbjT5_SW_jjP12ihipStream_tbEUlT_E_NS1_11comp_targetILNS1_3genE10ELNS1_11target_archE1201ELNS1_3gpuE5ELNS1_3repE0EEENS1_30default_config_static_selectorELNS0_4arch9wavefront6targetE0EEEvSK_,"axG",@progbits,_ZN7rocprim17ROCPRIM_400000_NS6detail17trampoline_kernelINS0_14default_configENS1_36segmented_radix_sort_config_selectorIalEEZNS1_25segmented_radix_sort_implIS3_Lb1EPKaPaPKlPlN2at6native12_GLOBAL__N_18offset_tEEE10hipError_tPvRmT1_PNSt15iterator_traitsISK_E10value_typeET2_T3_PNSL_ISQ_E10value_typeET4_jRbjT5_SW_jjP12ihipStream_tbEUlT_E_NS1_11comp_targetILNS1_3genE10ELNS1_11target_archE1201ELNS1_3gpuE5ELNS1_3repE0EEENS1_30default_config_static_selectorELNS0_4arch9wavefront6targetE0EEEvSK_,comdat
.Lfunc_end295:
	.size	_ZN7rocprim17ROCPRIM_400000_NS6detail17trampoline_kernelINS0_14default_configENS1_36segmented_radix_sort_config_selectorIalEEZNS1_25segmented_radix_sort_implIS3_Lb1EPKaPaPKlPlN2at6native12_GLOBAL__N_18offset_tEEE10hipError_tPvRmT1_PNSt15iterator_traitsISK_E10value_typeET2_T3_PNSL_ISQ_E10value_typeET4_jRbjT5_SW_jjP12ihipStream_tbEUlT_E_NS1_11comp_targetILNS1_3genE10ELNS1_11target_archE1201ELNS1_3gpuE5ELNS1_3repE0EEENS1_30default_config_static_selectorELNS0_4arch9wavefront6targetE0EEEvSK_, .Lfunc_end295-_ZN7rocprim17ROCPRIM_400000_NS6detail17trampoline_kernelINS0_14default_configENS1_36segmented_radix_sort_config_selectorIalEEZNS1_25segmented_radix_sort_implIS3_Lb1EPKaPaPKlPlN2at6native12_GLOBAL__N_18offset_tEEE10hipError_tPvRmT1_PNSt15iterator_traitsISK_E10value_typeET2_T3_PNSL_ISQ_E10value_typeET4_jRbjT5_SW_jjP12ihipStream_tbEUlT_E_NS1_11comp_targetILNS1_3genE10ELNS1_11target_archE1201ELNS1_3gpuE5ELNS1_3repE0EEENS1_30default_config_static_selectorELNS0_4arch9wavefront6targetE0EEEvSK_
                                        ; -- End function
	.section	.AMDGPU.csdata,"",@progbits
; Kernel info:
; codeLenInByte = 0
; NumSgprs: 0
; NumVgprs: 0
; ScratchSize: 0
; MemoryBound: 0
; FloatMode: 240
; IeeeMode: 1
; LDSByteSize: 0 bytes/workgroup (compile time only)
; SGPRBlocks: 0
; VGPRBlocks: 0
; NumSGPRsForWavesPerEU: 1
; NumVGPRsForWavesPerEU: 1
; Occupancy: 16
; WaveLimiterHint : 0
; COMPUTE_PGM_RSRC2:SCRATCH_EN: 0
; COMPUTE_PGM_RSRC2:USER_SGPR: 15
; COMPUTE_PGM_RSRC2:TRAP_HANDLER: 0
; COMPUTE_PGM_RSRC2:TGID_X_EN: 1
; COMPUTE_PGM_RSRC2:TGID_Y_EN: 0
; COMPUTE_PGM_RSRC2:TGID_Z_EN: 0
; COMPUTE_PGM_RSRC2:TIDIG_COMP_CNT: 0
	.section	.text._ZN7rocprim17ROCPRIM_400000_NS6detail17trampoline_kernelINS0_14default_configENS1_36segmented_radix_sort_config_selectorIalEEZNS1_25segmented_radix_sort_implIS3_Lb1EPKaPaPKlPlN2at6native12_GLOBAL__N_18offset_tEEE10hipError_tPvRmT1_PNSt15iterator_traitsISK_E10value_typeET2_T3_PNSL_ISQ_E10value_typeET4_jRbjT5_SW_jjP12ihipStream_tbEUlT_E_NS1_11comp_targetILNS1_3genE10ELNS1_11target_archE1200ELNS1_3gpuE4ELNS1_3repE0EEENS1_30default_config_static_selectorELNS0_4arch9wavefront6targetE0EEEvSK_,"axG",@progbits,_ZN7rocprim17ROCPRIM_400000_NS6detail17trampoline_kernelINS0_14default_configENS1_36segmented_radix_sort_config_selectorIalEEZNS1_25segmented_radix_sort_implIS3_Lb1EPKaPaPKlPlN2at6native12_GLOBAL__N_18offset_tEEE10hipError_tPvRmT1_PNSt15iterator_traitsISK_E10value_typeET2_T3_PNSL_ISQ_E10value_typeET4_jRbjT5_SW_jjP12ihipStream_tbEUlT_E_NS1_11comp_targetILNS1_3genE10ELNS1_11target_archE1200ELNS1_3gpuE4ELNS1_3repE0EEENS1_30default_config_static_selectorELNS0_4arch9wavefront6targetE0EEEvSK_,comdat
	.globl	_ZN7rocprim17ROCPRIM_400000_NS6detail17trampoline_kernelINS0_14default_configENS1_36segmented_radix_sort_config_selectorIalEEZNS1_25segmented_radix_sort_implIS3_Lb1EPKaPaPKlPlN2at6native12_GLOBAL__N_18offset_tEEE10hipError_tPvRmT1_PNSt15iterator_traitsISK_E10value_typeET2_T3_PNSL_ISQ_E10value_typeET4_jRbjT5_SW_jjP12ihipStream_tbEUlT_E_NS1_11comp_targetILNS1_3genE10ELNS1_11target_archE1200ELNS1_3gpuE4ELNS1_3repE0EEENS1_30default_config_static_selectorELNS0_4arch9wavefront6targetE0EEEvSK_ ; -- Begin function _ZN7rocprim17ROCPRIM_400000_NS6detail17trampoline_kernelINS0_14default_configENS1_36segmented_radix_sort_config_selectorIalEEZNS1_25segmented_radix_sort_implIS3_Lb1EPKaPaPKlPlN2at6native12_GLOBAL__N_18offset_tEEE10hipError_tPvRmT1_PNSt15iterator_traitsISK_E10value_typeET2_T3_PNSL_ISQ_E10value_typeET4_jRbjT5_SW_jjP12ihipStream_tbEUlT_E_NS1_11comp_targetILNS1_3genE10ELNS1_11target_archE1200ELNS1_3gpuE4ELNS1_3repE0EEENS1_30default_config_static_selectorELNS0_4arch9wavefront6targetE0EEEvSK_
	.p2align	8
	.type	_ZN7rocprim17ROCPRIM_400000_NS6detail17trampoline_kernelINS0_14default_configENS1_36segmented_radix_sort_config_selectorIalEEZNS1_25segmented_radix_sort_implIS3_Lb1EPKaPaPKlPlN2at6native12_GLOBAL__N_18offset_tEEE10hipError_tPvRmT1_PNSt15iterator_traitsISK_E10value_typeET2_T3_PNSL_ISQ_E10value_typeET4_jRbjT5_SW_jjP12ihipStream_tbEUlT_E_NS1_11comp_targetILNS1_3genE10ELNS1_11target_archE1200ELNS1_3gpuE4ELNS1_3repE0EEENS1_30default_config_static_selectorELNS0_4arch9wavefront6targetE0EEEvSK_,@function
_ZN7rocprim17ROCPRIM_400000_NS6detail17trampoline_kernelINS0_14default_configENS1_36segmented_radix_sort_config_selectorIalEEZNS1_25segmented_radix_sort_implIS3_Lb1EPKaPaPKlPlN2at6native12_GLOBAL__N_18offset_tEEE10hipError_tPvRmT1_PNSt15iterator_traitsISK_E10value_typeET2_T3_PNSL_ISQ_E10value_typeET4_jRbjT5_SW_jjP12ihipStream_tbEUlT_E_NS1_11comp_targetILNS1_3genE10ELNS1_11target_archE1200ELNS1_3gpuE4ELNS1_3repE0EEENS1_30default_config_static_selectorELNS0_4arch9wavefront6targetE0EEEvSK_: ; @_ZN7rocprim17ROCPRIM_400000_NS6detail17trampoline_kernelINS0_14default_configENS1_36segmented_radix_sort_config_selectorIalEEZNS1_25segmented_radix_sort_implIS3_Lb1EPKaPaPKlPlN2at6native12_GLOBAL__N_18offset_tEEE10hipError_tPvRmT1_PNSt15iterator_traitsISK_E10value_typeET2_T3_PNSL_ISQ_E10value_typeET4_jRbjT5_SW_jjP12ihipStream_tbEUlT_E_NS1_11comp_targetILNS1_3genE10ELNS1_11target_archE1200ELNS1_3gpuE4ELNS1_3repE0EEENS1_30default_config_static_selectorELNS0_4arch9wavefront6targetE0EEEvSK_
; %bb.0:
	.section	.rodata,"a",@progbits
	.p2align	6, 0x0
	.amdhsa_kernel _ZN7rocprim17ROCPRIM_400000_NS6detail17trampoline_kernelINS0_14default_configENS1_36segmented_radix_sort_config_selectorIalEEZNS1_25segmented_radix_sort_implIS3_Lb1EPKaPaPKlPlN2at6native12_GLOBAL__N_18offset_tEEE10hipError_tPvRmT1_PNSt15iterator_traitsISK_E10value_typeET2_T3_PNSL_ISQ_E10value_typeET4_jRbjT5_SW_jjP12ihipStream_tbEUlT_E_NS1_11comp_targetILNS1_3genE10ELNS1_11target_archE1200ELNS1_3gpuE4ELNS1_3repE0EEENS1_30default_config_static_selectorELNS0_4arch9wavefront6targetE0EEEvSK_
		.amdhsa_group_segment_fixed_size 0
		.amdhsa_private_segment_fixed_size 0
		.amdhsa_kernarg_size 96
		.amdhsa_user_sgpr_count 15
		.amdhsa_user_sgpr_dispatch_ptr 0
		.amdhsa_user_sgpr_queue_ptr 0
		.amdhsa_user_sgpr_kernarg_segment_ptr 1
		.amdhsa_user_sgpr_dispatch_id 0
		.amdhsa_user_sgpr_private_segment_size 0
		.amdhsa_wavefront_size32 1
		.amdhsa_uses_dynamic_stack 0
		.amdhsa_enable_private_segment 0
		.amdhsa_system_sgpr_workgroup_id_x 1
		.amdhsa_system_sgpr_workgroup_id_y 0
		.amdhsa_system_sgpr_workgroup_id_z 0
		.amdhsa_system_sgpr_workgroup_info 0
		.amdhsa_system_vgpr_workitem_id 0
		.amdhsa_next_free_vgpr 1
		.amdhsa_next_free_sgpr 1
		.amdhsa_reserve_vcc 0
		.amdhsa_float_round_mode_32 0
		.amdhsa_float_round_mode_16_64 0
		.amdhsa_float_denorm_mode_32 3
		.amdhsa_float_denorm_mode_16_64 3
		.amdhsa_dx10_clamp 1
		.amdhsa_ieee_mode 1
		.amdhsa_fp16_overflow 0
		.amdhsa_workgroup_processor_mode 1
		.amdhsa_memory_ordered 1
		.amdhsa_forward_progress 0
		.amdhsa_shared_vgpr_count 0
		.amdhsa_exception_fp_ieee_invalid_op 0
		.amdhsa_exception_fp_denorm_src 0
		.amdhsa_exception_fp_ieee_div_zero 0
		.amdhsa_exception_fp_ieee_overflow 0
		.amdhsa_exception_fp_ieee_underflow 0
		.amdhsa_exception_fp_ieee_inexact 0
		.amdhsa_exception_int_div_zero 0
	.end_amdhsa_kernel
	.section	.text._ZN7rocprim17ROCPRIM_400000_NS6detail17trampoline_kernelINS0_14default_configENS1_36segmented_radix_sort_config_selectorIalEEZNS1_25segmented_radix_sort_implIS3_Lb1EPKaPaPKlPlN2at6native12_GLOBAL__N_18offset_tEEE10hipError_tPvRmT1_PNSt15iterator_traitsISK_E10value_typeET2_T3_PNSL_ISQ_E10value_typeET4_jRbjT5_SW_jjP12ihipStream_tbEUlT_E_NS1_11comp_targetILNS1_3genE10ELNS1_11target_archE1200ELNS1_3gpuE4ELNS1_3repE0EEENS1_30default_config_static_selectorELNS0_4arch9wavefront6targetE0EEEvSK_,"axG",@progbits,_ZN7rocprim17ROCPRIM_400000_NS6detail17trampoline_kernelINS0_14default_configENS1_36segmented_radix_sort_config_selectorIalEEZNS1_25segmented_radix_sort_implIS3_Lb1EPKaPaPKlPlN2at6native12_GLOBAL__N_18offset_tEEE10hipError_tPvRmT1_PNSt15iterator_traitsISK_E10value_typeET2_T3_PNSL_ISQ_E10value_typeET4_jRbjT5_SW_jjP12ihipStream_tbEUlT_E_NS1_11comp_targetILNS1_3genE10ELNS1_11target_archE1200ELNS1_3gpuE4ELNS1_3repE0EEENS1_30default_config_static_selectorELNS0_4arch9wavefront6targetE0EEEvSK_,comdat
.Lfunc_end296:
	.size	_ZN7rocprim17ROCPRIM_400000_NS6detail17trampoline_kernelINS0_14default_configENS1_36segmented_radix_sort_config_selectorIalEEZNS1_25segmented_radix_sort_implIS3_Lb1EPKaPaPKlPlN2at6native12_GLOBAL__N_18offset_tEEE10hipError_tPvRmT1_PNSt15iterator_traitsISK_E10value_typeET2_T3_PNSL_ISQ_E10value_typeET4_jRbjT5_SW_jjP12ihipStream_tbEUlT_E_NS1_11comp_targetILNS1_3genE10ELNS1_11target_archE1200ELNS1_3gpuE4ELNS1_3repE0EEENS1_30default_config_static_selectorELNS0_4arch9wavefront6targetE0EEEvSK_, .Lfunc_end296-_ZN7rocprim17ROCPRIM_400000_NS6detail17trampoline_kernelINS0_14default_configENS1_36segmented_radix_sort_config_selectorIalEEZNS1_25segmented_radix_sort_implIS3_Lb1EPKaPaPKlPlN2at6native12_GLOBAL__N_18offset_tEEE10hipError_tPvRmT1_PNSt15iterator_traitsISK_E10value_typeET2_T3_PNSL_ISQ_E10value_typeET4_jRbjT5_SW_jjP12ihipStream_tbEUlT_E_NS1_11comp_targetILNS1_3genE10ELNS1_11target_archE1200ELNS1_3gpuE4ELNS1_3repE0EEENS1_30default_config_static_selectorELNS0_4arch9wavefront6targetE0EEEvSK_
                                        ; -- End function
	.section	.AMDGPU.csdata,"",@progbits
; Kernel info:
; codeLenInByte = 0
; NumSgprs: 0
; NumVgprs: 0
; ScratchSize: 0
; MemoryBound: 0
; FloatMode: 240
; IeeeMode: 1
; LDSByteSize: 0 bytes/workgroup (compile time only)
; SGPRBlocks: 0
; VGPRBlocks: 0
; NumSGPRsForWavesPerEU: 1
; NumVGPRsForWavesPerEU: 1
; Occupancy: 16
; WaveLimiterHint : 0
; COMPUTE_PGM_RSRC2:SCRATCH_EN: 0
; COMPUTE_PGM_RSRC2:USER_SGPR: 15
; COMPUTE_PGM_RSRC2:TRAP_HANDLER: 0
; COMPUTE_PGM_RSRC2:TGID_X_EN: 1
; COMPUTE_PGM_RSRC2:TGID_Y_EN: 0
; COMPUTE_PGM_RSRC2:TGID_Z_EN: 0
; COMPUTE_PGM_RSRC2:TIDIG_COMP_CNT: 0
	.text
	.p2align	2                               ; -- Begin function _ZN7rocprim17ROCPRIM_400000_NS6detail40segmented_radix_sort_single_block_helperIalLj256ELj8ELb1EE4sortIPKaPaPKlPlEEbT_T0_T1_T2_jjjjRNS3_12storage_typeE
	.type	_ZN7rocprim17ROCPRIM_400000_NS6detail40segmented_radix_sort_single_block_helperIalLj256ELj8ELb1EE4sortIPKaPaPKlPlEEbT_T0_T1_T2_jjjjRNS3_12storage_typeE,@function
_ZN7rocprim17ROCPRIM_400000_NS6detail40segmented_radix_sort_single_block_helperIalLj256ELj8ELb1EE4sortIPKaPaPKlPlEEbT_T0_T1_T2_jjjjRNS3_12storage_typeE: ; @_ZN7rocprim17ROCPRIM_400000_NS6detail40segmented_radix_sort_single_block_helperIalLj256ELj8ELb1EE4sortIPKaPaPKlPlEEbT_T0_T1_T2_jjjjRNS3_12storage_typeE
; %bb.0:
	s_waitcnt vmcnt(0) expcnt(0) lgkmcnt(0)
	v_sub_nc_u32_e32 v134, v9, v8
	s_mov_b32 s24, exec_lo
	s_delay_alu instid0(VALU_DEP_1)
	v_cmpx_gt_u32_e32 0x801, v134
	s_cbranch_execz .LBB297_199
; %bb.1:
	v_bfe_u32 v14, v31, 10, 10
	v_bfe_u32 v15, v31, 20, 10
	v_and_b32_e32 v26, 0x3ff, v31
	v_mbcnt_lo_u32_b32 v16, -1, 0
	s_mov_b32 s0, exec_lo
	v_cmpx_lt_u32_e32 0x400, v134
	s_xor_b32 s19, exec_lo, s0
	s_cbranch_execz .LBB297_79
; %bb.2:
	s_load_b64 s[0:1], s[8:9], 0x0
	v_mov_b32_e32 v9, 0
	v_add_co_u32 v0, vcc_lo, v0, v8
	v_add_co_ci_u32_e32 v1, vcc_lo, 0, v1, vcc_lo
	v_dual_mov_b32 v29, 0x80 :: v_dual_mov_b32 v32, 0x80
	s_delay_alu instid0(VALU_DEP_3) | instskip(NEXT) | instid1(VALU_DEP_3)
	v_add_co_u32 v0, vcc_lo, v0, v16
	v_add_co_ci_u32_e32 v1, vcc_lo, 0, v1, vcc_lo
	v_dual_mov_b32 v33, 0x80 :: v_dual_mov_b32 v30, 0x80
	v_dual_mov_b32 v31, 0x80 :: v_dual_mov_b32 v34, 0x80
	s_waitcnt lgkmcnt(0)
	s_cmp_lt_u32 s13, s1
	s_cselect_b32 s1, 14, 20
	s_delay_alu instid0(SALU_CYCLE_1) | instskip(SKIP_4) | instid1(SALU_CYCLE_1)
	s_add_u32 s2, s8, s1
	s_addc_u32 s3, s9, 0
	s_cmp_lt_u32 s12, s0
	global_load_u16 v17, v9, s[2:3]
	s_cselect_b32 s0, 12, 18
	s_add_u32 s0, s8, s0
	s_addc_u32 s1, s9, 0
	global_load_u16 v18, v9, s[0:1]
	s_waitcnt vmcnt(1)
	v_mad_u32_u24 v14, v15, v17, v14
	s_waitcnt vmcnt(0)
	s_delay_alu instid0(VALU_DEP_1) | instskip(SKIP_1) | instid1(VALU_DEP_2)
	v_mad_u64_u32 v[27:28], null, v14, v18, v[26:27]
	v_dual_mov_b32 v17, 0x80 :: v_dual_mov_b32 v28, 0x80
	v_dual_mov_b32 v15, v9 :: v_dual_lshlrev_b32 v14, 3, v27
	s_delay_alu instid0(VALU_DEP_1) | instskip(NEXT) | instid1(VALU_DEP_1)
	v_and_b32_e32 v14, 0xffffff00, v14
	v_or_b32_e32 v18, v14, v16
	v_add_co_u32 v0, vcc_lo, v0, v14
	v_add_co_ci_u32_e32 v1, vcc_lo, 0, v1, vcc_lo
	s_delay_alu instid0(VALU_DEP_3)
	v_cmp_lt_u32_e32 vcc_lo, v18, v134
	s_and_saveexec_b32 s0, vcc_lo
	s_cbranch_execz .LBB297_4
; %bb.3:
	flat_load_u8 v28, v[0:1]
	v_dual_mov_b32 v29, 0x80 :: v_dual_mov_b32 v32, 0x80
	v_dual_mov_b32 v33, 0x80 :: v_dual_mov_b32 v30, 0x80
	;; [unrolled: 1-line block ×3, first 2 shown]
	v_mov_b32_e32 v17, 0x80
.LBB297_4:
	s_or_b32 exec_lo, exec_lo, s0
	v_or_b32_e32 v19, 32, v18
	s_delay_alu instid0(VALU_DEP_1) | instskip(NEXT) | instid1(VALU_DEP_1)
	v_cmp_lt_u32_e64 s0, v19, v134
	s_and_saveexec_b32 s1, s0
	s_cbranch_execz .LBB297_6
; %bb.5:
	flat_load_u8 v29, v[0:1] offset:32
.LBB297_6:
	s_or_b32 exec_lo, exec_lo, s1
	v_or_b32_e32 v19, 64, v18
	s_delay_alu instid0(VALU_DEP_1) | instskip(NEXT) | instid1(VALU_DEP_1)
	v_cmp_lt_u32_e64 s1, v19, v134
	s_and_saveexec_b32 s2, s1
	s_cbranch_execz .LBB297_8
; %bb.7:
	flat_load_u8 v32, v[0:1] offset:64
.LBB297_8:
	;; [unrolled: 9-line block ×7, first 2 shown]
	s_or_b32 exec_lo, exec_lo, s7
	v_lshlrev_b64 v[0:1], 3, v[8:9]
	v_lshlrev_b32_e32 v9, 3, v16
	s_delay_alu instid0(VALU_DEP_2) | instskip(NEXT) | instid1(VALU_DEP_1)
	v_add_co_u32 v18, s7, v4, v0
	v_add_co_ci_u32_e64 v19, s7, v5, v1, s7
	v_lshlrev_b64 v[4:5], 3, v[14:15]
	s_delay_alu instid0(VALU_DEP_3) | instskip(NEXT) | instid1(VALU_DEP_1)
	v_add_co_u32 v9, s7, v18, v9
	v_add_co_ci_u32_e64 v14, s7, 0, v19, s7
                                        ; implicit-def: $vgpr18_vgpr19
	s_delay_alu instid0(VALU_DEP_2) | instskip(NEXT) | instid1(VALU_DEP_1)
	v_add_co_u32 v4, s7, v9, v4
	v_add_co_ci_u32_e64 v5, s7, v14, v5, s7
	s_and_saveexec_b32 s7, vcc_lo
	s_cbranch_execnz .LBB297_112
; %bb.19:
	s_or_b32 exec_lo, exec_lo, s7
                                        ; implicit-def: $vgpr20_vgpr21
	s_and_saveexec_b32 s7, s0
	s_cbranch_execnz .LBB297_113
.LBB297_20:
	s_or_b32 exec_lo, exec_lo, s7
                                        ; implicit-def: $vgpr22_vgpr23
	s_and_saveexec_b32 s0, s1
	s_cbranch_execnz .LBB297_114
.LBB297_21:
	s_or_b32 exec_lo, exec_lo, s0
                                        ; implicit-def: $vgpr24_vgpr25
	s_and_saveexec_b32 s0, s2
	s_cbranch_execnz .LBB297_115
.LBB297_22:
	s_or_b32 exec_lo, exec_lo, s0
                                        ; implicit-def: $vgpr84_vgpr85
	s_and_saveexec_b32 s0, s3
	s_cbranch_execnz .LBB297_116
.LBB297_23:
	s_or_b32 exec_lo, exec_lo, s0
                                        ; implicit-def: $vgpr86_vgpr87
	s_and_saveexec_b32 s0, s4
	s_cbranch_execnz .LBB297_117
.LBB297_24:
	s_or_b32 exec_lo, exec_lo, s0
                                        ; implicit-def: $vgpr96_vgpr97
	s_and_saveexec_b32 s0, s5
	s_cbranch_execnz .LBB297_118
.LBB297_25:
	s_or_b32 exec_lo, exec_lo, s0
                                        ; implicit-def: $vgpr98_vgpr99
	s_and_saveexec_b32 s0, s6
	s_cbranch_execz .LBB297_27
.LBB297_26:
	flat_load_b64 v[98:99], v[4:5] offset:1792
.LBB297_27:
	s_or_b32 exec_lo, exec_lo, s0
	v_dual_mov_b32 v15, 0 :: v_dual_lshlrev_b32 v14, 5, v26
	s_mov_b32 s20, 0
	v_add_co_u32 v9, vcc_lo, v12, 32
	s_waitcnt vmcnt(0) lgkmcnt(0)
	v_xor_b32_e32 v37, 0x7f, v32
	v_xor_b32_e32 v48, 0x7f, v31
	s_mov_b32 s21, s20
	s_mov_b32 s22, s20
	;; [unrolled: 1-line block ×3, first 2 shown]
	v_and_b32_e32 v31, 0x3e0, v26
	v_add_nc_u32_e32 v32, -1, v16
	v_add_co_ci_u32_e32 v135, vcc_lo, 0, v13, vcc_lo
	v_add_co_u32 v4, vcc_lo, v12, v14
	v_add_co_ci_u32_e32 v5, vcc_lo, 0, v13, vcc_lo
	v_xor_b32_e32 v35, 0x7f, v28
	v_xor_b32_e32 v39, 0x7f, v30
	v_and_b32_e32 v30, 15, v16
	v_add_co_u32 v28, vcc_lo, v9, v14
	v_min_u32_e32 v14, 0xe0, v31
	v_cmp_gt_i32_e64 s4, 0, v32
	s_getpc_b64 s[0:1]
	s_add_u32 s0, s0, _ZN7rocprim17ROCPRIM_400000_NS16block_radix_sortIaLj256ELj8ElLj1ELj1ELj8ELNS0_26block_radix_rank_algorithmE2ELNS0_18block_padding_hintE2ELNS0_4arch9wavefront6targetE0EE19radix_bits_per_passE@rel32@lo+4
	s_addc_u32 s1, s1, _ZN7rocprim17ROCPRIM_400000_NS16block_radix_sortIaLj256ELj8ElLj1ELj1ELj8ELNS0_26block_radix_rank_algorithmE2ELNS0_18block_padding_hintE2ELNS0_4arch9wavefront6targetE0EE19radix_bits_per_passE@rel32@hi+12
	v_xor_b32_e32 v36, 0x7f, v29
	v_add_co_ci_u32_e32 v29, vcc_lo, 0, v135, vcc_lo
	s_load_b32 s25, s[0:1], 0x0
	v_cmp_eq_u32_e32 vcc_lo, 0, v30
	v_cmp_lt_u32_e64 s0, 1, v30
	v_cmp_lt_u32_e64 s1, 3, v30
	;; [unrolled: 1-line block ×3, first 2 shown]
	v_or_b32_e32 v14, 31, v14
	v_cndmask_b32_e64 v30, v32, v16, s4
	v_lshrrev_b32_e32 v32, 5, v26
	v_xor_b32_e32 v38, 0x7f, v33
	v_xor_b32_e32 v34, 0x7f, v34
	v_xor_b32_e32 v17, 0x7f, v17
	v_lshlrev_b32_e32 v49, 3, v26
	v_cmp_eq_u32_e64 s4, v14, v26
	v_lshlrev_b32_e32 v14, 2, v32
	v_and_b32_e32 v35, 0xff, v35
	v_lshlrev_b16 v36, 8, v36
	v_and_b32_e32 v37, 0xff, v37
	v_lshlrev_b16 v38, 8, v38
	;; [unrolled: 2-line block ×4, first 2 shown]
	v_and_b32_e32 v31, 16, v16
	v_cmp_eq_u32_e64 s7, 0, v16
	v_and_b32_e32 v50, 7, v16
	v_and_or_b32 v16, 0x1f00, v49, v16
	v_lshlrev_b32_e32 v145, 2, v30
	v_lshlrev_b32_e32 v33, 2, v26
	v_add_co_u32 v30, s11, v12, v14
	v_add_nc_u32_e32 v14, -1, v32
	v_or_b32_e32 v36, v35, v36
	v_or_b32_e32 v37, v37, v38
	;; [unrolled: 1-line block ×4, first 2 shown]
	v_cmp_eq_u32_e64 s3, 0, v31
	v_add_co_ci_u32_e64 v31, s11, 0, v13, s11
	v_add_co_u32 v34, s16, v12, v16
	v_add_co_u32 v32, s11, v12, v33
	v_lshlrev_b64 v[14:15], 2, v[14:15]
	v_add_co_ci_u32_e64 v35, s16, 0, v13, s16
	v_add_co_ci_u32_e64 v33, s11, 0, v13, s11
	v_cmp_eq_u32_e64 s11, 0, v50
	v_cmp_lt_u32_e64 s14, 1, v50
	v_cmp_lt_u32_e64 s15, 3, v50
	v_and_b32_e32 v48, 0xffff, v36
	v_lshlrev_b32_e32 v49, 16, v37
	v_and_b32_e32 v50, 0xffff, v38
	v_lshlrev_b32_e32 v17, 16, v17
	v_add_co_u32 v36, s16, v12, v14
	v_mad_u64_u32 v[38:39], null, v16, 7, v[34:35]
	v_add_co_ci_u32_e64 v37, s16, v13, v15, s16
	v_or_b32_e32 v48, v48, v49
	v_or_b32_e32 v49, v50, v17
	v_mov_b32_e32 v14, s20
	v_lshrrev_b32_e32 v144, 5, v27
	v_cmp_gt_u32_e64 s5, 8, v26
	v_cmp_lt_u32_e64 s6, 31, v26
	v_cmp_eq_u32_e64 s10, 0, v26
	v_sub_nc_u32_e32 v146, v11, v10
	v_dual_mov_b32 v15, s21 :: v_dual_mov_b32 v16, s22
	v_mov_b32_e32 v17, s23
	s_waitcnt lgkmcnt(0)
	s_waitcnt_vscnt null, 0x0
	s_barrier
	buffer_gl0_inv
	s_branch .LBB297_29
.LBB297_28:                             ;   in Loop: Header=BB297_29 Depth=1
	s_or_b32 exec_lo, exec_lo, s17
	s_delay_alu instid0(SALU_CYCLE_1) | instskip(NEXT) | instid1(SALU_CYCLE_1)
	s_and_b32 s16, exec_lo, s18
	s_or_b32 s20, s16, s20
	s_delay_alu instid0(SALU_CYCLE_1)
	s_and_not1_b32 exec_lo, exec_lo, s20
	s_cbranch_execz .LBB297_53
.LBB297_29:                             ; =>This Inner Loop Header: Depth=1
	v_min_u32_e32 v50, s25, v146
	v_and_b32_e32 v51, 0xff, v48
	v_dual_mov_b32 v81, v19 :: v_dual_mov_b32 v80, v18
	s_clause 0x1
	flat_store_b128 v[4:5], v[14:17] offset:32
	flat_store_b128 v[28:29], v[14:17] offset:16
	v_lshlrev_b32_e64 v50, v50, -1
	v_lshrrev_b32_e32 v51, v10, v51
	s_waitcnt lgkmcnt(0)
	s_waitcnt_vscnt null, 0x0
	s_barrier
	buffer_gl0_inv
	v_not_b32_e32 v114, v50
	; wave barrier
	v_dual_mov_b32 v71, v21 :: v_dual_mov_b32 v70, v20
	s_delay_alu instid0(VALU_DEP_2) | instskip(SKIP_1) | instid1(VALU_DEP_2)
	v_dual_mov_b32 v69, v25 :: v_dual_and_b32 v82, v51, v114
	v_mov_b32_e32 v68, v24
	v_and_b32_e32 v50, 1, v82
	v_lshlrev_b32_e32 v51, 30, v82
	v_lshlrev_b32_e32 v52, 29, v82
	;; [unrolled: 1-line block ×4, first 2 shown]
	v_add_co_u32 v50, s16, v50, -1
	s_delay_alu instid0(VALU_DEP_1)
	v_cndmask_b32_e64 v54, 0, 1, s16
	v_not_b32_e32 v66, v51
	v_cmp_gt_i32_e64 s17, 0, v51
	v_not_b32_e32 v51, v52
	v_lshlrev_b32_e32 v64, 26, v82
	v_cmp_ne_u32_e64 s16, 0, v54
	v_ashrrev_i32_e32 v66, 31, v66
	v_lshlrev_b32_e32 v65, 25, v82
	v_ashrrev_i32_e32 v51, 31, v51
	v_lshlrev_b32_e32 v54, 24, v82
	v_xor_b32_e32 v50, s16, v50
	v_cmp_gt_i32_e64 s16, 0, v52
	v_not_b32_e32 v52, v53
	v_xor_b32_e32 v66, s17, v66
	v_cmp_gt_i32_e64 s17, 0, v53
	v_and_b32_e32 v50, exec_lo, v50
	v_not_b32_e32 v53, v55
	v_ashrrev_i32_e32 v52, 31, v52
	v_xor_b32_e32 v51, s16, v51
	v_cmp_gt_i32_e64 s16, 0, v55
	v_and_b32_e32 v50, v50, v66
	v_mov_b32_e32 v66, v84
	v_ashrrev_i32_e32 v53, 31, v53
	v_xor_b32_e32 v52, s17, v52
	v_mov_b32_e32 v67, v85
	v_not_b32_e32 v55, v64
	v_and_b32_e32 v50, v50, v51
	v_cmp_gt_i32_e64 s17, 0, v64
	v_not_b32_e32 v51, v65
	v_xor_b32_e32 v53, s16, v53
	v_ashrrev_i32_e32 v55, 31, v55
	v_and_b32_e32 v50, v50, v52
	v_cmp_gt_i32_e64 s16, 0, v65
	v_mov_b32_e32 v64, v86
	v_ashrrev_i32_e32 v51, 31, v51
	v_xor_b32_e32 v55, s17, v55
	v_dual_mov_b32 v65, v87 :: v_dual_and_b32 v50, v50, v53
	v_not_b32_e32 v52, v54
	v_cmp_gt_i32_e64 s17, 0, v54
	v_xor_b32_e32 v51, s16, v51
	s_delay_alu instid0(VALU_DEP_4) | instskip(NEXT) | instid1(VALU_DEP_4)
	v_dual_mov_b32 v55, v23 :: v_dual_and_b32 v50, v50, v55
	v_ashrrev_i32_e32 v52, 31, v52
	v_mov_b32_e32 v54, v22
	s_delay_alu instid0(VALU_DEP_3) | instskip(NEXT) | instid1(VALU_DEP_3)
	v_dual_mov_b32 v50, v96 :: v_dual_and_b32 v19, v50, v51
	v_xor_b32_e32 v18, s17, v52
	v_dual_mov_b32 v52, v98 :: v_dual_mov_b32 v51, v97
	v_mov_b32_e32 v53, v99
	s_delay_alu instid0(VALU_DEP_3) | instskip(SKIP_1) | instid1(VALU_DEP_2)
	v_and_b32_e32 v18, v19, v18
	v_lshlrev_b32_e32 v19, 3, v82
	v_mbcnt_lo_u32_b32 v116, v18, 0
	s_delay_alu instid0(VALU_DEP_2) | instskip(SKIP_1) | instid1(VALU_DEP_3)
	v_add_lshl_u32 v19, v19, v144, 2
	v_cmp_ne_u32_e64 s16, 0, v18
	v_cmp_eq_u32_e64 s17, 0, v116
	s_delay_alu instid0(VALU_DEP_3) | instskip(NEXT) | instid1(VALU_DEP_1)
	v_add_co_u32 v84, s18, v9, v19
	v_add_co_ci_u32_e64 v85, s18, 0, v135, s18
	s_delay_alu instid0(VALU_DEP_3) | instskip(NEXT) | instid1(SALU_CYCLE_1)
	s_and_b32 s17, s16, s17
	s_and_saveexec_b32 s16, s17
	s_cbranch_execz .LBB297_31
; %bb.30:                               ;   in Loop: Header=BB297_29 Depth=1
	v_bcnt_u32_b32 v18, v18, 0
	flat_store_b32 v[84:85], v18
.LBB297_31:                             ;   in Loop: Header=BB297_29 Depth=1
	s_or_b32 exec_lo, exec_lo, s16
	v_bfe_u32 v18, v48, 8, 8
	; wave barrier
	v_dual_mov_b32 v83, v49 :: v_dual_mov_b32 v82, v48
	s_delay_alu instid0(VALU_DEP_2) | instskip(NEXT) | instid1(VALU_DEP_1)
	v_lshrrev_b32_e32 v18, v10, v18
	v_and_b32_e32 v18, v18, v114
	s_delay_alu instid0(VALU_DEP_1) | instskip(SKIP_3) | instid1(VALU_DEP_4)
	v_lshlrev_b32_e32 v19, 3, v18
	v_lshlrev_b32_e32 v21, 30, v18
	;; [unrolled: 1-line block ×4, first 2 shown]
	v_add_lshl_u32 v19, v19, v144, 2
	s_delay_alu instid0(VALU_DEP_1) | instskip(NEXT) | instid1(VALU_DEP_1)
	v_add_co_u32 v86, s16, v9, v19
	v_add_co_ci_u32_e64 v87, s16, 0, v135, s16
	v_and_b32_e32 v19, 1, v18
	flat_load_b32 v117, v[86:87]
	v_add_co_u32 v19, s16, v19, -1
	s_delay_alu instid0(VALU_DEP_1) | instskip(NEXT) | instid1(VALU_DEP_1)
	v_cndmask_b32_e64 v20, 0, 1, s16
	; wave barrier
	v_cmp_ne_u32_e64 s16, 0, v20
	v_not_b32_e32 v20, v21
	s_delay_alu instid0(VALU_DEP_2) | instskip(SKIP_1) | instid1(VALU_DEP_3)
	v_xor_b32_e32 v19, s16, v19
	v_cmp_gt_i32_e64 s16, 0, v21
	v_ashrrev_i32_e32 v20, 31, v20
	v_not_b32_e32 v21, v22
	s_delay_alu instid0(VALU_DEP_4) | instskip(NEXT) | instid1(VALU_DEP_3)
	v_and_b32_e32 v19, exec_lo, v19
	v_xor_b32_e32 v20, s16, v20
	v_cmp_gt_i32_e64 s16, 0, v22
	s_delay_alu instid0(VALU_DEP_4) | instskip(SKIP_1) | instid1(VALU_DEP_4)
	v_ashrrev_i32_e32 v21, 31, v21
	v_not_b32_e32 v22, v23
	v_and_b32_e32 v19, v19, v20
	v_lshlrev_b32_e32 v20, 27, v18
	s_delay_alu instid0(VALU_DEP_4) | instskip(SKIP_2) | instid1(VALU_DEP_4)
	v_xor_b32_e32 v21, s16, v21
	v_cmp_gt_i32_e64 s16, 0, v23
	v_ashrrev_i32_e32 v22, 31, v22
	v_not_b32_e32 v23, v20
	s_delay_alu instid0(VALU_DEP_4) | instskip(SKIP_1) | instid1(VALU_DEP_4)
	v_and_b32_e32 v19, v19, v21
	v_lshlrev_b32_e32 v21, 26, v18
	v_xor_b32_e32 v22, s16, v22
	v_cmp_gt_i32_e64 s16, 0, v20
	v_ashrrev_i32_e32 v20, 31, v23
	s_delay_alu instid0(VALU_DEP_4) | instskip(NEXT) | instid1(VALU_DEP_4)
	v_not_b32_e32 v23, v21
	v_and_b32_e32 v19, v19, v22
	v_lshlrev_b32_e32 v22, 25, v18
	s_delay_alu instid0(VALU_DEP_4)
	v_xor_b32_e32 v20, s16, v20
	v_cmp_gt_i32_e64 s16, 0, v21
	v_ashrrev_i32_e32 v21, 31, v23
	v_lshlrev_b32_e32 v18, 24, v18
	v_not_b32_e32 v23, v22
	v_and_b32_e32 v19, v19, v20
	s_delay_alu instid0(VALU_DEP_4) | instskip(SKIP_1) | instid1(VALU_DEP_4)
	v_xor_b32_e32 v20, s16, v21
	v_cmp_gt_i32_e64 s16, 0, v22
	v_ashrrev_i32_e32 v21, 31, v23
	v_not_b32_e32 v22, v18
	s_delay_alu instid0(VALU_DEP_4) | instskip(NEXT) | instid1(VALU_DEP_3)
	v_and_b32_e32 v19, v19, v20
	v_xor_b32_e32 v20, s16, v21
	v_cmp_gt_i32_e64 s16, 0, v18
	s_delay_alu instid0(VALU_DEP_4) | instskip(NEXT) | instid1(VALU_DEP_3)
	v_ashrrev_i32_e32 v18, 31, v22
	v_and_b32_e32 v19, v19, v20
	s_delay_alu instid0(VALU_DEP_2) | instskip(NEXT) | instid1(VALU_DEP_1)
	v_xor_b32_e32 v18, s16, v18
	v_and_b32_e32 v18, v19, v18
	s_delay_alu instid0(VALU_DEP_1) | instskip(SKIP_1) | instid1(VALU_DEP_2)
	v_mbcnt_lo_u32_b32 v118, v18, 0
	v_cmp_ne_u32_e64 s17, 0, v18
	v_cmp_eq_u32_e64 s16, 0, v118
	s_delay_alu instid0(VALU_DEP_1) | instskip(NEXT) | instid1(SALU_CYCLE_1)
	s_and_b32 s17, s17, s16
	s_and_saveexec_b32 s16, s17
	s_cbranch_execz .LBB297_33
; %bb.32:                               ;   in Loop: Header=BB297_29 Depth=1
	s_waitcnt vmcnt(0) lgkmcnt(0)
	v_bcnt_u32_b32 v18, v18, v117
	flat_store_b32 v[86:87], v18
.LBB297_33:                             ;   in Loop: Header=BB297_29 Depth=1
	s_or_b32 exec_lo, exec_lo, s16
	v_bfe_u32 v18, v48, 16, 8
	; wave barrier
	s_delay_alu instid0(VALU_DEP_1) | instskip(NEXT) | instid1(VALU_DEP_1)
	v_lshrrev_b32_e32 v18, v10, v18
	v_and_b32_e32 v18, v18, v114
	s_delay_alu instid0(VALU_DEP_1) | instskip(SKIP_3) | instid1(VALU_DEP_4)
	v_lshlrev_b32_e32 v19, 3, v18
	v_lshlrev_b32_e32 v21, 30, v18
	;; [unrolled: 1-line block ×4, first 2 shown]
	v_add_lshl_u32 v19, v19, v144, 2
	s_delay_alu instid0(VALU_DEP_1) | instskip(NEXT) | instid1(VALU_DEP_1)
	v_add_co_u32 v96, s16, v9, v19
	v_add_co_ci_u32_e64 v97, s16, 0, v135, s16
	v_and_b32_e32 v19, 1, v18
	flat_load_b32 v82, v[96:97]
	v_add_co_u32 v19, s16, v19, -1
	s_delay_alu instid0(VALU_DEP_1) | instskip(NEXT) | instid1(VALU_DEP_1)
	v_cndmask_b32_e64 v20, 0, 1, s16
	; wave barrier
	v_cmp_ne_u32_e64 s16, 0, v20
	v_not_b32_e32 v20, v21
	s_delay_alu instid0(VALU_DEP_2) | instskip(SKIP_1) | instid1(VALU_DEP_3)
	v_xor_b32_e32 v19, s16, v19
	v_cmp_gt_i32_e64 s16, 0, v21
	v_ashrrev_i32_e32 v20, 31, v20
	v_not_b32_e32 v21, v22
	s_delay_alu instid0(VALU_DEP_4) | instskip(NEXT) | instid1(VALU_DEP_3)
	v_and_b32_e32 v19, exec_lo, v19
	v_xor_b32_e32 v20, s16, v20
	v_cmp_gt_i32_e64 s16, 0, v22
	s_delay_alu instid0(VALU_DEP_4) | instskip(SKIP_1) | instid1(VALU_DEP_4)
	v_ashrrev_i32_e32 v21, 31, v21
	v_not_b32_e32 v22, v23
	v_and_b32_e32 v19, v19, v20
	v_lshlrev_b32_e32 v20, 27, v18
	s_delay_alu instid0(VALU_DEP_4) | instskip(SKIP_2) | instid1(VALU_DEP_4)
	v_xor_b32_e32 v21, s16, v21
	v_cmp_gt_i32_e64 s16, 0, v23
	v_ashrrev_i32_e32 v22, 31, v22
	v_not_b32_e32 v23, v20
	s_delay_alu instid0(VALU_DEP_4) | instskip(SKIP_1) | instid1(VALU_DEP_4)
	v_and_b32_e32 v19, v19, v21
	v_lshlrev_b32_e32 v21, 26, v18
	v_xor_b32_e32 v22, s16, v22
	v_cmp_gt_i32_e64 s16, 0, v20
	v_ashrrev_i32_e32 v20, 31, v23
	s_delay_alu instid0(VALU_DEP_4) | instskip(NEXT) | instid1(VALU_DEP_4)
	v_not_b32_e32 v23, v21
	v_and_b32_e32 v19, v19, v22
	v_lshlrev_b32_e32 v22, 25, v18
	s_delay_alu instid0(VALU_DEP_4)
	v_xor_b32_e32 v20, s16, v20
	v_cmp_gt_i32_e64 s16, 0, v21
	v_ashrrev_i32_e32 v21, 31, v23
	v_lshlrev_b32_e32 v18, 24, v18
	v_not_b32_e32 v23, v22
	v_and_b32_e32 v19, v19, v20
	s_delay_alu instid0(VALU_DEP_4) | instskip(SKIP_1) | instid1(VALU_DEP_4)
	v_xor_b32_e32 v20, s16, v21
	v_cmp_gt_i32_e64 s16, 0, v22
	v_ashrrev_i32_e32 v21, 31, v23
	v_not_b32_e32 v22, v18
	s_delay_alu instid0(VALU_DEP_4) | instskip(NEXT) | instid1(VALU_DEP_3)
	v_and_b32_e32 v19, v19, v20
	v_xor_b32_e32 v20, s16, v21
	v_cmp_gt_i32_e64 s16, 0, v18
	s_delay_alu instid0(VALU_DEP_4) | instskip(NEXT) | instid1(VALU_DEP_3)
	v_ashrrev_i32_e32 v18, 31, v22
	v_and_b32_e32 v19, v19, v20
	s_delay_alu instid0(VALU_DEP_2) | instskip(NEXT) | instid1(VALU_DEP_1)
	v_xor_b32_e32 v18, s16, v18
	v_and_b32_e32 v18, v19, v18
	s_delay_alu instid0(VALU_DEP_1) | instskip(SKIP_1) | instid1(VALU_DEP_2)
	v_mbcnt_lo_u32_b32 v119, v18, 0
	v_cmp_ne_u32_e64 s17, 0, v18
	v_cmp_eq_u32_e64 s16, 0, v119
	s_delay_alu instid0(VALU_DEP_1) | instskip(NEXT) | instid1(SALU_CYCLE_1)
	s_and_b32 s17, s17, s16
	s_and_saveexec_b32 s16, s17
	s_cbranch_execz .LBB297_35
; %bb.34:                               ;   in Loop: Header=BB297_29 Depth=1
	s_waitcnt vmcnt(0) lgkmcnt(0)
	v_bcnt_u32_b32 v18, v18, v82
	flat_store_b32 v[96:97], v18
.LBB297_35:                             ;   in Loop: Header=BB297_29 Depth=1
	s_or_b32 exec_lo, exec_lo, s16
	v_alignbit_b32 v18, v49, v48, 24
	; wave barrier
	s_delay_alu instid0(VALU_DEP_1) | instskip(NEXT) | instid1(VALU_DEP_1)
	v_and_b32_e32 v18, 0xff, v18
	v_lshrrev_b32_e32 v18, v10, v18
	s_delay_alu instid0(VALU_DEP_1) | instskip(NEXT) | instid1(VALU_DEP_1)
	v_and_b32_e32 v18, v18, v114
	v_lshlrev_b32_e32 v19, 3, v18
	v_lshlrev_b32_e32 v21, 30, v18
	;; [unrolled: 1-line block ×4, first 2 shown]
	s_delay_alu instid0(VALU_DEP_4) | instskip(NEXT) | instid1(VALU_DEP_1)
	v_add_lshl_u32 v19, v19, v144, 2
	v_add_co_u32 v98, s16, v9, v19
	s_delay_alu instid0(VALU_DEP_1) | instskip(SKIP_3) | instid1(VALU_DEP_1)
	v_add_co_ci_u32_e64 v99, s16, 0, v135, s16
	v_and_b32_e32 v19, 1, v18
	flat_load_b32 v128, v[98:99]
	v_add_co_u32 v19, s16, v19, -1
	v_cndmask_b32_e64 v20, 0, 1, s16
	; wave barrier
	s_delay_alu instid0(VALU_DEP_1) | instskip(SKIP_1) | instid1(VALU_DEP_2)
	v_cmp_ne_u32_e64 s16, 0, v20
	v_not_b32_e32 v20, v21
	v_xor_b32_e32 v19, s16, v19
	v_cmp_gt_i32_e64 s16, 0, v21
	s_delay_alu instid0(VALU_DEP_3) | instskip(SKIP_1) | instid1(VALU_DEP_4)
	v_ashrrev_i32_e32 v20, 31, v20
	v_not_b32_e32 v21, v22
	v_and_b32_e32 v19, exec_lo, v19
	s_delay_alu instid0(VALU_DEP_3) | instskip(SKIP_1) | instid1(VALU_DEP_4)
	v_xor_b32_e32 v20, s16, v20
	v_cmp_gt_i32_e64 s16, 0, v22
	v_ashrrev_i32_e32 v21, 31, v21
	v_not_b32_e32 v22, v23
	s_delay_alu instid0(VALU_DEP_4) | instskip(SKIP_1) | instid1(VALU_DEP_4)
	v_and_b32_e32 v19, v19, v20
	v_lshlrev_b32_e32 v20, 27, v18
	v_xor_b32_e32 v21, s16, v21
	v_cmp_gt_i32_e64 s16, 0, v23
	v_ashrrev_i32_e32 v22, 31, v22
	s_delay_alu instid0(VALU_DEP_4) | instskip(NEXT) | instid1(VALU_DEP_4)
	v_not_b32_e32 v23, v20
	v_and_b32_e32 v19, v19, v21
	v_lshlrev_b32_e32 v21, 26, v18
	s_delay_alu instid0(VALU_DEP_4) | instskip(SKIP_2) | instid1(VALU_DEP_4)
	v_xor_b32_e32 v22, s16, v22
	v_cmp_gt_i32_e64 s16, 0, v20
	v_ashrrev_i32_e32 v20, 31, v23
	v_not_b32_e32 v23, v21
	s_delay_alu instid0(VALU_DEP_4) | instskip(SKIP_1) | instid1(VALU_DEP_4)
	v_and_b32_e32 v19, v19, v22
	v_lshlrev_b32_e32 v22, 25, v18
	v_xor_b32_e32 v20, s16, v20
	v_cmp_gt_i32_e64 s16, 0, v21
	v_ashrrev_i32_e32 v21, 31, v23
	v_lshlrev_b32_e32 v18, 24, v18
	v_not_b32_e32 v23, v22
	v_and_b32_e32 v19, v19, v20
	s_delay_alu instid0(VALU_DEP_4) | instskip(SKIP_1) | instid1(VALU_DEP_4)
	v_xor_b32_e32 v20, s16, v21
	v_cmp_gt_i32_e64 s16, 0, v22
	v_ashrrev_i32_e32 v21, 31, v23
	v_not_b32_e32 v22, v18
	s_delay_alu instid0(VALU_DEP_4) | instskip(NEXT) | instid1(VALU_DEP_3)
	v_and_b32_e32 v19, v19, v20
	v_xor_b32_e32 v20, s16, v21
	v_cmp_gt_i32_e64 s16, 0, v18
	s_delay_alu instid0(VALU_DEP_4) | instskip(NEXT) | instid1(VALU_DEP_3)
	v_ashrrev_i32_e32 v18, 31, v22
	v_and_b32_e32 v19, v19, v20
	s_delay_alu instid0(VALU_DEP_2) | instskip(NEXT) | instid1(VALU_DEP_1)
	v_xor_b32_e32 v18, s16, v18
	v_and_b32_e32 v18, v19, v18
	s_delay_alu instid0(VALU_DEP_1) | instskip(SKIP_1) | instid1(VALU_DEP_2)
	v_mbcnt_lo_u32_b32 v129, v18, 0
	v_cmp_ne_u32_e64 s17, 0, v18
	v_cmp_eq_u32_e64 s16, 0, v129
	s_delay_alu instid0(VALU_DEP_1) | instskip(NEXT) | instid1(SALU_CYCLE_1)
	s_and_b32 s17, s17, s16
	s_and_saveexec_b32 s16, s17
	s_cbranch_execz .LBB297_37
; %bb.36:                               ;   in Loop: Header=BB297_29 Depth=1
	s_waitcnt vmcnt(0) lgkmcnt(0)
	v_bcnt_u32_b32 v18, v18, v128
	flat_store_b32 v[98:99], v18
.LBB297_37:                             ;   in Loop: Header=BB297_29 Depth=1
	s_or_b32 exec_lo, exec_lo, s16
	v_and_b32_e32 v18, 0xff, v49
	; wave barrier
	s_delay_alu instid0(VALU_DEP_1) | instskip(NEXT) | instid1(VALU_DEP_1)
	v_lshrrev_b32_e32 v18, v10, v18
	v_and_b32_e32 v18, v18, v114
	s_delay_alu instid0(VALU_DEP_1) | instskip(SKIP_3) | instid1(VALU_DEP_4)
	v_lshlrev_b32_e32 v19, 3, v18
	v_lshlrev_b32_e32 v21, 30, v18
	;; [unrolled: 1-line block ×4, first 2 shown]
	v_add_lshl_u32 v19, v19, v144, 2
	s_delay_alu instid0(VALU_DEP_1) | instskip(NEXT) | instid1(VALU_DEP_1)
	v_add_co_u32 v100, s16, v9, v19
	v_add_co_ci_u32_e64 v101, s16, 0, v135, s16
	v_and_b32_e32 v19, 1, v18
	flat_load_b32 v130, v[100:101]
	v_add_co_u32 v19, s16, v19, -1
	s_delay_alu instid0(VALU_DEP_1) | instskip(NEXT) | instid1(VALU_DEP_1)
	v_cndmask_b32_e64 v20, 0, 1, s16
	; wave barrier
	v_cmp_ne_u32_e64 s16, 0, v20
	v_not_b32_e32 v20, v21
	s_delay_alu instid0(VALU_DEP_2) | instskip(SKIP_1) | instid1(VALU_DEP_3)
	v_xor_b32_e32 v19, s16, v19
	v_cmp_gt_i32_e64 s16, 0, v21
	v_ashrrev_i32_e32 v20, 31, v20
	v_not_b32_e32 v21, v22
	s_delay_alu instid0(VALU_DEP_4) | instskip(NEXT) | instid1(VALU_DEP_3)
	v_and_b32_e32 v19, exec_lo, v19
	v_xor_b32_e32 v20, s16, v20
	v_cmp_gt_i32_e64 s16, 0, v22
	s_delay_alu instid0(VALU_DEP_4) | instskip(SKIP_1) | instid1(VALU_DEP_4)
	v_ashrrev_i32_e32 v21, 31, v21
	v_not_b32_e32 v22, v23
	v_and_b32_e32 v19, v19, v20
	v_lshlrev_b32_e32 v20, 27, v18
	s_delay_alu instid0(VALU_DEP_4) | instskip(SKIP_2) | instid1(VALU_DEP_4)
	v_xor_b32_e32 v21, s16, v21
	v_cmp_gt_i32_e64 s16, 0, v23
	v_ashrrev_i32_e32 v22, 31, v22
	v_not_b32_e32 v23, v20
	s_delay_alu instid0(VALU_DEP_4) | instskip(SKIP_1) | instid1(VALU_DEP_4)
	v_and_b32_e32 v19, v19, v21
	v_lshlrev_b32_e32 v21, 26, v18
	v_xor_b32_e32 v22, s16, v22
	v_cmp_gt_i32_e64 s16, 0, v20
	v_ashrrev_i32_e32 v20, 31, v23
	s_delay_alu instid0(VALU_DEP_4) | instskip(NEXT) | instid1(VALU_DEP_4)
	v_not_b32_e32 v23, v21
	v_and_b32_e32 v19, v19, v22
	v_lshlrev_b32_e32 v22, 25, v18
	s_delay_alu instid0(VALU_DEP_4)
	v_xor_b32_e32 v20, s16, v20
	v_cmp_gt_i32_e64 s16, 0, v21
	v_ashrrev_i32_e32 v21, 31, v23
	v_lshlrev_b32_e32 v18, 24, v18
	v_not_b32_e32 v23, v22
	v_and_b32_e32 v19, v19, v20
	s_delay_alu instid0(VALU_DEP_4) | instskip(SKIP_1) | instid1(VALU_DEP_4)
	v_xor_b32_e32 v20, s16, v21
	v_cmp_gt_i32_e64 s16, 0, v22
	v_ashrrev_i32_e32 v21, 31, v23
	v_not_b32_e32 v22, v18
	s_delay_alu instid0(VALU_DEP_4) | instskip(NEXT) | instid1(VALU_DEP_3)
	v_and_b32_e32 v19, v19, v20
	v_xor_b32_e32 v20, s16, v21
	v_cmp_gt_i32_e64 s16, 0, v18
	s_delay_alu instid0(VALU_DEP_4) | instskip(NEXT) | instid1(VALU_DEP_3)
	v_ashrrev_i32_e32 v18, 31, v22
	v_and_b32_e32 v19, v19, v20
	s_delay_alu instid0(VALU_DEP_2) | instskip(NEXT) | instid1(VALU_DEP_1)
	v_xor_b32_e32 v18, s16, v18
	v_and_b32_e32 v18, v19, v18
	s_delay_alu instid0(VALU_DEP_1) | instskip(SKIP_1) | instid1(VALU_DEP_2)
	v_mbcnt_lo_u32_b32 v131, v18, 0
	v_cmp_ne_u32_e64 s17, 0, v18
	v_cmp_eq_u32_e64 s16, 0, v131
	s_delay_alu instid0(VALU_DEP_1) | instskip(NEXT) | instid1(SALU_CYCLE_1)
	s_and_b32 s17, s17, s16
	s_and_saveexec_b32 s16, s17
	s_cbranch_execz .LBB297_39
; %bb.38:                               ;   in Loop: Header=BB297_29 Depth=1
	s_waitcnt vmcnt(0) lgkmcnt(0)
	v_bcnt_u32_b32 v18, v18, v130
	flat_store_b32 v[100:101], v18
.LBB297_39:                             ;   in Loop: Header=BB297_29 Depth=1
	s_or_b32 exec_lo, exec_lo, s16
	v_bfe_u32 v18, v49, 8, 8
	; wave barrier
	s_delay_alu instid0(VALU_DEP_1) | instskip(NEXT) | instid1(VALU_DEP_1)
	v_lshrrev_b32_e32 v18, v10, v18
	v_and_b32_e32 v18, v18, v114
	s_delay_alu instid0(VALU_DEP_1) | instskip(SKIP_3) | instid1(VALU_DEP_4)
	v_lshlrev_b32_e32 v19, 3, v18
	v_lshlrev_b32_e32 v21, 30, v18
	v_lshlrev_b32_e32 v22, 29, v18
	v_lshlrev_b32_e32 v23, 28, v18
	v_add_lshl_u32 v19, v19, v144, 2
	s_delay_alu instid0(VALU_DEP_1) | instskip(NEXT) | instid1(VALU_DEP_1)
	v_add_co_u32 v102, s16, v9, v19
	v_add_co_ci_u32_e64 v103, s16, 0, v135, s16
	v_and_b32_e32 v19, 1, v18
	flat_load_b32 v147, v[102:103]
	v_add_co_u32 v19, s16, v19, -1
	s_delay_alu instid0(VALU_DEP_1) | instskip(NEXT) | instid1(VALU_DEP_1)
	v_cndmask_b32_e64 v20, 0, 1, s16
	; wave barrier
	v_cmp_ne_u32_e64 s16, 0, v20
	v_not_b32_e32 v20, v21
	s_delay_alu instid0(VALU_DEP_2) | instskip(SKIP_1) | instid1(VALU_DEP_3)
	v_xor_b32_e32 v19, s16, v19
	v_cmp_gt_i32_e64 s16, 0, v21
	v_ashrrev_i32_e32 v20, 31, v20
	v_not_b32_e32 v21, v22
	s_delay_alu instid0(VALU_DEP_4) | instskip(NEXT) | instid1(VALU_DEP_3)
	v_and_b32_e32 v19, exec_lo, v19
	v_xor_b32_e32 v20, s16, v20
	v_cmp_gt_i32_e64 s16, 0, v22
	s_delay_alu instid0(VALU_DEP_4) | instskip(SKIP_1) | instid1(VALU_DEP_4)
	v_ashrrev_i32_e32 v21, 31, v21
	v_not_b32_e32 v22, v23
	v_and_b32_e32 v19, v19, v20
	v_lshlrev_b32_e32 v20, 27, v18
	s_delay_alu instid0(VALU_DEP_4) | instskip(SKIP_2) | instid1(VALU_DEP_4)
	v_xor_b32_e32 v21, s16, v21
	v_cmp_gt_i32_e64 s16, 0, v23
	v_ashrrev_i32_e32 v22, 31, v22
	v_not_b32_e32 v23, v20
	s_delay_alu instid0(VALU_DEP_4) | instskip(SKIP_1) | instid1(VALU_DEP_4)
	v_and_b32_e32 v19, v19, v21
	v_lshlrev_b32_e32 v21, 26, v18
	v_xor_b32_e32 v22, s16, v22
	v_cmp_gt_i32_e64 s16, 0, v20
	v_ashrrev_i32_e32 v20, 31, v23
	s_delay_alu instid0(VALU_DEP_4) | instskip(NEXT) | instid1(VALU_DEP_4)
	v_not_b32_e32 v23, v21
	v_and_b32_e32 v19, v19, v22
	v_lshlrev_b32_e32 v22, 25, v18
	s_delay_alu instid0(VALU_DEP_4)
	v_xor_b32_e32 v20, s16, v20
	v_cmp_gt_i32_e64 s16, 0, v21
	v_ashrrev_i32_e32 v21, 31, v23
	v_lshlrev_b32_e32 v18, 24, v18
	v_not_b32_e32 v23, v22
	v_and_b32_e32 v19, v19, v20
	s_delay_alu instid0(VALU_DEP_4) | instskip(SKIP_1) | instid1(VALU_DEP_4)
	v_xor_b32_e32 v20, s16, v21
	v_cmp_gt_i32_e64 s16, 0, v22
	v_ashrrev_i32_e32 v21, 31, v23
	v_not_b32_e32 v22, v18
	s_delay_alu instid0(VALU_DEP_4) | instskip(NEXT) | instid1(VALU_DEP_3)
	v_and_b32_e32 v19, v19, v20
	v_xor_b32_e32 v20, s16, v21
	v_cmp_gt_i32_e64 s16, 0, v18
	s_delay_alu instid0(VALU_DEP_4) | instskip(NEXT) | instid1(VALU_DEP_3)
	v_ashrrev_i32_e32 v18, 31, v22
	v_and_b32_e32 v19, v19, v20
	s_delay_alu instid0(VALU_DEP_2) | instskip(NEXT) | instid1(VALU_DEP_1)
	v_xor_b32_e32 v18, s16, v18
	v_and_b32_e32 v18, v19, v18
	s_delay_alu instid0(VALU_DEP_1) | instskip(SKIP_1) | instid1(VALU_DEP_2)
	v_mbcnt_lo_u32_b32 v149, v18, 0
	v_cmp_ne_u32_e64 s17, 0, v18
	v_cmp_eq_u32_e64 s16, 0, v149
	s_delay_alu instid0(VALU_DEP_1) | instskip(NEXT) | instid1(SALU_CYCLE_1)
	s_and_b32 s17, s17, s16
	s_and_saveexec_b32 s16, s17
	s_cbranch_execz .LBB297_41
; %bb.40:                               ;   in Loop: Header=BB297_29 Depth=1
	s_waitcnt vmcnt(0) lgkmcnt(0)
	v_bcnt_u32_b32 v18, v18, v147
	flat_store_b32 v[102:103], v18
.LBB297_41:                             ;   in Loop: Header=BB297_29 Depth=1
	s_or_b32 exec_lo, exec_lo, s16
	v_bfe_u32 v18, v49, 16, 8
	; wave barrier
	s_delay_alu instid0(VALU_DEP_1) | instskip(NEXT) | instid1(VALU_DEP_1)
	v_lshrrev_b32_e32 v18, v10, v18
	v_and_b32_e32 v18, v18, v114
	s_delay_alu instid0(VALU_DEP_1) | instskip(SKIP_3) | instid1(VALU_DEP_4)
	v_lshlrev_b32_e32 v19, 3, v18
	v_lshlrev_b32_e32 v21, 30, v18
	;; [unrolled: 1-line block ×4, first 2 shown]
	v_add_lshl_u32 v19, v19, v144, 2
	s_delay_alu instid0(VALU_DEP_1) | instskip(NEXT) | instid1(VALU_DEP_1)
	v_add_co_u32 v112, s16, v9, v19
	v_add_co_ci_u32_e64 v113, s16, 0, v135, s16
	v_and_b32_e32 v19, 1, v18
	flat_load_b32 v150, v[112:113]
	v_add_co_u32 v19, s16, v19, -1
	s_delay_alu instid0(VALU_DEP_1) | instskip(NEXT) | instid1(VALU_DEP_1)
	v_cndmask_b32_e64 v20, 0, 1, s16
	; wave barrier
	v_cmp_ne_u32_e64 s16, 0, v20
	v_not_b32_e32 v20, v21
	s_delay_alu instid0(VALU_DEP_2) | instskip(SKIP_1) | instid1(VALU_DEP_3)
	v_xor_b32_e32 v19, s16, v19
	v_cmp_gt_i32_e64 s16, 0, v21
	v_ashrrev_i32_e32 v20, 31, v20
	v_not_b32_e32 v21, v22
	s_delay_alu instid0(VALU_DEP_4) | instskip(NEXT) | instid1(VALU_DEP_3)
	v_and_b32_e32 v19, exec_lo, v19
	v_xor_b32_e32 v20, s16, v20
	v_cmp_gt_i32_e64 s16, 0, v22
	s_delay_alu instid0(VALU_DEP_4) | instskip(SKIP_1) | instid1(VALU_DEP_4)
	v_ashrrev_i32_e32 v21, 31, v21
	v_not_b32_e32 v22, v23
	v_and_b32_e32 v19, v19, v20
	v_lshlrev_b32_e32 v20, 27, v18
	s_delay_alu instid0(VALU_DEP_4) | instskip(SKIP_2) | instid1(VALU_DEP_4)
	v_xor_b32_e32 v21, s16, v21
	v_cmp_gt_i32_e64 s16, 0, v23
	v_ashrrev_i32_e32 v22, 31, v22
	v_not_b32_e32 v23, v20
	s_delay_alu instid0(VALU_DEP_4) | instskip(SKIP_1) | instid1(VALU_DEP_4)
	v_and_b32_e32 v19, v19, v21
	v_lshlrev_b32_e32 v21, 26, v18
	v_xor_b32_e32 v22, s16, v22
	v_cmp_gt_i32_e64 s16, 0, v20
	v_ashrrev_i32_e32 v20, 31, v23
	s_delay_alu instid0(VALU_DEP_4) | instskip(NEXT) | instid1(VALU_DEP_4)
	v_not_b32_e32 v23, v21
	v_and_b32_e32 v19, v19, v22
	v_lshlrev_b32_e32 v22, 25, v18
	s_delay_alu instid0(VALU_DEP_4)
	v_xor_b32_e32 v20, s16, v20
	v_cmp_gt_i32_e64 s16, 0, v21
	v_ashrrev_i32_e32 v21, 31, v23
	v_lshlrev_b32_e32 v18, 24, v18
	v_not_b32_e32 v23, v22
	v_and_b32_e32 v19, v19, v20
	s_delay_alu instid0(VALU_DEP_4) | instskip(SKIP_1) | instid1(VALU_DEP_4)
	v_xor_b32_e32 v20, s16, v21
	v_cmp_gt_i32_e64 s16, 0, v22
	v_ashrrev_i32_e32 v21, 31, v23
	v_not_b32_e32 v22, v18
	s_delay_alu instid0(VALU_DEP_4) | instskip(NEXT) | instid1(VALU_DEP_3)
	v_and_b32_e32 v19, v19, v20
	v_xor_b32_e32 v20, s16, v21
	v_cmp_gt_i32_e64 s16, 0, v18
	s_delay_alu instid0(VALU_DEP_4) | instskip(NEXT) | instid1(VALU_DEP_3)
	v_ashrrev_i32_e32 v18, 31, v22
	v_and_b32_e32 v19, v19, v20
	s_delay_alu instid0(VALU_DEP_2) | instskip(NEXT) | instid1(VALU_DEP_1)
	v_xor_b32_e32 v18, s16, v18
	v_and_b32_e32 v18, v19, v18
	s_delay_alu instid0(VALU_DEP_1) | instskip(SKIP_1) | instid1(VALU_DEP_2)
	v_mbcnt_lo_u32_b32 v151, v18, 0
	v_cmp_ne_u32_e64 s17, 0, v18
	v_cmp_eq_u32_e64 s16, 0, v151
	s_delay_alu instid0(VALU_DEP_1) | instskip(NEXT) | instid1(SALU_CYCLE_1)
	s_and_b32 s17, s17, s16
	s_and_saveexec_b32 s16, s17
	s_cbranch_execz .LBB297_43
; %bb.42:                               ;   in Loop: Header=BB297_29 Depth=1
	s_waitcnt vmcnt(0) lgkmcnt(0)
	v_bcnt_u32_b32 v18, v18, v150
	flat_store_b32 v[112:113], v18
.LBB297_43:                             ;   in Loop: Header=BB297_29 Depth=1
	s_or_b32 exec_lo, exec_lo, s16
	v_lshrrev_b32_e32 v148, 24, v49
	; wave barrier
	s_delay_alu instid0(VALU_DEP_1) | instskip(NEXT) | instid1(VALU_DEP_1)
	v_lshrrev_b32_e32 v18, v10, v148
	v_and_b32_e32 v18, v18, v114
	s_delay_alu instid0(VALU_DEP_1) | instskip(SKIP_3) | instid1(VALU_DEP_4)
	v_lshlrev_b32_e32 v19, 3, v18
	v_lshlrev_b32_e32 v21, 30, v18
	v_lshlrev_b32_e32 v22, 29, v18
	v_lshlrev_b32_e32 v23, 28, v18
	v_add_lshl_u32 v19, v19, v144, 2
	s_delay_alu instid0(VALU_DEP_1) | instskip(NEXT) | instid1(VALU_DEP_1)
	v_add_co_u32 v114, s16, v9, v19
	v_add_co_ci_u32_e64 v115, s16, 0, v135, s16
	v_and_b32_e32 v19, 1, v18
	flat_load_b32 v163, v[114:115]
	v_add_co_u32 v19, s16, v19, -1
	s_delay_alu instid0(VALU_DEP_1) | instskip(NEXT) | instid1(VALU_DEP_1)
	v_cndmask_b32_e64 v20, 0, 1, s16
	; wave barrier
	v_cmp_ne_u32_e64 s16, 0, v20
	v_not_b32_e32 v20, v21
	s_delay_alu instid0(VALU_DEP_2) | instskip(SKIP_1) | instid1(VALU_DEP_3)
	v_xor_b32_e32 v19, s16, v19
	v_cmp_gt_i32_e64 s16, 0, v21
	v_ashrrev_i32_e32 v20, 31, v20
	v_not_b32_e32 v21, v22
	s_delay_alu instid0(VALU_DEP_4) | instskip(NEXT) | instid1(VALU_DEP_3)
	v_and_b32_e32 v19, exec_lo, v19
	v_xor_b32_e32 v20, s16, v20
	v_cmp_gt_i32_e64 s16, 0, v22
	s_delay_alu instid0(VALU_DEP_4) | instskip(SKIP_1) | instid1(VALU_DEP_4)
	v_ashrrev_i32_e32 v21, 31, v21
	v_not_b32_e32 v22, v23
	v_and_b32_e32 v19, v19, v20
	v_lshlrev_b32_e32 v20, 27, v18
	s_delay_alu instid0(VALU_DEP_4) | instskip(SKIP_2) | instid1(VALU_DEP_4)
	v_xor_b32_e32 v21, s16, v21
	v_cmp_gt_i32_e64 s16, 0, v23
	v_ashrrev_i32_e32 v22, 31, v22
	v_not_b32_e32 v23, v20
	s_delay_alu instid0(VALU_DEP_4) | instskip(SKIP_1) | instid1(VALU_DEP_4)
	v_and_b32_e32 v19, v19, v21
	v_lshlrev_b32_e32 v21, 26, v18
	v_xor_b32_e32 v22, s16, v22
	v_cmp_gt_i32_e64 s16, 0, v20
	v_ashrrev_i32_e32 v20, 31, v23
	s_delay_alu instid0(VALU_DEP_4) | instskip(NEXT) | instid1(VALU_DEP_4)
	v_not_b32_e32 v23, v21
	v_and_b32_e32 v19, v19, v22
	v_lshlrev_b32_e32 v22, 25, v18
	s_delay_alu instid0(VALU_DEP_4)
	v_xor_b32_e32 v20, s16, v20
	v_cmp_gt_i32_e64 s16, 0, v21
	v_ashrrev_i32_e32 v21, 31, v23
	v_lshlrev_b32_e32 v18, 24, v18
	v_not_b32_e32 v23, v22
	v_and_b32_e32 v19, v19, v20
	s_delay_alu instid0(VALU_DEP_4) | instskip(SKIP_1) | instid1(VALU_DEP_4)
	v_xor_b32_e32 v20, s16, v21
	v_cmp_gt_i32_e64 s16, 0, v22
	v_ashrrev_i32_e32 v21, 31, v23
	v_not_b32_e32 v22, v18
	s_delay_alu instid0(VALU_DEP_4) | instskip(NEXT) | instid1(VALU_DEP_3)
	v_and_b32_e32 v19, v19, v20
	v_xor_b32_e32 v20, s16, v21
	v_cmp_gt_i32_e64 s16, 0, v18
	s_delay_alu instid0(VALU_DEP_4) | instskip(NEXT) | instid1(VALU_DEP_3)
	v_ashrrev_i32_e32 v18, 31, v22
	v_and_b32_e32 v19, v19, v20
	s_delay_alu instid0(VALU_DEP_2) | instskip(NEXT) | instid1(VALU_DEP_1)
	v_xor_b32_e32 v18, s16, v18
	v_and_b32_e32 v18, v19, v18
	s_delay_alu instid0(VALU_DEP_1) | instskip(SKIP_1) | instid1(VALU_DEP_2)
	v_mbcnt_lo_u32_b32 v179, v18, 0
	v_cmp_ne_u32_e64 s17, 0, v18
	v_cmp_eq_u32_e64 s16, 0, v179
	s_delay_alu instid0(VALU_DEP_1) | instskip(NEXT) | instid1(SALU_CYCLE_1)
	s_and_b32 s17, s17, s16
	s_and_saveexec_b32 s16, s17
	s_cbranch_execz .LBB297_45
; %bb.44:                               ;   in Loop: Header=BB297_29 Depth=1
	s_waitcnt vmcnt(0) lgkmcnt(0)
	v_bcnt_u32_b32 v18, v18, v163
	flat_store_b32 v[114:115], v18
.LBB297_45:                             ;   in Loop: Header=BB297_29 Depth=1
	s_or_b32 exec_lo, exec_lo, s16
	; wave barrier
	s_waitcnt vmcnt(0) lgkmcnt(0)
	s_waitcnt_vscnt null, 0x0
	s_barrier
	buffer_gl0_inv
	s_clause 0x1
	flat_load_b128 v[22:25], v[4:5] offset:32
	flat_load_b128 v[18:21], v[28:29] offset:16
	s_waitcnt vmcnt(1) lgkmcnt(1)
	v_add_nc_u32_e32 v132, v23, v22
	s_delay_alu instid0(VALU_DEP_1) | instskip(SKIP_1) | instid1(VALU_DEP_1)
	v_add3_u32 v132, v132, v24, v25
	s_waitcnt vmcnt(0) lgkmcnt(0)
	v_add3_u32 v132, v132, v18, v19
	s_delay_alu instid0(VALU_DEP_1) | instskip(NEXT) | instid1(VALU_DEP_1)
	v_add3_u32 v21, v132, v20, v21
	v_mov_b32_dpp v132, v21 row_shr:1 row_mask:0xf bank_mask:0xf
	s_delay_alu instid0(VALU_DEP_1) | instskip(NEXT) | instid1(VALU_DEP_1)
	v_cndmask_b32_e64 v132, v132, 0, vcc_lo
	v_add_nc_u32_e32 v21, v132, v21
	s_delay_alu instid0(VALU_DEP_1) | instskip(NEXT) | instid1(VALU_DEP_1)
	v_mov_b32_dpp v132, v21 row_shr:2 row_mask:0xf bank_mask:0xf
	v_cndmask_b32_e64 v132, 0, v132, s0
	s_delay_alu instid0(VALU_DEP_1) | instskip(NEXT) | instid1(VALU_DEP_1)
	v_add_nc_u32_e32 v21, v21, v132
	v_mov_b32_dpp v132, v21 row_shr:4 row_mask:0xf bank_mask:0xf
	s_delay_alu instid0(VALU_DEP_1) | instskip(NEXT) | instid1(VALU_DEP_1)
	v_cndmask_b32_e64 v132, 0, v132, s1
	v_add_nc_u32_e32 v21, v21, v132
	s_delay_alu instid0(VALU_DEP_1) | instskip(NEXT) | instid1(VALU_DEP_1)
	v_mov_b32_dpp v132, v21 row_shr:8 row_mask:0xf bank_mask:0xf
	v_cndmask_b32_e64 v132, 0, v132, s2
	s_delay_alu instid0(VALU_DEP_1) | instskip(SKIP_3) | instid1(VALU_DEP_1)
	v_add_nc_u32_e32 v21, v21, v132
	ds_swizzle_b32 v132, v21 offset:swizzle(BROADCAST,32,15)
	s_waitcnt lgkmcnt(0)
	v_cndmask_b32_e64 v132, v132, 0, s3
	v_add_nc_u32_e32 v21, v21, v132
	s_and_saveexec_b32 s16, s4
	s_cbranch_execz .LBB297_47
; %bb.46:                               ;   in Loop: Header=BB297_29 Depth=1
	flat_store_b32 v[30:31], v21
.LBB297_47:                             ;   in Loop: Header=BB297_29 Depth=1
	s_or_b32 exec_lo, exec_lo, s16
	s_waitcnt lgkmcnt(0)
	s_waitcnt_vscnt null, 0x0
	s_barrier
	buffer_gl0_inv
	s_and_saveexec_b32 s16, s5
	s_cbranch_execz .LBB297_49
; %bb.48:                               ;   in Loop: Header=BB297_29 Depth=1
	flat_load_b32 v132, v[32:33]
	s_waitcnt vmcnt(0) lgkmcnt(0)
	v_mov_b32_dpp v133, v132 row_shr:1 row_mask:0xf bank_mask:0xf
	s_delay_alu instid0(VALU_DEP_1) | instskip(NEXT) | instid1(VALU_DEP_1)
	v_cndmask_b32_e64 v133, v133, 0, s11
	v_add_nc_u32_e32 v132, v133, v132
	s_delay_alu instid0(VALU_DEP_1) | instskip(NEXT) | instid1(VALU_DEP_1)
	v_mov_b32_dpp v133, v132 row_shr:2 row_mask:0xf bank_mask:0xf
	v_cndmask_b32_e64 v133, 0, v133, s14
	s_delay_alu instid0(VALU_DEP_1) | instskip(NEXT) | instid1(VALU_DEP_1)
	v_add_nc_u32_e32 v132, v132, v133
	v_mov_b32_dpp v133, v132 row_shr:4 row_mask:0xf bank_mask:0xf
	s_delay_alu instid0(VALU_DEP_1) | instskip(NEXT) | instid1(VALU_DEP_1)
	v_cndmask_b32_e64 v133, 0, v133, s15
	v_add_nc_u32_e32 v132, v132, v133
	flat_store_b32 v[32:33], v132
.LBB297_49:                             ;   in Loop: Header=BB297_29 Depth=1
	s_or_b32 exec_lo, exec_lo, s16
	v_mov_b32_e32 v132, 0
	s_waitcnt lgkmcnt(0)
	s_waitcnt_vscnt null, 0x0
	s_barrier
	buffer_gl0_inv
	s_and_saveexec_b32 s16, s6
	s_cbranch_execz .LBB297_51
; %bb.50:                               ;   in Loop: Header=BB297_29 Depth=1
	flat_load_b32 v132, v[36:37]
.LBB297_51:                             ;   in Loop: Header=BB297_29 Depth=1
	s_or_b32 exec_lo, exec_lo, s16
	s_waitcnt vmcnt(0) lgkmcnt(0)
	v_add_nc_u32_e32 v21, v132, v21
	v_add_nc_u32_e32 v10, 8, v10
	v_lshrrev_b32_e32 v178, 16, v48
	v_lshrrev_b32_e32 v176, 8, v49
	;; [unrolled: 1-line block ×3, first 2 shown]
	ds_bpermute_b32 v21, v145, v21
	v_cmp_lt_u32_e64 s16, v10, v11
	s_mov_b32 s18, -1
	s_waitcnt lgkmcnt(0)
	v_cndmask_b32_e64 v21, v21, v132, s7
	v_lshrrev_b64 v[132:133], 24, v[48:49]
	s_delay_alu instid0(VALU_DEP_2) | instskip(NEXT) | instid1(VALU_DEP_1)
	v_cndmask_b32_e64 v21, v21, 0, s10
	v_add_nc_u32_e32 v22, v21, v22
	s_delay_alu instid0(VALU_DEP_1) | instskip(NEXT) | instid1(VALU_DEP_1)
	v_add_nc_u32_e32 v23, v22, v23
	v_add_nc_u32_e32 v24, v23, v24
	s_delay_alu instid0(VALU_DEP_1) | instskip(NEXT) | instid1(VALU_DEP_1)
	v_add_nc_u32_e32 v164, v24, v25
	;; [unrolled: 3-line block ×3, first 2 shown]
	v_add_nc_u32_e32 v167, v166, v20
	s_clause 0x1
	flat_store_b128 v[4:5], v[21:24] offset:32
	flat_store_b128 v[28:29], v[164:167] offset:16
	v_mov_b32_e32 v166, v48
	s_waitcnt lgkmcnt(0)
	s_waitcnt_vscnt null, 0x0
	s_barrier
	buffer_gl0_inv
	s_clause 0x7
	flat_load_b32 v18, v[84:85]
	flat_load_b32 v19, v[86:87]
	;; [unrolled: 1-line block ×8, first 2 shown]
	v_lshrrev_b32_e32 v167, 8, v48
	s_waitcnt vmcnt(0) lgkmcnt(0)
	s_waitcnt_vscnt null, 0x0
                                        ; implicit-def: $vgpr84_vgpr85
                                        ; implicit-def: $vgpr86_vgpr87
                                        ; implicit-def: $vgpr96_vgpr97
                                        ; implicit-def: $vgpr98_vgpr99
	s_waitcnt vmcnt(7) lgkmcnt(7)
	v_add_nc_u32_e32 v165, v18, v116
	s_waitcnt vmcnt(6) lgkmcnt(6)
	v_add3_u32 v164, v118, v117, v19
	s_waitcnt vmcnt(5) lgkmcnt(5)
	v_add3_u32 v162, v119, v82, v20
	;; [unrolled: 2-line block ×4, first 2 shown]
	v_add_co_u32 v112, s17, v12, v165
	s_delay_alu instid0(VALU_DEP_1) | instskip(SKIP_1) | instid1(VALU_DEP_1)
	v_add_co_ci_u32_e64 v113, s17, 0, v13, s17
	v_add_co_u32 v116, s17, v12, v164
	v_add_co_ci_u32_e64 v117, s17, 0, v13, s17
	v_add_co_u32 v100, s17, v12, v162
	s_delay_alu instid0(VALU_DEP_1)
	v_add_co_ci_u32_e64 v101, s17, 0, v13, s17
	v_add_co_u32 v102, s17, v12, v161
	s_waitcnt vmcnt(2) lgkmcnt(2)
	v_add3_u32 v147, v149, v147, v23
	v_add_co_ci_u32_e64 v103, s17, 0, v13, s17
	v_add_co_u32 v114, s17, v12, v160
	s_waitcnt vmcnt(1) lgkmcnt(1)
	v_add3_u32 v133, v151, v150, v24
	;; [unrolled: 4-line block ×3, first 2 shown]
	v_add_co_ci_u32_e64 v119, s17, 0, v13, s17
	v_add_co_u32 v128, s17, v12, v133
	s_delay_alu instid0(VALU_DEP_1) | instskip(NEXT) | instid1(VALU_DEP_4)
	v_add_co_ci_u32_e64 v129, s17, 0, v13, s17
	v_add_co_u32 v130, s17, v12, v82
	s_delay_alu instid0(VALU_DEP_1)
	v_add_co_ci_u32_e64 v131, s17, 0, v13, s17
                                        ; implicit-def: $vgpr18_vgpr19
                                        ; implicit-def: $vgpr20_vgpr21
                                        ; implicit-def: $vgpr22_vgpr23
                                        ; implicit-def: $vgpr24_vgpr25
	s_and_saveexec_b32 s17, s16
	s_cbranch_execz .LBB297_28
; %bb.52:                               ;   in Loop: Header=BB297_29 Depth=1
	s_barrier
	buffer_gl0_inv
	s_clause 0x7
	flat_store_b8 v[112:113], v48
	flat_store_b8 v[116:117], v167
	;; [unrolled: 1-line block ×8, first 2 shown]
	s_waitcnt lgkmcnt(0)
	s_waitcnt_vscnt null, 0x0
	s_barrier
	buffer_gl0_inv
	s_clause 0x7
	flat_load_u8 v149, v[34:35]
	flat_load_u8 v150, v[34:35] offset:32
	flat_load_u8 v151, v[34:35] offset:64
	;; [unrolled: 1-line block ×7, first 2 shown]
	v_mad_u64_u32 v[18:19], null, v165, 7, v[112:113]
	v_mad_u64_u32 v[20:21], null, v164, 7, v[116:117]
	;; [unrolled: 1-line block ×8, first 2 shown]
	s_waitcnt vmcnt(0) lgkmcnt(0)
	s_barrier
	buffer_gl0_inv
	s_clause 0x7
	flat_store_b64 v[18:19], v[80:81]
	flat_store_b64 v[20:21], v[70:71]
	;; [unrolled: 1-line block ×8, first 2 shown]
	s_waitcnt lgkmcnt(0)
	s_waitcnt_vscnt null, 0x0
	s_barrier
	buffer_gl0_inv
	s_clause 0x7
	flat_load_b64 v[18:19], v[38:39]
	flat_load_b64 v[20:21], v[38:39] offset:256
	flat_load_b64 v[22:23], v[38:39] offset:512
	;; [unrolled: 1-line block ×7, first 2 shown]
	v_add_nc_u32_e32 v146, -8, v146
	s_xor_b32 s18, exec_lo, -1
	s_waitcnt vmcnt(0) lgkmcnt(0)
	s_barrier
	buffer_gl0_inv
	v_lshlrev_b16 v48, 8, v150
	v_lshlrev_b16 v49, 8, v163
	;; [unrolled: 1-line block ×3, first 2 shown]
	s_delay_alu instid0(VALU_DEP_3) | instskip(SKIP_1) | instid1(VALU_DEP_4)
	v_or_b32_e32 v48, v149, v48
	v_lshlrev_b16 v163, 8, v182
	v_or_b32_e32 v49, v151, v49
	s_delay_alu instid0(VALU_DEP_4) | instskip(NEXT) | instid1(VALU_DEP_4)
	v_or_b32_e32 v149, v179, v150
	v_and_b32_e32 v48, 0xffff, v48
	s_delay_alu instid0(VALU_DEP_4) | instskip(NEXT) | instid1(VALU_DEP_4)
	v_or_b32_e32 v150, v181, v163
	v_lshlrev_b32_e32 v49, 16, v49
	s_delay_alu instid0(VALU_DEP_4) | instskip(NEXT) | instid1(VALU_DEP_3)
	v_and_b32_e32 v149, 0xffff, v149
	v_lshlrev_b32_e32 v150, 16, v150
	s_delay_alu instid0(VALU_DEP_3) | instskip(NEXT) | instid1(VALU_DEP_2)
	v_or_b32_e32 v48, v48, v49
	v_or_b32_e32 v49, v149, v150
	s_branch .LBB297_28
.LBB297_53:
	s_or_b32 exec_lo, exec_lo, s20
	v_mad_u64_u32 v[9:10], null, v165, 7, v[112:113]
	v_add_co_u32 v4, vcc_lo, v12, v26
	v_mad_u64_u32 v[14:15], null, v164, 7, v[116:117]
	v_add_co_ci_u32_e32 v5, vcc_lo, 0, v13, vcc_lo
	s_barrier
	buffer_gl0_inv
	s_clause 0x7
	flat_store_b8 v[112:113], v166
	flat_store_b8 v[116:117], v167
	;; [unrolled: 1-line block ×8, first 2 shown]
	s_waitcnt lgkmcnt(0)
	s_waitcnt_vscnt null, 0x0
	s_barrier
	buffer_gl0_inv
	s_clause 0x7
	flat_load_u8 v33, v[4:5]
	flat_load_u8 v32, v[4:5] offset:256
	flat_load_u8 v31, v[4:5] offset:512
	;; [unrolled: 1-line block ×7, first 2 shown]
	s_waitcnt vmcnt(0) lgkmcnt(0)
	s_barrier
	buffer_gl0_inv
	s_clause 0x1
	flat_store_b64 v[9:10], v[80:81]
	flat_store_b64 v[14:15], v[70:71]
	v_mad_u64_u32 v[9:10], null, v162, 7, v[100:101]
	v_mad_u64_u32 v[14:15], null, v161, 7, v[102:103]
	;; [unrolled: 1-line block ×4, first 2 shown]
	s_clause 0x3
	flat_store_b64 v[9:10], v[54:55]
	flat_store_b64 v[14:15], v[68:69]
	;; [unrolled: 1-line block ×4, first 2 shown]
	v_mad_u64_u32 v[9:10], null, v26, 7, v[4:5]
	v_mad_u64_u32 v[20:21], null, v133, 7, v[128:129]
	v_lshl_or_b32 v11, v26, 3, 0x2000
	v_mad_u64_u32 v[34:35], null, v82, 7, v[130:131]
	s_clause 0x1
	flat_store_b64 v[20:21], v[50:51]
	flat_store_b64 v[34:35], v[52:53]
	v_add_co_u32 v4, vcc_lo, 0x1000, v9
	v_add_co_ci_u32_e32 v5, vcc_lo, 0, v10, vcc_lo
	v_add_co_u32 v11, vcc_lo, v12, v11
	v_add_co_ci_u32_e32 v12, vcc_lo, 0, v13, vcc_lo
	;; [unrolled: 2-line block ×3, first 2 shown]
	v_add_co_u32 v36, vcc_lo, 0x3000, v9
	s_waitcnt lgkmcnt(0)
	s_waitcnt_vscnt null, 0x0
	s_barrier
	buffer_gl0_inv
	v_add_co_ci_u32_e32 v37, vcc_lo, 0, v10, vcc_lo
	s_clause 0x7
	flat_load_b64 v[21:22], v[9:10]
	flat_load_b64 v[19:20], v[9:10] offset:2048
	flat_load_b64 v[17:18], v[4:5]
	flat_load_b64 v[15:16], v[4:5] offset:2048
	flat_load_b64 v[13:14], v[11:12]
	flat_load_b64 v[11:12], v[34:35] offset:2048
	flat_load_b64 v[9:10], v[36:37]
	flat_load_b64 v[4:5], v[36:37] offset:2048
	v_add_co_u32 v2, vcc_lo, v2, v8
	v_add_co_ci_u32_e32 v3, vcc_lo, 0, v3, vcc_lo
	v_mov_b32_e32 v28, 0
	s_delay_alu instid0(VALU_DEP_3) | instskip(NEXT) | instid1(VALU_DEP_3)
	v_add_co_u32 v2, vcc_lo, v2, v27
	v_add_co_ci_u32_e32 v3, vcc_lo, 0, v3, vcc_lo
	v_cmp_lt_u32_e32 vcc_lo, v27, v134
	s_waitcnt vmcnt(0) lgkmcnt(0)
	s_barrier
	buffer_gl0_inv
	s_and_saveexec_b32 s0, vcc_lo
	s_cbranch_execz .LBB297_55
; %bb.54:
	v_xor_b32_e32 v8, 0x7f, v33
	flat_store_b8 v[2:3], v8
.LBB297_55:
	s_or_b32 exec_lo, exec_lo, s0
	v_add_nc_u32_e32 v8, 0x100, v27
	s_delay_alu instid0(VALU_DEP_1) | instskip(NEXT) | instid1(VALU_DEP_1)
	v_cmp_lt_u32_e64 s2, v8, v134
	s_and_saveexec_b32 s0, s2
	s_cbranch_execz .LBB297_57
; %bb.56:
	v_xor_b32_e32 v8, 0x7f, v32
	flat_store_b8 v[2:3], v8 offset:256
.LBB297_57:
	s_or_b32 exec_lo, exec_lo, s0
	v_add_nc_u32_e32 v8, 0x200, v27
	s_delay_alu instid0(VALU_DEP_1) | instskip(NEXT) | instid1(VALU_DEP_1)
	v_cmp_lt_u32_e64 s6, v8, v134
	s_and_saveexec_b32 s0, s6
	s_cbranch_execz .LBB297_59
; %bb.58:
	v_xor_b32_e32 v8, 0x7f, v31
	flat_store_b8 v[2:3], v8 offset:512
.LBB297_59:
	;; [unrolled: 10-line block ×7, first 2 shown]
	s_or_b32 exec_lo, exec_lo, s7
	v_lshlrev_b64 v[2:3], 3, v[27:28]
	v_add_co_u32 v0, s7, v6, v0
	s_delay_alu instid0(VALU_DEP_1) | instskip(NEXT) | instid1(VALU_DEP_2)
	v_add_co_ci_u32_e64 v1, s7, v7, v1, s7
	v_add_co_u32 v0, s7, v0, v2
	s_delay_alu instid0(VALU_DEP_1)
	v_add_co_ci_u32_e64 v1, s7, v1, v3, s7
	s_and_saveexec_b32 s7, vcc_lo
	s_cbranch_execnz .LBB297_119
; %bb.70:
	s_or_b32 exec_lo, exec_lo, s7
	s_and_saveexec_b32 s7, s2
	s_cbranch_execnz .LBB297_120
.LBB297_71:
	s_or_b32 exec_lo, exec_lo, s7
	s_and_saveexec_b32 s2, s6
	s_cbranch_execnz .LBB297_121
.LBB297_72:
	s_or_b32 exec_lo, exec_lo, s2
	s_and_saveexec_b32 s2, s5
	s_cbranch_execnz .LBB297_122
.LBB297_73:
	s_or_b32 exec_lo, exec_lo, s2
	s_and_saveexec_b32 s2, s4
	s_cbranch_execnz .LBB297_123
.LBB297_74:
	s_or_b32 exec_lo, exec_lo, s2
	s_and_saveexec_b32 s2, s3
	s_cbranch_execnz .LBB297_124
.LBB297_75:
	s_or_b32 exec_lo, exec_lo, s2
	s_and_saveexec_b32 s2, s1
	s_cbranch_execnz .LBB297_125
.LBB297_76:
	s_or_b32 exec_lo, exec_lo, s2
	s_and_saveexec_b32 s1, s0
	s_cbranch_execz .LBB297_78
.LBB297_77:
	v_add_co_u32 v0, vcc_lo, 0x3000, v0
	v_add_co_ci_u32_e32 v1, vcc_lo, 0, v1, vcc_lo
	flat_store_b64 v[0:1], v[4:5] offset:2048
.LBB297_78:
	s_or_b32 exec_lo, exec_lo, s1
                                        ; implicit-def: $vgpr134
                                        ; implicit-def: $vgpr0
                                        ; implicit-def: $vgpr1
                                        ; implicit-def: $vgpr2
                                        ; implicit-def: $vgpr3
                                        ; implicit-def: $vgpr4
                                        ; implicit-def: $vgpr5
                                        ; implicit-def: $vgpr6
                                        ; implicit-def: $vgpr7
                                        ; implicit-def: $vgpr8
                                        ; implicit-def: $vgpr10
                                        ; implicit-def: $vgpr11
                                        ; implicit-def: $vgpr12
                                        ; implicit-def: $vgpr13
                                        ; implicit-def: $vgpr14
                                        ; implicit-def: $vgpr15
                                        ; implicit-def: $vgpr26
                                        ; implicit-def: $vgpr16
.LBB297_79:
	s_and_not1_saveexec_b32 s0, s19
	s_cbranch_execz .LBB297_199
; %bb.80:
	s_mov_b32 s0, exec_lo
	v_cmpx_lt_u32_e32 0x200, v134
	s_xor_b32 s19, exec_lo, s0
	s_cbranch_execz .LBB297_140
; %bb.81:
	s_load_b64 s[0:1], s[8:9], 0x0
	v_mov_b32_e32 v9, 0
	v_add_co_u32 v0, vcc_lo, v0, v8
	v_add_co_ci_u32_e32 v1, vcc_lo, 0, v1, vcc_lo
	v_dual_mov_b32 v29, 0x80 :: v_dual_mov_b32 v30, 0x80
	s_delay_alu instid0(VALU_DEP_3) | instskip(NEXT) | instid1(VALU_DEP_3)
	v_add_co_u32 v0, vcc_lo, v0, v16
	v_add_co_ci_u32_e32 v1, vcc_lo, 0, v1, vcc_lo
	s_waitcnt lgkmcnt(0)
	s_cmp_lt_u32 s13, s1
	s_cselect_b32 s1, 14, 20
	s_delay_alu instid0(SALU_CYCLE_1) | instskip(SKIP_4) | instid1(SALU_CYCLE_1)
	s_add_u32 s2, s8, s1
	s_addc_u32 s3, s9, 0
	s_cmp_lt_u32 s12, s0
	global_load_u16 v17, v9, s[2:3]
	s_cselect_b32 s0, 12, 18
	s_add_u32 s0, s8, s0
	s_addc_u32 s1, s9, 0
	global_load_u16 v18, v9, s[0:1]
	s_waitcnt vmcnt(1)
	v_mad_u32_u24 v14, v15, v17, v14
	v_mov_b32_e32 v17, 0x80
	s_waitcnt vmcnt(0)
	s_delay_alu instid0(VALU_DEP_2) | instskip(SKIP_1) | instid1(VALU_DEP_2)
	v_mad_u64_u32 v[27:28], null, v14, v18, v[26:27]
	v_mov_b32_e32 v28, 0x80
	v_dual_mov_b32 v15, v9 :: v_dual_lshlrev_b32 v14, 2, v27
	s_delay_alu instid0(VALU_DEP_1) | instskip(NEXT) | instid1(VALU_DEP_1)
	v_and_b32_e32 v14, 0xffffff80, v14
	v_or_b32_e32 v18, v14, v16
	v_add_co_u32 v0, vcc_lo, v0, v14
	v_add_co_ci_u32_e32 v1, vcc_lo, 0, v1, vcc_lo
	s_delay_alu instid0(VALU_DEP_3)
	v_cmp_lt_u32_e32 vcc_lo, v18, v134
	s_and_saveexec_b32 s0, vcc_lo
	s_cbranch_execz .LBB297_83
; %bb.82:
	flat_load_u8 v17, v[0:1]
	v_dual_mov_b32 v29, 0x80 :: v_dual_mov_b32 v30, 0x80
	v_mov_b32_e32 v28, 0x80
.LBB297_83:
	s_or_b32 exec_lo, exec_lo, s0
	v_or_b32_e32 v19, 32, v18
	s_delay_alu instid0(VALU_DEP_1) | instskip(NEXT) | instid1(VALU_DEP_1)
	v_cmp_lt_u32_e64 s0, v19, v134
	s_and_saveexec_b32 s1, s0
	s_cbranch_execz .LBB297_85
; %bb.84:
	flat_load_u8 v29, v[0:1] offset:32
.LBB297_85:
	s_or_b32 exec_lo, exec_lo, s1
	v_or_b32_e32 v19, 64, v18
	s_delay_alu instid0(VALU_DEP_1) | instskip(NEXT) | instid1(VALU_DEP_1)
	v_cmp_lt_u32_e64 s1, v19, v134
	s_and_saveexec_b32 s2, s1
	s_cbranch_execz .LBB297_87
; %bb.86:
	flat_load_u8 v30, v[0:1] offset:64
.LBB297_87:
	;; [unrolled: 9-line block ×3, first 2 shown]
	s_or_b32 exec_lo, exec_lo, s3
	v_lshlrev_b64 v[0:1], 3, v[8:9]
	v_lshlrev_b32_e32 v9, 3, v16
	s_delay_alu instid0(VALU_DEP_2) | instskip(NEXT) | instid1(VALU_DEP_1)
	v_add_co_u32 v18, s3, v4, v0
	v_add_co_ci_u32_e64 v19, s3, v5, v1, s3
	v_lshlrev_b64 v[4:5], 3, v[14:15]
	s_delay_alu instid0(VALU_DEP_3) | instskip(NEXT) | instid1(VALU_DEP_1)
	v_add_co_u32 v9, s3, v18, v9
	v_add_co_ci_u32_e64 v14, s3, 0, v19, s3
                                        ; implicit-def: $vgpr18_vgpr19
	s_delay_alu instid0(VALU_DEP_2) | instskip(NEXT) | instid1(VALU_DEP_1)
	v_add_co_u32 v4, s3, v9, v4
	v_add_co_ci_u32_e64 v5, s3, v14, v5, s3
	s_and_saveexec_b32 s3, vcc_lo
	s_cbranch_execnz .LBB297_164
; %bb.90:
	s_or_b32 exec_lo, exec_lo, s3
                                        ; implicit-def: $vgpr20_vgpr21
	s_and_saveexec_b32 s3, s0
	s_cbranch_execnz .LBB297_165
.LBB297_91:
	s_or_b32 exec_lo, exec_lo, s3
                                        ; implicit-def: $vgpr22_vgpr23
	s_and_saveexec_b32 s0, s1
	s_cbranch_execnz .LBB297_166
.LBB297_92:
	s_or_b32 exec_lo, exec_lo, s0
                                        ; implicit-def: $vgpr24_vgpr25
	s_and_saveexec_b32 s0, s2
	s_cbranch_execz .LBB297_94
.LBB297_93:
	flat_load_b64 v[24:25], v[4:5] offset:768
.LBB297_94:
	s_or_b32 exec_lo, exec_lo, s0
	s_waitcnt vmcnt(0) lgkmcnt(0)
	v_xor_b32_e32 v4, 0x7f, v17
	v_xor_b32_e32 v5, 0x7f, v29
	;; [unrolled: 1-line block ×4, first 2 shown]
	s_mov_b32 s20, 0
	v_dual_mov_b32 v15, 0 :: v_dual_and_b32 v4, 0xff, v4
	v_lshlrev_b16 v5, 8, v5
	s_delay_alu instid0(VALU_DEP_3)
	v_lshlrev_b16 v14, 8, v14
	s_mov_b32 s21, s20
	s_mov_b32 s22, s20
	;; [unrolled: 1-line block ×3, first 2 shown]
	v_and_b32_e32 v9, 0xff, v9
	v_or_b32_e32 v4, v4, v5
	v_add_nc_u32_e32 v31, -1, v16
	v_and_b32_e32 v30, 0x3e0, v26
	v_and_b32_e32 v17, 15, v16
	v_or_b32_e32 v5, v9, v14
	v_and_b32_e32 v4, 0xffff, v4
	v_lshlrev_b32_e32 v14, 5, v26
	v_add_co_u32 v9, vcc_lo, v12, 32
	s_delay_alu instid0(VALU_DEP_4)
	v_lshlrev_b32_e32 v5, 16, v5
	v_add_co_ci_u32_e32 v80, vcc_lo, 0, v13, vcc_lo
	v_cmp_gt_i32_e64 s4, 0, v31
	s_getpc_b64 s[0:1]
	s_add_u32 s0, s0, _ZN7rocprim17ROCPRIM_400000_NS16block_radix_sortIaLj256ELj4ElLj1ELj1ELj8ELNS0_26block_radix_rank_algorithmE2ELNS0_18block_padding_hintE2ELNS0_4arch9wavefront6targetE0EE19radix_bits_per_passE@rel32@lo+4
	s_addc_u32 s1, s1, _ZN7rocprim17ROCPRIM_400000_NS16block_radix_sortIaLj256ELj4ElLj1ELj1ELj8ELNS0_26block_radix_rank_algorithmE2ELNS0_18block_padding_hintE2ELNS0_4arch9wavefront6targetE0EE19radix_bits_per_passE@rel32@hi+12
	v_or_b32_e32 v83, v4, v5
	v_add_co_u32 v4, vcc_lo, v12, v14
	v_add_co_ci_u32_e32 v5, vcc_lo, 0, v13, vcc_lo
	v_add_co_u32 v28, vcc_lo, v9, v14
	v_min_u32_e32 v14, 0xe0, v30
	v_add_co_ci_u32_e32 v29, vcc_lo, 0, v80, vcc_lo
	s_load_b32 s25, s[0:1], 0x0
	v_cmp_eq_u32_e32 vcc_lo, 0, v17
	v_cmp_lt_u32_e64 s0, 1, v17
	v_cmp_lt_u32_e64 s1, 3, v17
	;; [unrolled: 1-line block ×3, first 2 shown]
	v_cndmask_b32_e64 v17, v31, v16, s4
	v_or_b32_e32 v14, 31, v14
	v_lshrrev_b32_e32 v34, 5, v26
	v_and_b32_e32 v30, 16, v16
	v_cmp_eq_u32_e64 s7, 0, v16
	v_lshlrev_b32_e32 v82, 2, v17
	v_lshlrev_b32_e32 v17, 2, v26
	v_cmp_eq_u32_e64 s4, v14, v26
	v_lshlrev_b32_e32 v14, 2, v34
	v_and_b32_e32 v35, 7, v16
	v_cmp_eq_u32_e64 s3, 0, v30
	v_and_or_b32 v16, 0xf80, v17, v16
	v_lshrrev_b32_e32 v81, 5, v27
	v_add_co_u32 v30, s11, v12, v14
	v_add_nc_u32_e32 v14, -1, v34
	v_add_co_ci_u32_e64 v31, s11, 0, v13, s11
	v_add_co_u32 v32, s11, v12, v17
	v_add_co_u32 v34, s16, v12, v16
	v_add_co_ci_u32_e64 v33, s11, 0, v13, s11
	v_lshlrev_b64 v[14:15], 2, v[14:15]
	v_cmp_eq_u32_e64 s11, 0, v35
	v_cmp_lt_u32_e64 s14, 1, v35
	v_cmp_lt_u32_e64 s15, 3, v35
	v_add_co_ci_u32_e64 v35, s16, 0, v13, s16
	v_add_co_u32 v36, s16, v12, v14
	s_delay_alu instid0(VALU_DEP_1) | instskip(NEXT) | instid1(VALU_DEP_3)
	v_add_co_ci_u32_e64 v37, s16, v13, v15, s16
	v_mad_u64_u32 v[38:39], null, v16, 7, v[34:35]
	v_mov_b32_e32 v14, s20
	v_mov_b32_e32 v16, s22
	v_cmp_gt_u32_e64 s5, 8, v26
	v_cmp_lt_u32_e64 s6, 31, v26
	v_cmp_eq_u32_e64 s10, 0, v26
	v_sub_nc_u32_e32 v84, v11, v10
	v_mov_b32_e32 v15, s21
	v_mov_b32_e32 v17, s23
	s_waitcnt lgkmcnt(0)
	s_waitcnt_vscnt null, 0x0
	s_barrier
	buffer_gl0_inv
	s_branch .LBB297_96
.LBB297_95:                             ;   in Loop: Header=BB297_96 Depth=1
	s_or_b32 exec_lo, exec_lo, s17
	s_delay_alu instid0(SALU_CYCLE_1) | instskip(NEXT) | instid1(SALU_CYCLE_1)
	s_and_b32 s16, exec_lo, s18
	s_or_b32 s20, s16, s20
	s_delay_alu instid0(SALU_CYCLE_1)
	s_and_not1_b32 exec_lo, exec_lo, s20
	s_cbranch_execz .LBB297_126
.LBB297_96:                             ; =>This Inner Loop Header: Depth=1
	v_min_u32_e32 v48, s25, v84
	v_and_b32_e32 v49, 0xff, v83
	s_clause 0x1
	flat_store_b128 v[4:5], v[14:17] offset:32
	flat_store_b128 v[28:29], v[14:17] offset:16
	s_waitcnt lgkmcnt(0)
	s_waitcnt_vscnt null, 0x0
	s_barrier
	v_lshlrev_b32_e64 v48, v48, -1
	v_lshrrev_b32_e32 v49, v10, v49
	buffer_gl0_inv
	; wave barrier
	v_not_b32_e32 v70, v48
	s_delay_alu instid0(VALU_DEP_1) | instskip(NEXT) | instid1(VALU_DEP_1)
	v_and_b32_e32 v64, v49, v70
	v_and_b32_e32 v48, 1, v64
	v_lshlrev_b32_e32 v49, 30, v64
	v_lshlrev_b32_e32 v50, 29, v64
	;; [unrolled: 1-line block ×4, first 2 shown]
	v_add_co_u32 v48, s16, v48, -1
	s_delay_alu instid0(VALU_DEP_1)
	v_cndmask_b32_e64 v52, 0, 1, s16
	v_not_b32_e32 v65, v49
	v_cmp_gt_i32_e64 s17, 0, v49
	v_not_b32_e32 v49, v50
	v_lshlrev_b32_e32 v54, 26, v64
	v_cmp_ne_u32_e64 s16, 0, v52
	v_ashrrev_i32_e32 v65, 31, v65
	v_lshlrev_b32_e32 v52, 24, v64
	v_ashrrev_i32_e32 v49, 31, v49
	s_delay_alu instid0(VALU_DEP_4)
	v_xor_b32_e32 v48, s16, v48
	v_cmp_gt_i32_e64 s16, 0, v50
	v_not_b32_e32 v50, v51
	v_xor_b32_e32 v65, s17, v65
	v_cmp_gt_i32_e64 s17, 0, v51
	v_and_b32_e32 v48, exec_lo, v48
	v_not_b32_e32 v51, v53
	v_ashrrev_i32_e32 v50, 31, v50
	v_xor_b32_e32 v49, s16, v49
	v_cmp_gt_i32_e64 s16, 0, v53
	v_and_b32_e32 v48, v48, v65
	v_not_b32_e32 v53, v54
	v_ashrrev_i32_e32 v51, 31, v51
	v_xor_b32_e32 v50, s17, v50
	v_cmp_gt_i32_e64 s17, 0, v54
	v_and_b32_e32 v48, v48, v49
	v_ashrrev_i32_e32 v53, 31, v53
	v_xor_b32_e32 v51, s16, v51
	s_delay_alu instid0(VALU_DEP_3) | instskip(NEXT) | instid1(VALU_DEP_3)
	v_and_b32_e32 v48, v48, v50
	v_xor_b32_e32 v53, s17, v53
	v_not_b32_e32 v50, v52
	v_cmp_gt_i32_e64 s17, 0, v52
	s_delay_alu instid0(VALU_DEP_4) | instskip(NEXT) | instid1(VALU_DEP_3)
	v_and_b32_e32 v48, v48, v51
	v_ashrrev_i32_e32 v50, 31, v50
	s_delay_alu instid0(VALU_DEP_2) | instskip(SKIP_1) | instid1(VALU_DEP_3)
	v_dual_mov_b32 v53, v19 :: v_dual_and_b32 v48, v48, v53
	v_lshlrev_b32_e32 v55, 25, v64
	v_xor_b32_e32 v54, s17, v50
	v_dual_mov_b32 v52, v18 :: v_dual_lshlrev_b32 v19, 3, v64
	v_mov_b32_e32 v51, v21
	s_delay_alu instid0(VALU_DEP_4) | instskip(SKIP_3) | instid1(VALU_DEP_4)
	v_not_b32_e32 v49, v55
	v_cmp_gt_i32_e64 s16, 0, v55
	v_mov_b32_e32 v50, v20
	v_add_lshl_u32 v19, v19, v81, 2
	v_ashrrev_i32_e32 v49, 31, v49
	s_delay_alu instid0(VALU_DEP_2) | instskip(NEXT) | instid1(VALU_DEP_2)
	v_add_co_u32 v64, s18, v9, v19
	v_xor_b32_e32 v49, s16, v49
	v_add_co_ci_u32_e64 v65, s18, 0, v80, s18
	s_delay_alu instid0(VALU_DEP_2) | instskip(SKIP_1) | instid1(VALU_DEP_2)
	v_and_b32_e32 v55, v48, v49
	v_dual_mov_b32 v49, v23 :: v_dual_mov_b32 v48, v22
	v_dual_mov_b32 v55, v25 :: v_dual_and_b32 v18, v55, v54
	v_mov_b32_e32 v54, v24
	s_delay_alu instid0(VALU_DEP_2) | instskip(SKIP_1) | instid1(VALU_DEP_2)
	v_mbcnt_lo_u32_b32 v85, v18, 0
	v_cmp_ne_u32_e64 s16, 0, v18
	v_cmp_eq_u32_e64 s17, 0, v85
	s_delay_alu instid0(VALU_DEP_1) | instskip(NEXT) | instid1(SALU_CYCLE_1)
	s_and_b32 s17, s16, s17
	s_and_saveexec_b32 s16, s17
	s_cbranch_execz .LBB297_98
; %bb.97:                               ;   in Loop: Header=BB297_96 Depth=1
	v_bcnt_u32_b32 v18, v18, 0
	flat_store_b32 v[64:65], v18
.LBB297_98:                             ;   in Loop: Header=BB297_96 Depth=1
	s_or_b32 exec_lo, exec_lo, s16
	v_bfe_u32 v18, v83, 8, 8
	; wave barrier
	s_delay_alu instid0(VALU_DEP_1) | instskip(NEXT) | instid1(VALU_DEP_1)
	v_lshrrev_b32_e32 v18, v10, v18
	v_and_b32_e32 v18, v18, v70
	s_delay_alu instid0(VALU_DEP_1) | instskip(SKIP_3) | instid1(VALU_DEP_4)
	v_lshlrev_b32_e32 v19, 3, v18
	v_lshlrev_b32_e32 v21, 30, v18
	;; [unrolled: 1-line block ×4, first 2 shown]
	v_add_lshl_u32 v19, v19, v81, 2
	s_delay_alu instid0(VALU_DEP_1) | instskip(NEXT) | instid1(VALU_DEP_1)
	v_add_co_u32 v66, s16, v9, v19
	v_add_co_ci_u32_e64 v67, s16, 0, v80, s16
	v_and_b32_e32 v19, 1, v18
	flat_load_b32 v86, v[66:67]
	v_add_co_u32 v19, s16, v19, -1
	s_delay_alu instid0(VALU_DEP_1) | instskip(NEXT) | instid1(VALU_DEP_1)
	v_cndmask_b32_e64 v20, 0, 1, s16
	; wave barrier
	v_cmp_ne_u32_e64 s16, 0, v20
	v_not_b32_e32 v20, v21
	s_delay_alu instid0(VALU_DEP_2) | instskip(SKIP_1) | instid1(VALU_DEP_3)
	v_xor_b32_e32 v19, s16, v19
	v_cmp_gt_i32_e64 s16, 0, v21
	v_ashrrev_i32_e32 v20, 31, v20
	v_not_b32_e32 v21, v22
	s_delay_alu instid0(VALU_DEP_4) | instskip(NEXT) | instid1(VALU_DEP_3)
	v_and_b32_e32 v19, exec_lo, v19
	v_xor_b32_e32 v20, s16, v20
	v_cmp_gt_i32_e64 s16, 0, v22
	s_delay_alu instid0(VALU_DEP_4) | instskip(SKIP_1) | instid1(VALU_DEP_4)
	v_ashrrev_i32_e32 v21, 31, v21
	v_not_b32_e32 v22, v23
	v_and_b32_e32 v19, v19, v20
	v_lshlrev_b32_e32 v20, 27, v18
	s_delay_alu instid0(VALU_DEP_4) | instskip(SKIP_2) | instid1(VALU_DEP_4)
	v_xor_b32_e32 v21, s16, v21
	v_cmp_gt_i32_e64 s16, 0, v23
	v_ashrrev_i32_e32 v22, 31, v22
	v_not_b32_e32 v23, v20
	s_delay_alu instid0(VALU_DEP_4) | instskip(SKIP_1) | instid1(VALU_DEP_4)
	v_and_b32_e32 v19, v19, v21
	v_lshlrev_b32_e32 v21, 26, v18
	v_xor_b32_e32 v22, s16, v22
	v_cmp_gt_i32_e64 s16, 0, v20
	v_ashrrev_i32_e32 v20, 31, v23
	s_delay_alu instid0(VALU_DEP_4) | instskip(NEXT) | instid1(VALU_DEP_4)
	v_not_b32_e32 v23, v21
	v_and_b32_e32 v19, v19, v22
	v_lshlrev_b32_e32 v22, 25, v18
	s_delay_alu instid0(VALU_DEP_4)
	v_xor_b32_e32 v20, s16, v20
	v_cmp_gt_i32_e64 s16, 0, v21
	v_ashrrev_i32_e32 v21, 31, v23
	v_lshlrev_b32_e32 v18, 24, v18
	v_not_b32_e32 v23, v22
	v_and_b32_e32 v19, v19, v20
	s_delay_alu instid0(VALU_DEP_4) | instskip(SKIP_1) | instid1(VALU_DEP_4)
	v_xor_b32_e32 v20, s16, v21
	v_cmp_gt_i32_e64 s16, 0, v22
	v_ashrrev_i32_e32 v21, 31, v23
	v_not_b32_e32 v22, v18
	s_delay_alu instid0(VALU_DEP_4) | instskip(NEXT) | instid1(VALU_DEP_3)
	v_and_b32_e32 v19, v19, v20
	v_xor_b32_e32 v20, s16, v21
	v_cmp_gt_i32_e64 s16, 0, v18
	s_delay_alu instid0(VALU_DEP_4) | instskip(NEXT) | instid1(VALU_DEP_3)
	v_ashrrev_i32_e32 v18, 31, v22
	v_and_b32_e32 v19, v19, v20
	s_delay_alu instid0(VALU_DEP_2) | instskip(NEXT) | instid1(VALU_DEP_1)
	v_xor_b32_e32 v18, s16, v18
	v_and_b32_e32 v18, v19, v18
	s_delay_alu instid0(VALU_DEP_1) | instskip(SKIP_1) | instid1(VALU_DEP_2)
	v_mbcnt_lo_u32_b32 v96, v18, 0
	v_cmp_ne_u32_e64 s17, 0, v18
	v_cmp_eq_u32_e64 s16, 0, v96
	s_delay_alu instid0(VALU_DEP_1) | instskip(NEXT) | instid1(SALU_CYCLE_1)
	s_and_b32 s17, s17, s16
	s_and_saveexec_b32 s16, s17
	s_cbranch_execz .LBB297_100
; %bb.99:                               ;   in Loop: Header=BB297_96 Depth=1
	s_waitcnt vmcnt(0) lgkmcnt(0)
	v_bcnt_u32_b32 v18, v18, v86
	flat_store_b32 v[66:67], v18
.LBB297_100:                            ;   in Loop: Header=BB297_96 Depth=1
	s_or_b32 exec_lo, exec_lo, s16
	v_bfe_u32 v18, v83, 16, 8
	; wave barrier
	s_delay_alu instid0(VALU_DEP_1) | instskip(NEXT) | instid1(VALU_DEP_1)
	v_lshrrev_b32_e32 v18, v10, v18
	v_and_b32_e32 v18, v18, v70
	s_delay_alu instid0(VALU_DEP_1) | instskip(SKIP_3) | instid1(VALU_DEP_4)
	v_lshlrev_b32_e32 v19, 3, v18
	v_lshlrev_b32_e32 v21, 30, v18
	;; [unrolled: 1-line block ×4, first 2 shown]
	v_add_lshl_u32 v19, v19, v81, 2
	s_delay_alu instid0(VALU_DEP_1) | instskip(NEXT) | instid1(VALU_DEP_1)
	v_add_co_u32 v68, s16, v9, v19
	v_add_co_ci_u32_e64 v69, s16, 0, v80, s16
	v_and_b32_e32 v19, 1, v18
	flat_load_b32 v97, v[68:69]
	v_add_co_u32 v19, s16, v19, -1
	s_delay_alu instid0(VALU_DEP_1) | instskip(NEXT) | instid1(VALU_DEP_1)
	v_cndmask_b32_e64 v20, 0, 1, s16
	; wave barrier
	v_cmp_ne_u32_e64 s16, 0, v20
	v_not_b32_e32 v20, v21
	s_delay_alu instid0(VALU_DEP_2) | instskip(SKIP_1) | instid1(VALU_DEP_3)
	v_xor_b32_e32 v19, s16, v19
	v_cmp_gt_i32_e64 s16, 0, v21
	v_ashrrev_i32_e32 v20, 31, v20
	v_not_b32_e32 v21, v22
	s_delay_alu instid0(VALU_DEP_4) | instskip(NEXT) | instid1(VALU_DEP_3)
	v_and_b32_e32 v19, exec_lo, v19
	v_xor_b32_e32 v20, s16, v20
	v_cmp_gt_i32_e64 s16, 0, v22
	s_delay_alu instid0(VALU_DEP_4) | instskip(SKIP_1) | instid1(VALU_DEP_4)
	v_ashrrev_i32_e32 v21, 31, v21
	v_not_b32_e32 v22, v23
	v_and_b32_e32 v19, v19, v20
	v_lshlrev_b32_e32 v20, 27, v18
	s_delay_alu instid0(VALU_DEP_4) | instskip(SKIP_2) | instid1(VALU_DEP_4)
	v_xor_b32_e32 v21, s16, v21
	v_cmp_gt_i32_e64 s16, 0, v23
	v_ashrrev_i32_e32 v22, 31, v22
	v_not_b32_e32 v23, v20
	s_delay_alu instid0(VALU_DEP_4) | instskip(SKIP_1) | instid1(VALU_DEP_4)
	v_and_b32_e32 v19, v19, v21
	v_lshlrev_b32_e32 v21, 26, v18
	v_xor_b32_e32 v22, s16, v22
	v_cmp_gt_i32_e64 s16, 0, v20
	v_ashrrev_i32_e32 v20, 31, v23
	s_delay_alu instid0(VALU_DEP_4) | instskip(NEXT) | instid1(VALU_DEP_4)
	v_not_b32_e32 v23, v21
	v_and_b32_e32 v19, v19, v22
	v_lshlrev_b32_e32 v22, 25, v18
	s_delay_alu instid0(VALU_DEP_4)
	v_xor_b32_e32 v20, s16, v20
	v_cmp_gt_i32_e64 s16, 0, v21
	v_ashrrev_i32_e32 v21, 31, v23
	v_lshlrev_b32_e32 v18, 24, v18
	v_not_b32_e32 v23, v22
	v_and_b32_e32 v19, v19, v20
	s_delay_alu instid0(VALU_DEP_4) | instskip(SKIP_1) | instid1(VALU_DEP_4)
	v_xor_b32_e32 v20, s16, v21
	v_cmp_gt_i32_e64 s16, 0, v22
	v_ashrrev_i32_e32 v21, 31, v23
	v_not_b32_e32 v22, v18
	s_delay_alu instid0(VALU_DEP_4) | instskip(NEXT) | instid1(VALU_DEP_3)
	v_and_b32_e32 v19, v19, v20
	v_xor_b32_e32 v20, s16, v21
	v_cmp_gt_i32_e64 s16, 0, v18
	s_delay_alu instid0(VALU_DEP_4) | instskip(NEXT) | instid1(VALU_DEP_3)
	v_ashrrev_i32_e32 v18, 31, v22
	v_and_b32_e32 v19, v19, v20
	s_delay_alu instid0(VALU_DEP_2) | instskip(NEXT) | instid1(VALU_DEP_1)
	v_xor_b32_e32 v18, s16, v18
	v_and_b32_e32 v18, v19, v18
	s_delay_alu instid0(VALU_DEP_1) | instskip(SKIP_1) | instid1(VALU_DEP_2)
	v_mbcnt_lo_u32_b32 v98, v18, 0
	v_cmp_ne_u32_e64 s17, 0, v18
	v_cmp_eq_u32_e64 s16, 0, v98
	s_delay_alu instid0(VALU_DEP_1) | instskip(NEXT) | instid1(SALU_CYCLE_1)
	s_and_b32 s17, s17, s16
	s_and_saveexec_b32 s16, s17
	s_cbranch_execz .LBB297_102
; %bb.101:                              ;   in Loop: Header=BB297_96 Depth=1
	s_waitcnt vmcnt(0) lgkmcnt(0)
	v_bcnt_u32_b32 v18, v18, v97
	flat_store_b32 v[68:69], v18
.LBB297_102:                            ;   in Loop: Header=BB297_96 Depth=1
	s_or_b32 exec_lo, exec_lo, s16
	v_lshrrev_b32_e32 v87, 24, v83
	; wave barrier
	s_delay_alu instid0(VALU_DEP_1) | instskip(NEXT) | instid1(VALU_DEP_1)
	v_lshrrev_b32_e32 v18, v10, v87
	v_and_b32_e32 v18, v18, v70
	s_delay_alu instid0(VALU_DEP_1) | instskip(SKIP_3) | instid1(VALU_DEP_4)
	v_lshlrev_b32_e32 v19, 3, v18
	v_lshlrev_b32_e32 v21, 30, v18
	;; [unrolled: 1-line block ×4, first 2 shown]
	v_add_lshl_u32 v19, v19, v81, 2
	s_delay_alu instid0(VALU_DEP_1) | instskip(NEXT) | instid1(VALU_DEP_1)
	v_add_co_u32 v70, s16, v9, v19
	v_add_co_ci_u32_e64 v71, s16, 0, v80, s16
	v_and_b32_e32 v19, 1, v18
	flat_load_b32 v99, v[70:71]
	v_add_co_u32 v19, s16, v19, -1
	s_delay_alu instid0(VALU_DEP_1) | instskip(NEXT) | instid1(VALU_DEP_1)
	v_cndmask_b32_e64 v20, 0, 1, s16
	; wave barrier
	v_cmp_ne_u32_e64 s16, 0, v20
	v_not_b32_e32 v20, v21
	s_delay_alu instid0(VALU_DEP_2) | instskip(SKIP_1) | instid1(VALU_DEP_3)
	v_xor_b32_e32 v19, s16, v19
	v_cmp_gt_i32_e64 s16, 0, v21
	v_ashrrev_i32_e32 v20, 31, v20
	v_not_b32_e32 v21, v22
	s_delay_alu instid0(VALU_DEP_4) | instskip(NEXT) | instid1(VALU_DEP_3)
	v_and_b32_e32 v19, exec_lo, v19
	v_xor_b32_e32 v20, s16, v20
	v_cmp_gt_i32_e64 s16, 0, v22
	s_delay_alu instid0(VALU_DEP_4) | instskip(SKIP_1) | instid1(VALU_DEP_4)
	v_ashrrev_i32_e32 v21, 31, v21
	v_not_b32_e32 v22, v23
	v_and_b32_e32 v19, v19, v20
	v_lshlrev_b32_e32 v20, 27, v18
	s_delay_alu instid0(VALU_DEP_4) | instskip(SKIP_2) | instid1(VALU_DEP_4)
	v_xor_b32_e32 v21, s16, v21
	v_cmp_gt_i32_e64 s16, 0, v23
	v_ashrrev_i32_e32 v22, 31, v22
	v_not_b32_e32 v23, v20
	s_delay_alu instid0(VALU_DEP_4) | instskip(SKIP_1) | instid1(VALU_DEP_4)
	v_and_b32_e32 v19, v19, v21
	v_lshlrev_b32_e32 v21, 26, v18
	v_xor_b32_e32 v22, s16, v22
	v_cmp_gt_i32_e64 s16, 0, v20
	v_ashrrev_i32_e32 v20, 31, v23
	s_delay_alu instid0(VALU_DEP_4) | instskip(NEXT) | instid1(VALU_DEP_4)
	v_not_b32_e32 v23, v21
	v_and_b32_e32 v19, v19, v22
	v_lshlrev_b32_e32 v22, 25, v18
	s_delay_alu instid0(VALU_DEP_4)
	v_xor_b32_e32 v20, s16, v20
	v_cmp_gt_i32_e64 s16, 0, v21
	v_ashrrev_i32_e32 v21, 31, v23
	v_lshlrev_b32_e32 v18, 24, v18
	v_not_b32_e32 v23, v22
	v_and_b32_e32 v19, v19, v20
	s_delay_alu instid0(VALU_DEP_4) | instskip(SKIP_1) | instid1(VALU_DEP_4)
	v_xor_b32_e32 v20, s16, v21
	v_cmp_gt_i32_e64 s16, 0, v22
	v_ashrrev_i32_e32 v21, 31, v23
	v_not_b32_e32 v22, v18
	s_delay_alu instid0(VALU_DEP_4) | instskip(NEXT) | instid1(VALU_DEP_3)
	v_and_b32_e32 v19, v19, v20
	v_xor_b32_e32 v20, s16, v21
	v_cmp_gt_i32_e64 s16, 0, v18
	s_delay_alu instid0(VALU_DEP_4) | instskip(NEXT) | instid1(VALU_DEP_3)
	v_ashrrev_i32_e32 v18, 31, v22
	v_and_b32_e32 v19, v19, v20
	s_delay_alu instid0(VALU_DEP_2) | instskip(NEXT) | instid1(VALU_DEP_1)
	v_xor_b32_e32 v18, s16, v18
	v_and_b32_e32 v18, v19, v18
	s_delay_alu instid0(VALU_DEP_1) | instskip(SKIP_1) | instid1(VALU_DEP_2)
	v_mbcnt_lo_u32_b32 v112, v18, 0
	v_cmp_ne_u32_e64 s17, 0, v18
	v_cmp_eq_u32_e64 s16, 0, v112
	s_delay_alu instid0(VALU_DEP_1) | instskip(NEXT) | instid1(SALU_CYCLE_1)
	s_and_b32 s17, s17, s16
	s_and_saveexec_b32 s16, s17
	s_cbranch_execz .LBB297_104
; %bb.103:                              ;   in Loop: Header=BB297_96 Depth=1
	s_waitcnt vmcnt(0) lgkmcnt(0)
	v_bcnt_u32_b32 v18, v18, v99
	flat_store_b32 v[70:71], v18
.LBB297_104:                            ;   in Loop: Header=BB297_96 Depth=1
	s_or_b32 exec_lo, exec_lo, s16
	; wave barrier
	s_waitcnt vmcnt(0) lgkmcnt(0)
	s_waitcnt_vscnt null, 0x0
	s_barrier
	buffer_gl0_inv
	s_clause 0x1
	flat_load_b128 v[22:25], v[4:5] offset:32
	flat_load_b128 v[18:21], v[28:29] offset:16
	s_waitcnt vmcnt(1) lgkmcnt(1)
	v_add_nc_u32_e32 v100, v23, v22
	s_delay_alu instid0(VALU_DEP_1) | instskip(SKIP_1) | instid1(VALU_DEP_1)
	v_add3_u32 v100, v100, v24, v25
	s_waitcnt vmcnt(0) lgkmcnt(0)
	v_add3_u32 v100, v100, v18, v19
	s_delay_alu instid0(VALU_DEP_1) | instskip(NEXT) | instid1(VALU_DEP_1)
	v_add3_u32 v21, v100, v20, v21
	v_mov_b32_dpp v100, v21 row_shr:1 row_mask:0xf bank_mask:0xf
	s_delay_alu instid0(VALU_DEP_1) | instskip(NEXT) | instid1(VALU_DEP_1)
	v_cndmask_b32_e64 v100, v100, 0, vcc_lo
	v_add_nc_u32_e32 v21, v100, v21
	s_delay_alu instid0(VALU_DEP_1) | instskip(NEXT) | instid1(VALU_DEP_1)
	v_mov_b32_dpp v100, v21 row_shr:2 row_mask:0xf bank_mask:0xf
	v_cndmask_b32_e64 v100, 0, v100, s0
	s_delay_alu instid0(VALU_DEP_1) | instskip(NEXT) | instid1(VALU_DEP_1)
	v_add_nc_u32_e32 v21, v21, v100
	v_mov_b32_dpp v100, v21 row_shr:4 row_mask:0xf bank_mask:0xf
	s_delay_alu instid0(VALU_DEP_1) | instskip(NEXT) | instid1(VALU_DEP_1)
	v_cndmask_b32_e64 v100, 0, v100, s1
	v_add_nc_u32_e32 v21, v21, v100
	s_delay_alu instid0(VALU_DEP_1) | instskip(NEXT) | instid1(VALU_DEP_1)
	v_mov_b32_dpp v100, v21 row_shr:8 row_mask:0xf bank_mask:0xf
	v_cndmask_b32_e64 v100, 0, v100, s2
	s_delay_alu instid0(VALU_DEP_1) | instskip(SKIP_3) | instid1(VALU_DEP_1)
	v_add_nc_u32_e32 v21, v21, v100
	ds_swizzle_b32 v100, v21 offset:swizzle(BROADCAST,32,15)
	s_waitcnt lgkmcnt(0)
	v_cndmask_b32_e64 v100, v100, 0, s3
	v_add_nc_u32_e32 v21, v21, v100
	s_and_saveexec_b32 s16, s4
	s_cbranch_execz .LBB297_106
; %bb.105:                              ;   in Loop: Header=BB297_96 Depth=1
	flat_store_b32 v[30:31], v21
.LBB297_106:                            ;   in Loop: Header=BB297_96 Depth=1
	s_or_b32 exec_lo, exec_lo, s16
	s_waitcnt lgkmcnt(0)
	s_waitcnt_vscnt null, 0x0
	s_barrier
	buffer_gl0_inv
	s_and_saveexec_b32 s16, s5
	s_cbranch_execz .LBB297_108
; %bb.107:                              ;   in Loop: Header=BB297_96 Depth=1
	flat_load_b32 v100, v[32:33]
	s_waitcnt vmcnt(0) lgkmcnt(0)
	v_mov_b32_dpp v101, v100 row_shr:1 row_mask:0xf bank_mask:0xf
	s_delay_alu instid0(VALU_DEP_1) | instskip(NEXT) | instid1(VALU_DEP_1)
	v_cndmask_b32_e64 v101, v101, 0, s11
	v_add_nc_u32_e32 v100, v101, v100
	s_delay_alu instid0(VALU_DEP_1) | instskip(NEXT) | instid1(VALU_DEP_1)
	v_mov_b32_dpp v101, v100 row_shr:2 row_mask:0xf bank_mask:0xf
	v_cndmask_b32_e64 v101, 0, v101, s14
	s_delay_alu instid0(VALU_DEP_1) | instskip(NEXT) | instid1(VALU_DEP_1)
	v_add_nc_u32_e32 v100, v100, v101
	v_mov_b32_dpp v101, v100 row_shr:4 row_mask:0xf bank_mask:0xf
	s_delay_alu instid0(VALU_DEP_1) | instskip(NEXT) | instid1(VALU_DEP_1)
	v_cndmask_b32_e64 v101, 0, v101, s15
	v_add_nc_u32_e32 v100, v100, v101
	flat_store_b32 v[32:33], v100
.LBB297_108:                            ;   in Loop: Header=BB297_96 Depth=1
	s_or_b32 exec_lo, exec_lo, s16
	v_mov_b32_e32 v100, 0
	s_waitcnt lgkmcnt(0)
	s_waitcnt_vscnt null, 0x0
	s_barrier
	buffer_gl0_inv
	s_and_saveexec_b32 s16, s6
	s_cbranch_execz .LBB297_110
; %bb.109:                              ;   in Loop: Header=BB297_96 Depth=1
	flat_load_b32 v100, v[36:37]
.LBB297_110:                            ;   in Loop: Header=BB297_96 Depth=1
	s_or_b32 exec_lo, exec_lo, s16
	s_waitcnt vmcnt(0) lgkmcnt(0)
	v_add_nc_u32_e32 v21, v100, v21
	v_add_nc_u32_e32 v10, 8, v10
	s_mov_b32 s18, -1
	ds_bpermute_b32 v21, v82, v21
	s_waitcnt lgkmcnt(0)
	v_cndmask_b32_e64 v21, v21, v100, s7
	s_delay_alu instid0(VALU_DEP_1) | instskip(NEXT) | instid1(VALU_DEP_1)
	v_cndmask_b32_e64 v21, v21, 0, s10
	v_add_nc_u32_e32 v22, v21, v22
	s_delay_alu instid0(VALU_DEP_1) | instskip(NEXT) | instid1(VALU_DEP_1)
	v_add_nc_u32_e32 v23, v22, v23
	v_add_nc_u32_e32 v24, v23, v24
	s_delay_alu instid0(VALU_DEP_1) | instskip(NEXT) | instid1(VALU_DEP_1)
	v_add_nc_u32_e32 v100, v24, v25
	;; [unrolled: 3-line block ×3, first 2 shown]
	v_add_nc_u32_e32 v103, v102, v20
	s_clause 0x1
	flat_store_b128 v[4:5], v[21:24] offset:32
	flat_store_b128 v[28:29], v[100:103] offset:16
	v_mov_b32_e32 v101, v83
	s_waitcnt lgkmcnt(0)
	s_waitcnt_vscnt null, 0x0
	s_barrier
	buffer_gl0_inv
	s_clause 0x3
	flat_load_b32 v18, v[64:65]
	flat_load_b32 v19, v[66:67]
	;; [unrolled: 1-line block ×4, first 2 shown]
	v_lshrrev_b32_e32 v102, 8, v83
	v_lshrrev_b32_e32 v103, 16, v83
	s_waitcnt vmcnt(0) lgkmcnt(0)
	s_waitcnt_vscnt null, 0x0
                                        ; implicit-def: $vgpr22_vgpr23
                                        ; implicit-def: $vgpr24_vgpr25
	s_waitcnt vmcnt(3) lgkmcnt(3)
	v_add_nc_u32_e32 v100, v18, v85
	s_waitcnt vmcnt(2) lgkmcnt(2)
	v_add3_u32 v96, v96, v86, v19
	s_waitcnt vmcnt(1) lgkmcnt(1)
	v_add3_u32 v86, v98, v97, v20
	s_waitcnt vmcnt(0) lgkmcnt(0)
	v_add3_u32 v85, v112, v99, v21
                                        ; implicit-def: $vgpr18_vgpr19
                                        ; implicit-def: $vgpr20_vgpr21
	v_add_co_u32 v64, s17, v12, v100
	s_delay_alu instid0(VALU_DEP_1) | instskip(SKIP_1) | instid1(VALU_DEP_1)
	v_add_co_ci_u32_e64 v65, s17, 0, v13, s17
	v_add_co_u32 v66, s17, v12, v96
	v_add_co_ci_u32_e64 v67, s17, 0, v13, s17
	v_add_co_u32 v68, s17, v12, v86
	s_delay_alu instid0(VALU_DEP_1) | instskip(SKIP_1) | instid1(VALU_DEP_1)
	v_add_co_ci_u32_e64 v69, s17, 0, v13, s17
	v_add_co_u32 v70, s17, v12, v85
	v_add_co_ci_u32_e64 v71, s17, 0, v13, s17
	s_mov_b32 s17, exec_lo
	v_cmpx_lt_u32_e64 v10, v11
	s_cbranch_execz .LBB297_95
; %bb.111:                              ;   in Loop: Header=BB297_96 Depth=1
	s_barrier
	buffer_gl0_inv
	s_clause 0x3
	flat_store_b8 v[64:65], v83
	flat_store_b8 v[66:67], v102
	;; [unrolled: 1-line block ×4, first 2 shown]
	s_waitcnt lgkmcnt(0)
	s_waitcnt_vscnt null, 0x0
	s_barrier
	buffer_gl0_inv
	s_clause 0x3
	flat_load_u8 v83, v[34:35]
	flat_load_u8 v97, v[34:35] offset:32
	flat_load_u8 v98, v[34:35] offset:64
	;; [unrolled: 1-line block ×3, first 2 shown]
	v_mad_u64_u32 v[18:19], null, v100, 7, v[64:65]
	v_mad_u64_u32 v[20:21], null, v96, 7, v[66:67]
	;; [unrolled: 1-line block ×4, first 2 shown]
	s_waitcnt vmcnt(0) lgkmcnt(0)
	s_barrier
	buffer_gl0_inv
	s_clause 0x3
	flat_store_b64 v[18:19], v[52:53]
	flat_store_b64 v[20:21], v[50:51]
	flat_store_b64 v[22:23], v[48:49]
	flat_store_b64 v[24:25], v[54:55]
	s_waitcnt lgkmcnt(0)
	s_waitcnt_vscnt null, 0x0
	s_barrier
	buffer_gl0_inv
	s_clause 0x3
	flat_load_b64 v[18:19], v[38:39]
	flat_load_b64 v[20:21], v[38:39] offset:256
	flat_load_b64 v[22:23], v[38:39] offset:512
	;; [unrolled: 1-line block ×3, first 2 shown]
	v_add_nc_u32_e32 v84, -8, v84
	s_xor_b32 s18, exec_lo, -1
	s_waitcnt vmcnt(0) lgkmcnt(0)
	s_barrier
	buffer_gl0_inv
	v_lshlrev_b16 v97, 8, v97
	v_lshlrev_b16 v99, 8, v99
	s_delay_alu instid0(VALU_DEP_2) | instskip(NEXT) | instid1(VALU_DEP_2)
	v_or_b32_e32 v83, v83, v97
	v_or_b32_e32 v97, v98, v99
	s_delay_alu instid0(VALU_DEP_2) | instskip(NEXT) | instid1(VALU_DEP_2)
	v_and_b32_e32 v83, 0xffff, v83
	v_lshlrev_b32_e32 v97, 16, v97
	s_delay_alu instid0(VALU_DEP_1)
	v_or_b32_e32 v83, v83, v97
	s_branch .LBB297_95
.LBB297_112:
	flat_load_b64 v[18:19], v[4:5]
	s_or_b32 exec_lo, exec_lo, s7
                                        ; implicit-def: $vgpr20_vgpr21
	s_and_saveexec_b32 s7, s0
	s_cbranch_execz .LBB297_20
.LBB297_113:
	flat_load_b64 v[20:21], v[4:5] offset:256
	s_or_b32 exec_lo, exec_lo, s7
                                        ; implicit-def: $vgpr22_vgpr23
	s_and_saveexec_b32 s0, s1
	s_cbranch_execz .LBB297_21
.LBB297_114:
	flat_load_b64 v[22:23], v[4:5] offset:512
	s_or_b32 exec_lo, exec_lo, s0
                                        ; implicit-def: $vgpr24_vgpr25
	s_and_saveexec_b32 s0, s2
	s_cbranch_execz .LBB297_22
.LBB297_115:
	flat_load_b64 v[24:25], v[4:5] offset:768
	s_or_b32 exec_lo, exec_lo, s0
                                        ; implicit-def: $vgpr84_vgpr85
	s_and_saveexec_b32 s0, s3
	s_cbranch_execz .LBB297_23
.LBB297_116:
	flat_load_b64 v[84:85], v[4:5] offset:1024
	s_or_b32 exec_lo, exec_lo, s0
                                        ; implicit-def: $vgpr86_vgpr87
	s_and_saveexec_b32 s0, s4
	s_cbranch_execz .LBB297_24
.LBB297_117:
	flat_load_b64 v[86:87], v[4:5] offset:1280
	s_or_b32 exec_lo, exec_lo, s0
                                        ; implicit-def: $vgpr96_vgpr97
	s_and_saveexec_b32 s0, s5
	s_cbranch_execz .LBB297_25
.LBB297_118:
	flat_load_b64 v[96:97], v[4:5] offset:1536
	s_or_b32 exec_lo, exec_lo, s0
                                        ; implicit-def: $vgpr98_vgpr99
	s_and_saveexec_b32 s0, s6
	s_cbranch_execnz .LBB297_26
	s_branch .LBB297_27
.LBB297_119:
	flat_store_b64 v[0:1], v[21:22]
	s_or_b32 exec_lo, exec_lo, s7
	s_and_saveexec_b32 s7, s2
	s_cbranch_execz .LBB297_71
.LBB297_120:
	flat_store_b64 v[0:1], v[19:20] offset:2048
	s_or_b32 exec_lo, exec_lo, s7
	s_and_saveexec_b32 s2, s6
	s_cbranch_execz .LBB297_72
.LBB297_121:
	v_add_co_u32 v2, vcc_lo, 0x1000, v0
	v_add_co_ci_u32_e32 v3, vcc_lo, 0, v1, vcc_lo
	flat_store_b64 v[2:3], v[17:18]
	s_or_b32 exec_lo, exec_lo, s2
	s_and_saveexec_b32 s2, s5
	s_cbranch_execz .LBB297_73
.LBB297_122:
	v_add_co_u32 v2, vcc_lo, 0x1000, v0
	v_add_co_ci_u32_e32 v3, vcc_lo, 0, v1, vcc_lo
	flat_store_b64 v[2:3], v[15:16] offset:2048
	s_or_b32 exec_lo, exec_lo, s2
	s_and_saveexec_b32 s2, s4
	s_cbranch_execz .LBB297_74
.LBB297_123:
	v_add_co_u32 v2, vcc_lo, 0x2000, v0
	v_add_co_ci_u32_e32 v3, vcc_lo, 0, v1, vcc_lo
	flat_store_b64 v[2:3], v[13:14]
	s_or_b32 exec_lo, exec_lo, s2
	s_and_saveexec_b32 s2, s3
	s_cbranch_execz .LBB297_75
.LBB297_124:
	v_add_co_u32 v2, vcc_lo, 0x2000, v0
	v_add_co_ci_u32_e32 v3, vcc_lo, 0, v1, vcc_lo
	flat_store_b64 v[2:3], v[11:12] offset:2048
	s_or_b32 exec_lo, exec_lo, s2
	s_and_saveexec_b32 s2, s1
	s_cbranch_execz .LBB297_76
.LBB297_125:
	v_add_co_u32 v2, vcc_lo, 0x3000, v0
	v_add_co_ci_u32_e32 v3, vcc_lo, 0, v1, vcc_lo
	flat_store_b64 v[2:3], v[9:10]
	s_or_b32 exec_lo, exec_lo, s2
	s_and_saveexec_b32 s1, s0
	s_cbranch_execnz .LBB297_77
	s_branch .LBB297_78
.LBB297_126:
	s_or_b32 exec_lo, exec_lo, s20
	v_add_co_u32 v4, vcc_lo, v12, v26
	v_add_co_ci_u32_e32 v5, vcc_lo, 0, v13, vcc_lo
	v_mad_u64_u32 v[9:10], null, v100, 7, v[64:65]
	v_mad_u64_u32 v[11:12], null, v96, 7, v[66:67]
	s_delay_alu instid0(VALU_DEP_3)
	v_mad_u64_u32 v[21:22], null, v26, 7, v[4:5]
	v_mad_u64_u32 v[13:14], null, v86, 7, v[68:69]
	s_barrier
	buffer_gl0_inv
	s_clause 0x3
	flat_store_b8 v[64:65], v101
	flat_store_b8 v[66:67], v102
	;; [unrolled: 1-line block ×4, first 2 shown]
	s_waitcnt lgkmcnt(0)
	s_waitcnt_vscnt null, 0x0
	s_barrier
	buffer_gl0_inv
	s_clause 0x3
	flat_load_u8 v18, v[4:5]
	flat_load_u8 v17, v[4:5] offset:256
	flat_load_u8 v16, v[4:5] offset:512
	;; [unrolled: 1-line block ×3, first 2 shown]
	v_mad_u64_u32 v[19:20], null, v85, 7, v[70:71]
	v_add_co_u32 v4, vcc_lo, 0x1000, v21
	v_add_co_ci_u32_e32 v5, vcc_lo, 0, v22, vcc_lo
	s_waitcnt vmcnt(0) lgkmcnt(0)
	s_barrier
	buffer_gl0_inv
	s_clause 0x3
	flat_store_b64 v[9:10], v[52:53]
	flat_store_b64 v[11:12], v[50:51]
	flat_store_b64 v[13:14], v[48:49]
	flat_store_b64 v[19:20], v[54:55]
	s_waitcnt lgkmcnt(0)
	s_waitcnt_vscnt null, 0x0
	s_barrier
	buffer_gl0_inv
	s_clause 0x3
	flat_load_b64 v[13:14], v[21:22]
	flat_load_b64 v[11:12], v[21:22] offset:2048
	flat_load_b64 v[9:10], v[4:5]
	flat_load_b64 v[4:5], v[4:5] offset:2048
	v_add_co_u32 v2, vcc_lo, v2, v8
	v_add_co_ci_u32_e32 v3, vcc_lo, 0, v3, vcc_lo
	v_mov_b32_e32 v28, 0
	s_delay_alu instid0(VALU_DEP_3) | instskip(NEXT) | instid1(VALU_DEP_3)
	v_add_co_u32 v2, vcc_lo, v2, v27
	v_add_co_ci_u32_e32 v3, vcc_lo, 0, v3, vcc_lo
	v_cmp_lt_u32_e32 vcc_lo, v27, v134
	s_waitcnt vmcnt(0) lgkmcnt(0)
	s_barrier
	buffer_gl0_inv
	s_and_saveexec_b32 s0, vcc_lo
	s_cbranch_execz .LBB297_128
; %bb.127:
	v_xor_b32_e32 v8, 0x7f, v18
	flat_store_b8 v[2:3], v8
.LBB297_128:
	s_or_b32 exec_lo, exec_lo, s0
	v_add_nc_u32_e32 v8, 0x100, v27
	s_delay_alu instid0(VALU_DEP_1) | instskip(NEXT) | instid1(VALU_DEP_1)
	v_cmp_lt_u32_e64 s0, v8, v134
	s_and_saveexec_b32 s1, s0
	s_cbranch_execz .LBB297_130
; %bb.129:
	v_xor_b32_e32 v8, 0x7f, v17
	flat_store_b8 v[2:3], v8 offset:256
.LBB297_130:
	s_or_b32 exec_lo, exec_lo, s1
	v_add_nc_u32_e32 v8, 0x200, v27
	s_delay_alu instid0(VALU_DEP_1) | instskip(NEXT) | instid1(VALU_DEP_1)
	v_cmp_lt_u32_e64 s2, v8, v134
	s_and_saveexec_b32 s1, s2
	s_cbranch_execz .LBB297_132
; %bb.131:
	v_xor_b32_e32 v8, 0x7f, v16
	flat_store_b8 v[2:3], v8 offset:512
.LBB297_132:
	;; [unrolled: 10-line block ×3, first 2 shown]
	s_or_b32 exec_lo, exec_lo, s3
	v_lshlrev_b64 v[2:3], 3, v[27:28]
	v_add_co_u32 v0, s3, v6, v0
	s_delay_alu instid0(VALU_DEP_1) | instskip(NEXT) | instid1(VALU_DEP_2)
	v_add_co_ci_u32_e64 v1, s3, v7, v1, s3
	v_add_co_u32 v0, s3, v0, v2
	s_delay_alu instid0(VALU_DEP_1)
	v_add_co_ci_u32_e64 v1, s3, v1, v3, s3
	s_and_saveexec_b32 s3, vcc_lo
	s_cbranch_execnz .LBB297_167
; %bb.135:
	s_or_b32 exec_lo, exec_lo, s3
	s_and_saveexec_b32 s3, s0
	s_cbranch_execnz .LBB297_168
.LBB297_136:
	s_or_b32 exec_lo, exec_lo, s3
	s_and_saveexec_b32 s0, s2
	s_cbranch_execnz .LBB297_169
.LBB297_137:
	s_or_b32 exec_lo, exec_lo, s0
	s_and_saveexec_b32 s0, s1
	s_cbranch_execz .LBB297_139
.LBB297_138:
	v_add_co_u32 v0, vcc_lo, 0x1000, v0
	v_add_co_ci_u32_e32 v1, vcc_lo, 0, v1, vcc_lo
	flat_store_b64 v[0:1], v[4:5] offset:2048
.LBB297_139:
	s_or_b32 exec_lo, exec_lo, s0
                                        ; implicit-def: $vgpr134
                                        ; implicit-def: $vgpr0
                                        ; implicit-def: $vgpr1
                                        ; implicit-def: $vgpr2
                                        ; implicit-def: $vgpr3
                                        ; implicit-def: $vgpr4
                                        ; implicit-def: $vgpr5
                                        ; implicit-def: $vgpr6
                                        ; implicit-def: $vgpr7
                                        ; implicit-def: $vgpr8
                                        ; implicit-def: $vgpr10
                                        ; implicit-def: $vgpr11
                                        ; implicit-def: $vgpr12
                                        ; implicit-def: $vgpr13
                                        ; implicit-def: $vgpr14
                                        ; implicit-def: $vgpr15
                                        ; implicit-def: $vgpr26
                                        ; implicit-def: $vgpr16
.LBB297_140:
	s_and_not1_saveexec_b32 s0, s19
	s_cbranch_execz .LBB297_199
; %bb.141:
	s_load_b64 s[0:1], s[8:9], 0x0
	v_mov_b32_e32 v9, 0
	s_waitcnt lgkmcnt(0)
	s_cmp_lt_u32 s13, s1
	s_cselect_b32 s1, 14, 20
	s_delay_alu instid0(SALU_CYCLE_1) | instskip(SKIP_4) | instid1(SALU_CYCLE_1)
	s_add_u32 s2, s8, s1
	s_addc_u32 s3, s9, 0
	s_cmp_lt_u32 s12, s0
	global_load_u16 v17, v9, s[2:3]
	s_cselect_b32 s0, 12, 18
	s_add_u32 s0, s8, s0
	s_addc_u32 s1, s9, 0
	global_load_u16 v18, v9, s[0:1]
	s_mov_b32 s0, exec_lo
	s_waitcnt vmcnt(1)
	v_mad_u32_u24 v14, v15, v17, v14
	s_waitcnt vmcnt(0)
	s_delay_alu instid0(VALU_DEP_1)
	v_mad_u64_u32 v[27:28], null, v14, v18, v[26:27]
	v_cmpx_lt_u32_e32 0x100, v134
	s_xor_b32 s15, exec_lo, s0
	s_cbranch_execz .LBB297_179
; %bb.142:
	s_delay_alu instid0(VALU_DEP_2) | instskip(SKIP_2) | instid1(VALU_DEP_3)
	v_dual_mov_b32 v15, v9 :: v_dual_lshlrev_b32 v14, 1, v27
	v_add_co_u32 v0, vcc_lo, v0, v8
	v_add_co_ci_u32_e32 v1, vcc_lo, 0, v1, vcc_lo
	v_and_b32_e32 v14, 0xffffffc0, v14
	s_delay_alu instid0(VALU_DEP_3) | instskip(NEXT) | instid1(VALU_DEP_3)
	v_add_co_u32 v0, vcc_lo, v0, v16
	v_add_co_ci_u32_e32 v1, vcc_lo, 0, v1, vcc_lo
	s_delay_alu instid0(VALU_DEP_3) | instskip(NEXT) | instid1(VALU_DEP_3)
	v_or_b32_e32 v18, v16, v14
	v_add_co_u32 v0, vcc_lo, v0, v14
	s_delay_alu instid0(VALU_DEP_3) | instskip(NEXT) | instid1(VALU_DEP_3)
	v_add_co_ci_u32_e32 v1, vcc_lo, 0, v1, vcc_lo
	v_cmp_lt_u32_e32 vcc_lo, v18, v134
	v_dual_mov_b32 v17, 0x80 :: v_dual_mov_b32 v22, 0x80
	s_and_saveexec_b32 s0, vcc_lo
	s_cbranch_execz .LBB297_144
; %bb.143:
	flat_load_u8 v17, v[0:1]
.LBB297_144:
	s_or_b32 exec_lo, exec_lo, s0
	v_or_b32_e32 v18, 32, v18
	s_delay_alu instid0(VALU_DEP_1) | instskip(NEXT) | instid1(VALU_DEP_1)
	v_cmp_lt_u32_e64 s0, v18, v134
	s_and_saveexec_b32 s1, s0
	s_cbranch_execz .LBB297_146
; %bb.145:
	flat_load_u8 v22, v[0:1] offset:32
.LBB297_146:
	s_or_b32 exec_lo, exec_lo, s1
	v_lshlrev_b64 v[0:1], 3, v[8:9]
	v_lshlrev_b32_e32 v9, 3, v16
	s_delay_alu instid0(VALU_DEP_2) | instskip(NEXT) | instid1(VALU_DEP_1)
	v_add_co_u32 v18, s1, v4, v0
	v_add_co_ci_u32_e64 v19, s1, v5, v1, s1
	v_lshlrev_b64 v[4:5], 3, v[14:15]
	s_delay_alu instid0(VALU_DEP_3) | instskip(NEXT) | instid1(VALU_DEP_1)
	v_add_co_u32 v9, s1, v18, v9
	v_add_co_ci_u32_e64 v14, s1, 0, v19, s1
                                        ; implicit-def: $vgpr18_vgpr19
	s_delay_alu instid0(VALU_DEP_2) | instskip(NEXT) | instid1(VALU_DEP_1)
	v_add_co_u32 v4, s1, v9, v4
	v_add_co_ci_u32_e64 v5, s1, v14, v5, s1
	s_and_saveexec_b32 s1, vcc_lo
	s_cbranch_execz .LBB297_148
; %bb.147:
	flat_load_b64 v[18:19], v[4:5]
.LBB297_148:
	s_or_b32 exec_lo, exec_lo, s1
                                        ; implicit-def: $vgpr20_vgpr21
	s_and_saveexec_b32 s1, s0
	s_cbranch_execz .LBB297_150
; %bb.149:
	flat_load_b64 v[20:21], v[4:5] offset:256
.LBB297_150:
	s_or_b32 exec_lo, exec_lo, s1
	s_waitcnt vmcnt(0) lgkmcnt(0)
	v_xor_b32_e32 v4, 0x7f, v17
	v_xor_b32_e32 v5, 0x7f, v22
	s_mov_b32 s16, 0
	v_add_co_u32 v9, vcc_lo, v12, 32
	s_delay_alu instid0(VALU_DEP_3) | instskip(NEXT) | instid1(VALU_DEP_3)
	v_dual_mov_b32 v15, 0 :: v_dual_and_b32 v4, 0xff, v4
	v_lshlrev_b16 v5, 8, v5
	s_mov_b32 s17, s16
	s_mov_b32 s18, s16
	;; [unrolled: 1-line block ×3, first 2 shown]
	v_lshlrev_b32_e32 v14, 5, v26
	v_or_b32_e32 v4, v4, v5
	v_and_b32_e32 v22, 0x3e0, v26
	v_add_co_ci_u32_e32 v64, vcc_lo, 0, v13, vcc_lo
	v_add_nc_u32_e32 v23, -1, v16
	s_delay_alu instid0(VALU_DEP_4)
	v_and_b32_e32 v66, 0xffff, v4
	v_add_co_u32 v4, vcc_lo, v12, v14
	v_add_co_ci_u32_e32 v5, vcc_lo, 0, v13, vcc_lo
	v_add_co_u32 v28, vcc_lo, v9, v14
	v_min_u32_e32 v14, 0xe0, v22
	v_and_b32_e32 v22, 16, v16
	v_and_b32_e32 v17, 15, v16
	v_cmp_gt_i32_e64 s4, 0, v23
	s_getpc_b64 s[0:1]
	s_add_u32 s0, s0, _ZN7rocprim17ROCPRIM_400000_NS16block_radix_sortIaLj256ELj2ElLj1ELj1ELj8ELNS0_26block_radix_rank_algorithmE2ELNS0_18block_padding_hintE2ELNS0_4arch9wavefront6targetE0EE19radix_bits_per_passE@rel32@lo+4
	s_addc_u32 s1, s1, _ZN7rocprim17ROCPRIM_400000_NS16block_radix_sortIaLj256ELj2ElLj1ELj1ELj8ELNS0_26block_radix_rank_algorithmE2ELNS0_18block_padding_hintE2ELNS0_4arch9wavefront6targetE0EE19radix_bits_per_passE@rel32@hi+12
	v_or_b32_e32 v14, 31, v14
	v_cmp_eq_u32_e64 s3, 0, v22
	v_lshrrev_b32_e32 v22, 5, v26
	v_add_co_ci_u32_e32 v29, vcc_lo, 0, v64, vcc_lo
	v_lshlrev_b32_e32 v24, 1, v26
	s_load_b32 s20, s[0:1], 0x0
	v_cmp_eq_u32_e32 vcc_lo, 0, v17
	v_cmp_lt_u32_e64 s0, 1, v17
	v_cmp_lt_u32_e64 s1, 3, v17
	v_cmp_lt_u32_e64 s2, 7, v17
	v_cndmask_b32_e64 v17, v23, v16, s4
	v_cmp_eq_u32_e64 s4, v14, v26
	v_lshlrev_b32_e32 v14, 2, v22
	v_cmp_eq_u32_e64 s7, 0, v16
	v_and_b32_e32 v23, 7, v16
	v_and_or_b32 v16, 0x7c0, v24, v16
	v_lshlrev_b32_e32 v67, 2, v17
	v_add_co_u32 v30, s9, v12, v14
	v_add_nc_u32_e32 v14, -1, v22
	s_delay_alu instid0(VALU_DEP_4) | instskip(SKIP_2) | instid1(VALU_DEP_4)
	v_add_co_u32 v34, s12, v12, v16
	v_lshlrev_b32_e32 v17, 2, v26
	v_add_co_ci_u32_e64 v35, s12, 0, v13, s12
	v_lshlrev_b64 v[14:15], 2, v[14:15]
	v_add_co_ci_u32_e64 v31, s9, 0, v13, s9
	s_delay_alu instid0(VALU_DEP_4) | instskip(NEXT) | instid1(VALU_DEP_4)
	v_add_co_u32 v32, s9, v12, v17
	v_mad_u64_u32 v[38:39], null, v16, 7, v[34:35]
	s_delay_alu instid0(VALU_DEP_4)
	v_add_co_u32 v36, s12, v12, v14
	v_add_co_ci_u32_e64 v33, s9, 0, v13, s9
	v_add_co_ci_u32_e64 v37, s12, v13, v15, s12
	v_mov_b32_e32 v14, s16
	v_mov_b32_e32 v16, s18
	v_lshrrev_b32_e32 v65, 5, v27
	v_cmp_gt_u32_e64 s5, 8, v26
	v_cmp_lt_u32_e64 s6, 31, v26
	v_cmp_eq_u32_e64 s8, 0, v26
	v_cmp_eq_u32_e64 s9, 0, v23
	v_cmp_lt_u32_e64 s10, 1, v23
	v_cmp_lt_u32_e64 s11, 3, v23
	v_sub_nc_u32_e32 v68, v11, v10
	v_mov_b32_e32 v15, s17
	v_mov_b32_e32 v17, s19
	s_waitcnt lgkmcnt(0)
	s_waitcnt_vscnt null, 0x0
	s_barrier
	buffer_gl0_inv
	s_branch .LBB297_152
.LBB297_151:                            ;   in Loop: Header=BB297_152 Depth=1
	s_or_b32 exec_lo, exec_lo, s13
	s_delay_alu instid0(SALU_CYCLE_1) | instskip(NEXT) | instid1(SALU_CYCLE_1)
	s_and_b32 s12, exec_lo, s14
	s_or_b32 s16, s12, s16
	s_delay_alu instid0(SALU_CYCLE_1)
	s_and_not1_b32 exec_lo, exec_lo, s16
	s_cbranch_execz .LBB297_170
.LBB297_152:                            ; =>This Inner Loop Header: Depth=1
	v_min_u32_e32 v22, s20, v68
	v_and_b32_e32 v23, 0xff, v66
	s_clause 0x1
	flat_store_b128 v[4:5], v[14:17] offset:32
	flat_store_b128 v[28:29], v[14:17] offset:16
	s_waitcnt lgkmcnt(0)
	s_waitcnt_vscnt null, 0x0
	s_barrier
	v_lshlrev_b32_e64 v22, v22, -1
	v_lshrrev_b32_e32 v23, v10, v23
	buffer_gl0_inv
	; wave barrier
	v_not_b32_e32 v22, v22
	s_delay_alu instid0(VALU_DEP_1) | instskip(NEXT) | instid1(VALU_DEP_1)
	v_and_b32_e32 v23, v23, v22
	v_and_b32_e32 v24, 1, v23
	v_lshlrev_b32_e32 v25, 30, v23
	v_lshlrev_b32_e32 v48, 29, v23
	;; [unrolled: 1-line block ×4, first 2 shown]
	v_add_co_u32 v24, s12, v24, -1
	s_delay_alu instid0(VALU_DEP_1)
	v_cndmask_b32_e64 v50, 0, 1, s12
	v_not_b32_e32 v54, v25
	v_cmp_gt_i32_e64 s13, 0, v25
	v_not_b32_e32 v25, v48
	v_lshlrev_b32_e32 v52, 26, v23
	v_cmp_ne_u32_e64 s12, 0, v50
	v_ashrrev_i32_e32 v54, 31, v54
	v_lshlrev_b32_e32 v53, 25, v23
	v_ashrrev_i32_e32 v25, 31, v25
	v_lshlrev_b32_e32 v50, 24, v23
	v_xor_b32_e32 v24, s12, v24
	v_cmp_gt_i32_e64 s12, 0, v48
	v_not_b32_e32 v48, v49
	v_xor_b32_e32 v54, s13, v54
	v_cmp_gt_i32_e64 s13, 0, v49
	v_and_b32_e32 v24, exec_lo, v24
	v_not_b32_e32 v49, v51
	v_ashrrev_i32_e32 v48, 31, v48
	v_xor_b32_e32 v25, s12, v25
	v_cmp_gt_i32_e64 s12, 0, v51
	v_and_b32_e32 v24, v24, v54
	v_not_b32_e32 v51, v52
	v_ashrrev_i32_e32 v49, 31, v49
	v_xor_b32_e32 v48, s13, v48
	v_cmp_gt_i32_e64 s13, 0, v52
	v_and_b32_e32 v24, v24, v25
	;; [unrolled: 5-line block ×4, first 2 shown]
	v_ashrrev_i32_e32 v48, 31, v48
	v_xor_b32_e32 v25, s12, v25
	s_delay_alu instid0(VALU_DEP_3) | instskip(NEXT) | instid1(VALU_DEP_3)
	v_and_b32_e32 v24, v24, v51
	v_xor_b32_e32 v50, s13, v48
	v_dual_mov_b32 v49, v21 :: v_dual_mov_b32 v48, v20
	s_delay_alu instid0(VALU_DEP_3) | instskip(NEXT) | instid1(VALU_DEP_1)
	v_and_b32_e32 v24, v24, v25
	v_dual_mov_b32 v51, v19 :: v_dual_and_b32 v20, v24, v50
	v_mov_b32_e32 v50, v18
	v_lshlrev_b32_e32 v18, 3, v23
	s_delay_alu instid0(VALU_DEP_3) | instskip(SKIP_1) | instid1(VALU_DEP_3)
	v_mbcnt_lo_u32_b32 v70, v20, 0
	v_cmp_ne_u32_e64 s12, 0, v20
	v_add_lshl_u32 v18, v18, v65, 2
	s_delay_alu instid0(VALU_DEP_3) | instskip(NEXT) | instid1(VALU_DEP_2)
	v_cmp_eq_u32_e64 s13, 0, v70
	v_add_co_u32 v52, s14, v9, v18
	s_delay_alu instid0(VALU_DEP_1) | instskip(NEXT) | instid1(VALU_DEP_3)
	v_add_co_ci_u32_e64 v53, s14, 0, v64, s14
	s_and_b32 s13, s12, s13
	s_delay_alu instid0(SALU_CYCLE_1)
	s_and_saveexec_b32 s12, s13
	s_cbranch_execz .LBB297_154
; %bb.153:                              ;   in Loop: Header=BB297_152 Depth=1
	v_bcnt_u32_b32 v18, v20, 0
	flat_store_b32 v[52:53], v18
.LBB297_154:                            ;   in Loop: Header=BB297_152 Depth=1
	s_or_b32 exec_lo, exec_lo, s12
	v_lshrrev_b16 v69, 8, v66
	; wave barrier
	s_delay_alu instid0(VALU_DEP_1) | instskip(NEXT) | instid1(VALU_DEP_1)
	v_and_b32_e32 v18, 0xffff, v69
	v_lshrrev_b32_e32 v18, v10, v18
	s_delay_alu instid0(VALU_DEP_1) | instskip(NEXT) | instid1(VALU_DEP_1)
	v_and_b32_e32 v18, v18, v22
	v_lshlrev_b32_e32 v19, 3, v18
	v_lshlrev_b32_e32 v21, 30, v18
	;; [unrolled: 1-line block ×4, first 2 shown]
	s_delay_alu instid0(VALU_DEP_4) | instskip(NEXT) | instid1(VALU_DEP_1)
	v_add_lshl_u32 v19, v19, v65, 2
	v_add_co_u32 v54, s12, v9, v19
	s_delay_alu instid0(VALU_DEP_1) | instskip(SKIP_3) | instid1(VALU_DEP_1)
	v_add_co_ci_u32_e64 v55, s12, 0, v64, s12
	v_and_b32_e32 v19, 1, v18
	flat_load_b32 v71, v[54:55]
	v_add_co_u32 v19, s12, v19, -1
	v_cndmask_b32_e64 v20, 0, 1, s12
	; wave barrier
	s_delay_alu instid0(VALU_DEP_1) | instskip(SKIP_1) | instid1(VALU_DEP_2)
	v_cmp_ne_u32_e64 s12, 0, v20
	v_not_b32_e32 v20, v21
	v_xor_b32_e32 v19, s12, v19
	v_cmp_gt_i32_e64 s12, 0, v21
	s_delay_alu instid0(VALU_DEP_3) | instskip(SKIP_1) | instid1(VALU_DEP_4)
	v_ashrrev_i32_e32 v20, 31, v20
	v_not_b32_e32 v21, v22
	v_and_b32_e32 v19, exec_lo, v19
	s_delay_alu instid0(VALU_DEP_3) | instskip(SKIP_1) | instid1(VALU_DEP_4)
	v_xor_b32_e32 v20, s12, v20
	v_cmp_gt_i32_e64 s12, 0, v22
	v_ashrrev_i32_e32 v21, 31, v21
	v_not_b32_e32 v22, v23
	s_delay_alu instid0(VALU_DEP_4) | instskip(SKIP_1) | instid1(VALU_DEP_4)
	v_and_b32_e32 v19, v19, v20
	v_lshlrev_b32_e32 v20, 27, v18
	v_xor_b32_e32 v21, s12, v21
	v_cmp_gt_i32_e64 s12, 0, v23
	v_ashrrev_i32_e32 v22, 31, v22
	s_delay_alu instid0(VALU_DEP_4) | instskip(NEXT) | instid1(VALU_DEP_4)
	v_not_b32_e32 v23, v20
	v_and_b32_e32 v19, v19, v21
	v_lshlrev_b32_e32 v21, 26, v18
	s_delay_alu instid0(VALU_DEP_4) | instskip(SKIP_2) | instid1(VALU_DEP_4)
	v_xor_b32_e32 v22, s12, v22
	v_cmp_gt_i32_e64 s12, 0, v20
	v_ashrrev_i32_e32 v20, 31, v23
	v_not_b32_e32 v23, v21
	s_delay_alu instid0(VALU_DEP_4) | instskip(SKIP_1) | instid1(VALU_DEP_4)
	v_and_b32_e32 v19, v19, v22
	v_lshlrev_b32_e32 v22, 25, v18
	v_xor_b32_e32 v20, s12, v20
	v_cmp_gt_i32_e64 s12, 0, v21
	v_ashrrev_i32_e32 v21, 31, v23
	v_lshlrev_b32_e32 v18, 24, v18
	v_not_b32_e32 v23, v22
	v_and_b32_e32 v19, v19, v20
	s_delay_alu instid0(VALU_DEP_4) | instskip(SKIP_1) | instid1(VALU_DEP_4)
	v_xor_b32_e32 v20, s12, v21
	v_cmp_gt_i32_e64 s12, 0, v22
	v_ashrrev_i32_e32 v21, 31, v23
	v_not_b32_e32 v22, v18
	s_delay_alu instid0(VALU_DEP_4) | instskip(NEXT) | instid1(VALU_DEP_3)
	v_and_b32_e32 v19, v19, v20
	v_xor_b32_e32 v20, s12, v21
	v_cmp_gt_i32_e64 s12, 0, v18
	s_delay_alu instid0(VALU_DEP_4) | instskip(NEXT) | instid1(VALU_DEP_3)
	v_ashrrev_i32_e32 v18, 31, v22
	v_and_b32_e32 v19, v19, v20
	s_delay_alu instid0(VALU_DEP_2) | instskip(NEXT) | instid1(VALU_DEP_1)
	v_xor_b32_e32 v18, s12, v18
	v_and_b32_e32 v18, v19, v18
	s_delay_alu instid0(VALU_DEP_1) | instskip(SKIP_1) | instid1(VALU_DEP_2)
	v_mbcnt_lo_u32_b32 v80, v18, 0
	v_cmp_ne_u32_e64 s13, 0, v18
	v_cmp_eq_u32_e64 s12, 0, v80
	s_delay_alu instid0(VALU_DEP_1) | instskip(NEXT) | instid1(SALU_CYCLE_1)
	s_and_b32 s13, s13, s12
	s_and_saveexec_b32 s12, s13
	s_cbranch_execz .LBB297_156
; %bb.155:                              ;   in Loop: Header=BB297_152 Depth=1
	s_waitcnt vmcnt(0) lgkmcnt(0)
	v_bcnt_u32_b32 v18, v18, v71
	flat_store_b32 v[54:55], v18
.LBB297_156:                            ;   in Loop: Header=BB297_152 Depth=1
	s_or_b32 exec_lo, exec_lo, s12
	; wave barrier
	s_waitcnt vmcnt(0) lgkmcnt(0)
	s_waitcnt_vscnt null, 0x0
	s_barrier
	buffer_gl0_inv
	s_clause 0x1
	flat_load_b128 v[22:25], v[4:5] offset:32
	flat_load_b128 v[18:21], v[28:29] offset:16
	s_waitcnt vmcnt(1) lgkmcnt(1)
	v_add_nc_u32_e32 v81, v23, v22
	s_delay_alu instid0(VALU_DEP_1) | instskip(SKIP_1) | instid1(VALU_DEP_1)
	v_add3_u32 v81, v81, v24, v25
	s_waitcnt vmcnt(0) lgkmcnt(0)
	v_add3_u32 v81, v81, v18, v19
	s_delay_alu instid0(VALU_DEP_1) | instskip(NEXT) | instid1(VALU_DEP_1)
	v_add3_u32 v21, v81, v20, v21
	v_mov_b32_dpp v81, v21 row_shr:1 row_mask:0xf bank_mask:0xf
	s_delay_alu instid0(VALU_DEP_1) | instskip(NEXT) | instid1(VALU_DEP_1)
	v_cndmask_b32_e64 v81, v81, 0, vcc_lo
	v_add_nc_u32_e32 v21, v81, v21
	s_delay_alu instid0(VALU_DEP_1) | instskip(NEXT) | instid1(VALU_DEP_1)
	v_mov_b32_dpp v81, v21 row_shr:2 row_mask:0xf bank_mask:0xf
	v_cndmask_b32_e64 v81, 0, v81, s0
	s_delay_alu instid0(VALU_DEP_1) | instskip(NEXT) | instid1(VALU_DEP_1)
	v_add_nc_u32_e32 v21, v21, v81
	v_mov_b32_dpp v81, v21 row_shr:4 row_mask:0xf bank_mask:0xf
	s_delay_alu instid0(VALU_DEP_1) | instskip(NEXT) | instid1(VALU_DEP_1)
	v_cndmask_b32_e64 v81, 0, v81, s1
	v_add_nc_u32_e32 v21, v21, v81
	s_delay_alu instid0(VALU_DEP_1) | instskip(NEXT) | instid1(VALU_DEP_1)
	v_mov_b32_dpp v81, v21 row_shr:8 row_mask:0xf bank_mask:0xf
	v_cndmask_b32_e64 v81, 0, v81, s2
	s_delay_alu instid0(VALU_DEP_1) | instskip(SKIP_3) | instid1(VALU_DEP_1)
	v_add_nc_u32_e32 v21, v21, v81
	ds_swizzle_b32 v81, v21 offset:swizzle(BROADCAST,32,15)
	s_waitcnt lgkmcnt(0)
	v_cndmask_b32_e64 v81, v81, 0, s3
	v_add_nc_u32_e32 v21, v21, v81
	s_and_saveexec_b32 s12, s4
	s_cbranch_execz .LBB297_158
; %bb.157:                              ;   in Loop: Header=BB297_152 Depth=1
	flat_store_b32 v[30:31], v21
.LBB297_158:                            ;   in Loop: Header=BB297_152 Depth=1
	s_or_b32 exec_lo, exec_lo, s12
	s_waitcnt lgkmcnt(0)
	s_waitcnt_vscnt null, 0x0
	s_barrier
	buffer_gl0_inv
	s_and_saveexec_b32 s12, s5
	s_cbranch_execz .LBB297_160
; %bb.159:                              ;   in Loop: Header=BB297_152 Depth=1
	flat_load_b32 v81, v[32:33]
	s_waitcnt vmcnt(0) lgkmcnt(0)
	v_mov_b32_dpp v82, v81 row_shr:1 row_mask:0xf bank_mask:0xf
	s_delay_alu instid0(VALU_DEP_1) | instskip(NEXT) | instid1(VALU_DEP_1)
	v_cndmask_b32_e64 v82, v82, 0, s9
	v_add_nc_u32_e32 v81, v82, v81
	s_delay_alu instid0(VALU_DEP_1) | instskip(NEXT) | instid1(VALU_DEP_1)
	v_mov_b32_dpp v82, v81 row_shr:2 row_mask:0xf bank_mask:0xf
	v_cndmask_b32_e64 v82, 0, v82, s10
	s_delay_alu instid0(VALU_DEP_1) | instskip(NEXT) | instid1(VALU_DEP_1)
	v_add_nc_u32_e32 v81, v81, v82
	v_mov_b32_dpp v82, v81 row_shr:4 row_mask:0xf bank_mask:0xf
	s_delay_alu instid0(VALU_DEP_1) | instskip(NEXT) | instid1(VALU_DEP_1)
	v_cndmask_b32_e64 v82, 0, v82, s11
	v_add_nc_u32_e32 v81, v81, v82
	flat_store_b32 v[32:33], v81
.LBB297_160:                            ;   in Loop: Header=BB297_152 Depth=1
	s_or_b32 exec_lo, exec_lo, s12
	v_mov_b32_e32 v81, 0
	s_waitcnt lgkmcnt(0)
	s_waitcnt_vscnt null, 0x0
	s_barrier
	buffer_gl0_inv
	s_and_saveexec_b32 s12, s6
	s_cbranch_execz .LBB297_162
; %bb.161:                              ;   in Loop: Header=BB297_152 Depth=1
	flat_load_b32 v81, v[36:37]
.LBB297_162:                            ;   in Loop: Header=BB297_152 Depth=1
	s_or_b32 exec_lo, exec_lo, s12
	s_waitcnt vmcnt(0) lgkmcnt(0)
	v_add_nc_u32_e32 v21, v81, v21
	v_add_nc_u32_e32 v10, 8, v10
	s_mov_b32 s14, -1
	ds_bpermute_b32 v21, v67, v21
	s_waitcnt lgkmcnt(0)
	v_cndmask_b32_e64 v21, v21, v81, s7
	s_delay_alu instid0(VALU_DEP_1) | instskip(NEXT) | instid1(VALU_DEP_1)
	v_cndmask_b32_e64 v21, v21, 0, s8
	v_add_nc_u32_e32 v22, v21, v22
	s_delay_alu instid0(VALU_DEP_1) | instskip(NEXT) | instid1(VALU_DEP_1)
	v_add_nc_u32_e32 v23, v22, v23
	v_add_nc_u32_e32 v24, v23, v24
	s_delay_alu instid0(VALU_DEP_1) | instskip(NEXT) | instid1(VALU_DEP_1)
	v_add_nc_u32_e32 v81, v24, v25
	;; [unrolled: 3-line block ×3, first 2 shown]
	v_add_nc_u32_e32 v84, v83, v20
	s_clause 0x1
	flat_store_b128 v[4:5], v[21:24] offset:32
	flat_store_b128 v[28:29], v[81:84] offset:16
	s_waitcnt lgkmcnt(0)
	s_waitcnt_vscnt null, 0x0
	s_barrier
	buffer_gl0_inv
	s_clause 0x1
	flat_load_b32 v18, v[52:53]
	flat_load_b32 v19, v[54:55]
	v_mov_b32_e32 v54, v66
	s_waitcnt vmcnt(0) lgkmcnt(0)
	s_waitcnt_vscnt null, 0x0
                                        ; implicit-def: $vgpr20_vgpr21
	s_waitcnt vmcnt(1) lgkmcnt(1)
	v_add_nc_u32_e32 v52, v18, v70
	s_waitcnt vmcnt(0) lgkmcnt(0)
	v_add3_u32 v53, v80, v71, v19
                                        ; implicit-def: $vgpr18_vgpr19
	s_delay_alu instid0(VALU_DEP_2) | instskip(NEXT) | instid1(VALU_DEP_1)
	v_add_co_u32 v22, s13, v12, v52
	v_add_co_ci_u32_e64 v23, s13, 0, v13, s13
	s_delay_alu instid0(VALU_DEP_3) | instskip(NEXT) | instid1(VALU_DEP_1)
	v_add_co_u32 v24, s13, v12, v53
	v_add_co_ci_u32_e64 v25, s13, 0, v13, s13
	s_mov_b32 s13, exec_lo
	v_cmpx_lt_u32_e64 v10, v11
	s_cbranch_execz .LBB297_151
; %bb.163:                              ;   in Loop: Header=BB297_152 Depth=1
	s_barrier
	buffer_gl0_inv
	s_clause 0x1
	flat_store_b8 v[22:23], v66
	flat_store_b8 v[24:25], v69
	s_waitcnt lgkmcnt(0)
	s_waitcnt_vscnt null, 0x0
	s_barrier
	buffer_gl0_inv
	s_clause 0x1
	flat_load_u8 v55, v[34:35] offset:32
	flat_load_u8 v66, v[34:35]
	v_mad_u64_u32 v[18:19], null, v52, 7, v[22:23]
	v_mad_u64_u32 v[20:21], null, v53, 7, v[24:25]
	s_waitcnt vmcnt(0) lgkmcnt(0)
	s_barrier
	buffer_gl0_inv
	s_clause 0x1
	flat_store_b64 v[18:19], v[50:51]
	flat_store_b64 v[20:21], v[48:49]
	s_waitcnt lgkmcnt(0)
	s_waitcnt_vscnt null, 0x0
	s_barrier
	buffer_gl0_inv
	s_clause 0x1
	flat_load_b64 v[18:19], v[38:39]
	flat_load_b64 v[20:21], v[38:39] offset:256
	v_add_nc_u32_e32 v68, -8, v68
	s_xor_b32 s14, exec_lo, -1
	s_waitcnt vmcnt(0) lgkmcnt(0)
	s_barrier
	buffer_gl0_inv
	v_lshlrev_b16 v55, 8, v55
	s_delay_alu instid0(VALU_DEP_1) | instskip(NEXT) | instid1(VALU_DEP_1)
	v_or_b32_e32 v55, v66, v55
	v_and_b32_e32 v66, 0xffff, v55
	s_branch .LBB297_151
.LBB297_164:
	flat_load_b64 v[18:19], v[4:5]
	s_or_b32 exec_lo, exec_lo, s3
                                        ; implicit-def: $vgpr20_vgpr21
	s_and_saveexec_b32 s3, s0
	s_cbranch_execz .LBB297_91
.LBB297_165:
	flat_load_b64 v[20:21], v[4:5] offset:256
	s_or_b32 exec_lo, exec_lo, s3
                                        ; implicit-def: $vgpr22_vgpr23
	s_and_saveexec_b32 s0, s1
	s_cbranch_execz .LBB297_92
.LBB297_166:
	flat_load_b64 v[22:23], v[4:5] offset:512
	s_or_b32 exec_lo, exec_lo, s0
                                        ; implicit-def: $vgpr24_vgpr25
	s_and_saveexec_b32 s0, s2
	s_cbranch_execnz .LBB297_93
	s_branch .LBB297_94
.LBB297_167:
	flat_store_b64 v[0:1], v[13:14]
	s_or_b32 exec_lo, exec_lo, s3
	s_and_saveexec_b32 s3, s0
	s_cbranch_execz .LBB297_136
.LBB297_168:
	flat_store_b64 v[0:1], v[11:12] offset:2048
	s_or_b32 exec_lo, exec_lo, s3
	s_and_saveexec_b32 s0, s2
	s_cbranch_execz .LBB297_137
.LBB297_169:
	v_add_co_u32 v2, vcc_lo, 0x1000, v0
	v_add_co_ci_u32_e32 v3, vcc_lo, 0, v1, vcc_lo
	flat_store_b64 v[2:3], v[9:10]
	s_or_b32 exec_lo, exec_lo, s0
	s_and_saveexec_b32 s0, s1
	s_cbranch_execnz .LBB297_138
	s_branch .LBB297_139
.LBB297_170:
	s_or_b32 exec_lo, exec_lo, s16
	v_add_co_u32 v4, vcc_lo, v12, v26
	v_add_co_ci_u32_e32 v5, vcc_lo, 0, v13, vcc_lo
	v_mad_u64_u32 v[9:10], null, v52, 7, v[22:23]
	v_mad_u64_u32 v[13:14], null, v53, 7, v[24:25]
	s_delay_alu instid0(VALU_DEP_3)
	v_mad_u64_u32 v[15:16], null, v26, 7, v[4:5]
	s_barrier
	buffer_gl0_inv
	s_clause 0x1
	flat_store_b8 v[22:23], v54
	flat_store_b8 v[24:25], v69
	s_waitcnt lgkmcnt(0)
	s_waitcnt_vscnt null, 0x0
	s_barrier
	buffer_gl0_inv
	s_clause 0x1
	flat_load_u8 v12, v[4:5]
	flat_load_u8 v11, v[4:5] offset:256
	s_waitcnt vmcnt(0) lgkmcnt(0)
	s_barrier
	buffer_gl0_inv
	s_clause 0x1
	flat_store_b64 v[9:10], v[50:51]
	flat_store_b64 v[13:14], v[48:49]
	s_waitcnt lgkmcnt(0)
	s_waitcnt_vscnt null, 0x0
	s_barrier
	buffer_gl0_inv
	s_clause 0x1
	flat_load_b64 v[9:10], v[15:16]
	flat_load_b64 v[4:5], v[15:16] offset:2048
	v_add_co_u32 v2, vcc_lo, v2, v8
	v_add_co_ci_u32_e32 v3, vcc_lo, 0, v3, vcc_lo
	v_mov_b32_e32 v28, 0
	s_delay_alu instid0(VALU_DEP_3) | instskip(NEXT) | instid1(VALU_DEP_3)
	v_add_co_u32 v2, vcc_lo, v2, v27
	v_add_co_ci_u32_e32 v3, vcc_lo, 0, v3, vcc_lo
	v_cmp_lt_u32_e32 vcc_lo, v27, v134
	s_waitcnt vmcnt(0) lgkmcnt(0)
	s_barrier
	buffer_gl0_inv
	s_and_saveexec_b32 s0, vcc_lo
	s_cbranch_execz .LBB297_172
; %bb.171:
	v_xor_b32_e32 v8, 0x7f, v12
	flat_store_b8 v[2:3], v8
.LBB297_172:
	s_or_b32 exec_lo, exec_lo, s0
	v_add_nc_u32_e32 v8, 0x100, v27
	s_delay_alu instid0(VALU_DEP_1) | instskip(NEXT) | instid1(VALU_DEP_1)
	v_cmp_lt_u32_e64 s0, v8, v134
	s_and_saveexec_b32 s1, s0
	s_cbranch_execz .LBB297_174
; %bb.173:
	v_xor_b32_e32 v8, 0x7f, v11
	flat_store_b8 v[2:3], v8 offset:256
.LBB297_174:
	s_or_b32 exec_lo, exec_lo, s1
	v_lshlrev_b64 v[2:3], 3, v[27:28]
	v_add_co_u32 v0, s1, v6, v0
	s_delay_alu instid0(VALU_DEP_1) | instskip(NEXT) | instid1(VALU_DEP_2)
	v_add_co_ci_u32_e64 v1, s1, v7, v1, s1
	v_add_co_u32 v0, s1, v0, v2
	s_delay_alu instid0(VALU_DEP_1)
	v_add_co_ci_u32_e64 v1, s1, v1, v3, s1
	s_and_saveexec_b32 s1, vcc_lo
	s_cbranch_execz .LBB297_176
; %bb.175:
	flat_store_b64 v[0:1], v[9:10]
.LBB297_176:
	s_or_b32 exec_lo, exec_lo, s1
	s_and_saveexec_b32 s1, s0
	s_cbranch_execz .LBB297_178
; %bb.177:
	flat_store_b64 v[0:1], v[4:5] offset:2048
.LBB297_178:
	s_or_b32 exec_lo, exec_lo, s1
                                        ; implicit-def: $vgpr27_vgpr28
                                        ; implicit-def: $vgpr8_vgpr9
                                        ; implicit-def: $vgpr134
                                        ; implicit-def: $vgpr0
                                        ; implicit-def: $vgpr1
                                        ; implicit-def: $vgpr2
                                        ; implicit-def: $vgpr3
                                        ; implicit-def: $vgpr4
                                        ; implicit-def: $vgpr5
                                        ; implicit-def: $vgpr6
                                        ; implicit-def: $vgpr7
                                        ; implicit-def: $vgpr10
                                        ; implicit-def: $vgpr11
                                        ; implicit-def: $vgpr12
                                        ; implicit-def: $vgpr13
                                        ; implicit-def: $vgpr26
                                        ; implicit-def: $vgpr16
.LBB297_179:
	s_and_not1_saveexec_b32 s0, s15
	s_cbranch_execz .LBB297_199
; %bb.180:
	s_delay_alu instid0(VALU_DEP_2) | instskip(SKIP_1) | instid1(VALU_DEP_2)
	v_and_b32_e32 v14, 0xffffffe0, v27
	v_mov_b32_e32 v22, 0xff
	v_or_b32_e32 v15, v16, v14
	s_delay_alu instid0(VALU_DEP_1)
	v_cmp_lt_u32_e32 vcc_lo, v15, v134
	s_and_saveexec_b32 s1, vcc_lo
	s_cbranch_execz .LBB297_182
; %bb.181:
	v_add_co_u32 v0, s0, v0, v8
	s_delay_alu instid0(VALU_DEP_1) | instskip(NEXT) | instid1(VALU_DEP_2)
	v_add_co_ci_u32_e64 v1, s0, 0, v1, s0
	v_add_co_u32 v0, s0, v0, v16
	s_delay_alu instid0(VALU_DEP_1) | instskip(NEXT) | instid1(VALU_DEP_2)
	v_add_co_ci_u32_e64 v1, s0, 0, v1, s0
	v_add_co_u32 v0, s0, v0, v14
	s_delay_alu instid0(VALU_DEP_1)
	v_add_co_ci_u32_e64 v1, s0, 0, v1, s0
	flat_load_u8 v0, v[0:1]
	s_waitcnt vmcnt(0) lgkmcnt(0)
	v_xor_b32_e32 v22, 0x7f, v0
.LBB297_182:
	s_or_b32 exec_lo, exec_lo, s1
	v_lshlrev_b64 v[0:1], 3, v[8:9]
                                        ; implicit-def: $vgpr18_vgpr19
	s_and_saveexec_b32 s0, vcc_lo
	s_cbranch_execz .LBB297_184
; %bb.183:
	v_mov_b32_e32 v15, 0
	v_lshlrev_b32_e32 v9, 3, v16
	s_delay_alu instid0(VALU_DEP_3) | instskip(SKIP_1) | instid1(VALU_DEP_4)
	v_add_co_u32 v17, vcc_lo, v4, v0
	v_add_co_ci_u32_e32 v18, vcc_lo, v5, v1, vcc_lo
	v_lshlrev_b64 v[4:5], 3, v[14:15]
	s_delay_alu instid0(VALU_DEP_3) | instskip(NEXT) | instid1(VALU_DEP_3)
	v_add_co_u32 v9, vcc_lo, v17, v9
	v_add_co_ci_u32_e32 v14, vcc_lo, 0, v18, vcc_lo
	s_delay_alu instid0(VALU_DEP_2) | instskip(NEXT) | instid1(VALU_DEP_2)
	v_add_co_u32 v4, vcc_lo, v9, v4
	v_add_co_ci_u32_e32 v5, vcc_lo, v14, v5, vcc_lo
	flat_load_b64 v[18:19], v[4:5]
.LBB297_184:
	s_or_b32 exec_lo, exec_lo, s0
	v_dual_mov_b32 v15, 0 :: v_dual_lshlrev_b32 v14, 5, v26
	s_mov_b32 s16, 0
	v_add_co_u32 v9, vcc_lo, v12, 32
	s_mov_b32 s17, s16
	s_mov_b32 s18, s16
	;; [unrolled: 1-line block ×3, first 2 shown]
	v_and_b32_e32 v20, 0x3e0, v26
	v_add_co_ci_u32_e32 v52, vcc_lo, 0, v13, vcc_lo
	v_add_co_u32 v4, vcc_lo, v12, v14
	v_add_co_ci_u32_e32 v5, vcc_lo, 0, v13, vcc_lo
	v_add_co_u32 v28, vcc_lo, v9, v14
	v_min_u32_e32 v14, 0xe0, v20
	v_and_b32_e32 v21, 16, v16
	v_add_nc_u32_e32 v23, -1, v16
	v_and_b32_e32 v17, 15, v16
	s_getpc_b64 s[0:1]
	s_add_u32 s0, s0, _ZN7rocprim17ROCPRIM_400000_NS16block_radix_sortIaLj256ELj1ElLj1ELj1ELj8ELNS0_26block_radix_rank_algorithmE2ELNS0_18block_padding_hintE2ELNS0_4arch9wavefront6targetE0EE19radix_bits_per_passE@rel32@lo+4
	s_addc_u32 s1, s1, _ZN7rocprim17ROCPRIM_400000_NS16block_radix_sortIaLj256ELj1ElLj1ELj1ELj8ELNS0_26block_radix_rank_algorithmE2ELNS0_18block_padding_hintE2ELNS0_4arch9wavefront6targetE0EE19radix_bits_per_passE@rel32@hi+12
	v_or_b32_e32 v14, 31, v14
	v_cmp_eq_u32_e64 s3, 0, v21
	v_cmp_gt_i32_e64 s4, 0, v23
	v_lshrrev_b32_e32 v21, 5, v26
	v_add_co_ci_u32_e32 v29, vcc_lo, 0, v52, vcc_lo
	s_load_b32 s15, s[0:1], 0x0
	v_cmp_eq_u32_e32 vcc_lo, 0, v17
	v_cmp_lt_u32_e64 s0, 1, v17
	v_cmp_lt_u32_e64 s1, 3, v17
	;; [unrolled: 1-line block ×3, first 2 shown]
	v_cndmask_b32_e64 v17, v23, v16, s4
	v_cmp_eq_u32_e64 s4, v14, v26
	v_lshlrev_b32_e32 v14, 2, v21
	v_cmp_eq_u32_e64 s7, 0, v16
	v_and_b32_e32 v23, 7, v16
	v_or_b32_e32 v16, v16, v20
	v_lshlrev_b32_e32 v54, 2, v17
	v_add_co_u32 v30, s9, v12, v14
	v_add_nc_u32_e32 v14, -1, v21
	s_delay_alu instid0(VALU_DEP_4) | instskip(SKIP_2) | instid1(VALU_DEP_4)
	v_add_co_u32 v34, s12, v12, v16
	v_lshlrev_b32_e32 v17, 2, v26
	v_add_co_ci_u32_e64 v35, s12, 0, v13, s12
	v_lshlrev_b64 v[14:15], 2, v[14:15]
	v_add_co_ci_u32_e64 v31, s9, 0, v13, s9
	s_delay_alu instid0(VALU_DEP_4) | instskip(NEXT) | instid1(VALU_DEP_4)
	v_add_co_u32 v32, s9, v12, v17
	v_mad_u64_u32 v[38:39], null, v16, 7, v[34:35]
	s_delay_alu instid0(VALU_DEP_4)
	v_add_co_u32 v36, s12, v12, v14
	v_add_co_ci_u32_e64 v33, s9, 0, v13, s9
	v_add_co_ci_u32_e64 v37, s12, v13, v15, s12
	v_dual_mov_b32 v14, s16 :: v_dual_mov_b32 v17, s19
	v_lshrrev_b32_e32 v53, 5, v27
	v_cmp_gt_u32_e64 s5, 8, v26
	v_cmp_lt_u32_e64 s6, 31, v26
	v_cmp_eq_u32_e64 s8, 0, v26
	v_cmp_eq_u32_e64 s9, 0, v23
	v_cmp_lt_u32_e64 s10, 1, v23
	v_cmp_lt_u32_e64 s11, 3, v23
	v_sub_nc_u32_e32 v55, v11, v10
	v_dual_mov_b32 v15, s17 :: v_dual_mov_b32 v16, s18
	s_waitcnt vmcnt(0) lgkmcnt(0)
	s_waitcnt_vscnt null, 0x0
	s_barrier
	buffer_gl0_inv
	s_branch .LBB297_186
.LBB297_185:                            ;   in Loop: Header=BB297_186 Depth=1
	s_or_b32 exec_lo, exec_lo, s13
	s_delay_alu instid0(SALU_CYCLE_1) | instskip(NEXT) | instid1(SALU_CYCLE_1)
	s_and_b32 s12, exec_lo, s14
	s_or_b32 s16, s12, s16
	s_delay_alu instid0(SALU_CYCLE_1)
	s_and_not1_b32 exec_lo, exec_lo, s16
	s_cbranch_execz .LBB297_196
.LBB297_186:                            ; =>This Inner Loop Header: Depth=1
	v_mov_b32_e32 v64, v22
	v_min_u32_e32 v21, s15, v55
	s_clause 0x1
	flat_store_b128 v[4:5], v[14:17] offset:32
	flat_store_b128 v[28:29], v[14:17] offset:16
	s_waitcnt lgkmcnt(0)
	s_waitcnt_vscnt null, 0x0
	s_barrier
	v_and_b32_e32 v20, 0xff, v64
	buffer_gl0_inv
	; wave barrier
	v_lshrrev_b32_e32 v20, v10, v20
	s_delay_alu instid0(VALU_DEP_1) | instskip(NEXT) | instid1(VALU_DEP_1)
	v_bfe_u32 v21, v20, 0, v21
	v_and_b32_e32 v20, 1, v21
	v_lshlrev_b32_e32 v22, 30, v21
	v_lshlrev_b32_e32 v23, 29, v21
	;; [unrolled: 1-line block ×4, first 2 shown]
	v_add_co_u32 v20, s12, v20, -1
	s_delay_alu instid0(VALU_DEP_1)
	v_cndmask_b32_e64 v25, 0, 1, s12
	v_not_b32_e32 v51, v22
	v_cmp_gt_i32_e64 s13, 0, v22
	v_not_b32_e32 v22, v23
	v_lshlrev_b32_e32 v49, 26, v21
	v_cmp_ne_u32_e64 s12, 0, v25
	v_ashrrev_i32_e32 v51, 31, v51
	v_lshlrev_b32_e32 v50, 25, v21
	v_ashrrev_i32_e32 v22, 31, v22
	v_lshlrev_b32_e32 v25, 24, v21
	v_xor_b32_e32 v20, s12, v20
	v_cmp_gt_i32_e64 s12, 0, v23
	v_not_b32_e32 v23, v24
	v_xor_b32_e32 v51, s13, v51
	v_cmp_gt_i32_e64 s13, 0, v24
	v_and_b32_e32 v20, exec_lo, v20
	v_not_b32_e32 v24, v48
	v_ashrrev_i32_e32 v23, 31, v23
	v_xor_b32_e32 v22, s12, v22
	v_cmp_gt_i32_e64 s12, 0, v48
	v_and_b32_e32 v20, v20, v51
	v_not_b32_e32 v48, v49
	v_ashrrev_i32_e32 v24, 31, v24
	v_xor_b32_e32 v23, s13, v23
	v_cmp_gt_i32_e64 s13, 0, v49
	v_and_b32_e32 v20, v20, v22
	;; [unrolled: 5-line block ×4, first 2 shown]
	v_ashrrev_i32_e32 v23, 31, v23
	v_xor_b32_e32 v22, s12, v22
	s_delay_alu instid0(VALU_DEP_3) | instskip(NEXT) | instid1(VALU_DEP_3)
	v_and_b32_e32 v20, v20, v48
	v_xor_b32_e32 v23, s13, v23
	v_dual_mov_b32 v49, v19 :: v_dual_mov_b32 v48, v18
	v_lshlrev_b32_e32 v18, 3, v21
	s_delay_alu instid0(VALU_DEP_4) | instskip(NEXT) | instid1(VALU_DEP_2)
	v_and_b32_e32 v20, v20, v22
	v_add_lshl_u32 v18, v18, v53, 2
	s_delay_alu instid0(VALU_DEP_2) | instskip(NEXT) | instid1(VALU_DEP_2)
	v_and_b32_e32 v20, v20, v23
	v_add_co_u32 v50, s14, v9, v18
	s_delay_alu instid0(VALU_DEP_2) | instskip(SKIP_2) | instid1(VALU_DEP_3)
	v_mbcnt_lo_u32_b32 v65, v20, 0
	v_cmp_ne_u32_e64 s12, 0, v20
	v_add_co_ci_u32_e64 v51, s14, 0, v52, s14
	v_cmp_eq_u32_e64 s13, 0, v65
	s_delay_alu instid0(VALU_DEP_1) | instskip(NEXT) | instid1(SALU_CYCLE_1)
	s_and_b32 s13, s12, s13
	s_and_saveexec_b32 s12, s13
	s_cbranch_execz .LBB297_188
; %bb.187:                              ;   in Loop: Header=BB297_186 Depth=1
	v_bcnt_u32_b32 v18, v20, 0
	flat_store_b32 v[50:51], v18
.LBB297_188:                            ;   in Loop: Header=BB297_186 Depth=1
	s_or_b32 exec_lo, exec_lo, s12
	; wave barrier
	s_waitcnt lgkmcnt(0)
	s_waitcnt_vscnt null, 0x0
	s_barrier
	buffer_gl0_inv
	s_clause 0x1
	flat_load_b128 v[22:25], v[4:5] offset:32
	flat_load_b128 v[18:21], v[28:29] offset:16
	s_waitcnt vmcnt(1) lgkmcnt(1)
	v_add_nc_u32_e32 v66, v23, v22
	s_delay_alu instid0(VALU_DEP_1) | instskip(SKIP_1) | instid1(VALU_DEP_1)
	v_add3_u32 v66, v66, v24, v25
	s_waitcnt vmcnt(0) lgkmcnt(0)
	v_add3_u32 v66, v66, v18, v19
	s_delay_alu instid0(VALU_DEP_1) | instskip(NEXT) | instid1(VALU_DEP_1)
	v_add3_u32 v21, v66, v20, v21
	v_mov_b32_dpp v66, v21 row_shr:1 row_mask:0xf bank_mask:0xf
	s_delay_alu instid0(VALU_DEP_1) | instskip(NEXT) | instid1(VALU_DEP_1)
	v_cndmask_b32_e64 v66, v66, 0, vcc_lo
	v_add_nc_u32_e32 v21, v66, v21
	s_delay_alu instid0(VALU_DEP_1) | instskip(NEXT) | instid1(VALU_DEP_1)
	v_mov_b32_dpp v66, v21 row_shr:2 row_mask:0xf bank_mask:0xf
	v_cndmask_b32_e64 v66, 0, v66, s0
	s_delay_alu instid0(VALU_DEP_1) | instskip(NEXT) | instid1(VALU_DEP_1)
	v_add_nc_u32_e32 v21, v21, v66
	v_mov_b32_dpp v66, v21 row_shr:4 row_mask:0xf bank_mask:0xf
	s_delay_alu instid0(VALU_DEP_1) | instskip(NEXT) | instid1(VALU_DEP_1)
	v_cndmask_b32_e64 v66, 0, v66, s1
	v_add_nc_u32_e32 v21, v21, v66
	s_delay_alu instid0(VALU_DEP_1) | instskip(NEXT) | instid1(VALU_DEP_1)
	v_mov_b32_dpp v66, v21 row_shr:8 row_mask:0xf bank_mask:0xf
	v_cndmask_b32_e64 v66, 0, v66, s2
	s_delay_alu instid0(VALU_DEP_1) | instskip(SKIP_3) | instid1(VALU_DEP_1)
	v_add_nc_u32_e32 v21, v21, v66
	ds_swizzle_b32 v66, v21 offset:swizzle(BROADCAST,32,15)
	s_waitcnt lgkmcnt(0)
	v_cndmask_b32_e64 v66, v66, 0, s3
	v_add_nc_u32_e32 v21, v21, v66
	s_and_saveexec_b32 s12, s4
	s_cbranch_execz .LBB297_190
; %bb.189:                              ;   in Loop: Header=BB297_186 Depth=1
	flat_store_b32 v[30:31], v21
.LBB297_190:                            ;   in Loop: Header=BB297_186 Depth=1
	s_or_b32 exec_lo, exec_lo, s12
	s_waitcnt lgkmcnt(0)
	s_waitcnt_vscnt null, 0x0
	s_barrier
	buffer_gl0_inv
	s_and_saveexec_b32 s12, s5
	s_cbranch_execz .LBB297_192
; %bb.191:                              ;   in Loop: Header=BB297_186 Depth=1
	flat_load_b32 v66, v[32:33]
	s_waitcnt vmcnt(0) lgkmcnt(0)
	v_mov_b32_dpp v67, v66 row_shr:1 row_mask:0xf bank_mask:0xf
	s_delay_alu instid0(VALU_DEP_1) | instskip(NEXT) | instid1(VALU_DEP_1)
	v_cndmask_b32_e64 v67, v67, 0, s9
	v_add_nc_u32_e32 v66, v67, v66
	s_delay_alu instid0(VALU_DEP_1) | instskip(NEXT) | instid1(VALU_DEP_1)
	v_mov_b32_dpp v67, v66 row_shr:2 row_mask:0xf bank_mask:0xf
	v_cndmask_b32_e64 v67, 0, v67, s10
	s_delay_alu instid0(VALU_DEP_1) | instskip(NEXT) | instid1(VALU_DEP_1)
	v_add_nc_u32_e32 v66, v66, v67
	v_mov_b32_dpp v67, v66 row_shr:4 row_mask:0xf bank_mask:0xf
	s_delay_alu instid0(VALU_DEP_1) | instskip(NEXT) | instid1(VALU_DEP_1)
	v_cndmask_b32_e64 v67, 0, v67, s11
	v_add_nc_u32_e32 v66, v66, v67
	flat_store_b32 v[32:33], v66
.LBB297_192:                            ;   in Loop: Header=BB297_186 Depth=1
	s_or_b32 exec_lo, exec_lo, s12
	v_mov_b32_e32 v66, 0
	s_waitcnt lgkmcnt(0)
	s_waitcnt_vscnt null, 0x0
	s_barrier
	buffer_gl0_inv
	s_and_saveexec_b32 s12, s6
	s_cbranch_execz .LBB297_194
; %bb.193:                              ;   in Loop: Header=BB297_186 Depth=1
	flat_load_b32 v66, v[36:37]
.LBB297_194:                            ;   in Loop: Header=BB297_186 Depth=1
	s_or_b32 exec_lo, exec_lo, s12
	s_waitcnt vmcnt(0) lgkmcnt(0)
	v_add_nc_u32_e32 v21, v66, v21
	v_add_nc_u32_e32 v10, 8, v10
	s_mov_b32 s14, -1
	ds_bpermute_b32 v21, v54, v21
	s_waitcnt lgkmcnt(0)
	v_cndmask_b32_e64 v21, v21, v66, s7
	s_delay_alu instid0(VALU_DEP_1) | instskip(NEXT) | instid1(VALU_DEP_1)
	v_cndmask_b32_e64 v21, v21, 0, s8
	v_add_nc_u32_e32 v22, v21, v22
	s_delay_alu instid0(VALU_DEP_1) | instskip(NEXT) | instid1(VALU_DEP_1)
	v_add_nc_u32_e32 v23, v22, v23
	v_add_nc_u32_e32 v24, v23, v24
	s_delay_alu instid0(VALU_DEP_1) | instskip(NEXT) | instid1(VALU_DEP_1)
	v_add_nc_u32_e32 v66, v24, v25
	;; [unrolled: 3-line block ×3, first 2 shown]
	v_add_nc_u32_e32 v69, v68, v20
	s_clause 0x1
	flat_store_b128 v[4:5], v[21:24] offset:32
	flat_store_b128 v[28:29], v[66:69] offset:16
	s_waitcnt lgkmcnt(0)
	s_waitcnt_vscnt null, 0x0
	s_barrier
	buffer_gl0_inv
	flat_load_b32 v18, v[50:51]
	s_waitcnt vmcnt(0) lgkmcnt(0)
	s_waitcnt_vscnt null, 0x0
                                        ; implicit-def: $vgpr22
	s_waitcnt vmcnt(0) lgkmcnt(0)
	v_add_nc_u32_e32 v23, v18, v65
                                        ; implicit-def: $vgpr18_vgpr19
	s_delay_alu instid0(VALU_DEP_1) | instskip(NEXT) | instid1(VALU_DEP_1)
	v_add_co_u32 v20, s13, v12, v23
	v_add_co_ci_u32_e64 v21, s13, 0, v13, s13
	s_mov_b32 s13, exec_lo
	v_cmpx_lt_u32_e64 v10, v11
	s_cbranch_execz .LBB297_185
; %bb.195:                              ;   in Loop: Header=BB297_186 Depth=1
	s_delay_alu instid0(VALU_DEP_2)
	v_mad_u64_u32 v[18:19], null, v23, 7, v[20:21]
	s_barrier
	buffer_gl0_inv
	flat_store_b8 v[20:21], v64
	s_waitcnt lgkmcnt(0)
	s_waitcnt_vscnt null, 0x0
	s_barrier
	buffer_gl0_inv
	flat_load_u8 v22, v[34:35]
	s_waitcnt vmcnt(0) lgkmcnt(0)
	s_barrier
	buffer_gl0_inv
	flat_store_b64 v[18:19], v[48:49]
	s_waitcnt lgkmcnt(0)
	s_waitcnt_vscnt null, 0x0
	s_barrier
	buffer_gl0_inv
	flat_load_b64 v[18:19], v[38:39]
	v_add_nc_u32_e32 v55, -8, v55
	s_xor_b32 s14, exec_lo, -1
	s_waitcnt vmcnt(0) lgkmcnt(0)
	s_barrier
	buffer_gl0_inv
	s_branch .LBB297_185
.LBB297_196:
	s_or_b32 exec_lo, exec_lo, s16
	v_add_co_u32 v4, vcc_lo, v12, v26
	v_add_co_ci_u32_e32 v5, vcc_lo, 0, v13, vcc_lo
	v_mad_u64_u32 v[10:11], null, v23, 7, v[20:21]
	s_barrier
	s_delay_alu instid0(VALU_DEP_2)
	v_mad_u64_u32 v[12:13], null, v26, 7, v[4:5]
	buffer_gl0_inv
	flat_store_b8 v[20:21], v64
	s_waitcnt lgkmcnt(0)
	s_waitcnt_vscnt null, 0x0
	s_barrier
	buffer_gl0_inv
	flat_load_u8 v9, v[4:5]
	s_waitcnt vmcnt(0) lgkmcnt(0)
	s_barrier
	buffer_gl0_inv
	flat_store_b64 v[10:11], v[48:49]
	s_waitcnt lgkmcnt(0)
	s_waitcnt_vscnt null, 0x0
	s_barrier
	buffer_gl0_inv
	flat_load_b64 v[4:5], v[12:13]
	s_mov_b32 s0, exec_lo
	s_waitcnt vmcnt(0) lgkmcnt(0)
	s_barrier
	buffer_gl0_inv
	v_cmpx_lt_u32_e64 v27, v134
	s_cbranch_execz .LBB297_198
; %bb.197:
	v_mov_b32_e32 v28, 0
	v_add_co_u32 v6, vcc_lo, v6, v0
	v_add_co_ci_u32_e32 v7, vcc_lo, v7, v1, vcc_lo
	v_add_co_u32 v2, vcc_lo, v2, v8
	s_delay_alu instid0(VALU_DEP_4) | instskip(SKIP_1) | instid1(VALU_DEP_3)
	v_lshlrev_b64 v[0:1], 3, v[27:28]
	v_add_co_ci_u32_e32 v3, vcc_lo, 0, v3, vcc_lo
	v_add_co_u32 v2, vcc_lo, v2, v27
	v_xor_b32_e32 v8, 0x7f, v9
	s_delay_alu instid0(VALU_DEP_3)
	v_add_co_ci_u32_e32 v3, vcc_lo, 0, v3, vcc_lo
	v_add_co_u32 v0, vcc_lo, v6, v0
	v_add_co_ci_u32_e32 v1, vcc_lo, v7, v1, vcc_lo
	flat_store_b8 v[2:3], v8
	flat_store_b64 v[0:1], v[4:5]
.LBB297_198:
	s_or_b32 exec_lo, exec_lo, s0
.LBB297_199:
	s_delay_alu instid0(SALU_CYCLE_1)
	s_or_b32 exec_lo, exec_lo, s24
	s_waitcnt lgkmcnt(0)
	s_setpc_b64 s[30:31]
.Lfunc_end297:
	.size	_ZN7rocprim17ROCPRIM_400000_NS6detail40segmented_radix_sort_single_block_helperIalLj256ELj8ELb1EE4sortIPKaPaPKlPlEEbT_T0_T1_T2_jjjjRNS3_12storage_typeE, .Lfunc_end297-_ZN7rocprim17ROCPRIM_400000_NS6detail40segmented_radix_sort_single_block_helperIalLj256ELj8ELb1EE4sortIPKaPaPKlPlEEbT_T0_T1_T2_jjjjRNS3_12storage_typeE
                                        ; -- End function
	.section	.AMDGPU.csdata,"",@progbits
; Function info:
; codeLenInByte = 17344
; NumSgprs: 34
; NumVgprs: 183
; ScratchSize: 0
; MemoryBound: 1
	.section	.text._ZN7rocprim17ROCPRIM_400000_NS6detail17trampoline_kernelINS0_14default_configENS1_36segmented_radix_sort_config_selectorIalEEZNS1_25segmented_radix_sort_implIS3_Lb1EPKaPaPKlPlN2at6native12_GLOBAL__N_18offset_tEEE10hipError_tPvRmT1_PNSt15iterator_traitsISK_E10value_typeET2_T3_PNSL_ISQ_E10value_typeET4_jRbjT5_SW_jjP12ihipStream_tbEUlT_E_NS1_11comp_targetILNS1_3genE9ELNS1_11target_archE1100ELNS1_3gpuE3ELNS1_3repE0EEENS1_30default_config_static_selectorELNS0_4arch9wavefront6targetE0EEEvSK_,"axG",@progbits,_ZN7rocprim17ROCPRIM_400000_NS6detail17trampoline_kernelINS0_14default_configENS1_36segmented_radix_sort_config_selectorIalEEZNS1_25segmented_radix_sort_implIS3_Lb1EPKaPaPKlPlN2at6native12_GLOBAL__N_18offset_tEEE10hipError_tPvRmT1_PNSt15iterator_traitsISK_E10value_typeET2_T3_PNSL_ISQ_E10value_typeET4_jRbjT5_SW_jjP12ihipStream_tbEUlT_E_NS1_11comp_targetILNS1_3genE9ELNS1_11target_archE1100ELNS1_3gpuE3ELNS1_3repE0EEENS1_30default_config_static_selectorELNS0_4arch9wavefront6targetE0EEEvSK_,comdat
	.globl	_ZN7rocprim17ROCPRIM_400000_NS6detail17trampoline_kernelINS0_14default_configENS1_36segmented_radix_sort_config_selectorIalEEZNS1_25segmented_radix_sort_implIS3_Lb1EPKaPaPKlPlN2at6native12_GLOBAL__N_18offset_tEEE10hipError_tPvRmT1_PNSt15iterator_traitsISK_E10value_typeET2_T3_PNSL_ISQ_E10value_typeET4_jRbjT5_SW_jjP12ihipStream_tbEUlT_E_NS1_11comp_targetILNS1_3genE9ELNS1_11target_archE1100ELNS1_3gpuE3ELNS1_3repE0EEENS1_30default_config_static_selectorELNS0_4arch9wavefront6targetE0EEEvSK_ ; -- Begin function _ZN7rocprim17ROCPRIM_400000_NS6detail17trampoline_kernelINS0_14default_configENS1_36segmented_radix_sort_config_selectorIalEEZNS1_25segmented_radix_sort_implIS3_Lb1EPKaPaPKlPlN2at6native12_GLOBAL__N_18offset_tEEE10hipError_tPvRmT1_PNSt15iterator_traitsISK_E10value_typeET2_T3_PNSL_ISQ_E10value_typeET4_jRbjT5_SW_jjP12ihipStream_tbEUlT_E_NS1_11comp_targetILNS1_3genE9ELNS1_11target_archE1100ELNS1_3gpuE3ELNS1_3repE0EEENS1_30default_config_static_selectorELNS0_4arch9wavefront6targetE0EEEvSK_
	.p2align	8
	.type	_ZN7rocprim17ROCPRIM_400000_NS6detail17trampoline_kernelINS0_14default_configENS1_36segmented_radix_sort_config_selectorIalEEZNS1_25segmented_radix_sort_implIS3_Lb1EPKaPaPKlPlN2at6native12_GLOBAL__N_18offset_tEEE10hipError_tPvRmT1_PNSt15iterator_traitsISK_E10value_typeET2_T3_PNSL_ISQ_E10value_typeET4_jRbjT5_SW_jjP12ihipStream_tbEUlT_E_NS1_11comp_targetILNS1_3genE9ELNS1_11target_archE1100ELNS1_3gpuE3ELNS1_3repE0EEENS1_30default_config_static_selectorELNS0_4arch9wavefront6targetE0EEEvSK_,@function
_ZN7rocprim17ROCPRIM_400000_NS6detail17trampoline_kernelINS0_14default_configENS1_36segmented_radix_sort_config_selectorIalEEZNS1_25segmented_radix_sort_implIS3_Lb1EPKaPaPKlPlN2at6native12_GLOBAL__N_18offset_tEEE10hipError_tPvRmT1_PNSt15iterator_traitsISK_E10value_typeET2_T3_PNSL_ISQ_E10value_typeET4_jRbjT5_SW_jjP12ihipStream_tbEUlT_E_NS1_11comp_targetILNS1_3genE9ELNS1_11target_archE1100ELNS1_3gpuE3ELNS1_3repE0EEENS1_30default_config_static_selectorELNS0_4arch9wavefront6targetE0EEEvSK_: ; @_ZN7rocprim17ROCPRIM_400000_NS6detail17trampoline_kernelINS0_14default_configENS1_36segmented_radix_sort_config_selectorIalEEZNS1_25segmented_radix_sort_implIS3_Lb1EPKaPaPKlPlN2at6native12_GLOBAL__N_18offset_tEEE10hipError_tPvRmT1_PNSt15iterator_traitsISK_E10value_typeET2_T3_PNSL_ISQ_E10value_typeET4_jRbjT5_SW_jjP12ihipStream_tbEUlT_E_NS1_11comp_targetILNS1_3genE9ELNS1_11target_archE1100ELNS1_3gpuE3ELNS1_3repE0EEENS1_30default_config_static_selectorELNS0_4arch9wavefront6targetE0EEEvSK_
; %bb.0:
	s_clause 0x1
	s_load_b64 s[2:3], s[0:1], 0x38
	s_load_b128 s[4:7], s[0:1], 0x40
	s_mov_b32 s26, s14
	s_mov_b32 s27, 0
	;; [unrolled: 1-line block ×3, first 2 shown]
	s_lshl_b64 s[8:9], s[26:27], 2
	s_waitcnt lgkmcnt(0)
	s_add_u32 s2, s2, s8
	s_addc_u32 s3, s3, s9
	s_load_b32 s2, s[2:3], 0x0
	s_waitcnt lgkmcnt(0)
	s_add_i32 s27, s2, s5
	s_add_i32 s33, s2, s7
	s_mul_i32 s27, s27, s4
	s_mul_i32 s33, s33, s6
	s_delay_alu instid0(SALU_CYCLE_1)
	s_cmp_le_u32 s33, s27
	s_cbranch_scc1 .LBB298_678
; %bb.1:
	s_clause 0x3
	s_load_b32 s2, s[0:1], 0x30
	s_load_b128 s[44:47], s[0:1], 0x20
	s_load_b128 s[48:51], s[0:1], 0x50
	s_load_b256 s[36:43], s[0:1], 0x0
	s_waitcnt lgkmcnt(0)
	s_bitcmp1_b32 s2, 0
	s_mov_b32 s2, -1
	s_cselect_b32 s34, -1, 0
	s_sub_i32 s35, s33, s27
	s_delay_alu instid0(SALU_CYCLE_1)
	s_cmpk_lt_u32 s35, 0x801
	s_cbranch_scc0 .LBB298_7
; %bb.2:
	v_cndmask_b32_e64 v1, 0, 1, s34
	s_and_b32 s2, s48, 1
	s_delay_alu instid0(VALU_DEP_1) | instid1(SALU_CYCLE_1)
	v_cmp_ne_u32_e32 vcc_lo, s2, v1
	s_mov_b32 s2, -1
	s_cbranch_vccnz .LBB298_4
; %bb.3:
	s_mov_b64 s[2:3], src_shared_base
	v_mov_b32_e32 v31, v0
	v_dual_mov_b32 v40, v0 :: v_dual_mov_b32 v1, s37
	v_mov_b32_e32 v0, s36
	v_dual_mov_b32 v2, s40 :: v_dual_mov_b32 v3, s41
	v_dual_mov_b32 v4, s42 :: v_dual_mov_b32 v5, s43
	;; [unrolled: 1-line block ×6, first 2 shown]
	s_add_u32 s8, s0, 0x60
	s_addc_u32 s9, s1, 0
	s_mov_b32 s12, s26
	s_mov_b32 s13, s15
	s_getpc_b64 s[4:5]
	s_add_u32 s4, s4, _ZN7rocprim17ROCPRIM_400000_NS6detail40segmented_radix_sort_single_block_helperIalLj256ELj8ELb1EE4sortIPKaPaPKlPlEEbT_T0_T1_T2_jjjjRNS3_12storage_typeE@rel32@lo+4
	s_addc_u32 s5, s5, _ZN7rocprim17ROCPRIM_400000_NS6detail40segmented_radix_sort_single_block_helperIalLj256ELj8ELb1EE4sortIPKaPaPKlPlEEbT_T0_T1_T2_jjjjRNS3_12storage_typeE@rel32@hi+12
	s_mov_b64 s[28:29], s[0:1]
	s_mov_b32 s48, s15
	s_swappc_b64 s[30:31], s[4:5]
	v_mov_b32_e32 v0, v40
	s_mov_b32 s15, s48
	s_mov_b64 s[0:1], s[28:29]
	s_mov_b32 s2, 0
.LBB298_4:
	s_delay_alu instid0(SALU_CYCLE_1)
	s_and_not1_b32 vcc_lo, exec_lo, s2
	s_cbranch_vccnz .LBB298_6
; %bb.5:
	s_mov_b64 s[2:3], src_shared_base
	v_mov_b32_e32 v31, v0
	v_dual_mov_b32 v40, v0 :: v_dual_mov_b32 v1, s37
	v_mov_b32_e32 v0, s36
	v_dual_mov_b32 v2, s38 :: v_dual_mov_b32 v3, s39
	v_dual_mov_b32 v4, s42 :: v_dual_mov_b32 v5, s43
	;; [unrolled: 1-line block ×6, first 2 shown]
	s_add_u32 s8, s0, 0x60
	s_addc_u32 s9, s1, 0
	s_mov_b32 s12, s26
	s_mov_b32 s13, s15
	s_getpc_b64 s[4:5]
	s_add_u32 s4, s4, _ZN7rocprim17ROCPRIM_400000_NS6detail40segmented_radix_sort_single_block_helperIalLj256ELj8ELb1EE4sortIPKaPaPKlPlEEbT_T0_T1_T2_jjjjRNS3_12storage_typeE@rel32@lo+4
	s_addc_u32 s5, s5, _ZN7rocprim17ROCPRIM_400000_NS6detail40segmented_radix_sort_single_block_helperIalLj256ELj8ELb1EE4sortIPKaPaPKlPlEEbT_T0_T1_T2_jjjjRNS3_12storage_typeE@rel32@hi+12
	s_mov_b64 s[28:29], s[0:1]
	s_mov_b32 s48, s15
	s_swappc_b64 s[30:31], s[4:5]
	v_mov_b32_e32 v0, v40
	s_mov_b32 s15, s48
	s_mov_b64 s[0:1], s[28:29]
.LBB298_6:
	s_mov_b32 s2, 0
.LBB298_7:
	s_delay_alu instid0(SALU_CYCLE_1)
	s_and_not1_b32 vcc_lo, exec_lo, s2
	s_cbranch_vccnz .LBB298_678
; %bb.8:
	s_cmp_ge_u32 s49, s50
	s_cbranch_scc1 .LBB298_678
; %bb.9:
	v_dual_mov_b32 v66, 1 :: v_dual_and_b32 v1, 0x3ff, v0
	v_mov_b32_e32 v3, 0
	v_mbcnt_lo_u32_b32 v63, -1, 0
	v_bfe_u32 v45, v0, 20, 10
	s_delay_alu instid0(VALU_DEP_4) | instskip(SKIP_4) | instid1(VALU_DEP_4)
	v_lshlrev_b32_e32 v28, 2, v1
	v_lshrrev_b32_e32 v2, 3, v1
	v_or_b32_e32 v4, 31, v1
	v_lshlrev_b32_e32 v5, 5, v1
	v_add_co_u32 v33, s2, s40, v1
	v_and_b32_e32 v38, 28, v2
	v_lshlrev_b32_e32 v2, 3, v1
	v_cmp_eq_u32_e64 s3, v4, v1
	v_add_nc_u32_e32 v4, 1, v1
	v_sub_nc_u32_e32 v48, 0, v5
	v_mad_u32_u24 v40, v1, 12, v28
	v_and_b32_e32 v44, 0x700, v2
	v_mul_u32_u24_e32 v2, 9, v1
	v_cmp_ne_u32_e64 s7, 0x100, v4
	v_or_b32_e32 v29, 0x100, v1
	v_or_b32_e32 v30, 0x200, v1
	v_lshlrev_b32_e32 v5, 3, v44
	v_lshl_add_u32 v47, v2, 2, 0x420
	v_mul_u32_u24_e32 v2, 9, v4
	v_or_b32_e32 v31, 0x300, v1
	v_and_b32_e32 v32, 3, v1
	v_add_co_u32 v50, s8, s46, v5
	s_delay_alu instid0(VALU_DEP_4) | instskip(SKIP_2) | instid1(VALU_DEP_1)
	v_lshlrev_b32_e32 v49, 2, v2
	v_add_co_ci_u32_e64 v51, null, s47, 0, s8
	v_add_co_u32 v2, s8, s40, v44
	v_add_co_ci_u32_e64 v4, null, s41, 0, s8
	v_add_co_u32 v53, s8, s38, v1
	s_delay_alu instid0(VALU_DEP_1) | instskip(SKIP_1) | instid1(VALU_DEP_1)
	v_add_co_ci_u32_e64 v54, null, s39, 0, s8
	v_add_co_u32 v55, s8, s44, v5
	v_add_co_ci_u32_e64 v56, null, s45, 0, s8
	v_add_co_u32 v57, s8, s38, v44
	s_delay_alu instid0(VALU_DEP_1) | instskip(SKIP_1) | instid1(VALU_DEP_1)
	v_add_co_ci_u32_e64 v58, null, s39, 0, s8
	v_add_co_u32 v59, s8, s36, v1
	v_add_co_ci_u32_e64 v60, null, s37, 0, s8
	v_add_co_u32 v61, s8, s42, v5
	s_delay_alu instid0(VALU_DEP_1)
	v_add_co_ci_u32_e64 v62, null, s43, 0, s8
	v_add_co_u32 v64, s8, s36, v44
	v_add_co_u32 v67, vcc_lo, v2, v63
	v_add_co_ci_u32_e64 v34, null, s41, 0, s2
	v_or_b32_e32 v35, 0x400, v1
	v_or_b32_e32 v36, 0x500, v1
	;; [unrolled: 1-line block ×4, first 2 shown]
	v_cmp_gt_u32_e64 s2, 0x100, v1
	v_or_b32_e32 v41, 0x4400, v38
	v_cmp_gt_u32_e64 s4, 8, v1
	v_add_nc_u32_e32 v42, 0x4400, v28
	v_cmp_lt_u32_e64 s5, 31, v1
	v_add_nc_u32_e32 v43, 0x43fc, v38
	v_bfe_u32 v0, v0, 10, 10
	v_mad_u32_u24 v46, v1, 20, v40
	v_cmp_eq_u32_e64 s6, 0, v1
	v_mul_u32_u24_e32 v52, 7, v1
	v_add_co_ci_u32_e64 v65, null, s37, 0, s8
	v_add_co_ci_u32_e32 v68, vcc_lo, 0, v4, vcc_lo
	s_add_u32 s28, s0, 0x60
	s_mov_b32 s25, 0
	s_addc_u32 s29, s1, 0
	s_mov_b32 s30, s49
	s_branch .LBB298_12
.LBB298_10:                             ;   in Loop: Header=BB298_12 Depth=1
	s_waitcnt lgkmcnt(0)
	s_barrier
.LBB298_11:                             ;   in Loop: Header=BB298_12 Depth=1
	s_add_i32 s30, s30, 8
	buffer_gl0_inv
	s_cmp_ge_u32 s30, s50
	s_cbranch_scc1 .LBB298_678
.LBB298_12:                             ; =>This Loop Header: Depth=1
                                        ;     Child Loop BB298_16 Depth 2
                                        ;     Child Loop BB298_66 Depth 2
	;; [unrolled: 1-line block ×8, first 2 shown]
	s_sub_i32 s0, s50, s30
	s_xor_b32 s34, s34, -1
	s_min_u32 s0, s0, 8
	ds_store_2addr_stride64_b32 v28, v3, v3 offset1:4
	s_lshl_b32 s0, -1, s0
	ds_store_2addr_stride64_b32 v28, v3, v3 offset0:8 offset1:12
	s_not_b32 s31, s0
	s_cmp_lg_u32 s30, s49
	s_mov_b32 s0, -1
	s_waitcnt lgkmcnt(0)
	s_waitcnt_vscnt null, 0x0
	s_cbranch_scc0 .LBB298_346
; %bb.13:                               ;   in Loop: Header=BB298_12 Depth=1
	s_and_b32 vcc_lo, exec_lo, s34
	s_cbranch_vccz .LBB298_179
; %bb.14:                               ;   in Loop: Header=BB298_12 Depth=1
	s_mov_b32 s0, s35
	s_mov_b32 s9, s27
	s_barrier
	buffer_gl0_inv
                                        ; implicit-def: $vgpr2
                                        ; implicit-def: $vgpr6
                                        ; implicit-def: $vgpr7
                                        ; implicit-def: $vgpr8
                                        ; implicit-def: $vgpr9
                                        ; implicit-def: $vgpr10
                                        ; implicit-def: $vgpr11
                                        ; implicit-def: $vgpr12
	s_branch .LBB298_16
.LBB298_15:                             ;   in Loop: Header=BB298_16 Depth=2
	s_or_b32 exec_lo, exec_lo, s8
	s_addk_i32 s0, 0xf800
	s_cmp_ge_u32 s1, s33
	s_mov_b32 s9, s1
	s_cbranch_scc1 .LBB298_54
.LBB298_16:                             ;   Parent Loop BB298_12 Depth=1
                                        ; =>  This Inner Loop Header: Depth=2
	s_add_i32 s1, s9, 0x800
	s_delay_alu instid0(SALU_CYCLE_1)
	s_cmp_gt_u32 s1, s33
	s_cbranch_scc1 .LBB298_19
; %bb.17:                               ;   in Loop: Header=BB298_16 Depth=2
	v_add_co_u32 v4, vcc_lo, v33, s9
	v_add_co_ci_u32_e32 v5, vcc_lo, 0, v34, vcc_lo
	s_mov_b32 s8, -1
	s_movk_i32 s12, 0x800
	s_clause 0x6
	global_load_u8 v20, v[4:5], off offset:1536
	global_load_u8 v19, v[4:5], off offset:1280
	;; [unrolled: 1-line block ×6, first 2 shown]
	global_load_u8 v14, v[4:5], off
	v_add_co_u32 v4, vcc_lo, 0x700, v4
	v_add_co_ci_u32_e32 v5, vcc_lo, 0, v5, vcc_lo
	s_cbranch_execz .LBB298_20
; %bb.18:                               ;   in Loop: Header=BB298_16 Depth=2
                                        ; implicit-def: $vgpr2
                                        ; implicit-def: $vgpr6
                                        ; implicit-def: $vgpr7
                                        ; implicit-def: $vgpr8
                                        ; implicit-def: $vgpr9
                                        ; implicit-def: $vgpr10
                                        ; implicit-def: $vgpr11
                                        ; implicit-def: $vgpr12
	v_mov_b32_e32 v13, s0
	s_and_saveexec_b32 s9, s8
	s_cbranch_execnz .LBB298_31
	s_branch .LBB298_32
.LBB298_19:                             ;   in Loop: Header=BB298_16 Depth=2
	s_mov_b32 s8, 0
                                        ; implicit-def: $sgpr12
                                        ; implicit-def: $vgpr14
                                        ; implicit-def: $vgpr15
                                        ; implicit-def: $vgpr16
                                        ; implicit-def: $vgpr17
                                        ; implicit-def: $vgpr18
                                        ; implicit-def: $vgpr19
                                        ; implicit-def: $vgpr20
                                        ; implicit-def: $vgpr4_vgpr5
.LBB298_20:                             ;   in Loop: Header=BB298_16 Depth=2
	s_add_u32 s10, s40, s9
	s_addc_u32 s11, s41, 0
	s_mov_b32 s12, exec_lo
	v_cmpx_gt_u32_e64 s0, v1
	s_cbranch_execz .LBB298_48
; %bb.21:                               ;   in Loop: Header=BB298_16 Depth=2
	v_add_co_u32 v4, s13, s10, v1
	s_delay_alu instid0(VALU_DEP_1) | instskip(SKIP_2) | instid1(SALU_CYCLE_1)
	v_add_co_ci_u32_e64 v5, null, s11, 0, s13
	global_load_u8 v2, v[4:5], off
	s_or_b32 exec_lo, exec_lo, s12
	s_mov_b32 s12, exec_lo
	v_cmpx_gt_u32_e64 s0, v29
	s_cbranch_execnz .LBB298_49
.LBB298_22:                             ;   in Loop: Header=BB298_16 Depth=2
	s_or_b32 exec_lo, exec_lo, s12
	s_delay_alu instid0(SALU_CYCLE_1)
	s_mov_b32 s12, exec_lo
	v_cmpx_gt_u32_e64 s0, v30
	s_cbranch_execz .LBB298_50
.LBB298_23:                             ;   in Loop: Header=BB298_16 Depth=2
	v_add_co_u32 v4, s13, s10, v1
	s_delay_alu instid0(VALU_DEP_1) | instskip(SKIP_2) | instid1(SALU_CYCLE_1)
	v_add_co_ci_u32_e64 v5, null, s11, 0, s13
	global_load_u8 v7, v[4:5], off offset:512
	s_or_b32 exec_lo, exec_lo, s12
	s_mov_b32 s12, exec_lo
	v_cmpx_gt_u32_e64 s0, v31
	s_cbranch_execnz .LBB298_51
.LBB298_24:                             ;   in Loop: Header=BB298_16 Depth=2
	s_or_b32 exec_lo, exec_lo, s12
	s_delay_alu instid0(SALU_CYCLE_1)
	s_mov_b32 s12, exec_lo
	v_cmpx_gt_u32_e64 s0, v35
	s_cbranch_execz .LBB298_52
.LBB298_25:                             ;   in Loop: Header=BB298_16 Depth=2
	v_add_co_u32 v4, s13, s10, v1
	s_delay_alu instid0(VALU_DEP_1) | instskip(SKIP_2) | instid1(SALU_CYCLE_1)
	v_add_co_ci_u32_e64 v5, null, s11, 0, s13
	global_load_u8 v9, v[4:5], off offset:1024
	s_or_b32 exec_lo, exec_lo, s12
	s_mov_b32 s12, exec_lo
	v_cmpx_gt_u32_e64 s0, v36
	s_cbranch_execnz .LBB298_53
.LBB298_26:                             ;   in Loop: Header=BB298_16 Depth=2
	s_or_b32 exec_lo, exec_lo, s12
	s_delay_alu instid0(SALU_CYCLE_1)
	s_mov_b32 s12, exec_lo
	v_cmpx_gt_u32_e64 s0, v37
	s_cbranch_execz .LBB298_28
.LBB298_27:                             ;   in Loop: Header=BB298_16 Depth=2
	v_add_co_u32 v4, s13, s10, v1
	s_delay_alu instid0(VALU_DEP_1)
	v_add_co_ci_u32_e64 v5, null, s11, 0, s13
	global_load_u8 v11, v[4:5], off offset:1536
.LBB298_28:                             ;   in Loop: Header=BB298_16 Depth=2
	s_or_b32 exec_lo, exec_lo, s12
	s_delay_alu instid0(SALU_CYCLE_1)
	s_mov_b32 s13, exec_lo
                                        ; implicit-def: $sgpr12
                                        ; implicit-def: $vgpr4_vgpr5
	v_cmpx_gt_u32_e64 s0, v39
; %bb.29:                               ;   in Loop: Header=BB298_16 Depth=2
	v_add_co_u32 v4, s10, s10, v1
	s_delay_alu instid0(VALU_DEP_1) | instskip(SKIP_1) | instid1(VALU_DEP_2)
	v_add_co_ci_u32_e64 v5, null, s11, 0, s10
	s_sub_i32 s12, s33, s9
	v_add_co_u32 v4, vcc_lo, 0x700, v4
	s_delay_alu instid0(VALU_DEP_2)
	v_add_co_ci_u32_e32 v5, vcc_lo, 0, v5, vcc_lo
	s_or_b32 s8, s8, exec_lo
                                        ; implicit-def: $vgpr12
; %bb.30:                               ;   in Loop: Header=BB298_16 Depth=2
	s_or_b32 exec_lo, exec_lo, s13
	s_waitcnt vmcnt(0)
	v_dual_mov_b32 v14, v2 :: v_dual_mov_b32 v17, v8
	v_dual_mov_b32 v15, v6 :: v_dual_mov_b32 v16, v7
	;; [unrolled: 1-line block ×4, first 2 shown]
	s_and_saveexec_b32 s9, s8
	s_cbranch_execz .LBB298_32
.LBB298_31:                             ;   in Loop: Header=BB298_16 Depth=2
	global_load_u8 v12, v[4:5], off
	s_waitcnt vmcnt(1)
	v_dual_mov_b32 v13, s12 :: v_dual_mov_b32 v2, v14
	v_dual_mov_b32 v6, v15 :: v_dual_mov_b32 v7, v16
	v_dual_mov_b32 v8, v17 :: v_dual_mov_b32 v9, v18
	v_dual_mov_b32 v10, v19 :: v_dual_mov_b32 v11, v20
.LBB298_32:                             ;   in Loop: Header=BB298_16 Depth=2
	s_or_b32 exec_lo, exec_lo, s9
	s_delay_alu instid0(SALU_CYCLE_1)
	s_mov_b32 s8, exec_lo
	v_cmpx_lt_u32_e64 v1, v13
	s_cbranch_execz .LBB298_40
; %bb.33:                               ;   in Loop: Header=BB298_16 Depth=2
	v_xor_b32_e32 v4, 0x7f, v2
	v_lshlrev_b32_e32 v5, 2, v32
	s_delay_alu instid0(VALU_DEP_2) | instskip(NEXT) | instid1(VALU_DEP_1)
	v_and_b32_e32 v4, 0xff, v4
	v_lshrrev_b32_e32 v4, s30, v4
	s_delay_alu instid0(VALU_DEP_1) | instskip(NEXT) | instid1(VALU_DEP_1)
	v_and_b32_e32 v4, s31, v4
	v_lshl_or_b32 v4, v4, 4, v5
	ds_add_u32 v4, v66
	s_or_b32 exec_lo, exec_lo, s8
	s_delay_alu instid0(SALU_CYCLE_1)
	s_mov_b32 s8, exec_lo
	v_cmpx_lt_u32_e64 v29, v13
	s_cbranch_execnz .LBB298_41
.LBB298_34:                             ;   in Loop: Header=BB298_16 Depth=2
	s_or_b32 exec_lo, exec_lo, s8
	s_delay_alu instid0(SALU_CYCLE_1)
	s_mov_b32 s8, exec_lo
	v_cmpx_lt_u32_e64 v30, v13
	s_cbranch_execz .LBB298_42
.LBB298_35:                             ;   in Loop: Header=BB298_16 Depth=2
	v_xor_b32_e32 v4, 0x7f, v7
	v_lshlrev_b32_e32 v5, 2, v32
	s_delay_alu instid0(VALU_DEP_2) | instskip(NEXT) | instid1(VALU_DEP_1)
	v_and_b32_e32 v4, 0xff, v4
	v_lshrrev_b32_e32 v4, s30, v4
	s_delay_alu instid0(VALU_DEP_1) | instskip(NEXT) | instid1(VALU_DEP_1)
	v_and_b32_e32 v4, s31, v4
	v_lshl_or_b32 v4, v4, 4, v5
	ds_add_u32 v4, v66
	s_or_b32 exec_lo, exec_lo, s8
	s_delay_alu instid0(SALU_CYCLE_1)
	s_mov_b32 s8, exec_lo
	v_cmpx_lt_u32_e64 v31, v13
	s_cbranch_execnz .LBB298_43
.LBB298_36:                             ;   in Loop: Header=BB298_16 Depth=2
	s_or_b32 exec_lo, exec_lo, s8
	s_delay_alu instid0(SALU_CYCLE_1)
	s_mov_b32 s8, exec_lo
	v_cmpx_lt_u32_e64 v35, v13
	s_cbranch_execz .LBB298_44
.LBB298_37:                             ;   in Loop: Header=BB298_16 Depth=2
	v_xor_b32_e32 v4, 0x7f, v9
	v_lshlrev_b32_e32 v5, 2, v32
	s_delay_alu instid0(VALU_DEP_2) | instskip(NEXT) | instid1(VALU_DEP_1)
	v_and_b32_e32 v4, 0xff, v4
	v_lshrrev_b32_e32 v4, s30, v4
	s_delay_alu instid0(VALU_DEP_1) | instskip(NEXT) | instid1(VALU_DEP_1)
	v_and_b32_e32 v4, s31, v4
	v_lshl_or_b32 v4, v4, 4, v5
	ds_add_u32 v4, v66
	s_or_b32 exec_lo, exec_lo, s8
	s_delay_alu instid0(SALU_CYCLE_1)
	s_mov_b32 s8, exec_lo
	v_cmpx_lt_u32_e64 v36, v13
	s_cbranch_execnz .LBB298_45
.LBB298_38:                             ;   in Loop: Header=BB298_16 Depth=2
	s_or_b32 exec_lo, exec_lo, s8
	s_delay_alu instid0(SALU_CYCLE_1)
	s_mov_b32 s8, exec_lo
	v_cmpx_lt_u32_e64 v37, v13
	s_cbranch_execz .LBB298_46
.LBB298_39:                             ;   in Loop: Header=BB298_16 Depth=2
	v_xor_b32_e32 v4, 0x7f, v11
	v_lshlrev_b32_e32 v5, 2, v32
	s_delay_alu instid0(VALU_DEP_2) | instskip(NEXT) | instid1(VALU_DEP_1)
	v_and_b32_e32 v4, 0xff, v4
	v_lshrrev_b32_e32 v4, s30, v4
	s_delay_alu instid0(VALU_DEP_1) | instskip(NEXT) | instid1(VALU_DEP_1)
	v_and_b32_e32 v4, s31, v4
	v_lshl_or_b32 v4, v4, 4, v5
	ds_add_u32 v4, v66
	s_or_b32 exec_lo, exec_lo, s8
	s_delay_alu instid0(SALU_CYCLE_1)
	s_mov_b32 s8, exec_lo
	v_cmpx_lt_u32_e64 v39, v13
	s_cbranch_execz .LBB298_15
	s_branch .LBB298_47
.LBB298_40:                             ;   in Loop: Header=BB298_16 Depth=2
	s_or_b32 exec_lo, exec_lo, s8
	s_delay_alu instid0(SALU_CYCLE_1)
	s_mov_b32 s8, exec_lo
	v_cmpx_lt_u32_e64 v29, v13
	s_cbranch_execz .LBB298_34
.LBB298_41:                             ;   in Loop: Header=BB298_16 Depth=2
	v_xor_b32_e32 v4, 0x7f, v6
	v_lshlrev_b32_e32 v5, 2, v32
	s_delay_alu instid0(VALU_DEP_2) | instskip(NEXT) | instid1(VALU_DEP_1)
	v_and_b32_e32 v4, 0xff, v4
	v_lshrrev_b32_e32 v4, s30, v4
	s_delay_alu instid0(VALU_DEP_1) | instskip(NEXT) | instid1(VALU_DEP_1)
	v_and_b32_e32 v4, s31, v4
	v_lshl_or_b32 v4, v4, 4, v5
	ds_add_u32 v4, v66
	s_or_b32 exec_lo, exec_lo, s8
	s_delay_alu instid0(SALU_CYCLE_1)
	s_mov_b32 s8, exec_lo
	v_cmpx_lt_u32_e64 v30, v13
	s_cbranch_execnz .LBB298_35
.LBB298_42:                             ;   in Loop: Header=BB298_16 Depth=2
	s_or_b32 exec_lo, exec_lo, s8
	s_delay_alu instid0(SALU_CYCLE_1)
	s_mov_b32 s8, exec_lo
	v_cmpx_lt_u32_e64 v31, v13
	s_cbranch_execz .LBB298_36
.LBB298_43:                             ;   in Loop: Header=BB298_16 Depth=2
	v_xor_b32_e32 v4, 0x7f, v8
	v_lshlrev_b32_e32 v5, 2, v32
	s_delay_alu instid0(VALU_DEP_2) | instskip(NEXT) | instid1(VALU_DEP_1)
	v_and_b32_e32 v4, 0xff, v4
	v_lshrrev_b32_e32 v4, s30, v4
	s_delay_alu instid0(VALU_DEP_1) | instskip(NEXT) | instid1(VALU_DEP_1)
	v_and_b32_e32 v4, s31, v4
	v_lshl_or_b32 v4, v4, 4, v5
	ds_add_u32 v4, v66
	s_or_b32 exec_lo, exec_lo, s8
	s_delay_alu instid0(SALU_CYCLE_1)
	s_mov_b32 s8, exec_lo
	v_cmpx_lt_u32_e64 v35, v13
	s_cbranch_execnz .LBB298_37
.LBB298_44:                             ;   in Loop: Header=BB298_16 Depth=2
	s_or_b32 exec_lo, exec_lo, s8
	s_delay_alu instid0(SALU_CYCLE_1)
	s_mov_b32 s8, exec_lo
	v_cmpx_lt_u32_e64 v36, v13
	s_cbranch_execz .LBB298_38
.LBB298_45:                             ;   in Loop: Header=BB298_16 Depth=2
	v_xor_b32_e32 v4, 0x7f, v10
	v_lshlrev_b32_e32 v5, 2, v32
	s_delay_alu instid0(VALU_DEP_2) | instskip(NEXT) | instid1(VALU_DEP_1)
	v_and_b32_e32 v4, 0xff, v4
	v_lshrrev_b32_e32 v4, s30, v4
	s_delay_alu instid0(VALU_DEP_1) | instskip(NEXT) | instid1(VALU_DEP_1)
	v_and_b32_e32 v4, s31, v4
	v_lshl_or_b32 v4, v4, 4, v5
	ds_add_u32 v4, v66
	s_or_b32 exec_lo, exec_lo, s8
	s_delay_alu instid0(SALU_CYCLE_1)
	s_mov_b32 s8, exec_lo
	v_cmpx_lt_u32_e64 v37, v13
	s_cbranch_execnz .LBB298_39
.LBB298_46:                             ;   in Loop: Header=BB298_16 Depth=2
	s_or_b32 exec_lo, exec_lo, s8
	s_delay_alu instid0(SALU_CYCLE_1)
	s_mov_b32 s8, exec_lo
	v_cmpx_lt_u32_e64 v39, v13
	s_cbranch_execz .LBB298_15
.LBB298_47:                             ;   in Loop: Header=BB298_16 Depth=2
	s_waitcnt vmcnt(0)
	v_xor_b32_e32 v4, 0x7f, v12
	v_lshlrev_b32_e32 v5, 2, v32
	s_delay_alu instid0(VALU_DEP_2) | instskip(NEXT) | instid1(VALU_DEP_1)
	v_and_b32_e32 v4, 0xff, v4
	v_lshrrev_b32_e32 v4, s30, v4
	s_delay_alu instid0(VALU_DEP_1) | instskip(NEXT) | instid1(VALU_DEP_1)
	v_and_b32_e32 v4, s31, v4
	v_lshl_or_b32 v4, v4, 4, v5
	ds_add_u32 v4, v66
	s_branch .LBB298_15
.LBB298_48:                             ;   in Loop: Header=BB298_16 Depth=2
	s_or_b32 exec_lo, exec_lo, s12
	s_delay_alu instid0(SALU_CYCLE_1)
	s_mov_b32 s12, exec_lo
	v_cmpx_gt_u32_e64 s0, v29
	s_cbranch_execz .LBB298_22
.LBB298_49:                             ;   in Loop: Header=BB298_16 Depth=2
	v_add_co_u32 v4, s13, s10, v1
	s_delay_alu instid0(VALU_DEP_1) | instskip(SKIP_2) | instid1(SALU_CYCLE_1)
	v_add_co_ci_u32_e64 v5, null, s11, 0, s13
	global_load_u8 v6, v[4:5], off offset:256
	s_or_b32 exec_lo, exec_lo, s12
	s_mov_b32 s12, exec_lo
	v_cmpx_gt_u32_e64 s0, v30
	s_cbranch_execnz .LBB298_23
.LBB298_50:                             ;   in Loop: Header=BB298_16 Depth=2
	s_or_b32 exec_lo, exec_lo, s12
	s_delay_alu instid0(SALU_CYCLE_1)
	s_mov_b32 s12, exec_lo
	v_cmpx_gt_u32_e64 s0, v31
	s_cbranch_execz .LBB298_24
.LBB298_51:                             ;   in Loop: Header=BB298_16 Depth=2
	v_add_co_u32 v4, s13, s10, v1
	s_delay_alu instid0(VALU_DEP_1) | instskip(SKIP_2) | instid1(SALU_CYCLE_1)
	v_add_co_ci_u32_e64 v5, null, s11, 0, s13
	global_load_u8 v8, v[4:5], off offset:768
	s_or_b32 exec_lo, exec_lo, s12
	s_mov_b32 s12, exec_lo
	v_cmpx_gt_u32_e64 s0, v35
	s_cbranch_execnz .LBB298_25
.LBB298_52:                             ;   in Loop: Header=BB298_16 Depth=2
	s_or_b32 exec_lo, exec_lo, s12
	s_delay_alu instid0(SALU_CYCLE_1)
	s_mov_b32 s12, exec_lo
	v_cmpx_gt_u32_e64 s0, v36
	s_cbranch_execz .LBB298_26
.LBB298_53:                             ;   in Loop: Header=BB298_16 Depth=2
	v_add_co_u32 v4, s13, s10, v1
	s_delay_alu instid0(VALU_DEP_1) | instskip(SKIP_2) | instid1(SALU_CYCLE_1)
	v_add_co_ci_u32_e64 v5, null, s11, 0, s13
	global_load_u8 v10, v[4:5], off offset:1280
	s_or_b32 exec_lo, exec_lo, s12
	s_mov_b32 s12, exec_lo
	v_cmpx_gt_u32_e64 s0, v37
	s_cbranch_execz .LBB298_28
	s_branch .LBB298_27
.LBB298_54:                             ;   in Loop: Header=BB298_12 Depth=1
	v_mov_b32_e32 v2, 0
	s_waitcnt vmcnt(0) lgkmcnt(0)
	s_barrier
	buffer_gl0_inv
	s_and_saveexec_b32 s0, s2
	s_cbranch_execz .LBB298_56
; %bb.55:                               ;   in Loop: Header=BB298_12 Depth=1
	ds_load_2addr_b64 v[4:7], v40 offset1:1
	s_waitcnt lgkmcnt(0)
	v_add_nc_u32_e32 v2, v5, v4
	s_delay_alu instid0(VALU_DEP_1)
	v_add3_u32 v2, v2, v6, v7
.LBB298_56:                             ;   in Loop: Header=BB298_12 Depth=1
	s_or_b32 exec_lo, exec_lo, s0
	v_and_b32_e32 v4, 15, v63
	s_delay_alu instid0(VALU_DEP_2) | instskip(SKIP_1) | instid1(VALU_DEP_3)
	v_mov_b32_dpp v5, v2 row_shr:1 row_mask:0xf bank_mask:0xf
	v_and_b32_e32 v6, 16, v63
	v_cmp_eq_u32_e64 s0, 0, v4
	v_cmp_lt_u32_e64 s1, 1, v4
	v_cmp_lt_u32_e64 s8, 3, v4
	;; [unrolled: 1-line block ×3, first 2 shown]
	v_cmp_eq_u32_e64 s10, 0, v6
	v_cndmask_b32_e64 v5, v5, 0, s0
	s_delay_alu instid0(VALU_DEP_1) | instskip(NEXT) | instid1(VALU_DEP_1)
	v_add_nc_u32_e32 v2, v5, v2
	v_mov_b32_dpp v5, v2 row_shr:2 row_mask:0xf bank_mask:0xf
	s_delay_alu instid0(VALU_DEP_1) | instskip(NEXT) | instid1(VALU_DEP_1)
	v_cndmask_b32_e64 v5, 0, v5, s1
	v_add_nc_u32_e32 v2, v2, v5
	s_delay_alu instid0(VALU_DEP_1) | instskip(NEXT) | instid1(VALU_DEP_1)
	v_mov_b32_dpp v5, v2 row_shr:4 row_mask:0xf bank_mask:0xf
	v_cndmask_b32_e64 v5, 0, v5, s8
	s_delay_alu instid0(VALU_DEP_1) | instskip(NEXT) | instid1(VALU_DEP_1)
	v_add_nc_u32_e32 v2, v2, v5
	v_mov_b32_dpp v5, v2 row_shr:8 row_mask:0xf bank_mask:0xf
	s_delay_alu instid0(VALU_DEP_1) | instskip(SKIP_1) | instid1(VALU_DEP_2)
	v_cndmask_b32_e64 v4, 0, v5, s9
	v_bfe_i32 v5, v63, 4, 1
	v_add_nc_u32_e32 v2, v2, v4
	ds_swizzle_b32 v4, v2 offset:swizzle(BROADCAST,32,15)
	s_waitcnt lgkmcnt(0)
	v_and_b32_e32 v4, v5, v4
	s_delay_alu instid0(VALU_DEP_1)
	v_add_nc_u32_e32 v4, v2, v4
	s_and_saveexec_b32 s11, s3
	s_cbranch_execz .LBB298_58
; %bb.57:                               ;   in Loop: Header=BB298_12 Depth=1
	ds_store_b32 v41, v4
.LBB298_58:                             ;   in Loop: Header=BB298_12 Depth=1
	s_or_b32 exec_lo, exec_lo, s11
	v_and_b32_e32 v2, 7, v63
	s_waitcnt lgkmcnt(0)
	s_barrier
	buffer_gl0_inv
	s_and_saveexec_b32 s11, s4
	s_cbranch_execz .LBB298_60
; %bb.59:                               ;   in Loop: Header=BB298_12 Depth=1
	ds_load_b32 v5, v42
	v_cmp_ne_u32_e32 vcc_lo, 0, v2
	s_waitcnt lgkmcnt(0)
	v_mov_b32_dpp v6, v5 row_shr:1 row_mask:0xf bank_mask:0xf
	s_delay_alu instid0(VALU_DEP_1) | instskip(SKIP_1) | instid1(VALU_DEP_2)
	v_cndmask_b32_e32 v6, 0, v6, vcc_lo
	v_cmp_lt_u32_e32 vcc_lo, 1, v2
	v_add_nc_u32_e32 v5, v6, v5
	s_delay_alu instid0(VALU_DEP_1) | instskip(NEXT) | instid1(VALU_DEP_1)
	v_mov_b32_dpp v6, v5 row_shr:2 row_mask:0xf bank_mask:0xf
	v_cndmask_b32_e32 v6, 0, v6, vcc_lo
	v_cmp_lt_u32_e32 vcc_lo, 3, v2
	s_delay_alu instid0(VALU_DEP_2) | instskip(NEXT) | instid1(VALU_DEP_1)
	v_add_nc_u32_e32 v5, v5, v6
	v_mov_b32_dpp v6, v5 row_shr:4 row_mask:0xf bank_mask:0xf
	s_delay_alu instid0(VALU_DEP_1) | instskip(NEXT) | instid1(VALU_DEP_1)
	v_cndmask_b32_e32 v6, 0, v6, vcc_lo
	v_add_nc_u32_e32 v5, v5, v6
	ds_store_b32 v42, v5
.LBB298_60:                             ;   in Loop: Header=BB298_12 Depth=1
	s_or_b32 exec_lo, exec_lo, s11
	v_mov_b32_e32 v5, 0
	s_waitcnt lgkmcnt(0)
	s_barrier
	buffer_gl0_inv
	s_and_saveexec_b32 s11, s5
	s_cbranch_execz .LBB298_62
; %bb.61:                               ;   in Loop: Header=BB298_12 Depth=1
	ds_load_b32 v5, v43
.LBB298_62:                             ;   in Loop: Header=BB298_12 Depth=1
	s_or_b32 exec_lo, exec_lo, s11
	v_add_nc_u32_e32 v6, -1, v63
	s_waitcnt lgkmcnt(0)
	v_add_nc_u32_e32 v4, v5, v4
	v_cmp_eq_u32_e64 s11, 0, v63
	s_barrier
	v_cmp_gt_i32_e32 vcc_lo, 0, v6
	buffer_gl0_inv
	v_cndmask_b32_e32 v6, v6, v63, vcc_lo
	s_delay_alu instid0(VALU_DEP_1)
	v_lshlrev_b32_e32 v69, 2, v6
	ds_bpermute_b32 v4, v69, v4
	s_and_saveexec_b32 s12, s2
	s_cbranch_execz .LBB298_64
; %bb.63:                               ;   in Loop: Header=BB298_12 Depth=1
	s_waitcnt lgkmcnt(0)
	v_cndmask_b32_e64 v4, v4, v5, s11
	s_delay_alu instid0(VALU_DEP_1)
	v_add_nc_u32_e32 v4, s27, v4
	ds_store_b32 v28, v4
.LBB298_64:                             ;   in Loop: Header=BB298_12 Depth=1
	s_or_b32 exec_lo, exec_lo, s12
	s_clause 0x1
	s_load_b32 s12, s[28:29], 0x4
	s_load_b32 s16, s[28:29], 0xc
	v_lshlrev_b32_e32 v5, 3, v63
	v_cmp_lt_u32_e64 s14, 3, v2
	v_or_b32_e32 v70, v63, v44
	s_mov_b32 s42, s35
	s_mov_b32 s24, s27
	v_add_co_u32 v71, vcc_lo, v50, v5
	v_add_co_ci_u32_e32 v72, vcc_lo, 0, v51, vcc_lo
	v_add_co_u32 v81, vcc_lo, 0xe0, v67
	v_or_b32_e32 v73, 32, v70
	v_or_b32_e32 v74, 64, v70
	v_or_b32_e32 v75, 0x60, v70
	v_or_b32_e32 v76, 0x80, v70
	v_or_b32_e32 v77, 0xa0, v70
	v_or_b32_e32 v78, 0xc0, v70
	v_or_b32_e32 v79, 0xe0, v70
	s_waitcnt lgkmcnt(0)
	s_cmp_lt_u32 s15, s12
	v_add_co_ci_u32_e32 v82, vcc_lo, 0, v68, vcc_lo
	s_cselect_b32 s12, 14, 20
                                        ; implicit-def: $vgpr6_vgpr7
                                        ; implicit-def: $vgpr8_vgpr9
                                        ; implicit-def: $vgpr10_vgpr11
                                        ; implicit-def: $vgpr12_vgpr13
                                        ; implicit-def: $vgpr14_vgpr15
                                        ; implicit-def: $vgpr16_vgpr17
                                        ; implicit-def: $vgpr18_vgpr19
                                        ; implicit-def: $vgpr83
                                        ; implicit-def: $vgpr84
                                        ; implicit-def: $vgpr85
                                        ; implicit-def: $vgpr86
                                        ; implicit-def: $vgpr87
                                        ; implicit-def: $vgpr88
                                        ; implicit-def: $vgpr89
                                        ; implicit-def: $vgpr90
	s_delay_alu instid0(SALU_CYCLE_1)
	s_add_u32 s12, s28, s12
	s_addc_u32 s13, s29, 0
	s_and_b32 s16, s16, 0xffff
	global_load_u16 v4, v3, s[12:13]
	v_cmp_eq_u32_e64 s12, 0, v2
	v_cmp_lt_u32_e64 s13, 1, v2
	s_waitcnt vmcnt(0)
	v_mad_u32_u24 v2, v45, v4, v0
	s_delay_alu instid0(VALU_DEP_1) | instskip(NEXT) | instid1(VALU_DEP_1)
	v_mad_u64_u32 v[4:5], null, v2, s16, v[1:2]
	v_lshrrev_b32_e32 v80, 5, v4
                                        ; implicit-def: $vgpr4_vgpr5
	s_branch .LBB298_66
.LBB298_65:                             ;   in Loop: Header=BB298_66 Depth=2
	s_or_b32 exec_lo, exec_lo, s16
	s_addk_i32 s42, 0xf800
	s_cmp_lt_u32 s43, s33
	s_mov_b32 s24, s43
	s_cbranch_scc0 .LBB298_178
.LBB298_66:                             ;   Parent Loop BB298_12 Depth=1
                                        ; =>  This Inner Loop Header: Depth=2
	s_add_i32 s43, s24, 0x800
	s_delay_alu instid0(SALU_CYCLE_1)
	s_cmp_gt_u32 s43, s33
	s_cbranch_scc1 .LBB298_69
; %bb.67:                               ;   in Loop: Header=BB298_66 Depth=2
	v_add_co_u32 v20, vcc_lo, v67, s24
	v_add_co_ci_u32_e32 v21, vcc_lo, 0, v68, vcc_lo
	s_mov_b32 s17, 0
	s_mov_b32 s16, s24
	s_mov_b32 s19, -1
	s_clause 0x6
	global_load_u8 v23, v[20:21], off offset:192
	global_load_u8 v24, v[20:21], off offset:160
	;; [unrolled: 1-line block ×6, first 2 shown]
	global_load_u8 v91, v[20:21], off
	s_movk_i32 s18, 0x800
	s_cbranch_execz .LBB298_70
; %bb.68:                               ;   in Loop: Header=BB298_66 Depth=2
                                        ; implicit-def: $vgpr22
	v_mov_b32_e32 v2, s42
	s_and_saveexec_b32 s20, s19
	s_cbranch_execnz .LBB298_79
	s_branch .LBB298_80
.LBB298_69:                             ;   in Loop: Header=BB298_66 Depth=2
	s_mov_b32 s17, -1
	s_mov_b32 s19, 0
                                        ; implicit-def: $sgpr18
                                        ; implicit-def: $vgpr91
                                        ; implicit-def: $vgpr93
                                        ; implicit-def: $vgpr27
                                        ; implicit-def: $vgpr26
                                        ; implicit-def: $vgpr25
                                        ; implicit-def: $vgpr24
                                        ; implicit-def: $vgpr23
.LBB298_70:                             ;   in Loop: Header=BB298_66 Depth=2
	v_add_co_u32 v20, vcc_lo, v67, s24
	v_add_co_ci_u32_e32 v21, vcc_lo, 0, v68, vcc_lo
	s_waitcnt vmcnt(0)
	v_dual_mov_b32 v91, 0x80 :: v_dual_mov_b32 v22, 0x80
	v_dual_mov_b32 v93, 0x80 :: v_dual_mov_b32 v26, 0x80
	;; [unrolled: 1-line block ×3, first 2 shown]
	v_mov_b32_e32 v25, 0x80
	v_mov_b32_e32 v23, 0x80
	s_mov_b32 s16, exec_lo
	v_cmpx_gt_u32_e64 s42, v70
	s_cbranch_execz .LBB298_172
; %bb.71:                               ;   in Loop: Header=BB298_66 Depth=2
	global_load_u8 v91, v[20:21], off
	v_dual_mov_b32 v93, 0x80 :: v_dual_mov_b32 v26, 0x80
	v_dual_mov_b32 v27, 0x80 :: v_dual_mov_b32 v24, 0x80
	;; [unrolled: 1-line block ×3, first 2 shown]
	v_mov_b32_e32 v23, 0x80
	s_or_b32 exec_lo, exec_lo, s16
	s_delay_alu instid0(SALU_CYCLE_1)
	s_mov_b32 s16, exec_lo
	v_cmpx_gt_u32_e64 s42, v73
	s_cbranch_execnz .LBB298_173
.LBB298_72:                             ;   in Loop: Header=BB298_66 Depth=2
	s_or_b32 exec_lo, exec_lo, s16
	s_delay_alu instid0(SALU_CYCLE_1)
	s_mov_b32 s16, exec_lo
	v_cmpx_gt_u32_e64 s42, v74
	s_cbranch_execz .LBB298_174
.LBB298_73:                             ;   in Loop: Header=BB298_66 Depth=2
	global_load_u8 v27, v[20:21], off offset:64
	s_or_b32 exec_lo, exec_lo, s16
	s_delay_alu instid0(SALU_CYCLE_1)
	s_mov_b32 s16, exec_lo
	v_cmpx_gt_u32_e64 s42, v75
	s_cbranch_execnz .LBB298_175
.LBB298_74:                             ;   in Loop: Header=BB298_66 Depth=2
	s_or_b32 exec_lo, exec_lo, s16
	s_delay_alu instid0(SALU_CYCLE_1)
	s_mov_b32 s16, exec_lo
	v_cmpx_gt_u32_e64 s42, v76
	s_cbranch_execz .LBB298_176
.LBB298_75:                             ;   in Loop: Header=BB298_66 Depth=2
	global_load_u8 v25, v[20:21], off offset:128
	s_or_b32 exec_lo, exec_lo, s16
	s_delay_alu instid0(SALU_CYCLE_1)
	s_mov_b32 s16, exec_lo
	v_cmpx_gt_u32_e64 s42, v77
	s_cbranch_execnz .LBB298_177
.LBB298_76:                             ;   in Loop: Header=BB298_66 Depth=2
	s_or_b32 exec_lo, exec_lo, s16
	s_delay_alu instid0(SALU_CYCLE_1)
	s_mov_b32 s16, exec_lo
	v_cmpx_gt_u32_e64 s42, v78
	s_cbranch_execz .LBB298_78
.LBB298_77:                             ;   in Loop: Header=BB298_66 Depth=2
	global_load_u8 v23, v[20:21], off offset:192
.LBB298_78:                             ;   in Loop: Header=BB298_66 Depth=2
	s_or_b32 exec_lo, exec_lo, s16
	v_cmp_gt_u32_e64 s19, s42, v79
	s_sub_i32 s18, s33, s24
	s_mov_b64 s[16:17], s[24:25]
	v_mov_b32_e32 v2, s42
	s_delay_alu instid0(VALU_DEP_2)
	s_and_saveexec_b32 s20, s19
	s_cbranch_execz .LBB298_80
.LBB298_79:                             ;   in Loop: Header=BB298_66 Depth=2
	v_add_co_u32 v20, vcc_lo, v81, s16
	v_add_co_ci_u32_e32 v21, vcc_lo, s17, v82, vcc_lo
	v_mov_b32_e32 v2, s18
	global_load_u8 v22, v[20:21], off
.LBB298_80:                             ;   in Loop: Header=BB298_66 Depth=2
	s_or_b32 exec_lo, exec_lo, s20
	s_waitcnt vmcnt(0)
	v_xor_b32_e32 v91, 0x7f, v91
	ds_store_b32 v46, v3 offset:1056
	ds_store_2addr_b32 v47, v3, v3 offset0:1 offset1:2
	ds_store_2addr_b32 v47, v3, v3 offset0:3 offset1:4
	;; [unrolled: 1-line block ×4, first 2 shown]
	s_waitcnt lgkmcnt(0)
	s_barrier
	v_and_b32_e32 v20, 0xff, v91
	buffer_gl0_inv
	; wave barrier
	v_lshrrev_b32_e32 v20, s30, v20
	s_delay_alu instid0(VALU_DEP_1) | instskip(NEXT) | instid1(VALU_DEP_1)
	v_and_b32_e32 v21, s31, v20
	v_and_b32_e32 v20, 1, v21
	v_lshlrev_b32_e32 v92, 30, v21
	v_lshlrev_b32_e32 v94, 29, v21
	;; [unrolled: 1-line block ×4, first 2 shown]
	v_add_co_u32 v20, s16, v20, -1
	s_delay_alu instid0(VALU_DEP_1)
	v_cndmask_b32_e64 v96, 0, 1, s16
	v_not_b32_e32 v100, v92
	v_cmp_gt_i32_e64 s16, 0, v92
	v_not_b32_e32 v92, v94
	v_lshlrev_b32_e32 v98, 26, v21
	v_cmp_ne_u32_e32 vcc_lo, 0, v96
	v_ashrrev_i32_e32 v100, 31, v100
	v_lshlrev_b32_e32 v99, 25, v21
	v_ashrrev_i32_e32 v92, 31, v92
	v_lshlrev_b32_e32 v96, 24, v21
	v_xor_b32_e32 v20, vcc_lo, v20
	v_cmp_gt_i32_e32 vcc_lo, 0, v94
	v_not_b32_e32 v94, v95
	v_xor_b32_e32 v100, s16, v100
	v_cmp_gt_i32_e64 s16, 0, v95
	v_and_b32_e32 v20, exec_lo, v20
	v_not_b32_e32 v95, v97
	v_ashrrev_i32_e32 v94, 31, v94
	v_xor_b32_e32 v92, vcc_lo, v92
	v_cmp_gt_i32_e32 vcc_lo, 0, v97
	v_and_b32_e32 v20, v20, v100
	v_not_b32_e32 v97, v98
	v_ashrrev_i32_e32 v95, 31, v95
	v_xor_b32_e32 v94, s16, v94
	v_cmp_gt_i32_e64 s16, 0, v98
	v_and_b32_e32 v20, v20, v92
	v_not_b32_e32 v92, v99
	v_ashrrev_i32_e32 v97, 31, v97
	v_xor_b32_e32 v95, vcc_lo, v95
	v_cmp_gt_i32_e32 vcc_lo, 0, v99
	v_and_b32_e32 v20, v20, v94
	v_not_b32_e32 v94, v96
	v_ashrrev_i32_e32 v92, 31, v92
	v_xor_b32_e32 v97, s16, v97
	v_cmp_gt_i32_e64 s16, 0, v96
	v_and_b32_e32 v20, v20, v95
	v_ashrrev_i32_e32 v94, 31, v94
	v_xor_b32_e32 v92, vcc_lo, v92
	v_mad_u32_u24 v21, v21, 9, v80
	s_delay_alu instid0(VALU_DEP_4) | instskip(NEXT) | instid1(VALU_DEP_4)
	v_and_b32_e32 v20, v20, v97
	v_xor_b32_e32 v94, s16, v94
	s_delay_alu instid0(VALU_DEP_2) | instskip(NEXT) | instid1(VALU_DEP_1)
	v_and_b32_e32 v20, v20, v92
	v_and_b32_e32 v20, v20, v94
	v_lshl_add_u32 v94, v21, 2, 0x420
	s_delay_alu instid0(VALU_DEP_2) | instskip(SKIP_1) | instid1(VALU_DEP_2)
	v_mbcnt_lo_u32_b32 v92, v20, 0
	v_cmp_ne_u32_e64 s16, 0, v20
	v_cmp_eq_u32_e32 vcc_lo, 0, v92
	s_delay_alu instid0(VALU_DEP_2) | instskip(NEXT) | instid1(SALU_CYCLE_1)
	s_and_b32 s17, s16, vcc_lo
	s_and_saveexec_b32 s16, s17
	s_cbranch_execz .LBB298_82
; %bb.81:                               ;   in Loop: Header=BB298_66 Depth=2
	v_bcnt_u32_b32 v20, v20, 0
	ds_store_b32 v94, v20
.LBB298_82:                             ;   in Loop: Header=BB298_66 Depth=2
	s_or_b32 exec_lo, exec_lo, s16
	v_xor_b32_e32 v93, 0x7f, v93
	; wave barrier
	s_delay_alu instid0(VALU_DEP_1) | instskip(NEXT) | instid1(VALU_DEP_1)
	v_and_b32_e32 v20, 0xff, v93
	v_lshrrev_b32_e32 v20, s30, v20
	s_delay_alu instid0(VALU_DEP_1) | instskip(NEXT) | instid1(VALU_DEP_1)
	v_and_b32_e32 v20, s31, v20
	v_and_b32_e32 v21, 1, v20
	v_lshlrev_b32_e32 v95, 30, v20
	v_lshlrev_b32_e32 v96, 29, v20
	;; [unrolled: 1-line block ×4, first 2 shown]
	v_add_co_u32 v21, s16, v21, -1
	s_delay_alu instid0(VALU_DEP_1)
	v_cndmask_b32_e64 v98, 0, 1, s16
	v_not_b32_e32 v102, v95
	v_cmp_gt_i32_e64 s16, 0, v95
	v_not_b32_e32 v95, v96
	v_lshlrev_b32_e32 v100, 26, v20
	v_cmp_ne_u32_e32 vcc_lo, 0, v98
	v_ashrrev_i32_e32 v102, 31, v102
	v_lshlrev_b32_e32 v101, 25, v20
	v_ashrrev_i32_e32 v95, 31, v95
	v_lshlrev_b32_e32 v98, 24, v20
	v_xor_b32_e32 v21, vcc_lo, v21
	v_cmp_gt_i32_e32 vcc_lo, 0, v96
	v_not_b32_e32 v96, v97
	v_xor_b32_e32 v102, s16, v102
	v_cmp_gt_i32_e64 s16, 0, v97
	v_and_b32_e32 v21, exec_lo, v21
	v_not_b32_e32 v97, v99
	v_ashrrev_i32_e32 v96, 31, v96
	v_xor_b32_e32 v95, vcc_lo, v95
	v_cmp_gt_i32_e32 vcc_lo, 0, v99
	v_and_b32_e32 v21, v21, v102
	v_not_b32_e32 v99, v100
	v_ashrrev_i32_e32 v97, 31, v97
	v_xor_b32_e32 v96, s16, v96
	v_cmp_gt_i32_e64 s16, 0, v100
	v_and_b32_e32 v21, v21, v95
	v_not_b32_e32 v95, v101
	v_ashrrev_i32_e32 v99, 31, v99
	v_xor_b32_e32 v97, vcc_lo, v97
	v_cmp_gt_i32_e32 vcc_lo, 0, v101
	v_and_b32_e32 v21, v21, v96
	v_not_b32_e32 v96, v98
	v_ashrrev_i32_e32 v95, 31, v95
	v_xor_b32_e32 v99, s16, v99
	v_mul_u32_u24_e32 v20, 9, v20
	v_and_b32_e32 v21, v21, v97
	v_cmp_gt_i32_e64 s16, 0, v98
	v_ashrrev_i32_e32 v96, 31, v96
	v_xor_b32_e32 v95, vcc_lo, v95
	v_add_lshl_u32 v97, v20, v80, 2
	v_and_b32_e32 v21, v21, v99
	s_delay_alu instid0(VALU_DEP_4) | instskip(NEXT) | instid1(VALU_DEP_3)
	v_xor_b32_e32 v20, s16, v96
	v_add_nc_u32_e32 v98, 0x420, v97
	s_delay_alu instid0(VALU_DEP_3) | instskip(SKIP_2) | instid1(VALU_DEP_1)
	v_and_b32_e32 v21, v21, v95
	ds_load_b32 v95, v97 offset:1056
	; wave barrier
	v_and_b32_e32 v20, v21, v20
	v_mbcnt_lo_u32_b32 v96, v20, 0
	v_cmp_ne_u32_e64 s16, 0, v20
	s_delay_alu instid0(VALU_DEP_2) | instskip(NEXT) | instid1(VALU_DEP_2)
	v_cmp_eq_u32_e32 vcc_lo, 0, v96
	s_and_b32 s17, s16, vcc_lo
	s_delay_alu instid0(SALU_CYCLE_1)
	s_and_saveexec_b32 s16, s17
	s_cbranch_execz .LBB298_84
; %bb.83:                               ;   in Loop: Header=BB298_66 Depth=2
	s_waitcnt lgkmcnt(0)
	v_bcnt_u32_b32 v20, v20, v95
	ds_store_b32 v98, v20
.LBB298_84:                             ;   in Loop: Header=BB298_66 Depth=2
	s_or_b32 exec_lo, exec_lo, s16
	v_xor_b32_e32 v97, 0x7f, v27
	; wave barrier
	s_delay_alu instid0(VALU_DEP_1) | instskip(NEXT) | instid1(VALU_DEP_1)
	v_and_b32_e32 v20, 0xff, v97
	v_lshrrev_b32_e32 v20, s30, v20
	s_delay_alu instid0(VALU_DEP_1) | instskip(NEXT) | instid1(VALU_DEP_1)
	v_and_b32_e32 v20, s31, v20
	v_and_b32_e32 v21, 1, v20
	v_lshlrev_b32_e32 v27, 30, v20
	v_lshlrev_b32_e32 v99, 29, v20
	;; [unrolled: 1-line block ×4, first 2 shown]
	v_add_co_u32 v21, s16, v21, -1
	s_delay_alu instid0(VALU_DEP_1)
	v_cndmask_b32_e64 v101, 0, 1, s16
	v_not_b32_e32 v105, v27
	v_cmp_gt_i32_e64 s16, 0, v27
	v_not_b32_e32 v27, v99
	v_lshlrev_b32_e32 v103, 26, v20
	v_cmp_ne_u32_e32 vcc_lo, 0, v101
	v_ashrrev_i32_e32 v105, 31, v105
	v_lshlrev_b32_e32 v104, 25, v20
	v_ashrrev_i32_e32 v27, 31, v27
	v_lshlrev_b32_e32 v101, 24, v20
	v_xor_b32_e32 v21, vcc_lo, v21
	v_cmp_gt_i32_e32 vcc_lo, 0, v99
	v_not_b32_e32 v99, v100
	v_xor_b32_e32 v105, s16, v105
	v_cmp_gt_i32_e64 s16, 0, v100
	v_and_b32_e32 v21, exec_lo, v21
	v_not_b32_e32 v100, v102
	v_ashrrev_i32_e32 v99, 31, v99
	v_xor_b32_e32 v27, vcc_lo, v27
	v_cmp_gt_i32_e32 vcc_lo, 0, v102
	v_and_b32_e32 v21, v21, v105
	v_not_b32_e32 v102, v103
	v_ashrrev_i32_e32 v100, 31, v100
	v_xor_b32_e32 v99, s16, v99
	v_cmp_gt_i32_e64 s16, 0, v103
	v_and_b32_e32 v21, v21, v27
	v_not_b32_e32 v27, v104
	v_ashrrev_i32_e32 v102, 31, v102
	v_xor_b32_e32 v100, vcc_lo, v100
	v_cmp_gt_i32_e32 vcc_lo, 0, v104
	v_and_b32_e32 v21, v21, v99
	v_not_b32_e32 v99, v101
	v_ashrrev_i32_e32 v27, 31, v27
	v_xor_b32_e32 v102, s16, v102
	v_mul_u32_u24_e32 v20, 9, v20
	v_and_b32_e32 v21, v21, v100
	v_cmp_gt_i32_e64 s16, 0, v101
	v_ashrrev_i32_e32 v99, 31, v99
	v_xor_b32_e32 v27, vcc_lo, v27
	v_add_lshl_u32 v101, v20, v80, 2
	v_and_b32_e32 v21, v21, v102
	s_delay_alu instid0(VALU_DEP_4) | instskip(SKIP_3) | instid1(VALU_DEP_2)
	v_xor_b32_e32 v20, s16, v99
	ds_load_b32 v99, v101 offset:1056
	v_and_b32_e32 v21, v21, v27
	v_add_nc_u32_e32 v102, 0x420, v101
	; wave barrier
	v_and_b32_e32 v20, v21, v20
	s_delay_alu instid0(VALU_DEP_1) | instskip(SKIP_1) | instid1(VALU_DEP_2)
	v_mbcnt_lo_u32_b32 v100, v20, 0
	v_cmp_ne_u32_e64 s16, 0, v20
	v_cmp_eq_u32_e32 vcc_lo, 0, v100
	s_delay_alu instid0(VALU_DEP_2) | instskip(NEXT) | instid1(SALU_CYCLE_1)
	s_and_b32 s17, s16, vcc_lo
	s_and_saveexec_b32 s16, s17
	s_cbranch_execz .LBB298_86
; %bb.85:                               ;   in Loop: Header=BB298_66 Depth=2
	s_waitcnt lgkmcnt(0)
	v_bcnt_u32_b32 v20, v20, v99
	ds_store_b32 v102, v20
.LBB298_86:                             ;   in Loop: Header=BB298_66 Depth=2
	s_or_b32 exec_lo, exec_lo, s16
	v_xor_b32_e32 v101, 0x7f, v26
	; wave barrier
	s_delay_alu instid0(VALU_DEP_1) | instskip(NEXT) | instid1(VALU_DEP_1)
	v_and_b32_e32 v20, 0xff, v101
	v_lshrrev_b32_e32 v20, s30, v20
	s_delay_alu instid0(VALU_DEP_1) | instskip(NEXT) | instid1(VALU_DEP_1)
	v_and_b32_e32 v20, s31, v20
	v_and_b32_e32 v21, 1, v20
	v_lshlrev_b32_e32 v26, 30, v20
	v_lshlrev_b32_e32 v27, 29, v20
	;; [unrolled: 1-line block ×4, first 2 shown]
	v_add_co_u32 v21, s16, v21, -1
	s_delay_alu instid0(VALU_DEP_1)
	v_cndmask_b32_e64 v104, 0, 1, s16
	v_not_b32_e32 v108, v26
	v_cmp_gt_i32_e64 s16, 0, v26
	v_not_b32_e32 v26, v27
	v_lshlrev_b32_e32 v106, 26, v20
	v_cmp_ne_u32_e32 vcc_lo, 0, v104
	v_ashrrev_i32_e32 v108, 31, v108
	v_lshlrev_b32_e32 v107, 25, v20
	v_ashrrev_i32_e32 v26, 31, v26
	v_lshlrev_b32_e32 v104, 24, v20
	v_xor_b32_e32 v21, vcc_lo, v21
	v_cmp_gt_i32_e32 vcc_lo, 0, v27
	v_not_b32_e32 v27, v103
	v_xor_b32_e32 v108, s16, v108
	v_cmp_gt_i32_e64 s16, 0, v103
	v_and_b32_e32 v21, exec_lo, v21
	v_not_b32_e32 v103, v105
	v_ashrrev_i32_e32 v27, 31, v27
	v_xor_b32_e32 v26, vcc_lo, v26
	v_cmp_gt_i32_e32 vcc_lo, 0, v105
	v_and_b32_e32 v21, v21, v108
	v_not_b32_e32 v105, v106
	v_ashrrev_i32_e32 v103, 31, v103
	v_xor_b32_e32 v27, s16, v27
	v_cmp_gt_i32_e64 s16, 0, v106
	v_and_b32_e32 v21, v21, v26
	v_not_b32_e32 v26, v107
	v_ashrrev_i32_e32 v105, 31, v105
	v_xor_b32_e32 v103, vcc_lo, v103
	v_cmp_gt_i32_e32 vcc_lo, 0, v107
	v_and_b32_e32 v21, v21, v27
	v_not_b32_e32 v27, v104
	v_ashrrev_i32_e32 v26, 31, v26
	v_xor_b32_e32 v105, s16, v105
	v_mul_u32_u24_e32 v20, 9, v20
	v_and_b32_e32 v21, v21, v103
	v_cmp_gt_i32_e64 s16, 0, v104
	v_ashrrev_i32_e32 v27, 31, v27
	v_xor_b32_e32 v26, vcc_lo, v26
	s_delay_alu instid0(VALU_DEP_4) | instskip(SKIP_1) | instid1(VALU_DEP_4)
	v_and_b32_e32 v21, v21, v105
	v_add_lshl_u32 v105, v20, v80, 2
	v_xor_b32_e32 v20, s16, v27
	s_delay_alu instid0(VALU_DEP_3) | instskip(SKIP_3) | instid1(VALU_DEP_1)
	v_and_b32_e32 v21, v21, v26
	ds_load_b32 v103, v105 offset:1056
	v_add_nc_u32_e32 v106, 0x420, v105
	; wave barrier
	v_and_b32_e32 v20, v21, v20
	v_mbcnt_lo_u32_b32 v104, v20, 0
	v_cmp_ne_u32_e64 s16, 0, v20
	s_delay_alu instid0(VALU_DEP_2) | instskip(NEXT) | instid1(VALU_DEP_2)
	v_cmp_eq_u32_e32 vcc_lo, 0, v104
	s_and_b32 s17, s16, vcc_lo
	s_delay_alu instid0(SALU_CYCLE_1)
	s_and_saveexec_b32 s16, s17
	s_cbranch_execz .LBB298_88
; %bb.87:                               ;   in Loop: Header=BB298_66 Depth=2
	s_waitcnt lgkmcnt(0)
	v_bcnt_u32_b32 v20, v20, v103
	ds_store_b32 v106, v20
.LBB298_88:                             ;   in Loop: Header=BB298_66 Depth=2
	s_or_b32 exec_lo, exec_lo, s16
	v_xor_b32_e32 v105, 0x7f, v25
	; wave barrier
	s_delay_alu instid0(VALU_DEP_1) | instskip(NEXT) | instid1(VALU_DEP_1)
	v_and_b32_e32 v20, 0xff, v105
	v_lshrrev_b32_e32 v20, s30, v20
	s_delay_alu instid0(VALU_DEP_1) | instskip(NEXT) | instid1(VALU_DEP_1)
	v_and_b32_e32 v20, s31, v20
	v_and_b32_e32 v21, 1, v20
	v_lshlrev_b32_e32 v25, 30, v20
	v_lshlrev_b32_e32 v26, 29, v20
	;; [unrolled: 1-line block ×4, first 2 shown]
	v_add_co_u32 v21, s16, v21, -1
	s_delay_alu instid0(VALU_DEP_1)
	v_cndmask_b32_e64 v107, 0, 1, s16
	v_not_b32_e32 v111, v25
	v_cmp_gt_i32_e64 s16, 0, v25
	v_not_b32_e32 v25, v26
	v_lshlrev_b32_e32 v109, 26, v20
	v_cmp_ne_u32_e32 vcc_lo, 0, v107
	v_ashrrev_i32_e32 v111, 31, v111
	v_lshlrev_b32_e32 v110, 25, v20
	v_ashrrev_i32_e32 v25, 31, v25
	v_lshlrev_b32_e32 v107, 24, v20
	v_xor_b32_e32 v21, vcc_lo, v21
	v_cmp_gt_i32_e32 vcc_lo, 0, v26
	v_not_b32_e32 v26, v27
	v_xor_b32_e32 v111, s16, v111
	v_cmp_gt_i32_e64 s16, 0, v27
	v_and_b32_e32 v21, exec_lo, v21
	v_not_b32_e32 v27, v108
	v_ashrrev_i32_e32 v26, 31, v26
	v_xor_b32_e32 v25, vcc_lo, v25
	v_cmp_gt_i32_e32 vcc_lo, 0, v108
	v_and_b32_e32 v21, v21, v111
	v_not_b32_e32 v108, v109
	v_ashrrev_i32_e32 v27, 31, v27
	v_xor_b32_e32 v26, s16, v26
	v_cmp_gt_i32_e64 s16, 0, v109
	v_and_b32_e32 v21, v21, v25
	v_not_b32_e32 v25, v110
	v_ashrrev_i32_e32 v108, 31, v108
	v_xor_b32_e32 v27, vcc_lo, v27
	v_cmp_gt_i32_e32 vcc_lo, 0, v110
	v_and_b32_e32 v21, v21, v26
	v_not_b32_e32 v26, v107
	v_ashrrev_i32_e32 v25, 31, v25
	v_xor_b32_e32 v108, s16, v108
	v_mul_u32_u24_e32 v20, 9, v20
	v_and_b32_e32 v21, v21, v27
	v_cmp_gt_i32_e64 s16, 0, v107
	v_ashrrev_i32_e32 v26, 31, v26
	v_xor_b32_e32 v25, vcc_lo, v25
	v_add_lshl_u32 v27, v20, v80, 2
	v_and_b32_e32 v21, v21, v108
	s_delay_alu instid0(VALU_DEP_4) | instskip(SKIP_3) | instid1(VALU_DEP_2)
	v_xor_b32_e32 v20, s16, v26
	ds_load_b32 v107, v27 offset:1056
	v_and_b32_e32 v21, v21, v25
	v_add_nc_u32_e32 v110, 0x420, v27
	; wave barrier
	v_and_b32_e32 v20, v21, v20
	s_delay_alu instid0(VALU_DEP_1) | instskip(SKIP_1) | instid1(VALU_DEP_2)
	v_mbcnt_lo_u32_b32 v108, v20, 0
	v_cmp_ne_u32_e64 s16, 0, v20
	v_cmp_eq_u32_e32 vcc_lo, 0, v108
	s_delay_alu instid0(VALU_DEP_2) | instskip(NEXT) | instid1(SALU_CYCLE_1)
	s_and_b32 s17, s16, vcc_lo
	s_and_saveexec_b32 s16, s17
	s_cbranch_execz .LBB298_90
; %bb.89:                               ;   in Loop: Header=BB298_66 Depth=2
	s_waitcnt lgkmcnt(0)
	v_bcnt_u32_b32 v20, v20, v107
	ds_store_b32 v110, v20
.LBB298_90:                             ;   in Loop: Header=BB298_66 Depth=2
	s_or_b32 exec_lo, exec_lo, s16
	v_xor_b32_e32 v109, 0x7f, v24
	; wave barrier
	s_delay_alu instid0(VALU_DEP_1) | instskip(NEXT) | instid1(VALU_DEP_1)
	v_and_b32_e32 v20, 0xff, v109
	v_lshrrev_b32_e32 v20, s30, v20
	s_delay_alu instid0(VALU_DEP_1) | instskip(NEXT) | instid1(VALU_DEP_1)
	v_and_b32_e32 v20, s31, v20
	v_and_b32_e32 v21, 1, v20
	v_lshlrev_b32_e32 v24, 30, v20
	v_lshlrev_b32_e32 v25, 29, v20
	;; [unrolled: 1-line block ×4, first 2 shown]
	v_add_co_u32 v21, s16, v21, -1
	s_delay_alu instid0(VALU_DEP_1)
	v_cndmask_b32_e64 v27, 0, 1, s16
	v_not_b32_e32 v114, v24
	v_cmp_gt_i32_e64 s16, 0, v24
	v_not_b32_e32 v24, v25
	v_lshlrev_b32_e32 v112, 26, v20
	v_cmp_ne_u32_e32 vcc_lo, 0, v27
	v_ashrrev_i32_e32 v114, 31, v114
	v_lshlrev_b32_e32 v113, 25, v20
	v_ashrrev_i32_e32 v24, 31, v24
	v_lshlrev_b32_e32 v27, 24, v20
	v_xor_b32_e32 v21, vcc_lo, v21
	v_cmp_gt_i32_e32 vcc_lo, 0, v25
	v_not_b32_e32 v25, v26
	v_xor_b32_e32 v114, s16, v114
	v_cmp_gt_i32_e64 s16, 0, v26
	v_and_b32_e32 v21, exec_lo, v21
	v_not_b32_e32 v26, v111
	v_ashrrev_i32_e32 v25, 31, v25
	v_xor_b32_e32 v24, vcc_lo, v24
	v_cmp_gt_i32_e32 vcc_lo, 0, v111
	v_and_b32_e32 v21, v21, v114
	v_not_b32_e32 v111, v112
	v_ashrrev_i32_e32 v26, 31, v26
	v_xor_b32_e32 v25, s16, v25
	v_cmp_gt_i32_e64 s16, 0, v112
	v_and_b32_e32 v21, v21, v24
	v_not_b32_e32 v24, v113
	v_ashrrev_i32_e32 v111, 31, v111
	v_xor_b32_e32 v26, vcc_lo, v26
	v_cmp_gt_i32_e32 vcc_lo, 0, v113
	v_and_b32_e32 v21, v21, v25
	v_not_b32_e32 v25, v27
	v_ashrrev_i32_e32 v24, 31, v24
	v_xor_b32_e32 v111, s16, v111
	v_mul_u32_u24_e32 v20, 9, v20
	v_and_b32_e32 v21, v21, v26
	v_cmp_gt_i32_e64 s16, 0, v27
	v_ashrrev_i32_e32 v25, 31, v25
	v_xor_b32_e32 v24, vcc_lo, v24
	v_add_lshl_u32 v26, v20, v80, 2
	v_and_b32_e32 v21, v21, v111
	s_delay_alu instid0(VALU_DEP_4) | instskip(SKIP_3) | instid1(VALU_DEP_2)
	v_xor_b32_e32 v20, s16, v25
	ds_load_b32 v111, v26 offset:1056
	v_and_b32_e32 v21, v21, v24
	v_add_nc_u32_e32 v114, 0x420, v26
	; wave barrier
	v_and_b32_e32 v20, v21, v20
	s_delay_alu instid0(VALU_DEP_1) | instskip(SKIP_1) | instid1(VALU_DEP_2)
	v_mbcnt_lo_u32_b32 v112, v20, 0
	v_cmp_ne_u32_e64 s16, 0, v20
	v_cmp_eq_u32_e32 vcc_lo, 0, v112
	s_delay_alu instid0(VALU_DEP_2) | instskip(NEXT) | instid1(SALU_CYCLE_1)
	s_and_b32 s17, s16, vcc_lo
	s_and_saveexec_b32 s16, s17
	s_cbranch_execz .LBB298_92
; %bb.91:                               ;   in Loop: Header=BB298_66 Depth=2
	s_waitcnt lgkmcnt(0)
	v_bcnt_u32_b32 v20, v20, v111
	ds_store_b32 v114, v20
.LBB298_92:                             ;   in Loop: Header=BB298_66 Depth=2
	s_or_b32 exec_lo, exec_lo, s16
	v_xor_b32_e32 v113, 0x7f, v23
	; wave barrier
	s_delay_alu instid0(VALU_DEP_1) | instskip(NEXT) | instid1(VALU_DEP_1)
	v_and_b32_e32 v20, 0xff, v113
	v_lshrrev_b32_e32 v20, s30, v20
	s_delay_alu instid0(VALU_DEP_1) | instskip(NEXT) | instid1(VALU_DEP_1)
	v_and_b32_e32 v20, s31, v20
	v_and_b32_e32 v21, 1, v20
	v_lshlrev_b32_e32 v23, 30, v20
	v_lshlrev_b32_e32 v24, 29, v20
	;; [unrolled: 1-line block ×4, first 2 shown]
	v_add_co_u32 v21, s16, v21, -1
	s_delay_alu instid0(VALU_DEP_1)
	v_cndmask_b32_e64 v26, 0, 1, s16
	v_not_b32_e32 v117, v23
	v_cmp_gt_i32_e64 s16, 0, v23
	v_not_b32_e32 v23, v24
	v_lshlrev_b32_e32 v115, 26, v20
	v_cmp_ne_u32_e32 vcc_lo, 0, v26
	v_ashrrev_i32_e32 v117, 31, v117
	v_lshlrev_b32_e32 v116, 25, v20
	v_ashrrev_i32_e32 v23, 31, v23
	v_lshlrev_b32_e32 v26, 24, v20
	v_xor_b32_e32 v21, vcc_lo, v21
	v_cmp_gt_i32_e32 vcc_lo, 0, v24
	v_not_b32_e32 v24, v25
	v_xor_b32_e32 v117, s16, v117
	v_cmp_gt_i32_e64 s16, 0, v25
	v_and_b32_e32 v21, exec_lo, v21
	v_not_b32_e32 v25, v27
	v_ashrrev_i32_e32 v24, 31, v24
	v_xor_b32_e32 v23, vcc_lo, v23
	v_cmp_gt_i32_e32 vcc_lo, 0, v27
	v_and_b32_e32 v21, v21, v117
	v_not_b32_e32 v27, v115
	v_ashrrev_i32_e32 v25, 31, v25
	v_xor_b32_e32 v24, s16, v24
	v_cmp_gt_i32_e64 s16, 0, v115
	v_and_b32_e32 v21, v21, v23
	v_not_b32_e32 v23, v116
	v_ashrrev_i32_e32 v27, 31, v27
	v_xor_b32_e32 v25, vcc_lo, v25
	v_cmp_gt_i32_e32 vcc_lo, 0, v116
	v_and_b32_e32 v21, v21, v24
	v_not_b32_e32 v24, v26
	v_ashrrev_i32_e32 v23, 31, v23
	v_xor_b32_e32 v27, s16, v27
	v_mul_u32_u24_e32 v20, 9, v20
	v_and_b32_e32 v21, v21, v25
	v_cmp_gt_i32_e64 s16, 0, v26
	v_ashrrev_i32_e32 v24, 31, v24
	v_xor_b32_e32 v23, vcc_lo, v23
	v_add_lshl_u32 v25, v20, v80, 2
	v_and_b32_e32 v21, v21, v27
	s_delay_alu instid0(VALU_DEP_4) | instskip(SKIP_3) | instid1(VALU_DEP_2)
	v_xor_b32_e32 v20, s16, v24
	ds_load_b32 v115, v25 offset:1056
	v_and_b32_e32 v21, v21, v23
	v_add_nc_u32_e32 v118, 0x420, v25
	; wave barrier
	v_and_b32_e32 v20, v21, v20
	s_delay_alu instid0(VALU_DEP_1) | instskip(SKIP_1) | instid1(VALU_DEP_2)
	v_mbcnt_lo_u32_b32 v116, v20, 0
	v_cmp_ne_u32_e64 s16, 0, v20
	v_cmp_eq_u32_e32 vcc_lo, 0, v116
	s_delay_alu instid0(VALU_DEP_2) | instskip(NEXT) | instid1(SALU_CYCLE_1)
	s_and_b32 s17, s16, vcc_lo
	s_and_saveexec_b32 s16, s17
	s_cbranch_execz .LBB298_94
; %bb.93:                               ;   in Loop: Header=BB298_66 Depth=2
	s_waitcnt lgkmcnt(0)
	v_bcnt_u32_b32 v20, v20, v115
	ds_store_b32 v118, v20
.LBB298_94:                             ;   in Loop: Header=BB298_66 Depth=2
	s_or_b32 exec_lo, exec_lo, s16
	v_xor_b32_e32 v117, 0x7f, v22
	; wave barrier
	s_delay_alu instid0(VALU_DEP_1) | instskip(NEXT) | instid1(VALU_DEP_1)
	v_and_b32_e32 v20, 0xff, v117
	v_lshrrev_b32_e32 v20, s30, v20
	s_delay_alu instid0(VALU_DEP_1) | instskip(NEXT) | instid1(VALU_DEP_1)
	v_and_b32_e32 v20, s31, v20
	v_and_b32_e32 v21, 1, v20
	v_lshlrev_b32_e32 v22, 30, v20
	v_lshlrev_b32_e32 v23, 29, v20
	;; [unrolled: 1-line block ×4, first 2 shown]
	v_add_co_u32 v21, s16, v21, -1
	s_delay_alu instid0(VALU_DEP_1)
	v_cndmask_b32_e64 v25, 0, 1, s16
	v_not_b32_e32 v120, v22
	v_cmp_gt_i32_e64 s16, 0, v22
	v_not_b32_e32 v22, v23
	v_lshlrev_b32_e32 v27, 26, v20
	v_cmp_ne_u32_e32 vcc_lo, 0, v25
	v_ashrrev_i32_e32 v120, 31, v120
	v_lshlrev_b32_e32 v119, 25, v20
	v_ashrrev_i32_e32 v22, 31, v22
	v_lshlrev_b32_e32 v25, 24, v20
	v_xor_b32_e32 v21, vcc_lo, v21
	v_cmp_gt_i32_e32 vcc_lo, 0, v23
	v_not_b32_e32 v23, v24
	v_xor_b32_e32 v120, s16, v120
	v_cmp_gt_i32_e64 s16, 0, v24
	v_and_b32_e32 v21, exec_lo, v21
	v_not_b32_e32 v24, v26
	v_ashrrev_i32_e32 v23, 31, v23
	v_xor_b32_e32 v22, vcc_lo, v22
	v_cmp_gt_i32_e32 vcc_lo, 0, v26
	v_and_b32_e32 v21, v21, v120
	v_not_b32_e32 v26, v27
	v_ashrrev_i32_e32 v24, 31, v24
	v_xor_b32_e32 v23, s16, v23
	v_cmp_gt_i32_e64 s16, 0, v27
	v_and_b32_e32 v21, v21, v22
	v_not_b32_e32 v22, v119
	v_ashrrev_i32_e32 v26, 31, v26
	v_xor_b32_e32 v24, vcc_lo, v24
	v_cmp_gt_i32_e32 vcc_lo, 0, v119
	v_and_b32_e32 v21, v21, v23
	v_not_b32_e32 v23, v25
	v_ashrrev_i32_e32 v22, 31, v22
	v_xor_b32_e32 v26, s16, v26
	v_mul_u32_u24_e32 v20, 9, v20
	v_and_b32_e32 v21, v21, v24
	v_cmp_gt_i32_e64 s16, 0, v25
	v_ashrrev_i32_e32 v23, 31, v23
	v_xor_b32_e32 v22, vcc_lo, v22
	v_add_lshl_u32 v24, v20, v80, 2
	v_and_b32_e32 v21, v21, v26
	s_delay_alu instid0(VALU_DEP_4) | instskip(SKIP_3) | instid1(VALU_DEP_2)
	v_xor_b32_e32 v20, s16, v23
	ds_load_b32 v119, v24 offset:1056
	v_and_b32_e32 v21, v21, v22
	v_add_nc_u32_e32 v121, 0x420, v24
	; wave barrier
	v_and_b32_e32 v20, v21, v20
	s_delay_alu instid0(VALU_DEP_1) | instskip(SKIP_1) | instid1(VALU_DEP_2)
	v_mbcnt_lo_u32_b32 v120, v20, 0
	v_cmp_ne_u32_e64 s16, 0, v20
	v_cmp_eq_u32_e32 vcc_lo, 0, v120
	s_delay_alu instid0(VALU_DEP_2) | instskip(NEXT) | instid1(SALU_CYCLE_1)
	s_and_b32 s17, s16, vcc_lo
	s_and_saveexec_b32 s16, s17
	s_cbranch_execz .LBB298_96
; %bb.95:                               ;   in Loop: Header=BB298_66 Depth=2
	s_waitcnt lgkmcnt(0)
	v_bcnt_u32_b32 v20, v20, v119
	ds_store_b32 v121, v20
.LBB298_96:                             ;   in Loop: Header=BB298_66 Depth=2
	s_or_b32 exec_lo, exec_lo, s16
	; wave barrier
	s_waitcnt lgkmcnt(0)
	s_barrier
	buffer_gl0_inv
	ds_load_b32 v122, v46 offset:1056
	ds_load_2addr_b32 v[26:27], v47 offset0:1 offset1:2
	ds_load_2addr_b32 v[24:25], v47 offset0:3 offset1:4
	;; [unrolled: 1-line block ×4, first 2 shown]
	s_waitcnt lgkmcnt(3)
	v_add3_u32 v123, v26, v122, v27
	s_waitcnt lgkmcnt(2)
	s_delay_alu instid0(VALU_DEP_1) | instskip(SKIP_1) | instid1(VALU_DEP_1)
	v_add3_u32 v123, v123, v24, v25
	s_waitcnt lgkmcnt(1)
	v_add3_u32 v123, v123, v20, v21
	s_waitcnt lgkmcnt(0)
	s_delay_alu instid0(VALU_DEP_1) | instskip(NEXT) | instid1(VALU_DEP_1)
	v_add3_u32 v23, v123, v22, v23
	v_mov_b32_dpp v123, v23 row_shr:1 row_mask:0xf bank_mask:0xf
	s_delay_alu instid0(VALU_DEP_1) | instskip(NEXT) | instid1(VALU_DEP_1)
	v_cndmask_b32_e64 v123, v123, 0, s0
	v_add_nc_u32_e32 v23, v123, v23
	s_delay_alu instid0(VALU_DEP_1) | instskip(NEXT) | instid1(VALU_DEP_1)
	v_mov_b32_dpp v123, v23 row_shr:2 row_mask:0xf bank_mask:0xf
	v_cndmask_b32_e64 v123, 0, v123, s1
	s_delay_alu instid0(VALU_DEP_1) | instskip(NEXT) | instid1(VALU_DEP_1)
	v_add_nc_u32_e32 v23, v23, v123
	v_mov_b32_dpp v123, v23 row_shr:4 row_mask:0xf bank_mask:0xf
	s_delay_alu instid0(VALU_DEP_1) | instskip(NEXT) | instid1(VALU_DEP_1)
	v_cndmask_b32_e64 v123, 0, v123, s8
	v_add_nc_u32_e32 v23, v23, v123
	s_delay_alu instid0(VALU_DEP_1) | instskip(NEXT) | instid1(VALU_DEP_1)
	v_mov_b32_dpp v123, v23 row_shr:8 row_mask:0xf bank_mask:0xf
	v_cndmask_b32_e64 v123, 0, v123, s9
	s_delay_alu instid0(VALU_DEP_1) | instskip(SKIP_3) | instid1(VALU_DEP_1)
	v_add_nc_u32_e32 v23, v23, v123
	ds_swizzle_b32 v123, v23 offset:swizzle(BROADCAST,32,15)
	s_waitcnt lgkmcnt(0)
	v_cndmask_b32_e64 v123, v123, 0, s10
	v_add_nc_u32_e32 v23, v23, v123
	s_and_saveexec_b32 s16, s3
	s_cbranch_execz .LBB298_98
; %bb.97:                               ;   in Loop: Header=BB298_66 Depth=2
	ds_store_b32 v38, v23 offset:1024
.LBB298_98:                             ;   in Loop: Header=BB298_66 Depth=2
	s_or_b32 exec_lo, exec_lo, s16
	s_waitcnt lgkmcnt(0)
	s_barrier
	buffer_gl0_inv
	s_and_saveexec_b32 s16, s4
	s_cbranch_execz .LBB298_100
; %bb.99:                               ;   in Loop: Header=BB298_66 Depth=2
	v_add_nc_u32_e32 v123, v46, v48
	ds_load_b32 v124, v123 offset:1024
	s_waitcnt lgkmcnt(0)
	v_mov_b32_dpp v125, v124 row_shr:1 row_mask:0xf bank_mask:0xf
	s_delay_alu instid0(VALU_DEP_1) | instskip(NEXT) | instid1(VALU_DEP_1)
	v_cndmask_b32_e64 v125, v125, 0, s12
	v_add_nc_u32_e32 v124, v125, v124
	s_delay_alu instid0(VALU_DEP_1) | instskip(NEXT) | instid1(VALU_DEP_1)
	v_mov_b32_dpp v125, v124 row_shr:2 row_mask:0xf bank_mask:0xf
	v_cndmask_b32_e64 v125, 0, v125, s13
	s_delay_alu instid0(VALU_DEP_1) | instskip(NEXT) | instid1(VALU_DEP_1)
	v_add_nc_u32_e32 v124, v124, v125
	v_mov_b32_dpp v125, v124 row_shr:4 row_mask:0xf bank_mask:0xf
	s_delay_alu instid0(VALU_DEP_1) | instskip(NEXT) | instid1(VALU_DEP_1)
	v_cndmask_b32_e64 v125, 0, v125, s14
	v_add_nc_u32_e32 v124, v124, v125
	ds_store_b32 v123, v124 offset:1024
.LBB298_100:                            ;   in Loop: Header=BB298_66 Depth=2
	s_or_b32 exec_lo, exec_lo, s16
	v_mov_b32_e32 v123, 0
	s_waitcnt lgkmcnt(0)
	s_barrier
	buffer_gl0_inv
	s_and_saveexec_b32 s16, s5
	s_cbranch_execz .LBB298_102
; %bb.101:                              ;   in Loop: Header=BB298_66 Depth=2
	ds_load_b32 v123, v38 offset:1020
.LBB298_102:                            ;   in Loop: Header=BB298_66 Depth=2
	s_or_b32 exec_lo, exec_lo, s16
	s_waitcnt lgkmcnt(0)
	v_add_nc_u32_e32 v23, v123, v23
	ds_bpermute_b32 v23, v69, v23
	s_waitcnt lgkmcnt(0)
	v_cndmask_b32_e64 v23, v23, v123, s11
	s_delay_alu instid0(VALU_DEP_1) | instskip(NEXT) | instid1(VALU_DEP_1)
	v_cndmask_b32_e64 v23, v23, 0, s6
	v_add_nc_u32_e32 v122, v23, v122
	s_delay_alu instid0(VALU_DEP_1) | instskip(NEXT) | instid1(VALU_DEP_1)
	v_add_nc_u32_e32 v26, v122, v26
	v_add_nc_u32_e32 v27, v26, v27
	s_delay_alu instid0(VALU_DEP_1) | instskip(NEXT) | instid1(VALU_DEP_1)
	v_add_nc_u32_e32 v24, v27, v24
	;; [unrolled: 3-line block ×3, first 2 shown]
	v_add_nc_u32_e32 v21, v20, v21
	s_delay_alu instid0(VALU_DEP_1)
	v_add_nc_u32_e32 v22, v21, v22
	ds_store_b32 v46, v23 offset:1056
	ds_store_2addr_b32 v47, v122, v26 offset0:1 offset1:2
	ds_store_2addr_b32 v47, v27, v24 offset0:3 offset1:4
	;; [unrolled: 1-line block ×4, first 2 shown]
	v_mov_b32_e32 v22, 0x800
	s_waitcnt lgkmcnt(0)
	s_barrier
	buffer_gl0_inv
	ds_load_b32 v20, v98
	ds_load_b32 v21, v102
	;; [unrolled: 1-line block ×8, first 2 shown]
	ds_load_b32 v27, v46 offset:1056
	s_and_saveexec_b32 s16, s7
	s_cbranch_execz .LBB298_104
; %bb.103:                              ;   in Loop: Header=BB298_66 Depth=2
	ds_load_b32 v22, v49 offset:1056
.LBB298_104:                            ;   in Loop: Header=BB298_66 Depth=2
	s_or_b32 exec_lo, exec_lo, s16
	s_waitcnt lgkmcnt(0)
	s_barrier
	buffer_gl0_inv
	s_and_saveexec_b32 s16, s2
	s_cbranch_execz .LBB298_106
; %bb.105:                              ;   in Loop: Header=BB298_66 Depth=2
	ds_load_b32 v94, v28
	s_waitcnt lgkmcnt(0)
	v_sub_nc_u32_e32 v27, v94, v27
	ds_store_b32 v28, v27
.LBB298_106:                            ;   in Loop: Header=BB298_66 Depth=2
	s_or_b32 exec_lo, exec_lo, s16
	v_add_nc_u32_e32 v98, v26, v92
	v_add3_u32 v94, v96, v95, v20
	v_add3_u32 v92, v100, v99, v21
	;; [unrolled: 1-line block ×7, first 2 shown]
	v_cmp_lt_u32_e64 s21, v1, v2
	ds_store_b8 v98, v91 offset:1024
	ds_store_b8 v94, v93 offset:1024
	;; [unrolled: 1-line block ×8, first 2 shown]
	s_waitcnt lgkmcnt(0)
	s_barrier
	buffer_gl0_inv
	s_and_saveexec_b32 s16, s21
	s_cbranch_execz .LBB298_114
; %bb.107:                              ;   in Loop: Header=BB298_66 Depth=2
	ds_load_u8 v20, v1 offset:1024
	s_waitcnt lgkmcnt(0)
	v_and_b32_e32 v21, 0xff, v20
	v_xor_b32_e32 v20, 0x7f, v20
	s_delay_alu instid0(VALU_DEP_2) | instskip(NEXT) | instid1(VALU_DEP_1)
	v_lshrrev_b32_e32 v21, s30, v21
	v_and_b32_e32 v21, s31, v21
	s_delay_alu instid0(VALU_DEP_1)
	v_lshlrev_b32_e32 v21, 2, v21
	ds_load_b32 v21, v21
	s_waitcnt lgkmcnt(0)
	v_add_nc_u32_e32 v21, v21, v1
	global_store_b8 v21, v20, s[38:39]
	s_or_b32 exec_lo, exec_lo, s16
	v_cmp_lt_u32_e64 s22, v29, v2
	s_delay_alu instid0(VALU_DEP_1)
	s_and_saveexec_b32 s16, s22
	s_cbranch_execnz .LBB298_115
.LBB298_108:                            ;   in Loop: Header=BB298_66 Depth=2
	s_or_b32 exec_lo, exec_lo, s16
	v_cmp_lt_u32_e64 s20, v30, v2
	s_delay_alu instid0(VALU_DEP_1)
	s_and_saveexec_b32 s16, s20
	s_cbranch_execz .LBB298_116
.LBB298_109:                            ;   in Loop: Header=BB298_66 Depth=2
	ds_load_u8 v20, v35 offset:512
	s_waitcnt lgkmcnt(0)
	v_and_b32_e32 v21, 0xff, v20
	v_xor_b32_e32 v20, 0x7f, v20
	s_delay_alu instid0(VALU_DEP_2) | instskip(NEXT) | instid1(VALU_DEP_1)
	v_lshrrev_b32_e32 v21, s30, v21
	v_and_b32_e32 v21, s31, v21
	s_delay_alu instid0(VALU_DEP_1)
	v_lshlrev_b32_e32 v21, 2, v21
	ds_load_b32 v21, v21
	s_waitcnt lgkmcnt(0)
	v_add_nc_u32_e32 v21, v21, v30
	global_store_b8 v21, v20, s[38:39]
	s_or_b32 exec_lo, exec_lo, s16
	v_cmp_lt_u32_e64 s19, v31, v2
	s_delay_alu instid0(VALU_DEP_1)
	s_and_saveexec_b32 s16, s19
	s_cbranch_execnz .LBB298_117
.LBB298_110:                            ;   in Loop: Header=BB298_66 Depth=2
	s_or_b32 exec_lo, exec_lo, s16
	v_cmp_lt_u32_e64 s18, v35, v2
	s_delay_alu instid0(VALU_DEP_1)
	s_and_saveexec_b32 s16, s18
	s_cbranch_execz .LBB298_118
.LBB298_111:                            ;   in Loop: Header=BB298_66 Depth=2
	ds_load_u8 v20, v35 offset:1024
	s_waitcnt lgkmcnt(0)
	v_and_b32_e32 v21, 0xff, v20
	v_xor_b32_e32 v20, 0x7f, v20
	s_delay_alu instid0(VALU_DEP_2) | instskip(NEXT) | instid1(VALU_DEP_1)
	v_lshrrev_b32_e32 v21, s30, v21
	v_and_b32_e32 v21, s31, v21
	s_delay_alu instid0(VALU_DEP_1)
	v_lshlrev_b32_e32 v21, 2, v21
	ds_load_b32 v21, v21
	s_waitcnt lgkmcnt(0)
	v_add_nc_u32_e32 v21, v21, v35
	global_store_b8 v21, v20, s[38:39]
	s_or_b32 exec_lo, exec_lo, s16
	v_cmp_lt_u32_e64 s17, v36, v2
	s_delay_alu instid0(VALU_DEP_1)
	s_and_saveexec_b32 s16, s17
	s_cbranch_execnz .LBB298_119
.LBB298_112:                            ;   in Loop: Header=BB298_66 Depth=2
	s_or_b32 exec_lo, exec_lo, s16
	v_cmp_lt_u32_e64 s16, v37, v2
	s_delay_alu instid0(VALU_DEP_1)
	s_and_saveexec_b32 s23, s16
	s_cbranch_execz .LBB298_120
.LBB298_113:                            ;   in Loop: Header=BB298_66 Depth=2
	ds_load_u8 v20, v35 offset:1536
	s_waitcnt lgkmcnt(0)
	v_and_b32_e32 v21, 0xff, v20
	v_xor_b32_e32 v20, 0x7f, v20
	s_delay_alu instid0(VALU_DEP_2) | instskip(NEXT) | instid1(VALU_DEP_1)
	v_lshrrev_b32_e32 v21, s30, v21
	v_and_b32_e32 v21, s31, v21
	s_delay_alu instid0(VALU_DEP_1)
	v_lshlrev_b32_e32 v21, 2, v21
	ds_load_b32 v21, v21
	s_waitcnt lgkmcnt(0)
	v_add_nc_u32_e32 v21, v21, v37
	global_store_b8 v21, v20, s[38:39]
	s_or_b32 exec_lo, exec_lo, s23
	v_cmp_lt_u32_e32 vcc_lo, v39, v2
	s_and_saveexec_b32 s23, vcc_lo
	s_cbranch_execnz .LBB298_121
	s_branch .LBB298_122
.LBB298_114:                            ;   in Loop: Header=BB298_66 Depth=2
	s_or_b32 exec_lo, exec_lo, s16
	v_cmp_lt_u32_e64 s22, v29, v2
	s_delay_alu instid0(VALU_DEP_1)
	s_and_saveexec_b32 s16, s22
	s_cbranch_execz .LBB298_108
.LBB298_115:                            ;   in Loop: Header=BB298_66 Depth=2
	ds_load_u8 v20, v35 offset:256
	s_waitcnt lgkmcnt(0)
	v_and_b32_e32 v21, 0xff, v20
	v_xor_b32_e32 v20, 0x7f, v20
	s_delay_alu instid0(VALU_DEP_2) | instskip(NEXT) | instid1(VALU_DEP_1)
	v_lshrrev_b32_e32 v21, s30, v21
	v_and_b32_e32 v21, s31, v21
	s_delay_alu instid0(VALU_DEP_1)
	v_lshlrev_b32_e32 v21, 2, v21
	ds_load_b32 v21, v21
	s_waitcnt lgkmcnt(0)
	v_add_nc_u32_e32 v21, v21, v29
	global_store_b8 v21, v20, s[38:39]
	s_or_b32 exec_lo, exec_lo, s16
	v_cmp_lt_u32_e64 s20, v30, v2
	s_delay_alu instid0(VALU_DEP_1)
	s_and_saveexec_b32 s16, s20
	s_cbranch_execnz .LBB298_109
.LBB298_116:                            ;   in Loop: Header=BB298_66 Depth=2
	s_or_b32 exec_lo, exec_lo, s16
	v_cmp_lt_u32_e64 s19, v31, v2
	s_delay_alu instid0(VALU_DEP_1)
	s_and_saveexec_b32 s16, s19
	s_cbranch_execz .LBB298_110
.LBB298_117:                            ;   in Loop: Header=BB298_66 Depth=2
	ds_load_u8 v20, v35 offset:768
	s_waitcnt lgkmcnt(0)
	v_and_b32_e32 v21, 0xff, v20
	v_xor_b32_e32 v20, 0x7f, v20
	s_delay_alu instid0(VALU_DEP_2) | instskip(NEXT) | instid1(VALU_DEP_1)
	v_lshrrev_b32_e32 v21, s30, v21
	v_and_b32_e32 v21, s31, v21
	s_delay_alu instid0(VALU_DEP_1)
	v_lshlrev_b32_e32 v21, 2, v21
	ds_load_b32 v21, v21
	s_waitcnt lgkmcnt(0)
	v_add_nc_u32_e32 v21, v21, v31
	global_store_b8 v21, v20, s[38:39]
	s_or_b32 exec_lo, exec_lo, s16
	v_cmp_lt_u32_e64 s18, v35, v2
	s_delay_alu instid0(VALU_DEP_1)
	s_and_saveexec_b32 s16, s18
	s_cbranch_execnz .LBB298_111
.LBB298_118:                            ;   in Loop: Header=BB298_66 Depth=2
	s_or_b32 exec_lo, exec_lo, s16
	v_cmp_lt_u32_e64 s17, v36, v2
	s_delay_alu instid0(VALU_DEP_1)
	s_and_saveexec_b32 s16, s17
	s_cbranch_execz .LBB298_112
.LBB298_119:                            ;   in Loop: Header=BB298_66 Depth=2
	ds_load_u8 v20, v35 offset:1280
	s_waitcnt lgkmcnt(0)
	v_and_b32_e32 v21, 0xff, v20
	v_xor_b32_e32 v20, 0x7f, v20
	s_delay_alu instid0(VALU_DEP_2) | instskip(NEXT) | instid1(VALU_DEP_1)
	v_lshrrev_b32_e32 v21, s30, v21
	v_and_b32_e32 v21, s31, v21
	s_delay_alu instid0(VALU_DEP_1)
	v_lshlrev_b32_e32 v21, 2, v21
	ds_load_b32 v21, v21
	s_waitcnt lgkmcnt(0)
	v_add_nc_u32_e32 v21, v21, v36
	global_store_b8 v21, v20, s[38:39]
	s_or_b32 exec_lo, exec_lo, s16
	v_cmp_lt_u32_e64 s16, v37, v2
	s_delay_alu instid0(VALU_DEP_1)
	s_and_saveexec_b32 s23, s16
	s_cbranch_execnz .LBB298_113
.LBB298_120:                            ;   in Loop: Header=BB298_66 Depth=2
	s_or_b32 exec_lo, exec_lo, s23
	v_cmp_lt_u32_e32 vcc_lo, v39, v2
	s_and_saveexec_b32 s23, vcc_lo
	s_cbranch_execz .LBB298_122
.LBB298_121:                            ;   in Loop: Header=BB298_66 Depth=2
	ds_load_u8 v20, v35 offset:1792
	s_waitcnt lgkmcnt(0)
	v_and_b32_e32 v21, 0xff, v20
	v_xor_b32_e32 v20, 0x7f, v20
	s_delay_alu instid0(VALU_DEP_2) | instskip(NEXT) | instid1(VALU_DEP_1)
	v_lshrrev_b32_e32 v21, s30, v21
	v_and_b32_e32 v21, s31, v21
	s_delay_alu instid0(VALU_DEP_1)
	v_lshlrev_b32_e32 v21, 2, v21
	ds_load_b32 v21, v21
	s_waitcnt lgkmcnt(0)
	v_add_nc_u32_e32 v21, v21, v39
	global_store_b8 v21, v20, s[38:39]
.LBB298_122:                            ;   in Loop: Header=BB298_66 Depth=2
	s_or_b32 exec_lo, exec_lo, s23
	s_lshl_b64 s[52:53], s[24:25], 3
	s_delay_alu instid0(SALU_CYCLE_1) | instskip(NEXT) | instid1(VALU_DEP_1)
	v_add_co_u32 v20, s23, v71, s52
	v_add_co_ci_u32_e64 v21, s23, s53, v72, s23
	v_cmp_lt_u32_e64 s23, v70, v2
	s_delay_alu instid0(VALU_DEP_1) | instskip(NEXT) | instid1(SALU_CYCLE_1)
	s_and_saveexec_b32 s24, s23
	s_xor_b32 s23, exec_lo, s24
	s_cbranch_execz .LBB298_138
; %bb.123:                              ;   in Loop: Header=BB298_66 Depth=2
	global_load_b64 v[18:19], v[20:21], off
	s_or_b32 exec_lo, exec_lo, s23
	s_delay_alu instid0(SALU_CYCLE_1)
	s_mov_b32 s24, exec_lo
	v_cmpx_lt_u32_e64 v73, v2
	s_cbranch_execnz .LBB298_139
.LBB298_124:                            ;   in Loop: Header=BB298_66 Depth=2
	s_or_b32 exec_lo, exec_lo, s24
	s_delay_alu instid0(SALU_CYCLE_1)
	s_mov_b32 s24, exec_lo
	v_cmpx_lt_u32_e64 v74, v2
	s_cbranch_execz .LBB298_140
.LBB298_125:                            ;   in Loop: Header=BB298_66 Depth=2
	global_load_b64 v[14:15], v[20:21], off offset:512
	s_or_b32 exec_lo, exec_lo, s24
	s_delay_alu instid0(SALU_CYCLE_1)
	s_mov_b32 s24, exec_lo
	v_cmpx_lt_u32_e64 v75, v2
	s_cbranch_execnz .LBB298_141
.LBB298_126:                            ;   in Loop: Header=BB298_66 Depth=2
	s_or_b32 exec_lo, exec_lo, s24
	s_delay_alu instid0(SALU_CYCLE_1)
	s_mov_b32 s24, exec_lo
	v_cmpx_lt_u32_e64 v76, v2
	s_cbranch_execz .LBB298_142
.LBB298_127:                            ;   in Loop: Header=BB298_66 Depth=2
	global_load_b64 v[10:11], v[20:21], off offset:1024
	s_or_b32 exec_lo, exec_lo, s24
	s_delay_alu instid0(SALU_CYCLE_1)
	s_mov_b32 s24, exec_lo
	v_cmpx_lt_u32_e64 v77, v2
	s_cbranch_execnz .LBB298_143
.LBB298_128:                            ;   in Loop: Header=BB298_66 Depth=2
	s_or_b32 exec_lo, exec_lo, s24
	s_delay_alu instid0(SALU_CYCLE_1)
	s_mov_b32 s24, exec_lo
	v_cmpx_lt_u32_e64 v78, v2
	s_cbranch_execz .LBB298_144
.LBB298_129:                            ;   in Loop: Header=BB298_66 Depth=2
	global_load_b64 v[6:7], v[20:21], off offset:1536
	s_or_b32 exec_lo, exec_lo, s24
	s_delay_alu instid0(SALU_CYCLE_1)
	s_mov_b32 s24, exec_lo
	v_cmpx_lt_u32_e64 v79, v2
	s_cbranch_execnz .LBB298_145
.LBB298_130:                            ;   in Loop: Header=BB298_66 Depth=2
	s_or_b32 exec_lo, exec_lo, s24
	s_and_saveexec_b32 s23, s21
	s_cbranch_execz .LBB298_146
.LBB298_131:                            ;   in Loop: Header=BB298_66 Depth=2
	ds_load_u8 v2, v1 offset:1024
	s_waitcnt lgkmcnt(0)
	v_lshrrev_b32_e32 v2, s30, v2
	s_delay_alu instid0(VALU_DEP_1)
	v_and_b32_e32 v90, s31, v2
	s_or_b32 exec_lo, exec_lo, s23
	s_and_saveexec_b32 s23, s22
	s_cbranch_execnz .LBB298_147
.LBB298_132:                            ;   in Loop: Header=BB298_66 Depth=2
	s_or_b32 exec_lo, exec_lo, s23
	s_and_saveexec_b32 s23, s20
	s_cbranch_execz .LBB298_148
.LBB298_133:                            ;   in Loop: Header=BB298_66 Depth=2
	ds_load_u8 v2, v35 offset:512
	s_waitcnt lgkmcnt(0)
	v_lshrrev_b32_e32 v2, s30, v2
	s_delay_alu instid0(VALU_DEP_1)
	v_and_b32_e32 v88, s31, v2
	s_or_b32 exec_lo, exec_lo, s23
	s_and_saveexec_b32 s23, s19
	s_cbranch_execnz .LBB298_149
.LBB298_134:                            ;   in Loop: Header=BB298_66 Depth=2
	s_or_b32 exec_lo, exec_lo, s23
	s_and_saveexec_b32 s23, s18
	s_cbranch_execz .LBB298_150
.LBB298_135:                            ;   in Loop: Header=BB298_66 Depth=2
	ds_load_u8 v2, v35 offset:1024
	s_waitcnt lgkmcnt(0)
	v_lshrrev_b32_e32 v2, s30, v2
	s_delay_alu instid0(VALU_DEP_1)
	v_and_b32_e32 v86, s31, v2
	s_or_b32 exec_lo, exec_lo, s23
	s_and_saveexec_b32 s23, s17
	s_cbranch_execnz .LBB298_151
.LBB298_136:                            ;   in Loop: Header=BB298_66 Depth=2
	s_or_b32 exec_lo, exec_lo, s23
	s_and_saveexec_b32 s23, s16
	s_cbranch_execz .LBB298_152
.LBB298_137:                            ;   in Loop: Header=BB298_66 Depth=2
	ds_load_u8 v2, v35 offset:1536
	s_waitcnt lgkmcnt(0)
	v_lshrrev_b32_e32 v2, s30, v2
	s_delay_alu instid0(VALU_DEP_1)
	v_and_b32_e32 v84, s31, v2
	s_or_b32 exec_lo, exec_lo, s23
	s_and_saveexec_b32 s23, vcc_lo
	s_cbranch_execnz .LBB298_153
	s_branch .LBB298_154
.LBB298_138:                            ;   in Loop: Header=BB298_66 Depth=2
	s_or_b32 exec_lo, exec_lo, s23
	s_delay_alu instid0(SALU_CYCLE_1)
	s_mov_b32 s24, exec_lo
	v_cmpx_lt_u32_e64 v73, v2
	s_cbranch_execz .LBB298_124
.LBB298_139:                            ;   in Loop: Header=BB298_66 Depth=2
	global_load_b64 v[16:17], v[20:21], off offset:256
	s_or_b32 exec_lo, exec_lo, s24
	s_delay_alu instid0(SALU_CYCLE_1)
	s_mov_b32 s24, exec_lo
	v_cmpx_lt_u32_e64 v74, v2
	s_cbranch_execnz .LBB298_125
.LBB298_140:                            ;   in Loop: Header=BB298_66 Depth=2
	s_or_b32 exec_lo, exec_lo, s24
	s_delay_alu instid0(SALU_CYCLE_1)
	s_mov_b32 s24, exec_lo
	v_cmpx_lt_u32_e64 v75, v2
	s_cbranch_execz .LBB298_126
.LBB298_141:                            ;   in Loop: Header=BB298_66 Depth=2
	global_load_b64 v[12:13], v[20:21], off offset:768
	s_or_b32 exec_lo, exec_lo, s24
	s_delay_alu instid0(SALU_CYCLE_1)
	s_mov_b32 s24, exec_lo
	v_cmpx_lt_u32_e64 v76, v2
	s_cbranch_execnz .LBB298_127
.LBB298_142:                            ;   in Loop: Header=BB298_66 Depth=2
	s_or_b32 exec_lo, exec_lo, s24
	s_delay_alu instid0(SALU_CYCLE_1)
	s_mov_b32 s24, exec_lo
	v_cmpx_lt_u32_e64 v77, v2
	s_cbranch_execz .LBB298_128
.LBB298_143:                            ;   in Loop: Header=BB298_66 Depth=2
	global_load_b64 v[8:9], v[20:21], off offset:1280
	s_or_b32 exec_lo, exec_lo, s24
	s_delay_alu instid0(SALU_CYCLE_1)
	s_mov_b32 s24, exec_lo
	v_cmpx_lt_u32_e64 v78, v2
	s_cbranch_execnz .LBB298_129
.LBB298_144:                            ;   in Loop: Header=BB298_66 Depth=2
	s_or_b32 exec_lo, exec_lo, s24
	s_delay_alu instid0(SALU_CYCLE_1)
	s_mov_b32 s24, exec_lo
	v_cmpx_lt_u32_e64 v79, v2
	s_cbranch_execz .LBB298_130
.LBB298_145:                            ;   in Loop: Header=BB298_66 Depth=2
	global_load_b64 v[4:5], v[20:21], off offset:1792
	s_or_b32 exec_lo, exec_lo, s24
	s_and_saveexec_b32 s23, s21
	s_cbranch_execnz .LBB298_131
.LBB298_146:                            ;   in Loop: Header=BB298_66 Depth=2
	s_or_b32 exec_lo, exec_lo, s23
	s_and_saveexec_b32 s23, s22
	s_cbranch_execz .LBB298_132
.LBB298_147:                            ;   in Loop: Header=BB298_66 Depth=2
	ds_load_u8 v2, v35 offset:256
	s_waitcnt lgkmcnt(0)
	v_lshrrev_b32_e32 v2, s30, v2
	s_delay_alu instid0(VALU_DEP_1)
	v_and_b32_e32 v89, s31, v2
	s_or_b32 exec_lo, exec_lo, s23
	s_and_saveexec_b32 s23, s20
	s_cbranch_execnz .LBB298_133
.LBB298_148:                            ;   in Loop: Header=BB298_66 Depth=2
	s_or_b32 exec_lo, exec_lo, s23
	s_and_saveexec_b32 s23, s19
	s_cbranch_execz .LBB298_134
.LBB298_149:                            ;   in Loop: Header=BB298_66 Depth=2
	ds_load_u8 v2, v35 offset:768
	s_waitcnt lgkmcnt(0)
	v_lshrrev_b32_e32 v2, s30, v2
	s_delay_alu instid0(VALU_DEP_1)
	v_and_b32_e32 v87, s31, v2
	s_or_b32 exec_lo, exec_lo, s23
	s_and_saveexec_b32 s23, s18
	s_cbranch_execnz .LBB298_135
.LBB298_150:                            ;   in Loop: Header=BB298_66 Depth=2
	s_or_b32 exec_lo, exec_lo, s23
	s_and_saveexec_b32 s23, s17
	s_cbranch_execz .LBB298_136
.LBB298_151:                            ;   in Loop: Header=BB298_66 Depth=2
	ds_load_u8 v2, v35 offset:1280
	s_waitcnt lgkmcnt(0)
	v_lshrrev_b32_e32 v2, s30, v2
	s_delay_alu instid0(VALU_DEP_1)
	v_and_b32_e32 v85, s31, v2
	s_or_b32 exec_lo, exec_lo, s23
	s_and_saveexec_b32 s23, s16
	s_cbranch_execnz .LBB298_137
.LBB298_152:                            ;   in Loop: Header=BB298_66 Depth=2
	s_or_b32 exec_lo, exec_lo, s23
	s_and_saveexec_b32 s23, vcc_lo
	s_cbranch_execz .LBB298_154
.LBB298_153:                            ;   in Loop: Header=BB298_66 Depth=2
	ds_load_u8 v2, v35 offset:1792
	s_waitcnt lgkmcnt(0)
	v_lshrrev_b32_e32 v2, s30, v2
	s_delay_alu instid0(VALU_DEP_1)
	v_and_b32_e32 v83, s31, v2
.LBB298_154:                            ;   in Loop: Header=BB298_66 Depth=2
	s_or_b32 exec_lo, exec_lo, s23
	v_lshlrev_b32_e32 v2, 3, v98
	v_lshlrev_b32_e32 v20, 3, v94
	v_lshlrev_b32_e32 v21, 3, v92
	s_waitcnt vmcnt(0)
	s_waitcnt_vscnt null, 0x0
	s_barrier
	buffer_gl0_inv
	ds_store_b64 v2, v[18:19] offset:1024
	ds_store_b64 v20, v[16:17] offset:1024
	;; [unrolled: 1-line block ×3, first 2 shown]
	v_lshlrev_b32_e32 v2, 3, v27
	v_lshlrev_b32_e32 v20, 3, v26
	;; [unrolled: 1-line block ×5, first 2 shown]
	ds_store_b64 v2, v[12:13] offset:1024
	ds_store_b64 v20, v[10:11] offset:1024
	;; [unrolled: 1-line block ×5, first 2 shown]
	s_waitcnt lgkmcnt(0)
	s_barrier
	buffer_gl0_inv
	s_and_saveexec_b32 s23, s21
	s_cbranch_execz .LBB298_162
; %bb.155:                              ;   in Loop: Header=BB298_66 Depth=2
	v_lshlrev_b32_e32 v2, 2, v90
	v_add_nc_u32_e32 v20, v1, v52
	ds_load_b32 v2, v2
	ds_load_b64 v[20:21], v20 offset:1024
	s_waitcnt lgkmcnt(1)
	v_add_nc_u32_e32 v2, v2, v1
	s_delay_alu instid0(VALU_DEP_1) | instskip(NEXT) | instid1(VALU_DEP_1)
	v_lshlrev_b64 v[23:24], 3, v[2:3]
	v_add_co_u32 v23, s21, s44, v23
	s_delay_alu instid0(VALU_DEP_1)
	v_add_co_ci_u32_e64 v24, s21, s45, v24, s21
	s_waitcnt lgkmcnt(0)
	global_store_b64 v[23:24], v[20:21], off
	s_or_b32 exec_lo, exec_lo, s23
	s_and_saveexec_b32 s23, s22
	s_cbranch_execnz .LBB298_163
.LBB298_156:                            ;   in Loop: Header=BB298_66 Depth=2
	s_or_b32 exec_lo, exec_lo, s23
	s_and_saveexec_b32 s21, s20
	s_cbranch_execz .LBB298_164
.LBB298_157:                            ;   in Loop: Header=BB298_66 Depth=2
	v_lshlrev_b32_e32 v2, 2, v88
	v_add_nc_u32_e32 v20, v35, v52
	ds_load_b32 v2, v2
	ds_load_b64 v[20:21], v20 offset:4096
	s_waitcnt lgkmcnt(1)
	v_add_nc_u32_e32 v2, v2, v30
	s_delay_alu instid0(VALU_DEP_1) | instskip(NEXT) | instid1(VALU_DEP_1)
	v_lshlrev_b64 v[23:24], 3, v[2:3]
	v_add_co_u32 v23, s20, s44, v23
	s_delay_alu instid0(VALU_DEP_1)
	v_add_co_ci_u32_e64 v24, s20, s45, v24, s20
	s_waitcnt lgkmcnt(0)
	global_store_b64 v[23:24], v[20:21], off
	s_or_b32 exec_lo, exec_lo, s21
	s_and_saveexec_b32 s20, s19
	s_cbranch_execnz .LBB298_165
.LBB298_158:                            ;   in Loop: Header=BB298_66 Depth=2
	s_or_b32 exec_lo, exec_lo, s20
	s_and_saveexec_b32 s19, s18
	s_cbranch_execz .LBB298_166
.LBB298_159:                            ;   in Loop: Header=BB298_66 Depth=2
	v_lshlrev_b32_e32 v2, 2, v86
	v_add_nc_u32_e32 v20, v35, v52
	ds_load_b32 v2, v2
	ds_load_b64 v[20:21], v20 offset:8192
	s_waitcnt lgkmcnt(1)
	v_add_nc_u32_e32 v2, v2, v35
	s_delay_alu instid0(VALU_DEP_1) | instskip(NEXT) | instid1(VALU_DEP_1)
	v_lshlrev_b64 v[23:24], 3, v[2:3]
	v_add_co_u32 v23, s18, s44, v23
	s_delay_alu instid0(VALU_DEP_1)
	v_add_co_ci_u32_e64 v24, s18, s45, v24, s18
	s_waitcnt lgkmcnt(0)
	global_store_b64 v[23:24], v[20:21], off
	s_or_b32 exec_lo, exec_lo, s19
	s_and_saveexec_b32 s18, s17
	s_cbranch_execnz .LBB298_167
.LBB298_160:                            ;   in Loop: Header=BB298_66 Depth=2
	s_or_b32 exec_lo, exec_lo, s18
	s_and_saveexec_b32 s17, s16
	s_cbranch_execz .LBB298_168
.LBB298_161:                            ;   in Loop: Header=BB298_66 Depth=2
	v_lshlrev_b32_e32 v2, 2, v84
	v_add_nc_u32_e32 v20, v35, v52
	ds_load_b32 v2, v2
	ds_load_b64 v[20:21], v20 offset:12288
	s_waitcnt lgkmcnt(1)
	v_add_nc_u32_e32 v2, v2, v37
	s_delay_alu instid0(VALU_DEP_1) | instskip(NEXT) | instid1(VALU_DEP_1)
	v_lshlrev_b64 v[23:24], 3, v[2:3]
	v_add_co_u32 v23, s16, s44, v23
	s_delay_alu instid0(VALU_DEP_1)
	v_add_co_ci_u32_e64 v24, s16, s45, v24, s16
	s_waitcnt lgkmcnt(0)
	global_store_b64 v[23:24], v[20:21], off
	s_or_b32 exec_lo, exec_lo, s17
	s_and_saveexec_b32 s16, vcc_lo
	s_cbranch_execnz .LBB298_169
	s_branch .LBB298_170
.LBB298_162:                            ;   in Loop: Header=BB298_66 Depth=2
	s_or_b32 exec_lo, exec_lo, s23
	s_and_saveexec_b32 s23, s22
	s_cbranch_execz .LBB298_156
.LBB298_163:                            ;   in Loop: Header=BB298_66 Depth=2
	v_lshlrev_b32_e32 v2, 2, v89
	v_add_nc_u32_e32 v20, v35, v52
	ds_load_b32 v2, v2
	ds_load_b64 v[20:21], v20 offset:2048
	s_waitcnt lgkmcnt(1)
	v_add_nc_u32_e32 v2, v2, v29
	s_delay_alu instid0(VALU_DEP_1) | instskip(NEXT) | instid1(VALU_DEP_1)
	v_lshlrev_b64 v[23:24], 3, v[2:3]
	v_add_co_u32 v23, s21, s44, v23
	s_delay_alu instid0(VALU_DEP_1)
	v_add_co_ci_u32_e64 v24, s21, s45, v24, s21
	s_waitcnt lgkmcnt(0)
	global_store_b64 v[23:24], v[20:21], off
	s_or_b32 exec_lo, exec_lo, s23
	s_and_saveexec_b32 s21, s20
	s_cbranch_execnz .LBB298_157
.LBB298_164:                            ;   in Loop: Header=BB298_66 Depth=2
	s_or_b32 exec_lo, exec_lo, s21
	s_and_saveexec_b32 s20, s19
	s_cbranch_execz .LBB298_158
.LBB298_165:                            ;   in Loop: Header=BB298_66 Depth=2
	v_lshlrev_b32_e32 v2, 2, v87
	v_add_nc_u32_e32 v20, v35, v52
	ds_load_b32 v2, v2
	ds_load_b64 v[20:21], v20 offset:6144
	s_waitcnt lgkmcnt(1)
	v_add_nc_u32_e32 v2, v2, v31
	s_delay_alu instid0(VALU_DEP_1) | instskip(NEXT) | instid1(VALU_DEP_1)
	v_lshlrev_b64 v[23:24], 3, v[2:3]
	v_add_co_u32 v23, s19, s44, v23
	s_delay_alu instid0(VALU_DEP_1)
	v_add_co_ci_u32_e64 v24, s19, s45, v24, s19
	s_waitcnt lgkmcnt(0)
	global_store_b64 v[23:24], v[20:21], off
	s_or_b32 exec_lo, exec_lo, s20
	s_and_saveexec_b32 s19, s18
	s_cbranch_execnz .LBB298_159
.LBB298_166:                            ;   in Loop: Header=BB298_66 Depth=2
	s_or_b32 exec_lo, exec_lo, s19
	s_and_saveexec_b32 s18, s17
	s_cbranch_execz .LBB298_160
.LBB298_167:                            ;   in Loop: Header=BB298_66 Depth=2
	v_lshlrev_b32_e32 v2, 2, v85
	v_add_nc_u32_e32 v20, v35, v52
	ds_load_b32 v2, v2
	ds_load_b64 v[20:21], v20 offset:10240
	s_waitcnt lgkmcnt(1)
	v_add_nc_u32_e32 v2, v2, v36
	s_delay_alu instid0(VALU_DEP_1) | instskip(NEXT) | instid1(VALU_DEP_1)
	v_lshlrev_b64 v[23:24], 3, v[2:3]
	v_add_co_u32 v23, s17, s44, v23
	s_delay_alu instid0(VALU_DEP_1)
	v_add_co_ci_u32_e64 v24, s17, s45, v24, s17
	s_waitcnt lgkmcnt(0)
	global_store_b64 v[23:24], v[20:21], off
	s_or_b32 exec_lo, exec_lo, s18
	s_and_saveexec_b32 s17, s16
	s_cbranch_execnz .LBB298_161
.LBB298_168:                            ;   in Loop: Header=BB298_66 Depth=2
	s_or_b32 exec_lo, exec_lo, s17
	s_and_saveexec_b32 s16, vcc_lo
	s_cbranch_execz .LBB298_170
.LBB298_169:                            ;   in Loop: Header=BB298_66 Depth=2
	v_lshlrev_b32_e32 v2, 2, v83
	v_add_nc_u32_e32 v20, v35, v52
	ds_load_b32 v2, v2
	ds_load_b64 v[20:21], v20 offset:14336
	s_waitcnt lgkmcnt(1)
	v_add_nc_u32_e32 v2, v2, v39
	s_delay_alu instid0(VALU_DEP_1) | instskip(NEXT) | instid1(VALU_DEP_1)
	v_lshlrev_b64 v[23:24], 3, v[2:3]
	v_add_co_u32 v23, vcc_lo, s44, v23
	s_delay_alu instid0(VALU_DEP_2)
	v_add_co_ci_u32_e32 v24, vcc_lo, s45, v24, vcc_lo
	s_waitcnt lgkmcnt(0)
	global_store_b64 v[23:24], v[20:21], off
.LBB298_170:                            ;   in Loop: Header=BB298_66 Depth=2
	s_or_b32 exec_lo, exec_lo, s16
	s_waitcnt_vscnt null, 0x0
	s_barrier
	buffer_gl0_inv
	s_and_saveexec_b32 s16, s2
	s_cbranch_execz .LBB298_65
; %bb.171:                              ;   in Loop: Header=BB298_66 Depth=2
	ds_load_b32 v2, v28
	s_waitcnt lgkmcnt(0)
	v_add_nc_u32_e32 v2, v2, v22
	ds_store_b32 v28, v2
	s_branch .LBB298_65
.LBB298_172:                            ;   in Loop: Header=BB298_66 Depth=2
	s_or_b32 exec_lo, exec_lo, s16
	s_delay_alu instid0(SALU_CYCLE_1)
	s_mov_b32 s16, exec_lo
	v_cmpx_gt_u32_e64 s42, v73
	s_cbranch_execz .LBB298_72
.LBB298_173:                            ;   in Loop: Header=BB298_66 Depth=2
	global_load_u8 v93, v[20:21], off offset:32
	s_or_b32 exec_lo, exec_lo, s16
	s_delay_alu instid0(SALU_CYCLE_1)
	s_mov_b32 s16, exec_lo
	v_cmpx_gt_u32_e64 s42, v74
	s_cbranch_execnz .LBB298_73
.LBB298_174:                            ;   in Loop: Header=BB298_66 Depth=2
	s_or_b32 exec_lo, exec_lo, s16
	s_delay_alu instid0(SALU_CYCLE_1)
	s_mov_b32 s16, exec_lo
	v_cmpx_gt_u32_e64 s42, v75
	s_cbranch_execz .LBB298_74
.LBB298_175:                            ;   in Loop: Header=BB298_66 Depth=2
	global_load_u8 v26, v[20:21], off offset:96
	s_or_b32 exec_lo, exec_lo, s16
	s_delay_alu instid0(SALU_CYCLE_1)
	s_mov_b32 s16, exec_lo
	v_cmpx_gt_u32_e64 s42, v76
	s_cbranch_execnz .LBB298_75
.LBB298_176:                            ;   in Loop: Header=BB298_66 Depth=2
	s_or_b32 exec_lo, exec_lo, s16
	s_delay_alu instid0(SALU_CYCLE_1)
	s_mov_b32 s16, exec_lo
	v_cmpx_gt_u32_e64 s42, v77
	s_cbranch_execz .LBB298_76
.LBB298_177:                            ;   in Loop: Header=BB298_66 Depth=2
	global_load_u8 v24, v[20:21], off offset:160
	s_or_b32 exec_lo, exec_lo, s16
	s_delay_alu instid0(SALU_CYCLE_1)
	s_mov_b32 s16, exec_lo
	v_cmpx_gt_u32_e64 s42, v78
	s_cbranch_execnz .LBB298_77
	s_branch .LBB298_78
.LBB298_178:                            ;   in Loop: Header=BB298_12 Depth=1
	s_waitcnt lgkmcnt(0)
	s_mov_b32 s0, 0
	s_barrier
.LBB298_179:                            ;   in Loop: Header=BB298_12 Depth=1
	s_and_b32 vcc_lo, exec_lo, s0
	s_cbranch_vccz .LBB298_345
; %bb.180:                              ;   in Loop: Header=BB298_12 Depth=1
	s_mov_b32 s0, s35
	s_mov_b32 s9, s27
	s_barrier
	buffer_gl0_inv
                                        ; implicit-def: $vgpr2
                                        ; implicit-def: $vgpr6
                                        ; implicit-def: $vgpr7
                                        ; implicit-def: $vgpr8
                                        ; implicit-def: $vgpr9
                                        ; implicit-def: $vgpr10
                                        ; implicit-def: $vgpr11
                                        ; implicit-def: $vgpr12
	s_branch .LBB298_182
.LBB298_181:                            ;   in Loop: Header=BB298_182 Depth=2
	s_or_b32 exec_lo, exec_lo, s8
	s_addk_i32 s0, 0xf800
	s_cmp_ge_u32 s1, s33
	s_mov_b32 s9, s1
	s_cbranch_scc1 .LBB298_220
.LBB298_182:                            ;   Parent Loop BB298_12 Depth=1
                                        ; =>  This Inner Loop Header: Depth=2
	s_add_i32 s1, s9, 0x800
	s_delay_alu instid0(SALU_CYCLE_1)
	s_cmp_gt_u32 s1, s33
	s_cbranch_scc1 .LBB298_185
; %bb.183:                              ;   in Loop: Header=BB298_182 Depth=2
	v_add_co_u32 v4, vcc_lo, v53, s9
	v_add_co_ci_u32_e32 v5, vcc_lo, 0, v54, vcc_lo
	s_mov_b32 s8, -1
	s_movk_i32 s12, 0x800
	s_clause 0x6
	global_load_u8 v20, v[4:5], off offset:1536
	global_load_u8 v19, v[4:5], off offset:1280
	;; [unrolled: 1-line block ×6, first 2 shown]
	global_load_u8 v14, v[4:5], off
	v_add_co_u32 v4, vcc_lo, 0x700, v4
	v_add_co_ci_u32_e32 v5, vcc_lo, 0, v5, vcc_lo
	s_cbranch_execz .LBB298_186
; %bb.184:                              ;   in Loop: Header=BB298_182 Depth=2
                                        ; implicit-def: $vgpr2
                                        ; implicit-def: $vgpr6
                                        ; implicit-def: $vgpr7
                                        ; implicit-def: $vgpr8
                                        ; implicit-def: $vgpr9
                                        ; implicit-def: $vgpr10
                                        ; implicit-def: $vgpr11
                                        ; implicit-def: $vgpr12
	v_mov_b32_e32 v13, s0
	s_and_saveexec_b32 s9, s8
	s_cbranch_execnz .LBB298_197
	s_branch .LBB298_198
.LBB298_185:                            ;   in Loop: Header=BB298_182 Depth=2
	s_mov_b32 s8, 0
                                        ; implicit-def: $sgpr12
                                        ; implicit-def: $vgpr14
                                        ; implicit-def: $vgpr15
                                        ; implicit-def: $vgpr16
                                        ; implicit-def: $vgpr17
                                        ; implicit-def: $vgpr18
                                        ; implicit-def: $vgpr19
                                        ; implicit-def: $vgpr20
                                        ; implicit-def: $vgpr4_vgpr5
.LBB298_186:                            ;   in Loop: Header=BB298_182 Depth=2
	s_add_u32 s10, s38, s9
	s_addc_u32 s11, s39, 0
	s_mov_b32 s12, exec_lo
	v_cmpx_gt_u32_e64 s0, v1
	s_cbranch_execz .LBB298_214
; %bb.187:                              ;   in Loop: Header=BB298_182 Depth=2
	v_add_co_u32 v4, s13, s10, v1
	s_delay_alu instid0(VALU_DEP_1) | instskip(SKIP_2) | instid1(SALU_CYCLE_1)
	v_add_co_ci_u32_e64 v5, null, s11, 0, s13
	global_load_u8 v2, v[4:5], off
	s_or_b32 exec_lo, exec_lo, s12
	s_mov_b32 s12, exec_lo
	v_cmpx_gt_u32_e64 s0, v29
	s_cbranch_execnz .LBB298_215
.LBB298_188:                            ;   in Loop: Header=BB298_182 Depth=2
	s_or_b32 exec_lo, exec_lo, s12
	s_delay_alu instid0(SALU_CYCLE_1)
	s_mov_b32 s12, exec_lo
	v_cmpx_gt_u32_e64 s0, v30
	s_cbranch_execz .LBB298_216
.LBB298_189:                            ;   in Loop: Header=BB298_182 Depth=2
	v_add_co_u32 v4, s13, s10, v1
	s_delay_alu instid0(VALU_DEP_1) | instskip(SKIP_2) | instid1(SALU_CYCLE_1)
	v_add_co_ci_u32_e64 v5, null, s11, 0, s13
	global_load_u8 v7, v[4:5], off offset:512
	s_or_b32 exec_lo, exec_lo, s12
	s_mov_b32 s12, exec_lo
	v_cmpx_gt_u32_e64 s0, v31
	s_cbranch_execnz .LBB298_217
.LBB298_190:                            ;   in Loop: Header=BB298_182 Depth=2
	s_or_b32 exec_lo, exec_lo, s12
	s_delay_alu instid0(SALU_CYCLE_1)
	s_mov_b32 s12, exec_lo
	v_cmpx_gt_u32_e64 s0, v35
	s_cbranch_execz .LBB298_218
.LBB298_191:                            ;   in Loop: Header=BB298_182 Depth=2
	v_add_co_u32 v4, s13, s10, v1
	s_delay_alu instid0(VALU_DEP_1) | instskip(SKIP_2) | instid1(SALU_CYCLE_1)
	v_add_co_ci_u32_e64 v5, null, s11, 0, s13
	global_load_u8 v9, v[4:5], off offset:1024
	s_or_b32 exec_lo, exec_lo, s12
	s_mov_b32 s12, exec_lo
	v_cmpx_gt_u32_e64 s0, v36
	s_cbranch_execnz .LBB298_219
.LBB298_192:                            ;   in Loop: Header=BB298_182 Depth=2
	s_or_b32 exec_lo, exec_lo, s12
	s_delay_alu instid0(SALU_CYCLE_1)
	s_mov_b32 s12, exec_lo
	v_cmpx_gt_u32_e64 s0, v37
	s_cbranch_execz .LBB298_194
.LBB298_193:                            ;   in Loop: Header=BB298_182 Depth=2
	v_add_co_u32 v4, s13, s10, v1
	s_delay_alu instid0(VALU_DEP_1)
	v_add_co_ci_u32_e64 v5, null, s11, 0, s13
	global_load_u8 v11, v[4:5], off offset:1536
.LBB298_194:                            ;   in Loop: Header=BB298_182 Depth=2
	s_or_b32 exec_lo, exec_lo, s12
	s_delay_alu instid0(SALU_CYCLE_1)
	s_mov_b32 s13, exec_lo
                                        ; implicit-def: $sgpr12
                                        ; implicit-def: $vgpr4_vgpr5
	v_cmpx_gt_u32_e64 s0, v39
; %bb.195:                              ;   in Loop: Header=BB298_182 Depth=2
	v_add_co_u32 v4, s10, s10, v1
	s_delay_alu instid0(VALU_DEP_1) | instskip(SKIP_1) | instid1(VALU_DEP_2)
	v_add_co_ci_u32_e64 v5, null, s11, 0, s10
	s_sub_i32 s12, s33, s9
	v_add_co_u32 v4, vcc_lo, 0x700, v4
	s_delay_alu instid0(VALU_DEP_2)
	v_add_co_ci_u32_e32 v5, vcc_lo, 0, v5, vcc_lo
	s_or_b32 s8, s8, exec_lo
                                        ; implicit-def: $vgpr12
; %bb.196:                              ;   in Loop: Header=BB298_182 Depth=2
	s_or_b32 exec_lo, exec_lo, s13
	s_waitcnt vmcnt(0)
	v_dual_mov_b32 v14, v2 :: v_dual_mov_b32 v17, v8
	v_dual_mov_b32 v15, v6 :: v_dual_mov_b32 v16, v7
	;; [unrolled: 1-line block ×4, first 2 shown]
	s_and_saveexec_b32 s9, s8
	s_cbranch_execz .LBB298_198
.LBB298_197:                            ;   in Loop: Header=BB298_182 Depth=2
	global_load_u8 v12, v[4:5], off
	s_waitcnt vmcnt(1)
	v_dual_mov_b32 v13, s12 :: v_dual_mov_b32 v2, v14
	v_dual_mov_b32 v6, v15 :: v_dual_mov_b32 v7, v16
	;; [unrolled: 1-line block ×4, first 2 shown]
.LBB298_198:                            ;   in Loop: Header=BB298_182 Depth=2
	s_or_b32 exec_lo, exec_lo, s9
	s_delay_alu instid0(SALU_CYCLE_1)
	s_mov_b32 s8, exec_lo
	v_cmpx_lt_u32_e64 v1, v13
	s_cbranch_execz .LBB298_206
; %bb.199:                              ;   in Loop: Header=BB298_182 Depth=2
	v_xor_b32_e32 v4, 0x7f, v2
	v_lshlrev_b32_e32 v5, 2, v32
	s_delay_alu instid0(VALU_DEP_2) | instskip(NEXT) | instid1(VALU_DEP_1)
	v_and_b32_e32 v4, 0xff, v4
	v_lshrrev_b32_e32 v4, s30, v4
	s_delay_alu instid0(VALU_DEP_1) | instskip(NEXT) | instid1(VALU_DEP_1)
	v_and_b32_e32 v4, s31, v4
	v_lshl_or_b32 v4, v4, 4, v5
	ds_add_u32 v4, v66
	s_or_b32 exec_lo, exec_lo, s8
	s_delay_alu instid0(SALU_CYCLE_1)
	s_mov_b32 s8, exec_lo
	v_cmpx_lt_u32_e64 v29, v13
	s_cbranch_execnz .LBB298_207
.LBB298_200:                            ;   in Loop: Header=BB298_182 Depth=2
	s_or_b32 exec_lo, exec_lo, s8
	s_delay_alu instid0(SALU_CYCLE_1)
	s_mov_b32 s8, exec_lo
	v_cmpx_lt_u32_e64 v30, v13
	s_cbranch_execz .LBB298_208
.LBB298_201:                            ;   in Loop: Header=BB298_182 Depth=2
	v_xor_b32_e32 v4, 0x7f, v7
	v_lshlrev_b32_e32 v5, 2, v32
	s_delay_alu instid0(VALU_DEP_2) | instskip(NEXT) | instid1(VALU_DEP_1)
	v_and_b32_e32 v4, 0xff, v4
	v_lshrrev_b32_e32 v4, s30, v4
	s_delay_alu instid0(VALU_DEP_1) | instskip(NEXT) | instid1(VALU_DEP_1)
	v_and_b32_e32 v4, s31, v4
	v_lshl_or_b32 v4, v4, 4, v5
	ds_add_u32 v4, v66
	s_or_b32 exec_lo, exec_lo, s8
	s_delay_alu instid0(SALU_CYCLE_1)
	s_mov_b32 s8, exec_lo
	v_cmpx_lt_u32_e64 v31, v13
	s_cbranch_execnz .LBB298_209
.LBB298_202:                            ;   in Loop: Header=BB298_182 Depth=2
	s_or_b32 exec_lo, exec_lo, s8
	s_delay_alu instid0(SALU_CYCLE_1)
	s_mov_b32 s8, exec_lo
	v_cmpx_lt_u32_e64 v35, v13
	s_cbranch_execz .LBB298_210
.LBB298_203:                            ;   in Loop: Header=BB298_182 Depth=2
	v_xor_b32_e32 v4, 0x7f, v9
	v_lshlrev_b32_e32 v5, 2, v32
	s_delay_alu instid0(VALU_DEP_2) | instskip(NEXT) | instid1(VALU_DEP_1)
	v_and_b32_e32 v4, 0xff, v4
	v_lshrrev_b32_e32 v4, s30, v4
	s_delay_alu instid0(VALU_DEP_1) | instskip(NEXT) | instid1(VALU_DEP_1)
	v_and_b32_e32 v4, s31, v4
	v_lshl_or_b32 v4, v4, 4, v5
	ds_add_u32 v4, v66
	s_or_b32 exec_lo, exec_lo, s8
	s_delay_alu instid0(SALU_CYCLE_1)
	s_mov_b32 s8, exec_lo
	v_cmpx_lt_u32_e64 v36, v13
	s_cbranch_execnz .LBB298_211
.LBB298_204:                            ;   in Loop: Header=BB298_182 Depth=2
	s_or_b32 exec_lo, exec_lo, s8
	s_delay_alu instid0(SALU_CYCLE_1)
	s_mov_b32 s8, exec_lo
	v_cmpx_lt_u32_e64 v37, v13
	s_cbranch_execz .LBB298_212
.LBB298_205:                            ;   in Loop: Header=BB298_182 Depth=2
	v_xor_b32_e32 v4, 0x7f, v11
	v_lshlrev_b32_e32 v5, 2, v32
	s_delay_alu instid0(VALU_DEP_2) | instskip(NEXT) | instid1(VALU_DEP_1)
	v_and_b32_e32 v4, 0xff, v4
	v_lshrrev_b32_e32 v4, s30, v4
	s_delay_alu instid0(VALU_DEP_1) | instskip(NEXT) | instid1(VALU_DEP_1)
	v_and_b32_e32 v4, s31, v4
	v_lshl_or_b32 v4, v4, 4, v5
	ds_add_u32 v4, v66
	s_or_b32 exec_lo, exec_lo, s8
	s_delay_alu instid0(SALU_CYCLE_1)
	s_mov_b32 s8, exec_lo
	v_cmpx_lt_u32_e64 v39, v13
	s_cbranch_execz .LBB298_181
	s_branch .LBB298_213
.LBB298_206:                            ;   in Loop: Header=BB298_182 Depth=2
	s_or_b32 exec_lo, exec_lo, s8
	s_delay_alu instid0(SALU_CYCLE_1)
	s_mov_b32 s8, exec_lo
	v_cmpx_lt_u32_e64 v29, v13
	s_cbranch_execz .LBB298_200
.LBB298_207:                            ;   in Loop: Header=BB298_182 Depth=2
	v_xor_b32_e32 v4, 0x7f, v6
	v_lshlrev_b32_e32 v5, 2, v32
	s_delay_alu instid0(VALU_DEP_2) | instskip(NEXT) | instid1(VALU_DEP_1)
	v_and_b32_e32 v4, 0xff, v4
	v_lshrrev_b32_e32 v4, s30, v4
	s_delay_alu instid0(VALU_DEP_1) | instskip(NEXT) | instid1(VALU_DEP_1)
	v_and_b32_e32 v4, s31, v4
	v_lshl_or_b32 v4, v4, 4, v5
	ds_add_u32 v4, v66
	s_or_b32 exec_lo, exec_lo, s8
	s_delay_alu instid0(SALU_CYCLE_1)
	s_mov_b32 s8, exec_lo
	v_cmpx_lt_u32_e64 v30, v13
	s_cbranch_execnz .LBB298_201
.LBB298_208:                            ;   in Loop: Header=BB298_182 Depth=2
	s_or_b32 exec_lo, exec_lo, s8
	s_delay_alu instid0(SALU_CYCLE_1)
	s_mov_b32 s8, exec_lo
	v_cmpx_lt_u32_e64 v31, v13
	s_cbranch_execz .LBB298_202
.LBB298_209:                            ;   in Loop: Header=BB298_182 Depth=2
	v_xor_b32_e32 v4, 0x7f, v8
	v_lshlrev_b32_e32 v5, 2, v32
	s_delay_alu instid0(VALU_DEP_2) | instskip(NEXT) | instid1(VALU_DEP_1)
	v_and_b32_e32 v4, 0xff, v4
	v_lshrrev_b32_e32 v4, s30, v4
	s_delay_alu instid0(VALU_DEP_1) | instskip(NEXT) | instid1(VALU_DEP_1)
	v_and_b32_e32 v4, s31, v4
	v_lshl_or_b32 v4, v4, 4, v5
	ds_add_u32 v4, v66
	s_or_b32 exec_lo, exec_lo, s8
	s_delay_alu instid0(SALU_CYCLE_1)
	s_mov_b32 s8, exec_lo
	v_cmpx_lt_u32_e64 v35, v13
	s_cbranch_execnz .LBB298_203
.LBB298_210:                            ;   in Loop: Header=BB298_182 Depth=2
	s_or_b32 exec_lo, exec_lo, s8
	s_delay_alu instid0(SALU_CYCLE_1)
	s_mov_b32 s8, exec_lo
	v_cmpx_lt_u32_e64 v36, v13
	s_cbranch_execz .LBB298_204
.LBB298_211:                            ;   in Loop: Header=BB298_182 Depth=2
	v_xor_b32_e32 v4, 0x7f, v10
	v_lshlrev_b32_e32 v5, 2, v32
	s_delay_alu instid0(VALU_DEP_2) | instskip(NEXT) | instid1(VALU_DEP_1)
	v_and_b32_e32 v4, 0xff, v4
	v_lshrrev_b32_e32 v4, s30, v4
	s_delay_alu instid0(VALU_DEP_1) | instskip(NEXT) | instid1(VALU_DEP_1)
	v_and_b32_e32 v4, s31, v4
	v_lshl_or_b32 v4, v4, 4, v5
	ds_add_u32 v4, v66
	s_or_b32 exec_lo, exec_lo, s8
	s_delay_alu instid0(SALU_CYCLE_1)
	s_mov_b32 s8, exec_lo
	v_cmpx_lt_u32_e64 v37, v13
	s_cbranch_execnz .LBB298_205
.LBB298_212:                            ;   in Loop: Header=BB298_182 Depth=2
	s_or_b32 exec_lo, exec_lo, s8
	s_delay_alu instid0(SALU_CYCLE_1)
	s_mov_b32 s8, exec_lo
	v_cmpx_lt_u32_e64 v39, v13
	s_cbranch_execz .LBB298_181
.LBB298_213:                            ;   in Loop: Header=BB298_182 Depth=2
	s_waitcnt vmcnt(0)
	v_xor_b32_e32 v4, 0x7f, v12
	v_lshlrev_b32_e32 v5, 2, v32
	s_delay_alu instid0(VALU_DEP_2) | instskip(NEXT) | instid1(VALU_DEP_1)
	v_and_b32_e32 v4, 0xff, v4
	v_lshrrev_b32_e32 v4, s30, v4
	s_delay_alu instid0(VALU_DEP_1) | instskip(NEXT) | instid1(VALU_DEP_1)
	v_and_b32_e32 v4, s31, v4
	v_lshl_or_b32 v4, v4, 4, v5
	ds_add_u32 v4, v66
	s_branch .LBB298_181
.LBB298_214:                            ;   in Loop: Header=BB298_182 Depth=2
	s_or_b32 exec_lo, exec_lo, s12
	s_delay_alu instid0(SALU_CYCLE_1)
	s_mov_b32 s12, exec_lo
	v_cmpx_gt_u32_e64 s0, v29
	s_cbranch_execz .LBB298_188
.LBB298_215:                            ;   in Loop: Header=BB298_182 Depth=2
	v_add_co_u32 v4, s13, s10, v1
	s_delay_alu instid0(VALU_DEP_1) | instskip(SKIP_2) | instid1(SALU_CYCLE_1)
	v_add_co_ci_u32_e64 v5, null, s11, 0, s13
	global_load_u8 v6, v[4:5], off offset:256
	s_or_b32 exec_lo, exec_lo, s12
	s_mov_b32 s12, exec_lo
	v_cmpx_gt_u32_e64 s0, v30
	s_cbranch_execnz .LBB298_189
.LBB298_216:                            ;   in Loop: Header=BB298_182 Depth=2
	s_or_b32 exec_lo, exec_lo, s12
	s_delay_alu instid0(SALU_CYCLE_1)
	s_mov_b32 s12, exec_lo
	v_cmpx_gt_u32_e64 s0, v31
	s_cbranch_execz .LBB298_190
.LBB298_217:                            ;   in Loop: Header=BB298_182 Depth=2
	v_add_co_u32 v4, s13, s10, v1
	s_delay_alu instid0(VALU_DEP_1) | instskip(SKIP_2) | instid1(SALU_CYCLE_1)
	v_add_co_ci_u32_e64 v5, null, s11, 0, s13
	global_load_u8 v8, v[4:5], off offset:768
	s_or_b32 exec_lo, exec_lo, s12
	s_mov_b32 s12, exec_lo
	v_cmpx_gt_u32_e64 s0, v35
	s_cbranch_execnz .LBB298_191
.LBB298_218:                            ;   in Loop: Header=BB298_182 Depth=2
	s_or_b32 exec_lo, exec_lo, s12
	s_delay_alu instid0(SALU_CYCLE_1)
	s_mov_b32 s12, exec_lo
	v_cmpx_gt_u32_e64 s0, v36
	s_cbranch_execz .LBB298_192
.LBB298_219:                            ;   in Loop: Header=BB298_182 Depth=2
	v_add_co_u32 v4, s13, s10, v1
	s_delay_alu instid0(VALU_DEP_1) | instskip(SKIP_2) | instid1(SALU_CYCLE_1)
	v_add_co_ci_u32_e64 v5, null, s11, 0, s13
	global_load_u8 v10, v[4:5], off offset:1280
	s_or_b32 exec_lo, exec_lo, s12
	s_mov_b32 s12, exec_lo
	v_cmpx_gt_u32_e64 s0, v37
	s_cbranch_execz .LBB298_194
	s_branch .LBB298_193
.LBB298_220:                            ;   in Loop: Header=BB298_12 Depth=1
	v_mov_b32_e32 v2, 0
	s_waitcnt vmcnt(0) lgkmcnt(0)
	s_barrier
	buffer_gl0_inv
	s_and_saveexec_b32 s0, s2
	s_cbranch_execz .LBB298_222
; %bb.221:                              ;   in Loop: Header=BB298_12 Depth=1
	ds_load_2addr_b64 v[4:7], v40 offset1:1
	s_waitcnt lgkmcnt(0)
	v_add_nc_u32_e32 v2, v5, v4
	s_delay_alu instid0(VALU_DEP_1)
	v_add3_u32 v2, v2, v6, v7
.LBB298_222:                            ;   in Loop: Header=BB298_12 Depth=1
	s_or_b32 exec_lo, exec_lo, s0
	v_and_b32_e32 v4, 15, v63
	s_delay_alu instid0(VALU_DEP_2) | instskip(SKIP_1) | instid1(VALU_DEP_3)
	v_mov_b32_dpp v5, v2 row_shr:1 row_mask:0xf bank_mask:0xf
	v_and_b32_e32 v6, 16, v63
	v_cmp_eq_u32_e64 s0, 0, v4
	v_cmp_lt_u32_e64 s1, 1, v4
	v_cmp_lt_u32_e64 s8, 3, v4
	;; [unrolled: 1-line block ×3, first 2 shown]
	v_cmp_eq_u32_e64 s10, 0, v6
	v_cndmask_b32_e64 v5, v5, 0, s0
	s_delay_alu instid0(VALU_DEP_1) | instskip(NEXT) | instid1(VALU_DEP_1)
	v_add_nc_u32_e32 v2, v5, v2
	v_mov_b32_dpp v5, v2 row_shr:2 row_mask:0xf bank_mask:0xf
	s_delay_alu instid0(VALU_DEP_1) | instskip(NEXT) | instid1(VALU_DEP_1)
	v_cndmask_b32_e64 v5, 0, v5, s1
	v_add_nc_u32_e32 v2, v2, v5
	s_delay_alu instid0(VALU_DEP_1) | instskip(NEXT) | instid1(VALU_DEP_1)
	v_mov_b32_dpp v5, v2 row_shr:4 row_mask:0xf bank_mask:0xf
	v_cndmask_b32_e64 v5, 0, v5, s8
	s_delay_alu instid0(VALU_DEP_1) | instskip(NEXT) | instid1(VALU_DEP_1)
	v_add_nc_u32_e32 v2, v2, v5
	v_mov_b32_dpp v5, v2 row_shr:8 row_mask:0xf bank_mask:0xf
	s_delay_alu instid0(VALU_DEP_1) | instskip(SKIP_1) | instid1(VALU_DEP_2)
	v_cndmask_b32_e64 v4, 0, v5, s9
	v_bfe_i32 v5, v63, 4, 1
	v_add_nc_u32_e32 v2, v2, v4
	ds_swizzle_b32 v4, v2 offset:swizzle(BROADCAST,32,15)
	s_waitcnt lgkmcnt(0)
	v_and_b32_e32 v4, v5, v4
	s_delay_alu instid0(VALU_DEP_1)
	v_add_nc_u32_e32 v4, v2, v4
	s_and_saveexec_b32 s11, s3
	s_cbranch_execz .LBB298_224
; %bb.223:                              ;   in Loop: Header=BB298_12 Depth=1
	ds_store_b32 v41, v4
.LBB298_224:                            ;   in Loop: Header=BB298_12 Depth=1
	s_or_b32 exec_lo, exec_lo, s11
	v_and_b32_e32 v2, 7, v63
	s_waitcnt lgkmcnt(0)
	s_barrier
	buffer_gl0_inv
	s_and_saveexec_b32 s11, s4
	s_cbranch_execz .LBB298_226
; %bb.225:                              ;   in Loop: Header=BB298_12 Depth=1
	ds_load_b32 v5, v42
	v_cmp_ne_u32_e32 vcc_lo, 0, v2
	s_waitcnt lgkmcnt(0)
	v_mov_b32_dpp v6, v5 row_shr:1 row_mask:0xf bank_mask:0xf
	s_delay_alu instid0(VALU_DEP_1) | instskip(SKIP_1) | instid1(VALU_DEP_2)
	v_cndmask_b32_e32 v6, 0, v6, vcc_lo
	v_cmp_lt_u32_e32 vcc_lo, 1, v2
	v_add_nc_u32_e32 v5, v6, v5
	s_delay_alu instid0(VALU_DEP_1) | instskip(NEXT) | instid1(VALU_DEP_1)
	v_mov_b32_dpp v6, v5 row_shr:2 row_mask:0xf bank_mask:0xf
	v_cndmask_b32_e32 v6, 0, v6, vcc_lo
	v_cmp_lt_u32_e32 vcc_lo, 3, v2
	s_delay_alu instid0(VALU_DEP_2) | instskip(NEXT) | instid1(VALU_DEP_1)
	v_add_nc_u32_e32 v5, v5, v6
	v_mov_b32_dpp v6, v5 row_shr:4 row_mask:0xf bank_mask:0xf
	s_delay_alu instid0(VALU_DEP_1) | instskip(NEXT) | instid1(VALU_DEP_1)
	v_cndmask_b32_e32 v6, 0, v6, vcc_lo
	v_add_nc_u32_e32 v5, v5, v6
	ds_store_b32 v42, v5
.LBB298_226:                            ;   in Loop: Header=BB298_12 Depth=1
	s_or_b32 exec_lo, exec_lo, s11
	v_mov_b32_e32 v5, 0
	s_waitcnt lgkmcnt(0)
	s_barrier
	buffer_gl0_inv
	s_and_saveexec_b32 s11, s5
	s_cbranch_execz .LBB298_228
; %bb.227:                              ;   in Loop: Header=BB298_12 Depth=1
	ds_load_b32 v5, v43
.LBB298_228:                            ;   in Loop: Header=BB298_12 Depth=1
	s_or_b32 exec_lo, exec_lo, s11
	v_add_nc_u32_e32 v6, -1, v63
	s_waitcnt lgkmcnt(0)
	v_add_nc_u32_e32 v4, v5, v4
	v_cmp_eq_u32_e64 s11, 0, v63
	s_barrier
	v_cmp_gt_i32_e32 vcc_lo, 0, v6
	buffer_gl0_inv
	v_cndmask_b32_e32 v6, v6, v63, vcc_lo
	s_delay_alu instid0(VALU_DEP_1)
	v_lshlrev_b32_e32 v69, 2, v6
	ds_bpermute_b32 v4, v69, v4
	s_and_saveexec_b32 s12, s2
	s_cbranch_execz .LBB298_230
; %bb.229:                              ;   in Loop: Header=BB298_12 Depth=1
	s_waitcnt lgkmcnt(0)
	v_cndmask_b32_e64 v4, v4, v5, s11
	s_delay_alu instid0(VALU_DEP_1)
	v_add_nc_u32_e32 v4, s27, v4
	ds_store_b32 v28, v4
.LBB298_230:                            ;   in Loop: Header=BB298_12 Depth=1
	s_or_b32 exec_lo, exec_lo, s12
	s_load_b64 s[12:13], s[28:29], 0x0
	v_cmp_lt_u32_e64 s14, 3, v2
	v_add_co_u32 v71, vcc_lo, v57, v63
	v_add_co_ci_u32_e32 v72, vcc_lo, 0, v58, vcc_lo
	v_or_b32_e32 v70, v63, v44
	s_mov_b32 s42, s35
	s_mov_b32 s24, s27
                                        ; implicit-def: $vgpr8_vgpr9
                                        ; implicit-def: $vgpr10_vgpr11
                                        ; implicit-def: $vgpr12_vgpr13
                                        ; implicit-def: $vgpr14_vgpr15
                                        ; implicit-def: $vgpr16_vgpr17
                                        ; implicit-def: $vgpr18_vgpr19
                                        ; implicit-def: $vgpr85
                                        ; implicit-def: $vgpr86
                                        ; implicit-def: $vgpr87
                                        ; implicit-def: $vgpr88
                                        ; implicit-def: $vgpr89
                                        ; implicit-def: $vgpr90
                                        ; implicit-def: $vgpr91
                                        ; implicit-def: $vgpr92
	s_delay_alu instid0(VALU_DEP_1)
	v_or_b32_e32 v75, 32, v70
	v_or_b32_e32 v76, 64, v70
	;; [unrolled: 1-line block ×7, first 2 shown]
	s_waitcnt lgkmcnt(0)
	s_cmp_lt_u32 s15, s13
	s_cselect_b32 s13, 14, 20
	s_delay_alu instid0(SALU_CYCLE_1) | instskip(SKIP_4) | instid1(SALU_CYCLE_1)
	s_add_u32 s16, s28, s13
	s_addc_u32 s17, s29, 0
	s_cmp_lt_u32 s26, s12
	global_load_u16 v4, v3, s[16:17]
	s_cselect_b32 s12, 12, 18
	s_add_u32 s12, s28, s12
	s_addc_u32 s13, s29, 0
	global_load_u16 v6, v3, s[12:13]
	v_cmp_eq_u32_e64 s12, 0, v2
	v_cmp_lt_u32_e64 s13, 1, v2
	v_lshlrev_b32_e32 v2, 3, v63
	s_delay_alu instid0(VALU_DEP_1)
	v_add_co_u32 v73, vcc_lo, v55, v2
	v_add_co_ci_u32_e32 v74, vcc_lo, 0, v56, vcc_lo
	v_add_co_u32 v83, vcc_lo, 0xe0, v71
	v_add_co_ci_u32_e32 v84, vcc_lo, 0, v72, vcc_lo
	s_waitcnt vmcnt(1)
	v_mad_u32_u24 v7, v45, v4, v0
	s_waitcnt vmcnt(0)
	s_delay_alu instid0(VALU_DEP_1) | instskip(NEXT) | instid1(VALU_DEP_1)
	v_mad_u64_u32 v[4:5], null, v7, v6, v[1:2]
                                        ; implicit-def: $vgpr6_vgpr7
	v_lshrrev_b32_e32 v82, 5, v4
                                        ; implicit-def: $vgpr4_vgpr5
	s_branch .LBB298_232
.LBB298_231:                            ;   in Loop: Header=BB298_232 Depth=2
	s_or_b32 exec_lo, exec_lo, s16
	s_addk_i32 s42, 0xf800
	s_cmp_lt_u32 s43, s33
	s_mov_b32 s24, s43
	s_cbranch_scc0 .LBB298_344
.LBB298_232:                            ;   Parent Loop BB298_12 Depth=1
                                        ; =>  This Inner Loop Header: Depth=2
	s_add_i32 s43, s24, 0x800
	s_delay_alu instid0(SALU_CYCLE_1)
	s_cmp_gt_u32 s43, s33
	s_cbranch_scc1 .LBB298_235
; %bb.233:                              ;   in Loop: Header=BB298_232 Depth=2
	v_add_co_u32 v20, vcc_lo, v71, s24
	v_add_co_ci_u32_e32 v21, vcc_lo, 0, v72, vcc_lo
	s_mov_b32 s17, 0
	s_mov_b32 s16, s24
	s_mov_b32 s19, -1
	s_clause 0x6
	global_load_u8 v23, v[20:21], off offset:192
	global_load_u8 v24, v[20:21], off offset:160
	global_load_u8 v25, v[20:21], off offset:128
	global_load_u8 v26, v[20:21], off offset:96
	global_load_u8 v27, v[20:21], off offset:64
	global_load_u8 v95, v[20:21], off offset:32
	global_load_u8 v93, v[20:21], off
	s_movk_i32 s18, 0x800
	s_cbranch_execz .LBB298_236
; %bb.234:                              ;   in Loop: Header=BB298_232 Depth=2
                                        ; implicit-def: $vgpr22
	v_mov_b32_e32 v2, s42
	s_and_saveexec_b32 s20, s19
	s_cbranch_execnz .LBB298_245
	s_branch .LBB298_246
.LBB298_235:                            ;   in Loop: Header=BB298_232 Depth=2
	s_mov_b32 s17, -1
	s_mov_b32 s19, 0
                                        ; implicit-def: $sgpr18
                                        ; implicit-def: $vgpr93
                                        ; implicit-def: $vgpr95
                                        ; implicit-def: $vgpr27
                                        ; implicit-def: $vgpr26
                                        ; implicit-def: $vgpr25
                                        ; implicit-def: $vgpr24
                                        ; implicit-def: $vgpr23
.LBB298_236:                            ;   in Loop: Header=BB298_232 Depth=2
	v_add_co_u32 v20, vcc_lo, v71, s24
	v_add_co_ci_u32_e32 v21, vcc_lo, 0, v72, vcc_lo
	s_waitcnt vmcnt(0)
	v_dual_mov_b32 v93, 0x80 :: v_dual_mov_b32 v22, 0x80
	v_dual_mov_b32 v95, 0x80 :: v_dual_mov_b32 v26, 0x80
	;; [unrolled: 1-line block ×3, first 2 shown]
	v_mov_b32_e32 v25, 0x80
	v_mov_b32_e32 v23, 0x80
	s_mov_b32 s16, exec_lo
	v_cmpx_gt_u32_e64 s42, v70
	s_cbranch_execz .LBB298_338
; %bb.237:                              ;   in Loop: Header=BB298_232 Depth=2
	global_load_u8 v93, v[20:21], off
	v_dual_mov_b32 v95, 0x80 :: v_dual_mov_b32 v26, 0x80
	v_dual_mov_b32 v27, 0x80 :: v_dual_mov_b32 v24, 0x80
	;; [unrolled: 1-line block ×3, first 2 shown]
	v_mov_b32_e32 v23, 0x80
	s_or_b32 exec_lo, exec_lo, s16
	s_delay_alu instid0(SALU_CYCLE_1)
	s_mov_b32 s16, exec_lo
	v_cmpx_gt_u32_e64 s42, v75
	s_cbranch_execnz .LBB298_339
.LBB298_238:                            ;   in Loop: Header=BB298_232 Depth=2
	s_or_b32 exec_lo, exec_lo, s16
	s_delay_alu instid0(SALU_CYCLE_1)
	s_mov_b32 s16, exec_lo
	v_cmpx_gt_u32_e64 s42, v76
	s_cbranch_execz .LBB298_340
.LBB298_239:                            ;   in Loop: Header=BB298_232 Depth=2
	global_load_u8 v27, v[20:21], off offset:64
	s_or_b32 exec_lo, exec_lo, s16
	s_delay_alu instid0(SALU_CYCLE_1)
	s_mov_b32 s16, exec_lo
	v_cmpx_gt_u32_e64 s42, v77
	s_cbranch_execnz .LBB298_341
.LBB298_240:                            ;   in Loop: Header=BB298_232 Depth=2
	s_or_b32 exec_lo, exec_lo, s16
	s_delay_alu instid0(SALU_CYCLE_1)
	s_mov_b32 s16, exec_lo
	v_cmpx_gt_u32_e64 s42, v78
	s_cbranch_execz .LBB298_342
.LBB298_241:                            ;   in Loop: Header=BB298_232 Depth=2
	global_load_u8 v25, v[20:21], off offset:128
	s_or_b32 exec_lo, exec_lo, s16
	s_delay_alu instid0(SALU_CYCLE_1)
	s_mov_b32 s16, exec_lo
	v_cmpx_gt_u32_e64 s42, v79
	s_cbranch_execnz .LBB298_343
.LBB298_242:                            ;   in Loop: Header=BB298_232 Depth=2
	s_or_b32 exec_lo, exec_lo, s16
	s_delay_alu instid0(SALU_CYCLE_1)
	s_mov_b32 s16, exec_lo
	v_cmpx_gt_u32_e64 s42, v80
	s_cbranch_execz .LBB298_244
.LBB298_243:                            ;   in Loop: Header=BB298_232 Depth=2
	global_load_u8 v23, v[20:21], off offset:192
.LBB298_244:                            ;   in Loop: Header=BB298_232 Depth=2
	s_or_b32 exec_lo, exec_lo, s16
	v_cmp_gt_u32_e64 s19, s42, v81
	s_sub_i32 s18, s33, s24
	s_mov_b64 s[16:17], s[24:25]
	v_mov_b32_e32 v2, s42
	s_delay_alu instid0(VALU_DEP_2)
	s_and_saveexec_b32 s20, s19
	s_cbranch_execz .LBB298_246
.LBB298_245:                            ;   in Loop: Header=BB298_232 Depth=2
	v_add_co_u32 v20, vcc_lo, v83, s16
	v_add_co_ci_u32_e32 v21, vcc_lo, s17, v84, vcc_lo
	v_mov_b32_e32 v2, s18
	global_load_u8 v22, v[20:21], off
.LBB298_246:                            ;   in Loop: Header=BB298_232 Depth=2
	s_or_b32 exec_lo, exec_lo, s20
	s_waitcnt vmcnt(0)
	v_xor_b32_e32 v93, 0x7f, v93
	ds_store_b32 v46, v3 offset:1056
	ds_store_2addr_b32 v47, v3, v3 offset0:1 offset1:2
	ds_store_2addr_b32 v47, v3, v3 offset0:3 offset1:4
	;; [unrolled: 1-line block ×4, first 2 shown]
	s_waitcnt lgkmcnt(0)
	s_barrier
	v_and_b32_e32 v20, 0xff, v93
	buffer_gl0_inv
	; wave barrier
	v_lshrrev_b32_e32 v20, s30, v20
	s_delay_alu instid0(VALU_DEP_1) | instskip(NEXT) | instid1(VALU_DEP_1)
	v_and_b32_e32 v21, s31, v20
	v_and_b32_e32 v20, 1, v21
	v_lshlrev_b32_e32 v94, 30, v21
	v_lshlrev_b32_e32 v96, 29, v21
	;; [unrolled: 1-line block ×4, first 2 shown]
	v_add_co_u32 v20, s16, v20, -1
	s_delay_alu instid0(VALU_DEP_1)
	v_cndmask_b32_e64 v98, 0, 1, s16
	v_not_b32_e32 v102, v94
	v_cmp_gt_i32_e64 s16, 0, v94
	v_not_b32_e32 v94, v96
	v_lshlrev_b32_e32 v100, 26, v21
	v_cmp_ne_u32_e32 vcc_lo, 0, v98
	v_ashrrev_i32_e32 v102, 31, v102
	v_lshlrev_b32_e32 v101, 25, v21
	v_ashrrev_i32_e32 v94, 31, v94
	v_lshlrev_b32_e32 v98, 24, v21
	v_xor_b32_e32 v20, vcc_lo, v20
	v_cmp_gt_i32_e32 vcc_lo, 0, v96
	v_not_b32_e32 v96, v97
	v_xor_b32_e32 v102, s16, v102
	v_cmp_gt_i32_e64 s16, 0, v97
	v_and_b32_e32 v20, exec_lo, v20
	v_not_b32_e32 v97, v99
	v_ashrrev_i32_e32 v96, 31, v96
	v_xor_b32_e32 v94, vcc_lo, v94
	v_cmp_gt_i32_e32 vcc_lo, 0, v99
	v_and_b32_e32 v20, v20, v102
	v_not_b32_e32 v99, v100
	v_ashrrev_i32_e32 v97, 31, v97
	v_xor_b32_e32 v96, s16, v96
	v_cmp_gt_i32_e64 s16, 0, v100
	v_and_b32_e32 v20, v20, v94
	v_not_b32_e32 v94, v101
	v_ashrrev_i32_e32 v99, 31, v99
	v_xor_b32_e32 v97, vcc_lo, v97
	v_cmp_gt_i32_e32 vcc_lo, 0, v101
	v_and_b32_e32 v20, v20, v96
	v_not_b32_e32 v96, v98
	v_ashrrev_i32_e32 v94, 31, v94
	v_xor_b32_e32 v99, s16, v99
	v_cmp_gt_i32_e64 s16, 0, v98
	v_and_b32_e32 v20, v20, v97
	v_ashrrev_i32_e32 v96, 31, v96
	v_xor_b32_e32 v94, vcc_lo, v94
	v_mad_u32_u24 v21, v21, 9, v82
	s_delay_alu instid0(VALU_DEP_4) | instskip(NEXT) | instid1(VALU_DEP_4)
	v_and_b32_e32 v20, v20, v99
	v_xor_b32_e32 v96, s16, v96
	s_delay_alu instid0(VALU_DEP_2) | instskip(NEXT) | instid1(VALU_DEP_1)
	v_and_b32_e32 v20, v20, v94
	v_and_b32_e32 v20, v20, v96
	v_lshl_add_u32 v96, v21, 2, 0x420
	s_delay_alu instid0(VALU_DEP_2) | instskip(SKIP_1) | instid1(VALU_DEP_2)
	v_mbcnt_lo_u32_b32 v94, v20, 0
	v_cmp_ne_u32_e64 s16, 0, v20
	v_cmp_eq_u32_e32 vcc_lo, 0, v94
	s_delay_alu instid0(VALU_DEP_2) | instskip(NEXT) | instid1(SALU_CYCLE_1)
	s_and_b32 s17, s16, vcc_lo
	s_and_saveexec_b32 s16, s17
	s_cbranch_execz .LBB298_248
; %bb.247:                              ;   in Loop: Header=BB298_232 Depth=2
	v_bcnt_u32_b32 v20, v20, 0
	ds_store_b32 v96, v20
.LBB298_248:                            ;   in Loop: Header=BB298_232 Depth=2
	s_or_b32 exec_lo, exec_lo, s16
	v_xor_b32_e32 v95, 0x7f, v95
	; wave barrier
	s_delay_alu instid0(VALU_DEP_1) | instskip(NEXT) | instid1(VALU_DEP_1)
	v_and_b32_e32 v20, 0xff, v95
	v_lshrrev_b32_e32 v20, s30, v20
	s_delay_alu instid0(VALU_DEP_1) | instskip(NEXT) | instid1(VALU_DEP_1)
	v_and_b32_e32 v20, s31, v20
	v_and_b32_e32 v21, 1, v20
	v_lshlrev_b32_e32 v97, 30, v20
	v_lshlrev_b32_e32 v98, 29, v20
	;; [unrolled: 1-line block ×4, first 2 shown]
	v_add_co_u32 v21, s16, v21, -1
	s_delay_alu instid0(VALU_DEP_1)
	v_cndmask_b32_e64 v100, 0, 1, s16
	v_not_b32_e32 v104, v97
	v_cmp_gt_i32_e64 s16, 0, v97
	v_not_b32_e32 v97, v98
	v_lshlrev_b32_e32 v102, 26, v20
	v_cmp_ne_u32_e32 vcc_lo, 0, v100
	v_ashrrev_i32_e32 v104, 31, v104
	v_lshlrev_b32_e32 v103, 25, v20
	v_ashrrev_i32_e32 v97, 31, v97
	v_lshlrev_b32_e32 v100, 24, v20
	v_xor_b32_e32 v21, vcc_lo, v21
	v_cmp_gt_i32_e32 vcc_lo, 0, v98
	v_not_b32_e32 v98, v99
	v_xor_b32_e32 v104, s16, v104
	v_cmp_gt_i32_e64 s16, 0, v99
	v_and_b32_e32 v21, exec_lo, v21
	v_not_b32_e32 v99, v101
	v_ashrrev_i32_e32 v98, 31, v98
	v_xor_b32_e32 v97, vcc_lo, v97
	v_cmp_gt_i32_e32 vcc_lo, 0, v101
	v_and_b32_e32 v21, v21, v104
	v_not_b32_e32 v101, v102
	v_ashrrev_i32_e32 v99, 31, v99
	v_xor_b32_e32 v98, s16, v98
	v_cmp_gt_i32_e64 s16, 0, v102
	v_and_b32_e32 v21, v21, v97
	v_not_b32_e32 v97, v103
	v_ashrrev_i32_e32 v101, 31, v101
	v_xor_b32_e32 v99, vcc_lo, v99
	v_cmp_gt_i32_e32 vcc_lo, 0, v103
	v_and_b32_e32 v21, v21, v98
	v_not_b32_e32 v98, v100
	v_ashrrev_i32_e32 v97, 31, v97
	v_xor_b32_e32 v101, s16, v101
	v_mul_u32_u24_e32 v20, 9, v20
	v_and_b32_e32 v21, v21, v99
	v_cmp_gt_i32_e64 s16, 0, v100
	v_ashrrev_i32_e32 v98, 31, v98
	v_xor_b32_e32 v97, vcc_lo, v97
	v_add_lshl_u32 v99, v20, v82, 2
	v_and_b32_e32 v21, v21, v101
	s_delay_alu instid0(VALU_DEP_4) | instskip(NEXT) | instid1(VALU_DEP_3)
	v_xor_b32_e32 v20, s16, v98
	v_add_nc_u32_e32 v100, 0x420, v99
	s_delay_alu instid0(VALU_DEP_3) | instskip(SKIP_2) | instid1(VALU_DEP_1)
	v_and_b32_e32 v21, v21, v97
	ds_load_b32 v97, v99 offset:1056
	; wave barrier
	v_and_b32_e32 v20, v21, v20
	v_mbcnt_lo_u32_b32 v98, v20, 0
	v_cmp_ne_u32_e64 s16, 0, v20
	s_delay_alu instid0(VALU_DEP_2) | instskip(NEXT) | instid1(VALU_DEP_2)
	v_cmp_eq_u32_e32 vcc_lo, 0, v98
	s_and_b32 s17, s16, vcc_lo
	s_delay_alu instid0(SALU_CYCLE_1)
	s_and_saveexec_b32 s16, s17
	s_cbranch_execz .LBB298_250
; %bb.249:                              ;   in Loop: Header=BB298_232 Depth=2
	s_waitcnt lgkmcnt(0)
	v_bcnt_u32_b32 v20, v20, v97
	ds_store_b32 v100, v20
.LBB298_250:                            ;   in Loop: Header=BB298_232 Depth=2
	s_or_b32 exec_lo, exec_lo, s16
	v_xor_b32_e32 v99, 0x7f, v27
	; wave barrier
	s_delay_alu instid0(VALU_DEP_1) | instskip(NEXT) | instid1(VALU_DEP_1)
	v_and_b32_e32 v20, 0xff, v99
	v_lshrrev_b32_e32 v20, s30, v20
	s_delay_alu instid0(VALU_DEP_1) | instskip(NEXT) | instid1(VALU_DEP_1)
	v_and_b32_e32 v20, s31, v20
	v_and_b32_e32 v21, 1, v20
	v_lshlrev_b32_e32 v27, 30, v20
	v_lshlrev_b32_e32 v101, 29, v20
	;; [unrolled: 1-line block ×4, first 2 shown]
	v_add_co_u32 v21, s16, v21, -1
	s_delay_alu instid0(VALU_DEP_1)
	v_cndmask_b32_e64 v103, 0, 1, s16
	v_not_b32_e32 v107, v27
	v_cmp_gt_i32_e64 s16, 0, v27
	v_not_b32_e32 v27, v101
	v_lshlrev_b32_e32 v105, 26, v20
	v_cmp_ne_u32_e32 vcc_lo, 0, v103
	v_ashrrev_i32_e32 v107, 31, v107
	v_lshlrev_b32_e32 v106, 25, v20
	v_ashrrev_i32_e32 v27, 31, v27
	v_lshlrev_b32_e32 v103, 24, v20
	v_xor_b32_e32 v21, vcc_lo, v21
	v_cmp_gt_i32_e32 vcc_lo, 0, v101
	v_not_b32_e32 v101, v102
	v_xor_b32_e32 v107, s16, v107
	v_cmp_gt_i32_e64 s16, 0, v102
	v_and_b32_e32 v21, exec_lo, v21
	v_not_b32_e32 v102, v104
	v_ashrrev_i32_e32 v101, 31, v101
	v_xor_b32_e32 v27, vcc_lo, v27
	v_cmp_gt_i32_e32 vcc_lo, 0, v104
	v_and_b32_e32 v21, v21, v107
	v_not_b32_e32 v104, v105
	v_ashrrev_i32_e32 v102, 31, v102
	v_xor_b32_e32 v101, s16, v101
	v_cmp_gt_i32_e64 s16, 0, v105
	v_and_b32_e32 v21, v21, v27
	v_not_b32_e32 v27, v106
	v_ashrrev_i32_e32 v104, 31, v104
	v_xor_b32_e32 v102, vcc_lo, v102
	v_cmp_gt_i32_e32 vcc_lo, 0, v106
	v_and_b32_e32 v21, v21, v101
	v_not_b32_e32 v101, v103
	v_ashrrev_i32_e32 v27, 31, v27
	v_xor_b32_e32 v104, s16, v104
	v_mul_u32_u24_e32 v20, 9, v20
	v_and_b32_e32 v21, v21, v102
	v_cmp_gt_i32_e64 s16, 0, v103
	v_ashrrev_i32_e32 v101, 31, v101
	v_xor_b32_e32 v27, vcc_lo, v27
	v_add_lshl_u32 v103, v20, v82, 2
	v_and_b32_e32 v21, v21, v104
	s_delay_alu instid0(VALU_DEP_4) | instskip(SKIP_3) | instid1(VALU_DEP_2)
	v_xor_b32_e32 v20, s16, v101
	ds_load_b32 v101, v103 offset:1056
	v_and_b32_e32 v21, v21, v27
	v_add_nc_u32_e32 v104, 0x420, v103
	; wave barrier
	v_and_b32_e32 v20, v21, v20
	s_delay_alu instid0(VALU_DEP_1) | instskip(SKIP_1) | instid1(VALU_DEP_2)
	v_mbcnt_lo_u32_b32 v102, v20, 0
	v_cmp_ne_u32_e64 s16, 0, v20
	v_cmp_eq_u32_e32 vcc_lo, 0, v102
	s_delay_alu instid0(VALU_DEP_2) | instskip(NEXT) | instid1(SALU_CYCLE_1)
	s_and_b32 s17, s16, vcc_lo
	s_and_saveexec_b32 s16, s17
	s_cbranch_execz .LBB298_252
; %bb.251:                              ;   in Loop: Header=BB298_232 Depth=2
	s_waitcnt lgkmcnt(0)
	v_bcnt_u32_b32 v20, v20, v101
	ds_store_b32 v104, v20
.LBB298_252:                            ;   in Loop: Header=BB298_232 Depth=2
	s_or_b32 exec_lo, exec_lo, s16
	v_xor_b32_e32 v103, 0x7f, v26
	; wave barrier
	s_delay_alu instid0(VALU_DEP_1) | instskip(NEXT) | instid1(VALU_DEP_1)
	v_and_b32_e32 v20, 0xff, v103
	v_lshrrev_b32_e32 v20, s30, v20
	s_delay_alu instid0(VALU_DEP_1) | instskip(NEXT) | instid1(VALU_DEP_1)
	v_and_b32_e32 v20, s31, v20
	v_and_b32_e32 v21, 1, v20
	v_lshlrev_b32_e32 v26, 30, v20
	v_lshlrev_b32_e32 v27, 29, v20
	;; [unrolled: 1-line block ×4, first 2 shown]
	v_add_co_u32 v21, s16, v21, -1
	s_delay_alu instid0(VALU_DEP_1)
	v_cndmask_b32_e64 v106, 0, 1, s16
	v_not_b32_e32 v110, v26
	v_cmp_gt_i32_e64 s16, 0, v26
	v_not_b32_e32 v26, v27
	v_lshlrev_b32_e32 v108, 26, v20
	v_cmp_ne_u32_e32 vcc_lo, 0, v106
	v_ashrrev_i32_e32 v110, 31, v110
	v_lshlrev_b32_e32 v109, 25, v20
	v_ashrrev_i32_e32 v26, 31, v26
	v_lshlrev_b32_e32 v106, 24, v20
	v_xor_b32_e32 v21, vcc_lo, v21
	v_cmp_gt_i32_e32 vcc_lo, 0, v27
	v_not_b32_e32 v27, v105
	v_xor_b32_e32 v110, s16, v110
	v_cmp_gt_i32_e64 s16, 0, v105
	v_and_b32_e32 v21, exec_lo, v21
	v_not_b32_e32 v105, v107
	v_ashrrev_i32_e32 v27, 31, v27
	v_xor_b32_e32 v26, vcc_lo, v26
	v_cmp_gt_i32_e32 vcc_lo, 0, v107
	v_and_b32_e32 v21, v21, v110
	v_not_b32_e32 v107, v108
	v_ashrrev_i32_e32 v105, 31, v105
	v_xor_b32_e32 v27, s16, v27
	v_cmp_gt_i32_e64 s16, 0, v108
	v_and_b32_e32 v21, v21, v26
	v_not_b32_e32 v26, v109
	v_ashrrev_i32_e32 v107, 31, v107
	v_xor_b32_e32 v105, vcc_lo, v105
	v_cmp_gt_i32_e32 vcc_lo, 0, v109
	v_and_b32_e32 v21, v21, v27
	v_not_b32_e32 v27, v106
	v_ashrrev_i32_e32 v26, 31, v26
	v_xor_b32_e32 v107, s16, v107
	v_mul_u32_u24_e32 v20, 9, v20
	v_and_b32_e32 v21, v21, v105
	v_cmp_gt_i32_e64 s16, 0, v106
	v_ashrrev_i32_e32 v27, 31, v27
	v_xor_b32_e32 v26, vcc_lo, v26
	s_delay_alu instid0(VALU_DEP_4) | instskip(SKIP_1) | instid1(VALU_DEP_4)
	v_and_b32_e32 v21, v21, v107
	v_add_lshl_u32 v107, v20, v82, 2
	v_xor_b32_e32 v20, s16, v27
	s_delay_alu instid0(VALU_DEP_3) | instskip(SKIP_3) | instid1(VALU_DEP_1)
	v_and_b32_e32 v21, v21, v26
	ds_load_b32 v105, v107 offset:1056
	v_add_nc_u32_e32 v108, 0x420, v107
	; wave barrier
	v_and_b32_e32 v20, v21, v20
	v_mbcnt_lo_u32_b32 v106, v20, 0
	v_cmp_ne_u32_e64 s16, 0, v20
	s_delay_alu instid0(VALU_DEP_2) | instskip(NEXT) | instid1(VALU_DEP_2)
	v_cmp_eq_u32_e32 vcc_lo, 0, v106
	s_and_b32 s17, s16, vcc_lo
	s_delay_alu instid0(SALU_CYCLE_1)
	s_and_saveexec_b32 s16, s17
	s_cbranch_execz .LBB298_254
; %bb.253:                              ;   in Loop: Header=BB298_232 Depth=2
	s_waitcnt lgkmcnt(0)
	v_bcnt_u32_b32 v20, v20, v105
	ds_store_b32 v108, v20
.LBB298_254:                            ;   in Loop: Header=BB298_232 Depth=2
	s_or_b32 exec_lo, exec_lo, s16
	v_xor_b32_e32 v107, 0x7f, v25
	; wave barrier
	s_delay_alu instid0(VALU_DEP_1) | instskip(NEXT) | instid1(VALU_DEP_1)
	v_and_b32_e32 v20, 0xff, v107
	v_lshrrev_b32_e32 v20, s30, v20
	s_delay_alu instid0(VALU_DEP_1) | instskip(NEXT) | instid1(VALU_DEP_1)
	v_and_b32_e32 v20, s31, v20
	v_and_b32_e32 v21, 1, v20
	v_lshlrev_b32_e32 v25, 30, v20
	v_lshlrev_b32_e32 v26, 29, v20
	;; [unrolled: 1-line block ×4, first 2 shown]
	v_add_co_u32 v21, s16, v21, -1
	s_delay_alu instid0(VALU_DEP_1)
	v_cndmask_b32_e64 v109, 0, 1, s16
	v_not_b32_e32 v113, v25
	v_cmp_gt_i32_e64 s16, 0, v25
	v_not_b32_e32 v25, v26
	v_lshlrev_b32_e32 v111, 26, v20
	v_cmp_ne_u32_e32 vcc_lo, 0, v109
	v_ashrrev_i32_e32 v113, 31, v113
	v_lshlrev_b32_e32 v112, 25, v20
	v_ashrrev_i32_e32 v25, 31, v25
	v_lshlrev_b32_e32 v109, 24, v20
	v_xor_b32_e32 v21, vcc_lo, v21
	v_cmp_gt_i32_e32 vcc_lo, 0, v26
	v_not_b32_e32 v26, v27
	v_xor_b32_e32 v113, s16, v113
	v_cmp_gt_i32_e64 s16, 0, v27
	v_and_b32_e32 v21, exec_lo, v21
	v_not_b32_e32 v27, v110
	v_ashrrev_i32_e32 v26, 31, v26
	v_xor_b32_e32 v25, vcc_lo, v25
	v_cmp_gt_i32_e32 vcc_lo, 0, v110
	v_and_b32_e32 v21, v21, v113
	v_not_b32_e32 v110, v111
	v_ashrrev_i32_e32 v27, 31, v27
	v_xor_b32_e32 v26, s16, v26
	v_cmp_gt_i32_e64 s16, 0, v111
	v_and_b32_e32 v21, v21, v25
	v_not_b32_e32 v25, v112
	v_ashrrev_i32_e32 v110, 31, v110
	v_xor_b32_e32 v27, vcc_lo, v27
	v_cmp_gt_i32_e32 vcc_lo, 0, v112
	v_and_b32_e32 v21, v21, v26
	v_not_b32_e32 v26, v109
	v_ashrrev_i32_e32 v25, 31, v25
	v_xor_b32_e32 v110, s16, v110
	v_mul_u32_u24_e32 v20, 9, v20
	v_and_b32_e32 v21, v21, v27
	v_cmp_gt_i32_e64 s16, 0, v109
	v_ashrrev_i32_e32 v26, 31, v26
	v_xor_b32_e32 v25, vcc_lo, v25
	v_add_lshl_u32 v27, v20, v82, 2
	v_and_b32_e32 v21, v21, v110
	s_delay_alu instid0(VALU_DEP_4) | instskip(SKIP_3) | instid1(VALU_DEP_2)
	v_xor_b32_e32 v20, s16, v26
	ds_load_b32 v109, v27 offset:1056
	v_and_b32_e32 v21, v21, v25
	v_add_nc_u32_e32 v112, 0x420, v27
	; wave barrier
	v_and_b32_e32 v20, v21, v20
	s_delay_alu instid0(VALU_DEP_1) | instskip(SKIP_1) | instid1(VALU_DEP_2)
	v_mbcnt_lo_u32_b32 v110, v20, 0
	v_cmp_ne_u32_e64 s16, 0, v20
	v_cmp_eq_u32_e32 vcc_lo, 0, v110
	s_delay_alu instid0(VALU_DEP_2) | instskip(NEXT) | instid1(SALU_CYCLE_1)
	s_and_b32 s17, s16, vcc_lo
	s_and_saveexec_b32 s16, s17
	s_cbranch_execz .LBB298_256
; %bb.255:                              ;   in Loop: Header=BB298_232 Depth=2
	s_waitcnt lgkmcnt(0)
	v_bcnt_u32_b32 v20, v20, v109
	ds_store_b32 v112, v20
.LBB298_256:                            ;   in Loop: Header=BB298_232 Depth=2
	s_or_b32 exec_lo, exec_lo, s16
	v_xor_b32_e32 v111, 0x7f, v24
	; wave barrier
	s_delay_alu instid0(VALU_DEP_1) | instskip(NEXT) | instid1(VALU_DEP_1)
	v_and_b32_e32 v20, 0xff, v111
	v_lshrrev_b32_e32 v20, s30, v20
	s_delay_alu instid0(VALU_DEP_1) | instskip(NEXT) | instid1(VALU_DEP_1)
	v_and_b32_e32 v20, s31, v20
	v_and_b32_e32 v21, 1, v20
	v_lshlrev_b32_e32 v24, 30, v20
	v_lshlrev_b32_e32 v25, 29, v20
	;; [unrolled: 1-line block ×4, first 2 shown]
	v_add_co_u32 v21, s16, v21, -1
	s_delay_alu instid0(VALU_DEP_1)
	v_cndmask_b32_e64 v27, 0, 1, s16
	v_not_b32_e32 v116, v24
	v_cmp_gt_i32_e64 s16, 0, v24
	v_not_b32_e32 v24, v25
	v_lshlrev_b32_e32 v114, 26, v20
	v_cmp_ne_u32_e32 vcc_lo, 0, v27
	v_ashrrev_i32_e32 v116, 31, v116
	v_lshlrev_b32_e32 v115, 25, v20
	v_ashrrev_i32_e32 v24, 31, v24
	v_lshlrev_b32_e32 v27, 24, v20
	v_xor_b32_e32 v21, vcc_lo, v21
	v_cmp_gt_i32_e32 vcc_lo, 0, v25
	v_not_b32_e32 v25, v26
	v_xor_b32_e32 v116, s16, v116
	v_cmp_gt_i32_e64 s16, 0, v26
	v_and_b32_e32 v21, exec_lo, v21
	v_not_b32_e32 v26, v113
	v_ashrrev_i32_e32 v25, 31, v25
	v_xor_b32_e32 v24, vcc_lo, v24
	v_cmp_gt_i32_e32 vcc_lo, 0, v113
	v_and_b32_e32 v21, v21, v116
	v_not_b32_e32 v113, v114
	v_ashrrev_i32_e32 v26, 31, v26
	v_xor_b32_e32 v25, s16, v25
	v_cmp_gt_i32_e64 s16, 0, v114
	v_and_b32_e32 v21, v21, v24
	v_not_b32_e32 v24, v115
	v_ashrrev_i32_e32 v113, 31, v113
	v_xor_b32_e32 v26, vcc_lo, v26
	v_cmp_gt_i32_e32 vcc_lo, 0, v115
	v_and_b32_e32 v21, v21, v25
	v_not_b32_e32 v25, v27
	v_ashrrev_i32_e32 v24, 31, v24
	v_xor_b32_e32 v113, s16, v113
	v_mul_u32_u24_e32 v20, 9, v20
	v_and_b32_e32 v21, v21, v26
	v_cmp_gt_i32_e64 s16, 0, v27
	v_ashrrev_i32_e32 v25, 31, v25
	v_xor_b32_e32 v24, vcc_lo, v24
	v_add_lshl_u32 v26, v20, v82, 2
	v_and_b32_e32 v21, v21, v113
	s_delay_alu instid0(VALU_DEP_4) | instskip(SKIP_3) | instid1(VALU_DEP_2)
	v_xor_b32_e32 v20, s16, v25
	ds_load_b32 v113, v26 offset:1056
	v_and_b32_e32 v21, v21, v24
	v_add_nc_u32_e32 v116, 0x420, v26
	; wave barrier
	v_and_b32_e32 v20, v21, v20
	s_delay_alu instid0(VALU_DEP_1) | instskip(SKIP_1) | instid1(VALU_DEP_2)
	v_mbcnt_lo_u32_b32 v114, v20, 0
	v_cmp_ne_u32_e64 s16, 0, v20
	v_cmp_eq_u32_e32 vcc_lo, 0, v114
	s_delay_alu instid0(VALU_DEP_2) | instskip(NEXT) | instid1(SALU_CYCLE_1)
	s_and_b32 s17, s16, vcc_lo
	s_and_saveexec_b32 s16, s17
	s_cbranch_execz .LBB298_258
; %bb.257:                              ;   in Loop: Header=BB298_232 Depth=2
	s_waitcnt lgkmcnt(0)
	v_bcnt_u32_b32 v20, v20, v113
	ds_store_b32 v116, v20
.LBB298_258:                            ;   in Loop: Header=BB298_232 Depth=2
	s_or_b32 exec_lo, exec_lo, s16
	v_xor_b32_e32 v115, 0x7f, v23
	; wave barrier
	s_delay_alu instid0(VALU_DEP_1) | instskip(NEXT) | instid1(VALU_DEP_1)
	v_and_b32_e32 v20, 0xff, v115
	v_lshrrev_b32_e32 v20, s30, v20
	s_delay_alu instid0(VALU_DEP_1) | instskip(NEXT) | instid1(VALU_DEP_1)
	v_and_b32_e32 v20, s31, v20
	v_and_b32_e32 v21, 1, v20
	v_lshlrev_b32_e32 v23, 30, v20
	v_lshlrev_b32_e32 v24, 29, v20
	;; [unrolled: 1-line block ×4, first 2 shown]
	v_add_co_u32 v21, s16, v21, -1
	s_delay_alu instid0(VALU_DEP_1)
	v_cndmask_b32_e64 v26, 0, 1, s16
	v_not_b32_e32 v119, v23
	v_cmp_gt_i32_e64 s16, 0, v23
	v_not_b32_e32 v23, v24
	v_lshlrev_b32_e32 v117, 26, v20
	v_cmp_ne_u32_e32 vcc_lo, 0, v26
	v_ashrrev_i32_e32 v119, 31, v119
	v_lshlrev_b32_e32 v118, 25, v20
	v_ashrrev_i32_e32 v23, 31, v23
	v_lshlrev_b32_e32 v26, 24, v20
	v_xor_b32_e32 v21, vcc_lo, v21
	v_cmp_gt_i32_e32 vcc_lo, 0, v24
	v_not_b32_e32 v24, v25
	v_xor_b32_e32 v119, s16, v119
	v_cmp_gt_i32_e64 s16, 0, v25
	v_and_b32_e32 v21, exec_lo, v21
	v_not_b32_e32 v25, v27
	v_ashrrev_i32_e32 v24, 31, v24
	v_xor_b32_e32 v23, vcc_lo, v23
	v_cmp_gt_i32_e32 vcc_lo, 0, v27
	v_and_b32_e32 v21, v21, v119
	v_not_b32_e32 v27, v117
	v_ashrrev_i32_e32 v25, 31, v25
	v_xor_b32_e32 v24, s16, v24
	v_cmp_gt_i32_e64 s16, 0, v117
	v_and_b32_e32 v21, v21, v23
	v_not_b32_e32 v23, v118
	v_ashrrev_i32_e32 v27, 31, v27
	v_xor_b32_e32 v25, vcc_lo, v25
	v_cmp_gt_i32_e32 vcc_lo, 0, v118
	v_and_b32_e32 v21, v21, v24
	v_not_b32_e32 v24, v26
	v_ashrrev_i32_e32 v23, 31, v23
	v_xor_b32_e32 v27, s16, v27
	v_mul_u32_u24_e32 v20, 9, v20
	v_and_b32_e32 v21, v21, v25
	v_cmp_gt_i32_e64 s16, 0, v26
	v_ashrrev_i32_e32 v24, 31, v24
	v_xor_b32_e32 v23, vcc_lo, v23
	v_add_lshl_u32 v25, v20, v82, 2
	v_and_b32_e32 v21, v21, v27
	s_delay_alu instid0(VALU_DEP_4) | instskip(SKIP_3) | instid1(VALU_DEP_2)
	v_xor_b32_e32 v20, s16, v24
	ds_load_b32 v117, v25 offset:1056
	v_and_b32_e32 v21, v21, v23
	v_add_nc_u32_e32 v120, 0x420, v25
	; wave barrier
	v_and_b32_e32 v20, v21, v20
	s_delay_alu instid0(VALU_DEP_1) | instskip(SKIP_1) | instid1(VALU_DEP_2)
	v_mbcnt_lo_u32_b32 v118, v20, 0
	v_cmp_ne_u32_e64 s16, 0, v20
	v_cmp_eq_u32_e32 vcc_lo, 0, v118
	s_delay_alu instid0(VALU_DEP_2) | instskip(NEXT) | instid1(SALU_CYCLE_1)
	s_and_b32 s17, s16, vcc_lo
	s_and_saveexec_b32 s16, s17
	s_cbranch_execz .LBB298_260
; %bb.259:                              ;   in Loop: Header=BB298_232 Depth=2
	s_waitcnt lgkmcnt(0)
	v_bcnt_u32_b32 v20, v20, v117
	ds_store_b32 v120, v20
.LBB298_260:                            ;   in Loop: Header=BB298_232 Depth=2
	s_or_b32 exec_lo, exec_lo, s16
	v_xor_b32_e32 v119, 0x7f, v22
	; wave barrier
	s_delay_alu instid0(VALU_DEP_1) | instskip(NEXT) | instid1(VALU_DEP_1)
	v_and_b32_e32 v20, 0xff, v119
	v_lshrrev_b32_e32 v20, s30, v20
	s_delay_alu instid0(VALU_DEP_1) | instskip(NEXT) | instid1(VALU_DEP_1)
	v_and_b32_e32 v20, s31, v20
	v_and_b32_e32 v21, 1, v20
	v_lshlrev_b32_e32 v22, 30, v20
	v_lshlrev_b32_e32 v23, 29, v20
	;; [unrolled: 1-line block ×4, first 2 shown]
	v_add_co_u32 v21, s16, v21, -1
	s_delay_alu instid0(VALU_DEP_1)
	v_cndmask_b32_e64 v25, 0, 1, s16
	v_not_b32_e32 v122, v22
	v_cmp_gt_i32_e64 s16, 0, v22
	v_not_b32_e32 v22, v23
	v_lshlrev_b32_e32 v27, 26, v20
	v_cmp_ne_u32_e32 vcc_lo, 0, v25
	v_ashrrev_i32_e32 v122, 31, v122
	v_lshlrev_b32_e32 v121, 25, v20
	v_ashrrev_i32_e32 v22, 31, v22
	v_lshlrev_b32_e32 v25, 24, v20
	v_xor_b32_e32 v21, vcc_lo, v21
	v_cmp_gt_i32_e32 vcc_lo, 0, v23
	v_not_b32_e32 v23, v24
	v_xor_b32_e32 v122, s16, v122
	v_cmp_gt_i32_e64 s16, 0, v24
	v_and_b32_e32 v21, exec_lo, v21
	v_not_b32_e32 v24, v26
	v_ashrrev_i32_e32 v23, 31, v23
	v_xor_b32_e32 v22, vcc_lo, v22
	v_cmp_gt_i32_e32 vcc_lo, 0, v26
	v_and_b32_e32 v21, v21, v122
	v_not_b32_e32 v26, v27
	v_ashrrev_i32_e32 v24, 31, v24
	v_xor_b32_e32 v23, s16, v23
	v_cmp_gt_i32_e64 s16, 0, v27
	v_and_b32_e32 v21, v21, v22
	v_not_b32_e32 v22, v121
	v_ashrrev_i32_e32 v26, 31, v26
	v_xor_b32_e32 v24, vcc_lo, v24
	v_cmp_gt_i32_e32 vcc_lo, 0, v121
	v_and_b32_e32 v21, v21, v23
	v_not_b32_e32 v23, v25
	v_ashrrev_i32_e32 v22, 31, v22
	v_xor_b32_e32 v26, s16, v26
	v_mul_u32_u24_e32 v20, 9, v20
	v_and_b32_e32 v21, v21, v24
	v_cmp_gt_i32_e64 s16, 0, v25
	v_ashrrev_i32_e32 v23, 31, v23
	v_xor_b32_e32 v22, vcc_lo, v22
	v_add_lshl_u32 v24, v20, v82, 2
	v_and_b32_e32 v21, v21, v26
	s_delay_alu instid0(VALU_DEP_4) | instskip(SKIP_3) | instid1(VALU_DEP_2)
	v_xor_b32_e32 v20, s16, v23
	ds_load_b32 v121, v24 offset:1056
	v_and_b32_e32 v21, v21, v22
	v_add_nc_u32_e32 v123, 0x420, v24
	; wave barrier
	v_and_b32_e32 v20, v21, v20
	s_delay_alu instid0(VALU_DEP_1) | instskip(SKIP_1) | instid1(VALU_DEP_2)
	v_mbcnt_lo_u32_b32 v122, v20, 0
	v_cmp_ne_u32_e64 s16, 0, v20
	v_cmp_eq_u32_e32 vcc_lo, 0, v122
	s_delay_alu instid0(VALU_DEP_2) | instskip(NEXT) | instid1(SALU_CYCLE_1)
	s_and_b32 s17, s16, vcc_lo
	s_and_saveexec_b32 s16, s17
	s_cbranch_execz .LBB298_262
; %bb.261:                              ;   in Loop: Header=BB298_232 Depth=2
	s_waitcnt lgkmcnt(0)
	v_bcnt_u32_b32 v20, v20, v121
	ds_store_b32 v123, v20
.LBB298_262:                            ;   in Loop: Header=BB298_232 Depth=2
	s_or_b32 exec_lo, exec_lo, s16
	; wave barrier
	s_waitcnt lgkmcnt(0)
	s_barrier
	buffer_gl0_inv
	ds_load_b32 v124, v46 offset:1056
	ds_load_2addr_b32 v[26:27], v47 offset0:1 offset1:2
	ds_load_2addr_b32 v[24:25], v47 offset0:3 offset1:4
	;; [unrolled: 1-line block ×4, first 2 shown]
	s_waitcnt lgkmcnt(3)
	v_add3_u32 v125, v26, v124, v27
	s_waitcnt lgkmcnt(2)
	s_delay_alu instid0(VALU_DEP_1) | instskip(SKIP_1) | instid1(VALU_DEP_1)
	v_add3_u32 v125, v125, v24, v25
	s_waitcnt lgkmcnt(1)
	v_add3_u32 v125, v125, v20, v21
	s_waitcnt lgkmcnt(0)
	s_delay_alu instid0(VALU_DEP_1) | instskip(NEXT) | instid1(VALU_DEP_1)
	v_add3_u32 v23, v125, v22, v23
	v_mov_b32_dpp v125, v23 row_shr:1 row_mask:0xf bank_mask:0xf
	s_delay_alu instid0(VALU_DEP_1) | instskip(NEXT) | instid1(VALU_DEP_1)
	v_cndmask_b32_e64 v125, v125, 0, s0
	v_add_nc_u32_e32 v23, v125, v23
	s_delay_alu instid0(VALU_DEP_1) | instskip(NEXT) | instid1(VALU_DEP_1)
	v_mov_b32_dpp v125, v23 row_shr:2 row_mask:0xf bank_mask:0xf
	v_cndmask_b32_e64 v125, 0, v125, s1
	s_delay_alu instid0(VALU_DEP_1) | instskip(NEXT) | instid1(VALU_DEP_1)
	v_add_nc_u32_e32 v23, v23, v125
	v_mov_b32_dpp v125, v23 row_shr:4 row_mask:0xf bank_mask:0xf
	s_delay_alu instid0(VALU_DEP_1) | instskip(NEXT) | instid1(VALU_DEP_1)
	v_cndmask_b32_e64 v125, 0, v125, s8
	v_add_nc_u32_e32 v23, v23, v125
	s_delay_alu instid0(VALU_DEP_1) | instskip(NEXT) | instid1(VALU_DEP_1)
	v_mov_b32_dpp v125, v23 row_shr:8 row_mask:0xf bank_mask:0xf
	v_cndmask_b32_e64 v125, 0, v125, s9
	s_delay_alu instid0(VALU_DEP_1) | instskip(SKIP_3) | instid1(VALU_DEP_1)
	v_add_nc_u32_e32 v23, v23, v125
	ds_swizzle_b32 v125, v23 offset:swizzle(BROADCAST,32,15)
	s_waitcnt lgkmcnt(0)
	v_cndmask_b32_e64 v125, v125, 0, s10
	v_add_nc_u32_e32 v23, v23, v125
	s_and_saveexec_b32 s16, s3
	s_cbranch_execz .LBB298_264
; %bb.263:                              ;   in Loop: Header=BB298_232 Depth=2
	ds_store_b32 v38, v23 offset:1024
.LBB298_264:                            ;   in Loop: Header=BB298_232 Depth=2
	s_or_b32 exec_lo, exec_lo, s16
	s_waitcnt lgkmcnt(0)
	s_barrier
	buffer_gl0_inv
	s_and_saveexec_b32 s16, s4
	s_cbranch_execz .LBB298_266
; %bb.265:                              ;   in Loop: Header=BB298_232 Depth=2
	v_add_nc_u32_e32 v125, v46, v48
	ds_load_b32 v126, v125 offset:1024
	s_waitcnt lgkmcnt(0)
	v_mov_b32_dpp v127, v126 row_shr:1 row_mask:0xf bank_mask:0xf
	s_delay_alu instid0(VALU_DEP_1) | instskip(NEXT) | instid1(VALU_DEP_1)
	v_cndmask_b32_e64 v127, v127, 0, s12
	v_add_nc_u32_e32 v126, v127, v126
	s_delay_alu instid0(VALU_DEP_1) | instskip(NEXT) | instid1(VALU_DEP_1)
	v_mov_b32_dpp v127, v126 row_shr:2 row_mask:0xf bank_mask:0xf
	v_cndmask_b32_e64 v127, 0, v127, s13
	s_delay_alu instid0(VALU_DEP_1) | instskip(NEXT) | instid1(VALU_DEP_1)
	v_add_nc_u32_e32 v126, v126, v127
	v_mov_b32_dpp v127, v126 row_shr:4 row_mask:0xf bank_mask:0xf
	s_delay_alu instid0(VALU_DEP_1) | instskip(NEXT) | instid1(VALU_DEP_1)
	v_cndmask_b32_e64 v127, 0, v127, s14
	v_add_nc_u32_e32 v126, v126, v127
	ds_store_b32 v125, v126 offset:1024
.LBB298_266:                            ;   in Loop: Header=BB298_232 Depth=2
	s_or_b32 exec_lo, exec_lo, s16
	v_mov_b32_e32 v125, 0
	s_waitcnt lgkmcnt(0)
	s_barrier
	buffer_gl0_inv
	s_and_saveexec_b32 s16, s5
	s_cbranch_execz .LBB298_268
; %bb.267:                              ;   in Loop: Header=BB298_232 Depth=2
	ds_load_b32 v125, v38 offset:1020
.LBB298_268:                            ;   in Loop: Header=BB298_232 Depth=2
	s_or_b32 exec_lo, exec_lo, s16
	s_waitcnt lgkmcnt(0)
	v_add_nc_u32_e32 v23, v125, v23
	ds_bpermute_b32 v23, v69, v23
	s_waitcnt lgkmcnt(0)
	v_cndmask_b32_e64 v23, v23, v125, s11
	s_delay_alu instid0(VALU_DEP_1) | instskip(NEXT) | instid1(VALU_DEP_1)
	v_cndmask_b32_e64 v23, v23, 0, s6
	v_add_nc_u32_e32 v124, v23, v124
	s_delay_alu instid0(VALU_DEP_1) | instskip(NEXT) | instid1(VALU_DEP_1)
	v_add_nc_u32_e32 v26, v124, v26
	v_add_nc_u32_e32 v27, v26, v27
	s_delay_alu instid0(VALU_DEP_1) | instskip(NEXT) | instid1(VALU_DEP_1)
	v_add_nc_u32_e32 v24, v27, v24
	;; [unrolled: 3-line block ×3, first 2 shown]
	v_add_nc_u32_e32 v21, v20, v21
	s_delay_alu instid0(VALU_DEP_1)
	v_add_nc_u32_e32 v22, v21, v22
	ds_store_b32 v46, v23 offset:1056
	ds_store_2addr_b32 v47, v124, v26 offset0:1 offset1:2
	ds_store_2addr_b32 v47, v27, v24 offset0:3 offset1:4
	;; [unrolled: 1-line block ×4, first 2 shown]
	v_mov_b32_e32 v22, 0x800
	s_waitcnt lgkmcnt(0)
	s_barrier
	buffer_gl0_inv
	ds_load_b32 v20, v100
	ds_load_b32 v21, v104
	ds_load_b32 v23, v108
	ds_load_b32 v24, v112
	ds_load_b32 v25, v116
	ds_load_b32 v104, v120
	ds_load_b32 v108, v123
	ds_load_b32 v26, v96
	ds_load_b32 v27, v46 offset:1056
	s_and_saveexec_b32 s16, s7
	s_cbranch_execz .LBB298_270
; %bb.269:                              ;   in Loop: Header=BB298_232 Depth=2
	ds_load_b32 v22, v49 offset:1056
.LBB298_270:                            ;   in Loop: Header=BB298_232 Depth=2
	s_or_b32 exec_lo, exec_lo, s16
	s_waitcnt lgkmcnt(0)
	s_barrier
	buffer_gl0_inv
	s_and_saveexec_b32 s16, s2
	s_cbranch_execz .LBB298_272
; %bb.271:                              ;   in Loop: Header=BB298_232 Depth=2
	ds_load_b32 v96, v28
	s_waitcnt lgkmcnt(0)
	v_sub_nc_u32_e32 v27, v96, v27
	ds_store_b32 v28, v27
.LBB298_272:                            ;   in Loop: Header=BB298_232 Depth=2
	s_or_b32 exec_lo, exec_lo, s16
	v_add_nc_u32_e32 v100, v26, v94
	v_add3_u32 v96, v98, v97, v20
	v_add3_u32 v94, v102, v101, v21
	;; [unrolled: 1-line block ×7, first 2 shown]
	v_cmp_lt_u32_e64 s21, v1, v2
	ds_store_b8 v100, v93 offset:1024
	ds_store_b8 v96, v95 offset:1024
	;; [unrolled: 1-line block ×8, first 2 shown]
	s_waitcnt lgkmcnt(0)
	s_barrier
	buffer_gl0_inv
	s_and_saveexec_b32 s16, s21
	s_cbranch_execz .LBB298_280
; %bb.273:                              ;   in Loop: Header=BB298_232 Depth=2
	ds_load_u8 v20, v1 offset:1024
	s_waitcnt lgkmcnt(0)
	v_and_b32_e32 v21, 0xff, v20
	v_xor_b32_e32 v20, 0x7f, v20
	s_delay_alu instid0(VALU_DEP_2) | instskip(NEXT) | instid1(VALU_DEP_1)
	v_lshrrev_b32_e32 v21, s30, v21
	v_and_b32_e32 v21, s31, v21
	s_delay_alu instid0(VALU_DEP_1)
	v_lshlrev_b32_e32 v21, 2, v21
	ds_load_b32 v21, v21
	s_waitcnt lgkmcnt(0)
	v_add_nc_u32_e32 v21, v21, v1
	global_store_b8 v21, v20, s[40:41]
	s_or_b32 exec_lo, exec_lo, s16
	v_cmp_lt_u32_e64 s22, v29, v2
	s_delay_alu instid0(VALU_DEP_1)
	s_and_saveexec_b32 s16, s22
	s_cbranch_execnz .LBB298_281
.LBB298_274:                            ;   in Loop: Header=BB298_232 Depth=2
	s_or_b32 exec_lo, exec_lo, s16
	v_cmp_lt_u32_e64 s20, v30, v2
	s_delay_alu instid0(VALU_DEP_1)
	s_and_saveexec_b32 s16, s20
	s_cbranch_execz .LBB298_282
.LBB298_275:                            ;   in Loop: Header=BB298_232 Depth=2
	ds_load_u8 v20, v35 offset:512
	s_waitcnt lgkmcnt(0)
	v_and_b32_e32 v21, 0xff, v20
	v_xor_b32_e32 v20, 0x7f, v20
	s_delay_alu instid0(VALU_DEP_2) | instskip(NEXT) | instid1(VALU_DEP_1)
	v_lshrrev_b32_e32 v21, s30, v21
	v_and_b32_e32 v21, s31, v21
	s_delay_alu instid0(VALU_DEP_1)
	v_lshlrev_b32_e32 v21, 2, v21
	ds_load_b32 v21, v21
	s_waitcnt lgkmcnt(0)
	v_add_nc_u32_e32 v21, v21, v30
	global_store_b8 v21, v20, s[40:41]
	s_or_b32 exec_lo, exec_lo, s16
	v_cmp_lt_u32_e64 s19, v31, v2
	s_delay_alu instid0(VALU_DEP_1)
	s_and_saveexec_b32 s16, s19
	s_cbranch_execnz .LBB298_283
.LBB298_276:                            ;   in Loop: Header=BB298_232 Depth=2
	s_or_b32 exec_lo, exec_lo, s16
	v_cmp_lt_u32_e64 s18, v35, v2
	s_delay_alu instid0(VALU_DEP_1)
	s_and_saveexec_b32 s16, s18
	s_cbranch_execz .LBB298_284
.LBB298_277:                            ;   in Loop: Header=BB298_232 Depth=2
	ds_load_u8 v20, v35 offset:1024
	s_waitcnt lgkmcnt(0)
	v_and_b32_e32 v21, 0xff, v20
	v_xor_b32_e32 v20, 0x7f, v20
	s_delay_alu instid0(VALU_DEP_2) | instskip(NEXT) | instid1(VALU_DEP_1)
	v_lshrrev_b32_e32 v21, s30, v21
	v_and_b32_e32 v21, s31, v21
	s_delay_alu instid0(VALU_DEP_1)
	v_lshlrev_b32_e32 v21, 2, v21
	ds_load_b32 v21, v21
	s_waitcnt lgkmcnt(0)
	v_add_nc_u32_e32 v21, v21, v35
	global_store_b8 v21, v20, s[40:41]
	s_or_b32 exec_lo, exec_lo, s16
	v_cmp_lt_u32_e64 s17, v36, v2
	s_delay_alu instid0(VALU_DEP_1)
	s_and_saveexec_b32 s16, s17
	s_cbranch_execnz .LBB298_285
.LBB298_278:                            ;   in Loop: Header=BB298_232 Depth=2
	s_or_b32 exec_lo, exec_lo, s16
	v_cmp_lt_u32_e64 s16, v37, v2
	s_delay_alu instid0(VALU_DEP_1)
	s_and_saveexec_b32 s23, s16
	s_cbranch_execz .LBB298_286
.LBB298_279:                            ;   in Loop: Header=BB298_232 Depth=2
	ds_load_u8 v20, v35 offset:1536
	s_waitcnt lgkmcnt(0)
	v_and_b32_e32 v21, 0xff, v20
	v_xor_b32_e32 v20, 0x7f, v20
	s_delay_alu instid0(VALU_DEP_2) | instskip(NEXT) | instid1(VALU_DEP_1)
	v_lshrrev_b32_e32 v21, s30, v21
	v_and_b32_e32 v21, s31, v21
	s_delay_alu instid0(VALU_DEP_1)
	v_lshlrev_b32_e32 v21, 2, v21
	ds_load_b32 v21, v21
	s_waitcnt lgkmcnt(0)
	v_add_nc_u32_e32 v21, v21, v37
	global_store_b8 v21, v20, s[40:41]
	s_or_b32 exec_lo, exec_lo, s23
	v_cmp_lt_u32_e32 vcc_lo, v39, v2
	s_and_saveexec_b32 s23, vcc_lo
	s_cbranch_execnz .LBB298_287
	s_branch .LBB298_288
.LBB298_280:                            ;   in Loop: Header=BB298_232 Depth=2
	s_or_b32 exec_lo, exec_lo, s16
	v_cmp_lt_u32_e64 s22, v29, v2
	s_delay_alu instid0(VALU_DEP_1)
	s_and_saveexec_b32 s16, s22
	s_cbranch_execz .LBB298_274
.LBB298_281:                            ;   in Loop: Header=BB298_232 Depth=2
	ds_load_u8 v20, v35 offset:256
	s_waitcnt lgkmcnt(0)
	v_and_b32_e32 v21, 0xff, v20
	v_xor_b32_e32 v20, 0x7f, v20
	s_delay_alu instid0(VALU_DEP_2) | instskip(NEXT) | instid1(VALU_DEP_1)
	v_lshrrev_b32_e32 v21, s30, v21
	v_and_b32_e32 v21, s31, v21
	s_delay_alu instid0(VALU_DEP_1)
	v_lshlrev_b32_e32 v21, 2, v21
	ds_load_b32 v21, v21
	s_waitcnt lgkmcnt(0)
	v_add_nc_u32_e32 v21, v21, v29
	global_store_b8 v21, v20, s[40:41]
	s_or_b32 exec_lo, exec_lo, s16
	v_cmp_lt_u32_e64 s20, v30, v2
	s_delay_alu instid0(VALU_DEP_1)
	s_and_saveexec_b32 s16, s20
	s_cbranch_execnz .LBB298_275
.LBB298_282:                            ;   in Loop: Header=BB298_232 Depth=2
	s_or_b32 exec_lo, exec_lo, s16
	v_cmp_lt_u32_e64 s19, v31, v2
	s_delay_alu instid0(VALU_DEP_1)
	s_and_saveexec_b32 s16, s19
	s_cbranch_execz .LBB298_276
.LBB298_283:                            ;   in Loop: Header=BB298_232 Depth=2
	ds_load_u8 v20, v35 offset:768
	s_waitcnt lgkmcnt(0)
	v_and_b32_e32 v21, 0xff, v20
	v_xor_b32_e32 v20, 0x7f, v20
	s_delay_alu instid0(VALU_DEP_2) | instskip(NEXT) | instid1(VALU_DEP_1)
	v_lshrrev_b32_e32 v21, s30, v21
	v_and_b32_e32 v21, s31, v21
	s_delay_alu instid0(VALU_DEP_1)
	v_lshlrev_b32_e32 v21, 2, v21
	ds_load_b32 v21, v21
	s_waitcnt lgkmcnt(0)
	v_add_nc_u32_e32 v21, v21, v31
	global_store_b8 v21, v20, s[40:41]
	s_or_b32 exec_lo, exec_lo, s16
	v_cmp_lt_u32_e64 s18, v35, v2
	s_delay_alu instid0(VALU_DEP_1)
	s_and_saveexec_b32 s16, s18
	s_cbranch_execnz .LBB298_277
.LBB298_284:                            ;   in Loop: Header=BB298_232 Depth=2
	s_or_b32 exec_lo, exec_lo, s16
	v_cmp_lt_u32_e64 s17, v36, v2
	s_delay_alu instid0(VALU_DEP_1)
	s_and_saveexec_b32 s16, s17
	s_cbranch_execz .LBB298_278
.LBB298_285:                            ;   in Loop: Header=BB298_232 Depth=2
	ds_load_u8 v20, v35 offset:1280
	s_waitcnt lgkmcnt(0)
	v_and_b32_e32 v21, 0xff, v20
	v_xor_b32_e32 v20, 0x7f, v20
	s_delay_alu instid0(VALU_DEP_2) | instskip(NEXT) | instid1(VALU_DEP_1)
	v_lshrrev_b32_e32 v21, s30, v21
	v_and_b32_e32 v21, s31, v21
	s_delay_alu instid0(VALU_DEP_1)
	v_lshlrev_b32_e32 v21, 2, v21
	ds_load_b32 v21, v21
	s_waitcnt lgkmcnt(0)
	v_add_nc_u32_e32 v21, v21, v36
	global_store_b8 v21, v20, s[40:41]
	s_or_b32 exec_lo, exec_lo, s16
	v_cmp_lt_u32_e64 s16, v37, v2
	s_delay_alu instid0(VALU_DEP_1)
	s_and_saveexec_b32 s23, s16
	s_cbranch_execnz .LBB298_279
.LBB298_286:                            ;   in Loop: Header=BB298_232 Depth=2
	s_or_b32 exec_lo, exec_lo, s23
	v_cmp_lt_u32_e32 vcc_lo, v39, v2
	s_and_saveexec_b32 s23, vcc_lo
	s_cbranch_execz .LBB298_288
.LBB298_287:                            ;   in Loop: Header=BB298_232 Depth=2
	ds_load_u8 v20, v35 offset:1792
	s_waitcnt lgkmcnt(0)
	v_and_b32_e32 v21, 0xff, v20
	v_xor_b32_e32 v20, 0x7f, v20
	s_delay_alu instid0(VALU_DEP_2) | instskip(NEXT) | instid1(VALU_DEP_1)
	v_lshrrev_b32_e32 v21, s30, v21
	v_and_b32_e32 v21, s31, v21
	s_delay_alu instid0(VALU_DEP_1)
	v_lshlrev_b32_e32 v21, 2, v21
	ds_load_b32 v21, v21
	s_waitcnt lgkmcnt(0)
	v_add_nc_u32_e32 v21, v21, v39
	global_store_b8 v21, v20, s[40:41]
.LBB298_288:                            ;   in Loop: Header=BB298_232 Depth=2
	s_or_b32 exec_lo, exec_lo, s23
	s_lshl_b64 s[52:53], s[24:25], 3
	s_delay_alu instid0(SALU_CYCLE_1) | instskip(NEXT) | instid1(VALU_DEP_1)
	v_add_co_u32 v20, s23, v73, s52
	v_add_co_ci_u32_e64 v21, s23, s53, v74, s23
	v_cmp_lt_u32_e64 s23, v70, v2
	s_delay_alu instid0(VALU_DEP_1) | instskip(NEXT) | instid1(SALU_CYCLE_1)
	s_and_saveexec_b32 s24, s23
	s_xor_b32 s23, exec_lo, s24
	s_cbranch_execz .LBB298_304
; %bb.289:                              ;   in Loop: Header=BB298_232 Depth=2
	global_load_b64 v[18:19], v[20:21], off
	s_or_b32 exec_lo, exec_lo, s23
	s_delay_alu instid0(SALU_CYCLE_1)
	s_mov_b32 s24, exec_lo
	v_cmpx_lt_u32_e64 v75, v2
	s_cbranch_execnz .LBB298_305
.LBB298_290:                            ;   in Loop: Header=BB298_232 Depth=2
	s_or_b32 exec_lo, exec_lo, s24
	s_delay_alu instid0(SALU_CYCLE_1)
	s_mov_b32 s24, exec_lo
	v_cmpx_lt_u32_e64 v76, v2
	s_cbranch_execz .LBB298_306
.LBB298_291:                            ;   in Loop: Header=BB298_232 Depth=2
	global_load_b64 v[14:15], v[20:21], off offset:512
	s_or_b32 exec_lo, exec_lo, s24
	s_delay_alu instid0(SALU_CYCLE_1)
	s_mov_b32 s24, exec_lo
	v_cmpx_lt_u32_e64 v77, v2
	s_cbranch_execnz .LBB298_307
.LBB298_292:                            ;   in Loop: Header=BB298_232 Depth=2
	s_or_b32 exec_lo, exec_lo, s24
	s_delay_alu instid0(SALU_CYCLE_1)
	s_mov_b32 s24, exec_lo
	v_cmpx_lt_u32_e64 v78, v2
	s_cbranch_execz .LBB298_308
.LBB298_293:                            ;   in Loop: Header=BB298_232 Depth=2
	global_load_b64 v[10:11], v[20:21], off offset:1024
	s_or_b32 exec_lo, exec_lo, s24
	s_delay_alu instid0(SALU_CYCLE_1)
	s_mov_b32 s24, exec_lo
	v_cmpx_lt_u32_e64 v79, v2
	s_cbranch_execnz .LBB298_309
.LBB298_294:                            ;   in Loop: Header=BB298_232 Depth=2
	s_or_b32 exec_lo, exec_lo, s24
	s_delay_alu instid0(SALU_CYCLE_1)
	s_mov_b32 s24, exec_lo
	v_cmpx_lt_u32_e64 v80, v2
	s_cbranch_execz .LBB298_310
.LBB298_295:                            ;   in Loop: Header=BB298_232 Depth=2
	global_load_b64 v[6:7], v[20:21], off offset:1536
	s_or_b32 exec_lo, exec_lo, s24
	s_delay_alu instid0(SALU_CYCLE_1)
	s_mov_b32 s24, exec_lo
	v_cmpx_lt_u32_e64 v81, v2
	s_cbranch_execnz .LBB298_311
.LBB298_296:                            ;   in Loop: Header=BB298_232 Depth=2
	s_or_b32 exec_lo, exec_lo, s24
	s_and_saveexec_b32 s23, s21
	s_cbranch_execz .LBB298_312
.LBB298_297:                            ;   in Loop: Header=BB298_232 Depth=2
	ds_load_u8 v2, v1 offset:1024
	s_waitcnt lgkmcnt(0)
	v_lshrrev_b32_e32 v2, s30, v2
	s_delay_alu instid0(VALU_DEP_1)
	v_and_b32_e32 v92, s31, v2
	s_or_b32 exec_lo, exec_lo, s23
	s_and_saveexec_b32 s23, s22
	s_cbranch_execnz .LBB298_313
.LBB298_298:                            ;   in Loop: Header=BB298_232 Depth=2
	s_or_b32 exec_lo, exec_lo, s23
	s_and_saveexec_b32 s23, s20
	s_cbranch_execz .LBB298_314
.LBB298_299:                            ;   in Loop: Header=BB298_232 Depth=2
	ds_load_u8 v2, v35 offset:512
	s_waitcnt lgkmcnt(0)
	v_lshrrev_b32_e32 v2, s30, v2
	s_delay_alu instid0(VALU_DEP_1)
	v_and_b32_e32 v90, s31, v2
	s_or_b32 exec_lo, exec_lo, s23
	s_and_saveexec_b32 s23, s19
	s_cbranch_execnz .LBB298_315
.LBB298_300:                            ;   in Loop: Header=BB298_232 Depth=2
	s_or_b32 exec_lo, exec_lo, s23
	s_and_saveexec_b32 s23, s18
	s_cbranch_execz .LBB298_316
.LBB298_301:                            ;   in Loop: Header=BB298_232 Depth=2
	ds_load_u8 v2, v35 offset:1024
	s_waitcnt lgkmcnt(0)
	v_lshrrev_b32_e32 v2, s30, v2
	s_delay_alu instid0(VALU_DEP_1)
	v_and_b32_e32 v88, s31, v2
	s_or_b32 exec_lo, exec_lo, s23
	s_and_saveexec_b32 s23, s17
	s_cbranch_execnz .LBB298_317
.LBB298_302:                            ;   in Loop: Header=BB298_232 Depth=2
	s_or_b32 exec_lo, exec_lo, s23
	s_and_saveexec_b32 s23, s16
	s_cbranch_execz .LBB298_318
.LBB298_303:                            ;   in Loop: Header=BB298_232 Depth=2
	ds_load_u8 v2, v35 offset:1536
	s_waitcnt lgkmcnt(0)
	v_lshrrev_b32_e32 v2, s30, v2
	s_delay_alu instid0(VALU_DEP_1)
	v_and_b32_e32 v86, s31, v2
	s_or_b32 exec_lo, exec_lo, s23
	s_and_saveexec_b32 s23, vcc_lo
	s_cbranch_execnz .LBB298_319
	s_branch .LBB298_320
.LBB298_304:                            ;   in Loop: Header=BB298_232 Depth=2
	s_or_b32 exec_lo, exec_lo, s23
	s_delay_alu instid0(SALU_CYCLE_1)
	s_mov_b32 s24, exec_lo
	v_cmpx_lt_u32_e64 v75, v2
	s_cbranch_execz .LBB298_290
.LBB298_305:                            ;   in Loop: Header=BB298_232 Depth=2
	global_load_b64 v[16:17], v[20:21], off offset:256
	s_or_b32 exec_lo, exec_lo, s24
	s_delay_alu instid0(SALU_CYCLE_1)
	s_mov_b32 s24, exec_lo
	v_cmpx_lt_u32_e64 v76, v2
	s_cbranch_execnz .LBB298_291
.LBB298_306:                            ;   in Loop: Header=BB298_232 Depth=2
	s_or_b32 exec_lo, exec_lo, s24
	s_delay_alu instid0(SALU_CYCLE_1)
	s_mov_b32 s24, exec_lo
	v_cmpx_lt_u32_e64 v77, v2
	s_cbranch_execz .LBB298_292
.LBB298_307:                            ;   in Loop: Header=BB298_232 Depth=2
	global_load_b64 v[12:13], v[20:21], off offset:768
	s_or_b32 exec_lo, exec_lo, s24
	s_delay_alu instid0(SALU_CYCLE_1)
	s_mov_b32 s24, exec_lo
	v_cmpx_lt_u32_e64 v78, v2
	s_cbranch_execnz .LBB298_293
.LBB298_308:                            ;   in Loop: Header=BB298_232 Depth=2
	s_or_b32 exec_lo, exec_lo, s24
	s_delay_alu instid0(SALU_CYCLE_1)
	s_mov_b32 s24, exec_lo
	v_cmpx_lt_u32_e64 v79, v2
	s_cbranch_execz .LBB298_294
.LBB298_309:                            ;   in Loop: Header=BB298_232 Depth=2
	global_load_b64 v[8:9], v[20:21], off offset:1280
	s_or_b32 exec_lo, exec_lo, s24
	s_delay_alu instid0(SALU_CYCLE_1)
	s_mov_b32 s24, exec_lo
	v_cmpx_lt_u32_e64 v80, v2
	s_cbranch_execnz .LBB298_295
.LBB298_310:                            ;   in Loop: Header=BB298_232 Depth=2
	s_or_b32 exec_lo, exec_lo, s24
	s_delay_alu instid0(SALU_CYCLE_1)
	s_mov_b32 s24, exec_lo
	v_cmpx_lt_u32_e64 v81, v2
	s_cbranch_execz .LBB298_296
.LBB298_311:                            ;   in Loop: Header=BB298_232 Depth=2
	global_load_b64 v[4:5], v[20:21], off offset:1792
	s_or_b32 exec_lo, exec_lo, s24
	s_and_saveexec_b32 s23, s21
	s_cbranch_execnz .LBB298_297
.LBB298_312:                            ;   in Loop: Header=BB298_232 Depth=2
	s_or_b32 exec_lo, exec_lo, s23
	s_and_saveexec_b32 s23, s22
	s_cbranch_execz .LBB298_298
.LBB298_313:                            ;   in Loop: Header=BB298_232 Depth=2
	ds_load_u8 v2, v35 offset:256
	s_waitcnt lgkmcnt(0)
	v_lshrrev_b32_e32 v2, s30, v2
	s_delay_alu instid0(VALU_DEP_1)
	v_and_b32_e32 v91, s31, v2
	s_or_b32 exec_lo, exec_lo, s23
	s_and_saveexec_b32 s23, s20
	s_cbranch_execnz .LBB298_299
.LBB298_314:                            ;   in Loop: Header=BB298_232 Depth=2
	s_or_b32 exec_lo, exec_lo, s23
	s_and_saveexec_b32 s23, s19
	s_cbranch_execz .LBB298_300
.LBB298_315:                            ;   in Loop: Header=BB298_232 Depth=2
	ds_load_u8 v2, v35 offset:768
	s_waitcnt lgkmcnt(0)
	v_lshrrev_b32_e32 v2, s30, v2
	s_delay_alu instid0(VALU_DEP_1)
	v_and_b32_e32 v89, s31, v2
	s_or_b32 exec_lo, exec_lo, s23
	s_and_saveexec_b32 s23, s18
	s_cbranch_execnz .LBB298_301
.LBB298_316:                            ;   in Loop: Header=BB298_232 Depth=2
	s_or_b32 exec_lo, exec_lo, s23
	s_and_saveexec_b32 s23, s17
	s_cbranch_execz .LBB298_302
.LBB298_317:                            ;   in Loop: Header=BB298_232 Depth=2
	ds_load_u8 v2, v35 offset:1280
	s_waitcnt lgkmcnt(0)
	v_lshrrev_b32_e32 v2, s30, v2
	s_delay_alu instid0(VALU_DEP_1)
	v_and_b32_e32 v87, s31, v2
	s_or_b32 exec_lo, exec_lo, s23
	s_and_saveexec_b32 s23, s16
	s_cbranch_execnz .LBB298_303
.LBB298_318:                            ;   in Loop: Header=BB298_232 Depth=2
	s_or_b32 exec_lo, exec_lo, s23
	s_and_saveexec_b32 s23, vcc_lo
	s_cbranch_execz .LBB298_320
.LBB298_319:                            ;   in Loop: Header=BB298_232 Depth=2
	ds_load_u8 v2, v35 offset:1792
	s_waitcnt lgkmcnt(0)
	v_lshrrev_b32_e32 v2, s30, v2
	s_delay_alu instid0(VALU_DEP_1)
	v_and_b32_e32 v85, s31, v2
.LBB298_320:                            ;   in Loop: Header=BB298_232 Depth=2
	s_or_b32 exec_lo, exec_lo, s23
	v_lshlrev_b32_e32 v2, 3, v100
	v_lshlrev_b32_e32 v20, 3, v96
	;; [unrolled: 1-line block ×3, first 2 shown]
	s_waitcnt vmcnt(0)
	s_waitcnt_vscnt null, 0x0
	s_barrier
	buffer_gl0_inv
	ds_store_b64 v2, v[18:19] offset:1024
	ds_store_b64 v20, v[16:17] offset:1024
	;; [unrolled: 1-line block ×3, first 2 shown]
	v_lshlrev_b32_e32 v2, 3, v27
	v_lshlrev_b32_e32 v20, 3, v26
	;; [unrolled: 1-line block ×5, first 2 shown]
	ds_store_b64 v2, v[12:13] offset:1024
	ds_store_b64 v20, v[10:11] offset:1024
	;; [unrolled: 1-line block ×5, first 2 shown]
	s_waitcnt lgkmcnt(0)
	s_barrier
	buffer_gl0_inv
	s_and_saveexec_b32 s23, s21
	s_cbranch_execz .LBB298_328
; %bb.321:                              ;   in Loop: Header=BB298_232 Depth=2
	v_lshlrev_b32_e32 v2, 2, v92
	v_add_nc_u32_e32 v20, v1, v52
	ds_load_b32 v2, v2
	ds_load_b64 v[20:21], v20 offset:1024
	s_waitcnt lgkmcnt(1)
	v_add_nc_u32_e32 v2, v2, v1
	s_delay_alu instid0(VALU_DEP_1) | instskip(NEXT) | instid1(VALU_DEP_1)
	v_lshlrev_b64 v[23:24], 3, v[2:3]
	v_add_co_u32 v23, s21, s46, v23
	s_delay_alu instid0(VALU_DEP_1)
	v_add_co_ci_u32_e64 v24, s21, s47, v24, s21
	s_waitcnt lgkmcnt(0)
	global_store_b64 v[23:24], v[20:21], off
	s_or_b32 exec_lo, exec_lo, s23
	s_and_saveexec_b32 s23, s22
	s_cbranch_execnz .LBB298_329
.LBB298_322:                            ;   in Loop: Header=BB298_232 Depth=2
	s_or_b32 exec_lo, exec_lo, s23
	s_and_saveexec_b32 s21, s20
	s_cbranch_execz .LBB298_330
.LBB298_323:                            ;   in Loop: Header=BB298_232 Depth=2
	v_lshlrev_b32_e32 v2, 2, v90
	v_add_nc_u32_e32 v20, v35, v52
	ds_load_b32 v2, v2
	ds_load_b64 v[20:21], v20 offset:4096
	s_waitcnt lgkmcnt(1)
	v_add_nc_u32_e32 v2, v2, v30
	s_delay_alu instid0(VALU_DEP_1) | instskip(NEXT) | instid1(VALU_DEP_1)
	v_lshlrev_b64 v[23:24], 3, v[2:3]
	v_add_co_u32 v23, s20, s46, v23
	s_delay_alu instid0(VALU_DEP_1)
	v_add_co_ci_u32_e64 v24, s20, s47, v24, s20
	s_waitcnt lgkmcnt(0)
	global_store_b64 v[23:24], v[20:21], off
	s_or_b32 exec_lo, exec_lo, s21
	s_and_saveexec_b32 s20, s19
	s_cbranch_execnz .LBB298_331
.LBB298_324:                            ;   in Loop: Header=BB298_232 Depth=2
	s_or_b32 exec_lo, exec_lo, s20
	s_and_saveexec_b32 s19, s18
	s_cbranch_execz .LBB298_332
.LBB298_325:                            ;   in Loop: Header=BB298_232 Depth=2
	v_lshlrev_b32_e32 v2, 2, v88
	v_add_nc_u32_e32 v20, v35, v52
	ds_load_b32 v2, v2
	ds_load_b64 v[20:21], v20 offset:8192
	s_waitcnt lgkmcnt(1)
	v_add_nc_u32_e32 v2, v2, v35
	s_delay_alu instid0(VALU_DEP_1) | instskip(NEXT) | instid1(VALU_DEP_1)
	v_lshlrev_b64 v[23:24], 3, v[2:3]
	v_add_co_u32 v23, s18, s46, v23
	s_delay_alu instid0(VALU_DEP_1)
	v_add_co_ci_u32_e64 v24, s18, s47, v24, s18
	s_waitcnt lgkmcnt(0)
	global_store_b64 v[23:24], v[20:21], off
	s_or_b32 exec_lo, exec_lo, s19
	s_and_saveexec_b32 s18, s17
	s_cbranch_execnz .LBB298_333
.LBB298_326:                            ;   in Loop: Header=BB298_232 Depth=2
	s_or_b32 exec_lo, exec_lo, s18
	s_and_saveexec_b32 s17, s16
	s_cbranch_execz .LBB298_334
.LBB298_327:                            ;   in Loop: Header=BB298_232 Depth=2
	v_lshlrev_b32_e32 v2, 2, v86
	v_add_nc_u32_e32 v20, v35, v52
	ds_load_b32 v2, v2
	ds_load_b64 v[20:21], v20 offset:12288
	s_waitcnt lgkmcnt(1)
	v_add_nc_u32_e32 v2, v2, v37
	s_delay_alu instid0(VALU_DEP_1) | instskip(NEXT) | instid1(VALU_DEP_1)
	v_lshlrev_b64 v[23:24], 3, v[2:3]
	v_add_co_u32 v23, s16, s46, v23
	s_delay_alu instid0(VALU_DEP_1)
	v_add_co_ci_u32_e64 v24, s16, s47, v24, s16
	s_waitcnt lgkmcnt(0)
	global_store_b64 v[23:24], v[20:21], off
	s_or_b32 exec_lo, exec_lo, s17
	s_and_saveexec_b32 s16, vcc_lo
	s_cbranch_execnz .LBB298_335
	s_branch .LBB298_336
.LBB298_328:                            ;   in Loop: Header=BB298_232 Depth=2
	s_or_b32 exec_lo, exec_lo, s23
	s_and_saveexec_b32 s23, s22
	s_cbranch_execz .LBB298_322
.LBB298_329:                            ;   in Loop: Header=BB298_232 Depth=2
	v_lshlrev_b32_e32 v2, 2, v91
	v_add_nc_u32_e32 v20, v35, v52
	ds_load_b32 v2, v2
	ds_load_b64 v[20:21], v20 offset:2048
	s_waitcnt lgkmcnt(1)
	v_add_nc_u32_e32 v2, v2, v29
	s_delay_alu instid0(VALU_DEP_1) | instskip(NEXT) | instid1(VALU_DEP_1)
	v_lshlrev_b64 v[23:24], 3, v[2:3]
	v_add_co_u32 v23, s21, s46, v23
	s_delay_alu instid0(VALU_DEP_1)
	v_add_co_ci_u32_e64 v24, s21, s47, v24, s21
	s_waitcnt lgkmcnt(0)
	global_store_b64 v[23:24], v[20:21], off
	s_or_b32 exec_lo, exec_lo, s23
	s_and_saveexec_b32 s21, s20
	s_cbranch_execnz .LBB298_323
.LBB298_330:                            ;   in Loop: Header=BB298_232 Depth=2
	s_or_b32 exec_lo, exec_lo, s21
	s_and_saveexec_b32 s20, s19
	s_cbranch_execz .LBB298_324
.LBB298_331:                            ;   in Loop: Header=BB298_232 Depth=2
	v_lshlrev_b32_e32 v2, 2, v89
	v_add_nc_u32_e32 v20, v35, v52
	ds_load_b32 v2, v2
	ds_load_b64 v[20:21], v20 offset:6144
	s_waitcnt lgkmcnt(1)
	v_add_nc_u32_e32 v2, v2, v31
	s_delay_alu instid0(VALU_DEP_1) | instskip(NEXT) | instid1(VALU_DEP_1)
	v_lshlrev_b64 v[23:24], 3, v[2:3]
	v_add_co_u32 v23, s19, s46, v23
	s_delay_alu instid0(VALU_DEP_1)
	v_add_co_ci_u32_e64 v24, s19, s47, v24, s19
	s_waitcnt lgkmcnt(0)
	global_store_b64 v[23:24], v[20:21], off
	s_or_b32 exec_lo, exec_lo, s20
	s_and_saveexec_b32 s19, s18
	s_cbranch_execnz .LBB298_325
.LBB298_332:                            ;   in Loop: Header=BB298_232 Depth=2
	s_or_b32 exec_lo, exec_lo, s19
	s_and_saveexec_b32 s18, s17
	s_cbranch_execz .LBB298_326
.LBB298_333:                            ;   in Loop: Header=BB298_232 Depth=2
	v_lshlrev_b32_e32 v2, 2, v87
	v_add_nc_u32_e32 v20, v35, v52
	ds_load_b32 v2, v2
	ds_load_b64 v[20:21], v20 offset:10240
	s_waitcnt lgkmcnt(1)
	v_add_nc_u32_e32 v2, v2, v36
	s_delay_alu instid0(VALU_DEP_1) | instskip(NEXT) | instid1(VALU_DEP_1)
	v_lshlrev_b64 v[23:24], 3, v[2:3]
	v_add_co_u32 v23, s17, s46, v23
	s_delay_alu instid0(VALU_DEP_1)
	v_add_co_ci_u32_e64 v24, s17, s47, v24, s17
	s_waitcnt lgkmcnt(0)
	global_store_b64 v[23:24], v[20:21], off
	s_or_b32 exec_lo, exec_lo, s18
	s_and_saveexec_b32 s17, s16
	s_cbranch_execnz .LBB298_327
.LBB298_334:                            ;   in Loop: Header=BB298_232 Depth=2
	s_or_b32 exec_lo, exec_lo, s17
	s_and_saveexec_b32 s16, vcc_lo
	s_cbranch_execz .LBB298_336
.LBB298_335:                            ;   in Loop: Header=BB298_232 Depth=2
	v_lshlrev_b32_e32 v2, 2, v85
	v_add_nc_u32_e32 v20, v35, v52
	ds_load_b32 v2, v2
	ds_load_b64 v[20:21], v20 offset:14336
	s_waitcnt lgkmcnt(1)
	v_add_nc_u32_e32 v2, v2, v39
	s_delay_alu instid0(VALU_DEP_1) | instskip(NEXT) | instid1(VALU_DEP_1)
	v_lshlrev_b64 v[23:24], 3, v[2:3]
	v_add_co_u32 v23, vcc_lo, s46, v23
	s_delay_alu instid0(VALU_DEP_2)
	v_add_co_ci_u32_e32 v24, vcc_lo, s47, v24, vcc_lo
	s_waitcnt lgkmcnt(0)
	global_store_b64 v[23:24], v[20:21], off
.LBB298_336:                            ;   in Loop: Header=BB298_232 Depth=2
	s_or_b32 exec_lo, exec_lo, s16
	s_waitcnt_vscnt null, 0x0
	s_barrier
	buffer_gl0_inv
	s_and_saveexec_b32 s16, s2
	s_cbranch_execz .LBB298_231
; %bb.337:                              ;   in Loop: Header=BB298_232 Depth=2
	ds_load_b32 v2, v28
	s_waitcnt lgkmcnt(0)
	v_add_nc_u32_e32 v2, v2, v22
	ds_store_b32 v28, v2
	s_branch .LBB298_231
.LBB298_338:                            ;   in Loop: Header=BB298_232 Depth=2
	s_or_b32 exec_lo, exec_lo, s16
	s_delay_alu instid0(SALU_CYCLE_1)
	s_mov_b32 s16, exec_lo
	v_cmpx_gt_u32_e64 s42, v75
	s_cbranch_execz .LBB298_238
.LBB298_339:                            ;   in Loop: Header=BB298_232 Depth=2
	global_load_u8 v95, v[20:21], off offset:32
	s_or_b32 exec_lo, exec_lo, s16
	s_delay_alu instid0(SALU_CYCLE_1)
	s_mov_b32 s16, exec_lo
	v_cmpx_gt_u32_e64 s42, v76
	s_cbranch_execnz .LBB298_239
.LBB298_340:                            ;   in Loop: Header=BB298_232 Depth=2
	s_or_b32 exec_lo, exec_lo, s16
	s_delay_alu instid0(SALU_CYCLE_1)
	s_mov_b32 s16, exec_lo
	v_cmpx_gt_u32_e64 s42, v77
	s_cbranch_execz .LBB298_240
.LBB298_341:                            ;   in Loop: Header=BB298_232 Depth=2
	global_load_u8 v26, v[20:21], off offset:96
	s_or_b32 exec_lo, exec_lo, s16
	s_delay_alu instid0(SALU_CYCLE_1)
	s_mov_b32 s16, exec_lo
	v_cmpx_gt_u32_e64 s42, v78
	s_cbranch_execnz .LBB298_241
.LBB298_342:                            ;   in Loop: Header=BB298_232 Depth=2
	s_or_b32 exec_lo, exec_lo, s16
	s_delay_alu instid0(SALU_CYCLE_1)
	s_mov_b32 s16, exec_lo
	v_cmpx_gt_u32_e64 s42, v79
	s_cbranch_execz .LBB298_242
.LBB298_343:                            ;   in Loop: Header=BB298_232 Depth=2
	global_load_u8 v24, v[20:21], off offset:160
	s_or_b32 exec_lo, exec_lo, s16
	s_delay_alu instid0(SALU_CYCLE_1)
	s_mov_b32 s16, exec_lo
	v_cmpx_gt_u32_e64 s42, v80
	s_cbranch_execnz .LBB298_243
	s_branch .LBB298_244
.LBB298_344:                            ;   in Loop: Header=BB298_12 Depth=1
	s_waitcnt lgkmcnt(0)
	s_barrier
.LBB298_345:                            ;   in Loop: Header=BB298_12 Depth=1
	s_mov_b32 s0, 0
.LBB298_346:                            ;   in Loop: Header=BB298_12 Depth=1
	s_delay_alu instid0(SALU_CYCLE_1)
	s_and_not1_b32 vcc_lo, exec_lo, s0
	s_cbranch_vccnz .LBB298_11
; %bb.347:                              ;   in Loop: Header=BB298_12 Depth=1
	s_and_b32 vcc_lo, exec_lo, s34
	s_mov_b32 s0, -1
	s_cbranch_vccz .LBB298_513
; %bb.348:                              ;   in Loop: Header=BB298_12 Depth=1
	s_mov_b32 s0, s35
	s_mov_b32 s9, s27
	s_barrier
	buffer_gl0_inv
                                        ; implicit-def: $vgpr2
                                        ; implicit-def: $vgpr6
                                        ; implicit-def: $vgpr7
                                        ; implicit-def: $vgpr8
                                        ; implicit-def: $vgpr9
                                        ; implicit-def: $vgpr10
                                        ; implicit-def: $vgpr11
                                        ; implicit-def: $vgpr12
	s_branch .LBB298_350
.LBB298_349:                            ;   in Loop: Header=BB298_350 Depth=2
	s_or_b32 exec_lo, exec_lo, s8
	s_addk_i32 s0, 0xf800
	s_cmp_ge_u32 s1, s33
	s_mov_b32 s9, s1
	s_cbranch_scc1 .LBB298_388
.LBB298_350:                            ;   Parent Loop BB298_12 Depth=1
                                        ; =>  This Inner Loop Header: Depth=2
	s_add_i32 s1, s9, 0x800
	s_delay_alu instid0(SALU_CYCLE_1)
	s_cmp_gt_u32 s1, s33
	s_cbranch_scc1 .LBB298_353
; %bb.351:                              ;   in Loop: Header=BB298_350 Depth=2
	v_add_co_u32 v4, vcc_lo, v59, s9
	v_add_co_ci_u32_e32 v5, vcc_lo, 0, v60, vcc_lo
	s_mov_b32 s8, -1
	s_movk_i32 s12, 0x800
	s_clause 0x6
	global_load_u8 v20, v[4:5], off offset:1536
	global_load_u8 v19, v[4:5], off offset:1280
	;; [unrolled: 1-line block ×6, first 2 shown]
	global_load_u8 v14, v[4:5], off
	v_add_co_u32 v4, vcc_lo, 0x700, v4
	v_add_co_ci_u32_e32 v5, vcc_lo, 0, v5, vcc_lo
	s_cbranch_execz .LBB298_354
; %bb.352:                              ;   in Loop: Header=BB298_350 Depth=2
                                        ; implicit-def: $vgpr2
                                        ; implicit-def: $vgpr6
                                        ; implicit-def: $vgpr7
                                        ; implicit-def: $vgpr8
                                        ; implicit-def: $vgpr9
                                        ; implicit-def: $vgpr10
                                        ; implicit-def: $vgpr11
                                        ; implicit-def: $vgpr12
	v_mov_b32_e32 v13, s0
	s_and_saveexec_b32 s9, s8
	s_cbranch_execnz .LBB298_365
	s_branch .LBB298_366
.LBB298_353:                            ;   in Loop: Header=BB298_350 Depth=2
	s_mov_b32 s8, 0
                                        ; implicit-def: $sgpr12
                                        ; implicit-def: $vgpr14
                                        ; implicit-def: $vgpr15
                                        ; implicit-def: $vgpr16
                                        ; implicit-def: $vgpr17
                                        ; implicit-def: $vgpr18
                                        ; implicit-def: $vgpr19
                                        ; implicit-def: $vgpr20
                                        ; implicit-def: $vgpr4_vgpr5
.LBB298_354:                            ;   in Loop: Header=BB298_350 Depth=2
	s_add_u32 s10, s36, s9
	s_addc_u32 s11, s37, 0
	s_mov_b32 s12, exec_lo
	v_cmpx_gt_u32_e64 s0, v1
	s_cbranch_execz .LBB298_382
; %bb.355:                              ;   in Loop: Header=BB298_350 Depth=2
	v_add_co_u32 v4, s13, s10, v1
	s_delay_alu instid0(VALU_DEP_1) | instskip(SKIP_2) | instid1(SALU_CYCLE_1)
	v_add_co_ci_u32_e64 v5, null, s11, 0, s13
	global_load_u8 v2, v[4:5], off
	s_or_b32 exec_lo, exec_lo, s12
	s_mov_b32 s12, exec_lo
	v_cmpx_gt_u32_e64 s0, v29
	s_cbranch_execnz .LBB298_383
.LBB298_356:                            ;   in Loop: Header=BB298_350 Depth=2
	s_or_b32 exec_lo, exec_lo, s12
	s_delay_alu instid0(SALU_CYCLE_1)
	s_mov_b32 s12, exec_lo
	v_cmpx_gt_u32_e64 s0, v30
	s_cbranch_execz .LBB298_384
.LBB298_357:                            ;   in Loop: Header=BB298_350 Depth=2
	v_add_co_u32 v4, s13, s10, v1
	s_delay_alu instid0(VALU_DEP_1) | instskip(SKIP_2) | instid1(SALU_CYCLE_1)
	v_add_co_ci_u32_e64 v5, null, s11, 0, s13
	global_load_u8 v7, v[4:5], off offset:512
	s_or_b32 exec_lo, exec_lo, s12
	s_mov_b32 s12, exec_lo
	v_cmpx_gt_u32_e64 s0, v31
	s_cbranch_execnz .LBB298_385
.LBB298_358:                            ;   in Loop: Header=BB298_350 Depth=2
	s_or_b32 exec_lo, exec_lo, s12
	s_delay_alu instid0(SALU_CYCLE_1)
	s_mov_b32 s12, exec_lo
	v_cmpx_gt_u32_e64 s0, v35
	s_cbranch_execz .LBB298_386
.LBB298_359:                            ;   in Loop: Header=BB298_350 Depth=2
	v_add_co_u32 v4, s13, s10, v1
	s_delay_alu instid0(VALU_DEP_1) | instskip(SKIP_2) | instid1(SALU_CYCLE_1)
	v_add_co_ci_u32_e64 v5, null, s11, 0, s13
	global_load_u8 v9, v[4:5], off offset:1024
	s_or_b32 exec_lo, exec_lo, s12
	s_mov_b32 s12, exec_lo
	v_cmpx_gt_u32_e64 s0, v36
	s_cbranch_execnz .LBB298_387
.LBB298_360:                            ;   in Loop: Header=BB298_350 Depth=2
	s_or_b32 exec_lo, exec_lo, s12
	s_delay_alu instid0(SALU_CYCLE_1)
	s_mov_b32 s12, exec_lo
	v_cmpx_gt_u32_e64 s0, v37
	s_cbranch_execz .LBB298_362
.LBB298_361:                            ;   in Loop: Header=BB298_350 Depth=2
	v_add_co_u32 v4, s13, s10, v1
	s_delay_alu instid0(VALU_DEP_1)
	v_add_co_ci_u32_e64 v5, null, s11, 0, s13
	global_load_u8 v11, v[4:5], off offset:1536
.LBB298_362:                            ;   in Loop: Header=BB298_350 Depth=2
	s_or_b32 exec_lo, exec_lo, s12
	s_delay_alu instid0(SALU_CYCLE_1)
	s_mov_b32 s13, exec_lo
                                        ; implicit-def: $sgpr12
                                        ; implicit-def: $vgpr4_vgpr5
	v_cmpx_gt_u32_e64 s0, v39
; %bb.363:                              ;   in Loop: Header=BB298_350 Depth=2
	v_add_co_u32 v4, s10, s10, v1
	s_delay_alu instid0(VALU_DEP_1) | instskip(SKIP_1) | instid1(VALU_DEP_2)
	v_add_co_ci_u32_e64 v5, null, s11, 0, s10
	s_sub_i32 s12, s33, s9
	v_add_co_u32 v4, vcc_lo, 0x700, v4
	s_delay_alu instid0(VALU_DEP_2)
	v_add_co_ci_u32_e32 v5, vcc_lo, 0, v5, vcc_lo
	s_or_b32 s8, s8, exec_lo
                                        ; implicit-def: $vgpr12
; %bb.364:                              ;   in Loop: Header=BB298_350 Depth=2
	s_or_b32 exec_lo, exec_lo, s13
	s_waitcnt vmcnt(0)
	v_dual_mov_b32 v14, v2 :: v_dual_mov_b32 v17, v8
	v_dual_mov_b32 v15, v6 :: v_dual_mov_b32 v16, v7
	v_dual_mov_b32 v18, v9 :: v_dual_mov_b32 v19, v10
	v_dual_mov_b32 v20, v11 :: v_dual_mov_b32 v13, s0
	s_and_saveexec_b32 s9, s8
	s_cbranch_execz .LBB298_366
.LBB298_365:                            ;   in Loop: Header=BB298_350 Depth=2
	global_load_u8 v12, v[4:5], off
	s_waitcnt vmcnt(1)
	v_dual_mov_b32 v13, s12 :: v_dual_mov_b32 v2, v14
	v_dual_mov_b32 v6, v15 :: v_dual_mov_b32 v7, v16
	;; [unrolled: 1-line block ×4, first 2 shown]
.LBB298_366:                            ;   in Loop: Header=BB298_350 Depth=2
	s_or_b32 exec_lo, exec_lo, s9
	s_delay_alu instid0(SALU_CYCLE_1)
	s_mov_b32 s8, exec_lo
	v_cmpx_lt_u32_e64 v1, v13
	s_cbranch_execz .LBB298_374
; %bb.367:                              ;   in Loop: Header=BB298_350 Depth=2
	v_xor_b32_e32 v4, 0x7f, v2
	v_lshlrev_b32_e32 v5, 2, v32
	s_delay_alu instid0(VALU_DEP_2) | instskip(NEXT) | instid1(VALU_DEP_1)
	v_and_b32_e32 v4, 0xff, v4
	v_lshrrev_b32_e32 v4, s49, v4
	s_delay_alu instid0(VALU_DEP_1) | instskip(NEXT) | instid1(VALU_DEP_1)
	v_and_b32_e32 v4, s31, v4
	v_lshl_or_b32 v4, v4, 4, v5
	ds_add_u32 v4, v66
	s_or_b32 exec_lo, exec_lo, s8
	s_delay_alu instid0(SALU_CYCLE_1)
	s_mov_b32 s8, exec_lo
	v_cmpx_lt_u32_e64 v29, v13
	s_cbranch_execnz .LBB298_375
.LBB298_368:                            ;   in Loop: Header=BB298_350 Depth=2
	s_or_b32 exec_lo, exec_lo, s8
	s_delay_alu instid0(SALU_CYCLE_1)
	s_mov_b32 s8, exec_lo
	v_cmpx_lt_u32_e64 v30, v13
	s_cbranch_execz .LBB298_376
.LBB298_369:                            ;   in Loop: Header=BB298_350 Depth=2
	v_xor_b32_e32 v4, 0x7f, v7
	v_lshlrev_b32_e32 v5, 2, v32
	s_delay_alu instid0(VALU_DEP_2) | instskip(NEXT) | instid1(VALU_DEP_1)
	v_and_b32_e32 v4, 0xff, v4
	v_lshrrev_b32_e32 v4, s49, v4
	s_delay_alu instid0(VALU_DEP_1) | instskip(NEXT) | instid1(VALU_DEP_1)
	v_and_b32_e32 v4, s31, v4
	v_lshl_or_b32 v4, v4, 4, v5
	ds_add_u32 v4, v66
	s_or_b32 exec_lo, exec_lo, s8
	s_delay_alu instid0(SALU_CYCLE_1)
	s_mov_b32 s8, exec_lo
	v_cmpx_lt_u32_e64 v31, v13
	s_cbranch_execnz .LBB298_377
.LBB298_370:                            ;   in Loop: Header=BB298_350 Depth=2
	s_or_b32 exec_lo, exec_lo, s8
	s_delay_alu instid0(SALU_CYCLE_1)
	s_mov_b32 s8, exec_lo
	v_cmpx_lt_u32_e64 v35, v13
	s_cbranch_execz .LBB298_378
.LBB298_371:                            ;   in Loop: Header=BB298_350 Depth=2
	v_xor_b32_e32 v4, 0x7f, v9
	v_lshlrev_b32_e32 v5, 2, v32
	s_delay_alu instid0(VALU_DEP_2) | instskip(NEXT) | instid1(VALU_DEP_1)
	v_and_b32_e32 v4, 0xff, v4
	v_lshrrev_b32_e32 v4, s49, v4
	s_delay_alu instid0(VALU_DEP_1) | instskip(NEXT) | instid1(VALU_DEP_1)
	v_and_b32_e32 v4, s31, v4
	v_lshl_or_b32 v4, v4, 4, v5
	ds_add_u32 v4, v66
	s_or_b32 exec_lo, exec_lo, s8
	s_delay_alu instid0(SALU_CYCLE_1)
	s_mov_b32 s8, exec_lo
	v_cmpx_lt_u32_e64 v36, v13
	s_cbranch_execnz .LBB298_379
.LBB298_372:                            ;   in Loop: Header=BB298_350 Depth=2
	s_or_b32 exec_lo, exec_lo, s8
	s_delay_alu instid0(SALU_CYCLE_1)
	s_mov_b32 s8, exec_lo
	v_cmpx_lt_u32_e64 v37, v13
	s_cbranch_execz .LBB298_380
.LBB298_373:                            ;   in Loop: Header=BB298_350 Depth=2
	v_xor_b32_e32 v4, 0x7f, v11
	v_lshlrev_b32_e32 v5, 2, v32
	s_delay_alu instid0(VALU_DEP_2) | instskip(NEXT) | instid1(VALU_DEP_1)
	v_and_b32_e32 v4, 0xff, v4
	v_lshrrev_b32_e32 v4, s49, v4
	s_delay_alu instid0(VALU_DEP_1) | instskip(NEXT) | instid1(VALU_DEP_1)
	v_and_b32_e32 v4, s31, v4
	v_lshl_or_b32 v4, v4, 4, v5
	ds_add_u32 v4, v66
	s_or_b32 exec_lo, exec_lo, s8
	s_delay_alu instid0(SALU_CYCLE_1)
	s_mov_b32 s8, exec_lo
	v_cmpx_lt_u32_e64 v39, v13
	s_cbranch_execz .LBB298_349
	s_branch .LBB298_381
.LBB298_374:                            ;   in Loop: Header=BB298_350 Depth=2
	s_or_b32 exec_lo, exec_lo, s8
	s_delay_alu instid0(SALU_CYCLE_1)
	s_mov_b32 s8, exec_lo
	v_cmpx_lt_u32_e64 v29, v13
	s_cbranch_execz .LBB298_368
.LBB298_375:                            ;   in Loop: Header=BB298_350 Depth=2
	v_xor_b32_e32 v4, 0x7f, v6
	v_lshlrev_b32_e32 v5, 2, v32
	s_delay_alu instid0(VALU_DEP_2) | instskip(NEXT) | instid1(VALU_DEP_1)
	v_and_b32_e32 v4, 0xff, v4
	v_lshrrev_b32_e32 v4, s49, v4
	s_delay_alu instid0(VALU_DEP_1) | instskip(NEXT) | instid1(VALU_DEP_1)
	v_and_b32_e32 v4, s31, v4
	v_lshl_or_b32 v4, v4, 4, v5
	ds_add_u32 v4, v66
	s_or_b32 exec_lo, exec_lo, s8
	s_delay_alu instid0(SALU_CYCLE_1)
	s_mov_b32 s8, exec_lo
	v_cmpx_lt_u32_e64 v30, v13
	s_cbranch_execnz .LBB298_369
.LBB298_376:                            ;   in Loop: Header=BB298_350 Depth=2
	s_or_b32 exec_lo, exec_lo, s8
	s_delay_alu instid0(SALU_CYCLE_1)
	s_mov_b32 s8, exec_lo
	v_cmpx_lt_u32_e64 v31, v13
	s_cbranch_execz .LBB298_370
.LBB298_377:                            ;   in Loop: Header=BB298_350 Depth=2
	v_xor_b32_e32 v4, 0x7f, v8
	v_lshlrev_b32_e32 v5, 2, v32
	s_delay_alu instid0(VALU_DEP_2) | instskip(NEXT) | instid1(VALU_DEP_1)
	v_and_b32_e32 v4, 0xff, v4
	v_lshrrev_b32_e32 v4, s49, v4
	s_delay_alu instid0(VALU_DEP_1) | instskip(NEXT) | instid1(VALU_DEP_1)
	v_and_b32_e32 v4, s31, v4
	v_lshl_or_b32 v4, v4, 4, v5
	ds_add_u32 v4, v66
	s_or_b32 exec_lo, exec_lo, s8
	s_delay_alu instid0(SALU_CYCLE_1)
	s_mov_b32 s8, exec_lo
	v_cmpx_lt_u32_e64 v35, v13
	s_cbranch_execnz .LBB298_371
.LBB298_378:                            ;   in Loop: Header=BB298_350 Depth=2
	s_or_b32 exec_lo, exec_lo, s8
	s_delay_alu instid0(SALU_CYCLE_1)
	s_mov_b32 s8, exec_lo
	v_cmpx_lt_u32_e64 v36, v13
	s_cbranch_execz .LBB298_372
.LBB298_379:                            ;   in Loop: Header=BB298_350 Depth=2
	v_xor_b32_e32 v4, 0x7f, v10
	v_lshlrev_b32_e32 v5, 2, v32
	s_delay_alu instid0(VALU_DEP_2) | instskip(NEXT) | instid1(VALU_DEP_1)
	v_and_b32_e32 v4, 0xff, v4
	v_lshrrev_b32_e32 v4, s49, v4
	s_delay_alu instid0(VALU_DEP_1) | instskip(NEXT) | instid1(VALU_DEP_1)
	v_and_b32_e32 v4, s31, v4
	v_lshl_or_b32 v4, v4, 4, v5
	ds_add_u32 v4, v66
	s_or_b32 exec_lo, exec_lo, s8
	s_delay_alu instid0(SALU_CYCLE_1)
	s_mov_b32 s8, exec_lo
	v_cmpx_lt_u32_e64 v37, v13
	s_cbranch_execnz .LBB298_373
.LBB298_380:                            ;   in Loop: Header=BB298_350 Depth=2
	s_or_b32 exec_lo, exec_lo, s8
	s_delay_alu instid0(SALU_CYCLE_1)
	s_mov_b32 s8, exec_lo
	v_cmpx_lt_u32_e64 v39, v13
	s_cbranch_execz .LBB298_349
.LBB298_381:                            ;   in Loop: Header=BB298_350 Depth=2
	s_waitcnt vmcnt(0)
	v_xor_b32_e32 v4, 0x7f, v12
	v_lshlrev_b32_e32 v5, 2, v32
	s_delay_alu instid0(VALU_DEP_2) | instskip(NEXT) | instid1(VALU_DEP_1)
	v_and_b32_e32 v4, 0xff, v4
	v_lshrrev_b32_e32 v4, s49, v4
	s_delay_alu instid0(VALU_DEP_1) | instskip(NEXT) | instid1(VALU_DEP_1)
	v_and_b32_e32 v4, s31, v4
	v_lshl_or_b32 v4, v4, 4, v5
	ds_add_u32 v4, v66
	s_branch .LBB298_349
.LBB298_382:                            ;   in Loop: Header=BB298_350 Depth=2
	s_or_b32 exec_lo, exec_lo, s12
	s_delay_alu instid0(SALU_CYCLE_1)
	s_mov_b32 s12, exec_lo
	v_cmpx_gt_u32_e64 s0, v29
	s_cbranch_execz .LBB298_356
.LBB298_383:                            ;   in Loop: Header=BB298_350 Depth=2
	v_add_co_u32 v4, s13, s10, v1
	s_delay_alu instid0(VALU_DEP_1) | instskip(SKIP_2) | instid1(SALU_CYCLE_1)
	v_add_co_ci_u32_e64 v5, null, s11, 0, s13
	global_load_u8 v6, v[4:5], off offset:256
	s_or_b32 exec_lo, exec_lo, s12
	s_mov_b32 s12, exec_lo
	v_cmpx_gt_u32_e64 s0, v30
	s_cbranch_execnz .LBB298_357
.LBB298_384:                            ;   in Loop: Header=BB298_350 Depth=2
	s_or_b32 exec_lo, exec_lo, s12
	s_delay_alu instid0(SALU_CYCLE_1)
	s_mov_b32 s12, exec_lo
	v_cmpx_gt_u32_e64 s0, v31
	s_cbranch_execz .LBB298_358
.LBB298_385:                            ;   in Loop: Header=BB298_350 Depth=2
	v_add_co_u32 v4, s13, s10, v1
	s_delay_alu instid0(VALU_DEP_1) | instskip(SKIP_2) | instid1(SALU_CYCLE_1)
	v_add_co_ci_u32_e64 v5, null, s11, 0, s13
	global_load_u8 v8, v[4:5], off offset:768
	s_or_b32 exec_lo, exec_lo, s12
	s_mov_b32 s12, exec_lo
	v_cmpx_gt_u32_e64 s0, v35
	s_cbranch_execnz .LBB298_359
.LBB298_386:                            ;   in Loop: Header=BB298_350 Depth=2
	s_or_b32 exec_lo, exec_lo, s12
	s_delay_alu instid0(SALU_CYCLE_1)
	s_mov_b32 s12, exec_lo
	v_cmpx_gt_u32_e64 s0, v36
	s_cbranch_execz .LBB298_360
.LBB298_387:                            ;   in Loop: Header=BB298_350 Depth=2
	v_add_co_u32 v4, s13, s10, v1
	s_delay_alu instid0(VALU_DEP_1) | instskip(SKIP_2) | instid1(SALU_CYCLE_1)
	v_add_co_ci_u32_e64 v5, null, s11, 0, s13
	global_load_u8 v10, v[4:5], off offset:1280
	s_or_b32 exec_lo, exec_lo, s12
	s_mov_b32 s12, exec_lo
	v_cmpx_gt_u32_e64 s0, v37
	s_cbranch_execz .LBB298_362
	s_branch .LBB298_361
.LBB298_388:                            ;   in Loop: Header=BB298_12 Depth=1
	v_mov_b32_e32 v2, 0
	s_waitcnt vmcnt(0) lgkmcnt(0)
	s_barrier
	buffer_gl0_inv
	s_and_saveexec_b32 s0, s2
	s_cbranch_execz .LBB298_390
; %bb.389:                              ;   in Loop: Header=BB298_12 Depth=1
	ds_load_2addr_b64 v[4:7], v40 offset1:1
	s_waitcnt lgkmcnt(0)
	v_add_nc_u32_e32 v2, v5, v4
	s_delay_alu instid0(VALU_DEP_1)
	v_add3_u32 v2, v2, v6, v7
.LBB298_390:                            ;   in Loop: Header=BB298_12 Depth=1
	s_or_b32 exec_lo, exec_lo, s0
	v_and_b32_e32 v4, 15, v63
	s_delay_alu instid0(VALU_DEP_2) | instskip(SKIP_1) | instid1(VALU_DEP_3)
	v_mov_b32_dpp v5, v2 row_shr:1 row_mask:0xf bank_mask:0xf
	v_and_b32_e32 v6, 16, v63
	v_cmp_eq_u32_e64 s0, 0, v4
	v_cmp_lt_u32_e64 s1, 1, v4
	v_cmp_lt_u32_e64 s8, 3, v4
	;; [unrolled: 1-line block ×3, first 2 shown]
	v_cmp_eq_u32_e64 s10, 0, v6
	v_cndmask_b32_e64 v5, v5, 0, s0
	s_delay_alu instid0(VALU_DEP_1) | instskip(NEXT) | instid1(VALU_DEP_1)
	v_add_nc_u32_e32 v2, v5, v2
	v_mov_b32_dpp v5, v2 row_shr:2 row_mask:0xf bank_mask:0xf
	s_delay_alu instid0(VALU_DEP_1) | instskip(NEXT) | instid1(VALU_DEP_1)
	v_cndmask_b32_e64 v5, 0, v5, s1
	v_add_nc_u32_e32 v2, v2, v5
	s_delay_alu instid0(VALU_DEP_1) | instskip(NEXT) | instid1(VALU_DEP_1)
	v_mov_b32_dpp v5, v2 row_shr:4 row_mask:0xf bank_mask:0xf
	v_cndmask_b32_e64 v5, 0, v5, s8
	s_delay_alu instid0(VALU_DEP_1) | instskip(NEXT) | instid1(VALU_DEP_1)
	v_add_nc_u32_e32 v2, v2, v5
	v_mov_b32_dpp v5, v2 row_shr:8 row_mask:0xf bank_mask:0xf
	s_delay_alu instid0(VALU_DEP_1) | instskip(SKIP_1) | instid1(VALU_DEP_2)
	v_cndmask_b32_e64 v4, 0, v5, s9
	v_bfe_i32 v5, v63, 4, 1
	v_add_nc_u32_e32 v2, v2, v4
	ds_swizzle_b32 v4, v2 offset:swizzle(BROADCAST,32,15)
	s_waitcnt lgkmcnt(0)
	v_and_b32_e32 v4, v5, v4
	s_delay_alu instid0(VALU_DEP_1)
	v_add_nc_u32_e32 v4, v2, v4
	s_and_saveexec_b32 s11, s3
	s_cbranch_execz .LBB298_392
; %bb.391:                              ;   in Loop: Header=BB298_12 Depth=1
	ds_store_b32 v41, v4
.LBB298_392:                            ;   in Loop: Header=BB298_12 Depth=1
	s_or_b32 exec_lo, exec_lo, s11
	v_and_b32_e32 v2, 7, v63
	s_waitcnt lgkmcnt(0)
	s_barrier
	buffer_gl0_inv
	s_and_saveexec_b32 s11, s4
	s_cbranch_execz .LBB298_394
; %bb.393:                              ;   in Loop: Header=BB298_12 Depth=1
	ds_load_b32 v5, v42
	v_cmp_ne_u32_e32 vcc_lo, 0, v2
	s_waitcnt lgkmcnt(0)
	v_mov_b32_dpp v6, v5 row_shr:1 row_mask:0xf bank_mask:0xf
	s_delay_alu instid0(VALU_DEP_1) | instskip(SKIP_1) | instid1(VALU_DEP_2)
	v_cndmask_b32_e32 v6, 0, v6, vcc_lo
	v_cmp_lt_u32_e32 vcc_lo, 1, v2
	v_add_nc_u32_e32 v5, v6, v5
	s_delay_alu instid0(VALU_DEP_1) | instskip(NEXT) | instid1(VALU_DEP_1)
	v_mov_b32_dpp v6, v5 row_shr:2 row_mask:0xf bank_mask:0xf
	v_cndmask_b32_e32 v6, 0, v6, vcc_lo
	v_cmp_lt_u32_e32 vcc_lo, 3, v2
	s_delay_alu instid0(VALU_DEP_2) | instskip(NEXT) | instid1(VALU_DEP_1)
	v_add_nc_u32_e32 v5, v5, v6
	v_mov_b32_dpp v6, v5 row_shr:4 row_mask:0xf bank_mask:0xf
	s_delay_alu instid0(VALU_DEP_1) | instskip(NEXT) | instid1(VALU_DEP_1)
	v_cndmask_b32_e32 v6, 0, v6, vcc_lo
	v_add_nc_u32_e32 v5, v5, v6
	ds_store_b32 v42, v5
.LBB298_394:                            ;   in Loop: Header=BB298_12 Depth=1
	s_or_b32 exec_lo, exec_lo, s11
	v_mov_b32_e32 v5, 0
	s_waitcnt lgkmcnt(0)
	s_barrier
	buffer_gl0_inv
	s_and_saveexec_b32 s11, s5
	s_cbranch_execz .LBB298_396
; %bb.395:                              ;   in Loop: Header=BB298_12 Depth=1
	ds_load_b32 v5, v43
.LBB298_396:                            ;   in Loop: Header=BB298_12 Depth=1
	s_or_b32 exec_lo, exec_lo, s11
	v_add_nc_u32_e32 v6, -1, v63
	s_waitcnt lgkmcnt(0)
	v_add_nc_u32_e32 v4, v5, v4
	v_cmp_eq_u32_e64 s11, 0, v63
	s_barrier
	v_cmp_gt_i32_e32 vcc_lo, 0, v6
	buffer_gl0_inv
	v_cndmask_b32_e32 v6, v6, v63, vcc_lo
	s_delay_alu instid0(VALU_DEP_1)
	v_lshlrev_b32_e32 v69, 2, v6
	ds_bpermute_b32 v4, v69, v4
	s_and_saveexec_b32 s12, s2
	s_cbranch_execz .LBB298_398
; %bb.397:                              ;   in Loop: Header=BB298_12 Depth=1
	s_waitcnt lgkmcnt(0)
	v_cndmask_b32_e64 v4, v4, v5, s11
	s_delay_alu instid0(VALU_DEP_1)
	v_add_nc_u32_e32 v4, s27, v4
	ds_store_b32 v28, v4
.LBB298_398:                            ;   in Loop: Header=BB298_12 Depth=1
	s_or_b32 exec_lo, exec_lo, s12
	s_load_b64 s[12:13], s[28:29], 0x0
	v_cmp_lt_u32_e64 s14, 3, v2
	v_add_co_u32 v71, vcc_lo, v64, v63
	v_add_co_ci_u32_e32 v72, vcc_lo, 0, v65, vcc_lo
	v_or_b32_e32 v70, v63, v44
	s_mov_b32 s42, s35
	s_mov_b32 s24, s27
                                        ; implicit-def: $vgpr8_vgpr9
                                        ; implicit-def: $vgpr10_vgpr11
                                        ; implicit-def: $vgpr12_vgpr13
                                        ; implicit-def: $vgpr14_vgpr15
                                        ; implicit-def: $vgpr16_vgpr17
                                        ; implicit-def: $vgpr18_vgpr19
                                        ; implicit-def: $vgpr85
                                        ; implicit-def: $vgpr86
                                        ; implicit-def: $vgpr87
                                        ; implicit-def: $vgpr88
                                        ; implicit-def: $vgpr89
                                        ; implicit-def: $vgpr90
                                        ; implicit-def: $vgpr91
                                        ; implicit-def: $vgpr92
	s_delay_alu instid0(VALU_DEP_1)
	v_or_b32_e32 v75, 32, v70
	v_or_b32_e32 v76, 64, v70
	;; [unrolled: 1-line block ×7, first 2 shown]
	s_waitcnt lgkmcnt(0)
	s_cmp_lt_u32 s15, s13
	s_cselect_b32 s13, 14, 20
	s_delay_alu instid0(SALU_CYCLE_1) | instskip(SKIP_4) | instid1(SALU_CYCLE_1)
	s_add_u32 s16, s28, s13
	s_addc_u32 s17, s29, 0
	s_cmp_lt_u32 s26, s12
	global_load_u16 v4, v3, s[16:17]
	s_cselect_b32 s12, 12, 18
	s_add_u32 s12, s28, s12
	s_addc_u32 s13, s29, 0
	global_load_u16 v6, v3, s[12:13]
	v_cmp_eq_u32_e64 s12, 0, v2
	v_cmp_lt_u32_e64 s13, 1, v2
	v_lshlrev_b32_e32 v2, 3, v63
	s_delay_alu instid0(VALU_DEP_1)
	v_add_co_u32 v73, vcc_lo, v61, v2
	v_add_co_ci_u32_e32 v74, vcc_lo, 0, v62, vcc_lo
	v_add_co_u32 v83, vcc_lo, 0xe0, v71
	v_add_co_ci_u32_e32 v84, vcc_lo, 0, v72, vcc_lo
	s_waitcnt vmcnt(1)
	v_mad_u32_u24 v7, v45, v4, v0
	s_waitcnt vmcnt(0)
	s_delay_alu instid0(VALU_DEP_1) | instskip(NEXT) | instid1(VALU_DEP_1)
	v_mad_u64_u32 v[4:5], null, v7, v6, v[1:2]
                                        ; implicit-def: $vgpr6_vgpr7
	v_lshrrev_b32_e32 v82, 5, v4
                                        ; implicit-def: $vgpr4_vgpr5
	s_branch .LBB298_400
.LBB298_399:                            ;   in Loop: Header=BB298_400 Depth=2
	s_or_b32 exec_lo, exec_lo, s16
	s_addk_i32 s42, 0xf800
	s_cmp_lt_u32 s43, s33
	s_mov_b32 s24, s43
	s_cbranch_scc0 .LBB298_512
.LBB298_400:                            ;   Parent Loop BB298_12 Depth=1
                                        ; =>  This Inner Loop Header: Depth=2
	s_add_i32 s43, s24, 0x800
	s_delay_alu instid0(SALU_CYCLE_1)
	s_cmp_gt_u32 s43, s33
	s_cbranch_scc1 .LBB298_403
; %bb.401:                              ;   in Loop: Header=BB298_400 Depth=2
	v_add_co_u32 v20, vcc_lo, v71, s24
	v_add_co_ci_u32_e32 v21, vcc_lo, 0, v72, vcc_lo
	s_mov_b32 s17, 0
	s_mov_b32 s16, s24
	s_mov_b32 s19, -1
	s_clause 0x6
	global_load_u8 v23, v[20:21], off offset:192
	global_load_u8 v24, v[20:21], off offset:160
	;; [unrolled: 1-line block ×6, first 2 shown]
	global_load_u8 v93, v[20:21], off
	s_movk_i32 s18, 0x800
	s_cbranch_execz .LBB298_404
; %bb.402:                              ;   in Loop: Header=BB298_400 Depth=2
                                        ; implicit-def: $vgpr22
	v_mov_b32_e32 v2, s42
	s_and_saveexec_b32 s20, s19
	s_cbranch_execnz .LBB298_413
	s_branch .LBB298_414
.LBB298_403:                            ;   in Loop: Header=BB298_400 Depth=2
	s_mov_b32 s17, -1
	s_mov_b32 s19, 0
                                        ; implicit-def: $sgpr18
                                        ; implicit-def: $vgpr93
                                        ; implicit-def: $vgpr95
                                        ; implicit-def: $vgpr27
                                        ; implicit-def: $vgpr26
                                        ; implicit-def: $vgpr25
                                        ; implicit-def: $vgpr24
                                        ; implicit-def: $vgpr23
.LBB298_404:                            ;   in Loop: Header=BB298_400 Depth=2
	v_add_co_u32 v20, vcc_lo, v71, s24
	v_add_co_ci_u32_e32 v21, vcc_lo, 0, v72, vcc_lo
	s_waitcnt vmcnt(0)
	v_dual_mov_b32 v93, 0x80 :: v_dual_mov_b32 v22, 0x80
	v_dual_mov_b32 v95, 0x80 :: v_dual_mov_b32 v26, 0x80
	;; [unrolled: 1-line block ×3, first 2 shown]
	v_mov_b32_e32 v25, 0x80
	v_mov_b32_e32 v23, 0x80
	s_mov_b32 s16, exec_lo
	v_cmpx_gt_u32_e64 s42, v70
	s_cbranch_execz .LBB298_506
; %bb.405:                              ;   in Loop: Header=BB298_400 Depth=2
	global_load_u8 v93, v[20:21], off
	v_dual_mov_b32 v95, 0x80 :: v_dual_mov_b32 v26, 0x80
	v_dual_mov_b32 v27, 0x80 :: v_dual_mov_b32 v24, 0x80
	;; [unrolled: 1-line block ×3, first 2 shown]
	v_mov_b32_e32 v23, 0x80
	s_or_b32 exec_lo, exec_lo, s16
	s_delay_alu instid0(SALU_CYCLE_1)
	s_mov_b32 s16, exec_lo
	v_cmpx_gt_u32_e64 s42, v75
	s_cbranch_execnz .LBB298_507
.LBB298_406:                            ;   in Loop: Header=BB298_400 Depth=2
	s_or_b32 exec_lo, exec_lo, s16
	s_delay_alu instid0(SALU_CYCLE_1)
	s_mov_b32 s16, exec_lo
	v_cmpx_gt_u32_e64 s42, v76
	s_cbranch_execz .LBB298_508
.LBB298_407:                            ;   in Loop: Header=BB298_400 Depth=2
	global_load_u8 v27, v[20:21], off offset:64
	s_or_b32 exec_lo, exec_lo, s16
	s_delay_alu instid0(SALU_CYCLE_1)
	s_mov_b32 s16, exec_lo
	v_cmpx_gt_u32_e64 s42, v77
	s_cbranch_execnz .LBB298_509
.LBB298_408:                            ;   in Loop: Header=BB298_400 Depth=2
	s_or_b32 exec_lo, exec_lo, s16
	s_delay_alu instid0(SALU_CYCLE_1)
	s_mov_b32 s16, exec_lo
	v_cmpx_gt_u32_e64 s42, v78
	s_cbranch_execz .LBB298_510
.LBB298_409:                            ;   in Loop: Header=BB298_400 Depth=2
	global_load_u8 v25, v[20:21], off offset:128
	s_or_b32 exec_lo, exec_lo, s16
	s_delay_alu instid0(SALU_CYCLE_1)
	s_mov_b32 s16, exec_lo
	v_cmpx_gt_u32_e64 s42, v79
	s_cbranch_execnz .LBB298_511
.LBB298_410:                            ;   in Loop: Header=BB298_400 Depth=2
	s_or_b32 exec_lo, exec_lo, s16
	s_delay_alu instid0(SALU_CYCLE_1)
	s_mov_b32 s16, exec_lo
	v_cmpx_gt_u32_e64 s42, v80
	s_cbranch_execz .LBB298_412
.LBB298_411:                            ;   in Loop: Header=BB298_400 Depth=2
	global_load_u8 v23, v[20:21], off offset:192
.LBB298_412:                            ;   in Loop: Header=BB298_400 Depth=2
	s_or_b32 exec_lo, exec_lo, s16
	v_cmp_gt_u32_e64 s19, s42, v81
	s_sub_i32 s18, s33, s24
	s_mov_b64 s[16:17], s[24:25]
	v_mov_b32_e32 v2, s42
	s_delay_alu instid0(VALU_DEP_2)
	s_and_saveexec_b32 s20, s19
	s_cbranch_execz .LBB298_414
.LBB298_413:                            ;   in Loop: Header=BB298_400 Depth=2
	v_add_co_u32 v20, vcc_lo, v83, s16
	v_add_co_ci_u32_e32 v21, vcc_lo, s17, v84, vcc_lo
	v_mov_b32_e32 v2, s18
	global_load_u8 v22, v[20:21], off
.LBB298_414:                            ;   in Loop: Header=BB298_400 Depth=2
	s_or_b32 exec_lo, exec_lo, s20
	s_waitcnt vmcnt(0)
	v_xor_b32_e32 v93, 0x7f, v93
	ds_store_b32 v46, v3 offset:1056
	ds_store_2addr_b32 v47, v3, v3 offset0:1 offset1:2
	ds_store_2addr_b32 v47, v3, v3 offset0:3 offset1:4
	;; [unrolled: 1-line block ×4, first 2 shown]
	s_waitcnt lgkmcnt(0)
	s_barrier
	v_and_b32_e32 v20, 0xff, v93
	buffer_gl0_inv
	; wave barrier
	v_lshrrev_b32_e32 v20, s49, v20
	s_delay_alu instid0(VALU_DEP_1) | instskip(NEXT) | instid1(VALU_DEP_1)
	v_and_b32_e32 v21, s31, v20
	v_and_b32_e32 v20, 1, v21
	v_lshlrev_b32_e32 v94, 30, v21
	v_lshlrev_b32_e32 v96, 29, v21
	;; [unrolled: 1-line block ×4, first 2 shown]
	v_add_co_u32 v20, s16, v20, -1
	s_delay_alu instid0(VALU_DEP_1)
	v_cndmask_b32_e64 v98, 0, 1, s16
	v_not_b32_e32 v102, v94
	v_cmp_gt_i32_e64 s16, 0, v94
	v_not_b32_e32 v94, v96
	v_lshlrev_b32_e32 v100, 26, v21
	v_cmp_ne_u32_e32 vcc_lo, 0, v98
	v_ashrrev_i32_e32 v102, 31, v102
	v_lshlrev_b32_e32 v101, 25, v21
	v_ashrrev_i32_e32 v94, 31, v94
	v_lshlrev_b32_e32 v98, 24, v21
	v_xor_b32_e32 v20, vcc_lo, v20
	v_cmp_gt_i32_e32 vcc_lo, 0, v96
	v_not_b32_e32 v96, v97
	v_xor_b32_e32 v102, s16, v102
	v_cmp_gt_i32_e64 s16, 0, v97
	v_and_b32_e32 v20, exec_lo, v20
	v_not_b32_e32 v97, v99
	v_ashrrev_i32_e32 v96, 31, v96
	v_xor_b32_e32 v94, vcc_lo, v94
	v_cmp_gt_i32_e32 vcc_lo, 0, v99
	v_and_b32_e32 v20, v20, v102
	v_not_b32_e32 v99, v100
	v_ashrrev_i32_e32 v97, 31, v97
	v_xor_b32_e32 v96, s16, v96
	v_cmp_gt_i32_e64 s16, 0, v100
	v_and_b32_e32 v20, v20, v94
	v_not_b32_e32 v94, v101
	v_ashrrev_i32_e32 v99, 31, v99
	v_xor_b32_e32 v97, vcc_lo, v97
	v_cmp_gt_i32_e32 vcc_lo, 0, v101
	v_and_b32_e32 v20, v20, v96
	v_not_b32_e32 v96, v98
	v_ashrrev_i32_e32 v94, 31, v94
	v_xor_b32_e32 v99, s16, v99
	v_cmp_gt_i32_e64 s16, 0, v98
	v_and_b32_e32 v20, v20, v97
	v_ashrrev_i32_e32 v96, 31, v96
	v_xor_b32_e32 v94, vcc_lo, v94
	v_mad_u32_u24 v21, v21, 9, v82
	s_delay_alu instid0(VALU_DEP_4) | instskip(NEXT) | instid1(VALU_DEP_4)
	v_and_b32_e32 v20, v20, v99
	v_xor_b32_e32 v96, s16, v96
	s_delay_alu instid0(VALU_DEP_2) | instskip(NEXT) | instid1(VALU_DEP_1)
	v_and_b32_e32 v20, v20, v94
	v_and_b32_e32 v20, v20, v96
	v_lshl_add_u32 v96, v21, 2, 0x420
	s_delay_alu instid0(VALU_DEP_2) | instskip(SKIP_1) | instid1(VALU_DEP_2)
	v_mbcnt_lo_u32_b32 v94, v20, 0
	v_cmp_ne_u32_e64 s16, 0, v20
	v_cmp_eq_u32_e32 vcc_lo, 0, v94
	s_delay_alu instid0(VALU_DEP_2) | instskip(NEXT) | instid1(SALU_CYCLE_1)
	s_and_b32 s17, s16, vcc_lo
	s_and_saveexec_b32 s16, s17
	s_cbranch_execz .LBB298_416
; %bb.415:                              ;   in Loop: Header=BB298_400 Depth=2
	v_bcnt_u32_b32 v20, v20, 0
	ds_store_b32 v96, v20
.LBB298_416:                            ;   in Loop: Header=BB298_400 Depth=2
	s_or_b32 exec_lo, exec_lo, s16
	v_xor_b32_e32 v95, 0x7f, v95
	; wave barrier
	s_delay_alu instid0(VALU_DEP_1) | instskip(NEXT) | instid1(VALU_DEP_1)
	v_and_b32_e32 v20, 0xff, v95
	v_lshrrev_b32_e32 v20, s49, v20
	s_delay_alu instid0(VALU_DEP_1) | instskip(NEXT) | instid1(VALU_DEP_1)
	v_and_b32_e32 v20, s31, v20
	v_and_b32_e32 v21, 1, v20
	v_lshlrev_b32_e32 v97, 30, v20
	v_lshlrev_b32_e32 v98, 29, v20
	;; [unrolled: 1-line block ×4, first 2 shown]
	v_add_co_u32 v21, s16, v21, -1
	s_delay_alu instid0(VALU_DEP_1)
	v_cndmask_b32_e64 v100, 0, 1, s16
	v_not_b32_e32 v104, v97
	v_cmp_gt_i32_e64 s16, 0, v97
	v_not_b32_e32 v97, v98
	v_lshlrev_b32_e32 v102, 26, v20
	v_cmp_ne_u32_e32 vcc_lo, 0, v100
	v_ashrrev_i32_e32 v104, 31, v104
	v_lshlrev_b32_e32 v103, 25, v20
	v_ashrrev_i32_e32 v97, 31, v97
	v_lshlrev_b32_e32 v100, 24, v20
	v_xor_b32_e32 v21, vcc_lo, v21
	v_cmp_gt_i32_e32 vcc_lo, 0, v98
	v_not_b32_e32 v98, v99
	v_xor_b32_e32 v104, s16, v104
	v_cmp_gt_i32_e64 s16, 0, v99
	v_and_b32_e32 v21, exec_lo, v21
	v_not_b32_e32 v99, v101
	v_ashrrev_i32_e32 v98, 31, v98
	v_xor_b32_e32 v97, vcc_lo, v97
	v_cmp_gt_i32_e32 vcc_lo, 0, v101
	v_and_b32_e32 v21, v21, v104
	v_not_b32_e32 v101, v102
	v_ashrrev_i32_e32 v99, 31, v99
	v_xor_b32_e32 v98, s16, v98
	v_cmp_gt_i32_e64 s16, 0, v102
	v_and_b32_e32 v21, v21, v97
	v_not_b32_e32 v97, v103
	v_ashrrev_i32_e32 v101, 31, v101
	v_xor_b32_e32 v99, vcc_lo, v99
	v_cmp_gt_i32_e32 vcc_lo, 0, v103
	v_and_b32_e32 v21, v21, v98
	v_not_b32_e32 v98, v100
	v_ashrrev_i32_e32 v97, 31, v97
	v_xor_b32_e32 v101, s16, v101
	v_mul_u32_u24_e32 v20, 9, v20
	v_and_b32_e32 v21, v21, v99
	v_cmp_gt_i32_e64 s16, 0, v100
	v_ashrrev_i32_e32 v98, 31, v98
	v_xor_b32_e32 v97, vcc_lo, v97
	v_add_lshl_u32 v99, v20, v82, 2
	v_and_b32_e32 v21, v21, v101
	s_delay_alu instid0(VALU_DEP_4) | instskip(NEXT) | instid1(VALU_DEP_3)
	v_xor_b32_e32 v20, s16, v98
	v_add_nc_u32_e32 v100, 0x420, v99
	s_delay_alu instid0(VALU_DEP_3) | instskip(SKIP_2) | instid1(VALU_DEP_1)
	v_and_b32_e32 v21, v21, v97
	ds_load_b32 v97, v99 offset:1056
	; wave barrier
	v_and_b32_e32 v20, v21, v20
	v_mbcnt_lo_u32_b32 v98, v20, 0
	v_cmp_ne_u32_e64 s16, 0, v20
	s_delay_alu instid0(VALU_DEP_2) | instskip(NEXT) | instid1(VALU_DEP_2)
	v_cmp_eq_u32_e32 vcc_lo, 0, v98
	s_and_b32 s17, s16, vcc_lo
	s_delay_alu instid0(SALU_CYCLE_1)
	s_and_saveexec_b32 s16, s17
	s_cbranch_execz .LBB298_418
; %bb.417:                              ;   in Loop: Header=BB298_400 Depth=2
	s_waitcnt lgkmcnt(0)
	v_bcnt_u32_b32 v20, v20, v97
	ds_store_b32 v100, v20
.LBB298_418:                            ;   in Loop: Header=BB298_400 Depth=2
	s_or_b32 exec_lo, exec_lo, s16
	v_xor_b32_e32 v99, 0x7f, v27
	; wave barrier
	s_delay_alu instid0(VALU_DEP_1) | instskip(NEXT) | instid1(VALU_DEP_1)
	v_and_b32_e32 v20, 0xff, v99
	v_lshrrev_b32_e32 v20, s49, v20
	s_delay_alu instid0(VALU_DEP_1) | instskip(NEXT) | instid1(VALU_DEP_1)
	v_and_b32_e32 v20, s31, v20
	v_and_b32_e32 v21, 1, v20
	v_lshlrev_b32_e32 v27, 30, v20
	v_lshlrev_b32_e32 v101, 29, v20
	;; [unrolled: 1-line block ×4, first 2 shown]
	v_add_co_u32 v21, s16, v21, -1
	s_delay_alu instid0(VALU_DEP_1)
	v_cndmask_b32_e64 v103, 0, 1, s16
	v_not_b32_e32 v107, v27
	v_cmp_gt_i32_e64 s16, 0, v27
	v_not_b32_e32 v27, v101
	v_lshlrev_b32_e32 v105, 26, v20
	v_cmp_ne_u32_e32 vcc_lo, 0, v103
	v_ashrrev_i32_e32 v107, 31, v107
	v_lshlrev_b32_e32 v106, 25, v20
	v_ashrrev_i32_e32 v27, 31, v27
	v_lshlrev_b32_e32 v103, 24, v20
	v_xor_b32_e32 v21, vcc_lo, v21
	v_cmp_gt_i32_e32 vcc_lo, 0, v101
	v_not_b32_e32 v101, v102
	v_xor_b32_e32 v107, s16, v107
	v_cmp_gt_i32_e64 s16, 0, v102
	v_and_b32_e32 v21, exec_lo, v21
	v_not_b32_e32 v102, v104
	v_ashrrev_i32_e32 v101, 31, v101
	v_xor_b32_e32 v27, vcc_lo, v27
	v_cmp_gt_i32_e32 vcc_lo, 0, v104
	v_and_b32_e32 v21, v21, v107
	v_not_b32_e32 v104, v105
	v_ashrrev_i32_e32 v102, 31, v102
	v_xor_b32_e32 v101, s16, v101
	v_cmp_gt_i32_e64 s16, 0, v105
	v_and_b32_e32 v21, v21, v27
	v_not_b32_e32 v27, v106
	v_ashrrev_i32_e32 v104, 31, v104
	v_xor_b32_e32 v102, vcc_lo, v102
	v_cmp_gt_i32_e32 vcc_lo, 0, v106
	v_and_b32_e32 v21, v21, v101
	v_not_b32_e32 v101, v103
	v_ashrrev_i32_e32 v27, 31, v27
	v_xor_b32_e32 v104, s16, v104
	v_mul_u32_u24_e32 v20, 9, v20
	v_and_b32_e32 v21, v21, v102
	v_cmp_gt_i32_e64 s16, 0, v103
	v_ashrrev_i32_e32 v101, 31, v101
	v_xor_b32_e32 v27, vcc_lo, v27
	v_add_lshl_u32 v103, v20, v82, 2
	v_and_b32_e32 v21, v21, v104
	s_delay_alu instid0(VALU_DEP_4) | instskip(SKIP_3) | instid1(VALU_DEP_2)
	v_xor_b32_e32 v20, s16, v101
	ds_load_b32 v101, v103 offset:1056
	v_and_b32_e32 v21, v21, v27
	v_add_nc_u32_e32 v104, 0x420, v103
	; wave barrier
	v_and_b32_e32 v20, v21, v20
	s_delay_alu instid0(VALU_DEP_1) | instskip(SKIP_1) | instid1(VALU_DEP_2)
	v_mbcnt_lo_u32_b32 v102, v20, 0
	v_cmp_ne_u32_e64 s16, 0, v20
	v_cmp_eq_u32_e32 vcc_lo, 0, v102
	s_delay_alu instid0(VALU_DEP_2) | instskip(NEXT) | instid1(SALU_CYCLE_1)
	s_and_b32 s17, s16, vcc_lo
	s_and_saveexec_b32 s16, s17
	s_cbranch_execz .LBB298_420
; %bb.419:                              ;   in Loop: Header=BB298_400 Depth=2
	s_waitcnt lgkmcnt(0)
	v_bcnt_u32_b32 v20, v20, v101
	ds_store_b32 v104, v20
.LBB298_420:                            ;   in Loop: Header=BB298_400 Depth=2
	s_or_b32 exec_lo, exec_lo, s16
	v_xor_b32_e32 v103, 0x7f, v26
	; wave barrier
	s_delay_alu instid0(VALU_DEP_1) | instskip(NEXT) | instid1(VALU_DEP_1)
	v_and_b32_e32 v20, 0xff, v103
	v_lshrrev_b32_e32 v20, s49, v20
	s_delay_alu instid0(VALU_DEP_1) | instskip(NEXT) | instid1(VALU_DEP_1)
	v_and_b32_e32 v20, s31, v20
	v_and_b32_e32 v21, 1, v20
	v_lshlrev_b32_e32 v26, 30, v20
	v_lshlrev_b32_e32 v27, 29, v20
	;; [unrolled: 1-line block ×4, first 2 shown]
	v_add_co_u32 v21, s16, v21, -1
	s_delay_alu instid0(VALU_DEP_1)
	v_cndmask_b32_e64 v106, 0, 1, s16
	v_not_b32_e32 v110, v26
	v_cmp_gt_i32_e64 s16, 0, v26
	v_not_b32_e32 v26, v27
	v_lshlrev_b32_e32 v108, 26, v20
	v_cmp_ne_u32_e32 vcc_lo, 0, v106
	v_ashrrev_i32_e32 v110, 31, v110
	v_lshlrev_b32_e32 v109, 25, v20
	v_ashrrev_i32_e32 v26, 31, v26
	v_lshlrev_b32_e32 v106, 24, v20
	v_xor_b32_e32 v21, vcc_lo, v21
	v_cmp_gt_i32_e32 vcc_lo, 0, v27
	v_not_b32_e32 v27, v105
	v_xor_b32_e32 v110, s16, v110
	v_cmp_gt_i32_e64 s16, 0, v105
	v_and_b32_e32 v21, exec_lo, v21
	v_not_b32_e32 v105, v107
	v_ashrrev_i32_e32 v27, 31, v27
	v_xor_b32_e32 v26, vcc_lo, v26
	v_cmp_gt_i32_e32 vcc_lo, 0, v107
	v_and_b32_e32 v21, v21, v110
	v_not_b32_e32 v107, v108
	v_ashrrev_i32_e32 v105, 31, v105
	v_xor_b32_e32 v27, s16, v27
	v_cmp_gt_i32_e64 s16, 0, v108
	v_and_b32_e32 v21, v21, v26
	v_not_b32_e32 v26, v109
	v_ashrrev_i32_e32 v107, 31, v107
	v_xor_b32_e32 v105, vcc_lo, v105
	v_cmp_gt_i32_e32 vcc_lo, 0, v109
	v_and_b32_e32 v21, v21, v27
	v_not_b32_e32 v27, v106
	v_ashrrev_i32_e32 v26, 31, v26
	v_xor_b32_e32 v107, s16, v107
	v_mul_u32_u24_e32 v20, 9, v20
	v_and_b32_e32 v21, v21, v105
	v_cmp_gt_i32_e64 s16, 0, v106
	v_ashrrev_i32_e32 v27, 31, v27
	v_xor_b32_e32 v26, vcc_lo, v26
	s_delay_alu instid0(VALU_DEP_4) | instskip(SKIP_1) | instid1(VALU_DEP_4)
	v_and_b32_e32 v21, v21, v107
	v_add_lshl_u32 v107, v20, v82, 2
	v_xor_b32_e32 v20, s16, v27
	s_delay_alu instid0(VALU_DEP_3) | instskip(SKIP_3) | instid1(VALU_DEP_1)
	v_and_b32_e32 v21, v21, v26
	ds_load_b32 v105, v107 offset:1056
	v_add_nc_u32_e32 v108, 0x420, v107
	; wave barrier
	v_and_b32_e32 v20, v21, v20
	v_mbcnt_lo_u32_b32 v106, v20, 0
	v_cmp_ne_u32_e64 s16, 0, v20
	s_delay_alu instid0(VALU_DEP_2) | instskip(NEXT) | instid1(VALU_DEP_2)
	v_cmp_eq_u32_e32 vcc_lo, 0, v106
	s_and_b32 s17, s16, vcc_lo
	s_delay_alu instid0(SALU_CYCLE_1)
	s_and_saveexec_b32 s16, s17
	s_cbranch_execz .LBB298_422
; %bb.421:                              ;   in Loop: Header=BB298_400 Depth=2
	s_waitcnt lgkmcnt(0)
	v_bcnt_u32_b32 v20, v20, v105
	ds_store_b32 v108, v20
.LBB298_422:                            ;   in Loop: Header=BB298_400 Depth=2
	s_or_b32 exec_lo, exec_lo, s16
	v_xor_b32_e32 v107, 0x7f, v25
	; wave barrier
	s_delay_alu instid0(VALU_DEP_1) | instskip(NEXT) | instid1(VALU_DEP_1)
	v_and_b32_e32 v20, 0xff, v107
	v_lshrrev_b32_e32 v20, s49, v20
	s_delay_alu instid0(VALU_DEP_1) | instskip(NEXT) | instid1(VALU_DEP_1)
	v_and_b32_e32 v20, s31, v20
	v_and_b32_e32 v21, 1, v20
	v_lshlrev_b32_e32 v25, 30, v20
	v_lshlrev_b32_e32 v26, 29, v20
	;; [unrolled: 1-line block ×4, first 2 shown]
	v_add_co_u32 v21, s16, v21, -1
	s_delay_alu instid0(VALU_DEP_1)
	v_cndmask_b32_e64 v109, 0, 1, s16
	v_not_b32_e32 v113, v25
	v_cmp_gt_i32_e64 s16, 0, v25
	v_not_b32_e32 v25, v26
	v_lshlrev_b32_e32 v111, 26, v20
	v_cmp_ne_u32_e32 vcc_lo, 0, v109
	v_ashrrev_i32_e32 v113, 31, v113
	v_lshlrev_b32_e32 v112, 25, v20
	v_ashrrev_i32_e32 v25, 31, v25
	v_lshlrev_b32_e32 v109, 24, v20
	v_xor_b32_e32 v21, vcc_lo, v21
	v_cmp_gt_i32_e32 vcc_lo, 0, v26
	v_not_b32_e32 v26, v27
	v_xor_b32_e32 v113, s16, v113
	v_cmp_gt_i32_e64 s16, 0, v27
	v_and_b32_e32 v21, exec_lo, v21
	v_not_b32_e32 v27, v110
	v_ashrrev_i32_e32 v26, 31, v26
	v_xor_b32_e32 v25, vcc_lo, v25
	v_cmp_gt_i32_e32 vcc_lo, 0, v110
	v_and_b32_e32 v21, v21, v113
	v_not_b32_e32 v110, v111
	v_ashrrev_i32_e32 v27, 31, v27
	v_xor_b32_e32 v26, s16, v26
	v_cmp_gt_i32_e64 s16, 0, v111
	v_and_b32_e32 v21, v21, v25
	v_not_b32_e32 v25, v112
	v_ashrrev_i32_e32 v110, 31, v110
	v_xor_b32_e32 v27, vcc_lo, v27
	v_cmp_gt_i32_e32 vcc_lo, 0, v112
	v_and_b32_e32 v21, v21, v26
	v_not_b32_e32 v26, v109
	v_ashrrev_i32_e32 v25, 31, v25
	v_xor_b32_e32 v110, s16, v110
	v_mul_u32_u24_e32 v20, 9, v20
	v_and_b32_e32 v21, v21, v27
	v_cmp_gt_i32_e64 s16, 0, v109
	v_ashrrev_i32_e32 v26, 31, v26
	v_xor_b32_e32 v25, vcc_lo, v25
	v_add_lshl_u32 v27, v20, v82, 2
	v_and_b32_e32 v21, v21, v110
	s_delay_alu instid0(VALU_DEP_4) | instskip(SKIP_3) | instid1(VALU_DEP_2)
	v_xor_b32_e32 v20, s16, v26
	ds_load_b32 v109, v27 offset:1056
	v_and_b32_e32 v21, v21, v25
	v_add_nc_u32_e32 v112, 0x420, v27
	; wave barrier
	v_and_b32_e32 v20, v21, v20
	s_delay_alu instid0(VALU_DEP_1) | instskip(SKIP_1) | instid1(VALU_DEP_2)
	v_mbcnt_lo_u32_b32 v110, v20, 0
	v_cmp_ne_u32_e64 s16, 0, v20
	v_cmp_eq_u32_e32 vcc_lo, 0, v110
	s_delay_alu instid0(VALU_DEP_2) | instskip(NEXT) | instid1(SALU_CYCLE_1)
	s_and_b32 s17, s16, vcc_lo
	s_and_saveexec_b32 s16, s17
	s_cbranch_execz .LBB298_424
; %bb.423:                              ;   in Loop: Header=BB298_400 Depth=2
	s_waitcnt lgkmcnt(0)
	v_bcnt_u32_b32 v20, v20, v109
	ds_store_b32 v112, v20
.LBB298_424:                            ;   in Loop: Header=BB298_400 Depth=2
	s_or_b32 exec_lo, exec_lo, s16
	v_xor_b32_e32 v111, 0x7f, v24
	; wave barrier
	s_delay_alu instid0(VALU_DEP_1) | instskip(NEXT) | instid1(VALU_DEP_1)
	v_and_b32_e32 v20, 0xff, v111
	v_lshrrev_b32_e32 v20, s49, v20
	s_delay_alu instid0(VALU_DEP_1) | instskip(NEXT) | instid1(VALU_DEP_1)
	v_and_b32_e32 v20, s31, v20
	v_and_b32_e32 v21, 1, v20
	v_lshlrev_b32_e32 v24, 30, v20
	v_lshlrev_b32_e32 v25, 29, v20
	;; [unrolled: 1-line block ×4, first 2 shown]
	v_add_co_u32 v21, s16, v21, -1
	s_delay_alu instid0(VALU_DEP_1)
	v_cndmask_b32_e64 v27, 0, 1, s16
	v_not_b32_e32 v116, v24
	v_cmp_gt_i32_e64 s16, 0, v24
	v_not_b32_e32 v24, v25
	v_lshlrev_b32_e32 v114, 26, v20
	v_cmp_ne_u32_e32 vcc_lo, 0, v27
	v_ashrrev_i32_e32 v116, 31, v116
	v_lshlrev_b32_e32 v115, 25, v20
	v_ashrrev_i32_e32 v24, 31, v24
	v_lshlrev_b32_e32 v27, 24, v20
	v_xor_b32_e32 v21, vcc_lo, v21
	v_cmp_gt_i32_e32 vcc_lo, 0, v25
	v_not_b32_e32 v25, v26
	v_xor_b32_e32 v116, s16, v116
	v_cmp_gt_i32_e64 s16, 0, v26
	v_and_b32_e32 v21, exec_lo, v21
	v_not_b32_e32 v26, v113
	v_ashrrev_i32_e32 v25, 31, v25
	v_xor_b32_e32 v24, vcc_lo, v24
	v_cmp_gt_i32_e32 vcc_lo, 0, v113
	v_and_b32_e32 v21, v21, v116
	v_not_b32_e32 v113, v114
	v_ashrrev_i32_e32 v26, 31, v26
	v_xor_b32_e32 v25, s16, v25
	v_cmp_gt_i32_e64 s16, 0, v114
	v_and_b32_e32 v21, v21, v24
	v_not_b32_e32 v24, v115
	v_ashrrev_i32_e32 v113, 31, v113
	v_xor_b32_e32 v26, vcc_lo, v26
	v_cmp_gt_i32_e32 vcc_lo, 0, v115
	v_and_b32_e32 v21, v21, v25
	v_not_b32_e32 v25, v27
	v_ashrrev_i32_e32 v24, 31, v24
	v_xor_b32_e32 v113, s16, v113
	v_mul_u32_u24_e32 v20, 9, v20
	v_and_b32_e32 v21, v21, v26
	v_cmp_gt_i32_e64 s16, 0, v27
	v_ashrrev_i32_e32 v25, 31, v25
	v_xor_b32_e32 v24, vcc_lo, v24
	v_add_lshl_u32 v26, v20, v82, 2
	v_and_b32_e32 v21, v21, v113
	s_delay_alu instid0(VALU_DEP_4) | instskip(SKIP_3) | instid1(VALU_DEP_2)
	v_xor_b32_e32 v20, s16, v25
	ds_load_b32 v113, v26 offset:1056
	v_and_b32_e32 v21, v21, v24
	v_add_nc_u32_e32 v116, 0x420, v26
	; wave barrier
	v_and_b32_e32 v20, v21, v20
	s_delay_alu instid0(VALU_DEP_1) | instskip(SKIP_1) | instid1(VALU_DEP_2)
	v_mbcnt_lo_u32_b32 v114, v20, 0
	v_cmp_ne_u32_e64 s16, 0, v20
	v_cmp_eq_u32_e32 vcc_lo, 0, v114
	s_delay_alu instid0(VALU_DEP_2) | instskip(NEXT) | instid1(SALU_CYCLE_1)
	s_and_b32 s17, s16, vcc_lo
	s_and_saveexec_b32 s16, s17
	s_cbranch_execz .LBB298_426
; %bb.425:                              ;   in Loop: Header=BB298_400 Depth=2
	s_waitcnt lgkmcnt(0)
	v_bcnt_u32_b32 v20, v20, v113
	ds_store_b32 v116, v20
.LBB298_426:                            ;   in Loop: Header=BB298_400 Depth=2
	s_or_b32 exec_lo, exec_lo, s16
	v_xor_b32_e32 v115, 0x7f, v23
	; wave barrier
	s_delay_alu instid0(VALU_DEP_1) | instskip(NEXT) | instid1(VALU_DEP_1)
	v_and_b32_e32 v20, 0xff, v115
	v_lshrrev_b32_e32 v20, s49, v20
	s_delay_alu instid0(VALU_DEP_1) | instskip(NEXT) | instid1(VALU_DEP_1)
	v_and_b32_e32 v20, s31, v20
	v_and_b32_e32 v21, 1, v20
	v_lshlrev_b32_e32 v23, 30, v20
	v_lshlrev_b32_e32 v24, 29, v20
	;; [unrolled: 1-line block ×4, first 2 shown]
	v_add_co_u32 v21, s16, v21, -1
	s_delay_alu instid0(VALU_DEP_1)
	v_cndmask_b32_e64 v26, 0, 1, s16
	v_not_b32_e32 v119, v23
	v_cmp_gt_i32_e64 s16, 0, v23
	v_not_b32_e32 v23, v24
	v_lshlrev_b32_e32 v117, 26, v20
	v_cmp_ne_u32_e32 vcc_lo, 0, v26
	v_ashrrev_i32_e32 v119, 31, v119
	v_lshlrev_b32_e32 v118, 25, v20
	v_ashrrev_i32_e32 v23, 31, v23
	v_lshlrev_b32_e32 v26, 24, v20
	v_xor_b32_e32 v21, vcc_lo, v21
	v_cmp_gt_i32_e32 vcc_lo, 0, v24
	v_not_b32_e32 v24, v25
	v_xor_b32_e32 v119, s16, v119
	v_cmp_gt_i32_e64 s16, 0, v25
	v_and_b32_e32 v21, exec_lo, v21
	v_not_b32_e32 v25, v27
	v_ashrrev_i32_e32 v24, 31, v24
	v_xor_b32_e32 v23, vcc_lo, v23
	v_cmp_gt_i32_e32 vcc_lo, 0, v27
	v_and_b32_e32 v21, v21, v119
	v_not_b32_e32 v27, v117
	v_ashrrev_i32_e32 v25, 31, v25
	v_xor_b32_e32 v24, s16, v24
	v_cmp_gt_i32_e64 s16, 0, v117
	v_and_b32_e32 v21, v21, v23
	v_not_b32_e32 v23, v118
	v_ashrrev_i32_e32 v27, 31, v27
	v_xor_b32_e32 v25, vcc_lo, v25
	v_cmp_gt_i32_e32 vcc_lo, 0, v118
	v_and_b32_e32 v21, v21, v24
	v_not_b32_e32 v24, v26
	v_ashrrev_i32_e32 v23, 31, v23
	v_xor_b32_e32 v27, s16, v27
	v_mul_u32_u24_e32 v20, 9, v20
	v_and_b32_e32 v21, v21, v25
	v_cmp_gt_i32_e64 s16, 0, v26
	v_ashrrev_i32_e32 v24, 31, v24
	v_xor_b32_e32 v23, vcc_lo, v23
	v_add_lshl_u32 v25, v20, v82, 2
	v_and_b32_e32 v21, v21, v27
	s_delay_alu instid0(VALU_DEP_4) | instskip(SKIP_3) | instid1(VALU_DEP_2)
	v_xor_b32_e32 v20, s16, v24
	ds_load_b32 v117, v25 offset:1056
	v_and_b32_e32 v21, v21, v23
	v_add_nc_u32_e32 v120, 0x420, v25
	; wave barrier
	v_and_b32_e32 v20, v21, v20
	s_delay_alu instid0(VALU_DEP_1) | instskip(SKIP_1) | instid1(VALU_DEP_2)
	v_mbcnt_lo_u32_b32 v118, v20, 0
	v_cmp_ne_u32_e64 s16, 0, v20
	v_cmp_eq_u32_e32 vcc_lo, 0, v118
	s_delay_alu instid0(VALU_DEP_2) | instskip(NEXT) | instid1(SALU_CYCLE_1)
	s_and_b32 s17, s16, vcc_lo
	s_and_saveexec_b32 s16, s17
	s_cbranch_execz .LBB298_428
; %bb.427:                              ;   in Loop: Header=BB298_400 Depth=2
	s_waitcnt lgkmcnt(0)
	v_bcnt_u32_b32 v20, v20, v117
	ds_store_b32 v120, v20
.LBB298_428:                            ;   in Loop: Header=BB298_400 Depth=2
	s_or_b32 exec_lo, exec_lo, s16
	v_xor_b32_e32 v119, 0x7f, v22
	; wave barrier
	s_delay_alu instid0(VALU_DEP_1) | instskip(NEXT) | instid1(VALU_DEP_1)
	v_and_b32_e32 v20, 0xff, v119
	v_lshrrev_b32_e32 v20, s49, v20
	s_delay_alu instid0(VALU_DEP_1) | instskip(NEXT) | instid1(VALU_DEP_1)
	v_and_b32_e32 v20, s31, v20
	v_and_b32_e32 v21, 1, v20
	v_lshlrev_b32_e32 v22, 30, v20
	v_lshlrev_b32_e32 v23, 29, v20
	;; [unrolled: 1-line block ×4, first 2 shown]
	v_add_co_u32 v21, s16, v21, -1
	s_delay_alu instid0(VALU_DEP_1)
	v_cndmask_b32_e64 v25, 0, 1, s16
	v_not_b32_e32 v122, v22
	v_cmp_gt_i32_e64 s16, 0, v22
	v_not_b32_e32 v22, v23
	v_lshlrev_b32_e32 v27, 26, v20
	v_cmp_ne_u32_e32 vcc_lo, 0, v25
	v_ashrrev_i32_e32 v122, 31, v122
	v_lshlrev_b32_e32 v121, 25, v20
	v_ashrrev_i32_e32 v22, 31, v22
	v_lshlrev_b32_e32 v25, 24, v20
	v_xor_b32_e32 v21, vcc_lo, v21
	v_cmp_gt_i32_e32 vcc_lo, 0, v23
	v_not_b32_e32 v23, v24
	v_xor_b32_e32 v122, s16, v122
	v_cmp_gt_i32_e64 s16, 0, v24
	v_and_b32_e32 v21, exec_lo, v21
	v_not_b32_e32 v24, v26
	v_ashrrev_i32_e32 v23, 31, v23
	v_xor_b32_e32 v22, vcc_lo, v22
	v_cmp_gt_i32_e32 vcc_lo, 0, v26
	v_and_b32_e32 v21, v21, v122
	v_not_b32_e32 v26, v27
	v_ashrrev_i32_e32 v24, 31, v24
	v_xor_b32_e32 v23, s16, v23
	v_cmp_gt_i32_e64 s16, 0, v27
	v_and_b32_e32 v21, v21, v22
	v_not_b32_e32 v22, v121
	v_ashrrev_i32_e32 v26, 31, v26
	v_xor_b32_e32 v24, vcc_lo, v24
	v_cmp_gt_i32_e32 vcc_lo, 0, v121
	v_and_b32_e32 v21, v21, v23
	v_not_b32_e32 v23, v25
	v_ashrrev_i32_e32 v22, 31, v22
	v_xor_b32_e32 v26, s16, v26
	v_mul_u32_u24_e32 v20, 9, v20
	v_and_b32_e32 v21, v21, v24
	v_cmp_gt_i32_e64 s16, 0, v25
	v_ashrrev_i32_e32 v23, 31, v23
	v_xor_b32_e32 v22, vcc_lo, v22
	v_add_lshl_u32 v24, v20, v82, 2
	v_and_b32_e32 v21, v21, v26
	s_delay_alu instid0(VALU_DEP_4) | instskip(SKIP_3) | instid1(VALU_DEP_2)
	v_xor_b32_e32 v20, s16, v23
	ds_load_b32 v121, v24 offset:1056
	v_and_b32_e32 v21, v21, v22
	v_add_nc_u32_e32 v123, 0x420, v24
	; wave barrier
	v_and_b32_e32 v20, v21, v20
	s_delay_alu instid0(VALU_DEP_1) | instskip(SKIP_1) | instid1(VALU_DEP_2)
	v_mbcnt_lo_u32_b32 v122, v20, 0
	v_cmp_ne_u32_e64 s16, 0, v20
	v_cmp_eq_u32_e32 vcc_lo, 0, v122
	s_delay_alu instid0(VALU_DEP_2) | instskip(NEXT) | instid1(SALU_CYCLE_1)
	s_and_b32 s17, s16, vcc_lo
	s_and_saveexec_b32 s16, s17
	s_cbranch_execz .LBB298_430
; %bb.429:                              ;   in Loop: Header=BB298_400 Depth=2
	s_waitcnt lgkmcnt(0)
	v_bcnt_u32_b32 v20, v20, v121
	ds_store_b32 v123, v20
.LBB298_430:                            ;   in Loop: Header=BB298_400 Depth=2
	s_or_b32 exec_lo, exec_lo, s16
	; wave barrier
	s_waitcnt lgkmcnt(0)
	s_barrier
	buffer_gl0_inv
	ds_load_b32 v124, v46 offset:1056
	ds_load_2addr_b32 v[26:27], v47 offset0:1 offset1:2
	ds_load_2addr_b32 v[24:25], v47 offset0:3 offset1:4
	;; [unrolled: 1-line block ×4, first 2 shown]
	s_waitcnt lgkmcnt(3)
	v_add3_u32 v125, v26, v124, v27
	s_waitcnt lgkmcnt(2)
	s_delay_alu instid0(VALU_DEP_1) | instskip(SKIP_1) | instid1(VALU_DEP_1)
	v_add3_u32 v125, v125, v24, v25
	s_waitcnt lgkmcnt(1)
	v_add3_u32 v125, v125, v20, v21
	s_waitcnt lgkmcnt(0)
	s_delay_alu instid0(VALU_DEP_1) | instskip(NEXT) | instid1(VALU_DEP_1)
	v_add3_u32 v23, v125, v22, v23
	v_mov_b32_dpp v125, v23 row_shr:1 row_mask:0xf bank_mask:0xf
	s_delay_alu instid0(VALU_DEP_1) | instskip(NEXT) | instid1(VALU_DEP_1)
	v_cndmask_b32_e64 v125, v125, 0, s0
	v_add_nc_u32_e32 v23, v125, v23
	s_delay_alu instid0(VALU_DEP_1) | instskip(NEXT) | instid1(VALU_DEP_1)
	v_mov_b32_dpp v125, v23 row_shr:2 row_mask:0xf bank_mask:0xf
	v_cndmask_b32_e64 v125, 0, v125, s1
	s_delay_alu instid0(VALU_DEP_1) | instskip(NEXT) | instid1(VALU_DEP_1)
	v_add_nc_u32_e32 v23, v23, v125
	v_mov_b32_dpp v125, v23 row_shr:4 row_mask:0xf bank_mask:0xf
	s_delay_alu instid0(VALU_DEP_1) | instskip(NEXT) | instid1(VALU_DEP_1)
	v_cndmask_b32_e64 v125, 0, v125, s8
	v_add_nc_u32_e32 v23, v23, v125
	s_delay_alu instid0(VALU_DEP_1) | instskip(NEXT) | instid1(VALU_DEP_1)
	v_mov_b32_dpp v125, v23 row_shr:8 row_mask:0xf bank_mask:0xf
	v_cndmask_b32_e64 v125, 0, v125, s9
	s_delay_alu instid0(VALU_DEP_1) | instskip(SKIP_3) | instid1(VALU_DEP_1)
	v_add_nc_u32_e32 v23, v23, v125
	ds_swizzle_b32 v125, v23 offset:swizzle(BROADCAST,32,15)
	s_waitcnt lgkmcnt(0)
	v_cndmask_b32_e64 v125, v125, 0, s10
	v_add_nc_u32_e32 v23, v23, v125
	s_and_saveexec_b32 s16, s3
	s_cbranch_execz .LBB298_432
; %bb.431:                              ;   in Loop: Header=BB298_400 Depth=2
	ds_store_b32 v38, v23 offset:1024
.LBB298_432:                            ;   in Loop: Header=BB298_400 Depth=2
	s_or_b32 exec_lo, exec_lo, s16
	s_waitcnt lgkmcnt(0)
	s_barrier
	buffer_gl0_inv
	s_and_saveexec_b32 s16, s4
	s_cbranch_execz .LBB298_434
; %bb.433:                              ;   in Loop: Header=BB298_400 Depth=2
	v_add_nc_u32_e32 v125, v46, v48
	ds_load_b32 v126, v125 offset:1024
	s_waitcnt lgkmcnt(0)
	v_mov_b32_dpp v127, v126 row_shr:1 row_mask:0xf bank_mask:0xf
	s_delay_alu instid0(VALU_DEP_1) | instskip(NEXT) | instid1(VALU_DEP_1)
	v_cndmask_b32_e64 v127, v127, 0, s12
	v_add_nc_u32_e32 v126, v127, v126
	s_delay_alu instid0(VALU_DEP_1) | instskip(NEXT) | instid1(VALU_DEP_1)
	v_mov_b32_dpp v127, v126 row_shr:2 row_mask:0xf bank_mask:0xf
	v_cndmask_b32_e64 v127, 0, v127, s13
	s_delay_alu instid0(VALU_DEP_1) | instskip(NEXT) | instid1(VALU_DEP_1)
	v_add_nc_u32_e32 v126, v126, v127
	v_mov_b32_dpp v127, v126 row_shr:4 row_mask:0xf bank_mask:0xf
	s_delay_alu instid0(VALU_DEP_1) | instskip(NEXT) | instid1(VALU_DEP_1)
	v_cndmask_b32_e64 v127, 0, v127, s14
	v_add_nc_u32_e32 v126, v126, v127
	ds_store_b32 v125, v126 offset:1024
.LBB298_434:                            ;   in Loop: Header=BB298_400 Depth=2
	s_or_b32 exec_lo, exec_lo, s16
	v_mov_b32_e32 v125, 0
	s_waitcnt lgkmcnt(0)
	s_barrier
	buffer_gl0_inv
	s_and_saveexec_b32 s16, s5
	s_cbranch_execz .LBB298_436
; %bb.435:                              ;   in Loop: Header=BB298_400 Depth=2
	ds_load_b32 v125, v38 offset:1020
.LBB298_436:                            ;   in Loop: Header=BB298_400 Depth=2
	s_or_b32 exec_lo, exec_lo, s16
	s_waitcnt lgkmcnt(0)
	v_add_nc_u32_e32 v23, v125, v23
	ds_bpermute_b32 v23, v69, v23
	s_waitcnt lgkmcnt(0)
	v_cndmask_b32_e64 v23, v23, v125, s11
	s_delay_alu instid0(VALU_DEP_1) | instskip(NEXT) | instid1(VALU_DEP_1)
	v_cndmask_b32_e64 v23, v23, 0, s6
	v_add_nc_u32_e32 v124, v23, v124
	s_delay_alu instid0(VALU_DEP_1) | instskip(NEXT) | instid1(VALU_DEP_1)
	v_add_nc_u32_e32 v26, v124, v26
	v_add_nc_u32_e32 v27, v26, v27
	s_delay_alu instid0(VALU_DEP_1) | instskip(NEXT) | instid1(VALU_DEP_1)
	v_add_nc_u32_e32 v24, v27, v24
	;; [unrolled: 3-line block ×3, first 2 shown]
	v_add_nc_u32_e32 v21, v20, v21
	s_delay_alu instid0(VALU_DEP_1)
	v_add_nc_u32_e32 v22, v21, v22
	ds_store_b32 v46, v23 offset:1056
	ds_store_2addr_b32 v47, v124, v26 offset0:1 offset1:2
	ds_store_2addr_b32 v47, v27, v24 offset0:3 offset1:4
	;; [unrolled: 1-line block ×4, first 2 shown]
	v_mov_b32_e32 v22, 0x800
	s_waitcnt lgkmcnt(0)
	s_barrier
	buffer_gl0_inv
	ds_load_b32 v20, v100
	ds_load_b32 v21, v104
	ds_load_b32 v23, v108
	ds_load_b32 v24, v112
	ds_load_b32 v25, v116
	ds_load_b32 v104, v120
	ds_load_b32 v108, v123
	ds_load_b32 v26, v96
	ds_load_b32 v27, v46 offset:1056
	s_and_saveexec_b32 s16, s7
	s_cbranch_execz .LBB298_438
; %bb.437:                              ;   in Loop: Header=BB298_400 Depth=2
	ds_load_b32 v22, v49 offset:1056
.LBB298_438:                            ;   in Loop: Header=BB298_400 Depth=2
	s_or_b32 exec_lo, exec_lo, s16
	s_waitcnt lgkmcnt(0)
	s_barrier
	buffer_gl0_inv
	s_and_saveexec_b32 s16, s2
	s_cbranch_execz .LBB298_440
; %bb.439:                              ;   in Loop: Header=BB298_400 Depth=2
	ds_load_b32 v96, v28
	s_waitcnt lgkmcnt(0)
	v_sub_nc_u32_e32 v27, v96, v27
	ds_store_b32 v28, v27
.LBB298_440:                            ;   in Loop: Header=BB298_400 Depth=2
	s_or_b32 exec_lo, exec_lo, s16
	v_add_nc_u32_e32 v100, v26, v94
	v_add3_u32 v96, v98, v97, v20
	v_add3_u32 v94, v102, v101, v21
	;; [unrolled: 1-line block ×7, first 2 shown]
	v_cmp_lt_u32_e64 s21, v1, v2
	ds_store_b8 v100, v93 offset:1024
	ds_store_b8 v96, v95 offset:1024
	;; [unrolled: 1-line block ×8, first 2 shown]
	s_waitcnt lgkmcnt(0)
	s_barrier
	buffer_gl0_inv
	s_and_saveexec_b32 s16, s21
	s_cbranch_execz .LBB298_448
; %bb.441:                              ;   in Loop: Header=BB298_400 Depth=2
	ds_load_u8 v20, v1 offset:1024
	s_waitcnt lgkmcnt(0)
	v_and_b32_e32 v21, 0xff, v20
	v_xor_b32_e32 v20, 0x7f, v20
	s_delay_alu instid0(VALU_DEP_2) | instskip(NEXT) | instid1(VALU_DEP_1)
	v_lshrrev_b32_e32 v21, s49, v21
	v_and_b32_e32 v21, s31, v21
	s_delay_alu instid0(VALU_DEP_1)
	v_lshlrev_b32_e32 v21, 2, v21
	ds_load_b32 v21, v21
	s_waitcnt lgkmcnt(0)
	v_add_nc_u32_e32 v21, v21, v1
	global_store_b8 v21, v20, s[38:39]
	s_or_b32 exec_lo, exec_lo, s16
	v_cmp_lt_u32_e64 s22, v29, v2
	s_delay_alu instid0(VALU_DEP_1)
	s_and_saveexec_b32 s16, s22
	s_cbranch_execnz .LBB298_449
.LBB298_442:                            ;   in Loop: Header=BB298_400 Depth=2
	s_or_b32 exec_lo, exec_lo, s16
	v_cmp_lt_u32_e64 s20, v30, v2
	s_delay_alu instid0(VALU_DEP_1)
	s_and_saveexec_b32 s16, s20
	s_cbranch_execz .LBB298_450
.LBB298_443:                            ;   in Loop: Header=BB298_400 Depth=2
	ds_load_u8 v20, v35 offset:512
	s_waitcnt lgkmcnt(0)
	v_and_b32_e32 v21, 0xff, v20
	v_xor_b32_e32 v20, 0x7f, v20
	s_delay_alu instid0(VALU_DEP_2) | instskip(NEXT) | instid1(VALU_DEP_1)
	v_lshrrev_b32_e32 v21, s49, v21
	v_and_b32_e32 v21, s31, v21
	s_delay_alu instid0(VALU_DEP_1)
	v_lshlrev_b32_e32 v21, 2, v21
	ds_load_b32 v21, v21
	s_waitcnt lgkmcnt(0)
	v_add_nc_u32_e32 v21, v21, v30
	global_store_b8 v21, v20, s[38:39]
	s_or_b32 exec_lo, exec_lo, s16
	v_cmp_lt_u32_e64 s19, v31, v2
	s_delay_alu instid0(VALU_DEP_1)
	s_and_saveexec_b32 s16, s19
	s_cbranch_execnz .LBB298_451
.LBB298_444:                            ;   in Loop: Header=BB298_400 Depth=2
	s_or_b32 exec_lo, exec_lo, s16
	v_cmp_lt_u32_e64 s18, v35, v2
	s_delay_alu instid0(VALU_DEP_1)
	s_and_saveexec_b32 s16, s18
	s_cbranch_execz .LBB298_452
.LBB298_445:                            ;   in Loop: Header=BB298_400 Depth=2
	ds_load_u8 v20, v35 offset:1024
	s_waitcnt lgkmcnt(0)
	v_and_b32_e32 v21, 0xff, v20
	v_xor_b32_e32 v20, 0x7f, v20
	s_delay_alu instid0(VALU_DEP_2) | instskip(NEXT) | instid1(VALU_DEP_1)
	v_lshrrev_b32_e32 v21, s49, v21
	v_and_b32_e32 v21, s31, v21
	s_delay_alu instid0(VALU_DEP_1)
	v_lshlrev_b32_e32 v21, 2, v21
	ds_load_b32 v21, v21
	s_waitcnt lgkmcnt(0)
	v_add_nc_u32_e32 v21, v21, v35
	global_store_b8 v21, v20, s[38:39]
	s_or_b32 exec_lo, exec_lo, s16
	v_cmp_lt_u32_e64 s17, v36, v2
	s_delay_alu instid0(VALU_DEP_1)
	s_and_saveexec_b32 s16, s17
	s_cbranch_execnz .LBB298_453
.LBB298_446:                            ;   in Loop: Header=BB298_400 Depth=2
	s_or_b32 exec_lo, exec_lo, s16
	v_cmp_lt_u32_e64 s16, v37, v2
	s_delay_alu instid0(VALU_DEP_1)
	s_and_saveexec_b32 s23, s16
	s_cbranch_execz .LBB298_454
.LBB298_447:                            ;   in Loop: Header=BB298_400 Depth=2
	ds_load_u8 v20, v35 offset:1536
	s_waitcnt lgkmcnt(0)
	v_and_b32_e32 v21, 0xff, v20
	v_xor_b32_e32 v20, 0x7f, v20
	s_delay_alu instid0(VALU_DEP_2) | instskip(NEXT) | instid1(VALU_DEP_1)
	v_lshrrev_b32_e32 v21, s49, v21
	v_and_b32_e32 v21, s31, v21
	s_delay_alu instid0(VALU_DEP_1)
	v_lshlrev_b32_e32 v21, 2, v21
	ds_load_b32 v21, v21
	s_waitcnt lgkmcnt(0)
	v_add_nc_u32_e32 v21, v21, v37
	global_store_b8 v21, v20, s[38:39]
	s_or_b32 exec_lo, exec_lo, s23
	v_cmp_lt_u32_e32 vcc_lo, v39, v2
	s_and_saveexec_b32 s23, vcc_lo
	s_cbranch_execnz .LBB298_455
	s_branch .LBB298_456
.LBB298_448:                            ;   in Loop: Header=BB298_400 Depth=2
	s_or_b32 exec_lo, exec_lo, s16
	v_cmp_lt_u32_e64 s22, v29, v2
	s_delay_alu instid0(VALU_DEP_1)
	s_and_saveexec_b32 s16, s22
	s_cbranch_execz .LBB298_442
.LBB298_449:                            ;   in Loop: Header=BB298_400 Depth=2
	ds_load_u8 v20, v35 offset:256
	s_waitcnt lgkmcnt(0)
	v_and_b32_e32 v21, 0xff, v20
	v_xor_b32_e32 v20, 0x7f, v20
	s_delay_alu instid0(VALU_DEP_2) | instskip(NEXT) | instid1(VALU_DEP_1)
	v_lshrrev_b32_e32 v21, s49, v21
	v_and_b32_e32 v21, s31, v21
	s_delay_alu instid0(VALU_DEP_1)
	v_lshlrev_b32_e32 v21, 2, v21
	ds_load_b32 v21, v21
	s_waitcnt lgkmcnt(0)
	v_add_nc_u32_e32 v21, v21, v29
	global_store_b8 v21, v20, s[38:39]
	s_or_b32 exec_lo, exec_lo, s16
	v_cmp_lt_u32_e64 s20, v30, v2
	s_delay_alu instid0(VALU_DEP_1)
	s_and_saveexec_b32 s16, s20
	s_cbranch_execnz .LBB298_443
.LBB298_450:                            ;   in Loop: Header=BB298_400 Depth=2
	s_or_b32 exec_lo, exec_lo, s16
	v_cmp_lt_u32_e64 s19, v31, v2
	s_delay_alu instid0(VALU_DEP_1)
	s_and_saveexec_b32 s16, s19
	s_cbranch_execz .LBB298_444
.LBB298_451:                            ;   in Loop: Header=BB298_400 Depth=2
	ds_load_u8 v20, v35 offset:768
	s_waitcnt lgkmcnt(0)
	v_and_b32_e32 v21, 0xff, v20
	v_xor_b32_e32 v20, 0x7f, v20
	s_delay_alu instid0(VALU_DEP_2) | instskip(NEXT) | instid1(VALU_DEP_1)
	v_lshrrev_b32_e32 v21, s49, v21
	v_and_b32_e32 v21, s31, v21
	s_delay_alu instid0(VALU_DEP_1)
	v_lshlrev_b32_e32 v21, 2, v21
	ds_load_b32 v21, v21
	s_waitcnt lgkmcnt(0)
	v_add_nc_u32_e32 v21, v21, v31
	global_store_b8 v21, v20, s[38:39]
	s_or_b32 exec_lo, exec_lo, s16
	v_cmp_lt_u32_e64 s18, v35, v2
	s_delay_alu instid0(VALU_DEP_1)
	s_and_saveexec_b32 s16, s18
	s_cbranch_execnz .LBB298_445
.LBB298_452:                            ;   in Loop: Header=BB298_400 Depth=2
	s_or_b32 exec_lo, exec_lo, s16
	v_cmp_lt_u32_e64 s17, v36, v2
	s_delay_alu instid0(VALU_DEP_1)
	s_and_saveexec_b32 s16, s17
	s_cbranch_execz .LBB298_446
.LBB298_453:                            ;   in Loop: Header=BB298_400 Depth=2
	ds_load_u8 v20, v35 offset:1280
	s_waitcnt lgkmcnt(0)
	v_and_b32_e32 v21, 0xff, v20
	v_xor_b32_e32 v20, 0x7f, v20
	s_delay_alu instid0(VALU_DEP_2) | instskip(NEXT) | instid1(VALU_DEP_1)
	v_lshrrev_b32_e32 v21, s49, v21
	v_and_b32_e32 v21, s31, v21
	s_delay_alu instid0(VALU_DEP_1)
	v_lshlrev_b32_e32 v21, 2, v21
	ds_load_b32 v21, v21
	s_waitcnt lgkmcnt(0)
	v_add_nc_u32_e32 v21, v21, v36
	global_store_b8 v21, v20, s[38:39]
	s_or_b32 exec_lo, exec_lo, s16
	v_cmp_lt_u32_e64 s16, v37, v2
	s_delay_alu instid0(VALU_DEP_1)
	s_and_saveexec_b32 s23, s16
	s_cbranch_execnz .LBB298_447
.LBB298_454:                            ;   in Loop: Header=BB298_400 Depth=2
	s_or_b32 exec_lo, exec_lo, s23
	v_cmp_lt_u32_e32 vcc_lo, v39, v2
	s_and_saveexec_b32 s23, vcc_lo
	s_cbranch_execz .LBB298_456
.LBB298_455:                            ;   in Loop: Header=BB298_400 Depth=2
	ds_load_u8 v20, v35 offset:1792
	s_waitcnt lgkmcnt(0)
	v_and_b32_e32 v21, 0xff, v20
	v_xor_b32_e32 v20, 0x7f, v20
	s_delay_alu instid0(VALU_DEP_2) | instskip(NEXT) | instid1(VALU_DEP_1)
	v_lshrrev_b32_e32 v21, s49, v21
	v_and_b32_e32 v21, s31, v21
	s_delay_alu instid0(VALU_DEP_1)
	v_lshlrev_b32_e32 v21, 2, v21
	ds_load_b32 v21, v21
	s_waitcnt lgkmcnt(0)
	v_add_nc_u32_e32 v21, v21, v39
	global_store_b8 v21, v20, s[38:39]
.LBB298_456:                            ;   in Loop: Header=BB298_400 Depth=2
	s_or_b32 exec_lo, exec_lo, s23
	s_lshl_b64 s[52:53], s[24:25], 3
	s_delay_alu instid0(SALU_CYCLE_1) | instskip(NEXT) | instid1(VALU_DEP_1)
	v_add_co_u32 v20, s23, v73, s52
	v_add_co_ci_u32_e64 v21, s23, s53, v74, s23
	v_cmp_lt_u32_e64 s23, v70, v2
	s_delay_alu instid0(VALU_DEP_1) | instskip(NEXT) | instid1(SALU_CYCLE_1)
	s_and_saveexec_b32 s24, s23
	s_xor_b32 s23, exec_lo, s24
	s_cbranch_execz .LBB298_472
; %bb.457:                              ;   in Loop: Header=BB298_400 Depth=2
	global_load_b64 v[18:19], v[20:21], off
	s_or_b32 exec_lo, exec_lo, s23
	s_delay_alu instid0(SALU_CYCLE_1)
	s_mov_b32 s24, exec_lo
	v_cmpx_lt_u32_e64 v75, v2
	s_cbranch_execnz .LBB298_473
.LBB298_458:                            ;   in Loop: Header=BB298_400 Depth=2
	s_or_b32 exec_lo, exec_lo, s24
	s_delay_alu instid0(SALU_CYCLE_1)
	s_mov_b32 s24, exec_lo
	v_cmpx_lt_u32_e64 v76, v2
	s_cbranch_execz .LBB298_474
.LBB298_459:                            ;   in Loop: Header=BB298_400 Depth=2
	global_load_b64 v[14:15], v[20:21], off offset:512
	s_or_b32 exec_lo, exec_lo, s24
	s_delay_alu instid0(SALU_CYCLE_1)
	s_mov_b32 s24, exec_lo
	v_cmpx_lt_u32_e64 v77, v2
	s_cbranch_execnz .LBB298_475
.LBB298_460:                            ;   in Loop: Header=BB298_400 Depth=2
	s_or_b32 exec_lo, exec_lo, s24
	s_delay_alu instid0(SALU_CYCLE_1)
	s_mov_b32 s24, exec_lo
	v_cmpx_lt_u32_e64 v78, v2
	s_cbranch_execz .LBB298_476
.LBB298_461:                            ;   in Loop: Header=BB298_400 Depth=2
	global_load_b64 v[10:11], v[20:21], off offset:1024
	s_or_b32 exec_lo, exec_lo, s24
	s_delay_alu instid0(SALU_CYCLE_1)
	s_mov_b32 s24, exec_lo
	v_cmpx_lt_u32_e64 v79, v2
	s_cbranch_execnz .LBB298_477
.LBB298_462:                            ;   in Loop: Header=BB298_400 Depth=2
	s_or_b32 exec_lo, exec_lo, s24
	s_delay_alu instid0(SALU_CYCLE_1)
	s_mov_b32 s24, exec_lo
	v_cmpx_lt_u32_e64 v80, v2
	s_cbranch_execz .LBB298_478
.LBB298_463:                            ;   in Loop: Header=BB298_400 Depth=2
	global_load_b64 v[6:7], v[20:21], off offset:1536
	s_or_b32 exec_lo, exec_lo, s24
	s_delay_alu instid0(SALU_CYCLE_1)
	s_mov_b32 s24, exec_lo
	v_cmpx_lt_u32_e64 v81, v2
	s_cbranch_execnz .LBB298_479
.LBB298_464:                            ;   in Loop: Header=BB298_400 Depth=2
	s_or_b32 exec_lo, exec_lo, s24
	s_and_saveexec_b32 s23, s21
	s_cbranch_execz .LBB298_480
.LBB298_465:                            ;   in Loop: Header=BB298_400 Depth=2
	ds_load_u8 v2, v1 offset:1024
	s_waitcnt lgkmcnt(0)
	v_lshrrev_b32_e32 v2, s49, v2
	s_delay_alu instid0(VALU_DEP_1)
	v_and_b32_e32 v92, s31, v2
	s_or_b32 exec_lo, exec_lo, s23
	s_and_saveexec_b32 s23, s22
	s_cbranch_execnz .LBB298_481
.LBB298_466:                            ;   in Loop: Header=BB298_400 Depth=2
	s_or_b32 exec_lo, exec_lo, s23
	s_and_saveexec_b32 s23, s20
	s_cbranch_execz .LBB298_482
.LBB298_467:                            ;   in Loop: Header=BB298_400 Depth=2
	ds_load_u8 v2, v35 offset:512
	s_waitcnt lgkmcnt(0)
	v_lshrrev_b32_e32 v2, s49, v2
	s_delay_alu instid0(VALU_DEP_1)
	v_and_b32_e32 v90, s31, v2
	s_or_b32 exec_lo, exec_lo, s23
	s_and_saveexec_b32 s23, s19
	s_cbranch_execnz .LBB298_483
.LBB298_468:                            ;   in Loop: Header=BB298_400 Depth=2
	s_or_b32 exec_lo, exec_lo, s23
	s_and_saveexec_b32 s23, s18
	s_cbranch_execz .LBB298_484
.LBB298_469:                            ;   in Loop: Header=BB298_400 Depth=2
	ds_load_u8 v2, v35 offset:1024
	s_waitcnt lgkmcnt(0)
	v_lshrrev_b32_e32 v2, s49, v2
	s_delay_alu instid0(VALU_DEP_1)
	v_and_b32_e32 v88, s31, v2
	s_or_b32 exec_lo, exec_lo, s23
	s_and_saveexec_b32 s23, s17
	s_cbranch_execnz .LBB298_485
.LBB298_470:                            ;   in Loop: Header=BB298_400 Depth=2
	s_or_b32 exec_lo, exec_lo, s23
	s_and_saveexec_b32 s23, s16
	s_cbranch_execz .LBB298_486
.LBB298_471:                            ;   in Loop: Header=BB298_400 Depth=2
	ds_load_u8 v2, v35 offset:1536
	s_waitcnt lgkmcnt(0)
	v_lshrrev_b32_e32 v2, s49, v2
	s_delay_alu instid0(VALU_DEP_1)
	v_and_b32_e32 v86, s31, v2
	s_or_b32 exec_lo, exec_lo, s23
	s_and_saveexec_b32 s23, vcc_lo
	s_cbranch_execnz .LBB298_487
	s_branch .LBB298_488
.LBB298_472:                            ;   in Loop: Header=BB298_400 Depth=2
	s_or_b32 exec_lo, exec_lo, s23
	s_delay_alu instid0(SALU_CYCLE_1)
	s_mov_b32 s24, exec_lo
	v_cmpx_lt_u32_e64 v75, v2
	s_cbranch_execz .LBB298_458
.LBB298_473:                            ;   in Loop: Header=BB298_400 Depth=2
	global_load_b64 v[16:17], v[20:21], off offset:256
	s_or_b32 exec_lo, exec_lo, s24
	s_delay_alu instid0(SALU_CYCLE_1)
	s_mov_b32 s24, exec_lo
	v_cmpx_lt_u32_e64 v76, v2
	s_cbranch_execnz .LBB298_459
.LBB298_474:                            ;   in Loop: Header=BB298_400 Depth=2
	s_or_b32 exec_lo, exec_lo, s24
	s_delay_alu instid0(SALU_CYCLE_1)
	s_mov_b32 s24, exec_lo
	v_cmpx_lt_u32_e64 v77, v2
	s_cbranch_execz .LBB298_460
.LBB298_475:                            ;   in Loop: Header=BB298_400 Depth=2
	global_load_b64 v[12:13], v[20:21], off offset:768
	s_or_b32 exec_lo, exec_lo, s24
	s_delay_alu instid0(SALU_CYCLE_1)
	s_mov_b32 s24, exec_lo
	v_cmpx_lt_u32_e64 v78, v2
	s_cbranch_execnz .LBB298_461
.LBB298_476:                            ;   in Loop: Header=BB298_400 Depth=2
	s_or_b32 exec_lo, exec_lo, s24
	s_delay_alu instid0(SALU_CYCLE_1)
	s_mov_b32 s24, exec_lo
	v_cmpx_lt_u32_e64 v79, v2
	s_cbranch_execz .LBB298_462
.LBB298_477:                            ;   in Loop: Header=BB298_400 Depth=2
	global_load_b64 v[8:9], v[20:21], off offset:1280
	s_or_b32 exec_lo, exec_lo, s24
	s_delay_alu instid0(SALU_CYCLE_1)
	s_mov_b32 s24, exec_lo
	v_cmpx_lt_u32_e64 v80, v2
	s_cbranch_execnz .LBB298_463
.LBB298_478:                            ;   in Loop: Header=BB298_400 Depth=2
	s_or_b32 exec_lo, exec_lo, s24
	s_delay_alu instid0(SALU_CYCLE_1)
	s_mov_b32 s24, exec_lo
	v_cmpx_lt_u32_e64 v81, v2
	s_cbranch_execz .LBB298_464
.LBB298_479:                            ;   in Loop: Header=BB298_400 Depth=2
	global_load_b64 v[4:5], v[20:21], off offset:1792
	s_or_b32 exec_lo, exec_lo, s24
	s_and_saveexec_b32 s23, s21
	s_cbranch_execnz .LBB298_465
.LBB298_480:                            ;   in Loop: Header=BB298_400 Depth=2
	s_or_b32 exec_lo, exec_lo, s23
	s_and_saveexec_b32 s23, s22
	s_cbranch_execz .LBB298_466
.LBB298_481:                            ;   in Loop: Header=BB298_400 Depth=2
	ds_load_u8 v2, v35 offset:256
	s_waitcnt lgkmcnt(0)
	v_lshrrev_b32_e32 v2, s49, v2
	s_delay_alu instid0(VALU_DEP_1)
	v_and_b32_e32 v91, s31, v2
	s_or_b32 exec_lo, exec_lo, s23
	s_and_saveexec_b32 s23, s20
	s_cbranch_execnz .LBB298_467
.LBB298_482:                            ;   in Loop: Header=BB298_400 Depth=2
	s_or_b32 exec_lo, exec_lo, s23
	s_and_saveexec_b32 s23, s19
	s_cbranch_execz .LBB298_468
.LBB298_483:                            ;   in Loop: Header=BB298_400 Depth=2
	ds_load_u8 v2, v35 offset:768
	s_waitcnt lgkmcnt(0)
	v_lshrrev_b32_e32 v2, s49, v2
	s_delay_alu instid0(VALU_DEP_1)
	v_and_b32_e32 v89, s31, v2
	s_or_b32 exec_lo, exec_lo, s23
	s_and_saveexec_b32 s23, s18
	s_cbranch_execnz .LBB298_469
.LBB298_484:                            ;   in Loop: Header=BB298_400 Depth=2
	s_or_b32 exec_lo, exec_lo, s23
	s_and_saveexec_b32 s23, s17
	s_cbranch_execz .LBB298_470
.LBB298_485:                            ;   in Loop: Header=BB298_400 Depth=2
	ds_load_u8 v2, v35 offset:1280
	s_waitcnt lgkmcnt(0)
	v_lshrrev_b32_e32 v2, s49, v2
	s_delay_alu instid0(VALU_DEP_1)
	v_and_b32_e32 v87, s31, v2
	s_or_b32 exec_lo, exec_lo, s23
	s_and_saveexec_b32 s23, s16
	s_cbranch_execnz .LBB298_471
.LBB298_486:                            ;   in Loop: Header=BB298_400 Depth=2
	s_or_b32 exec_lo, exec_lo, s23
	s_and_saveexec_b32 s23, vcc_lo
	s_cbranch_execz .LBB298_488
.LBB298_487:                            ;   in Loop: Header=BB298_400 Depth=2
	ds_load_u8 v2, v35 offset:1792
	s_waitcnt lgkmcnt(0)
	v_lshrrev_b32_e32 v2, s49, v2
	s_delay_alu instid0(VALU_DEP_1)
	v_and_b32_e32 v85, s31, v2
.LBB298_488:                            ;   in Loop: Header=BB298_400 Depth=2
	s_or_b32 exec_lo, exec_lo, s23
	v_lshlrev_b32_e32 v2, 3, v100
	v_lshlrev_b32_e32 v20, 3, v96
	;; [unrolled: 1-line block ×3, first 2 shown]
	s_waitcnt vmcnt(0)
	s_waitcnt_vscnt null, 0x0
	s_barrier
	buffer_gl0_inv
	ds_store_b64 v2, v[18:19] offset:1024
	ds_store_b64 v20, v[16:17] offset:1024
	;; [unrolled: 1-line block ×3, first 2 shown]
	v_lshlrev_b32_e32 v2, 3, v27
	v_lshlrev_b32_e32 v20, 3, v26
	;; [unrolled: 1-line block ×5, first 2 shown]
	ds_store_b64 v2, v[12:13] offset:1024
	ds_store_b64 v20, v[10:11] offset:1024
	;; [unrolled: 1-line block ×5, first 2 shown]
	s_waitcnt lgkmcnt(0)
	s_barrier
	buffer_gl0_inv
	s_and_saveexec_b32 s23, s21
	s_cbranch_execz .LBB298_496
; %bb.489:                              ;   in Loop: Header=BB298_400 Depth=2
	v_lshlrev_b32_e32 v2, 2, v92
	v_add_nc_u32_e32 v20, v1, v52
	ds_load_b32 v2, v2
	ds_load_b64 v[20:21], v20 offset:1024
	s_waitcnt lgkmcnt(1)
	v_add_nc_u32_e32 v2, v2, v1
	s_delay_alu instid0(VALU_DEP_1) | instskip(NEXT) | instid1(VALU_DEP_1)
	v_lshlrev_b64 v[23:24], 3, v[2:3]
	v_add_co_u32 v23, s21, s44, v23
	s_delay_alu instid0(VALU_DEP_1)
	v_add_co_ci_u32_e64 v24, s21, s45, v24, s21
	s_waitcnt lgkmcnt(0)
	global_store_b64 v[23:24], v[20:21], off
	s_or_b32 exec_lo, exec_lo, s23
	s_and_saveexec_b32 s23, s22
	s_cbranch_execnz .LBB298_497
.LBB298_490:                            ;   in Loop: Header=BB298_400 Depth=2
	s_or_b32 exec_lo, exec_lo, s23
	s_and_saveexec_b32 s21, s20
	s_cbranch_execz .LBB298_498
.LBB298_491:                            ;   in Loop: Header=BB298_400 Depth=2
	v_lshlrev_b32_e32 v2, 2, v90
	v_add_nc_u32_e32 v20, v35, v52
	ds_load_b32 v2, v2
	ds_load_b64 v[20:21], v20 offset:4096
	s_waitcnt lgkmcnt(1)
	v_add_nc_u32_e32 v2, v2, v30
	s_delay_alu instid0(VALU_DEP_1) | instskip(NEXT) | instid1(VALU_DEP_1)
	v_lshlrev_b64 v[23:24], 3, v[2:3]
	v_add_co_u32 v23, s20, s44, v23
	s_delay_alu instid0(VALU_DEP_1)
	v_add_co_ci_u32_e64 v24, s20, s45, v24, s20
	s_waitcnt lgkmcnt(0)
	global_store_b64 v[23:24], v[20:21], off
	s_or_b32 exec_lo, exec_lo, s21
	s_and_saveexec_b32 s20, s19
	s_cbranch_execnz .LBB298_499
.LBB298_492:                            ;   in Loop: Header=BB298_400 Depth=2
	s_or_b32 exec_lo, exec_lo, s20
	s_and_saveexec_b32 s19, s18
	s_cbranch_execz .LBB298_500
.LBB298_493:                            ;   in Loop: Header=BB298_400 Depth=2
	v_lshlrev_b32_e32 v2, 2, v88
	v_add_nc_u32_e32 v20, v35, v52
	ds_load_b32 v2, v2
	ds_load_b64 v[20:21], v20 offset:8192
	s_waitcnt lgkmcnt(1)
	v_add_nc_u32_e32 v2, v2, v35
	s_delay_alu instid0(VALU_DEP_1) | instskip(NEXT) | instid1(VALU_DEP_1)
	v_lshlrev_b64 v[23:24], 3, v[2:3]
	v_add_co_u32 v23, s18, s44, v23
	s_delay_alu instid0(VALU_DEP_1)
	v_add_co_ci_u32_e64 v24, s18, s45, v24, s18
	s_waitcnt lgkmcnt(0)
	global_store_b64 v[23:24], v[20:21], off
	s_or_b32 exec_lo, exec_lo, s19
	s_and_saveexec_b32 s18, s17
	s_cbranch_execnz .LBB298_501
.LBB298_494:                            ;   in Loop: Header=BB298_400 Depth=2
	s_or_b32 exec_lo, exec_lo, s18
	s_and_saveexec_b32 s17, s16
	s_cbranch_execz .LBB298_502
.LBB298_495:                            ;   in Loop: Header=BB298_400 Depth=2
	v_lshlrev_b32_e32 v2, 2, v86
	v_add_nc_u32_e32 v20, v35, v52
	ds_load_b32 v2, v2
	ds_load_b64 v[20:21], v20 offset:12288
	s_waitcnt lgkmcnt(1)
	v_add_nc_u32_e32 v2, v2, v37
	s_delay_alu instid0(VALU_DEP_1) | instskip(NEXT) | instid1(VALU_DEP_1)
	v_lshlrev_b64 v[23:24], 3, v[2:3]
	v_add_co_u32 v23, s16, s44, v23
	s_delay_alu instid0(VALU_DEP_1)
	v_add_co_ci_u32_e64 v24, s16, s45, v24, s16
	s_waitcnt lgkmcnt(0)
	global_store_b64 v[23:24], v[20:21], off
	s_or_b32 exec_lo, exec_lo, s17
	s_and_saveexec_b32 s16, vcc_lo
	s_cbranch_execnz .LBB298_503
	s_branch .LBB298_504
.LBB298_496:                            ;   in Loop: Header=BB298_400 Depth=2
	s_or_b32 exec_lo, exec_lo, s23
	s_and_saveexec_b32 s23, s22
	s_cbranch_execz .LBB298_490
.LBB298_497:                            ;   in Loop: Header=BB298_400 Depth=2
	v_lshlrev_b32_e32 v2, 2, v91
	v_add_nc_u32_e32 v20, v35, v52
	ds_load_b32 v2, v2
	ds_load_b64 v[20:21], v20 offset:2048
	s_waitcnt lgkmcnt(1)
	v_add_nc_u32_e32 v2, v2, v29
	s_delay_alu instid0(VALU_DEP_1) | instskip(NEXT) | instid1(VALU_DEP_1)
	v_lshlrev_b64 v[23:24], 3, v[2:3]
	v_add_co_u32 v23, s21, s44, v23
	s_delay_alu instid0(VALU_DEP_1)
	v_add_co_ci_u32_e64 v24, s21, s45, v24, s21
	s_waitcnt lgkmcnt(0)
	global_store_b64 v[23:24], v[20:21], off
	s_or_b32 exec_lo, exec_lo, s23
	s_and_saveexec_b32 s21, s20
	s_cbranch_execnz .LBB298_491
.LBB298_498:                            ;   in Loop: Header=BB298_400 Depth=2
	s_or_b32 exec_lo, exec_lo, s21
	s_and_saveexec_b32 s20, s19
	s_cbranch_execz .LBB298_492
.LBB298_499:                            ;   in Loop: Header=BB298_400 Depth=2
	v_lshlrev_b32_e32 v2, 2, v89
	v_add_nc_u32_e32 v20, v35, v52
	ds_load_b32 v2, v2
	ds_load_b64 v[20:21], v20 offset:6144
	s_waitcnt lgkmcnt(1)
	v_add_nc_u32_e32 v2, v2, v31
	s_delay_alu instid0(VALU_DEP_1) | instskip(NEXT) | instid1(VALU_DEP_1)
	v_lshlrev_b64 v[23:24], 3, v[2:3]
	v_add_co_u32 v23, s19, s44, v23
	s_delay_alu instid0(VALU_DEP_1)
	v_add_co_ci_u32_e64 v24, s19, s45, v24, s19
	s_waitcnt lgkmcnt(0)
	global_store_b64 v[23:24], v[20:21], off
	s_or_b32 exec_lo, exec_lo, s20
	s_and_saveexec_b32 s19, s18
	s_cbranch_execnz .LBB298_493
.LBB298_500:                            ;   in Loop: Header=BB298_400 Depth=2
	s_or_b32 exec_lo, exec_lo, s19
	s_and_saveexec_b32 s18, s17
	s_cbranch_execz .LBB298_494
.LBB298_501:                            ;   in Loop: Header=BB298_400 Depth=2
	v_lshlrev_b32_e32 v2, 2, v87
	v_add_nc_u32_e32 v20, v35, v52
	ds_load_b32 v2, v2
	ds_load_b64 v[20:21], v20 offset:10240
	s_waitcnt lgkmcnt(1)
	v_add_nc_u32_e32 v2, v2, v36
	s_delay_alu instid0(VALU_DEP_1) | instskip(NEXT) | instid1(VALU_DEP_1)
	v_lshlrev_b64 v[23:24], 3, v[2:3]
	v_add_co_u32 v23, s17, s44, v23
	s_delay_alu instid0(VALU_DEP_1)
	v_add_co_ci_u32_e64 v24, s17, s45, v24, s17
	s_waitcnt lgkmcnt(0)
	global_store_b64 v[23:24], v[20:21], off
	s_or_b32 exec_lo, exec_lo, s18
	s_and_saveexec_b32 s17, s16
	s_cbranch_execnz .LBB298_495
.LBB298_502:                            ;   in Loop: Header=BB298_400 Depth=2
	s_or_b32 exec_lo, exec_lo, s17
	s_and_saveexec_b32 s16, vcc_lo
	s_cbranch_execz .LBB298_504
.LBB298_503:                            ;   in Loop: Header=BB298_400 Depth=2
	v_lshlrev_b32_e32 v2, 2, v85
	v_add_nc_u32_e32 v20, v35, v52
	ds_load_b32 v2, v2
	ds_load_b64 v[20:21], v20 offset:14336
	s_waitcnt lgkmcnt(1)
	v_add_nc_u32_e32 v2, v2, v39
	s_delay_alu instid0(VALU_DEP_1) | instskip(NEXT) | instid1(VALU_DEP_1)
	v_lshlrev_b64 v[23:24], 3, v[2:3]
	v_add_co_u32 v23, vcc_lo, s44, v23
	s_delay_alu instid0(VALU_DEP_2)
	v_add_co_ci_u32_e32 v24, vcc_lo, s45, v24, vcc_lo
	s_waitcnt lgkmcnt(0)
	global_store_b64 v[23:24], v[20:21], off
.LBB298_504:                            ;   in Loop: Header=BB298_400 Depth=2
	s_or_b32 exec_lo, exec_lo, s16
	s_waitcnt_vscnt null, 0x0
	s_barrier
	buffer_gl0_inv
	s_and_saveexec_b32 s16, s2
	s_cbranch_execz .LBB298_399
; %bb.505:                              ;   in Loop: Header=BB298_400 Depth=2
	ds_load_b32 v2, v28
	s_waitcnt lgkmcnt(0)
	v_add_nc_u32_e32 v2, v2, v22
	ds_store_b32 v28, v2
	s_branch .LBB298_399
.LBB298_506:                            ;   in Loop: Header=BB298_400 Depth=2
	s_or_b32 exec_lo, exec_lo, s16
	s_delay_alu instid0(SALU_CYCLE_1)
	s_mov_b32 s16, exec_lo
	v_cmpx_gt_u32_e64 s42, v75
	s_cbranch_execz .LBB298_406
.LBB298_507:                            ;   in Loop: Header=BB298_400 Depth=2
	global_load_u8 v95, v[20:21], off offset:32
	s_or_b32 exec_lo, exec_lo, s16
	s_delay_alu instid0(SALU_CYCLE_1)
	s_mov_b32 s16, exec_lo
	v_cmpx_gt_u32_e64 s42, v76
	s_cbranch_execnz .LBB298_407
.LBB298_508:                            ;   in Loop: Header=BB298_400 Depth=2
	s_or_b32 exec_lo, exec_lo, s16
	s_delay_alu instid0(SALU_CYCLE_1)
	s_mov_b32 s16, exec_lo
	v_cmpx_gt_u32_e64 s42, v77
	s_cbranch_execz .LBB298_408
.LBB298_509:                            ;   in Loop: Header=BB298_400 Depth=2
	global_load_u8 v26, v[20:21], off offset:96
	s_or_b32 exec_lo, exec_lo, s16
	s_delay_alu instid0(SALU_CYCLE_1)
	s_mov_b32 s16, exec_lo
	v_cmpx_gt_u32_e64 s42, v78
	s_cbranch_execnz .LBB298_409
.LBB298_510:                            ;   in Loop: Header=BB298_400 Depth=2
	s_or_b32 exec_lo, exec_lo, s16
	s_delay_alu instid0(SALU_CYCLE_1)
	s_mov_b32 s16, exec_lo
	v_cmpx_gt_u32_e64 s42, v79
	s_cbranch_execz .LBB298_410
.LBB298_511:                            ;   in Loop: Header=BB298_400 Depth=2
	global_load_u8 v24, v[20:21], off offset:160
	s_or_b32 exec_lo, exec_lo, s16
	s_delay_alu instid0(SALU_CYCLE_1)
	s_mov_b32 s16, exec_lo
	v_cmpx_gt_u32_e64 s42, v80
	s_cbranch_execnz .LBB298_411
	s_branch .LBB298_412
.LBB298_512:                            ;   in Loop: Header=BB298_12 Depth=1
	s_waitcnt lgkmcnt(0)
	s_mov_b32 s0, 0
	s_barrier
.LBB298_513:                            ;   in Loop: Header=BB298_12 Depth=1
	s_and_b32 vcc_lo, exec_lo, s0
	s_cbranch_vccz .LBB298_11
; %bb.514:                              ;   in Loop: Header=BB298_12 Depth=1
	s_mov_b32 s0, s35
	s_mov_b32 s9, s27
	s_barrier
	buffer_gl0_inv
                                        ; implicit-def: $vgpr2
                                        ; implicit-def: $vgpr6
                                        ; implicit-def: $vgpr7
                                        ; implicit-def: $vgpr8
                                        ; implicit-def: $vgpr9
                                        ; implicit-def: $vgpr10
                                        ; implicit-def: $vgpr11
                                        ; implicit-def: $vgpr12
	s_branch .LBB298_516
.LBB298_515:                            ;   in Loop: Header=BB298_516 Depth=2
	s_or_b32 exec_lo, exec_lo, s8
	s_addk_i32 s0, 0xf800
	s_cmp_ge_u32 s1, s33
	s_mov_b32 s9, s1
	s_cbranch_scc1 .LBB298_554
.LBB298_516:                            ;   Parent Loop BB298_12 Depth=1
                                        ; =>  This Inner Loop Header: Depth=2
	s_add_i32 s1, s9, 0x800
	s_delay_alu instid0(SALU_CYCLE_1)
	s_cmp_gt_u32 s1, s33
	s_cbranch_scc1 .LBB298_519
; %bb.517:                              ;   in Loop: Header=BB298_516 Depth=2
	v_add_co_u32 v4, vcc_lo, v59, s9
	v_add_co_ci_u32_e32 v5, vcc_lo, 0, v60, vcc_lo
	s_mov_b32 s8, -1
	s_movk_i32 s12, 0x800
	s_clause 0x6
	global_load_u8 v20, v[4:5], off offset:1536
	global_load_u8 v19, v[4:5], off offset:1280
	;; [unrolled: 1-line block ×6, first 2 shown]
	global_load_u8 v14, v[4:5], off
	v_add_co_u32 v4, vcc_lo, 0x700, v4
	v_add_co_ci_u32_e32 v5, vcc_lo, 0, v5, vcc_lo
	s_cbranch_execz .LBB298_520
; %bb.518:                              ;   in Loop: Header=BB298_516 Depth=2
                                        ; implicit-def: $vgpr2
                                        ; implicit-def: $vgpr6
                                        ; implicit-def: $vgpr7
                                        ; implicit-def: $vgpr8
                                        ; implicit-def: $vgpr9
                                        ; implicit-def: $vgpr10
                                        ; implicit-def: $vgpr11
                                        ; implicit-def: $vgpr12
	v_mov_b32_e32 v13, s0
	s_and_saveexec_b32 s9, s8
	s_cbranch_execnz .LBB298_531
	s_branch .LBB298_532
.LBB298_519:                            ;   in Loop: Header=BB298_516 Depth=2
	s_mov_b32 s8, 0
                                        ; implicit-def: $sgpr12
                                        ; implicit-def: $vgpr14
                                        ; implicit-def: $vgpr15
                                        ; implicit-def: $vgpr16
                                        ; implicit-def: $vgpr17
                                        ; implicit-def: $vgpr18
                                        ; implicit-def: $vgpr19
                                        ; implicit-def: $vgpr20
                                        ; implicit-def: $vgpr4_vgpr5
.LBB298_520:                            ;   in Loop: Header=BB298_516 Depth=2
	s_add_u32 s10, s36, s9
	s_addc_u32 s11, s37, 0
	s_mov_b32 s12, exec_lo
	v_cmpx_gt_u32_e64 s0, v1
	s_cbranch_execz .LBB298_548
; %bb.521:                              ;   in Loop: Header=BB298_516 Depth=2
	v_add_co_u32 v4, s13, s10, v1
	s_delay_alu instid0(VALU_DEP_1) | instskip(SKIP_2) | instid1(SALU_CYCLE_1)
	v_add_co_ci_u32_e64 v5, null, s11, 0, s13
	global_load_u8 v2, v[4:5], off
	s_or_b32 exec_lo, exec_lo, s12
	s_mov_b32 s12, exec_lo
	v_cmpx_gt_u32_e64 s0, v29
	s_cbranch_execnz .LBB298_549
.LBB298_522:                            ;   in Loop: Header=BB298_516 Depth=2
	s_or_b32 exec_lo, exec_lo, s12
	s_delay_alu instid0(SALU_CYCLE_1)
	s_mov_b32 s12, exec_lo
	v_cmpx_gt_u32_e64 s0, v30
	s_cbranch_execz .LBB298_550
.LBB298_523:                            ;   in Loop: Header=BB298_516 Depth=2
	v_add_co_u32 v4, s13, s10, v1
	s_delay_alu instid0(VALU_DEP_1) | instskip(SKIP_2) | instid1(SALU_CYCLE_1)
	v_add_co_ci_u32_e64 v5, null, s11, 0, s13
	global_load_u8 v7, v[4:5], off offset:512
	s_or_b32 exec_lo, exec_lo, s12
	s_mov_b32 s12, exec_lo
	v_cmpx_gt_u32_e64 s0, v31
	s_cbranch_execnz .LBB298_551
.LBB298_524:                            ;   in Loop: Header=BB298_516 Depth=2
	s_or_b32 exec_lo, exec_lo, s12
	s_delay_alu instid0(SALU_CYCLE_1)
	s_mov_b32 s12, exec_lo
	v_cmpx_gt_u32_e64 s0, v35
	s_cbranch_execz .LBB298_552
.LBB298_525:                            ;   in Loop: Header=BB298_516 Depth=2
	v_add_co_u32 v4, s13, s10, v1
	s_delay_alu instid0(VALU_DEP_1) | instskip(SKIP_2) | instid1(SALU_CYCLE_1)
	v_add_co_ci_u32_e64 v5, null, s11, 0, s13
	global_load_u8 v9, v[4:5], off offset:1024
	s_or_b32 exec_lo, exec_lo, s12
	s_mov_b32 s12, exec_lo
	v_cmpx_gt_u32_e64 s0, v36
	s_cbranch_execnz .LBB298_553
.LBB298_526:                            ;   in Loop: Header=BB298_516 Depth=2
	s_or_b32 exec_lo, exec_lo, s12
	s_delay_alu instid0(SALU_CYCLE_1)
	s_mov_b32 s12, exec_lo
	v_cmpx_gt_u32_e64 s0, v37
	s_cbranch_execz .LBB298_528
.LBB298_527:                            ;   in Loop: Header=BB298_516 Depth=2
	v_add_co_u32 v4, s13, s10, v1
	s_delay_alu instid0(VALU_DEP_1)
	v_add_co_ci_u32_e64 v5, null, s11, 0, s13
	global_load_u8 v11, v[4:5], off offset:1536
.LBB298_528:                            ;   in Loop: Header=BB298_516 Depth=2
	s_or_b32 exec_lo, exec_lo, s12
	s_delay_alu instid0(SALU_CYCLE_1)
	s_mov_b32 s13, exec_lo
                                        ; implicit-def: $sgpr12
                                        ; implicit-def: $vgpr4_vgpr5
	v_cmpx_gt_u32_e64 s0, v39
; %bb.529:                              ;   in Loop: Header=BB298_516 Depth=2
	v_add_co_u32 v4, s10, s10, v1
	s_delay_alu instid0(VALU_DEP_1) | instskip(SKIP_1) | instid1(VALU_DEP_2)
	v_add_co_ci_u32_e64 v5, null, s11, 0, s10
	s_sub_i32 s12, s33, s9
	v_add_co_u32 v4, vcc_lo, 0x700, v4
	s_delay_alu instid0(VALU_DEP_2)
	v_add_co_ci_u32_e32 v5, vcc_lo, 0, v5, vcc_lo
	s_or_b32 s8, s8, exec_lo
                                        ; implicit-def: $vgpr12
; %bb.530:                              ;   in Loop: Header=BB298_516 Depth=2
	s_or_b32 exec_lo, exec_lo, s13
	s_waitcnt vmcnt(0)
	v_dual_mov_b32 v14, v2 :: v_dual_mov_b32 v17, v8
	v_dual_mov_b32 v15, v6 :: v_dual_mov_b32 v16, v7
	;; [unrolled: 1-line block ×4, first 2 shown]
	s_and_saveexec_b32 s9, s8
	s_cbranch_execz .LBB298_532
.LBB298_531:                            ;   in Loop: Header=BB298_516 Depth=2
	global_load_u8 v12, v[4:5], off
	s_waitcnt vmcnt(1)
	v_dual_mov_b32 v13, s12 :: v_dual_mov_b32 v2, v14
	v_dual_mov_b32 v6, v15 :: v_dual_mov_b32 v7, v16
	;; [unrolled: 1-line block ×4, first 2 shown]
.LBB298_532:                            ;   in Loop: Header=BB298_516 Depth=2
	s_or_b32 exec_lo, exec_lo, s9
	v_lshlrev_b32_e32 v4, 2, v32
	s_mov_b32 s8, exec_lo
	v_cmpx_lt_u32_e64 v1, v13
	s_cbranch_execz .LBB298_540
; %bb.533:                              ;   in Loop: Header=BB298_516 Depth=2
	v_xor_b32_e32 v5, 0x7f, v2
	s_delay_alu instid0(VALU_DEP_1) | instskip(NEXT) | instid1(VALU_DEP_1)
	v_and_b32_e32 v5, 0xff, v5
	v_lshrrev_b32_e32 v5, s49, v5
	s_delay_alu instid0(VALU_DEP_1) | instskip(NEXT) | instid1(VALU_DEP_1)
	v_and_b32_e32 v5, s31, v5
	v_lshl_or_b32 v5, v5, 4, v4
	ds_add_u32 v5, v66
	s_or_b32 exec_lo, exec_lo, s8
	s_delay_alu instid0(SALU_CYCLE_1)
	s_mov_b32 s8, exec_lo
	v_cmpx_lt_u32_e64 v29, v13
	s_cbranch_execnz .LBB298_541
.LBB298_534:                            ;   in Loop: Header=BB298_516 Depth=2
	s_or_b32 exec_lo, exec_lo, s8
	s_delay_alu instid0(SALU_CYCLE_1)
	s_mov_b32 s8, exec_lo
	v_cmpx_lt_u32_e64 v30, v13
	s_cbranch_execz .LBB298_542
.LBB298_535:                            ;   in Loop: Header=BB298_516 Depth=2
	v_xor_b32_e32 v5, 0x7f, v7
	s_delay_alu instid0(VALU_DEP_1) | instskip(NEXT) | instid1(VALU_DEP_1)
	v_and_b32_e32 v5, 0xff, v5
	v_lshrrev_b32_e32 v5, s49, v5
	s_delay_alu instid0(VALU_DEP_1) | instskip(NEXT) | instid1(VALU_DEP_1)
	v_and_b32_e32 v5, s31, v5
	v_lshl_or_b32 v5, v5, 4, v4
	ds_add_u32 v5, v66
	s_or_b32 exec_lo, exec_lo, s8
	s_delay_alu instid0(SALU_CYCLE_1)
	s_mov_b32 s8, exec_lo
	v_cmpx_lt_u32_e64 v31, v13
	s_cbranch_execnz .LBB298_543
.LBB298_536:                            ;   in Loop: Header=BB298_516 Depth=2
	s_or_b32 exec_lo, exec_lo, s8
	s_delay_alu instid0(SALU_CYCLE_1)
	s_mov_b32 s8, exec_lo
	v_cmpx_lt_u32_e64 v35, v13
	s_cbranch_execz .LBB298_544
.LBB298_537:                            ;   in Loop: Header=BB298_516 Depth=2
	v_xor_b32_e32 v5, 0x7f, v9
	s_delay_alu instid0(VALU_DEP_1) | instskip(NEXT) | instid1(VALU_DEP_1)
	v_and_b32_e32 v5, 0xff, v5
	v_lshrrev_b32_e32 v5, s49, v5
	s_delay_alu instid0(VALU_DEP_1) | instskip(NEXT) | instid1(VALU_DEP_1)
	v_and_b32_e32 v5, s31, v5
	v_lshl_or_b32 v5, v5, 4, v4
	ds_add_u32 v5, v66
	s_or_b32 exec_lo, exec_lo, s8
	s_delay_alu instid0(SALU_CYCLE_1)
	s_mov_b32 s8, exec_lo
	v_cmpx_lt_u32_e64 v36, v13
	s_cbranch_execnz .LBB298_545
.LBB298_538:                            ;   in Loop: Header=BB298_516 Depth=2
	s_or_b32 exec_lo, exec_lo, s8
	s_delay_alu instid0(SALU_CYCLE_1)
	s_mov_b32 s8, exec_lo
	v_cmpx_lt_u32_e64 v37, v13
	s_cbranch_execz .LBB298_546
.LBB298_539:                            ;   in Loop: Header=BB298_516 Depth=2
	v_xor_b32_e32 v5, 0x7f, v11
	s_delay_alu instid0(VALU_DEP_1) | instskip(NEXT) | instid1(VALU_DEP_1)
	v_and_b32_e32 v5, 0xff, v5
	v_lshrrev_b32_e32 v5, s49, v5
	s_delay_alu instid0(VALU_DEP_1) | instskip(NEXT) | instid1(VALU_DEP_1)
	v_and_b32_e32 v5, s31, v5
	v_lshl_or_b32 v5, v5, 4, v4
	ds_add_u32 v5, v66
	s_or_b32 exec_lo, exec_lo, s8
	s_delay_alu instid0(SALU_CYCLE_1)
	s_mov_b32 s8, exec_lo
	v_cmpx_lt_u32_e64 v39, v13
	s_cbranch_execz .LBB298_515
	s_branch .LBB298_547
.LBB298_540:                            ;   in Loop: Header=BB298_516 Depth=2
	s_or_b32 exec_lo, exec_lo, s8
	s_delay_alu instid0(SALU_CYCLE_1)
	s_mov_b32 s8, exec_lo
	v_cmpx_lt_u32_e64 v29, v13
	s_cbranch_execz .LBB298_534
.LBB298_541:                            ;   in Loop: Header=BB298_516 Depth=2
	v_xor_b32_e32 v5, 0x7f, v6
	s_delay_alu instid0(VALU_DEP_1) | instskip(NEXT) | instid1(VALU_DEP_1)
	v_and_b32_e32 v5, 0xff, v5
	v_lshrrev_b32_e32 v5, s49, v5
	s_delay_alu instid0(VALU_DEP_1) | instskip(NEXT) | instid1(VALU_DEP_1)
	v_and_b32_e32 v5, s31, v5
	v_lshl_or_b32 v5, v5, 4, v4
	ds_add_u32 v5, v66
	s_or_b32 exec_lo, exec_lo, s8
	s_delay_alu instid0(SALU_CYCLE_1)
	s_mov_b32 s8, exec_lo
	v_cmpx_lt_u32_e64 v30, v13
	s_cbranch_execnz .LBB298_535
.LBB298_542:                            ;   in Loop: Header=BB298_516 Depth=2
	s_or_b32 exec_lo, exec_lo, s8
	s_delay_alu instid0(SALU_CYCLE_1)
	s_mov_b32 s8, exec_lo
	v_cmpx_lt_u32_e64 v31, v13
	s_cbranch_execz .LBB298_536
.LBB298_543:                            ;   in Loop: Header=BB298_516 Depth=2
	v_xor_b32_e32 v5, 0x7f, v8
	s_delay_alu instid0(VALU_DEP_1) | instskip(NEXT) | instid1(VALU_DEP_1)
	v_and_b32_e32 v5, 0xff, v5
	v_lshrrev_b32_e32 v5, s49, v5
	s_delay_alu instid0(VALU_DEP_1) | instskip(NEXT) | instid1(VALU_DEP_1)
	v_and_b32_e32 v5, s31, v5
	v_lshl_or_b32 v5, v5, 4, v4
	ds_add_u32 v5, v66
	s_or_b32 exec_lo, exec_lo, s8
	s_delay_alu instid0(SALU_CYCLE_1)
	s_mov_b32 s8, exec_lo
	v_cmpx_lt_u32_e64 v35, v13
	s_cbranch_execnz .LBB298_537
.LBB298_544:                            ;   in Loop: Header=BB298_516 Depth=2
	s_or_b32 exec_lo, exec_lo, s8
	s_delay_alu instid0(SALU_CYCLE_1)
	s_mov_b32 s8, exec_lo
	v_cmpx_lt_u32_e64 v36, v13
	s_cbranch_execz .LBB298_538
.LBB298_545:                            ;   in Loop: Header=BB298_516 Depth=2
	v_xor_b32_e32 v5, 0x7f, v10
	s_delay_alu instid0(VALU_DEP_1) | instskip(NEXT) | instid1(VALU_DEP_1)
	v_and_b32_e32 v5, 0xff, v5
	v_lshrrev_b32_e32 v5, s49, v5
	s_delay_alu instid0(VALU_DEP_1) | instskip(NEXT) | instid1(VALU_DEP_1)
	v_and_b32_e32 v5, s31, v5
	v_lshl_or_b32 v5, v5, 4, v4
	ds_add_u32 v5, v66
	s_or_b32 exec_lo, exec_lo, s8
	s_delay_alu instid0(SALU_CYCLE_1)
	s_mov_b32 s8, exec_lo
	v_cmpx_lt_u32_e64 v37, v13
	s_cbranch_execnz .LBB298_539
.LBB298_546:                            ;   in Loop: Header=BB298_516 Depth=2
	s_or_b32 exec_lo, exec_lo, s8
	s_delay_alu instid0(SALU_CYCLE_1)
	s_mov_b32 s8, exec_lo
	v_cmpx_lt_u32_e64 v39, v13
	s_cbranch_execz .LBB298_515
.LBB298_547:                            ;   in Loop: Header=BB298_516 Depth=2
	s_waitcnt vmcnt(0)
	v_xor_b32_e32 v5, 0x7f, v12
	s_delay_alu instid0(VALU_DEP_1) | instskip(NEXT) | instid1(VALU_DEP_1)
	v_and_b32_e32 v5, 0xff, v5
	v_lshrrev_b32_e32 v5, s49, v5
	s_delay_alu instid0(VALU_DEP_1) | instskip(NEXT) | instid1(VALU_DEP_1)
	v_and_b32_e32 v5, s31, v5
	v_lshl_or_b32 v4, v5, 4, v4
	ds_add_u32 v4, v66
	s_branch .LBB298_515
.LBB298_548:                            ;   in Loop: Header=BB298_516 Depth=2
	s_or_b32 exec_lo, exec_lo, s12
	s_delay_alu instid0(SALU_CYCLE_1)
	s_mov_b32 s12, exec_lo
	v_cmpx_gt_u32_e64 s0, v29
	s_cbranch_execz .LBB298_522
.LBB298_549:                            ;   in Loop: Header=BB298_516 Depth=2
	v_add_co_u32 v4, s13, s10, v1
	s_delay_alu instid0(VALU_DEP_1) | instskip(SKIP_2) | instid1(SALU_CYCLE_1)
	v_add_co_ci_u32_e64 v5, null, s11, 0, s13
	global_load_u8 v6, v[4:5], off offset:256
	s_or_b32 exec_lo, exec_lo, s12
	s_mov_b32 s12, exec_lo
	v_cmpx_gt_u32_e64 s0, v30
	s_cbranch_execnz .LBB298_523
.LBB298_550:                            ;   in Loop: Header=BB298_516 Depth=2
	s_or_b32 exec_lo, exec_lo, s12
	s_delay_alu instid0(SALU_CYCLE_1)
	s_mov_b32 s12, exec_lo
	v_cmpx_gt_u32_e64 s0, v31
	s_cbranch_execz .LBB298_524
.LBB298_551:                            ;   in Loop: Header=BB298_516 Depth=2
	v_add_co_u32 v4, s13, s10, v1
	s_delay_alu instid0(VALU_DEP_1) | instskip(SKIP_2) | instid1(SALU_CYCLE_1)
	v_add_co_ci_u32_e64 v5, null, s11, 0, s13
	global_load_u8 v8, v[4:5], off offset:768
	s_or_b32 exec_lo, exec_lo, s12
	s_mov_b32 s12, exec_lo
	v_cmpx_gt_u32_e64 s0, v35
	s_cbranch_execnz .LBB298_525
.LBB298_552:                            ;   in Loop: Header=BB298_516 Depth=2
	s_or_b32 exec_lo, exec_lo, s12
	s_delay_alu instid0(SALU_CYCLE_1)
	s_mov_b32 s12, exec_lo
	v_cmpx_gt_u32_e64 s0, v36
	s_cbranch_execz .LBB298_526
.LBB298_553:                            ;   in Loop: Header=BB298_516 Depth=2
	v_add_co_u32 v4, s13, s10, v1
	s_delay_alu instid0(VALU_DEP_1) | instskip(SKIP_2) | instid1(SALU_CYCLE_1)
	v_add_co_ci_u32_e64 v5, null, s11, 0, s13
	global_load_u8 v10, v[4:5], off offset:1280
	s_or_b32 exec_lo, exec_lo, s12
	s_mov_b32 s12, exec_lo
	v_cmpx_gt_u32_e64 s0, v37
	s_cbranch_execz .LBB298_528
	s_branch .LBB298_527
.LBB298_554:                            ;   in Loop: Header=BB298_12 Depth=1
	v_mov_b32_e32 v2, 0
	s_waitcnt vmcnt(0) lgkmcnt(0)
	s_barrier
	buffer_gl0_inv
	s_and_saveexec_b32 s0, s2
	s_cbranch_execz .LBB298_556
; %bb.555:                              ;   in Loop: Header=BB298_12 Depth=1
	ds_load_2addr_b64 v[4:7], v40 offset1:1
	s_waitcnt lgkmcnt(0)
	v_add_nc_u32_e32 v2, v5, v4
	s_delay_alu instid0(VALU_DEP_1)
	v_add3_u32 v2, v2, v6, v7
.LBB298_556:                            ;   in Loop: Header=BB298_12 Depth=1
	s_or_b32 exec_lo, exec_lo, s0
	v_and_b32_e32 v4, 15, v63
	s_delay_alu instid0(VALU_DEP_2) | instskip(SKIP_1) | instid1(VALU_DEP_3)
	v_mov_b32_dpp v5, v2 row_shr:1 row_mask:0xf bank_mask:0xf
	v_and_b32_e32 v6, 16, v63
	v_cmp_eq_u32_e64 s0, 0, v4
	v_cmp_lt_u32_e64 s1, 1, v4
	v_cmp_lt_u32_e64 s8, 3, v4
	;; [unrolled: 1-line block ×3, first 2 shown]
	v_cmp_eq_u32_e64 s10, 0, v6
	v_cndmask_b32_e64 v5, v5, 0, s0
	s_delay_alu instid0(VALU_DEP_1) | instskip(NEXT) | instid1(VALU_DEP_1)
	v_add_nc_u32_e32 v2, v5, v2
	v_mov_b32_dpp v5, v2 row_shr:2 row_mask:0xf bank_mask:0xf
	s_delay_alu instid0(VALU_DEP_1) | instskip(NEXT) | instid1(VALU_DEP_1)
	v_cndmask_b32_e64 v5, 0, v5, s1
	v_add_nc_u32_e32 v2, v2, v5
	s_delay_alu instid0(VALU_DEP_1) | instskip(NEXT) | instid1(VALU_DEP_1)
	v_mov_b32_dpp v5, v2 row_shr:4 row_mask:0xf bank_mask:0xf
	v_cndmask_b32_e64 v5, 0, v5, s8
	s_delay_alu instid0(VALU_DEP_1) | instskip(NEXT) | instid1(VALU_DEP_1)
	v_add_nc_u32_e32 v2, v2, v5
	v_mov_b32_dpp v5, v2 row_shr:8 row_mask:0xf bank_mask:0xf
	s_delay_alu instid0(VALU_DEP_1) | instskip(SKIP_1) | instid1(VALU_DEP_2)
	v_cndmask_b32_e64 v4, 0, v5, s9
	v_bfe_i32 v5, v63, 4, 1
	v_add_nc_u32_e32 v2, v2, v4
	ds_swizzle_b32 v4, v2 offset:swizzle(BROADCAST,32,15)
	s_waitcnt lgkmcnt(0)
	v_and_b32_e32 v4, v5, v4
	s_delay_alu instid0(VALU_DEP_1)
	v_add_nc_u32_e32 v4, v2, v4
	s_and_saveexec_b32 s11, s3
	s_cbranch_execz .LBB298_558
; %bb.557:                              ;   in Loop: Header=BB298_12 Depth=1
	ds_store_b32 v41, v4
.LBB298_558:                            ;   in Loop: Header=BB298_12 Depth=1
	s_or_b32 exec_lo, exec_lo, s11
	v_and_b32_e32 v2, 7, v63
	s_waitcnt lgkmcnt(0)
	s_barrier
	buffer_gl0_inv
	s_and_saveexec_b32 s11, s4
	s_cbranch_execz .LBB298_560
; %bb.559:                              ;   in Loop: Header=BB298_12 Depth=1
	ds_load_b32 v5, v42
	v_cmp_ne_u32_e32 vcc_lo, 0, v2
	s_waitcnt lgkmcnt(0)
	v_mov_b32_dpp v6, v5 row_shr:1 row_mask:0xf bank_mask:0xf
	s_delay_alu instid0(VALU_DEP_1) | instskip(SKIP_1) | instid1(VALU_DEP_2)
	v_cndmask_b32_e32 v6, 0, v6, vcc_lo
	v_cmp_lt_u32_e32 vcc_lo, 1, v2
	v_add_nc_u32_e32 v5, v6, v5
	s_delay_alu instid0(VALU_DEP_1) | instskip(NEXT) | instid1(VALU_DEP_1)
	v_mov_b32_dpp v6, v5 row_shr:2 row_mask:0xf bank_mask:0xf
	v_cndmask_b32_e32 v6, 0, v6, vcc_lo
	v_cmp_lt_u32_e32 vcc_lo, 3, v2
	s_delay_alu instid0(VALU_DEP_2) | instskip(NEXT) | instid1(VALU_DEP_1)
	v_add_nc_u32_e32 v5, v5, v6
	v_mov_b32_dpp v6, v5 row_shr:4 row_mask:0xf bank_mask:0xf
	s_delay_alu instid0(VALU_DEP_1) | instskip(NEXT) | instid1(VALU_DEP_1)
	v_cndmask_b32_e32 v6, 0, v6, vcc_lo
	v_add_nc_u32_e32 v5, v5, v6
	ds_store_b32 v42, v5
.LBB298_560:                            ;   in Loop: Header=BB298_12 Depth=1
	s_or_b32 exec_lo, exec_lo, s11
	v_mov_b32_e32 v5, 0
	s_waitcnt lgkmcnt(0)
	s_barrier
	buffer_gl0_inv
	s_and_saveexec_b32 s11, s5
	s_cbranch_execz .LBB298_562
; %bb.561:                              ;   in Loop: Header=BB298_12 Depth=1
	ds_load_b32 v5, v43
.LBB298_562:                            ;   in Loop: Header=BB298_12 Depth=1
	s_or_b32 exec_lo, exec_lo, s11
	v_add_nc_u32_e32 v6, -1, v63
	s_waitcnt lgkmcnt(0)
	v_add_nc_u32_e32 v4, v5, v4
	v_cmp_eq_u32_e64 s11, 0, v63
	s_barrier
	v_cmp_gt_i32_e32 vcc_lo, 0, v6
	buffer_gl0_inv
	v_cndmask_b32_e32 v6, v6, v63, vcc_lo
	s_delay_alu instid0(VALU_DEP_1)
	v_lshlrev_b32_e32 v69, 2, v6
	ds_bpermute_b32 v4, v69, v4
	s_and_saveexec_b32 s12, s2
	s_cbranch_execz .LBB298_564
; %bb.563:                              ;   in Loop: Header=BB298_12 Depth=1
	s_waitcnt lgkmcnt(0)
	v_cndmask_b32_e64 v4, v4, v5, s11
	s_delay_alu instid0(VALU_DEP_1)
	v_add_nc_u32_e32 v4, s27, v4
	ds_store_b32 v28, v4
.LBB298_564:                            ;   in Loop: Header=BB298_12 Depth=1
	s_or_b32 exec_lo, exec_lo, s12
	s_load_b64 s[12:13], s[28:29], 0x0
	v_cmp_lt_u32_e64 s14, 3, v2
	v_add_co_u32 v71, vcc_lo, v64, v63
	v_add_co_ci_u32_e32 v72, vcc_lo, 0, v65, vcc_lo
	v_or_b32_e32 v70, v63, v44
	s_mov_b32 s42, s35
	s_mov_b32 s24, s27
                                        ; implicit-def: $vgpr8_vgpr9
                                        ; implicit-def: $vgpr10_vgpr11
                                        ; implicit-def: $vgpr12_vgpr13
                                        ; implicit-def: $vgpr14_vgpr15
                                        ; implicit-def: $vgpr16_vgpr17
                                        ; implicit-def: $vgpr18_vgpr19
                                        ; implicit-def: $vgpr85
                                        ; implicit-def: $vgpr86
                                        ; implicit-def: $vgpr87
                                        ; implicit-def: $vgpr88
                                        ; implicit-def: $vgpr89
                                        ; implicit-def: $vgpr90
                                        ; implicit-def: $vgpr91
                                        ; implicit-def: $vgpr92
	s_delay_alu instid0(VALU_DEP_1)
	v_or_b32_e32 v75, 32, v70
	v_or_b32_e32 v76, 64, v70
	v_or_b32_e32 v77, 0x60, v70
	v_or_b32_e32 v78, 0x80, v70
	v_or_b32_e32 v79, 0xa0, v70
	v_or_b32_e32 v80, 0xc0, v70
	v_or_b32_e32 v81, 0xe0, v70
	s_waitcnt lgkmcnt(0)
	s_cmp_lt_u32 s15, s13
	s_cselect_b32 s13, 14, 20
	s_delay_alu instid0(SALU_CYCLE_1) | instskip(SKIP_4) | instid1(SALU_CYCLE_1)
	s_add_u32 s16, s28, s13
	s_addc_u32 s17, s29, 0
	s_cmp_lt_u32 s26, s12
	global_load_u16 v4, v3, s[16:17]
	s_cselect_b32 s12, 12, 18
	s_add_u32 s12, s28, s12
	s_addc_u32 s13, s29, 0
	global_load_u16 v6, v3, s[12:13]
	v_cmp_eq_u32_e64 s12, 0, v2
	v_cmp_lt_u32_e64 s13, 1, v2
	v_lshlrev_b32_e32 v2, 3, v63
	s_delay_alu instid0(VALU_DEP_1)
	v_add_co_u32 v73, vcc_lo, v61, v2
	v_add_co_ci_u32_e32 v74, vcc_lo, 0, v62, vcc_lo
	v_add_co_u32 v83, vcc_lo, 0xe0, v71
	v_add_co_ci_u32_e32 v84, vcc_lo, 0, v72, vcc_lo
	s_waitcnt vmcnt(1)
	v_mad_u32_u24 v7, v45, v4, v0
	s_waitcnt vmcnt(0)
	s_delay_alu instid0(VALU_DEP_1) | instskip(NEXT) | instid1(VALU_DEP_1)
	v_mad_u64_u32 v[4:5], null, v7, v6, v[1:2]
                                        ; implicit-def: $vgpr6_vgpr7
	v_lshrrev_b32_e32 v82, 5, v4
                                        ; implicit-def: $vgpr4_vgpr5
	s_branch .LBB298_566
.LBB298_565:                            ;   in Loop: Header=BB298_566 Depth=2
	s_or_b32 exec_lo, exec_lo, s16
	s_addk_i32 s42, 0xf800
	s_cmp_lt_u32 s43, s33
	s_mov_b32 s24, s43
	s_cbranch_scc0 .LBB298_10
.LBB298_566:                            ;   Parent Loop BB298_12 Depth=1
                                        ; =>  This Inner Loop Header: Depth=2
	s_add_i32 s43, s24, 0x800
	s_delay_alu instid0(SALU_CYCLE_1)
	s_cmp_gt_u32 s43, s33
	s_cbranch_scc1 .LBB298_569
; %bb.567:                              ;   in Loop: Header=BB298_566 Depth=2
	v_add_co_u32 v20, vcc_lo, v71, s24
	v_add_co_ci_u32_e32 v21, vcc_lo, 0, v72, vcc_lo
	s_mov_b32 s17, 0
	s_mov_b32 s16, s24
	s_mov_b32 s19, -1
	s_clause 0x6
	global_load_u8 v23, v[20:21], off offset:192
	global_load_u8 v24, v[20:21], off offset:160
	;; [unrolled: 1-line block ×6, first 2 shown]
	global_load_u8 v93, v[20:21], off
	s_movk_i32 s18, 0x800
	s_cbranch_execz .LBB298_570
; %bb.568:                              ;   in Loop: Header=BB298_566 Depth=2
                                        ; implicit-def: $vgpr22
	v_mov_b32_e32 v2, s42
	s_and_saveexec_b32 s20, s19
	s_cbranch_execnz .LBB298_579
	s_branch .LBB298_580
.LBB298_569:                            ;   in Loop: Header=BB298_566 Depth=2
	s_mov_b32 s17, -1
	s_mov_b32 s19, 0
                                        ; implicit-def: $sgpr18
                                        ; implicit-def: $vgpr93
                                        ; implicit-def: $vgpr95
                                        ; implicit-def: $vgpr27
                                        ; implicit-def: $vgpr26
                                        ; implicit-def: $vgpr25
                                        ; implicit-def: $vgpr24
                                        ; implicit-def: $vgpr23
.LBB298_570:                            ;   in Loop: Header=BB298_566 Depth=2
	v_add_co_u32 v20, vcc_lo, v71, s24
	v_add_co_ci_u32_e32 v21, vcc_lo, 0, v72, vcc_lo
	s_waitcnt vmcnt(0)
	v_dual_mov_b32 v93, 0x80 :: v_dual_mov_b32 v22, 0x80
	v_dual_mov_b32 v95, 0x80 :: v_dual_mov_b32 v26, 0x80
	v_dual_mov_b32 v27, 0x80 :: v_dual_mov_b32 v24, 0x80
	v_mov_b32_e32 v25, 0x80
	v_mov_b32_e32 v23, 0x80
	s_mov_b32 s16, exec_lo
	v_cmpx_gt_u32_e64 s42, v70
	s_cbranch_execz .LBB298_672
; %bb.571:                              ;   in Loop: Header=BB298_566 Depth=2
	global_load_u8 v93, v[20:21], off
	v_dual_mov_b32 v95, 0x80 :: v_dual_mov_b32 v26, 0x80
	v_dual_mov_b32 v27, 0x80 :: v_dual_mov_b32 v24, 0x80
	;; [unrolled: 1-line block ×3, first 2 shown]
	v_mov_b32_e32 v23, 0x80
	s_or_b32 exec_lo, exec_lo, s16
	s_delay_alu instid0(SALU_CYCLE_1)
	s_mov_b32 s16, exec_lo
	v_cmpx_gt_u32_e64 s42, v75
	s_cbranch_execnz .LBB298_673
.LBB298_572:                            ;   in Loop: Header=BB298_566 Depth=2
	s_or_b32 exec_lo, exec_lo, s16
	s_delay_alu instid0(SALU_CYCLE_1)
	s_mov_b32 s16, exec_lo
	v_cmpx_gt_u32_e64 s42, v76
	s_cbranch_execz .LBB298_674
.LBB298_573:                            ;   in Loop: Header=BB298_566 Depth=2
	global_load_u8 v27, v[20:21], off offset:64
	s_or_b32 exec_lo, exec_lo, s16
	s_delay_alu instid0(SALU_CYCLE_1)
	s_mov_b32 s16, exec_lo
	v_cmpx_gt_u32_e64 s42, v77
	s_cbranch_execnz .LBB298_675
.LBB298_574:                            ;   in Loop: Header=BB298_566 Depth=2
	s_or_b32 exec_lo, exec_lo, s16
	s_delay_alu instid0(SALU_CYCLE_1)
	s_mov_b32 s16, exec_lo
	v_cmpx_gt_u32_e64 s42, v78
	s_cbranch_execz .LBB298_676
.LBB298_575:                            ;   in Loop: Header=BB298_566 Depth=2
	global_load_u8 v25, v[20:21], off offset:128
	s_or_b32 exec_lo, exec_lo, s16
	s_delay_alu instid0(SALU_CYCLE_1)
	s_mov_b32 s16, exec_lo
	v_cmpx_gt_u32_e64 s42, v79
	s_cbranch_execnz .LBB298_677
.LBB298_576:                            ;   in Loop: Header=BB298_566 Depth=2
	s_or_b32 exec_lo, exec_lo, s16
	s_delay_alu instid0(SALU_CYCLE_1)
	s_mov_b32 s16, exec_lo
	v_cmpx_gt_u32_e64 s42, v80
	s_cbranch_execz .LBB298_578
.LBB298_577:                            ;   in Loop: Header=BB298_566 Depth=2
	global_load_u8 v23, v[20:21], off offset:192
.LBB298_578:                            ;   in Loop: Header=BB298_566 Depth=2
	s_or_b32 exec_lo, exec_lo, s16
	v_cmp_gt_u32_e64 s19, s42, v81
	s_sub_i32 s18, s33, s24
	s_mov_b64 s[16:17], s[24:25]
	v_mov_b32_e32 v2, s42
	s_delay_alu instid0(VALU_DEP_2)
	s_and_saveexec_b32 s20, s19
	s_cbranch_execz .LBB298_580
.LBB298_579:                            ;   in Loop: Header=BB298_566 Depth=2
	v_add_co_u32 v20, vcc_lo, v83, s16
	v_add_co_ci_u32_e32 v21, vcc_lo, s17, v84, vcc_lo
	v_mov_b32_e32 v2, s18
	global_load_u8 v22, v[20:21], off
.LBB298_580:                            ;   in Loop: Header=BB298_566 Depth=2
	s_or_b32 exec_lo, exec_lo, s20
	s_waitcnt vmcnt(0)
	v_xor_b32_e32 v93, 0x7f, v93
	ds_store_b32 v46, v3 offset:1056
	ds_store_2addr_b32 v47, v3, v3 offset0:1 offset1:2
	ds_store_2addr_b32 v47, v3, v3 offset0:3 offset1:4
	;; [unrolled: 1-line block ×4, first 2 shown]
	s_waitcnt lgkmcnt(0)
	s_barrier
	v_and_b32_e32 v20, 0xff, v93
	buffer_gl0_inv
	; wave barrier
	v_lshrrev_b32_e32 v20, s49, v20
	s_delay_alu instid0(VALU_DEP_1) | instskip(NEXT) | instid1(VALU_DEP_1)
	v_and_b32_e32 v21, s31, v20
	v_and_b32_e32 v20, 1, v21
	v_lshlrev_b32_e32 v94, 30, v21
	v_lshlrev_b32_e32 v96, 29, v21
	;; [unrolled: 1-line block ×4, first 2 shown]
	v_add_co_u32 v20, s16, v20, -1
	s_delay_alu instid0(VALU_DEP_1)
	v_cndmask_b32_e64 v98, 0, 1, s16
	v_not_b32_e32 v102, v94
	v_cmp_gt_i32_e64 s16, 0, v94
	v_not_b32_e32 v94, v96
	v_lshlrev_b32_e32 v100, 26, v21
	v_cmp_ne_u32_e32 vcc_lo, 0, v98
	v_ashrrev_i32_e32 v102, 31, v102
	v_lshlrev_b32_e32 v101, 25, v21
	v_ashrrev_i32_e32 v94, 31, v94
	v_lshlrev_b32_e32 v98, 24, v21
	v_xor_b32_e32 v20, vcc_lo, v20
	v_cmp_gt_i32_e32 vcc_lo, 0, v96
	v_not_b32_e32 v96, v97
	v_xor_b32_e32 v102, s16, v102
	v_cmp_gt_i32_e64 s16, 0, v97
	v_and_b32_e32 v20, exec_lo, v20
	v_not_b32_e32 v97, v99
	v_ashrrev_i32_e32 v96, 31, v96
	v_xor_b32_e32 v94, vcc_lo, v94
	v_cmp_gt_i32_e32 vcc_lo, 0, v99
	v_and_b32_e32 v20, v20, v102
	v_not_b32_e32 v99, v100
	v_ashrrev_i32_e32 v97, 31, v97
	v_xor_b32_e32 v96, s16, v96
	v_cmp_gt_i32_e64 s16, 0, v100
	v_and_b32_e32 v20, v20, v94
	v_not_b32_e32 v94, v101
	v_ashrrev_i32_e32 v99, 31, v99
	v_xor_b32_e32 v97, vcc_lo, v97
	v_cmp_gt_i32_e32 vcc_lo, 0, v101
	v_and_b32_e32 v20, v20, v96
	v_not_b32_e32 v96, v98
	v_ashrrev_i32_e32 v94, 31, v94
	v_xor_b32_e32 v99, s16, v99
	v_cmp_gt_i32_e64 s16, 0, v98
	v_and_b32_e32 v20, v20, v97
	v_ashrrev_i32_e32 v96, 31, v96
	v_xor_b32_e32 v94, vcc_lo, v94
	v_mad_u32_u24 v21, v21, 9, v82
	s_delay_alu instid0(VALU_DEP_4) | instskip(NEXT) | instid1(VALU_DEP_4)
	v_and_b32_e32 v20, v20, v99
	v_xor_b32_e32 v96, s16, v96
	s_delay_alu instid0(VALU_DEP_2) | instskip(NEXT) | instid1(VALU_DEP_1)
	v_and_b32_e32 v20, v20, v94
	v_and_b32_e32 v20, v20, v96
	v_lshl_add_u32 v96, v21, 2, 0x420
	s_delay_alu instid0(VALU_DEP_2) | instskip(SKIP_1) | instid1(VALU_DEP_2)
	v_mbcnt_lo_u32_b32 v94, v20, 0
	v_cmp_ne_u32_e64 s16, 0, v20
	v_cmp_eq_u32_e32 vcc_lo, 0, v94
	s_delay_alu instid0(VALU_DEP_2) | instskip(NEXT) | instid1(SALU_CYCLE_1)
	s_and_b32 s17, s16, vcc_lo
	s_and_saveexec_b32 s16, s17
	s_cbranch_execz .LBB298_582
; %bb.581:                              ;   in Loop: Header=BB298_566 Depth=2
	v_bcnt_u32_b32 v20, v20, 0
	ds_store_b32 v96, v20
.LBB298_582:                            ;   in Loop: Header=BB298_566 Depth=2
	s_or_b32 exec_lo, exec_lo, s16
	v_xor_b32_e32 v95, 0x7f, v95
	; wave barrier
	s_delay_alu instid0(VALU_DEP_1) | instskip(NEXT) | instid1(VALU_DEP_1)
	v_and_b32_e32 v20, 0xff, v95
	v_lshrrev_b32_e32 v20, s49, v20
	s_delay_alu instid0(VALU_DEP_1) | instskip(NEXT) | instid1(VALU_DEP_1)
	v_and_b32_e32 v20, s31, v20
	v_and_b32_e32 v21, 1, v20
	v_lshlrev_b32_e32 v97, 30, v20
	v_lshlrev_b32_e32 v98, 29, v20
	;; [unrolled: 1-line block ×4, first 2 shown]
	v_add_co_u32 v21, s16, v21, -1
	s_delay_alu instid0(VALU_DEP_1)
	v_cndmask_b32_e64 v100, 0, 1, s16
	v_not_b32_e32 v104, v97
	v_cmp_gt_i32_e64 s16, 0, v97
	v_not_b32_e32 v97, v98
	v_lshlrev_b32_e32 v102, 26, v20
	v_cmp_ne_u32_e32 vcc_lo, 0, v100
	v_ashrrev_i32_e32 v104, 31, v104
	v_lshlrev_b32_e32 v103, 25, v20
	v_ashrrev_i32_e32 v97, 31, v97
	v_lshlrev_b32_e32 v100, 24, v20
	v_xor_b32_e32 v21, vcc_lo, v21
	v_cmp_gt_i32_e32 vcc_lo, 0, v98
	v_not_b32_e32 v98, v99
	v_xor_b32_e32 v104, s16, v104
	v_cmp_gt_i32_e64 s16, 0, v99
	v_and_b32_e32 v21, exec_lo, v21
	v_not_b32_e32 v99, v101
	v_ashrrev_i32_e32 v98, 31, v98
	v_xor_b32_e32 v97, vcc_lo, v97
	v_cmp_gt_i32_e32 vcc_lo, 0, v101
	v_and_b32_e32 v21, v21, v104
	v_not_b32_e32 v101, v102
	v_ashrrev_i32_e32 v99, 31, v99
	v_xor_b32_e32 v98, s16, v98
	v_cmp_gt_i32_e64 s16, 0, v102
	v_and_b32_e32 v21, v21, v97
	v_not_b32_e32 v97, v103
	v_ashrrev_i32_e32 v101, 31, v101
	v_xor_b32_e32 v99, vcc_lo, v99
	v_cmp_gt_i32_e32 vcc_lo, 0, v103
	v_and_b32_e32 v21, v21, v98
	v_not_b32_e32 v98, v100
	v_ashrrev_i32_e32 v97, 31, v97
	v_xor_b32_e32 v101, s16, v101
	v_mul_u32_u24_e32 v20, 9, v20
	v_and_b32_e32 v21, v21, v99
	v_cmp_gt_i32_e64 s16, 0, v100
	v_ashrrev_i32_e32 v98, 31, v98
	v_xor_b32_e32 v97, vcc_lo, v97
	v_add_lshl_u32 v99, v20, v82, 2
	v_and_b32_e32 v21, v21, v101
	s_delay_alu instid0(VALU_DEP_4) | instskip(NEXT) | instid1(VALU_DEP_3)
	v_xor_b32_e32 v20, s16, v98
	v_add_nc_u32_e32 v100, 0x420, v99
	s_delay_alu instid0(VALU_DEP_3) | instskip(SKIP_2) | instid1(VALU_DEP_1)
	v_and_b32_e32 v21, v21, v97
	ds_load_b32 v97, v99 offset:1056
	; wave barrier
	v_and_b32_e32 v20, v21, v20
	v_mbcnt_lo_u32_b32 v98, v20, 0
	v_cmp_ne_u32_e64 s16, 0, v20
	s_delay_alu instid0(VALU_DEP_2) | instskip(NEXT) | instid1(VALU_DEP_2)
	v_cmp_eq_u32_e32 vcc_lo, 0, v98
	s_and_b32 s17, s16, vcc_lo
	s_delay_alu instid0(SALU_CYCLE_1)
	s_and_saveexec_b32 s16, s17
	s_cbranch_execz .LBB298_584
; %bb.583:                              ;   in Loop: Header=BB298_566 Depth=2
	s_waitcnt lgkmcnt(0)
	v_bcnt_u32_b32 v20, v20, v97
	ds_store_b32 v100, v20
.LBB298_584:                            ;   in Loop: Header=BB298_566 Depth=2
	s_or_b32 exec_lo, exec_lo, s16
	v_xor_b32_e32 v99, 0x7f, v27
	; wave barrier
	s_delay_alu instid0(VALU_DEP_1) | instskip(NEXT) | instid1(VALU_DEP_1)
	v_and_b32_e32 v20, 0xff, v99
	v_lshrrev_b32_e32 v20, s49, v20
	s_delay_alu instid0(VALU_DEP_1) | instskip(NEXT) | instid1(VALU_DEP_1)
	v_and_b32_e32 v20, s31, v20
	v_and_b32_e32 v21, 1, v20
	v_lshlrev_b32_e32 v27, 30, v20
	v_lshlrev_b32_e32 v101, 29, v20
	;; [unrolled: 1-line block ×4, first 2 shown]
	v_add_co_u32 v21, s16, v21, -1
	s_delay_alu instid0(VALU_DEP_1)
	v_cndmask_b32_e64 v103, 0, 1, s16
	v_not_b32_e32 v107, v27
	v_cmp_gt_i32_e64 s16, 0, v27
	v_not_b32_e32 v27, v101
	v_lshlrev_b32_e32 v105, 26, v20
	v_cmp_ne_u32_e32 vcc_lo, 0, v103
	v_ashrrev_i32_e32 v107, 31, v107
	v_lshlrev_b32_e32 v106, 25, v20
	v_ashrrev_i32_e32 v27, 31, v27
	v_lshlrev_b32_e32 v103, 24, v20
	v_xor_b32_e32 v21, vcc_lo, v21
	v_cmp_gt_i32_e32 vcc_lo, 0, v101
	v_not_b32_e32 v101, v102
	v_xor_b32_e32 v107, s16, v107
	v_cmp_gt_i32_e64 s16, 0, v102
	v_and_b32_e32 v21, exec_lo, v21
	v_not_b32_e32 v102, v104
	v_ashrrev_i32_e32 v101, 31, v101
	v_xor_b32_e32 v27, vcc_lo, v27
	v_cmp_gt_i32_e32 vcc_lo, 0, v104
	v_and_b32_e32 v21, v21, v107
	v_not_b32_e32 v104, v105
	v_ashrrev_i32_e32 v102, 31, v102
	v_xor_b32_e32 v101, s16, v101
	v_cmp_gt_i32_e64 s16, 0, v105
	v_and_b32_e32 v21, v21, v27
	v_not_b32_e32 v27, v106
	v_ashrrev_i32_e32 v104, 31, v104
	v_xor_b32_e32 v102, vcc_lo, v102
	v_cmp_gt_i32_e32 vcc_lo, 0, v106
	v_and_b32_e32 v21, v21, v101
	v_not_b32_e32 v101, v103
	v_ashrrev_i32_e32 v27, 31, v27
	v_xor_b32_e32 v104, s16, v104
	v_mul_u32_u24_e32 v20, 9, v20
	v_and_b32_e32 v21, v21, v102
	v_cmp_gt_i32_e64 s16, 0, v103
	v_ashrrev_i32_e32 v101, 31, v101
	v_xor_b32_e32 v27, vcc_lo, v27
	v_add_lshl_u32 v103, v20, v82, 2
	v_and_b32_e32 v21, v21, v104
	s_delay_alu instid0(VALU_DEP_4) | instskip(SKIP_3) | instid1(VALU_DEP_2)
	v_xor_b32_e32 v20, s16, v101
	ds_load_b32 v101, v103 offset:1056
	v_and_b32_e32 v21, v21, v27
	v_add_nc_u32_e32 v104, 0x420, v103
	; wave barrier
	v_and_b32_e32 v20, v21, v20
	s_delay_alu instid0(VALU_DEP_1) | instskip(SKIP_1) | instid1(VALU_DEP_2)
	v_mbcnt_lo_u32_b32 v102, v20, 0
	v_cmp_ne_u32_e64 s16, 0, v20
	v_cmp_eq_u32_e32 vcc_lo, 0, v102
	s_delay_alu instid0(VALU_DEP_2) | instskip(NEXT) | instid1(SALU_CYCLE_1)
	s_and_b32 s17, s16, vcc_lo
	s_and_saveexec_b32 s16, s17
	s_cbranch_execz .LBB298_586
; %bb.585:                              ;   in Loop: Header=BB298_566 Depth=2
	s_waitcnt lgkmcnt(0)
	v_bcnt_u32_b32 v20, v20, v101
	ds_store_b32 v104, v20
.LBB298_586:                            ;   in Loop: Header=BB298_566 Depth=2
	s_or_b32 exec_lo, exec_lo, s16
	v_xor_b32_e32 v103, 0x7f, v26
	; wave barrier
	s_delay_alu instid0(VALU_DEP_1) | instskip(NEXT) | instid1(VALU_DEP_1)
	v_and_b32_e32 v20, 0xff, v103
	v_lshrrev_b32_e32 v20, s49, v20
	s_delay_alu instid0(VALU_DEP_1) | instskip(NEXT) | instid1(VALU_DEP_1)
	v_and_b32_e32 v20, s31, v20
	v_and_b32_e32 v21, 1, v20
	v_lshlrev_b32_e32 v26, 30, v20
	v_lshlrev_b32_e32 v27, 29, v20
	v_lshlrev_b32_e32 v105, 28, v20
	v_lshlrev_b32_e32 v107, 27, v20
	v_add_co_u32 v21, s16, v21, -1
	s_delay_alu instid0(VALU_DEP_1)
	v_cndmask_b32_e64 v106, 0, 1, s16
	v_not_b32_e32 v110, v26
	v_cmp_gt_i32_e64 s16, 0, v26
	v_not_b32_e32 v26, v27
	v_lshlrev_b32_e32 v108, 26, v20
	v_cmp_ne_u32_e32 vcc_lo, 0, v106
	v_ashrrev_i32_e32 v110, 31, v110
	v_lshlrev_b32_e32 v109, 25, v20
	v_ashrrev_i32_e32 v26, 31, v26
	v_lshlrev_b32_e32 v106, 24, v20
	v_xor_b32_e32 v21, vcc_lo, v21
	v_cmp_gt_i32_e32 vcc_lo, 0, v27
	v_not_b32_e32 v27, v105
	v_xor_b32_e32 v110, s16, v110
	v_cmp_gt_i32_e64 s16, 0, v105
	v_and_b32_e32 v21, exec_lo, v21
	v_not_b32_e32 v105, v107
	v_ashrrev_i32_e32 v27, 31, v27
	v_xor_b32_e32 v26, vcc_lo, v26
	v_cmp_gt_i32_e32 vcc_lo, 0, v107
	v_and_b32_e32 v21, v21, v110
	v_not_b32_e32 v107, v108
	v_ashrrev_i32_e32 v105, 31, v105
	v_xor_b32_e32 v27, s16, v27
	v_cmp_gt_i32_e64 s16, 0, v108
	v_and_b32_e32 v21, v21, v26
	v_not_b32_e32 v26, v109
	v_ashrrev_i32_e32 v107, 31, v107
	v_xor_b32_e32 v105, vcc_lo, v105
	v_cmp_gt_i32_e32 vcc_lo, 0, v109
	v_and_b32_e32 v21, v21, v27
	v_not_b32_e32 v27, v106
	v_ashrrev_i32_e32 v26, 31, v26
	v_xor_b32_e32 v107, s16, v107
	v_mul_u32_u24_e32 v20, 9, v20
	v_and_b32_e32 v21, v21, v105
	v_cmp_gt_i32_e64 s16, 0, v106
	v_ashrrev_i32_e32 v27, 31, v27
	v_xor_b32_e32 v26, vcc_lo, v26
	s_delay_alu instid0(VALU_DEP_4) | instskip(SKIP_1) | instid1(VALU_DEP_4)
	v_and_b32_e32 v21, v21, v107
	v_add_lshl_u32 v107, v20, v82, 2
	v_xor_b32_e32 v20, s16, v27
	s_delay_alu instid0(VALU_DEP_3) | instskip(SKIP_3) | instid1(VALU_DEP_1)
	v_and_b32_e32 v21, v21, v26
	ds_load_b32 v105, v107 offset:1056
	v_add_nc_u32_e32 v108, 0x420, v107
	; wave barrier
	v_and_b32_e32 v20, v21, v20
	v_mbcnt_lo_u32_b32 v106, v20, 0
	v_cmp_ne_u32_e64 s16, 0, v20
	s_delay_alu instid0(VALU_DEP_2) | instskip(NEXT) | instid1(VALU_DEP_2)
	v_cmp_eq_u32_e32 vcc_lo, 0, v106
	s_and_b32 s17, s16, vcc_lo
	s_delay_alu instid0(SALU_CYCLE_1)
	s_and_saveexec_b32 s16, s17
	s_cbranch_execz .LBB298_588
; %bb.587:                              ;   in Loop: Header=BB298_566 Depth=2
	s_waitcnt lgkmcnt(0)
	v_bcnt_u32_b32 v20, v20, v105
	ds_store_b32 v108, v20
.LBB298_588:                            ;   in Loop: Header=BB298_566 Depth=2
	s_or_b32 exec_lo, exec_lo, s16
	v_xor_b32_e32 v107, 0x7f, v25
	; wave barrier
	s_delay_alu instid0(VALU_DEP_1) | instskip(NEXT) | instid1(VALU_DEP_1)
	v_and_b32_e32 v20, 0xff, v107
	v_lshrrev_b32_e32 v20, s49, v20
	s_delay_alu instid0(VALU_DEP_1) | instskip(NEXT) | instid1(VALU_DEP_1)
	v_and_b32_e32 v20, s31, v20
	v_and_b32_e32 v21, 1, v20
	v_lshlrev_b32_e32 v25, 30, v20
	v_lshlrev_b32_e32 v26, 29, v20
	;; [unrolled: 1-line block ×4, first 2 shown]
	v_add_co_u32 v21, s16, v21, -1
	s_delay_alu instid0(VALU_DEP_1)
	v_cndmask_b32_e64 v109, 0, 1, s16
	v_not_b32_e32 v113, v25
	v_cmp_gt_i32_e64 s16, 0, v25
	v_not_b32_e32 v25, v26
	v_lshlrev_b32_e32 v111, 26, v20
	v_cmp_ne_u32_e32 vcc_lo, 0, v109
	v_ashrrev_i32_e32 v113, 31, v113
	v_lshlrev_b32_e32 v112, 25, v20
	v_ashrrev_i32_e32 v25, 31, v25
	v_lshlrev_b32_e32 v109, 24, v20
	v_xor_b32_e32 v21, vcc_lo, v21
	v_cmp_gt_i32_e32 vcc_lo, 0, v26
	v_not_b32_e32 v26, v27
	v_xor_b32_e32 v113, s16, v113
	v_cmp_gt_i32_e64 s16, 0, v27
	v_and_b32_e32 v21, exec_lo, v21
	v_not_b32_e32 v27, v110
	v_ashrrev_i32_e32 v26, 31, v26
	v_xor_b32_e32 v25, vcc_lo, v25
	v_cmp_gt_i32_e32 vcc_lo, 0, v110
	v_and_b32_e32 v21, v21, v113
	v_not_b32_e32 v110, v111
	v_ashrrev_i32_e32 v27, 31, v27
	v_xor_b32_e32 v26, s16, v26
	v_cmp_gt_i32_e64 s16, 0, v111
	v_and_b32_e32 v21, v21, v25
	v_not_b32_e32 v25, v112
	v_ashrrev_i32_e32 v110, 31, v110
	v_xor_b32_e32 v27, vcc_lo, v27
	v_cmp_gt_i32_e32 vcc_lo, 0, v112
	v_and_b32_e32 v21, v21, v26
	v_not_b32_e32 v26, v109
	v_ashrrev_i32_e32 v25, 31, v25
	v_xor_b32_e32 v110, s16, v110
	v_mul_u32_u24_e32 v20, 9, v20
	v_and_b32_e32 v21, v21, v27
	v_cmp_gt_i32_e64 s16, 0, v109
	v_ashrrev_i32_e32 v26, 31, v26
	v_xor_b32_e32 v25, vcc_lo, v25
	v_add_lshl_u32 v27, v20, v82, 2
	v_and_b32_e32 v21, v21, v110
	s_delay_alu instid0(VALU_DEP_4) | instskip(SKIP_3) | instid1(VALU_DEP_2)
	v_xor_b32_e32 v20, s16, v26
	ds_load_b32 v109, v27 offset:1056
	v_and_b32_e32 v21, v21, v25
	v_add_nc_u32_e32 v112, 0x420, v27
	; wave barrier
	v_and_b32_e32 v20, v21, v20
	s_delay_alu instid0(VALU_DEP_1) | instskip(SKIP_1) | instid1(VALU_DEP_2)
	v_mbcnt_lo_u32_b32 v110, v20, 0
	v_cmp_ne_u32_e64 s16, 0, v20
	v_cmp_eq_u32_e32 vcc_lo, 0, v110
	s_delay_alu instid0(VALU_DEP_2) | instskip(NEXT) | instid1(SALU_CYCLE_1)
	s_and_b32 s17, s16, vcc_lo
	s_and_saveexec_b32 s16, s17
	s_cbranch_execz .LBB298_590
; %bb.589:                              ;   in Loop: Header=BB298_566 Depth=2
	s_waitcnt lgkmcnt(0)
	v_bcnt_u32_b32 v20, v20, v109
	ds_store_b32 v112, v20
.LBB298_590:                            ;   in Loop: Header=BB298_566 Depth=2
	s_or_b32 exec_lo, exec_lo, s16
	v_xor_b32_e32 v111, 0x7f, v24
	; wave barrier
	s_delay_alu instid0(VALU_DEP_1) | instskip(NEXT) | instid1(VALU_DEP_1)
	v_and_b32_e32 v20, 0xff, v111
	v_lshrrev_b32_e32 v20, s49, v20
	s_delay_alu instid0(VALU_DEP_1) | instskip(NEXT) | instid1(VALU_DEP_1)
	v_and_b32_e32 v20, s31, v20
	v_and_b32_e32 v21, 1, v20
	v_lshlrev_b32_e32 v24, 30, v20
	v_lshlrev_b32_e32 v25, 29, v20
	;; [unrolled: 1-line block ×4, first 2 shown]
	v_add_co_u32 v21, s16, v21, -1
	s_delay_alu instid0(VALU_DEP_1)
	v_cndmask_b32_e64 v27, 0, 1, s16
	v_not_b32_e32 v116, v24
	v_cmp_gt_i32_e64 s16, 0, v24
	v_not_b32_e32 v24, v25
	v_lshlrev_b32_e32 v114, 26, v20
	v_cmp_ne_u32_e32 vcc_lo, 0, v27
	v_ashrrev_i32_e32 v116, 31, v116
	v_lshlrev_b32_e32 v115, 25, v20
	v_ashrrev_i32_e32 v24, 31, v24
	v_lshlrev_b32_e32 v27, 24, v20
	v_xor_b32_e32 v21, vcc_lo, v21
	v_cmp_gt_i32_e32 vcc_lo, 0, v25
	v_not_b32_e32 v25, v26
	v_xor_b32_e32 v116, s16, v116
	v_cmp_gt_i32_e64 s16, 0, v26
	v_and_b32_e32 v21, exec_lo, v21
	v_not_b32_e32 v26, v113
	v_ashrrev_i32_e32 v25, 31, v25
	v_xor_b32_e32 v24, vcc_lo, v24
	v_cmp_gt_i32_e32 vcc_lo, 0, v113
	v_and_b32_e32 v21, v21, v116
	v_not_b32_e32 v113, v114
	v_ashrrev_i32_e32 v26, 31, v26
	v_xor_b32_e32 v25, s16, v25
	v_cmp_gt_i32_e64 s16, 0, v114
	v_and_b32_e32 v21, v21, v24
	v_not_b32_e32 v24, v115
	v_ashrrev_i32_e32 v113, 31, v113
	v_xor_b32_e32 v26, vcc_lo, v26
	v_cmp_gt_i32_e32 vcc_lo, 0, v115
	v_and_b32_e32 v21, v21, v25
	v_not_b32_e32 v25, v27
	v_ashrrev_i32_e32 v24, 31, v24
	v_xor_b32_e32 v113, s16, v113
	v_mul_u32_u24_e32 v20, 9, v20
	v_and_b32_e32 v21, v21, v26
	v_cmp_gt_i32_e64 s16, 0, v27
	v_ashrrev_i32_e32 v25, 31, v25
	v_xor_b32_e32 v24, vcc_lo, v24
	v_add_lshl_u32 v26, v20, v82, 2
	v_and_b32_e32 v21, v21, v113
	s_delay_alu instid0(VALU_DEP_4) | instskip(SKIP_3) | instid1(VALU_DEP_2)
	v_xor_b32_e32 v20, s16, v25
	ds_load_b32 v113, v26 offset:1056
	v_and_b32_e32 v21, v21, v24
	v_add_nc_u32_e32 v116, 0x420, v26
	; wave barrier
	v_and_b32_e32 v20, v21, v20
	s_delay_alu instid0(VALU_DEP_1) | instskip(SKIP_1) | instid1(VALU_DEP_2)
	v_mbcnt_lo_u32_b32 v114, v20, 0
	v_cmp_ne_u32_e64 s16, 0, v20
	v_cmp_eq_u32_e32 vcc_lo, 0, v114
	s_delay_alu instid0(VALU_DEP_2) | instskip(NEXT) | instid1(SALU_CYCLE_1)
	s_and_b32 s17, s16, vcc_lo
	s_and_saveexec_b32 s16, s17
	s_cbranch_execz .LBB298_592
; %bb.591:                              ;   in Loop: Header=BB298_566 Depth=2
	s_waitcnt lgkmcnt(0)
	v_bcnt_u32_b32 v20, v20, v113
	ds_store_b32 v116, v20
.LBB298_592:                            ;   in Loop: Header=BB298_566 Depth=2
	s_or_b32 exec_lo, exec_lo, s16
	v_xor_b32_e32 v115, 0x7f, v23
	; wave barrier
	s_delay_alu instid0(VALU_DEP_1) | instskip(NEXT) | instid1(VALU_DEP_1)
	v_and_b32_e32 v20, 0xff, v115
	v_lshrrev_b32_e32 v20, s49, v20
	s_delay_alu instid0(VALU_DEP_1) | instskip(NEXT) | instid1(VALU_DEP_1)
	v_and_b32_e32 v20, s31, v20
	v_and_b32_e32 v21, 1, v20
	v_lshlrev_b32_e32 v23, 30, v20
	v_lshlrev_b32_e32 v24, 29, v20
	v_lshlrev_b32_e32 v25, 28, v20
	v_lshlrev_b32_e32 v27, 27, v20
	v_add_co_u32 v21, s16, v21, -1
	s_delay_alu instid0(VALU_DEP_1)
	v_cndmask_b32_e64 v26, 0, 1, s16
	v_not_b32_e32 v119, v23
	v_cmp_gt_i32_e64 s16, 0, v23
	v_not_b32_e32 v23, v24
	v_lshlrev_b32_e32 v117, 26, v20
	v_cmp_ne_u32_e32 vcc_lo, 0, v26
	v_ashrrev_i32_e32 v119, 31, v119
	v_lshlrev_b32_e32 v118, 25, v20
	v_ashrrev_i32_e32 v23, 31, v23
	v_lshlrev_b32_e32 v26, 24, v20
	v_xor_b32_e32 v21, vcc_lo, v21
	v_cmp_gt_i32_e32 vcc_lo, 0, v24
	v_not_b32_e32 v24, v25
	v_xor_b32_e32 v119, s16, v119
	v_cmp_gt_i32_e64 s16, 0, v25
	v_and_b32_e32 v21, exec_lo, v21
	v_not_b32_e32 v25, v27
	v_ashrrev_i32_e32 v24, 31, v24
	v_xor_b32_e32 v23, vcc_lo, v23
	v_cmp_gt_i32_e32 vcc_lo, 0, v27
	v_and_b32_e32 v21, v21, v119
	v_not_b32_e32 v27, v117
	v_ashrrev_i32_e32 v25, 31, v25
	v_xor_b32_e32 v24, s16, v24
	v_cmp_gt_i32_e64 s16, 0, v117
	v_and_b32_e32 v21, v21, v23
	v_not_b32_e32 v23, v118
	v_ashrrev_i32_e32 v27, 31, v27
	v_xor_b32_e32 v25, vcc_lo, v25
	v_cmp_gt_i32_e32 vcc_lo, 0, v118
	v_and_b32_e32 v21, v21, v24
	v_not_b32_e32 v24, v26
	v_ashrrev_i32_e32 v23, 31, v23
	v_xor_b32_e32 v27, s16, v27
	v_mul_u32_u24_e32 v20, 9, v20
	v_and_b32_e32 v21, v21, v25
	v_cmp_gt_i32_e64 s16, 0, v26
	v_ashrrev_i32_e32 v24, 31, v24
	v_xor_b32_e32 v23, vcc_lo, v23
	v_add_lshl_u32 v25, v20, v82, 2
	v_and_b32_e32 v21, v21, v27
	s_delay_alu instid0(VALU_DEP_4) | instskip(SKIP_3) | instid1(VALU_DEP_2)
	v_xor_b32_e32 v20, s16, v24
	ds_load_b32 v117, v25 offset:1056
	v_and_b32_e32 v21, v21, v23
	v_add_nc_u32_e32 v120, 0x420, v25
	; wave barrier
	v_and_b32_e32 v20, v21, v20
	s_delay_alu instid0(VALU_DEP_1) | instskip(SKIP_1) | instid1(VALU_DEP_2)
	v_mbcnt_lo_u32_b32 v118, v20, 0
	v_cmp_ne_u32_e64 s16, 0, v20
	v_cmp_eq_u32_e32 vcc_lo, 0, v118
	s_delay_alu instid0(VALU_DEP_2) | instskip(NEXT) | instid1(SALU_CYCLE_1)
	s_and_b32 s17, s16, vcc_lo
	s_and_saveexec_b32 s16, s17
	s_cbranch_execz .LBB298_594
; %bb.593:                              ;   in Loop: Header=BB298_566 Depth=2
	s_waitcnt lgkmcnt(0)
	v_bcnt_u32_b32 v20, v20, v117
	ds_store_b32 v120, v20
.LBB298_594:                            ;   in Loop: Header=BB298_566 Depth=2
	s_or_b32 exec_lo, exec_lo, s16
	v_xor_b32_e32 v119, 0x7f, v22
	; wave barrier
	s_delay_alu instid0(VALU_DEP_1) | instskip(NEXT) | instid1(VALU_DEP_1)
	v_and_b32_e32 v20, 0xff, v119
	v_lshrrev_b32_e32 v20, s49, v20
	s_delay_alu instid0(VALU_DEP_1) | instskip(NEXT) | instid1(VALU_DEP_1)
	v_and_b32_e32 v20, s31, v20
	v_and_b32_e32 v21, 1, v20
	v_lshlrev_b32_e32 v22, 30, v20
	v_lshlrev_b32_e32 v23, 29, v20
	;; [unrolled: 1-line block ×4, first 2 shown]
	v_add_co_u32 v21, s16, v21, -1
	s_delay_alu instid0(VALU_DEP_1)
	v_cndmask_b32_e64 v25, 0, 1, s16
	v_not_b32_e32 v122, v22
	v_cmp_gt_i32_e64 s16, 0, v22
	v_not_b32_e32 v22, v23
	v_lshlrev_b32_e32 v27, 26, v20
	v_cmp_ne_u32_e32 vcc_lo, 0, v25
	v_ashrrev_i32_e32 v122, 31, v122
	v_lshlrev_b32_e32 v121, 25, v20
	v_ashrrev_i32_e32 v22, 31, v22
	v_lshlrev_b32_e32 v25, 24, v20
	v_xor_b32_e32 v21, vcc_lo, v21
	v_cmp_gt_i32_e32 vcc_lo, 0, v23
	v_not_b32_e32 v23, v24
	v_xor_b32_e32 v122, s16, v122
	v_cmp_gt_i32_e64 s16, 0, v24
	v_and_b32_e32 v21, exec_lo, v21
	v_not_b32_e32 v24, v26
	v_ashrrev_i32_e32 v23, 31, v23
	v_xor_b32_e32 v22, vcc_lo, v22
	v_cmp_gt_i32_e32 vcc_lo, 0, v26
	v_and_b32_e32 v21, v21, v122
	v_not_b32_e32 v26, v27
	v_ashrrev_i32_e32 v24, 31, v24
	v_xor_b32_e32 v23, s16, v23
	v_cmp_gt_i32_e64 s16, 0, v27
	v_and_b32_e32 v21, v21, v22
	v_not_b32_e32 v22, v121
	v_ashrrev_i32_e32 v26, 31, v26
	v_xor_b32_e32 v24, vcc_lo, v24
	v_cmp_gt_i32_e32 vcc_lo, 0, v121
	v_and_b32_e32 v21, v21, v23
	v_not_b32_e32 v23, v25
	v_ashrrev_i32_e32 v22, 31, v22
	v_xor_b32_e32 v26, s16, v26
	v_mul_u32_u24_e32 v20, 9, v20
	v_and_b32_e32 v21, v21, v24
	v_cmp_gt_i32_e64 s16, 0, v25
	v_ashrrev_i32_e32 v23, 31, v23
	v_xor_b32_e32 v22, vcc_lo, v22
	v_add_lshl_u32 v24, v20, v82, 2
	v_and_b32_e32 v21, v21, v26
	s_delay_alu instid0(VALU_DEP_4) | instskip(SKIP_3) | instid1(VALU_DEP_2)
	v_xor_b32_e32 v20, s16, v23
	ds_load_b32 v121, v24 offset:1056
	v_and_b32_e32 v21, v21, v22
	v_add_nc_u32_e32 v123, 0x420, v24
	; wave barrier
	v_and_b32_e32 v20, v21, v20
	s_delay_alu instid0(VALU_DEP_1) | instskip(SKIP_1) | instid1(VALU_DEP_2)
	v_mbcnt_lo_u32_b32 v122, v20, 0
	v_cmp_ne_u32_e64 s16, 0, v20
	v_cmp_eq_u32_e32 vcc_lo, 0, v122
	s_delay_alu instid0(VALU_DEP_2) | instskip(NEXT) | instid1(SALU_CYCLE_1)
	s_and_b32 s17, s16, vcc_lo
	s_and_saveexec_b32 s16, s17
	s_cbranch_execz .LBB298_596
; %bb.595:                              ;   in Loop: Header=BB298_566 Depth=2
	s_waitcnt lgkmcnt(0)
	v_bcnt_u32_b32 v20, v20, v121
	ds_store_b32 v123, v20
.LBB298_596:                            ;   in Loop: Header=BB298_566 Depth=2
	s_or_b32 exec_lo, exec_lo, s16
	; wave barrier
	s_waitcnt lgkmcnt(0)
	s_barrier
	buffer_gl0_inv
	ds_load_b32 v124, v46 offset:1056
	ds_load_2addr_b32 v[26:27], v47 offset0:1 offset1:2
	ds_load_2addr_b32 v[24:25], v47 offset0:3 offset1:4
	;; [unrolled: 1-line block ×4, first 2 shown]
	s_waitcnt lgkmcnt(3)
	v_add3_u32 v125, v26, v124, v27
	s_waitcnt lgkmcnt(2)
	s_delay_alu instid0(VALU_DEP_1) | instskip(SKIP_1) | instid1(VALU_DEP_1)
	v_add3_u32 v125, v125, v24, v25
	s_waitcnt lgkmcnt(1)
	v_add3_u32 v125, v125, v20, v21
	s_waitcnt lgkmcnt(0)
	s_delay_alu instid0(VALU_DEP_1) | instskip(NEXT) | instid1(VALU_DEP_1)
	v_add3_u32 v23, v125, v22, v23
	v_mov_b32_dpp v125, v23 row_shr:1 row_mask:0xf bank_mask:0xf
	s_delay_alu instid0(VALU_DEP_1) | instskip(NEXT) | instid1(VALU_DEP_1)
	v_cndmask_b32_e64 v125, v125, 0, s0
	v_add_nc_u32_e32 v23, v125, v23
	s_delay_alu instid0(VALU_DEP_1) | instskip(NEXT) | instid1(VALU_DEP_1)
	v_mov_b32_dpp v125, v23 row_shr:2 row_mask:0xf bank_mask:0xf
	v_cndmask_b32_e64 v125, 0, v125, s1
	s_delay_alu instid0(VALU_DEP_1) | instskip(NEXT) | instid1(VALU_DEP_1)
	v_add_nc_u32_e32 v23, v23, v125
	v_mov_b32_dpp v125, v23 row_shr:4 row_mask:0xf bank_mask:0xf
	s_delay_alu instid0(VALU_DEP_1) | instskip(NEXT) | instid1(VALU_DEP_1)
	v_cndmask_b32_e64 v125, 0, v125, s8
	v_add_nc_u32_e32 v23, v23, v125
	s_delay_alu instid0(VALU_DEP_1) | instskip(NEXT) | instid1(VALU_DEP_1)
	v_mov_b32_dpp v125, v23 row_shr:8 row_mask:0xf bank_mask:0xf
	v_cndmask_b32_e64 v125, 0, v125, s9
	s_delay_alu instid0(VALU_DEP_1) | instskip(SKIP_3) | instid1(VALU_DEP_1)
	v_add_nc_u32_e32 v23, v23, v125
	ds_swizzle_b32 v125, v23 offset:swizzle(BROADCAST,32,15)
	s_waitcnt lgkmcnt(0)
	v_cndmask_b32_e64 v125, v125, 0, s10
	v_add_nc_u32_e32 v23, v23, v125
	s_and_saveexec_b32 s16, s3
	s_cbranch_execz .LBB298_598
; %bb.597:                              ;   in Loop: Header=BB298_566 Depth=2
	ds_store_b32 v38, v23 offset:1024
.LBB298_598:                            ;   in Loop: Header=BB298_566 Depth=2
	s_or_b32 exec_lo, exec_lo, s16
	s_waitcnt lgkmcnt(0)
	s_barrier
	buffer_gl0_inv
	s_and_saveexec_b32 s16, s4
	s_cbranch_execz .LBB298_600
; %bb.599:                              ;   in Loop: Header=BB298_566 Depth=2
	v_add_nc_u32_e32 v125, v46, v48
	ds_load_b32 v126, v125 offset:1024
	s_waitcnt lgkmcnt(0)
	v_mov_b32_dpp v127, v126 row_shr:1 row_mask:0xf bank_mask:0xf
	s_delay_alu instid0(VALU_DEP_1) | instskip(NEXT) | instid1(VALU_DEP_1)
	v_cndmask_b32_e64 v127, v127, 0, s12
	v_add_nc_u32_e32 v126, v127, v126
	s_delay_alu instid0(VALU_DEP_1) | instskip(NEXT) | instid1(VALU_DEP_1)
	v_mov_b32_dpp v127, v126 row_shr:2 row_mask:0xf bank_mask:0xf
	v_cndmask_b32_e64 v127, 0, v127, s13
	s_delay_alu instid0(VALU_DEP_1) | instskip(NEXT) | instid1(VALU_DEP_1)
	v_add_nc_u32_e32 v126, v126, v127
	v_mov_b32_dpp v127, v126 row_shr:4 row_mask:0xf bank_mask:0xf
	s_delay_alu instid0(VALU_DEP_1) | instskip(NEXT) | instid1(VALU_DEP_1)
	v_cndmask_b32_e64 v127, 0, v127, s14
	v_add_nc_u32_e32 v126, v126, v127
	ds_store_b32 v125, v126 offset:1024
.LBB298_600:                            ;   in Loop: Header=BB298_566 Depth=2
	s_or_b32 exec_lo, exec_lo, s16
	v_mov_b32_e32 v125, 0
	s_waitcnt lgkmcnt(0)
	s_barrier
	buffer_gl0_inv
	s_and_saveexec_b32 s16, s5
	s_cbranch_execz .LBB298_602
; %bb.601:                              ;   in Loop: Header=BB298_566 Depth=2
	ds_load_b32 v125, v38 offset:1020
.LBB298_602:                            ;   in Loop: Header=BB298_566 Depth=2
	s_or_b32 exec_lo, exec_lo, s16
	s_waitcnt lgkmcnt(0)
	v_add_nc_u32_e32 v23, v125, v23
	ds_bpermute_b32 v23, v69, v23
	s_waitcnt lgkmcnt(0)
	v_cndmask_b32_e64 v23, v23, v125, s11
	s_delay_alu instid0(VALU_DEP_1) | instskip(NEXT) | instid1(VALU_DEP_1)
	v_cndmask_b32_e64 v23, v23, 0, s6
	v_add_nc_u32_e32 v124, v23, v124
	s_delay_alu instid0(VALU_DEP_1) | instskip(NEXT) | instid1(VALU_DEP_1)
	v_add_nc_u32_e32 v26, v124, v26
	v_add_nc_u32_e32 v27, v26, v27
	s_delay_alu instid0(VALU_DEP_1) | instskip(NEXT) | instid1(VALU_DEP_1)
	v_add_nc_u32_e32 v24, v27, v24
	;; [unrolled: 3-line block ×3, first 2 shown]
	v_add_nc_u32_e32 v21, v20, v21
	s_delay_alu instid0(VALU_DEP_1)
	v_add_nc_u32_e32 v22, v21, v22
	ds_store_b32 v46, v23 offset:1056
	ds_store_2addr_b32 v47, v124, v26 offset0:1 offset1:2
	ds_store_2addr_b32 v47, v27, v24 offset0:3 offset1:4
	;; [unrolled: 1-line block ×4, first 2 shown]
	v_mov_b32_e32 v22, 0x800
	s_waitcnt lgkmcnt(0)
	s_barrier
	buffer_gl0_inv
	ds_load_b32 v20, v100
	ds_load_b32 v21, v104
	;; [unrolled: 1-line block ×8, first 2 shown]
	ds_load_b32 v27, v46 offset:1056
	s_and_saveexec_b32 s16, s7
	s_cbranch_execz .LBB298_604
; %bb.603:                              ;   in Loop: Header=BB298_566 Depth=2
	ds_load_b32 v22, v49 offset:1056
.LBB298_604:                            ;   in Loop: Header=BB298_566 Depth=2
	s_or_b32 exec_lo, exec_lo, s16
	s_waitcnt lgkmcnt(0)
	s_barrier
	buffer_gl0_inv
	s_and_saveexec_b32 s16, s2
	s_cbranch_execz .LBB298_606
; %bb.605:                              ;   in Loop: Header=BB298_566 Depth=2
	ds_load_b32 v96, v28
	s_waitcnt lgkmcnt(0)
	v_sub_nc_u32_e32 v27, v96, v27
	ds_store_b32 v28, v27
.LBB298_606:                            ;   in Loop: Header=BB298_566 Depth=2
	s_or_b32 exec_lo, exec_lo, s16
	v_add_nc_u32_e32 v100, v26, v94
	v_add3_u32 v96, v98, v97, v20
	v_add3_u32 v94, v102, v101, v21
	;; [unrolled: 1-line block ×7, first 2 shown]
	v_cmp_lt_u32_e64 s22, v1, v2
	ds_store_b8 v100, v93 offset:1024
	ds_store_b8 v96, v95 offset:1024
	;; [unrolled: 1-line block ×8, first 2 shown]
	s_waitcnt lgkmcnt(0)
	s_barrier
	buffer_gl0_inv
	s_and_saveexec_b32 s16, s22
	s_cbranch_execz .LBB298_614
; %bb.607:                              ;   in Loop: Header=BB298_566 Depth=2
	ds_load_u8 v20, v1 offset:1024
	s_waitcnt lgkmcnt(0)
	v_and_b32_e32 v21, 0xff, v20
	v_xor_b32_e32 v20, 0x7f, v20
	s_delay_alu instid0(VALU_DEP_2) | instskip(NEXT) | instid1(VALU_DEP_1)
	v_lshrrev_b32_e32 v21, s49, v21
	v_and_b32_e32 v21, s31, v21
	s_delay_alu instid0(VALU_DEP_1)
	v_lshlrev_b32_e32 v21, 2, v21
	ds_load_b32 v21, v21
	s_waitcnt lgkmcnt(0)
	v_add_nc_u32_e32 v21, v21, v1
	global_store_b8 v21, v20, s[40:41]
	s_or_b32 exec_lo, exec_lo, s16
	v_cmp_lt_u32_e64 s21, v29, v2
	s_delay_alu instid0(VALU_DEP_1)
	s_and_saveexec_b32 s16, s21
	s_cbranch_execnz .LBB298_615
.LBB298_608:                            ;   in Loop: Header=BB298_566 Depth=2
	s_or_b32 exec_lo, exec_lo, s16
	v_cmp_lt_u32_e64 s20, v30, v2
	s_delay_alu instid0(VALU_DEP_1)
	s_and_saveexec_b32 s16, s20
	s_cbranch_execz .LBB298_616
.LBB298_609:                            ;   in Loop: Header=BB298_566 Depth=2
	ds_load_u8 v20, v35 offset:512
	s_waitcnt lgkmcnt(0)
	v_and_b32_e32 v21, 0xff, v20
	v_xor_b32_e32 v20, 0x7f, v20
	s_delay_alu instid0(VALU_DEP_2) | instskip(NEXT) | instid1(VALU_DEP_1)
	v_lshrrev_b32_e32 v21, s49, v21
	v_and_b32_e32 v21, s31, v21
	s_delay_alu instid0(VALU_DEP_1)
	v_lshlrev_b32_e32 v21, 2, v21
	ds_load_b32 v21, v21
	s_waitcnt lgkmcnt(0)
	v_add_nc_u32_e32 v21, v21, v30
	global_store_b8 v21, v20, s[40:41]
	s_or_b32 exec_lo, exec_lo, s16
	v_cmp_lt_u32_e64 s19, v31, v2
	s_delay_alu instid0(VALU_DEP_1)
	s_and_saveexec_b32 s16, s19
	s_cbranch_execnz .LBB298_617
.LBB298_610:                            ;   in Loop: Header=BB298_566 Depth=2
	s_or_b32 exec_lo, exec_lo, s16
	v_cmp_lt_u32_e64 s18, v35, v2
	s_delay_alu instid0(VALU_DEP_1)
	s_and_saveexec_b32 s16, s18
	s_cbranch_execz .LBB298_618
.LBB298_611:                            ;   in Loop: Header=BB298_566 Depth=2
	ds_load_u8 v20, v35 offset:1024
	s_waitcnt lgkmcnt(0)
	v_and_b32_e32 v21, 0xff, v20
	v_xor_b32_e32 v20, 0x7f, v20
	s_delay_alu instid0(VALU_DEP_2) | instskip(NEXT) | instid1(VALU_DEP_1)
	v_lshrrev_b32_e32 v21, s49, v21
	v_and_b32_e32 v21, s31, v21
	s_delay_alu instid0(VALU_DEP_1)
	v_lshlrev_b32_e32 v21, 2, v21
	ds_load_b32 v21, v21
	s_waitcnt lgkmcnt(0)
	v_add_nc_u32_e32 v21, v21, v35
	global_store_b8 v21, v20, s[40:41]
	s_or_b32 exec_lo, exec_lo, s16
	v_cmp_lt_u32_e64 s17, v36, v2
	s_delay_alu instid0(VALU_DEP_1)
	s_and_saveexec_b32 s16, s17
	s_cbranch_execnz .LBB298_619
.LBB298_612:                            ;   in Loop: Header=BB298_566 Depth=2
	s_or_b32 exec_lo, exec_lo, s16
	v_cmp_lt_u32_e64 s16, v37, v2
	s_delay_alu instid0(VALU_DEP_1)
	s_and_saveexec_b32 s23, s16
	s_cbranch_execz .LBB298_620
.LBB298_613:                            ;   in Loop: Header=BB298_566 Depth=2
	ds_load_u8 v20, v35 offset:1536
	s_waitcnt lgkmcnt(0)
	v_and_b32_e32 v21, 0xff, v20
	v_xor_b32_e32 v20, 0x7f, v20
	s_delay_alu instid0(VALU_DEP_2) | instskip(NEXT) | instid1(VALU_DEP_1)
	v_lshrrev_b32_e32 v21, s49, v21
	v_and_b32_e32 v21, s31, v21
	s_delay_alu instid0(VALU_DEP_1)
	v_lshlrev_b32_e32 v21, 2, v21
	ds_load_b32 v21, v21
	s_waitcnt lgkmcnt(0)
	v_add_nc_u32_e32 v21, v21, v37
	global_store_b8 v21, v20, s[40:41]
	s_or_b32 exec_lo, exec_lo, s23
	v_cmp_lt_u32_e32 vcc_lo, v39, v2
	s_and_saveexec_b32 s23, vcc_lo
	s_cbranch_execnz .LBB298_621
	s_branch .LBB298_622
.LBB298_614:                            ;   in Loop: Header=BB298_566 Depth=2
	s_or_b32 exec_lo, exec_lo, s16
	v_cmp_lt_u32_e64 s21, v29, v2
	s_delay_alu instid0(VALU_DEP_1)
	s_and_saveexec_b32 s16, s21
	s_cbranch_execz .LBB298_608
.LBB298_615:                            ;   in Loop: Header=BB298_566 Depth=2
	ds_load_u8 v20, v35 offset:256
	s_waitcnt lgkmcnt(0)
	v_and_b32_e32 v21, 0xff, v20
	v_xor_b32_e32 v20, 0x7f, v20
	s_delay_alu instid0(VALU_DEP_2) | instskip(NEXT) | instid1(VALU_DEP_1)
	v_lshrrev_b32_e32 v21, s49, v21
	v_and_b32_e32 v21, s31, v21
	s_delay_alu instid0(VALU_DEP_1)
	v_lshlrev_b32_e32 v21, 2, v21
	ds_load_b32 v21, v21
	s_waitcnt lgkmcnt(0)
	v_add_nc_u32_e32 v21, v21, v29
	global_store_b8 v21, v20, s[40:41]
	s_or_b32 exec_lo, exec_lo, s16
	v_cmp_lt_u32_e64 s20, v30, v2
	s_delay_alu instid0(VALU_DEP_1)
	s_and_saveexec_b32 s16, s20
	s_cbranch_execnz .LBB298_609
.LBB298_616:                            ;   in Loop: Header=BB298_566 Depth=2
	s_or_b32 exec_lo, exec_lo, s16
	v_cmp_lt_u32_e64 s19, v31, v2
	s_delay_alu instid0(VALU_DEP_1)
	s_and_saveexec_b32 s16, s19
	s_cbranch_execz .LBB298_610
.LBB298_617:                            ;   in Loop: Header=BB298_566 Depth=2
	ds_load_u8 v20, v35 offset:768
	s_waitcnt lgkmcnt(0)
	v_and_b32_e32 v21, 0xff, v20
	v_xor_b32_e32 v20, 0x7f, v20
	s_delay_alu instid0(VALU_DEP_2) | instskip(NEXT) | instid1(VALU_DEP_1)
	v_lshrrev_b32_e32 v21, s49, v21
	v_and_b32_e32 v21, s31, v21
	s_delay_alu instid0(VALU_DEP_1)
	v_lshlrev_b32_e32 v21, 2, v21
	ds_load_b32 v21, v21
	s_waitcnt lgkmcnt(0)
	v_add_nc_u32_e32 v21, v21, v31
	global_store_b8 v21, v20, s[40:41]
	s_or_b32 exec_lo, exec_lo, s16
	v_cmp_lt_u32_e64 s18, v35, v2
	s_delay_alu instid0(VALU_DEP_1)
	s_and_saveexec_b32 s16, s18
	s_cbranch_execnz .LBB298_611
.LBB298_618:                            ;   in Loop: Header=BB298_566 Depth=2
	s_or_b32 exec_lo, exec_lo, s16
	v_cmp_lt_u32_e64 s17, v36, v2
	s_delay_alu instid0(VALU_DEP_1)
	s_and_saveexec_b32 s16, s17
	s_cbranch_execz .LBB298_612
.LBB298_619:                            ;   in Loop: Header=BB298_566 Depth=2
	ds_load_u8 v20, v35 offset:1280
	s_waitcnt lgkmcnt(0)
	v_and_b32_e32 v21, 0xff, v20
	v_xor_b32_e32 v20, 0x7f, v20
	s_delay_alu instid0(VALU_DEP_2) | instskip(NEXT) | instid1(VALU_DEP_1)
	v_lshrrev_b32_e32 v21, s49, v21
	v_and_b32_e32 v21, s31, v21
	s_delay_alu instid0(VALU_DEP_1)
	v_lshlrev_b32_e32 v21, 2, v21
	ds_load_b32 v21, v21
	s_waitcnt lgkmcnt(0)
	v_add_nc_u32_e32 v21, v21, v36
	global_store_b8 v21, v20, s[40:41]
	s_or_b32 exec_lo, exec_lo, s16
	v_cmp_lt_u32_e64 s16, v37, v2
	s_delay_alu instid0(VALU_DEP_1)
	s_and_saveexec_b32 s23, s16
	s_cbranch_execnz .LBB298_613
.LBB298_620:                            ;   in Loop: Header=BB298_566 Depth=2
	s_or_b32 exec_lo, exec_lo, s23
	v_cmp_lt_u32_e32 vcc_lo, v39, v2
	s_and_saveexec_b32 s23, vcc_lo
	s_cbranch_execz .LBB298_622
.LBB298_621:                            ;   in Loop: Header=BB298_566 Depth=2
	ds_load_u8 v20, v35 offset:1792
	s_waitcnt lgkmcnt(0)
	v_and_b32_e32 v21, 0xff, v20
	v_xor_b32_e32 v20, 0x7f, v20
	s_delay_alu instid0(VALU_DEP_2) | instskip(NEXT) | instid1(VALU_DEP_1)
	v_lshrrev_b32_e32 v21, s49, v21
	v_and_b32_e32 v21, s31, v21
	s_delay_alu instid0(VALU_DEP_1)
	v_lshlrev_b32_e32 v21, 2, v21
	ds_load_b32 v21, v21
	s_waitcnt lgkmcnt(0)
	v_add_nc_u32_e32 v21, v21, v39
	global_store_b8 v21, v20, s[40:41]
.LBB298_622:                            ;   in Loop: Header=BB298_566 Depth=2
	s_or_b32 exec_lo, exec_lo, s23
	s_lshl_b64 s[52:53], s[24:25], 3
	s_delay_alu instid0(SALU_CYCLE_1) | instskip(NEXT) | instid1(VALU_DEP_1)
	v_add_co_u32 v20, s23, v73, s52
	v_add_co_ci_u32_e64 v21, s23, s53, v74, s23
	v_cmp_lt_u32_e64 s23, v70, v2
	s_delay_alu instid0(VALU_DEP_1) | instskip(NEXT) | instid1(SALU_CYCLE_1)
	s_and_saveexec_b32 s24, s23
	s_xor_b32 s23, exec_lo, s24
	s_cbranch_execz .LBB298_638
; %bb.623:                              ;   in Loop: Header=BB298_566 Depth=2
	global_load_b64 v[18:19], v[20:21], off
	s_or_b32 exec_lo, exec_lo, s23
	s_delay_alu instid0(SALU_CYCLE_1)
	s_mov_b32 s24, exec_lo
	v_cmpx_lt_u32_e64 v75, v2
	s_cbranch_execnz .LBB298_639
.LBB298_624:                            ;   in Loop: Header=BB298_566 Depth=2
	s_or_b32 exec_lo, exec_lo, s24
	s_delay_alu instid0(SALU_CYCLE_1)
	s_mov_b32 s24, exec_lo
	v_cmpx_lt_u32_e64 v76, v2
	s_cbranch_execz .LBB298_640
.LBB298_625:                            ;   in Loop: Header=BB298_566 Depth=2
	global_load_b64 v[14:15], v[20:21], off offset:512
	s_or_b32 exec_lo, exec_lo, s24
	s_delay_alu instid0(SALU_CYCLE_1)
	s_mov_b32 s24, exec_lo
	v_cmpx_lt_u32_e64 v77, v2
	s_cbranch_execnz .LBB298_641
.LBB298_626:                            ;   in Loop: Header=BB298_566 Depth=2
	s_or_b32 exec_lo, exec_lo, s24
	s_delay_alu instid0(SALU_CYCLE_1)
	s_mov_b32 s24, exec_lo
	v_cmpx_lt_u32_e64 v78, v2
	s_cbranch_execz .LBB298_642
.LBB298_627:                            ;   in Loop: Header=BB298_566 Depth=2
	global_load_b64 v[10:11], v[20:21], off offset:1024
	s_or_b32 exec_lo, exec_lo, s24
	s_delay_alu instid0(SALU_CYCLE_1)
	s_mov_b32 s24, exec_lo
	v_cmpx_lt_u32_e64 v79, v2
	s_cbranch_execnz .LBB298_643
.LBB298_628:                            ;   in Loop: Header=BB298_566 Depth=2
	s_or_b32 exec_lo, exec_lo, s24
	s_delay_alu instid0(SALU_CYCLE_1)
	s_mov_b32 s24, exec_lo
	v_cmpx_lt_u32_e64 v80, v2
	s_cbranch_execz .LBB298_644
.LBB298_629:                            ;   in Loop: Header=BB298_566 Depth=2
	global_load_b64 v[6:7], v[20:21], off offset:1536
	s_or_b32 exec_lo, exec_lo, s24
	s_delay_alu instid0(SALU_CYCLE_1)
	s_mov_b32 s24, exec_lo
	v_cmpx_lt_u32_e64 v81, v2
	s_cbranch_execnz .LBB298_645
.LBB298_630:                            ;   in Loop: Header=BB298_566 Depth=2
	s_or_b32 exec_lo, exec_lo, s24
	s_and_saveexec_b32 s23, s22
	s_cbranch_execz .LBB298_646
.LBB298_631:                            ;   in Loop: Header=BB298_566 Depth=2
	ds_load_u8 v2, v1 offset:1024
	s_waitcnt lgkmcnt(0)
	v_lshrrev_b32_e32 v2, s49, v2
	s_delay_alu instid0(VALU_DEP_1)
	v_and_b32_e32 v92, s31, v2
	s_or_b32 exec_lo, exec_lo, s23
	s_and_saveexec_b32 s23, s21
	s_cbranch_execnz .LBB298_647
.LBB298_632:                            ;   in Loop: Header=BB298_566 Depth=2
	s_or_b32 exec_lo, exec_lo, s23
	s_and_saveexec_b32 s23, s20
	s_cbranch_execz .LBB298_648
.LBB298_633:                            ;   in Loop: Header=BB298_566 Depth=2
	ds_load_u8 v2, v35 offset:512
	s_waitcnt lgkmcnt(0)
	v_lshrrev_b32_e32 v2, s49, v2
	s_delay_alu instid0(VALU_DEP_1)
	v_and_b32_e32 v90, s31, v2
	s_or_b32 exec_lo, exec_lo, s23
	s_and_saveexec_b32 s23, s19
	s_cbranch_execnz .LBB298_649
.LBB298_634:                            ;   in Loop: Header=BB298_566 Depth=2
	s_or_b32 exec_lo, exec_lo, s23
	s_and_saveexec_b32 s23, s18
	s_cbranch_execz .LBB298_650
.LBB298_635:                            ;   in Loop: Header=BB298_566 Depth=2
	ds_load_u8 v2, v35 offset:1024
	s_waitcnt lgkmcnt(0)
	v_lshrrev_b32_e32 v2, s49, v2
	s_delay_alu instid0(VALU_DEP_1)
	v_and_b32_e32 v88, s31, v2
	s_or_b32 exec_lo, exec_lo, s23
	s_and_saveexec_b32 s23, s17
	s_cbranch_execnz .LBB298_651
.LBB298_636:                            ;   in Loop: Header=BB298_566 Depth=2
	s_or_b32 exec_lo, exec_lo, s23
	s_and_saveexec_b32 s23, s16
	s_cbranch_execz .LBB298_652
.LBB298_637:                            ;   in Loop: Header=BB298_566 Depth=2
	ds_load_u8 v2, v35 offset:1536
	s_waitcnt lgkmcnt(0)
	v_lshrrev_b32_e32 v2, s49, v2
	s_delay_alu instid0(VALU_DEP_1)
	v_and_b32_e32 v86, s31, v2
	s_or_b32 exec_lo, exec_lo, s23
	s_and_saveexec_b32 s23, vcc_lo
	s_cbranch_execnz .LBB298_653
	s_branch .LBB298_654
.LBB298_638:                            ;   in Loop: Header=BB298_566 Depth=2
	s_or_b32 exec_lo, exec_lo, s23
	s_delay_alu instid0(SALU_CYCLE_1)
	s_mov_b32 s24, exec_lo
	v_cmpx_lt_u32_e64 v75, v2
	s_cbranch_execz .LBB298_624
.LBB298_639:                            ;   in Loop: Header=BB298_566 Depth=2
	global_load_b64 v[16:17], v[20:21], off offset:256
	s_or_b32 exec_lo, exec_lo, s24
	s_delay_alu instid0(SALU_CYCLE_1)
	s_mov_b32 s24, exec_lo
	v_cmpx_lt_u32_e64 v76, v2
	s_cbranch_execnz .LBB298_625
.LBB298_640:                            ;   in Loop: Header=BB298_566 Depth=2
	s_or_b32 exec_lo, exec_lo, s24
	s_delay_alu instid0(SALU_CYCLE_1)
	s_mov_b32 s24, exec_lo
	v_cmpx_lt_u32_e64 v77, v2
	s_cbranch_execz .LBB298_626
.LBB298_641:                            ;   in Loop: Header=BB298_566 Depth=2
	global_load_b64 v[12:13], v[20:21], off offset:768
	s_or_b32 exec_lo, exec_lo, s24
	s_delay_alu instid0(SALU_CYCLE_1)
	s_mov_b32 s24, exec_lo
	v_cmpx_lt_u32_e64 v78, v2
	s_cbranch_execnz .LBB298_627
.LBB298_642:                            ;   in Loop: Header=BB298_566 Depth=2
	s_or_b32 exec_lo, exec_lo, s24
	s_delay_alu instid0(SALU_CYCLE_1)
	s_mov_b32 s24, exec_lo
	v_cmpx_lt_u32_e64 v79, v2
	s_cbranch_execz .LBB298_628
.LBB298_643:                            ;   in Loop: Header=BB298_566 Depth=2
	global_load_b64 v[8:9], v[20:21], off offset:1280
	s_or_b32 exec_lo, exec_lo, s24
	s_delay_alu instid0(SALU_CYCLE_1)
	s_mov_b32 s24, exec_lo
	v_cmpx_lt_u32_e64 v80, v2
	s_cbranch_execnz .LBB298_629
.LBB298_644:                            ;   in Loop: Header=BB298_566 Depth=2
	s_or_b32 exec_lo, exec_lo, s24
	s_delay_alu instid0(SALU_CYCLE_1)
	s_mov_b32 s24, exec_lo
	v_cmpx_lt_u32_e64 v81, v2
	s_cbranch_execz .LBB298_630
.LBB298_645:                            ;   in Loop: Header=BB298_566 Depth=2
	global_load_b64 v[4:5], v[20:21], off offset:1792
	s_or_b32 exec_lo, exec_lo, s24
	s_and_saveexec_b32 s23, s22
	s_cbranch_execnz .LBB298_631
.LBB298_646:                            ;   in Loop: Header=BB298_566 Depth=2
	s_or_b32 exec_lo, exec_lo, s23
	s_and_saveexec_b32 s23, s21
	s_cbranch_execz .LBB298_632
.LBB298_647:                            ;   in Loop: Header=BB298_566 Depth=2
	ds_load_u8 v2, v35 offset:256
	s_waitcnt lgkmcnt(0)
	v_lshrrev_b32_e32 v2, s49, v2
	s_delay_alu instid0(VALU_DEP_1)
	v_and_b32_e32 v91, s31, v2
	s_or_b32 exec_lo, exec_lo, s23
	s_and_saveexec_b32 s23, s20
	s_cbranch_execnz .LBB298_633
.LBB298_648:                            ;   in Loop: Header=BB298_566 Depth=2
	s_or_b32 exec_lo, exec_lo, s23
	s_and_saveexec_b32 s23, s19
	s_cbranch_execz .LBB298_634
.LBB298_649:                            ;   in Loop: Header=BB298_566 Depth=2
	ds_load_u8 v2, v35 offset:768
	s_waitcnt lgkmcnt(0)
	v_lshrrev_b32_e32 v2, s49, v2
	s_delay_alu instid0(VALU_DEP_1)
	v_and_b32_e32 v89, s31, v2
	s_or_b32 exec_lo, exec_lo, s23
	s_and_saveexec_b32 s23, s18
	s_cbranch_execnz .LBB298_635
.LBB298_650:                            ;   in Loop: Header=BB298_566 Depth=2
	s_or_b32 exec_lo, exec_lo, s23
	s_and_saveexec_b32 s23, s17
	s_cbranch_execz .LBB298_636
.LBB298_651:                            ;   in Loop: Header=BB298_566 Depth=2
	ds_load_u8 v2, v35 offset:1280
	s_waitcnt lgkmcnt(0)
	v_lshrrev_b32_e32 v2, s49, v2
	s_delay_alu instid0(VALU_DEP_1)
	v_and_b32_e32 v87, s31, v2
	s_or_b32 exec_lo, exec_lo, s23
	s_and_saveexec_b32 s23, s16
	s_cbranch_execnz .LBB298_637
.LBB298_652:                            ;   in Loop: Header=BB298_566 Depth=2
	s_or_b32 exec_lo, exec_lo, s23
	s_and_saveexec_b32 s23, vcc_lo
	s_cbranch_execz .LBB298_654
.LBB298_653:                            ;   in Loop: Header=BB298_566 Depth=2
	ds_load_u8 v2, v35 offset:1792
	s_waitcnt lgkmcnt(0)
	v_lshrrev_b32_e32 v2, s49, v2
	s_delay_alu instid0(VALU_DEP_1)
	v_and_b32_e32 v85, s31, v2
.LBB298_654:                            ;   in Loop: Header=BB298_566 Depth=2
	s_or_b32 exec_lo, exec_lo, s23
	v_lshlrev_b32_e32 v2, 3, v100
	v_lshlrev_b32_e32 v20, 3, v96
	;; [unrolled: 1-line block ×3, first 2 shown]
	s_waitcnt vmcnt(0)
	s_waitcnt_vscnt null, 0x0
	s_barrier
	buffer_gl0_inv
	ds_store_b64 v2, v[18:19] offset:1024
	ds_store_b64 v20, v[16:17] offset:1024
	;; [unrolled: 1-line block ×3, first 2 shown]
	v_lshlrev_b32_e32 v2, 3, v27
	v_lshlrev_b32_e32 v20, 3, v26
	;; [unrolled: 1-line block ×5, first 2 shown]
	ds_store_b64 v2, v[12:13] offset:1024
	ds_store_b64 v20, v[10:11] offset:1024
	;; [unrolled: 1-line block ×5, first 2 shown]
	s_waitcnt lgkmcnt(0)
	s_barrier
	buffer_gl0_inv
	s_and_saveexec_b32 s23, s22
	s_cbranch_execz .LBB298_662
; %bb.655:                              ;   in Loop: Header=BB298_566 Depth=2
	v_lshlrev_b32_e32 v2, 2, v92
	v_add_nc_u32_e32 v20, v1, v52
	ds_load_b32 v2, v2
	ds_load_b64 v[20:21], v20 offset:1024
	s_waitcnt lgkmcnt(1)
	v_add_nc_u32_e32 v2, v2, v1
	s_delay_alu instid0(VALU_DEP_1) | instskip(NEXT) | instid1(VALU_DEP_1)
	v_lshlrev_b64 v[23:24], 3, v[2:3]
	v_add_co_u32 v23, s22, s46, v23
	s_delay_alu instid0(VALU_DEP_1)
	v_add_co_ci_u32_e64 v24, s22, s47, v24, s22
	s_waitcnt lgkmcnt(0)
	global_store_b64 v[23:24], v[20:21], off
	s_or_b32 exec_lo, exec_lo, s23
	v_add_nc_u32_e32 v20, v35, v52
	s_and_saveexec_b32 s22, s21
	s_cbranch_execnz .LBB298_663
.LBB298_656:                            ;   in Loop: Header=BB298_566 Depth=2
	s_or_b32 exec_lo, exec_lo, s22
	s_and_saveexec_b32 s21, s20
	s_cbranch_execz .LBB298_664
.LBB298_657:                            ;   in Loop: Header=BB298_566 Depth=2
	v_lshlrev_b32_e32 v2, 2, v90
	ds_load_b32 v2, v2
	ds_load_b64 v[23:24], v20 offset:4096
	s_waitcnt lgkmcnt(1)
	v_add_nc_u32_e32 v2, v2, v30
	s_delay_alu instid0(VALU_DEP_1) | instskip(NEXT) | instid1(VALU_DEP_1)
	v_lshlrev_b64 v[25:26], 3, v[2:3]
	v_add_co_u32 v25, s20, s46, v25
	s_delay_alu instid0(VALU_DEP_1)
	v_add_co_ci_u32_e64 v26, s20, s47, v26, s20
	s_waitcnt lgkmcnt(0)
	global_store_b64 v[25:26], v[23:24], off
	s_or_b32 exec_lo, exec_lo, s21
	s_and_saveexec_b32 s20, s19
	s_cbranch_execnz .LBB298_665
.LBB298_658:                            ;   in Loop: Header=BB298_566 Depth=2
	s_or_b32 exec_lo, exec_lo, s20
	s_and_saveexec_b32 s19, s18
	s_cbranch_execz .LBB298_666
.LBB298_659:                            ;   in Loop: Header=BB298_566 Depth=2
	v_lshlrev_b32_e32 v2, 2, v88
	ds_load_b32 v2, v2
	ds_load_b64 v[23:24], v20 offset:8192
	s_waitcnt lgkmcnt(1)
	v_add_nc_u32_e32 v2, v2, v35
	s_delay_alu instid0(VALU_DEP_1) | instskip(NEXT) | instid1(VALU_DEP_1)
	v_lshlrev_b64 v[25:26], 3, v[2:3]
	v_add_co_u32 v25, s18, s46, v25
	s_delay_alu instid0(VALU_DEP_1)
	v_add_co_ci_u32_e64 v26, s18, s47, v26, s18
	s_waitcnt lgkmcnt(0)
	global_store_b64 v[25:26], v[23:24], off
	s_or_b32 exec_lo, exec_lo, s19
	s_and_saveexec_b32 s18, s17
	s_cbranch_execnz .LBB298_667
.LBB298_660:                            ;   in Loop: Header=BB298_566 Depth=2
	s_or_b32 exec_lo, exec_lo, s18
	s_and_saveexec_b32 s17, s16
	s_cbranch_execz .LBB298_668
.LBB298_661:                            ;   in Loop: Header=BB298_566 Depth=2
	v_lshlrev_b32_e32 v2, 2, v86
	ds_load_b32 v2, v2
	ds_load_b64 v[23:24], v20 offset:12288
	s_waitcnt lgkmcnt(1)
	v_add_nc_u32_e32 v2, v2, v37
	s_delay_alu instid0(VALU_DEP_1) | instskip(NEXT) | instid1(VALU_DEP_1)
	v_lshlrev_b64 v[25:26], 3, v[2:3]
	v_add_co_u32 v25, s16, s46, v25
	s_delay_alu instid0(VALU_DEP_1)
	v_add_co_ci_u32_e64 v26, s16, s47, v26, s16
	s_waitcnt lgkmcnt(0)
	global_store_b64 v[25:26], v[23:24], off
	s_or_b32 exec_lo, exec_lo, s17
	s_and_saveexec_b32 s16, vcc_lo
	s_cbranch_execnz .LBB298_669
	s_branch .LBB298_670
.LBB298_662:                            ;   in Loop: Header=BB298_566 Depth=2
	s_or_b32 exec_lo, exec_lo, s23
	v_add_nc_u32_e32 v20, v35, v52
	s_and_saveexec_b32 s22, s21
	s_cbranch_execz .LBB298_656
.LBB298_663:                            ;   in Loop: Header=BB298_566 Depth=2
	v_lshlrev_b32_e32 v2, 2, v91
	ds_load_b32 v2, v2
	ds_load_b64 v[23:24], v20 offset:2048
	s_waitcnt lgkmcnt(1)
	v_add_nc_u32_e32 v2, v2, v29
	s_delay_alu instid0(VALU_DEP_1) | instskip(NEXT) | instid1(VALU_DEP_1)
	v_lshlrev_b64 v[25:26], 3, v[2:3]
	v_add_co_u32 v25, s21, s46, v25
	s_delay_alu instid0(VALU_DEP_1)
	v_add_co_ci_u32_e64 v26, s21, s47, v26, s21
	s_waitcnt lgkmcnt(0)
	global_store_b64 v[25:26], v[23:24], off
	s_or_b32 exec_lo, exec_lo, s22
	s_and_saveexec_b32 s21, s20
	s_cbranch_execnz .LBB298_657
.LBB298_664:                            ;   in Loop: Header=BB298_566 Depth=2
	s_or_b32 exec_lo, exec_lo, s21
	s_and_saveexec_b32 s20, s19
	s_cbranch_execz .LBB298_658
.LBB298_665:                            ;   in Loop: Header=BB298_566 Depth=2
	v_lshlrev_b32_e32 v2, 2, v89
	ds_load_b32 v2, v2
	ds_load_b64 v[23:24], v20 offset:6144
	s_waitcnt lgkmcnt(1)
	v_add_nc_u32_e32 v2, v2, v31
	s_delay_alu instid0(VALU_DEP_1) | instskip(NEXT) | instid1(VALU_DEP_1)
	v_lshlrev_b64 v[25:26], 3, v[2:3]
	v_add_co_u32 v25, s19, s46, v25
	s_delay_alu instid0(VALU_DEP_1)
	v_add_co_ci_u32_e64 v26, s19, s47, v26, s19
	s_waitcnt lgkmcnt(0)
	global_store_b64 v[25:26], v[23:24], off
	s_or_b32 exec_lo, exec_lo, s20
	s_and_saveexec_b32 s19, s18
	s_cbranch_execnz .LBB298_659
.LBB298_666:                            ;   in Loop: Header=BB298_566 Depth=2
	s_or_b32 exec_lo, exec_lo, s19
	s_and_saveexec_b32 s18, s17
	s_cbranch_execz .LBB298_660
.LBB298_667:                            ;   in Loop: Header=BB298_566 Depth=2
	v_lshlrev_b32_e32 v2, 2, v87
	ds_load_b32 v2, v2
	ds_load_b64 v[23:24], v20 offset:10240
	s_waitcnt lgkmcnt(1)
	v_add_nc_u32_e32 v2, v2, v36
	s_delay_alu instid0(VALU_DEP_1) | instskip(NEXT) | instid1(VALU_DEP_1)
	v_lshlrev_b64 v[25:26], 3, v[2:3]
	v_add_co_u32 v25, s17, s46, v25
	s_delay_alu instid0(VALU_DEP_1)
	v_add_co_ci_u32_e64 v26, s17, s47, v26, s17
	s_waitcnt lgkmcnt(0)
	global_store_b64 v[25:26], v[23:24], off
	s_or_b32 exec_lo, exec_lo, s18
	s_and_saveexec_b32 s17, s16
	s_cbranch_execnz .LBB298_661
.LBB298_668:                            ;   in Loop: Header=BB298_566 Depth=2
	s_or_b32 exec_lo, exec_lo, s17
	s_and_saveexec_b32 s16, vcc_lo
	s_cbranch_execz .LBB298_670
.LBB298_669:                            ;   in Loop: Header=BB298_566 Depth=2
	v_lshlrev_b32_e32 v2, 2, v85
	ds_load_b32 v2, v2
	ds_load_b64 v[20:21], v20 offset:14336
	s_waitcnt lgkmcnt(1)
	v_add_nc_u32_e32 v2, v2, v39
	s_delay_alu instid0(VALU_DEP_1) | instskip(NEXT) | instid1(VALU_DEP_1)
	v_lshlrev_b64 v[23:24], 3, v[2:3]
	v_add_co_u32 v23, vcc_lo, s46, v23
	s_delay_alu instid0(VALU_DEP_2)
	v_add_co_ci_u32_e32 v24, vcc_lo, s47, v24, vcc_lo
	s_waitcnt lgkmcnt(0)
	global_store_b64 v[23:24], v[20:21], off
.LBB298_670:                            ;   in Loop: Header=BB298_566 Depth=2
	s_or_b32 exec_lo, exec_lo, s16
	s_waitcnt_vscnt null, 0x0
	s_barrier
	buffer_gl0_inv
	s_and_saveexec_b32 s16, s2
	s_cbranch_execz .LBB298_565
; %bb.671:                              ;   in Loop: Header=BB298_566 Depth=2
	ds_load_b32 v2, v28
	s_waitcnt lgkmcnt(0)
	v_add_nc_u32_e32 v2, v2, v22
	ds_store_b32 v28, v2
	s_branch .LBB298_565
.LBB298_672:                            ;   in Loop: Header=BB298_566 Depth=2
	s_or_b32 exec_lo, exec_lo, s16
	s_delay_alu instid0(SALU_CYCLE_1)
	s_mov_b32 s16, exec_lo
	v_cmpx_gt_u32_e64 s42, v75
	s_cbranch_execz .LBB298_572
.LBB298_673:                            ;   in Loop: Header=BB298_566 Depth=2
	global_load_u8 v95, v[20:21], off offset:32
	s_or_b32 exec_lo, exec_lo, s16
	s_delay_alu instid0(SALU_CYCLE_1)
	s_mov_b32 s16, exec_lo
	v_cmpx_gt_u32_e64 s42, v76
	s_cbranch_execnz .LBB298_573
.LBB298_674:                            ;   in Loop: Header=BB298_566 Depth=2
	s_or_b32 exec_lo, exec_lo, s16
	s_delay_alu instid0(SALU_CYCLE_1)
	s_mov_b32 s16, exec_lo
	v_cmpx_gt_u32_e64 s42, v77
	s_cbranch_execz .LBB298_574
.LBB298_675:                            ;   in Loop: Header=BB298_566 Depth=2
	global_load_u8 v26, v[20:21], off offset:96
	s_or_b32 exec_lo, exec_lo, s16
	s_delay_alu instid0(SALU_CYCLE_1)
	s_mov_b32 s16, exec_lo
	v_cmpx_gt_u32_e64 s42, v78
	s_cbranch_execnz .LBB298_575
.LBB298_676:                            ;   in Loop: Header=BB298_566 Depth=2
	s_or_b32 exec_lo, exec_lo, s16
	s_delay_alu instid0(SALU_CYCLE_1)
	s_mov_b32 s16, exec_lo
	v_cmpx_gt_u32_e64 s42, v79
	s_cbranch_execz .LBB298_576
.LBB298_677:                            ;   in Loop: Header=BB298_566 Depth=2
	global_load_u8 v24, v[20:21], off offset:160
	s_or_b32 exec_lo, exec_lo, s16
	s_delay_alu instid0(SALU_CYCLE_1)
	s_mov_b32 s16, exec_lo
	v_cmpx_gt_u32_e64 s42, v80
	s_cbranch_execnz .LBB298_577
	s_branch .LBB298_578
.LBB298_678:
	s_endpgm
	.section	.rodata,"a",@progbits
	.p2align	6, 0x0
	.amdhsa_kernel _ZN7rocprim17ROCPRIM_400000_NS6detail17trampoline_kernelINS0_14default_configENS1_36segmented_radix_sort_config_selectorIalEEZNS1_25segmented_radix_sort_implIS3_Lb1EPKaPaPKlPlN2at6native12_GLOBAL__N_18offset_tEEE10hipError_tPvRmT1_PNSt15iterator_traitsISK_E10value_typeET2_T3_PNSL_ISQ_E10value_typeET4_jRbjT5_SW_jjP12ihipStream_tbEUlT_E_NS1_11comp_targetILNS1_3genE9ELNS1_11target_archE1100ELNS1_3gpuE3ELNS1_3repE0EEENS1_30default_config_static_selectorELNS0_4arch9wavefront6targetE0EEEvSK_
		.amdhsa_group_segment_fixed_size 17440
		.amdhsa_private_segment_fixed_size 0
		.amdhsa_kernarg_size 352
		.amdhsa_user_sgpr_count 14
		.amdhsa_user_sgpr_dispatch_ptr 0
		.amdhsa_user_sgpr_queue_ptr 0
		.amdhsa_user_sgpr_kernarg_segment_ptr 1
		.amdhsa_user_sgpr_dispatch_id 0
		.amdhsa_user_sgpr_private_segment_size 0
		.amdhsa_wavefront_size32 1
		.amdhsa_uses_dynamic_stack 0
		.amdhsa_enable_private_segment 0
		.amdhsa_system_sgpr_workgroup_id_x 1
		.amdhsa_system_sgpr_workgroup_id_y 1
		.amdhsa_system_sgpr_workgroup_id_z 0
		.amdhsa_system_sgpr_workgroup_info 0
		.amdhsa_system_vgpr_workitem_id 2
		.amdhsa_next_free_vgpr 183
		.amdhsa_next_free_sgpr 54
		.amdhsa_reserve_vcc 1
		.amdhsa_float_round_mode_32 0
		.amdhsa_float_round_mode_16_64 0
		.amdhsa_float_denorm_mode_32 3
		.amdhsa_float_denorm_mode_16_64 3
		.amdhsa_dx10_clamp 1
		.amdhsa_ieee_mode 1
		.amdhsa_fp16_overflow 0
		.amdhsa_workgroup_processor_mode 1
		.amdhsa_memory_ordered 1
		.amdhsa_forward_progress 0
		.amdhsa_shared_vgpr_count 0
		.amdhsa_exception_fp_ieee_invalid_op 0
		.amdhsa_exception_fp_denorm_src 0
		.amdhsa_exception_fp_ieee_div_zero 0
		.amdhsa_exception_fp_ieee_overflow 0
		.amdhsa_exception_fp_ieee_underflow 0
		.amdhsa_exception_fp_ieee_inexact 0
		.amdhsa_exception_int_div_zero 0
	.end_amdhsa_kernel
	.section	.text._ZN7rocprim17ROCPRIM_400000_NS6detail17trampoline_kernelINS0_14default_configENS1_36segmented_radix_sort_config_selectorIalEEZNS1_25segmented_radix_sort_implIS3_Lb1EPKaPaPKlPlN2at6native12_GLOBAL__N_18offset_tEEE10hipError_tPvRmT1_PNSt15iterator_traitsISK_E10value_typeET2_T3_PNSL_ISQ_E10value_typeET4_jRbjT5_SW_jjP12ihipStream_tbEUlT_E_NS1_11comp_targetILNS1_3genE9ELNS1_11target_archE1100ELNS1_3gpuE3ELNS1_3repE0EEENS1_30default_config_static_selectorELNS0_4arch9wavefront6targetE0EEEvSK_,"axG",@progbits,_ZN7rocprim17ROCPRIM_400000_NS6detail17trampoline_kernelINS0_14default_configENS1_36segmented_radix_sort_config_selectorIalEEZNS1_25segmented_radix_sort_implIS3_Lb1EPKaPaPKlPlN2at6native12_GLOBAL__N_18offset_tEEE10hipError_tPvRmT1_PNSt15iterator_traitsISK_E10value_typeET2_T3_PNSL_ISQ_E10value_typeET4_jRbjT5_SW_jjP12ihipStream_tbEUlT_E_NS1_11comp_targetILNS1_3genE9ELNS1_11target_archE1100ELNS1_3gpuE3ELNS1_3repE0EEENS1_30default_config_static_selectorELNS0_4arch9wavefront6targetE0EEEvSK_,comdat
.Lfunc_end298:
	.size	_ZN7rocprim17ROCPRIM_400000_NS6detail17trampoline_kernelINS0_14default_configENS1_36segmented_radix_sort_config_selectorIalEEZNS1_25segmented_radix_sort_implIS3_Lb1EPKaPaPKlPlN2at6native12_GLOBAL__N_18offset_tEEE10hipError_tPvRmT1_PNSt15iterator_traitsISK_E10value_typeET2_T3_PNSL_ISQ_E10value_typeET4_jRbjT5_SW_jjP12ihipStream_tbEUlT_E_NS1_11comp_targetILNS1_3genE9ELNS1_11target_archE1100ELNS1_3gpuE3ELNS1_3repE0EEENS1_30default_config_static_selectorELNS0_4arch9wavefront6targetE0EEEvSK_, .Lfunc_end298-_ZN7rocprim17ROCPRIM_400000_NS6detail17trampoline_kernelINS0_14default_configENS1_36segmented_radix_sort_config_selectorIalEEZNS1_25segmented_radix_sort_implIS3_Lb1EPKaPaPKlPlN2at6native12_GLOBAL__N_18offset_tEEE10hipError_tPvRmT1_PNSt15iterator_traitsISK_E10value_typeET2_T3_PNSL_ISQ_E10value_typeET4_jRbjT5_SW_jjP12ihipStream_tbEUlT_E_NS1_11comp_targetILNS1_3genE9ELNS1_11target_archE1100ELNS1_3gpuE3ELNS1_3repE0EEENS1_30default_config_static_selectorELNS0_4arch9wavefront6targetE0EEEvSK_
                                        ; -- End function
	.section	.AMDGPU.csdata,"",@progbits
; Kernel info:
; codeLenInByte = 39112
; NumSgprs: 56
; NumVgprs: 183
; ScratchSize: 0
; MemoryBound: 0
; FloatMode: 240
; IeeeMode: 1
; LDSByteSize: 17440 bytes/workgroup (compile time only)
; SGPRBlocks: 6
; VGPRBlocks: 22
; NumSGPRsForWavesPerEU: 56
; NumVGPRsForWavesPerEU: 183
; Occupancy: 8
; WaveLimiterHint : 1
; COMPUTE_PGM_RSRC2:SCRATCH_EN: 0
; COMPUTE_PGM_RSRC2:USER_SGPR: 14
; COMPUTE_PGM_RSRC2:TRAP_HANDLER: 0
; COMPUTE_PGM_RSRC2:TGID_X_EN: 1
; COMPUTE_PGM_RSRC2:TGID_Y_EN: 1
; COMPUTE_PGM_RSRC2:TGID_Z_EN: 0
; COMPUTE_PGM_RSRC2:TIDIG_COMP_CNT: 2
	.section	.text._ZN7rocprim17ROCPRIM_400000_NS6detail17trampoline_kernelINS0_14default_configENS1_36segmented_radix_sort_config_selectorIalEEZNS1_25segmented_radix_sort_implIS3_Lb1EPKaPaPKlPlN2at6native12_GLOBAL__N_18offset_tEEE10hipError_tPvRmT1_PNSt15iterator_traitsISK_E10value_typeET2_T3_PNSL_ISQ_E10value_typeET4_jRbjT5_SW_jjP12ihipStream_tbEUlT_E_NS1_11comp_targetILNS1_3genE8ELNS1_11target_archE1030ELNS1_3gpuE2ELNS1_3repE0EEENS1_30default_config_static_selectorELNS0_4arch9wavefront6targetE0EEEvSK_,"axG",@progbits,_ZN7rocprim17ROCPRIM_400000_NS6detail17trampoline_kernelINS0_14default_configENS1_36segmented_radix_sort_config_selectorIalEEZNS1_25segmented_radix_sort_implIS3_Lb1EPKaPaPKlPlN2at6native12_GLOBAL__N_18offset_tEEE10hipError_tPvRmT1_PNSt15iterator_traitsISK_E10value_typeET2_T3_PNSL_ISQ_E10value_typeET4_jRbjT5_SW_jjP12ihipStream_tbEUlT_E_NS1_11comp_targetILNS1_3genE8ELNS1_11target_archE1030ELNS1_3gpuE2ELNS1_3repE0EEENS1_30default_config_static_selectorELNS0_4arch9wavefront6targetE0EEEvSK_,comdat
	.globl	_ZN7rocprim17ROCPRIM_400000_NS6detail17trampoline_kernelINS0_14default_configENS1_36segmented_radix_sort_config_selectorIalEEZNS1_25segmented_radix_sort_implIS3_Lb1EPKaPaPKlPlN2at6native12_GLOBAL__N_18offset_tEEE10hipError_tPvRmT1_PNSt15iterator_traitsISK_E10value_typeET2_T3_PNSL_ISQ_E10value_typeET4_jRbjT5_SW_jjP12ihipStream_tbEUlT_E_NS1_11comp_targetILNS1_3genE8ELNS1_11target_archE1030ELNS1_3gpuE2ELNS1_3repE0EEENS1_30default_config_static_selectorELNS0_4arch9wavefront6targetE0EEEvSK_ ; -- Begin function _ZN7rocprim17ROCPRIM_400000_NS6detail17trampoline_kernelINS0_14default_configENS1_36segmented_radix_sort_config_selectorIalEEZNS1_25segmented_radix_sort_implIS3_Lb1EPKaPaPKlPlN2at6native12_GLOBAL__N_18offset_tEEE10hipError_tPvRmT1_PNSt15iterator_traitsISK_E10value_typeET2_T3_PNSL_ISQ_E10value_typeET4_jRbjT5_SW_jjP12ihipStream_tbEUlT_E_NS1_11comp_targetILNS1_3genE8ELNS1_11target_archE1030ELNS1_3gpuE2ELNS1_3repE0EEENS1_30default_config_static_selectorELNS0_4arch9wavefront6targetE0EEEvSK_
	.p2align	8
	.type	_ZN7rocprim17ROCPRIM_400000_NS6detail17trampoline_kernelINS0_14default_configENS1_36segmented_radix_sort_config_selectorIalEEZNS1_25segmented_radix_sort_implIS3_Lb1EPKaPaPKlPlN2at6native12_GLOBAL__N_18offset_tEEE10hipError_tPvRmT1_PNSt15iterator_traitsISK_E10value_typeET2_T3_PNSL_ISQ_E10value_typeET4_jRbjT5_SW_jjP12ihipStream_tbEUlT_E_NS1_11comp_targetILNS1_3genE8ELNS1_11target_archE1030ELNS1_3gpuE2ELNS1_3repE0EEENS1_30default_config_static_selectorELNS0_4arch9wavefront6targetE0EEEvSK_,@function
_ZN7rocprim17ROCPRIM_400000_NS6detail17trampoline_kernelINS0_14default_configENS1_36segmented_radix_sort_config_selectorIalEEZNS1_25segmented_radix_sort_implIS3_Lb1EPKaPaPKlPlN2at6native12_GLOBAL__N_18offset_tEEE10hipError_tPvRmT1_PNSt15iterator_traitsISK_E10value_typeET2_T3_PNSL_ISQ_E10value_typeET4_jRbjT5_SW_jjP12ihipStream_tbEUlT_E_NS1_11comp_targetILNS1_3genE8ELNS1_11target_archE1030ELNS1_3gpuE2ELNS1_3repE0EEENS1_30default_config_static_selectorELNS0_4arch9wavefront6targetE0EEEvSK_: ; @_ZN7rocprim17ROCPRIM_400000_NS6detail17trampoline_kernelINS0_14default_configENS1_36segmented_radix_sort_config_selectorIalEEZNS1_25segmented_radix_sort_implIS3_Lb1EPKaPaPKlPlN2at6native12_GLOBAL__N_18offset_tEEE10hipError_tPvRmT1_PNSt15iterator_traitsISK_E10value_typeET2_T3_PNSL_ISQ_E10value_typeET4_jRbjT5_SW_jjP12ihipStream_tbEUlT_E_NS1_11comp_targetILNS1_3genE8ELNS1_11target_archE1030ELNS1_3gpuE2ELNS1_3repE0EEENS1_30default_config_static_selectorELNS0_4arch9wavefront6targetE0EEEvSK_
; %bb.0:
	.section	.rodata,"a",@progbits
	.p2align	6, 0x0
	.amdhsa_kernel _ZN7rocprim17ROCPRIM_400000_NS6detail17trampoline_kernelINS0_14default_configENS1_36segmented_radix_sort_config_selectorIalEEZNS1_25segmented_radix_sort_implIS3_Lb1EPKaPaPKlPlN2at6native12_GLOBAL__N_18offset_tEEE10hipError_tPvRmT1_PNSt15iterator_traitsISK_E10value_typeET2_T3_PNSL_ISQ_E10value_typeET4_jRbjT5_SW_jjP12ihipStream_tbEUlT_E_NS1_11comp_targetILNS1_3genE8ELNS1_11target_archE1030ELNS1_3gpuE2ELNS1_3repE0EEENS1_30default_config_static_selectorELNS0_4arch9wavefront6targetE0EEEvSK_
		.amdhsa_group_segment_fixed_size 0
		.amdhsa_private_segment_fixed_size 0
		.amdhsa_kernarg_size 96
		.amdhsa_user_sgpr_count 15
		.amdhsa_user_sgpr_dispatch_ptr 0
		.amdhsa_user_sgpr_queue_ptr 0
		.amdhsa_user_sgpr_kernarg_segment_ptr 1
		.amdhsa_user_sgpr_dispatch_id 0
		.amdhsa_user_sgpr_private_segment_size 0
		.amdhsa_wavefront_size32 1
		.amdhsa_uses_dynamic_stack 0
		.amdhsa_enable_private_segment 0
		.amdhsa_system_sgpr_workgroup_id_x 1
		.amdhsa_system_sgpr_workgroup_id_y 0
		.amdhsa_system_sgpr_workgroup_id_z 0
		.amdhsa_system_sgpr_workgroup_info 0
		.amdhsa_system_vgpr_workitem_id 0
		.amdhsa_next_free_vgpr 1
		.amdhsa_next_free_sgpr 1
		.amdhsa_reserve_vcc 0
		.amdhsa_float_round_mode_32 0
		.amdhsa_float_round_mode_16_64 0
		.amdhsa_float_denorm_mode_32 3
		.amdhsa_float_denorm_mode_16_64 3
		.amdhsa_dx10_clamp 1
		.amdhsa_ieee_mode 1
		.amdhsa_fp16_overflow 0
		.amdhsa_workgroup_processor_mode 1
		.amdhsa_memory_ordered 1
		.amdhsa_forward_progress 0
		.amdhsa_shared_vgpr_count 0
		.amdhsa_exception_fp_ieee_invalid_op 0
		.amdhsa_exception_fp_denorm_src 0
		.amdhsa_exception_fp_ieee_div_zero 0
		.amdhsa_exception_fp_ieee_overflow 0
		.amdhsa_exception_fp_ieee_underflow 0
		.amdhsa_exception_fp_ieee_inexact 0
		.amdhsa_exception_int_div_zero 0
	.end_amdhsa_kernel
	.section	.text._ZN7rocprim17ROCPRIM_400000_NS6detail17trampoline_kernelINS0_14default_configENS1_36segmented_radix_sort_config_selectorIalEEZNS1_25segmented_radix_sort_implIS3_Lb1EPKaPaPKlPlN2at6native12_GLOBAL__N_18offset_tEEE10hipError_tPvRmT1_PNSt15iterator_traitsISK_E10value_typeET2_T3_PNSL_ISQ_E10value_typeET4_jRbjT5_SW_jjP12ihipStream_tbEUlT_E_NS1_11comp_targetILNS1_3genE8ELNS1_11target_archE1030ELNS1_3gpuE2ELNS1_3repE0EEENS1_30default_config_static_selectorELNS0_4arch9wavefront6targetE0EEEvSK_,"axG",@progbits,_ZN7rocprim17ROCPRIM_400000_NS6detail17trampoline_kernelINS0_14default_configENS1_36segmented_radix_sort_config_selectorIalEEZNS1_25segmented_radix_sort_implIS3_Lb1EPKaPaPKlPlN2at6native12_GLOBAL__N_18offset_tEEE10hipError_tPvRmT1_PNSt15iterator_traitsISK_E10value_typeET2_T3_PNSL_ISQ_E10value_typeET4_jRbjT5_SW_jjP12ihipStream_tbEUlT_E_NS1_11comp_targetILNS1_3genE8ELNS1_11target_archE1030ELNS1_3gpuE2ELNS1_3repE0EEENS1_30default_config_static_selectorELNS0_4arch9wavefront6targetE0EEEvSK_,comdat
.Lfunc_end299:
	.size	_ZN7rocprim17ROCPRIM_400000_NS6detail17trampoline_kernelINS0_14default_configENS1_36segmented_radix_sort_config_selectorIalEEZNS1_25segmented_radix_sort_implIS3_Lb1EPKaPaPKlPlN2at6native12_GLOBAL__N_18offset_tEEE10hipError_tPvRmT1_PNSt15iterator_traitsISK_E10value_typeET2_T3_PNSL_ISQ_E10value_typeET4_jRbjT5_SW_jjP12ihipStream_tbEUlT_E_NS1_11comp_targetILNS1_3genE8ELNS1_11target_archE1030ELNS1_3gpuE2ELNS1_3repE0EEENS1_30default_config_static_selectorELNS0_4arch9wavefront6targetE0EEEvSK_, .Lfunc_end299-_ZN7rocprim17ROCPRIM_400000_NS6detail17trampoline_kernelINS0_14default_configENS1_36segmented_radix_sort_config_selectorIalEEZNS1_25segmented_radix_sort_implIS3_Lb1EPKaPaPKlPlN2at6native12_GLOBAL__N_18offset_tEEE10hipError_tPvRmT1_PNSt15iterator_traitsISK_E10value_typeET2_T3_PNSL_ISQ_E10value_typeET4_jRbjT5_SW_jjP12ihipStream_tbEUlT_E_NS1_11comp_targetILNS1_3genE8ELNS1_11target_archE1030ELNS1_3gpuE2ELNS1_3repE0EEENS1_30default_config_static_selectorELNS0_4arch9wavefront6targetE0EEEvSK_
                                        ; -- End function
	.section	.AMDGPU.csdata,"",@progbits
; Kernel info:
; codeLenInByte = 0
; NumSgprs: 0
; NumVgprs: 0
; ScratchSize: 0
; MemoryBound: 0
; FloatMode: 240
; IeeeMode: 1
; LDSByteSize: 0 bytes/workgroup (compile time only)
; SGPRBlocks: 0
; VGPRBlocks: 0
; NumSGPRsForWavesPerEU: 1
; NumVGPRsForWavesPerEU: 1
; Occupancy: 16
; WaveLimiterHint : 0
; COMPUTE_PGM_RSRC2:SCRATCH_EN: 0
; COMPUTE_PGM_RSRC2:USER_SGPR: 15
; COMPUTE_PGM_RSRC2:TRAP_HANDLER: 0
; COMPUTE_PGM_RSRC2:TGID_X_EN: 1
; COMPUTE_PGM_RSRC2:TGID_Y_EN: 0
; COMPUTE_PGM_RSRC2:TGID_Z_EN: 0
; COMPUTE_PGM_RSRC2:TIDIG_COMP_CNT: 0
	.section	.text._ZN7rocprim17ROCPRIM_400000_NS6detail17trampoline_kernelINS0_14default_configENS1_36segmented_radix_sort_config_selectorIalEEZNS1_25segmented_radix_sort_implIS3_Lb1EPKaPaPKlPlN2at6native12_GLOBAL__N_18offset_tEEE10hipError_tPvRmT1_PNSt15iterator_traitsISK_E10value_typeET2_T3_PNSL_ISQ_E10value_typeET4_jRbjT5_SW_jjP12ihipStream_tbEUlT_E0_NS1_11comp_targetILNS1_3genE0ELNS1_11target_archE4294967295ELNS1_3gpuE0ELNS1_3repE0EEENS1_60segmented_radix_sort_warp_sort_medium_config_static_selectorELNS0_4arch9wavefront6targetE0EEEvSK_,"axG",@progbits,_ZN7rocprim17ROCPRIM_400000_NS6detail17trampoline_kernelINS0_14default_configENS1_36segmented_radix_sort_config_selectorIalEEZNS1_25segmented_radix_sort_implIS3_Lb1EPKaPaPKlPlN2at6native12_GLOBAL__N_18offset_tEEE10hipError_tPvRmT1_PNSt15iterator_traitsISK_E10value_typeET2_T3_PNSL_ISQ_E10value_typeET4_jRbjT5_SW_jjP12ihipStream_tbEUlT_E0_NS1_11comp_targetILNS1_3genE0ELNS1_11target_archE4294967295ELNS1_3gpuE0ELNS1_3repE0EEENS1_60segmented_radix_sort_warp_sort_medium_config_static_selectorELNS0_4arch9wavefront6targetE0EEEvSK_,comdat
	.globl	_ZN7rocprim17ROCPRIM_400000_NS6detail17trampoline_kernelINS0_14default_configENS1_36segmented_radix_sort_config_selectorIalEEZNS1_25segmented_radix_sort_implIS3_Lb1EPKaPaPKlPlN2at6native12_GLOBAL__N_18offset_tEEE10hipError_tPvRmT1_PNSt15iterator_traitsISK_E10value_typeET2_T3_PNSL_ISQ_E10value_typeET4_jRbjT5_SW_jjP12ihipStream_tbEUlT_E0_NS1_11comp_targetILNS1_3genE0ELNS1_11target_archE4294967295ELNS1_3gpuE0ELNS1_3repE0EEENS1_60segmented_radix_sort_warp_sort_medium_config_static_selectorELNS0_4arch9wavefront6targetE0EEEvSK_ ; -- Begin function _ZN7rocprim17ROCPRIM_400000_NS6detail17trampoline_kernelINS0_14default_configENS1_36segmented_radix_sort_config_selectorIalEEZNS1_25segmented_radix_sort_implIS3_Lb1EPKaPaPKlPlN2at6native12_GLOBAL__N_18offset_tEEE10hipError_tPvRmT1_PNSt15iterator_traitsISK_E10value_typeET2_T3_PNSL_ISQ_E10value_typeET4_jRbjT5_SW_jjP12ihipStream_tbEUlT_E0_NS1_11comp_targetILNS1_3genE0ELNS1_11target_archE4294967295ELNS1_3gpuE0ELNS1_3repE0EEENS1_60segmented_radix_sort_warp_sort_medium_config_static_selectorELNS0_4arch9wavefront6targetE0EEEvSK_
	.p2align	8
	.type	_ZN7rocprim17ROCPRIM_400000_NS6detail17trampoline_kernelINS0_14default_configENS1_36segmented_radix_sort_config_selectorIalEEZNS1_25segmented_radix_sort_implIS3_Lb1EPKaPaPKlPlN2at6native12_GLOBAL__N_18offset_tEEE10hipError_tPvRmT1_PNSt15iterator_traitsISK_E10value_typeET2_T3_PNSL_ISQ_E10value_typeET4_jRbjT5_SW_jjP12ihipStream_tbEUlT_E0_NS1_11comp_targetILNS1_3genE0ELNS1_11target_archE4294967295ELNS1_3gpuE0ELNS1_3repE0EEENS1_60segmented_radix_sort_warp_sort_medium_config_static_selectorELNS0_4arch9wavefront6targetE0EEEvSK_,@function
_ZN7rocprim17ROCPRIM_400000_NS6detail17trampoline_kernelINS0_14default_configENS1_36segmented_radix_sort_config_selectorIalEEZNS1_25segmented_radix_sort_implIS3_Lb1EPKaPaPKlPlN2at6native12_GLOBAL__N_18offset_tEEE10hipError_tPvRmT1_PNSt15iterator_traitsISK_E10value_typeET2_T3_PNSL_ISQ_E10value_typeET4_jRbjT5_SW_jjP12ihipStream_tbEUlT_E0_NS1_11comp_targetILNS1_3genE0ELNS1_11target_archE4294967295ELNS1_3gpuE0ELNS1_3repE0EEENS1_60segmented_radix_sort_warp_sort_medium_config_static_selectorELNS0_4arch9wavefront6targetE0EEEvSK_: ; @_ZN7rocprim17ROCPRIM_400000_NS6detail17trampoline_kernelINS0_14default_configENS1_36segmented_radix_sort_config_selectorIalEEZNS1_25segmented_radix_sort_implIS3_Lb1EPKaPaPKlPlN2at6native12_GLOBAL__N_18offset_tEEE10hipError_tPvRmT1_PNSt15iterator_traitsISK_E10value_typeET2_T3_PNSL_ISQ_E10value_typeET4_jRbjT5_SW_jjP12ihipStream_tbEUlT_E0_NS1_11comp_targetILNS1_3genE0ELNS1_11target_archE4294967295ELNS1_3gpuE0ELNS1_3repE0EEENS1_60segmented_radix_sort_warp_sort_medium_config_static_selectorELNS0_4arch9wavefront6targetE0EEEvSK_
; %bb.0:
	.section	.rodata,"a",@progbits
	.p2align	6, 0x0
	.amdhsa_kernel _ZN7rocprim17ROCPRIM_400000_NS6detail17trampoline_kernelINS0_14default_configENS1_36segmented_radix_sort_config_selectorIalEEZNS1_25segmented_radix_sort_implIS3_Lb1EPKaPaPKlPlN2at6native12_GLOBAL__N_18offset_tEEE10hipError_tPvRmT1_PNSt15iterator_traitsISK_E10value_typeET2_T3_PNSL_ISQ_E10value_typeET4_jRbjT5_SW_jjP12ihipStream_tbEUlT_E0_NS1_11comp_targetILNS1_3genE0ELNS1_11target_archE4294967295ELNS1_3gpuE0ELNS1_3repE0EEENS1_60segmented_radix_sort_warp_sort_medium_config_static_selectorELNS0_4arch9wavefront6targetE0EEEvSK_
		.amdhsa_group_segment_fixed_size 0
		.amdhsa_private_segment_fixed_size 0
		.amdhsa_kernarg_size 88
		.amdhsa_user_sgpr_count 15
		.amdhsa_user_sgpr_dispatch_ptr 0
		.amdhsa_user_sgpr_queue_ptr 0
		.amdhsa_user_sgpr_kernarg_segment_ptr 1
		.amdhsa_user_sgpr_dispatch_id 0
		.amdhsa_user_sgpr_private_segment_size 0
		.amdhsa_wavefront_size32 1
		.amdhsa_uses_dynamic_stack 0
		.amdhsa_enable_private_segment 0
		.amdhsa_system_sgpr_workgroup_id_x 1
		.amdhsa_system_sgpr_workgroup_id_y 0
		.amdhsa_system_sgpr_workgroup_id_z 0
		.amdhsa_system_sgpr_workgroup_info 0
		.amdhsa_system_vgpr_workitem_id 0
		.amdhsa_next_free_vgpr 1
		.amdhsa_next_free_sgpr 1
		.amdhsa_reserve_vcc 0
		.amdhsa_float_round_mode_32 0
		.amdhsa_float_round_mode_16_64 0
		.amdhsa_float_denorm_mode_32 3
		.amdhsa_float_denorm_mode_16_64 3
		.amdhsa_dx10_clamp 1
		.amdhsa_ieee_mode 1
		.amdhsa_fp16_overflow 0
		.amdhsa_workgroup_processor_mode 1
		.amdhsa_memory_ordered 1
		.amdhsa_forward_progress 0
		.amdhsa_shared_vgpr_count 0
		.amdhsa_exception_fp_ieee_invalid_op 0
		.amdhsa_exception_fp_denorm_src 0
		.amdhsa_exception_fp_ieee_div_zero 0
		.amdhsa_exception_fp_ieee_overflow 0
		.amdhsa_exception_fp_ieee_underflow 0
		.amdhsa_exception_fp_ieee_inexact 0
		.amdhsa_exception_int_div_zero 0
	.end_amdhsa_kernel
	.section	.text._ZN7rocprim17ROCPRIM_400000_NS6detail17trampoline_kernelINS0_14default_configENS1_36segmented_radix_sort_config_selectorIalEEZNS1_25segmented_radix_sort_implIS3_Lb1EPKaPaPKlPlN2at6native12_GLOBAL__N_18offset_tEEE10hipError_tPvRmT1_PNSt15iterator_traitsISK_E10value_typeET2_T3_PNSL_ISQ_E10value_typeET4_jRbjT5_SW_jjP12ihipStream_tbEUlT_E0_NS1_11comp_targetILNS1_3genE0ELNS1_11target_archE4294967295ELNS1_3gpuE0ELNS1_3repE0EEENS1_60segmented_radix_sort_warp_sort_medium_config_static_selectorELNS0_4arch9wavefront6targetE0EEEvSK_,"axG",@progbits,_ZN7rocprim17ROCPRIM_400000_NS6detail17trampoline_kernelINS0_14default_configENS1_36segmented_radix_sort_config_selectorIalEEZNS1_25segmented_radix_sort_implIS3_Lb1EPKaPaPKlPlN2at6native12_GLOBAL__N_18offset_tEEE10hipError_tPvRmT1_PNSt15iterator_traitsISK_E10value_typeET2_T3_PNSL_ISQ_E10value_typeET4_jRbjT5_SW_jjP12ihipStream_tbEUlT_E0_NS1_11comp_targetILNS1_3genE0ELNS1_11target_archE4294967295ELNS1_3gpuE0ELNS1_3repE0EEENS1_60segmented_radix_sort_warp_sort_medium_config_static_selectorELNS0_4arch9wavefront6targetE0EEEvSK_,comdat
.Lfunc_end300:
	.size	_ZN7rocprim17ROCPRIM_400000_NS6detail17trampoline_kernelINS0_14default_configENS1_36segmented_radix_sort_config_selectorIalEEZNS1_25segmented_radix_sort_implIS3_Lb1EPKaPaPKlPlN2at6native12_GLOBAL__N_18offset_tEEE10hipError_tPvRmT1_PNSt15iterator_traitsISK_E10value_typeET2_T3_PNSL_ISQ_E10value_typeET4_jRbjT5_SW_jjP12ihipStream_tbEUlT_E0_NS1_11comp_targetILNS1_3genE0ELNS1_11target_archE4294967295ELNS1_3gpuE0ELNS1_3repE0EEENS1_60segmented_radix_sort_warp_sort_medium_config_static_selectorELNS0_4arch9wavefront6targetE0EEEvSK_, .Lfunc_end300-_ZN7rocprim17ROCPRIM_400000_NS6detail17trampoline_kernelINS0_14default_configENS1_36segmented_radix_sort_config_selectorIalEEZNS1_25segmented_radix_sort_implIS3_Lb1EPKaPaPKlPlN2at6native12_GLOBAL__N_18offset_tEEE10hipError_tPvRmT1_PNSt15iterator_traitsISK_E10value_typeET2_T3_PNSL_ISQ_E10value_typeET4_jRbjT5_SW_jjP12ihipStream_tbEUlT_E0_NS1_11comp_targetILNS1_3genE0ELNS1_11target_archE4294967295ELNS1_3gpuE0ELNS1_3repE0EEENS1_60segmented_radix_sort_warp_sort_medium_config_static_selectorELNS0_4arch9wavefront6targetE0EEEvSK_
                                        ; -- End function
	.section	.AMDGPU.csdata,"",@progbits
; Kernel info:
; codeLenInByte = 0
; NumSgprs: 0
; NumVgprs: 0
; ScratchSize: 0
; MemoryBound: 0
; FloatMode: 240
; IeeeMode: 1
; LDSByteSize: 0 bytes/workgroup (compile time only)
; SGPRBlocks: 0
; VGPRBlocks: 0
; NumSGPRsForWavesPerEU: 1
; NumVGPRsForWavesPerEU: 1
; Occupancy: 16
; WaveLimiterHint : 0
; COMPUTE_PGM_RSRC2:SCRATCH_EN: 0
; COMPUTE_PGM_RSRC2:USER_SGPR: 15
; COMPUTE_PGM_RSRC2:TRAP_HANDLER: 0
; COMPUTE_PGM_RSRC2:TGID_X_EN: 1
; COMPUTE_PGM_RSRC2:TGID_Y_EN: 0
; COMPUTE_PGM_RSRC2:TGID_Z_EN: 0
; COMPUTE_PGM_RSRC2:TIDIG_COMP_CNT: 0
	.section	.text._ZN7rocprim17ROCPRIM_400000_NS6detail17trampoline_kernelINS0_14default_configENS1_36segmented_radix_sort_config_selectorIalEEZNS1_25segmented_radix_sort_implIS3_Lb1EPKaPaPKlPlN2at6native12_GLOBAL__N_18offset_tEEE10hipError_tPvRmT1_PNSt15iterator_traitsISK_E10value_typeET2_T3_PNSL_ISQ_E10value_typeET4_jRbjT5_SW_jjP12ihipStream_tbEUlT_E0_NS1_11comp_targetILNS1_3genE5ELNS1_11target_archE942ELNS1_3gpuE9ELNS1_3repE0EEENS1_60segmented_radix_sort_warp_sort_medium_config_static_selectorELNS0_4arch9wavefront6targetE0EEEvSK_,"axG",@progbits,_ZN7rocprim17ROCPRIM_400000_NS6detail17trampoline_kernelINS0_14default_configENS1_36segmented_radix_sort_config_selectorIalEEZNS1_25segmented_radix_sort_implIS3_Lb1EPKaPaPKlPlN2at6native12_GLOBAL__N_18offset_tEEE10hipError_tPvRmT1_PNSt15iterator_traitsISK_E10value_typeET2_T3_PNSL_ISQ_E10value_typeET4_jRbjT5_SW_jjP12ihipStream_tbEUlT_E0_NS1_11comp_targetILNS1_3genE5ELNS1_11target_archE942ELNS1_3gpuE9ELNS1_3repE0EEENS1_60segmented_radix_sort_warp_sort_medium_config_static_selectorELNS0_4arch9wavefront6targetE0EEEvSK_,comdat
	.globl	_ZN7rocprim17ROCPRIM_400000_NS6detail17trampoline_kernelINS0_14default_configENS1_36segmented_radix_sort_config_selectorIalEEZNS1_25segmented_radix_sort_implIS3_Lb1EPKaPaPKlPlN2at6native12_GLOBAL__N_18offset_tEEE10hipError_tPvRmT1_PNSt15iterator_traitsISK_E10value_typeET2_T3_PNSL_ISQ_E10value_typeET4_jRbjT5_SW_jjP12ihipStream_tbEUlT_E0_NS1_11comp_targetILNS1_3genE5ELNS1_11target_archE942ELNS1_3gpuE9ELNS1_3repE0EEENS1_60segmented_radix_sort_warp_sort_medium_config_static_selectorELNS0_4arch9wavefront6targetE0EEEvSK_ ; -- Begin function _ZN7rocprim17ROCPRIM_400000_NS6detail17trampoline_kernelINS0_14default_configENS1_36segmented_radix_sort_config_selectorIalEEZNS1_25segmented_radix_sort_implIS3_Lb1EPKaPaPKlPlN2at6native12_GLOBAL__N_18offset_tEEE10hipError_tPvRmT1_PNSt15iterator_traitsISK_E10value_typeET2_T3_PNSL_ISQ_E10value_typeET4_jRbjT5_SW_jjP12ihipStream_tbEUlT_E0_NS1_11comp_targetILNS1_3genE5ELNS1_11target_archE942ELNS1_3gpuE9ELNS1_3repE0EEENS1_60segmented_radix_sort_warp_sort_medium_config_static_selectorELNS0_4arch9wavefront6targetE0EEEvSK_
	.p2align	8
	.type	_ZN7rocprim17ROCPRIM_400000_NS6detail17trampoline_kernelINS0_14default_configENS1_36segmented_radix_sort_config_selectorIalEEZNS1_25segmented_radix_sort_implIS3_Lb1EPKaPaPKlPlN2at6native12_GLOBAL__N_18offset_tEEE10hipError_tPvRmT1_PNSt15iterator_traitsISK_E10value_typeET2_T3_PNSL_ISQ_E10value_typeET4_jRbjT5_SW_jjP12ihipStream_tbEUlT_E0_NS1_11comp_targetILNS1_3genE5ELNS1_11target_archE942ELNS1_3gpuE9ELNS1_3repE0EEENS1_60segmented_radix_sort_warp_sort_medium_config_static_selectorELNS0_4arch9wavefront6targetE0EEEvSK_,@function
_ZN7rocprim17ROCPRIM_400000_NS6detail17trampoline_kernelINS0_14default_configENS1_36segmented_radix_sort_config_selectorIalEEZNS1_25segmented_radix_sort_implIS3_Lb1EPKaPaPKlPlN2at6native12_GLOBAL__N_18offset_tEEE10hipError_tPvRmT1_PNSt15iterator_traitsISK_E10value_typeET2_T3_PNSL_ISQ_E10value_typeET4_jRbjT5_SW_jjP12ihipStream_tbEUlT_E0_NS1_11comp_targetILNS1_3genE5ELNS1_11target_archE942ELNS1_3gpuE9ELNS1_3repE0EEENS1_60segmented_radix_sort_warp_sort_medium_config_static_selectorELNS0_4arch9wavefront6targetE0EEEvSK_: ; @_ZN7rocprim17ROCPRIM_400000_NS6detail17trampoline_kernelINS0_14default_configENS1_36segmented_radix_sort_config_selectorIalEEZNS1_25segmented_radix_sort_implIS3_Lb1EPKaPaPKlPlN2at6native12_GLOBAL__N_18offset_tEEE10hipError_tPvRmT1_PNSt15iterator_traitsISK_E10value_typeET2_T3_PNSL_ISQ_E10value_typeET4_jRbjT5_SW_jjP12ihipStream_tbEUlT_E0_NS1_11comp_targetILNS1_3genE5ELNS1_11target_archE942ELNS1_3gpuE9ELNS1_3repE0EEENS1_60segmented_radix_sort_warp_sort_medium_config_static_selectorELNS0_4arch9wavefront6targetE0EEEvSK_
; %bb.0:
	.section	.rodata,"a",@progbits
	.p2align	6, 0x0
	.amdhsa_kernel _ZN7rocprim17ROCPRIM_400000_NS6detail17trampoline_kernelINS0_14default_configENS1_36segmented_radix_sort_config_selectorIalEEZNS1_25segmented_radix_sort_implIS3_Lb1EPKaPaPKlPlN2at6native12_GLOBAL__N_18offset_tEEE10hipError_tPvRmT1_PNSt15iterator_traitsISK_E10value_typeET2_T3_PNSL_ISQ_E10value_typeET4_jRbjT5_SW_jjP12ihipStream_tbEUlT_E0_NS1_11comp_targetILNS1_3genE5ELNS1_11target_archE942ELNS1_3gpuE9ELNS1_3repE0EEENS1_60segmented_radix_sort_warp_sort_medium_config_static_selectorELNS0_4arch9wavefront6targetE0EEEvSK_
		.amdhsa_group_segment_fixed_size 0
		.amdhsa_private_segment_fixed_size 0
		.amdhsa_kernarg_size 88
		.amdhsa_user_sgpr_count 15
		.amdhsa_user_sgpr_dispatch_ptr 0
		.amdhsa_user_sgpr_queue_ptr 0
		.amdhsa_user_sgpr_kernarg_segment_ptr 1
		.amdhsa_user_sgpr_dispatch_id 0
		.amdhsa_user_sgpr_private_segment_size 0
		.amdhsa_wavefront_size32 1
		.amdhsa_uses_dynamic_stack 0
		.amdhsa_enable_private_segment 0
		.amdhsa_system_sgpr_workgroup_id_x 1
		.amdhsa_system_sgpr_workgroup_id_y 0
		.amdhsa_system_sgpr_workgroup_id_z 0
		.amdhsa_system_sgpr_workgroup_info 0
		.amdhsa_system_vgpr_workitem_id 0
		.amdhsa_next_free_vgpr 1
		.amdhsa_next_free_sgpr 1
		.amdhsa_reserve_vcc 0
		.amdhsa_float_round_mode_32 0
		.amdhsa_float_round_mode_16_64 0
		.amdhsa_float_denorm_mode_32 3
		.amdhsa_float_denorm_mode_16_64 3
		.amdhsa_dx10_clamp 1
		.amdhsa_ieee_mode 1
		.amdhsa_fp16_overflow 0
		.amdhsa_workgroup_processor_mode 1
		.amdhsa_memory_ordered 1
		.amdhsa_forward_progress 0
		.amdhsa_shared_vgpr_count 0
		.amdhsa_exception_fp_ieee_invalid_op 0
		.amdhsa_exception_fp_denorm_src 0
		.amdhsa_exception_fp_ieee_div_zero 0
		.amdhsa_exception_fp_ieee_overflow 0
		.amdhsa_exception_fp_ieee_underflow 0
		.amdhsa_exception_fp_ieee_inexact 0
		.amdhsa_exception_int_div_zero 0
	.end_amdhsa_kernel
	.section	.text._ZN7rocprim17ROCPRIM_400000_NS6detail17trampoline_kernelINS0_14default_configENS1_36segmented_radix_sort_config_selectorIalEEZNS1_25segmented_radix_sort_implIS3_Lb1EPKaPaPKlPlN2at6native12_GLOBAL__N_18offset_tEEE10hipError_tPvRmT1_PNSt15iterator_traitsISK_E10value_typeET2_T3_PNSL_ISQ_E10value_typeET4_jRbjT5_SW_jjP12ihipStream_tbEUlT_E0_NS1_11comp_targetILNS1_3genE5ELNS1_11target_archE942ELNS1_3gpuE9ELNS1_3repE0EEENS1_60segmented_radix_sort_warp_sort_medium_config_static_selectorELNS0_4arch9wavefront6targetE0EEEvSK_,"axG",@progbits,_ZN7rocprim17ROCPRIM_400000_NS6detail17trampoline_kernelINS0_14default_configENS1_36segmented_radix_sort_config_selectorIalEEZNS1_25segmented_radix_sort_implIS3_Lb1EPKaPaPKlPlN2at6native12_GLOBAL__N_18offset_tEEE10hipError_tPvRmT1_PNSt15iterator_traitsISK_E10value_typeET2_T3_PNSL_ISQ_E10value_typeET4_jRbjT5_SW_jjP12ihipStream_tbEUlT_E0_NS1_11comp_targetILNS1_3genE5ELNS1_11target_archE942ELNS1_3gpuE9ELNS1_3repE0EEENS1_60segmented_radix_sort_warp_sort_medium_config_static_selectorELNS0_4arch9wavefront6targetE0EEEvSK_,comdat
.Lfunc_end301:
	.size	_ZN7rocprim17ROCPRIM_400000_NS6detail17trampoline_kernelINS0_14default_configENS1_36segmented_radix_sort_config_selectorIalEEZNS1_25segmented_radix_sort_implIS3_Lb1EPKaPaPKlPlN2at6native12_GLOBAL__N_18offset_tEEE10hipError_tPvRmT1_PNSt15iterator_traitsISK_E10value_typeET2_T3_PNSL_ISQ_E10value_typeET4_jRbjT5_SW_jjP12ihipStream_tbEUlT_E0_NS1_11comp_targetILNS1_3genE5ELNS1_11target_archE942ELNS1_3gpuE9ELNS1_3repE0EEENS1_60segmented_radix_sort_warp_sort_medium_config_static_selectorELNS0_4arch9wavefront6targetE0EEEvSK_, .Lfunc_end301-_ZN7rocprim17ROCPRIM_400000_NS6detail17trampoline_kernelINS0_14default_configENS1_36segmented_radix_sort_config_selectorIalEEZNS1_25segmented_radix_sort_implIS3_Lb1EPKaPaPKlPlN2at6native12_GLOBAL__N_18offset_tEEE10hipError_tPvRmT1_PNSt15iterator_traitsISK_E10value_typeET2_T3_PNSL_ISQ_E10value_typeET4_jRbjT5_SW_jjP12ihipStream_tbEUlT_E0_NS1_11comp_targetILNS1_3genE5ELNS1_11target_archE942ELNS1_3gpuE9ELNS1_3repE0EEENS1_60segmented_radix_sort_warp_sort_medium_config_static_selectorELNS0_4arch9wavefront6targetE0EEEvSK_
                                        ; -- End function
	.section	.AMDGPU.csdata,"",@progbits
; Kernel info:
; codeLenInByte = 0
; NumSgprs: 0
; NumVgprs: 0
; ScratchSize: 0
; MemoryBound: 0
; FloatMode: 240
; IeeeMode: 1
; LDSByteSize: 0 bytes/workgroup (compile time only)
; SGPRBlocks: 0
; VGPRBlocks: 0
; NumSGPRsForWavesPerEU: 1
; NumVGPRsForWavesPerEU: 1
; Occupancy: 16
; WaveLimiterHint : 0
; COMPUTE_PGM_RSRC2:SCRATCH_EN: 0
; COMPUTE_PGM_RSRC2:USER_SGPR: 15
; COMPUTE_PGM_RSRC2:TRAP_HANDLER: 0
; COMPUTE_PGM_RSRC2:TGID_X_EN: 1
; COMPUTE_PGM_RSRC2:TGID_Y_EN: 0
; COMPUTE_PGM_RSRC2:TGID_Z_EN: 0
; COMPUTE_PGM_RSRC2:TIDIG_COMP_CNT: 0
	.section	.text._ZN7rocprim17ROCPRIM_400000_NS6detail17trampoline_kernelINS0_14default_configENS1_36segmented_radix_sort_config_selectorIalEEZNS1_25segmented_radix_sort_implIS3_Lb1EPKaPaPKlPlN2at6native12_GLOBAL__N_18offset_tEEE10hipError_tPvRmT1_PNSt15iterator_traitsISK_E10value_typeET2_T3_PNSL_ISQ_E10value_typeET4_jRbjT5_SW_jjP12ihipStream_tbEUlT_E0_NS1_11comp_targetILNS1_3genE4ELNS1_11target_archE910ELNS1_3gpuE8ELNS1_3repE0EEENS1_60segmented_radix_sort_warp_sort_medium_config_static_selectorELNS0_4arch9wavefront6targetE0EEEvSK_,"axG",@progbits,_ZN7rocprim17ROCPRIM_400000_NS6detail17trampoline_kernelINS0_14default_configENS1_36segmented_radix_sort_config_selectorIalEEZNS1_25segmented_radix_sort_implIS3_Lb1EPKaPaPKlPlN2at6native12_GLOBAL__N_18offset_tEEE10hipError_tPvRmT1_PNSt15iterator_traitsISK_E10value_typeET2_T3_PNSL_ISQ_E10value_typeET4_jRbjT5_SW_jjP12ihipStream_tbEUlT_E0_NS1_11comp_targetILNS1_3genE4ELNS1_11target_archE910ELNS1_3gpuE8ELNS1_3repE0EEENS1_60segmented_radix_sort_warp_sort_medium_config_static_selectorELNS0_4arch9wavefront6targetE0EEEvSK_,comdat
	.globl	_ZN7rocprim17ROCPRIM_400000_NS6detail17trampoline_kernelINS0_14default_configENS1_36segmented_radix_sort_config_selectorIalEEZNS1_25segmented_radix_sort_implIS3_Lb1EPKaPaPKlPlN2at6native12_GLOBAL__N_18offset_tEEE10hipError_tPvRmT1_PNSt15iterator_traitsISK_E10value_typeET2_T3_PNSL_ISQ_E10value_typeET4_jRbjT5_SW_jjP12ihipStream_tbEUlT_E0_NS1_11comp_targetILNS1_3genE4ELNS1_11target_archE910ELNS1_3gpuE8ELNS1_3repE0EEENS1_60segmented_radix_sort_warp_sort_medium_config_static_selectorELNS0_4arch9wavefront6targetE0EEEvSK_ ; -- Begin function _ZN7rocprim17ROCPRIM_400000_NS6detail17trampoline_kernelINS0_14default_configENS1_36segmented_radix_sort_config_selectorIalEEZNS1_25segmented_radix_sort_implIS3_Lb1EPKaPaPKlPlN2at6native12_GLOBAL__N_18offset_tEEE10hipError_tPvRmT1_PNSt15iterator_traitsISK_E10value_typeET2_T3_PNSL_ISQ_E10value_typeET4_jRbjT5_SW_jjP12ihipStream_tbEUlT_E0_NS1_11comp_targetILNS1_3genE4ELNS1_11target_archE910ELNS1_3gpuE8ELNS1_3repE0EEENS1_60segmented_radix_sort_warp_sort_medium_config_static_selectorELNS0_4arch9wavefront6targetE0EEEvSK_
	.p2align	8
	.type	_ZN7rocprim17ROCPRIM_400000_NS6detail17trampoline_kernelINS0_14default_configENS1_36segmented_radix_sort_config_selectorIalEEZNS1_25segmented_radix_sort_implIS3_Lb1EPKaPaPKlPlN2at6native12_GLOBAL__N_18offset_tEEE10hipError_tPvRmT1_PNSt15iterator_traitsISK_E10value_typeET2_T3_PNSL_ISQ_E10value_typeET4_jRbjT5_SW_jjP12ihipStream_tbEUlT_E0_NS1_11comp_targetILNS1_3genE4ELNS1_11target_archE910ELNS1_3gpuE8ELNS1_3repE0EEENS1_60segmented_radix_sort_warp_sort_medium_config_static_selectorELNS0_4arch9wavefront6targetE0EEEvSK_,@function
_ZN7rocprim17ROCPRIM_400000_NS6detail17trampoline_kernelINS0_14default_configENS1_36segmented_radix_sort_config_selectorIalEEZNS1_25segmented_radix_sort_implIS3_Lb1EPKaPaPKlPlN2at6native12_GLOBAL__N_18offset_tEEE10hipError_tPvRmT1_PNSt15iterator_traitsISK_E10value_typeET2_T3_PNSL_ISQ_E10value_typeET4_jRbjT5_SW_jjP12ihipStream_tbEUlT_E0_NS1_11comp_targetILNS1_3genE4ELNS1_11target_archE910ELNS1_3gpuE8ELNS1_3repE0EEENS1_60segmented_radix_sort_warp_sort_medium_config_static_selectorELNS0_4arch9wavefront6targetE0EEEvSK_: ; @_ZN7rocprim17ROCPRIM_400000_NS6detail17trampoline_kernelINS0_14default_configENS1_36segmented_radix_sort_config_selectorIalEEZNS1_25segmented_radix_sort_implIS3_Lb1EPKaPaPKlPlN2at6native12_GLOBAL__N_18offset_tEEE10hipError_tPvRmT1_PNSt15iterator_traitsISK_E10value_typeET2_T3_PNSL_ISQ_E10value_typeET4_jRbjT5_SW_jjP12ihipStream_tbEUlT_E0_NS1_11comp_targetILNS1_3genE4ELNS1_11target_archE910ELNS1_3gpuE8ELNS1_3repE0EEENS1_60segmented_radix_sort_warp_sort_medium_config_static_selectorELNS0_4arch9wavefront6targetE0EEEvSK_
; %bb.0:
	.section	.rodata,"a",@progbits
	.p2align	6, 0x0
	.amdhsa_kernel _ZN7rocprim17ROCPRIM_400000_NS6detail17trampoline_kernelINS0_14default_configENS1_36segmented_radix_sort_config_selectorIalEEZNS1_25segmented_radix_sort_implIS3_Lb1EPKaPaPKlPlN2at6native12_GLOBAL__N_18offset_tEEE10hipError_tPvRmT1_PNSt15iterator_traitsISK_E10value_typeET2_T3_PNSL_ISQ_E10value_typeET4_jRbjT5_SW_jjP12ihipStream_tbEUlT_E0_NS1_11comp_targetILNS1_3genE4ELNS1_11target_archE910ELNS1_3gpuE8ELNS1_3repE0EEENS1_60segmented_radix_sort_warp_sort_medium_config_static_selectorELNS0_4arch9wavefront6targetE0EEEvSK_
		.amdhsa_group_segment_fixed_size 0
		.amdhsa_private_segment_fixed_size 0
		.amdhsa_kernarg_size 88
		.amdhsa_user_sgpr_count 15
		.amdhsa_user_sgpr_dispatch_ptr 0
		.amdhsa_user_sgpr_queue_ptr 0
		.amdhsa_user_sgpr_kernarg_segment_ptr 1
		.amdhsa_user_sgpr_dispatch_id 0
		.amdhsa_user_sgpr_private_segment_size 0
		.amdhsa_wavefront_size32 1
		.amdhsa_uses_dynamic_stack 0
		.amdhsa_enable_private_segment 0
		.amdhsa_system_sgpr_workgroup_id_x 1
		.amdhsa_system_sgpr_workgroup_id_y 0
		.amdhsa_system_sgpr_workgroup_id_z 0
		.amdhsa_system_sgpr_workgroup_info 0
		.amdhsa_system_vgpr_workitem_id 0
		.amdhsa_next_free_vgpr 1
		.amdhsa_next_free_sgpr 1
		.amdhsa_reserve_vcc 0
		.amdhsa_float_round_mode_32 0
		.amdhsa_float_round_mode_16_64 0
		.amdhsa_float_denorm_mode_32 3
		.amdhsa_float_denorm_mode_16_64 3
		.amdhsa_dx10_clamp 1
		.amdhsa_ieee_mode 1
		.amdhsa_fp16_overflow 0
		.amdhsa_workgroup_processor_mode 1
		.amdhsa_memory_ordered 1
		.amdhsa_forward_progress 0
		.amdhsa_shared_vgpr_count 0
		.amdhsa_exception_fp_ieee_invalid_op 0
		.amdhsa_exception_fp_denorm_src 0
		.amdhsa_exception_fp_ieee_div_zero 0
		.amdhsa_exception_fp_ieee_overflow 0
		.amdhsa_exception_fp_ieee_underflow 0
		.amdhsa_exception_fp_ieee_inexact 0
		.amdhsa_exception_int_div_zero 0
	.end_amdhsa_kernel
	.section	.text._ZN7rocprim17ROCPRIM_400000_NS6detail17trampoline_kernelINS0_14default_configENS1_36segmented_radix_sort_config_selectorIalEEZNS1_25segmented_radix_sort_implIS3_Lb1EPKaPaPKlPlN2at6native12_GLOBAL__N_18offset_tEEE10hipError_tPvRmT1_PNSt15iterator_traitsISK_E10value_typeET2_T3_PNSL_ISQ_E10value_typeET4_jRbjT5_SW_jjP12ihipStream_tbEUlT_E0_NS1_11comp_targetILNS1_3genE4ELNS1_11target_archE910ELNS1_3gpuE8ELNS1_3repE0EEENS1_60segmented_radix_sort_warp_sort_medium_config_static_selectorELNS0_4arch9wavefront6targetE0EEEvSK_,"axG",@progbits,_ZN7rocprim17ROCPRIM_400000_NS6detail17trampoline_kernelINS0_14default_configENS1_36segmented_radix_sort_config_selectorIalEEZNS1_25segmented_radix_sort_implIS3_Lb1EPKaPaPKlPlN2at6native12_GLOBAL__N_18offset_tEEE10hipError_tPvRmT1_PNSt15iterator_traitsISK_E10value_typeET2_T3_PNSL_ISQ_E10value_typeET4_jRbjT5_SW_jjP12ihipStream_tbEUlT_E0_NS1_11comp_targetILNS1_3genE4ELNS1_11target_archE910ELNS1_3gpuE8ELNS1_3repE0EEENS1_60segmented_radix_sort_warp_sort_medium_config_static_selectorELNS0_4arch9wavefront6targetE0EEEvSK_,comdat
.Lfunc_end302:
	.size	_ZN7rocprim17ROCPRIM_400000_NS6detail17trampoline_kernelINS0_14default_configENS1_36segmented_radix_sort_config_selectorIalEEZNS1_25segmented_radix_sort_implIS3_Lb1EPKaPaPKlPlN2at6native12_GLOBAL__N_18offset_tEEE10hipError_tPvRmT1_PNSt15iterator_traitsISK_E10value_typeET2_T3_PNSL_ISQ_E10value_typeET4_jRbjT5_SW_jjP12ihipStream_tbEUlT_E0_NS1_11comp_targetILNS1_3genE4ELNS1_11target_archE910ELNS1_3gpuE8ELNS1_3repE0EEENS1_60segmented_radix_sort_warp_sort_medium_config_static_selectorELNS0_4arch9wavefront6targetE0EEEvSK_, .Lfunc_end302-_ZN7rocprim17ROCPRIM_400000_NS6detail17trampoline_kernelINS0_14default_configENS1_36segmented_radix_sort_config_selectorIalEEZNS1_25segmented_radix_sort_implIS3_Lb1EPKaPaPKlPlN2at6native12_GLOBAL__N_18offset_tEEE10hipError_tPvRmT1_PNSt15iterator_traitsISK_E10value_typeET2_T3_PNSL_ISQ_E10value_typeET4_jRbjT5_SW_jjP12ihipStream_tbEUlT_E0_NS1_11comp_targetILNS1_3genE4ELNS1_11target_archE910ELNS1_3gpuE8ELNS1_3repE0EEENS1_60segmented_radix_sort_warp_sort_medium_config_static_selectorELNS0_4arch9wavefront6targetE0EEEvSK_
                                        ; -- End function
	.section	.AMDGPU.csdata,"",@progbits
; Kernel info:
; codeLenInByte = 0
; NumSgprs: 0
; NumVgprs: 0
; ScratchSize: 0
; MemoryBound: 0
; FloatMode: 240
; IeeeMode: 1
; LDSByteSize: 0 bytes/workgroup (compile time only)
; SGPRBlocks: 0
; VGPRBlocks: 0
; NumSGPRsForWavesPerEU: 1
; NumVGPRsForWavesPerEU: 1
; Occupancy: 16
; WaveLimiterHint : 0
; COMPUTE_PGM_RSRC2:SCRATCH_EN: 0
; COMPUTE_PGM_RSRC2:USER_SGPR: 15
; COMPUTE_PGM_RSRC2:TRAP_HANDLER: 0
; COMPUTE_PGM_RSRC2:TGID_X_EN: 1
; COMPUTE_PGM_RSRC2:TGID_Y_EN: 0
; COMPUTE_PGM_RSRC2:TGID_Z_EN: 0
; COMPUTE_PGM_RSRC2:TIDIG_COMP_CNT: 0
	.section	.text._ZN7rocprim17ROCPRIM_400000_NS6detail17trampoline_kernelINS0_14default_configENS1_36segmented_radix_sort_config_selectorIalEEZNS1_25segmented_radix_sort_implIS3_Lb1EPKaPaPKlPlN2at6native12_GLOBAL__N_18offset_tEEE10hipError_tPvRmT1_PNSt15iterator_traitsISK_E10value_typeET2_T3_PNSL_ISQ_E10value_typeET4_jRbjT5_SW_jjP12ihipStream_tbEUlT_E0_NS1_11comp_targetILNS1_3genE3ELNS1_11target_archE908ELNS1_3gpuE7ELNS1_3repE0EEENS1_60segmented_radix_sort_warp_sort_medium_config_static_selectorELNS0_4arch9wavefront6targetE0EEEvSK_,"axG",@progbits,_ZN7rocprim17ROCPRIM_400000_NS6detail17trampoline_kernelINS0_14default_configENS1_36segmented_radix_sort_config_selectorIalEEZNS1_25segmented_radix_sort_implIS3_Lb1EPKaPaPKlPlN2at6native12_GLOBAL__N_18offset_tEEE10hipError_tPvRmT1_PNSt15iterator_traitsISK_E10value_typeET2_T3_PNSL_ISQ_E10value_typeET4_jRbjT5_SW_jjP12ihipStream_tbEUlT_E0_NS1_11comp_targetILNS1_3genE3ELNS1_11target_archE908ELNS1_3gpuE7ELNS1_3repE0EEENS1_60segmented_radix_sort_warp_sort_medium_config_static_selectorELNS0_4arch9wavefront6targetE0EEEvSK_,comdat
	.globl	_ZN7rocprim17ROCPRIM_400000_NS6detail17trampoline_kernelINS0_14default_configENS1_36segmented_radix_sort_config_selectorIalEEZNS1_25segmented_radix_sort_implIS3_Lb1EPKaPaPKlPlN2at6native12_GLOBAL__N_18offset_tEEE10hipError_tPvRmT1_PNSt15iterator_traitsISK_E10value_typeET2_T3_PNSL_ISQ_E10value_typeET4_jRbjT5_SW_jjP12ihipStream_tbEUlT_E0_NS1_11comp_targetILNS1_3genE3ELNS1_11target_archE908ELNS1_3gpuE7ELNS1_3repE0EEENS1_60segmented_radix_sort_warp_sort_medium_config_static_selectorELNS0_4arch9wavefront6targetE0EEEvSK_ ; -- Begin function _ZN7rocprim17ROCPRIM_400000_NS6detail17trampoline_kernelINS0_14default_configENS1_36segmented_radix_sort_config_selectorIalEEZNS1_25segmented_radix_sort_implIS3_Lb1EPKaPaPKlPlN2at6native12_GLOBAL__N_18offset_tEEE10hipError_tPvRmT1_PNSt15iterator_traitsISK_E10value_typeET2_T3_PNSL_ISQ_E10value_typeET4_jRbjT5_SW_jjP12ihipStream_tbEUlT_E0_NS1_11comp_targetILNS1_3genE3ELNS1_11target_archE908ELNS1_3gpuE7ELNS1_3repE0EEENS1_60segmented_radix_sort_warp_sort_medium_config_static_selectorELNS0_4arch9wavefront6targetE0EEEvSK_
	.p2align	8
	.type	_ZN7rocprim17ROCPRIM_400000_NS6detail17trampoline_kernelINS0_14default_configENS1_36segmented_radix_sort_config_selectorIalEEZNS1_25segmented_radix_sort_implIS3_Lb1EPKaPaPKlPlN2at6native12_GLOBAL__N_18offset_tEEE10hipError_tPvRmT1_PNSt15iterator_traitsISK_E10value_typeET2_T3_PNSL_ISQ_E10value_typeET4_jRbjT5_SW_jjP12ihipStream_tbEUlT_E0_NS1_11comp_targetILNS1_3genE3ELNS1_11target_archE908ELNS1_3gpuE7ELNS1_3repE0EEENS1_60segmented_radix_sort_warp_sort_medium_config_static_selectorELNS0_4arch9wavefront6targetE0EEEvSK_,@function
_ZN7rocprim17ROCPRIM_400000_NS6detail17trampoline_kernelINS0_14default_configENS1_36segmented_radix_sort_config_selectorIalEEZNS1_25segmented_radix_sort_implIS3_Lb1EPKaPaPKlPlN2at6native12_GLOBAL__N_18offset_tEEE10hipError_tPvRmT1_PNSt15iterator_traitsISK_E10value_typeET2_T3_PNSL_ISQ_E10value_typeET4_jRbjT5_SW_jjP12ihipStream_tbEUlT_E0_NS1_11comp_targetILNS1_3genE3ELNS1_11target_archE908ELNS1_3gpuE7ELNS1_3repE0EEENS1_60segmented_radix_sort_warp_sort_medium_config_static_selectorELNS0_4arch9wavefront6targetE0EEEvSK_: ; @_ZN7rocprim17ROCPRIM_400000_NS6detail17trampoline_kernelINS0_14default_configENS1_36segmented_radix_sort_config_selectorIalEEZNS1_25segmented_radix_sort_implIS3_Lb1EPKaPaPKlPlN2at6native12_GLOBAL__N_18offset_tEEE10hipError_tPvRmT1_PNSt15iterator_traitsISK_E10value_typeET2_T3_PNSL_ISQ_E10value_typeET4_jRbjT5_SW_jjP12ihipStream_tbEUlT_E0_NS1_11comp_targetILNS1_3genE3ELNS1_11target_archE908ELNS1_3gpuE7ELNS1_3repE0EEENS1_60segmented_radix_sort_warp_sort_medium_config_static_selectorELNS0_4arch9wavefront6targetE0EEEvSK_
; %bb.0:
	.section	.rodata,"a",@progbits
	.p2align	6, 0x0
	.amdhsa_kernel _ZN7rocprim17ROCPRIM_400000_NS6detail17trampoline_kernelINS0_14default_configENS1_36segmented_radix_sort_config_selectorIalEEZNS1_25segmented_radix_sort_implIS3_Lb1EPKaPaPKlPlN2at6native12_GLOBAL__N_18offset_tEEE10hipError_tPvRmT1_PNSt15iterator_traitsISK_E10value_typeET2_T3_PNSL_ISQ_E10value_typeET4_jRbjT5_SW_jjP12ihipStream_tbEUlT_E0_NS1_11comp_targetILNS1_3genE3ELNS1_11target_archE908ELNS1_3gpuE7ELNS1_3repE0EEENS1_60segmented_radix_sort_warp_sort_medium_config_static_selectorELNS0_4arch9wavefront6targetE0EEEvSK_
		.amdhsa_group_segment_fixed_size 0
		.amdhsa_private_segment_fixed_size 0
		.amdhsa_kernarg_size 88
		.amdhsa_user_sgpr_count 15
		.amdhsa_user_sgpr_dispatch_ptr 0
		.amdhsa_user_sgpr_queue_ptr 0
		.amdhsa_user_sgpr_kernarg_segment_ptr 1
		.amdhsa_user_sgpr_dispatch_id 0
		.amdhsa_user_sgpr_private_segment_size 0
		.amdhsa_wavefront_size32 1
		.amdhsa_uses_dynamic_stack 0
		.amdhsa_enable_private_segment 0
		.amdhsa_system_sgpr_workgroup_id_x 1
		.amdhsa_system_sgpr_workgroup_id_y 0
		.amdhsa_system_sgpr_workgroup_id_z 0
		.amdhsa_system_sgpr_workgroup_info 0
		.amdhsa_system_vgpr_workitem_id 0
		.amdhsa_next_free_vgpr 1
		.amdhsa_next_free_sgpr 1
		.amdhsa_reserve_vcc 0
		.amdhsa_float_round_mode_32 0
		.amdhsa_float_round_mode_16_64 0
		.amdhsa_float_denorm_mode_32 3
		.amdhsa_float_denorm_mode_16_64 3
		.amdhsa_dx10_clamp 1
		.amdhsa_ieee_mode 1
		.amdhsa_fp16_overflow 0
		.amdhsa_workgroup_processor_mode 1
		.amdhsa_memory_ordered 1
		.amdhsa_forward_progress 0
		.amdhsa_shared_vgpr_count 0
		.amdhsa_exception_fp_ieee_invalid_op 0
		.amdhsa_exception_fp_denorm_src 0
		.amdhsa_exception_fp_ieee_div_zero 0
		.amdhsa_exception_fp_ieee_overflow 0
		.amdhsa_exception_fp_ieee_underflow 0
		.amdhsa_exception_fp_ieee_inexact 0
		.amdhsa_exception_int_div_zero 0
	.end_amdhsa_kernel
	.section	.text._ZN7rocprim17ROCPRIM_400000_NS6detail17trampoline_kernelINS0_14default_configENS1_36segmented_radix_sort_config_selectorIalEEZNS1_25segmented_radix_sort_implIS3_Lb1EPKaPaPKlPlN2at6native12_GLOBAL__N_18offset_tEEE10hipError_tPvRmT1_PNSt15iterator_traitsISK_E10value_typeET2_T3_PNSL_ISQ_E10value_typeET4_jRbjT5_SW_jjP12ihipStream_tbEUlT_E0_NS1_11comp_targetILNS1_3genE3ELNS1_11target_archE908ELNS1_3gpuE7ELNS1_3repE0EEENS1_60segmented_radix_sort_warp_sort_medium_config_static_selectorELNS0_4arch9wavefront6targetE0EEEvSK_,"axG",@progbits,_ZN7rocprim17ROCPRIM_400000_NS6detail17trampoline_kernelINS0_14default_configENS1_36segmented_radix_sort_config_selectorIalEEZNS1_25segmented_radix_sort_implIS3_Lb1EPKaPaPKlPlN2at6native12_GLOBAL__N_18offset_tEEE10hipError_tPvRmT1_PNSt15iterator_traitsISK_E10value_typeET2_T3_PNSL_ISQ_E10value_typeET4_jRbjT5_SW_jjP12ihipStream_tbEUlT_E0_NS1_11comp_targetILNS1_3genE3ELNS1_11target_archE908ELNS1_3gpuE7ELNS1_3repE0EEENS1_60segmented_radix_sort_warp_sort_medium_config_static_selectorELNS0_4arch9wavefront6targetE0EEEvSK_,comdat
.Lfunc_end303:
	.size	_ZN7rocprim17ROCPRIM_400000_NS6detail17trampoline_kernelINS0_14default_configENS1_36segmented_radix_sort_config_selectorIalEEZNS1_25segmented_radix_sort_implIS3_Lb1EPKaPaPKlPlN2at6native12_GLOBAL__N_18offset_tEEE10hipError_tPvRmT1_PNSt15iterator_traitsISK_E10value_typeET2_T3_PNSL_ISQ_E10value_typeET4_jRbjT5_SW_jjP12ihipStream_tbEUlT_E0_NS1_11comp_targetILNS1_3genE3ELNS1_11target_archE908ELNS1_3gpuE7ELNS1_3repE0EEENS1_60segmented_radix_sort_warp_sort_medium_config_static_selectorELNS0_4arch9wavefront6targetE0EEEvSK_, .Lfunc_end303-_ZN7rocprim17ROCPRIM_400000_NS6detail17trampoline_kernelINS0_14default_configENS1_36segmented_radix_sort_config_selectorIalEEZNS1_25segmented_radix_sort_implIS3_Lb1EPKaPaPKlPlN2at6native12_GLOBAL__N_18offset_tEEE10hipError_tPvRmT1_PNSt15iterator_traitsISK_E10value_typeET2_T3_PNSL_ISQ_E10value_typeET4_jRbjT5_SW_jjP12ihipStream_tbEUlT_E0_NS1_11comp_targetILNS1_3genE3ELNS1_11target_archE908ELNS1_3gpuE7ELNS1_3repE0EEENS1_60segmented_radix_sort_warp_sort_medium_config_static_selectorELNS0_4arch9wavefront6targetE0EEEvSK_
                                        ; -- End function
	.section	.AMDGPU.csdata,"",@progbits
; Kernel info:
; codeLenInByte = 0
; NumSgprs: 0
; NumVgprs: 0
; ScratchSize: 0
; MemoryBound: 0
; FloatMode: 240
; IeeeMode: 1
; LDSByteSize: 0 bytes/workgroup (compile time only)
; SGPRBlocks: 0
; VGPRBlocks: 0
; NumSGPRsForWavesPerEU: 1
; NumVGPRsForWavesPerEU: 1
; Occupancy: 16
; WaveLimiterHint : 0
; COMPUTE_PGM_RSRC2:SCRATCH_EN: 0
; COMPUTE_PGM_RSRC2:USER_SGPR: 15
; COMPUTE_PGM_RSRC2:TRAP_HANDLER: 0
; COMPUTE_PGM_RSRC2:TGID_X_EN: 1
; COMPUTE_PGM_RSRC2:TGID_Y_EN: 0
; COMPUTE_PGM_RSRC2:TGID_Z_EN: 0
; COMPUTE_PGM_RSRC2:TIDIG_COMP_CNT: 0
	.section	.text._ZN7rocprim17ROCPRIM_400000_NS6detail17trampoline_kernelINS0_14default_configENS1_36segmented_radix_sort_config_selectorIalEEZNS1_25segmented_radix_sort_implIS3_Lb1EPKaPaPKlPlN2at6native12_GLOBAL__N_18offset_tEEE10hipError_tPvRmT1_PNSt15iterator_traitsISK_E10value_typeET2_T3_PNSL_ISQ_E10value_typeET4_jRbjT5_SW_jjP12ihipStream_tbEUlT_E0_NS1_11comp_targetILNS1_3genE2ELNS1_11target_archE906ELNS1_3gpuE6ELNS1_3repE0EEENS1_60segmented_radix_sort_warp_sort_medium_config_static_selectorELNS0_4arch9wavefront6targetE0EEEvSK_,"axG",@progbits,_ZN7rocprim17ROCPRIM_400000_NS6detail17trampoline_kernelINS0_14default_configENS1_36segmented_radix_sort_config_selectorIalEEZNS1_25segmented_radix_sort_implIS3_Lb1EPKaPaPKlPlN2at6native12_GLOBAL__N_18offset_tEEE10hipError_tPvRmT1_PNSt15iterator_traitsISK_E10value_typeET2_T3_PNSL_ISQ_E10value_typeET4_jRbjT5_SW_jjP12ihipStream_tbEUlT_E0_NS1_11comp_targetILNS1_3genE2ELNS1_11target_archE906ELNS1_3gpuE6ELNS1_3repE0EEENS1_60segmented_radix_sort_warp_sort_medium_config_static_selectorELNS0_4arch9wavefront6targetE0EEEvSK_,comdat
	.globl	_ZN7rocprim17ROCPRIM_400000_NS6detail17trampoline_kernelINS0_14default_configENS1_36segmented_radix_sort_config_selectorIalEEZNS1_25segmented_radix_sort_implIS3_Lb1EPKaPaPKlPlN2at6native12_GLOBAL__N_18offset_tEEE10hipError_tPvRmT1_PNSt15iterator_traitsISK_E10value_typeET2_T3_PNSL_ISQ_E10value_typeET4_jRbjT5_SW_jjP12ihipStream_tbEUlT_E0_NS1_11comp_targetILNS1_3genE2ELNS1_11target_archE906ELNS1_3gpuE6ELNS1_3repE0EEENS1_60segmented_radix_sort_warp_sort_medium_config_static_selectorELNS0_4arch9wavefront6targetE0EEEvSK_ ; -- Begin function _ZN7rocprim17ROCPRIM_400000_NS6detail17trampoline_kernelINS0_14default_configENS1_36segmented_radix_sort_config_selectorIalEEZNS1_25segmented_radix_sort_implIS3_Lb1EPKaPaPKlPlN2at6native12_GLOBAL__N_18offset_tEEE10hipError_tPvRmT1_PNSt15iterator_traitsISK_E10value_typeET2_T3_PNSL_ISQ_E10value_typeET4_jRbjT5_SW_jjP12ihipStream_tbEUlT_E0_NS1_11comp_targetILNS1_3genE2ELNS1_11target_archE906ELNS1_3gpuE6ELNS1_3repE0EEENS1_60segmented_radix_sort_warp_sort_medium_config_static_selectorELNS0_4arch9wavefront6targetE0EEEvSK_
	.p2align	8
	.type	_ZN7rocprim17ROCPRIM_400000_NS6detail17trampoline_kernelINS0_14default_configENS1_36segmented_radix_sort_config_selectorIalEEZNS1_25segmented_radix_sort_implIS3_Lb1EPKaPaPKlPlN2at6native12_GLOBAL__N_18offset_tEEE10hipError_tPvRmT1_PNSt15iterator_traitsISK_E10value_typeET2_T3_PNSL_ISQ_E10value_typeET4_jRbjT5_SW_jjP12ihipStream_tbEUlT_E0_NS1_11comp_targetILNS1_3genE2ELNS1_11target_archE906ELNS1_3gpuE6ELNS1_3repE0EEENS1_60segmented_radix_sort_warp_sort_medium_config_static_selectorELNS0_4arch9wavefront6targetE0EEEvSK_,@function
_ZN7rocprim17ROCPRIM_400000_NS6detail17trampoline_kernelINS0_14default_configENS1_36segmented_radix_sort_config_selectorIalEEZNS1_25segmented_radix_sort_implIS3_Lb1EPKaPaPKlPlN2at6native12_GLOBAL__N_18offset_tEEE10hipError_tPvRmT1_PNSt15iterator_traitsISK_E10value_typeET2_T3_PNSL_ISQ_E10value_typeET4_jRbjT5_SW_jjP12ihipStream_tbEUlT_E0_NS1_11comp_targetILNS1_3genE2ELNS1_11target_archE906ELNS1_3gpuE6ELNS1_3repE0EEENS1_60segmented_radix_sort_warp_sort_medium_config_static_selectorELNS0_4arch9wavefront6targetE0EEEvSK_: ; @_ZN7rocprim17ROCPRIM_400000_NS6detail17trampoline_kernelINS0_14default_configENS1_36segmented_radix_sort_config_selectorIalEEZNS1_25segmented_radix_sort_implIS3_Lb1EPKaPaPKlPlN2at6native12_GLOBAL__N_18offset_tEEE10hipError_tPvRmT1_PNSt15iterator_traitsISK_E10value_typeET2_T3_PNSL_ISQ_E10value_typeET4_jRbjT5_SW_jjP12ihipStream_tbEUlT_E0_NS1_11comp_targetILNS1_3genE2ELNS1_11target_archE906ELNS1_3gpuE6ELNS1_3repE0EEENS1_60segmented_radix_sort_warp_sort_medium_config_static_selectorELNS0_4arch9wavefront6targetE0EEEvSK_
; %bb.0:
	.section	.rodata,"a",@progbits
	.p2align	6, 0x0
	.amdhsa_kernel _ZN7rocprim17ROCPRIM_400000_NS6detail17trampoline_kernelINS0_14default_configENS1_36segmented_radix_sort_config_selectorIalEEZNS1_25segmented_radix_sort_implIS3_Lb1EPKaPaPKlPlN2at6native12_GLOBAL__N_18offset_tEEE10hipError_tPvRmT1_PNSt15iterator_traitsISK_E10value_typeET2_T3_PNSL_ISQ_E10value_typeET4_jRbjT5_SW_jjP12ihipStream_tbEUlT_E0_NS1_11comp_targetILNS1_3genE2ELNS1_11target_archE906ELNS1_3gpuE6ELNS1_3repE0EEENS1_60segmented_radix_sort_warp_sort_medium_config_static_selectorELNS0_4arch9wavefront6targetE0EEEvSK_
		.amdhsa_group_segment_fixed_size 0
		.amdhsa_private_segment_fixed_size 0
		.amdhsa_kernarg_size 88
		.amdhsa_user_sgpr_count 15
		.amdhsa_user_sgpr_dispatch_ptr 0
		.amdhsa_user_sgpr_queue_ptr 0
		.amdhsa_user_sgpr_kernarg_segment_ptr 1
		.amdhsa_user_sgpr_dispatch_id 0
		.amdhsa_user_sgpr_private_segment_size 0
		.amdhsa_wavefront_size32 1
		.amdhsa_uses_dynamic_stack 0
		.amdhsa_enable_private_segment 0
		.amdhsa_system_sgpr_workgroup_id_x 1
		.amdhsa_system_sgpr_workgroup_id_y 0
		.amdhsa_system_sgpr_workgroup_id_z 0
		.amdhsa_system_sgpr_workgroup_info 0
		.amdhsa_system_vgpr_workitem_id 0
		.amdhsa_next_free_vgpr 1
		.amdhsa_next_free_sgpr 1
		.amdhsa_reserve_vcc 0
		.amdhsa_float_round_mode_32 0
		.amdhsa_float_round_mode_16_64 0
		.amdhsa_float_denorm_mode_32 3
		.amdhsa_float_denorm_mode_16_64 3
		.amdhsa_dx10_clamp 1
		.amdhsa_ieee_mode 1
		.amdhsa_fp16_overflow 0
		.amdhsa_workgroup_processor_mode 1
		.amdhsa_memory_ordered 1
		.amdhsa_forward_progress 0
		.amdhsa_shared_vgpr_count 0
		.amdhsa_exception_fp_ieee_invalid_op 0
		.amdhsa_exception_fp_denorm_src 0
		.amdhsa_exception_fp_ieee_div_zero 0
		.amdhsa_exception_fp_ieee_overflow 0
		.amdhsa_exception_fp_ieee_underflow 0
		.amdhsa_exception_fp_ieee_inexact 0
		.amdhsa_exception_int_div_zero 0
	.end_amdhsa_kernel
	.section	.text._ZN7rocprim17ROCPRIM_400000_NS6detail17trampoline_kernelINS0_14default_configENS1_36segmented_radix_sort_config_selectorIalEEZNS1_25segmented_radix_sort_implIS3_Lb1EPKaPaPKlPlN2at6native12_GLOBAL__N_18offset_tEEE10hipError_tPvRmT1_PNSt15iterator_traitsISK_E10value_typeET2_T3_PNSL_ISQ_E10value_typeET4_jRbjT5_SW_jjP12ihipStream_tbEUlT_E0_NS1_11comp_targetILNS1_3genE2ELNS1_11target_archE906ELNS1_3gpuE6ELNS1_3repE0EEENS1_60segmented_radix_sort_warp_sort_medium_config_static_selectorELNS0_4arch9wavefront6targetE0EEEvSK_,"axG",@progbits,_ZN7rocprim17ROCPRIM_400000_NS6detail17trampoline_kernelINS0_14default_configENS1_36segmented_radix_sort_config_selectorIalEEZNS1_25segmented_radix_sort_implIS3_Lb1EPKaPaPKlPlN2at6native12_GLOBAL__N_18offset_tEEE10hipError_tPvRmT1_PNSt15iterator_traitsISK_E10value_typeET2_T3_PNSL_ISQ_E10value_typeET4_jRbjT5_SW_jjP12ihipStream_tbEUlT_E0_NS1_11comp_targetILNS1_3genE2ELNS1_11target_archE906ELNS1_3gpuE6ELNS1_3repE0EEENS1_60segmented_radix_sort_warp_sort_medium_config_static_selectorELNS0_4arch9wavefront6targetE0EEEvSK_,comdat
.Lfunc_end304:
	.size	_ZN7rocprim17ROCPRIM_400000_NS6detail17trampoline_kernelINS0_14default_configENS1_36segmented_radix_sort_config_selectorIalEEZNS1_25segmented_radix_sort_implIS3_Lb1EPKaPaPKlPlN2at6native12_GLOBAL__N_18offset_tEEE10hipError_tPvRmT1_PNSt15iterator_traitsISK_E10value_typeET2_T3_PNSL_ISQ_E10value_typeET4_jRbjT5_SW_jjP12ihipStream_tbEUlT_E0_NS1_11comp_targetILNS1_3genE2ELNS1_11target_archE906ELNS1_3gpuE6ELNS1_3repE0EEENS1_60segmented_radix_sort_warp_sort_medium_config_static_selectorELNS0_4arch9wavefront6targetE0EEEvSK_, .Lfunc_end304-_ZN7rocprim17ROCPRIM_400000_NS6detail17trampoline_kernelINS0_14default_configENS1_36segmented_radix_sort_config_selectorIalEEZNS1_25segmented_radix_sort_implIS3_Lb1EPKaPaPKlPlN2at6native12_GLOBAL__N_18offset_tEEE10hipError_tPvRmT1_PNSt15iterator_traitsISK_E10value_typeET2_T3_PNSL_ISQ_E10value_typeET4_jRbjT5_SW_jjP12ihipStream_tbEUlT_E0_NS1_11comp_targetILNS1_3genE2ELNS1_11target_archE906ELNS1_3gpuE6ELNS1_3repE0EEENS1_60segmented_radix_sort_warp_sort_medium_config_static_selectorELNS0_4arch9wavefront6targetE0EEEvSK_
                                        ; -- End function
	.section	.AMDGPU.csdata,"",@progbits
; Kernel info:
; codeLenInByte = 0
; NumSgprs: 0
; NumVgprs: 0
; ScratchSize: 0
; MemoryBound: 0
; FloatMode: 240
; IeeeMode: 1
; LDSByteSize: 0 bytes/workgroup (compile time only)
; SGPRBlocks: 0
; VGPRBlocks: 0
; NumSGPRsForWavesPerEU: 1
; NumVGPRsForWavesPerEU: 1
; Occupancy: 16
; WaveLimiterHint : 0
; COMPUTE_PGM_RSRC2:SCRATCH_EN: 0
; COMPUTE_PGM_RSRC2:USER_SGPR: 15
; COMPUTE_PGM_RSRC2:TRAP_HANDLER: 0
; COMPUTE_PGM_RSRC2:TGID_X_EN: 1
; COMPUTE_PGM_RSRC2:TGID_Y_EN: 0
; COMPUTE_PGM_RSRC2:TGID_Z_EN: 0
; COMPUTE_PGM_RSRC2:TIDIG_COMP_CNT: 0
	.section	.text._ZN7rocprim17ROCPRIM_400000_NS6detail17trampoline_kernelINS0_14default_configENS1_36segmented_radix_sort_config_selectorIalEEZNS1_25segmented_radix_sort_implIS3_Lb1EPKaPaPKlPlN2at6native12_GLOBAL__N_18offset_tEEE10hipError_tPvRmT1_PNSt15iterator_traitsISK_E10value_typeET2_T3_PNSL_ISQ_E10value_typeET4_jRbjT5_SW_jjP12ihipStream_tbEUlT_E0_NS1_11comp_targetILNS1_3genE10ELNS1_11target_archE1201ELNS1_3gpuE5ELNS1_3repE0EEENS1_60segmented_radix_sort_warp_sort_medium_config_static_selectorELNS0_4arch9wavefront6targetE0EEEvSK_,"axG",@progbits,_ZN7rocprim17ROCPRIM_400000_NS6detail17trampoline_kernelINS0_14default_configENS1_36segmented_radix_sort_config_selectorIalEEZNS1_25segmented_radix_sort_implIS3_Lb1EPKaPaPKlPlN2at6native12_GLOBAL__N_18offset_tEEE10hipError_tPvRmT1_PNSt15iterator_traitsISK_E10value_typeET2_T3_PNSL_ISQ_E10value_typeET4_jRbjT5_SW_jjP12ihipStream_tbEUlT_E0_NS1_11comp_targetILNS1_3genE10ELNS1_11target_archE1201ELNS1_3gpuE5ELNS1_3repE0EEENS1_60segmented_radix_sort_warp_sort_medium_config_static_selectorELNS0_4arch9wavefront6targetE0EEEvSK_,comdat
	.globl	_ZN7rocprim17ROCPRIM_400000_NS6detail17trampoline_kernelINS0_14default_configENS1_36segmented_radix_sort_config_selectorIalEEZNS1_25segmented_radix_sort_implIS3_Lb1EPKaPaPKlPlN2at6native12_GLOBAL__N_18offset_tEEE10hipError_tPvRmT1_PNSt15iterator_traitsISK_E10value_typeET2_T3_PNSL_ISQ_E10value_typeET4_jRbjT5_SW_jjP12ihipStream_tbEUlT_E0_NS1_11comp_targetILNS1_3genE10ELNS1_11target_archE1201ELNS1_3gpuE5ELNS1_3repE0EEENS1_60segmented_radix_sort_warp_sort_medium_config_static_selectorELNS0_4arch9wavefront6targetE0EEEvSK_ ; -- Begin function _ZN7rocprim17ROCPRIM_400000_NS6detail17trampoline_kernelINS0_14default_configENS1_36segmented_radix_sort_config_selectorIalEEZNS1_25segmented_radix_sort_implIS3_Lb1EPKaPaPKlPlN2at6native12_GLOBAL__N_18offset_tEEE10hipError_tPvRmT1_PNSt15iterator_traitsISK_E10value_typeET2_T3_PNSL_ISQ_E10value_typeET4_jRbjT5_SW_jjP12ihipStream_tbEUlT_E0_NS1_11comp_targetILNS1_3genE10ELNS1_11target_archE1201ELNS1_3gpuE5ELNS1_3repE0EEENS1_60segmented_radix_sort_warp_sort_medium_config_static_selectorELNS0_4arch9wavefront6targetE0EEEvSK_
	.p2align	8
	.type	_ZN7rocprim17ROCPRIM_400000_NS6detail17trampoline_kernelINS0_14default_configENS1_36segmented_radix_sort_config_selectorIalEEZNS1_25segmented_radix_sort_implIS3_Lb1EPKaPaPKlPlN2at6native12_GLOBAL__N_18offset_tEEE10hipError_tPvRmT1_PNSt15iterator_traitsISK_E10value_typeET2_T3_PNSL_ISQ_E10value_typeET4_jRbjT5_SW_jjP12ihipStream_tbEUlT_E0_NS1_11comp_targetILNS1_3genE10ELNS1_11target_archE1201ELNS1_3gpuE5ELNS1_3repE0EEENS1_60segmented_radix_sort_warp_sort_medium_config_static_selectorELNS0_4arch9wavefront6targetE0EEEvSK_,@function
_ZN7rocprim17ROCPRIM_400000_NS6detail17trampoline_kernelINS0_14default_configENS1_36segmented_radix_sort_config_selectorIalEEZNS1_25segmented_radix_sort_implIS3_Lb1EPKaPaPKlPlN2at6native12_GLOBAL__N_18offset_tEEE10hipError_tPvRmT1_PNSt15iterator_traitsISK_E10value_typeET2_T3_PNSL_ISQ_E10value_typeET4_jRbjT5_SW_jjP12ihipStream_tbEUlT_E0_NS1_11comp_targetILNS1_3genE10ELNS1_11target_archE1201ELNS1_3gpuE5ELNS1_3repE0EEENS1_60segmented_radix_sort_warp_sort_medium_config_static_selectorELNS0_4arch9wavefront6targetE0EEEvSK_: ; @_ZN7rocprim17ROCPRIM_400000_NS6detail17trampoline_kernelINS0_14default_configENS1_36segmented_radix_sort_config_selectorIalEEZNS1_25segmented_radix_sort_implIS3_Lb1EPKaPaPKlPlN2at6native12_GLOBAL__N_18offset_tEEE10hipError_tPvRmT1_PNSt15iterator_traitsISK_E10value_typeET2_T3_PNSL_ISQ_E10value_typeET4_jRbjT5_SW_jjP12ihipStream_tbEUlT_E0_NS1_11comp_targetILNS1_3genE10ELNS1_11target_archE1201ELNS1_3gpuE5ELNS1_3repE0EEENS1_60segmented_radix_sort_warp_sort_medium_config_static_selectorELNS0_4arch9wavefront6targetE0EEEvSK_
; %bb.0:
	.section	.rodata,"a",@progbits
	.p2align	6, 0x0
	.amdhsa_kernel _ZN7rocprim17ROCPRIM_400000_NS6detail17trampoline_kernelINS0_14default_configENS1_36segmented_radix_sort_config_selectorIalEEZNS1_25segmented_radix_sort_implIS3_Lb1EPKaPaPKlPlN2at6native12_GLOBAL__N_18offset_tEEE10hipError_tPvRmT1_PNSt15iterator_traitsISK_E10value_typeET2_T3_PNSL_ISQ_E10value_typeET4_jRbjT5_SW_jjP12ihipStream_tbEUlT_E0_NS1_11comp_targetILNS1_3genE10ELNS1_11target_archE1201ELNS1_3gpuE5ELNS1_3repE0EEENS1_60segmented_radix_sort_warp_sort_medium_config_static_selectorELNS0_4arch9wavefront6targetE0EEEvSK_
		.amdhsa_group_segment_fixed_size 0
		.amdhsa_private_segment_fixed_size 0
		.amdhsa_kernarg_size 88
		.amdhsa_user_sgpr_count 15
		.amdhsa_user_sgpr_dispatch_ptr 0
		.amdhsa_user_sgpr_queue_ptr 0
		.amdhsa_user_sgpr_kernarg_segment_ptr 1
		.amdhsa_user_sgpr_dispatch_id 0
		.amdhsa_user_sgpr_private_segment_size 0
		.amdhsa_wavefront_size32 1
		.amdhsa_uses_dynamic_stack 0
		.amdhsa_enable_private_segment 0
		.amdhsa_system_sgpr_workgroup_id_x 1
		.amdhsa_system_sgpr_workgroup_id_y 0
		.amdhsa_system_sgpr_workgroup_id_z 0
		.amdhsa_system_sgpr_workgroup_info 0
		.amdhsa_system_vgpr_workitem_id 0
		.amdhsa_next_free_vgpr 1
		.amdhsa_next_free_sgpr 1
		.amdhsa_reserve_vcc 0
		.amdhsa_float_round_mode_32 0
		.amdhsa_float_round_mode_16_64 0
		.amdhsa_float_denorm_mode_32 3
		.amdhsa_float_denorm_mode_16_64 3
		.amdhsa_dx10_clamp 1
		.amdhsa_ieee_mode 1
		.amdhsa_fp16_overflow 0
		.amdhsa_workgroup_processor_mode 1
		.amdhsa_memory_ordered 1
		.amdhsa_forward_progress 0
		.amdhsa_shared_vgpr_count 0
		.amdhsa_exception_fp_ieee_invalid_op 0
		.amdhsa_exception_fp_denorm_src 0
		.amdhsa_exception_fp_ieee_div_zero 0
		.amdhsa_exception_fp_ieee_overflow 0
		.amdhsa_exception_fp_ieee_underflow 0
		.amdhsa_exception_fp_ieee_inexact 0
		.amdhsa_exception_int_div_zero 0
	.end_amdhsa_kernel
	.section	.text._ZN7rocprim17ROCPRIM_400000_NS6detail17trampoline_kernelINS0_14default_configENS1_36segmented_radix_sort_config_selectorIalEEZNS1_25segmented_radix_sort_implIS3_Lb1EPKaPaPKlPlN2at6native12_GLOBAL__N_18offset_tEEE10hipError_tPvRmT1_PNSt15iterator_traitsISK_E10value_typeET2_T3_PNSL_ISQ_E10value_typeET4_jRbjT5_SW_jjP12ihipStream_tbEUlT_E0_NS1_11comp_targetILNS1_3genE10ELNS1_11target_archE1201ELNS1_3gpuE5ELNS1_3repE0EEENS1_60segmented_radix_sort_warp_sort_medium_config_static_selectorELNS0_4arch9wavefront6targetE0EEEvSK_,"axG",@progbits,_ZN7rocprim17ROCPRIM_400000_NS6detail17trampoline_kernelINS0_14default_configENS1_36segmented_radix_sort_config_selectorIalEEZNS1_25segmented_radix_sort_implIS3_Lb1EPKaPaPKlPlN2at6native12_GLOBAL__N_18offset_tEEE10hipError_tPvRmT1_PNSt15iterator_traitsISK_E10value_typeET2_T3_PNSL_ISQ_E10value_typeET4_jRbjT5_SW_jjP12ihipStream_tbEUlT_E0_NS1_11comp_targetILNS1_3genE10ELNS1_11target_archE1201ELNS1_3gpuE5ELNS1_3repE0EEENS1_60segmented_radix_sort_warp_sort_medium_config_static_selectorELNS0_4arch9wavefront6targetE0EEEvSK_,comdat
.Lfunc_end305:
	.size	_ZN7rocprim17ROCPRIM_400000_NS6detail17trampoline_kernelINS0_14default_configENS1_36segmented_radix_sort_config_selectorIalEEZNS1_25segmented_radix_sort_implIS3_Lb1EPKaPaPKlPlN2at6native12_GLOBAL__N_18offset_tEEE10hipError_tPvRmT1_PNSt15iterator_traitsISK_E10value_typeET2_T3_PNSL_ISQ_E10value_typeET4_jRbjT5_SW_jjP12ihipStream_tbEUlT_E0_NS1_11comp_targetILNS1_3genE10ELNS1_11target_archE1201ELNS1_3gpuE5ELNS1_3repE0EEENS1_60segmented_radix_sort_warp_sort_medium_config_static_selectorELNS0_4arch9wavefront6targetE0EEEvSK_, .Lfunc_end305-_ZN7rocprim17ROCPRIM_400000_NS6detail17trampoline_kernelINS0_14default_configENS1_36segmented_radix_sort_config_selectorIalEEZNS1_25segmented_radix_sort_implIS3_Lb1EPKaPaPKlPlN2at6native12_GLOBAL__N_18offset_tEEE10hipError_tPvRmT1_PNSt15iterator_traitsISK_E10value_typeET2_T3_PNSL_ISQ_E10value_typeET4_jRbjT5_SW_jjP12ihipStream_tbEUlT_E0_NS1_11comp_targetILNS1_3genE10ELNS1_11target_archE1201ELNS1_3gpuE5ELNS1_3repE0EEENS1_60segmented_radix_sort_warp_sort_medium_config_static_selectorELNS0_4arch9wavefront6targetE0EEEvSK_
                                        ; -- End function
	.section	.AMDGPU.csdata,"",@progbits
; Kernel info:
; codeLenInByte = 0
; NumSgprs: 0
; NumVgprs: 0
; ScratchSize: 0
; MemoryBound: 0
; FloatMode: 240
; IeeeMode: 1
; LDSByteSize: 0 bytes/workgroup (compile time only)
; SGPRBlocks: 0
; VGPRBlocks: 0
; NumSGPRsForWavesPerEU: 1
; NumVGPRsForWavesPerEU: 1
; Occupancy: 16
; WaveLimiterHint : 0
; COMPUTE_PGM_RSRC2:SCRATCH_EN: 0
; COMPUTE_PGM_RSRC2:USER_SGPR: 15
; COMPUTE_PGM_RSRC2:TRAP_HANDLER: 0
; COMPUTE_PGM_RSRC2:TGID_X_EN: 1
; COMPUTE_PGM_RSRC2:TGID_Y_EN: 0
; COMPUTE_PGM_RSRC2:TGID_Z_EN: 0
; COMPUTE_PGM_RSRC2:TIDIG_COMP_CNT: 0
	.section	.text._ZN7rocprim17ROCPRIM_400000_NS6detail17trampoline_kernelINS0_14default_configENS1_36segmented_radix_sort_config_selectorIalEEZNS1_25segmented_radix_sort_implIS3_Lb1EPKaPaPKlPlN2at6native12_GLOBAL__N_18offset_tEEE10hipError_tPvRmT1_PNSt15iterator_traitsISK_E10value_typeET2_T3_PNSL_ISQ_E10value_typeET4_jRbjT5_SW_jjP12ihipStream_tbEUlT_E0_NS1_11comp_targetILNS1_3genE10ELNS1_11target_archE1200ELNS1_3gpuE4ELNS1_3repE0EEENS1_60segmented_radix_sort_warp_sort_medium_config_static_selectorELNS0_4arch9wavefront6targetE0EEEvSK_,"axG",@progbits,_ZN7rocprim17ROCPRIM_400000_NS6detail17trampoline_kernelINS0_14default_configENS1_36segmented_radix_sort_config_selectorIalEEZNS1_25segmented_radix_sort_implIS3_Lb1EPKaPaPKlPlN2at6native12_GLOBAL__N_18offset_tEEE10hipError_tPvRmT1_PNSt15iterator_traitsISK_E10value_typeET2_T3_PNSL_ISQ_E10value_typeET4_jRbjT5_SW_jjP12ihipStream_tbEUlT_E0_NS1_11comp_targetILNS1_3genE10ELNS1_11target_archE1200ELNS1_3gpuE4ELNS1_3repE0EEENS1_60segmented_radix_sort_warp_sort_medium_config_static_selectorELNS0_4arch9wavefront6targetE0EEEvSK_,comdat
	.globl	_ZN7rocprim17ROCPRIM_400000_NS6detail17trampoline_kernelINS0_14default_configENS1_36segmented_radix_sort_config_selectorIalEEZNS1_25segmented_radix_sort_implIS3_Lb1EPKaPaPKlPlN2at6native12_GLOBAL__N_18offset_tEEE10hipError_tPvRmT1_PNSt15iterator_traitsISK_E10value_typeET2_T3_PNSL_ISQ_E10value_typeET4_jRbjT5_SW_jjP12ihipStream_tbEUlT_E0_NS1_11comp_targetILNS1_3genE10ELNS1_11target_archE1200ELNS1_3gpuE4ELNS1_3repE0EEENS1_60segmented_radix_sort_warp_sort_medium_config_static_selectorELNS0_4arch9wavefront6targetE0EEEvSK_ ; -- Begin function _ZN7rocprim17ROCPRIM_400000_NS6detail17trampoline_kernelINS0_14default_configENS1_36segmented_radix_sort_config_selectorIalEEZNS1_25segmented_radix_sort_implIS3_Lb1EPKaPaPKlPlN2at6native12_GLOBAL__N_18offset_tEEE10hipError_tPvRmT1_PNSt15iterator_traitsISK_E10value_typeET2_T3_PNSL_ISQ_E10value_typeET4_jRbjT5_SW_jjP12ihipStream_tbEUlT_E0_NS1_11comp_targetILNS1_3genE10ELNS1_11target_archE1200ELNS1_3gpuE4ELNS1_3repE0EEENS1_60segmented_radix_sort_warp_sort_medium_config_static_selectorELNS0_4arch9wavefront6targetE0EEEvSK_
	.p2align	8
	.type	_ZN7rocprim17ROCPRIM_400000_NS6detail17trampoline_kernelINS0_14default_configENS1_36segmented_radix_sort_config_selectorIalEEZNS1_25segmented_radix_sort_implIS3_Lb1EPKaPaPKlPlN2at6native12_GLOBAL__N_18offset_tEEE10hipError_tPvRmT1_PNSt15iterator_traitsISK_E10value_typeET2_T3_PNSL_ISQ_E10value_typeET4_jRbjT5_SW_jjP12ihipStream_tbEUlT_E0_NS1_11comp_targetILNS1_3genE10ELNS1_11target_archE1200ELNS1_3gpuE4ELNS1_3repE0EEENS1_60segmented_radix_sort_warp_sort_medium_config_static_selectorELNS0_4arch9wavefront6targetE0EEEvSK_,@function
_ZN7rocprim17ROCPRIM_400000_NS6detail17trampoline_kernelINS0_14default_configENS1_36segmented_radix_sort_config_selectorIalEEZNS1_25segmented_radix_sort_implIS3_Lb1EPKaPaPKlPlN2at6native12_GLOBAL__N_18offset_tEEE10hipError_tPvRmT1_PNSt15iterator_traitsISK_E10value_typeET2_T3_PNSL_ISQ_E10value_typeET4_jRbjT5_SW_jjP12ihipStream_tbEUlT_E0_NS1_11comp_targetILNS1_3genE10ELNS1_11target_archE1200ELNS1_3gpuE4ELNS1_3repE0EEENS1_60segmented_radix_sort_warp_sort_medium_config_static_selectorELNS0_4arch9wavefront6targetE0EEEvSK_: ; @_ZN7rocprim17ROCPRIM_400000_NS6detail17trampoline_kernelINS0_14default_configENS1_36segmented_radix_sort_config_selectorIalEEZNS1_25segmented_radix_sort_implIS3_Lb1EPKaPaPKlPlN2at6native12_GLOBAL__N_18offset_tEEE10hipError_tPvRmT1_PNSt15iterator_traitsISK_E10value_typeET2_T3_PNSL_ISQ_E10value_typeET4_jRbjT5_SW_jjP12ihipStream_tbEUlT_E0_NS1_11comp_targetILNS1_3genE10ELNS1_11target_archE1200ELNS1_3gpuE4ELNS1_3repE0EEENS1_60segmented_radix_sort_warp_sort_medium_config_static_selectorELNS0_4arch9wavefront6targetE0EEEvSK_
; %bb.0:
	.section	.rodata,"a",@progbits
	.p2align	6, 0x0
	.amdhsa_kernel _ZN7rocprim17ROCPRIM_400000_NS6detail17trampoline_kernelINS0_14default_configENS1_36segmented_radix_sort_config_selectorIalEEZNS1_25segmented_radix_sort_implIS3_Lb1EPKaPaPKlPlN2at6native12_GLOBAL__N_18offset_tEEE10hipError_tPvRmT1_PNSt15iterator_traitsISK_E10value_typeET2_T3_PNSL_ISQ_E10value_typeET4_jRbjT5_SW_jjP12ihipStream_tbEUlT_E0_NS1_11comp_targetILNS1_3genE10ELNS1_11target_archE1200ELNS1_3gpuE4ELNS1_3repE0EEENS1_60segmented_radix_sort_warp_sort_medium_config_static_selectorELNS0_4arch9wavefront6targetE0EEEvSK_
		.amdhsa_group_segment_fixed_size 0
		.amdhsa_private_segment_fixed_size 0
		.amdhsa_kernarg_size 88
		.amdhsa_user_sgpr_count 15
		.amdhsa_user_sgpr_dispatch_ptr 0
		.amdhsa_user_sgpr_queue_ptr 0
		.amdhsa_user_sgpr_kernarg_segment_ptr 1
		.amdhsa_user_sgpr_dispatch_id 0
		.amdhsa_user_sgpr_private_segment_size 0
		.amdhsa_wavefront_size32 1
		.amdhsa_uses_dynamic_stack 0
		.amdhsa_enable_private_segment 0
		.amdhsa_system_sgpr_workgroup_id_x 1
		.amdhsa_system_sgpr_workgroup_id_y 0
		.amdhsa_system_sgpr_workgroup_id_z 0
		.amdhsa_system_sgpr_workgroup_info 0
		.amdhsa_system_vgpr_workitem_id 0
		.amdhsa_next_free_vgpr 1
		.amdhsa_next_free_sgpr 1
		.amdhsa_reserve_vcc 0
		.amdhsa_float_round_mode_32 0
		.amdhsa_float_round_mode_16_64 0
		.amdhsa_float_denorm_mode_32 3
		.amdhsa_float_denorm_mode_16_64 3
		.amdhsa_dx10_clamp 1
		.amdhsa_ieee_mode 1
		.amdhsa_fp16_overflow 0
		.amdhsa_workgroup_processor_mode 1
		.amdhsa_memory_ordered 1
		.amdhsa_forward_progress 0
		.amdhsa_shared_vgpr_count 0
		.amdhsa_exception_fp_ieee_invalid_op 0
		.amdhsa_exception_fp_denorm_src 0
		.amdhsa_exception_fp_ieee_div_zero 0
		.amdhsa_exception_fp_ieee_overflow 0
		.amdhsa_exception_fp_ieee_underflow 0
		.amdhsa_exception_fp_ieee_inexact 0
		.amdhsa_exception_int_div_zero 0
	.end_amdhsa_kernel
	.section	.text._ZN7rocprim17ROCPRIM_400000_NS6detail17trampoline_kernelINS0_14default_configENS1_36segmented_radix_sort_config_selectorIalEEZNS1_25segmented_radix_sort_implIS3_Lb1EPKaPaPKlPlN2at6native12_GLOBAL__N_18offset_tEEE10hipError_tPvRmT1_PNSt15iterator_traitsISK_E10value_typeET2_T3_PNSL_ISQ_E10value_typeET4_jRbjT5_SW_jjP12ihipStream_tbEUlT_E0_NS1_11comp_targetILNS1_3genE10ELNS1_11target_archE1200ELNS1_3gpuE4ELNS1_3repE0EEENS1_60segmented_radix_sort_warp_sort_medium_config_static_selectorELNS0_4arch9wavefront6targetE0EEEvSK_,"axG",@progbits,_ZN7rocprim17ROCPRIM_400000_NS6detail17trampoline_kernelINS0_14default_configENS1_36segmented_radix_sort_config_selectorIalEEZNS1_25segmented_radix_sort_implIS3_Lb1EPKaPaPKlPlN2at6native12_GLOBAL__N_18offset_tEEE10hipError_tPvRmT1_PNSt15iterator_traitsISK_E10value_typeET2_T3_PNSL_ISQ_E10value_typeET4_jRbjT5_SW_jjP12ihipStream_tbEUlT_E0_NS1_11comp_targetILNS1_3genE10ELNS1_11target_archE1200ELNS1_3gpuE4ELNS1_3repE0EEENS1_60segmented_radix_sort_warp_sort_medium_config_static_selectorELNS0_4arch9wavefront6targetE0EEEvSK_,comdat
.Lfunc_end306:
	.size	_ZN7rocprim17ROCPRIM_400000_NS6detail17trampoline_kernelINS0_14default_configENS1_36segmented_radix_sort_config_selectorIalEEZNS1_25segmented_radix_sort_implIS3_Lb1EPKaPaPKlPlN2at6native12_GLOBAL__N_18offset_tEEE10hipError_tPvRmT1_PNSt15iterator_traitsISK_E10value_typeET2_T3_PNSL_ISQ_E10value_typeET4_jRbjT5_SW_jjP12ihipStream_tbEUlT_E0_NS1_11comp_targetILNS1_3genE10ELNS1_11target_archE1200ELNS1_3gpuE4ELNS1_3repE0EEENS1_60segmented_radix_sort_warp_sort_medium_config_static_selectorELNS0_4arch9wavefront6targetE0EEEvSK_, .Lfunc_end306-_ZN7rocprim17ROCPRIM_400000_NS6detail17trampoline_kernelINS0_14default_configENS1_36segmented_radix_sort_config_selectorIalEEZNS1_25segmented_radix_sort_implIS3_Lb1EPKaPaPKlPlN2at6native12_GLOBAL__N_18offset_tEEE10hipError_tPvRmT1_PNSt15iterator_traitsISK_E10value_typeET2_T3_PNSL_ISQ_E10value_typeET4_jRbjT5_SW_jjP12ihipStream_tbEUlT_E0_NS1_11comp_targetILNS1_3genE10ELNS1_11target_archE1200ELNS1_3gpuE4ELNS1_3repE0EEENS1_60segmented_radix_sort_warp_sort_medium_config_static_selectorELNS0_4arch9wavefront6targetE0EEEvSK_
                                        ; -- End function
	.section	.AMDGPU.csdata,"",@progbits
; Kernel info:
; codeLenInByte = 0
; NumSgprs: 0
; NumVgprs: 0
; ScratchSize: 0
; MemoryBound: 0
; FloatMode: 240
; IeeeMode: 1
; LDSByteSize: 0 bytes/workgroup (compile time only)
; SGPRBlocks: 0
; VGPRBlocks: 0
; NumSGPRsForWavesPerEU: 1
; NumVGPRsForWavesPerEU: 1
; Occupancy: 16
; WaveLimiterHint : 0
; COMPUTE_PGM_RSRC2:SCRATCH_EN: 0
; COMPUTE_PGM_RSRC2:USER_SGPR: 15
; COMPUTE_PGM_RSRC2:TRAP_HANDLER: 0
; COMPUTE_PGM_RSRC2:TGID_X_EN: 1
; COMPUTE_PGM_RSRC2:TGID_Y_EN: 0
; COMPUTE_PGM_RSRC2:TGID_Z_EN: 0
; COMPUTE_PGM_RSRC2:TIDIG_COMP_CNT: 0
	.text
	.p2align	2                               ; -- Begin function _ZN7rocprim17ROCPRIM_400000_NS6detail26segmented_warp_sort_helperINS1_20WarpSortHelperConfigILj16ELj8ELj256EEEalLi256ELb1EvE4sortIPKaPaPKlPlEEvT_T0_T1_T2_jjjjRNS5_12storage_typeE
	.type	_ZN7rocprim17ROCPRIM_400000_NS6detail26segmented_warp_sort_helperINS1_20WarpSortHelperConfigILj16ELj8ELj256EEEalLi256ELb1EvE4sortIPKaPaPKlPlEEvT_T0_T1_T2_jjjjRNS5_12storage_typeE,@function
_ZN7rocprim17ROCPRIM_400000_NS6detail26segmented_warp_sort_helperINS1_20WarpSortHelperConfigILj16ELj8ELj256EEEalLi256ELb1EvE4sortIPKaPaPKlPlEEvT_T0_T1_T2_jjjjRNS5_12storage_typeE: ; @_ZN7rocprim17ROCPRIM_400000_NS6detail26segmented_warp_sort_helperINS1_20WarpSortHelperConfigILj16ELj8ELj256EEEalLi256ELb1EvE4sortIPKaPaPKlPlEEvT_T0_T1_T2_jjjjRNS5_12storage_typeE
; %bb.0:
	s_waitcnt vmcnt(0) expcnt(0) lgkmcnt(0)
	v_mbcnt_lo_u32_b32 v12, -1, 0
	v_add_co_u32 v0, vcc_lo, v0, v8
	v_dual_mov_b32 v24, 0x80 :: v_dual_mov_b32 v35, 0x80
	s_delay_alu instid0(VALU_DEP_3) | instskip(SKIP_3) | instid1(VALU_DEP_4)
	v_lshlrev_b32_e32 v34, 3, v12
	v_sub_nc_u32_e32 v12, v9, v8
	v_mov_b32_e32 v9, 0
	v_add_co_ci_u32_e32 v1, vcc_lo, 0, v1, vcc_lo
	v_dual_mov_b32 v25, v24 :: v_dual_and_b32 v32, 0x78, v34
	v_dual_mov_b32 v38, 0x80 :: v_dual_mov_b32 v39, 0x80
	v_dual_mov_b32 v28, 0x80 :: v_dual_mov_b32 v37, v24
	s_delay_alu instid0(VALU_DEP_3)
	v_add_co_u32 v0, vcc_lo, v0, v32
	v_add_co_ci_u32_e32 v1, vcc_lo, 0, v1, vcc_lo
	v_cmp_lt_u32_e32 vcc_lo, v32, v12
	v_mov_b32_e32 v36, v24
	s_and_saveexec_b32 s0, vcc_lo
	s_cbranch_execz .LBB307_2
; %bb.1:
	flat_load_u8 v24, v[0:1]
	v_dual_mov_b32 v38, 0x80 :: v_dual_mov_b32 v39, 0x80
	v_dual_mov_b32 v28, 0x80 :: v_dual_mov_b32 v37, 0x80
	s_delay_alu instid0(VALU_DEP_2)
	v_dual_mov_b32 v36, 0x80 :: v_dual_mov_b32 v25, v38
	v_mov_b32_e32 v35, 0x80
.LBB307_2:
	s_or_b32 exec_lo, exec_lo, s0
	v_or_b32_e32 v13, 1, v32
	s_delay_alu instid0(VALU_DEP_1) | instskip(NEXT) | instid1(VALU_DEP_1)
	v_cmp_lt_u32_e64 s0, v13, v12
	s_and_saveexec_b32 s1, s0
	s_cbranch_execz .LBB307_4
; %bb.3:
	flat_load_u8 v38, v[0:1] offset:1
.LBB307_4:
	s_or_b32 exec_lo, exec_lo, s1
	v_or_b32_e32 v13, 2, v32
	s_delay_alu instid0(VALU_DEP_1) | instskip(NEXT) | instid1(VALU_DEP_1)
	v_cmp_lt_u32_e64 s1, v13, v12
	s_and_saveexec_b32 s2, s1
	s_cbranch_execz .LBB307_6
; %bb.5:
	flat_load_u8 v39, v[0:1] offset:2
.LBB307_6:
	;; [unrolled: 9-line block ×7, first 2 shown]
	s_or_b32 exec_lo, exec_lo, s7
	v_lshlrev_b64 v[0:1], 3, v[8:9]
	v_lshlrev_b32_e32 v33, 3, v32
	; wave barrier
	s_delay_alu instid0(VALU_DEP_2) | instskip(NEXT) | instid1(VALU_DEP_1)
	v_add_co_u32 v4, s7, v4, v0
	v_add_co_ci_u32_e64 v5, s7, v5, v1, s7
	s_delay_alu instid0(VALU_DEP_2) | instskip(NEXT) | instid1(VALU_DEP_1)
	v_add_co_u32 v29, s7, v4, v33
	v_add_co_ci_u32_e64 v30, s7, 0, v5, s7
                                        ; implicit-def: $vgpr4_vgpr5
	s_and_saveexec_b32 s7, vcc_lo
	s_cbranch_execnz .LBB307_135
; %bb.17:
	s_or_b32 exec_lo, exec_lo, s7
                                        ; implicit-def: $vgpr14_vgpr15
	s_and_saveexec_b32 s7, s0
	s_cbranch_execnz .LBB307_136
.LBB307_18:
	s_or_b32 exec_lo, exec_lo, s7
                                        ; implicit-def: $vgpr16_vgpr17
	s_and_saveexec_b32 s7, s1
	s_cbranch_execnz .LBB307_137
.LBB307_19:
	s_or_b32 exec_lo, exec_lo, s7
                                        ; implicit-def: $vgpr22_vgpr23
	s_and_saveexec_b32 s7, s2
	s_cbranch_execnz .LBB307_138
.LBB307_20:
	s_or_b32 exec_lo, exec_lo, s7
                                        ; implicit-def: $vgpr26_vgpr27
	s_and_saveexec_b32 s7, s3
	s_cbranch_execnz .LBB307_139
.LBB307_21:
	s_or_b32 exec_lo, exec_lo, s7
                                        ; implicit-def: $vgpr20_vgpr21
	s_and_saveexec_b32 s7, s4
	s_cbranch_execnz .LBB307_140
.LBB307_22:
	s_or_b32 exec_lo, exec_lo, s7
                                        ; implicit-def: $vgpr18_vgpr19
	s_and_saveexec_b32 s7, s5
	s_cbranch_execnz .LBB307_141
.LBB307_23:
	s_or_b32 exec_lo, exec_lo, s7
                                        ; implicit-def: $vgpr12_vgpr13
	s_and_saveexec_b32 s7, s6
	s_cbranch_execz .LBB307_25
.LBB307_24:
	flat_load_b64 v[12:13], v[29:30] offset:56
.LBB307_25:
	s_or_b32 exec_lo, exec_lo, s7
	v_cmp_ne_u32_e64 s7, 0, v10
	v_cmp_ne_u32_e64 s10, 8, v11
	v_bfe_u32 v29, v31, 10, 10
	v_bfe_u32 v30, v31, 20, 10
	v_and_b32_e32 v9, 0x3ff, v31
	s_delay_alu instid0(VALU_DEP_4) | instskip(NEXT) | instid1(SALU_CYCLE_1)
	s_or_b32 s7, s7, s10
	; wave barrier
	s_and_saveexec_b32 s10, s7
	s_delay_alu instid0(SALU_CYCLE_1)
	s_xor_b32 s21, exec_lo, s10
	s_cbranch_execz .LBB307_71
; %bb.26:
	s_load_b64 s[10:11], s[8:9], 0x0
	v_mov_b32_e32 v31, 0
	v_lshlrev_b32_e64 v11, v11, -1
	v_lshlrev_b32_e64 v10, v10, -1
	s_mov_b32 s19, exec_lo
	s_delay_alu instid0(VALU_DEP_1) | instskip(SKIP_3) | instid1(SALU_CYCLE_1)
	v_xor_b32_e32 v11, v11, v10
	s_waitcnt lgkmcnt(0)
	s_cmp_lt_u32 s13, s11
	s_cselect_b32 s7, 14, 20
	s_add_u32 s14, s8, s7
	s_addc_u32 s15, s9, 0
	s_cmp_lt_u32 s12, s10
	global_load_u16 v48, v31, s[14:15]
	s_cselect_b32 s7, 12, 18
	s_delay_alu instid0(SALU_CYCLE_1)
	s_add_u32 s10, s8, s7
	s_addc_u32 s11, s9, 0
	global_load_u16 v31, v31, s[10:11]
	s_waitcnt vmcnt(1)
	v_mad_u32_u24 v29, v30, v48, v29
	s_waitcnt vmcnt(0)
	s_delay_alu instid0(VALU_DEP_1) | instskip(NEXT) | instid1(VALU_DEP_1)
	v_mul_lo_u32 v29, v29, v31
	v_add_lshl_u32 v30, v29, v9, 3
	s_delay_alu instid0(VALU_DEP_1)
	v_cmpx_gt_u32_e32 0x800, v30
	s_cbranch_execz .LBB307_30
; %bb.27:
	v_and_b32_e32 v9, 0xff, v25
	v_and_b32_e32 v10, 0xff, v24
	v_lshlrev_b16 v25, 8, v38
	v_lshlrev_b16 v29, 8, v24
	v_and_b32_e32 v31, 0xff, v38
	v_and_b32_e32 v39, 0xff, v39
	v_lshlrev_b16 v28, 8, v28
	v_or_b32_e32 v10, v10, v25
	v_and_b32_e32 v24, v24, v11
	v_or_b32_e32 v25, v31, v29
	v_and_b32_e32 v29, v38, v11
	v_or_b32_e32 v28, v39, v28
	v_lshlrev_b16 v37, 8, v37
	v_and_b32_e32 v36, 0xff, v36
	v_and_b32_e32 v10, 0xffff, v10
	;; [unrolled: 1-line block ×3, first 2 shown]
	v_lshlrev_b32_e32 v28, 16, v28
	v_bfe_i32 v29, v29, 0, 8
	v_bfe_i32 v24, v24, 0, 8
	v_lshlrev_b16 v31, 8, v35
	v_or_b32_e32 v9, v9, v37
	v_or_b32_e32 v25, v25, v28
	;; [unrolled: 1-line block ×3, first 2 shown]
	v_cmp_gt_i16_e64 s10, v29, v24
	v_or_b32_e32 v24, v36, v31
	v_and_b32_e32 v28, 0xffff, v9
	v_and_b32_e32 v9, v9, v11
	s_delay_alu instid0(VALU_DEP_4) | instskip(NEXT) | instid1(VALU_DEP_4)
	v_cndmask_b32_e64 v10, v10, v25, s10
	v_lshlrev_b32_e32 v24, 16, v24
	v_cndmask_b32_e64 v29, v14, v4, s10
	s_delay_alu instid0(VALU_DEP_4)
	v_bfe_i32 v9, v9, 0, 8
	v_cndmask_b32_e64 v4, v4, v14, s10
	v_lshrrev_b32_e32 v25, 24, v10
	v_or_b32_e32 v24, v28, v24
	v_lshrrev_b32_e32 v28, 16, v10
	v_cndmask_b32_e64 v37, v15, v5, s10
	v_cndmask_b32_e64 v5, v5, v15, s10
	v_and_b32_e32 v25, v25, v11
	v_lshrrev_b32_e32 v31, 8, v24
	v_perm_b32 v35, 0, v28, 0xc0c0001
	v_and_b32_e32 v28, v28, v11
	s_delay_alu instid0(VALU_DEP_4) | instskip(NEXT) | instid1(VALU_DEP_4)
	v_bfe_i32 v25, v25, 0, 8
	v_and_b32_e32 v31, v31, v11
	s_delay_alu instid0(VALU_DEP_4) | instskip(NEXT) | instid1(VALU_DEP_4)
	v_lshlrev_b32_e32 v35, 16, v35
	v_bfe_i32 v28, v28, 0, 8
	s_delay_alu instid0(VALU_DEP_3) | instskip(NEXT) | instid1(VALU_DEP_3)
	v_bfe_i32 v31, v31, 0, 8
	v_and_or_b32 v35, 0xffff, v10, v35
	s_delay_alu instid0(VALU_DEP_3) | instskip(SKIP_1) | instid1(VALU_DEP_4)
	v_cmp_gt_i16_e64 s7, v25, v28
	v_perm_b32 v25, v24, v24, 0x7060405
	v_cmp_gt_i16_e64 s11, v31, v9
	s_delay_alu instid0(VALU_DEP_3) | instskip(SKIP_2) | instid1(VALU_DEP_4)
	v_cndmask_b32_e64 v10, v10, v35, s7
	v_cndmask_b32_e64 v38, v17, v23, s7
	;; [unrolled: 1-line block ×5, first 2 shown]
	v_lshrrev_b32_e32 v25, 16, v10
	v_lshrrev_b32_e32 v31, 8, v10
	v_perm_b32 v39, v10, v10, 0x7050604
	v_lshrrev_b32_e32 v35, 24, v24
	v_lshrrev_b32_e32 v36, 16, v24
	v_and_b32_e32 v25, v25, v11
	v_and_b32_e32 v31, v31, v11
	v_cndmask_b32_e64 v9, v22, v16, s7
	v_and_b32_e32 v35, v35, v11
	v_and_b32_e32 v36, v36, v11
	v_bfe_i32 v25, v25, 0, 8
	v_bfe_i32 v31, v31, 0, 8
	v_cndmask_b32_e64 v16, v16, v22, s7
	v_bfe_i32 v35, v35, 0, 8
	v_bfe_i32 v36, v36, 0, 8
	v_cndmask_b32_e64 v28, v26, v20, s11
	v_cmp_gt_i16_e64 s14, v25, v31
	v_perm_b32 v25, v24, v24, 0x6070504
	v_cndmask_b32_e64 v20, v20, v26, s11
	v_cmp_gt_i16_e64 s15, v35, v36
	s_delay_alu instid0(VALU_DEP_4) | instskip(SKIP_1) | instid1(VALU_DEP_3)
	v_cndmask_b32_e64 v10, v10, v39, s14
	v_cndmask_b32_e64 v31, v38, v37, s14
	;; [unrolled: 1-line block ×4, first 2 shown]
	s_delay_alu instid0(VALU_DEP_4)
	v_lshrrev_b32_e32 v25, 16, v10
	v_lshrrev_b32_e32 v39, 24, v10
	v_cndmask_b32_e64 v12, v12, v18, s15
	v_lshlrev_b16 v36, 8, v24
	v_and_b32_e32 v48, v24, v11
	v_and_b32_e32 v25, 0xff, v25
	s_delay_alu instid0(VALU_DEP_1) | instskip(SKIP_1) | instid1(VALU_DEP_4)
	v_or_b32_e32 v25, v25, v36
	v_and_b32_e32 v36, v39, v11
	v_bfe_i32 v39, v48, 0, 8
	v_cndmask_b32_e64 v48, v27, v21, s11
	s_delay_alu instid0(VALU_DEP_4) | instskip(NEXT) | instid1(VALU_DEP_4)
	v_lshlrev_b32_e32 v25, 16, v25
	v_bfe_i32 v36, v36, 0, 8
	s_delay_alu instid0(VALU_DEP_2) | instskip(NEXT) | instid1(VALU_DEP_2)
	v_and_or_b32 v23, 0xffff, v10, v25
	v_cmp_gt_i16_e64 s16, v39, v36
	v_perm_b32 v25, v10, v24, 0x3020107
	v_cndmask_b32_e64 v39, v29, v16, s14
	v_cndmask_b32_e64 v16, v16, v29, s14
	s_delay_alu instid0(VALU_DEP_4) | instskip(NEXT) | instid1(VALU_DEP_4)
	v_cndmask_b32_e64 v10, v10, v23, s16
	v_cndmask_b32_e64 v23, v24, v25, s16
	;; [unrolled: 1-line block ×5, first 2 shown]
	v_lshrrev_b32_e32 v21, 8, v10
	v_lshrrev_b32_e32 v24, 16, v23
	v_lshrrev_b32_e32 v25, 8, v23
	v_and_b32_e32 v22, v10, v11
	v_perm_b32 v27, 0, v10, 0xc0c0001
	v_and_b32_e32 v21, v21, v11
	v_and_b32_e32 v24, v24, v11
	;; [unrolled: 1-line block ×3, first 2 shown]
	v_bfe_i32 v22, v22, 0, 8
	v_and_or_b32 v27, 0xffff0000, v10, v27
	v_bfe_i32 v21, v21, 0, 8
	v_bfe_i32 v24, v24, 0, 8
	;; [unrolled: 1-line block ×3, first 2 shown]
	v_cndmask_b32_e64 v17, v48, v17, s16
	s_delay_alu instid0(VALU_DEP_4) | instskip(SKIP_1) | instid1(VALU_DEP_4)
	v_cmp_gt_i16_e64 s7, v21, v22
	v_perm_b32 v22, v23, v23, 0x7050604
	v_cmp_gt_i16_e64 s17, v24, v25
	v_cndmask_b32_e64 v21, v19, v13, s15
	v_cndmask_b32_e64 v13, v13, v19, s15
	;; [unrolled: 1-line block ×7, first 2 shown]
	v_lshrrev_b32_e32 v23, 24, v10
	v_lshrrev_b32_e32 v25, 16, v10
	v_lshrrev_b32_e32 v27, 8, v22
	v_and_b32_e32 v50, v22, v11
	v_cndmask_b32_e64 v4, v4, v39, s7
	v_and_b32_e32 v23, v23, v11
	v_perm_b32 v29, 0, v25, 0xc0c0001
	v_and_b32_e32 v25, v25, v11
	v_and_b32_e32 v27, v27, v11
	v_bfe_i32 v28, v50, 0, 8
	v_bfe_i32 v23, v23, 0, 8
	v_lshlrev_b32_e32 v29, 16, v29
	v_bfe_i32 v25, v25, 0, 8
	v_bfe_i32 v27, v27, 0, 8
	s_delay_alu instid0(VALU_DEP_3) | instskip(NEXT) | instid1(VALU_DEP_3)
	v_and_or_b32 v29, 0xffff, v10, v29
	v_cmp_gt_i16_e64 s11, v23, v25
	v_perm_b32 v25, v22, v22, 0x7060405
	s_delay_alu instid0(VALU_DEP_4)
	v_cmp_gt_i16_e64 s18, v27, v28
	v_cndmask_b32_e64 v28, v37, v38, s14
	v_cndmask_b32_e64 v23, v20, v35, s17
	;; [unrolled: 1-line block ×7, first 2 shown]
	v_lshrrev_b32_e32 v18, 16, v10
	v_lshrrev_b32_e32 v25, 8, v10
	v_lshrrev_b32_e32 v29, 24, v22
	v_lshrrev_b32_e32 v37, 16, v22
	v_perm_b32 v51, v10, v10, 0x7050604
	v_and_b32_e32 v18, v18, v11
	v_and_b32_e32 v25, v25, v11
	;; [unrolled: 1-line block ×4, first 2 shown]
	v_cndmask_b32_e64 v16, v16, v26, s11
	v_bfe_i32 v18, v18, 0, 8
	v_bfe_i32 v25, v25, 0, 8
	;; [unrolled: 1-line block ×4, first 2 shown]
	v_cndmask_b32_e64 v50, v31, v36, s11
	v_cndmask_b32_e64 v31, v36, v31, s11
	v_cmp_gt_i16_e64 s10, v18, v25
	v_cndmask_b32_e64 v18, v35, v20, s17
	v_perm_b32 v20, v22, v22, 0x6070504
	v_cmp_gt_i16_e64 s14, v29, v37
	v_cndmask_b32_e64 v15, v9, v23, s18
	v_cndmask_b32_e64 v10, v10, v51, s10
	;; [unrolled: 1-line block ×6, first 2 shown]
	v_lshrrev_b32_e32 v22, 16, v10
	v_lshrrev_b32_e32 v37, 24, v10
	v_cndmask_b32_e64 v38, v28, v5, s7
	v_lshlrev_b16 v35, 8, v20
	v_and_b32_e32 v51, v20, v11
	v_and_b32_e32 v22, 0xff, v22
	v_cndmask_b32_e64 v29, v18, v12, s14
	v_cndmask_b32_e64 v12, v12, v18, s14
	;; [unrolled: 1-line block ×4, first 2 shown]
	v_or_b32_e32 v22, v22, v35
	v_and_b32_e32 v35, v37, v11
	v_bfe_i32 v37, v51, 0, 8
	s_delay_alu instid0(VALU_DEP_3) | instskip(NEXT) | instid1(VALU_DEP_3)
	v_lshlrev_b32_e32 v22, 16, v22
	v_bfe_i32 v35, v35, 0, 8
	s_delay_alu instid0(VALU_DEP_2) | instskip(NEXT) | instid1(VALU_DEP_2)
	v_and_or_b32 v22, 0xffff, v10, v22
	v_cmp_gt_i16_e64 s16, v37, v35
	v_perm_b32 v35, v10, v20, 0x3020107
	s_delay_alu instid0(VALU_DEP_2) | instskip(NEXT) | instid1(VALU_DEP_2)
	v_cndmask_b32_e64 v10, v10, v22, s16
	v_cndmask_b32_e64 v20, v20, v35, s16
	;; [unrolled: 1-line block ×4, first 2 shown]
	s_delay_alu instid0(VALU_DEP_4) | instskip(NEXT) | instid1(VALU_DEP_4)
	v_lshrrev_b32_e32 v21, 8, v10
	v_lshrrev_b32_e32 v22, 16, v20
	v_lshrrev_b32_e32 v24, 8, v20
	v_and_b32_e32 v26, v10, v11
	v_perm_b32 v35, 0, v10, 0xc0c0001
	v_and_b32_e32 v21, v21, v11
	v_and_b32_e32 v22, v22, v11
	;; [unrolled: 1-line block ×3, first 2 shown]
	v_bfe_i32 v26, v26, 0, 8
	v_and_or_b32 v35, 0xffff0000, v10, v35
	v_bfe_i32 v21, v21, 0, 8
	v_bfe_i32 v22, v22, 0, 8
	;; [unrolled: 1-line block ×3, first 2 shown]
	s_delay_alu instid0(VALU_DEP_3) | instskip(SKIP_1) | instid1(VALU_DEP_3)
	v_cmp_gt_i16_e64 s11, v21, v26
	v_perm_b32 v26, v20, v20, 0x7050604
	v_cmp_gt_i16_e64 s15, v22, v24
	v_cndmask_b32_e64 v21, v14, v13, s14
	v_cndmask_b32_e64 v13, v13, v14, s14
	;; [unrolled: 1-line block ×7, first 2 shown]
	v_lshrrev_b32_e32 v23, 24, v10
	v_lshrrev_b32_e32 v24, 16, v10
	;; [unrolled: 1-line block ×3, first 2 shown]
	v_and_b32_e32 v49, v20, v11
	v_cndmask_b32_e64 v22, v17, v21, s15
	v_and_b32_e32 v23, v23, v11
	v_perm_b32 v39, 0, v24, 0xc0c0001
	v_and_b32_e32 v24, v24, v11
	v_and_b32_e32 v35, v35, v11
	v_bfe_i32 v27, v49, 0, 8
	v_bfe_i32 v23, v23, 0, 8
	v_lshlrev_b32_e32 v39, 16, v39
	v_bfe_i32 v24, v24, 0, 8
	v_bfe_i32 v35, v35, 0, 8
	v_cndmask_b32_e64 v14, v21, v17, s15
	v_cndmask_b32_e64 v4, v4, v36, s11
	v_and_or_b32 v39, 0xffff, v10, v39
	v_cmp_gt_i16_e64 s17, v23, v24
	v_perm_b32 v24, v20, v20, 0x7060405
	v_cmp_gt_i16_e64 s18, v35, v27
	v_cndmask_b32_e64 v35, v38, v50, s10
	v_cndmask_b32_e64 v23, v9, v29, s15
	;; [unrolled: 1-line block ×7, first 2 shown]
	v_lshrrev_b32_e32 v18, 16, v10
	v_lshrrev_b32_e32 v24, 8, v10
	;; [unrolled: 1-line block ×4, first 2 shown]
	v_perm_b32 v51, v10, v10, 0x7050604
	v_and_b32_e32 v18, v18, v11
	v_and_b32_e32 v24, v24, v11
	;; [unrolled: 1-line block ×4, first 2 shown]
	v_cndmask_b32_e64 v27, v26, v16, s17
	v_bfe_i32 v18, v18, 0, 8
	v_bfe_i32 v24, v24, 0, 8
	;; [unrolled: 1-line block ×4, first 2 shown]
	v_cndmask_b32_e64 v16, v16, v26, s17
	v_cndmask_b32_e64 v49, v35, v5, s11
	v_cmp_gt_i16_e64 s7, v18, v24
	v_perm_b32 v18, v20, v20, 0x6070504
	v_cmp_gt_i16_e64 s10, v38, v39
	v_cndmask_b32_e64 v5, v5, v35, s11
	v_cndmask_b32_e64 v28, v15, v23, s18
	;; [unrolled: 1-line block ×7, first 2 shown]
	v_lshrrev_b32_e32 v20, 16, v10
	v_lshrrev_b32_e32 v39, 24, v10
	v_lshlrev_b16 v38, 8, v18
	v_and_b32_e32 v51, v18, v11
	v_perm_b32 v25, v10, v18, 0x3020107
	v_and_b32_e32 v20, 0xff, v20
	v_cndmask_b32_e64 v29, v9, v12, s10
	v_cndmask_b32_e64 v12, v12, v9, s10
	s_delay_alu instid0(VALU_DEP_3) | instskip(SKIP_2) | instid1(VALU_DEP_3)
	v_or_b32_e32 v20, v20, v38
	v_and_b32_e32 v38, v39, v11
	v_bfe_i32 v39, v51, 0, 8
	v_lshlrev_b32_e32 v20, 16, v20
	s_delay_alu instid0(VALU_DEP_3) | instskip(NEXT) | instid1(VALU_DEP_2)
	v_bfe_i32 v38, v38, 0, 8
	v_and_or_b32 v20, 0xffff, v10, v20
	s_delay_alu instid0(VALU_DEP_2) | instskip(NEXT) | instid1(VALU_DEP_1)
	v_cmp_gt_i16_e64 s16, v39, v38
	v_cndmask_b32_e64 v10, v10, v20, s16
	v_cndmask_b32_e64 v17, v18, v25, s16
	;; [unrolled: 1-line block ×5, first 2 shown]
	v_lshrrev_b32_e32 v20, 8, v10
	v_lshrrev_b32_e32 v21, 16, v17
	;; [unrolled: 1-line block ×3, first 2 shown]
	v_and_b32_e32 v25, v10, v11
	v_perm_b32 v26, 0, v10, 0xc0c0001
	v_and_b32_e32 v20, v20, v11
	v_and_b32_e32 v21, v21, v11
	;; [unrolled: 1-line block ×3, first 2 shown]
	v_bfe_i32 v25, v25, 0, 8
	v_and_or_b32 v26, 0xffff0000, v10, v26
	v_bfe_i32 v20, v20, 0, 8
	v_bfe_i32 v21, v21, 0, 8
	;; [unrolled: 1-line block ×3, first 2 shown]
	v_cndmask_b32_e64 v31, v37, v16, s7
	v_cndmask_b32_e64 v16, v16, v37, s7
	v_cmp_gt_i16_e64 s11, v20, v25
	v_perm_b32 v25, v17, v17, 0x7050604
	v_cmp_gt_i16_e64 s14, v21, v22
	v_cndmask_b32_e64 v20, v14, v13, s10
	v_cndmask_b32_e64 v13, v13, v14, s10
	;; [unrolled: 1-line block ×7, first 2 shown]
	v_lshrrev_b32_e32 v21, 24, v10
	v_lshrrev_b32_e32 v22, 16, v10
	;; [unrolled: 1-line block ×3, first 2 shown]
	v_and_b32_e32 v36, v17, v11
	v_cndmask_b32_e64 v19, v48, v19, s16
	v_and_b32_e32 v21, v21, v11
	v_perm_b32 v26, 0, v22, 0xc0c0001
	v_and_b32_e32 v22, v22, v11
	v_and_b32_e32 v25, v25, v11
	v_bfe_i32 v28, v36, 0, 8
	v_bfe_i32 v21, v21, 0, 8
	v_lshlrev_b32_e32 v26, 16, v26
	v_bfe_i32 v22, v22, 0, 8
	v_bfe_i32 v25, v25, 0, 8
	v_cndmask_b32_e64 v35, v31, v4, s11
	v_cndmask_b32_e64 v4, v4, v31, s11
	v_and_or_b32 v26, 0xffff, v10, v26
	v_cmp_gt_i16_e64 s15, v21, v22
	v_perm_b32 v21, v17, v17, 0x7060405
	v_cmp_gt_i16_e64 s17, v25, v28
	v_cndmask_b32_e64 v22, v15, v29, s14
	v_cndmask_b32_e64 v15, v29, v15, s14
	v_cndmask_b32_e64 v10, v10, v26, s15
	v_cndmask_b32_e64 v28, v23, v16, s15
	v_cndmask_b32_e64 v14, v17, v21, s17
	v_cndmask_b32_e64 v21, v49, v50, s7
	v_cndmask_b32_e64 v29, v19, v9, s17
	v_lshrrev_b32_e32 v17, 16, v10
	v_lshrrev_b32_e32 v25, 8, v10
	;; [unrolled: 1-line block ×4, first 2 shown]
	v_perm_b32 v49, v10, v10, 0x7050604
	v_and_b32_e32 v17, v17, v11
	v_and_b32_e32 v25, v25, v11
	v_and_b32_e32 v36, v36, v11
	v_and_b32_e32 v37, v37, v11
	v_perm_b32 v20, v14, v14, 0x6070504
	v_bfe_i32 v17, v17, 0, 8
	v_bfe_i32 v25, v25, 0, 8
	;; [unrolled: 1-line block ×4, first 2 shown]
	v_cndmask_b32_e64 v39, v21, v5, s11
	v_cndmask_b32_e64 v5, v5, v21, s11
	v_cmp_gt_i16_e64 s7, v17, v25
	v_cndmask_b32_e64 v21, v9, v19, s17
	v_cmp_gt_i16_e64 s10, v36, v37
	v_cndmask_b32_e64 v26, v27, v22, s17
	v_cndmask_b32_e64 v48, v24, v38, s15
	;; [unrolled: 1-line block ×7, first 2 shown]
	v_lshrrev_b32_e32 v20, 24, v49
	v_cndmask_b32_e64 v17, v48, v39, s7
	v_and_b32_e32 v9, v14, v11
	v_perm_b32 v25, v49, v14, 0x3020107
	s_delay_alu instid0(VALU_DEP_4)
	v_and_b32_e32 v19, v20, v11
	v_cndmask_b32_e64 v20, v22, v27, s17
	v_lshrrev_b32_e32 v22, 16, v49
	v_bfe_i32 v9, v9, 0, 8
	v_cndmask_b32_e64 v27, v16, v23, s15
	v_bfe_i32 v19, v19, 0, 8
	v_lshlrev_b16 v16, 8, v14
	v_and_b32_e32 v22, 0xff, v22
	s_delay_alu instid0(VALU_DEP_3) | instskip(SKIP_1) | instid1(VALU_DEP_3)
	v_cmp_gt_i16_e64 s11, v9, v19
	v_cndmask_b32_e64 v9, v15, v12, s10
	v_or_b32_e32 v18, v22, v16
	v_cndmask_b32_e64 v16, v27, v35, s7
	v_cndmask_b32_e64 v12, v12, v15, s10
	;; [unrolled: 1-line block ×4, first 2 shown]
	v_lshlrev_b32_e32 v18, 16, v18
	v_cndmask_b32_e64 v14, v35, v27, s7
	v_cndmask_b32_e64 v27, v29, v24, s11
	v_lshrrev_b32_e32 v36, 16, v25
	v_lshrrev_b32_e32 v37, 8, v25
	v_and_or_b32 v18, 0xffff, v49, v18
	v_cndmask_b32_e64 v15, v39, v48, s7
	v_cndmask_b32_e64 v22, v28, v26, s11
	v_and_b32_e32 v19, v36, v11
	v_and_b32_e32 v31, v37, v11
	v_cndmask_b32_e64 v24, v49, v18, s11
	v_cndmask_b32_e64 v26, v26, v28, s11
	v_lshrrev_b32_e32 v35, 24, v25
	v_bfe_i32 v18, v19, 0, 8
	v_bfe_i32 v19, v31, 0, 8
	v_lshrrev_b64 v[28:29], 24, v[24:25]
	v_lshrrev_b32_e32 v39, 16, v24
	v_lshrrev_b32_e32 v38, 8, v24
	s_delay_alu instid0(VALU_DEP_4) | instskip(SKIP_1) | instid1(VALU_DEP_2)
	v_cmp_gt_i16_e64 s7, v18, v19
	v_dual_mov_b32 v19, v10 :: v_dual_mov_b32 v18, v9
	s_and_saveexec_b32 s10, s7
; %bb.28:
	v_lshrrev_b32_e32 v35, 24, v25
	v_lshrrev_b32_e32 v36, 8, v25
	;; [unrolled: 1-line block ×5, first 2 shown]
	v_dual_mov_b32 v18, v20 :: v_dual_mov_b32 v19, v21
	v_dual_mov_b32 v21, v10 :: v_dual_mov_b32 v20, v9
; %bb.29:
	s_or_b32 exec_lo, exec_lo, s10
.LBB307_30:
	s_delay_alu instid0(SALU_CYCLE_1)
	s_or_b32 exec_lo, exec_lo, s19
	v_and_b32_e32 v10, 0xffffff00, v30
	v_or_b32_e32 v30, 8, v34
	v_and_b32_e32 v31, 8, v34
	v_and_b32_e32 v50, 0xf0, v34
	s_mov_b32 s10, exec_lo
	v_sub_nc_u32_e64 v29, 0x800, v10 clamp
	v_lshlrev_b32_e32 v9, 3, v10
	v_or_b32_e32 v53, v10, v34
	s_delay_alu instid0(VALU_DEP_3) | instskip(SKIP_1) | instid1(VALU_DEP_4)
	v_min_u32_e32 v48, v29, v30
	v_min_u32_e32 v51, v29, v31
	v_lshl_or_b32 v30, v34, 3, v9
	ds_store_b8 v53, v24
	ds_store_b64 v30, v[4:5] offset:2048
	ds_store_b8 v53, v38 offset:1
	v_add_nc_u32_e32 v49, 8, v48
	v_sub_nc_u32_e32 v54, v48, v50
	ds_store_b64 v30, v[14:15] offset:2056
	ds_store_b8 v53, v39 offset:2
	ds_store_b64 v30, v[16:17] offset:2064
	ds_store_b8 v53, v28 offset:3
	;; [unrolled: 2-line block ×6, first 2 shown]
	ds_store_b64 v30, v[12:13] offset:2104
	v_min_u32_e32 v49, v29, v49
	; wave barrier
	s_delay_alu instid0(VALU_DEP_1) | instskip(NEXT) | instid1(VALU_DEP_1)
	v_sub_nc_u32_e32 v31, v49, v48
	v_sub_nc_u32_e64 v52, v51, v31 clamp
	v_min_u32_e32 v31, v51, v54
	s_delay_alu instid0(VALU_DEP_1)
	v_cmpx_lt_u32_e64 v52, v31
	s_cbranch_execz .LBB307_34
; %bb.31:
	v_add_nc_u32_e32 v53, v10, v50
	v_add3_u32 v54, v10, v48, v51
	s_mov_b32 s11, 0
	.p2align	6
.LBB307_32:                             ; =>This Inner Loop Header: Depth=1
	v_add_nc_u32_e32 v55, v31, v52
	s_delay_alu instid0(VALU_DEP_1) | instskip(NEXT) | instid1(VALU_DEP_1)
	v_lshrrev_b32_e32 v55, 1, v55
	v_xad_u32 v64, v55, -1, v54
	v_add_nc_u32_e32 v65, v53, v55
	v_add_nc_u32_e32 v66, 1, v55
	ds_load_u8 v64, v64
	ds_load_u8 v65, v65
	s_waitcnt lgkmcnt(1)
	v_and_b32_e32 v64, v64, v11
	s_waitcnt lgkmcnt(0)
	v_and_b32_e32 v65, v65, v11
	s_delay_alu instid0(VALU_DEP_2) | instskip(NEXT) | instid1(VALU_DEP_2)
	v_bfe_i32 v64, v64, 0, 8
	v_bfe_i32 v65, v65, 0, 8
	s_delay_alu instid0(VALU_DEP_1) | instskip(NEXT) | instid1(VALU_DEP_1)
	v_cmp_gt_i16_e64 s7, v64, v65
	v_cndmask_b32_e64 v31, v31, v55, s7
	v_cndmask_b32_e64 v52, v66, v52, s7
	s_delay_alu instid0(VALU_DEP_1) | instskip(NEXT) | instid1(VALU_DEP_1)
	v_cmp_ge_u32_e64 s7, v52, v31
	s_or_b32 s11, s7, s11
	s_delay_alu instid0(SALU_CYCLE_1)
	s_and_not1_b32 exec_lo, exec_lo, s11
	s_cbranch_execnz .LBB307_32
; %bb.33:
	s_or_b32 exec_lo, exec_lo, s11
.LBB307_34:
	s_delay_alu instid0(SALU_CYCLE_1) | instskip(SKIP_3) | instid1(VALU_DEP_3)
	s_or_b32 exec_lo, exec_lo, s10
	v_add_nc_u32_e32 v53, v48, v51
	v_add_nc_u32_e32 v51, v52, v50
	;; [unrolled: 1-line block ×3, first 2 shown]
	v_sub_nc_u32_e32 v50, v53, v52
	s_delay_alu instid0(VALU_DEP_3) | instskip(NEXT) | instid1(VALU_DEP_2)
	v_cmp_le_u32_e64 s7, v51, v48
	v_cmp_le_u32_e64 s10, v50, v49
	s_delay_alu instid0(VALU_DEP_1) | instskip(NEXT) | instid1(SALU_CYCLE_1)
	s_or_b32 s7, s7, s10
	s_and_saveexec_b32 s22, s7
	s_cbranch_execz .LBB307_40
; %bb.35:
	v_cmp_lt_u32_e64 s7, v51, v48
                                        ; implicit-def: $vgpr24
	s_delay_alu instid0(VALU_DEP_1)
	s_and_saveexec_b32 s10, s7
	s_cbranch_execz .LBB307_37
; %bb.36:
	v_add_nc_u32_e32 v4, v10, v51
	ds_load_u8 v24, v4
.LBB307_37:
	s_or_b32 exec_lo, exec_lo, s10
	v_cmp_ge_u32_e64 s10, v50, v49
	s_mov_b32 s14, exec_lo
                                        ; implicit-def: $vgpr25
	v_cmpx_lt_u32_e64 v50, v49
	s_cbranch_execz .LBB307_39
; %bb.38:
	v_add_nc_u32_e32 v4, v10, v50
	ds_load_u8 v25, v4
.LBB307_39:
	s_or_b32 exec_lo, exec_lo, s14
	s_waitcnt lgkmcnt(0)
	v_and_b32_e32 v4, v25, v11
	v_and_b32_e32 v5, v24, v11
	s_delay_alu instid0(VALU_DEP_2) | instskip(NEXT) | instid1(VALU_DEP_2)
	v_bfe_i32 v4, v4, 0, 8
	v_bfe_i32 v5, v5, 0, 8
	s_delay_alu instid0(VALU_DEP_1) | instskip(NEXT) | instid1(VALU_DEP_1)
	v_cmp_le_i16_e64 s11, v4, v5
	s_and_b32 s7, s7, s11
	s_delay_alu instid0(SALU_CYCLE_1) | instskip(NEXT) | instid1(SALU_CYCLE_1)
	s_or_b32 s7, s10, s7
	v_cndmask_b32_e64 v4, v50, v51, s7
	v_cndmask_b32_e64 v5, v49, v48, s7
	s_delay_alu instid0(VALU_DEP_2) | instskip(NEXT) | instid1(VALU_DEP_2)
	v_add_nc_u32_e32 v12, 1, v4
	v_add_nc_u32_e32 v5, -1, v5
	v_lshl_add_u32 v4, v4, 3, v9
	s_delay_alu instid0(VALU_DEP_3) | instskip(NEXT) | instid1(VALU_DEP_3)
	v_cndmask_b32_e64 v14, v51, v12, s7
	v_min_u32_e32 v5, v12, v5
	v_cndmask_b32_e64 v12, v12, v50, s7
	s_delay_alu instid0(VALU_DEP_3) | instskip(NEXT) | instid1(VALU_DEP_3)
	v_cmp_lt_u32_e64 s10, v14, v48
	v_add_nc_u32_e32 v5, v10, v5
	s_delay_alu instid0(VALU_DEP_3)
	v_cmp_ge_u32_e64 s14, v12, v49
	ds_load_u8 v5, v5
	s_waitcnt lgkmcnt(0)
	v_cndmask_b32_e64 v28, v5, v25, s7
	v_cndmask_b32_e64 v35, v24, v5, s7
	;; [unrolled: 1-line block ×3, first 2 shown]
	s_delay_alu instid0(VALU_DEP_3) | instskip(NEXT) | instid1(VALU_DEP_3)
	v_and_b32_e32 v5, v28, v11
	v_and_b32_e32 v13, v35, v11
	s_delay_alu instid0(VALU_DEP_2) | instskip(NEXT) | instid1(VALU_DEP_2)
	v_bfe_i32 v5, v5, 0, 8
	v_bfe_i32 v13, v13, 0, 8
	s_delay_alu instid0(VALU_DEP_1) | instskip(NEXT) | instid1(VALU_DEP_1)
	v_cmp_le_i16_e64 s11, v5, v13
	s_and_b32 s10, s10, s11
	s_delay_alu instid0(SALU_CYCLE_1) | instskip(NEXT) | instid1(SALU_CYCLE_1)
	s_or_b32 s10, s14, s10
	v_cndmask_b32_e64 v5, v12, v14, s10
	v_cndmask_b32_e64 v13, v49, v48, s10
	s_delay_alu instid0(VALU_DEP_2) | instskip(NEXT) | instid1(VALU_DEP_2)
	v_add_nc_u32_e32 v15, 1, v5
	v_add_nc_u32_e32 v13, -1, v13
	s_delay_alu instid0(VALU_DEP_2) | instskip(NEXT) | instid1(VALU_DEP_2)
	v_cndmask_b32_e64 v14, v14, v15, s10
	v_min_u32_e32 v13, v15, v13
	v_cndmask_b32_e64 v12, v15, v12, s10
	s_delay_alu instid0(VALU_DEP_3) | instskip(NEXT) | instid1(VALU_DEP_3)
	v_cmp_lt_u32_e64 s11, v14, v48
	v_add_nc_u32_e32 v13, v10, v13
	s_delay_alu instid0(VALU_DEP_3) | instskip(SKIP_4) | instid1(VALU_DEP_2)
	v_cmp_ge_u32_e64 s15, v12, v49
	ds_load_u8 v13, v13
	s_waitcnt lgkmcnt(0)
	v_cndmask_b32_e64 v36, v13, v28, s10
	v_cndmask_b32_e64 v37, v35, v13, s10
	v_and_b32_e32 v13, v36, v11
	s_delay_alu instid0(VALU_DEP_2) | instskip(NEXT) | instid1(VALU_DEP_2)
	v_and_b32_e32 v16, v37, v11
	v_bfe_i32 v13, v13, 0, 8
	s_delay_alu instid0(VALU_DEP_2) | instskip(NEXT) | instid1(VALU_DEP_1)
	v_bfe_i32 v16, v16, 0, 8
	v_cmp_le_i16_e64 s14, v13, v16
	s_delay_alu instid0(VALU_DEP_1) | instskip(NEXT) | instid1(SALU_CYCLE_1)
	s_and_b32 s11, s11, s14
	s_or_b32 s11, s15, s11
	s_delay_alu instid0(SALU_CYCLE_1) | instskip(SKIP_2) | instid1(VALU_DEP_3)
	v_cndmask_b32_e64 v13, v12, v14, s11
	v_cndmask_b32_e64 v15, v49, v48, s11
	;; [unrolled: 1-line block ×3, first 2 shown]
	v_add_nc_u32_e32 v16, 1, v13
	s_delay_alu instid0(VALU_DEP_3) | instskip(SKIP_1) | instid1(VALU_DEP_3)
	v_add_nc_u32_e32 v15, -1, v15
	v_lshl_add_u32 v13, v13, 3, v9
	v_cndmask_b32_e64 v14, v14, v16, s11
	s_delay_alu instid0(VALU_DEP_3) | instskip(SKIP_1) | instid1(VALU_DEP_3)
	v_min_u32_e32 v15, v16, v15
	v_cndmask_b32_e64 v12, v16, v12, s11
	v_cmp_lt_u32_e64 s14, v14, v48
	s_delay_alu instid0(VALU_DEP_3) | instskip(NEXT) | instid1(VALU_DEP_3)
	v_add_nc_u32_e32 v15, v10, v15
	v_cmp_ge_u32_e64 s16, v12, v49
	ds_load_u8 v15, v15
	s_waitcnt lgkmcnt(0)
	v_cndmask_b32_e64 v50, v15, v36, s11
	v_cndmask_b32_e64 v51, v37, v15, s11
	s_delay_alu instid0(VALU_DEP_2) | instskip(NEXT) | instid1(VALU_DEP_2)
	v_and_b32_e32 v15, v50, v11
	v_and_b32_e32 v17, v51, v11
	s_delay_alu instid0(VALU_DEP_2) | instskip(NEXT) | instid1(VALU_DEP_2)
	v_bfe_i32 v15, v15, 0, 8
	v_bfe_i32 v17, v17, 0, 8
	s_delay_alu instid0(VALU_DEP_1) | instskip(NEXT) | instid1(VALU_DEP_1)
	v_cmp_le_i16_e64 s15, v15, v17
	s_and_b32 s14, s14, s15
	s_delay_alu instid0(SALU_CYCLE_1) | instskip(NEXT) | instid1(SALU_CYCLE_1)
	s_or_b32 s14, s16, s14
	v_cndmask_b32_e64 v18, v12, v14, s14
	v_cndmask_b32_e64 v15, v49, v48, s14
	s_delay_alu instid0(VALU_DEP_2) | instskip(NEXT) | instid1(VALU_DEP_2)
	v_add_nc_u32_e32 v16, 1, v18
	v_add_nc_u32_e32 v15, -1, v15
	s_delay_alu instid0(VALU_DEP_2) | instskip(NEXT) | instid1(VALU_DEP_2)
	v_cndmask_b32_e64 v14, v14, v16, s14
	v_min_u32_e32 v15, v16, v15
	v_cndmask_b32_e64 v12, v16, v12, s14
	s_delay_alu instid0(VALU_DEP_3) | instskip(NEXT) | instid1(VALU_DEP_3)
	v_cmp_lt_u32_e64 s15, v14, v48
	v_add_nc_u32_e32 v15, v10, v15
	s_delay_alu instid0(VALU_DEP_3) | instskip(SKIP_4) | instid1(VALU_DEP_2)
	v_cmp_ge_u32_e64 s17, v12, v49
	ds_load_u8 v15, v15
	s_waitcnt lgkmcnt(0)
	v_cndmask_b32_e64 v52, v15, v50, s14
	v_cndmask_b32_e64 v53, v51, v15, s14
	v_and_b32_e32 v15, v52, v11
	s_delay_alu instid0(VALU_DEP_2) | instskip(NEXT) | instid1(VALU_DEP_2)
	v_and_b32_e32 v17, v53, v11
	v_bfe_i32 v15, v15, 0, 8
	s_delay_alu instid0(VALU_DEP_2) | instskip(NEXT) | instid1(VALU_DEP_1)
	v_bfe_i32 v17, v17, 0, 8
	v_cmp_le_i16_e64 s16, v15, v17
	s_delay_alu instid0(VALU_DEP_1) | instskip(NEXT) | instid1(SALU_CYCLE_1)
	s_and_b32 s15, s15, s16
	s_or_b32 s15, s17, s15
	s_delay_alu instid0(SALU_CYCLE_1) | instskip(SKIP_2) | instid1(VALU_DEP_3)
	v_cndmask_b32_e64 v19, v12, v14, s15
	v_cndmask_b32_e64 v15, v49, v48, s15
	;; [unrolled: 1-line block ×3, first 2 shown]
	v_add_nc_u32_e32 v16, 1, v19
	s_delay_alu instid0(VALU_DEP_3) | instskip(NEXT) | instid1(VALU_DEP_2)
	v_add_nc_u32_e32 v15, -1, v15
	v_cndmask_b32_e64 v14, v14, v16, s15
	s_delay_alu instid0(VALU_DEP_2) | instskip(SKIP_1) | instid1(VALU_DEP_3)
	v_min_u32_e32 v15, v16, v15
	v_cndmask_b32_e64 v12, v16, v12, s15
	v_cmp_lt_u32_e64 s16, v14, v48
	s_delay_alu instid0(VALU_DEP_3) | instskip(NEXT) | instid1(VALU_DEP_3)
	v_add_nc_u32_e32 v15, v10, v15
	v_cmp_ge_u32_e64 s18, v12, v49
	ds_load_u8 v15, v15
	s_waitcnt lgkmcnt(0)
	v_cndmask_b32_e64 v54, v15, v52, s15
	v_cndmask_b32_e64 v55, v53, v15, s15
	s_delay_alu instid0(VALU_DEP_2) | instskip(NEXT) | instid1(VALU_DEP_2)
	v_and_b32_e32 v15, v54, v11
	v_and_b32_e32 v17, v55, v11
	s_delay_alu instid0(VALU_DEP_2) | instskip(NEXT) | instid1(VALU_DEP_2)
	v_bfe_i32 v15, v15, 0, 8
	v_bfe_i32 v17, v17, 0, 8
	s_delay_alu instid0(VALU_DEP_1) | instskip(NEXT) | instid1(VALU_DEP_1)
	v_cmp_le_i16_e64 s17, v15, v17
	s_and_b32 s16, s16, s17
	s_delay_alu instid0(SALU_CYCLE_1) | instskip(NEXT) | instid1(SALU_CYCLE_1)
	s_or_b32 s16, s18, s16
	v_cndmask_b32_e64 v20, v12, v14, s16
	v_cndmask_b32_e64 v15, v49, v48, s16
	;; [unrolled: 1-line block ×3, first 2 shown]
	s_delay_alu instid0(VALU_DEP_3) | instskip(NEXT) | instid1(VALU_DEP_3)
	v_add_nc_u32_e32 v16, 1, v20
	v_add_nc_u32_e32 v15, -1, v15
	s_delay_alu instid0(VALU_DEP_2) | instskip(NEXT) | instid1(VALU_DEP_2)
	v_cndmask_b32_e64 v14, v14, v16, s16
	v_min_u32_e32 v15, v16, v15
	v_cndmask_b32_e64 v12, v16, v12, s16
	s_delay_alu instid0(VALU_DEP_3) | instskip(NEXT) | instid1(VALU_DEP_3)
	v_cmp_lt_u32_e64 s17, v14, v48
	v_add_nc_u32_e32 v15, v10, v15
	s_delay_alu instid0(VALU_DEP_3) | instskip(SKIP_4) | instid1(VALU_DEP_2)
	v_cmp_ge_u32_e64 s19, v12, v49
	ds_load_u8 v15, v15
	s_waitcnt lgkmcnt(0)
	v_cndmask_b32_e64 v64, v15, v54, s16
	v_cndmask_b32_e64 v65, v55, v15, s16
	v_and_b32_e32 v15, v64, v11
	s_delay_alu instid0(VALU_DEP_2) | instskip(NEXT) | instid1(VALU_DEP_2)
	v_and_b32_e32 v17, v65, v11
	v_bfe_i32 v15, v15, 0, 8
	s_delay_alu instid0(VALU_DEP_2) | instskip(NEXT) | instid1(VALU_DEP_1)
	v_bfe_i32 v17, v17, 0, 8
	v_cmp_le_i16_e64 s18, v15, v17
	s_delay_alu instid0(VALU_DEP_1) | instskip(NEXT) | instid1(SALU_CYCLE_1)
	s_and_b32 s17, s17, s18
	s_or_b32 s17, s19, s17
	s_delay_alu instid0(SALU_CYCLE_1) | instskip(SKIP_2) | instid1(VALU_DEP_3)
	v_cndmask_b32_e64 v21, v12, v14, s17
	v_cndmask_b32_e64 v15, v49, v48, s17
	;; [unrolled: 1-line block ×3, first 2 shown]
	v_add_nc_u32_e32 v16, 1, v21
	s_delay_alu instid0(VALU_DEP_3) | instskip(SKIP_1) | instid1(VALU_DEP_3)
	v_add_nc_u32_e32 v15, -1, v15
	v_lshl_add_u32 v38, v21, 3, v9
	v_cndmask_b32_e64 v22, v14, v16, s17
	s_delay_alu instid0(VALU_DEP_3) | instskip(SKIP_2) | instid1(VALU_DEP_4)
	v_min_u32_e32 v15, v16, v15
	v_cndmask_b32_e64 v12, v16, v12, s17
	v_lshl_add_u32 v16, v5, 3, v9
	v_cmp_lt_u32_e64 s18, v22, v48
	s_delay_alu instid0(VALU_DEP_4) | instskip(NEXT) | instid1(VALU_DEP_4)
	v_add_nc_u32_e32 v15, v10, v15
	v_cmp_ge_u32_e64 s20, v12, v49
	ds_load_u8 v15, v15
	s_waitcnt lgkmcnt(0)
	v_cndmask_b32_e64 v66, v15, v64, s17
	v_cndmask_b32_e64 v67, v65, v15, s17
	s_delay_alu instid0(VALU_DEP_2) | instskip(NEXT) | instid1(VALU_DEP_2)
	v_and_b32_e32 v15, v66, v11
	v_and_b32_e32 v17, v67, v11
	s_delay_alu instid0(VALU_DEP_2) | instskip(NEXT) | instid1(VALU_DEP_2)
	v_bfe_i32 v14, v15, 0, 8
	v_bfe_i32 v15, v17, 0, 8
	s_delay_alu instid0(VALU_DEP_1)
	v_cmp_le_i16_e64 s19, v14, v15
	ds_load_b64 v[4:5], v4 offset:2048
	ds_load_b64 v[14:15], v16 offset:2048
	;; [unrolled: 1-line block ×3, first 2 shown]
	v_lshl_add_u32 v13, v18, 3, v9
	v_lshl_add_u32 v18, v19, 3, v9
	s_and_b32 s18, s18, s19
	v_lshl_add_u32 v19, v20, 3, v9
	s_or_b32 s18, s20, s18
	s_delay_alu instid0(SALU_CYCLE_1) | instskip(NEXT) | instid1(VALU_DEP_1)
	v_cndmask_b32_e64 v12, v12, v22, s18
	v_lshl_add_u32 v12, v12, 3, v9
	ds_load_b64 v[22:23], v13 offset:2048
	ds_load_b64 v[26:27], v18 offset:2048
	;; [unrolled: 1-line block ×5, first 2 shown]
	v_cndmask_b32_e64 v38, v28, v35, s10
	v_cndmask_b32_e64 v28, v50, v51, s14
	;; [unrolled: 1-line block ×3, first 2 shown]
.LBB307_40:
	s_or_b32 exec_lo, exec_lo, s22
	v_and_b32_e32 v51, 0xe0, v34
	v_and_b32_e32 v52, 24, v34
	s_mov_b32 s10, exec_lo
	; wave barrier
	s_delay_alu instid0(VALU_DEP_2) | instskip(NEXT) | instid1(VALU_DEP_2)
	v_or_b32_e32 v48, 16, v51
	v_min_u32_e32 v52, v29, v52
	s_delay_alu instid0(VALU_DEP_2)
	v_min_u32_e32 v49, v29, v48
	v_add_nc_u32_e32 v48, v10, v34
	ds_store_b8 v48, v24
	s_waitcnt lgkmcnt(8)
	ds_store_b64 v30, v[4:5] offset:2048
	ds_store_b8 v48, v38 offset:1
	s_waitcnt lgkmcnt(9)
	ds_store_b64 v31, v[14:15] offset:8
	v_add_nc_u32_e32 v50, 16, v49
	v_sub_nc_u32_e32 v54, v49, v51
	ds_store_b8 v48, v39 offset:2
	s_waitcnt lgkmcnt(10)
	ds_store_b64 v31, v[16:17] offset:16
	ds_store_b8 v48, v28 offset:3
	s_waitcnt lgkmcnt(11)
	ds_store_b64 v31, v[22:23] offset:24
	;; [unrolled: 3-line block ×6, first 2 shown]
	v_min_u32_e32 v50, v29, v50
	v_min_u32_e32 v54, v52, v54
	; wave barrier
	s_delay_alu instid0(VALU_DEP_2) | instskip(NEXT) | instid1(VALU_DEP_1)
	v_sub_nc_u32_e32 v53, v50, v49
	v_sub_nc_u32_e64 v53, v52, v53 clamp
	s_delay_alu instid0(VALU_DEP_1)
	v_cmpx_lt_u32_e64 v53, v54
	s_cbranch_execz .LBB307_44
; %bb.41:
	v_add_nc_u32_e32 v55, v10, v51
	v_add3_u32 v64, v10, v49, v52
	s_mov_b32 s11, 0
	.p2align	6
.LBB307_42:                             ; =>This Inner Loop Header: Depth=1
	v_add_nc_u32_e32 v65, v54, v53
	s_delay_alu instid0(VALU_DEP_1) | instskip(NEXT) | instid1(VALU_DEP_1)
	v_lshrrev_b32_e32 v65, 1, v65
	v_xad_u32 v66, v65, -1, v64
	v_add_nc_u32_e32 v67, v55, v65
	v_add_nc_u32_e32 v68, 1, v65
	ds_load_u8 v66, v66
	ds_load_u8 v67, v67
	s_waitcnt lgkmcnt(1)
	v_and_b32_e32 v66, v66, v11
	s_waitcnt lgkmcnt(0)
	v_and_b32_e32 v67, v67, v11
	s_delay_alu instid0(VALU_DEP_2) | instskip(NEXT) | instid1(VALU_DEP_2)
	v_bfe_i32 v66, v66, 0, 8
	v_bfe_i32 v67, v67, 0, 8
	s_delay_alu instid0(VALU_DEP_1) | instskip(NEXT) | instid1(VALU_DEP_1)
	v_cmp_gt_i16_e64 s7, v66, v67
	v_cndmask_b32_e64 v54, v54, v65, s7
	v_cndmask_b32_e64 v53, v68, v53, s7
	s_delay_alu instid0(VALU_DEP_1) | instskip(NEXT) | instid1(VALU_DEP_1)
	v_cmp_ge_u32_e64 s7, v53, v54
	s_or_b32 s11, s7, s11
	s_delay_alu instid0(SALU_CYCLE_1)
	s_and_not1_b32 exec_lo, exec_lo, s11
	s_cbranch_execnz .LBB307_42
; %bb.43:
	s_or_b32 exec_lo, exec_lo, s11
.LBB307_44:
	s_delay_alu instid0(SALU_CYCLE_1) | instskip(SKIP_2) | instid1(VALU_DEP_2)
	s_or_b32 exec_lo, exec_lo, s10
	v_add_nc_u32_e32 v54, v49, v52
	v_add_nc_u32_e32 v52, v53, v51
	v_sub_nc_u32_e32 v51, v54, v53
	s_delay_alu instid0(VALU_DEP_2) | instskip(NEXT) | instid1(VALU_DEP_2)
	v_cmp_le_u32_e64 s7, v52, v49
	v_cmp_le_u32_e64 s10, v51, v50
	s_delay_alu instid0(VALU_DEP_1) | instskip(NEXT) | instid1(SALU_CYCLE_1)
	s_or_b32 s7, s7, s10
	s_and_saveexec_b32 s22, s7
	s_cbranch_execz .LBB307_50
; %bb.45:
	v_cmp_lt_u32_e64 s7, v52, v49
                                        ; implicit-def: $vgpr24
	s_delay_alu instid0(VALU_DEP_1)
	s_and_saveexec_b32 s10, s7
	s_cbranch_execz .LBB307_47
; %bb.46:
	v_add_nc_u32_e32 v4, v10, v52
	ds_load_u8 v24, v4
.LBB307_47:
	s_or_b32 exec_lo, exec_lo, s10
	v_cmp_ge_u32_e64 s10, v51, v50
	s_mov_b32 s14, exec_lo
                                        ; implicit-def: $vgpr25
	v_cmpx_lt_u32_e64 v51, v50
	s_cbranch_execz .LBB307_49
; %bb.48:
	v_add_nc_u32_e32 v4, v10, v51
	ds_load_u8 v25, v4
.LBB307_49:
	s_or_b32 exec_lo, exec_lo, s14
	s_waitcnt lgkmcnt(0)
	v_and_b32_e32 v4, v25, v11
	v_and_b32_e32 v5, v24, v11
	s_delay_alu instid0(VALU_DEP_2) | instskip(NEXT) | instid1(VALU_DEP_2)
	v_bfe_i32 v4, v4, 0, 8
	v_bfe_i32 v5, v5, 0, 8
	s_delay_alu instid0(VALU_DEP_1) | instskip(NEXT) | instid1(VALU_DEP_1)
	v_cmp_le_i16_e64 s11, v4, v5
	s_and_b32 s7, s7, s11
	s_delay_alu instid0(SALU_CYCLE_1) | instskip(NEXT) | instid1(SALU_CYCLE_1)
	s_or_b32 s7, s10, s7
	v_cndmask_b32_e64 v4, v51, v52, s7
	v_cndmask_b32_e64 v5, v50, v49, s7
	s_delay_alu instid0(VALU_DEP_2) | instskip(NEXT) | instid1(VALU_DEP_2)
	v_add_nc_u32_e32 v12, 1, v4
	v_add_nc_u32_e32 v5, -1, v5
	v_lshl_add_u32 v4, v4, 3, v9
	s_delay_alu instid0(VALU_DEP_3) | instskip(NEXT) | instid1(VALU_DEP_3)
	v_cndmask_b32_e64 v14, v52, v12, s7
	v_min_u32_e32 v5, v12, v5
	v_cndmask_b32_e64 v12, v12, v51, s7
	s_delay_alu instid0(VALU_DEP_3) | instskip(NEXT) | instid1(VALU_DEP_3)
	v_cmp_lt_u32_e64 s10, v14, v49
	v_add_nc_u32_e32 v5, v10, v5
	s_delay_alu instid0(VALU_DEP_3)
	v_cmp_ge_u32_e64 s14, v12, v50
	ds_load_u8 v5, v5
	s_waitcnt lgkmcnt(0)
	v_cndmask_b32_e64 v28, v5, v25, s7
	v_cndmask_b32_e64 v35, v24, v5, s7
	;; [unrolled: 1-line block ×3, first 2 shown]
	s_delay_alu instid0(VALU_DEP_3) | instskip(NEXT) | instid1(VALU_DEP_3)
	v_and_b32_e32 v5, v28, v11
	v_and_b32_e32 v13, v35, v11
	s_delay_alu instid0(VALU_DEP_2) | instskip(NEXT) | instid1(VALU_DEP_2)
	v_bfe_i32 v5, v5, 0, 8
	v_bfe_i32 v13, v13, 0, 8
	s_delay_alu instid0(VALU_DEP_1) | instskip(NEXT) | instid1(VALU_DEP_1)
	v_cmp_le_i16_e64 s11, v5, v13
	s_and_b32 s10, s10, s11
	s_delay_alu instid0(SALU_CYCLE_1) | instskip(NEXT) | instid1(SALU_CYCLE_1)
	s_or_b32 s10, s14, s10
	v_cndmask_b32_e64 v5, v12, v14, s10
	v_cndmask_b32_e64 v13, v50, v49, s10
	s_delay_alu instid0(VALU_DEP_2) | instskip(NEXT) | instid1(VALU_DEP_2)
	v_add_nc_u32_e32 v15, 1, v5
	v_add_nc_u32_e32 v13, -1, v13
	s_delay_alu instid0(VALU_DEP_2) | instskip(NEXT) | instid1(VALU_DEP_2)
	v_cndmask_b32_e64 v14, v14, v15, s10
	v_min_u32_e32 v13, v15, v13
	v_cndmask_b32_e64 v12, v15, v12, s10
	s_delay_alu instid0(VALU_DEP_3) | instskip(NEXT) | instid1(VALU_DEP_3)
	v_cmp_lt_u32_e64 s11, v14, v49
	v_add_nc_u32_e32 v13, v10, v13
	s_delay_alu instid0(VALU_DEP_3) | instskip(SKIP_4) | instid1(VALU_DEP_2)
	v_cmp_ge_u32_e64 s15, v12, v50
	ds_load_u8 v13, v13
	s_waitcnt lgkmcnt(0)
	v_cndmask_b32_e64 v36, v13, v28, s10
	v_cndmask_b32_e64 v37, v35, v13, s10
	v_and_b32_e32 v13, v36, v11
	s_delay_alu instid0(VALU_DEP_2) | instskip(NEXT) | instid1(VALU_DEP_2)
	v_and_b32_e32 v16, v37, v11
	v_bfe_i32 v13, v13, 0, 8
	s_delay_alu instid0(VALU_DEP_2) | instskip(NEXT) | instid1(VALU_DEP_1)
	v_bfe_i32 v16, v16, 0, 8
	v_cmp_le_i16_e64 s14, v13, v16
	s_delay_alu instid0(VALU_DEP_1) | instskip(NEXT) | instid1(SALU_CYCLE_1)
	s_and_b32 s11, s11, s14
	s_or_b32 s11, s15, s11
	s_delay_alu instid0(SALU_CYCLE_1) | instskip(SKIP_2) | instid1(VALU_DEP_3)
	v_cndmask_b32_e64 v13, v12, v14, s11
	v_cndmask_b32_e64 v15, v50, v49, s11
	;; [unrolled: 1-line block ×3, first 2 shown]
	v_add_nc_u32_e32 v16, 1, v13
	s_delay_alu instid0(VALU_DEP_3) | instskip(SKIP_1) | instid1(VALU_DEP_3)
	v_add_nc_u32_e32 v15, -1, v15
	v_lshl_add_u32 v13, v13, 3, v9
	v_cndmask_b32_e64 v14, v14, v16, s11
	s_delay_alu instid0(VALU_DEP_3) | instskip(SKIP_1) | instid1(VALU_DEP_3)
	v_min_u32_e32 v15, v16, v15
	v_cndmask_b32_e64 v12, v16, v12, s11
	v_cmp_lt_u32_e64 s14, v14, v49
	s_delay_alu instid0(VALU_DEP_3) | instskip(NEXT) | instid1(VALU_DEP_3)
	v_add_nc_u32_e32 v15, v10, v15
	v_cmp_ge_u32_e64 s16, v12, v50
	ds_load_u8 v15, v15
	s_waitcnt lgkmcnt(0)
	v_cndmask_b32_e64 v51, v15, v36, s11
	v_cndmask_b32_e64 v52, v37, v15, s11
	s_delay_alu instid0(VALU_DEP_2) | instskip(NEXT) | instid1(VALU_DEP_2)
	v_and_b32_e32 v15, v51, v11
	v_and_b32_e32 v17, v52, v11
	s_delay_alu instid0(VALU_DEP_2) | instskip(NEXT) | instid1(VALU_DEP_2)
	v_bfe_i32 v15, v15, 0, 8
	v_bfe_i32 v17, v17, 0, 8
	s_delay_alu instid0(VALU_DEP_1) | instskip(NEXT) | instid1(VALU_DEP_1)
	v_cmp_le_i16_e64 s15, v15, v17
	s_and_b32 s14, s14, s15
	s_delay_alu instid0(SALU_CYCLE_1) | instskip(NEXT) | instid1(SALU_CYCLE_1)
	s_or_b32 s14, s16, s14
	v_cndmask_b32_e64 v18, v12, v14, s14
	v_cndmask_b32_e64 v15, v50, v49, s14
	s_delay_alu instid0(VALU_DEP_2) | instskip(NEXT) | instid1(VALU_DEP_2)
	v_add_nc_u32_e32 v16, 1, v18
	v_add_nc_u32_e32 v15, -1, v15
	s_delay_alu instid0(VALU_DEP_2) | instskip(NEXT) | instid1(VALU_DEP_2)
	v_cndmask_b32_e64 v14, v14, v16, s14
	v_min_u32_e32 v15, v16, v15
	v_cndmask_b32_e64 v12, v16, v12, s14
	s_delay_alu instid0(VALU_DEP_3) | instskip(NEXT) | instid1(VALU_DEP_3)
	v_cmp_lt_u32_e64 s15, v14, v49
	v_add_nc_u32_e32 v15, v10, v15
	s_delay_alu instid0(VALU_DEP_3) | instskip(SKIP_4) | instid1(VALU_DEP_2)
	v_cmp_ge_u32_e64 s17, v12, v50
	ds_load_u8 v15, v15
	s_waitcnt lgkmcnt(0)
	v_cndmask_b32_e64 v53, v15, v51, s14
	v_cndmask_b32_e64 v54, v52, v15, s14
	v_and_b32_e32 v15, v53, v11
	s_delay_alu instid0(VALU_DEP_2) | instskip(NEXT) | instid1(VALU_DEP_2)
	v_and_b32_e32 v17, v54, v11
	v_bfe_i32 v15, v15, 0, 8
	s_delay_alu instid0(VALU_DEP_2) | instskip(NEXT) | instid1(VALU_DEP_1)
	v_bfe_i32 v17, v17, 0, 8
	v_cmp_le_i16_e64 s16, v15, v17
	s_delay_alu instid0(VALU_DEP_1) | instskip(NEXT) | instid1(SALU_CYCLE_1)
	s_and_b32 s15, s15, s16
	s_or_b32 s15, s17, s15
	s_delay_alu instid0(SALU_CYCLE_1) | instskip(SKIP_2) | instid1(VALU_DEP_3)
	v_cndmask_b32_e64 v19, v12, v14, s15
	v_cndmask_b32_e64 v15, v50, v49, s15
	;; [unrolled: 1-line block ×3, first 2 shown]
	v_add_nc_u32_e32 v16, 1, v19
	s_delay_alu instid0(VALU_DEP_3) | instskip(NEXT) | instid1(VALU_DEP_2)
	v_add_nc_u32_e32 v15, -1, v15
	v_cndmask_b32_e64 v14, v14, v16, s15
	s_delay_alu instid0(VALU_DEP_2) | instskip(SKIP_1) | instid1(VALU_DEP_3)
	v_min_u32_e32 v15, v16, v15
	v_cndmask_b32_e64 v12, v16, v12, s15
	v_cmp_lt_u32_e64 s16, v14, v49
	s_delay_alu instid0(VALU_DEP_3) | instskip(NEXT) | instid1(VALU_DEP_3)
	v_add_nc_u32_e32 v15, v10, v15
	v_cmp_ge_u32_e64 s18, v12, v50
	ds_load_u8 v15, v15
	s_waitcnt lgkmcnt(0)
	v_cndmask_b32_e64 v55, v15, v53, s15
	v_cndmask_b32_e64 v64, v54, v15, s15
	s_delay_alu instid0(VALU_DEP_2) | instskip(NEXT) | instid1(VALU_DEP_2)
	v_and_b32_e32 v15, v55, v11
	v_and_b32_e32 v17, v64, v11
	s_delay_alu instid0(VALU_DEP_2) | instskip(NEXT) | instid1(VALU_DEP_2)
	v_bfe_i32 v15, v15, 0, 8
	v_bfe_i32 v17, v17, 0, 8
	s_delay_alu instid0(VALU_DEP_1) | instskip(NEXT) | instid1(VALU_DEP_1)
	v_cmp_le_i16_e64 s17, v15, v17
	s_and_b32 s16, s16, s17
	s_delay_alu instid0(SALU_CYCLE_1) | instskip(NEXT) | instid1(SALU_CYCLE_1)
	s_or_b32 s16, s18, s16
	v_cndmask_b32_e64 v20, v12, v14, s16
	v_cndmask_b32_e64 v15, v50, v49, s16
	;; [unrolled: 1-line block ×3, first 2 shown]
	s_delay_alu instid0(VALU_DEP_3) | instskip(NEXT) | instid1(VALU_DEP_3)
	v_add_nc_u32_e32 v16, 1, v20
	v_add_nc_u32_e32 v15, -1, v15
	s_delay_alu instid0(VALU_DEP_2) | instskip(NEXT) | instid1(VALU_DEP_2)
	v_cndmask_b32_e64 v14, v14, v16, s16
	v_min_u32_e32 v15, v16, v15
	v_cndmask_b32_e64 v12, v16, v12, s16
	s_delay_alu instid0(VALU_DEP_3) | instskip(NEXT) | instid1(VALU_DEP_3)
	v_cmp_lt_u32_e64 s17, v14, v49
	v_add_nc_u32_e32 v15, v10, v15
	s_delay_alu instid0(VALU_DEP_3) | instskip(SKIP_4) | instid1(VALU_DEP_2)
	v_cmp_ge_u32_e64 s19, v12, v50
	ds_load_u8 v15, v15
	s_waitcnt lgkmcnt(0)
	v_cndmask_b32_e64 v65, v15, v55, s16
	v_cndmask_b32_e64 v66, v64, v15, s16
	v_and_b32_e32 v15, v65, v11
	s_delay_alu instid0(VALU_DEP_2) | instskip(NEXT) | instid1(VALU_DEP_2)
	v_and_b32_e32 v17, v66, v11
	v_bfe_i32 v15, v15, 0, 8
	s_delay_alu instid0(VALU_DEP_2) | instskip(NEXT) | instid1(VALU_DEP_1)
	v_bfe_i32 v17, v17, 0, 8
	v_cmp_le_i16_e64 s18, v15, v17
	s_delay_alu instid0(VALU_DEP_1) | instskip(NEXT) | instid1(SALU_CYCLE_1)
	s_and_b32 s17, s17, s18
	s_or_b32 s17, s19, s17
	s_delay_alu instid0(SALU_CYCLE_1) | instskip(SKIP_2) | instid1(VALU_DEP_3)
	v_cndmask_b32_e64 v21, v12, v14, s17
	v_cndmask_b32_e64 v15, v50, v49, s17
	;; [unrolled: 1-line block ×3, first 2 shown]
	v_add_nc_u32_e32 v16, 1, v21
	s_delay_alu instid0(VALU_DEP_3) | instskip(SKIP_1) | instid1(VALU_DEP_3)
	v_add_nc_u32_e32 v15, -1, v15
	v_lshl_add_u32 v38, v21, 3, v9
	v_cndmask_b32_e64 v22, v14, v16, s17
	s_delay_alu instid0(VALU_DEP_3) | instskip(SKIP_2) | instid1(VALU_DEP_4)
	v_min_u32_e32 v15, v16, v15
	v_cndmask_b32_e64 v12, v16, v12, s17
	v_lshl_add_u32 v16, v5, 3, v9
	v_cmp_lt_u32_e64 s18, v22, v49
	s_delay_alu instid0(VALU_DEP_4) | instskip(NEXT) | instid1(VALU_DEP_4)
	v_add_nc_u32_e32 v15, v10, v15
	v_cmp_ge_u32_e64 s20, v12, v50
	ds_load_u8 v15, v15
	s_waitcnt lgkmcnt(0)
	v_cndmask_b32_e64 v67, v15, v65, s17
	v_cndmask_b32_e64 v68, v66, v15, s17
	s_delay_alu instid0(VALU_DEP_2) | instskip(NEXT) | instid1(VALU_DEP_2)
	v_and_b32_e32 v15, v67, v11
	v_and_b32_e32 v17, v68, v11
	s_delay_alu instid0(VALU_DEP_2) | instskip(NEXT) | instid1(VALU_DEP_2)
	v_bfe_i32 v14, v15, 0, 8
	v_bfe_i32 v15, v17, 0, 8
	s_delay_alu instid0(VALU_DEP_1)
	v_cmp_le_i16_e64 s19, v14, v15
	ds_load_b64 v[4:5], v4 offset:2048
	ds_load_b64 v[14:15], v16 offset:2048
	;; [unrolled: 1-line block ×3, first 2 shown]
	v_lshl_add_u32 v13, v18, 3, v9
	v_lshl_add_u32 v18, v19, 3, v9
	s_and_b32 s18, s18, s19
	v_lshl_add_u32 v19, v20, 3, v9
	s_or_b32 s18, s20, s18
	s_delay_alu instid0(SALU_CYCLE_1) | instskip(NEXT) | instid1(VALU_DEP_1)
	v_cndmask_b32_e64 v12, v12, v22, s18
	v_lshl_add_u32 v12, v12, 3, v9
	ds_load_b64 v[22:23], v13 offset:2048
	ds_load_b64 v[26:27], v18 offset:2048
	;; [unrolled: 1-line block ×5, first 2 shown]
	v_cndmask_b32_e64 v38, v28, v35, s10
	v_cndmask_b32_e64 v28, v51, v52, s14
	;; [unrolled: 1-line block ×3, first 2 shown]
.LBB307_50:
	s_or_b32 exec_lo, exec_lo, s22
	v_and_b32_e32 v51, 0xc0, v34
	v_and_b32_e32 v52, 56, v34
	s_mov_b32 s10, exec_lo
	; wave barrier
	s_delay_alu instid0(VALU_DEP_2) | instskip(NEXT) | instid1(VALU_DEP_2)
	v_or_b32_e32 v49, 32, v51
	v_min_u32_e32 v52, v29, v52
	ds_store_b8 v48, v24
	s_waitcnt lgkmcnt(8)
	ds_store_b64 v30, v[4:5] offset:2048
	ds_store_b8 v48, v38 offset:1
	s_waitcnt lgkmcnt(9)
	ds_store_b64 v31, v[14:15] offset:8
	ds_store_b8 v48, v39 offset:2
	;; [unrolled: 3-line block ×3, first 2 shown]
	v_min_u32_e32 v49, v29, v49
	s_waitcnt lgkmcnt(11)
	ds_store_b64 v31, v[22:23] offset:24
	ds_store_b8 v48, v25 offset:4
	s_waitcnt lgkmcnt(12)
	ds_store_b64 v31, v[26:27] offset:32
	ds_store_b8 v48, v37 offset:5
	;; [unrolled: 3-line block ×4, first 2 shown]
	s_waitcnt lgkmcnt(15)
	ds_store_b64 v31, v[12:13] offset:56
	; wave barrier
	v_add_nc_u32_e32 v50, 32, v49
	v_sub_nc_u32_e32 v54, v49, v51
	s_delay_alu instid0(VALU_DEP_2) | instskip(NEXT) | instid1(VALU_DEP_2)
	v_min_u32_e32 v50, v29, v50
	v_min_u32_e32 v54, v52, v54
	s_delay_alu instid0(VALU_DEP_2) | instskip(NEXT) | instid1(VALU_DEP_1)
	v_sub_nc_u32_e32 v53, v50, v49
	v_sub_nc_u32_e64 v53, v52, v53 clamp
	s_delay_alu instid0(VALU_DEP_1)
	v_cmpx_lt_u32_e64 v53, v54
	s_cbranch_execz .LBB307_54
; %bb.51:
	v_add_nc_u32_e32 v55, v10, v51
	v_add3_u32 v64, v10, v49, v52
	s_mov_b32 s11, 0
	.p2align	6
.LBB307_52:                             ; =>This Inner Loop Header: Depth=1
	v_add_nc_u32_e32 v65, v54, v53
	s_delay_alu instid0(VALU_DEP_1) | instskip(NEXT) | instid1(VALU_DEP_1)
	v_lshrrev_b32_e32 v65, 1, v65
	v_xad_u32 v66, v65, -1, v64
	v_add_nc_u32_e32 v67, v55, v65
	v_add_nc_u32_e32 v68, 1, v65
	ds_load_u8 v66, v66
	ds_load_u8 v67, v67
	s_waitcnt lgkmcnt(1)
	v_and_b32_e32 v66, v66, v11
	s_waitcnt lgkmcnt(0)
	v_and_b32_e32 v67, v67, v11
	s_delay_alu instid0(VALU_DEP_2) | instskip(NEXT) | instid1(VALU_DEP_2)
	v_bfe_i32 v66, v66, 0, 8
	v_bfe_i32 v67, v67, 0, 8
	s_delay_alu instid0(VALU_DEP_1) | instskip(NEXT) | instid1(VALU_DEP_1)
	v_cmp_gt_i16_e64 s7, v66, v67
	v_cndmask_b32_e64 v54, v54, v65, s7
	v_cndmask_b32_e64 v53, v68, v53, s7
	s_delay_alu instid0(VALU_DEP_1) | instskip(NEXT) | instid1(VALU_DEP_1)
	v_cmp_ge_u32_e64 s7, v53, v54
	s_or_b32 s11, s7, s11
	s_delay_alu instid0(SALU_CYCLE_1)
	s_and_not1_b32 exec_lo, exec_lo, s11
	s_cbranch_execnz .LBB307_52
; %bb.53:
	s_or_b32 exec_lo, exec_lo, s11
.LBB307_54:
	s_delay_alu instid0(SALU_CYCLE_1) | instskip(SKIP_2) | instid1(VALU_DEP_2)
	s_or_b32 exec_lo, exec_lo, s10
	v_add_nc_u32_e32 v54, v49, v52
	v_add_nc_u32_e32 v52, v53, v51
	v_sub_nc_u32_e32 v51, v54, v53
	s_delay_alu instid0(VALU_DEP_2) | instskip(NEXT) | instid1(VALU_DEP_2)
	v_cmp_le_u32_e64 s7, v52, v49
	v_cmp_le_u32_e64 s10, v51, v50
	s_delay_alu instid0(VALU_DEP_1) | instskip(NEXT) | instid1(SALU_CYCLE_1)
	s_or_b32 s7, s7, s10
	s_and_saveexec_b32 s22, s7
	s_cbranch_execz .LBB307_60
; %bb.55:
	v_cmp_lt_u32_e64 s7, v52, v49
                                        ; implicit-def: $vgpr24
	s_delay_alu instid0(VALU_DEP_1)
	s_and_saveexec_b32 s10, s7
	s_cbranch_execz .LBB307_57
; %bb.56:
	v_add_nc_u32_e32 v4, v10, v52
	ds_load_u8 v24, v4
.LBB307_57:
	s_or_b32 exec_lo, exec_lo, s10
	v_cmp_ge_u32_e64 s10, v51, v50
	s_mov_b32 s14, exec_lo
                                        ; implicit-def: $vgpr25
	v_cmpx_lt_u32_e64 v51, v50
	s_cbranch_execz .LBB307_59
; %bb.58:
	v_add_nc_u32_e32 v4, v10, v51
	ds_load_u8 v25, v4
.LBB307_59:
	s_or_b32 exec_lo, exec_lo, s14
	s_waitcnt lgkmcnt(0)
	v_and_b32_e32 v4, v25, v11
	v_and_b32_e32 v5, v24, v11
	s_delay_alu instid0(VALU_DEP_2) | instskip(NEXT) | instid1(VALU_DEP_2)
	v_bfe_i32 v4, v4, 0, 8
	v_bfe_i32 v5, v5, 0, 8
	s_delay_alu instid0(VALU_DEP_1) | instskip(NEXT) | instid1(VALU_DEP_1)
	v_cmp_le_i16_e64 s11, v4, v5
	s_and_b32 s7, s7, s11
	s_delay_alu instid0(SALU_CYCLE_1) | instskip(NEXT) | instid1(SALU_CYCLE_1)
	s_or_b32 s7, s10, s7
	v_cndmask_b32_e64 v4, v51, v52, s7
	v_cndmask_b32_e64 v5, v50, v49, s7
	s_delay_alu instid0(VALU_DEP_2) | instskip(NEXT) | instid1(VALU_DEP_2)
	v_add_nc_u32_e32 v12, 1, v4
	v_add_nc_u32_e32 v5, -1, v5
	v_lshl_add_u32 v4, v4, 3, v9
	s_delay_alu instid0(VALU_DEP_3) | instskip(NEXT) | instid1(VALU_DEP_3)
	v_cndmask_b32_e64 v14, v52, v12, s7
	v_min_u32_e32 v5, v12, v5
	v_cndmask_b32_e64 v12, v12, v51, s7
	s_delay_alu instid0(VALU_DEP_3) | instskip(NEXT) | instid1(VALU_DEP_3)
	v_cmp_lt_u32_e64 s10, v14, v49
	v_add_nc_u32_e32 v5, v10, v5
	s_delay_alu instid0(VALU_DEP_3)
	v_cmp_ge_u32_e64 s14, v12, v50
	ds_load_u8 v5, v5
	s_waitcnt lgkmcnt(0)
	v_cndmask_b32_e64 v28, v5, v25, s7
	v_cndmask_b32_e64 v35, v24, v5, s7
	;; [unrolled: 1-line block ×3, first 2 shown]
	s_delay_alu instid0(VALU_DEP_3) | instskip(NEXT) | instid1(VALU_DEP_3)
	v_and_b32_e32 v5, v28, v11
	v_and_b32_e32 v13, v35, v11
	s_delay_alu instid0(VALU_DEP_2) | instskip(NEXT) | instid1(VALU_DEP_2)
	v_bfe_i32 v5, v5, 0, 8
	v_bfe_i32 v13, v13, 0, 8
	s_delay_alu instid0(VALU_DEP_1) | instskip(NEXT) | instid1(VALU_DEP_1)
	v_cmp_le_i16_e64 s11, v5, v13
	s_and_b32 s10, s10, s11
	s_delay_alu instid0(SALU_CYCLE_1) | instskip(NEXT) | instid1(SALU_CYCLE_1)
	s_or_b32 s10, s14, s10
	v_cndmask_b32_e64 v5, v12, v14, s10
	v_cndmask_b32_e64 v13, v50, v49, s10
	s_delay_alu instid0(VALU_DEP_2) | instskip(NEXT) | instid1(VALU_DEP_2)
	v_add_nc_u32_e32 v15, 1, v5
	v_add_nc_u32_e32 v13, -1, v13
	s_delay_alu instid0(VALU_DEP_2) | instskip(NEXT) | instid1(VALU_DEP_2)
	v_cndmask_b32_e64 v14, v14, v15, s10
	v_min_u32_e32 v13, v15, v13
	v_cndmask_b32_e64 v12, v15, v12, s10
	s_delay_alu instid0(VALU_DEP_3) | instskip(NEXT) | instid1(VALU_DEP_3)
	v_cmp_lt_u32_e64 s11, v14, v49
	v_add_nc_u32_e32 v13, v10, v13
	s_delay_alu instid0(VALU_DEP_3) | instskip(SKIP_4) | instid1(VALU_DEP_2)
	v_cmp_ge_u32_e64 s15, v12, v50
	ds_load_u8 v13, v13
	s_waitcnt lgkmcnt(0)
	v_cndmask_b32_e64 v36, v13, v28, s10
	v_cndmask_b32_e64 v37, v35, v13, s10
	v_and_b32_e32 v13, v36, v11
	s_delay_alu instid0(VALU_DEP_2) | instskip(NEXT) | instid1(VALU_DEP_2)
	v_and_b32_e32 v16, v37, v11
	v_bfe_i32 v13, v13, 0, 8
	s_delay_alu instid0(VALU_DEP_2) | instskip(NEXT) | instid1(VALU_DEP_1)
	v_bfe_i32 v16, v16, 0, 8
	v_cmp_le_i16_e64 s14, v13, v16
	s_delay_alu instid0(VALU_DEP_1) | instskip(NEXT) | instid1(SALU_CYCLE_1)
	s_and_b32 s11, s11, s14
	s_or_b32 s11, s15, s11
	s_delay_alu instid0(SALU_CYCLE_1) | instskip(SKIP_2) | instid1(VALU_DEP_3)
	v_cndmask_b32_e64 v13, v12, v14, s11
	v_cndmask_b32_e64 v15, v50, v49, s11
	;; [unrolled: 1-line block ×3, first 2 shown]
	v_add_nc_u32_e32 v16, 1, v13
	s_delay_alu instid0(VALU_DEP_3) | instskip(SKIP_1) | instid1(VALU_DEP_3)
	v_add_nc_u32_e32 v15, -1, v15
	v_lshl_add_u32 v13, v13, 3, v9
	v_cndmask_b32_e64 v14, v14, v16, s11
	s_delay_alu instid0(VALU_DEP_3) | instskip(SKIP_1) | instid1(VALU_DEP_3)
	v_min_u32_e32 v15, v16, v15
	v_cndmask_b32_e64 v12, v16, v12, s11
	v_cmp_lt_u32_e64 s14, v14, v49
	s_delay_alu instid0(VALU_DEP_3) | instskip(NEXT) | instid1(VALU_DEP_3)
	v_add_nc_u32_e32 v15, v10, v15
	v_cmp_ge_u32_e64 s16, v12, v50
	ds_load_u8 v15, v15
	s_waitcnt lgkmcnt(0)
	v_cndmask_b32_e64 v51, v15, v36, s11
	v_cndmask_b32_e64 v52, v37, v15, s11
	s_delay_alu instid0(VALU_DEP_2) | instskip(NEXT) | instid1(VALU_DEP_2)
	v_and_b32_e32 v15, v51, v11
	v_and_b32_e32 v17, v52, v11
	s_delay_alu instid0(VALU_DEP_2) | instskip(NEXT) | instid1(VALU_DEP_2)
	v_bfe_i32 v15, v15, 0, 8
	v_bfe_i32 v17, v17, 0, 8
	s_delay_alu instid0(VALU_DEP_1) | instskip(NEXT) | instid1(VALU_DEP_1)
	v_cmp_le_i16_e64 s15, v15, v17
	s_and_b32 s14, s14, s15
	s_delay_alu instid0(SALU_CYCLE_1) | instskip(NEXT) | instid1(SALU_CYCLE_1)
	s_or_b32 s14, s16, s14
	v_cndmask_b32_e64 v18, v12, v14, s14
	v_cndmask_b32_e64 v15, v50, v49, s14
	s_delay_alu instid0(VALU_DEP_2) | instskip(NEXT) | instid1(VALU_DEP_2)
	v_add_nc_u32_e32 v16, 1, v18
	v_add_nc_u32_e32 v15, -1, v15
	s_delay_alu instid0(VALU_DEP_2) | instskip(NEXT) | instid1(VALU_DEP_2)
	v_cndmask_b32_e64 v14, v14, v16, s14
	v_min_u32_e32 v15, v16, v15
	v_cndmask_b32_e64 v12, v16, v12, s14
	s_delay_alu instid0(VALU_DEP_3) | instskip(NEXT) | instid1(VALU_DEP_3)
	v_cmp_lt_u32_e64 s15, v14, v49
	v_add_nc_u32_e32 v15, v10, v15
	s_delay_alu instid0(VALU_DEP_3) | instskip(SKIP_4) | instid1(VALU_DEP_2)
	v_cmp_ge_u32_e64 s17, v12, v50
	ds_load_u8 v15, v15
	s_waitcnt lgkmcnt(0)
	v_cndmask_b32_e64 v53, v15, v51, s14
	v_cndmask_b32_e64 v54, v52, v15, s14
	v_and_b32_e32 v15, v53, v11
	s_delay_alu instid0(VALU_DEP_2) | instskip(NEXT) | instid1(VALU_DEP_2)
	v_and_b32_e32 v17, v54, v11
	v_bfe_i32 v15, v15, 0, 8
	s_delay_alu instid0(VALU_DEP_2) | instskip(NEXT) | instid1(VALU_DEP_1)
	v_bfe_i32 v17, v17, 0, 8
	v_cmp_le_i16_e64 s16, v15, v17
	s_delay_alu instid0(VALU_DEP_1) | instskip(NEXT) | instid1(SALU_CYCLE_1)
	s_and_b32 s15, s15, s16
	s_or_b32 s15, s17, s15
	s_delay_alu instid0(SALU_CYCLE_1) | instskip(SKIP_2) | instid1(VALU_DEP_3)
	v_cndmask_b32_e64 v19, v12, v14, s15
	v_cndmask_b32_e64 v15, v50, v49, s15
	;; [unrolled: 1-line block ×3, first 2 shown]
	v_add_nc_u32_e32 v16, 1, v19
	s_delay_alu instid0(VALU_DEP_3) | instskip(NEXT) | instid1(VALU_DEP_2)
	v_add_nc_u32_e32 v15, -1, v15
	v_cndmask_b32_e64 v14, v14, v16, s15
	s_delay_alu instid0(VALU_DEP_2) | instskip(SKIP_1) | instid1(VALU_DEP_3)
	v_min_u32_e32 v15, v16, v15
	v_cndmask_b32_e64 v12, v16, v12, s15
	v_cmp_lt_u32_e64 s16, v14, v49
	s_delay_alu instid0(VALU_DEP_3) | instskip(NEXT) | instid1(VALU_DEP_3)
	v_add_nc_u32_e32 v15, v10, v15
	v_cmp_ge_u32_e64 s18, v12, v50
	ds_load_u8 v15, v15
	s_waitcnt lgkmcnt(0)
	v_cndmask_b32_e64 v55, v15, v53, s15
	v_cndmask_b32_e64 v64, v54, v15, s15
	s_delay_alu instid0(VALU_DEP_2) | instskip(NEXT) | instid1(VALU_DEP_2)
	v_and_b32_e32 v15, v55, v11
	v_and_b32_e32 v17, v64, v11
	s_delay_alu instid0(VALU_DEP_2) | instskip(NEXT) | instid1(VALU_DEP_2)
	v_bfe_i32 v15, v15, 0, 8
	v_bfe_i32 v17, v17, 0, 8
	s_delay_alu instid0(VALU_DEP_1) | instskip(NEXT) | instid1(VALU_DEP_1)
	v_cmp_le_i16_e64 s17, v15, v17
	s_and_b32 s16, s16, s17
	s_delay_alu instid0(SALU_CYCLE_1) | instskip(NEXT) | instid1(SALU_CYCLE_1)
	s_or_b32 s16, s18, s16
	v_cndmask_b32_e64 v20, v12, v14, s16
	v_cndmask_b32_e64 v15, v50, v49, s16
	;; [unrolled: 1-line block ×3, first 2 shown]
	s_delay_alu instid0(VALU_DEP_3) | instskip(NEXT) | instid1(VALU_DEP_3)
	v_add_nc_u32_e32 v16, 1, v20
	v_add_nc_u32_e32 v15, -1, v15
	s_delay_alu instid0(VALU_DEP_2) | instskip(NEXT) | instid1(VALU_DEP_2)
	v_cndmask_b32_e64 v14, v14, v16, s16
	v_min_u32_e32 v15, v16, v15
	v_cndmask_b32_e64 v12, v16, v12, s16
	s_delay_alu instid0(VALU_DEP_3) | instskip(NEXT) | instid1(VALU_DEP_3)
	v_cmp_lt_u32_e64 s17, v14, v49
	v_add_nc_u32_e32 v15, v10, v15
	s_delay_alu instid0(VALU_DEP_3) | instskip(SKIP_4) | instid1(VALU_DEP_2)
	v_cmp_ge_u32_e64 s19, v12, v50
	ds_load_u8 v15, v15
	s_waitcnt lgkmcnt(0)
	v_cndmask_b32_e64 v65, v15, v55, s16
	v_cndmask_b32_e64 v66, v64, v15, s16
	v_and_b32_e32 v15, v65, v11
	s_delay_alu instid0(VALU_DEP_2) | instskip(NEXT) | instid1(VALU_DEP_2)
	v_and_b32_e32 v17, v66, v11
	v_bfe_i32 v15, v15, 0, 8
	s_delay_alu instid0(VALU_DEP_2) | instskip(NEXT) | instid1(VALU_DEP_1)
	v_bfe_i32 v17, v17, 0, 8
	v_cmp_le_i16_e64 s18, v15, v17
	s_delay_alu instid0(VALU_DEP_1) | instskip(NEXT) | instid1(SALU_CYCLE_1)
	s_and_b32 s17, s17, s18
	s_or_b32 s17, s19, s17
	s_delay_alu instid0(SALU_CYCLE_1) | instskip(SKIP_2) | instid1(VALU_DEP_3)
	v_cndmask_b32_e64 v21, v12, v14, s17
	v_cndmask_b32_e64 v15, v50, v49, s17
	;; [unrolled: 1-line block ×3, first 2 shown]
	v_add_nc_u32_e32 v16, 1, v21
	s_delay_alu instid0(VALU_DEP_3) | instskip(SKIP_1) | instid1(VALU_DEP_3)
	v_add_nc_u32_e32 v15, -1, v15
	v_lshl_add_u32 v38, v21, 3, v9
	v_cndmask_b32_e64 v22, v14, v16, s17
	s_delay_alu instid0(VALU_DEP_3) | instskip(SKIP_2) | instid1(VALU_DEP_4)
	v_min_u32_e32 v15, v16, v15
	v_cndmask_b32_e64 v12, v16, v12, s17
	v_lshl_add_u32 v16, v5, 3, v9
	v_cmp_lt_u32_e64 s18, v22, v49
	s_delay_alu instid0(VALU_DEP_4) | instskip(NEXT) | instid1(VALU_DEP_4)
	v_add_nc_u32_e32 v15, v10, v15
	v_cmp_ge_u32_e64 s20, v12, v50
	ds_load_u8 v15, v15
	s_waitcnt lgkmcnt(0)
	v_cndmask_b32_e64 v67, v15, v65, s17
	v_cndmask_b32_e64 v68, v66, v15, s17
	s_delay_alu instid0(VALU_DEP_2) | instskip(NEXT) | instid1(VALU_DEP_2)
	v_and_b32_e32 v15, v67, v11
	v_and_b32_e32 v17, v68, v11
	s_delay_alu instid0(VALU_DEP_2) | instskip(NEXT) | instid1(VALU_DEP_2)
	v_bfe_i32 v14, v15, 0, 8
	v_bfe_i32 v15, v17, 0, 8
	s_delay_alu instid0(VALU_DEP_1)
	v_cmp_le_i16_e64 s19, v14, v15
	ds_load_b64 v[4:5], v4 offset:2048
	ds_load_b64 v[14:15], v16 offset:2048
	;; [unrolled: 1-line block ×3, first 2 shown]
	v_lshl_add_u32 v13, v18, 3, v9
	v_lshl_add_u32 v18, v19, 3, v9
	s_and_b32 s18, s18, s19
	v_lshl_add_u32 v19, v20, 3, v9
	s_or_b32 s18, s20, s18
	s_delay_alu instid0(SALU_CYCLE_1) | instskip(NEXT) | instid1(VALU_DEP_1)
	v_cndmask_b32_e64 v12, v12, v22, s18
	v_lshl_add_u32 v12, v12, 3, v9
	ds_load_b64 v[22:23], v13 offset:2048
	ds_load_b64 v[26:27], v18 offset:2048
	;; [unrolled: 1-line block ×5, first 2 shown]
	v_cndmask_b32_e64 v38, v28, v35, s10
	v_cndmask_b32_e64 v28, v51, v52, s14
	;; [unrolled: 1-line block ×3, first 2 shown]
.LBB307_60:
	s_or_b32 exec_lo, exec_lo, s22
	v_and_b32_e32 v49, 0x80, v34
	; wave barrier
	ds_store_b8 v48, v24
	s_waitcnt lgkmcnt(8)
	ds_store_b64 v30, v[4:5] offset:2048
	ds_store_b8 v48, v38 offset:1
	s_waitcnt lgkmcnt(9)
	ds_store_b64 v31, v[14:15] offset:8
	s_mov_b32 s10, exec_lo
	v_or_b32_e32 v34, 64, v49
	ds_store_b8 v48, v39 offset:2
	s_waitcnt lgkmcnt(10)
	ds_store_b64 v31, v[16:17] offset:16
	ds_store_b8 v48, v28 offset:3
	s_waitcnt lgkmcnt(11)
	ds_store_b64 v31, v[22:23] offset:24
	;; [unrolled: 3-line block ×6, first 2 shown]
	v_min_u32_e32 v34, v29, v34
	; wave barrier
	s_delay_alu instid0(VALU_DEP_1) | instskip(SKIP_1) | instid1(VALU_DEP_2)
	v_add_nc_u32_e32 v50, 64, v34
	v_sub_nc_u32_e32 v51, v34, v49
	v_min_u32_e32 v30, v29, v50
	v_min_u32_e32 v29, v29, v32
	s_delay_alu instid0(VALU_DEP_2) | instskip(NEXT) | instid1(VALU_DEP_2)
	v_sub_nc_u32_e32 v50, v30, v34
	v_min_u32_e32 v51, v29, v51
	s_delay_alu instid0(VALU_DEP_2) | instskip(NEXT) | instid1(VALU_DEP_1)
	v_sub_nc_u32_e64 v50, v29, v50 clamp
	v_cmpx_lt_u32_e64 v50, v51
	s_cbranch_execz .LBB307_64
; %bb.61:
	v_add_nc_u32_e32 v31, v10, v49
	v_add3_u32 v48, v10, v34, v29
	s_mov_b32 s11, 0
	.p2align	6
.LBB307_62:                             ; =>This Inner Loop Header: Depth=1
	v_add_nc_u32_e32 v52, v51, v50
	s_delay_alu instid0(VALU_DEP_1) | instskip(NEXT) | instid1(VALU_DEP_1)
	v_lshrrev_b32_e32 v52, 1, v52
	v_xad_u32 v53, v52, -1, v48
	v_add_nc_u32_e32 v54, v31, v52
	v_add_nc_u32_e32 v55, 1, v52
	ds_load_u8 v53, v53
	ds_load_u8 v54, v54
	s_waitcnt lgkmcnt(1)
	v_and_b32_e32 v53, v53, v11
	s_waitcnt lgkmcnt(0)
	v_and_b32_e32 v54, v54, v11
	s_delay_alu instid0(VALU_DEP_2) | instskip(NEXT) | instid1(VALU_DEP_2)
	v_bfe_i32 v53, v53, 0, 8
	v_bfe_i32 v54, v54, 0, 8
	s_delay_alu instid0(VALU_DEP_1) | instskip(NEXT) | instid1(VALU_DEP_1)
	v_cmp_gt_i16_e64 s7, v53, v54
	v_cndmask_b32_e64 v51, v51, v52, s7
	v_cndmask_b32_e64 v50, v55, v50, s7
	s_delay_alu instid0(VALU_DEP_1) | instskip(NEXT) | instid1(VALU_DEP_1)
	v_cmp_ge_u32_e64 s7, v50, v51
	s_or_b32 s11, s7, s11
	s_delay_alu instid0(SALU_CYCLE_1)
	s_and_not1_b32 exec_lo, exec_lo, s11
	s_cbranch_execnz .LBB307_62
; %bb.63:
	s_or_b32 exec_lo, exec_lo, s11
.LBB307_64:
	s_delay_alu instid0(SALU_CYCLE_1) | instskip(SKIP_2) | instid1(VALU_DEP_2)
	s_or_b32 exec_lo, exec_lo, s10
	v_add_nc_u32_e32 v29, v34, v29
	v_add_nc_u32_e32 v31, v50, v49
	v_sub_nc_u32_e32 v29, v29, v50
	s_delay_alu instid0(VALU_DEP_2) | instskip(NEXT) | instid1(VALU_DEP_2)
	v_cmp_le_u32_e64 s7, v31, v34
	v_cmp_le_u32_e64 s10, v29, v30
	s_delay_alu instid0(VALU_DEP_1) | instskip(NEXT) | instid1(SALU_CYCLE_1)
	s_or_b32 s7, s7, s10
	s_and_saveexec_b32 s22, s7
	s_cbranch_execz .LBB307_70
; %bb.65:
	v_cmp_lt_u32_e64 s7, v31, v34
                                        ; implicit-def: $vgpr24
	s_delay_alu instid0(VALU_DEP_1)
	s_and_saveexec_b32 s10, s7
	s_cbranch_execz .LBB307_67
; %bb.66:
	v_add_nc_u32_e32 v4, v10, v31
	ds_load_u8 v24, v4
.LBB307_67:
	s_or_b32 exec_lo, exec_lo, s10
	v_cmp_ge_u32_e64 s10, v29, v30
	s_mov_b32 s14, exec_lo
                                        ; implicit-def: $vgpr25
	v_cmpx_lt_u32_e64 v29, v30
	s_cbranch_execz .LBB307_69
; %bb.68:
	v_add_nc_u32_e32 v4, v10, v29
	ds_load_u8 v25, v4
.LBB307_69:
	s_or_b32 exec_lo, exec_lo, s14
	s_waitcnt lgkmcnt(0)
	v_and_b32_e32 v4, v25, v11
	v_and_b32_e32 v5, v24, v11
	s_delay_alu instid0(VALU_DEP_2) | instskip(NEXT) | instid1(VALU_DEP_2)
	v_bfe_i32 v4, v4, 0, 8
	v_bfe_i32 v5, v5, 0, 8
	s_delay_alu instid0(VALU_DEP_1) | instskip(NEXT) | instid1(VALU_DEP_1)
	v_cmp_le_i16_e64 s11, v4, v5
	s_and_b32 s7, s7, s11
	s_delay_alu instid0(SALU_CYCLE_1) | instskip(NEXT) | instid1(SALU_CYCLE_1)
	s_or_b32 s7, s10, s7
	v_cndmask_b32_e64 v4, v29, v31, s7
	v_cndmask_b32_e64 v5, v30, v34, s7
	s_delay_alu instid0(VALU_DEP_2) | instskip(NEXT) | instid1(VALU_DEP_2)
	v_add_nc_u32_e32 v12, 1, v4
	v_add_nc_u32_e32 v5, -1, v5
	v_lshl_add_u32 v4, v4, 3, v9
	s_delay_alu instid0(VALU_DEP_3) | instskip(NEXT) | instid1(VALU_DEP_3)
	v_cndmask_b32_e64 v14, v31, v12, s7
	v_min_u32_e32 v5, v12, v5
	v_cndmask_b32_e64 v12, v12, v29, s7
	s_delay_alu instid0(VALU_DEP_3) | instskip(NEXT) | instid1(VALU_DEP_3)
	v_cmp_lt_u32_e64 s10, v14, v34
	v_add_nc_u32_e32 v5, v10, v5
	s_delay_alu instid0(VALU_DEP_3)
	v_cmp_ge_u32_e64 s14, v12, v30
	ds_load_u8 v5, v5
	s_waitcnt lgkmcnt(0)
	v_cndmask_b32_e64 v28, v5, v25, s7
	v_cndmask_b32_e64 v35, v24, v5, s7
	;; [unrolled: 1-line block ×3, first 2 shown]
	s_delay_alu instid0(VALU_DEP_3) | instskip(NEXT) | instid1(VALU_DEP_3)
	v_and_b32_e32 v5, v28, v11
	v_and_b32_e32 v13, v35, v11
	s_delay_alu instid0(VALU_DEP_2) | instskip(NEXT) | instid1(VALU_DEP_2)
	v_bfe_i32 v5, v5, 0, 8
	v_bfe_i32 v13, v13, 0, 8
	s_delay_alu instid0(VALU_DEP_1) | instskip(NEXT) | instid1(VALU_DEP_1)
	v_cmp_le_i16_e64 s11, v5, v13
	s_and_b32 s10, s10, s11
	s_delay_alu instid0(SALU_CYCLE_1) | instskip(NEXT) | instid1(SALU_CYCLE_1)
	s_or_b32 s10, s14, s10
	v_cndmask_b32_e64 v5, v12, v14, s10
	v_cndmask_b32_e64 v13, v30, v34, s10
	v_cndmask_b32_e64 v38, v28, v35, s10
	s_delay_alu instid0(VALU_DEP_3) | instskip(NEXT) | instid1(VALU_DEP_3)
	v_add_nc_u32_e32 v15, 1, v5
	v_add_nc_u32_e32 v13, -1, v13
	s_delay_alu instid0(VALU_DEP_2) | instskip(NEXT) | instid1(VALU_DEP_2)
	v_cndmask_b32_e64 v14, v14, v15, s10
	v_min_u32_e32 v13, v15, v13
	v_cndmask_b32_e64 v12, v15, v12, s10
	s_delay_alu instid0(VALU_DEP_3) | instskip(NEXT) | instid1(VALU_DEP_3)
	v_cmp_lt_u32_e64 s11, v14, v34
	v_add_nc_u32_e32 v13, v10, v13
	s_delay_alu instid0(VALU_DEP_3) | instskip(SKIP_4) | instid1(VALU_DEP_2)
	v_cmp_ge_u32_e64 s15, v12, v30
	ds_load_u8 v13, v13
	s_waitcnt lgkmcnt(0)
	v_cndmask_b32_e64 v29, v13, v28, s10
	v_cndmask_b32_e64 v31, v35, v13, s10
	v_and_b32_e32 v13, v29, v11
	s_delay_alu instid0(VALU_DEP_2) | instskip(NEXT) | instid1(VALU_DEP_2)
	v_and_b32_e32 v16, v31, v11
	v_bfe_i32 v13, v13, 0, 8
	s_delay_alu instid0(VALU_DEP_2) | instskip(NEXT) | instid1(VALU_DEP_1)
	v_bfe_i32 v16, v16, 0, 8
	v_cmp_le_i16_e64 s14, v13, v16
	s_delay_alu instid0(VALU_DEP_1) | instskip(NEXT) | instid1(SALU_CYCLE_1)
	s_and_b32 s11, s11, s14
	s_or_b32 s11, s15, s11
	s_delay_alu instid0(SALU_CYCLE_1) | instskip(SKIP_2) | instid1(VALU_DEP_3)
	v_cndmask_b32_e64 v13, v12, v14, s11
	v_cndmask_b32_e64 v15, v30, v34, s11
	v_cndmask_b32_e64 v39, v29, v31, s11
	v_add_nc_u32_e32 v16, 1, v13
	s_delay_alu instid0(VALU_DEP_3) | instskip(NEXT) | instid1(VALU_DEP_2)
	v_add_nc_u32_e32 v15, -1, v15
	v_cndmask_b32_e64 v14, v14, v16, s11
	s_delay_alu instid0(VALU_DEP_2) | instskip(SKIP_1) | instid1(VALU_DEP_3)
	v_min_u32_e32 v15, v16, v15
	v_cndmask_b32_e64 v12, v16, v12, s11
	v_cmp_lt_u32_e64 s14, v14, v34
	s_delay_alu instid0(VALU_DEP_3) | instskip(NEXT) | instid1(VALU_DEP_3)
	v_add_nc_u32_e32 v15, v10, v15
	v_cmp_ge_u32_e64 s16, v12, v30
	ds_load_u8 v15, v15
	s_waitcnt lgkmcnt(0)
	v_cndmask_b32_e64 v36, v15, v29, s11
	v_cndmask_b32_e64 v37, v31, v15, s11
	s_delay_alu instid0(VALU_DEP_2) | instskip(NEXT) | instid1(VALU_DEP_2)
	v_and_b32_e32 v15, v36, v11
	v_and_b32_e32 v17, v37, v11
	s_delay_alu instid0(VALU_DEP_2) | instskip(NEXT) | instid1(VALU_DEP_2)
	v_bfe_i32 v15, v15, 0, 8
	v_bfe_i32 v17, v17, 0, 8
	s_delay_alu instid0(VALU_DEP_1) | instskip(NEXT) | instid1(VALU_DEP_1)
	v_cmp_le_i16_e64 s15, v15, v17
	s_and_b32 s14, s14, s15
	s_delay_alu instid0(SALU_CYCLE_1) | instskip(NEXT) | instid1(SALU_CYCLE_1)
	s_or_b32 s14, s16, s14
	v_cndmask_b32_e64 v18, v12, v14, s14
	v_cndmask_b32_e64 v15, v30, v34, s14
	v_cndmask_b32_e64 v28, v36, v37, s14
	s_delay_alu instid0(VALU_DEP_3) | instskip(NEXT) | instid1(VALU_DEP_3)
	v_add_nc_u32_e32 v16, 1, v18
	v_add_nc_u32_e32 v15, -1, v15
	s_delay_alu instid0(VALU_DEP_2) | instskip(NEXT) | instid1(VALU_DEP_2)
	v_cndmask_b32_e64 v14, v14, v16, s14
	v_min_u32_e32 v15, v16, v15
	v_cndmask_b32_e64 v12, v16, v12, s14
	s_delay_alu instid0(VALU_DEP_3) | instskip(NEXT) | instid1(VALU_DEP_3)
	v_cmp_lt_u32_e64 s15, v14, v34
	v_add_nc_u32_e32 v15, v10, v15
	s_delay_alu instid0(VALU_DEP_3) | instskip(SKIP_4) | instid1(VALU_DEP_2)
	v_cmp_ge_u32_e64 s17, v12, v30
	ds_load_u8 v15, v15
	s_waitcnt lgkmcnt(0)
	v_cndmask_b32_e64 v48, v15, v36, s14
	v_cndmask_b32_e64 v49, v37, v15, s14
	v_and_b32_e32 v15, v48, v11
	s_delay_alu instid0(VALU_DEP_2) | instskip(NEXT) | instid1(VALU_DEP_2)
	v_and_b32_e32 v17, v49, v11
	v_bfe_i32 v15, v15, 0, 8
	s_delay_alu instid0(VALU_DEP_2) | instskip(NEXT) | instid1(VALU_DEP_1)
	v_bfe_i32 v17, v17, 0, 8
	v_cmp_le_i16_e64 s16, v15, v17
	s_delay_alu instid0(VALU_DEP_1) | instskip(NEXT) | instid1(SALU_CYCLE_1)
	s_and_b32 s15, s15, s16
	s_or_b32 s15, s17, s15
	s_delay_alu instid0(SALU_CYCLE_1) | instskip(SKIP_2) | instid1(VALU_DEP_3)
	v_cndmask_b32_e64 v19, v12, v14, s15
	v_cndmask_b32_e64 v15, v30, v34, s15
	v_cndmask_b32_e64 v25, v48, v49, s15
	v_add_nc_u32_e32 v16, 1, v19
	s_delay_alu instid0(VALU_DEP_3) | instskip(NEXT) | instid1(VALU_DEP_2)
	v_add_nc_u32_e32 v15, -1, v15
	v_cndmask_b32_e64 v14, v14, v16, s15
	s_delay_alu instid0(VALU_DEP_2) | instskip(SKIP_1) | instid1(VALU_DEP_3)
	v_min_u32_e32 v15, v16, v15
	v_cndmask_b32_e64 v12, v16, v12, s15
	v_cmp_lt_u32_e64 s16, v14, v34
	s_delay_alu instid0(VALU_DEP_3) | instskip(NEXT) | instid1(VALU_DEP_3)
	v_add_nc_u32_e32 v15, v10, v15
	v_cmp_ge_u32_e64 s18, v12, v30
	ds_load_u8 v15, v15
	s_waitcnt lgkmcnt(0)
	v_cndmask_b32_e64 v50, v15, v48, s15
	v_cndmask_b32_e64 v51, v49, v15, s15
	s_delay_alu instid0(VALU_DEP_2) | instskip(NEXT) | instid1(VALU_DEP_2)
	;; [unrolled: 59-line block ×3, first 2 shown]
	v_and_b32_e32 v15, v54, v11
	v_and_b32_e32 v11, v10, v11
	s_delay_alu instid0(VALU_DEP_2) | instskip(NEXT) | instid1(VALU_DEP_2)
	v_bfe_i32 v14, v15, 0, 8
	v_bfe_i32 v11, v11, 0, 8
	v_lshl_add_u32 v15, v5, 3, v9
	s_delay_alu instid0(VALU_DEP_2)
	v_cmp_le_i16_e64 s19, v14, v11
	v_lshl_add_u32 v11, v13, 3, v9
	ds_load_b64 v[4:5], v4 offset:2048
	ds_load_b64 v[14:15], v15 offset:2048
	v_lshl_add_u32 v13, v19, 3, v9
	v_lshl_add_u32 v19, v21, 3, v9
	s_and_b32 s18, s18, s19
	ds_load_b64 v[16:17], v11 offset:2048
	s_or_b32 s18, s20, s18
	s_delay_alu instid0(SALU_CYCLE_1) | instskip(SKIP_3) | instid1(VALU_DEP_4)
	v_cndmask_b32_e64 v11, v12, v22, s18
	v_lshl_add_u32 v12, v18, 3, v9
	v_lshl_add_u32 v18, v20, 3, v9
	v_cndmask_b32_e64 v35, v54, v10, s18
	v_lshl_add_u32 v9, v11, 3, v9
	ds_load_b64 v[22:23], v12 offset:2048
	ds_load_b64 v[26:27], v13 offset:2048
	;; [unrolled: 1-line block ×5, first 2 shown]
.LBB307_70:
	s_or_b32 exec_lo, exec_lo, s22
	; wave barrier
	s_waitcnt lgkmcnt(0)
	s_waitcnt_vscnt null, 0x0
	s_barrier
                                        ; implicit-def: $vgpr34
                                        ; implicit-def: $vgpr29
                                        ; implicit-def: $vgpr30
                                        ; implicit-def: $vgpr9
.LBB307_71:
	s_and_not1_saveexec_b32 s17, s21
	s_cbranch_execz .LBB307_117
; %bb.72:
	s_load_b64 s[10:11], s[8:9], 0x0
	v_mov_b32_e32 v10, 0
	s_waitcnt lgkmcnt(0)
	s_cmp_lt_u32 s13, s11
	s_cselect_b32 s7, 14, 20
	s_delay_alu instid0(SALU_CYCLE_1)
	s_add_u32 s14, s8, s7
	s_addc_u32 s15, s9, 0
	s_cmp_lt_u32 s12, s10
	global_load_u16 v11, v10, s[14:15]
	s_cselect_b32 s7, 12, 18
	s_mov_b32 s15, exec_lo
	s_add_u32 s8, s8, s7
	s_addc_u32 s9, s9, 0
	global_load_u16 v10, v10, s[8:9]
	s_waitcnt vmcnt(1)
	v_mad_u32_u24 v11, v30, v11, v29
	s_waitcnt vmcnt(0)
	s_delay_alu instid0(VALU_DEP_1) | instskip(NEXT) | instid1(VALU_DEP_1)
	v_mul_lo_u32 v10, v11, v10
	v_add_lshl_u32 v11, v10, v9, 3
	s_delay_alu instid0(VALU_DEP_1)
	v_cmpx_gt_u32_e32 0x800, v11
	s_cbranch_execz .LBB307_76
; %bb.73:
	v_and_b32_e32 v9, 0xff, v24
	v_lshlrev_b16 v10, 8, v38
	v_lshlrev_b16 v29, 8, v24
	v_and_b32_e32 v30, 0xff, v38
	v_and_b32_e32 v31, 0xff, v39
	v_lshlrev_b16 v28, 8, v28
	v_or_b32_e32 v9, v9, v10
	v_bfe_i32 v24, v24, 0, 8
	v_or_b32_e32 v10, v30, v29
	v_bfe_i32 v30, v38, 0, 8
	v_or_b32_e32 v28, v31, v28
	v_and_b32_e32 v9, 0xffff, v9
	v_and_b32_e32 v25, 0xff, v25
	;; [unrolled: 1-line block ×3, first 2 shown]
	v_lshlrev_b16 v29, 8, v37
	v_lshlrev_b32_e32 v28, 16, v28
	v_and_b32_e32 v31, 0xff, v36
	v_lshlrev_b16 v35, 8, v35
	v_cmp_gt_i16_e64 s7, v30, v24
	v_or_b32_e32 v24, v25, v29
	v_or_b32_e32 v10, v10, v28
	;; [unrolled: 1-line block ×4, first 2 shown]
	v_cndmask_b32_e64 v28, v14, v4, s7
	v_cndmask_b32_e64 v4, v4, v14, s7
	s_delay_alu instid0(VALU_DEP_4) | instskip(SKIP_3) | instid1(VALU_DEP_4)
	v_cndmask_b32_e64 v9, v9, v10, s7
	v_and_b32_e32 v10, 0xffff, v24
	v_lshlrev_b32_e32 v25, 16, v25
	v_bfe_i32 v24, v24, 0, 8
	v_lshrrev_b32_e32 v29, 16, v9
	s_delay_alu instid0(VALU_DEP_3) | instskip(SKIP_1) | instid1(VALU_DEP_3)
	v_or_b32_e32 v10, v10, v25
	v_lshrrev_b32_e32 v25, 24, v9
	v_perm_b32 v30, 0, v29, 0xc0c0001
	v_bfe_i32 v29, v29, 0, 8
	s_delay_alu instid0(VALU_DEP_4) | instskip(NEXT) | instid1(VALU_DEP_4)
	v_lshrrev_b32_e32 v31, 8, v10
	v_bfe_i32 v25, v25, 0, 8
	s_delay_alu instid0(VALU_DEP_4) | instskip(NEXT) | instid1(VALU_DEP_3)
	v_lshlrev_b32_e32 v30, 16, v30
	v_bfe_i32 v31, v31, 0, 8
	s_delay_alu instid0(VALU_DEP_3) | instskip(SKIP_1) | instid1(VALU_DEP_4)
	v_cmp_gt_i16_e64 s8, v25, v29
	v_perm_b32 v25, v10, v10, 0x7060405
	v_and_or_b32 v30, 0xffff, v9, v30
	s_delay_alu instid0(VALU_DEP_4) | instskip(NEXT) | instid1(VALU_DEP_4)
	v_cmp_gt_i16_e64 s9, v31, v24
	v_cndmask_b32_e64 v37, v17, v23, s8
	v_cndmask_b32_e64 v17, v23, v17, s8
	s_delay_alu instid0(VALU_DEP_4)
	v_cndmask_b32_e64 v9, v9, v30, s8
	v_cndmask_b32_e64 v24, v22, v16, s8
	;; [unrolled: 1-line block ×5, first 2 shown]
	v_lshrrev_b32_e32 v25, 16, v9
	v_lshrrev_b32_e32 v30, 8, v9
	v_lshrrev_b32_e32 v35, 24, v10
	v_lshrrev_b32_e32 v36, 16, v10
	v_perm_b32 v38, v9, v9, 0x7050604
	v_bfe_i32 v25, v25, 0, 8
	v_bfe_i32 v30, v30, 0, 8
	;; [unrolled: 1-line block ×4, first 2 shown]
	v_cndmask_b32_e64 v31, v15, v5, s7
	v_cndmask_b32_e64 v5, v5, v15, s7
	v_cmp_gt_i16_e64 s10, v25, v30
	v_perm_b32 v25, v10, v10, 0x6070504
	v_cmp_gt_i16_e64 s11, v35, v36
	v_cndmask_b32_e64 v29, v26, v20, s9
	v_cndmask_b32_e64 v20, v20, v26, s9
	;; [unrolled: 1-line block ×7, first 2 shown]
	v_lshrrev_b32_e32 v25, 16, v9
	s_delay_alu instid0(VALU_DEP_4) | instskip(SKIP_1) | instid1(VALU_DEP_3)
	v_lshlrev_b16 v36, 8, v10
	v_bfe_i32 v38, v10, 0, 8
	v_and_b32_e32 v25, 0xff, v25
	s_delay_alu instid0(VALU_DEP_1) | instskip(SKIP_1) | instid1(VALU_DEP_2)
	v_or_b32_e32 v25, v25, v36
	v_lshrrev_b32_e32 v36, 24, v9
	v_lshlrev_b32_e32 v25, 16, v25
	s_delay_alu instid0(VALU_DEP_2) | instskip(NEXT) | instid1(VALU_DEP_2)
	v_bfe_i32 v36, v36, 0, 8
	v_and_or_b32 v23, 0xffff, v9, v25
	s_delay_alu instid0(VALU_DEP_2) | instskip(SKIP_2) | instid1(VALU_DEP_3)
	v_cmp_gt_i16_e64 s12, v38, v36
	v_cndmask_b32_e64 v36, v28, v16, s10
	v_cndmask_b32_e64 v16, v16, v28, s10
	;; [unrolled: 1-line block ×3, first 2 shown]
	v_perm_b32 v9, v9, v10, 0x3020107
	v_cndmask_b32_e64 v28, v24, v29, s12
	v_cndmask_b32_e64 v24, v29, v24, s12
	;; [unrolled: 1-line block ×3, first 2 shown]
	v_lshrrev_b32_e32 v14, 8, v23
	v_cndmask_b32_e64 v9, v10, v9, s12
	v_perm_b32 v10, 0, v23, 0xc0c0001
	v_bfe_i32 v22, v23, 0, 8
	v_cndmask_b32_e64 v17, v39, v17, s12
	v_bfe_i32 v14, v14, 0, 8
	v_lshrrev_b32_e32 v38, 16, v9
	v_lshrrev_b32_e32 v48, 8, v9
	v_and_or_b32 v10, 0xffff0000, v23, v10
	s_delay_alu instid0(VALU_DEP_4)
	v_cmp_gt_i16_e64 s8, v14, v22
	v_cndmask_b32_e64 v14, v21, v27, s9
	v_bfe_i32 v21, v38, 0, 8
	v_bfe_i32 v22, v48, 0, 8
	v_perm_b32 v38, v9, v9, 0x7050604
	v_cndmask_b32_e64 v10, v23, v10, s8
	v_cndmask_b32_e64 v23, v19, v13, s11
	;; [unrolled: 1-line block ×3, first 2 shown]
	v_cmp_gt_i16_e64 s13, v21, v22
	v_cndmask_b32_e64 v27, v36, v4, s8
	v_lshrrev_b32_e32 v15, 16, v10
	v_lshrrev_b32_e32 v22, 24, v10
	v_cndmask_b32_e64 v4, v4, v36, s8
	v_cndmask_b32_e64 v9, v9, v38, s13
	;; [unrolled: 1-line block ×3, first 2 shown]
	v_perm_b32 v26, 0, v15, 0xc0c0001
	v_bfe_i32 v22, v22, 0, 8
	v_bfe_i32 v15, v15, 0, 8
	v_lshrrev_b32_e32 v38, 8, v9
	v_bfe_i32 v29, v9, 0, 8
	v_lshlrev_b32_e32 v26, 16, v26
	v_cndmask_b32_e64 v14, v23, v14, s13
	v_cmp_gt_i16_e64 s7, v22, v15
	v_bfe_i32 v38, v38, 0, 8
	v_perm_b32 v22, v9, v9, 0x7060405
	v_and_or_b32 v26, 0xffff, v10, v26
	v_cndmask_b32_e64 v15, v20, v35, s13
	v_cndmask_b32_e64 v49, v30, v25, s7
	v_cmp_gt_i16_e64 s9, v38, v29
	v_cndmask_b32_e64 v29, v28, v16, s7
	v_cndmask_b32_e64 v10, v10, v26, s7
	;; [unrolled: 1-line block ×6, first 2 shown]
	v_lshrrev_b32_e32 v18, 16, v10
	v_lshrrev_b32_e32 v22, 8, v10
	v_perm_b32 v50, v10, v10, 0x7050604
	v_lshrrev_b32_e32 v38, 24, v9
	v_lshrrev_b32_e32 v48, 16, v9
	v_bfe_i32 v18, v18, 0, 8
	v_bfe_i32 v22, v22, 0, 8
	v_cndmask_b32_e64 v31, v24, v15, s9
	v_bfe_i32 v38, v38, 0, 8
	v_bfe_i32 v48, v48, 0, 8
	v_cndmask_b32_e64 v37, v26, v5, s8
	v_cmp_gt_i16_e64 s10, v18, v22
	v_cndmask_b32_e64 v18, v35, v20, s13
	v_perm_b32 v20, v9, v9, 0x6070504
	v_cmp_gt_i16_e64 s14, v38, v48
	v_cndmask_b32_e64 v48, v17, v21, s9
	v_cndmask_b32_e64 v10, v10, v50, s10
	;; [unrolled: 1-line block ×6, first 2 shown]
	v_lshrrev_b32_e32 v20, 16, v10
	v_cndmask_b32_e64 v28, v27, v16, s10
	v_cndmask_b32_e64 v16, v16, v27, s10
	v_lshlrev_b16 v38, 8, v9
	v_bfe_i32 v39, v9, 0, 8
	v_and_b32_e32 v20, 0xff, v20
	v_cndmask_b32_e64 v35, v18, v12, s14
	v_cndmask_b32_e64 v12, v12, v18, s14
	;; [unrolled: 1-line block ×3, first 2 shown]
	s_delay_alu instid0(VALU_DEP_4) | instskip(SKIP_1) | instid1(VALU_DEP_2)
	v_or_b32_e32 v20, v20, v38
	v_lshrrev_b32_e32 v38, 24, v10
	v_lshlrev_b32_e32 v20, 16, v20
	s_delay_alu instid0(VALU_DEP_2) | instskip(NEXT) | instid1(VALU_DEP_2)
	v_bfe_i32 v38, v38, 0, 8
	v_and_or_b32 v20, 0xffff, v10, v20
	s_delay_alu instid0(VALU_DEP_2) | instskip(NEXT) | instid1(VALU_DEP_1)
	v_cmp_gt_i16_e64 s12, v39, v38
	v_cndmask_b32_e64 v20, v10, v20, s12
	v_perm_b32 v10, v10, v9, 0x3020107
	v_cndmask_b32_e64 v27, v29, v31, s12
	v_cndmask_b32_e64 v29, v31, v29, s12
	;; [unrolled: 1-line block ×3, first 2 shown]
	v_lshrrev_b32_e32 v19, 8, v20
	v_cndmask_b32_e64 v9, v9, v10, s12
	v_perm_b32 v10, 0, v20, 0xc0c0001
	v_bfe_i32 v23, v20, 0, 8
	v_cndmask_b32_e64 v25, v48, v25, s12
	v_bfe_i32 v19, v19, 0, 8
	v_lshrrev_b32_e32 v36, 16, v9
	v_lshrrev_b32_e32 v38, 8, v9
	v_and_or_b32 v10, 0xffff0000, v20, v10
	s_delay_alu instid0(VALU_DEP_4) | instskip(NEXT) | instid1(VALU_DEP_4)
	v_cmp_gt_i16_e64 s7, v19, v23
	v_bfe_i32 v19, v36, 0, 8
	s_delay_alu instid0(VALU_DEP_4) | instskip(SKIP_1) | instid1(VALU_DEP_4)
	v_bfe_i32 v21, v38, 0, 8
	v_perm_b32 v36, v9, v9, 0x7050604
	v_cndmask_b32_e64 v10, v20, v10, s7
	v_cndmask_b32_e64 v20, v14, v13, s14
	s_delay_alu instid0(VALU_DEP_4)
	v_cmp_gt_i16_e64 s11, v19, v21
	v_cndmask_b32_e64 v13, v13, v14, s14
	v_cndmask_b32_e64 v23, v28, v4, s7
	v_lshrrev_b32_e32 v19, 16, v10
	v_lshrrev_b32_e32 v24, 24, v10
	v_cndmask_b32_e64 v9, v9, v36, s11
	v_cndmask_b32_e64 v21, v17, v20, s11
	v_cndmask_b32_e64 v17, v20, v17, s11
	v_perm_b32 v26, 0, v19, 0xc0c0001
	v_bfe_i32 v24, v24, 0, 8
	v_lshrrev_b32_e32 v36, 8, v9
	v_bfe_i32 v19, v19, 0, 8
	v_bfe_i32 v31, v9, 0, 8
	v_lshlrev_b32_e32 v26, 16, v26
	v_cndmask_b32_e64 v4, v4, v28, s7
	v_bfe_i32 v36, v36, 0, 8
	v_cmp_gt_i16_e64 s8, v24, v19
	v_perm_b32 v24, v9, v9, 0x7060405
	v_and_or_b32 v26, 0xffff, v10, v26
	v_cndmask_b32_e64 v19, v15, v35, s11
	v_cmp_gt_i16_e64 s9, v36, v31
	v_cndmask_b32_e64 v15, v35, v15, s11
	v_cndmask_b32_e64 v31, v27, v16, s8
	;; [unrolled: 1-line block ×7, first 2 shown]
	v_lshrrev_b32_e32 v18, 16, v10
	v_lshrrev_b32_e32 v24, 8, v10
	;; [unrolled: 1-line block ×4, first 2 shown]
	v_perm_b32 v50, v10, v10, 0x7050604
	v_bfe_i32 v18, v18, 0, 8
	v_bfe_i32 v24, v24, 0, 8
	;; [unrolled: 1-line block ×4, first 2 shown]
	v_cndmask_b32_e64 v37, v26, v5, s7
	v_cndmask_b32_e64 v5, v5, v26, s7
	v_cmp_gt_i16_e64 s10, v18, v24
	v_perm_b32 v18, v9, v9, 0x6070504
	v_cmp_gt_i16_e64 s13, v38, v39
	v_cndmask_b32_e64 v26, v25, v21, s9
	v_cndmask_b32_e64 v49, v22, v30, s8
	;; [unrolled: 1-line block ×7, first 2 shown]
	v_lshrrev_b32_e32 v18, 16, v10
	v_cndmask_b32_e64 v24, v49, v37, s10
	v_lshlrev_b16 v38, 8, v9
	v_bfe_i32 v20, v9, 0, 8
	s_delay_alu instid0(VALU_DEP_4) | instskip(NEXT) | instid1(VALU_DEP_1)
	v_and_b32_e32 v18, 0xff, v18
	v_or_b32_e32 v14, v18, v38
	v_lshrrev_b32_e32 v18, 24, v10
	s_delay_alu instid0(VALU_DEP_2) | instskip(NEXT) | instid1(VALU_DEP_2)
	v_lshlrev_b32_e32 v14, 16, v14
	v_bfe_i32 v18, v18, 0, 8
	s_delay_alu instid0(VALU_DEP_2) | instskip(NEXT) | instid1(VALU_DEP_2)
	v_and_or_b32 v14, 0xffff, v10, v14
	v_cmp_gt_i16_e64 s11, v20, v18
	v_cndmask_b32_e64 v20, v17, v13, s13
	v_cndmask_b32_e64 v13, v13, v17, s13
	;; [unrolled: 1-line block ×5, first 2 shown]
	v_perm_b32 v10, v10, v9, 0x3020107
	v_cndmask_b32_e64 v21, v23, v16, s10
	v_cndmask_b32_e64 v29, v36, v31, s11
	;; [unrolled: 1-line block ×3, first 2 shown]
	v_lshrrev_b32_e32 v15, 8, v14
	v_cndmask_b32_e64 v9, v9, v10, s11
	v_perm_b32 v10, 0, v14, 0xc0c0001
	v_bfe_i32 v17, v14, 0, 8
	v_cndmask_b32_e64 v22, v26, v22, s11
	v_bfe_i32 v15, v15, 0, 8
	v_lshrrev_b32_e32 v27, 16, v9
	v_lshrrev_b32_e32 v28, 8, v9
	v_and_or_b32 v10, 0xffff0000, v14, v10
	s_delay_alu instid0(VALU_DEP_4)
	v_cmp_gt_i16_e64 s7, v15, v17
	v_cndmask_b32_e64 v15, v16, v23, s10
	v_bfe_i32 v16, v27, 0, 8
	v_bfe_i32 v17, v28, 0, 8
	v_perm_b32 v23, v9, v9, 0x7050604
	v_cndmask_b32_e64 v10, v14, v10, s7
	v_cndmask_b32_e64 v14, v37, v49, s10
	;; [unrolled: 1-line block ×3, first 2 shown]
	v_cmp_gt_i16_e64 s8, v16, v17
	v_cndmask_b32_e64 v16, v31, v36, s11
	v_lshrrev_b32_e32 v17, 16, v10
	v_cndmask_b32_e64 v4, v4, v21, s7
	s_delay_alu instid0(VALU_DEP_4) | instskip(SKIP_1) | instid1(VALU_DEP_4)
	v_cndmask_b32_e64 v9, v9, v23, s8
	v_lshrrev_b32_e32 v23, 24, v10
	v_perm_b32 v28, 0, v17, 0xc0c0001
	v_bfe_i32 v17, v17, 0, 8
	v_cndmask_b32_e64 v30, v18, v35, s8
	v_lshrrev_b32_e32 v31, 8, v9
	v_bfe_i32 v23, v23, 0, 8
	v_lshlrev_b32_e32 v28, 16, v28
	v_cndmask_b32_e64 v18, v35, v18, s8
	v_bfe_i32 v35, v9, 0, 8
	v_bfe_i32 v31, v31, 0, 8
	v_cmp_gt_i16_e64 s9, v23, v17
	v_and_or_b32 v28, 0xffff, v10, v28
	v_cndmask_b32_e64 v26, v19, v20, s8
	v_cndmask_b32_e64 v19, v20, v19, s8
	v_perm_b32 v17, v9, v9, 0x7060405
	v_cmp_gt_i16_e64 s8, v31, v35
	v_cndmask_b32_e64 v10, v10, v28, s9
	v_cndmask_b32_e64 v28, v14, v5, s7
	;; [unrolled: 1-line block ×5, first 2 shown]
	v_lshrrev_b32_e32 v14, 16, v10
	v_lshrrev_b32_e32 v17, 8, v10
	v_perm_b32 v23, v10, v10, 0x7050604
	v_cndmask_b32_e64 v38, v22, v26, s8
	v_lshrrev_b32_e32 v20, 24, v9
	v_lshrrev_b32_e32 v21, 16, v9
	v_bfe_i32 v14, v14, 0, 8
	v_bfe_i32 v17, v17, 0, 8
	v_cndmask_b32_e64 v35, v29, v30, s8
	v_bfe_i32 v20, v20, 0, 8
	v_bfe_i32 v21, v21, 0, 8
	v_cndmask_b32_e64 v36, v24, v25, s9
	v_cmp_gt_i16_e64 s7, v14, v17
	v_perm_b32 v14, v9, v9, 0x6070504
	v_cndmask_b32_e64 v24, v25, v24, s9
	v_cmp_gt_i16_e64 s10, v20, v21
	v_cndmask_b32_e64 v21, v26, v22, s8
	v_cndmask_b32_e64 v39, v10, v23, s7
	;; [unrolled: 1-line block ×6, first 2 shown]
	v_lshrrev_b32_e32 v9, 16, v39
	v_lshrrev_b32_e32 v22, 24, v39
	v_cndmask_b32_e64 v13, v13, v19, s10
	v_lshlrev_b16 v15, 8, v14
	v_bfe_i32 v23, v14, 0, 8
	v_and_b32_e32 v16, 0xff, v9
	v_bfe_i32 v22, v22, 0, 8
	v_perm_b32 v19, v39, v14, 0x3020107
	v_cndmask_b32_e64 v9, v18, v12, s10
	v_cndmask_b32_e64 v12, v12, v18, s10
	v_or_b32_e32 v15, v16, v15
	v_cmp_gt_i16_e64 s8, v23, v22
	v_cndmask_b32_e64 v17, v36, v28, s7
	v_cndmask_b32_e64 v16, v26, v27, s7
	s_delay_alu instid0(VALU_DEP_4) | instskip(NEXT) | instid1(VALU_DEP_4)
	v_lshlrev_b32_e32 v18, 16, v15
	v_cndmask_b32_e64 v25, v14, v19, s8
	v_cndmask_b32_e64 v15, v28, v36, s7
	;; [unrolled: 1-line block ×4, first 2 shown]
	v_and_or_b32 v18, 0xffff, v39, v18
	v_lshrrev_b32_e32 v37, 8, v25
	v_lshrrev_b32_e32 v36, 16, v25
	v_cndmask_b32_e64 v27, v38, v24, s8
	v_cndmask_b32_e64 v22, v31, v35, s8
	v_cndmask_b32_e64 v24, v39, v18, s8
	v_bfe_i32 v18, v37, 0, 8
	v_bfe_i32 v19, v36, 0, 8
	v_cndmask_b32_e64 v26, v35, v31, s8
	v_lshrrev_b32_e32 v35, 24, v25
	v_lshrrev_b64 v[28:29], 24, v[24:25]
	v_lshrrev_b32_e32 v39, 16, v24
	v_cmp_gt_i16_e64 s7, v19, v18
	v_dual_mov_b32 v19, v10 :: v_dual_mov_b32 v18, v9
	v_lshrrev_b32_e32 v38, 8, v24
	s_delay_alu instid0(VALU_DEP_3)
	s_and_saveexec_b32 s8, s7
; %bb.74:
	v_lshrrev_b32_e32 v35, 24, v25
	v_lshrrev_b32_e32 v36, 8, v25
	;; [unrolled: 1-line block ×5, first 2 shown]
	v_dual_mov_b32 v18, v20 :: v_dual_mov_b32 v19, v21
	v_dual_mov_b32 v21, v10 :: v_dual_mov_b32 v20, v9
; %bb.75:
	s_or_b32 exec_lo, exec_lo, s8
.LBB307_76:
	s_delay_alu instid0(SALU_CYCLE_1)
	s_or_b32 exec_lo, exec_lo, s15
	v_and_b32_e32 v10, 0xffffff00, v11
	v_or_b32_e32 v29, 8, v34
	v_and_b32_e32 v30, 8, v34
	v_and_b32_e32 v49, 0xf0, v34
	s_mov_b32 s8, exec_lo
	v_sub_nc_u32_e64 v11, 0x800, v10 clamp
	v_lshlrev_b32_e32 v9, 3, v10
	v_or_b32_e32 v52, v10, v34
	s_delay_alu instid0(VALU_DEP_3) | instskip(SKIP_1) | instid1(VALU_DEP_4)
	v_min_u32_e32 v31, v11, v29
	v_min_u32_e32 v50, v11, v30
	v_lshl_or_b32 v29, v34, 3, v9
	ds_store_b8 v52, v24
	ds_store_b64 v29, v[4:5] offset:2048
	ds_store_b8 v52, v38 offset:1
	v_add_nc_u32_e32 v48, 8, v31
	v_sub_nc_u32_e32 v53, v31, v49
	ds_store_b64 v29, v[14:15] offset:2056
	ds_store_b8 v52, v39 offset:2
	ds_store_b64 v29, v[16:17] offset:2064
	ds_store_b8 v52, v28 offset:3
	;; [unrolled: 2-line block ×6, first 2 shown]
	ds_store_b64 v29, v[12:13] offset:2104
	v_min_u32_e32 v48, v11, v48
	; wave barrier
	s_delay_alu instid0(VALU_DEP_1) | instskip(NEXT) | instid1(VALU_DEP_1)
	v_sub_nc_u32_e32 v30, v48, v31
	v_sub_nc_u32_e64 v51, v50, v30 clamp
	v_min_u32_e32 v30, v50, v53
	s_delay_alu instid0(VALU_DEP_1)
	v_cmpx_lt_u32_e64 v51, v30
	s_cbranch_execz .LBB307_80
; %bb.77:
	v_add_nc_u32_e32 v52, v10, v49
	v_add3_u32 v53, v10, v31, v50
	s_mov_b32 s9, 0
	.p2align	6
.LBB307_78:                             ; =>This Inner Loop Header: Depth=1
	v_add_nc_u32_e32 v54, v30, v51
	s_delay_alu instid0(VALU_DEP_1) | instskip(NEXT) | instid1(VALU_DEP_1)
	v_lshrrev_b32_e32 v54, 1, v54
	v_add_nc_u32_e32 v55, v52, v54
	v_xad_u32 v64, v54, -1, v53
	v_add_nc_u32_e32 v65, 1, v54
	ds_load_i8 v55, v55
	ds_load_i8 v64, v64
	s_waitcnt lgkmcnt(0)
	v_cmp_gt_i16_e64 s7, v64, v55
	s_delay_alu instid0(VALU_DEP_1) | instskip(SKIP_1) | instid1(VALU_DEP_1)
	v_cndmask_b32_e64 v30, v30, v54, s7
	v_cndmask_b32_e64 v51, v65, v51, s7
	v_cmp_ge_u32_e64 s7, v51, v30
	s_delay_alu instid0(VALU_DEP_1) | instskip(NEXT) | instid1(SALU_CYCLE_1)
	s_or_b32 s9, s7, s9
	s_and_not1_b32 exec_lo, exec_lo, s9
	s_cbranch_execnz .LBB307_78
; %bb.79:
	s_or_b32 exec_lo, exec_lo, s9
.LBB307_80:
	s_delay_alu instid0(SALU_CYCLE_1) | instskip(SKIP_3) | instid1(VALU_DEP_3)
	s_or_b32 exec_lo, exec_lo, s8
	v_add_nc_u32_e32 v52, v31, v50
	v_add_nc_u32_e32 v50, v51, v49
	;; [unrolled: 1-line block ×3, first 2 shown]
	v_sub_nc_u32_e32 v49, v52, v51
	s_delay_alu instid0(VALU_DEP_3) | instskip(NEXT) | instid1(VALU_DEP_2)
	v_cmp_le_u32_e64 s7, v50, v31
	v_cmp_le_u32_e64 s8, v49, v48
	s_delay_alu instid0(VALU_DEP_1) | instskip(NEXT) | instid1(SALU_CYCLE_1)
	s_or_b32 s7, s7, s8
	s_and_saveexec_b32 s18, s7
	s_cbranch_execz .LBB307_86
; %bb.81:
	v_cmp_lt_u32_e64 s7, v50, v31
                                        ; implicit-def: $vgpr24
	s_delay_alu instid0(VALU_DEP_1)
	s_and_saveexec_b32 s8, s7
	s_cbranch_execz .LBB307_83
; %bb.82:
	v_add_nc_u32_e32 v4, v10, v50
	ds_load_u8 v24, v4
.LBB307_83:
	s_or_b32 exec_lo, exec_lo, s8
	v_cmp_ge_u32_e64 s8, v49, v48
	s_mov_b32 s10, exec_lo
                                        ; implicit-def: $vgpr25
	v_cmpx_lt_u32_e64 v49, v48
	s_cbranch_execz .LBB307_85
; %bb.84:
	v_add_nc_u32_e32 v4, v10, v49
	ds_load_u8 v25, v4
.LBB307_85:
	s_or_b32 exec_lo, exec_lo, s10
	s_waitcnt lgkmcnt(0)
	v_bfe_i32 v4, v24, 0, 8
	v_bfe_i32 v5, v25, 0, 8
	s_delay_alu instid0(VALU_DEP_1) | instskip(NEXT) | instid1(VALU_DEP_1)
	v_cmp_le_i16_e64 s9, v5, v4
	s_and_b32 s7, s7, s9
	s_delay_alu instid0(SALU_CYCLE_1) | instskip(NEXT) | instid1(SALU_CYCLE_1)
	s_or_b32 s7, s8, s7
	v_cndmask_b32_e64 v4, v49, v50, s7
	v_cndmask_b32_e64 v5, v48, v31, s7
	s_delay_alu instid0(VALU_DEP_2) | instskip(NEXT) | instid1(VALU_DEP_2)
	v_add_nc_u32_e32 v12, 1, v4
	v_add_nc_u32_e32 v5, -1, v5
	v_lshl_add_u32 v4, v4, 3, v9
	s_delay_alu instid0(VALU_DEP_2) | instskip(NEXT) | instid1(VALU_DEP_1)
	v_min_u32_e32 v5, v12, v5
	v_add_nc_u32_e32 v5, v10, v5
	ds_load_u8 v5, v5
	s_waitcnt lgkmcnt(0)
	v_cndmask_b32_e64 v28, v5, v25, s7
	v_cndmask_b32_e64 v35, v24, v5, s7
	;; [unrolled: 1-line block ×5, first 2 shown]
	v_bfe_i32 v13, v28, 0, 8
	v_bfe_i32 v14, v35, 0, 8
	v_cmp_lt_u32_e64 s8, v5, v31
	v_cmp_ge_u32_e64 s10, v12, v48
	s_delay_alu instid0(VALU_DEP_3) | instskip(NEXT) | instid1(VALU_DEP_1)
	v_cmp_le_i16_e64 s9, v13, v14
	s_and_b32 s8, s8, s9
	s_delay_alu instid0(VALU_DEP_2) | instid1(SALU_CYCLE_1)
	s_or_b32 s8, s10, s8
	s_delay_alu instid0(SALU_CYCLE_1) | instskip(SKIP_2) | instid1(VALU_DEP_3)
	v_cndmask_b32_e64 v13, v12, v5, s8
	v_cndmask_b32_e64 v14, v48, v31, s8
	;; [unrolled: 1-line block ×3, first 2 shown]
	v_add_nc_u32_e32 v15, 1, v13
	s_delay_alu instid0(VALU_DEP_3) | instskip(SKIP_1) | instid1(VALU_DEP_3)
	v_add_nc_u32_e32 v14, -1, v14
	v_lshl_add_u32 v13, v13, 3, v9
	v_cndmask_b32_e64 v5, v5, v15, s8
	s_delay_alu instid0(VALU_DEP_3) | instskip(SKIP_1) | instid1(VALU_DEP_3)
	v_min_u32_e32 v14, v15, v14
	v_cndmask_b32_e64 v12, v15, v12, s8
	v_cmp_lt_u32_e64 s9, v5, v31
	s_delay_alu instid0(VALU_DEP_3) | instskip(NEXT) | instid1(VALU_DEP_3)
	v_add_nc_u32_e32 v14, v10, v14
	v_cmp_ge_u32_e64 s11, v12, v48
	ds_load_u8 v14, v14
	s_waitcnt lgkmcnt(0)
	v_cndmask_b32_e64 v36, v14, v28, s8
	v_cndmask_b32_e64 v37, v35, v14, s8
	s_delay_alu instid0(VALU_DEP_2) | instskip(NEXT) | instid1(VALU_DEP_2)
	v_bfe_i32 v14, v36, 0, 8
	v_bfe_i32 v16, v37, 0, 8
	s_delay_alu instid0(VALU_DEP_1) | instskip(NEXT) | instid1(VALU_DEP_1)
	v_cmp_le_i16_e64 s10, v14, v16
	s_and_b32 s9, s9, s10
	s_delay_alu instid0(SALU_CYCLE_1) | instskip(NEXT) | instid1(SALU_CYCLE_1)
	s_or_b32 s9, s11, s9
	v_cndmask_b32_e64 v14, v12, v5, s9
	v_cndmask_b32_e64 v15, v48, v31, s9
	;; [unrolled: 1-line block ×3, first 2 shown]
	s_delay_alu instid0(VALU_DEP_3) | instskip(NEXT) | instid1(VALU_DEP_3)
	v_add_nc_u32_e32 v16, 1, v14
	v_add_nc_u32_e32 v15, -1, v15
	s_delay_alu instid0(VALU_DEP_2) | instskip(NEXT) | instid1(VALU_DEP_2)
	v_cndmask_b32_e64 v5, v5, v16, s9
	v_min_u32_e32 v15, v16, v15
	v_cndmask_b32_e64 v12, v16, v12, s9
	s_delay_alu instid0(VALU_DEP_3) | instskip(NEXT) | instid1(VALU_DEP_3)
	v_cmp_lt_u32_e64 s10, v5, v31
	v_add_nc_u32_e32 v15, v10, v15
	s_delay_alu instid0(VALU_DEP_3) | instskip(SKIP_4) | instid1(VALU_DEP_2)
	v_cmp_ge_u32_e64 s12, v12, v48
	ds_load_u8 v15, v15
	s_waitcnt lgkmcnt(0)
	v_cndmask_b32_e64 v49, v15, v36, s9
	v_cndmask_b32_e64 v50, v37, v15, s9
	v_bfe_i32 v15, v49, 0, 8
	s_delay_alu instid0(VALU_DEP_2) | instskip(NEXT) | instid1(VALU_DEP_1)
	v_bfe_i32 v17, v50, 0, 8
	v_cmp_le_i16_e64 s11, v15, v17
	s_delay_alu instid0(VALU_DEP_1) | instskip(NEXT) | instid1(SALU_CYCLE_1)
	s_and_b32 s10, s10, s11
	s_or_b32 s10, s12, s10
	s_delay_alu instid0(SALU_CYCLE_1) | instskip(SKIP_2) | instid1(VALU_DEP_3)
	v_cndmask_b32_e64 v18, v12, v5, s10
	v_cndmask_b32_e64 v15, v48, v31, s10
	;; [unrolled: 1-line block ×3, first 2 shown]
	v_add_nc_u32_e32 v16, 1, v18
	s_delay_alu instid0(VALU_DEP_3) | instskip(NEXT) | instid1(VALU_DEP_2)
	v_add_nc_u32_e32 v15, -1, v15
	v_cndmask_b32_e64 v5, v5, v16, s10
	s_delay_alu instid0(VALU_DEP_2) | instskip(SKIP_1) | instid1(VALU_DEP_3)
	v_min_u32_e32 v15, v16, v15
	v_cndmask_b32_e64 v12, v16, v12, s10
	v_cmp_lt_u32_e64 s11, v5, v31
	s_delay_alu instid0(VALU_DEP_3) | instskip(NEXT) | instid1(VALU_DEP_3)
	v_add_nc_u32_e32 v15, v10, v15
	v_cmp_ge_u32_e64 s13, v12, v48
	ds_load_u8 v15, v15
	s_waitcnt lgkmcnt(0)
	v_cndmask_b32_e64 v51, v15, v49, s10
	v_cndmask_b32_e64 v52, v50, v15, s10
	s_delay_alu instid0(VALU_DEP_2) | instskip(NEXT) | instid1(VALU_DEP_2)
	v_bfe_i32 v15, v51, 0, 8
	v_bfe_i32 v17, v52, 0, 8
	s_delay_alu instid0(VALU_DEP_1) | instskip(NEXT) | instid1(VALU_DEP_1)
	v_cmp_le_i16_e64 s12, v15, v17
	s_and_b32 s11, s11, s12
	s_delay_alu instid0(SALU_CYCLE_1) | instskip(NEXT) | instid1(SALU_CYCLE_1)
	s_or_b32 s11, s13, s11
	v_cndmask_b32_e64 v19, v12, v5, s11
	v_cndmask_b32_e64 v15, v48, v31, s11
	v_cndmask_b32_e64 v25, v51, v52, s11
	s_delay_alu instid0(VALU_DEP_3) | instskip(NEXT) | instid1(VALU_DEP_3)
	v_add_nc_u32_e32 v16, 1, v19
	v_add_nc_u32_e32 v15, -1, v15
	s_delay_alu instid0(VALU_DEP_2) | instskip(NEXT) | instid1(VALU_DEP_2)
	v_cndmask_b32_e64 v5, v5, v16, s11
	v_min_u32_e32 v15, v16, v15
	v_cndmask_b32_e64 v12, v16, v12, s11
	s_delay_alu instid0(VALU_DEP_3) | instskip(NEXT) | instid1(VALU_DEP_3)
	v_cmp_lt_u32_e64 s12, v5, v31
	v_add_nc_u32_e32 v15, v10, v15
	s_delay_alu instid0(VALU_DEP_3) | instskip(SKIP_4) | instid1(VALU_DEP_2)
	v_cmp_ge_u32_e64 s14, v12, v48
	ds_load_u8 v15, v15
	s_waitcnt lgkmcnt(0)
	v_cndmask_b32_e64 v53, v15, v51, s11
	v_cndmask_b32_e64 v54, v52, v15, s11
	v_bfe_i32 v15, v53, 0, 8
	s_delay_alu instid0(VALU_DEP_2) | instskip(NEXT) | instid1(VALU_DEP_1)
	v_bfe_i32 v17, v54, 0, 8
	v_cmp_le_i16_e64 s13, v15, v17
	s_delay_alu instid0(VALU_DEP_1) | instskip(NEXT) | instid1(SALU_CYCLE_1)
	s_and_b32 s12, s12, s13
	s_or_b32 s12, s14, s12
	s_delay_alu instid0(SALU_CYCLE_1) | instskip(SKIP_2) | instid1(VALU_DEP_3)
	v_cndmask_b32_e64 v20, v12, v5, s12
	v_cndmask_b32_e64 v15, v48, v31, s12
	v_cndmask_b32_e64 v37, v53, v54, s12
	v_add_nc_u32_e32 v16, 1, v20
	s_delay_alu instid0(VALU_DEP_3) | instskip(NEXT) | instid1(VALU_DEP_2)
	v_add_nc_u32_e32 v15, -1, v15
	v_cndmask_b32_e64 v5, v5, v16, s12
	s_delay_alu instid0(VALU_DEP_2) | instskip(SKIP_1) | instid1(VALU_DEP_3)
	v_min_u32_e32 v15, v16, v15
	v_cndmask_b32_e64 v12, v16, v12, s12
	v_cmp_lt_u32_e64 s13, v5, v31
	s_delay_alu instid0(VALU_DEP_3) | instskip(NEXT) | instid1(VALU_DEP_3)
	v_add_nc_u32_e32 v15, v10, v15
	v_cmp_ge_u32_e64 s15, v12, v48
	ds_load_u8 v15, v15
	s_waitcnt lgkmcnt(0)
	v_cndmask_b32_e64 v55, v15, v53, s12
	v_cndmask_b32_e64 v64, v54, v15, s12
	s_delay_alu instid0(VALU_DEP_2) | instskip(NEXT) | instid1(VALU_DEP_2)
	v_bfe_i32 v15, v55, 0, 8
	v_bfe_i32 v17, v64, 0, 8
	s_delay_alu instid0(VALU_DEP_1) | instskip(NEXT) | instid1(VALU_DEP_1)
	v_cmp_le_i16_e64 s14, v15, v17
	s_and_b32 s13, s13, s14
	s_delay_alu instid0(SALU_CYCLE_1) | instskip(NEXT) | instid1(SALU_CYCLE_1)
	s_or_b32 s13, s15, s13
	v_cndmask_b32_e64 v21, v12, v5, s13
	v_cndmask_b32_e64 v15, v48, v31, s13
	v_cndmask_b32_e64 v36, v55, v64, s13
	s_delay_alu instid0(VALU_DEP_3) | instskip(NEXT) | instid1(VALU_DEP_3)
	v_add_nc_u32_e32 v16, 1, v21
	v_add_nc_u32_e32 v15, -1, v15
	s_delay_alu instid0(VALU_DEP_2) | instskip(NEXT) | instid1(VALU_DEP_2)
	v_cndmask_b32_e64 v22, v5, v16, s13
	v_min_u32_e32 v15, v16, v15
	v_cndmask_b32_e64 v12, v16, v12, s13
	v_lshl_add_u32 v16, v14, 3, v9
	s_delay_alu instid0(VALU_DEP_4) | instskip(NEXT) | instid1(VALU_DEP_4)
	v_cmp_lt_u32_e64 s14, v22, v31
	v_add_nc_u32_e32 v15, v10, v15
	s_delay_alu instid0(VALU_DEP_4)
	v_cmp_ge_u32_e64 s16, v12, v48
	v_lshl_add_u32 v31, v21, 3, v9
	ds_load_u8 v15, v15
	s_waitcnt lgkmcnt(0)
	v_cndmask_b32_e64 v65, v15, v55, s13
	v_cndmask_b32_e64 v66, v64, v15, s13
	s_delay_alu instid0(VALU_DEP_2) | instskip(NEXT) | instid1(VALU_DEP_2)
	v_bfe_i32 v5, v65, 0, 8
	v_bfe_i32 v15, v66, 0, 8
	s_delay_alu instid0(VALU_DEP_1)
	v_cmp_le_i16_e64 s15, v5, v15
	ds_load_b64 v[4:5], v4 offset:2048
	ds_load_b64 v[14:15], v13 offset:2048
	v_lshl_add_u32 v13, v18, 3, v9
	v_lshl_add_u32 v18, v19, 3, v9
	;; [unrolled: 1-line block ×3, first 2 shown]
	s_and_b32 s14, s14, s15
	ds_load_b64 v[16:17], v16 offset:2048
	s_or_b32 s14, s16, s14
	s_delay_alu instid0(SALU_CYCLE_1) | instskip(SKIP_1) | instid1(VALU_DEP_2)
	v_cndmask_b32_e64 v12, v12, v22, s14
	v_cndmask_b32_e64 v35, v65, v66, s14
	v_lshl_add_u32 v12, v12, 3, v9
	ds_load_b64 v[22:23], v13 offset:2048
	ds_load_b64 v[26:27], v18 offset:2048
	;; [unrolled: 1-line block ×5, first 2 shown]
.LBB307_86:
	s_or_b32 exec_lo, exec_lo, s18
	v_and_b32_e32 v50, 0xe0, v34
	v_and_b32_e32 v51, 24, v34
	s_mov_b32 s8, exec_lo
	; wave barrier
	s_delay_alu instid0(VALU_DEP_2) | instskip(NEXT) | instid1(VALU_DEP_2)
	v_or_b32_e32 v31, 16, v50
	v_min_u32_e32 v51, v11, v51
	s_delay_alu instid0(VALU_DEP_2)
	v_min_u32_e32 v48, v11, v31
	v_add_nc_u32_e32 v31, v10, v34
	ds_store_b8 v31, v24
	s_waitcnt lgkmcnt(8)
	ds_store_b64 v29, v[4:5] offset:2048
	ds_store_b8 v31, v38 offset:1
	s_waitcnt lgkmcnt(9)
	ds_store_b64 v30, v[14:15] offset:8
	v_add_nc_u32_e32 v49, 16, v48
	v_sub_nc_u32_e32 v53, v48, v50
	ds_store_b8 v31, v39 offset:2
	s_waitcnt lgkmcnt(10)
	ds_store_b64 v30, v[16:17] offset:16
	ds_store_b8 v31, v28 offset:3
	s_waitcnt lgkmcnt(11)
	ds_store_b64 v30, v[22:23] offset:24
	;; [unrolled: 3-line block ×6, first 2 shown]
	v_min_u32_e32 v49, v11, v49
	v_min_u32_e32 v53, v51, v53
	; wave barrier
	s_delay_alu instid0(VALU_DEP_2) | instskip(NEXT) | instid1(VALU_DEP_1)
	v_sub_nc_u32_e32 v52, v49, v48
	v_sub_nc_u32_e64 v52, v51, v52 clamp
	s_delay_alu instid0(VALU_DEP_1)
	v_cmpx_lt_u32_e64 v52, v53
	s_cbranch_execz .LBB307_90
; %bb.87:
	v_add_nc_u32_e32 v54, v10, v50
	v_add3_u32 v55, v10, v48, v51
	s_mov_b32 s9, 0
	.p2align	6
.LBB307_88:                             ; =>This Inner Loop Header: Depth=1
	v_add_nc_u32_e32 v64, v53, v52
	s_delay_alu instid0(VALU_DEP_1) | instskip(NEXT) | instid1(VALU_DEP_1)
	v_lshrrev_b32_e32 v64, 1, v64
	v_add_nc_u32_e32 v65, v54, v64
	v_xad_u32 v66, v64, -1, v55
	v_add_nc_u32_e32 v67, 1, v64
	ds_load_i8 v65, v65
	ds_load_i8 v66, v66
	s_waitcnt lgkmcnt(0)
	v_cmp_gt_i16_e64 s7, v66, v65
	s_delay_alu instid0(VALU_DEP_1) | instskip(SKIP_1) | instid1(VALU_DEP_1)
	v_cndmask_b32_e64 v53, v53, v64, s7
	v_cndmask_b32_e64 v52, v67, v52, s7
	v_cmp_ge_u32_e64 s7, v52, v53
	s_delay_alu instid0(VALU_DEP_1) | instskip(NEXT) | instid1(SALU_CYCLE_1)
	s_or_b32 s9, s7, s9
	s_and_not1_b32 exec_lo, exec_lo, s9
	s_cbranch_execnz .LBB307_88
; %bb.89:
	s_or_b32 exec_lo, exec_lo, s9
.LBB307_90:
	s_delay_alu instid0(SALU_CYCLE_1) | instskip(SKIP_2) | instid1(VALU_DEP_2)
	s_or_b32 exec_lo, exec_lo, s8
	v_add_nc_u32_e32 v53, v48, v51
	v_add_nc_u32_e32 v51, v52, v50
	v_sub_nc_u32_e32 v50, v53, v52
	s_delay_alu instid0(VALU_DEP_2) | instskip(NEXT) | instid1(VALU_DEP_2)
	v_cmp_le_u32_e64 s7, v51, v48
	v_cmp_le_u32_e64 s8, v50, v49
	s_delay_alu instid0(VALU_DEP_1) | instskip(NEXT) | instid1(SALU_CYCLE_1)
	s_or_b32 s7, s7, s8
	s_and_saveexec_b32 s18, s7
	s_cbranch_execz .LBB307_96
; %bb.91:
	v_cmp_lt_u32_e64 s7, v51, v48
                                        ; implicit-def: $vgpr24
	s_delay_alu instid0(VALU_DEP_1)
	s_and_saveexec_b32 s8, s7
	s_cbranch_execz .LBB307_93
; %bb.92:
	v_add_nc_u32_e32 v4, v10, v51
	ds_load_u8 v24, v4
.LBB307_93:
	s_or_b32 exec_lo, exec_lo, s8
	v_cmp_ge_u32_e64 s8, v50, v49
	s_mov_b32 s10, exec_lo
                                        ; implicit-def: $vgpr25
	v_cmpx_lt_u32_e64 v50, v49
	s_cbranch_execz .LBB307_95
; %bb.94:
	v_add_nc_u32_e32 v4, v10, v50
	ds_load_u8 v25, v4
.LBB307_95:
	s_or_b32 exec_lo, exec_lo, s10
	s_waitcnt lgkmcnt(0)
	v_bfe_i32 v4, v24, 0, 8
	v_bfe_i32 v5, v25, 0, 8
	s_delay_alu instid0(VALU_DEP_1) | instskip(NEXT) | instid1(VALU_DEP_1)
	v_cmp_le_i16_e64 s9, v5, v4
	s_and_b32 s7, s7, s9
	s_delay_alu instid0(SALU_CYCLE_1) | instskip(NEXT) | instid1(SALU_CYCLE_1)
	s_or_b32 s7, s8, s7
	v_cndmask_b32_e64 v4, v50, v51, s7
	v_cndmask_b32_e64 v5, v49, v48, s7
	s_delay_alu instid0(VALU_DEP_2) | instskip(NEXT) | instid1(VALU_DEP_2)
	v_add_nc_u32_e32 v12, 1, v4
	v_add_nc_u32_e32 v5, -1, v5
	v_lshl_add_u32 v4, v4, 3, v9
	s_delay_alu instid0(VALU_DEP_2) | instskip(NEXT) | instid1(VALU_DEP_1)
	v_min_u32_e32 v5, v12, v5
	v_add_nc_u32_e32 v5, v10, v5
	ds_load_u8 v5, v5
	s_waitcnt lgkmcnt(0)
	v_cndmask_b32_e64 v28, v5, v25, s7
	v_cndmask_b32_e64 v35, v24, v5, s7
	;; [unrolled: 1-line block ×5, first 2 shown]
	v_bfe_i32 v13, v28, 0, 8
	v_bfe_i32 v14, v35, 0, 8
	v_cmp_lt_u32_e64 s8, v5, v48
	v_cmp_ge_u32_e64 s10, v12, v49
	s_delay_alu instid0(VALU_DEP_3) | instskip(NEXT) | instid1(VALU_DEP_1)
	v_cmp_le_i16_e64 s9, v13, v14
	s_and_b32 s8, s8, s9
	s_delay_alu instid0(VALU_DEP_2) | instid1(SALU_CYCLE_1)
	s_or_b32 s8, s10, s8
	s_delay_alu instid0(SALU_CYCLE_1) | instskip(SKIP_1) | instid1(VALU_DEP_2)
	v_cndmask_b32_e64 v13, v12, v5, s8
	v_cndmask_b32_e64 v14, v49, v48, s8
	v_add_nc_u32_e32 v15, 1, v13
	s_delay_alu instid0(VALU_DEP_2) | instskip(SKIP_1) | instid1(VALU_DEP_3)
	v_add_nc_u32_e32 v14, -1, v14
	v_lshl_add_u32 v13, v13, 3, v9
	v_cndmask_b32_e64 v5, v5, v15, s8
	s_delay_alu instid0(VALU_DEP_3) | instskip(SKIP_1) | instid1(VALU_DEP_3)
	v_min_u32_e32 v14, v15, v14
	v_cndmask_b32_e64 v12, v15, v12, s8
	v_cmp_lt_u32_e64 s9, v5, v48
	s_delay_alu instid0(VALU_DEP_3) | instskip(NEXT) | instid1(VALU_DEP_3)
	v_add_nc_u32_e32 v14, v10, v14
	v_cmp_ge_u32_e64 s11, v12, v49
	ds_load_u8 v14, v14
	s_waitcnt lgkmcnt(0)
	v_cndmask_b32_e64 v36, v14, v28, s8
	v_cndmask_b32_e64 v37, v35, v14, s8
	s_delay_alu instid0(VALU_DEP_2) | instskip(NEXT) | instid1(VALU_DEP_2)
	v_bfe_i32 v14, v36, 0, 8
	v_bfe_i32 v16, v37, 0, 8
	s_delay_alu instid0(VALU_DEP_1) | instskip(NEXT) | instid1(VALU_DEP_1)
	v_cmp_le_i16_e64 s10, v14, v16
	s_and_b32 s9, s9, s10
	s_delay_alu instid0(SALU_CYCLE_1) | instskip(NEXT) | instid1(SALU_CYCLE_1)
	s_or_b32 s9, s11, s9
	v_cndmask_b32_e64 v14, v12, v5, s9
	v_cndmask_b32_e64 v15, v49, v48, s9
	;; [unrolled: 1-line block ×3, first 2 shown]
	s_delay_alu instid0(VALU_DEP_3) | instskip(NEXT) | instid1(VALU_DEP_3)
	v_add_nc_u32_e32 v16, 1, v14
	v_add_nc_u32_e32 v15, -1, v15
	s_delay_alu instid0(VALU_DEP_2) | instskip(NEXT) | instid1(VALU_DEP_2)
	v_cndmask_b32_e64 v5, v5, v16, s9
	v_min_u32_e32 v15, v16, v15
	v_cndmask_b32_e64 v12, v16, v12, s9
	s_delay_alu instid0(VALU_DEP_3) | instskip(NEXT) | instid1(VALU_DEP_3)
	v_cmp_lt_u32_e64 s10, v5, v48
	v_add_nc_u32_e32 v15, v10, v15
	s_delay_alu instid0(VALU_DEP_3) | instskip(SKIP_4) | instid1(VALU_DEP_2)
	v_cmp_ge_u32_e64 s12, v12, v49
	ds_load_u8 v15, v15
	s_waitcnt lgkmcnt(0)
	v_cndmask_b32_e64 v50, v15, v36, s9
	v_cndmask_b32_e64 v51, v37, v15, s9
	v_bfe_i32 v15, v50, 0, 8
	s_delay_alu instid0(VALU_DEP_2) | instskip(NEXT) | instid1(VALU_DEP_1)
	v_bfe_i32 v17, v51, 0, 8
	v_cmp_le_i16_e64 s11, v15, v17
	s_delay_alu instid0(VALU_DEP_1) | instskip(NEXT) | instid1(SALU_CYCLE_1)
	s_and_b32 s10, s10, s11
	s_or_b32 s10, s12, s10
	s_delay_alu instid0(SALU_CYCLE_1) | instskip(SKIP_1) | instid1(VALU_DEP_2)
	v_cndmask_b32_e64 v18, v12, v5, s10
	v_cndmask_b32_e64 v15, v49, v48, s10
	v_add_nc_u32_e32 v16, 1, v18
	s_delay_alu instid0(VALU_DEP_2) | instskip(NEXT) | instid1(VALU_DEP_2)
	v_add_nc_u32_e32 v15, -1, v15
	v_cndmask_b32_e64 v5, v5, v16, s10
	s_delay_alu instid0(VALU_DEP_2) | instskip(SKIP_1) | instid1(VALU_DEP_3)
	v_min_u32_e32 v15, v16, v15
	v_cndmask_b32_e64 v12, v16, v12, s10
	v_cmp_lt_u32_e64 s11, v5, v48
	s_delay_alu instid0(VALU_DEP_3) | instskip(NEXT) | instid1(VALU_DEP_3)
	v_add_nc_u32_e32 v15, v10, v15
	v_cmp_ge_u32_e64 s13, v12, v49
	ds_load_u8 v15, v15
	s_waitcnt lgkmcnt(0)
	v_cndmask_b32_e64 v52, v15, v50, s10
	v_cndmask_b32_e64 v53, v51, v15, s10
	s_delay_alu instid0(VALU_DEP_2) | instskip(NEXT) | instid1(VALU_DEP_2)
	v_bfe_i32 v15, v52, 0, 8
	v_bfe_i32 v17, v53, 0, 8
	s_delay_alu instid0(VALU_DEP_1) | instskip(NEXT) | instid1(VALU_DEP_1)
	v_cmp_le_i16_e64 s12, v15, v17
	s_and_b32 s11, s11, s12
	s_delay_alu instid0(SALU_CYCLE_1) | instskip(NEXT) | instid1(SALU_CYCLE_1)
	s_or_b32 s11, s13, s11
	v_cndmask_b32_e64 v19, v12, v5, s11
	v_cndmask_b32_e64 v15, v49, v48, s11
	;; [unrolled: 1-line block ×3, first 2 shown]
	s_delay_alu instid0(VALU_DEP_3) | instskip(NEXT) | instid1(VALU_DEP_3)
	v_add_nc_u32_e32 v16, 1, v19
	v_add_nc_u32_e32 v15, -1, v15
	s_delay_alu instid0(VALU_DEP_2) | instskip(NEXT) | instid1(VALU_DEP_2)
	v_cndmask_b32_e64 v5, v5, v16, s11
	v_min_u32_e32 v15, v16, v15
	v_cndmask_b32_e64 v12, v16, v12, s11
	s_delay_alu instid0(VALU_DEP_3) | instskip(NEXT) | instid1(VALU_DEP_3)
	v_cmp_lt_u32_e64 s12, v5, v48
	v_add_nc_u32_e32 v15, v10, v15
	s_delay_alu instid0(VALU_DEP_3) | instskip(SKIP_4) | instid1(VALU_DEP_2)
	v_cmp_ge_u32_e64 s14, v12, v49
	ds_load_u8 v15, v15
	s_waitcnt lgkmcnt(0)
	v_cndmask_b32_e64 v54, v15, v52, s11
	v_cndmask_b32_e64 v55, v53, v15, s11
	v_bfe_i32 v15, v54, 0, 8
	s_delay_alu instid0(VALU_DEP_2) | instskip(NEXT) | instid1(VALU_DEP_1)
	v_bfe_i32 v17, v55, 0, 8
	v_cmp_le_i16_e64 s13, v15, v17
	s_delay_alu instid0(VALU_DEP_1) | instskip(NEXT) | instid1(SALU_CYCLE_1)
	s_and_b32 s12, s12, s13
	s_or_b32 s12, s14, s12
	s_delay_alu instid0(SALU_CYCLE_1) | instskip(SKIP_2) | instid1(VALU_DEP_3)
	v_cndmask_b32_e64 v20, v12, v5, s12
	v_cndmask_b32_e64 v15, v49, v48, s12
	;; [unrolled: 1-line block ×3, first 2 shown]
	v_add_nc_u32_e32 v16, 1, v20
	s_delay_alu instid0(VALU_DEP_3) | instskip(NEXT) | instid1(VALU_DEP_2)
	v_add_nc_u32_e32 v15, -1, v15
	v_cndmask_b32_e64 v5, v5, v16, s12
	s_delay_alu instid0(VALU_DEP_2) | instskip(SKIP_1) | instid1(VALU_DEP_3)
	v_min_u32_e32 v15, v16, v15
	v_cndmask_b32_e64 v12, v16, v12, s12
	v_cmp_lt_u32_e64 s13, v5, v48
	s_delay_alu instid0(VALU_DEP_3) | instskip(NEXT) | instid1(VALU_DEP_3)
	v_add_nc_u32_e32 v15, v10, v15
	v_cmp_ge_u32_e64 s15, v12, v49
	ds_load_u8 v15, v15
	s_waitcnt lgkmcnt(0)
	v_cndmask_b32_e64 v64, v15, v54, s12
	v_cndmask_b32_e64 v65, v55, v15, s12
	s_delay_alu instid0(VALU_DEP_2) | instskip(NEXT) | instid1(VALU_DEP_2)
	v_bfe_i32 v15, v64, 0, 8
	v_bfe_i32 v17, v65, 0, 8
	s_delay_alu instid0(VALU_DEP_1) | instskip(NEXT) | instid1(VALU_DEP_1)
	v_cmp_le_i16_e64 s14, v15, v17
	s_and_b32 s13, s13, s14
	s_delay_alu instid0(SALU_CYCLE_1) | instskip(NEXT) | instid1(SALU_CYCLE_1)
	s_or_b32 s13, s15, s13
	v_cndmask_b32_e64 v21, v12, v5, s13
	v_cndmask_b32_e64 v15, v49, v48, s13
	;; [unrolled: 1-line block ×3, first 2 shown]
	s_delay_alu instid0(VALU_DEP_3) | instskip(NEXT) | instid1(VALU_DEP_3)
	v_add_nc_u32_e32 v16, 1, v21
	v_add_nc_u32_e32 v15, -1, v15
	v_lshl_add_u32 v38, v21, 3, v9
	s_delay_alu instid0(VALU_DEP_3) | instskip(NEXT) | instid1(VALU_DEP_3)
	v_cndmask_b32_e64 v22, v5, v16, s13
	v_min_u32_e32 v15, v16, v15
	v_cndmask_b32_e64 v12, v16, v12, s13
	v_lshl_add_u32 v16, v14, 3, v9
	s_delay_alu instid0(VALU_DEP_4) | instskip(NEXT) | instid1(VALU_DEP_4)
	v_cmp_lt_u32_e64 s14, v22, v48
	v_add_nc_u32_e32 v15, v10, v15
	s_delay_alu instid0(VALU_DEP_4) | instskip(SKIP_4) | instid1(VALU_DEP_2)
	v_cmp_ge_u32_e64 s16, v12, v49
	ds_load_u8 v15, v15
	s_waitcnt lgkmcnt(0)
	v_cndmask_b32_e64 v66, v15, v64, s13
	v_cndmask_b32_e64 v67, v65, v15, s13
	v_bfe_i32 v5, v66, 0, 8
	s_delay_alu instid0(VALU_DEP_2) | instskip(NEXT) | instid1(VALU_DEP_1)
	v_bfe_i32 v15, v67, 0, 8
	v_cmp_le_i16_e64 s15, v5, v15
	ds_load_b64 v[4:5], v4 offset:2048
	ds_load_b64 v[14:15], v13 offset:2048
	v_lshl_add_u32 v13, v18, 3, v9
	v_lshl_add_u32 v18, v19, 3, v9
	v_lshl_add_u32 v19, v20, 3, v9
	s_and_b32 s14, s14, s15
	ds_load_b64 v[16:17], v16 offset:2048
	s_or_b32 s14, s16, s14
	s_delay_alu instid0(SALU_CYCLE_1) | instskip(NEXT) | instid1(VALU_DEP_1)
	v_cndmask_b32_e64 v12, v12, v22, s14
	v_lshl_add_u32 v12, v12, 3, v9
	ds_load_b64 v[22:23], v13 offset:2048
	ds_load_b64 v[26:27], v18 offset:2048
	;; [unrolled: 1-line block ×5, first 2 shown]
	v_cndmask_b32_e64 v38, v28, v35, s8
	v_cndmask_b32_e64 v28, v50, v51, s10
	;; [unrolled: 1-line block ×3, first 2 shown]
.LBB307_96:
	s_or_b32 exec_lo, exec_lo, s18
	v_and_b32_e32 v50, 0xc0, v34
	v_and_b32_e32 v51, 56, v34
	s_mov_b32 s8, exec_lo
	; wave barrier
	s_delay_alu instid0(VALU_DEP_2) | instskip(NEXT) | instid1(VALU_DEP_2)
	v_or_b32_e32 v48, 32, v50
	v_min_u32_e32 v51, v11, v51
	ds_store_b8 v31, v24
	s_waitcnt lgkmcnt(8)
	ds_store_b64 v29, v[4:5] offset:2048
	ds_store_b8 v31, v38 offset:1
	s_waitcnt lgkmcnt(9)
	ds_store_b64 v30, v[14:15] offset:8
	ds_store_b8 v31, v39 offset:2
	s_waitcnt lgkmcnt(10)
	ds_store_b64 v30, v[16:17] offset:16
	ds_store_b8 v31, v28 offset:3
	v_min_u32_e32 v48, v11, v48
	s_waitcnt lgkmcnt(11)
	ds_store_b64 v30, v[22:23] offset:24
	ds_store_b8 v31, v25 offset:4
	s_waitcnt lgkmcnt(12)
	ds_store_b64 v30, v[26:27] offset:32
	ds_store_b8 v31, v37 offset:5
	;; [unrolled: 3-line block ×4, first 2 shown]
	s_waitcnt lgkmcnt(15)
	ds_store_b64 v30, v[12:13] offset:56
	; wave barrier
	v_add_nc_u32_e32 v49, 32, v48
	v_sub_nc_u32_e32 v53, v48, v50
	s_delay_alu instid0(VALU_DEP_2) | instskip(NEXT) | instid1(VALU_DEP_2)
	v_min_u32_e32 v49, v11, v49
	v_min_u32_e32 v53, v51, v53
	s_delay_alu instid0(VALU_DEP_2) | instskip(NEXT) | instid1(VALU_DEP_1)
	v_sub_nc_u32_e32 v52, v49, v48
	v_sub_nc_u32_e64 v52, v51, v52 clamp
	s_delay_alu instid0(VALU_DEP_1)
	v_cmpx_lt_u32_e64 v52, v53
	s_cbranch_execz .LBB307_100
; %bb.97:
	v_add_nc_u32_e32 v54, v10, v50
	v_add3_u32 v55, v10, v48, v51
	s_mov_b32 s9, 0
	.p2align	6
.LBB307_98:                             ; =>This Inner Loop Header: Depth=1
	v_add_nc_u32_e32 v64, v53, v52
	s_delay_alu instid0(VALU_DEP_1) | instskip(NEXT) | instid1(VALU_DEP_1)
	v_lshrrev_b32_e32 v64, 1, v64
	v_add_nc_u32_e32 v65, v54, v64
	v_xad_u32 v66, v64, -1, v55
	v_add_nc_u32_e32 v67, 1, v64
	ds_load_i8 v65, v65
	ds_load_i8 v66, v66
	s_waitcnt lgkmcnt(0)
	v_cmp_gt_i16_e64 s7, v66, v65
	s_delay_alu instid0(VALU_DEP_1) | instskip(SKIP_1) | instid1(VALU_DEP_1)
	v_cndmask_b32_e64 v53, v53, v64, s7
	v_cndmask_b32_e64 v52, v67, v52, s7
	v_cmp_ge_u32_e64 s7, v52, v53
	s_delay_alu instid0(VALU_DEP_1) | instskip(NEXT) | instid1(SALU_CYCLE_1)
	s_or_b32 s9, s7, s9
	s_and_not1_b32 exec_lo, exec_lo, s9
	s_cbranch_execnz .LBB307_98
; %bb.99:
	s_or_b32 exec_lo, exec_lo, s9
.LBB307_100:
	s_delay_alu instid0(SALU_CYCLE_1) | instskip(SKIP_2) | instid1(VALU_DEP_2)
	s_or_b32 exec_lo, exec_lo, s8
	v_add_nc_u32_e32 v53, v48, v51
	v_add_nc_u32_e32 v51, v52, v50
	v_sub_nc_u32_e32 v50, v53, v52
	s_delay_alu instid0(VALU_DEP_2) | instskip(NEXT) | instid1(VALU_DEP_2)
	v_cmp_le_u32_e64 s7, v51, v48
	v_cmp_le_u32_e64 s8, v50, v49
	s_delay_alu instid0(VALU_DEP_1) | instskip(NEXT) | instid1(SALU_CYCLE_1)
	s_or_b32 s7, s7, s8
	s_and_saveexec_b32 s18, s7
	s_cbranch_execz .LBB307_106
; %bb.101:
	v_cmp_lt_u32_e64 s7, v51, v48
                                        ; implicit-def: $vgpr24
	s_delay_alu instid0(VALU_DEP_1)
	s_and_saveexec_b32 s8, s7
	s_cbranch_execz .LBB307_103
; %bb.102:
	v_add_nc_u32_e32 v4, v10, v51
	ds_load_u8 v24, v4
.LBB307_103:
	s_or_b32 exec_lo, exec_lo, s8
	v_cmp_ge_u32_e64 s8, v50, v49
	s_mov_b32 s10, exec_lo
                                        ; implicit-def: $vgpr25
	v_cmpx_lt_u32_e64 v50, v49
	s_cbranch_execz .LBB307_105
; %bb.104:
	v_add_nc_u32_e32 v4, v10, v50
	ds_load_u8 v25, v4
.LBB307_105:
	s_or_b32 exec_lo, exec_lo, s10
	s_waitcnt lgkmcnt(0)
	v_bfe_i32 v4, v24, 0, 8
	v_bfe_i32 v5, v25, 0, 8
	s_delay_alu instid0(VALU_DEP_1) | instskip(NEXT) | instid1(VALU_DEP_1)
	v_cmp_le_i16_e64 s9, v5, v4
	s_and_b32 s7, s7, s9
	s_delay_alu instid0(SALU_CYCLE_1) | instskip(NEXT) | instid1(SALU_CYCLE_1)
	s_or_b32 s7, s8, s7
	v_cndmask_b32_e64 v4, v50, v51, s7
	v_cndmask_b32_e64 v5, v49, v48, s7
	s_delay_alu instid0(VALU_DEP_2) | instskip(NEXT) | instid1(VALU_DEP_2)
	v_add_nc_u32_e32 v12, 1, v4
	v_add_nc_u32_e32 v5, -1, v5
	v_lshl_add_u32 v4, v4, 3, v9
	s_delay_alu instid0(VALU_DEP_2) | instskip(NEXT) | instid1(VALU_DEP_1)
	v_min_u32_e32 v5, v12, v5
	v_add_nc_u32_e32 v5, v10, v5
	ds_load_u8 v5, v5
	s_waitcnt lgkmcnt(0)
	v_cndmask_b32_e64 v28, v5, v25, s7
	v_cndmask_b32_e64 v35, v24, v5, s7
	;; [unrolled: 1-line block ×5, first 2 shown]
	v_bfe_i32 v13, v28, 0, 8
	v_bfe_i32 v14, v35, 0, 8
	v_cmp_lt_u32_e64 s8, v5, v48
	v_cmp_ge_u32_e64 s10, v12, v49
	s_delay_alu instid0(VALU_DEP_3) | instskip(NEXT) | instid1(VALU_DEP_1)
	v_cmp_le_i16_e64 s9, v13, v14
	s_and_b32 s8, s8, s9
	s_delay_alu instid0(VALU_DEP_2) | instid1(SALU_CYCLE_1)
	s_or_b32 s8, s10, s8
	s_delay_alu instid0(SALU_CYCLE_1) | instskip(SKIP_1) | instid1(VALU_DEP_2)
	v_cndmask_b32_e64 v13, v12, v5, s8
	v_cndmask_b32_e64 v14, v49, v48, s8
	v_add_nc_u32_e32 v15, 1, v13
	s_delay_alu instid0(VALU_DEP_2) | instskip(SKIP_1) | instid1(VALU_DEP_3)
	v_add_nc_u32_e32 v14, -1, v14
	v_lshl_add_u32 v13, v13, 3, v9
	v_cndmask_b32_e64 v5, v5, v15, s8
	s_delay_alu instid0(VALU_DEP_3) | instskip(SKIP_1) | instid1(VALU_DEP_3)
	v_min_u32_e32 v14, v15, v14
	v_cndmask_b32_e64 v12, v15, v12, s8
	v_cmp_lt_u32_e64 s9, v5, v48
	s_delay_alu instid0(VALU_DEP_3) | instskip(NEXT) | instid1(VALU_DEP_3)
	v_add_nc_u32_e32 v14, v10, v14
	v_cmp_ge_u32_e64 s11, v12, v49
	ds_load_u8 v14, v14
	s_waitcnt lgkmcnt(0)
	v_cndmask_b32_e64 v36, v14, v28, s8
	v_cndmask_b32_e64 v37, v35, v14, s8
	s_delay_alu instid0(VALU_DEP_2) | instskip(NEXT) | instid1(VALU_DEP_2)
	v_bfe_i32 v14, v36, 0, 8
	v_bfe_i32 v16, v37, 0, 8
	s_delay_alu instid0(VALU_DEP_1) | instskip(NEXT) | instid1(VALU_DEP_1)
	v_cmp_le_i16_e64 s10, v14, v16
	s_and_b32 s9, s9, s10
	s_delay_alu instid0(SALU_CYCLE_1) | instskip(NEXT) | instid1(SALU_CYCLE_1)
	s_or_b32 s9, s11, s9
	v_cndmask_b32_e64 v14, v12, v5, s9
	v_cndmask_b32_e64 v15, v49, v48, s9
	;; [unrolled: 1-line block ×3, first 2 shown]
	s_delay_alu instid0(VALU_DEP_3) | instskip(NEXT) | instid1(VALU_DEP_3)
	v_add_nc_u32_e32 v16, 1, v14
	v_add_nc_u32_e32 v15, -1, v15
	s_delay_alu instid0(VALU_DEP_2) | instskip(NEXT) | instid1(VALU_DEP_2)
	v_cndmask_b32_e64 v5, v5, v16, s9
	v_min_u32_e32 v15, v16, v15
	v_cndmask_b32_e64 v12, v16, v12, s9
	s_delay_alu instid0(VALU_DEP_3) | instskip(NEXT) | instid1(VALU_DEP_3)
	v_cmp_lt_u32_e64 s10, v5, v48
	v_add_nc_u32_e32 v15, v10, v15
	s_delay_alu instid0(VALU_DEP_3) | instskip(SKIP_4) | instid1(VALU_DEP_2)
	v_cmp_ge_u32_e64 s12, v12, v49
	ds_load_u8 v15, v15
	s_waitcnt lgkmcnt(0)
	v_cndmask_b32_e64 v50, v15, v36, s9
	v_cndmask_b32_e64 v51, v37, v15, s9
	v_bfe_i32 v15, v50, 0, 8
	s_delay_alu instid0(VALU_DEP_2) | instskip(NEXT) | instid1(VALU_DEP_1)
	v_bfe_i32 v17, v51, 0, 8
	v_cmp_le_i16_e64 s11, v15, v17
	s_delay_alu instid0(VALU_DEP_1) | instskip(NEXT) | instid1(SALU_CYCLE_1)
	s_and_b32 s10, s10, s11
	s_or_b32 s10, s12, s10
	s_delay_alu instid0(SALU_CYCLE_1) | instskip(SKIP_1) | instid1(VALU_DEP_2)
	v_cndmask_b32_e64 v18, v12, v5, s10
	v_cndmask_b32_e64 v15, v49, v48, s10
	v_add_nc_u32_e32 v16, 1, v18
	s_delay_alu instid0(VALU_DEP_2) | instskip(NEXT) | instid1(VALU_DEP_2)
	v_add_nc_u32_e32 v15, -1, v15
	v_cndmask_b32_e64 v5, v5, v16, s10
	s_delay_alu instid0(VALU_DEP_2) | instskip(SKIP_1) | instid1(VALU_DEP_3)
	v_min_u32_e32 v15, v16, v15
	v_cndmask_b32_e64 v12, v16, v12, s10
	v_cmp_lt_u32_e64 s11, v5, v48
	s_delay_alu instid0(VALU_DEP_3) | instskip(NEXT) | instid1(VALU_DEP_3)
	v_add_nc_u32_e32 v15, v10, v15
	v_cmp_ge_u32_e64 s13, v12, v49
	ds_load_u8 v15, v15
	s_waitcnt lgkmcnt(0)
	v_cndmask_b32_e64 v52, v15, v50, s10
	v_cndmask_b32_e64 v53, v51, v15, s10
	s_delay_alu instid0(VALU_DEP_2) | instskip(NEXT) | instid1(VALU_DEP_2)
	v_bfe_i32 v15, v52, 0, 8
	v_bfe_i32 v17, v53, 0, 8
	s_delay_alu instid0(VALU_DEP_1) | instskip(NEXT) | instid1(VALU_DEP_1)
	v_cmp_le_i16_e64 s12, v15, v17
	s_and_b32 s11, s11, s12
	s_delay_alu instid0(SALU_CYCLE_1) | instskip(NEXT) | instid1(SALU_CYCLE_1)
	s_or_b32 s11, s13, s11
	v_cndmask_b32_e64 v19, v12, v5, s11
	v_cndmask_b32_e64 v15, v49, v48, s11
	v_cndmask_b32_e64 v25, v52, v53, s11
	s_delay_alu instid0(VALU_DEP_3) | instskip(NEXT) | instid1(VALU_DEP_3)
	v_add_nc_u32_e32 v16, 1, v19
	v_add_nc_u32_e32 v15, -1, v15
	s_delay_alu instid0(VALU_DEP_2) | instskip(NEXT) | instid1(VALU_DEP_2)
	v_cndmask_b32_e64 v5, v5, v16, s11
	v_min_u32_e32 v15, v16, v15
	v_cndmask_b32_e64 v12, v16, v12, s11
	s_delay_alu instid0(VALU_DEP_3) | instskip(NEXT) | instid1(VALU_DEP_3)
	v_cmp_lt_u32_e64 s12, v5, v48
	v_add_nc_u32_e32 v15, v10, v15
	s_delay_alu instid0(VALU_DEP_3) | instskip(SKIP_4) | instid1(VALU_DEP_2)
	v_cmp_ge_u32_e64 s14, v12, v49
	ds_load_u8 v15, v15
	s_waitcnt lgkmcnt(0)
	v_cndmask_b32_e64 v54, v15, v52, s11
	v_cndmask_b32_e64 v55, v53, v15, s11
	v_bfe_i32 v15, v54, 0, 8
	s_delay_alu instid0(VALU_DEP_2) | instskip(NEXT) | instid1(VALU_DEP_1)
	v_bfe_i32 v17, v55, 0, 8
	v_cmp_le_i16_e64 s13, v15, v17
	s_delay_alu instid0(VALU_DEP_1) | instskip(NEXT) | instid1(SALU_CYCLE_1)
	s_and_b32 s12, s12, s13
	s_or_b32 s12, s14, s12
	s_delay_alu instid0(SALU_CYCLE_1) | instskip(SKIP_2) | instid1(VALU_DEP_3)
	v_cndmask_b32_e64 v20, v12, v5, s12
	v_cndmask_b32_e64 v15, v49, v48, s12
	;; [unrolled: 1-line block ×3, first 2 shown]
	v_add_nc_u32_e32 v16, 1, v20
	s_delay_alu instid0(VALU_DEP_3) | instskip(NEXT) | instid1(VALU_DEP_2)
	v_add_nc_u32_e32 v15, -1, v15
	v_cndmask_b32_e64 v5, v5, v16, s12
	s_delay_alu instid0(VALU_DEP_2) | instskip(SKIP_1) | instid1(VALU_DEP_3)
	v_min_u32_e32 v15, v16, v15
	v_cndmask_b32_e64 v12, v16, v12, s12
	v_cmp_lt_u32_e64 s13, v5, v48
	s_delay_alu instid0(VALU_DEP_3) | instskip(NEXT) | instid1(VALU_DEP_3)
	v_add_nc_u32_e32 v15, v10, v15
	v_cmp_ge_u32_e64 s15, v12, v49
	ds_load_u8 v15, v15
	s_waitcnt lgkmcnt(0)
	v_cndmask_b32_e64 v64, v15, v54, s12
	v_cndmask_b32_e64 v65, v55, v15, s12
	s_delay_alu instid0(VALU_DEP_2) | instskip(NEXT) | instid1(VALU_DEP_2)
	v_bfe_i32 v15, v64, 0, 8
	v_bfe_i32 v17, v65, 0, 8
	s_delay_alu instid0(VALU_DEP_1) | instskip(NEXT) | instid1(VALU_DEP_1)
	v_cmp_le_i16_e64 s14, v15, v17
	s_and_b32 s13, s13, s14
	s_delay_alu instid0(SALU_CYCLE_1) | instskip(NEXT) | instid1(SALU_CYCLE_1)
	s_or_b32 s13, s15, s13
	v_cndmask_b32_e64 v21, v12, v5, s13
	v_cndmask_b32_e64 v15, v49, v48, s13
	;; [unrolled: 1-line block ×3, first 2 shown]
	s_delay_alu instid0(VALU_DEP_3) | instskip(NEXT) | instid1(VALU_DEP_3)
	v_add_nc_u32_e32 v16, 1, v21
	v_add_nc_u32_e32 v15, -1, v15
	v_lshl_add_u32 v38, v21, 3, v9
	s_delay_alu instid0(VALU_DEP_3) | instskip(NEXT) | instid1(VALU_DEP_3)
	v_cndmask_b32_e64 v22, v5, v16, s13
	v_min_u32_e32 v15, v16, v15
	v_cndmask_b32_e64 v12, v16, v12, s13
	v_lshl_add_u32 v16, v14, 3, v9
	s_delay_alu instid0(VALU_DEP_4) | instskip(NEXT) | instid1(VALU_DEP_4)
	v_cmp_lt_u32_e64 s14, v22, v48
	v_add_nc_u32_e32 v15, v10, v15
	s_delay_alu instid0(VALU_DEP_4) | instskip(SKIP_4) | instid1(VALU_DEP_2)
	v_cmp_ge_u32_e64 s16, v12, v49
	ds_load_u8 v15, v15
	s_waitcnt lgkmcnt(0)
	v_cndmask_b32_e64 v66, v15, v64, s13
	v_cndmask_b32_e64 v67, v65, v15, s13
	v_bfe_i32 v5, v66, 0, 8
	s_delay_alu instid0(VALU_DEP_2) | instskip(NEXT) | instid1(VALU_DEP_1)
	v_bfe_i32 v15, v67, 0, 8
	v_cmp_le_i16_e64 s15, v5, v15
	ds_load_b64 v[4:5], v4 offset:2048
	ds_load_b64 v[14:15], v13 offset:2048
	v_lshl_add_u32 v13, v18, 3, v9
	v_lshl_add_u32 v18, v19, 3, v9
	;; [unrolled: 1-line block ×3, first 2 shown]
	s_and_b32 s14, s14, s15
	ds_load_b64 v[16:17], v16 offset:2048
	s_or_b32 s14, s16, s14
	s_delay_alu instid0(SALU_CYCLE_1) | instskip(NEXT) | instid1(VALU_DEP_1)
	v_cndmask_b32_e64 v12, v12, v22, s14
	v_lshl_add_u32 v12, v12, 3, v9
	ds_load_b64 v[22:23], v13 offset:2048
	ds_load_b64 v[26:27], v18 offset:2048
	;; [unrolled: 1-line block ×5, first 2 shown]
	v_cndmask_b32_e64 v38, v28, v35, s8
	v_cndmask_b32_e64 v28, v50, v51, s10
	;; [unrolled: 1-line block ×3, first 2 shown]
.LBB307_106:
	s_or_b32 exec_lo, exec_lo, s18
	v_and_b32_e32 v48, 0x80, v34
	; wave barrier
	ds_store_b8 v31, v24
	s_waitcnt lgkmcnt(8)
	ds_store_b64 v29, v[4:5] offset:2048
	ds_store_b8 v31, v38 offset:1
	s_waitcnt lgkmcnt(9)
	ds_store_b64 v30, v[14:15] offset:8
	s_mov_b32 s8, exec_lo
	v_or_b32_e32 v34, 64, v48
	ds_store_b8 v31, v39 offset:2
	s_waitcnt lgkmcnt(10)
	ds_store_b64 v30, v[16:17] offset:16
	ds_store_b8 v31, v28 offset:3
	s_waitcnt lgkmcnt(11)
	ds_store_b64 v30, v[22:23] offset:24
	;; [unrolled: 3-line block ×6, first 2 shown]
	v_min_u32_e32 v34, v11, v34
	; wave barrier
	s_delay_alu instid0(VALU_DEP_1) | instskip(SKIP_1) | instid1(VALU_DEP_2)
	v_add_nc_u32_e32 v49, 64, v34
	v_sub_nc_u32_e32 v50, v34, v48
	v_min_u32_e32 v29, v11, v49
	v_min_u32_e32 v11, v11, v32
	s_delay_alu instid0(VALU_DEP_2) | instskip(NEXT) | instid1(VALU_DEP_2)
	v_sub_nc_u32_e32 v49, v29, v34
	v_min_u32_e32 v50, v11, v50
	s_delay_alu instid0(VALU_DEP_2) | instskip(NEXT) | instid1(VALU_DEP_1)
	v_sub_nc_u32_e64 v49, v11, v49 clamp
	v_cmpx_lt_u32_e64 v49, v50
	s_cbranch_execz .LBB307_110
; %bb.107:
	v_add_nc_u32_e32 v30, v10, v48
	v_add3_u32 v31, v10, v34, v11
	s_mov_b32 s9, 0
	.p2align	6
.LBB307_108:                            ; =>This Inner Loop Header: Depth=1
	v_add_nc_u32_e32 v51, v50, v49
	s_delay_alu instid0(VALU_DEP_1) | instskip(NEXT) | instid1(VALU_DEP_1)
	v_lshrrev_b32_e32 v51, 1, v51
	v_add_nc_u32_e32 v52, v30, v51
	v_xad_u32 v53, v51, -1, v31
	v_add_nc_u32_e32 v54, 1, v51
	ds_load_i8 v52, v52
	ds_load_i8 v53, v53
	s_waitcnt lgkmcnt(0)
	v_cmp_gt_i16_e64 s7, v53, v52
	s_delay_alu instid0(VALU_DEP_1) | instskip(SKIP_1) | instid1(VALU_DEP_1)
	v_cndmask_b32_e64 v50, v50, v51, s7
	v_cndmask_b32_e64 v49, v54, v49, s7
	v_cmp_ge_u32_e64 s7, v49, v50
	s_delay_alu instid0(VALU_DEP_1) | instskip(NEXT) | instid1(SALU_CYCLE_1)
	s_or_b32 s9, s7, s9
	s_and_not1_b32 exec_lo, exec_lo, s9
	s_cbranch_execnz .LBB307_108
; %bb.109:
	s_or_b32 exec_lo, exec_lo, s9
.LBB307_110:
	s_delay_alu instid0(SALU_CYCLE_1) | instskip(SKIP_2) | instid1(VALU_DEP_2)
	s_or_b32 exec_lo, exec_lo, s8
	v_add_nc_u32_e32 v11, v34, v11
	v_add_nc_u32_e32 v31, v49, v48
	v_sub_nc_u32_e32 v30, v11, v49
	s_delay_alu instid0(VALU_DEP_2) | instskip(NEXT) | instid1(VALU_DEP_2)
	v_cmp_le_u32_e64 s7, v31, v34
	v_cmp_le_u32_e64 s8, v30, v29
	s_delay_alu instid0(VALU_DEP_1) | instskip(NEXT) | instid1(SALU_CYCLE_1)
	s_or_b32 s7, s7, s8
	s_and_saveexec_b32 s18, s7
	s_cbranch_execz .LBB307_116
; %bb.111:
	v_cmp_lt_u32_e64 s7, v31, v34
                                        ; implicit-def: $vgpr11
	s_delay_alu instid0(VALU_DEP_1)
	s_and_saveexec_b32 s8, s7
	s_cbranch_execz .LBB307_113
; %bb.112:
	v_add_nc_u32_e32 v4, v10, v31
	ds_load_u8 v11, v4
.LBB307_113:
	s_or_b32 exec_lo, exec_lo, s8
	v_cmp_ge_u32_e64 s8, v30, v29
	s_mov_b32 s10, exec_lo
                                        ; implicit-def: $vgpr24
	v_cmpx_lt_u32_e64 v30, v29
	s_cbranch_execz .LBB307_115
; %bb.114:
	v_add_nc_u32_e32 v4, v10, v30
	ds_load_u8 v24, v4
.LBB307_115:
	s_or_b32 exec_lo, exec_lo, s10
	s_waitcnt lgkmcnt(0)
	v_bfe_i32 v4, v11, 0, 8
	v_bfe_i32 v5, v24, 0, 8
	s_delay_alu instid0(VALU_DEP_1) | instskip(NEXT) | instid1(VALU_DEP_1)
	v_cmp_le_i16_e64 s9, v5, v4
	s_and_b32 s7, s7, s9
	s_delay_alu instid0(SALU_CYCLE_1) | instskip(NEXT) | instid1(SALU_CYCLE_1)
	s_or_b32 s7, s8, s7
	v_cndmask_b32_e64 v4, v30, v31, s7
	v_cndmask_b32_e64 v5, v29, v34, s7
	s_delay_alu instid0(VALU_DEP_2) | instskip(NEXT) | instid1(VALU_DEP_2)
	v_add_nc_u32_e32 v12, 1, v4
	v_add_nc_u32_e32 v5, -1, v5
	v_lshl_add_u32 v4, v4, 3, v9
	s_delay_alu instid0(VALU_DEP_2) | instskip(NEXT) | instid1(VALU_DEP_1)
	v_min_u32_e32 v5, v12, v5
	v_add_nc_u32_e32 v5, v10, v5
	ds_load_u8 v5, v5
	s_waitcnt lgkmcnt(0)
	v_cndmask_b32_e64 v25, v5, v24, s7
	v_cndmask_b32_e64 v28, v11, v5, s7
	;; [unrolled: 1-line block ×5, first 2 shown]
	v_bfe_i32 v13, v25, 0, 8
	v_bfe_i32 v14, v28, 0, 8
	v_cmp_lt_u32_e64 s8, v5, v34
	v_cmp_ge_u32_e64 s10, v12, v29
	s_delay_alu instid0(VALU_DEP_3) | instskip(NEXT) | instid1(VALU_DEP_1)
	v_cmp_le_i16_e64 s9, v13, v14
	s_and_b32 s8, s8, s9
	s_delay_alu instid0(VALU_DEP_2) | instid1(SALU_CYCLE_1)
	s_or_b32 s8, s10, s8
	s_delay_alu instid0(SALU_CYCLE_1) | instskip(SKIP_2) | instid1(VALU_DEP_3)
	v_cndmask_b32_e64 v13, v12, v5, s8
	v_cndmask_b32_e64 v14, v29, v34, s8
	;; [unrolled: 1-line block ×3, first 2 shown]
	v_add_nc_u32_e32 v15, 1, v13
	s_delay_alu instid0(VALU_DEP_3) | instskip(SKIP_1) | instid1(VALU_DEP_3)
	v_add_nc_u32_e32 v14, -1, v14
	v_lshl_add_u32 v13, v13, 3, v9
	v_cndmask_b32_e64 v5, v5, v15, s8
	s_delay_alu instid0(VALU_DEP_3) | instskip(SKIP_1) | instid1(VALU_DEP_3)
	v_min_u32_e32 v14, v15, v14
	v_cndmask_b32_e64 v12, v15, v12, s8
	v_cmp_lt_u32_e64 s9, v5, v34
	s_delay_alu instid0(VALU_DEP_3) | instskip(NEXT) | instid1(VALU_DEP_3)
	v_add_nc_u32_e32 v14, v10, v14
	v_cmp_ge_u32_e64 s11, v12, v29
	ds_load_u8 v14, v14
	s_waitcnt lgkmcnt(0)
	v_cndmask_b32_e64 v30, v14, v25, s8
	v_cndmask_b32_e64 v31, v28, v14, s8
	s_delay_alu instid0(VALU_DEP_2) | instskip(NEXT) | instid1(VALU_DEP_2)
	v_bfe_i32 v14, v30, 0, 8
	v_bfe_i32 v16, v31, 0, 8
	s_delay_alu instid0(VALU_DEP_1) | instskip(NEXT) | instid1(VALU_DEP_1)
	v_cmp_le_i16_e64 s10, v14, v16
	s_and_b32 s9, s9, s10
	s_delay_alu instid0(SALU_CYCLE_1) | instskip(NEXT) | instid1(SALU_CYCLE_1)
	s_or_b32 s9, s11, s9
	v_cndmask_b32_e64 v14, v12, v5, s9
	v_cndmask_b32_e64 v15, v29, v34, s9
	v_cndmask_b32_e64 v39, v30, v31, s9
	s_delay_alu instid0(VALU_DEP_3) | instskip(NEXT) | instid1(VALU_DEP_3)
	v_add_nc_u32_e32 v16, 1, v14
	v_add_nc_u32_e32 v15, -1, v15
	s_delay_alu instid0(VALU_DEP_2) | instskip(NEXT) | instid1(VALU_DEP_2)
	v_cndmask_b32_e64 v5, v5, v16, s9
	v_min_u32_e32 v15, v16, v15
	v_cndmask_b32_e64 v12, v16, v12, s9
	s_delay_alu instid0(VALU_DEP_3) | instskip(NEXT) | instid1(VALU_DEP_3)
	v_cmp_lt_u32_e64 s10, v5, v34
	v_add_nc_u32_e32 v15, v10, v15
	s_delay_alu instid0(VALU_DEP_3) | instskip(SKIP_4) | instid1(VALU_DEP_2)
	v_cmp_ge_u32_e64 s12, v12, v29
	ds_load_u8 v15, v15
	s_waitcnt lgkmcnt(0)
	v_cndmask_b32_e64 v35, v15, v30, s9
	v_cndmask_b32_e64 v36, v31, v15, s9
	v_bfe_i32 v15, v35, 0, 8
	s_delay_alu instid0(VALU_DEP_2) | instskip(NEXT) | instid1(VALU_DEP_1)
	v_bfe_i32 v17, v36, 0, 8
	v_cmp_le_i16_e64 s11, v15, v17
	s_delay_alu instid0(VALU_DEP_1) | instskip(NEXT) | instid1(SALU_CYCLE_1)
	s_and_b32 s10, s10, s11
	s_or_b32 s10, s12, s10
	s_delay_alu instid0(SALU_CYCLE_1) | instskip(SKIP_2) | instid1(VALU_DEP_3)
	v_cndmask_b32_e64 v18, v12, v5, s10
	v_cndmask_b32_e64 v15, v29, v34, s10
	;; [unrolled: 1-line block ×3, first 2 shown]
	v_add_nc_u32_e32 v16, 1, v18
	s_delay_alu instid0(VALU_DEP_3) | instskip(NEXT) | instid1(VALU_DEP_2)
	v_add_nc_u32_e32 v15, -1, v15
	v_cndmask_b32_e64 v5, v5, v16, s10
	s_delay_alu instid0(VALU_DEP_2) | instskip(SKIP_1) | instid1(VALU_DEP_3)
	v_min_u32_e32 v15, v16, v15
	v_cndmask_b32_e64 v12, v16, v12, s10
	v_cmp_lt_u32_e64 s11, v5, v34
	s_delay_alu instid0(VALU_DEP_3) | instskip(NEXT) | instid1(VALU_DEP_3)
	v_add_nc_u32_e32 v15, v10, v15
	v_cmp_ge_u32_e64 s13, v12, v29
	ds_load_u8 v15, v15
	s_waitcnt lgkmcnt(0)
	v_cndmask_b32_e64 v37, v15, v35, s10
	v_cndmask_b32_e64 v48, v36, v15, s10
	s_delay_alu instid0(VALU_DEP_2) | instskip(NEXT) | instid1(VALU_DEP_2)
	v_bfe_i32 v15, v37, 0, 8
	v_bfe_i32 v17, v48, 0, 8
	s_delay_alu instid0(VALU_DEP_1) | instskip(NEXT) | instid1(VALU_DEP_1)
	v_cmp_le_i16_e64 s12, v15, v17
	s_and_b32 s11, s11, s12
	s_delay_alu instid0(SALU_CYCLE_1) | instskip(NEXT) | instid1(SALU_CYCLE_1)
	s_or_b32 s11, s13, s11
	v_cndmask_b32_e64 v19, v12, v5, s11
	v_cndmask_b32_e64 v15, v29, v34, s11
	;; [unrolled: 1-line block ×3, first 2 shown]
	s_delay_alu instid0(VALU_DEP_3) | instskip(NEXT) | instid1(VALU_DEP_3)
	v_add_nc_u32_e32 v16, 1, v19
	v_add_nc_u32_e32 v15, -1, v15
	s_delay_alu instid0(VALU_DEP_2) | instskip(NEXT) | instid1(VALU_DEP_2)
	v_cndmask_b32_e64 v5, v5, v16, s11
	v_min_u32_e32 v15, v16, v15
	v_cndmask_b32_e64 v12, v16, v12, s11
	s_delay_alu instid0(VALU_DEP_3) | instskip(NEXT) | instid1(VALU_DEP_3)
	v_cmp_lt_u32_e64 s12, v5, v34
	v_add_nc_u32_e32 v15, v10, v15
	s_delay_alu instid0(VALU_DEP_3) | instskip(SKIP_4) | instid1(VALU_DEP_2)
	v_cmp_ge_u32_e64 s14, v12, v29
	ds_load_u8 v15, v15
	s_waitcnt lgkmcnt(0)
	v_cndmask_b32_e64 v49, v15, v37, s11
	v_cndmask_b32_e64 v50, v48, v15, s11
	v_bfe_i32 v15, v49, 0, 8
	s_delay_alu instid0(VALU_DEP_2) | instskip(NEXT) | instid1(VALU_DEP_1)
	v_bfe_i32 v17, v50, 0, 8
	v_cmp_le_i16_e64 s13, v15, v17
	s_delay_alu instid0(VALU_DEP_1) | instskip(NEXT) | instid1(SALU_CYCLE_1)
	s_and_b32 s12, s12, s13
	s_or_b32 s12, s14, s12
	s_delay_alu instid0(SALU_CYCLE_1) | instskip(SKIP_2) | instid1(VALU_DEP_3)
	v_cndmask_b32_e64 v20, v12, v5, s12
	v_cndmask_b32_e64 v15, v29, v34, s12
	;; [unrolled: 1-line block ×3, first 2 shown]
	v_add_nc_u32_e32 v16, 1, v20
	s_delay_alu instid0(VALU_DEP_3) | instskip(NEXT) | instid1(VALU_DEP_2)
	v_add_nc_u32_e32 v15, -1, v15
	v_cndmask_b32_e64 v5, v5, v16, s12
	s_delay_alu instid0(VALU_DEP_2) | instskip(SKIP_1) | instid1(VALU_DEP_3)
	v_min_u32_e32 v15, v16, v15
	v_cndmask_b32_e64 v12, v16, v12, s12
	v_cmp_lt_u32_e64 s13, v5, v34
	s_delay_alu instid0(VALU_DEP_3) | instskip(NEXT) | instid1(VALU_DEP_3)
	v_add_nc_u32_e32 v15, v10, v15
	v_cmp_ge_u32_e64 s15, v12, v29
	ds_load_u8 v15, v15
	s_waitcnt lgkmcnt(0)
	v_cndmask_b32_e64 v51, v15, v49, s12
	v_cndmask_b32_e64 v52, v50, v15, s12
	s_delay_alu instid0(VALU_DEP_2) | instskip(NEXT) | instid1(VALU_DEP_2)
	v_bfe_i32 v15, v51, 0, 8
	v_bfe_i32 v17, v52, 0, 8
	s_delay_alu instid0(VALU_DEP_1) | instskip(NEXT) | instid1(VALU_DEP_1)
	v_cmp_le_i16_e64 s14, v15, v17
	s_and_b32 s13, s13, s14
	s_delay_alu instid0(SALU_CYCLE_1) | instskip(NEXT) | instid1(SALU_CYCLE_1)
	s_or_b32 s13, s15, s13
	v_cndmask_b32_e64 v21, v12, v5, s13
	v_cndmask_b32_e64 v15, v29, v34, s13
	;; [unrolled: 1-line block ×3, first 2 shown]
	s_delay_alu instid0(VALU_DEP_3) | instskip(NEXT) | instid1(VALU_DEP_3)
	v_add_nc_u32_e32 v16, 1, v21
	v_add_nc_u32_e32 v15, -1, v15
	s_delay_alu instid0(VALU_DEP_2) | instskip(NEXT) | instid1(VALU_DEP_2)
	v_cndmask_b32_e64 v22, v5, v16, s13
	v_min_u32_e32 v15, v16, v15
	v_cndmask_b32_e64 v12, v16, v12, s13
	v_lshl_add_u32 v16, v14, 3, v9
	s_delay_alu instid0(VALU_DEP_4) | instskip(NEXT) | instid1(VALU_DEP_4)
	v_cmp_lt_u32_e64 s14, v22, v34
	v_add_nc_u32_e32 v10, v10, v15
	s_delay_alu instid0(VALU_DEP_4)
	v_cmp_ge_u32_e64 s16, v12, v29
	v_lshl_add_u32 v29, v21, 3, v9
	ds_load_u8 v10, v10
	s_waitcnt lgkmcnt(0)
	v_cndmask_b32_e64 v53, v10, v51, s13
	v_cndmask_b32_e64 v10, v52, v10, s13
	s_delay_alu instid0(VALU_DEP_2) | instskip(NEXT) | instid1(VALU_DEP_2)
	v_bfe_i32 v5, v53, 0, 8
	v_bfe_i32 v15, v10, 0, 8
	s_delay_alu instid0(VALU_DEP_1)
	v_cmp_le_i16_e64 s15, v5, v15
	ds_load_b64 v[4:5], v4 offset:2048
	ds_load_b64 v[14:15], v13 offset:2048
	v_lshl_add_u32 v13, v18, 3, v9
	v_lshl_add_u32 v18, v19, 3, v9
	;; [unrolled: 1-line block ×3, first 2 shown]
	s_and_b32 s14, s14, s15
	ds_load_b64 v[16:17], v16 offset:2048
	s_or_b32 s14, s16, s14
	s_delay_alu instid0(SALU_CYCLE_1) | instskip(SKIP_1) | instid1(VALU_DEP_2)
	v_cndmask_b32_e64 v12, v12, v22, s14
	v_cndmask_b32_e64 v35, v53, v10, s14
	v_lshl_add_u32 v9, v12, 3, v9
	ds_load_b64 v[22:23], v13 offset:2048
	ds_load_b64 v[26:27], v18 offset:2048
	;; [unrolled: 1-line block ×5, first 2 shown]
.LBB307_116:
	s_or_b32 exec_lo, exec_lo, s18
	; wave barrier
	s_waitcnt lgkmcnt(0)
	s_waitcnt_vscnt null, 0x0
	s_barrier
.LBB307_117:
	s_or_b32 exec_lo, exec_lo, s17
	v_add_co_u32 v2, s7, v2, v8
	s_delay_alu instid0(VALU_DEP_1) | instskip(SKIP_4) | instid1(VALU_DEP_1)
	v_add_co_ci_u32_e64 v3, s7, 0, v3, s7
	s_waitcnt vmcnt(0) lgkmcnt(0)
	s_waitcnt_vscnt null, 0x0
	buffer_gl0_inv
	v_add_co_u32 v2, s7, v2, v32
	v_add_co_ci_u32_e64 v3, s7, 0, v3, s7
	; wave barrier
	s_and_saveexec_b32 s7, vcc_lo
	s_cbranch_execnz .LBB307_142
; %bb.118:
	s_or_b32 exec_lo, exec_lo, s7
	s_and_saveexec_b32 s7, s0
	s_cbranch_execnz .LBB307_143
.LBB307_119:
	s_or_b32 exec_lo, exec_lo, s7
	s_and_saveexec_b32 s7, s1
	s_cbranch_execnz .LBB307_144
.LBB307_120:
	s_or_b32 exec_lo, exec_lo, s7
	s_and_saveexec_b32 s7, s2
	s_cbranch_execnz .LBB307_145
.LBB307_121:
	s_or_b32 exec_lo, exec_lo, s7
	s_and_saveexec_b32 s7, s3
	s_cbranch_execnz .LBB307_146
.LBB307_122:
	s_or_b32 exec_lo, exec_lo, s7
	s_and_saveexec_b32 s7, s4
	s_cbranch_execnz .LBB307_147
.LBB307_123:
	s_or_b32 exec_lo, exec_lo, s7
	s_and_saveexec_b32 s7, s5
	s_cbranch_execnz .LBB307_148
.LBB307_124:
	s_or_b32 exec_lo, exec_lo, s7
	s_and_saveexec_b32 s7, s6
	s_cbranch_execz .LBB307_126
.LBB307_125:
	flat_store_b8 v[2:3], v35 offset:7
.LBB307_126:
	s_or_b32 exec_lo, exec_lo, s7
	v_add_co_u32 v0, s7, v6, v0
	s_delay_alu instid0(VALU_DEP_1) | instskip(NEXT) | instid1(VALU_DEP_2)
	v_add_co_ci_u32_e64 v1, s7, v7, v1, s7
	v_add_co_u32 v0, s7, v0, v33
	s_delay_alu instid0(VALU_DEP_1)
	v_add_co_ci_u32_e64 v1, s7, 0, v1, s7
	; wave barrier
	s_and_saveexec_b32 s7, vcc_lo
	s_cbranch_execnz .LBB307_149
; %bb.127:
	s_or_b32 exec_lo, exec_lo, s7
	s_and_saveexec_b32 s7, s0
	s_cbranch_execnz .LBB307_150
.LBB307_128:
	s_or_b32 exec_lo, exec_lo, s7
	s_and_saveexec_b32 s0, s1
	s_cbranch_execnz .LBB307_151
.LBB307_129:
	s_or_b32 exec_lo, exec_lo, s0
	s_and_saveexec_b32 s0, s2
	s_cbranch_execnz .LBB307_152
.LBB307_130:
	s_or_b32 exec_lo, exec_lo, s0
	s_and_saveexec_b32 s0, s3
	s_cbranch_execnz .LBB307_153
.LBB307_131:
	s_or_b32 exec_lo, exec_lo, s0
	s_and_saveexec_b32 s0, s4
	s_cbranch_execnz .LBB307_154
.LBB307_132:
	s_or_b32 exec_lo, exec_lo, s0
	s_and_saveexec_b32 s0, s5
	s_cbranch_execnz .LBB307_155
.LBB307_133:
	s_or_b32 exec_lo, exec_lo, s0
	s_and_saveexec_b32 s0, s6
	s_cbranch_execnz .LBB307_156
.LBB307_134:
	s_or_b32 exec_lo, exec_lo, s0
	s_waitcnt lgkmcnt(0)
	s_setpc_b64 s[30:31]
.LBB307_135:
	flat_load_b64 v[4:5], v[29:30]
	s_or_b32 exec_lo, exec_lo, s7
                                        ; implicit-def: $vgpr14_vgpr15
	s_and_saveexec_b32 s7, s0
	s_cbranch_execz .LBB307_18
.LBB307_136:
	flat_load_b64 v[14:15], v[29:30] offset:8
	s_or_b32 exec_lo, exec_lo, s7
                                        ; implicit-def: $vgpr16_vgpr17
	s_and_saveexec_b32 s7, s1
	s_cbranch_execz .LBB307_19
.LBB307_137:
	flat_load_b64 v[16:17], v[29:30] offset:16
	s_or_b32 exec_lo, exec_lo, s7
                                        ; implicit-def: $vgpr22_vgpr23
	s_and_saveexec_b32 s7, s2
	s_cbranch_execz .LBB307_20
.LBB307_138:
	flat_load_b64 v[22:23], v[29:30] offset:24
	s_or_b32 exec_lo, exec_lo, s7
                                        ; implicit-def: $vgpr26_vgpr27
	s_and_saveexec_b32 s7, s3
	s_cbranch_execz .LBB307_21
.LBB307_139:
	flat_load_b64 v[26:27], v[29:30] offset:32
	s_or_b32 exec_lo, exec_lo, s7
                                        ; implicit-def: $vgpr20_vgpr21
	s_and_saveexec_b32 s7, s4
	s_cbranch_execz .LBB307_22
.LBB307_140:
	flat_load_b64 v[20:21], v[29:30] offset:40
	s_or_b32 exec_lo, exec_lo, s7
                                        ; implicit-def: $vgpr18_vgpr19
	s_and_saveexec_b32 s7, s5
	s_cbranch_execz .LBB307_23
.LBB307_141:
	flat_load_b64 v[18:19], v[29:30] offset:48
	s_or_b32 exec_lo, exec_lo, s7
                                        ; implicit-def: $vgpr12_vgpr13
	s_and_saveexec_b32 s7, s6
	s_cbranch_execnz .LBB307_24
	s_branch .LBB307_25
.LBB307_142:
	flat_store_b8 v[2:3], v24
	s_or_b32 exec_lo, exec_lo, s7
	s_and_saveexec_b32 s7, s0
	s_cbranch_execz .LBB307_119
.LBB307_143:
	flat_store_b8 v[2:3], v38 offset:1
	s_or_b32 exec_lo, exec_lo, s7
	s_and_saveexec_b32 s7, s1
	s_cbranch_execz .LBB307_120
.LBB307_144:
	flat_store_b8 v[2:3], v39 offset:2
	s_or_b32 exec_lo, exec_lo, s7
	s_and_saveexec_b32 s7, s2
	s_cbranch_execz .LBB307_121
.LBB307_145:
	flat_store_b8 v[2:3], v28 offset:3
	s_or_b32 exec_lo, exec_lo, s7
	s_and_saveexec_b32 s7, s3
	s_cbranch_execz .LBB307_122
.LBB307_146:
	flat_store_b8 v[2:3], v25 offset:4
	s_or_b32 exec_lo, exec_lo, s7
	s_and_saveexec_b32 s7, s4
	s_cbranch_execz .LBB307_123
.LBB307_147:
	flat_store_b8 v[2:3], v37 offset:5
	s_or_b32 exec_lo, exec_lo, s7
	s_and_saveexec_b32 s7, s5
	s_cbranch_execz .LBB307_124
.LBB307_148:
	flat_store_b8 v[2:3], v36 offset:6
	s_or_b32 exec_lo, exec_lo, s7
	s_and_saveexec_b32 s7, s6
	s_cbranch_execnz .LBB307_125
	s_branch .LBB307_126
.LBB307_149:
	flat_store_b64 v[0:1], v[4:5]
	s_or_b32 exec_lo, exec_lo, s7
	s_and_saveexec_b32 s7, s0
	s_cbranch_execz .LBB307_128
.LBB307_150:
	flat_store_b64 v[0:1], v[14:15] offset:8
	s_or_b32 exec_lo, exec_lo, s7
	s_and_saveexec_b32 s0, s1
	s_cbranch_execz .LBB307_129
.LBB307_151:
	flat_store_b64 v[0:1], v[16:17] offset:16
	s_or_b32 exec_lo, exec_lo, s0
	s_and_saveexec_b32 s0, s2
	s_cbranch_execz .LBB307_130
.LBB307_152:
	flat_store_b64 v[0:1], v[22:23] offset:24
	s_or_b32 exec_lo, exec_lo, s0
	s_and_saveexec_b32 s0, s3
	s_cbranch_execz .LBB307_131
.LBB307_153:
	flat_store_b64 v[0:1], v[26:27] offset:32
	s_or_b32 exec_lo, exec_lo, s0
	s_and_saveexec_b32 s0, s4
	s_cbranch_execz .LBB307_132
.LBB307_154:
	flat_store_b64 v[0:1], v[20:21] offset:40
	s_or_b32 exec_lo, exec_lo, s0
	s_and_saveexec_b32 s0, s5
	s_cbranch_execz .LBB307_133
.LBB307_155:
	flat_store_b64 v[0:1], v[18:19] offset:48
	s_or_b32 exec_lo, exec_lo, s0
	s_and_saveexec_b32 s0, s6
	s_cbranch_execz .LBB307_134
.LBB307_156:
	flat_store_b64 v[0:1], v[12:13] offset:56
	s_or_b32 exec_lo, exec_lo, s0
	s_waitcnt lgkmcnt(0)
	s_setpc_b64 s[30:31]
.Lfunc_end307:
	.size	_ZN7rocprim17ROCPRIM_400000_NS6detail26segmented_warp_sort_helperINS1_20WarpSortHelperConfigILj16ELj8ELj256EEEalLi256ELb1EvE4sortIPKaPaPKlPlEEvT_T0_T1_T2_jjjjRNS5_12storage_typeE, .Lfunc_end307-_ZN7rocprim17ROCPRIM_400000_NS6detail26segmented_warp_sort_helperINS1_20WarpSortHelperConfigILj16ELj8ELj256EEEalLi256ELb1EvE4sortIPKaPaPKlPlEEvT_T0_T1_T2_jjjjRNS5_12storage_typeE
                                        ; -- End function
	.section	.AMDGPU.csdata,"",@progbits
; Function info:
; codeLenInByte = 22508
; NumSgprs: 34
; NumVgprs: 69
; ScratchSize: 0
; MemoryBound: 0
	.section	.text._ZN7rocprim17ROCPRIM_400000_NS6detail17trampoline_kernelINS0_14default_configENS1_36segmented_radix_sort_config_selectorIalEEZNS1_25segmented_radix_sort_implIS3_Lb1EPKaPaPKlPlN2at6native12_GLOBAL__N_18offset_tEEE10hipError_tPvRmT1_PNSt15iterator_traitsISK_E10value_typeET2_T3_PNSL_ISQ_E10value_typeET4_jRbjT5_SW_jjP12ihipStream_tbEUlT_E0_NS1_11comp_targetILNS1_3genE9ELNS1_11target_archE1100ELNS1_3gpuE3ELNS1_3repE0EEENS1_60segmented_radix_sort_warp_sort_medium_config_static_selectorELNS0_4arch9wavefront6targetE0EEEvSK_,"axG",@progbits,_ZN7rocprim17ROCPRIM_400000_NS6detail17trampoline_kernelINS0_14default_configENS1_36segmented_radix_sort_config_selectorIalEEZNS1_25segmented_radix_sort_implIS3_Lb1EPKaPaPKlPlN2at6native12_GLOBAL__N_18offset_tEEE10hipError_tPvRmT1_PNSt15iterator_traitsISK_E10value_typeET2_T3_PNSL_ISQ_E10value_typeET4_jRbjT5_SW_jjP12ihipStream_tbEUlT_E0_NS1_11comp_targetILNS1_3genE9ELNS1_11target_archE1100ELNS1_3gpuE3ELNS1_3repE0EEENS1_60segmented_radix_sort_warp_sort_medium_config_static_selectorELNS0_4arch9wavefront6targetE0EEEvSK_,comdat
	.globl	_ZN7rocprim17ROCPRIM_400000_NS6detail17trampoline_kernelINS0_14default_configENS1_36segmented_radix_sort_config_selectorIalEEZNS1_25segmented_radix_sort_implIS3_Lb1EPKaPaPKlPlN2at6native12_GLOBAL__N_18offset_tEEE10hipError_tPvRmT1_PNSt15iterator_traitsISK_E10value_typeET2_T3_PNSL_ISQ_E10value_typeET4_jRbjT5_SW_jjP12ihipStream_tbEUlT_E0_NS1_11comp_targetILNS1_3genE9ELNS1_11target_archE1100ELNS1_3gpuE3ELNS1_3repE0EEENS1_60segmented_radix_sort_warp_sort_medium_config_static_selectorELNS0_4arch9wavefront6targetE0EEEvSK_ ; -- Begin function _ZN7rocprim17ROCPRIM_400000_NS6detail17trampoline_kernelINS0_14default_configENS1_36segmented_radix_sort_config_selectorIalEEZNS1_25segmented_radix_sort_implIS3_Lb1EPKaPaPKlPlN2at6native12_GLOBAL__N_18offset_tEEE10hipError_tPvRmT1_PNSt15iterator_traitsISK_E10value_typeET2_T3_PNSL_ISQ_E10value_typeET4_jRbjT5_SW_jjP12ihipStream_tbEUlT_E0_NS1_11comp_targetILNS1_3genE9ELNS1_11target_archE1100ELNS1_3gpuE3ELNS1_3repE0EEENS1_60segmented_radix_sort_warp_sort_medium_config_static_selectorELNS0_4arch9wavefront6targetE0EEEvSK_
	.p2align	8
	.type	_ZN7rocprim17ROCPRIM_400000_NS6detail17trampoline_kernelINS0_14default_configENS1_36segmented_radix_sort_config_selectorIalEEZNS1_25segmented_radix_sort_implIS3_Lb1EPKaPaPKlPlN2at6native12_GLOBAL__N_18offset_tEEE10hipError_tPvRmT1_PNSt15iterator_traitsISK_E10value_typeET2_T3_PNSL_ISQ_E10value_typeET4_jRbjT5_SW_jjP12ihipStream_tbEUlT_E0_NS1_11comp_targetILNS1_3genE9ELNS1_11target_archE1100ELNS1_3gpuE3ELNS1_3repE0EEENS1_60segmented_radix_sort_warp_sort_medium_config_static_selectorELNS0_4arch9wavefront6targetE0EEEvSK_,@function
_ZN7rocprim17ROCPRIM_400000_NS6detail17trampoline_kernelINS0_14default_configENS1_36segmented_radix_sort_config_selectorIalEEZNS1_25segmented_radix_sort_implIS3_Lb1EPKaPaPKlPlN2at6native12_GLOBAL__N_18offset_tEEE10hipError_tPvRmT1_PNSt15iterator_traitsISK_E10value_typeET2_T3_PNSL_ISQ_E10value_typeET4_jRbjT5_SW_jjP12ihipStream_tbEUlT_E0_NS1_11comp_targetILNS1_3genE9ELNS1_11target_archE1100ELNS1_3gpuE3ELNS1_3repE0EEENS1_60segmented_radix_sort_warp_sort_medium_config_static_selectorELNS0_4arch9wavefront6targetE0EEEvSK_: ; @_ZN7rocprim17ROCPRIM_400000_NS6detail17trampoline_kernelINS0_14default_configENS1_36segmented_radix_sort_config_selectorIalEEZNS1_25segmented_radix_sort_implIS3_Lb1EPKaPaPKlPlN2at6native12_GLOBAL__N_18offset_tEEE10hipError_tPvRmT1_PNSt15iterator_traitsISK_E10value_typeET2_T3_PNSL_ISQ_E10value_typeET4_jRbjT5_SW_jjP12ihipStream_tbEUlT_E0_NS1_11comp_targetILNS1_3genE9ELNS1_11target_archE1100ELNS1_3gpuE3ELNS1_3repE0EEENS1_60segmented_radix_sort_warp_sort_medium_config_static_selectorELNS0_4arch9wavefront6targetE0EEEvSK_
; %bb.0:
	s_load_b32 s2, s[0:1], 0x64
	v_bfe_u32 v1, v0, 10, 10
	v_bfe_u32 v2, v0, 20, 10
	s_mov_b32 s32, 0
	s_waitcnt lgkmcnt(0)
	s_lshr_b32 s3, s2, 16
	s_and_b32 s2, s2, 0xffff
	v_mad_u32_u24 v4, v2, s3, v1
	v_and_b32_e32 v1, 0x3ff, v0
	s_load_b32 s3, s[0:1], 0x34
	s_delay_alu instid0(VALU_DEP_1) | instskip(SKIP_1) | instid1(VALU_DEP_1)
	v_mad_u64_u32 v[2:3], null, v4, s2, v[1:2]
	s_mov_b32 s2, exec_lo
	v_lshrrev_b32_e32 v1, 4, v2
	s_delay_alu instid0(VALU_DEP_1) | instskip(SKIP_1) | instid1(VALU_DEP_1)
	v_lshl_add_u32 v1, s14, 4, v1
	s_waitcnt lgkmcnt(0)
	v_cmpx_gt_u32_e64 s3, v1
	s_cbranch_execz .LBB308_6
; %bb.1:
	s_clause 0x1
	s_load_b64 s[2:3], s[0:1], 0x38
	s_load_b128 s[4:7], s[0:1], 0x40
	v_mov_b32_e32 v2, 0
	s_delay_alu instid0(VALU_DEP_1) | instskip(SKIP_1) | instid1(VALU_DEP_1)
	v_lshlrev_b64 v[1:2], 2, v[1:2]
	s_waitcnt lgkmcnt(0)
	v_add_co_u32 v1, vcc_lo, s2, v1
	s_delay_alu instid0(VALU_DEP_2) | instskip(SKIP_4) | instid1(VALU_DEP_2)
	v_add_co_ci_u32_e32 v2, vcc_lo, s3, v2, vcc_lo
	global_load_b32 v1, v[1:2], off
	s_waitcnt vmcnt(0)
	v_add_nc_u32_e32 v2, s5, v1
	v_add_nc_u32_e32 v1, s7, v1
	v_mul_lo_u32 v8, v2, s4
	s_delay_alu instid0(VALU_DEP_2) | instskip(NEXT) | instid1(VALU_DEP_1)
	v_mul_lo_u32 v40, v1, s6
	v_cmp_gt_u32_e32 vcc_lo, v40, v8
	s_and_b32 exec_lo, exec_lo, vcc_lo
	s_cbranch_execz .LBB308_6
; %bb.2:
	s_clause 0x3
	s_load_b32 s2, s[0:1], 0x30
	s_load_b128 s[24:27], s[0:1], 0x20
	s_load_b256 s[36:43], s[0:1], 0x0
	s_load_b64 s[28:29], s[0:1], 0x50
	s_waitcnt lgkmcnt(0)
	s_bitcmp0_b32 s2, 0
	s_mov_b32 s2, -1
	s_cbranch_scc0 .LBB308_4
; %bb.3:
	v_mov_b32_e32 v31, v0
	v_dual_mov_b32 v41, v0 :: v_dual_mov_b32 v2, s38
	v_dual_mov_b32 v0, s36 :: v_dual_mov_b32 v1, s37
	;; [unrolled: 1-line block ×5, first 2 shown]
	v_mov_b32_e32 v9, v40
	v_mov_b32_e32 v11, s29
	s_add_u32 s8, s0, 0x58
	s_addc_u32 s9, s1, 0
	s_mov_b32 s12, s14
	s_mov_b32 s13, s15
	s_getpc_b64 s[2:3]
	s_add_u32 s2, s2, _ZN7rocprim17ROCPRIM_400000_NS6detail26segmented_warp_sort_helperINS1_20WarpSortHelperConfigILj16ELj8ELj256EEEalLi256ELb1EvE4sortIPKaPaPKlPlEEvT_T0_T1_T2_jjjjRNS5_12storage_typeE@rel32@lo+4
	s_addc_u32 s3, s3, _ZN7rocprim17ROCPRIM_400000_NS6detail26segmented_warp_sort_helperINS1_20WarpSortHelperConfigILj16ELj8ELj256EEEalLi256ELb1EvE4sortIPKaPaPKlPlEEvT_T0_T1_T2_jjjjRNS5_12storage_typeE@rel32@hi+12
	s_mov_b64 s[24:25], s[0:1]
	s_mov_b32 s23, s15
	s_mov_b32 s33, s14
	s_swappc_b64 s[30:31], s[2:3]
	v_mov_b32_e32 v0, v41
	s_mov_b32 s14, s33
	s_mov_b32 s15, s23
	s_mov_b64 s[0:1], s[24:25]
	s_mov_b32 s2, 0
.LBB308_4:
	s_delay_alu instid0(SALU_CYCLE_1)
	s_and_not1_b32 vcc_lo, exec_lo, s2
	s_cbranch_vccnz .LBB308_6
; %bb.5:
	v_dual_mov_b32 v31, v0 :: v_dual_mov_b32 v0, s36
	v_dual_mov_b32 v1, s37 :: v_dual_mov_b32 v2, s40
	v_dual_mov_b32 v3, s41 :: v_dual_mov_b32 v4, s42
	v_dual_mov_b32 v5, s43 :: v_dual_mov_b32 v6, s26
	v_dual_mov_b32 v7, s27 :: v_dual_mov_b32 v10, s28
	v_mov_b32_e32 v9, v40
	v_mov_b32_e32 v11, s29
	s_add_u32 s8, s0, 0x58
	s_addc_u32 s9, s1, 0
	s_mov_b32 s12, s14
	s_mov_b32 s13, s15
	s_getpc_b64 s[0:1]
	s_add_u32 s0, s0, _ZN7rocprim17ROCPRIM_400000_NS6detail26segmented_warp_sort_helperINS1_20WarpSortHelperConfigILj16ELj8ELj256EEEalLi256ELb1EvE4sortIPKaPaPKlPlEEvT_T0_T1_T2_jjjjRNS5_12storage_typeE@rel32@lo+4
	s_addc_u32 s1, s1, _ZN7rocprim17ROCPRIM_400000_NS6detail26segmented_warp_sort_helperINS1_20WarpSortHelperConfigILj16ELj8ELj256EEEalLi256ELb1EvE4sortIPKaPaPKlPlEEvT_T0_T1_T2_jjjjRNS5_12storage_typeE@rel32@hi+12
	s_delay_alu instid0(SALU_CYCLE_1)
	s_swappc_b64 s[30:31], s[0:1]
.LBB308_6:
	s_endpgm
	.section	.rodata,"a",@progbits
	.p2align	6, 0x0
	.amdhsa_kernel _ZN7rocprim17ROCPRIM_400000_NS6detail17trampoline_kernelINS0_14default_configENS1_36segmented_radix_sort_config_selectorIalEEZNS1_25segmented_radix_sort_implIS3_Lb1EPKaPaPKlPlN2at6native12_GLOBAL__N_18offset_tEEE10hipError_tPvRmT1_PNSt15iterator_traitsISK_E10value_typeET2_T3_PNSL_ISQ_E10value_typeET4_jRbjT5_SW_jjP12ihipStream_tbEUlT_E0_NS1_11comp_targetILNS1_3genE9ELNS1_11target_archE1100ELNS1_3gpuE3ELNS1_3repE0EEENS1_60segmented_radix_sort_warp_sort_medium_config_static_selectorELNS0_4arch9wavefront6targetE0EEEvSK_
		.amdhsa_group_segment_fixed_size 18432
		.amdhsa_private_segment_fixed_size 0
		.amdhsa_kernarg_size 344
		.amdhsa_user_sgpr_count 14
		.amdhsa_user_sgpr_dispatch_ptr 0
		.amdhsa_user_sgpr_queue_ptr 0
		.amdhsa_user_sgpr_kernarg_segment_ptr 1
		.amdhsa_user_sgpr_dispatch_id 0
		.amdhsa_user_sgpr_private_segment_size 0
		.amdhsa_wavefront_size32 1
		.amdhsa_uses_dynamic_stack 0
		.amdhsa_enable_private_segment 0
		.amdhsa_system_sgpr_workgroup_id_x 1
		.amdhsa_system_sgpr_workgroup_id_y 1
		.amdhsa_system_sgpr_workgroup_id_z 0
		.amdhsa_system_sgpr_workgroup_info 0
		.amdhsa_system_vgpr_workitem_id 2
		.amdhsa_next_free_vgpr 69
		.amdhsa_next_free_sgpr 44
		.amdhsa_reserve_vcc 1
		.amdhsa_float_round_mode_32 0
		.amdhsa_float_round_mode_16_64 0
		.amdhsa_float_denorm_mode_32 3
		.amdhsa_float_denorm_mode_16_64 3
		.amdhsa_dx10_clamp 1
		.amdhsa_ieee_mode 1
		.amdhsa_fp16_overflow 0
		.amdhsa_workgroup_processor_mode 1
		.amdhsa_memory_ordered 1
		.amdhsa_forward_progress 0
		.amdhsa_shared_vgpr_count 0
		.amdhsa_exception_fp_ieee_invalid_op 0
		.amdhsa_exception_fp_denorm_src 0
		.amdhsa_exception_fp_ieee_div_zero 0
		.amdhsa_exception_fp_ieee_overflow 0
		.amdhsa_exception_fp_ieee_underflow 0
		.amdhsa_exception_fp_ieee_inexact 0
		.amdhsa_exception_int_div_zero 0
	.end_amdhsa_kernel
	.section	.text._ZN7rocprim17ROCPRIM_400000_NS6detail17trampoline_kernelINS0_14default_configENS1_36segmented_radix_sort_config_selectorIalEEZNS1_25segmented_radix_sort_implIS3_Lb1EPKaPaPKlPlN2at6native12_GLOBAL__N_18offset_tEEE10hipError_tPvRmT1_PNSt15iterator_traitsISK_E10value_typeET2_T3_PNSL_ISQ_E10value_typeET4_jRbjT5_SW_jjP12ihipStream_tbEUlT_E0_NS1_11comp_targetILNS1_3genE9ELNS1_11target_archE1100ELNS1_3gpuE3ELNS1_3repE0EEENS1_60segmented_radix_sort_warp_sort_medium_config_static_selectorELNS0_4arch9wavefront6targetE0EEEvSK_,"axG",@progbits,_ZN7rocprim17ROCPRIM_400000_NS6detail17trampoline_kernelINS0_14default_configENS1_36segmented_radix_sort_config_selectorIalEEZNS1_25segmented_radix_sort_implIS3_Lb1EPKaPaPKlPlN2at6native12_GLOBAL__N_18offset_tEEE10hipError_tPvRmT1_PNSt15iterator_traitsISK_E10value_typeET2_T3_PNSL_ISQ_E10value_typeET4_jRbjT5_SW_jjP12ihipStream_tbEUlT_E0_NS1_11comp_targetILNS1_3genE9ELNS1_11target_archE1100ELNS1_3gpuE3ELNS1_3repE0EEENS1_60segmented_radix_sort_warp_sort_medium_config_static_selectorELNS0_4arch9wavefront6targetE0EEEvSK_,comdat
.Lfunc_end308:
	.size	_ZN7rocprim17ROCPRIM_400000_NS6detail17trampoline_kernelINS0_14default_configENS1_36segmented_radix_sort_config_selectorIalEEZNS1_25segmented_radix_sort_implIS3_Lb1EPKaPaPKlPlN2at6native12_GLOBAL__N_18offset_tEEE10hipError_tPvRmT1_PNSt15iterator_traitsISK_E10value_typeET2_T3_PNSL_ISQ_E10value_typeET4_jRbjT5_SW_jjP12ihipStream_tbEUlT_E0_NS1_11comp_targetILNS1_3genE9ELNS1_11target_archE1100ELNS1_3gpuE3ELNS1_3repE0EEENS1_60segmented_radix_sort_warp_sort_medium_config_static_selectorELNS0_4arch9wavefront6targetE0EEEvSK_, .Lfunc_end308-_ZN7rocprim17ROCPRIM_400000_NS6detail17trampoline_kernelINS0_14default_configENS1_36segmented_radix_sort_config_selectorIalEEZNS1_25segmented_radix_sort_implIS3_Lb1EPKaPaPKlPlN2at6native12_GLOBAL__N_18offset_tEEE10hipError_tPvRmT1_PNSt15iterator_traitsISK_E10value_typeET2_T3_PNSL_ISQ_E10value_typeET4_jRbjT5_SW_jjP12ihipStream_tbEUlT_E0_NS1_11comp_targetILNS1_3genE9ELNS1_11target_archE1100ELNS1_3gpuE3ELNS1_3repE0EEENS1_60segmented_radix_sort_warp_sort_medium_config_static_selectorELNS0_4arch9wavefront6targetE0EEEvSK_
                                        ; -- End function
	.section	.AMDGPU.csdata,"",@progbits
; Kernel info:
; codeLenInByte = 516
; NumSgprs: 46
; NumVgprs: 69
; ScratchSize: 0
; MemoryBound: 0
; FloatMode: 240
; IeeeMode: 1
; LDSByteSize: 18432 bytes/workgroup (compile time only)
; SGPRBlocks: 5
; VGPRBlocks: 8
; NumSGPRsForWavesPerEU: 46
; NumVGPRsForWavesPerEU: 69
; Occupancy: 14
; WaveLimiterHint : 0
; COMPUTE_PGM_RSRC2:SCRATCH_EN: 0
; COMPUTE_PGM_RSRC2:USER_SGPR: 14
; COMPUTE_PGM_RSRC2:TRAP_HANDLER: 0
; COMPUTE_PGM_RSRC2:TGID_X_EN: 1
; COMPUTE_PGM_RSRC2:TGID_Y_EN: 1
; COMPUTE_PGM_RSRC2:TGID_Z_EN: 0
; COMPUTE_PGM_RSRC2:TIDIG_COMP_CNT: 2
	.section	.text._ZN7rocprim17ROCPRIM_400000_NS6detail17trampoline_kernelINS0_14default_configENS1_36segmented_radix_sort_config_selectorIalEEZNS1_25segmented_radix_sort_implIS3_Lb1EPKaPaPKlPlN2at6native12_GLOBAL__N_18offset_tEEE10hipError_tPvRmT1_PNSt15iterator_traitsISK_E10value_typeET2_T3_PNSL_ISQ_E10value_typeET4_jRbjT5_SW_jjP12ihipStream_tbEUlT_E0_NS1_11comp_targetILNS1_3genE8ELNS1_11target_archE1030ELNS1_3gpuE2ELNS1_3repE0EEENS1_60segmented_radix_sort_warp_sort_medium_config_static_selectorELNS0_4arch9wavefront6targetE0EEEvSK_,"axG",@progbits,_ZN7rocprim17ROCPRIM_400000_NS6detail17trampoline_kernelINS0_14default_configENS1_36segmented_radix_sort_config_selectorIalEEZNS1_25segmented_radix_sort_implIS3_Lb1EPKaPaPKlPlN2at6native12_GLOBAL__N_18offset_tEEE10hipError_tPvRmT1_PNSt15iterator_traitsISK_E10value_typeET2_T3_PNSL_ISQ_E10value_typeET4_jRbjT5_SW_jjP12ihipStream_tbEUlT_E0_NS1_11comp_targetILNS1_3genE8ELNS1_11target_archE1030ELNS1_3gpuE2ELNS1_3repE0EEENS1_60segmented_radix_sort_warp_sort_medium_config_static_selectorELNS0_4arch9wavefront6targetE0EEEvSK_,comdat
	.globl	_ZN7rocprim17ROCPRIM_400000_NS6detail17trampoline_kernelINS0_14default_configENS1_36segmented_radix_sort_config_selectorIalEEZNS1_25segmented_radix_sort_implIS3_Lb1EPKaPaPKlPlN2at6native12_GLOBAL__N_18offset_tEEE10hipError_tPvRmT1_PNSt15iterator_traitsISK_E10value_typeET2_T3_PNSL_ISQ_E10value_typeET4_jRbjT5_SW_jjP12ihipStream_tbEUlT_E0_NS1_11comp_targetILNS1_3genE8ELNS1_11target_archE1030ELNS1_3gpuE2ELNS1_3repE0EEENS1_60segmented_radix_sort_warp_sort_medium_config_static_selectorELNS0_4arch9wavefront6targetE0EEEvSK_ ; -- Begin function _ZN7rocprim17ROCPRIM_400000_NS6detail17trampoline_kernelINS0_14default_configENS1_36segmented_radix_sort_config_selectorIalEEZNS1_25segmented_radix_sort_implIS3_Lb1EPKaPaPKlPlN2at6native12_GLOBAL__N_18offset_tEEE10hipError_tPvRmT1_PNSt15iterator_traitsISK_E10value_typeET2_T3_PNSL_ISQ_E10value_typeET4_jRbjT5_SW_jjP12ihipStream_tbEUlT_E0_NS1_11comp_targetILNS1_3genE8ELNS1_11target_archE1030ELNS1_3gpuE2ELNS1_3repE0EEENS1_60segmented_radix_sort_warp_sort_medium_config_static_selectorELNS0_4arch9wavefront6targetE0EEEvSK_
	.p2align	8
	.type	_ZN7rocprim17ROCPRIM_400000_NS6detail17trampoline_kernelINS0_14default_configENS1_36segmented_radix_sort_config_selectorIalEEZNS1_25segmented_radix_sort_implIS3_Lb1EPKaPaPKlPlN2at6native12_GLOBAL__N_18offset_tEEE10hipError_tPvRmT1_PNSt15iterator_traitsISK_E10value_typeET2_T3_PNSL_ISQ_E10value_typeET4_jRbjT5_SW_jjP12ihipStream_tbEUlT_E0_NS1_11comp_targetILNS1_3genE8ELNS1_11target_archE1030ELNS1_3gpuE2ELNS1_3repE0EEENS1_60segmented_radix_sort_warp_sort_medium_config_static_selectorELNS0_4arch9wavefront6targetE0EEEvSK_,@function
_ZN7rocprim17ROCPRIM_400000_NS6detail17trampoline_kernelINS0_14default_configENS1_36segmented_radix_sort_config_selectorIalEEZNS1_25segmented_radix_sort_implIS3_Lb1EPKaPaPKlPlN2at6native12_GLOBAL__N_18offset_tEEE10hipError_tPvRmT1_PNSt15iterator_traitsISK_E10value_typeET2_T3_PNSL_ISQ_E10value_typeET4_jRbjT5_SW_jjP12ihipStream_tbEUlT_E0_NS1_11comp_targetILNS1_3genE8ELNS1_11target_archE1030ELNS1_3gpuE2ELNS1_3repE0EEENS1_60segmented_radix_sort_warp_sort_medium_config_static_selectorELNS0_4arch9wavefront6targetE0EEEvSK_: ; @_ZN7rocprim17ROCPRIM_400000_NS6detail17trampoline_kernelINS0_14default_configENS1_36segmented_radix_sort_config_selectorIalEEZNS1_25segmented_radix_sort_implIS3_Lb1EPKaPaPKlPlN2at6native12_GLOBAL__N_18offset_tEEE10hipError_tPvRmT1_PNSt15iterator_traitsISK_E10value_typeET2_T3_PNSL_ISQ_E10value_typeET4_jRbjT5_SW_jjP12ihipStream_tbEUlT_E0_NS1_11comp_targetILNS1_3genE8ELNS1_11target_archE1030ELNS1_3gpuE2ELNS1_3repE0EEENS1_60segmented_radix_sort_warp_sort_medium_config_static_selectorELNS0_4arch9wavefront6targetE0EEEvSK_
; %bb.0:
	.section	.rodata,"a",@progbits
	.p2align	6, 0x0
	.amdhsa_kernel _ZN7rocprim17ROCPRIM_400000_NS6detail17trampoline_kernelINS0_14default_configENS1_36segmented_radix_sort_config_selectorIalEEZNS1_25segmented_radix_sort_implIS3_Lb1EPKaPaPKlPlN2at6native12_GLOBAL__N_18offset_tEEE10hipError_tPvRmT1_PNSt15iterator_traitsISK_E10value_typeET2_T3_PNSL_ISQ_E10value_typeET4_jRbjT5_SW_jjP12ihipStream_tbEUlT_E0_NS1_11comp_targetILNS1_3genE8ELNS1_11target_archE1030ELNS1_3gpuE2ELNS1_3repE0EEENS1_60segmented_radix_sort_warp_sort_medium_config_static_selectorELNS0_4arch9wavefront6targetE0EEEvSK_
		.amdhsa_group_segment_fixed_size 0
		.amdhsa_private_segment_fixed_size 0
		.amdhsa_kernarg_size 88
		.amdhsa_user_sgpr_count 15
		.amdhsa_user_sgpr_dispatch_ptr 0
		.amdhsa_user_sgpr_queue_ptr 0
		.amdhsa_user_sgpr_kernarg_segment_ptr 1
		.amdhsa_user_sgpr_dispatch_id 0
		.amdhsa_user_sgpr_private_segment_size 0
		.amdhsa_wavefront_size32 1
		.amdhsa_uses_dynamic_stack 0
		.amdhsa_enable_private_segment 0
		.amdhsa_system_sgpr_workgroup_id_x 1
		.amdhsa_system_sgpr_workgroup_id_y 0
		.amdhsa_system_sgpr_workgroup_id_z 0
		.amdhsa_system_sgpr_workgroup_info 0
		.amdhsa_system_vgpr_workitem_id 0
		.amdhsa_next_free_vgpr 1
		.amdhsa_next_free_sgpr 1
		.amdhsa_reserve_vcc 0
		.amdhsa_float_round_mode_32 0
		.amdhsa_float_round_mode_16_64 0
		.amdhsa_float_denorm_mode_32 3
		.amdhsa_float_denorm_mode_16_64 3
		.amdhsa_dx10_clamp 1
		.amdhsa_ieee_mode 1
		.amdhsa_fp16_overflow 0
		.amdhsa_workgroup_processor_mode 1
		.amdhsa_memory_ordered 1
		.amdhsa_forward_progress 0
		.amdhsa_shared_vgpr_count 0
		.amdhsa_exception_fp_ieee_invalid_op 0
		.amdhsa_exception_fp_denorm_src 0
		.amdhsa_exception_fp_ieee_div_zero 0
		.amdhsa_exception_fp_ieee_overflow 0
		.amdhsa_exception_fp_ieee_underflow 0
		.amdhsa_exception_fp_ieee_inexact 0
		.amdhsa_exception_int_div_zero 0
	.end_amdhsa_kernel
	.section	.text._ZN7rocprim17ROCPRIM_400000_NS6detail17trampoline_kernelINS0_14default_configENS1_36segmented_radix_sort_config_selectorIalEEZNS1_25segmented_radix_sort_implIS3_Lb1EPKaPaPKlPlN2at6native12_GLOBAL__N_18offset_tEEE10hipError_tPvRmT1_PNSt15iterator_traitsISK_E10value_typeET2_T3_PNSL_ISQ_E10value_typeET4_jRbjT5_SW_jjP12ihipStream_tbEUlT_E0_NS1_11comp_targetILNS1_3genE8ELNS1_11target_archE1030ELNS1_3gpuE2ELNS1_3repE0EEENS1_60segmented_radix_sort_warp_sort_medium_config_static_selectorELNS0_4arch9wavefront6targetE0EEEvSK_,"axG",@progbits,_ZN7rocprim17ROCPRIM_400000_NS6detail17trampoline_kernelINS0_14default_configENS1_36segmented_radix_sort_config_selectorIalEEZNS1_25segmented_radix_sort_implIS3_Lb1EPKaPaPKlPlN2at6native12_GLOBAL__N_18offset_tEEE10hipError_tPvRmT1_PNSt15iterator_traitsISK_E10value_typeET2_T3_PNSL_ISQ_E10value_typeET4_jRbjT5_SW_jjP12ihipStream_tbEUlT_E0_NS1_11comp_targetILNS1_3genE8ELNS1_11target_archE1030ELNS1_3gpuE2ELNS1_3repE0EEENS1_60segmented_radix_sort_warp_sort_medium_config_static_selectorELNS0_4arch9wavefront6targetE0EEEvSK_,comdat
.Lfunc_end309:
	.size	_ZN7rocprim17ROCPRIM_400000_NS6detail17trampoline_kernelINS0_14default_configENS1_36segmented_radix_sort_config_selectorIalEEZNS1_25segmented_radix_sort_implIS3_Lb1EPKaPaPKlPlN2at6native12_GLOBAL__N_18offset_tEEE10hipError_tPvRmT1_PNSt15iterator_traitsISK_E10value_typeET2_T3_PNSL_ISQ_E10value_typeET4_jRbjT5_SW_jjP12ihipStream_tbEUlT_E0_NS1_11comp_targetILNS1_3genE8ELNS1_11target_archE1030ELNS1_3gpuE2ELNS1_3repE0EEENS1_60segmented_radix_sort_warp_sort_medium_config_static_selectorELNS0_4arch9wavefront6targetE0EEEvSK_, .Lfunc_end309-_ZN7rocprim17ROCPRIM_400000_NS6detail17trampoline_kernelINS0_14default_configENS1_36segmented_radix_sort_config_selectorIalEEZNS1_25segmented_radix_sort_implIS3_Lb1EPKaPaPKlPlN2at6native12_GLOBAL__N_18offset_tEEE10hipError_tPvRmT1_PNSt15iterator_traitsISK_E10value_typeET2_T3_PNSL_ISQ_E10value_typeET4_jRbjT5_SW_jjP12ihipStream_tbEUlT_E0_NS1_11comp_targetILNS1_3genE8ELNS1_11target_archE1030ELNS1_3gpuE2ELNS1_3repE0EEENS1_60segmented_radix_sort_warp_sort_medium_config_static_selectorELNS0_4arch9wavefront6targetE0EEEvSK_
                                        ; -- End function
	.section	.AMDGPU.csdata,"",@progbits
; Kernel info:
; codeLenInByte = 0
; NumSgprs: 0
; NumVgprs: 0
; ScratchSize: 0
; MemoryBound: 0
; FloatMode: 240
; IeeeMode: 1
; LDSByteSize: 0 bytes/workgroup (compile time only)
; SGPRBlocks: 0
; VGPRBlocks: 0
; NumSGPRsForWavesPerEU: 1
; NumVGPRsForWavesPerEU: 1
; Occupancy: 16
; WaveLimiterHint : 0
; COMPUTE_PGM_RSRC2:SCRATCH_EN: 0
; COMPUTE_PGM_RSRC2:USER_SGPR: 15
; COMPUTE_PGM_RSRC2:TRAP_HANDLER: 0
; COMPUTE_PGM_RSRC2:TGID_X_EN: 1
; COMPUTE_PGM_RSRC2:TGID_Y_EN: 0
; COMPUTE_PGM_RSRC2:TGID_Z_EN: 0
; COMPUTE_PGM_RSRC2:TIDIG_COMP_CNT: 0
	.section	.text._ZN7rocprim17ROCPRIM_400000_NS6detail17trampoline_kernelINS0_14default_configENS1_36segmented_radix_sort_config_selectorIalEEZNS1_25segmented_radix_sort_implIS3_Lb1EPKaPaPKlPlN2at6native12_GLOBAL__N_18offset_tEEE10hipError_tPvRmT1_PNSt15iterator_traitsISK_E10value_typeET2_T3_PNSL_ISQ_E10value_typeET4_jRbjT5_SW_jjP12ihipStream_tbEUlT_E1_NS1_11comp_targetILNS1_3genE0ELNS1_11target_archE4294967295ELNS1_3gpuE0ELNS1_3repE0EEENS1_59segmented_radix_sort_warp_sort_small_config_static_selectorELNS0_4arch9wavefront6targetE0EEEvSK_,"axG",@progbits,_ZN7rocprim17ROCPRIM_400000_NS6detail17trampoline_kernelINS0_14default_configENS1_36segmented_radix_sort_config_selectorIalEEZNS1_25segmented_radix_sort_implIS3_Lb1EPKaPaPKlPlN2at6native12_GLOBAL__N_18offset_tEEE10hipError_tPvRmT1_PNSt15iterator_traitsISK_E10value_typeET2_T3_PNSL_ISQ_E10value_typeET4_jRbjT5_SW_jjP12ihipStream_tbEUlT_E1_NS1_11comp_targetILNS1_3genE0ELNS1_11target_archE4294967295ELNS1_3gpuE0ELNS1_3repE0EEENS1_59segmented_radix_sort_warp_sort_small_config_static_selectorELNS0_4arch9wavefront6targetE0EEEvSK_,comdat
	.globl	_ZN7rocprim17ROCPRIM_400000_NS6detail17trampoline_kernelINS0_14default_configENS1_36segmented_radix_sort_config_selectorIalEEZNS1_25segmented_radix_sort_implIS3_Lb1EPKaPaPKlPlN2at6native12_GLOBAL__N_18offset_tEEE10hipError_tPvRmT1_PNSt15iterator_traitsISK_E10value_typeET2_T3_PNSL_ISQ_E10value_typeET4_jRbjT5_SW_jjP12ihipStream_tbEUlT_E1_NS1_11comp_targetILNS1_3genE0ELNS1_11target_archE4294967295ELNS1_3gpuE0ELNS1_3repE0EEENS1_59segmented_radix_sort_warp_sort_small_config_static_selectorELNS0_4arch9wavefront6targetE0EEEvSK_ ; -- Begin function _ZN7rocprim17ROCPRIM_400000_NS6detail17trampoline_kernelINS0_14default_configENS1_36segmented_radix_sort_config_selectorIalEEZNS1_25segmented_radix_sort_implIS3_Lb1EPKaPaPKlPlN2at6native12_GLOBAL__N_18offset_tEEE10hipError_tPvRmT1_PNSt15iterator_traitsISK_E10value_typeET2_T3_PNSL_ISQ_E10value_typeET4_jRbjT5_SW_jjP12ihipStream_tbEUlT_E1_NS1_11comp_targetILNS1_3genE0ELNS1_11target_archE4294967295ELNS1_3gpuE0ELNS1_3repE0EEENS1_59segmented_radix_sort_warp_sort_small_config_static_selectorELNS0_4arch9wavefront6targetE0EEEvSK_
	.p2align	8
	.type	_ZN7rocprim17ROCPRIM_400000_NS6detail17trampoline_kernelINS0_14default_configENS1_36segmented_radix_sort_config_selectorIalEEZNS1_25segmented_radix_sort_implIS3_Lb1EPKaPaPKlPlN2at6native12_GLOBAL__N_18offset_tEEE10hipError_tPvRmT1_PNSt15iterator_traitsISK_E10value_typeET2_T3_PNSL_ISQ_E10value_typeET4_jRbjT5_SW_jjP12ihipStream_tbEUlT_E1_NS1_11comp_targetILNS1_3genE0ELNS1_11target_archE4294967295ELNS1_3gpuE0ELNS1_3repE0EEENS1_59segmented_radix_sort_warp_sort_small_config_static_selectorELNS0_4arch9wavefront6targetE0EEEvSK_,@function
_ZN7rocprim17ROCPRIM_400000_NS6detail17trampoline_kernelINS0_14default_configENS1_36segmented_radix_sort_config_selectorIalEEZNS1_25segmented_radix_sort_implIS3_Lb1EPKaPaPKlPlN2at6native12_GLOBAL__N_18offset_tEEE10hipError_tPvRmT1_PNSt15iterator_traitsISK_E10value_typeET2_T3_PNSL_ISQ_E10value_typeET4_jRbjT5_SW_jjP12ihipStream_tbEUlT_E1_NS1_11comp_targetILNS1_3genE0ELNS1_11target_archE4294967295ELNS1_3gpuE0ELNS1_3repE0EEENS1_59segmented_radix_sort_warp_sort_small_config_static_selectorELNS0_4arch9wavefront6targetE0EEEvSK_: ; @_ZN7rocprim17ROCPRIM_400000_NS6detail17trampoline_kernelINS0_14default_configENS1_36segmented_radix_sort_config_selectorIalEEZNS1_25segmented_radix_sort_implIS3_Lb1EPKaPaPKlPlN2at6native12_GLOBAL__N_18offset_tEEE10hipError_tPvRmT1_PNSt15iterator_traitsISK_E10value_typeET2_T3_PNSL_ISQ_E10value_typeET4_jRbjT5_SW_jjP12ihipStream_tbEUlT_E1_NS1_11comp_targetILNS1_3genE0ELNS1_11target_archE4294967295ELNS1_3gpuE0ELNS1_3repE0EEENS1_59segmented_radix_sort_warp_sort_small_config_static_selectorELNS0_4arch9wavefront6targetE0EEEvSK_
; %bb.0:
	.section	.rodata,"a",@progbits
	.p2align	6, 0x0
	.amdhsa_kernel _ZN7rocprim17ROCPRIM_400000_NS6detail17trampoline_kernelINS0_14default_configENS1_36segmented_radix_sort_config_selectorIalEEZNS1_25segmented_radix_sort_implIS3_Lb1EPKaPaPKlPlN2at6native12_GLOBAL__N_18offset_tEEE10hipError_tPvRmT1_PNSt15iterator_traitsISK_E10value_typeET2_T3_PNSL_ISQ_E10value_typeET4_jRbjT5_SW_jjP12ihipStream_tbEUlT_E1_NS1_11comp_targetILNS1_3genE0ELNS1_11target_archE4294967295ELNS1_3gpuE0ELNS1_3repE0EEENS1_59segmented_radix_sort_warp_sort_small_config_static_selectorELNS0_4arch9wavefront6targetE0EEEvSK_
		.amdhsa_group_segment_fixed_size 0
		.amdhsa_private_segment_fixed_size 0
		.amdhsa_kernarg_size 88
		.amdhsa_user_sgpr_count 15
		.amdhsa_user_sgpr_dispatch_ptr 0
		.amdhsa_user_sgpr_queue_ptr 0
		.amdhsa_user_sgpr_kernarg_segment_ptr 1
		.amdhsa_user_sgpr_dispatch_id 0
		.amdhsa_user_sgpr_private_segment_size 0
		.amdhsa_wavefront_size32 1
		.amdhsa_uses_dynamic_stack 0
		.amdhsa_enable_private_segment 0
		.amdhsa_system_sgpr_workgroup_id_x 1
		.amdhsa_system_sgpr_workgroup_id_y 0
		.amdhsa_system_sgpr_workgroup_id_z 0
		.amdhsa_system_sgpr_workgroup_info 0
		.amdhsa_system_vgpr_workitem_id 0
		.amdhsa_next_free_vgpr 1
		.amdhsa_next_free_sgpr 1
		.amdhsa_reserve_vcc 0
		.amdhsa_float_round_mode_32 0
		.amdhsa_float_round_mode_16_64 0
		.amdhsa_float_denorm_mode_32 3
		.amdhsa_float_denorm_mode_16_64 3
		.amdhsa_dx10_clamp 1
		.amdhsa_ieee_mode 1
		.amdhsa_fp16_overflow 0
		.amdhsa_workgroup_processor_mode 1
		.amdhsa_memory_ordered 1
		.amdhsa_forward_progress 0
		.amdhsa_shared_vgpr_count 0
		.amdhsa_exception_fp_ieee_invalid_op 0
		.amdhsa_exception_fp_denorm_src 0
		.amdhsa_exception_fp_ieee_div_zero 0
		.amdhsa_exception_fp_ieee_overflow 0
		.amdhsa_exception_fp_ieee_underflow 0
		.amdhsa_exception_fp_ieee_inexact 0
		.amdhsa_exception_int_div_zero 0
	.end_amdhsa_kernel
	.section	.text._ZN7rocprim17ROCPRIM_400000_NS6detail17trampoline_kernelINS0_14default_configENS1_36segmented_radix_sort_config_selectorIalEEZNS1_25segmented_radix_sort_implIS3_Lb1EPKaPaPKlPlN2at6native12_GLOBAL__N_18offset_tEEE10hipError_tPvRmT1_PNSt15iterator_traitsISK_E10value_typeET2_T3_PNSL_ISQ_E10value_typeET4_jRbjT5_SW_jjP12ihipStream_tbEUlT_E1_NS1_11comp_targetILNS1_3genE0ELNS1_11target_archE4294967295ELNS1_3gpuE0ELNS1_3repE0EEENS1_59segmented_radix_sort_warp_sort_small_config_static_selectorELNS0_4arch9wavefront6targetE0EEEvSK_,"axG",@progbits,_ZN7rocprim17ROCPRIM_400000_NS6detail17trampoline_kernelINS0_14default_configENS1_36segmented_radix_sort_config_selectorIalEEZNS1_25segmented_radix_sort_implIS3_Lb1EPKaPaPKlPlN2at6native12_GLOBAL__N_18offset_tEEE10hipError_tPvRmT1_PNSt15iterator_traitsISK_E10value_typeET2_T3_PNSL_ISQ_E10value_typeET4_jRbjT5_SW_jjP12ihipStream_tbEUlT_E1_NS1_11comp_targetILNS1_3genE0ELNS1_11target_archE4294967295ELNS1_3gpuE0ELNS1_3repE0EEENS1_59segmented_radix_sort_warp_sort_small_config_static_selectorELNS0_4arch9wavefront6targetE0EEEvSK_,comdat
.Lfunc_end310:
	.size	_ZN7rocprim17ROCPRIM_400000_NS6detail17trampoline_kernelINS0_14default_configENS1_36segmented_radix_sort_config_selectorIalEEZNS1_25segmented_radix_sort_implIS3_Lb1EPKaPaPKlPlN2at6native12_GLOBAL__N_18offset_tEEE10hipError_tPvRmT1_PNSt15iterator_traitsISK_E10value_typeET2_T3_PNSL_ISQ_E10value_typeET4_jRbjT5_SW_jjP12ihipStream_tbEUlT_E1_NS1_11comp_targetILNS1_3genE0ELNS1_11target_archE4294967295ELNS1_3gpuE0ELNS1_3repE0EEENS1_59segmented_radix_sort_warp_sort_small_config_static_selectorELNS0_4arch9wavefront6targetE0EEEvSK_, .Lfunc_end310-_ZN7rocprim17ROCPRIM_400000_NS6detail17trampoline_kernelINS0_14default_configENS1_36segmented_radix_sort_config_selectorIalEEZNS1_25segmented_radix_sort_implIS3_Lb1EPKaPaPKlPlN2at6native12_GLOBAL__N_18offset_tEEE10hipError_tPvRmT1_PNSt15iterator_traitsISK_E10value_typeET2_T3_PNSL_ISQ_E10value_typeET4_jRbjT5_SW_jjP12ihipStream_tbEUlT_E1_NS1_11comp_targetILNS1_3genE0ELNS1_11target_archE4294967295ELNS1_3gpuE0ELNS1_3repE0EEENS1_59segmented_radix_sort_warp_sort_small_config_static_selectorELNS0_4arch9wavefront6targetE0EEEvSK_
                                        ; -- End function
	.section	.AMDGPU.csdata,"",@progbits
; Kernel info:
; codeLenInByte = 0
; NumSgprs: 0
; NumVgprs: 0
; ScratchSize: 0
; MemoryBound: 0
; FloatMode: 240
; IeeeMode: 1
; LDSByteSize: 0 bytes/workgroup (compile time only)
; SGPRBlocks: 0
; VGPRBlocks: 0
; NumSGPRsForWavesPerEU: 1
; NumVGPRsForWavesPerEU: 1
; Occupancy: 16
; WaveLimiterHint : 0
; COMPUTE_PGM_RSRC2:SCRATCH_EN: 0
; COMPUTE_PGM_RSRC2:USER_SGPR: 15
; COMPUTE_PGM_RSRC2:TRAP_HANDLER: 0
; COMPUTE_PGM_RSRC2:TGID_X_EN: 1
; COMPUTE_PGM_RSRC2:TGID_Y_EN: 0
; COMPUTE_PGM_RSRC2:TGID_Z_EN: 0
; COMPUTE_PGM_RSRC2:TIDIG_COMP_CNT: 0
	.section	.text._ZN7rocprim17ROCPRIM_400000_NS6detail17trampoline_kernelINS0_14default_configENS1_36segmented_radix_sort_config_selectorIalEEZNS1_25segmented_radix_sort_implIS3_Lb1EPKaPaPKlPlN2at6native12_GLOBAL__N_18offset_tEEE10hipError_tPvRmT1_PNSt15iterator_traitsISK_E10value_typeET2_T3_PNSL_ISQ_E10value_typeET4_jRbjT5_SW_jjP12ihipStream_tbEUlT_E1_NS1_11comp_targetILNS1_3genE5ELNS1_11target_archE942ELNS1_3gpuE9ELNS1_3repE0EEENS1_59segmented_radix_sort_warp_sort_small_config_static_selectorELNS0_4arch9wavefront6targetE0EEEvSK_,"axG",@progbits,_ZN7rocprim17ROCPRIM_400000_NS6detail17trampoline_kernelINS0_14default_configENS1_36segmented_radix_sort_config_selectorIalEEZNS1_25segmented_radix_sort_implIS3_Lb1EPKaPaPKlPlN2at6native12_GLOBAL__N_18offset_tEEE10hipError_tPvRmT1_PNSt15iterator_traitsISK_E10value_typeET2_T3_PNSL_ISQ_E10value_typeET4_jRbjT5_SW_jjP12ihipStream_tbEUlT_E1_NS1_11comp_targetILNS1_3genE5ELNS1_11target_archE942ELNS1_3gpuE9ELNS1_3repE0EEENS1_59segmented_radix_sort_warp_sort_small_config_static_selectorELNS0_4arch9wavefront6targetE0EEEvSK_,comdat
	.globl	_ZN7rocprim17ROCPRIM_400000_NS6detail17trampoline_kernelINS0_14default_configENS1_36segmented_radix_sort_config_selectorIalEEZNS1_25segmented_radix_sort_implIS3_Lb1EPKaPaPKlPlN2at6native12_GLOBAL__N_18offset_tEEE10hipError_tPvRmT1_PNSt15iterator_traitsISK_E10value_typeET2_T3_PNSL_ISQ_E10value_typeET4_jRbjT5_SW_jjP12ihipStream_tbEUlT_E1_NS1_11comp_targetILNS1_3genE5ELNS1_11target_archE942ELNS1_3gpuE9ELNS1_3repE0EEENS1_59segmented_radix_sort_warp_sort_small_config_static_selectorELNS0_4arch9wavefront6targetE0EEEvSK_ ; -- Begin function _ZN7rocprim17ROCPRIM_400000_NS6detail17trampoline_kernelINS0_14default_configENS1_36segmented_radix_sort_config_selectorIalEEZNS1_25segmented_radix_sort_implIS3_Lb1EPKaPaPKlPlN2at6native12_GLOBAL__N_18offset_tEEE10hipError_tPvRmT1_PNSt15iterator_traitsISK_E10value_typeET2_T3_PNSL_ISQ_E10value_typeET4_jRbjT5_SW_jjP12ihipStream_tbEUlT_E1_NS1_11comp_targetILNS1_3genE5ELNS1_11target_archE942ELNS1_3gpuE9ELNS1_3repE0EEENS1_59segmented_radix_sort_warp_sort_small_config_static_selectorELNS0_4arch9wavefront6targetE0EEEvSK_
	.p2align	8
	.type	_ZN7rocprim17ROCPRIM_400000_NS6detail17trampoline_kernelINS0_14default_configENS1_36segmented_radix_sort_config_selectorIalEEZNS1_25segmented_radix_sort_implIS3_Lb1EPKaPaPKlPlN2at6native12_GLOBAL__N_18offset_tEEE10hipError_tPvRmT1_PNSt15iterator_traitsISK_E10value_typeET2_T3_PNSL_ISQ_E10value_typeET4_jRbjT5_SW_jjP12ihipStream_tbEUlT_E1_NS1_11comp_targetILNS1_3genE5ELNS1_11target_archE942ELNS1_3gpuE9ELNS1_3repE0EEENS1_59segmented_radix_sort_warp_sort_small_config_static_selectorELNS0_4arch9wavefront6targetE0EEEvSK_,@function
_ZN7rocprim17ROCPRIM_400000_NS6detail17trampoline_kernelINS0_14default_configENS1_36segmented_radix_sort_config_selectorIalEEZNS1_25segmented_radix_sort_implIS3_Lb1EPKaPaPKlPlN2at6native12_GLOBAL__N_18offset_tEEE10hipError_tPvRmT1_PNSt15iterator_traitsISK_E10value_typeET2_T3_PNSL_ISQ_E10value_typeET4_jRbjT5_SW_jjP12ihipStream_tbEUlT_E1_NS1_11comp_targetILNS1_3genE5ELNS1_11target_archE942ELNS1_3gpuE9ELNS1_3repE0EEENS1_59segmented_radix_sort_warp_sort_small_config_static_selectorELNS0_4arch9wavefront6targetE0EEEvSK_: ; @_ZN7rocprim17ROCPRIM_400000_NS6detail17trampoline_kernelINS0_14default_configENS1_36segmented_radix_sort_config_selectorIalEEZNS1_25segmented_radix_sort_implIS3_Lb1EPKaPaPKlPlN2at6native12_GLOBAL__N_18offset_tEEE10hipError_tPvRmT1_PNSt15iterator_traitsISK_E10value_typeET2_T3_PNSL_ISQ_E10value_typeET4_jRbjT5_SW_jjP12ihipStream_tbEUlT_E1_NS1_11comp_targetILNS1_3genE5ELNS1_11target_archE942ELNS1_3gpuE9ELNS1_3repE0EEENS1_59segmented_radix_sort_warp_sort_small_config_static_selectorELNS0_4arch9wavefront6targetE0EEEvSK_
; %bb.0:
	.section	.rodata,"a",@progbits
	.p2align	6, 0x0
	.amdhsa_kernel _ZN7rocprim17ROCPRIM_400000_NS6detail17trampoline_kernelINS0_14default_configENS1_36segmented_radix_sort_config_selectorIalEEZNS1_25segmented_radix_sort_implIS3_Lb1EPKaPaPKlPlN2at6native12_GLOBAL__N_18offset_tEEE10hipError_tPvRmT1_PNSt15iterator_traitsISK_E10value_typeET2_T3_PNSL_ISQ_E10value_typeET4_jRbjT5_SW_jjP12ihipStream_tbEUlT_E1_NS1_11comp_targetILNS1_3genE5ELNS1_11target_archE942ELNS1_3gpuE9ELNS1_3repE0EEENS1_59segmented_radix_sort_warp_sort_small_config_static_selectorELNS0_4arch9wavefront6targetE0EEEvSK_
		.amdhsa_group_segment_fixed_size 0
		.amdhsa_private_segment_fixed_size 0
		.amdhsa_kernarg_size 88
		.amdhsa_user_sgpr_count 15
		.amdhsa_user_sgpr_dispatch_ptr 0
		.amdhsa_user_sgpr_queue_ptr 0
		.amdhsa_user_sgpr_kernarg_segment_ptr 1
		.amdhsa_user_sgpr_dispatch_id 0
		.amdhsa_user_sgpr_private_segment_size 0
		.amdhsa_wavefront_size32 1
		.amdhsa_uses_dynamic_stack 0
		.amdhsa_enable_private_segment 0
		.amdhsa_system_sgpr_workgroup_id_x 1
		.amdhsa_system_sgpr_workgroup_id_y 0
		.amdhsa_system_sgpr_workgroup_id_z 0
		.amdhsa_system_sgpr_workgroup_info 0
		.amdhsa_system_vgpr_workitem_id 0
		.amdhsa_next_free_vgpr 1
		.amdhsa_next_free_sgpr 1
		.amdhsa_reserve_vcc 0
		.amdhsa_float_round_mode_32 0
		.amdhsa_float_round_mode_16_64 0
		.amdhsa_float_denorm_mode_32 3
		.amdhsa_float_denorm_mode_16_64 3
		.amdhsa_dx10_clamp 1
		.amdhsa_ieee_mode 1
		.amdhsa_fp16_overflow 0
		.amdhsa_workgroup_processor_mode 1
		.amdhsa_memory_ordered 1
		.amdhsa_forward_progress 0
		.amdhsa_shared_vgpr_count 0
		.amdhsa_exception_fp_ieee_invalid_op 0
		.amdhsa_exception_fp_denorm_src 0
		.amdhsa_exception_fp_ieee_div_zero 0
		.amdhsa_exception_fp_ieee_overflow 0
		.amdhsa_exception_fp_ieee_underflow 0
		.amdhsa_exception_fp_ieee_inexact 0
		.amdhsa_exception_int_div_zero 0
	.end_amdhsa_kernel
	.section	.text._ZN7rocprim17ROCPRIM_400000_NS6detail17trampoline_kernelINS0_14default_configENS1_36segmented_radix_sort_config_selectorIalEEZNS1_25segmented_radix_sort_implIS3_Lb1EPKaPaPKlPlN2at6native12_GLOBAL__N_18offset_tEEE10hipError_tPvRmT1_PNSt15iterator_traitsISK_E10value_typeET2_T3_PNSL_ISQ_E10value_typeET4_jRbjT5_SW_jjP12ihipStream_tbEUlT_E1_NS1_11comp_targetILNS1_3genE5ELNS1_11target_archE942ELNS1_3gpuE9ELNS1_3repE0EEENS1_59segmented_radix_sort_warp_sort_small_config_static_selectorELNS0_4arch9wavefront6targetE0EEEvSK_,"axG",@progbits,_ZN7rocprim17ROCPRIM_400000_NS6detail17trampoline_kernelINS0_14default_configENS1_36segmented_radix_sort_config_selectorIalEEZNS1_25segmented_radix_sort_implIS3_Lb1EPKaPaPKlPlN2at6native12_GLOBAL__N_18offset_tEEE10hipError_tPvRmT1_PNSt15iterator_traitsISK_E10value_typeET2_T3_PNSL_ISQ_E10value_typeET4_jRbjT5_SW_jjP12ihipStream_tbEUlT_E1_NS1_11comp_targetILNS1_3genE5ELNS1_11target_archE942ELNS1_3gpuE9ELNS1_3repE0EEENS1_59segmented_radix_sort_warp_sort_small_config_static_selectorELNS0_4arch9wavefront6targetE0EEEvSK_,comdat
.Lfunc_end311:
	.size	_ZN7rocprim17ROCPRIM_400000_NS6detail17trampoline_kernelINS0_14default_configENS1_36segmented_radix_sort_config_selectorIalEEZNS1_25segmented_radix_sort_implIS3_Lb1EPKaPaPKlPlN2at6native12_GLOBAL__N_18offset_tEEE10hipError_tPvRmT1_PNSt15iterator_traitsISK_E10value_typeET2_T3_PNSL_ISQ_E10value_typeET4_jRbjT5_SW_jjP12ihipStream_tbEUlT_E1_NS1_11comp_targetILNS1_3genE5ELNS1_11target_archE942ELNS1_3gpuE9ELNS1_3repE0EEENS1_59segmented_radix_sort_warp_sort_small_config_static_selectorELNS0_4arch9wavefront6targetE0EEEvSK_, .Lfunc_end311-_ZN7rocprim17ROCPRIM_400000_NS6detail17trampoline_kernelINS0_14default_configENS1_36segmented_radix_sort_config_selectorIalEEZNS1_25segmented_radix_sort_implIS3_Lb1EPKaPaPKlPlN2at6native12_GLOBAL__N_18offset_tEEE10hipError_tPvRmT1_PNSt15iterator_traitsISK_E10value_typeET2_T3_PNSL_ISQ_E10value_typeET4_jRbjT5_SW_jjP12ihipStream_tbEUlT_E1_NS1_11comp_targetILNS1_3genE5ELNS1_11target_archE942ELNS1_3gpuE9ELNS1_3repE0EEENS1_59segmented_radix_sort_warp_sort_small_config_static_selectorELNS0_4arch9wavefront6targetE0EEEvSK_
                                        ; -- End function
	.section	.AMDGPU.csdata,"",@progbits
; Kernel info:
; codeLenInByte = 0
; NumSgprs: 0
; NumVgprs: 0
; ScratchSize: 0
; MemoryBound: 0
; FloatMode: 240
; IeeeMode: 1
; LDSByteSize: 0 bytes/workgroup (compile time only)
; SGPRBlocks: 0
; VGPRBlocks: 0
; NumSGPRsForWavesPerEU: 1
; NumVGPRsForWavesPerEU: 1
; Occupancy: 16
; WaveLimiterHint : 0
; COMPUTE_PGM_RSRC2:SCRATCH_EN: 0
; COMPUTE_PGM_RSRC2:USER_SGPR: 15
; COMPUTE_PGM_RSRC2:TRAP_HANDLER: 0
; COMPUTE_PGM_RSRC2:TGID_X_EN: 1
; COMPUTE_PGM_RSRC2:TGID_Y_EN: 0
; COMPUTE_PGM_RSRC2:TGID_Z_EN: 0
; COMPUTE_PGM_RSRC2:TIDIG_COMP_CNT: 0
	.section	.text._ZN7rocprim17ROCPRIM_400000_NS6detail17trampoline_kernelINS0_14default_configENS1_36segmented_radix_sort_config_selectorIalEEZNS1_25segmented_radix_sort_implIS3_Lb1EPKaPaPKlPlN2at6native12_GLOBAL__N_18offset_tEEE10hipError_tPvRmT1_PNSt15iterator_traitsISK_E10value_typeET2_T3_PNSL_ISQ_E10value_typeET4_jRbjT5_SW_jjP12ihipStream_tbEUlT_E1_NS1_11comp_targetILNS1_3genE4ELNS1_11target_archE910ELNS1_3gpuE8ELNS1_3repE0EEENS1_59segmented_radix_sort_warp_sort_small_config_static_selectorELNS0_4arch9wavefront6targetE0EEEvSK_,"axG",@progbits,_ZN7rocprim17ROCPRIM_400000_NS6detail17trampoline_kernelINS0_14default_configENS1_36segmented_radix_sort_config_selectorIalEEZNS1_25segmented_radix_sort_implIS3_Lb1EPKaPaPKlPlN2at6native12_GLOBAL__N_18offset_tEEE10hipError_tPvRmT1_PNSt15iterator_traitsISK_E10value_typeET2_T3_PNSL_ISQ_E10value_typeET4_jRbjT5_SW_jjP12ihipStream_tbEUlT_E1_NS1_11comp_targetILNS1_3genE4ELNS1_11target_archE910ELNS1_3gpuE8ELNS1_3repE0EEENS1_59segmented_radix_sort_warp_sort_small_config_static_selectorELNS0_4arch9wavefront6targetE0EEEvSK_,comdat
	.globl	_ZN7rocprim17ROCPRIM_400000_NS6detail17trampoline_kernelINS0_14default_configENS1_36segmented_radix_sort_config_selectorIalEEZNS1_25segmented_radix_sort_implIS3_Lb1EPKaPaPKlPlN2at6native12_GLOBAL__N_18offset_tEEE10hipError_tPvRmT1_PNSt15iterator_traitsISK_E10value_typeET2_T3_PNSL_ISQ_E10value_typeET4_jRbjT5_SW_jjP12ihipStream_tbEUlT_E1_NS1_11comp_targetILNS1_3genE4ELNS1_11target_archE910ELNS1_3gpuE8ELNS1_3repE0EEENS1_59segmented_radix_sort_warp_sort_small_config_static_selectorELNS0_4arch9wavefront6targetE0EEEvSK_ ; -- Begin function _ZN7rocprim17ROCPRIM_400000_NS6detail17trampoline_kernelINS0_14default_configENS1_36segmented_radix_sort_config_selectorIalEEZNS1_25segmented_radix_sort_implIS3_Lb1EPKaPaPKlPlN2at6native12_GLOBAL__N_18offset_tEEE10hipError_tPvRmT1_PNSt15iterator_traitsISK_E10value_typeET2_T3_PNSL_ISQ_E10value_typeET4_jRbjT5_SW_jjP12ihipStream_tbEUlT_E1_NS1_11comp_targetILNS1_3genE4ELNS1_11target_archE910ELNS1_3gpuE8ELNS1_3repE0EEENS1_59segmented_radix_sort_warp_sort_small_config_static_selectorELNS0_4arch9wavefront6targetE0EEEvSK_
	.p2align	8
	.type	_ZN7rocprim17ROCPRIM_400000_NS6detail17trampoline_kernelINS0_14default_configENS1_36segmented_radix_sort_config_selectorIalEEZNS1_25segmented_radix_sort_implIS3_Lb1EPKaPaPKlPlN2at6native12_GLOBAL__N_18offset_tEEE10hipError_tPvRmT1_PNSt15iterator_traitsISK_E10value_typeET2_T3_PNSL_ISQ_E10value_typeET4_jRbjT5_SW_jjP12ihipStream_tbEUlT_E1_NS1_11comp_targetILNS1_3genE4ELNS1_11target_archE910ELNS1_3gpuE8ELNS1_3repE0EEENS1_59segmented_radix_sort_warp_sort_small_config_static_selectorELNS0_4arch9wavefront6targetE0EEEvSK_,@function
_ZN7rocprim17ROCPRIM_400000_NS6detail17trampoline_kernelINS0_14default_configENS1_36segmented_radix_sort_config_selectorIalEEZNS1_25segmented_radix_sort_implIS3_Lb1EPKaPaPKlPlN2at6native12_GLOBAL__N_18offset_tEEE10hipError_tPvRmT1_PNSt15iterator_traitsISK_E10value_typeET2_T3_PNSL_ISQ_E10value_typeET4_jRbjT5_SW_jjP12ihipStream_tbEUlT_E1_NS1_11comp_targetILNS1_3genE4ELNS1_11target_archE910ELNS1_3gpuE8ELNS1_3repE0EEENS1_59segmented_radix_sort_warp_sort_small_config_static_selectorELNS0_4arch9wavefront6targetE0EEEvSK_: ; @_ZN7rocprim17ROCPRIM_400000_NS6detail17trampoline_kernelINS0_14default_configENS1_36segmented_radix_sort_config_selectorIalEEZNS1_25segmented_radix_sort_implIS3_Lb1EPKaPaPKlPlN2at6native12_GLOBAL__N_18offset_tEEE10hipError_tPvRmT1_PNSt15iterator_traitsISK_E10value_typeET2_T3_PNSL_ISQ_E10value_typeET4_jRbjT5_SW_jjP12ihipStream_tbEUlT_E1_NS1_11comp_targetILNS1_3genE4ELNS1_11target_archE910ELNS1_3gpuE8ELNS1_3repE0EEENS1_59segmented_radix_sort_warp_sort_small_config_static_selectorELNS0_4arch9wavefront6targetE0EEEvSK_
; %bb.0:
	.section	.rodata,"a",@progbits
	.p2align	6, 0x0
	.amdhsa_kernel _ZN7rocprim17ROCPRIM_400000_NS6detail17trampoline_kernelINS0_14default_configENS1_36segmented_radix_sort_config_selectorIalEEZNS1_25segmented_radix_sort_implIS3_Lb1EPKaPaPKlPlN2at6native12_GLOBAL__N_18offset_tEEE10hipError_tPvRmT1_PNSt15iterator_traitsISK_E10value_typeET2_T3_PNSL_ISQ_E10value_typeET4_jRbjT5_SW_jjP12ihipStream_tbEUlT_E1_NS1_11comp_targetILNS1_3genE4ELNS1_11target_archE910ELNS1_3gpuE8ELNS1_3repE0EEENS1_59segmented_radix_sort_warp_sort_small_config_static_selectorELNS0_4arch9wavefront6targetE0EEEvSK_
		.amdhsa_group_segment_fixed_size 0
		.amdhsa_private_segment_fixed_size 0
		.amdhsa_kernarg_size 88
		.amdhsa_user_sgpr_count 15
		.amdhsa_user_sgpr_dispatch_ptr 0
		.amdhsa_user_sgpr_queue_ptr 0
		.amdhsa_user_sgpr_kernarg_segment_ptr 1
		.amdhsa_user_sgpr_dispatch_id 0
		.amdhsa_user_sgpr_private_segment_size 0
		.amdhsa_wavefront_size32 1
		.amdhsa_uses_dynamic_stack 0
		.amdhsa_enable_private_segment 0
		.amdhsa_system_sgpr_workgroup_id_x 1
		.amdhsa_system_sgpr_workgroup_id_y 0
		.amdhsa_system_sgpr_workgroup_id_z 0
		.amdhsa_system_sgpr_workgroup_info 0
		.amdhsa_system_vgpr_workitem_id 0
		.amdhsa_next_free_vgpr 1
		.amdhsa_next_free_sgpr 1
		.amdhsa_reserve_vcc 0
		.amdhsa_float_round_mode_32 0
		.amdhsa_float_round_mode_16_64 0
		.amdhsa_float_denorm_mode_32 3
		.amdhsa_float_denorm_mode_16_64 3
		.amdhsa_dx10_clamp 1
		.amdhsa_ieee_mode 1
		.amdhsa_fp16_overflow 0
		.amdhsa_workgroup_processor_mode 1
		.amdhsa_memory_ordered 1
		.amdhsa_forward_progress 0
		.amdhsa_shared_vgpr_count 0
		.amdhsa_exception_fp_ieee_invalid_op 0
		.amdhsa_exception_fp_denorm_src 0
		.amdhsa_exception_fp_ieee_div_zero 0
		.amdhsa_exception_fp_ieee_overflow 0
		.amdhsa_exception_fp_ieee_underflow 0
		.amdhsa_exception_fp_ieee_inexact 0
		.amdhsa_exception_int_div_zero 0
	.end_amdhsa_kernel
	.section	.text._ZN7rocprim17ROCPRIM_400000_NS6detail17trampoline_kernelINS0_14default_configENS1_36segmented_radix_sort_config_selectorIalEEZNS1_25segmented_radix_sort_implIS3_Lb1EPKaPaPKlPlN2at6native12_GLOBAL__N_18offset_tEEE10hipError_tPvRmT1_PNSt15iterator_traitsISK_E10value_typeET2_T3_PNSL_ISQ_E10value_typeET4_jRbjT5_SW_jjP12ihipStream_tbEUlT_E1_NS1_11comp_targetILNS1_3genE4ELNS1_11target_archE910ELNS1_3gpuE8ELNS1_3repE0EEENS1_59segmented_radix_sort_warp_sort_small_config_static_selectorELNS0_4arch9wavefront6targetE0EEEvSK_,"axG",@progbits,_ZN7rocprim17ROCPRIM_400000_NS6detail17trampoline_kernelINS0_14default_configENS1_36segmented_radix_sort_config_selectorIalEEZNS1_25segmented_radix_sort_implIS3_Lb1EPKaPaPKlPlN2at6native12_GLOBAL__N_18offset_tEEE10hipError_tPvRmT1_PNSt15iterator_traitsISK_E10value_typeET2_T3_PNSL_ISQ_E10value_typeET4_jRbjT5_SW_jjP12ihipStream_tbEUlT_E1_NS1_11comp_targetILNS1_3genE4ELNS1_11target_archE910ELNS1_3gpuE8ELNS1_3repE0EEENS1_59segmented_radix_sort_warp_sort_small_config_static_selectorELNS0_4arch9wavefront6targetE0EEEvSK_,comdat
.Lfunc_end312:
	.size	_ZN7rocprim17ROCPRIM_400000_NS6detail17trampoline_kernelINS0_14default_configENS1_36segmented_radix_sort_config_selectorIalEEZNS1_25segmented_radix_sort_implIS3_Lb1EPKaPaPKlPlN2at6native12_GLOBAL__N_18offset_tEEE10hipError_tPvRmT1_PNSt15iterator_traitsISK_E10value_typeET2_T3_PNSL_ISQ_E10value_typeET4_jRbjT5_SW_jjP12ihipStream_tbEUlT_E1_NS1_11comp_targetILNS1_3genE4ELNS1_11target_archE910ELNS1_3gpuE8ELNS1_3repE0EEENS1_59segmented_radix_sort_warp_sort_small_config_static_selectorELNS0_4arch9wavefront6targetE0EEEvSK_, .Lfunc_end312-_ZN7rocprim17ROCPRIM_400000_NS6detail17trampoline_kernelINS0_14default_configENS1_36segmented_radix_sort_config_selectorIalEEZNS1_25segmented_radix_sort_implIS3_Lb1EPKaPaPKlPlN2at6native12_GLOBAL__N_18offset_tEEE10hipError_tPvRmT1_PNSt15iterator_traitsISK_E10value_typeET2_T3_PNSL_ISQ_E10value_typeET4_jRbjT5_SW_jjP12ihipStream_tbEUlT_E1_NS1_11comp_targetILNS1_3genE4ELNS1_11target_archE910ELNS1_3gpuE8ELNS1_3repE0EEENS1_59segmented_radix_sort_warp_sort_small_config_static_selectorELNS0_4arch9wavefront6targetE0EEEvSK_
                                        ; -- End function
	.section	.AMDGPU.csdata,"",@progbits
; Kernel info:
; codeLenInByte = 0
; NumSgprs: 0
; NumVgprs: 0
; ScratchSize: 0
; MemoryBound: 0
; FloatMode: 240
; IeeeMode: 1
; LDSByteSize: 0 bytes/workgroup (compile time only)
; SGPRBlocks: 0
; VGPRBlocks: 0
; NumSGPRsForWavesPerEU: 1
; NumVGPRsForWavesPerEU: 1
; Occupancy: 16
; WaveLimiterHint : 0
; COMPUTE_PGM_RSRC2:SCRATCH_EN: 0
; COMPUTE_PGM_RSRC2:USER_SGPR: 15
; COMPUTE_PGM_RSRC2:TRAP_HANDLER: 0
; COMPUTE_PGM_RSRC2:TGID_X_EN: 1
; COMPUTE_PGM_RSRC2:TGID_Y_EN: 0
; COMPUTE_PGM_RSRC2:TGID_Z_EN: 0
; COMPUTE_PGM_RSRC2:TIDIG_COMP_CNT: 0
	.section	.text._ZN7rocprim17ROCPRIM_400000_NS6detail17trampoline_kernelINS0_14default_configENS1_36segmented_radix_sort_config_selectorIalEEZNS1_25segmented_radix_sort_implIS3_Lb1EPKaPaPKlPlN2at6native12_GLOBAL__N_18offset_tEEE10hipError_tPvRmT1_PNSt15iterator_traitsISK_E10value_typeET2_T3_PNSL_ISQ_E10value_typeET4_jRbjT5_SW_jjP12ihipStream_tbEUlT_E1_NS1_11comp_targetILNS1_3genE3ELNS1_11target_archE908ELNS1_3gpuE7ELNS1_3repE0EEENS1_59segmented_radix_sort_warp_sort_small_config_static_selectorELNS0_4arch9wavefront6targetE0EEEvSK_,"axG",@progbits,_ZN7rocprim17ROCPRIM_400000_NS6detail17trampoline_kernelINS0_14default_configENS1_36segmented_radix_sort_config_selectorIalEEZNS1_25segmented_radix_sort_implIS3_Lb1EPKaPaPKlPlN2at6native12_GLOBAL__N_18offset_tEEE10hipError_tPvRmT1_PNSt15iterator_traitsISK_E10value_typeET2_T3_PNSL_ISQ_E10value_typeET4_jRbjT5_SW_jjP12ihipStream_tbEUlT_E1_NS1_11comp_targetILNS1_3genE3ELNS1_11target_archE908ELNS1_3gpuE7ELNS1_3repE0EEENS1_59segmented_radix_sort_warp_sort_small_config_static_selectorELNS0_4arch9wavefront6targetE0EEEvSK_,comdat
	.globl	_ZN7rocprim17ROCPRIM_400000_NS6detail17trampoline_kernelINS0_14default_configENS1_36segmented_radix_sort_config_selectorIalEEZNS1_25segmented_radix_sort_implIS3_Lb1EPKaPaPKlPlN2at6native12_GLOBAL__N_18offset_tEEE10hipError_tPvRmT1_PNSt15iterator_traitsISK_E10value_typeET2_T3_PNSL_ISQ_E10value_typeET4_jRbjT5_SW_jjP12ihipStream_tbEUlT_E1_NS1_11comp_targetILNS1_3genE3ELNS1_11target_archE908ELNS1_3gpuE7ELNS1_3repE0EEENS1_59segmented_radix_sort_warp_sort_small_config_static_selectorELNS0_4arch9wavefront6targetE0EEEvSK_ ; -- Begin function _ZN7rocprim17ROCPRIM_400000_NS6detail17trampoline_kernelINS0_14default_configENS1_36segmented_radix_sort_config_selectorIalEEZNS1_25segmented_radix_sort_implIS3_Lb1EPKaPaPKlPlN2at6native12_GLOBAL__N_18offset_tEEE10hipError_tPvRmT1_PNSt15iterator_traitsISK_E10value_typeET2_T3_PNSL_ISQ_E10value_typeET4_jRbjT5_SW_jjP12ihipStream_tbEUlT_E1_NS1_11comp_targetILNS1_3genE3ELNS1_11target_archE908ELNS1_3gpuE7ELNS1_3repE0EEENS1_59segmented_radix_sort_warp_sort_small_config_static_selectorELNS0_4arch9wavefront6targetE0EEEvSK_
	.p2align	8
	.type	_ZN7rocprim17ROCPRIM_400000_NS6detail17trampoline_kernelINS0_14default_configENS1_36segmented_radix_sort_config_selectorIalEEZNS1_25segmented_radix_sort_implIS3_Lb1EPKaPaPKlPlN2at6native12_GLOBAL__N_18offset_tEEE10hipError_tPvRmT1_PNSt15iterator_traitsISK_E10value_typeET2_T3_PNSL_ISQ_E10value_typeET4_jRbjT5_SW_jjP12ihipStream_tbEUlT_E1_NS1_11comp_targetILNS1_3genE3ELNS1_11target_archE908ELNS1_3gpuE7ELNS1_3repE0EEENS1_59segmented_radix_sort_warp_sort_small_config_static_selectorELNS0_4arch9wavefront6targetE0EEEvSK_,@function
_ZN7rocprim17ROCPRIM_400000_NS6detail17trampoline_kernelINS0_14default_configENS1_36segmented_radix_sort_config_selectorIalEEZNS1_25segmented_radix_sort_implIS3_Lb1EPKaPaPKlPlN2at6native12_GLOBAL__N_18offset_tEEE10hipError_tPvRmT1_PNSt15iterator_traitsISK_E10value_typeET2_T3_PNSL_ISQ_E10value_typeET4_jRbjT5_SW_jjP12ihipStream_tbEUlT_E1_NS1_11comp_targetILNS1_3genE3ELNS1_11target_archE908ELNS1_3gpuE7ELNS1_3repE0EEENS1_59segmented_radix_sort_warp_sort_small_config_static_selectorELNS0_4arch9wavefront6targetE0EEEvSK_: ; @_ZN7rocprim17ROCPRIM_400000_NS6detail17trampoline_kernelINS0_14default_configENS1_36segmented_radix_sort_config_selectorIalEEZNS1_25segmented_radix_sort_implIS3_Lb1EPKaPaPKlPlN2at6native12_GLOBAL__N_18offset_tEEE10hipError_tPvRmT1_PNSt15iterator_traitsISK_E10value_typeET2_T3_PNSL_ISQ_E10value_typeET4_jRbjT5_SW_jjP12ihipStream_tbEUlT_E1_NS1_11comp_targetILNS1_3genE3ELNS1_11target_archE908ELNS1_3gpuE7ELNS1_3repE0EEENS1_59segmented_radix_sort_warp_sort_small_config_static_selectorELNS0_4arch9wavefront6targetE0EEEvSK_
; %bb.0:
	.section	.rodata,"a",@progbits
	.p2align	6, 0x0
	.amdhsa_kernel _ZN7rocprim17ROCPRIM_400000_NS6detail17trampoline_kernelINS0_14default_configENS1_36segmented_radix_sort_config_selectorIalEEZNS1_25segmented_radix_sort_implIS3_Lb1EPKaPaPKlPlN2at6native12_GLOBAL__N_18offset_tEEE10hipError_tPvRmT1_PNSt15iterator_traitsISK_E10value_typeET2_T3_PNSL_ISQ_E10value_typeET4_jRbjT5_SW_jjP12ihipStream_tbEUlT_E1_NS1_11comp_targetILNS1_3genE3ELNS1_11target_archE908ELNS1_3gpuE7ELNS1_3repE0EEENS1_59segmented_radix_sort_warp_sort_small_config_static_selectorELNS0_4arch9wavefront6targetE0EEEvSK_
		.amdhsa_group_segment_fixed_size 0
		.amdhsa_private_segment_fixed_size 0
		.amdhsa_kernarg_size 88
		.amdhsa_user_sgpr_count 15
		.amdhsa_user_sgpr_dispatch_ptr 0
		.amdhsa_user_sgpr_queue_ptr 0
		.amdhsa_user_sgpr_kernarg_segment_ptr 1
		.amdhsa_user_sgpr_dispatch_id 0
		.amdhsa_user_sgpr_private_segment_size 0
		.amdhsa_wavefront_size32 1
		.amdhsa_uses_dynamic_stack 0
		.amdhsa_enable_private_segment 0
		.amdhsa_system_sgpr_workgroup_id_x 1
		.amdhsa_system_sgpr_workgroup_id_y 0
		.amdhsa_system_sgpr_workgroup_id_z 0
		.amdhsa_system_sgpr_workgroup_info 0
		.amdhsa_system_vgpr_workitem_id 0
		.amdhsa_next_free_vgpr 1
		.amdhsa_next_free_sgpr 1
		.amdhsa_reserve_vcc 0
		.amdhsa_float_round_mode_32 0
		.amdhsa_float_round_mode_16_64 0
		.amdhsa_float_denorm_mode_32 3
		.amdhsa_float_denorm_mode_16_64 3
		.amdhsa_dx10_clamp 1
		.amdhsa_ieee_mode 1
		.amdhsa_fp16_overflow 0
		.amdhsa_workgroup_processor_mode 1
		.amdhsa_memory_ordered 1
		.amdhsa_forward_progress 0
		.amdhsa_shared_vgpr_count 0
		.amdhsa_exception_fp_ieee_invalid_op 0
		.amdhsa_exception_fp_denorm_src 0
		.amdhsa_exception_fp_ieee_div_zero 0
		.amdhsa_exception_fp_ieee_overflow 0
		.amdhsa_exception_fp_ieee_underflow 0
		.amdhsa_exception_fp_ieee_inexact 0
		.amdhsa_exception_int_div_zero 0
	.end_amdhsa_kernel
	.section	.text._ZN7rocprim17ROCPRIM_400000_NS6detail17trampoline_kernelINS0_14default_configENS1_36segmented_radix_sort_config_selectorIalEEZNS1_25segmented_radix_sort_implIS3_Lb1EPKaPaPKlPlN2at6native12_GLOBAL__N_18offset_tEEE10hipError_tPvRmT1_PNSt15iterator_traitsISK_E10value_typeET2_T3_PNSL_ISQ_E10value_typeET4_jRbjT5_SW_jjP12ihipStream_tbEUlT_E1_NS1_11comp_targetILNS1_3genE3ELNS1_11target_archE908ELNS1_3gpuE7ELNS1_3repE0EEENS1_59segmented_radix_sort_warp_sort_small_config_static_selectorELNS0_4arch9wavefront6targetE0EEEvSK_,"axG",@progbits,_ZN7rocprim17ROCPRIM_400000_NS6detail17trampoline_kernelINS0_14default_configENS1_36segmented_radix_sort_config_selectorIalEEZNS1_25segmented_radix_sort_implIS3_Lb1EPKaPaPKlPlN2at6native12_GLOBAL__N_18offset_tEEE10hipError_tPvRmT1_PNSt15iterator_traitsISK_E10value_typeET2_T3_PNSL_ISQ_E10value_typeET4_jRbjT5_SW_jjP12ihipStream_tbEUlT_E1_NS1_11comp_targetILNS1_3genE3ELNS1_11target_archE908ELNS1_3gpuE7ELNS1_3repE0EEENS1_59segmented_radix_sort_warp_sort_small_config_static_selectorELNS0_4arch9wavefront6targetE0EEEvSK_,comdat
.Lfunc_end313:
	.size	_ZN7rocprim17ROCPRIM_400000_NS6detail17trampoline_kernelINS0_14default_configENS1_36segmented_radix_sort_config_selectorIalEEZNS1_25segmented_radix_sort_implIS3_Lb1EPKaPaPKlPlN2at6native12_GLOBAL__N_18offset_tEEE10hipError_tPvRmT1_PNSt15iterator_traitsISK_E10value_typeET2_T3_PNSL_ISQ_E10value_typeET4_jRbjT5_SW_jjP12ihipStream_tbEUlT_E1_NS1_11comp_targetILNS1_3genE3ELNS1_11target_archE908ELNS1_3gpuE7ELNS1_3repE0EEENS1_59segmented_radix_sort_warp_sort_small_config_static_selectorELNS0_4arch9wavefront6targetE0EEEvSK_, .Lfunc_end313-_ZN7rocprim17ROCPRIM_400000_NS6detail17trampoline_kernelINS0_14default_configENS1_36segmented_radix_sort_config_selectorIalEEZNS1_25segmented_radix_sort_implIS3_Lb1EPKaPaPKlPlN2at6native12_GLOBAL__N_18offset_tEEE10hipError_tPvRmT1_PNSt15iterator_traitsISK_E10value_typeET2_T3_PNSL_ISQ_E10value_typeET4_jRbjT5_SW_jjP12ihipStream_tbEUlT_E1_NS1_11comp_targetILNS1_3genE3ELNS1_11target_archE908ELNS1_3gpuE7ELNS1_3repE0EEENS1_59segmented_radix_sort_warp_sort_small_config_static_selectorELNS0_4arch9wavefront6targetE0EEEvSK_
                                        ; -- End function
	.section	.AMDGPU.csdata,"",@progbits
; Kernel info:
; codeLenInByte = 0
; NumSgprs: 0
; NumVgprs: 0
; ScratchSize: 0
; MemoryBound: 0
; FloatMode: 240
; IeeeMode: 1
; LDSByteSize: 0 bytes/workgroup (compile time only)
; SGPRBlocks: 0
; VGPRBlocks: 0
; NumSGPRsForWavesPerEU: 1
; NumVGPRsForWavesPerEU: 1
; Occupancy: 16
; WaveLimiterHint : 0
; COMPUTE_PGM_RSRC2:SCRATCH_EN: 0
; COMPUTE_PGM_RSRC2:USER_SGPR: 15
; COMPUTE_PGM_RSRC2:TRAP_HANDLER: 0
; COMPUTE_PGM_RSRC2:TGID_X_EN: 1
; COMPUTE_PGM_RSRC2:TGID_Y_EN: 0
; COMPUTE_PGM_RSRC2:TGID_Z_EN: 0
; COMPUTE_PGM_RSRC2:TIDIG_COMP_CNT: 0
	.section	.text._ZN7rocprim17ROCPRIM_400000_NS6detail17trampoline_kernelINS0_14default_configENS1_36segmented_radix_sort_config_selectorIalEEZNS1_25segmented_radix_sort_implIS3_Lb1EPKaPaPKlPlN2at6native12_GLOBAL__N_18offset_tEEE10hipError_tPvRmT1_PNSt15iterator_traitsISK_E10value_typeET2_T3_PNSL_ISQ_E10value_typeET4_jRbjT5_SW_jjP12ihipStream_tbEUlT_E1_NS1_11comp_targetILNS1_3genE2ELNS1_11target_archE906ELNS1_3gpuE6ELNS1_3repE0EEENS1_59segmented_radix_sort_warp_sort_small_config_static_selectorELNS0_4arch9wavefront6targetE0EEEvSK_,"axG",@progbits,_ZN7rocprim17ROCPRIM_400000_NS6detail17trampoline_kernelINS0_14default_configENS1_36segmented_radix_sort_config_selectorIalEEZNS1_25segmented_radix_sort_implIS3_Lb1EPKaPaPKlPlN2at6native12_GLOBAL__N_18offset_tEEE10hipError_tPvRmT1_PNSt15iterator_traitsISK_E10value_typeET2_T3_PNSL_ISQ_E10value_typeET4_jRbjT5_SW_jjP12ihipStream_tbEUlT_E1_NS1_11comp_targetILNS1_3genE2ELNS1_11target_archE906ELNS1_3gpuE6ELNS1_3repE0EEENS1_59segmented_radix_sort_warp_sort_small_config_static_selectorELNS0_4arch9wavefront6targetE0EEEvSK_,comdat
	.globl	_ZN7rocprim17ROCPRIM_400000_NS6detail17trampoline_kernelINS0_14default_configENS1_36segmented_radix_sort_config_selectorIalEEZNS1_25segmented_radix_sort_implIS3_Lb1EPKaPaPKlPlN2at6native12_GLOBAL__N_18offset_tEEE10hipError_tPvRmT1_PNSt15iterator_traitsISK_E10value_typeET2_T3_PNSL_ISQ_E10value_typeET4_jRbjT5_SW_jjP12ihipStream_tbEUlT_E1_NS1_11comp_targetILNS1_3genE2ELNS1_11target_archE906ELNS1_3gpuE6ELNS1_3repE0EEENS1_59segmented_radix_sort_warp_sort_small_config_static_selectorELNS0_4arch9wavefront6targetE0EEEvSK_ ; -- Begin function _ZN7rocprim17ROCPRIM_400000_NS6detail17trampoline_kernelINS0_14default_configENS1_36segmented_radix_sort_config_selectorIalEEZNS1_25segmented_radix_sort_implIS3_Lb1EPKaPaPKlPlN2at6native12_GLOBAL__N_18offset_tEEE10hipError_tPvRmT1_PNSt15iterator_traitsISK_E10value_typeET2_T3_PNSL_ISQ_E10value_typeET4_jRbjT5_SW_jjP12ihipStream_tbEUlT_E1_NS1_11comp_targetILNS1_3genE2ELNS1_11target_archE906ELNS1_3gpuE6ELNS1_3repE0EEENS1_59segmented_radix_sort_warp_sort_small_config_static_selectorELNS0_4arch9wavefront6targetE0EEEvSK_
	.p2align	8
	.type	_ZN7rocprim17ROCPRIM_400000_NS6detail17trampoline_kernelINS0_14default_configENS1_36segmented_radix_sort_config_selectorIalEEZNS1_25segmented_radix_sort_implIS3_Lb1EPKaPaPKlPlN2at6native12_GLOBAL__N_18offset_tEEE10hipError_tPvRmT1_PNSt15iterator_traitsISK_E10value_typeET2_T3_PNSL_ISQ_E10value_typeET4_jRbjT5_SW_jjP12ihipStream_tbEUlT_E1_NS1_11comp_targetILNS1_3genE2ELNS1_11target_archE906ELNS1_3gpuE6ELNS1_3repE0EEENS1_59segmented_radix_sort_warp_sort_small_config_static_selectorELNS0_4arch9wavefront6targetE0EEEvSK_,@function
_ZN7rocprim17ROCPRIM_400000_NS6detail17trampoline_kernelINS0_14default_configENS1_36segmented_radix_sort_config_selectorIalEEZNS1_25segmented_radix_sort_implIS3_Lb1EPKaPaPKlPlN2at6native12_GLOBAL__N_18offset_tEEE10hipError_tPvRmT1_PNSt15iterator_traitsISK_E10value_typeET2_T3_PNSL_ISQ_E10value_typeET4_jRbjT5_SW_jjP12ihipStream_tbEUlT_E1_NS1_11comp_targetILNS1_3genE2ELNS1_11target_archE906ELNS1_3gpuE6ELNS1_3repE0EEENS1_59segmented_radix_sort_warp_sort_small_config_static_selectorELNS0_4arch9wavefront6targetE0EEEvSK_: ; @_ZN7rocprim17ROCPRIM_400000_NS6detail17trampoline_kernelINS0_14default_configENS1_36segmented_radix_sort_config_selectorIalEEZNS1_25segmented_radix_sort_implIS3_Lb1EPKaPaPKlPlN2at6native12_GLOBAL__N_18offset_tEEE10hipError_tPvRmT1_PNSt15iterator_traitsISK_E10value_typeET2_T3_PNSL_ISQ_E10value_typeET4_jRbjT5_SW_jjP12ihipStream_tbEUlT_E1_NS1_11comp_targetILNS1_3genE2ELNS1_11target_archE906ELNS1_3gpuE6ELNS1_3repE0EEENS1_59segmented_radix_sort_warp_sort_small_config_static_selectorELNS0_4arch9wavefront6targetE0EEEvSK_
; %bb.0:
	.section	.rodata,"a",@progbits
	.p2align	6, 0x0
	.amdhsa_kernel _ZN7rocprim17ROCPRIM_400000_NS6detail17trampoline_kernelINS0_14default_configENS1_36segmented_radix_sort_config_selectorIalEEZNS1_25segmented_radix_sort_implIS3_Lb1EPKaPaPKlPlN2at6native12_GLOBAL__N_18offset_tEEE10hipError_tPvRmT1_PNSt15iterator_traitsISK_E10value_typeET2_T3_PNSL_ISQ_E10value_typeET4_jRbjT5_SW_jjP12ihipStream_tbEUlT_E1_NS1_11comp_targetILNS1_3genE2ELNS1_11target_archE906ELNS1_3gpuE6ELNS1_3repE0EEENS1_59segmented_radix_sort_warp_sort_small_config_static_selectorELNS0_4arch9wavefront6targetE0EEEvSK_
		.amdhsa_group_segment_fixed_size 0
		.amdhsa_private_segment_fixed_size 0
		.amdhsa_kernarg_size 88
		.amdhsa_user_sgpr_count 15
		.amdhsa_user_sgpr_dispatch_ptr 0
		.amdhsa_user_sgpr_queue_ptr 0
		.amdhsa_user_sgpr_kernarg_segment_ptr 1
		.amdhsa_user_sgpr_dispatch_id 0
		.amdhsa_user_sgpr_private_segment_size 0
		.amdhsa_wavefront_size32 1
		.amdhsa_uses_dynamic_stack 0
		.amdhsa_enable_private_segment 0
		.amdhsa_system_sgpr_workgroup_id_x 1
		.amdhsa_system_sgpr_workgroup_id_y 0
		.amdhsa_system_sgpr_workgroup_id_z 0
		.amdhsa_system_sgpr_workgroup_info 0
		.amdhsa_system_vgpr_workitem_id 0
		.amdhsa_next_free_vgpr 1
		.amdhsa_next_free_sgpr 1
		.amdhsa_reserve_vcc 0
		.amdhsa_float_round_mode_32 0
		.amdhsa_float_round_mode_16_64 0
		.amdhsa_float_denorm_mode_32 3
		.amdhsa_float_denorm_mode_16_64 3
		.amdhsa_dx10_clamp 1
		.amdhsa_ieee_mode 1
		.amdhsa_fp16_overflow 0
		.amdhsa_workgroup_processor_mode 1
		.amdhsa_memory_ordered 1
		.amdhsa_forward_progress 0
		.amdhsa_shared_vgpr_count 0
		.amdhsa_exception_fp_ieee_invalid_op 0
		.amdhsa_exception_fp_denorm_src 0
		.amdhsa_exception_fp_ieee_div_zero 0
		.amdhsa_exception_fp_ieee_overflow 0
		.amdhsa_exception_fp_ieee_underflow 0
		.amdhsa_exception_fp_ieee_inexact 0
		.amdhsa_exception_int_div_zero 0
	.end_amdhsa_kernel
	.section	.text._ZN7rocprim17ROCPRIM_400000_NS6detail17trampoline_kernelINS0_14default_configENS1_36segmented_radix_sort_config_selectorIalEEZNS1_25segmented_radix_sort_implIS3_Lb1EPKaPaPKlPlN2at6native12_GLOBAL__N_18offset_tEEE10hipError_tPvRmT1_PNSt15iterator_traitsISK_E10value_typeET2_T3_PNSL_ISQ_E10value_typeET4_jRbjT5_SW_jjP12ihipStream_tbEUlT_E1_NS1_11comp_targetILNS1_3genE2ELNS1_11target_archE906ELNS1_3gpuE6ELNS1_3repE0EEENS1_59segmented_radix_sort_warp_sort_small_config_static_selectorELNS0_4arch9wavefront6targetE0EEEvSK_,"axG",@progbits,_ZN7rocprim17ROCPRIM_400000_NS6detail17trampoline_kernelINS0_14default_configENS1_36segmented_radix_sort_config_selectorIalEEZNS1_25segmented_radix_sort_implIS3_Lb1EPKaPaPKlPlN2at6native12_GLOBAL__N_18offset_tEEE10hipError_tPvRmT1_PNSt15iterator_traitsISK_E10value_typeET2_T3_PNSL_ISQ_E10value_typeET4_jRbjT5_SW_jjP12ihipStream_tbEUlT_E1_NS1_11comp_targetILNS1_3genE2ELNS1_11target_archE906ELNS1_3gpuE6ELNS1_3repE0EEENS1_59segmented_radix_sort_warp_sort_small_config_static_selectorELNS0_4arch9wavefront6targetE0EEEvSK_,comdat
.Lfunc_end314:
	.size	_ZN7rocprim17ROCPRIM_400000_NS6detail17trampoline_kernelINS0_14default_configENS1_36segmented_radix_sort_config_selectorIalEEZNS1_25segmented_radix_sort_implIS3_Lb1EPKaPaPKlPlN2at6native12_GLOBAL__N_18offset_tEEE10hipError_tPvRmT1_PNSt15iterator_traitsISK_E10value_typeET2_T3_PNSL_ISQ_E10value_typeET4_jRbjT5_SW_jjP12ihipStream_tbEUlT_E1_NS1_11comp_targetILNS1_3genE2ELNS1_11target_archE906ELNS1_3gpuE6ELNS1_3repE0EEENS1_59segmented_radix_sort_warp_sort_small_config_static_selectorELNS0_4arch9wavefront6targetE0EEEvSK_, .Lfunc_end314-_ZN7rocprim17ROCPRIM_400000_NS6detail17trampoline_kernelINS0_14default_configENS1_36segmented_radix_sort_config_selectorIalEEZNS1_25segmented_radix_sort_implIS3_Lb1EPKaPaPKlPlN2at6native12_GLOBAL__N_18offset_tEEE10hipError_tPvRmT1_PNSt15iterator_traitsISK_E10value_typeET2_T3_PNSL_ISQ_E10value_typeET4_jRbjT5_SW_jjP12ihipStream_tbEUlT_E1_NS1_11comp_targetILNS1_3genE2ELNS1_11target_archE906ELNS1_3gpuE6ELNS1_3repE0EEENS1_59segmented_radix_sort_warp_sort_small_config_static_selectorELNS0_4arch9wavefront6targetE0EEEvSK_
                                        ; -- End function
	.section	.AMDGPU.csdata,"",@progbits
; Kernel info:
; codeLenInByte = 0
; NumSgprs: 0
; NumVgprs: 0
; ScratchSize: 0
; MemoryBound: 0
; FloatMode: 240
; IeeeMode: 1
; LDSByteSize: 0 bytes/workgroup (compile time only)
; SGPRBlocks: 0
; VGPRBlocks: 0
; NumSGPRsForWavesPerEU: 1
; NumVGPRsForWavesPerEU: 1
; Occupancy: 16
; WaveLimiterHint : 0
; COMPUTE_PGM_RSRC2:SCRATCH_EN: 0
; COMPUTE_PGM_RSRC2:USER_SGPR: 15
; COMPUTE_PGM_RSRC2:TRAP_HANDLER: 0
; COMPUTE_PGM_RSRC2:TGID_X_EN: 1
; COMPUTE_PGM_RSRC2:TGID_Y_EN: 0
; COMPUTE_PGM_RSRC2:TGID_Z_EN: 0
; COMPUTE_PGM_RSRC2:TIDIG_COMP_CNT: 0
	.section	.text._ZN7rocprim17ROCPRIM_400000_NS6detail17trampoline_kernelINS0_14default_configENS1_36segmented_radix_sort_config_selectorIalEEZNS1_25segmented_radix_sort_implIS3_Lb1EPKaPaPKlPlN2at6native12_GLOBAL__N_18offset_tEEE10hipError_tPvRmT1_PNSt15iterator_traitsISK_E10value_typeET2_T3_PNSL_ISQ_E10value_typeET4_jRbjT5_SW_jjP12ihipStream_tbEUlT_E1_NS1_11comp_targetILNS1_3genE10ELNS1_11target_archE1201ELNS1_3gpuE5ELNS1_3repE0EEENS1_59segmented_radix_sort_warp_sort_small_config_static_selectorELNS0_4arch9wavefront6targetE0EEEvSK_,"axG",@progbits,_ZN7rocprim17ROCPRIM_400000_NS6detail17trampoline_kernelINS0_14default_configENS1_36segmented_radix_sort_config_selectorIalEEZNS1_25segmented_radix_sort_implIS3_Lb1EPKaPaPKlPlN2at6native12_GLOBAL__N_18offset_tEEE10hipError_tPvRmT1_PNSt15iterator_traitsISK_E10value_typeET2_T3_PNSL_ISQ_E10value_typeET4_jRbjT5_SW_jjP12ihipStream_tbEUlT_E1_NS1_11comp_targetILNS1_3genE10ELNS1_11target_archE1201ELNS1_3gpuE5ELNS1_3repE0EEENS1_59segmented_radix_sort_warp_sort_small_config_static_selectorELNS0_4arch9wavefront6targetE0EEEvSK_,comdat
	.globl	_ZN7rocprim17ROCPRIM_400000_NS6detail17trampoline_kernelINS0_14default_configENS1_36segmented_radix_sort_config_selectorIalEEZNS1_25segmented_radix_sort_implIS3_Lb1EPKaPaPKlPlN2at6native12_GLOBAL__N_18offset_tEEE10hipError_tPvRmT1_PNSt15iterator_traitsISK_E10value_typeET2_T3_PNSL_ISQ_E10value_typeET4_jRbjT5_SW_jjP12ihipStream_tbEUlT_E1_NS1_11comp_targetILNS1_3genE10ELNS1_11target_archE1201ELNS1_3gpuE5ELNS1_3repE0EEENS1_59segmented_radix_sort_warp_sort_small_config_static_selectorELNS0_4arch9wavefront6targetE0EEEvSK_ ; -- Begin function _ZN7rocprim17ROCPRIM_400000_NS6detail17trampoline_kernelINS0_14default_configENS1_36segmented_radix_sort_config_selectorIalEEZNS1_25segmented_radix_sort_implIS3_Lb1EPKaPaPKlPlN2at6native12_GLOBAL__N_18offset_tEEE10hipError_tPvRmT1_PNSt15iterator_traitsISK_E10value_typeET2_T3_PNSL_ISQ_E10value_typeET4_jRbjT5_SW_jjP12ihipStream_tbEUlT_E1_NS1_11comp_targetILNS1_3genE10ELNS1_11target_archE1201ELNS1_3gpuE5ELNS1_3repE0EEENS1_59segmented_radix_sort_warp_sort_small_config_static_selectorELNS0_4arch9wavefront6targetE0EEEvSK_
	.p2align	8
	.type	_ZN7rocprim17ROCPRIM_400000_NS6detail17trampoline_kernelINS0_14default_configENS1_36segmented_radix_sort_config_selectorIalEEZNS1_25segmented_radix_sort_implIS3_Lb1EPKaPaPKlPlN2at6native12_GLOBAL__N_18offset_tEEE10hipError_tPvRmT1_PNSt15iterator_traitsISK_E10value_typeET2_T3_PNSL_ISQ_E10value_typeET4_jRbjT5_SW_jjP12ihipStream_tbEUlT_E1_NS1_11comp_targetILNS1_3genE10ELNS1_11target_archE1201ELNS1_3gpuE5ELNS1_3repE0EEENS1_59segmented_radix_sort_warp_sort_small_config_static_selectorELNS0_4arch9wavefront6targetE0EEEvSK_,@function
_ZN7rocprim17ROCPRIM_400000_NS6detail17trampoline_kernelINS0_14default_configENS1_36segmented_radix_sort_config_selectorIalEEZNS1_25segmented_radix_sort_implIS3_Lb1EPKaPaPKlPlN2at6native12_GLOBAL__N_18offset_tEEE10hipError_tPvRmT1_PNSt15iterator_traitsISK_E10value_typeET2_T3_PNSL_ISQ_E10value_typeET4_jRbjT5_SW_jjP12ihipStream_tbEUlT_E1_NS1_11comp_targetILNS1_3genE10ELNS1_11target_archE1201ELNS1_3gpuE5ELNS1_3repE0EEENS1_59segmented_radix_sort_warp_sort_small_config_static_selectorELNS0_4arch9wavefront6targetE0EEEvSK_: ; @_ZN7rocprim17ROCPRIM_400000_NS6detail17trampoline_kernelINS0_14default_configENS1_36segmented_radix_sort_config_selectorIalEEZNS1_25segmented_radix_sort_implIS3_Lb1EPKaPaPKlPlN2at6native12_GLOBAL__N_18offset_tEEE10hipError_tPvRmT1_PNSt15iterator_traitsISK_E10value_typeET2_T3_PNSL_ISQ_E10value_typeET4_jRbjT5_SW_jjP12ihipStream_tbEUlT_E1_NS1_11comp_targetILNS1_3genE10ELNS1_11target_archE1201ELNS1_3gpuE5ELNS1_3repE0EEENS1_59segmented_radix_sort_warp_sort_small_config_static_selectorELNS0_4arch9wavefront6targetE0EEEvSK_
; %bb.0:
	.section	.rodata,"a",@progbits
	.p2align	6, 0x0
	.amdhsa_kernel _ZN7rocprim17ROCPRIM_400000_NS6detail17trampoline_kernelINS0_14default_configENS1_36segmented_radix_sort_config_selectorIalEEZNS1_25segmented_radix_sort_implIS3_Lb1EPKaPaPKlPlN2at6native12_GLOBAL__N_18offset_tEEE10hipError_tPvRmT1_PNSt15iterator_traitsISK_E10value_typeET2_T3_PNSL_ISQ_E10value_typeET4_jRbjT5_SW_jjP12ihipStream_tbEUlT_E1_NS1_11comp_targetILNS1_3genE10ELNS1_11target_archE1201ELNS1_3gpuE5ELNS1_3repE0EEENS1_59segmented_radix_sort_warp_sort_small_config_static_selectorELNS0_4arch9wavefront6targetE0EEEvSK_
		.amdhsa_group_segment_fixed_size 0
		.amdhsa_private_segment_fixed_size 0
		.amdhsa_kernarg_size 88
		.amdhsa_user_sgpr_count 15
		.amdhsa_user_sgpr_dispatch_ptr 0
		.amdhsa_user_sgpr_queue_ptr 0
		.amdhsa_user_sgpr_kernarg_segment_ptr 1
		.amdhsa_user_sgpr_dispatch_id 0
		.amdhsa_user_sgpr_private_segment_size 0
		.amdhsa_wavefront_size32 1
		.amdhsa_uses_dynamic_stack 0
		.amdhsa_enable_private_segment 0
		.amdhsa_system_sgpr_workgroup_id_x 1
		.amdhsa_system_sgpr_workgroup_id_y 0
		.amdhsa_system_sgpr_workgroup_id_z 0
		.amdhsa_system_sgpr_workgroup_info 0
		.amdhsa_system_vgpr_workitem_id 0
		.amdhsa_next_free_vgpr 1
		.amdhsa_next_free_sgpr 1
		.amdhsa_reserve_vcc 0
		.amdhsa_float_round_mode_32 0
		.amdhsa_float_round_mode_16_64 0
		.amdhsa_float_denorm_mode_32 3
		.amdhsa_float_denorm_mode_16_64 3
		.amdhsa_dx10_clamp 1
		.amdhsa_ieee_mode 1
		.amdhsa_fp16_overflow 0
		.amdhsa_workgroup_processor_mode 1
		.amdhsa_memory_ordered 1
		.amdhsa_forward_progress 0
		.amdhsa_shared_vgpr_count 0
		.amdhsa_exception_fp_ieee_invalid_op 0
		.amdhsa_exception_fp_denorm_src 0
		.amdhsa_exception_fp_ieee_div_zero 0
		.amdhsa_exception_fp_ieee_overflow 0
		.amdhsa_exception_fp_ieee_underflow 0
		.amdhsa_exception_fp_ieee_inexact 0
		.amdhsa_exception_int_div_zero 0
	.end_amdhsa_kernel
	.section	.text._ZN7rocprim17ROCPRIM_400000_NS6detail17trampoline_kernelINS0_14default_configENS1_36segmented_radix_sort_config_selectorIalEEZNS1_25segmented_radix_sort_implIS3_Lb1EPKaPaPKlPlN2at6native12_GLOBAL__N_18offset_tEEE10hipError_tPvRmT1_PNSt15iterator_traitsISK_E10value_typeET2_T3_PNSL_ISQ_E10value_typeET4_jRbjT5_SW_jjP12ihipStream_tbEUlT_E1_NS1_11comp_targetILNS1_3genE10ELNS1_11target_archE1201ELNS1_3gpuE5ELNS1_3repE0EEENS1_59segmented_radix_sort_warp_sort_small_config_static_selectorELNS0_4arch9wavefront6targetE0EEEvSK_,"axG",@progbits,_ZN7rocprim17ROCPRIM_400000_NS6detail17trampoline_kernelINS0_14default_configENS1_36segmented_radix_sort_config_selectorIalEEZNS1_25segmented_radix_sort_implIS3_Lb1EPKaPaPKlPlN2at6native12_GLOBAL__N_18offset_tEEE10hipError_tPvRmT1_PNSt15iterator_traitsISK_E10value_typeET2_T3_PNSL_ISQ_E10value_typeET4_jRbjT5_SW_jjP12ihipStream_tbEUlT_E1_NS1_11comp_targetILNS1_3genE10ELNS1_11target_archE1201ELNS1_3gpuE5ELNS1_3repE0EEENS1_59segmented_radix_sort_warp_sort_small_config_static_selectorELNS0_4arch9wavefront6targetE0EEEvSK_,comdat
.Lfunc_end315:
	.size	_ZN7rocprim17ROCPRIM_400000_NS6detail17trampoline_kernelINS0_14default_configENS1_36segmented_radix_sort_config_selectorIalEEZNS1_25segmented_radix_sort_implIS3_Lb1EPKaPaPKlPlN2at6native12_GLOBAL__N_18offset_tEEE10hipError_tPvRmT1_PNSt15iterator_traitsISK_E10value_typeET2_T3_PNSL_ISQ_E10value_typeET4_jRbjT5_SW_jjP12ihipStream_tbEUlT_E1_NS1_11comp_targetILNS1_3genE10ELNS1_11target_archE1201ELNS1_3gpuE5ELNS1_3repE0EEENS1_59segmented_radix_sort_warp_sort_small_config_static_selectorELNS0_4arch9wavefront6targetE0EEEvSK_, .Lfunc_end315-_ZN7rocprim17ROCPRIM_400000_NS6detail17trampoline_kernelINS0_14default_configENS1_36segmented_radix_sort_config_selectorIalEEZNS1_25segmented_radix_sort_implIS3_Lb1EPKaPaPKlPlN2at6native12_GLOBAL__N_18offset_tEEE10hipError_tPvRmT1_PNSt15iterator_traitsISK_E10value_typeET2_T3_PNSL_ISQ_E10value_typeET4_jRbjT5_SW_jjP12ihipStream_tbEUlT_E1_NS1_11comp_targetILNS1_3genE10ELNS1_11target_archE1201ELNS1_3gpuE5ELNS1_3repE0EEENS1_59segmented_radix_sort_warp_sort_small_config_static_selectorELNS0_4arch9wavefront6targetE0EEEvSK_
                                        ; -- End function
	.section	.AMDGPU.csdata,"",@progbits
; Kernel info:
; codeLenInByte = 0
; NumSgprs: 0
; NumVgprs: 0
; ScratchSize: 0
; MemoryBound: 0
; FloatMode: 240
; IeeeMode: 1
; LDSByteSize: 0 bytes/workgroup (compile time only)
; SGPRBlocks: 0
; VGPRBlocks: 0
; NumSGPRsForWavesPerEU: 1
; NumVGPRsForWavesPerEU: 1
; Occupancy: 16
; WaveLimiterHint : 0
; COMPUTE_PGM_RSRC2:SCRATCH_EN: 0
; COMPUTE_PGM_RSRC2:USER_SGPR: 15
; COMPUTE_PGM_RSRC2:TRAP_HANDLER: 0
; COMPUTE_PGM_RSRC2:TGID_X_EN: 1
; COMPUTE_PGM_RSRC2:TGID_Y_EN: 0
; COMPUTE_PGM_RSRC2:TGID_Z_EN: 0
; COMPUTE_PGM_RSRC2:TIDIG_COMP_CNT: 0
	.section	.text._ZN7rocprim17ROCPRIM_400000_NS6detail17trampoline_kernelINS0_14default_configENS1_36segmented_radix_sort_config_selectorIalEEZNS1_25segmented_radix_sort_implIS3_Lb1EPKaPaPKlPlN2at6native12_GLOBAL__N_18offset_tEEE10hipError_tPvRmT1_PNSt15iterator_traitsISK_E10value_typeET2_T3_PNSL_ISQ_E10value_typeET4_jRbjT5_SW_jjP12ihipStream_tbEUlT_E1_NS1_11comp_targetILNS1_3genE10ELNS1_11target_archE1200ELNS1_3gpuE4ELNS1_3repE0EEENS1_59segmented_radix_sort_warp_sort_small_config_static_selectorELNS0_4arch9wavefront6targetE0EEEvSK_,"axG",@progbits,_ZN7rocprim17ROCPRIM_400000_NS6detail17trampoline_kernelINS0_14default_configENS1_36segmented_radix_sort_config_selectorIalEEZNS1_25segmented_radix_sort_implIS3_Lb1EPKaPaPKlPlN2at6native12_GLOBAL__N_18offset_tEEE10hipError_tPvRmT1_PNSt15iterator_traitsISK_E10value_typeET2_T3_PNSL_ISQ_E10value_typeET4_jRbjT5_SW_jjP12ihipStream_tbEUlT_E1_NS1_11comp_targetILNS1_3genE10ELNS1_11target_archE1200ELNS1_3gpuE4ELNS1_3repE0EEENS1_59segmented_radix_sort_warp_sort_small_config_static_selectorELNS0_4arch9wavefront6targetE0EEEvSK_,comdat
	.globl	_ZN7rocprim17ROCPRIM_400000_NS6detail17trampoline_kernelINS0_14default_configENS1_36segmented_radix_sort_config_selectorIalEEZNS1_25segmented_radix_sort_implIS3_Lb1EPKaPaPKlPlN2at6native12_GLOBAL__N_18offset_tEEE10hipError_tPvRmT1_PNSt15iterator_traitsISK_E10value_typeET2_T3_PNSL_ISQ_E10value_typeET4_jRbjT5_SW_jjP12ihipStream_tbEUlT_E1_NS1_11comp_targetILNS1_3genE10ELNS1_11target_archE1200ELNS1_3gpuE4ELNS1_3repE0EEENS1_59segmented_radix_sort_warp_sort_small_config_static_selectorELNS0_4arch9wavefront6targetE0EEEvSK_ ; -- Begin function _ZN7rocprim17ROCPRIM_400000_NS6detail17trampoline_kernelINS0_14default_configENS1_36segmented_radix_sort_config_selectorIalEEZNS1_25segmented_radix_sort_implIS3_Lb1EPKaPaPKlPlN2at6native12_GLOBAL__N_18offset_tEEE10hipError_tPvRmT1_PNSt15iterator_traitsISK_E10value_typeET2_T3_PNSL_ISQ_E10value_typeET4_jRbjT5_SW_jjP12ihipStream_tbEUlT_E1_NS1_11comp_targetILNS1_3genE10ELNS1_11target_archE1200ELNS1_3gpuE4ELNS1_3repE0EEENS1_59segmented_radix_sort_warp_sort_small_config_static_selectorELNS0_4arch9wavefront6targetE0EEEvSK_
	.p2align	8
	.type	_ZN7rocprim17ROCPRIM_400000_NS6detail17trampoline_kernelINS0_14default_configENS1_36segmented_radix_sort_config_selectorIalEEZNS1_25segmented_radix_sort_implIS3_Lb1EPKaPaPKlPlN2at6native12_GLOBAL__N_18offset_tEEE10hipError_tPvRmT1_PNSt15iterator_traitsISK_E10value_typeET2_T3_PNSL_ISQ_E10value_typeET4_jRbjT5_SW_jjP12ihipStream_tbEUlT_E1_NS1_11comp_targetILNS1_3genE10ELNS1_11target_archE1200ELNS1_3gpuE4ELNS1_3repE0EEENS1_59segmented_radix_sort_warp_sort_small_config_static_selectorELNS0_4arch9wavefront6targetE0EEEvSK_,@function
_ZN7rocprim17ROCPRIM_400000_NS6detail17trampoline_kernelINS0_14default_configENS1_36segmented_radix_sort_config_selectorIalEEZNS1_25segmented_radix_sort_implIS3_Lb1EPKaPaPKlPlN2at6native12_GLOBAL__N_18offset_tEEE10hipError_tPvRmT1_PNSt15iterator_traitsISK_E10value_typeET2_T3_PNSL_ISQ_E10value_typeET4_jRbjT5_SW_jjP12ihipStream_tbEUlT_E1_NS1_11comp_targetILNS1_3genE10ELNS1_11target_archE1200ELNS1_3gpuE4ELNS1_3repE0EEENS1_59segmented_radix_sort_warp_sort_small_config_static_selectorELNS0_4arch9wavefront6targetE0EEEvSK_: ; @_ZN7rocprim17ROCPRIM_400000_NS6detail17trampoline_kernelINS0_14default_configENS1_36segmented_radix_sort_config_selectorIalEEZNS1_25segmented_radix_sort_implIS3_Lb1EPKaPaPKlPlN2at6native12_GLOBAL__N_18offset_tEEE10hipError_tPvRmT1_PNSt15iterator_traitsISK_E10value_typeET2_T3_PNSL_ISQ_E10value_typeET4_jRbjT5_SW_jjP12ihipStream_tbEUlT_E1_NS1_11comp_targetILNS1_3genE10ELNS1_11target_archE1200ELNS1_3gpuE4ELNS1_3repE0EEENS1_59segmented_radix_sort_warp_sort_small_config_static_selectorELNS0_4arch9wavefront6targetE0EEEvSK_
; %bb.0:
	.section	.rodata,"a",@progbits
	.p2align	6, 0x0
	.amdhsa_kernel _ZN7rocprim17ROCPRIM_400000_NS6detail17trampoline_kernelINS0_14default_configENS1_36segmented_radix_sort_config_selectorIalEEZNS1_25segmented_radix_sort_implIS3_Lb1EPKaPaPKlPlN2at6native12_GLOBAL__N_18offset_tEEE10hipError_tPvRmT1_PNSt15iterator_traitsISK_E10value_typeET2_T3_PNSL_ISQ_E10value_typeET4_jRbjT5_SW_jjP12ihipStream_tbEUlT_E1_NS1_11comp_targetILNS1_3genE10ELNS1_11target_archE1200ELNS1_3gpuE4ELNS1_3repE0EEENS1_59segmented_radix_sort_warp_sort_small_config_static_selectorELNS0_4arch9wavefront6targetE0EEEvSK_
		.amdhsa_group_segment_fixed_size 0
		.amdhsa_private_segment_fixed_size 0
		.amdhsa_kernarg_size 88
		.amdhsa_user_sgpr_count 15
		.amdhsa_user_sgpr_dispatch_ptr 0
		.amdhsa_user_sgpr_queue_ptr 0
		.amdhsa_user_sgpr_kernarg_segment_ptr 1
		.amdhsa_user_sgpr_dispatch_id 0
		.amdhsa_user_sgpr_private_segment_size 0
		.amdhsa_wavefront_size32 1
		.amdhsa_uses_dynamic_stack 0
		.amdhsa_enable_private_segment 0
		.amdhsa_system_sgpr_workgroup_id_x 1
		.amdhsa_system_sgpr_workgroup_id_y 0
		.amdhsa_system_sgpr_workgroup_id_z 0
		.amdhsa_system_sgpr_workgroup_info 0
		.amdhsa_system_vgpr_workitem_id 0
		.amdhsa_next_free_vgpr 1
		.amdhsa_next_free_sgpr 1
		.amdhsa_reserve_vcc 0
		.amdhsa_float_round_mode_32 0
		.amdhsa_float_round_mode_16_64 0
		.amdhsa_float_denorm_mode_32 3
		.amdhsa_float_denorm_mode_16_64 3
		.amdhsa_dx10_clamp 1
		.amdhsa_ieee_mode 1
		.amdhsa_fp16_overflow 0
		.amdhsa_workgroup_processor_mode 1
		.amdhsa_memory_ordered 1
		.amdhsa_forward_progress 0
		.amdhsa_shared_vgpr_count 0
		.amdhsa_exception_fp_ieee_invalid_op 0
		.amdhsa_exception_fp_denorm_src 0
		.amdhsa_exception_fp_ieee_div_zero 0
		.amdhsa_exception_fp_ieee_overflow 0
		.amdhsa_exception_fp_ieee_underflow 0
		.amdhsa_exception_fp_ieee_inexact 0
		.amdhsa_exception_int_div_zero 0
	.end_amdhsa_kernel
	.section	.text._ZN7rocprim17ROCPRIM_400000_NS6detail17trampoline_kernelINS0_14default_configENS1_36segmented_radix_sort_config_selectorIalEEZNS1_25segmented_radix_sort_implIS3_Lb1EPKaPaPKlPlN2at6native12_GLOBAL__N_18offset_tEEE10hipError_tPvRmT1_PNSt15iterator_traitsISK_E10value_typeET2_T3_PNSL_ISQ_E10value_typeET4_jRbjT5_SW_jjP12ihipStream_tbEUlT_E1_NS1_11comp_targetILNS1_3genE10ELNS1_11target_archE1200ELNS1_3gpuE4ELNS1_3repE0EEENS1_59segmented_radix_sort_warp_sort_small_config_static_selectorELNS0_4arch9wavefront6targetE0EEEvSK_,"axG",@progbits,_ZN7rocprim17ROCPRIM_400000_NS6detail17trampoline_kernelINS0_14default_configENS1_36segmented_radix_sort_config_selectorIalEEZNS1_25segmented_radix_sort_implIS3_Lb1EPKaPaPKlPlN2at6native12_GLOBAL__N_18offset_tEEE10hipError_tPvRmT1_PNSt15iterator_traitsISK_E10value_typeET2_T3_PNSL_ISQ_E10value_typeET4_jRbjT5_SW_jjP12ihipStream_tbEUlT_E1_NS1_11comp_targetILNS1_3genE10ELNS1_11target_archE1200ELNS1_3gpuE4ELNS1_3repE0EEENS1_59segmented_radix_sort_warp_sort_small_config_static_selectorELNS0_4arch9wavefront6targetE0EEEvSK_,comdat
.Lfunc_end316:
	.size	_ZN7rocprim17ROCPRIM_400000_NS6detail17trampoline_kernelINS0_14default_configENS1_36segmented_radix_sort_config_selectorIalEEZNS1_25segmented_radix_sort_implIS3_Lb1EPKaPaPKlPlN2at6native12_GLOBAL__N_18offset_tEEE10hipError_tPvRmT1_PNSt15iterator_traitsISK_E10value_typeET2_T3_PNSL_ISQ_E10value_typeET4_jRbjT5_SW_jjP12ihipStream_tbEUlT_E1_NS1_11comp_targetILNS1_3genE10ELNS1_11target_archE1200ELNS1_3gpuE4ELNS1_3repE0EEENS1_59segmented_radix_sort_warp_sort_small_config_static_selectorELNS0_4arch9wavefront6targetE0EEEvSK_, .Lfunc_end316-_ZN7rocprim17ROCPRIM_400000_NS6detail17trampoline_kernelINS0_14default_configENS1_36segmented_radix_sort_config_selectorIalEEZNS1_25segmented_radix_sort_implIS3_Lb1EPKaPaPKlPlN2at6native12_GLOBAL__N_18offset_tEEE10hipError_tPvRmT1_PNSt15iterator_traitsISK_E10value_typeET2_T3_PNSL_ISQ_E10value_typeET4_jRbjT5_SW_jjP12ihipStream_tbEUlT_E1_NS1_11comp_targetILNS1_3genE10ELNS1_11target_archE1200ELNS1_3gpuE4ELNS1_3repE0EEENS1_59segmented_radix_sort_warp_sort_small_config_static_selectorELNS0_4arch9wavefront6targetE0EEEvSK_
                                        ; -- End function
	.section	.AMDGPU.csdata,"",@progbits
; Kernel info:
; codeLenInByte = 0
; NumSgprs: 0
; NumVgprs: 0
; ScratchSize: 0
; MemoryBound: 0
; FloatMode: 240
; IeeeMode: 1
; LDSByteSize: 0 bytes/workgroup (compile time only)
; SGPRBlocks: 0
; VGPRBlocks: 0
; NumSGPRsForWavesPerEU: 1
; NumVGPRsForWavesPerEU: 1
; Occupancy: 16
; WaveLimiterHint : 0
; COMPUTE_PGM_RSRC2:SCRATCH_EN: 0
; COMPUTE_PGM_RSRC2:USER_SGPR: 15
; COMPUTE_PGM_RSRC2:TRAP_HANDLER: 0
; COMPUTE_PGM_RSRC2:TGID_X_EN: 1
; COMPUTE_PGM_RSRC2:TGID_Y_EN: 0
; COMPUTE_PGM_RSRC2:TGID_Z_EN: 0
; COMPUTE_PGM_RSRC2:TIDIG_COMP_CNT: 0
	.text
	.p2align	2                               ; -- Begin function _ZN7rocprim17ROCPRIM_400000_NS6detail26segmented_warp_sort_helperINS1_20WarpSortHelperConfigILj8ELj4ELj256EEEalLi256ELb1EvE4sortIPKaPaPKlPlEEvT_T0_T1_T2_jjjjRNS5_12storage_typeE
	.type	_ZN7rocprim17ROCPRIM_400000_NS6detail26segmented_warp_sort_helperINS1_20WarpSortHelperConfigILj8ELj4ELj256EEEalLi256ELb1EvE4sortIPKaPaPKlPlEEvT_T0_T1_T2_jjjjRNS5_12storage_typeE,@function
_ZN7rocprim17ROCPRIM_400000_NS6detail26segmented_warp_sort_helperINS1_20WarpSortHelperConfigILj8ELj4ELj256EEEalLi256ELb1EvE4sortIPKaPaPKlPlEEvT_T0_T1_T2_jjjjRNS5_12storage_typeE: ; @_ZN7rocprim17ROCPRIM_400000_NS6detail26segmented_warp_sort_helperINS1_20WarpSortHelperConfigILj8ELj4ELj256EEEalLi256ELb1EvE4sortIPKaPaPKlPlEEvT_T0_T1_T2_jjjjRNS5_12storage_typeE
; %bb.0:
	s_waitcnt vmcnt(0) expcnt(0) lgkmcnt(0)
	v_mbcnt_lo_u32_b32 v14, -1, 0
	v_add_co_u32 v0, vcc_lo, v0, v8
	v_add_co_ci_u32_e32 v1, vcc_lo, 0, v1, vcc_lo
	s_delay_alu instid0(VALU_DEP_3) | instskip(SKIP_2) | instid1(VALU_DEP_3)
	v_lshlrev_b32_e32 v28, 2, v14
	v_sub_nc_u32_e32 v14, v9, v8
	v_dual_mov_b32 v9, 0 :: v_dual_mov_b32 v32, 0x80
	v_dual_mov_b32 v33, 0x80 :: v_dual_and_b32 v26, 28, v28
	v_dual_mov_b32 v29, 0x80 :: v_dual_mov_b32 v30, 0x80
	s_delay_alu instid0(VALU_DEP_2)
	v_add_co_u32 v0, vcc_lo, v0, v26
	v_add_co_ci_u32_e32 v1, vcc_lo, 0, v1, vcc_lo
	v_cmp_lt_u32_e32 vcc_lo, v26, v14
	s_and_saveexec_b32 s0, vcc_lo
	s_cbranch_execz .LBB317_2
; %bb.1:
	flat_load_u8 v29, v[0:1]
	v_dual_mov_b32 v30, 0x80 :: v_dual_mov_b32 v33, 0x80
	v_mov_b32_e32 v32, 0x80
.LBB317_2:
	s_or_b32 exec_lo, exec_lo, s0
	v_or_b32_e32 v15, 1, v26
	s_delay_alu instid0(VALU_DEP_1) | instskip(NEXT) | instid1(VALU_DEP_1)
	v_cmp_lt_u32_e64 s0, v15, v14
	s_and_saveexec_b32 s1, s0
	s_cbranch_execz .LBB317_4
; %bb.3:
	flat_load_u8 v30, v[0:1] offset:1
.LBB317_4:
	s_or_b32 exec_lo, exec_lo, s1
	v_or_b32_e32 v15, 2, v26
	s_delay_alu instid0(VALU_DEP_1) | instskip(NEXT) | instid1(VALU_DEP_1)
	v_cmp_lt_u32_e64 s1, v15, v14
	s_and_saveexec_b32 s2, s1
	s_cbranch_execz .LBB317_6
; %bb.5:
	flat_load_u8 v33, v[0:1] offset:2
.LBB317_6:
	;; [unrolled: 9-line block ×3, first 2 shown]
	s_or_b32 exec_lo, exec_lo, s3
	v_lshlrev_b64 v[0:1], 3, v[8:9]
	v_lshlrev_b32_e32 v27, 3, v26
	; wave barrier
                                        ; implicit-def: $vgpr14_vgpr15
	s_delay_alu instid0(VALU_DEP_2) | instskip(NEXT) | instid1(VALU_DEP_1)
	v_add_co_u32 v4, s3, v4, v0
	v_add_co_ci_u32_e64 v5, s3, v5, v1, s3
	s_delay_alu instid0(VALU_DEP_2) | instskip(NEXT) | instid1(VALU_DEP_1)
	v_add_co_u32 v4, s3, v4, v27
	v_add_co_ci_u32_e64 v5, s3, 0, v5, s3
	s_and_saveexec_b32 s3, vcc_lo
	s_cbranch_execnz .LBB317_107
; %bb.9:
	s_or_b32 exec_lo, exec_lo, s3
	s_and_saveexec_b32 s3, s0
	s_cbranch_execnz .LBB317_108
.LBB317_10:
	s_or_b32 exec_lo, exec_lo, s3
                                        ; implicit-def: $vgpr18_vgpr19
	s_and_saveexec_b32 s3, s1
	s_cbranch_execnz .LBB317_109
.LBB317_11:
	s_or_b32 exec_lo, exec_lo, s3
	s_and_saveexec_b32 s3, s2
	s_cbranch_execz .LBB317_13
.LBB317_12:
	flat_load_b64 v[20:21], v[4:5] offset:24
.LBB317_13:
	s_or_b32 exec_lo, exec_lo, s3
	v_cmp_ne_u32_e64 s3, 0, v10
	v_cmp_ne_u32_e64 s4, 8, v11
	v_bfe_u32 v5, v31, 10, 10
	v_bfe_u32 v9, v31, 20, 10
	v_and_b32_e32 v4, 0x3ff, v31
	s_delay_alu instid0(VALU_DEP_4) | instskip(NEXT) | instid1(SALU_CYCLE_1)
	s_or_b32 s3, s3, s4
	; wave barrier
	s_and_saveexec_b32 s4, s3
	s_delay_alu instid0(SALU_CYCLE_1)
	s_xor_b32 s14, exec_lo, s4
	s_cbranch_execz .LBB317_55
; %bb.14:
	s_load_b64 s[4:5], s[8:9], 0x0
	v_mov_b32_e32 v22, 0
	v_lshlrev_b32_e64 v10, v10, -1
	s_waitcnt lgkmcnt(0)
	s_cmp_lt_u32 s13, s5
	s_cselect_b32 s3, 14, 20
	s_delay_alu instid0(SALU_CYCLE_1)
	s_add_u32 s6, s8, s3
	s_addc_u32 s7, s9, 0
	s_cmp_lt_u32 s12, s4
	global_load_u16 v23, v22, s[6:7]
	s_cselect_b32 s3, 12, 18
	s_mov_b32 s6, exec_lo
	s_add_u32 s4, s8, s3
	s_addc_u32 s5, s9, 0
	global_load_u16 v22, v22, s[4:5]
	s_waitcnt vmcnt(1)
	v_mad_u32_u24 v5, v9, v23, v5
	v_lshlrev_b32_e64 v9, v11, -1
	s_delay_alu instid0(VALU_DEP_1) | instskip(SKIP_1) | instid1(VALU_DEP_3)
	v_xor_b32_e32 v31, v9, v10
	s_waitcnt vmcnt(0)
	v_mul_lo_u32 v5, v5, v22
	s_delay_alu instid0(VALU_DEP_1) | instskip(NEXT) | instid1(VALU_DEP_1)
	v_add_lshl_u32 v11, v5, v4, 2
	v_cmpx_gt_u32_e32 0x400, v11
	s_cbranch_execz .LBB317_24
; %bb.15:
	v_and_b32_e32 v4, 0xff, v33
	v_lshlrev_b16 v5, 8, v32
	v_lshlrev_b16 v9, 8, v29
	v_and_b32_e32 v10, 0xff, v30
	v_and_b32_e32 v22, 0xff, v29
	v_lshlrev_b16 v23, 8, v30
	v_or_b32_e32 v4, v4, v5
	s_mov_b32 s5, exec_lo
	v_or_b32_e32 v5, v10, v9
	v_and_b32_e32 v10, v30, v31
	v_or_b32_e32 v9, v22, v23
	v_and_b32_e32 v22, v29, v31
	v_lshlrev_b32_e32 v4, 16, v4
	v_and_b32_e32 v5, 0xffff, v5
	v_bfe_i32 v10, v10, 0, 8
	v_and_b32_e32 v9, 0xffff, v9
	v_bfe_i32 v22, v22, 0, 8
	s_delay_alu instid0(VALU_DEP_4) | instskip(NEXT) | instid1(VALU_DEP_3)
	v_or_b32_e32 v5, v5, v4
	v_or_b32_e32 v4, v9, v4
	s_delay_alu instid0(VALU_DEP_3) | instskip(NEXT) | instid1(VALU_DEP_1)
	v_cmp_gt_i16_e64 s3, v10, v22
	v_cndmask_b32_e64 v22, v4, v5, s3
	s_delay_alu instid0(VALU_DEP_1) | instskip(SKIP_1) | instid1(VALU_DEP_2)
	v_lshrrev_b32_e32 v10, 24, v22
	v_lshrrev_b32_e32 v23, 16, v22
	v_and_b32_e32 v4, v10, v31
	s_delay_alu instid0(VALU_DEP_2) | instskip(NEXT) | instid1(VALU_DEP_2)
	v_and_b32_e32 v5, v23, v31
	v_bfe_i32 v24, v4, 0, 8
	s_delay_alu instid0(VALU_DEP_2) | instskip(SKIP_1) | instid1(VALU_DEP_2)
	v_bfe_i32 v9, v5, 0, 8
	v_dual_mov_b32 v4, v18 :: v_dual_mov_b32 v5, v19
	v_cmpx_gt_i16_e64 v24, v9
; %bb.16:
	v_perm_b32 v22, v22, v22, 0x6070504
	v_dual_mov_b32 v4, v20 :: v_dual_mov_b32 v5, v21
	v_dual_mov_b32 v21, v19 :: v_dual_mov_b32 v20, v18
	v_mov_b32_e32 v9, v24
	v_mov_b32_e32 v23, v10
; %bb.17:
	s_or_b32 exec_lo, exec_lo, s5
	v_lshrrev_b32_e32 v25, 8, v22
	v_cndmask_b32_e64 v19, v17, v15, s3
	v_cndmask_b32_e64 v18, v16, v14, s3
	s_delay_alu instid0(VALU_DEP_3) | instskip(NEXT) | instid1(VALU_DEP_1)
	v_and_b32_e32 v10, v25, v31
	v_bfe_i32 v24, v10, 0, 8
	s_delay_alu instid0(VALU_DEP_1) | instskip(NEXT) | instid1(VALU_DEP_4)
	v_cmp_gt_i16_e64 s4, v9, v24
	v_dual_mov_b32 v9, v18 :: v_dual_mov_b32 v10, v19
	s_delay_alu instid0(VALU_DEP_2) | instskip(NEXT) | instid1(SALU_CYCLE_1)
	s_and_saveexec_b32 s5, s4
	s_xor_b32 s4, exec_lo, s5
; %bb.18:
	v_mov_b32_e32 v10, v5
	v_dual_mov_b32 v9, v4 :: v_dual_and_b32 v24, v23, v31
	v_dual_mov_b32 v4, v18 :: v_dual_mov_b32 v25, v23
	v_perm_b32 v22, v22, v23, 0x7050004
	v_mov_b32_e32 v5, v19
; %bb.19:
	s_or_b32 exec_lo, exec_lo, s4
	s_delay_alu instid0(VALU_DEP_2) | instskip(SKIP_3) | instid1(VALU_DEP_3)
	v_and_b32_e32 v18, v22, v31
	v_bfe_i32 v19, v24, 0, 8
	v_perm_b32 v23, v25, v22, 0x3020004
	s_mov_b32 s7, exec_lo
	v_bfe_i32 v18, v18, 0, 8
	s_delay_alu instid0(VALU_DEP_1) | instskip(NEXT) | instid1(VALU_DEP_1)
	v_cmp_gt_i16_e64 s4, v19, v18
	v_cndmask_b32_e64 v29, v22, v23, s4
	s_delay_alu instid0(VALU_DEP_1) | instskip(SKIP_2) | instid1(VALU_DEP_3)
	v_lshrrev_b32_e32 v19, 24, v29
	v_lshrrev_b32_e32 v33, 16, v29
	v_lshrrev_b32_e32 v30, 8, v29
	v_and_b32_e32 v18, v19, v31
	s_delay_alu instid0(VALU_DEP_3) | instskip(SKIP_1) | instid1(VALU_DEP_3)
	v_and_b32_e32 v22, v33, v31
	v_mov_b32_e32 v32, v19
	v_bfe_i32 v24, v18, 0, 8
	s_delay_alu instid0(VALU_DEP_3) | instskip(SKIP_1) | instid1(VALU_DEP_2)
	v_bfe_i32 v18, v22, 0, 8
	v_dual_mov_b32 v23, v5 :: v_dual_mov_b32 v22, v4
	v_cmpx_gt_i16_e64 v24, v18
; %bb.20:
	v_dual_mov_b32 v32, v33 :: v_dual_mov_b32 v33, v19
	v_dual_mov_b32 v23, v21 :: v_dual_mov_b32 v22, v20
	;; [unrolled: 1-line block ×3, first 2 shown]
	v_mov_b32_e32 v18, v24
; %bb.21:
	s_or_b32 exec_lo, exec_lo, s7
	v_and_b32_e32 v4, v30, v31
	v_cndmask_b32_e64 v5, v15, v17, s3
	v_cndmask_b32_e64 v16, v14, v16, s3
	s_delay_alu instid0(VALU_DEP_3) | instskip(NEXT) | instid1(VALU_DEP_3)
	v_bfe_i32 v4, v4, 0, 8
	v_cndmask_b32_e64 v15, v5, v10, s4
	s_delay_alu instid0(VALU_DEP_3) | instskip(SKIP_4) | instid1(VALU_DEP_2)
	v_cndmask_b32_e64 v14, v16, v9, s4
	v_cndmask_b32_e64 v17, v10, v5, s4
	;; [unrolled: 1-line block ×3, first 2 shown]
	v_cmp_gt_i16_e64 s3, v18, v4
	v_dual_mov_b32 v18, v22 :: v_dual_mov_b32 v19, v23
	s_and_saveexec_b32 s4, s3
; %bb.22:
	v_dual_mov_b32 v4, v30 :: v_dual_mov_b32 v19, v17
	v_swap_b32 v30, v33
	v_mov_b32_e32 v18, v16
	v_dual_mov_b32 v16, v22 :: v_dual_mov_b32 v17, v23
; %bb.23:
	s_or_b32 exec_lo, exec_lo, s4
.LBB317_24:
	s_delay_alu instid0(SALU_CYCLE_1)
	s_or_b32 exec_lo, exec_lo, s6
	v_and_b32_e32 v11, 0xffffff80, v11
	v_and_b32_e32 v22, 0xff, v29
	v_lshlrev_b16 v23, 8, v30
	v_and_b32_e32 v24, 0xff, v33
	v_lshlrev_b16 v25, 8, v32
	v_add_co_u32 v9, s3, v12, v11
	s_delay_alu instid0(VALU_DEP_1) | instskip(SKIP_3) | instid1(VALU_DEP_4)
	v_add_co_ci_u32_e64 v10, s3, 0, v13, s3
	v_or_b32_e32 v12, 4, v28
	v_sub_nc_u32_e64 v13, 0x400, v11 clamp
	v_lshlrev_b32_e32 v38, 3, v28
	v_mad_u64_u32 v[4:5], null, v11, 7, v[9:10]
	v_or_b32_e32 v22, v22, v23
	s_delay_alu instid0(VALU_DEP_4)
	v_min_u32_e32 v34, v13, v12
	v_or_b32_e32 v23, v24, v25
	v_and_b32_e32 v24, 4, v28
	v_and_b32_e32 v36, 0x78, v28
	v_add_co_u32 v11, s3, v9, v28
	v_add_nc_u32_e32 v35, 4, v34
	v_add_co_ci_u32_e64 v12, s3, 0, v10, s3
	v_and_b32_e32 v25, 0xffff, v22
	v_lshlrev_b32_e32 v39, 16, v23
	s_delay_alu instid0(VALU_DEP_4) | instskip(SKIP_3) | instid1(VALU_DEP_4)
	v_min_u32_e32 v35, v13, v35
	v_min_u32_e32 v37, v13, v24
	v_sub_nc_u32_e32 v24, v34, v36
	v_add_co_u32 v22, s3, v4, v38
	v_sub_nc_u32_e32 v48, v35, v34
	v_add_co_ci_u32_e64 v23, s3, 0, v5, s3
	v_or_b32_e32 v49, v25, v39
	v_min_u32_e32 v39, v37, v24
	v_add_co_u32 v24, s3, 0x400, v22
	v_sub_nc_u32_e64 v38, v37, v48 clamp
	v_add_co_ci_u32_e64 v25, s3, 0, v23, s3
	s_mov_b32 s4, exec_lo
	s_clause 0x2
	flat_store_b128 v[22:23], v[14:17] offset:1024
	flat_store_b32 v[11:12], v49
	flat_store_b128 v[22:23], v[18:21] offset:1040
	; wave barrier
	v_cmpx_lt_u32_e64 v38, v39
	s_cbranch_execz .LBB317_28
; %bb.25:
	v_add_co_u32 v48, s3, v9, v36
	s_delay_alu instid0(VALU_DEP_1) | instskip(SKIP_1) | instid1(VALU_DEP_1)
	v_add_co_ci_u32_e64 v49, s3, 0, v10, s3
	v_add_co_u32 v50, s3, v9, v34
	v_add_co_ci_u32_e64 v51, s3, 0, v10, s3
	s_mov_b32 s5, 0
	s_set_inst_prefetch_distance 0x1
	.p2align	6
.LBB317_26:                             ; =>This Inner Loop Header: Depth=1
	v_add_nc_u32_e32 v52, v39, v38
	s_delay_alu instid0(VALU_DEP_1) | instskip(NEXT) | instid1(VALU_DEP_1)
	v_lshrrev_b32_e32 v64, 1, v52
	v_xad_u32 v54, v64, -1, v37
	v_add_co_u32 v52, s3, v48, v64
	s_delay_alu instid0(VALU_DEP_1) | instskip(NEXT) | instid1(VALU_DEP_3)
	v_add_co_ci_u32_e64 v53, s3, 0, v49, s3
	v_add_co_u32 v54, s3, v50, v54
	s_delay_alu instid0(VALU_DEP_1)
	v_add_co_ci_u32_e64 v55, s3, 0, v51, s3
	s_clause 0x1
	flat_load_u8 v52, v[52:53]
	flat_load_u8 v53, v[54:55]
	v_add_nc_u32_e32 v54, 1, v64
	s_waitcnt vmcnt(1) lgkmcnt(1)
	v_and_b32_e32 v52, v52, v31
	s_waitcnt vmcnt(0) lgkmcnt(0)
	v_and_b32_e32 v53, v53, v31
	s_delay_alu instid0(VALU_DEP_2) | instskip(NEXT) | instid1(VALU_DEP_2)
	v_bfe_i32 v52, v52, 0, 8
	v_bfe_i32 v53, v53, 0, 8
	s_delay_alu instid0(VALU_DEP_1) | instskip(NEXT) | instid1(VALU_DEP_1)
	v_cmp_gt_i16_e64 s3, v53, v52
	v_cndmask_b32_e64 v39, v39, v64, s3
	v_cndmask_b32_e64 v38, v54, v38, s3
	s_delay_alu instid0(VALU_DEP_1) | instskip(NEXT) | instid1(VALU_DEP_1)
	v_cmp_ge_u32_e64 s3, v38, v39
	s_or_b32 s5, s3, s5
	s_delay_alu instid0(SALU_CYCLE_1)
	s_and_not1_b32 exec_lo, exec_lo, s5
	s_cbranch_execnz .LBB317_26
; %bb.27:
	s_set_inst_prefetch_distance 0x2
	s_or_b32 exec_lo, exec_lo, s5
.LBB317_28:
	s_delay_alu instid0(SALU_CYCLE_1) | instskip(SKIP_2) | instid1(VALU_DEP_2)
	s_or_b32 exec_lo, exec_lo, s4
	v_add_nc_u32_e32 v39, v34, v37
	v_add_nc_u32_e32 v37, v38, v36
	v_sub_nc_u32_e32 v36, v39, v38
	s_delay_alu instid0(VALU_DEP_2) | instskip(NEXT) | instid1(VALU_DEP_2)
	v_cmp_le_u32_e64 s3, v37, v34
	v_cmp_le_u32_e64 s4, v36, v35
	s_delay_alu instid0(VALU_DEP_1) | instskip(NEXT) | instid1(SALU_CYCLE_1)
	s_or_b32 s3, s3, s4
	s_and_saveexec_b32 s15, s3
	s_cbranch_execz .LBB317_34
; %bb.29:
	v_cmp_lt_u32_e64 s3, v37, v34
                                        ; implicit-def: $vgpr29
	s_delay_alu instid0(VALU_DEP_1)
	s_and_saveexec_b32 s5, s3
	s_cbranch_execz .LBB317_31
; %bb.30:
	v_add_co_u32 v14, s4, v9, v37
	s_delay_alu instid0(VALU_DEP_1)
	v_add_co_ci_u32_e64 v15, s4, 0, v10, s4
	flat_load_u8 v29, v[14:15]
.LBB317_31:
	s_or_b32 exec_lo, exec_lo, s5
	v_cmp_ge_u32_e64 s4, v36, v35
	s_mov_b32 s6, exec_lo
                                        ; implicit-def: $vgpr30
	v_cmpx_lt_u32_e64 v36, v35
	s_cbranch_execz .LBB317_33
; %bb.32:
	v_add_co_u32 v14, s5, v9, v36
	s_delay_alu instid0(VALU_DEP_1)
	v_add_co_ci_u32_e64 v15, s5, 0, v10, s5
	flat_load_u8 v30, v[14:15]
.LBB317_33:
	s_or_b32 exec_lo, exec_lo, s6
	s_waitcnt vmcnt(0) lgkmcnt(0)
	v_and_b32_e32 v14, v30, v31
	v_and_b32_e32 v15, v29, v31
	s_delay_alu instid0(VALU_DEP_2) | instskip(NEXT) | instid1(VALU_DEP_2)
	v_bfe_i32 v14, v14, 0, 8
	v_bfe_i32 v15, v15, 0, 8
	s_delay_alu instid0(VALU_DEP_1) | instskip(NEXT) | instid1(VALU_DEP_1)
	v_cmp_le_i16_e64 s5, v14, v15
	s_and_b32 s3, s3, s5
	s_delay_alu instid0(SALU_CYCLE_1) | instskip(NEXT) | instid1(SALU_CYCLE_1)
	s_or_b32 s3, s4, s3
	v_cndmask_b32_e64 v14, v36, v37, s3
	v_cndmask_b32_e64 v15, v35, v34, s3
	s_delay_alu instid0(VALU_DEP_2) | instskip(NEXT) | instid1(VALU_DEP_2)
	v_add_nc_u32_e32 v17, 1, v14
	v_add_nc_u32_e32 v15, -1, v15
	s_delay_alu instid0(VALU_DEP_2) | instskip(NEXT) | instid1(VALU_DEP_2)
	v_cndmask_b32_e64 v20, v37, v17, s3
	v_min_u32_e32 v15, v17, v15
	v_cndmask_b32_e64 v21, v17, v36, s3
	s_delay_alu instid0(VALU_DEP_2) | instskip(NEXT) | instid1(VALU_DEP_1)
	v_add_co_u32 v15, s4, v9, v15
	v_add_co_ci_u32_e64 v16, s4, 0, v10, s4
	v_cmp_lt_u32_e64 s4, v20, v34
	s_delay_alu instid0(VALU_DEP_4)
	v_cmp_ge_u32_e64 s6, v21, v35
	flat_load_u8 v15, v[15:16]
	s_waitcnt vmcnt(0) lgkmcnt(0)
	v_cndmask_b32_e64 v38, v15, v30, s3
	v_cndmask_b32_e64 v39, v29, v15, s3
	;; [unrolled: 1-line block ×3, first 2 shown]
	s_delay_alu instid0(VALU_DEP_3) | instskip(NEXT) | instid1(VALU_DEP_3)
	v_and_b32_e32 v15, v38, v31
	v_and_b32_e32 v16, v39, v31
	s_delay_alu instid0(VALU_DEP_2) | instskip(NEXT) | instid1(VALU_DEP_2)
	v_bfe_i32 v15, v15, 0, 8
	v_bfe_i32 v16, v16, 0, 8
	s_delay_alu instid0(VALU_DEP_1) | instskip(SKIP_1) | instid1(VALU_DEP_2)
	v_cmp_le_i16_e64 s5, v15, v16
	v_mov_b32_e32 v15, 0
	s_and_b32 s4, s4, s5
	s_delay_alu instid0(VALU_DEP_1) | instskip(SKIP_1) | instid1(SALU_CYCLE_1)
	v_lshlrev_b64 v[16:17], 3, v[14:15]
	s_or_b32 s4, s6, s4
	v_cndmask_b32_e64 v14, v21, v20, s4
	v_cndmask_b32_e64 v18, v35, v34, s4
	;; [unrolled: 1-line block ×3, first 2 shown]
	s_delay_alu instid0(VALU_DEP_4) | instskip(NEXT) | instid1(VALU_DEP_4)
	v_add_co_u32 v16, s11, v4, v16
	v_add_nc_u32_e32 v32, 1, v14
	s_delay_alu instid0(VALU_DEP_4) | instskip(SKIP_1) | instid1(VALU_DEP_3)
	v_add_nc_u32_e32 v18, -1, v18
	v_add_co_ci_u32_e64 v17, s11, v5, v17, s11
	v_cndmask_b32_e64 v33, v20, v32, s4
	s_delay_alu instid0(VALU_DEP_3) | instskip(SKIP_1) | instid1(VALU_DEP_2)
	v_min_u32_e32 v18, v32, v18
	v_cndmask_b32_e64 v32, v32, v21, s4
	v_add_co_u32 v18, s5, v9, v18
	s_delay_alu instid0(VALU_DEP_1) | instskip(SKIP_1) | instid1(VALU_DEP_4)
	v_add_co_ci_u32_e64 v19, s5, 0, v10, s5
	v_cmp_lt_u32_e64 s5, v33, v34
	v_cmp_ge_u32_e64 s7, v32, v35
	flat_load_u8 v18, v[18:19]
	s_waitcnt vmcnt(0) lgkmcnt(0)
	v_cndmask_b32_e64 v36, v18, v38, s4
	v_cndmask_b32_e64 v37, v39, v18, s4
	s_delay_alu instid0(VALU_DEP_2) | instskip(NEXT) | instid1(VALU_DEP_2)
	v_and_b32_e32 v18, v36, v31
	v_and_b32_e32 v19, v37, v31
	s_delay_alu instid0(VALU_DEP_2) | instskip(NEXT) | instid1(VALU_DEP_2)
	v_bfe_i32 v18, v18, 0, 8
	v_bfe_i32 v19, v19, 0, 8
	s_delay_alu instid0(VALU_DEP_1) | instskip(SKIP_1) | instid1(VALU_DEP_2)
	v_cmp_le_i16_e64 s6, v18, v19
	v_lshlrev_b64 v[18:19], 3, v[14:15]
	s_and_b32 s5, s5, s6
	s_delay_alu instid0(SALU_CYCLE_1) | instskip(NEXT) | instid1(SALU_CYCLE_1)
	s_or_b32 s5, s7, s5
	v_cndmask_b32_e64 v14, v32, v33, s5
	v_cndmask_b32_e64 v20, v35, v34, s5
	s_delay_alu instid0(VALU_DEP_2) | instskip(NEXT) | instid1(VALU_DEP_2)
	v_add_nc_u32_e32 v48, 1, v14
	v_add_nc_u32_e32 v20, -1, v20
	s_delay_alu instid0(VALU_DEP_2) | instskip(NEXT) | instid1(VALU_DEP_2)
	v_cndmask_b32_e64 v33, v33, v48, s5
	v_min_u32_e32 v20, v48, v20
	v_cndmask_b32_e64 v32, v48, v32, s5
	s_delay_alu instid0(VALU_DEP_3) | instskip(NEXT) | instid1(VALU_DEP_3)
	v_cmp_lt_u32_e64 s7, v33, v34
	v_add_co_u32 v20, s6, v9, v20
	s_delay_alu instid0(VALU_DEP_1) | instskip(NEXT) | instid1(VALU_DEP_4)
	v_add_co_ci_u32_e64 v21, s6, 0, v10, s6
	v_cmp_ge_u32_e64 s6, v32, v35
	flat_load_u8 v20, v[20:21]
	s_waitcnt vmcnt(0) lgkmcnt(0)
	v_cndmask_b32_e64 v49, v20, v36, s5
	v_cndmask_b32_e64 v50, v37, v20, s5
	s_delay_alu instid0(VALU_DEP_2) | instskip(NEXT) | instid1(VALU_DEP_2)
	v_and_b32_e32 v20, v49, v31
	v_and_b32_e32 v21, v50, v31
	s_delay_alu instid0(VALU_DEP_2) | instskip(NEXT) | instid1(VALU_DEP_2)
	v_bfe_i32 v20, v20, 0, 8
	v_bfe_i32 v21, v21, 0, 8
	s_delay_alu instid0(VALU_DEP_1) | instskip(SKIP_1) | instid1(VALU_DEP_2)
	v_cmp_le_i16_e64 s10, v20, v21
	v_lshlrev_b64 v[20:21], 3, v[14:15]
	s_and_b32 s7, s7, s10
	s_delay_alu instid0(SALU_CYCLE_1) | instskip(SKIP_4) | instid1(VALU_DEP_3)
	s_or_b32 s6, s6, s7
	v_add_co_u32 v18, s7, v4, v18
	v_cndmask_b32_e64 v14, v32, v33, s6
	v_add_co_ci_u32_e64 v19, s7, v5, v19, s7
	v_add_co_u32 v20, s7, v4, v20
	v_lshlrev_b64 v[14:15], 3, v[14:15]
	v_add_co_ci_u32_e64 v21, s7, v5, v21, s7
	s_delay_alu instid0(VALU_DEP_2) | instskip(NEXT) | instid1(VALU_DEP_1)
	v_add_co_u32 v32, s7, v4, v14
	v_add_co_ci_u32_e64 v33, s7, v5, v15, s7
	s_clause 0x3
	flat_load_b64 v[14:15], v[16:17] offset:1024
	flat_load_b64 v[16:17], v[18:19] offset:1024
	;; [unrolled: 1-line block ×4, first 2 shown]
	v_cndmask_b32_e64 v33, v36, v37, s5
	v_cndmask_b32_e64 v32, v49, v50, s6
.LBB317_34:
	s_or_b32 exec_lo, exec_lo, s15
	v_and_b32_e32 v36, 0x70, v28
	v_lshlrev_b16 v37, 8, v30
	v_and_b32_e32 v38, 0xff, v29
	v_lshlrev_b16 v39, 8, v32
	v_and_b32_e32 v48, 0xff, v33
	v_or_b32_e32 v34, 8, v36
	v_and_b32_e32 v49, 12, v28
	v_or_b32_e32 v38, v38, v37
	s_mov_b32 s4, exec_lo
	v_or_b32_e32 v39, v48, v39
	v_min_u32_e32 v34, v13, v34
	v_min_u32_e32 v37, v13, v49
	v_and_b32_e32 v50, 0xffff, v38
	s_delay_alu instid0(VALU_DEP_4) | instskip(NEXT) | instid1(VALU_DEP_4)
	v_lshlrev_b32_e32 v51, 16, v39
	v_add_nc_u32_e32 v35, 8, v34
	v_sub_nc_u32_e32 v48, v34, v36
	; wave barrier
	s_delay_alu instid0(VALU_DEP_2) | instskip(NEXT) | instid1(VALU_DEP_2)
	v_min_u32_e32 v35, v13, v35
	v_min_u32_e32 v39, v37, v48
	v_or_b32_e32 v48, v50, v51
	s_waitcnt vmcnt(2) lgkmcnt(2)
	s_clause 0x1
	flat_store_b128 v[22:23], v[14:17] offset:1024
	flat_store_b32 v[11:12], v48
	s_waitcnt vmcnt(0) lgkmcnt(2)
	flat_store_b128 v[24:25], v[18:21] offset:16
	v_sub_nc_u32_e32 v49, v35, v34
	; wave barrier
	s_delay_alu instid0(VALU_DEP_1) | instskip(NEXT) | instid1(VALU_DEP_1)
	v_sub_nc_u32_e64 v38, v37, v49 clamp
	v_cmpx_lt_u32_e64 v38, v39
	s_cbranch_execz .LBB317_38
; %bb.35:
	v_add_co_u32 v48, s3, v9, v36
	s_delay_alu instid0(VALU_DEP_1) | instskip(SKIP_1) | instid1(VALU_DEP_1)
	v_add_co_ci_u32_e64 v49, s3, 0, v10, s3
	v_add_co_u32 v50, s3, v9, v34
	v_add_co_ci_u32_e64 v51, s3, 0, v10, s3
	s_mov_b32 s5, 0
	s_set_inst_prefetch_distance 0x1
	.p2align	6
.LBB317_36:                             ; =>This Inner Loop Header: Depth=1
	v_add_nc_u32_e32 v52, v39, v38
	s_delay_alu instid0(VALU_DEP_1) | instskip(NEXT) | instid1(VALU_DEP_1)
	v_lshrrev_b32_e32 v64, 1, v52
	v_xad_u32 v54, v64, -1, v37
	v_add_co_u32 v52, s3, v48, v64
	s_delay_alu instid0(VALU_DEP_1) | instskip(NEXT) | instid1(VALU_DEP_3)
	v_add_co_ci_u32_e64 v53, s3, 0, v49, s3
	v_add_co_u32 v54, s3, v50, v54
	s_delay_alu instid0(VALU_DEP_1)
	v_add_co_ci_u32_e64 v55, s3, 0, v51, s3
	s_clause 0x1
	flat_load_u8 v52, v[52:53]
	flat_load_u8 v53, v[54:55]
	v_add_nc_u32_e32 v54, 1, v64
	s_waitcnt vmcnt(1) lgkmcnt(1)
	v_and_b32_e32 v52, v52, v31
	s_waitcnt vmcnt(0) lgkmcnt(0)
	v_and_b32_e32 v53, v53, v31
	s_delay_alu instid0(VALU_DEP_2) | instskip(NEXT) | instid1(VALU_DEP_2)
	v_bfe_i32 v52, v52, 0, 8
	v_bfe_i32 v53, v53, 0, 8
	s_delay_alu instid0(VALU_DEP_1) | instskip(NEXT) | instid1(VALU_DEP_1)
	v_cmp_gt_i16_e64 s3, v53, v52
	v_cndmask_b32_e64 v39, v39, v64, s3
	v_cndmask_b32_e64 v38, v54, v38, s3
	s_delay_alu instid0(VALU_DEP_1) | instskip(NEXT) | instid1(VALU_DEP_1)
	v_cmp_ge_u32_e64 s3, v38, v39
	s_or_b32 s5, s3, s5
	s_delay_alu instid0(SALU_CYCLE_1)
	s_and_not1_b32 exec_lo, exec_lo, s5
	s_cbranch_execnz .LBB317_36
; %bb.37:
	s_set_inst_prefetch_distance 0x2
	s_or_b32 exec_lo, exec_lo, s5
.LBB317_38:
	s_delay_alu instid0(SALU_CYCLE_1) | instskip(SKIP_2) | instid1(VALU_DEP_2)
	s_or_b32 exec_lo, exec_lo, s4
	v_add_nc_u32_e32 v39, v34, v37
	v_add_nc_u32_e32 v37, v38, v36
	v_sub_nc_u32_e32 v36, v39, v38
	s_delay_alu instid0(VALU_DEP_2) | instskip(NEXT) | instid1(VALU_DEP_2)
	v_cmp_le_u32_e64 s3, v37, v34
	v_cmp_le_u32_e64 s4, v36, v35
	s_delay_alu instid0(VALU_DEP_1) | instskip(NEXT) | instid1(SALU_CYCLE_1)
	s_or_b32 s3, s3, s4
	s_and_saveexec_b32 s15, s3
	s_cbranch_execz .LBB317_44
; %bb.39:
	v_cmp_lt_u32_e64 s3, v37, v34
                                        ; implicit-def: $vgpr29
	s_delay_alu instid0(VALU_DEP_1)
	s_and_saveexec_b32 s5, s3
	s_cbranch_execz .LBB317_41
; %bb.40:
	v_add_co_u32 v14, s4, v9, v37
	s_delay_alu instid0(VALU_DEP_1)
	v_add_co_ci_u32_e64 v15, s4, 0, v10, s4
	flat_load_u8 v29, v[14:15]
.LBB317_41:
	s_or_b32 exec_lo, exec_lo, s5
	v_cmp_ge_u32_e64 s4, v36, v35
	s_mov_b32 s6, exec_lo
                                        ; implicit-def: $vgpr30
	v_cmpx_lt_u32_e64 v36, v35
	s_cbranch_execz .LBB317_43
; %bb.42:
	v_add_co_u32 v14, s5, v9, v36
	s_delay_alu instid0(VALU_DEP_1)
	v_add_co_ci_u32_e64 v15, s5, 0, v10, s5
	flat_load_u8 v30, v[14:15]
.LBB317_43:
	s_or_b32 exec_lo, exec_lo, s6
	s_waitcnt vmcnt(0) lgkmcnt(0)
	v_and_b32_e32 v14, v30, v31
	v_and_b32_e32 v15, v29, v31
	s_delay_alu instid0(VALU_DEP_2) | instskip(NEXT) | instid1(VALU_DEP_2)
	v_bfe_i32 v14, v14, 0, 8
	v_bfe_i32 v15, v15, 0, 8
	s_delay_alu instid0(VALU_DEP_1) | instskip(NEXT) | instid1(VALU_DEP_1)
	v_cmp_le_i16_e64 s5, v14, v15
	s_and_b32 s3, s3, s5
	s_delay_alu instid0(SALU_CYCLE_1) | instskip(NEXT) | instid1(SALU_CYCLE_1)
	s_or_b32 s3, s4, s3
	v_cndmask_b32_e64 v14, v36, v37, s3
	v_cndmask_b32_e64 v15, v35, v34, s3
	s_delay_alu instid0(VALU_DEP_2) | instskip(NEXT) | instid1(VALU_DEP_2)
	v_add_nc_u32_e32 v17, 1, v14
	v_add_nc_u32_e32 v15, -1, v15
	s_delay_alu instid0(VALU_DEP_2) | instskip(NEXT) | instid1(VALU_DEP_2)
	v_cndmask_b32_e64 v20, v37, v17, s3
	v_min_u32_e32 v15, v17, v15
	v_cndmask_b32_e64 v21, v17, v36, s3
	s_delay_alu instid0(VALU_DEP_2) | instskip(NEXT) | instid1(VALU_DEP_1)
	v_add_co_u32 v15, s4, v9, v15
	v_add_co_ci_u32_e64 v16, s4, 0, v10, s4
	v_cmp_lt_u32_e64 s4, v20, v34
	s_delay_alu instid0(VALU_DEP_4)
	v_cmp_ge_u32_e64 s6, v21, v35
	flat_load_u8 v15, v[15:16]
	s_waitcnt vmcnt(0) lgkmcnt(0)
	v_cndmask_b32_e64 v38, v15, v30, s3
	v_cndmask_b32_e64 v39, v29, v15, s3
	;; [unrolled: 1-line block ×3, first 2 shown]
	s_delay_alu instid0(VALU_DEP_3) | instskip(NEXT) | instid1(VALU_DEP_3)
	v_and_b32_e32 v15, v38, v31
	v_and_b32_e32 v16, v39, v31
	s_delay_alu instid0(VALU_DEP_2) | instskip(NEXT) | instid1(VALU_DEP_2)
	v_bfe_i32 v15, v15, 0, 8
	v_bfe_i32 v16, v16, 0, 8
	s_delay_alu instid0(VALU_DEP_1) | instskip(SKIP_1) | instid1(VALU_DEP_2)
	v_cmp_le_i16_e64 s5, v15, v16
	v_mov_b32_e32 v15, 0
	s_and_b32 s4, s4, s5
	s_delay_alu instid0(VALU_DEP_1) | instskip(SKIP_1) | instid1(SALU_CYCLE_1)
	v_lshlrev_b64 v[16:17], 3, v[14:15]
	s_or_b32 s4, s6, s4
	v_cndmask_b32_e64 v14, v21, v20, s4
	v_cndmask_b32_e64 v18, v35, v34, s4
	;; [unrolled: 1-line block ×3, first 2 shown]
	s_delay_alu instid0(VALU_DEP_4) | instskip(NEXT) | instid1(VALU_DEP_4)
	v_add_co_u32 v16, s11, v4, v16
	v_add_nc_u32_e32 v32, 1, v14
	s_delay_alu instid0(VALU_DEP_4) | instskip(SKIP_1) | instid1(VALU_DEP_3)
	v_add_nc_u32_e32 v18, -1, v18
	v_add_co_ci_u32_e64 v17, s11, v5, v17, s11
	v_cndmask_b32_e64 v33, v20, v32, s4
	s_delay_alu instid0(VALU_DEP_3) | instskip(SKIP_1) | instid1(VALU_DEP_2)
	v_min_u32_e32 v18, v32, v18
	v_cndmask_b32_e64 v32, v32, v21, s4
	v_add_co_u32 v18, s5, v9, v18
	s_delay_alu instid0(VALU_DEP_1) | instskip(SKIP_1) | instid1(VALU_DEP_4)
	v_add_co_ci_u32_e64 v19, s5, 0, v10, s5
	v_cmp_lt_u32_e64 s5, v33, v34
	v_cmp_ge_u32_e64 s7, v32, v35
	flat_load_u8 v18, v[18:19]
	s_waitcnt vmcnt(0) lgkmcnt(0)
	v_cndmask_b32_e64 v36, v18, v38, s4
	v_cndmask_b32_e64 v37, v39, v18, s4
	s_delay_alu instid0(VALU_DEP_2) | instskip(NEXT) | instid1(VALU_DEP_2)
	v_and_b32_e32 v18, v36, v31
	v_and_b32_e32 v19, v37, v31
	s_delay_alu instid0(VALU_DEP_2) | instskip(NEXT) | instid1(VALU_DEP_2)
	v_bfe_i32 v18, v18, 0, 8
	v_bfe_i32 v19, v19, 0, 8
	s_delay_alu instid0(VALU_DEP_1) | instskip(SKIP_1) | instid1(VALU_DEP_2)
	v_cmp_le_i16_e64 s6, v18, v19
	v_lshlrev_b64 v[18:19], 3, v[14:15]
	s_and_b32 s5, s5, s6
	s_delay_alu instid0(SALU_CYCLE_1) | instskip(NEXT) | instid1(SALU_CYCLE_1)
	s_or_b32 s5, s7, s5
	v_cndmask_b32_e64 v14, v32, v33, s5
	v_cndmask_b32_e64 v20, v35, v34, s5
	s_delay_alu instid0(VALU_DEP_2) | instskip(NEXT) | instid1(VALU_DEP_2)
	v_add_nc_u32_e32 v48, 1, v14
	v_add_nc_u32_e32 v20, -1, v20
	s_delay_alu instid0(VALU_DEP_2) | instskip(NEXT) | instid1(VALU_DEP_2)
	v_cndmask_b32_e64 v33, v33, v48, s5
	v_min_u32_e32 v20, v48, v20
	v_cndmask_b32_e64 v32, v48, v32, s5
	s_delay_alu instid0(VALU_DEP_3) | instskip(NEXT) | instid1(VALU_DEP_3)
	v_cmp_lt_u32_e64 s7, v33, v34
	v_add_co_u32 v20, s6, v9, v20
	s_delay_alu instid0(VALU_DEP_1) | instskip(NEXT) | instid1(VALU_DEP_4)
	v_add_co_ci_u32_e64 v21, s6, 0, v10, s6
	v_cmp_ge_u32_e64 s6, v32, v35
	flat_load_u8 v20, v[20:21]
	s_waitcnt vmcnt(0) lgkmcnt(0)
	v_cndmask_b32_e64 v49, v20, v36, s5
	v_cndmask_b32_e64 v50, v37, v20, s5
	s_delay_alu instid0(VALU_DEP_2) | instskip(NEXT) | instid1(VALU_DEP_2)
	v_and_b32_e32 v20, v49, v31
	v_and_b32_e32 v21, v50, v31
	s_delay_alu instid0(VALU_DEP_2) | instskip(NEXT) | instid1(VALU_DEP_2)
	v_bfe_i32 v20, v20, 0, 8
	v_bfe_i32 v21, v21, 0, 8
	s_delay_alu instid0(VALU_DEP_1) | instskip(SKIP_1) | instid1(VALU_DEP_2)
	v_cmp_le_i16_e64 s10, v20, v21
	v_lshlrev_b64 v[20:21], 3, v[14:15]
	s_and_b32 s7, s7, s10
	s_delay_alu instid0(SALU_CYCLE_1) | instskip(SKIP_4) | instid1(VALU_DEP_3)
	s_or_b32 s6, s6, s7
	v_add_co_u32 v18, s7, v4, v18
	v_cndmask_b32_e64 v14, v32, v33, s6
	v_add_co_ci_u32_e64 v19, s7, v5, v19, s7
	v_add_co_u32 v20, s7, v4, v20
	v_lshlrev_b64 v[14:15], 3, v[14:15]
	v_add_co_ci_u32_e64 v21, s7, v5, v21, s7
	s_delay_alu instid0(VALU_DEP_2) | instskip(NEXT) | instid1(VALU_DEP_1)
	v_add_co_u32 v32, s7, v4, v14
	v_add_co_ci_u32_e64 v33, s7, v5, v15, s7
	s_clause 0x3
	flat_load_b64 v[14:15], v[16:17] offset:1024
	flat_load_b64 v[16:17], v[18:19] offset:1024
	;; [unrolled: 1-line block ×4, first 2 shown]
	v_cndmask_b32_e64 v33, v36, v37, s5
	v_cndmask_b32_e64 v32, v49, v50, s6
.LBB317_44:
	s_or_b32 exec_lo, exec_lo, s15
	v_and_b32_e32 v35, 0x60, v28
	v_lshlrev_b16 v36, 8, v30
	v_and_b32_e32 v37, 0xff, v29
	v_lshlrev_b16 v38, 8, v32
	v_and_b32_e32 v39, 0xff, v33
	v_or_b32_e32 v28, 16, v35
	s_mov_b32 s4, exec_lo
	v_or_b32_e32 v36, v37, v36
	s_delay_alu instid0(VALU_DEP_3) | instskip(NEXT) | instid1(VALU_DEP_3)
	v_or_b32_e32 v37, v39, v38
	v_min_u32_e32 v28, v13, v28
	; wave barrier
	s_delay_alu instid0(VALU_DEP_3) | instskip(NEXT) | instid1(VALU_DEP_3)
	v_and_b32_e32 v48, 0xffff, v36
	v_lshlrev_b32_e32 v49, 16, v37
	s_delay_alu instid0(VALU_DEP_3) | instskip(SKIP_1) | instid1(VALU_DEP_2)
	v_add_nc_u32_e32 v34, 16, v28
	v_sub_nc_u32_e32 v38, v28, v35
	v_min_u32_e32 v34, v13, v34
	v_min_u32_e32 v13, v13, v26
	s_delay_alu instid0(VALU_DEP_2) | instskip(NEXT) | instid1(VALU_DEP_2)
	v_sub_nc_u32_e32 v39, v34, v28
	v_min_u32_e32 v37, v13, v38
	v_or_b32_e32 v38, v48, v49
	s_waitcnt vmcnt(2) lgkmcnt(2)
	s_clause 0x1
	flat_store_b128 v[22:23], v[14:17] offset:1024
	flat_store_b32 v[11:12], v38
	s_waitcnt vmcnt(0) lgkmcnt(2)
	flat_store_b128 v[24:25], v[18:21] offset:16
	v_sub_nc_u32_e64 v36, v13, v39 clamp
	; wave barrier
	s_delay_alu instid0(VALU_DEP_1)
	v_cmpx_lt_u32_e64 v36, v37
	s_cbranch_execz .LBB317_48
; %bb.45:
	v_add_co_u32 v11, s3, v9, v35
	s_delay_alu instid0(VALU_DEP_1) | instskip(SKIP_1) | instid1(VALU_DEP_1)
	v_add_co_ci_u32_e64 v12, s3, 0, v10, s3
	v_add_co_u32 v22, s3, v9, v28
	v_add_co_ci_u32_e64 v23, s3, 0, v10, s3
	s_mov_b32 s5, 0
	s_set_inst_prefetch_distance 0x1
	.p2align	6
.LBB317_46:                             ; =>This Inner Loop Header: Depth=1
	v_add_nc_u32_e32 v24, v37, v36
	s_delay_alu instid0(VALU_DEP_1) | instskip(NEXT) | instid1(VALU_DEP_1)
	v_lshrrev_b32_e32 v48, 1, v24
	v_xad_u32 v38, v48, -1, v13
	v_add_co_u32 v24, s3, v11, v48
	s_delay_alu instid0(VALU_DEP_1) | instskip(NEXT) | instid1(VALU_DEP_3)
	v_add_co_ci_u32_e64 v25, s3, 0, v12, s3
	v_add_co_u32 v38, s3, v22, v38
	s_delay_alu instid0(VALU_DEP_1)
	v_add_co_ci_u32_e64 v39, s3, 0, v23, s3
	s_clause 0x1
	flat_load_u8 v24, v[24:25]
	flat_load_u8 v25, v[38:39]
	v_add_nc_u32_e32 v38, 1, v48
	s_waitcnt vmcnt(1) lgkmcnt(1)
	v_and_b32_e32 v24, v24, v31
	s_waitcnt vmcnt(0) lgkmcnt(0)
	v_and_b32_e32 v25, v25, v31
	s_delay_alu instid0(VALU_DEP_2) | instskip(NEXT) | instid1(VALU_DEP_2)
	v_bfe_i32 v24, v24, 0, 8
	v_bfe_i32 v25, v25, 0, 8
	s_delay_alu instid0(VALU_DEP_1) | instskip(NEXT) | instid1(VALU_DEP_1)
	v_cmp_gt_i16_e64 s3, v25, v24
	v_cndmask_b32_e64 v37, v37, v48, s3
	v_cndmask_b32_e64 v36, v38, v36, s3
	s_delay_alu instid0(VALU_DEP_1) | instskip(NEXT) | instid1(VALU_DEP_1)
	v_cmp_ge_u32_e64 s3, v36, v37
	s_or_b32 s5, s3, s5
	s_delay_alu instid0(SALU_CYCLE_1)
	s_and_not1_b32 exec_lo, exec_lo, s5
	s_cbranch_execnz .LBB317_46
; %bb.47:
	s_set_inst_prefetch_distance 0x2
	s_or_b32 exec_lo, exec_lo, s5
.LBB317_48:
	s_delay_alu instid0(SALU_CYCLE_1) | instskip(SKIP_2) | instid1(VALU_DEP_2)
	s_or_b32 exec_lo, exec_lo, s4
	v_add_nc_u32_e32 v11, v28, v13
	v_add_nc_u32_e32 v22, v36, v35
	v_sub_nc_u32_e32 v13, v11, v36
	s_delay_alu instid0(VALU_DEP_2) | instskip(NEXT) | instid1(VALU_DEP_2)
	v_cmp_le_u32_e64 s3, v22, v28
	v_cmp_le_u32_e64 s4, v13, v34
	s_delay_alu instid0(VALU_DEP_1) | instskip(NEXT) | instid1(SALU_CYCLE_1)
	s_or_b32 s3, s3, s4
	s_and_saveexec_b32 s15, s3
	s_cbranch_execz .LBB317_54
; %bb.49:
	v_cmp_lt_u32_e64 s3, v22, v28
                                        ; implicit-def: $vgpr11
	s_delay_alu instid0(VALU_DEP_1)
	s_and_saveexec_b32 s5, s3
	s_cbranch_execz .LBB317_51
; %bb.50:
	v_add_co_u32 v11, s4, v9, v22
	s_delay_alu instid0(VALU_DEP_1)
	v_add_co_ci_u32_e64 v12, s4, 0, v10, s4
	flat_load_u8 v11, v[11:12]
.LBB317_51:
	s_or_b32 exec_lo, exec_lo, s5
	v_cmp_ge_u32_e64 s4, v13, v34
	s_mov_b32 s6, exec_lo
                                        ; implicit-def: $vgpr12
	v_cmpx_lt_u32_e64 v13, v34
	s_cbranch_execz .LBB317_53
; %bb.52:
	v_add_co_u32 v14, s5, v9, v13
	s_delay_alu instid0(VALU_DEP_1)
	v_add_co_ci_u32_e64 v15, s5, 0, v10, s5
	flat_load_u8 v12, v[14:15]
.LBB317_53:
	s_or_b32 exec_lo, exec_lo, s6
	s_waitcnt vmcnt(0) lgkmcnt(0)
	v_and_b32_e32 v14, v12, v31
	v_and_b32_e32 v15, v11, v31
	s_delay_alu instid0(VALU_DEP_2) | instskip(NEXT) | instid1(VALU_DEP_2)
	v_bfe_i32 v14, v14, 0, 8
	v_bfe_i32 v15, v15, 0, 8
	s_delay_alu instid0(VALU_DEP_1) | instskip(NEXT) | instid1(VALU_DEP_1)
	v_cmp_le_i16_e64 s5, v14, v15
	s_and_b32 s3, s3, s5
	s_delay_alu instid0(SALU_CYCLE_1) | instskip(NEXT) | instid1(SALU_CYCLE_1)
	s_or_b32 s3, s4, s3
	v_cndmask_b32_e64 v14, v13, v22, s3
	v_cndmask_b32_e64 v15, v34, v28, s3
	s_delay_alu instid0(VALU_DEP_2) | instskip(NEXT) | instid1(VALU_DEP_2)
	v_add_nc_u32_e32 v17, 1, v14
	v_add_nc_u32_e32 v15, -1, v15
	s_delay_alu instid0(VALU_DEP_2) | instskip(NEXT) | instid1(VALU_DEP_2)
	v_cndmask_b32_e64 v20, v22, v17, s3
	v_min_u32_e32 v15, v17, v15
	v_cndmask_b32_e64 v13, v17, v13, s3
	s_delay_alu instid0(VALU_DEP_2) | instskip(NEXT) | instid1(VALU_DEP_1)
	v_add_co_u32 v15, s4, v9, v15
	v_add_co_ci_u32_e64 v16, s4, 0, v10, s4
	v_cmp_lt_u32_e64 s4, v20, v28
	s_delay_alu instid0(VALU_DEP_4) | instskip(SKIP_4) | instid1(VALU_DEP_2)
	v_cmp_ge_u32_e64 s6, v13, v34
	flat_load_u8 v15, v[15:16]
	s_waitcnt vmcnt(0) lgkmcnt(0)
	v_cndmask_b32_e64 v23, v15, v12, s3
	v_cndmask_b32_e64 v24, v11, v15, s3
	v_and_b32_e32 v15, v23, v31
	s_delay_alu instid0(VALU_DEP_2) | instskip(NEXT) | instid1(VALU_DEP_2)
	v_and_b32_e32 v16, v24, v31
	v_bfe_i32 v15, v15, 0, 8
	s_delay_alu instid0(VALU_DEP_2) | instskip(NEXT) | instid1(VALU_DEP_1)
	v_bfe_i32 v16, v16, 0, 8
	v_cmp_le_i16_e64 s5, v15, v16
	v_mov_b32_e32 v15, 0
	s_delay_alu instid0(VALU_DEP_2) | instskip(NEXT) | instid1(VALU_DEP_1)
	s_and_b32 s4, s4, s5
	v_lshlrev_b64 v[16:17], 3, v[14:15]
	s_or_b32 s4, s6, s4
	s_delay_alu instid0(SALU_CYCLE_1) | instskip(SKIP_2) | instid1(VALU_DEP_3)
	v_cndmask_b32_e64 v14, v13, v20, s4
	v_cndmask_b32_e64 v18, v34, v28, s4
	;; [unrolled: 1-line block ×3, first 2 shown]
	v_add_nc_u32_e32 v21, 1, v14
	s_delay_alu instid0(VALU_DEP_3) | instskip(NEXT) | instid1(VALU_DEP_2)
	v_add_nc_u32_e32 v18, -1, v18
	v_cndmask_b32_e64 v20, v20, v21, s4
	s_delay_alu instid0(VALU_DEP_2) | instskip(SKIP_1) | instid1(VALU_DEP_2)
	v_min_u32_e32 v18, v21, v18
	v_cndmask_b32_e64 v13, v21, v13, s4
	v_add_co_u32 v18, s5, v9, v18
	s_delay_alu instid0(VALU_DEP_1) | instskip(SKIP_1) | instid1(VALU_DEP_4)
	v_add_co_ci_u32_e64 v19, s5, 0, v10, s5
	v_cmp_lt_u32_e64 s5, v20, v28
	v_cmp_ge_u32_e64 s7, v13, v34
	flat_load_u8 v18, v[18:19]
	s_waitcnt vmcnt(0) lgkmcnt(0)
	v_cndmask_b32_e64 v22, v18, v23, s4
	v_cndmask_b32_e64 v25, v24, v18, s4
	s_delay_alu instid0(VALU_DEP_2) | instskip(NEXT) | instid1(VALU_DEP_2)
	v_and_b32_e32 v18, v22, v31
	v_and_b32_e32 v19, v25, v31
	s_delay_alu instid0(VALU_DEP_2) | instskip(NEXT) | instid1(VALU_DEP_2)
	v_bfe_i32 v18, v18, 0, 8
	v_bfe_i32 v19, v19, 0, 8
	s_delay_alu instid0(VALU_DEP_1) | instskip(SKIP_1) | instid1(VALU_DEP_2)
	v_cmp_le_i16_e64 s6, v18, v19
	v_lshlrev_b64 v[18:19], 3, v[14:15]
	s_and_b32 s5, s5, s6
	s_delay_alu instid0(SALU_CYCLE_1) | instskip(NEXT) | instid1(SALU_CYCLE_1)
	s_or_b32 s5, s7, s5
	v_cndmask_b32_e64 v14, v13, v20, s5
	v_cndmask_b32_e64 v21, v34, v28, s5
	;; [unrolled: 1-line block ×3, first 2 shown]
	s_delay_alu instid0(VALU_DEP_3) | instskip(NEXT) | instid1(VALU_DEP_3)
	v_add_nc_u32_e32 v29, 1, v14
	v_add_nc_u32_e32 v21, -1, v21
	s_delay_alu instid0(VALU_DEP_2) | instskip(NEXT) | instid1(VALU_DEP_2)
	v_cndmask_b32_e64 v20, v20, v29, s5
	v_min_u32_e32 v21, v29, v21
	v_cndmask_b32_e64 v13, v29, v13, s5
	v_cndmask_b32_e64 v29, v12, v11, s3
	s_delay_alu instid0(VALU_DEP_4) | instskip(NEXT) | instid1(VALU_DEP_4)
	v_cmp_lt_u32_e64 s7, v20, v28
	v_add_co_u32 v9, s6, v9, v21
	s_delay_alu instid0(VALU_DEP_1)
	v_add_co_ci_u32_e64 v10, s6, 0, v10, s6
	v_cmp_ge_u32_e64 s6, v13, v34
	flat_load_u8 v9, v[9:10]
	s_waitcnt vmcnt(0) lgkmcnt(0)
	v_cndmask_b32_e64 v32, v9, v22, s5
	v_cndmask_b32_e64 v35, v25, v9, s5
	s_delay_alu instid0(VALU_DEP_2) | instskip(NEXT) | instid1(VALU_DEP_2)
	v_and_b32_e32 v9, v32, v31
	v_and_b32_e32 v10, v35, v31
	s_delay_alu instid0(VALU_DEP_2) | instskip(NEXT) | instid1(VALU_DEP_2)
	v_bfe_i32 v9, v9, 0, 8
	v_bfe_i32 v10, v10, 0, 8
	s_delay_alu instid0(VALU_DEP_1) | instskip(SKIP_1) | instid1(VALU_DEP_1)
	v_cmp_le_i16_e64 s10, v9, v10
	v_add_co_u32 v9, s11, v4, v16
	v_add_co_ci_u32_e64 v10, s11, v5, v17, s11
	s_delay_alu instid0(VALU_DEP_3)
	s_and_b32 s7, s7, s10
	v_lshlrev_b64 v[16:17], 3, v[14:15]
	s_or_b32 s6, s6, s7
	v_add_co_u32 v18, s7, v4, v18
	v_cndmask_b32_e64 v14, v13, v20, s6
	v_add_co_ci_u32_e64 v19, s7, v5, v19, s7
	s_delay_alu instid0(VALU_DEP_4) | instskip(NEXT) | instid1(VALU_DEP_3)
	v_add_co_u32 v20, s7, v4, v16
	v_lshlrev_b64 v[13:14], 3, v[14:15]
	v_add_co_ci_u32_e64 v21, s7, v5, v17, s7
	v_cndmask_b32_e64 v32, v32, v35, s6
	s_delay_alu instid0(VALU_DEP_3) | instskip(NEXT) | instid1(VALU_DEP_1)
	v_add_co_u32 v4, s7, v4, v13
	v_add_co_ci_u32_e64 v5, s7, v5, v14, s7
	s_clause 0x3
	flat_load_b64 v[14:15], v[9:10] offset:1024
	flat_load_b64 v[16:17], v[18:19] offset:1024
	;; [unrolled: 1-line block ×4, first 2 shown]
.LBB317_54:
	s_or_b32 exec_lo, exec_lo, s15
	; wave barrier
	s_waitcnt vmcnt(0) lgkmcnt(0)
	s_waitcnt_vscnt null, 0x0
	s_barrier
                                        ; implicit-def: $vgpr28
                                        ; implicit-def: $vgpr12
                                        ; implicit-def: $vgpr13
                                        ; implicit-def: $vgpr5
                                        ; implicit-def: $vgpr9
                                        ; implicit-def: $vgpr4
.LBB317_55:
	s_and_not1_saveexec_b32 s10, s14
	s_cbranch_execz .LBB317_97
; %bb.56:
	s_load_b64 s[4:5], s[8:9], 0x0
	v_mov_b32_e32 v10, 0
	s_waitcnt lgkmcnt(0)
	s_cmp_lt_u32 s13, s5
	s_cselect_b32 s3, 14, 20
	s_delay_alu instid0(SALU_CYCLE_1)
	s_add_u32 s6, s8, s3
	s_addc_u32 s7, s9, 0
	s_cmp_lt_u32 s12, s4
	global_load_u16 v11, v10, s[6:7]
	s_cselect_b32 s3, 12, 18
	s_mov_b32 s6, exec_lo
	s_add_u32 s4, s8, s3
	s_addc_u32 s5, s9, 0
	global_load_u16 v10, v10, s[4:5]
	s_waitcnt vmcnt(1)
	v_mad_u32_u24 v5, v9, v11, v5
	s_waitcnt vmcnt(0)
	s_delay_alu instid0(VALU_DEP_1) | instskip(NEXT) | instid1(VALU_DEP_1)
	v_mul_lo_u32 v5, v5, v10
	v_add_lshl_u32 v11, v5, v4, 2
	s_delay_alu instid0(VALU_DEP_1)
	v_cmpx_gt_u32_e32 0x400, v11
	s_cbranch_execz .LBB317_66
; %bb.57:
	v_and_b32_e32 v4, 0xff, v33
	v_lshlrev_b16 v5, 8, v32
	v_lshlrev_b16 v9, 8, v29
	v_and_b32_e32 v10, 0xff, v30
	v_and_b32_e32 v22, 0xff, v29
	v_lshlrev_b16 v23, 8, v30
	v_or_b32_e32 v4, v4, v5
	s_mov_b32 s5, exec_lo
	v_or_b32_e32 v5, v10, v9
	v_bfe_i32 v10, v29, 0, 8
	v_or_b32_e32 v9, v22, v23
	v_lshlrev_b32_e32 v4, 16, v4
	v_bfe_i32 v22, v30, 0, 8
	v_and_b32_e32 v5, 0xffff, v5
	s_delay_alu instid0(VALU_DEP_4) | instskip(NEXT) | instid1(VALU_DEP_3)
	v_and_b32_e32 v9, 0xffff, v9
	v_cmp_gt_i16_e64 s3, v22, v10
	s_delay_alu instid0(VALU_DEP_3) | instskip(NEXT) | instid1(VALU_DEP_3)
	v_or_b32_e32 v5, v5, v4
	v_or_b32_e32 v4, v9, v4
	s_delay_alu instid0(VALU_DEP_1) | instskip(NEXT) | instid1(VALU_DEP_1)
	v_cndmask_b32_e64 v22, v4, v5, s3
	v_lshrrev_b32_e32 v4, 24, v22
	v_lshrrev_b32_e32 v5, 16, v22
	s_delay_alu instid0(VALU_DEP_2) | instskip(NEXT) | instid1(VALU_DEP_2)
	v_bfe_i32 v9, v4, 0, 8
	v_bfe_i32 v23, v5, 0, 8
	v_dual_mov_b32 v4, v18 :: v_dual_mov_b32 v5, v19
	s_delay_alu instid0(VALU_DEP_2)
	v_cmpx_gt_i16_e64 v9, v23
; %bb.58:
	v_perm_b32 v22, v22, v22, 0x6070504
	v_dual_mov_b32 v4, v20 :: v_dual_mov_b32 v5, v21
	v_dual_mov_b32 v21, v19 :: v_dual_mov_b32 v20, v18
	v_mov_b32_e32 v23, v9
; %bb.59:
	s_or_b32 exec_lo, exec_lo, s5
	v_lshrrev_b32_e32 v9, 8, v22
	v_cndmask_b32_e64 v19, v17, v15, s3
	v_cndmask_b32_e64 v18, v16, v14, s3
	s_delay_alu instid0(VALU_DEP_3) | instskip(NEXT) | instid1(VALU_DEP_2)
	v_bfe_i32 v24, v9, 0, 8
	v_dual_mov_b32 v9, v18 :: v_dual_mov_b32 v10, v19
	s_delay_alu instid0(VALU_DEP_2) | instskip(NEXT) | instid1(VALU_DEP_1)
	v_cmp_gt_i16_e64 s4, v23, v24
	s_and_saveexec_b32 s5, s4
	s_delay_alu instid0(SALU_CYCLE_1)
	s_xor_b32 s4, exec_lo, s5
; %bb.60:
	v_perm_b32 v22, v22, v23, 0x7050004
	v_dual_mov_b32 v10, v5 :: v_dual_mov_b32 v9, v4
	v_dual_mov_b32 v4, v18 :: v_dual_mov_b32 v5, v19
	v_mov_b32_e32 v24, v23
; %bb.61:
	s_or_b32 exec_lo, exec_lo, s4
	v_bfe_i32 v18, v22, 0, 8
	s_delay_alu instid0(VALU_DEP_2) | instskip(SKIP_1) | instid1(VALU_DEP_2)
	v_perm_b32 v19, v24, v22, 0x3020004
	s_mov_b32 s7, exec_lo
	v_cmp_gt_i16_e64 s4, v24, v18
	s_delay_alu instid0(VALU_DEP_1) | instskip(SKIP_1) | instid1(VALU_DEP_2)
	v_cndmask_b32_e64 v29, v22, v19, s4
	v_dual_mov_b32 v23, v5 :: v_dual_mov_b32 v22, v4
	v_lshrrev_b32_e32 v32, 24, v29
	v_lshrrev_b32_e32 v33, 16, v29
	;; [unrolled: 1-line block ×3, first 2 shown]
	s_delay_alu instid0(VALU_DEP_3) | instskip(NEXT) | instid1(VALU_DEP_3)
	v_bfe_i32 v18, v32, 0, 8
	v_bfe_i32 v24, v33, 0, 8
	s_delay_alu instid0(VALU_DEP_1)
	v_cmpx_gt_i16_e64 v18, v24
; %bb.62:
	v_mov_b32_e32 v23, v21
	v_dual_mov_b32 v19, v33 :: v_dual_mov_b32 v22, v20
	v_dual_mov_b32 v21, v5 :: v_dual_mov_b32 v24, v18
	v_swap_b32 v33, v32
	v_mov_b32_e32 v20, v4
; %bb.63:
	s_or_b32 exec_lo, exec_lo, s7
	v_cndmask_b32_e64 v4, v15, v17, s3
	v_cndmask_b32_e64 v5, v14, v16, s3
	v_bfe_i32 v18, v30, 0, 8
	s_delay_alu instid0(VALU_DEP_3) | instskip(NEXT) | instid1(VALU_DEP_3)
	v_cndmask_b32_e64 v15, v4, v10, s4
	v_cndmask_b32_e64 v14, v5, v9, s4
	;; [unrolled: 1-line block ×4, first 2 shown]
	v_cmp_gt_i16_e64 s3, v24, v18
	v_dual_mov_b32 v18, v22 :: v_dual_mov_b32 v19, v23
	s_delay_alu instid0(VALU_DEP_2)
	s_and_saveexec_b32 s4, s3
; %bb.64:
	v_dual_mov_b32 v33, v30 :: v_dual_mov_b32 v30, v24
	v_dual_mov_b32 v19, v17 :: v_dual_mov_b32 v18, v16
	;; [unrolled: 1-line block ×3, first 2 shown]
; %bb.65:
	s_or_b32 exec_lo, exec_lo, s4
.LBB317_66:
	s_delay_alu instid0(SALU_CYCLE_1)
	s_or_b32 exec_lo, exec_lo, s6
	v_and_b32_e32 v11, 0xffffff80, v11
	v_and_b32_e32 v22, 0xff, v29
	v_lshlrev_b16 v23, 8, v30
	v_and_b32_e32 v24, 0xff, v33
	v_lshlrev_b16 v25, 8, v32
	v_add_co_u32 v9, s3, v12, v11
	s_delay_alu instid0(VALU_DEP_1) | instskip(SKIP_3) | instid1(VALU_DEP_4)
	v_add_co_ci_u32_e64 v10, s3, 0, v13, s3
	v_or_b32_e32 v12, 4, v28
	v_sub_nc_u32_e64 v13, 0x400, v11 clamp
	v_lshlrev_b32_e32 v37, 3, v28
	v_mad_u64_u32 v[4:5], null, v11, 7, v[9:10]
	v_or_b32_e32 v22, v22, v23
	s_delay_alu instid0(VALU_DEP_4)
	v_min_u32_e32 v31, v13, v12
	v_or_b32_e32 v23, v24, v25
	v_and_b32_e32 v24, 4, v28
	v_and_b32_e32 v35, 0x78, v28
	v_add_co_u32 v11, s3, v9, v28
	v_add_nc_u32_e32 v34, 4, v31
	v_add_co_ci_u32_e64 v12, s3, 0, v10, s3
	v_and_b32_e32 v25, 0xffff, v22
	v_lshlrev_b32_e32 v38, 16, v23
	s_delay_alu instid0(VALU_DEP_4) | instskip(SKIP_3) | instid1(VALU_DEP_4)
	v_min_u32_e32 v34, v13, v34
	v_min_u32_e32 v36, v13, v24
	v_sub_nc_u32_e32 v24, v31, v35
	v_add_co_u32 v22, s3, v4, v37
	v_sub_nc_u32_e32 v39, v34, v31
	v_add_co_ci_u32_e64 v23, s3, 0, v5, s3
	v_or_b32_e32 v48, v25, v38
	v_min_u32_e32 v38, v36, v24
	v_add_co_u32 v24, s3, 0x400, v22
	v_sub_nc_u32_e64 v37, v36, v39 clamp
	v_add_co_ci_u32_e64 v25, s3, 0, v23, s3
	s_mov_b32 s4, exec_lo
	s_clause 0x2
	flat_store_b128 v[22:23], v[14:17] offset:1024
	flat_store_b32 v[11:12], v48
	flat_store_b128 v[22:23], v[18:21] offset:1040
	; wave barrier
	v_cmpx_lt_u32_e64 v37, v38
	s_cbranch_execz .LBB317_70
; %bb.67:
	v_add_co_u32 v39, s3, v9, v35
	s_delay_alu instid0(VALU_DEP_1) | instskip(SKIP_1) | instid1(VALU_DEP_1)
	v_add_co_ci_u32_e64 v48, s3, 0, v10, s3
	v_add_co_u32 v49, s3, v9, v31
	v_add_co_ci_u32_e64 v50, s3, 0, v10, s3
	s_mov_b32 s5, 0
	.p2align	6
.LBB317_68:                             ; =>This Inner Loop Header: Depth=1
	v_add_nc_u32_e32 v51, v38, v37
	s_delay_alu instid0(VALU_DEP_1) | instskip(NEXT) | instid1(VALU_DEP_1)
	v_lshrrev_b32_e32 v55, 1, v51
	v_xad_u32 v53, v55, -1, v36
	v_add_co_u32 v51, s3, v39, v55
	s_delay_alu instid0(VALU_DEP_1) | instskip(NEXT) | instid1(VALU_DEP_3)
	v_add_co_ci_u32_e64 v52, s3, 0, v48, s3
	v_add_co_u32 v53, s3, v49, v53
	s_delay_alu instid0(VALU_DEP_1)
	v_add_co_ci_u32_e64 v54, s3, 0, v50, s3
	s_clause 0x1
	flat_load_i8 v51, v[51:52]
	flat_load_i8 v52, v[53:54]
	v_add_nc_u32_e32 v53, 1, v55
	s_waitcnt vmcnt(0) lgkmcnt(0)
	v_cmp_gt_i16_e64 s3, v52, v51
	s_delay_alu instid0(VALU_DEP_1) | instskip(NEXT) | instid1(VALU_DEP_3)
	v_cndmask_b32_e64 v38, v38, v55, s3
	v_cndmask_b32_e64 v37, v53, v37, s3
	s_delay_alu instid0(VALU_DEP_1) | instskip(NEXT) | instid1(VALU_DEP_1)
	v_cmp_ge_u32_e64 s3, v37, v38
	s_or_b32 s5, s3, s5
	s_delay_alu instid0(SALU_CYCLE_1)
	s_and_not1_b32 exec_lo, exec_lo, s5
	s_cbranch_execnz .LBB317_68
; %bb.69:
	s_or_b32 exec_lo, exec_lo, s5
.LBB317_70:
	s_delay_alu instid0(SALU_CYCLE_1) | instskip(SKIP_2) | instid1(VALU_DEP_2)
	s_or_b32 exec_lo, exec_lo, s4
	v_add_nc_u32_e32 v38, v31, v36
	v_add_nc_u32_e32 v36, v37, v35
	v_sub_nc_u32_e32 v35, v38, v37
	s_delay_alu instid0(VALU_DEP_2) | instskip(NEXT) | instid1(VALU_DEP_2)
	v_cmp_le_u32_e64 s3, v36, v31
	v_cmp_le_u32_e64 s4, v35, v34
	s_delay_alu instid0(VALU_DEP_1) | instskip(NEXT) | instid1(SALU_CYCLE_1)
	s_or_b32 s3, s3, s4
	s_and_saveexec_b32 s11, s3
	s_cbranch_execz .LBB317_76
; %bb.71:
	v_cmp_lt_u32_e64 s3, v36, v31
                                        ; implicit-def: $vgpr29
	s_delay_alu instid0(VALU_DEP_1)
	s_and_saveexec_b32 s5, s3
	s_cbranch_execz .LBB317_73
; %bb.72:
	v_add_co_u32 v14, s4, v9, v36
	s_delay_alu instid0(VALU_DEP_1)
	v_add_co_ci_u32_e64 v15, s4, 0, v10, s4
	flat_load_u8 v29, v[14:15]
.LBB317_73:
	s_or_b32 exec_lo, exec_lo, s5
	v_cmp_ge_u32_e64 s4, v35, v34
	s_mov_b32 s6, exec_lo
                                        ; implicit-def: $vgpr30
	v_cmpx_lt_u32_e64 v35, v34
	s_cbranch_execz .LBB317_75
; %bb.74:
	v_add_co_u32 v14, s5, v9, v35
	s_delay_alu instid0(VALU_DEP_1)
	v_add_co_ci_u32_e64 v15, s5, 0, v10, s5
	flat_load_u8 v30, v[14:15]
.LBB317_75:
	s_or_b32 exec_lo, exec_lo, s6
	s_waitcnt vmcnt(0) lgkmcnt(0)
	v_bfe_i32 v14, v29, 0, 8
	v_bfe_i32 v15, v30, 0, 8
	s_delay_alu instid0(VALU_DEP_1) | instskip(NEXT) | instid1(VALU_DEP_1)
	v_cmp_le_i16_e64 s5, v15, v14
	s_and_b32 s3, s3, s5
	s_delay_alu instid0(SALU_CYCLE_1) | instskip(NEXT) | instid1(SALU_CYCLE_1)
	s_or_b32 s3, s4, s3
	v_cndmask_b32_e64 v14, v35, v36, s3
	v_cndmask_b32_e64 v15, v34, v31, s3
	s_delay_alu instid0(VALU_DEP_2) | instskip(NEXT) | instid1(VALU_DEP_2)
	v_add_nc_u32_e32 v17, 1, v14
	v_add_nc_u32_e32 v15, -1, v15
	s_delay_alu instid0(VALU_DEP_2) | instskip(NEXT) | instid1(VALU_DEP_2)
	v_cndmask_b32_e64 v20, v36, v17, s3
	v_min_u32_e32 v15, v17, v15
	v_cndmask_b32_e64 v21, v17, v35, s3
	s_delay_alu instid0(VALU_DEP_2) | instskip(NEXT) | instid1(VALU_DEP_1)
	v_add_co_u32 v15, s4, v9, v15
	v_add_co_ci_u32_e64 v16, s4, 0, v10, s4
	v_cmp_lt_u32_e64 s4, v20, v31
	s_delay_alu instid0(VALU_DEP_4)
	v_cmp_ge_u32_e64 s6, v21, v34
	flat_load_u8 v15, v[15:16]
	s_waitcnt vmcnt(0) lgkmcnt(0)
	v_cndmask_b32_e64 v33, v15, v30, s3
	v_cndmask_b32_e64 v37, v29, v15, s3
	;; [unrolled: 1-line block ×3, first 2 shown]
	s_delay_alu instid0(VALU_DEP_3) | instskip(NEXT) | instid1(VALU_DEP_3)
	v_bfe_i32 v15, v33, 0, 8
	v_bfe_i32 v16, v37, 0, 8
	s_delay_alu instid0(VALU_DEP_1) | instskip(SKIP_1) | instid1(VALU_DEP_2)
	v_cmp_le_i16_e64 s5, v15, v16
	v_mov_b32_e32 v15, 0
	s_and_b32 s4, s4, s5
	s_delay_alu instid0(VALU_DEP_1) | instskip(SKIP_1) | instid1(SALU_CYCLE_1)
	v_lshlrev_b64 v[16:17], 3, v[14:15]
	s_or_b32 s4, s6, s4
	v_cndmask_b32_e64 v14, v21, v20, s4
	v_cndmask_b32_e64 v18, v34, v31, s4
	;; [unrolled: 1-line block ×3, first 2 shown]
	s_delay_alu instid0(VALU_DEP_4) | instskip(NEXT) | instid1(VALU_DEP_4)
	v_add_co_u32 v16, s9, v4, v16
	v_add_nc_u32_e32 v32, 1, v14
	s_delay_alu instid0(VALU_DEP_4) | instskip(SKIP_1) | instid1(VALU_DEP_3)
	v_add_nc_u32_e32 v18, -1, v18
	v_add_co_ci_u32_e64 v17, s9, v5, v17, s9
	v_cndmask_b32_e64 v38, v20, v32, s4
	s_delay_alu instid0(VALU_DEP_3) | instskip(SKIP_1) | instid1(VALU_DEP_2)
	v_min_u32_e32 v18, v32, v18
	v_cndmask_b32_e64 v32, v32, v21, s4
	v_add_co_u32 v18, s5, v9, v18
	s_delay_alu instid0(VALU_DEP_1) | instskip(SKIP_1) | instid1(VALU_DEP_4)
	v_add_co_ci_u32_e64 v19, s5, 0, v10, s5
	v_cmp_lt_u32_e64 s5, v38, v31
	v_cmp_ge_u32_e64 s7, v32, v34
	flat_load_u8 v18, v[18:19]
	s_waitcnt vmcnt(0) lgkmcnt(0)
	v_cndmask_b32_e64 v35, v18, v33, s4
	v_cndmask_b32_e64 v36, v37, v18, s4
	s_delay_alu instid0(VALU_DEP_2) | instskip(NEXT) | instid1(VALU_DEP_2)
	v_bfe_i32 v18, v35, 0, 8
	v_bfe_i32 v19, v36, 0, 8
	s_delay_alu instid0(VALU_DEP_1) | instskip(SKIP_1) | instid1(VALU_DEP_2)
	v_cmp_le_i16_e64 s6, v18, v19
	v_lshlrev_b64 v[18:19], 3, v[14:15]
	s_and_b32 s5, s5, s6
	s_delay_alu instid0(SALU_CYCLE_1) | instskip(NEXT) | instid1(SALU_CYCLE_1)
	s_or_b32 s5, s7, s5
	v_cndmask_b32_e64 v14, v32, v38, s5
	v_cndmask_b32_e64 v20, v34, v31, s5
	;; [unrolled: 1-line block ×3, first 2 shown]
	s_delay_alu instid0(VALU_DEP_3) | instskip(NEXT) | instid1(VALU_DEP_3)
	v_add_nc_u32_e32 v39, 1, v14
	v_add_nc_u32_e32 v20, -1, v20
	s_delay_alu instid0(VALU_DEP_2) | instskip(NEXT) | instid1(VALU_DEP_2)
	v_cndmask_b32_e64 v38, v38, v39, s5
	v_min_u32_e32 v20, v39, v20
	v_cndmask_b32_e64 v32, v39, v32, s5
	s_delay_alu instid0(VALU_DEP_3) | instskip(NEXT) | instid1(VALU_DEP_3)
	v_cmp_lt_u32_e64 s7, v38, v31
	v_add_co_u32 v20, s6, v9, v20
	s_delay_alu instid0(VALU_DEP_1) | instskip(NEXT) | instid1(VALU_DEP_4)
	v_add_co_ci_u32_e64 v21, s6, 0, v10, s6
	v_cmp_ge_u32_e64 s6, v32, v34
	flat_load_u8 v20, v[20:21]
	s_waitcnt vmcnt(0) lgkmcnt(0)
	v_cndmask_b32_e64 v48, v20, v35, s5
	v_cndmask_b32_e64 v49, v36, v20, s5
	s_delay_alu instid0(VALU_DEP_2) | instskip(NEXT) | instid1(VALU_DEP_2)
	v_bfe_i32 v20, v48, 0, 8
	v_bfe_i32 v21, v49, 0, 8
	s_delay_alu instid0(VALU_DEP_1) | instskip(SKIP_1) | instid1(VALU_DEP_2)
	v_cmp_le_i16_e64 s8, v20, v21
	v_lshlrev_b64 v[20:21], 3, v[14:15]
	s_and_b32 s7, s7, s8
	s_delay_alu instid0(SALU_CYCLE_1) | instskip(SKIP_4) | instid1(VALU_DEP_3)
	s_or_b32 s6, s6, s7
	v_add_co_u32 v18, s7, v4, v18
	v_cndmask_b32_e64 v14, v32, v38, s6
	v_add_co_ci_u32_e64 v19, s7, v5, v19, s7
	v_add_co_u32 v20, s7, v4, v20
	v_lshlrev_b64 v[14:15], 3, v[14:15]
	v_add_co_ci_u32_e64 v21, s7, v5, v21, s7
	s_delay_alu instid0(VALU_DEP_2) | instskip(NEXT) | instid1(VALU_DEP_1)
	v_add_co_u32 v31, s7, v4, v14
	v_add_co_ci_u32_e64 v32, s7, v5, v15, s7
	s_clause 0x3
	flat_load_b64 v[14:15], v[16:17] offset:1024
	flat_load_b64 v[16:17], v[18:19] offset:1024
	;; [unrolled: 1-line block ×4, first 2 shown]
	v_cndmask_b32_e64 v32, v48, v49, s6
.LBB317_76:
	s_or_b32 exec_lo, exec_lo, s11
	v_and_b32_e32 v35, 0x70, v28
	v_lshlrev_b16 v36, 8, v30
	v_and_b32_e32 v37, 0xff, v29
	v_lshlrev_b16 v38, 8, v32
	v_and_b32_e32 v39, 0xff, v33
	v_or_b32_e32 v31, 8, v35
	v_and_b32_e32 v48, 12, v28
	v_or_b32_e32 v37, v37, v36
	s_mov_b32 s4, exec_lo
	v_or_b32_e32 v38, v39, v38
	v_min_u32_e32 v31, v13, v31
	v_min_u32_e32 v36, v13, v48
	v_and_b32_e32 v49, 0xffff, v37
	s_delay_alu instid0(VALU_DEP_4) | instskip(NEXT) | instid1(VALU_DEP_4)
	v_lshlrev_b32_e32 v50, 16, v38
	v_add_nc_u32_e32 v34, 8, v31
	v_sub_nc_u32_e32 v39, v31, v35
	; wave barrier
	s_delay_alu instid0(VALU_DEP_2) | instskip(NEXT) | instid1(VALU_DEP_2)
	v_min_u32_e32 v34, v13, v34
	v_min_u32_e32 v38, v36, v39
	v_or_b32_e32 v39, v49, v50
	s_waitcnt vmcnt(2) lgkmcnt(2)
	s_clause 0x1
	flat_store_b128 v[22:23], v[14:17] offset:1024
	flat_store_b32 v[11:12], v39
	s_waitcnt vmcnt(0) lgkmcnt(2)
	flat_store_b128 v[24:25], v[18:21] offset:16
	v_sub_nc_u32_e32 v48, v34, v31
	; wave barrier
	s_delay_alu instid0(VALU_DEP_1) | instskip(NEXT) | instid1(VALU_DEP_1)
	v_sub_nc_u32_e64 v37, v36, v48 clamp
	v_cmpx_lt_u32_e64 v37, v38
	s_cbranch_execz .LBB317_80
; %bb.77:
	v_add_co_u32 v39, s3, v9, v35
	s_delay_alu instid0(VALU_DEP_1) | instskip(SKIP_1) | instid1(VALU_DEP_1)
	v_add_co_ci_u32_e64 v48, s3, 0, v10, s3
	v_add_co_u32 v49, s3, v9, v31
	v_add_co_ci_u32_e64 v50, s3, 0, v10, s3
	s_mov_b32 s5, 0
	.p2align	6
.LBB317_78:                             ; =>This Inner Loop Header: Depth=1
	v_add_nc_u32_e32 v51, v38, v37
	s_delay_alu instid0(VALU_DEP_1) | instskip(NEXT) | instid1(VALU_DEP_1)
	v_lshrrev_b32_e32 v55, 1, v51
	v_xad_u32 v53, v55, -1, v36
	v_add_co_u32 v51, s3, v39, v55
	s_delay_alu instid0(VALU_DEP_1) | instskip(NEXT) | instid1(VALU_DEP_3)
	v_add_co_ci_u32_e64 v52, s3, 0, v48, s3
	v_add_co_u32 v53, s3, v49, v53
	s_delay_alu instid0(VALU_DEP_1)
	v_add_co_ci_u32_e64 v54, s3, 0, v50, s3
	s_clause 0x1
	flat_load_i8 v51, v[51:52]
	flat_load_i8 v52, v[53:54]
	v_add_nc_u32_e32 v53, 1, v55
	s_waitcnt vmcnt(0) lgkmcnt(0)
	v_cmp_gt_i16_e64 s3, v52, v51
	s_delay_alu instid0(VALU_DEP_1) | instskip(NEXT) | instid1(VALU_DEP_3)
	v_cndmask_b32_e64 v38, v38, v55, s3
	v_cndmask_b32_e64 v37, v53, v37, s3
	s_delay_alu instid0(VALU_DEP_1) | instskip(NEXT) | instid1(VALU_DEP_1)
	v_cmp_ge_u32_e64 s3, v37, v38
	s_or_b32 s5, s3, s5
	s_delay_alu instid0(SALU_CYCLE_1)
	s_and_not1_b32 exec_lo, exec_lo, s5
	s_cbranch_execnz .LBB317_78
; %bb.79:
	s_or_b32 exec_lo, exec_lo, s5
.LBB317_80:
	s_delay_alu instid0(SALU_CYCLE_1) | instskip(SKIP_2) | instid1(VALU_DEP_2)
	s_or_b32 exec_lo, exec_lo, s4
	v_add_nc_u32_e32 v38, v31, v36
	v_add_nc_u32_e32 v36, v37, v35
	v_sub_nc_u32_e32 v35, v38, v37
	s_delay_alu instid0(VALU_DEP_2) | instskip(NEXT) | instid1(VALU_DEP_2)
	v_cmp_le_u32_e64 s3, v36, v31
	v_cmp_le_u32_e64 s4, v35, v34
	s_delay_alu instid0(VALU_DEP_1) | instskip(NEXT) | instid1(SALU_CYCLE_1)
	s_or_b32 s3, s3, s4
	s_and_saveexec_b32 s11, s3
	s_cbranch_execz .LBB317_86
; %bb.81:
	v_cmp_lt_u32_e64 s3, v36, v31
                                        ; implicit-def: $vgpr29
	s_delay_alu instid0(VALU_DEP_1)
	s_and_saveexec_b32 s5, s3
	s_cbranch_execz .LBB317_83
; %bb.82:
	v_add_co_u32 v14, s4, v9, v36
	s_delay_alu instid0(VALU_DEP_1)
	v_add_co_ci_u32_e64 v15, s4, 0, v10, s4
	flat_load_u8 v29, v[14:15]
.LBB317_83:
	s_or_b32 exec_lo, exec_lo, s5
	v_cmp_ge_u32_e64 s4, v35, v34
	s_mov_b32 s6, exec_lo
                                        ; implicit-def: $vgpr30
	v_cmpx_lt_u32_e64 v35, v34
	s_cbranch_execz .LBB317_85
; %bb.84:
	v_add_co_u32 v14, s5, v9, v35
	s_delay_alu instid0(VALU_DEP_1)
	v_add_co_ci_u32_e64 v15, s5, 0, v10, s5
	flat_load_u8 v30, v[14:15]
.LBB317_85:
	s_or_b32 exec_lo, exec_lo, s6
	s_waitcnt vmcnt(0) lgkmcnt(0)
	v_bfe_i32 v14, v29, 0, 8
	v_bfe_i32 v15, v30, 0, 8
	s_delay_alu instid0(VALU_DEP_1) | instskip(NEXT) | instid1(VALU_DEP_1)
	v_cmp_le_i16_e64 s5, v15, v14
	s_and_b32 s3, s3, s5
	s_delay_alu instid0(SALU_CYCLE_1) | instskip(NEXT) | instid1(SALU_CYCLE_1)
	s_or_b32 s3, s4, s3
	v_cndmask_b32_e64 v14, v35, v36, s3
	v_cndmask_b32_e64 v15, v34, v31, s3
	s_delay_alu instid0(VALU_DEP_2) | instskip(NEXT) | instid1(VALU_DEP_2)
	v_add_nc_u32_e32 v17, 1, v14
	v_add_nc_u32_e32 v15, -1, v15
	s_delay_alu instid0(VALU_DEP_2) | instskip(NEXT) | instid1(VALU_DEP_2)
	v_cndmask_b32_e64 v20, v36, v17, s3
	v_min_u32_e32 v15, v17, v15
	v_cndmask_b32_e64 v21, v17, v35, s3
	s_delay_alu instid0(VALU_DEP_2) | instskip(NEXT) | instid1(VALU_DEP_1)
	v_add_co_u32 v15, s4, v9, v15
	v_add_co_ci_u32_e64 v16, s4, 0, v10, s4
	v_cmp_lt_u32_e64 s4, v20, v31
	s_delay_alu instid0(VALU_DEP_4)
	v_cmp_ge_u32_e64 s6, v21, v34
	flat_load_u8 v15, v[15:16]
	s_waitcnt vmcnt(0) lgkmcnt(0)
	v_cndmask_b32_e64 v33, v15, v30, s3
	v_cndmask_b32_e64 v37, v29, v15, s3
	;; [unrolled: 1-line block ×3, first 2 shown]
	s_delay_alu instid0(VALU_DEP_3) | instskip(NEXT) | instid1(VALU_DEP_3)
	v_bfe_i32 v15, v33, 0, 8
	v_bfe_i32 v16, v37, 0, 8
	s_delay_alu instid0(VALU_DEP_1) | instskip(SKIP_1) | instid1(VALU_DEP_2)
	v_cmp_le_i16_e64 s5, v15, v16
	v_mov_b32_e32 v15, 0
	s_and_b32 s4, s4, s5
	s_delay_alu instid0(VALU_DEP_1) | instskip(SKIP_1) | instid1(SALU_CYCLE_1)
	v_lshlrev_b64 v[16:17], 3, v[14:15]
	s_or_b32 s4, s6, s4
	v_cndmask_b32_e64 v14, v21, v20, s4
	v_cndmask_b32_e64 v18, v34, v31, s4
	;; [unrolled: 1-line block ×3, first 2 shown]
	s_delay_alu instid0(VALU_DEP_4) | instskip(NEXT) | instid1(VALU_DEP_4)
	v_add_co_u32 v16, s9, v4, v16
	v_add_nc_u32_e32 v32, 1, v14
	s_delay_alu instid0(VALU_DEP_4) | instskip(SKIP_1) | instid1(VALU_DEP_3)
	v_add_nc_u32_e32 v18, -1, v18
	v_add_co_ci_u32_e64 v17, s9, v5, v17, s9
	v_cndmask_b32_e64 v38, v20, v32, s4
	s_delay_alu instid0(VALU_DEP_3) | instskip(SKIP_1) | instid1(VALU_DEP_2)
	v_min_u32_e32 v18, v32, v18
	v_cndmask_b32_e64 v32, v32, v21, s4
	v_add_co_u32 v18, s5, v9, v18
	s_delay_alu instid0(VALU_DEP_1) | instskip(SKIP_1) | instid1(VALU_DEP_4)
	v_add_co_ci_u32_e64 v19, s5, 0, v10, s5
	v_cmp_lt_u32_e64 s5, v38, v31
	v_cmp_ge_u32_e64 s7, v32, v34
	flat_load_u8 v18, v[18:19]
	s_waitcnt vmcnt(0) lgkmcnt(0)
	v_cndmask_b32_e64 v35, v18, v33, s4
	v_cndmask_b32_e64 v36, v37, v18, s4
	s_delay_alu instid0(VALU_DEP_2) | instskip(NEXT) | instid1(VALU_DEP_2)
	v_bfe_i32 v18, v35, 0, 8
	v_bfe_i32 v19, v36, 0, 8
	s_delay_alu instid0(VALU_DEP_1) | instskip(SKIP_1) | instid1(VALU_DEP_2)
	v_cmp_le_i16_e64 s6, v18, v19
	v_lshlrev_b64 v[18:19], 3, v[14:15]
	s_and_b32 s5, s5, s6
	s_delay_alu instid0(SALU_CYCLE_1) | instskip(NEXT) | instid1(SALU_CYCLE_1)
	s_or_b32 s5, s7, s5
	v_cndmask_b32_e64 v14, v32, v38, s5
	v_cndmask_b32_e64 v20, v34, v31, s5
	;; [unrolled: 1-line block ×3, first 2 shown]
	s_delay_alu instid0(VALU_DEP_3) | instskip(NEXT) | instid1(VALU_DEP_3)
	v_add_nc_u32_e32 v39, 1, v14
	v_add_nc_u32_e32 v20, -1, v20
	s_delay_alu instid0(VALU_DEP_2) | instskip(NEXT) | instid1(VALU_DEP_2)
	v_cndmask_b32_e64 v38, v38, v39, s5
	v_min_u32_e32 v20, v39, v20
	v_cndmask_b32_e64 v32, v39, v32, s5
	s_delay_alu instid0(VALU_DEP_3) | instskip(NEXT) | instid1(VALU_DEP_3)
	v_cmp_lt_u32_e64 s7, v38, v31
	v_add_co_u32 v20, s6, v9, v20
	s_delay_alu instid0(VALU_DEP_1) | instskip(NEXT) | instid1(VALU_DEP_4)
	v_add_co_ci_u32_e64 v21, s6, 0, v10, s6
	v_cmp_ge_u32_e64 s6, v32, v34
	flat_load_u8 v20, v[20:21]
	s_waitcnt vmcnt(0) lgkmcnt(0)
	v_cndmask_b32_e64 v48, v20, v35, s5
	v_cndmask_b32_e64 v49, v36, v20, s5
	s_delay_alu instid0(VALU_DEP_2) | instskip(NEXT) | instid1(VALU_DEP_2)
	v_bfe_i32 v20, v48, 0, 8
	v_bfe_i32 v21, v49, 0, 8
	s_delay_alu instid0(VALU_DEP_1) | instskip(SKIP_1) | instid1(VALU_DEP_2)
	v_cmp_le_i16_e64 s8, v20, v21
	v_lshlrev_b64 v[20:21], 3, v[14:15]
	s_and_b32 s7, s7, s8
	s_delay_alu instid0(SALU_CYCLE_1) | instskip(SKIP_4) | instid1(VALU_DEP_3)
	s_or_b32 s6, s6, s7
	v_add_co_u32 v18, s7, v4, v18
	v_cndmask_b32_e64 v14, v32, v38, s6
	v_add_co_ci_u32_e64 v19, s7, v5, v19, s7
	v_add_co_u32 v20, s7, v4, v20
	v_lshlrev_b64 v[14:15], 3, v[14:15]
	v_add_co_ci_u32_e64 v21, s7, v5, v21, s7
	s_delay_alu instid0(VALU_DEP_2) | instskip(NEXT) | instid1(VALU_DEP_1)
	v_add_co_u32 v31, s7, v4, v14
	v_add_co_ci_u32_e64 v32, s7, v5, v15, s7
	s_clause 0x3
	flat_load_b64 v[14:15], v[16:17] offset:1024
	flat_load_b64 v[16:17], v[18:19] offset:1024
	flat_load_b64 v[18:19], v[20:21] offset:1024
	flat_load_b64 v[20:21], v[31:32] offset:1024
	v_cndmask_b32_e64 v32, v48, v49, s6
.LBB317_86:
	s_or_b32 exec_lo, exec_lo, s11
	v_and_b32_e32 v34, 0x60, v28
	v_lshlrev_b16 v35, 8, v30
	v_and_b32_e32 v36, 0xff, v29
	v_lshlrev_b16 v37, 8, v32
	v_and_b32_e32 v38, 0xff, v33
	v_or_b32_e32 v28, 16, v34
	s_mov_b32 s4, exec_lo
	v_or_b32_e32 v35, v36, v35
	s_delay_alu instid0(VALU_DEP_3) | instskip(NEXT) | instid1(VALU_DEP_3)
	v_or_b32_e32 v36, v38, v37
	v_min_u32_e32 v28, v13, v28
	; wave barrier
	s_delay_alu instid0(VALU_DEP_3) | instskip(NEXT) | instid1(VALU_DEP_3)
	v_and_b32_e32 v39, 0xffff, v35
	v_lshlrev_b32_e32 v48, 16, v36
	s_delay_alu instid0(VALU_DEP_3) | instskip(SKIP_1) | instid1(VALU_DEP_2)
	v_add_nc_u32_e32 v31, 16, v28
	v_sub_nc_u32_e32 v37, v28, v34
	v_min_u32_e32 v31, v13, v31
	v_min_u32_e32 v13, v13, v26
	s_delay_alu instid0(VALU_DEP_2) | instskip(NEXT) | instid1(VALU_DEP_2)
	v_sub_nc_u32_e32 v38, v31, v28
	v_min_u32_e32 v36, v13, v37
	v_or_b32_e32 v37, v39, v48
	s_waitcnt vmcnt(2) lgkmcnt(2)
	s_clause 0x1
	flat_store_b128 v[22:23], v[14:17] offset:1024
	flat_store_b32 v[11:12], v37
	s_waitcnt vmcnt(0) lgkmcnt(2)
	flat_store_b128 v[24:25], v[18:21] offset:16
	v_sub_nc_u32_e64 v35, v13, v38 clamp
	; wave barrier
	s_delay_alu instid0(VALU_DEP_1)
	v_cmpx_lt_u32_e64 v35, v36
	s_cbranch_execz .LBB317_90
; %bb.87:
	v_add_co_u32 v11, s3, v9, v34
	s_delay_alu instid0(VALU_DEP_1) | instskip(SKIP_1) | instid1(VALU_DEP_1)
	v_add_co_ci_u32_e64 v12, s3, 0, v10, s3
	v_add_co_u32 v22, s3, v9, v28
	v_add_co_ci_u32_e64 v23, s3, 0, v10, s3
	s_mov_b32 s5, 0
	.p2align	6
.LBB317_88:                             ; =>This Inner Loop Header: Depth=1
	v_add_nc_u32_e32 v24, v36, v35
	s_delay_alu instid0(VALU_DEP_1) | instskip(NEXT) | instid1(VALU_DEP_1)
	v_lshrrev_b32_e32 v39, 1, v24
	v_xad_u32 v37, v39, -1, v13
	v_add_co_u32 v24, s3, v11, v39
	s_delay_alu instid0(VALU_DEP_1) | instskip(NEXT) | instid1(VALU_DEP_3)
	v_add_co_ci_u32_e64 v25, s3, 0, v12, s3
	v_add_co_u32 v37, s3, v22, v37
	s_delay_alu instid0(VALU_DEP_1)
	v_add_co_ci_u32_e64 v38, s3, 0, v23, s3
	s_clause 0x1
	flat_load_i8 v24, v[24:25]
	flat_load_i8 v25, v[37:38]
	v_add_nc_u32_e32 v37, 1, v39
	s_waitcnt vmcnt(0) lgkmcnt(0)
	v_cmp_gt_i16_e64 s3, v25, v24
	s_delay_alu instid0(VALU_DEP_1) | instskip(NEXT) | instid1(VALU_DEP_3)
	v_cndmask_b32_e64 v36, v36, v39, s3
	v_cndmask_b32_e64 v35, v37, v35, s3
	s_delay_alu instid0(VALU_DEP_1) | instskip(NEXT) | instid1(VALU_DEP_1)
	v_cmp_ge_u32_e64 s3, v35, v36
	s_or_b32 s5, s3, s5
	s_delay_alu instid0(SALU_CYCLE_1)
	s_and_not1_b32 exec_lo, exec_lo, s5
	s_cbranch_execnz .LBB317_88
; %bb.89:
	s_or_b32 exec_lo, exec_lo, s5
.LBB317_90:
	s_delay_alu instid0(SALU_CYCLE_1) | instskip(SKIP_2) | instid1(VALU_DEP_2)
	s_or_b32 exec_lo, exec_lo, s4
	v_add_nc_u32_e32 v11, v28, v13
	v_add_nc_u32_e32 v22, v35, v34
	v_sub_nc_u32_e32 v13, v11, v35
	s_delay_alu instid0(VALU_DEP_2) | instskip(NEXT) | instid1(VALU_DEP_2)
	v_cmp_le_u32_e64 s3, v22, v28
	v_cmp_le_u32_e64 s4, v13, v31
	s_delay_alu instid0(VALU_DEP_1) | instskip(NEXT) | instid1(SALU_CYCLE_1)
	s_or_b32 s3, s3, s4
	s_and_saveexec_b32 s11, s3
	s_cbranch_execz .LBB317_96
; %bb.91:
	v_cmp_lt_u32_e64 s3, v22, v28
                                        ; implicit-def: $vgpr11
	s_delay_alu instid0(VALU_DEP_1)
	s_and_saveexec_b32 s5, s3
	s_cbranch_execz .LBB317_93
; %bb.92:
	v_add_co_u32 v11, s4, v9, v22
	s_delay_alu instid0(VALU_DEP_1)
	v_add_co_ci_u32_e64 v12, s4, 0, v10, s4
	flat_load_u8 v11, v[11:12]
.LBB317_93:
	s_or_b32 exec_lo, exec_lo, s5
	v_cmp_ge_u32_e64 s4, v13, v31
	s_mov_b32 s6, exec_lo
                                        ; implicit-def: $vgpr12
	v_cmpx_lt_u32_e64 v13, v31
	s_cbranch_execz .LBB317_95
; %bb.94:
	v_add_co_u32 v14, s5, v9, v13
	s_delay_alu instid0(VALU_DEP_1)
	v_add_co_ci_u32_e64 v15, s5, 0, v10, s5
	flat_load_u8 v12, v[14:15]
.LBB317_95:
	s_or_b32 exec_lo, exec_lo, s6
	s_waitcnt vmcnt(0) lgkmcnt(0)
	v_bfe_i32 v14, v11, 0, 8
	v_bfe_i32 v15, v12, 0, 8
	s_delay_alu instid0(VALU_DEP_1) | instskip(NEXT) | instid1(VALU_DEP_1)
	v_cmp_le_i16_e64 s5, v15, v14
	s_and_b32 s3, s3, s5
	s_delay_alu instid0(SALU_CYCLE_1) | instskip(NEXT) | instid1(SALU_CYCLE_1)
	s_or_b32 s3, s4, s3
	v_cndmask_b32_e64 v14, v13, v22, s3
	v_cndmask_b32_e64 v15, v31, v28, s3
	s_delay_alu instid0(VALU_DEP_2) | instskip(NEXT) | instid1(VALU_DEP_2)
	v_add_nc_u32_e32 v17, 1, v14
	v_add_nc_u32_e32 v15, -1, v15
	s_delay_alu instid0(VALU_DEP_2) | instskip(NEXT) | instid1(VALU_DEP_2)
	v_cndmask_b32_e64 v20, v22, v17, s3
	v_min_u32_e32 v15, v17, v15
	v_cndmask_b32_e64 v13, v17, v13, s3
	s_delay_alu instid0(VALU_DEP_2) | instskip(NEXT) | instid1(VALU_DEP_1)
	v_add_co_u32 v15, s4, v9, v15
	v_add_co_ci_u32_e64 v16, s4, 0, v10, s4
	v_cmp_lt_u32_e64 s4, v20, v28
	s_delay_alu instid0(VALU_DEP_4) | instskip(SKIP_4) | instid1(VALU_DEP_2)
	v_cmp_ge_u32_e64 s6, v13, v31
	flat_load_u8 v15, v[15:16]
	s_waitcnt vmcnt(0) lgkmcnt(0)
	v_cndmask_b32_e64 v23, v15, v12, s3
	v_cndmask_b32_e64 v24, v11, v15, s3
	v_bfe_i32 v15, v23, 0, 8
	s_delay_alu instid0(VALU_DEP_2) | instskip(NEXT) | instid1(VALU_DEP_1)
	v_bfe_i32 v16, v24, 0, 8
	v_cmp_le_i16_e64 s5, v15, v16
	s_delay_alu instid0(VALU_DEP_1) | instskip(NEXT) | instid1(SALU_CYCLE_1)
	s_and_b32 s4, s4, s5
	s_or_b32 s4, s6, s4
	s_delay_alu instid0(SALU_CYCLE_1) | instskip(SKIP_2) | instid1(VALU_DEP_3)
	v_cndmask_b32_e64 v18, v31, v28, s4
	v_mov_b32_e32 v15, 0
	v_cndmask_b32_e64 v30, v23, v24, s4
	v_add_nc_u32_e32 v18, -1, v18
	s_delay_alu instid0(VALU_DEP_3) | instskip(SKIP_1) | instid1(VALU_DEP_1)
	v_lshlrev_b64 v[16:17], 3, v[14:15]
	v_cndmask_b32_e64 v14, v13, v20, s4
	v_add_nc_u32_e32 v21, 1, v14
	s_delay_alu instid0(VALU_DEP_1) | instskip(SKIP_2) | instid1(VALU_DEP_3)
	v_min_u32_e32 v18, v21, v18
	v_cndmask_b32_e64 v20, v20, v21, s4
	v_cndmask_b32_e64 v13, v21, v13, s4
	v_add_co_u32 v18, s5, v9, v18
	s_delay_alu instid0(VALU_DEP_1) | instskip(NEXT) | instid1(VALU_DEP_4)
	v_add_co_ci_u32_e64 v19, s5, 0, v10, s5
	v_cmp_lt_u32_e64 s5, v20, v28
	s_delay_alu instid0(VALU_DEP_4) | instskip(SKIP_4) | instid1(VALU_DEP_2)
	v_cmp_ge_u32_e64 s7, v13, v31
	flat_load_u8 v18, v[18:19]
	s_waitcnt vmcnt(0) lgkmcnt(0)
	v_cndmask_b32_e64 v22, v18, v23, s4
	v_cndmask_b32_e64 v25, v24, v18, s4
	v_bfe_i32 v18, v22, 0, 8
	s_delay_alu instid0(VALU_DEP_2) | instskip(NEXT) | instid1(VALU_DEP_1)
	v_bfe_i32 v19, v25, 0, 8
	v_cmp_le_i16_e64 s6, v18, v19
	v_lshlrev_b64 v[18:19], 3, v[14:15]
	s_delay_alu instid0(VALU_DEP_2) | instskip(NEXT) | instid1(SALU_CYCLE_1)
	s_and_b32 s5, s5, s6
	s_or_b32 s5, s7, s5
	s_delay_alu instid0(SALU_CYCLE_1) | instskip(SKIP_2) | instid1(VALU_DEP_3)
	v_cndmask_b32_e64 v14, v13, v20, s5
	v_cndmask_b32_e64 v21, v31, v28, s5
	v_cndmask_b32_e64 v33, v22, v25, s5
	v_add_nc_u32_e32 v29, 1, v14
	s_delay_alu instid0(VALU_DEP_3) | instskip(NEXT) | instid1(VALU_DEP_2)
	v_add_nc_u32_e32 v21, -1, v21
	v_cndmask_b32_e64 v20, v20, v29, s5
	s_delay_alu instid0(VALU_DEP_2) | instskip(SKIP_2) | instid1(VALU_DEP_4)
	v_min_u32_e32 v21, v29, v21
	v_cndmask_b32_e64 v13, v29, v13, s5
	v_cndmask_b32_e64 v29, v12, v11, s3
	v_cmp_lt_u32_e64 s7, v20, v28
	s_delay_alu instid0(VALU_DEP_4) | instskip(NEXT) | instid1(VALU_DEP_1)
	v_add_co_u32 v9, s6, v9, v21
	v_add_co_ci_u32_e64 v10, s6, 0, v10, s6
	v_cmp_ge_u32_e64 s6, v13, v31
	flat_load_u8 v9, v[9:10]
	s_waitcnt vmcnt(0) lgkmcnt(0)
	v_cndmask_b32_e64 v32, v9, v22, s5
	v_cndmask_b32_e64 v34, v25, v9, s5
	s_delay_alu instid0(VALU_DEP_2) | instskip(NEXT) | instid1(VALU_DEP_2)
	v_bfe_i32 v9, v32, 0, 8
	v_bfe_i32 v10, v34, 0, 8
	s_delay_alu instid0(VALU_DEP_1) | instskip(SKIP_1) | instid1(VALU_DEP_1)
	v_cmp_le_i16_e64 s8, v9, v10
	v_add_co_u32 v9, s9, v4, v16
	v_add_co_ci_u32_e64 v10, s9, v5, v17, s9
	s_delay_alu instid0(VALU_DEP_3)
	s_and_b32 s7, s7, s8
	v_lshlrev_b64 v[16:17], 3, v[14:15]
	s_or_b32 s6, s6, s7
	v_add_co_u32 v18, s7, v4, v18
	v_cndmask_b32_e64 v14, v13, v20, s6
	v_add_co_ci_u32_e64 v19, s7, v5, v19, s7
	s_delay_alu instid0(VALU_DEP_4) | instskip(NEXT) | instid1(VALU_DEP_3)
	v_add_co_u32 v20, s7, v4, v16
	v_lshlrev_b64 v[13:14], 3, v[14:15]
	v_add_co_ci_u32_e64 v21, s7, v5, v17, s7
	v_cndmask_b32_e64 v32, v32, v34, s6
	s_delay_alu instid0(VALU_DEP_3) | instskip(NEXT) | instid1(VALU_DEP_1)
	v_add_co_u32 v4, s7, v4, v13
	v_add_co_ci_u32_e64 v5, s7, v5, v14, s7
	s_clause 0x3
	flat_load_b64 v[14:15], v[9:10] offset:1024
	flat_load_b64 v[16:17], v[18:19] offset:1024
	;; [unrolled: 1-line block ×4, first 2 shown]
.LBB317_96:
	s_or_b32 exec_lo, exec_lo, s11
	; wave barrier
	s_waitcnt vmcnt(0) lgkmcnt(0)
	s_waitcnt_vscnt null, 0x0
	s_barrier
.LBB317_97:
	s_or_b32 exec_lo, exec_lo, s10
	v_add_co_u32 v2, s3, v2, v8
	s_delay_alu instid0(VALU_DEP_1) | instskip(SKIP_4) | instid1(VALU_DEP_1)
	v_add_co_ci_u32_e64 v3, s3, 0, v3, s3
	s_waitcnt vmcnt(0) lgkmcnt(0)
	s_waitcnt_vscnt null, 0x0
	buffer_gl0_inv
	v_add_co_u32 v2, s3, v2, v26
	v_add_co_ci_u32_e64 v3, s3, 0, v3, s3
	; wave barrier
	s_and_saveexec_b32 s3, vcc_lo
	s_cbranch_execnz .LBB317_110
; %bb.98:
	s_or_b32 exec_lo, exec_lo, s3
	s_and_saveexec_b32 s3, s0
	s_cbranch_execnz .LBB317_111
.LBB317_99:
	s_or_b32 exec_lo, exec_lo, s3
	s_and_saveexec_b32 s3, s1
	s_cbranch_execnz .LBB317_112
.LBB317_100:
	s_or_b32 exec_lo, exec_lo, s3
	s_and_saveexec_b32 s3, s2
	s_cbranch_execz .LBB317_102
.LBB317_101:
	flat_store_b8 v[2:3], v32 offset:3
.LBB317_102:
	s_or_b32 exec_lo, exec_lo, s3
	v_add_co_u32 v0, s3, v6, v0
	s_delay_alu instid0(VALU_DEP_1) | instskip(NEXT) | instid1(VALU_DEP_2)
	v_add_co_ci_u32_e64 v1, s3, v7, v1, s3
	v_add_co_u32 v0, s3, v0, v27
	s_delay_alu instid0(VALU_DEP_1)
	v_add_co_ci_u32_e64 v1, s3, 0, v1, s3
	; wave barrier
	s_and_saveexec_b32 s3, vcc_lo
	s_cbranch_execnz .LBB317_113
; %bb.103:
	s_or_b32 exec_lo, exec_lo, s3
	s_and_saveexec_b32 s3, s0
	s_cbranch_execnz .LBB317_114
.LBB317_104:
	s_or_b32 exec_lo, exec_lo, s3
	s_and_saveexec_b32 s0, s1
	s_cbranch_execnz .LBB317_115
.LBB317_105:
	s_or_b32 exec_lo, exec_lo, s0
	s_and_saveexec_b32 s0, s2
	s_cbranch_execnz .LBB317_116
.LBB317_106:
	s_or_b32 exec_lo, exec_lo, s0
	s_waitcnt lgkmcnt(0)
	s_setpc_b64 s[30:31]
.LBB317_107:
	flat_load_b64 v[14:15], v[4:5]
	s_or_b32 exec_lo, exec_lo, s3
	s_and_saveexec_b32 s3, s0
	s_cbranch_execz .LBB317_10
.LBB317_108:
	flat_load_b64 v[16:17], v[4:5] offset:8
	s_or_b32 exec_lo, exec_lo, s3
                                        ; implicit-def: $vgpr18_vgpr19
	s_and_saveexec_b32 s3, s1
	s_cbranch_execz .LBB317_11
.LBB317_109:
	flat_load_b64 v[18:19], v[4:5] offset:16
	s_or_b32 exec_lo, exec_lo, s3
	s_and_saveexec_b32 s3, s2
	s_cbranch_execnz .LBB317_12
	s_branch .LBB317_13
.LBB317_110:
	flat_store_b8 v[2:3], v29
	s_or_b32 exec_lo, exec_lo, s3
	s_and_saveexec_b32 s3, s0
	s_cbranch_execz .LBB317_99
.LBB317_111:
	flat_store_b8 v[2:3], v30 offset:1
	s_or_b32 exec_lo, exec_lo, s3
	s_and_saveexec_b32 s3, s1
	s_cbranch_execz .LBB317_100
.LBB317_112:
	flat_store_b8 v[2:3], v33 offset:2
	s_or_b32 exec_lo, exec_lo, s3
	s_and_saveexec_b32 s3, s2
	s_cbranch_execnz .LBB317_101
	s_branch .LBB317_102
.LBB317_113:
	flat_store_b64 v[0:1], v[14:15]
	s_or_b32 exec_lo, exec_lo, s3
	s_and_saveexec_b32 s3, s0
	s_cbranch_execz .LBB317_104
.LBB317_114:
	flat_store_b64 v[0:1], v[16:17] offset:8
	s_or_b32 exec_lo, exec_lo, s3
	s_and_saveexec_b32 s0, s1
	s_cbranch_execz .LBB317_105
.LBB317_115:
	flat_store_b64 v[0:1], v[18:19] offset:16
	s_or_b32 exec_lo, exec_lo, s0
	s_and_saveexec_b32 s0, s2
	s_cbranch_execz .LBB317_106
.LBB317_116:
	flat_store_b64 v[0:1], v[20:21] offset:24
	s_or_b32 exec_lo, exec_lo, s0
	s_waitcnt lgkmcnt(0)
	s_setpc_b64 s[30:31]
.Lfunc_end317:
	.size	_ZN7rocprim17ROCPRIM_400000_NS6detail26segmented_warp_sort_helperINS1_20WarpSortHelperConfigILj8ELj4ELj256EEEalLi256ELb1EvE4sortIPKaPaPKlPlEEvT_T0_T1_T2_jjjjRNS5_12storage_typeE, .Lfunc_end317-_ZN7rocprim17ROCPRIM_400000_NS6detail26segmented_warp_sort_helperINS1_20WarpSortHelperConfigILj8ELj4ELj256EEEalLi256ELb1EvE4sortIPKaPaPKlPlEEvT_T0_T1_T2_jjjjRNS5_12storage_typeE
                                        ; -- End function
	.section	.AMDGPU.csdata,"",@progbits
; Function info:
; codeLenInByte = 10252
; NumSgprs: 34
; NumVgprs: 65
; ScratchSize: 0
; MemoryBound: 0
	.section	.text._ZN7rocprim17ROCPRIM_400000_NS6detail17trampoline_kernelINS0_14default_configENS1_36segmented_radix_sort_config_selectorIalEEZNS1_25segmented_radix_sort_implIS3_Lb1EPKaPaPKlPlN2at6native12_GLOBAL__N_18offset_tEEE10hipError_tPvRmT1_PNSt15iterator_traitsISK_E10value_typeET2_T3_PNSL_ISQ_E10value_typeET4_jRbjT5_SW_jjP12ihipStream_tbEUlT_E1_NS1_11comp_targetILNS1_3genE9ELNS1_11target_archE1100ELNS1_3gpuE3ELNS1_3repE0EEENS1_59segmented_radix_sort_warp_sort_small_config_static_selectorELNS0_4arch9wavefront6targetE0EEEvSK_,"axG",@progbits,_ZN7rocprim17ROCPRIM_400000_NS6detail17trampoline_kernelINS0_14default_configENS1_36segmented_radix_sort_config_selectorIalEEZNS1_25segmented_radix_sort_implIS3_Lb1EPKaPaPKlPlN2at6native12_GLOBAL__N_18offset_tEEE10hipError_tPvRmT1_PNSt15iterator_traitsISK_E10value_typeET2_T3_PNSL_ISQ_E10value_typeET4_jRbjT5_SW_jjP12ihipStream_tbEUlT_E1_NS1_11comp_targetILNS1_3genE9ELNS1_11target_archE1100ELNS1_3gpuE3ELNS1_3repE0EEENS1_59segmented_radix_sort_warp_sort_small_config_static_selectorELNS0_4arch9wavefront6targetE0EEEvSK_,comdat
	.globl	_ZN7rocprim17ROCPRIM_400000_NS6detail17trampoline_kernelINS0_14default_configENS1_36segmented_radix_sort_config_selectorIalEEZNS1_25segmented_radix_sort_implIS3_Lb1EPKaPaPKlPlN2at6native12_GLOBAL__N_18offset_tEEE10hipError_tPvRmT1_PNSt15iterator_traitsISK_E10value_typeET2_T3_PNSL_ISQ_E10value_typeET4_jRbjT5_SW_jjP12ihipStream_tbEUlT_E1_NS1_11comp_targetILNS1_3genE9ELNS1_11target_archE1100ELNS1_3gpuE3ELNS1_3repE0EEENS1_59segmented_radix_sort_warp_sort_small_config_static_selectorELNS0_4arch9wavefront6targetE0EEEvSK_ ; -- Begin function _ZN7rocprim17ROCPRIM_400000_NS6detail17trampoline_kernelINS0_14default_configENS1_36segmented_radix_sort_config_selectorIalEEZNS1_25segmented_radix_sort_implIS3_Lb1EPKaPaPKlPlN2at6native12_GLOBAL__N_18offset_tEEE10hipError_tPvRmT1_PNSt15iterator_traitsISK_E10value_typeET2_T3_PNSL_ISQ_E10value_typeET4_jRbjT5_SW_jjP12ihipStream_tbEUlT_E1_NS1_11comp_targetILNS1_3genE9ELNS1_11target_archE1100ELNS1_3gpuE3ELNS1_3repE0EEENS1_59segmented_radix_sort_warp_sort_small_config_static_selectorELNS0_4arch9wavefront6targetE0EEEvSK_
	.p2align	8
	.type	_ZN7rocprim17ROCPRIM_400000_NS6detail17trampoline_kernelINS0_14default_configENS1_36segmented_radix_sort_config_selectorIalEEZNS1_25segmented_radix_sort_implIS3_Lb1EPKaPaPKlPlN2at6native12_GLOBAL__N_18offset_tEEE10hipError_tPvRmT1_PNSt15iterator_traitsISK_E10value_typeET2_T3_PNSL_ISQ_E10value_typeET4_jRbjT5_SW_jjP12ihipStream_tbEUlT_E1_NS1_11comp_targetILNS1_3genE9ELNS1_11target_archE1100ELNS1_3gpuE3ELNS1_3repE0EEENS1_59segmented_radix_sort_warp_sort_small_config_static_selectorELNS0_4arch9wavefront6targetE0EEEvSK_,@function
_ZN7rocprim17ROCPRIM_400000_NS6detail17trampoline_kernelINS0_14default_configENS1_36segmented_radix_sort_config_selectorIalEEZNS1_25segmented_radix_sort_implIS3_Lb1EPKaPaPKlPlN2at6native12_GLOBAL__N_18offset_tEEE10hipError_tPvRmT1_PNSt15iterator_traitsISK_E10value_typeET2_T3_PNSL_ISQ_E10value_typeET4_jRbjT5_SW_jjP12ihipStream_tbEUlT_E1_NS1_11comp_targetILNS1_3genE9ELNS1_11target_archE1100ELNS1_3gpuE3ELNS1_3repE0EEENS1_59segmented_radix_sort_warp_sort_small_config_static_selectorELNS0_4arch9wavefront6targetE0EEEvSK_: ; @_ZN7rocprim17ROCPRIM_400000_NS6detail17trampoline_kernelINS0_14default_configENS1_36segmented_radix_sort_config_selectorIalEEZNS1_25segmented_radix_sort_implIS3_Lb1EPKaPaPKlPlN2at6native12_GLOBAL__N_18offset_tEEE10hipError_tPvRmT1_PNSt15iterator_traitsISK_E10value_typeET2_T3_PNSL_ISQ_E10value_typeET4_jRbjT5_SW_jjP12ihipStream_tbEUlT_E1_NS1_11comp_targetILNS1_3genE9ELNS1_11target_archE1100ELNS1_3gpuE3ELNS1_3repE0EEENS1_59segmented_radix_sort_warp_sort_small_config_static_selectorELNS0_4arch9wavefront6targetE0EEEvSK_
; %bb.0:
	s_load_b32 s2, s[0:1], 0x64
	v_bfe_u32 v1, v0, 10, 10
	v_bfe_u32 v2, v0, 20, 10
	s_mov_b32 s12, s14
	s_mov_b32 s32, 0
	s_waitcnt lgkmcnt(0)
	s_lshr_b32 s3, s2, 16
	s_and_b32 s2, s2, 0xffff
	v_mad_u32_u24 v4, v2, s3, v1
	v_and_b32_e32 v1, 0x3ff, v0
	s_load_b32 s3, s[0:1], 0x34
	s_delay_alu instid0(VALU_DEP_1) | instskip(SKIP_1) | instid1(VALU_DEP_1)
	v_mad_u64_u32 v[2:3], null, v4, s2, v[1:2]
	s_mov_b32 s2, exec_lo
	v_lshrrev_b32_e32 v1, 3, v2
	s_delay_alu instid0(VALU_DEP_1) | instskip(SKIP_1) | instid1(VALU_DEP_1)
	v_lshl_add_u32 v1, s12, 5, v1
	s_waitcnt lgkmcnt(0)
	v_cmpx_gt_u32_e64 s3, v1
	s_cbranch_execz .LBB318_6
; %bb.1:
	s_clause 0x1
	s_load_b64 s[2:3], s[0:1], 0x38
	s_load_b128 s[4:7], s[0:1], 0x40
	v_mov_b32_e32 v2, 0
	s_delay_alu instid0(VALU_DEP_1) | instskip(SKIP_1) | instid1(VALU_DEP_1)
	v_lshlrev_b64 v[1:2], 2, v[1:2]
	s_waitcnt lgkmcnt(0)
	v_sub_co_u32 v1, vcc_lo, s2, v1
	s_delay_alu instid0(VALU_DEP_2) | instskip(SKIP_4) | instid1(VALU_DEP_2)
	v_sub_co_ci_u32_e32 v2, vcc_lo, s3, v2, vcc_lo
	global_load_b32 v1, v[1:2], off offset:-4
	s_waitcnt vmcnt(0)
	v_add_nc_u32_e32 v2, s5, v1
	v_add_nc_u32_e32 v1, s7, v1
	v_mul_lo_u32 v8, v2, s4
	s_delay_alu instid0(VALU_DEP_2) | instskip(NEXT) | instid1(VALU_DEP_1)
	v_mul_lo_u32 v40, v1, s6
	v_cmp_gt_u32_e32 vcc_lo, v40, v8
	s_and_b32 exec_lo, exec_lo, vcc_lo
	s_cbranch_execz .LBB318_6
; %bb.2:
	s_clause 0x3
	s_load_b32 s2, s[0:1], 0x30
	s_load_b128 s[24:27], s[0:1], 0x20
	s_load_b256 s[16:23], s[0:1], 0x0
	s_load_b64 s[28:29], s[0:1], 0x50
	s_mov_b32 s13, s15
	s_waitcnt lgkmcnt(0)
	s_bitcmp0_b32 s2, 0
	s_mov_b32 s2, -1
	s_cbranch_scc0 .LBB318_4
; %bb.3:
	s_mov_b64 s[2:3], src_shared_base
	v_mov_b32_e32 v31, v0
	v_dual_mov_b32 v41, v0 :: v_dual_mov_b32 v2, s18
	v_dual_mov_b32 v0, s16 :: v_dual_mov_b32 v1, s17
	;; [unrolled: 1-line block ×6, first 2 shown]
	v_mov_b32_e32 v11, s29
	v_mov_b32_e32 v13, s3
	s_add_u32 s8, s0, 0x58
	s_addc_u32 s9, s1, 0
	s_getpc_b64 s[4:5]
	s_add_u32 s4, s4, _ZN7rocprim17ROCPRIM_400000_NS6detail26segmented_warp_sort_helperINS1_20WarpSortHelperConfigILj8ELj4ELj256EEEalLi256ELb1EvE4sortIPKaPaPKlPlEEvT_T0_T1_T2_jjjjRNS5_12storage_typeE@rel32@lo+4
	s_addc_u32 s5, s5, _ZN7rocprim17ROCPRIM_400000_NS6detail26segmented_warp_sort_helperINS1_20WarpSortHelperConfigILj8ELj4ELj256EEEalLi256ELb1EvE4sortIPKaPaPKlPlEEvT_T0_T1_T2_jjjjRNS5_12storage_typeE@rel32@hi+12
	s_mov_b64 s[18:19], s[0:1]
	s_swappc_b64 s[30:31], s[4:5]
	v_mov_b32_e32 v0, v41
	s_mov_b64 s[0:1], s[18:19]
	s_mov_b32 s2, 0
.LBB318_4:
	s_delay_alu instid0(SALU_CYCLE_1)
	s_and_not1_b32 vcc_lo, exec_lo, s2
	s_cbranch_vccnz .LBB318_6
; %bb.5:
	s_add_u32 s8, s0, 0x58
	s_addc_u32 s9, s1, 0
	s_mov_b64 s[0:1], src_shared_base
	v_dual_mov_b32 v31, v0 :: v_dual_mov_b32 v0, s16
	v_dual_mov_b32 v1, s17 :: v_dual_mov_b32 v2, s20
	;; [unrolled: 1-line block ×6, first 2 shown]
	v_mov_b32_e32 v11, s29
	v_mov_b32_e32 v13, s1
	s_getpc_b64 s[2:3]
	s_add_u32 s2, s2, _ZN7rocprim17ROCPRIM_400000_NS6detail26segmented_warp_sort_helperINS1_20WarpSortHelperConfigILj8ELj4ELj256EEEalLi256ELb1EvE4sortIPKaPaPKlPlEEvT_T0_T1_T2_jjjjRNS5_12storage_typeE@rel32@lo+4
	s_addc_u32 s3, s3, _ZN7rocprim17ROCPRIM_400000_NS6detail26segmented_warp_sort_helperINS1_20WarpSortHelperConfigILj8ELj4ELj256EEEalLi256ELb1EvE4sortIPKaPaPKlPlEEvT_T0_T1_T2_jjjjRNS5_12storage_typeE@rel32@hi+12
	s_delay_alu instid0(SALU_CYCLE_1)
	s_swappc_b64 s[30:31], s[2:3]
.LBB318_6:
	s_endpgm
	.section	.rodata,"a",@progbits
	.p2align	6, 0x0
	.amdhsa_kernel _ZN7rocprim17ROCPRIM_400000_NS6detail17trampoline_kernelINS0_14default_configENS1_36segmented_radix_sort_config_selectorIalEEZNS1_25segmented_radix_sort_implIS3_Lb1EPKaPaPKlPlN2at6native12_GLOBAL__N_18offset_tEEE10hipError_tPvRmT1_PNSt15iterator_traitsISK_E10value_typeET2_T3_PNSL_ISQ_E10value_typeET4_jRbjT5_SW_jjP12ihipStream_tbEUlT_E1_NS1_11comp_targetILNS1_3genE9ELNS1_11target_archE1100ELNS1_3gpuE3ELNS1_3repE0EEENS1_59segmented_radix_sort_warp_sort_small_config_static_selectorELNS0_4arch9wavefront6targetE0EEEvSK_
		.amdhsa_group_segment_fixed_size 9216
		.amdhsa_private_segment_fixed_size 0
		.amdhsa_kernarg_size 344
		.amdhsa_user_sgpr_count 14
		.amdhsa_user_sgpr_dispatch_ptr 0
		.amdhsa_user_sgpr_queue_ptr 0
		.amdhsa_user_sgpr_kernarg_segment_ptr 1
		.amdhsa_user_sgpr_dispatch_id 0
		.amdhsa_user_sgpr_private_segment_size 0
		.amdhsa_wavefront_size32 1
		.amdhsa_uses_dynamic_stack 0
		.amdhsa_enable_private_segment 0
		.amdhsa_system_sgpr_workgroup_id_x 1
		.amdhsa_system_sgpr_workgroup_id_y 1
		.amdhsa_system_sgpr_workgroup_id_z 0
		.amdhsa_system_sgpr_workgroup_info 0
		.amdhsa_system_vgpr_workitem_id 2
		.amdhsa_next_free_vgpr 65
		.amdhsa_next_free_sgpr 33
		.amdhsa_reserve_vcc 1
		.amdhsa_float_round_mode_32 0
		.amdhsa_float_round_mode_16_64 0
		.amdhsa_float_denorm_mode_32 3
		.amdhsa_float_denorm_mode_16_64 3
		.amdhsa_dx10_clamp 1
		.amdhsa_ieee_mode 1
		.amdhsa_fp16_overflow 0
		.amdhsa_workgroup_processor_mode 1
		.amdhsa_memory_ordered 1
		.amdhsa_forward_progress 0
		.amdhsa_shared_vgpr_count 0
		.amdhsa_exception_fp_ieee_invalid_op 0
		.amdhsa_exception_fp_denorm_src 0
		.amdhsa_exception_fp_ieee_div_zero 0
		.amdhsa_exception_fp_ieee_overflow 0
		.amdhsa_exception_fp_ieee_underflow 0
		.amdhsa_exception_fp_ieee_inexact 0
		.amdhsa_exception_int_div_zero 0
	.end_amdhsa_kernel
	.section	.text._ZN7rocprim17ROCPRIM_400000_NS6detail17trampoline_kernelINS0_14default_configENS1_36segmented_radix_sort_config_selectorIalEEZNS1_25segmented_radix_sort_implIS3_Lb1EPKaPaPKlPlN2at6native12_GLOBAL__N_18offset_tEEE10hipError_tPvRmT1_PNSt15iterator_traitsISK_E10value_typeET2_T3_PNSL_ISQ_E10value_typeET4_jRbjT5_SW_jjP12ihipStream_tbEUlT_E1_NS1_11comp_targetILNS1_3genE9ELNS1_11target_archE1100ELNS1_3gpuE3ELNS1_3repE0EEENS1_59segmented_radix_sort_warp_sort_small_config_static_selectorELNS0_4arch9wavefront6targetE0EEEvSK_,"axG",@progbits,_ZN7rocprim17ROCPRIM_400000_NS6detail17trampoline_kernelINS0_14default_configENS1_36segmented_radix_sort_config_selectorIalEEZNS1_25segmented_radix_sort_implIS3_Lb1EPKaPaPKlPlN2at6native12_GLOBAL__N_18offset_tEEE10hipError_tPvRmT1_PNSt15iterator_traitsISK_E10value_typeET2_T3_PNSL_ISQ_E10value_typeET4_jRbjT5_SW_jjP12ihipStream_tbEUlT_E1_NS1_11comp_targetILNS1_3genE9ELNS1_11target_archE1100ELNS1_3gpuE3ELNS1_3repE0EEENS1_59segmented_radix_sort_warp_sort_small_config_static_selectorELNS0_4arch9wavefront6targetE0EEEvSK_,comdat
.Lfunc_end318:
	.size	_ZN7rocprim17ROCPRIM_400000_NS6detail17trampoline_kernelINS0_14default_configENS1_36segmented_radix_sort_config_selectorIalEEZNS1_25segmented_radix_sort_implIS3_Lb1EPKaPaPKlPlN2at6native12_GLOBAL__N_18offset_tEEE10hipError_tPvRmT1_PNSt15iterator_traitsISK_E10value_typeET2_T3_PNSL_ISQ_E10value_typeET4_jRbjT5_SW_jjP12ihipStream_tbEUlT_E1_NS1_11comp_targetILNS1_3genE9ELNS1_11target_archE1100ELNS1_3gpuE3ELNS1_3repE0EEENS1_59segmented_radix_sort_warp_sort_small_config_static_selectorELNS0_4arch9wavefront6targetE0EEEvSK_, .Lfunc_end318-_ZN7rocprim17ROCPRIM_400000_NS6detail17trampoline_kernelINS0_14default_configENS1_36segmented_radix_sort_config_selectorIalEEZNS1_25segmented_radix_sort_implIS3_Lb1EPKaPaPKlPlN2at6native12_GLOBAL__N_18offset_tEEE10hipError_tPvRmT1_PNSt15iterator_traitsISK_E10value_typeET2_T3_PNSL_ISQ_E10value_typeET4_jRbjT5_SW_jjP12ihipStream_tbEUlT_E1_NS1_11comp_targetILNS1_3genE9ELNS1_11target_archE1100ELNS1_3gpuE3ELNS1_3repE0EEENS1_59segmented_radix_sort_warp_sort_small_config_static_selectorELNS0_4arch9wavefront6targetE0EEEvSK_
                                        ; -- End function
	.section	.AMDGPU.csdata,"",@progbits
; Kernel info:
; codeLenInByte = 516
; NumSgprs: 35
; NumVgprs: 65
; ScratchSize: 0
; MemoryBound: 0
; FloatMode: 240
; IeeeMode: 1
; LDSByteSize: 9216 bytes/workgroup (compile time only)
; SGPRBlocks: 4
; VGPRBlocks: 8
; NumSGPRsForWavesPerEU: 35
; NumVGPRsForWavesPerEU: 65
; Occupancy: 16
; WaveLimiterHint : 0
; COMPUTE_PGM_RSRC2:SCRATCH_EN: 0
; COMPUTE_PGM_RSRC2:USER_SGPR: 14
; COMPUTE_PGM_RSRC2:TRAP_HANDLER: 0
; COMPUTE_PGM_RSRC2:TGID_X_EN: 1
; COMPUTE_PGM_RSRC2:TGID_Y_EN: 1
; COMPUTE_PGM_RSRC2:TGID_Z_EN: 0
; COMPUTE_PGM_RSRC2:TIDIG_COMP_CNT: 2
	.section	.text._ZN7rocprim17ROCPRIM_400000_NS6detail17trampoline_kernelINS0_14default_configENS1_36segmented_radix_sort_config_selectorIalEEZNS1_25segmented_radix_sort_implIS3_Lb1EPKaPaPKlPlN2at6native12_GLOBAL__N_18offset_tEEE10hipError_tPvRmT1_PNSt15iterator_traitsISK_E10value_typeET2_T3_PNSL_ISQ_E10value_typeET4_jRbjT5_SW_jjP12ihipStream_tbEUlT_E1_NS1_11comp_targetILNS1_3genE8ELNS1_11target_archE1030ELNS1_3gpuE2ELNS1_3repE0EEENS1_59segmented_radix_sort_warp_sort_small_config_static_selectorELNS0_4arch9wavefront6targetE0EEEvSK_,"axG",@progbits,_ZN7rocprim17ROCPRIM_400000_NS6detail17trampoline_kernelINS0_14default_configENS1_36segmented_radix_sort_config_selectorIalEEZNS1_25segmented_radix_sort_implIS3_Lb1EPKaPaPKlPlN2at6native12_GLOBAL__N_18offset_tEEE10hipError_tPvRmT1_PNSt15iterator_traitsISK_E10value_typeET2_T3_PNSL_ISQ_E10value_typeET4_jRbjT5_SW_jjP12ihipStream_tbEUlT_E1_NS1_11comp_targetILNS1_3genE8ELNS1_11target_archE1030ELNS1_3gpuE2ELNS1_3repE0EEENS1_59segmented_radix_sort_warp_sort_small_config_static_selectorELNS0_4arch9wavefront6targetE0EEEvSK_,comdat
	.globl	_ZN7rocprim17ROCPRIM_400000_NS6detail17trampoline_kernelINS0_14default_configENS1_36segmented_radix_sort_config_selectorIalEEZNS1_25segmented_radix_sort_implIS3_Lb1EPKaPaPKlPlN2at6native12_GLOBAL__N_18offset_tEEE10hipError_tPvRmT1_PNSt15iterator_traitsISK_E10value_typeET2_T3_PNSL_ISQ_E10value_typeET4_jRbjT5_SW_jjP12ihipStream_tbEUlT_E1_NS1_11comp_targetILNS1_3genE8ELNS1_11target_archE1030ELNS1_3gpuE2ELNS1_3repE0EEENS1_59segmented_radix_sort_warp_sort_small_config_static_selectorELNS0_4arch9wavefront6targetE0EEEvSK_ ; -- Begin function _ZN7rocprim17ROCPRIM_400000_NS6detail17trampoline_kernelINS0_14default_configENS1_36segmented_radix_sort_config_selectorIalEEZNS1_25segmented_radix_sort_implIS3_Lb1EPKaPaPKlPlN2at6native12_GLOBAL__N_18offset_tEEE10hipError_tPvRmT1_PNSt15iterator_traitsISK_E10value_typeET2_T3_PNSL_ISQ_E10value_typeET4_jRbjT5_SW_jjP12ihipStream_tbEUlT_E1_NS1_11comp_targetILNS1_3genE8ELNS1_11target_archE1030ELNS1_3gpuE2ELNS1_3repE0EEENS1_59segmented_radix_sort_warp_sort_small_config_static_selectorELNS0_4arch9wavefront6targetE0EEEvSK_
	.p2align	8
	.type	_ZN7rocprim17ROCPRIM_400000_NS6detail17trampoline_kernelINS0_14default_configENS1_36segmented_radix_sort_config_selectorIalEEZNS1_25segmented_radix_sort_implIS3_Lb1EPKaPaPKlPlN2at6native12_GLOBAL__N_18offset_tEEE10hipError_tPvRmT1_PNSt15iterator_traitsISK_E10value_typeET2_T3_PNSL_ISQ_E10value_typeET4_jRbjT5_SW_jjP12ihipStream_tbEUlT_E1_NS1_11comp_targetILNS1_3genE8ELNS1_11target_archE1030ELNS1_3gpuE2ELNS1_3repE0EEENS1_59segmented_radix_sort_warp_sort_small_config_static_selectorELNS0_4arch9wavefront6targetE0EEEvSK_,@function
_ZN7rocprim17ROCPRIM_400000_NS6detail17trampoline_kernelINS0_14default_configENS1_36segmented_radix_sort_config_selectorIalEEZNS1_25segmented_radix_sort_implIS3_Lb1EPKaPaPKlPlN2at6native12_GLOBAL__N_18offset_tEEE10hipError_tPvRmT1_PNSt15iterator_traitsISK_E10value_typeET2_T3_PNSL_ISQ_E10value_typeET4_jRbjT5_SW_jjP12ihipStream_tbEUlT_E1_NS1_11comp_targetILNS1_3genE8ELNS1_11target_archE1030ELNS1_3gpuE2ELNS1_3repE0EEENS1_59segmented_radix_sort_warp_sort_small_config_static_selectorELNS0_4arch9wavefront6targetE0EEEvSK_: ; @_ZN7rocprim17ROCPRIM_400000_NS6detail17trampoline_kernelINS0_14default_configENS1_36segmented_radix_sort_config_selectorIalEEZNS1_25segmented_radix_sort_implIS3_Lb1EPKaPaPKlPlN2at6native12_GLOBAL__N_18offset_tEEE10hipError_tPvRmT1_PNSt15iterator_traitsISK_E10value_typeET2_T3_PNSL_ISQ_E10value_typeET4_jRbjT5_SW_jjP12ihipStream_tbEUlT_E1_NS1_11comp_targetILNS1_3genE8ELNS1_11target_archE1030ELNS1_3gpuE2ELNS1_3repE0EEENS1_59segmented_radix_sort_warp_sort_small_config_static_selectorELNS0_4arch9wavefront6targetE0EEEvSK_
; %bb.0:
	.section	.rodata,"a",@progbits
	.p2align	6, 0x0
	.amdhsa_kernel _ZN7rocprim17ROCPRIM_400000_NS6detail17trampoline_kernelINS0_14default_configENS1_36segmented_radix_sort_config_selectorIalEEZNS1_25segmented_radix_sort_implIS3_Lb1EPKaPaPKlPlN2at6native12_GLOBAL__N_18offset_tEEE10hipError_tPvRmT1_PNSt15iterator_traitsISK_E10value_typeET2_T3_PNSL_ISQ_E10value_typeET4_jRbjT5_SW_jjP12ihipStream_tbEUlT_E1_NS1_11comp_targetILNS1_3genE8ELNS1_11target_archE1030ELNS1_3gpuE2ELNS1_3repE0EEENS1_59segmented_radix_sort_warp_sort_small_config_static_selectorELNS0_4arch9wavefront6targetE0EEEvSK_
		.amdhsa_group_segment_fixed_size 0
		.amdhsa_private_segment_fixed_size 0
		.amdhsa_kernarg_size 88
		.amdhsa_user_sgpr_count 15
		.amdhsa_user_sgpr_dispatch_ptr 0
		.amdhsa_user_sgpr_queue_ptr 0
		.amdhsa_user_sgpr_kernarg_segment_ptr 1
		.amdhsa_user_sgpr_dispatch_id 0
		.amdhsa_user_sgpr_private_segment_size 0
		.amdhsa_wavefront_size32 1
		.amdhsa_uses_dynamic_stack 0
		.amdhsa_enable_private_segment 0
		.amdhsa_system_sgpr_workgroup_id_x 1
		.amdhsa_system_sgpr_workgroup_id_y 0
		.amdhsa_system_sgpr_workgroup_id_z 0
		.amdhsa_system_sgpr_workgroup_info 0
		.amdhsa_system_vgpr_workitem_id 0
		.amdhsa_next_free_vgpr 1
		.amdhsa_next_free_sgpr 1
		.amdhsa_reserve_vcc 0
		.amdhsa_float_round_mode_32 0
		.amdhsa_float_round_mode_16_64 0
		.amdhsa_float_denorm_mode_32 3
		.amdhsa_float_denorm_mode_16_64 3
		.amdhsa_dx10_clamp 1
		.amdhsa_ieee_mode 1
		.amdhsa_fp16_overflow 0
		.amdhsa_workgroup_processor_mode 1
		.amdhsa_memory_ordered 1
		.amdhsa_forward_progress 0
		.amdhsa_shared_vgpr_count 0
		.amdhsa_exception_fp_ieee_invalid_op 0
		.amdhsa_exception_fp_denorm_src 0
		.amdhsa_exception_fp_ieee_div_zero 0
		.amdhsa_exception_fp_ieee_overflow 0
		.amdhsa_exception_fp_ieee_underflow 0
		.amdhsa_exception_fp_ieee_inexact 0
		.amdhsa_exception_int_div_zero 0
	.end_amdhsa_kernel
	.section	.text._ZN7rocprim17ROCPRIM_400000_NS6detail17trampoline_kernelINS0_14default_configENS1_36segmented_radix_sort_config_selectorIalEEZNS1_25segmented_radix_sort_implIS3_Lb1EPKaPaPKlPlN2at6native12_GLOBAL__N_18offset_tEEE10hipError_tPvRmT1_PNSt15iterator_traitsISK_E10value_typeET2_T3_PNSL_ISQ_E10value_typeET4_jRbjT5_SW_jjP12ihipStream_tbEUlT_E1_NS1_11comp_targetILNS1_3genE8ELNS1_11target_archE1030ELNS1_3gpuE2ELNS1_3repE0EEENS1_59segmented_radix_sort_warp_sort_small_config_static_selectorELNS0_4arch9wavefront6targetE0EEEvSK_,"axG",@progbits,_ZN7rocprim17ROCPRIM_400000_NS6detail17trampoline_kernelINS0_14default_configENS1_36segmented_radix_sort_config_selectorIalEEZNS1_25segmented_radix_sort_implIS3_Lb1EPKaPaPKlPlN2at6native12_GLOBAL__N_18offset_tEEE10hipError_tPvRmT1_PNSt15iterator_traitsISK_E10value_typeET2_T3_PNSL_ISQ_E10value_typeET4_jRbjT5_SW_jjP12ihipStream_tbEUlT_E1_NS1_11comp_targetILNS1_3genE8ELNS1_11target_archE1030ELNS1_3gpuE2ELNS1_3repE0EEENS1_59segmented_radix_sort_warp_sort_small_config_static_selectorELNS0_4arch9wavefront6targetE0EEEvSK_,comdat
.Lfunc_end319:
	.size	_ZN7rocprim17ROCPRIM_400000_NS6detail17trampoline_kernelINS0_14default_configENS1_36segmented_radix_sort_config_selectorIalEEZNS1_25segmented_radix_sort_implIS3_Lb1EPKaPaPKlPlN2at6native12_GLOBAL__N_18offset_tEEE10hipError_tPvRmT1_PNSt15iterator_traitsISK_E10value_typeET2_T3_PNSL_ISQ_E10value_typeET4_jRbjT5_SW_jjP12ihipStream_tbEUlT_E1_NS1_11comp_targetILNS1_3genE8ELNS1_11target_archE1030ELNS1_3gpuE2ELNS1_3repE0EEENS1_59segmented_radix_sort_warp_sort_small_config_static_selectorELNS0_4arch9wavefront6targetE0EEEvSK_, .Lfunc_end319-_ZN7rocprim17ROCPRIM_400000_NS6detail17trampoline_kernelINS0_14default_configENS1_36segmented_radix_sort_config_selectorIalEEZNS1_25segmented_radix_sort_implIS3_Lb1EPKaPaPKlPlN2at6native12_GLOBAL__N_18offset_tEEE10hipError_tPvRmT1_PNSt15iterator_traitsISK_E10value_typeET2_T3_PNSL_ISQ_E10value_typeET4_jRbjT5_SW_jjP12ihipStream_tbEUlT_E1_NS1_11comp_targetILNS1_3genE8ELNS1_11target_archE1030ELNS1_3gpuE2ELNS1_3repE0EEENS1_59segmented_radix_sort_warp_sort_small_config_static_selectorELNS0_4arch9wavefront6targetE0EEEvSK_
                                        ; -- End function
	.section	.AMDGPU.csdata,"",@progbits
; Kernel info:
; codeLenInByte = 0
; NumSgprs: 0
; NumVgprs: 0
; ScratchSize: 0
; MemoryBound: 0
; FloatMode: 240
; IeeeMode: 1
; LDSByteSize: 0 bytes/workgroup (compile time only)
; SGPRBlocks: 0
; VGPRBlocks: 0
; NumSGPRsForWavesPerEU: 1
; NumVGPRsForWavesPerEU: 1
; Occupancy: 16
; WaveLimiterHint : 0
; COMPUTE_PGM_RSRC2:SCRATCH_EN: 0
; COMPUTE_PGM_RSRC2:USER_SGPR: 15
; COMPUTE_PGM_RSRC2:TRAP_HANDLER: 0
; COMPUTE_PGM_RSRC2:TGID_X_EN: 1
; COMPUTE_PGM_RSRC2:TGID_Y_EN: 0
; COMPUTE_PGM_RSRC2:TGID_Z_EN: 0
; COMPUTE_PGM_RSRC2:TIDIG_COMP_CNT: 0
	.section	.text._ZN7rocprim17ROCPRIM_400000_NS6detail17trampoline_kernelINS0_14default_configENS1_36segmented_radix_sort_config_selectorIalEEZNS1_25segmented_radix_sort_implIS3_Lb1EPKaPaPKlPlN2at6native12_GLOBAL__N_18offset_tEEE10hipError_tPvRmT1_PNSt15iterator_traitsISK_E10value_typeET2_T3_PNSL_ISQ_E10value_typeET4_jRbjT5_SW_jjP12ihipStream_tbEUlT_E2_NS1_11comp_targetILNS1_3genE0ELNS1_11target_archE4294967295ELNS1_3gpuE0ELNS1_3repE0EEENS1_30default_config_static_selectorELNS0_4arch9wavefront6targetE0EEEvSK_,"axG",@progbits,_ZN7rocprim17ROCPRIM_400000_NS6detail17trampoline_kernelINS0_14default_configENS1_36segmented_radix_sort_config_selectorIalEEZNS1_25segmented_radix_sort_implIS3_Lb1EPKaPaPKlPlN2at6native12_GLOBAL__N_18offset_tEEE10hipError_tPvRmT1_PNSt15iterator_traitsISK_E10value_typeET2_T3_PNSL_ISQ_E10value_typeET4_jRbjT5_SW_jjP12ihipStream_tbEUlT_E2_NS1_11comp_targetILNS1_3genE0ELNS1_11target_archE4294967295ELNS1_3gpuE0ELNS1_3repE0EEENS1_30default_config_static_selectorELNS0_4arch9wavefront6targetE0EEEvSK_,comdat
	.globl	_ZN7rocprim17ROCPRIM_400000_NS6detail17trampoline_kernelINS0_14default_configENS1_36segmented_radix_sort_config_selectorIalEEZNS1_25segmented_radix_sort_implIS3_Lb1EPKaPaPKlPlN2at6native12_GLOBAL__N_18offset_tEEE10hipError_tPvRmT1_PNSt15iterator_traitsISK_E10value_typeET2_T3_PNSL_ISQ_E10value_typeET4_jRbjT5_SW_jjP12ihipStream_tbEUlT_E2_NS1_11comp_targetILNS1_3genE0ELNS1_11target_archE4294967295ELNS1_3gpuE0ELNS1_3repE0EEENS1_30default_config_static_selectorELNS0_4arch9wavefront6targetE0EEEvSK_ ; -- Begin function _ZN7rocprim17ROCPRIM_400000_NS6detail17trampoline_kernelINS0_14default_configENS1_36segmented_radix_sort_config_selectorIalEEZNS1_25segmented_radix_sort_implIS3_Lb1EPKaPaPKlPlN2at6native12_GLOBAL__N_18offset_tEEE10hipError_tPvRmT1_PNSt15iterator_traitsISK_E10value_typeET2_T3_PNSL_ISQ_E10value_typeET4_jRbjT5_SW_jjP12ihipStream_tbEUlT_E2_NS1_11comp_targetILNS1_3genE0ELNS1_11target_archE4294967295ELNS1_3gpuE0ELNS1_3repE0EEENS1_30default_config_static_selectorELNS0_4arch9wavefront6targetE0EEEvSK_
	.p2align	8
	.type	_ZN7rocprim17ROCPRIM_400000_NS6detail17trampoline_kernelINS0_14default_configENS1_36segmented_radix_sort_config_selectorIalEEZNS1_25segmented_radix_sort_implIS3_Lb1EPKaPaPKlPlN2at6native12_GLOBAL__N_18offset_tEEE10hipError_tPvRmT1_PNSt15iterator_traitsISK_E10value_typeET2_T3_PNSL_ISQ_E10value_typeET4_jRbjT5_SW_jjP12ihipStream_tbEUlT_E2_NS1_11comp_targetILNS1_3genE0ELNS1_11target_archE4294967295ELNS1_3gpuE0ELNS1_3repE0EEENS1_30default_config_static_selectorELNS0_4arch9wavefront6targetE0EEEvSK_,@function
_ZN7rocprim17ROCPRIM_400000_NS6detail17trampoline_kernelINS0_14default_configENS1_36segmented_radix_sort_config_selectorIalEEZNS1_25segmented_radix_sort_implIS3_Lb1EPKaPaPKlPlN2at6native12_GLOBAL__N_18offset_tEEE10hipError_tPvRmT1_PNSt15iterator_traitsISK_E10value_typeET2_T3_PNSL_ISQ_E10value_typeET4_jRbjT5_SW_jjP12ihipStream_tbEUlT_E2_NS1_11comp_targetILNS1_3genE0ELNS1_11target_archE4294967295ELNS1_3gpuE0ELNS1_3repE0EEENS1_30default_config_static_selectorELNS0_4arch9wavefront6targetE0EEEvSK_: ; @_ZN7rocprim17ROCPRIM_400000_NS6detail17trampoline_kernelINS0_14default_configENS1_36segmented_radix_sort_config_selectorIalEEZNS1_25segmented_radix_sort_implIS3_Lb1EPKaPaPKlPlN2at6native12_GLOBAL__N_18offset_tEEE10hipError_tPvRmT1_PNSt15iterator_traitsISK_E10value_typeET2_T3_PNSL_ISQ_E10value_typeET4_jRbjT5_SW_jjP12ihipStream_tbEUlT_E2_NS1_11comp_targetILNS1_3genE0ELNS1_11target_archE4294967295ELNS1_3gpuE0ELNS1_3repE0EEENS1_30default_config_static_selectorELNS0_4arch9wavefront6targetE0EEEvSK_
; %bb.0:
	.section	.rodata,"a",@progbits
	.p2align	6, 0x0
	.amdhsa_kernel _ZN7rocprim17ROCPRIM_400000_NS6detail17trampoline_kernelINS0_14default_configENS1_36segmented_radix_sort_config_selectorIalEEZNS1_25segmented_radix_sort_implIS3_Lb1EPKaPaPKlPlN2at6native12_GLOBAL__N_18offset_tEEE10hipError_tPvRmT1_PNSt15iterator_traitsISK_E10value_typeET2_T3_PNSL_ISQ_E10value_typeET4_jRbjT5_SW_jjP12ihipStream_tbEUlT_E2_NS1_11comp_targetILNS1_3genE0ELNS1_11target_archE4294967295ELNS1_3gpuE0ELNS1_3repE0EEENS1_30default_config_static_selectorELNS0_4arch9wavefront6targetE0EEEvSK_
		.amdhsa_group_segment_fixed_size 0
		.amdhsa_private_segment_fixed_size 0
		.amdhsa_kernarg_size 80
		.amdhsa_user_sgpr_count 15
		.amdhsa_user_sgpr_dispatch_ptr 0
		.amdhsa_user_sgpr_queue_ptr 0
		.amdhsa_user_sgpr_kernarg_segment_ptr 1
		.amdhsa_user_sgpr_dispatch_id 0
		.amdhsa_user_sgpr_private_segment_size 0
		.amdhsa_wavefront_size32 1
		.amdhsa_uses_dynamic_stack 0
		.amdhsa_enable_private_segment 0
		.amdhsa_system_sgpr_workgroup_id_x 1
		.amdhsa_system_sgpr_workgroup_id_y 0
		.amdhsa_system_sgpr_workgroup_id_z 0
		.amdhsa_system_sgpr_workgroup_info 0
		.amdhsa_system_vgpr_workitem_id 0
		.amdhsa_next_free_vgpr 1
		.amdhsa_next_free_sgpr 1
		.amdhsa_reserve_vcc 0
		.amdhsa_float_round_mode_32 0
		.amdhsa_float_round_mode_16_64 0
		.amdhsa_float_denorm_mode_32 3
		.amdhsa_float_denorm_mode_16_64 3
		.amdhsa_dx10_clamp 1
		.amdhsa_ieee_mode 1
		.amdhsa_fp16_overflow 0
		.amdhsa_workgroup_processor_mode 1
		.amdhsa_memory_ordered 1
		.amdhsa_forward_progress 0
		.amdhsa_shared_vgpr_count 0
		.amdhsa_exception_fp_ieee_invalid_op 0
		.amdhsa_exception_fp_denorm_src 0
		.amdhsa_exception_fp_ieee_div_zero 0
		.amdhsa_exception_fp_ieee_overflow 0
		.amdhsa_exception_fp_ieee_underflow 0
		.amdhsa_exception_fp_ieee_inexact 0
		.amdhsa_exception_int_div_zero 0
	.end_amdhsa_kernel
	.section	.text._ZN7rocprim17ROCPRIM_400000_NS6detail17trampoline_kernelINS0_14default_configENS1_36segmented_radix_sort_config_selectorIalEEZNS1_25segmented_radix_sort_implIS3_Lb1EPKaPaPKlPlN2at6native12_GLOBAL__N_18offset_tEEE10hipError_tPvRmT1_PNSt15iterator_traitsISK_E10value_typeET2_T3_PNSL_ISQ_E10value_typeET4_jRbjT5_SW_jjP12ihipStream_tbEUlT_E2_NS1_11comp_targetILNS1_3genE0ELNS1_11target_archE4294967295ELNS1_3gpuE0ELNS1_3repE0EEENS1_30default_config_static_selectorELNS0_4arch9wavefront6targetE0EEEvSK_,"axG",@progbits,_ZN7rocprim17ROCPRIM_400000_NS6detail17trampoline_kernelINS0_14default_configENS1_36segmented_radix_sort_config_selectorIalEEZNS1_25segmented_radix_sort_implIS3_Lb1EPKaPaPKlPlN2at6native12_GLOBAL__N_18offset_tEEE10hipError_tPvRmT1_PNSt15iterator_traitsISK_E10value_typeET2_T3_PNSL_ISQ_E10value_typeET4_jRbjT5_SW_jjP12ihipStream_tbEUlT_E2_NS1_11comp_targetILNS1_3genE0ELNS1_11target_archE4294967295ELNS1_3gpuE0ELNS1_3repE0EEENS1_30default_config_static_selectorELNS0_4arch9wavefront6targetE0EEEvSK_,comdat
.Lfunc_end320:
	.size	_ZN7rocprim17ROCPRIM_400000_NS6detail17trampoline_kernelINS0_14default_configENS1_36segmented_radix_sort_config_selectorIalEEZNS1_25segmented_radix_sort_implIS3_Lb1EPKaPaPKlPlN2at6native12_GLOBAL__N_18offset_tEEE10hipError_tPvRmT1_PNSt15iterator_traitsISK_E10value_typeET2_T3_PNSL_ISQ_E10value_typeET4_jRbjT5_SW_jjP12ihipStream_tbEUlT_E2_NS1_11comp_targetILNS1_3genE0ELNS1_11target_archE4294967295ELNS1_3gpuE0ELNS1_3repE0EEENS1_30default_config_static_selectorELNS0_4arch9wavefront6targetE0EEEvSK_, .Lfunc_end320-_ZN7rocprim17ROCPRIM_400000_NS6detail17trampoline_kernelINS0_14default_configENS1_36segmented_radix_sort_config_selectorIalEEZNS1_25segmented_radix_sort_implIS3_Lb1EPKaPaPKlPlN2at6native12_GLOBAL__N_18offset_tEEE10hipError_tPvRmT1_PNSt15iterator_traitsISK_E10value_typeET2_T3_PNSL_ISQ_E10value_typeET4_jRbjT5_SW_jjP12ihipStream_tbEUlT_E2_NS1_11comp_targetILNS1_3genE0ELNS1_11target_archE4294967295ELNS1_3gpuE0ELNS1_3repE0EEENS1_30default_config_static_selectorELNS0_4arch9wavefront6targetE0EEEvSK_
                                        ; -- End function
	.section	.AMDGPU.csdata,"",@progbits
; Kernel info:
; codeLenInByte = 0
; NumSgprs: 0
; NumVgprs: 0
; ScratchSize: 0
; MemoryBound: 0
; FloatMode: 240
; IeeeMode: 1
; LDSByteSize: 0 bytes/workgroup (compile time only)
; SGPRBlocks: 0
; VGPRBlocks: 0
; NumSGPRsForWavesPerEU: 1
; NumVGPRsForWavesPerEU: 1
; Occupancy: 16
; WaveLimiterHint : 0
; COMPUTE_PGM_RSRC2:SCRATCH_EN: 0
; COMPUTE_PGM_RSRC2:USER_SGPR: 15
; COMPUTE_PGM_RSRC2:TRAP_HANDLER: 0
; COMPUTE_PGM_RSRC2:TGID_X_EN: 1
; COMPUTE_PGM_RSRC2:TGID_Y_EN: 0
; COMPUTE_PGM_RSRC2:TGID_Z_EN: 0
; COMPUTE_PGM_RSRC2:TIDIG_COMP_CNT: 0
	.section	.text._ZN7rocprim17ROCPRIM_400000_NS6detail17trampoline_kernelINS0_14default_configENS1_36segmented_radix_sort_config_selectorIalEEZNS1_25segmented_radix_sort_implIS3_Lb1EPKaPaPKlPlN2at6native12_GLOBAL__N_18offset_tEEE10hipError_tPvRmT1_PNSt15iterator_traitsISK_E10value_typeET2_T3_PNSL_ISQ_E10value_typeET4_jRbjT5_SW_jjP12ihipStream_tbEUlT_E2_NS1_11comp_targetILNS1_3genE5ELNS1_11target_archE942ELNS1_3gpuE9ELNS1_3repE0EEENS1_30default_config_static_selectorELNS0_4arch9wavefront6targetE0EEEvSK_,"axG",@progbits,_ZN7rocprim17ROCPRIM_400000_NS6detail17trampoline_kernelINS0_14default_configENS1_36segmented_radix_sort_config_selectorIalEEZNS1_25segmented_radix_sort_implIS3_Lb1EPKaPaPKlPlN2at6native12_GLOBAL__N_18offset_tEEE10hipError_tPvRmT1_PNSt15iterator_traitsISK_E10value_typeET2_T3_PNSL_ISQ_E10value_typeET4_jRbjT5_SW_jjP12ihipStream_tbEUlT_E2_NS1_11comp_targetILNS1_3genE5ELNS1_11target_archE942ELNS1_3gpuE9ELNS1_3repE0EEENS1_30default_config_static_selectorELNS0_4arch9wavefront6targetE0EEEvSK_,comdat
	.globl	_ZN7rocprim17ROCPRIM_400000_NS6detail17trampoline_kernelINS0_14default_configENS1_36segmented_radix_sort_config_selectorIalEEZNS1_25segmented_radix_sort_implIS3_Lb1EPKaPaPKlPlN2at6native12_GLOBAL__N_18offset_tEEE10hipError_tPvRmT1_PNSt15iterator_traitsISK_E10value_typeET2_T3_PNSL_ISQ_E10value_typeET4_jRbjT5_SW_jjP12ihipStream_tbEUlT_E2_NS1_11comp_targetILNS1_3genE5ELNS1_11target_archE942ELNS1_3gpuE9ELNS1_3repE0EEENS1_30default_config_static_selectorELNS0_4arch9wavefront6targetE0EEEvSK_ ; -- Begin function _ZN7rocprim17ROCPRIM_400000_NS6detail17trampoline_kernelINS0_14default_configENS1_36segmented_radix_sort_config_selectorIalEEZNS1_25segmented_radix_sort_implIS3_Lb1EPKaPaPKlPlN2at6native12_GLOBAL__N_18offset_tEEE10hipError_tPvRmT1_PNSt15iterator_traitsISK_E10value_typeET2_T3_PNSL_ISQ_E10value_typeET4_jRbjT5_SW_jjP12ihipStream_tbEUlT_E2_NS1_11comp_targetILNS1_3genE5ELNS1_11target_archE942ELNS1_3gpuE9ELNS1_3repE0EEENS1_30default_config_static_selectorELNS0_4arch9wavefront6targetE0EEEvSK_
	.p2align	8
	.type	_ZN7rocprim17ROCPRIM_400000_NS6detail17trampoline_kernelINS0_14default_configENS1_36segmented_radix_sort_config_selectorIalEEZNS1_25segmented_radix_sort_implIS3_Lb1EPKaPaPKlPlN2at6native12_GLOBAL__N_18offset_tEEE10hipError_tPvRmT1_PNSt15iterator_traitsISK_E10value_typeET2_T3_PNSL_ISQ_E10value_typeET4_jRbjT5_SW_jjP12ihipStream_tbEUlT_E2_NS1_11comp_targetILNS1_3genE5ELNS1_11target_archE942ELNS1_3gpuE9ELNS1_3repE0EEENS1_30default_config_static_selectorELNS0_4arch9wavefront6targetE0EEEvSK_,@function
_ZN7rocprim17ROCPRIM_400000_NS6detail17trampoline_kernelINS0_14default_configENS1_36segmented_radix_sort_config_selectorIalEEZNS1_25segmented_radix_sort_implIS3_Lb1EPKaPaPKlPlN2at6native12_GLOBAL__N_18offset_tEEE10hipError_tPvRmT1_PNSt15iterator_traitsISK_E10value_typeET2_T3_PNSL_ISQ_E10value_typeET4_jRbjT5_SW_jjP12ihipStream_tbEUlT_E2_NS1_11comp_targetILNS1_3genE5ELNS1_11target_archE942ELNS1_3gpuE9ELNS1_3repE0EEENS1_30default_config_static_selectorELNS0_4arch9wavefront6targetE0EEEvSK_: ; @_ZN7rocprim17ROCPRIM_400000_NS6detail17trampoline_kernelINS0_14default_configENS1_36segmented_radix_sort_config_selectorIalEEZNS1_25segmented_radix_sort_implIS3_Lb1EPKaPaPKlPlN2at6native12_GLOBAL__N_18offset_tEEE10hipError_tPvRmT1_PNSt15iterator_traitsISK_E10value_typeET2_T3_PNSL_ISQ_E10value_typeET4_jRbjT5_SW_jjP12ihipStream_tbEUlT_E2_NS1_11comp_targetILNS1_3genE5ELNS1_11target_archE942ELNS1_3gpuE9ELNS1_3repE0EEENS1_30default_config_static_selectorELNS0_4arch9wavefront6targetE0EEEvSK_
; %bb.0:
	.section	.rodata,"a",@progbits
	.p2align	6, 0x0
	.amdhsa_kernel _ZN7rocprim17ROCPRIM_400000_NS6detail17trampoline_kernelINS0_14default_configENS1_36segmented_radix_sort_config_selectorIalEEZNS1_25segmented_radix_sort_implIS3_Lb1EPKaPaPKlPlN2at6native12_GLOBAL__N_18offset_tEEE10hipError_tPvRmT1_PNSt15iterator_traitsISK_E10value_typeET2_T3_PNSL_ISQ_E10value_typeET4_jRbjT5_SW_jjP12ihipStream_tbEUlT_E2_NS1_11comp_targetILNS1_3genE5ELNS1_11target_archE942ELNS1_3gpuE9ELNS1_3repE0EEENS1_30default_config_static_selectorELNS0_4arch9wavefront6targetE0EEEvSK_
		.amdhsa_group_segment_fixed_size 0
		.amdhsa_private_segment_fixed_size 0
		.amdhsa_kernarg_size 80
		.amdhsa_user_sgpr_count 15
		.amdhsa_user_sgpr_dispatch_ptr 0
		.amdhsa_user_sgpr_queue_ptr 0
		.amdhsa_user_sgpr_kernarg_segment_ptr 1
		.amdhsa_user_sgpr_dispatch_id 0
		.amdhsa_user_sgpr_private_segment_size 0
		.amdhsa_wavefront_size32 1
		.amdhsa_uses_dynamic_stack 0
		.amdhsa_enable_private_segment 0
		.amdhsa_system_sgpr_workgroup_id_x 1
		.amdhsa_system_sgpr_workgroup_id_y 0
		.amdhsa_system_sgpr_workgroup_id_z 0
		.amdhsa_system_sgpr_workgroup_info 0
		.amdhsa_system_vgpr_workitem_id 0
		.amdhsa_next_free_vgpr 1
		.amdhsa_next_free_sgpr 1
		.amdhsa_reserve_vcc 0
		.amdhsa_float_round_mode_32 0
		.amdhsa_float_round_mode_16_64 0
		.amdhsa_float_denorm_mode_32 3
		.amdhsa_float_denorm_mode_16_64 3
		.amdhsa_dx10_clamp 1
		.amdhsa_ieee_mode 1
		.amdhsa_fp16_overflow 0
		.amdhsa_workgroup_processor_mode 1
		.amdhsa_memory_ordered 1
		.amdhsa_forward_progress 0
		.amdhsa_shared_vgpr_count 0
		.amdhsa_exception_fp_ieee_invalid_op 0
		.amdhsa_exception_fp_denorm_src 0
		.amdhsa_exception_fp_ieee_div_zero 0
		.amdhsa_exception_fp_ieee_overflow 0
		.amdhsa_exception_fp_ieee_underflow 0
		.amdhsa_exception_fp_ieee_inexact 0
		.amdhsa_exception_int_div_zero 0
	.end_amdhsa_kernel
	.section	.text._ZN7rocprim17ROCPRIM_400000_NS6detail17trampoline_kernelINS0_14default_configENS1_36segmented_radix_sort_config_selectorIalEEZNS1_25segmented_radix_sort_implIS3_Lb1EPKaPaPKlPlN2at6native12_GLOBAL__N_18offset_tEEE10hipError_tPvRmT1_PNSt15iterator_traitsISK_E10value_typeET2_T3_PNSL_ISQ_E10value_typeET4_jRbjT5_SW_jjP12ihipStream_tbEUlT_E2_NS1_11comp_targetILNS1_3genE5ELNS1_11target_archE942ELNS1_3gpuE9ELNS1_3repE0EEENS1_30default_config_static_selectorELNS0_4arch9wavefront6targetE0EEEvSK_,"axG",@progbits,_ZN7rocprim17ROCPRIM_400000_NS6detail17trampoline_kernelINS0_14default_configENS1_36segmented_radix_sort_config_selectorIalEEZNS1_25segmented_radix_sort_implIS3_Lb1EPKaPaPKlPlN2at6native12_GLOBAL__N_18offset_tEEE10hipError_tPvRmT1_PNSt15iterator_traitsISK_E10value_typeET2_T3_PNSL_ISQ_E10value_typeET4_jRbjT5_SW_jjP12ihipStream_tbEUlT_E2_NS1_11comp_targetILNS1_3genE5ELNS1_11target_archE942ELNS1_3gpuE9ELNS1_3repE0EEENS1_30default_config_static_selectorELNS0_4arch9wavefront6targetE0EEEvSK_,comdat
.Lfunc_end321:
	.size	_ZN7rocprim17ROCPRIM_400000_NS6detail17trampoline_kernelINS0_14default_configENS1_36segmented_radix_sort_config_selectorIalEEZNS1_25segmented_radix_sort_implIS3_Lb1EPKaPaPKlPlN2at6native12_GLOBAL__N_18offset_tEEE10hipError_tPvRmT1_PNSt15iterator_traitsISK_E10value_typeET2_T3_PNSL_ISQ_E10value_typeET4_jRbjT5_SW_jjP12ihipStream_tbEUlT_E2_NS1_11comp_targetILNS1_3genE5ELNS1_11target_archE942ELNS1_3gpuE9ELNS1_3repE0EEENS1_30default_config_static_selectorELNS0_4arch9wavefront6targetE0EEEvSK_, .Lfunc_end321-_ZN7rocprim17ROCPRIM_400000_NS6detail17trampoline_kernelINS0_14default_configENS1_36segmented_radix_sort_config_selectorIalEEZNS1_25segmented_radix_sort_implIS3_Lb1EPKaPaPKlPlN2at6native12_GLOBAL__N_18offset_tEEE10hipError_tPvRmT1_PNSt15iterator_traitsISK_E10value_typeET2_T3_PNSL_ISQ_E10value_typeET4_jRbjT5_SW_jjP12ihipStream_tbEUlT_E2_NS1_11comp_targetILNS1_3genE5ELNS1_11target_archE942ELNS1_3gpuE9ELNS1_3repE0EEENS1_30default_config_static_selectorELNS0_4arch9wavefront6targetE0EEEvSK_
                                        ; -- End function
	.section	.AMDGPU.csdata,"",@progbits
; Kernel info:
; codeLenInByte = 0
; NumSgprs: 0
; NumVgprs: 0
; ScratchSize: 0
; MemoryBound: 0
; FloatMode: 240
; IeeeMode: 1
; LDSByteSize: 0 bytes/workgroup (compile time only)
; SGPRBlocks: 0
; VGPRBlocks: 0
; NumSGPRsForWavesPerEU: 1
; NumVGPRsForWavesPerEU: 1
; Occupancy: 16
; WaveLimiterHint : 0
; COMPUTE_PGM_RSRC2:SCRATCH_EN: 0
; COMPUTE_PGM_RSRC2:USER_SGPR: 15
; COMPUTE_PGM_RSRC2:TRAP_HANDLER: 0
; COMPUTE_PGM_RSRC2:TGID_X_EN: 1
; COMPUTE_PGM_RSRC2:TGID_Y_EN: 0
; COMPUTE_PGM_RSRC2:TGID_Z_EN: 0
; COMPUTE_PGM_RSRC2:TIDIG_COMP_CNT: 0
	.section	.text._ZN7rocprim17ROCPRIM_400000_NS6detail17trampoline_kernelINS0_14default_configENS1_36segmented_radix_sort_config_selectorIalEEZNS1_25segmented_radix_sort_implIS3_Lb1EPKaPaPKlPlN2at6native12_GLOBAL__N_18offset_tEEE10hipError_tPvRmT1_PNSt15iterator_traitsISK_E10value_typeET2_T3_PNSL_ISQ_E10value_typeET4_jRbjT5_SW_jjP12ihipStream_tbEUlT_E2_NS1_11comp_targetILNS1_3genE4ELNS1_11target_archE910ELNS1_3gpuE8ELNS1_3repE0EEENS1_30default_config_static_selectorELNS0_4arch9wavefront6targetE0EEEvSK_,"axG",@progbits,_ZN7rocprim17ROCPRIM_400000_NS6detail17trampoline_kernelINS0_14default_configENS1_36segmented_radix_sort_config_selectorIalEEZNS1_25segmented_radix_sort_implIS3_Lb1EPKaPaPKlPlN2at6native12_GLOBAL__N_18offset_tEEE10hipError_tPvRmT1_PNSt15iterator_traitsISK_E10value_typeET2_T3_PNSL_ISQ_E10value_typeET4_jRbjT5_SW_jjP12ihipStream_tbEUlT_E2_NS1_11comp_targetILNS1_3genE4ELNS1_11target_archE910ELNS1_3gpuE8ELNS1_3repE0EEENS1_30default_config_static_selectorELNS0_4arch9wavefront6targetE0EEEvSK_,comdat
	.globl	_ZN7rocprim17ROCPRIM_400000_NS6detail17trampoline_kernelINS0_14default_configENS1_36segmented_radix_sort_config_selectorIalEEZNS1_25segmented_radix_sort_implIS3_Lb1EPKaPaPKlPlN2at6native12_GLOBAL__N_18offset_tEEE10hipError_tPvRmT1_PNSt15iterator_traitsISK_E10value_typeET2_T3_PNSL_ISQ_E10value_typeET4_jRbjT5_SW_jjP12ihipStream_tbEUlT_E2_NS1_11comp_targetILNS1_3genE4ELNS1_11target_archE910ELNS1_3gpuE8ELNS1_3repE0EEENS1_30default_config_static_selectorELNS0_4arch9wavefront6targetE0EEEvSK_ ; -- Begin function _ZN7rocprim17ROCPRIM_400000_NS6detail17trampoline_kernelINS0_14default_configENS1_36segmented_radix_sort_config_selectorIalEEZNS1_25segmented_radix_sort_implIS3_Lb1EPKaPaPKlPlN2at6native12_GLOBAL__N_18offset_tEEE10hipError_tPvRmT1_PNSt15iterator_traitsISK_E10value_typeET2_T3_PNSL_ISQ_E10value_typeET4_jRbjT5_SW_jjP12ihipStream_tbEUlT_E2_NS1_11comp_targetILNS1_3genE4ELNS1_11target_archE910ELNS1_3gpuE8ELNS1_3repE0EEENS1_30default_config_static_selectorELNS0_4arch9wavefront6targetE0EEEvSK_
	.p2align	8
	.type	_ZN7rocprim17ROCPRIM_400000_NS6detail17trampoline_kernelINS0_14default_configENS1_36segmented_radix_sort_config_selectorIalEEZNS1_25segmented_radix_sort_implIS3_Lb1EPKaPaPKlPlN2at6native12_GLOBAL__N_18offset_tEEE10hipError_tPvRmT1_PNSt15iterator_traitsISK_E10value_typeET2_T3_PNSL_ISQ_E10value_typeET4_jRbjT5_SW_jjP12ihipStream_tbEUlT_E2_NS1_11comp_targetILNS1_3genE4ELNS1_11target_archE910ELNS1_3gpuE8ELNS1_3repE0EEENS1_30default_config_static_selectorELNS0_4arch9wavefront6targetE0EEEvSK_,@function
_ZN7rocprim17ROCPRIM_400000_NS6detail17trampoline_kernelINS0_14default_configENS1_36segmented_radix_sort_config_selectorIalEEZNS1_25segmented_radix_sort_implIS3_Lb1EPKaPaPKlPlN2at6native12_GLOBAL__N_18offset_tEEE10hipError_tPvRmT1_PNSt15iterator_traitsISK_E10value_typeET2_T3_PNSL_ISQ_E10value_typeET4_jRbjT5_SW_jjP12ihipStream_tbEUlT_E2_NS1_11comp_targetILNS1_3genE4ELNS1_11target_archE910ELNS1_3gpuE8ELNS1_3repE0EEENS1_30default_config_static_selectorELNS0_4arch9wavefront6targetE0EEEvSK_: ; @_ZN7rocprim17ROCPRIM_400000_NS6detail17trampoline_kernelINS0_14default_configENS1_36segmented_radix_sort_config_selectorIalEEZNS1_25segmented_radix_sort_implIS3_Lb1EPKaPaPKlPlN2at6native12_GLOBAL__N_18offset_tEEE10hipError_tPvRmT1_PNSt15iterator_traitsISK_E10value_typeET2_T3_PNSL_ISQ_E10value_typeET4_jRbjT5_SW_jjP12ihipStream_tbEUlT_E2_NS1_11comp_targetILNS1_3genE4ELNS1_11target_archE910ELNS1_3gpuE8ELNS1_3repE0EEENS1_30default_config_static_selectorELNS0_4arch9wavefront6targetE0EEEvSK_
; %bb.0:
	.section	.rodata,"a",@progbits
	.p2align	6, 0x0
	.amdhsa_kernel _ZN7rocprim17ROCPRIM_400000_NS6detail17trampoline_kernelINS0_14default_configENS1_36segmented_radix_sort_config_selectorIalEEZNS1_25segmented_radix_sort_implIS3_Lb1EPKaPaPKlPlN2at6native12_GLOBAL__N_18offset_tEEE10hipError_tPvRmT1_PNSt15iterator_traitsISK_E10value_typeET2_T3_PNSL_ISQ_E10value_typeET4_jRbjT5_SW_jjP12ihipStream_tbEUlT_E2_NS1_11comp_targetILNS1_3genE4ELNS1_11target_archE910ELNS1_3gpuE8ELNS1_3repE0EEENS1_30default_config_static_selectorELNS0_4arch9wavefront6targetE0EEEvSK_
		.amdhsa_group_segment_fixed_size 0
		.amdhsa_private_segment_fixed_size 0
		.amdhsa_kernarg_size 80
		.amdhsa_user_sgpr_count 15
		.amdhsa_user_sgpr_dispatch_ptr 0
		.amdhsa_user_sgpr_queue_ptr 0
		.amdhsa_user_sgpr_kernarg_segment_ptr 1
		.amdhsa_user_sgpr_dispatch_id 0
		.amdhsa_user_sgpr_private_segment_size 0
		.amdhsa_wavefront_size32 1
		.amdhsa_uses_dynamic_stack 0
		.amdhsa_enable_private_segment 0
		.amdhsa_system_sgpr_workgroup_id_x 1
		.amdhsa_system_sgpr_workgroup_id_y 0
		.amdhsa_system_sgpr_workgroup_id_z 0
		.amdhsa_system_sgpr_workgroup_info 0
		.amdhsa_system_vgpr_workitem_id 0
		.amdhsa_next_free_vgpr 1
		.amdhsa_next_free_sgpr 1
		.amdhsa_reserve_vcc 0
		.amdhsa_float_round_mode_32 0
		.amdhsa_float_round_mode_16_64 0
		.amdhsa_float_denorm_mode_32 3
		.amdhsa_float_denorm_mode_16_64 3
		.amdhsa_dx10_clamp 1
		.amdhsa_ieee_mode 1
		.amdhsa_fp16_overflow 0
		.amdhsa_workgroup_processor_mode 1
		.amdhsa_memory_ordered 1
		.amdhsa_forward_progress 0
		.amdhsa_shared_vgpr_count 0
		.amdhsa_exception_fp_ieee_invalid_op 0
		.amdhsa_exception_fp_denorm_src 0
		.amdhsa_exception_fp_ieee_div_zero 0
		.amdhsa_exception_fp_ieee_overflow 0
		.amdhsa_exception_fp_ieee_underflow 0
		.amdhsa_exception_fp_ieee_inexact 0
		.amdhsa_exception_int_div_zero 0
	.end_amdhsa_kernel
	.section	.text._ZN7rocprim17ROCPRIM_400000_NS6detail17trampoline_kernelINS0_14default_configENS1_36segmented_radix_sort_config_selectorIalEEZNS1_25segmented_radix_sort_implIS3_Lb1EPKaPaPKlPlN2at6native12_GLOBAL__N_18offset_tEEE10hipError_tPvRmT1_PNSt15iterator_traitsISK_E10value_typeET2_T3_PNSL_ISQ_E10value_typeET4_jRbjT5_SW_jjP12ihipStream_tbEUlT_E2_NS1_11comp_targetILNS1_3genE4ELNS1_11target_archE910ELNS1_3gpuE8ELNS1_3repE0EEENS1_30default_config_static_selectorELNS0_4arch9wavefront6targetE0EEEvSK_,"axG",@progbits,_ZN7rocprim17ROCPRIM_400000_NS6detail17trampoline_kernelINS0_14default_configENS1_36segmented_radix_sort_config_selectorIalEEZNS1_25segmented_radix_sort_implIS3_Lb1EPKaPaPKlPlN2at6native12_GLOBAL__N_18offset_tEEE10hipError_tPvRmT1_PNSt15iterator_traitsISK_E10value_typeET2_T3_PNSL_ISQ_E10value_typeET4_jRbjT5_SW_jjP12ihipStream_tbEUlT_E2_NS1_11comp_targetILNS1_3genE4ELNS1_11target_archE910ELNS1_3gpuE8ELNS1_3repE0EEENS1_30default_config_static_selectorELNS0_4arch9wavefront6targetE0EEEvSK_,comdat
.Lfunc_end322:
	.size	_ZN7rocprim17ROCPRIM_400000_NS6detail17trampoline_kernelINS0_14default_configENS1_36segmented_radix_sort_config_selectorIalEEZNS1_25segmented_radix_sort_implIS3_Lb1EPKaPaPKlPlN2at6native12_GLOBAL__N_18offset_tEEE10hipError_tPvRmT1_PNSt15iterator_traitsISK_E10value_typeET2_T3_PNSL_ISQ_E10value_typeET4_jRbjT5_SW_jjP12ihipStream_tbEUlT_E2_NS1_11comp_targetILNS1_3genE4ELNS1_11target_archE910ELNS1_3gpuE8ELNS1_3repE0EEENS1_30default_config_static_selectorELNS0_4arch9wavefront6targetE0EEEvSK_, .Lfunc_end322-_ZN7rocprim17ROCPRIM_400000_NS6detail17trampoline_kernelINS0_14default_configENS1_36segmented_radix_sort_config_selectorIalEEZNS1_25segmented_radix_sort_implIS3_Lb1EPKaPaPKlPlN2at6native12_GLOBAL__N_18offset_tEEE10hipError_tPvRmT1_PNSt15iterator_traitsISK_E10value_typeET2_T3_PNSL_ISQ_E10value_typeET4_jRbjT5_SW_jjP12ihipStream_tbEUlT_E2_NS1_11comp_targetILNS1_3genE4ELNS1_11target_archE910ELNS1_3gpuE8ELNS1_3repE0EEENS1_30default_config_static_selectorELNS0_4arch9wavefront6targetE0EEEvSK_
                                        ; -- End function
	.section	.AMDGPU.csdata,"",@progbits
; Kernel info:
; codeLenInByte = 0
; NumSgprs: 0
; NumVgprs: 0
; ScratchSize: 0
; MemoryBound: 0
; FloatMode: 240
; IeeeMode: 1
; LDSByteSize: 0 bytes/workgroup (compile time only)
; SGPRBlocks: 0
; VGPRBlocks: 0
; NumSGPRsForWavesPerEU: 1
; NumVGPRsForWavesPerEU: 1
; Occupancy: 16
; WaveLimiterHint : 0
; COMPUTE_PGM_RSRC2:SCRATCH_EN: 0
; COMPUTE_PGM_RSRC2:USER_SGPR: 15
; COMPUTE_PGM_RSRC2:TRAP_HANDLER: 0
; COMPUTE_PGM_RSRC2:TGID_X_EN: 1
; COMPUTE_PGM_RSRC2:TGID_Y_EN: 0
; COMPUTE_PGM_RSRC2:TGID_Z_EN: 0
; COMPUTE_PGM_RSRC2:TIDIG_COMP_CNT: 0
	.section	.text._ZN7rocprim17ROCPRIM_400000_NS6detail17trampoline_kernelINS0_14default_configENS1_36segmented_radix_sort_config_selectorIalEEZNS1_25segmented_radix_sort_implIS3_Lb1EPKaPaPKlPlN2at6native12_GLOBAL__N_18offset_tEEE10hipError_tPvRmT1_PNSt15iterator_traitsISK_E10value_typeET2_T3_PNSL_ISQ_E10value_typeET4_jRbjT5_SW_jjP12ihipStream_tbEUlT_E2_NS1_11comp_targetILNS1_3genE3ELNS1_11target_archE908ELNS1_3gpuE7ELNS1_3repE0EEENS1_30default_config_static_selectorELNS0_4arch9wavefront6targetE0EEEvSK_,"axG",@progbits,_ZN7rocprim17ROCPRIM_400000_NS6detail17trampoline_kernelINS0_14default_configENS1_36segmented_radix_sort_config_selectorIalEEZNS1_25segmented_radix_sort_implIS3_Lb1EPKaPaPKlPlN2at6native12_GLOBAL__N_18offset_tEEE10hipError_tPvRmT1_PNSt15iterator_traitsISK_E10value_typeET2_T3_PNSL_ISQ_E10value_typeET4_jRbjT5_SW_jjP12ihipStream_tbEUlT_E2_NS1_11comp_targetILNS1_3genE3ELNS1_11target_archE908ELNS1_3gpuE7ELNS1_3repE0EEENS1_30default_config_static_selectorELNS0_4arch9wavefront6targetE0EEEvSK_,comdat
	.globl	_ZN7rocprim17ROCPRIM_400000_NS6detail17trampoline_kernelINS0_14default_configENS1_36segmented_radix_sort_config_selectorIalEEZNS1_25segmented_radix_sort_implIS3_Lb1EPKaPaPKlPlN2at6native12_GLOBAL__N_18offset_tEEE10hipError_tPvRmT1_PNSt15iterator_traitsISK_E10value_typeET2_T3_PNSL_ISQ_E10value_typeET4_jRbjT5_SW_jjP12ihipStream_tbEUlT_E2_NS1_11comp_targetILNS1_3genE3ELNS1_11target_archE908ELNS1_3gpuE7ELNS1_3repE0EEENS1_30default_config_static_selectorELNS0_4arch9wavefront6targetE0EEEvSK_ ; -- Begin function _ZN7rocprim17ROCPRIM_400000_NS6detail17trampoline_kernelINS0_14default_configENS1_36segmented_radix_sort_config_selectorIalEEZNS1_25segmented_radix_sort_implIS3_Lb1EPKaPaPKlPlN2at6native12_GLOBAL__N_18offset_tEEE10hipError_tPvRmT1_PNSt15iterator_traitsISK_E10value_typeET2_T3_PNSL_ISQ_E10value_typeET4_jRbjT5_SW_jjP12ihipStream_tbEUlT_E2_NS1_11comp_targetILNS1_3genE3ELNS1_11target_archE908ELNS1_3gpuE7ELNS1_3repE0EEENS1_30default_config_static_selectorELNS0_4arch9wavefront6targetE0EEEvSK_
	.p2align	8
	.type	_ZN7rocprim17ROCPRIM_400000_NS6detail17trampoline_kernelINS0_14default_configENS1_36segmented_radix_sort_config_selectorIalEEZNS1_25segmented_radix_sort_implIS3_Lb1EPKaPaPKlPlN2at6native12_GLOBAL__N_18offset_tEEE10hipError_tPvRmT1_PNSt15iterator_traitsISK_E10value_typeET2_T3_PNSL_ISQ_E10value_typeET4_jRbjT5_SW_jjP12ihipStream_tbEUlT_E2_NS1_11comp_targetILNS1_3genE3ELNS1_11target_archE908ELNS1_3gpuE7ELNS1_3repE0EEENS1_30default_config_static_selectorELNS0_4arch9wavefront6targetE0EEEvSK_,@function
_ZN7rocprim17ROCPRIM_400000_NS6detail17trampoline_kernelINS0_14default_configENS1_36segmented_radix_sort_config_selectorIalEEZNS1_25segmented_radix_sort_implIS3_Lb1EPKaPaPKlPlN2at6native12_GLOBAL__N_18offset_tEEE10hipError_tPvRmT1_PNSt15iterator_traitsISK_E10value_typeET2_T3_PNSL_ISQ_E10value_typeET4_jRbjT5_SW_jjP12ihipStream_tbEUlT_E2_NS1_11comp_targetILNS1_3genE3ELNS1_11target_archE908ELNS1_3gpuE7ELNS1_3repE0EEENS1_30default_config_static_selectorELNS0_4arch9wavefront6targetE0EEEvSK_: ; @_ZN7rocprim17ROCPRIM_400000_NS6detail17trampoline_kernelINS0_14default_configENS1_36segmented_radix_sort_config_selectorIalEEZNS1_25segmented_radix_sort_implIS3_Lb1EPKaPaPKlPlN2at6native12_GLOBAL__N_18offset_tEEE10hipError_tPvRmT1_PNSt15iterator_traitsISK_E10value_typeET2_T3_PNSL_ISQ_E10value_typeET4_jRbjT5_SW_jjP12ihipStream_tbEUlT_E2_NS1_11comp_targetILNS1_3genE3ELNS1_11target_archE908ELNS1_3gpuE7ELNS1_3repE0EEENS1_30default_config_static_selectorELNS0_4arch9wavefront6targetE0EEEvSK_
; %bb.0:
	.section	.rodata,"a",@progbits
	.p2align	6, 0x0
	.amdhsa_kernel _ZN7rocprim17ROCPRIM_400000_NS6detail17trampoline_kernelINS0_14default_configENS1_36segmented_radix_sort_config_selectorIalEEZNS1_25segmented_radix_sort_implIS3_Lb1EPKaPaPKlPlN2at6native12_GLOBAL__N_18offset_tEEE10hipError_tPvRmT1_PNSt15iterator_traitsISK_E10value_typeET2_T3_PNSL_ISQ_E10value_typeET4_jRbjT5_SW_jjP12ihipStream_tbEUlT_E2_NS1_11comp_targetILNS1_3genE3ELNS1_11target_archE908ELNS1_3gpuE7ELNS1_3repE0EEENS1_30default_config_static_selectorELNS0_4arch9wavefront6targetE0EEEvSK_
		.amdhsa_group_segment_fixed_size 0
		.amdhsa_private_segment_fixed_size 0
		.amdhsa_kernarg_size 80
		.amdhsa_user_sgpr_count 15
		.amdhsa_user_sgpr_dispatch_ptr 0
		.amdhsa_user_sgpr_queue_ptr 0
		.amdhsa_user_sgpr_kernarg_segment_ptr 1
		.amdhsa_user_sgpr_dispatch_id 0
		.amdhsa_user_sgpr_private_segment_size 0
		.amdhsa_wavefront_size32 1
		.amdhsa_uses_dynamic_stack 0
		.amdhsa_enable_private_segment 0
		.amdhsa_system_sgpr_workgroup_id_x 1
		.amdhsa_system_sgpr_workgroup_id_y 0
		.amdhsa_system_sgpr_workgroup_id_z 0
		.amdhsa_system_sgpr_workgroup_info 0
		.amdhsa_system_vgpr_workitem_id 0
		.amdhsa_next_free_vgpr 1
		.amdhsa_next_free_sgpr 1
		.amdhsa_reserve_vcc 0
		.amdhsa_float_round_mode_32 0
		.amdhsa_float_round_mode_16_64 0
		.amdhsa_float_denorm_mode_32 3
		.amdhsa_float_denorm_mode_16_64 3
		.amdhsa_dx10_clamp 1
		.amdhsa_ieee_mode 1
		.amdhsa_fp16_overflow 0
		.amdhsa_workgroup_processor_mode 1
		.amdhsa_memory_ordered 1
		.amdhsa_forward_progress 0
		.amdhsa_shared_vgpr_count 0
		.amdhsa_exception_fp_ieee_invalid_op 0
		.amdhsa_exception_fp_denorm_src 0
		.amdhsa_exception_fp_ieee_div_zero 0
		.amdhsa_exception_fp_ieee_overflow 0
		.amdhsa_exception_fp_ieee_underflow 0
		.amdhsa_exception_fp_ieee_inexact 0
		.amdhsa_exception_int_div_zero 0
	.end_amdhsa_kernel
	.section	.text._ZN7rocprim17ROCPRIM_400000_NS6detail17trampoline_kernelINS0_14default_configENS1_36segmented_radix_sort_config_selectorIalEEZNS1_25segmented_radix_sort_implIS3_Lb1EPKaPaPKlPlN2at6native12_GLOBAL__N_18offset_tEEE10hipError_tPvRmT1_PNSt15iterator_traitsISK_E10value_typeET2_T3_PNSL_ISQ_E10value_typeET4_jRbjT5_SW_jjP12ihipStream_tbEUlT_E2_NS1_11comp_targetILNS1_3genE3ELNS1_11target_archE908ELNS1_3gpuE7ELNS1_3repE0EEENS1_30default_config_static_selectorELNS0_4arch9wavefront6targetE0EEEvSK_,"axG",@progbits,_ZN7rocprim17ROCPRIM_400000_NS6detail17trampoline_kernelINS0_14default_configENS1_36segmented_radix_sort_config_selectorIalEEZNS1_25segmented_radix_sort_implIS3_Lb1EPKaPaPKlPlN2at6native12_GLOBAL__N_18offset_tEEE10hipError_tPvRmT1_PNSt15iterator_traitsISK_E10value_typeET2_T3_PNSL_ISQ_E10value_typeET4_jRbjT5_SW_jjP12ihipStream_tbEUlT_E2_NS1_11comp_targetILNS1_3genE3ELNS1_11target_archE908ELNS1_3gpuE7ELNS1_3repE0EEENS1_30default_config_static_selectorELNS0_4arch9wavefront6targetE0EEEvSK_,comdat
.Lfunc_end323:
	.size	_ZN7rocprim17ROCPRIM_400000_NS6detail17trampoline_kernelINS0_14default_configENS1_36segmented_radix_sort_config_selectorIalEEZNS1_25segmented_radix_sort_implIS3_Lb1EPKaPaPKlPlN2at6native12_GLOBAL__N_18offset_tEEE10hipError_tPvRmT1_PNSt15iterator_traitsISK_E10value_typeET2_T3_PNSL_ISQ_E10value_typeET4_jRbjT5_SW_jjP12ihipStream_tbEUlT_E2_NS1_11comp_targetILNS1_3genE3ELNS1_11target_archE908ELNS1_3gpuE7ELNS1_3repE0EEENS1_30default_config_static_selectorELNS0_4arch9wavefront6targetE0EEEvSK_, .Lfunc_end323-_ZN7rocprim17ROCPRIM_400000_NS6detail17trampoline_kernelINS0_14default_configENS1_36segmented_radix_sort_config_selectorIalEEZNS1_25segmented_radix_sort_implIS3_Lb1EPKaPaPKlPlN2at6native12_GLOBAL__N_18offset_tEEE10hipError_tPvRmT1_PNSt15iterator_traitsISK_E10value_typeET2_T3_PNSL_ISQ_E10value_typeET4_jRbjT5_SW_jjP12ihipStream_tbEUlT_E2_NS1_11comp_targetILNS1_3genE3ELNS1_11target_archE908ELNS1_3gpuE7ELNS1_3repE0EEENS1_30default_config_static_selectorELNS0_4arch9wavefront6targetE0EEEvSK_
                                        ; -- End function
	.section	.AMDGPU.csdata,"",@progbits
; Kernel info:
; codeLenInByte = 0
; NumSgprs: 0
; NumVgprs: 0
; ScratchSize: 0
; MemoryBound: 0
; FloatMode: 240
; IeeeMode: 1
; LDSByteSize: 0 bytes/workgroup (compile time only)
; SGPRBlocks: 0
; VGPRBlocks: 0
; NumSGPRsForWavesPerEU: 1
; NumVGPRsForWavesPerEU: 1
; Occupancy: 16
; WaveLimiterHint : 0
; COMPUTE_PGM_RSRC2:SCRATCH_EN: 0
; COMPUTE_PGM_RSRC2:USER_SGPR: 15
; COMPUTE_PGM_RSRC2:TRAP_HANDLER: 0
; COMPUTE_PGM_RSRC2:TGID_X_EN: 1
; COMPUTE_PGM_RSRC2:TGID_Y_EN: 0
; COMPUTE_PGM_RSRC2:TGID_Z_EN: 0
; COMPUTE_PGM_RSRC2:TIDIG_COMP_CNT: 0
	.section	.text._ZN7rocprim17ROCPRIM_400000_NS6detail17trampoline_kernelINS0_14default_configENS1_36segmented_radix_sort_config_selectorIalEEZNS1_25segmented_radix_sort_implIS3_Lb1EPKaPaPKlPlN2at6native12_GLOBAL__N_18offset_tEEE10hipError_tPvRmT1_PNSt15iterator_traitsISK_E10value_typeET2_T3_PNSL_ISQ_E10value_typeET4_jRbjT5_SW_jjP12ihipStream_tbEUlT_E2_NS1_11comp_targetILNS1_3genE2ELNS1_11target_archE906ELNS1_3gpuE6ELNS1_3repE0EEENS1_30default_config_static_selectorELNS0_4arch9wavefront6targetE0EEEvSK_,"axG",@progbits,_ZN7rocprim17ROCPRIM_400000_NS6detail17trampoline_kernelINS0_14default_configENS1_36segmented_radix_sort_config_selectorIalEEZNS1_25segmented_radix_sort_implIS3_Lb1EPKaPaPKlPlN2at6native12_GLOBAL__N_18offset_tEEE10hipError_tPvRmT1_PNSt15iterator_traitsISK_E10value_typeET2_T3_PNSL_ISQ_E10value_typeET4_jRbjT5_SW_jjP12ihipStream_tbEUlT_E2_NS1_11comp_targetILNS1_3genE2ELNS1_11target_archE906ELNS1_3gpuE6ELNS1_3repE0EEENS1_30default_config_static_selectorELNS0_4arch9wavefront6targetE0EEEvSK_,comdat
	.globl	_ZN7rocprim17ROCPRIM_400000_NS6detail17trampoline_kernelINS0_14default_configENS1_36segmented_radix_sort_config_selectorIalEEZNS1_25segmented_radix_sort_implIS3_Lb1EPKaPaPKlPlN2at6native12_GLOBAL__N_18offset_tEEE10hipError_tPvRmT1_PNSt15iterator_traitsISK_E10value_typeET2_T3_PNSL_ISQ_E10value_typeET4_jRbjT5_SW_jjP12ihipStream_tbEUlT_E2_NS1_11comp_targetILNS1_3genE2ELNS1_11target_archE906ELNS1_3gpuE6ELNS1_3repE0EEENS1_30default_config_static_selectorELNS0_4arch9wavefront6targetE0EEEvSK_ ; -- Begin function _ZN7rocprim17ROCPRIM_400000_NS6detail17trampoline_kernelINS0_14default_configENS1_36segmented_radix_sort_config_selectorIalEEZNS1_25segmented_radix_sort_implIS3_Lb1EPKaPaPKlPlN2at6native12_GLOBAL__N_18offset_tEEE10hipError_tPvRmT1_PNSt15iterator_traitsISK_E10value_typeET2_T3_PNSL_ISQ_E10value_typeET4_jRbjT5_SW_jjP12ihipStream_tbEUlT_E2_NS1_11comp_targetILNS1_3genE2ELNS1_11target_archE906ELNS1_3gpuE6ELNS1_3repE0EEENS1_30default_config_static_selectorELNS0_4arch9wavefront6targetE0EEEvSK_
	.p2align	8
	.type	_ZN7rocprim17ROCPRIM_400000_NS6detail17trampoline_kernelINS0_14default_configENS1_36segmented_radix_sort_config_selectorIalEEZNS1_25segmented_radix_sort_implIS3_Lb1EPKaPaPKlPlN2at6native12_GLOBAL__N_18offset_tEEE10hipError_tPvRmT1_PNSt15iterator_traitsISK_E10value_typeET2_T3_PNSL_ISQ_E10value_typeET4_jRbjT5_SW_jjP12ihipStream_tbEUlT_E2_NS1_11comp_targetILNS1_3genE2ELNS1_11target_archE906ELNS1_3gpuE6ELNS1_3repE0EEENS1_30default_config_static_selectorELNS0_4arch9wavefront6targetE0EEEvSK_,@function
_ZN7rocprim17ROCPRIM_400000_NS6detail17trampoline_kernelINS0_14default_configENS1_36segmented_radix_sort_config_selectorIalEEZNS1_25segmented_radix_sort_implIS3_Lb1EPKaPaPKlPlN2at6native12_GLOBAL__N_18offset_tEEE10hipError_tPvRmT1_PNSt15iterator_traitsISK_E10value_typeET2_T3_PNSL_ISQ_E10value_typeET4_jRbjT5_SW_jjP12ihipStream_tbEUlT_E2_NS1_11comp_targetILNS1_3genE2ELNS1_11target_archE906ELNS1_3gpuE6ELNS1_3repE0EEENS1_30default_config_static_selectorELNS0_4arch9wavefront6targetE0EEEvSK_: ; @_ZN7rocprim17ROCPRIM_400000_NS6detail17trampoline_kernelINS0_14default_configENS1_36segmented_radix_sort_config_selectorIalEEZNS1_25segmented_radix_sort_implIS3_Lb1EPKaPaPKlPlN2at6native12_GLOBAL__N_18offset_tEEE10hipError_tPvRmT1_PNSt15iterator_traitsISK_E10value_typeET2_T3_PNSL_ISQ_E10value_typeET4_jRbjT5_SW_jjP12ihipStream_tbEUlT_E2_NS1_11comp_targetILNS1_3genE2ELNS1_11target_archE906ELNS1_3gpuE6ELNS1_3repE0EEENS1_30default_config_static_selectorELNS0_4arch9wavefront6targetE0EEEvSK_
; %bb.0:
	.section	.rodata,"a",@progbits
	.p2align	6, 0x0
	.amdhsa_kernel _ZN7rocprim17ROCPRIM_400000_NS6detail17trampoline_kernelINS0_14default_configENS1_36segmented_radix_sort_config_selectorIalEEZNS1_25segmented_radix_sort_implIS3_Lb1EPKaPaPKlPlN2at6native12_GLOBAL__N_18offset_tEEE10hipError_tPvRmT1_PNSt15iterator_traitsISK_E10value_typeET2_T3_PNSL_ISQ_E10value_typeET4_jRbjT5_SW_jjP12ihipStream_tbEUlT_E2_NS1_11comp_targetILNS1_3genE2ELNS1_11target_archE906ELNS1_3gpuE6ELNS1_3repE0EEENS1_30default_config_static_selectorELNS0_4arch9wavefront6targetE0EEEvSK_
		.amdhsa_group_segment_fixed_size 0
		.amdhsa_private_segment_fixed_size 0
		.amdhsa_kernarg_size 80
		.amdhsa_user_sgpr_count 15
		.amdhsa_user_sgpr_dispatch_ptr 0
		.amdhsa_user_sgpr_queue_ptr 0
		.amdhsa_user_sgpr_kernarg_segment_ptr 1
		.amdhsa_user_sgpr_dispatch_id 0
		.amdhsa_user_sgpr_private_segment_size 0
		.amdhsa_wavefront_size32 1
		.amdhsa_uses_dynamic_stack 0
		.amdhsa_enable_private_segment 0
		.amdhsa_system_sgpr_workgroup_id_x 1
		.amdhsa_system_sgpr_workgroup_id_y 0
		.amdhsa_system_sgpr_workgroup_id_z 0
		.amdhsa_system_sgpr_workgroup_info 0
		.amdhsa_system_vgpr_workitem_id 0
		.amdhsa_next_free_vgpr 1
		.amdhsa_next_free_sgpr 1
		.amdhsa_reserve_vcc 0
		.amdhsa_float_round_mode_32 0
		.amdhsa_float_round_mode_16_64 0
		.amdhsa_float_denorm_mode_32 3
		.amdhsa_float_denorm_mode_16_64 3
		.amdhsa_dx10_clamp 1
		.amdhsa_ieee_mode 1
		.amdhsa_fp16_overflow 0
		.amdhsa_workgroup_processor_mode 1
		.amdhsa_memory_ordered 1
		.amdhsa_forward_progress 0
		.amdhsa_shared_vgpr_count 0
		.amdhsa_exception_fp_ieee_invalid_op 0
		.amdhsa_exception_fp_denorm_src 0
		.amdhsa_exception_fp_ieee_div_zero 0
		.amdhsa_exception_fp_ieee_overflow 0
		.amdhsa_exception_fp_ieee_underflow 0
		.amdhsa_exception_fp_ieee_inexact 0
		.amdhsa_exception_int_div_zero 0
	.end_amdhsa_kernel
	.section	.text._ZN7rocprim17ROCPRIM_400000_NS6detail17trampoline_kernelINS0_14default_configENS1_36segmented_radix_sort_config_selectorIalEEZNS1_25segmented_radix_sort_implIS3_Lb1EPKaPaPKlPlN2at6native12_GLOBAL__N_18offset_tEEE10hipError_tPvRmT1_PNSt15iterator_traitsISK_E10value_typeET2_T3_PNSL_ISQ_E10value_typeET4_jRbjT5_SW_jjP12ihipStream_tbEUlT_E2_NS1_11comp_targetILNS1_3genE2ELNS1_11target_archE906ELNS1_3gpuE6ELNS1_3repE0EEENS1_30default_config_static_selectorELNS0_4arch9wavefront6targetE0EEEvSK_,"axG",@progbits,_ZN7rocprim17ROCPRIM_400000_NS6detail17trampoline_kernelINS0_14default_configENS1_36segmented_radix_sort_config_selectorIalEEZNS1_25segmented_radix_sort_implIS3_Lb1EPKaPaPKlPlN2at6native12_GLOBAL__N_18offset_tEEE10hipError_tPvRmT1_PNSt15iterator_traitsISK_E10value_typeET2_T3_PNSL_ISQ_E10value_typeET4_jRbjT5_SW_jjP12ihipStream_tbEUlT_E2_NS1_11comp_targetILNS1_3genE2ELNS1_11target_archE906ELNS1_3gpuE6ELNS1_3repE0EEENS1_30default_config_static_selectorELNS0_4arch9wavefront6targetE0EEEvSK_,comdat
.Lfunc_end324:
	.size	_ZN7rocprim17ROCPRIM_400000_NS6detail17trampoline_kernelINS0_14default_configENS1_36segmented_radix_sort_config_selectorIalEEZNS1_25segmented_radix_sort_implIS3_Lb1EPKaPaPKlPlN2at6native12_GLOBAL__N_18offset_tEEE10hipError_tPvRmT1_PNSt15iterator_traitsISK_E10value_typeET2_T3_PNSL_ISQ_E10value_typeET4_jRbjT5_SW_jjP12ihipStream_tbEUlT_E2_NS1_11comp_targetILNS1_3genE2ELNS1_11target_archE906ELNS1_3gpuE6ELNS1_3repE0EEENS1_30default_config_static_selectorELNS0_4arch9wavefront6targetE0EEEvSK_, .Lfunc_end324-_ZN7rocprim17ROCPRIM_400000_NS6detail17trampoline_kernelINS0_14default_configENS1_36segmented_radix_sort_config_selectorIalEEZNS1_25segmented_radix_sort_implIS3_Lb1EPKaPaPKlPlN2at6native12_GLOBAL__N_18offset_tEEE10hipError_tPvRmT1_PNSt15iterator_traitsISK_E10value_typeET2_T3_PNSL_ISQ_E10value_typeET4_jRbjT5_SW_jjP12ihipStream_tbEUlT_E2_NS1_11comp_targetILNS1_3genE2ELNS1_11target_archE906ELNS1_3gpuE6ELNS1_3repE0EEENS1_30default_config_static_selectorELNS0_4arch9wavefront6targetE0EEEvSK_
                                        ; -- End function
	.section	.AMDGPU.csdata,"",@progbits
; Kernel info:
; codeLenInByte = 0
; NumSgprs: 0
; NumVgprs: 0
; ScratchSize: 0
; MemoryBound: 0
; FloatMode: 240
; IeeeMode: 1
; LDSByteSize: 0 bytes/workgroup (compile time only)
; SGPRBlocks: 0
; VGPRBlocks: 0
; NumSGPRsForWavesPerEU: 1
; NumVGPRsForWavesPerEU: 1
; Occupancy: 16
; WaveLimiterHint : 0
; COMPUTE_PGM_RSRC2:SCRATCH_EN: 0
; COMPUTE_PGM_RSRC2:USER_SGPR: 15
; COMPUTE_PGM_RSRC2:TRAP_HANDLER: 0
; COMPUTE_PGM_RSRC2:TGID_X_EN: 1
; COMPUTE_PGM_RSRC2:TGID_Y_EN: 0
; COMPUTE_PGM_RSRC2:TGID_Z_EN: 0
; COMPUTE_PGM_RSRC2:TIDIG_COMP_CNT: 0
	.section	.text._ZN7rocprim17ROCPRIM_400000_NS6detail17trampoline_kernelINS0_14default_configENS1_36segmented_radix_sort_config_selectorIalEEZNS1_25segmented_radix_sort_implIS3_Lb1EPKaPaPKlPlN2at6native12_GLOBAL__N_18offset_tEEE10hipError_tPvRmT1_PNSt15iterator_traitsISK_E10value_typeET2_T3_PNSL_ISQ_E10value_typeET4_jRbjT5_SW_jjP12ihipStream_tbEUlT_E2_NS1_11comp_targetILNS1_3genE10ELNS1_11target_archE1201ELNS1_3gpuE5ELNS1_3repE0EEENS1_30default_config_static_selectorELNS0_4arch9wavefront6targetE0EEEvSK_,"axG",@progbits,_ZN7rocprim17ROCPRIM_400000_NS6detail17trampoline_kernelINS0_14default_configENS1_36segmented_radix_sort_config_selectorIalEEZNS1_25segmented_radix_sort_implIS3_Lb1EPKaPaPKlPlN2at6native12_GLOBAL__N_18offset_tEEE10hipError_tPvRmT1_PNSt15iterator_traitsISK_E10value_typeET2_T3_PNSL_ISQ_E10value_typeET4_jRbjT5_SW_jjP12ihipStream_tbEUlT_E2_NS1_11comp_targetILNS1_3genE10ELNS1_11target_archE1201ELNS1_3gpuE5ELNS1_3repE0EEENS1_30default_config_static_selectorELNS0_4arch9wavefront6targetE0EEEvSK_,comdat
	.globl	_ZN7rocprim17ROCPRIM_400000_NS6detail17trampoline_kernelINS0_14default_configENS1_36segmented_radix_sort_config_selectorIalEEZNS1_25segmented_radix_sort_implIS3_Lb1EPKaPaPKlPlN2at6native12_GLOBAL__N_18offset_tEEE10hipError_tPvRmT1_PNSt15iterator_traitsISK_E10value_typeET2_T3_PNSL_ISQ_E10value_typeET4_jRbjT5_SW_jjP12ihipStream_tbEUlT_E2_NS1_11comp_targetILNS1_3genE10ELNS1_11target_archE1201ELNS1_3gpuE5ELNS1_3repE0EEENS1_30default_config_static_selectorELNS0_4arch9wavefront6targetE0EEEvSK_ ; -- Begin function _ZN7rocprim17ROCPRIM_400000_NS6detail17trampoline_kernelINS0_14default_configENS1_36segmented_radix_sort_config_selectorIalEEZNS1_25segmented_radix_sort_implIS3_Lb1EPKaPaPKlPlN2at6native12_GLOBAL__N_18offset_tEEE10hipError_tPvRmT1_PNSt15iterator_traitsISK_E10value_typeET2_T3_PNSL_ISQ_E10value_typeET4_jRbjT5_SW_jjP12ihipStream_tbEUlT_E2_NS1_11comp_targetILNS1_3genE10ELNS1_11target_archE1201ELNS1_3gpuE5ELNS1_3repE0EEENS1_30default_config_static_selectorELNS0_4arch9wavefront6targetE0EEEvSK_
	.p2align	8
	.type	_ZN7rocprim17ROCPRIM_400000_NS6detail17trampoline_kernelINS0_14default_configENS1_36segmented_radix_sort_config_selectorIalEEZNS1_25segmented_radix_sort_implIS3_Lb1EPKaPaPKlPlN2at6native12_GLOBAL__N_18offset_tEEE10hipError_tPvRmT1_PNSt15iterator_traitsISK_E10value_typeET2_T3_PNSL_ISQ_E10value_typeET4_jRbjT5_SW_jjP12ihipStream_tbEUlT_E2_NS1_11comp_targetILNS1_3genE10ELNS1_11target_archE1201ELNS1_3gpuE5ELNS1_3repE0EEENS1_30default_config_static_selectorELNS0_4arch9wavefront6targetE0EEEvSK_,@function
_ZN7rocprim17ROCPRIM_400000_NS6detail17trampoline_kernelINS0_14default_configENS1_36segmented_radix_sort_config_selectorIalEEZNS1_25segmented_radix_sort_implIS3_Lb1EPKaPaPKlPlN2at6native12_GLOBAL__N_18offset_tEEE10hipError_tPvRmT1_PNSt15iterator_traitsISK_E10value_typeET2_T3_PNSL_ISQ_E10value_typeET4_jRbjT5_SW_jjP12ihipStream_tbEUlT_E2_NS1_11comp_targetILNS1_3genE10ELNS1_11target_archE1201ELNS1_3gpuE5ELNS1_3repE0EEENS1_30default_config_static_selectorELNS0_4arch9wavefront6targetE0EEEvSK_: ; @_ZN7rocprim17ROCPRIM_400000_NS6detail17trampoline_kernelINS0_14default_configENS1_36segmented_radix_sort_config_selectorIalEEZNS1_25segmented_radix_sort_implIS3_Lb1EPKaPaPKlPlN2at6native12_GLOBAL__N_18offset_tEEE10hipError_tPvRmT1_PNSt15iterator_traitsISK_E10value_typeET2_T3_PNSL_ISQ_E10value_typeET4_jRbjT5_SW_jjP12ihipStream_tbEUlT_E2_NS1_11comp_targetILNS1_3genE10ELNS1_11target_archE1201ELNS1_3gpuE5ELNS1_3repE0EEENS1_30default_config_static_selectorELNS0_4arch9wavefront6targetE0EEEvSK_
; %bb.0:
	.section	.rodata,"a",@progbits
	.p2align	6, 0x0
	.amdhsa_kernel _ZN7rocprim17ROCPRIM_400000_NS6detail17trampoline_kernelINS0_14default_configENS1_36segmented_radix_sort_config_selectorIalEEZNS1_25segmented_radix_sort_implIS3_Lb1EPKaPaPKlPlN2at6native12_GLOBAL__N_18offset_tEEE10hipError_tPvRmT1_PNSt15iterator_traitsISK_E10value_typeET2_T3_PNSL_ISQ_E10value_typeET4_jRbjT5_SW_jjP12ihipStream_tbEUlT_E2_NS1_11comp_targetILNS1_3genE10ELNS1_11target_archE1201ELNS1_3gpuE5ELNS1_3repE0EEENS1_30default_config_static_selectorELNS0_4arch9wavefront6targetE0EEEvSK_
		.amdhsa_group_segment_fixed_size 0
		.amdhsa_private_segment_fixed_size 0
		.amdhsa_kernarg_size 80
		.amdhsa_user_sgpr_count 15
		.amdhsa_user_sgpr_dispatch_ptr 0
		.amdhsa_user_sgpr_queue_ptr 0
		.amdhsa_user_sgpr_kernarg_segment_ptr 1
		.amdhsa_user_sgpr_dispatch_id 0
		.amdhsa_user_sgpr_private_segment_size 0
		.amdhsa_wavefront_size32 1
		.amdhsa_uses_dynamic_stack 0
		.amdhsa_enable_private_segment 0
		.amdhsa_system_sgpr_workgroup_id_x 1
		.amdhsa_system_sgpr_workgroup_id_y 0
		.amdhsa_system_sgpr_workgroup_id_z 0
		.amdhsa_system_sgpr_workgroup_info 0
		.amdhsa_system_vgpr_workitem_id 0
		.amdhsa_next_free_vgpr 1
		.amdhsa_next_free_sgpr 1
		.amdhsa_reserve_vcc 0
		.amdhsa_float_round_mode_32 0
		.amdhsa_float_round_mode_16_64 0
		.amdhsa_float_denorm_mode_32 3
		.amdhsa_float_denorm_mode_16_64 3
		.amdhsa_dx10_clamp 1
		.amdhsa_ieee_mode 1
		.amdhsa_fp16_overflow 0
		.amdhsa_workgroup_processor_mode 1
		.amdhsa_memory_ordered 1
		.amdhsa_forward_progress 0
		.amdhsa_shared_vgpr_count 0
		.amdhsa_exception_fp_ieee_invalid_op 0
		.amdhsa_exception_fp_denorm_src 0
		.amdhsa_exception_fp_ieee_div_zero 0
		.amdhsa_exception_fp_ieee_overflow 0
		.amdhsa_exception_fp_ieee_underflow 0
		.amdhsa_exception_fp_ieee_inexact 0
		.amdhsa_exception_int_div_zero 0
	.end_amdhsa_kernel
	.section	.text._ZN7rocprim17ROCPRIM_400000_NS6detail17trampoline_kernelINS0_14default_configENS1_36segmented_radix_sort_config_selectorIalEEZNS1_25segmented_radix_sort_implIS3_Lb1EPKaPaPKlPlN2at6native12_GLOBAL__N_18offset_tEEE10hipError_tPvRmT1_PNSt15iterator_traitsISK_E10value_typeET2_T3_PNSL_ISQ_E10value_typeET4_jRbjT5_SW_jjP12ihipStream_tbEUlT_E2_NS1_11comp_targetILNS1_3genE10ELNS1_11target_archE1201ELNS1_3gpuE5ELNS1_3repE0EEENS1_30default_config_static_selectorELNS0_4arch9wavefront6targetE0EEEvSK_,"axG",@progbits,_ZN7rocprim17ROCPRIM_400000_NS6detail17trampoline_kernelINS0_14default_configENS1_36segmented_radix_sort_config_selectorIalEEZNS1_25segmented_radix_sort_implIS3_Lb1EPKaPaPKlPlN2at6native12_GLOBAL__N_18offset_tEEE10hipError_tPvRmT1_PNSt15iterator_traitsISK_E10value_typeET2_T3_PNSL_ISQ_E10value_typeET4_jRbjT5_SW_jjP12ihipStream_tbEUlT_E2_NS1_11comp_targetILNS1_3genE10ELNS1_11target_archE1201ELNS1_3gpuE5ELNS1_3repE0EEENS1_30default_config_static_selectorELNS0_4arch9wavefront6targetE0EEEvSK_,comdat
.Lfunc_end325:
	.size	_ZN7rocprim17ROCPRIM_400000_NS6detail17trampoline_kernelINS0_14default_configENS1_36segmented_radix_sort_config_selectorIalEEZNS1_25segmented_radix_sort_implIS3_Lb1EPKaPaPKlPlN2at6native12_GLOBAL__N_18offset_tEEE10hipError_tPvRmT1_PNSt15iterator_traitsISK_E10value_typeET2_T3_PNSL_ISQ_E10value_typeET4_jRbjT5_SW_jjP12ihipStream_tbEUlT_E2_NS1_11comp_targetILNS1_3genE10ELNS1_11target_archE1201ELNS1_3gpuE5ELNS1_3repE0EEENS1_30default_config_static_selectorELNS0_4arch9wavefront6targetE0EEEvSK_, .Lfunc_end325-_ZN7rocprim17ROCPRIM_400000_NS6detail17trampoline_kernelINS0_14default_configENS1_36segmented_radix_sort_config_selectorIalEEZNS1_25segmented_radix_sort_implIS3_Lb1EPKaPaPKlPlN2at6native12_GLOBAL__N_18offset_tEEE10hipError_tPvRmT1_PNSt15iterator_traitsISK_E10value_typeET2_T3_PNSL_ISQ_E10value_typeET4_jRbjT5_SW_jjP12ihipStream_tbEUlT_E2_NS1_11comp_targetILNS1_3genE10ELNS1_11target_archE1201ELNS1_3gpuE5ELNS1_3repE0EEENS1_30default_config_static_selectorELNS0_4arch9wavefront6targetE0EEEvSK_
                                        ; -- End function
	.section	.AMDGPU.csdata,"",@progbits
; Kernel info:
; codeLenInByte = 0
; NumSgprs: 0
; NumVgprs: 0
; ScratchSize: 0
; MemoryBound: 0
; FloatMode: 240
; IeeeMode: 1
; LDSByteSize: 0 bytes/workgroup (compile time only)
; SGPRBlocks: 0
; VGPRBlocks: 0
; NumSGPRsForWavesPerEU: 1
; NumVGPRsForWavesPerEU: 1
; Occupancy: 16
; WaveLimiterHint : 0
; COMPUTE_PGM_RSRC2:SCRATCH_EN: 0
; COMPUTE_PGM_RSRC2:USER_SGPR: 15
; COMPUTE_PGM_RSRC2:TRAP_HANDLER: 0
; COMPUTE_PGM_RSRC2:TGID_X_EN: 1
; COMPUTE_PGM_RSRC2:TGID_Y_EN: 0
; COMPUTE_PGM_RSRC2:TGID_Z_EN: 0
; COMPUTE_PGM_RSRC2:TIDIG_COMP_CNT: 0
	.section	.text._ZN7rocprim17ROCPRIM_400000_NS6detail17trampoline_kernelINS0_14default_configENS1_36segmented_radix_sort_config_selectorIalEEZNS1_25segmented_radix_sort_implIS3_Lb1EPKaPaPKlPlN2at6native12_GLOBAL__N_18offset_tEEE10hipError_tPvRmT1_PNSt15iterator_traitsISK_E10value_typeET2_T3_PNSL_ISQ_E10value_typeET4_jRbjT5_SW_jjP12ihipStream_tbEUlT_E2_NS1_11comp_targetILNS1_3genE10ELNS1_11target_archE1200ELNS1_3gpuE4ELNS1_3repE0EEENS1_30default_config_static_selectorELNS0_4arch9wavefront6targetE0EEEvSK_,"axG",@progbits,_ZN7rocprim17ROCPRIM_400000_NS6detail17trampoline_kernelINS0_14default_configENS1_36segmented_radix_sort_config_selectorIalEEZNS1_25segmented_radix_sort_implIS3_Lb1EPKaPaPKlPlN2at6native12_GLOBAL__N_18offset_tEEE10hipError_tPvRmT1_PNSt15iterator_traitsISK_E10value_typeET2_T3_PNSL_ISQ_E10value_typeET4_jRbjT5_SW_jjP12ihipStream_tbEUlT_E2_NS1_11comp_targetILNS1_3genE10ELNS1_11target_archE1200ELNS1_3gpuE4ELNS1_3repE0EEENS1_30default_config_static_selectorELNS0_4arch9wavefront6targetE0EEEvSK_,comdat
	.globl	_ZN7rocprim17ROCPRIM_400000_NS6detail17trampoline_kernelINS0_14default_configENS1_36segmented_radix_sort_config_selectorIalEEZNS1_25segmented_radix_sort_implIS3_Lb1EPKaPaPKlPlN2at6native12_GLOBAL__N_18offset_tEEE10hipError_tPvRmT1_PNSt15iterator_traitsISK_E10value_typeET2_T3_PNSL_ISQ_E10value_typeET4_jRbjT5_SW_jjP12ihipStream_tbEUlT_E2_NS1_11comp_targetILNS1_3genE10ELNS1_11target_archE1200ELNS1_3gpuE4ELNS1_3repE0EEENS1_30default_config_static_selectorELNS0_4arch9wavefront6targetE0EEEvSK_ ; -- Begin function _ZN7rocprim17ROCPRIM_400000_NS6detail17trampoline_kernelINS0_14default_configENS1_36segmented_radix_sort_config_selectorIalEEZNS1_25segmented_radix_sort_implIS3_Lb1EPKaPaPKlPlN2at6native12_GLOBAL__N_18offset_tEEE10hipError_tPvRmT1_PNSt15iterator_traitsISK_E10value_typeET2_T3_PNSL_ISQ_E10value_typeET4_jRbjT5_SW_jjP12ihipStream_tbEUlT_E2_NS1_11comp_targetILNS1_3genE10ELNS1_11target_archE1200ELNS1_3gpuE4ELNS1_3repE0EEENS1_30default_config_static_selectorELNS0_4arch9wavefront6targetE0EEEvSK_
	.p2align	8
	.type	_ZN7rocprim17ROCPRIM_400000_NS6detail17trampoline_kernelINS0_14default_configENS1_36segmented_radix_sort_config_selectorIalEEZNS1_25segmented_radix_sort_implIS3_Lb1EPKaPaPKlPlN2at6native12_GLOBAL__N_18offset_tEEE10hipError_tPvRmT1_PNSt15iterator_traitsISK_E10value_typeET2_T3_PNSL_ISQ_E10value_typeET4_jRbjT5_SW_jjP12ihipStream_tbEUlT_E2_NS1_11comp_targetILNS1_3genE10ELNS1_11target_archE1200ELNS1_3gpuE4ELNS1_3repE0EEENS1_30default_config_static_selectorELNS0_4arch9wavefront6targetE0EEEvSK_,@function
_ZN7rocprim17ROCPRIM_400000_NS6detail17trampoline_kernelINS0_14default_configENS1_36segmented_radix_sort_config_selectorIalEEZNS1_25segmented_radix_sort_implIS3_Lb1EPKaPaPKlPlN2at6native12_GLOBAL__N_18offset_tEEE10hipError_tPvRmT1_PNSt15iterator_traitsISK_E10value_typeET2_T3_PNSL_ISQ_E10value_typeET4_jRbjT5_SW_jjP12ihipStream_tbEUlT_E2_NS1_11comp_targetILNS1_3genE10ELNS1_11target_archE1200ELNS1_3gpuE4ELNS1_3repE0EEENS1_30default_config_static_selectorELNS0_4arch9wavefront6targetE0EEEvSK_: ; @_ZN7rocprim17ROCPRIM_400000_NS6detail17trampoline_kernelINS0_14default_configENS1_36segmented_radix_sort_config_selectorIalEEZNS1_25segmented_radix_sort_implIS3_Lb1EPKaPaPKlPlN2at6native12_GLOBAL__N_18offset_tEEE10hipError_tPvRmT1_PNSt15iterator_traitsISK_E10value_typeET2_T3_PNSL_ISQ_E10value_typeET4_jRbjT5_SW_jjP12ihipStream_tbEUlT_E2_NS1_11comp_targetILNS1_3genE10ELNS1_11target_archE1200ELNS1_3gpuE4ELNS1_3repE0EEENS1_30default_config_static_selectorELNS0_4arch9wavefront6targetE0EEEvSK_
; %bb.0:
	.section	.rodata,"a",@progbits
	.p2align	6, 0x0
	.amdhsa_kernel _ZN7rocprim17ROCPRIM_400000_NS6detail17trampoline_kernelINS0_14default_configENS1_36segmented_radix_sort_config_selectorIalEEZNS1_25segmented_radix_sort_implIS3_Lb1EPKaPaPKlPlN2at6native12_GLOBAL__N_18offset_tEEE10hipError_tPvRmT1_PNSt15iterator_traitsISK_E10value_typeET2_T3_PNSL_ISQ_E10value_typeET4_jRbjT5_SW_jjP12ihipStream_tbEUlT_E2_NS1_11comp_targetILNS1_3genE10ELNS1_11target_archE1200ELNS1_3gpuE4ELNS1_3repE0EEENS1_30default_config_static_selectorELNS0_4arch9wavefront6targetE0EEEvSK_
		.amdhsa_group_segment_fixed_size 0
		.amdhsa_private_segment_fixed_size 0
		.amdhsa_kernarg_size 80
		.amdhsa_user_sgpr_count 15
		.amdhsa_user_sgpr_dispatch_ptr 0
		.amdhsa_user_sgpr_queue_ptr 0
		.amdhsa_user_sgpr_kernarg_segment_ptr 1
		.amdhsa_user_sgpr_dispatch_id 0
		.amdhsa_user_sgpr_private_segment_size 0
		.amdhsa_wavefront_size32 1
		.amdhsa_uses_dynamic_stack 0
		.amdhsa_enable_private_segment 0
		.amdhsa_system_sgpr_workgroup_id_x 1
		.amdhsa_system_sgpr_workgroup_id_y 0
		.amdhsa_system_sgpr_workgroup_id_z 0
		.amdhsa_system_sgpr_workgroup_info 0
		.amdhsa_system_vgpr_workitem_id 0
		.amdhsa_next_free_vgpr 1
		.amdhsa_next_free_sgpr 1
		.amdhsa_reserve_vcc 0
		.amdhsa_float_round_mode_32 0
		.amdhsa_float_round_mode_16_64 0
		.amdhsa_float_denorm_mode_32 3
		.amdhsa_float_denorm_mode_16_64 3
		.amdhsa_dx10_clamp 1
		.amdhsa_ieee_mode 1
		.amdhsa_fp16_overflow 0
		.amdhsa_workgroup_processor_mode 1
		.amdhsa_memory_ordered 1
		.amdhsa_forward_progress 0
		.amdhsa_shared_vgpr_count 0
		.amdhsa_exception_fp_ieee_invalid_op 0
		.amdhsa_exception_fp_denorm_src 0
		.amdhsa_exception_fp_ieee_div_zero 0
		.amdhsa_exception_fp_ieee_overflow 0
		.amdhsa_exception_fp_ieee_underflow 0
		.amdhsa_exception_fp_ieee_inexact 0
		.amdhsa_exception_int_div_zero 0
	.end_amdhsa_kernel
	.section	.text._ZN7rocprim17ROCPRIM_400000_NS6detail17trampoline_kernelINS0_14default_configENS1_36segmented_radix_sort_config_selectorIalEEZNS1_25segmented_radix_sort_implIS3_Lb1EPKaPaPKlPlN2at6native12_GLOBAL__N_18offset_tEEE10hipError_tPvRmT1_PNSt15iterator_traitsISK_E10value_typeET2_T3_PNSL_ISQ_E10value_typeET4_jRbjT5_SW_jjP12ihipStream_tbEUlT_E2_NS1_11comp_targetILNS1_3genE10ELNS1_11target_archE1200ELNS1_3gpuE4ELNS1_3repE0EEENS1_30default_config_static_selectorELNS0_4arch9wavefront6targetE0EEEvSK_,"axG",@progbits,_ZN7rocprim17ROCPRIM_400000_NS6detail17trampoline_kernelINS0_14default_configENS1_36segmented_radix_sort_config_selectorIalEEZNS1_25segmented_radix_sort_implIS3_Lb1EPKaPaPKlPlN2at6native12_GLOBAL__N_18offset_tEEE10hipError_tPvRmT1_PNSt15iterator_traitsISK_E10value_typeET2_T3_PNSL_ISQ_E10value_typeET4_jRbjT5_SW_jjP12ihipStream_tbEUlT_E2_NS1_11comp_targetILNS1_3genE10ELNS1_11target_archE1200ELNS1_3gpuE4ELNS1_3repE0EEENS1_30default_config_static_selectorELNS0_4arch9wavefront6targetE0EEEvSK_,comdat
.Lfunc_end326:
	.size	_ZN7rocprim17ROCPRIM_400000_NS6detail17trampoline_kernelINS0_14default_configENS1_36segmented_radix_sort_config_selectorIalEEZNS1_25segmented_radix_sort_implIS3_Lb1EPKaPaPKlPlN2at6native12_GLOBAL__N_18offset_tEEE10hipError_tPvRmT1_PNSt15iterator_traitsISK_E10value_typeET2_T3_PNSL_ISQ_E10value_typeET4_jRbjT5_SW_jjP12ihipStream_tbEUlT_E2_NS1_11comp_targetILNS1_3genE10ELNS1_11target_archE1200ELNS1_3gpuE4ELNS1_3repE0EEENS1_30default_config_static_selectorELNS0_4arch9wavefront6targetE0EEEvSK_, .Lfunc_end326-_ZN7rocprim17ROCPRIM_400000_NS6detail17trampoline_kernelINS0_14default_configENS1_36segmented_radix_sort_config_selectorIalEEZNS1_25segmented_radix_sort_implIS3_Lb1EPKaPaPKlPlN2at6native12_GLOBAL__N_18offset_tEEE10hipError_tPvRmT1_PNSt15iterator_traitsISK_E10value_typeET2_T3_PNSL_ISQ_E10value_typeET4_jRbjT5_SW_jjP12ihipStream_tbEUlT_E2_NS1_11comp_targetILNS1_3genE10ELNS1_11target_archE1200ELNS1_3gpuE4ELNS1_3repE0EEENS1_30default_config_static_selectorELNS0_4arch9wavefront6targetE0EEEvSK_
                                        ; -- End function
	.section	.AMDGPU.csdata,"",@progbits
; Kernel info:
; codeLenInByte = 0
; NumSgprs: 0
; NumVgprs: 0
; ScratchSize: 0
; MemoryBound: 0
; FloatMode: 240
; IeeeMode: 1
; LDSByteSize: 0 bytes/workgroup (compile time only)
; SGPRBlocks: 0
; VGPRBlocks: 0
; NumSGPRsForWavesPerEU: 1
; NumVGPRsForWavesPerEU: 1
; Occupancy: 16
; WaveLimiterHint : 0
; COMPUTE_PGM_RSRC2:SCRATCH_EN: 0
; COMPUTE_PGM_RSRC2:USER_SGPR: 15
; COMPUTE_PGM_RSRC2:TRAP_HANDLER: 0
; COMPUTE_PGM_RSRC2:TGID_X_EN: 1
; COMPUTE_PGM_RSRC2:TGID_Y_EN: 0
; COMPUTE_PGM_RSRC2:TGID_Z_EN: 0
; COMPUTE_PGM_RSRC2:TIDIG_COMP_CNT: 0
	.section	.text._ZN7rocprim17ROCPRIM_400000_NS6detail17trampoline_kernelINS0_14default_configENS1_36segmented_radix_sort_config_selectorIalEEZNS1_25segmented_radix_sort_implIS3_Lb1EPKaPaPKlPlN2at6native12_GLOBAL__N_18offset_tEEE10hipError_tPvRmT1_PNSt15iterator_traitsISK_E10value_typeET2_T3_PNSL_ISQ_E10value_typeET4_jRbjT5_SW_jjP12ihipStream_tbEUlT_E2_NS1_11comp_targetILNS1_3genE9ELNS1_11target_archE1100ELNS1_3gpuE3ELNS1_3repE0EEENS1_30default_config_static_selectorELNS0_4arch9wavefront6targetE0EEEvSK_,"axG",@progbits,_ZN7rocprim17ROCPRIM_400000_NS6detail17trampoline_kernelINS0_14default_configENS1_36segmented_radix_sort_config_selectorIalEEZNS1_25segmented_radix_sort_implIS3_Lb1EPKaPaPKlPlN2at6native12_GLOBAL__N_18offset_tEEE10hipError_tPvRmT1_PNSt15iterator_traitsISK_E10value_typeET2_T3_PNSL_ISQ_E10value_typeET4_jRbjT5_SW_jjP12ihipStream_tbEUlT_E2_NS1_11comp_targetILNS1_3genE9ELNS1_11target_archE1100ELNS1_3gpuE3ELNS1_3repE0EEENS1_30default_config_static_selectorELNS0_4arch9wavefront6targetE0EEEvSK_,comdat
	.globl	_ZN7rocprim17ROCPRIM_400000_NS6detail17trampoline_kernelINS0_14default_configENS1_36segmented_radix_sort_config_selectorIalEEZNS1_25segmented_radix_sort_implIS3_Lb1EPKaPaPKlPlN2at6native12_GLOBAL__N_18offset_tEEE10hipError_tPvRmT1_PNSt15iterator_traitsISK_E10value_typeET2_T3_PNSL_ISQ_E10value_typeET4_jRbjT5_SW_jjP12ihipStream_tbEUlT_E2_NS1_11comp_targetILNS1_3genE9ELNS1_11target_archE1100ELNS1_3gpuE3ELNS1_3repE0EEENS1_30default_config_static_selectorELNS0_4arch9wavefront6targetE0EEEvSK_ ; -- Begin function _ZN7rocprim17ROCPRIM_400000_NS6detail17trampoline_kernelINS0_14default_configENS1_36segmented_radix_sort_config_selectorIalEEZNS1_25segmented_radix_sort_implIS3_Lb1EPKaPaPKlPlN2at6native12_GLOBAL__N_18offset_tEEE10hipError_tPvRmT1_PNSt15iterator_traitsISK_E10value_typeET2_T3_PNSL_ISQ_E10value_typeET4_jRbjT5_SW_jjP12ihipStream_tbEUlT_E2_NS1_11comp_targetILNS1_3genE9ELNS1_11target_archE1100ELNS1_3gpuE3ELNS1_3repE0EEENS1_30default_config_static_selectorELNS0_4arch9wavefront6targetE0EEEvSK_
	.p2align	8
	.type	_ZN7rocprim17ROCPRIM_400000_NS6detail17trampoline_kernelINS0_14default_configENS1_36segmented_radix_sort_config_selectorIalEEZNS1_25segmented_radix_sort_implIS3_Lb1EPKaPaPKlPlN2at6native12_GLOBAL__N_18offset_tEEE10hipError_tPvRmT1_PNSt15iterator_traitsISK_E10value_typeET2_T3_PNSL_ISQ_E10value_typeET4_jRbjT5_SW_jjP12ihipStream_tbEUlT_E2_NS1_11comp_targetILNS1_3genE9ELNS1_11target_archE1100ELNS1_3gpuE3ELNS1_3repE0EEENS1_30default_config_static_selectorELNS0_4arch9wavefront6targetE0EEEvSK_,@function
_ZN7rocprim17ROCPRIM_400000_NS6detail17trampoline_kernelINS0_14default_configENS1_36segmented_radix_sort_config_selectorIalEEZNS1_25segmented_radix_sort_implIS3_Lb1EPKaPaPKlPlN2at6native12_GLOBAL__N_18offset_tEEE10hipError_tPvRmT1_PNSt15iterator_traitsISK_E10value_typeET2_T3_PNSL_ISQ_E10value_typeET4_jRbjT5_SW_jjP12ihipStream_tbEUlT_E2_NS1_11comp_targetILNS1_3genE9ELNS1_11target_archE1100ELNS1_3gpuE3ELNS1_3repE0EEENS1_30default_config_static_selectorELNS0_4arch9wavefront6targetE0EEEvSK_: ; @_ZN7rocprim17ROCPRIM_400000_NS6detail17trampoline_kernelINS0_14default_configENS1_36segmented_radix_sort_config_selectorIalEEZNS1_25segmented_radix_sort_implIS3_Lb1EPKaPaPKlPlN2at6native12_GLOBAL__N_18offset_tEEE10hipError_tPvRmT1_PNSt15iterator_traitsISK_E10value_typeET2_T3_PNSL_ISQ_E10value_typeET4_jRbjT5_SW_jjP12ihipStream_tbEUlT_E2_NS1_11comp_targetILNS1_3genE9ELNS1_11target_archE1100ELNS1_3gpuE3ELNS1_3repE0EEENS1_30default_config_static_selectorELNS0_4arch9wavefront6targetE0EEEvSK_
; %bb.0:
	s_load_b128 s[4:7], s[0:1], 0x34
	s_mov_b32 s32, 0
	s_waitcnt lgkmcnt(0)
	s_add_i32 s28, s5, s14
	s_add_i32 s29, s7, s14
	s_mul_i32 s28, s28, s4
	s_mul_i32 s29, s29, s6
	s_delay_alu instid0(SALU_CYCLE_1)
	s_cmp_le_u32 s29, s28
	s_cbranch_scc1 .LBB327_686
; %bb.1:
	s_clause 0x3
	s_load_b32 s2, s[0:1], 0x30
	s_load_b128 s[44:47], s[0:1], 0x20
	s_load_b128 s[48:51], s[0:1], 0x44
	s_load_b256 s[36:43], s[0:1], 0x0
	s_waitcnt lgkmcnt(0)
	s_bitcmp1_b32 s2, 0
	s_mov_b32 s2, -1
	s_cselect_b32 s33, -1, 0
	s_sub_i32 s34, s29, s28
	s_delay_alu instid0(SALU_CYCLE_1)
	s_cmpk_lt_u32 s34, 0x801
	s_cbranch_scc0 .LBB327_15
; %bb.2:
	s_cmp_lt_u32 s34, 33
	s_cbranch_scc0 .LBB327_9
; %bb.3:
	s_load_b32 s2, s[0:1], 0x5c
	v_bfe_u32 v1, v0, 10, 10
	v_bfe_u32 v2, v0, 20, 10
	s_mov_b32 s18, exec_lo
	s_waitcnt lgkmcnt(0)
	s_lshr_b32 s3, s2, 16
	s_and_b32 s2, s2, 0xffff
	v_mad_u32_u24 v4, v2, s3, v1
	v_and_b32_e32 v1, 0x3ff, v0
	s_delay_alu instid0(VALU_DEP_1) | instskip(NEXT) | instid1(VALU_DEP_1)
	v_mad_u64_u32 v[2:3], null, v4, s2, v[1:2]
	v_cmpx_gt_u32_e32 8, v2
	s_cbranch_execz .LBB327_8
; %bb.4:
	v_cndmask_b32_e64 v1, 0, 1, s33
	s_and_b32 s2, s48, 1
	s_delay_alu instid0(VALU_DEP_1) | instid1(SALU_CYCLE_1)
	v_cmp_ne_u32_e32 vcc_lo, s2, v1
	s_mov_b32 s2, -1
	s_cbranch_vccnz .LBB327_6
; %bb.5:
	s_mov_b64 s[2:3], src_shared_base
	v_mov_b32_e32 v31, v0
	v_dual_mov_b32 v40, v0 :: v_dual_mov_b32 v1, s37
	v_mov_b32_e32 v0, s36
	v_dual_mov_b32 v2, s40 :: v_dual_mov_b32 v3, s41
	v_dual_mov_b32 v4, s42 :: v_dual_mov_b32 v5, s43
	;; [unrolled: 1-line block ×6, first 2 shown]
	s_add_u32 s8, s0, 0x50
	s_addc_u32 s9, s1, 0
	s_mov_b32 s12, s14
	s_mov_b32 s13, s15
	s_getpc_b64 s[4:5]
	s_add_u32 s4, s4, _ZN7rocprim17ROCPRIM_400000_NS6detail26segmented_warp_sort_helperINS1_20WarpSortHelperConfigILj8ELj4ELj256EEEalLi256ELb1EvE4sortIPKaPaPKlPlEEvT_T0_T1_T2_jjjjRNS5_12storage_typeE@rel32@lo+4
	s_addc_u32 s5, s5, _ZN7rocprim17ROCPRIM_400000_NS6detail26segmented_warp_sort_helperINS1_20WarpSortHelperConfigILj8ELj4ELj256EEEalLi256ELb1EvE4sortIPKaPaPKlPlEEvT_T0_T1_T2_jjjjRNS5_12storage_typeE@rel32@hi+12
	s_mov_b64 s[16:17], s[0:1]
	s_mov_b32 s19, s15
	s_mov_b32 s20, s14
	s_swappc_b64 s[30:31], s[4:5]
	v_mov_b32_e32 v0, v40
	s_mov_b32 s14, s20
	s_mov_b32 s15, s19
	s_mov_b64 s[0:1], s[16:17]
	s_mov_b32 s2, 0
.LBB327_6:
	s_delay_alu instid0(SALU_CYCLE_1)
	s_and_not1_b32 vcc_lo, exec_lo, s2
	s_cbranch_vccnz .LBB327_8
; %bb.7:
	s_mov_b64 s[2:3], src_shared_base
	v_mov_b32_e32 v31, v0
	v_dual_mov_b32 v40, v0 :: v_dual_mov_b32 v1, s37
	v_mov_b32_e32 v0, s36
	v_dual_mov_b32 v2, s38 :: v_dual_mov_b32 v3, s39
	v_dual_mov_b32 v4, s42 :: v_dual_mov_b32 v5, s43
	;; [unrolled: 1-line block ×6, first 2 shown]
	s_add_u32 s8, s0, 0x50
	s_addc_u32 s9, s1, 0
	s_mov_b32 s12, s14
	s_mov_b32 s13, s15
	s_getpc_b64 s[4:5]
	s_add_u32 s4, s4, _ZN7rocprim17ROCPRIM_400000_NS6detail26segmented_warp_sort_helperINS1_20WarpSortHelperConfigILj8ELj4ELj256EEEalLi256ELb1EvE4sortIPKaPaPKlPlEEvT_T0_T1_T2_jjjjRNS5_12storage_typeE@rel32@lo+4
	s_addc_u32 s5, s5, _ZN7rocprim17ROCPRIM_400000_NS6detail26segmented_warp_sort_helperINS1_20WarpSortHelperConfigILj8ELj4ELj256EEEalLi256ELb1EvE4sortIPKaPaPKlPlEEvT_T0_T1_T2_jjjjRNS5_12storage_typeE@rel32@hi+12
	s_mov_b64 s[16:17], s[0:1]
	s_mov_b32 s20, s15
	s_mov_b32 s19, s14
	s_swappc_b64 s[30:31], s[4:5]
	v_mov_b32_e32 v0, v40
	s_mov_b32 s14, s19
	s_mov_b32 s15, s20
	s_mov_b64 s[0:1], s[16:17]
.LBB327_8:
	s_or_b32 exec_lo, exec_lo, s18
	s_mov_b32 s2, 0
.LBB327_9:
	s_delay_alu instid0(SALU_CYCLE_1)
	s_and_not1_b32 vcc_lo, exec_lo, s2
	s_cbranch_vccnz .LBB327_14
; %bb.10:
	v_cndmask_b32_e64 v1, 0, 1, s33
	s_and_b32 s2, s48, 1
	s_delay_alu instid0(VALU_DEP_1) | instid1(SALU_CYCLE_1)
	v_cmp_ne_u32_e32 vcc_lo, s2, v1
	s_mov_b32 s2, -1
	s_cbranch_vccnz .LBB327_12
; %bb.11:
	s_mov_b64 s[2:3], src_shared_base
	v_mov_b32_e32 v31, v0
	v_dual_mov_b32 v40, v0 :: v_dual_mov_b32 v1, s37
	v_mov_b32_e32 v0, s36
	v_dual_mov_b32 v2, s40 :: v_dual_mov_b32 v3, s41
	v_dual_mov_b32 v4, s42 :: v_dual_mov_b32 v5, s43
	;; [unrolled: 1-line block ×6, first 2 shown]
	s_add_u32 s8, s0, 0x50
	s_addc_u32 s9, s1, 0
	s_mov_b32 s12, s14
	s_mov_b32 s13, s15
	s_getpc_b64 s[4:5]
	s_add_u32 s4, s4, _ZN7rocprim17ROCPRIM_400000_NS6detail40segmented_radix_sort_single_block_helperIalLj256ELj8ELb1EE4sortIPKaPaPKlPlEEbT_T0_T1_T2_jjjjRNS3_12storage_typeE@rel32@lo+4
	s_addc_u32 s5, s5, _ZN7rocprim17ROCPRIM_400000_NS6detail40segmented_radix_sort_single_block_helperIalLj256ELj8ELb1EE4sortIPKaPaPKlPlEEbT_T0_T1_T2_jjjjRNS3_12storage_typeE@rel32@hi+12
	s_mov_b64 s[26:27], s[0:1]
	s_mov_b32 s35, s15
	s_mov_b32 s48, s14
	s_swappc_b64 s[30:31], s[4:5]
	v_mov_b32_e32 v0, v40
	s_mov_b32 s14, s48
	s_mov_b32 s15, s35
	s_mov_b64 s[0:1], s[26:27]
	s_mov_b32 s2, 0
.LBB327_12:
	s_delay_alu instid0(SALU_CYCLE_1)
	s_and_not1_b32 vcc_lo, exec_lo, s2
	s_cbranch_vccnz .LBB327_14
; %bb.13:
	s_mov_b64 s[2:3], src_shared_base
	v_mov_b32_e32 v31, v0
	v_dual_mov_b32 v40, v0 :: v_dual_mov_b32 v1, s37
	v_mov_b32_e32 v0, s36
	v_dual_mov_b32 v2, s38 :: v_dual_mov_b32 v3, s39
	v_dual_mov_b32 v4, s42 :: v_dual_mov_b32 v5, s43
	;; [unrolled: 1-line block ×6, first 2 shown]
	s_add_u32 s8, s0, 0x50
	s_addc_u32 s9, s1, 0
	s_mov_b32 s12, s14
	s_mov_b32 s13, s15
	s_getpc_b64 s[4:5]
	s_add_u32 s4, s4, _ZN7rocprim17ROCPRIM_400000_NS6detail40segmented_radix_sort_single_block_helperIalLj256ELj8ELb1EE4sortIPKaPaPKlPlEEbT_T0_T1_T2_jjjjRNS3_12storage_typeE@rel32@lo+4
	s_addc_u32 s5, s5, _ZN7rocprim17ROCPRIM_400000_NS6detail40segmented_radix_sort_single_block_helperIalLj256ELj8ELb1EE4sortIPKaPaPKlPlEEbT_T0_T1_T2_jjjjRNS3_12storage_typeE@rel32@hi+12
	s_mov_b64 s[26:27], s[0:1]
	s_mov_b32 s48, s15
	s_mov_b32 s35, s14
	s_swappc_b64 s[30:31], s[4:5]
	v_mov_b32_e32 v0, v40
	s_mov_b32 s14, s35
	s_mov_b32 s15, s48
	s_mov_b64 s[0:1], s[26:27]
.LBB327_14:
	s_mov_b32 s2, 0
.LBB327_15:
	s_delay_alu instid0(SALU_CYCLE_1)
	s_and_not1_b32 vcc_lo, exec_lo, s2
	s_cbranch_vccnz .LBB327_686
; %bb.16:
	s_cmp_ge_u32 s49, s50
	s_cbranch_scc1 .LBB327_686
; %bb.17:
	v_dual_mov_b32 v66, 1 :: v_dual_and_b32 v1, 0x3ff, v0
	v_mov_b32_e32 v3, 0
	v_mbcnt_lo_u32_b32 v63, -1, 0
	v_bfe_u32 v45, v0, 20, 10
	s_delay_alu instid0(VALU_DEP_4) | instskip(SKIP_4) | instid1(VALU_DEP_4)
	v_lshlrev_b32_e32 v28, 2, v1
	v_lshrrev_b32_e32 v2, 3, v1
	v_or_b32_e32 v4, 31, v1
	v_lshlrev_b32_e32 v5, 5, v1
	v_add_co_u32 v33, s2, s40, v1
	v_and_b32_e32 v38, 28, v2
	v_lshlrev_b32_e32 v2, 3, v1
	v_cmp_eq_u32_e64 s3, v4, v1
	v_add_nc_u32_e32 v4, 1, v1
	v_sub_nc_u32_e32 v48, 0, v5
	v_mad_u32_u24 v40, v1, 12, v28
	v_and_b32_e32 v44, 0x700, v2
	v_mul_u32_u24_e32 v2, 9, v1
	v_cmp_ne_u32_e64 s7, 0x100, v4
	v_or_b32_e32 v29, 0x100, v1
	v_or_b32_e32 v30, 0x200, v1
	v_lshlrev_b32_e32 v5, 3, v44
	v_lshl_add_u32 v47, v2, 2, 0x420
	v_mul_u32_u24_e32 v2, 9, v4
	v_or_b32_e32 v31, 0x300, v1
	v_and_b32_e32 v32, 3, v1
	v_add_co_u32 v50, s8, s46, v5
	s_delay_alu instid0(VALU_DEP_4) | instskip(SKIP_2) | instid1(VALU_DEP_1)
	v_lshlrev_b32_e32 v49, 2, v2
	v_add_co_ci_u32_e64 v51, null, s47, 0, s8
	v_add_co_u32 v2, s8, s40, v44
	v_add_co_ci_u32_e64 v4, null, s41, 0, s8
	v_add_co_u32 v53, s8, s38, v1
	s_delay_alu instid0(VALU_DEP_1) | instskip(SKIP_1) | instid1(VALU_DEP_1)
	v_add_co_ci_u32_e64 v54, null, s39, 0, s8
	v_add_co_u32 v55, s8, s44, v5
	v_add_co_ci_u32_e64 v56, null, s45, 0, s8
	v_add_co_u32 v57, s8, s38, v44
	s_delay_alu instid0(VALU_DEP_1) | instskip(SKIP_1) | instid1(VALU_DEP_1)
	v_add_co_ci_u32_e64 v58, null, s39, 0, s8
	v_add_co_u32 v59, s8, s36, v1
	v_add_co_ci_u32_e64 v60, null, s37, 0, s8
	v_add_co_u32 v61, s8, s42, v5
	s_delay_alu instid0(VALU_DEP_1)
	v_add_co_ci_u32_e64 v62, null, s43, 0, s8
	v_add_co_u32 v64, s8, s36, v44
	v_add_co_u32 v67, vcc_lo, v2, v63
	v_add_co_ci_u32_e64 v34, null, s41, 0, s2
	v_or_b32_e32 v35, 0x400, v1
	v_or_b32_e32 v36, 0x500, v1
	;; [unrolled: 1-line block ×4, first 2 shown]
	v_cmp_gt_u32_e64 s2, 0x100, v1
	v_or_b32_e32 v41, 0x4400, v38
	v_cmp_gt_u32_e64 s4, 8, v1
	v_add_nc_u32_e32 v42, 0x4400, v28
	v_cmp_lt_u32_e64 s5, 31, v1
	v_add_nc_u32_e32 v43, 0x43fc, v38
	v_bfe_u32 v0, v0, 10, 10
	v_mad_u32_u24 v46, v1, 20, v40
	v_cmp_eq_u32_e64 s6, 0, v1
	v_mul_u32_u24_e32 v52, 7, v1
	v_add_co_ci_u32_e64 v65, null, s37, 0, s8
	v_add_co_ci_u32_e32 v68, vcc_lo, 0, v4, vcc_lo
	s_add_u32 s26, s0, 0x50
	s_mov_b32 s25, 0
	s_addc_u32 s27, s1, 0
	s_mov_b32 s30, s49
	s_branch .LBB327_20
.LBB327_18:                             ;   in Loop: Header=BB327_20 Depth=1
	s_waitcnt lgkmcnt(0)
	s_barrier
.LBB327_19:                             ;   in Loop: Header=BB327_20 Depth=1
	s_add_i32 s30, s30, 8
	buffer_gl0_inv
	s_cmp_ge_u32 s30, s50
	s_cbranch_scc1 .LBB327_686
.LBB327_20:                             ; =>This Loop Header: Depth=1
                                        ;     Child Loop BB327_24 Depth 2
                                        ;     Child Loop BB327_74 Depth 2
	;; [unrolled: 1-line block ×8, first 2 shown]
	s_sub_i32 s0, s50, s30
	s_xor_b32 s33, s33, -1
	s_min_u32 s0, s0, 8
	ds_store_2addr_stride64_b32 v28, v3, v3 offset1:4
	s_lshl_b32 s0, -1, s0
	ds_store_2addr_stride64_b32 v28, v3, v3 offset0:8 offset1:12
	s_not_b32 s31, s0
	s_cmp_lg_u32 s30, s49
	s_mov_b32 s0, -1
	s_waitcnt lgkmcnt(0)
	s_waitcnt_vscnt null, 0x0
	s_cbranch_scc0 .LBB327_354
; %bb.21:                               ;   in Loop: Header=BB327_20 Depth=1
	s_and_b32 vcc_lo, exec_lo, s33
	s_cbranch_vccz .LBB327_187
; %bb.22:                               ;   in Loop: Header=BB327_20 Depth=1
	s_mov_b32 s0, s34
	s_mov_b32 s9, s28
	s_barrier
	buffer_gl0_inv
                                        ; implicit-def: $vgpr2
                                        ; implicit-def: $vgpr6
                                        ; implicit-def: $vgpr7
                                        ; implicit-def: $vgpr8
                                        ; implicit-def: $vgpr9
                                        ; implicit-def: $vgpr10
                                        ; implicit-def: $vgpr11
                                        ; implicit-def: $vgpr12
	s_branch .LBB327_24
.LBB327_23:                             ;   in Loop: Header=BB327_24 Depth=2
	s_or_b32 exec_lo, exec_lo, s8
	s_addk_i32 s0, 0xf800
	s_cmp_ge_u32 s1, s29
	s_mov_b32 s9, s1
	s_cbranch_scc1 .LBB327_62
.LBB327_24:                             ;   Parent Loop BB327_20 Depth=1
                                        ; =>  This Inner Loop Header: Depth=2
	s_add_i32 s1, s9, 0x800
	s_delay_alu instid0(SALU_CYCLE_1)
	s_cmp_gt_u32 s1, s29
	s_cbranch_scc1 .LBB327_27
; %bb.25:                               ;   in Loop: Header=BB327_24 Depth=2
	v_add_co_u32 v4, vcc_lo, v33, s9
	v_add_co_ci_u32_e32 v5, vcc_lo, 0, v34, vcc_lo
	s_mov_b32 s8, -1
	s_movk_i32 s12, 0x800
	s_clause 0x6
	global_load_u8 v20, v[4:5], off offset:1536
	global_load_u8 v19, v[4:5], off offset:1280
	;; [unrolled: 1-line block ×6, first 2 shown]
	global_load_u8 v14, v[4:5], off
	v_add_co_u32 v4, vcc_lo, 0x700, v4
	v_add_co_ci_u32_e32 v5, vcc_lo, 0, v5, vcc_lo
	s_cbranch_execz .LBB327_28
; %bb.26:                               ;   in Loop: Header=BB327_24 Depth=2
                                        ; implicit-def: $vgpr2
                                        ; implicit-def: $vgpr6
                                        ; implicit-def: $vgpr7
                                        ; implicit-def: $vgpr8
                                        ; implicit-def: $vgpr9
                                        ; implicit-def: $vgpr10
                                        ; implicit-def: $vgpr11
                                        ; implicit-def: $vgpr12
	v_mov_b32_e32 v13, s0
	s_and_saveexec_b32 s9, s8
	s_cbranch_execnz .LBB327_39
	s_branch .LBB327_40
.LBB327_27:                             ;   in Loop: Header=BB327_24 Depth=2
	s_mov_b32 s8, 0
                                        ; implicit-def: $sgpr12
                                        ; implicit-def: $vgpr14
                                        ; implicit-def: $vgpr15
                                        ; implicit-def: $vgpr16
                                        ; implicit-def: $vgpr17
                                        ; implicit-def: $vgpr18
                                        ; implicit-def: $vgpr19
                                        ; implicit-def: $vgpr20
                                        ; implicit-def: $vgpr4_vgpr5
.LBB327_28:                             ;   in Loop: Header=BB327_24 Depth=2
	s_add_u32 s10, s40, s9
	s_addc_u32 s11, s41, 0
	s_mov_b32 s12, exec_lo
	v_cmpx_gt_u32_e64 s0, v1
	s_cbranch_execz .LBB327_56
; %bb.29:                               ;   in Loop: Header=BB327_24 Depth=2
	v_add_co_u32 v4, s13, s10, v1
	s_delay_alu instid0(VALU_DEP_1) | instskip(SKIP_2) | instid1(SALU_CYCLE_1)
	v_add_co_ci_u32_e64 v5, null, s11, 0, s13
	global_load_u8 v2, v[4:5], off
	s_or_b32 exec_lo, exec_lo, s12
	s_mov_b32 s12, exec_lo
	v_cmpx_gt_u32_e64 s0, v29
	s_cbranch_execnz .LBB327_57
.LBB327_30:                             ;   in Loop: Header=BB327_24 Depth=2
	s_or_b32 exec_lo, exec_lo, s12
	s_delay_alu instid0(SALU_CYCLE_1)
	s_mov_b32 s12, exec_lo
	v_cmpx_gt_u32_e64 s0, v30
	s_cbranch_execz .LBB327_58
.LBB327_31:                             ;   in Loop: Header=BB327_24 Depth=2
	v_add_co_u32 v4, s13, s10, v1
	s_delay_alu instid0(VALU_DEP_1) | instskip(SKIP_2) | instid1(SALU_CYCLE_1)
	v_add_co_ci_u32_e64 v5, null, s11, 0, s13
	global_load_u8 v7, v[4:5], off offset:512
	s_or_b32 exec_lo, exec_lo, s12
	s_mov_b32 s12, exec_lo
	v_cmpx_gt_u32_e64 s0, v31
	s_cbranch_execnz .LBB327_59
.LBB327_32:                             ;   in Loop: Header=BB327_24 Depth=2
	s_or_b32 exec_lo, exec_lo, s12
	s_delay_alu instid0(SALU_CYCLE_1)
	s_mov_b32 s12, exec_lo
	v_cmpx_gt_u32_e64 s0, v35
	s_cbranch_execz .LBB327_60
.LBB327_33:                             ;   in Loop: Header=BB327_24 Depth=2
	v_add_co_u32 v4, s13, s10, v1
	s_delay_alu instid0(VALU_DEP_1) | instskip(SKIP_2) | instid1(SALU_CYCLE_1)
	v_add_co_ci_u32_e64 v5, null, s11, 0, s13
	global_load_u8 v9, v[4:5], off offset:1024
	s_or_b32 exec_lo, exec_lo, s12
	s_mov_b32 s12, exec_lo
	v_cmpx_gt_u32_e64 s0, v36
	s_cbranch_execnz .LBB327_61
.LBB327_34:                             ;   in Loop: Header=BB327_24 Depth=2
	s_or_b32 exec_lo, exec_lo, s12
	s_delay_alu instid0(SALU_CYCLE_1)
	s_mov_b32 s12, exec_lo
	v_cmpx_gt_u32_e64 s0, v37
	s_cbranch_execz .LBB327_36
.LBB327_35:                             ;   in Loop: Header=BB327_24 Depth=2
	v_add_co_u32 v4, s13, s10, v1
	s_delay_alu instid0(VALU_DEP_1)
	v_add_co_ci_u32_e64 v5, null, s11, 0, s13
	global_load_u8 v11, v[4:5], off offset:1536
.LBB327_36:                             ;   in Loop: Header=BB327_24 Depth=2
	s_or_b32 exec_lo, exec_lo, s12
	s_delay_alu instid0(SALU_CYCLE_1)
	s_mov_b32 s13, exec_lo
                                        ; implicit-def: $sgpr12
                                        ; implicit-def: $vgpr4_vgpr5
	v_cmpx_gt_u32_e64 s0, v39
; %bb.37:                               ;   in Loop: Header=BB327_24 Depth=2
	v_add_co_u32 v4, s10, s10, v1
	s_delay_alu instid0(VALU_DEP_1) | instskip(SKIP_1) | instid1(VALU_DEP_2)
	v_add_co_ci_u32_e64 v5, null, s11, 0, s10
	s_sub_i32 s12, s29, s9
	v_add_co_u32 v4, vcc_lo, 0x700, v4
	s_delay_alu instid0(VALU_DEP_2)
	v_add_co_ci_u32_e32 v5, vcc_lo, 0, v5, vcc_lo
	s_or_b32 s8, s8, exec_lo
                                        ; implicit-def: $vgpr12
; %bb.38:                               ;   in Loop: Header=BB327_24 Depth=2
	s_or_b32 exec_lo, exec_lo, s13
	s_waitcnt vmcnt(0)
	v_dual_mov_b32 v14, v2 :: v_dual_mov_b32 v17, v8
	v_dual_mov_b32 v15, v6 :: v_dual_mov_b32 v16, v7
	;; [unrolled: 1-line block ×4, first 2 shown]
	s_and_saveexec_b32 s9, s8
	s_cbranch_execz .LBB327_40
.LBB327_39:                             ;   in Loop: Header=BB327_24 Depth=2
	global_load_u8 v12, v[4:5], off
	s_waitcnt vmcnt(1)
	v_dual_mov_b32 v13, s12 :: v_dual_mov_b32 v2, v14
	v_dual_mov_b32 v6, v15 :: v_dual_mov_b32 v7, v16
	;; [unrolled: 1-line block ×4, first 2 shown]
.LBB327_40:                             ;   in Loop: Header=BB327_24 Depth=2
	s_or_b32 exec_lo, exec_lo, s9
	s_delay_alu instid0(SALU_CYCLE_1)
	s_mov_b32 s8, exec_lo
	v_cmpx_lt_u32_e64 v1, v13
	s_cbranch_execz .LBB327_48
; %bb.41:                               ;   in Loop: Header=BB327_24 Depth=2
	v_xor_b32_e32 v4, 0x7f, v2
	v_lshlrev_b32_e32 v5, 2, v32
	s_delay_alu instid0(VALU_DEP_2) | instskip(NEXT) | instid1(VALU_DEP_1)
	v_and_b32_e32 v4, 0xff, v4
	v_lshrrev_b32_e32 v4, s30, v4
	s_delay_alu instid0(VALU_DEP_1) | instskip(NEXT) | instid1(VALU_DEP_1)
	v_and_b32_e32 v4, s31, v4
	v_lshl_or_b32 v4, v4, 4, v5
	ds_add_u32 v4, v66
	s_or_b32 exec_lo, exec_lo, s8
	s_delay_alu instid0(SALU_CYCLE_1)
	s_mov_b32 s8, exec_lo
	v_cmpx_lt_u32_e64 v29, v13
	s_cbranch_execnz .LBB327_49
.LBB327_42:                             ;   in Loop: Header=BB327_24 Depth=2
	s_or_b32 exec_lo, exec_lo, s8
	s_delay_alu instid0(SALU_CYCLE_1)
	s_mov_b32 s8, exec_lo
	v_cmpx_lt_u32_e64 v30, v13
	s_cbranch_execz .LBB327_50
.LBB327_43:                             ;   in Loop: Header=BB327_24 Depth=2
	v_xor_b32_e32 v4, 0x7f, v7
	v_lshlrev_b32_e32 v5, 2, v32
	s_delay_alu instid0(VALU_DEP_2) | instskip(NEXT) | instid1(VALU_DEP_1)
	v_and_b32_e32 v4, 0xff, v4
	v_lshrrev_b32_e32 v4, s30, v4
	s_delay_alu instid0(VALU_DEP_1) | instskip(NEXT) | instid1(VALU_DEP_1)
	v_and_b32_e32 v4, s31, v4
	v_lshl_or_b32 v4, v4, 4, v5
	ds_add_u32 v4, v66
	s_or_b32 exec_lo, exec_lo, s8
	s_delay_alu instid0(SALU_CYCLE_1)
	s_mov_b32 s8, exec_lo
	v_cmpx_lt_u32_e64 v31, v13
	s_cbranch_execnz .LBB327_51
.LBB327_44:                             ;   in Loop: Header=BB327_24 Depth=2
	s_or_b32 exec_lo, exec_lo, s8
	s_delay_alu instid0(SALU_CYCLE_1)
	s_mov_b32 s8, exec_lo
	v_cmpx_lt_u32_e64 v35, v13
	s_cbranch_execz .LBB327_52
.LBB327_45:                             ;   in Loop: Header=BB327_24 Depth=2
	v_xor_b32_e32 v4, 0x7f, v9
	v_lshlrev_b32_e32 v5, 2, v32
	s_delay_alu instid0(VALU_DEP_2) | instskip(NEXT) | instid1(VALU_DEP_1)
	v_and_b32_e32 v4, 0xff, v4
	v_lshrrev_b32_e32 v4, s30, v4
	s_delay_alu instid0(VALU_DEP_1) | instskip(NEXT) | instid1(VALU_DEP_1)
	v_and_b32_e32 v4, s31, v4
	v_lshl_or_b32 v4, v4, 4, v5
	ds_add_u32 v4, v66
	s_or_b32 exec_lo, exec_lo, s8
	s_delay_alu instid0(SALU_CYCLE_1)
	s_mov_b32 s8, exec_lo
	v_cmpx_lt_u32_e64 v36, v13
	s_cbranch_execnz .LBB327_53
.LBB327_46:                             ;   in Loop: Header=BB327_24 Depth=2
	s_or_b32 exec_lo, exec_lo, s8
	s_delay_alu instid0(SALU_CYCLE_1)
	s_mov_b32 s8, exec_lo
	v_cmpx_lt_u32_e64 v37, v13
	s_cbranch_execz .LBB327_54
.LBB327_47:                             ;   in Loop: Header=BB327_24 Depth=2
	v_xor_b32_e32 v4, 0x7f, v11
	v_lshlrev_b32_e32 v5, 2, v32
	s_delay_alu instid0(VALU_DEP_2) | instskip(NEXT) | instid1(VALU_DEP_1)
	v_and_b32_e32 v4, 0xff, v4
	v_lshrrev_b32_e32 v4, s30, v4
	s_delay_alu instid0(VALU_DEP_1) | instskip(NEXT) | instid1(VALU_DEP_1)
	v_and_b32_e32 v4, s31, v4
	v_lshl_or_b32 v4, v4, 4, v5
	ds_add_u32 v4, v66
	s_or_b32 exec_lo, exec_lo, s8
	s_delay_alu instid0(SALU_CYCLE_1)
	s_mov_b32 s8, exec_lo
	v_cmpx_lt_u32_e64 v39, v13
	s_cbranch_execz .LBB327_23
	s_branch .LBB327_55
.LBB327_48:                             ;   in Loop: Header=BB327_24 Depth=2
	s_or_b32 exec_lo, exec_lo, s8
	s_delay_alu instid0(SALU_CYCLE_1)
	s_mov_b32 s8, exec_lo
	v_cmpx_lt_u32_e64 v29, v13
	s_cbranch_execz .LBB327_42
.LBB327_49:                             ;   in Loop: Header=BB327_24 Depth=2
	v_xor_b32_e32 v4, 0x7f, v6
	v_lshlrev_b32_e32 v5, 2, v32
	s_delay_alu instid0(VALU_DEP_2) | instskip(NEXT) | instid1(VALU_DEP_1)
	v_and_b32_e32 v4, 0xff, v4
	v_lshrrev_b32_e32 v4, s30, v4
	s_delay_alu instid0(VALU_DEP_1) | instskip(NEXT) | instid1(VALU_DEP_1)
	v_and_b32_e32 v4, s31, v4
	v_lshl_or_b32 v4, v4, 4, v5
	ds_add_u32 v4, v66
	s_or_b32 exec_lo, exec_lo, s8
	s_delay_alu instid0(SALU_CYCLE_1)
	s_mov_b32 s8, exec_lo
	v_cmpx_lt_u32_e64 v30, v13
	s_cbranch_execnz .LBB327_43
.LBB327_50:                             ;   in Loop: Header=BB327_24 Depth=2
	s_or_b32 exec_lo, exec_lo, s8
	s_delay_alu instid0(SALU_CYCLE_1)
	s_mov_b32 s8, exec_lo
	v_cmpx_lt_u32_e64 v31, v13
	s_cbranch_execz .LBB327_44
.LBB327_51:                             ;   in Loop: Header=BB327_24 Depth=2
	v_xor_b32_e32 v4, 0x7f, v8
	v_lshlrev_b32_e32 v5, 2, v32
	s_delay_alu instid0(VALU_DEP_2) | instskip(NEXT) | instid1(VALU_DEP_1)
	v_and_b32_e32 v4, 0xff, v4
	v_lshrrev_b32_e32 v4, s30, v4
	s_delay_alu instid0(VALU_DEP_1) | instskip(NEXT) | instid1(VALU_DEP_1)
	v_and_b32_e32 v4, s31, v4
	v_lshl_or_b32 v4, v4, 4, v5
	ds_add_u32 v4, v66
	s_or_b32 exec_lo, exec_lo, s8
	s_delay_alu instid0(SALU_CYCLE_1)
	s_mov_b32 s8, exec_lo
	v_cmpx_lt_u32_e64 v35, v13
	s_cbranch_execnz .LBB327_45
.LBB327_52:                             ;   in Loop: Header=BB327_24 Depth=2
	s_or_b32 exec_lo, exec_lo, s8
	s_delay_alu instid0(SALU_CYCLE_1)
	s_mov_b32 s8, exec_lo
	v_cmpx_lt_u32_e64 v36, v13
	s_cbranch_execz .LBB327_46
.LBB327_53:                             ;   in Loop: Header=BB327_24 Depth=2
	v_xor_b32_e32 v4, 0x7f, v10
	v_lshlrev_b32_e32 v5, 2, v32
	s_delay_alu instid0(VALU_DEP_2) | instskip(NEXT) | instid1(VALU_DEP_1)
	v_and_b32_e32 v4, 0xff, v4
	v_lshrrev_b32_e32 v4, s30, v4
	s_delay_alu instid0(VALU_DEP_1) | instskip(NEXT) | instid1(VALU_DEP_1)
	v_and_b32_e32 v4, s31, v4
	v_lshl_or_b32 v4, v4, 4, v5
	ds_add_u32 v4, v66
	s_or_b32 exec_lo, exec_lo, s8
	s_delay_alu instid0(SALU_CYCLE_1)
	s_mov_b32 s8, exec_lo
	v_cmpx_lt_u32_e64 v37, v13
	s_cbranch_execnz .LBB327_47
.LBB327_54:                             ;   in Loop: Header=BB327_24 Depth=2
	s_or_b32 exec_lo, exec_lo, s8
	s_delay_alu instid0(SALU_CYCLE_1)
	s_mov_b32 s8, exec_lo
	v_cmpx_lt_u32_e64 v39, v13
	s_cbranch_execz .LBB327_23
.LBB327_55:                             ;   in Loop: Header=BB327_24 Depth=2
	s_waitcnt vmcnt(0)
	v_xor_b32_e32 v4, 0x7f, v12
	v_lshlrev_b32_e32 v5, 2, v32
	s_delay_alu instid0(VALU_DEP_2) | instskip(NEXT) | instid1(VALU_DEP_1)
	v_and_b32_e32 v4, 0xff, v4
	v_lshrrev_b32_e32 v4, s30, v4
	s_delay_alu instid0(VALU_DEP_1) | instskip(NEXT) | instid1(VALU_DEP_1)
	v_and_b32_e32 v4, s31, v4
	v_lshl_or_b32 v4, v4, 4, v5
	ds_add_u32 v4, v66
	s_branch .LBB327_23
.LBB327_56:                             ;   in Loop: Header=BB327_24 Depth=2
	s_or_b32 exec_lo, exec_lo, s12
	s_delay_alu instid0(SALU_CYCLE_1)
	s_mov_b32 s12, exec_lo
	v_cmpx_gt_u32_e64 s0, v29
	s_cbranch_execz .LBB327_30
.LBB327_57:                             ;   in Loop: Header=BB327_24 Depth=2
	v_add_co_u32 v4, s13, s10, v1
	s_delay_alu instid0(VALU_DEP_1) | instskip(SKIP_2) | instid1(SALU_CYCLE_1)
	v_add_co_ci_u32_e64 v5, null, s11, 0, s13
	global_load_u8 v6, v[4:5], off offset:256
	s_or_b32 exec_lo, exec_lo, s12
	s_mov_b32 s12, exec_lo
	v_cmpx_gt_u32_e64 s0, v30
	s_cbranch_execnz .LBB327_31
.LBB327_58:                             ;   in Loop: Header=BB327_24 Depth=2
	s_or_b32 exec_lo, exec_lo, s12
	s_delay_alu instid0(SALU_CYCLE_1)
	s_mov_b32 s12, exec_lo
	v_cmpx_gt_u32_e64 s0, v31
	s_cbranch_execz .LBB327_32
.LBB327_59:                             ;   in Loop: Header=BB327_24 Depth=2
	v_add_co_u32 v4, s13, s10, v1
	s_delay_alu instid0(VALU_DEP_1) | instskip(SKIP_2) | instid1(SALU_CYCLE_1)
	v_add_co_ci_u32_e64 v5, null, s11, 0, s13
	global_load_u8 v8, v[4:5], off offset:768
	s_or_b32 exec_lo, exec_lo, s12
	s_mov_b32 s12, exec_lo
	v_cmpx_gt_u32_e64 s0, v35
	s_cbranch_execnz .LBB327_33
.LBB327_60:                             ;   in Loop: Header=BB327_24 Depth=2
	s_or_b32 exec_lo, exec_lo, s12
	s_delay_alu instid0(SALU_CYCLE_1)
	s_mov_b32 s12, exec_lo
	v_cmpx_gt_u32_e64 s0, v36
	s_cbranch_execz .LBB327_34
.LBB327_61:                             ;   in Loop: Header=BB327_24 Depth=2
	v_add_co_u32 v4, s13, s10, v1
	s_delay_alu instid0(VALU_DEP_1) | instskip(SKIP_2) | instid1(SALU_CYCLE_1)
	v_add_co_ci_u32_e64 v5, null, s11, 0, s13
	global_load_u8 v10, v[4:5], off offset:1280
	s_or_b32 exec_lo, exec_lo, s12
	s_mov_b32 s12, exec_lo
	v_cmpx_gt_u32_e64 s0, v37
	s_cbranch_execz .LBB327_36
	s_branch .LBB327_35
.LBB327_62:                             ;   in Loop: Header=BB327_20 Depth=1
	v_mov_b32_e32 v2, 0
	s_waitcnt vmcnt(0) lgkmcnt(0)
	s_barrier
	buffer_gl0_inv
	s_and_saveexec_b32 s0, s2
	s_cbranch_execz .LBB327_64
; %bb.63:                               ;   in Loop: Header=BB327_20 Depth=1
	ds_load_2addr_b64 v[4:7], v40 offset1:1
	s_waitcnt lgkmcnt(0)
	v_add_nc_u32_e32 v2, v5, v4
	s_delay_alu instid0(VALU_DEP_1)
	v_add3_u32 v2, v2, v6, v7
.LBB327_64:                             ;   in Loop: Header=BB327_20 Depth=1
	s_or_b32 exec_lo, exec_lo, s0
	v_and_b32_e32 v4, 15, v63
	s_delay_alu instid0(VALU_DEP_2) | instskip(SKIP_1) | instid1(VALU_DEP_3)
	v_mov_b32_dpp v5, v2 row_shr:1 row_mask:0xf bank_mask:0xf
	v_and_b32_e32 v6, 16, v63
	v_cmp_eq_u32_e64 s0, 0, v4
	v_cmp_lt_u32_e64 s1, 1, v4
	v_cmp_lt_u32_e64 s8, 3, v4
	;; [unrolled: 1-line block ×3, first 2 shown]
	v_cmp_eq_u32_e64 s10, 0, v6
	v_cndmask_b32_e64 v5, v5, 0, s0
	s_delay_alu instid0(VALU_DEP_1) | instskip(NEXT) | instid1(VALU_DEP_1)
	v_add_nc_u32_e32 v2, v5, v2
	v_mov_b32_dpp v5, v2 row_shr:2 row_mask:0xf bank_mask:0xf
	s_delay_alu instid0(VALU_DEP_1) | instskip(NEXT) | instid1(VALU_DEP_1)
	v_cndmask_b32_e64 v5, 0, v5, s1
	v_add_nc_u32_e32 v2, v2, v5
	s_delay_alu instid0(VALU_DEP_1) | instskip(NEXT) | instid1(VALU_DEP_1)
	v_mov_b32_dpp v5, v2 row_shr:4 row_mask:0xf bank_mask:0xf
	v_cndmask_b32_e64 v5, 0, v5, s8
	s_delay_alu instid0(VALU_DEP_1) | instskip(NEXT) | instid1(VALU_DEP_1)
	v_add_nc_u32_e32 v2, v2, v5
	v_mov_b32_dpp v5, v2 row_shr:8 row_mask:0xf bank_mask:0xf
	s_delay_alu instid0(VALU_DEP_1) | instskip(SKIP_1) | instid1(VALU_DEP_2)
	v_cndmask_b32_e64 v4, 0, v5, s9
	v_bfe_i32 v5, v63, 4, 1
	v_add_nc_u32_e32 v2, v2, v4
	ds_swizzle_b32 v4, v2 offset:swizzle(BROADCAST,32,15)
	s_waitcnt lgkmcnt(0)
	v_and_b32_e32 v4, v5, v4
	s_delay_alu instid0(VALU_DEP_1)
	v_add_nc_u32_e32 v4, v2, v4
	s_and_saveexec_b32 s11, s3
	s_cbranch_execz .LBB327_66
; %bb.65:                               ;   in Loop: Header=BB327_20 Depth=1
	ds_store_b32 v41, v4
.LBB327_66:                             ;   in Loop: Header=BB327_20 Depth=1
	s_or_b32 exec_lo, exec_lo, s11
	v_and_b32_e32 v2, 7, v63
	s_waitcnt lgkmcnt(0)
	s_barrier
	buffer_gl0_inv
	s_and_saveexec_b32 s11, s4
	s_cbranch_execz .LBB327_68
; %bb.67:                               ;   in Loop: Header=BB327_20 Depth=1
	ds_load_b32 v5, v42
	v_cmp_ne_u32_e32 vcc_lo, 0, v2
	s_waitcnt lgkmcnt(0)
	v_mov_b32_dpp v6, v5 row_shr:1 row_mask:0xf bank_mask:0xf
	s_delay_alu instid0(VALU_DEP_1) | instskip(SKIP_1) | instid1(VALU_DEP_2)
	v_cndmask_b32_e32 v6, 0, v6, vcc_lo
	v_cmp_lt_u32_e32 vcc_lo, 1, v2
	v_add_nc_u32_e32 v5, v6, v5
	s_delay_alu instid0(VALU_DEP_1) | instskip(NEXT) | instid1(VALU_DEP_1)
	v_mov_b32_dpp v6, v5 row_shr:2 row_mask:0xf bank_mask:0xf
	v_cndmask_b32_e32 v6, 0, v6, vcc_lo
	v_cmp_lt_u32_e32 vcc_lo, 3, v2
	s_delay_alu instid0(VALU_DEP_2) | instskip(NEXT) | instid1(VALU_DEP_1)
	v_add_nc_u32_e32 v5, v5, v6
	v_mov_b32_dpp v6, v5 row_shr:4 row_mask:0xf bank_mask:0xf
	s_delay_alu instid0(VALU_DEP_1) | instskip(NEXT) | instid1(VALU_DEP_1)
	v_cndmask_b32_e32 v6, 0, v6, vcc_lo
	v_add_nc_u32_e32 v5, v5, v6
	ds_store_b32 v42, v5
.LBB327_68:                             ;   in Loop: Header=BB327_20 Depth=1
	s_or_b32 exec_lo, exec_lo, s11
	v_mov_b32_e32 v5, 0
	s_waitcnt lgkmcnt(0)
	s_barrier
	buffer_gl0_inv
	s_and_saveexec_b32 s11, s5
	s_cbranch_execz .LBB327_70
; %bb.69:                               ;   in Loop: Header=BB327_20 Depth=1
	ds_load_b32 v5, v43
.LBB327_70:                             ;   in Loop: Header=BB327_20 Depth=1
	s_or_b32 exec_lo, exec_lo, s11
	v_add_nc_u32_e32 v6, -1, v63
	s_waitcnt lgkmcnt(0)
	v_add_nc_u32_e32 v4, v5, v4
	v_cmp_eq_u32_e64 s11, 0, v63
	s_barrier
	v_cmp_gt_i32_e32 vcc_lo, 0, v6
	buffer_gl0_inv
	v_cndmask_b32_e32 v6, v6, v63, vcc_lo
	s_delay_alu instid0(VALU_DEP_1)
	v_lshlrev_b32_e32 v69, 2, v6
	ds_bpermute_b32 v4, v69, v4
	s_and_saveexec_b32 s12, s2
	s_cbranch_execz .LBB327_72
; %bb.71:                               ;   in Loop: Header=BB327_20 Depth=1
	s_waitcnt lgkmcnt(0)
	v_cndmask_b32_e64 v4, v4, v5, s11
	s_delay_alu instid0(VALU_DEP_1)
	v_add_nc_u32_e32 v4, s28, v4
	ds_store_b32 v28, v4
.LBB327_72:                             ;   in Loop: Header=BB327_20 Depth=1
	s_or_b32 exec_lo, exec_lo, s12
	s_clause 0x1
	s_load_b32 s12, s[26:27], 0x4
	s_load_b32 s17, s[26:27], 0xc
	v_lshlrev_b32_e32 v5, 3, v63
	v_cmp_lt_u32_e64 s16, 3, v2
	v_or_b32_e32 v70, v63, v44
	s_mov_b32 s35, s34
	s_mov_b32 s24, s28
	v_add_co_u32 v71, vcc_lo, v50, v5
	v_add_co_ci_u32_e32 v72, vcc_lo, 0, v51, vcc_lo
	v_add_co_u32 v81, vcc_lo, 0xe0, v67
	v_or_b32_e32 v73, 32, v70
	v_or_b32_e32 v74, 64, v70
	;; [unrolled: 1-line block ×7, first 2 shown]
	s_waitcnt lgkmcnt(0)
	s_cmp_lt_u32 s15, s12
	v_add_co_ci_u32_e32 v82, vcc_lo, 0, v68, vcc_lo
	s_cselect_b32 s12, 14, 20
                                        ; implicit-def: $vgpr6_vgpr7
                                        ; implicit-def: $vgpr8_vgpr9
                                        ; implicit-def: $vgpr10_vgpr11
                                        ; implicit-def: $vgpr12_vgpr13
                                        ; implicit-def: $vgpr14_vgpr15
                                        ; implicit-def: $vgpr16_vgpr17
                                        ; implicit-def: $vgpr18_vgpr19
                                        ; implicit-def: $vgpr83
                                        ; implicit-def: $vgpr84
                                        ; implicit-def: $vgpr85
                                        ; implicit-def: $vgpr86
                                        ; implicit-def: $vgpr87
                                        ; implicit-def: $vgpr88
                                        ; implicit-def: $vgpr89
                                        ; implicit-def: $vgpr90
	s_delay_alu instid0(SALU_CYCLE_1)
	s_add_u32 s12, s26, s12
	s_addc_u32 s13, s27, 0
	s_and_b32 s17, s17, 0xffff
	global_load_u16 v4, v3, s[12:13]
	v_cmp_eq_u32_e64 s12, 0, v2
	v_cmp_lt_u32_e64 s13, 1, v2
	s_waitcnt vmcnt(0)
	v_mad_u32_u24 v2, v45, v4, v0
	s_delay_alu instid0(VALU_DEP_1) | instskip(NEXT) | instid1(VALU_DEP_1)
	v_mad_u64_u32 v[4:5], null, v2, s17, v[1:2]
	v_lshrrev_b32_e32 v80, 5, v4
                                        ; implicit-def: $vgpr4_vgpr5
	s_branch .LBB327_74
.LBB327_73:                             ;   in Loop: Header=BB327_74 Depth=2
	s_or_b32 exec_lo, exec_lo, s17
	s_addk_i32 s35, 0xf800
	s_cmp_lt_u32 s42, s29
	s_mov_b32 s24, s42
	s_cbranch_scc0 .LBB327_186
.LBB327_74:                             ;   Parent Loop BB327_20 Depth=1
                                        ; =>  This Inner Loop Header: Depth=2
	s_add_i32 s42, s24, 0x800
	s_delay_alu instid0(SALU_CYCLE_1)
	s_cmp_gt_u32 s42, s29
	s_cbranch_scc1 .LBB327_77
; %bb.75:                               ;   in Loop: Header=BB327_74 Depth=2
	v_add_co_u32 v20, vcc_lo, v67, s24
	v_add_co_ci_u32_e32 v21, vcc_lo, 0, v68, vcc_lo
	s_mov_b32 s19, 0
	s_mov_b32 s18, s24
	s_mov_b32 s20, -1
	s_clause 0x6
	global_load_u8 v23, v[20:21], off offset:192
	global_load_u8 v24, v[20:21], off offset:160
	;; [unrolled: 1-line block ×6, first 2 shown]
	global_load_u8 v91, v[20:21], off
	s_movk_i32 s17, 0x800
	s_cbranch_execz .LBB327_78
; %bb.76:                               ;   in Loop: Header=BB327_74 Depth=2
                                        ; implicit-def: $vgpr22
	v_mov_b32_e32 v2, s35
	s_and_saveexec_b32 s21, s20
	s_cbranch_execnz .LBB327_87
	s_branch .LBB327_88
.LBB327_77:                             ;   in Loop: Header=BB327_74 Depth=2
	s_mov_b32 s19, -1
	s_mov_b32 s20, 0
                                        ; implicit-def: $sgpr17
                                        ; implicit-def: $vgpr91
                                        ; implicit-def: $vgpr93
                                        ; implicit-def: $vgpr27
                                        ; implicit-def: $vgpr26
                                        ; implicit-def: $vgpr25
                                        ; implicit-def: $vgpr24
                                        ; implicit-def: $vgpr23
.LBB327_78:                             ;   in Loop: Header=BB327_74 Depth=2
	v_add_co_u32 v20, vcc_lo, v67, s24
	v_add_co_ci_u32_e32 v21, vcc_lo, 0, v68, vcc_lo
	s_waitcnt vmcnt(0)
	v_dual_mov_b32 v91, 0x80 :: v_dual_mov_b32 v22, 0x80
	v_dual_mov_b32 v93, 0x80 :: v_dual_mov_b32 v26, 0x80
	;; [unrolled: 1-line block ×3, first 2 shown]
	v_mov_b32_e32 v25, 0x80
	v_mov_b32_e32 v23, 0x80
	s_mov_b32 s17, exec_lo
	v_cmpx_gt_u32_e64 s35, v70
	s_cbranch_execz .LBB327_180
; %bb.79:                               ;   in Loop: Header=BB327_74 Depth=2
	global_load_u8 v91, v[20:21], off
	v_dual_mov_b32 v93, 0x80 :: v_dual_mov_b32 v26, 0x80
	v_dual_mov_b32 v27, 0x80 :: v_dual_mov_b32 v24, 0x80
	;; [unrolled: 1-line block ×3, first 2 shown]
	v_mov_b32_e32 v23, 0x80
	s_or_b32 exec_lo, exec_lo, s17
	s_delay_alu instid0(SALU_CYCLE_1)
	s_mov_b32 s17, exec_lo
	v_cmpx_gt_u32_e64 s35, v73
	s_cbranch_execnz .LBB327_181
.LBB327_80:                             ;   in Loop: Header=BB327_74 Depth=2
	s_or_b32 exec_lo, exec_lo, s17
	s_delay_alu instid0(SALU_CYCLE_1)
	s_mov_b32 s17, exec_lo
	v_cmpx_gt_u32_e64 s35, v74
	s_cbranch_execz .LBB327_182
.LBB327_81:                             ;   in Loop: Header=BB327_74 Depth=2
	global_load_u8 v27, v[20:21], off offset:64
	s_or_b32 exec_lo, exec_lo, s17
	s_delay_alu instid0(SALU_CYCLE_1)
	s_mov_b32 s17, exec_lo
	v_cmpx_gt_u32_e64 s35, v75
	s_cbranch_execnz .LBB327_183
.LBB327_82:                             ;   in Loop: Header=BB327_74 Depth=2
	s_or_b32 exec_lo, exec_lo, s17
	s_delay_alu instid0(SALU_CYCLE_1)
	s_mov_b32 s17, exec_lo
	v_cmpx_gt_u32_e64 s35, v76
	s_cbranch_execz .LBB327_184
.LBB327_83:                             ;   in Loop: Header=BB327_74 Depth=2
	global_load_u8 v25, v[20:21], off offset:128
	s_or_b32 exec_lo, exec_lo, s17
	s_delay_alu instid0(SALU_CYCLE_1)
	s_mov_b32 s17, exec_lo
	v_cmpx_gt_u32_e64 s35, v77
	s_cbranch_execnz .LBB327_185
.LBB327_84:                             ;   in Loop: Header=BB327_74 Depth=2
	s_or_b32 exec_lo, exec_lo, s17
	s_delay_alu instid0(SALU_CYCLE_1)
	s_mov_b32 s17, exec_lo
	v_cmpx_gt_u32_e64 s35, v78
	s_cbranch_execz .LBB327_86
.LBB327_85:                             ;   in Loop: Header=BB327_74 Depth=2
	global_load_u8 v23, v[20:21], off offset:192
.LBB327_86:                             ;   in Loop: Header=BB327_74 Depth=2
	s_or_b32 exec_lo, exec_lo, s17
	v_cmp_gt_u32_e64 s20, s35, v79
	s_sub_i32 s17, s29, s24
	s_mov_b64 s[18:19], s[24:25]
	v_mov_b32_e32 v2, s35
	s_delay_alu instid0(VALU_DEP_2)
	s_and_saveexec_b32 s21, s20
	s_cbranch_execz .LBB327_88
.LBB327_87:                             ;   in Loop: Header=BB327_74 Depth=2
	v_add_co_u32 v20, vcc_lo, v81, s18
	v_add_co_ci_u32_e32 v21, vcc_lo, s19, v82, vcc_lo
	v_mov_b32_e32 v2, s17
	global_load_u8 v22, v[20:21], off
.LBB327_88:                             ;   in Loop: Header=BB327_74 Depth=2
	s_or_b32 exec_lo, exec_lo, s21
	s_waitcnt vmcnt(0)
	v_xor_b32_e32 v91, 0x7f, v91
	ds_store_b32 v46, v3 offset:1056
	ds_store_2addr_b32 v47, v3, v3 offset0:1 offset1:2
	ds_store_2addr_b32 v47, v3, v3 offset0:3 offset1:4
	;; [unrolled: 1-line block ×4, first 2 shown]
	s_waitcnt lgkmcnt(0)
	s_barrier
	v_and_b32_e32 v20, 0xff, v91
	buffer_gl0_inv
	; wave barrier
	v_lshrrev_b32_e32 v20, s30, v20
	s_delay_alu instid0(VALU_DEP_1) | instskip(NEXT) | instid1(VALU_DEP_1)
	v_and_b32_e32 v21, s31, v20
	v_and_b32_e32 v20, 1, v21
	v_lshlrev_b32_e32 v92, 30, v21
	v_lshlrev_b32_e32 v94, 29, v21
	;; [unrolled: 1-line block ×4, first 2 shown]
	v_add_co_u32 v20, s17, v20, -1
	s_delay_alu instid0(VALU_DEP_1)
	v_cndmask_b32_e64 v96, 0, 1, s17
	v_not_b32_e32 v100, v92
	v_cmp_gt_i32_e64 s17, 0, v92
	v_not_b32_e32 v92, v94
	v_lshlrev_b32_e32 v98, 26, v21
	v_cmp_ne_u32_e32 vcc_lo, 0, v96
	v_ashrrev_i32_e32 v100, 31, v100
	v_lshlrev_b32_e32 v99, 25, v21
	v_ashrrev_i32_e32 v92, 31, v92
	v_lshlrev_b32_e32 v96, 24, v21
	v_xor_b32_e32 v20, vcc_lo, v20
	v_cmp_gt_i32_e32 vcc_lo, 0, v94
	v_not_b32_e32 v94, v95
	v_xor_b32_e32 v100, s17, v100
	v_cmp_gt_i32_e64 s17, 0, v95
	v_and_b32_e32 v20, exec_lo, v20
	v_not_b32_e32 v95, v97
	v_ashrrev_i32_e32 v94, 31, v94
	v_xor_b32_e32 v92, vcc_lo, v92
	v_cmp_gt_i32_e32 vcc_lo, 0, v97
	v_and_b32_e32 v20, v20, v100
	v_not_b32_e32 v97, v98
	v_ashrrev_i32_e32 v95, 31, v95
	v_xor_b32_e32 v94, s17, v94
	v_cmp_gt_i32_e64 s17, 0, v98
	v_and_b32_e32 v20, v20, v92
	v_not_b32_e32 v92, v99
	v_ashrrev_i32_e32 v97, 31, v97
	v_xor_b32_e32 v95, vcc_lo, v95
	v_cmp_gt_i32_e32 vcc_lo, 0, v99
	v_and_b32_e32 v20, v20, v94
	v_not_b32_e32 v94, v96
	v_ashrrev_i32_e32 v92, 31, v92
	v_xor_b32_e32 v97, s17, v97
	v_cmp_gt_i32_e64 s17, 0, v96
	v_and_b32_e32 v20, v20, v95
	v_ashrrev_i32_e32 v94, 31, v94
	v_xor_b32_e32 v92, vcc_lo, v92
	v_mad_u32_u24 v21, v21, 9, v80
	s_delay_alu instid0(VALU_DEP_4) | instskip(NEXT) | instid1(VALU_DEP_4)
	v_and_b32_e32 v20, v20, v97
	v_xor_b32_e32 v94, s17, v94
	s_delay_alu instid0(VALU_DEP_2) | instskip(NEXT) | instid1(VALU_DEP_1)
	v_and_b32_e32 v20, v20, v92
	v_and_b32_e32 v20, v20, v94
	v_lshl_add_u32 v94, v21, 2, 0x420
	s_delay_alu instid0(VALU_DEP_2) | instskip(SKIP_1) | instid1(VALU_DEP_2)
	v_mbcnt_lo_u32_b32 v92, v20, 0
	v_cmp_ne_u32_e64 s17, 0, v20
	v_cmp_eq_u32_e32 vcc_lo, 0, v92
	s_delay_alu instid0(VALU_DEP_2) | instskip(NEXT) | instid1(SALU_CYCLE_1)
	s_and_b32 s18, s17, vcc_lo
	s_and_saveexec_b32 s17, s18
	s_cbranch_execz .LBB327_90
; %bb.89:                               ;   in Loop: Header=BB327_74 Depth=2
	v_bcnt_u32_b32 v20, v20, 0
	ds_store_b32 v94, v20
.LBB327_90:                             ;   in Loop: Header=BB327_74 Depth=2
	s_or_b32 exec_lo, exec_lo, s17
	v_xor_b32_e32 v93, 0x7f, v93
	; wave barrier
	s_delay_alu instid0(VALU_DEP_1) | instskip(NEXT) | instid1(VALU_DEP_1)
	v_and_b32_e32 v20, 0xff, v93
	v_lshrrev_b32_e32 v20, s30, v20
	s_delay_alu instid0(VALU_DEP_1) | instskip(NEXT) | instid1(VALU_DEP_1)
	v_and_b32_e32 v20, s31, v20
	v_and_b32_e32 v21, 1, v20
	v_lshlrev_b32_e32 v95, 30, v20
	v_lshlrev_b32_e32 v96, 29, v20
	;; [unrolled: 1-line block ×4, first 2 shown]
	v_add_co_u32 v21, s17, v21, -1
	s_delay_alu instid0(VALU_DEP_1)
	v_cndmask_b32_e64 v98, 0, 1, s17
	v_not_b32_e32 v102, v95
	v_cmp_gt_i32_e64 s17, 0, v95
	v_not_b32_e32 v95, v96
	v_lshlrev_b32_e32 v100, 26, v20
	v_cmp_ne_u32_e32 vcc_lo, 0, v98
	v_ashrrev_i32_e32 v102, 31, v102
	v_lshlrev_b32_e32 v101, 25, v20
	v_ashrrev_i32_e32 v95, 31, v95
	v_lshlrev_b32_e32 v98, 24, v20
	v_xor_b32_e32 v21, vcc_lo, v21
	v_cmp_gt_i32_e32 vcc_lo, 0, v96
	v_not_b32_e32 v96, v97
	v_xor_b32_e32 v102, s17, v102
	v_cmp_gt_i32_e64 s17, 0, v97
	v_and_b32_e32 v21, exec_lo, v21
	v_not_b32_e32 v97, v99
	v_ashrrev_i32_e32 v96, 31, v96
	v_xor_b32_e32 v95, vcc_lo, v95
	v_cmp_gt_i32_e32 vcc_lo, 0, v99
	v_and_b32_e32 v21, v21, v102
	v_not_b32_e32 v99, v100
	v_ashrrev_i32_e32 v97, 31, v97
	v_xor_b32_e32 v96, s17, v96
	v_cmp_gt_i32_e64 s17, 0, v100
	v_and_b32_e32 v21, v21, v95
	v_not_b32_e32 v95, v101
	v_ashrrev_i32_e32 v99, 31, v99
	v_xor_b32_e32 v97, vcc_lo, v97
	v_cmp_gt_i32_e32 vcc_lo, 0, v101
	v_and_b32_e32 v21, v21, v96
	v_not_b32_e32 v96, v98
	v_ashrrev_i32_e32 v95, 31, v95
	v_xor_b32_e32 v99, s17, v99
	v_mul_u32_u24_e32 v20, 9, v20
	v_and_b32_e32 v21, v21, v97
	v_cmp_gt_i32_e64 s17, 0, v98
	v_ashrrev_i32_e32 v96, 31, v96
	v_xor_b32_e32 v95, vcc_lo, v95
	v_add_lshl_u32 v97, v20, v80, 2
	v_and_b32_e32 v21, v21, v99
	s_delay_alu instid0(VALU_DEP_4) | instskip(NEXT) | instid1(VALU_DEP_3)
	v_xor_b32_e32 v20, s17, v96
	v_add_nc_u32_e32 v98, 0x420, v97
	s_delay_alu instid0(VALU_DEP_3) | instskip(SKIP_2) | instid1(VALU_DEP_1)
	v_and_b32_e32 v21, v21, v95
	ds_load_b32 v95, v97 offset:1056
	; wave barrier
	v_and_b32_e32 v20, v21, v20
	v_mbcnt_lo_u32_b32 v96, v20, 0
	v_cmp_ne_u32_e64 s17, 0, v20
	s_delay_alu instid0(VALU_DEP_2) | instskip(NEXT) | instid1(VALU_DEP_2)
	v_cmp_eq_u32_e32 vcc_lo, 0, v96
	s_and_b32 s18, s17, vcc_lo
	s_delay_alu instid0(SALU_CYCLE_1)
	s_and_saveexec_b32 s17, s18
	s_cbranch_execz .LBB327_92
; %bb.91:                               ;   in Loop: Header=BB327_74 Depth=2
	s_waitcnt lgkmcnt(0)
	v_bcnt_u32_b32 v20, v20, v95
	ds_store_b32 v98, v20
.LBB327_92:                             ;   in Loop: Header=BB327_74 Depth=2
	s_or_b32 exec_lo, exec_lo, s17
	v_xor_b32_e32 v97, 0x7f, v27
	; wave barrier
	s_delay_alu instid0(VALU_DEP_1) | instskip(NEXT) | instid1(VALU_DEP_1)
	v_and_b32_e32 v20, 0xff, v97
	v_lshrrev_b32_e32 v20, s30, v20
	s_delay_alu instid0(VALU_DEP_1) | instskip(NEXT) | instid1(VALU_DEP_1)
	v_and_b32_e32 v20, s31, v20
	v_and_b32_e32 v21, 1, v20
	v_lshlrev_b32_e32 v27, 30, v20
	v_lshlrev_b32_e32 v99, 29, v20
	v_lshlrev_b32_e32 v100, 28, v20
	v_lshlrev_b32_e32 v102, 27, v20
	v_add_co_u32 v21, s17, v21, -1
	s_delay_alu instid0(VALU_DEP_1)
	v_cndmask_b32_e64 v101, 0, 1, s17
	v_not_b32_e32 v105, v27
	v_cmp_gt_i32_e64 s17, 0, v27
	v_not_b32_e32 v27, v99
	v_lshlrev_b32_e32 v103, 26, v20
	v_cmp_ne_u32_e32 vcc_lo, 0, v101
	v_ashrrev_i32_e32 v105, 31, v105
	v_lshlrev_b32_e32 v104, 25, v20
	v_ashrrev_i32_e32 v27, 31, v27
	v_lshlrev_b32_e32 v101, 24, v20
	v_xor_b32_e32 v21, vcc_lo, v21
	v_cmp_gt_i32_e32 vcc_lo, 0, v99
	v_not_b32_e32 v99, v100
	v_xor_b32_e32 v105, s17, v105
	v_cmp_gt_i32_e64 s17, 0, v100
	v_and_b32_e32 v21, exec_lo, v21
	v_not_b32_e32 v100, v102
	v_ashrrev_i32_e32 v99, 31, v99
	v_xor_b32_e32 v27, vcc_lo, v27
	v_cmp_gt_i32_e32 vcc_lo, 0, v102
	v_and_b32_e32 v21, v21, v105
	v_not_b32_e32 v102, v103
	v_ashrrev_i32_e32 v100, 31, v100
	v_xor_b32_e32 v99, s17, v99
	v_cmp_gt_i32_e64 s17, 0, v103
	v_and_b32_e32 v21, v21, v27
	v_not_b32_e32 v27, v104
	v_ashrrev_i32_e32 v102, 31, v102
	v_xor_b32_e32 v100, vcc_lo, v100
	v_cmp_gt_i32_e32 vcc_lo, 0, v104
	v_and_b32_e32 v21, v21, v99
	v_not_b32_e32 v99, v101
	v_ashrrev_i32_e32 v27, 31, v27
	v_xor_b32_e32 v102, s17, v102
	v_mul_u32_u24_e32 v20, 9, v20
	v_and_b32_e32 v21, v21, v100
	v_cmp_gt_i32_e64 s17, 0, v101
	v_ashrrev_i32_e32 v99, 31, v99
	v_xor_b32_e32 v27, vcc_lo, v27
	v_add_lshl_u32 v101, v20, v80, 2
	v_and_b32_e32 v21, v21, v102
	s_delay_alu instid0(VALU_DEP_4) | instskip(SKIP_3) | instid1(VALU_DEP_2)
	v_xor_b32_e32 v20, s17, v99
	ds_load_b32 v99, v101 offset:1056
	v_and_b32_e32 v21, v21, v27
	v_add_nc_u32_e32 v102, 0x420, v101
	; wave barrier
	v_and_b32_e32 v20, v21, v20
	s_delay_alu instid0(VALU_DEP_1) | instskip(SKIP_1) | instid1(VALU_DEP_2)
	v_mbcnt_lo_u32_b32 v100, v20, 0
	v_cmp_ne_u32_e64 s17, 0, v20
	v_cmp_eq_u32_e32 vcc_lo, 0, v100
	s_delay_alu instid0(VALU_DEP_2) | instskip(NEXT) | instid1(SALU_CYCLE_1)
	s_and_b32 s18, s17, vcc_lo
	s_and_saveexec_b32 s17, s18
	s_cbranch_execz .LBB327_94
; %bb.93:                               ;   in Loop: Header=BB327_74 Depth=2
	s_waitcnt lgkmcnt(0)
	v_bcnt_u32_b32 v20, v20, v99
	ds_store_b32 v102, v20
.LBB327_94:                             ;   in Loop: Header=BB327_74 Depth=2
	s_or_b32 exec_lo, exec_lo, s17
	v_xor_b32_e32 v101, 0x7f, v26
	; wave barrier
	s_delay_alu instid0(VALU_DEP_1) | instskip(NEXT) | instid1(VALU_DEP_1)
	v_and_b32_e32 v20, 0xff, v101
	v_lshrrev_b32_e32 v20, s30, v20
	s_delay_alu instid0(VALU_DEP_1) | instskip(NEXT) | instid1(VALU_DEP_1)
	v_and_b32_e32 v20, s31, v20
	v_and_b32_e32 v21, 1, v20
	v_lshlrev_b32_e32 v26, 30, v20
	v_lshlrev_b32_e32 v27, 29, v20
	;; [unrolled: 1-line block ×4, first 2 shown]
	v_add_co_u32 v21, s17, v21, -1
	s_delay_alu instid0(VALU_DEP_1)
	v_cndmask_b32_e64 v104, 0, 1, s17
	v_not_b32_e32 v108, v26
	v_cmp_gt_i32_e64 s17, 0, v26
	v_not_b32_e32 v26, v27
	v_lshlrev_b32_e32 v106, 26, v20
	v_cmp_ne_u32_e32 vcc_lo, 0, v104
	v_ashrrev_i32_e32 v108, 31, v108
	v_lshlrev_b32_e32 v107, 25, v20
	v_ashrrev_i32_e32 v26, 31, v26
	v_lshlrev_b32_e32 v104, 24, v20
	v_xor_b32_e32 v21, vcc_lo, v21
	v_cmp_gt_i32_e32 vcc_lo, 0, v27
	v_not_b32_e32 v27, v103
	v_xor_b32_e32 v108, s17, v108
	v_cmp_gt_i32_e64 s17, 0, v103
	v_and_b32_e32 v21, exec_lo, v21
	v_not_b32_e32 v103, v105
	v_ashrrev_i32_e32 v27, 31, v27
	v_xor_b32_e32 v26, vcc_lo, v26
	v_cmp_gt_i32_e32 vcc_lo, 0, v105
	v_and_b32_e32 v21, v21, v108
	v_not_b32_e32 v105, v106
	v_ashrrev_i32_e32 v103, 31, v103
	v_xor_b32_e32 v27, s17, v27
	v_cmp_gt_i32_e64 s17, 0, v106
	v_and_b32_e32 v21, v21, v26
	v_not_b32_e32 v26, v107
	v_ashrrev_i32_e32 v105, 31, v105
	v_xor_b32_e32 v103, vcc_lo, v103
	v_cmp_gt_i32_e32 vcc_lo, 0, v107
	v_and_b32_e32 v21, v21, v27
	v_not_b32_e32 v27, v104
	v_ashrrev_i32_e32 v26, 31, v26
	v_xor_b32_e32 v105, s17, v105
	v_mul_u32_u24_e32 v20, 9, v20
	v_and_b32_e32 v21, v21, v103
	v_cmp_gt_i32_e64 s17, 0, v104
	v_ashrrev_i32_e32 v27, 31, v27
	v_xor_b32_e32 v26, vcc_lo, v26
	s_delay_alu instid0(VALU_DEP_4) | instskip(SKIP_1) | instid1(VALU_DEP_4)
	v_and_b32_e32 v21, v21, v105
	v_add_lshl_u32 v105, v20, v80, 2
	v_xor_b32_e32 v20, s17, v27
	s_delay_alu instid0(VALU_DEP_3) | instskip(SKIP_3) | instid1(VALU_DEP_1)
	v_and_b32_e32 v21, v21, v26
	ds_load_b32 v103, v105 offset:1056
	v_add_nc_u32_e32 v106, 0x420, v105
	; wave barrier
	v_and_b32_e32 v20, v21, v20
	v_mbcnt_lo_u32_b32 v104, v20, 0
	v_cmp_ne_u32_e64 s17, 0, v20
	s_delay_alu instid0(VALU_DEP_2) | instskip(NEXT) | instid1(VALU_DEP_2)
	v_cmp_eq_u32_e32 vcc_lo, 0, v104
	s_and_b32 s18, s17, vcc_lo
	s_delay_alu instid0(SALU_CYCLE_1)
	s_and_saveexec_b32 s17, s18
	s_cbranch_execz .LBB327_96
; %bb.95:                               ;   in Loop: Header=BB327_74 Depth=2
	s_waitcnt lgkmcnt(0)
	v_bcnt_u32_b32 v20, v20, v103
	ds_store_b32 v106, v20
.LBB327_96:                             ;   in Loop: Header=BB327_74 Depth=2
	s_or_b32 exec_lo, exec_lo, s17
	v_xor_b32_e32 v105, 0x7f, v25
	; wave barrier
	s_delay_alu instid0(VALU_DEP_1) | instskip(NEXT) | instid1(VALU_DEP_1)
	v_and_b32_e32 v20, 0xff, v105
	v_lshrrev_b32_e32 v20, s30, v20
	s_delay_alu instid0(VALU_DEP_1) | instskip(NEXT) | instid1(VALU_DEP_1)
	v_and_b32_e32 v20, s31, v20
	v_and_b32_e32 v21, 1, v20
	v_lshlrev_b32_e32 v25, 30, v20
	v_lshlrev_b32_e32 v26, 29, v20
	;; [unrolled: 1-line block ×4, first 2 shown]
	v_add_co_u32 v21, s17, v21, -1
	s_delay_alu instid0(VALU_DEP_1)
	v_cndmask_b32_e64 v107, 0, 1, s17
	v_not_b32_e32 v111, v25
	v_cmp_gt_i32_e64 s17, 0, v25
	v_not_b32_e32 v25, v26
	v_lshlrev_b32_e32 v109, 26, v20
	v_cmp_ne_u32_e32 vcc_lo, 0, v107
	v_ashrrev_i32_e32 v111, 31, v111
	v_lshlrev_b32_e32 v110, 25, v20
	v_ashrrev_i32_e32 v25, 31, v25
	v_lshlrev_b32_e32 v107, 24, v20
	v_xor_b32_e32 v21, vcc_lo, v21
	v_cmp_gt_i32_e32 vcc_lo, 0, v26
	v_not_b32_e32 v26, v27
	v_xor_b32_e32 v111, s17, v111
	v_cmp_gt_i32_e64 s17, 0, v27
	v_and_b32_e32 v21, exec_lo, v21
	v_not_b32_e32 v27, v108
	v_ashrrev_i32_e32 v26, 31, v26
	v_xor_b32_e32 v25, vcc_lo, v25
	v_cmp_gt_i32_e32 vcc_lo, 0, v108
	v_and_b32_e32 v21, v21, v111
	v_not_b32_e32 v108, v109
	v_ashrrev_i32_e32 v27, 31, v27
	v_xor_b32_e32 v26, s17, v26
	v_cmp_gt_i32_e64 s17, 0, v109
	v_and_b32_e32 v21, v21, v25
	v_not_b32_e32 v25, v110
	v_ashrrev_i32_e32 v108, 31, v108
	v_xor_b32_e32 v27, vcc_lo, v27
	v_cmp_gt_i32_e32 vcc_lo, 0, v110
	v_and_b32_e32 v21, v21, v26
	v_not_b32_e32 v26, v107
	v_ashrrev_i32_e32 v25, 31, v25
	v_xor_b32_e32 v108, s17, v108
	v_mul_u32_u24_e32 v20, 9, v20
	v_and_b32_e32 v21, v21, v27
	v_cmp_gt_i32_e64 s17, 0, v107
	v_ashrrev_i32_e32 v26, 31, v26
	v_xor_b32_e32 v25, vcc_lo, v25
	v_add_lshl_u32 v27, v20, v80, 2
	v_and_b32_e32 v21, v21, v108
	s_delay_alu instid0(VALU_DEP_4) | instskip(SKIP_3) | instid1(VALU_DEP_2)
	v_xor_b32_e32 v20, s17, v26
	ds_load_b32 v107, v27 offset:1056
	v_and_b32_e32 v21, v21, v25
	v_add_nc_u32_e32 v110, 0x420, v27
	; wave barrier
	v_and_b32_e32 v20, v21, v20
	s_delay_alu instid0(VALU_DEP_1) | instskip(SKIP_1) | instid1(VALU_DEP_2)
	v_mbcnt_lo_u32_b32 v108, v20, 0
	v_cmp_ne_u32_e64 s17, 0, v20
	v_cmp_eq_u32_e32 vcc_lo, 0, v108
	s_delay_alu instid0(VALU_DEP_2) | instskip(NEXT) | instid1(SALU_CYCLE_1)
	s_and_b32 s18, s17, vcc_lo
	s_and_saveexec_b32 s17, s18
	s_cbranch_execz .LBB327_98
; %bb.97:                               ;   in Loop: Header=BB327_74 Depth=2
	s_waitcnt lgkmcnt(0)
	v_bcnt_u32_b32 v20, v20, v107
	ds_store_b32 v110, v20
.LBB327_98:                             ;   in Loop: Header=BB327_74 Depth=2
	s_or_b32 exec_lo, exec_lo, s17
	v_xor_b32_e32 v109, 0x7f, v24
	; wave barrier
	s_delay_alu instid0(VALU_DEP_1) | instskip(NEXT) | instid1(VALU_DEP_1)
	v_and_b32_e32 v20, 0xff, v109
	v_lshrrev_b32_e32 v20, s30, v20
	s_delay_alu instid0(VALU_DEP_1) | instskip(NEXT) | instid1(VALU_DEP_1)
	v_and_b32_e32 v20, s31, v20
	v_and_b32_e32 v21, 1, v20
	v_lshlrev_b32_e32 v24, 30, v20
	v_lshlrev_b32_e32 v25, 29, v20
	;; [unrolled: 1-line block ×4, first 2 shown]
	v_add_co_u32 v21, s17, v21, -1
	s_delay_alu instid0(VALU_DEP_1)
	v_cndmask_b32_e64 v27, 0, 1, s17
	v_not_b32_e32 v114, v24
	v_cmp_gt_i32_e64 s17, 0, v24
	v_not_b32_e32 v24, v25
	v_lshlrev_b32_e32 v112, 26, v20
	v_cmp_ne_u32_e32 vcc_lo, 0, v27
	v_ashrrev_i32_e32 v114, 31, v114
	v_lshlrev_b32_e32 v113, 25, v20
	v_ashrrev_i32_e32 v24, 31, v24
	v_lshlrev_b32_e32 v27, 24, v20
	v_xor_b32_e32 v21, vcc_lo, v21
	v_cmp_gt_i32_e32 vcc_lo, 0, v25
	v_not_b32_e32 v25, v26
	v_xor_b32_e32 v114, s17, v114
	v_cmp_gt_i32_e64 s17, 0, v26
	v_and_b32_e32 v21, exec_lo, v21
	v_not_b32_e32 v26, v111
	v_ashrrev_i32_e32 v25, 31, v25
	v_xor_b32_e32 v24, vcc_lo, v24
	v_cmp_gt_i32_e32 vcc_lo, 0, v111
	v_and_b32_e32 v21, v21, v114
	v_not_b32_e32 v111, v112
	v_ashrrev_i32_e32 v26, 31, v26
	v_xor_b32_e32 v25, s17, v25
	v_cmp_gt_i32_e64 s17, 0, v112
	v_and_b32_e32 v21, v21, v24
	v_not_b32_e32 v24, v113
	v_ashrrev_i32_e32 v111, 31, v111
	v_xor_b32_e32 v26, vcc_lo, v26
	v_cmp_gt_i32_e32 vcc_lo, 0, v113
	v_and_b32_e32 v21, v21, v25
	v_not_b32_e32 v25, v27
	v_ashrrev_i32_e32 v24, 31, v24
	v_xor_b32_e32 v111, s17, v111
	v_mul_u32_u24_e32 v20, 9, v20
	v_and_b32_e32 v21, v21, v26
	v_cmp_gt_i32_e64 s17, 0, v27
	v_ashrrev_i32_e32 v25, 31, v25
	v_xor_b32_e32 v24, vcc_lo, v24
	v_add_lshl_u32 v26, v20, v80, 2
	v_and_b32_e32 v21, v21, v111
	s_delay_alu instid0(VALU_DEP_4) | instskip(SKIP_3) | instid1(VALU_DEP_2)
	v_xor_b32_e32 v20, s17, v25
	ds_load_b32 v111, v26 offset:1056
	v_and_b32_e32 v21, v21, v24
	v_add_nc_u32_e32 v114, 0x420, v26
	; wave barrier
	v_and_b32_e32 v20, v21, v20
	s_delay_alu instid0(VALU_DEP_1) | instskip(SKIP_1) | instid1(VALU_DEP_2)
	v_mbcnt_lo_u32_b32 v112, v20, 0
	v_cmp_ne_u32_e64 s17, 0, v20
	v_cmp_eq_u32_e32 vcc_lo, 0, v112
	s_delay_alu instid0(VALU_DEP_2) | instskip(NEXT) | instid1(SALU_CYCLE_1)
	s_and_b32 s18, s17, vcc_lo
	s_and_saveexec_b32 s17, s18
	s_cbranch_execz .LBB327_100
; %bb.99:                               ;   in Loop: Header=BB327_74 Depth=2
	s_waitcnt lgkmcnt(0)
	v_bcnt_u32_b32 v20, v20, v111
	ds_store_b32 v114, v20
.LBB327_100:                            ;   in Loop: Header=BB327_74 Depth=2
	s_or_b32 exec_lo, exec_lo, s17
	v_xor_b32_e32 v113, 0x7f, v23
	; wave barrier
	s_delay_alu instid0(VALU_DEP_1) | instskip(NEXT) | instid1(VALU_DEP_1)
	v_and_b32_e32 v20, 0xff, v113
	v_lshrrev_b32_e32 v20, s30, v20
	s_delay_alu instid0(VALU_DEP_1) | instskip(NEXT) | instid1(VALU_DEP_1)
	v_and_b32_e32 v20, s31, v20
	v_and_b32_e32 v21, 1, v20
	v_lshlrev_b32_e32 v23, 30, v20
	v_lshlrev_b32_e32 v24, 29, v20
	;; [unrolled: 1-line block ×4, first 2 shown]
	v_add_co_u32 v21, s17, v21, -1
	s_delay_alu instid0(VALU_DEP_1)
	v_cndmask_b32_e64 v26, 0, 1, s17
	v_not_b32_e32 v117, v23
	v_cmp_gt_i32_e64 s17, 0, v23
	v_not_b32_e32 v23, v24
	v_lshlrev_b32_e32 v115, 26, v20
	v_cmp_ne_u32_e32 vcc_lo, 0, v26
	v_ashrrev_i32_e32 v117, 31, v117
	v_lshlrev_b32_e32 v116, 25, v20
	v_ashrrev_i32_e32 v23, 31, v23
	v_lshlrev_b32_e32 v26, 24, v20
	v_xor_b32_e32 v21, vcc_lo, v21
	v_cmp_gt_i32_e32 vcc_lo, 0, v24
	v_not_b32_e32 v24, v25
	v_xor_b32_e32 v117, s17, v117
	v_cmp_gt_i32_e64 s17, 0, v25
	v_and_b32_e32 v21, exec_lo, v21
	v_not_b32_e32 v25, v27
	v_ashrrev_i32_e32 v24, 31, v24
	v_xor_b32_e32 v23, vcc_lo, v23
	v_cmp_gt_i32_e32 vcc_lo, 0, v27
	v_and_b32_e32 v21, v21, v117
	v_not_b32_e32 v27, v115
	v_ashrrev_i32_e32 v25, 31, v25
	v_xor_b32_e32 v24, s17, v24
	v_cmp_gt_i32_e64 s17, 0, v115
	v_and_b32_e32 v21, v21, v23
	v_not_b32_e32 v23, v116
	v_ashrrev_i32_e32 v27, 31, v27
	v_xor_b32_e32 v25, vcc_lo, v25
	v_cmp_gt_i32_e32 vcc_lo, 0, v116
	v_and_b32_e32 v21, v21, v24
	v_not_b32_e32 v24, v26
	v_ashrrev_i32_e32 v23, 31, v23
	v_xor_b32_e32 v27, s17, v27
	v_mul_u32_u24_e32 v20, 9, v20
	v_and_b32_e32 v21, v21, v25
	v_cmp_gt_i32_e64 s17, 0, v26
	v_ashrrev_i32_e32 v24, 31, v24
	v_xor_b32_e32 v23, vcc_lo, v23
	v_add_lshl_u32 v25, v20, v80, 2
	v_and_b32_e32 v21, v21, v27
	s_delay_alu instid0(VALU_DEP_4) | instskip(SKIP_3) | instid1(VALU_DEP_2)
	v_xor_b32_e32 v20, s17, v24
	ds_load_b32 v115, v25 offset:1056
	v_and_b32_e32 v21, v21, v23
	v_add_nc_u32_e32 v118, 0x420, v25
	; wave barrier
	v_and_b32_e32 v20, v21, v20
	s_delay_alu instid0(VALU_DEP_1) | instskip(SKIP_1) | instid1(VALU_DEP_2)
	v_mbcnt_lo_u32_b32 v116, v20, 0
	v_cmp_ne_u32_e64 s17, 0, v20
	v_cmp_eq_u32_e32 vcc_lo, 0, v116
	s_delay_alu instid0(VALU_DEP_2) | instskip(NEXT) | instid1(SALU_CYCLE_1)
	s_and_b32 s18, s17, vcc_lo
	s_and_saveexec_b32 s17, s18
	s_cbranch_execz .LBB327_102
; %bb.101:                              ;   in Loop: Header=BB327_74 Depth=2
	s_waitcnt lgkmcnt(0)
	v_bcnt_u32_b32 v20, v20, v115
	ds_store_b32 v118, v20
.LBB327_102:                            ;   in Loop: Header=BB327_74 Depth=2
	s_or_b32 exec_lo, exec_lo, s17
	v_xor_b32_e32 v117, 0x7f, v22
	; wave barrier
	s_delay_alu instid0(VALU_DEP_1) | instskip(NEXT) | instid1(VALU_DEP_1)
	v_and_b32_e32 v20, 0xff, v117
	v_lshrrev_b32_e32 v20, s30, v20
	s_delay_alu instid0(VALU_DEP_1) | instskip(NEXT) | instid1(VALU_DEP_1)
	v_and_b32_e32 v20, s31, v20
	v_and_b32_e32 v21, 1, v20
	v_lshlrev_b32_e32 v22, 30, v20
	v_lshlrev_b32_e32 v23, 29, v20
	;; [unrolled: 1-line block ×4, first 2 shown]
	v_add_co_u32 v21, s17, v21, -1
	s_delay_alu instid0(VALU_DEP_1)
	v_cndmask_b32_e64 v25, 0, 1, s17
	v_not_b32_e32 v120, v22
	v_cmp_gt_i32_e64 s17, 0, v22
	v_not_b32_e32 v22, v23
	v_lshlrev_b32_e32 v27, 26, v20
	v_cmp_ne_u32_e32 vcc_lo, 0, v25
	v_ashrrev_i32_e32 v120, 31, v120
	v_lshlrev_b32_e32 v119, 25, v20
	v_ashrrev_i32_e32 v22, 31, v22
	v_lshlrev_b32_e32 v25, 24, v20
	v_xor_b32_e32 v21, vcc_lo, v21
	v_cmp_gt_i32_e32 vcc_lo, 0, v23
	v_not_b32_e32 v23, v24
	v_xor_b32_e32 v120, s17, v120
	v_cmp_gt_i32_e64 s17, 0, v24
	v_and_b32_e32 v21, exec_lo, v21
	v_not_b32_e32 v24, v26
	v_ashrrev_i32_e32 v23, 31, v23
	v_xor_b32_e32 v22, vcc_lo, v22
	v_cmp_gt_i32_e32 vcc_lo, 0, v26
	v_and_b32_e32 v21, v21, v120
	v_not_b32_e32 v26, v27
	v_ashrrev_i32_e32 v24, 31, v24
	v_xor_b32_e32 v23, s17, v23
	v_cmp_gt_i32_e64 s17, 0, v27
	v_and_b32_e32 v21, v21, v22
	v_not_b32_e32 v22, v119
	v_ashrrev_i32_e32 v26, 31, v26
	v_xor_b32_e32 v24, vcc_lo, v24
	v_cmp_gt_i32_e32 vcc_lo, 0, v119
	v_and_b32_e32 v21, v21, v23
	v_not_b32_e32 v23, v25
	v_ashrrev_i32_e32 v22, 31, v22
	v_xor_b32_e32 v26, s17, v26
	v_mul_u32_u24_e32 v20, 9, v20
	v_and_b32_e32 v21, v21, v24
	v_cmp_gt_i32_e64 s17, 0, v25
	v_ashrrev_i32_e32 v23, 31, v23
	v_xor_b32_e32 v22, vcc_lo, v22
	v_add_lshl_u32 v24, v20, v80, 2
	v_and_b32_e32 v21, v21, v26
	s_delay_alu instid0(VALU_DEP_4) | instskip(SKIP_3) | instid1(VALU_DEP_2)
	v_xor_b32_e32 v20, s17, v23
	ds_load_b32 v119, v24 offset:1056
	v_and_b32_e32 v21, v21, v22
	v_add_nc_u32_e32 v121, 0x420, v24
	; wave barrier
	v_and_b32_e32 v20, v21, v20
	s_delay_alu instid0(VALU_DEP_1) | instskip(SKIP_1) | instid1(VALU_DEP_2)
	v_mbcnt_lo_u32_b32 v120, v20, 0
	v_cmp_ne_u32_e64 s17, 0, v20
	v_cmp_eq_u32_e32 vcc_lo, 0, v120
	s_delay_alu instid0(VALU_DEP_2) | instskip(NEXT) | instid1(SALU_CYCLE_1)
	s_and_b32 s18, s17, vcc_lo
	s_and_saveexec_b32 s17, s18
	s_cbranch_execz .LBB327_104
; %bb.103:                              ;   in Loop: Header=BB327_74 Depth=2
	s_waitcnt lgkmcnt(0)
	v_bcnt_u32_b32 v20, v20, v119
	ds_store_b32 v121, v20
.LBB327_104:                            ;   in Loop: Header=BB327_74 Depth=2
	s_or_b32 exec_lo, exec_lo, s17
	; wave barrier
	s_waitcnt lgkmcnt(0)
	s_barrier
	buffer_gl0_inv
	ds_load_b32 v122, v46 offset:1056
	ds_load_2addr_b32 v[26:27], v47 offset0:1 offset1:2
	ds_load_2addr_b32 v[24:25], v47 offset0:3 offset1:4
	;; [unrolled: 1-line block ×4, first 2 shown]
	s_waitcnt lgkmcnt(3)
	v_add3_u32 v123, v26, v122, v27
	s_waitcnt lgkmcnt(2)
	s_delay_alu instid0(VALU_DEP_1) | instskip(SKIP_1) | instid1(VALU_DEP_1)
	v_add3_u32 v123, v123, v24, v25
	s_waitcnt lgkmcnt(1)
	v_add3_u32 v123, v123, v20, v21
	s_waitcnt lgkmcnt(0)
	s_delay_alu instid0(VALU_DEP_1) | instskip(NEXT) | instid1(VALU_DEP_1)
	v_add3_u32 v23, v123, v22, v23
	v_mov_b32_dpp v123, v23 row_shr:1 row_mask:0xf bank_mask:0xf
	s_delay_alu instid0(VALU_DEP_1) | instskip(NEXT) | instid1(VALU_DEP_1)
	v_cndmask_b32_e64 v123, v123, 0, s0
	v_add_nc_u32_e32 v23, v123, v23
	s_delay_alu instid0(VALU_DEP_1) | instskip(NEXT) | instid1(VALU_DEP_1)
	v_mov_b32_dpp v123, v23 row_shr:2 row_mask:0xf bank_mask:0xf
	v_cndmask_b32_e64 v123, 0, v123, s1
	s_delay_alu instid0(VALU_DEP_1) | instskip(NEXT) | instid1(VALU_DEP_1)
	v_add_nc_u32_e32 v23, v23, v123
	v_mov_b32_dpp v123, v23 row_shr:4 row_mask:0xf bank_mask:0xf
	s_delay_alu instid0(VALU_DEP_1) | instskip(NEXT) | instid1(VALU_DEP_1)
	v_cndmask_b32_e64 v123, 0, v123, s8
	v_add_nc_u32_e32 v23, v23, v123
	s_delay_alu instid0(VALU_DEP_1) | instskip(NEXT) | instid1(VALU_DEP_1)
	v_mov_b32_dpp v123, v23 row_shr:8 row_mask:0xf bank_mask:0xf
	v_cndmask_b32_e64 v123, 0, v123, s9
	s_delay_alu instid0(VALU_DEP_1) | instskip(SKIP_3) | instid1(VALU_DEP_1)
	v_add_nc_u32_e32 v23, v23, v123
	ds_swizzle_b32 v123, v23 offset:swizzle(BROADCAST,32,15)
	s_waitcnt lgkmcnt(0)
	v_cndmask_b32_e64 v123, v123, 0, s10
	v_add_nc_u32_e32 v23, v23, v123
	s_and_saveexec_b32 s17, s3
	s_cbranch_execz .LBB327_106
; %bb.105:                              ;   in Loop: Header=BB327_74 Depth=2
	ds_store_b32 v38, v23 offset:1024
.LBB327_106:                            ;   in Loop: Header=BB327_74 Depth=2
	s_or_b32 exec_lo, exec_lo, s17
	s_waitcnt lgkmcnt(0)
	s_barrier
	buffer_gl0_inv
	s_and_saveexec_b32 s17, s4
	s_cbranch_execz .LBB327_108
; %bb.107:                              ;   in Loop: Header=BB327_74 Depth=2
	v_add_nc_u32_e32 v123, v46, v48
	ds_load_b32 v124, v123 offset:1024
	s_waitcnt lgkmcnt(0)
	v_mov_b32_dpp v125, v124 row_shr:1 row_mask:0xf bank_mask:0xf
	s_delay_alu instid0(VALU_DEP_1) | instskip(NEXT) | instid1(VALU_DEP_1)
	v_cndmask_b32_e64 v125, v125, 0, s12
	v_add_nc_u32_e32 v124, v125, v124
	s_delay_alu instid0(VALU_DEP_1) | instskip(NEXT) | instid1(VALU_DEP_1)
	v_mov_b32_dpp v125, v124 row_shr:2 row_mask:0xf bank_mask:0xf
	v_cndmask_b32_e64 v125, 0, v125, s13
	s_delay_alu instid0(VALU_DEP_1) | instskip(NEXT) | instid1(VALU_DEP_1)
	v_add_nc_u32_e32 v124, v124, v125
	v_mov_b32_dpp v125, v124 row_shr:4 row_mask:0xf bank_mask:0xf
	s_delay_alu instid0(VALU_DEP_1) | instskip(NEXT) | instid1(VALU_DEP_1)
	v_cndmask_b32_e64 v125, 0, v125, s16
	v_add_nc_u32_e32 v124, v124, v125
	ds_store_b32 v123, v124 offset:1024
.LBB327_108:                            ;   in Loop: Header=BB327_74 Depth=2
	s_or_b32 exec_lo, exec_lo, s17
	v_mov_b32_e32 v123, 0
	s_waitcnt lgkmcnt(0)
	s_barrier
	buffer_gl0_inv
	s_and_saveexec_b32 s17, s5
	s_cbranch_execz .LBB327_110
; %bb.109:                              ;   in Loop: Header=BB327_74 Depth=2
	ds_load_b32 v123, v38 offset:1020
.LBB327_110:                            ;   in Loop: Header=BB327_74 Depth=2
	s_or_b32 exec_lo, exec_lo, s17
	s_waitcnt lgkmcnt(0)
	v_add_nc_u32_e32 v23, v123, v23
	ds_bpermute_b32 v23, v69, v23
	s_waitcnt lgkmcnt(0)
	v_cndmask_b32_e64 v23, v23, v123, s11
	s_delay_alu instid0(VALU_DEP_1) | instskip(NEXT) | instid1(VALU_DEP_1)
	v_cndmask_b32_e64 v23, v23, 0, s6
	v_add_nc_u32_e32 v122, v23, v122
	s_delay_alu instid0(VALU_DEP_1) | instskip(NEXT) | instid1(VALU_DEP_1)
	v_add_nc_u32_e32 v26, v122, v26
	v_add_nc_u32_e32 v27, v26, v27
	s_delay_alu instid0(VALU_DEP_1) | instskip(NEXT) | instid1(VALU_DEP_1)
	v_add_nc_u32_e32 v24, v27, v24
	;; [unrolled: 3-line block ×3, first 2 shown]
	v_add_nc_u32_e32 v21, v20, v21
	s_delay_alu instid0(VALU_DEP_1)
	v_add_nc_u32_e32 v22, v21, v22
	ds_store_b32 v46, v23 offset:1056
	ds_store_2addr_b32 v47, v122, v26 offset0:1 offset1:2
	ds_store_2addr_b32 v47, v27, v24 offset0:3 offset1:4
	;; [unrolled: 1-line block ×4, first 2 shown]
	v_mov_b32_e32 v22, 0x800
	s_waitcnt lgkmcnt(0)
	s_barrier
	buffer_gl0_inv
	ds_load_b32 v20, v98
	ds_load_b32 v21, v102
	;; [unrolled: 1-line block ×8, first 2 shown]
	ds_load_b32 v27, v46 offset:1056
	s_and_saveexec_b32 s17, s7
	s_cbranch_execz .LBB327_112
; %bb.111:                              ;   in Loop: Header=BB327_74 Depth=2
	ds_load_b32 v22, v49 offset:1056
.LBB327_112:                            ;   in Loop: Header=BB327_74 Depth=2
	s_or_b32 exec_lo, exec_lo, s17
	s_waitcnt lgkmcnt(0)
	s_barrier
	buffer_gl0_inv
	s_and_saveexec_b32 s17, s2
	s_cbranch_execz .LBB327_114
; %bb.113:                              ;   in Loop: Header=BB327_74 Depth=2
	ds_load_b32 v94, v28
	s_waitcnt lgkmcnt(0)
	v_sub_nc_u32_e32 v27, v94, v27
	ds_store_b32 v28, v27
.LBB327_114:                            ;   in Loop: Header=BB327_74 Depth=2
	s_or_b32 exec_lo, exec_lo, s17
	v_add_nc_u32_e32 v98, v26, v92
	v_add3_u32 v94, v96, v95, v20
	v_add3_u32 v92, v100, v99, v21
	;; [unrolled: 1-line block ×7, first 2 shown]
	v_cmp_lt_u32_e64 s22, v1, v2
	ds_store_b8 v98, v91 offset:1024
	ds_store_b8 v94, v93 offset:1024
	;; [unrolled: 1-line block ×8, first 2 shown]
	s_waitcnt lgkmcnt(0)
	s_barrier
	buffer_gl0_inv
	s_and_saveexec_b32 s17, s22
	s_cbranch_execz .LBB327_122
; %bb.115:                              ;   in Loop: Header=BB327_74 Depth=2
	ds_load_u8 v20, v1 offset:1024
	s_waitcnt lgkmcnt(0)
	v_and_b32_e32 v21, 0xff, v20
	v_xor_b32_e32 v20, 0x7f, v20
	s_delay_alu instid0(VALU_DEP_2) | instskip(NEXT) | instid1(VALU_DEP_1)
	v_lshrrev_b32_e32 v21, s30, v21
	v_and_b32_e32 v21, s31, v21
	s_delay_alu instid0(VALU_DEP_1)
	v_lshlrev_b32_e32 v21, 2, v21
	ds_load_b32 v21, v21
	s_waitcnt lgkmcnt(0)
	v_add_nc_u32_e32 v21, v21, v1
	global_store_b8 v21, v20, s[38:39]
	s_or_b32 exec_lo, exec_lo, s17
	v_cmp_lt_u32_e64 s23, v29, v2
	s_delay_alu instid0(VALU_DEP_1)
	s_and_saveexec_b32 s17, s23
	s_cbranch_execnz .LBB327_123
.LBB327_116:                            ;   in Loop: Header=BB327_74 Depth=2
	s_or_b32 exec_lo, exec_lo, s17
	v_cmp_lt_u32_e64 s21, v30, v2
	s_delay_alu instid0(VALU_DEP_1)
	s_and_saveexec_b32 s17, s21
	s_cbranch_execz .LBB327_124
.LBB327_117:                            ;   in Loop: Header=BB327_74 Depth=2
	ds_load_u8 v20, v35 offset:512
	s_waitcnt lgkmcnt(0)
	v_and_b32_e32 v21, 0xff, v20
	v_xor_b32_e32 v20, 0x7f, v20
	s_delay_alu instid0(VALU_DEP_2) | instskip(NEXT) | instid1(VALU_DEP_1)
	v_lshrrev_b32_e32 v21, s30, v21
	v_and_b32_e32 v21, s31, v21
	s_delay_alu instid0(VALU_DEP_1)
	v_lshlrev_b32_e32 v21, 2, v21
	ds_load_b32 v21, v21
	s_waitcnt lgkmcnt(0)
	v_add_nc_u32_e32 v21, v21, v30
	global_store_b8 v21, v20, s[38:39]
	s_or_b32 exec_lo, exec_lo, s17
	v_cmp_lt_u32_e64 s20, v31, v2
	s_delay_alu instid0(VALU_DEP_1)
	s_and_saveexec_b32 s17, s20
	s_cbranch_execnz .LBB327_125
.LBB327_118:                            ;   in Loop: Header=BB327_74 Depth=2
	s_or_b32 exec_lo, exec_lo, s17
	v_cmp_lt_u32_e64 s19, v35, v2
	s_delay_alu instid0(VALU_DEP_1)
	s_and_saveexec_b32 s17, s19
	s_cbranch_execz .LBB327_126
.LBB327_119:                            ;   in Loop: Header=BB327_74 Depth=2
	ds_load_u8 v20, v35 offset:1024
	s_waitcnt lgkmcnt(0)
	v_and_b32_e32 v21, 0xff, v20
	v_xor_b32_e32 v20, 0x7f, v20
	s_delay_alu instid0(VALU_DEP_2) | instskip(NEXT) | instid1(VALU_DEP_1)
	v_lshrrev_b32_e32 v21, s30, v21
	v_and_b32_e32 v21, s31, v21
	s_delay_alu instid0(VALU_DEP_1)
	v_lshlrev_b32_e32 v21, 2, v21
	ds_load_b32 v21, v21
	s_waitcnt lgkmcnt(0)
	v_add_nc_u32_e32 v21, v21, v35
	global_store_b8 v21, v20, s[38:39]
	s_or_b32 exec_lo, exec_lo, s17
	v_cmp_lt_u32_e64 s18, v36, v2
	s_delay_alu instid0(VALU_DEP_1)
	s_and_saveexec_b32 s17, s18
	s_cbranch_execnz .LBB327_127
.LBB327_120:                            ;   in Loop: Header=BB327_74 Depth=2
	s_or_b32 exec_lo, exec_lo, s17
	v_cmp_lt_u32_e64 s17, v37, v2
	s_delay_alu instid0(VALU_DEP_1)
	s_and_saveexec_b32 s43, s17
	s_cbranch_execz .LBB327_128
.LBB327_121:                            ;   in Loop: Header=BB327_74 Depth=2
	ds_load_u8 v20, v35 offset:1536
	s_waitcnt lgkmcnt(0)
	v_and_b32_e32 v21, 0xff, v20
	v_xor_b32_e32 v20, 0x7f, v20
	s_delay_alu instid0(VALU_DEP_2) | instskip(NEXT) | instid1(VALU_DEP_1)
	v_lshrrev_b32_e32 v21, s30, v21
	v_and_b32_e32 v21, s31, v21
	s_delay_alu instid0(VALU_DEP_1)
	v_lshlrev_b32_e32 v21, 2, v21
	ds_load_b32 v21, v21
	s_waitcnt lgkmcnt(0)
	v_add_nc_u32_e32 v21, v21, v37
	global_store_b8 v21, v20, s[38:39]
	s_or_b32 exec_lo, exec_lo, s43
	v_cmp_lt_u32_e32 vcc_lo, v39, v2
	s_and_saveexec_b32 s43, vcc_lo
	s_cbranch_execnz .LBB327_129
	s_branch .LBB327_130
.LBB327_122:                            ;   in Loop: Header=BB327_74 Depth=2
	s_or_b32 exec_lo, exec_lo, s17
	v_cmp_lt_u32_e64 s23, v29, v2
	s_delay_alu instid0(VALU_DEP_1)
	s_and_saveexec_b32 s17, s23
	s_cbranch_execz .LBB327_116
.LBB327_123:                            ;   in Loop: Header=BB327_74 Depth=2
	ds_load_u8 v20, v35 offset:256
	s_waitcnt lgkmcnt(0)
	v_and_b32_e32 v21, 0xff, v20
	v_xor_b32_e32 v20, 0x7f, v20
	s_delay_alu instid0(VALU_DEP_2) | instskip(NEXT) | instid1(VALU_DEP_1)
	v_lshrrev_b32_e32 v21, s30, v21
	v_and_b32_e32 v21, s31, v21
	s_delay_alu instid0(VALU_DEP_1)
	v_lshlrev_b32_e32 v21, 2, v21
	ds_load_b32 v21, v21
	s_waitcnt lgkmcnt(0)
	v_add_nc_u32_e32 v21, v21, v29
	global_store_b8 v21, v20, s[38:39]
	s_or_b32 exec_lo, exec_lo, s17
	v_cmp_lt_u32_e64 s21, v30, v2
	s_delay_alu instid0(VALU_DEP_1)
	s_and_saveexec_b32 s17, s21
	s_cbranch_execnz .LBB327_117
.LBB327_124:                            ;   in Loop: Header=BB327_74 Depth=2
	s_or_b32 exec_lo, exec_lo, s17
	v_cmp_lt_u32_e64 s20, v31, v2
	s_delay_alu instid0(VALU_DEP_1)
	s_and_saveexec_b32 s17, s20
	s_cbranch_execz .LBB327_118
.LBB327_125:                            ;   in Loop: Header=BB327_74 Depth=2
	ds_load_u8 v20, v35 offset:768
	s_waitcnt lgkmcnt(0)
	v_and_b32_e32 v21, 0xff, v20
	v_xor_b32_e32 v20, 0x7f, v20
	s_delay_alu instid0(VALU_DEP_2) | instskip(NEXT) | instid1(VALU_DEP_1)
	v_lshrrev_b32_e32 v21, s30, v21
	v_and_b32_e32 v21, s31, v21
	s_delay_alu instid0(VALU_DEP_1)
	v_lshlrev_b32_e32 v21, 2, v21
	ds_load_b32 v21, v21
	s_waitcnt lgkmcnt(0)
	v_add_nc_u32_e32 v21, v21, v31
	global_store_b8 v21, v20, s[38:39]
	s_or_b32 exec_lo, exec_lo, s17
	v_cmp_lt_u32_e64 s19, v35, v2
	s_delay_alu instid0(VALU_DEP_1)
	s_and_saveexec_b32 s17, s19
	s_cbranch_execnz .LBB327_119
.LBB327_126:                            ;   in Loop: Header=BB327_74 Depth=2
	s_or_b32 exec_lo, exec_lo, s17
	v_cmp_lt_u32_e64 s18, v36, v2
	s_delay_alu instid0(VALU_DEP_1)
	s_and_saveexec_b32 s17, s18
	s_cbranch_execz .LBB327_120
.LBB327_127:                            ;   in Loop: Header=BB327_74 Depth=2
	ds_load_u8 v20, v35 offset:1280
	s_waitcnt lgkmcnt(0)
	v_and_b32_e32 v21, 0xff, v20
	v_xor_b32_e32 v20, 0x7f, v20
	s_delay_alu instid0(VALU_DEP_2) | instskip(NEXT) | instid1(VALU_DEP_1)
	v_lshrrev_b32_e32 v21, s30, v21
	v_and_b32_e32 v21, s31, v21
	s_delay_alu instid0(VALU_DEP_1)
	v_lshlrev_b32_e32 v21, 2, v21
	ds_load_b32 v21, v21
	s_waitcnt lgkmcnt(0)
	v_add_nc_u32_e32 v21, v21, v36
	global_store_b8 v21, v20, s[38:39]
	s_or_b32 exec_lo, exec_lo, s17
	v_cmp_lt_u32_e64 s17, v37, v2
	s_delay_alu instid0(VALU_DEP_1)
	s_and_saveexec_b32 s43, s17
	s_cbranch_execnz .LBB327_121
.LBB327_128:                            ;   in Loop: Header=BB327_74 Depth=2
	s_or_b32 exec_lo, exec_lo, s43
	v_cmp_lt_u32_e32 vcc_lo, v39, v2
	s_and_saveexec_b32 s43, vcc_lo
	s_cbranch_execz .LBB327_130
.LBB327_129:                            ;   in Loop: Header=BB327_74 Depth=2
	ds_load_u8 v20, v35 offset:1792
	s_waitcnt lgkmcnt(0)
	v_and_b32_e32 v21, 0xff, v20
	v_xor_b32_e32 v20, 0x7f, v20
	s_delay_alu instid0(VALU_DEP_2) | instskip(NEXT) | instid1(VALU_DEP_1)
	v_lshrrev_b32_e32 v21, s30, v21
	v_and_b32_e32 v21, s31, v21
	s_delay_alu instid0(VALU_DEP_1)
	v_lshlrev_b32_e32 v21, 2, v21
	ds_load_b32 v21, v21
	s_waitcnt lgkmcnt(0)
	v_add_nc_u32_e32 v21, v21, v39
	global_store_b8 v21, v20, s[38:39]
.LBB327_130:                            ;   in Loop: Header=BB327_74 Depth=2
	s_or_b32 exec_lo, exec_lo, s43
	s_lshl_b64 s[52:53], s[24:25], 3
	s_delay_alu instid0(SALU_CYCLE_1) | instskip(NEXT) | instid1(VALU_DEP_1)
	v_add_co_u32 v20, s24, v71, s52
	v_add_co_ci_u32_e64 v21, s24, s53, v72, s24
	v_cmp_lt_u32_e64 s24, v70, v2
	s_delay_alu instid0(VALU_DEP_1) | instskip(NEXT) | instid1(SALU_CYCLE_1)
	s_and_saveexec_b32 s43, s24
	s_xor_b32 s24, exec_lo, s43
	s_cbranch_execz .LBB327_146
; %bb.131:                              ;   in Loop: Header=BB327_74 Depth=2
	global_load_b64 v[18:19], v[20:21], off
	s_or_b32 exec_lo, exec_lo, s24
	s_delay_alu instid0(SALU_CYCLE_1)
	s_mov_b32 s43, exec_lo
	v_cmpx_lt_u32_e64 v73, v2
	s_cbranch_execnz .LBB327_147
.LBB327_132:                            ;   in Loop: Header=BB327_74 Depth=2
	s_or_b32 exec_lo, exec_lo, s43
	s_delay_alu instid0(SALU_CYCLE_1)
	s_mov_b32 s43, exec_lo
	v_cmpx_lt_u32_e64 v74, v2
	s_cbranch_execz .LBB327_148
.LBB327_133:                            ;   in Loop: Header=BB327_74 Depth=2
	global_load_b64 v[14:15], v[20:21], off offset:512
	s_or_b32 exec_lo, exec_lo, s43
	s_delay_alu instid0(SALU_CYCLE_1)
	s_mov_b32 s43, exec_lo
	v_cmpx_lt_u32_e64 v75, v2
	s_cbranch_execnz .LBB327_149
.LBB327_134:                            ;   in Loop: Header=BB327_74 Depth=2
	s_or_b32 exec_lo, exec_lo, s43
	s_delay_alu instid0(SALU_CYCLE_1)
	s_mov_b32 s43, exec_lo
	v_cmpx_lt_u32_e64 v76, v2
	s_cbranch_execz .LBB327_150
.LBB327_135:                            ;   in Loop: Header=BB327_74 Depth=2
	global_load_b64 v[10:11], v[20:21], off offset:1024
	s_or_b32 exec_lo, exec_lo, s43
	s_delay_alu instid0(SALU_CYCLE_1)
	s_mov_b32 s43, exec_lo
	v_cmpx_lt_u32_e64 v77, v2
	s_cbranch_execnz .LBB327_151
.LBB327_136:                            ;   in Loop: Header=BB327_74 Depth=2
	s_or_b32 exec_lo, exec_lo, s43
	s_delay_alu instid0(SALU_CYCLE_1)
	s_mov_b32 s43, exec_lo
	v_cmpx_lt_u32_e64 v78, v2
	s_cbranch_execz .LBB327_152
.LBB327_137:                            ;   in Loop: Header=BB327_74 Depth=2
	global_load_b64 v[6:7], v[20:21], off offset:1536
	s_or_b32 exec_lo, exec_lo, s43
	s_delay_alu instid0(SALU_CYCLE_1)
	s_mov_b32 s43, exec_lo
	v_cmpx_lt_u32_e64 v79, v2
	s_cbranch_execnz .LBB327_153
.LBB327_138:                            ;   in Loop: Header=BB327_74 Depth=2
	s_or_b32 exec_lo, exec_lo, s43
	s_and_saveexec_b32 s24, s22
	s_cbranch_execz .LBB327_154
.LBB327_139:                            ;   in Loop: Header=BB327_74 Depth=2
	ds_load_u8 v2, v1 offset:1024
	s_waitcnt lgkmcnt(0)
	v_lshrrev_b32_e32 v2, s30, v2
	s_delay_alu instid0(VALU_DEP_1)
	v_and_b32_e32 v90, s31, v2
	s_or_b32 exec_lo, exec_lo, s24
	s_and_saveexec_b32 s24, s23
	s_cbranch_execnz .LBB327_155
.LBB327_140:                            ;   in Loop: Header=BB327_74 Depth=2
	s_or_b32 exec_lo, exec_lo, s24
	s_and_saveexec_b32 s24, s21
	s_cbranch_execz .LBB327_156
.LBB327_141:                            ;   in Loop: Header=BB327_74 Depth=2
	ds_load_u8 v2, v35 offset:512
	s_waitcnt lgkmcnt(0)
	v_lshrrev_b32_e32 v2, s30, v2
	s_delay_alu instid0(VALU_DEP_1)
	v_and_b32_e32 v88, s31, v2
	s_or_b32 exec_lo, exec_lo, s24
	s_and_saveexec_b32 s24, s20
	s_cbranch_execnz .LBB327_157
.LBB327_142:                            ;   in Loop: Header=BB327_74 Depth=2
	s_or_b32 exec_lo, exec_lo, s24
	s_and_saveexec_b32 s24, s19
	s_cbranch_execz .LBB327_158
.LBB327_143:                            ;   in Loop: Header=BB327_74 Depth=2
	ds_load_u8 v2, v35 offset:1024
	s_waitcnt lgkmcnt(0)
	v_lshrrev_b32_e32 v2, s30, v2
	s_delay_alu instid0(VALU_DEP_1)
	v_and_b32_e32 v86, s31, v2
	s_or_b32 exec_lo, exec_lo, s24
	s_and_saveexec_b32 s24, s18
	s_cbranch_execnz .LBB327_159
.LBB327_144:                            ;   in Loop: Header=BB327_74 Depth=2
	s_or_b32 exec_lo, exec_lo, s24
	s_and_saveexec_b32 s24, s17
	s_cbranch_execz .LBB327_160
.LBB327_145:                            ;   in Loop: Header=BB327_74 Depth=2
	ds_load_u8 v2, v35 offset:1536
	s_waitcnt lgkmcnt(0)
	v_lshrrev_b32_e32 v2, s30, v2
	s_delay_alu instid0(VALU_DEP_1)
	v_and_b32_e32 v84, s31, v2
	s_or_b32 exec_lo, exec_lo, s24
	s_and_saveexec_b32 s24, vcc_lo
	s_cbranch_execnz .LBB327_161
	s_branch .LBB327_162
.LBB327_146:                            ;   in Loop: Header=BB327_74 Depth=2
	s_or_b32 exec_lo, exec_lo, s24
	s_delay_alu instid0(SALU_CYCLE_1)
	s_mov_b32 s43, exec_lo
	v_cmpx_lt_u32_e64 v73, v2
	s_cbranch_execz .LBB327_132
.LBB327_147:                            ;   in Loop: Header=BB327_74 Depth=2
	global_load_b64 v[16:17], v[20:21], off offset:256
	s_or_b32 exec_lo, exec_lo, s43
	s_delay_alu instid0(SALU_CYCLE_1)
	s_mov_b32 s43, exec_lo
	v_cmpx_lt_u32_e64 v74, v2
	s_cbranch_execnz .LBB327_133
.LBB327_148:                            ;   in Loop: Header=BB327_74 Depth=2
	s_or_b32 exec_lo, exec_lo, s43
	s_delay_alu instid0(SALU_CYCLE_1)
	s_mov_b32 s43, exec_lo
	v_cmpx_lt_u32_e64 v75, v2
	s_cbranch_execz .LBB327_134
.LBB327_149:                            ;   in Loop: Header=BB327_74 Depth=2
	global_load_b64 v[12:13], v[20:21], off offset:768
	s_or_b32 exec_lo, exec_lo, s43
	s_delay_alu instid0(SALU_CYCLE_1)
	s_mov_b32 s43, exec_lo
	v_cmpx_lt_u32_e64 v76, v2
	s_cbranch_execnz .LBB327_135
.LBB327_150:                            ;   in Loop: Header=BB327_74 Depth=2
	s_or_b32 exec_lo, exec_lo, s43
	s_delay_alu instid0(SALU_CYCLE_1)
	s_mov_b32 s43, exec_lo
	v_cmpx_lt_u32_e64 v77, v2
	s_cbranch_execz .LBB327_136
.LBB327_151:                            ;   in Loop: Header=BB327_74 Depth=2
	global_load_b64 v[8:9], v[20:21], off offset:1280
	s_or_b32 exec_lo, exec_lo, s43
	s_delay_alu instid0(SALU_CYCLE_1)
	s_mov_b32 s43, exec_lo
	v_cmpx_lt_u32_e64 v78, v2
	s_cbranch_execnz .LBB327_137
.LBB327_152:                            ;   in Loop: Header=BB327_74 Depth=2
	s_or_b32 exec_lo, exec_lo, s43
	s_delay_alu instid0(SALU_CYCLE_1)
	s_mov_b32 s43, exec_lo
	v_cmpx_lt_u32_e64 v79, v2
	s_cbranch_execz .LBB327_138
.LBB327_153:                            ;   in Loop: Header=BB327_74 Depth=2
	global_load_b64 v[4:5], v[20:21], off offset:1792
	s_or_b32 exec_lo, exec_lo, s43
	s_and_saveexec_b32 s24, s22
	s_cbranch_execnz .LBB327_139
.LBB327_154:                            ;   in Loop: Header=BB327_74 Depth=2
	s_or_b32 exec_lo, exec_lo, s24
	s_and_saveexec_b32 s24, s23
	s_cbranch_execz .LBB327_140
.LBB327_155:                            ;   in Loop: Header=BB327_74 Depth=2
	ds_load_u8 v2, v35 offset:256
	s_waitcnt lgkmcnt(0)
	v_lshrrev_b32_e32 v2, s30, v2
	s_delay_alu instid0(VALU_DEP_1)
	v_and_b32_e32 v89, s31, v2
	s_or_b32 exec_lo, exec_lo, s24
	s_and_saveexec_b32 s24, s21
	s_cbranch_execnz .LBB327_141
.LBB327_156:                            ;   in Loop: Header=BB327_74 Depth=2
	s_or_b32 exec_lo, exec_lo, s24
	s_and_saveexec_b32 s24, s20
	s_cbranch_execz .LBB327_142
.LBB327_157:                            ;   in Loop: Header=BB327_74 Depth=2
	ds_load_u8 v2, v35 offset:768
	s_waitcnt lgkmcnt(0)
	v_lshrrev_b32_e32 v2, s30, v2
	s_delay_alu instid0(VALU_DEP_1)
	v_and_b32_e32 v87, s31, v2
	s_or_b32 exec_lo, exec_lo, s24
	s_and_saveexec_b32 s24, s19
	s_cbranch_execnz .LBB327_143
.LBB327_158:                            ;   in Loop: Header=BB327_74 Depth=2
	s_or_b32 exec_lo, exec_lo, s24
	s_and_saveexec_b32 s24, s18
	s_cbranch_execz .LBB327_144
.LBB327_159:                            ;   in Loop: Header=BB327_74 Depth=2
	ds_load_u8 v2, v35 offset:1280
	s_waitcnt lgkmcnt(0)
	v_lshrrev_b32_e32 v2, s30, v2
	s_delay_alu instid0(VALU_DEP_1)
	v_and_b32_e32 v85, s31, v2
	s_or_b32 exec_lo, exec_lo, s24
	s_and_saveexec_b32 s24, s17
	s_cbranch_execnz .LBB327_145
.LBB327_160:                            ;   in Loop: Header=BB327_74 Depth=2
	s_or_b32 exec_lo, exec_lo, s24
	s_and_saveexec_b32 s24, vcc_lo
	s_cbranch_execz .LBB327_162
.LBB327_161:                            ;   in Loop: Header=BB327_74 Depth=2
	ds_load_u8 v2, v35 offset:1792
	s_waitcnt lgkmcnt(0)
	v_lshrrev_b32_e32 v2, s30, v2
	s_delay_alu instid0(VALU_DEP_1)
	v_and_b32_e32 v83, s31, v2
.LBB327_162:                            ;   in Loop: Header=BB327_74 Depth=2
	s_or_b32 exec_lo, exec_lo, s24
	v_lshlrev_b32_e32 v2, 3, v98
	v_lshlrev_b32_e32 v20, 3, v94
	;; [unrolled: 1-line block ×3, first 2 shown]
	s_waitcnt vmcnt(0)
	s_waitcnt_vscnt null, 0x0
	s_barrier
	buffer_gl0_inv
	ds_store_b64 v2, v[18:19] offset:1024
	ds_store_b64 v20, v[16:17] offset:1024
	;; [unrolled: 1-line block ×3, first 2 shown]
	v_lshlrev_b32_e32 v2, 3, v27
	v_lshlrev_b32_e32 v20, 3, v26
	;; [unrolled: 1-line block ×5, first 2 shown]
	ds_store_b64 v2, v[12:13] offset:1024
	ds_store_b64 v20, v[10:11] offset:1024
	;; [unrolled: 1-line block ×5, first 2 shown]
	s_waitcnt lgkmcnt(0)
	s_barrier
	buffer_gl0_inv
	s_and_saveexec_b32 s24, s22
	s_cbranch_execz .LBB327_170
; %bb.163:                              ;   in Loop: Header=BB327_74 Depth=2
	v_lshlrev_b32_e32 v2, 2, v90
	v_add_nc_u32_e32 v20, v1, v52
	ds_load_b32 v2, v2
	ds_load_b64 v[20:21], v20 offset:1024
	s_waitcnt lgkmcnt(1)
	v_add_nc_u32_e32 v2, v2, v1
	s_delay_alu instid0(VALU_DEP_1) | instskip(NEXT) | instid1(VALU_DEP_1)
	v_lshlrev_b64 v[23:24], 3, v[2:3]
	v_add_co_u32 v23, s22, s44, v23
	s_delay_alu instid0(VALU_DEP_1)
	v_add_co_ci_u32_e64 v24, s22, s45, v24, s22
	s_waitcnt lgkmcnt(0)
	global_store_b64 v[23:24], v[20:21], off
	s_or_b32 exec_lo, exec_lo, s24
	s_and_saveexec_b32 s24, s23
	s_cbranch_execnz .LBB327_171
.LBB327_164:                            ;   in Loop: Header=BB327_74 Depth=2
	s_or_b32 exec_lo, exec_lo, s24
	s_and_saveexec_b32 s22, s21
	s_cbranch_execz .LBB327_172
.LBB327_165:                            ;   in Loop: Header=BB327_74 Depth=2
	v_lshlrev_b32_e32 v2, 2, v88
	v_add_nc_u32_e32 v20, v35, v52
	ds_load_b32 v2, v2
	ds_load_b64 v[20:21], v20 offset:4096
	s_waitcnt lgkmcnt(1)
	v_add_nc_u32_e32 v2, v2, v30
	s_delay_alu instid0(VALU_DEP_1) | instskip(NEXT) | instid1(VALU_DEP_1)
	v_lshlrev_b64 v[23:24], 3, v[2:3]
	v_add_co_u32 v23, s21, s44, v23
	s_delay_alu instid0(VALU_DEP_1)
	v_add_co_ci_u32_e64 v24, s21, s45, v24, s21
	s_waitcnt lgkmcnt(0)
	global_store_b64 v[23:24], v[20:21], off
	s_or_b32 exec_lo, exec_lo, s22
	s_and_saveexec_b32 s21, s20
	s_cbranch_execnz .LBB327_173
.LBB327_166:                            ;   in Loop: Header=BB327_74 Depth=2
	s_or_b32 exec_lo, exec_lo, s21
	s_and_saveexec_b32 s20, s19
	s_cbranch_execz .LBB327_174
.LBB327_167:                            ;   in Loop: Header=BB327_74 Depth=2
	v_lshlrev_b32_e32 v2, 2, v86
	v_add_nc_u32_e32 v20, v35, v52
	ds_load_b32 v2, v2
	ds_load_b64 v[20:21], v20 offset:8192
	s_waitcnt lgkmcnt(1)
	v_add_nc_u32_e32 v2, v2, v35
	s_delay_alu instid0(VALU_DEP_1) | instskip(NEXT) | instid1(VALU_DEP_1)
	v_lshlrev_b64 v[23:24], 3, v[2:3]
	v_add_co_u32 v23, s19, s44, v23
	s_delay_alu instid0(VALU_DEP_1)
	v_add_co_ci_u32_e64 v24, s19, s45, v24, s19
	s_waitcnt lgkmcnt(0)
	global_store_b64 v[23:24], v[20:21], off
	s_or_b32 exec_lo, exec_lo, s20
	s_and_saveexec_b32 s19, s18
	s_cbranch_execnz .LBB327_175
.LBB327_168:                            ;   in Loop: Header=BB327_74 Depth=2
	s_or_b32 exec_lo, exec_lo, s19
	s_and_saveexec_b32 s18, s17
	s_cbranch_execz .LBB327_176
.LBB327_169:                            ;   in Loop: Header=BB327_74 Depth=2
	v_lshlrev_b32_e32 v2, 2, v84
	v_add_nc_u32_e32 v20, v35, v52
	ds_load_b32 v2, v2
	ds_load_b64 v[20:21], v20 offset:12288
	s_waitcnt lgkmcnt(1)
	v_add_nc_u32_e32 v2, v2, v37
	s_delay_alu instid0(VALU_DEP_1) | instskip(NEXT) | instid1(VALU_DEP_1)
	v_lshlrev_b64 v[23:24], 3, v[2:3]
	v_add_co_u32 v23, s17, s44, v23
	s_delay_alu instid0(VALU_DEP_1)
	v_add_co_ci_u32_e64 v24, s17, s45, v24, s17
	s_waitcnt lgkmcnt(0)
	global_store_b64 v[23:24], v[20:21], off
	s_or_b32 exec_lo, exec_lo, s18
	s_and_saveexec_b32 s17, vcc_lo
	s_cbranch_execnz .LBB327_177
	s_branch .LBB327_178
.LBB327_170:                            ;   in Loop: Header=BB327_74 Depth=2
	s_or_b32 exec_lo, exec_lo, s24
	s_and_saveexec_b32 s24, s23
	s_cbranch_execz .LBB327_164
.LBB327_171:                            ;   in Loop: Header=BB327_74 Depth=2
	v_lshlrev_b32_e32 v2, 2, v89
	v_add_nc_u32_e32 v20, v35, v52
	ds_load_b32 v2, v2
	ds_load_b64 v[20:21], v20 offset:2048
	s_waitcnt lgkmcnt(1)
	v_add_nc_u32_e32 v2, v2, v29
	s_delay_alu instid0(VALU_DEP_1) | instskip(NEXT) | instid1(VALU_DEP_1)
	v_lshlrev_b64 v[23:24], 3, v[2:3]
	v_add_co_u32 v23, s22, s44, v23
	s_delay_alu instid0(VALU_DEP_1)
	v_add_co_ci_u32_e64 v24, s22, s45, v24, s22
	s_waitcnt lgkmcnt(0)
	global_store_b64 v[23:24], v[20:21], off
	s_or_b32 exec_lo, exec_lo, s24
	s_and_saveexec_b32 s22, s21
	s_cbranch_execnz .LBB327_165
.LBB327_172:                            ;   in Loop: Header=BB327_74 Depth=2
	s_or_b32 exec_lo, exec_lo, s22
	s_and_saveexec_b32 s21, s20
	s_cbranch_execz .LBB327_166
.LBB327_173:                            ;   in Loop: Header=BB327_74 Depth=2
	v_lshlrev_b32_e32 v2, 2, v87
	v_add_nc_u32_e32 v20, v35, v52
	ds_load_b32 v2, v2
	ds_load_b64 v[20:21], v20 offset:6144
	s_waitcnt lgkmcnt(1)
	v_add_nc_u32_e32 v2, v2, v31
	s_delay_alu instid0(VALU_DEP_1) | instskip(NEXT) | instid1(VALU_DEP_1)
	v_lshlrev_b64 v[23:24], 3, v[2:3]
	v_add_co_u32 v23, s20, s44, v23
	s_delay_alu instid0(VALU_DEP_1)
	v_add_co_ci_u32_e64 v24, s20, s45, v24, s20
	s_waitcnt lgkmcnt(0)
	global_store_b64 v[23:24], v[20:21], off
	s_or_b32 exec_lo, exec_lo, s21
	s_and_saveexec_b32 s20, s19
	s_cbranch_execnz .LBB327_167
.LBB327_174:                            ;   in Loop: Header=BB327_74 Depth=2
	s_or_b32 exec_lo, exec_lo, s20
	s_and_saveexec_b32 s19, s18
	s_cbranch_execz .LBB327_168
.LBB327_175:                            ;   in Loop: Header=BB327_74 Depth=2
	v_lshlrev_b32_e32 v2, 2, v85
	v_add_nc_u32_e32 v20, v35, v52
	ds_load_b32 v2, v2
	ds_load_b64 v[20:21], v20 offset:10240
	s_waitcnt lgkmcnt(1)
	v_add_nc_u32_e32 v2, v2, v36
	s_delay_alu instid0(VALU_DEP_1) | instskip(NEXT) | instid1(VALU_DEP_1)
	v_lshlrev_b64 v[23:24], 3, v[2:3]
	v_add_co_u32 v23, s18, s44, v23
	s_delay_alu instid0(VALU_DEP_1)
	v_add_co_ci_u32_e64 v24, s18, s45, v24, s18
	s_waitcnt lgkmcnt(0)
	global_store_b64 v[23:24], v[20:21], off
	s_or_b32 exec_lo, exec_lo, s19
	s_and_saveexec_b32 s18, s17
	s_cbranch_execnz .LBB327_169
.LBB327_176:                            ;   in Loop: Header=BB327_74 Depth=2
	s_or_b32 exec_lo, exec_lo, s18
	s_and_saveexec_b32 s17, vcc_lo
	s_cbranch_execz .LBB327_178
.LBB327_177:                            ;   in Loop: Header=BB327_74 Depth=2
	v_lshlrev_b32_e32 v2, 2, v83
	v_add_nc_u32_e32 v20, v35, v52
	ds_load_b32 v2, v2
	ds_load_b64 v[20:21], v20 offset:14336
	s_waitcnt lgkmcnt(1)
	v_add_nc_u32_e32 v2, v2, v39
	s_delay_alu instid0(VALU_DEP_1) | instskip(NEXT) | instid1(VALU_DEP_1)
	v_lshlrev_b64 v[23:24], 3, v[2:3]
	v_add_co_u32 v23, vcc_lo, s44, v23
	s_delay_alu instid0(VALU_DEP_2)
	v_add_co_ci_u32_e32 v24, vcc_lo, s45, v24, vcc_lo
	s_waitcnt lgkmcnt(0)
	global_store_b64 v[23:24], v[20:21], off
.LBB327_178:                            ;   in Loop: Header=BB327_74 Depth=2
	s_or_b32 exec_lo, exec_lo, s17
	s_waitcnt_vscnt null, 0x0
	s_barrier
	buffer_gl0_inv
	s_and_saveexec_b32 s17, s2
	s_cbranch_execz .LBB327_73
; %bb.179:                              ;   in Loop: Header=BB327_74 Depth=2
	ds_load_b32 v2, v28
	s_waitcnt lgkmcnt(0)
	v_add_nc_u32_e32 v2, v2, v22
	ds_store_b32 v28, v2
	s_branch .LBB327_73
.LBB327_180:                            ;   in Loop: Header=BB327_74 Depth=2
	s_or_b32 exec_lo, exec_lo, s17
	s_delay_alu instid0(SALU_CYCLE_1)
	s_mov_b32 s17, exec_lo
	v_cmpx_gt_u32_e64 s35, v73
	s_cbranch_execz .LBB327_80
.LBB327_181:                            ;   in Loop: Header=BB327_74 Depth=2
	global_load_u8 v93, v[20:21], off offset:32
	s_or_b32 exec_lo, exec_lo, s17
	s_delay_alu instid0(SALU_CYCLE_1)
	s_mov_b32 s17, exec_lo
	v_cmpx_gt_u32_e64 s35, v74
	s_cbranch_execnz .LBB327_81
.LBB327_182:                            ;   in Loop: Header=BB327_74 Depth=2
	s_or_b32 exec_lo, exec_lo, s17
	s_delay_alu instid0(SALU_CYCLE_1)
	s_mov_b32 s17, exec_lo
	v_cmpx_gt_u32_e64 s35, v75
	s_cbranch_execz .LBB327_82
.LBB327_183:                            ;   in Loop: Header=BB327_74 Depth=2
	global_load_u8 v26, v[20:21], off offset:96
	s_or_b32 exec_lo, exec_lo, s17
	s_delay_alu instid0(SALU_CYCLE_1)
	s_mov_b32 s17, exec_lo
	v_cmpx_gt_u32_e64 s35, v76
	s_cbranch_execnz .LBB327_83
.LBB327_184:                            ;   in Loop: Header=BB327_74 Depth=2
	s_or_b32 exec_lo, exec_lo, s17
	s_delay_alu instid0(SALU_CYCLE_1)
	s_mov_b32 s17, exec_lo
	v_cmpx_gt_u32_e64 s35, v77
	s_cbranch_execz .LBB327_84
.LBB327_185:                            ;   in Loop: Header=BB327_74 Depth=2
	global_load_u8 v24, v[20:21], off offset:160
	s_or_b32 exec_lo, exec_lo, s17
	s_delay_alu instid0(SALU_CYCLE_1)
	s_mov_b32 s17, exec_lo
	v_cmpx_gt_u32_e64 s35, v78
	s_cbranch_execnz .LBB327_85
	s_branch .LBB327_86
.LBB327_186:                            ;   in Loop: Header=BB327_20 Depth=1
	s_waitcnt lgkmcnt(0)
	s_mov_b32 s0, 0
	s_barrier
.LBB327_187:                            ;   in Loop: Header=BB327_20 Depth=1
	s_and_b32 vcc_lo, exec_lo, s0
	s_cbranch_vccz .LBB327_353
; %bb.188:                              ;   in Loop: Header=BB327_20 Depth=1
	s_mov_b32 s0, s34
	s_mov_b32 s9, s28
	s_barrier
	buffer_gl0_inv
                                        ; implicit-def: $vgpr2
                                        ; implicit-def: $vgpr6
                                        ; implicit-def: $vgpr7
                                        ; implicit-def: $vgpr8
                                        ; implicit-def: $vgpr9
                                        ; implicit-def: $vgpr10
                                        ; implicit-def: $vgpr11
                                        ; implicit-def: $vgpr12
	s_branch .LBB327_190
.LBB327_189:                            ;   in Loop: Header=BB327_190 Depth=2
	s_or_b32 exec_lo, exec_lo, s8
	s_addk_i32 s0, 0xf800
	s_cmp_ge_u32 s1, s29
	s_mov_b32 s9, s1
	s_cbranch_scc1 .LBB327_228
.LBB327_190:                            ;   Parent Loop BB327_20 Depth=1
                                        ; =>  This Inner Loop Header: Depth=2
	s_add_i32 s1, s9, 0x800
	s_delay_alu instid0(SALU_CYCLE_1)
	s_cmp_gt_u32 s1, s29
	s_cbranch_scc1 .LBB327_193
; %bb.191:                              ;   in Loop: Header=BB327_190 Depth=2
	v_add_co_u32 v4, vcc_lo, v53, s9
	v_add_co_ci_u32_e32 v5, vcc_lo, 0, v54, vcc_lo
	s_mov_b32 s8, -1
	s_movk_i32 s12, 0x800
	s_clause 0x6
	global_load_u8 v20, v[4:5], off offset:1536
	global_load_u8 v19, v[4:5], off offset:1280
	;; [unrolled: 1-line block ×6, first 2 shown]
	global_load_u8 v14, v[4:5], off
	v_add_co_u32 v4, vcc_lo, 0x700, v4
	v_add_co_ci_u32_e32 v5, vcc_lo, 0, v5, vcc_lo
	s_cbranch_execz .LBB327_194
; %bb.192:                              ;   in Loop: Header=BB327_190 Depth=2
                                        ; implicit-def: $vgpr2
                                        ; implicit-def: $vgpr6
                                        ; implicit-def: $vgpr7
                                        ; implicit-def: $vgpr8
                                        ; implicit-def: $vgpr9
                                        ; implicit-def: $vgpr10
                                        ; implicit-def: $vgpr11
                                        ; implicit-def: $vgpr12
	v_mov_b32_e32 v13, s0
	s_and_saveexec_b32 s9, s8
	s_cbranch_execnz .LBB327_205
	s_branch .LBB327_206
.LBB327_193:                            ;   in Loop: Header=BB327_190 Depth=2
	s_mov_b32 s8, 0
                                        ; implicit-def: $sgpr12
                                        ; implicit-def: $vgpr14
                                        ; implicit-def: $vgpr15
                                        ; implicit-def: $vgpr16
                                        ; implicit-def: $vgpr17
                                        ; implicit-def: $vgpr18
                                        ; implicit-def: $vgpr19
                                        ; implicit-def: $vgpr20
                                        ; implicit-def: $vgpr4_vgpr5
.LBB327_194:                            ;   in Loop: Header=BB327_190 Depth=2
	s_add_u32 s10, s38, s9
	s_addc_u32 s11, s39, 0
	s_mov_b32 s12, exec_lo
	v_cmpx_gt_u32_e64 s0, v1
	s_cbranch_execz .LBB327_222
; %bb.195:                              ;   in Loop: Header=BB327_190 Depth=2
	v_add_co_u32 v4, s13, s10, v1
	s_delay_alu instid0(VALU_DEP_1) | instskip(SKIP_2) | instid1(SALU_CYCLE_1)
	v_add_co_ci_u32_e64 v5, null, s11, 0, s13
	global_load_u8 v2, v[4:5], off
	s_or_b32 exec_lo, exec_lo, s12
	s_mov_b32 s12, exec_lo
	v_cmpx_gt_u32_e64 s0, v29
	s_cbranch_execnz .LBB327_223
.LBB327_196:                            ;   in Loop: Header=BB327_190 Depth=2
	s_or_b32 exec_lo, exec_lo, s12
	s_delay_alu instid0(SALU_CYCLE_1)
	s_mov_b32 s12, exec_lo
	v_cmpx_gt_u32_e64 s0, v30
	s_cbranch_execz .LBB327_224
.LBB327_197:                            ;   in Loop: Header=BB327_190 Depth=2
	v_add_co_u32 v4, s13, s10, v1
	s_delay_alu instid0(VALU_DEP_1) | instskip(SKIP_2) | instid1(SALU_CYCLE_1)
	v_add_co_ci_u32_e64 v5, null, s11, 0, s13
	global_load_u8 v7, v[4:5], off offset:512
	s_or_b32 exec_lo, exec_lo, s12
	s_mov_b32 s12, exec_lo
	v_cmpx_gt_u32_e64 s0, v31
	s_cbranch_execnz .LBB327_225
.LBB327_198:                            ;   in Loop: Header=BB327_190 Depth=2
	s_or_b32 exec_lo, exec_lo, s12
	s_delay_alu instid0(SALU_CYCLE_1)
	s_mov_b32 s12, exec_lo
	v_cmpx_gt_u32_e64 s0, v35
	s_cbranch_execz .LBB327_226
.LBB327_199:                            ;   in Loop: Header=BB327_190 Depth=2
	v_add_co_u32 v4, s13, s10, v1
	s_delay_alu instid0(VALU_DEP_1) | instskip(SKIP_2) | instid1(SALU_CYCLE_1)
	v_add_co_ci_u32_e64 v5, null, s11, 0, s13
	global_load_u8 v9, v[4:5], off offset:1024
	s_or_b32 exec_lo, exec_lo, s12
	s_mov_b32 s12, exec_lo
	v_cmpx_gt_u32_e64 s0, v36
	s_cbranch_execnz .LBB327_227
.LBB327_200:                            ;   in Loop: Header=BB327_190 Depth=2
	s_or_b32 exec_lo, exec_lo, s12
	s_delay_alu instid0(SALU_CYCLE_1)
	s_mov_b32 s12, exec_lo
	v_cmpx_gt_u32_e64 s0, v37
	s_cbranch_execz .LBB327_202
.LBB327_201:                            ;   in Loop: Header=BB327_190 Depth=2
	v_add_co_u32 v4, s13, s10, v1
	s_delay_alu instid0(VALU_DEP_1)
	v_add_co_ci_u32_e64 v5, null, s11, 0, s13
	global_load_u8 v11, v[4:5], off offset:1536
.LBB327_202:                            ;   in Loop: Header=BB327_190 Depth=2
	s_or_b32 exec_lo, exec_lo, s12
	s_delay_alu instid0(SALU_CYCLE_1)
	s_mov_b32 s13, exec_lo
                                        ; implicit-def: $sgpr12
                                        ; implicit-def: $vgpr4_vgpr5
	v_cmpx_gt_u32_e64 s0, v39
; %bb.203:                              ;   in Loop: Header=BB327_190 Depth=2
	v_add_co_u32 v4, s10, s10, v1
	s_delay_alu instid0(VALU_DEP_1) | instskip(SKIP_1) | instid1(VALU_DEP_2)
	v_add_co_ci_u32_e64 v5, null, s11, 0, s10
	s_sub_i32 s12, s29, s9
	v_add_co_u32 v4, vcc_lo, 0x700, v4
	s_delay_alu instid0(VALU_DEP_2)
	v_add_co_ci_u32_e32 v5, vcc_lo, 0, v5, vcc_lo
	s_or_b32 s8, s8, exec_lo
                                        ; implicit-def: $vgpr12
; %bb.204:                              ;   in Loop: Header=BB327_190 Depth=2
	s_or_b32 exec_lo, exec_lo, s13
	s_waitcnt vmcnt(0)
	v_dual_mov_b32 v14, v2 :: v_dual_mov_b32 v17, v8
	v_dual_mov_b32 v15, v6 :: v_dual_mov_b32 v16, v7
	;; [unrolled: 1-line block ×4, first 2 shown]
	s_and_saveexec_b32 s9, s8
	s_cbranch_execz .LBB327_206
.LBB327_205:                            ;   in Loop: Header=BB327_190 Depth=2
	global_load_u8 v12, v[4:5], off
	s_waitcnt vmcnt(1)
	v_dual_mov_b32 v13, s12 :: v_dual_mov_b32 v2, v14
	v_dual_mov_b32 v6, v15 :: v_dual_mov_b32 v7, v16
	;; [unrolled: 1-line block ×4, first 2 shown]
.LBB327_206:                            ;   in Loop: Header=BB327_190 Depth=2
	s_or_b32 exec_lo, exec_lo, s9
	s_delay_alu instid0(SALU_CYCLE_1)
	s_mov_b32 s8, exec_lo
	v_cmpx_lt_u32_e64 v1, v13
	s_cbranch_execz .LBB327_214
; %bb.207:                              ;   in Loop: Header=BB327_190 Depth=2
	v_xor_b32_e32 v4, 0x7f, v2
	v_lshlrev_b32_e32 v5, 2, v32
	s_delay_alu instid0(VALU_DEP_2) | instskip(NEXT) | instid1(VALU_DEP_1)
	v_and_b32_e32 v4, 0xff, v4
	v_lshrrev_b32_e32 v4, s30, v4
	s_delay_alu instid0(VALU_DEP_1) | instskip(NEXT) | instid1(VALU_DEP_1)
	v_and_b32_e32 v4, s31, v4
	v_lshl_or_b32 v4, v4, 4, v5
	ds_add_u32 v4, v66
	s_or_b32 exec_lo, exec_lo, s8
	s_delay_alu instid0(SALU_CYCLE_1)
	s_mov_b32 s8, exec_lo
	v_cmpx_lt_u32_e64 v29, v13
	s_cbranch_execnz .LBB327_215
.LBB327_208:                            ;   in Loop: Header=BB327_190 Depth=2
	s_or_b32 exec_lo, exec_lo, s8
	s_delay_alu instid0(SALU_CYCLE_1)
	s_mov_b32 s8, exec_lo
	v_cmpx_lt_u32_e64 v30, v13
	s_cbranch_execz .LBB327_216
.LBB327_209:                            ;   in Loop: Header=BB327_190 Depth=2
	v_xor_b32_e32 v4, 0x7f, v7
	v_lshlrev_b32_e32 v5, 2, v32
	s_delay_alu instid0(VALU_DEP_2) | instskip(NEXT) | instid1(VALU_DEP_1)
	v_and_b32_e32 v4, 0xff, v4
	v_lshrrev_b32_e32 v4, s30, v4
	s_delay_alu instid0(VALU_DEP_1) | instskip(NEXT) | instid1(VALU_DEP_1)
	v_and_b32_e32 v4, s31, v4
	v_lshl_or_b32 v4, v4, 4, v5
	ds_add_u32 v4, v66
	s_or_b32 exec_lo, exec_lo, s8
	s_delay_alu instid0(SALU_CYCLE_1)
	s_mov_b32 s8, exec_lo
	v_cmpx_lt_u32_e64 v31, v13
	s_cbranch_execnz .LBB327_217
.LBB327_210:                            ;   in Loop: Header=BB327_190 Depth=2
	s_or_b32 exec_lo, exec_lo, s8
	s_delay_alu instid0(SALU_CYCLE_1)
	s_mov_b32 s8, exec_lo
	v_cmpx_lt_u32_e64 v35, v13
	s_cbranch_execz .LBB327_218
.LBB327_211:                            ;   in Loop: Header=BB327_190 Depth=2
	v_xor_b32_e32 v4, 0x7f, v9
	v_lshlrev_b32_e32 v5, 2, v32
	s_delay_alu instid0(VALU_DEP_2) | instskip(NEXT) | instid1(VALU_DEP_1)
	v_and_b32_e32 v4, 0xff, v4
	v_lshrrev_b32_e32 v4, s30, v4
	s_delay_alu instid0(VALU_DEP_1) | instskip(NEXT) | instid1(VALU_DEP_1)
	v_and_b32_e32 v4, s31, v4
	v_lshl_or_b32 v4, v4, 4, v5
	ds_add_u32 v4, v66
	s_or_b32 exec_lo, exec_lo, s8
	s_delay_alu instid0(SALU_CYCLE_1)
	s_mov_b32 s8, exec_lo
	v_cmpx_lt_u32_e64 v36, v13
	s_cbranch_execnz .LBB327_219
.LBB327_212:                            ;   in Loop: Header=BB327_190 Depth=2
	s_or_b32 exec_lo, exec_lo, s8
	s_delay_alu instid0(SALU_CYCLE_1)
	s_mov_b32 s8, exec_lo
	v_cmpx_lt_u32_e64 v37, v13
	s_cbranch_execz .LBB327_220
.LBB327_213:                            ;   in Loop: Header=BB327_190 Depth=2
	v_xor_b32_e32 v4, 0x7f, v11
	v_lshlrev_b32_e32 v5, 2, v32
	s_delay_alu instid0(VALU_DEP_2) | instskip(NEXT) | instid1(VALU_DEP_1)
	v_and_b32_e32 v4, 0xff, v4
	v_lshrrev_b32_e32 v4, s30, v4
	s_delay_alu instid0(VALU_DEP_1) | instskip(NEXT) | instid1(VALU_DEP_1)
	v_and_b32_e32 v4, s31, v4
	v_lshl_or_b32 v4, v4, 4, v5
	ds_add_u32 v4, v66
	s_or_b32 exec_lo, exec_lo, s8
	s_delay_alu instid0(SALU_CYCLE_1)
	s_mov_b32 s8, exec_lo
	v_cmpx_lt_u32_e64 v39, v13
	s_cbranch_execz .LBB327_189
	s_branch .LBB327_221
.LBB327_214:                            ;   in Loop: Header=BB327_190 Depth=2
	s_or_b32 exec_lo, exec_lo, s8
	s_delay_alu instid0(SALU_CYCLE_1)
	s_mov_b32 s8, exec_lo
	v_cmpx_lt_u32_e64 v29, v13
	s_cbranch_execz .LBB327_208
.LBB327_215:                            ;   in Loop: Header=BB327_190 Depth=2
	v_xor_b32_e32 v4, 0x7f, v6
	v_lshlrev_b32_e32 v5, 2, v32
	s_delay_alu instid0(VALU_DEP_2) | instskip(NEXT) | instid1(VALU_DEP_1)
	v_and_b32_e32 v4, 0xff, v4
	v_lshrrev_b32_e32 v4, s30, v4
	s_delay_alu instid0(VALU_DEP_1) | instskip(NEXT) | instid1(VALU_DEP_1)
	v_and_b32_e32 v4, s31, v4
	v_lshl_or_b32 v4, v4, 4, v5
	ds_add_u32 v4, v66
	s_or_b32 exec_lo, exec_lo, s8
	s_delay_alu instid0(SALU_CYCLE_1)
	s_mov_b32 s8, exec_lo
	v_cmpx_lt_u32_e64 v30, v13
	s_cbranch_execnz .LBB327_209
.LBB327_216:                            ;   in Loop: Header=BB327_190 Depth=2
	s_or_b32 exec_lo, exec_lo, s8
	s_delay_alu instid0(SALU_CYCLE_1)
	s_mov_b32 s8, exec_lo
	v_cmpx_lt_u32_e64 v31, v13
	s_cbranch_execz .LBB327_210
.LBB327_217:                            ;   in Loop: Header=BB327_190 Depth=2
	v_xor_b32_e32 v4, 0x7f, v8
	v_lshlrev_b32_e32 v5, 2, v32
	s_delay_alu instid0(VALU_DEP_2) | instskip(NEXT) | instid1(VALU_DEP_1)
	v_and_b32_e32 v4, 0xff, v4
	v_lshrrev_b32_e32 v4, s30, v4
	s_delay_alu instid0(VALU_DEP_1) | instskip(NEXT) | instid1(VALU_DEP_1)
	v_and_b32_e32 v4, s31, v4
	v_lshl_or_b32 v4, v4, 4, v5
	ds_add_u32 v4, v66
	s_or_b32 exec_lo, exec_lo, s8
	s_delay_alu instid0(SALU_CYCLE_1)
	s_mov_b32 s8, exec_lo
	v_cmpx_lt_u32_e64 v35, v13
	s_cbranch_execnz .LBB327_211
.LBB327_218:                            ;   in Loop: Header=BB327_190 Depth=2
	s_or_b32 exec_lo, exec_lo, s8
	s_delay_alu instid0(SALU_CYCLE_1)
	s_mov_b32 s8, exec_lo
	v_cmpx_lt_u32_e64 v36, v13
	s_cbranch_execz .LBB327_212
.LBB327_219:                            ;   in Loop: Header=BB327_190 Depth=2
	v_xor_b32_e32 v4, 0x7f, v10
	v_lshlrev_b32_e32 v5, 2, v32
	s_delay_alu instid0(VALU_DEP_2) | instskip(NEXT) | instid1(VALU_DEP_1)
	v_and_b32_e32 v4, 0xff, v4
	v_lshrrev_b32_e32 v4, s30, v4
	s_delay_alu instid0(VALU_DEP_1) | instskip(NEXT) | instid1(VALU_DEP_1)
	v_and_b32_e32 v4, s31, v4
	v_lshl_or_b32 v4, v4, 4, v5
	ds_add_u32 v4, v66
	s_or_b32 exec_lo, exec_lo, s8
	s_delay_alu instid0(SALU_CYCLE_1)
	s_mov_b32 s8, exec_lo
	v_cmpx_lt_u32_e64 v37, v13
	s_cbranch_execnz .LBB327_213
.LBB327_220:                            ;   in Loop: Header=BB327_190 Depth=2
	s_or_b32 exec_lo, exec_lo, s8
	s_delay_alu instid0(SALU_CYCLE_1)
	s_mov_b32 s8, exec_lo
	v_cmpx_lt_u32_e64 v39, v13
	s_cbranch_execz .LBB327_189
.LBB327_221:                            ;   in Loop: Header=BB327_190 Depth=2
	s_waitcnt vmcnt(0)
	v_xor_b32_e32 v4, 0x7f, v12
	v_lshlrev_b32_e32 v5, 2, v32
	s_delay_alu instid0(VALU_DEP_2) | instskip(NEXT) | instid1(VALU_DEP_1)
	v_and_b32_e32 v4, 0xff, v4
	v_lshrrev_b32_e32 v4, s30, v4
	s_delay_alu instid0(VALU_DEP_1) | instskip(NEXT) | instid1(VALU_DEP_1)
	v_and_b32_e32 v4, s31, v4
	v_lshl_or_b32 v4, v4, 4, v5
	ds_add_u32 v4, v66
	s_branch .LBB327_189
.LBB327_222:                            ;   in Loop: Header=BB327_190 Depth=2
	s_or_b32 exec_lo, exec_lo, s12
	s_delay_alu instid0(SALU_CYCLE_1)
	s_mov_b32 s12, exec_lo
	v_cmpx_gt_u32_e64 s0, v29
	s_cbranch_execz .LBB327_196
.LBB327_223:                            ;   in Loop: Header=BB327_190 Depth=2
	v_add_co_u32 v4, s13, s10, v1
	s_delay_alu instid0(VALU_DEP_1) | instskip(SKIP_2) | instid1(SALU_CYCLE_1)
	v_add_co_ci_u32_e64 v5, null, s11, 0, s13
	global_load_u8 v6, v[4:5], off offset:256
	s_or_b32 exec_lo, exec_lo, s12
	s_mov_b32 s12, exec_lo
	v_cmpx_gt_u32_e64 s0, v30
	s_cbranch_execnz .LBB327_197
.LBB327_224:                            ;   in Loop: Header=BB327_190 Depth=2
	s_or_b32 exec_lo, exec_lo, s12
	s_delay_alu instid0(SALU_CYCLE_1)
	s_mov_b32 s12, exec_lo
	v_cmpx_gt_u32_e64 s0, v31
	s_cbranch_execz .LBB327_198
.LBB327_225:                            ;   in Loop: Header=BB327_190 Depth=2
	v_add_co_u32 v4, s13, s10, v1
	s_delay_alu instid0(VALU_DEP_1) | instskip(SKIP_2) | instid1(SALU_CYCLE_1)
	v_add_co_ci_u32_e64 v5, null, s11, 0, s13
	global_load_u8 v8, v[4:5], off offset:768
	s_or_b32 exec_lo, exec_lo, s12
	s_mov_b32 s12, exec_lo
	v_cmpx_gt_u32_e64 s0, v35
	s_cbranch_execnz .LBB327_199
.LBB327_226:                            ;   in Loop: Header=BB327_190 Depth=2
	s_or_b32 exec_lo, exec_lo, s12
	s_delay_alu instid0(SALU_CYCLE_1)
	s_mov_b32 s12, exec_lo
	v_cmpx_gt_u32_e64 s0, v36
	s_cbranch_execz .LBB327_200
.LBB327_227:                            ;   in Loop: Header=BB327_190 Depth=2
	v_add_co_u32 v4, s13, s10, v1
	s_delay_alu instid0(VALU_DEP_1) | instskip(SKIP_2) | instid1(SALU_CYCLE_1)
	v_add_co_ci_u32_e64 v5, null, s11, 0, s13
	global_load_u8 v10, v[4:5], off offset:1280
	s_or_b32 exec_lo, exec_lo, s12
	s_mov_b32 s12, exec_lo
	v_cmpx_gt_u32_e64 s0, v37
	s_cbranch_execz .LBB327_202
	s_branch .LBB327_201
.LBB327_228:                            ;   in Loop: Header=BB327_20 Depth=1
	v_mov_b32_e32 v2, 0
	s_waitcnt vmcnt(0) lgkmcnt(0)
	s_barrier
	buffer_gl0_inv
	s_and_saveexec_b32 s0, s2
	s_cbranch_execz .LBB327_230
; %bb.229:                              ;   in Loop: Header=BB327_20 Depth=1
	ds_load_2addr_b64 v[4:7], v40 offset1:1
	s_waitcnt lgkmcnt(0)
	v_add_nc_u32_e32 v2, v5, v4
	s_delay_alu instid0(VALU_DEP_1)
	v_add3_u32 v2, v2, v6, v7
.LBB327_230:                            ;   in Loop: Header=BB327_20 Depth=1
	s_or_b32 exec_lo, exec_lo, s0
	v_and_b32_e32 v4, 15, v63
	s_delay_alu instid0(VALU_DEP_2) | instskip(SKIP_1) | instid1(VALU_DEP_3)
	v_mov_b32_dpp v5, v2 row_shr:1 row_mask:0xf bank_mask:0xf
	v_and_b32_e32 v6, 16, v63
	v_cmp_eq_u32_e64 s0, 0, v4
	v_cmp_lt_u32_e64 s1, 1, v4
	v_cmp_lt_u32_e64 s8, 3, v4
	;; [unrolled: 1-line block ×3, first 2 shown]
	v_cmp_eq_u32_e64 s10, 0, v6
	v_cndmask_b32_e64 v5, v5, 0, s0
	s_delay_alu instid0(VALU_DEP_1) | instskip(NEXT) | instid1(VALU_DEP_1)
	v_add_nc_u32_e32 v2, v5, v2
	v_mov_b32_dpp v5, v2 row_shr:2 row_mask:0xf bank_mask:0xf
	s_delay_alu instid0(VALU_DEP_1) | instskip(NEXT) | instid1(VALU_DEP_1)
	v_cndmask_b32_e64 v5, 0, v5, s1
	v_add_nc_u32_e32 v2, v2, v5
	s_delay_alu instid0(VALU_DEP_1) | instskip(NEXT) | instid1(VALU_DEP_1)
	v_mov_b32_dpp v5, v2 row_shr:4 row_mask:0xf bank_mask:0xf
	v_cndmask_b32_e64 v5, 0, v5, s8
	s_delay_alu instid0(VALU_DEP_1) | instskip(NEXT) | instid1(VALU_DEP_1)
	v_add_nc_u32_e32 v2, v2, v5
	v_mov_b32_dpp v5, v2 row_shr:8 row_mask:0xf bank_mask:0xf
	s_delay_alu instid0(VALU_DEP_1) | instskip(SKIP_1) | instid1(VALU_DEP_2)
	v_cndmask_b32_e64 v4, 0, v5, s9
	v_bfe_i32 v5, v63, 4, 1
	v_add_nc_u32_e32 v2, v2, v4
	ds_swizzle_b32 v4, v2 offset:swizzle(BROADCAST,32,15)
	s_waitcnt lgkmcnt(0)
	v_and_b32_e32 v4, v5, v4
	s_delay_alu instid0(VALU_DEP_1)
	v_add_nc_u32_e32 v4, v2, v4
	s_and_saveexec_b32 s11, s3
	s_cbranch_execz .LBB327_232
; %bb.231:                              ;   in Loop: Header=BB327_20 Depth=1
	ds_store_b32 v41, v4
.LBB327_232:                            ;   in Loop: Header=BB327_20 Depth=1
	s_or_b32 exec_lo, exec_lo, s11
	v_and_b32_e32 v2, 7, v63
	s_waitcnt lgkmcnt(0)
	s_barrier
	buffer_gl0_inv
	s_and_saveexec_b32 s11, s4
	s_cbranch_execz .LBB327_234
; %bb.233:                              ;   in Loop: Header=BB327_20 Depth=1
	ds_load_b32 v5, v42
	v_cmp_ne_u32_e32 vcc_lo, 0, v2
	s_waitcnt lgkmcnt(0)
	v_mov_b32_dpp v6, v5 row_shr:1 row_mask:0xf bank_mask:0xf
	s_delay_alu instid0(VALU_DEP_1) | instskip(SKIP_1) | instid1(VALU_DEP_2)
	v_cndmask_b32_e32 v6, 0, v6, vcc_lo
	v_cmp_lt_u32_e32 vcc_lo, 1, v2
	v_add_nc_u32_e32 v5, v6, v5
	s_delay_alu instid0(VALU_DEP_1) | instskip(NEXT) | instid1(VALU_DEP_1)
	v_mov_b32_dpp v6, v5 row_shr:2 row_mask:0xf bank_mask:0xf
	v_cndmask_b32_e32 v6, 0, v6, vcc_lo
	v_cmp_lt_u32_e32 vcc_lo, 3, v2
	s_delay_alu instid0(VALU_DEP_2) | instskip(NEXT) | instid1(VALU_DEP_1)
	v_add_nc_u32_e32 v5, v5, v6
	v_mov_b32_dpp v6, v5 row_shr:4 row_mask:0xf bank_mask:0xf
	s_delay_alu instid0(VALU_DEP_1) | instskip(NEXT) | instid1(VALU_DEP_1)
	v_cndmask_b32_e32 v6, 0, v6, vcc_lo
	v_add_nc_u32_e32 v5, v5, v6
	ds_store_b32 v42, v5
.LBB327_234:                            ;   in Loop: Header=BB327_20 Depth=1
	s_or_b32 exec_lo, exec_lo, s11
	v_mov_b32_e32 v5, 0
	s_waitcnt lgkmcnt(0)
	s_barrier
	buffer_gl0_inv
	s_and_saveexec_b32 s11, s5
	s_cbranch_execz .LBB327_236
; %bb.235:                              ;   in Loop: Header=BB327_20 Depth=1
	ds_load_b32 v5, v43
.LBB327_236:                            ;   in Loop: Header=BB327_20 Depth=1
	s_or_b32 exec_lo, exec_lo, s11
	v_add_nc_u32_e32 v6, -1, v63
	s_waitcnt lgkmcnt(0)
	v_add_nc_u32_e32 v4, v5, v4
	v_cmp_eq_u32_e64 s11, 0, v63
	s_barrier
	v_cmp_gt_i32_e32 vcc_lo, 0, v6
	buffer_gl0_inv
	v_cndmask_b32_e32 v6, v6, v63, vcc_lo
	s_delay_alu instid0(VALU_DEP_1)
	v_lshlrev_b32_e32 v69, 2, v6
	ds_bpermute_b32 v4, v69, v4
	s_and_saveexec_b32 s12, s2
	s_cbranch_execz .LBB327_238
; %bb.237:                              ;   in Loop: Header=BB327_20 Depth=1
	s_waitcnt lgkmcnt(0)
	v_cndmask_b32_e64 v4, v4, v5, s11
	s_delay_alu instid0(VALU_DEP_1)
	v_add_nc_u32_e32 v4, s28, v4
	ds_store_b32 v28, v4
.LBB327_238:                            ;   in Loop: Header=BB327_20 Depth=1
	s_or_b32 exec_lo, exec_lo, s12
	s_load_b64 s[12:13], s[26:27], 0x0
	v_add_co_u32 v71, vcc_lo, v57, v63
	v_add_co_ci_u32_e32 v72, vcc_lo, 0, v58, vcc_lo
	v_or_b32_e32 v70, v63, v44
	s_mov_b32 s35, s34
	s_mov_b32 s24, s28
                                        ; implicit-def: $vgpr8_vgpr9
                                        ; implicit-def: $vgpr10_vgpr11
                                        ; implicit-def: $vgpr12_vgpr13
                                        ; implicit-def: $vgpr14_vgpr15
                                        ; implicit-def: $vgpr16_vgpr17
                                        ; implicit-def: $vgpr18_vgpr19
                                        ; implicit-def: $vgpr85
                                        ; implicit-def: $vgpr86
                                        ; implicit-def: $vgpr87
                                        ; implicit-def: $vgpr88
                                        ; implicit-def: $vgpr89
                                        ; implicit-def: $vgpr90
                                        ; implicit-def: $vgpr91
                                        ; implicit-def: $vgpr92
	s_delay_alu instid0(VALU_DEP_1)
	v_or_b32_e32 v75, 32, v70
	v_or_b32_e32 v76, 64, v70
	;; [unrolled: 1-line block ×7, first 2 shown]
	s_waitcnt lgkmcnt(0)
	s_cmp_lt_u32 s15, s13
	s_cselect_b32 s13, 14, 20
	s_delay_alu instid0(SALU_CYCLE_1) | instskip(SKIP_4) | instid1(SALU_CYCLE_1)
	s_add_u32 s16, s26, s13
	s_addc_u32 s17, s27, 0
	s_cmp_lt_u32 s14, s12
	global_load_u16 v4, v3, s[16:17]
	s_cselect_b32 s12, 12, 18
	s_add_u32 s12, s26, s12
	s_addc_u32 s13, s27, 0
	global_load_u16 v6, v3, s[12:13]
	v_cmp_eq_u32_e64 s12, 0, v2
	v_cmp_lt_u32_e64 s13, 1, v2
	v_cmp_lt_u32_e64 s16, 3, v2
	v_lshlrev_b32_e32 v2, 3, v63
	s_delay_alu instid0(VALU_DEP_1)
	v_add_co_u32 v73, vcc_lo, v55, v2
	v_add_co_ci_u32_e32 v74, vcc_lo, 0, v56, vcc_lo
	v_add_co_u32 v83, vcc_lo, 0xe0, v71
	v_add_co_ci_u32_e32 v84, vcc_lo, 0, v72, vcc_lo
	s_waitcnt vmcnt(1)
	v_mad_u32_u24 v7, v45, v4, v0
	s_waitcnt vmcnt(0)
	s_delay_alu instid0(VALU_DEP_1) | instskip(NEXT) | instid1(VALU_DEP_1)
	v_mad_u64_u32 v[4:5], null, v7, v6, v[1:2]
                                        ; implicit-def: $vgpr6_vgpr7
	v_lshrrev_b32_e32 v82, 5, v4
                                        ; implicit-def: $vgpr4_vgpr5
	s_branch .LBB327_240
.LBB327_239:                            ;   in Loop: Header=BB327_240 Depth=2
	s_or_b32 exec_lo, exec_lo, s17
	s_addk_i32 s35, 0xf800
	s_cmp_lt_u32 s42, s29
	s_mov_b32 s24, s42
	s_cbranch_scc0 .LBB327_352
.LBB327_240:                            ;   Parent Loop BB327_20 Depth=1
                                        ; =>  This Inner Loop Header: Depth=2
	s_add_i32 s42, s24, 0x800
	s_delay_alu instid0(SALU_CYCLE_1)
	s_cmp_gt_u32 s42, s29
	s_cbranch_scc1 .LBB327_243
; %bb.241:                              ;   in Loop: Header=BB327_240 Depth=2
	v_add_co_u32 v20, vcc_lo, v71, s24
	v_add_co_ci_u32_e32 v21, vcc_lo, 0, v72, vcc_lo
	s_mov_b32 s19, 0
	s_mov_b32 s18, s24
	s_mov_b32 s20, -1
	s_clause 0x6
	global_load_u8 v23, v[20:21], off offset:192
	global_load_u8 v24, v[20:21], off offset:160
	;; [unrolled: 1-line block ×6, first 2 shown]
	global_load_u8 v93, v[20:21], off
	s_movk_i32 s17, 0x800
	s_cbranch_execz .LBB327_244
; %bb.242:                              ;   in Loop: Header=BB327_240 Depth=2
                                        ; implicit-def: $vgpr22
	v_mov_b32_e32 v2, s35
	s_and_saveexec_b32 s21, s20
	s_cbranch_execnz .LBB327_253
	s_branch .LBB327_254
.LBB327_243:                            ;   in Loop: Header=BB327_240 Depth=2
	s_mov_b32 s19, -1
	s_mov_b32 s20, 0
                                        ; implicit-def: $sgpr17
                                        ; implicit-def: $vgpr93
                                        ; implicit-def: $vgpr95
                                        ; implicit-def: $vgpr27
                                        ; implicit-def: $vgpr26
                                        ; implicit-def: $vgpr25
                                        ; implicit-def: $vgpr24
                                        ; implicit-def: $vgpr23
.LBB327_244:                            ;   in Loop: Header=BB327_240 Depth=2
	v_add_co_u32 v20, vcc_lo, v71, s24
	v_add_co_ci_u32_e32 v21, vcc_lo, 0, v72, vcc_lo
	s_waitcnt vmcnt(0)
	v_dual_mov_b32 v93, 0x80 :: v_dual_mov_b32 v22, 0x80
	v_dual_mov_b32 v95, 0x80 :: v_dual_mov_b32 v26, 0x80
	;; [unrolled: 1-line block ×3, first 2 shown]
	v_mov_b32_e32 v25, 0x80
	v_mov_b32_e32 v23, 0x80
	s_mov_b32 s17, exec_lo
	v_cmpx_gt_u32_e64 s35, v70
	s_cbranch_execz .LBB327_346
; %bb.245:                              ;   in Loop: Header=BB327_240 Depth=2
	global_load_u8 v93, v[20:21], off
	v_dual_mov_b32 v95, 0x80 :: v_dual_mov_b32 v26, 0x80
	v_dual_mov_b32 v27, 0x80 :: v_dual_mov_b32 v24, 0x80
	;; [unrolled: 1-line block ×3, first 2 shown]
	v_mov_b32_e32 v23, 0x80
	s_or_b32 exec_lo, exec_lo, s17
	s_delay_alu instid0(SALU_CYCLE_1)
	s_mov_b32 s17, exec_lo
	v_cmpx_gt_u32_e64 s35, v75
	s_cbranch_execnz .LBB327_347
.LBB327_246:                            ;   in Loop: Header=BB327_240 Depth=2
	s_or_b32 exec_lo, exec_lo, s17
	s_delay_alu instid0(SALU_CYCLE_1)
	s_mov_b32 s17, exec_lo
	v_cmpx_gt_u32_e64 s35, v76
	s_cbranch_execz .LBB327_348
.LBB327_247:                            ;   in Loop: Header=BB327_240 Depth=2
	global_load_u8 v27, v[20:21], off offset:64
	s_or_b32 exec_lo, exec_lo, s17
	s_delay_alu instid0(SALU_CYCLE_1)
	s_mov_b32 s17, exec_lo
	v_cmpx_gt_u32_e64 s35, v77
	s_cbranch_execnz .LBB327_349
.LBB327_248:                            ;   in Loop: Header=BB327_240 Depth=2
	s_or_b32 exec_lo, exec_lo, s17
	s_delay_alu instid0(SALU_CYCLE_1)
	s_mov_b32 s17, exec_lo
	v_cmpx_gt_u32_e64 s35, v78
	s_cbranch_execz .LBB327_350
.LBB327_249:                            ;   in Loop: Header=BB327_240 Depth=2
	global_load_u8 v25, v[20:21], off offset:128
	s_or_b32 exec_lo, exec_lo, s17
	s_delay_alu instid0(SALU_CYCLE_1)
	s_mov_b32 s17, exec_lo
	v_cmpx_gt_u32_e64 s35, v79
	s_cbranch_execnz .LBB327_351
.LBB327_250:                            ;   in Loop: Header=BB327_240 Depth=2
	s_or_b32 exec_lo, exec_lo, s17
	s_delay_alu instid0(SALU_CYCLE_1)
	s_mov_b32 s17, exec_lo
	v_cmpx_gt_u32_e64 s35, v80
	s_cbranch_execz .LBB327_252
.LBB327_251:                            ;   in Loop: Header=BB327_240 Depth=2
	global_load_u8 v23, v[20:21], off offset:192
.LBB327_252:                            ;   in Loop: Header=BB327_240 Depth=2
	s_or_b32 exec_lo, exec_lo, s17
	v_cmp_gt_u32_e64 s20, s35, v81
	s_sub_i32 s17, s29, s24
	s_mov_b64 s[18:19], s[24:25]
	v_mov_b32_e32 v2, s35
	s_delay_alu instid0(VALU_DEP_2)
	s_and_saveexec_b32 s21, s20
	s_cbranch_execz .LBB327_254
.LBB327_253:                            ;   in Loop: Header=BB327_240 Depth=2
	v_add_co_u32 v20, vcc_lo, v83, s18
	v_add_co_ci_u32_e32 v21, vcc_lo, s19, v84, vcc_lo
	v_mov_b32_e32 v2, s17
	global_load_u8 v22, v[20:21], off
.LBB327_254:                            ;   in Loop: Header=BB327_240 Depth=2
	s_or_b32 exec_lo, exec_lo, s21
	s_waitcnt vmcnt(0)
	v_xor_b32_e32 v93, 0x7f, v93
	ds_store_b32 v46, v3 offset:1056
	ds_store_2addr_b32 v47, v3, v3 offset0:1 offset1:2
	ds_store_2addr_b32 v47, v3, v3 offset0:3 offset1:4
	;; [unrolled: 1-line block ×4, first 2 shown]
	s_waitcnt lgkmcnt(0)
	s_barrier
	v_and_b32_e32 v20, 0xff, v93
	buffer_gl0_inv
	; wave barrier
	v_lshrrev_b32_e32 v20, s30, v20
	s_delay_alu instid0(VALU_DEP_1) | instskip(NEXT) | instid1(VALU_DEP_1)
	v_and_b32_e32 v21, s31, v20
	v_and_b32_e32 v20, 1, v21
	v_lshlrev_b32_e32 v94, 30, v21
	v_lshlrev_b32_e32 v96, 29, v21
	;; [unrolled: 1-line block ×4, first 2 shown]
	v_add_co_u32 v20, s17, v20, -1
	s_delay_alu instid0(VALU_DEP_1)
	v_cndmask_b32_e64 v98, 0, 1, s17
	v_not_b32_e32 v102, v94
	v_cmp_gt_i32_e64 s17, 0, v94
	v_not_b32_e32 v94, v96
	v_lshlrev_b32_e32 v100, 26, v21
	v_cmp_ne_u32_e32 vcc_lo, 0, v98
	v_ashrrev_i32_e32 v102, 31, v102
	v_lshlrev_b32_e32 v101, 25, v21
	v_ashrrev_i32_e32 v94, 31, v94
	v_lshlrev_b32_e32 v98, 24, v21
	v_xor_b32_e32 v20, vcc_lo, v20
	v_cmp_gt_i32_e32 vcc_lo, 0, v96
	v_not_b32_e32 v96, v97
	v_xor_b32_e32 v102, s17, v102
	v_cmp_gt_i32_e64 s17, 0, v97
	v_and_b32_e32 v20, exec_lo, v20
	v_not_b32_e32 v97, v99
	v_ashrrev_i32_e32 v96, 31, v96
	v_xor_b32_e32 v94, vcc_lo, v94
	v_cmp_gt_i32_e32 vcc_lo, 0, v99
	v_and_b32_e32 v20, v20, v102
	v_not_b32_e32 v99, v100
	v_ashrrev_i32_e32 v97, 31, v97
	v_xor_b32_e32 v96, s17, v96
	v_cmp_gt_i32_e64 s17, 0, v100
	v_and_b32_e32 v20, v20, v94
	v_not_b32_e32 v94, v101
	v_ashrrev_i32_e32 v99, 31, v99
	v_xor_b32_e32 v97, vcc_lo, v97
	v_cmp_gt_i32_e32 vcc_lo, 0, v101
	v_and_b32_e32 v20, v20, v96
	v_not_b32_e32 v96, v98
	v_ashrrev_i32_e32 v94, 31, v94
	v_xor_b32_e32 v99, s17, v99
	v_cmp_gt_i32_e64 s17, 0, v98
	v_and_b32_e32 v20, v20, v97
	v_ashrrev_i32_e32 v96, 31, v96
	v_xor_b32_e32 v94, vcc_lo, v94
	v_mad_u32_u24 v21, v21, 9, v82
	s_delay_alu instid0(VALU_DEP_4) | instskip(NEXT) | instid1(VALU_DEP_4)
	v_and_b32_e32 v20, v20, v99
	v_xor_b32_e32 v96, s17, v96
	s_delay_alu instid0(VALU_DEP_2) | instskip(NEXT) | instid1(VALU_DEP_1)
	v_and_b32_e32 v20, v20, v94
	v_and_b32_e32 v20, v20, v96
	v_lshl_add_u32 v96, v21, 2, 0x420
	s_delay_alu instid0(VALU_DEP_2) | instskip(SKIP_1) | instid1(VALU_DEP_2)
	v_mbcnt_lo_u32_b32 v94, v20, 0
	v_cmp_ne_u32_e64 s17, 0, v20
	v_cmp_eq_u32_e32 vcc_lo, 0, v94
	s_delay_alu instid0(VALU_DEP_2) | instskip(NEXT) | instid1(SALU_CYCLE_1)
	s_and_b32 s18, s17, vcc_lo
	s_and_saveexec_b32 s17, s18
	s_cbranch_execz .LBB327_256
; %bb.255:                              ;   in Loop: Header=BB327_240 Depth=2
	v_bcnt_u32_b32 v20, v20, 0
	ds_store_b32 v96, v20
.LBB327_256:                            ;   in Loop: Header=BB327_240 Depth=2
	s_or_b32 exec_lo, exec_lo, s17
	v_xor_b32_e32 v95, 0x7f, v95
	; wave barrier
	s_delay_alu instid0(VALU_DEP_1) | instskip(NEXT) | instid1(VALU_DEP_1)
	v_and_b32_e32 v20, 0xff, v95
	v_lshrrev_b32_e32 v20, s30, v20
	s_delay_alu instid0(VALU_DEP_1) | instskip(NEXT) | instid1(VALU_DEP_1)
	v_and_b32_e32 v20, s31, v20
	v_and_b32_e32 v21, 1, v20
	v_lshlrev_b32_e32 v97, 30, v20
	v_lshlrev_b32_e32 v98, 29, v20
	;; [unrolled: 1-line block ×4, first 2 shown]
	v_add_co_u32 v21, s17, v21, -1
	s_delay_alu instid0(VALU_DEP_1)
	v_cndmask_b32_e64 v100, 0, 1, s17
	v_not_b32_e32 v104, v97
	v_cmp_gt_i32_e64 s17, 0, v97
	v_not_b32_e32 v97, v98
	v_lshlrev_b32_e32 v102, 26, v20
	v_cmp_ne_u32_e32 vcc_lo, 0, v100
	v_ashrrev_i32_e32 v104, 31, v104
	v_lshlrev_b32_e32 v103, 25, v20
	v_ashrrev_i32_e32 v97, 31, v97
	v_lshlrev_b32_e32 v100, 24, v20
	v_xor_b32_e32 v21, vcc_lo, v21
	v_cmp_gt_i32_e32 vcc_lo, 0, v98
	v_not_b32_e32 v98, v99
	v_xor_b32_e32 v104, s17, v104
	v_cmp_gt_i32_e64 s17, 0, v99
	v_and_b32_e32 v21, exec_lo, v21
	v_not_b32_e32 v99, v101
	v_ashrrev_i32_e32 v98, 31, v98
	v_xor_b32_e32 v97, vcc_lo, v97
	v_cmp_gt_i32_e32 vcc_lo, 0, v101
	v_and_b32_e32 v21, v21, v104
	v_not_b32_e32 v101, v102
	v_ashrrev_i32_e32 v99, 31, v99
	v_xor_b32_e32 v98, s17, v98
	v_cmp_gt_i32_e64 s17, 0, v102
	v_and_b32_e32 v21, v21, v97
	v_not_b32_e32 v97, v103
	v_ashrrev_i32_e32 v101, 31, v101
	v_xor_b32_e32 v99, vcc_lo, v99
	v_cmp_gt_i32_e32 vcc_lo, 0, v103
	v_and_b32_e32 v21, v21, v98
	v_not_b32_e32 v98, v100
	v_ashrrev_i32_e32 v97, 31, v97
	v_xor_b32_e32 v101, s17, v101
	v_mul_u32_u24_e32 v20, 9, v20
	v_and_b32_e32 v21, v21, v99
	v_cmp_gt_i32_e64 s17, 0, v100
	v_ashrrev_i32_e32 v98, 31, v98
	v_xor_b32_e32 v97, vcc_lo, v97
	v_add_lshl_u32 v99, v20, v82, 2
	v_and_b32_e32 v21, v21, v101
	s_delay_alu instid0(VALU_DEP_4) | instskip(NEXT) | instid1(VALU_DEP_3)
	v_xor_b32_e32 v20, s17, v98
	v_add_nc_u32_e32 v100, 0x420, v99
	s_delay_alu instid0(VALU_DEP_3) | instskip(SKIP_2) | instid1(VALU_DEP_1)
	v_and_b32_e32 v21, v21, v97
	ds_load_b32 v97, v99 offset:1056
	; wave barrier
	v_and_b32_e32 v20, v21, v20
	v_mbcnt_lo_u32_b32 v98, v20, 0
	v_cmp_ne_u32_e64 s17, 0, v20
	s_delay_alu instid0(VALU_DEP_2) | instskip(NEXT) | instid1(VALU_DEP_2)
	v_cmp_eq_u32_e32 vcc_lo, 0, v98
	s_and_b32 s18, s17, vcc_lo
	s_delay_alu instid0(SALU_CYCLE_1)
	s_and_saveexec_b32 s17, s18
	s_cbranch_execz .LBB327_258
; %bb.257:                              ;   in Loop: Header=BB327_240 Depth=2
	s_waitcnt lgkmcnt(0)
	v_bcnt_u32_b32 v20, v20, v97
	ds_store_b32 v100, v20
.LBB327_258:                            ;   in Loop: Header=BB327_240 Depth=2
	s_or_b32 exec_lo, exec_lo, s17
	v_xor_b32_e32 v99, 0x7f, v27
	; wave barrier
	s_delay_alu instid0(VALU_DEP_1) | instskip(NEXT) | instid1(VALU_DEP_1)
	v_and_b32_e32 v20, 0xff, v99
	v_lshrrev_b32_e32 v20, s30, v20
	s_delay_alu instid0(VALU_DEP_1) | instskip(NEXT) | instid1(VALU_DEP_1)
	v_and_b32_e32 v20, s31, v20
	v_and_b32_e32 v21, 1, v20
	v_lshlrev_b32_e32 v27, 30, v20
	v_lshlrev_b32_e32 v101, 29, v20
	;; [unrolled: 1-line block ×4, first 2 shown]
	v_add_co_u32 v21, s17, v21, -1
	s_delay_alu instid0(VALU_DEP_1)
	v_cndmask_b32_e64 v103, 0, 1, s17
	v_not_b32_e32 v107, v27
	v_cmp_gt_i32_e64 s17, 0, v27
	v_not_b32_e32 v27, v101
	v_lshlrev_b32_e32 v105, 26, v20
	v_cmp_ne_u32_e32 vcc_lo, 0, v103
	v_ashrrev_i32_e32 v107, 31, v107
	v_lshlrev_b32_e32 v106, 25, v20
	v_ashrrev_i32_e32 v27, 31, v27
	v_lshlrev_b32_e32 v103, 24, v20
	v_xor_b32_e32 v21, vcc_lo, v21
	v_cmp_gt_i32_e32 vcc_lo, 0, v101
	v_not_b32_e32 v101, v102
	v_xor_b32_e32 v107, s17, v107
	v_cmp_gt_i32_e64 s17, 0, v102
	v_and_b32_e32 v21, exec_lo, v21
	v_not_b32_e32 v102, v104
	v_ashrrev_i32_e32 v101, 31, v101
	v_xor_b32_e32 v27, vcc_lo, v27
	v_cmp_gt_i32_e32 vcc_lo, 0, v104
	v_and_b32_e32 v21, v21, v107
	v_not_b32_e32 v104, v105
	v_ashrrev_i32_e32 v102, 31, v102
	v_xor_b32_e32 v101, s17, v101
	v_cmp_gt_i32_e64 s17, 0, v105
	v_and_b32_e32 v21, v21, v27
	v_not_b32_e32 v27, v106
	v_ashrrev_i32_e32 v104, 31, v104
	v_xor_b32_e32 v102, vcc_lo, v102
	v_cmp_gt_i32_e32 vcc_lo, 0, v106
	v_and_b32_e32 v21, v21, v101
	v_not_b32_e32 v101, v103
	v_ashrrev_i32_e32 v27, 31, v27
	v_xor_b32_e32 v104, s17, v104
	v_mul_u32_u24_e32 v20, 9, v20
	v_and_b32_e32 v21, v21, v102
	v_cmp_gt_i32_e64 s17, 0, v103
	v_ashrrev_i32_e32 v101, 31, v101
	v_xor_b32_e32 v27, vcc_lo, v27
	v_add_lshl_u32 v103, v20, v82, 2
	v_and_b32_e32 v21, v21, v104
	s_delay_alu instid0(VALU_DEP_4) | instskip(SKIP_3) | instid1(VALU_DEP_2)
	v_xor_b32_e32 v20, s17, v101
	ds_load_b32 v101, v103 offset:1056
	v_and_b32_e32 v21, v21, v27
	v_add_nc_u32_e32 v104, 0x420, v103
	; wave barrier
	v_and_b32_e32 v20, v21, v20
	s_delay_alu instid0(VALU_DEP_1) | instskip(SKIP_1) | instid1(VALU_DEP_2)
	v_mbcnt_lo_u32_b32 v102, v20, 0
	v_cmp_ne_u32_e64 s17, 0, v20
	v_cmp_eq_u32_e32 vcc_lo, 0, v102
	s_delay_alu instid0(VALU_DEP_2) | instskip(NEXT) | instid1(SALU_CYCLE_1)
	s_and_b32 s18, s17, vcc_lo
	s_and_saveexec_b32 s17, s18
	s_cbranch_execz .LBB327_260
; %bb.259:                              ;   in Loop: Header=BB327_240 Depth=2
	s_waitcnt lgkmcnt(0)
	v_bcnt_u32_b32 v20, v20, v101
	ds_store_b32 v104, v20
.LBB327_260:                            ;   in Loop: Header=BB327_240 Depth=2
	s_or_b32 exec_lo, exec_lo, s17
	v_xor_b32_e32 v103, 0x7f, v26
	; wave barrier
	s_delay_alu instid0(VALU_DEP_1) | instskip(NEXT) | instid1(VALU_DEP_1)
	v_and_b32_e32 v20, 0xff, v103
	v_lshrrev_b32_e32 v20, s30, v20
	s_delay_alu instid0(VALU_DEP_1) | instskip(NEXT) | instid1(VALU_DEP_1)
	v_and_b32_e32 v20, s31, v20
	v_and_b32_e32 v21, 1, v20
	v_lshlrev_b32_e32 v26, 30, v20
	v_lshlrev_b32_e32 v27, 29, v20
	;; [unrolled: 1-line block ×4, first 2 shown]
	v_add_co_u32 v21, s17, v21, -1
	s_delay_alu instid0(VALU_DEP_1)
	v_cndmask_b32_e64 v106, 0, 1, s17
	v_not_b32_e32 v110, v26
	v_cmp_gt_i32_e64 s17, 0, v26
	v_not_b32_e32 v26, v27
	v_lshlrev_b32_e32 v108, 26, v20
	v_cmp_ne_u32_e32 vcc_lo, 0, v106
	v_ashrrev_i32_e32 v110, 31, v110
	v_lshlrev_b32_e32 v109, 25, v20
	v_ashrrev_i32_e32 v26, 31, v26
	v_lshlrev_b32_e32 v106, 24, v20
	v_xor_b32_e32 v21, vcc_lo, v21
	v_cmp_gt_i32_e32 vcc_lo, 0, v27
	v_not_b32_e32 v27, v105
	v_xor_b32_e32 v110, s17, v110
	v_cmp_gt_i32_e64 s17, 0, v105
	v_and_b32_e32 v21, exec_lo, v21
	v_not_b32_e32 v105, v107
	v_ashrrev_i32_e32 v27, 31, v27
	v_xor_b32_e32 v26, vcc_lo, v26
	v_cmp_gt_i32_e32 vcc_lo, 0, v107
	v_and_b32_e32 v21, v21, v110
	v_not_b32_e32 v107, v108
	v_ashrrev_i32_e32 v105, 31, v105
	v_xor_b32_e32 v27, s17, v27
	v_cmp_gt_i32_e64 s17, 0, v108
	v_and_b32_e32 v21, v21, v26
	v_not_b32_e32 v26, v109
	v_ashrrev_i32_e32 v107, 31, v107
	v_xor_b32_e32 v105, vcc_lo, v105
	v_cmp_gt_i32_e32 vcc_lo, 0, v109
	v_and_b32_e32 v21, v21, v27
	v_not_b32_e32 v27, v106
	v_ashrrev_i32_e32 v26, 31, v26
	v_xor_b32_e32 v107, s17, v107
	v_mul_u32_u24_e32 v20, 9, v20
	v_and_b32_e32 v21, v21, v105
	v_cmp_gt_i32_e64 s17, 0, v106
	v_ashrrev_i32_e32 v27, 31, v27
	v_xor_b32_e32 v26, vcc_lo, v26
	s_delay_alu instid0(VALU_DEP_4) | instskip(SKIP_1) | instid1(VALU_DEP_4)
	v_and_b32_e32 v21, v21, v107
	v_add_lshl_u32 v107, v20, v82, 2
	v_xor_b32_e32 v20, s17, v27
	s_delay_alu instid0(VALU_DEP_3) | instskip(SKIP_3) | instid1(VALU_DEP_1)
	v_and_b32_e32 v21, v21, v26
	ds_load_b32 v105, v107 offset:1056
	v_add_nc_u32_e32 v108, 0x420, v107
	; wave barrier
	v_and_b32_e32 v20, v21, v20
	v_mbcnt_lo_u32_b32 v106, v20, 0
	v_cmp_ne_u32_e64 s17, 0, v20
	s_delay_alu instid0(VALU_DEP_2) | instskip(NEXT) | instid1(VALU_DEP_2)
	v_cmp_eq_u32_e32 vcc_lo, 0, v106
	s_and_b32 s18, s17, vcc_lo
	s_delay_alu instid0(SALU_CYCLE_1)
	s_and_saveexec_b32 s17, s18
	s_cbranch_execz .LBB327_262
; %bb.261:                              ;   in Loop: Header=BB327_240 Depth=2
	s_waitcnt lgkmcnt(0)
	v_bcnt_u32_b32 v20, v20, v105
	ds_store_b32 v108, v20
.LBB327_262:                            ;   in Loop: Header=BB327_240 Depth=2
	s_or_b32 exec_lo, exec_lo, s17
	v_xor_b32_e32 v107, 0x7f, v25
	; wave barrier
	s_delay_alu instid0(VALU_DEP_1) | instskip(NEXT) | instid1(VALU_DEP_1)
	v_and_b32_e32 v20, 0xff, v107
	v_lshrrev_b32_e32 v20, s30, v20
	s_delay_alu instid0(VALU_DEP_1) | instskip(NEXT) | instid1(VALU_DEP_1)
	v_and_b32_e32 v20, s31, v20
	v_and_b32_e32 v21, 1, v20
	v_lshlrev_b32_e32 v25, 30, v20
	v_lshlrev_b32_e32 v26, 29, v20
	;; [unrolled: 1-line block ×4, first 2 shown]
	v_add_co_u32 v21, s17, v21, -1
	s_delay_alu instid0(VALU_DEP_1)
	v_cndmask_b32_e64 v109, 0, 1, s17
	v_not_b32_e32 v113, v25
	v_cmp_gt_i32_e64 s17, 0, v25
	v_not_b32_e32 v25, v26
	v_lshlrev_b32_e32 v111, 26, v20
	v_cmp_ne_u32_e32 vcc_lo, 0, v109
	v_ashrrev_i32_e32 v113, 31, v113
	v_lshlrev_b32_e32 v112, 25, v20
	v_ashrrev_i32_e32 v25, 31, v25
	v_lshlrev_b32_e32 v109, 24, v20
	v_xor_b32_e32 v21, vcc_lo, v21
	v_cmp_gt_i32_e32 vcc_lo, 0, v26
	v_not_b32_e32 v26, v27
	v_xor_b32_e32 v113, s17, v113
	v_cmp_gt_i32_e64 s17, 0, v27
	v_and_b32_e32 v21, exec_lo, v21
	v_not_b32_e32 v27, v110
	v_ashrrev_i32_e32 v26, 31, v26
	v_xor_b32_e32 v25, vcc_lo, v25
	v_cmp_gt_i32_e32 vcc_lo, 0, v110
	v_and_b32_e32 v21, v21, v113
	v_not_b32_e32 v110, v111
	v_ashrrev_i32_e32 v27, 31, v27
	v_xor_b32_e32 v26, s17, v26
	v_cmp_gt_i32_e64 s17, 0, v111
	v_and_b32_e32 v21, v21, v25
	v_not_b32_e32 v25, v112
	v_ashrrev_i32_e32 v110, 31, v110
	v_xor_b32_e32 v27, vcc_lo, v27
	v_cmp_gt_i32_e32 vcc_lo, 0, v112
	v_and_b32_e32 v21, v21, v26
	v_not_b32_e32 v26, v109
	v_ashrrev_i32_e32 v25, 31, v25
	v_xor_b32_e32 v110, s17, v110
	v_mul_u32_u24_e32 v20, 9, v20
	v_and_b32_e32 v21, v21, v27
	v_cmp_gt_i32_e64 s17, 0, v109
	v_ashrrev_i32_e32 v26, 31, v26
	v_xor_b32_e32 v25, vcc_lo, v25
	v_add_lshl_u32 v27, v20, v82, 2
	v_and_b32_e32 v21, v21, v110
	s_delay_alu instid0(VALU_DEP_4) | instskip(SKIP_3) | instid1(VALU_DEP_2)
	v_xor_b32_e32 v20, s17, v26
	ds_load_b32 v109, v27 offset:1056
	v_and_b32_e32 v21, v21, v25
	v_add_nc_u32_e32 v112, 0x420, v27
	; wave barrier
	v_and_b32_e32 v20, v21, v20
	s_delay_alu instid0(VALU_DEP_1) | instskip(SKIP_1) | instid1(VALU_DEP_2)
	v_mbcnt_lo_u32_b32 v110, v20, 0
	v_cmp_ne_u32_e64 s17, 0, v20
	v_cmp_eq_u32_e32 vcc_lo, 0, v110
	s_delay_alu instid0(VALU_DEP_2) | instskip(NEXT) | instid1(SALU_CYCLE_1)
	s_and_b32 s18, s17, vcc_lo
	s_and_saveexec_b32 s17, s18
	s_cbranch_execz .LBB327_264
; %bb.263:                              ;   in Loop: Header=BB327_240 Depth=2
	s_waitcnt lgkmcnt(0)
	v_bcnt_u32_b32 v20, v20, v109
	ds_store_b32 v112, v20
.LBB327_264:                            ;   in Loop: Header=BB327_240 Depth=2
	s_or_b32 exec_lo, exec_lo, s17
	v_xor_b32_e32 v111, 0x7f, v24
	; wave barrier
	s_delay_alu instid0(VALU_DEP_1) | instskip(NEXT) | instid1(VALU_DEP_1)
	v_and_b32_e32 v20, 0xff, v111
	v_lshrrev_b32_e32 v20, s30, v20
	s_delay_alu instid0(VALU_DEP_1) | instskip(NEXT) | instid1(VALU_DEP_1)
	v_and_b32_e32 v20, s31, v20
	v_and_b32_e32 v21, 1, v20
	v_lshlrev_b32_e32 v24, 30, v20
	v_lshlrev_b32_e32 v25, 29, v20
	;; [unrolled: 1-line block ×4, first 2 shown]
	v_add_co_u32 v21, s17, v21, -1
	s_delay_alu instid0(VALU_DEP_1)
	v_cndmask_b32_e64 v27, 0, 1, s17
	v_not_b32_e32 v116, v24
	v_cmp_gt_i32_e64 s17, 0, v24
	v_not_b32_e32 v24, v25
	v_lshlrev_b32_e32 v114, 26, v20
	v_cmp_ne_u32_e32 vcc_lo, 0, v27
	v_ashrrev_i32_e32 v116, 31, v116
	v_lshlrev_b32_e32 v115, 25, v20
	v_ashrrev_i32_e32 v24, 31, v24
	v_lshlrev_b32_e32 v27, 24, v20
	v_xor_b32_e32 v21, vcc_lo, v21
	v_cmp_gt_i32_e32 vcc_lo, 0, v25
	v_not_b32_e32 v25, v26
	v_xor_b32_e32 v116, s17, v116
	v_cmp_gt_i32_e64 s17, 0, v26
	v_and_b32_e32 v21, exec_lo, v21
	v_not_b32_e32 v26, v113
	v_ashrrev_i32_e32 v25, 31, v25
	v_xor_b32_e32 v24, vcc_lo, v24
	v_cmp_gt_i32_e32 vcc_lo, 0, v113
	v_and_b32_e32 v21, v21, v116
	v_not_b32_e32 v113, v114
	v_ashrrev_i32_e32 v26, 31, v26
	v_xor_b32_e32 v25, s17, v25
	v_cmp_gt_i32_e64 s17, 0, v114
	v_and_b32_e32 v21, v21, v24
	v_not_b32_e32 v24, v115
	v_ashrrev_i32_e32 v113, 31, v113
	v_xor_b32_e32 v26, vcc_lo, v26
	v_cmp_gt_i32_e32 vcc_lo, 0, v115
	v_and_b32_e32 v21, v21, v25
	v_not_b32_e32 v25, v27
	v_ashrrev_i32_e32 v24, 31, v24
	v_xor_b32_e32 v113, s17, v113
	v_mul_u32_u24_e32 v20, 9, v20
	v_and_b32_e32 v21, v21, v26
	v_cmp_gt_i32_e64 s17, 0, v27
	v_ashrrev_i32_e32 v25, 31, v25
	v_xor_b32_e32 v24, vcc_lo, v24
	v_add_lshl_u32 v26, v20, v82, 2
	v_and_b32_e32 v21, v21, v113
	s_delay_alu instid0(VALU_DEP_4) | instskip(SKIP_3) | instid1(VALU_DEP_2)
	v_xor_b32_e32 v20, s17, v25
	ds_load_b32 v113, v26 offset:1056
	v_and_b32_e32 v21, v21, v24
	v_add_nc_u32_e32 v116, 0x420, v26
	; wave barrier
	v_and_b32_e32 v20, v21, v20
	s_delay_alu instid0(VALU_DEP_1) | instskip(SKIP_1) | instid1(VALU_DEP_2)
	v_mbcnt_lo_u32_b32 v114, v20, 0
	v_cmp_ne_u32_e64 s17, 0, v20
	v_cmp_eq_u32_e32 vcc_lo, 0, v114
	s_delay_alu instid0(VALU_DEP_2) | instskip(NEXT) | instid1(SALU_CYCLE_1)
	s_and_b32 s18, s17, vcc_lo
	s_and_saveexec_b32 s17, s18
	s_cbranch_execz .LBB327_266
; %bb.265:                              ;   in Loop: Header=BB327_240 Depth=2
	s_waitcnt lgkmcnt(0)
	v_bcnt_u32_b32 v20, v20, v113
	ds_store_b32 v116, v20
.LBB327_266:                            ;   in Loop: Header=BB327_240 Depth=2
	s_or_b32 exec_lo, exec_lo, s17
	v_xor_b32_e32 v115, 0x7f, v23
	; wave barrier
	s_delay_alu instid0(VALU_DEP_1) | instskip(NEXT) | instid1(VALU_DEP_1)
	v_and_b32_e32 v20, 0xff, v115
	v_lshrrev_b32_e32 v20, s30, v20
	s_delay_alu instid0(VALU_DEP_1) | instskip(NEXT) | instid1(VALU_DEP_1)
	v_and_b32_e32 v20, s31, v20
	v_and_b32_e32 v21, 1, v20
	v_lshlrev_b32_e32 v23, 30, v20
	v_lshlrev_b32_e32 v24, 29, v20
	;; [unrolled: 1-line block ×4, first 2 shown]
	v_add_co_u32 v21, s17, v21, -1
	s_delay_alu instid0(VALU_DEP_1)
	v_cndmask_b32_e64 v26, 0, 1, s17
	v_not_b32_e32 v119, v23
	v_cmp_gt_i32_e64 s17, 0, v23
	v_not_b32_e32 v23, v24
	v_lshlrev_b32_e32 v117, 26, v20
	v_cmp_ne_u32_e32 vcc_lo, 0, v26
	v_ashrrev_i32_e32 v119, 31, v119
	v_lshlrev_b32_e32 v118, 25, v20
	v_ashrrev_i32_e32 v23, 31, v23
	v_lshlrev_b32_e32 v26, 24, v20
	v_xor_b32_e32 v21, vcc_lo, v21
	v_cmp_gt_i32_e32 vcc_lo, 0, v24
	v_not_b32_e32 v24, v25
	v_xor_b32_e32 v119, s17, v119
	v_cmp_gt_i32_e64 s17, 0, v25
	v_and_b32_e32 v21, exec_lo, v21
	v_not_b32_e32 v25, v27
	v_ashrrev_i32_e32 v24, 31, v24
	v_xor_b32_e32 v23, vcc_lo, v23
	v_cmp_gt_i32_e32 vcc_lo, 0, v27
	v_and_b32_e32 v21, v21, v119
	v_not_b32_e32 v27, v117
	v_ashrrev_i32_e32 v25, 31, v25
	v_xor_b32_e32 v24, s17, v24
	v_cmp_gt_i32_e64 s17, 0, v117
	v_and_b32_e32 v21, v21, v23
	v_not_b32_e32 v23, v118
	v_ashrrev_i32_e32 v27, 31, v27
	v_xor_b32_e32 v25, vcc_lo, v25
	v_cmp_gt_i32_e32 vcc_lo, 0, v118
	v_and_b32_e32 v21, v21, v24
	v_not_b32_e32 v24, v26
	v_ashrrev_i32_e32 v23, 31, v23
	v_xor_b32_e32 v27, s17, v27
	v_mul_u32_u24_e32 v20, 9, v20
	v_and_b32_e32 v21, v21, v25
	v_cmp_gt_i32_e64 s17, 0, v26
	v_ashrrev_i32_e32 v24, 31, v24
	v_xor_b32_e32 v23, vcc_lo, v23
	v_add_lshl_u32 v25, v20, v82, 2
	v_and_b32_e32 v21, v21, v27
	s_delay_alu instid0(VALU_DEP_4) | instskip(SKIP_3) | instid1(VALU_DEP_2)
	v_xor_b32_e32 v20, s17, v24
	ds_load_b32 v117, v25 offset:1056
	v_and_b32_e32 v21, v21, v23
	v_add_nc_u32_e32 v120, 0x420, v25
	; wave barrier
	v_and_b32_e32 v20, v21, v20
	s_delay_alu instid0(VALU_DEP_1) | instskip(SKIP_1) | instid1(VALU_DEP_2)
	v_mbcnt_lo_u32_b32 v118, v20, 0
	v_cmp_ne_u32_e64 s17, 0, v20
	v_cmp_eq_u32_e32 vcc_lo, 0, v118
	s_delay_alu instid0(VALU_DEP_2) | instskip(NEXT) | instid1(SALU_CYCLE_1)
	s_and_b32 s18, s17, vcc_lo
	s_and_saveexec_b32 s17, s18
	s_cbranch_execz .LBB327_268
; %bb.267:                              ;   in Loop: Header=BB327_240 Depth=2
	s_waitcnt lgkmcnt(0)
	v_bcnt_u32_b32 v20, v20, v117
	ds_store_b32 v120, v20
.LBB327_268:                            ;   in Loop: Header=BB327_240 Depth=2
	s_or_b32 exec_lo, exec_lo, s17
	v_xor_b32_e32 v119, 0x7f, v22
	; wave barrier
	s_delay_alu instid0(VALU_DEP_1) | instskip(NEXT) | instid1(VALU_DEP_1)
	v_and_b32_e32 v20, 0xff, v119
	v_lshrrev_b32_e32 v20, s30, v20
	s_delay_alu instid0(VALU_DEP_1) | instskip(NEXT) | instid1(VALU_DEP_1)
	v_and_b32_e32 v20, s31, v20
	v_and_b32_e32 v21, 1, v20
	v_lshlrev_b32_e32 v22, 30, v20
	v_lshlrev_b32_e32 v23, 29, v20
	v_lshlrev_b32_e32 v24, 28, v20
	v_lshlrev_b32_e32 v26, 27, v20
	v_add_co_u32 v21, s17, v21, -1
	s_delay_alu instid0(VALU_DEP_1)
	v_cndmask_b32_e64 v25, 0, 1, s17
	v_not_b32_e32 v122, v22
	v_cmp_gt_i32_e64 s17, 0, v22
	v_not_b32_e32 v22, v23
	v_lshlrev_b32_e32 v27, 26, v20
	v_cmp_ne_u32_e32 vcc_lo, 0, v25
	v_ashrrev_i32_e32 v122, 31, v122
	v_lshlrev_b32_e32 v121, 25, v20
	v_ashrrev_i32_e32 v22, 31, v22
	v_lshlrev_b32_e32 v25, 24, v20
	v_xor_b32_e32 v21, vcc_lo, v21
	v_cmp_gt_i32_e32 vcc_lo, 0, v23
	v_not_b32_e32 v23, v24
	v_xor_b32_e32 v122, s17, v122
	v_cmp_gt_i32_e64 s17, 0, v24
	v_and_b32_e32 v21, exec_lo, v21
	v_not_b32_e32 v24, v26
	v_ashrrev_i32_e32 v23, 31, v23
	v_xor_b32_e32 v22, vcc_lo, v22
	v_cmp_gt_i32_e32 vcc_lo, 0, v26
	v_and_b32_e32 v21, v21, v122
	v_not_b32_e32 v26, v27
	v_ashrrev_i32_e32 v24, 31, v24
	v_xor_b32_e32 v23, s17, v23
	v_cmp_gt_i32_e64 s17, 0, v27
	v_and_b32_e32 v21, v21, v22
	v_not_b32_e32 v22, v121
	v_ashrrev_i32_e32 v26, 31, v26
	v_xor_b32_e32 v24, vcc_lo, v24
	v_cmp_gt_i32_e32 vcc_lo, 0, v121
	v_and_b32_e32 v21, v21, v23
	v_not_b32_e32 v23, v25
	v_ashrrev_i32_e32 v22, 31, v22
	v_xor_b32_e32 v26, s17, v26
	v_mul_u32_u24_e32 v20, 9, v20
	v_and_b32_e32 v21, v21, v24
	v_cmp_gt_i32_e64 s17, 0, v25
	v_ashrrev_i32_e32 v23, 31, v23
	v_xor_b32_e32 v22, vcc_lo, v22
	v_add_lshl_u32 v24, v20, v82, 2
	v_and_b32_e32 v21, v21, v26
	s_delay_alu instid0(VALU_DEP_4) | instskip(SKIP_3) | instid1(VALU_DEP_2)
	v_xor_b32_e32 v20, s17, v23
	ds_load_b32 v121, v24 offset:1056
	v_and_b32_e32 v21, v21, v22
	v_add_nc_u32_e32 v123, 0x420, v24
	; wave barrier
	v_and_b32_e32 v20, v21, v20
	s_delay_alu instid0(VALU_DEP_1) | instskip(SKIP_1) | instid1(VALU_DEP_2)
	v_mbcnt_lo_u32_b32 v122, v20, 0
	v_cmp_ne_u32_e64 s17, 0, v20
	v_cmp_eq_u32_e32 vcc_lo, 0, v122
	s_delay_alu instid0(VALU_DEP_2) | instskip(NEXT) | instid1(SALU_CYCLE_1)
	s_and_b32 s18, s17, vcc_lo
	s_and_saveexec_b32 s17, s18
	s_cbranch_execz .LBB327_270
; %bb.269:                              ;   in Loop: Header=BB327_240 Depth=2
	s_waitcnt lgkmcnt(0)
	v_bcnt_u32_b32 v20, v20, v121
	ds_store_b32 v123, v20
.LBB327_270:                            ;   in Loop: Header=BB327_240 Depth=2
	s_or_b32 exec_lo, exec_lo, s17
	; wave barrier
	s_waitcnt lgkmcnt(0)
	s_barrier
	buffer_gl0_inv
	ds_load_b32 v124, v46 offset:1056
	ds_load_2addr_b32 v[26:27], v47 offset0:1 offset1:2
	ds_load_2addr_b32 v[24:25], v47 offset0:3 offset1:4
	;; [unrolled: 1-line block ×4, first 2 shown]
	s_waitcnt lgkmcnt(3)
	v_add3_u32 v125, v26, v124, v27
	s_waitcnt lgkmcnt(2)
	s_delay_alu instid0(VALU_DEP_1) | instskip(SKIP_1) | instid1(VALU_DEP_1)
	v_add3_u32 v125, v125, v24, v25
	s_waitcnt lgkmcnt(1)
	v_add3_u32 v125, v125, v20, v21
	s_waitcnt lgkmcnt(0)
	s_delay_alu instid0(VALU_DEP_1) | instskip(NEXT) | instid1(VALU_DEP_1)
	v_add3_u32 v23, v125, v22, v23
	v_mov_b32_dpp v125, v23 row_shr:1 row_mask:0xf bank_mask:0xf
	s_delay_alu instid0(VALU_DEP_1) | instskip(NEXT) | instid1(VALU_DEP_1)
	v_cndmask_b32_e64 v125, v125, 0, s0
	v_add_nc_u32_e32 v23, v125, v23
	s_delay_alu instid0(VALU_DEP_1) | instskip(NEXT) | instid1(VALU_DEP_1)
	v_mov_b32_dpp v125, v23 row_shr:2 row_mask:0xf bank_mask:0xf
	v_cndmask_b32_e64 v125, 0, v125, s1
	s_delay_alu instid0(VALU_DEP_1) | instskip(NEXT) | instid1(VALU_DEP_1)
	v_add_nc_u32_e32 v23, v23, v125
	v_mov_b32_dpp v125, v23 row_shr:4 row_mask:0xf bank_mask:0xf
	s_delay_alu instid0(VALU_DEP_1) | instskip(NEXT) | instid1(VALU_DEP_1)
	v_cndmask_b32_e64 v125, 0, v125, s8
	v_add_nc_u32_e32 v23, v23, v125
	s_delay_alu instid0(VALU_DEP_1) | instskip(NEXT) | instid1(VALU_DEP_1)
	v_mov_b32_dpp v125, v23 row_shr:8 row_mask:0xf bank_mask:0xf
	v_cndmask_b32_e64 v125, 0, v125, s9
	s_delay_alu instid0(VALU_DEP_1) | instskip(SKIP_3) | instid1(VALU_DEP_1)
	v_add_nc_u32_e32 v23, v23, v125
	ds_swizzle_b32 v125, v23 offset:swizzle(BROADCAST,32,15)
	s_waitcnt lgkmcnt(0)
	v_cndmask_b32_e64 v125, v125, 0, s10
	v_add_nc_u32_e32 v23, v23, v125
	s_and_saveexec_b32 s17, s3
	s_cbranch_execz .LBB327_272
; %bb.271:                              ;   in Loop: Header=BB327_240 Depth=2
	ds_store_b32 v38, v23 offset:1024
.LBB327_272:                            ;   in Loop: Header=BB327_240 Depth=2
	s_or_b32 exec_lo, exec_lo, s17
	s_waitcnt lgkmcnt(0)
	s_barrier
	buffer_gl0_inv
	s_and_saveexec_b32 s17, s4
	s_cbranch_execz .LBB327_274
; %bb.273:                              ;   in Loop: Header=BB327_240 Depth=2
	v_add_nc_u32_e32 v125, v46, v48
	ds_load_b32 v126, v125 offset:1024
	s_waitcnt lgkmcnt(0)
	v_mov_b32_dpp v127, v126 row_shr:1 row_mask:0xf bank_mask:0xf
	s_delay_alu instid0(VALU_DEP_1) | instskip(NEXT) | instid1(VALU_DEP_1)
	v_cndmask_b32_e64 v127, v127, 0, s12
	v_add_nc_u32_e32 v126, v127, v126
	s_delay_alu instid0(VALU_DEP_1) | instskip(NEXT) | instid1(VALU_DEP_1)
	v_mov_b32_dpp v127, v126 row_shr:2 row_mask:0xf bank_mask:0xf
	v_cndmask_b32_e64 v127, 0, v127, s13
	s_delay_alu instid0(VALU_DEP_1) | instskip(NEXT) | instid1(VALU_DEP_1)
	v_add_nc_u32_e32 v126, v126, v127
	v_mov_b32_dpp v127, v126 row_shr:4 row_mask:0xf bank_mask:0xf
	s_delay_alu instid0(VALU_DEP_1) | instskip(NEXT) | instid1(VALU_DEP_1)
	v_cndmask_b32_e64 v127, 0, v127, s16
	v_add_nc_u32_e32 v126, v126, v127
	ds_store_b32 v125, v126 offset:1024
.LBB327_274:                            ;   in Loop: Header=BB327_240 Depth=2
	s_or_b32 exec_lo, exec_lo, s17
	v_mov_b32_e32 v125, 0
	s_waitcnt lgkmcnt(0)
	s_barrier
	buffer_gl0_inv
	s_and_saveexec_b32 s17, s5
	s_cbranch_execz .LBB327_276
; %bb.275:                              ;   in Loop: Header=BB327_240 Depth=2
	ds_load_b32 v125, v38 offset:1020
.LBB327_276:                            ;   in Loop: Header=BB327_240 Depth=2
	s_or_b32 exec_lo, exec_lo, s17
	s_waitcnt lgkmcnt(0)
	v_add_nc_u32_e32 v23, v125, v23
	ds_bpermute_b32 v23, v69, v23
	s_waitcnt lgkmcnt(0)
	v_cndmask_b32_e64 v23, v23, v125, s11
	s_delay_alu instid0(VALU_DEP_1) | instskip(NEXT) | instid1(VALU_DEP_1)
	v_cndmask_b32_e64 v23, v23, 0, s6
	v_add_nc_u32_e32 v124, v23, v124
	s_delay_alu instid0(VALU_DEP_1) | instskip(NEXT) | instid1(VALU_DEP_1)
	v_add_nc_u32_e32 v26, v124, v26
	v_add_nc_u32_e32 v27, v26, v27
	s_delay_alu instid0(VALU_DEP_1) | instskip(NEXT) | instid1(VALU_DEP_1)
	v_add_nc_u32_e32 v24, v27, v24
	;; [unrolled: 3-line block ×3, first 2 shown]
	v_add_nc_u32_e32 v21, v20, v21
	s_delay_alu instid0(VALU_DEP_1)
	v_add_nc_u32_e32 v22, v21, v22
	ds_store_b32 v46, v23 offset:1056
	ds_store_2addr_b32 v47, v124, v26 offset0:1 offset1:2
	ds_store_2addr_b32 v47, v27, v24 offset0:3 offset1:4
	;; [unrolled: 1-line block ×4, first 2 shown]
	v_mov_b32_e32 v22, 0x800
	s_waitcnt lgkmcnt(0)
	s_barrier
	buffer_gl0_inv
	ds_load_b32 v20, v100
	ds_load_b32 v21, v104
	;; [unrolled: 1-line block ×8, first 2 shown]
	ds_load_b32 v27, v46 offset:1056
	s_and_saveexec_b32 s17, s7
	s_cbranch_execz .LBB327_278
; %bb.277:                              ;   in Loop: Header=BB327_240 Depth=2
	ds_load_b32 v22, v49 offset:1056
.LBB327_278:                            ;   in Loop: Header=BB327_240 Depth=2
	s_or_b32 exec_lo, exec_lo, s17
	s_waitcnt lgkmcnt(0)
	s_barrier
	buffer_gl0_inv
	s_and_saveexec_b32 s17, s2
	s_cbranch_execz .LBB327_280
; %bb.279:                              ;   in Loop: Header=BB327_240 Depth=2
	ds_load_b32 v96, v28
	s_waitcnt lgkmcnt(0)
	v_sub_nc_u32_e32 v27, v96, v27
	ds_store_b32 v28, v27
.LBB327_280:                            ;   in Loop: Header=BB327_240 Depth=2
	s_or_b32 exec_lo, exec_lo, s17
	v_add_nc_u32_e32 v100, v26, v94
	v_add3_u32 v96, v98, v97, v20
	v_add3_u32 v94, v102, v101, v21
	;; [unrolled: 1-line block ×7, first 2 shown]
	v_cmp_lt_u32_e64 s22, v1, v2
	ds_store_b8 v100, v93 offset:1024
	ds_store_b8 v96, v95 offset:1024
	;; [unrolled: 1-line block ×8, first 2 shown]
	s_waitcnt lgkmcnt(0)
	s_barrier
	buffer_gl0_inv
	s_and_saveexec_b32 s17, s22
	s_cbranch_execz .LBB327_288
; %bb.281:                              ;   in Loop: Header=BB327_240 Depth=2
	ds_load_u8 v20, v1 offset:1024
	s_waitcnt lgkmcnt(0)
	v_and_b32_e32 v21, 0xff, v20
	v_xor_b32_e32 v20, 0x7f, v20
	s_delay_alu instid0(VALU_DEP_2) | instskip(NEXT) | instid1(VALU_DEP_1)
	v_lshrrev_b32_e32 v21, s30, v21
	v_and_b32_e32 v21, s31, v21
	s_delay_alu instid0(VALU_DEP_1)
	v_lshlrev_b32_e32 v21, 2, v21
	ds_load_b32 v21, v21
	s_waitcnt lgkmcnt(0)
	v_add_nc_u32_e32 v21, v21, v1
	global_store_b8 v21, v20, s[40:41]
	s_or_b32 exec_lo, exec_lo, s17
	v_cmp_lt_u32_e64 s23, v29, v2
	s_delay_alu instid0(VALU_DEP_1)
	s_and_saveexec_b32 s17, s23
	s_cbranch_execnz .LBB327_289
.LBB327_282:                            ;   in Loop: Header=BB327_240 Depth=2
	s_or_b32 exec_lo, exec_lo, s17
	v_cmp_lt_u32_e64 s21, v30, v2
	s_delay_alu instid0(VALU_DEP_1)
	s_and_saveexec_b32 s17, s21
	s_cbranch_execz .LBB327_290
.LBB327_283:                            ;   in Loop: Header=BB327_240 Depth=2
	ds_load_u8 v20, v35 offset:512
	s_waitcnt lgkmcnt(0)
	v_and_b32_e32 v21, 0xff, v20
	v_xor_b32_e32 v20, 0x7f, v20
	s_delay_alu instid0(VALU_DEP_2) | instskip(NEXT) | instid1(VALU_DEP_1)
	v_lshrrev_b32_e32 v21, s30, v21
	v_and_b32_e32 v21, s31, v21
	s_delay_alu instid0(VALU_DEP_1)
	v_lshlrev_b32_e32 v21, 2, v21
	ds_load_b32 v21, v21
	s_waitcnt lgkmcnt(0)
	v_add_nc_u32_e32 v21, v21, v30
	global_store_b8 v21, v20, s[40:41]
	s_or_b32 exec_lo, exec_lo, s17
	v_cmp_lt_u32_e64 s20, v31, v2
	s_delay_alu instid0(VALU_DEP_1)
	s_and_saveexec_b32 s17, s20
	s_cbranch_execnz .LBB327_291
.LBB327_284:                            ;   in Loop: Header=BB327_240 Depth=2
	s_or_b32 exec_lo, exec_lo, s17
	v_cmp_lt_u32_e64 s19, v35, v2
	s_delay_alu instid0(VALU_DEP_1)
	s_and_saveexec_b32 s17, s19
	s_cbranch_execz .LBB327_292
.LBB327_285:                            ;   in Loop: Header=BB327_240 Depth=2
	ds_load_u8 v20, v35 offset:1024
	s_waitcnt lgkmcnt(0)
	v_and_b32_e32 v21, 0xff, v20
	v_xor_b32_e32 v20, 0x7f, v20
	s_delay_alu instid0(VALU_DEP_2) | instskip(NEXT) | instid1(VALU_DEP_1)
	v_lshrrev_b32_e32 v21, s30, v21
	v_and_b32_e32 v21, s31, v21
	s_delay_alu instid0(VALU_DEP_1)
	v_lshlrev_b32_e32 v21, 2, v21
	ds_load_b32 v21, v21
	s_waitcnt lgkmcnt(0)
	v_add_nc_u32_e32 v21, v21, v35
	global_store_b8 v21, v20, s[40:41]
	s_or_b32 exec_lo, exec_lo, s17
	v_cmp_lt_u32_e64 s18, v36, v2
	s_delay_alu instid0(VALU_DEP_1)
	s_and_saveexec_b32 s17, s18
	s_cbranch_execnz .LBB327_293
.LBB327_286:                            ;   in Loop: Header=BB327_240 Depth=2
	s_or_b32 exec_lo, exec_lo, s17
	v_cmp_lt_u32_e64 s17, v37, v2
	s_delay_alu instid0(VALU_DEP_1)
	s_and_saveexec_b32 s43, s17
	s_cbranch_execz .LBB327_294
.LBB327_287:                            ;   in Loop: Header=BB327_240 Depth=2
	ds_load_u8 v20, v35 offset:1536
	s_waitcnt lgkmcnt(0)
	v_and_b32_e32 v21, 0xff, v20
	v_xor_b32_e32 v20, 0x7f, v20
	s_delay_alu instid0(VALU_DEP_2) | instskip(NEXT) | instid1(VALU_DEP_1)
	v_lshrrev_b32_e32 v21, s30, v21
	v_and_b32_e32 v21, s31, v21
	s_delay_alu instid0(VALU_DEP_1)
	v_lshlrev_b32_e32 v21, 2, v21
	ds_load_b32 v21, v21
	s_waitcnt lgkmcnt(0)
	v_add_nc_u32_e32 v21, v21, v37
	global_store_b8 v21, v20, s[40:41]
	s_or_b32 exec_lo, exec_lo, s43
	v_cmp_lt_u32_e32 vcc_lo, v39, v2
	s_and_saveexec_b32 s43, vcc_lo
	s_cbranch_execnz .LBB327_295
	s_branch .LBB327_296
.LBB327_288:                            ;   in Loop: Header=BB327_240 Depth=2
	s_or_b32 exec_lo, exec_lo, s17
	v_cmp_lt_u32_e64 s23, v29, v2
	s_delay_alu instid0(VALU_DEP_1)
	s_and_saveexec_b32 s17, s23
	s_cbranch_execz .LBB327_282
.LBB327_289:                            ;   in Loop: Header=BB327_240 Depth=2
	ds_load_u8 v20, v35 offset:256
	s_waitcnt lgkmcnt(0)
	v_and_b32_e32 v21, 0xff, v20
	v_xor_b32_e32 v20, 0x7f, v20
	s_delay_alu instid0(VALU_DEP_2) | instskip(NEXT) | instid1(VALU_DEP_1)
	v_lshrrev_b32_e32 v21, s30, v21
	v_and_b32_e32 v21, s31, v21
	s_delay_alu instid0(VALU_DEP_1)
	v_lshlrev_b32_e32 v21, 2, v21
	ds_load_b32 v21, v21
	s_waitcnt lgkmcnt(0)
	v_add_nc_u32_e32 v21, v21, v29
	global_store_b8 v21, v20, s[40:41]
	s_or_b32 exec_lo, exec_lo, s17
	v_cmp_lt_u32_e64 s21, v30, v2
	s_delay_alu instid0(VALU_DEP_1)
	s_and_saveexec_b32 s17, s21
	s_cbranch_execnz .LBB327_283
.LBB327_290:                            ;   in Loop: Header=BB327_240 Depth=2
	s_or_b32 exec_lo, exec_lo, s17
	v_cmp_lt_u32_e64 s20, v31, v2
	s_delay_alu instid0(VALU_DEP_1)
	s_and_saveexec_b32 s17, s20
	s_cbranch_execz .LBB327_284
.LBB327_291:                            ;   in Loop: Header=BB327_240 Depth=2
	ds_load_u8 v20, v35 offset:768
	s_waitcnt lgkmcnt(0)
	v_and_b32_e32 v21, 0xff, v20
	v_xor_b32_e32 v20, 0x7f, v20
	s_delay_alu instid0(VALU_DEP_2) | instskip(NEXT) | instid1(VALU_DEP_1)
	v_lshrrev_b32_e32 v21, s30, v21
	v_and_b32_e32 v21, s31, v21
	s_delay_alu instid0(VALU_DEP_1)
	v_lshlrev_b32_e32 v21, 2, v21
	ds_load_b32 v21, v21
	s_waitcnt lgkmcnt(0)
	v_add_nc_u32_e32 v21, v21, v31
	global_store_b8 v21, v20, s[40:41]
	s_or_b32 exec_lo, exec_lo, s17
	v_cmp_lt_u32_e64 s19, v35, v2
	s_delay_alu instid0(VALU_DEP_1)
	s_and_saveexec_b32 s17, s19
	s_cbranch_execnz .LBB327_285
.LBB327_292:                            ;   in Loop: Header=BB327_240 Depth=2
	s_or_b32 exec_lo, exec_lo, s17
	v_cmp_lt_u32_e64 s18, v36, v2
	s_delay_alu instid0(VALU_DEP_1)
	s_and_saveexec_b32 s17, s18
	s_cbranch_execz .LBB327_286
.LBB327_293:                            ;   in Loop: Header=BB327_240 Depth=2
	ds_load_u8 v20, v35 offset:1280
	s_waitcnt lgkmcnt(0)
	v_and_b32_e32 v21, 0xff, v20
	v_xor_b32_e32 v20, 0x7f, v20
	s_delay_alu instid0(VALU_DEP_2) | instskip(NEXT) | instid1(VALU_DEP_1)
	v_lshrrev_b32_e32 v21, s30, v21
	v_and_b32_e32 v21, s31, v21
	s_delay_alu instid0(VALU_DEP_1)
	v_lshlrev_b32_e32 v21, 2, v21
	ds_load_b32 v21, v21
	s_waitcnt lgkmcnt(0)
	v_add_nc_u32_e32 v21, v21, v36
	global_store_b8 v21, v20, s[40:41]
	s_or_b32 exec_lo, exec_lo, s17
	v_cmp_lt_u32_e64 s17, v37, v2
	s_delay_alu instid0(VALU_DEP_1)
	s_and_saveexec_b32 s43, s17
	s_cbranch_execnz .LBB327_287
.LBB327_294:                            ;   in Loop: Header=BB327_240 Depth=2
	s_or_b32 exec_lo, exec_lo, s43
	v_cmp_lt_u32_e32 vcc_lo, v39, v2
	s_and_saveexec_b32 s43, vcc_lo
	s_cbranch_execz .LBB327_296
.LBB327_295:                            ;   in Loop: Header=BB327_240 Depth=2
	ds_load_u8 v20, v35 offset:1792
	s_waitcnt lgkmcnt(0)
	v_and_b32_e32 v21, 0xff, v20
	v_xor_b32_e32 v20, 0x7f, v20
	s_delay_alu instid0(VALU_DEP_2) | instskip(NEXT) | instid1(VALU_DEP_1)
	v_lshrrev_b32_e32 v21, s30, v21
	v_and_b32_e32 v21, s31, v21
	s_delay_alu instid0(VALU_DEP_1)
	v_lshlrev_b32_e32 v21, 2, v21
	ds_load_b32 v21, v21
	s_waitcnt lgkmcnt(0)
	v_add_nc_u32_e32 v21, v21, v39
	global_store_b8 v21, v20, s[40:41]
.LBB327_296:                            ;   in Loop: Header=BB327_240 Depth=2
	s_or_b32 exec_lo, exec_lo, s43
	s_lshl_b64 s[52:53], s[24:25], 3
	s_delay_alu instid0(SALU_CYCLE_1) | instskip(NEXT) | instid1(VALU_DEP_1)
	v_add_co_u32 v20, s24, v73, s52
	v_add_co_ci_u32_e64 v21, s24, s53, v74, s24
	v_cmp_lt_u32_e64 s24, v70, v2
	s_delay_alu instid0(VALU_DEP_1) | instskip(NEXT) | instid1(SALU_CYCLE_1)
	s_and_saveexec_b32 s43, s24
	s_xor_b32 s24, exec_lo, s43
	s_cbranch_execz .LBB327_312
; %bb.297:                              ;   in Loop: Header=BB327_240 Depth=2
	global_load_b64 v[18:19], v[20:21], off
	s_or_b32 exec_lo, exec_lo, s24
	s_delay_alu instid0(SALU_CYCLE_1)
	s_mov_b32 s43, exec_lo
	v_cmpx_lt_u32_e64 v75, v2
	s_cbranch_execnz .LBB327_313
.LBB327_298:                            ;   in Loop: Header=BB327_240 Depth=2
	s_or_b32 exec_lo, exec_lo, s43
	s_delay_alu instid0(SALU_CYCLE_1)
	s_mov_b32 s43, exec_lo
	v_cmpx_lt_u32_e64 v76, v2
	s_cbranch_execz .LBB327_314
.LBB327_299:                            ;   in Loop: Header=BB327_240 Depth=2
	global_load_b64 v[14:15], v[20:21], off offset:512
	s_or_b32 exec_lo, exec_lo, s43
	s_delay_alu instid0(SALU_CYCLE_1)
	s_mov_b32 s43, exec_lo
	v_cmpx_lt_u32_e64 v77, v2
	s_cbranch_execnz .LBB327_315
.LBB327_300:                            ;   in Loop: Header=BB327_240 Depth=2
	s_or_b32 exec_lo, exec_lo, s43
	s_delay_alu instid0(SALU_CYCLE_1)
	s_mov_b32 s43, exec_lo
	v_cmpx_lt_u32_e64 v78, v2
	s_cbranch_execz .LBB327_316
.LBB327_301:                            ;   in Loop: Header=BB327_240 Depth=2
	global_load_b64 v[10:11], v[20:21], off offset:1024
	s_or_b32 exec_lo, exec_lo, s43
	s_delay_alu instid0(SALU_CYCLE_1)
	s_mov_b32 s43, exec_lo
	v_cmpx_lt_u32_e64 v79, v2
	s_cbranch_execnz .LBB327_317
.LBB327_302:                            ;   in Loop: Header=BB327_240 Depth=2
	s_or_b32 exec_lo, exec_lo, s43
	s_delay_alu instid0(SALU_CYCLE_1)
	s_mov_b32 s43, exec_lo
	v_cmpx_lt_u32_e64 v80, v2
	s_cbranch_execz .LBB327_318
.LBB327_303:                            ;   in Loop: Header=BB327_240 Depth=2
	global_load_b64 v[6:7], v[20:21], off offset:1536
	s_or_b32 exec_lo, exec_lo, s43
	s_delay_alu instid0(SALU_CYCLE_1)
	s_mov_b32 s43, exec_lo
	v_cmpx_lt_u32_e64 v81, v2
	s_cbranch_execnz .LBB327_319
.LBB327_304:                            ;   in Loop: Header=BB327_240 Depth=2
	s_or_b32 exec_lo, exec_lo, s43
	s_and_saveexec_b32 s24, s22
	s_cbranch_execz .LBB327_320
.LBB327_305:                            ;   in Loop: Header=BB327_240 Depth=2
	ds_load_u8 v2, v1 offset:1024
	s_waitcnt lgkmcnt(0)
	v_lshrrev_b32_e32 v2, s30, v2
	s_delay_alu instid0(VALU_DEP_1)
	v_and_b32_e32 v92, s31, v2
	s_or_b32 exec_lo, exec_lo, s24
	s_and_saveexec_b32 s24, s23
	s_cbranch_execnz .LBB327_321
.LBB327_306:                            ;   in Loop: Header=BB327_240 Depth=2
	s_or_b32 exec_lo, exec_lo, s24
	s_and_saveexec_b32 s24, s21
	s_cbranch_execz .LBB327_322
.LBB327_307:                            ;   in Loop: Header=BB327_240 Depth=2
	ds_load_u8 v2, v35 offset:512
	s_waitcnt lgkmcnt(0)
	v_lshrrev_b32_e32 v2, s30, v2
	s_delay_alu instid0(VALU_DEP_1)
	v_and_b32_e32 v90, s31, v2
	s_or_b32 exec_lo, exec_lo, s24
	s_and_saveexec_b32 s24, s20
	s_cbranch_execnz .LBB327_323
.LBB327_308:                            ;   in Loop: Header=BB327_240 Depth=2
	s_or_b32 exec_lo, exec_lo, s24
	s_and_saveexec_b32 s24, s19
	s_cbranch_execz .LBB327_324
.LBB327_309:                            ;   in Loop: Header=BB327_240 Depth=2
	ds_load_u8 v2, v35 offset:1024
	s_waitcnt lgkmcnt(0)
	v_lshrrev_b32_e32 v2, s30, v2
	s_delay_alu instid0(VALU_DEP_1)
	v_and_b32_e32 v88, s31, v2
	s_or_b32 exec_lo, exec_lo, s24
	s_and_saveexec_b32 s24, s18
	s_cbranch_execnz .LBB327_325
.LBB327_310:                            ;   in Loop: Header=BB327_240 Depth=2
	s_or_b32 exec_lo, exec_lo, s24
	s_and_saveexec_b32 s24, s17
	s_cbranch_execz .LBB327_326
.LBB327_311:                            ;   in Loop: Header=BB327_240 Depth=2
	ds_load_u8 v2, v35 offset:1536
	s_waitcnt lgkmcnt(0)
	v_lshrrev_b32_e32 v2, s30, v2
	s_delay_alu instid0(VALU_DEP_1)
	v_and_b32_e32 v86, s31, v2
	s_or_b32 exec_lo, exec_lo, s24
	s_and_saveexec_b32 s24, vcc_lo
	s_cbranch_execnz .LBB327_327
	s_branch .LBB327_328
.LBB327_312:                            ;   in Loop: Header=BB327_240 Depth=2
	s_or_b32 exec_lo, exec_lo, s24
	s_delay_alu instid0(SALU_CYCLE_1)
	s_mov_b32 s43, exec_lo
	v_cmpx_lt_u32_e64 v75, v2
	s_cbranch_execz .LBB327_298
.LBB327_313:                            ;   in Loop: Header=BB327_240 Depth=2
	global_load_b64 v[16:17], v[20:21], off offset:256
	s_or_b32 exec_lo, exec_lo, s43
	s_delay_alu instid0(SALU_CYCLE_1)
	s_mov_b32 s43, exec_lo
	v_cmpx_lt_u32_e64 v76, v2
	s_cbranch_execnz .LBB327_299
.LBB327_314:                            ;   in Loop: Header=BB327_240 Depth=2
	s_or_b32 exec_lo, exec_lo, s43
	s_delay_alu instid0(SALU_CYCLE_1)
	s_mov_b32 s43, exec_lo
	v_cmpx_lt_u32_e64 v77, v2
	s_cbranch_execz .LBB327_300
.LBB327_315:                            ;   in Loop: Header=BB327_240 Depth=2
	global_load_b64 v[12:13], v[20:21], off offset:768
	s_or_b32 exec_lo, exec_lo, s43
	s_delay_alu instid0(SALU_CYCLE_1)
	s_mov_b32 s43, exec_lo
	v_cmpx_lt_u32_e64 v78, v2
	s_cbranch_execnz .LBB327_301
.LBB327_316:                            ;   in Loop: Header=BB327_240 Depth=2
	s_or_b32 exec_lo, exec_lo, s43
	s_delay_alu instid0(SALU_CYCLE_1)
	s_mov_b32 s43, exec_lo
	v_cmpx_lt_u32_e64 v79, v2
	s_cbranch_execz .LBB327_302
.LBB327_317:                            ;   in Loop: Header=BB327_240 Depth=2
	global_load_b64 v[8:9], v[20:21], off offset:1280
	s_or_b32 exec_lo, exec_lo, s43
	s_delay_alu instid0(SALU_CYCLE_1)
	s_mov_b32 s43, exec_lo
	v_cmpx_lt_u32_e64 v80, v2
	s_cbranch_execnz .LBB327_303
.LBB327_318:                            ;   in Loop: Header=BB327_240 Depth=2
	s_or_b32 exec_lo, exec_lo, s43
	s_delay_alu instid0(SALU_CYCLE_1)
	s_mov_b32 s43, exec_lo
	v_cmpx_lt_u32_e64 v81, v2
	s_cbranch_execz .LBB327_304
.LBB327_319:                            ;   in Loop: Header=BB327_240 Depth=2
	global_load_b64 v[4:5], v[20:21], off offset:1792
	s_or_b32 exec_lo, exec_lo, s43
	s_and_saveexec_b32 s24, s22
	s_cbranch_execnz .LBB327_305
.LBB327_320:                            ;   in Loop: Header=BB327_240 Depth=2
	s_or_b32 exec_lo, exec_lo, s24
	s_and_saveexec_b32 s24, s23
	s_cbranch_execz .LBB327_306
.LBB327_321:                            ;   in Loop: Header=BB327_240 Depth=2
	ds_load_u8 v2, v35 offset:256
	s_waitcnt lgkmcnt(0)
	v_lshrrev_b32_e32 v2, s30, v2
	s_delay_alu instid0(VALU_DEP_1)
	v_and_b32_e32 v91, s31, v2
	s_or_b32 exec_lo, exec_lo, s24
	s_and_saveexec_b32 s24, s21
	s_cbranch_execnz .LBB327_307
.LBB327_322:                            ;   in Loop: Header=BB327_240 Depth=2
	s_or_b32 exec_lo, exec_lo, s24
	s_and_saveexec_b32 s24, s20
	s_cbranch_execz .LBB327_308
.LBB327_323:                            ;   in Loop: Header=BB327_240 Depth=2
	ds_load_u8 v2, v35 offset:768
	s_waitcnt lgkmcnt(0)
	v_lshrrev_b32_e32 v2, s30, v2
	s_delay_alu instid0(VALU_DEP_1)
	v_and_b32_e32 v89, s31, v2
	s_or_b32 exec_lo, exec_lo, s24
	s_and_saveexec_b32 s24, s19
	s_cbranch_execnz .LBB327_309
.LBB327_324:                            ;   in Loop: Header=BB327_240 Depth=2
	s_or_b32 exec_lo, exec_lo, s24
	s_and_saveexec_b32 s24, s18
	s_cbranch_execz .LBB327_310
.LBB327_325:                            ;   in Loop: Header=BB327_240 Depth=2
	ds_load_u8 v2, v35 offset:1280
	s_waitcnt lgkmcnt(0)
	v_lshrrev_b32_e32 v2, s30, v2
	s_delay_alu instid0(VALU_DEP_1)
	v_and_b32_e32 v87, s31, v2
	s_or_b32 exec_lo, exec_lo, s24
	s_and_saveexec_b32 s24, s17
	s_cbranch_execnz .LBB327_311
.LBB327_326:                            ;   in Loop: Header=BB327_240 Depth=2
	s_or_b32 exec_lo, exec_lo, s24
	s_and_saveexec_b32 s24, vcc_lo
	s_cbranch_execz .LBB327_328
.LBB327_327:                            ;   in Loop: Header=BB327_240 Depth=2
	ds_load_u8 v2, v35 offset:1792
	s_waitcnt lgkmcnt(0)
	v_lshrrev_b32_e32 v2, s30, v2
	s_delay_alu instid0(VALU_DEP_1)
	v_and_b32_e32 v85, s31, v2
.LBB327_328:                            ;   in Loop: Header=BB327_240 Depth=2
	s_or_b32 exec_lo, exec_lo, s24
	v_lshlrev_b32_e32 v2, 3, v100
	v_lshlrev_b32_e32 v20, 3, v96
	;; [unrolled: 1-line block ×3, first 2 shown]
	s_waitcnt vmcnt(0)
	s_waitcnt_vscnt null, 0x0
	s_barrier
	buffer_gl0_inv
	ds_store_b64 v2, v[18:19] offset:1024
	ds_store_b64 v20, v[16:17] offset:1024
	;; [unrolled: 1-line block ×3, first 2 shown]
	v_lshlrev_b32_e32 v2, 3, v27
	v_lshlrev_b32_e32 v20, 3, v26
	;; [unrolled: 1-line block ×5, first 2 shown]
	ds_store_b64 v2, v[12:13] offset:1024
	ds_store_b64 v20, v[10:11] offset:1024
	;; [unrolled: 1-line block ×5, first 2 shown]
	s_waitcnt lgkmcnt(0)
	s_barrier
	buffer_gl0_inv
	s_and_saveexec_b32 s24, s22
	s_cbranch_execz .LBB327_336
; %bb.329:                              ;   in Loop: Header=BB327_240 Depth=2
	v_lshlrev_b32_e32 v2, 2, v92
	v_add_nc_u32_e32 v20, v1, v52
	ds_load_b32 v2, v2
	ds_load_b64 v[20:21], v20 offset:1024
	s_waitcnt lgkmcnt(1)
	v_add_nc_u32_e32 v2, v2, v1
	s_delay_alu instid0(VALU_DEP_1) | instskip(NEXT) | instid1(VALU_DEP_1)
	v_lshlrev_b64 v[23:24], 3, v[2:3]
	v_add_co_u32 v23, s22, s46, v23
	s_delay_alu instid0(VALU_DEP_1)
	v_add_co_ci_u32_e64 v24, s22, s47, v24, s22
	s_waitcnt lgkmcnt(0)
	global_store_b64 v[23:24], v[20:21], off
	s_or_b32 exec_lo, exec_lo, s24
	s_and_saveexec_b32 s24, s23
	s_cbranch_execnz .LBB327_337
.LBB327_330:                            ;   in Loop: Header=BB327_240 Depth=2
	s_or_b32 exec_lo, exec_lo, s24
	s_and_saveexec_b32 s22, s21
	s_cbranch_execz .LBB327_338
.LBB327_331:                            ;   in Loop: Header=BB327_240 Depth=2
	v_lshlrev_b32_e32 v2, 2, v90
	v_add_nc_u32_e32 v20, v35, v52
	ds_load_b32 v2, v2
	ds_load_b64 v[20:21], v20 offset:4096
	s_waitcnt lgkmcnt(1)
	v_add_nc_u32_e32 v2, v2, v30
	s_delay_alu instid0(VALU_DEP_1) | instskip(NEXT) | instid1(VALU_DEP_1)
	v_lshlrev_b64 v[23:24], 3, v[2:3]
	v_add_co_u32 v23, s21, s46, v23
	s_delay_alu instid0(VALU_DEP_1)
	v_add_co_ci_u32_e64 v24, s21, s47, v24, s21
	s_waitcnt lgkmcnt(0)
	global_store_b64 v[23:24], v[20:21], off
	s_or_b32 exec_lo, exec_lo, s22
	s_and_saveexec_b32 s21, s20
	s_cbranch_execnz .LBB327_339
.LBB327_332:                            ;   in Loop: Header=BB327_240 Depth=2
	s_or_b32 exec_lo, exec_lo, s21
	s_and_saveexec_b32 s20, s19
	s_cbranch_execz .LBB327_340
.LBB327_333:                            ;   in Loop: Header=BB327_240 Depth=2
	v_lshlrev_b32_e32 v2, 2, v88
	v_add_nc_u32_e32 v20, v35, v52
	ds_load_b32 v2, v2
	ds_load_b64 v[20:21], v20 offset:8192
	s_waitcnt lgkmcnt(1)
	v_add_nc_u32_e32 v2, v2, v35
	s_delay_alu instid0(VALU_DEP_1) | instskip(NEXT) | instid1(VALU_DEP_1)
	v_lshlrev_b64 v[23:24], 3, v[2:3]
	v_add_co_u32 v23, s19, s46, v23
	s_delay_alu instid0(VALU_DEP_1)
	v_add_co_ci_u32_e64 v24, s19, s47, v24, s19
	s_waitcnt lgkmcnt(0)
	global_store_b64 v[23:24], v[20:21], off
	s_or_b32 exec_lo, exec_lo, s20
	s_and_saveexec_b32 s19, s18
	s_cbranch_execnz .LBB327_341
.LBB327_334:                            ;   in Loop: Header=BB327_240 Depth=2
	s_or_b32 exec_lo, exec_lo, s19
	s_and_saveexec_b32 s18, s17
	s_cbranch_execz .LBB327_342
.LBB327_335:                            ;   in Loop: Header=BB327_240 Depth=2
	v_lshlrev_b32_e32 v2, 2, v86
	v_add_nc_u32_e32 v20, v35, v52
	ds_load_b32 v2, v2
	ds_load_b64 v[20:21], v20 offset:12288
	s_waitcnt lgkmcnt(1)
	v_add_nc_u32_e32 v2, v2, v37
	s_delay_alu instid0(VALU_DEP_1) | instskip(NEXT) | instid1(VALU_DEP_1)
	v_lshlrev_b64 v[23:24], 3, v[2:3]
	v_add_co_u32 v23, s17, s46, v23
	s_delay_alu instid0(VALU_DEP_1)
	v_add_co_ci_u32_e64 v24, s17, s47, v24, s17
	s_waitcnt lgkmcnt(0)
	global_store_b64 v[23:24], v[20:21], off
	s_or_b32 exec_lo, exec_lo, s18
	s_and_saveexec_b32 s17, vcc_lo
	s_cbranch_execnz .LBB327_343
	s_branch .LBB327_344
.LBB327_336:                            ;   in Loop: Header=BB327_240 Depth=2
	s_or_b32 exec_lo, exec_lo, s24
	s_and_saveexec_b32 s24, s23
	s_cbranch_execz .LBB327_330
.LBB327_337:                            ;   in Loop: Header=BB327_240 Depth=2
	v_lshlrev_b32_e32 v2, 2, v91
	v_add_nc_u32_e32 v20, v35, v52
	ds_load_b32 v2, v2
	ds_load_b64 v[20:21], v20 offset:2048
	s_waitcnt lgkmcnt(1)
	v_add_nc_u32_e32 v2, v2, v29
	s_delay_alu instid0(VALU_DEP_1) | instskip(NEXT) | instid1(VALU_DEP_1)
	v_lshlrev_b64 v[23:24], 3, v[2:3]
	v_add_co_u32 v23, s22, s46, v23
	s_delay_alu instid0(VALU_DEP_1)
	v_add_co_ci_u32_e64 v24, s22, s47, v24, s22
	s_waitcnt lgkmcnt(0)
	global_store_b64 v[23:24], v[20:21], off
	s_or_b32 exec_lo, exec_lo, s24
	s_and_saveexec_b32 s22, s21
	s_cbranch_execnz .LBB327_331
.LBB327_338:                            ;   in Loop: Header=BB327_240 Depth=2
	s_or_b32 exec_lo, exec_lo, s22
	s_and_saveexec_b32 s21, s20
	s_cbranch_execz .LBB327_332
.LBB327_339:                            ;   in Loop: Header=BB327_240 Depth=2
	v_lshlrev_b32_e32 v2, 2, v89
	v_add_nc_u32_e32 v20, v35, v52
	ds_load_b32 v2, v2
	ds_load_b64 v[20:21], v20 offset:6144
	s_waitcnt lgkmcnt(1)
	v_add_nc_u32_e32 v2, v2, v31
	s_delay_alu instid0(VALU_DEP_1) | instskip(NEXT) | instid1(VALU_DEP_1)
	v_lshlrev_b64 v[23:24], 3, v[2:3]
	v_add_co_u32 v23, s20, s46, v23
	s_delay_alu instid0(VALU_DEP_1)
	v_add_co_ci_u32_e64 v24, s20, s47, v24, s20
	s_waitcnt lgkmcnt(0)
	global_store_b64 v[23:24], v[20:21], off
	s_or_b32 exec_lo, exec_lo, s21
	s_and_saveexec_b32 s20, s19
	s_cbranch_execnz .LBB327_333
.LBB327_340:                            ;   in Loop: Header=BB327_240 Depth=2
	s_or_b32 exec_lo, exec_lo, s20
	s_and_saveexec_b32 s19, s18
	s_cbranch_execz .LBB327_334
.LBB327_341:                            ;   in Loop: Header=BB327_240 Depth=2
	v_lshlrev_b32_e32 v2, 2, v87
	v_add_nc_u32_e32 v20, v35, v52
	ds_load_b32 v2, v2
	ds_load_b64 v[20:21], v20 offset:10240
	s_waitcnt lgkmcnt(1)
	v_add_nc_u32_e32 v2, v2, v36
	s_delay_alu instid0(VALU_DEP_1) | instskip(NEXT) | instid1(VALU_DEP_1)
	v_lshlrev_b64 v[23:24], 3, v[2:3]
	v_add_co_u32 v23, s18, s46, v23
	s_delay_alu instid0(VALU_DEP_1)
	v_add_co_ci_u32_e64 v24, s18, s47, v24, s18
	s_waitcnt lgkmcnt(0)
	global_store_b64 v[23:24], v[20:21], off
	s_or_b32 exec_lo, exec_lo, s19
	s_and_saveexec_b32 s18, s17
	s_cbranch_execnz .LBB327_335
.LBB327_342:                            ;   in Loop: Header=BB327_240 Depth=2
	s_or_b32 exec_lo, exec_lo, s18
	s_and_saveexec_b32 s17, vcc_lo
	s_cbranch_execz .LBB327_344
.LBB327_343:                            ;   in Loop: Header=BB327_240 Depth=2
	v_lshlrev_b32_e32 v2, 2, v85
	v_add_nc_u32_e32 v20, v35, v52
	ds_load_b32 v2, v2
	ds_load_b64 v[20:21], v20 offset:14336
	s_waitcnt lgkmcnt(1)
	v_add_nc_u32_e32 v2, v2, v39
	s_delay_alu instid0(VALU_DEP_1) | instskip(NEXT) | instid1(VALU_DEP_1)
	v_lshlrev_b64 v[23:24], 3, v[2:3]
	v_add_co_u32 v23, vcc_lo, s46, v23
	s_delay_alu instid0(VALU_DEP_2)
	v_add_co_ci_u32_e32 v24, vcc_lo, s47, v24, vcc_lo
	s_waitcnt lgkmcnt(0)
	global_store_b64 v[23:24], v[20:21], off
.LBB327_344:                            ;   in Loop: Header=BB327_240 Depth=2
	s_or_b32 exec_lo, exec_lo, s17
	s_waitcnt_vscnt null, 0x0
	s_barrier
	buffer_gl0_inv
	s_and_saveexec_b32 s17, s2
	s_cbranch_execz .LBB327_239
; %bb.345:                              ;   in Loop: Header=BB327_240 Depth=2
	ds_load_b32 v2, v28
	s_waitcnt lgkmcnt(0)
	v_add_nc_u32_e32 v2, v2, v22
	ds_store_b32 v28, v2
	s_branch .LBB327_239
.LBB327_346:                            ;   in Loop: Header=BB327_240 Depth=2
	s_or_b32 exec_lo, exec_lo, s17
	s_delay_alu instid0(SALU_CYCLE_1)
	s_mov_b32 s17, exec_lo
	v_cmpx_gt_u32_e64 s35, v75
	s_cbranch_execz .LBB327_246
.LBB327_347:                            ;   in Loop: Header=BB327_240 Depth=2
	global_load_u8 v95, v[20:21], off offset:32
	s_or_b32 exec_lo, exec_lo, s17
	s_delay_alu instid0(SALU_CYCLE_1)
	s_mov_b32 s17, exec_lo
	v_cmpx_gt_u32_e64 s35, v76
	s_cbranch_execnz .LBB327_247
.LBB327_348:                            ;   in Loop: Header=BB327_240 Depth=2
	s_or_b32 exec_lo, exec_lo, s17
	s_delay_alu instid0(SALU_CYCLE_1)
	s_mov_b32 s17, exec_lo
	v_cmpx_gt_u32_e64 s35, v77
	s_cbranch_execz .LBB327_248
.LBB327_349:                            ;   in Loop: Header=BB327_240 Depth=2
	global_load_u8 v26, v[20:21], off offset:96
	s_or_b32 exec_lo, exec_lo, s17
	s_delay_alu instid0(SALU_CYCLE_1)
	s_mov_b32 s17, exec_lo
	v_cmpx_gt_u32_e64 s35, v78
	s_cbranch_execnz .LBB327_249
.LBB327_350:                            ;   in Loop: Header=BB327_240 Depth=2
	s_or_b32 exec_lo, exec_lo, s17
	s_delay_alu instid0(SALU_CYCLE_1)
	s_mov_b32 s17, exec_lo
	v_cmpx_gt_u32_e64 s35, v79
	s_cbranch_execz .LBB327_250
.LBB327_351:                            ;   in Loop: Header=BB327_240 Depth=2
	global_load_u8 v24, v[20:21], off offset:160
	s_or_b32 exec_lo, exec_lo, s17
	s_delay_alu instid0(SALU_CYCLE_1)
	s_mov_b32 s17, exec_lo
	v_cmpx_gt_u32_e64 s35, v80
	s_cbranch_execnz .LBB327_251
	s_branch .LBB327_252
.LBB327_352:                            ;   in Loop: Header=BB327_20 Depth=1
	s_waitcnt lgkmcnt(0)
	s_barrier
.LBB327_353:                            ;   in Loop: Header=BB327_20 Depth=1
	s_mov_b32 s0, 0
.LBB327_354:                            ;   in Loop: Header=BB327_20 Depth=1
	s_delay_alu instid0(SALU_CYCLE_1)
	s_and_not1_b32 vcc_lo, exec_lo, s0
	s_cbranch_vccnz .LBB327_19
; %bb.355:                              ;   in Loop: Header=BB327_20 Depth=1
	s_and_b32 vcc_lo, exec_lo, s33
	s_mov_b32 s0, -1
	s_cbranch_vccz .LBB327_521
; %bb.356:                              ;   in Loop: Header=BB327_20 Depth=1
	s_mov_b32 s0, s34
	s_mov_b32 s9, s28
	s_barrier
	buffer_gl0_inv
                                        ; implicit-def: $vgpr2
                                        ; implicit-def: $vgpr6
                                        ; implicit-def: $vgpr7
                                        ; implicit-def: $vgpr8
                                        ; implicit-def: $vgpr9
                                        ; implicit-def: $vgpr10
                                        ; implicit-def: $vgpr11
                                        ; implicit-def: $vgpr12
	s_branch .LBB327_358
.LBB327_357:                            ;   in Loop: Header=BB327_358 Depth=2
	s_or_b32 exec_lo, exec_lo, s8
	s_addk_i32 s0, 0xf800
	s_cmp_ge_u32 s1, s29
	s_mov_b32 s9, s1
	s_cbranch_scc1 .LBB327_396
.LBB327_358:                            ;   Parent Loop BB327_20 Depth=1
                                        ; =>  This Inner Loop Header: Depth=2
	s_add_i32 s1, s9, 0x800
	s_delay_alu instid0(SALU_CYCLE_1)
	s_cmp_gt_u32 s1, s29
	s_cbranch_scc1 .LBB327_361
; %bb.359:                              ;   in Loop: Header=BB327_358 Depth=2
	v_add_co_u32 v4, vcc_lo, v59, s9
	v_add_co_ci_u32_e32 v5, vcc_lo, 0, v60, vcc_lo
	s_mov_b32 s8, -1
	s_movk_i32 s12, 0x800
	s_clause 0x6
	global_load_u8 v20, v[4:5], off offset:1536
	global_load_u8 v19, v[4:5], off offset:1280
	;; [unrolled: 1-line block ×6, first 2 shown]
	global_load_u8 v14, v[4:5], off
	v_add_co_u32 v4, vcc_lo, 0x700, v4
	v_add_co_ci_u32_e32 v5, vcc_lo, 0, v5, vcc_lo
	s_cbranch_execz .LBB327_362
; %bb.360:                              ;   in Loop: Header=BB327_358 Depth=2
                                        ; implicit-def: $vgpr2
                                        ; implicit-def: $vgpr6
                                        ; implicit-def: $vgpr7
                                        ; implicit-def: $vgpr8
                                        ; implicit-def: $vgpr9
                                        ; implicit-def: $vgpr10
                                        ; implicit-def: $vgpr11
                                        ; implicit-def: $vgpr12
	v_mov_b32_e32 v13, s0
	s_and_saveexec_b32 s9, s8
	s_cbranch_execnz .LBB327_373
	s_branch .LBB327_374
.LBB327_361:                            ;   in Loop: Header=BB327_358 Depth=2
	s_mov_b32 s8, 0
                                        ; implicit-def: $sgpr12
                                        ; implicit-def: $vgpr14
                                        ; implicit-def: $vgpr15
                                        ; implicit-def: $vgpr16
                                        ; implicit-def: $vgpr17
                                        ; implicit-def: $vgpr18
                                        ; implicit-def: $vgpr19
                                        ; implicit-def: $vgpr20
                                        ; implicit-def: $vgpr4_vgpr5
.LBB327_362:                            ;   in Loop: Header=BB327_358 Depth=2
	s_add_u32 s10, s36, s9
	s_addc_u32 s11, s37, 0
	s_mov_b32 s12, exec_lo
	v_cmpx_gt_u32_e64 s0, v1
	s_cbranch_execz .LBB327_390
; %bb.363:                              ;   in Loop: Header=BB327_358 Depth=2
	v_add_co_u32 v4, s13, s10, v1
	s_delay_alu instid0(VALU_DEP_1) | instskip(SKIP_2) | instid1(SALU_CYCLE_1)
	v_add_co_ci_u32_e64 v5, null, s11, 0, s13
	global_load_u8 v2, v[4:5], off
	s_or_b32 exec_lo, exec_lo, s12
	s_mov_b32 s12, exec_lo
	v_cmpx_gt_u32_e64 s0, v29
	s_cbranch_execnz .LBB327_391
.LBB327_364:                            ;   in Loop: Header=BB327_358 Depth=2
	s_or_b32 exec_lo, exec_lo, s12
	s_delay_alu instid0(SALU_CYCLE_1)
	s_mov_b32 s12, exec_lo
	v_cmpx_gt_u32_e64 s0, v30
	s_cbranch_execz .LBB327_392
.LBB327_365:                            ;   in Loop: Header=BB327_358 Depth=2
	v_add_co_u32 v4, s13, s10, v1
	s_delay_alu instid0(VALU_DEP_1) | instskip(SKIP_2) | instid1(SALU_CYCLE_1)
	v_add_co_ci_u32_e64 v5, null, s11, 0, s13
	global_load_u8 v7, v[4:5], off offset:512
	s_or_b32 exec_lo, exec_lo, s12
	s_mov_b32 s12, exec_lo
	v_cmpx_gt_u32_e64 s0, v31
	s_cbranch_execnz .LBB327_393
.LBB327_366:                            ;   in Loop: Header=BB327_358 Depth=2
	s_or_b32 exec_lo, exec_lo, s12
	s_delay_alu instid0(SALU_CYCLE_1)
	s_mov_b32 s12, exec_lo
	v_cmpx_gt_u32_e64 s0, v35
	s_cbranch_execz .LBB327_394
.LBB327_367:                            ;   in Loop: Header=BB327_358 Depth=2
	v_add_co_u32 v4, s13, s10, v1
	s_delay_alu instid0(VALU_DEP_1) | instskip(SKIP_2) | instid1(SALU_CYCLE_1)
	v_add_co_ci_u32_e64 v5, null, s11, 0, s13
	global_load_u8 v9, v[4:5], off offset:1024
	s_or_b32 exec_lo, exec_lo, s12
	s_mov_b32 s12, exec_lo
	v_cmpx_gt_u32_e64 s0, v36
	s_cbranch_execnz .LBB327_395
.LBB327_368:                            ;   in Loop: Header=BB327_358 Depth=2
	s_or_b32 exec_lo, exec_lo, s12
	s_delay_alu instid0(SALU_CYCLE_1)
	s_mov_b32 s12, exec_lo
	v_cmpx_gt_u32_e64 s0, v37
	s_cbranch_execz .LBB327_370
.LBB327_369:                            ;   in Loop: Header=BB327_358 Depth=2
	v_add_co_u32 v4, s13, s10, v1
	s_delay_alu instid0(VALU_DEP_1)
	v_add_co_ci_u32_e64 v5, null, s11, 0, s13
	global_load_u8 v11, v[4:5], off offset:1536
.LBB327_370:                            ;   in Loop: Header=BB327_358 Depth=2
	s_or_b32 exec_lo, exec_lo, s12
	s_delay_alu instid0(SALU_CYCLE_1)
	s_mov_b32 s13, exec_lo
                                        ; implicit-def: $sgpr12
                                        ; implicit-def: $vgpr4_vgpr5
	v_cmpx_gt_u32_e64 s0, v39
; %bb.371:                              ;   in Loop: Header=BB327_358 Depth=2
	v_add_co_u32 v4, s10, s10, v1
	s_delay_alu instid0(VALU_DEP_1) | instskip(SKIP_1) | instid1(VALU_DEP_2)
	v_add_co_ci_u32_e64 v5, null, s11, 0, s10
	s_sub_i32 s12, s29, s9
	v_add_co_u32 v4, vcc_lo, 0x700, v4
	s_delay_alu instid0(VALU_DEP_2)
	v_add_co_ci_u32_e32 v5, vcc_lo, 0, v5, vcc_lo
	s_or_b32 s8, s8, exec_lo
                                        ; implicit-def: $vgpr12
; %bb.372:                              ;   in Loop: Header=BB327_358 Depth=2
	s_or_b32 exec_lo, exec_lo, s13
	s_waitcnt vmcnt(0)
	v_dual_mov_b32 v14, v2 :: v_dual_mov_b32 v17, v8
	v_dual_mov_b32 v15, v6 :: v_dual_mov_b32 v16, v7
	;; [unrolled: 1-line block ×4, first 2 shown]
	s_and_saveexec_b32 s9, s8
	s_cbranch_execz .LBB327_374
.LBB327_373:                            ;   in Loop: Header=BB327_358 Depth=2
	global_load_u8 v12, v[4:5], off
	s_waitcnt vmcnt(1)
	v_dual_mov_b32 v13, s12 :: v_dual_mov_b32 v2, v14
	v_dual_mov_b32 v6, v15 :: v_dual_mov_b32 v7, v16
	;; [unrolled: 1-line block ×4, first 2 shown]
.LBB327_374:                            ;   in Loop: Header=BB327_358 Depth=2
	s_or_b32 exec_lo, exec_lo, s9
	s_delay_alu instid0(SALU_CYCLE_1)
	s_mov_b32 s8, exec_lo
	v_cmpx_lt_u32_e64 v1, v13
	s_cbranch_execz .LBB327_382
; %bb.375:                              ;   in Loop: Header=BB327_358 Depth=2
	v_xor_b32_e32 v4, 0x7f, v2
	v_lshlrev_b32_e32 v5, 2, v32
	s_delay_alu instid0(VALU_DEP_2) | instskip(NEXT) | instid1(VALU_DEP_1)
	v_and_b32_e32 v4, 0xff, v4
	v_lshrrev_b32_e32 v4, s49, v4
	s_delay_alu instid0(VALU_DEP_1) | instskip(NEXT) | instid1(VALU_DEP_1)
	v_and_b32_e32 v4, s31, v4
	v_lshl_or_b32 v4, v4, 4, v5
	ds_add_u32 v4, v66
	s_or_b32 exec_lo, exec_lo, s8
	s_delay_alu instid0(SALU_CYCLE_1)
	s_mov_b32 s8, exec_lo
	v_cmpx_lt_u32_e64 v29, v13
	s_cbranch_execnz .LBB327_383
.LBB327_376:                            ;   in Loop: Header=BB327_358 Depth=2
	s_or_b32 exec_lo, exec_lo, s8
	s_delay_alu instid0(SALU_CYCLE_1)
	s_mov_b32 s8, exec_lo
	v_cmpx_lt_u32_e64 v30, v13
	s_cbranch_execz .LBB327_384
.LBB327_377:                            ;   in Loop: Header=BB327_358 Depth=2
	v_xor_b32_e32 v4, 0x7f, v7
	v_lshlrev_b32_e32 v5, 2, v32
	s_delay_alu instid0(VALU_DEP_2) | instskip(NEXT) | instid1(VALU_DEP_1)
	v_and_b32_e32 v4, 0xff, v4
	v_lshrrev_b32_e32 v4, s49, v4
	s_delay_alu instid0(VALU_DEP_1) | instskip(NEXT) | instid1(VALU_DEP_1)
	v_and_b32_e32 v4, s31, v4
	v_lshl_or_b32 v4, v4, 4, v5
	ds_add_u32 v4, v66
	s_or_b32 exec_lo, exec_lo, s8
	s_delay_alu instid0(SALU_CYCLE_1)
	s_mov_b32 s8, exec_lo
	v_cmpx_lt_u32_e64 v31, v13
	s_cbranch_execnz .LBB327_385
.LBB327_378:                            ;   in Loop: Header=BB327_358 Depth=2
	s_or_b32 exec_lo, exec_lo, s8
	s_delay_alu instid0(SALU_CYCLE_1)
	s_mov_b32 s8, exec_lo
	v_cmpx_lt_u32_e64 v35, v13
	s_cbranch_execz .LBB327_386
.LBB327_379:                            ;   in Loop: Header=BB327_358 Depth=2
	v_xor_b32_e32 v4, 0x7f, v9
	v_lshlrev_b32_e32 v5, 2, v32
	s_delay_alu instid0(VALU_DEP_2) | instskip(NEXT) | instid1(VALU_DEP_1)
	v_and_b32_e32 v4, 0xff, v4
	v_lshrrev_b32_e32 v4, s49, v4
	s_delay_alu instid0(VALU_DEP_1) | instskip(NEXT) | instid1(VALU_DEP_1)
	v_and_b32_e32 v4, s31, v4
	v_lshl_or_b32 v4, v4, 4, v5
	ds_add_u32 v4, v66
	s_or_b32 exec_lo, exec_lo, s8
	s_delay_alu instid0(SALU_CYCLE_1)
	s_mov_b32 s8, exec_lo
	v_cmpx_lt_u32_e64 v36, v13
	s_cbranch_execnz .LBB327_387
.LBB327_380:                            ;   in Loop: Header=BB327_358 Depth=2
	s_or_b32 exec_lo, exec_lo, s8
	s_delay_alu instid0(SALU_CYCLE_1)
	s_mov_b32 s8, exec_lo
	v_cmpx_lt_u32_e64 v37, v13
	s_cbranch_execz .LBB327_388
.LBB327_381:                            ;   in Loop: Header=BB327_358 Depth=2
	v_xor_b32_e32 v4, 0x7f, v11
	v_lshlrev_b32_e32 v5, 2, v32
	s_delay_alu instid0(VALU_DEP_2) | instskip(NEXT) | instid1(VALU_DEP_1)
	v_and_b32_e32 v4, 0xff, v4
	v_lshrrev_b32_e32 v4, s49, v4
	s_delay_alu instid0(VALU_DEP_1) | instskip(NEXT) | instid1(VALU_DEP_1)
	v_and_b32_e32 v4, s31, v4
	v_lshl_or_b32 v4, v4, 4, v5
	ds_add_u32 v4, v66
	s_or_b32 exec_lo, exec_lo, s8
	s_delay_alu instid0(SALU_CYCLE_1)
	s_mov_b32 s8, exec_lo
	v_cmpx_lt_u32_e64 v39, v13
	s_cbranch_execz .LBB327_357
	s_branch .LBB327_389
.LBB327_382:                            ;   in Loop: Header=BB327_358 Depth=2
	s_or_b32 exec_lo, exec_lo, s8
	s_delay_alu instid0(SALU_CYCLE_1)
	s_mov_b32 s8, exec_lo
	v_cmpx_lt_u32_e64 v29, v13
	s_cbranch_execz .LBB327_376
.LBB327_383:                            ;   in Loop: Header=BB327_358 Depth=2
	v_xor_b32_e32 v4, 0x7f, v6
	v_lshlrev_b32_e32 v5, 2, v32
	s_delay_alu instid0(VALU_DEP_2) | instskip(NEXT) | instid1(VALU_DEP_1)
	v_and_b32_e32 v4, 0xff, v4
	v_lshrrev_b32_e32 v4, s49, v4
	s_delay_alu instid0(VALU_DEP_1) | instskip(NEXT) | instid1(VALU_DEP_1)
	v_and_b32_e32 v4, s31, v4
	v_lshl_or_b32 v4, v4, 4, v5
	ds_add_u32 v4, v66
	s_or_b32 exec_lo, exec_lo, s8
	s_delay_alu instid0(SALU_CYCLE_1)
	s_mov_b32 s8, exec_lo
	v_cmpx_lt_u32_e64 v30, v13
	s_cbranch_execnz .LBB327_377
.LBB327_384:                            ;   in Loop: Header=BB327_358 Depth=2
	s_or_b32 exec_lo, exec_lo, s8
	s_delay_alu instid0(SALU_CYCLE_1)
	s_mov_b32 s8, exec_lo
	v_cmpx_lt_u32_e64 v31, v13
	s_cbranch_execz .LBB327_378
.LBB327_385:                            ;   in Loop: Header=BB327_358 Depth=2
	v_xor_b32_e32 v4, 0x7f, v8
	v_lshlrev_b32_e32 v5, 2, v32
	s_delay_alu instid0(VALU_DEP_2) | instskip(NEXT) | instid1(VALU_DEP_1)
	v_and_b32_e32 v4, 0xff, v4
	v_lshrrev_b32_e32 v4, s49, v4
	s_delay_alu instid0(VALU_DEP_1) | instskip(NEXT) | instid1(VALU_DEP_1)
	v_and_b32_e32 v4, s31, v4
	v_lshl_or_b32 v4, v4, 4, v5
	ds_add_u32 v4, v66
	s_or_b32 exec_lo, exec_lo, s8
	s_delay_alu instid0(SALU_CYCLE_1)
	s_mov_b32 s8, exec_lo
	v_cmpx_lt_u32_e64 v35, v13
	s_cbranch_execnz .LBB327_379
.LBB327_386:                            ;   in Loop: Header=BB327_358 Depth=2
	s_or_b32 exec_lo, exec_lo, s8
	s_delay_alu instid0(SALU_CYCLE_1)
	s_mov_b32 s8, exec_lo
	v_cmpx_lt_u32_e64 v36, v13
	s_cbranch_execz .LBB327_380
.LBB327_387:                            ;   in Loop: Header=BB327_358 Depth=2
	v_xor_b32_e32 v4, 0x7f, v10
	v_lshlrev_b32_e32 v5, 2, v32
	s_delay_alu instid0(VALU_DEP_2) | instskip(NEXT) | instid1(VALU_DEP_1)
	v_and_b32_e32 v4, 0xff, v4
	v_lshrrev_b32_e32 v4, s49, v4
	s_delay_alu instid0(VALU_DEP_1) | instskip(NEXT) | instid1(VALU_DEP_1)
	v_and_b32_e32 v4, s31, v4
	v_lshl_or_b32 v4, v4, 4, v5
	ds_add_u32 v4, v66
	s_or_b32 exec_lo, exec_lo, s8
	s_delay_alu instid0(SALU_CYCLE_1)
	s_mov_b32 s8, exec_lo
	v_cmpx_lt_u32_e64 v37, v13
	s_cbranch_execnz .LBB327_381
.LBB327_388:                            ;   in Loop: Header=BB327_358 Depth=2
	s_or_b32 exec_lo, exec_lo, s8
	s_delay_alu instid0(SALU_CYCLE_1)
	s_mov_b32 s8, exec_lo
	v_cmpx_lt_u32_e64 v39, v13
	s_cbranch_execz .LBB327_357
.LBB327_389:                            ;   in Loop: Header=BB327_358 Depth=2
	s_waitcnt vmcnt(0)
	v_xor_b32_e32 v4, 0x7f, v12
	v_lshlrev_b32_e32 v5, 2, v32
	s_delay_alu instid0(VALU_DEP_2) | instskip(NEXT) | instid1(VALU_DEP_1)
	v_and_b32_e32 v4, 0xff, v4
	v_lshrrev_b32_e32 v4, s49, v4
	s_delay_alu instid0(VALU_DEP_1) | instskip(NEXT) | instid1(VALU_DEP_1)
	v_and_b32_e32 v4, s31, v4
	v_lshl_or_b32 v4, v4, 4, v5
	ds_add_u32 v4, v66
	s_branch .LBB327_357
.LBB327_390:                            ;   in Loop: Header=BB327_358 Depth=2
	s_or_b32 exec_lo, exec_lo, s12
	s_delay_alu instid0(SALU_CYCLE_1)
	s_mov_b32 s12, exec_lo
	v_cmpx_gt_u32_e64 s0, v29
	s_cbranch_execz .LBB327_364
.LBB327_391:                            ;   in Loop: Header=BB327_358 Depth=2
	v_add_co_u32 v4, s13, s10, v1
	s_delay_alu instid0(VALU_DEP_1) | instskip(SKIP_2) | instid1(SALU_CYCLE_1)
	v_add_co_ci_u32_e64 v5, null, s11, 0, s13
	global_load_u8 v6, v[4:5], off offset:256
	s_or_b32 exec_lo, exec_lo, s12
	s_mov_b32 s12, exec_lo
	v_cmpx_gt_u32_e64 s0, v30
	s_cbranch_execnz .LBB327_365
.LBB327_392:                            ;   in Loop: Header=BB327_358 Depth=2
	s_or_b32 exec_lo, exec_lo, s12
	s_delay_alu instid0(SALU_CYCLE_1)
	s_mov_b32 s12, exec_lo
	v_cmpx_gt_u32_e64 s0, v31
	s_cbranch_execz .LBB327_366
.LBB327_393:                            ;   in Loop: Header=BB327_358 Depth=2
	v_add_co_u32 v4, s13, s10, v1
	s_delay_alu instid0(VALU_DEP_1) | instskip(SKIP_2) | instid1(SALU_CYCLE_1)
	v_add_co_ci_u32_e64 v5, null, s11, 0, s13
	global_load_u8 v8, v[4:5], off offset:768
	s_or_b32 exec_lo, exec_lo, s12
	s_mov_b32 s12, exec_lo
	v_cmpx_gt_u32_e64 s0, v35
	s_cbranch_execnz .LBB327_367
.LBB327_394:                            ;   in Loop: Header=BB327_358 Depth=2
	s_or_b32 exec_lo, exec_lo, s12
	s_delay_alu instid0(SALU_CYCLE_1)
	s_mov_b32 s12, exec_lo
	v_cmpx_gt_u32_e64 s0, v36
	s_cbranch_execz .LBB327_368
.LBB327_395:                            ;   in Loop: Header=BB327_358 Depth=2
	v_add_co_u32 v4, s13, s10, v1
	s_delay_alu instid0(VALU_DEP_1) | instskip(SKIP_2) | instid1(SALU_CYCLE_1)
	v_add_co_ci_u32_e64 v5, null, s11, 0, s13
	global_load_u8 v10, v[4:5], off offset:1280
	s_or_b32 exec_lo, exec_lo, s12
	s_mov_b32 s12, exec_lo
	v_cmpx_gt_u32_e64 s0, v37
	s_cbranch_execz .LBB327_370
	s_branch .LBB327_369
.LBB327_396:                            ;   in Loop: Header=BB327_20 Depth=1
	v_mov_b32_e32 v2, 0
	s_waitcnt vmcnt(0) lgkmcnt(0)
	s_barrier
	buffer_gl0_inv
	s_and_saveexec_b32 s0, s2
	s_cbranch_execz .LBB327_398
; %bb.397:                              ;   in Loop: Header=BB327_20 Depth=1
	ds_load_2addr_b64 v[4:7], v40 offset1:1
	s_waitcnt lgkmcnt(0)
	v_add_nc_u32_e32 v2, v5, v4
	s_delay_alu instid0(VALU_DEP_1)
	v_add3_u32 v2, v2, v6, v7
.LBB327_398:                            ;   in Loop: Header=BB327_20 Depth=1
	s_or_b32 exec_lo, exec_lo, s0
	v_and_b32_e32 v4, 15, v63
	s_delay_alu instid0(VALU_DEP_2) | instskip(SKIP_1) | instid1(VALU_DEP_3)
	v_mov_b32_dpp v5, v2 row_shr:1 row_mask:0xf bank_mask:0xf
	v_and_b32_e32 v6, 16, v63
	v_cmp_eq_u32_e64 s0, 0, v4
	v_cmp_lt_u32_e64 s1, 1, v4
	v_cmp_lt_u32_e64 s8, 3, v4
	;; [unrolled: 1-line block ×3, first 2 shown]
	v_cmp_eq_u32_e64 s10, 0, v6
	v_cndmask_b32_e64 v5, v5, 0, s0
	s_delay_alu instid0(VALU_DEP_1) | instskip(NEXT) | instid1(VALU_DEP_1)
	v_add_nc_u32_e32 v2, v5, v2
	v_mov_b32_dpp v5, v2 row_shr:2 row_mask:0xf bank_mask:0xf
	s_delay_alu instid0(VALU_DEP_1) | instskip(NEXT) | instid1(VALU_DEP_1)
	v_cndmask_b32_e64 v5, 0, v5, s1
	v_add_nc_u32_e32 v2, v2, v5
	s_delay_alu instid0(VALU_DEP_1) | instskip(NEXT) | instid1(VALU_DEP_1)
	v_mov_b32_dpp v5, v2 row_shr:4 row_mask:0xf bank_mask:0xf
	v_cndmask_b32_e64 v5, 0, v5, s8
	s_delay_alu instid0(VALU_DEP_1) | instskip(NEXT) | instid1(VALU_DEP_1)
	v_add_nc_u32_e32 v2, v2, v5
	v_mov_b32_dpp v5, v2 row_shr:8 row_mask:0xf bank_mask:0xf
	s_delay_alu instid0(VALU_DEP_1) | instskip(SKIP_1) | instid1(VALU_DEP_2)
	v_cndmask_b32_e64 v4, 0, v5, s9
	v_bfe_i32 v5, v63, 4, 1
	v_add_nc_u32_e32 v2, v2, v4
	ds_swizzle_b32 v4, v2 offset:swizzle(BROADCAST,32,15)
	s_waitcnt lgkmcnt(0)
	v_and_b32_e32 v4, v5, v4
	s_delay_alu instid0(VALU_DEP_1)
	v_add_nc_u32_e32 v4, v2, v4
	s_and_saveexec_b32 s11, s3
	s_cbranch_execz .LBB327_400
; %bb.399:                              ;   in Loop: Header=BB327_20 Depth=1
	ds_store_b32 v41, v4
.LBB327_400:                            ;   in Loop: Header=BB327_20 Depth=1
	s_or_b32 exec_lo, exec_lo, s11
	v_and_b32_e32 v2, 7, v63
	s_waitcnt lgkmcnt(0)
	s_barrier
	buffer_gl0_inv
	s_and_saveexec_b32 s11, s4
	s_cbranch_execz .LBB327_402
; %bb.401:                              ;   in Loop: Header=BB327_20 Depth=1
	ds_load_b32 v5, v42
	v_cmp_ne_u32_e32 vcc_lo, 0, v2
	s_waitcnt lgkmcnt(0)
	v_mov_b32_dpp v6, v5 row_shr:1 row_mask:0xf bank_mask:0xf
	s_delay_alu instid0(VALU_DEP_1) | instskip(SKIP_1) | instid1(VALU_DEP_2)
	v_cndmask_b32_e32 v6, 0, v6, vcc_lo
	v_cmp_lt_u32_e32 vcc_lo, 1, v2
	v_add_nc_u32_e32 v5, v6, v5
	s_delay_alu instid0(VALU_DEP_1) | instskip(NEXT) | instid1(VALU_DEP_1)
	v_mov_b32_dpp v6, v5 row_shr:2 row_mask:0xf bank_mask:0xf
	v_cndmask_b32_e32 v6, 0, v6, vcc_lo
	v_cmp_lt_u32_e32 vcc_lo, 3, v2
	s_delay_alu instid0(VALU_DEP_2) | instskip(NEXT) | instid1(VALU_DEP_1)
	v_add_nc_u32_e32 v5, v5, v6
	v_mov_b32_dpp v6, v5 row_shr:4 row_mask:0xf bank_mask:0xf
	s_delay_alu instid0(VALU_DEP_1) | instskip(NEXT) | instid1(VALU_DEP_1)
	v_cndmask_b32_e32 v6, 0, v6, vcc_lo
	v_add_nc_u32_e32 v5, v5, v6
	ds_store_b32 v42, v5
.LBB327_402:                            ;   in Loop: Header=BB327_20 Depth=1
	s_or_b32 exec_lo, exec_lo, s11
	v_mov_b32_e32 v5, 0
	s_waitcnt lgkmcnt(0)
	s_barrier
	buffer_gl0_inv
	s_and_saveexec_b32 s11, s5
	s_cbranch_execz .LBB327_404
; %bb.403:                              ;   in Loop: Header=BB327_20 Depth=1
	ds_load_b32 v5, v43
.LBB327_404:                            ;   in Loop: Header=BB327_20 Depth=1
	s_or_b32 exec_lo, exec_lo, s11
	v_add_nc_u32_e32 v6, -1, v63
	s_waitcnt lgkmcnt(0)
	v_add_nc_u32_e32 v4, v5, v4
	v_cmp_eq_u32_e64 s11, 0, v63
	s_barrier
	v_cmp_gt_i32_e32 vcc_lo, 0, v6
	buffer_gl0_inv
	v_cndmask_b32_e32 v6, v6, v63, vcc_lo
	s_delay_alu instid0(VALU_DEP_1)
	v_lshlrev_b32_e32 v69, 2, v6
	ds_bpermute_b32 v4, v69, v4
	s_and_saveexec_b32 s12, s2
	s_cbranch_execz .LBB327_406
; %bb.405:                              ;   in Loop: Header=BB327_20 Depth=1
	s_waitcnt lgkmcnt(0)
	v_cndmask_b32_e64 v4, v4, v5, s11
	s_delay_alu instid0(VALU_DEP_1)
	v_add_nc_u32_e32 v4, s28, v4
	ds_store_b32 v28, v4
.LBB327_406:                            ;   in Loop: Header=BB327_20 Depth=1
	s_or_b32 exec_lo, exec_lo, s12
	s_load_b64 s[12:13], s[26:27], 0x0
	v_add_co_u32 v71, vcc_lo, v64, v63
	v_add_co_ci_u32_e32 v72, vcc_lo, 0, v65, vcc_lo
	v_or_b32_e32 v70, v63, v44
	s_mov_b32 s35, s34
	s_mov_b32 s24, s28
                                        ; implicit-def: $vgpr8_vgpr9
                                        ; implicit-def: $vgpr10_vgpr11
                                        ; implicit-def: $vgpr12_vgpr13
                                        ; implicit-def: $vgpr14_vgpr15
                                        ; implicit-def: $vgpr16_vgpr17
                                        ; implicit-def: $vgpr18_vgpr19
                                        ; implicit-def: $vgpr85
                                        ; implicit-def: $vgpr86
                                        ; implicit-def: $vgpr87
                                        ; implicit-def: $vgpr88
                                        ; implicit-def: $vgpr89
                                        ; implicit-def: $vgpr90
                                        ; implicit-def: $vgpr91
                                        ; implicit-def: $vgpr92
	s_delay_alu instid0(VALU_DEP_1)
	v_or_b32_e32 v75, 32, v70
	v_or_b32_e32 v76, 64, v70
	;; [unrolled: 1-line block ×7, first 2 shown]
	s_waitcnt lgkmcnt(0)
	s_cmp_lt_u32 s15, s13
	s_cselect_b32 s13, 14, 20
	s_delay_alu instid0(SALU_CYCLE_1) | instskip(SKIP_4) | instid1(SALU_CYCLE_1)
	s_add_u32 s16, s26, s13
	s_addc_u32 s17, s27, 0
	s_cmp_lt_u32 s14, s12
	global_load_u16 v4, v3, s[16:17]
	s_cselect_b32 s12, 12, 18
	s_add_u32 s12, s26, s12
	s_addc_u32 s13, s27, 0
	global_load_u16 v6, v3, s[12:13]
	v_cmp_eq_u32_e64 s12, 0, v2
	v_cmp_lt_u32_e64 s13, 1, v2
	v_cmp_lt_u32_e64 s16, 3, v2
	v_lshlrev_b32_e32 v2, 3, v63
	s_delay_alu instid0(VALU_DEP_1)
	v_add_co_u32 v73, vcc_lo, v61, v2
	v_add_co_ci_u32_e32 v74, vcc_lo, 0, v62, vcc_lo
	v_add_co_u32 v83, vcc_lo, 0xe0, v71
	v_add_co_ci_u32_e32 v84, vcc_lo, 0, v72, vcc_lo
	s_waitcnt vmcnt(1)
	v_mad_u32_u24 v7, v45, v4, v0
	s_waitcnt vmcnt(0)
	s_delay_alu instid0(VALU_DEP_1) | instskip(NEXT) | instid1(VALU_DEP_1)
	v_mad_u64_u32 v[4:5], null, v7, v6, v[1:2]
                                        ; implicit-def: $vgpr6_vgpr7
	v_lshrrev_b32_e32 v82, 5, v4
                                        ; implicit-def: $vgpr4_vgpr5
	s_branch .LBB327_408
.LBB327_407:                            ;   in Loop: Header=BB327_408 Depth=2
	s_or_b32 exec_lo, exec_lo, s17
	s_addk_i32 s35, 0xf800
	s_cmp_lt_u32 s42, s29
	s_mov_b32 s24, s42
	s_cbranch_scc0 .LBB327_520
.LBB327_408:                            ;   Parent Loop BB327_20 Depth=1
                                        ; =>  This Inner Loop Header: Depth=2
	s_add_i32 s42, s24, 0x800
	s_delay_alu instid0(SALU_CYCLE_1)
	s_cmp_gt_u32 s42, s29
	s_cbranch_scc1 .LBB327_411
; %bb.409:                              ;   in Loop: Header=BB327_408 Depth=2
	v_add_co_u32 v20, vcc_lo, v71, s24
	v_add_co_ci_u32_e32 v21, vcc_lo, 0, v72, vcc_lo
	s_mov_b32 s19, 0
	s_mov_b32 s18, s24
	s_mov_b32 s20, -1
	s_clause 0x6
	global_load_u8 v23, v[20:21], off offset:192
	global_load_u8 v24, v[20:21], off offset:160
	;; [unrolled: 1-line block ×6, first 2 shown]
	global_load_u8 v93, v[20:21], off
	s_movk_i32 s17, 0x800
	s_cbranch_execz .LBB327_412
; %bb.410:                              ;   in Loop: Header=BB327_408 Depth=2
                                        ; implicit-def: $vgpr22
	v_mov_b32_e32 v2, s35
	s_and_saveexec_b32 s21, s20
	s_cbranch_execnz .LBB327_421
	s_branch .LBB327_422
.LBB327_411:                            ;   in Loop: Header=BB327_408 Depth=2
	s_mov_b32 s19, -1
	s_mov_b32 s20, 0
                                        ; implicit-def: $sgpr17
                                        ; implicit-def: $vgpr93
                                        ; implicit-def: $vgpr95
                                        ; implicit-def: $vgpr27
                                        ; implicit-def: $vgpr26
                                        ; implicit-def: $vgpr25
                                        ; implicit-def: $vgpr24
                                        ; implicit-def: $vgpr23
.LBB327_412:                            ;   in Loop: Header=BB327_408 Depth=2
	v_add_co_u32 v20, vcc_lo, v71, s24
	v_add_co_ci_u32_e32 v21, vcc_lo, 0, v72, vcc_lo
	s_waitcnt vmcnt(0)
	v_dual_mov_b32 v93, 0x80 :: v_dual_mov_b32 v22, 0x80
	v_dual_mov_b32 v95, 0x80 :: v_dual_mov_b32 v26, 0x80
	;; [unrolled: 1-line block ×3, first 2 shown]
	v_mov_b32_e32 v25, 0x80
	v_mov_b32_e32 v23, 0x80
	s_mov_b32 s17, exec_lo
	v_cmpx_gt_u32_e64 s35, v70
	s_cbranch_execz .LBB327_514
; %bb.413:                              ;   in Loop: Header=BB327_408 Depth=2
	global_load_u8 v93, v[20:21], off
	v_dual_mov_b32 v95, 0x80 :: v_dual_mov_b32 v26, 0x80
	v_dual_mov_b32 v27, 0x80 :: v_dual_mov_b32 v24, 0x80
	;; [unrolled: 1-line block ×3, first 2 shown]
	v_mov_b32_e32 v23, 0x80
	s_or_b32 exec_lo, exec_lo, s17
	s_delay_alu instid0(SALU_CYCLE_1)
	s_mov_b32 s17, exec_lo
	v_cmpx_gt_u32_e64 s35, v75
	s_cbranch_execnz .LBB327_515
.LBB327_414:                            ;   in Loop: Header=BB327_408 Depth=2
	s_or_b32 exec_lo, exec_lo, s17
	s_delay_alu instid0(SALU_CYCLE_1)
	s_mov_b32 s17, exec_lo
	v_cmpx_gt_u32_e64 s35, v76
	s_cbranch_execz .LBB327_516
.LBB327_415:                            ;   in Loop: Header=BB327_408 Depth=2
	global_load_u8 v27, v[20:21], off offset:64
	s_or_b32 exec_lo, exec_lo, s17
	s_delay_alu instid0(SALU_CYCLE_1)
	s_mov_b32 s17, exec_lo
	v_cmpx_gt_u32_e64 s35, v77
	s_cbranch_execnz .LBB327_517
.LBB327_416:                            ;   in Loop: Header=BB327_408 Depth=2
	s_or_b32 exec_lo, exec_lo, s17
	s_delay_alu instid0(SALU_CYCLE_1)
	s_mov_b32 s17, exec_lo
	v_cmpx_gt_u32_e64 s35, v78
	s_cbranch_execz .LBB327_518
.LBB327_417:                            ;   in Loop: Header=BB327_408 Depth=2
	global_load_u8 v25, v[20:21], off offset:128
	s_or_b32 exec_lo, exec_lo, s17
	s_delay_alu instid0(SALU_CYCLE_1)
	s_mov_b32 s17, exec_lo
	v_cmpx_gt_u32_e64 s35, v79
	s_cbranch_execnz .LBB327_519
.LBB327_418:                            ;   in Loop: Header=BB327_408 Depth=2
	s_or_b32 exec_lo, exec_lo, s17
	s_delay_alu instid0(SALU_CYCLE_1)
	s_mov_b32 s17, exec_lo
	v_cmpx_gt_u32_e64 s35, v80
	s_cbranch_execz .LBB327_420
.LBB327_419:                            ;   in Loop: Header=BB327_408 Depth=2
	global_load_u8 v23, v[20:21], off offset:192
.LBB327_420:                            ;   in Loop: Header=BB327_408 Depth=2
	s_or_b32 exec_lo, exec_lo, s17
	v_cmp_gt_u32_e64 s20, s35, v81
	s_sub_i32 s17, s29, s24
	s_mov_b64 s[18:19], s[24:25]
	v_mov_b32_e32 v2, s35
	s_delay_alu instid0(VALU_DEP_2)
	s_and_saveexec_b32 s21, s20
	s_cbranch_execz .LBB327_422
.LBB327_421:                            ;   in Loop: Header=BB327_408 Depth=2
	v_add_co_u32 v20, vcc_lo, v83, s18
	v_add_co_ci_u32_e32 v21, vcc_lo, s19, v84, vcc_lo
	v_mov_b32_e32 v2, s17
	global_load_u8 v22, v[20:21], off
.LBB327_422:                            ;   in Loop: Header=BB327_408 Depth=2
	s_or_b32 exec_lo, exec_lo, s21
	s_waitcnt vmcnt(0)
	v_xor_b32_e32 v93, 0x7f, v93
	ds_store_b32 v46, v3 offset:1056
	ds_store_2addr_b32 v47, v3, v3 offset0:1 offset1:2
	ds_store_2addr_b32 v47, v3, v3 offset0:3 offset1:4
	;; [unrolled: 1-line block ×4, first 2 shown]
	s_waitcnt lgkmcnt(0)
	s_barrier
	v_and_b32_e32 v20, 0xff, v93
	buffer_gl0_inv
	; wave barrier
	v_lshrrev_b32_e32 v20, s49, v20
	s_delay_alu instid0(VALU_DEP_1) | instskip(NEXT) | instid1(VALU_DEP_1)
	v_and_b32_e32 v21, s31, v20
	v_and_b32_e32 v20, 1, v21
	v_lshlrev_b32_e32 v94, 30, v21
	v_lshlrev_b32_e32 v96, 29, v21
	;; [unrolled: 1-line block ×4, first 2 shown]
	v_add_co_u32 v20, s17, v20, -1
	s_delay_alu instid0(VALU_DEP_1)
	v_cndmask_b32_e64 v98, 0, 1, s17
	v_not_b32_e32 v102, v94
	v_cmp_gt_i32_e64 s17, 0, v94
	v_not_b32_e32 v94, v96
	v_lshlrev_b32_e32 v100, 26, v21
	v_cmp_ne_u32_e32 vcc_lo, 0, v98
	v_ashrrev_i32_e32 v102, 31, v102
	v_lshlrev_b32_e32 v101, 25, v21
	v_ashrrev_i32_e32 v94, 31, v94
	v_lshlrev_b32_e32 v98, 24, v21
	v_xor_b32_e32 v20, vcc_lo, v20
	v_cmp_gt_i32_e32 vcc_lo, 0, v96
	v_not_b32_e32 v96, v97
	v_xor_b32_e32 v102, s17, v102
	v_cmp_gt_i32_e64 s17, 0, v97
	v_and_b32_e32 v20, exec_lo, v20
	v_not_b32_e32 v97, v99
	v_ashrrev_i32_e32 v96, 31, v96
	v_xor_b32_e32 v94, vcc_lo, v94
	v_cmp_gt_i32_e32 vcc_lo, 0, v99
	v_and_b32_e32 v20, v20, v102
	v_not_b32_e32 v99, v100
	v_ashrrev_i32_e32 v97, 31, v97
	v_xor_b32_e32 v96, s17, v96
	v_cmp_gt_i32_e64 s17, 0, v100
	v_and_b32_e32 v20, v20, v94
	v_not_b32_e32 v94, v101
	v_ashrrev_i32_e32 v99, 31, v99
	v_xor_b32_e32 v97, vcc_lo, v97
	v_cmp_gt_i32_e32 vcc_lo, 0, v101
	v_and_b32_e32 v20, v20, v96
	v_not_b32_e32 v96, v98
	v_ashrrev_i32_e32 v94, 31, v94
	v_xor_b32_e32 v99, s17, v99
	v_cmp_gt_i32_e64 s17, 0, v98
	v_and_b32_e32 v20, v20, v97
	v_ashrrev_i32_e32 v96, 31, v96
	v_xor_b32_e32 v94, vcc_lo, v94
	v_mad_u32_u24 v21, v21, 9, v82
	s_delay_alu instid0(VALU_DEP_4) | instskip(NEXT) | instid1(VALU_DEP_4)
	v_and_b32_e32 v20, v20, v99
	v_xor_b32_e32 v96, s17, v96
	s_delay_alu instid0(VALU_DEP_2) | instskip(NEXT) | instid1(VALU_DEP_1)
	v_and_b32_e32 v20, v20, v94
	v_and_b32_e32 v20, v20, v96
	v_lshl_add_u32 v96, v21, 2, 0x420
	s_delay_alu instid0(VALU_DEP_2) | instskip(SKIP_1) | instid1(VALU_DEP_2)
	v_mbcnt_lo_u32_b32 v94, v20, 0
	v_cmp_ne_u32_e64 s17, 0, v20
	v_cmp_eq_u32_e32 vcc_lo, 0, v94
	s_delay_alu instid0(VALU_DEP_2) | instskip(NEXT) | instid1(SALU_CYCLE_1)
	s_and_b32 s18, s17, vcc_lo
	s_and_saveexec_b32 s17, s18
	s_cbranch_execz .LBB327_424
; %bb.423:                              ;   in Loop: Header=BB327_408 Depth=2
	v_bcnt_u32_b32 v20, v20, 0
	ds_store_b32 v96, v20
.LBB327_424:                            ;   in Loop: Header=BB327_408 Depth=2
	s_or_b32 exec_lo, exec_lo, s17
	v_xor_b32_e32 v95, 0x7f, v95
	; wave barrier
	s_delay_alu instid0(VALU_DEP_1) | instskip(NEXT) | instid1(VALU_DEP_1)
	v_and_b32_e32 v20, 0xff, v95
	v_lshrrev_b32_e32 v20, s49, v20
	s_delay_alu instid0(VALU_DEP_1) | instskip(NEXT) | instid1(VALU_DEP_1)
	v_and_b32_e32 v20, s31, v20
	v_and_b32_e32 v21, 1, v20
	v_lshlrev_b32_e32 v97, 30, v20
	v_lshlrev_b32_e32 v98, 29, v20
	;; [unrolled: 1-line block ×4, first 2 shown]
	v_add_co_u32 v21, s17, v21, -1
	s_delay_alu instid0(VALU_DEP_1)
	v_cndmask_b32_e64 v100, 0, 1, s17
	v_not_b32_e32 v104, v97
	v_cmp_gt_i32_e64 s17, 0, v97
	v_not_b32_e32 v97, v98
	v_lshlrev_b32_e32 v102, 26, v20
	v_cmp_ne_u32_e32 vcc_lo, 0, v100
	v_ashrrev_i32_e32 v104, 31, v104
	v_lshlrev_b32_e32 v103, 25, v20
	v_ashrrev_i32_e32 v97, 31, v97
	v_lshlrev_b32_e32 v100, 24, v20
	v_xor_b32_e32 v21, vcc_lo, v21
	v_cmp_gt_i32_e32 vcc_lo, 0, v98
	v_not_b32_e32 v98, v99
	v_xor_b32_e32 v104, s17, v104
	v_cmp_gt_i32_e64 s17, 0, v99
	v_and_b32_e32 v21, exec_lo, v21
	v_not_b32_e32 v99, v101
	v_ashrrev_i32_e32 v98, 31, v98
	v_xor_b32_e32 v97, vcc_lo, v97
	v_cmp_gt_i32_e32 vcc_lo, 0, v101
	v_and_b32_e32 v21, v21, v104
	v_not_b32_e32 v101, v102
	v_ashrrev_i32_e32 v99, 31, v99
	v_xor_b32_e32 v98, s17, v98
	v_cmp_gt_i32_e64 s17, 0, v102
	v_and_b32_e32 v21, v21, v97
	v_not_b32_e32 v97, v103
	v_ashrrev_i32_e32 v101, 31, v101
	v_xor_b32_e32 v99, vcc_lo, v99
	v_cmp_gt_i32_e32 vcc_lo, 0, v103
	v_and_b32_e32 v21, v21, v98
	v_not_b32_e32 v98, v100
	v_ashrrev_i32_e32 v97, 31, v97
	v_xor_b32_e32 v101, s17, v101
	v_mul_u32_u24_e32 v20, 9, v20
	v_and_b32_e32 v21, v21, v99
	v_cmp_gt_i32_e64 s17, 0, v100
	v_ashrrev_i32_e32 v98, 31, v98
	v_xor_b32_e32 v97, vcc_lo, v97
	v_add_lshl_u32 v99, v20, v82, 2
	v_and_b32_e32 v21, v21, v101
	s_delay_alu instid0(VALU_DEP_4) | instskip(NEXT) | instid1(VALU_DEP_3)
	v_xor_b32_e32 v20, s17, v98
	v_add_nc_u32_e32 v100, 0x420, v99
	s_delay_alu instid0(VALU_DEP_3) | instskip(SKIP_2) | instid1(VALU_DEP_1)
	v_and_b32_e32 v21, v21, v97
	ds_load_b32 v97, v99 offset:1056
	; wave barrier
	v_and_b32_e32 v20, v21, v20
	v_mbcnt_lo_u32_b32 v98, v20, 0
	v_cmp_ne_u32_e64 s17, 0, v20
	s_delay_alu instid0(VALU_DEP_2) | instskip(NEXT) | instid1(VALU_DEP_2)
	v_cmp_eq_u32_e32 vcc_lo, 0, v98
	s_and_b32 s18, s17, vcc_lo
	s_delay_alu instid0(SALU_CYCLE_1)
	s_and_saveexec_b32 s17, s18
	s_cbranch_execz .LBB327_426
; %bb.425:                              ;   in Loop: Header=BB327_408 Depth=2
	s_waitcnt lgkmcnt(0)
	v_bcnt_u32_b32 v20, v20, v97
	ds_store_b32 v100, v20
.LBB327_426:                            ;   in Loop: Header=BB327_408 Depth=2
	s_or_b32 exec_lo, exec_lo, s17
	v_xor_b32_e32 v99, 0x7f, v27
	; wave barrier
	s_delay_alu instid0(VALU_DEP_1) | instskip(NEXT) | instid1(VALU_DEP_1)
	v_and_b32_e32 v20, 0xff, v99
	v_lshrrev_b32_e32 v20, s49, v20
	s_delay_alu instid0(VALU_DEP_1) | instskip(NEXT) | instid1(VALU_DEP_1)
	v_and_b32_e32 v20, s31, v20
	v_and_b32_e32 v21, 1, v20
	v_lshlrev_b32_e32 v27, 30, v20
	v_lshlrev_b32_e32 v101, 29, v20
	v_lshlrev_b32_e32 v102, 28, v20
	v_lshlrev_b32_e32 v104, 27, v20
	v_add_co_u32 v21, s17, v21, -1
	s_delay_alu instid0(VALU_DEP_1)
	v_cndmask_b32_e64 v103, 0, 1, s17
	v_not_b32_e32 v107, v27
	v_cmp_gt_i32_e64 s17, 0, v27
	v_not_b32_e32 v27, v101
	v_lshlrev_b32_e32 v105, 26, v20
	v_cmp_ne_u32_e32 vcc_lo, 0, v103
	v_ashrrev_i32_e32 v107, 31, v107
	v_lshlrev_b32_e32 v106, 25, v20
	v_ashrrev_i32_e32 v27, 31, v27
	v_lshlrev_b32_e32 v103, 24, v20
	v_xor_b32_e32 v21, vcc_lo, v21
	v_cmp_gt_i32_e32 vcc_lo, 0, v101
	v_not_b32_e32 v101, v102
	v_xor_b32_e32 v107, s17, v107
	v_cmp_gt_i32_e64 s17, 0, v102
	v_and_b32_e32 v21, exec_lo, v21
	v_not_b32_e32 v102, v104
	v_ashrrev_i32_e32 v101, 31, v101
	v_xor_b32_e32 v27, vcc_lo, v27
	v_cmp_gt_i32_e32 vcc_lo, 0, v104
	v_and_b32_e32 v21, v21, v107
	v_not_b32_e32 v104, v105
	v_ashrrev_i32_e32 v102, 31, v102
	v_xor_b32_e32 v101, s17, v101
	v_cmp_gt_i32_e64 s17, 0, v105
	v_and_b32_e32 v21, v21, v27
	v_not_b32_e32 v27, v106
	v_ashrrev_i32_e32 v104, 31, v104
	v_xor_b32_e32 v102, vcc_lo, v102
	v_cmp_gt_i32_e32 vcc_lo, 0, v106
	v_and_b32_e32 v21, v21, v101
	v_not_b32_e32 v101, v103
	v_ashrrev_i32_e32 v27, 31, v27
	v_xor_b32_e32 v104, s17, v104
	v_mul_u32_u24_e32 v20, 9, v20
	v_and_b32_e32 v21, v21, v102
	v_cmp_gt_i32_e64 s17, 0, v103
	v_ashrrev_i32_e32 v101, 31, v101
	v_xor_b32_e32 v27, vcc_lo, v27
	v_add_lshl_u32 v103, v20, v82, 2
	v_and_b32_e32 v21, v21, v104
	s_delay_alu instid0(VALU_DEP_4) | instskip(SKIP_3) | instid1(VALU_DEP_2)
	v_xor_b32_e32 v20, s17, v101
	ds_load_b32 v101, v103 offset:1056
	v_and_b32_e32 v21, v21, v27
	v_add_nc_u32_e32 v104, 0x420, v103
	; wave barrier
	v_and_b32_e32 v20, v21, v20
	s_delay_alu instid0(VALU_DEP_1) | instskip(SKIP_1) | instid1(VALU_DEP_2)
	v_mbcnt_lo_u32_b32 v102, v20, 0
	v_cmp_ne_u32_e64 s17, 0, v20
	v_cmp_eq_u32_e32 vcc_lo, 0, v102
	s_delay_alu instid0(VALU_DEP_2) | instskip(NEXT) | instid1(SALU_CYCLE_1)
	s_and_b32 s18, s17, vcc_lo
	s_and_saveexec_b32 s17, s18
	s_cbranch_execz .LBB327_428
; %bb.427:                              ;   in Loop: Header=BB327_408 Depth=2
	s_waitcnt lgkmcnt(0)
	v_bcnt_u32_b32 v20, v20, v101
	ds_store_b32 v104, v20
.LBB327_428:                            ;   in Loop: Header=BB327_408 Depth=2
	s_or_b32 exec_lo, exec_lo, s17
	v_xor_b32_e32 v103, 0x7f, v26
	; wave barrier
	s_delay_alu instid0(VALU_DEP_1) | instskip(NEXT) | instid1(VALU_DEP_1)
	v_and_b32_e32 v20, 0xff, v103
	v_lshrrev_b32_e32 v20, s49, v20
	s_delay_alu instid0(VALU_DEP_1) | instskip(NEXT) | instid1(VALU_DEP_1)
	v_and_b32_e32 v20, s31, v20
	v_and_b32_e32 v21, 1, v20
	v_lshlrev_b32_e32 v26, 30, v20
	v_lshlrev_b32_e32 v27, 29, v20
	;; [unrolled: 1-line block ×4, first 2 shown]
	v_add_co_u32 v21, s17, v21, -1
	s_delay_alu instid0(VALU_DEP_1)
	v_cndmask_b32_e64 v106, 0, 1, s17
	v_not_b32_e32 v110, v26
	v_cmp_gt_i32_e64 s17, 0, v26
	v_not_b32_e32 v26, v27
	v_lshlrev_b32_e32 v108, 26, v20
	v_cmp_ne_u32_e32 vcc_lo, 0, v106
	v_ashrrev_i32_e32 v110, 31, v110
	v_lshlrev_b32_e32 v109, 25, v20
	v_ashrrev_i32_e32 v26, 31, v26
	v_lshlrev_b32_e32 v106, 24, v20
	v_xor_b32_e32 v21, vcc_lo, v21
	v_cmp_gt_i32_e32 vcc_lo, 0, v27
	v_not_b32_e32 v27, v105
	v_xor_b32_e32 v110, s17, v110
	v_cmp_gt_i32_e64 s17, 0, v105
	v_and_b32_e32 v21, exec_lo, v21
	v_not_b32_e32 v105, v107
	v_ashrrev_i32_e32 v27, 31, v27
	v_xor_b32_e32 v26, vcc_lo, v26
	v_cmp_gt_i32_e32 vcc_lo, 0, v107
	v_and_b32_e32 v21, v21, v110
	v_not_b32_e32 v107, v108
	v_ashrrev_i32_e32 v105, 31, v105
	v_xor_b32_e32 v27, s17, v27
	v_cmp_gt_i32_e64 s17, 0, v108
	v_and_b32_e32 v21, v21, v26
	v_not_b32_e32 v26, v109
	v_ashrrev_i32_e32 v107, 31, v107
	v_xor_b32_e32 v105, vcc_lo, v105
	v_cmp_gt_i32_e32 vcc_lo, 0, v109
	v_and_b32_e32 v21, v21, v27
	v_not_b32_e32 v27, v106
	v_ashrrev_i32_e32 v26, 31, v26
	v_xor_b32_e32 v107, s17, v107
	v_mul_u32_u24_e32 v20, 9, v20
	v_and_b32_e32 v21, v21, v105
	v_cmp_gt_i32_e64 s17, 0, v106
	v_ashrrev_i32_e32 v27, 31, v27
	v_xor_b32_e32 v26, vcc_lo, v26
	s_delay_alu instid0(VALU_DEP_4) | instskip(SKIP_1) | instid1(VALU_DEP_4)
	v_and_b32_e32 v21, v21, v107
	v_add_lshl_u32 v107, v20, v82, 2
	v_xor_b32_e32 v20, s17, v27
	s_delay_alu instid0(VALU_DEP_3) | instskip(SKIP_3) | instid1(VALU_DEP_1)
	v_and_b32_e32 v21, v21, v26
	ds_load_b32 v105, v107 offset:1056
	v_add_nc_u32_e32 v108, 0x420, v107
	; wave barrier
	v_and_b32_e32 v20, v21, v20
	v_mbcnt_lo_u32_b32 v106, v20, 0
	v_cmp_ne_u32_e64 s17, 0, v20
	s_delay_alu instid0(VALU_DEP_2) | instskip(NEXT) | instid1(VALU_DEP_2)
	v_cmp_eq_u32_e32 vcc_lo, 0, v106
	s_and_b32 s18, s17, vcc_lo
	s_delay_alu instid0(SALU_CYCLE_1)
	s_and_saveexec_b32 s17, s18
	s_cbranch_execz .LBB327_430
; %bb.429:                              ;   in Loop: Header=BB327_408 Depth=2
	s_waitcnt lgkmcnt(0)
	v_bcnt_u32_b32 v20, v20, v105
	ds_store_b32 v108, v20
.LBB327_430:                            ;   in Loop: Header=BB327_408 Depth=2
	s_or_b32 exec_lo, exec_lo, s17
	v_xor_b32_e32 v107, 0x7f, v25
	; wave barrier
	s_delay_alu instid0(VALU_DEP_1) | instskip(NEXT) | instid1(VALU_DEP_1)
	v_and_b32_e32 v20, 0xff, v107
	v_lshrrev_b32_e32 v20, s49, v20
	s_delay_alu instid0(VALU_DEP_1) | instskip(NEXT) | instid1(VALU_DEP_1)
	v_and_b32_e32 v20, s31, v20
	v_and_b32_e32 v21, 1, v20
	v_lshlrev_b32_e32 v25, 30, v20
	v_lshlrev_b32_e32 v26, 29, v20
	;; [unrolled: 1-line block ×4, first 2 shown]
	v_add_co_u32 v21, s17, v21, -1
	s_delay_alu instid0(VALU_DEP_1)
	v_cndmask_b32_e64 v109, 0, 1, s17
	v_not_b32_e32 v113, v25
	v_cmp_gt_i32_e64 s17, 0, v25
	v_not_b32_e32 v25, v26
	v_lshlrev_b32_e32 v111, 26, v20
	v_cmp_ne_u32_e32 vcc_lo, 0, v109
	v_ashrrev_i32_e32 v113, 31, v113
	v_lshlrev_b32_e32 v112, 25, v20
	v_ashrrev_i32_e32 v25, 31, v25
	v_lshlrev_b32_e32 v109, 24, v20
	v_xor_b32_e32 v21, vcc_lo, v21
	v_cmp_gt_i32_e32 vcc_lo, 0, v26
	v_not_b32_e32 v26, v27
	v_xor_b32_e32 v113, s17, v113
	v_cmp_gt_i32_e64 s17, 0, v27
	v_and_b32_e32 v21, exec_lo, v21
	v_not_b32_e32 v27, v110
	v_ashrrev_i32_e32 v26, 31, v26
	v_xor_b32_e32 v25, vcc_lo, v25
	v_cmp_gt_i32_e32 vcc_lo, 0, v110
	v_and_b32_e32 v21, v21, v113
	v_not_b32_e32 v110, v111
	v_ashrrev_i32_e32 v27, 31, v27
	v_xor_b32_e32 v26, s17, v26
	v_cmp_gt_i32_e64 s17, 0, v111
	v_and_b32_e32 v21, v21, v25
	v_not_b32_e32 v25, v112
	v_ashrrev_i32_e32 v110, 31, v110
	v_xor_b32_e32 v27, vcc_lo, v27
	v_cmp_gt_i32_e32 vcc_lo, 0, v112
	v_and_b32_e32 v21, v21, v26
	v_not_b32_e32 v26, v109
	v_ashrrev_i32_e32 v25, 31, v25
	v_xor_b32_e32 v110, s17, v110
	v_mul_u32_u24_e32 v20, 9, v20
	v_and_b32_e32 v21, v21, v27
	v_cmp_gt_i32_e64 s17, 0, v109
	v_ashrrev_i32_e32 v26, 31, v26
	v_xor_b32_e32 v25, vcc_lo, v25
	v_add_lshl_u32 v27, v20, v82, 2
	v_and_b32_e32 v21, v21, v110
	s_delay_alu instid0(VALU_DEP_4) | instskip(SKIP_3) | instid1(VALU_DEP_2)
	v_xor_b32_e32 v20, s17, v26
	ds_load_b32 v109, v27 offset:1056
	v_and_b32_e32 v21, v21, v25
	v_add_nc_u32_e32 v112, 0x420, v27
	; wave barrier
	v_and_b32_e32 v20, v21, v20
	s_delay_alu instid0(VALU_DEP_1) | instskip(SKIP_1) | instid1(VALU_DEP_2)
	v_mbcnt_lo_u32_b32 v110, v20, 0
	v_cmp_ne_u32_e64 s17, 0, v20
	v_cmp_eq_u32_e32 vcc_lo, 0, v110
	s_delay_alu instid0(VALU_DEP_2) | instskip(NEXT) | instid1(SALU_CYCLE_1)
	s_and_b32 s18, s17, vcc_lo
	s_and_saveexec_b32 s17, s18
	s_cbranch_execz .LBB327_432
; %bb.431:                              ;   in Loop: Header=BB327_408 Depth=2
	s_waitcnt lgkmcnt(0)
	v_bcnt_u32_b32 v20, v20, v109
	ds_store_b32 v112, v20
.LBB327_432:                            ;   in Loop: Header=BB327_408 Depth=2
	s_or_b32 exec_lo, exec_lo, s17
	v_xor_b32_e32 v111, 0x7f, v24
	; wave barrier
	s_delay_alu instid0(VALU_DEP_1) | instskip(NEXT) | instid1(VALU_DEP_1)
	v_and_b32_e32 v20, 0xff, v111
	v_lshrrev_b32_e32 v20, s49, v20
	s_delay_alu instid0(VALU_DEP_1) | instskip(NEXT) | instid1(VALU_DEP_1)
	v_and_b32_e32 v20, s31, v20
	v_and_b32_e32 v21, 1, v20
	v_lshlrev_b32_e32 v24, 30, v20
	v_lshlrev_b32_e32 v25, 29, v20
	;; [unrolled: 1-line block ×4, first 2 shown]
	v_add_co_u32 v21, s17, v21, -1
	s_delay_alu instid0(VALU_DEP_1)
	v_cndmask_b32_e64 v27, 0, 1, s17
	v_not_b32_e32 v116, v24
	v_cmp_gt_i32_e64 s17, 0, v24
	v_not_b32_e32 v24, v25
	v_lshlrev_b32_e32 v114, 26, v20
	v_cmp_ne_u32_e32 vcc_lo, 0, v27
	v_ashrrev_i32_e32 v116, 31, v116
	v_lshlrev_b32_e32 v115, 25, v20
	v_ashrrev_i32_e32 v24, 31, v24
	v_lshlrev_b32_e32 v27, 24, v20
	v_xor_b32_e32 v21, vcc_lo, v21
	v_cmp_gt_i32_e32 vcc_lo, 0, v25
	v_not_b32_e32 v25, v26
	v_xor_b32_e32 v116, s17, v116
	v_cmp_gt_i32_e64 s17, 0, v26
	v_and_b32_e32 v21, exec_lo, v21
	v_not_b32_e32 v26, v113
	v_ashrrev_i32_e32 v25, 31, v25
	v_xor_b32_e32 v24, vcc_lo, v24
	v_cmp_gt_i32_e32 vcc_lo, 0, v113
	v_and_b32_e32 v21, v21, v116
	v_not_b32_e32 v113, v114
	v_ashrrev_i32_e32 v26, 31, v26
	v_xor_b32_e32 v25, s17, v25
	v_cmp_gt_i32_e64 s17, 0, v114
	v_and_b32_e32 v21, v21, v24
	v_not_b32_e32 v24, v115
	v_ashrrev_i32_e32 v113, 31, v113
	v_xor_b32_e32 v26, vcc_lo, v26
	v_cmp_gt_i32_e32 vcc_lo, 0, v115
	v_and_b32_e32 v21, v21, v25
	v_not_b32_e32 v25, v27
	v_ashrrev_i32_e32 v24, 31, v24
	v_xor_b32_e32 v113, s17, v113
	v_mul_u32_u24_e32 v20, 9, v20
	v_and_b32_e32 v21, v21, v26
	v_cmp_gt_i32_e64 s17, 0, v27
	v_ashrrev_i32_e32 v25, 31, v25
	v_xor_b32_e32 v24, vcc_lo, v24
	v_add_lshl_u32 v26, v20, v82, 2
	v_and_b32_e32 v21, v21, v113
	s_delay_alu instid0(VALU_DEP_4) | instskip(SKIP_3) | instid1(VALU_DEP_2)
	v_xor_b32_e32 v20, s17, v25
	ds_load_b32 v113, v26 offset:1056
	v_and_b32_e32 v21, v21, v24
	v_add_nc_u32_e32 v116, 0x420, v26
	; wave barrier
	v_and_b32_e32 v20, v21, v20
	s_delay_alu instid0(VALU_DEP_1) | instskip(SKIP_1) | instid1(VALU_DEP_2)
	v_mbcnt_lo_u32_b32 v114, v20, 0
	v_cmp_ne_u32_e64 s17, 0, v20
	v_cmp_eq_u32_e32 vcc_lo, 0, v114
	s_delay_alu instid0(VALU_DEP_2) | instskip(NEXT) | instid1(SALU_CYCLE_1)
	s_and_b32 s18, s17, vcc_lo
	s_and_saveexec_b32 s17, s18
	s_cbranch_execz .LBB327_434
; %bb.433:                              ;   in Loop: Header=BB327_408 Depth=2
	s_waitcnt lgkmcnt(0)
	v_bcnt_u32_b32 v20, v20, v113
	ds_store_b32 v116, v20
.LBB327_434:                            ;   in Loop: Header=BB327_408 Depth=2
	s_or_b32 exec_lo, exec_lo, s17
	v_xor_b32_e32 v115, 0x7f, v23
	; wave barrier
	s_delay_alu instid0(VALU_DEP_1) | instskip(NEXT) | instid1(VALU_DEP_1)
	v_and_b32_e32 v20, 0xff, v115
	v_lshrrev_b32_e32 v20, s49, v20
	s_delay_alu instid0(VALU_DEP_1) | instskip(NEXT) | instid1(VALU_DEP_1)
	v_and_b32_e32 v20, s31, v20
	v_and_b32_e32 v21, 1, v20
	v_lshlrev_b32_e32 v23, 30, v20
	v_lshlrev_b32_e32 v24, 29, v20
	;; [unrolled: 1-line block ×4, first 2 shown]
	v_add_co_u32 v21, s17, v21, -1
	s_delay_alu instid0(VALU_DEP_1)
	v_cndmask_b32_e64 v26, 0, 1, s17
	v_not_b32_e32 v119, v23
	v_cmp_gt_i32_e64 s17, 0, v23
	v_not_b32_e32 v23, v24
	v_lshlrev_b32_e32 v117, 26, v20
	v_cmp_ne_u32_e32 vcc_lo, 0, v26
	v_ashrrev_i32_e32 v119, 31, v119
	v_lshlrev_b32_e32 v118, 25, v20
	v_ashrrev_i32_e32 v23, 31, v23
	v_lshlrev_b32_e32 v26, 24, v20
	v_xor_b32_e32 v21, vcc_lo, v21
	v_cmp_gt_i32_e32 vcc_lo, 0, v24
	v_not_b32_e32 v24, v25
	v_xor_b32_e32 v119, s17, v119
	v_cmp_gt_i32_e64 s17, 0, v25
	v_and_b32_e32 v21, exec_lo, v21
	v_not_b32_e32 v25, v27
	v_ashrrev_i32_e32 v24, 31, v24
	v_xor_b32_e32 v23, vcc_lo, v23
	v_cmp_gt_i32_e32 vcc_lo, 0, v27
	v_and_b32_e32 v21, v21, v119
	v_not_b32_e32 v27, v117
	v_ashrrev_i32_e32 v25, 31, v25
	v_xor_b32_e32 v24, s17, v24
	v_cmp_gt_i32_e64 s17, 0, v117
	v_and_b32_e32 v21, v21, v23
	v_not_b32_e32 v23, v118
	v_ashrrev_i32_e32 v27, 31, v27
	v_xor_b32_e32 v25, vcc_lo, v25
	v_cmp_gt_i32_e32 vcc_lo, 0, v118
	v_and_b32_e32 v21, v21, v24
	v_not_b32_e32 v24, v26
	v_ashrrev_i32_e32 v23, 31, v23
	v_xor_b32_e32 v27, s17, v27
	v_mul_u32_u24_e32 v20, 9, v20
	v_and_b32_e32 v21, v21, v25
	v_cmp_gt_i32_e64 s17, 0, v26
	v_ashrrev_i32_e32 v24, 31, v24
	v_xor_b32_e32 v23, vcc_lo, v23
	v_add_lshl_u32 v25, v20, v82, 2
	v_and_b32_e32 v21, v21, v27
	s_delay_alu instid0(VALU_DEP_4) | instskip(SKIP_3) | instid1(VALU_DEP_2)
	v_xor_b32_e32 v20, s17, v24
	ds_load_b32 v117, v25 offset:1056
	v_and_b32_e32 v21, v21, v23
	v_add_nc_u32_e32 v120, 0x420, v25
	; wave barrier
	v_and_b32_e32 v20, v21, v20
	s_delay_alu instid0(VALU_DEP_1) | instskip(SKIP_1) | instid1(VALU_DEP_2)
	v_mbcnt_lo_u32_b32 v118, v20, 0
	v_cmp_ne_u32_e64 s17, 0, v20
	v_cmp_eq_u32_e32 vcc_lo, 0, v118
	s_delay_alu instid0(VALU_DEP_2) | instskip(NEXT) | instid1(SALU_CYCLE_1)
	s_and_b32 s18, s17, vcc_lo
	s_and_saveexec_b32 s17, s18
	s_cbranch_execz .LBB327_436
; %bb.435:                              ;   in Loop: Header=BB327_408 Depth=2
	s_waitcnt lgkmcnt(0)
	v_bcnt_u32_b32 v20, v20, v117
	ds_store_b32 v120, v20
.LBB327_436:                            ;   in Loop: Header=BB327_408 Depth=2
	s_or_b32 exec_lo, exec_lo, s17
	v_xor_b32_e32 v119, 0x7f, v22
	; wave barrier
	s_delay_alu instid0(VALU_DEP_1) | instskip(NEXT) | instid1(VALU_DEP_1)
	v_and_b32_e32 v20, 0xff, v119
	v_lshrrev_b32_e32 v20, s49, v20
	s_delay_alu instid0(VALU_DEP_1) | instskip(NEXT) | instid1(VALU_DEP_1)
	v_and_b32_e32 v20, s31, v20
	v_and_b32_e32 v21, 1, v20
	v_lshlrev_b32_e32 v22, 30, v20
	v_lshlrev_b32_e32 v23, 29, v20
	;; [unrolled: 1-line block ×4, first 2 shown]
	v_add_co_u32 v21, s17, v21, -1
	s_delay_alu instid0(VALU_DEP_1)
	v_cndmask_b32_e64 v25, 0, 1, s17
	v_not_b32_e32 v122, v22
	v_cmp_gt_i32_e64 s17, 0, v22
	v_not_b32_e32 v22, v23
	v_lshlrev_b32_e32 v27, 26, v20
	v_cmp_ne_u32_e32 vcc_lo, 0, v25
	v_ashrrev_i32_e32 v122, 31, v122
	v_lshlrev_b32_e32 v121, 25, v20
	v_ashrrev_i32_e32 v22, 31, v22
	v_lshlrev_b32_e32 v25, 24, v20
	v_xor_b32_e32 v21, vcc_lo, v21
	v_cmp_gt_i32_e32 vcc_lo, 0, v23
	v_not_b32_e32 v23, v24
	v_xor_b32_e32 v122, s17, v122
	v_cmp_gt_i32_e64 s17, 0, v24
	v_and_b32_e32 v21, exec_lo, v21
	v_not_b32_e32 v24, v26
	v_ashrrev_i32_e32 v23, 31, v23
	v_xor_b32_e32 v22, vcc_lo, v22
	v_cmp_gt_i32_e32 vcc_lo, 0, v26
	v_and_b32_e32 v21, v21, v122
	v_not_b32_e32 v26, v27
	v_ashrrev_i32_e32 v24, 31, v24
	v_xor_b32_e32 v23, s17, v23
	v_cmp_gt_i32_e64 s17, 0, v27
	v_and_b32_e32 v21, v21, v22
	v_not_b32_e32 v22, v121
	v_ashrrev_i32_e32 v26, 31, v26
	v_xor_b32_e32 v24, vcc_lo, v24
	v_cmp_gt_i32_e32 vcc_lo, 0, v121
	v_and_b32_e32 v21, v21, v23
	v_not_b32_e32 v23, v25
	v_ashrrev_i32_e32 v22, 31, v22
	v_xor_b32_e32 v26, s17, v26
	v_mul_u32_u24_e32 v20, 9, v20
	v_and_b32_e32 v21, v21, v24
	v_cmp_gt_i32_e64 s17, 0, v25
	v_ashrrev_i32_e32 v23, 31, v23
	v_xor_b32_e32 v22, vcc_lo, v22
	v_add_lshl_u32 v24, v20, v82, 2
	v_and_b32_e32 v21, v21, v26
	s_delay_alu instid0(VALU_DEP_4) | instskip(SKIP_3) | instid1(VALU_DEP_2)
	v_xor_b32_e32 v20, s17, v23
	ds_load_b32 v121, v24 offset:1056
	v_and_b32_e32 v21, v21, v22
	v_add_nc_u32_e32 v123, 0x420, v24
	; wave barrier
	v_and_b32_e32 v20, v21, v20
	s_delay_alu instid0(VALU_DEP_1) | instskip(SKIP_1) | instid1(VALU_DEP_2)
	v_mbcnt_lo_u32_b32 v122, v20, 0
	v_cmp_ne_u32_e64 s17, 0, v20
	v_cmp_eq_u32_e32 vcc_lo, 0, v122
	s_delay_alu instid0(VALU_DEP_2) | instskip(NEXT) | instid1(SALU_CYCLE_1)
	s_and_b32 s18, s17, vcc_lo
	s_and_saveexec_b32 s17, s18
	s_cbranch_execz .LBB327_438
; %bb.437:                              ;   in Loop: Header=BB327_408 Depth=2
	s_waitcnt lgkmcnt(0)
	v_bcnt_u32_b32 v20, v20, v121
	ds_store_b32 v123, v20
.LBB327_438:                            ;   in Loop: Header=BB327_408 Depth=2
	s_or_b32 exec_lo, exec_lo, s17
	; wave barrier
	s_waitcnt lgkmcnt(0)
	s_barrier
	buffer_gl0_inv
	ds_load_b32 v124, v46 offset:1056
	ds_load_2addr_b32 v[26:27], v47 offset0:1 offset1:2
	ds_load_2addr_b32 v[24:25], v47 offset0:3 offset1:4
	;; [unrolled: 1-line block ×4, first 2 shown]
	s_waitcnt lgkmcnt(3)
	v_add3_u32 v125, v26, v124, v27
	s_waitcnt lgkmcnt(2)
	s_delay_alu instid0(VALU_DEP_1) | instskip(SKIP_1) | instid1(VALU_DEP_1)
	v_add3_u32 v125, v125, v24, v25
	s_waitcnt lgkmcnt(1)
	v_add3_u32 v125, v125, v20, v21
	s_waitcnt lgkmcnt(0)
	s_delay_alu instid0(VALU_DEP_1) | instskip(NEXT) | instid1(VALU_DEP_1)
	v_add3_u32 v23, v125, v22, v23
	v_mov_b32_dpp v125, v23 row_shr:1 row_mask:0xf bank_mask:0xf
	s_delay_alu instid0(VALU_DEP_1) | instskip(NEXT) | instid1(VALU_DEP_1)
	v_cndmask_b32_e64 v125, v125, 0, s0
	v_add_nc_u32_e32 v23, v125, v23
	s_delay_alu instid0(VALU_DEP_1) | instskip(NEXT) | instid1(VALU_DEP_1)
	v_mov_b32_dpp v125, v23 row_shr:2 row_mask:0xf bank_mask:0xf
	v_cndmask_b32_e64 v125, 0, v125, s1
	s_delay_alu instid0(VALU_DEP_1) | instskip(NEXT) | instid1(VALU_DEP_1)
	v_add_nc_u32_e32 v23, v23, v125
	v_mov_b32_dpp v125, v23 row_shr:4 row_mask:0xf bank_mask:0xf
	s_delay_alu instid0(VALU_DEP_1) | instskip(NEXT) | instid1(VALU_DEP_1)
	v_cndmask_b32_e64 v125, 0, v125, s8
	v_add_nc_u32_e32 v23, v23, v125
	s_delay_alu instid0(VALU_DEP_1) | instskip(NEXT) | instid1(VALU_DEP_1)
	v_mov_b32_dpp v125, v23 row_shr:8 row_mask:0xf bank_mask:0xf
	v_cndmask_b32_e64 v125, 0, v125, s9
	s_delay_alu instid0(VALU_DEP_1) | instskip(SKIP_3) | instid1(VALU_DEP_1)
	v_add_nc_u32_e32 v23, v23, v125
	ds_swizzle_b32 v125, v23 offset:swizzle(BROADCAST,32,15)
	s_waitcnt lgkmcnt(0)
	v_cndmask_b32_e64 v125, v125, 0, s10
	v_add_nc_u32_e32 v23, v23, v125
	s_and_saveexec_b32 s17, s3
	s_cbranch_execz .LBB327_440
; %bb.439:                              ;   in Loop: Header=BB327_408 Depth=2
	ds_store_b32 v38, v23 offset:1024
.LBB327_440:                            ;   in Loop: Header=BB327_408 Depth=2
	s_or_b32 exec_lo, exec_lo, s17
	s_waitcnt lgkmcnt(0)
	s_barrier
	buffer_gl0_inv
	s_and_saveexec_b32 s17, s4
	s_cbranch_execz .LBB327_442
; %bb.441:                              ;   in Loop: Header=BB327_408 Depth=2
	v_add_nc_u32_e32 v125, v46, v48
	ds_load_b32 v126, v125 offset:1024
	s_waitcnt lgkmcnt(0)
	v_mov_b32_dpp v127, v126 row_shr:1 row_mask:0xf bank_mask:0xf
	s_delay_alu instid0(VALU_DEP_1) | instskip(NEXT) | instid1(VALU_DEP_1)
	v_cndmask_b32_e64 v127, v127, 0, s12
	v_add_nc_u32_e32 v126, v127, v126
	s_delay_alu instid0(VALU_DEP_1) | instskip(NEXT) | instid1(VALU_DEP_1)
	v_mov_b32_dpp v127, v126 row_shr:2 row_mask:0xf bank_mask:0xf
	v_cndmask_b32_e64 v127, 0, v127, s13
	s_delay_alu instid0(VALU_DEP_1) | instskip(NEXT) | instid1(VALU_DEP_1)
	v_add_nc_u32_e32 v126, v126, v127
	v_mov_b32_dpp v127, v126 row_shr:4 row_mask:0xf bank_mask:0xf
	s_delay_alu instid0(VALU_DEP_1) | instskip(NEXT) | instid1(VALU_DEP_1)
	v_cndmask_b32_e64 v127, 0, v127, s16
	v_add_nc_u32_e32 v126, v126, v127
	ds_store_b32 v125, v126 offset:1024
.LBB327_442:                            ;   in Loop: Header=BB327_408 Depth=2
	s_or_b32 exec_lo, exec_lo, s17
	v_mov_b32_e32 v125, 0
	s_waitcnt lgkmcnt(0)
	s_barrier
	buffer_gl0_inv
	s_and_saveexec_b32 s17, s5
	s_cbranch_execz .LBB327_444
; %bb.443:                              ;   in Loop: Header=BB327_408 Depth=2
	ds_load_b32 v125, v38 offset:1020
.LBB327_444:                            ;   in Loop: Header=BB327_408 Depth=2
	s_or_b32 exec_lo, exec_lo, s17
	s_waitcnt lgkmcnt(0)
	v_add_nc_u32_e32 v23, v125, v23
	ds_bpermute_b32 v23, v69, v23
	s_waitcnt lgkmcnt(0)
	v_cndmask_b32_e64 v23, v23, v125, s11
	s_delay_alu instid0(VALU_DEP_1) | instskip(NEXT) | instid1(VALU_DEP_1)
	v_cndmask_b32_e64 v23, v23, 0, s6
	v_add_nc_u32_e32 v124, v23, v124
	s_delay_alu instid0(VALU_DEP_1) | instskip(NEXT) | instid1(VALU_DEP_1)
	v_add_nc_u32_e32 v26, v124, v26
	v_add_nc_u32_e32 v27, v26, v27
	s_delay_alu instid0(VALU_DEP_1) | instskip(NEXT) | instid1(VALU_DEP_1)
	v_add_nc_u32_e32 v24, v27, v24
	;; [unrolled: 3-line block ×3, first 2 shown]
	v_add_nc_u32_e32 v21, v20, v21
	s_delay_alu instid0(VALU_DEP_1)
	v_add_nc_u32_e32 v22, v21, v22
	ds_store_b32 v46, v23 offset:1056
	ds_store_2addr_b32 v47, v124, v26 offset0:1 offset1:2
	ds_store_2addr_b32 v47, v27, v24 offset0:3 offset1:4
	;; [unrolled: 1-line block ×4, first 2 shown]
	v_mov_b32_e32 v22, 0x800
	s_waitcnt lgkmcnt(0)
	s_barrier
	buffer_gl0_inv
	ds_load_b32 v20, v100
	ds_load_b32 v21, v104
	;; [unrolled: 1-line block ×8, first 2 shown]
	ds_load_b32 v27, v46 offset:1056
	s_and_saveexec_b32 s17, s7
	s_cbranch_execz .LBB327_446
; %bb.445:                              ;   in Loop: Header=BB327_408 Depth=2
	ds_load_b32 v22, v49 offset:1056
.LBB327_446:                            ;   in Loop: Header=BB327_408 Depth=2
	s_or_b32 exec_lo, exec_lo, s17
	s_waitcnt lgkmcnt(0)
	s_barrier
	buffer_gl0_inv
	s_and_saveexec_b32 s17, s2
	s_cbranch_execz .LBB327_448
; %bb.447:                              ;   in Loop: Header=BB327_408 Depth=2
	ds_load_b32 v96, v28
	s_waitcnt lgkmcnt(0)
	v_sub_nc_u32_e32 v27, v96, v27
	ds_store_b32 v28, v27
.LBB327_448:                            ;   in Loop: Header=BB327_408 Depth=2
	s_or_b32 exec_lo, exec_lo, s17
	v_add_nc_u32_e32 v100, v26, v94
	v_add3_u32 v96, v98, v97, v20
	v_add3_u32 v94, v102, v101, v21
	;; [unrolled: 1-line block ×7, first 2 shown]
	v_cmp_lt_u32_e64 s22, v1, v2
	ds_store_b8 v100, v93 offset:1024
	ds_store_b8 v96, v95 offset:1024
	;; [unrolled: 1-line block ×8, first 2 shown]
	s_waitcnt lgkmcnt(0)
	s_barrier
	buffer_gl0_inv
	s_and_saveexec_b32 s17, s22
	s_cbranch_execz .LBB327_456
; %bb.449:                              ;   in Loop: Header=BB327_408 Depth=2
	ds_load_u8 v20, v1 offset:1024
	s_waitcnt lgkmcnt(0)
	v_and_b32_e32 v21, 0xff, v20
	v_xor_b32_e32 v20, 0x7f, v20
	s_delay_alu instid0(VALU_DEP_2) | instskip(NEXT) | instid1(VALU_DEP_1)
	v_lshrrev_b32_e32 v21, s49, v21
	v_and_b32_e32 v21, s31, v21
	s_delay_alu instid0(VALU_DEP_1)
	v_lshlrev_b32_e32 v21, 2, v21
	ds_load_b32 v21, v21
	s_waitcnt lgkmcnt(0)
	v_add_nc_u32_e32 v21, v21, v1
	global_store_b8 v21, v20, s[38:39]
	s_or_b32 exec_lo, exec_lo, s17
	v_cmp_lt_u32_e64 s23, v29, v2
	s_delay_alu instid0(VALU_DEP_1)
	s_and_saveexec_b32 s17, s23
	s_cbranch_execnz .LBB327_457
.LBB327_450:                            ;   in Loop: Header=BB327_408 Depth=2
	s_or_b32 exec_lo, exec_lo, s17
	v_cmp_lt_u32_e64 s21, v30, v2
	s_delay_alu instid0(VALU_DEP_1)
	s_and_saveexec_b32 s17, s21
	s_cbranch_execz .LBB327_458
.LBB327_451:                            ;   in Loop: Header=BB327_408 Depth=2
	ds_load_u8 v20, v35 offset:512
	s_waitcnt lgkmcnt(0)
	v_and_b32_e32 v21, 0xff, v20
	v_xor_b32_e32 v20, 0x7f, v20
	s_delay_alu instid0(VALU_DEP_2) | instskip(NEXT) | instid1(VALU_DEP_1)
	v_lshrrev_b32_e32 v21, s49, v21
	v_and_b32_e32 v21, s31, v21
	s_delay_alu instid0(VALU_DEP_1)
	v_lshlrev_b32_e32 v21, 2, v21
	ds_load_b32 v21, v21
	s_waitcnt lgkmcnt(0)
	v_add_nc_u32_e32 v21, v21, v30
	global_store_b8 v21, v20, s[38:39]
	s_or_b32 exec_lo, exec_lo, s17
	v_cmp_lt_u32_e64 s20, v31, v2
	s_delay_alu instid0(VALU_DEP_1)
	s_and_saveexec_b32 s17, s20
	s_cbranch_execnz .LBB327_459
.LBB327_452:                            ;   in Loop: Header=BB327_408 Depth=2
	s_or_b32 exec_lo, exec_lo, s17
	v_cmp_lt_u32_e64 s19, v35, v2
	s_delay_alu instid0(VALU_DEP_1)
	s_and_saveexec_b32 s17, s19
	s_cbranch_execz .LBB327_460
.LBB327_453:                            ;   in Loop: Header=BB327_408 Depth=2
	ds_load_u8 v20, v35 offset:1024
	s_waitcnt lgkmcnt(0)
	v_and_b32_e32 v21, 0xff, v20
	v_xor_b32_e32 v20, 0x7f, v20
	s_delay_alu instid0(VALU_DEP_2) | instskip(NEXT) | instid1(VALU_DEP_1)
	v_lshrrev_b32_e32 v21, s49, v21
	v_and_b32_e32 v21, s31, v21
	s_delay_alu instid0(VALU_DEP_1)
	v_lshlrev_b32_e32 v21, 2, v21
	ds_load_b32 v21, v21
	s_waitcnt lgkmcnt(0)
	v_add_nc_u32_e32 v21, v21, v35
	global_store_b8 v21, v20, s[38:39]
	s_or_b32 exec_lo, exec_lo, s17
	v_cmp_lt_u32_e64 s18, v36, v2
	s_delay_alu instid0(VALU_DEP_1)
	s_and_saveexec_b32 s17, s18
	s_cbranch_execnz .LBB327_461
.LBB327_454:                            ;   in Loop: Header=BB327_408 Depth=2
	s_or_b32 exec_lo, exec_lo, s17
	v_cmp_lt_u32_e64 s17, v37, v2
	s_delay_alu instid0(VALU_DEP_1)
	s_and_saveexec_b32 s43, s17
	s_cbranch_execz .LBB327_462
.LBB327_455:                            ;   in Loop: Header=BB327_408 Depth=2
	ds_load_u8 v20, v35 offset:1536
	s_waitcnt lgkmcnt(0)
	v_and_b32_e32 v21, 0xff, v20
	v_xor_b32_e32 v20, 0x7f, v20
	s_delay_alu instid0(VALU_DEP_2) | instskip(NEXT) | instid1(VALU_DEP_1)
	v_lshrrev_b32_e32 v21, s49, v21
	v_and_b32_e32 v21, s31, v21
	s_delay_alu instid0(VALU_DEP_1)
	v_lshlrev_b32_e32 v21, 2, v21
	ds_load_b32 v21, v21
	s_waitcnt lgkmcnt(0)
	v_add_nc_u32_e32 v21, v21, v37
	global_store_b8 v21, v20, s[38:39]
	s_or_b32 exec_lo, exec_lo, s43
	v_cmp_lt_u32_e32 vcc_lo, v39, v2
	s_and_saveexec_b32 s43, vcc_lo
	s_cbranch_execnz .LBB327_463
	s_branch .LBB327_464
.LBB327_456:                            ;   in Loop: Header=BB327_408 Depth=2
	s_or_b32 exec_lo, exec_lo, s17
	v_cmp_lt_u32_e64 s23, v29, v2
	s_delay_alu instid0(VALU_DEP_1)
	s_and_saveexec_b32 s17, s23
	s_cbranch_execz .LBB327_450
.LBB327_457:                            ;   in Loop: Header=BB327_408 Depth=2
	ds_load_u8 v20, v35 offset:256
	s_waitcnt lgkmcnt(0)
	v_and_b32_e32 v21, 0xff, v20
	v_xor_b32_e32 v20, 0x7f, v20
	s_delay_alu instid0(VALU_DEP_2) | instskip(NEXT) | instid1(VALU_DEP_1)
	v_lshrrev_b32_e32 v21, s49, v21
	v_and_b32_e32 v21, s31, v21
	s_delay_alu instid0(VALU_DEP_1)
	v_lshlrev_b32_e32 v21, 2, v21
	ds_load_b32 v21, v21
	s_waitcnt lgkmcnt(0)
	v_add_nc_u32_e32 v21, v21, v29
	global_store_b8 v21, v20, s[38:39]
	s_or_b32 exec_lo, exec_lo, s17
	v_cmp_lt_u32_e64 s21, v30, v2
	s_delay_alu instid0(VALU_DEP_1)
	s_and_saveexec_b32 s17, s21
	s_cbranch_execnz .LBB327_451
.LBB327_458:                            ;   in Loop: Header=BB327_408 Depth=2
	s_or_b32 exec_lo, exec_lo, s17
	v_cmp_lt_u32_e64 s20, v31, v2
	s_delay_alu instid0(VALU_DEP_1)
	s_and_saveexec_b32 s17, s20
	s_cbranch_execz .LBB327_452
.LBB327_459:                            ;   in Loop: Header=BB327_408 Depth=2
	ds_load_u8 v20, v35 offset:768
	s_waitcnt lgkmcnt(0)
	v_and_b32_e32 v21, 0xff, v20
	v_xor_b32_e32 v20, 0x7f, v20
	s_delay_alu instid0(VALU_DEP_2) | instskip(NEXT) | instid1(VALU_DEP_1)
	v_lshrrev_b32_e32 v21, s49, v21
	v_and_b32_e32 v21, s31, v21
	s_delay_alu instid0(VALU_DEP_1)
	v_lshlrev_b32_e32 v21, 2, v21
	ds_load_b32 v21, v21
	s_waitcnt lgkmcnt(0)
	v_add_nc_u32_e32 v21, v21, v31
	global_store_b8 v21, v20, s[38:39]
	s_or_b32 exec_lo, exec_lo, s17
	v_cmp_lt_u32_e64 s19, v35, v2
	s_delay_alu instid0(VALU_DEP_1)
	s_and_saveexec_b32 s17, s19
	s_cbranch_execnz .LBB327_453
.LBB327_460:                            ;   in Loop: Header=BB327_408 Depth=2
	s_or_b32 exec_lo, exec_lo, s17
	v_cmp_lt_u32_e64 s18, v36, v2
	s_delay_alu instid0(VALU_DEP_1)
	s_and_saveexec_b32 s17, s18
	s_cbranch_execz .LBB327_454
.LBB327_461:                            ;   in Loop: Header=BB327_408 Depth=2
	ds_load_u8 v20, v35 offset:1280
	s_waitcnt lgkmcnt(0)
	v_and_b32_e32 v21, 0xff, v20
	v_xor_b32_e32 v20, 0x7f, v20
	s_delay_alu instid0(VALU_DEP_2) | instskip(NEXT) | instid1(VALU_DEP_1)
	v_lshrrev_b32_e32 v21, s49, v21
	v_and_b32_e32 v21, s31, v21
	s_delay_alu instid0(VALU_DEP_1)
	v_lshlrev_b32_e32 v21, 2, v21
	ds_load_b32 v21, v21
	s_waitcnt lgkmcnt(0)
	v_add_nc_u32_e32 v21, v21, v36
	global_store_b8 v21, v20, s[38:39]
	s_or_b32 exec_lo, exec_lo, s17
	v_cmp_lt_u32_e64 s17, v37, v2
	s_delay_alu instid0(VALU_DEP_1)
	s_and_saveexec_b32 s43, s17
	s_cbranch_execnz .LBB327_455
.LBB327_462:                            ;   in Loop: Header=BB327_408 Depth=2
	s_or_b32 exec_lo, exec_lo, s43
	v_cmp_lt_u32_e32 vcc_lo, v39, v2
	s_and_saveexec_b32 s43, vcc_lo
	s_cbranch_execz .LBB327_464
.LBB327_463:                            ;   in Loop: Header=BB327_408 Depth=2
	ds_load_u8 v20, v35 offset:1792
	s_waitcnt lgkmcnt(0)
	v_and_b32_e32 v21, 0xff, v20
	v_xor_b32_e32 v20, 0x7f, v20
	s_delay_alu instid0(VALU_DEP_2) | instskip(NEXT) | instid1(VALU_DEP_1)
	v_lshrrev_b32_e32 v21, s49, v21
	v_and_b32_e32 v21, s31, v21
	s_delay_alu instid0(VALU_DEP_1)
	v_lshlrev_b32_e32 v21, 2, v21
	ds_load_b32 v21, v21
	s_waitcnt lgkmcnt(0)
	v_add_nc_u32_e32 v21, v21, v39
	global_store_b8 v21, v20, s[38:39]
.LBB327_464:                            ;   in Loop: Header=BB327_408 Depth=2
	s_or_b32 exec_lo, exec_lo, s43
	s_lshl_b64 s[52:53], s[24:25], 3
	s_delay_alu instid0(SALU_CYCLE_1) | instskip(NEXT) | instid1(VALU_DEP_1)
	v_add_co_u32 v20, s24, v73, s52
	v_add_co_ci_u32_e64 v21, s24, s53, v74, s24
	v_cmp_lt_u32_e64 s24, v70, v2
	s_delay_alu instid0(VALU_DEP_1) | instskip(NEXT) | instid1(SALU_CYCLE_1)
	s_and_saveexec_b32 s43, s24
	s_xor_b32 s24, exec_lo, s43
	s_cbranch_execz .LBB327_480
; %bb.465:                              ;   in Loop: Header=BB327_408 Depth=2
	global_load_b64 v[18:19], v[20:21], off
	s_or_b32 exec_lo, exec_lo, s24
	s_delay_alu instid0(SALU_CYCLE_1)
	s_mov_b32 s43, exec_lo
	v_cmpx_lt_u32_e64 v75, v2
	s_cbranch_execnz .LBB327_481
.LBB327_466:                            ;   in Loop: Header=BB327_408 Depth=2
	s_or_b32 exec_lo, exec_lo, s43
	s_delay_alu instid0(SALU_CYCLE_1)
	s_mov_b32 s43, exec_lo
	v_cmpx_lt_u32_e64 v76, v2
	s_cbranch_execz .LBB327_482
.LBB327_467:                            ;   in Loop: Header=BB327_408 Depth=2
	global_load_b64 v[14:15], v[20:21], off offset:512
	s_or_b32 exec_lo, exec_lo, s43
	s_delay_alu instid0(SALU_CYCLE_1)
	s_mov_b32 s43, exec_lo
	v_cmpx_lt_u32_e64 v77, v2
	s_cbranch_execnz .LBB327_483
.LBB327_468:                            ;   in Loop: Header=BB327_408 Depth=2
	s_or_b32 exec_lo, exec_lo, s43
	s_delay_alu instid0(SALU_CYCLE_1)
	s_mov_b32 s43, exec_lo
	v_cmpx_lt_u32_e64 v78, v2
	s_cbranch_execz .LBB327_484
.LBB327_469:                            ;   in Loop: Header=BB327_408 Depth=2
	global_load_b64 v[10:11], v[20:21], off offset:1024
	s_or_b32 exec_lo, exec_lo, s43
	s_delay_alu instid0(SALU_CYCLE_1)
	s_mov_b32 s43, exec_lo
	v_cmpx_lt_u32_e64 v79, v2
	s_cbranch_execnz .LBB327_485
.LBB327_470:                            ;   in Loop: Header=BB327_408 Depth=2
	s_or_b32 exec_lo, exec_lo, s43
	s_delay_alu instid0(SALU_CYCLE_1)
	s_mov_b32 s43, exec_lo
	v_cmpx_lt_u32_e64 v80, v2
	s_cbranch_execz .LBB327_486
.LBB327_471:                            ;   in Loop: Header=BB327_408 Depth=2
	global_load_b64 v[6:7], v[20:21], off offset:1536
	s_or_b32 exec_lo, exec_lo, s43
	s_delay_alu instid0(SALU_CYCLE_1)
	s_mov_b32 s43, exec_lo
	v_cmpx_lt_u32_e64 v81, v2
	s_cbranch_execnz .LBB327_487
.LBB327_472:                            ;   in Loop: Header=BB327_408 Depth=2
	s_or_b32 exec_lo, exec_lo, s43
	s_and_saveexec_b32 s24, s22
	s_cbranch_execz .LBB327_488
.LBB327_473:                            ;   in Loop: Header=BB327_408 Depth=2
	ds_load_u8 v2, v1 offset:1024
	s_waitcnt lgkmcnt(0)
	v_lshrrev_b32_e32 v2, s49, v2
	s_delay_alu instid0(VALU_DEP_1)
	v_and_b32_e32 v92, s31, v2
	s_or_b32 exec_lo, exec_lo, s24
	s_and_saveexec_b32 s24, s23
	s_cbranch_execnz .LBB327_489
.LBB327_474:                            ;   in Loop: Header=BB327_408 Depth=2
	s_or_b32 exec_lo, exec_lo, s24
	s_and_saveexec_b32 s24, s21
	s_cbranch_execz .LBB327_490
.LBB327_475:                            ;   in Loop: Header=BB327_408 Depth=2
	ds_load_u8 v2, v35 offset:512
	s_waitcnt lgkmcnt(0)
	v_lshrrev_b32_e32 v2, s49, v2
	s_delay_alu instid0(VALU_DEP_1)
	v_and_b32_e32 v90, s31, v2
	s_or_b32 exec_lo, exec_lo, s24
	s_and_saveexec_b32 s24, s20
	s_cbranch_execnz .LBB327_491
.LBB327_476:                            ;   in Loop: Header=BB327_408 Depth=2
	s_or_b32 exec_lo, exec_lo, s24
	s_and_saveexec_b32 s24, s19
	s_cbranch_execz .LBB327_492
.LBB327_477:                            ;   in Loop: Header=BB327_408 Depth=2
	ds_load_u8 v2, v35 offset:1024
	s_waitcnt lgkmcnt(0)
	v_lshrrev_b32_e32 v2, s49, v2
	s_delay_alu instid0(VALU_DEP_1)
	v_and_b32_e32 v88, s31, v2
	s_or_b32 exec_lo, exec_lo, s24
	s_and_saveexec_b32 s24, s18
	s_cbranch_execnz .LBB327_493
.LBB327_478:                            ;   in Loop: Header=BB327_408 Depth=2
	s_or_b32 exec_lo, exec_lo, s24
	s_and_saveexec_b32 s24, s17
	s_cbranch_execz .LBB327_494
.LBB327_479:                            ;   in Loop: Header=BB327_408 Depth=2
	ds_load_u8 v2, v35 offset:1536
	s_waitcnt lgkmcnt(0)
	v_lshrrev_b32_e32 v2, s49, v2
	s_delay_alu instid0(VALU_DEP_1)
	v_and_b32_e32 v86, s31, v2
	s_or_b32 exec_lo, exec_lo, s24
	s_and_saveexec_b32 s24, vcc_lo
	s_cbranch_execnz .LBB327_495
	s_branch .LBB327_496
.LBB327_480:                            ;   in Loop: Header=BB327_408 Depth=2
	s_or_b32 exec_lo, exec_lo, s24
	s_delay_alu instid0(SALU_CYCLE_1)
	s_mov_b32 s43, exec_lo
	v_cmpx_lt_u32_e64 v75, v2
	s_cbranch_execz .LBB327_466
.LBB327_481:                            ;   in Loop: Header=BB327_408 Depth=2
	global_load_b64 v[16:17], v[20:21], off offset:256
	s_or_b32 exec_lo, exec_lo, s43
	s_delay_alu instid0(SALU_CYCLE_1)
	s_mov_b32 s43, exec_lo
	v_cmpx_lt_u32_e64 v76, v2
	s_cbranch_execnz .LBB327_467
.LBB327_482:                            ;   in Loop: Header=BB327_408 Depth=2
	s_or_b32 exec_lo, exec_lo, s43
	s_delay_alu instid0(SALU_CYCLE_1)
	s_mov_b32 s43, exec_lo
	v_cmpx_lt_u32_e64 v77, v2
	s_cbranch_execz .LBB327_468
.LBB327_483:                            ;   in Loop: Header=BB327_408 Depth=2
	global_load_b64 v[12:13], v[20:21], off offset:768
	s_or_b32 exec_lo, exec_lo, s43
	s_delay_alu instid0(SALU_CYCLE_1)
	s_mov_b32 s43, exec_lo
	v_cmpx_lt_u32_e64 v78, v2
	s_cbranch_execnz .LBB327_469
.LBB327_484:                            ;   in Loop: Header=BB327_408 Depth=2
	s_or_b32 exec_lo, exec_lo, s43
	s_delay_alu instid0(SALU_CYCLE_1)
	s_mov_b32 s43, exec_lo
	v_cmpx_lt_u32_e64 v79, v2
	s_cbranch_execz .LBB327_470
.LBB327_485:                            ;   in Loop: Header=BB327_408 Depth=2
	global_load_b64 v[8:9], v[20:21], off offset:1280
	s_or_b32 exec_lo, exec_lo, s43
	s_delay_alu instid0(SALU_CYCLE_1)
	s_mov_b32 s43, exec_lo
	v_cmpx_lt_u32_e64 v80, v2
	s_cbranch_execnz .LBB327_471
.LBB327_486:                            ;   in Loop: Header=BB327_408 Depth=2
	s_or_b32 exec_lo, exec_lo, s43
	s_delay_alu instid0(SALU_CYCLE_1)
	s_mov_b32 s43, exec_lo
	v_cmpx_lt_u32_e64 v81, v2
	s_cbranch_execz .LBB327_472
.LBB327_487:                            ;   in Loop: Header=BB327_408 Depth=2
	global_load_b64 v[4:5], v[20:21], off offset:1792
	s_or_b32 exec_lo, exec_lo, s43
	s_and_saveexec_b32 s24, s22
	s_cbranch_execnz .LBB327_473
.LBB327_488:                            ;   in Loop: Header=BB327_408 Depth=2
	s_or_b32 exec_lo, exec_lo, s24
	s_and_saveexec_b32 s24, s23
	s_cbranch_execz .LBB327_474
.LBB327_489:                            ;   in Loop: Header=BB327_408 Depth=2
	ds_load_u8 v2, v35 offset:256
	s_waitcnt lgkmcnt(0)
	v_lshrrev_b32_e32 v2, s49, v2
	s_delay_alu instid0(VALU_DEP_1)
	v_and_b32_e32 v91, s31, v2
	s_or_b32 exec_lo, exec_lo, s24
	s_and_saveexec_b32 s24, s21
	s_cbranch_execnz .LBB327_475
.LBB327_490:                            ;   in Loop: Header=BB327_408 Depth=2
	s_or_b32 exec_lo, exec_lo, s24
	s_and_saveexec_b32 s24, s20
	s_cbranch_execz .LBB327_476
.LBB327_491:                            ;   in Loop: Header=BB327_408 Depth=2
	ds_load_u8 v2, v35 offset:768
	s_waitcnt lgkmcnt(0)
	v_lshrrev_b32_e32 v2, s49, v2
	s_delay_alu instid0(VALU_DEP_1)
	v_and_b32_e32 v89, s31, v2
	s_or_b32 exec_lo, exec_lo, s24
	s_and_saveexec_b32 s24, s19
	s_cbranch_execnz .LBB327_477
.LBB327_492:                            ;   in Loop: Header=BB327_408 Depth=2
	s_or_b32 exec_lo, exec_lo, s24
	s_and_saveexec_b32 s24, s18
	s_cbranch_execz .LBB327_478
.LBB327_493:                            ;   in Loop: Header=BB327_408 Depth=2
	ds_load_u8 v2, v35 offset:1280
	s_waitcnt lgkmcnt(0)
	v_lshrrev_b32_e32 v2, s49, v2
	s_delay_alu instid0(VALU_DEP_1)
	v_and_b32_e32 v87, s31, v2
	s_or_b32 exec_lo, exec_lo, s24
	s_and_saveexec_b32 s24, s17
	s_cbranch_execnz .LBB327_479
.LBB327_494:                            ;   in Loop: Header=BB327_408 Depth=2
	s_or_b32 exec_lo, exec_lo, s24
	s_and_saveexec_b32 s24, vcc_lo
	s_cbranch_execz .LBB327_496
.LBB327_495:                            ;   in Loop: Header=BB327_408 Depth=2
	ds_load_u8 v2, v35 offset:1792
	s_waitcnt lgkmcnt(0)
	v_lshrrev_b32_e32 v2, s49, v2
	s_delay_alu instid0(VALU_DEP_1)
	v_and_b32_e32 v85, s31, v2
.LBB327_496:                            ;   in Loop: Header=BB327_408 Depth=2
	s_or_b32 exec_lo, exec_lo, s24
	v_lshlrev_b32_e32 v2, 3, v100
	v_lshlrev_b32_e32 v20, 3, v96
	;; [unrolled: 1-line block ×3, first 2 shown]
	s_waitcnt vmcnt(0)
	s_waitcnt_vscnt null, 0x0
	s_barrier
	buffer_gl0_inv
	ds_store_b64 v2, v[18:19] offset:1024
	ds_store_b64 v20, v[16:17] offset:1024
	;; [unrolled: 1-line block ×3, first 2 shown]
	v_lshlrev_b32_e32 v2, 3, v27
	v_lshlrev_b32_e32 v20, 3, v26
	;; [unrolled: 1-line block ×5, first 2 shown]
	ds_store_b64 v2, v[12:13] offset:1024
	ds_store_b64 v20, v[10:11] offset:1024
	;; [unrolled: 1-line block ×5, first 2 shown]
	s_waitcnt lgkmcnt(0)
	s_barrier
	buffer_gl0_inv
	s_and_saveexec_b32 s24, s22
	s_cbranch_execz .LBB327_504
; %bb.497:                              ;   in Loop: Header=BB327_408 Depth=2
	v_lshlrev_b32_e32 v2, 2, v92
	v_add_nc_u32_e32 v20, v1, v52
	ds_load_b32 v2, v2
	ds_load_b64 v[20:21], v20 offset:1024
	s_waitcnt lgkmcnt(1)
	v_add_nc_u32_e32 v2, v2, v1
	s_delay_alu instid0(VALU_DEP_1) | instskip(NEXT) | instid1(VALU_DEP_1)
	v_lshlrev_b64 v[23:24], 3, v[2:3]
	v_add_co_u32 v23, s22, s44, v23
	s_delay_alu instid0(VALU_DEP_1)
	v_add_co_ci_u32_e64 v24, s22, s45, v24, s22
	s_waitcnt lgkmcnt(0)
	global_store_b64 v[23:24], v[20:21], off
	s_or_b32 exec_lo, exec_lo, s24
	s_and_saveexec_b32 s24, s23
	s_cbranch_execnz .LBB327_505
.LBB327_498:                            ;   in Loop: Header=BB327_408 Depth=2
	s_or_b32 exec_lo, exec_lo, s24
	s_and_saveexec_b32 s22, s21
	s_cbranch_execz .LBB327_506
.LBB327_499:                            ;   in Loop: Header=BB327_408 Depth=2
	v_lshlrev_b32_e32 v2, 2, v90
	v_add_nc_u32_e32 v20, v35, v52
	ds_load_b32 v2, v2
	ds_load_b64 v[20:21], v20 offset:4096
	s_waitcnt lgkmcnt(1)
	v_add_nc_u32_e32 v2, v2, v30
	s_delay_alu instid0(VALU_DEP_1) | instskip(NEXT) | instid1(VALU_DEP_1)
	v_lshlrev_b64 v[23:24], 3, v[2:3]
	v_add_co_u32 v23, s21, s44, v23
	s_delay_alu instid0(VALU_DEP_1)
	v_add_co_ci_u32_e64 v24, s21, s45, v24, s21
	s_waitcnt lgkmcnt(0)
	global_store_b64 v[23:24], v[20:21], off
	s_or_b32 exec_lo, exec_lo, s22
	s_and_saveexec_b32 s21, s20
	s_cbranch_execnz .LBB327_507
.LBB327_500:                            ;   in Loop: Header=BB327_408 Depth=2
	s_or_b32 exec_lo, exec_lo, s21
	s_and_saveexec_b32 s20, s19
	s_cbranch_execz .LBB327_508
.LBB327_501:                            ;   in Loop: Header=BB327_408 Depth=2
	v_lshlrev_b32_e32 v2, 2, v88
	v_add_nc_u32_e32 v20, v35, v52
	ds_load_b32 v2, v2
	ds_load_b64 v[20:21], v20 offset:8192
	s_waitcnt lgkmcnt(1)
	v_add_nc_u32_e32 v2, v2, v35
	s_delay_alu instid0(VALU_DEP_1) | instskip(NEXT) | instid1(VALU_DEP_1)
	v_lshlrev_b64 v[23:24], 3, v[2:3]
	v_add_co_u32 v23, s19, s44, v23
	s_delay_alu instid0(VALU_DEP_1)
	v_add_co_ci_u32_e64 v24, s19, s45, v24, s19
	s_waitcnt lgkmcnt(0)
	global_store_b64 v[23:24], v[20:21], off
	s_or_b32 exec_lo, exec_lo, s20
	s_and_saveexec_b32 s19, s18
	s_cbranch_execnz .LBB327_509
.LBB327_502:                            ;   in Loop: Header=BB327_408 Depth=2
	s_or_b32 exec_lo, exec_lo, s19
	s_and_saveexec_b32 s18, s17
	s_cbranch_execz .LBB327_510
.LBB327_503:                            ;   in Loop: Header=BB327_408 Depth=2
	v_lshlrev_b32_e32 v2, 2, v86
	v_add_nc_u32_e32 v20, v35, v52
	ds_load_b32 v2, v2
	ds_load_b64 v[20:21], v20 offset:12288
	s_waitcnt lgkmcnt(1)
	v_add_nc_u32_e32 v2, v2, v37
	s_delay_alu instid0(VALU_DEP_1) | instskip(NEXT) | instid1(VALU_DEP_1)
	v_lshlrev_b64 v[23:24], 3, v[2:3]
	v_add_co_u32 v23, s17, s44, v23
	s_delay_alu instid0(VALU_DEP_1)
	v_add_co_ci_u32_e64 v24, s17, s45, v24, s17
	s_waitcnt lgkmcnt(0)
	global_store_b64 v[23:24], v[20:21], off
	s_or_b32 exec_lo, exec_lo, s18
	s_and_saveexec_b32 s17, vcc_lo
	s_cbranch_execnz .LBB327_511
	s_branch .LBB327_512
.LBB327_504:                            ;   in Loop: Header=BB327_408 Depth=2
	s_or_b32 exec_lo, exec_lo, s24
	s_and_saveexec_b32 s24, s23
	s_cbranch_execz .LBB327_498
.LBB327_505:                            ;   in Loop: Header=BB327_408 Depth=2
	v_lshlrev_b32_e32 v2, 2, v91
	v_add_nc_u32_e32 v20, v35, v52
	ds_load_b32 v2, v2
	ds_load_b64 v[20:21], v20 offset:2048
	s_waitcnt lgkmcnt(1)
	v_add_nc_u32_e32 v2, v2, v29
	s_delay_alu instid0(VALU_DEP_1) | instskip(NEXT) | instid1(VALU_DEP_1)
	v_lshlrev_b64 v[23:24], 3, v[2:3]
	v_add_co_u32 v23, s22, s44, v23
	s_delay_alu instid0(VALU_DEP_1)
	v_add_co_ci_u32_e64 v24, s22, s45, v24, s22
	s_waitcnt lgkmcnt(0)
	global_store_b64 v[23:24], v[20:21], off
	s_or_b32 exec_lo, exec_lo, s24
	s_and_saveexec_b32 s22, s21
	s_cbranch_execnz .LBB327_499
.LBB327_506:                            ;   in Loop: Header=BB327_408 Depth=2
	s_or_b32 exec_lo, exec_lo, s22
	s_and_saveexec_b32 s21, s20
	s_cbranch_execz .LBB327_500
.LBB327_507:                            ;   in Loop: Header=BB327_408 Depth=2
	v_lshlrev_b32_e32 v2, 2, v89
	v_add_nc_u32_e32 v20, v35, v52
	ds_load_b32 v2, v2
	ds_load_b64 v[20:21], v20 offset:6144
	s_waitcnt lgkmcnt(1)
	v_add_nc_u32_e32 v2, v2, v31
	s_delay_alu instid0(VALU_DEP_1) | instskip(NEXT) | instid1(VALU_DEP_1)
	v_lshlrev_b64 v[23:24], 3, v[2:3]
	v_add_co_u32 v23, s20, s44, v23
	s_delay_alu instid0(VALU_DEP_1)
	v_add_co_ci_u32_e64 v24, s20, s45, v24, s20
	s_waitcnt lgkmcnt(0)
	global_store_b64 v[23:24], v[20:21], off
	s_or_b32 exec_lo, exec_lo, s21
	s_and_saveexec_b32 s20, s19
	s_cbranch_execnz .LBB327_501
.LBB327_508:                            ;   in Loop: Header=BB327_408 Depth=2
	s_or_b32 exec_lo, exec_lo, s20
	s_and_saveexec_b32 s19, s18
	s_cbranch_execz .LBB327_502
.LBB327_509:                            ;   in Loop: Header=BB327_408 Depth=2
	v_lshlrev_b32_e32 v2, 2, v87
	v_add_nc_u32_e32 v20, v35, v52
	ds_load_b32 v2, v2
	ds_load_b64 v[20:21], v20 offset:10240
	s_waitcnt lgkmcnt(1)
	v_add_nc_u32_e32 v2, v2, v36
	s_delay_alu instid0(VALU_DEP_1) | instskip(NEXT) | instid1(VALU_DEP_1)
	v_lshlrev_b64 v[23:24], 3, v[2:3]
	v_add_co_u32 v23, s18, s44, v23
	s_delay_alu instid0(VALU_DEP_1)
	v_add_co_ci_u32_e64 v24, s18, s45, v24, s18
	s_waitcnt lgkmcnt(0)
	global_store_b64 v[23:24], v[20:21], off
	s_or_b32 exec_lo, exec_lo, s19
	s_and_saveexec_b32 s18, s17
	s_cbranch_execnz .LBB327_503
.LBB327_510:                            ;   in Loop: Header=BB327_408 Depth=2
	s_or_b32 exec_lo, exec_lo, s18
	s_and_saveexec_b32 s17, vcc_lo
	s_cbranch_execz .LBB327_512
.LBB327_511:                            ;   in Loop: Header=BB327_408 Depth=2
	v_lshlrev_b32_e32 v2, 2, v85
	v_add_nc_u32_e32 v20, v35, v52
	ds_load_b32 v2, v2
	ds_load_b64 v[20:21], v20 offset:14336
	s_waitcnt lgkmcnt(1)
	v_add_nc_u32_e32 v2, v2, v39
	s_delay_alu instid0(VALU_DEP_1) | instskip(NEXT) | instid1(VALU_DEP_1)
	v_lshlrev_b64 v[23:24], 3, v[2:3]
	v_add_co_u32 v23, vcc_lo, s44, v23
	s_delay_alu instid0(VALU_DEP_2)
	v_add_co_ci_u32_e32 v24, vcc_lo, s45, v24, vcc_lo
	s_waitcnt lgkmcnt(0)
	global_store_b64 v[23:24], v[20:21], off
.LBB327_512:                            ;   in Loop: Header=BB327_408 Depth=2
	s_or_b32 exec_lo, exec_lo, s17
	s_waitcnt_vscnt null, 0x0
	s_barrier
	buffer_gl0_inv
	s_and_saveexec_b32 s17, s2
	s_cbranch_execz .LBB327_407
; %bb.513:                              ;   in Loop: Header=BB327_408 Depth=2
	ds_load_b32 v2, v28
	s_waitcnt lgkmcnt(0)
	v_add_nc_u32_e32 v2, v2, v22
	ds_store_b32 v28, v2
	s_branch .LBB327_407
.LBB327_514:                            ;   in Loop: Header=BB327_408 Depth=2
	s_or_b32 exec_lo, exec_lo, s17
	s_delay_alu instid0(SALU_CYCLE_1)
	s_mov_b32 s17, exec_lo
	v_cmpx_gt_u32_e64 s35, v75
	s_cbranch_execz .LBB327_414
.LBB327_515:                            ;   in Loop: Header=BB327_408 Depth=2
	global_load_u8 v95, v[20:21], off offset:32
	s_or_b32 exec_lo, exec_lo, s17
	s_delay_alu instid0(SALU_CYCLE_1)
	s_mov_b32 s17, exec_lo
	v_cmpx_gt_u32_e64 s35, v76
	s_cbranch_execnz .LBB327_415
.LBB327_516:                            ;   in Loop: Header=BB327_408 Depth=2
	s_or_b32 exec_lo, exec_lo, s17
	s_delay_alu instid0(SALU_CYCLE_1)
	s_mov_b32 s17, exec_lo
	v_cmpx_gt_u32_e64 s35, v77
	s_cbranch_execz .LBB327_416
.LBB327_517:                            ;   in Loop: Header=BB327_408 Depth=2
	global_load_u8 v26, v[20:21], off offset:96
	s_or_b32 exec_lo, exec_lo, s17
	s_delay_alu instid0(SALU_CYCLE_1)
	s_mov_b32 s17, exec_lo
	v_cmpx_gt_u32_e64 s35, v78
	s_cbranch_execnz .LBB327_417
.LBB327_518:                            ;   in Loop: Header=BB327_408 Depth=2
	s_or_b32 exec_lo, exec_lo, s17
	s_delay_alu instid0(SALU_CYCLE_1)
	s_mov_b32 s17, exec_lo
	v_cmpx_gt_u32_e64 s35, v79
	s_cbranch_execz .LBB327_418
.LBB327_519:                            ;   in Loop: Header=BB327_408 Depth=2
	global_load_u8 v24, v[20:21], off offset:160
	s_or_b32 exec_lo, exec_lo, s17
	s_delay_alu instid0(SALU_CYCLE_1)
	s_mov_b32 s17, exec_lo
	v_cmpx_gt_u32_e64 s35, v80
	s_cbranch_execnz .LBB327_419
	s_branch .LBB327_420
.LBB327_520:                            ;   in Loop: Header=BB327_20 Depth=1
	s_waitcnt lgkmcnt(0)
	s_mov_b32 s0, 0
	s_barrier
.LBB327_521:                            ;   in Loop: Header=BB327_20 Depth=1
	s_and_b32 vcc_lo, exec_lo, s0
	s_cbranch_vccz .LBB327_19
; %bb.522:                              ;   in Loop: Header=BB327_20 Depth=1
	s_mov_b32 s0, s34
	s_mov_b32 s9, s28
	s_barrier
	buffer_gl0_inv
                                        ; implicit-def: $vgpr2
                                        ; implicit-def: $vgpr6
                                        ; implicit-def: $vgpr7
                                        ; implicit-def: $vgpr8
                                        ; implicit-def: $vgpr9
                                        ; implicit-def: $vgpr10
                                        ; implicit-def: $vgpr11
                                        ; implicit-def: $vgpr12
	s_branch .LBB327_524
.LBB327_523:                            ;   in Loop: Header=BB327_524 Depth=2
	s_or_b32 exec_lo, exec_lo, s8
	s_addk_i32 s0, 0xf800
	s_cmp_ge_u32 s1, s29
	s_mov_b32 s9, s1
	s_cbranch_scc1 .LBB327_562
.LBB327_524:                            ;   Parent Loop BB327_20 Depth=1
                                        ; =>  This Inner Loop Header: Depth=2
	s_add_i32 s1, s9, 0x800
	s_delay_alu instid0(SALU_CYCLE_1)
	s_cmp_gt_u32 s1, s29
	s_cbranch_scc1 .LBB327_527
; %bb.525:                              ;   in Loop: Header=BB327_524 Depth=2
	v_add_co_u32 v4, vcc_lo, v59, s9
	v_add_co_ci_u32_e32 v5, vcc_lo, 0, v60, vcc_lo
	s_mov_b32 s8, -1
	s_movk_i32 s12, 0x800
	s_clause 0x6
	global_load_u8 v20, v[4:5], off offset:1536
	global_load_u8 v19, v[4:5], off offset:1280
	;; [unrolled: 1-line block ×6, first 2 shown]
	global_load_u8 v14, v[4:5], off
	v_add_co_u32 v4, vcc_lo, 0x700, v4
	v_add_co_ci_u32_e32 v5, vcc_lo, 0, v5, vcc_lo
	s_cbranch_execz .LBB327_528
; %bb.526:                              ;   in Loop: Header=BB327_524 Depth=2
                                        ; implicit-def: $vgpr2
                                        ; implicit-def: $vgpr6
                                        ; implicit-def: $vgpr7
                                        ; implicit-def: $vgpr8
                                        ; implicit-def: $vgpr9
                                        ; implicit-def: $vgpr10
                                        ; implicit-def: $vgpr11
                                        ; implicit-def: $vgpr12
	v_mov_b32_e32 v13, s0
	s_and_saveexec_b32 s9, s8
	s_cbranch_execnz .LBB327_539
	s_branch .LBB327_540
.LBB327_527:                            ;   in Loop: Header=BB327_524 Depth=2
	s_mov_b32 s8, 0
                                        ; implicit-def: $sgpr12
                                        ; implicit-def: $vgpr14
                                        ; implicit-def: $vgpr15
                                        ; implicit-def: $vgpr16
                                        ; implicit-def: $vgpr17
                                        ; implicit-def: $vgpr18
                                        ; implicit-def: $vgpr19
                                        ; implicit-def: $vgpr20
                                        ; implicit-def: $vgpr4_vgpr5
.LBB327_528:                            ;   in Loop: Header=BB327_524 Depth=2
	s_add_u32 s10, s36, s9
	s_addc_u32 s11, s37, 0
	s_mov_b32 s12, exec_lo
	v_cmpx_gt_u32_e64 s0, v1
	s_cbranch_execz .LBB327_556
; %bb.529:                              ;   in Loop: Header=BB327_524 Depth=2
	v_add_co_u32 v4, s13, s10, v1
	s_delay_alu instid0(VALU_DEP_1) | instskip(SKIP_2) | instid1(SALU_CYCLE_1)
	v_add_co_ci_u32_e64 v5, null, s11, 0, s13
	global_load_u8 v2, v[4:5], off
	s_or_b32 exec_lo, exec_lo, s12
	s_mov_b32 s12, exec_lo
	v_cmpx_gt_u32_e64 s0, v29
	s_cbranch_execnz .LBB327_557
.LBB327_530:                            ;   in Loop: Header=BB327_524 Depth=2
	s_or_b32 exec_lo, exec_lo, s12
	s_delay_alu instid0(SALU_CYCLE_1)
	s_mov_b32 s12, exec_lo
	v_cmpx_gt_u32_e64 s0, v30
	s_cbranch_execz .LBB327_558
.LBB327_531:                            ;   in Loop: Header=BB327_524 Depth=2
	v_add_co_u32 v4, s13, s10, v1
	s_delay_alu instid0(VALU_DEP_1) | instskip(SKIP_2) | instid1(SALU_CYCLE_1)
	v_add_co_ci_u32_e64 v5, null, s11, 0, s13
	global_load_u8 v7, v[4:5], off offset:512
	s_or_b32 exec_lo, exec_lo, s12
	s_mov_b32 s12, exec_lo
	v_cmpx_gt_u32_e64 s0, v31
	s_cbranch_execnz .LBB327_559
.LBB327_532:                            ;   in Loop: Header=BB327_524 Depth=2
	s_or_b32 exec_lo, exec_lo, s12
	s_delay_alu instid0(SALU_CYCLE_1)
	s_mov_b32 s12, exec_lo
	v_cmpx_gt_u32_e64 s0, v35
	s_cbranch_execz .LBB327_560
.LBB327_533:                            ;   in Loop: Header=BB327_524 Depth=2
	v_add_co_u32 v4, s13, s10, v1
	s_delay_alu instid0(VALU_DEP_1) | instskip(SKIP_2) | instid1(SALU_CYCLE_1)
	v_add_co_ci_u32_e64 v5, null, s11, 0, s13
	global_load_u8 v9, v[4:5], off offset:1024
	s_or_b32 exec_lo, exec_lo, s12
	s_mov_b32 s12, exec_lo
	v_cmpx_gt_u32_e64 s0, v36
	s_cbranch_execnz .LBB327_561
.LBB327_534:                            ;   in Loop: Header=BB327_524 Depth=2
	s_or_b32 exec_lo, exec_lo, s12
	s_delay_alu instid0(SALU_CYCLE_1)
	s_mov_b32 s12, exec_lo
	v_cmpx_gt_u32_e64 s0, v37
	s_cbranch_execz .LBB327_536
.LBB327_535:                            ;   in Loop: Header=BB327_524 Depth=2
	v_add_co_u32 v4, s13, s10, v1
	s_delay_alu instid0(VALU_DEP_1)
	v_add_co_ci_u32_e64 v5, null, s11, 0, s13
	global_load_u8 v11, v[4:5], off offset:1536
.LBB327_536:                            ;   in Loop: Header=BB327_524 Depth=2
	s_or_b32 exec_lo, exec_lo, s12
	s_delay_alu instid0(SALU_CYCLE_1)
	s_mov_b32 s13, exec_lo
                                        ; implicit-def: $sgpr12
                                        ; implicit-def: $vgpr4_vgpr5
	v_cmpx_gt_u32_e64 s0, v39
; %bb.537:                              ;   in Loop: Header=BB327_524 Depth=2
	v_add_co_u32 v4, s10, s10, v1
	s_delay_alu instid0(VALU_DEP_1) | instskip(SKIP_1) | instid1(VALU_DEP_2)
	v_add_co_ci_u32_e64 v5, null, s11, 0, s10
	s_sub_i32 s12, s29, s9
	v_add_co_u32 v4, vcc_lo, 0x700, v4
	s_delay_alu instid0(VALU_DEP_2)
	v_add_co_ci_u32_e32 v5, vcc_lo, 0, v5, vcc_lo
	s_or_b32 s8, s8, exec_lo
                                        ; implicit-def: $vgpr12
; %bb.538:                              ;   in Loop: Header=BB327_524 Depth=2
	s_or_b32 exec_lo, exec_lo, s13
	s_waitcnt vmcnt(0)
	v_dual_mov_b32 v14, v2 :: v_dual_mov_b32 v17, v8
	v_dual_mov_b32 v15, v6 :: v_dual_mov_b32 v16, v7
	;; [unrolled: 1-line block ×4, first 2 shown]
	s_and_saveexec_b32 s9, s8
	s_cbranch_execz .LBB327_540
.LBB327_539:                            ;   in Loop: Header=BB327_524 Depth=2
	global_load_u8 v12, v[4:5], off
	s_waitcnt vmcnt(1)
	v_dual_mov_b32 v13, s12 :: v_dual_mov_b32 v2, v14
	v_dual_mov_b32 v6, v15 :: v_dual_mov_b32 v7, v16
	;; [unrolled: 1-line block ×4, first 2 shown]
.LBB327_540:                            ;   in Loop: Header=BB327_524 Depth=2
	s_or_b32 exec_lo, exec_lo, s9
	v_lshlrev_b32_e32 v4, 2, v32
	s_mov_b32 s8, exec_lo
	v_cmpx_lt_u32_e64 v1, v13
	s_cbranch_execz .LBB327_548
; %bb.541:                              ;   in Loop: Header=BB327_524 Depth=2
	v_xor_b32_e32 v5, 0x7f, v2
	s_delay_alu instid0(VALU_DEP_1) | instskip(NEXT) | instid1(VALU_DEP_1)
	v_and_b32_e32 v5, 0xff, v5
	v_lshrrev_b32_e32 v5, s49, v5
	s_delay_alu instid0(VALU_DEP_1) | instskip(NEXT) | instid1(VALU_DEP_1)
	v_and_b32_e32 v5, s31, v5
	v_lshl_or_b32 v5, v5, 4, v4
	ds_add_u32 v5, v66
	s_or_b32 exec_lo, exec_lo, s8
	s_delay_alu instid0(SALU_CYCLE_1)
	s_mov_b32 s8, exec_lo
	v_cmpx_lt_u32_e64 v29, v13
	s_cbranch_execnz .LBB327_549
.LBB327_542:                            ;   in Loop: Header=BB327_524 Depth=2
	s_or_b32 exec_lo, exec_lo, s8
	s_delay_alu instid0(SALU_CYCLE_1)
	s_mov_b32 s8, exec_lo
	v_cmpx_lt_u32_e64 v30, v13
	s_cbranch_execz .LBB327_550
.LBB327_543:                            ;   in Loop: Header=BB327_524 Depth=2
	v_xor_b32_e32 v5, 0x7f, v7
	s_delay_alu instid0(VALU_DEP_1) | instskip(NEXT) | instid1(VALU_DEP_1)
	v_and_b32_e32 v5, 0xff, v5
	v_lshrrev_b32_e32 v5, s49, v5
	s_delay_alu instid0(VALU_DEP_1) | instskip(NEXT) | instid1(VALU_DEP_1)
	v_and_b32_e32 v5, s31, v5
	v_lshl_or_b32 v5, v5, 4, v4
	ds_add_u32 v5, v66
	s_or_b32 exec_lo, exec_lo, s8
	s_delay_alu instid0(SALU_CYCLE_1)
	s_mov_b32 s8, exec_lo
	v_cmpx_lt_u32_e64 v31, v13
	s_cbranch_execnz .LBB327_551
.LBB327_544:                            ;   in Loop: Header=BB327_524 Depth=2
	s_or_b32 exec_lo, exec_lo, s8
	s_delay_alu instid0(SALU_CYCLE_1)
	s_mov_b32 s8, exec_lo
	v_cmpx_lt_u32_e64 v35, v13
	s_cbranch_execz .LBB327_552
.LBB327_545:                            ;   in Loop: Header=BB327_524 Depth=2
	v_xor_b32_e32 v5, 0x7f, v9
	s_delay_alu instid0(VALU_DEP_1) | instskip(NEXT) | instid1(VALU_DEP_1)
	v_and_b32_e32 v5, 0xff, v5
	v_lshrrev_b32_e32 v5, s49, v5
	s_delay_alu instid0(VALU_DEP_1) | instskip(NEXT) | instid1(VALU_DEP_1)
	v_and_b32_e32 v5, s31, v5
	v_lshl_or_b32 v5, v5, 4, v4
	ds_add_u32 v5, v66
	s_or_b32 exec_lo, exec_lo, s8
	s_delay_alu instid0(SALU_CYCLE_1)
	s_mov_b32 s8, exec_lo
	v_cmpx_lt_u32_e64 v36, v13
	s_cbranch_execnz .LBB327_553
.LBB327_546:                            ;   in Loop: Header=BB327_524 Depth=2
	s_or_b32 exec_lo, exec_lo, s8
	s_delay_alu instid0(SALU_CYCLE_1)
	s_mov_b32 s8, exec_lo
	v_cmpx_lt_u32_e64 v37, v13
	s_cbranch_execz .LBB327_554
.LBB327_547:                            ;   in Loop: Header=BB327_524 Depth=2
	v_xor_b32_e32 v5, 0x7f, v11
	s_delay_alu instid0(VALU_DEP_1) | instskip(NEXT) | instid1(VALU_DEP_1)
	v_and_b32_e32 v5, 0xff, v5
	v_lshrrev_b32_e32 v5, s49, v5
	s_delay_alu instid0(VALU_DEP_1) | instskip(NEXT) | instid1(VALU_DEP_1)
	v_and_b32_e32 v5, s31, v5
	v_lshl_or_b32 v5, v5, 4, v4
	ds_add_u32 v5, v66
	s_or_b32 exec_lo, exec_lo, s8
	s_delay_alu instid0(SALU_CYCLE_1)
	s_mov_b32 s8, exec_lo
	v_cmpx_lt_u32_e64 v39, v13
	s_cbranch_execz .LBB327_523
	s_branch .LBB327_555
.LBB327_548:                            ;   in Loop: Header=BB327_524 Depth=2
	s_or_b32 exec_lo, exec_lo, s8
	s_delay_alu instid0(SALU_CYCLE_1)
	s_mov_b32 s8, exec_lo
	v_cmpx_lt_u32_e64 v29, v13
	s_cbranch_execz .LBB327_542
.LBB327_549:                            ;   in Loop: Header=BB327_524 Depth=2
	v_xor_b32_e32 v5, 0x7f, v6
	s_delay_alu instid0(VALU_DEP_1) | instskip(NEXT) | instid1(VALU_DEP_1)
	v_and_b32_e32 v5, 0xff, v5
	v_lshrrev_b32_e32 v5, s49, v5
	s_delay_alu instid0(VALU_DEP_1) | instskip(NEXT) | instid1(VALU_DEP_1)
	v_and_b32_e32 v5, s31, v5
	v_lshl_or_b32 v5, v5, 4, v4
	ds_add_u32 v5, v66
	s_or_b32 exec_lo, exec_lo, s8
	s_delay_alu instid0(SALU_CYCLE_1)
	s_mov_b32 s8, exec_lo
	v_cmpx_lt_u32_e64 v30, v13
	s_cbranch_execnz .LBB327_543
.LBB327_550:                            ;   in Loop: Header=BB327_524 Depth=2
	s_or_b32 exec_lo, exec_lo, s8
	s_delay_alu instid0(SALU_CYCLE_1)
	s_mov_b32 s8, exec_lo
	v_cmpx_lt_u32_e64 v31, v13
	s_cbranch_execz .LBB327_544
.LBB327_551:                            ;   in Loop: Header=BB327_524 Depth=2
	v_xor_b32_e32 v5, 0x7f, v8
	s_delay_alu instid0(VALU_DEP_1) | instskip(NEXT) | instid1(VALU_DEP_1)
	v_and_b32_e32 v5, 0xff, v5
	v_lshrrev_b32_e32 v5, s49, v5
	s_delay_alu instid0(VALU_DEP_1) | instskip(NEXT) | instid1(VALU_DEP_1)
	v_and_b32_e32 v5, s31, v5
	v_lshl_or_b32 v5, v5, 4, v4
	ds_add_u32 v5, v66
	s_or_b32 exec_lo, exec_lo, s8
	s_delay_alu instid0(SALU_CYCLE_1)
	s_mov_b32 s8, exec_lo
	v_cmpx_lt_u32_e64 v35, v13
	s_cbranch_execnz .LBB327_545
.LBB327_552:                            ;   in Loop: Header=BB327_524 Depth=2
	s_or_b32 exec_lo, exec_lo, s8
	s_delay_alu instid0(SALU_CYCLE_1)
	s_mov_b32 s8, exec_lo
	v_cmpx_lt_u32_e64 v36, v13
	s_cbranch_execz .LBB327_546
.LBB327_553:                            ;   in Loop: Header=BB327_524 Depth=2
	v_xor_b32_e32 v5, 0x7f, v10
	s_delay_alu instid0(VALU_DEP_1) | instskip(NEXT) | instid1(VALU_DEP_1)
	v_and_b32_e32 v5, 0xff, v5
	v_lshrrev_b32_e32 v5, s49, v5
	s_delay_alu instid0(VALU_DEP_1) | instskip(NEXT) | instid1(VALU_DEP_1)
	v_and_b32_e32 v5, s31, v5
	v_lshl_or_b32 v5, v5, 4, v4
	ds_add_u32 v5, v66
	s_or_b32 exec_lo, exec_lo, s8
	s_delay_alu instid0(SALU_CYCLE_1)
	s_mov_b32 s8, exec_lo
	v_cmpx_lt_u32_e64 v37, v13
	s_cbranch_execnz .LBB327_547
.LBB327_554:                            ;   in Loop: Header=BB327_524 Depth=2
	s_or_b32 exec_lo, exec_lo, s8
	s_delay_alu instid0(SALU_CYCLE_1)
	s_mov_b32 s8, exec_lo
	v_cmpx_lt_u32_e64 v39, v13
	s_cbranch_execz .LBB327_523
.LBB327_555:                            ;   in Loop: Header=BB327_524 Depth=2
	s_waitcnt vmcnt(0)
	v_xor_b32_e32 v5, 0x7f, v12
	s_delay_alu instid0(VALU_DEP_1) | instskip(NEXT) | instid1(VALU_DEP_1)
	v_and_b32_e32 v5, 0xff, v5
	v_lshrrev_b32_e32 v5, s49, v5
	s_delay_alu instid0(VALU_DEP_1) | instskip(NEXT) | instid1(VALU_DEP_1)
	v_and_b32_e32 v5, s31, v5
	v_lshl_or_b32 v4, v5, 4, v4
	ds_add_u32 v4, v66
	s_branch .LBB327_523
.LBB327_556:                            ;   in Loop: Header=BB327_524 Depth=2
	s_or_b32 exec_lo, exec_lo, s12
	s_delay_alu instid0(SALU_CYCLE_1)
	s_mov_b32 s12, exec_lo
	v_cmpx_gt_u32_e64 s0, v29
	s_cbranch_execz .LBB327_530
.LBB327_557:                            ;   in Loop: Header=BB327_524 Depth=2
	v_add_co_u32 v4, s13, s10, v1
	s_delay_alu instid0(VALU_DEP_1) | instskip(SKIP_2) | instid1(SALU_CYCLE_1)
	v_add_co_ci_u32_e64 v5, null, s11, 0, s13
	global_load_u8 v6, v[4:5], off offset:256
	s_or_b32 exec_lo, exec_lo, s12
	s_mov_b32 s12, exec_lo
	v_cmpx_gt_u32_e64 s0, v30
	s_cbranch_execnz .LBB327_531
.LBB327_558:                            ;   in Loop: Header=BB327_524 Depth=2
	s_or_b32 exec_lo, exec_lo, s12
	s_delay_alu instid0(SALU_CYCLE_1)
	s_mov_b32 s12, exec_lo
	v_cmpx_gt_u32_e64 s0, v31
	s_cbranch_execz .LBB327_532
.LBB327_559:                            ;   in Loop: Header=BB327_524 Depth=2
	v_add_co_u32 v4, s13, s10, v1
	s_delay_alu instid0(VALU_DEP_1) | instskip(SKIP_2) | instid1(SALU_CYCLE_1)
	v_add_co_ci_u32_e64 v5, null, s11, 0, s13
	global_load_u8 v8, v[4:5], off offset:768
	s_or_b32 exec_lo, exec_lo, s12
	s_mov_b32 s12, exec_lo
	v_cmpx_gt_u32_e64 s0, v35
	s_cbranch_execnz .LBB327_533
.LBB327_560:                            ;   in Loop: Header=BB327_524 Depth=2
	s_or_b32 exec_lo, exec_lo, s12
	s_delay_alu instid0(SALU_CYCLE_1)
	s_mov_b32 s12, exec_lo
	v_cmpx_gt_u32_e64 s0, v36
	s_cbranch_execz .LBB327_534
.LBB327_561:                            ;   in Loop: Header=BB327_524 Depth=2
	v_add_co_u32 v4, s13, s10, v1
	s_delay_alu instid0(VALU_DEP_1) | instskip(SKIP_2) | instid1(SALU_CYCLE_1)
	v_add_co_ci_u32_e64 v5, null, s11, 0, s13
	global_load_u8 v10, v[4:5], off offset:1280
	s_or_b32 exec_lo, exec_lo, s12
	s_mov_b32 s12, exec_lo
	v_cmpx_gt_u32_e64 s0, v37
	s_cbranch_execz .LBB327_536
	s_branch .LBB327_535
.LBB327_562:                            ;   in Loop: Header=BB327_20 Depth=1
	v_mov_b32_e32 v2, 0
	s_waitcnt vmcnt(0) lgkmcnt(0)
	s_barrier
	buffer_gl0_inv
	s_and_saveexec_b32 s0, s2
	s_cbranch_execz .LBB327_564
; %bb.563:                              ;   in Loop: Header=BB327_20 Depth=1
	ds_load_2addr_b64 v[4:7], v40 offset1:1
	s_waitcnt lgkmcnt(0)
	v_add_nc_u32_e32 v2, v5, v4
	s_delay_alu instid0(VALU_DEP_1)
	v_add3_u32 v2, v2, v6, v7
.LBB327_564:                            ;   in Loop: Header=BB327_20 Depth=1
	s_or_b32 exec_lo, exec_lo, s0
	v_and_b32_e32 v4, 15, v63
	s_delay_alu instid0(VALU_DEP_2) | instskip(SKIP_1) | instid1(VALU_DEP_3)
	v_mov_b32_dpp v5, v2 row_shr:1 row_mask:0xf bank_mask:0xf
	v_and_b32_e32 v6, 16, v63
	v_cmp_eq_u32_e64 s0, 0, v4
	v_cmp_lt_u32_e64 s1, 1, v4
	v_cmp_lt_u32_e64 s8, 3, v4
	;; [unrolled: 1-line block ×3, first 2 shown]
	v_cmp_eq_u32_e64 s10, 0, v6
	v_cndmask_b32_e64 v5, v5, 0, s0
	s_delay_alu instid0(VALU_DEP_1) | instskip(NEXT) | instid1(VALU_DEP_1)
	v_add_nc_u32_e32 v2, v5, v2
	v_mov_b32_dpp v5, v2 row_shr:2 row_mask:0xf bank_mask:0xf
	s_delay_alu instid0(VALU_DEP_1) | instskip(NEXT) | instid1(VALU_DEP_1)
	v_cndmask_b32_e64 v5, 0, v5, s1
	v_add_nc_u32_e32 v2, v2, v5
	s_delay_alu instid0(VALU_DEP_1) | instskip(NEXT) | instid1(VALU_DEP_1)
	v_mov_b32_dpp v5, v2 row_shr:4 row_mask:0xf bank_mask:0xf
	v_cndmask_b32_e64 v5, 0, v5, s8
	s_delay_alu instid0(VALU_DEP_1) | instskip(NEXT) | instid1(VALU_DEP_1)
	v_add_nc_u32_e32 v2, v2, v5
	v_mov_b32_dpp v5, v2 row_shr:8 row_mask:0xf bank_mask:0xf
	s_delay_alu instid0(VALU_DEP_1) | instskip(SKIP_1) | instid1(VALU_DEP_2)
	v_cndmask_b32_e64 v4, 0, v5, s9
	v_bfe_i32 v5, v63, 4, 1
	v_add_nc_u32_e32 v2, v2, v4
	ds_swizzle_b32 v4, v2 offset:swizzle(BROADCAST,32,15)
	s_waitcnt lgkmcnt(0)
	v_and_b32_e32 v4, v5, v4
	s_delay_alu instid0(VALU_DEP_1)
	v_add_nc_u32_e32 v4, v2, v4
	s_and_saveexec_b32 s11, s3
	s_cbranch_execz .LBB327_566
; %bb.565:                              ;   in Loop: Header=BB327_20 Depth=1
	ds_store_b32 v41, v4
.LBB327_566:                            ;   in Loop: Header=BB327_20 Depth=1
	s_or_b32 exec_lo, exec_lo, s11
	v_and_b32_e32 v2, 7, v63
	s_waitcnt lgkmcnt(0)
	s_barrier
	buffer_gl0_inv
	s_and_saveexec_b32 s11, s4
	s_cbranch_execz .LBB327_568
; %bb.567:                              ;   in Loop: Header=BB327_20 Depth=1
	ds_load_b32 v5, v42
	v_cmp_ne_u32_e32 vcc_lo, 0, v2
	s_waitcnt lgkmcnt(0)
	v_mov_b32_dpp v6, v5 row_shr:1 row_mask:0xf bank_mask:0xf
	s_delay_alu instid0(VALU_DEP_1) | instskip(SKIP_1) | instid1(VALU_DEP_2)
	v_cndmask_b32_e32 v6, 0, v6, vcc_lo
	v_cmp_lt_u32_e32 vcc_lo, 1, v2
	v_add_nc_u32_e32 v5, v6, v5
	s_delay_alu instid0(VALU_DEP_1) | instskip(NEXT) | instid1(VALU_DEP_1)
	v_mov_b32_dpp v6, v5 row_shr:2 row_mask:0xf bank_mask:0xf
	v_cndmask_b32_e32 v6, 0, v6, vcc_lo
	v_cmp_lt_u32_e32 vcc_lo, 3, v2
	s_delay_alu instid0(VALU_DEP_2) | instskip(NEXT) | instid1(VALU_DEP_1)
	v_add_nc_u32_e32 v5, v5, v6
	v_mov_b32_dpp v6, v5 row_shr:4 row_mask:0xf bank_mask:0xf
	s_delay_alu instid0(VALU_DEP_1) | instskip(NEXT) | instid1(VALU_DEP_1)
	v_cndmask_b32_e32 v6, 0, v6, vcc_lo
	v_add_nc_u32_e32 v5, v5, v6
	ds_store_b32 v42, v5
.LBB327_568:                            ;   in Loop: Header=BB327_20 Depth=1
	s_or_b32 exec_lo, exec_lo, s11
	v_mov_b32_e32 v5, 0
	s_waitcnt lgkmcnt(0)
	s_barrier
	buffer_gl0_inv
	s_and_saveexec_b32 s11, s5
	s_cbranch_execz .LBB327_570
; %bb.569:                              ;   in Loop: Header=BB327_20 Depth=1
	ds_load_b32 v5, v43
.LBB327_570:                            ;   in Loop: Header=BB327_20 Depth=1
	s_or_b32 exec_lo, exec_lo, s11
	v_add_nc_u32_e32 v6, -1, v63
	s_waitcnt lgkmcnt(0)
	v_add_nc_u32_e32 v4, v5, v4
	v_cmp_eq_u32_e64 s11, 0, v63
	s_barrier
	v_cmp_gt_i32_e32 vcc_lo, 0, v6
	buffer_gl0_inv
	v_cndmask_b32_e32 v6, v6, v63, vcc_lo
	s_delay_alu instid0(VALU_DEP_1)
	v_lshlrev_b32_e32 v69, 2, v6
	ds_bpermute_b32 v4, v69, v4
	s_and_saveexec_b32 s12, s2
	s_cbranch_execz .LBB327_572
; %bb.571:                              ;   in Loop: Header=BB327_20 Depth=1
	s_waitcnt lgkmcnt(0)
	v_cndmask_b32_e64 v4, v4, v5, s11
	s_delay_alu instid0(VALU_DEP_1)
	v_add_nc_u32_e32 v4, s28, v4
	ds_store_b32 v28, v4
.LBB327_572:                            ;   in Loop: Header=BB327_20 Depth=1
	s_or_b32 exec_lo, exec_lo, s12
	s_load_b64 s[12:13], s[26:27], 0x0
	v_add_co_u32 v71, vcc_lo, v64, v63
	v_add_co_ci_u32_e32 v72, vcc_lo, 0, v65, vcc_lo
	v_or_b32_e32 v70, v63, v44
	s_mov_b32 s35, s34
	s_mov_b32 s24, s28
                                        ; implicit-def: $vgpr8_vgpr9
                                        ; implicit-def: $vgpr10_vgpr11
                                        ; implicit-def: $vgpr12_vgpr13
                                        ; implicit-def: $vgpr14_vgpr15
                                        ; implicit-def: $vgpr16_vgpr17
                                        ; implicit-def: $vgpr18_vgpr19
                                        ; implicit-def: $vgpr85
                                        ; implicit-def: $vgpr86
                                        ; implicit-def: $vgpr87
                                        ; implicit-def: $vgpr88
                                        ; implicit-def: $vgpr89
                                        ; implicit-def: $vgpr90
                                        ; implicit-def: $vgpr91
                                        ; implicit-def: $vgpr92
	s_delay_alu instid0(VALU_DEP_1)
	v_or_b32_e32 v75, 32, v70
	v_or_b32_e32 v76, 64, v70
	;; [unrolled: 1-line block ×7, first 2 shown]
	s_waitcnt lgkmcnt(0)
	s_cmp_lt_u32 s15, s13
	s_cselect_b32 s13, 14, 20
	s_delay_alu instid0(SALU_CYCLE_1) | instskip(SKIP_4) | instid1(SALU_CYCLE_1)
	s_add_u32 s16, s26, s13
	s_addc_u32 s17, s27, 0
	s_cmp_lt_u32 s14, s12
	global_load_u16 v4, v3, s[16:17]
	s_cselect_b32 s12, 12, 18
	s_add_u32 s12, s26, s12
	s_addc_u32 s13, s27, 0
	global_load_u16 v6, v3, s[12:13]
	v_cmp_eq_u32_e64 s12, 0, v2
	v_cmp_lt_u32_e64 s13, 1, v2
	v_cmp_lt_u32_e64 s16, 3, v2
	v_lshlrev_b32_e32 v2, 3, v63
	s_delay_alu instid0(VALU_DEP_1)
	v_add_co_u32 v73, vcc_lo, v61, v2
	v_add_co_ci_u32_e32 v74, vcc_lo, 0, v62, vcc_lo
	v_add_co_u32 v83, vcc_lo, 0xe0, v71
	v_add_co_ci_u32_e32 v84, vcc_lo, 0, v72, vcc_lo
	s_waitcnt vmcnt(1)
	v_mad_u32_u24 v7, v45, v4, v0
	s_waitcnt vmcnt(0)
	s_delay_alu instid0(VALU_DEP_1) | instskip(NEXT) | instid1(VALU_DEP_1)
	v_mad_u64_u32 v[4:5], null, v7, v6, v[1:2]
                                        ; implicit-def: $vgpr6_vgpr7
	v_lshrrev_b32_e32 v82, 5, v4
                                        ; implicit-def: $vgpr4_vgpr5
	s_branch .LBB327_574
.LBB327_573:                            ;   in Loop: Header=BB327_574 Depth=2
	s_or_b32 exec_lo, exec_lo, s17
	s_addk_i32 s35, 0xf800
	s_cmp_lt_u32 s42, s29
	s_mov_b32 s24, s42
	s_cbranch_scc0 .LBB327_18
.LBB327_574:                            ;   Parent Loop BB327_20 Depth=1
                                        ; =>  This Inner Loop Header: Depth=2
	s_add_i32 s42, s24, 0x800
	s_delay_alu instid0(SALU_CYCLE_1)
	s_cmp_gt_u32 s42, s29
	s_cbranch_scc1 .LBB327_577
; %bb.575:                              ;   in Loop: Header=BB327_574 Depth=2
	v_add_co_u32 v20, vcc_lo, v71, s24
	v_add_co_ci_u32_e32 v21, vcc_lo, 0, v72, vcc_lo
	s_mov_b32 s19, 0
	s_mov_b32 s18, s24
	s_mov_b32 s20, -1
	s_clause 0x6
	global_load_u8 v23, v[20:21], off offset:192
	global_load_u8 v24, v[20:21], off offset:160
	global_load_u8 v25, v[20:21], off offset:128
	global_load_u8 v26, v[20:21], off offset:96
	global_load_u8 v27, v[20:21], off offset:64
	global_load_u8 v95, v[20:21], off offset:32
	global_load_u8 v93, v[20:21], off
	s_movk_i32 s17, 0x800
	s_cbranch_execz .LBB327_578
; %bb.576:                              ;   in Loop: Header=BB327_574 Depth=2
                                        ; implicit-def: $vgpr22
	v_mov_b32_e32 v2, s35
	s_and_saveexec_b32 s21, s20
	s_cbranch_execnz .LBB327_587
	s_branch .LBB327_588
.LBB327_577:                            ;   in Loop: Header=BB327_574 Depth=2
	s_mov_b32 s19, -1
	s_mov_b32 s20, 0
                                        ; implicit-def: $sgpr17
                                        ; implicit-def: $vgpr93
                                        ; implicit-def: $vgpr95
                                        ; implicit-def: $vgpr27
                                        ; implicit-def: $vgpr26
                                        ; implicit-def: $vgpr25
                                        ; implicit-def: $vgpr24
                                        ; implicit-def: $vgpr23
.LBB327_578:                            ;   in Loop: Header=BB327_574 Depth=2
	v_add_co_u32 v20, vcc_lo, v71, s24
	v_add_co_ci_u32_e32 v21, vcc_lo, 0, v72, vcc_lo
	s_waitcnt vmcnt(0)
	v_dual_mov_b32 v93, 0x80 :: v_dual_mov_b32 v22, 0x80
	v_dual_mov_b32 v95, 0x80 :: v_dual_mov_b32 v26, 0x80
	v_dual_mov_b32 v27, 0x80 :: v_dual_mov_b32 v24, 0x80
	v_mov_b32_e32 v25, 0x80
	v_mov_b32_e32 v23, 0x80
	s_mov_b32 s17, exec_lo
	v_cmpx_gt_u32_e64 s35, v70
	s_cbranch_execz .LBB327_680
; %bb.579:                              ;   in Loop: Header=BB327_574 Depth=2
	global_load_u8 v93, v[20:21], off
	v_dual_mov_b32 v95, 0x80 :: v_dual_mov_b32 v26, 0x80
	v_dual_mov_b32 v27, 0x80 :: v_dual_mov_b32 v24, 0x80
	;; [unrolled: 1-line block ×3, first 2 shown]
	v_mov_b32_e32 v23, 0x80
	s_or_b32 exec_lo, exec_lo, s17
	s_delay_alu instid0(SALU_CYCLE_1)
	s_mov_b32 s17, exec_lo
	v_cmpx_gt_u32_e64 s35, v75
	s_cbranch_execnz .LBB327_681
.LBB327_580:                            ;   in Loop: Header=BB327_574 Depth=2
	s_or_b32 exec_lo, exec_lo, s17
	s_delay_alu instid0(SALU_CYCLE_1)
	s_mov_b32 s17, exec_lo
	v_cmpx_gt_u32_e64 s35, v76
	s_cbranch_execz .LBB327_682
.LBB327_581:                            ;   in Loop: Header=BB327_574 Depth=2
	global_load_u8 v27, v[20:21], off offset:64
	s_or_b32 exec_lo, exec_lo, s17
	s_delay_alu instid0(SALU_CYCLE_1)
	s_mov_b32 s17, exec_lo
	v_cmpx_gt_u32_e64 s35, v77
	s_cbranch_execnz .LBB327_683
.LBB327_582:                            ;   in Loop: Header=BB327_574 Depth=2
	s_or_b32 exec_lo, exec_lo, s17
	s_delay_alu instid0(SALU_CYCLE_1)
	s_mov_b32 s17, exec_lo
	v_cmpx_gt_u32_e64 s35, v78
	s_cbranch_execz .LBB327_684
.LBB327_583:                            ;   in Loop: Header=BB327_574 Depth=2
	global_load_u8 v25, v[20:21], off offset:128
	s_or_b32 exec_lo, exec_lo, s17
	s_delay_alu instid0(SALU_CYCLE_1)
	s_mov_b32 s17, exec_lo
	v_cmpx_gt_u32_e64 s35, v79
	s_cbranch_execnz .LBB327_685
.LBB327_584:                            ;   in Loop: Header=BB327_574 Depth=2
	s_or_b32 exec_lo, exec_lo, s17
	s_delay_alu instid0(SALU_CYCLE_1)
	s_mov_b32 s17, exec_lo
	v_cmpx_gt_u32_e64 s35, v80
	s_cbranch_execz .LBB327_586
.LBB327_585:                            ;   in Loop: Header=BB327_574 Depth=2
	global_load_u8 v23, v[20:21], off offset:192
.LBB327_586:                            ;   in Loop: Header=BB327_574 Depth=2
	s_or_b32 exec_lo, exec_lo, s17
	v_cmp_gt_u32_e64 s20, s35, v81
	s_sub_i32 s17, s29, s24
	s_mov_b64 s[18:19], s[24:25]
	v_mov_b32_e32 v2, s35
	s_delay_alu instid0(VALU_DEP_2)
	s_and_saveexec_b32 s21, s20
	s_cbranch_execz .LBB327_588
.LBB327_587:                            ;   in Loop: Header=BB327_574 Depth=2
	v_add_co_u32 v20, vcc_lo, v83, s18
	v_add_co_ci_u32_e32 v21, vcc_lo, s19, v84, vcc_lo
	v_mov_b32_e32 v2, s17
	global_load_u8 v22, v[20:21], off
.LBB327_588:                            ;   in Loop: Header=BB327_574 Depth=2
	s_or_b32 exec_lo, exec_lo, s21
	s_waitcnt vmcnt(0)
	v_xor_b32_e32 v93, 0x7f, v93
	ds_store_b32 v46, v3 offset:1056
	ds_store_2addr_b32 v47, v3, v3 offset0:1 offset1:2
	ds_store_2addr_b32 v47, v3, v3 offset0:3 offset1:4
	;; [unrolled: 1-line block ×4, first 2 shown]
	s_waitcnt lgkmcnt(0)
	s_barrier
	v_and_b32_e32 v20, 0xff, v93
	buffer_gl0_inv
	; wave barrier
	v_lshrrev_b32_e32 v20, s49, v20
	s_delay_alu instid0(VALU_DEP_1) | instskip(NEXT) | instid1(VALU_DEP_1)
	v_and_b32_e32 v21, s31, v20
	v_and_b32_e32 v20, 1, v21
	v_lshlrev_b32_e32 v94, 30, v21
	v_lshlrev_b32_e32 v96, 29, v21
	;; [unrolled: 1-line block ×4, first 2 shown]
	v_add_co_u32 v20, s17, v20, -1
	s_delay_alu instid0(VALU_DEP_1)
	v_cndmask_b32_e64 v98, 0, 1, s17
	v_not_b32_e32 v102, v94
	v_cmp_gt_i32_e64 s17, 0, v94
	v_not_b32_e32 v94, v96
	v_lshlrev_b32_e32 v100, 26, v21
	v_cmp_ne_u32_e32 vcc_lo, 0, v98
	v_ashrrev_i32_e32 v102, 31, v102
	v_lshlrev_b32_e32 v101, 25, v21
	v_ashrrev_i32_e32 v94, 31, v94
	v_lshlrev_b32_e32 v98, 24, v21
	v_xor_b32_e32 v20, vcc_lo, v20
	v_cmp_gt_i32_e32 vcc_lo, 0, v96
	v_not_b32_e32 v96, v97
	v_xor_b32_e32 v102, s17, v102
	v_cmp_gt_i32_e64 s17, 0, v97
	v_and_b32_e32 v20, exec_lo, v20
	v_not_b32_e32 v97, v99
	v_ashrrev_i32_e32 v96, 31, v96
	v_xor_b32_e32 v94, vcc_lo, v94
	v_cmp_gt_i32_e32 vcc_lo, 0, v99
	v_and_b32_e32 v20, v20, v102
	v_not_b32_e32 v99, v100
	v_ashrrev_i32_e32 v97, 31, v97
	v_xor_b32_e32 v96, s17, v96
	v_cmp_gt_i32_e64 s17, 0, v100
	v_and_b32_e32 v20, v20, v94
	v_not_b32_e32 v94, v101
	v_ashrrev_i32_e32 v99, 31, v99
	v_xor_b32_e32 v97, vcc_lo, v97
	v_cmp_gt_i32_e32 vcc_lo, 0, v101
	v_and_b32_e32 v20, v20, v96
	v_not_b32_e32 v96, v98
	v_ashrrev_i32_e32 v94, 31, v94
	v_xor_b32_e32 v99, s17, v99
	v_cmp_gt_i32_e64 s17, 0, v98
	v_and_b32_e32 v20, v20, v97
	v_ashrrev_i32_e32 v96, 31, v96
	v_xor_b32_e32 v94, vcc_lo, v94
	v_mad_u32_u24 v21, v21, 9, v82
	s_delay_alu instid0(VALU_DEP_4) | instskip(NEXT) | instid1(VALU_DEP_4)
	v_and_b32_e32 v20, v20, v99
	v_xor_b32_e32 v96, s17, v96
	s_delay_alu instid0(VALU_DEP_2) | instskip(NEXT) | instid1(VALU_DEP_1)
	v_and_b32_e32 v20, v20, v94
	v_and_b32_e32 v20, v20, v96
	v_lshl_add_u32 v96, v21, 2, 0x420
	s_delay_alu instid0(VALU_DEP_2) | instskip(SKIP_1) | instid1(VALU_DEP_2)
	v_mbcnt_lo_u32_b32 v94, v20, 0
	v_cmp_ne_u32_e64 s17, 0, v20
	v_cmp_eq_u32_e32 vcc_lo, 0, v94
	s_delay_alu instid0(VALU_DEP_2) | instskip(NEXT) | instid1(SALU_CYCLE_1)
	s_and_b32 s18, s17, vcc_lo
	s_and_saveexec_b32 s17, s18
	s_cbranch_execz .LBB327_590
; %bb.589:                              ;   in Loop: Header=BB327_574 Depth=2
	v_bcnt_u32_b32 v20, v20, 0
	ds_store_b32 v96, v20
.LBB327_590:                            ;   in Loop: Header=BB327_574 Depth=2
	s_or_b32 exec_lo, exec_lo, s17
	v_xor_b32_e32 v95, 0x7f, v95
	; wave barrier
	s_delay_alu instid0(VALU_DEP_1) | instskip(NEXT) | instid1(VALU_DEP_1)
	v_and_b32_e32 v20, 0xff, v95
	v_lshrrev_b32_e32 v20, s49, v20
	s_delay_alu instid0(VALU_DEP_1) | instskip(NEXT) | instid1(VALU_DEP_1)
	v_and_b32_e32 v20, s31, v20
	v_and_b32_e32 v21, 1, v20
	v_lshlrev_b32_e32 v97, 30, v20
	v_lshlrev_b32_e32 v98, 29, v20
	;; [unrolled: 1-line block ×4, first 2 shown]
	v_add_co_u32 v21, s17, v21, -1
	s_delay_alu instid0(VALU_DEP_1)
	v_cndmask_b32_e64 v100, 0, 1, s17
	v_not_b32_e32 v104, v97
	v_cmp_gt_i32_e64 s17, 0, v97
	v_not_b32_e32 v97, v98
	v_lshlrev_b32_e32 v102, 26, v20
	v_cmp_ne_u32_e32 vcc_lo, 0, v100
	v_ashrrev_i32_e32 v104, 31, v104
	v_lshlrev_b32_e32 v103, 25, v20
	v_ashrrev_i32_e32 v97, 31, v97
	v_lshlrev_b32_e32 v100, 24, v20
	v_xor_b32_e32 v21, vcc_lo, v21
	v_cmp_gt_i32_e32 vcc_lo, 0, v98
	v_not_b32_e32 v98, v99
	v_xor_b32_e32 v104, s17, v104
	v_cmp_gt_i32_e64 s17, 0, v99
	v_and_b32_e32 v21, exec_lo, v21
	v_not_b32_e32 v99, v101
	v_ashrrev_i32_e32 v98, 31, v98
	v_xor_b32_e32 v97, vcc_lo, v97
	v_cmp_gt_i32_e32 vcc_lo, 0, v101
	v_and_b32_e32 v21, v21, v104
	v_not_b32_e32 v101, v102
	v_ashrrev_i32_e32 v99, 31, v99
	v_xor_b32_e32 v98, s17, v98
	v_cmp_gt_i32_e64 s17, 0, v102
	v_and_b32_e32 v21, v21, v97
	v_not_b32_e32 v97, v103
	v_ashrrev_i32_e32 v101, 31, v101
	v_xor_b32_e32 v99, vcc_lo, v99
	v_cmp_gt_i32_e32 vcc_lo, 0, v103
	v_and_b32_e32 v21, v21, v98
	v_not_b32_e32 v98, v100
	v_ashrrev_i32_e32 v97, 31, v97
	v_xor_b32_e32 v101, s17, v101
	v_mul_u32_u24_e32 v20, 9, v20
	v_and_b32_e32 v21, v21, v99
	v_cmp_gt_i32_e64 s17, 0, v100
	v_ashrrev_i32_e32 v98, 31, v98
	v_xor_b32_e32 v97, vcc_lo, v97
	v_add_lshl_u32 v99, v20, v82, 2
	v_and_b32_e32 v21, v21, v101
	s_delay_alu instid0(VALU_DEP_4) | instskip(NEXT) | instid1(VALU_DEP_3)
	v_xor_b32_e32 v20, s17, v98
	v_add_nc_u32_e32 v100, 0x420, v99
	s_delay_alu instid0(VALU_DEP_3) | instskip(SKIP_2) | instid1(VALU_DEP_1)
	v_and_b32_e32 v21, v21, v97
	ds_load_b32 v97, v99 offset:1056
	; wave barrier
	v_and_b32_e32 v20, v21, v20
	v_mbcnt_lo_u32_b32 v98, v20, 0
	v_cmp_ne_u32_e64 s17, 0, v20
	s_delay_alu instid0(VALU_DEP_2) | instskip(NEXT) | instid1(VALU_DEP_2)
	v_cmp_eq_u32_e32 vcc_lo, 0, v98
	s_and_b32 s18, s17, vcc_lo
	s_delay_alu instid0(SALU_CYCLE_1)
	s_and_saveexec_b32 s17, s18
	s_cbranch_execz .LBB327_592
; %bb.591:                              ;   in Loop: Header=BB327_574 Depth=2
	s_waitcnt lgkmcnt(0)
	v_bcnt_u32_b32 v20, v20, v97
	ds_store_b32 v100, v20
.LBB327_592:                            ;   in Loop: Header=BB327_574 Depth=2
	s_or_b32 exec_lo, exec_lo, s17
	v_xor_b32_e32 v99, 0x7f, v27
	; wave barrier
	s_delay_alu instid0(VALU_DEP_1) | instskip(NEXT) | instid1(VALU_DEP_1)
	v_and_b32_e32 v20, 0xff, v99
	v_lshrrev_b32_e32 v20, s49, v20
	s_delay_alu instid0(VALU_DEP_1) | instskip(NEXT) | instid1(VALU_DEP_1)
	v_and_b32_e32 v20, s31, v20
	v_and_b32_e32 v21, 1, v20
	v_lshlrev_b32_e32 v27, 30, v20
	v_lshlrev_b32_e32 v101, 29, v20
	v_lshlrev_b32_e32 v102, 28, v20
	v_lshlrev_b32_e32 v104, 27, v20
	v_add_co_u32 v21, s17, v21, -1
	s_delay_alu instid0(VALU_DEP_1)
	v_cndmask_b32_e64 v103, 0, 1, s17
	v_not_b32_e32 v107, v27
	v_cmp_gt_i32_e64 s17, 0, v27
	v_not_b32_e32 v27, v101
	v_lshlrev_b32_e32 v105, 26, v20
	v_cmp_ne_u32_e32 vcc_lo, 0, v103
	v_ashrrev_i32_e32 v107, 31, v107
	v_lshlrev_b32_e32 v106, 25, v20
	v_ashrrev_i32_e32 v27, 31, v27
	v_lshlrev_b32_e32 v103, 24, v20
	v_xor_b32_e32 v21, vcc_lo, v21
	v_cmp_gt_i32_e32 vcc_lo, 0, v101
	v_not_b32_e32 v101, v102
	v_xor_b32_e32 v107, s17, v107
	v_cmp_gt_i32_e64 s17, 0, v102
	v_and_b32_e32 v21, exec_lo, v21
	v_not_b32_e32 v102, v104
	v_ashrrev_i32_e32 v101, 31, v101
	v_xor_b32_e32 v27, vcc_lo, v27
	v_cmp_gt_i32_e32 vcc_lo, 0, v104
	v_and_b32_e32 v21, v21, v107
	v_not_b32_e32 v104, v105
	v_ashrrev_i32_e32 v102, 31, v102
	v_xor_b32_e32 v101, s17, v101
	v_cmp_gt_i32_e64 s17, 0, v105
	v_and_b32_e32 v21, v21, v27
	v_not_b32_e32 v27, v106
	v_ashrrev_i32_e32 v104, 31, v104
	v_xor_b32_e32 v102, vcc_lo, v102
	v_cmp_gt_i32_e32 vcc_lo, 0, v106
	v_and_b32_e32 v21, v21, v101
	v_not_b32_e32 v101, v103
	v_ashrrev_i32_e32 v27, 31, v27
	v_xor_b32_e32 v104, s17, v104
	v_mul_u32_u24_e32 v20, 9, v20
	v_and_b32_e32 v21, v21, v102
	v_cmp_gt_i32_e64 s17, 0, v103
	v_ashrrev_i32_e32 v101, 31, v101
	v_xor_b32_e32 v27, vcc_lo, v27
	v_add_lshl_u32 v103, v20, v82, 2
	v_and_b32_e32 v21, v21, v104
	s_delay_alu instid0(VALU_DEP_4) | instskip(SKIP_3) | instid1(VALU_DEP_2)
	v_xor_b32_e32 v20, s17, v101
	ds_load_b32 v101, v103 offset:1056
	v_and_b32_e32 v21, v21, v27
	v_add_nc_u32_e32 v104, 0x420, v103
	; wave barrier
	v_and_b32_e32 v20, v21, v20
	s_delay_alu instid0(VALU_DEP_1) | instskip(SKIP_1) | instid1(VALU_DEP_2)
	v_mbcnt_lo_u32_b32 v102, v20, 0
	v_cmp_ne_u32_e64 s17, 0, v20
	v_cmp_eq_u32_e32 vcc_lo, 0, v102
	s_delay_alu instid0(VALU_DEP_2) | instskip(NEXT) | instid1(SALU_CYCLE_1)
	s_and_b32 s18, s17, vcc_lo
	s_and_saveexec_b32 s17, s18
	s_cbranch_execz .LBB327_594
; %bb.593:                              ;   in Loop: Header=BB327_574 Depth=2
	s_waitcnt lgkmcnt(0)
	v_bcnt_u32_b32 v20, v20, v101
	ds_store_b32 v104, v20
.LBB327_594:                            ;   in Loop: Header=BB327_574 Depth=2
	s_or_b32 exec_lo, exec_lo, s17
	v_xor_b32_e32 v103, 0x7f, v26
	; wave barrier
	s_delay_alu instid0(VALU_DEP_1) | instskip(NEXT) | instid1(VALU_DEP_1)
	v_and_b32_e32 v20, 0xff, v103
	v_lshrrev_b32_e32 v20, s49, v20
	s_delay_alu instid0(VALU_DEP_1) | instskip(NEXT) | instid1(VALU_DEP_1)
	v_and_b32_e32 v20, s31, v20
	v_and_b32_e32 v21, 1, v20
	v_lshlrev_b32_e32 v26, 30, v20
	v_lshlrev_b32_e32 v27, 29, v20
	;; [unrolled: 1-line block ×4, first 2 shown]
	v_add_co_u32 v21, s17, v21, -1
	s_delay_alu instid0(VALU_DEP_1)
	v_cndmask_b32_e64 v106, 0, 1, s17
	v_not_b32_e32 v110, v26
	v_cmp_gt_i32_e64 s17, 0, v26
	v_not_b32_e32 v26, v27
	v_lshlrev_b32_e32 v108, 26, v20
	v_cmp_ne_u32_e32 vcc_lo, 0, v106
	v_ashrrev_i32_e32 v110, 31, v110
	v_lshlrev_b32_e32 v109, 25, v20
	v_ashrrev_i32_e32 v26, 31, v26
	v_lshlrev_b32_e32 v106, 24, v20
	v_xor_b32_e32 v21, vcc_lo, v21
	v_cmp_gt_i32_e32 vcc_lo, 0, v27
	v_not_b32_e32 v27, v105
	v_xor_b32_e32 v110, s17, v110
	v_cmp_gt_i32_e64 s17, 0, v105
	v_and_b32_e32 v21, exec_lo, v21
	v_not_b32_e32 v105, v107
	v_ashrrev_i32_e32 v27, 31, v27
	v_xor_b32_e32 v26, vcc_lo, v26
	v_cmp_gt_i32_e32 vcc_lo, 0, v107
	v_and_b32_e32 v21, v21, v110
	v_not_b32_e32 v107, v108
	v_ashrrev_i32_e32 v105, 31, v105
	v_xor_b32_e32 v27, s17, v27
	v_cmp_gt_i32_e64 s17, 0, v108
	v_and_b32_e32 v21, v21, v26
	v_not_b32_e32 v26, v109
	v_ashrrev_i32_e32 v107, 31, v107
	v_xor_b32_e32 v105, vcc_lo, v105
	v_cmp_gt_i32_e32 vcc_lo, 0, v109
	v_and_b32_e32 v21, v21, v27
	v_not_b32_e32 v27, v106
	v_ashrrev_i32_e32 v26, 31, v26
	v_xor_b32_e32 v107, s17, v107
	v_mul_u32_u24_e32 v20, 9, v20
	v_and_b32_e32 v21, v21, v105
	v_cmp_gt_i32_e64 s17, 0, v106
	v_ashrrev_i32_e32 v27, 31, v27
	v_xor_b32_e32 v26, vcc_lo, v26
	s_delay_alu instid0(VALU_DEP_4) | instskip(SKIP_1) | instid1(VALU_DEP_4)
	v_and_b32_e32 v21, v21, v107
	v_add_lshl_u32 v107, v20, v82, 2
	v_xor_b32_e32 v20, s17, v27
	s_delay_alu instid0(VALU_DEP_3) | instskip(SKIP_3) | instid1(VALU_DEP_1)
	v_and_b32_e32 v21, v21, v26
	ds_load_b32 v105, v107 offset:1056
	v_add_nc_u32_e32 v108, 0x420, v107
	; wave barrier
	v_and_b32_e32 v20, v21, v20
	v_mbcnt_lo_u32_b32 v106, v20, 0
	v_cmp_ne_u32_e64 s17, 0, v20
	s_delay_alu instid0(VALU_DEP_2) | instskip(NEXT) | instid1(VALU_DEP_2)
	v_cmp_eq_u32_e32 vcc_lo, 0, v106
	s_and_b32 s18, s17, vcc_lo
	s_delay_alu instid0(SALU_CYCLE_1)
	s_and_saveexec_b32 s17, s18
	s_cbranch_execz .LBB327_596
; %bb.595:                              ;   in Loop: Header=BB327_574 Depth=2
	s_waitcnt lgkmcnt(0)
	v_bcnt_u32_b32 v20, v20, v105
	ds_store_b32 v108, v20
.LBB327_596:                            ;   in Loop: Header=BB327_574 Depth=2
	s_or_b32 exec_lo, exec_lo, s17
	v_xor_b32_e32 v107, 0x7f, v25
	; wave barrier
	s_delay_alu instid0(VALU_DEP_1) | instskip(NEXT) | instid1(VALU_DEP_1)
	v_and_b32_e32 v20, 0xff, v107
	v_lshrrev_b32_e32 v20, s49, v20
	s_delay_alu instid0(VALU_DEP_1) | instskip(NEXT) | instid1(VALU_DEP_1)
	v_and_b32_e32 v20, s31, v20
	v_and_b32_e32 v21, 1, v20
	v_lshlrev_b32_e32 v25, 30, v20
	v_lshlrev_b32_e32 v26, 29, v20
	;; [unrolled: 1-line block ×4, first 2 shown]
	v_add_co_u32 v21, s17, v21, -1
	s_delay_alu instid0(VALU_DEP_1)
	v_cndmask_b32_e64 v109, 0, 1, s17
	v_not_b32_e32 v113, v25
	v_cmp_gt_i32_e64 s17, 0, v25
	v_not_b32_e32 v25, v26
	v_lshlrev_b32_e32 v111, 26, v20
	v_cmp_ne_u32_e32 vcc_lo, 0, v109
	v_ashrrev_i32_e32 v113, 31, v113
	v_lshlrev_b32_e32 v112, 25, v20
	v_ashrrev_i32_e32 v25, 31, v25
	v_lshlrev_b32_e32 v109, 24, v20
	v_xor_b32_e32 v21, vcc_lo, v21
	v_cmp_gt_i32_e32 vcc_lo, 0, v26
	v_not_b32_e32 v26, v27
	v_xor_b32_e32 v113, s17, v113
	v_cmp_gt_i32_e64 s17, 0, v27
	v_and_b32_e32 v21, exec_lo, v21
	v_not_b32_e32 v27, v110
	v_ashrrev_i32_e32 v26, 31, v26
	v_xor_b32_e32 v25, vcc_lo, v25
	v_cmp_gt_i32_e32 vcc_lo, 0, v110
	v_and_b32_e32 v21, v21, v113
	v_not_b32_e32 v110, v111
	v_ashrrev_i32_e32 v27, 31, v27
	v_xor_b32_e32 v26, s17, v26
	v_cmp_gt_i32_e64 s17, 0, v111
	v_and_b32_e32 v21, v21, v25
	v_not_b32_e32 v25, v112
	v_ashrrev_i32_e32 v110, 31, v110
	v_xor_b32_e32 v27, vcc_lo, v27
	v_cmp_gt_i32_e32 vcc_lo, 0, v112
	v_and_b32_e32 v21, v21, v26
	v_not_b32_e32 v26, v109
	v_ashrrev_i32_e32 v25, 31, v25
	v_xor_b32_e32 v110, s17, v110
	v_mul_u32_u24_e32 v20, 9, v20
	v_and_b32_e32 v21, v21, v27
	v_cmp_gt_i32_e64 s17, 0, v109
	v_ashrrev_i32_e32 v26, 31, v26
	v_xor_b32_e32 v25, vcc_lo, v25
	v_add_lshl_u32 v27, v20, v82, 2
	v_and_b32_e32 v21, v21, v110
	s_delay_alu instid0(VALU_DEP_4) | instskip(SKIP_3) | instid1(VALU_DEP_2)
	v_xor_b32_e32 v20, s17, v26
	ds_load_b32 v109, v27 offset:1056
	v_and_b32_e32 v21, v21, v25
	v_add_nc_u32_e32 v112, 0x420, v27
	; wave barrier
	v_and_b32_e32 v20, v21, v20
	s_delay_alu instid0(VALU_DEP_1) | instskip(SKIP_1) | instid1(VALU_DEP_2)
	v_mbcnt_lo_u32_b32 v110, v20, 0
	v_cmp_ne_u32_e64 s17, 0, v20
	v_cmp_eq_u32_e32 vcc_lo, 0, v110
	s_delay_alu instid0(VALU_DEP_2) | instskip(NEXT) | instid1(SALU_CYCLE_1)
	s_and_b32 s18, s17, vcc_lo
	s_and_saveexec_b32 s17, s18
	s_cbranch_execz .LBB327_598
; %bb.597:                              ;   in Loop: Header=BB327_574 Depth=2
	s_waitcnt lgkmcnt(0)
	v_bcnt_u32_b32 v20, v20, v109
	ds_store_b32 v112, v20
.LBB327_598:                            ;   in Loop: Header=BB327_574 Depth=2
	s_or_b32 exec_lo, exec_lo, s17
	v_xor_b32_e32 v111, 0x7f, v24
	; wave barrier
	s_delay_alu instid0(VALU_DEP_1) | instskip(NEXT) | instid1(VALU_DEP_1)
	v_and_b32_e32 v20, 0xff, v111
	v_lshrrev_b32_e32 v20, s49, v20
	s_delay_alu instid0(VALU_DEP_1) | instskip(NEXT) | instid1(VALU_DEP_1)
	v_and_b32_e32 v20, s31, v20
	v_and_b32_e32 v21, 1, v20
	v_lshlrev_b32_e32 v24, 30, v20
	v_lshlrev_b32_e32 v25, 29, v20
	;; [unrolled: 1-line block ×4, first 2 shown]
	v_add_co_u32 v21, s17, v21, -1
	s_delay_alu instid0(VALU_DEP_1)
	v_cndmask_b32_e64 v27, 0, 1, s17
	v_not_b32_e32 v116, v24
	v_cmp_gt_i32_e64 s17, 0, v24
	v_not_b32_e32 v24, v25
	v_lshlrev_b32_e32 v114, 26, v20
	v_cmp_ne_u32_e32 vcc_lo, 0, v27
	v_ashrrev_i32_e32 v116, 31, v116
	v_lshlrev_b32_e32 v115, 25, v20
	v_ashrrev_i32_e32 v24, 31, v24
	v_lshlrev_b32_e32 v27, 24, v20
	v_xor_b32_e32 v21, vcc_lo, v21
	v_cmp_gt_i32_e32 vcc_lo, 0, v25
	v_not_b32_e32 v25, v26
	v_xor_b32_e32 v116, s17, v116
	v_cmp_gt_i32_e64 s17, 0, v26
	v_and_b32_e32 v21, exec_lo, v21
	v_not_b32_e32 v26, v113
	v_ashrrev_i32_e32 v25, 31, v25
	v_xor_b32_e32 v24, vcc_lo, v24
	v_cmp_gt_i32_e32 vcc_lo, 0, v113
	v_and_b32_e32 v21, v21, v116
	v_not_b32_e32 v113, v114
	v_ashrrev_i32_e32 v26, 31, v26
	v_xor_b32_e32 v25, s17, v25
	v_cmp_gt_i32_e64 s17, 0, v114
	v_and_b32_e32 v21, v21, v24
	v_not_b32_e32 v24, v115
	v_ashrrev_i32_e32 v113, 31, v113
	v_xor_b32_e32 v26, vcc_lo, v26
	v_cmp_gt_i32_e32 vcc_lo, 0, v115
	v_and_b32_e32 v21, v21, v25
	v_not_b32_e32 v25, v27
	v_ashrrev_i32_e32 v24, 31, v24
	v_xor_b32_e32 v113, s17, v113
	v_mul_u32_u24_e32 v20, 9, v20
	v_and_b32_e32 v21, v21, v26
	v_cmp_gt_i32_e64 s17, 0, v27
	v_ashrrev_i32_e32 v25, 31, v25
	v_xor_b32_e32 v24, vcc_lo, v24
	v_add_lshl_u32 v26, v20, v82, 2
	v_and_b32_e32 v21, v21, v113
	s_delay_alu instid0(VALU_DEP_4) | instskip(SKIP_3) | instid1(VALU_DEP_2)
	v_xor_b32_e32 v20, s17, v25
	ds_load_b32 v113, v26 offset:1056
	v_and_b32_e32 v21, v21, v24
	v_add_nc_u32_e32 v116, 0x420, v26
	; wave barrier
	v_and_b32_e32 v20, v21, v20
	s_delay_alu instid0(VALU_DEP_1) | instskip(SKIP_1) | instid1(VALU_DEP_2)
	v_mbcnt_lo_u32_b32 v114, v20, 0
	v_cmp_ne_u32_e64 s17, 0, v20
	v_cmp_eq_u32_e32 vcc_lo, 0, v114
	s_delay_alu instid0(VALU_DEP_2) | instskip(NEXT) | instid1(SALU_CYCLE_1)
	s_and_b32 s18, s17, vcc_lo
	s_and_saveexec_b32 s17, s18
	s_cbranch_execz .LBB327_600
; %bb.599:                              ;   in Loop: Header=BB327_574 Depth=2
	s_waitcnt lgkmcnt(0)
	v_bcnt_u32_b32 v20, v20, v113
	ds_store_b32 v116, v20
.LBB327_600:                            ;   in Loop: Header=BB327_574 Depth=2
	s_or_b32 exec_lo, exec_lo, s17
	v_xor_b32_e32 v115, 0x7f, v23
	; wave barrier
	s_delay_alu instid0(VALU_DEP_1) | instskip(NEXT) | instid1(VALU_DEP_1)
	v_and_b32_e32 v20, 0xff, v115
	v_lshrrev_b32_e32 v20, s49, v20
	s_delay_alu instid0(VALU_DEP_1) | instskip(NEXT) | instid1(VALU_DEP_1)
	v_and_b32_e32 v20, s31, v20
	v_and_b32_e32 v21, 1, v20
	v_lshlrev_b32_e32 v23, 30, v20
	v_lshlrev_b32_e32 v24, 29, v20
	;; [unrolled: 1-line block ×4, first 2 shown]
	v_add_co_u32 v21, s17, v21, -1
	s_delay_alu instid0(VALU_DEP_1)
	v_cndmask_b32_e64 v26, 0, 1, s17
	v_not_b32_e32 v119, v23
	v_cmp_gt_i32_e64 s17, 0, v23
	v_not_b32_e32 v23, v24
	v_lshlrev_b32_e32 v117, 26, v20
	v_cmp_ne_u32_e32 vcc_lo, 0, v26
	v_ashrrev_i32_e32 v119, 31, v119
	v_lshlrev_b32_e32 v118, 25, v20
	v_ashrrev_i32_e32 v23, 31, v23
	v_lshlrev_b32_e32 v26, 24, v20
	v_xor_b32_e32 v21, vcc_lo, v21
	v_cmp_gt_i32_e32 vcc_lo, 0, v24
	v_not_b32_e32 v24, v25
	v_xor_b32_e32 v119, s17, v119
	v_cmp_gt_i32_e64 s17, 0, v25
	v_and_b32_e32 v21, exec_lo, v21
	v_not_b32_e32 v25, v27
	v_ashrrev_i32_e32 v24, 31, v24
	v_xor_b32_e32 v23, vcc_lo, v23
	v_cmp_gt_i32_e32 vcc_lo, 0, v27
	v_and_b32_e32 v21, v21, v119
	v_not_b32_e32 v27, v117
	v_ashrrev_i32_e32 v25, 31, v25
	v_xor_b32_e32 v24, s17, v24
	v_cmp_gt_i32_e64 s17, 0, v117
	v_and_b32_e32 v21, v21, v23
	v_not_b32_e32 v23, v118
	v_ashrrev_i32_e32 v27, 31, v27
	v_xor_b32_e32 v25, vcc_lo, v25
	v_cmp_gt_i32_e32 vcc_lo, 0, v118
	v_and_b32_e32 v21, v21, v24
	v_not_b32_e32 v24, v26
	v_ashrrev_i32_e32 v23, 31, v23
	v_xor_b32_e32 v27, s17, v27
	v_mul_u32_u24_e32 v20, 9, v20
	v_and_b32_e32 v21, v21, v25
	v_cmp_gt_i32_e64 s17, 0, v26
	v_ashrrev_i32_e32 v24, 31, v24
	v_xor_b32_e32 v23, vcc_lo, v23
	v_add_lshl_u32 v25, v20, v82, 2
	v_and_b32_e32 v21, v21, v27
	s_delay_alu instid0(VALU_DEP_4) | instskip(SKIP_3) | instid1(VALU_DEP_2)
	v_xor_b32_e32 v20, s17, v24
	ds_load_b32 v117, v25 offset:1056
	v_and_b32_e32 v21, v21, v23
	v_add_nc_u32_e32 v120, 0x420, v25
	; wave barrier
	v_and_b32_e32 v20, v21, v20
	s_delay_alu instid0(VALU_DEP_1) | instskip(SKIP_1) | instid1(VALU_DEP_2)
	v_mbcnt_lo_u32_b32 v118, v20, 0
	v_cmp_ne_u32_e64 s17, 0, v20
	v_cmp_eq_u32_e32 vcc_lo, 0, v118
	s_delay_alu instid0(VALU_DEP_2) | instskip(NEXT) | instid1(SALU_CYCLE_1)
	s_and_b32 s18, s17, vcc_lo
	s_and_saveexec_b32 s17, s18
	s_cbranch_execz .LBB327_602
; %bb.601:                              ;   in Loop: Header=BB327_574 Depth=2
	s_waitcnt lgkmcnt(0)
	v_bcnt_u32_b32 v20, v20, v117
	ds_store_b32 v120, v20
.LBB327_602:                            ;   in Loop: Header=BB327_574 Depth=2
	s_or_b32 exec_lo, exec_lo, s17
	v_xor_b32_e32 v119, 0x7f, v22
	; wave barrier
	s_delay_alu instid0(VALU_DEP_1) | instskip(NEXT) | instid1(VALU_DEP_1)
	v_and_b32_e32 v20, 0xff, v119
	v_lshrrev_b32_e32 v20, s49, v20
	s_delay_alu instid0(VALU_DEP_1) | instskip(NEXT) | instid1(VALU_DEP_1)
	v_and_b32_e32 v20, s31, v20
	v_and_b32_e32 v21, 1, v20
	v_lshlrev_b32_e32 v22, 30, v20
	v_lshlrev_b32_e32 v23, 29, v20
	;; [unrolled: 1-line block ×4, first 2 shown]
	v_add_co_u32 v21, s17, v21, -1
	s_delay_alu instid0(VALU_DEP_1)
	v_cndmask_b32_e64 v25, 0, 1, s17
	v_not_b32_e32 v122, v22
	v_cmp_gt_i32_e64 s17, 0, v22
	v_not_b32_e32 v22, v23
	v_lshlrev_b32_e32 v27, 26, v20
	v_cmp_ne_u32_e32 vcc_lo, 0, v25
	v_ashrrev_i32_e32 v122, 31, v122
	v_lshlrev_b32_e32 v121, 25, v20
	v_ashrrev_i32_e32 v22, 31, v22
	v_lshlrev_b32_e32 v25, 24, v20
	v_xor_b32_e32 v21, vcc_lo, v21
	v_cmp_gt_i32_e32 vcc_lo, 0, v23
	v_not_b32_e32 v23, v24
	v_xor_b32_e32 v122, s17, v122
	v_cmp_gt_i32_e64 s17, 0, v24
	v_and_b32_e32 v21, exec_lo, v21
	v_not_b32_e32 v24, v26
	v_ashrrev_i32_e32 v23, 31, v23
	v_xor_b32_e32 v22, vcc_lo, v22
	v_cmp_gt_i32_e32 vcc_lo, 0, v26
	v_and_b32_e32 v21, v21, v122
	v_not_b32_e32 v26, v27
	v_ashrrev_i32_e32 v24, 31, v24
	v_xor_b32_e32 v23, s17, v23
	v_cmp_gt_i32_e64 s17, 0, v27
	v_and_b32_e32 v21, v21, v22
	v_not_b32_e32 v22, v121
	v_ashrrev_i32_e32 v26, 31, v26
	v_xor_b32_e32 v24, vcc_lo, v24
	v_cmp_gt_i32_e32 vcc_lo, 0, v121
	v_and_b32_e32 v21, v21, v23
	v_not_b32_e32 v23, v25
	v_ashrrev_i32_e32 v22, 31, v22
	v_xor_b32_e32 v26, s17, v26
	v_mul_u32_u24_e32 v20, 9, v20
	v_and_b32_e32 v21, v21, v24
	v_cmp_gt_i32_e64 s17, 0, v25
	v_ashrrev_i32_e32 v23, 31, v23
	v_xor_b32_e32 v22, vcc_lo, v22
	v_add_lshl_u32 v24, v20, v82, 2
	v_and_b32_e32 v21, v21, v26
	s_delay_alu instid0(VALU_DEP_4) | instskip(SKIP_3) | instid1(VALU_DEP_2)
	v_xor_b32_e32 v20, s17, v23
	ds_load_b32 v121, v24 offset:1056
	v_and_b32_e32 v21, v21, v22
	v_add_nc_u32_e32 v123, 0x420, v24
	; wave barrier
	v_and_b32_e32 v20, v21, v20
	s_delay_alu instid0(VALU_DEP_1) | instskip(SKIP_1) | instid1(VALU_DEP_2)
	v_mbcnt_lo_u32_b32 v122, v20, 0
	v_cmp_ne_u32_e64 s17, 0, v20
	v_cmp_eq_u32_e32 vcc_lo, 0, v122
	s_delay_alu instid0(VALU_DEP_2) | instskip(NEXT) | instid1(SALU_CYCLE_1)
	s_and_b32 s18, s17, vcc_lo
	s_and_saveexec_b32 s17, s18
	s_cbranch_execz .LBB327_604
; %bb.603:                              ;   in Loop: Header=BB327_574 Depth=2
	s_waitcnt lgkmcnt(0)
	v_bcnt_u32_b32 v20, v20, v121
	ds_store_b32 v123, v20
.LBB327_604:                            ;   in Loop: Header=BB327_574 Depth=2
	s_or_b32 exec_lo, exec_lo, s17
	; wave barrier
	s_waitcnt lgkmcnt(0)
	s_barrier
	buffer_gl0_inv
	ds_load_b32 v124, v46 offset:1056
	ds_load_2addr_b32 v[26:27], v47 offset0:1 offset1:2
	ds_load_2addr_b32 v[24:25], v47 offset0:3 offset1:4
	ds_load_2addr_b32 v[20:21], v47 offset0:5 offset1:6
	ds_load_2addr_b32 v[22:23], v47 offset0:7 offset1:8
	s_waitcnt lgkmcnt(3)
	v_add3_u32 v125, v26, v124, v27
	s_waitcnt lgkmcnt(2)
	s_delay_alu instid0(VALU_DEP_1) | instskip(SKIP_1) | instid1(VALU_DEP_1)
	v_add3_u32 v125, v125, v24, v25
	s_waitcnt lgkmcnt(1)
	v_add3_u32 v125, v125, v20, v21
	s_waitcnt lgkmcnt(0)
	s_delay_alu instid0(VALU_DEP_1) | instskip(NEXT) | instid1(VALU_DEP_1)
	v_add3_u32 v23, v125, v22, v23
	v_mov_b32_dpp v125, v23 row_shr:1 row_mask:0xf bank_mask:0xf
	s_delay_alu instid0(VALU_DEP_1) | instskip(NEXT) | instid1(VALU_DEP_1)
	v_cndmask_b32_e64 v125, v125, 0, s0
	v_add_nc_u32_e32 v23, v125, v23
	s_delay_alu instid0(VALU_DEP_1) | instskip(NEXT) | instid1(VALU_DEP_1)
	v_mov_b32_dpp v125, v23 row_shr:2 row_mask:0xf bank_mask:0xf
	v_cndmask_b32_e64 v125, 0, v125, s1
	s_delay_alu instid0(VALU_DEP_1) | instskip(NEXT) | instid1(VALU_DEP_1)
	v_add_nc_u32_e32 v23, v23, v125
	v_mov_b32_dpp v125, v23 row_shr:4 row_mask:0xf bank_mask:0xf
	s_delay_alu instid0(VALU_DEP_1) | instskip(NEXT) | instid1(VALU_DEP_1)
	v_cndmask_b32_e64 v125, 0, v125, s8
	v_add_nc_u32_e32 v23, v23, v125
	s_delay_alu instid0(VALU_DEP_1) | instskip(NEXT) | instid1(VALU_DEP_1)
	v_mov_b32_dpp v125, v23 row_shr:8 row_mask:0xf bank_mask:0xf
	v_cndmask_b32_e64 v125, 0, v125, s9
	s_delay_alu instid0(VALU_DEP_1) | instskip(SKIP_3) | instid1(VALU_DEP_1)
	v_add_nc_u32_e32 v23, v23, v125
	ds_swizzle_b32 v125, v23 offset:swizzle(BROADCAST,32,15)
	s_waitcnt lgkmcnt(0)
	v_cndmask_b32_e64 v125, v125, 0, s10
	v_add_nc_u32_e32 v23, v23, v125
	s_and_saveexec_b32 s17, s3
	s_cbranch_execz .LBB327_606
; %bb.605:                              ;   in Loop: Header=BB327_574 Depth=2
	ds_store_b32 v38, v23 offset:1024
.LBB327_606:                            ;   in Loop: Header=BB327_574 Depth=2
	s_or_b32 exec_lo, exec_lo, s17
	s_waitcnt lgkmcnt(0)
	s_barrier
	buffer_gl0_inv
	s_and_saveexec_b32 s17, s4
	s_cbranch_execz .LBB327_608
; %bb.607:                              ;   in Loop: Header=BB327_574 Depth=2
	v_add_nc_u32_e32 v125, v46, v48
	ds_load_b32 v126, v125 offset:1024
	s_waitcnt lgkmcnt(0)
	v_mov_b32_dpp v127, v126 row_shr:1 row_mask:0xf bank_mask:0xf
	s_delay_alu instid0(VALU_DEP_1) | instskip(NEXT) | instid1(VALU_DEP_1)
	v_cndmask_b32_e64 v127, v127, 0, s12
	v_add_nc_u32_e32 v126, v127, v126
	s_delay_alu instid0(VALU_DEP_1) | instskip(NEXT) | instid1(VALU_DEP_1)
	v_mov_b32_dpp v127, v126 row_shr:2 row_mask:0xf bank_mask:0xf
	v_cndmask_b32_e64 v127, 0, v127, s13
	s_delay_alu instid0(VALU_DEP_1) | instskip(NEXT) | instid1(VALU_DEP_1)
	v_add_nc_u32_e32 v126, v126, v127
	v_mov_b32_dpp v127, v126 row_shr:4 row_mask:0xf bank_mask:0xf
	s_delay_alu instid0(VALU_DEP_1) | instskip(NEXT) | instid1(VALU_DEP_1)
	v_cndmask_b32_e64 v127, 0, v127, s16
	v_add_nc_u32_e32 v126, v126, v127
	ds_store_b32 v125, v126 offset:1024
.LBB327_608:                            ;   in Loop: Header=BB327_574 Depth=2
	s_or_b32 exec_lo, exec_lo, s17
	v_mov_b32_e32 v125, 0
	s_waitcnt lgkmcnt(0)
	s_barrier
	buffer_gl0_inv
	s_and_saveexec_b32 s17, s5
	s_cbranch_execz .LBB327_610
; %bb.609:                              ;   in Loop: Header=BB327_574 Depth=2
	ds_load_b32 v125, v38 offset:1020
.LBB327_610:                            ;   in Loop: Header=BB327_574 Depth=2
	s_or_b32 exec_lo, exec_lo, s17
	s_waitcnt lgkmcnt(0)
	v_add_nc_u32_e32 v23, v125, v23
	ds_bpermute_b32 v23, v69, v23
	s_waitcnt lgkmcnt(0)
	v_cndmask_b32_e64 v23, v23, v125, s11
	s_delay_alu instid0(VALU_DEP_1) | instskip(NEXT) | instid1(VALU_DEP_1)
	v_cndmask_b32_e64 v23, v23, 0, s6
	v_add_nc_u32_e32 v124, v23, v124
	s_delay_alu instid0(VALU_DEP_1) | instskip(NEXT) | instid1(VALU_DEP_1)
	v_add_nc_u32_e32 v26, v124, v26
	v_add_nc_u32_e32 v27, v26, v27
	s_delay_alu instid0(VALU_DEP_1) | instskip(NEXT) | instid1(VALU_DEP_1)
	v_add_nc_u32_e32 v24, v27, v24
	;; [unrolled: 3-line block ×3, first 2 shown]
	v_add_nc_u32_e32 v21, v20, v21
	s_delay_alu instid0(VALU_DEP_1)
	v_add_nc_u32_e32 v22, v21, v22
	ds_store_b32 v46, v23 offset:1056
	ds_store_2addr_b32 v47, v124, v26 offset0:1 offset1:2
	ds_store_2addr_b32 v47, v27, v24 offset0:3 offset1:4
	;; [unrolled: 1-line block ×4, first 2 shown]
	v_mov_b32_e32 v22, 0x800
	s_waitcnt lgkmcnt(0)
	s_barrier
	buffer_gl0_inv
	ds_load_b32 v20, v100
	ds_load_b32 v21, v104
	;; [unrolled: 1-line block ×8, first 2 shown]
	ds_load_b32 v27, v46 offset:1056
	s_and_saveexec_b32 s17, s7
	s_cbranch_execz .LBB327_612
; %bb.611:                              ;   in Loop: Header=BB327_574 Depth=2
	ds_load_b32 v22, v49 offset:1056
.LBB327_612:                            ;   in Loop: Header=BB327_574 Depth=2
	s_or_b32 exec_lo, exec_lo, s17
	s_waitcnt lgkmcnt(0)
	s_barrier
	buffer_gl0_inv
	s_and_saveexec_b32 s17, s2
	s_cbranch_execz .LBB327_614
; %bb.613:                              ;   in Loop: Header=BB327_574 Depth=2
	ds_load_b32 v96, v28
	s_waitcnt lgkmcnt(0)
	v_sub_nc_u32_e32 v27, v96, v27
	ds_store_b32 v28, v27
.LBB327_614:                            ;   in Loop: Header=BB327_574 Depth=2
	s_or_b32 exec_lo, exec_lo, s17
	v_add_nc_u32_e32 v100, v26, v94
	v_add3_u32 v96, v98, v97, v20
	v_add3_u32 v94, v102, v101, v21
	;; [unrolled: 1-line block ×7, first 2 shown]
	v_cmp_lt_u32_e64 s23, v1, v2
	ds_store_b8 v100, v93 offset:1024
	ds_store_b8 v96, v95 offset:1024
	;; [unrolled: 1-line block ×8, first 2 shown]
	s_waitcnt lgkmcnt(0)
	s_barrier
	buffer_gl0_inv
	s_and_saveexec_b32 s17, s23
	s_cbranch_execz .LBB327_622
; %bb.615:                              ;   in Loop: Header=BB327_574 Depth=2
	ds_load_u8 v20, v1 offset:1024
	s_waitcnt lgkmcnt(0)
	v_and_b32_e32 v21, 0xff, v20
	v_xor_b32_e32 v20, 0x7f, v20
	s_delay_alu instid0(VALU_DEP_2) | instskip(NEXT) | instid1(VALU_DEP_1)
	v_lshrrev_b32_e32 v21, s49, v21
	v_and_b32_e32 v21, s31, v21
	s_delay_alu instid0(VALU_DEP_1)
	v_lshlrev_b32_e32 v21, 2, v21
	ds_load_b32 v21, v21
	s_waitcnt lgkmcnt(0)
	v_add_nc_u32_e32 v21, v21, v1
	global_store_b8 v21, v20, s[40:41]
	s_or_b32 exec_lo, exec_lo, s17
	v_cmp_lt_u32_e64 s22, v29, v2
	s_delay_alu instid0(VALU_DEP_1)
	s_and_saveexec_b32 s17, s22
	s_cbranch_execnz .LBB327_623
.LBB327_616:                            ;   in Loop: Header=BB327_574 Depth=2
	s_or_b32 exec_lo, exec_lo, s17
	v_cmp_lt_u32_e64 s21, v30, v2
	s_delay_alu instid0(VALU_DEP_1)
	s_and_saveexec_b32 s17, s21
	s_cbranch_execz .LBB327_624
.LBB327_617:                            ;   in Loop: Header=BB327_574 Depth=2
	ds_load_u8 v20, v35 offset:512
	s_waitcnt lgkmcnt(0)
	v_and_b32_e32 v21, 0xff, v20
	v_xor_b32_e32 v20, 0x7f, v20
	s_delay_alu instid0(VALU_DEP_2) | instskip(NEXT) | instid1(VALU_DEP_1)
	v_lshrrev_b32_e32 v21, s49, v21
	v_and_b32_e32 v21, s31, v21
	s_delay_alu instid0(VALU_DEP_1)
	v_lshlrev_b32_e32 v21, 2, v21
	ds_load_b32 v21, v21
	s_waitcnt lgkmcnt(0)
	v_add_nc_u32_e32 v21, v21, v30
	global_store_b8 v21, v20, s[40:41]
	s_or_b32 exec_lo, exec_lo, s17
	v_cmp_lt_u32_e64 s20, v31, v2
	s_delay_alu instid0(VALU_DEP_1)
	s_and_saveexec_b32 s17, s20
	s_cbranch_execnz .LBB327_625
.LBB327_618:                            ;   in Loop: Header=BB327_574 Depth=2
	s_or_b32 exec_lo, exec_lo, s17
	v_cmp_lt_u32_e64 s19, v35, v2
	s_delay_alu instid0(VALU_DEP_1)
	s_and_saveexec_b32 s17, s19
	s_cbranch_execz .LBB327_626
.LBB327_619:                            ;   in Loop: Header=BB327_574 Depth=2
	ds_load_u8 v20, v35 offset:1024
	s_waitcnt lgkmcnt(0)
	v_and_b32_e32 v21, 0xff, v20
	v_xor_b32_e32 v20, 0x7f, v20
	s_delay_alu instid0(VALU_DEP_2) | instskip(NEXT) | instid1(VALU_DEP_1)
	v_lshrrev_b32_e32 v21, s49, v21
	v_and_b32_e32 v21, s31, v21
	s_delay_alu instid0(VALU_DEP_1)
	v_lshlrev_b32_e32 v21, 2, v21
	ds_load_b32 v21, v21
	s_waitcnt lgkmcnt(0)
	v_add_nc_u32_e32 v21, v21, v35
	global_store_b8 v21, v20, s[40:41]
	s_or_b32 exec_lo, exec_lo, s17
	v_cmp_lt_u32_e64 s18, v36, v2
	s_delay_alu instid0(VALU_DEP_1)
	s_and_saveexec_b32 s17, s18
	s_cbranch_execnz .LBB327_627
.LBB327_620:                            ;   in Loop: Header=BB327_574 Depth=2
	s_or_b32 exec_lo, exec_lo, s17
	v_cmp_lt_u32_e64 s17, v37, v2
	s_delay_alu instid0(VALU_DEP_1)
	s_and_saveexec_b32 s43, s17
	s_cbranch_execz .LBB327_628
.LBB327_621:                            ;   in Loop: Header=BB327_574 Depth=2
	ds_load_u8 v20, v35 offset:1536
	s_waitcnt lgkmcnt(0)
	v_and_b32_e32 v21, 0xff, v20
	v_xor_b32_e32 v20, 0x7f, v20
	s_delay_alu instid0(VALU_DEP_2) | instskip(NEXT) | instid1(VALU_DEP_1)
	v_lshrrev_b32_e32 v21, s49, v21
	v_and_b32_e32 v21, s31, v21
	s_delay_alu instid0(VALU_DEP_1)
	v_lshlrev_b32_e32 v21, 2, v21
	ds_load_b32 v21, v21
	s_waitcnt lgkmcnt(0)
	v_add_nc_u32_e32 v21, v21, v37
	global_store_b8 v21, v20, s[40:41]
	s_or_b32 exec_lo, exec_lo, s43
	v_cmp_lt_u32_e32 vcc_lo, v39, v2
	s_and_saveexec_b32 s43, vcc_lo
	s_cbranch_execnz .LBB327_629
	s_branch .LBB327_630
.LBB327_622:                            ;   in Loop: Header=BB327_574 Depth=2
	s_or_b32 exec_lo, exec_lo, s17
	v_cmp_lt_u32_e64 s22, v29, v2
	s_delay_alu instid0(VALU_DEP_1)
	s_and_saveexec_b32 s17, s22
	s_cbranch_execz .LBB327_616
.LBB327_623:                            ;   in Loop: Header=BB327_574 Depth=2
	ds_load_u8 v20, v35 offset:256
	s_waitcnt lgkmcnt(0)
	v_and_b32_e32 v21, 0xff, v20
	v_xor_b32_e32 v20, 0x7f, v20
	s_delay_alu instid0(VALU_DEP_2) | instskip(NEXT) | instid1(VALU_DEP_1)
	v_lshrrev_b32_e32 v21, s49, v21
	v_and_b32_e32 v21, s31, v21
	s_delay_alu instid0(VALU_DEP_1)
	v_lshlrev_b32_e32 v21, 2, v21
	ds_load_b32 v21, v21
	s_waitcnt lgkmcnt(0)
	v_add_nc_u32_e32 v21, v21, v29
	global_store_b8 v21, v20, s[40:41]
	s_or_b32 exec_lo, exec_lo, s17
	v_cmp_lt_u32_e64 s21, v30, v2
	s_delay_alu instid0(VALU_DEP_1)
	s_and_saveexec_b32 s17, s21
	s_cbranch_execnz .LBB327_617
.LBB327_624:                            ;   in Loop: Header=BB327_574 Depth=2
	s_or_b32 exec_lo, exec_lo, s17
	v_cmp_lt_u32_e64 s20, v31, v2
	s_delay_alu instid0(VALU_DEP_1)
	s_and_saveexec_b32 s17, s20
	s_cbranch_execz .LBB327_618
.LBB327_625:                            ;   in Loop: Header=BB327_574 Depth=2
	ds_load_u8 v20, v35 offset:768
	s_waitcnt lgkmcnt(0)
	v_and_b32_e32 v21, 0xff, v20
	v_xor_b32_e32 v20, 0x7f, v20
	s_delay_alu instid0(VALU_DEP_2) | instskip(NEXT) | instid1(VALU_DEP_1)
	v_lshrrev_b32_e32 v21, s49, v21
	v_and_b32_e32 v21, s31, v21
	s_delay_alu instid0(VALU_DEP_1)
	v_lshlrev_b32_e32 v21, 2, v21
	ds_load_b32 v21, v21
	s_waitcnt lgkmcnt(0)
	v_add_nc_u32_e32 v21, v21, v31
	global_store_b8 v21, v20, s[40:41]
	s_or_b32 exec_lo, exec_lo, s17
	v_cmp_lt_u32_e64 s19, v35, v2
	s_delay_alu instid0(VALU_DEP_1)
	s_and_saveexec_b32 s17, s19
	s_cbranch_execnz .LBB327_619
.LBB327_626:                            ;   in Loop: Header=BB327_574 Depth=2
	s_or_b32 exec_lo, exec_lo, s17
	v_cmp_lt_u32_e64 s18, v36, v2
	s_delay_alu instid0(VALU_DEP_1)
	s_and_saveexec_b32 s17, s18
	s_cbranch_execz .LBB327_620
.LBB327_627:                            ;   in Loop: Header=BB327_574 Depth=2
	ds_load_u8 v20, v35 offset:1280
	s_waitcnt lgkmcnt(0)
	v_and_b32_e32 v21, 0xff, v20
	v_xor_b32_e32 v20, 0x7f, v20
	s_delay_alu instid0(VALU_DEP_2) | instskip(NEXT) | instid1(VALU_DEP_1)
	v_lshrrev_b32_e32 v21, s49, v21
	v_and_b32_e32 v21, s31, v21
	s_delay_alu instid0(VALU_DEP_1)
	v_lshlrev_b32_e32 v21, 2, v21
	ds_load_b32 v21, v21
	s_waitcnt lgkmcnt(0)
	v_add_nc_u32_e32 v21, v21, v36
	global_store_b8 v21, v20, s[40:41]
	s_or_b32 exec_lo, exec_lo, s17
	v_cmp_lt_u32_e64 s17, v37, v2
	s_delay_alu instid0(VALU_DEP_1)
	s_and_saveexec_b32 s43, s17
	s_cbranch_execnz .LBB327_621
.LBB327_628:                            ;   in Loop: Header=BB327_574 Depth=2
	s_or_b32 exec_lo, exec_lo, s43
	v_cmp_lt_u32_e32 vcc_lo, v39, v2
	s_and_saveexec_b32 s43, vcc_lo
	s_cbranch_execz .LBB327_630
.LBB327_629:                            ;   in Loop: Header=BB327_574 Depth=2
	ds_load_u8 v20, v35 offset:1792
	s_waitcnt lgkmcnt(0)
	v_and_b32_e32 v21, 0xff, v20
	v_xor_b32_e32 v20, 0x7f, v20
	s_delay_alu instid0(VALU_DEP_2) | instskip(NEXT) | instid1(VALU_DEP_1)
	v_lshrrev_b32_e32 v21, s49, v21
	v_and_b32_e32 v21, s31, v21
	s_delay_alu instid0(VALU_DEP_1)
	v_lshlrev_b32_e32 v21, 2, v21
	ds_load_b32 v21, v21
	s_waitcnt lgkmcnt(0)
	v_add_nc_u32_e32 v21, v21, v39
	global_store_b8 v21, v20, s[40:41]
.LBB327_630:                            ;   in Loop: Header=BB327_574 Depth=2
	s_or_b32 exec_lo, exec_lo, s43
	s_lshl_b64 s[52:53], s[24:25], 3
	s_delay_alu instid0(SALU_CYCLE_1) | instskip(NEXT) | instid1(VALU_DEP_1)
	v_add_co_u32 v20, s24, v73, s52
	v_add_co_ci_u32_e64 v21, s24, s53, v74, s24
	v_cmp_lt_u32_e64 s24, v70, v2
	s_delay_alu instid0(VALU_DEP_1) | instskip(NEXT) | instid1(SALU_CYCLE_1)
	s_and_saveexec_b32 s43, s24
	s_xor_b32 s24, exec_lo, s43
	s_cbranch_execz .LBB327_646
; %bb.631:                              ;   in Loop: Header=BB327_574 Depth=2
	global_load_b64 v[18:19], v[20:21], off
	s_or_b32 exec_lo, exec_lo, s24
	s_delay_alu instid0(SALU_CYCLE_1)
	s_mov_b32 s43, exec_lo
	v_cmpx_lt_u32_e64 v75, v2
	s_cbranch_execnz .LBB327_647
.LBB327_632:                            ;   in Loop: Header=BB327_574 Depth=2
	s_or_b32 exec_lo, exec_lo, s43
	s_delay_alu instid0(SALU_CYCLE_1)
	s_mov_b32 s43, exec_lo
	v_cmpx_lt_u32_e64 v76, v2
	s_cbranch_execz .LBB327_648
.LBB327_633:                            ;   in Loop: Header=BB327_574 Depth=2
	global_load_b64 v[14:15], v[20:21], off offset:512
	s_or_b32 exec_lo, exec_lo, s43
	s_delay_alu instid0(SALU_CYCLE_1)
	s_mov_b32 s43, exec_lo
	v_cmpx_lt_u32_e64 v77, v2
	s_cbranch_execnz .LBB327_649
.LBB327_634:                            ;   in Loop: Header=BB327_574 Depth=2
	s_or_b32 exec_lo, exec_lo, s43
	s_delay_alu instid0(SALU_CYCLE_1)
	s_mov_b32 s43, exec_lo
	v_cmpx_lt_u32_e64 v78, v2
	s_cbranch_execz .LBB327_650
.LBB327_635:                            ;   in Loop: Header=BB327_574 Depth=2
	global_load_b64 v[10:11], v[20:21], off offset:1024
	s_or_b32 exec_lo, exec_lo, s43
	s_delay_alu instid0(SALU_CYCLE_1)
	s_mov_b32 s43, exec_lo
	v_cmpx_lt_u32_e64 v79, v2
	s_cbranch_execnz .LBB327_651
.LBB327_636:                            ;   in Loop: Header=BB327_574 Depth=2
	s_or_b32 exec_lo, exec_lo, s43
	s_delay_alu instid0(SALU_CYCLE_1)
	s_mov_b32 s43, exec_lo
	v_cmpx_lt_u32_e64 v80, v2
	s_cbranch_execz .LBB327_652
.LBB327_637:                            ;   in Loop: Header=BB327_574 Depth=2
	global_load_b64 v[6:7], v[20:21], off offset:1536
	s_or_b32 exec_lo, exec_lo, s43
	s_delay_alu instid0(SALU_CYCLE_1)
	s_mov_b32 s43, exec_lo
	v_cmpx_lt_u32_e64 v81, v2
	s_cbranch_execnz .LBB327_653
.LBB327_638:                            ;   in Loop: Header=BB327_574 Depth=2
	s_or_b32 exec_lo, exec_lo, s43
	s_and_saveexec_b32 s24, s23
	s_cbranch_execz .LBB327_654
.LBB327_639:                            ;   in Loop: Header=BB327_574 Depth=2
	ds_load_u8 v2, v1 offset:1024
	s_waitcnt lgkmcnt(0)
	v_lshrrev_b32_e32 v2, s49, v2
	s_delay_alu instid0(VALU_DEP_1)
	v_and_b32_e32 v92, s31, v2
	s_or_b32 exec_lo, exec_lo, s24
	s_and_saveexec_b32 s24, s22
	s_cbranch_execnz .LBB327_655
.LBB327_640:                            ;   in Loop: Header=BB327_574 Depth=2
	s_or_b32 exec_lo, exec_lo, s24
	s_and_saveexec_b32 s24, s21
	s_cbranch_execz .LBB327_656
.LBB327_641:                            ;   in Loop: Header=BB327_574 Depth=2
	ds_load_u8 v2, v35 offset:512
	s_waitcnt lgkmcnt(0)
	v_lshrrev_b32_e32 v2, s49, v2
	s_delay_alu instid0(VALU_DEP_1)
	v_and_b32_e32 v90, s31, v2
	s_or_b32 exec_lo, exec_lo, s24
	s_and_saveexec_b32 s24, s20
	s_cbranch_execnz .LBB327_657
.LBB327_642:                            ;   in Loop: Header=BB327_574 Depth=2
	s_or_b32 exec_lo, exec_lo, s24
	s_and_saveexec_b32 s24, s19
	s_cbranch_execz .LBB327_658
.LBB327_643:                            ;   in Loop: Header=BB327_574 Depth=2
	ds_load_u8 v2, v35 offset:1024
	s_waitcnt lgkmcnt(0)
	v_lshrrev_b32_e32 v2, s49, v2
	s_delay_alu instid0(VALU_DEP_1)
	v_and_b32_e32 v88, s31, v2
	s_or_b32 exec_lo, exec_lo, s24
	s_and_saveexec_b32 s24, s18
	s_cbranch_execnz .LBB327_659
.LBB327_644:                            ;   in Loop: Header=BB327_574 Depth=2
	s_or_b32 exec_lo, exec_lo, s24
	s_and_saveexec_b32 s24, s17
	s_cbranch_execz .LBB327_660
.LBB327_645:                            ;   in Loop: Header=BB327_574 Depth=2
	ds_load_u8 v2, v35 offset:1536
	s_waitcnt lgkmcnt(0)
	v_lshrrev_b32_e32 v2, s49, v2
	s_delay_alu instid0(VALU_DEP_1)
	v_and_b32_e32 v86, s31, v2
	s_or_b32 exec_lo, exec_lo, s24
	s_and_saveexec_b32 s24, vcc_lo
	s_cbranch_execnz .LBB327_661
	s_branch .LBB327_662
.LBB327_646:                            ;   in Loop: Header=BB327_574 Depth=2
	s_or_b32 exec_lo, exec_lo, s24
	s_delay_alu instid0(SALU_CYCLE_1)
	s_mov_b32 s43, exec_lo
	v_cmpx_lt_u32_e64 v75, v2
	s_cbranch_execz .LBB327_632
.LBB327_647:                            ;   in Loop: Header=BB327_574 Depth=2
	global_load_b64 v[16:17], v[20:21], off offset:256
	s_or_b32 exec_lo, exec_lo, s43
	s_delay_alu instid0(SALU_CYCLE_1)
	s_mov_b32 s43, exec_lo
	v_cmpx_lt_u32_e64 v76, v2
	s_cbranch_execnz .LBB327_633
.LBB327_648:                            ;   in Loop: Header=BB327_574 Depth=2
	s_or_b32 exec_lo, exec_lo, s43
	s_delay_alu instid0(SALU_CYCLE_1)
	s_mov_b32 s43, exec_lo
	v_cmpx_lt_u32_e64 v77, v2
	s_cbranch_execz .LBB327_634
.LBB327_649:                            ;   in Loop: Header=BB327_574 Depth=2
	global_load_b64 v[12:13], v[20:21], off offset:768
	s_or_b32 exec_lo, exec_lo, s43
	s_delay_alu instid0(SALU_CYCLE_1)
	s_mov_b32 s43, exec_lo
	v_cmpx_lt_u32_e64 v78, v2
	s_cbranch_execnz .LBB327_635
.LBB327_650:                            ;   in Loop: Header=BB327_574 Depth=2
	s_or_b32 exec_lo, exec_lo, s43
	s_delay_alu instid0(SALU_CYCLE_1)
	s_mov_b32 s43, exec_lo
	v_cmpx_lt_u32_e64 v79, v2
	s_cbranch_execz .LBB327_636
.LBB327_651:                            ;   in Loop: Header=BB327_574 Depth=2
	global_load_b64 v[8:9], v[20:21], off offset:1280
	s_or_b32 exec_lo, exec_lo, s43
	s_delay_alu instid0(SALU_CYCLE_1)
	s_mov_b32 s43, exec_lo
	v_cmpx_lt_u32_e64 v80, v2
	s_cbranch_execnz .LBB327_637
.LBB327_652:                            ;   in Loop: Header=BB327_574 Depth=2
	s_or_b32 exec_lo, exec_lo, s43
	s_delay_alu instid0(SALU_CYCLE_1)
	s_mov_b32 s43, exec_lo
	v_cmpx_lt_u32_e64 v81, v2
	s_cbranch_execz .LBB327_638
.LBB327_653:                            ;   in Loop: Header=BB327_574 Depth=2
	global_load_b64 v[4:5], v[20:21], off offset:1792
	s_or_b32 exec_lo, exec_lo, s43
	s_and_saveexec_b32 s24, s23
	s_cbranch_execnz .LBB327_639
.LBB327_654:                            ;   in Loop: Header=BB327_574 Depth=2
	s_or_b32 exec_lo, exec_lo, s24
	s_and_saveexec_b32 s24, s22
	s_cbranch_execz .LBB327_640
.LBB327_655:                            ;   in Loop: Header=BB327_574 Depth=2
	ds_load_u8 v2, v35 offset:256
	s_waitcnt lgkmcnt(0)
	v_lshrrev_b32_e32 v2, s49, v2
	s_delay_alu instid0(VALU_DEP_1)
	v_and_b32_e32 v91, s31, v2
	s_or_b32 exec_lo, exec_lo, s24
	s_and_saveexec_b32 s24, s21
	s_cbranch_execnz .LBB327_641
.LBB327_656:                            ;   in Loop: Header=BB327_574 Depth=2
	s_or_b32 exec_lo, exec_lo, s24
	s_and_saveexec_b32 s24, s20
	s_cbranch_execz .LBB327_642
.LBB327_657:                            ;   in Loop: Header=BB327_574 Depth=2
	ds_load_u8 v2, v35 offset:768
	s_waitcnt lgkmcnt(0)
	v_lshrrev_b32_e32 v2, s49, v2
	s_delay_alu instid0(VALU_DEP_1)
	v_and_b32_e32 v89, s31, v2
	s_or_b32 exec_lo, exec_lo, s24
	s_and_saveexec_b32 s24, s19
	s_cbranch_execnz .LBB327_643
.LBB327_658:                            ;   in Loop: Header=BB327_574 Depth=2
	s_or_b32 exec_lo, exec_lo, s24
	s_and_saveexec_b32 s24, s18
	s_cbranch_execz .LBB327_644
.LBB327_659:                            ;   in Loop: Header=BB327_574 Depth=2
	ds_load_u8 v2, v35 offset:1280
	s_waitcnt lgkmcnt(0)
	v_lshrrev_b32_e32 v2, s49, v2
	s_delay_alu instid0(VALU_DEP_1)
	v_and_b32_e32 v87, s31, v2
	s_or_b32 exec_lo, exec_lo, s24
	s_and_saveexec_b32 s24, s17
	s_cbranch_execnz .LBB327_645
.LBB327_660:                            ;   in Loop: Header=BB327_574 Depth=2
	s_or_b32 exec_lo, exec_lo, s24
	s_and_saveexec_b32 s24, vcc_lo
	s_cbranch_execz .LBB327_662
.LBB327_661:                            ;   in Loop: Header=BB327_574 Depth=2
	ds_load_u8 v2, v35 offset:1792
	s_waitcnt lgkmcnt(0)
	v_lshrrev_b32_e32 v2, s49, v2
	s_delay_alu instid0(VALU_DEP_1)
	v_and_b32_e32 v85, s31, v2
.LBB327_662:                            ;   in Loop: Header=BB327_574 Depth=2
	s_or_b32 exec_lo, exec_lo, s24
	v_lshlrev_b32_e32 v2, 3, v100
	v_lshlrev_b32_e32 v20, 3, v96
	;; [unrolled: 1-line block ×3, first 2 shown]
	s_waitcnt vmcnt(0)
	s_waitcnt_vscnt null, 0x0
	s_barrier
	buffer_gl0_inv
	ds_store_b64 v2, v[18:19] offset:1024
	ds_store_b64 v20, v[16:17] offset:1024
	;; [unrolled: 1-line block ×3, first 2 shown]
	v_lshlrev_b32_e32 v2, 3, v27
	v_lshlrev_b32_e32 v20, 3, v26
	;; [unrolled: 1-line block ×5, first 2 shown]
	ds_store_b64 v2, v[12:13] offset:1024
	ds_store_b64 v20, v[10:11] offset:1024
	;; [unrolled: 1-line block ×5, first 2 shown]
	s_waitcnt lgkmcnt(0)
	s_barrier
	buffer_gl0_inv
	s_and_saveexec_b32 s24, s23
	s_cbranch_execz .LBB327_670
; %bb.663:                              ;   in Loop: Header=BB327_574 Depth=2
	v_lshlrev_b32_e32 v2, 2, v92
	v_add_nc_u32_e32 v20, v1, v52
	ds_load_b32 v2, v2
	ds_load_b64 v[20:21], v20 offset:1024
	s_waitcnt lgkmcnt(1)
	v_add_nc_u32_e32 v2, v2, v1
	s_delay_alu instid0(VALU_DEP_1) | instskip(NEXT) | instid1(VALU_DEP_1)
	v_lshlrev_b64 v[23:24], 3, v[2:3]
	v_add_co_u32 v23, s23, s46, v23
	s_delay_alu instid0(VALU_DEP_1)
	v_add_co_ci_u32_e64 v24, s23, s47, v24, s23
	s_waitcnt lgkmcnt(0)
	global_store_b64 v[23:24], v[20:21], off
	s_or_b32 exec_lo, exec_lo, s24
	v_add_nc_u32_e32 v20, v35, v52
	s_and_saveexec_b32 s23, s22
	s_cbranch_execnz .LBB327_671
.LBB327_664:                            ;   in Loop: Header=BB327_574 Depth=2
	s_or_b32 exec_lo, exec_lo, s23
	s_and_saveexec_b32 s22, s21
	s_cbranch_execz .LBB327_672
.LBB327_665:                            ;   in Loop: Header=BB327_574 Depth=2
	v_lshlrev_b32_e32 v2, 2, v90
	ds_load_b32 v2, v2
	ds_load_b64 v[23:24], v20 offset:4096
	s_waitcnt lgkmcnt(1)
	v_add_nc_u32_e32 v2, v2, v30
	s_delay_alu instid0(VALU_DEP_1) | instskip(NEXT) | instid1(VALU_DEP_1)
	v_lshlrev_b64 v[25:26], 3, v[2:3]
	v_add_co_u32 v25, s21, s46, v25
	s_delay_alu instid0(VALU_DEP_1)
	v_add_co_ci_u32_e64 v26, s21, s47, v26, s21
	s_waitcnt lgkmcnt(0)
	global_store_b64 v[25:26], v[23:24], off
	s_or_b32 exec_lo, exec_lo, s22
	s_and_saveexec_b32 s21, s20
	s_cbranch_execnz .LBB327_673
.LBB327_666:                            ;   in Loop: Header=BB327_574 Depth=2
	s_or_b32 exec_lo, exec_lo, s21
	s_and_saveexec_b32 s20, s19
	s_cbranch_execz .LBB327_674
.LBB327_667:                            ;   in Loop: Header=BB327_574 Depth=2
	v_lshlrev_b32_e32 v2, 2, v88
	ds_load_b32 v2, v2
	ds_load_b64 v[23:24], v20 offset:8192
	s_waitcnt lgkmcnt(1)
	v_add_nc_u32_e32 v2, v2, v35
	s_delay_alu instid0(VALU_DEP_1) | instskip(NEXT) | instid1(VALU_DEP_1)
	v_lshlrev_b64 v[25:26], 3, v[2:3]
	v_add_co_u32 v25, s19, s46, v25
	s_delay_alu instid0(VALU_DEP_1)
	v_add_co_ci_u32_e64 v26, s19, s47, v26, s19
	s_waitcnt lgkmcnt(0)
	global_store_b64 v[25:26], v[23:24], off
	s_or_b32 exec_lo, exec_lo, s20
	s_and_saveexec_b32 s19, s18
	s_cbranch_execnz .LBB327_675
.LBB327_668:                            ;   in Loop: Header=BB327_574 Depth=2
	s_or_b32 exec_lo, exec_lo, s19
	s_and_saveexec_b32 s18, s17
	s_cbranch_execz .LBB327_676
.LBB327_669:                            ;   in Loop: Header=BB327_574 Depth=2
	v_lshlrev_b32_e32 v2, 2, v86
	ds_load_b32 v2, v2
	ds_load_b64 v[23:24], v20 offset:12288
	s_waitcnt lgkmcnt(1)
	v_add_nc_u32_e32 v2, v2, v37
	s_delay_alu instid0(VALU_DEP_1) | instskip(NEXT) | instid1(VALU_DEP_1)
	v_lshlrev_b64 v[25:26], 3, v[2:3]
	v_add_co_u32 v25, s17, s46, v25
	s_delay_alu instid0(VALU_DEP_1)
	v_add_co_ci_u32_e64 v26, s17, s47, v26, s17
	s_waitcnt lgkmcnt(0)
	global_store_b64 v[25:26], v[23:24], off
	s_or_b32 exec_lo, exec_lo, s18
	s_and_saveexec_b32 s17, vcc_lo
	s_cbranch_execnz .LBB327_677
	s_branch .LBB327_678
.LBB327_670:                            ;   in Loop: Header=BB327_574 Depth=2
	s_or_b32 exec_lo, exec_lo, s24
	v_add_nc_u32_e32 v20, v35, v52
	s_and_saveexec_b32 s23, s22
	s_cbranch_execz .LBB327_664
.LBB327_671:                            ;   in Loop: Header=BB327_574 Depth=2
	v_lshlrev_b32_e32 v2, 2, v91
	ds_load_b32 v2, v2
	ds_load_b64 v[23:24], v20 offset:2048
	s_waitcnt lgkmcnt(1)
	v_add_nc_u32_e32 v2, v2, v29
	s_delay_alu instid0(VALU_DEP_1) | instskip(NEXT) | instid1(VALU_DEP_1)
	v_lshlrev_b64 v[25:26], 3, v[2:3]
	v_add_co_u32 v25, s22, s46, v25
	s_delay_alu instid0(VALU_DEP_1)
	v_add_co_ci_u32_e64 v26, s22, s47, v26, s22
	s_waitcnt lgkmcnt(0)
	global_store_b64 v[25:26], v[23:24], off
	s_or_b32 exec_lo, exec_lo, s23
	s_and_saveexec_b32 s22, s21
	s_cbranch_execnz .LBB327_665
.LBB327_672:                            ;   in Loop: Header=BB327_574 Depth=2
	s_or_b32 exec_lo, exec_lo, s22
	s_and_saveexec_b32 s21, s20
	s_cbranch_execz .LBB327_666
.LBB327_673:                            ;   in Loop: Header=BB327_574 Depth=2
	v_lshlrev_b32_e32 v2, 2, v89
	ds_load_b32 v2, v2
	ds_load_b64 v[23:24], v20 offset:6144
	s_waitcnt lgkmcnt(1)
	v_add_nc_u32_e32 v2, v2, v31
	s_delay_alu instid0(VALU_DEP_1) | instskip(NEXT) | instid1(VALU_DEP_1)
	v_lshlrev_b64 v[25:26], 3, v[2:3]
	v_add_co_u32 v25, s20, s46, v25
	s_delay_alu instid0(VALU_DEP_1)
	v_add_co_ci_u32_e64 v26, s20, s47, v26, s20
	s_waitcnt lgkmcnt(0)
	global_store_b64 v[25:26], v[23:24], off
	s_or_b32 exec_lo, exec_lo, s21
	s_and_saveexec_b32 s20, s19
	s_cbranch_execnz .LBB327_667
.LBB327_674:                            ;   in Loop: Header=BB327_574 Depth=2
	s_or_b32 exec_lo, exec_lo, s20
	s_and_saveexec_b32 s19, s18
	s_cbranch_execz .LBB327_668
.LBB327_675:                            ;   in Loop: Header=BB327_574 Depth=2
	v_lshlrev_b32_e32 v2, 2, v87
	ds_load_b32 v2, v2
	ds_load_b64 v[23:24], v20 offset:10240
	s_waitcnt lgkmcnt(1)
	v_add_nc_u32_e32 v2, v2, v36
	s_delay_alu instid0(VALU_DEP_1) | instskip(NEXT) | instid1(VALU_DEP_1)
	v_lshlrev_b64 v[25:26], 3, v[2:3]
	v_add_co_u32 v25, s18, s46, v25
	s_delay_alu instid0(VALU_DEP_1)
	v_add_co_ci_u32_e64 v26, s18, s47, v26, s18
	s_waitcnt lgkmcnt(0)
	global_store_b64 v[25:26], v[23:24], off
	s_or_b32 exec_lo, exec_lo, s19
	s_and_saveexec_b32 s18, s17
	s_cbranch_execnz .LBB327_669
.LBB327_676:                            ;   in Loop: Header=BB327_574 Depth=2
	s_or_b32 exec_lo, exec_lo, s18
	s_and_saveexec_b32 s17, vcc_lo
	s_cbranch_execz .LBB327_678
.LBB327_677:                            ;   in Loop: Header=BB327_574 Depth=2
	v_lshlrev_b32_e32 v2, 2, v85
	ds_load_b32 v2, v2
	ds_load_b64 v[20:21], v20 offset:14336
	s_waitcnt lgkmcnt(1)
	v_add_nc_u32_e32 v2, v2, v39
	s_delay_alu instid0(VALU_DEP_1) | instskip(NEXT) | instid1(VALU_DEP_1)
	v_lshlrev_b64 v[23:24], 3, v[2:3]
	v_add_co_u32 v23, vcc_lo, s46, v23
	s_delay_alu instid0(VALU_DEP_2)
	v_add_co_ci_u32_e32 v24, vcc_lo, s47, v24, vcc_lo
	s_waitcnt lgkmcnt(0)
	global_store_b64 v[23:24], v[20:21], off
.LBB327_678:                            ;   in Loop: Header=BB327_574 Depth=2
	s_or_b32 exec_lo, exec_lo, s17
	s_waitcnt_vscnt null, 0x0
	s_barrier
	buffer_gl0_inv
	s_and_saveexec_b32 s17, s2
	s_cbranch_execz .LBB327_573
; %bb.679:                              ;   in Loop: Header=BB327_574 Depth=2
	ds_load_b32 v2, v28
	s_waitcnt lgkmcnt(0)
	v_add_nc_u32_e32 v2, v2, v22
	ds_store_b32 v28, v2
	s_branch .LBB327_573
.LBB327_680:                            ;   in Loop: Header=BB327_574 Depth=2
	s_or_b32 exec_lo, exec_lo, s17
	s_delay_alu instid0(SALU_CYCLE_1)
	s_mov_b32 s17, exec_lo
	v_cmpx_gt_u32_e64 s35, v75
	s_cbranch_execz .LBB327_580
.LBB327_681:                            ;   in Loop: Header=BB327_574 Depth=2
	global_load_u8 v95, v[20:21], off offset:32
	s_or_b32 exec_lo, exec_lo, s17
	s_delay_alu instid0(SALU_CYCLE_1)
	s_mov_b32 s17, exec_lo
	v_cmpx_gt_u32_e64 s35, v76
	s_cbranch_execnz .LBB327_581
.LBB327_682:                            ;   in Loop: Header=BB327_574 Depth=2
	s_or_b32 exec_lo, exec_lo, s17
	s_delay_alu instid0(SALU_CYCLE_1)
	s_mov_b32 s17, exec_lo
	v_cmpx_gt_u32_e64 s35, v77
	s_cbranch_execz .LBB327_582
.LBB327_683:                            ;   in Loop: Header=BB327_574 Depth=2
	global_load_u8 v26, v[20:21], off offset:96
	s_or_b32 exec_lo, exec_lo, s17
	s_delay_alu instid0(SALU_CYCLE_1)
	s_mov_b32 s17, exec_lo
	v_cmpx_gt_u32_e64 s35, v78
	s_cbranch_execnz .LBB327_583
.LBB327_684:                            ;   in Loop: Header=BB327_574 Depth=2
	s_or_b32 exec_lo, exec_lo, s17
	s_delay_alu instid0(SALU_CYCLE_1)
	s_mov_b32 s17, exec_lo
	v_cmpx_gt_u32_e64 s35, v79
	s_cbranch_execz .LBB327_584
.LBB327_685:                            ;   in Loop: Header=BB327_574 Depth=2
	global_load_u8 v24, v[20:21], off offset:160
	s_or_b32 exec_lo, exec_lo, s17
	s_delay_alu instid0(SALU_CYCLE_1)
	s_mov_b32 s17, exec_lo
	v_cmpx_gt_u32_e64 s35, v80
	s_cbranch_execnz .LBB327_585
	s_branch .LBB327_586
.LBB327_686:
	s_endpgm
	.section	.rodata,"a",@progbits
	.p2align	6, 0x0
	.amdhsa_kernel _ZN7rocprim17ROCPRIM_400000_NS6detail17trampoline_kernelINS0_14default_configENS1_36segmented_radix_sort_config_selectorIalEEZNS1_25segmented_radix_sort_implIS3_Lb1EPKaPaPKlPlN2at6native12_GLOBAL__N_18offset_tEEE10hipError_tPvRmT1_PNSt15iterator_traitsISK_E10value_typeET2_T3_PNSL_ISQ_E10value_typeET4_jRbjT5_SW_jjP12ihipStream_tbEUlT_E2_NS1_11comp_targetILNS1_3genE9ELNS1_11target_archE1100ELNS1_3gpuE3ELNS1_3repE0EEENS1_30default_config_static_selectorELNS0_4arch9wavefront6targetE0EEEvSK_
		.amdhsa_group_segment_fixed_size 17440
		.amdhsa_private_segment_fixed_size 0
		.amdhsa_kernarg_size 336
		.amdhsa_user_sgpr_count 14
		.amdhsa_user_sgpr_dispatch_ptr 0
		.amdhsa_user_sgpr_queue_ptr 0
		.amdhsa_user_sgpr_kernarg_segment_ptr 1
		.amdhsa_user_sgpr_dispatch_id 0
		.amdhsa_user_sgpr_private_segment_size 0
		.amdhsa_wavefront_size32 1
		.amdhsa_uses_dynamic_stack 0
		.amdhsa_enable_private_segment 0
		.amdhsa_system_sgpr_workgroup_id_x 1
		.amdhsa_system_sgpr_workgroup_id_y 1
		.amdhsa_system_sgpr_workgroup_id_z 0
		.amdhsa_system_sgpr_workgroup_info 0
		.amdhsa_system_vgpr_workitem_id 2
		.amdhsa_next_free_vgpr 183
		.amdhsa_next_free_sgpr 54
		.amdhsa_reserve_vcc 1
		.amdhsa_float_round_mode_32 0
		.amdhsa_float_round_mode_16_64 0
		.amdhsa_float_denorm_mode_32 3
		.amdhsa_float_denorm_mode_16_64 3
		.amdhsa_dx10_clamp 1
		.amdhsa_ieee_mode 1
		.amdhsa_fp16_overflow 0
		.amdhsa_workgroup_processor_mode 1
		.amdhsa_memory_ordered 1
		.amdhsa_forward_progress 0
		.amdhsa_shared_vgpr_count 0
		.amdhsa_exception_fp_ieee_invalid_op 0
		.amdhsa_exception_fp_denorm_src 0
		.amdhsa_exception_fp_ieee_div_zero 0
		.amdhsa_exception_fp_ieee_overflow 0
		.amdhsa_exception_fp_ieee_underflow 0
		.amdhsa_exception_fp_ieee_inexact 0
		.amdhsa_exception_int_div_zero 0
	.end_amdhsa_kernel
	.section	.text._ZN7rocprim17ROCPRIM_400000_NS6detail17trampoline_kernelINS0_14default_configENS1_36segmented_radix_sort_config_selectorIalEEZNS1_25segmented_radix_sort_implIS3_Lb1EPKaPaPKlPlN2at6native12_GLOBAL__N_18offset_tEEE10hipError_tPvRmT1_PNSt15iterator_traitsISK_E10value_typeET2_T3_PNSL_ISQ_E10value_typeET4_jRbjT5_SW_jjP12ihipStream_tbEUlT_E2_NS1_11comp_targetILNS1_3genE9ELNS1_11target_archE1100ELNS1_3gpuE3ELNS1_3repE0EEENS1_30default_config_static_selectorELNS0_4arch9wavefront6targetE0EEEvSK_,"axG",@progbits,_ZN7rocprim17ROCPRIM_400000_NS6detail17trampoline_kernelINS0_14default_configENS1_36segmented_radix_sort_config_selectorIalEEZNS1_25segmented_radix_sort_implIS3_Lb1EPKaPaPKlPlN2at6native12_GLOBAL__N_18offset_tEEE10hipError_tPvRmT1_PNSt15iterator_traitsISK_E10value_typeET2_T3_PNSL_ISQ_E10value_typeET4_jRbjT5_SW_jjP12ihipStream_tbEUlT_E2_NS1_11comp_targetILNS1_3genE9ELNS1_11target_archE1100ELNS1_3gpuE3ELNS1_3repE0EEENS1_30default_config_static_selectorELNS0_4arch9wavefront6targetE0EEEvSK_,comdat
.Lfunc_end327:
	.size	_ZN7rocprim17ROCPRIM_400000_NS6detail17trampoline_kernelINS0_14default_configENS1_36segmented_radix_sort_config_selectorIalEEZNS1_25segmented_radix_sort_implIS3_Lb1EPKaPaPKlPlN2at6native12_GLOBAL__N_18offset_tEEE10hipError_tPvRmT1_PNSt15iterator_traitsISK_E10value_typeET2_T3_PNSL_ISQ_E10value_typeET4_jRbjT5_SW_jjP12ihipStream_tbEUlT_E2_NS1_11comp_targetILNS1_3genE9ELNS1_11target_archE1100ELNS1_3gpuE3ELNS1_3repE0EEENS1_30default_config_static_selectorELNS0_4arch9wavefront6targetE0EEEvSK_, .Lfunc_end327-_ZN7rocprim17ROCPRIM_400000_NS6detail17trampoline_kernelINS0_14default_configENS1_36segmented_radix_sort_config_selectorIalEEZNS1_25segmented_radix_sort_implIS3_Lb1EPKaPaPKlPlN2at6native12_GLOBAL__N_18offset_tEEE10hipError_tPvRmT1_PNSt15iterator_traitsISK_E10value_typeET2_T3_PNSL_ISQ_E10value_typeET4_jRbjT5_SW_jjP12ihipStream_tbEUlT_E2_NS1_11comp_targetILNS1_3genE9ELNS1_11target_archE1100ELNS1_3gpuE3ELNS1_3repE0EEENS1_30default_config_static_selectorELNS0_4arch9wavefront6targetE0EEEvSK_
                                        ; -- End function
	.section	.AMDGPU.csdata,"",@progbits
; Kernel info:
; codeLenInByte = 39516
; NumSgprs: 56
; NumVgprs: 183
; ScratchSize: 0
; MemoryBound: 0
; FloatMode: 240
; IeeeMode: 1
; LDSByteSize: 17440 bytes/workgroup (compile time only)
; SGPRBlocks: 6
; VGPRBlocks: 22
; NumSGPRsForWavesPerEU: 56
; NumVGPRsForWavesPerEU: 183
; Occupancy: 8
; WaveLimiterHint : 1
; COMPUTE_PGM_RSRC2:SCRATCH_EN: 0
; COMPUTE_PGM_RSRC2:USER_SGPR: 14
; COMPUTE_PGM_RSRC2:TRAP_HANDLER: 0
; COMPUTE_PGM_RSRC2:TGID_X_EN: 1
; COMPUTE_PGM_RSRC2:TGID_Y_EN: 1
; COMPUTE_PGM_RSRC2:TGID_Z_EN: 0
; COMPUTE_PGM_RSRC2:TIDIG_COMP_CNT: 2
	.section	.text._ZN7rocprim17ROCPRIM_400000_NS6detail17trampoline_kernelINS0_14default_configENS1_36segmented_radix_sort_config_selectorIalEEZNS1_25segmented_radix_sort_implIS3_Lb1EPKaPaPKlPlN2at6native12_GLOBAL__N_18offset_tEEE10hipError_tPvRmT1_PNSt15iterator_traitsISK_E10value_typeET2_T3_PNSL_ISQ_E10value_typeET4_jRbjT5_SW_jjP12ihipStream_tbEUlT_E2_NS1_11comp_targetILNS1_3genE8ELNS1_11target_archE1030ELNS1_3gpuE2ELNS1_3repE0EEENS1_30default_config_static_selectorELNS0_4arch9wavefront6targetE0EEEvSK_,"axG",@progbits,_ZN7rocprim17ROCPRIM_400000_NS6detail17trampoline_kernelINS0_14default_configENS1_36segmented_radix_sort_config_selectorIalEEZNS1_25segmented_radix_sort_implIS3_Lb1EPKaPaPKlPlN2at6native12_GLOBAL__N_18offset_tEEE10hipError_tPvRmT1_PNSt15iterator_traitsISK_E10value_typeET2_T3_PNSL_ISQ_E10value_typeET4_jRbjT5_SW_jjP12ihipStream_tbEUlT_E2_NS1_11comp_targetILNS1_3genE8ELNS1_11target_archE1030ELNS1_3gpuE2ELNS1_3repE0EEENS1_30default_config_static_selectorELNS0_4arch9wavefront6targetE0EEEvSK_,comdat
	.globl	_ZN7rocprim17ROCPRIM_400000_NS6detail17trampoline_kernelINS0_14default_configENS1_36segmented_radix_sort_config_selectorIalEEZNS1_25segmented_radix_sort_implIS3_Lb1EPKaPaPKlPlN2at6native12_GLOBAL__N_18offset_tEEE10hipError_tPvRmT1_PNSt15iterator_traitsISK_E10value_typeET2_T3_PNSL_ISQ_E10value_typeET4_jRbjT5_SW_jjP12ihipStream_tbEUlT_E2_NS1_11comp_targetILNS1_3genE8ELNS1_11target_archE1030ELNS1_3gpuE2ELNS1_3repE0EEENS1_30default_config_static_selectorELNS0_4arch9wavefront6targetE0EEEvSK_ ; -- Begin function _ZN7rocprim17ROCPRIM_400000_NS6detail17trampoline_kernelINS0_14default_configENS1_36segmented_radix_sort_config_selectorIalEEZNS1_25segmented_radix_sort_implIS3_Lb1EPKaPaPKlPlN2at6native12_GLOBAL__N_18offset_tEEE10hipError_tPvRmT1_PNSt15iterator_traitsISK_E10value_typeET2_T3_PNSL_ISQ_E10value_typeET4_jRbjT5_SW_jjP12ihipStream_tbEUlT_E2_NS1_11comp_targetILNS1_3genE8ELNS1_11target_archE1030ELNS1_3gpuE2ELNS1_3repE0EEENS1_30default_config_static_selectorELNS0_4arch9wavefront6targetE0EEEvSK_
	.p2align	8
	.type	_ZN7rocprim17ROCPRIM_400000_NS6detail17trampoline_kernelINS0_14default_configENS1_36segmented_radix_sort_config_selectorIalEEZNS1_25segmented_radix_sort_implIS3_Lb1EPKaPaPKlPlN2at6native12_GLOBAL__N_18offset_tEEE10hipError_tPvRmT1_PNSt15iterator_traitsISK_E10value_typeET2_T3_PNSL_ISQ_E10value_typeET4_jRbjT5_SW_jjP12ihipStream_tbEUlT_E2_NS1_11comp_targetILNS1_3genE8ELNS1_11target_archE1030ELNS1_3gpuE2ELNS1_3repE0EEENS1_30default_config_static_selectorELNS0_4arch9wavefront6targetE0EEEvSK_,@function
_ZN7rocprim17ROCPRIM_400000_NS6detail17trampoline_kernelINS0_14default_configENS1_36segmented_radix_sort_config_selectorIalEEZNS1_25segmented_radix_sort_implIS3_Lb1EPKaPaPKlPlN2at6native12_GLOBAL__N_18offset_tEEE10hipError_tPvRmT1_PNSt15iterator_traitsISK_E10value_typeET2_T3_PNSL_ISQ_E10value_typeET4_jRbjT5_SW_jjP12ihipStream_tbEUlT_E2_NS1_11comp_targetILNS1_3genE8ELNS1_11target_archE1030ELNS1_3gpuE2ELNS1_3repE0EEENS1_30default_config_static_selectorELNS0_4arch9wavefront6targetE0EEEvSK_: ; @_ZN7rocprim17ROCPRIM_400000_NS6detail17trampoline_kernelINS0_14default_configENS1_36segmented_radix_sort_config_selectorIalEEZNS1_25segmented_radix_sort_implIS3_Lb1EPKaPaPKlPlN2at6native12_GLOBAL__N_18offset_tEEE10hipError_tPvRmT1_PNSt15iterator_traitsISK_E10value_typeET2_T3_PNSL_ISQ_E10value_typeET4_jRbjT5_SW_jjP12ihipStream_tbEUlT_E2_NS1_11comp_targetILNS1_3genE8ELNS1_11target_archE1030ELNS1_3gpuE2ELNS1_3repE0EEENS1_30default_config_static_selectorELNS0_4arch9wavefront6targetE0EEEvSK_
; %bb.0:
	.section	.rodata,"a",@progbits
	.p2align	6, 0x0
	.amdhsa_kernel _ZN7rocprim17ROCPRIM_400000_NS6detail17trampoline_kernelINS0_14default_configENS1_36segmented_radix_sort_config_selectorIalEEZNS1_25segmented_radix_sort_implIS3_Lb1EPKaPaPKlPlN2at6native12_GLOBAL__N_18offset_tEEE10hipError_tPvRmT1_PNSt15iterator_traitsISK_E10value_typeET2_T3_PNSL_ISQ_E10value_typeET4_jRbjT5_SW_jjP12ihipStream_tbEUlT_E2_NS1_11comp_targetILNS1_3genE8ELNS1_11target_archE1030ELNS1_3gpuE2ELNS1_3repE0EEENS1_30default_config_static_selectorELNS0_4arch9wavefront6targetE0EEEvSK_
		.amdhsa_group_segment_fixed_size 0
		.amdhsa_private_segment_fixed_size 0
		.amdhsa_kernarg_size 80
		.amdhsa_user_sgpr_count 15
		.amdhsa_user_sgpr_dispatch_ptr 0
		.amdhsa_user_sgpr_queue_ptr 0
		.amdhsa_user_sgpr_kernarg_segment_ptr 1
		.amdhsa_user_sgpr_dispatch_id 0
		.amdhsa_user_sgpr_private_segment_size 0
		.amdhsa_wavefront_size32 1
		.amdhsa_uses_dynamic_stack 0
		.amdhsa_enable_private_segment 0
		.amdhsa_system_sgpr_workgroup_id_x 1
		.amdhsa_system_sgpr_workgroup_id_y 0
		.amdhsa_system_sgpr_workgroup_id_z 0
		.amdhsa_system_sgpr_workgroup_info 0
		.amdhsa_system_vgpr_workitem_id 0
		.amdhsa_next_free_vgpr 1
		.amdhsa_next_free_sgpr 1
		.amdhsa_reserve_vcc 0
		.amdhsa_float_round_mode_32 0
		.amdhsa_float_round_mode_16_64 0
		.amdhsa_float_denorm_mode_32 3
		.amdhsa_float_denorm_mode_16_64 3
		.amdhsa_dx10_clamp 1
		.amdhsa_ieee_mode 1
		.amdhsa_fp16_overflow 0
		.amdhsa_workgroup_processor_mode 1
		.amdhsa_memory_ordered 1
		.amdhsa_forward_progress 0
		.amdhsa_shared_vgpr_count 0
		.amdhsa_exception_fp_ieee_invalid_op 0
		.amdhsa_exception_fp_denorm_src 0
		.amdhsa_exception_fp_ieee_div_zero 0
		.amdhsa_exception_fp_ieee_overflow 0
		.amdhsa_exception_fp_ieee_underflow 0
		.amdhsa_exception_fp_ieee_inexact 0
		.amdhsa_exception_int_div_zero 0
	.end_amdhsa_kernel
	.section	.text._ZN7rocprim17ROCPRIM_400000_NS6detail17trampoline_kernelINS0_14default_configENS1_36segmented_radix_sort_config_selectorIalEEZNS1_25segmented_radix_sort_implIS3_Lb1EPKaPaPKlPlN2at6native12_GLOBAL__N_18offset_tEEE10hipError_tPvRmT1_PNSt15iterator_traitsISK_E10value_typeET2_T3_PNSL_ISQ_E10value_typeET4_jRbjT5_SW_jjP12ihipStream_tbEUlT_E2_NS1_11comp_targetILNS1_3genE8ELNS1_11target_archE1030ELNS1_3gpuE2ELNS1_3repE0EEENS1_30default_config_static_selectorELNS0_4arch9wavefront6targetE0EEEvSK_,"axG",@progbits,_ZN7rocprim17ROCPRIM_400000_NS6detail17trampoline_kernelINS0_14default_configENS1_36segmented_radix_sort_config_selectorIalEEZNS1_25segmented_radix_sort_implIS3_Lb1EPKaPaPKlPlN2at6native12_GLOBAL__N_18offset_tEEE10hipError_tPvRmT1_PNSt15iterator_traitsISK_E10value_typeET2_T3_PNSL_ISQ_E10value_typeET4_jRbjT5_SW_jjP12ihipStream_tbEUlT_E2_NS1_11comp_targetILNS1_3genE8ELNS1_11target_archE1030ELNS1_3gpuE2ELNS1_3repE0EEENS1_30default_config_static_selectorELNS0_4arch9wavefront6targetE0EEEvSK_,comdat
.Lfunc_end328:
	.size	_ZN7rocprim17ROCPRIM_400000_NS6detail17trampoline_kernelINS0_14default_configENS1_36segmented_radix_sort_config_selectorIalEEZNS1_25segmented_radix_sort_implIS3_Lb1EPKaPaPKlPlN2at6native12_GLOBAL__N_18offset_tEEE10hipError_tPvRmT1_PNSt15iterator_traitsISK_E10value_typeET2_T3_PNSL_ISQ_E10value_typeET4_jRbjT5_SW_jjP12ihipStream_tbEUlT_E2_NS1_11comp_targetILNS1_3genE8ELNS1_11target_archE1030ELNS1_3gpuE2ELNS1_3repE0EEENS1_30default_config_static_selectorELNS0_4arch9wavefront6targetE0EEEvSK_, .Lfunc_end328-_ZN7rocprim17ROCPRIM_400000_NS6detail17trampoline_kernelINS0_14default_configENS1_36segmented_radix_sort_config_selectorIalEEZNS1_25segmented_radix_sort_implIS3_Lb1EPKaPaPKlPlN2at6native12_GLOBAL__N_18offset_tEEE10hipError_tPvRmT1_PNSt15iterator_traitsISK_E10value_typeET2_T3_PNSL_ISQ_E10value_typeET4_jRbjT5_SW_jjP12ihipStream_tbEUlT_E2_NS1_11comp_targetILNS1_3genE8ELNS1_11target_archE1030ELNS1_3gpuE2ELNS1_3repE0EEENS1_30default_config_static_selectorELNS0_4arch9wavefront6targetE0EEEvSK_
                                        ; -- End function
	.section	.AMDGPU.csdata,"",@progbits
; Kernel info:
; codeLenInByte = 0
; NumSgprs: 0
; NumVgprs: 0
; ScratchSize: 0
; MemoryBound: 0
; FloatMode: 240
; IeeeMode: 1
; LDSByteSize: 0 bytes/workgroup (compile time only)
; SGPRBlocks: 0
; VGPRBlocks: 0
; NumSGPRsForWavesPerEU: 1
; NumVGPRsForWavesPerEU: 1
; Occupancy: 16
; WaveLimiterHint : 0
; COMPUTE_PGM_RSRC2:SCRATCH_EN: 0
; COMPUTE_PGM_RSRC2:USER_SGPR: 15
; COMPUTE_PGM_RSRC2:TRAP_HANDLER: 0
; COMPUTE_PGM_RSRC2:TGID_X_EN: 1
; COMPUTE_PGM_RSRC2:TGID_Y_EN: 0
; COMPUTE_PGM_RSRC2:TGID_Z_EN: 0
; COMPUTE_PGM_RSRC2:TIDIG_COMP_CNT: 0
	.section	.text._ZN7rocprim17ROCPRIM_400000_NS6detail17trampoline_kernelINS0_13select_configILj256ELj13ELNS0_17block_load_methodE3ELS4_3ELS4_3ELNS0_20block_scan_algorithmE0ELj4294967295EEENS1_25partition_config_selectorILNS1_17partition_subalgoE4EjNS0_10empty_typeEbEEZZNS1_14partition_implILS8_4ELb0ES6_15HIP_vector_typeIjLj2EENS0_17counting_iteratorIjlEEPS9_SG_NS0_5tupleIJPjSI_NS0_16reverse_iteratorISI_EEEEENSH_IJSG_SG_SG_EEES9_SI_JZNS1_25segmented_radix_sort_implINS0_14default_configELb0EPKaPaPKlPlN2at6native12_GLOBAL__N_18offset_tEEE10hipError_tPvRmT1_PNSt15iterator_traitsIS12_E10value_typeET2_T3_PNS13_IS18_E10value_typeET4_jRbjT5_S1E_jjP12ihipStream_tbEUljE_ZNSN_ISO_Lb0ESQ_SR_ST_SU_SY_EESZ_S10_S11_S12_S16_S17_S18_S1B_S1C_jS1D_jS1E_S1E_jjS1G_bEUljE0_EEESZ_S10_S11_S18_S1C_S1E_T6_T7_T9_mT8_S1G_bDpT10_ENKUlT_T0_E_clISt17integral_constantIbLb0EES1U_EEDaS1P_S1Q_EUlS1P_E_NS1_11comp_targetILNS1_3genE0ELNS1_11target_archE4294967295ELNS1_3gpuE0ELNS1_3repE0EEENS1_30default_config_static_selectorELNS0_4arch9wavefront6targetE0EEEvS12_,"axG",@progbits,_ZN7rocprim17ROCPRIM_400000_NS6detail17trampoline_kernelINS0_13select_configILj256ELj13ELNS0_17block_load_methodE3ELS4_3ELS4_3ELNS0_20block_scan_algorithmE0ELj4294967295EEENS1_25partition_config_selectorILNS1_17partition_subalgoE4EjNS0_10empty_typeEbEEZZNS1_14partition_implILS8_4ELb0ES6_15HIP_vector_typeIjLj2EENS0_17counting_iteratorIjlEEPS9_SG_NS0_5tupleIJPjSI_NS0_16reverse_iteratorISI_EEEEENSH_IJSG_SG_SG_EEES9_SI_JZNS1_25segmented_radix_sort_implINS0_14default_configELb0EPKaPaPKlPlN2at6native12_GLOBAL__N_18offset_tEEE10hipError_tPvRmT1_PNSt15iterator_traitsIS12_E10value_typeET2_T3_PNS13_IS18_E10value_typeET4_jRbjT5_S1E_jjP12ihipStream_tbEUljE_ZNSN_ISO_Lb0ESQ_SR_ST_SU_SY_EESZ_S10_S11_S12_S16_S17_S18_S1B_S1C_jS1D_jS1E_S1E_jjS1G_bEUljE0_EEESZ_S10_S11_S18_S1C_S1E_T6_T7_T9_mT8_S1G_bDpT10_ENKUlT_T0_E_clISt17integral_constantIbLb0EES1U_EEDaS1P_S1Q_EUlS1P_E_NS1_11comp_targetILNS1_3genE0ELNS1_11target_archE4294967295ELNS1_3gpuE0ELNS1_3repE0EEENS1_30default_config_static_selectorELNS0_4arch9wavefront6targetE0EEEvS12_,comdat
	.globl	_ZN7rocprim17ROCPRIM_400000_NS6detail17trampoline_kernelINS0_13select_configILj256ELj13ELNS0_17block_load_methodE3ELS4_3ELS4_3ELNS0_20block_scan_algorithmE0ELj4294967295EEENS1_25partition_config_selectorILNS1_17partition_subalgoE4EjNS0_10empty_typeEbEEZZNS1_14partition_implILS8_4ELb0ES6_15HIP_vector_typeIjLj2EENS0_17counting_iteratorIjlEEPS9_SG_NS0_5tupleIJPjSI_NS0_16reverse_iteratorISI_EEEEENSH_IJSG_SG_SG_EEES9_SI_JZNS1_25segmented_radix_sort_implINS0_14default_configELb0EPKaPaPKlPlN2at6native12_GLOBAL__N_18offset_tEEE10hipError_tPvRmT1_PNSt15iterator_traitsIS12_E10value_typeET2_T3_PNS13_IS18_E10value_typeET4_jRbjT5_S1E_jjP12ihipStream_tbEUljE_ZNSN_ISO_Lb0ESQ_SR_ST_SU_SY_EESZ_S10_S11_S12_S16_S17_S18_S1B_S1C_jS1D_jS1E_S1E_jjS1G_bEUljE0_EEESZ_S10_S11_S18_S1C_S1E_T6_T7_T9_mT8_S1G_bDpT10_ENKUlT_T0_E_clISt17integral_constantIbLb0EES1U_EEDaS1P_S1Q_EUlS1P_E_NS1_11comp_targetILNS1_3genE0ELNS1_11target_archE4294967295ELNS1_3gpuE0ELNS1_3repE0EEENS1_30default_config_static_selectorELNS0_4arch9wavefront6targetE0EEEvS12_ ; -- Begin function _ZN7rocprim17ROCPRIM_400000_NS6detail17trampoline_kernelINS0_13select_configILj256ELj13ELNS0_17block_load_methodE3ELS4_3ELS4_3ELNS0_20block_scan_algorithmE0ELj4294967295EEENS1_25partition_config_selectorILNS1_17partition_subalgoE4EjNS0_10empty_typeEbEEZZNS1_14partition_implILS8_4ELb0ES6_15HIP_vector_typeIjLj2EENS0_17counting_iteratorIjlEEPS9_SG_NS0_5tupleIJPjSI_NS0_16reverse_iteratorISI_EEEEENSH_IJSG_SG_SG_EEES9_SI_JZNS1_25segmented_radix_sort_implINS0_14default_configELb0EPKaPaPKlPlN2at6native12_GLOBAL__N_18offset_tEEE10hipError_tPvRmT1_PNSt15iterator_traitsIS12_E10value_typeET2_T3_PNS13_IS18_E10value_typeET4_jRbjT5_S1E_jjP12ihipStream_tbEUljE_ZNSN_ISO_Lb0ESQ_SR_ST_SU_SY_EESZ_S10_S11_S12_S16_S17_S18_S1B_S1C_jS1D_jS1E_S1E_jjS1G_bEUljE0_EEESZ_S10_S11_S18_S1C_S1E_T6_T7_T9_mT8_S1G_bDpT10_ENKUlT_T0_E_clISt17integral_constantIbLb0EES1U_EEDaS1P_S1Q_EUlS1P_E_NS1_11comp_targetILNS1_3genE0ELNS1_11target_archE4294967295ELNS1_3gpuE0ELNS1_3repE0EEENS1_30default_config_static_selectorELNS0_4arch9wavefront6targetE0EEEvS12_
	.p2align	8
	.type	_ZN7rocprim17ROCPRIM_400000_NS6detail17trampoline_kernelINS0_13select_configILj256ELj13ELNS0_17block_load_methodE3ELS4_3ELS4_3ELNS0_20block_scan_algorithmE0ELj4294967295EEENS1_25partition_config_selectorILNS1_17partition_subalgoE4EjNS0_10empty_typeEbEEZZNS1_14partition_implILS8_4ELb0ES6_15HIP_vector_typeIjLj2EENS0_17counting_iteratorIjlEEPS9_SG_NS0_5tupleIJPjSI_NS0_16reverse_iteratorISI_EEEEENSH_IJSG_SG_SG_EEES9_SI_JZNS1_25segmented_radix_sort_implINS0_14default_configELb0EPKaPaPKlPlN2at6native12_GLOBAL__N_18offset_tEEE10hipError_tPvRmT1_PNSt15iterator_traitsIS12_E10value_typeET2_T3_PNS13_IS18_E10value_typeET4_jRbjT5_S1E_jjP12ihipStream_tbEUljE_ZNSN_ISO_Lb0ESQ_SR_ST_SU_SY_EESZ_S10_S11_S12_S16_S17_S18_S1B_S1C_jS1D_jS1E_S1E_jjS1G_bEUljE0_EEESZ_S10_S11_S18_S1C_S1E_T6_T7_T9_mT8_S1G_bDpT10_ENKUlT_T0_E_clISt17integral_constantIbLb0EES1U_EEDaS1P_S1Q_EUlS1P_E_NS1_11comp_targetILNS1_3genE0ELNS1_11target_archE4294967295ELNS1_3gpuE0ELNS1_3repE0EEENS1_30default_config_static_selectorELNS0_4arch9wavefront6targetE0EEEvS12_,@function
_ZN7rocprim17ROCPRIM_400000_NS6detail17trampoline_kernelINS0_13select_configILj256ELj13ELNS0_17block_load_methodE3ELS4_3ELS4_3ELNS0_20block_scan_algorithmE0ELj4294967295EEENS1_25partition_config_selectorILNS1_17partition_subalgoE4EjNS0_10empty_typeEbEEZZNS1_14partition_implILS8_4ELb0ES6_15HIP_vector_typeIjLj2EENS0_17counting_iteratorIjlEEPS9_SG_NS0_5tupleIJPjSI_NS0_16reverse_iteratorISI_EEEEENSH_IJSG_SG_SG_EEES9_SI_JZNS1_25segmented_radix_sort_implINS0_14default_configELb0EPKaPaPKlPlN2at6native12_GLOBAL__N_18offset_tEEE10hipError_tPvRmT1_PNSt15iterator_traitsIS12_E10value_typeET2_T3_PNS13_IS18_E10value_typeET4_jRbjT5_S1E_jjP12ihipStream_tbEUljE_ZNSN_ISO_Lb0ESQ_SR_ST_SU_SY_EESZ_S10_S11_S12_S16_S17_S18_S1B_S1C_jS1D_jS1E_S1E_jjS1G_bEUljE0_EEESZ_S10_S11_S18_S1C_S1E_T6_T7_T9_mT8_S1G_bDpT10_ENKUlT_T0_E_clISt17integral_constantIbLb0EES1U_EEDaS1P_S1Q_EUlS1P_E_NS1_11comp_targetILNS1_3genE0ELNS1_11target_archE4294967295ELNS1_3gpuE0ELNS1_3repE0EEENS1_30default_config_static_selectorELNS0_4arch9wavefront6targetE0EEEvS12_: ; @_ZN7rocprim17ROCPRIM_400000_NS6detail17trampoline_kernelINS0_13select_configILj256ELj13ELNS0_17block_load_methodE3ELS4_3ELS4_3ELNS0_20block_scan_algorithmE0ELj4294967295EEENS1_25partition_config_selectorILNS1_17partition_subalgoE4EjNS0_10empty_typeEbEEZZNS1_14partition_implILS8_4ELb0ES6_15HIP_vector_typeIjLj2EENS0_17counting_iteratorIjlEEPS9_SG_NS0_5tupleIJPjSI_NS0_16reverse_iteratorISI_EEEEENSH_IJSG_SG_SG_EEES9_SI_JZNS1_25segmented_radix_sort_implINS0_14default_configELb0EPKaPaPKlPlN2at6native12_GLOBAL__N_18offset_tEEE10hipError_tPvRmT1_PNSt15iterator_traitsIS12_E10value_typeET2_T3_PNS13_IS18_E10value_typeET4_jRbjT5_S1E_jjP12ihipStream_tbEUljE_ZNSN_ISO_Lb0ESQ_SR_ST_SU_SY_EESZ_S10_S11_S12_S16_S17_S18_S1B_S1C_jS1D_jS1E_S1E_jjS1G_bEUljE0_EEESZ_S10_S11_S18_S1C_S1E_T6_T7_T9_mT8_S1G_bDpT10_ENKUlT_T0_E_clISt17integral_constantIbLb0EES1U_EEDaS1P_S1Q_EUlS1P_E_NS1_11comp_targetILNS1_3genE0ELNS1_11target_archE4294967295ELNS1_3gpuE0ELNS1_3repE0EEENS1_30default_config_static_selectorELNS0_4arch9wavefront6targetE0EEEvS12_
; %bb.0:
	.section	.rodata,"a",@progbits
	.p2align	6, 0x0
	.amdhsa_kernel _ZN7rocprim17ROCPRIM_400000_NS6detail17trampoline_kernelINS0_13select_configILj256ELj13ELNS0_17block_load_methodE3ELS4_3ELS4_3ELNS0_20block_scan_algorithmE0ELj4294967295EEENS1_25partition_config_selectorILNS1_17partition_subalgoE4EjNS0_10empty_typeEbEEZZNS1_14partition_implILS8_4ELb0ES6_15HIP_vector_typeIjLj2EENS0_17counting_iteratorIjlEEPS9_SG_NS0_5tupleIJPjSI_NS0_16reverse_iteratorISI_EEEEENSH_IJSG_SG_SG_EEES9_SI_JZNS1_25segmented_radix_sort_implINS0_14default_configELb0EPKaPaPKlPlN2at6native12_GLOBAL__N_18offset_tEEE10hipError_tPvRmT1_PNSt15iterator_traitsIS12_E10value_typeET2_T3_PNS13_IS18_E10value_typeET4_jRbjT5_S1E_jjP12ihipStream_tbEUljE_ZNSN_ISO_Lb0ESQ_SR_ST_SU_SY_EESZ_S10_S11_S12_S16_S17_S18_S1B_S1C_jS1D_jS1E_S1E_jjS1G_bEUljE0_EEESZ_S10_S11_S18_S1C_S1E_T6_T7_T9_mT8_S1G_bDpT10_ENKUlT_T0_E_clISt17integral_constantIbLb0EES1U_EEDaS1P_S1Q_EUlS1P_E_NS1_11comp_targetILNS1_3genE0ELNS1_11target_archE4294967295ELNS1_3gpuE0ELNS1_3repE0EEENS1_30default_config_static_selectorELNS0_4arch9wavefront6targetE0EEEvS12_
		.amdhsa_group_segment_fixed_size 0
		.amdhsa_private_segment_fixed_size 0
		.amdhsa_kernarg_size 176
		.amdhsa_user_sgpr_count 15
		.amdhsa_user_sgpr_dispatch_ptr 0
		.amdhsa_user_sgpr_queue_ptr 0
		.amdhsa_user_sgpr_kernarg_segment_ptr 1
		.amdhsa_user_sgpr_dispatch_id 0
		.amdhsa_user_sgpr_private_segment_size 0
		.amdhsa_wavefront_size32 1
		.amdhsa_uses_dynamic_stack 0
		.amdhsa_enable_private_segment 0
		.amdhsa_system_sgpr_workgroup_id_x 1
		.amdhsa_system_sgpr_workgroup_id_y 0
		.amdhsa_system_sgpr_workgroup_id_z 0
		.amdhsa_system_sgpr_workgroup_info 0
		.amdhsa_system_vgpr_workitem_id 0
		.amdhsa_next_free_vgpr 1
		.amdhsa_next_free_sgpr 1
		.amdhsa_reserve_vcc 0
		.amdhsa_float_round_mode_32 0
		.amdhsa_float_round_mode_16_64 0
		.amdhsa_float_denorm_mode_32 3
		.amdhsa_float_denorm_mode_16_64 3
		.amdhsa_dx10_clamp 1
		.amdhsa_ieee_mode 1
		.amdhsa_fp16_overflow 0
		.amdhsa_workgroup_processor_mode 1
		.amdhsa_memory_ordered 1
		.amdhsa_forward_progress 0
		.amdhsa_shared_vgpr_count 0
		.amdhsa_exception_fp_ieee_invalid_op 0
		.amdhsa_exception_fp_denorm_src 0
		.amdhsa_exception_fp_ieee_div_zero 0
		.amdhsa_exception_fp_ieee_overflow 0
		.amdhsa_exception_fp_ieee_underflow 0
		.amdhsa_exception_fp_ieee_inexact 0
		.amdhsa_exception_int_div_zero 0
	.end_amdhsa_kernel
	.section	.text._ZN7rocprim17ROCPRIM_400000_NS6detail17trampoline_kernelINS0_13select_configILj256ELj13ELNS0_17block_load_methodE3ELS4_3ELS4_3ELNS0_20block_scan_algorithmE0ELj4294967295EEENS1_25partition_config_selectorILNS1_17partition_subalgoE4EjNS0_10empty_typeEbEEZZNS1_14partition_implILS8_4ELb0ES6_15HIP_vector_typeIjLj2EENS0_17counting_iteratorIjlEEPS9_SG_NS0_5tupleIJPjSI_NS0_16reverse_iteratorISI_EEEEENSH_IJSG_SG_SG_EEES9_SI_JZNS1_25segmented_radix_sort_implINS0_14default_configELb0EPKaPaPKlPlN2at6native12_GLOBAL__N_18offset_tEEE10hipError_tPvRmT1_PNSt15iterator_traitsIS12_E10value_typeET2_T3_PNS13_IS18_E10value_typeET4_jRbjT5_S1E_jjP12ihipStream_tbEUljE_ZNSN_ISO_Lb0ESQ_SR_ST_SU_SY_EESZ_S10_S11_S12_S16_S17_S18_S1B_S1C_jS1D_jS1E_S1E_jjS1G_bEUljE0_EEESZ_S10_S11_S18_S1C_S1E_T6_T7_T9_mT8_S1G_bDpT10_ENKUlT_T0_E_clISt17integral_constantIbLb0EES1U_EEDaS1P_S1Q_EUlS1P_E_NS1_11comp_targetILNS1_3genE0ELNS1_11target_archE4294967295ELNS1_3gpuE0ELNS1_3repE0EEENS1_30default_config_static_selectorELNS0_4arch9wavefront6targetE0EEEvS12_,"axG",@progbits,_ZN7rocprim17ROCPRIM_400000_NS6detail17trampoline_kernelINS0_13select_configILj256ELj13ELNS0_17block_load_methodE3ELS4_3ELS4_3ELNS0_20block_scan_algorithmE0ELj4294967295EEENS1_25partition_config_selectorILNS1_17partition_subalgoE4EjNS0_10empty_typeEbEEZZNS1_14partition_implILS8_4ELb0ES6_15HIP_vector_typeIjLj2EENS0_17counting_iteratorIjlEEPS9_SG_NS0_5tupleIJPjSI_NS0_16reverse_iteratorISI_EEEEENSH_IJSG_SG_SG_EEES9_SI_JZNS1_25segmented_radix_sort_implINS0_14default_configELb0EPKaPaPKlPlN2at6native12_GLOBAL__N_18offset_tEEE10hipError_tPvRmT1_PNSt15iterator_traitsIS12_E10value_typeET2_T3_PNS13_IS18_E10value_typeET4_jRbjT5_S1E_jjP12ihipStream_tbEUljE_ZNSN_ISO_Lb0ESQ_SR_ST_SU_SY_EESZ_S10_S11_S12_S16_S17_S18_S1B_S1C_jS1D_jS1E_S1E_jjS1G_bEUljE0_EEESZ_S10_S11_S18_S1C_S1E_T6_T7_T9_mT8_S1G_bDpT10_ENKUlT_T0_E_clISt17integral_constantIbLb0EES1U_EEDaS1P_S1Q_EUlS1P_E_NS1_11comp_targetILNS1_3genE0ELNS1_11target_archE4294967295ELNS1_3gpuE0ELNS1_3repE0EEENS1_30default_config_static_selectorELNS0_4arch9wavefront6targetE0EEEvS12_,comdat
.Lfunc_end329:
	.size	_ZN7rocprim17ROCPRIM_400000_NS6detail17trampoline_kernelINS0_13select_configILj256ELj13ELNS0_17block_load_methodE3ELS4_3ELS4_3ELNS0_20block_scan_algorithmE0ELj4294967295EEENS1_25partition_config_selectorILNS1_17partition_subalgoE4EjNS0_10empty_typeEbEEZZNS1_14partition_implILS8_4ELb0ES6_15HIP_vector_typeIjLj2EENS0_17counting_iteratorIjlEEPS9_SG_NS0_5tupleIJPjSI_NS0_16reverse_iteratorISI_EEEEENSH_IJSG_SG_SG_EEES9_SI_JZNS1_25segmented_radix_sort_implINS0_14default_configELb0EPKaPaPKlPlN2at6native12_GLOBAL__N_18offset_tEEE10hipError_tPvRmT1_PNSt15iterator_traitsIS12_E10value_typeET2_T3_PNS13_IS18_E10value_typeET4_jRbjT5_S1E_jjP12ihipStream_tbEUljE_ZNSN_ISO_Lb0ESQ_SR_ST_SU_SY_EESZ_S10_S11_S12_S16_S17_S18_S1B_S1C_jS1D_jS1E_S1E_jjS1G_bEUljE0_EEESZ_S10_S11_S18_S1C_S1E_T6_T7_T9_mT8_S1G_bDpT10_ENKUlT_T0_E_clISt17integral_constantIbLb0EES1U_EEDaS1P_S1Q_EUlS1P_E_NS1_11comp_targetILNS1_3genE0ELNS1_11target_archE4294967295ELNS1_3gpuE0ELNS1_3repE0EEENS1_30default_config_static_selectorELNS0_4arch9wavefront6targetE0EEEvS12_, .Lfunc_end329-_ZN7rocprim17ROCPRIM_400000_NS6detail17trampoline_kernelINS0_13select_configILj256ELj13ELNS0_17block_load_methodE3ELS4_3ELS4_3ELNS0_20block_scan_algorithmE0ELj4294967295EEENS1_25partition_config_selectorILNS1_17partition_subalgoE4EjNS0_10empty_typeEbEEZZNS1_14partition_implILS8_4ELb0ES6_15HIP_vector_typeIjLj2EENS0_17counting_iteratorIjlEEPS9_SG_NS0_5tupleIJPjSI_NS0_16reverse_iteratorISI_EEEEENSH_IJSG_SG_SG_EEES9_SI_JZNS1_25segmented_radix_sort_implINS0_14default_configELb0EPKaPaPKlPlN2at6native12_GLOBAL__N_18offset_tEEE10hipError_tPvRmT1_PNSt15iterator_traitsIS12_E10value_typeET2_T3_PNS13_IS18_E10value_typeET4_jRbjT5_S1E_jjP12ihipStream_tbEUljE_ZNSN_ISO_Lb0ESQ_SR_ST_SU_SY_EESZ_S10_S11_S12_S16_S17_S18_S1B_S1C_jS1D_jS1E_S1E_jjS1G_bEUljE0_EEESZ_S10_S11_S18_S1C_S1E_T6_T7_T9_mT8_S1G_bDpT10_ENKUlT_T0_E_clISt17integral_constantIbLb0EES1U_EEDaS1P_S1Q_EUlS1P_E_NS1_11comp_targetILNS1_3genE0ELNS1_11target_archE4294967295ELNS1_3gpuE0ELNS1_3repE0EEENS1_30default_config_static_selectorELNS0_4arch9wavefront6targetE0EEEvS12_
                                        ; -- End function
	.section	.AMDGPU.csdata,"",@progbits
; Kernel info:
; codeLenInByte = 0
; NumSgprs: 0
; NumVgprs: 0
; ScratchSize: 0
; MemoryBound: 0
; FloatMode: 240
; IeeeMode: 1
; LDSByteSize: 0 bytes/workgroup (compile time only)
; SGPRBlocks: 0
; VGPRBlocks: 0
; NumSGPRsForWavesPerEU: 1
; NumVGPRsForWavesPerEU: 1
; Occupancy: 16
; WaveLimiterHint : 0
; COMPUTE_PGM_RSRC2:SCRATCH_EN: 0
; COMPUTE_PGM_RSRC2:USER_SGPR: 15
; COMPUTE_PGM_RSRC2:TRAP_HANDLER: 0
; COMPUTE_PGM_RSRC2:TGID_X_EN: 1
; COMPUTE_PGM_RSRC2:TGID_Y_EN: 0
; COMPUTE_PGM_RSRC2:TGID_Z_EN: 0
; COMPUTE_PGM_RSRC2:TIDIG_COMP_CNT: 0
	.section	.text._ZN7rocprim17ROCPRIM_400000_NS6detail17trampoline_kernelINS0_13select_configILj256ELj13ELNS0_17block_load_methodE3ELS4_3ELS4_3ELNS0_20block_scan_algorithmE0ELj4294967295EEENS1_25partition_config_selectorILNS1_17partition_subalgoE4EjNS0_10empty_typeEbEEZZNS1_14partition_implILS8_4ELb0ES6_15HIP_vector_typeIjLj2EENS0_17counting_iteratorIjlEEPS9_SG_NS0_5tupleIJPjSI_NS0_16reverse_iteratorISI_EEEEENSH_IJSG_SG_SG_EEES9_SI_JZNS1_25segmented_radix_sort_implINS0_14default_configELb0EPKaPaPKlPlN2at6native12_GLOBAL__N_18offset_tEEE10hipError_tPvRmT1_PNSt15iterator_traitsIS12_E10value_typeET2_T3_PNS13_IS18_E10value_typeET4_jRbjT5_S1E_jjP12ihipStream_tbEUljE_ZNSN_ISO_Lb0ESQ_SR_ST_SU_SY_EESZ_S10_S11_S12_S16_S17_S18_S1B_S1C_jS1D_jS1E_S1E_jjS1G_bEUljE0_EEESZ_S10_S11_S18_S1C_S1E_T6_T7_T9_mT8_S1G_bDpT10_ENKUlT_T0_E_clISt17integral_constantIbLb0EES1U_EEDaS1P_S1Q_EUlS1P_E_NS1_11comp_targetILNS1_3genE5ELNS1_11target_archE942ELNS1_3gpuE9ELNS1_3repE0EEENS1_30default_config_static_selectorELNS0_4arch9wavefront6targetE0EEEvS12_,"axG",@progbits,_ZN7rocprim17ROCPRIM_400000_NS6detail17trampoline_kernelINS0_13select_configILj256ELj13ELNS0_17block_load_methodE3ELS4_3ELS4_3ELNS0_20block_scan_algorithmE0ELj4294967295EEENS1_25partition_config_selectorILNS1_17partition_subalgoE4EjNS0_10empty_typeEbEEZZNS1_14partition_implILS8_4ELb0ES6_15HIP_vector_typeIjLj2EENS0_17counting_iteratorIjlEEPS9_SG_NS0_5tupleIJPjSI_NS0_16reverse_iteratorISI_EEEEENSH_IJSG_SG_SG_EEES9_SI_JZNS1_25segmented_radix_sort_implINS0_14default_configELb0EPKaPaPKlPlN2at6native12_GLOBAL__N_18offset_tEEE10hipError_tPvRmT1_PNSt15iterator_traitsIS12_E10value_typeET2_T3_PNS13_IS18_E10value_typeET4_jRbjT5_S1E_jjP12ihipStream_tbEUljE_ZNSN_ISO_Lb0ESQ_SR_ST_SU_SY_EESZ_S10_S11_S12_S16_S17_S18_S1B_S1C_jS1D_jS1E_S1E_jjS1G_bEUljE0_EEESZ_S10_S11_S18_S1C_S1E_T6_T7_T9_mT8_S1G_bDpT10_ENKUlT_T0_E_clISt17integral_constantIbLb0EES1U_EEDaS1P_S1Q_EUlS1P_E_NS1_11comp_targetILNS1_3genE5ELNS1_11target_archE942ELNS1_3gpuE9ELNS1_3repE0EEENS1_30default_config_static_selectorELNS0_4arch9wavefront6targetE0EEEvS12_,comdat
	.globl	_ZN7rocprim17ROCPRIM_400000_NS6detail17trampoline_kernelINS0_13select_configILj256ELj13ELNS0_17block_load_methodE3ELS4_3ELS4_3ELNS0_20block_scan_algorithmE0ELj4294967295EEENS1_25partition_config_selectorILNS1_17partition_subalgoE4EjNS0_10empty_typeEbEEZZNS1_14partition_implILS8_4ELb0ES6_15HIP_vector_typeIjLj2EENS0_17counting_iteratorIjlEEPS9_SG_NS0_5tupleIJPjSI_NS0_16reverse_iteratorISI_EEEEENSH_IJSG_SG_SG_EEES9_SI_JZNS1_25segmented_radix_sort_implINS0_14default_configELb0EPKaPaPKlPlN2at6native12_GLOBAL__N_18offset_tEEE10hipError_tPvRmT1_PNSt15iterator_traitsIS12_E10value_typeET2_T3_PNS13_IS18_E10value_typeET4_jRbjT5_S1E_jjP12ihipStream_tbEUljE_ZNSN_ISO_Lb0ESQ_SR_ST_SU_SY_EESZ_S10_S11_S12_S16_S17_S18_S1B_S1C_jS1D_jS1E_S1E_jjS1G_bEUljE0_EEESZ_S10_S11_S18_S1C_S1E_T6_T7_T9_mT8_S1G_bDpT10_ENKUlT_T0_E_clISt17integral_constantIbLb0EES1U_EEDaS1P_S1Q_EUlS1P_E_NS1_11comp_targetILNS1_3genE5ELNS1_11target_archE942ELNS1_3gpuE9ELNS1_3repE0EEENS1_30default_config_static_selectorELNS0_4arch9wavefront6targetE0EEEvS12_ ; -- Begin function _ZN7rocprim17ROCPRIM_400000_NS6detail17trampoline_kernelINS0_13select_configILj256ELj13ELNS0_17block_load_methodE3ELS4_3ELS4_3ELNS0_20block_scan_algorithmE0ELj4294967295EEENS1_25partition_config_selectorILNS1_17partition_subalgoE4EjNS0_10empty_typeEbEEZZNS1_14partition_implILS8_4ELb0ES6_15HIP_vector_typeIjLj2EENS0_17counting_iteratorIjlEEPS9_SG_NS0_5tupleIJPjSI_NS0_16reverse_iteratorISI_EEEEENSH_IJSG_SG_SG_EEES9_SI_JZNS1_25segmented_radix_sort_implINS0_14default_configELb0EPKaPaPKlPlN2at6native12_GLOBAL__N_18offset_tEEE10hipError_tPvRmT1_PNSt15iterator_traitsIS12_E10value_typeET2_T3_PNS13_IS18_E10value_typeET4_jRbjT5_S1E_jjP12ihipStream_tbEUljE_ZNSN_ISO_Lb0ESQ_SR_ST_SU_SY_EESZ_S10_S11_S12_S16_S17_S18_S1B_S1C_jS1D_jS1E_S1E_jjS1G_bEUljE0_EEESZ_S10_S11_S18_S1C_S1E_T6_T7_T9_mT8_S1G_bDpT10_ENKUlT_T0_E_clISt17integral_constantIbLb0EES1U_EEDaS1P_S1Q_EUlS1P_E_NS1_11comp_targetILNS1_3genE5ELNS1_11target_archE942ELNS1_3gpuE9ELNS1_3repE0EEENS1_30default_config_static_selectorELNS0_4arch9wavefront6targetE0EEEvS12_
	.p2align	8
	.type	_ZN7rocprim17ROCPRIM_400000_NS6detail17trampoline_kernelINS0_13select_configILj256ELj13ELNS0_17block_load_methodE3ELS4_3ELS4_3ELNS0_20block_scan_algorithmE0ELj4294967295EEENS1_25partition_config_selectorILNS1_17partition_subalgoE4EjNS0_10empty_typeEbEEZZNS1_14partition_implILS8_4ELb0ES6_15HIP_vector_typeIjLj2EENS0_17counting_iteratorIjlEEPS9_SG_NS0_5tupleIJPjSI_NS0_16reverse_iteratorISI_EEEEENSH_IJSG_SG_SG_EEES9_SI_JZNS1_25segmented_radix_sort_implINS0_14default_configELb0EPKaPaPKlPlN2at6native12_GLOBAL__N_18offset_tEEE10hipError_tPvRmT1_PNSt15iterator_traitsIS12_E10value_typeET2_T3_PNS13_IS18_E10value_typeET4_jRbjT5_S1E_jjP12ihipStream_tbEUljE_ZNSN_ISO_Lb0ESQ_SR_ST_SU_SY_EESZ_S10_S11_S12_S16_S17_S18_S1B_S1C_jS1D_jS1E_S1E_jjS1G_bEUljE0_EEESZ_S10_S11_S18_S1C_S1E_T6_T7_T9_mT8_S1G_bDpT10_ENKUlT_T0_E_clISt17integral_constantIbLb0EES1U_EEDaS1P_S1Q_EUlS1P_E_NS1_11comp_targetILNS1_3genE5ELNS1_11target_archE942ELNS1_3gpuE9ELNS1_3repE0EEENS1_30default_config_static_selectorELNS0_4arch9wavefront6targetE0EEEvS12_,@function
_ZN7rocprim17ROCPRIM_400000_NS6detail17trampoline_kernelINS0_13select_configILj256ELj13ELNS0_17block_load_methodE3ELS4_3ELS4_3ELNS0_20block_scan_algorithmE0ELj4294967295EEENS1_25partition_config_selectorILNS1_17partition_subalgoE4EjNS0_10empty_typeEbEEZZNS1_14partition_implILS8_4ELb0ES6_15HIP_vector_typeIjLj2EENS0_17counting_iteratorIjlEEPS9_SG_NS0_5tupleIJPjSI_NS0_16reverse_iteratorISI_EEEEENSH_IJSG_SG_SG_EEES9_SI_JZNS1_25segmented_radix_sort_implINS0_14default_configELb0EPKaPaPKlPlN2at6native12_GLOBAL__N_18offset_tEEE10hipError_tPvRmT1_PNSt15iterator_traitsIS12_E10value_typeET2_T3_PNS13_IS18_E10value_typeET4_jRbjT5_S1E_jjP12ihipStream_tbEUljE_ZNSN_ISO_Lb0ESQ_SR_ST_SU_SY_EESZ_S10_S11_S12_S16_S17_S18_S1B_S1C_jS1D_jS1E_S1E_jjS1G_bEUljE0_EEESZ_S10_S11_S18_S1C_S1E_T6_T7_T9_mT8_S1G_bDpT10_ENKUlT_T0_E_clISt17integral_constantIbLb0EES1U_EEDaS1P_S1Q_EUlS1P_E_NS1_11comp_targetILNS1_3genE5ELNS1_11target_archE942ELNS1_3gpuE9ELNS1_3repE0EEENS1_30default_config_static_selectorELNS0_4arch9wavefront6targetE0EEEvS12_: ; @_ZN7rocprim17ROCPRIM_400000_NS6detail17trampoline_kernelINS0_13select_configILj256ELj13ELNS0_17block_load_methodE3ELS4_3ELS4_3ELNS0_20block_scan_algorithmE0ELj4294967295EEENS1_25partition_config_selectorILNS1_17partition_subalgoE4EjNS0_10empty_typeEbEEZZNS1_14partition_implILS8_4ELb0ES6_15HIP_vector_typeIjLj2EENS0_17counting_iteratorIjlEEPS9_SG_NS0_5tupleIJPjSI_NS0_16reverse_iteratorISI_EEEEENSH_IJSG_SG_SG_EEES9_SI_JZNS1_25segmented_radix_sort_implINS0_14default_configELb0EPKaPaPKlPlN2at6native12_GLOBAL__N_18offset_tEEE10hipError_tPvRmT1_PNSt15iterator_traitsIS12_E10value_typeET2_T3_PNS13_IS18_E10value_typeET4_jRbjT5_S1E_jjP12ihipStream_tbEUljE_ZNSN_ISO_Lb0ESQ_SR_ST_SU_SY_EESZ_S10_S11_S12_S16_S17_S18_S1B_S1C_jS1D_jS1E_S1E_jjS1G_bEUljE0_EEESZ_S10_S11_S18_S1C_S1E_T6_T7_T9_mT8_S1G_bDpT10_ENKUlT_T0_E_clISt17integral_constantIbLb0EES1U_EEDaS1P_S1Q_EUlS1P_E_NS1_11comp_targetILNS1_3genE5ELNS1_11target_archE942ELNS1_3gpuE9ELNS1_3repE0EEENS1_30default_config_static_selectorELNS0_4arch9wavefront6targetE0EEEvS12_
; %bb.0:
	.section	.rodata,"a",@progbits
	.p2align	6, 0x0
	.amdhsa_kernel _ZN7rocprim17ROCPRIM_400000_NS6detail17trampoline_kernelINS0_13select_configILj256ELj13ELNS0_17block_load_methodE3ELS4_3ELS4_3ELNS0_20block_scan_algorithmE0ELj4294967295EEENS1_25partition_config_selectorILNS1_17partition_subalgoE4EjNS0_10empty_typeEbEEZZNS1_14partition_implILS8_4ELb0ES6_15HIP_vector_typeIjLj2EENS0_17counting_iteratorIjlEEPS9_SG_NS0_5tupleIJPjSI_NS0_16reverse_iteratorISI_EEEEENSH_IJSG_SG_SG_EEES9_SI_JZNS1_25segmented_radix_sort_implINS0_14default_configELb0EPKaPaPKlPlN2at6native12_GLOBAL__N_18offset_tEEE10hipError_tPvRmT1_PNSt15iterator_traitsIS12_E10value_typeET2_T3_PNS13_IS18_E10value_typeET4_jRbjT5_S1E_jjP12ihipStream_tbEUljE_ZNSN_ISO_Lb0ESQ_SR_ST_SU_SY_EESZ_S10_S11_S12_S16_S17_S18_S1B_S1C_jS1D_jS1E_S1E_jjS1G_bEUljE0_EEESZ_S10_S11_S18_S1C_S1E_T6_T7_T9_mT8_S1G_bDpT10_ENKUlT_T0_E_clISt17integral_constantIbLb0EES1U_EEDaS1P_S1Q_EUlS1P_E_NS1_11comp_targetILNS1_3genE5ELNS1_11target_archE942ELNS1_3gpuE9ELNS1_3repE0EEENS1_30default_config_static_selectorELNS0_4arch9wavefront6targetE0EEEvS12_
		.amdhsa_group_segment_fixed_size 0
		.amdhsa_private_segment_fixed_size 0
		.amdhsa_kernarg_size 176
		.amdhsa_user_sgpr_count 15
		.amdhsa_user_sgpr_dispatch_ptr 0
		.amdhsa_user_sgpr_queue_ptr 0
		.amdhsa_user_sgpr_kernarg_segment_ptr 1
		.amdhsa_user_sgpr_dispatch_id 0
		.amdhsa_user_sgpr_private_segment_size 0
		.amdhsa_wavefront_size32 1
		.amdhsa_uses_dynamic_stack 0
		.amdhsa_enable_private_segment 0
		.amdhsa_system_sgpr_workgroup_id_x 1
		.amdhsa_system_sgpr_workgroup_id_y 0
		.amdhsa_system_sgpr_workgroup_id_z 0
		.amdhsa_system_sgpr_workgroup_info 0
		.amdhsa_system_vgpr_workitem_id 0
		.amdhsa_next_free_vgpr 1
		.amdhsa_next_free_sgpr 1
		.amdhsa_reserve_vcc 0
		.amdhsa_float_round_mode_32 0
		.amdhsa_float_round_mode_16_64 0
		.amdhsa_float_denorm_mode_32 3
		.amdhsa_float_denorm_mode_16_64 3
		.amdhsa_dx10_clamp 1
		.amdhsa_ieee_mode 1
		.amdhsa_fp16_overflow 0
		.amdhsa_workgroup_processor_mode 1
		.amdhsa_memory_ordered 1
		.amdhsa_forward_progress 0
		.amdhsa_shared_vgpr_count 0
		.amdhsa_exception_fp_ieee_invalid_op 0
		.amdhsa_exception_fp_denorm_src 0
		.amdhsa_exception_fp_ieee_div_zero 0
		.amdhsa_exception_fp_ieee_overflow 0
		.amdhsa_exception_fp_ieee_underflow 0
		.amdhsa_exception_fp_ieee_inexact 0
		.amdhsa_exception_int_div_zero 0
	.end_amdhsa_kernel
	.section	.text._ZN7rocprim17ROCPRIM_400000_NS6detail17trampoline_kernelINS0_13select_configILj256ELj13ELNS0_17block_load_methodE3ELS4_3ELS4_3ELNS0_20block_scan_algorithmE0ELj4294967295EEENS1_25partition_config_selectorILNS1_17partition_subalgoE4EjNS0_10empty_typeEbEEZZNS1_14partition_implILS8_4ELb0ES6_15HIP_vector_typeIjLj2EENS0_17counting_iteratorIjlEEPS9_SG_NS0_5tupleIJPjSI_NS0_16reverse_iteratorISI_EEEEENSH_IJSG_SG_SG_EEES9_SI_JZNS1_25segmented_radix_sort_implINS0_14default_configELb0EPKaPaPKlPlN2at6native12_GLOBAL__N_18offset_tEEE10hipError_tPvRmT1_PNSt15iterator_traitsIS12_E10value_typeET2_T3_PNS13_IS18_E10value_typeET4_jRbjT5_S1E_jjP12ihipStream_tbEUljE_ZNSN_ISO_Lb0ESQ_SR_ST_SU_SY_EESZ_S10_S11_S12_S16_S17_S18_S1B_S1C_jS1D_jS1E_S1E_jjS1G_bEUljE0_EEESZ_S10_S11_S18_S1C_S1E_T6_T7_T9_mT8_S1G_bDpT10_ENKUlT_T0_E_clISt17integral_constantIbLb0EES1U_EEDaS1P_S1Q_EUlS1P_E_NS1_11comp_targetILNS1_3genE5ELNS1_11target_archE942ELNS1_3gpuE9ELNS1_3repE0EEENS1_30default_config_static_selectorELNS0_4arch9wavefront6targetE0EEEvS12_,"axG",@progbits,_ZN7rocprim17ROCPRIM_400000_NS6detail17trampoline_kernelINS0_13select_configILj256ELj13ELNS0_17block_load_methodE3ELS4_3ELS4_3ELNS0_20block_scan_algorithmE0ELj4294967295EEENS1_25partition_config_selectorILNS1_17partition_subalgoE4EjNS0_10empty_typeEbEEZZNS1_14partition_implILS8_4ELb0ES6_15HIP_vector_typeIjLj2EENS0_17counting_iteratorIjlEEPS9_SG_NS0_5tupleIJPjSI_NS0_16reverse_iteratorISI_EEEEENSH_IJSG_SG_SG_EEES9_SI_JZNS1_25segmented_radix_sort_implINS0_14default_configELb0EPKaPaPKlPlN2at6native12_GLOBAL__N_18offset_tEEE10hipError_tPvRmT1_PNSt15iterator_traitsIS12_E10value_typeET2_T3_PNS13_IS18_E10value_typeET4_jRbjT5_S1E_jjP12ihipStream_tbEUljE_ZNSN_ISO_Lb0ESQ_SR_ST_SU_SY_EESZ_S10_S11_S12_S16_S17_S18_S1B_S1C_jS1D_jS1E_S1E_jjS1G_bEUljE0_EEESZ_S10_S11_S18_S1C_S1E_T6_T7_T9_mT8_S1G_bDpT10_ENKUlT_T0_E_clISt17integral_constantIbLb0EES1U_EEDaS1P_S1Q_EUlS1P_E_NS1_11comp_targetILNS1_3genE5ELNS1_11target_archE942ELNS1_3gpuE9ELNS1_3repE0EEENS1_30default_config_static_selectorELNS0_4arch9wavefront6targetE0EEEvS12_,comdat
.Lfunc_end330:
	.size	_ZN7rocprim17ROCPRIM_400000_NS6detail17trampoline_kernelINS0_13select_configILj256ELj13ELNS0_17block_load_methodE3ELS4_3ELS4_3ELNS0_20block_scan_algorithmE0ELj4294967295EEENS1_25partition_config_selectorILNS1_17partition_subalgoE4EjNS0_10empty_typeEbEEZZNS1_14partition_implILS8_4ELb0ES6_15HIP_vector_typeIjLj2EENS0_17counting_iteratorIjlEEPS9_SG_NS0_5tupleIJPjSI_NS0_16reverse_iteratorISI_EEEEENSH_IJSG_SG_SG_EEES9_SI_JZNS1_25segmented_radix_sort_implINS0_14default_configELb0EPKaPaPKlPlN2at6native12_GLOBAL__N_18offset_tEEE10hipError_tPvRmT1_PNSt15iterator_traitsIS12_E10value_typeET2_T3_PNS13_IS18_E10value_typeET4_jRbjT5_S1E_jjP12ihipStream_tbEUljE_ZNSN_ISO_Lb0ESQ_SR_ST_SU_SY_EESZ_S10_S11_S12_S16_S17_S18_S1B_S1C_jS1D_jS1E_S1E_jjS1G_bEUljE0_EEESZ_S10_S11_S18_S1C_S1E_T6_T7_T9_mT8_S1G_bDpT10_ENKUlT_T0_E_clISt17integral_constantIbLb0EES1U_EEDaS1P_S1Q_EUlS1P_E_NS1_11comp_targetILNS1_3genE5ELNS1_11target_archE942ELNS1_3gpuE9ELNS1_3repE0EEENS1_30default_config_static_selectorELNS0_4arch9wavefront6targetE0EEEvS12_, .Lfunc_end330-_ZN7rocprim17ROCPRIM_400000_NS6detail17trampoline_kernelINS0_13select_configILj256ELj13ELNS0_17block_load_methodE3ELS4_3ELS4_3ELNS0_20block_scan_algorithmE0ELj4294967295EEENS1_25partition_config_selectorILNS1_17partition_subalgoE4EjNS0_10empty_typeEbEEZZNS1_14partition_implILS8_4ELb0ES6_15HIP_vector_typeIjLj2EENS0_17counting_iteratorIjlEEPS9_SG_NS0_5tupleIJPjSI_NS0_16reverse_iteratorISI_EEEEENSH_IJSG_SG_SG_EEES9_SI_JZNS1_25segmented_radix_sort_implINS0_14default_configELb0EPKaPaPKlPlN2at6native12_GLOBAL__N_18offset_tEEE10hipError_tPvRmT1_PNSt15iterator_traitsIS12_E10value_typeET2_T3_PNS13_IS18_E10value_typeET4_jRbjT5_S1E_jjP12ihipStream_tbEUljE_ZNSN_ISO_Lb0ESQ_SR_ST_SU_SY_EESZ_S10_S11_S12_S16_S17_S18_S1B_S1C_jS1D_jS1E_S1E_jjS1G_bEUljE0_EEESZ_S10_S11_S18_S1C_S1E_T6_T7_T9_mT8_S1G_bDpT10_ENKUlT_T0_E_clISt17integral_constantIbLb0EES1U_EEDaS1P_S1Q_EUlS1P_E_NS1_11comp_targetILNS1_3genE5ELNS1_11target_archE942ELNS1_3gpuE9ELNS1_3repE0EEENS1_30default_config_static_selectorELNS0_4arch9wavefront6targetE0EEEvS12_
                                        ; -- End function
	.section	.AMDGPU.csdata,"",@progbits
; Kernel info:
; codeLenInByte = 0
; NumSgprs: 0
; NumVgprs: 0
; ScratchSize: 0
; MemoryBound: 0
; FloatMode: 240
; IeeeMode: 1
; LDSByteSize: 0 bytes/workgroup (compile time only)
; SGPRBlocks: 0
; VGPRBlocks: 0
; NumSGPRsForWavesPerEU: 1
; NumVGPRsForWavesPerEU: 1
; Occupancy: 16
; WaveLimiterHint : 0
; COMPUTE_PGM_RSRC2:SCRATCH_EN: 0
; COMPUTE_PGM_RSRC2:USER_SGPR: 15
; COMPUTE_PGM_RSRC2:TRAP_HANDLER: 0
; COMPUTE_PGM_RSRC2:TGID_X_EN: 1
; COMPUTE_PGM_RSRC2:TGID_Y_EN: 0
; COMPUTE_PGM_RSRC2:TGID_Z_EN: 0
; COMPUTE_PGM_RSRC2:TIDIG_COMP_CNT: 0
	.section	.text._ZN7rocprim17ROCPRIM_400000_NS6detail17trampoline_kernelINS0_13select_configILj256ELj13ELNS0_17block_load_methodE3ELS4_3ELS4_3ELNS0_20block_scan_algorithmE0ELj4294967295EEENS1_25partition_config_selectorILNS1_17partition_subalgoE4EjNS0_10empty_typeEbEEZZNS1_14partition_implILS8_4ELb0ES6_15HIP_vector_typeIjLj2EENS0_17counting_iteratorIjlEEPS9_SG_NS0_5tupleIJPjSI_NS0_16reverse_iteratorISI_EEEEENSH_IJSG_SG_SG_EEES9_SI_JZNS1_25segmented_radix_sort_implINS0_14default_configELb0EPKaPaPKlPlN2at6native12_GLOBAL__N_18offset_tEEE10hipError_tPvRmT1_PNSt15iterator_traitsIS12_E10value_typeET2_T3_PNS13_IS18_E10value_typeET4_jRbjT5_S1E_jjP12ihipStream_tbEUljE_ZNSN_ISO_Lb0ESQ_SR_ST_SU_SY_EESZ_S10_S11_S12_S16_S17_S18_S1B_S1C_jS1D_jS1E_S1E_jjS1G_bEUljE0_EEESZ_S10_S11_S18_S1C_S1E_T6_T7_T9_mT8_S1G_bDpT10_ENKUlT_T0_E_clISt17integral_constantIbLb0EES1U_EEDaS1P_S1Q_EUlS1P_E_NS1_11comp_targetILNS1_3genE4ELNS1_11target_archE910ELNS1_3gpuE8ELNS1_3repE0EEENS1_30default_config_static_selectorELNS0_4arch9wavefront6targetE0EEEvS12_,"axG",@progbits,_ZN7rocprim17ROCPRIM_400000_NS6detail17trampoline_kernelINS0_13select_configILj256ELj13ELNS0_17block_load_methodE3ELS4_3ELS4_3ELNS0_20block_scan_algorithmE0ELj4294967295EEENS1_25partition_config_selectorILNS1_17partition_subalgoE4EjNS0_10empty_typeEbEEZZNS1_14partition_implILS8_4ELb0ES6_15HIP_vector_typeIjLj2EENS0_17counting_iteratorIjlEEPS9_SG_NS0_5tupleIJPjSI_NS0_16reverse_iteratorISI_EEEEENSH_IJSG_SG_SG_EEES9_SI_JZNS1_25segmented_radix_sort_implINS0_14default_configELb0EPKaPaPKlPlN2at6native12_GLOBAL__N_18offset_tEEE10hipError_tPvRmT1_PNSt15iterator_traitsIS12_E10value_typeET2_T3_PNS13_IS18_E10value_typeET4_jRbjT5_S1E_jjP12ihipStream_tbEUljE_ZNSN_ISO_Lb0ESQ_SR_ST_SU_SY_EESZ_S10_S11_S12_S16_S17_S18_S1B_S1C_jS1D_jS1E_S1E_jjS1G_bEUljE0_EEESZ_S10_S11_S18_S1C_S1E_T6_T7_T9_mT8_S1G_bDpT10_ENKUlT_T0_E_clISt17integral_constantIbLb0EES1U_EEDaS1P_S1Q_EUlS1P_E_NS1_11comp_targetILNS1_3genE4ELNS1_11target_archE910ELNS1_3gpuE8ELNS1_3repE0EEENS1_30default_config_static_selectorELNS0_4arch9wavefront6targetE0EEEvS12_,comdat
	.globl	_ZN7rocprim17ROCPRIM_400000_NS6detail17trampoline_kernelINS0_13select_configILj256ELj13ELNS0_17block_load_methodE3ELS4_3ELS4_3ELNS0_20block_scan_algorithmE0ELj4294967295EEENS1_25partition_config_selectorILNS1_17partition_subalgoE4EjNS0_10empty_typeEbEEZZNS1_14partition_implILS8_4ELb0ES6_15HIP_vector_typeIjLj2EENS0_17counting_iteratorIjlEEPS9_SG_NS0_5tupleIJPjSI_NS0_16reverse_iteratorISI_EEEEENSH_IJSG_SG_SG_EEES9_SI_JZNS1_25segmented_radix_sort_implINS0_14default_configELb0EPKaPaPKlPlN2at6native12_GLOBAL__N_18offset_tEEE10hipError_tPvRmT1_PNSt15iterator_traitsIS12_E10value_typeET2_T3_PNS13_IS18_E10value_typeET4_jRbjT5_S1E_jjP12ihipStream_tbEUljE_ZNSN_ISO_Lb0ESQ_SR_ST_SU_SY_EESZ_S10_S11_S12_S16_S17_S18_S1B_S1C_jS1D_jS1E_S1E_jjS1G_bEUljE0_EEESZ_S10_S11_S18_S1C_S1E_T6_T7_T9_mT8_S1G_bDpT10_ENKUlT_T0_E_clISt17integral_constantIbLb0EES1U_EEDaS1P_S1Q_EUlS1P_E_NS1_11comp_targetILNS1_3genE4ELNS1_11target_archE910ELNS1_3gpuE8ELNS1_3repE0EEENS1_30default_config_static_selectorELNS0_4arch9wavefront6targetE0EEEvS12_ ; -- Begin function _ZN7rocprim17ROCPRIM_400000_NS6detail17trampoline_kernelINS0_13select_configILj256ELj13ELNS0_17block_load_methodE3ELS4_3ELS4_3ELNS0_20block_scan_algorithmE0ELj4294967295EEENS1_25partition_config_selectorILNS1_17partition_subalgoE4EjNS0_10empty_typeEbEEZZNS1_14partition_implILS8_4ELb0ES6_15HIP_vector_typeIjLj2EENS0_17counting_iteratorIjlEEPS9_SG_NS0_5tupleIJPjSI_NS0_16reverse_iteratorISI_EEEEENSH_IJSG_SG_SG_EEES9_SI_JZNS1_25segmented_radix_sort_implINS0_14default_configELb0EPKaPaPKlPlN2at6native12_GLOBAL__N_18offset_tEEE10hipError_tPvRmT1_PNSt15iterator_traitsIS12_E10value_typeET2_T3_PNS13_IS18_E10value_typeET4_jRbjT5_S1E_jjP12ihipStream_tbEUljE_ZNSN_ISO_Lb0ESQ_SR_ST_SU_SY_EESZ_S10_S11_S12_S16_S17_S18_S1B_S1C_jS1D_jS1E_S1E_jjS1G_bEUljE0_EEESZ_S10_S11_S18_S1C_S1E_T6_T7_T9_mT8_S1G_bDpT10_ENKUlT_T0_E_clISt17integral_constantIbLb0EES1U_EEDaS1P_S1Q_EUlS1P_E_NS1_11comp_targetILNS1_3genE4ELNS1_11target_archE910ELNS1_3gpuE8ELNS1_3repE0EEENS1_30default_config_static_selectorELNS0_4arch9wavefront6targetE0EEEvS12_
	.p2align	8
	.type	_ZN7rocprim17ROCPRIM_400000_NS6detail17trampoline_kernelINS0_13select_configILj256ELj13ELNS0_17block_load_methodE3ELS4_3ELS4_3ELNS0_20block_scan_algorithmE0ELj4294967295EEENS1_25partition_config_selectorILNS1_17partition_subalgoE4EjNS0_10empty_typeEbEEZZNS1_14partition_implILS8_4ELb0ES6_15HIP_vector_typeIjLj2EENS0_17counting_iteratorIjlEEPS9_SG_NS0_5tupleIJPjSI_NS0_16reverse_iteratorISI_EEEEENSH_IJSG_SG_SG_EEES9_SI_JZNS1_25segmented_radix_sort_implINS0_14default_configELb0EPKaPaPKlPlN2at6native12_GLOBAL__N_18offset_tEEE10hipError_tPvRmT1_PNSt15iterator_traitsIS12_E10value_typeET2_T3_PNS13_IS18_E10value_typeET4_jRbjT5_S1E_jjP12ihipStream_tbEUljE_ZNSN_ISO_Lb0ESQ_SR_ST_SU_SY_EESZ_S10_S11_S12_S16_S17_S18_S1B_S1C_jS1D_jS1E_S1E_jjS1G_bEUljE0_EEESZ_S10_S11_S18_S1C_S1E_T6_T7_T9_mT8_S1G_bDpT10_ENKUlT_T0_E_clISt17integral_constantIbLb0EES1U_EEDaS1P_S1Q_EUlS1P_E_NS1_11comp_targetILNS1_3genE4ELNS1_11target_archE910ELNS1_3gpuE8ELNS1_3repE0EEENS1_30default_config_static_selectorELNS0_4arch9wavefront6targetE0EEEvS12_,@function
_ZN7rocprim17ROCPRIM_400000_NS6detail17trampoline_kernelINS0_13select_configILj256ELj13ELNS0_17block_load_methodE3ELS4_3ELS4_3ELNS0_20block_scan_algorithmE0ELj4294967295EEENS1_25partition_config_selectorILNS1_17partition_subalgoE4EjNS0_10empty_typeEbEEZZNS1_14partition_implILS8_4ELb0ES6_15HIP_vector_typeIjLj2EENS0_17counting_iteratorIjlEEPS9_SG_NS0_5tupleIJPjSI_NS0_16reverse_iteratorISI_EEEEENSH_IJSG_SG_SG_EEES9_SI_JZNS1_25segmented_radix_sort_implINS0_14default_configELb0EPKaPaPKlPlN2at6native12_GLOBAL__N_18offset_tEEE10hipError_tPvRmT1_PNSt15iterator_traitsIS12_E10value_typeET2_T3_PNS13_IS18_E10value_typeET4_jRbjT5_S1E_jjP12ihipStream_tbEUljE_ZNSN_ISO_Lb0ESQ_SR_ST_SU_SY_EESZ_S10_S11_S12_S16_S17_S18_S1B_S1C_jS1D_jS1E_S1E_jjS1G_bEUljE0_EEESZ_S10_S11_S18_S1C_S1E_T6_T7_T9_mT8_S1G_bDpT10_ENKUlT_T0_E_clISt17integral_constantIbLb0EES1U_EEDaS1P_S1Q_EUlS1P_E_NS1_11comp_targetILNS1_3genE4ELNS1_11target_archE910ELNS1_3gpuE8ELNS1_3repE0EEENS1_30default_config_static_selectorELNS0_4arch9wavefront6targetE0EEEvS12_: ; @_ZN7rocprim17ROCPRIM_400000_NS6detail17trampoline_kernelINS0_13select_configILj256ELj13ELNS0_17block_load_methodE3ELS4_3ELS4_3ELNS0_20block_scan_algorithmE0ELj4294967295EEENS1_25partition_config_selectorILNS1_17partition_subalgoE4EjNS0_10empty_typeEbEEZZNS1_14partition_implILS8_4ELb0ES6_15HIP_vector_typeIjLj2EENS0_17counting_iteratorIjlEEPS9_SG_NS0_5tupleIJPjSI_NS0_16reverse_iteratorISI_EEEEENSH_IJSG_SG_SG_EEES9_SI_JZNS1_25segmented_radix_sort_implINS0_14default_configELb0EPKaPaPKlPlN2at6native12_GLOBAL__N_18offset_tEEE10hipError_tPvRmT1_PNSt15iterator_traitsIS12_E10value_typeET2_T3_PNS13_IS18_E10value_typeET4_jRbjT5_S1E_jjP12ihipStream_tbEUljE_ZNSN_ISO_Lb0ESQ_SR_ST_SU_SY_EESZ_S10_S11_S12_S16_S17_S18_S1B_S1C_jS1D_jS1E_S1E_jjS1G_bEUljE0_EEESZ_S10_S11_S18_S1C_S1E_T6_T7_T9_mT8_S1G_bDpT10_ENKUlT_T0_E_clISt17integral_constantIbLb0EES1U_EEDaS1P_S1Q_EUlS1P_E_NS1_11comp_targetILNS1_3genE4ELNS1_11target_archE910ELNS1_3gpuE8ELNS1_3repE0EEENS1_30default_config_static_selectorELNS0_4arch9wavefront6targetE0EEEvS12_
; %bb.0:
	.section	.rodata,"a",@progbits
	.p2align	6, 0x0
	.amdhsa_kernel _ZN7rocprim17ROCPRIM_400000_NS6detail17trampoline_kernelINS0_13select_configILj256ELj13ELNS0_17block_load_methodE3ELS4_3ELS4_3ELNS0_20block_scan_algorithmE0ELj4294967295EEENS1_25partition_config_selectorILNS1_17partition_subalgoE4EjNS0_10empty_typeEbEEZZNS1_14partition_implILS8_4ELb0ES6_15HIP_vector_typeIjLj2EENS0_17counting_iteratorIjlEEPS9_SG_NS0_5tupleIJPjSI_NS0_16reverse_iteratorISI_EEEEENSH_IJSG_SG_SG_EEES9_SI_JZNS1_25segmented_radix_sort_implINS0_14default_configELb0EPKaPaPKlPlN2at6native12_GLOBAL__N_18offset_tEEE10hipError_tPvRmT1_PNSt15iterator_traitsIS12_E10value_typeET2_T3_PNS13_IS18_E10value_typeET4_jRbjT5_S1E_jjP12ihipStream_tbEUljE_ZNSN_ISO_Lb0ESQ_SR_ST_SU_SY_EESZ_S10_S11_S12_S16_S17_S18_S1B_S1C_jS1D_jS1E_S1E_jjS1G_bEUljE0_EEESZ_S10_S11_S18_S1C_S1E_T6_T7_T9_mT8_S1G_bDpT10_ENKUlT_T0_E_clISt17integral_constantIbLb0EES1U_EEDaS1P_S1Q_EUlS1P_E_NS1_11comp_targetILNS1_3genE4ELNS1_11target_archE910ELNS1_3gpuE8ELNS1_3repE0EEENS1_30default_config_static_selectorELNS0_4arch9wavefront6targetE0EEEvS12_
		.amdhsa_group_segment_fixed_size 0
		.amdhsa_private_segment_fixed_size 0
		.amdhsa_kernarg_size 176
		.amdhsa_user_sgpr_count 15
		.amdhsa_user_sgpr_dispatch_ptr 0
		.amdhsa_user_sgpr_queue_ptr 0
		.amdhsa_user_sgpr_kernarg_segment_ptr 1
		.amdhsa_user_sgpr_dispatch_id 0
		.amdhsa_user_sgpr_private_segment_size 0
		.amdhsa_wavefront_size32 1
		.amdhsa_uses_dynamic_stack 0
		.amdhsa_enable_private_segment 0
		.amdhsa_system_sgpr_workgroup_id_x 1
		.amdhsa_system_sgpr_workgroup_id_y 0
		.amdhsa_system_sgpr_workgroup_id_z 0
		.amdhsa_system_sgpr_workgroup_info 0
		.amdhsa_system_vgpr_workitem_id 0
		.amdhsa_next_free_vgpr 1
		.amdhsa_next_free_sgpr 1
		.amdhsa_reserve_vcc 0
		.amdhsa_float_round_mode_32 0
		.amdhsa_float_round_mode_16_64 0
		.amdhsa_float_denorm_mode_32 3
		.amdhsa_float_denorm_mode_16_64 3
		.amdhsa_dx10_clamp 1
		.amdhsa_ieee_mode 1
		.amdhsa_fp16_overflow 0
		.amdhsa_workgroup_processor_mode 1
		.amdhsa_memory_ordered 1
		.amdhsa_forward_progress 0
		.amdhsa_shared_vgpr_count 0
		.amdhsa_exception_fp_ieee_invalid_op 0
		.amdhsa_exception_fp_denorm_src 0
		.amdhsa_exception_fp_ieee_div_zero 0
		.amdhsa_exception_fp_ieee_overflow 0
		.amdhsa_exception_fp_ieee_underflow 0
		.amdhsa_exception_fp_ieee_inexact 0
		.amdhsa_exception_int_div_zero 0
	.end_amdhsa_kernel
	.section	.text._ZN7rocprim17ROCPRIM_400000_NS6detail17trampoline_kernelINS0_13select_configILj256ELj13ELNS0_17block_load_methodE3ELS4_3ELS4_3ELNS0_20block_scan_algorithmE0ELj4294967295EEENS1_25partition_config_selectorILNS1_17partition_subalgoE4EjNS0_10empty_typeEbEEZZNS1_14partition_implILS8_4ELb0ES6_15HIP_vector_typeIjLj2EENS0_17counting_iteratorIjlEEPS9_SG_NS0_5tupleIJPjSI_NS0_16reverse_iteratorISI_EEEEENSH_IJSG_SG_SG_EEES9_SI_JZNS1_25segmented_radix_sort_implINS0_14default_configELb0EPKaPaPKlPlN2at6native12_GLOBAL__N_18offset_tEEE10hipError_tPvRmT1_PNSt15iterator_traitsIS12_E10value_typeET2_T3_PNS13_IS18_E10value_typeET4_jRbjT5_S1E_jjP12ihipStream_tbEUljE_ZNSN_ISO_Lb0ESQ_SR_ST_SU_SY_EESZ_S10_S11_S12_S16_S17_S18_S1B_S1C_jS1D_jS1E_S1E_jjS1G_bEUljE0_EEESZ_S10_S11_S18_S1C_S1E_T6_T7_T9_mT8_S1G_bDpT10_ENKUlT_T0_E_clISt17integral_constantIbLb0EES1U_EEDaS1P_S1Q_EUlS1P_E_NS1_11comp_targetILNS1_3genE4ELNS1_11target_archE910ELNS1_3gpuE8ELNS1_3repE0EEENS1_30default_config_static_selectorELNS0_4arch9wavefront6targetE0EEEvS12_,"axG",@progbits,_ZN7rocprim17ROCPRIM_400000_NS6detail17trampoline_kernelINS0_13select_configILj256ELj13ELNS0_17block_load_methodE3ELS4_3ELS4_3ELNS0_20block_scan_algorithmE0ELj4294967295EEENS1_25partition_config_selectorILNS1_17partition_subalgoE4EjNS0_10empty_typeEbEEZZNS1_14partition_implILS8_4ELb0ES6_15HIP_vector_typeIjLj2EENS0_17counting_iteratorIjlEEPS9_SG_NS0_5tupleIJPjSI_NS0_16reverse_iteratorISI_EEEEENSH_IJSG_SG_SG_EEES9_SI_JZNS1_25segmented_radix_sort_implINS0_14default_configELb0EPKaPaPKlPlN2at6native12_GLOBAL__N_18offset_tEEE10hipError_tPvRmT1_PNSt15iterator_traitsIS12_E10value_typeET2_T3_PNS13_IS18_E10value_typeET4_jRbjT5_S1E_jjP12ihipStream_tbEUljE_ZNSN_ISO_Lb0ESQ_SR_ST_SU_SY_EESZ_S10_S11_S12_S16_S17_S18_S1B_S1C_jS1D_jS1E_S1E_jjS1G_bEUljE0_EEESZ_S10_S11_S18_S1C_S1E_T6_T7_T9_mT8_S1G_bDpT10_ENKUlT_T0_E_clISt17integral_constantIbLb0EES1U_EEDaS1P_S1Q_EUlS1P_E_NS1_11comp_targetILNS1_3genE4ELNS1_11target_archE910ELNS1_3gpuE8ELNS1_3repE0EEENS1_30default_config_static_selectorELNS0_4arch9wavefront6targetE0EEEvS12_,comdat
.Lfunc_end331:
	.size	_ZN7rocprim17ROCPRIM_400000_NS6detail17trampoline_kernelINS0_13select_configILj256ELj13ELNS0_17block_load_methodE3ELS4_3ELS4_3ELNS0_20block_scan_algorithmE0ELj4294967295EEENS1_25partition_config_selectorILNS1_17partition_subalgoE4EjNS0_10empty_typeEbEEZZNS1_14partition_implILS8_4ELb0ES6_15HIP_vector_typeIjLj2EENS0_17counting_iteratorIjlEEPS9_SG_NS0_5tupleIJPjSI_NS0_16reverse_iteratorISI_EEEEENSH_IJSG_SG_SG_EEES9_SI_JZNS1_25segmented_radix_sort_implINS0_14default_configELb0EPKaPaPKlPlN2at6native12_GLOBAL__N_18offset_tEEE10hipError_tPvRmT1_PNSt15iterator_traitsIS12_E10value_typeET2_T3_PNS13_IS18_E10value_typeET4_jRbjT5_S1E_jjP12ihipStream_tbEUljE_ZNSN_ISO_Lb0ESQ_SR_ST_SU_SY_EESZ_S10_S11_S12_S16_S17_S18_S1B_S1C_jS1D_jS1E_S1E_jjS1G_bEUljE0_EEESZ_S10_S11_S18_S1C_S1E_T6_T7_T9_mT8_S1G_bDpT10_ENKUlT_T0_E_clISt17integral_constantIbLb0EES1U_EEDaS1P_S1Q_EUlS1P_E_NS1_11comp_targetILNS1_3genE4ELNS1_11target_archE910ELNS1_3gpuE8ELNS1_3repE0EEENS1_30default_config_static_selectorELNS0_4arch9wavefront6targetE0EEEvS12_, .Lfunc_end331-_ZN7rocprim17ROCPRIM_400000_NS6detail17trampoline_kernelINS0_13select_configILj256ELj13ELNS0_17block_load_methodE3ELS4_3ELS4_3ELNS0_20block_scan_algorithmE0ELj4294967295EEENS1_25partition_config_selectorILNS1_17partition_subalgoE4EjNS0_10empty_typeEbEEZZNS1_14partition_implILS8_4ELb0ES6_15HIP_vector_typeIjLj2EENS0_17counting_iteratorIjlEEPS9_SG_NS0_5tupleIJPjSI_NS0_16reverse_iteratorISI_EEEEENSH_IJSG_SG_SG_EEES9_SI_JZNS1_25segmented_radix_sort_implINS0_14default_configELb0EPKaPaPKlPlN2at6native12_GLOBAL__N_18offset_tEEE10hipError_tPvRmT1_PNSt15iterator_traitsIS12_E10value_typeET2_T3_PNS13_IS18_E10value_typeET4_jRbjT5_S1E_jjP12ihipStream_tbEUljE_ZNSN_ISO_Lb0ESQ_SR_ST_SU_SY_EESZ_S10_S11_S12_S16_S17_S18_S1B_S1C_jS1D_jS1E_S1E_jjS1G_bEUljE0_EEESZ_S10_S11_S18_S1C_S1E_T6_T7_T9_mT8_S1G_bDpT10_ENKUlT_T0_E_clISt17integral_constantIbLb0EES1U_EEDaS1P_S1Q_EUlS1P_E_NS1_11comp_targetILNS1_3genE4ELNS1_11target_archE910ELNS1_3gpuE8ELNS1_3repE0EEENS1_30default_config_static_selectorELNS0_4arch9wavefront6targetE0EEEvS12_
                                        ; -- End function
	.section	.AMDGPU.csdata,"",@progbits
; Kernel info:
; codeLenInByte = 0
; NumSgprs: 0
; NumVgprs: 0
; ScratchSize: 0
; MemoryBound: 0
; FloatMode: 240
; IeeeMode: 1
; LDSByteSize: 0 bytes/workgroup (compile time only)
; SGPRBlocks: 0
; VGPRBlocks: 0
; NumSGPRsForWavesPerEU: 1
; NumVGPRsForWavesPerEU: 1
; Occupancy: 16
; WaveLimiterHint : 0
; COMPUTE_PGM_RSRC2:SCRATCH_EN: 0
; COMPUTE_PGM_RSRC2:USER_SGPR: 15
; COMPUTE_PGM_RSRC2:TRAP_HANDLER: 0
; COMPUTE_PGM_RSRC2:TGID_X_EN: 1
; COMPUTE_PGM_RSRC2:TGID_Y_EN: 0
; COMPUTE_PGM_RSRC2:TGID_Z_EN: 0
; COMPUTE_PGM_RSRC2:TIDIG_COMP_CNT: 0
	.section	.text._ZN7rocprim17ROCPRIM_400000_NS6detail17trampoline_kernelINS0_13select_configILj256ELj13ELNS0_17block_load_methodE3ELS4_3ELS4_3ELNS0_20block_scan_algorithmE0ELj4294967295EEENS1_25partition_config_selectorILNS1_17partition_subalgoE4EjNS0_10empty_typeEbEEZZNS1_14partition_implILS8_4ELb0ES6_15HIP_vector_typeIjLj2EENS0_17counting_iteratorIjlEEPS9_SG_NS0_5tupleIJPjSI_NS0_16reverse_iteratorISI_EEEEENSH_IJSG_SG_SG_EEES9_SI_JZNS1_25segmented_radix_sort_implINS0_14default_configELb0EPKaPaPKlPlN2at6native12_GLOBAL__N_18offset_tEEE10hipError_tPvRmT1_PNSt15iterator_traitsIS12_E10value_typeET2_T3_PNS13_IS18_E10value_typeET4_jRbjT5_S1E_jjP12ihipStream_tbEUljE_ZNSN_ISO_Lb0ESQ_SR_ST_SU_SY_EESZ_S10_S11_S12_S16_S17_S18_S1B_S1C_jS1D_jS1E_S1E_jjS1G_bEUljE0_EEESZ_S10_S11_S18_S1C_S1E_T6_T7_T9_mT8_S1G_bDpT10_ENKUlT_T0_E_clISt17integral_constantIbLb0EES1U_EEDaS1P_S1Q_EUlS1P_E_NS1_11comp_targetILNS1_3genE3ELNS1_11target_archE908ELNS1_3gpuE7ELNS1_3repE0EEENS1_30default_config_static_selectorELNS0_4arch9wavefront6targetE0EEEvS12_,"axG",@progbits,_ZN7rocprim17ROCPRIM_400000_NS6detail17trampoline_kernelINS0_13select_configILj256ELj13ELNS0_17block_load_methodE3ELS4_3ELS4_3ELNS0_20block_scan_algorithmE0ELj4294967295EEENS1_25partition_config_selectorILNS1_17partition_subalgoE4EjNS0_10empty_typeEbEEZZNS1_14partition_implILS8_4ELb0ES6_15HIP_vector_typeIjLj2EENS0_17counting_iteratorIjlEEPS9_SG_NS0_5tupleIJPjSI_NS0_16reverse_iteratorISI_EEEEENSH_IJSG_SG_SG_EEES9_SI_JZNS1_25segmented_radix_sort_implINS0_14default_configELb0EPKaPaPKlPlN2at6native12_GLOBAL__N_18offset_tEEE10hipError_tPvRmT1_PNSt15iterator_traitsIS12_E10value_typeET2_T3_PNS13_IS18_E10value_typeET4_jRbjT5_S1E_jjP12ihipStream_tbEUljE_ZNSN_ISO_Lb0ESQ_SR_ST_SU_SY_EESZ_S10_S11_S12_S16_S17_S18_S1B_S1C_jS1D_jS1E_S1E_jjS1G_bEUljE0_EEESZ_S10_S11_S18_S1C_S1E_T6_T7_T9_mT8_S1G_bDpT10_ENKUlT_T0_E_clISt17integral_constantIbLb0EES1U_EEDaS1P_S1Q_EUlS1P_E_NS1_11comp_targetILNS1_3genE3ELNS1_11target_archE908ELNS1_3gpuE7ELNS1_3repE0EEENS1_30default_config_static_selectorELNS0_4arch9wavefront6targetE0EEEvS12_,comdat
	.globl	_ZN7rocprim17ROCPRIM_400000_NS6detail17trampoline_kernelINS0_13select_configILj256ELj13ELNS0_17block_load_methodE3ELS4_3ELS4_3ELNS0_20block_scan_algorithmE0ELj4294967295EEENS1_25partition_config_selectorILNS1_17partition_subalgoE4EjNS0_10empty_typeEbEEZZNS1_14partition_implILS8_4ELb0ES6_15HIP_vector_typeIjLj2EENS0_17counting_iteratorIjlEEPS9_SG_NS0_5tupleIJPjSI_NS0_16reverse_iteratorISI_EEEEENSH_IJSG_SG_SG_EEES9_SI_JZNS1_25segmented_radix_sort_implINS0_14default_configELb0EPKaPaPKlPlN2at6native12_GLOBAL__N_18offset_tEEE10hipError_tPvRmT1_PNSt15iterator_traitsIS12_E10value_typeET2_T3_PNS13_IS18_E10value_typeET4_jRbjT5_S1E_jjP12ihipStream_tbEUljE_ZNSN_ISO_Lb0ESQ_SR_ST_SU_SY_EESZ_S10_S11_S12_S16_S17_S18_S1B_S1C_jS1D_jS1E_S1E_jjS1G_bEUljE0_EEESZ_S10_S11_S18_S1C_S1E_T6_T7_T9_mT8_S1G_bDpT10_ENKUlT_T0_E_clISt17integral_constantIbLb0EES1U_EEDaS1P_S1Q_EUlS1P_E_NS1_11comp_targetILNS1_3genE3ELNS1_11target_archE908ELNS1_3gpuE7ELNS1_3repE0EEENS1_30default_config_static_selectorELNS0_4arch9wavefront6targetE0EEEvS12_ ; -- Begin function _ZN7rocprim17ROCPRIM_400000_NS6detail17trampoline_kernelINS0_13select_configILj256ELj13ELNS0_17block_load_methodE3ELS4_3ELS4_3ELNS0_20block_scan_algorithmE0ELj4294967295EEENS1_25partition_config_selectorILNS1_17partition_subalgoE4EjNS0_10empty_typeEbEEZZNS1_14partition_implILS8_4ELb0ES6_15HIP_vector_typeIjLj2EENS0_17counting_iteratorIjlEEPS9_SG_NS0_5tupleIJPjSI_NS0_16reverse_iteratorISI_EEEEENSH_IJSG_SG_SG_EEES9_SI_JZNS1_25segmented_radix_sort_implINS0_14default_configELb0EPKaPaPKlPlN2at6native12_GLOBAL__N_18offset_tEEE10hipError_tPvRmT1_PNSt15iterator_traitsIS12_E10value_typeET2_T3_PNS13_IS18_E10value_typeET4_jRbjT5_S1E_jjP12ihipStream_tbEUljE_ZNSN_ISO_Lb0ESQ_SR_ST_SU_SY_EESZ_S10_S11_S12_S16_S17_S18_S1B_S1C_jS1D_jS1E_S1E_jjS1G_bEUljE0_EEESZ_S10_S11_S18_S1C_S1E_T6_T7_T9_mT8_S1G_bDpT10_ENKUlT_T0_E_clISt17integral_constantIbLb0EES1U_EEDaS1P_S1Q_EUlS1P_E_NS1_11comp_targetILNS1_3genE3ELNS1_11target_archE908ELNS1_3gpuE7ELNS1_3repE0EEENS1_30default_config_static_selectorELNS0_4arch9wavefront6targetE0EEEvS12_
	.p2align	8
	.type	_ZN7rocprim17ROCPRIM_400000_NS6detail17trampoline_kernelINS0_13select_configILj256ELj13ELNS0_17block_load_methodE3ELS4_3ELS4_3ELNS0_20block_scan_algorithmE0ELj4294967295EEENS1_25partition_config_selectorILNS1_17partition_subalgoE4EjNS0_10empty_typeEbEEZZNS1_14partition_implILS8_4ELb0ES6_15HIP_vector_typeIjLj2EENS0_17counting_iteratorIjlEEPS9_SG_NS0_5tupleIJPjSI_NS0_16reverse_iteratorISI_EEEEENSH_IJSG_SG_SG_EEES9_SI_JZNS1_25segmented_radix_sort_implINS0_14default_configELb0EPKaPaPKlPlN2at6native12_GLOBAL__N_18offset_tEEE10hipError_tPvRmT1_PNSt15iterator_traitsIS12_E10value_typeET2_T3_PNS13_IS18_E10value_typeET4_jRbjT5_S1E_jjP12ihipStream_tbEUljE_ZNSN_ISO_Lb0ESQ_SR_ST_SU_SY_EESZ_S10_S11_S12_S16_S17_S18_S1B_S1C_jS1D_jS1E_S1E_jjS1G_bEUljE0_EEESZ_S10_S11_S18_S1C_S1E_T6_T7_T9_mT8_S1G_bDpT10_ENKUlT_T0_E_clISt17integral_constantIbLb0EES1U_EEDaS1P_S1Q_EUlS1P_E_NS1_11comp_targetILNS1_3genE3ELNS1_11target_archE908ELNS1_3gpuE7ELNS1_3repE0EEENS1_30default_config_static_selectorELNS0_4arch9wavefront6targetE0EEEvS12_,@function
_ZN7rocprim17ROCPRIM_400000_NS6detail17trampoline_kernelINS0_13select_configILj256ELj13ELNS0_17block_load_methodE3ELS4_3ELS4_3ELNS0_20block_scan_algorithmE0ELj4294967295EEENS1_25partition_config_selectorILNS1_17partition_subalgoE4EjNS0_10empty_typeEbEEZZNS1_14partition_implILS8_4ELb0ES6_15HIP_vector_typeIjLj2EENS0_17counting_iteratorIjlEEPS9_SG_NS0_5tupleIJPjSI_NS0_16reverse_iteratorISI_EEEEENSH_IJSG_SG_SG_EEES9_SI_JZNS1_25segmented_radix_sort_implINS0_14default_configELb0EPKaPaPKlPlN2at6native12_GLOBAL__N_18offset_tEEE10hipError_tPvRmT1_PNSt15iterator_traitsIS12_E10value_typeET2_T3_PNS13_IS18_E10value_typeET4_jRbjT5_S1E_jjP12ihipStream_tbEUljE_ZNSN_ISO_Lb0ESQ_SR_ST_SU_SY_EESZ_S10_S11_S12_S16_S17_S18_S1B_S1C_jS1D_jS1E_S1E_jjS1G_bEUljE0_EEESZ_S10_S11_S18_S1C_S1E_T6_T7_T9_mT8_S1G_bDpT10_ENKUlT_T0_E_clISt17integral_constantIbLb0EES1U_EEDaS1P_S1Q_EUlS1P_E_NS1_11comp_targetILNS1_3genE3ELNS1_11target_archE908ELNS1_3gpuE7ELNS1_3repE0EEENS1_30default_config_static_selectorELNS0_4arch9wavefront6targetE0EEEvS12_: ; @_ZN7rocprim17ROCPRIM_400000_NS6detail17trampoline_kernelINS0_13select_configILj256ELj13ELNS0_17block_load_methodE3ELS4_3ELS4_3ELNS0_20block_scan_algorithmE0ELj4294967295EEENS1_25partition_config_selectorILNS1_17partition_subalgoE4EjNS0_10empty_typeEbEEZZNS1_14partition_implILS8_4ELb0ES6_15HIP_vector_typeIjLj2EENS0_17counting_iteratorIjlEEPS9_SG_NS0_5tupleIJPjSI_NS0_16reverse_iteratorISI_EEEEENSH_IJSG_SG_SG_EEES9_SI_JZNS1_25segmented_radix_sort_implINS0_14default_configELb0EPKaPaPKlPlN2at6native12_GLOBAL__N_18offset_tEEE10hipError_tPvRmT1_PNSt15iterator_traitsIS12_E10value_typeET2_T3_PNS13_IS18_E10value_typeET4_jRbjT5_S1E_jjP12ihipStream_tbEUljE_ZNSN_ISO_Lb0ESQ_SR_ST_SU_SY_EESZ_S10_S11_S12_S16_S17_S18_S1B_S1C_jS1D_jS1E_S1E_jjS1G_bEUljE0_EEESZ_S10_S11_S18_S1C_S1E_T6_T7_T9_mT8_S1G_bDpT10_ENKUlT_T0_E_clISt17integral_constantIbLb0EES1U_EEDaS1P_S1Q_EUlS1P_E_NS1_11comp_targetILNS1_3genE3ELNS1_11target_archE908ELNS1_3gpuE7ELNS1_3repE0EEENS1_30default_config_static_selectorELNS0_4arch9wavefront6targetE0EEEvS12_
; %bb.0:
	.section	.rodata,"a",@progbits
	.p2align	6, 0x0
	.amdhsa_kernel _ZN7rocprim17ROCPRIM_400000_NS6detail17trampoline_kernelINS0_13select_configILj256ELj13ELNS0_17block_load_methodE3ELS4_3ELS4_3ELNS0_20block_scan_algorithmE0ELj4294967295EEENS1_25partition_config_selectorILNS1_17partition_subalgoE4EjNS0_10empty_typeEbEEZZNS1_14partition_implILS8_4ELb0ES6_15HIP_vector_typeIjLj2EENS0_17counting_iteratorIjlEEPS9_SG_NS0_5tupleIJPjSI_NS0_16reverse_iteratorISI_EEEEENSH_IJSG_SG_SG_EEES9_SI_JZNS1_25segmented_radix_sort_implINS0_14default_configELb0EPKaPaPKlPlN2at6native12_GLOBAL__N_18offset_tEEE10hipError_tPvRmT1_PNSt15iterator_traitsIS12_E10value_typeET2_T3_PNS13_IS18_E10value_typeET4_jRbjT5_S1E_jjP12ihipStream_tbEUljE_ZNSN_ISO_Lb0ESQ_SR_ST_SU_SY_EESZ_S10_S11_S12_S16_S17_S18_S1B_S1C_jS1D_jS1E_S1E_jjS1G_bEUljE0_EEESZ_S10_S11_S18_S1C_S1E_T6_T7_T9_mT8_S1G_bDpT10_ENKUlT_T0_E_clISt17integral_constantIbLb0EES1U_EEDaS1P_S1Q_EUlS1P_E_NS1_11comp_targetILNS1_3genE3ELNS1_11target_archE908ELNS1_3gpuE7ELNS1_3repE0EEENS1_30default_config_static_selectorELNS0_4arch9wavefront6targetE0EEEvS12_
		.amdhsa_group_segment_fixed_size 0
		.amdhsa_private_segment_fixed_size 0
		.amdhsa_kernarg_size 176
		.amdhsa_user_sgpr_count 15
		.amdhsa_user_sgpr_dispatch_ptr 0
		.amdhsa_user_sgpr_queue_ptr 0
		.amdhsa_user_sgpr_kernarg_segment_ptr 1
		.amdhsa_user_sgpr_dispatch_id 0
		.amdhsa_user_sgpr_private_segment_size 0
		.amdhsa_wavefront_size32 1
		.amdhsa_uses_dynamic_stack 0
		.amdhsa_enable_private_segment 0
		.amdhsa_system_sgpr_workgroup_id_x 1
		.amdhsa_system_sgpr_workgroup_id_y 0
		.amdhsa_system_sgpr_workgroup_id_z 0
		.amdhsa_system_sgpr_workgroup_info 0
		.amdhsa_system_vgpr_workitem_id 0
		.amdhsa_next_free_vgpr 1
		.amdhsa_next_free_sgpr 1
		.amdhsa_reserve_vcc 0
		.amdhsa_float_round_mode_32 0
		.amdhsa_float_round_mode_16_64 0
		.amdhsa_float_denorm_mode_32 3
		.amdhsa_float_denorm_mode_16_64 3
		.amdhsa_dx10_clamp 1
		.amdhsa_ieee_mode 1
		.amdhsa_fp16_overflow 0
		.amdhsa_workgroup_processor_mode 1
		.amdhsa_memory_ordered 1
		.amdhsa_forward_progress 0
		.amdhsa_shared_vgpr_count 0
		.amdhsa_exception_fp_ieee_invalid_op 0
		.amdhsa_exception_fp_denorm_src 0
		.amdhsa_exception_fp_ieee_div_zero 0
		.amdhsa_exception_fp_ieee_overflow 0
		.amdhsa_exception_fp_ieee_underflow 0
		.amdhsa_exception_fp_ieee_inexact 0
		.amdhsa_exception_int_div_zero 0
	.end_amdhsa_kernel
	.section	.text._ZN7rocprim17ROCPRIM_400000_NS6detail17trampoline_kernelINS0_13select_configILj256ELj13ELNS0_17block_load_methodE3ELS4_3ELS4_3ELNS0_20block_scan_algorithmE0ELj4294967295EEENS1_25partition_config_selectorILNS1_17partition_subalgoE4EjNS0_10empty_typeEbEEZZNS1_14partition_implILS8_4ELb0ES6_15HIP_vector_typeIjLj2EENS0_17counting_iteratorIjlEEPS9_SG_NS0_5tupleIJPjSI_NS0_16reverse_iteratorISI_EEEEENSH_IJSG_SG_SG_EEES9_SI_JZNS1_25segmented_radix_sort_implINS0_14default_configELb0EPKaPaPKlPlN2at6native12_GLOBAL__N_18offset_tEEE10hipError_tPvRmT1_PNSt15iterator_traitsIS12_E10value_typeET2_T3_PNS13_IS18_E10value_typeET4_jRbjT5_S1E_jjP12ihipStream_tbEUljE_ZNSN_ISO_Lb0ESQ_SR_ST_SU_SY_EESZ_S10_S11_S12_S16_S17_S18_S1B_S1C_jS1D_jS1E_S1E_jjS1G_bEUljE0_EEESZ_S10_S11_S18_S1C_S1E_T6_T7_T9_mT8_S1G_bDpT10_ENKUlT_T0_E_clISt17integral_constantIbLb0EES1U_EEDaS1P_S1Q_EUlS1P_E_NS1_11comp_targetILNS1_3genE3ELNS1_11target_archE908ELNS1_3gpuE7ELNS1_3repE0EEENS1_30default_config_static_selectorELNS0_4arch9wavefront6targetE0EEEvS12_,"axG",@progbits,_ZN7rocprim17ROCPRIM_400000_NS6detail17trampoline_kernelINS0_13select_configILj256ELj13ELNS0_17block_load_methodE3ELS4_3ELS4_3ELNS0_20block_scan_algorithmE0ELj4294967295EEENS1_25partition_config_selectorILNS1_17partition_subalgoE4EjNS0_10empty_typeEbEEZZNS1_14partition_implILS8_4ELb0ES6_15HIP_vector_typeIjLj2EENS0_17counting_iteratorIjlEEPS9_SG_NS0_5tupleIJPjSI_NS0_16reverse_iteratorISI_EEEEENSH_IJSG_SG_SG_EEES9_SI_JZNS1_25segmented_radix_sort_implINS0_14default_configELb0EPKaPaPKlPlN2at6native12_GLOBAL__N_18offset_tEEE10hipError_tPvRmT1_PNSt15iterator_traitsIS12_E10value_typeET2_T3_PNS13_IS18_E10value_typeET4_jRbjT5_S1E_jjP12ihipStream_tbEUljE_ZNSN_ISO_Lb0ESQ_SR_ST_SU_SY_EESZ_S10_S11_S12_S16_S17_S18_S1B_S1C_jS1D_jS1E_S1E_jjS1G_bEUljE0_EEESZ_S10_S11_S18_S1C_S1E_T6_T7_T9_mT8_S1G_bDpT10_ENKUlT_T0_E_clISt17integral_constantIbLb0EES1U_EEDaS1P_S1Q_EUlS1P_E_NS1_11comp_targetILNS1_3genE3ELNS1_11target_archE908ELNS1_3gpuE7ELNS1_3repE0EEENS1_30default_config_static_selectorELNS0_4arch9wavefront6targetE0EEEvS12_,comdat
.Lfunc_end332:
	.size	_ZN7rocprim17ROCPRIM_400000_NS6detail17trampoline_kernelINS0_13select_configILj256ELj13ELNS0_17block_load_methodE3ELS4_3ELS4_3ELNS0_20block_scan_algorithmE0ELj4294967295EEENS1_25partition_config_selectorILNS1_17partition_subalgoE4EjNS0_10empty_typeEbEEZZNS1_14partition_implILS8_4ELb0ES6_15HIP_vector_typeIjLj2EENS0_17counting_iteratorIjlEEPS9_SG_NS0_5tupleIJPjSI_NS0_16reverse_iteratorISI_EEEEENSH_IJSG_SG_SG_EEES9_SI_JZNS1_25segmented_radix_sort_implINS0_14default_configELb0EPKaPaPKlPlN2at6native12_GLOBAL__N_18offset_tEEE10hipError_tPvRmT1_PNSt15iterator_traitsIS12_E10value_typeET2_T3_PNS13_IS18_E10value_typeET4_jRbjT5_S1E_jjP12ihipStream_tbEUljE_ZNSN_ISO_Lb0ESQ_SR_ST_SU_SY_EESZ_S10_S11_S12_S16_S17_S18_S1B_S1C_jS1D_jS1E_S1E_jjS1G_bEUljE0_EEESZ_S10_S11_S18_S1C_S1E_T6_T7_T9_mT8_S1G_bDpT10_ENKUlT_T0_E_clISt17integral_constantIbLb0EES1U_EEDaS1P_S1Q_EUlS1P_E_NS1_11comp_targetILNS1_3genE3ELNS1_11target_archE908ELNS1_3gpuE7ELNS1_3repE0EEENS1_30default_config_static_selectorELNS0_4arch9wavefront6targetE0EEEvS12_, .Lfunc_end332-_ZN7rocprim17ROCPRIM_400000_NS6detail17trampoline_kernelINS0_13select_configILj256ELj13ELNS0_17block_load_methodE3ELS4_3ELS4_3ELNS0_20block_scan_algorithmE0ELj4294967295EEENS1_25partition_config_selectorILNS1_17partition_subalgoE4EjNS0_10empty_typeEbEEZZNS1_14partition_implILS8_4ELb0ES6_15HIP_vector_typeIjLj2EENS0_17counting_iteratorIjlEEPS9_SG_NS0_5tupleIJPjSI_NS0_16reverse_iteratorISI_EEEEENSH_IJSG_SG_SG_EEES9_SI_JZNS1_25segmented_radix_sort_implINS0_14default_configELb0EPKaPaPKlPlN2at6native12_GLOBAL__N_18offset_tEEE10hipError_tPvRmT1_PNSt15iterator_traitsIS12_E10value_typeET2_T3_PNS13_IS18_E10value_typeET4_jRbjT5_S1E_jjP12ihipStream_tbEUljE_ZNSN_ISO_Lb0ESQ_SR_ST_SU_SY_EESZ_S10_S11_S12_S16_S17_S18_S1B_S1C_jS1D_jS1E_S1E_jjS1G_bEUljE0_EEESZ_S10_S11_S18_S1C_S1E_T6_T7_T9_mT8_S1G_bDpT10_ENKUlT_T0_E_clISt17integral_constantIbLb0EES1U_EEDaS1P_S1Q_EUlS1P_E_NS1_11comp_targetILNS1_3genE3ELNS1_11target_archE908ELNS1_3gpuE7ELNS1_3repE0EEENS1_30default_config_static_selectorELNS0_4arch9wavefront6targetE0EEEvS12_
                                        ; -- End function
	.section	.AMDGPU.csdata,"",@progbits
; Kernel info:
; codeLenInByte = 0
; NumSgprs: 0
; NumVgprs: 0
; ScratchSize: 0
; MemoryBound: 0
; FloatMode: 240
; IeeeMode: 1
; LDSByteSize: 0 bytes/workgroup (compile time only)
; SGPRBlocks: 0
; VGPRBlocks: 0
; NumSGPRsForWavesPerEU: 1
; NumVGPRsForWavesPerEU: 1
; Occupancy: 16
; WaveLimiterHint : 0
; COMPUTE_PGM_RSRC2:SCRATCH_EN: 0
; COMPUTE_PGM_RSRC2:USER_SGPR: 15
; COMPUTE_PGM_RSRC2:TRAP_HANDLER: 0
; COMPUTE_PGM_RSRC2:TGID_X_EN: 1
; COMPUTE_PGM_RSRC2:TGID_Y_EN: 0
; COMPUTE_PGM_RSRC2:TGID_Z_EN: 0
; COMPUTE_PGM_RSRC2:TIDIG_COMP_CNT: 0
	.section	.text._ZN7rocprim17ROCPRIM_400000_NS6detail17trampoline_kernelINS0_13select_configILj256ELj13ELNS0_17block_load_methodE3ELS4_3ELS4_3ELNS0_20block_scan_algorithmE0ELj4294967295EEENS1_25partition_config_selectorILNS1_17partition_subalgoE4EjNS0_10empty_typeEbEEZZNS1_14partition_implILS8_4ELb0ES6_15HIP_vector_typeIjLj2EENS0_17counting_iteratorIjlEEPS9_SG_NS0_5tupleIJPjSI_NS0_16reverse_iteratorISI_EEEEENSH_IJSG_SG_SG_EEES9_SI_JZNS1_25segmented_radix_sort_implINS0_14default_configELb0EPKaPaPKlPlN2at6native12_GLOBAL__N_18offset_tEEE10hipError_tPvRmT1_PNSt15iterator_traitsIS12_E10value_typeET2_T3_PNS13_IS18_E10value_typeET4_jRbjT5_S1E_jjP12ihipStream_tbEUljE_ZNSN_ISO_Lb0ESQ_SR_ST_SU_SY_EESZ_S10_S11_S12_S16_S17_S18_S1B_S1C_jS1D_jS1E_S1E_jjS1G_bEUljE0_EEESZ_S10_S11_S18_S1C_S1E_T6_T7_T9_mT8_S1G_bDpT10_ENKUlT_T0_E_clISt17integral_constantIbLb0EES1U_EEDaS1P_S1Q_EUlS1P_E_NS1_11comp_targetILNS1_3genE2ELNS1_11target_archE906ELNS1_3gpuE6ELNS1_3repE0EEENS1_30default_config_static_selectorELNS0_4arch9wavefront6targetE0EEEvS12_,"axG",@progbits,_ZN7rocprim17ROCPRIM_400000_NS6detail17trampoline_kernelINS0_13select_configILj256ELj13ELNS0_17block_load_methodE3ELS4_3ELS4_3ELNS0_20block_scan_algorithmE0ELj4294967295EEENS1_25partition_config_selectorILNS1_17partition_subalgoE4EjNS0_10empty_typeEbEEZZNS1_14partition_implILS8_4ELb0ES6_15HIP_vector_typeIjLj2EENS0_17counting_iteratorIjlEEPS9_SG_NS0_5tupleIJPjSI_NS0_16reverse_iteratorISI_EEEEENSH_IJSG_SG_SG_EEES9_SI_JZNS1_25segmented_radix_sort_implINS0_14default_configELb0EPKaPaPKlPlN2at6native12_GLOBAL__N_18offset_tEEE10hipError_tPvRmT1_PNSt15iterator_traitsIS12_E10value_typeET2_T3_PNS13_IS18_E10value_typeET4_jRbjT5_S1E_jjP12ihipStream_tbEUljE_ZNSN_ISO_Lb0ESQ_SR_ST_SU_SY_EESZ_S10_S11_S12_S16_S17_S18_S1B_S1C_jS1D_jS1E_S1E_jjS1G_bEUljE0_EEESZ_S10_S11_S18_S1C_S1E_T6_T7_T9_mT8_S1G_bDpT10_ENKUlT_T0_E_clISt17integral_constantIbLb0EES1U_EEDaS1P_S1Q_EUlS1P_E_NS1_11comp_targetILNS1_3genE2ELNS1_11target_archE906ELNS1_3gpuE6ELNS1_3repE0EEENS1_30default_config_static_selectorELNS0_4arch9wavefront6targetE0EEEvS12_,comdat
	.globl	_ZN7rocprim17ROCPRIM_400000_NS6detail17trampoline_kernelINS0_13select_configILj256ELj13ELNS0_17block_load_methodE3ELS4_3ELS4_3ELNS0_20block_scan_algorithmE0ELj4294967295EEENS1_25partition_config_selectorILNS1_17partition_subalgoE4EjNS0_10empty_typeEbEEZZNS1_14partition_implILS8_4ELb0ES6_15HIP_vector_typeIjLj2EENS0_17counting_iteratorIjlEEPS9_SG_NS0_5tupleIJPjSI_NS0_16reverse_iteratorISI_EEEEENSH_IJSG_SG_SG_EEES9_SI_JZNS1_25segmented_radix_sort_implINS0_14default_configELb0EPKaPaPKlPlN2at6native12_GLOBAL__N_18offset_tEEE10hipError_tPvRmT1_PNSt15iterator_traitsIS12_E10value_typeET2_T3_PNS13_IS18_E10value_typeET4_jRbjT5_S1E_jjP12ihipStream_tbEUljE_ZNSN_ISO_Lb0ESQ_SR_ST_SU_SY_EESZ_S10_S11_S12_S16_S17_S18_S1B_S1C_jS1D_jS1E_S1E_jjS1G_bEUljE0_EEESZ_S10_S11_S18_S1C_S1E_T6_T7_T9_mT8_S1G_bDpT10_ENKUlT_T0_E_clISt17integral_constantIbLb0EES1U_EEDaS1P_S1Q_EUlS1P_E_NS1_11comp_targetILNS1_3genE2ELNS1_11target_archE906ELNS1_3gpuE6ELNS1_3repE0EEENS1_30default_config_static_selectorELNS0_4arch9wavefront6targetE0EEEvS12_ ; -- Begin function _ZN7rocprim17ROCPRIM_400000_NS6detail17trampoline_kernelINS0_13select_configILj256ELj13ELNS0_17block_load_methodE3ELS4_3ELS4_3ELNS0_20block_scan_algorithmE0ELj4294967295EEENS1_25partition_config_selectorILNS1_17partition_subalgoE4EjNS0_10empty_typeEbEEZZNS1_14partition_implILS8_4ELb0ES6_15HIP_vector_typeIjLj2EENS0_17counting_iteratorIjlEEPS9_SG_NS0_5tupleIJPjSI_NS0_16reverse_iteratorISI_EEEEENSH_IJSG_SG_SG_EEES9_SI_JZNS1_25segmented_radix_sort_implINS0_14default_configELb0EPKaPaPKlPlN2at6native12_GLOBAL__N_18offset_tEEE10hipError_tPvRmT1_PNSt15iterator_traitsIS12_E10value_typeET2_T3_PNS13_IS18_E10value_typeET4_jRbjT5_S1E_jjP12ihipStream_tbEUljE_ZNSN_ISO_Lb0ESQ_SR_ST_SU_SY_EESZ_S10_S11_S12_S16_S17_S18_S1B_S1C_jS1D_jS1E_S1E_jjS1G_bEUljE0_EEESZ_S10_S11_S18_S1C_S1E_T6_T7_T9_mT8_S1G_bDpT10_ENKUlT_T0_E_clISt17integral_constantIbLb0EES1U_EEDaS1P_S1Q_EUlS1P_E_NS1_11comp_targetILNS1_3genE2ELNS1_11target_archE906ELNS1_3gpuE6ELNS1_3repE0EEENS1_30default_config_static_selectorELNS0_4arch9wavefront6targetE0EEEvS12_
	.p2align	8
	.type	_ZN7rocprim17ROCPRIM_400000_NS6detail17trampoline_kernelINS0_13select_configILj256ELj13ELNS0_17block_load_methodE3ELS4_3ELS4_3ELNS0_20block_scan_algorithmE0ELj4294967295EEENS1_25partition_config_selectorILNS1_17partition_subalgoE4EjNS0_10empty_typeEbEEZZNS1_14partition_implILS8_4ELb0ES6_15HIP_vector_typeIjLj2EENS0_17counting_iteratorIjlEEPS9_SG_NS0_5tupleIJPjSI_NS0_16reverse_iteratorISI_EEEEENSH_IJSG_SG_SG_EEES9_SI_JZNS1_25segmented_radix_sort_implINS0_14default_configELb0EPKaPaPKlPlN2at6native12_GLOBAL__N_18offset_tEEE10hipError_tPvRmT1_PNSt15iterator_traitsIS12_E10value_typeET2_T3_PNS13_IS18_E10value_typeET4_jRbjT5_S1E_jjP12ihipStream_tbEUljE_ZNSN_ISO_Lb0ESQ_SR_ST_SU_SY_EESZ_S10_S11_S12_S16_S17_S18_S1B_S1C_jS1D_jS1E_S1E_jjS1G_bEUljE0_EEESZ_S10_S11_S18_S1C_S1E_T6_T7_T9_mT8_S1G_bDpT10_ENKUlT_T0_E_clISt17integral_constantIbLb0EES1U_EEDaS1P_S1Q_EUlS1P_E_NS1_11comp_targetILNS1_3genE2ELNS1_11target_archE906ELNS1_3gpuE6ELNS1_3repE0EEENS1_30default_config_static_selectorELNS0_4arch9wavefront6targetE0EEEvS12_,@function
_ZN7rocprim17ROCPRIM_400000_NS6detail17trampoline_kernelINS0_13select_configILj256ELj13ELNS0_17block_load_methodE3ELS4_3ELS4_3ELNS0_20block_scan_algorithmE0ELj4294967295EEENS1_25partition_config_selectorILNS1_17partition_subalgoE4EjNS0_10empty_typeEbEEZZNS1_14partition_implILS8_4ELb0ES6_15HIP_vector_typeIjLj2EENS0_17counting_iteratorIjlEEPS9_SG_NS0_5tupleIJPjSI_NS0_16reverse_iteratorISI_EEEEENSH_IJSG_SG_SG_EEES9_SI_JZNS1_25segmented_radix_sort_implINS0_14default_configELb0EPKaPaPKlPlN2at6native12_GLOBAL__N_18offset_tEEE10hipError_tPvRmT1_PNSt15iterator_traitsIS12_E10value_typeET2_T3_PNS13_IS18_E10value_typeET4_jRbjT5_S1E_jjP12ihipStream_tbEUljE_ZNSN_ISO_Lb0ESQ_SR_ST_SU_SY_EESZ_S10_S11_S12_S16_S17_S18_S1B_S1C_jS1D_jS1E_S1E_jjS1G_bEUljE0_EEESZ_S10_S11_S18_S1C_S1E_T6_T7_T9_mT8_S1G_bDpT10_ENKUlT_T0_E_clISt17integral_constantIbLb0EES1U_EEDaS1P_S1Q_EUlS1P_E_NS1_11comp_targetILNS1_3genE2ELNS1_11target_archE906ELNS1_3gpuE6ELNS1_3repE0EEENS1_30default_config_static_selectorELNS0_4arch9wavefront6targetE0EEEvS12_: ; @_ZN7rocprim17ROCPRIM_400000_NS6detail17trampoline_kernelINS0_13select_configILj256ELj13ELNS0_17block_load_methodE3ELS4_3ELS4_3ELNS0_20block_scan_algorithmE0ELj4294967295EEENS1_25partition_config_selectorILNS1_17partition_subalgoE4EjNS0_10empty_typeEbEEZZNS1_14partition_implILS8_4ELb0ES6_15HIP_vector_typeIjLj2EENS0_17counting_iteratorIjlEEPS9_SG_NS0_5tupleIJPjSI_NS0_16reverse_iteratorISI_EEEEENSH_IJSG_SG_SG_EEES9_SI_JZNS1_25segmented_radix_sort_implINS0_14default_configELb0EPKaPaPKlPlN2at6native12_GLOBAL__N_18offset_tEEE10hipError_tPvRmT1_PNSt15iterator_traitsIS12_E10value_typeET2_T3_PNS13_IS18_E10value_typeET4_jRbjT5_S1E_jjP12ihipStream_tbEUljE_ZNSN_ISO_Lb0ESQ_SR_ST_SU_SY_EESZ_S10_S11_S12_S16_S17_S18_S1B_S1C_jS1D_jS1E_S1E_jjS1G_bEUljE0_EEESZ_S10_S11_S18_S1C_S1E_T6_T7_T9_mT8_S1G_bDpT10_ENKUlT_T0_E_clISt17integral_constantIbLb0EES1U_EEDaS1P_S1Q_EUlS1P_E_NS1_11comp_targetILNS1_3genE2ELNS1_11target_archE906ELNS1_3gpuE6ELNS1_3repE0EEENS1_30default_config_static_selectorELNS0_4arch9wavefront6targetE0EEEvS12_
; %bb.0:
	.section	.rodata,"a",@progbits
	.p2align	6, 0x0
	.amdhsa_kernel _ZN7rocprim17ROCPRIM_400000_NS6detail17trampoline_kernelINS0_13select_configILj256ELj13ELNS0_17block_load_methodE3ELS4_3ELS4_3ELNS0_20block_scan_algorithmE0ELj4294967295EEENS1_25partition_config_selectorILNS1_17partition_subalgoE4EjNS0_10empty_typeEbEEZZNS1_14partition_implILS8_4ELb0ES6_15HIP_vector_typeIjLj2EENS0_17counting_iteratorIjlEEPS9_SG_NS0_5tupleIJPjSI_NS0_16reverse_iteratorISI_EEEEENSH_IJSG_SG_SG_EEES9_SI_JZNS1_25segmented_radix_sort_implINS0_14default_configELb0EPKaPaPKlPlN2at6native12_GLOBAL__N_18offset_tEEE10hipError_tPvRmT1_PNSt15iterator_traitsIS12_E10value_typeET2_T3_PNS13_IS18_E10value_typeET4_jRbjT5_S1E_jjP12ihipStream_tbEUljE_ZNSN_ISO_Lb0ESQ_SR_ST_SU_SY_EESZ_S10_S11_S12_S16_S17_S18_S1B_S1C_jS1D_jS1E_S1E_jjS1G_bEUljE0_EEESZ_S10_S11_S18_S1C_S1E_T6_T7_T9_mT8_S1G_bDpT10_ENKUlT_T0_E_clISt17integral_constantIbLb0EES1U_EEDaS1P_S1Q_EUlS1P_E_NS1_11comp_targetILNS1_3genE2ELNS1_11target_archE906ELNS1_3gpuE6ELNS1_3repE0EEENS1_30default_config_static_selectorELNS0_4arch9wavefront6targetE0EEEvS12_
		.amdhsa_group_segment_fixed_size 0
		.amdhsa_private_segment_fixed_size 0
		.amdhsa_kernarg_size 176
		.amdhsa_user_sgpr_count 15
		.amdhsa_user_sgpr_dispatch_ptr 0
		.amdhsa_user_sgpr_queue_ptr 0
		.amdhsa_user_sgpr_kernarg_segment_ptr 1
		.amdhsa_user_sgpr_dispatch_id 0
		.amdhsa_user_sgpr_private_segment_size 0
		.amdhsa_wavefront_size32 1
		.amdhsa_uses_dynamic_stack 0
		.amdhsa_enable_private_segment 0
		.amdhsa_system_sgpr_workgroup_id_x 1
		.amdhsa_system_sgpr_workgroup_id_y 0
		.amdhsa_system_sgpr_workgroup_id_z 0
		.amdhsa_system_sgpr_workgroup_info 0
		.amdhsa_system_vgpr_workitem_id 0
		.amdhsa_next_free_vgpr 1
		.amdhsa_next_free_sgpr 1
		.amdhsa_reserve_vcc 0
		.amdhsa_float_round_mode_32 0
		.amdhsa_float_round_mode_16_64 0
		.amdhsa_float_denorm_mode_32 3
		.amdhsa_float_denorm_mode_16_64 3
		.amdhsa_dx10_clamp 1
		.amdhsa_ieee_mode 1
		.amdhsa_fp16_overflow 0
		.amdhsa_workgroup_processor_mode 1
		.amdhsa_memory_ordered 1
		.amdhsa_forward_progress 0
		.amdhsa_shared_vgpr_count 0
		.amdhsa_exception_fp_ieee_invalid_op 0
		.amdhsa_exception_fp_denorm_src 0
		.amdhsa_exception_fp_ieee_div_zero 0
		.amdhsa_exception_fp_ieee_overflow 0
		.amdhsa_exception_fp_ieee_underflow 0
		.amdhsa_exception_fp_ieee_inexact 0
		.amdhsa_exception_int_div_zero 0
	.end_amdhsa_kernel
	.section	.text._ZN7rocprim17ROCPRIM_400000_NS6detail17trampoline_kernelINS0_13select_configILj256ELj13ELNS0_17block_load_methodE3ELS4_3ELS4_3ELNS0_20block_scan_algorithmE0ELj4294967295EEENS1_25partition_config_selectorILNS1_17partition_subalgoE4EjNS0_10empty_typeEbEEZZNS1_14partition_implILS8_4ELb0ES6_15HIP_vector_typeIjLj2EENS0_17counting_iteratorIjlEEPS9_SG_NS0_5tupleIJPjSI_NS0_16reverse_iteratorISI_EEEEENSH_IJSG_SG_SG_EEES9_SI_JZNS1_25segmented_radix_sort_implINS0_14default_configELb0EPKaPaPKlPlN2at6native12_GLOBAL__N_18offset_tEEE10hipError_tPvRmT1_PNSt15iterator_traitsIS12_E10value_typeET2_T3_PNS13_IS18_E10value_typeET4_jRbjT5_S1E_jjP12ihipStream_tbEUljE_ZNSN_ISO_Lb0ESQ_SR_ST_SU_SY_EESZ_S10_S11_S12_S16_S17_S18_S1B_S1C_jS1D_jS1E_S1E_jjS1G_bEUljE0_EEESZ_S10_S11_S18_S1C_S1E_T6_T7_T9_mT8_S1G_bDpT10_ENKUlT_T0_E_clISt17integral_constantIbLb0EES1U_EEDaS1P_S1Q_EUlS1P_E_NS1_11comp_targetILNS1_3genE2ELNS1_11target_archE906ELNS1_3gpuE6ELNS1_3repE0EEENS1_30default_config_static_selectorELNS0_4arch9wavefront6targetE0EEEvS12_,"axG",@progbits,_ZN7rocprim17ROCPRIM_400000_NS6detail17trampoline_kernelINS0_13select_configILj256ELj13ELNS0_17block_load_methodE3ELS4_3ELS4_3ELNS0_20block_scan_algorithmE0ELj4294967295EEENS1_25partition_config_selectorILNS1_17partition_subalgoE4EjNS0_10empty_typeEbEEZZNS1_14partition_implILS8_4ELb0ES6_15HIP_vector_typeIjLj2EENS0_17counting_iteratorIjlEEPS9_SG_NS0_5tupleIJPjSI_NS0_16reverse_iteratorISI_EEEEENSH_IJSG_SG_SG_EEES9_SI_JZNS1_25segmented_radix_sort_implINS0_14default_configELb0EPKaPaPKlPlN2at6native12_GLOBAL__N_18offset_tEEE10hipError_tPvRmT1_PNSt15iterator_traitsIS12_E10value_typeET2_T3_PNS13_IS18_E10value_typeET4_jRbjT5_S1E_jjP12ihipStream_tbEUljE_ZNSN_ISO_Lb0ESQ_SR_ST_SU_SY_EESZ_S10_S11_S12_S16_S17_S18_S1B_S1C_jS1D_jS1E_S1E_jjS1G_bEUljE0_EEESZ_S10_S11_S18_S1C_S1E_T6_T7_T9_mT8_S1G_bDpT10_ENKUlT_T0_E_clISt17integral_constantIbLb0EES1U_EEDaS1P_S1Q_EUlS1P_E_NS1_11comp_targetILNS1_3genE2ELNS1_11target_archE906ELNS1_3gpuE6ELNS1_3repE0EEENS1_30default_config_static_selectorELNS0_4arch9wavefront6targetE0EEEvS12_,comdat
.Lfunc_end333:
	.size	_ZN7rocprim17ROCPRIM_400000_NS6detail17trampoline_kernelINS0_13select_configILj256ELj13ELNS0_17block_load_methodE3ELS4_3ELS4_3ELNS0_20block_scan_algorithmE0ELj4294967295EEENS1_25partition_config_selectorILNS1_17partition_subalgoE4EjNS0_10empty_typeEbEEZZNS1_14partition_implILS8_4ELb0ES6_15HIP_vector_typeIjLj2EENS0_17counting_iteratorIjlEEPS9_SG_NS0_5tupleIJPjSI_NS0_16reverse_iteratorISI_EEEEENSH_IJSG_SG_SG_EEES9_SI_JZNS1_25segmented_radix_sort_implINS0_14default_configELb0EPKaPaPKlPlN2at6native12_GLOBAL__N_18offset_tEEE10hipError_tPvRmT1_PNSt15iterator_traitsIS12_E10value_typeET2_T3_PNS13_IS18_E10value_typeET4_jRbjT5_S1E_jjP12ihipStream_tbEUljE_ZNSN_ISO_Lb0ESQ_SR_ST_SU_SY_EESZ_S10_S11_S12_S16_S17_S18_S1B_S1C_jS1D_jS1E_S1E_jjS1G_bEUljE0_EEESZ_S10_S11_S18_S1C_S1E_T6_T7_T9_mT8_S1G_bDpT10_ENKUlT_T0_E_clISt17integral_constantIbLb0EES1U_EEDaS1P_S1Q_EUlS1P_E_NS1_11comp_targetILNS1_3genE2ELNS1_11target_archE906ELNS1_3gpuE6ELNS1_3repE0EEENS1_30default_config_static_selectorELNS0_4arch9wavefront6targetE0EEEvS12_, .Lfunc_end333-_ZN7rocprim17ROCPRIM_400000_NS6detail17trampoline_kernelINS0_13select_configILj256ELj13ELNS0_17block_load_methodE3ELS4_3ELS4_3ELNS0_20block_scan_algorithmE0ELj4294967295EEENS1_25partition_config_selectorILNS1_17partition_subalgoE4EjNS0_10empty_typeEbEEZZNS1_14partition_implILS8_4ELb0ES6_15HIP_vector_typeIjLj2EENS0_17counting_iteratorIjlEEPS9_SG_NS0_5tupleIJPjSI_NS0_16reverse_iteratorISI_EEEEENSH_IJSG_SG_SG_EEES9_SI_JZNS1_25segmented_radix_sort_implINS0_14default_configELb0EPKaPaPKlPlN2at6native12_GLOBAL__N_18offset_tEEE10hipError_tPvRmT1_PNSt15iterator_traitsIS12_E10value_typeET2_T3_PNS13_IS18_E10value_typeET4_jRbjT5_S1E_jjP12ihipStream_tbEUljE_ZNSN_ISO_Lb0ESQ_SR_ST_SU_SY_EESZ_S10_S11_S12_S16_S17_S18_S1B_S1C_jS1D_jS1E_S1E_jjS1G_bEUljE0_EEESZ_S10_S11_S18_S1C_S1E_T6_T7_T9_mT8_S1G_bDpT10_ENKUlT_T0_E_clISt17integral_constantIbLb0EES1U_EEDaS1P_S1Q_EUlS1P_E_NS1_11comp_targetILNS1_3genE2ELNS1_11target_archE906ELNS1_3gpuE6ELNS1_3repE0EEENS1_30default_config_static_selectorELNS0_4arch9wavefront6targetE0EEEvS12_
                                        ; -- End function
	.section	.AMDGPU.csdata,"",@progbits
; Kernel info:
; codeLenInByte = 0
; NumSgprs: 0
; NumVgprs: 0
; ScratchSize: 0
; MemoryBound: 0
; FloatMode: 240
; IeeeMode: 1
; LDSByteSize: 0 bytes/workgroup (compile time only)
; SGPRBlocks: 0
; VGPRBlocks: 0
; NumSGPRsForWavesPerEU: 1
; NumVGPRsForWavesPerEU: 1
; Occupancy: 16
; WaveLimiterHint : 0
; COMPUTE_PGM_RSRC2:SCRATCH_EN: 0
; COMPUTE_PGM_RSRC2:USER_SGPR: 15
; COMPUTE_PGM_RSRC2:TRAP_HANDLER: 0
; COMPUTE_PGM_RSRC2:TGID_X_EN: 1
; COMPUTE_PGM_RSRC2:TGID_Y_EN: 0
; COMPUTE_PGM_RSRC2:TGID_Z_EN: 0
; COMPUTE_PGM_RSRC2:TIDIG_COMP_CNT: 0
	.section	.text._ZN7rocprim17ROCPRIM_400000_NS6detail17trampoline_kernelINS0_13select_configILj256ELj13ELNS0_17block_load_methodE3ELS4_3ELS4_3ELNS0_20block_scan_algorithmE0ELj4294967295EEENS1_25partition_config_selectorILNS1_17partition_subalgoE4EjNS0_10empty_typeEbEEZZNS1_14partition_implILS8_4ELb0ES6_15HIP_vector_typeIjLj2EENS0_17counting_iteratorIjlEEPS9_SG_NS0_5tupleIJPjSI_NS0_16reverse_iteratorISI_EEEEENSH_IJSG_SG_SG_EEES9_SI_JZNS1_25segmented_radix_sort_implINS0_14default_configELb0EPKaPaPKlPlN2at6native12_GLOBAL__N_18offset_tEEE10hipError_tPvRmT1_PNSt15iterator_traitsIS12_E10value_typeET2_T3_PNS13_IS18_E10value_typeET4_jRbjT5_S1E_jjP12ihipStream_tbEUljE_ZNSN_ISO_Lb0ESQ_SR_ST_SU_SY_EESZ_S10_S11_S12_S16_S17_S18_S1B_S1C_jS1D_jS1E_S1E_jjS1G_bEUljE0_EEESZ_S10_S11_S18_S1C_S1E_T6_T7_T9_mT8_S1G_bDpT10_ENKUlT_T0_E_clISt17integral_constantIbLb0EES1U_EEDaS1P_S1Q_EUlS1P_E_NS1_11comp_targetILNS1_3genE10ELNS1_11target_archE1200ELNS1_3gpuE4ELNS1_3repE0EEENS1_30default_config_static_selectorELNS0_4arch9wavefront6targetE0EEEvS12_,"axG",@progbits,_ZN7rocprim17ROCPRIM_400000_NS6detail17trampoline_kernelINS0_13select_configILj256ELj13ELNS0_17block_load_methodE3ELS4_3ELS4_3ELNS0_20block_scan_algorithmE0ELj4294967295EEENS1_25partition_config_selectorILNS1_17partition_subalgoE4EjNS0_10empty_typeEbEEZZNS1_14partition_implILS8_4ELb0ES6_15HIP_vector_typeIjLj2EENS0_17counting_iteratorIjlEEPS9_SG_NS0_5tupleIJPjSI_NS0_16reverse_iteratorISI_EEEEENSH_IJSG_SG_SG_EEES9_SI_JZNS1_25segmented_radix_sort_implINS0_14default_configELb0EPKaPaPKlPlN2at6native12_GLOBAL__N_18offset_tEEE10hipError_tPvRmT1_PNSt15iterator_traitsIS12_E10value_typeET2_T3_PNS13_IS18_E10value_typeET4_jRbjT5_S1E_jjP12ihipStream_tbEUljE_ZNSN_ISO_Lb0ESQ_SR_ST_SU_SY_EESZ_S10_S11_S12_S16_S17_S18_S1B_S1C_jS1D_jS1E_S1E_jjS1G_bEUljE0_EEESZ_S10_S11_S18_S1C_S1E_T6_T7_T9_mT8_S1G_bDpT10_ENKUlT_T0_E_clISt17integral_constantIbLb0EES1U_EEDaS1P_S1Q_EUlS1P_E_NS1_11comp_targetILNS1_3genE10ELNS1_11target_archE1200ELNS1_3gpuE4ELNS1_3repE0EEENS1_30default_config_static_selectorELNS0_4arch9wavefront6targetE0EEEvS12_,comdat
	.globl	_ZN7rocprim17ROCPRIM_400000_NS6detail17trampoline_kernelINS0_13select_configILj256ELj13ELNS0_17block_load_methodE3ELS4_3ELS4_3ELNS0_20block_scan_algorithmE0ELj4294967295EEENS1_25partition_config_selectorILNS1_17partition_subalgoE4EjNS0_10empty_typeEbEEZZNS1_14partition_implILS8_4ELb0ES6_15HIP_vector_typeIjLj2EENS0_17counting_iteratorIjlEEPS9_SG_NS0_5tupleIJPjSI_NS0_16reverse_iteratorISI_EEEEENSH_IJSG_SG_SG_EEES9_SI_JZNS1_25segmented_radix_sort_implINS0_14default_configELb0EPKaPaPKlPlN2at6native12_GLOBAL__N_18offset_tEEE10hipError_tPvRmT1_PNSt15iterator_traitsIS12_E10value_typeET2_T3_PNS13_IS18_E10value_typeET4_jRbjT5_S1E_jjP12ihipStream_tbEUljE_ZNSN_ISO_Lb0ESQ_SR_ST_SU_SY_EESZ_S10_S11_S12_S16_S17_S18_S1B_S1C_jS1D_jS1E_S1E_jjS1G_bEUljE0_EEESZ_S10_S11_S18_S1C_S1E_T6_T7_T9_mT8_S1G_bDpT10_ENKUlT_T0_E_clISt17integral_constantIbLb0EES1U_EEDaS1P_S1Q_EUlS1P_E_NS1_11comp_targetILNS1_3genE10ELNS1_11target_archE1200ELNS1_3gpuE4ELNS1_3repE0EEENS1_30default_config_static_selectorELNS0_4arch9wavefront6targetE0EEEvS12_ ; -- Begin function _ZN7rocprim17ROCPRIM_400000_NS6detail17trampoline_kernelINS0_13select_configILj256ELj13ELNS0_17block_load_methodE3ELS4_3ELS4_3ELNS0_20block_scan_algorithmE0ELj4294967295EEENS1_25partition_config_selectorILNS1_17partition_subalgoE4EjNS0_10empty_typeEbEEZZNS1_14partition_implILS8_4ELb0ES6_15HIP_vector_typeIjLj2EENS0_17counting_iteratorIjlEEPS9_SG_NS0_5tupleIJPjSI_NS0_16reverse_iteratorISI_EEEEENSH_IJSG_SG_SG_EEES9_SI_JZNS1_25segmented_radix_sort_implINS0_14default_configELb0EPKaPaPKlPlN2at6native12_GLOBAL__N_18offset_tEEE10hipError_tPvRmT1_PNSt15iterator_traitsIS12_E10value_typeET2_T3_PNS13_IS18_E10value_typeET4_jRbjT5_S1E_jjP12ihipStream_tbEUljE_ZNSN_ISO_Lb0ESQ_SR_ST_SU_SY_EESZ_S10_S11_S12_S16_S17_S18_S1B_S1C_jS1D_jS1E_S1E_jjS1G_bEUljE0_EEESZ_S10_S11_S18_S1C_S1E_T6_T7_T9_mT8_S1G_bDpT10_ENKUlT_T0_E_clISt17integral_constantIbLb0EES1U_EEDaS1P_S1Q_EUlS1P_E_NS1_11comp_targetILNS1_3genE10ELNS1_11target_archE1200ELNS1_3gpuE4ELNS1_3repE0EEENS1_30default_config_static_selectorELNS0_4arch9wavefront6targetE0EEEvS12_
	.p2align	8
	.type	_ZN7rocprim17ROCPRIM_400000_NS6detail17trampoline_kernelINS0_13select_configILj256ELj13ELNS0_17block_load_methodE3ELS4_3ELS4_3ELNS0_20block_scan_algorithmE0ELj4294967295EEENS1_25partition_config_selectorILNS1_17partition_subalgoE4EjNS0_10empty_typeEbEEZZNS1_14partition_implILS8_4ELb0ES6_15HIP_vector_typeIjLj2EENS0_17counting_iteratorIjlEEPS9_SG_NS0_5tupleIJPjSI_NS0_16reverse_iteratorISI_EEEEENSH_IJSG_SG_SG_EEES9_SI_JZNS1_25segmented_radix_sort_implINS0_14default_configELb0EPKaPaPKlPlN2at6native12_GLOBAL__N_18offset_tEEE10hipError_tPvRmT1_PNSt15iterator_traitsIS12_E10value_typeET2_T3_PNS13_IS18_E10value_typeET4_jRbjT5_S1E_jjP12ihipStream_tbEUljE_ZNSN_ISO_Lb0ESQ_SR_ST_SU_SY_EESZ_S10_S11_S12_S16_S17_S18_S1B_S1C_jS1D_jS1E_S1E_jjS1G_bEUljE0_EEESZ_S10_S11_S18_S1C_S1E_T6_T7_T9_mT8_S1G_bDpT10_ENKUlT_T0_E_clISt17integral_constantIbLb0EES1U_EEDaS1P_S1Q_EUlS1P_E_NS1_11comp_targetILNS1_3genE10ELNS1_11target_archE1200ELNS1_3gpuE4ELNS1_3repE0EEENS1_30default_config_static_selectorELNS0_4arch9wavefront6targetE0EEEvS12_,@function
_ZN7rocprim17ROCPRIM_400000_NS6detail17trampoline_kernelINS0_13select_configILj256ELj13ELNS0_17block_load_methodE3ELS4_3ELS4_3ELNS0_20block_scan_algorithmE0ELj4294967295EEENS1_25partition_config_selectorILNS1_17partition_subalgoE4EjNS0_10empty_typeEbEEZZNS1_14partition_implILS8_4ELb0ES6_15HIP_vector_typeIjLj2EENS0_17counting_iteratorIjlEEPS9_SG_NS0_5tupleIJPjSI_NS0_16reverse_iteratorISI_EEEEENSH_IJSG_SG_SG_EEES9_SI_JZNS1_25segmented_radix_sort_implINS0_14default_configELb0EPKaPaPKlPlN2at6native12_GLOBAL__N_18offset_tEEE10hipError_tPvRmT1_PNSt15iterator_traitsIS12_E10value_typeET2_T3_PNS13_IS18_E10value_typeET4_jRbjT5_S1E_jjP12ihipStream_tbEUljE_ZNSN_ISO_Lb0ESQ_SR_ST_SU_SY_EESZ_S10_S11_S12_S16_S17_S18_S1B_S1C_jS1D_jS1E_S1E_jjS1G_bEUljE0_EEESZ_S10_S11_S18_S1C_S1E_T6_T7_T9_mT8_S1G_bDpT10_ENKUlT_T0_E_clISt17integral_constantIbLb0EES1U_EEDaS1P_S1Q_EUlS1P_E_NS1_11comp_targetILNS1_3genE10ELNS1_11target_archE1200ELNS1_3gpuE4ELNS1_3repE0EEENS1_30default_config_static_selectorELNS0_4arch9wavefront6targetE0EEEvS12_: ; @_ZN7rocprim17ROCPRIM_400000_NS6detail17trampoline_kernelINS0_13select_configILj256ELj13ELNS0_17block_load_methodE3ELS4_3ELS4_3ELNS0_20block_scan_algorithmE0ELj4294967295EEENS1_25partition_config_selectorILNS1_17partition_subalgoE4EjNS0_10empty_typeEbEEZZNS1_14partition_implILS8_4ELb0ES6_15HIP_vector_typeIjLj2EENS0_17counting_iteratorIjlEEPS9_SG_NS0_5tupleIJPjSI_NS0_16reverse_iteratorISI_EEEEENSH_IJSG_SG_SG_EEES9_SI_JZNS1_25segmented_radix_sort_implINS0_14default_configELb0EPKaPaPKlPlN2at6native12_GLOBAL__N_18offset_tEEE10hipError_tPvRmT1_PNSt15iterator_traitsIS12_E10value_typeET2_T3_PNS13_IS18_E10value_typeET4_jRbjT5_S1E_jjP12ihipStream_tbEUljE_ZNSN_ISO_Lb0ESQ_SR_ST_SU_SY_EESZ_S10_S11_S12_S16_S17_S18_S1B_S1C_jS1D_jS1E_S1E_jjS1G_bEUljE0_EEESZ_S10_S11_S18_S1C_S1E_T6_T7_T9_mT8_S1G_bDpT10_ENKUlT_T0_E_clISt17integral_constantIbLb0EES1U_EEDaS1P_S1Q_EUlS1P_E_NS1_11comp_targetILNS1_3genE10ELNS1_11target_archE1200ELNS1_3gpuE4ELNS1_3repE0EEENS1_30default_config_static_selectorELNS0_4arch9wavefront6targetE0EEEvS12_
; %bb.0:
	.section	.rodata,"a",@progbits
	.p2align	6, 0x0
	.amdhsa_kernel _ZN7rocprim17ROCPRIM_400000_NS6detail17trampoline_kernelINS0_13select_configILj256ELj13ELNS0_17block_load_methodE3ELS4_3ELS4_3ELNS0_20block_scan_algorithmE0ELj4294967295EEENS1_25partition_config_selectorILNS1_17partition_subalgoE4EjNS0_10empty_typeEbEEZZNS1_14partition_implILS8_4ELb0ES6_15HIP_vector_typeIjLj2EENS0_17counting_iteratorIjlEEPS9_SG_NS0_5tupleIJPjSI_NS0_16reverse_iteratorISI_EEEEENSH_IJSG_SG_SG_EEES9_SI_JZNS1_25segmented_radix_sort_implINS0_14default_configELb0EPKaPaPKlPlN2at6native12_GLOBAL__N_18offset_tEEE10hipError_tPvRmT1_PNSt15iterator_traitsIS12_E10value_typeET2_T3_PNS13_IS18_E10value_typeET4_jRbjT5_S1E_jjP12ihipStream_tbEUljE_ZNSN_ISO_Lb0ESQ_SR_ST_SU_SY_EESZ_S10_S11_S12_S16_S17_S18_S1B_S1C_jS1D_jS1E_S1E_jjS1G_bEUljE0_EEESZ_S10_S11_S18_S1C_S1E_T6_T7_T9_mT8_S1G_bDpT10_ENKUlT_T0_E_clISt17integral_constantIbLb0EES1U_EEDaS1P_S1Q_EUlS1P_E_NS1_11comp_targetILNS1_3genE10ELNS1_11target_archE1200ELNS1_3gpuE4ELNS1_3repE0EEENS1_30default_config_static_selectorELNS0_4arch9wavefront6targetE0EEEvS12_
		.amdhsa_group_segment_fixed_size 0
		.amdhsa_private_segment_fixed_size 0
		.amdhsa_kernarg_size 176
		.amdhsa_user_sgpr_count 15
		.amdhsa_user_sgpr_dispatch_ptr 0
		.amdhsa_user_sgpr_queue_ptr 0
		.amdhsa_user_sgpr_kernarg_segment_ptr 1
		.amdhsa_user_sgpr_dispatch_id 0
		.amdhsa_user_sgpr_private_segment_size 0
		.amdhsa_wavefront_size32 1
		.amdhsa_uses_dynamic_stack 0
		.amdhsa_enable_private_segment 0
		.amdhsa_system_sgpr_workgroup_id_x 1
		.amdhsa_system_sgpr_workgroup_id_y 0
		.amdhsa_system_sgpr_workgroup_id_z 0
		.amdhsa_system_sgpr_workgroup_info 0
		.amdhsa_system_vgpr_workitem_id 0
		.amdhsa_next_free_vgpr 1
		.amdhsa_next_free_sgpr 1
		.amdhsa_reserve_vcc 0
		.amdhsa_float_round_mode_32 0
		.amdhsa_float_round_mode_16_64 0
		.amdhsa_float_denorm_mode_32 3
		.amdhsa_float_denorm_mode_16_64 3
		.amdhsa_dx10_clamp 1
		.amdhsa_ieee_mode 1
		.amdhsa_fp16_overflow 0
		.amdhsa_workgroup_processor_mode 1
		.amdhsa_memory_ordered 1
		.amdhsa_forward_progress 0
		.amdhsa_shared_vgpr_count 0
		.amdhsa_exception_fp_ieee_invalid_op 0
		.amdhsa_exception_fp_denorm_src 0
		.amdhsa_exception_fp_ieee_div_zero 0
		.amdhsa_exception_fp_ieee_overflow 0
		.amdhsa_exception_fp_ieee_underflow 0
		.amdhsa_exception_fp_ieee_inexact 0
		.amdhsa_exception_int_div_zero 0
	.end_amdhsa_kernel
	.section	.text._ZN7rocprim17ROCPRIM_400000_NS6detail17trampoline_kernelINS0_13select_configILj256ELj13ELNS0_17block_load_methodE3ELS4_3ELS4_3ELNS0_20block_scan_algorithmE0ELj4294967295EEENS1_25partition_config_selectorILNS1_17partition_subalgoE4EjNS0_10empty_typeEbEEZZNS1_14partition_implILS8_4ELb0ES6_15HIP_vector_typeIjLj2EENS0_17counting_iteratorIjlEEPS9_SG_NS0_5tupleIJPjSI_NS0_16reverse_iteratorISI_EEEEENSH_IJSG_SG_SG_EEES9_SI_JZNS1_25segmented_radix_sort_implINS0_14default_configELb0EPKaPaPKlPlN2at6native12_GLOBAL__N_18offset_tEEE10hipError_tPvRmT1_PNSt15iterator_traitsIS12_E10value_typeET2_T3_PNS13_IS18_E10value_typeET4_jRbjT5_S1E_jjP12ihipStream_tbEUljE_ZNSN_ISO_Lb0ESQ_SR_ST_SU_SY_EESZ_S10_S11_S12_S16_S17_S18_S1B_S1C_jS1D_jS1E_S1E_jjS1G_bEUljE0_EEESZ_S10_S11_S18_S1C_S1E_T6_T7_T9_mT8_S1G_bDpT10_ENKUlT_T0_E_clISt17integral_constantIbLb0EES1U_EEDaS1P_S1Q_EUlS1P_E_NS1_11comp_targetILNS1_3genE10ELNS1_11target_archE1200ELNS1_3gpuE4ELNS1_3repE0EEENS1_30default_config_static_selectorELNS0_4arch9wavefront6targetE0EEEvS12_,"axG",@progbits,_ZN7rocprim17ROCPRIM_400000_NS6detail17trampoline_kernelINS0_13select_configILj256ELj13ELNS0_17block_load_methodE3ELS4_3ELS4_3ELNS0_20block_scan_algorithmE0ELj4294967295EEENS1_25partition_config_selectorILNS1_17partition_subalgoE4EjNS0_10empty_typeEbEEZZNS1_14partition_implILS8_4ELb0ES6_15HIP_vector_typeIjLj2EENS0_17counting_iteratorIjlEEPS9_SG_NS0_5tupleIJPjSI_NS0_16reverse_iteratorISI_EEEEENSH_IJSG_SG_SG_EEES9_SI_JZNS1_25segmented_radix_sort_implINS0_14default_configELb0EPKaPaPKlPlN2at6native12_GLOBAL__N_18offset_tEEE10hipError_tPvRmT1_PNSt15iterator_traitsIS12_E10value_typeET2_T3_PNS13_IS18_E10value_typeET4_jRbjT5_S1E_jjP12ihipStream_tbEUljE_ZNSN_ISO_Lb0ESQ_SR_ST_SU_SY_EESZ_S10_S11_S12_S16_S17_S18_S1B_S1C_jS1D_jS1E_S1E_jjS1G_bEUljE0_EEESZ_S10_S11_S18_S1C_S1E_T6_T7_T9_mT8_S1G_bDpT10_ENKUlT_T0_E_clISt17integral_constantIbLb0EES1U_EEDaS1P_S1Q_EUlS1P_E_NS1_11comp_targetILNS1_3genE10ELNS1_11target_archE1200ELNS1_3gpuE4ELNS1_3repE0EEENS1_30default_config_static_selectorELNS0_4arch9wavefront6targetE0EEEvS12_,comdat
.Lfunc_end334:
	.size	_ZN7rocprim17ROCPRIM_400000_NS6detail17trampoline_kernelINS0_13select_configILj256ELj13ELNS0_17block_load_methodE3ELS4_3ELS4_3ELNS0_20block_scan_algorithmE0ELj4294967295EEENS1_25partition_config_selectorILNS1_17partition_subalgoE4EjNS0_10empty_typeEbEEZZNS1_14partition_implILS8_4ELb0ES6_15HIP_vector_typeIjLj2EENS0_17counting_iteratorIjlEEPS9_SG_NS0_5tupleIJPjSI_NS0_16reverse_iteratorISI_EEEEENSH_IJSG_SG_SG_EEES9_SI_JZNS1_25segmented_radix_sort_implINS0_14default_configELb0EPKaPaPKlPlN2at6native12_GLOBAL__N_18offset_tEEE10hipError_tPvRmT1_PNSt15iterator_traitsIS12_E10value_typeET2_T3_PNS13_IS18_E10value_typeET4_jRbjT5_S1E_jjP12ihipStream_tbEUljE_ZNSN_ISO_Lb0ESQ_SR_ST_SU_SY_EESZ_S10_S11_S12_S16_S17_S18_S1B_S1C_jS1D_jS1E_S1E_jjS1G_bEUljE0_EEESZ_S10_S11_S18_S1C_S1E_T6_T7_T9_mT8_S1G_bDpT10_ENKUlT_T0_E_clISt17integral_constantIbLb0EES1U_EEDaS1P_S1Q_EUlS1P_E_NS1_11comp_targetILNS1_3genE10ELNS1_11target_archE1200ELNS1_3gpuE4ELNS1_3repE0EEENS1_30default_config_static_selectorELNS0_4arch9wavefront6targetE0EEEvS12_, .Lfunc_end334-_ZN7rocprim17ROCPRIM_400000_NS6detail17trampoline_kernelINS0_13select_configILj256ELj13ELNS0_17block_load_methodE3ELS4_3ELS4_3ELNS0_20block_scan_algorithmE0ELj4294967295EEENS1_25partition_config_selectorILNS1_17partition_subalgoE4EjNS0_10empty_typeEbEEZZNS1_14partition_implILS8_4ELb0ES6_15HIP_vector_typeIjLj2EENS0_17counting_iteratorIjlEEPS9_SG_NS0_5tupleIJPjSI_NS0_16reverse_iteratorISI_EEEEENSH_IJSG_SG_SG_EEES9_SI_JZNS1_25segmented_radix_sort_implINS0_14default_configELb0EPKaPaPKlPlN2at6native12_GLOBAL__N_18offset_tEEE10hipError_tPvRmT1_PNSt15iterator_traitsIS12_E10value_typeET2_T3_PNS13_IS18_E10value_typeET4_jRbjT5_S1E_jjP12ihipStream_tbEUljE_ZNSN_ISO_Lb0ESQ_SR_ST_SU_SY_EESZ_S10_S11_S12_S16_S17_S18_S1B_S1C_jS1D_jS1E_S1E_jjS1G_bEUljE0_EEESZ_S10_S11_S18_S1C_S1E_T6_T7_T9_mT8_S1G_bDpT10_ENKUlT_T0_E_clISt17integral_constantIbLb0EES1U_EEDaS1P_S1Q_EUlS1P_E_NS1_11comp_targetILNS1_3genE10ELNS1_11target_archE1200ELNS1_3gpuE4ELNS1_3repE0EEENS1_30default_config_static_selectorELNS0_4arch9wavefront6targetE0EEEvS12_
                                        ; -- End function
	.section	.AMDGPU.csdata,"",@progbits
; Kernel info:
; codeLenInByte = 0
; NumSgprs: 0
; NumVgprs: 0
; ScratchSize: 0
; MemoryBound: 0
; FloatMode: 240
; IeeeMode: 1
; LDSByteSize: 0 bytes/workgroup (compile time only)
; SGPRBlocks: 0
; VGPRBlocks: 0
; NumSGPRsForWavesPerEU: 1
; NumVGPRsForWavesPerEU: 1
; Occupancy: 16
; WaveLimiterHint : 0
; COMPUTE_PGM_RSRC2:SCRATCH_EN: 0
; COMPUTE_PGM_RSRC2:USER_SGPR: 15
; COMPUTE_PGM_RSRC2:TRAP_HANDLER: 0
; COMPUTE_PGM_RSRC2:TGID_X_EN: 1
; COMPUTE_PGM_RSRC2:TGID_Y_EN: 0
; COMPUTE_PGM_RSRC2:TGID_Z_EN: 0
; COMPUTE_PGM_RSRC2:TIDIG_COMP_CNT: 0
	.section	.text._ZN7rocprim17ROCPRIM_400000_NS6detail17trampoline_kernelINS0_13select_configILj256ELj13ELNS0_17block_load_methodE3ELS4_3ELS4_3ELNS0_20block_scan_algorithmE0ELj4294967295EEENS1_25partition_config_selectorILNS1_17partition_subalgoE4EjNS0_10empty_typeEbEEZZNS1_14partition_implILS8_4ELb0ES6_15HIP_vector_typeIjLj2EENS0_17counting_iteratorIjlEEPS9_SG_NS0_5tupleIJPjSI_NS0_16reverse_iteratorISI_EEEEENSH_IJSG_SG_SG_EEES9_SI_JZNS1_25segmented_radix_sort_implINS0_14default_configELb0EPKaPaPKlPlN2at6native12_GLOBAL__N_18offset_tEEE10hipError_tPvRmT1_PNSt15iterator_traitsIS12_E10value_typeET2_T3_PNS13_IS18_E10value_typeET4_jRbjT5_S1E_jjP12ihipStream_tbEUljE_ZNSN_ISO_Lb0ESQ_SR_ST_SU_SY_EESZ_S10_S11_S12_S16_S17_S18_S1B_S1C_jS1D_jS1E_S1E_jjS1G_bEUljE0_EEESZ_S10_S11_S18_S1C_S1E_T6_T7_T9_mT8_S1G_bDpT10_ENKUlT_T0_E_clISt17integral_constantIbLb0EES1U_EEDaS1P_S1Q_EUlS1P_E_NS1_11comp_targetILNS1_3genE9ELNS1_11target_archE1100ELNS1_3gpuE3ELNS1_3repE0EEENS1_30default_config_static_selectorELNS0_4arch9wavefront6targetE0EEEvS12_,"axG",@progbits,_ZN7rocprim17ROCPRIM_400000_NS6detail17trampoline_kernelINS0_13select_configILj256ELj13ELNS0_17block_load_methodE3ELS4_3ELS4_3ELNS0_20block_scan_algorithmE0ELj4294967295EEENS1_25partition_config_selectorILNS1_17partition_subalgoE4EjNS0_10empty_typeEbEEZZNS1_14partition_implILS8_4ELb0ES6_15HIP_vector_typeIjLj2EENS0_17counting_iteratorIjlEEPS9_SG_NS0_5tupleIJPjSI_NS0_16reverse_iteratorISI_EEEEENSH_IJSG_SG_SG_EEES9_SI_JZNS1_25segmented_radix_sort_implINS0_14default_configELb0EPKaPaPKlPlN2at6native12_GLOBAL__N_18offset_tEEE10hipError_tPvRmT1_PNSt15iterator_traitsIS12_E10value_typeET2_T3_PNS13_IS18_E10value_typeET4_jRbjT5_S1E_jjP12ihipStream_tbEUljE_ZNSN_ISO_Lb0ESQ_SR_ST_SU_SY_EESZ_S10_S11_S12_S16_S17_S18_S1B_S1C_jS1D_jS1E_S1E_jjS1G_bEUljE0_EEESZ_S10_S11_S18_S1C_S1E_T6_T7_T9_mT8_S1G_bDpT10_ENKUlT_T0_E_clISt17integral_constantIbLb0EES1U_EEDaS1P_S1Q_EUlS1P_E_NS1_11comp_targetILNS1_3genE9ELNS1_11target_archE1100ELNS1_3gpuE3ELNS1_3repE0EEENS1_30default_config_static_selectorELNS0_4arch9wavefront6targetE0EEEvS12_,comdat
	.globl	_ZN7rocprim17ROCPRIM_400000_NS6detail17trampoline_kernelINS0_13select_configILj256ELj13ELNS0_17block_load_methodE3ELS4_3ELS4_3ELNS0_20block_scan_algorithmE0ELj4294967295EEENS1_25partition_config_selectorILNS1_17partition_subalgoE4EjNS0_10empty_typeEbEEZZNS1_14partition_implILS8_4ELb0ES6_15HIP_vector_typeIjLj2EENS0_17counting_iteratorIjlEEPS9_SG_NS0_5tupleIJPjSI_NS0_16reverse_iteratorISI_EEEEENSH_IJSG_SG_SG_EEES9_SI_JZNS1_25segmented_radix_sort_implINS0_14default_configELb0EPKaPaPKlPlN2at6native12_GLOBAL__N_18offset_tEEE10hipError_tPvRmT1_PNSt15iterator_traitsIS12_E10value_typeET2_T3_PNS13_IS18_E10value_typeET4_jRbjT5_S1E_jjP12ihipStream_tbEUljE_ZNSN_ISO_Lb0ESQ_SR_ST_SU_SY_EESZ_S10_S11_S12_S16_S17_S18_S1B_S1C_jS1D_jS1E_S1E_jjS1G_bEUljE0_EEESZ_S10_S11_S18_S1C_S1E_T6_T7_T9_mT8_S1G_bDpT10_ENKUlT_T0_E_clISt17integral_constantIbLb0EES1U_EEDaS1P_S1Q_EUlS1P_E_NS1_11comp_targetILNS1_3genE9ELNS1_11target_archE1100ELNS1_3gpuE3ELNS1_3repE0EEENS1_30default_config_static_selectorELNS0_4arch9wavefront6targetE0EEEvS12_ ; -- Begin function _ZN7rocprim17ROCPRIM_400000_NS6detail17trampoline_kernelINS0_13select_configILj256ELj13ELNS0_17block_load_methodE3ELS4_3ELS4_3ELNS0_20block_scan_algorithmE0ELj4294967295EEENS1_25partition_config_selectorILNS1_17partition_subalgoE4EjNS0_10empty_typeEbEEZZNS1_14partition_implILS8_4ELb0ES6_15HIP_vector_typeIjLj2EENS0_17counting_iteratorIjlEEPS9_SG_NS0_5tupleIJPjSI_NS0_16reverse_iteratorISI_EEEEENSH_IJSG_SG_SG_EEES9_SI_JZNS1_25segmented_radix_sort_implINS0_14default_configELb0EPKaPaPKlPlN2at6native12_GLOBAL__N_18offset_tEEE10hipError_tPvRmT1_PNSt15iterator_traitsIS12_E10value_typeET2_T3_PNS13_IS18_E10value_typeET4_jRbjT5_S1E_jjP12ihipStream_tbEUljE_ZNSN_ISO_Lb0ESQ_SR_ST_SU_SY_EESZ_S10_S11_S12_S16_S17_S18_S1B_S1C_jS1D_jS1E_S1E_jjS1G_bEUljE0_EEESZ_S10_S11_S18_S1C_S1E_T6_T7_T9_mT8_S1G_bDpT10_ENKUlT_T0_E_clISt17integral_constantIbLb0EES1U_EEDaS1P_S1Q_EUlS1P_E_NS1_11comp_targetILNS1_3genE9ELNS1_11target_archE1100ELNS1_3gpuE3ELNS1_3repE0EEENS1_30default_config_static_selectorELNS0_4arch9wavefront6targetE0EEEvS12_
	.p2align	8
	.type	_ZN7rocprim17ROCPRIM_400000_NS6detail17trampoline_kernelINS0_13select_configILj256ELj13ELNS0_17block_load_methodE3ELS4_3ELS4_3ELNS0_20block_scan_algorithmE0ELj4294967295EEENS1_25partition_config_selectorILNS1_17partition_subalgoE4EjNS0_10empty_typeEbEEZZNS1_14partition_implILS8_4ELb0ES6_15HIP_vector_typeIjLj2EENS0_17counting_iteratorIjlEEPS9_SG_NS0_5tupleIJPjSI_NS0_16reverse_iteratorISI_EEEEENSH_IJSG_SG_SG_EEES9_SI_JZNS1_25segmented_radix_sort_implINS0_14default_configELb0EPKaPaPKlPlN2at6native12_GLOBAL__N_18offset_tEEE10hipError_tPvRmT1_PNSt15iterator_traitsIS12_E10value_typeET2_T3_PNS13_IS18_E10value_typeET4_jRbjT5_S1E_jjP12ihipStream_tbEUljE_ZNSN_ISO_Lb0ESQ_SR_ST_SU_SY_EESZ_S10_S11_S12_S16_S17_S18_S1B_S1C_jS1D_jS1E_S1E_jjS1G_bEUljE0_EEESZ_S10_S11_S18_S1C_S1E_T6_T7_T9_mT8_S1G_bDpT10_ENKUlT_T0_E_clISt17integral_constantIbLb0EES1U_EEDaS1P_S1Q_EUlS1P_E_NS1_11comp_targetILNS1_3genE9ELNS1_11target_archE1100ELNS1_3gpuE3ELNS1_3repE0EEENS1_30default_config_static_selectorELNS0_4arch9wavefront6targetE0EEEvS12_,@function
_ZN7rocprim17ROCPRIM_400000_NS6detail17trampoline_kernelINS0_13select_configILj256ELj13ELNS0_17block_load_methodE3ELS4_3ELS4_3ELNS0_20block_scan_algorithmE0ELj4294967295EEENS1_25partition_config_selectorILNS1_17partition_subalgoE4EjNS0_10empty_typeEbEEZZNS1_14partition_implILS8_4ELb0ES6_15HIP_vector_typeIjLj2EENS0_17counting_iteratorIjlEEPS9_SG_NS0_5tupleIJPjSI_NS0_16reverse_iteratorISI_EEEEENSH_IJSG_SG_SG_EEES9_SI_JZNS1_25segmented_radix_sort_implINS0_14default_configELb0EPKaPaPKlPlN2at6native12_GLOBAL__N_18offset_tEEE10hipError_tPvRmT1_PNSt15iterator_traitsIS12_E10value_typeET2_T3_PNS13_IS18_E10value_typeET4_jRbjT5_S1E_jjP12ihipStream_tbEUljE_ZNSN_ISO_Lb0ESQ_SR_ST_SU_SY_EESZ_S10_S11_S12_S16_S17_S18_S1B_S1C_jS1D_jS1E_S1E_jjS1G_bEUljE0_EEESZ_S10_S11_S18_S1C_S1E_T6_T7_T9_mT8_S1G_bDpT10_ENKUlT_T0_E_clISt17integral_constantIbLb0EES1U_EEDaS1P_S1Q_EUlS1P_E_NS1_11comp_targetILNS1_3genE9ELNS1_11target_archE1100ELNS1_3gpuE3ELNS1_3repE0EEENS1_30default_config_static_selectorELNS0_4arch9wavefront6targetE0EEEvS12_: ; @_ZN7rocprim17ROCPRIM_400000_NS6detail17trampoline_kernelINS0_13select_configILj256ELj13ELNS0_17block_load_methodE3ELS4_3ELS4_3ELNS0_20block_scan_algorithmE0ELj4294967295EEENS1_25partition_config_selectorILNS1_17partition_subalgoE4EjNS0_10empty_typeEbEEZZNS1_14partition_implILS8_4ELb0ES6_15HIP_vector_typeIjLj2EENS0_17counting_iteratorIjlEEPS9_SG_NS0_5tupleIJPjSI_NS0_16reverse_iteratorISI_EEEEENSH_IJSG_SG_SG_EEES9_SI_JZNS1_25segmented_radix_sort_implINS0_14default_configELb0EPKaPaPKlPlN2at6native12_GLOBAL__N_18offset_tEEE10hipError_tPvRmT1_PNSt15iterator_traitsIS12_E10value_typeET2_T3_PNS13_IS18_E10value_typeET4_jRbjT5_S1E_jjP12ihipStream_tbEUljE_ZNSN_ISO_Lb0ESQ_SR_ST_SU_SY_EESZ_S10_S11_S12_S16_S17_S18_S1B_S1C_jS1D_jS1E_S1E_jjS1G_bEUljE0_EEESZ_S10_S11_S18_S1C_S1E_T6_T7_T9_mT8_S1G_bDpT10_ENKUlT_T0_E_clISt17integral_constantIbLb0EES1U_EEDaS1P_S1Q_EUlS1P_E_NS1_11comp_targetILNS1_3genE9ELNS1_11target_archE1100ELNS1_3gpuE3ELNS1_3repE0EEENS1_30default_config_static_selectorELNS0_4arch9wavefront6targetE0EEEvS12_
; %bb.0:
	s_clause 0x6
	s_load_b32 s5, s[0:1], 0x80
	s_load_b64 s[34:35], s[0:1], 0x10
	s_load_b64 s[2:3], s[0:1], 0x68
	s_load_b32 s8, s[0:1], 0x8
	s_load_b128 s[24:27], s[0:1], 0x58
	s_load_b64 s[40:41], s[0:1], 0xa8
	s_load_b256 s[16:23], s[0:1], 0x88
	s_mul_i32 s33, s15, 0xd00
	s_waitcnt lgkmcnt(0)
	s_mul_i32 s4, s5, 0xd00
	s_add_i32 s5, s5, -1
	s_add_u32 s6, s34, s4
	s_addc_u32 s7, s35, 0
	s_load_b128 s[28:31], s[26:27], 0x0
	s_cmp_eq_u32 s15, s5
	v_cmp_lt_u64_e64 s3, s[6:7], s[2:3]
	s_cselect_b32 s14, -1, 0
	s_cmp_lg_u32 s15, s5
	s_cselect_b32 s5, -1, 0
	s_add_i32 s6, s8, s33
	s_delay_alu instid0(VALU_DEP_1) | instskip(SKIP_4) | instid1(VALU_DEP_1)
	s_or_b32 s3, s5, s3
	s_add_i32 s6, s6, s34
	s_and_b32 vcc_lo, exec_lo, s3
	v_add_nc_u32_e32 v1, s6, v0
	s_mov_b32 s5, -1
	v_add_nc_u32_e32 v2, 0x100, v1
	v_add_nc_u32_e32 v3, 0x200, v1
	;; [unrolled: 1-line block ×12, first 2 shown]
	s_cbranch_vccz .LBB335_2
; %bb.1:
	v_lshlrev_b32_e32 v14, 2, v0
	s_mov_b32 s5, 0
	ds_store_2addr_stride64_b32 v14, v1, v2 offset1:4
	ds_store_2addr_stride64_b32 v14, v3, v4 offset0:8 offset1:12
	ds_store_2addr_stride64_b32 v14, v5, v6 offset0:16 offset1:20
	;; [unrolled: 1-line block ×5, first 2 shown]
	ds_store_b32 v14, v13 offset:12288
	s_waitcnt lgkmcnt(0)
	s_barrier
.LBB335_2:
	s_and_not1_b32 vcc_lo, exec_lo, s5
	s_add_i32 s4, s4, s34
	s_cbranch_vccnz .LBB335_4
; %bb.3:
	v_lshlrev_b32_e32 v14, 2, v0
	ds_store_2addr_stride64_b32 v14, v1, v2 offset1:4
	ds_store_2addr_stride64_b32 v14, v3, v4 offset0:8 offset1:12
	ds_store_2addr_stride64_b32 v14, v5, v6 offset0:16 offset1:20
	;; [unrolled: 1-line block ×5, first 2 shown]
	ds_store_b32 v14, v13 offset:12288
	s_waitcnt lgkmcnt(0)
	s_barrier
.LBB335_4:
	v_mul_u32_u24_e32 v28, 13, v0
	s_clause 0x1
	s_load_b128 s[36:39], s[0:1], 0x28
	s_load_b64 s[26:27], s[0:1], 0x38
	s_waitcnt lgkmcnt(0)
	buffer_gl0_inv
	v_cndmask_b32_e64 v26, 0, 1, s3
	s_sub_i32 s44, s2, s4
	v_lshlrev_b32_e32 v1, 2, v28
	s_and_not1_b32 vcc_lo, exec_lo, s3
	ds_load_2addr_b32 v[16:17], v1 offset1:1
	ds_load_2addr_b32 v[14:15], v1 offset0:2 offset1:3
	ds_load_2addr_b32 v[12:13], v1 offset0:4 offset1:5
	;; [unrolled: 1-line block ×5, first 2 shown]
	ds_load_b32 v27, v1 offset:48
	s_waitcnt lgkmcnt(0)
	s_barrier
	buffer_gl0_inv
	s_cbranch_vccnz .LBB335_32
; %bb.5:
	v_add_nc_u32_e32 v1, s17, v16
	v_add_nc_u32_e32 v2, s19, v16
	s_mov_b32 s46, 0
	s_mov_b32 s45, 0
	s_mov_b32 s3, exec_lo
	v_mul_lo_u32 v1, v1, s16
	v_mul_lo_u32 v2, v2, s18
	s_delay_alu instid0(VALU_DEP_1) | instskip(NEXT) | instid1(VALU_DEP_1)
	v_sub_nc_u32_e32 v1, v1, v2
	v_cmp_lt_u32_e32 vcc_lo, s20, v1
	v_cmpx_ge_u32_e64 s20, v1
; %bb.6:
	v_add_nc_u32_e32 v1, s22, v16
	v_add_nc_u32_e32 v2, s40, v16
	s_delay_alu instid0(VALU_DEP_2) | instskip(NEXT) | instid1(VALU_DEP_2)
	v_mul_lo_u32 v1, v1, s21
	v_mul_lo_u32 v2, v2, s23
	s_delay_alu instid0(VALU_DEP_1) | instskip(NEXT) | instid1(VALU_DEP_1)
	v_sub_nc_u32_e32 v1, v1, v2
	v_cmp_lt_u32_e64 s2, s41, v1
	s_delay_alu instid0(VALU_DEP_1)
	s_and_b32 s45, s2, exec_lo
; %bb.7:
	s_or_b32 exec_lo, exec_lo, s3
	v_add_nc_u32_e32 v1, s17, v17
	v_add_nc_u32_e32 v2, s19, v17
	s_mov_b32 s4, exec_lo
	s_delay_alu instid0(VALU_DEP_2) | instskip(NEXT) | instid1(VALU_DEP_2)
	v_mul_lo_u32 v1, v1, s16
	v_mul_lo_u32 v2, v2, s18
	s_delay_alu instid0(VALU_DEP_1) | instskip(NEXT) | instid1(VALU_DEP_1)
	v_sub_nc_u32_e32 v1, v1, v2
	v_cmp_lt_u32_e64 s2, s20, v1
	v_cmpx_ge_u32_e64 s20, v1
; %bb.8:
	v_add_nc_u32_e32 v1, s22, v17
	v_add_nc_u32_e32 v2, s40, v17
	s_delay_alu instid0(VALU_DEP_2) | instskip(NEXT) | instid1(VALU_DEP_2)
	v_mul_lo_u32 v1, v1, s21
	v_mul_lo_u32 v2, v2, s23
	s_delay_alu instid0(VALU_DEP_1) | instskip(NEXT) | instid1(VALU_DEP_1)
	v_sub_nc_u32_e32 v1, v1, v2
	v_cmp_lt_u32_e64 s3, s41, v1
	s_delay_alu instid0(VALU_DEP_1)
	s_and_b32 s46, s3, exec_lo
; %bb.9:
	s_or_b32 exec_lo, exec_lo, s4
	v_add_nc_u32_e32 v1, s17, v14
	v_add_nc_u32_e32 v2, s19, v14
	s_mov_b32 s48, 0
	s_mov_b32 s47, 0
	s_mov_b32 s5, exec_lo
	v_mul_lo_u32 v1, v1, s16
	v_mul_lo_u32 v2, v2, s18
	s_delay_alu instid0(VALU_DEP_1) | instskip(NEXT) | instid1(VALU_DEP_1)
	v_sub_nc_u32_e32 v1, v1, v2
	v_cmp_lt_u32_e64 s3, s20, v1
	v_cmpx_ge_u32_e64 s20, v1
; %bb.10:
	v_add_nc_u32_e32 v1, s22, v14
	v_add_nc_u32_e32 v2, s40, v14
	s_delay_alu instid0(VALU_DEP_2) | instskip(NEXT) | instid1(VALU_DEP_2)
	v_mul_lo_u32 v1, v1, s21
	v_mul_lo_u32 v2, v2, s23
	s_delay_alu instid0(VALU_DEP_1) | instskip(NEXT) | instid1(VALU_DEP_1)
	v_sub_nc_u32_e32 v1, v1, v2
	v_cmp_lt_u32_e64 s4, s41, v1
	s_delay_alu instid0(VALU_DEP_1)
	s_and_b32 s47, s4, exec_lo
; %bb.11:
	s_or_b32 exec_lo, exec_lo, s5
	v_add_nc_u32_e32 v1, s17, v15
	v_add_nc_u32_e32 v2, s19, v15
	s_mov_b32 s6, exec_lo
	s_delay_alu instid0(VALU_DEP_2) | instskip(NEXT) | instid1(VALU_DEP_2)
	v_mul_lo_u32 v1, v1, s16
	v_mul_lo_u32 v2, v2, s18
	s_delay_alu instid0(VALU_DEP_1) | instskip(NEXT) | instid1(VALU_DEP_1)
	v_sub_nc_u32_e32 v1, v1, v2
	v_cmp_lt_u32_e64 s4, s20, v1
	v_cmpx_ge_u32_e64 s20, v1
; %bb.12:
	v_add_nc_u32_e32 v1, s22, v15
	v_add_nc_u32_e32 v2, s40, v15
	s_delay_alu instid0(VALU_DEP_2) | instskip(NEXT) | instid1(VALU_DEP_2)
	v_mul_lo_u32 v1, v1, s21
	v_mul_lo_u32 v2, v2, s23
	s_delay_alu instid0(VALU_DEP_1) | instskip(NEXT) | instid1(VALU_DEP_1)
	v_sub_nc_u32_e32 v1, v1, v2
	v_cmp_lt_u32_e64 s5, s41, v1
	s_delay_alu instid0(VALU_DEP_1)
	s_and_b32 s48, s5, exec_lo
; %bb.13:
	s_or_b32 exec_lo, exec_lo, s6
	v_add_nc_u32_e32 v1, s17, v12
	v_add_nc_u32_e32 v2, s19, v12
	s_mov_b32 s50, 0
	s_mov_b32 s49, 0
	s_mov_b32 s7, exec_lo
	v_mul_lo_u32 v1, v1, s16
	v_mul_lo_u32 v2, v2, s18
	s_delay_alu instid0(VALU_DEP_1) | instskip(NEXT) | instid1(VALU_DEP_1)
	v_sub_nc_u32_e32 v1, v1, v2
	v_cmp_lt_u32_e64 s5, s20, v1
	v_cmpx_ge_u32_e64 s20, v1
; %bb.14:
	v_add_nc_u32_e32 v1, s22, v12
	v_add_nc_u32_e32 v2, s40, v12
	s_delay_alu instid0(VALU_DEP_2) | instskip(NEXT) | instid1(VALU_DEP_2)
	v_mul_lo_u32 v1, v1, s21
	v_mul_lo_u32 v2, v2, s23
	s_delay_alu instid0(VALU_DEP_1) | instskip(NEXT) | instid1(VALU_DEP_1)
	v_sub_nc_u32_e32 v1, v1, v2
	v_cmp_lt_u32_e64 s6, s41, v1
	s_delay_alu instid0(VALU_DEP_1)
	s_and_b32 s49, s6, exec_lo
; %bb.15:
	s_or_b32 exec_lo, exec_lo, s7
	v_add_nc_u32_e32 v1, s17, v13
	v_add_nc_u32_e32 v2, s19, v13
	s_mov_b32 s8, exec_lo
	s_delay_alu instid0(VALU_DEP_2) | instskip(NEXT) | instid1(VALU_DEP_2)
	v_mul_lo_u32 v1, v1, s16
	v_mul_lo_u32 v2, v2, s18
	s_delay_alu instid0(VALU_DEP_1) | instskip(NEXT) | instid1(VALU_DEP_1)
	v_sub_nc_u32_e32 v1, v1, v2
	v_cmp_lt_u32_e64 s6, s20, v1
	v_cmpx_ge_u32_e64 s20, v1
; %bb.16:
	v_add_nc_u32_e32 v1, s22, v13
	v_add_nc_u32_e32 v2, s40, v13
	s_delay_alu instid0(VALU_DEP_2) | instskip(NEXT) | instid1(VALU_DEP_2)
	v_mul_lo_u32 v1, v1, s21
	v_mul_lo_u32 v2, v2, s23
	s_delay_alu instid0(VALU_DEP_1) | instskip(NEXT) | instid1(VALU_DEP_1)
	v_sub_nc_u32_e32 v1, v1, v2
	v_cmp_lt_u32_e64 s7, s41, v1
	s_delay_alu instid0(VALU_DEP_1)
	s_and_b32 s50, s7, exec_lo
; %bb.17:
	s_or_b32 exec_lo, exec_lo, s8
	v_add_nc_u32_e32 v1, s17, v10
	v_add_nc_u32_e32 v2, s19, v10
	s_mov_b32 s52, 0
	s_mov_b32 s51, 0
	s_mov_b32 s9, exec_lo
	v_mul_lo_u32 v1, v1, s16
	v_mul_lo_u32 v2, v2, s18
	s_delay_alu instid0(VALU_DEP_1) | instskip(NEXT) | instid1(VALU_DEP_1)
	v_sub_nc_u32_e32 v1, v1, v2
	v_cmp_lt_u32_e64 s7, s20, v1
	v_cmpx_ge_u32_e64 s20, v1
; %bb.18:
	v_add_nc_u32_e32 v1, s22, v10
	v_add_nc_u32_e32 v2, s40, v10
	s_delay_alu instid0(VALU_DEP_2) | instskip(NEXT) | instid1(VALU_DEP_2)
	v_mul_lo_u32 v1, v1, s21
	v_mul_lo_u32 v2, v2, s23
	s_delay_alu instid0(VALU_DEP_1) | instskip(NEXT) | instid1(VALU_DEP_1)
	v_sub_nc_u32_e32 v1, v1, v2
	v_cmp_lt_u32_e64 s8, s41, v1
	s_delay_alu instid0(VALU_DEP_1)
	s_and_b32 s51, s8, exec_lo
; %bb.19:
	s_or_b32 exec_lo, exec_lo, s9
	v_add_nc_u32_e32 v1, s17, v11
	v_add_nc_u32_e32 v2, s19, v11
	s_mov_b32 s10, exec_lo
	s_delay_alu instid0(VALU_DEP_2) | instskip(NEXT) | instid1(VALU_DEP_2)
	v_mul_lo_u32 v1, v1, s16
	v_mul_lo_u32 v2, v2, s18
	s_delay_alu instid0(VALU_DEP_1) | instskip(NEXT) | instid1(VALU_DEP_1)
	v_sub_nc_u32_e32 v1, v1, v2
	v_cmp_lt_u32_e64 s8, s20, v1
	v_cmpx_ge_u32_e64 s20, v1
; %bb.20:
	v_add_nc_u32_e32 v1, s22, v11
	v_add_nc_u32_e32 v2, s40, v11
	s_delay_alu instid0(VALU_DEP_2) | instskip(NEXT) | instid1(VALU_DEP_2)
	v_mul_lo_u32 v1, v1, s21
	v_mul_lo_u32 v2, v2, s23
	s_delay_alu instid0(VALU_DEP_1) | instskip(NEXT) | instid1(VALU_DEP_1)
	v_sub_nc_u32_e32 v1, v1, v2
	v_cmp_lt_u32_e64 s9, s41, v1
	s_delay_alu instid0(VALU_DEP_1)
	s_and_b32 s52, s9, exec_lo
; %bb.21:
	s_or_b32 exec_lo, exec_lo, s10
	v_add_nc_u32_e32 v1, s17, v8
	v_add_nc_u32_e32 v2, s19, v8
	s_mov_b32 s55, 0
	s_mov_b32 s54, 0
	s_mov_b32 s11, exec_lo
	v_mul_lo_u32 v1, v1, s16
	v_mul_lo_u32 v2, v2, s18
	s_delay_alu instid0(VALU_DEP_1) | instskip(NEXT) | instid1(VALU_DEP_1)
	v_sub_nc_u32_e32 v1, v1, v2
	v_cmp_lt_u32_e64 s9, s20, v1
	v_cmpx_ge_u32_e64 s20, v1
; %bb.22:
	v_add_nc_u32_e32 v1, s22, v8
	v_add_nc_u32_e32 v2, s40, v8
	s_delay_alu instid0(VALU_DEP_2) | instskip(NEXT) | instid1(VALU_DEP_2)
	v_mul_lo_u32 v1, v1, s21
	v_mul_lo_u32 v2, v2, s23
	s_delay_alu instid0(VALU_DEP_1) | instskip(NEXT) | instid1(VALU_DEP_1)
	v_sub_nc_u32_e32 v1, v1, v2
	v_cmp_lt_u32_e64 s10, s41, v1
	s_delay_alu instid0(VALU_DEP_1)
	s_and_b32 s54, s10, exec_lo
; %bb.23:
	s_or_b32 exec_lo, exec_lo, s11
	v_add_nc_u32_e32 v1, s17, v9
	v_add_nc_u32_e32 v2, s19, v9
	s_mov_b32 s12, exec_lo
	s_delay_alu instid0(VALU_DEP_2) | instskip(NEXT) | instid1(VALU_DEP_2)
	v_mul_lo_u32 v1, v1, s16
	v_mul_lo_u32 v2, v2, s18
	s_delay_alu instid0(VALU_DEP_1) | instskip(NEXT) | instid1(VALU_DEP_1)
	v_sub_nc_u32_e32 v1, v1, v2
	v_cmp_lt_u32_e64 s10, s20, v1
	v_cmpx_ge_u32_e64 s20, v1
; %bb.24:
	v_add_nc_u32_e32 v1, s22, v9
	v_add_nc_u32_e32 v2, s40, v9
	s_delay_alu instid0(VALU_DEP_2) | instskip(NEXT) | instid1(VALU_DEP_2)
	v_mul_lo_u32 v1, v1, s21
	v_mul_lo_u32 v2, v2, s23
	s_delay_alu instid0(VALU_DEP_1) | instskip(NEXT) | instid1(VALU_DEP_1)
	v_sub_nc_u32_e32 v1, v1, v2
	v_cmp_lt_u32_e64 s11, s41, v1
	s_delay_alu instid0(VALU_DEP_1)
	s_and_b32 s55, s11, exec_lo
; %bb.25:
	s_or_b32 exec_lo, exec_lo, s12
	v_add_nc_u32_e32 v1, s17, v6
	v_add_nc_u32_e32 v2, s19, v6
	s_mov_b32 s56, 0
	s_mov_b32 s57, 0
	s_mov_b32 s13, exec_lo
	v_mul_lo_u32 v1, v1, s16
	v_mul_lo_u32 v2, v2, s18
	s_delay_alu instid0(VALU_DEP_1) | instskip(NEXT) | instid1(VALU_DEP_1)
	v_sub_nc_u32_e32 v1, v1, v2
	v_cmp_lt_u32_e64 s11, s20, v1
	v_cmpx_ge_u32_e64 s20, v1
; %bb.26:
	v_add_nc_u32_e32 v1, s22, v6
	v_add_nc_u32_e32 v2, s40, v6
	s_delay_alu instid0(VALU_DEP_2) | instskip(NEXT) | instid1(VALU_DEP_2)
	v_mul_lo_u32 v1, v1, s21
	v_mul_lo_u32 v2, v2, s23
	s_delay_alu instid0(VALU_DEP_1) | instskip(NEXT) | instid1(VALU_DEP_1)
	v_sub_nc_u32_e32 v1, v1, v2
	v_cmp_lt_u32_e64 s12, s41, v1
	s_delay_alu instid0(VALU_DEP_1)
	s_and_b32 s57, s12, exec_lo
; %bb.27:
	s_or_b32 exec_lo, exec_lo, s13
	v_add_nc_u32_e32 v1, s17, v7
	v_add_nc_u32_e32 v2, s19, v7
	s_mov_b32 s42, exec_lo
	s_delay_alu instid0(VALU_DEP_2) | instskip(NEXT) | instid1(VALU_DEP_2)
	v_mul_lo_u32 v1, v1, s16
	v_mul_lo_u32 v2, v2, s18
	s_delay_alu instid0(VALU_DEP_1) | instskip(NEXT) | instid1(VALU_DEP_1)
	v_sub_nc_u32_e32 v1, v1, v2
	v_cmp_lt_u32_e64 s12, s20, v1
	v_cmpx_ge_u32_e64 s20, v1
; %bb.28:
	v_add_nc_u32_e32 v1, s22, v7
	v_add_nc_u32_e32 v2, s40, v7
	s_delay_alu instid0(VALU_DEP_2) | instskip(NEXT) | instid1(VALU_DEP_2)
	v_mul_lo_u32 v1, v1, s21
	v_mul_lo_u32 v2, v2, s23
	s_delay_alu instid0(VALU_DEP_1) | instskip(NEXT) | instid1(VALU_DEP_1)
	v_sub_nc_u32_e32 v1, v1, v2
	v_cmp_lt_u32_e64 s13, s41, v1
	s_delay_alu instid0(VALU_DEP_1)
	s_and_b32 s56, s13, exec_lo
; %bb.29:
	s_or_b32 exec_lo, exec_lo, s42
	v_add_nc_u32_e32 v1, s17, v27
	v_add_nc_u32_e32 v2, s19, v27
	s_mov_b32 s42, -1
	s_mov_b32 s53, 0
	s_mov_b32 s43, 0
	v_mul_lo_u32 v1, v1, s16
	v_mul_lo_u32 v2, v2, s18
	s_mov_b32 s58, exec_lo
	s_delay_alu instid0(VALU_DEP_1) | instskip(NEXT) | instid1(VALU_DEP_1)
	v_sub_nc_u32_e32 v1, v1, v2
	v_cmpx_ge_u32_e64 s20, v1
; %bb.30:
	v_add_nc_u32_e32 v1, s22, v27
	v_add_nc_u32_e32 v2, s40, v27
	s_xor_b32 s42, exec_lo, -1
	s_delay_alu instid0(VALU_DEP_2) | instskip(NEXT) | instid1(VALU_DEP_2)
	v_mul_lo_u32 v1, v1, s21
	v_mul_lo_u32 v2, v2, s23
	s_delay_alu instid0(VALU_DEP_1) | instskip(NEXT) | instid1(VALU_DEP_1)
	v_sub_nc_u32_e32 v1, v1, v2
	v_cmp_lt_u32_e64 s13, s41, v1
	s_delay_alu instid0(VALU_DEP_1)
	s_and_b32 s43, s13, exec_lo
; %bb.31:
	s_or_b32 exec_lo, exec_lo, s58
	v_cndmask_b32_e64 v48, 0, 1, s57
	v_cndmask_b32_e64 v51, 0, 1, s12
	;; [unrolled: 1-line block ×22, first 2 shown]
	v_cndmask_b32_e64 v29, 0, 1, vcc_lo
	v_cndmask_b32_e64 v52, 0, 1, s56
	s_load_b64 s[4:5], s[0:1], 0x78
	s_and_b32 vcc_lo, exec_lo, s53
	s_add_i32 s3, s44, 0xd00
	s_cbranch_vccnz .LBB335_33
	s_branch .LBB335_86
.LBB335_32:
                                        ; implicit-def: $sgpr42
                                        ; implicit-def: $sgpr43
                                        ; implicit-def: $vgpr52
                                        ; implicit-def: $vgpr48
                                        ; implicit-def: $vgpr47
                                        ; implicit-def: $vgpr45
                                        ; implicit-def: $vgpr43
                                        ; implicit-def: $vgpr40
                                        ; implicit-def: $vgpr39
                                        ; implicit-def: $vgpr37
                                        ; implicit-def: $vgpr35
                                        ; implicit-def: $vgpr29
                                        ; implicit-def: $vgpr33
                                        ; implicit-def: $vgpr31
                                        ; implicit-def: $vgpr32
                                        ; implicit-def: $vgpr38
                                        ; implicit-def: $vgpr41
                                        ; implicit-def: $vgpr42
                                        ; implicit-def: $vgpr44
                                        ; implicit-def: $vgpr46
                                        ; implicit-def: $vgpr49
                                        ; implicit-def: $vgpr50
                                        ; implicit-def: $vgpr51
                                        ; implicit-def: $vgpr30
                                        ; implicit-def: $vgpr34
                                        ; implicit-def: $vgpr36
	s_load_b64 s[4:5], s[0:1], 0x78
	s_add_i32 s3, s44, 0xd00
	s_cbranch_execz .LBB335_86
.LBB335_33:
	v_dual_mov_b32 v30, 0 :: v_dual_mov_b32 v29, 0
	s_mov_b32 s2, 0
	s_mov_b32 s1, exec_lo
	v_cmpx_gt_u32_e64 s3, v28
	s_cbranch_execz .LBB335_37
; %bb.34:
	v_add_nc_u32_e32 v1, s17, v16
	v_add_nc_u32_e32 v2, s19, v16
	s_mov_b32 s6, exec_lo
	s_delay_alu instid0(VALU_DEP_2) | instskip(NEXT) | instid1(VALU_DEP_2)
	v_mul_lo_u32 v1, v1, s16
	v_mul_lo_u32 v2, v2, s18
	s_delay_alu instid0(VALU_DEP_1) | instskip(NEXT) | instid1(VALU_DEP_1)
	v_sub_nc_u32_e32 v1, v1, v2
	v_cmp_lt_u32_e32 vcc_lo, s20, v1
	v_cmpx_ge_u32_e64 s20, v1
; %bb.35:
	v_add_nc_u32_e32 v1, s22, v16
	v_add_nc_u32_e32 v2, s40, v16
	s_delay_alu instid0(VALU_DEP_2) | instskip(NEXT) | instid1(VALU_DEP_2)
	v_mul_lo_u32 v1, v1, s21
	v_mul_lo_u32 v2, v2, s23
	s_delay_alu instid0(VALU_DEP_1) | instskip(NEXT) | instid1(VALU_DEP_1)
	v_sub_nc_u32_e32 v1, v1, v2
	v_cmp_lt_u32_e64 s0, s41, v1
	s_delay_alu instid0(VALU_DEP_1)
	s_and_b32 s2, s0, exec_lo
; %bb.36:
	s_or_b32 exec_lo, exec_lo, s6
	v_cndmask_b32_e64 v29, 0, 1, vcc_lo
	v_cndmask_b32_e64 v30, 0, 1, s2
.LBB335_37:
	s_or_b32 exec_lo, exec_lo, s1
	v_dual_mov_b32 v34, 0 :: v_dual_add_nc_u32 v1, 1, v28
	v_mov_b32_e32 v33, 0
	s_mov_b32 s2, 0
	s_mov_b32 s1, exec_lo
	s_delay_alu instid0(VALU_DEP_2)
	v_cmpx_gt_u32_e64 s3, v1
	s_cbranch_execz .LBB335_41
; %bb.38:
	v_add_nc_u32_e32 v1, s17, v17
	v_add_nc_u32_e32 v2, s19, v17
	s_mov_b32 s6, exec_lo
	s_delay_alu instid0(VALU_DEP_2) | instskip(NEXT) | instid1(VALU_DEP_2)
	v_mul_lo_u32 v1, v1, s16
	v_mul_lo_u32 v2, v2, s18
	s_delay_alu instid0(VALU_DEP_1) | instskip(NEXT) | instid1(VALU_DEP_1)
	v_sub_nc_u32_e32 v1, v1, v2
	v_cmp_lt_u32_e32 vcc_lo, s20, v1
	v_cmpx_ge_u32_e64 s20, v1
; %bb.39:
	v_add_nc_u32_e32 v1, s22, v17
	v_add_nc_u32_e32 v2, s40, v17
	s_delay_alu instid0(VALU_DEP_2) | instskip(NEXT) | instid1(VALU_DEP_2)
	v_mul_lo_u32 v1, v1, s21
	v_mul_lo_u32 v2, v2, s23
	s_delay_alu instid0(VALU_DEP_1) | instskip(NEXT) | instid1(VALU_DEP_1)
	v_sub_nc_u32_e32 v1, v1, v2
	v_cmp_lt_u32_e64 s0, s41, v1
	s_delay_alu instid0(VALU_DEP_1)
	s_and_b32 s2, s0, exec_lo
; %bb.40:
	s_or_b32 exec_lo, exec_lo, s6
	v_cndmask_b32_e64 v33, 0, 1, vcc_lo
	v_cndmask_b32_e64 v34, 0, 1, s2
.LBB335_41:
	s_or_b32 exec_lo, exec_lo, s1
	v_dual_mov_b32 v36, 0 :: v_dual_add_nc_u32 v1, 2, v28
	v_mov_b32_e32 v31, 0
	s_mov_b32 s2, 0
	s_mov_b32 s1, exec_lo
	s_delay_alu instid0(VALU_DEP_2)
	;; [unrolled: 35-line block ×4, first 2 shown]
	v_cmpx_gt_u32_e64 s3, v1
	s_cbranch_execz .LBB335_53
; %bb.50:
	v_add_nc_u32_e32 v1, s17, v12
	v_add_nc_u32_e32 v2, s19, v12
	s_mov_b32 s6, exec_lo
	s_delay_alu instid0(VALU_DEP_2) | instskip(NEXT) | instid1(VALU_DEP_2)
	v_mul_lo_u32 v1, v1, s16
	v_mul_lo_u32 v2, v2, s18
	s_delay_alu instid0(VALU_DEP_1) | instskip(NEXT) | instid1(VALU_DEP_1)
	v_sub_nc_u32_e32 v1, v1, v2
	v_cmp_lt_u32_e32 vcc_lo, s20, v1
	v_cmpx_ge_u32_e64 s20, v1
; %bb.51:
	v_add_nc_u32_e32 v1, s22, v12
	v_add_nc_u32_e32 v2, s40, v12
	s_delay_alu instid0(VALU_DEP_2) | instskip(NEXT) | instid1(VALU_DEP_2)
	v_mul_lo_u32 v1, v1, s21
	v_mul_lo_u32 v2, v2, s23
	s_delay_alu instid0(VALU_DEP_1) | instskip(NEXT) | instid1(VALU_DEP_1)
	v_sub_nc_u32_e32 v1, v1, v2
	v_cmp_lt_u32_e64 s0, s41, v1
	s_delay_alu instid0(VALU_DEP_1)
	s_and_b32 s2, s0, exec_lo
; %bb.52:
	s_or_b32 exec_lo, exec_lo, s6
	v_cndmask_b32_e64 v38, 0, 1, vcc_lo
	v_cndmask_b32_e64 v37, 0, 1, s2
.LBB335_53:
	s_or_b32 exec_lo, exec_lo, s1
	v_add_nc_u32_e32 v1, 5, v28
	v_mov_b32_e32 v39, 0
	v_mov_b32_e32 v41, 0
	s_mov_b32 s2, 0
	s_mov_b32 s1, exec_lo
	v_cmpx_gt_u32_e64 s3, v1
	s_cbranch_execz .LBB335_57
; %bb.54:
	v_add_nc_u32_e32 v1, s17, v13
	v_add_nc_u32_e32 v2, s19, v13
	s_mov_b32 s6, exec_lo
	s_delay_alu instid0(VALU_DEP_2) | instskip(NEXT) | instid1(VALU_DEP_2)
	v_mul_lo_u32 v1, v1, s16
	v_mul_lo_u32 v2, v2, s18
	s_delay_alu instid0(VALU_DEP_1) | instskip(NEXT) | instid1(VALU_DEP_1)
	v_sub_nc_u32_e32 v1, v1, v2
	v_cmp_lt_u32_e32 vcc_lo, s20, v1
	v_cmpx_ge_u32_e64 s20, v1
; %bb.55:
	v_add_nc_u32_e32 v1, s22, v13
	v_add_nc_u32_e32 v2, s40, v13
	s_delay_alu instid0(VALU_DEP_2) | instskip(NEXT) | instid1(VALU_DEP_2)
	v_mul_lo_u32 v1, v1, s21
	v_mul_lo_u32 v2, v2, s23
	s_delay_alu instid0(VALU_DEP_1) | instskip(NEXT) | instid1(VALU_DEP_1)
	v_sub_nc_u32_e32 v1, v1, v2
	v_cmp_lt_u32_e64 s0, s41, v1
	s_delay_alu instid0(VALU_DEP_1)
	s_and_b32 s2, s0, exec_lo
; %bb.56:
	s_or_b32 exec_lo, exec_lo, s6
	v_cndmask_b32_e64 v41, 0, 1, vcc_lo
	v_cndmask_b32_e64 v39, 0, 1, s2
.LBB335_57:
	s_or_b32 exec_lo, exec_lo, s1
	v_dual_mov_b32 v40, 0 :: v_dual_add_nc_u32 v1, 6, v28
	v_mov_b32_e32 v42, 0
	s_mov_b32 s2, 0
	s_mov_b32 s1, exec_lo
	s_delay_alu instid0(VALU_DEP_2)
	v_cmpx_gt_u32_e64 s3, v1
	s_cbranch_execz .LBB335_61
; %bb.58:
	v_add_nc_u32_e32 v1, s17, v10
	v_add_nc_u32_e32 v2, s19, v10
	s_mov_b32 s6, exec_lo
	s_delay_alu instid0(VALU_DEP_2) | instskip(NEXT) | instid1(VALU_DEP_2)
	v_mul_lo_u32 v1, v1, s16
	v_mul_lo_u32 v2, v2, s18
	s_delay_alu instid0(VALU_DEP_1) | instskip(NEXT) | instid1(VALU_DEP_1)
	v_sub_nc_u32_e32 v1, v1, v2
	v_cmp_lt_u32_e32 vcc_lo, s20, v1
	v_cmpx_ge_u32_e64 s20, v1
; %bb.59:
	v_add_nc_u32_e32 v1, s22, v10
	v_add_nc_u32_e32 v2, s40, v10
	s_delay_alu instid0(VALU_DEP_2) | instskip(NEXT) | instid1(VALU_DEP_2)
	v_mul_lo_u32 v1, v1, s21
	v_mul_lo_u32 v2, v2, s23
	s_delay_alu instid0(VALU_DEP_1) | instskip(NEXT) | instid1(VALU_DEP_1)
	v_sub_nc_u32_e32 v1, v1, v2
	v_cmp_lt_u32_e64 s0, s41, v1
	s_delay_alu instid0(VALU_DEP_1)
	s_and_b32 s2, s0, exec_lo
; %bb.60:
	s_or_b32 exec_lo, exec_lo, s6
	v_cndmask_b32_e64 v42, 0, 1, vcc_lo
	v_cndmask_b32_e64 v40, 0, 1, s2
.LBB335_61:
	s_or_b32 exec_lo, exec_lo, s1
	v_dual_mov_b32 v44, 0 :: v_dual_add_nc_u32 v1, 7, v28
	v_mov_b32_e32 v43, 0
	s_mov_b32 s2, 0
	s_mov_b32 s1, exec_lo
	s_delay_alu instid0(VALU_DEP_2)
	v_cmpx_gt_u32_e64 s3, v1
	s_cbranch_execz .LBB335_65
; %bb.62:
	v_add_nc_u32_e32 v1, s17, v11
	v_add_nc_u32_e32 v2, s19, v11
	s_mov_b32 s6, exec_lo
	s_delay_alu instid0(VALU_DEP_2) | instskip(NEXT) | instid1(VALU_DEP_2)
	v_mul_lo_u32 v1, v1, s16
	v_mul_lo_u32 v2, v2, s18
	s_delay_alu instid0(VALU_DEP_1) | instskip(NEXT) | instid1(VALU_DEP_1)
	v_sub_nc_u32_e32 v1, v1, v2
	v_cmp_lt_u32_e32 vcc_lo, s20, v1
	v_cmpx_ge_u32_e64 s20, v1
; %bb.63:
	v_add_nc_u32_e32 v1, s22, v11
	v_add_nc_u32_e32 v2, s40, v11
	s_delay_alu instid0(VALU_DEP_2) | instskip(NEXT) | instid1(VALU_DEP_2)
	v_mul_lo_u32 v1, v1, s21
	v_mul_lo_u32 v2, v2, s23
	s_delay_alu instid0(VALU_DEP_1) | instskip(NEXT) | instid1(VALU_DEP_1)
	v_sub_nc_u32_e32 v1, v1, v2
	v_cmp_lt_u32_e64 s0, s41, v1
	s_delay_alu instid0(VALU_DEP_1)
	s_and_b32 s2, s0, exec_lo
; %bb.64:
	s_or_b32 exec_lo, exec_lo, s6
	v_cndmask_b32_e64 v44, 0, 1, vcc_lo
	v_cndmask_b32_e64 v43, 0, 1, s2
.LBB335_65:
	s_or_b32 exec_lo, exec_lo, s1
	v_dual_mov_b32 v46, 0 :: v_dual_add_nc_u32 v1, 8, v28
	v_mov_b32_e32 v45, 0
	s_mov_b32 s2, 0
	s_mov_b32 s1, exec_lo
	s_delay_alu instid0(VALU_DEP_2)
	v_cmpx_gt_u32_e64 s3, v1
	s_cbranch_execz .LBB335_69
; %bb.66:
	v_add_nc_u32_e32 v1, s17, v8
	v_add_nc_u32_e32 v2, s19, v8
	s_mov_b32 s6, exec_lo
	s_delay_alu instid0(VALU_DEP_2) | instskip(NEXT) | instid1(VALU_DEP_2)
	v_mul_lo_u32 v1, v1, s16
	v_mul_lo_u32 v2, v2, s18
	s_delay_alu instid0(VALU_DEP_1) | instskip(NEXT) | instid1(VALU_DEP_1)
	v_sub_nc_u32_e32 v1, v1, v2
	v_cmp_lt_u32_e32 vcc_lo, s20, v1
	v_cmpx_ge_u32_e64 s20, v1
; %bb.67:
	v_add_nc_u32_e32 v1, s22, v8
	v_add_nc_u32_e32 v2, s40, v8
	s_delay_alu instid0(VALU_DEP_2) | instskip(NEXT) | instid1(VALU_DEP_2)
	v_mul_lo_u32 v1, v1, s21
	v_mul_lo_u32 v2, v2, s23
	s_delay_alu instid0(VALU_DEP_1) | instskip(NEXT) | instid1(VALU_DEP_1)
	v_sub_nc_u32_e32 v1, v1, v2
	v_cmp_lt_u32_e64 s0, s41, v1
	s_delay_alu instid0(VALU_DEP_1)
	s_and_b32 s2, s0, exec_lo
; %bb.68:
	s_or_b32 exec_lo, exec_lo, s6
	v_cndmask_b32_e64 v46, 0, 1, vcc_lo
	v_cndmask_b32_e64 v45, 0, 1, s2
.LBB335_69:
	s_or_b32 exec_lo, exec_lo, s1
	v_add_nc_u32_e32 v1, 9, v28
	v_mov_b32_e32 v47, 0
	v_mov_b32_e32 v49, 0
	s_mov_b32 s2, 0
	s_mov_b32 s1, exec_lo
	v_cmpx_gt_u32_e64 s3, v1
	s_cbranch_execz .LBB335_73
; %bb.70:
	v_add_nc_u32_e32 v1, s17, v9
	v_add_nc_u32_e32 v2, s19, v9
	s_mov_b32 s6, exec_lo
	s_delay_alu instid0(VALU_DEP_2) | instskip(NEXT) | instid1(VALU_DEP_2)
	v_mul_lo_u32 v1, v1, s16
	v_mul_lo_u32 v2, v2, s18
	s_delay_alu instid0(VALU_DEP_1) | instskip(NEXT) | instid1(VALU_DEP_1)
	v_sub_nc_u32_e32 v1, v1, v2
	v_cmp_lt_u32_e32 vcc_lo, s20, v1
	v_cmpx_ge_u32_e64 s20, v1
; %bb.71:
	v_add_nc_u32_e32 v1, s22, v9
	v_add_nc_u32_e32 v2, s40, v9
	s_delay_alu instid0(VALU_DEP_2) | instskip(NEXT) | instid1(VALU_DEP_2)
	v_mul_lo_u32 v1, v1, s21
	v_mul_lo_u32 v2, v2, s23
	s_delay_alu instid0(VALU_DEP_1) | instskip(NEXT) | instid1(VALU_DEP_1)
	v_sub_nc_u32_e32 v1, v1, v2
	v_cmp_lt_u32_e64 s0, s41, v1
	s_delay_alu instid0(VALU_DEP_1)
	s_and_b32 s2, s0, exec_lo
; %bb.72:
	s_or_b32 exec_lo, exec_lo, s6
	v_cndmask_b32_e64 v49, 0, 1, vcc_lo
	v_cndmask_b32_e64 v47, 0, 1, s2
.LBB335_73:
	s_or_b32 exec_lo, exec_lo, s1
	v_dual_mov_b32 v48, 0 :: v_dual_add_nc_u32 v1, 10, v28
	v_mov_b32_e32 v50, 0
	s_mov_b32 s2, 0
	s_mov_b32 s1, exec_lo
	s_delay_alu instid0(VALU_DEP_2)
	v_cmpx_gt_u32_e64 s3, v1
	s_cbranch_execz .LBB335_77
; %bb.74:
	v_add_nc_u32_e32 v1, s17, v6
	v_add_nc_u32_e32 v2, s19, v6
	s_mov_b32 s6, exec_lo
	s_delay_alu instid0(VALU_DEP_2) | instskip(NEXT) | instid1(VALU_DEP_2)
	v_mul_lo_u32 v1, v1, s16
	v_mul_lo_u32 v2, v2, s18
	s_delay_alu instid0(VALU_DEP_1) | instskip(NEXT) | instid1(VALU_DEP_1)
	v_sub_nc_u32_e32 v1, v1, v2
	v_cmp_lt_u32_e32 vcc_lo, s20, v1
	v_cmpx_ge_u32_e64 s20, v1
; %bb.75:
	v_add_nc_u32_e32 v1, s22, v6
	v_add_nc_u32_e32 v2, s40, v6
	s_delay_alu instid0(VALU_DEP_2) | instskip(NEXT) | instid1(VALU_DEP_2)
	v_mul_lo_u32 v1, v1, s21
	v_mul_lo_u32 v2, v2, s23
	s_delay_alu instid0(VALU_DEP_1) | instskip(NEXT) | instid1(VALU_DEP_1)
	v_sub_nc_u32_e32 v1, v1, v2
	v_cmp_lt_u32_e64 s0, s41, v1
	s_delay_alu instid0(VALU_DEP_1)
	s_and_b32 s2, s0, exec_lo
; %bb.76:
	s_or_b32 exec_lo, exec_lo, s6
	v_cndmask_b32_e64 v50, 0, 1, vcc_lo
	v_cndmask_b32_e64 v48, 0, 1, s2
.LBB335_77:
	s_or_b32 exec_lo, exec_lo, s1
	v_dual_mov_b32 v52, 0 :: v_dual_add_nc_u32 v1, 11, v28
	v_mov_b32_e32 v51, 0
	s_mov_b32 s2, 0
	s_mov_b32 s1, exec_lo
	s_delay_alu instid0(VALU_DEP_2)
	v_cmpx_gt_u32_e64 s3, v1
	s_cbranch_execz .LBB335_81
; %bb.78:
	v_add_nc_u32_e32 v1, s17, v7
	v_add_nc_u32_e32 v2, s19, v7
	s_mov_b32 s6, exec_lo
	s_delay_alu instid0(VALU_DEP_2) | instskip(NEXT) | instid1(VALU_DEP_2)
	v_mul_lo_u32 v1, v1, s16
	v_mul_lo_u32 v2, v2, s18
	s_delay_alu instid0(VALU_DEP_1) | instskip(NEXT) | instid1(VALU_DEP_1)
	v_sub_nc_u32_e32 v1, v1, v2
	v_cmp_lt_u32_e32 vcc_lo, s20, v1
	v_cmpx_ge_u32_e64 s20, v1
; %bb.79:
	v_add_nc_u32_e32 v1, s22, v7
	v_add_nc_u32_e32 v2, s40, v7
	s_delay_alu instid0(VALU_DEP_2) | instskip(NEXT) | instid1(VALU_DEP_2)
	v_mul_lo_u32 v1, v1, s21
	v_mul_lo_u32 v2, v2, s23
	s_delay_alu instid0(VALU_DEP_1) | instskip(NEXT) | instid1(VALU_DEP_1)
	v_sub_nc_u32_e32 v1, v1, v2
	v_cmp_lt_u32_e64 s0, s41, v1
	s_delay_alu instid0(VALU_DEP_1)
	s_and_b32 s2, s0, exec_lo
; %bb.80:
	s_or_b32 exec_lo, exec_lo, s6
	v_cndmask_b32_e64 v51, 0, 1, vcc_lo
	v_cndmask_b32_e64 v52, 0, 1, s2
.LBB335_81:
	s_or_b32 exec_lo, exec_lo, s1
	v_add_nc_u32_e32 v1, 12, v28
	s_mov_b32 s42, 0
	s_mov_b32 s43, 0
	s_mov_b32 s0, exec_lo
	s_delay_alu instid0(VALU_DEP_1)
	v_cmpx_gt_u32_e64 s3, v1
	s_cbranch_execz .LBB335_85
; %bb.82:
	v_add_nc_u32_e32 v1, s17, v27
	v_add_nc_u32_e32 v2, s19, v27
	s_mov_b32 s2, -1
	s_mov_b32 s6, 0
	s_mov_b32 s1, exec_lo
	v_mul_lo_u32 v1, v1, s16
	v_mul_lo_u32 v2, v2, s18
	s_delay_alu instid0(VALU_DEP_1) | instskip(NEXT) | instid1(VALU_DEP_1)
	v_sub_nc_u32_e32 v1, v1, v2
	v_cmpx_ge_u32_e64 s20, v1
; %bb.83:
	v_add_nc_u32_e32 v1, s22, v27
	v_add_nc_u32_e32 v2, s40, v27
	s_xor_b32 s2, exec_lo, -1
	s_delay_alu instid0(VALU_DEP_2) | instskip(NEXT) | instid1(VALU_DEP_2)
	v_mul_lo_u32 v1, v1, s21
	v_mul_lo_u32 v2, v2, s23
	s_delay_alu instid0(VALU_DEP_1) | instskip(NEXT) | instid1(VALU_DEP_1)
	v_sub_nc_u32_e32 v1, v1, v2
	v_cmp_lt_u32_e32 vcc_lo, s41, v1
	s_and_b32 s6, vcc_lo, exec_lo
; %bb.84:
	s_or_b32 exec_lo, exec_lo, s1
	s_delay_alu instid0(SALU_CYCLE_1)
	s_and_b32 s43, s6, exec_lo
	s_and_b32 s42, s2, exec_lo
.LBB335_85:
	s_or_b32 exec_lo, exec_lo, s0
.LBB335_86:
	v_and_b32_e32 v75, 0xff, v29
	v_and_b32_e32 v76, 0xff, v30
	;; [unrolled: 1-line block ×10, first 2 shown]
	v_add3_u32 v1, v71, v73, v75
	v_add3_u32 v2, v72, v74, v76
	v_and_b32_e32 v65, 0xff, v41
	v_and_b32_e32 v66, 0xff, v39
	v_and_b32_e32 v61, 0xff, v42
	v_and_b32_e32 v62, 0xff, v40
	v_add3_u32 v1, v1, v69, v67
	v_add3_u32 v2, v2, v70, v68
	v_and_b32_e32 v63, 0xff, v44
	v_and_b32_e32 v64, 0xff, v43
	v_and_b32_e32 v59, 0xff, v46
	v_and_b32_e32 v60, 0xff, v45
	;; [unrolled: 6-line block ×3, first 2 shown]
	v_add3_u32 v1, v1, v63, v59
	v_add3_u32 v2, v2, v64, v60
	v_mbcnt_lo_u32_b32 v77, -1, 0
	v_and_b32_e32 v53, 0xff, v51
	v_and_b32_e32 v54, 0xff, v52
	v_cndmask_b32_e64 v3, 0, 1, s43
	v_add3_u32 v1, v1, v57, v55
	v_cndmask_b32_e64 v4, 0, 1, s42
	v_add3_u32 v2, v2, v58, v56
	v_and_b32_e32 v81, 15, v77
	v_and_b32_e32 v80, 16, v77
	v_lshrrev_b32_e32 v78, 5, v0
	v_add3_u32 v82, v1, v53, v4
	v_add3_u32 v83, v2, v54, v3
	v_cmp_eq_u32_e64 s1, 0, v81
	v_cmp_lt_u32_e64 s0, 1, v81
	v_cmp_lt_u32_e64 s2, 3, v81
	v_cmp_lt_u32_e32 vcc_lo, 7, v81
	v_or_b32_e32 v79, 31, v0
	s_cmp_lg_u32 s15, 0
	s_mov_b32 s6, -1
	s_cbranch_scc0 .LBB335_114
; %bb.87:
	v_mov_b32_dpp v1, v83 row_shr:1 row_mask:0xf bank_mask:0xf
	v_mov_b32_dpp v2, v82 row_shr:1 row_mask:0xf bank_mask:0xf
	s_delay_alu instid0(VALU_DEP_2) | instskip(NEXT) | instid1(VALU_DEP_1)
	v_add_nc_u32_e32 v1, v1, v83
	v_cndmask_b32_e64 v1, v1, v83, s1
	s_delay_alu instid0(VALU_DEP_1) | instskip(NEXT) | instid1(VALU_DEP_1)
	v_mov_b32_dpp v3, v1 row_shr:2 row_mask:0xf bank_mask:0xf
	v_add_nc_u32_e32 v3, v1, v3
	s_delay_alu instid0(VALU_DEP_1) | instskip(NEXT) | instid1(VALU_DEP_1)
	v_cndmask_b32_e64 v1, v1, v3, s0
	v_mov_b32_dpp v3, v1 row_shr:4 row_mask:0xf bank_mask:0xf
	s_delay_alu instid0(VALU_DEP_1) | instskip(NEXT) | instid1(VALU_DEP_1)
	v_add_nc_u32_e32 v3, v1, v3
	v_cndmask_b32_e64 v1, v1, v3, s2
	s_delay_alu instid0(VALU_DEP_1) | instskip(NEXT) | instid1(VALU_DEP_1)
	v_mov_b32_dpp v3, v1 row_shr:8 row_mask:0xf bank_mask:0xf
	v_add_nc_u32_e32 v3, v1, v3
	s_delay_alu instid0(VALU_DEP_1) | instskip(NEXT) | instid1(VALU_DEP_1)
	v_dual_cndmask_b32 v1, v1, v3 :: v_dual_add_nc_u32 v2, v2, v82
	v_cndmask_b32_e64 v2, v2, v82, s1
	s_delay_alu instid0(VALU_DEP_1) | instskip(NEXT) | instid1(VALU_DEP_1)
	v_mov_b32_dpp v4, v2 row_shr:2 row_mask:0xf bank_mask:0xf
	v_add_nc_u32_e32 v4, v2, v4
	s_delay_alu instid0(VALU_DEP_1) | instskip(NEXT) | instid1(VALU_DEP_1)
	v_cndmask_b32_e64 v2, v2, v4, s0
	v_mov_b32_dpp v4, v2 row_shr:4 row_mask:0xf bank_mask:0xf
	s_delay_alu instid0(VALU_DEP_1) | instskip(NEXT) | instid1(VALU_DEP_1)
	v_add_nc_u32_e32 v4, v2, v4
	v_cndmask_b32_e64 v2, v2, v4, s2
	s_mov_b32 s2, exec_lo
	s_delay_alu instid0(VALU_DEP_1) | instskip(NEXT) | instid1(VALU_DEP_1)
	v_mov_b32_dpp v4, v2 row_shr:8 row_mask:0xf bank_mask:0xf
	v_add_nc_u32_e32 v4, v2, v4
	s_delay_alu instid0(VALU_DEP_1)
	v_cndmask_b32_e32 v3, v2, v4, vcc_lo
	ds_swizzle_b32 v2, v1 offset:swizzle(BROADCAST,32,15)
	v_cmp_eq_u32_e32 vcc_lo, 0, v80
	s_waitcnt lgkmcnt(0)
	v_add_nc_u32_e32 v2, v1, v2
	ds_swizzle_b32 v4, v3 offset:swizzle(BROADCAST,32,15)
	v_cndmask_b32_e32 v2, v2, v1, vcc_lo
	s_waitcnt lgkmcnt(0)
	v_add_nc_u32_e32 v4, v3, v4
	s_delay_alu instid0(VALU_DEP_1)
	v_cndmask_b32_e32 v1, v4, v3, vcc_lo
	v_cmpx_eq_u32_e64 v79, v0
	s_cbranch_execz .LBB335_89
; %bb.88:
	v_lshlrev_b32_e32 v3, 3, v78
	ds_store_b64 v3, v[1:2]
.LBB335_89:
	s_or_b32 exec_lo, exec_lo, s2
	s_delay_alu instid0(SALU_CYCLE_1)
	s_mov_b32 s2, exec_lo
	s_waitcnt lgkmcnt(0)
	s_barrier
	buffer_gl0_inv
	v_cmpx_gt_u32_e32 8, v0
	s_cbranch_execz .LBB335_91
; %bb.90:
	v_lshlrev_b32_e32 v5, 3, v0
	ds_load_b64 v[3:4], v5
	s_waitcnt lgkmcnt(0)
	v_mov_b32_dpp v18, v3 row_shr:1 row_mask:0xf bank_mask:0xf
	v_mov_b32_dpp v19, v4 row_shr:1 row_mask:0xf bank_mask:0xf
	s_delay_alu instid0(VALU_DEP_2) | instskip(SKIP_1) | instid1(VALU_DEP_3)
	v_add_nc_u32_e32 v18, v18, v3
	v_and_b32_e32 v20, 7, v77
	v_add_nc_u32_e32 v19, v19, v4
	s_delay_alu instid0(VALU_DEP_2) | instskip(NEXT) | instid1(VALU_DEP_2)
	v_cmp_eq_u32_e32 vcc_lo, 0, v20
	v_dual_cndmask_b32 v4, v19, v4 :: v_dual_cndmask_b32 v3, v18, v3
	v_cmp_lt_u32_e32 vcc_lo, 1, v20
	s_delay_alu instid0(VALU_DEP_2) | instskip(NEXT) | instid1(VALU_DEP_3)
	v_mov_b32_dpp v19, v4 row_shr:2 row_mask:0xf bank_mask:0xf
	v_mov_b32_dpp v18, v3 row_shr:2 row_mask:0xf bank_mask:0xf
	s_delay_alu instid0(VALU_DEP_2) | instskip(NEXT) | instid1(VALU_DEP_2)
	v_add_nc_u32_e32 v19, v4, v19
	v_add_nc_u32_e32 v18, v3, v18
	s_delay_alu instid0(VALU_DEP_1) | instskip(SKIP_1) | instid1(VALU_DEP_2)
	v_dual_cndmask_b32 v4, v4, v19 :: v_dual_cndmask_b32 v3, v3, v18
	v_cmp_lt_u32_e32 vcc_lo, 3, v20
	v_mov_b32_dpp v19, v4 row_shr:4 row_mask:0xf bank_mask:0xf
	s_delay_alu instid0(VALU_DEP_3) | instskip(NEXT) | instid1(VALU_DEP_1)
	v_mov_b32_dpp v18, v3 row_shr:4 row_mask:0xf bank_mask:0xf
	v_dual_cndmask_b32 v19, 0, v19 :: v_dual_cndmask_b32 v18, 0, v18
	s_delay_alu instid0(VALU_DEP_1) | instskip(NEXT) | instid1(VALU_DEP_2)
	v_add_nc_u32_e32 v4, v19, v4
	v_add_nc_u32_e32 v3, v18, v3
	ds_store_b64 v5, v[3:4]
.LBB335_91:
	s_or_b32 exec_lo, exec_lo, s2
	v_cmp_gt_u32_e32 vcc_lo, 32, v0
	v_cmp_lt_u32_e64 s2, 31, v0
	s_waitcnt lgkmcnt(0)
	s_barrier
	buffer_gl0_inv
                                        ; implicit-def: $vgpr19
	s_and_saveexec_b32 s6, s2
	s_delay_alu instid0(SALU_CYCLE_1)
	s_xor_b32 s2, exec_lo, s6
	s_cbranch_execz .LBB335_93
; %bb.92:
	v_lshl_add_u32 v3, v78, 3, -8
	ds_load_b64 v[18:19], v3
	s_waitcnt lgkmcnt(0)
	v_add_nc_u32_e32 v2, v19, v2
	v_add_nc_u32_e32 v1, v18, v1
.LBB335_93:
	s_and_not1_saveexec_b32 s2, s2
; %bb.94:
                                        ; implicit-def: $vgpr18
; %bb.95:
	s_delay_alu instid0(SALU_CYCLE_1) | instskip(SKIP_1) | instid1(VALU_DEP_1)
	s_or_b32 exec_lo, exec_lo, s2
	v_add_nc_u32_e32 v3, -1, v77
	v_cmp_gt_i32_e64 s2, 0, v3
	s_delay_alu instid0(VALU_DEP_1) | instskip(SKIP_1) | instid1(VALU_DEP_2)
	v_cndmask_b32_e64 v3, v3, v77, s2
	v_cmp_eq_u32_e64 s2, 0, v77
	v_lshlrev_b32_e32 v3, 2, v3
	ds_bpermute_b32 v84, v3, v1
	ds_bpermute_b32 v85, v3, v2
	s_and_saveexec_b32 s6, vcc_lo
	s_cbranch_execz .LBB335_113
; %bb.96:
	v_mov_b32_e32 v4, 0
	ds_load_b64 v[1:2], v4 offset:56
	s_waitcnt lgkmcnt(0)
	v_readfirstlane_b32 s7, v2
	s_and_saveexec_b32 s8, s2
	s_cbranch_execz .LBB335_98
; %bb.97:
	s_add_i32 s10, s15, 32
	s_mov_b32 s11, 0
	v_mov_b32_e32 v3, 1
	s_lshl_b64 s[12:13], s[10:11], 4
	s_mov_b32 s16, s11
	s_add_u32 s12, s4, s12
	s_addc_u32 s13, s5, s13
	s_and_b32 s17, s7, 0xff000000
	s_and_b32 s19, s7, 0xff0000
	s_mov_b32 s18, s11
	v_dual_mov_b32 v21, s13 :: v_dual_mov_b32 v20, s12
	s_or_b64 s[16:17], s[18:19], s[16:17]
	s_and_b32 s19, s7, 0xff00
	s_delay_alu instid0(SALU_CYCLE_1) | instskip(SKIP_1) | instid1(SALU_CYCLE_1)
	s_or_b64 s[16:17], s[16:17], s[18:19]
	s_and_b32 s19, s7, 0xff
	s_or_b64 s[10:11], s[16:17], s[18:19]
	s_delay_alu instid0(SALU_CYCLE_1)
	v_mov_b32_e32 v2, s11
	;;#ASMSTART
	global_store_dwordx4 v[20:21], v[1:4] off	
s_waitcnt vmcnt(0)
	;;#ASMEND
.LBB335_98:
	s_or_b32 exec_lo, exec_lo, s8
	v_xad_u32 v20, v77, -1, s15
	s_mov_b32 s9, 0
	s_mov_b32 s8, exec_lo
	s_delay_alu instid0(VALU_DEP_1) | instskip(NEXT) | instid1(VALU_DEP_1)
	v_add_nc_u32_e32 v3, 32, v20
	v_lshlrev_b64 v[2:3], 4, v[3:4]
	s_delay_alu instid0(VALU_DEP_1) | instskip(NEXT) | instid1(VALU_DEP_2)
	v_add_co_u32 v21, vcc_lo, s4, v2
	v_add_co_ci_u32_e32 v22, vcc_lo, s5, v3, vcc_lo
	;;#ASMSTART
	global_load_dwordx4 v[2:5], v[21:22] off glc	
s_waitcnt vmcnt(0)
	;;#ASMEND
	v_and_b32_e32 v5, 0xff, v3
	v_and_b32_e32 v23, 0xff00, v3
	v_or3_b32 v2, v2, 0, 0
	v_and_b32_e32 v24, 0xff000000, v3
	v_and_b32_e32 v3, 0xff0000, v3
	s_delay_alu instid0(VALU_DEP_4) | instskip(SKIP_2) | instid1(VALU_DEP_3)
	v_or3_b32 v5, 0, v5, v23
	v_and_b32_e32 v23, 0xff, v4
	v_or3_b32 v2, v2, 0, 0
	v_or3_b32 v3, v5, v3, v24
	s_delay_alu instid0(VALU_DEP_3)
	v_cmpx_eq_u16_e32 0, v23
	s_cbranch_execz .LBB335_101
.LBB335_99:                             ; =>This Inner Loop Header: Depth=1
	;;#ASMSTART
	global_load_dwordx4 v[2:5], v[21:22] off glc	
s_waitcnt vmcnt(0)
	;;#ASMEND
	v_and_b32_e32 v5, 0xff, v4
	s_delay_alu instid0(VALU_DEP_1) | instskip(SKIP_1) | instid1(SALU_CYCLE_1)
	v_cmp_ne_u16_e32 vcc_lo, 0, v5
	s_or_b32 s9, vcc_lo, s9
	s_and_not1_b32 exec_lo, exec_lo, s9
	s_cbranch_execnz .LBB335_99
; %bb.100:
	s_or_b32 exec_lo, exec_lo, s9
.LBB335_101:
	s_delay_alu instid0(SALU_CYCLE_1)
	s_or_b32 exec_lo, exec_lo, s8
	v_cmp_ne_u32_e32 vcc_lo, 31, v77
	v_lshlrev_b32_e64 v87, v77, -1
	v_add_nc_u32_e32 v91, 4, v77
	v_add_nc_u32_e32 v93, 8, v77
	;; [unrolled: 1-line block ×3, first 2 shown]
	v_add_co_ci_u32_e32 v5, vcc_lo, 0, v77, vcc_lo
	s_delay_alu instid0(VALU_DEP_1)
	v_lshlrev_b32_e32 v86, 2, v5
	ds_bpermute_b32 v21, v86, v3
	ds_bpermute_b32 v5, v86, v2
	s_waitcnt lgkmcnt(1)
	v_add_nc_u32_e32 v21, v21, v3
	v_and_b32_e32 v22, 0xff, v4
	s_waitcnt lgkmcnt(0)
	v_add_nc_u32_e32 v5, v5, v2
	s_delay_alu instid0(VALU_DEP_2) | instskip(SKIP_2) | instid1(VALU_DEP_2)
	v_cmp_eq_u16_e32 vcc_lo, 2, v22
	v_and_or_b32 v22, vcc_lo, v87, 0x80000000
	v_cmp_gt_u32_e32 vcc_lo, 30, v77
	v_ctz_i32_b32_e32 v22, v22
	v_cndmask_b32_e64 v23, 0, 1, vcc_lo
	s_delay_alu instid0(VALU_DEP_2) | instskip(NEXT) | instid1(VALU_DEP_2)
	v_cmp_lt_u32_e32 vcc_lo, v77, v22
	v_dual_cndmask_b32 v2, v2, v5 :: v_dual_lshlrev_b32 v23, 1, v23
	s_delay_alu instid0(VALU_DEP_1)
	v_add_lshl_u32 v88, v23, v77, 2
	v_cndmask_b32_e32 v3, v3, v21, vcc_lo
	v_cmp_gt_u32_e32 vcc_lo, 28, v77
	ds_bpermute_b32 v5, v88, v2
	ds_bpermute_b32 v21, v88, v3
	v_cndmask_b32_e64 v23, 0, 1, vcc_lo
	s_waitcnt lgkmcnt(1)
	v_add_nc_u32_e32 v5, v2, v5
	v_add_nc_u32_e32 v89, 2, v77
	s_waitcnt lgkmcnt(0)
	v_add_nc_u32_e32 v21, v3, v21
	s_delay_alu instid0(VALU_DEP_2) | instskip(SKIP_1) | instid1(VALU_DEP_3)
	v_cmp_gt_u32_e32 vcc_lo, v89, v22
	v_dual_cndmask_b32 v2, v5, v2 :: v_dual_lshlrev_b32 v23, 2, v23
	v_cndmask_b32_e32 v3, v21, v3, vcc_lo
	v_cmp_gt_u32_e32 vcc_lo, 24, v77
	s_delay_alu instid0(VALU_DEP_3)
	v_add_lshl_u32 v90, v23, v77, 2
	v_cndmask_b32_e64 v23, 0, 1, vcc_lo
	v_cmp_gt_u32_e32 vcc_lo, v91, v22
	ds_bpermute_b32 v5, v90, v2
	ds_bpermute_b32 v21, v90, v3
	v_lshlrev_b32_e32 v23, 3, v23
	s_delay_alu instid0(VALU_DEP_1) | instskip(SKIP_3) | instid1(VALU_DEP_1)
	v_add_lshl_u32 v92, v23, v77, 2
	s_waitcnt lgkmcnt(1)
	v_add_nc_u32_e32 v5, v2, v5
	s_waitcnt lgkmcnt(0)
	v_dual_cndmask_b32 v2, v5, v2 :: v_dual_add_nc_u32 v21, v3, v21
	s_delay_alu instid0(VALU_DEP_1)
	v_cndmask_b32_e32 v3, v21, v3, vcc_lo
	v_cmp_gt_u32_e32 vcc_lo, 16, v77
	ds_bpermute_b32 v5, v92, v2
	ds_bpermute_b32 v21, v92, v3
	v_cndmask_b32_e64 v23, 0, 1, vcc_lo
	v_cmp_gt_u32_e32 vcc_lo, v93, v22
	s_delay_alu instid0(VALU_DEP_2) | instskip(NEXT) | instid1(VALU_DEP_1)
	v_lshlrev_b32_e32 v23, 4, v23
	v_add_lshl_u32 v94, v23, v77, 2
	s_waitcnt lgkmcnt(1)
	v_add_nc_u32_e32 v5, v2, v5
	s_waitcnt lgkmcnt(0)
	s_delay_alu instid0(VALU_DEP_1) | instskip(NEXT) | instid1(VALU_DEP_1)
	v_dual_cndmask_b32 v2, v5, v2 :: v_dual_add_nc_u32 v21, v3, v21
	v_cndmask_b32_e32 v3, v21, v3, vcc_lo
	v_cmp_le_u32_e32 vcc_lo, v95, v22
	ds_bpermute_b32 v5, v94, v2
	ds_bpermute_b32 v21, v94, v3
	s_waitcnt lgkmcnt(1)
	v_cndmask_b32_e32 v5, 0, v5, vcc_lo
	s_waitcnt lgkmcnt(0)
	s_delay_alu instid0(VALU_DEP_1) | instskip(NEXT) | instid1(VALU_DEP_1)
	v_dual_cndmask_b32 v21, 0, v21 :: v_dual_add_nc_u32 v2, v5, v2
	v_add_nc_u32_e32 v3, v21, v3
	v_mov_b32_e32 v21, 0
	s_branch .LBB335_103
.LBB335_102:                            ;   in Loop: Header=BB335_103 Depth=1
	s_or_b32 exec_lo, exec_lo, s8
	ds_bpermute_b32 v5, v86, v2
	ds_bpermute_b32 v24, v86, v3
	v_subrev_nc_u32_e32 v20, 32, v20
	s_waitcnt lgkmcnt(1)
	v_add_nc_u32_e32 v5, v5, v2
	v_and_b32_e32 v25, 0xff, v4
	s_waitcnt lgkmcnt(0)
	v_add_nc_u32_e32 v24, v24, v3
	s_delay_alu instid0(VALU_DEP_2) | instskip(SKIP_1) | instid1(VALU_DEP_1)
	v_cmp_eq_u16_e32 vcc_lo, 2, v25
	v_and_or_b32 v25, vcc_lo, v87, 0x80000000
	v_ctz_i32_b32_e32 v25, v25
	s_delay_alu instid0(VALU_DEP_1)
	v_cmp_lt_u32_e32 vcc_lo, v77, v25
	v_cndmask_b32_e32 v2, v2, v5, vcc_lo
	ds_bpermute_b32 v5, v88, v2
	s_waitcnt lgkmcnt(0)
	v_add_nc_u32_e32 v5, v2, v5
	v_cndmask_b32_e32 v3, v3, v24, vcc_lo
	v_cmp_gt_u32_e32 vcc_lo, v89, v25
	s_delay_alu instid0(VALU_DEP_3)
	v_cndmask_b32_e32 v2, v5, v2, vcc_lo
	ds_bpermute_b32 v24, v88, v3
	ds_bpermute_b32 v5, v90, v2
	s_waitcnt lgkmcnt(1)
	v_add_nc_u32_e32 v24, v3, v24
	s_waitcnt lgkmcnt(0)
	v_add_nc_u32_e32 v5, v2, v5
	s_delay_alu instid0(VALU_DEP_2) | instskip(SKIP_1) | instid1(VALU_DEP_3)
	v_cndmask_b32_e32 v3, v24, v3, vcc_lo
	v_cmp_gt_u32_e32 vcc_lo, v91, v25
	v_cndmask_b32_e32 v2, v5, v2, vcc_lo
	ds_bpermute_b32 v24, v90, v3
	ds_bpermute_b32 v5, v92, v2
	s_waitcnt lgkmcnt(1)
	v_add_nc_u32_e32 v24, v3, v24
	s_waitcnt lgkmcnt(0)
	v_add_nc_u32_e32 v5, v2, v5
	s_delay_alu instid0(VALU_DEP_2) | instskip(SKIP_1) | instid1(VALU_DEP_3)
	v_cndmask_b32_e32 v3, v24, v3, vcc_lo
	v_cmp_gt_u32_e32 vcc_lo, v93, v25
	v_cndmask_b32_e32 v2, v5, v2, vcc_lo
	ds_bpermute_b32 v24, v92, v3
	ds_bpermute_b32 v5, v94, v2
	s_waitcnt lgkmcnt(1)
	v_add_nc_u32_e32 v24, v3, v24
	s_delay_alu instid0(VALU_DEP_1) | instskip(SKIP_4) | instid1(VALU_DEP_1)
	v_cndmask_b32_e32 v3, v24, v3, vcc_lo
	v_cmp_le_u32_e32 vcc_lo, v95, v25
	ds_bpermute_b32 v24, v94, v3
	s_waitcnt lgkmcnt(1)
	v_cndmask_b32_e32 v5, 0, v5, vcc_lo
	v_add3_u32 v2, v2, v22, v5
	s_waitcnt lgkmcnt(0)
	v_cndmask_b32_e32 v24, 0, v24, vcc_lo
	s_delay_alu instid0(VALU_DEP_1)
	v_add3_u32 v3, v3, v23, v24
.LBB335_103:                            ; =>This Loop Header: Depth=1
                                        ;     Child Loop BB335_106 Depth 2
	s_delay_alu instid0(VALU_DEP_1) | instskip(SKIP_1) | instid1(VALU_DEP_2)
	v_dual_mov_b32 v23, v3 :: v_dual_and_b32 v4, 0xff, v4
	v_mov_b32_e32 v22, v2
	v_cmp_ne_u16_e32 vcc_lo, 2, v4
	v_cndmask_b32_e64 v4, 0, 1, vcc_lo
	;;#ASMSTART
	;;#ASMEND
	s_delay_alu instid0(VALU_DEP_1)
	v_cmp_ne_u32_e32 vcc_lo, 0, v4
	s_cmp_lg_u32 vcc_lo, exec_lo
	s_cbranch_scc1 .LBB335_108
; %bb.104:                              ;   in Loop: Header=BB335_103 Depth=1
	v_lshlrev_b64 v[2:3], 4, v[20:21]
	s_mov_b32 s8, exec_lo
	s_delay_alu instid0(VALU_DEP_1) | instskip(NEXT) | instid1(VALU_DEP_2)
	v_add_co_u32 v24, vcc_lo, s4, v2
	v_add_co_ci_u32_e32 v25, vcc_lo, s5, v3, vcc_lo
	;;#ASMSTART
	global_load_dwordx4 v[2:5], v[24:25] off glc	
s_waitcnt vmcnt(0)
	;;#ASMEND
	v_and_b32_e32 v5, 0xff, v3
	v_and_b32_e32 v96, 0xff00, v3
	v_or3_b32 v2, v2, 0, 0
	v_and_b32_e32 v97, 0xff000000, v3
	v_and_b32_e32 v3, 0xff0000, v3
	s_delay_alu instid0(VALU_DEP_4) | instskip(SKIP_2) | instid1(VALU_DEP_3)
	v_or3_b32 v5, 0, v5, v96
	v_and_b32_e32 v96, 0xff, v4
	v_or3_b32 v2, v2, 0, 0
	v_or3_b32 v3, v5, v3, v97
	s_delay_alu instid0(VALU_DEP_3)
	v_cmpx_eq_u16_e32 0, v96
	s_cbranch_execz .LBB335_102
; %bb.105:                              ;   in Loop: Header=BB335_103 Depth=1
	s_mov_b32 s9, 0
.LBB335_106:                            ;   Parent Loop BB335_103 Depth=1
                                        ; =>  This Inner Loop Header: Depth=2
	;;#ASMSTART
	global_load_dwordx4 v[2:5], v[24:25] off glc	
s_waitcnt vmcnt(0)
	;;#ASMEND
	v_and_b32_e32 v5, 0xff, v4
	s_delay_alu instid0(VALU_DEP_1) | instskip(SKIP_1) | instid1(SALU_CYCLE_1)
	v_cmp_ne_u16_e32 vcc_lo, 0, v5
	s_or_b32 s9, vcc_lo, s9
	s_and_not1_b32 exec_lo, exec_lo, s9
	s_cbranch_execnz .LBB335_106
; %bb.107:                              ;   in Loop: Header=BB335_103 Depth=1
	s_or_b32 exec_lo, exec_lo, s9
	s_branch .LBB335_102
.LBB335_108:                            ;   in Loop: Header=BB335_103 Depth=1
                                        ; implicit-def: $vgpr4
                                        ; implicit-def: $vgpr2_vgpr3
	s_cbranch_execz .LBB335_103
; %bb.109:
	s_and_saveexec_b32 s8, s2
	s_cbranch_execnz .LBB335_352
; %bb.110:
	s_or_b32 exec_lo, exec_lo, s8
	s_and_saveexec_b32 s8, s2
	s_cbranch_execnz .LBB335_353
.LBB335_111:
	s_or_b32 exec_lo, exec_lo, s8
	v_cmp_eq_u32_e32 vcc_lo, 0, v0
	s_and_b32 exec_lo, exec_lo, vcc_lo
	s_cbranch_execz .LBB335_113
.LBB335_112:
	v_mov_b32_e32 v1, 0
	ds_store_b64 v1, v[22:23] offset:56
.LBB335_113:
	s_or_b32 exec_lo, exec_lo, s6
	v_cmp_eq_u32_e32 vcc_lo, 0, v0
	v_mov_b32_e32 v1, 0
	s_waitcnt lgkmcnt(0)
	s_barrier
	buffer_gl0_inv
	v_add_nc_u32_e64 v3, 0x3400, 0
	ds_load_b64 v[20:21], v1 offset:56
	s_waitcnt lgkmcnt(0)
	s_barrier
	buffer_gl0_inv
	ds_load_2addr_b32 v[1:2], v3 offset1:2
	ds_load_2addr_b32 v[3:4], v3 offset0:4 offset1:6
	v_cndmask_b32_e64 v5, v84, v18, s2
	v_cndmask_b32_e64 v18, v85, v19, s2
	s_delay_alu instid0(VALU_DEP_2) | instskip(NEXT) | instid1(VALU_DEP_1)
	v_add_nc_u32_e32 v19, v20, v5
	v_dual_cndmask_b32 v20, v19, v20 :: v_dual_add_nc_u32 v5, v21, v18
	s_delay_alu instid0(VALU_DEP_1)
	v_cndmask_b32_e32 v5, v5, v21, vcc_lo
	s_branch .LBB335_124
.LBB335_114:
                                        ; implicit-def: $vgpr5
                                        ; implicit-def: $vgpr3
                                        ; implicit-def: $vgpr1
                                        ; implicit-def: $vgpr20_vgpr21
	s_and_b32 vcc_lo, exec_lo, s6
	s_cbranch_vccz .LBB335_124
; %bb.115:
	s_waitcnt lgkmcnt(0)
	v_mov_b32_dpp v2, v83 row_shr:1 row_mask:0xf bank_mask:0xf
	v_cmp_lt_u32_e32 vcc_lo, 3, v81
	v_mov_b32_dpp v1, v82 row_shr:1 row_mask:0xf bank_mask:0xf
	s_delay_alu instid0(VALU_DEP_3) | instskip(NEXT) | instid1(VALU_DEP_1)
	v_add_nc_u32_e32 v2, v2, v83
	v_cndmask_b32_e64 v2, v2, v83, s1
	s_delay_alu instid0(VALU_DEP_1) | instskip(NEXT) | instid1(VALU_DEP_1)
	v_mov_b32_dpp v4, v2 row_shr:2 row_mask:0xf bank_mask:0xf
	v_add_nc_u32_e32 v4, v2, v4
	s_delay_alu instid0(VALU_DEP_1) | instskip(NEXT) | instid1(VALU_DEP_1)
	v_cndmask_b32_e64 v2, v2, v4, s0
	v_mov_b32_dpp v4, v2 row_shr:4 row_mask:0xf bank_mask:0xf
	s_delay_alu instid0(VALU_DEP_1) | instskip(NEXT) | instid1(VALU_DEP_1)
	v_add_nc_u32_e32 v4, v2, v4
	v_dual_cndmask_b32 v2, v2, v4 :: v_dual_add_nc_u32 v1, v1, v82
	s_delay_alu instid0(VALU_DEP_1) | instskip(NEXT) | instid1(VALU_DEP_2)
	v_cndmask_b32_e64 v1, v1, v82, s1
	v_mov_b32_dpp v4, v2 row_shr:8 row_mask:0xf bank_mask:0xf
	s_delay_alu instid0(VALU_DEP_2) | instskip(NEXT) | instid1(VALU_DEP_2)
	v_mov_b32_dpp v3, v1 row_shr:2 row_mask:0xf bank_mask:0xf
	v_add_nc_u32_e32 v4, v2, v4
	s_delay_alu instid0(VALU_DEP_2) | instskip(NEXT) | instid1(VALU_DEP_1)
	v_add_nc_u32_e32 v3, v1, v3
	v_cndmask_b32_e64 v1, v1, v3, s0
	s_mov_b32 s0, exec_lo
	s_delay_alu instid0(VALU_DEP_1) | instskip(NEXT) | instid1(VALU_DEP_1)
	v_mov_b32_dpp v3, v1 row_shr:4 row_mask:0xf bank_mask:0xf
	v_add_nc_u32_e32 v3, v1, v3
	s_delay_alu instid0(VALU_DEP_1) | instskip(SKIP_1) | instid1(VALU_DEP_2)
	v_cndmask_b32_e32 v1, v1, v3, vcc_lo
	v_cmp_lt_u32_e32 vcc_lo, 7, v81
	v_mov_b32_dpp v3, v1 row_shr:8 row_mask:0xf bank_mask:0xf
	s_delay_alu instid0(VALU_DEP_1) | instskip(NEXT) | instid1(VALU_DEP_1)
	v_dual_cndmask_b32 v2, v2, v4 :: v_dual_add_nc_u32 v3, v1, v3
	v_cndmask_b32_e32 v1, v1, v3, vcc_lo
	ds_swizzle_b32 v3, v2 offset:swizzle(BROADCAST,32,15)
	v_cmp_eq_u32_e32 vcc_lo, 0, v80
	ds_swizzle_b32 v4, v1 offset:swizzle(BROADCAST,32,15)
	s_waitcnt lgkmcnt(1)
	v_add_nc_u32_e32 v3, v2, v3
	s_waitcnt lgkmcnt(0)
	v_add_nc_u32_e32 v4, v1, v4
	s_delay_alu instid0(VALU_DEP_1)
	v_dual_cndmask_b32 v2, v3, v2 :: v_dual_cndmask_b32 v1, v4, v1
	v_cmpx_eq_u32_e64 v79, v0
	s_cbranch_execz .LBB335_117
; %bb.116:
	v_lshlrev_b32_e32 v3, 3, v78
	ds_store_b64 v3, v[1:2]
.LBB335_117:
	s_or_b32 exec_lo, exec_lo, s0
	s_delay_alu instid0(SALU_CYCLE_1)
	s_mov_b32 s0, exec_lo
	s_waitcnt lgkmcnt(0)
	s_barrier
	buffer_gl0_inv
	v_cmpx_gt_u32_e32 8, v0
	s_cbranch_execz .LBB335_119
; %bb.118:
	v_lshlrev_b32_e32 v5, 3, v0
	ds_load_b64 v[3:4], v5
	s_waitcnt lgkmcnt(0)
	v_mov_b32_dpp v18, v3 row_shr:1 row_mask:0xf bank_mask:0xf
	v_mov_b32_dpp v19, v4 row_shr:1 row_mask:0xf bank_mask:0xf
	s_delay_alu instid0(VALU_DEP_2) | instskip(SKIP_1) | instid1(VALU_DEP_3)
	v_add_nc_u32_e32 v18, v18, v3
	v_and_b32_e32 v20, 7, v77
	v_add_nc_u32_e32 v19, v19, v4
	s_delay_alu instid0(VALU_DEP_2) | instskip(NEXT) | instid1(VALU_DEP_2)
	v_cmp_eq_u32_e32 vcc_lo, 0, v20
	v_dual_cndmask_b32 v4, v19, v4 :: v_dual_cndmask_b32 v3, v18, v3
	v_cmp_lt_u32_e32 vcc_lo, 1, v20
	s_delay_alu instid0(VALU_DEP_2) | instskip(NEXT) | instid1(VALU_DEP_3)
	v_mov_b32_dpp v19, v4 row_shr:2 row_mask:0xf bank_mask:0xf
	v_mov_b32_dpp v18, v3 row_shr:2 row_mask:0xf bank_mask:0xf
	s_delay_alu instid0(VALU_DEP_2) | instskip(NEXT) | instid1(VALU_DEP_2)
	v_add_nc_u32_e32 v19, v4, v19
	v_add_nc_u32_e32 v18, v3, v18
	s_delay_alu instid0(VALU_DEP_1) | instskip(SKIP_1) | instid1(VALU_DEP_2)
	v_dual_cndmask_b32 v4, v4, v19 :: v_dual_cndmask_b32 v3, v3, v18
	v_cmp_lt_u32_e32 vcc_lo, 3, v20
	v_mov_b32_dpp v19, v4 row_shr:4 row_mask:0xf bank_mask:0xf
	s_delay_alu instid0(VALU_DEP_3) | instskip(NEXT) | instid1(VALU_DEP_1)
	v_mov_b32_dpp v18, v3 row_shr:4 row_mask:0xf bank_mask:0xf
	v_dual_cndmask_b32 v19, 0, v19 :: v_dual_cndmask_b32 v18, 0, v18
	s_delay_alu instid0(VALU_DEP_1) | instskip(NEXT) | instid1(VALU_DEP_2)
	v_add_nc_u32_e32 v4, v19, v4
	v_add_nc_u32_e32 v3, v18, v3
	ds_store_b64 v5, v[3:4]
.LBB335_119:
	s_or_b32 exec_lo, exec_lo, s0
	v_dual_mov_b32 v3, 0 :: v_dual_mov_b32 v18, 0
	v_mov_b32_e32 v19, 0
	s_mov_b32 s0, exec_lo
	s_waitcnt lgkmcnt(0)
	s_barrier
	buffer_gl0_inv
	v_cmpx_lt_u32_e32 31, v0
	s_cbranch_execz .LBB335_121
; %bb.120:
	v_lshl_add_u32 v4, v78, 3, -8
	ds_load_b64 v[18:19], v4
.LBB335_121:
	s_or_b32 exec_lo, exec_lo, s0
	v_add_nc_u32_e32 v4, -1, v77
	s_waitcnt lgkmcnt(0)
	v_add_nc_u32_e32 v20, v19, v2
	v_add_nc_u32_e32 v5, v18, v1
	ds_load_b64 v[1:2], v3 offset:56
	v_cmp_gt_i32_e32 vcc_lo, 0, v4
	v_cndmask_b32_e32 v4, v4, v77, vcc_lo
	v_cmp_eq_u32_e32 vcc_lo, 0, v0
	s_delay_alu instid0(VALU_DEP_2)
	v_lshlrev_b32_e32 v4, 2, v4
	ds_bpermute_b32 v5, v4, v5
	ds_bpermute_b32 v20, v4, v20
	s_waitcnt lgkmcnt(2)
	v_readfirstlane_b32 s1, v2
	s_and_saveexec_b32 s0, vcc_lo
	s_cbranch_execz .LBB335_123
; %bb.122:
	s_mov_b32 s6, 0
	s_add_u32 s4, s4, 0x200
	s_addc_u32 s5, s5, 0
	s_and_b32 s7, s1, 0xff000000
	s_and_b32 s9, s1, 0xff0000
	s_mov_b32 s8, s6
	v_mov_b32_e32 v22, s5
	s_or_b64 s[8:9], s[8:9], s[6:7]
	s_and_b32 s7, s1, 0xff00
	v_dual_mov_b32 v4, 0 :: v_dual_mov_b32 v21, s4
	s_or_b64 s[8:9], s[8:9], s[6:7]
	s_and_b32 s7, s1, 0xff
	v_mov_b32_e32 v3, 2
	s_or_b64 s[6:7], s[8:9], s[6:7]
	s_delay_alu instid0(SALU_CYCLE_1)
	v_mov_b32_e32 v2, s7
	;;#ASMSTART
	global_store_dwordx4 v[21:22], v[1:4] off	
s_waitcnt vmcnt(0)
	;;#ASMEND
.LBB335_123:
	s_or_b32 exec_lo, exec_lo, s0
	v_cmp_eq_u32_e64 s0, 0, v77
	v_dual_mov_b32 v3, 0 :: v_dual_mov_b32 v2, s1
	s_waitcnt lgkmcnt(0)
	s_barrier
	s_delay_alu instid0(VALU_DEP_2)
	v_cndmask_b32_e64 v4, v5, v18, s0
	v_cndmask_b32_e64 v5, v20, v19, s0
	buffer_gl0_inv
	v_cndmask_b32_e64 v20, v4, 0, vcc_lo
	v_cndmask_b32_e64 v5, v5, 0, vcc_lo
	v_mov_b32_e32 v4, 0
.LBB335_124:
	v_and_b32_e32 v30, 1, v30
	v_and_b32_e32 v34, 1, v34
	;; [unrolled: 1-line block ×4, first 2 shown]
	s_waitcnt lgkmcnt(0)
	v_add_co_u32 v18, s0, s28, v3
	v_cmp_eq_u32_e32 vcc_lo, 1, v30
	v_add_nc_u32_e32 v22, v5, v76
	v_sub_nc_u32_e32 v5, v5, v4
	v_add_co_ci_u32_e64 v19, null, s29, 0, s0
	s_mov_b32 s2, -1
	s_delay_alu instid0(VALU_DEP_3) | instskip(SKIP_3) | instid1(VALU_DEP_3)
	v_add_nc_u32_e32 v24, v22, v72
	v_sub_nc_u32_e32 v22, v22, v4
	v_add_nc_u32_e32 v5, v5, v1
	v_sub_co_u32 v72, s0, s30, v1
	v_add_nc_u32_e32 v22, v22, v1
	v_add_nc_u32_e32 v21, v20, v75
	v_sub_nc_u32_e32 v20, v20, v3
	s_delay_alu instid0(VALU_DEP_2)
	v_add_nc_u32_e32 v23, v21, v71
	v_add_nc_u32_e32 v71, v24, v74
	v_lshlrev_b32_e32 v74, 1, v1
	v_sub_nc_u32_e32 v21, v21, v3
	v_add_nc_u32_e32 v75, v20, v5
	v_sub_nc_u32_e32 v24, v24, v4
	s_delay_alu instid0(VALU_DEP_4) | instskip(NEXT) | instid1(VALU_DEP_4)
	v_add3_u32 v28, v74, v2, v28
	v_add_nc_u32_e32 v76, v22, v21
	s_delay_alu instid0(VALU_DEP_3) | instskip(NEXT) | instid1(VALU_DEP_3)
	v_add_nc_u32_e32 v24, v24, v1
	v_sub_nc_u32_e32 v75, v28, v75
	s_delay_alu instid0(VALU_DEP_3) | instskip(NEXT) | instid1(VALU_DEP_1)
	v_sub_nc_u32_e32 v76, v28, v76
	v_dual_cndmask_b32 v5, v75, v5 :: v_dual_add_nc_u32 v30, 1, v76
	v_cmp_eq_u32_e32 vcc_lo, 1, v34
	s_delay_alu instid0(VALU_DEP_2) | instskip(SKIP_1) | instid1(VALU_DEP_4)
	v_cndmask_b32_e32 v22, v30, v22, vcc_lo
	v_cmp_eq_u32_e32 vcc_lo, 1, v29
	v_cndmask_b32_e32 v5, v5, v20, vcc_lo
	v_and_b32_e32 v20, 1, v36
	v_cmp_eq_u32_e32 vcc_lo, 1, v33
	s_delay_alu instid0(VALU_DEP_3) | instskip(SKIP_1) | instid1(VALU_DEP_4)
	v_lshlrev_b32_e32 v5, 2, v5
	v_cndmask_b32_e32 v21, v22, v21, vcc_lo
	v_cmp_eq_u32_e32 vcc_lo, 1, v20
	v_add_nc_u32_e32 v25, v23, v73
	v_sub_nc_u32_e32 v23, v23, v3
	v_and_b32_e32 v22, 1, v31
	v_sub_co_ci_u32_e64 v73, null, s31, 0, s0
	v_and_b32_e32 v31, 1, v32
	s_delay_alu instid0(VALU_DEP_4) | instskip(NEXT) | instid1(VALU_DEP_1)
	v_add_nc_u32_e32 v77, v24, v23
	v_sub_nc_u32_e32 v75, v28, v77
	s_delay_alu instid0(VALU_DEP_1) | instskip(NEXT) | instid1(VALU_DEP_1)
	v_add_nc_u32_e32 v29, 2, v75
	v_cndmask_b32_e32 v20, v29, v24, vcc_lo
	v_sub_nc_u32_e32 v24, v71, v4
	v_cmp_eq_u32_e32 vcc_lo, 1, v22
	v_add_nc_u32_e32 v69, v25, v69
	v_lshlrev_b32_e32 v29, 2, v21
	ds_store_b32 v5, v16
	ds_store_b32 v29, v17
	v_cndmask_b32_e32 v22, v20, v23, vcc_lo
	v_sub_nc_u32_e32 v23, v25, v3
	v_add_nc_u32_e32 v24, v24, v1
	v_add_co_u32 v20, vcc_lo, v72, v4
	s_delay_alu instid0(VALU_DEP_4) | instskip(SKIP_1) | instid1(VALU_DEP_4)
	v_lshlrev_b32_e32 v5, 2, v22
	v_and_b32_e32 v22, 1, v35
	v_add_nc_u32_e32 v25, v23, v24
	v_add_co_ci_u32_e32 v21, vcc_lo, 0, v73, vcc_lo
	ds_store_b32 v5, v14
	v_cmp_eq_u32_e32 vcc_lo, 1, v22
	v_sub_nc_u32_e32 v17, v28, v25
	v_sub_nc_u32_e32 v29, v69, v3
	v_add_nc_u32_e32 v67, v69, v67
	s_delay_alu instid0(VALU_DEP_3) | instskip(NEXT) | instid1(VALU_DEP_2)
	v_add_nc_u32_e32 v17, 3, v17
	v_sub_nc_u32_e32 v30, v67, v3
	s_delay_alu instid0(VALU_DEP_2) | instskip(SKIP_2) | instid1(VALU_DEP_3)
	v_cndmask_b32_e32 v17, v17, v24, vcc_lo
	v_cmp_eq_u32_e32 vcc_lo, 1, v31
	v_and_b32_e32 v24, 1, v39
	v_cndmask_b32_e32 v14, v17, v23, vcc_lo
	v_add_nc_u32_e32 v70, v71, v70
	v_and_b32_e32 v23, 1, v38
	s_delay_alu instid0(VALU_DEP_3) | instskip(NEXT) | instid1(VALU_DEP_3)
	v_lshlrev_b32_e32 v14, 2, v14
	v_add_nc_u32_e32 v68, v70, v68
	v_sub_nc_u32_e32 v16, v70, v4
	ds_store_b32 v14, v15
	v_sub_nc_u32_e32 v25, v68, v4
	v_add_nc_u32_e32 v16, v16, v1
	s_delay_alu instid0(VALU_DEP_2) | instskip(NEXT) | instid1(VALU_DEP_2)
	v_add_nc_u32_e32 v25, v25, v1
	v_add_nc_u32_e32 v32, v29, v16
	s_delay_alu instid0(VALU_DEP_2) | instskip(NEXT) | instid1(VALU_DEP_2)
	v_add_nc_u32_e32 v22, v30, v25
	v_sub_nc_u32_e32 v5, v28, v32
	s_delay_alu instid0(VALU_DEP_2) | instskip(SKIP_1) | instid1(VALU_DEP_3)
	v_sub_nc_u32_e32 v17, v28, v22
	v_and_b32_e32 v22, 1, v37
	v_add_nc_u32_e32 v5, 4, v5
	s_delay_alu instid0(VALU_DEP_3) | instskip(NEXT) | instid1(VALU_DEP_3)
	v_add_nc_u32_e32 v17, 5, v17
	v_cmp_eq_u32_e32 vcc_lo, 1, v22
	s_delay_alu instid0(VALU_DEP_3)
	v_cndmask_b32_e32 v5, v5, v16, vcc_lo
	v_cmp_eq_u32_e32 vcc_lo, 1, v24
	v_and_b32_e32 v16, 1, v41
	v_cndmask_b32_e32 v17, v17, v25, vcc_lo
	v_cmp_eq_u32_e32 vcc_lo, 1, v23
	v_cndmask_b32_e32 v5, v5, v29, vcc_lo
	s_delay_alu instid0(VALU_DEP_4) | instskip(SKIP_1) | instid1(VALU_DEP_3)
	v_cmp_eq_u32_e32 vcc_lo, 1, v16
	v_add_nc_u32_e32 v66, v68, v66
	v_dual_cndmask_b32 v16, v17, v30 :: v_dual_lshlrev_b32 v5, 2, v5
	s_delay_alu instid0(VALU_DEP_2) | instskip(SKIP_1) | instid1(VALU_DEP_3)
	v_sub_nc_u32_e32 v22, v66, v4
	v_add_nc_u32_e32 v62, v66, v62
	v_lshlrev_b32_e32 v16, 2, v16
	ds_store_b32 v5, v12
	ds_store_b32 v16, v13
	v_and_b32_e32 v12, 1, v40
	v_add_nc_u32_e32 v22, v22, v1
	v_add_nc_u32_e32 v64, v62, v64
	v_sub_nc_u32_e32 v17, v62, v4
	v_and_b32_e32 v16, 1, v43
	v_cmp_eq_u32_e32 vcc_lo, 1, v12
	v_add_nc_u32_e32 v65, v67, v65
	v_sub_nc_u32_e32 v15, v64, v4
	v_add_nc_u32_e32 v17, v17, v1
	s_delay_alu instid0(VALU_DEP_3) | instskip(NEXT) | instid1(VALU_DEP_3)
	v_sub_nc_u32_e32 v23, v65, v3
	v_add_nc_u32_e32 v15, v15, v1
	s_delay_alu instid0(VALU_DEP_2) | instskip(NEXT) | instid1(VALU_DEP_1)
	v_add_nc_u32_e32 v24, v23, v22
	v_sub_nc_u32_e32 v14, v28, v24
	v_and_b32_e32 v24, 1, v48
	s_delay_alu instid0(VALU_DEP_2) | instskip(SKIP_1) | instid1(VALU_DEP_2)
	v_add_nc_u32_e32 v13, 6, v14
	v_and_b32_e32 v14, 1, v42
	v_cndmask_b32_e32 v12, v13, v22, vcc_lo
	v_add_nc_u32_e32 v61, v65, v61
	s_delay_alu instid0(VALU_DEP_3) | instskip(SKIP_1) | instid1(VALU_DEP_3)
	v_cmp_eq_u32_e32 vcc_lo, 1, v14
	v_and_b32_e32 v22, 1, v44
	v_sub_nc_u32_e32 v25, v61, v3
	v_add_nc_u32_e32 v63, v61, v63
	v_cndmask_b32_e32 v12, v12, v23, vcc_lo
	v_cmp_eq_u32_e32 vcc_lo, 1, v16
	v_and_b32_e32 v23, 1, v46
	v_add_nc_u32_e32 v5, v25, v17
	v_sub_nc_u32_e32 v13, v63, v3
	v_lshlrev_b32_e32 v12, 2, v12
	v_add_nc_u32_e32 v59, v63, v59
	s_delay_alu instid0(VALU_DEP_4) | instskip(NEXT) | instid1(VALU_DEP_4)
	v_sub_nc_u32_e32 v5, v28, v5
	v_add_nc_u32_e32 v14, v13, v15
	s_delay_alu instid0(VALU_DEP_3) | instskip(NEXT) | instid1(VALU_DEP_3)
	v_add_nc_u32_e32 v57, v59, v57
	v_add_nc_u32_e32 v5, 7, v5
	s_delay_alu instid0(VALU_DEP_3) | instskip(NEXT) | instid1(VALU_DEP_3)
	v_sub_nc_u32_e32 v14, v28, v14
	v_add_nc_u32_e32 v55, v57, v55
	s_delay_alu instid0(VALU_DEP_3)
	v_cndmask_b32_e32 v5, v5, v17, vcc_lo
	v_cmp_eq_u32_e32 vcc_lo, 1, v22
	v_and_b32_e32 v17, 1, v45
	v_add_nc_u32_e32 v14, 8, v14
	v_sub_nc_u32_e32 v22, v59, v3
	v_add_nc_u32_e32 v53, v55, v53
	v_cndmask_b32_e32 v5, v5, v25, vcc_lo
	v_cmp_eq_u32_e32 vcc_lo, 1, v17
	v_sub_nc_u32_e32 v17, v55, v3
	v_and_b32_e32 v25, 1, v52
	s_delay_alu instid0(VALU_DEP_4)
	v_dual_cndmask_b32 v14, v14, v15 :: v_dual_lshlrev_b32 v5, 2, v5
	v_cmp_eq_u32_e32 vcc_lo, 1, v23
	v_add_nc_u32_e32 v60, v64, v60
	ds_store_b32 v12, v10
	ds_store_b32 v5, v11
	v_and_b32_e32 v11, 1, v49
	v_cndmask_b32_e32 v5, v14, v13, vcc_lo
	v_sub_nc_u32_e32 v16, v60, v4
	v_add_nc_u32_e32 v58, v60, v58
	v_and_b32_e32 v13, 1, v47
	s_delay_alu instid0(VALU_DEP_4) | instskip(NEXT) | instid1(VALU_DEP_4)
	v_lshlrev_b32_e32 v5, 2, v5
	v_add_nc_u32_e32 v16, v16, v1
	s_delay_alu instid0(VALU_DEP_4) | instskip(SKIP_2) | instid1(VALU_DEP_4)
	v_add_nc_u32_e32 v56, v58, v56
	v_sub_nc_u32_e32 v12, v58, v4
	v_cmp_eq_u32_e32 vcc_lo, 1, v13
	v_add_nc_u32_e32 v15, v22, v16
	s_delay_alu instid0(VALU_DEP_4) | instskip(NEXT) | instid1(VALU_DEP_4)
	v_sub_nc_u32_e32 v14, v56, v4
	v_add_nc_u32_e32 v12, v12, v1
	v_add_nc_u32_e32 v54, v56, v54
	s_delay_alu instid0(VALU_DEP_4) | instskip(SKIP_2) | instid1(VALU_DEP_4)
	v_sub_nc_u32_e32 v10, v28, v15
	v_sub_nc_u32_e32 v15, v57, v3
	v_add_nc_u32_e32 v14, v14, v1
	v_sub_nc_u32_e32 v23, v54, v4
	v_sub_nc_u32_e32 v3, v53, v3
	v_add_nc_u32_e32 v10, 9, v10
	v_add_nc_u32_e32 v13, v15, v12
	s_delay_alu instid0(VALU_DEP_2) | instskip(SKIP_2) | instid1(VALU_DEP_4)
	v_dual_cndmask_b32 v10, v10, v16 :: v_dual_add_nc_u32 v23, v23, v1
	v_add_nc_u32_e32 v16, v17, v14
	v_cmp_eq_u32_e32 vcc_lo, 1, v11
	v_sub_nc_u32_e32 v11, v28, v13
	v_and_b32_e32 v13, 1, v50
	s_delay_alu instid0(VALU_DEP_4) | instskip(NEXT) | instid1(VALU_DEP_3)
	v_sub_nc_u32_e32 v16, v28, v16
	v_dual_cndmask_b32 v10, v10, v22 :: v_dual_add_nc_u32 v11, 10, v11
	v_cmp_eq_u32_e32 vcc_lo, 1, v24
	v_add_nc_u32_e32 v22, v3, v23
	s_delay_alu instid0(VALU_DEP_4) | instskip(NEXT) | instid1(VALU_DEP_4)
	v_add_nc_u32_e32 v16, 11, v16
	v_dual_cndmask_b32 v11, v11, v12 :: v_dual_lshlrev_b32 v10, 2, v10
	v_cmp_eq_u32_e32 vcc_lo, 1, v25
	s_delay_alu instid0(VALU_DEP_4) | instskip(SKIP_3) | instid1(VALU_DEP_4)
	v_sub_nc_u32_e32 v22, v28, v22
	v_and_b32_e32 v12, 1, v51
	v_cndmask_b32_e32 v14, v16, v14, vcc_lo
	v_cmp_eq_u32_e32 vcc_lo, 1, v13
	v_dual_cndmask_b32 v11, v11, v15 :: v_dual_add_nc_u32 v16, 12, v22
	s_delay_alu instid0(VALU_DEP_4) | instskip(NEXT) | instid1(VALU_DEP_2)
	v_cmp_eq_u32_e32 vcc_lo, 1, v12
	v_cndmask_b32_e64 v13, v16, v23, s43
	s_delay_alu instid0(VALU_DEP_3) | instskip(NEXT) | instid1(VALU_DEP_2)
	v_dual_cndmask_b32 v12, v14, v17 :: v_dual_lshlrev_b32 v11, 2, v11
	v_cndmask_b32_e64 v3, v13, v3, s42
	s_delay_alu instid0(VALU_DEP_2)
	v_lshlrev_b32_e32 v12, 2, v12
	ds_store_b32 v5, v8
	ds_store_b32 v10, v9
	;; [unrolled: 1-line block ×4, first 2 shown]
	v_lshlrev_b32_e32 v3, 2, v3
	v_add_co_u32 v5, s0, v2, v74
	s_delay_alu instid0(VALU_DEP_1) | instskip(SKIP_4) | instid1(VALU_DEP_2)
	v_add_co_ci_u32_e64 v6, null, 0, 0, s0
	ds_store_b32 v3, v27
	v_add_co_u32 v3, vcc_lo, v5, v20
	v_add_co_ci_u32_e32 v5, vcc_lo, v6, v21, vcc_lo
	s_add_u32 s0, s34, s33
	v_add_co_u32 v3, vcc_lo, v3, v18
	s_delay_alu instid0(VALU_DEP_2) | instskip(SKIP_1) | instid1(VALU_DEP_2)
	v_add_co_ci_u32_e32 v5, vcc_lo, v5, v19, vcc_lo
	s_addc_u32 s1, s35, 0
	v_sub_co_u32 v3, vcc_lo, s0, v3
	s_delay_alu instid0(VALU_DEP_2)
	v_sub_co_ci_u32_e32 v9, vcc_lo, s1, v5, vcc_lo
	v_lshlrev_b64 v[5:6], 2, v[20:21]
	v_lshlrev_b64 v[7:8], 2, v[18:19]
	v_add_nc_u32_e32 v10, v1, v2
	s_add_u32 s1, s26, -4
	s_waitcnt lgkmcnt(0)
	s_barrier
	v_add_co_u32 v5, vcc_lo, s38, v5
	v_add_co_ci_u32_e32 v6, vcc_lo, s39, v6, vcc_lo
	v_cmp_ne_u32_e32 vcc_lo, 1, v26
	v_add_co_u32 v7, s0, s36, v7
	s_delay_alu instid0(VALU_DEP_1)
	v_add_co_ci_u32_e64 v8, s0, s37, v8, s0
	s_addc_u32 s0, s27, -1
	buffer_gl0_inv
	s_cbranch_vccz .LBB335_128
; %bb.125:
	s_and_b32 vcc_lo, exec_lo, s2
	s_cbranch_vccnz .LBB335_233
.LBB335_126:
	v_cmp_eq_u32_e32 vcc_lo, 0, v0
	s_and_b32 s0, vcc_lo, s14
	s_delay_alu instid0(SALU_CYCLE_1)
	s_and_saveexec_b32 s1, s0
	s_cbranch_execnz .LBB335_351
.LBB335_127:
	s_nop 0
	s_sendmsg sendmsg(MSG_DEALLOC_VGPRS)
	s_endpgm
.LBB335_128:
	s_mov_b32 s2, exec_lo
	v_cmpx_le_u32_e64 v1, v0
	s_xor_b32 s2, exec_lo, s2
	s_cbranch_execz .LBB335_134
; %bb.129:
	s_mov_b32 s4, exec_lo
	v_cmpx_le_u32_e64 v10, v0
	s_xor_b32 s4, exec_lo, s4
	s_cbranch_execz .LBB335_131
; %bb.130:
	v_lshlrev_b32_e32 v11, 2, v0
	ds_load_b32 v13, v11
	v_add_co_u32 v11, vcc_lo, v3, v0
	v_add_co_ci_u32_e32 v12, vcc_lo, 0, v9, vcc_lo
	s_delay_alu instid0(VALU_DEP_1) | instskip(NEXT) | instid1(VALU_DEP_1)
	v_lshlrev_b64 v[11:12], 2, v[11:12]
	v_sub_co_u32 v11, vcc_lo, s26, v11
	s_delay_alu instid0(VALU_DEP_2)
	v_sub_co_ci_u32_e32 v12, vcc_lo, s27, v12, vcc_lo
	s_waitcnt lgkmcnt(0)
	global_store_b32 v[11:12], v13, off offset:-4
.LBB335_131:
	s_and_not1_saveexec_b32 s4, s4
	s_cbranch_execz .LBB335_133
; %bb.132:
	v_lshlrev_b32_e32 v11, 2, v0
	v_readfirstlane_b32 s6, v5
	v_readfirstlane_b32 s7, v6
	ds_load_b32 v12, v11
	s_waitcnt lgkmcnt(0)
	global_store_b32 v11, v12, s[6:7]
.LBB335_133:
	s_or_b32 exec_lo, exec_lo, s4
.LBB335_134:
	s_and_not1_saveexec_b32 s2, s2
	s_cbranch_execz .LBB335_136
; %bb.135:
	v_lshlrev_b32_e32 v11, 2, v0
	v_readfirstlane_b32 s4, v7
	v_readfirstlane_b32 s5, v8
	ds_load_b32 v12, v11
	s_waitcnt lgkmcnt(0)
	global_store_b32 v11, v12, s[4:5]
.LBB335_136:
	s_or_b32 exec_lo, exec_lo, s2
	v_or_b32_e32 v11, 0x100, v0
	s_mov_b32 s2, exec_lo
	s_delay_alu instid0(VALU_DEP_1)
	v_cmpx_le_u32_e64 v1, v11
	s_xor_b32 s2, exec_lo, s2
	s_cbranch_execz .LBB335_142
; %bb.137:
	s_mov_b32 s4, exec_lo
	v_cmpx_le_u32_e64 v10, v11
	s_xor_b32 s4, exec_lo, s4
	s_cbranch_execz .LBB335_139
; %bb.138:
	v_lshlrev_b32_e32 v11, 2, v0
	ds_load_b32 v13, v11 offset:1024
	v_add_co_u32 v11, vcc_lo, v3, v0
	v_add_co_ci_u32_e32 v12, vcc_lo, 0, v9, vcc_lo
	s_delay_alu instid0(VALU_DEP_1) | instskip(NEXT) | instid1(VALU_DEP_1)
	v_lshlrev_b64 v[11:12], 2, v[11:12]
	v_sub_co_u32 v11, vcc_lo, s1, v11
	s_delay_alu instid0(VALU_DEP_2)
	v_sub_co_ci_u32_e32 v12, vcc_lo, s0, v12, vcc_lo
	s_waitcnt lgkmcnt(0)
	global_store_b32 v[11:12], v13, off offset:-1024
.LBB335_139:
	s_and_not1_saveexec_b32 s4, s4
	s_cbranch_execz .LBB335_141
; %bb.140:
	v_lshlrev_b32_e32 v11, 2, v0
	v_readfirstlane_b32 s6, v5
	v_readfirstlane_b32 s7, v6
	ds_load_b32 v12, v11 offset:1024
	s_waitcnt lgkmcnt(0)
	global_store_b32 v11, v12, s[6:7] offset:1024
.LBB335_141:
	s_or_b32 exec_lo, exec_lo, s4
.LBB335_142:
	s_and_not1_saveexec_b32 s2, s2
	s_cbranch_execz .LBB335_144
; %bb.143:
	v_lshlrev_b32_e32 v11, 2, v0
	v_readfirstlane_b32 s4, v7
	v_readfirstlane_b32 s5, v8
	ds_load_b32 v12, v11 offset:1024
	s_waitcnt lgkmcnt(0)
	global_store_b32 v11, v12, s[4:5] offset:1024
.LBB335_144:
	s_or_b32 exec_lo, exec_lo, s2
	v_or_b32_e32 v11, 0x200, v0
	s_mov_b32 s2, exec_lo
	s_delay_alu instid0(VALU_DEP_1)
	v_cmpx_le_u32_e64 v1, v11
	s_xor_b32 s2, exec_lo, s2
	s_cbranch_execz .LBB335_150
; %bb.145:
	s_mov_b32 s4, exec_lo
	v_cmpx_le_u32_e64 v10, v11
	s_xor_b32 s4, exec_lo, s4
	s_cbranch_execz .LBB335_147
; %bb.146:
	v_lshlrev_b32_e32 v11, 2, v0
	ds_load_b32 v13, v11 offset:2048
	v_add_co_u32 v11, vcc_lo, v3, v0
	v_add_co_ci_u32_e32 v12, vcc_lo, 0, v9, vcc_lo
	s_delay_alu instid0(VALU_DEP_1) | instskip(NEXT) | instid1(VALU_DEP_1)
	v_lshlrev_b64 v[11:12], 2, v[11:12]
	v_sub_co_u32 v11, vcc_lo, s1, v11
	s_delay_alu instid0(VALU_DEP_2)
	v_sub_co_ci_u32_e32 v12, vcc_lo, s0, v12, vcc_lo
	s_waitcnt lgkmcnt(0)
	global_store_b32 v[11:12], v13, off offset:-2048
.LBB335_147:
	s_and_not1_saveexec_b32 s4, s4
	s_cbranch_execz .LBB335_149
; %bb.148:
	v_lshlrev_b32_e32 v11, 2, v0
	v_readfirstlane_b32 s6, v5
	v_readfirstlane_b32 s7, v6
	ds_load_b32 v12, v11 offset:2048
	s_waitcnt lgkmcnt(0)
	global_store_b32 v11, v12, s[6:7] offset:2048
.LBB335_149:
	s_or_b32 exec_lo, exec_lo, s4
.LBB335_150:
	s_and_not1_saveexec_b32 s2, s2
	s_cbranch_execz .LBB335_152
; %bb.151:
	v_lshlrev_b32_e32 v11, 2, v0
	v_readfirstlane_b32 s4, v7
	v_readfirstlane_b32 s5, v8
	ds_load_b32 v12, v11 offset:2048
	s_waitcnt lgkmcnt(0)
	global_store_b32 v11, v12, s[4:5] offset:2048
.LBB335_152:
	;; [unrolled: 47-line block ×3, first 2 shown]
	s_or_b32 exec_lo, exec_lo, s2
	v_or_b32_e32 v11, 0x400, v0
	s_mov_b32 s2, exec_lo
	s_delay_alu instid0(VALU_DEP_1)
	v_cmpx_le_u32_e64 v1, v11
	s_xor_b32 s2, exec_lo, s2
	s_cbranch_execz .LBB335_166
; %bb.161:
	s_mov_b32 s4, exec_lo
	v_cmpx_le_u32_e64 v10, v11
	s_xor_b32 s4, exec_lo, s4
	s_cbranch_execz .LBB335_163
; %bb.162:
	v_lshlrev_b32_e32 v11, 2, v0
	ds_load_b32 v13, v11 offset:4096
	v_add_co_u32 v11, vcc_lo, v3, v0
	v_add_co_ci_u32_e32 v12, vcc_lo, 0, v9, vcc_lo
	s_delay_alu instid0(VALU_DEP_1) | instskip(NEXT) | instid1(VALU_DEP_1)
	v_lshlrev_b64 v[11:12], 2, v[11:12]
	v_sub_co_u32 v11, vcc_lo, s1, v11
	s_delay_alu instid0(VALU_DEP_2)
	v_sub_co_ci_u32_e32 v12, vcc_lo, s0, v12, vcc_lo
	s_waitcnt lgkmcnt(0)
	global_store_b32 v[11:12], v13, off offset:-4096
                                        ; implicit-def: $vgpr11
.LBB335_163:
	s_and_not1_saveexec_b32 s4, s4
	s_cbranch_execz .LBB335_165
; %bb.164:
	v_lshlrev_b32_e32 v12, 2, v0
	v_lshlrev_b32_e32 v11, 2, v11
	v_readfirstlane_b32 s6, v5
	v_readfirstlane_b32 s7, v6
	ds_load_b32 v12, v12 offset:4096
	s_waitcnt lgkmcnt(0)
	global_store_b32 v11, v12, s[6:7]
.LBB335_165:
	s_or_b32 exec_lo, exec_lo, s4
                                        ; implicit-def: $vgpr11
.LBB335_166:
	s_and_not1_saveexec_b32 s2, s2
	s_cbranch_execz .LBB335_168
; %bb.167:
	v_lshlrev_b32_e32 v12, 2, v0
	v_lshlrev_b32_e32 v11, 2, v11
	v_readfirstlane_b32 s4, v7
	v_readfirstlane_b32 s5, v8
	ds_load_b32 v12, v12 offset:4096
	s_waitcnt lgkmcnt(0)
	global_store_b32 v11, v12, s[4:5]
.LBB335_168:
	s_or_b32 exec_lo, exec_lo, s2
	v_or_b32_e32 v11, 0x500, v0
	s_mov_b32 s2, exec_lo
	s_delay_alu instid0(VALU_DEP_1)
	v_cmpx_le_u32_e64 v1, v11
	s_xor_b32 s2, exec_lo, s2
	s_cbranch_execz .LBB335_174
; %bb.169:
	s_mov_b32 s4, exec_lo
	v_cmpx_le_u32_e64 v10, v11
	s_xor_b32 s4, exec_lo, s4
	s_cbranch_execz .LBB335_171
; %bb.170:
	v_lshlrev_b32_e32 v12, 2, v0
	v_add_co_u32 v11, vcc_lo, v3, v11
	ds_load_b32 v13, v12 offset:5120
	v_add_co_ci_u32_e32 v12, vcc_lo, 0, v9, vcc_lo
	s_delay_alu instid0(VALU_DEP_1) | instskip(NEXT) | instid1(VALU_DEP_1)
	v_lshlrev_b64 v[11:12], 2, v[11:12]
	v_sub_co_u32 v11, vcc_lo, s1, v11
	s_delay_alu instid0(VALU_DEP_2)
	v_sub_co_ci_u32_e32 v12, vcc_lo, s0, v12, vcc_lo
	s_waitcnt lgkmcnt(0)
	global_store_b32 v[11:12], v13, off
                                        ; implicit-def: $vgpr11
.LBB335_171:
	s_and_not1_saveexec_b32 s4, s4
	s_cbranch_execz .LBB335_173
; %bb.172:
	v_lshlrev_b32_e32 v12, 2, v0
	v_lshlrev_b32_e32 v11, 2, v11
	v_readfirstlane_b32 s6, v5
	v_readfirstlane_b32 s7, v6
	ds_load_b32 v12, v12 offset:5120
	s_waitcnt lgkmcnt(0)
	global_store_b32 v11, v12, s[6:7]
.LBB335_173:
	s_or_b32 exec_lo, exec_lo, s4
                                        ; implicit-def: $vgpr11
.LBB335_174:
	s_and_not1_saveexec_b32 s2, s2
	s_cbranch_execz .LBB335_176
; %bb.175:
	v_lshlrev_b32_e32 v12, 2, v0
	v_lshlrev_b32_e32 v11, 2, v11
	v_readfirstlane_b32 s4, v7
	v_readfirstlane_b32 s5, v8
	ds_load_b32 v12, v12 offset:5120
	s_waitcnt lgkmcnt(0)
	global_store_b32 v11, v12, s[4:5]
.LBB335_176:
	s_or_b32 exec_lo, exec_lo, s2
	v_or_b32_e32 v11, 0x600, v0
	s_mov_b32 s2, exec_lo
	s_delay_alu instid0(VALU_DEP_1)
	v_cmpx_le_u32_e64 v1, v11
	s_xor_b32 s2, exec_lo, s2
	s_cbranch_execz .LBB335_182
; %bb.177:
	s_mov_b32 s4, exec_lo
	v_cmpx_le_u32_e64 v10, v11
	s_xor_b32 s4, exec_lo, s4
	s_cbranch_execz .LBB335_179
; %bb.178:
	v_lshlrev_b32_e32 v12, 2, v0
	v_add_co_u32 v11, vcc_lo, v3, v11
	ds_load_b32 v13, v12 offset:6144
	v_add_co_ci_u32_e32 v12, vcc_lo, 0, v9, vcc_lo
	s_delay_alu instid0(VALU_DEP_1) | instskip(NEXT) | instid1(VALU_DEP_1)
	v_lshlrev_b64 v[11:12], 2, v[11:12]
	v_sub_co_u32 v11, vcc_lo, s1, v11
	s_delay_alu instid0(VALU_DEP_2)
	v_sub_co_ci_u32_e32 v12, vcc_lo, s0, v12, vcc_lo
	s_waitcnt lgkmcnt(0)
	global_store_b32 v[11:12], v13, off
                                        ; implicit-def: $vgpr11
.LBB335_179:
	s_and_not1_saveexec_b32 s4, s4
	s_cbranch_execz .LBB335_181
; %bb.180:
	v_lshlrev_b32_e32 v12, 2, v0
	v_lshlrev_b32_e32 v11, 2, v11
	v_readfirstlane_b32 s6, v5
	v_readfirstlane_b32 s7, v6
	ds_load_b32 v12, v12 offset:6144
	s_waitcnt lgkmcnt(0)
	global_store_b32 v11, v12, s[6:7]
.LBB335_181:
	s_or_b32 exec_lo, exec_lo, s4
                                        ; implicit-def: $vgpr11
.LBB335_182:
	;; [unrolled: 51-line block ×8, first 2 shown]
	s_and_not1_saveexec_b32 s2, s2
	s_cbranch_execz .LBB335_232
; %bb.231:
	v_lshlrev_b32_e32 v12, 2, v0
	v_lshlrev_b32_e32 v11, 2, v11
	v_readfirstlane_b32 s4, v7
	v_readfirstlane_b32 s5, v8
	ds_load_b32 v12, v12 offset:12288
	s_waitcnt lgkmcnt(0)
	global_store_b32 v11, v12, s[4:5]
.LBB335_232:
	s_or_b32 exec_lo, exec_lo, s2
	s_branch .LBB335_126
.LBB335_233:
	s_mov_b32 s2, exec_lo
	v_cmpx_gt_u32_e64 s3, v0
	s_cbranch_execz .LBB335_242
; %bb.234:
	s_mov_b32 s4, exec_lo
	v_cmpx_le_u32_e64 v1, v0
	s_xor_b32 s4, exec_lo, s4
	s_cbranch_execz .LBB335_240
; %bb.235:
	s_mov_b32 s5, exec_lo
	v_cmpx_le_u32_e64 v10, v0
	s_xor_b32 s5, exec_lo, s5
	s_cbranch_execz .LBB335_237
; %bb.236:
	v_lshlrev_b32_e32 v11, 2, v0
	ds_load_b32 v13, v11
	v_add_co_u32 v11, vcc_lo, v3, v0
	v_add_co_ci_u32_e32 v12, vcc_lo, 0, v9, vcc_lo
	s_delay_alu instid0(VALU_DEP_1) | instskip(NEXT) | instid1(VALU_DEP_1)
	v_lshlrev_b64 v[11:12], 2, v[11:12]
	v_sub_co_u32 v11, vcc_lo, s26, v11
	s_delay_alu instid0(VALU_DEP_2)
	v_sub_co_ci_u32_e32 v12, vcc_lo, s27, v12, vcc_lo
	s_waitcnt lgkmcnt(0)
	global_store_b32 v[11:12], v13, off offset:-4
.LBB335_237:
	s_and_not1_saveexec_b32 s5, s5
	s_cbranch_execz .LBB335_239
; %bb.238:
	v_lshlrev_b32_e32 v11, 2, v0
	v_readfirstlane_b32 s6, v5
	v_readfirstlane_b32 s7, v6
	ds_load_b32 v12, v11
	s_waitcnt lgkmcnt(0)
	global_store_b32 v11, v12, s[6:7]
.LBB335_239:
	s_or_b32 exec_lo, exec_lo, s5
.LBB335_240:
	s_and_not1_saveexec_b32 s4, s4
	s_cbranch_execz .LBB335_242
; %bb.241:
	v_lshlrev_b32_e32 v11, 2, v0
	v_readfirstlane_b32 s4, v7
	v_readfirstlane_b32 s5, v8
	ds_load_b32 v12, v11
	s_waitcnt lgkmcnt(0)
	global_store_b32 v11, v12, s[4:5]
.LBB335_242:
	s_or_b32 exec_lo, exec_lo, s2
	v_or_b32_e32 v11, 0x100, v0
	s_mov_b32 s2, exec_lo
	s_delay_alu instid0(VALU_DEP_1)
	v_cmpx_gt_u32_e64 s3, v11
	s_cbranch_execz .LBB335_251
; %bb.243:
	s_mov_b32 s4, exec_lo
	v_cmpx_le_u32_e64 v1, v11
	s_xor_b32 s4, exec_lo, s4
	s_cbranch_execz .LBB335_249
; %bb.244:
	s_mov_b32 s5, exec_lo
	v_cmpx_le_u32_e64 v10, v11
	s_xor_b32 s5, exec_lo, s5
	s_cbranch_execz .LBB335_246
; %bb.245:
	v_lshlrev_b32_e32 v11, 2, v0
	ds_load_b32 v13, v11 offset:1024
	v_add_co_u32 v11, vcc_lo, v3, v0
	v_add_co_ci_u32_e32 v12, vcc_lo, 0, v9, vcc_lo
	s_delay_alu instid0(VALU_DEP_1) | instskip(NEXT) | instid1(VALU_DEP_1)
	v_lshlrev_b64 v[11:12], 2, v[11:12]
	v_sub_co_u32 v11, vcc_lo, s1, v11
	s_delay_alu instid0(VALU_DEP_2)
	v_sub_co_ci_u32_e32 v12, vcc_lo, s0, v12, vcc_lo
	s_waitcnt lgkmcnt(0)
	global_store_b32 v[11:12], v13, off offset:-1024
.LBB335_246:
	s_and_not1_saveexec_b32 s5, s5
	s_cbranch_execz .LBB335_248
; %bb.247:
	v_lshlrev_b32_e32 v11, 2, v0
	v_readfirstlane_b32 s6, v5
	v_readfirstlane_b32 s7, v6
	ds_load_b32 v12, v11 offset:1024
	s_waitcnt lgkmcnt(0)
	global_store_b32 v11, v12, s[6:7] offset:1024
.LBB335_248:
	s_or_b32 exec_lo, exec_lo, s5
.LBB335_249:
	s_and_not1_saveexec_b32 s4, s4
	s_cbranch_execz .LBB335_251
; %bb.250:
	v_lshlrev_b32_e32 v11, 2, v0
	v_readfirstlane_b32 s4, v7
	v_readfirstlane_b32 s5, v8
	ds_load_b32 v12, v11 offset:1024
	s_waitcnt lgkmcnt(0)
	global_store_b32 v11, v12, s[4:5] offset:1024
.LBB335_251:
	s_or_b32 exec_lo, exec_lo, s2
	v_or_b32_e32 v11, 0x200, v0
	s_mov_b32 s2, exec_lo
	s_delay_alu instid0(VALU_DEP_1)
	v_cmpx_gt_u32_e64 s3, v11
	s_cbranch_execz .LBB335_260
; %bb.252:
	s_mov_b32 s4, exec_lo
	v_cmpx_le_u32_e64 v1, v11
	s_xor_b32 s4, exec_lo, s4
	s_cbranch_execz .LBB335_258
; %bb.253:
	s_mov_b32 s5, exec_lo
	v_cmpx_le_u32_e64 v10, v11
	s_xor_b32 s5, exec_lo, s5
	s_cbranch_execz .LBB335_255
; %bb.254:
	v_lshlrev_b32_e32 v11, 2, v0
	ds_load_b32 v13, v11 offset:2048
	v_add_co_u32 v11, vcc_lo, v3, v0
	v_add_co_ci_u32_e32 v12, vcc_lo, 0, v9, vcc_lo
	s_delay_alu instid0(VALU_DEP_1) | instskip(NEXT) | instid1(VALU_DEP_1)
	v_lshlrev_b64 v[11:12], 2, v[11:12]
	v_sub_co_u32 v11, vcc_lo, s1, v11
	s_delay_alu instid0(VALU_DEP_2)
	v_sub_co_ci_u32_e32 v12, vcc_lo, s0, v12, vcc_lo
	s_waitcnt lgkmcnt(0)
	global_store_b32 v[11:12], v13, off offset:-2048
.LBB335_255:
	s_and_not1_saveexec_b32 s5, s5
	s_cbranch_execz .LBB335_257
; %bb.256:
	v_lshlrev_b32_e32 v11, 2, v0
	v_readfirstlane_b32 s6, v5
	v_readfirstlane_b32 s7, v6
	ds_load_b32 v12, v11 offset:2048
	s_waitcnt lgkmcnt(0)
	global_store_b32 v11, v12, s[6:7] offset:2048
.LBB335_257:
	s_or_b32 exec_lo, exec_lo, s5
.LBB335_258:
	s_and_not1_saveexec_b32 s4, s4
	s_cbranch_execz .LBB335_260
; %bb.259:
	v_lshlrev_b32_e32 v11, 2, v0
	v_readfirstlane_b32 s4, v7
	v_readfirstlane_b32 s5, v8
	ds_load_b32 v12, v11 offset:2048
	s_waitcnt lgkmcnt(0)
	global_store_b32 v11, v12, s[4:5] offset:2048
.LBB335_260:
	;; [unrolled: 51-line block ×3, first 2 shown]
	s_or_b32 exec_lo, exec_lo, s2
	v_or_b32_e32 v11, 0x400, v0
	s_mov_b32 s2, exec_lo
	s_delay_alu instid0(VALU_DEP_1)
	v_cmpx_gt_u32_e64 s3, v11
	s_cbranch_execz .LBB335_278
; %bb.270:
	s_mov_b32 s4, exec_lo
	v_cmpx_le_u32_e64 v1, v11
	s_xor_b32 s4, exec_lo, s4
	s_cbranch_execz .LBB335_276
; %bb.271:
	s_mov_b32 s5, exec_lo
	v_cmpx_le_u32_e64 v10, v11
	s_xor_b32 s5, exec_lo, s5
	s_cbranch_execz .LBB335_273
; %bb.272:
	v_lshlrev_b32_e32 v11, 2, v0
	ds_load_b32 v13, v11 offset:4096
	v_add_co_u32 v11, vcc_lo, v3, v0
	v_add_co_ci_u32_e32 v12, vcc_lo, 0, v9, vcc_lo
	s_delay_alu instid0(VALU_DEP_1) | instskip(NEXT) | instid1(VALU_DEP_1)
	v_lshlrev_b64 v[11:12], 2, v[11:12]
	v_sub_co_u32 v11, vcc_lo, s1, v11
	s_delay_alu instid0(VALU_DEP_2)
	v_sub_co_ci_u32_e32 v12, vcc_lo, s0, v12, vcc_lo
	s_waitcnt lgkmcnt(0)
	global_store_b32 v[11:12], v13, off offset:-4096
                                        ; implicit-def: $vgpr11
.LBB335_273:
	s_and_not1_saveexec_b32 s5, s5
	s_cbranch_execz .LBB335_275
; %bb.274:
	v_lshlrev_b32_e32 v12, 2, v0
	v_lshlrev_b32_e32 v11, 2, v11
	v_readfirstlane_b32 s6, v5
	v_readfirstlane_b32 s7, v6
	ds_load_b32 v12, v12 offset:4096
	s_waitcnt lgkmcnt(0)
	global_store_b32 v11, v12, s[6:7]
.LBB335_275:
	s_or_b32 exec_lo, exec_lo, s5
                                        ; implicit-def: $vgpr11
.LBB335_276:
	s_and_not1_saveexec_b32 s4, s4
	s_cbranch_execz .LBB335_278
; %bb.277:
	v_lshlrev_b32_e32 v12, 2, v0
	v_lshlrev_b32_e32 v11, 2, v11
	v_readfirstlane_b32 s4, v7
	v_readfirstlane_b32 s5, v8
	ds_load_b32 v12, v12 offset:4096
	s_waitcnt lgkmcnt(0)
	global_store_b32 v11, v12, s[4:5]
.LBB335_278:
	s_or_b32 exec_lo, exec_lo, s2
	v_or_b32_e32 v11, 0x500, v0
	s_mov_b32 s2, exec_lo
	s_delay_alu instid0(VALU_DEP_1)
	v_cmpx_gt_u32_e64 s3, v11
	s_cbranch_execz .LBB335_287
; %bb.279:
	s_mov_b32 s4, exec_lo
	v_cmpx_le_u32_e64 v1, v11
	s_xor_b32 s4, exec_lo, s4
	s_cbranch_execz .LBB335_285
; %bb.280:
	s_mov_b32 s5, exec_lo
	v_cmpx_le_u32_e64 v10, v11
	s_xor_b32 s5, exec_lo, s5
	s_cbranch_execz .LBB335_282
; %bb.281:
	v_lshlrev_b32_e32 v12, 2, v0
	v_add_co_u32 v11, vcc_lo, v3, v11
	ds_load_b32 v13, v12 offset:5120
	v_add_co_ci_u32_e32 v12, vcc_lo, 0, v9, vcc_lo
	s_delay_alu instid0(VALU_DEP_1) | instskip(NEXT) | instid1(VALU_DEP_1)
	v_lshlrev_b64 v[11:12], 2, v[11:12]
	v_sub_co_u32 v11, vcc_lo, s1, v11
	s_delay_alu instid0(VALU_DEP_2)
	v_sub_co_ci_u32_e32 v12, vcc_lo, s0, v12, vcc_lo
	s_waitcnt lgkmcnt(0)
	global_store_b32 v[11:12], v13, off
                                        ; implicit-def: $vgpr11
.LBB335_282:
	s_and_not1_saveexec_b32 s5, s5
	s_cbranch_execz .LBB335_284
; %bb.283:
	v_lshlrev_b32_e32 v12, 2, v0
	v_lshlrev_b32_e32 v11, 2, v11
	v_readfirstlane_b32 s6, v5
	v_readfirstlane_b32 s7, v6
	ds_load_b32 v12, v12 offset:5120
	s_waitcnt lgkmcnt(0)
	global_store_b32 v11, v12, s[6:7]
.LBB335_284:
	s_or_b32 exec_lo, exec_lo, s5
                                        ; implicit-def: $vgpr11
.LBB335_285:
	s_and_not1_saveexec_b32 s4, s4
	s_cbranch_execz .LBB335_287
; %bb.286:
	v_lshlrev_b32_e32 v12, 2, v0
	v_lshlrev_b32_e32 v11, 2, v11
	v_readfirstlane_b32 s4, v7
	v_readfirstlane_b32 s5, v8
	ds_load_b32 v12, v12 offset:5120
	s_waitcnt lgkmcnt(0)
	global_store_b32 v11, v12, s[4:5]
.LBB335_287:
	s_or_b32 exec_lo, exec_lo, s2
	v_or_b32_e32 v11, 0x600, v0
	s_mov_b32 s2, exec_lo
	s_delay_alu instid0(VALU_DEP_1)
	v_cmpx_gt_u32_e64 s3, v11
	s_cbranch_execz .LBB335_296
; %bb.288:
	s_mov_b32 s4, exec_lo
	v_cmpx_le_u32_e64 v1, v11
	s_xor_b32 s4, exec_lo, s4
	s_cbranch_execz .LBB335_294
; %bb.289:
	s_mov_b32 s5, exec_lo
	v_cmpx_le_u32_e64 v10, v11
	s_xor_b32 s5, exec_lo, s5
	s_cbranch_execz .LBB335_291
; %bb.290:
	v_lshlrev_b32_e32 v12, 2, v0
	v_add_co_u32 v11, vcc_lo, v3, v11
	ds_load_b32 v13, v12 offset:6144
	v_add_co_ci_u32_e32 v12, vcc_lo, 0, v9, vcc_lo
	s_delay_alu instid0(VALU_DEP_1) | instskip(NEXT) | instid1(VALU_DEP_1)
	v_lshlrev_b64 v[11:12], 2, v[11:12]
	v_sub_co_u32 v11, vcc_lo, s1, v11
	s_delay_alu instid0(VALU_DEP_2)
	v_sub_co_ci_u32_e32 v12, vcc_lo, s0, v12, vcc_lo
	s_waitcnt lgkmcnt(0)
	global_store_b32 v[11:12], v13, off
                                        ; implicit-def: $vgpr11
.LBB335_291:
	s_and_not1_saveexec_b32 s5, s5
	s_cbranch_execz .LBB335_293
; %bb.292:
	v_lshlrev_b32_e32 v12, 2, v0
	v_lshlrev_b32_e32 v11, 2, v11
	v_readfirstlane_b32 s6, v5
	v_readfirstlane_b32 s7, v6
	ds_load_b32 v12, v12 offset:6144
	s_waitcnt lgkmcnt(0)
	global_store_b32 v11, v12, s[6:7]
.LBB335_293:
	s_or_b32 exec_lo, exec_lo, s5
                                        ; implicit-def: $vgpr11
.LBB335_294:
	s_and_not1_saveexec_b32 s4, s4
	s_cbranch_execz .LBB335_296
; %bb.295:
	v_lshlrev_b32_e32 v12, 2, v0
	v_lshlrev_b32_e32 v11, 2, v11
	v_readfirstlane_b32 s4, v7
	v_readfirstlane_b32 s5, v8
	ds_load_b32 v12, v12 offset:6144
	s_waitcnt lgkmcnt(0)
	global_store_b32 v11, v12, s[4:5]
.LBB335_296:
	;; [unrolled: 55-line block ×7, first 2 shown]
	s_or_b32 exec_lo, exec_lo, s2
	v_or_b32_e32 v11, 0xc00, v0
	s_mov_b32 s2, exec_lo
	s_delay_alu instid0(VALU_DEP_1)
	v_cmpx_gt_u32_e64 s3, v11
	s_cbranch_execz .LBB335_350
; %bb.342:
	s_mov_b32 s3, exec_lo
	v_cmpx_le_u32_e64 v1, v11
	s_xor_b32 s3, exec_lo, s3
	s_cbranch_execz .LBB335_348
; %bb.343:
	s_mov_b32 s4, exec_lo
	v_cmpx_le_u32_e64 v10, v11
	s_xor_b32 s4, exec_lo, s4
	s_cbranch_execz .LBB335_345
; %bb.344:
	v_lshlrev_b32_e32 v5, 2, v0
	ds_load_b32 v7, v5 offset:12288
	v_add_co_u32 v5, vcc_lo, v3, v11
	v_add_co_ci_u32_e32 v6, vcc_lo, 0, v9, vcc_lo
                                        ; implicit-def: $vgpr11
	s_delay_alu instid0(VALU_DEP_1) | instskip(NEXT) | instid1(VALU_DEP_1)
	v_lshlrev_b64 v[5:6], 2, v[5:6]
	v_sub_co_u32 v5, vcc_lo, s1, v5
	s_delay_alu instid0(VALU_DEP_2)
	v_sub_co_ci_u32_e32 v6, vcc_lo, s0, v6, vcc_lo
	s_waitcnt lgkmcnt(0)
	global_store_b32 v[5:6], v7, off
                                        ; implicit-def: $vgpr5_vgpr6
.LBB335_345:
	s_and_not1_saveexec_b32 s0, s4
	s_cbranch_execz .LBB335_347
; %bb.346:
	v_lshlrev_b32_e32 v3, 2, v0
	v_lshlrev_b32_e32 v7, 2, v11
	v_readfirstlane_b32 s4, v5
	v_readfirstlane_b32 s5, v6
	ds_load_b32 v3, v3 offset:12288
	s_waitcnt lgkmcnt(0)
	global_store_b32 v7, v3, s[4:5]
.LBB335_347:
	s_or_b32 exec_lo, exec_lo, s0
                                        ; implicit-def: $vgpr11
                                        ; implicit-def: $vgpr7_vgpr8
.LBB335_348:
	s_and_not1_saveexec_b32 s0, s3
	s_cbranch_execz .LBB335_350
; %bb.349:
	v_lshlrev_b32_e32 v3, 2, v0
	v_lshlrev_b32_e32 v5, 2, v11
	v_readfirstlane_b32 s0, v7
	v_readfirstlane_b32 s1, v8
	ds_load_b32 v3, v3 offset:12288
	s_waitcnt lgkmcnt(0)
	global_store_b32 v5, v3, s[0:1]
.LBB335_350:
	s_or_b32 exec_lo, exec_lo, s2
	v_cmp_eq_u32_e32 vcc_lo, 0, v0
	s_and_b32 s0, vcc_lo, s14
	s_delay_alu instid0(SALU_CYCLE_1)
	s_and_saveexec_b32 s1, s0
	s_cbranch_execz .LBB335_127
.LBB335_351:
	v_add_co_u32 v2, s0, s30, v2
	s_delay_alu instid0(VALU_DEP_1) | instskip(SKIP_2) | instid1(VALU_DEP_4)
	v_add_co_ci_u32_e64 v3, null, s31, 0, s0
	v_add_co_u32 v0, vcc_lo, v18, v1
	v_add_co_ci_u32_e32 v1, vcc_lo, 0, v19, vcc_lo
	v_add_co_u32 v2, vcc_lo, v2, v4
	v_mov_b32_e32 v5, 0
	v_add_co_ci_u32_e32 v3, vcc_lo, 0, v3, vcc_lo
	global_store_b128 v5, v[0:3], s[24:25]
	s_nop 0
	s_sendmsg sendmsg(MSG_DEALLOC_VGPRS)
	s_endpgm
.LBB335_352:
	v_add_nc_u32_e32 v3, s7, v23
	s_add_i32 s10, s15, 32
	s_mov_b32 s11, 0
	v_dual_mov_b32 v5, 0 :: v_dual_add_nc_u32 v2, v22, v1
	s_lshl_b64 s[10:11], s[10:11], 4
	v_and_b32_e32 v20, 0xff0000, v3
	s_add_u32 s10, s4, s10
	s_addc_u32 s11, s5, s11
	v_and_b32_e32 v4, 0xff000000, v3
	s_delay_alu instid0(VALU_DEP_1) | instskip(SKIP_2) | instid1(VALU_DEP_1)
	v_or_b32_e32 v20, v20, v4
	v_dual_mov_b32 v4, 2 :: v_dual_and_b32 v21, 0xff00, v3
	v_and_b32_e32 v3, 0xff, v3
	v_or3_b32 v3, v20, v21, v3
	v_dual_mov_b32 v21, s11 :: v_dual_mov_b32 v20, s10
	;;#ASMSTART
	global_store_dwordx4 v[20:21], v[2:5] off	
s_waitcnt vmcnt(0)
	;;#ASMEND
	s_or_b32 exec_lo, exec_lo, s8
	s_and_saveexec_b32 s8, s2
	s_cbranch_execz .LBB335_111
.LBB335_353:
	v_mov_b32_e32 v2, s7
	v_add_nc_u32_e64 v3, 0x3400, 0
	ds_store_2addr_b32 v3, v1, v2 offset1:2
	ds_store_2addr_b32 v3, v22, v23 offset0:4 offset1:6
	s_or_b32 exec_lo, exec_lo, s8
	v_cmp_eq_u32_e32 vcc_lo, 0, v0
	s_and_b32 exec_lo, exec_lo, vcc_lo
	s_cbranch_execnz .LBB335_112
	s_branch .LBB335_113
	.section	.rodata,"a",@progbits
	.p2align	6, 0x0
	.amdhsa_kernel _ZN7rocprim17ROCPRIM_400000_NS6detail17trampoline_kernelINS0_13select_configILj256ELj13ELNS0_17block_load_methodE3ELS4_3ELS4_3ELNS0_20block_scan_algorithmE0ELj4294967295EEENS1_25partition_config_selectorILNS1_17partition_subalgoE4EjNS0_10empty_typeEbEEZZNS1_14partition_implILS8_4ELb0ES6_15HIP_vector_typeIjLj2EENS0_17counting_iteratorIjlEEPS9_SG_NS0_5tupleIJPjSI_NS0_16reverse_iteratorISI_EEEEENSH_IJSG_SG_SG_EEES9_SI_JZNS1_25segmented_radix_sort_implINS0_14default_configELb0EPKaPaPKlPlN2at6native12_GLOBAL__N_18offset_tEEE10hipError_tPvRmT1_PNSt15iterator_traitsIS12_E10value_typeET2_T3_PNS13_IS18_E10value_typeET4_jRbjT5_S1E_jjP12ihipStream_tbEUljE_ZNSN_ISO_Lb0ESQ_SR_ST_SU_SY_EESZ_S10_S11_S12_S16_S17_S18_S1B_S1C_jS1D_jS1E_S1E_jjS1G_bEUljE0_EEESZ_S10_S11_S18_S1C_S1E_T6_T7_T9_mT8_S1G_bDpT10_ENKUlT_T0_E_clISt17integral_constantIbLb0EES1U_EEDaS1P_S1Q_EUlS1P_E_NS1_11comp_targetILNS1_3genE9ELNS1_11target_archE1100ELNS1_3gpuE3ELNS1_3repE0EEENS1_30default_config_static_selectorELNS0_4arch9wavefront6targetE0EEEvS12_
		.amdhsa_group_segment_fixed_size 13340
		.amdhsa_private_segment_fixed_size 0
		.amdhsa_kernarg_size 176
		.amdhsa_user_sgpr_count 15
		.amdhsa_user_sgpr_dispatch_ptr 0
		.amdhsa_user_sgpr_queue_ptr 0
		.amdhsa_user_sgpr_kernarg_segment_ptr 1
		.amdhsa_user_sgpr_dispatch_id 0
		.amdhsa_user_sgpr_private_segment_size 0
		.amdhsa_wavefront_size32 1
		.amdhsa_uses_dynamic_stack 0
		.amdhsa_enable_private_segment 0
		.amdhsa_system_sgpr_workgroup_id_x 1
		.amdhsa_system_sgpr_workgroup_id_y 0
		.amdhsa_system_sgpr_workgroup_id_z 0
		.amdhsa_system_sgpr_workgroup_info 0
		.amdhsa_system_vgpr_workitem_id 0
		.amdhsa_next_free_vgpr 98
		.amdhsa_next_free_sgpr 59
		.amdhsa_reserve_vcc 1
		.amdhsa_float_round_mode_32 0
		.amdhsa_float_round_mode_16_64 0
		.amdhsa_float_denorm_mode_32 3
		.amdhsa_float_denorm_mode_16_64 3
		.amdhsa_dx10_clamp 1
		.amdhsa_ieee_mode 1
		.amdhsa_fp16_overflow 0
		.amdhsa_workgroup_processor_mode 1
		.amdhsa_memory_ordered 1
		.amdhsa_forward_progress 0
		.amdhsa_shared_vgpr_count 0
		.amdhsa_exception_fp_ieee_invalid_op 0
		.amdhsa_exception_fp_denorm_src 0
		.amdhsa_exception_fp_ieee_div_zero 0
		.amdhsa_exception_fp_ieee_overflow 0
		.amdhsa_exception_fp_ieee_underflow 0
		.amdhsa_exception_fp_ieee_inexact 0
		.amdhsa_exception_int_div_zero 0
	.end_amdhsa_kernel
	.section	.text._ZN7rocprim17ROCPRIM_400000_NS6detail17trampoline_kernelINS0_13select_configILj256ELj13ELNS0_17block_load_methodE3ELS4_3ELS4_3ELNS0_20block_scan_algorithmE0ELj4294967295EEENS1_25partition_config_selectorILNS1_17partition_subalgoE4EjNS0_10empty_typeEbEEZZNS1_14partition_implILS8_4ELb0ES6_15HIP_vector_typeIjLj2EENS0_17counting_iteratorIjlEEPS9_SG_NS0_5tupleIJPjSI_NS0_16reverse_iteratorISI_EEEEENSH_IJSG_SG_SG_EEES9_SI_JZNS1_25segmented_radix_sort_implINS0_14default_configELb0EPKaPaPKlPlN2at6native12_GLOBAL__N_18offset_tEEE10hipError_tPvRmT1_PNSt15iterator_traitsIS12_E10value_typeET2_T3_PNS13_IS18_E10value_typeET4_jRbjT5_S1E_jjP12ihipStream_tbEUljE_ZNSN_ISO_Lb0ESQ_SR_ST_SU_SY_EESZ_S10_S11_S12_S16_S17_S18_S1B_S1C_jS1D_jS1E_S1E_jjS1G_bEUljE0_EEESZ_S10_S11_S18_S1C_S1E_T6_T7_T9_mT8_S1G_bDpT10_ENKUlT_T0_E_clISt17integral_constantIbLb0EES1U_EEDaS1P_S1Q_EUlS1P_E_NS1_11comp_targetILNS1_3genE9ELNS1_11target_archE1100ELNS1_3gpuE3ELNS1_3repE0EEENS1_30default_config_static_selectorELNS0_4arch9wavefront6targetE0EEEvS12_,"axG",@progbits,_ZN7rocprim17ROCPRIM_400000_NS6detail17trampoline_kernelINS0_13select_configILj256ELj13ELNS0_17block_load_methodE3ELS4_3ELS4_3ELNS0_20block_scan_algorithmE0ELj4294967295EEENS1_25partition_config_selectorILNS1_17partition_subalgoE4EjNS0_10empty_typeEbEEZZNS1_14partition_implILS8_4ELb0ES6_15HIP_vector_typeIjLj2EENS0_17counting_iteratorIjlEEPS9_SG_NS0_5tupleIJPjSI_NS0_16reverse_iteratorISI_EEEEENSH_IJSG_SG_SG_EEES9_SI_JZNS1_25segmented_radix_sort_implINS0_14default_configELb0EPKaPaPKlPlN2at6native12_GLOBAL__N_18offset_tEEE10hipError_tPvRmT1_PNSt15iterator_traitsIS12_E10value_typeET2_T3_PNS13_IS18_E10value_typeET4_jRbjT5_S1E_jjP12ihipStream_tbEUljE_ZNSN_ISO_Lb0ESQ_SR_ST_SU_SY_EESZ_S10_S11_S12_S16_S17_S18_S1B_S1C_jS1D_jS1E_S1E_jjS1G_bEUljE0_EEESZ_S10_S11_S18_S1C_S1E_T6_T7_T9_mT8_S1G_bDpT10_ENKUlT_T0_E_clISt17integral_constantIbLb0EES1U_EEDaS1P_S1Q_EUlS1P_E_NS1_11comp_targetILNS1_3genE9ELNS1_11target_archE1100ELNS1_3gpuE3ELNS1_3repE0EEENS1_30default_config_static_selectorELNS0_4arch9wavefront6targetE0EEEvS12_,comdat
.Lfunc_end335:
	.size	_ZN7rocprim17ROCPRIM_400000_NS6detail17trampoline_kernelINS0_13select_configILj256ELj13ELNS0_17block_load_methodE3ELS4_3ELS4_3ELNS0_20block_scan_algorithmE0ELj4294967295EEENS1_25partition_config_selectorILNS1_17partition_subalgoE4EjNS0_10empty_typeEbEEZZNS1_14partition_implILS8_4ELb0ES6_15HIP_vector_typeIjLj2EENS0_17counting_iteratorIjlEEPS9_SG_NS0_5tupleIJPjSI_NS0_16reverse_iteratorISI_EEEEENSH_IJSG_SG_SG_EEES9_SI_JZNS1_25segmented_radix_sort_implINS0_14default_configELb0EPKaPaPKlPlN2at6native12_GLOBAL__N_18offset_tEEE10hipError_tPvRmT1_PNSt15iterator_traitsIS12_E10value_typeET2_T3_PNS13_IS18_E10value_typeET4_jRbjT5_S1E_jjP12ihipStream_tbEUljE_ZNSN_ISO_Lb0ESQ_SR_ST_SU_SY_EESZ_S10_S11_S12_S16_S17_S18_S1B_S1C_jS1D_jS1E_S1E_jjS1G_bEUljE0_EEESZ_S10_S11_S18_S1C_S1E_T6_T7_T9_mT8_S1G_bDpT10_ENKUlT_T0_E_clISt17integral_constantIbLb0EES1U_EEDaS1P_S1Q_EUlS1P_E_NS1_11comp_targetILNS1_3genE9ELNS1_11target_archE1100ELNS1_3gpuE3ELNS1_3repE0EEENS1_30default_config_static_selectorELNS0_4arch9wavefront6targetE0EEEvS12_, .Lfunc_end335-_ZN7rocprim17ROCPRIM_400000_NS6detail17trampoline_kernelINS0_13select_configILj256ELj13ELNS0_17block_load_methodE3ELS4_3ELS4_3ELNS0_20block_scan_algorithmE0ELj4294967295EEENS1_25partition_config_selectorILNS1_17partition_subalgoE4EjNS0_10empty_typeEbEEZZNS1_14partition_implILS8_4ELb0ES6_15HIP_vector_typeIjLj2EENS0_17counting_iteratorIjlEEPS9_SG_NS0_5tupleIJPjSI_NS0_16reverse_iteratorISI_EEEEENSH_IJSG_SG_SG_EEES9_SI_JZNS1_25segmented_radix_sort_implINS0_14default_configELb0EPKaPaPKlPlN2at6native12_GLOBAL__N_18offset_tEEE10hipError_tPvRmT1_PNSt15iterator_traitsIS12_E10value_typeET2_T3_PNS13_IS18_E10value_typeET4_jRbjT5_S1E_jjP12ihipStream_tbEUljE_ZNSN_ISO_Lb0ESQ_SR_ST_SU_SY_EESZ_S10_S11_S12_S16_S17_S18_S1B_S1C_jS1D_jS1E_S1E_jjS1G_bEUljE0_EEESZ_S10_S11_S18_S1C_S1E_T6_T7_T9_mT8_S1G_bDpT10_ENKUlT_T0_E_clISt17integral_constantIbLb0EES1U_EEDaS1P_S1Q_EUlS1P_E_NS1_11comp_targetILNS1_3genE9ELNS1_11target_archE1100ELNS1_3gpuE3ELNS1_3repE0EEENS1_30default_config_static_selectorELNS0_4arch9wavefront6targetE0EEEvS12_
                                        ; -- End function
	.section	.AMDGPU.csdata,"",@progbits
; Kernel info:
; codeLenInByte = 14984
; NumSgprs: 61
; NumVgprs: 98
; ScratchSize: 0
; MemoryBound: 0
; FloatMode: 240
; IeeeMode: 1
; LDSByteSize: 13340 bytes/workgroup (compile time only)
; SGPRBlocks: 7
; VGPRBlocks: 12
; NumSGPRsForWavesPerEU: 61
; NumVGPRsForWavesPerEU: 98
; Occupancy: 12
; WaveLimiterHint : 1
; COMPUTE_PGM_RSRC2:SCRATCH_EN: 0
; COMPUTE_PGM_RSRC2:USER_SGPR: 15
; COMPUTE_PGM_RSRC2:TRAP_HANDLER: 0
; COMPUTE_PGM_RSRC2:TGID_X_EN: 1
; COMPUTE_PGM_RSRC2:TGID_Y_EN: 0
; COMPUTE_PGM_RSRC2:TGID_Z_EN: 0
; COMPUTE_PGM_RSRC2:TIDIG_COMP_CNT: 0
	.section	.text._ZN7rocprim17ROCPRIM_400000_NS6detail17trampoline_kernelINS0_13select_configILj256ELj13ELNS0_17block_load_methodE3ELS4_3ELS4_3ELNS0_20block_scan_algorithmE0ELj4294967295EEENS1_25partition_config_selectorILNS1_17partition_subalgoE4EjNS0_10empty_typeEbEEZZNS1_14partition_implILS8_4ELb0ES6_15HIP_vector_typeIjLj2EENS0_17counting_iteratorIjlEEPS9_SG_NS0_5tupleIJPjSI_NS0_16reverse_iteratorISI_EEEEENSH_IJSG_SG_SG_EEES9_SI_JZNS1_25segmented_radix_sort_implINS0_14default_configELb0EPKaPaPKlPlN2at6native12_GLOBAL__N_18offset_tEEE10hipError_tPvRmT1_PNSt15iterator_traitsIS12_E10value_typeET2_T3_PNS13_IS18_E10value_typeET4_jRbjT5_S1E_jjP12ihipStream_tbEUljE_ZNSN_ISO_Lb0ESQ_SR_ST_SU_SY_EESZ_S10_S11_S12_S16_S17_S18_S1B_S1C_jS1D_jS1E_S1E_jjS1G_bEUljE0_EEESZ_S10_S11_S18_S1C_S1E_T6_T7_T9_mT8_S1G_bDpT10_ENKUlT_T0_E_clISt17integral_constantIbLb0EES1U_EEDaS1P_S1Q_EUlS1P_E_NS1_11comp_targetILNS1_3genE8ELNS1_11target_archE1030ELNS1_3gpuE2ELNS1_3repE0EEENS1_30default_config_static_selectorELNS0_4arch9wavefront6targetE0EEEvS12_,"axG",@progbits,_ZN7rocprim17ROCPRIM_400000_NS6detail17trampoline_kernelINS0_13select_configILj256ELj13ELNS0_17block_load_methodE3ELS4_3ELS4_3ELNS0_20block_scan_algorithmE0ELj4294967295EEENS1_25partition_config_selectorILNS1_17partition_subalgoE4EjNS0_10empty_typeEbEEZZNS1_14partition_implILS8_4ELb0ES6_15HIP_vector_typeIjLj2EENS0_17counting_iteratorIjlEEPS9_SG_NS0_5tupleIJPjSI_NS0_16reverse_iteratorISI_EEEEENSH_IJSG_SG_SG_EEES9_SI_JZNS1_25segmented_radix_sort_implINS0_14default_configELb0EPKaPaPKlPlN2at6native12_GLOBAL__N_18offset_tEEE10hipError_tPvRmT1_PNSt15iterator_traitsIS12_E10value_typeET2_T3_PNS13_IS18_E10value_typeET4_jRbjT5_S1E_jjP12ihipStream_tbEUljE_ZNSN_ISO_Lb0ESQ_SR_ST_SU_SY_EESZ_S10_S11_S12_S16_S17_S18_S1B_S1C_jS1D_jS1E_S1E_jjS1G_bEUljE0_EEESZ_S10_S11_S18_S1C_S1E_T6_T7_T9_mT8_S1G_bDpT10_ENKUlT_T0_E_clISt17integral_constantIbLb0EES1U_EEDaS1P_S1Q_EUlS1P_E_NS1_11comp_targetILNS1_3genE8ELNS1_11target_archE1030ELNS1_3gpuE2ELNS1_3repE0EEENS1_30default_config_static_selectorELNS0_4arch9wavefront6targetE0EEEvS12_,comdat
	.globl	_ZN7rocprim17ROCPRIM_400000_NS6detail17trampoline_kernelINS0_13select_configILj256ELj13ELNS0_17block_load_methodE3ELS4_3ELS4_3ELNS0_20block_scan_algorithmE0ELj4294967295EEENS1_25partition_config_selectorILNS1_17partition_subalgoE4EjNS0_10empty_typeEbEEZZNS1_14partition_implILS8_4ELb0ES6_15HIP_vector_typeIjLj2EENS0_17counting_iteratorIjlEEPS9_SG_NS0_5tupleIJPjSI_NS0_16reverse_iteratorISI_EEEEENSH_IJSG_SG_SG_EEES9_SI_JZNS1_25segmented_radix_sort_implINS0_14default_configELb0EPKaPaPKlPlN2at6native12_GLOBAL__N_18offset_tEEE10hipError_tPvRmT1_PNSt15iterator_traitsIS12_E10value_typeET2_T3_PNS13_IS18_E10value_typeET4_jRbjT5_S1E_jjP12ihipStream_tbEUljE_ZNSN_ISO_Lb0ESQ_SR_ST_SU_SY_EESZ_S10_S11_S12_S16_S17_S18_S1B_S1C_jS1D_jS1E_S1E_jjS1G_bEUljE0_EEESZ_S10_S11_S18_S1C_S1E_T6_T7_T9_mT8_S1G_bDpT10_ENKUlT_T0_E_clISt17integral_constantIbLb0EES1U_EEDaS1P_S1Q_EUlS1P_E_NS1_11comp_targetILNS1_3genE8ELNS1_11target_archE1030ELNS1_3gpuE2ELNS1_3repE0EEENS1_30default_config_static_selectorELNS0_4arch9wavefront6targetE0EEEvS12_ ; -- Begin function _ZN7rocprim17ROCPRIM_400000_NS6detail17trampoline_kernelINS0_13select_configILj256ELj13ELNS0_17block_load_methodE3ELS4_3ELS4_3ELNS0_20block_scan_algorithmE0ELj4294967295EEENS1_25partition_config_selectorILNS1_17partition_subalgoE4EjNS0_10empty_typeEbEEZZNS1_14partition_implILS8_4ELb0ES6_15HIP_vector_typeIjLj2EENS0_17counting_iteratorIjlEEPS9_SG_NS0_5tupleIJPjSI_NS0_16reverse_iteratorISI_EEEEENSH_IJSG_SG_SG_EEES9_SI_JZNS1_25segmented_radix_sort_implINS0_14default_configELb0EPKaPaPKlPlN2at6native12_GLOBAL__N_18offset_tEEE10hipError_tPvRmT1_PNSt15iterator_traitsIS12_E10value_typeET2_T3_PNS13_IS18_E10value_typeET4_jRbjT5_S1E_jjP12ihipStream_tbEUljE_ZNSN_ISO_Lb0ESQ_SR_ST_SU_SY_EESZ_S10_S11_S12_S16_S17_S18_S1B_S1C_jS1D_jS1E_S1E_jjS1G_bEUljE0_EEESZ_S10_S11_S18_S1C_S1E_T6_T7_T9_mT8_S1G_bDpT10_ENKUlT_T0_E_clISt17integral_constantIbLb0EES1U_EEDaS1P_S1Q_EUlS1P_E_NS1_11comp_targetILNS1_3genE8ELNS1_11target_archE1030ELNS1_3gpuE2ELNS1_3repE0EEENS1_30default_config_static_selectorELNS0_4arch9wavefront6targetE0EEEvS12_
	.p2align	8
	.type	_ZN7rocprim17ROCPRIM_400000_NS6detail17trampoline_kernelINS0_13select_configILj256ELj13ELNS0_17block_load_methodE3ELS4_3ELS4_3ELNS0_20block_scan_algorithmE0ELj4294967295EEENS1_25partition_config_selectorILNS1_17partition_subalgoE4EjNS0_10empty_typeEbEEZZNS1_14partition_implILS8_4ELb0ES6_15HIP_vector_typeIjLj2EENS0_17counting_iteratorIjlEEPS9_SG_NS0_5tupleIJPjSI_NS0_16reverse_iteratorISI_EEEEENSH_IJSG_SG_SG_EEES9_SI_JZNS1_25segmented_radix_sort_implINS0_14default_configELb0EPKaPaPKlPlN2at6native12_GLOBAL__N_18offset_tEEE10hipError_tPvRmT1_PNSt15iterator_traitsIS12_E10value_typeET2_T3_PNS13_IS18_E10value_typeET4_jRbjT5_S1E_jjP12ihipStream_tbEUljE_ZNSN_ISO_Lb0ESQ_SR_ST_SU_SY_EESZ_S10_S11_S12_S16_S17_S18_S1B_S1C_jS1D_jS1E_S1E_jjS1G_bEUljE0_EEESZ_S10_S11_S18_S1C_S1E_T6_T7_T9_mT8_S1G_bDpT10_ENKUlT_T0_E_clISt17integral_constantIbLb0EES1U_EEDaS1P_S1Q_EUlS1P_E_NS1_11comp_targetILNS1_3genE8ELNS1_11target_archE1030ELNS1_3gpuE2ELNS1_3repE0EEENS1_30default_config_static_selectorELNS0_4arch9wavefront6targetE0EEEvS12_,@function
_ZN7rocprim17ROCPRIM_400000_NS6detail17trampoline_kernelINS0_13select_configILj256ELj13ELNS0_17block_load_methodE3ELS4_3ELS4_3ELNS0_20block_scan_algorithmE0ELj4294967295EEENS1_25partition_config_selectorILNS1_17partition_subalgoE4EjNS0_10empty_typeEbEEZZNS1_14partition_implILS8_4ELb0ES6_15HIP_vector_typeIjLj2EENS0_17counting_iteratorIjlEEPS9_SG_NS0_5tupleIJPjSI_NS0_16reverse_iteratorISI_EEEEENSH_IJSG_SG_SG_EEES9_SI_JZNS1_25segmented_radix_sort_implINS0_14default_configELb0EPKaPaPKlPlN2at6native12_GLOBAL__N_18offset_tEEE10hipError_tPvRmT1_PNSt15iterator_traitsIS12_E10value_typeET2_T3_PNS13_IS18_E10value_typeET4_jRbjT5_S1E_jjP12ihipStream_tbEUljE_ZNSN_ISO_Lb0ESQ_SR_ST_SU_SY_EESZ_S10_S11_S12_S16_S17_S18_S1B_S1C_jS1D_jS1E_S1E_jjS1G_bEUljE0_EEESZ_S10_S11_S18_S1C_S1E_T6_T7_T9_mT8_S1G_bDpT10_ENKUlT_T0_E_clISt17integral_constantIbLb0EES1U_EEDaS1P_S1Q_EUlS1P_E_NS1_11comp_targetILNS1_3genE8ELNS1_11target_archE1030ELNS1_3gpuE2ELNS1_3repE0EEENS1_30default_config_static_selectorELNS0_4arch9wavefront6targetE0EEEvS12_: ; @_ZN7rocprim17ROCPRIM_400000_NS6detail17trampoline_kernelINS0_13select_configILj256ELj13ELNS0_17block_load_methodE3ELS4_3ELS4_3ELNS0_20block_scan_algorithmE0ELj4294967295EEENS1_25partition_config_selectorILNS1_17partition_subalgoE4EjNS0_10empty_typeEbEEZZNS1_14partition_implILS8_4ELb0ES6_15HIP_vector_typeIjLj2EENS0_17counting_iteratorIjlEEPS9_SG_NS0_5tupleIJPjSI_NS0_16reverse_iteratorISI_EEEEENSH_IJSG_SG_SG_EEES9_SI_JZNS1_25segmented_radix_sort_implINS0_14default_configELb0EPKaPaPKlPlN2at6native12_GLOBAL__N_18offset_tEEE10hipError_tPvRmT1_PNSt15iterator_traitsIS12_E10value_typeET2_T3_PNS13_IS18_E10value_typeET4_jRbjT5_S1E_jjP12ihipStream_tbEUljE_ZNSN_ISO_Lb0ESQ_SR_ST_SU_SY_EESZ_S10_S11_S12_S16_S17_S18_S1B_S1C_jS1D_jS1E_S1E_jjS1G_bEUljE0_EEESZ_S10_S11_S18_S1C_S1E_T6_T7_T9_mT8_S1G_bDpT10_ENKUlT_T0_E_clISt17integral_constantIbLb0EES1U_EEDaS1P_S1Q_EUlS1P_E_NS1_11comp_targetILNS1_3genE8ELNS1_11target_archE1030ELNS1_3gpuE2ELNS1_3repE0EEENS1_30default_config_static_selectorELNS0_4arch9wavefront6targetE0EEEvS12_
; %bb.0:
	.section	.rodata,"a",@progbits
	.p2align	6, 0x0
	.amdhsa_kernel _ZN7rocprim17ROCPRIM_400000_NS6detail17trampoline_kernelINS0_13select_configILj256ELj13ELNS0_17block_load_methodE3ELS4_3ELS4_3ELNS0_20block_scan_algorithmE0ELj4294967295EEENS1_25partition_config_selectorILNS1_17partition_subalgoE4EjNS0_10empty_typeEbEEZZNS1_14partition_implILS8_4ELb0ES6_15HIP_vector_typeIjLj2EENS0_17counting_iteratorIjlEEPS9_SG_NS0_5tupleIJPjSI_NS0_16reverse_iteratorISI_EEEEENSH_IJSG_SG_SG_EEES9_SI_JZNS1_25segmented_radix_sort_implINS0_14default_configELb0EPKaPaPKlPlN2at6native12_GLOBAL__N_18offset_tEEE10hipError_tPvRmT1_PNSt15iterator_traitsIS12_E10value_typeET2_T3_PNS13_IS18_E10value_typeET4_jRbjT5_S1E_jjP12ihipStream_tbEUljE_ZNSN_ISO_Lb0ESQ_SR_ST_SU_SY_EESZ_S10_S11_S12_S16_S17_S18_S1B_S1C_jS1D_jS1E_S1E_jjS1G_bEUljE0_EEESZ_S10_S11_S18_S1C_S1E_T6_T7_T9_mT8_S1G_bDpT10_ENKUlT_T0_E_clISt17integral_constantIbLb0EES1U_EEDaS1P_S1Q_EUlS1P_E_NS1_11comp_targetILNS1_3genE8ELNS1_11target_archE1030ELNS1_3gpuE2ELNS1_3repE0EEENS1_30default_config_static_selectorELNS0_4arch9wavefront6targetE0EEEvS12_
		.amdhsa_group_segment_fixed_size 0
		.amdhsa_private_segment_fixed_size 0
		.amdhsa_kernarg_size 176
		.amdhsa_user_sgpr_count 15
		.amdhsa_user_sgpr_dispatch_ptr 0
		.amdhsa_user_sgpr_queue_ptr 0
		.amdhsa_user_sgpr_kernarg_segment_ptr 1
		.amdhsa_user_sgpr_dispatch_id 0
		.amdhsa_user_sgpr_private_segment_size 0
		.amdhsa_wavefront_size32 1
		.amdhsa_uses_dynamic_stack 0
		.amdhsa_enable_private_segment 0
		.amdhsa_system_sgpr_workgroup_id_x 1
		.amdhsa_system_sgpr_workgroup_id_y 0
		.amdhsa_system_sgpr_workgroup_id_z 0
		.amdhsa_system_sgpr_workgroup_info 0
		.amdhsa_system_vgpr_workitem_id 0
		.amdhsa_next_free_vgpr 1
		.amdhsa_next_free_sgpr 1
		.amdhsa_reserve_vcc 0
		.amdhsa_float_round_mode_32 0
		.amdhsa_float_round_mode_16_64 0
		.amdhsa_float_denorm_mode_32 3
		.amdhsa_float_denorm_mode_16_64 3
		.amdhsa_dx10_clamp 1
		.amdhsa_ieee_mode 1
		.amdhsa_fp16_overflow 0
		.amdhsa_workgroup_processor_mode 1
		.amdhsa_memory_ordered 1
		.amdhsa_forward_progress 0
		.amdhsa_shared_vgpr_count 0
		.amdhsa_exception_fp_ieee_invalid_op 0
		.amdhsa_exception_fp_denorm_src 0
		.amdhsa_exception_fp_ieee_div_zero 0
		.amdhsa_exception_fp_ieee_overflow 0
		.amdhsa_exception_fp_ieee_underflow 0
		.amdhsa_exception_fp_ieee_inexact 0
		.amdhsa_exception_int_div_zero 0
	.end_amdhsa_kernel
	.section	.text._ZN7rocprim17ROCPRIM_400000_NS6detail17trampoline_kernelINS0_13select_configILj256ELj13ELNS0_17block_load_methodE3ELS4_3ELS4_3ELNS0_20block_scan_algorithmE0ELj4294967295EEENS1_25partition_config_selectorILNS1_17partition_subalgoE4EjNS0_10empty_typeEbEEZZNS1_14partition_implILS8_4ELb0ES6_15HIP_vector_typeIjLj2EENS0_17counting_iteratorIjlEEPS9_SG_NS0_5tupleIJPjSI_NS0_16reverse_iteratorISI_EEEEENSH_IJSG_SG_SG_EEES9_SI_JZNS1_25segmented_radix_sort_implINS0_14default_configELb0EPKaPaPKlPlN2at6native12_GLOBAL__N_18offset_tEEE10hipError_tPvRmT1_PNSt15iterator_traitsIS12_E10value_typeET2_T3_PNS13_IS18_E10value_typeET4_jRbjT5_S1E_jjP12ihipStream_tbEUljE_ZNSN_ISO_Lb0ESQ_SR_ST_SU_SY_EESZ_S10_S11_S12_S16_S17_S18_S1B_S1C_jS1D_jS1E_S1E_jjS1G_bEUljE0_EEESZ_S10_S11_S18_S1C_S1E_T6_T7_T9_mT8_S1G_bDpT10_ENKUlT_T0_E_clISt17integral_constantIbLb0EES1U_EEDaS1P_S1Q_EUlS1P_E_NS1_11comp_targetILNS1_3genE8ELNS1_11target_archE1030ELNS1_3gpuE2ELNS1_3repE0EEENS1_30default_config_static_selectorELNS0_4arch9wavefront6targetE0EEEvS12_,"axG",@progbits,_ZN7rocprim17ROCPRIM_400000_NS6detail17trampoline_kernelINS0_13select_configILj256ELj13ELNS0_17block_load_methodE3ELS4_3ELS4_3ELNS0_20block_scan_algorithmE0ELj4294967295EEENS1_25partition_config_selectorILNS1_17partition_subalgoE4EjNS0_10empty_typeEbEEZZNS1_14partition_implILS8_4ELb0ES6_15HIP_vector_typeIjLj2EENS0_17counting_iteratorIjlEEPS9_SG_NS0_5tupleIJPjSI_NS0_16reverse_iteratorISI_EEEEENSH_IJSG_SG_SG_EEES9_SI_JZNS1_25segmented_radix_sort_implINS0_14default_configELb0EPKaPaPKlPlN2at6native12_GLOBAL__N_18offset_tEEE10hipError_tPvRmT1_PNSt15iterator_traitsIS12_E10value_typeET2_T3_PNS13_IS18_E10value_typeET4_jRbjT5_S1E_jjP12ihipStream_tbEUljE_ZNSN_ISO_Lb0ESQ_SR_ST_SU_SY_EESZ_S10_S11_S12_S16_S17_S18_S1B_S1C_jS1D_jS1E_S1E_jjS1G_bEUljE0_EEESZ_S10_S11_S18_S1C_S1E_T6_T7_T9_mT8_S1G_bDpT10_ENKUlT_T0_E_clISt17integral_constantIbLb0EES1U_EEDaS1P_S1Q_EUlS1P_E_NS1_11comp_targetILNS1_3genE8ELNS1_11target_archE1030ELNS1_3gpuE2ELNS1_3repE0EEENS1_30default_config_static_selectorELNS0_4arch9wavefront6targetE0EEEvS12_,comdat
.Lfunc_end336:
	.size	_ZN7rocprim17ROCPRIM_400000_NS6detail17trampoline_kernelINS0_13select_configILj256ELj13ELNS0_17block_load_methodE3ELS4_3ELS4_3ELNS0_20block_scan_algorithmE0ELj4294967295EEENS1_25partition_config_selectorILNS1_17partition_subalgoE4EjNS0_10empty_typeEbEEZZNS1_14partition_implILS8_4ELb0ES6_15HIP_vector_typeIjLj2EENS0_17counting_iteratorIjlEEPS9_SG_NS0_5tupleIJPjSI_NS0_16reverse_iteratorISI_EEEEENSH_IJSG_SG_SG_EEES9_SI_JZNS1_25segmented_radix_sort_implINS0_14default_configELb0EPKaPaPKlPlN2at6native12_GLOBAL__N_18offset_tEEE10hipError_tPvRmT1_PNSt15iterator_traitsIS12_E10value_typeET2_T3_PNS13_IS18_E10value_typeET4_jRbjT5_S1E_jjP12ihipStream_tbEUljE_ZNSN_ISO_Lb0ESQ_SR_ST_SU_SY_EESZ_S10_S11_S12_S16_S17_S18_S1B_S1C_jS1D_jS1E_S1E_jjS1G_bEUljE0_EEESZ_S10_S11_S18_S1C_S1E_T6_T7_T9_mT8_S1G_bDpT10_ENKUlT_T0_E_clISt17integral_constantIbLb0EES1U_EEDaS1P_S1Q_EUlS1P_E_NS1_11comp_targetILNS1_3genE8ELNS1_11target_archE1030ELNS1_3gpuE2ELNS1_3repE0EEENS1_30default_config_static_selectorELNS0_4arch9wavefront6targetE0EEEvS12_, .Lfunc_end336-_ZN7rocprim17ROCPRIM_400000_NS6detail17trampoline_kernelINS0_13select_configILj256ELj13ELNS0_17block_load_methodE3ELS4_3ELS4_3ELNS0_20block_scan_algorithmE0ELj4294967295EEENS1_25partition_config_selectorILNS1_17partition_subalgoE4EjNS0_10empty_typeEbEEZZNS1_14partition_implILS8_4ELb0ES6_15HIP_vector_typeIjLj2EENS0_17counting_iteratorIjlEEPS9_SG_NS0_5tupleIJPjSI_NS0_16reverse_iteratorISI_EEEEENSH_IJSG_SG_SG_EEES9_SI_JZNS1_25segmented_radix_sort_implINS0_14default_configELb0EPKaPaPKlPlN2at6native12_GLOBAL__N_18offset_tEEE10hipError_tPvRmT1_PNSt15iterator_traitsIS12_E10value_typeET2_T3_PNS13_IS18_E10value_typeET4_jRbjT5_S1E_jjP12ihipStream_tbEUljE_ZNSN_ISO_Lb0ESQ_SR_ST_SU_SY_EESZ_S10_S11_S12_S16_S17_S18_S1B_S1C_jS1D_jS1E_S1E_jjS1G_bEUljE0_EEESZ_S10_S11_S18_S1C_S1E_T6_T7_T9_mT8_S1G_bDpT10_ENKUlT_T0_E_clISt17integral_constantIbLb0EES1U_EEDaS1P_S1Q_EUlS1P_E_NS1_11comp_targetILNS1_3genE8ELNS1_11target_archE1030ELNS1_3gpuE2ELNS1_3repE0EEENS1_30default_config_static_selectorELNS0_4arch9wavefront6targetE0EEEvS12_
                                        ; -- End function
	.section	.AMDGPU.csdata,"",@progbits
; Kernel info:
; codeLenInByte = 0
; NumSgprs: 0
; NumVgprs: 0
; ScratchSize: 0
; MemoryBound: 0
; FloatMode: 240
; IeeeMode: 1
; LDSByteSize: 0 bytes/workgroup (compile time only)
; SGPRBlocks: 0
; VGPRBlocks: 0
; NumSGPRsForWavesPerEU: 1
; NumVGPRsForWavesPerEU: 1
; Occupancy: 16
; WaveLimiterHint : 0
; COMPUTE_PGM_RSRC2:SCRATCH_EN: 0
; COMPUTE_PGM_RSRC2:USER_SGPR: 15
; COMPUTE_PGM_RSRC2:TRAP_HANDLER: 0
; COMPUTE_PGM_RSRC2:TGID_X_EN: 1
; COMPUTE_PGM_RSRC2:TGID_Y_EN: 0
; COMPUTE_PGM_RSRC2:TGID_Z_EN: 0
; COMPUTE_PGM_RSRC2:TIDIG_COMP_CNT: 0
	.section	.text._ZN7rocprim17ROCPRIM_400000_NS6detail17trampoline_kernelINS0_13select_configILj256ELj13ELNS0_17block_load_methodE3ELS4_3ELS4_3ELNS0_20block_scan_algorithmE0ELj4294967295EEENS1_25partition_config_selectorILNS1_17partition_subalgoE4EjNS0_10empty_typeEbEEZZNS1_14partition_implILS8_4ELb0ES6_15HIP_vector_typeIjLj2EENS0_17counting_iteratorIjlEEPS9_SG_NS0_5tupleIJPjSI_NS0_16reverse_iteratorISI_EEEEENSH_IJSG_SG_SG_EEES9_SI_JZNS1_25segmented_radix_sort_implINS0_14default_configELb0EPKaPaPKlPlN2at6native12_GLOBAL__N_18offset_tEEE10hipError_tPvRmT1_PNSt15iterator_traitsIS12_E10value_typeET2_T3_PNS13_IS18_E10value_typeET4_jRbjT5_S1E_jjP12ihipStream_tbEUljE_ZNSN_ISO_Lb0ESQ_SR_ST_SU_SY_EESZ_S10_S11_S12_S16_S17_S18_S1B_S1C_jS1D_jS1E_S1E_jjS1G_bEUljE0_EEESZ_S10_S11_S18_S1C_S1E_T6_T7_T9_mT8_S1G_bDpT10_ENKUlT_T0_E_clISt17integral_constantIbLb1EES1U_EEDaS1P_S1Q_EUlS1P_E_NS1_11comp_targetILNS1_3genE0ELNS1_11target_archE4294967295ELNS1_3gpuE0ELNS1_3repE0EEENS1_30default_config_static_selectorELNS0_4arch9wavefront6targetE0EEEvS12_,"axG",@progbits,_ZN7rocprim17ROCPRIM_400000_NS6detail17trampoline_kernelINS0_13select_configILj256ELj13ELNS0_17block_load_methodE3ELS4_3ELS4_3ELNS0_20block_scan_algorithmE0ELj4294967295EEENS1_25partition_config_selectorILNS1_17partition_subalgoE4EjNS0_10empty_typeEbEEZZNS1_14partition_implILS8_4ELb0ES6_15HIP_vector_typeIjLj2EENS0_17counting_iteratorIjlEEPS9_SG_NS0_5tupleIJPjSI_NS0_16reverse_iteratorISI_EEEEENSH_IJSG_SG_SG_EEES9_SI_JZNS1_25segmented_radix_sort_implINS0_14default_configELb0EPKaPaPKlPlN2at6native12_GLOBAL__N_18offset_tEEE10hipError_tPvRmT1_PNSt15iterator_traitsIS12_E10value_typeET2_T3_PNS13_IS18_E10value_typeET4_jRbjT5_S1E_jjP12ihipStream_tbEUljE_ZNSN_ISO_Lb0ESQ_SR_ST_SU_SY_EESZ_S10_S11_S12_S16_S17_S18_S1B_S1C_jS1D_jS1E_S1E_jjS1G_bEUljE0_EEESZ_S10_S11_S18_S1C_S1E_T6_T7_T9_mT8_S1G_bDpT10_ENKUlT_T0_E_clISt17integral_constantIbLb1EES1U_EEDaS1P_S1Q_EUlS1P_E_NS1_11comp_targetILNS1_3genE0ELNS1_11target_archE4294967295ELNS1_3gpuE0ELNS1_3repE0EEENS1_30default_config_static_selectorELNS0_4arch9wavefront6targetE0EEEvS12_,comdat
	.globl	_ZN7rocprim17ROCPRIM_400000_NS6detail17trampoline_kernelINS0_13select_configILj256ELj13ELNS0_17block_load_methodE3ELS4_3ELS4_3ELNS0_20block_scan_algorithmE0ELj4294967295EEENS1_25partition_config_selectorILNS1_17partition_subalgoE4EjNS0_10empty_typeEbEEZZNS1_14partition_implILS8_4ELb0ES6_15HIP_vector_typeIjLj2EENS0_17counting_iteratorIjlEEPS9_SG_NS0_5tupleIJPjSI_NS0_16reverse_iteratorISI_EEEEENSH_IJSG_SG_SG_EEES9_SI_JZNS1_25segmented_radix_sort_implINS0_14default_configELb0EPKaPaPKlPlN2at6native12_GLOBAL__N_18offset_tEEE10hipError_tPvRmT1_PNSt15iterator_traitsIS12_E10value_typeET2_T3_PNS13_IS18_E10value_typeET4_jRbjT5_S1E_jjP12ihipStream_tbEUljE_ZNSN_ISO_Lb0ESQ_SR_ST_SU_SY_EESZ_S10_S11_S12_S16_S17_S18_S1B_S1C_jS1D_jS1E_S1E_jjS1G_bEUljE0_EEESZ_S10_S11_S18_S1C_S1E_T6_T7_T9_mT8_S1G_bDpT10_ENKUlT_T0_E_clISt17integral_constantIbLb1EES1U_EEDaS1P_S1Q_EUlS1P_E_NS1_11comp_targetILNS1_3genE0ELNS1_11target_archE4294967295ELNS1_3gpuE0ELNS1_3repE0EEENS1_30default_config_static_selectorELNS0_4arch9wavefront6targetE0EEEvS12_ ; -- Begin function _ZN7rocprim17ROCPRIM_400000_NS6detail17trampoline_kernelINS0_13select_configILj256ELj13ELNS0_17block_load_methodE3ELS4_3ELS4_3ELNS0_20block_scan_algorithmE0ELj4294967295EEENS1_25partition_config_selectorILNS1_17partition_subalgoE4EjNS0_10empty_typeEbEEZZNS1_14partition_implILS8_4ELb0ES6_15HIP_vector_typeIjLj2EENS0_17counting_iteratorIjlEEPS9_SG_NS0_5tupleIJPjSI_NS0_16reverse_iteratorISI_EEEEENSH_IJSG_SG_SG_EEES9_SI_JZNS1_25segmented_radix_sort_implINS0_14default_configELb0EPKaPaPKlPlN2at6native12_GLOBAL__N_18offset_tEEE10hipError_tPvRmT1_PNSt15iterator_traitsIS12_E10value_typeET2_T3_PNS13_IS18_E10value_typeET4_jRbjT5_S1E_jjP12ihipStream_tbEUljE_ZNSN_ISO_Lb0ESQ_SR_ST_SU_SY_EESZ_S10_S11_S12_S16_S17_S18_S1B_S1C_jS1D_jS1E_S1E_jjS1G_bEUljE0_EEESZ_S10_S11_S18_S1C_S1E_T6_T7_T9_mT8_S1G_bDpT10_ENKUlT_T0_E_clISt17integral_constantIbLb1EES1U_EEDaS1P_S1Q_EUlS1P_E_NS1_11comp_targetILNS1_3genE0ELNS1_11target_archE4294967295ELNS1_3gpuE0ELNS1_3repE0EEENS1_30default_config_static_selectorELNS0_4arch9wavefront6targetE0EEEvS12_
	.p2align	8
	.type	_ZN7rocprim17ROCPRIM_400000_NS6detail17trampoline_kernelINS0_13select_configILj256ELj13ELNS0_17block_load_methodE3ELS4_3ELS4_3ELNS0_20block_scan_algorithmE0ELj4294967295EEENS1_25partition_config_selectorILNS1_17partition_subalgoE4EjNS0_10empty_typeEbEEZZNS1_14partition_implILS8_4ELb0ES6_15HIP_vector_typeIjLj2EENS0_17counting_iteratorIjlEEPS9_SG_NS0_5tupleIJPjSI_NS0_16reverse_iteratorISI_EEEEENSH_IJSG_SG_SG_EEES9_SI_JZNS1_25segmented_radix_sort_implINS0_14default_configELb0EPKaPaPKlPlN2at6native12_GLOBAL__N_18offset_tEEE10hipError_tPvRmT1_PNSt15iterator_traitsIS12_E10value_typeET2_T3_PNS13_IS18_E10value_typeET4_jRbjT5_S1E_jjP12ihipStream_tbEUljE_ZNSN_ISO_Lb0ESQ_SR_ST_SU_SY_EESZ_S10_S11_S12_S16_S17_S18_S1B_S1C_jS1D_jS1E_S1E_jjS1G_bEUljE0_EEESZ_S10_S11_S18_S1C_S1E_T6_T7_T9_mT8_S1G_bDpT10_ENKUlT_T0_E_clISt17integral_constantIbLb1EES1U_EEDaS1P_S1Q_EUlS1P_E_NS1_11comp_targetILNS1_3genE0ELNS1_11target_archE4294967295ELNS1_3gpuE0ELNS1_3repE0EEENS1_30default_config_static_selectorELNS0_4arch9wavefront6targetE0EEEvS12_,@function
_ZN7rocprim17ROCPRIM_400000_NS6detail17trampoline_kernelINS0_13select_configILj256ELj13ELNS0_17block_load_methodE3ELS4_3ELS4_3ELNS0_20block_scan_algorithmE0ELj4294967295EEENS1_25partition_config_selectorILNS1_17partition_subalgoE4EjNS0_10empty_typeEbEEZZNS1_14partition_implILS8_4ELb0ES6_15HIP_vector_typeIjLj2EENS0_17counting_iteratorIjlEEPS9_SG_NS0_5tupleIJPjSI_NS0_16reverse_iteratorISI_EEEEENSH_IJSG_SG_SG_EEES9_SI_JZNS1_25segmented_radix_sort_implINS0_14default_configELb0EPKaPaPKlPlN2at6native12_GLOBAL__N_18offset_tEEE10hipError_tPvRmT1_PNSt15iterator_traitsIS12_E10value_typeET2_T3_PNS13_IS18_E10value_typeET4_jRbjT5_S1E_jjP12ihipStream_tbEUljE_ZNSN_ISO_Lb0ESQ_SR_ST_SU_SY_EESZ_S10_S11_S12_S16_S17_S18_S1B_S1C_jS1D_jS1E_S1E_jjS1G_bEUljE0_EEESZ_S10_S11_S18_S1C_S1E_T6_T7_T9_mT8_S1G_bDpT10_ENKUlT_T0_E_clISt17integral_constantIbLb1EES1U_EEDaS1P_S1Q_EUlS1P_E_NS1_11comp_targetILNS1_3genE0ELNS1_11target_archE4294967295ELNS1_3gpuE0ELNS1_3repE0EEENS1_30default_config_static_selectorELNS0_4arch9wavefront6targetE0EEEvS12_: ; @_ZN7rocprim17ROCPRIM_400000_NS6detail17trampoline_kernelINS0_13select_configILj256ELj13ELNS0_17block_load_methodE3ELS4_3ELS4_3ELNS0_20block_scan_algorithmE0ELj4294967295EEENS1_25partition_config_selectorILNS1_17partition_subalgoE4EjNS0_10empty_typeEbEEZZNS1_14partition_implILS8_4ELb0ES6_15HIP_vector_typeIjLj2EENS0_17counting_iteratorIjlEEPS9_SG_NS0_5tupleIJPjSI_NS0_16reverse_iteratorISI_EEEEENSH_IJSG_SG_SG_EEES9_SI_JZNS1_25segmented_radix_sort_implINS0_14default_configELb0EPKaPaPKlPlN2at6native12_GLOBAL__N_18offset_tEEE10hipError_tPvRmT1_PNSt15iterator_traitsIS12_E10value_typeET2_T3_PNS13_IS18_E10value_typeET4_jRbjT5_S1E_jjP12ihipStream_tbEUljE_ZNSN_ISO_Lb0ESQ_SR_ST_SU_SY_EESZ_S10_S11_S12_S16_S17_S18_S1B_S1C_jS1D_jS1E_S1E_jjS1G_bEUljE0_EEESZ_S10_S11_S18_S1C_S1E_T6_T7_T9_mT8_S1G_bDpT10_ENKUlT_T0_E_clISt17integral_constantIbLb1EES1U_EEDaS1P_S1Q_EUlS1P_E_NS1_11comp_targetILNS1_3genE0ELNS1_11target_archE4294967295ELNS1_3gpuE0ELNS1_3repE0EEENS1_30default_config_static_selectorELNS0_4arch9wavefront6targetE0EEEvS12_
; %bb.0:
	.section	.rodata,"a",@progbits
	.p2align	6, 0x0
	.amdhsa_kernel _ZN7rocprim17ROCPRIM_400000_NS6detail17trampoline_kernelINS0_13select_configILj256ELj13ELNS0_17block_load_methodE3ELS4_3ELS4_3ELNS0_20block_scan_algorithmE0ELj4294967295EEENS1_25partition_config_selectorILNS1_17partition_subalgoE4EjNS0_10empty_typeEbEEZZNS1_14partition_implILS8_4ELb0ES6_15HIP_vector_typeIjLj2EENS0_17counting_iteratorIjlEEPS9_SG_NS0_5tupleIJPjSI_NS0_16reverse_iteratorISI_EEEEENSH_IJSG_SG_SG_EEES9_SI_JZNS1_25segmented_radix_sort_implINS0_14default_configELb0EPKaPaPKlPlN2at6native12_GLOBAL__N_18offset_tEEE10hipError_tPvRmT1_PNSt15iterator_traitsIS12_E10value_typeET2_T3_PNS13_IS18_E10value_typeET4_jRbjT5_S1E_jjP12ihipStream_tbEUljE_ZNSN_ISO_Lb0ESQ_SR_ST_SU_SY_EESZ_S10_S11_S12_S16_S17_S18_S1B_S1C_jS1D_jS1E_S1E_jjS1G_bEUljE0_EEESZ_S10_S11_S18_S1C_S1E_T6_T7_T9_mT8_S1G_bDpT10_ENKUlT_T0_E_clISt17integral_constantIbLb1EES1U_EEDaS1P_S1Q_EUlS1P_E_NS1_11comp_targetILNS1_3genE0ELNS1_11target_archE4294967295ELNS1_3gpuE0ELNS1_3repE0EEENS1_30default_config_static_selectorELNS0_4arch9wavefront6targetE0EEEvS12_
		.amdhsa_group_segment_fixed_size 0
		.amdhsa_private_segment_fixed_size 0
		.amdhsa_kernarg_size 184
		.amdhsa_user_sgpr_count 15
		.amdhsa_user_sgpr_dispatch_ptr 0
		.amdhsa_user_sgpr_queue_ptr 0
		.amdhsa_user_sgpr_kernarg_segment_ptr 1
		.amdhsa_user_sgpr_dispatch_id 0
		.amdhsa_user_sgpr_private_segment_size 0
		.amdhsa_wavefront_size32 1
		.amdhsa_uses_dynamic_stack 0
		.amdhsa_enable_private_segment 0
		.amdhsa_system_sgpr_workgroup_id_x 1
		.amdhsa_system_sgpr_workgroup_id_y 0
		.amdhsa_system_sgpr_workgroup_id_z 0
		.amdhsa_system_sgpr_workgroup_info 0
		.amdhsa_system_vgpr_workitem_id 0
		.amdhsa_next_free_vgpr 1
		.amdhsa_next_free_sgpr 1
		.amdhsa_reserve_vcc 0
		.amdhsa_float_round_mode_32 0
		.amdhsa_float_round_mode_16_64 0
		.amdhsa_float_denorm_mode_32 3
		.amdhsa_float_denorm_mode_16_64 3
		.amdhsa_dx10_clamp 1
		.amdhsa_ieee_mode 1
		.amdhsa_fp16_overflow 0
		.amdhsa_workgroup_processor_mode 1
		.amdhsa_memory_ordered 1
		.amdhsa_forward_progress 0
		.amdhsa_shared_vgpr_count 0
		.amdhsa_exception_fp_ieee_invalid_op 0
		.amdhsa_exception_fp_denorm_src 0
		.amdhsa_exception_fp_ieee_div_zero 0
		.amdhsa_exception_fp_ieee_overflow 0
		.amdhsa_exception_fp_ieee_underflow 0
		.amdhsa_exception_fp_ieee_inexact 0
		.amdhsa_exception_int_div_zero 0
	.end_amdhsa_kernel
	.section	.text._ZN7rocprim17ROCPRIM_400000_NS6detail17trampoline_kernelINS0_13select_configILj256ELj13ELNS0_17block_load_methodE3ELS4_3ELS4_3ELNS0_20block_scan_algorithmE0ELj4294967295EEENS1_25partition_config_selectorILNS1_17partition_subalgoE4EjNS0_10empty_typeEbEEZZNS1_14partition_implILS8_4ELb0ES6_15HIP_vector_typeIjLj2EENS0_17counting_iteratorIjlEEPS9_SG_NS0_5tupleIJPjSI_NS0_16reverse_iteratorISI_EEEEENSH_IJSG_SG_SG_EEES9_SI_JZNS1_25segmented_radix_sort_implINS0_14default_configELb0EPKaPaPKlPlN2at6native12_GLOBAL__N_18offset_tEEE10hipError_tPvRmT1_PNSt15iterator_traitsIS12_E10value_typeET2_T3_PNS13_IS18_E10value_typeET4_jRbjT5_S1E_jjP12ihipStream_tbEUljE_ZNSN_ISO_Lb0ESQ_SR_ST_SU_SY_EESZ_S10_S11_S12_S16_S17_S18_S1B_S1C_jS1D_jS1E_S1E_jjS1G_bEUljE0_EEESZ_S10_S11_S18_S1C_S1E_T6_T7_T9_mT8_S1G_bDpT10_ENKUlT_T0_E_clISt17integral_constantIbLb1EES1U_EEDaS1P_S1Q_EUlS1P_E_NS1_11comp_targetILNS1_3genE0ELNS1_11target_archE4294967295ELNS1_3gpuE0ELNS1_3repE0EEENS1_30default_config_static_selectorELNS0_4arch9wavefront6targetE0EEEvS12_,"axG",@progbits,_ZN7rocprim17ROCPRIM_400000_NS6detail17trampoline_kernelINS0_13select_configILj256ELj13ELNS0_17block_load_methodE3ELS4_3ELS4_3ELNS0_20block_scan_algorithmE0ELj4294967295EEENS1_25partition_config_selectorILNS1_17partition_subalgoE4EjNS0_10empty_typeEbEEZZNS1_14partition_implILS8_4ELb0ES6_15HIP_vector_typeIjLj2EENS0_17counting_iteratorIjlEEPS9_SG_NS0_5tupleIJPjSI_NS0_16reverse_iteratorISI_EEEEENSH_IJSG_SG_SG_EEES9_SI_JZNS1_25segmented_radix_sort_implINS0_14default_configELb0EPKaPaPKlPlN2at6native12_GLOBAL__N_18offset_tEEE10hipError_tPvRmT1_PNSt15iterator_traitsIS12_E10value_typeET2_T3_PNS13_IS18_E10value_typeET4_jRbjT5_S1E_jjP12ihipStream_tbEUljE_ZNSN_ISO_Lb0ESQ_SR_ST_SU_SY_EESZ_S10_S11_S12_S16_S17_S18_S1B_S1C_jS1D_jS1E_S1E_jjS1G_bEUljE0_EEESZ_S10_S11_S18_S1C_S1E_T6_T7_T9_mT8_S1G_bDpT10_ENKUlT_T0_E_clISt17integral_constantIbLb1EES1U_EEDaS1P_S1Q_EUlS1P_E_NS1_11comp_targetILNS1_3genE0ELNS1_11target_archE4294967295ELNS1_3gpuE0ELNS1_3repE0EEENS1_30default_config_static_selectorELNS0_4arch9wavefront6targetE0EEEvS12_,comdat
.Lfunc_end337:
	.size	_ZN7rocprim17ROCPRIM_400000_NS6detail17trampoline_kernelINS0_13select_configILj256ELj13ELNS0_17block_load_methodE3ELS4_3ELS4_3ELNS0_20block_scan_algorithmE0ELj4294967295EEENS1_25partition_config_selectorILNS1_17partition_subalgoE4EjNS0_10empty_typeEbEEZZNS1_14partition_implILS8_4ELb0ES6_15HIP_vector_typeIjLj2EENS0_17counting_iteratorIjlEEPS9_SG_NS0_5tupleIJPjSI_NS0_16reverse_iteratorISI_EEEEENSH_IJSG_SG_SG_EEES9_SI_JZNS1_25segmented_radix_sort_implINS0_14default_configELb0EPKaPaPKlPlN2at6native12_GLOBAL__N_18offset_tEEE10hipError_tPvRmT1_PNSt15iterator_traitsIS12_E10value_typeET2_T3_PNS13_IS18_E10value_typeET4_jRbjT5_S1E_jjP12ihipStream_tbEUljE_ZNSN_ISO_Lb0ESQ_SR_ST_SU_SY_EESZ_S10_S11_S12_S16_S17_S18_S1B_S1C_jS1D_jS1E_S1E_jjS1G_bEUljE0_EEESZ_S10_S11_S18_S1C_S1E_T6_T7_T9_mT8_S1G_bDpT10_ENKUlT_T0_E_clISt17integral_constantIbLb1EES1U_EEDaS1P_S1Q_EUlS1P_E_NS1_11comp_targetILNS1_3genE0ELNS1_11target_archE4294967295ELNS1_3gpuE0ELNS1_3repE0EEENS1_30default_config_static_selectorELNS0_4arch9wavefront6targetE0EEEvS12_, .Lfunc_end337-_ZN7rocprim17ROCPRIM_400000_NS6detail17trampoline_kernelINS0_13select_configILj256ELj13ELNS0_17block_load_methodE3ELS4_3ELS4_3ELNS0_20block_scan_algorithmE0ELj4294967295EEENS1_25partition_config_selectorILNS1_17partition_subalgoE4EjNS0_10empty_typeEbEEZZNS1_14partition_implILS8_4ELb0ES6_15HIP_vector_typeIjLj2EENS0_17counting_iteratorIjlEEPS9_SG_NS0_5tupleIJPjSI_NS0_16reverse_iteratorISI_EEEEENSH_IJSG_SG_SG_EEES9_SI_JZNS1_25segmented_radix_sort_implINS0_14default_configELb0EPKaPaPKlPlN2at6native12_GLOBAL__N_18offset_tEEE10hipError_tPvRmT1_PNSt15iterator_traitsIS12_E10value_typeET2_T3_PNS13_IS18_E10value_typeET4_jRbjT5_S1E_jjP12ihipStream_tbEUljE_ZNSN_ISO_Lb0ESQ_SR_ST_SU_SY_EESZ_S10_S11_S12_S16_S17_S18_S1B_S1C_jS1D_jS1E_S1E_jjS1G_bEUljE0_EEESZ_S10_S11_S18_S1C_S1E_T6_T7_T9_mT8_S1G_bDpT10_ENKUlT_T0_E_clISt17integral_constantIbLb1EES1U_EEDaS1P_S1Q_EUlS1P_E_NS1_11comp_targetILNS1_3genE0ELNS1_11target_archE4294967295ELNS1_3gpuE0ELNS1_3repE0EEENS1_30default_config_static_selectorELNS0_4arch9wavefront6targetE0EEEvS12_
                                        ; -- End function
	.section	.AMDGPU.csdata,"",@progbits
; Kernel info:
; codeLenInByte = 0
; NumSgprs: 0
; NumVgprs: 0
; ScratchSize: 0
; MemoryBound: 0
; FloatMode: 240
; IeeeMode: 1
; LDSByteSize: 0 bytes/workgroup (compile time only)
; SGPRBlocks: 0
; VGPRBlocks: 0
; NumSGPRsForWavesPerEU: 1
; NumVGPRsForWavesPerEU: 1
; Occupancy: 16
; WaveLimiterHint : 0
; COMPUTE_PGM_RSRC2:SCRATCH_EN: 0
; COMPUTE_PGM_RSRC2:USER_SGPR: 15
; COMPUTE_PGM_RSRC2:TRAP_HANDLER: 0
; COMPUTE_PGM_RSRC2:TGID_X_EN: 1
; COMPUTE_PGM_RSRC2:TGID_Y_EN: 0
; COMPUTE_PGM_RSRC2:TGID_Z_EN: 0
; COMPUTE_PGM_RSRC2:TIDIG_COMP_CNT: 0
	.section	.text._ZN7rocprim17ROCPRIM_400000_NS6detail17trampoline_kernelINS0_13select_configILj256ELj13ELNS0_17block_load_methodE3ELS4_3ELS4_3ELNS0_20block_scan_algorithmE0ELj4294967295EEENS1_25partition_config_selectorILNS1_17partition_subalgoE4EjNS0_10empty_typeEbEEZZNS1_14partition_implILS8_4ELb0ES6_15HIP_vector_typeIjLj2EENS0_17counting_iteratorIjlEEPS9_SG_NS0_5tupleIJPjSI_NS0_16reverse_iteratorISI_EEEEENSH_IJSG_SG_SG_EEES9_SI_JZNS1_25segmented_radix_sort_implINS0_14default_configELb0EPKaPaPKlPlN2at6native12_GLOBAL__N_18offset_tEEE10hipError_tPvRmT1_PNSt15iterator_traitsIS12_E10value_typeET2_T3_PNS13_IS18_E10value_typeET4_jRbjT5_S1E_jjP12ihipStream_tbEUljE_ZNSN_ISO_Lb0ESQ_SR_ST_SU_SY_EESZ_S10_S11_S12_S16_S17_S18_S1B_S1C_jS1D_jS1E_S1E_jjS1G_bEUljE0_EEESZ_S10_S11_S18_S1C_S1E_T6_T7_T9_mT8_S1G_bDpT10_ENKUlT_T0_E_clISt17integral_constantIbLb1EES1U_EEDaS1P_S1Q_EUlS1P_E_NS1_11comp_targetILNS1_3genE5ELNS1_11target_archE942ELNS1_3gpuE9ELNS1_3repE0EEENS1_30default_config_static_selectorELNS0_4arch9wavefront6targetE0EEEvS12_,"axG",@progbits,_ZN7rocprim17ROCPRIM_400000_NS6detail17trampoline_kernelINS0_13select_configILj256ELj13ELNS0_17block_load_methodE3ELS4_3ELS4_3ELNS0_20block_scan_algorithmE0ELj4294967295EEENS1_25partition_config_selectorILNS1_17partition_subalgoE4EjNS0_10empty_typeEbEEZZNS1_14partition_implILS8_4ELb0ES6_15HIP_vector_typeIjLj2EENS0_17counting_iteratorIjlEEPS9_SG_NS0_5tupleIJPjSI_NS0_16reverse_iteratorISI_EEEEENSH_IJSG_SG_SG_EEES9_SI_JZNS1_25segmented_radix_sort_implINS0_14default_configELb0EPKaPaPKlPlN2at6native12_GLOBAL__N_18offset_tEEE10hipError_tPvRmT1_PNSt15iterator_traitsIS12_E10value_typeET2_T3_PNS13_IS18_E10value_typeET4_jRbjT5_S1E_jjP12ihipStream_tbEUljE_ZNSN_ISO_Lb0ESQ_SR_ST_SU_SY_EESZ_S10_S11_S12_S16_S17_S18_S1B_S1C_jS1D_jS1E_S1E_jjS1G_bEUljE0_EEESZ_S10_S11_S18_S1C_S1E_T6_T7_T9_mT8_S1G_bDpT10_ENKUlT_T0_E_clISt17integral_constantIbLb1EES1U_EEDaS1P_S1Q_EUlS1P_E_NS1_11comp_targetILNS1_3genE5ELNS1_11target_archE942ELNS1_3gpuE9ELNS1_3repE0EEENS1_30default_config_static_selectorELNS0_4arch9wavefront6targetE0EEEvS12_,comdat
	.globl	_ZN7rocprim17ROCPRIM_400000_NS6detail17trampoline_kernelINS0_13select_configILj256ELj13ELNS0_17block_load_methodE3ELS4_3ELS4_3ELNS0_20block_scan_algorithmE0ELj4294967295EEENS1_25partition_config_selectorILNS1_17partition_subalgoE4EjNS0_10empty_typeEbEEZZNS1_14partition_implILS8_4ELb0ES6_15HIP_vector_typeIjLj2EENS0_17counting_iteratorIjlEEPS9_SG_NS0_5tupleIJPjSI_NS0_16reverse_iteratorISI_EEEEENSH_IJSG_SG_SG_EEES9_SI_JZNS1_25segmented_radix_sort_implINS0_14default_configELb0EPKaPaPKlPlN2at6native12_GLOBAL__N_18offset_tEEE10hipError_tPvRmT1_PNSt15iterator_traitsIS12_E10value_typeET2_T3_PNS13_IS18_E10value_typeET4_jRbjT5_S1E_jjP12ihipStream_tbEUljE_ZNSN_ISO_Lb0ESQ_SR_ST_SU_SY_EESZ_S10_S11_S12_S16_S17_S18_S1B_S1C_jS1D_jS1E_S1E_jjS1G_bEUljE0_EEESZ_S10_S11_S18_S1C_S1E_T6_T7_T9_mT8_S1G_bDpT10_ENKUlT_T0_E_clISt17integral_constantIbLb1EES1U_EEDaS1P_S1Q_EUlS1P_E_NS1_11comp_targetILNS1_3genE5ELNS1_11target_archE942ELNS1_3gpuE9ELNS1_3repE0EEENS1_30default_config_static_selectorELNS0_4arch9wavefront6targetE0EEEvS12_ ; -- Begin function _ZN7rocprim17ROCPRIM_400000_NS6detail17trampoline_kernelINS0_13select_configILj256ELj13ELNS0_17block_load_methodE3ELS4_3ELS4_3ELNS0_20block_scan_algorithmE0ELj4294967295EEENS1_25partition_config_selectorILNS1_17partition_subalgoE4EjNS0_10empty_typeEbEEZZNS1_14partition_implILS8_4ELb0ES6_15HIP_vector_typeIjLj2EENS0_17counting_iteratorIjlEEPS9_SG_NS0_5tupleIJPjSI_NS0_16reverse_iteratorISI_EEEEENSH_IJSG_SG_SG_EEES9_SI_JZNS1_25segmented_radix_sort_implINS0_14default_configELb0EPKaPaPKlPlN2at6native12_GLOBAL__N_18offset_tEEE10hipError_tPvRmT1_PNSt15iterator_traitsIS12_E10value_typeET2_T3_PNS13_IS18_E10value_typeET4_jRbjT5_S1E_jjP12ihipStream_tbEUljE_ZNSN_ISO_Lb0ESQ_SR_ST_SU_SY_EESZ_S10_S11_S12_S16_S17_S18_S1B_S1C_jS1D_jS1E_S1E_jjS1G_bEUljE0_EEESZ_S10_S11_S18_S1C_S1E_T6_T7_T9_mT8_S1G_bDpT10_ENKUlT_T0_E_clISt17integral_constantIbLb1EES1U_EEDaS1P_S1Q_EUlS1P_E_NS1_11comp_targetILNS1_3genE5ELNS1_11target_archE942ELNS1_3gpuE9ELNS1_3repE0EEENS1_30default_config_static_selectorELNS0_4arch9wavefront6targetE0EEEvS12_
	.p2align	8
	.type	_ZN7rocprim17ROCPRIM_400000_NS6detail17trampoline_kernelINS0_13select_configILj256ELj13ELNS0_17block_load_methodE3ELS4_3ELS4_3ELNS0_20block_scan_algorithmE0ELj4294967295EEENS1_25partition_config_selectorILNS1_17partition_subalgoE4EjNS0_10empty_typeEbEEZZNS1_14partition_implILS8_4ELb0ES6_15HIP_vector_typeIjLj2EENS0_17counting_iteratorIjlEEPS9_SG_NS0_5tupleIJPjSI_NS0_16reverse_iteratorISI_EEEEENSH_IJSG_SG_SG_EEES9_SI_JZNS1_25segmented_radix_sort_implINS0_14default_configELb0EPKaPaPKlPlN2at6native12_GLOBAL__N_18offset_tEEE10hipError_tPvRmT1_PNSt15iterator_traitsIS12_E10value_typeET2_T3_PNS13_IS18_E10value_typeET4_jRbjT5_S1E_jjP12ihipStream_tbEUljE_ZNSN_ISO_Lb0ESQ_SR_ST_SU_SY_EESZ_S10_S11_S12_S16_S17_S18_S1B_S1C_jS1D_jS1E_S1E_jjS1G_bEUljE0_EEESZ_S10_S11_S18_S1C_S1E_T6_T7_T9_mT8_S1G_bDpT10_ENKUlT_T0_E_clISt17integral_constantIbLb1EES1U_EEDaS1P_S1Q_EUlS1P_E_NS1_11comp_targetILNS1_3genE5ELNS1_11target_archE942ELNS1_3gpuE9ELNS1_3repE0EEENS1_30default_config_static_selectorELNS0_4arch9wavefront6targetE0EEEvS12_,@function
_ZN7rocprim17ROCPRIM_400000_NS6detail17trampoline_kernelINS0_13select_configILj256ELj13ELNS0_17block_load_methodE3ELS4_3ELS4_3ELNS0_20block_scan_algorithmE0ELj4294967295EEENS1_25partition_config_selectorILNS1_17partition_subalgoE4EjNS0_10empty_typeEbEEZZNS1_14partition_implILS8_4ELb0ES6_15HIP_vector_typeIjLj2EENS0_17counting_iteratorIjlEEPS9_SG_NS0_5tupleIJPjSI_NS0_16reverse_iteratorISI_EEEEENSH_IJSG_SG_SG_EEES9_SI_JZNS1_25segmented_radix_sort_implINS0_14default_configELb0EPKaPaPKlPlN2at6native12_GLOBAL__N_18offset_tEEE10hipError_tPvRmT1_PNSt15iterator_traitsIS12_E10value_typeET2_T3_PNS13_IS18_E10value_typeET4_jRbjT5_S1E_jjP12ihipStream_tbEUljE_ZNSN_ISO_Lb0ESQ_SR_ST_SU_SY_EESZ_S10_S11_S12_S16_S17_S18_S1B_S1C_jS1D_jS1E_S1E_jjS1G_bEUljE0_EEESZ_S10_S11_S18_S1C_S1E_T6_T7_T9_mT8_S1G_bDpT10_ENKUlT_T0_E_clISt17integral_constantIbLb1EES1U_EEDaS1P_S1Q_EUlS1P_E_NS1_11comp_targetILNS1_3genE5ELNS1_11target_archE942ELNS1_3gpuE9ELNS1_3repE0EEENS1_30default_config_static_selectorELNS0_4arch9wavefront6targetE0EEEvS12_: ; @_ZN7rocprim17ROCPRIM_400000_NS6detail17trampoline_kernelINS0_13select_configILj256ELj13ELNS0_17block_load_methodE3ELS4_3ELS4_3ELNS0_20block_scan_algorithmE0ELj4294967295EEENS1_25partition_config_selectorILNS1_17partition_subalgoE4EjNS0_10empty_typeEbEEZZNS1_14partition_implILS8_4ELb0ES6_15HIP_vector_typeIjLj2EENS0_17counting_iteratorIjlEEPS9_SG_NS0_5tupleIJPjSI_NS0_16reverse_iteratorISI_EEEEENSH_IJSG_SG_SG_EEES9_SI_JZNS1_25segmented_radix_sort_implINS0_14default_configELb0EPKaPaPKlPlN2at6native12_GLOBAL__N_18offset_tEEE10hipError_tPvRmT1_PNSt15iterator_traitsIS12_E10value_typeET2_T3_PNS13_IS18_E10value_typeET4_jRbjT5_S1E_jjP12ihipStream_tbEUljE_ZNSN_ISO_Lb0ESQ_SR_ST_SU_SY_EESZ_S10_S11_S12_S16_S17_S18_S1B_S1C_jS1D_jS1E_S1E_jjS1G_bEUljE0_EEESZ_S10_S11_S18_S1C_S1E_T6_T7_T9_mT8_S1G_bDpT10_ENKUlT_T0_E_clISt17integral_constantIbLb1EES1U_EEDaS1P_S1Q_EUlS1P_E_NS1_11comp_targetILNS1_3genE5ELNS1_11target_archE942ELNS1_3gpuE9ELNS1_3repE0EEENS1_30default_config_static_selectorELNS0_4arch9wavefront6targetE0EEEvS12_
; %bb.0:
	.section	.rodata,"a",@progbits
	.p2align	6, 0x0
	.amdhsa_kernel _ZN7rocprim17ROCPRIM_400000_NS6detail17trampoline_kernelINS0_13select_configILj256ELj13ELNS0_17block_load_methodE3ELS4_3ELS4_3ELNS0_20block_scan_algorithmE0ELj4294967295EEENS1_25partition_config_selectorILNS1_17partition_subalgoE4EjNS0_10empty_typeEbEEZZNS1_14partition_implILS8_4ELb0ES6_15HIP_vector_typeIjLj2EENS0_17counting_iteratorIjlEEPS9_SG_NS0_5tupleIJPjSI_NS0_16reverse_iteratorISI_EEEEENSH_IJSG_SG_SG_EEES9_SI_JZNS1_25segmented_radix_sort_implINS0_14default_configELb0EPKaPaPKlPlN2at6native12_GLOBAL__N_18offset_tEEE10hipError_tPvRmT1_PNSt15iterator_traitsIS12_E10value_typeET2_T3_PNS13_IS18_E10value_typeET4_jRbjT5_S1E_jjP12ihipStream_tbEUljE_ZNSN_ISO_Lb0ESQ_SR_ST_SU_SY_EESZ_S10_S11_S12_S16_S17_S18_S1B_S1C_jS1D_jS1E_S1E_jjS1G_bEUljE0_EEESZ_S10_S11_S18_S1C_S1E_T6_T7_T9_mT8_S1G_bDpT10_ENKUlT_T0_E_clISt17integral_constantIbLb1EES1U_EEDaS1P_S1Q_EUlS1P_E_NS1_11comp_targetILNS1_3genE5ELNS1_11target_archE942ELNS1_3gpuE9ELNS1_3repE0EEENS1_30default_config_static_selectorELNS0_4arch9wavefront6targetE0EEEvS12_
		.amdhsa_group_segment_fixed_size 0
		.amdhsa_private_segment_fixed_size 0
		.amdhsa_kernarg_size 184
		.amdhsa_user_sgpr_count 15
		.amdhsa_user_sgpr_dispatch_ptr 0
		.amdhsa_user_sgpr_queue_ptr 0
		.amdhsa_user_sgpr_kernarg_segment_ptr 1
		.amdhsa_user_sgpr_dispatch_id 0
		.amdhsa_user_sgpr_private_segment_size 0
		.amdhsa_wavefront_size32 1
		.amdhsa_uses_dynamic_stack 0
		.amdhsa_enable_private_segment 0
		.amdhsa_system_sgpr_workgroup_id_x 1
		.amdhsa_system_sgpr_workgroup_id_y 0
		.amdhsa_system_sgpr_workgroup_id_z 0
		.amdhsa_system_sgpr_workgroup_info 0
		.amdhsa_system_vgpr_workitem_id 0
		.amdhsa_next_free_vgpr 1
		.amdhsa_next_free_sgpr 1
		.amdhsa_reserve_vcc 0
		.amdhsa_float_round_mode_32 0
		.amdhsa_float_round_mode_16_64 0
		.amdhsa_float_denorm_mode_32 3
		.amdhsa_float_denorm_mode_16_64 3
		.amdhsa_dx10_clamp 1
		.amdhsa_ieee_mode 1
		.amdhsa_fp16_overflow 0
		.amdhsa_workgroup_processor_mode 1
		.amdhsa_memory_ordered 1
		.amdhsa_forward_progress 0
		.amdhsa_shared_vgpr_count 0
		.amdhsa_exception_fp_ieee_invalid_op 0
		.amdhsa_exception_fp_denorm_src 0
		.amdhsa_exception_fp_ieee_div_zero 0
		.amdhsa_exception_fp_ieee_overflow 0
		.amdhsa_exception_fp_ieee_underflow 0
		.amdhsa_exception_fp_ieee_inexact 0
		.amdhsa_exception_int_div_zero 0
	.end_amdhsa_kernel
	.section	.text._ZN7rocprim17ROCPRIM_400000_NS6detail17trampoline_kernelINS0_13select_configILj256ELj13ELNS0_17block_load_methodE3ELS4_3ELS4_3ELNS0_20block_scan_algorithmE0ELj4294967295EEENS1_25partition_config_selectorILNS1_17partition_subalgoE4EjNS0_10empty_typeEbEEZZNS1_14partition_implILS8_4ELb0ES6_15HIP_vector_typeIjLj2EENS0_17counting_iteratorIjlEEPS9_SG_NS0_5tupleIJPjSI_NS0_16reverse_iteratorISI_EEEEENSH_IJSG_SG_SG_EEES9_SI_JZNS1_25segmented_radix_sort_implINS0_14default_configELb0EPKaPaPKlPlN2at6native12_GLOBAL__N_18offset_tEEE10hipError_tPvRmT1_PNSt15iterator_traitsIS12_E10value_typeET2_T3_PNS13_IS18_E10value_typeET4_jRbjT5_S1E_jjP12ihipStream_tbEUljE_ZNSN_ISO_Lb0ESQ_SR_ST_SU_SY_EESZ_S10_S11_S12_S16_S17_S18_S1B_S1C_jS1D_jS1E_S1E_jjS1G_bEUljE0_EEESZ_S10_S11_S18_S1C_S1E_T6_T7_T9_mT8_S1G_bDpT10_ENKUlT_T0_E_clISt17integral_constantIbLb1EES1U_EEDaS1P_S1Q_EUlS1P_E_NS1_11comp_targetILNS1_3genE5ELNS1_11target_archE942ELNS1_3gpuE9ELNS1_3repE0EEENS1_30default_config_static_selectorELNS0_4arch9wavefront6targetE0EEEvS12_,"axG",@progbits,_ZN7rocprim17ROCPRIM_400000_NS6detail17trampoline_kernelINS0_13select_configILj256ELj13ELNS0_17block_load_methodE3ELS4_3ELS4_3ELNS0_20block_scan_algorithmE0ELj4294967295EEENS1_25partition_config_selectorILNS1_17partition_subalgoE4EjNS0_10empty_typeEbEEZZNS1_14partition_implILS8_4ELb0ES6_15HIP_vector_typeIjLj2EENS0_17counting_iteratorIjlEEPS9_SG_NS0_5tupleIJPjSI_NS0_16reverse_iteratorISI_EEEEENSH_IJSG_SG_SG_EEES9_SI_JZNS1_25segmented_radix_sort_implINS0_14default_configELb0EPKaPaPKlPlN2at6native12_GLOBAL__N_18offset_tEEE10hipError_tPvRmT1_PNSt15iterator_traitsIS12_E10value_typeET2_T3_PNS13_IS18_E10value_typeET4_jRbjT5_S1E_jjP12ihipStream_tbEUljE_ZNSN_ISO_Lb0ESQ_SR_ST_SU_SY_EESZ_S10_S11_S12_S16_S17_S18_S1B_S1C_jS1D_jS1E_S1E_jjS1G_bEUljE0_EEESZ_S10_S11_S18_S1C_S1E_T6_T7_T9_mT8_S1G_bDpT10_ENKUlT_T0_E_clISt17integral_constantIbLb1EES1U_EEDaS1P_S1Q_EUlS1P_E_NS1_11comp_targetILNS1_3genE5ELNS1_11target_archE942ELNS1_3gpuE9ELNS1_3repE0EEENS1_30default_config_static_selectorELNS0_4arch9wavefront6targetE0EEEvS12_,comdat
.Lfunc_end338:
	.size	_ZN7rocprim17ROCPRIM_400000_NS6detail17trampoline_kernelINS0_13select_configILj256ELj13ELNS0_17block_load_methodE3ELS4_3ELS4_3ELNS0_20block_scan_algorithmE0ELj4294967295EEENS1_25partition_config_selectorILNS1_17partition_subalgoE4EjNS0_10empty_typeEbEEZZNS1_14partition_implILS8_4ELb0ES6_15HIP_vector_typeIjLj2EENS0_17counting_iteratorIjlEEPS9_SG_NS0_5tupleIJPjSI_NS0_16reverse_iteratorISI_EEEEENSH_IJSG_SG_SG_EEES9_SI_JZNS1_25segmented_radix_sort_implINS0_14default_configELb0EPKaPaPKlPlN2at6native12_GLOBAL__N_18offset_tEEE10hipError_tPvRmT1_PNSt15iterator_traitsIS12_E10value_typeET2_T3_PNS13_IS18_E10value_typeET4_jRbjT5_S1E_jjP12ihipStream_tbEUljE_ZNSN_ISO_Lb0ESQ_SR_ST_SU_SY_EESZ_S10_S11_S12_S16_S17_S18_S1B_S1C_jS1D_jS1E_S1E_jjS1G_bEUljE0_EEESZ_S10_S11_S18_S1C_S1E_T6_T7_T9_mT8_S1G_bDpT10_ENKUlT_T0_E_clISt17integral_constantIbLb1EES1U_EEDaS1P_S1Q_EUlS1P_E_NS1_11comp_targetILNS1_3genE5ELNS1_11target_archE942ELNS1_3gpuE9ELNS1_3repE0EEENS1_30default_config_static_selectorELNS0_4arch9wavefront6targetE0EEEvS12_, .Lfunc_end338-_ZN7rocprim17ROCPRIM_400000_NS6detail17trampoline_kernelINS0_13select_configILj256ELj13ELNS0_17block_load_methodE3ELS4_3ELS4_3ELNS0_20block_scan_algorithmE0ELj4294967295EEENS1_25partition_config_selectorILNS1_17partition_subalgoE4EjNS0_10empty_typeEbEEZZNS1_14partition_implILS8_4ELb0ES6_15HIP_vector_typeIjLj2EENS0_17counting_iteratorIjlEEPS9_SG_NS0_5tupleIJPjSI_NS0_16reverse_iteratorISI_EEEEENSH_IJSG_SG_SG_EEES9_SI_JZNS1_25segmented_radix_sort_implINS0_14default_configELb0EPKaPaPKlPlN2at6native12_GLOBAL__N_18offset_tEEE10hipError_tPvRmT1_PNSt15iterator_traitsIS12_E10value_typeET2_T3_PNS13_IS18_E10value_typeET4_jRbjT5_S1E_jjP12ihipStream_tbEUljE_ZNSN_ISO_Lb0ESQ_SR_ST_SU_SY_EESZ_S10_S11_S12_S16_S17_S18_S1B_S1C_jS1D_jS1E_S1E_jjS1G_bEUljE0_EEESZ_S10_S11_S18_S1C_S1E_T6_T7_T9_mT8_S1G_bDpT10_ENKUlT_T0_E_clISt17integral_constantIbLb1EES1U_EEDaS1P_S1Q_EUlS1P_E_NS1_11comp_targetILNS1_3genE5ELNS1_11target_archE942ELNS1_3gpuE9ELNS1_3repE0EEENS1_30default_config_static_selectorELNS0_4arch9wavefront6targetE0EEEvS12_
                                        ; -- End function
	.section	.AMDGPU.csdata,"",@progbits
; Kernel info:
; codeLenInByte = 0
; NumSgprs: 0
; NumVgprs: 0
; ScratchSize: 0
; MemoryBound: 0
; FloatMode: 240
; IeeeMode: 1
; LDSByteSize: 0 bytes/workgroup (compile time only)
; SGPRBlocks: 0
; VGPRBlocks: 0
; NumSGPRsForWavesPerEU: 1
; NumVGPRsForWavesPerEU: 1
; Occupancy: 16
; WaveLimiterHint : 0
; COMPUTE_PGM_RSRC2:SCRATCH_EN: 0
; COMPUTE_PGM_RSRC2:USER_SGPR: 15
; COMPUTE_PGM_RSRC2:TRAP_HANDLER: 0
; COMPUTE_PGM_RSRC2:TGID_X_EN: 1
; COMPUTE_PGM_RSRC2:TGID_Y_EN: 0
; COMPUTE_PGM_RSRC2:TGID_Z_EN: 0
; COMPUTE_PGM_RSRC2:TIDIG_COMP_CNT: 0
	.section	.text._ZN7rocprim17ROCPRIM_400000_NS6detail17trampoline_kernelINS0_13select_configILj256ELj13ELNS0_17block_load_methodE3ELS4_3ELS4_3ELNS0_20block_scan_algorithmE0ELj4294967295EEENS1_25partition_config_selectorILNS1_17partition_subalgoE4EjNS0_10empty_typeEbEEZZNS1_14partition_implILS8_4ELb0ES6_15HIP_vector_typeIjLj2EENS0_17counting_iteratorIjlEEPS9_SG_NS0_5tupleIJPjSI_NS0_16reverse_iteratorISI_EEEEENSH_IJSG_SG_SG_EEES9_SI_JZNS1_25segmented_radix_sort_implINS0_14default_configELb0EPKaPaPKlPlN2at6native12_GLOBAL__N_18offset_tEEE10hipError_tPvRmT1_PNSt15iterator_traitsIS12_E10value_typeET2_T3_PNS13_IS18_E10value_typeET4_jRbjT5_S1E_jjP12ihipStream_tbEUljE_ZNSN_ISO_Lb0ESQ_SR_ST_SU_SY_EESZ_S10_S11_S12_S16_S17_S18_S1B_S1C_jS1D_jS1E_S1E_jjS1G_bEUljE0_EEESZ_S10_S11_S18_S1C_S1E_T6_T7_T9_mT8_S1G_bDpT10_ENKUlT_T0_E_clISt17integral_constantIbLb1EES1U_EEDaS1P_S1Q_EUlS1P_E_NS1_11comp_targetILNS1_3genE4ELNS1_11target_archE910ELNS1_3gpuE8ELNS1_3repE0EEENS1_30default_config_static_selectorELNS0_4arch9wavefront6targetE0EEEvS12_,"axG",@progbits,_ZN7rocprim17ROCPRIM_400000_NS6detail17trampoline_kernelINS0_13select_configILj256ELj13ELNS0_17block_load_methodE3ELS4_3ELS4_3ELNS0_20block_scan_algorithmE0ELj4294967295EEENS1_25partition_config_selectorILNS1_17partition_subalgoE4EjNS0_10empty_typeEbEEZZNS1_14partition_implILS8_4ELb0ES6_15HIP_vector_typeIjLj2EENS0_17counting_iteratorIjlEEPS9_SG_NS0_5tupleIJPjSI_NS0_16reverse_iteratorISI_EEEEENSH_IJSG_SG_SG_EEES9_SI_JZNS1_25segmented_radix_sort_implINS0_14default_configELb0EPKaPaPKlPlN2at6native12_GLOBAL__N_18offset_tEEE10hipError_tPvRmT1_PNSt15iterator_traitsIS12_E10value_typeET2_T3_PNS13_IS18_E10value_typeET4_jRbjT5_S1E_jjP12ihipStream_tbEUljE_ZNSN_ISO_Lb0ESQ_SR_ST_SU_SY_EESZ_S10_S11_S12_S16_S17_S18_S1B_S1C_jS1D_jS1E_S1E_jjS1G_bEUljE0_EEESZ_S10_S11_S18_S1C_S1E_T6_T7_T9_mT8_S1G_bDpT10_ENKUlT_T0_E_clISt17integral_constantIbLb1EES1U_EEDaS1P_S1Q_EUlS1P_E_NS1_11comp_targetILNS1_3genE4ELNS1_11target_archE910ELNS1_3gpuE8ELNS1_3repE0EEENS1_30default_config_static_selectorELNS0_4arch9wavefront6targetE0EEEvS12_,comdat
	.globl	_ZN7rocprim17ROCPRIM_400000_NS6detail17trampoline_kernelINS0_13select_configILj256ELj13ELNS0_17block_load_methodE3ELS4_3ELS4_3ELNS0_20block_scan_algorithmE0ELj4294967295EEENS1_25partition_config_selectorILNS1_17partition_subalgoE4EjNS0_10empty_typeEbEEZZNS1_14partition_implILS8_4ELb0ES6_15HIP_vector_typeIjLj2EENS0_17counting_iteratorIjlEEPS9_SG_NS0_5tupleIJPjSI_NS0_16reverse_iteratorISI_EEEEENSH_IJSG_SG_SG_EEES9_SI_JZNS1_25segmented_radix_sort_implINS0_14default_configELb0EPKaPaPKlPlN2at6native12_GLOBAL__N_18offset_tEEE10hipError_tPvRmT1_PNSt15iterator_traitsIS12_E10value_typeET2_T3_PNS13_IS18_E10value_typeET4_jRbjT5_S1E_jjP12ihipStream_tbEUljE_ZNSN_ISO_Lb0ESQ_SR_ST_SU_SY_EESZ_S10_S11_S12_S16_S17_S18_S1B_S1C_jS1D_jS1E_S1E_jjS1G_bEUljE0_EEESZ_S10_S11_S18_S1C_S1E_T6_T7_T9_mT8_S1G_bDpT10_ENKUlT_T0_E_clISt17integral_constantIbLb1EES1U_EEDaS1P_S1Q_EUlS1P_E_NS1_11comp_targetILNS1_3genE4ELNS1_11target_archE910ELNS1_3gpuE8ELNS1_3repE0EEENS1_30default_config_static_selectorELNS0_4arch9wavefront6targetE0EEEvS12_ ; -- Begin function _ZN7rocprim17ROCPRIM_400000_NS6detail17trampoline_kernelINS0_13select_configILj256ELj13ELNS0_17block_load_methodE3ELS4_3ELS4_3ELNS0_20block_scan_algorithmE0ELj4294967295EEENS1_25partition_config_selectorILNS1_17partition_subalgoE4EjNS0_10empty_typeEbEEZZNS1_14partition_implILS8_4ELb0ES6_15HIP_vector_typeIjLj2EENS0_17counting_iteratorIjlEEPS9_SG_NS0_5tupleIJPjSI_NS0_16reverse_iteratorISI_EEEEENSH_IJSG_SG_SG_EEES9_SI_JZNS1_25segmented_radix_sort_implINS0_14default_configELb0EPKaPaPKlPlN2at6native12_GLOBAL__N_18offset_tEEE10hipError_tPvRmT1_PNSt15iterator_traitsIS12_E10value_typeET2_T3_PNS13_IS18_E10value_typeET4_jRbjT5_S1E_jjP12ihipStream_tbEUljE_ZNSN_ISO_Lb0ESQ_SR_ST_SU_SY_EESZ_S10_S11_S12_S16_S17_S18_S1B_S1C_jS1D_jS1E_S1E_jjS1G_bEUljE0_EEESZ_S10_S11_S18_S1C_S1E_T6_T7_T9_mT8_S1G_bDpT10_ENKUlT_T0_E_clISt17integral_constantIbLb1EES1U_EEDaS1P_S1Q_EUlS1P_E_NS1_11comp_targetILNS1_3genE4ELNS1_11target_archE910ELNS1_3gpuE8ELNS1_3repE0EEENS1_30default_config_static_selectorELNS0_4arch9wavefront6targetE0EEEvS12_
	.p2align	8
	.type	_ZN7rocprim17ROCPRIM_400000_NS6detail17trampoline_kernelINS0_13select_configILj256ELj13ELNS0_17block_load_methodE3ELS4_3ELS4_3ELNS0_20block_scan_algorithmE0ELj4294967295EEENS1_25partition_config_selectorILNS1_17partition_subalgoE4EjNS0_10empty_typeEbEEZZNS1_14partition_implILS8_4ELb0ES6_15HIP_vector_typeIjLj2EENS0_17counting_iteratorIjlEEPS9_SG_NS0_5tupleIJPjSI_NS0_16reverse_iteratorISI_EEEEENSH_IJSG_SG_SG_EEES9_SI_JZNS1_25segmented_radix_sort_implINS0_14default_configELb0EPKaPaPKlPlN2at6native12_GLOBAL__N_18offset_tEEE10hipError_tPvRmT1_PNSt15iterator_traitsIS12_E10value_typeET2_T3_PNS13_IS18_E10value_typeET4_jRbjT5_S1E_jjP12ihipStream_tbEUljE_ZNSN_ISO_Lb0ESQ_SR_ST_SU_SY_EESZ_S10_S11_S12_S16_S17_S18_S1B_S1C_jS1D_jS1E_S1E_jjS1G_bEUljE0_EEESZ_S10_S11_S18_S1C_S1E_T6_T7_T9_mT8_S1G_bDpT10_ENKUlT_T0_E_clISt17integral_constantIbLb1EES1U_EEDaS1P_S1Q_EUlS1P_E_NS1_11comp_targetILNS1_3genE4ELNS1_11target_archE910ELNS1_3gpuE8ELNS1_3repE0EEENS1_30default_config_static_selectorELNS0_4arch9wavefront6targetE0EEEvS12_,@function
_ZN7rocprim17ROCPRIM_400000_NS6detail17trampoline_kernelINS0_13select_configILj256ELj13ELNS0_17block_load_methodE3ELS4_3ELS4_3ELNS0_20block_scan_algorithmE0ELj4294967295EEENS1_25partition_config_selectorILNS1_17partition_subalgoE4EjNS0_10empty_typeEbEEZZNS1_14partition_implILS8_4ELb0ES6_15HIP_vector_typeIjLj2EENS0_17counting_iteratorIjlEEPS9_SG_NS0_5tupleIJPjSI_NS0_16reverse_iteratorISI_EEEEENSH_IJSG_SG_SG_EEES9_SI_JZNS1_25segmented_radix_sort_implINS0_14default_configELb0EPKaPaPKlPlN2at6native12_GLOBAL__N_18offset_tEEE10hipError_tPvRmT1_PNSt15iterator_traitsIS12_E10value_typeET2_T3_PNS13_IS18_E10value_typeET4_jRbjT5_S1E_jjP12ihipStream_tbEUljE_ZNSN_ISO_Lb0ESQ_SR_ST_SU_SY_EESZ_S10_S11_S12_S16_S17_S18_S1B_S1C_jS1D_jS1E_S1E_jjS1G_bEUljE0_EEESZ_S10_S11_S18_S1C_S1E_T6_T7_T9_mT8_S1G_bDpT10_ENKUlT_T0_E_clISt17integral_constantIbLb1EES1U_EEDaS1P_S1Q_EUlS1P_E_NS1_11comp_targetILNS1_3genE4ELNS1_11target_archE910ELNS1_3gpuE8ELNS1_3repE0EEENS1_30default_config_static_selectorELNS0_4arch9wavefront6targetE0EEEvS12_: ; @_ZN7rocprim17ROCPRIM_400000_NS6detail17trampoline_kernelINS0_13select_configILj256ELj13ELNS0_17block_load_methodE3ELS4_3ELS4_3ELNS0_20block_scan_algorithmE0ELj4294967295EEENS1_25partition_config_selectorILNS1_17partition_subalgoE4EjNS0_10empty_typeEbEEZZNS1_14partition_implILS8_4ELb0ES6_15HIP_vector_typeIjLj2EENS0_17counting_iteratorIjlEEPS9_SG_NS0_5tupleIJPjSI_NS0_16reverse_iteratorISI_EEEEENSH_IJSG_SG_SG_EEES9_SI_JZNS1_25segmented_radix_sort_implINS0_14default_configELb0EPKaPaPKlPlN2at6native12_GLOBAL__N_18offset_tEEE10hipError_tPvRmT1_PNSt15iterator_traitsIS12_E10value_typeET2_T3_PNS13_IS18_E10value_typeET4_jRbjT5_S1E_jjP12ihipStream_tbEUljE_ZNSN_ISO_Lb0ESQ_SR_ST_SU_SY_EESZ_S10_S11_S12_S16_S17_S18_S1B_S1C_jS1D_jS1E_S1E_jjS1G_bEUljE0_EEESZ_S10_S11_S18_S1C_S1E_T6_T7_T9_mT8_S1G_bDpT10_ENKUlT_T0_E_clISt17integral_constantIbLb1EES1U_EEDaS1P_S1Q_EUlS1P_E_NS1_11comp_targetILNS1_3genE4ELNS1_11target_archE910ELNS1_3gpuE8ELNS1_3repE0EEENS1_30default_config_static_selectorELNS0_4arch9wavefront6targetE0EEEvS12_
; %bb.0:
	.section	.rodata,"a",@progbits
	.p2align	6, 0x0
	.amdhsa_kernel _ZN7rocprim17ROCPRIM_400000_NS6detail17trampoline_kernelINS0_13select_configILj256ELj13ELNS0_17block_load_methodE3ELS4_3ELS4_3ELNS0_20block_scan_algorithmE0ELj4294967295EEENS1_25partition_config_selectorILNS1_17partition_subalgoE4EjNS0_10empty_typeEbEEZZNS1_14partition_implILS8_4ELb0ES6_15HIP_vector_typeIjLj2EENS0_17counting_iteratorIjlEEPS9_SG_NS0_5tupleIJPjSI_NS0_16reverse_iteratorISI_EEEEENSH_IJSG_SG_SG_EEES9_SI_JZNS1_25segmented_radix_sort_implINS0_14default_configELb0EPKaPaPKlPlN2at6native12_GLOBAL__N_18offset_tEEE10hipError_tPvRmT1_PNSt15iterator_traitsIS12_E10value_typeET2_T3_PNS13_IS18_E10value_typeET4_jRbjT5_S1E_jjP12ihipStream_tbEUljE_ZNSN_ISO_Lb0ESQ_SR_ST_SU_SY_EESZ_S10_S11_S12_S16_S17_S18_S1B_S1C_jS1D_jS1E_S1E_jjS1G_bEUljE0_EEESZ_S10_S11_S18_S1C_S1E_T6_T7_T9_mT8_S1G_bDpT10_ENKUlT_T0_E_clISt17integral_constantIbLb1EES1U_EEDaS1P_S1Q_EUlS1P_E_NS1_11comp_targetILNS1_3genE4ELNS1_11target_archE910ELNS1_3gpuE8ELNS1_3repE0EEENS1_30default_config_static_selectorELNS0_4arch9wavefront6targetE0EEEvS12_
		.amdhsa_group_segment_fixed_size 0
		.amdhsa_private_segment_fixed_size 0
		.amdhsa_kernarg_size 184
		.amdhsa_user_sgpr_count 15
		.amdhsa_user_sgpr_dispatch_ptr 0
		.amdhsa_user_sgpr_queue_ptr 0
		.amdhsa_user_sgpr_kernarg_segment_ptr 1
		.amdhsa_user_sgpr_dispatch_id 0
		.amdhsa_user_sgpr_private_segment_size 0
		.amdhsa_wavefront_size32 1
		.amdhsa_uses_dynamic_stack 0
		.amdhsa_enable_private_segment 0
		.amdhsa_system_sgpr_workgroup_id_x 1
		.amdhsa_system_sgpr_workgroup_id_y 0
		.amdhsa_system_sgpr_workgroup_id_z 0
		.amdhsa_system_sgpr_workgroup_info 0
		.amdhsa_system_vgpr_workitem_id 0
		.amdhsa_next_free_vgpr 1
		.amdhsa_next_free_sgpr 1
		.amdhsa_reserve_vcc 0
		.amdhsa_float_round_mode_32 0
		.amdhsa_float_round_mode_16_64 0
		.amdhsa_float_denorm_mode_32 3
		.amdhsa_float_denorm_mode_16_64 3
		.amdhsa_dx10_clamp 1
		.amdhsa_ieee_mode 1
		.amdhsa_fp16_overflow 0
		.amdhsa_workgroup_processor_mode 1
		.amdhsa_memory_ordered 1
		.amdhsa_forward_progress 0
		.amdhsa_shared_vgpr_count 0
		.amdhsa_exception_fp_ieee_invalid_op 0
		.amdhsa_exception_fp_denorm_src 0
		.amdhsa_exception_fp_ieee_div_zero 0
		.amdhsa_exception_fp_ieee_overflow 0
		.amdhsa_exception_fp_ieee_underflow 0
		.amdhsa_exception_fp_ieee_inexact 0
		.amdhsa_exception_int_div_zero 0
	.end_amdhsa_kernel
	.section	.text._ZN7rocprim17ROCPRIM_400000_NS6detail17trampoline_kernelINS0_13select_configILj256ELj13ELNS0_17block_load_methodE3ELS4_3ELS4_3ELNS0_20block_scan_algorithmE0ELj4294967295EEENS1_25partition_config_selectorILNS1_17partition_subalgoE4EjNS0_10empty_typeEbEEZZNS1_14partition_implILS8_4ELb0ES6_15HIP_vector_typeIjLj2EENS0_17counting_iteratorIjlEEPS9_SG_NS0_5tupleIJPjSI_NS0_16reverse_iteratorISI_EEEEENSH_IJSG_SG_SG_EEES9_SI_JZNS1_25segmented_radix_sort_implINS0_14default_configELb0EPKaPaPKlPlN2at6native12_GLOBAL__N_18offset_tEEE10hipError_tPvRmT1_PNSt15iterator_traitsIS12_E10value_typeET2_T3_PNS13_IS18_E10value_typeET4_jRbjT5_S1E_jjP12ihipStream_tbEUljE_ZNSN_ISO_Lb0ESQ_SR_ST_SU_SY_EESZ_S10_S11_S12_S16_S17_S18_S1B_S1C_jS1D_jS1E_S1E_jjS1G_bEUljE0_EEESZ_S10_S11_S18_S1C_S1E_T6_T7_T9_mT8_S1G_bDpT10_ENKUlT_T0_E_clISt17integral_constantIbLb1EES1U_EEDaS1P_S1Q_EUlS1P_E_NS1_11comp_targetILNS1_3genE4ELNS1_11target_archE910ELNS1_3gpuE8ELNS1_3repE0EEENS1_30default_config_static_selectorELNS0_4arch9wavefront6targetE0EEEvS12_,"axG",@progbits,_ZN7rocprim17ROCPRIM_400000_NS6detail17trampoline_kernelINS0_13select_configILj256ELj13ELNS0_17block_load_methodE3ELS4_3ELS4_3ELNS0_20block_scan_algorithmE0ELj4294967295EEENS1_25partition_config_selectorILNS1_17partition_subalgoE4EjNS0_10empty_typeEbEEZZNS1_14partition_implILS8_4ELb0ES6_15HIP_vector_typeIjLj2EENS0_17counting_iteratorIjlEEPS9_SG_NS0_5tupleIJPjSI_NS0_16reverse_iteratorISI_EEEEENSH_IJSG_SG_SG_EEES9_SI_JZNS1_25segmented_radix_sort_implINS0_14default_configELb0EPKaPaPKlPlN2at6native12_GLOBAL__N_18offset_tEEE10hipError_tPvRmT1_PNSt15iterator_traitsIS12_E10value_typeET2_T3_PNS13_IS18_E10value_typeET4_jRbjT5_S1E_jjP12ihipStream_tbEUljE_ZNSN_ISO_Lb0ESQ_SR_ST_SU_SY_EESZ_S10_S11_S12_S16_S17_S18_S1B_S1C_jS1D_jS1E_S1E_jjS1G_bEUljE0_EEESZ_S10_S11_S18_S1C_S1E_T6_T7_T9_mT8_S1G_bDpT10_ENKUlT_T0_E_clISt17integral_constantIbLb1EES1U_EEDaS1P_S1Q_EUlS1P_E_NS1_11comp_targetILNS1_3genE4ELNS1_11target_archE910ELNS1_3gpuE8ELNS1_3repE0EEENS1_30default_config_static_selectorELNS0_4arch9wavefront6targetE0EEEvS12_,comdat
.Lfunc_end339:
	.size	_ZN7rocprim17ROCPRIM_400000_NS6detail17trampoline_kernelINS0_13select_configILj256ELj13ELNS0_17block_load_methodE3ELS4_3ELS4_3ELNS0_20block_scan_algorithmE0ELj4294967295EEENS1_25partition_config_selectorILNS1_17partition_subalgoE4EjNS0_10empty_typeEbEEZZNS1_14partition_implILS8_4ELb0ES6_15HIP_vector_typeIjLj2EENS0_17counting_iteratorIjlEEPS9_SG_NS0_5tupleIJPjSI_NS0_16reverse_iteratorISI_EEEEENSH_IJSG_SG_SG_EEES9_SI_JZNS1_25segmented_radix_sort_implINS0_14default_configELb0EPKaPaPKlPlN2at6native12_GLOBAL__N_18offset_tEEE10hipError_tPvRmT1_PNSt15iterator_traitsIS12_E10value_typeET2_T3_PNS13_IS18_E10value_typeET4_jRbjT5_S1E_jjP12ihipStream_tbEUljE_ZNSN_ISO_Lb0ESQ_SR_ST_SU_SY_EESZ_S10_S11_S12_S16_S17_S18_S1B_S1C_jS1D_jS1E_S1E_jjS1G_bEUljE0_EEESZ_S10_S11_S18_S1C_S1E_T6_T7_T9_mT8_S1G_bDpT10_ENKUlT_T0_E_clISt17integral_constantIbLb1EES1U_EEDaS1P_S1Q_EUlS1P_E_NS1_11comp_targetILNS1_3genE4ELNS1_11target_archE910ELNS1_3gpuE8ELNS1_3repE0EEENS1_30default_config_static_selectorELNS0_4arch9wavefront6targetE0EEEvS12_, .Lfunc_end339-_ZN7rocprim17ROCPRIM_400000_NS6detail17trampoline_kernelINS0_13select_configILj256ELj13ELNS0_17block_load_methodE3ELS4_3ELS4_3ELNS0_20block_scan_algorithmE0ELj4294967295EEENS1_25partition_config_selectorILNS1_17partition_subalgoE4EjNS0_10empty_typeEbEEZZNS1_14partition_implILS8_4ELb0ES6_15HIP_vector_typeIjLj2EENS0_17counting_iteratorIjlEEPS9_SG_NS0_5tupleIJPjSI_NS0_16reverse_iteratorISI_EEEEENSH_IJSG_SG_SG_EEES9_SI_JZNS1_25segmented_radix_sort_implINS0_14default_configELb0EPKaPaPKlPlN2at6native12_GLOBAL__N_18offset_tEEE10hipError_tPvRmT1_PNSt15iterator_traitsIS12_E10value_typeET2_T3_PNS13_IS18_E10value_typeET4_jRbjT5_S1E_jjP12ihipStream_tbEUljE_ZNSN_ISO_Lb0ESQ_SR_ST_SU_SY_EESZ_S10_S11_S12_S16_S17_S18_S1B_S1C_jS1D_jS1E_S1E_jjS1G_bEUljE0_EEESZ_S10_S11_S18_S1C_S1E_T6_T7_T9_mT8_S1G_bDpT10_ENKUlT_T0_E_clISt17integral_constantIbLb1EES1U_EEDaS1P_S1Q_EUlS1P_E_NS1_11comp_targetILNS1_3genE4ELNS1_11target_archE910ELNS1_3gpuE8ELNS1_3repE0EEENS1_30default_config_static_selectorELNS0_4arch9wavefront6targetE0EEEvS12_
                                        ; -- End function
	.section	.AMDGPU.csdata,"",@progbits
; Kernel info:
; codeLenInByte = 0
; NumSgprs: 0
; NumVgprs: 0
; ScratchSize: 0
; MemoryBound: 0
; FloatMode: 240
; IeeeMode: 1
; LDSByteSize: 0 bytes/workgroup (compile time only)
; SGPRBlocks: 0
; VGPRBlocks: 0
; NumSGPRsForWavesPerEU: 1
; NumVGPRsForWavesPerEU: 1
; Occupancy: 16
; WaveLimiterHint : 0
; COMPUTE_PGM_RSRC2:SCRATCH_EN: 0
; COMPUTE_PGM_RSRC2:USER_SGPR: 15
; COMPUTE_PGM_RSRC2:TRAP_HANDLER: 0
; COMPUTE_PGM_RSRC2:TGID_X_EN: 1
; COMPUTE_PGM_RSRC2:TGID_Y_EN: 0
; COMPUTE_PGM_RSRC2:TGID_Z_EN: 0
; COMPUTE_PGM_RSRC2:TIDIG_COMP_CNT: 0
	.section	.text._ZN7rocprim17ROCPRIM_400000_NS6detail17trampoline_kernelINS0_13select_configILj256ELj13ELNS0_17block_load_methodE3ELS4_3ELS4_3ELNS0_20block_scan_algorithmE0ELj4294967295EEENS1_25partition_config_selectorILNS1_17partition_subalgoE4EjNS0_10empty_typeEbEEZZNS1_14partition_implILS8_4ELb0ES6_15HIP_vector_typeIjLj2EENS0_17counting_iteratorIjlEEPS9_SG_NS0_5tupleIJPjSI_NS0_16reverse_iteratorISI_EEEEENSH_IJSG_SG_SG_EEES9_SI_JZNS1_25segmented_radix_sort_implINS0_14default_configELb0EPKaPaPKlPlN2at6native12_GLOBAL__N_18offset_tEEE10hipError_tPvRmT1_PNSt15iterator_traitsIS12_E10value_typeET2_T3_PNS13_IS18_E10value_typeET4_jRbjT5_S1E_jjP12ihipStream_tbEUljE_ZNSN_ISO_Lb0ESQ_SR_ST_SU_SY_EESZ_S10_S11_S12_S16_S17_S18_S1B_S1C_jS1D_jS1E_S1E_jjS1G_bEUljE0_EEESZ_S10_S11_S18_S1C_S1E_T6_T7_T9_mT8_S1G_bDpT10_ENKUlT_T0_E_clISt17integral_constantIbLb1EES1U_EEDaS1P_S1Q_EUlS1P_E_NS1_11comp_targetILNS1_3genE3ELNS1_11target_archE908ELNS1_3gpuE7ELNS1_3repE0EEENS1_30default_config_static_selectorELNS0_4arch9wavefront6targetE0EEEvS12_,"axG",@progbits,_ZN7rocprim17ROCPRIM_400000_NS6detail17trampoline_kernelINS0_13select_configILj256ELj13ELNS0_17block_load_methodE3ELS4_3ELS4_3ELNS0_20block_scan_algorithmE0ELj4294967295EEENS1_25partition_config_selectorILNS1_17partition_subalgoE4EjNS0_10empty_typeEbEEZZNS1_14partition_implILS8_4ELb0ES6_15HIP_vector_typeIjLj2EENS0_17counting_iteratorIjlEEPS9_SG_NS0_5tupleIJPjSI_NS0_16reverse_iteratorISI_EEEEENSH_IJSG_SG_SG_EEES9_SI_JZNS1_25segmented_radix_sort_implINS0_14default_configELb0EPKaPaPKlPlN2at6native12_GLOBAL__N_18offset_tEEE10hipError_tPvRmT1_PNSt15iterator_traitsIS12_E10value_typeET2_T3_PNS13_IS18_E10value_typeET4_jRbjT5_S1E_jjP12ihipStream_tbEUljE_ZNSN_ISO_Lb0ESQ_SR_ST_SU_SY_EESZ_S10_S11_S12_S16_S17_S18_S1B_S1C_jS1D_jS1E_S1E_jjS1G_bEUljE0_EEESZ_S10_S11_S18_S1C_S1E_T6_T7_T9_mT8_S1G_bDpT10_ENKUlT_T0_E_clISt17integral_constantIbLb1EES1U_EEDaS1P_S1Q_EUlS1P_E_NS1_11comp_targetILNS1_3genE3ELNS1_11target_archE908ELNS1_3gpuE7ELNS1_3repE0EEENS1_30default_config_static_selectorELNS0_4arch9wavefront6targetE0EEEvS12_,comdat
	.globl	_ZN7rocprim17ROCPRIM_400000_NS6detail17trampoline_kernelINS0_13select_configILj256ELj13ELNS0_17block_load_methodE3ELS4_3ELS4_3ELNS0_20block_scan_algorithmE0ELj4294967295EEENS1_25partition_config_selectorILNS1_17partition_subalgoE4EjNS0_10empty_typeEbEEZZNS1_14partition_implILS8_4ELb0ES6_15HIP_vector_typeIjLj2EENS0_17counting_iteratorIjlEEPS9_SG_NS0_5tupleIJPjSI_NS0_16reverse_iteratorISI_EEEEENSH_IJSG_SG_SG_EEES9_SI_JZNS1_25segmented_radix_sort_implINS0_14default_configELb0EPKaPaPKlPlN2at6native12_GLOBAL__N_18offset_tEEE10hipError_tPvRmT1_PNSt15iterator_traitsIS12_E10value_typeET2_T3_PNS13_IS18_E10value_typeET4_jRbjT5_S1E_jjP12ihipStream_tbEUljE_ZNSN_ISO_Lb0ESQ_SR_ST_SU_SY_EESZ_S10_S11_S12_S16_S17_S18_S1B_S1C_jS1D_jS1E_S1E_jjS1G_bEUljE0_EEESZ_S10_S11_S18_S1C_S1E_T6_T7_T9_mT8_S1G_bDpT10_ENKUlT_T0_E_clISt17integral_constantIbLb1EES1U_EEDaS1P_S1Q_EUlS1P_E_NS1_11comp_targetILNS1_3genE3ELNS1_11target_archE908ELNS1_3gpuE7ELNS1_3repE0EEENS1_30default_config_static_selectorELNS0_4arch9wavefront6targetE0EEEvS12_ ; -- Begin function _ZN7rocprim17ROCPRIM_400000_NS6detail17trampoline_kernelINS0_13select_configILj256ELj13ELNS0_17block_load_methodE3ELS4_3ELS4_3ELNS0_20block_scan_algorithmE0ELj4294967295EEENS1_25partition_config_selectorILNS1_17partition_subalgoE4EjNS0_10empty_typeEbEEZZNS1_14partition_implILS8_4ELb0ES6_15HIP_vector_typeIjLj2EENS0_17counting_iteratorIjlEEPS9_SG_NS0_5tupleIJPjSI_NS0_16reverse_iteratorISI_EEEEENSH_IJSG_SG_SG_EEES9_SI_JZNS1_25segmented_radix_sort_implINS0_14default_configELb0EPKaPaPKlPlN2at6native12_GLOBAL__N_18offset_tEEE10hipError_tPvRmT1_PNSt15iterator_traitsIS12_E10value_typeET2_T3_PNS13_IS18_E10value_typeET4_jRbjT5_S1E_jjP12ihipStream_tbEUljE_ZNSN_ISO_Lb0ESQ_SR_ST_SU_SY_EESZ_S10_S11_S12_S16_S17_S18_S1B_S1C_jS1D_jS1E_S1E_jjS1G_bEUljE0_EEESZ_S10_S11_S18_S1C_S1E_T6_T7_T9_mT8_S1G_bDpT10_ENKUlT_T0_E_clISt17integral_constantIbLb1EES1U_EEDaS1P_S1Q_EUlS1P_E_NS1_11comp_targetILNS1_3genE3ELNS1_11target_archE908ELNS1_3gpuE7ELNS1_3repE0EEENS1_30default_config_static_selectorELNS0_4arch9wavefront6targetE0EEEvS12_
	.p2align	8
	.type	_ZN7rocprim17ROCPRIM_400000_NS6detail17trampoline_kernelINS0_13select_configILj256ELj13ELNS0_17block_load_methodE3ELS4_3ELS4_3ELNS0_20block_scan_algorithmE0ELj4294967295EEENS1_25partition_config_selectorILNS1_17partition_subalgoE4EjNS0_10empty_typeEbEEZZNS1_14partition_implILS8_4ELb0ES6_15HIP_vector_typeIjLj2EENS0_17counting_iteratorIjlEEPS9_SG_NS0_5tupleIJPjSI_NS0_16reverse_iteratorISI_EEEEENSH_IJSG_SG_SG_EEES9_SI_JZNS1_25segmented_radix_sort_implINS0_14default_configELb0EPKaPaPKlPlN2at6native12_GLOBAL__N_18offset_tEEE10hipError_tPvRmT1_PNSt15iterator_traitsIS12_E10value_typeET2_T3_PNS13_IS18_E10value_typeET4_jRbjT5_S1E_jjP12ihipStream_tbEUljE_ZNSN_ISO_Lb0ESQ_SR_ST_SU_SY_EESZ_S10_S11_S12_S16_S17_S18_S1B_S1C_jS1D_jS1E_S1E_jjS1G_bEUljE0_EEESZ_S10_S11_S18_S1C_S1E_T6_T7_T9_mT8_S1G_bDpT10_ENKUlT_T0_E_clISt17integral_constantIbLb1EES1U_EEDaS1P_S1Q_EUlS1P_E_NS1_11comp_targetILNS1_3genE3ELNS1_11target_archE908ELNS1_3gpuE7ELNS1_3repE0EEENS1_30default_config_static_selectorELNS0_4arch9wavefront6targetE0EEEvS12_,@function
_ZN7rocprim17ROCPRIM_400000_NS6detail17trampoline_kernelINS0_13select_configILj256ELj13ELNS0_17block_load_methodE3ELS4_3ELS4_3ELNS0_20block_scan_algorithmE0ELj4294967295EEENS1_25partition_config_selectorILNS1_17partition_subalgoE4EjNS0_10empty_typeEbEEZZNS1_14partition_implILS8_4ELb0ES6_15HIP_vector_typeIjLj2EENS0_17counting_iteratorIjlEEPS9_SG_NS0_5tupleIJPjSI_NS0_16reverse_iteratorISI_EEEEENSH_IJSG_SG_SG_EEES9_SI_JZNS1_25segmented_radix_sort_implINS0_14default_configELb0EPKaPaPKlPlN2at6native12_GLOBAL__N_18offset_tEEE10hipError_tPvRmT1_PNSt15iterator_traitsIS12_E10value_typeET2_T3_PNS13_IS18_E10value_typeET4_jRbjT5_S1E_jjP12ihipStream_tbEUljE_ZNSN_ISO_Lb0ESQ_SR_ST_SU_SY_EESZ_S10_S11_S12_S16_S17_S18_S1B_S1C_jS1D_jS1E_S1E_jjS1G_bEUljE0_EEESZ_S10_S11_S18_S1C_S1E_T6_T7_T9_mT8_S1G_bDpT10_ENKUlT_T0_E_clISt17integral_constantIbLb1EES1U_EEDaS1P_S1Q_EUlS1P_E_NS1_11comp_targetILNS1_3genE3ELNS1_11target_archE908ELNS1_3gpuE7ELNS1_3repE0EEENS1_30default_config_static_selectorELNS0_4arch9wavefront6targetE0EEEvS12_: ; @_ZN7rocprim17ROCPRIM_400000_NS6detail17trampoline_kernelINS0_13select_configILj256ELj13ELNS0_17block_load_methodE3ELS4_3ELS4_3ELNS0_20block_scan_algorithmE0ELj4294967295EEENS1_25partition_config_selectorILNS1_17partition_subalgoE4EjNS0_10empty_typeEbEEZZNS1_14partition_implILS8_4ELb0ES6_15HIP_vector_typeIjLj2EENS0_17counting_iteratorIjlEEPS9_SG_NS0_5tupleIJPjSI_NS0_16reverse_iteratorISI_EEEEENSH_IJSG_SG_SG_EEES9_SI_JZNS1_25segmented_radix_sort_implINS0_14default_configELb0EPKaPaPKlPlN2at6native12_GLOBAL__N_18offset_tEEE10hipError_tPvRmT1_PNSt15iterator_traitsIS12_E10value_typeET2_T3_PNS13_IS18_E10value_typeET4_jRbjT5_S1E_jjP12ihipStream_tbEUljE_ZNSN_ISO_Lb0ESQ_SR_ST_SU_SY_EESZ_S10_S11_S12_S16_S17_S18_S1B_S1C_jS1D_jS1E_S1E_jjS1G_bEUljE0_EEESZ_S10_S11_S18_S1C_S1E_T6_T7_T9_mT8_S1G_bDpT10_ENKUlT_T0_E_clISt17integral_constantIbLb1EES1U_EEDaS1P_S1Q_EUlS1P_E_NS1_11comp_targetILNS1_3genE3ELNS1_11target_archE908ELNS1_3gpuE7ELNS1_3repE0EEENS1_30default_config_static_selectorELNS0_4arch9wavefront6targetE0EEEvS12_
; %bb.0:
	.section	.rodata,"a",@progbits
	.p2align	6, 0x0
	.amdhsa_kernel _ZN7rocprim17ROCPRIM_400000_NS6detail17trampoline_kernelINS0_13select_configILj256ELj13ELNS0_17block_load_methodE3ELS4_3ELS4_3ELNS0_20block_scan_algorithmE0ELj4294967295EEENS1_25partition_config_selectorILNS1_17partition_subalgoE4EjNS0_10empty_typeEbEEZZNS1_14partition_implILS8_4ELb0ES6_15HIP_vector_typeIjLj2EENS0_17counting_iteratorIjlEEPS9_SG_NS0_5tupleIJPjSI_NS0_16reverse_iteratorISI_EEEEENSH_IJSG_SG_SG_EEES9_SI_JZNS1_25segmented_radix_sort_implINS0_14default_configELb0EPKaPaPKlPlN2at6native12_GLOBAL__N_18offset_tEEE10hipError_tPvRmT1_PNSt15iterator_traitsIS12_E10value_typeET2_T3_PNS13_IS18_E10value_typeET4_jRbjT5_S1E_jjP12ihipStream_tbEUljE_ZNSN_ISO_Lb0ESQ_SR_ST_SU_SY_EESZ_S10_S11_S12_S16_S17_S18_S1B_S1C_jS1D_jS1E_S1E_jjS1G_bEUljE0_EEESZ_S10_S11_S18_S1C_S1E_T6_T7_T9_mT8_S1G_bDpT10_ENKUlT_T0_E_clISt17integral_constantIbLb1EES1U_EEDaS1P_S1Q_EUlS1P_E_NS1_11comp_targetILNS1_3genE3ELNS1_11target_archE908ELNS1_3gpuE7ELNS1_3repE0EEENS1_30default_config_static_selectorELNS0_4arch9wavefront6targetE0EEEvS12_
		.amdhsa_group_segment_fixed_size 0
		.amdhsa_private_segment_fixed_size 0
		.amdhsa_kernarg_size 184
		.amdhsa_user_sgpr_count 15
		.amdhsa_user_sgpr_dispatch_ptr 0
		.amdhsa_user_sgpr_queue_ptr 0
		.amdhsa_user_sgpr_kernarg_segment_ptr 1
		.amdhsa_user_sgpr_dispatch_id 0
		.amdhsa_user_sgpr_private_segment_size 0
		.amdhsa_wavefront_size32 1
		.amdhsa_uses_dynamic_stack 0
		.amdhsa_enable_private_segment 0
		.amdhsa_system_sgpr_workgroup_id_x 1
		.amdhsa_system_sgpr_workgroup_id_y 0
		.amdhsa_system_sgpr_workgroup_id_z 0
		.amdhsa_system_sgpr_workgroup_info 0
		.amdhsa_system_vgpr_workitem_id 0
		.amdhsa_next_free_vgpr 1
		.amdhsa_next_free_sgpr 1
		.amdhsa_reserve_vcc 0
		.amdhsa_float_round_mode_32 0
		.amdhsa_float_round_mode_16_64 0
		.amdhsa_float_denorm_mode_32 3
		.amdhsa_float_denorm_mode_16_64 3
		.amdhsa_dx10_clamp 1
		.amdhsa_ieee_mode 1
		.amdhsa_fp16_overflow 0
		.amdhsa_workgroup_processor_mode 1
		.amdhsa_memory_ordered 1
		.amdhsa_forward_progress 0
		.amdhsa_shared_vgpr_count 0
		.amdhsa_exception_fp_ieee_invalid_op 0
		.amdhsa_exception_fp_denorm_src 0
		.amdhsa_exception_fp_ieee_div_zero 0
		.amdhsa_exception_fp_ieee_overflow 0
		.amdhsa_exception_fp_ieee_underflow 0
		.amdhsa_exception_fp_ieee_inexact 0
		.amdhsa_exception_int_div_zero 0
	.end_amdhsa_kernel
	.section	.text._ZN7rocprim17ROCPRIM_400000_NS6detail17trampoline_kernelINS0_13select_configILj256ELj13ELNS0_17block_load_methodE3ELS4_3ELS4_3ELNS0_20block_scan_algorithmE0ELj4294967295EEENS1_25partition_config_selectorILNS1_17partition_subalgoE4EjNS0_10empty_typeEbEEZZNS1_14partition_implILS8_4ELb0ES6_15HIP_vector_typeIjLj2EENS0_17counting_iteratorIjlEEPS9_SG_NS0_5tupleIJPjSI_NS0_16reverse_iteratorISI_EEEEENSH_IJSG_SG_SG_EEES9_SI_JZNS1_25segmented_radix_sort_implINS0_14default_configELb0EPKaPaPKlPlN2at6native12_GLOBAL__N_18offset_tEEE10hipError_tPvRmT1_PNSt15iterator_traitsIS12_E10value_typeET2_T3_PNS13_IS18_E10value_typeET4_jRbjT5_S1E_jjP12ihipStream_tbEUljE_ZNSN_ISO_Lb0ESQ_SR_ST_SU_SY_EESZ_S10_S11_S12_S16_S17_S18_S1B_S1C_jS1D_jS1E_S1E_jjS1G_bEUljE0_EEESZ_S10_S11_S18_S1C_S1E_T6_T7_T9_mT8_S1G_bDpT10_ENKUlT_T0_E_clISt17integral_constantIbLb1EES1U_EEDaS1P_S1Q_EUlS1P_E_NS1_11comp_targetILNS1_3genE3ELNS1_11target_archE908ELNS1_3gpuE7ELNS1_3repE0EEENS1_30default_config_static_selectorELNS0_4arch9wavefront6targetE0EEEvS12_,"axG",@progbits,_ZN7rocprim17ROCPRIM_400000_NS6detail17trampoline_kernelINS0_13select_configILj256ELj13ELNS0_17block_load_methodE3ELS4_3ELS4_3ELNS0_20block_scan_algorithmE0ELj4294967295EEENS1_25partition_config_selectorILNS1_17partition_subalgoE4EjNS0_10empty_typeEbEEZZNS1_14partition_implILS8_4ELb0ES6_15HIP_vector_typeIjLj2EENS0_17counting_iteratorIjlEEPS9_SG_NS0_5tupleIJPjSI_NS0_16reverse_iteratorISI_EEEEENSH_IJSG_SG_SG_EEES9_SI_JZNS1_25segmented_radix_sort_implINS0_14default_configELb0EPKaPaPKlPlN2at6native12_GLOBAL__N_18offset_tEEE10hipError_tPvRmT1_PNSt15iterator_traitsIS12_E10value_typeET2_T3_PNS13_IS18_E10value_typeET4_jRbjT5_S1E_jjP12ihipStream_tbEUljE_ZNSN_ISO_Lb0ESQ_SR_ST_SU_SY_EESZ_S10_S11_S12_S16_S17_S18_S1B_S1C_jS1D_jS1E_S1E_jjS1G_bEUljE0_EEESZ_S10_S11_S18_S1C_S1E_T6_T7_T9_mT8_S1G_bDpT10_ENKUlT_T0_E_clISt17integral_constantIbLb1EES1U_EEDaS1P_S1Q_EUlS1P_E_NS1_11comp_targetILNS1_3genE3ELNS1_11target_archE908ELNS1_3gpuE7ELNS1_3repE0EEENS1_30default_config_static_selectorELNS0_4arch9wavefront6targetE0EEEvS12_,comdat
.Lfunc_end340:
	.size	_ZN7rocprim17ROCPRIM_400000_NS6detail17trampoline_kernelINS0_13select_configILj256ELj13ELNS0_17block_load_methodE3ELS4_3ELS4_3ELNS0_20block_scan_algorithmE0ELj4294967295EEENS1_25partition_config_selectorILNS1_17partition_subalgoE4EjNS0_10empty_typeEbEEZZNS1_14partition_implILS8_4ELb0ES6_15HIP_vector_typeIjLj2EENS0_17counting_iteratorIjlEEPS9_SG_NS0_5tupleIJPjSI_NS0_16reverse_iteratorISI_EEEEENSH_IJSG_SG_SG_EEES9_SI_JZNS1_25segmented_radix_sort_implINS0_14default_configELb0EPKaPaPKlPlN2at6native12_GLOBAL__N_18offset_tEEE10hipError_tPvRmT1_PNSt15iterator_traitsIS12_E10value_typeET2_T3_PNS13_IS18_E10value_typeET4_jRbjT5_S1E_jjP12ihipStream_tbEUljE_ZNSN_ISO_Lb0ESQ_SR_ST_SU_SY_EESZ_S10_S11_S12_S16_S17_S18_S1B_S1C_jS1D_jS1E_S1E_jjS1G_bEUljE0_EEESZ_S10_S11_S18_S1C_S1E_T6_T7_T9_mT8_S1G_bDpT10_ENKUlT_T0_E_clISt17integral_constantIbLb1EES1U_EEDaS1P_S1Q_EUlS1P_E_NS1_11comp_targetILNS1_3genE3ELNS1_11target_archE908ELNS1_3gpuE7ELNS1_3repE0EEENS1_30default_config_static_selectorELNS0_4arch9wavefront6targetE0EEEvS12_, .Lfunc_end340-_ZN7rocprim17ROCPRIM_400000_NS6detail17trampoline_kernelINS0_13select_configILj256ELj13ELNS0_17block_load_methodE3ELS4_3ELS4_3ELNS0_20block_scan_algorithmE0ELj4294967295EEENS1_25partition_config_selectorILNS1_17partition_subalgoE4EjNS0_10empty_typeEbEEZZNS1_14partition_implILS8_4ELb0ES6_15HIP_vector_typeIjLj2EENS0_17counting_iteratorIjlEEPS9_SG_NS0_5tupleIJPjSI_NS0_16reverse_iteratorISI_EEEEENSH_IJSG_SG_SG_EEES9_SI_JZNS1_25segmented_radix_sort_implINS0_14default_configELb0EPKaPaPKlPlN2at6native12_GLOBAL__N_18offset_tEEE10hipError_tPvRmT1_PNSt15iterator_traitsIS12_E10value_typeET2_T3_PNS13_IS18_E10value_typeET4_jRbjT5_S1E_jjP12ihipStream_tbEUljE_ZNSN_ISO_Lb0ESQ_SR_ST_SU_SY_EESZ_S10_S11_S12_S16_S17_S18_S1B_S1C_jS1D_jS1E_S1E_jjS1G_bEUljE0_EEESZ_S10_S11_S18_S1C_S1E_T6_T7_T9_mT8_S1G_bDpT10_ENKUlT_T0_E_clISt17integral_constantIbLb1EES1U_EEDaS1P_S1Q_EUlS1P_E_NS1_11comp_targetILNS1_3genE3ELNS1_11target_archE908ELNS1_3gpuE7ELNS1_3repE0EEENS1_30default_config_static_selectorELNS0_4arch9wavefront6targetE0EEEvS12_
                                        ; -- End function
	.section	.AMDGPU.csdata,"",@progbits
; Kernel info:
; codeLenInByte = 0
; NumSgprs: 0
; NumVgprs: 0
; ScratchSize: 0
; MemoryBound: 0
; FloatMode: 240
; IeeeMode: 1
; LDSByteSize: 0 bytes/workgroup (compile time only)
; SGPRBlocks: 0
; VGPRBlocks: 0
; NumSGPRsForWavesPerEU: 1
; NumVGPRsForWavesPerEU: 1
; Occupancy: 16
; WaveLimiterHint : 0
; COMPUTE_PGM_RSRC2:SCRATCH_EN: 0
; COMPUTE_PGM_RSRC2:USER_SGPR: 15
; COMPUTE_PGM_RSRC2:TRAP_HANDLER: 0
; COMPUTE_PGM_RSRC2:TGID_X_EN: 1
; COMPUTE_PGM_RSRC2:TGID_Y_EN: 0
; COMPUTE_PGM_RSRC2:TGID_Z_EN: 0
; COMPUTE_PGM_RSRC2:TIDIG_COMP_CNT: 0
	.section	.text._ZN7rocprim17ROCPRIM_400000_NS6detail17trampoline_kernelINS0_13select_configILj256ELj13ELNS0_17block_load_methodE3ELS4_3ELS4_3ELNS0_20block_scan_algorithmE0ELj4294967295EEENS1_25partition_config_selectorILNS1_17partition_subalgoE4EjNS0_10empty_typeEbEEZZNS1_14partition_implILS8_4ELb0ES6_15HIP_vector_typeIjLj2EENS0_17counting_iteratorIjlEEPS9_SG_NS0_5tupleIJPjSI_NS0_16reverse_iteratorISI_EEEEENSH_IJSG_SG_SG_EEES9_SI_JZNS1_25segmented_radix_sort_implINS0_14default_configELb0EPKaPaPKlPlN2at6native12_GLOBAL__N_18offset_tEEE10hipError_tPvRmT1_PNSt15iterator_traitsIS12_E10value_typeET2_T3_PNS13_IS18_E10value_typeET4_jRbjT5_S1E_jjP12ihipStream_tbEUljE_ZNSN_ISO_Lb0ESQ_SR_ST_SU_SY_EESZ_S10_S11_S12_S16_S17_S18_S1B_S1C_jS1D_jS1E_S1E_jjS1G_bEUljE0_EEESZ_S10_S11_S18_S1C_S1E_T6_T7_T9_mT8_S1G_bDpT10_ENKUlT_T0_E_clISt17integral_constantIbLb1EES1U_EEDaS1P_S1Q_EUlS1P_E_NS1_11comp_targetILNS1_3genE2ELNS1_11target_archE906ELNS1_3gpuE6ELNS1_3repE0EEENS1_30default_config_static_selectorELNS0_4arch9wavefront6targetE0EEEvS12_,"axG",@progbits,_ZN7rocprim17ROCPRIM_400000_NS6detail17trampoline_kernelINS0_13select_configILj256ELj13ELNS0_17block_load_methodE3ELS4_3ELS4_3ELNS0_20block_scan_algorithmE0ELj4294967295EEENS1_25partition_config_selectorILNS1_17partition_subalgoE4EjNS0_10empty_typeEbEEZZNS1_14partition_implILS8_4ELb0ES6_15HIP_vector_typeIjLj2EENS0_17counting_iteratorIjlEEPS9_SG_NS0_5tupleIJPjSI_NS0_16reverse_iteratorISI_EEEEENSH_IJSG_SG_SG_EEES9_SI_JZNS1_25segmented_radix_sort_implINS0_14default_configELb0EPKaPaPKlPlN2at6native12_GLOBAL__N_18offset_tEEE10hipError_tPvRmT1_PNSt15iterator_traitsIS12_E10value_typeET2_T3_PNS13_IS18_E10value_typeET4_jRbjT5_S1E_jjP12ihipStream_tbEUljE_ZNSN_ISO_Lb0ESQ_SR_ST_SU_SY_EESZ_S10_S11_S12_S16_S17_S18_S1B_S1C_jS1D_jS1E_S1E_jjS1G_bEUljE0_EEESZ_S10_S11_S18_S1C_S1E_T6_T7_T9_mT8_S1G_bDpT10_ENKUlT_T0_E_clISt17integral_constantIbLb1EES1U_EEDaS1P_S1Q_EUlS1P_E_NS1_11comp_targetILNS1_3genE2ELNS1_11target_archE906ELNS1_3gpuE6ELNS1_3repE0EEENS1_30default_config_static_selectorELNS0_4arch9wavefront6targetE0EEEvS12_,comdat
	.globl	_ZN7rocprim17ROCPRIM_400000_NS6detail17trampoline_kernelINS0_13select_configILj256ELj13ELNS0_17block_load_methodE3ELS4_3ELS4_3ELNS0_20block_scan_algorithmE0ELj4294967295EEENS1_25partition_config_selectorILNS1_17partition_subalgoE4EjNS0_10empty_typeEbEEZZNS1_14partition_implILS8_4ELb0ES6_15HIP_vector_typeIjLj2EENS0_17counting_iteratorIjlEEPS9_SG_NS0_5tupleIJPjSI_NS0_16reverse_iteratorISI_EEEEENSH_IJSG_SG_SG_EEES9_SI_JZNS1_25segmented_radix_sort_implINS0_14default_configELb0EPKaPaPKlPlN2at6native12_GLOBAL__N_18offset_tEEE10hipError_tPvRmT1_PNSt15iterator_traitsIS12_E10value_typeET2_T3_PNS13_IS18_E10value_typeET4_jRbjT5_S1E_jjP12ihipStream_tbEUljE_ZNSN_ISO_Lb0ESQ_SR_ST_SU_SY_EESZ_S10_S11_S12_S16_S17_S18_S1B_S1C_jS1D_jS1E_S1E_jjS1G_bEUljE0_EEESZ_S10_S11_S18_S1C_S1E_T6_T7_T9_mT8_S1G_bDpT10_ENKUlT_T0_E_clISt17integral_constantIbLb1EES1U_EEDaS1P_S1Q_EUlS1P_E_NS1_11comp_targetILNS1_3genE2ELNS1_11target_archE906ELNS1_3gpuE6ELNS1_3repE0EEENS1_30default_config_static_selectorELNS0_4arch9wavefront6targetE0EEEvS12_ ; -- Begin function _ZN7rocprim17ROCPRIM_400000_NS6detail17trampoline_kernelINS0_13select_configILj256ELj13ELNS0_17block_load_methodE3ELS4_3ELS4_3ELNS0_20block_scan_algorithmE0ELj4294967295EEENS1_25partition_config_selectorILNS1_17partition_subalgoE4EjNS0_10empty_typeEbEEZZNS1_14partition_implILS8_4ELb0ES6_15HIP_vector_typeIjLj2EENS0_17counting_iteratorIjlEEPS9_SG_NS0_5tupleIJPjSI_NS0_16reverse_iteratorISI_EEEEENSH_IJSG_SG_SG_EEES9_SI_JZNS1_25segmented_radix_sort_implINS0_14default_configELb0EPKaPaPKlPlN2at6native12_GLOBAL__N_18offset_tEEE10hipError_tPvRmT1_PNSt15iterator_traitsIS12_E10value_typeET2_T3_PNS13_IS18_E10value_typeET4_jRbjT5_S1E_jjP12ihipStream_tbEUljE_ZNSN_ISO_Lb0ESQ_SR_ST_SU_SY_EESZ_S10_S11_S12_S16_S17_S18_S1B_S1C_jS1D_jS1E_S1E_jjS1G_bEUljE0_EEESZ_S10_S11_S18_S1C_S1E_T6_T7_T9_mT8_S1G_bDpT10_ENKUlT_T0_E_clISt17integral_constantIbLb1EES1U_EEDaS1P_S1Q_EUlS1P_E_NS1_11comp_targetILNS1_3genE2ELNS1_11target_archE906ELNS1_3gpuE6ELNS1_3repE0EEENS1_30default_config_static_selectorELNS0_4arch9wavefront6targetE0EEEvS12_
	.p2align	8
	.type	_ZN7rocprim17ROCPRIM_400000_NS6detail17trampoline_kernelINS0_13select_configILj256ELj13ELNS0_17block_load_methodE3ELS4_3ELS4_3ELNS0_20block_scan_algorithmE0ELj4294967295EEENS1_25partition_config_selectorILNS1_17partition_subalgoE4EjNS0_10empty_typeEbEEZZNS1_14partition_implILS8_4ELb0ES6_15HIP_vector_typeIjLj2EENS0_17counting_iteratorIjlEEPS9_SG_NS0_5tupleIJPjSI_NS0_16reverse_iteratorISI_EEEEENSH_IJSG_SG_SG_EEES9_SI_JZNS1_25segmented_radix_sort_implINS0_14default_configELb0EPKaPaPKlPlN2at6native12_GLOBAL__N_18offset_tEEE10hipError_tPvRmT1_PNSt15iterator_traitsIS12_E10value_typeET2_T3_PNS13_IS18_E10value_typeET4_jRbjT5_S1E_jjP12ihipStream_tbEUljE_ZNSN_ISO_Lb0ESQ_SR_ST_SU_SY_EESZ_S10_S11_S12_S16_S17_S18_S1B_S1C_jS1D_jS1E_S1E_jjS1G_bEUljE0_EEESZ_S10_S11_S18_S1C_S1E_T6_T7_T9_mT8_S1G_bDpT10_ENKUlT_T0_E_clISt17integral_constantIbLb1EES1U_EEDaS1P_S1Q_EUlS1P_E_NS1_11comp_targetILNS1_3genE2ELNS1_11target_archE906ELNS1_3gpuE6ELNS1_3repE0EEENS1_30default_config_static_selectorELNS0_4arch9wavefront6targetE0EEEvS12_,@function
_ZN7rocprim17ROCPRIM_400000_NS6detail17trampoline_kernelINS0_13select_configILj256ELj13ELNS0_17block_load_methodE3ELS4_3ELS4_3ELNS0_20block_scan_algorithmE0ELj4294967295EEENS1_25partition_config_selectorILNS1_17partition_subalgoE4EjNS0_10empty_typeEbEEZZNS1_14partition_implILS8_4ELb0ES6_15HIP_vector_typeIjLj2EENS0_17counting_iteratorIjlEEPS9_SG_NS0_5tupleIJPjSI_NS0_16reverse_iteratorISI_EEEEENSH_IJSG_SG_SG_EEES9_SI_JZNS1_25segmented_radix_sort_implINS0_14default_configELb0EPKaPaPKlPlN2at6native12_GLOBAL__N_18offset_tEEE10hipError_tPvRmT1_PNSt15iterator_traitsIS12_E10value_typeET2_T3_PNS13_IS18_E10value_typeET4_jRbjT5_S1E_jjP12ihipStream_tbEUljE_ZNSN_ISO_Lb0ESQ_SR_ST_SU_SY_EESZ_S10_S11_S12_S16_S17_S18_S1B_S1C_jS1D_jS1E_S1E_jjS1G_bEUljE0_EEESZ_S10_S11_S18_S1C_S1E_T6_T7_T9_mT8_S1G_bDpT10_ENKUlT_T0_E_clISt17integral_constantIbLb1EES1U_EEDaS1P_S1Q_EUlS1P_E_NS1_11comp_targetILNS1_3genE2ELNS1_11target_archE906ELNS1_3gpuE6ELNS1_3repE0EEENS1_30default_config_static_selectorELNS0_4arch9wavefront6targetE0EEEvS12_: ; @_ZN7rocprim17ROCPRIM_400000_NS6detail17trampoline_kernelINS0_13select_configILj256ELj13ELNS0_17block_load_methodE3ELS4_3ELS4_3ELNS0_20block_scan_algorithmE0ELj4294967295EEENS1_25partition_config_selectorILNS1_17partition_subalgoE4EjNS0_10empty_typeEbEEZZNS1_14partition_implILS8_4ELb0ES6_15HIP_vector_typeIjLj2EENS0_17counting_iteratorIjlEEPS9_SG_NS0_5tupleIJPjSI_NS0_16reverse_iteratorISI_EEEEENSH_IJSG_SG_SG_EEES9_SI_JZNS1_25segmented_radix_sort_implINS0_14default_configELb0EPKaPaPKlPlN2at6native12_GLOBAL__N_18offset_tEEE10hipError_tPvRmT1_PNSt15iterator_traitsIS12_E10value_typeET2_T3_PNS13_IS18_E10value_typeET4_jRbjT5_S1E_jjP12ihipStream_tbEUljE_ZNSN_ISO_Lb0ESQ_SR_ST_SU_SY_EESZ_S10_S11_S12_S16_S17_S18_S1B_S1C_jS1D_jS1E_S1E_jjS1G_bEUljE0_EEESZ_S10_S11_S18_S1C_S1E_T6_T7_T9_mT8_S1G_bDpT10_ENKUlT_T0_E_clISt17integral_constantIbLb1EES1U_EEDaS1P_S1Q_EUlS1P_E_NS1_11comp_targetILNS1_3genE2ELNS1_11target_archE906ELNS1_3gpuE6ELNS1_3repE0EEENS1_30default_config_static_selectorELNS0_4arch9wavefront6targetE0EEEvS12_
; %bb.0:
	.section	.rodata,"a",@progbits
	.p2align	6, 0x0
	.amdhsa_kernel _ZN7rocprim17ROCPRIM_400000_NS6detail17trampoline_kernelINS0_13select_configILj256ELj13ELNS0_17block_load_methodE3ELS4_3ELS4_3ELNS0_20block_scan_algorithmE0ELj4294967295EEENS1_25partition_config_selectorILNS1_17partition_subalgoE4EjNS0_10empty_typeEbEEZZNS1_14partition_implILS8_4ELb0ES6_15HIP_vector_typeIjLj2EENS0_17counting_iteratorIjlEEPS9_SG_NS0_5tupleIJPjSI_NS0_16reverse_iteratorISI_EEEEENSH_IJSG_SG_SG_EEES9_SI_JZNS1_25segmented_radix_sort_implINS0_14default_configELb0EPKaPaPKlPlN2at6native12_GLOBAL__N_18offset_tEEE10hipError_tPvRmT1_PNSt15iterator_traitsIS12_E10value_typeET2_T3_PNS13_IS18_E10value_typeET4_jRbjT5_S1E_jjP12ihipStream_tbEUljE_ZNSN_ISO_Lb0ESQ_SR_ST_SU_SY_EESZ_S10_S11_S12_S16_S17_S18_S1B_S1C_jS1D_jS1E_S1E_jjS1G_bEUljE0_EEESZ_S10_S11_S18_S1C_S1E_T6_T7_T9_mT8_S1G_bDpT10_ENKUlT_T0_E_clISt17integral_constantIbLb1EES1U_EEDaS1P_S1Q_EUlS1P_E_NS1_11comp_targetILNS1_3genE2ELNS1_11target_archE906ELNS1_3gpuE6ELNS1_3repE0EEENS1_30default_config_static_selectorELNS0_4arch9wavefront6targetE0EEEvS12_
		.amdhsa_group_segment_fixed_size 0
		.amdhsa_private_segment_fixed_size 0
		.amdhsa_kernarg_size 184
		.amdhsa_user_sgpr_count 15
		.amdhsa_user_sgpr_dispatch_ptr 0
		.amdhsa_user_sgpr_queue_ptr 0
		.amdhsa_user_sgpr_kernarg_segment_ptr 1
		.amdhsa_user_sgpr_dispatch_id 0
		.amdhsa_user_sgpr_private_segment_size 0
		.amdhsa_wavefront_size32 1
		.amdhsa_uses_dynamic_stack 0
		.amdhsa_enable_private_segment 0
		.amdhsa_system_sgpr_workgroup_id_x 1
		.amdhsa_system_sgpr_workgroup_id_y 0
		.amdhsa_system_sgpr_workgroup_id_z 0
		.amdhsa_system_sgpr_workgroup_info 0
		.amdhsa_system_vgpr_workitem_id 0
		.amdhsa_next_free_vgpr 1
		.amdhsa_next_free_sgpr 1
		.amdhsa_reserve_vcc 0
		.amdhsa_float_round_mode_32 0
		.amdhsa_float_round_mode_16_64 0
		.amdhsa_float_denorm_mode_32 3
		.amdhsa_float_denorm_mode_16_64 3
		.amdhsa_dx10_clamp 1
		.amdhsa_ieee_mode 1
		.amdhsa_fp16_overflow 0
		.amdhsa_workgroup_processor_mode 1
		.amdhsa_memory_ordered 1
		.amdhsa_forward_progress 0
		.amdhsa_shared_vgpr_count 0
		.amdhsa_exception_fp_ieee_invalid_op 0
		.amdhsa_exception_fp_denorm_src 0
		.amdhsa_exception_fp_ieee_div_zero 0
		.amdhsa_exception_fp_ieee_overflow 0
		.amdhsa_exception_fp_ieee_underflow 0
		.amdhsa_exception_fp_ieee_inexact 0
		.amdhsa_exception_int_div_zero 0
	.end_amdhsa_kernel
	.section	.text._ZN7rocprim17ROCPRIM_400000_NS6detail17trampoline_kernelINS0_13select_configILj256ELj13ELNS0_17block_load_methodE3ELS4_3ELS4_3ELNS0_20block_scan_algorithmE0ELj4294967295EEENS1_25partition_config_selectorILNS1_17partition_subalgoE4EjNS0_10empty_typeEbEEZZNS1_14partition_implILS8_4ELb0ES6_15HIP_vector_typeIjLj2EENS0_17counting_iteratorIjlEEPS9_SG_NS0_5tupleIJPjSI_NS0_16reverse_iteratorISI_EEEEENSH_IJSG_SG_SG_EEES9_SI_JZNS1_25segmented_radix_sort_implINS0_14default_configELb0EPKaPaPKlPlN2at6native12_GLOBAL__N_18offset_tEEE10hipError_tPvRmT1_PNSt15iterator_traitsIS12_E10value_typeET2_T3_PNS13_IS18_E10value_typeET4_jRbjT5_S1E_jjP12ihipStream_tbEUljE_ZNSN_ISO_Lb0ESQ_SR_ST_SU_SY_EESZ_S10_S11_S12_S16_S17_S18_S1B_S1C_jS1D_jS1E_S1E_jjS1G_bEUljE0_EEESZ_S10_S11_S18_S1C_S1E_T6_T7_T9_mT8_S1G_bDpT10_ENKUlT_T0_E_clISt17integral_constantIbLb1EES1U_EEDaS1P_S1Q_EUlS1P_E_NS1_11comp_targetILNS1_3genE2ELNS1_11target_archE906ELNS1_3gpuE6ELNS1_3repE0EEENS1_30default_config_static_selectorELNS0_4arch9wavefront6targetE0EEEvS12_,"axG",@progbits,_ZN7rocprim17ROCPRIM_400000_NS6detail17trampoline_kernelINS0_13select_configILj256ELj13ELNS0_17block_load_methodE3ELS4_3ELS4_3ELNS0_20block_scan_algorithmE0ELj4294967295EEENS1_25partition_config_selectorILNS1_17partition_subalgoE4EjNS0_10empty_typeEbEEZZNS1_14partition_implILS8_4ELb0ES6_15HIP_vector_typeIjLj2EENS0_17counting_iteratorIjlEEPS9_SG_NS0_5tupleIJPjSI_NS0_16reverse_iteratorISI_EEEEENSH_IJSG_SG_SG_EEES9_SI_JZNS1_25segmented_radix_sort_implINS0_14default_configELb0EPKaPaPKlPlN2at6native12_GLOBAL__N_18offset_tEEE10hipError_tPvRmT1_PNSt15iterator_traitsIS12_E10value_typeET2_T3_PNS13_IS18_E10value_typeET4_jRbjT5_S1E_jjP12ihipStream_tbEUljE_ZNSN_ISO_Lb0ESQ_SR_ST_SU_SY_EESZ_S10_S11_S12_S16_S17_S18_S1B_S1C_jS1D_jS1E_S1E_jjS1G_bEUljE0_EEESZ_S10_S11_S18_S1C_S1E_T6_T7_T9_mT8_S1G_bDpT10_ENKUlT_T0_E_clISt17integral_constantIbLb1EES1U_EEDaS1P_S1Q_EUlS1P_E_NS1_11comp_targetILNS1_3genE2ELNS1_11target_archE906ELNS1_3gpuE6ELNS1_3repE0EEENS1_30default_config_static_selectorELNS0_4arch9wavefront6targetE0EEEvS12_,comdat
.Lfunc_end341:
	.size	_ZN7rocprim17ROCPRIM_400000_NS6detail17trampoline_kernelINS0_13select_configILj256ELj13ELNS0_17block_load_methodE3ELS4_3ELS4_3ELNS0_20block_scan_algorithmE0ELj4294967295EEENS1_25partition_config_selectorILNS1_17partition_subalgoE4EjNS0_10empty_typeEbEEZZNS1_14partition_implILS8_4ELb0ES6_15HIP_vector_typeIjLj2EENS0_17counting_iteratorIjlEEPS9_SG_NS0_5tupleIJPjSI_NS0_16reverse_iteratorISI_EEEEENSH_IJSG_SG_SG_EEES9_SI_JZNS1_25segmented_radix_sort_implINS0_14default_configELb0EPKaPaPKlPlN2at6native12_GLOBAL__N_18offset_tEEE10hipError_tPvRmT1_PNSt15iterator_traitsIS12_E10value_typeET2_T3_PNS13_IS18_E10value_typeET4_jRbjT5_S1E_jjP12ihipStream_tbEUljE_ZNSN_ISO_Lb0ESQ_SR_ST_SU_SY_EESZ_S10_S11_S12_S16_S17_S18_S1B_S1C_jS1D_jS1E_S1E_jjS1G_bEUljE0_EEESZ_S10_S11_S18_S1C_S1E_T6_T7_T9_mT8_S1G_bDpT10_ENKUlT_T0_E_clISt17integral_constantIbLb1EES1U_EEDaS1P_S1Q_EUlS1P_E_NS1_11comp_targetILNS1_3genE2ELNS1_11target_archE906ELNS1_3gpuE6ELNS1_3repE0EEENS1_30default_config_static_selectorELNS0_4arch9wavefront6targetE0EEEvS12_, .Lfunc_end341-_ZN7rocprim17ROCPRIM_400000_NS6detail17trampoline_kernelINS0_13select_configILj256ELj13ELNS0_17block_load_methodE3ELS4_3ELS4_3ELNS0_20block_scan_algorithmE0ELj4294967295EEENS1_25partition_config_selectorILNS1_17partition_subalgoE4EjNS0_10empty_typeEbEEZZNS1_14partition_implILS8_4ELb0ES6_15HIP_vector_typeIjLj2EENS0_17counting_iteratorIjlEEPS9_SG_NS0_5tupleIJPjSI_NS0_16reverse_iteratorISI_EEEEENSH_IJSG_SG_SG_EEES9_SI_JZNS1_25segmented_radix_sort_implINS0_14default_configELb0EPKaPaPKlPlN2at6native12_GLOBAL__N_18offset_tEEE10hipError_tPvRmT1_PNSt15iterator_traitsIS12_E10value_typeET2_T3_PNS13_IS18_E10value_typeET4_jRbjT5_S1E_jjP12ihipStream_tbEUljE_ZNSN_ISO_Lb0ESQ_SR_ST_SU_SY_EESZ_S10_S11_S12_S16_S17_S18_S1B_S1C_jS1D_jS1E_S1E_jjS1G_bEUljE0_EEESZ_S10_S11_S18_S1C_S1E_T6_T7_T9_mT8_S1G_bDpT10_ENKUlT_T0_E_clISt17integral_constantIbLb1EES1U_EEDaS1P_S1Q_EUlS1P_E_NS1_11comp_targetILNS1_3genE2ELNS1_11target_archE906ELNS1_3gpuE6ELNS1_3repE0EEENS1_30default_config_static_selectorELNS0_4arch9wavefront6targetE0EEEvS12_
                                        ; -- End function
	.section	.AMDGPU.csdata,"",@progbits
; Kernel info:
; codeLenInByte = 0
; NumSgprs: 0
; NumVgprs: 0
; ScratchSize: 0
; MemoryBound: 0
; FloatMode: 240
; IeeeMode: 1
; LDSByteSize: 0 bytes/workgroup (compile time only)
; SGPRBlocks: 0
; VGPRBlocks: 0
; NumSGPRsForWavesPerEU: 1
; NumVGPRsForWavesPerEU: 1
; Occupancy: 16
; WaveLimiterHint : 0
; COMPUTE_PGM_RSRC2:SCRATCH_EN: 0
; COMPUTE_PGM_RSRC2:USER_SGPR: 15
; COMPUTE_PGM_RSRC2:TRAP_HANDLER: 0
; COMPUTE_PGM_RSRC2:TGID_X_EN: 1
; COMPUTE_PGM_RSRC2:TGID_Y_EN: 0
; COMPUTE_PGM_RSRC2:TGID_Z_EN: 0
; COMPUTE_PGM_RSRC2:TIDIG_COMP_CNT: 0
	.section	.text._ZN7rocprim17ROCPRIM_400000_NS6detail17trampoline_kernelINS0_13select_configILj256ELj13ELNS0_17block_load_methodE3ELS4_3ELS4_3ELNS0_20block_scan_algorithmE0ELj4294967295EEENS1_25partition_config_selectorILNS1_17partition_subalgoE4EjNS0_10empty_typeEbEEZZNS1_14partition_implILS8_4ELb0ES6_15HIP_vector_typeIjLj2EENS0_17counting_iteratorIjlEEPS9_SG_NS0_5tupleIJPjSI_NS0_16reverse_iteratorISI_EEEEENSH_IJSG_SG_SG_EEES9_SI_JZNS1_25segmented_radix_sort_implINS0_14default_configELb0EPKaPaPKlPlN2at6native12_GLOBAL__N_18offset_tEEE10hipError_tPvRmT1_PNSt15iterator_traitsIS12_E10value_typeET2_T3_PNS13_IS18_E10value_typeET4_jRbjT5_S1E_jjP12ihipStream_tbEUljE_ZNSN_ISO_Lb0ESQ_SR_ST_SU_SY_EESZ_S10_S11_S12_S16_S17_S18_S1B_S1C_jS1D_jS1E_S1E_jjS1G_bEUljE0_EEESZ_S10_S11_S18_S1C_S1E_T6_T7_T9_mT8_S1G_bDpT10_ENKUlT_T0_E_clISt17integral_constantIbLb1EES1U_EEDaS1P_S1Q_EUlS1P_E_NS1_11comp_targetILNS1_3genE10ELNS1_11target_archE1200ELNS1_3gpuE4ELNS1_3repE0EEENS1_30default_config_static_selectorELNS0_4arch9wavefront6targetE0EEEvS12_,"axG",@progbits,_ZN7rocprim17ROCPRIM_400000_NS6detail17trampoline_kernelINS0_13select_configILj256ELj13ELNS0_17block_load_methodE3ELS4_3ELS4_3ELNS0_20block_scan_algorithmE0ELj4294967295EEENS1_25partition_config_selectorILNS1_17partition_subalgoE4EjNS0_10empty_typeEbEEZZNS1_14partition_implILS8_4ELb0ES6_15HIP_vector_typeIjLj2EENS0_17counting_iteratorIjlEEPS9_SG_NS0_5tupleIJPjSI_NS0_16reverse_iteratorISI_EEEEENSH_IJSG_SG_SG_EEES9_SI_JZNS1_25segmented_radix_sort_implINS0_14default_configELb0EPKaPaPKlPlN2at6native12_GLOBAL__N_18offset_tEEE10hipError_tPvRmT1_PNSt15iterator_traitsIS12_E10value_typeET2_T3_PNS13_IS18_E10value_typeET4_jRbjT5_S1E_jjP12ihipStream_tbEUljE_ZNSN_ISO_Lb0ESQ_SR_ST_SU_SY_EESZ_S10_S11_S12_S16_S17_S18_S1B_S1C_jS1D_jS1E_S1E_jjS1G_bEUljE0_EEESZ_S10_S11_S18_S1C_S1E_T6_T7_T9_mT8_S1G_bDpT10_ENKUlT_T0_E_clISt17integral_constantIbLb1EES1U_EEDaS1P_S1Q_EUlS1P_E_NS1_11comp_targetILNS1_3genE10ELNS1_11target_archE1200ELNS1_3gpuE4ELNS1_3repE0EEENS1_30default_config_static_selectorELNS0_4arch9wavefront6targetE0EEEvS12_,comdat
	.globl	_ZN7rocprim17ROCPRIM_400000_NS6detail17trampoline_kernelINS0_13select_configILj256ELj13ELNS0_17block_load_methodE3ELS4_3ELS4_3ELNS0_20block_scan_algorithmE0ELj4294967295EEENS1_25partition_config_selectorILNS1_17partition_subalgoE4EjNS0_10empty_typeEbEEZZNS1_14partition_implILS8_4ELb0ES6_15HIP_vector_typeIjLj2EENS0_17counting_iteratorIjlEEPS9_SG_NS0_5tupleIJPjSI_NS0_16reverse_iteratorISI_EEEEENSH_IJSG_SG_SG_EEES9_SI_JZNS1_25segmented_radix_sort_implINS0_14default_configELb0EPKaPaPKlPlN2at6native12_GLOBAL__N_18offset_tEEE10hipError_tPvRmT1_PNSt15iterator_traitsIS12_E10value_typeET2_T3_PNS13_IS18_E10value_typeET4_jRbjT5_S1E_jjP12ihipStream_tbEUljE_ZNSN_ISO_Lb0ESQ_SR_ST_SU_SY_EESZ_S10_S11_S12_S16_S17_S18_S1B_S1C_jS1D_jS1E_S1E_jjS1G_bEUljE0_EEESZ_S10_S11_S18_S1C_S1E_T6_T7_T9_mT8_S1G_bDpT10_ENKUlT_T0_E_clISt17integral_constantIbLb1EES1U_EEDaS1P_S1Q_EUlS1P_E_NS1_11comp_targetILNS1_3genE10ELNS1_11target_archE1200ELNS1_3gpuE4ELNS1_3repE0EEENS1_30default_config_static_selectorELNS0_4arch9wavefront6targetE0EEEvS12_ ; -- Begin function _ZN7rocprim17ROCPRIM_400000_NS6detail17trampoline_kernelINS0_13select_configILj256ELj13ELNS0_17block_load_methodE3ELS4_3ELS4_3ELNS0_20block_scan_algorithmE0ELj4294967295EEENS1_25partition_config_selectorILNS1_17partition_subalgoE4EjNS0_10empty_typeEbEEZZNS1_14partition_implILS8_4ELb0ES6_15HIP_vector_typeIjLj2EENS0_17counting_iteratorIjlEEPS9_SG_NS0_5tupleIJPjSI_NS0_16reverse_iteratorISI_EEEEENSH_IJSG_SG_SG_EEES9_SI_JZNS1_25segmented_radix_sort_implINS0_14default_configELb0EPKaPaPKlPlN2at6native12_GLOBAL__N_18offset_tEEE10hipError_tPvRmT1_PNSt15iterator_traitsIS12_E10value_typeET2_T3_PNS13_IS18_E10value_typeET4_jRbjT5_S1E_jjP12ihipStream_tbEUljE_ZNSN_ISO_Lb0ESQ_SR_ST_SU_SY_EESZ_S10_S11_S12_S16_S17_S18_S1B_S1C_jS1D_jS1E_S1E_jjS1G_bEUljE0_EEESZ_S10_S11_S18_S1C_S1E_T6_T7_T9_mT8_S1G_bDpT10_ENKUlT_T0_E_clISt17integral_constantIbLb1EES1U_EEDaS1P_S1Q_EUlS1P_E_NS1_11comp_targetILNS1_3genE10ELNS1_11target_archE1200ELNS1_3gpuE4ELNS1_3repE0EEENS1_30default_config_static_selectorELNS0_4arch9wavefront6targetE0EEEvS12_
	.p2align	8
	.type	_ZN7rocprim17ROCPRIM_400000_NS6detail17trampoline_kernelINS0_13select_configILj256ELj13ELNS0_17block_load_methodE3ELS4_3ELS4_3ELNS0_20block_scan_algorithmE0ELj4294967295EEENS1_25partition_config_selectorILNS1_17partition_subalgoE4EjNS0_10empty_typeEbEEZZNS1_14partition_implILS8_4ELb0ES6_15HIP_vector_typeIjLj2EENS0_17counting_iteratorIjlEEPS9_SG_NS0_5tupleIJPjSI_NS0_16reverse_iteratorISI_EEEEENSH_IJSG_SG_SG_EEES9_SI_JZNS1_25segmented_radix_sort_implINS0_14default_configELb0EPKaPaPKlPlN2at6native12_GLOBAL__N_18offset_tEEE10hipError_tPvRmT1_PNSt15iterator_traitsIS12_E10value_typeET2_T3_PNS13_IS18_E10value_typeET4_jRbjT5_S1E_jjP12ihipStream_tbEUljE_ZNSN_ISO_Lb0ESQ_SR_ST_SU_SY_EESZ_S10_S11_S12_S16_S17_S18_S1B_S1C_jS1D_jS1E_S1E_jjS1G_bEUljE0_EEESZ_S10_S11_S18_S1C_S1E_T6_T7_T9_mT8_S1G_bDpT10_ENKUlT_T0_E_clISt17integral_constantIbLb1EES1U_EEDaS1P_S1Q_EUlS1P_E_NS1_11comp_targetILNS1_3genE10ELNS1_11target_archE1200ELNS1_3gpuE4ELNS1_3repE0EEENS1_30default_config_static_selectorELNS0_4arch9wavefront6targetE0EEEvS12_,@function
_ZN7rocprim17ROCPRIM_400000_NS6detail17trampoline_kernelINS0_13select_configILj256ELj13ELNS0_17block_load_methodE3ELS4_3ELS4_3ELNS0_20block_scan_algorithmE0ELj4294967295EEENS1_25partition_config_selectorILNS1_17partition_subalgoE4EjNS0_10empty_typeEbEEZZNS1_14partition_implILS8_4ELb0ES6_15HIP_vector_typeIjLj2EENS0_17counting_iteratorIjlEEPS9_SG_NS0_5tupleIJPjSI_NS0_16reverse_iteratorISI_EEEEENSH_IJSG_SG_SG_EEES9_SI_JZNS1_25segmented_radix_sort_implINS0_14default_configELb0EPKaPaPKlPlN2at6native12_GLOBAL__N_18offset_tEEE10hipError_tPvRmT1_PNSt15iterator_traitsIS12_E10value_typeET2_T3_PNS13_IS18_E10value_typeET4_jRbjT5_S1E_jjP12ihipStream_tbEUljE_ZNSN_ISO_Lb0ESQ_SR_ST_SU_SY_EESZ_S10_S11_S12_S16_S17_S18_S1B_S1C_jS1D_jS1E_S1E_jjS1G_bEUljE0_EEESZ_S10_S11_S18_S1C_S1E_T6_T7_T9_mT8_S1G_bDpT10_ENKUlT_T0_E_clISt17integral_constantIbLb1EES1U_EEDaS1P_S1Q_EUlS1P_E_NS1_11comp_targetILNS1_3genE10ELNS1_11target_archE1200ELNS1_3gpuE4ELNS1_3repE0EEENS1_30default_config_static_selectorELNS0_4arch9wavefront6targetE0EEEvS12_: ; @_ZN7rocprim17ROCPRIM_400000_NS6detail17trampoline_kernelINS0_13select_configILj256ELj13ELNS0_17block_load_methodE3ELS4_3ELS4_3ELNS0_20block_scan_algorithmE0ELj4294967295EEENS1_25partition_config_selectorILNS1_17partition_subalgoE4EjNS0_10empty_typeEbEEZZNS1_14partition_implILS8_4ELb0ES6_15HIP_vector_typeIjLj2EENS0_17counting_iteratorIjlEEPS9_SG_NS0_5tupleIJPjSI_NS0_16reverse_iteratorISI_EEEEENSH_IJSG_SG_SG_EEES9_SI_JZNS1_25segmented_radix_sort_implINS0_14default_configELb0EPKaPaPKlPlN2at6native12_GLOBAL__N_18offset_tEEE10hipError_tPvRmT1_PNSt15iterator_traitsIS12_E10value_typeET2_T3_PNS13_IS18_E10value_typeET4_jRbjT5_S1E_jjP12ihipStream_tbEUljE_ZNSN_ISO_Lb0ESQ_SR_ST_SU_SY_EESZ_S10_S11_S12_S16_S17_S18_S1B_S1C_jS1D_jS1E_S1E_jjS1G_bEUljE0_EEESZ_S10_S11_S18_S1C_S1E_T6_T7_T9_mT8_S1G_bDpT10_ENKUlT_T0_E_clISt17integral_constantIbLb1EES1U_EEDaS1P_S1Q_EUlS1P_E_NS1_11comp_targetILNS1_3genE10ELNS1_11target_archE1200ELNS1_3gpuE4ELNS1_3repE0EEENS1_30default_config_static_selectorELNS0_4arch9wavefront6targetE0EEEvS12_
; %bb.0:
	.section	.rodata,"a",@progbits
	.p2align	6, 0x0
	.amdhsa_kernel _ZN7rocprim17ROCPRIM_400000_NS6detail17trampoline_kernelINS0_13select_configILj256ELj13ELNS0_17block_load_methodE3ELS4_3ELS4_3ELNS0_20block_scan_algorithmE0ELj4294967295EEENS1_25partition_config_selectorILNS1_17partition_subalgoE4EjNS0_10empty_typeEbEEZZNS1_14partition_implILS8_4ELb0ES6_15HIP_vector_typeIjLj2EENS0_17counting_iteratorIjlEEPS9_SG_NS0_5tupleIJPjSI_NS0_16reverse_iteratorISI_EEEEENSH_IJSG_SG_SG_EEES9_SI_JZNS1_25segmented_radix_sort_implINS0_14default_configELb0EPKaPaPKlPlN2at6native12_GLOBAL__N_18offset_tEEE10hipError_tPvRmT1_PNSt15iterator_traitsIS12_E10value_typeET2_T3_PNS13_IS18_E10value_typeET4_jRbjT5_S1E_jjP12ihipStream_tbEUljE_ZNSN_ISO_Lb0ESQ_SR_ST_SU_SY_EESZ_S10_S11_S12_S16_S17_S18_S1B_S1C_jS1D_jS1E_S1E_jjS1G_bEUljE0_EEESZ_S10_S11_S18_S1C_S1E_T6_T7_T9_mT8_S1G_bDpT10_ENKUlT_T0_E_clISt17integral_constantIbLb1EES1U_EEDaS1P_S1Q_EUlS1P_E_NS1_11comp_targetILNS1_3genE10ELNS1_11target_archE1200ELNS1_3gpuE4ELNS1_3repE0EEENS1_30default_config_static_selectorELNS0_4arch9wavefront6targetE0EEEvS12_
		.amdhsa_group_segment_fixed_size 0
		.amdhsa_private_segment_fixed_size 0
		.amdhsa_kernarg_size 184
		.amdhsa_user_sgpr_count 15
		.amdhsa_user_sgpr_dispatch_ptr 0
		.amdhsa_user_sgpr_queue_ptr 0
		.amdhsa_user_sgpr_kernarg_segment_ptr 1
		.amdhsa_user_sgpr_dispatch_id 0
		.amdhsa_user_sgpr_private_segment_size 0
		.amdhsa_wavefront_size32 1
		.amdhsa_uses_dynamic_stack 0
		.amdhsa_enable_private_segment 0
		.amdhsa_system_sgpr_workgroup_id_x 1
		.amdhsa_system_sgpr_workgroup_id_y 0
		.amdhsa_system_sgpr_workgroup_id_z 0
		.amdhsa_system_sgpr_workgroup_info 0
		.amdhsa_system_vgpr_workitem_id 0
		.amdhsa_next_free_vgpr 1
		.amdhsa_next_free_sgpr 1
		.amdhsa_reserve_vcc 0
		.amdhsa_float_round_mode_32 0
		.amdhsa_float_round_mode_16_64 0
		.amdhsa_float_denorm_mode_32 3
		.amdhsa_float_denorm_mode_16_64 3
		.amdhsa_dx10_clamp 1
		.amdhsa_ieee_mode 1
		.amdhsa_fp16_overflow 0
		.amdhsa_workgroup_processor_mode 1
		.amdhsa_memory_ordered 1
		.amdhsa_forward_progress 0
		.amdhsa_shared_vgpr_count 0
		.amdhsa_exception_fp_ieee_invalid_op 0
		.amdhsa_exception_fp_denorm_src 0
		.amdhsa_exception_fp_ieee_div_zero 0
		.amdhsa_exception_fp_ieee_overflow 0
		.amdhsa_exception_fp_ieee_underflow 0
		.amdhsa_exception_fp_ieee_inexact 0
		.amdhsa_exception_int_div_zero 0
	.end_amdhsa_kernel
	.section	.text._ZN7rocprim17ROCPRIM_400000_NS6detail17trampoline_kernelINS0_13select_configILj256ELj13ELNS0_17block_load_methodE3ELS4_3ELS4_3ELNS0_20block_scan_algorithmE0ELj4294967295EEENS1_25partition_config_selectorILNS1_17partition_subalgoE4EjNS0_10empty_typeEbEEZZNS1_14partition_implILS8_4ELb0ES6_15HIP_vector_typeIjLj2EENS0_17counting_iteratorIjlEEPS9_SG_NS0_5tupleIJPjSI_NS0_16reverse_iteratorISI_EEEEENSH_IJSG_SG_SG_EEES9_SI_JZNS1_25segmented_radix_sort_implINS0_14default_configELb0EPKaPaPKlPlN2at6native12_GLOBAL__N_18offset_tEEE10hipError_tPvRmT1_PNSt15iterator_traitsIS12_E10value_typeET2_T3_PNS13_IS18_E10value_typeET4_jRbjT5_S1E_jjP12ihipStream_tbEUljE_ZNSN_ISO_Lb0ESQ_SR_ST_SU_SY_EESZ_S10_S11_S12_S16_S17_S18_S1B_S1C_jS1D_jS1E_S1E_jjS1G_bEUljE0_EEESZ_S10_S11_S18_S1C_S1E_T6_T7_T9_mT8_S1G_bDpT10_ENKUlT_T0_E_clISt17integral_constantIbLb1EES1U_EEDaS1P_S1Q_EUlS1P_E_NS1_11comp_targetILNS1_3genE10ELNS1_11target_archE1200ELNS1_3gpuE4ELNS1_3repE0EEENS1_30default_config_static_selectorELNS0_4arch9wavefront6targetE0EEEvS12_,"axG",@progbits,_ZN7rocprim17ROCPRIM_400000_NS6detail17trampoline_kernelINS0_13select_configILj256ELj13ELNS0_17block_load_methodE3ELS4_3ELS4_3ELNS0_20block_scan_algorithmE0ELj4294967295EEENS1_25partition_config_selectorILNS1_17partition_subalgoE4EjNS0_10empty_typeEbEEZZNS1_14partition_implILS8_4ELb0ES6_15HIP_vector_typeIjLj2EENS0_17counting_iteratorIjlEEPS9_SG_NS0_5tupleIJPjSI_NS0_16reverse_iteratorISI_EEEEENSH_IJSG_SG_SG_EEES9_SI_JZNS1_25segmented_radix_sort_implINS0_14default_configELb0EPKaPaPKlPlN2at6native12_GLOBAL__N_18offset_tEEE10hipError_tPvRmT1_PNSt15iterator_traitsIS12_E10value_typeET2_T3_PNS13_IS18_E10value_typeET4_jRbjT5_S1E_jjP12ihipStream_tbEUljE_ZNSN_ISO_Lb0ESQ_SR_ST_SU_SY_EESZ_S10_S11_S12_S16_S17_S18_S1B_S1C_jS1D_jS1E_S1E_jjS1G_bEUljE0_EEESZ_S10_S11_S18_S1C_S1E_T6_T7_T9_mT8_S1G_bDpT10_ENKUlT_T0_E_clISt17integral_constantIbLb1EES1U_EEDaS1P_S1Q_EUlS1P_E_NS1_11comp_targetILNS1_3genE10ELNS1_11target_archE1200ELNS1_3gpuE4ELNS1_3repE0EEENS1_30default_config_static_selectorELNS0_4arch9wavefront6targetE0EEEvS12_,comdat
.Lfunc_end342:
	.size	_ZN7rocprim17ROCPRIM_400000_NS6detail17trampoline_kernelINS0_13select_configILj256ELj13ELNS0_17block_load_methodE3ELS4_3ELS4_3ELNS0_20block_scan_algorithmE0ELj4294967295EEENS1_25partition_config_selectorILNS1_17partition_subalgoE4EjNS0_10empty_typeEbEEZZNS1_14partition_implILS8_4ELb0ES6_15HIP_vector_typeIjLj2EENS0_17counting_iteratorIjlEEPS9_SG_NS0_5tupleIJPjSI_NS0_16reverse_iteratorISI_EEEEENSH_IJSG_SG_SG_EEES9_SI_JZNS1_25segmented_radix_sort_implINS0_14default_configELb0EPKaPaPKlPlN2at6native12_GLOBAL__N_18offset_tEEE10hipError_tPvRmT1_PNSt15iterator_traitsIS12_E10value_typeET2_T3_PNS13_IS18_E10value_typeET4_jRbjT5_S1E_jjP12ihipStream_tbEUljE_ZNSN_ISO_Lb0ESQ_SR_ST_SU_SY_EESZ_S10_S11_S12_S16_S17_S18_S1B_S1C_jS1D_jS1E_S1E_jjS1G_bEUljE0_EEESZ_S10_S11_S18_S1C_S1E_T6_T7_T9_mT8_S1G_bDpT10_ENKUlT_T0_E_clISt17integral_constantIbLb1EES1U_EEDaS1P_S1Q_EUlS1P_E_NS1_11comp_targetILNS1_3genE10ELNS1_11target_archE1200ELNS1_3gpuE4ELNS1_3repE0EEENS1_30default_config_static_selectorELNS0_4arch9wavefront6targetE0EEEvS12_, .Lfunc_end342-_ZN7rocprim17ROCPRIM_400000_NS6detail17trampoline_kernelINS0_13select_configILj256ELj13ELNS0_17block_load_methodE3ELS4_3ELS4_3ELNS0_20block_scan_algorithmE0ELj4294967295EEENS1_25partition_config_selectorILNS1_17partition_subalgoE4EjNS0_10empty_typeEbEEZZNS1_14partition_implILS8_4ELb0ES6_15HIP_vector_typeIjLj2EENS0_17counting_iteratorIjlEEPS9_SG_NS0_5tupleIJPjSI_NS0_16reverse_iteratorISI_EEEEENSH_IJSG_SG_SG_EEES9_SI_JZNS1_25segmented_radix_sort_implINS0_14default_configELb0EPKaPaPKlPlN2at6native12_GLOBAL__N_18offset_tEEE10hipError_tPvRmT1_PNSt15iterator_traitsIS12_E10value_typeET2_T3_PNS13_IS18_E10value_typeET4_jRbjT5_S1E_jjP12ihipStream_tbEUljE_ZNSN_ISO_Lb0ESQ_SR_ST_SU_SY_EESZ_S10_S11_S12_S16_S17_S18_S1B_S1C_jS1D_jS1E_S1E_jjS1G_bEUljE0_EEESZ_S10_S11_S18_S1C_S1E_T6_T7_T9_mT8_S1G_bDpT10_ENKUlT_T0_E_clISt17integral_constantIbLb1EES1U_EEDaS1P_S1Q_EUlS1P_E_NS1_11comp_targetILNS1_3genE10ELNS1_11target_archE1200ELNS1_3gpuE4ELNS1_3repE0EEENS1_30default_config_static_selectorELNS0_4arch9wavefront6targetE0EEEvS12_
                                        ; -- End function
	.section	.AMDGPU.csdata,"",@progbits
; Kernel info:
; codeLenInByte = 0
; NumSgprs: 0
; NumVgprs: 0
; ScratchSize: 0
; MemoryBound: 0
; FloatMode: 240
; IeeeMode: 1
; LDSByteSize: 0 bytes/workgroup (compile time only)
; SGPRBlocks: 0
; VGPRBlocks: 0
; NumSGPRsForWavesPerEU: 1
; NumVGPRsForWavesPerEU: 1
; Occupancy: 16
; WaveLimiterHint : 0
; COMPUTE_PGM_RSRC2:SCRATCH_EN: 0
; COMPUTE_PGM_RSRC2:USER_SGPR: 15
; COMPUTE_PGM_RSRC2:TRAP_HANDLER: 0
; COMPUTE_PGM_RSRC2:TGID_X_EN: 1
; COMPUTE_PGM_RSRC2:TGID_Y_EN: 0
; COMPUTE_PGM_RSRC2:TGID_Z_EN: 0
; COMPUTE_PGM_RSRC2:TIDIG_COMP_CNT: 0
	.section	.text._ZN7rocprim17ROCPRIM_400000_NS6detail17trampoline_kernelINS0_13select_configILj256ELj13ELNS0_17block_load_methodE3ELS4_3ELS4_3ELNS0_20block_scan_algorithmE0ELj4294967295EEENS1_25partition_config_selectorILNS1_17partition_subalgoE4EjNS0_10empty_typeEbEEZZNS1_14partition_implILS8_4ELb0ES6_15HIP_vector_typeIjLj2EENS0_17counting_iteratorIjlEEPS9_SG_NS0_5tupleIJPjSI_NS0_16reverse_iteratorISI_EEEEENSH_IJSG_SG_SG_EEES9_SI_JZNS1_25segmented_radix_sort_implINS0_14default_configELb0EPKaPaPKlPlN2at6native12_GLOBAL__N_18offset_tEEE10hipError_tPvRmT1_PNSt15iterator_traitsIS12_E10value_typeET2_T3_PNS13_IS18_E10value_typeET4_jRbjT5_S1E_jjP12ihipStream_tbEUljE_ZNSN_ISO_Lb0ESQ_SR_ST_SU_SY_EESZ_S10_S11_S12_S16_S17_S18_S1B_S1C_jS1D_jS1E_S1E_jjS1G_bEUljE0_EEESZ_S10_S11_S18_S1C_S1E_T6_T7_T9_mT8_S1G_bDpT10_ENKUlT_T0_E_clISt17integral_constantIbLb1EES1U_EEDaS1P_S1Q_EUlS1P_E_NS1_11comp_targetILNS1_3genE9ELNS1_11target_archE1100ELNS1_3gpuE3ELNS1_3repE0EEENS1_30default_config_static_selectorELNS0_4arch9wavefront6targetE0EEEvS12_,"axG",@progbits,_ZN7rocprim17ROCPRIM_400000_NS6detail17trampoline_kernelINS0_13select_configILj256ELj13ELNS0_17block_load_methodE3ELS4_3ELS4_3ELNS0_20block_scan_algorithmE0ELj4294967295EEENS1_25partition_config_selectorILNS1_17partition_subalgoE4EjNS0_10empty_typeEbEEZZNS1_14partition_implILS8_4ELb0ES6_15HIP_vector_typeIjLj2EENS0_17counting_iteratorIjlEEPS9_SG_NS0_5tupleIJPjSI_NS0_16reverse_iteratorISI_EEEEENSH_IJSG_SG_SG_EEES9_SI_JZNS1_25segmented_radix_sort_implINS0_14default_configELb0EPKaPaPKlPlN2at6native12_GLOBAL__N_18offset_tEEE10hipError_tPvRmT1_PNSt15iterator_traitsIS12_E10value_typeET2_T3_PNS13_IS18_E10value_typeET4_jRbjT5_S1E_jjP12ihipStream_tbEUljE_ZNSN_ISO_Lb0ESQ_SR_ST_SU_SY_EESZ_S10_S11_S12_S16_S17_S18_S1B_S1C_jS1D_jS1E_S1E_jjS1G_bEUljE0_EEESZ_S10_S11_S18_S1C_S1E_T6_T7_T9_mT8_S1G_bDpT10_ENKUlT_T0_E_clISt17integral_constantIbLb1EES1U_EEDaS1P_S1Q_EUlS1P_E_NS1_11comp_targetILNS1_3genE9ELNS1_11target_archE1100ELNS1_3gpuE3ELNS1_3repE0EEENS1_30default_config_static_selectorELNS0_4arch9wavefront6targetE0EEEvS12_,comdat
	.globl	_ZN7rocprim17ROCPRIM_400000_NS6detail17trampoline_kernelINS0_13select_configILj256ELj13ELNS0_17block_load_methodE3ELS4_3ELS4_3ELNS0_20block_scan_algorithmE0ELj4294967295EEENS1_25partition_config_selectorILNS1_17partition_subalgoE4EjNS0_10empty_typeEbEEZZNS1_14partition_implILS8_4ELb0ES6_15HIP_vector_typeIjLj2EENS0_17counting_iteratorIjlEEPS9_SG_NS0_5tupleIJPjSI_NS0_16reverse_iteratorISI_EEEEENSH_IJSG_SG_SG_EEES9_SI_JZNS1_25segmented_radix_sort_implINS0_14default_configELb0EPKaPaPKlPlN2at6native12_GLOBAL__N_18offset_tEEE10hipError_tPvRmT1_PNSt15iterator_traitsIS12_E10value_typeET2_T3_PNS13_IS18_E10value_typeET4_jRbjT5_S1E_jjP12ihipStream_tbEUljE_ZNSN_ISO_Lb0ESQ_SR_ST_SU_SY_EESZ_S10_S11_S12_S16_S17_S18_S1B_S1C_jS1D_jS1E_S1E_jjS1G_bEUljE0_EEESZ_S10_S11_S18_S1C_S1E_T6_T7_T9_mT8_S1G_bDpT10_ENKUlT_T0_E_clISt17integral_constantIbLb1EES1U_EEDaS1P_S1Q_EUlS1P_E_NS1_11comp_targetILNS1_3genE9ELNS1_11target_archE1100ELNS1_3gpuE3ELNS1_3repE0EEENS1_30default_config_static_selectorELNS0_4arch9wavefront6targetE0EEEvS12_ ; -- Begin function _ZN7rocprim17ROCPRIM_400000_NS6detail17trampoline_kernelINS0_13select_configILj256ELj13ELNS0_17block_load_methodE3ELS4_3ELS4_3ELNS0_20block_scan_algorithmE0ELj4294967295EEENS1_25partition_config_selectorILNS1_17partition_subalgoE4EjNS0_10empty_typeEbEEZZNS1_14partition_implILS8_4ELb0ES6_15HIP_vector_typeIjLj2EENS0_17counting_iteratorIjlEEPS9_SG_NS0_5tupleIJPjSI_NS0_16reverse_iteratorISI_EEEEENSH_IJSG_SG_SG_EEES9_SI_JZNS1_25segmented_radix_sort_implINS0_14default_configELb0EPKaPaPKlPlN2at6native12_GLOBAL__N_18offset_tEEE10hipError_tPvRmT1_PNSt15iterator_traitsIS12_E10value_typeET2_T3_PNS13_IS18_E10value_typeET4_jRbjT5_S1E_jjP12ihipStream_tbEUljE_ZNSN_ISO_Lb0ESQ_SR_ST_SU_SY_EESZ_S10_S11_S12_S16_S17_S18_S1B_S1C_jS1D_jS1E_S1E_jjS1G_bEUljE0_EEESZ_S10_S11_S18_S1C_S1E_T6_T7_T9_mT8_S1G_bDpT10_ENKUlT_T0_E_clISt17integral_constantIbLb1EES1U_EEDaS1P_S1Q_EUlS1P_E_NS1_11comp_targetILNS1_3genE9ELNS1_11target_archE1100ELNS1_3gpuE3ELNS1_3repE0EEENS1_30default_config_static_selectorELNS0_4arch9wavefront6targetE0EEEvS12_
	.p2align	8
	.type	_ZN7rocprim17ROCPRIM_400000_NS6detail17trampoline_kernelINS0_13select_configILj256ELj13ELNS0_17block_load_methodE3ELS4_3ELS4_3ELNS0_20block_scan_algorithmE0ELj4294967295EEENS1_25partition_config_selectorILNS1_17partition_subalgoE4EjNS0_10empty_typeEbEEZZNS1_14partition_implILS8_4ELb0ES6_15HIP_vector_typeIjLj2EENS0_17counting_iteratorIjlEEPS9_SG_NS0_5tupleIJPjSI_NS0_16reverse_iteratorISI_EEEEENSH_IJSG_SG_SG_EEES9_SI_JZNS1_25segmented_radix_sort_implINS0_14default_configELb0EPKaPaPKlPlN2at6native12_GLOBAL__N_18offset_tEEE10hipError_tPvRmT1_PNSt15iterator_traitsIS12_E10value_typeET2_T3_PNS13_IS18_E10value_typeET4_jRbjT5_S1E_jjP12ihipStream_tbEUljE_ZNSN_ISO_Lb0ESQ_SR_ST_SU_SY_EESZ_S10_S11_S12_S16_S17_S18_S1B_S1C_jS1D_jS1E_S1E_jjS1G_bEUljE0_EEESZ_S10_S11_S18_S1C_S1E_T6_T7_T9_mT8_S1G_bDpT10_ENKUlT_T0_E_clISt17integral_constantIbLb1EES1U_EEDaS1P_S1Q_EUlS1P_E_NS1_11comp_targetILNS1_3genE9ELNS1_11target_archE1100ELNS1_3gpuE3ELNS1_3repE0EEENS1_30default_config_static_selectorELNS0_4arch9wavefront6targetE0EEEvS12_,@function
_ZN7rocprim17ROCPRIM_400000_NS6detail17trampoline_kernelINS0_13select_configILj256ELj13ELNS0_17block_load_methodE3ELS4_3ELS4_3ELNS0_20block_scan_algorithmE0ELj4294967295EEENS1_25partition_config_selectorILNS1_17partition_subalgoE4EjNS0_10empty_typeEbEEZZNS1_14partition_implILS8_4ELb0ES6_15HIP_vector_typeIjLj2EENS0_17counting_iteratorIjlEEPS9_SG_NS0_5tupleIJPjSI_NS0_16reverse_iteratorISI_EEEEENSH_IJSG_SG_SG_EEES9_SI_JZNS1_25segmented_radix_sort_implINS0_14default_configELb0EPKaPaPKlPlN2at6native12_GLOBAL__N_18offset_tEEE10hipError_tPvRmT1_PNSt15iterator_traitsIS12_E10value_typeET2_T3_PNS13_IS18_E10value_typeET4_jRbjT5_S1E_jjP12ihipStream_tbEUljE_ZNSN_ISO_Lb0ESQ_SR_ST_SU_SY_EESZ_S10_S11_S12_S16_S17_S18_S1B_S1C_jS1D_jS1E_S1E_jjS1G_bEUljE0_EEESZ_S10_S11_S18_S1C_S1E_T6_T7_T9_mT8_S1G_bDpT10_ENKUlT_T0_E_clISt17integral_constantIbLb1EES1U_EEDaS1P_S1Q_EUlS1P_E_NS1_11comp_targetILNS1_3genE9ELNS1_11target_archE1100ELNS1_3gpuE3ELNS1_3repE0EEENS1_30default_config_static_selectorELNS0_4arch9wavefront6targetE0EEEvS12_: ; @_ZN7rocprim17ROCPRIM_400000_NS6detail17trampoline_kernelINS0_13select_configILj256ELj13ELNS0_17block_load_methodE3ELS4_3ELS4_3ELNS0_20block_scan_algorithmE0ELj4294967295EEENS1_25partition_config_selectorILNS1_17partition_subalgoE4EjNS0_10empty_typeEbEEZZNS1_14partition_implILS8_4ELb0ES6_15HIP_vector_typeIjLj2EENS0_17counting_iteratorIjlEEPS9_SG_NS0_5tupleIJPjSI_NS0_16reverse_iteratorISI_EEEEENSH_IJSG_SG_SG_EEES9_SI_JZNS1_25segmented_radix_sort_implINS0_14default_configELb0EPKaPaPKlPlN2at6native12_GLOBAL__N_18offset_tEEE10hipError_tPvRmT1_PNSt15iterator_traitsIS12_E10value_typeET2_T3_PNS13_IS18_E10value_typeET4_jRbjT5_S1E_jjP12ihipStream_tbEUljE_ZNSN_ISO_Lb0ESQ_SR_ST_SU_SY_EESZ_S10_S11_S12_S16_S17_S18_S1B_S1C_jS1D_jS1E_S1E_jjS1G_bEUljE0_EEESZ_S10_S11_S18_S1C_S1E_T6_T7_T9_mT8_S1G_bDpT10_ENKUlT_T0_E_clISt17integral_constantIbLb1EES1U_EEDaS1P_S1Q_EUlS1P_E_NS1_11comp_targetILNS1_3genE9ELNS1_11target_archE1100ELNS1_3gpuE3ELNS1_3repE0EEENS1_30default_config_static_selectorELNS0_4arch9wavefront6targetE0EEEvS12_
; %bb.0:
	s_clause 0x7
	s_load_b64 s[34:35], s[0:1], 0x10
	s_load_b128 s[28:31], s[0:1], 0x28
	s_load_b64 s[14:15], s[0:1], 0x38
	s_load_b128 s[24:27], s[0:1], 0x58
	s_load_b64 s[4:5], s[0:1], 0x68
	s_load_b64 s[36:37], s[0:1], 0x78
	;; [unrolled: 1-line block ×3, first 2 shown]
	s_load_b256 s[16:23], s[0:1], 0x90
	v_cmp_eq_u32_e64 s2, 0, v0
	s_delay_alu instid0(VALU_DEP_1)
	s_and_saveexec_b32 s3, s2
	s_cbranch_execz .LBB343_4
; %bb.1:
	s_mov_b32 s7, exec_lo
	s_mov_b32 s6, exec_lo
	v_mbcnt_lo_u32_b32 v1, s7, 0
                                        ; implicit-def: $vgpr2
	s_delay_alu instid0(VALU_DEP_1)
	v_cmpx_eq_u32_e32 0, v1
	s_cbranch_execz .LBB343_3
; %bb.2:
	s_load_b64 s[8:9], s[0:1], 0x88
	s_bcnt1_i32_b32 s7, s7
	s_delay_alu instid0(SALU_CYCLE_1)
	v_dual_mov_b32 v2, 0 :: v_dual_mov_b32 v3, s7
	s_waitcnt lgkmcnt(0)
	global_atomic_add_u32 v2, v2, v3, s[8:9] glc
.LBB343_3:
	s_or_b32 exec_lo, exec_lo, s6
	s_waitcnt vmcnt(0)
	v_readfirstlane_b32 s6, v2
	s_delay_alu instid0(VALU_DEP_1)
	v_dual_mov_b32 v2, 0 :: v_dual_add_nc_u32 v1, s6, v1
	ds_store_b32 v2, v1
.LBB343_4:
	s_or_b32 exec_lo, exec_lo, s3
	v_mov_b32_e32 v1, 0
	s_clause 0x1
	s_load_b32 s3, s[0:1], 0x8
	s_load_b32 s0, s[0:1], 0x80
	s_waitcnt lgkmcnt(0)
	s_barrier
	buffer_gl0_inv
	ds_load_b32 v5, v1
	s_waitcnt lgkmcnt(0)
	s_barrier
	buffer_gl0_inv
	global_load_b128 v[1:4], v1, s[26:27]
	s_add_i32 s3, s3, s34
	s_mul_i32 s1, s0, 0xd00
	s_add_i32 s0, s0, -1
	s_add_u32 s6, s34, s1
	s_addc_u32 s7, s35, 0
	v_mul_lo_u32 v30, 0xd00, v5
	v_readfirstlane_b32 s26, v5
	v_cmp_lt_u64_e64 s5, s[6:7], s[4:5]
	v_cmp_ne_u32_e32 vcc_lo, s0, v5
	s_delay_alu instid0(VALU_DEP_3) | instskip(SKIP_1) | instid1(VALU_DEP_4)
	s_cmp_eq_u32 s26, s0
	s_cselect_b32 s13, -1, 0
	v_add3_u32 v5, v30, s3, v0
	s_delay_alu instid0(VALU_DEP_3) | instskip(SKIP_2) | instid1(VALU_DEP_1)
	s_or_b32 s0, s5, vcc_lo
	s_mov_b32 s3, -1
	s_and_b32 vcc_lo, exec_lo, s0
	v_add_nc_u32_e32 v6, 0x100, v5
	v_add_nc_u32_e32 v7, 0x200, v5
	;; [unrolled: 1-line block ×12, first 2 shown]
	s_cbranch_vccz .LBB343_6
; %bb.5:
	v_lshlrev_b32_e32 v18, 2, v0
	s_mov_b32 s3, 0
	ds_store_2addr_stride64_b32 v18, v5, v6 offset1:4
	ds_store_2addr_stride64_b32 v18, v7, v8 offset0:8 offset1:12
	ds_store_2addr_stride64_b32 v18, v9, v10 offset0:16 offset1:20
	;; [unrolled: 1-line block ×5, first 2 shown]
	ds_store_b32 v18, v17 offset:12288
	s_waitcnt vmcnt(0) lgkmcnt(0)
	s_barrier
.LBB343_6:
	s_and_not1_b32 vcc_lo, exec_lo, s3
	s_add_i32 s1, s1, s34
	s_cbranch_vccnz .LBB343_8
; %bb.7:
	v_lshlrev_b32_e32 v18, 2, v0
	ds_store_2addr_stride64_b32 v18, v5, v6 offset1:4
	ds_store_2addr_stride64_b32 v18, v7, v8 offset0:8 offset1:12
	ds_store_2addr_stride64_b32 v18, v9, v10 offset0:16 offset1:20
	ds_store_2addr_stride64_b32 v18, v11, v12 offset0:24 offset1:28
	ds_store_2addr_stride64_b32 v18, v13, v14 offset0:32 offset1:36
	ds_store_2addr_stride64_b32 v18, v15, v16 offset0:40 offset1:44
	ds_store_b32 v18, v17 offset:12288
	s_waitcnt vmcnt(0) lgkmcnt(0)
	s_barrier
.LBB343_8:
	v_mul_u32_u24_e32 v33, 13, v0
	s_waitcnt vmcnt(0)
	buffer_gl0_inv
	v_cndmask_b32_e64 v31, 0, 1, s0
	s_sub_i32 s40, s4, s1
	s_and_not1_b32 vcc_lo, exec_lo, s0
	v_lshlrev_b32_e32 v5, 2, v33
	ds_load_2addr_b32 v[20:21], v5 offset1:1
	ds_load_2addr_b32 v[18:19], v5 offset0:2 offset1:3
	ds_load_2addr_b32 v[16:17], v5 offset0:4 offset1:5
	;; [unrolled: 1-line block ×5, first 2 shown]
	ds_load_b32 v32, v5 offset:48
	s_waitcnt lgkmcnt(0)
	s_barrier
	buffer_gl0_inv
	s_cbranch_vccnz .LBB343_36
; %bb.9:
	v_add_nc_u32_e32 v5, s17, v20
	v_add_nc_u32_e32 v6, s19, v20
	s_mov_b32 s42, 0
	s_mov_b32 s41, 0
	s_mov_b32 s1, exec_lo
	v_mul_lo_u32 v5, v5, s16
	v_mul_lo_u32 v6, v6, s18
	s_delay_alu instid0(VALU_DEP_1) | instskip(NEXT) | instid1(VALU_DEP_1)
	v_sub_nc_u32_e32 v5, v5, v6
	v_cmp_lt_u32_e32 vcc_lo, s20, v5
	v_cmpx_ge_u32_e64 s20, v5
; %bb.10:
	v_add_nc_u32_e32 v5, s22, v20
	v_add_nc_u32_e32 v6, s38, v20
	s_delay_alu instid0(VALU_DEP_2) | instskip(NEXT) | instid1(VALU_DEP_2)
	v_mul_lo_u32 v5, v5, s21
	v_mul_lo_u32 v6, v6, s23
	s_delay_alu instid0(VALU_DEP_1) | instskip(NEXT) | instid1(VALU_DEP_1)
	v_sub_nc_u32_e32 v5, v5, v6
	v_cmp_lt_u32_e64 s0, s39, v5
	s_delay_alu instid0(VALU_DEP_1)
	s_and_b32 s41, s0, exec_lo
; %bb.11:
	s_or_b32 exec_lo, exec_lo, s1
	v_add_nc_u32_e32 v5, s17, v21
	v_add_nc_u32_e32 v6, s19, v21
	s_mov_b32 s3, exec_lo
	s_delay_alu instid0(VALU_DEP_2) | instskip(NEXT) | instid1(VALU_DEP_2)
	v_mul_lo_u32 v5, v5, s16
	v_mul_lo_u32 v6, v6, s18
	s_delay_alu instid0(VALU_DEP_1) | instskip(NEXT) | instid1(VALU_DEP_1)
	v_sub_nc_u32_e32 v5, v5, v6
	v_cmp_lt_u32_e64 s0, s20, v5
	v_cmpx_ge_u32_e64 s20, v5
; %bb.12:
	v_add_nc_u32_e32 v5, s22, v21
	v_add_nc_u32_e32 v6, s38, v21
	s_delay_alu instid0(VALU_DEP_2) | instskip(NEXT) | instid1(VALU_DEP_2)
	v_mul_lo_u32 v5, v5, s21
	v_mul_lo_u32 v6, v6, s23
	s_delay_alu instid0(VALU_DEP_1) | instskip(NEXT) | instid1(VALU_DEP_1)
	v_sub_nc_u32_e32 v5, v5, v6
	v_cmp_lt_u32_e64 s1, s39, v5
	s_delay_alu instid0(VALU_DEP_1)
	s_and_b32 s42, s1, exec_lo
; %bb.13:
	s_or_b32 exec_lo, exec_lo, s3
	v_add_nc_u32_e32 v5, s17, v18
	v_add_nc_u32_e32 v6, s19, v18
	s_mov_b32 s44, 0
	s_mov_b32 s43, 0
	s_mov_b32 s4, exec_lo
	v_mul_lo_u32 v5, v5, s16
	v_mul_lo_u32 v6, v6, s18
	s_delay_alu instid0(VALU_DEP_1) | instskip(NEXT) | instid1(VALU_DEP_1)
	v_sub_nc_u32_e32 v5, v5, v6
	v_cmp_lt_u32_e64 s1, s20, v5
	v_cmpx_ge_u32_e64 s20, v5
; %bb.14:
	v_add_nc_u32_e32 v5, s22, v18
	v_add_nc_u32_e32 v6, s38, v18
	s_delay_alu instid0(VALU_DEP_2) | instskip(NEXT) | instid1(VALU_DEP_2)
	v_mul_lo_u32 v5, v5, s21
	v_mul_lo_u32 v6, v6, s23
	s_delay_alu instid0(VALU_DEP_1) | instskip(NEXT) | instid1(VALU_DEP_1)
	v_sub_nc_u32_e32 v5, v5, v6
	v_cmp_lt_u32_e64 s3, s39, v5
	s_delay_alu instid0(VALU_DEP_1)
	s_and_b32 s43, s3, exec_lo
; %bb.15:
	s_or_b32 exec_lo, exec_lo, s4
	v_add_nc_u32_e32 v5, s17, v19
	v_add_nc_u32_e32 v6, s19, v19
	s_mov_b32 s5, exec_lo
	s_delay_alu instid0(VALU_DEP_2) | instskip(NEXT) | instid1(VALU_DEP_2)
	v_mul_lo_u32 v5, v5, s16
	v_mul_lo_u32 v6, v6, s18
	s_delay_alu instid0(VALU_DEP_1) | instskip(NEXT) | instid1(VALU_DEP_1)
	v_sub_nc_u32_e32 v5, v5, v6
	v_cmp_lt_u32_e64 s3, s20, v5
	v_cmpx_ge_u32_e64 s20, v5
; %bb.16:
	v_add_nc_u32_e32 v5, s22, v19
	v_add_nc_u32_e32 v6, s38, v19
	s_delay_alu instid0(VALU_DEP_2) | instskip(NEXT) | instid1(VALU_DEP_2)
	v_mul_lo_u32 v5, v5, s21
	v_mul_lo_u32 v6, v6, s23
	s_delay_alu instid0(VALU_DEP_1) | instskip(NEXT) | instid1(VALU_DEP_1)
	v_sub_nc_u32_e32 v5, v5, v6
	v_cmp_lt_u32_e64 s4, s39, v5
	s_delay_alu instid0(VALU_DEP_1)
	s_and_b32 s44, s4, exec_lo
; %bb.17:
	s_or_b32 exec_lo, exec_lo, s5
	v_add_nc_u32_e32 v5, s17, v16
	v_add_nc_u32_e32 v6, s19, v16
	s_mov_b32 s46, 0
	s_mov_b32 s45, 0
	s_mov_b32 s6, exec_lo
	v_mul_lo_u32 v5, v5, s16
	v_mul_lo_u32 v6, v6, s18
	s_delay_alu instid0(VALU_DEP_1) | instskip(NEXT) | instid1(VALU_DEP_1)
	v_sub_nc_u32_e32 v5, v5, v6
	v_cmp_lt_u32_e64 s4, s20, v5
	v_cmpx_ge_u32_e64 s20, v5
; %bb.18:
	v_add_nc_u32_e32 v5, s22, v16
	v_add_nc_u32_e32 v6, s38, v16
	s_delay_alu instid0(VALU_DEP_2) | instskip(NEXT) | instid1(VALU_DEP_2)
	v_mul_lo_u32 v5, v5, s21
	v_mul_lo_u32 v6, v6, s23
	s_delay_alu instid0(VALU_DEP_1) | instskip(NEXT) | instid1(VALU_DEP_1)
	v_sub_nc_u32_e32 v5, v5, v6
	v_cmp_lt_u32_e64 s5, s39, v5
	s_delay_alu instid0(VALU_DEP_1)
	s_and_b32 s45, s5, exec_lo
; %bb.19:
	s_or_b32 exec_lo, exec_lo, s6
	v_add_nc_u32_e32 v5, s17, v17
	v_add_nc_u32_e32 v6, s19, v17
	s_mov_b32 s7, exec_lo
	s_delay_alu instid0(VALU_DEP_2) | instskip(NEXT) | instid1(VALU_DEP_2)
	v_mul_lo_u32 v5, v5, s16
	v_mul_lo_u32 v6, v6, s18
	s_delay_alu instid0(VALU_DEP_1) | instskip(NEXT) | instid1(VALU_DEP_1)
	v_sub_nc_u32_e32 v5, v5, v6
	v_cmp_lt_u32_e64 s5, s20, v5
	v_cmpx_ge_u32_e64 s20, v5
; %bb.20:
	v_add_nc_u32_e32 v5, s22, v17
	v_add_nc_u32_e32 v6, s38, v17
	s_delay_alu instid0(VALU_DEP_2) | instskip(NEXT) | instid1(VALU_DEP_2)
	v_mul_lo_u32 v5, v5, s21
	v_mul_lo_u32 v6, v6, s23
	s_delay_alu instid0(VALU_DEP_1) | instskip(NEXT) | instid1(VALU_DEP_1)
	v_sub_nc_u32_e32 v5, v5, v6
	v_cmp_lt_u32_e64 s6, s39, v5
	s_delay_alu instid0(VALU_DEP_1)
	s_and_b32 s46, s6, exec_lo
; %bb.21:
	s_or_b32 exec_lo, exec_lo, s7
	v_add_nc_u32_e32 v5, s17, v14
	v_add_nc_u32_e32 v6, s19, v14
	s_mov_b32 s48, 0
	s_mov_b32 s47, 0
	s_mov_b32 s8, exec_lo
	v_mul_lo_u32 v5, v5, s16
	v_mul_lo_u32 v6, v6, s18
	s_delay_alu instid0(VALU_DEP_1) | instskip(NEXT) | instid1(VALU_DEP_1)
	v_sub_nc_u32_e32 v5, v5, v6
	v_cmp_lt_u32_e64 s6, s20, v5
	v_cmpx_ge_u32_e64 s20, v5
; %bb.22:
	v_add_nc_u32_e32 v5, s22, v14
	v_add_nc_u32_e32 v6, s38, v14
	s_delay_alu instid0(VALU_DEP_2) | instskip(NEXT) | instid1(VALU_DEP_2)
	v_mul_lo_u32 v5, v5, s21
	v_mul_lo_u32 v6, v6, s23
	s_delay_alu instid0(VALU_DEP_1) | instskip(NEXT) | instid1(VALU_DEP_1)
	v_sub_nc_u32_e32 v5, v5, v6
	v_cmp_lt_u32_e64 s7, s39, v5
	s_delay_alu instid0(VALU_DEP_1)
	s_and_b32 s47, s7, exec_lo
; %bb.23:
	s_or_b32 exec_lo, exec_lo, s8
	v_add_nc_u32_e32 v5, s17, v15
	v_add_nc_u32_e32 v6, s19, v15
	s_mov_b32 s9, exec_lo
	s_delay_alu instid0(VALU_DEP_2) | instskip(NEXT) | instid1(VALU_DEP_2)
	v_mul_lo_u32 v5, v5, s16
	v_mul_lo_u32 v6, v6, s18
	s_delay_alu instid0(VALU_DEP_1) | instskip(NEXT) | instid1(VALU_DEP_1)
	v_sub_nc_u32_e32 v5, v5, v6
	v_cmp_lt_u32_e64 s7, s20, v5
	v_cmpx_ge_u32_e64 s20, v5
; %bb.24:
	v_add_nc_u32_e32 v5, s22, v15
	v_add_nc_u32_e32 v6, s38, v15
	s_delay_alu instid0(VALU_DEP_2) | instskip(NEXT) | instid1(VALU_DEP_2)
	v_mul_lo_u32 v5, v5, s21
	v_mul_lo_u32 v6, v6, s23
	s_delay_alu instid0(VALU_DEP_1) | instskip(NEXT) | instid1(VALU_DEP_1)
	v_sub_nc_u32_e32 v5, v5, v6
	v_cmp_lt_u32_e64 s8, s39, v5
	s_delay_alu instid0(VALU_DEP_1)
	s_and_b32 s48, s8, exec_lo
; %bb.25:
	s_or_b32 exec_lo, exec_lo, s9
	v_add_nc_u32_e32 v5, s17, v12
	v_add_nc_u32_e32 v6, s19, v12
	s_mov_b32 s51, 0
	s_mov_b32 s50, 0
	s_mov_b32 s10, exec_lo
	v_mul_lo_u32 v5, v5, s16
	v_mul_lo_u32 v6, v6, s18
	s_delay_alu instid0(VALU_DEP_1) | instskip(NEXT) | instid1(VALU_DEP_1)
	v_sub_nc_u32_e32 v5, v5, v6
	v_cmp_lt_u32_e64 s8, s20, v5
	v_cmpx_ge_u32_e64 s20, v5
; %bb.26:
	v_add_nc_u32_e32 v5, s22, v12
	v_add_nc_u32_e32 v6, s38, v12
	s_delay_alu instid0(VALU_DEP_2) | instskip(NEXT) | instid1(VALU_DEP_2)
	v_mul_lo_u32 v5, v5, s21
	v_mul_lo_u32 v6, v6, s23
	s_delay_alu instid0(VALU_DEP_1) | instskip(NEXT) | instid1(VALU_DEP_1)
	v_sub_nc_u32_e32 v5, v5, v6
	v_cmp_lt_u32_e64 s9, s39, v5
	s_delay_alu instid0(VALU_DEP_1)
	s_and_b32 s50, s9, exec_lo
; %bb.27:
	s_or_b32 exec_lo, exec_lo, s10
	v_add_nc_u32_e32 v5, s17, v13
	v_add_nc_u32_e32 v6, s19, v13
	s_mov_b32 s11, exec_lo
	s_delay_alu instid0(VALU_DEP_2) | instskip(NEXT) | instid1(VALU_DEP_2)
	v_mul_lo_u32 v5, v5, s16
	v_mul_lo_u32 v6, v6, s18
	s_delay_alu instid0(VALU_DEP_1) | instskip(NEXT) | instid1(VALU_DEP_1)
	v_sub_nc_u32_e32 v5, v5, v6
	v_cmp_lt_u32_e64 s9, s20, v5
	v_cmpx_ge_u32_e64 s20, v5
; %bb.28:
	v_add_nc_u32_e32 v5, s22, v13
	v_add_nc_u32_e32 v6, s38, v13
	s_delay_alu instid0(VALU_DEP_2) | instskip(NEXT) | instid1(VALU_DEP_2)
	v_mul_lo_u32 v5, v5, s21
	v_mul_lo_u32 v6, v6, s23
	s_delay_alu instid0(VALU_DEP_1) | instskip(NEXT) | instid1(VALU_DEP_1)
	v_sub_nc_u32_e32 v5, v5, v6
	v_cmp_lt_u32_e64 s10, s39, v5
	s_delay_alu instid0(VALU_DEP_1)
	s_and_b32 s51, s10, exec_lo
; %bb.29:
	s_or_b32 exec_lo, exec_lo, s11
	v_add_nc_u32_e32 v5, s17, v10
	v_add_nc_u32_e32 v6, s19, v10
	s_mov_b32 s52, 0
	s_mov_b32 s53, 0
	s_mov_b32 s12, exec_lo
	v_mul_lo_u32 v5, v5, s16
	v_mul_lo_u32 v6, v6, s18
	s_delay_alu instid0(VALU_DEP_1) | instskip(NEXT) | instid1(VALU_DEP_1)
	v_sub_nc_u32_e32 v5, v5, v6
	v_cmp_lt_u32_e64 s10, s20, v5
	v_cmpx_ge_u32_e64 s20, v5
; %bb.30:
	v_add_nc_u32_e32 v5, s22, v10
	v_add_nc_u32_e32 v6, s38, v10
	s_delay_alu instid0(VALU_DEP_2) | instskip(NEXT) | instid1(VALU_DEP_2)
	v_mul_lo_u32 v5, v5, s21
	v_mul_lo_u32 v6, v6, s23
	s_delay_alu instid0(VALU_DEP_1) | instskip(NEXT) | instid1(VALU_DEP_1)
	v_sub_nc_u32_e32 v5, v5, v6
	v_cmp_lt_u32_e64 s11, s39, v5
	s_delay_alu instid0(VALU_DEP_1)
	s_and_b32 s53, s11, exec_lo
; %bb.31:
	s_or_b32 exec_lo, exec_lo, s12
	v_add_nc_u32_e32 v5, s17, v11
	v_add_nc_u32_e32 v6, s19, v11
	s_mov_b32 s27, exec_lo
	s_delay_alu instid0(VALU_DEP_2) | instskip(NEXT) | instid1(VALU_DEP_2)
	v_mul_lo_u32 v5, v5, s16
	v_mul_lo_u32 v6, v6, s18
	s_delay_alu instid0(VALU_DEP_1) | instskip(NEXT) | instid1(VALU_DEP_1)
	v_sub_nc_u32_e32 v5, v5, v6
	v_cmp_lt_u32_e64 s11, s20, v5
	v_cmpx_ge_u32_e64 s20, v5
; %bb.32:
	v_add_nc_u32_e32 v5, s22, v11
	v_add_nc_u32_e32 v6, s38, v11
	s_delay_alu instid0(VALU_DEP_2) | instskip(NEXT) | instid1(VALU_DEP_2)
	v_mul_lo_u32 v5, v5, s21
	v_mul_lo_u32 v6, v6, s23
	s_delay_alu instid0(VALU_DEP_1) | instskip(NEXT) | instid1(VALU_DEP_1)
	v_sub_nc_u32_e32 v5, v5, v6
	v_cmp_lt_u32_e64 s12, s39, v5
	s_delay_alu instid0(VALU_DEP_1)
	s_and_b32 s52, s12, exec_lo
; %bb.33:
	s_or_b32 exec_lo, exec_lo, s27
	v_add_nc_u32_e32 v5, s17, v32
	v_add_nc_u32_e32 v6, s19, v32
	s_mov_b32 s27, -1
	s_mov_b32 s49, 0
	s_mov_b32 s33, 0
	v_mul_lo_u32 v5, v5, s16
	v_mul_lo_u32 v6, v6, s18
	s_mov_b32 s54, exec_lo
	s_delay_alu instid0(VALU_DEP_1) | instskip(NEXT) | instid1(VALU_DEP_1)
	v_sub_nc_u32_e32 v5, v5, v6
	v_cmpx_ge_u32_e64 s20, v5
; %bb.34:
	v_add_nc_u32_e32 v5, s22, v32
	v_add_nc_u32_e32 v6, s38, v32
	s_xor_b32 s27, exec_lo, -1
	s_delay_alu instid0(VALU_DEP_2) | instskip(NEXT) | instid1(VALU_DEP_2)
	v_mul_lo_u32 v5, v5, s21
	v_mul_lo_u32 v6, v6, s23
	s_delay_alu instid0(VALU_DEP_1) | instskip(NEXT) | instid1(VALU_DEP_1)
	v_sub_nc_u32_e32 v5, v5, v6
	v_cmp_lt_u32_e64 s12, s39, v5
	s_delay_alu instid0(VALU_DEP_1)
	s_and_b32 s33, s12, exec_lo
; %bb.35:
	s_or_b32 exec_lo, exec_lo, s54
	v_cndmask_b32_e64 v53, 0, 1, s53
	v_cndmask_b32_e64 v56, 0, 1, s11
	;; [unrolled: 1-line block ×22, first 2 shown]
	v_cndmask_b32_e64 v34, 0, 1, vcc_lo
	v_cndmask_b32_e64 v57, 0, 1, s52
	s_and_b32 vcc_lo, exec_lo, s49
	s_add_i32 s4, s40, 0xd00
	s_cbranch_vccnz .LBB343_37
	s_branch .LBB343_90
.LBB343_36:
                                        ; implicit-def: $sgpr27
                                        ; implicit-def: $sgpr33
                                        ; implicit-def: $vgpr57
                                        ; implicit-def: $vgpr53
                                        ; implicit-def: $vgpr52
                                        ; implicit-def: $vgpr50
                                        ; implicit-def: $vgpr48
                                        ; implicit-def: $vgpr46
                                        ; implicit-def: $vgpr44
                                        ; implicit-def: $vgpr42
                                        ; implicit-def: $vgpr39
                                        ; implicit-def: $vgpr34
                                        ; implicit-def: $vgpr37
                                        ; implicit-def: $vgpr36
                                        ; implicit-def: $vgpr41
                                        ; implicit-def: $vgpr43
                                        ; implicit-def: $vgpr45
                                        ; implicit-def: $vgpr47
                                        ; implicit-def: $vgpr49
                                        ; implicit-def: $vgpr51
                                        ; implicit-def: $vgpr54
                                        ; implicit-def: $vgpr55
                                        ; implicit-def: $vgpr56
                                        ; implicit-def: $vgpr35
                                        ; implicit-def: $vgpr40
                                        ; implicit-def: $vgpr38
	s_add_i32 s4, s40, 0xd00
	s_cbranch_execz .LBB343_90
.LBB343_37:
	v_dual_mov_b32 v35, 0 :: v_dual_mov_b32 v34, 0
	s_mov_b32 s3, 0
	s_mov_b32 s1, exec_lo
	v_cmpx_gt_u32_e64 s4, v33
	s_cbranch_execz .LBB343_41
; %bb.38:
	v_add_nc_u32_e32 v5, s17, v20
	v_add_nc_u32_e32 v6, s19, v20
	s_mov_b32 s5, exec_lo
	s_delay_alu instid0(VALU_DEP_2) | instskip(NEXT) | instid1(VALU_DEP_2)
	v_mul_lo_u32 v5, v5, s16
	v_mul_lo_u32 v6, v6, s18
	s_delay_alu instid0(VALU_DEP_1) | instskip(NEXT) | instid1(VALU_DEP_1)
	v_sub_nc_u32_e32 v5, v5, v6
	v_cmp_lt_u32_e32 vcc_lo, s20, v5
	v_cmpx_ge_u32_e64 s20, v5
; %bb.39:
	v_add_nc_u32_e32 v5, s22, v20
	v_add_nc_u32_e32 v6, s38, v20
	s_delay_alu instid0(VALU_DEP_2) | instskip(NEXT) | instid1(VALU_DEP_2)
	v_mul_lo_u32 v5, v5, s21
	v_mul_lo_u32 v6, v6, s23
	s_delay_alu instid0(VALU_DEP_1) | instskip(NEXT) | instid1(VALU_DEP_1)
	v_sub_nc_u32_e32 v5, v5, v6
	v_cmp_lt_u32_e64 s0, s39, v5
	s_delay_alu instid0(VALU_DEP_1)
	s_and_b32 s3, s0, exec_lo
; %bb.40:
	s_or_b32 exec_lo, exec_lo, s5
	v_cndmask_b32_e64 v34, 0, 1, vcc_lo
	v_cndmask_b32_e64 v35, 0, 1, s3
.LBB343_41:
	s_or_b32 exec_lo, exec_lo, s1
	v_dual_mov_b32 v40, 0 :: v_dual_add_nc_u32 v5, 1, v33
	v_mov_b32_e32 v37, 0
	s_mov_b32 s3, 0
	s_mov_b32 s1, exec_lo
	s_delay_alu instid0(VALU_DEP_2)
	v_cmpx_gt_u32_e64 s4, v5
	s_cbranch_execz .LBB343_45
; %bb.42:
	v_add_nc_u32_e32 v5, s17, v21
	v_add_nc_u32_e32 v6, s19, v21
	s_mov_b32 s5, exec_lo
	s_delay_alu instid0(VALU_DEP_2) | instskip(NEXT) | instid1(VALU_DEP_2)
	v_mul_lo_u32 v5, v5, s16
	v_mul_lo_u32 v6, v6, s18
	s_delay_alu instid0(VALU_DEP_1) | instskip(NEXT) | instid1(VALU_DEP_1)
	v_sub_nc_u32_e32 v5, v5, v6
	v_cmp_lt_u32_e32 vcc_lo, s20, v5
	v_cmpx_ge_u32_e64 s20, v5
; %bb.43:
	v_add_nc_u32_e32 v5, s22, v21
	v_add_nc_u32_e32 v6, s38, v21
	s_delay_alu instid0(VALU_DEP_2) | instskip(NEXT) | instid1(VALU_DEP_2)
	v_mul_lo_u32 v5, v5, s21
	v_mul_lo_u32 v6, v6, s23
	s_delay_alu instid0(VALU_DEP_1) | instskip(NEXT) | instid1(VALU_DEP_1)
	v_sub_nc_u32_e32 v5, v5, v6
	v_cmp_lt_u32_e64 s0, s39, v5
	s_delay_alu instid0(VALU_DEP_1)
	s_and_b32 s3, s0, exec_lo
; %bb.44:
	s_or_b32 exec_lo, exec_lo, s5
	v_cndmask_b32_e64 v37, 0, 1, vcc_lo
	v_cndmask_b32_e64 v40, 0, 1, s3
.LBB343_45:
	s_or_b32 exec_lo, exec_lo, s1
	v_dual_mov_b32 v36, 0 :: v_dual_add_nc_u32 v5, 2, v33
	v_mov_b32_e32 v38, 0
	s_mov_b32 s3, 0
	s_mov_b32 s1, exec_lo
	s_delay_alu instid0(VALU_DEP_2)
	v_cmpx_gt_u32_e64 s4, v5
	s_cbranch_execz .LBB343_49
; %bb.46:
	v_add_nc_u32_e32 v5, s17, v18
	v_add_nc_u32_e32 v6, s19, v18
	s_mov_b32 s5, exec_lo
	s_delay_alu instid0(VALU_DEP_2) | instskip(NEXT) | instid1(VALU_DEP_2)
	v_mul_lo_u32 v5, v5, s16
	v_mul_lo_u32 v6, v6, s18
	s_delay_alu instid0(VALU_DEP_1) | instskip(NEXT) | instid1(VALU_DEP_1)
	v_sub_nc_u32_e32 v5, v5, v6
	v_cmp_lt_u32_e32 vcc_lo, s20, v5
	v_cmpx_ge_u32_e64 s20, v5
; %bb.47:
	v_add_nc_u32_e32 v5, s22, v18
	v_add_nc_u32_e32 v6, s38, v18
	s_delay_alu instid0(VALU_DEP_2) | instskip(NEXT) | instid1(VALU_DEP_2)
	v_mul_lo_u32 v5, v5, s21
	v_mul_lo_u32 v6, v6, s23
	s_delay_alu instid0(VALU_DEP_1) | instskip(NEXT) | instid1(VALU_DEP_1)
	v_sub_nc_u32_e32 v5, v5, v6
	v_cmp_lt_u32_e64 s0, s39, v5
	s_delay_alu instid0(VALU_DEP_1)
	s_and_b32 s3, s0, exec_lo
; %bb.48:
	s_or_b32 exec_lo, exec_lo, s5
	v_cndmask_b32_e64 v36, 0, 1, vcc_lo
	v_cndmask_b32_e64 v38, 0, 1, s3
.LBB343_49:
	s_or_b32 exec_lo, exec_lo, s1
	v_add_nc_u32_e32 v5, 3, v33
	v_mov_b32_e32 v39, 0
	v_mov_b32_e32 v41, 0
	s_mov_b32 s3, 0
	s_mov_b32 s1, exec_lo
	v_cmpx_gt_u32_e64 s4, v5
	s_cbranch_execz .LBB343_53
; %bb.50:
	v_add_nc_u32_e32 v5, s17, v19
	v_add_nc_u32_e32 v6, s19, v19
	s_mov_b32 s5, exec_lo
	s_delay_alu instid0(VALU_DEP_2) | instskip(NEXT) | instid1(VALU_DEP_2)
	v_mul_lo_u32 v5, v5, s16
	v_mul_lo_u32 v6, v6, s18
	s_delay_alu instid0(VALU_DEP_1) | instskip(NEXT) | instid1(VALU_DEP_1)
	v_sub_nc_u32_e32 v5, v5, v6
	v_cmp_lt_u32_e32 vcc_lo, s20, v5
	v_cmpx_ge_u32_e64 s20, v5
; %bb.51:
	v_add_nc_u32_e32 v5, s22, v19
	v_add_nc_u32_e32 v6, s38, v19
	s_delay_alu instid0(VALU_DEP_2) | instskip(NEXT) | instid1(VALU_DEP_2)
	v_mul_lo_u32 v5, v5, s21
	v_mul_lo_u32 v6, v6, s23
	s_delay_alu instid0(VALU_DEP_1) | instskip(NEXT) | instid1(VALU_DEP_1)
	v_sub_nc_u32_e32 v5, v5, v6
	v_cmp_lt_u32_e64 s0, s39, v5
	s_delay_alu instid0(VALU_DEP_1)
	s_and_b32 s3, s0, exec_lo
; %bb.52:
	s_or_b32 exec_lo, exec_lo, s5
	v_cndmask_b32_e64 v41, 0, 1, vcc_lo
	v_cndmask_b32_e64 v39, 0, 1, s3
.LBB343_53:
	s_or_b32 exec_lo, exec_lo, s1
	v_dual_mov_b32 v42, 0 :: v_dual_add_nc_u32 v5, 4, v33
	v_mov_b32_e32 v43, 0
	s_mov_b32 s3, 0
	s_mov_b32 s1, exec_lo
	s_delay_alu instid0(VALU_DEP_2)
	v_cmpx_gt_u32_e64 s4, v5
	s_cbranch_execz .LBB343_57
; %bb.54:
	v_add_nc_u32_e32 v5, s17, v16
	v_add_nc_u32_e32 v6, s19, v16
	s_mov_b32 s5, exec_lo
	s_delay_alu instid0(VALU_DEP_2) | instskip(NEXT) | instid1(VALU_DEP_2)
	v_mul_lo_u32 v5, v5, s16
	v_mul_lo_u32 v6, v6, s18
	s_delay_alu instid0(VALU_DEP_1) | instskip(NEXT) | instid1(VALU_DEP_1)
	v_sub_nc_u32_e32 v5, v5, v6
	v_cmp_lt_u32_e32 vcc_lo, s20, v5
	v_cmpx_ge_u32_e64 s20, v5
; %bb.55:
	v_add_nc_u32_e32 v5, s22, v16
	v_add_nc_u32_e32 v6, s38, v16
	s_delay_alu instid0(VALU_DEP_2) | instskip(NEXT) | instid1(VALU_DEP_2)
	v_mul_lo_u32 v5, v5, s21
	v_mul_lo_u32 v6, v6, s23
	s_delay_alu instid0(VALU_DEP_1) | instskip(NEXT) | instid1(VALU_DEP_1)
	v_sub_nc_u32_e32 v5, v5, v6
	v_cmp_lt_u32_e64 s0, s39, v5
	s_delay_alu instid0(VALU_DEP_1)
	s_and_b32 s3, s0, exec_lo
; %bb.56:
	s_or_b32 exec_lo, exec_lo, s5
	v_cndmask_b32_e64 v43, 0, 1, vcc_lo
	v_cndmask_b32_e64 v42, 0, 1, s3
.LBB343_57:
	s_or_b32 exec_lo, exec_lo, s1
	v_dual_mov_b32 v44, 0 :: v_dual_add_nc_u32 v5, 5, v33
	v_mov_b32_e32 v45, 0
	s_mov_b32 s3, 0
	s_mov_b32 s1, exec_lo
	s_delay_alu instid0(VALU_DEP_2)
	;; [unrolled: 35-line block ×6, first 2 shown]
	v_cmpx_gt_u32_e64 s4, v5
	s_cbranch_execz .LBB343_77
; %bb.74:
	v_add_nc_u32_e32 v5, s17, v13
	v_add_nc_u32_e32 v6, s19, v13
	s_mov_b32 s5, exec_lo
	s_delay_alu instid0(VALU_DEP_2) | instskip(NEXT) | instid1(VALU_DEP_2)
	v_mul_lo_u32 v5, v5, s16
	v_mul_lo_u32 v6, v6, s18
	s_delay_alu instid0(VALU_DEP_1) | instskip(NEXT) | instid1(VALU_DEP_1)
	v_sub_nc_u32_e32 v5, v5, v6
	v_cmp_lt_u32_e32 vcc_lo, s20, v5
	v_cmpx_ge_u32_e64 s20, v5
; %bb.75:
	v_add_nc_u32_e32 v5, s22, v13
	v_add_nc_u32_e32 v6, s38, v13
	s_delay_alu instid0(VALU_DEP_2) | instskip(NEXT) | instid1(VALU_DEP_2)
	v_mul_lo_u32 v5, v5, s21
	v_mul_lo_u32 v6, v6, s23
	s_delay_alu instid0(VALU_DEP_1) | instskip(NEXT) | instid1(VALU_DEP_1)
	v_sub_nc_u32_e32 v5, v5, v6
	v_cmp_lt_u32_e64 s0, s39, v5
	s_delay_alu instid0(VALU_DEP_1)
	s_and_b32 s3, s0, exec_lo
; %bb.76:
	s_or_b32 exec_lo, exec_lo, s5
	v_cndmask_b32_e64 v54, 0, 1, vcc_lo
	v_cndmask_b32_e64 v52, 0, 1, s3
.LBB343_77:
	s_or_b32 exec_lo, exec_lo, s1
	v_add_nc_u32_e32 v5, 10, v33
	v_mov_b32_e32 v53, 0
	v_mov_b32_e32 v55, 0
	s_mov_b32 s3, 0
	s_mov_b32 s1, exec_lo
	v_cmpx_gt_u32_e64 s4, v5
	s_cbranch_execz .LBB343_81
; %bb.78:
	v_add_nc_u32_e32 v5, s17, v10
	v_add_nc_u32_e32 v6, s19, v10
	s_mov_b32 s5, exec_lo
	s_delay_alu instid0(VALU_DEP_2) | instskip(NEXT) | instid1(VALU_DEP_2)
	v_mul_lo_u32 v5, v5, s16
	v_mul_lo_u32 v6, v6, s18
	s_delay_alu instid0(VALU_DEP_1) | instskip(NEXT) | instid1(VALU_DEP_1)
	v_sub_nc_u32_e32 v5, v5, v6
	v_cmp_lt_u32_e32 vcc_lo, s20, v5
	v_cmpx_ge_u32_e64 s20, v5
; %bb.79:
	v_add_nc_u32_e32 v5, s22, v10
	v_add_nc_u32_e32 v6, s38, v10
	s_delay_alu instid0(VALU_DEP_2) | instskip(NEXT) | instid1(VALU_DEP_2)
	v_mul_lo_u32 v5, v5, s21
	v_mul_lo_u32 v6, v6, s23
	s_delay_alu instid0(VALU_DEP_1) | instskip(NEXT) | instid1(VALU_DEP_1)
	v_sub_nc_u32_e32 v5, v5, v6
	v_cmp_lt_u32_e64 s0, s39, v5
	s_delay_alu instid0(VALU_DEP_1)
	s_and_b32 s3, s0, exec_lo
; %bb.80:
	s_or_b32 exec_lo, exec_lo, s5
	v_cndmask_b32_e64 v55, 0, 1, vcc_lo
	v_cndmask_b32_e64 v53, 0, 1, s3
.LBB343_81:
	s_or_b32 exec_lo, exec_lo, s1
	v_dual_mov_b32 v56, 0 :: v_dual_add_nc_u32 v5, 11, v33
	v_mov_b32_e32 v57, 0
	s_mov_b32 s3, 0
	s_mov_b32 s1, exec_lo
	s_delay_alu instid0(VALU_DEP_2)
	v_cmpx_gt_u32_e64 s4, v5
	s_cbranch_execz .LBB343_85
; %bb.82:
	v_add_nc_u32_e32 v5, s17, v11
	v_add_nc_u32_e32 v6, s19, v11
	s_mov_b32 s5, exec_lo
	s_delay_alu instid0(VALU_DEP_2) | instskip(NEXT) | instid1(VALU_DEP_2)
	v_mul_lo_u32 v5, v5, s16
	v_mul_lo_u32 v6, v6, s18
	s_delay_alu instid0(VALU_DEP_1) | instskip(NEXT) | instid1(VALU_DEP_1)
	v_sub_nc_u32_e32 v5, v5, v6
	v_cmp_lt_u32_e32 vcc_lo, s20, v5
	v_cmpx_ge_u32_e64 s20, v5
; %bb.83:
	v_add_nc_u32_e32 v5, s22, v11
	v_add_nc_u32_e32 v6, s38, v11
	s_delay_alu instid0(VALU_DEP_2) | instskip(NEXT) | instid1(VALU_DEP_2)
	v_mul_lo_u32 v5, v5, s21
	v_mul_lo_u32 v6, v6, s23
	s_delay_alu instid0(VALU_DEP_1) | instskip(NEXT) | instid1(VALU_DEP_1)
	v_sub_nc_u32_e32 v5, v5, v6
	v_cmp_lt_u32_e64 s0, s39, v5
	s_delay_alu instid0(VALU_DEP_1)
	s_and_b32 s3, s0, exec_lo
; %bb.84:
	s_or_b32 exec_lo, exec_lo, s5
	v_cndmask_b32_e64 v56, 0, 1, vcc_lo
	v_cndmask_b32_e64 v57, 0, 1, s3
.LBB343_85:
	s_or_b32 exec_lo, exec_lo, s1
	v_add_nc_u32_e32 v5, 12, v33
	s_mov_b32 s27, 0
	s_mov_b32 s33, 0
	s_mov_b32 s0, exec_lo
	s_delay_alu instid0(VALU_DEP_1)
	v_cmpx_gt_u32_e64 s4, v5
	s_cbranch_execz .LBB343_89
; %bb.86:
	v_add_nc_u32_e32 v5, s17, v32
	v_add_nc_u32_e32 v6, s19, v32
	s_mov_b32 s3, -1
	s_mov_b32 s5, 0
	s_mov_b32 s1, exec_lo
	v_mul_lo_u32 v5, v5, s16
	v_mul_lo_u32 v6, v6, s18
	s_delay_alu instid0(VALU_DEP_1) | instskip(NEXT) | instid1(VALU_DEP_1)
	v_sub_nc_u32_e32 v5, v5, v6
	v_cmpx_ge_u32_e64 s20, v5
; %bb.87:
	v_add_nc_u32_e32 v5, s22, v32
	v_add_nc_u32_e32 v6, s38, v32
	s_xor_b32 s3, exec_lo, -1
	s_delay_alu instid0(VALU_DEP_2) | instskip(NEXT) | instid1(VALU_DEP_2)
	v_mul_lo_u32 v5, v5, s21
	v_mul_lo_u32 v6, v6, s23
	s_delay_alu instid0(VALU_DEP_1) | instskip(NEXT) | instid1(VALU_DEP_1)
	v_sub_nc_u32_e32 v5, v5, v6
	v_cmp_lt_u32_e32 vcc_lo, s39, v5
	s_and_b32 s5, vcc_lo, exec_lo
; %bb.88:
	s_or_b32 exec_lo, exec_lo, s1
	s_delay_alu instid0(SALU_CYCLE_1)
	s_and_b32 s33, s5, exec_lo
	s_and_b32 s27, s3, exec_lo
.LBB343_89:
	s_or_b32 exec_lo, exec_lo, s0
.LBB343_90:
	v_and_b32_e32 v80, 0xff, v34
	v_and_b32_e32 v81, 0xff, v35
	;; [unrolled: 1-line block ×10, first 2 shown]
	v_add3_u32 v5, v76, v78, v80
	v_add3_u32 v6, v77, v79, v81
	v_and_b32_e32 v70, 0xff, v45
	v_and_b32_e32 v71, 0xff, v44
	v_and_b32_e32 v64, 0xff, v47
	v_and_b32_e32 v65, 0xff, v46
	v_add3_u32 v5, v5, v74, v72
	v_add3_u32 v6, v6, v75, v73
	v_and_b32_e32 v68, 0xff, v49
	v_and_b32_e32 v69, 0xff, v48
	v_and_b32_e32 v66, 0xff, v51
	v_and_b32_e32 v67, 0xff, v50
	;; [unrolled: 6-line block ×3, first 2 shown]
	v_add3_u32 v5, v5, v68, v66
	v_add3_u32 v6, v6, v69, v67
	v_mbcnt_lo_u32_b32 v82, -1, 0
	v_and_b32_e32 v58, 0xff, v56
	v_and_b32_e32 v59, 0xff, v57
	v_cndmask_b32_e64 v7, 0, 1, s33
	v_add3_u32 v5, v5, v61, v60
	v_cndmask_b32_e64 v8, 0, 1, s27
	v_add3_u32 v6, v6, v62, v63
	v_and_b32_e32 v86, 15, v82
	v_and_b32_e32 v85, 16, v82
	v_lshrrev_b32_e32 v83, 5, v0
	v_add3_u32 v87, v5, v58, v8
	v_add3_u32 v88, v6, v59, v7
	v_cmp_eq_u32_e64 s1, 0, v86
	v_cmp_lt_u32_e64 s0, 1, v86
	v_cmp_lt_u32_e64 s3, 3, v86
	v_cmp_lt_u32_e32 vcc_lo, 7, v86
	v_or_b32_e32 v84, 31, v0
	s_cmp_lg_u32 s26, 0
	s_mov_b32 s5, -1
	s_cbranch_scc0 .LBB343_123
; %bb.91:
	v_mov_b32_dpp v5, v88 row_shr:1 row_mask:0xf bank_mask:0xf
	v_mov_b32_dpp v6, v87 row_shr:1 row_mask:0xf bank_mask:0xf
	s_delay_alu instid0(VALU_DEP_2) | instskip(NEXT) | instid1(VALU_DEP_2)
	v_add_nc_u32_e32 v5, v5, v88
	v_add_nc_u32_e32 v6, v6, v87
	s_delay_alu instid0(VALU_DEP_2) | instskip(NEXT) | instid1(VALU_DEP_2)
	v_cndmask_b32_e64 v5, v5, v88, s1
	v_cndmask_b32_e64 v6, v6, v87, s1
	s_delay_alu instid0(VALU_DEP_2) | instskip(NEXT) | instid1(VALU_DEP_2)
	v_mov_b32_dpp v7, v5 row_shr:2 row_mask:0xf bank_mask:0xf
	v_mov_b32_dpp v8, v6 row_shr:2 row_mask:0xf bank_mask:0xf
	s_delay_alu instid0(VALU_DEP_2) | instskip(NEXT) | instid1(VALU_DEP_1)
	v_add_nc_u32_e32 v7, v5, v7
	v_cndmask_b32_e64 v5, v5, v7, s0
	s_delay_alu instid0(VALU_DEP_1) | instskip(NEXT) | instid1(VALU_DEP_1)
	v_mov_b32_dpp v7, v5 row_shr:4 row_mask:0xf bank_mask:0xf
	v_add_nc_u32_e32 v7, v5, v7
	s_delay_alu instid0(VALU_DEP_1) | instskip(NEXT) | instid1(VALU_DEP_1)
	v_cndmask_b32_e64 v5, v5, v7, s3
	v_mov_b32_dpp v7, v5 row_shr:8 row_mask:0xf bank_mask:0xf
	s_delay_alu instid0(VALU_DEP_1) | instskip(NEXT) | instid1(VALU_DEP_1)
	v_add_nc_u32_e32 v7, v5, v7
	v_dual_cndmask_b32 v5, v5, v7 :: v_dual_add_nc_u32 v8, v6, v8
	s_delay_alu instid0(VALU_DEP_1) | instskip(NEXT) | instid1(VALU_DEP_1)
	v_cndmask_b32_e64 v6, v6, v8, s0
	v_mov_b32_dpp v8, v6 row_shr:4 row_mask:0xf bank_mask:0xf
	s_delay_alu instid0(VALU_DEP_1) | instskip(NEXT) | instid1(VALU_DEP_1)
	v_add_nc_u32_e32 v8, v6, v8
	v_cndmask_b32_e64 v6, v6, v8, s3
	s_mov_b32 s3, exec_lo
	s_delay_alu instid0(VALU_DEP_1) | instskip(NEXT) | instid1(VALU_DEP_1)
	v_mov_b32_dpp v8, v6 row_shr:8 row_mask:0xf bank_mask:0xf
	v_add_nc_u32_e32 v8, v6, v8
	s_delay_alu instid0(VALU_DEP_1)
	v_cndmask_b32_e32 v7, v6, v8, vcc_lo
	ds_swizzle_b32 v6, v5 offset:swizzle(BROADCAST,32,15)
	v_cmp_eq_u32_e32 vcc_lo, 0, v85
	s_waitcnt lgkmcnt(0)
	v_add_nc_u32_e32 v6, v5, v6
	ds_swizzle_b32 v8, v7 offset:swizzle(BROADCAST,32,15)
	v_cndmask_b32_e32 v6, v6, v5, vcc_lo
	s_waitcnt lgkmcnt(0)
	v_add_nc_u32_e32 v8, v7, v8
	s_delay_alu instid0(VALU_DEP_1)
	v_cndmask_b32_e32 v5, v8, v7, vcc_lo
	v_cmpx_eq_u32_e64 v84, v0
	s_cbranch_execz .LBB343_93
; %bb.92:
	v_lshlrev_b32_e32 v7, 3, v83
	ds_store_b64 v7, v[5:6]
.LBB343_93:
	s_or_b32 exec_lo, exec_lo, s3
	s_delay_alu instid0(SALU_CYCLE_1)
	s_mov_b32 s3, exec_lo
	s_waitcnt lgkmcnt(0)
	s_barrier
	buffer_gl0_inv
	v_cmpx_gt_u32_e32 8, v0
	s_cbranch_execz .LBB343_95
; %bb.94:
	v_lshlrev_b32_e32 v9, 3, v0
	ds_load_b64 v[7:8], v9
	s_waitcnt lgkmcnt(0)
	v_mov_b32_dpp v22, v7 row_shr:1 row_mask:0xf bank_mask:0xf
	v_mov_b32_dpp v23, v8 row_shr:1 row_mask:0xf bank_mask:0xf
	s_delay_alu instid0(VALU_DEP_2) | instskip(SKIP_1) | instid1(VALU_DEP_3)
	v_add_nc_u32_e32 v22, v22, v7
	v_and_b32_e32 v24, 7, v82
	v_add_nc_u32_e32 v23, v23, v8
	s_delay_alu instid0(VALU_DEP_2) | instskip(NEXT) | instid1(VALU_DEP_2)
	v_cmp_eq_u32_e32 vcc_lo, 0, v24
	v_dual_cndmask_b32 v8, v23, v8 :: v_dual_cndmask_b32 v7, v22, v7
	v_cmp_lt_u32_e32 vcc_lo, 1, v24
	s_delay_alu instid0(VALU_DEP_2) | instskip(NEXT) | instid1(VALU_DEP_3)
	v_mov_b32_dpp v23, v8 row_shr:2 row_mask:0xf bank_mask:0xf
	v_mov_b32_dpp v22, v7 row_shr:2 row_mask:0xf bank_mask:0xf
	s_delay_alu instid0(VALU_DEP_2) | instskip(NEXT) | instid1(VALU_DEP_2)
	v_add_nc_u32_e32 v23, v8, v23
	v_add_nc_u32_e32 v22, v7, v22
	s_delay_alu instid0(VALU_DEP_1) | instskip(SKIP_1) | instid1(VALU_DEP_2)
	v_dual_cndmask_b32 v8, v8, v23 :: v_dual_cndmask_b32 v7, v7, v22
	v_cmp_lt_u32_e32 vcc_lo, 3, v24
	v_mov_b32_dpp v23, v8 row_shr:4 row_mask:0xf bank_mask:0xf
	s_delay_alu instid0(VALU_DEP_3) | instskip(NEXT) | instid1(VALU_DEP_1)
	v_mov_b32_dpp v22, v7 row_shr:4 row_mask:0xf bank_mask:0xf
	v_dual_cndmask_b32 v23, 0, v23 :: v_dual_cndmask_b32 v22, 0, v22
	s_delay_alu instid0(VALU_DEP_1) | instskip(NEXT) | instid1(VALU_DEP_2)
	v_add_nc_u32_e32 v8, v23, v8
	v_add_nc_u32_e32 v7, v22, v7
	ds_store_b64 v9, v[7:8]
.LBB343_95:
	s_or_b32 exec_lo, exec_lo, s3
	v_cmp_gt_u32_e32 vcc_lo, 32, v0
	v_cmp_lt_u32_e64 s3, 31, v0
	s_waitcnt lgkmcnt(0)
	s_barrier
	buffer_gl0_inv
                                        ; implicit-def: $vgpr23
	s_and_saveexec_b32 s5, s3
	s_delay_alu instid0(SALU_CYCLE_1)
	s_xor_b32 s3, exec_lo, s5
	s_cbranch_execz .LBB343_97
; %bb.96:
	v_lshl_add_u32 v7, v83, 3, -8
	ds_load_b64 v[22:23], v7
	s_waitcnt lgkmcnt(0)
	v_add_nc_u32_e32 v6, v23, v6
	v_add_nc_u32_e32 v5, v22, v5
.LBB343_97:
	s_and_not1_saveexec_b32 s3, s3
; %bb.98:
                                        ; implicit-def: $vgpr22
; %bb.99:
	s_delay_alu instid0(SALU_CYCLE_1) | instskip(SKIP_1) | instid1(VALU_DEP_1)
	s_or_b32 exec_lo, exec_lo, s3
	v_add_nc_u32_e32 v7, -1, v82
	v_cmp_gt_i32_e64 s3, 0, v7
	s_delay_alu instid0(VALU_DEP_1) | instskip(SKIP_1) | instid1(VALU_DEP_2)
	v_cndmask_b32_e64 v7, v7, v82, s3
	v_cmp_eq_u32_e64 s3, 0, v82
	v_lshlrev_b32_e32 v7, 2, v7
	ds_bpermute_b32 v89, v7, v5
	ds_bpermute_b32 v90, v7, v6
	s_and_saveexec_b32 s5, vcc_lo
	s_cbranch_execz .LBB343_122
; %bb.100:
	v_mov_b32_e32 v8, 0
	ds_load_b64 v[5:6], v8 offset:56
	s_waitcnt lgkmcnt(0)
	v_readfirstlane_b32 s6, v6
	s_and_saveexec_b32 s7, s3
	s_cbranch_execz .LBB343_102
; %bb.101:
	s_add_i32 s8, s26, 32
	s_mov_b32 s9, 0
	v_mov_b32_e32 v7, 1
	s_lshl_b64 s[10:11], s[8:9], 4
	s_mov_b32 s16, s9
	s_add_u32 s10, s36, s10
	s_addc_u32 s11, s37, s11
	s_and_b32 s17, s6, 0xff000000
	s_and_b32 s19, s6, 0xff0000
	s_mov_b32 s18, s9
	v_dual_mov_b32 v25, s11 :: v_dual_mov_b32 v24, s10
	s_or_b64 s[16:17], s[18:19], s[16:17]
	s_and_b32 s19, s6, 0xff00
	s_delay_alu instid0(SALU_CYCLE_1) | instskip(SKIP_1) | instid1(SALU_CYCLE_1)
	s_or_b64 s[16:17], s[16:17], s[18:19]
	s_and_b32 s19, s6, 0xff
	s_or_b64 s[8:9], s[16:17], s[18:19]
	s_delay_alu instid0(SALU_CYCLE_1)
	v_mov_b32_e32 v6, s9
	;;#ASMSTART
	global_store_dwordx4 v[24:25], v[5:8] off	
s_waitcnt vmcnt(0)
	;;#ASMEND
.LBB343_102:
	s_or_b32 exec_lo, exec_lo, s7
	v_xad_u32 v24, v82, -1, s26
	s_mov_b32 s8, 0
	s_mov_b32 s7, exec_lo
	s_delay_alu instid0(VALU_DEP_1) | instskip(NEXT) | instid1(VALU_DEP_1)
	v_add_nc_u32_e32 v7, 32, v24
	v_lshlrev_b64 v[6:7], 4, v[7:8]
	s_delay_alu instid0(VALU_DEP_1) | instskip(NEXT) | instid1(VALU_DEP_2)
	v_add_co_u32 v25, vcc_lo, s36, v6
	v_add_co_ci_u32_e32 v26, vcc_lo, s37, v7, vcc_lo
	;;#ASMSTART
	global_load_dwordx4 v[6:9], v[25:26] off glc	
s_waitcnt vmcnt(0)
	;;#ASMEND
	v_and_b32_e32 v9, 0xff, v7
	v_and_b32_e32 v27, 0xff00, v7
	v_or3_b32 v6, v6, 0, 0
	v_and_b32_e32 v28, 0xff000000, v7
	v_and_b32_e32 v7, 0xff0000, v7
	s_delay_alu instid0(VALU_DEP_4) | instskip(SKIP_2) | instid1(VALU_DEP_3)
	v_or3_b32 v9, 0, v9, v27
	v_and_b32_e32 v27, 0xff, v8
	v_or3_b32 v6, v6, 0, 0
	v_or3_b32 v7, v9, v7, v28
	s_delay_alu instid0(VALU_DEP_3)
	v_cmpx_eq_u16_e32 0, v27
	s_cbranch_execz .LBB343_108
; %bb.103:
	s_mov_b32 s9, 1
	.p2align	6
.LBB343_104:                            ; =>This Loop Header: Depth=1
                                        ;     Child Loop BB343_105 Depth 2
	s_delay_alu instid0(SALU_CYCLE_1)
	s_max_u32 s10, s9, 1
.LBB343_105:                            ;   Parent Loop BB343_104 Depth=1
                                        ; =>  This Inner Loop Header: Depth=2
	s_delay_alu instid0(SALU_CYCLE_1)
	s_add_i32 s10, s10, -1
	s_sleep 1
	s_cmp_eq_u32 s10, 0
	s_cbranch_scc0 .LBB343_105
; %bb.106:                              ;   in Loop: Header=BB343_104 Depth=1
	;;#ASMSTART
	global_load_dwordx4 v[6:9], v[25:26] off glc	
s_waitcnt vmcnt(0)
	;;#ASMEND
	v_and_b32_e32 v9, 0xff, v8
	s_cmp_lt_u32 s9, 32
	s_cselect_b32 s10, -1, 0
	s_delay_alu instid0(SALU_CYCLE_1) | instskip(NEXT) | instid1(VALU_DEP_1)
	s_cmp_lg_u32 s10, 0
	v_cmp_ne_u16_e32 vcc_lo, 0, v9
	s_addc_u32 s9, s9, 0
	s_or_b32 s8, vcc_lo, s8
	s_delay_alu instid0(SALU_CYCLE_1)
	s_and_not1_b32 exec_lo, exec_lo, s8
	s_cbranch_execnz .LBB343_104
; %bb.107:
	s_or_b32 exec_lo, exec_lo, s8
.LBB343_108:
	s_delay_alu instid0(SALU_CYCLE_1) | instskip(SKIP_3) | instid1(VALU_DEP_1)
	s_or_b32 exec_lo, exec_lo, s7
	v_cmp_ne_u32_e32 vcc_lo, 31, v82
	v_lshlrev_b32_e64 v92, v82, -1
	v_add_co_ci_u32_e32 v9, vcc_lo, 0, v82, vcc_lo
	v_lshlrev_b32_e32 v91, 2, v9
	ds_bpermute_b32 v25, v91, v7
	ds_bpermute_b32 v9, v91, v6
	s_waitcnt lgkmcnt(1)
	v_add_nc_u32_e32 v25, v25, v7
	v_and_b32_e32 v26, 0xff, v8
	s_waitcnt lgkmcnt(0)
	v_add_nc_u32_e32 v9, v9, v6
	s_delay_alu instid0(VALU_DEP_2) | instskip(SKIP_2) | instid1(VALU_DEP_2)
	v_cmp_eq_u16_e32 vcc_lo, 2, v26
	v_and_or_b32 v26, vcc_lo, v92, 0x80000000
	v_cmp_gt_u32_e32 vcc_lo, 30, v82
	v_ctz_i32_b32_e32 v26, v26
	v_cndmask_b32_e64 v27, 0, 1, vcc_lo
	s_delay_alu instid0(VALU_DEP_2) | instskip(NEXT) | instid1(VALU_DEP_2)
	v_cmp_lt_u32_e32 vcc_lo, v82, v26
	v_dual_cndmask_b32 v6, v6, v9 :: v_dual_lshlrev_b32 v27, 1, v27
	s_delay_alu instid0(VALU_DEP_1)
	v_add_lshl_u32 v93, v27, v82, 2
	v_cndmask_b32_e32 v7, v7, v25, vcc_lo
	v_cmp_gt_u32_e32 vcc_lo, 28, v82
	ds_bpermute_b32 v9, v93, v6
	ds_bpermute_b32 v25, v93, v7
	v_cndmask_b32_e64 v27, 0, 1, vcc_lo
	s_waitcnt lgkmcnt(1)
	v_add_nc_u32_e32 v9, v6, v9
	s_waitcnt lgkmcnt(0)
	v_add_nc_u32_e32 v25, v7, v25
	v_add_nc_u32_e32 v94, 2, v82
	s_delay_alu instid0(VALU_DEP_1) | instskip(NEXT) | instid1(VALU_DEP_3)
	v_cmp_gt_u32_e32 vcc_lo, v94, v26
	v_cndmask_b32_e32 v7, v25, v7, vcc_lo
	v_dual_cndmask_b32 v6, v9, v6 :: v_dual_lshlrev_b32 v27, 2, v27
	v_cmp_gt_u32_e32 vcc_lo, 24, v82
	s_delay_alu instid0(VALU_DEP_2) | instskip(SKIP_4) | instid1(VALU_DEP_1)
	v_add_lshl_u32 v95, v27, v82, 2
	v_cndmask_b32_e64 v27, 0, 1, vcc_lo
	ds_bpermute_b32 v25, v95, v7
	ds_bpermute_b32 v9, v95, v6
	v_lshlrev_b32_e32 v27, 3, v27
	v_add_lshl_u32 v97, v27, v82, 2
	s_waitcnt lgkmcnt(1)
	v_add_nc_u32_e32 v25, v7, v25
	v_add_nc_u32_e32 v96, 4, v82
	s_waitcnt lgkmcnt(0)
	v_add_nc_u32_e32 v9, v6, v9
	s_delay_alu instid0(VALU_DEP_2) | instskip(SKIP_1) | instid1(VALU_DEP_3)
	v_cmp_gt_u32_e32 vcc_lo, v96, v26
	v_cndmask_b32_e32 v7, v25, v7, vcc_lo
	v_cndmask_b32_e32 v6, v9, v6, vcc_lo
	v_cmp_gt_u32_e32 vcc_lo, 16, v82
	ds_bpermute_b32 v25, v97, v7
	ds_bpermute_b32 v9, v97, v6
	v_cndmask_b32_e64 v27, 0, 1, vcc_lo
	s_delay_alu instid0(VALU_DEP_1) | instskip(NEXT) | instid1(VALU_DEP_1)
	v_lshlrev_b32_e32 v27, 4, v27
	v_add_lshl_u32 v99, v27, v82, 2
	s_waitcnt lgkmcnt(1)
	v_add_nc_u32_e32 v25, v7, v25
	v_add_nc_u32_e32 v98, 8, v82
	s_waitcnt lgkmcnt(0)
	v_add_nc_u32_e32 v9, v6, v9
	s_delay_alu instid0(VALU_DEP_2) | instskip(SKIP_1) | instid1(VALU_DEP_3)
	v_cmp_gt_u32_e32 vcc_lo, v98, v26
	v_cndmask_b32_e32 v7, v25, v7, vcc_lo
	v_cndmask_b32_e32 v6, v9, v6, vcc_lo
	ds_bpermute_b32 v25, v99, v7
	ds_bpermute_b32 v9, v99, v6
	v_add_nc_u32_e32 v100, 16, v82
	s_delay_alu instid0(VALU_DEP_1) | instskip(SKIP_2) | instid1(VALU_DEP_1)
	v_cmp_le_u32_e32 vcc_lo, v100, v26
	s_waitcnt lgkmcnt(0)
	v_cndmask_b32_e32 v9, 0, v9, vcc_lo
	v_dual_cndmask_b32 v25, 0, v25 :: v_dual_add_nc_u32 v6, v9, v6
	s_delay_alu instid0(VALU_DEP_1)
	v_add_nc_u32_e32 v7, v25, v7
	v_mov_b32_e32 v25, 0
	s_branch .LBB343_110
.LBB343_109:                            ;   in Loop: Header=BB343_110 Depth=1
	s_or_b32 exec_lo, exec_lo, s7
	ds_bpermute_b32 v9, v91, v6
	ds_bpermute_b32 v28, v91, v7
	v_subrev_nc_u32_e32 v24, 32, v24
	s_waitcnt lgkmcnt(1)
	v_add_nc_u32_e32 v9, v9, v6
	v_and_b32_e32 v29, 0xff, v8
	s_waitcnt lgkmcnt(0)
	v_add_nc_u32_e32 v28, v28, v7
	s_delay_alu instid0(VALU_DEP_2) | instskip(SKIP_1) | instid1(VALU_DEP_1)
	v_cmp_eq_u16_e32 vcc_lo, 2, v29
	v_and_or_b32 v29, vcc_lo, v92, 0x80000000
	v_ctz_i32_b32_e32 v29, v29
	s_delay_alu instid0(VALU_DEP_1)
	v_cmp_lt_u32_e32 vcc_lo, v82, v29
	v_cndmask_b32_e32 v6, v6, v9, vcc_lo
	ds_bpermute_b32 v9, v93, v6
	s_waitcnt lgkmcnt(0)
	v_add_nc_u32_e32 v9, v6, v9
	v_cndmask_b32_e32 v7, v7, v28, vcc_lo
	v_cmp_gt_u32_e32 vcc_lo, v94, v29
	s_delay_alu instid0(VALU_DEP_3)
	v_cndmask_b32_e32 v6, v9, v6, vcc_lo
	ds_bpermute_b32 v28, v93, v7
	ds_bpermute_b32 v9, v95, v6
	s_waitcnt lgkmcnt(1)
	v_add_nc_u32_e32 v28, v7, v28
	s_waitcnt lgkmcnt(0)
	v_add_nc_u32_e32 v9, v6, v9
	s_delay_alu instid0(VALU_DEP_2) | instskip(SKIP_1) | instid1(VALU_DEP_3)
	v_cndmask_b32_e32 v7, v28, v7, vcc_lo
	v_cmp_gt_u32_e32 vcc_lo, v96, v29
	v_cndmask_b32_e32 v6, v9, v6, vcc_lo
	ds_bpermute_b32 v28, v95, v7
	ds_bpermute_b32 v9, v97, v6
	s_waitcnt lgkmcnt(1)
	v_add_nc_u32_e32 v28, v7, v28
	s_waitcnt lgkmcnt(0)
	v_add_nc_u32_e32 v9, v6, v9
	s_delay_alu instid0(VALU_DEP_2) | instskip(SKIP_1) | instid1(VALU_DEP_3)
	v_cndmask_b32_e32 v7, v28, v7, vcc_lo
	v_cmp_gt_u32_e32 vcc_lo, v98, v29
	v_cndmask_b32_e32 v6, v9, v6, vcc_lo
	ds_bpermute_b32 v28, v97, v7
	ds_bpermute_b32 v9, v99, v6
	s_waitcnt lgkmcnt(1)
	v_add_nc_u32_e32 v28, v7, v28
	s_delay_alu instid0(VALU_DEP_1) | instskip(SKIP_4) | instid1(VALU_DEP_1)
	v_cndmask_b32_e32 v7, v28, v7, vcc_lo
	v_cmp_le_u32_e32 vcc_lo, v100, v29
	ds_bpermute_b32 v28, v99, v7
	s_waitcnt lgkmcnt(1)
	v_cndmask_b32_e32 v9, 0, v9, vcc_lo
	v_add3_u32 v6, v6, v26, v9
	s_waitcnt lgkmcnt(0)
	v_cndmask_b32_e32 v28, 0, v28, vcc_lo
	s_delay_alu instid0(VALU_DEP_1)
	v_add3_u32 v7, v7, v27, v28
.LBB343_110:                            ; =>This Loop Header: Depth=1
                                        ;     Child Loop BB343_113 Depth 2
                                        ;       Child Loop BB343_114 Depth 3
	s_delay_alu instid0(VALU_DEP_1) | instskip(SKIP_1) | instid1(VALU_DEP_2)
	v_dual_mov_b32 v27, v7 :: v_dual_and_b32 v8, 0xff, v8
	v_mov_b32_e32 v26, v6
	v_cmp_ne_u16_e32 vcc_lo, 2, v8
	v_cndmask_b32_e64 v8, 0, 1, vcc_lo
	;;#ASMSTART
	;;#ASMEND
	s_delay_alu instid0(VALU_DEP_1)
	v_cmp_ne_u32_e32 vcc_lo, 0, v8
	s_cmp_lg_u32 vcc_lo, exec_lo
	s_cbranch_scc1 .LBB343_117
; %bb.111:                              ;   in Loop: Header=BB343_110 Depth=1
	v_lshlrev_b64 v[6:7], 4, v[24:25]
	s_mov_b32 s7, exec_lo
	s_delay_alu instid0(VALU_DEP_1) | instskip(NEXT) | instid1(VALU_DEP_2)
	v_add_co_u32 v28, vcc_lo, s36, v6
	v_add_co_ci_u32_e32 v29, vcc_lo, s37, v7, vcc_lo
	;;#ASMSTART
	global_load_dwordx4 v[6:9], v[28:29] off glc	
s_waitcnt vmcnt(0)
	;;#ASMEND
	v_and_b32_e32 v9, 0xff, v7
	v_and_b32_e32 v101, 0xff00, v7
	v_or3_b32 v6, v6, 0, 0
	v_and_b32_e32 v102, 0xff000000, v7
	v_and_b32_e32 v7, 0xff0000, v7
	s_delay_alu instid0(VALU_DEP_4) | instskip(SKIP_2) | instid1(VALU_DEP_3)
	v_or3_b32 v9, 0, v9, v101
	v_and_b32_e32 v101, 0xff, v8
	v_or3_b32 v6, v6, 0, 0
	v_or3_b32 v7, v9, v7, v102
	s_delay_alu instid0(VALU_DEP_3)
	v_cmpx_eq_u16_e32 0, v101
	s_cbranch_execz .LBB343_109
; %bb.112:                              ;   in Loop: Header=BB343_110 Depth=1
	s_mov_b32 s9, 1
	s_mov_b32 s8, 0
	.p2align	6
.LBB343_113:                            ;   Parent Loop BB343_110 Depth=1
                                        ; =>  This Loop Header: Depth=2
                                        ;       Child Loop BB343_114 Depth 3
	s_max_u32 s10, s9, 1
.LBB343_114:                            ;   Parent Loop BB343_110 Depth=1
                                        ;     Parent Loop BB343_113 Depth=2
                                        ; =>    This Inner Loop Header: Depth=3
	s_delay_alu instid0(SALU_CYCLE_1)
	s_add_i32 s10, s10, -1
	s_sleep 1
	s_cmp_eq_u32 s10, 0
	s_cbranch_scc0 .LBB343_114
; %bb.115:                              ;   in Loop: Header=BB343_113 Depth=2
	;;#ASMSTART
	global_load_dwordx4 v[6:9], v[28:29] off glc	
s_waitcnt vmcnt(0)
	;;#ASMEND
	v_and_b32_e32 v9, 0xff, v8
	s_cmp_lt_u32 s9, 32
	s_cselect_b32 s10, -1, 0
	s_delay_alu instid0(SALU_CYCLE_1) | instskip(NEXT) | instid1(VALU_DEP_1)
	s_cmp_lg_u32 s10, 0
	v_cmp_ne_u16_e32 vcc_lo, 0, v9
	s_addc_u32 s9, s9, 0
	s_or_b32 s8, vcc_lo, s8
	s_delay_alu instid0(SALU_CYCLE_1)
	s_and_not1_b32 exec_lo, exec_lo, s8
	s_cbranch_execnz .LBB343_113
; %bb.116:                              ;   in Loop: Header=BB343_110 Depth=1
	s_or_b32 exec_lo, exec_lo, s8
	s_branch .LBB343_109
.LBB343_117:                            ;   in Loop: Header=BB343_110 Depth=1
                                        ; implicit-def: $vgpr8
                                        ; implicit-def: $vgpr6_vgpr7
	s_cbranch_execz .LBB343_110
; %bb.118:
	s_and_saveexec_b32 s7, s3
	s_cbranch_execnz .LBB343_361
; %bb.119:
	s_or_b32 exec_lo, exec_lo, s7
	s_and_saveexec_b32 s7, s3
	s_cbranch_execnz .LBB343_362
.LBB343_120:
	s_or_b32 exec_lo, exec_lo, s7
	s_delay_alu instid0(SALU_CYCLE_1)
	s_and_b32 exec_lo, exec_lo, s2
	s_cbranch_execz .LBB343_122
.LBB343_121:
	v_mov_b32_e32 v5, 0
	ds_store_b64 v5, v[26:27] offset:56
.LBB343_122:
	s_or_b32 exec_lo, exec_lo, s5
	s_waitcnt lgkmcnt(1)
	v_cndmask_b32_e64 v22, v89, v22, s3
	v_mov_b32_e32 v5, 0
	s_waitcnt lgkmcnt(0)
	s_barrier
	buffer_gl0_inv
	v_add_nc_u32_e64 v7, 0x3400, 0
	ds_load_b64 v[24:25], v5 offset:56
	s_waitcnt lgkmcnt(0)
	s_barrier
	buffer_gl0_inv
	ds_load_2addr_b32 v[5:6], v7 offset1:2
	ds_load_2addr_b32 v[7:8], v7 offset0:4 offset1:6
	v_cndmask_b32_e64 v9, v90, v23, s3
	v_add_nc_u32_e32 v22, v24, v22
	s_delay_alu instid0(VALU_DEP_2) | instskip(NEXT) | instid1(VALU_DEP_2)
	v_add_nc_u32_e32 v9, v25, v9
	v_cndmask_b32_e64 v22, v22, v24, s2
	s_delay_alu instid0(VALU_DEP_2)
	v_cndmask_b32_e64 v9, v9, v25, s2
	s_branch .LBB343_133
.LBB343_123:
                                        ; implicit-def: $vgpr9
                                        ; implicit-def: $vgpr7
                                        ; implicit-def: $vgpr5
                                        ; implicit-def: $vgpr22_vgpr23
	s_and_b32 vcc_lo, exec_lo, s5
	s_cbranch_vccz .LBB343_133
; %bb.124:
	s_waitcnt lgkmcnt(1)
	v_mov_b32_dpp v6, v88 row_shr:1 row_mask:0xf bank_mask:0xf
	v_cmp_lt_u32_e32 vcc_lo, 3, v86
	v_mov_b32_dpp v5, v87 row_shr:1 row_mask:0xf bank_mask:0xf
	s_delay_alu instid0(VALU_DEP_3) | instskip(NEXT) | instid1(VALU_DEP_1)
	v_add_nc_u32_e32 v6, v6, v88
	v_cndmask_b32_e64 v6, v6, v88, s1
	s_waitcnt lgkmcnt(0)
	s_delay_alu instid0(VALU_DEP_1) | instskip(NEXT) | instid1(VALU_DEP_1)
	v_mov_b32_dpp v8, v6 row_shr:2 row_mask:0xf bank_mask:0xf
	v_add_nc_u32_e32 v8, v6, v8
	s_delay_alu instid0(VALU_DEP_1) | instskip(NEXT) | instid1(VALU_DEP_1)
	v_cndmask_b32_e64 v6, v6, v8, s0
	v_mov_b32_dpp v8, v6 row_shr:4 row_mask:0xf bank_mask:0xf
	s_delay_alu instid0(VALU_DEP_1) | instskip(NEXT) | instid1(VALU_DEP_1)
	v_add_nc_u32_e32 v8, v6, v8
	v_dual_cndmask_b32 v6, v6, v8 :: v_dual_add_nc_u32 v5, v5, v87
	s_delay_alu instid0(VALU_DEP_1) | instskip(NEXT) | instid1(VALU_DEP_2)
	v_cndmask_b32_e64 v5, v5, v87, s1
	v_mov_b32_dpp v8, v6 row_shr:8 row_mask:0xf bank_mask:0xf
	s_delay_alu instid0(VALU_DEP_2) | instskip(NEXT) | instid1(VALU_DEP_2)
	v_mov_b32_dpp v7, v5 row_shr:2 row_mask:0xf bank_mask:0xf
	v_add_nc_u32_e32 v8, v6, v8
	s_delay_alu instid0(VALU_DEP_2) | instskip(NEXT) | instid1(VALU_DEP_1)
	v_add_nc_u32_e32 v7, v5, v7
	v_cndmask_b32_e64 v5, v5, v7, s0
	s_mov_b32 s0, exec_lo
	s_delay_alu instid0(VALU_DEP_1) | instskip(NEXT) | instid1(VALU_DEP_1)
	v_mov_b32_dpp v7, v5 row_shr:4 row_mask:0xf bank_mask:0xf
	v_add_nc_u32_e32 v7, v5, v7
	s_delay_alu instid0(VALU_DEP_1) | instskip(SKIP_1) | instid1(VALU_DEP_2)
	v_cndmask_b32_e32 v5, v5, v7, vcc_lo
	v_cmp_lt_u32_e32 vcc_lo, 7, v86
	v_mov_b32_dpp v7, v5 row_shr:8 row_mask:0xf bank_mask:0xf
	s_delay_alu instid0(VALU_DEP_1) | instskip(NEXT) | instid1(VALU_DEP_1)
	v_dual_cndmask_b32 v6, v6, v8 :: v_dual_add_nc_u32 v7, v5, v7
	v_cndmask_b32_e32 v5, v5, v7, vcc_lo
	ds_swizzle_b32 v7, v6 offset:swizzle(BROADCAST,32,15)
	v_cmp_eq_u32_e32 vcc_lo, 0, v85
	ds_swizzle_b32 v8, v5 offset:swizzle(BROADCAST,32,15)
	s_waitcnt lgkmcnt(1)
	v_add_nc_u32_e32 v7, v6, v7
	s_waitcnt lgkmcnt(0)
	v_add_nc_u32_e32 v8, v5, v8
	s_delay_alu instid0(VALU_DEP_1)
	v_dual_cndmask_b32 v6, v7, v6 :: v_dual_cndmask_b32 v5, v8, v5
	v_cmpx_eq_u32_e64 v84, v0
	s_cbranch_execz .LBB343_126
; %bb.125:
	v_lshlrev_b32_e32 v7, 3, v83
	ds_store_b64 v7, v[5:6]
.LBB343_126:
	s_or_b32 exec_lo, exec_lo, s0
	s_delay_alu instid0(SALU_CYCLE_1)
	s_mov_b32 s0, exec_lo
	s_waitcnt lgkmcnt(0)
	s_barrier
	buffer_gl0_inv
	v_cmpx_gt_u32_e32 8, v0
	s_cbranch_execz .LBB343_128
; %bb.127:
	v_lshlrev_b32_e32 v9, 3, v0
	ds_load_b64 v[7:8], v9
	s_waitcnt lgkmcnt(0)
	v_mov_b32_dpp v22, v7 row_shr:1 row_mask:0xf bank_mask:0xf
	v_mov_b32_dpp v23, v8 row_shr:1 row_mask:0xf bank_mask:0xf
	s_delay_alu instid0(VALU_DEP_2) | instskip(SKIP_1) | instid1(VALU_DEP_3)
	v_add_nc_u32_e32 v22, v22, v7
	v_and_b32_e32 v24, 7, v82
	v_add_nc_u32_e32 v23, v23, v8
	s_delay_alu instid0(VALU_DEP_2) | instskip(NEXT) | instid1(VALU_DEP_2)
	v_cmp_eq_u32_e32 vcc_lo, 0, v24
	v_dual_cndmask_b32 v8, v23, v8 :: v_dual_cndmask_b32 v7, v22, v7
	v_cmp_lt_u32_e32 vcc_lo, 1, v24
	s_delay_alu instid0(VALU_DEP_2) | instskip(NEXT) | instid1(VALU_DEP_3)
	v_mov_b32_dpp v23, v8 row_shr:2 row_mask:0xf bank_mask:0xf
	v_mov_b32_dpp v22, v7 row_shr:2 row_mask:0xf bank_mask:0xf
	s_delay_alu instid0(VALU_DEP_2) | instskip(NEXT) | instid1(VALU_DEP_2)
	v_add_nc_u32_e32 v23, v8, v23
	v_add_nc_u32_e32 v22, v7, v22
	s_delay_alu instid0(VALU_DEP_1) | instskip(SKIP_1) | instid1(VALU_DEP_2)
	v_dual_cndmask_b32 v8, v8, v23 :: v_dual_cndmask_b32 v7, v7, v22
	v_cmp_lt_u32_e32 vcc_lo, 3, v24
	v_mov_b32_dpp v23, v8 row_shr:4 row_mask:0xf bank_mask:0xf
	s_delay_alu instid0(VALU_DEP_3) | instskip(NEXT) | instid1(VALU_DEP_1)
	v_mov_b32_dpp v22, v7 row_shr:4 row_mask:0xf bank_mask:0xf
	v_dual_cndmask_b32 v23, 0, v23 :: v_dual_cndmask_b32 v22, 0, v22
	s_delay_alu instid0(VALU_DEP_1) | instskip(NEXT) | instid1(VALU_DEP_2)
	v_add_nc_u32_e32 v8, v23, v8
	v_add_nc_u32_e32 v7, v22, v7
	ds_store_b64 v9, v[7:8]
.LBB343_128:
	s_or_b32 exec_lo, exec_lo, s0
	v_dual_mov_b32 v7, 0 :: v_dual_mov_b32 v22, 0
	v_mov_b32_e32 v23, 0
	s_mov_b32 s0, exec_lo
	s_waitcnt lgkmcnt(0)
	s_barrier
	buffer_gl0_inv
	v_cmpx_lt_u32_e32 31, v0
	s_cbranch_execz .LBB343_130
; %bb.129:
	v_lshl_add_u32 v8, v83, 3, -8
	ds_load_b64 v[22:23], v8
.LBB343_130:
	s_or_b32 exec_lo, exec_lo, s0
	v_add_nc_u32_e32 v8, -1, v82
	s_waitcnt lgkmcnt(0)
	v_add_nc_u32_e32 v24, v23, v6
	v_add_nc_u32_e32 v9, v22, v5
	ds_load_b64 v[5:6], v7 offset:56
	v_cmp_gt_i32_e32 vcc_lo, 0, v8
	v_cndmask_b32_e32 v8, v8, v82, vcc_lo
	s_delay_alu instid0(VALU_DEP_1)
	v_lshlrev_b32_e32 v8, 2, v8
	ds_bpermute_b32 v9, v8, v9
	ds_bpermute_b32 v24, v8, v24
	s_waitcnt lgkmcnt(2)
	v_readfirstlane_b32 s0, v6
	s_and_saveexec_b32 s1, s2
	s_cbranch_execz .LBB343_132
; %bb.131:
	s_mov_b32 s8, 0
	s_add_u32 s6, s36, 0x200
	s_addc_u32 s7, s37, 0
	s_and_b32 s9, s0, 0xff000000
	s_and_b32 s11, s0, 0xff0000
	s_mov_b32 s10, s8
	v_mov_b32_e32 v26, s7
	s_or_b64 s[10:11], s[10:11], s[8:9]
	s_and_b32 s9, s0, 0xff00
	v_dual_mov_b32 v8, 0 :: v_dual_mov_b32 v25, s6
	s_or_b64 s[10:11], s[10:11], s[8:9]
	s_and_b32 s9, s0, 0xff
	v_mov_b32_e32 v7, 2
	s_or_b64 s[8:9], s[10:11], s[8:9]
	s_delay_alu instid0(SALU_CYCLE_1)
	v_mov_b32_e32 v6, s9
	;;#ASMSTART
	global_store_dwordx4 v[25:26], v[5:8] off	
s_waitcnt vmcnt(0)
	;;#ASMEND
.LBB343_132:
	s_or_b32 exec_lo, exec_lo, s1
	v_cmp_eq_u32_e32 vcc_lo, 0, v82
	v_dual_mov_b32 v7, 0 :: v_dual_mov_b32 v6, s0
	s_waitcnt lgkmcnt(0)
	s_barrier
	v_dual_cndmask_b32 v8, v9, v22 :: v_dual_cndmask_b32 v9, v24, v23
	buffer_gl0_inv
	v_cndmask_b32_e64 v22, v8, 0, s2
	v_cndmask_b32_e64 v9, v9, 0, s2
	v_mov_b32_e32 v8, 0
.LBB343_133:
	s_delay_alu instid0(VALU_DEP_1) | instskip(SKIP_1) | instid1(VALU_DEP_2)
	v_add_nc_u32_e32 v24, v9, v81
	s_waitcnt lgkmcnt(0)
	v_sub_nc_u32_e32 v9, v9, v8
	v_add_co_u32 v1, vcc_lo, v1, v7
	v_and_b32_e32 v35, 1, v35
	v_add_nc_u32_e32 v26, v24, v77
	v_sub_nc_u32_e32 v24, v24, v8
	v_lshlrev_b32_e32 v77, 1, v5
	v_add_nc_u32_e32 v9, v9, v5
	v_add_co_ci_u32_e32 v2, vcc_lo, 0, v2, vcc_lo
	v_add_nc_u32_e32 v28, v26, v79
	s_delay_alu instid0(VALU_DEP_4)
	v_add3_u32 v33, v77, v6, v33
	v_and_b32_e32 v40, 1, v40
	v_and_b32_e32 v37, 1, v37
	;; [unrolled: 1-line block ×3, first 2 shown]
	v_add_nc_u32_e32 v29, v28, v75
	v_sub_nc_u32_e32 v28, v28, v8
	v_sub_co_u32 v75, vcc_lo, v3, v5
	s_add_u32 s1, s14, -4
	s_delay_alu instid0(VALU_DEP_3) | instskip(SKIP_4) | instid1(VALU_DEP_3)
	v_add_nc_u32_e32 v73, v29, v73
	v_sub_nc_u32_e32 v29, v29, v8
	v_add_nc_u32_e32 v28, v28, v5
	v_add_nc_u32_e32 v24, v24, v5
	s_mov_b32 s3, -1
	v_add_nc_u32_e32 v29, v29, v5
	v_add_nc_u32_e32 v23, v22, v80
	v_sub_nc_u32_e32 v22, v22, v7
	s_delay_alu instid0(VALU_DEP_2) | instskip(SKIP_3) | instid1(VALU_DEP_3)
	v_add_nc_u32_e32 v25, v23, v76
	v_sub_nc_u32_e32 v23, v23, v7
	v_subrev_co_ci_u32_e32 v76, vcc_lo, 0, v4, vcc_lo
	v_cmp_eq_u32_e32 vcc_lo, 1, v35
	v_add_nc_u32_e32 v79, v24, v23
	s_delay_alu instid0(VALU_DEP_1) | instskip(NEXT) | instid1(VALU_DEP_1)
	v_sub_nc_u32_e32 v79, v33, v79
	v_add_nc_u32_e32 v79, 1, v79
	v_add_nc_u32_e32 v27, v25, v78
	;; [unrolled: 1-line block ×3, first 2 shown]
	s_delay_alu instid0(VALU_DEP_1) | instskip(NEXT) | instid1(VALU_DEP_1)
	v_sub_nc_u32_e32 v78, v33, v78
	v_dual_cndmask_b32 v9, v78, v9 :: v_dual_and_b32 v34, 1, v34
	v_cmp_eq_u32_e32 vcc_lo, 1, v40
	v_cndmask_b32_e32 v24, v79, v24, vcc_lo
	s_delay_alu instid0(VALU_DEP_3) | instskip(NEXT) | instid1(VALU_DEP_4)
	v_cmp_eq_u32_e32 vcc_lo, 1, v34
	v_cndmask_b32_e32 v9, v9, v22, vcc_lo
	v_sub_nc_u32_e32 v26, v26, v8
	v_cmp_eq_u32_e32 vcc_lo, 1, v37
	v_and_b32_e32 v37, 1, v38
	s_delay_alu instid0(VALU_DEP_4) | instskip(NEXT) | instid1(VALU_DEP_4)
	v_lshlrev_b32_e32 v9, 2, v9
	v_add_nc_u32_e32 v26, v26, v5
	v_cndmask_b32_e32 v24, v24, v23, vcc_lo
	v_sub_nc_u32_e32 v25, v25, v7
	v_add_co_u32 v22, vcc_lo, v75, v8
	v_add_co_ci_u32_e32 v23, vcc_lo, 0, v76, vcc_lo
	s_delay_alu instid0(VALU_DEP_3)
	v_add_nc_u32_e32 v34, v26, v25
	v_cmp_eq_u32_e32 vcc_lo, 1, v37
	v_lshlrev_b32_e32 v24, 2, v24
	ds_store_b32 v9, v20
	v_sub_nc_u32_e32 v34, v33, v34
	ds_store_b32 v24, v21
	v_and_b32_e32 v24, 1, v39
	v_add_nc_u32_e32 v34, 2, v34
	s_delay_alu instid0(VALU_DEP_1) | instskip(SKIP_3) | instid1(VALU_DEP_4)
	v_cndmask_b32_e32 v26, v34, v26, vcc_lo
	v_cmp_eq_u32_e32 vcc_lo, 1, v36
	v_add_nc_u32_e32 v74, v27, v74
	v_sub_nc_u32_e32 v27, v27, v7
	v_cndmask_b32_e32 v25, v26, v25, vcc_lo
	s_delay_alu instid0(VALU_DEP_3) | instskip(NEXT) | instid1(VALU_DEP_3)
	v_sub_nc_u32_e32 v37, v74, v7
	v_add_nc_u32_e32 v34, v27, v28
	v_cmp_eq_u32_e32 vcc_lo, 1, v24
	v_sub_nc_u32_e32 v26, v73, v8
	v_lshlrev_b32_e32 v21, 2, v25
	v_and_b32_e32 v25, 1, v41
	v_sub_nc_u32_e32 v9, v33, v34
	v_add_nc_u32_e32 v20, v37, v29
	v_and_b32_e32 v24, 1, v42
	v_add_nc_u32_e32 v26, v26, v5
	ds_store_b32 v21, v18
	v_add_nc_u32_e32 v9, 3, v9
	v_sub_nc_u32_e32 v20, v33, v20
	s_delay_alu instid0(VALU_DEP_2) | instskip(SKIP_2) | instid1(VALU_DEP_4)
	v_cndmask_b32_e32 v9, v9, v28, vcc_lo
	v_cmp_eq_u32_e32 vcc_lo, 1, v25
	v_add_nc_u32_e32 v72, v74, v72
	v_add_nc_u32_e32 v20, 4, v20
	v_and_b32_e32 v25, 1, v43
	v_cndmask_b32_e32 v9, v9, v27, vcc_lo
	s_delay_alu instid0(VALU_DEP_4)
	v_sub_nc_u32_e32 v28, v72, v7
	v_cmp_eq_u32_e32 vcc_lo, 1, v24
	v_and_b32_e32 v24, 1, v44
	v_add_nc_u32_e32 v70, v72, v70
	v_lshlrev_b32_e32 v9, 2, v9
	v_add_nc_u32_e32 v27, v28, v26
	v_cndmask_b32_e32 v20, v20, v29, vcc_lo
	v_cmp_eq_u32_e32 vcc_lo, 1, v25
	v_and_b32_e32 v25, 1, v45
	v_add_nc_u32_e32 v64, v70, v64
	v_sub_nc_u32_e32 v18, v33, v27
	v_sub_nc_u32_e32 v27, v70, v7
	v_cndmask_b32_e32 v20, v20, v37, vcc_lo
	v_cmp_eq_u32_e32 vcc_lo, 1, v24
	ds_store_b32 v9, v19
	v_add_nc_u32_e32 v18, 5, v18
	v_and_b32_e32 v19, 1, v46
	v_lshlrev_b32_e32 v20, 2, v20
	v_add_nc_u32_e32 v68, v64, v68
	s_delay_alu instid0(VALU_DEP_4)
	v_cndmask_b32_e32 v18, v18, v26, vcc_lo
	v_cmp_eq_u32_e32 vcc_lo, 1, v25
	v_sub_nc_u32_e32 v25, v64, v7
	ds_store_b32 v20, v16
	v_and_b32_e32 v20, 1, v49
	v_add_nc_u32_e32 v66, v68, v66
	v_dual_cndmask_b32 v18, v18, v28 :: v_dual_add_nc_u32 v71, v73, v71
	v_cmp_eq_u32_e32 vcc_lo, 1, v19
	v_and_b32_e32 v19, 1, v48
	s_delay_alu instid0(VALU_DEP_4) | instskip(NEXT) | instid1(VALU_DEP_4)
	v_add_nc_u32_e32 v61, v66, v61
	v_lshlrev_b32_e32 v18, 2, v18
	v_add_nc_u32_e32 v65, v71, v65
	v_sub_nc_u32_e32 v21, v71, v8
	s_delay_alu instid0(VALU_DEP_4)
	v_add_nc_u32_e32 v60, v61, v60
	ds_store_b32 v18, v17
	v_sub_nc_u32_e32 v24, v65, v8
	v_add_nc_u32_e32 v21, v21, v5
	v_add_nc_u32_e32 v69, v65, v69
	v_and_b32_e32 v17, 1, v47
	s_delay_alu instid0(VALU_DEP_4) | instskip(NEXT) | instid1(VALU_DEP_4)
	v_add_nc_u32_e32 v24, v24, v5
	v_add_nc_u32_e32 v26, v27, v21
	s_delay_alu instid0(VALU_DEP_4) | instskip(NEXT) | instid1(VALU_DEP_3)
	v_sub_nc_u32_e32 v18, v69, v8
	v_add_nc_u32_e32 v16, v25, v24
	s_delay_alu instid0(VALU_DEP_3) | instskip(NEXT) | instid1(VALU_DEP_3)
	v_sub_nc_u32_e32 v9, v33, v26
	v_add_nc_u32_e32 v18, v18, v5
	v_sub_nc_u32_e32 v26, v60, v7
	s_delay_alu instid0(VALU_DEP_4) | instskip(NEXT) | instid1(VALU_DEP_4)
	v_sub_nc_u32_e32 v16, v33, v16
	v_add_nc_u32_e32 v9, 6, v9
	s_delay_alu instid0(VALU_DEP_1) | instskip(SKIP_2) | instid1(VALU_DEP_3)
	v_dual_cndmask_b32 v9, v9, v21 :: v_dual_add_nc_u32 v16, 7, v16
	v_cmp_eq_u32_e32 vcc_lo, 1, v19
	v_sub_nc_u32_e32 v21, v68, v7
	v_cndmask_b32_e32 v16, v16, v24, vcc_lo
	v_cmp_eq_u32_e32 vcc_lo, 1, v17
	s_delay_alu instid0(VALU_DEP_3) | instskip(SKIP_3) | instid1(VALU_DEP_4)
	v_add_nc_u32_e32 v17, v21, v18
	v_cndmask_b32_e32 v9, v9, v27, vcc_lo
	v_cmp_eq_u32_e32 vcc_lo, 1, v20
	v_add_nc_u32_e32 v67, v69, v67
	v_sub_nc_u32_e32 v17, v33, v17
	v_sub_nc_u32_e32 v20, v66, v7
	v_lshlrev_b32_e32 v9, 2, v9
	v_cndmask_b32_e32 v16, v16, v25, vcc_lo
	v_sub_nc_u32_e32 v19, v67, v8
	v_add_nc_u32_e32 v62, v67, v62
	v_sub_nc_u32_e32 v25, v61, v7
	ds_store_b32 v9, v14
	v_and_b32_e32 v9, 1, v50
	v_add_nc_u32_e32 v19, v19, v5
	v_add_nc_u32_e32 v14, 8, v17
	v_lshlrev_b32_e32 v16, 2, v16
	v_add_nc_u32_e32 v63, v62, v63
	v_cmp_eq_u32_e32 vcc_lo, 1, v9
	v_add_nc_u32_e32 v17, v20, v19
	ds_store_b32 v16, v15
	v_and_b32_e32 v15, 1, v51
	v_cndmask_b32_e32 v9, v14, v18, vcc_lo
	v_sub_nc_u32_e32 v14, v33, v17
	v_and_b32_e32 v18, 1, v52
	v_sub_nc_u32_e32 v17, v62, v8
	v_and_b32_e32 v16, 1, v54
	v_sub_nc_u32_e32 v24, v63, v8
	v_add_nc_u32_e32 v14, 9, v14
	v_cmp_eq_u32_e32 vcc_lo, 1, v18
	v_add_nc_u32_e32 v17, v17, v5
	v_add_nc_u32_e32 v35, v63, v59
	;; [unrolled: 1-line block ×3, first 2 shown]
	v_cndmask_b32_e32 v14, v14, v19, vcc_lo
	v_cmp_eq_u32_e32 vcc_lo, 1, v15
	v_add_nc_u32_e32 v15, v25, v17
	s_delay_alu instid0(VALU_DEP_4)
	v_add_nc_u32_e32 v18, v26, v24
	v_and_b32_e32 v19, 1, v55
	v_cndmask_b32_e32 v9, v9, v21, vcc_lo
	v_cmp_eq_u32_e32 vcc_lo, 1, v16
	v_sub_nc_u32_e32 v15, v33, v15
	v_sub_nc_u32_e32 v18, v33, v18
	v_and_b32_e32 v21, 1, v57
	v_sub_nc_u32_e32 v16, v35, v8
	v_cndmask_b32_e32 v14, v14, v20, vcc_lo
	v_and_b32_e32 v20, 1, v53
	v_add_nc_u32_e32 v15, 10, v15
	v_add_nc_u32_e32 v18, 11, v18
	;; [unrolled: 1-line block ×3, first 2 shown]
	v_lshlrev_b32_e32 v9, 2, v9
	v_cmp_eq_u32_e32 vcc_lo, 1, v20
	v_dual_cndmask_b32 v15, v15, v17 :: v_dual_lshlrev_b32 v14, 2, v14
	v_cmp_eq_u32_e32 vcc_lo, 1, v21
	v_and_b32_e32 v17, 1, v56
	v_cndmask_b32_e32 v18, v18, v24, vcc_lo
	v_cmp_eq_u32_e32 vcc_lo, 1, v19
	v_cndmask_b32_e32 v15, v15, v25, vcc_lo
	s_delay_alu instid0(VALU_DEP_4) | instskip(NEXT) | instid1(VALU_DEP_2)
	v_cmp_eq_u32_e32 vcc_lo, 1, v17
	v_lshlrev_b32_e32 v15, 2, v15
	v_cndmask_b32_e32 v17, v18, v26, vcc_lo
	v_add_nc_u32_e32 v40, v60, v58
	s_delay_alu instid0(VALU_DEP_2) | instskip(NEXT) | instid1(VALU_DEP_2)
	v_lshlrev_b32_e32 v17, 2, v17
	v_sub_nc_u32_e32 v7, v40, v7
	ds_store_b32 v9, v12
	ds_store_b32 v14, v13
	;; [unrolled: 1-line block ×4, first 2 shown]
	v_add_co_u32 v9, s0, v6, v77
	s_delay_alu instid0(VALU_DEP_1) | instskip(SKIP_1) | instid1(VALU_DEP_3)
	v_add_co_ci_u32_e64 v10, null, 0, 0, s0
	v_add_nc_u32_e32 v27, v7, v16
	v_add_co_u32 v9, vcc_lo, v9, v22
	s_delay_alu instid0(VALU_DEP_3) | instskip(NEXT) | instid1(VALU_DEP_3)
	v_add_co_ci_u32_e32 v10, vcc_lo, v10, v23, vcc_lo
	v_sub_nc_u32_e32 v20, v33, v27
	v_add_co_u32 v11, s0, s34, v30
	s_delay_alu instid0(VALU_DEP_4) | instskip(NEXT) | instid1(VALU_DEP_3)
	v_add_co_u32 v9, vcc_lo, v9, v1
	v_add_nc_u32_e32 v18, 12, v20
	v_add_co_ci_u32_e64 v12, null, s35, 0, s0
	v_add_co_ci_u32_e32 v10, vcc_lo, v10, v2, vcc_lo
	s_delay_alu instid0(VALU_DEP_3) | instskip(SKIP_1) | instid1(VALU_DEP_2)
	v_cndmask_b32_e64 v16, v18, v16, s33
	v_add_nc_u32_e32 v14, v5, v6
	v_cndmask_b32_e64 v7, v16, v7, s27
	s_delay_alu instid0(VALU_DEP_1)
	v_lshlrev_b32_e32 v7, 2, v7
	ds_store_b32 v7, v32
	v_sub_co_u32 v7, vcc_lo, v11, v9
	v_sub_co_ci_u32_e32 v13, vcc_lo, v12, v10, vcc_lo
	v_lshlrev_b64 v[9:10], 2, v[22:23]
	v_lshlrev_b64 v[11:12], 2, v[1:2]
	s_waitcnt lgkmcnt(0)
	s_barrier
	buffer_gl0_inv
	v_add_co_u32 v9, vcc_lo, s30, v9
	v_add_co_ci_u32_e32 v10, vcc_lo, s31, v10, vcc_lo
	v_cmp_ne_u32_e32 vcc_lo, 1, v31
	v_add_co_u32 v11, s0, s28, v11
	s_delay_alu instid0(VALU_DEP_1)
	v_add_co_ci_u32_e64 v12, s0, s29, v12, s0
	s_addc_u32 s0, s15, -1
	s_cbranch_vccz .LBB343_137
; %bb.134:
	s_and_b32 vcc_lo, exec_lo, s3
	s_cbranch_vccnz .LBB343_242
.LBB343_135:
	s_and_b32 s0, s2, s13
	s_delay_alu instid0(SALU_CYCLE_1)
	s_and_saveexec_b32 s1, s0
	s_cbranch_execnz .LBB343_360
.LBB343_136:
	s_nop 0
	s_sendmsg sendmsg(MSG_DEALLOC_VGPRS)
	s_endpgm
.LBB343_137:
	s_mov_b32 s3, exec_lo
	v_cmpx_le_u32_e64 v5, v0
	s_xor_b32 s3, exec_lo, s3
	s_cbranch_execz .LBB343_143
; %bb.138:
	s_mov_b32 s5, exec_lo
	v_cmpx_le_u32_e64 v14, v0
	s_xor_b32 s5, exec_lo, s5
	s_cbranch_execz .LBB343_140
; %bb.139:
	v_lshlrev_b32_e32 v15, 2, v0
	ds_load_b32 v17, v15
	v_add_co_u32 v15, vcc_lo, v7, v0
	v_add_co_ci_u32_e32 v16, vcc_lo, 0, v13, vcc_lo
	s_delay_alu instid0(VALU_DEP_1) | instskip(NEXT) | instid1(VALU_DEP_1)
	v_lshlrev_b64 v[15:16], 2, v[15:16]
	v_sub_co_u32 v15, vcc_lo, s14, v15
	s_delay_alu instid0(VALU_DEP_2)
	v_sub_co_ci_u32_e32 v16, vcc_lo, s15, v16, vcc_lo
	s_waitcnt lgkmcnt(0)
	global_store_b32 v[15:16], v17, off offset:-4
.LBB343_140:
	s_and_not1_saveexec_b32 s5, s5
	s_cbranch_execz .LBB343_142
; %bb.141:
	v_lshlrev_b32_e32 v15, 2, v0
	v_readfirstlane_b32 s6, v9
	v_readfirstlane_b32 s7, v10
	ds_load_b32 v16, v15
	s_waitcnt lgkmcnt(0)
	global_store_b32 v15, v16, s[6:7]
.LBB343_142:
	s_or_b32 exec_lo, exec_lo, s5
.LBB343_143:
	s_and_not1_saveexec_b32 s3, s3
	s_cbranch_execz .LBB343_145
; %bb.144:
	v_lshlrev_b32_e32 v15, 2, v0
	v_readfirstlane_b32 s6, v11
	v_readfirstlane_b32 s7, v12
	ds_load_b32 v16, v15
	s_waitcnt lgkmcnt(0)
	global_store_b32 v15, v16, s[6:7]
.LBB343_145:
	s_or_b32 exec_lo, exec_lo, s3
	v_or_b32_e32 v15, 0x100, v0
	s_mov_b32 s3, exec_lo
	s_delay_alu instid0(VALU_DEP_1)
	v_cmpx_le_u32_e64 v5, v15
	s_xor_b32 s3, exec_lo, s3
	s_cbranch_execz .LBB343_151
; %bb.146:
	s_mov_b32 s5, exec_lo
	v_cmpx_le_u32_e64 v14, v15
	s_xor_b32 s5, exec_lo, s5
	s_cbranch_execz .LBB343_148
; %bb.147:
	v_lshlrev_b32_e32 v15, 2, v0
	ds_load_b32 v17, v15 offset:1024
	v_add_co_u32 v15, vcc_lo, v7, v0
	v_add_co_ci_u32_e32 v16, vcc_lo, 0, v13, vcc_lo
	s_delay_alu instid0(VALU_DEP_1) | instskip(NEXT) | instid1(VALU_DEP_1)
	v_lshlrev_b64 v[15:16], 2, v[15:16]
	v_sub_co_u32 v15, vcc_lo, s1, v15
	s_delay_alu instid0(VALU_DEP_2)
	v_sub_co_ci_u32_e32 v16, vcc_lo, s0, v16, vcc_lo
	s_waitcnt lgkmcnt(0)
	global_store_b32 v[15:16], v17, off offset:-1024
.LBB343_148:
	s_and_not1_saveexec_b32 s5, s5
	s_cbranch_execz .LBB343_150
; %bb.149:
	v_lshlrev_b32_e32 v15, 2, v0
	v_readfirstlane_b32 s6, v9
	v_readfirstlane_b32 s7, v10
	ds_load_b32 v16, v15 offset:1024
	s_waitcnt lgkmcnt(0)
	global_store_b32 v15, v16, s[6:7] offset:1024
.LBB343_150:
	s_or_b32 exec_lo, exec_lo, s5
.LBB343_151:
	s_and_not1_saveexec_b32 s3, s3
	s_cbranch_execz .LBB343_153
; %bb.152:
	v_lshlrev_b32_e32 v15, 2, v0
	v_readfirstlane_b32 s6, v11
	v_readfirstlane_b32 s7, v12
	ds_load_b32 v16, v15 offset:1024
	s_waitcnt lgkmcnt(0)
	global_store_b32 v15, v16, s[6:7] offset:1024
.LBB343_153:
	s_or_b32 exec_lo, exec_lo, s3
	v_or_b32_e32 v15, 0x200, v0
	s_mov_b32 s3, exec_lo
	s_delay_alu instid0(VALU_DEP_1)
	v_cmpx_le_u32_e64 v5, v15
	s_xor_b32 s3, exec_lo, s3
	s_cbranch_execz .LBB343_159
; %bb.154:
	s_mov_b32 s5, exec_lo
	v_cmpx_le_u32_e64 v14, v15
	s_xor_b32 s5, exec_lo, s5
	s_cbranch_execz .LBB343_156
; %bb.155:
	v_lshlrev_b32_e32 v15, 2, v0
	ds_load_b32 v17, v15 offset:2048
	v_add_co_u32 v15, vcc_lo, v7, v0
	v_add_co_ci_u32_e32 v16, vcc_lo, 0, v13, vcc_lo
	s_delay_alu instid0(VALU_DEP_1) | instskip(NEXT) | instid1(VALU_DEP_1)
	v_lshlrev_b64 v[15:16], 2, v[15:16]
	v_sub_co_u32 v15, vcc_lo, s1, v15
	s_delay_alu instid0(VALU_DEP_2)
	v_sub_co_ci_u32_e32 v16, vcc_lo, s0, v16, vcc_lo
	s_waitcnt lgkmcnt(0)
	global_store_b32 v[15:16], v17, off offset:-2048
.LBB343_156:
	s_and_not1_saveexec_b32 s5, s5
	s_cbranch_execz .LBB343_158
; %bb.157:
	v_lshlrev_b32_e32 v15, 2, v0
	v_readfirstlane_b32 s6, v9
	v_readfirstlane_b32 s7, v10
	ds_load_b32 v16, v15 offset:2048
	s_waitcnt lgkmcnt(0)
	global_store_b32 v15, v16, s[6:7] offset:2048
.LBB343_158:
	s_or_b32 exec_lo, exec_lo, s5
.LBB343_159:
	s_and_not1_saveexec_b32 s3, s3
	s_cbranch_execz .LBB343_161
; %bb.160:
	v_lshlrev_b32_e32 v15, 2, v0
	v_readfirstlane_b32 s6, v11
	v_readfirstlane_b32 s7, v12
	ds_load_b32 v16, v15 offset:2048
	s_waitcnt lgkmcnt(0)
	global_store_b32 v15, v16, s[6:7] offset:2048
.LBB343_161:
	;; [unrolled: 47-line block ×3, first 2 shown]
	s_or_b32 exec_lo, exec_lo, s3
	v_or_b32_e32 v15, 0x400, v0
	s_mov_b32 s3, exec_lo
	s_delay_alu instid0(VALU_DEP_1)
	v_cmpx_le_u32_e64 v5, v15
	s_xor_b32 s3, exec_lo, s3
	s_cbranch_execz .LBB343_175
; %bb.170:
	s_mov_b32 s5, exec_lo
	v_cmpx_le_u32_e64 v14, v15
	s_xor_b32 s5, exec_lo, s5
	s_cbranch_execz .LBB343_172
; %bb.171:
	v_lshlrev_b32_e32 v15, 2, v0
	ds_load_b32 v17, v15 offset:4096
	v_add_co_u32 v15, vcc_lo, v7, v0
	v_add_co_ci_u32_e32 v16, vcc_lo, 0, v13, vcc_lo
	s_delay_alu instid0(VALU_DEP_1) | instskip(NEXT) | instid1(VALU_DEP_1)
	v_lshlrev_b64 v[15:16], 2, v[15:16]
	v_sub_co_u32 v15, vcc_lo, s1, v15
	s_delay_alu instid0(VALU_DEP_2)
	v_sub_co_ci_u32_e32 v16, vcc_lo, s0, v16, vcc_lo
	s_waitcnt lgkmcnt(0)
	global_store_b32 v[15:16], v17, off offset:-4096
                                        ; implicit-def: $vgpr15
.LBB343_172:
	s_and_not1_saveexec_b32 s5, s5
	s_cbranch_execz .LBB343_174
; %bb.173:
	v_lshlrev_b32_e32 v16, 2, v0
	v_lshlrev_b32_e32 v15, 2, v15
	v_readfirstlane_b32 s6, v9
	v_readfirstlane_b32 s7, v10
	ds_load_b32 v16, v16 offset:4096
	s_waitcnt lgkmcnt(0)
	global_store_b32 v15, v16, s[6:7]
.LBB343_174:
	s_or_b32 exec_lo, exec_lo, s5
                                        ; implicit-def: $vgpr15
.LBB343_175:
	s_and_not1_saveexec_b32 s3, s3
	s_cbranch_execz .LBB343_177
; %bb.176:
	v_lshlrev_b32_e32 v16, 2, v0
	v_lshlrev_b32_e32 v15, 2, v15
	v_readfirstlane_b32 s6, v11
	v_readfirstlane_b32 s7, v12
	ds_load_b32 v16, v16 offset:4096
	s_waitcnt lgkmcnt(0)
	global_store_b32 v15, v16, s[6:7]
.LBB343_177:
	s_or_b32 exec_lo, exec_lo, s3
	v_or_b32_e32 v15, 0x500, v0
	s_mov_b32 s3, exec_lo
	s_delay_alu instid0(VALU_DEP_1)
	v_cmpx_le_u32_e64 v5, v15
	s_xor_b32 s3, exec_lo, s3
	s_cbranch_execz .LBB343_183
; %bb.178:
	s_mov_b32 s5, exec_lo
	v_cmpx_le_u32_e64 v14, v15
	s_xor_b32 s5, exec_lo, s5
	s_cbranch_execz .LBB343_180
; %bb.179:
	v_lshlrev_b32_e32 v16, 2, v0
	v_add_co_u32 v15, vcc_lo, v7, v15
	ds_load_b32 v17, v16 offset:5120
	v_add_co_ci_u32_e32 v16, vcc_lo, 0, v13, vcc_lo
	s_delay_alu instid0(VALU_DEP_1) | instskip(NEXT) | instid1(VALU_DEP_1)
	v_lshlrev_b64 v[15:16], 2, v[15:16]
	v_sub_co_u32 v15, vcc_lo, s1, v15
	s_delay_alu instid0(VALU_DEP_2)
	v_sub_co_ci_u32_e32 v16, vcc_lo, s0, v16, vcc_lo
	s_waitcnt lgkmcnt(0)
	global_store_b32 v[15:16], v17, off
                                        ; implicit-def: $vgpr15
.LBB343_180:
	s_and_not1_saveexec_b32 s5, s5
	s_cbranch_execz .LBB343_182
; %bb.181:
	v_lshlrev_b32_e32 v16, 2, v0
	v_lshlrev_b32_e32 v15, 2, v15
	v_readfirstlane_b32 s6, v9
	v_readfirstlane_b32 s7, v10
	ds_load_b32 v16, v16 offset:5120
	s_waitcnt lgkmcnt(0)
	global_store_b32 v15, v16, s[6:7]
.LBB343_182:
	s_or_b32 exec_lo, exec_lo, s5
                                        ; implicit-def: $vgpr15
.LBB343_183:
	s_and_not1_saveexec_b32 s3, s3
	s_cbranch_execz .LBB343_185
; %bb.184:
	v_lshlrev_b32_e32 v16, 2, v0
	v_lshlrev_b32_e32 v15, 2, v15
	v_readfirstlane_b32 s6, v11
	v_readfirstlane_b32 s7, v12
	ds_load_b32 v16, v16 offset:5120
	s_waitcnt lgkmcnt(0)
	global_store_b32 v15, v16, s[6:7]
.LBB343_185:
	s_or_b32 exec_lo, exec_lo, s3
	v_or_b32_e32 v15, 0x600, v0
	s_mov_b32 s3, exec_lo
	s_delay_alu instid0(VALU_DEP_1)
	v_cmpx_le_u32_e64 v5, v15
	s_xor_b32 s3, exec_lo, s3
	s_cbranch_execz .LBB343_191
; %bb.186:
	s_mov_b32 s5, exec_lo
	v_cmpx_le_u32_e64 v14, v15
	s_xor_b32 s5, exec_lo, s5
	s_cbranch_execz .LBB343_188
; %bb.187:
	v_lshlrev_b32_e32 v16, 2, v0
	v_add_co_u32 v15, vcc_lo, v7, v15
	ds_load_b32 v17, v16 offset:6144
	v_add_co_ci_u32_e32 v16, vcc_lo, 0, v13, vcc_lo
	s_delay_alu instid0(VALU_DEP_1) | instskip(NEXT) | instid1(VALU_DEP_1)
	v_lshlrev_b64 v[15:16], 2, v[15:16]
	v_sub_co_u32 v15, vcc_lo, s1, v15
	s_delay_alu instid0(VALU_DEP_2)
	v_sub_co_ci_u32_e32 v16, vcc_lo, s0, v16, vcc_lo
	s_waitcnt lgkmcnt(0)
	global_store_b32 v[15:16], v17, off
                                        ; implicit-def: $vgpr15
.LBB343_188:
	s_and_not1_saveexec_b32 s5, s5
	s_cbranch_execz .LBB343_190
; %bb.189:
	v_lshlrev_b32_e32 v16, 2, v0
	v_lshlrev_b32_e32 v15, 2, v15
	v_readfirstlane_b32 s6, v9
	v_readfirstlane_b32 s7, v10
	ds_load_b32 v16, v16 offset:6144
	s_waitcnt lgkmcnt(0)
	global_store_b32 v15, v16, s[6:7]
.LBB343_190:
	s_or_b32 exec_lo, exec_lo, s5
                                        ; implicit-def: $vgpr15
.LBB343_191:
	;; [unrolled: 51-line block ×8, first 2 shown]
	s_and_not1_saveexec_b32 s3, s3
	s_cbranch_execz .LBB343_241
; %bb.240:
	v_lshlrev_b32_e32 v16, 2, v0
	v_lshlrev_b32_e32 v15, 2, v15
	v_readfirstlane_b32 s6, v11
	v_readfirstlane_b32 s7, v12
	ds_load_b32 v16, v16 offset:12288
	s_waitcnt lgkmcnt(0)
	global_store_b32 v15, v16, s[6:7]
.LBB343_241:
	s_or_b32 exec_lo, exec_lo, s3
	s_branch .LBB343_135
.LBB343_242:
	s_mov_b32 s3, exec_lo
	v_cmpx_gt_u32_e64 s4, v0
	s_cbranch_execz .LBB343_251
; %bb.243:
	s_mov_b32 s5, exec_lo
	v_cmpx_le_u32_e64 v5, v0
	s_xor_b32 s5, exec_lo, s5
	s_cbranch_execz .LBB343_249
; %bb.244:
	s_mov_b32 s6, exec_lo
	v_cmpx_le_u32_e64 v14, v0
	s_xor_b32 s6, exec_lo, s6
	s_cbranch_execz .LBB343_246
; %bb.245:
	v_lshlrev_b32_e32 v15, 2, v0
	ds_load_b32 v17, v15
	v_add_co_u32 v15, vcc_lo, v7, v0
	v_add_co_ci_u32_e32 v16, vcc_lo, 0, v13, vcc_lo
	s_delay_alu instid0(VALU_DEP_1) | instskip(NEXT) | instid1(VALU_DEP_1)
	v_lshlrev_b64 v[15:16], 2, v[15:16]
	v_sub_co_u32 v15, vcc_lo, s14, v15
	s_delay_alu instid0(VALU_DEP_2)
	v_sub_co_ci_u32_e32 v16, vcc_lo, s15, v16, vcc_lo
	s_waitcnt lgkmcnt(0)
	global_store_b32 v[15:16], v17, off offset:-4
.LBB343_246:
	s_and_not1_saveexec_b32 s6, s6
	s_cbranch_execz .LBB343_248
; %bb.247:
	v_lshlrev_b32_e32 v15, 2, v0
	v_readfirstlane_b32 s8, v9
	v_readfirstlane_b32 s9, v10
	ds_load_b32 v16, v15
	s_waitcnt lgkmcnt(0)
	global_store_b32 v15, v16, s[8:9]
.LBB343_248:
	s_or_b32 exec_lo, exec_lo, s6
.LBB343_249:
	s_and_not1_saveexec_b32 s5, s5
	s_cbranch_execz .LBB343_251
; %bb.250:
	v_lshlrev_b32_e32 v15, 2, v0
	v_readfirstlane_b32 s6, v11
	v_readfirstlane_b32 s7, v12
	ds_load_b32 v16, v15
	s_waitcnt lgkmcnt(0)
	global_store_b32 v15, v16, s[6:7]
.LBB343_251:
	s_or_b32 exec_lo, exec_lo, s3
	v_or_b32_e32 v15, 0x100, v0
	s_mov_b32 s3, exec_lo
	s_delay_alu instid0(VALU_DEP_1)
	v_cmpx_gt_u32_e64 s4, v15
	s_cbranch_execz .LBB343_260
; %bb.252:
	s_mov_b32 s5, exec_lo
	v_cmpx_le_u32_e64 v5, v15
	s_xor_b32 s5, exec_lo, s5
	s_cbranch_execz .LBB343_258
; %bb.253:
	s_mov_b32 s6, exec_lo
	v_cmpx_le_u32_e64 v14, v15
	s_xor_b32 s6, exec_lo, s6
	s_cbranch_execz .LBB343_255
; %bb.254:
	v_lshlrev_b32_e32 v15, 2, v0
	ds_load_b32 v17, v15 offset:1024
	v_add_co_u32 v15, vcc_lo, v7, v0
	v_add_co_ci_u32_e32 v16, vcc_lo, 0, v13, vcc_lo
	s_delay_alu instid0(VALU_DEP_1) | instskip(NEXT) | instid1(VALU_DEP_1)
	v_lshlrev_b64 v[15:16], 2, v[15:16]
	v_sub_co_u32 v15, vcc_lo, s1, v15
	s_delay_alu instid0(VALU_DEP_2)
	v_sub_co_ci_u32_e32 v16, vcc_lo, s0, v16, vcc_lo
	s_waitcnt lgkmcnt(0)
	global_store_b32 v[15:16], v17, off offset:-1024
.LBB343_255:
	s_and_not1_saveexec_b32 s6, s6
	s_cbranch_execz .LBB343_257
; %bb.256:
	v_lshlrev_b32_e32 v15, 2, v0
	v_readfirstlane_b32 s8, v9
	v_readfirstlane_b32 s9, v10
	ds_load_b32 v16, v15 offset:1024
	s_waitcnt lgkmcnt(0)
	global_store_b32 v15, v16, s[8:9] offset:1024
.LBB343_257:
	s_or_b32 exec_lo, exec_lo, s6
.LBB343_258:
	s_and_not1_saveexec_b32 s5, s5
	s_cbranch_execz .LBB343_260
; %bb.259:
	v_lshlrev_b32_e32 v15, 2, v0
	v_readfirstlane_b32 s6, v11
	v_readfirstlane_b32 s7, v12
	ds_load_b32 v16, v15 offset:1024
	s_waitcnt lgkmcnt(0)
	global_store_b32 v15, v16, s[6:7] offset:1024
.LBB343_260:
	s_or_b32 exec_lo, exec_lo, s3
	v_or_b32_e32 v15, 0x200, v0
	s_mov_b32 s3, exec_lo
	s_delay_alu instid0(VALU_DEP_1)
	v_cmpx_gt_u32_e64 s4, v15
	s_cbranch_execz .LBB343_269
; %bb.261:
	s_mov_b32 s5, exec_lo
	v_cmpx_le_u32_e64 v5, v15
	s_xor_b32 s5, exec_lo, s5
	s_cbranch_execz .LBB343_267
; %bb.262:
	s_mov_b32 s6, exec_lo
	v_cmpx_le_u32_e64 v14, v15
	s_xor_b32 s6, exec_lo, s6
	s_cbranch_execz .LBB343_264
; %bb.263:
	v_lshlrev_b32_e32 v15, 2, v0
	ds_load_b32 v17, v15 offset:2048
	v_add_co_u32 v15, vcc_lo, v7, v0
	v_add_co_ci_u32_e32 v16, vcc_lo, 0, v13, vcc_lo
	s_delay_alu instid0(VALU_DEP_1) | instskip(NEXT) | instid1(VALU_DEP_1)
	v_lshlrev_b64 v[15:16], 2, v[15:16]
	v_sub_co_u32 v15, vcc_lo, s1, v15
	s_delay_alu instid0(VALU_DEP_2)
	v_sub_co_ci_u32_e32 v16, vcc_lo, s0, v16, vcc_lo
	s_waitcnt lgkmcnt(0)
	global_store_b32 v[15:16], v17, off offset:-2048
.LBB343_264:
	s_and_not1_saveexec_b32 s6, s6
	s_cbranch_execz .LBB343_266
; %bb.265:
	v_lshlrev_b32_e32 v15, 2, v0
	v_readfirstlane_b32 s8, v9
	v_readfirstlane_b32 s9, v10
	ds_load_b32 v16, v15 offset:2048
	s_waitcnt lgkmcnt(0)
	global_store_b32 v15, v16, s[8:9] offset:2048
.LBB343_266:
	s_or_b32 exec_lo, exec_lo, s6
.LBB343_267:
	s_and_not1_saveexec_b32 s5, s5
	s_cbranch_execz .LBB343_269
; %bb.268:
	v_lshlrev_b32_e32 v15, 2, v0
	v_readfirstlane_b32 s6, v11
	v_readfirstlane_b32 s7, v12
	ds_load_b32 v16, v15 offset:2048
	s_waitcnt lgkmcnt(0)
	global_store_b32 v15, v16, s[6:7] offset:2048
.LBB343_269:
	;; [unrolled: 51-line block ×3, first 2 shown]
	s_or_b32 exec_lo, exec_lo, s3
	v_or_b32_e32 v15, 0x400, v0
	s_mov_b32 s3, exec_lo
	s_delay_alu instid0(VALU_DEP_1)
	v_cmpx_gt_u32_e64 s4, v15
	s_cbranch_execz .LBB343_287
; %bb.279:
	s_mov_b32 s5, exec_lo
	v_cmpx_le_u32_e64 v5, v15
	s_xor_b32 s5, exec_lo, s5
	s_cbranch_execz .LBB343_285
; %bb.280:
	s_mov_b32 s6, exec_lo
	v_cmpx_le_u32_e64 v14, v15
	s_xor_b32 s6, exec_lo, s6
	s_cbranch_execz .LBB343_282
; %bb.281:
	v_lshlrev_b32_e32 v15, 2, v0
	ds_load_b32 v17, v15 offset:4096
	v_add_co_u32 v15, vcc_lo, v7, v0
	v_add_co_ci_u32_e32 v16, vcc_lo, 0, v13, vcc_lo
	s_delay_alu instid0(VALU_DEP_1) | instskip(NEXT) | instid1(VALU_DEP_1)
	v_lshlrev_b64 v[15:16], 2, v[15:16]
	v_sub_co_u32 v15, vcc_lo, s1, v15
	s_delay_alu instid0(VALU_DEP_2)
	v_sub_co_ci_u32_e32 v16, vcc_lo, s0, v16, vcc_lo
	s_waitcnt lgkmcnt(0)
	global_store_b32 v[15:16], v17, off offset:-4096
                                        ; implicit-def: $vgpr15
.LBB343_282:
	s_and_not1_saveexec_b32 s6, s6
	s_cbranch_execz .LBB343_284
; %bb.283:
	v_lshlrev_b32_e32 v16, 2, v0
	v_lshlrev_b32_e32 v15, 2, v15
	v_readfirstlane_b32 s8, v9
	v_readfirstlane_b32 s9, v10
	ds_load_b32 v16, v16 offset:4096
	s_waitcnt lgkmcnt(0)
	global_store_b32 v15, v16, s[8:9]
.LBB343_284:
	s_or_b32 exec_lo, exec_lo, s6
                                        ; implicit-def: $vgpr15
.LBB343_285:
	s_and_not1_saveexec_b32 s5, s5
	s_cbranch_execz .LBB343_287
; %bb.286:
	v_lshlrev_b32_e32 v16, 2, v0
	v_lshlrev_b32_e32 v15, 2, v15
	v_readfirstlane_b32 s6, v11
	v_readfirstlane_b32 s7, v12
	ds_load_b32 v16, v16 offset:4096
	s_waitcnt lgkmcnt(0)
	global_store_b32 v15, v16, s[6:7]
.LBB343_287:
	s_or_b32 exec_lo, exec_lo, s3
	v_or_b32_e32 v15, 0x500, v0
	s_mov_b32 s3, exec_lo
	s_delay_alu instid0(VALU_DEP_1)
	v_cmpx_gt_u32_e64 s4, v15
	s_cbranch_execz .LBB343_296
; %bb.288:
	s_mov_b32 s5, exec_lo
	v_cmpx_le_u32_e64 v5, v15
	s_xor_b32 s5, exec_lo, s5
	s_cbranch_execz .LBB343_294
; %bb.289:
	s_mov_b32 s6, exec_lo
	v_cmpx_le_u32_e64 v14, v15
	s_xor_b32 s6, exec_lo, s6
	s_cbranch_execz .LBB343_291
; %bb.290:
	v_lshlrev_b32_e32 v16, 2, v0
	v_add_co_u32 v15, vcc_lo, v7, v15
	ds_load_b32 v17, v16 offset:5120
	v_add_co_ci_u32_e32 v16, vcc_lo, 0, v13, vcc_lo
	s_delay_alu instid0(VALU_DEP_1) | instskip(NEXT) | instid1(VALU_DEP_1)
	v_lshlrev_b64 v[15:16], 2, v[15:16]
	v_sub_co_u32 v15, vcc_lo, s1, v15
	s_delay_alu instid0(VALU_DEP_2)
	v_sub_co_ci_u32_e32 v16, vcc_lo, s0, v16, vcc_lo
	s_waitcnt lgkmcnt(0)
	global_store_b32 v[15:16], v17, off
                                        ; implicit-def: $vgpr15
.LBB343_291:
	s_and_not1_saveexec_b32 s6, s6
	s_cbranch_execz .LBB343_293
; %bb.292:
	v_lshlrev_b32_e32 v16, 2, v0
	v_lshlrev_b32_e32 v15, 2, v15
	v_readfirstlane_b32 s8, v9
	v_readfirstlane_b32 s9, v10
	ds_load_b32 v16, v16 offset:5120
	s_waitcnt lgkmcnt(0)
	global_store_b32 v15, v16, s[8:9]
.LBB343_293:
	s_or_b32 exec_lo, exec_lo, s6
                                        ; implicit-def: $vgpr15
.LBB343_294:
	s_and_not1_saveexec_b32 s5, s5
	s_cbranch_execz .LBB343_296
; %bb.295:
	v_lshlrev_b32_e32 v16, 2, v0
	v_lshlrev_b32_e32 v15, 2, v15
	v_readfirstlane_b32 s6, v11
	v_readfirstlane_b32 s7, v12
	ds_load_b32 v16, v16 offset:5120
	s_waitcnt lgkmcnt(0)
	global_store_b32 v15, v16, s[6:7]
.LBB343_296:
	s_or_b32 exec_lo, exec_lo, s3
	v_or_b32_e32 v15, 0x600, v0
	s_mov_b32 s3, exec_lo
	s_delay_alu instid0(VALU_DEP_1)
	v_cmpx_gt_u32_e64 s4, v15
	s_cbranch_execz .LBB343_305
; %bb.297:
	s_mov_b32 s5, exec_lo
	v_cmpx_le_u32_e64 v5, v15
	s_xor_b32 s5, exec_lo, s5
	s_cbranch_execz .LBB343_303
; %bb.298:
	s_mov_b32 s6, exec_lo
	v_cmpx_le_u32_e64 v14, v15
	s_xor_b32 s6, exec_lo, s6
	s_cbranch_execz .LBB343_300
; %bb.299:
	v_lshlrev_b32_e32 v16, 2, v0
	v_add_co_u32 v15, vcc_lo, v7, v15
	ds_load_b32 v17, v16 offset:6144
	v_add_co_ci_u32_e32 v16, vcc_lo, 0, v13, vcc_lo
	s_delay_alu instid0(VALU_DEP_1) | instskip(NEXT) | instid1(VALU_DEP_1)
	v_lshlrev_b64 v[15:16], 2, v[15:16]
	v_sub_co_u32 v15, vcc_lo, s1, v15
	s_delay_alu instid0(VALU_DEP_2)
	v_sub_co_ci_u32_e32 v16, vcc_lo, s0, v16, vcc_lo
	s_waitcnt lgkmcnt(0)
	global_store_b32 v[15:16], v17, off
                                        ; implicit-def: $vgpr15
.LBB343_300:
	s_and_not1_saveexec_b32 s6, s6
	s_cbranch_execz .LBB343_302
; %bb.301:
	v_lshlrev_b32_e32 v16, 2, v0
	v_lshlrev_b32_e32 v15, 2, v15
	v_readfirstlane_b32 s8, v9
	v_readfirstlane_b32 s9, v10
	ds_load_b32 v16, v16 offset:6144
	s_waitcnt lgkmcnt(0)
	global_store_b32 v15, v16, s[8:9]
.LBB343_302:
	s_or_b32 exec_lo, exec_lo, s6
                                        ; implicit-def: $vgpr15
.LBB343_303:
	s_and_not1_saveexec_b32 s5, s5
	s_cbranch_execz .LBB343_305
; %bb.304:
	v_lshlrev_b32_e32 v16, 2, v0
	v_lshlrev_b32_e32 v15, 2, v15
	v_readfirstlane_b32 s6, v11
	v_readfirstlane_b32 s7, v12
	ds_load_b32 v16, v16 offset:6144
	s_waitcnt lgkmcnt(0)
	global_store_b32 v15, v16, s[6:7]
.LBB343_305:
	;; [unrolled: 55-line block ×7, first 2 shown]
	s_or_b32 exec_lo, exec_lo, s3
	v_or_b32_e32 v15, 0xc00, v0
	s_mov_b32 s3, exec_lo
	s_delay_alu instid0(VALU_DEP_1)
	v_cmpx_gt_u32_e64 s4, v15
	s_cbranch_execz .LBB343_359
; %bb.351:
	s_mov_b32 s4, exec_lo
	v_cmpx_le_u32_e64 v5, v15
	s_xor_b32 s4, exec_lo, s4
	s_cbranch_execz .LBB343_357
; %bb.352:
	s_mov_b32 s5, exec_lo
	v_cmpx_le_u32_e64 v14, v15
	s_xor_b32 s5, exec_lo, s5
	s_cbranch_execz .LBB343_354
; %bb.353:
	v_lshlrev_b32_e32 v0, 2, v0
	v_add_co_u32 v9, vcc_lo, v7, v15
	v_add_co_ci_u32_e32 v10, vcc_lo, 0, v13, vcc_lo
	ds_load_b32 v0, v0 offset:12288
                                        ; implicit-def: $vgpr15
	v_lshlrev_b64 v[9:10], 2, v[9:10]
	s_delay_alu instid0(VALU_DEP_1) | instskip(NEXT) | instid1(VALU_DEP_2)
	v_sub_co_u32 v9, vcc_lo, s1, v9
	v_sub_co_ci_u32_e32 v10, vcc_lo, s0, v10, vcc_lo
	s_waitcnt lgkmcnt(0)
	global_store_b32 v[9:10], v0, off
                                        ; implicit-def: $vgpr0
                                        ; implicit-def: $vgpr9_vgpr10
.LBB343_354:
	s_and_not1_saveexec_b32 s0, s5
	s_cbranch_execz .LBB343_356
; %bb.355:
	v_lshlrev_b32_e32 v0, 2, v0
	v_lshlrev_b32_e32 v7, 2, v15
	v_readfirstlane_b32 s6, v9
	v_readfirstlane_b32 s7, v10
	ds_load_b32 v0, v0 offset:12288
	s_waitcnt lgkmcnt(0)
	global_store_b32 v7, v0, s[6:7]
.LBB343_356:
	s_or_b32 exec_lo, exec_lo, s0
                                        ; implicit-def: $vgpr0
                                        ; implicit-def: $vgpr15
                                        ; implicit-def: $vgpr11_vgpr12
.LBB343_357:
	s_and_not1_saveexec_b32 s0, s4
	s_cbranch_execz .LBB343_359
; %bb.358:
	v_lshlrev_b32_e32 v0, 2, v0
	v_lshlrev_b32_e32 v7, 2, v15
	v_readfirstlane_b32 s0, v11
	v_readfirstlane_b32 s1, v12
	ds_load_b32 v0, v0 offset:12288
	s_waitcnt lgkmcnt(0)
	global_store_b32 v7, v0, s[0:1]
.LBB343_359:
	s_or_b32 exec_lo, exec_lo, s3
	s_and_b32 s0, s2, s13
	s_delay_alu instid0(SALU_CYCLE_1)
	s_and_saveexec_b32 s1, s0
	s_cbranch_execz .LBB343_136
.LBB343_360:
	v_add_co_u32 v3, vcc_lo, v3, v6
	v_add_co_ci_u32_e32 v4, vcc_lo, 0, v4, vcc_lo
	v_add_co_u32 v0, vcc_lo, v1, v5
	v_add_co_ci_u32_e32 v1, vcc_lo, 0, v2, vcc_lo
	s_delay_alu instid0(VALU_DEP_4)
	v_add_co_u32 v2, vcc_lo, v3, v8
	v_mov_b32_e32 v7, 0
	v_add_co_ci_u32_e32 v3, vcc_lo, 0, v4, vcc_lo
	global_store_b128 v7, v[0:3], s[24:25]
	s_nop 0
	s_sendmsg sendmsg(MSG_DEALLOC_VGPRS)
	s_endpgm
.LBB343_361:
	v_add_nc_u32_e32 v7, s6, v27
	s_add_i32 s8, s26, 32
	s_mov_b32 s9, 0
	v_dual_mov_b32 v9, 0 :: v_dual_add_nc_u32 v6, v26, v5
	s_lshl_b64 s[8:9], s[8:9], 4
	v_and_b32_e32 v24, 0xff0000, v7
	s_add_u32 s8, s36, s8
	s_addc_u32 s9, s37, s9
	v_and_b32_e32 v8, 0xff000000, v7
	s_delay_alu instid0(VALU_DEP_1) | instskip(SKIP_2) | instid1(VALU_DEP_1)
	v_or_b32_e32 v24, v24, v8
	v_dual_mov_b32 v8, 2 :: v_dual_and_b32 v25, 0xff00, v7
	v_and_b32_e32 v7, 0xff, v7
	v_or3_b32 v7, v24, v25, v7
	v_dual_mov_b32 v25, s9 :: v_dual_mov_b32 v24, s8
	;;#ASMSTART
	global_store_dwordx4 v[24:25], v[6:9] off	
s_waitcnt vmcnt(0)
	;;#ASMEND
	s_or_b32 exec_lo, exec_lo, s7
	s_and_saveexec_b32 s7, s3
	s_cbranch_execz .LBB343_120
.LBB343_362:
	v_mov_b32_e32 v6, s6
	v_add_nc_u32_e64 v7, 0x3400, 0
	ds_store_2addr_b32 v7, v5, v6 offset1:2
	ds_store_2addr_b32 v7, v26, v27 offset0:4 offset1:6
	s_or_b32 exec_lo, exec_lo, s7
	s_delay_alu instid0(SALU_CYCLE_1)
	s_and_b32 exec_lo, exec_lo, s2
	s_cbranch_execnz .LBB343_121
	s_branch .LBB343_122
	.section	.rodata,"a",@progbits
	.p2align	6, 0x0
	.amdhsa_kernel _ZN7rocprim17ROCPRIM_400000_NS6detail17trampoline_kernelINS0_13select_configILj256ELj13ELNS0_17block_load_methodE3ELS4_3ELS4_3ELNS0_20block_scan_algorithmE0ELj4294967295EEENS1_25partition_config_selectorILNS1_17partition_subalgoE4EjNS0_10empty_typeEbEEZZNS1_14partition_implILS8_4ELb0ES6_15HIP_vector_typeIjLj2EENS0_17counting_iteratorIjlEEPS9_SG_NS0_5tupleIJPjSI_NS0_16reverse_iteratorISI_EEEEENSH_IJSG_SG_SG_EEES9_SI_JZNS1_25segmented_radix_sort_implINS0_14default_configELb0EPKaPaPKlPlN2at6native12_GLOBAL__N_18offset_tEEE10hipError_tPvRmT1_PNSt15iterator_traitsIS12_E10value_typeET2_T3_PNS13_IS18_E10value_typeET4_jRbjT5_S1E_jjP12ihipStream_tbEUljE_ZNSN_ISO_Lb0ESQ_SR_ST_SU_SY_EESZ_S10_S11_S12_S16_S17_S18_S1B_S1C_jS1D_jS1E_S1E_jjS1G_bEUljE0_EEESZ_S10_S11_S18_S1C_S1E_T6_T7_T9_mT8_S1G_bDpT10_ENKUlT_T0_E_clISt17integral_constantIbLb1EES1U_EEDaS1P_S1Q_EUlS1P_E_NS1_11comp_targetILNS1_3genE9ELNS1_11target_archE1100ELNS1_3gpuE3ELNS1_3repE0EEENS1_30default_config_static_selectorELNS0_4arch9wavefront6targetE0EEEvS12_
		.amdhsa_group_segment_fixed_size 13340
		.amdhsa_private_segment_fixed_size 0
		.amdhsa_kernarg_size 184
		.amdhsa_user_sgpr_count 15
		.amdhsa_user_sgpr_dispatch_ptr 0
		.amdhsa_user_sgpr_queue_ptr 0
		.amdhsa_user_sgpr_kernarg_segment_ptr 1
		.amdhsa_user_sgpr_dispatch_id 0
		.amdhsa_user_sgpr_private_segment_size 0
		.amdhsa_wavefront_size32 1
		.amdhsa_uses_dynamic_stack 0
		.amdhsa_enable_private_segment 0
		.amdhsa_system_sgpr_workgroup_id_x 1
		.amdhsa_system_sgpr_workgroup_id_y 0
		.amdhsa_system_sgpr_workgroup_id_z 0
		.amdhsa_system_sgpr_workgroup_info 0
		.amdhsa_system_vgpr_workitem_id 0
		.amdhsa_next_free_vgpr 103
		.amdhsa_next_free_sgpr 55
		.amdhsa_reserve_vcc 1
		.amdhsa_float_round_mode_32 0
		.amdhsa_float_round_mode_16_64 0
		.amdhsa_float_denorm_mode_32 3
		.amdhsa_float_denorm_mode_16_64 3
		.amdhsa_dx10_clamp 1
		.amdhsa_ieee_mode 1
		.amdhsa_fp16_overflow 0
		.amdhsa_workgroup_processor_mode 1
		.amdhsa_memory_ordered 1
		.amdhsa_forward_progress 0
		.amdhsa_shared_vgpr_count 0
		.amdhsa_exception_fp_ieee_invalid_op 0
		.amdhsa_exception_fp_denorm_src 0
		.amdhsa_exception_fp_ieee_div_zero 0
		.amdhsa_exception_fp_ieee_overflow 0
		.amdhsa_exception_fp_ieee_underflow 0
		.amdhsa_exception_fp_ieee_inexact 0
		.amdhsa_exception_int_div_zero 0
	.end_amdhsa_kernel
	.section	.text._ZN7rocprim17ROCPRIM_400000_NS6detail17trampoline_kernelINS0_13select_configILj256ELj13ELNS0_17block_load_methodE3ELS4_3ELS4_3ELNS0_20block_scan_algorithmE0ELj4294967295EEENS1_25partition_config_selectorILNS1_17partition_subalgoE4EjNS0_10empty_typeEbEEZZNS1_14partition_implILS8_4ELb0ES6_15HIP_vector_typeIjLj2EENS0_17counting_iteratorIjlEEPS9_SG_NS0_5tupleIJPjSI_NS0_16reverse_iteratorISI_EEEEENSH_IJSG_SG_SG_EEES9_SI_JZNS1_25segmented_radix_sort_implINS0_14default_configELb0EPKaPaPKlPlN2at6native12_GLOBAL__N_18offset_tEEE10hipError_tPvRmT1_PNSt15iterator_traitsIS12_E10value_typeET2_T3_PNS13_IS18_E10value_typeET4_jRbjT5_S1E_jjP12ihipStream_tbEUljE_ZNSN_ISO_Lb0ESQ_SR_ST_SU_SY_EESZ_S10_S11_S12_S16_S17_S18_S1B_S1C_jS1D_jS1E_S1E_jjS1G_bEUljE0_EEESZ_S10_S11_S18_S1C_S1E_T6_T7_T9_mT8_S1G_bDpT10_ENKUlT_T0_E_clISt17integral_constantIbLb1EES1U_EEDaS1P_S1Q_EUlS1P_E_NS1_11comp_targetILNS1_3genE9ELNS1_11target_archE1100ELNS1_3gpuE3ELNS1_3repE0EEENS1_30default_config_static_selectorELNS0_4arch9wavefront6targetE0EEEvS12_,"axG",@progbits,_ZN7rocprim17ROCPRIM_400000_NS6detail17trampoline_kernelINS0_13select_configILj256ELj13ELNS0_17block_load_methodE3ELS4_3ELS4_3ELNS0_20block_scan_algorithmE0ELj4294967295EEENS1_25partition_config_selectorILNS1_17partition_subalgoE4EjNS0_10empty_typeEbEEZZNS1_14partition_implILS8_4ELb0ES6_15HIP_vector_typeIjLj2EENS0_17counting_iteratorIjlEEPS9_SG_NS0_5tupleIJPjSI_NS0_16reverse_iteratorISI_EEEEENSH_IJSG_SG_SG_EEES9_SI_JZNS1_25segmented_radix_sort_implINS0_14default_configELb0EPKaPaPKlPlN2at6native12_GLOBAL__N_18offset_tEEE10hipError_tPvRmT1_PNSt15iterator_traitsIS12_E10value_typeET2_T3_PNS13_IS18_E10value_typeET4_jRbjT5_S1E_jjP12ihipStream_tbEUljE_ZNSN_ISO_Lb0ESQ_SR_ST_SU_SY_EESZ_S10_S11_S12_S16_S17_S18_S1B_S1C_jS1D_jS1E_S1E_jjS1G_bEUljE0_EEESZ_S10_S11_S18_S1C_S1E_T6_T7_T9_mT8_S1G_bDpT10_ENKUlT_T0_E_clISt17integral_constantIbLb1EES1U_EEDaS1P_S1Q_EUlS1P_E_NS1_11comp_targetILNS1_3genE9ELNS1_11target_archE1100ELNS1_3gpuE3ELNS1_3repE0EEENS1_30default_config_static_selectorELNS0_4arch9wavefront6targetE0EEEvS12_,comdat
.Lfunc_end343:
	.size	_ZN7rocprim17ROCPRIM_400000_NS6detail17trampoline_kernelINS0_13select_configILj256ELj13ELNS0_17block_load_methodE3ELS4_3ELS4_3ELNS0_20block_scan_algorithmE0ELj4294967295EEENS1_25partition_config_selectorILNS1_17partition_subalgoE4EjNS0_10empty_typeEbEEZZNS1_14partition_implILS8_4ELb0ES6_15HIP_vector_typeIjLj2EENS0_17counting_iteratorIjlEEPS9_SG_NS0_5tupleIJPjSI_NS0_16reverse_iteratorISI_EEEEENSH_IJSG_SG_SG_EEES9_SI_JZNS1_25segmented_radix_sort_implINS0_14default_configELb0EPKaPaPKlPlN2at6native12_GLOBAL__N_18offset_tEEE10hipError_tPvRmT1_PNSt15iterator_traitsIS12_E10value_typeET2_T3_PNS13_IS18_E10value_typeET4_jRbjT5_S1E_jjP12ihipStream_tbEUljE_ZNSN_ISO_Lb0ESQ_SR_ST_SU_SY_EESZ_S10_S11_S12_S16_S17_S18_S1B_S1C_jS1D_jS1E_S1E_jjS1G_bEUljE0_EEESZ_S10_S11_S18_S1C_S1E_T6_T7_T9_mT8_S1G_bDpT10_ENKUlT_T0_E_clISt17integral_constantIbLb1EES1U_EEDaS1P_S1Q_EUlS1P_E_NS1_11comp_targetILNS1_3genE9ELNS1_11target_archE1100ELNS1_3gpuE3ELNS1_3repE0EEENS1_30default_config_static_selectorELNS0_4arch9wavefront6targetE0EEEvS12_, .Lfunc_end343-_ZN7rocprim17ROCPRIM_400000_NS6detail17trampoline_kernelINS0_13select_configILj256ELj13ELNS0_17block_load_methodE3ELS4_3ELS4_3ELNS0_20block_scan_algorithmE0ELj4294967295EEENS1_25partition_config_selectorILNS1_17partition_subalgoE4EjNS0_10empty_typeEbEEZZNS1_14partition_implILS8_4ELb0ES6_15HIP_vector_typeIjLj2EENS0_17counting_iteratorIjlEEPS9_SG_NS0_5tupleIJPjSI_NS0_16reverse_iteratorISI_EEEEENSH_IJSG_SG_SG_EEES9_SI_JZNS1_25segmented_radix_sort_implINS0_14default_configELb0EPKaPaPKlPlN2at6native12_GLOBAL__N_18offset_tEEE10hipError_tPvRmT1_PNSt15iterator_traitsIS12_E10value_typeET2_T3_PNS13_IS18_E10value_typeET4_jRbjT5_S1E_jjP12ihipStream_tbEUljE_ZNSN_ISO_Lb0ESQ_SR_ST_SU_SY_EESZ_S10_S11_S12_S16_S17_S18_S1B_S1C_jS1D_jS1E_S1E_jjS1G_bEUljE0_EEESZ_S10_S11_S18_S1C_S1E_T6_T7_T9_mT8_S1G_bDpT10_ENKUlT_T0_E_clISt17integral_constantIbLb1EES1U_EEDaS1P_S1Q_EUlS1P_E_NS1_11comp_targetILNS1_3genE9ELNS1_11target_archE1100ELNS1_3gpuE3ELNS1_3repE0EEENS1_30default_config_static_selectorELNS0_4arch9wavefront6targetE0EEEvS12_
                                        ; -- End function
	.section	.AMDGPU.csdata,"",@progbits
; Kernel info:
; codeLenInByte = 15160
; NumSgprs: 57
; NumVgprs: 103
; ScratchSize: 0
; MemoryBound: 0
; FloatMode: 240
; IeeeMode: 1
; LDSByteSize: 13340 bytes/workgroup (compile time only)
; SGPRBlocks: 7
; VGPRBlocks: 12
; NumSGPRsForWavesPerEU: 57
; NumVGPRsForWavesPerEU: 103
; Occupancy: 12
; WaveLimiterHint : 1
; COMPUTE_PGM_RSRC2:SCRATCH_EN: 0
; COMPUTE_PGM_RSRC2:USER_SGPR: 15
; COMPUTE_PGM_RSRC2:TRAP_HANDLER: 0
; COMPUTE_PGM_RSRC2:TGID_X_EN: 1
; COMPUTE_PGM_RSRC2:TGID_Y_EN: 0
; COMPUTE_PGM_RSRC2:TGID_Z_EN: 0
; COMPUTE_PGM_RSRC2:TIDIG_COMP_CNT: 0
	.section	.text._ZN7rocprim17ROCPRIM_400000_NS6detail17trampoline_kernelINS0_13select_configILj256ELj13ELNS0_17block_load_methodE3ELS4_3ELS4_3ELNS0_20block_scan_algorithmE0ELj4294967295EEENS1_25partition_config_selectorILNS1_17partition_subalgoE4EjNS0_10empty_typeEbEEZZNS1_14partition_implILS8_4ELb0ES6_15HIP_vector_typeIjLj2EENS0_17counting_iteratorIjlEEPS9_SG_NS0_5tupleIJPjSI_NS0_16reverse_iteratorISI_EEEEENSH_IJSG_SG_SG_EEES9_SI_JZNS1_25segmented_radix_sort_implINS0_14default_configELb0EPKaPaPKlPlN2at6native12_GLOBAL__N_18offset_tEEE10hipError_tPvRmT1_PNSt15iterator_traitsIS12_E10value_typeET2_T3_PNS13_IS18_E10value_typeET4_jRbjT5_S1E_jjP12ihipStream_tbEUljE_ZNSN_ISO_Lb0ESQ_SR_ST_SU_SY_EESZ_S10_S11_S12_S16_S17_S18_S1B_S1C_jS1D_jS1E_S1E_jjS1G_bEUljE0_EEESZ_S10_S11_S18_S1C_S1E_T6_T7_T9_mT8_S1G_bDpT10_ENKUlT_T0_E_clISt17integral_constantIbLb1EES1U_EEDaS1P_S1Q_EUlS1P_E_NS1_11comp_targetILNS1_3genE8ELNS1_11target_archE1030ELNS1_3gpuE2ELNS1_3repE0EEENS1_30default_config_static_selectorELNS0_4arch9wavefront6targetE0EEEvS12_,"axG",@progbits,_ZN7rocprim17ROCPRIM_400000_NS6detail17trampoline_kernelINS0_13select_configILj256ELj13ELNS0_17block_load_methodE3ELS4_3ELS4_3ELNS0_20block_scan_algorithmE0ELj4294967295EEENS1_25partition_config_selectorILNS1_17partition_subalgoE4EjNS0_10empty_typeEbEEZZNS1_14partition_implILS8_4ELb0ES6_15HIP_vector_typeIjLj2EENS0_17counting_iteratorIjlEEPS9_SG_NS0_5tupleIJPjSI_NS0_16reverse_iteratorISI_EEEEENSH_IJSG_SG_SG_EEES9_SI_JZNS1_25segmented_radix_sort_implINS0_14default_configELb0EPKaPaPKlPlN2at6native12_GLOBAL__N_18offset_tEEE10hipError_tPvRmT1_PNSt15iterator_traitsIS12_E10value_typeET2_T3_PNS13_IS18_E10value_typeET4_jRbjT5_S1E_jjP12ihipStream_tbEUljE_ZNSN_ISO_Lb0ESQ_SR_ST_SU_SY_EESZ_S10_S11_S12_S16_S17_S18_S1B_S1C_jS1D_jS1E_S1E_jjS1G_bEUljE0_EEESZ_S10_S11_S18_S1C_S1E_T6_T7_T9_mT8_S1G_bDpT10_ENKUlT_T0_E_clISt17integral_constantIbLb1EES1U_EEDaS1P_S1Q_EUlS1P_E_NS1_11comp_targetILNS1_3genE8ELNS1_11target_archE1030ELNS1_3gpuE2ELNS1_3repE0EEENS1_30default_config_static_selectorELNS0_4arch9wavefront6targetE0EEEvS12_,comdat
	.globl	_ZN7rocprim17ROCPRIM_400000_NS6detail17trampoline_kernelINS0_13select_configILj256ELj13ELNS0_17block_load_methodE3ELS4_3ELS4_3ELNS0_20block_scan_algorithmE0ELj4294967295EEENS1_25partition_config_selectorILNS1_17partition_subalgoE4EjNS0_10empty_typeEbEEZZNS1_14partition_implILS8_4ELb0ES6_15HIP_vector_typeIjLj2EENS0_17counting_iteratorIjlEEPS9_SG_NS0_5tupleIJPjSI_NS0_16reverse_iteratorISI_EEEEENSH_IJSG_SG_SG_EEES9_SI_JZNS1_25segmented_radix_sort_implINS0_14default_configELb0EPKaPaPKlPlN2at6native12_GLOBAL__N_18offset_tEEE10hipError_tPvRmT1_PNSt15iterator_traitsIS12_E10value_typeET2_T3_PNS13_IS18_E10value_typeET4_jRbjT5_S1E_jjP12ihipStream_tbEUljE_ZNSN_ISO_Lb0ESQ_SR_ST_SU_SY_EESZ_S10_S11_S12_S16_S17_S18_S1B_S1C_jS1D_jS1E_S1E_jjS1G_bEUljE0_EEESZ_S10_S11_S18_S1C_S1E_T6_T7_T9_mT8_S1G_bDpT10_ENKUlT_T0_E_clISt17integral_constantIbLb1EES1U_EEDaS1P_S1Q_EUlS1P_E_NS1_11comp_targetILNS1_3genE8ELNS1_11target_archE1030ELNS1_3gpuE2ELNS1_3repE0EEENS1_30default_config_static_selectorELNS0_4arch9wavefront6targetE0EEEvS12_ ; -- Begin function _ZN7rocprim17ROCPRIM_400000_NS6detail17trampoline_kernelINS0_13select_configILj256ELj13ELNS0_17block_load_methodE3ELS4_3ELS4_3ELNS0_20block_scan_algorithmE0ELj4294967295EEENS1_25partition_config_selectorILNS1_17partition_subalgoE4EjNS0_10empty_typeEbEEZZNS1_14partition_implILS8_4ELb0ES6_15HIP_vector_typeIjLj2EENS0_17counting_iteratorIjlEEPS9_SG_NS0_5tupleIJPjSI_NS0_16reverse_iteratorISI_EEEEENSH_IJSG_SG_SG_EEES9_SI_JZNS1_25segmented_radix_sort_implINS0_14default_configELb0EPKaPaPKlPlN2at6native12_GLOBAL__N_18offset_tEEE10hipError_tPvRmT1_PNSt15iterator_traitsIS12_E10value_typeET2_T3_PNS13_IS18_E10value_typeET4_jRbjT5_S1E_jjP12ihipStream_tbEUljE_ZNSN_ISO_Lb0ESQ_SR_ST_SU_SY_EESZ_S10_S11_S12_S16_S17_S18_S1B_S1C_jS1D_jS1E_S1E_jjS1G_bEUljE0_EEESZ_S10_S11_S18_S1C_S1E_T6_T7_T9_mT8_S1G_bDpT10_ENKUlT_T0_E_clISt17integral_constantIbLb1EES1U_EEDaS1P_S1Q_EUlS1P_E_NS1_11comp_targetILNS1_3genE8ELNS1_11target_archE1030ELNS1_3gpuE2ELNS1_3repE0EEENS1_30default_config_static_selectorELNS0_4arch9wavefront6targetE0EEEvS12_
	.p2align	8
	.type	_ZN7rocprim17ROCPRIM_400000_NS6detail17trampoline_kernelINS0_13select_configILj256ELj13ELNS0_17block_load_methodE3ELS4_3ELS4_3ELNS0_20block_scan_algorithmE0ELj4294967295EEENS1_25partition_config_selectorILNS1_17partition_subalgoE4EjNS0_10empty_typeEbEEZZNS1_14partition_implILS8_4ELb0ES6_15HIP_vector_typeIjLj2EENS0_17counting_iteratorIjlEEPS9_SG_NS0_5tupleIJPjSI_NS0_16reverse_iteratorISI_EEEEENSH_IJSG_SG_SG_EEES9_SI_JZNS1_25segmented_radix_sort_implINS0_14default_configELb0EPKaPaPKlPlN2at6native12_GLOBAL__N_18offset_tEEE10hipError_tPvRmT1_PNSt15iterator_traitsIS12_E10value_typeET2_T3_PNS13_IS18_E10value_typeET4_jRbjT5_S1E_jjP12ihipStream_tbEUljE_ZNSN_ISO_Lb0ESQ_SR_ST_SU_SY_EESZ_S10_S11_S12_S16_S17_S18_S1B_S1C_jS1D_jS1E_S1E_jjS1G_bEUljE0_EEESZ_S10_S11_S18_S1C_S1E_T6_T7_T9_mT8_S1G_bDpT10_ENKUlT_T0_E_clISt17integral_constantIbLb1EES1U_EEDaS1P_S1Q_EUlS1P_E_NS1_11comp_targetILNS1_3genE8ELNS1_11target_archE1030ELNS1_3gpuE2ELNS1_3repE0EEENS1_30default_config_static_selectorELNS0_4arch9wavefront6targetE0EEEvS12_,@function
_ZN7rocprim17ROCPRIM_400000_NS6detail17trampoline_kernelINS0_13select_configILj256ELj13ELNS0_17block_load_methodE3ELS4_3ELS4_3ELNS0_20block_scan_algorithmE0ELj4294967295EEENS1_25partition_config_selectorILNS1_17partition_subalgoE4EjNS0_10empty_typeEbEEZZNS1_14partition_implILS8_4ELb0ES6_15HIP_vector_typeIjLj2EENS0_17counting_iteratorIjlEEPS9_SG_NS0_5tupleIJPjSI_NS0_16reverse_iteratorISI_EEEEENSH_IJSG_SG_SG_EEES9_SI_JZNS1_25segmented_radix_sort_implINS0_14default_configELb0EPKaPaPKlPlN2at6native12_GLOBAL__N_18offset_tEEE10hipError_tPvRmT1_PNSt15iterator_traitsIS12_E10value_typeET2_T3_PNS13_IS18_E10value_typeET4_jRbjT5_S1E_jjP12ihipStream_tbEUljE_ZNSN_ISO_Lb0ESQ_SR_ST_SU_SY_EESZ_S10_S11_S12_S16_S17_S18_S1B_S1C_jS1D_jS1E_S1E_jjS1G_bEUljE0_EEESZ_S10_S11_S18_S1C_S1E_T6_T7_T9_mT8_S1G_bDpT10_ENKUlT_T0_E_clISt17integral_constantIbLb1EES1U_EEDaS1P_S1Q_EUlS1P_E_NS1_11comp_targetILNS1_3genE8ELNS1_11target_archE1030ELNS1_3gpuE2ELNS1_3repE0EEENS1_30default_config_static_selectorELNS0_4arch9wavefront6targetE0EEEvS12_: ; @_ZN7rocprim17ROCPRIM_400000_NS6detail17trampoline_kernelINS0_13select_configILj256ELj13ELNS0_17block_load_methodE3ELS4_3ELS4_3ELNS0_20block_scan_algorithmE0ELj4294967295EEENS1_25partition_config_selectorILNS1_17partition_subalgoE4EjNS0_10empty_typeEbEEZZNS1_14partition_implILS8_4ELb0ES6_15HIP_vector_typeIjLj2EENS0_17counting_iteratorIjlEEPS9_SG_NS0_5tupleIJPjSI_NS0_16reverse_iteratorISI_EEEEENSH_IJSG_SG_SG_EEES9_SI_JZNS1_25segmented_radix_sort_implINS0_14default_configELb0EPKaPaPKlPlN2at6native12_GLOBAL__N_18offset_tEEE10hipError_tPvRmT1_PNSt15iterator_traitsIS12_E10value_typeET2_T3_PNS13_IS18_E10value_typeET4_jRbjT5_S1E_jjP12ihipStream_tbEUljE_ZNSN_ISO_Lb0ESQ_SR_ST_SU_SY_EESZ_S10_S11_S12_S16_S17_S18_S1B_S1C_jS1D_jS1E_S1E_jjS1G_bEUljE0_EEESZ_S10_S11_S18_S1C_S1E_T6_T7_T9_mT8_S1G_bDpT10_ENKUlT_T0_E_clISt17integral_constantIbLb1EES1U_EEDaS1P_S1Q_EUlS1P_E_NS1_11comp_targetILNS1_3genE8ELNS1_11target_archE1030ELNS1_3gpuE2ELNS1_3repE0EEENS1_30default_config_static_selectorELNS0_4arch9wavefront6targetE0EEEvS12_
; %bb.0:
	.section	.rodata,"a",@progbits
	.p2align	6, 0x0
	.amdhsa_kernel _ZN7rocprim17ROCPRIM_400000_NS6detail17trampoline_kernelINS0_13select_configILj256ELj13ELNS0_17block_load_methodE3ELS4_3ELS4_3ELNS0_20block_scan_algorithmE0ELj4294967295EEENS1_25partition_config_selectorILNS1_17partition_subalgoE4EjNS0_10empty_typeEbEEZZNS1_14partition_implILS8_4ELb0ES6_15HIP_vector_typeIjLj2EENS0_17counting_iteratorIjlEEPS9_SG_NS0_5tupleIJPjSI_NS0_16reverse_iteratorISI_EEEEENSH_IJSG_SG_SG_EEES9_SI_JZNS1_25segmented_radix_sort_implINS0_14default_configELb0EPKaPaPKlPlN2at6native12_GLOBAL__N_18offset_tEEE10hipError_tPvRmT1_PNSt15iterator_traitsIS12_E10value_typeET2_T3_PNS13_IS18_E10value_typeET4_jRbjT5_S1E_jjP12ihipStream_tbEUljE_ZNSN_ISO_Lb0ESQ_SR_ST_SU_SY_EESZ_S10_S11_S12_S16_S17_S18_S1B_S1C_jS1D_jS1E_S1E_jjS1G_bEUljE0_EEESZ_S10_S11_S18_S1C_S1E_T6_T7_T9_mT8_S1G_bDpT10_ENKUlT_T0_E_clISt17integral_constantIbLb1EES1U_EEDaS1P_S1Q_EUlS1P_E_NS1_11comp_targetILNS1_3genE8ELNS1_11target_archE1030ELNS1_3gpuE2ELNS1_3repE0EEENS1_30default_config_static_selectorELNS0_4arch9wavefront6targetE0EEEvS12_
		.amdhsa_group_segment_fixed_size 0
		.amdhsa_private_segment_fixed_size 0
		.amdhsa_kernarg_size 184
		.amdhsa_user_sgpr_count 15
		.amdhsa_user_sgpr_dispatch_ptr 0
		.amdhsa_user_sgpr_queue_ptr 0
		.amdhsa_user_sgpr_kernarg_segment_ptr 1
		.amdhsa_user_sgpr_dispatch_id 0
		.amdhsa_user_sgpr_private_segment_size 0
		.amdhsa_wavefront_size32 1
		.amdhsa_uses_dynamic_stack 0
		.amdhsa_enable_private_segment 0
		.amdhsa_system_sgpr_workgroup_id_x 1
		.amdhsa_system_sgpr_workgroup_id_y 0
		.amdhsa_system_sgpr_workgroup_id_z 0
		.amdhsa_system_sgpr_workgroup_info 0
		.amdhsa_system_vgpr_workitem_id 0
		.amdhsa_next_free_vgpr 1
		.amdhsa_next_free_sgpr 1
		.amdhsa_reserve_vcc 0
		.amdhsa_float_round_mode_32 0
		.amdhsa_float_round_mode_16_64 0
		.amdhsa_float_denorm_mode_32 3
		.amdhsa_float_denorm_mode_16_64 3
		.amdhsa_dx10_clamp 1
		.amdhsa_ieee_mode 1
		.amdhsa_fp16_overflow 0
		.amdhsa_workgroup_processor_mode 1
		.amdhsa_memory_ordered 1
		.amdhsa_forward_progress 0
		.amdhsa_shared_vgpr_count 0
		.amdhsa_exception_fp_ieee_invalid_op 0
		.amdhsa_exception_fp_denorm_src 0
		.amdhsa_exception_fp_ieee_div_zero 0
		.amdhsa_exception_fp_ieee_overflow 0
		.amdhsa_exception_fp_ieee_underflow 0
		.amdhsa_exception_fp_ieee_inexact 0
		.amdhsa_exception_int_div_zero 0
	.end_amdhsa_kernel
	.section	.text._ZN7rocprim17ROCPRIM_400000_NS6detail17trampoline_kernelINS0_13select_configILj256ELj13ELNS0_17block_load_methodE3ELS4_3ELS4_3ELNS0_20block_scan_algorithmE0ELj4294967295EEENS1_25partition_config_selectorILNS1_17partition_subalgoE4EjNS0_10empty_typeEbEEZZNS1_14partition_implILS8_4ELb0ES6_15HIP_vector_typeIjLj2EENS0_17counting_iteratorIjlEEPS9_SG_NS0_5tupleIJPjSI_NS0_16reverse_iteratorISI_EEEEENSH_IJSG_SG_SG_EEES9_SI_JZNS1_25segmented_radix_sort_implINS0_14default_configELb0EPKaPaPKlPlN2at6native12_GLOBAL__N_18offset_tEEE10hipError_tPvRmT1_PNSt15iterator_traitsIS12_E10value_typeET2_T3_PNS13_IS18_E10value_typeET4_jRbjT5_S1E_jjP12ihipStream_tbEUljE_ZNSN_ISO_Lb0ESQ_SR_ST_SU_SY_EESZ_S10_S11_S12_S16_S17_S18_S1B_S1C_jS1D_jS1E_S1E_jjS1G_bEUljE0_EEESZ_S10_S11_S18_S1C_S1E_T6_T7_T9_mT8_S1G_bDpT10_ENKUlT_T0_E_clISt17integral_constantIbLb1EES1U_EEDaS1P_S1Q_EUlS1P_E_NS1_11comp_targetILNS1_3genE8ELNS1_11target_archE1030ELNS1_3gpuE2ELNS1_3repE0EEENS1_30default_config_static_selectorELNS0_4arch9wavefront6targetE0EEEvS12_,"axG",@progbits,_ZN7rocprim17ROCPRIM_400000_NS6detail17trampoline_kernelINS0_13select_configILj256ELj13ELNS0_17block_load_methodE3ELS4_3ELS4_3ELNS0_20block_scan_algorithmE0ELj4294967295EEENS1_25partition_config_selectorILNS1_17partition_subalgoE4EjNS0_10empty_typeEbEEZZNS1_14partition_implILS8_4ELb0ES6_15HIP_vector_typeIjLj2EENS0_17counting_iteratorIjlEEPS9_SG_NS0_5tupleIJPjSI_NS0_16reverse_iteratorISI_EEEEENSH_IJSG_SG_SG_EEES9_SI_JZNS1_25segmented_radix_sort_implINS0_14default_configELb0EPKaPaPKlPlN2at6native12_GLOBAL__N_18offset_tEEE10hipError_tPvRmT1_PNSt15iterator_traitsIS12_E10value_typeET2_T3_PNS13_IS18_E10value_typeET4_jRbjT5_S1E_jjP12ihipStream_tbEUljE_ZNSN_ISO_Lb0ESQ_SR_ST_SU_SY_EESZ_S10_S11_S12_S16_S17_S18_S1B_S1C_jS1D_jS1E_S1E_jjS1G_bEUljE0_EEESZ_S10_S11_S18_S1C_S1E_T6_T7_T9_mT8_S1G_bDpT10_ENKUlT_T0_E_clISt17integral_constantIbLb1EES1U_EEDaS1P_S1Q_EUlS1P_E_NS1_11comp_targetILNS1_3genE8ELNS1_11target_archE1030ELNS1_3gpuE2ELNS1_3repE0EEENS1_30default_config_static_selectorELNS0_4arch9wavefront6targetE0EEEvS12_,comdat
.Lfunc_end344:
	.size	_ZN7rocprim17ROCPRIM_400000_NS6detail17trampoline_kernelINS0_13select_configILj256ELj13ELNS0_17block_load_methodE3ELS4_3ELS4_3ELNS0_20block_scan_algorithmE0ELj4294967295EEENS1_25partition_config_selectorILNS1_17partition_subalgoE4EjNS0_10empty_typeEbEEZZNS1_14partition_implILS8_4ELb0ES6_15HIP_vector_typeIjLj2EENS0_17counting_iteratorIjlEEPS9_SG_NS0_5tupleIJPjSI_NS0_16reverse_iteratorISI_EEEEENSH_IJSG_SG_SG_EEES9_SI_JZNS1_25segmented_radix_sort_implINS0_14default_configELb0EPKaPaPKlPlN2at6native12_GLOBAL__N_18offset_tEEE10hipError_tPvRmT1_PNSt15iterator_traitsIS12_E10value_typeET2_T3_PNS13_IS18_E10value_typeET4_jRbjT5_S1E_jjP12ihipStream_tbEUljE_ZNSN_ISO_Lb0ESQ_SR_ST_SU_SY_EESZ_S10_S11_S12_S16_S17_S18_S1B_S1C_jS1D_jS1E_S1E_jjS1G_bEUljE0_EEESZ_S10_S11_S18_S1C_S1E_T6_T7_T9_mT8_S1G_bDpT10_ENKUlT_T0_E_clISt17integral_constantIbLb1EES1U_EEDaS1P_S1Q_EUlS1P_E_NS1_11comp_targetILNS1_3genE8ELNS1_11target_archE1030ELNS1_3gpuE2ELNS1_3repE0EEENS1_30default_config_static_selectorELNS0_4arch9wavefront6targetE0EEEvS12_, .Lfunc_end344-_ZN7rocprim17ROCPRIM_400000_NS6detail17trampoline_kernelINS0_13select_configILj256ELj13ELNS0_17block_load_methodE3ELS4_3ELS4_3ELNS0_20block_scan_algorithmE0ELj4294967295EEENS1_25partition_config_selectorILNS1_17partition_subalgoE4EjNS0_10empty_typeEbEEZZNS1_14partition_implILS8_4ELb0ES6_15HIP_vector_typeIjLj2EENS0_17counting_iteratorIjlEEPS9_SG_NS0_5tupleIJPjSI_NS0_16reverse_iteratorISI_EEEEENSH_IJSG_SG_SG_EEES9_SI_JZNS1_25segmented_radix_sort_implINS0_14default_configELb0EPKaPaPKlPlN2at6native12_GLOBAL__N_18offset_tEEE10hipError_tPvRmT1_PNSt15iterator_traitsIS12_E10value_typeET2_T3_PNS13_IS18_E10value_typeET4_jRbjT5_S1E_jjP12ihipStream_tbEUljE_ZNSN_ISO_Lb0ESQ_SR_ST_SU_SY_EESZ_S10_S11_S12_S16_S17_S18_S1B_S1C_jS1D_jS1E_S1E_jjS1G_bEUljE0_EEESZ_S10_S11_S18_S1C_S1E_T6_T7_T9_mT8_S1G_bDpT10_ENKUlT_T0_E_clISt17integral_constantIbLb1EES1U_EEDaS1P_S1Q_EUlS1P_E_NS1_11comp_targetILNS1_3genE8ELNS1_11target_archE1030ELNS1_3gpuE2ELNS1_3repE0EEENS1_30default_config_static_selectorELNS0_4arch9wavefront6targetE0EEEvS12_
                                        ; -- End function
	.section	.AMDGPU.csdata,"",@progbits
; Kernel info:
; codeLenInByte = 0
; NumSgprs: 0
; NumVgprs: 0
; ScratchSize: 0
; MemoryBound: 0
; FloatMode: 240
; IeeeMode: 1
; LDSByteSize: 0 bytes/workgroup (compile time only)
; SGPRBlocks: 0
; VGPRBlocks: 0
; NumSGPRsForWavesPerEU: 1
; NumVGPRsForWavesPerEU: 1
; Occupancy: 16
; WaveLimiterHint : 0
; COMPUTE_PGM_RSRC2:SCRATCH_EN: 0
; COMPUTE_PGM_RSRC2:USER_SGPR: 15
; COMPUTE_PGM_RSRC2:TRAP_HANDLER: 0
; COMPUTE_PGM_RSRC2:TGID_X_EN: 1
; COMPUTE_PGM_RSRC2:TGID_Y_EN: 0
; COMPUTE_PGM_RSRC2:TGID_Z_EN: 0
; COMPUTE_PGM_RSRC2:TIDIG_COMP_CNT: 0
	.section	.text._ZN7rocprim17ROCPRIM_400000_NS6detail17trampoline_kernelINS0_13select_configILj256ELj13ELNS0_17block_load_methodE3ELS4_3ELS4_3ELNS0_20block_scan_algorithmE0ELj4294967295EEENS1_25partition_config_selectorILNS1_17partition_subalgoE4EjNS0_10empty_typeEbEEZZNS1_14partition_implILS8_4ELb0ES6_15HIP_vector_typeIjLj2EENS0_17counting_iteratorIjlEEPS9_SG_NS0_5tupleIJPjSI_NS0_16reverse_iteratorISI_EEEEENSH_IJSG_SG_SG_EEES9_SI_JZNS1_25segmented_radix_sort_implINS0_14default_configELb0EPKaPaPKlPlN2at6native12_GLOBAL__N_18offset_tEEE10hipError_tPvRmT1_PNSt15iterator_traitsIS12_E10value_typeET2_T3_PNS13_IS18_E10value_typeET4_jRbjT5_S1E_jjP12ihipStream_tbEUljE_ZNSN_ISO_Lb0ESQ_SR_ST_SU_SY_EESZ_S10_S11_S12_S16_S17_S18_S1B_S1C_jS1D_jS1E_S1E_jjS1G_bEUljE0_EEESZ_S10_S11_S18_S1C_S1E_T6_T7_T9_mT8_S1G_bDpT10_ENKUlT_T0_E_clISt17integral_constantIbLb1EES1T_IbLb0EEEEDaS1P_S1Q_EUlS1P_E_NS1_11comp_targetILNS1_3genE0ELNS1_11target_archE4294967295ELNS1_3gpuE0ELNS1_3repE0EEENS1_30default_config_static_selectorELNS0_4arch9wavefront6targetE0EEEvS12_,"axG",@progbits,_ZN7rocprim17ROCPRIM_400000_NS6detail17trampoline_kernelINS0_13select_configILj256ELj13ELNS0_17block_load_methodE3ELS4_3ELS4_3ELNS0_20block_scan_algorithmE0ELj4294967295EEENS1_25partition_config_selectorILNS1_17partition_subalgoE4EjNS0_10empty_typeEbEEZZNS1_14partition_implILS8_4ELb0ES6_15HIP_vector_typeIjLj2EENS0_17counting_iteratorIjlEEPS9_SG_NS0_5tupleIJPjSI_NS0_16reverse_iteratorISI_EEEEENSH_IJSG_SG_SG_EEES9_SI_JZNS1_25segmented_radix_sort_implINS0_14default_configELb0EPKaPaPKlPlN2at6native12_GLOBAL__N_18offset_tEEE10hipError_tPvRmT1_PNSt15iterator_traitsIS12_E10value_typeET2_T3_PNS13_IS18_E10value_typeET4_jRbjT5_S1E_jjP12ihipStream_tbEUljE_ZNSN_ISO_Lb0ESQ_SR_ST_SU_SY_EESZ_S10_S11_S12_S16_S17_S18_S1B_S1C_jS1D_jS1E_S1E_jjS1G_bEUljE0_EEESZ_S10_S11_S18_S1C_S1E_T6_T7_T9_mT8_S1G_bDpT10_ENKUlT_T0_E_clISt17integral_constantIbLb1EES1T_IbLb0EEEEDaS1P_S1Q_EUlS1P_E_NS1_11comp_targetILNS1_3genE0ELNS1_11target_archE4294967295ELNS1_3gpuE0ELNS1_3repE0EEENS1_30default_config_static_selectorELNS0_4arch9wavefront6targetE0EEEvS12_,comdat
	.globl	_ZN7rocprim17ROCPRIM_400000_NS6detail17trampoline_kernelINS0_13select_configILj256ELj13ELNS0_17block_load_methodE3ELS4_3ELS4_3ELNS0_20block_scan_algorithmE0ELj4294967295EEENS1_25partition_config_selectorILNS1_17partition_subalgoE4EjNS0_10empty_typeEbEEZZNS1_14partition_implILS8_4ELb0ES6_15HIP_vector_typeIjLj2EENS0_17counting_iteratorIjlEEPS9_SG_NS0_5tupleIJPjSI_NS0_16reverse_iteratorISI_EEEEENSH_IJSG_SG_SG_EEES9_SI_JZNS1_25segmented_radix_sort_implINS0_14default_configELb0EPKaPaPKlPlN2at6native12_GLOBAL__N_18offset_tEEE10hipError_tPvRmT1_PNSt15iterator_traitsIS12_E10value_typeET2_T3_PNS13_IS18_E10value_typeET4_jRbjT5_S1E_jjP12ihipStream_tbEUljE_ZNSN_ISO_Lb0ESQ_SR_ST_SU_SY_EESZ_S10_S11_S12_S16_S17_S18_S1B_S1C_jS1D_jS1E_S1E_jjS1G_bEUljE0_EEESZ_S10_S11_S18_S1C_S1E_T6_T7_T9_mT8_S1G_bDpT10_ENKUlT_T0_E_clISt17integral_constantIbLb1EES1T_IbLb0EEEEDaS1P_S1Q_EUlS1P_E_NS1_11comp_targetILNS1_3genE0ELNS1_11target_archE4294967295ELNS1_3gpuE0ELNS1_3repE0EEENS1_30default_config_static_selectorELNS0_4arch9wavefront6targetE0EEEvS12_ ; -- Begin function _ZN7rocprim17ROCPRIM_400000_NS6detail17trampoline_kernelINS0_13select_configILj256ELj13ELNS0_17block_load_methodE3ELS4_3ELS4_3ELNS0_20block_scan_algorithmE0ELj4294967295EEENS1_25partition_config_selectorILNS1_17partition_subalgoE4EjNS0_10empty_typeEbEEZZNS1_14partition_implILS8_4ELb0ES6_15HIP_vector_typeIjLj2EENS0_17counting_iteratorIjlEEPS9_SG_NS0_5tupleIJPjSI_NS0_16reverse_iteratorISI_EEEEENSH_IJSG_SG_SG_EEES9_SI_JZNS1_25segmented_radix_sort_implINS0_14default_configELb0EPKaPaPKlPlN2at6native12_GLOBAL__N_18offset_tEEE10hipError_tPvRmT1_PNSt15iterator_traitsIS12_E10value_typeET2_T3_PNS13_IS18_E10value_typeET4_jRbjT5_S1E_jjP12ihipStream_tbEUljE_ZNSN_ISO_Lb0ESQ_SR_ST_SU_SY_EESZ_S10_S11_S12_S16_S17_S18_S1B_S1C_jS1D_jS1E_S1E_jjS1G_bEUljE0_EEESZ_S10_S11_S18_S1C_S1E_T6_T7_T9_mT8_S1G_bDpT10_ENKUlT_T0_E_clISt17integral_constantIbLb1EES1T_IbLb0EEEEDaS1P_S1Q_EUlS1P_E_NS1_11comp_targetILNS1_3genE0ELNS1_11target_archE4294967295ELNS1_3gpuE0ELNS1_3repE0EEENS1_30default_config_static_selectorELNS0_4arch9wavefront6targetE0EEEvS12_
	.p2align	8
	.type	_ZN7rocprim17ROCPRIM_400000_NS6detail17trampoline_kernelINS0_13select_configILj256ELj13ELNS0_17block_load_methodE3ELS4_3ELS4_3ELNS0_20block_scan_algorithmE0ELj4294967295EEENS1_25partition_config_selectorILNS1_17partition_subalgoE4EjNS0_10empty_typeEbEEZZNS1_14partition_implILS8_4ELb0ES6_15HIP_vector_typeIjLj2EENS0_17counting_iteratorIjlEEPS9_SG_NS0_5tupleIJPjSI_NS0_16reverse_iteratorISI_EEEEENSH_IJSG_SG_SG_EEES9_SI_JZNS1_25segmented_radix_sort_implINS0_14default_configELb0EPKaPaPKlPlN2at6native12_GLOBAL__N_18offset_tEEE10hipError_tPvRmT1_PNSt15iterator_traitsIS12_E10value_typeET2_T3_PNS13_IS18_E10value_typeET4_jRbjT5_S1E_jjP12ihipStream_tbEUljE_ZNSN_ISO_Lb0ESQ_SR_ST_SU_SY_EESZ_S10_S11_S12_S16_S17_S18_S1B_S1C_jS1D_jS1E_S1E_jjS1G_bEUljE0_EEESZ_S10_S11_S18_S1C_S1E_T6_T7_T9_mT8_S1G_bDpT10_ENKUlT_T0_E_clISt17integral_constantIbLb1EES1T_IbLb0EEEEDaS1P_S1Q_EUlS1P_E_NS1_11comp_targetILNS1_3genE0ELNS1_11target_archE4294967295ELNS1_3gpuE0ELNS1_3repE0EEENS1_30default_config_static_selectorELNS0_4arch9wavefront6targetE0EEEvS12_,@function
_ZN7rocprim17ROCPRIM_400000_NS6detail17trampoline_kernelINS0_13select_configILj256ELj13ELNS0_17block_load_methodE3ELS4_3ELS4_3ELNS0_20block_scan_algorithmE0ELj4294967295EEENS1_25partition_config_selectorILNS1_17partition_subalgoE4EjNS0_10empty_typeEbEEZZNS1_14partition_implILS8_4ELb0ES6_15HIP_vector_typeIjLj2EENS0_17counting_iteratorIjlEEPS9_SG_NS0_5tupleIJPjSI_NS0_16reverse_iteratorISI_EEEEENSH_IJSG_SG_SG_EEES9_SI_JZNS1_25segmented_radix_sort_implINS0_14default_configELb0EPKaPaPKlPlN2at6native12_GLOBAL__N_18offset_tEEE10hipError_tPvRmT1_PNSt15iterator_traitsIS12_E10value_typeET2_T3_PNS13_IS18_E10value_typeET4_jRbjT5_S1E_jjP12ihipStream_tbEUljE_ZNSN_ISO_Lb0ESQ_SR_ST_SU_SY_EESZ_S10_S11_S12_S16_S17_S18_S1B_S1C_jS1D_jS1E_S1E_jjS1G_bEUljE0_EEESZ_S10_S11_S18_S1C_S1E_T6_T7_T9_mT8_S1G_bDpT10_ENKUlT_T0_E_clISt17integral_constantIbLb1EES1T_IbLb0EEEEDaS1P_S1Q_EUlS1P_E_NS1_11comp_targetILNS1_3genE0ELNS1_11target_archE4294967295ELNS1_3gpuE0ELNS1_3repE0EEENS1_30default_config_static_selectorELNS0_4arch9wavefront6targetE0EEEvS12_: ; @_ZN7rocprim17ROCPRIM_400000_NS6detail17trampoline_kernelINS0_13select_configILj256ELj13ELNS0_17block_load_methodE3ELS4_3ELS4_3ELNS0_20block_scan_algorithmE0ELj4294967295EEENS1_25partition_config_selectorILNS1_17partition_subalgoE4EjNS0_10empty_typeEbEEZZNS1_14partition_implILS8_4ELb0ES6_15HIP_vector_typeIjLj2EENS0_17counting_iteratorIjlEEPS9_SG_NS0_5tupleIJPjSI_NS0_16reverse_iteratorISI_EEEEENSH_IJSG_SG_SG_EEES9_SI_JZNS1_25segmented_radix_sort_implINS0_14default_configELb0EPKaPaPKlPlN2at6native12_GLOBAL__N_18offset_tEEE10hipError_tPvRmT1_PNSt15iterator_traitsIS12_E10value_typeET2_T3_PNS13_IS18_E10value_typeET4_jRbjT5_S1E_jjP12ihipStream_tbEUljE_ZNSN_ISO_Lb0ESQ_SR_ST_SU_SY_EESZ_S10_S11_S12_S16_S17_S18_S1B_S1C_jS1D_jS1E_S1E_jjS1G_bEUljE0_EEESZ_S10_S11_S18_S1C_S1E_T6_T7_T9_mT8_S1G_bDpT10_ENKUlT_T0_E_clISt17integral_constantIbLb1EES1T_IbLb0EEEEDaS1P_S1Q_EUlS1P_E_NS1_11comp_targetILNS1_3genE0ELNS1_11target_archE4294967295ELNS1_3gpuE0ELNS1_3repE0EEENS1_30default_config_static_selectorELNS0_4arch9wavefront6targetE0EEEvS12_
; %bb.0:
	.section	.rodata,"a",@progbits
	.p2align	6, 0x0
	.amdhsa_kernel _ZN7rocprim17ROCPRIM_400000_NS6detail17trampoline_kernelINS0_13select_configILj256ELj13ELNS0_17block_load_methodE3ELS4_3ELS4_3ELNS0_20block_scan_algorithmE0ELj4294967295EEENS1_25partition_config_selectorILNS1_17partition_subalgoE4EjNS0_10empty_typeEbEEZZNS1_14partition_implILS8_4ELb0ES6_15HIP_vector_typeIjLj2EENS0_17counting_iteratorIjlEEPS9_SG_NS0_5tupleIJPjSI_NS0_16reverse_iteratorISI_EEEEENSH_IJSG_SG_SG_EEES9_SI_JZNS1_25segmented_radix_sort_implINS0_14default_configELb0EPKaPaPKlPlN2at6native12_GLOBAL__N_18offset_tEEE10hipError_tPvRmT1_PNSt15iterator_traitsIS12_E10value_typeET2_T3_PNS13_IS18_E10value_typeET4_jRbjT5_S1E_jjP12ihipStream_tbEUljE_ZNSN_ISO_Lb0ESQ_SR_ST_SU_SY_EESZ_S10_S11_S12_S16_S17_S18_S1B_S1C_jS1D_jS1E_S1E_jjS1G_bEUljE0_EEESZ_S10_S11_S18_S1C_S1E_T6_T7_T9_mT8_S1G_bDpT10_ENKUlT_T0_E_clISt17integral_constantIbLb1EES1T_IbLb0EEEEDaS1P_S1Q_EUlS1P_E_NS1_11comp_targetILNS1_3genE0ELNS1_11target_archE4294967295ELNS1_3gpuE0ELNS1_3repE0EEENS1_30default_config_static_selectorELNS0_4arch9wavefront6targetE0EEEvS12_
		.amdhsa_group_segment_fixed_size 0
		.amdhsa_private_segment_fixed_size 0
		.amdhsa_kernarg_size 176
		.amdhsa_user_sgpr_count 15
		.amdhsa_user_sgpr_dispatch_ptr 0
		.amdhsa_user_sgpr_queue_ptr 0
		.amdhsa_user_sgpr_kernarg_segment_ptr 1
		.amdhsa_user_sgpr_dispatch_id 0
		.amdhsa_user_sgpr_private_segment_size 0
		.amdhsa_wavefront_size32 1
		.amdhsa_uses_dynamic_stack 0
		.amdhsa_enable_private_segment 0
		.amdhsa_system_sgpr_workgroup_id_x 1
		.amdhsa_system_sgpr_workgroup_id_y 0
		.amdhsa_system_sgpr_workgroup_id_z 0
		.amdhsa_system_sgpr_workgroup_info 0
		.amdhsa_system_vgpr_workitem_id 0
		.amdhsa_next_free_vgpr 1
		.amdhsa_next_free_sgpr 1
		.amdhsa_reserve_vcc 0
		.amdhsa_float_round_mode_32 0
		.amdhsa_float_round_mode_16_64 0
		.amdhsa_float_denorm_mode_32 3
		.amdhsa_float_denorm_mode_16_64 3
		.amdhsa_dx10_clamp 1
		.amdhsa_ieee_mode 1
		.amdhsa_fp16_overflow 0
		.amdhsa_workgroup_processor_mode 1
		.amdhsa_memory_ordered 1
		.amdhsa_forward_progress 0
		.amdhsa_shared_vgpr_count 0
		.amdhsa_exception_fp_ieee_invalid_op 0
		.amdhsa_exception_fp_denorm_src 0
		.amdhsa_exception_fp_ieee_div_zero 0
		.amdhsa_exception_fp_ieee_overflow 0
		.amdhsa_exception_fp_ieee_underflow 0
		.amdhsa_exception_fp_ieee_inexact 0
		.amdhsa_exception_int_div_zero 0
	.end_amdhsa_kernel
	.section	.text._ZN7rocprim17ROCPRIM_400000_NS6detail17trampoline_kernelINS0_13select_configILj256ELj13ELNS0_17block_load_methodE3ELS4_3ELS4_3ELNS0_20block_scan_algorithmE0ELj4294967295EEENS1_25partition_config_selectorILNS1_17partition_subalgoE4EjNS0_10empty_typeEbEEZZNS1_14partition_implILS8_4ELb0ES6_15HIP_vector_typeIjLj2EENS0_17counting_iteratorIjlEEPS9_SG_NS0_5tupleIJPjSI_NS0_16reverse_iteratorISI_EEEEENSH_IJSG_SG_SG_EEES9_SI_JZNS1_25segmented_radix_sort_implINS0_14default_configELb0EPKaPaPKlPlN2at6native12_GLOBAL__N_18offset_tEEE10hipError_tPvRmT1_PNSt15iterator_traitsIS12_E10value_typeET2_T3_PNS13_IS18_E10value_typeET4_jRbjT5_S1E_jjP12ihipStream_tbEUljE_ZNSN_ISO_Lb0ESQ_SR_ST_SU_SY_EESZ_S10_S11_S12_S16_S17_S18_S1B_S1C_jS1D_jS1E_S1E_jjS1G_bEUljE0_EEESZ_S10_S11_S18_S1C_S1E_T6_T7_T9_mT8_S1G_bDpT10_ENKUlT_T0_E_clISt17integral_constantIbLb1EES1T_IbLb0EEEEDaS1P_S1Q_EUlS1P_E_NS1_11comp_targetILNS1_3genE0ELNS1_11target_archE4294967295ELNS1_3gpuE0ELNS1_3repE0EEENS1_30default_config_static_selectorELNS0_4arch9wavefront6targetE0EEEvS12_,"axG",@progbits,_ZN7rocprim17ROCPRIM_400000_NS6detail17trampoline_kernelINS0_13select_configILj256ELj13ELNS0_17block_load_methodE3ELS4_3ELS4_3ELNS0_20block_scan_algorithmE0ELj4294967295EEENS1_25partition_config_selectorILNS1_17partition_subalgoE4EjNS0_10empty_typeEbEEZZNS1_14partition_implILS8_4ELb0ES6_15HIP_vector_typeIjLj2EENS0_17counting_iteratorIjlEEPS9_SG_NS0_5tupleIJPjSI_NS0_16reverse_iteratorISI_EEEEENSH_IJSG_SG_SG_EEES9_SI_JZNS1_25segmented_radix_sort_implINS0_14default_configELb0EPKaPaPKlPlN2at6native12_GLOBAL__N_18offset_tEEE10hipError_tPvRmT1_PNSt15iterator_traitsIS12_E10value_typeET2_T3_PNS13_IS18_E10value_typeET4_jRbjT5_S1E_jjP12ihipStream_tbEUljE_ZNSN_ISO_Lb0ESQ_SR_ST_SU_SY_EESZ_S10_S11_S12_S16_S17_S18_S1B_S1C_jS1D_jS1E_S1E_jjS1G_bEUljE0_EEESZ_S10_S11_S18_S1C_S1E_T6_T7_T9_mT8_S1G_bDpT10_ENKUlT_T0_E_clISt17integral_constantIbLb1EES1T_IbLb0EEEEDaS1P_S1Q_EUlS1P_E_NS1_11comp_targetILNS1_3genE0ELNS1_11target_archE4294967295ELNS1_3gpuE0ELNS1_3repE0EEENS1_30default_config_static_selectorELNS0_4arch9wavefront6targetE0EEEvS12_,comdat
.Lfunc_end345:
	.size	_ZN7rocprim17ROCPRIM_400000_NS6detail17trampoline_kernelINS0_13select_configILj256ELj13ELNS0_17block_load_methodE3ELS4_3ELS4_3ELNS0_20block_scan_algorithmE0ELj4294967295EEENS1_25partition_config_selectorILNS1_17partition_subalgoE4EjNS0_10empty_typeEbEEZZNS1_14partition_implILS8_4ELb0ES6_15HIP_vector_typeIjLj2EENS0_17counting_iteratorIjlEEPS9_SG_NS0_5tupleIJPjSI_NS0_16reverse_iteratorISI_EEEEENSH_IJSG_SG_SG_EEES9_SI_JZNS1_25segmented_radix_sort_implINS0_14default_configELb0EPKaPaPKlPlN2at6native12_GLOBAL__N_18offset_tEEE10hipError_tPvRmT1_PNSt15iterator_traitsIS12_E10value_typeET2_T3_PNS13_IS18_E10value_typeET4_jRbjT5_S1E_jjP12ihipStream_tbEUljE_ZNSN_ISO_Lb0ESQ_SR_ST_SU_SY_EESZ_S10_S11_S12_S16_S17_S18_S1B_S1C_jS1D_jS1E_S1E_jjS1G_bEUljE0_EEESZ_S10_S11_S18_S1C_S1E_T6_T7_T9_mT8_S1G_bDpT10_ENKUlT_T0_E_clISt17integral_constantIbLb1EES1T_IbLb0EEEEDaS1P_S1Q_EUlS1P_E_NS1_11comp_targetILNS1_3genE0ELNS1_11target_archE4294967295ELNS1_3gpuE0ELNS1_3repE0EEENS1_30default_config_static_selectorELNS0_4arch9wavefront6targetE0EEEvS12_, .Lfunc_end345-_ZN7rocprim17ROCPRIM_400000_NS6detail17trampoline_kernelINS0_13select_configILj256ELj13ELNS0_17block_load_methodE3ELS4_3ELS4_3ELNS0_20block_scan_algorithmE0ELj4294967295EEENS1_25partition_config_selectorILNS1_17partition_subalgoE4EjNS0_10empty_typeEbEEZZNS1_14partition_implILS8_4ELb0ES6_15HIP_vector_typeIjLj2EENS0_17counting_iteratorIjlEEPS9_SG_NS0_5tupleIJPjSI_NS0_16reverse_iteratorISI_EEEEENSH_IJSG_SG_SG_EEES9_SI_JZNS1_25segmented_radix_sort_implINS0_14default_configELb0EPKaPaPKlPlN2at6native12_GLOBAL__N_18offset_tEEE10hipError_tPvRmT1_PNSt15iterator_traitsIS12_E10value_typeET2_T3_PNS13_IS18_E10value_typeET4_jRbjT5_S1E_jjP12ihipStream_tbEUljE_ZNSN_ISO_Lb0ESQ_SR_ST_SU_SY_EESZ_S10_S11_S12_S16_S17_S18_S1B_S1C_jS1D_jS1E_S1E_jjS1G_bEUljE0_EEESZ_S10_S11_S18_S1C_S1E_T6_T7_T9_mT8_S1G_bDpT10_ENKUlT_T0_E_clISt17integral_constantIbLb1EES1T_IbLb0EEEEDaS1P_S1Q_EUlS1P_E_NS1_11comp_targetILNS1_3genE0ELNS1_11target_archE4294967295ELNS1_3gpuE0ELNS1_3repE0EEENS1_30default_config_static_selectorELNS0_4arch9wavefront6targetE0EEEvS12_
                                        ; -- End function
	.section	.AMDGPU.csdata,"",@progbits
; Kernel info:
; codeLenInByte = 0
; NumSgprs: 0
; NumVgprs: 0
; ScratchSize: 0
; MemoryBound: 0
; FloatMode: 240
; IeeeMode: 1
; LDSByteSize: 0 bytes/workgroup (compile time only)
; SGPRBlocks: 0
; VGPRBlocks: 0
; NumSGPRsForWavesPerEU: 1
; NumVGPRsForWavesPerEU: 1
; Occupancy: 16
; WaveLimiterHint : 0
; COMPUTE_PGM_RSRC2:SCRATCH_EN: 0
; COMPUTE_PGM_RSRC2:USER_SGPR: 15
; COMPUTE_PGM_RSRC2:TRAP_HANDLER: 0
; COMPUTE_PGM_RSRC2:TGID_X_EN: 1
; COMPUTE_PGM_RSRC2:TGID_Y_EN: 0
; COMPUTE_PGM_RSRC2:TGID_Z_EN: 0
; COMPUTE_PGM_RSRC2:TIDIG_COMP_CNT: 0
	.section	.text._ZN7rocprim17ROCPRIM_400000_NS6detail17trampoline_kernelINS0_13select_configILj256ELj13ELNS0_17block_load_methodE3ELS4_3ELS4_3ELNS0_20block_scan_algorithmE0ELj4294967295EEENS1_25partition_config_selectorILNS1_17partition_subalgoE4EjNS0_10empty_typeEbEEZZNS1_14partition_implILS8_4ELb0ES6_15HIP_vector_typeIjLj2EENS0_17counting_iteratorIjlEEPS9_SG_NS0_5tupleIJPjSI_NS0_16reverse_iteratorISI_EEEEENSH_IJSG_SG_SG_EEES9_SI_JZNS1_25segmented_radix_sort_implINS0_14default_configELb0EPKaPaPKlPlN2at6native12_GLOBAL__N_18offset_tEEE10hipError_tPvRmT1_PNSt15iterator_traitsIS12_E10value_typeET2_T3_PNS13_IS18_E10value_typeET4_jRbjT5_S1E_jjP12ihipStream_tbEUljE_ZNSN_ISO_Lb0ESQ_SR_ST_SU_SY_EESZ_S10_S11_S12_S16_S17_S18_S1B_S1C_jS1D_jS1E_S1E_jjS1G_bEUljE0_EEESZ_S10_S11_S18_S1C_S1E_T6_T7_T9_mT8_S1G_bDpT10_ENKUlT_T0_E_clISt17integral_constantIbLb1EES1T_IbLb0EEEEDaS1P_S1Q_EUlS1P_E_NS1_11comp_targetILNS1_3genE5ELNS1_11target_archE942ELNS1_3gpuE9ELNS1_3repE0EEENS1_30default_config_static_selectorELNS0_4arch9wavefront6targetE0EEEvS12_,"axG",@progbits,_ZN7rocprim17ROCPRIM_400000_NS6detail17trampoline_kernelINS0_13select_configILj256ELj13ELNS0_17block_load_methodE3ELS4_3ELS4_3ELNS0_20block_scan_algorithmE0ELj4294967295EEENS1_25partition_config_selectorILNS1_17partition_subalgoE4EjNS0_10empty_typeEbEEZZNS1_14partition_implILS8_4ELb0ES6_15HIP_vector_typeIjLj2EENS0_17counting_iteratorIjlEEPS9_SG_NS0_5tupleIJPjSI_NS0_16reverse_iteratorISI_EEEEENSH_IJSG_SG_SG_EEES9_SI_JZNS1_25segmented_radix_sort_implINS0_14default_configELb0EPKaPaPKlPlN2at6native12_GLOBAL__N_18offset_tEEE10hipError_tPvRmT1_PNSt15iterator_traitsIS12_E10value_typeET2_T3_PNS13_IS18_E10value_typeET4_jRbjT5_S1E_jjP12ihipStream_tbEUljE_ZNSN_ISO_Lb0ESQ_SR_ST_SU_SY_EESZ_S10_S11_S12_S16_S17_S18_S1B_S1C_jS1D_jS1E_S1E_jjS1G_bEUljE0_EEESZ_S10_S11_S18_S1C_S1E_T6_T7_T9_mT8_S1G_bDpT10_ENKUlT_T0_E_clISt17integral_constantIbLb1EES1T_IbLb0EEEEDaS1P_S1Q_EUlS1P_E_NS1_11comp_targetILNS1_3genE5ELNS1_11target_archE942ELNS1_3gpuE9ELNS1_3repE0EEENS1_30default_config_static_selectorELNS0_4arch9wavefront6targetE0EEEvS12_,comdat
	.globl	_ZN7rocprim17ROCPRIM_400000_NS6detail17trampoline_kernelINS0_13select_configILj256ELj13ELNS0_17block_load_methodE3ELS4_3ELS4_3ELNS0_20block_scan_algorithmE0ELj4294967295EEENS1_25partition_config_selectorILNS1_17partition_subalgoE4EjNS0_10empty_typeEbEEZZNS1_14partition_implILS8_4ELb0ES6_15HIP_vector_typeIjLj2EENS0_17counting_iteratorIjlEEPS9_SG_NS0_5tupleIJPjSI_NS0_16reverse_iteratorISI_EEEEENSH_IJSG_SG_SG_EEES9_SI_JZNS1_25segmented_radix_sort_implINS0_14default_configELb0EPKaPaPKlPlN2at6native12_GLOBAL__N_18offset_tEEE10hipError_tPvRmT1_PNSt15iterator_traitsIS12_E10value_typeET2_T3_PNS13_IS18_E10value_typeET4_jRbjT5_S1E_jjP12ihipStream_tbEUljE_ZNSN_ISO_Lb0ESQ_SR_ST_SU_SY_EESZ_S10_S11_S12_S16_S17_S18_S1B_S1C_jS1D_jS1E_S1E_jjS1G_bEUljE0_EEESZ_S10_S11_S18_S1C_S1E_T6_T7_T9_mT8_S1G_bDpT10_ENKUlT_T0_E_clISt17integral_constantIbLb1EES1T_IbLb0EEEEDaS1P_S1Q_EUlS1P_E_NS1_11comp_targetILNS1_3genE5ELNS1_11target_archE942ELNS1_3gpuE9ELNS1_3repE0EEENS1_30default_config_static_selectorELNS0_4arch9wavefront6targetE0EEEvS12_ ; -- Begin function _ZN7rocprim17ROCPRIM_400000_NS6detail17trampoline_kernelINS0_13select_configILj256ELj13ELNS0_17block_load_methodE3ELS4_3ELS4_3ELNS0_20block_scan_algorithmE0ELj4294967295EEENS1_25partition_config_selectorILNS1_17partition_subalgoE4EjNS0_10empty_typeEbEEZZNS1_14partition_implILS8_4ELb0ES6_15HIP_vector_typeIjLj2EENS0_17counting_iteratorIjlEEPS9_SG_NS0_5tupleIJPjSI_NS0_16reverse_iteratorISI_EEEEENSH_IJSG_SG_SG_EEES9_SI_JZNS1_25segmented_radix_sort_implINS0_14default_configELb0EPKaPaPKlPlN2at6native12_GLOBAL__N_18offset_tEEE10hipError_tPvRmT1_PNSt15iterator_traitsIS12_E10value_typeET2_T3_PNS13_IS18_E10value_typeET4_jRbjT5_S1E_jjP12ihipStream_tbEUljE_ZNSN_ISO_Lb0ESQ_SR_ST_SU_SY_EESZ_S10_S11_S12_S16_S17_S18_S1B_S1C_jS1D_jS1E_S1E_jjS1G_bEUljE0_EEESZ_S10_S11_S18_S1C_S1E_T6_T7_T9_mT8_S1G_bDpT10_ENKUlT_T0_E_clISt17integral_constantIbLb1EES1T_IbLb0EEEEDaS1P_S1Q_EUlS1P_E_NS1_11comp_targetILNS1_3genE5ELNS1_11target_archE942ELNS1_3gpuE9ELNS1_3repE0EEENS1_30default_config_static_selectorELNS0_4arch9wavefront6targetE0EEEvS12_
	.p2align	8
	.type	_ZN7rocprim17ROCPRIM_400000_NS6detail17trampoline_kernelINS0_13select_configILj256ELj13ELNS0_17block_load_methodE3ELS4_3ELS4_3ELNS0_20block_scan_algorithmE0ELj4294967295EEENS1_25partition_config_selectorILNS1_17partition_subalgoE4EjNS0_10empty_typeEbEEZZNS1_14partition_implILS8_4ELb0ES6_15HIP_vector_typeIjLj2EENS0_17counting_iteratorIjlEEPS9_SG_NS0_5tupleIJPjSI_NS0_16reverse_iteratorISI_EEEEENSH_IJSG_SG_SG_EEES9_SI_JZNS1_25segmented_radix_sort_implINS0_14default_configELb0EPKaPaPKlPlN2at6native12_GLOBAL__N_18offset_tEEE10hipError_tPvRmT1_PNSt15iterator_traitsIS12_E10value_typeET2_T3_PNS13_IS18_E10value_typeET4_jRbjT5_S1E_jjP12ihipStream_tbEUljE_ZNSN_ISO_Lb0ESQ_SR_ST_SU_SY_EESZ_S10_S11_S12_S16_S17_S18_S1B_S1C_jS1D_jS1E_S1E_jjS1G_bEUljE0_EEESZ_S10_S11_S18_S1C_S1E_T6_T7_T9_mT8_S1G_bDpT10_ENKUlT_T0_E_clISt17integral_constantIbLb1EES1T_IbLb0EEEEDaS1P_S1Q_EUlS1P_E_NS1_11comp_targetILNS1_3genE5ELNS1_11target_archE942ELNS1_3gpuE9ELNS1_3repE0EEENS1_30default_config_static_selectorELNS0_4arch9wavefront6targetE0EEEvS12_,@function
_ZN7rocprim17ROCPRIM_400000_NS6detail17trampoline_kernelINS0_13select_configILj256ELj13ELNS0_17block_load_methodE3ELS4_3ELS4_3ELNS0_20block_scan_algorithmE0ELj4294967295EEENS1_25partition_config_selectorILNS1_17partition_subalgoE4EjNS0_10empty_typeEbEEZZNS1_14partition_implILS8_4ELb0ES6_15HIP_vector_typeIjLj2EENS0_17counting_iteratorIjlEEPS9_SG_NS0_5tupleIJPjSI_NS0_16reverse_iteratorISI_EEEEENSH_IJSG_SG_SG_EEES9_SI_JZNS1_25segmented_radix_sort_implINS0_14default_configELb0EPKaPaPKlPlN2at6native12_GLOBAL__N_18offset_tEEE10hipError_tPvRmT1_PNSt15iterator_traitsIS12_E10value_typeET2_T3_PNS13_IS18_E10value_typeET4_jRbjT5_S1E_jjP12ihipStream_tbEUljE_ZNSN_ISO_Lb0ESQ_SR_ST_SU_SY_EESZ_S10_S11_S12_S16_S17_S18_S1B_S1C_jS1D_jS1E_S1E_jjS1G_bEUljE0_EEESZ_S10_S11_S18_S1C_S1E_T6_T7_T9_mT8_S1G_bDpT10_ENKUlT_T0_E_clISt17integral_constantIbLb1EES1T_IbLb0EEEEDaS1P_S1Q_EUlS1P_E_NS1_11comp_targetILNS1_3genE5ELNS1_11target_archE942ELNS1_3gpuE9ELNS1_3repE0EEENS1_30default_config_static_selectorELNS0_4arch9wavefront6targetE0EEEvS12_: ; @_ZN7rocprim17ROCPRIM_400000_NS6detail17trampoline_kernelINS0_13select_configILj256ELj13ELNS0_17block_load_methodE3ELS4_3ELS4_3ELNS0_20block_scan_algorithmE0ELj4294967295EEENS1_25partition_config_selectorILNS1_17partition_subalgoE4EjNS0_10empty_typeEbEEZZNS1_14partition_implILS8_4ELb0ES6_15HIP_vector_typeIjLj2EENS0_17counting_iteratorIjlEEPS9_SG_NS0_5tupleIJPjSI_NS0_16reverse_iteratorISI_EEEEENSH_IJSG_SG_SG_EEES9_SI_JZNS1_25segmented_radix_sort_implINS0_14default_configELb0EPKaPaPKlPlN2at6native12_GLOBAL__N_18offset_tEEE10hipError_tPvRmT1_PNSt15iterator_traitsIS12_E10value_typeET2_T3_PNS13_IS18_E10value_typeET4_jRbjT5_S1E_jjP12ihipStream_tbEUljE_ZNSN_ISO_Lb0ESQ_SR_ST_SU_SY_EESZ_S10_S11_S12_S16_S17_S18_S1B_S1C_jS1D_jS1E_S1E_jjS1G_bEUljE0_EEESZ_S10_S11_S18_S1C_S1E_T6_T7_T9_mT8_S1G_bDpT10_ENKUlT_T0_E_clISt17integral_constantIbLb1EES1T_IbLb0EEEEDaS1P_S1Q_EUlS1P_E_NS1_11comp_targetILNS1_3genE5ELNS1_11target_archE942ELNS1_3gpuE9ELNS1_3repE0EEENS1_30default_config_static_selectorELNS0_4arch9wavefront6targetE0EEEvS12_
; %bb.0:
	.section	.rodata,"a",@progbits
	.p2align	6, 0x0
	.amdhsa_kernel _ZN7rocprim17ROCPRIM_400000_NS6detail17trampoline_kernelINS0_13select_configILj256ELj13ELNS0_17block_load_methodE3ELS4_3ELS4_3ELNS0_20block_scan_algorithmE0ELj4294967295EEENS1_25partition_config_selectorILNS1_17partition_subalgoE4EjNS0_10empty_typeEbEEZZNS1_14partition_implILS8_4ELb0ES6_15HIP_vector_typeIjLj2EENS0_17counting_iteratorIjlEEPS9_SG_NS0_5tupleIJPjSI_NS0_16reverse_iteratorISI_EEEEENSH_IJSG_SG_SG_EEES9_SI_JZNS1_25segmented_radix_sort_implINS0_14default_configELb0EPKaPaPKlPlN2at6native12_GLOBAL__N_18offset_tEEE10hipError_tPvRmT1_PNSt15iterator_traitsIS12_E10value_typeET2_T3_PNS13_IS18_E10value_typeET4_jRbjT5_S1E_jjP12ihipStream_tbEUljE_ZNSN_ISO_Lb0ESQ_SR_ST_SU_SY_EESZ_S10_S11_S12_S16_S17_S18_S1B_S1C_jS1D_jS1E_S1E_jjS1G_bEUljE0_EEESZ_S10_S11_S18_S1C_S1E_T6_T7_T9_mT8_S1G_bDpT10_ENKUlT_T0_E_clISt17integral_constantIbLb1EES1T_IbLb0EEEEDaS1P_S1Q_EUlS1P_E_NS1_11comp_targetILNS1_3genE5ELNS1_11target_archE942ELNS1_3gpuE9ELNS1_3repE0EEENS1_30default_config_static_selectorELNS0_4arch9wavefront6targetE0EEEvS12_
		.amdhsa_group_segment_fixed_size 0
		.amdhsa_private_segment_fixed_size 0
		.amdhsa_kernarg_size 176
		.amdhsa_user_sgpr_count 15
		.amdhsa_user_sgpr_dispatch_ptr 0
		.amdhsa_user_sgpr_queue_ptr 0
		.amdhsa_user_sgpr_kernarg_segment_ptr 1
		.amdhsa_user_sgpr_dispatch_id 0
		.amdhsa_user_sgpr_private_segment_size 0
		.amdhsa_wavefront_size32 1
		.amdhsa_uses_dynamic_stack 0
		.amdhsa_enable_private_segment 0
		.amdhsa_system_sgpr_workgroup_id_x 1
		.amdhsa_system_sgpr_workgroup_id_y 0
		.amdhsa_system_sgpr_workgroup_id_z 0
		.amdhsa_system_sgpr_workgroup_info 0
		.amdhsa_system_vgpr_workitem_id 0
		.amdhsa_next_free_vgpr 1
		.amdhsa_next_free_sgpr 1
		.amdhsa_reserve_vcc 0
		.amdhsa_float_round_mode_32 0
		.amdhsa_float_round_mode_16_64 0
		.amdhsa_float_denorm_mode_32 3
		.amdhsa_float_denorm_mode_16_64 3
		.amdhsa_dx10_clamp 1
		.amdhsa_ieee_mode 1
		.amdhsa_fp16_overflow 0
		.amdhsa_workgroup_processor_mode 1
		.amdhsa_memory_ordered 1
		.amdhsa_forward_progress 0
		.amdhsa_shared_vgpr_count 0
		.amdhsa_exception_fp_ieee_invalid_op 0
		.amdhsa_exception_fp_denorm_src 0
		.amdhsa_exception_fp_ieee_div_zero 0
		.amdhsa_exception_fp_ieee_overflow 0
		.amdhsa_exception_fp_ieee_underflow 0
		.amdhsa_exception_fp_ieee_inexact 0
		.amdhsa_exception_int_div_zero 0
	.end_amdhsa_kernel
	.section	.text._ZN7rocprim17ROCPRIM_400000_NS6detail17trampoline_kernelINS0_13select_configILj256ELj13ELNS0_17block_load_methodE3ELS4_3ELS4_3ELNS0_20block_scan_algorithmE0ELj4294967295EEENS1_25partition_config_selectorILNS1_17partition_subalgoE4EjNS0_10empty_typeEbEEZZNS1_14partition_implILS8_4ELb0ES6_15HIP_vector_typeIjLj2EENS0_17counting_iteratorIjlEEPS9_SG_NS0_5tupleIJPjSI_NS0_16reverse_iteratorISI_EEEEENSH_IJSG_SG_SG_EEES9_SI_JZNS1_25segmented_radix_sort_implINS0_14default_configELb0EPKaPaPKlPlN2at6native12_GLOBAL__N_18offset_tEEE10hipError_tPvRmT1_PNSt15iterator_traitsIS12_E10value_typeET2_T3_PNS13_IS18_E10value_typeET4_jRbjT5_S1E_jjP12ihipStream_tbEUljE_ZNSN_ISO_Lb0ESQ_SR_ST_SU_SY_EESZ_S10_S11_S12_S16_S17_S18_S1B_S1C_jS1D_jS1E_S1E_jjS1G_bEUljE0_EEESZ_S10_S11_S18_S1C_S1E_T6_T7_T9_mT8_S1G_bDpT10_ENKUlT_T0_E_clISt17integral_constantIbLb1EES1T_IbLb0EEEEDaS1P_S1Q_EUlS1P_E_NS1_11comp_targetILNS1_3genE5ELNS1_11target_archE942ELNS1_3gpuE9ELNS1_3repE0EEENS1_30default_config_static_selectorELNS0_4arch9wavefront6targetE0EEEvS12_,"axG",@progbits,_ZN7rocprim17ROCPRIM_400000_NS6detail17trampoline_kernelINS0_13select_configILj256ELj13ELNS0_17block_load_methodE3ELS4_3ELS4_3ELNS0_20block_scan_algorithmE0ELj4294967295EEENS1_25partition_config_selectorILNS1_17partition_subalgoE4EjNS0_10empty_typeEbEEZZNS1_14partition_implILS8_4ELb0ES6_15HIP_vector_typeIjLj2EENS0_17counting_iteratorIjlEEPS9_SG_NS0_5tupleIJPjSI_NS0_16reverse_iteratorISI_EEEEENSH_IJSG_SG_SG_EEES9_SI_JZNS1_25segmented_radix_sort_implINS0_14default_configELb0EPKaPaPKlPlN2at6native12_GLOBAL__N_18offset_tEEE10hipError_tPvRmT1_PNSt15iterator_traitsIS12_E10value_typeET2_T3_PNS13_IS18_E10value_typeET4_jRbjT5_S1E_jjP12ihipStream_tbEUljE_ZNSN_ISO_Lb0ESQ_SR_ST_SU_SY_EESZ_S10_S11_S12_S16_S17_S18_S1B_S1C_jS1D_jS1E_S1E_jjS1G_bEUljE0_EEESZ_S10_S11_S18_S1C_S1E_T6_T7_T9_mT8_S1G_bDpT10_ENKUlT_T0_E_clISt17integral_constantIbLb1EES1T_IbLb0EEEEDaS1P_S1Q_EUlS1P_E_NS1_11comp_targetILNS1_3genE5ELNS1_11target_archE942ELNS1_3gpuE9ELNS1_3repE0EEENS1_30default_config_static_selectorELNS0_4arch9wavefront6targetE0EEEvS12_,comdat
.Lfunc_end346:
	.size	_ZN7rocprim17ROCPRIM_400000_NS6detail17trampoline_kernelINS0_13select_configILj256ELj13ELNS0_17block_load_methodE3ELS4_3ELS4_3ELNS0_20block_scan_algorithmE0ELj4294967295EEENS1_25partition_config_selectorILNS1_17partition_subalgoE4EjNS0_10empty_typeEbEEZZNS1_14partition_implILS8_4ELb0ES6_15HIP_vector_typeIjLj2EENS0_17counting_iteratorIjlEEPS9_SG_NS0_5tupleIJPjSI_NS0_16reverse_iteratorISI_EEEEENSH_IJSG_SG_SG_EEES9_SI_JZNS1_25segmented_radix_sort_implINS0_14default_configELb0EPKaPaPKlPlN2at6native12_GLOBAL__N_18offset_tEEE10hipError_tPvRmT1_PNSt15iterator_traitsIS12_E10value_typeET2_T3_PNS13_IS18_E10value_typeET4_jRbjT5_S1E_jjP12ihipStream_tbEUljE_ZNSN_ISO_Lb0ESQ_SR_ST_SU_SY_EESZ_S10_S11_S12_S16_S17_S18_S1B_S1C_jS1D_jS1E_S1E_jjS1G_bEUljE0_EEESZ_S10_S11_S18_S1C_S1E_T6_T7_T9_mT8_S1G_bDpT10_ENKUlT_T0_E_clISt17integral_constantIbLb1EES1T_IbLb0EEEEDaS1P_S1Q_EUlS1P_E_NS1_11comp_targetILNS1_3genE5ELNS1_11target_archE942ELNS1_3gpuE9ELNS1_3repE0EEENS1_30default_config_static_selectorELNS0_4arch9wavefront6targetE0EEEvS12_, .Lfunc_end346-_ZN7rocprim17ROCPRIM_400000_NS6detail17trampoline_kernelINS0_13select_configILj256ELj13ELNS0_17block_load_methodE3ELS4_3ELS4_3ELNS0_20block_scan_algorithmE0ELj4294967295EEENS1_25partition_config_selectorILNS1_17partition_subalgoE4EjNS0_10empty_typeEbEEZZNS1_14partition_implILS8_4ELb0ES6_15HIP_vector_typeIjLj2EENS0_17counting_iteratorIjlEEPS9_SG_NS0_5tupleIJPjSI_NS0_16reverse_iteratorISI_EEEEENSH_IJSG_SG_SG_EEES9_SI_JZNS1_25segmented_radix_sort_implINS0_14default_configELb0EPKaPaPKlPlN2at6native12_GLOBAL__N_18offset_tEEE10hipError_tPvRmT1_PNSt15iterator_traitsIS12_E10value_typeET2_T3_PNS13_IS18_E10value_typeET4_jRbjT5_S1E_jjP12ihipStream_tbEUljE_ZNSN_ISO_Lb0ESQ_SR_ST_SU_SY_EESZ_S10_S11_S12_S16_S17_S18_S1B_S1C_jS1D_jS1E_S1E_jjS1G_bEUljE0_EEESZ_S10_S11_S18_S1C_S1E_T6_T7_T9_mT8_S1G_bDpT10_ENKUlT_T0_E_clISt17integral_constantIbLb1EES1T_IbLb0EEEEDaS1P_S1Q_EUlS1P_E_NS1_11comp_targetILNS1_3genE5ELNS1_11target_archE942ELNS1_3gpuE9ELNS1_3repE0EEENS1_30default_config_static_selectorELNS0_4arch9wavefront6targetE0EEEvS12_
                                        ; -- End function
	.section	.AMDGPU.csdata,"",@progbits
; Kernel info:
; codeLenInByte = 0
; NumSgprs: 0
; NumVgprs: 0
; ScratchSize: 0
; MemoryBound: 0
; FloatMode: 240
; IeeeMode: 1
; LDSByteSize: 0 bytes/workgroup (compile time only)
; SGPRBlocks: 0
; VGPRBlocks: 0
; NumSGPRsForWavesPerEU: 1
; NumVGPRsForWavesPerEU: 1
; Occupancy: 16
; WaveLimiterHint : 0
; COMPUTE_PGM_RSRC2:SCRATCH_EN: 0
; COMPUTE_PGM_RSRC2:USER_SGPR: 15
; COMPUTE_PGM_RSRC2:TRAP_HANDLER: 0
; COMPUTE_PGM_RSRC2:TGID_X_EN: 1
; COMPUTE_PGM_RSRC2:TGID_Y_EN: 0
; COMPUTE_PGM_RSRC2:TGID_Z_EN: 0
; COMPUTE_PGM_RSRC2:TIDIG_COMP_CNT: 0
	.section	.text._ZN7rocprim17ROCPRIM_400000_NS6detail17trampoline_kernelINS0_13select_configILj256ELj13ELNS0_17block_load_methodE3ELS4_3ELS4_3ELNS0_20block_scan_algorithmE0ELj4294967295EEENS1_25partition_config_selectorILNS1_17partition_subalgoE4EjNS0_10empty_typeEbEEZZNS1_14partition_implILS8_4ELb0ES6_15HIP_vector_typeIjLj2EENS0_17counting_iteratorIjlEEPS9_SG_NS0_5tupleIJPjSI_NS0_16reverse_iteratorISI_EEEEENSH_IJSG_SG_SG_EEES9_SI_JZNS1_25segmented_radix_sort_implINS0_14default_configELb0EPKaPaPKlPlN2at6native12_GLOBAL__N_18offset_tEEE10hipError_tPvRmT1_PNSt15iterator_traitsIS12_E10value_typeET2_T3_PNS13_IS18_E10value_typeET4_jRbjT5_S1E_jjP12ihipStream_tbEUljE_ZNSN_ISO_Lb0ESQ_SR_ST_SU_SY_EESZ_S10_S11_S12_S16_S17_S18_S1B_S1C_jS1D_jS1E_S1E_jjS1G_bEUljE0_EEESZ_S10_S11_S18_S1C_S1E_T6_T7_T9_mT8_S1G_bDpT10_ENKUlT_T0_E_clISt17integral_constantIbLb1EES1T_IbLb0EEEEDaS1P_S1Q_EUlS1P_E_NS1_11comp_targetILNS1_3genE4ELNS1_11target_archE910ELNS1_3gpuE8ELNS1_3repE0EEENS1_30default_config_static_selectorELNS0_4arch9wavefront6targetE0EEEvS12_,"axG",@progbits,_ZN7rocprim17ROCPRIM_400000_NS6detail17trampoline_kernelINS0_13select_configILj256ELj13ELNS0_17block_load_methodE3ELS4_3ELS4_3ELNS0_20block_scan_algorithmE0ELj4294967295EEENS1_25partition_config_selectorILNS1_17partition_subalgoE4EjNS0_10empty_typeEbEEZZNS1_14partition_implILS8_4ELb0ES6_15HIP_vector_typeIjLj2EENS0_17counting_iteratorIjlEEPS9_SG_NS0_5tupleIJPjSI_NS0_16reverse_iteratorISI_EEEEENSH_IJSG_SG_SG_EEES9_SI_JZNS1_25segmented_radix_sort_implINS0_14default_configELb0EPKaPaPKlPlN2at6native12_GLOBAL__N_18offset_tEEE10hipError_tPvRmT1_PNSt15iterator_traitsIS12_E10value_typeET2_T3_PNS13_IS18_E10value_typeET4_jRbjT5_S1E_jjP12ihipStream_tbEUljE_ZNSN_ISO_Lb0ESQ_SR_ST_SU_SY_EESZ_S10_S11_S12_S16_S17_S18_S1B_S1C_jS1D_jS1E_S1E_jjS1G_bEUljE0_EEESZ_S10_S11_S18_S1C_S1E_T6_T7_T9_mT8_S1G_bDpT10_ENKUlT_T0_E_clISt17integral_constantIbLb1EES1T_IbLb0EEEEDaS1P_S1Q_EUlS1P_E_NS1_11comp_targetILNS1_3genE4ELNS1_11target_archE910ELNS1_3gpuE8ELNS1_3repE0EEENS1_30default_config_static_selectorELNS0_4arch9wavefront6targetE0EEEvS12_,comdat
	.globl	_ZN7rocprim17ROCPRIM_400000_NS6detail17trampoline_kernelINS0_13select_configILj256ELj13ELNS0_17block_load_methodE3ELS4_3ELS4_3ELNS0_20block_scan_algorithmE0ELj4294967295EEENS1_25partition_config_selectorILNS1_17partition_subalgoE4EjNS0_10empty_typeEbEEZZNS1_14partition_implILS8_4ELb0ES6_15HIP_vector_typeIjLj2EENS0_17counting_iteratorIjlEEPS9_SG_NS0_5tupleIJPjSI_NS0_16reverse_iteratorISI_EEEEENSH_IJSG_SG_SG_EEES9_SI_JZNS1_25segmented_radix_sort_implINS0_14default_configELb0EPKaPaPKlPlN2at6native12_GLOBAL__N_18offset_tEEE10hipError_tPvRmT1_PNSt15iterator_traitsIS12_E10value_typeET2_T3_PNS13_IS18_E10value_typeET4_jRbjT5_S1E_jjP12ihipStream_tbEUljE_ZNSN_ISO_Lb0ESQ_SR_ST_SU_SY_EESZ_S10_S11_S12_S16_S17_S18_S1B_S1C_jS1D_jS1E_S1E_jjS1G_bEUljE0_EEESZ_S10_S11_S18_S1C_S1E_T6_T7_T9_mT8_S1G_bDpT10_ENKUlT_T0_E_clISt17integral_constantIbLb1EES1T_IbLb0EEEEDaS1P_S1Q_EUlS1P_E_NS1_11comp_targetILNS1_3genE4ELNS1_11target_archE910ELNS1_3gpuE8ELNS1_3repE0EEENS1_30default_config_static_selectorELNS0_4arch9wavefront6targetE0EEEvS12_ ; -- Begin function _ZN7rocprim17ROCPRIM_400000_NS6detail17trampoline_kernelINS0_13select_configILj256ELj13ELNS0_17block_load_methodE3ELS4_3ELS4_3ELNS0_20block_scan_algorithmE0ELj4294967295EEENS1_25partition_config_selectorILNS1_17partition_subalgoE4EjNS0_10empty_typeEbEEZZNS1_14partition_implILS8_4ELb0ES6_15HIP_vector_typeIjLj2EENS0_17counting_iteratorIjlEEPS9_SG_NS0_5tupleIJPjSI_NS0_16reverse_iteratorISI_EEEEENSH_IJSG_SG_SG_EEES9_SI_JZNS1_25segmented_radix_sort_implINS0_14default_configELb0EPKaPaPKlPlN2at6native12_GLOBAL__N_18offset_tEEE10hipError_tPvRmT1_PNSt15iterator_traitsIS12_E10value_typeET2_T3_PNS13_IS18_E10value_typeET4_jRbjT5_S1E_jjP12ihipStream_tbEUljE_ZNSN_ISO_Lb0ESQ_SR_ST_SU_SY_EESZ_S10_S11_S12_S16_S17_S18_S1B_S1C_jS1D_jS1E_S1E_jjS1G_bEUljE0_EEESZ_S10_S11_S18_S1C_S1E_T6_T7_T9_mT8_S1G_bDpT10_ENKUlT_T0_E_clISt17integral_constantIbLb1EES1T_IbLb0EEEEDaS1P_S1Q_EUlS1P_E_NS1_11comp_targetILNS1_3genE4ELNS1_11target_archE910ELNS1_3gpuE8ELNS1_3repE0EEENS1_30default_config_static_selectorELNS0_4arch9wavefront6targetE0EEEvS12_
	.p2align	8
	.type	_ZN7rocprim17ROCPRIM_400000_NS6detail17trampoline_kernelINS0_13select_configILj256ELj13ELNS0_17block_load_methodE3ELS4_3ELS4_3ELNS0_20block_scan_algorithmE0ELj4294967295EEENS1_25partition_config_selectorILNS1_17partition_subalgoE4EjNS0_10empty_typeEbEEZZNS1_14partition_implILS8_4ELb0ES6_15HIP_vector_typeIjLj2EENS0_17counting_iteratorIjlEEPS9_SG_NS0_5tupleIJPjSI_NS0_16reverse_iteratorISI_EEEEENSH_IJSG_SG_SG_EEES9_SI_JZNS1_25segmented_radix_sort_implINS0_14default_configELb0EPKaPaPKlPlN2at6native12_GLOBAL__N_18offset_tEEE10hipError_tPvRmT1_PNSt15iterator_traitsIS12_E10value_typeET2_T3_PNS13_IS18_E10value_typeET4_jRbjT5_S1E_jjP12ihipStream_tbEUljE_ZNSN_ISO_Lb0ESQ_SR_ST_SU_SY_EESZ_S10_S11_S12_S16_S17_S18_S1B_S1C_jS1D_jS1E_S1E_jjS1G_bEUljE0_EEESZ_S10_S11_S18_S1C_S1E_T6_T7_T9_mT8_S1G_bDpT10_ENKUlT_T0_E_clISt17integral_constantIbLb1EES1T_IbLb0EEEEDaS1P_S1Q_EUlS1P_E_NS1_11comp_targetILNS1_3genE4ELNS1_11target_archE910ELNS1_3gpuE8ELNS1_3repE0EEENS1_30default_config_static_selectorELNS0_4arch9wavefront6targetE0EEEvS12_,@function
_ZN7rocprim17ROCPRIM_400000_NS6detail17trampoline_kernelINS0_13select_configILj256ELj13ELNS0_17block_load_methodE3ELS4_3ELS4_3ELNS0_20block_scan_algorithmE0ELj4294967295EEENS1_25partition_config_selectorILNS1_17partition_subalgoE4EjNS0_10empty_typeEbEEZZNS1_14partition_implILS8_4ELb0ES6_15HIP_vector_typeIjLj2EENS0_17counting_iteratorIjlEEPS9_SG_NS0_5tupleIJPjSI_NS0_16reverse_iteratorISI_EEEEENSH_IJSG_SG_SG_EEES9_SI_JZNS1_25segmented_radix_sort_implINS0_14default_configELb0EPKaPaPKlPlN2at6native12_GLOBAL__N_18offset_tEEE10hipError_tPvRmT1_PNSt15iterator_traitsIS12_E10value_typeET2_T3_PNS13_IS18_E10value_typeET4_jRbjT5_S1E_jjP12ihipStream_tbEUljE_ZNSN_ISO_Lb0ESQ_SR_ST_SU_SY_EESZ_S10_S11_S12_S16_S17_S18_S1B_S1C_jS1D_jS1E_S1E_jjS1G_bEUljE0_EEESZ_S10_S11_S18_S1C_S1E_T6_T7_T9_mT8_S1G_bDpT10_ENKUlT_T0_E_clISt17integral_constantIbLb1EES1T_IbLb0EEEEDaS1P_S1Q_EUlS1P_E_NS1_11comp_targetILNS1_3genE4ELNS1_11target_archE910ELNS1_3gpuE8ELNS1_3repE0EEENS1_30default_config_static_selectorELNS0_4arch9wavefront6targetE0EEEvS12_: ; @_ZN7rocprim17ROCPRIM_400000_NS6detail17trampoline_kernelINS0_13select_configILj256ELj13ELNS0_17block_load_methodE3ELS4_3ELS4_3ELNS0_20block_scan_algorithmE0ELj4294967295EEENS1_25partition_config_selectorILNS1_17partition_subalgoE4EjNS0_10empty_typeEbEEZZNS1_14partition_implILS8_4ELb0ES6_15HIP_vector_typeIjLj2EENS0_17counting_iteratorIjlEEPS9_SG_NS0_5tupleIJPjSI_NS0_16reverse_iteratorISI_EEEEENSH_IJSG_SG_SG_EEES9_SI_JZNS1_25segmented_radix_sort_implINS0_14default_configELb0EPKaPaPKlPlN2at6native12_GLOBAL__N_18offset_tEEE10hipError_tPvRmT1_PNSt15iterator_traitsIS12_E10value_typeET2_T3_PNS13_IS18_E10value_typeET4_jRbjT5_S1E_jjP12ihipStream_tbEUljE_ZNSN_ISO_Lb0ESQ_SR_ST_SU_SY_EESZ_S10_S11_S12_S16_S17_S18_S1B_S1C_jS1D_jS1E_S1E_jjS1G_bEUljE0_EEESZ_S10_S11_S18_S1C_S1E_T6_T7_T9_mT8_S1G_bDpT10_ENKUlT_T0_E_clISt17integral_constantIbLb1EES1T_IbLb0EEEEDaS1P_S1Q_EUlS1P_E_NS1_11comp_targetILNS1_3genE4ELNS1_11target_archE910ELNS1_3gpuE8ELNS1_3repE0EEENS1_30default_config_static_selectorELNS0_4arch9wavefront6targetE0EEEvS12_
; %bb.0:
	.section	.rodata,"a",@progbits
	.p2align	6, 0x0
	.amdhsa_kernel _ZN7rocprim17ROCPRIM_400000_NS6detail17trampoline_kernelINS0_13select_configILj256ELj13ELNS0_17block_load_methodE3ELS4_3ELS4_3ELNS0_20block_scan_algorithmE0ELj4294967295EEENS1_25partition_config_selectorILNS1_17partition_subalgoE4EjNS0_10empty_typeEbEEZZNS1_14partition_implILS8_4ELb0ES6_15HIP_vector_typeIjLj2EENS0_17counting_iteratorIjlEEPS9_SG_NS0_5tupleIJPjSI_NS0_16reverse_iteratorISI_EEEEENSH_IJSG_SG_SG_EEES9_SI_JZNS1_25segmented_radix_sort_implINS0_14default_configELb0EPKaPaPKlPlN2at6native12_GLOBAL__N_18offset_tEEE10hipError_tPvRmT1_PNSt15iterator_traitsIS12_E10value_typeET2_T3_PNS13_IS18_E10value_typeET4_jRbjT5_S1E_jjP12ihipStream_tbEUljE_ZNSN_ISO_Lb0ESQ_SR_ST_SU_SY_EESZ_S10_S11_S12_S16_S17_S18_S1B_S1C_jS1D_jS1E_S1E_jjS1G_bEUljE0_EEESZ_S10_S11_S18_S1C_S1E_T6_T7_T9_mT8_S1G_bDpT10_ENKUlT_T0_E_clISt17integral_constantIbLb1EES1T_IbLb0EEEEDaS1P_S1Q_EUlS1P_E_NS1_11comp_targetILNS1_3genE4ELNS1_11target_archE910ELNS1_3gpuE8ELNS1_3repE0EEENS1_30default_config_static_selectorELNS0_4arch9wavefront6targetE0EEEvS12_
		.amdhsa_group_segment_fixed_size 0
		.amdhsa_private_segment_fixed_size 0
		.amdhsa_kernarg_size 176
		.amdhsa_user_sgpr_count 15
		.amdhsa_user_sgpr_dispatch_ptr 0
		.amdhsa_user_sgpr_queue_ptr 0
		.amdhsa_user_sgpr_kernarg_segment_ptr 1
		.amdhsa_user_sgpr_dispatch_id 0
		.amdhsa_user_sgpr_private_segment_size 0
		.amdhsa_wavefront_size32 1
		.amdhsa_uses_dynamic_stack 0
		.amdhsa_enable_private_segment 0
		.amdhsa_system_sgpr_workgroup_id_x 1
		.amdhsa_system_sgpr_workgroup_id_y 0
		.amdhsa_system_sgpr_workgroup_id_z 0
		.amdhsa_system_sgpr_workgroup_info 0
		.amdhsa_system_vgpr_workitem_id 0
		.amdhsa_next_free_vgpr 1
		.amdhsa_next_free_sgpr 1
		.amdhsa_reserve_vcc 0
		.amdhsa_float_round_mode_32 0
		.amdhsa_float_round_mode_16_64 0
		.amdhsa_float_denorm_mode_32 3
		.amdhsa_float_denorm_mode_16_64 3
		.amdhsa_dx10_clamp 1
		.amdhsa_ieee_mode 1
		.amdhsa_fp16_overflow 0
		.amdhsa_workgroup_processor_mode 1
		.amdhsa_memory_ordered 1
		.amdhsa_forward_progress 0
		.amdhsa_shared_vgpr_count 0
		.amdhsa_exception_fp_ieee_invalid_op 0
		.amdhsa_exception_fp_denorm_src 0
		.amdhsa_exception_fp_ieee_div_zero 0
		.amdhsa_exception_fp_ieee_overflow 0
		.amdhsa_exception_fp_ieee_underflow 0
		.amdhsa_exception_fp_ieee_inexact 0
		.amdhsa_exception_int_div_zero 0
	.end_amdhsa_kernel
	.section	.text._ZN7rocprim17ROCPRIM_400000_NS6detail17trampoline_kernelINS0_13select_configILj256ELj13ELNS0_17block_load_methodE3ELS4_3ELS4_3ELNS0_20block_scan_algorithmE0ELj4294967295EEENS1_25partition_config_selectorILNS1_17partition_subalgoE4EjNS0_10empty_typeEbEEZZNS1_14partition_implILS8_4ELb0ES6_15HIP_vector_typeIjLj2EENS0_17counting_iteratorIjlEEPS9_SG_NS0_5tupleIJPjSI_NS0_16reverse_iteratorISI_EEEEENSH_IJSG_SG_SG_EEES9_SI_JZNS1_25segmented_radix_sort_implINS0_14default_configELb0EPKaPaPKlPlN2at6native12_GLOBAL__N_18offset_tEEE10hipError_tPvRmT1_PNSt15iterator_traitsIS12_E10value_typeET2_T3_PNS13_IS18_E10value_typeET4_jRbjT5_S1E_jjP12ihipStream_tbEUljE_ZNSN_ISO_Lb0ESQ_SR_ST_SU_SY_EESZ_S10_S11_S12_S16_S17_S18_S1B_S1C_jS1D_jS1E_S1E_jjS1G_bEUljE0_EEESZ_S10_S11_S18_S1C_S1E_T6_T7_T9_mT8_S1G_bDpT10_ENKUlT_T0_E_clISt17integral_constantIbLb1EES1T_IbLb0EEEEDaS1P_S1Q_EUlS1P_E_NS1_11comp_targetILNS1_3genE4ELNS1_11target_archE910ELNS1_3gpuE8ELNS1_3repE0EEENS1_30default_config_static_selectorELNS0_4arch9wavefront6targetE0EEEvS12_,"axG",@progbits,_ZN7rocprim17ROCPRIM_400000_NS6detail17trampoline_kernelINS0_13select_configILj256ELj13ELNS0_17block_load_methodE3ELS4_3ELS4_3ELNS0_20block_scan_algorithmE0ELj4294967295EEENS1_25partition_config_selectorILNS1_17partition_subalgoE4EjNS0_10empty_typeEbEEZZNS1_14partition_implILS8_4ELb0ES6_15HIP_vector_typeIjLj2EENS0_17counting_iteratorIjlEEPS9_SG_NS0_5tupleIJPjSI_NS0_16reverse_iteratorISI_EEEEENSH_IJSG_SG_SG_EEES9_SI_JZNS1_25segmented_radix_sort_implINS0_14default_configELb0EPKaPaPKlPlN2at6native12_GLOBAL__N_18offset_tEEE10hipError_tPvRmT1_PNSt15iterator_traitsIS12_E10value_typeET2_T3_PNS13_IS18_E10value_typeET4_jRbjT5_S1E_jjP12ihipStream_tbEUljE_ZNSN_ISO_Lb0ESQ_SR_ST_SU_SY_EESZ_S10_S11_S12_S16_S17_S18_S1B_S1C_jS1D_jS1E_S1E_jjS1G_bEUljE0_EEESZ_S10_S11_S18_S1C_S1E_T6_T7_T9_mT8_S1G_bDpT10_ENKUlT_T0_E_clISt17integral_constantIbLb1EES1T_IbLb0EEEEDaS1P_S1Q_EUlS1P_E_NS1_11comp_targetILNS1_3genE4ELNS1_11target_archE910ELNS1_3gpuE8ELNS1_3repE0EEENS1_30default_config_static_selectorELNS0_4arch9wavefront6targetE0EEEvS12_,comdat
.Lfunc_end347:
	.size	_ZN7rocprim17ROCPRIM_400000_NS6detail17trampoline_kernelINS0_13select_configILj256ELj13ELNS0_17block_load_methodE3ELS4_3ELS4_3ELNS0_20block_scan_algorithmE0ELj4294967295EEENS1_25partition_config_selectorILNS1_17partition_subalgoE4EjNS0_10empty_typeEbEEZZNS1_14partition_implILS8_4ELb0ES6_15HIP_vector_typeIjLj2EENS0_17counting_iteratorIjlEEPS9_SG_NS0_5tupleIJPjSI_NS0_16reverse_iteratorISI_EEEEENSH_IJSG_SG_SG_EEES9_SI_JZNS1_25segmented_radix_sort_implINS0_14default_configELb0EPKaPaPKlPlN2at6native12_GLOBAL__N_18offset_tEEE10hipError_tPvRmT1_PNSt15iterator_traitsIS12_E10value_typeET2_T3_PNS13_IS18_E10value_typeET4_jRbjT5_S1E_jjP12ihipStream_tbEUljE_ZNSN_ISO_Lb0ESQ_SR_ST_SU_SY_EESZ_S10_S11_S12_S16_S17_S18_S1B_S1C_jS1D_jS1E_S1E_jjS1G_bEUljE0_EEESZ_S10_S11_S18_S1C_S1E_T6_T7_T9_mT8_S1G_bDpT10_ENKUlT_T0_E_clISt17integral_constantIbLb1EES1T_IbLb0EEEEDaS1P_S1Q_EUlS1P_E_NS1_11comp_targetILNS1_3genE4ELNS1_11target_archE910ELNS1_3gpuE8ELNS1_3repE0EEENS1_30default_config_static_selectorELNS0_4arch9wavefront6targetE0EEEvS12_, .Lfunc_end347-_ZN7rocprim17ROCPRIM_400000_NS6detail17trampoline_kernelINS0_13select_configILj256ELj13ELNS0_17block_load_methodE3ELS4_3ELS4_3ELNS0_20block_scan_algorithmE0ELj4294967295EEENS1_25partition_config_selectorILNS1_17partition_subalgoE4EjNS0_10empty_typeEbEEZZNS1_14partition_implILS8_4ELb0ES6_15HIP_vector_typeIjLj2EENS0_17counting_iteratorIjlEEPS9_SG_NS0_5tupleIJPjSI_NS0_16reverse_iteratorISI_EEEEENSH_IJSG_SG_SG_EEES9_SI_JZNS1_25segmented_radix_sort_implINS0_14default_configELb0EPKaPaPKlPlN2at6native12_GLOBAL__N_18offset_tEEE10hipError_tPvRmT1_PNSt15iterator_traitsIS12_E10value_typeET2_T3_PNS13_IS18_E10value_typeET4_jRbjT5_S1E_jjP12ihipStream_tbEUljE_ZNSN_ISO_Lb0ESQ_SR_ST_SU_SY_EESZ_S10_S11_S12_S16_S17_S18_S1B_S1C_jS1D_jS1E_S1E_jjS1G_bEUljE0_EEESZ_S10_S11_S18_S1C_S1E_T6_T7_T9_mT8_S1G_bDpT10_ENKUlT_T0_E_clISt17integral_constantIbLb1EES1T_IbLb0EEEEDaS1P_S1Q_EUlS1P_E_NS1_11comp_targetILNS1_3genE4ELNS1_11target_archE910ELNS1_3gpuE8ELNS1_3repE0EEENS1_30default_config_static_selectorELNS0_4arch9wavefront6targetE0EEEvS12_
                                        ; -- End function
	.section	.AMDGPU.csdata,"",@progbits
; Kernel info:
; codeLenInByte = 0
; NumSgprs: 0
; NumVgprs: 0
; ScratchSize: 0
; MemoryBound: 0
; FloatMode: 240
; IeeeMode: 1
; LDSByteSize: 0 bytes/workgroup (compile time only)
; SGPRBlocks: 0
; VGPRBlocks: 0
; NumSGPRsForWavesPerEU: 1
; NumVGPRsForWavesPerEU: 1
; Occupancy: 16
; WaveLimiterHint : 0
; COMPUTE_PGM_RSRC2:SCRATCH_EN: 0
; COMPUTE_PGM_RSRC2:USER_SGPR: 15
; COMPUTE_PGM_RSRC2:TRAP_HANDLER: 0
; COMPUTE_PGM_RSRC2:TGID_X_EN: 1
; COMPUTE_PGM_RSRC2:TGID_Y_EN: 0
; COMPUTE_PGM_RSRC2:TGID_Z_EN: 0
; COMPUTE_PGM_RSRC2:TIDIG_COMP_CNT: 0
	.section	.text._ZN7rocprim17ROCPRIM_400000_NS6detail17trampoline_kernelINS0_13select_configILj256ELj13ELNS0_17block_load_methodE3ELS4_3ELS4_3ELNS0_20block_scan_algorithmE0ELj4294967295EEENS1_25partition_config_selectorILNS1_17partition_subalgoE4EjNS0_10empty_typeEbEEZZNS1_14partition_implILS8_4ELb0ES6_15HIP_vector_typeIjLj2EENS0_17counting_iteratorIjlEEPS9_SG_NS0_5tupleIJPjSI_NS0_16reverse_iteratorISI_EEEEENSH_IJSG_SG_SG_EEES9_SI_JZNS1_25segmented_radix_sort_implINS0_14default_configELb0EPKaPaPKlPlN2at6native12_GLOBAL__N_18offset_tEEE10hipError_tPvRmT1_PNSt15iterator_traitsIS12_E10value_typeET2_T3_PNS13_IS18_E10value_typeET4_jRbjT5_S1E_jjP12ihipStream_tbEUljE_ZNSN_ISO_Lb0ESQ_SR_ST_SU_SY_EESZ_S10_S11_S12_S16_S17_S18_S1B_S1C_jS1D_jS1E_S1E_jjS1G_bEUljE0_EEESZ_S10_S11_S18_S1C_S1E_T6_T7_T9_mT8_S1G_bDpT10_ENKUlT_T0_E_clISt17integral_constantIbLb1EES1T_IbLb0EEEEDaS1P_S1Q_EUlS1P_E_NS1_11comp_targetILNS1_3genE3ELNS1_11target_archE908ELNS1_3gpuE7ELNS1_3repE0EEENS1_30default_config_static_selectorELNS0_4arch9wavefront6targetE0EEEvS12_,"axG",@progbits,_ZN7rocprim17ROCPRIM_400000_NS6detail17trampoline_kernelINS0_13select_configILj256ELj13ELNS0_17block_load_methodE3ELS4_3ELS4_3ELNS0_20block_scan_algorithmE0ELj4294967295EEENS1_25partition_config_selectorILNS1_17partition_subalgoE4EjNS0_10empty_typeEbEEZZNS1_14partition_implILS8_4ELb0ES6_15HIP_vector_typeIjLj2EENS0_17counting_iteratorIjlEEPS9_SG_NS0_5tupleIJPjSI_NS0_16reverse_iteratorISI_EEEEENSH_IJSG_SG_SG_EEES9_SI_JZNS1_25segmented_radix_sort_implINS0_14default_configELb0EPKaPaPKlPlN2at6native12_GLOBAL__N_18offset_tEEE10hipError_tPvRmT1_PNSt15iterator_traitsIS12_E10value_typeET2_T3_PNS13_IS18_E10value_typeET4_jRbjT5_S1E_jjP12ihipStream_tbEUljE_ZNSN_ISO_Lb0ESQ_SR_ST_SU_SY_EESZ_S10_S11_S12_S16_S17_S18_S1B_S1C_jS1D_jS1E_S1E_jjS1G_bEUljE0_EEESZ_S10_S11_S18_S1C_S1E_T6_T7_T9_mT8_S1G_bDpT10_ENKUlT_T0_E_clISt17integral_constantIbLb1EES1T_IbLb0EEEEDaS1P_S1Q_EUlS1P_E_NS1_11comp_targetILNS1_3genE3ELNS1_11target_archE908ELNS1_3gpuE7ELNS1_3repE0EEENS1_30default_config_static_selectorELNS0_4arch9wavefront6targetE0EEEvS12_,comdat
	.globl	_ZN7rocprim17ROCPRIM_400000_NS6detail17trampoline_kernelINS0_13select_configILj256ELj13ELNS0_17block_load_methodE3ELS4_3ELS4_3ELNS0_20block_scan_algorithmE0ELj4294967295EEENS1_25partition_config_selectorILNS1_17partition_subalgoE4EjNS0_10empty_typeEbEEZZNS1_14partition_implILS8_4ELb0ES6_15HIP_vector_typeIjLj2EENS0_17counting_iteratorIjlEEPS9_SG_NS0_5tupleIJPjSI_NS0_16reverse_iteratorISI_EEEEENSH_IJSG_SG_SG_EEES9_SI_JZNS1_25segmented_radix_sort_implINS0_14default_configELb0EPKaPaPKlPlN2at6native12_GLOBAL__N_18offset_tEEE10hipError_tPvRmT1_PNSt15iterator_traitsIS12_E10value_typeET2_T3_PNS13_IS18_E10value_typeET4_jRbjT5_S1E_jjP12ihipStream_tbEUljE_ZNSN_ISO_Lb0ESQ_SR_ST_SU_SY_EESZ_S10_S11_S12_S16_S17_S18_S1B_S1C_jS1D_jS1E_S1E_jjS1G_bEUljE0_EEESZ_S10_S11_S18_S1C_S1E_T6_T7_T9_mT8_S1G_bDpT10_ENKUlT_T0_E_clISt17integral_constantIbLb1EES1T_IbLb0EEEEDaS1P_S1Q_EUlS1P_E_NS1_11comp_targetILNS1_3genE3ELNS1_11target_archE908ELNS1_3gpuE7ELNS1_3repE0EEENS1_30default_config_static_selectorELNS0_4arch9wavefront6targetE0EEEvS12_ ; -- Begin function _ZN7rocprim17ROCPRIM_400000_NS6detail17trampoline_kernelINS0_13select_configILj256ELj13ELNS0_17block_load_methodE3ELS4_3ELS4_3ELNS0_20block_scan_algorithmE0ELj4294967295EEENS1_25partition_config_selectorILNS1_17partition_subalgoE4EjNS0_10empty_typeEbEEZZNS1_14partition_implILS8_4ELb0ES6_15HIP_vector_typeIjLj2EENS0_17counting_iteratorIjlEEPS9_SG_NS0_5tupleIJPjSI_NS0_16reverse_iteratorISI_EEEEENSH_IJSG_SG_SG_EEES9_SI_JZNS1_25segmented_radix_sort_implINS0_14default_configELb0EPKaPaPKlPlN2at6native12_GLOBAL__N_18offset_tEEE10hipError_tPvRmT1_PNSt15iterator_traitsIS12_E10value_typeET2_T3_PNS13_IS18_E10value_typeET4_jRbjT5_S1E_jjP12ihipStream_tbEUljE_ZNSN_ISO_Lb0ESQ_SR_ST_SU_SY_EESZ_S10_S11_S12_S16_S17_S18_S1B_S1C_jS1D_jS1E_S1E_jjS1G_bEUljE0_EEESZ_S10_S11_S18_S1C_S1E_T6_T7_T9_mT8_S1G_bDpT10_ENKUlT_T0_E_clISt17integral_constantIbLb1EES1T_IbLb0EEEEDaS1P_S1Q_EUlS1P_E_NS1_11comp_targetILNS1_3genE3ELNS1_11target_archE908ELNS1_3gpuE7ELNS1_3repE0EEENS1_30default_config_static_selectorELNS0_4arch9wavefront6targetE0EEEvS12_
	.p2align	8
	.type	_ZN7rocprim17ROCPRIM_400000_NS6detail17trampoline_kernelINS0_13select_configILj256ELj13ELNS0_17block_load_methodE3ELS4_3ELS4_3ELNS0_20block_scan_algorithmE0ELj4294967295EEENS1_25partition_config_selectorILNS1_17partition_subalgoE4EjNS0_10empty_typeEbEEZZNS1_14partition_implILS8_4ELb0ES6_15HIP_vector_typeIjLj2EENS0_17counting_iteratorIjlEEPS9_SG_NS0_5tupleIJPjSI_NS0_16reverse_iteratorISI_EEEEENSH_IJSG_SG_SG_EEES9_SI_JZNS1_25segmented_radix_sort_implINS0_14default_configELb0EPKaPaPKlPlN2at6native12_GLOBAL__N_18offset_tEEE10hipError_tPvRmT1_PNSt15iterator_traitsIS12_E10value_typeET2_T3_PNS13_IS18_E10value_typeET4_jRbjT5_S1E_jjP12ihipStream_tbEUljE_ZNSN_ISO_Lb0ESQ_SR_ST_SU_SY_EESZ_S10_S11_S12_S16_S17_S18_S1B_S1C_jS1D_jS1E_S1E_jjS1G_bEUljE0_EEESZ_S10_S11_S18_S1C_S1E_T6_T7_T9_mT8_S1G_bDpT10_ENKUlT_T0_E_clISt17integral_constantIbLb1EES1T_IbLb0EEEEDaS1P_S1Q_EUlS1P_E_NS1_11comp_targetILNS1_3genE3ELNS1_11target_archE908ELNS1_3gpuE7ELNS1_3repE0EEENS1_30default_config_static_selectorELNS0_4arch9wavefront6targetE0EEEvS12_,@function
_ZN7rocprim17ROCPRIM_400000_NS6detail17trampoline_kernelINS0_13select_configILj256ELj13ELNS0_17block_load_methodE3ELS4_3ELS4_3ELNS0_20block_scan_algorithmE0ELj4294967295EEENS1_25partition_config_selectorILNS1_17partition_subalgoE4EjNS0_10empty_typeEbEEZZNS1_14partition_implILS8_4ELb0ES6_15HIP_vector_typeIjLj2EENS0_17counting_iteratorIjlEEPS9_SG_NS0_5tupleIJPjSI_NS0_16reverse_iteratorISI_EEEEENSH_IJSG_SG_SG_EEES9_SI_JZNS1_25segmented_radix_sort_implINS0_14default_configELb0EPKaPaPKlPlN2at6native12_GLOBAL__N_18offset_tEEE10hipError_tPvRmT1_PNSt15iterator_traitsIS12_E10value_typeET2_T3_PNS13_IS18_E10value_typeET4_jRbjT5_S1E_jjP12ihipStream_tbEUljE_ZNSN_ISO_Lb0ESQ_SR_ST_SU_SY_EESZ_S10_S11_S12_S16_S17_S18_S1B_S1C_jS1D_jS1E_S1E_jjS1G_bEUljE0_EEESZ_S10_S11_S18_S1C_S1E_T6_T7_T9_mT8_S1G_bDpT10_ENKUlT_T0_E_clISt17integral_constantIbLb1EES1T_IbLb0EEEEDaS1P_S1Q_EUlS1P_E_NS1_11comp_targetILNS1_3genE3ELNS1_11target_archE908ELNS1_3gpuE7ELNS1_3repE0EEENS1_30default_config_static_selectorELNS0_4arch9wavefront6targetE0EEEvS12_: ; @_ZN7rocprim17ROCPRIM_400000_NS6detail17trampoline_kernelINS0_13select_configILj256ELj13ELNS0_17block_load_methodE3ELS4_3ELS4_3ELNS0_20block_scan_algorithmE0ELj4294967295EEENS1_25partition_config_selectorILNS1_17partition_subalgoE4EjNS0_10empty_typeEbEEZZNS1_14partition_implILS8_4ELb0ES6_15HIP_vector_typeIjLj2EENS0_17counting_iteratorIjlEEPS9_SG_NS0_5tupleIJPjSI_NS0_16reverse_iteratorISI_EEEEENSH_IJSG_SG_SG_EEES9_SI_JZNS1_25segmented_radix_sort_implINS0_14default_configELb0EPKaPaPKlPlN2at6native12_GLOBAL__N_18offset_tEEE10hipError_tPvRmT1_PNSt15iterator_traitsIS12_E10value_typeET2_T3_PNS13_IS18_E10value_typeET4_jRbjT5_S1E_jjP12ihipStream_tbEUljE_ZNSN_ISO_Lb0ESQ_SR_ST_SU_SY_EESZ_S10_S11_S12_S16_S17_S18_S1B_S1C_jS1D_jS1E_S1E_jjS1G_bEUljE0_EEESZ_S10_S11_S18_S1C_S1E_T6_T7_T9_mT8_S1G_bDpT10_ENKUlT_T0_E_clISt17integral_constantIbLb1EES1T_IbLb0EEEEDaS1P_S1Q_EUlS1P_E_NS1_11comp_targetILNS1_3genE3ELNS1_11target_archE908ELNS1_3gpuE7ELNS1_3repE0EEENS1_30default_config_static_selectorELNS0_4arch9wavefront6targetE0EEEvS12_
; %bb.0:
	.section	.rodata,"a",@progbits
	.p2align	6, 0x0
	.amdhsa_kernel _ZN7rocprim17ROCPRIM_400000_NS6detail17trampoline_kernelINS0_13select_configILj256ELj13ELNS0_17block_load_methodE3ELS4_3ELS4_3ELNS0_20block_scan_algorithmE0ELj4294967295EEENS1_25partition_config_selectorILNS1_17partition_subalgoE4EjNS0_10empty_typeEbEEZZNS1_14partition_implILS8_4ELb0ES6_15HIP_vector_typeIjLj2EENS0_17counting_iteratorIjlEEPS9_SG_NS0_5tupleIJPjSI_NS0_16reverse_iteratorISI_EEEEENSH_IJSG_SG_SG_EEES9_SI_JZNS1_25segmented_radix_sort_implINS0_14default_configELb0EPKaPaPKlPlN2at6native12_GLOBAL__N_18offset_tEEE10hipError_tPvRmT1_PNSt15iterator_traitsIS12_E10value_typeET2_T3_PNS13_IS18_E10value_typeET4_jRbjT5_S1E_jjP12ihipStream_tbEUljE_ZNSN_ISO_Lb0ESQ_SR_ST_SU_SY_EESZ_S10_S11_S12_S16_S17_S18_S1B_S1C_jS1D_jS1E_S1E_jjS1G_bEUljE0_EEESZ_S10_S11_S18_S1C_S1E_T6_T7_T9_mT8_S1G_bDpT10_ENKUlT_T0_E_clISt17integral_constantIbLb1EES1T_IbLb0EEEEDaS1P_S1Q_EUlS1P_E_NS1_11comp_targetILNS1_3genE3ELNS1_11target_archE908ELNS1_3gpuE7ELNS1_3repE0EEENS1_30default_config_static_selectorELNS0_4arch9wavefront6targetE0EEEvS12_
		.amdhsa_group_segment_fixed_size 0
		.amdhsa_private_segment_fixed_size 0
		.amdhsa_kernarg_size 176
		.amdhsa_user_sgpr_count 15
		.amdhsa_user_sgpr_dispatch_ptr 0
		.amdhsa_user_sgpr_queue_ptr 0
		.amdhsa_user_sgpr_kernarg_segment_ptr 1
		.amdhsa_user_sgpr_dispatch_id 0
		.amdhsa_user_sgpr_private_segment_size 0
		.amdhsa_wavefront_size32 1
		.amdhsa_uses_dynamic_stack 0
		.amdhsa_enable_private_segment 0
		.amdhsa_system_sgpr_workgroup_id_x 1
		.amdhsa_system_sgpr_workgroup_id_y 0
		.amdhsa_system_sgpr_workgroup_id_z 0
		.amdhsa_system_sgpr_workgroup_info 0
		.amdhsa_system_vgpr_workitem_id 0
		.amdhsa_next_free_vgpr 1
		.amdhsa_next_free_sgpr 1
		.amdhsa_reserve_vcc 0
		.amdhsa_float_round_mode_32 0
		.amdhsa_float_round_mode_16_64 0
		.amdhsa_float_denorm_mode_32 3
		.amdhsa_float_denorm_mode_16_64 3
		.amdhsa_dx10_clamp 1
		.amdhsa_ieee_mode 1
		.amdhsa_fp16_overflow 0
		.amdhsa_workgroup_processor_mode 1
		.amdhsa_memory_ordered 1
		.amdhsa_forward_progress 0
		.amdhsa_shared_vgpr_count 0
		.amdhsa_exception_fp_ieee_invalid_op 0
		.amdhsa_exception_fp_denorm_src 0
		.amdhsa_exception_fp_ieee_div_zero 0
		.amdhsa_exception_fp_ieee_overflow 0
		.amdhsa_exception_fp_ieee_underflow 0
		.amdhsa_exception_fp_ieee_inexact 0
		.amdhsa_exception_int_div_zero 0
	.end_amdhsa_kernel
	.section	.text._ZN7rocprim17ROCPRIM_400000_NS6detail17trampoline_kernelINS0_13select_configILj256ELj13ELNS0_17block_load_methodE3ELS4_3ELS4_3ELNS0_20block_scan_algorithmE0ELj4294967295EEENS1_25partition_config_selectorILNS1_17partition_subalgoE4EjNS0_10empty_typeEbEEZZNS1_14partition_implILS8_4ELb0ES6_15HIP_vector_typeIjLj2EENS0_17counting_iteratorIjlEEPS9_SG_NS0_5tupleIJPjSI_NS0_16reverse_iteratorISI_EEEEENSH_IJSG_SG_SG_EEES9_SI_JZNS1_25segmented_radix_sort_implINS0_14default_configELb0EPKaPaPKlPlN2at6native12_GLOBAL__N_18offset_tEEE10hipError_tPvRmT1_PNSt15iterator_traitsIS12_E10value_typeET2_T3_PNS13_IS18_E10value_typeET4_jRbjT5_S1E_jjP12ihipStream_tbEUljE_ZNSN_ISO_Lb0ESQ_SR_ST_SU_SY_EESZ_S10_S11_S12_S16_S17_S18_S1B_S1C_jS1D_jS1E_S1E_jjS1G_bEUljE0_EEESZ_S10_S11_S18_S1C_S1E_T6_T7_T9_mT8_S1G_bDpT10_ENKUlT_T0_E_clISt17integral_constantIbLb1EES1T_IbLb0EEEEDaS1P_S1Q_EUlS1P_E_NS1_11comp_targetILNS1_3genE3ELNS1_11target_archE908ELNS1_3gpuE7ELNS1_3repE0EEENS1_30default_config_static_selectorELNS0_4arch9wavefront6targetE0EEEvS12_,"axG",@progbits,_ZN7rocprim17ROCPRIM_400000_NS6detail17trampoline_kernelINS0_13select_configILj256ELj13ELNS0_17block_load_methodE3ELS4_3ELS4_3ELNS0_20block_scan_algorithmE0ELj4294967295EEENS1_25partition_config_selectorILNS1_17partition_subalgoE4EjNS0_10empty_typeEbEEZZNS1_14partition_implILS8_4ELb0ES6_15HIP_vector_typeIjLj2EENS0_17counting_iteratorIjlEEPS9_SG_NS0_5tupleIJPjSI_NS0_16reverse_iteratorISI_EEEEENSH_IJSG_SG_SG_EEES9_SI_JZNS1_25segmented_radix_sort_implINS0_14default_configELb0EPKaPaPKlPlN2at6native12_GLOBAL__N_18offset_tEEE10hipError_tPvRmT1_PNSt15iterator_traitsIS12_E10value_typeET2_T3_PNS13_IS18_E10value_typeET4_jRbjT5_S1E_jjP12ihipStream_tbEUljE_ZNSN_ISO_Lb0ESQ_SR_ST_SU_SY_EESZ_S10_S11_S12_S16_S17_S18_S1B_S1C_jS1D_jS1E_S1E_jjS1G_bEUljE0_EEESZ_S10_S11_S18_S1C_S1E_T6_T7_T9_mT8_S1G_bDpT10_ENKUlT_T0_E_clISt17integral_constantIbLb1EES1T_IbLb0EEEEDaS1P_S1Q_EUlS1P_E_NS1_11comp_targetILNS1_3genE3ELNS1_11target_archE908ELNS1_3gpuE7ELNS1_3repE0EEENS1_30default_config_static_selectorELNS0_4arch9wavefront6targetE0EEEvS12_,comdat
.Lfunc_end348:
	.size	_ZN7rocprim17ROCPRIM_400000_NS6detail17trampoline_kernelINS0_13select_configILj256ELj13ELNS0_17block_load_methodE3ELS4_3ELS4_3ELNS0_20block_scan_algorithmE0ELj4294967295EEENS1_25partition_config_selectorILNS1_17partition_subalgoE4EjNS0_10empty_typeEbEEZZNS1_14partition_implILS8_4ELb0ES6_15HIP_vector_typeIjLj2EENS0_17counting_iteratorIjlEEPS9_SG_NS0_5tupleIJPjSI_NS0_16reverse_iteratorISI_EEEEENSH_IJSG_SG_SG_EEES9_SI_JZNS1_25segmented_radix_sort_implINS0_14default_configELb0EPKaPaPKlPlN2at6native12_GLOBAL__N_18offset_tEEE10hipError_tPvRmT1_PNSt15iterator_traitsIS12_E10value_typeET2_T3_PNS13_IS18_E10value_typeET4_jRbjT5_S1E_jjP12ihipStream_tbEUljE_ZNSN_ISO_Lb0ESQ_SR_ST_SU_SY_EESZ_S10_S11_S12_S16_S17_S18_S1B_S1C_jS1D_jS1E_S1E_jjS1G_bEUljE0_EEESZ_S10_S11_S18_S1C_S1E_T6_T7_T9_mT8_S1G_bDpT10_ENKUlT_T0_E_clISt17integral_constantIbLb1EES1T_IbLb0EEEEDaS1P_S1Q_EUlS1P_E_NS1_11comp_targetILNS1_3genE3ELNS1_11target_archE908ELNS1_3gpuE7ELNS1_3repE0EEENS1_30default_config_static_selectorELNS0_4arch9wavefront6targetE0EEEvS12_, .Lfunc_end348-_ZN7rocprim17ROCPRIM_400000_NS6detail17trampoline_kernelINS0_13select_configILj256ELj13ELNS0_17block_load_methodE3ELS4_3ELS4_3ELNS0_20block_scan_algorithmE0ELj4294967295EEENS1_25partition_config_selectorILNS1_17partition_subalgoE4EjNS0_10empty_typeEbEEZZNS1_14partition_implILS8_4ELb0ES6_15HIP_vector_typeIjLj2EENS0_17counting_iteratorIjlEEPS9_SG_NS0_5tupleIJPjSI_NS0_16reverse_iteratorISI_EEEEENSH_IJSG_SG_SG_EEES9_SI_JZNS1_25segmented_radix_sort_implINS0_14default_configELb0EPKaPaPKlPlN2at6native12_GLOBAL__N_18offset_tEEE10hipError_tPvRmT1_PNSt15iterator_traitsIS12_E10value_typeET2_T3_PNS13_IS18_E10value_typeET4_jRbjT5_S1E_jjP12ihipStream_tbEUljE_ZNSN_ISO_Lb0ESQ_SR_ST_SU_SY_EESZ_S10_S11_S12_S16_S17_S18_S1B_S1C_jS1D_jS1E_S1E_jjS1G_bEUljE0_EEESZ_S10_S11_S18_S1C_S1E_T6_T7_T9_mT8_S1G_bDpT10_ENKUlT_T0_E_clISt17integral_constantIbLb1EES1T_IbLb0EEEEDaS1P_S1Q_EUlS1P_E_NS1_11comp_targetILNS1_3genE3ELNS1_11target_archE908ELNS1_3gpuE7ELNS1_3repE0EEENS1_30default_config_static_selectorELNS0_4arch9wavefront6targetE0EEEvS12_
                                        ; -- End function
	.section	.AMDGPU.csdata,"",@progbits
; Kernel info:
; codeLenInByte = 0
; NumSgprs: 0
; NumVgprs: 0
; ScratchSize: 0
; MemoryBound: 0
; FloatMode: 240
; IeeeMode: 1
; LDSByteSize: 0 bytes/workgroup (compile time only)
; SGPRBlocks: 0
; VGPRBlocks: 0
; NumSGPRsForWavesPerEU: 1
; NumVGPRsForWavesPerEU: 1
; Occupancy: 16
; WaveLimiterHint : 0
; COMPUTE_PGM_RSRC2:SCRATCH_EN: 0
; COMPUTE_PGM_RSRC2:USER_SGPR: 15
; COMPUTE_PGM_RSRC2:TRAP_HANDLER: 0
; COMPUTE_PGM_RSRC2:TGID_X_EN: 1
; COMPUTE_PGM_RSRC2:TGID_Y_EN: 0
; COMPUTE_PGM_RSRC2:TGID_Z_EN: 0
; COMPUTE_PGM_RSRC2:TIDIG_COMP_CNT: 0
	.section	.text._ZN7rocprim17ROCPRIM_400000_NS6detail17trampoline_kernelINS0_13select_configILj256ELj13ELNS0_17block_load_methodE3ELS4_3ELS4_3ELNS0_20block_scan_algorithmE0ELj4294967295EEENS1_25partition_config_selectorILNS1_17partition_subalgoE4EjNS0_10empty_typeEbEEZZNS1_14partition_implILS8_4ELb0ES6_15HIP_vector_typeIjLj2EENS0_17counting_iteratorIjlEEPS9_SG_NS0_5tupleIJPjSI_NS0_16reverse_iteratorISI_EEEEENSH_IJSG_SG_SG_EEES9_SI_JZNS1_25segmented_radix_sort_implINS0_14default_configELb0EPKaPaPKlPlN2at6native12_GLOBAL__N_18offset_tEEE10hipError_tPvRmT1_PNSt15iterator_traitsIS12_E10value_typeET2_T3_PNS13_IS18_E10value_typeET4_jRbjT5_S1E_jjP12ihipStream_tbEUljE_ZNSN_ISO_Lb0ESQ_SR_ST_SU_SY_EESZ_S10_S11_S12_S16_S17_S18_S1B_S1C_jS1D_jS1E_S1E_jjS1G_bEUljE0_EEESZ_S10_S11_S18_S1C_S1E_T6_T7_T9_mT8_S1G_bDpT10_ENKUlT_T0_E_clISt17integral_constantIbLb1EES1T_IbLb0EEEEDaS1P_S1Q_EUlS1P_E_NS1_11comp_targetILNS1_3genE2ELNS1_11target_archE906ELNS1_3gpuE6ELNS1_3repE0EEENS1_30default_config_static_selectorELNS0_4arch9wavefront6targetE0EEEvS12_,"axG",@progbits,_ZN7rocprim17ROCPRIM_400000_NS6detail17trampoline_kernelINS0_13select_configILj256ELj13ELNS0_17block_load_methodE3ELS4_3ELS4_3ELNS0_20block_scan_algorithmE0ELj4294967295EEENS1_25partition_config_selectorILNS1_17partition_subalgoE4EjNS0_10empty_typeEbEEZZNS1_14partition_implILS8_4ELb0ES6_15HIP_vector_typeIjLj2EENS0_17counting_iteratorIjlEEPS9_SG_NS0_5tupleIJPjSI_NS0_16reverse_iteratorISI_EEEEENSH_IJSG_SG_SG_EEES9_SI_JZNS1_25segmented_radix_sort_implINS0_14default_configELb0EPKaPaPKlPlN2at6native12_GLOBAL__N_18offset_tEEE10hipError_tPvRmT1_PNSt15iterator_traitsIS12_E10value_typeET2_T3_PNS13_IS18_E10value_typeET4_jRbjT5_S1E_jjP12ihipStream_tbEUljE_ZNSN_ISO_Lb0ESQ_SR_ST_SU_SY_EESZ_S10_S11_S12_S16_S17_S18_S1B_S1C_jS1D_jS1E_S1E_jjS1G_bEUljE0_EEESZ_S10_S11_S18_S1C_S1E_T6_T7_T9_mT8_S1G_bDpT10_ENKUlT_T0_E_clISt17integral_constantIbLb1EES1T_IbLb0EEEEDaS1P_S1Q_EUlS1P_E_NS1_11comp_targetILNS1_3genE2ELNS1_11target_archE906ELNS1_3gpuE6ELNS1_3repE0EEENS1_30default_config_static_selectorELNS0_4arch9wavefront6targetE0EEEvS12_,comdat
	.globl	_ZN7rocprim17ROCPRIM_400000_NS6detail17trampoline_kernelINS0_13select_configILj256ELj13ELNS0_17block_load_methodE3ELS4_3ELS4_3ELNS0_20block_scan_algorithmE0ELj4294967295EEENS1_25partition_config_selectorILNS1_17partition_subalgoE4EjNS0_10empty_typeEbEEZZNS1_14partition_implILS8_4ELb0ES6_15HIP_vector_typeIjLj2EENS0_17counting_iteratorIjlEEPS9_SG_NS0_5tupleIJPjSI_NS0_16reverse_iteratorISI_EEEEENSH_IJSG_SG_SG_EEES9_SI_JZNS1_25segmented_radix_sort_implINS0_14default_configELb0EPKaPaPKlPlN2at6native12_GLOBAL__N_18offset_tEEE10hipError_tPvRmT1_PNSt15iterator_traitsIS12_E10value_typeET2_T3_PNS13_IS18_E10value_typeET4_jRbjT5_S1E_jjP12ihipStream_tbEUljE_ZNSN_ISO_Lb0ESQ_SR_ST_SU_SY_EESZ_S10_S11_S12_S16_S17_S18_S1B_S1C_jS1D_jS1E_S1E_jjS1G_bEUljE0_EEESZ_S10_S11_S18_S1C_S1E_T6_T7_T9_mT8_S1G_bDpT10_ENKUlT_T0_E_clISt17integral_constantIbLb1EES1T_IbLb0EEEEDaS1P_S1Q_EUlS1P_E_NS1_11comp_targetILNS1_3genE2ELNS1_11target_archE906ELNS1_3gpuE6ELNS1_3repE0EEENS1_30default_config_static_selectorELNS0_4arch9wavefront6targetE0EEEvS12_ ; -- Begin function _ZN7rocprim17ROCPRIM_400000_NS6detail17trampoline_kernelINS0_13select_configILj256ELj13ELNS0_17block_load_methodE3ELS4_3ELS4_3ELNS0_20block_scan_algorithmE0ELj4294967295EEENS1_25partition_config_selectorILNS1_17partition_subalgoE4EjNS0_10empty_typeEbEEZZNS1_14partition_implILS8_4ELb0ES6_15HIP_vector_typeIjLj2EENS0_17counting_iteratorIjlEEPS9_SG_NS0_5tupleIJPjSI_NS0_16reverse_iteratorISI_EEEEENSH_IJSG_SG_SG_EEES9_SI_JZNS1_25segmented_radix_sort_implINS0_14default_configELb0EPKaPaPKlPlN2at6native12_GLOBAL__N_18offset_tEEE10hipError_tPvRmT1_PNSt15iterator_traitsIS12_E10value_typeET2_T3_PNS13_IS18_E10value_typeET4_jRbjT5_S1E_jjP12ihipStream_tbEUljE_ZNSN_ISO_Lb0ESQ_SR_ST_SU_SY_EESZ_S10_S11_S12_S16_S17_S18_S1B_S1C_jS1D_jS1E_S1E_jjS1G_bEUljE0_EEESZ_S10_S11_S18_S1C_S1E_T6_T7_T9_mT8_S1G_bDpT10_ENKUlT_T0_E_clISt17integral_constantIbLb1EES1T_IbLb0EEEEDaS1P_S1Q_EUlS1P_E_NS1_11comp_targetILNS1_3genE2ELNS1_11target_archE906ELNS1_3gpuE6ELNS1_3repE0EEENS1_30default_config_static_selectorELNS0_4arch9wavefront6targetE0EEEvS12_
	.p2align	8
	.type	_ZN7rocprim17ROCPRIM_400000_NS6detail17trampoline_kernelINS0_13select_configILj256ELj13ELNS0_17block_load_methodE3ELS4_3ELS4_3ELNS0_20block_scan_algorithmE0ELj4294967295EEENS1_25partition_config_selectorILNS1_17partition_subalgoE4EjNS0_10empty_typeEbEEZZNS1_14partition_implILS8_4ELb0ES6_15HIP_vector_typeIjLj2EENS0_17counting_iteratorIjlEEPS9_SG_NS0_5tupleIJPjSI_NS0_16reverse_iteratorISI_EEEEENSH_IJSG_SG_SG_EEES9_SI_JZNS1_25segmented_radix_sort_implINS0_14default_configELb0EPKaPaPKlPlN2at6native12_GLOBAL__N_18offset_tEEE10hipError_tPvRmT1_PNSt15iterator_traitsIS12_E10value_typeET2_T3_PNS13_IS18_E10value_typeET4_jRbjT5_S1E_jjP12ihipStream_tbEUljE_ZNSN_ISO_Lb0ESQ_SR_ST_SU_SY_EESZ_S10_S11_S12_S16_S17_S18_S1B_S1C_jS1D_jS1E_S1E_jjS1G_bEUljE0_EEESZ_S10_S11_S18_S1C_S1E_T6_T7_T9_mT8_S1G_bDpT10_ENKUlT_T0_E_clISt17integral_constantIbLb1EES1T_IbLb0EEEEDaS1P_S1Q_EUlS1P_E_NS1_11comp_targetILNS1_3genE2ELNS1_11target_archE906ELNS1_3gpuE6ELNS1_3repE0EEENS1_30default_config_static_selectorELNS0_4arch9wavefront6targetE0EEEvS12_,@function
_ZN7rocprim17ROCPRIM_400000_NS6detail17trampoline_kernelINS0_13select_configILj256ELj13ELNS0_17block_load_methodE3ELS4_3ELS4_3ELNS0_20block_scan_algorithmE0ELj4294967295EEENS1_25partition_config_selectorILNS1_17partition_subalgoE4EjNS0_10empty_typeEbEEZZNS1_14partition_implILS8_4ELb0ES6_15HIP_vector_typeIjLj2EENS0_17counting_iteratorIjlEEPS9_SG_NS0_5tupleIJPjSI_NS0_16reverse_iteratorISI_EEEEENSH_IJSG_SG_SG_EEES9_SI_JZNS1_25segmented_radix_sort_implINS0_14default_configELb0EPKaPaPKlPlN2at6native12_GLOBAL__N_18offset_tEEE10hipError_tPvRmT1_PNSt15iterator_traitsIS12_E10value_typeET2_T3_PNS13_IS18_E10value_typeET4_jRbjT5_S1E_jjP12ihipStream_tbEUljE_ZNSN_ISO_Lb0ESQ_SR_ST_SU_SY_EESZ_S10_S11_S12_S16_S17_S18_S1B_S1C_jS1D_jS1E_S1E_jjS1G_bEUljE0_EEESZ_S10_S11_S18_S1C_S1E_T6_T7_T9_mT8_S1G_bDpT10_ENKUlT_T0_E_clISt17integral_constantIbLb1EES1T_IbLb0EEEEDaS1P_S1Q_EUlS1P_E_NS1_11comp_targetILNS1_3genE2ELNS1_11target_archE906ELNS1_3gpuE6ELNS1_3repE0EEENS1_30default_config_static_selectorELNS0_4arch9wavefront6targetE0EEEvS12_: ; @_ZN7rocprim17ROCPRIM_400000_NS6detail17trampoline_kernelINS0_13select_configILj256ELj13ELNS0_17block_load_methodE3ELS4_3ELS4_3ELNS0_20block_scan_algorithmE0ELj4294967295EEENS1_25partition_config_selectorILNS1_17partition_subalgoE4EjNS0_10empty_typeEbEEZZNS1_14partition_implILS8_4ELb0ES6_15HIP_vector_typeIjLj2EENS0_17counting_iteratorIjlEEPS9_SG_NS0_5tupleIJPjSI_NS0_16reverse_iteratorISI_EEEEENSH_IJSG_SG_SG_EEES9_SI_JZNS1_25segmented_radix_sort_implINS0_14default_configELb0EPKaPaPKlPlN2at6native12_GLOBAL__N_18offset_tEEE10hipError_tPvRmT1_PNSt15iterator_traitsIS12_E10value_typeET2_T3_PNS13_IS18_E10value_typeET4_jRbjT5_S1E_jjP12ihipStream_tbEUljE_ZNSN_ISO_Lb0ESQ_SR_ST_SU_SY_EESZ_S10_S11_S12_S16_S17_S18_S1B_S1C_jS1D_jS1E_S1E_jjS1G_bEUljE0_EEESZ_S10_S11_S18_S1C_S1E_T6_T7_T9_mT8_S1G_bDpT10_ENKUlT_T0_E_clISt17integral_constantIbLb1EES1T_IbLb0EEEEDaS1P_S1Q_EUlS1P_E_NS1_11comp_targetILNS1_3genE2ELNS1_11target_archE906ELNS1_3gpuE6ELNS1_3repE0EEENS1_30default_config_static_selectorELNS0_4arch9wavefront6targetE0EEEvS12_
; %bb.0:
	.section	.rodata,"a",@progbits
	.p2align	6, 0x0
	.amdhsa_kernel _ZN7rocprim17ROCPRIM_400000_NS6detail17trampoline_kernelINS0_13select_configILj256ELj13ELNS0_17block_load_methodE3ELS4_3ELS4_3ELNS0_20block_scan_algorithmE0ELj4294967295EEENS1_25partition_config_selectorILNS1_17partition_subalgoE4EjNS0_10empty_typeEbEEZZNS1_14partition_implILS8_4ELb0ES6_15HIP_vector_typeIjLj2EENS0_17counting_iteratorIjlEEPS9_SG_NS0_5tupleIJPjSI_NS0_16reverse_iteratorISI_EEEEENSH_IJSG_SG_SG_EEES9_SI_JZNS1_25segmented_radix_sort_implINS0_14default_configELb0EPKaPaPKlPlN2at6native12_GLOBAL__N_18offset_tEEE10hipError_tPvRmT1_PNSt15iterator_traitsIS12_E10value_typeET2_T3_PNS13_IS18_E10value_typeET4_jRbjT5_S1E_jjP12ihipStream_tbEUljE_ZNSN_ISO_Lb0ESQ_SR_ST_SU_SY_EESZ_S10_S11_S12_S16_S17_S18_S1B_S1C_jS1D_jS1E_S1E_jjS1G_bEUljE0_EEESZ_S10_S11_S18_S1C_S1E_T6_T7_T9_mT8_S1G_bDpT10_ENKUlT_T0_E_clISt17integral_constantIbLb1EES1T_IbLb0EEEEDaS1P_S1Q_EUlS1P_E_NS1_11comp_targetILNS1_3genE2ELNS1_11target_archE906ELNS1_3gpuE6ELNS1_3repE0EEENS1_30default_config_static_selectorELNS0_4arch9wavefront6targetE0EEEvS12_
		.amdhsa_group_segment_fixed_size 0
		.amdhsa_private_segment_fixed_size 0
		.amdhsa_kernarg_size 176
		.amdhsa_user_sgpr_count 15
		.amdhsa_user_sgpr_dispatch_ptr 0
		.amdhsa_user_sgpr_queue_ptr 0
		.amdhsa_user_sgpr_kernarg_segment_ptr 1
		.amdhsa_user_sgpr_dispatch_id 0
		.amdhsa_user_sgpr_private_segment_size 0
		.amdhsa_wavefront_size32 1
		.amdhsa_uses_dynamic_stack 0
		.amdhsa_enable_private_segment 0
		.amdhsa_system_sgpr_workgroup_id_x 1
		.amdhsa_system_sgpr_workgroup_id_y 0
		.amdhsa_system_sgpr_workgroup_id_z 0
		.amdhsa_system_sgpr_workgroup_info 0
		.amdhsa_system_vgpr_workitem_id 0
		.amdhsa_next_free_vgpr 1
		.amdhsa_next_free_sgpr 1
		.amdhsa_reserve_vcc 0
		.amdhsa_float_round_mode_32 0
		.amdhsa_float_round_mode_16_64 0
		.amdhsa_float_denorm_mode_32 3
		.amdhsa_float_denorm_mode_16_64 3
		.amdhsa_dx10_clamp 1
		.amdhsa_ieee_mode 1
		.amdhsa_fp16_overflow 0
		.amdhsa_workgroup_processor_mode 1
		.amdhsa_memory_ordered 1
		.amdhsa_forward_progress 0
		.amdhsa_shared_vgpr_count 0
		.amdhsa_exception_fp_ieee_invalid_op 0
		.amdhsa_exception_fp_denorm_src 0
		.amdhsa_exception_fp_ieee_div_zero 0
		.amdhsa_exception_fp_ieee_overflow 0
		.amdhsa_exception_fp_ieee_underflow 0
		.amdhsa_exception_fp_ieee_inexact 0
		.amdhsa_exception_int_div_zero 0
	.end_amdhsa_kernel
	.section	.text._ZN7rocprim17ROCPRIM_400000_NS6detail17trampoline_kernelINS0_13select_configILj256ELj13ELNS0_17block_load_methodE3ELS4_3ELS4_3ELNS0_20block_scan_algorithmE0ELj4294967295EEENS1_25partition_config_selectorILNS1_17partition_subalgoE4EjNS0_10empty_typeEbEEZZNS1_14partition_implILS8_4ELb0ES6_15HIP_vector_typeIjLj2EENS0_17counting_iteratorIjlEEPS9_SG_NS0_5tupleIJPjSI_NS0_16reverse_iteratorISI_EEEEENSH_IJSG_SG_SG_EEES9_SI_JZNS1_25segmented_radix_sort_implINS0_14default_configELb0EPKaPaPKlPlN2at6native12_GLOBAL__N_18offset_tEEE10hipError_tPvRmT1_PNSt15iterator_traitsIS12_E10value_typeET2_T3_PNS13_IS18_E10value_typeET4_jRbjT5_S1E_jjP12ihipStream_tbEUljE_ZNSN_ISO_Lb0ESQ_SR_ST_SU_SY_EESZ_S10_S11_S12_S16_S17_S18_S1B_S1C_jS1D_jS1E_S1E_jjS1G_bEUljE0_EEESZ_S10_S11_S18_S1C_S1E_T6_T7_T9_mT8_S1G_bDpT10_ENKUlT_T0_E_clISt17integral_constantIbLb1EES1T_IbLb0EEEEDaS1P_S1Q_EUlS1P_E_NS1_11comp_targetILNS1_3genE2ELNS1_11target_archE906ELNS1_3gpuE6ELNS1_3repE0EEENS1_30default_config_static_selectorELNS0_4arch9wavefront6targetE0EEEvS12_,"axG",@progbits,_ZN7rocprim17ROCPRIM_400000_NS6detail17trampoline_kernelINS0_13select_configILj256ELj13ELNS0_17block_load_methodE3ELS4_3ELS4_3ELNS0_20block_scan_algorithmE0ELj4294967295EEENS1_25partition_config_selectorILNS1_17partition_subalgoE4EjNS0_10empty_typeEbEEZZNS1_14partition_implILS8_4ELb0ES6_15HIP_vector_typeIjLj2EENS0_17counting_iteratorIjlEEPS9_SG_NS0_5tupleIJPjSI_NS0_16reverse_iteratorISI_EEEEENSH_IJSG_SG_SG_EEES9_SI_JZNS1_25segmented_radix_sort_implINS0_14default_configELb0EPKaPaPKlPlN2at6native12_GLOBAL__N_18offset_tEEE10hipError_tPvRmT1_PNSt15iterator_traitsIS12_E10value_typeET2_T3_PNS13_IS18_E10value_typeET4_jRbjT5_S1E_jjP12ihipStream_tbEUljE_ZNSN_ISO_Lb0ESQ_SR_ST_SU_SY_EESZ_S10_S11_S12_S16_S17_S18_S1B_S1C_jS1D_jS1E_S1E_jjS1G_bEUljE0_EEESZ_S10_S11_S18_S1C_S1E_T6_T7_T9_mT8_S1G_bDpT10_ENKUlT_T0_E_clISt17integral_constantIbLb1EES1T_IbLb0EEEEDaS1P_S1Q_EUlS1P_E_NS1_11comp_targetILNS1_3genE2ELNS1_11target_archE906ELNS1_3gpuE6ELNS1_3repE0EEENS1_30default_config_static_selectorELNS0_4arch9wavefront6targetE0EEEvS12_,comdat
.Lfunc_end349:
	.size	_ZN7rocprim17ROCPRIM_400000_NS6detail17trampoline_kernelINS0_13select_configILj256ELj13ELNS0_17block_load_methodE3ELS4_3ELS4_3ELNS0_20block_scan_algorithmE0ELj4294967295EEENS1_25partition_config_selectorILNS1_17partition_subalgoE4EjNS0_10empty_typeEbEEZZNS1_14partition_implILS8_4ELb0ES6_15HIP_vector_typeIjLj2EENS0_17counting_iteratorIjlEEPS9_SG_NS0_5tupleIJPjSI_NS0_16reverse_iteratorISI_EEEEENSH_IJSG_SG_SG_EEES9_SI_JZNS1_25segmented_radix_sort_implINS0_14default_configELb0EPKaPaPKlPlN2at6native12_GLOBAL__N_18offset_tEEE10hipError_tPvRmT1_PNSt15iterator_traitsIS12_E10value_typeET2_T3_PNS13_IS18_E10value_typeET4_jRbjT5_S1E_jjP12ihipStream_tbEUljE_ZNSN_ISO_Lb0ESQ_SR_ST_SU_SY_EESZ_S10_S11_S12_S16_S17_S18_S1B_S1C_jS1D_jS1E_S1E_jjS1G_bEUljE0_EEESZ_S10_S11_S18_S1C_S1E_T6_T7_T9_mT8_S1G_bDpT10_ENKUlT_T0_E_clISt17integral_constantIbLb1EES1T_IbLb0EEEEDaS1P_S1Q_EUlS1P_E_NS1_11comp_targetILNS1_3genE2ELNS1_11target_archE906ELNS1_3gpuE6ELNS1_3repE0EEENS1_30default_config_static_selectorELNS0_4arch9wavefront6targetE0EEEvS12_, .Lfunc_end349-_ZN7rocprim17ROCPRIM_400000_NS6detail17trampoline_kernelINS0_13select_configILj256ELj13ELNS0_17block_load_methodE3ELS4_3ELS4_3ELNS0_20block_scan_algorithmE0ELj4294967295EEENS1_25partition_config_selectorILNS1_17partition_subalgoE4EjNS0_10empty_typeEbEEZZNS1_14partition_implILS8_4ELb0ES6_15HIP_vector_typeIjLj2EENS0_17counting_iteratorIjlEEPS9_SG_NS0_5tupleIJPjSI_NS0_16reverse_iteratorISI_EEEEENSH_IJSG_SG_SG_EEES9_SI_JZNS1_25segmented_radix_sort_implINS0_14default_configELb0EPKaPaPKlPlN2at6native12_GLOBAL__N_18offset_tEEE10hipError_tPvRmT1_PNSt15iterator_traitsIS12_E10value_typeET2_T3_PNS13_IS18_E10value_typeET4_jRbjT5_S1E_jjP12ihipStream_tbEUljE_ZNSN_ISO_Lb0ESQ_SR_ST_SU_SY_EESZ_S10_S11_S12_S16_S17_S18_S1B_S1C_jS1D_jS1E_S1E_jjS1G_bEUljE0_EEESZ_S10_S11_S18_S1C_S1E_T6_T7_T9_mT8_S1G_bDpT10_ENKUlT_T0_E_clISt17integral_constantIbLb1EES1T_IbLb0EEEEDaS1P_S1Q_EUlS1P_E_NS1_11comp_targetILNS1_3genE2ELNS1_11target_archE906ELNS1_3gpuE6ELNS1_3repE0EEENS1_30default_config_static_selectorELNS0_4arch9wavefront6targetE0EEEvS12_
                                        ; -- End function
	.section	.AMDGPU.csdata,"",@progbits
; Kernel info:
; codeLenInByte = 0
; NumSgprs: 0
; NumVgprs: 0
; ScratchSize: 0
; MemoryBound: 0
; FloatMode: 240
; IeeeMode: 1
; LDSByteSize: 0 bytes/workgroup (compile time only)
; SGPRBlocks: 0
; VGPRBlocks: 0
; NumSGPRsForWavesPerEU: 1
; NumVGPRsForWavesPerEU: 1
; Occupancy: 16
; WaveLimiterHint : 0
; COMPUTE_PGM_RSRC2:SCRATCH_EN: 0
; COMPUTE_PGM_RSRC2:USER_SGPR: 15
; COMPUTE_PGM_RSRC2:TRAP_HANDLER: 0
; COMPUTE_PGM_RSRC2:TGID_X_EN: 1
; COMPUTE_PGM_RSRC2:TGID_Y_EN: 0
; COMPUTE_PGM_RSRC2:TGID_Z_EN: 0
; COMPUTE_PGM_RSRC2:TIDIG_COMP_CNT: 0
	.section	.text._ZN7rocprim17ROCPRIM_400000_NS6detail17trampoline_kernelINS0_13select_configILj256ELj13ELNS0_17block_load_methodE3ELS4_3ELS4_3ELNS0_20block_scan_algorithmE0ELj4294967295EEENS1_25partition_config_selectorILNS1_17partition_subalgoE4EjNS0_10empty_typeEbEEZZNS1_14partition_implILS8_4ELb0ES6_15HIP_vector_typeIjLj2EENS0_17counting_iteratorIjlEEPS9_SG_NS0_5tupleIJPjSI_NS0_16reverse_iteratorISI_EEEEENSH_IJSG_SG_SG_EEES9_SI_JZNS1_25segmented_radix_sort_implINS0_14default_configELb0EPKaPaPKlPlN2at6native12_GLOBAL__N_18offset_tEEE10hipError_tPvRmT1_PNSt15iterator_traitsIS12_E10value_typeET2_T3_PNS13_IS18_E10value_typeET4_jRbjT5_S1E_jjP12ihipStream_tbEUljE_ZNSN_ISO_Lb0ESQ_SR_ST_SU_SY_EESZ_S10_S11_S12_S16_S17_S18_S1B_S1C_jS1D_jS1E_S1E_jjS1G_bEUljE0_EEESZ_S10_S11_S18_S1C_S1E_T6_T7_T9_mT8_S1G_bDpT10_ENKUlT_T0_E_clISt17integral_constantIbLb1EES1T_IbLb0EEEEDaS1P_S1Q_EUlS1P_E_NS1_11comp_targetILNS1_3genE10ELNS1_11target_archE1200ELNS1_3gpuE4ELNS1_3repE0EEENS1_30default_config_static_selectorELNS0_4arch9wavefront6targetE0EEEvS12_,"axG",@progbits,_ZN7rocprim17ROCPRIM_400000_NS6detail17trampoline_kernelINS0_13select_configILj256ELj13ELNS0_17block_load_methodE3ELS4_3ELS4_3ELNS0_20block_scan_algorithmE0ELj4294967295EEENS1_25partition_config_selectorILNS1_17partition_subalgoE4EjNS0_10empty_typeEbEEZZNS1_14partition_implILS8_4ELb0ES6_15HIP_vector_typeIjLj2EENS0_17counting_iteratorIjlEEPS9_SG_NS0_5tupleIJPjSI_NS0_16reverse_iteratorISI_EEEEENSH_IJSG_SG_SG_EEES9_SI_JZNS1_25segmented_radix_sort_implINS0_14default_configELb0EPKaPaPKlPlN2at6native12_GLOBAL__N_18offset_tEEE10hipError_tPvRmT1_PNSt15iterator_traitsIS12_E10value_typeET2_T3_PNS13_IS18_E10value_typeET4_jRbjT5_S1E_jjP12ihipStream_tbEUljE_ZNSN_ISO_Lb0ESQ_SR_ST_SU_SY_EESZ_S10_S11_S12_S16_S17_S18_S1B_S1C_jS1D_jS1E_S1E_jjS1G_bEUljE0_EEESZ_S10_S11_S18_S1C_S1E_T6_T7_T9_mT8_S1G_bDpT10_ENKUlT_T0_E_clISt17integral_constantIbLb1EES1T_IbLb0EEEEDaS1P_S1Q_EUlS1P_E_NS1_11comp_targetILNS1_3genE10ELNS1_11target_archE1200ELNS1_3gpuE4ELNS1_3repE0EEENS1_30default_config_static_selectorELNS0_4arch9wavefront6targetE0EEEvS12_,comdat
	.globl	_ZN7rocprim17ROCPRIM_400000_NS6detail17trampoline_kernelINS0_13select_configILj256ELj13ELNS0_17block_load_methodE3ELS4_3ELS4_3ELNS0_20block_scan_algorithmE0ELj4294967295EEENS1_25partition_config_selectorILNS1_17partition_subalgoE4EjNS0_10empty_typeEbEEZZNS1_14partition_implILS8_4ELb0ES6_15HIP_vector_typeIjLj2EENS0_17counting_iteratorIjlEEPS9_SG_NS0_5tupleIJPjSI_NS0_16reverse_iteratorISI_EEEEENSH_IJSG_SG_SG_EEES9_SI_JZNS1_25segmented_radix_sort_implINS0_14default_configELb0EPKaPaPKlPlN2at6native12_GLOBAL__N_18offset_tEEE10hipError_tPvRmT1_PNSt15iterator_traitsIS12_E10value_typeET2_T3_PNS13_IS18_E10value_typeET4_jRbjT5_S1E_jjP12ihipStream_tbEUljE_ZNSN_ISO_Lb0ESQ_SR_ST_SU_SY_EESZ_S10_S11_S12_S16_S17_S18_S1B_S1C_jS1D_jS1E_S1E_jjS1G_bEUljE0_EEESZ_S10_S11_S18_S1C_S1E_T6_T7_T9_mT8_S1G_bDpT10_ENKUlT_T0_E_clISt17integral_constantIbLb1EES1T_IbLb0EEEEDaS1P_S1Q_EUlS1P_E_NS1_11comp_targetILNS1_3genE10ELNS1_11target_archE1200ELNS1_3gpuE4ELNS1_3repE0EEENS1_30default_config_static_selectorELNS0_4arch9wavefront6targetE0EEEvS12_ ; -- Begin function _ZN7rocprim17ROCPRIM_400000_NS6detail17trampoline_kernelINS0_13select_configILj256ELj13ELNS0_17block_load_methodE3ELS4_3ELS4_3ELNS0_20block_scan_algorithmE0ELj4294967295EEENS1_25partition_config_selectorILNS1_17partition_subalgoE4EjNS0_10empty_typeEbEEZZNS1_14partition_implILS8_4ELb0ES6_15HIP_vector_typeIjLj2EENS0_17counting_iteratorIjlEEPS9_SG_NS0_5tupleIJPjSI_NS0_16reverse_iteratorISI_EEEEENSH_IJSG_SG_SG_EEES9_SI_JZNS1_25segmented_radix_sort_implINS0_14default_configELb0EPKaPaPKlPlN2at6native12_GLOBAL__N_18offset_tEEE10hipError_tPvRmT1_PNSt15iterator_traitsIS12_E10value_typeET2_T3_PNS13_IS18_E10value_typeET4_jRbjT5_S1E_jjP12ihipStream_tbEUljE_ZNSN_ISO_Lb0ESQ_SR_ST_SU_SY_EESZ_S10_S11_S12_S16_S17_S18_S1B_S1C_jS1D_jS1E_S1E_jjS1G_bEUljE0_EEESZ_S10_S11_S18_S1C_S1E_T6_T7_T9_mT8_S1G_bDpT10_ENKUlT_T0_E_clISt17integral_constantIbLb1EES1T_IbLb0EEEEDaS1P_S1Q_EUlS1P_E_NS1_11comp_targetILNS1_3genE10ELNS1_11target_archE1200ELNS1_3gpuE4ELNS1_3repE0EEENS1_30default_config_static_selectorELNS0_4arch9wavefront6targetE0EEEvS12_
	.p2align	8
	.type	_ZN7rocprim17ROCPRIM_400000_NS6detail17trampoline_kernelINS0_13select_configILj256ELj13ELNS0_17block_load_methodE3ELS4_3ELS4_3ELNS0_20block_scan_algorithmE0ELj4294967295EEENS1_25partition_config_selectorILNS1_17partition_subalgoE4EjNS0_10empty_typeEbEEZZNS1_14partition_implILS8_4ELb0ES6_15HIP_vector_typeIjLj2EENS0_17counting_iteratorIjlEEPS9_SG_NS0_5tupleIJPjSI_NS0_16reverse_iteratorISI_EEEEENSH_IJSG_SG_SG_EEES9_SI_JZNS1_25segmented_radix_sort_implINS0_14default_configELb0EPKaPaPKlPlN2at6native12_GLOBAL__N_18offset_tEEE10hipError_tPvRmT1_PNSt15iterator_traitsIS12_E10value_typeET2_T3_PNS13_IS18_E10value_typeET4_jRbjT5_S1E_jjP12ihipStream_tbEUljE_ZNSN_ISO_Lb0ESQ_SR_ST_SU_SY_EESZ_S10_S11_S12_S16_S17_S18_S1B_S1C_jS1D_jS1E_S1E_jjS1G_bEUljE0_EEESZ_S10_S11_S18_S1C_S1E_T6_T7_T9_mT8_S1G_bDpT10_ENKUlT_T0_E_clISt17integral_constantIbLb1EES1T_IbLb0EEEEDaS1P_S1Q_EUlS1P_E_NS1_11comp_targetILNS1_3genE10ELNS1_11target_archE1200ELNS1_3gpuE4ELNS1_3repE0EEENS1_30default_config_static_selectorELNS0_4arch9wavefront6targetE0EEEvS12_,@function
_ZN7rocprim17ROCPRIM_400000_NS6detail17trampoline_kernelINS0_13select_configILj256ELj13ELNS0_17block_load_methodE3ELS4_3ELS4_3ELNS0_20block_scan_algorithmE0ELj4294967295EEENS1_25partition_config_selectorILNS1_17partition_subalgoE4EjNS0_10empty_typeEbEEZZNS1_14partition_implILS8_4ELb0ES6_15HIP_vector_typeIjLj2EENS0_17counting_iteratorIjlEEPS9_SG_NS0_5tupleIJPjSI_NS0_16reverse_iteratorISI_EEEEENSH_IJSG_SG_SG_EEES9_SI_JZNS1_25segmented_radix_sort_implINS0_14default_configELb0EPKaPaPKlPlN2at6native12_GLOBAL__N_18offset_tEEE10hipError_tPvRmT1_PNSt15iterator_traitsIS12_E10value_typeET2_T3_PNS13_IS18_E10value_typeET4_jRbjT5_S1E_jjP12ihipStream_tbEUljE_ZNSN_ISO_Lb0ESQ_SR_ST_SU_SY_EESZ_S10_S11_S12_S16_S17_S18_S1B_S1C_jS1D_jS1E_S1E_jjS1G_bEUljE0_EEESZ_S10_S11_S18_S1C_S1E_T6_T7_T9_mT8_S1G_bDpT10_ENKUlT_T0_E_clISt17integral_constantIbLb1EES1T_IbLb0EEEEDaS1P_S1Q_EUlS1P_E_NS1_11comp_targetILNS1_3genE10ELNS1_11target_archE1200ELNS1_3gpuE4ELNS1_3repE0EEENS1_30default_config_static_selectorELNS0_4arch9wavefront6targetE0EEEvS12_: ; @_ZN7rocprim17ROCPRIM_400000_NS6detail17trampoline_kernelINS0_13select_configILj256ELj13ELNS0_17block_load_methodE3ELS4_3ELS4_3ELNS0_20block_scan_algorithmE0ELj4294967295EEENS1_25partition_config_selectorILNS1_17partition_subalgoE4EjNS0_10empty_typeEbEEZZNS1_14partition_implILS8_4ELb0ES6_15HIP_vector_typeIjLj2EENS0_17counting_iteratorIjlEEPS9_SG_NS0_5tupleIJPjSI_NS0_16reverse_iteratorISI_EEEEENSH_IJSG_SG_SG_EEES9_SI_JZNS1_25segmented_radix_sort_implINS0_14default_configELb0EPKaPaPKlPlN2at6native12_GLOBAL__N_18offset_tEEE10hipError_tPvRmT1_PNSt15iterator_traitsIS12_E10value_typeET2_T3_PNS13_IS18_E10value_typeET4_jRbjT5_S1E_jjP12ihipStream_tbEUljE_ZNSN_ISO_Lb0ESQ_SR_ST_SU_SY_EESZ_S10_S11_S12_S16_S17_S18_S1B_S1C_jS1D_jS1E_S1E_jjS1G_bEUljE0_EEESZ_S10_S11_S18_S1C_S1E_T6_T7_T9_mT8_S1G_bDpT10_ENKUlT_T0_E_clISt17integral_constantIbLb1EES1T_IbLb0EEEEDaS1P_S1Q_EUlS1P_E_NS1_11comp_targetILNS1_3genE10ELNS1_11target_archE1200ELNS1_3gpuE4ELNS1_3repE0EEENS1_30default_config_static_selectorELNS0_4arch9wavefront6targetE0EEEvS12_
; %bb.0:
	.section	.rodata,"a",@progbits
	.p2align	6, 0x0
	.amdhsa_kernel _ZN7rocprim17ROCPRIM_400000_NS6detail17trampoline_kernelINS0_13select_configILj256ELj13ELNS0_17block_load_methodE3ELS4_3ELS4_3ELNS0_20block_scan_algorithmE0ELj4294967295EEENS1_25partition_config_selectorILNS1_17partition_subalgoE4EjNS0_10empty_typeEbEEZZNS1_14partition_implILS8_4ELb0ES6_15HIP_vector_typeIjLj2EENS0_17counting_iteratorIjlEEPS9_SG_NS0_5tupleIJPjSI_NS0_16reverse_iteratorISI_EEEEENSH_IJSG_SG_SG_EEES9_SI_JZNS1_25segmented_radix_sort_implINS0_14default_configELb0EPKaPaPKlPlN2at6native12_GLOBAL__N_18offset_tEEE10hipError_tPvRmT1_PNSt15iterator_traitsIS12_E10value_typeET2_T3_PNS13_IS18_E10value_typeET4_jRbjT5_S1E_jjP12ihipStream_tbEUljE_ZNSN_ISO_Lb0ESQ_SR_ST_SU_SY_EESZ_S10_S11_S12_S16_S17_S18_S1B_S1C_jS1D_jS1E_S1E_jjS1G_bEUljE0_EEESZ_S10_S11_S18_S1C_S1E_T6_T7_T9_mT8_S1G_bDpT10_ENKUlT_T0_E_clISt17integral_constantIbLb1EES1T_IbLb0EEEEDaS1P_S1Q_EUlS1P_E_NS1_11comp_targetILNS1_3genE10ELNS1_11target_archE1200ELNS1_3gpuE4ELNS1_3repE0EEENS1_30default_config_static_selectorELNS0_4arch9wavefront6targetE0EEEvS12_
		.amdhsa_group_segment_fixed_size 0
		.amdhsa_private_segment_fixed_size 0
		.amdhsa_kernarg_size 176
		.amdhsa_user_sgpr_count 15
		.amdhsa_user_sgpr_dispatch_ptr 0
		.amdhsa_user_sgpr_queue_ptr 0
		.amdhsa_user_sgpr_kernarg_segment_ptr 1
		.amdhsa_user_sgpr_dispatch_id 0
		.amdhsa_user_sgpr_private_segment_size 0
		.amdhsa_wavefront_size32 1
		.amdhsa_uses_dynamic_stack 0
		.amdhsa_enable_private_segment 0
		.amdhsa_system_sgpr_workgroup_id_x 1
		.amdhsa_system_sgpr_workgroup_id_y 0
		.amdhsa_system_sgpr_workgroup_id_z 0
		.amdhsa_system_sgpr_workgroup_info 0
		.amdhsa_system_vgpr_workitem_id 0
		.amdhsa_next_free_vgpr 1
		.amdhsa_next_free_sgpr 1
		.amdhsa_reserve_vcc 0
		.amdhsa_float_round_mode_32 0
		.amdhsa_float_round_mode_16_64 0
		.amdhsa_float_denorm_mode_32 3
		.amdhsa_float_denorm_mode_16_64 3
		.amdhsa_dx10_clamp 1
		.amdhsa_ieee_mode 1
		.amdhsa_fp16_overflow 0
		.amdhsa_workgroup_processor_mode 1
		.amdhsa_memory_ordered 1
		.amdhsa_forward_progress 0
		.amdhsa_shared_vgpr_count 0
		.amdhsa_exception_fp_ieee_invalid_op 0
		.amdhsa_exception_fp_denorm_src 0
		.amdhsa_exception_fp_ieee_div_zero 0
		.amdhsa_exception_fp_ieee_overflow 0
		.amdhsa_exception_fp_ieee_underflow 0
		.amdhsa_exception_fp_ieee_inexact 0
		.amdhsa_exception_int_div_zero 0
	.end_amdhsa_kernel
	.section	.text._ZN7rocprim17ROCPRIM_400000_NS6detail17trampoline_kernelINS0_13select_configILj256ELj13ELNS0_17block_load_methodE3ELS4_3ELS4_3ELNS0_20block_scan_algorithmE0ELj4294967295EEENS1_25partition_config_selectorILNS1_17partition_subalgoE4EjNS0_10empty_typeEbEEZZNS1_14partition_implILS8_4ELb0ES6_15HIP_vector_typeIjLj2EENS0_17counting_iteratorIjlEEPS9_SG_NS0_5tupleIJPjSI_NS0_16reverse_iteratorISI_EEEEENSH_IJSG_SG_SG_EEES9_SI_JZNS1_25segmented_radix_sort_implINS0_14default_configELb0EPKaPaPKlPlN2at6native12_GLOBAL__N_18offset_tEEE10hipError_tPvRmT1_PNSt15iterator_traitsIS12_E10value_typeET2_T3_PNS13_IS18_E10value_typeET4_jRbjT5_S1E_jjP12ihipStream_tbEUljE_ZNSN_ISO_Lb0ESQ_SR_ST_SU_SY_EESZ_S10_S11_S12_S16_S17_S18_S1B_S1C_jS1D_jS1E_S1E_jjS1G_bEUljE0_EEESZ_S10_S11_S18_S1C_S1E_T6_T7_T9_mT8_S1G_bDpT10_ENKUlT_T0_E_clISt17integral_constantIbLb1EES1T_IbLb0EEEEDaS1P_S1Q_EUlS1P_E_NS1_11comp_targetILNS1_3genE10ELNS1_11target_archE1200ELNS1_3gpuE4ELNS1_3repE0EEENS1_30default_config_static_selectorELNS0_4arch9wavefront6targetE0EEEvS12_,"axG",@progbits,_ZN7rocprim17ROCPRIM_400000_NS6detail17trampoline_kernelINS0_13select_configILj256ELj13ELNS0_17block_load_methodE3ELS4_3ELS4_3ELNS0_20block_scan_algorithmE0ELj4294967295EEENS1_25partition_config_selectorILNS1_17partition_subalgoE4EjNS0_10empty_typeEbEEZZNS1_14partition_implILS8_4ELb0ES6_15HIP_vector_typeIjLj2EENS0_17counting_iteratorIjlEEPS9_SG_NS0_5tupleIJPjSI_NS0_16reverse_iteratorISI_EEEEENSH_IJSG_SG_SG_EEES9_SI_JZNS1_25segmented_radix_sort_implINS0_14default_configELb0EPKaPaPKlPlN2at6native12_GLOBAL__N_18offset_tEEE10hipError_tPvRmT1_PNSt15iterator_traitsIS12_E10value_typeET2_T3_PNS13_IS18_E10value_typeET4_jRbjT5_S1E_jjP12ihipStream_tbEUljE_ZNSN_ISO_Lb0ESQ_SR_ST_SU_SY_EESZ_S10_S11_S12_S16_S17_S18_S1B_S1C_jS1D_jS1E_S1E_jjS1G_bEUljE0_EEESZ_S10_S11_S18_S1C_S1E_T6_T7_T9_mT8_S1G_bDpT10_ENKUlT_T0_E_clISt17integral_constantIbLb1EES1T_IbLb0EEEEDaS1P_S1Q_EUlS1P_E_NS1_11comp_targetILNS1_3genE10ELNS1_11target_archE1200ELNS1_3gpuE4ELNS1_3repE0EEENS1_30default_config_static_selectorELNS0_4arch9wavefront6targetE0EEEvS12_,comdat
.Lfunc_end350:
	.size	_ZN7rocprim17ROCPRIM_400000_NS6detail17trampoline_kernelINS0_13select_configILj256ELj13ELNS0_17block_load_methodE3ELS4_3ELS4_3ELNS0_20block_scan_algorithmE0ELj4294967295EEENS1_25partition_config_selectorILNS1_17partition_subalgoE4EjNS0_10empty_typeEbEEZZNS1_14partition_implILS8_4ELb0ES6_15HIP_vector_typeIjLj2EENS0_17counting_iteratorIjlEEPS9_SG_NS0_5tupleIJPjSI_NS0_16reverse_iteratorISI_EEEEENSH_IJSG_SG_SG_EEES9_SI_JZNS1_25segmented_radix_sort_implINS0_14default_configELb0EPKaPaPKlPlN2at6native12_GLOBAL__N_18offset_tEEE10hipError_tPvRmT1_PNSt15iterator_traitsIS12_E10value_typeET2_T3_PNS13_IS18_E10value_typeET4_jRbjT5_S1E_jjP12ihipStream_tbEUljE_ZNSN_ISO_Lb0ESQ_SR_ST_SU_SY_EESZ_S10_S11_S12_S16_S17_S18_S1B_S1C_jS1D_jS1E_S1E_jjS1G_bEUljE0_EEESZ_S10_S11_S18_S1C_S1E_T6_T7_T9_mT8_S1G_bDpT10_ENKUlT_T0_E_clISt17integral_constantIbLb1EES1T_IbLb0EEEEDaS1P_S1Q_EUlS1P_E_NS1_11comp_targetILNS1_3genE10ELNS1_11target_archE1200ELNS1_3gpuE4ELNS1_3repE0EEENS1_30default_config_static_selectorELNS0_4arch9wavefront6targetE0EEEvS12_, .Lfunc_end350-_ZN7rocprim17ROCPRIM_400000_NS6detail17trampoline_kernelINS0_13select_configILj256ELj13ELNS0_17block_load_methodE3ELS4_3ELS4_3ELNS0_20block_scan_algorithmE0ELj4294967295EEENS1_25partition_config_selectorILNS1_17partition_subalgoE4EjNS0_10empty_typeEbEEZZNS1_14partition_implILS8_4ELb0ES6_15HIP_vector_typeIjLj2EENS0_17counting_iteratorIjlEEPS9_SG_NS0_5tupleIJPjSI_NS0_16reverse_iteratorISI_EEEEENSH_IJSG_SG_SG_EEES9_SI_JZNS1_25segmented_radix_sort_implINS0_14default_configELb0EPKaPaPKlPlN2at6native12_GLOBAL__N_18offset_tEEE10hipError_tPvRmT1_PNSt15iterator_traitsIS12_E10value_typeET2_T3_PNS13_IS18_E10value_typeET4_jRbjT5_S1E_jjP12ihipStream_tbEUljE_ZNSN_ISO_Lb0ESQ_SR_ST_SU_SY_EESZ_S10_S11_S12_S16_S17_S18_S1B_S1C_jS1D_jS1E_S1E_jjS1G_bEUljE0_EEESZ_S10_S11_S18_S1C_S1E_T6_T7_T9_mT8_S1G_bDpT10_ENKUlT_T0_E_clISt17integral_constantIbLb1EES1T_IbLb0EEEEDaS1P_S1Q_EUlS1P_E_NS1_11comp_targetILNS1_3genE10ELNS1_11target_archE1200ELNS1_3gpuE4ELNS1_3repE0EEENS1_30default_config_static_selectorELNS0_4arch9wavefront6targetE0EEEvS12_
                                        ; -- End function
	.section	.AMDGPU.csdata,"",@progbits
; Kernel info:
; codeLenInByte = 0
; NumSgprs: 0
; NumVgprs: 0
; ScratchSize: 0
; MemoryBound: 0
; FloatMode: 240
; IeeeMode: 1
; LDSByteSize: 0 bytes/workgroup (compile time only)
; SGPRBlocks: 0
; VGPRBlocks: 0
; NumSGPRsForWavesPerEU: 1
; NumVGPRsForWavesPerEU: 1
; Occupancy: 16
; WaveLimiterHint : 0
; COMPUTE_PGM_RSRC2:SCRATCH_EN: 0
; COMPUTE_PGM_RSRC2:USER_SGPR: 15
; COMPUTE_PGM_RSRC2:TRAP_HANDLER: 0
; COMPUTE_PGM_RSRC2:TGID_X_EN: 1
; COMPUTE_PGM_RSRC2:TGID_Y_EN: 0
; COMPUTE_PGM_RSRC2:TGID_Z_EN: 0
; COMPUTE_PGM_RSRC2:TIDIG_COMP_CNT: 0
	.section	.text._ZN7rocprim17ROCPRIM_400000_NS6detail17trampoline_kernelINS0_13select_configILj256ELj13ELNS0_17block_load_methodE3ELS4_3ELS4_3ELNS0_20block_scan_algorithmE0ELj4294967295EEENS1_25partition_config_selectorILNS1_17partition_subalgoE4EjNS0_10empty_typeEbEEZZNS1_14partition_implILS8_4ELb0ES6_15HIP_vector_typeIjLj2EENS0_17counting_iteratorIjlEEPS9_SG_NS0_5tupleIJPjSI_NS0_16reverse_iteratorISI_EEEEENSH_IJSG_SG_SG_EEES9_SI_JZNS1_25segmented_radix_sort_implINS0_14default_configELb0EPKaPaPKlPlN2at6native12_GLOBAL__N_18offset_tEEE10hipError_tPvRmT1_PNSt15iterator_traitsIS12_E10value_typeET2_T3_PNS13_IS18_E10value_typeET4_jRbjT5_S1E_jjP12ihipStream_tbEUljE_ZNSN_ISO_Lb0ESQ_SR_ST_SU_SY_EESZ_S10_S11_S12_S16_S17_S18_S1B_S1C_jS1D_jS1E_S1E_jjS1G_bEUljE0_EEESZ_S10_S11_S18_S1C_S1E_T6_T7_T9_mT8_S1G_bDpT10_ENKUlT_T0_E_clISt17integral_constantIbLb1EES1T_IbLb0EEEEDaS1P_S1Q_EUlS1P_E_NS1_11comp_targetILNS1_3genE9ELNS1_11target_archE1100ELNS1_3gpuE3ELNS1_3repE0EEENS1_30default_config_static_selectorELNS0_4arch9wavefront6targetE0EEEvS12_,"axG",@progbits,_ZN7rocprim17ROCPRIM_400000_NS6detail17trampoline_kernelINS0_13select_configILj256ELj13ELNS0_17block_load_methodE3ELS4_3ELS4_3ELNS0_20block_scan_algorithmE0ELj4294967295EEENS1_25partition_config_selectorILNS1_17partition_subalgoE4EjNS0_10empty_typeEbEEZZNS1_14partition_implILS8_4ELb0ES6_15HIP_vector_typeIjLj2EENS0_17counting_iteratorIjlEEPS9_SG_NS0_5tupleIJPjSI_NS0_16reverse_iteratorISI_EEEEENSH_IJSG_SG_SG_EEES9_SI_JZNS1_25segmented_radix_sort_implINS0_14default_configELb0EPKaPaPKlPlN2at6native12_GLOBAL__N_18offset_tEEE10hipError_tPvRmT1_PNSt15iterator_traitsIS12_E10value_typeET2_T3_PNS13_IS18_E10value_typeET4_jRbjT5_S1E_jjP12ihipStream_tbEUljE_ZNSN_ISO_Lb0ESQ_SR_ST_SU_SY_EESZ_S10_S11_S12_S16_S17_S18_S1B_S1C_jS1D_jS1E_S1E_jjS1G_bEUljE0_EEESZ_S10_S11_S18_S1C_S1E_T6_T7_T9_mT8_S1G_bDpT10_ENKUlT_T0_E_clISt17integral_constantIbLb1EES1T_IbLb0EEEEDaS1P_S1Q_EUlS1P_E_NS1_11comp_targetILNS1_3genE9ELNS1_11target_archE1100ELNS1_3gpuE3ELNS1_3repE0EEENS1_30default_config_static_selectorELNS0_4arch9wavefront6targetE0EEEvS12_,comdat
	.globl	_ZN7rocprim17ROCPRIM_400000_NS6detail17trampoline_kernelINS0_13select_configILj256ELj13ELNS0_17block_load_methodE3ELS4_3ELS4_3ELNS0_20block_scan_algorithmE0ELj4294967295EEENS1_25partition_config_selectorILNS1_17partition_subalgoE4EjNS0_10empty_typeEbEEZZNS1_14partition_implILS8_4ELb0ES6_15HIP_vector_typeIjLj2EENS0_17counting_iteratorIjlEEPS9_SG_NS0_5tupleIJPjSI_NS0_16reverse_iteratorISI_EEEEENSH_IJSG_SG_SG_EEES9_SI_JZNS1_25segmented_radix_sort_implINS0_14default_configELb0EPKaPaPKlPlN2at6native12_GLOBAL__N_18offset_tEEE10hipError_tPvRmT1_PNSt15iterator_traitsIS12_E10value_typeET2_T3_PNS13_IS18_E10value_typeET4_jRbjT5_S1E_jjP12ihipStream_tbEUljE_ZNSN_ISO_Lb0ESQ_SR_ST_SU_SY_EESZ_S10_S11_S12_S16_S17_S18_S1B_S1C_jS1D_jS1E_S1E_jjS1G_bEUljE0_EEESZ_S10_S11_S18_S1C_S1E_T6_T7_T9_mT8_S1G_bDpT10_ENKUlT_T0_E_clISt17integral_constantIbLb1EES1T_IbLb0EEEEDaS1P_S1Q_EUlS1P_E_NS1_11comp_targetILNS1_3genE9ELNS1_11target_archE1100ELNS1_3gpuE3ELNS1_3repE0EEENS1_30default_config_static_selectorELNS0_4arch9wavefront6targetE0EEEvS12_ ; -- Begin function _ZN7rocprim17ROCPRIM_400000_NS6detail17trampoline_kernelINS0_13select_configILj256ELj13ELNS0_17block_load_methodE3ELS4_3ELS4_3ELNS0_20block_scan_algorithmE0ELj4294967295EEENS1_25partition_config_selectorILNS1_17partition_subalgoE4EjNS0_10empty_typeEbEEZZNS1_14partition_implILS8_4ELb0ES6_15HIP_vector_typeIjLj2EENS0_17counting_iteratorIjlEEPS9_SG_NS0_5tupleIJPjSI_NS0_16reverse_iteratorISI_EEEEENSH_IJSG_SG_SG_EEES9_SI_JZNS1_25segmented_radix_sort_implINS0_14default_configELb0EPKaPaPKlPlN2at6native12_GLOBAL__N_18offset_tEEE10hipError_tPvRmT1_PNSt15iterator_traitsIS12_E10value_typeET2_T3_PNS13_IS18_E10value_typeET4_jRbjT5_S1E_jjP12ihipStream_tbEUljE_ZNSN_ISO_Lb0ESQ_SR_ST_SU_SY_EESZ_S10_S11_S12_S16_S17_S18_S1B_S1C_jS1D_jS1E_S1E_jjS1G_bEUljE0_EEESZ_S10_S11_S18_S1C_S1E_T6_T7_T9_mT8_S1G_bDpT10_ENKUlT_T0_E_clISt17integral_constantIbLb1EES1T_IbLb0EEEEDaS1P_S1Q_EUlS1P_E_NS1_11comp_targetILNS1_3genE9ELNS1_11target_archE1100ELNS1_3gpuE3ELNS1_3repE0EEENS1_30default_config_static_selectorELNS0_4arch9wavefront6targetE0EEEvS12_
	.p2align	8
	.type	_ZN7rocprim17ROCPRIM_400000_NS6detail17trampoline_kernelINS0_13select_configILj256ELj13ELNS0_17block_load_methodE3ELS4_3ELS4_3ELNS0_20block_scan_algorithmE0ELj4294967295EEENS1_25partition_config_selectorILNS1_17partition_subalgoE4EjNS0_10empty_typeEbEEZZNS1_14partition_implILS8_4ELb0ES6_15HIP_vector_typeIjLj2EENS0_17counting_iteratorIjlEEPS9_SG_NS0_5tupleIJPjSI_NS0_16reverse_iteratorISI_EEEEENSH_IJSG_SG_SG_EEES9_SI_JZNS1_25segmented_radix_sort_implINS0_14default_configELb0EPKaPaPKlPlN2at6native12_GLOBAL__N_18offset_tEEE10hipError_tPvRmT1_PNSt15iterator_traitsIS12_E10value_typeET2_T3_PNS13_IS18_E10value_typeET4_jRbjT5_S1E_jjP12ihipStream_tbEUljE_ZNSN_ISO_Lb0ESQ_SR_ST_SU_SY_EESZ_S10_S11_S12_S16_S17_S18_S1B_S1C_jS1D_jS1E_S1E_jjS1G_bEUljE0_EEESZ_S10_S11_S18_S1C_S1E_T6_T7_T9_mT8_S1G_bDpT10_ENKUlT_T0_E_clISt17integral_constantIbLb1EES1T_IbLb0EEEEDaS1P_S1Q_EUlS1P_E_NS1_11comp_targetILNS1_3genE9ELNS1_11target_archE1100ELNS1_3gpuE3ELNS1_3repE0EEENS1_30default_config_static_selectorELNS0_4arch9wavefront6targetE0EEEvS12_,@function
_ZN7rocprim17ROCPRIM_400000_NS6detail17trampoline_kernelINS0_13select_configILj256ELj13ELNS0_17block_load_methodE3ELS4_3ELS4_3ELNS0_20block_scan_algorithmE0ELj4294967295EEENS1_25partition_config_selectorILNS1_17partition_subalgoE4EjNS0_10empty_typeEbEEZZNS1_14partition_implILS8_4ELb0ES6_15HIP_vector_typeIjLj2EENS0_17counting_iteratorIjlEEPS9_SG_NS0_5tupleIJPjSI_NS0_16reverse_iteratorISI_EEEEENSH_IJSG_SG_SG_EEES9_SI_JZNS1_25segmented_radix_sort_implINS0_14default_configELb0EPKaPaPKlPlN2at6native12_GLOBAL__N_18offset_tEEE10hipError_tPvRmT1_PNSt15iterator_traitsIS12_E10value_typeET2_T3_PNS13_IS18_E10value_typeET4_jRbjT5_S1E_jjP12ihipStream_tbEUljE_ZNSN_ISO_Lb0ESQ_SR_ST_SU_SY_EESZ_S10_S11_S12_S16_S17_S18_S1B_S1C_jS1D_jS1E_S1E_jjS1G_bEUljE0_EEESZ_S10_S11_S18_S1C_S1E_T6_T7_T9_mT8_S1G_bDpT10_ENKUlT_T0_E_clISt17integral_constantIbLb1EES1T_IbLb0EEEEDaS1P_S1Q_EUlS1P_E_NS1_11comp_targetILNS1_3genE9ELNS1_11target_archE1100ELNS1_3gpuE3ELNS1_3repE0EEENS1_30default_config_static_selectorELNS0_4arch9wavefront6targetE0EEEvS12_: ; @_ZN7rocprim17ROCPRIM_400000_NS6detail17trampoline_kernelINS0_13select_configILj256ELj13ELNS0_17block_load_methodE3ELS4_3ELS4_3ELNS0_20block_scan_algorithmE0ELj4294967295EEENS1_25partition_config_selectorILNS1_17partition_subalgoE4EjNS0_10empty_typeEbEEZZNS1_14partition_implILS8_4ELb0ES6_15HIP_vector_typeIjLj2EENS0_17counting_iteratorIjlEEPS9_SG_NS0_5tupleIJPjSI_NS0_16reverse_iteratorISI_EEEEENSH_IJSG_SG_SG_EEES9_SI_JZNS1_25segmented_radix_sort_implINS0_14default_configELb0EPKaPaPKlPlN2at6native12_GLOBAL__N_18offset_tEEE10hipError_tPvRmT1_PNSt15iterator_traitsIS12_E10value_typeET2_T3_PNS13_IS18_E10value_typeET4_jRbjT5_S1E_jjP12ihipStream_tbEUljE_ZNSN_ISO_Lb0ESQ_SR_ST_SU_SY_EESZ_S10_S11_S12_S16_S17_S18_S1B_S1C_jS1D_jS1E_S1E_jjS1G_bEUljE0_EEESZ_S10_S11_S18_S1C_S1E_T6_T7_T9_mT8_S1G_bDpT10_ENKUlT_T0_E_clISt17integral_constantIbLb1EES1T_IbLb0EEEEDaS1P_S1Q_EUlS1P_E_NS1_11comp_targetILNS1_3genE9ELNS1_11target_archE1100ELNS1_3gpuE3ELNS1_3repE0EEENS1_30default_config_static_selectorELNS0_4arch9wavefront6targetE0EEEvS12_
; %bb.0:
	s_clause 0x6
	s_load_b32 s5, s[0:1], 0x80
	s_load_b64 s[34:35], s[0:1], 0x10
	s_load_b64 s[2:3], s[0:1], 0x68
	s_load_b32 s8, s[0:1], 0x8
	s_load_b128 s[24:27], s[0:1], 0x58
	s_load_b64 s[40:41], s[0:1], 0xa8
	s_load_b256 s[16:23], s[0:1], 0x88
	s_mul_i32 s33, s15, 0xd00
	s_waitcnt lgkmcnt(0)
	s_mul_i32 s4, s5, 0xd00
	s_add_i32 s5, s5, -1
	s_add_u32 s6, s34, s4
	s_addc_u32 s7, s35, 0
	s_load_b128 s[28:31], s[26:27], 0x0
	s_cmp_eq_u32 s15, s5
	v_cmp_lt_u64_e64 s3, s[6:7], s[2:3]
	s_cselect_b32 s14, -1, 0
	s_cmp_lg_u32 s15, s5
	s_cselect_b32 s5, -1, 0
	s_add_i32 s6, s8, s33
	s_delay_alu instid0(VALU_DEP_1) | instskip(SKIP_4) | instid1(VALU_DEP_1)
	s_or_b32 s3, s5, s3
	s_add_i32 s6, s6, s34
	s_and_b32 vcc_lo, exec_lo, s3
	v_add_nc_u32_e32 v1, s6, v0
	s_mov_b32 s5, -1
	v_add_nc_u32_e32 v2, 0x100, v1
	v_add_nc_u32_e32 v3, 0x200, v1
	v_add_nc_u32_e32 v4, 0x300, v1
	v_add_nc_u32_e32 v5, 0x400, v1
	v_add_nc_u32_e32 v6, 0x500, v1
	v_add_nc_u32_e32 v7, 0x600, v1
	v_add_nc_u32_e32 v8, 0x700, v1
	v_add_nc_u32_e32 v9, 0x800, v1
	v_add_nc_u32_e32 v10, 0x900, v1
	v_add_nc_u32_e32 v11, 0xa00, v1
	v_add_nc_u32_e32 v12, 0xb00, v1
	v_add_nc_u32_e32 v13, 0xc00, v1
	s_cbranch_vccz .LBB351_2
; %bb.1:
	v_lshlrev_b32_e32 v14, 2, v0
	s_mov_b32 s5, 0
	ds_store_2addr_stride64_b32 v14, v1, v2 offset1:4
	ds_store_2addr_stride64_b32 v14, v3, v4 offset0:8 offset1:12
	ds_store_2addr_stride64_b32 v14, v5, v6 offset0:16 offset1:20
	;; [unrolled: 1-line block ×5, first 2 shown]
	ds_store_b32 v14, v13 offset:12288
	s_waitcnt lgkmcnt(0)
	s_barrier
.LBB351_2:
	s_and_not1_b32 vcc_lo, exec_lo, s5
	s_add_i32 s4, s4, s34
	s_cbranch_vccnz .LBB351_4
; %bb.3:
	v_lshlrev_b32_e32 v14, 2, v0
	ds_store_2addr_stride64_b32 v14, v1, v2 offset1:4
	ds_store_2addr_stride64_b32 v14, v3, v4 offset0:8 offset1:12
	ds_store_2addr_stride64_b32 v14, v5, v6 offset0:16 offset1:20
	;; [unrolled: 1-line block ×5, first 2 shown]
	ds_store_b32 v14, v13 offset:12288
	s_waitcnt lgkmcnt(0)
	s_barrier
.LBB351_4:
	v_mul_u32_u24_e32 v28, 13, v0
	s_clause 0x1
	s_load_b128 s[36:39], s[0:1], 0x28
	s_load_b64 s[26:27], s[0:1], 0x38
	s_waitcnt lgkmcnt(0)
	buffer_gl0_inv
	v_cndmask_b32_e64 v26, 0, 1, s3
	s_sub_i32 s44, s2, s4
	v_lshlrev_b32_e32 v1, 2, v28
	s_and_not1_b32 vcc_lo, exec_lo, s3
	ds_load_2addr_b32 v[16:17], v1 offset1:1
	ds_load_2addr_b32 v[14:15], v1 offset0:2 offset1:3
	ds_load_2addr_b32 v[12:13], v1 offset0:4 offset1:5
	;; [unrolled: 1-line block ×5, first 2 shown]
	ds_load_b32 v27, v1 offset:48
	s_waitcnt lgkmcnt(0)
	s_barrier
	buffer_gl0_inv
	s_cbranch_vccnz .LBB351_32
; %bb.5:
	v_add_nc_u32_e32 v1, s17, v16
	v_add_nc_u32_e32 v2, s19, v16
	s_mov_b32 s46, 0
	s_mov_b32 s45, 0
	s_mov_b32 s3, exec_lo
	v_mul_lo_u32 v1, v1, s16
	v_mul_lo_u32 v2, v2, s18
	s_delay_alu instid0(VALU_DEP_1) | instskip(NEXT) | instid1(VALU_DEP_1)
	v_sub_nc_u32_e32 v1, v1, v2
	v_cmp_lt_u32_e32 vcc_lo, s20, v1
	v_cmpx_ge_u32_e64 s20, v1
; %bb.6:
	v_add_nc_u32_e32 v1, s22, v16
	v_add_nc_u32_e32 v2, s40, v16
	s_delay_alu instid0(VALU_DEP_2) | instskip(NEXT) | instid1(VALU_DEP_2)
	v_mul_lo_u32 v1, v1, s21
	v_mul_lo_u32 v2, v2, s23
	s_delay_alu instid0(VALU_DEP_1) | instskip(NEXT) | instid1(VALU_DEP_1)
	v_sub_nc_u32_e32 v1, v1, v2
	v_cmp_lt_u32_e64 s2, s41, v1
	s_delay_alu instid0(VALU_DEP_1)
	s_and_b32 s45, s2, exec_lo
; %bb.7:
	s_or_b32 exec_lo, exec_lo, s3
	v_add_nc_u32_e32 v1, s17, v17
	v_add_nc_u32_e32 v2, s19, v17
	s_mov_b32 s4, exec_lo
	s_delay_alu instid0(VALU_DEP_2) | instskip(NEXT) | instid1(VALU_DEP_2)
	v_mul_lo_u32 v1, v1, s16
	v_mul_lo_u32 v2, v2, s18
	s_delay_alu instid0(VALU_DEP_1) | instskip(NEXT) | instid1(VALU_DEP_1)
	v_sub_nc_u32_e32 v1, v1, v2
	v_cmp_lt_u32_e64 s2, s20, v1
	v_cmpx_ge_u32_e64 s20, v1
; %bb.8:
	v_add_nc_u32_e32 v1, s22, v17
	v_add_nc_u32_e32 v2, s40, v17
	s_delay_alu instid0(VALU_DEP_2) | instskip(NEXT) | instid1(VALU_DEP_2)
	v_mul_lo_u32 v1, v1, s21
	v_mul_lo_u32 v2, v2, s23
	s_delay_alu instid0(VALU_DEP_1) | instskip(NEXT) | instid1(VALU_DEP_1)
	v_sub_nc_u32_e32 v1, v1, v2
	v_cmp_lt_u32_e64 s3, s41, v1
	s_delay_alu instid0(VALU_DEP_1)
	s_and_b32 s46, s3, exec_lo
; %bb.9:
	s_or_b32 exec_lo, exec_lo, s4
	v_add_nc_u32_e32 v1, s17, v14
	v_add_nc_u32_e32 v2, s19, v14
	s_mov_b32 s48, 0
	s_mov_b32 s47, 0
	s_mov_b32 s5, exec_lo
	v_mul_lo_u32 v1, v1, s16
	v_mul_lo_u32 v2, v2, s18
	s_delay_alu instid0(VALU_DEP_1) | instskip(NEXT) | instid1(VALU_DEP_1)
	v_sub_nc_u32_e32 v1, v1, v2
	v_cmp_lt_u32_e64 s3, s20, v1
	v_cmpx_ge_u32_e64 s20, v1
; %bb.10:
	v_add_nc_u32_e32 v1, s22, v14
	v_add_nc_u32_e32 v2, s40, v14
	s_delay_alu instid0(VALU_DEP_2) | instskip(NEXT) | instid1(VALU_DEP_2)
	v_mul_lo_u32 v1, v1, s21
	v_mul_lo_u32 v2, v2, s23
	s_delay_alu instid0(VALU_DEP_1) | instskip(NEXT) | instid1(VALU_DEP_1)
	v_sub_nc_u32_e32 v1, v1, v2
	v_cmp_lt_u32_e64 s4, s41, v1
	s_delay_alu instid0(VALU_DEP_1)
	s_and_b32 s47, s4, exec_lo
; %bb.11:
	s_or_b32 exec_lo, exec_lo, s5
	v_add_nc_u32_e32 v1, s17, v15
	v_add_nc_u32_e32 v2, s19, v15
	s_mov_b32 s6, exec_lo
	s_delay_alu instid0(VALU_DEP_2) | instskip(NEXT) | instid1(VALU_DEP_2)
	v_mul_lo_u32 v1, v1, s16
	v_mul_lo_u32 v2, v2, s18
	s_delay_alu instid0(VALU_DEP_1) | instskip(NEXT) | instid1(VALU_DEP_1)
	v_sub_nc_u32_e32 v1, v1, v2
	v_cmp_lt_u32_e64 s4, s20, v1
	v_cmpx_ge_u32_e64 s20, v1
; %bb.12:
	v_add_nc_u32_e32 v1, s22, v15
	v_add_nc_u32_e32 v2, s40, v15
	s_delay_alu instid0(VALU_DEP_2) | instskip(NEXT) | instid1(VALU_DEP_2)
	v_mul_lo_u32 v1, v1, s21
	v_mul_lo_u32 v2, v2, s23
	s_delay_alu instid0(VALU_DEP_1) | instskip(NEXT) | instid1(VALU_DEP_1)
	v_sub_nc_u32_e32 v1, v1, v2
	v_cmp_lt_u32_e64 s5, s41, v1
	s_delay_alu instid0(VALU_DEP_1)
	s_and_b32 s48, s5, exec_lo
; %bb.13:
	s_or_b32 exec_lo, exec_lo, s6
	v_add_nc_u32_e32 v1, s17, v12
	v_add_nc_u32_e32 v2, s19, v12
	s_mov_b32 s50, 0
	s_mov_b32 s49, 0
	s_mov_b32 s7, exec_lo
	v_mul_lo_u32 v1, v1, s16
	v_mul_lo_u32 v2, v2, s18
	s_delay_alu instid0(VALU_DEP_1) | instskip(NEXT) | instid1(VALU_DEP_1)
	v_sub_nc_u32_e32 v1, v1, v2
	v_cmp_lt_u32_e64 s5, s20, v1
	;; [unrolled: 47-line block ×5, first 2 shown]
	v_cmpx_ge_u32_e64 s20, v1
; %bb.26:
	v_add_nc_u32_e32 v1, s22, v6
	v_add_nc_u32_e32 v2, s40, v6
	s_delay_alu instid0(VALU_DEP_2) | instskip(NEXT) | instid1(VALU_DEP_2)
	v_mul_lo_u32 v1, v1, s21
	v_mul_lo_u32 v2, v2, s23
	s_delay_alu instid0(VALU_DEP_1) | instskip(NEXT) | instid1(VALU_DEP_1)
	v_sub_nc_u32_e32 v1, v1, v2
	v_cmp_lt_u32_e64 s12, s41, v1
	s_delay_alu instid0(VALU_DEP_1)
	s_and_b32 s57, s12, exec_lo
; %bb.27:
	s_or_b32 exec_lo, exec_lo, s13
	v_add_nc_u32_e32 v1, s17, v7
	v_add_nc_u32_e32 v2, s19, v7
	s_mov_b32 s42, exec_lo
	s_delay_alu instid0(VALU_DEP_2) | instskip(NEXT) | instid1(VALU_DEP_2)
	v_mul_lo_u32 v1, v1, s16
	v_mul_lo_u32 v2, v2, s18
	s_delay_alu instid0(VALU_DEP_1) | instskip(NEXT) | instid1(VALU_DEP_1)
	v_sub_nc_u32_e32 v1, v1, v2
	v_cmp_lt_u32_e64 s12, s20, v1
	v_cmpx_ge_u32_e64 s20, v1
; %bb.28:
	v_add_nc_u32_e32 v1, s22, v7
	v_add_nc_u32_e32 v2, s40, v7
	s_delay_alu instid0(VALU_DEP_2) | instskip(NEXT) | instid1(VALU_DEP_2)
	v_mul_lo_u32 v1, v1, s21
	v_mul_lo_u32 v2, v2, s23
	s_delay_alu instid0(VALU_DEP_1) | instskip(NEXT) | instid1(VALU_DEP_1)
	v_sub_nc_u32_e32 v1, v1, v2
	v_cmp_lt_u32_e64 s13, s41, v1
	s_delay_alu instid0(VALU_DEP_1)
	s_and_b32 s56, s13, exec_lo
; %bb.29:
	s_or_b32 exec_lo, exec_lo, s42
	v_add_nc_u32_e32 v1, s17, v27
	v_add_nc_u32_e32 v2, s19, v27
	s_mov_b32 s42, -1
	s_mov_b32 s53, 0
	s_mov_b32 s43, 0
	v_mul_lo_u32 v1, v1, s16
	v_mul_lo_u32 v2, v2, s18
	s_mov_b32 s58, exec_lo
	s_delay_alu instid0(VALU_DEP_1) | instskip(NEXT) | instid1(VALU_DEP_1)
	v_sub_nc_u32_e32 v1, v1, v2
	v_cmpx_ge_u32_e64 s20, v1
; %bb.30:
	v_add_nc_u32_e32 v1, s22, v27
	v_add_nc_u32_e32 v2, s40, v27
	s_xor_b32 s42, exec_lo, -1
	s_delay_alu instid0(VALU_DEP_2) | instskip(NEXT) | instid1(VALU_DEP_2)
	v_mul_lo_u32 v1, v1, s21
	v_mul_lo_u32 v2, v2, s23
	s_delay_alu instid0(VALU_DEP_1) | instskip(NEXT) | instid1(VALU_DEP_1)
	v_sub_nc_u32_e32 v1, v1, v2
	v_cmp_lt_u32_e64 s13, s41, v1
	s_delay_alu instid0(VALU_DEP_1)
	s_and_b32 s43, s13, exec_lo
; %bb.31:
	s_or_b32 exec_lo, exec_lo, s58
	v_cndmask_b32_e64 v48, 0, 1, s57
	v_cndmask_b32_e64 v51, 0, 1, s12
	;; [unrolled: 1-line block ×22, first 2 shown]
	v_cndmask_b32_e64 v29, 0, 1, vcc_lo
	v_cndmask_b32_e64 v52, 0, 1, s56
	s_load_b64 s[4:5], s[0:1], 0x78
	s_and_b32 vcc_lo, exec_lo, s53
	s_add_i32 s3, s44, 0xd00
	s_cbranch_vccnz .LBB351_33
	s_branch .LBB351_86
.LBB351_32:
                                        ; implicit-def: $sgpr42
                                        ; implicit-def: $sgpr43
                                        ; implicit-def: $vgpr52
                                        ; implicit-def: $vgpr48
                                        ; implicit-def: $vgpr47
                                        ; implicit-def: $vgpr45
                                        ; implicit-def: $vgpr43
                                        ; implicit-def: $vgpr40
                                        ; implicit-def: $vgpr39
                                        ; implicit-def: $vgpr37
                                        ; implicit-def: $vgpr35
                                        ; implicit-def: $vgpr29
                                        ; implicit-def: $vgpr33
                                        ; implicit-def: $vgpr31
                                        ; implicit-def: $vgpr32
                                        ; implicit-def: $vgpr38
                                        ; implicit-def: $vgpr41
                                        ; implicit-def: $vgpr42
                                        ; implicit-def: $vgpr44
                                        ; implicit-def: $vgpr46
                                        ; implicit-def: $vgpr49
                                        ; implicit-def: $vgpr50
                                        ; implicit-def: $vgpr51
                                        ; implicit-def: $vgpr30
                                        ; implicit-def: $vgpr34
                                        ; implicit-def: $vgpr36
	s_load_b64 s[4:5], s[0:1], 0x78
	s_add_i32 s3, s44, 0xd00
	s_cbranch_execz .LBB351_86
.LBB351_33:
	v_dual_mov_b32 v30, 0 :: v_dual_mov_b32 v29, 0
	s_mov_b32 s2, 0
	s_mov_b32 s1, exec_lo
	v_cmpx_gt_u32_e64 s3, v28
	s_cbranch_execz .LBB351_37
; %bb.34:
	v_add_nc_u32_e32 v1, s17, v16
	v_add_nc_u32_e32 v2, s19, v16
	s_mov_b32 s6, exec_lo
	s_delay_alu instid0(VALU_DEP_2) | instskip(NEXT) | instid1(VALU_DEP_2)
	v_mul_lo_u32 v1, v1, s16
	v_mul_lo_u32 v2, v2, s18
	s_delay_alu instid0(VALU_DEP_1) | instskip(NEXT) | instid1(VALU_DEP_1)
	v_sub_nc_u32_e32 v1, v1, v2
	v_cmp_lt_u32_e32 vcc_lo, s20, v1
	v_cmpx_ge_u32_e64 s20, v1
; %bb.35:
	v_add_nc_u32_e32 v1, s22, v16
	v_add_nc_u32_e32 v2, s40, v16
	s_delay_alu instid0(VALU_DEP_2) | instskip(NEXT) | instid1(VALU_DEP_2)
	v_mul_lo_u32 v1, v1, s21
	v_mul_lo_u32 v2, v2, s23
	s_delay_alu instid0(VALU_DEP_1) | instskip(NEXT) | instid1(VALU_DEP_1)
	v_sub_nc_u32_e32 v1, v1, v2
	v_cmp_lt_u32_e64 s0, s41, v1
	s_delay_alu instid0(VALU_DEP_1)
	s_and_b32 s2, s0, exec_lo
; %bb.36:
	s_or_b32 exec_lo, exec_lo, s6
	v_cndmask_b32_e64 v29, 0, 1, vcc_lo
	v_cndmask_b32_e64 v30, 0, 1, s2
.LBB351_37:
	s_or_b32 exec_lo, exec_lo, s1
	v_dual_mov_b32 v34, 0 :: v_dual_add_nc_u32 v1, 1, v28
	v_mov_b32_e32 v33, 0
	s_mov_b32 s2, 0
	s_mov_b32 s1, exec_lo
	s_delay_alu instid0(VALU_DEP_2)
	v_cmpx_gt_u32_e64 s3, v1
	s_cbranch_execz .LBB351_41
; %bb.38:
	v_add_nc_u32_e32 v1, s17, v17
	v_add_nc_u32_e32 v2, s19, v17
	s_mov_b32 s6, exec_lo
	s_delay_alu instid0(VALU_DEP_2) | instskip(NEXT) | instid1(VALU_DEP_2)
	v_mul_lo_u32 v1, v1, s16
	v_mul_lo_u32 v2, v2, s18
	s_delay_alu instid0(VALU_DEP_1) | instskip(NEXT) | instid1(VALU_DEP_1)
	v_sub_nc_u32_e32 v1, v1, v2
	v_cmp_lt_u32_e32 vcc_lo, s20, v1
	v_cmpx_ge_u32_e64 s20, v1
; %bb.39:
	v_add_nc_u32_e32 v1, s22, v17
	v_add_nc_u32_e32 v2, s40, v17
	s_delay_alu instid0(VALU_DEP_2) | instskip(NEXT) | instid1(VALU_DEP_2)
	v_mul_lo_u32 v1, v1, s21
	v_mul_lo_u32 v2, v2, s23
	s_delay_alu instid0(VALU_DEP_1) | instskip(NEXT) | instid1(VALU_DEP_1)
	v_sub_nc_u32_e32 v1, v1, v2
	v_cmp_lt_u32_e64 s0, s41, v1
	s_delay_alu instid0(VALU_DEP_1)
	s_and_b32 s2, s0, exec_lo
; %bb.40:
	s_or_b32 exec_lo, exec_lo, s6
	v_cndmask_b32_e64 v33, 0, 1, vcc_lo
	v_cndmask_b32_e64 v34, 0, 1, s2
.LBB351_41:
	s_or_b32 exec_lo, exec_lo, s1
	v_dual_mov_b32 v36, 0 :: v_dual_add_nc_u32 v1, 2, v28
	v_mov_b32_e32 v31, 0
	s_mov_b32 s2, 0
	s_mov_b32 s1, exec_lo
	s_delay_alu instid0(VALU_DEP_2)
	;; [unrolled: 35-line block ×4, first 2 shown]
	v_cmpx_gt_u32_e64 s3, v1
	s_cbranch_execz .LBB351_53
; %bb.50:
	v_add_nc_u32_e32 v1, s17, v12
	v_add_nc_u32_e32 v2, s19, v12
	s_mov_b32 s6, exec_lo
	s_delay_alu instid0(VALU_DEP_2) | instskip(NEXT) | instid1(VALU_DEP_2)
	v_mul_lo_u32 v1, v1, s16
	v_mul_lo_u32 v2, v2, s18
	s_delay_alu instid0(VALU_DEP_1) | instskip(NEXT) | instid1(VALU_DEP_1)
	v_sub_nc_u32_e32 v1, v1, v2
	v_cmp_lt_u32_e32 vcc_lo, s20, v1
	v_cmpx_ge_u32_e64 s20, v1
; %bb.51:
	v_add_nc_u32_e32 v1, s22, v12
	v_add_nc_u32_e32 v2, s40, v12
	s_delay_alu instid0(VALU_DEP_2) | instskip(NEXT) | instid1(VALU_DEP_2)
	v_mul_lo_u32 v1, v1, s21
	v_mul_lo_u32 v2, v2, s23
	s_delay_alu instid0(VALU_DEP_1) | instskip(NEXT) | instid1(VALU_DEP_1)
	v_sub_nc_u32_e32 v1, v1, v2
	v_cmp_lt_u32_e64 s0, s41, v1
	s_delay_alu instid0(VALU_DEP_1)
	s_and_b32 s2, s0, exec_lo
; %bb.52:
	s_or_b32 exec_lo, exec_lo, s6
	v_cndmask_b32_e64 v38, 0, 1, vcc_lo
	v_cndmask_b32_e64 v37, 0, 1, s2
.LBB351_53:
	s_or_b32 exec_lo, exec_lo, s1
	v_add_nc_u32_e32 v1, 5, v28
	v_mov_b32_e32 v39, 0
	v_mov_b32_e32 v41, 0
	s_mov_b32 s2, 0
	s_mov_b32 s1, exec_lo
	v_cmpx_gt_u32_e64 s3, v1
	s_cbranch_execz .LBB351_57
; %bb.54:
	v_add_nc_u32_e32 v1, s17, v13
	v_add_nc_u32_e32 v2, s19, v13
	s_mov_b32 s6, exec_lo
	s_delay_alu instid0(VALU_DEP_2) | instskip(NEXT) | instid1(VALU_DEP_2)
	v_mul_lo_u32 v1, v1, s16
	v_mul_lo_u32 v2, v2, s18
	s_delay_alu instid0(VALU_DEP_1) | instskip(NEXT) | instid1(VALU_DEP_1)
	v_sub_nc_u32_e32 v1, v1, v2
	v_cmp_lt_u32_e32 vcc_lo, s20, v1
	v_cmpx_ge_u32_e64 s20, v1
; %bb.55:
	v_add_nc_u32_e32 v1, s22, v13
	v_add_nc_u32_e32 v2, s40, v13
	s_delay_alu instid0(VALU_DEP_2) | instskip(NEXT) | instid1(VALU_DEP_2)
	v_mul_lo_u32 v1, v1, s21
	v_mul_lo_u32 v2, v2, s23
	s_delay_alu instid0(VALU_DEP_1) | instskip(NEXT) | instid1(VALU_DEP_1)
	v_sub_nc_u32_e32 v1, v1, v2
	v_cmp_lt_u32_e64 s0, s41, v1
	s_delay_alu instid0(VALU_DEP_1)
	s_and_b32 s2, s0, exec_lo
; %bb.56:
	s_or_b32 exec_lo, exec_lo, s6
	v_cndmask_b32_e64 v41, 0, 1, vcc_lo
	v_cndmask_b32_e64 v39, 0, 1, s2
.LBB351_57:
	s_or_b32 exec_lo, exec_lo, s1
	v_dual_mov_b32 v40, 0 :: v_dual_add_nc_u32 v1, 6, v28
	v_mov_b32_e32 v42, 0
	s_mov_b32 s2, 0
	s_mov_b32 s1, exec_lo
	s_delay_alu instid0(VALU_DEP_2)
	v_cmpx_gt_u32_e64 s3, v1
	s_cbranch_execz .LBB351_61
; %bb.58:
	v_add_nc_u32_e32 v1, s17, v10
	v_add_nc_u32_e32 v2, s19, v10
	s_mov_b32 s6, exec_lo
	s_delay_alu instid0(VALU_DEP_2) | instskip(NEXT) | instid1(VALU_DEP_2)
	v_mul_lo_u32 v1, v1, s16
	v_mul_lo_u32 v2, v2, s18
	s_delay_alu instid0(VALU_DEP_1) | instskip(NEXT) | instid1(VALU_DEP_1)
	v_sub_nc_u32_e32 v1, v1, v2
	v_cmp_lt_u32_e32 vcc_lo, s20, v1
	v_cmpx_ge_u32_e64 s20, v1
; %bb.59:
	v_add_nc_u32_e32 v1, s22, v10
	v_add_nc_u32_e32 v2, s40, v10
	s_delay_alu instid0(VALU_DEP_2) | instskip(NEXT) | instid1(VALU_DEP_2)
	v_mul_lo_u32 v1, v1, s21
	v_mul_lo_u32 v2, v2, s23
	s_delay_alu instid0(VALU_DEP_1) | instskip(NEXT) | instid1(VALU_DEP_1)
	v_sub_nc_u32_e32 v1, v1, v2
	v_cmp_lt_u32_e64 s0, s41, v1
	s_delay_alu instid0(VALU_DEP_1)
	s_and_b32 s2, s0, exec_lo
; %bb.60:
	s_or_b32 exec_lo, exec_lo, s6
	v_cndmask_b32_e64 v42, 0, 1, vcc_lo
	v_cndmask_b32_e64 v40, 0, 1, s2
.LBB351_61:
	s_or_b32 exec_lo, exec_lo, s1
	v_dual_mov_b32 v44, 0 :: v_dual_add_nc_u32 v1, 7, v28
	v_mov_b32_e32 v43, 0
	s_mov_b32 s2, 0
	s_mov_b32 s1, exec_lo
	s_delay_alu instid0(VALU_DEP_2)
	;; [unrolled: 35-line block ×3, first 2 shown]
	v_cmpx_gt_u32_e64 s3, v1
	s_cbranch_execz .LBB351_69
; %bb.66:
	v_add_nc_u32_e32 v1, s17, v8
	v_add_nc_u32_e32 v2, s19, v8
	s_mov_b32 s6, exec_lo
	s_delay_alu instid0(VALU_DEP_2) | instskip(NEXT) | instid1(VALU_DEP_2)
	v_mul_lo_u32 v1, v1, s16
	v_mul_lo_u32 v2, v2, s18
	s_delay_alu instid0(VALU_DEP_1) | instskip(NEXT) | instid1(VALU_DEP_1)
	v_sub_nc_u32_e32 v1, v1, v2
	v_cmp_lt_u32_e32 vcc_lo, s20, v1
	v_cmpx_ge_u32_e64 s20, v1
; %bb.67:
	v_add_nc_u32_e32 v1, s22, v8
	v_add_nc_u32_e32 v2, s40, v8
	s_delay_alu instid0(VALU_DEP_2) | instskip(NEXT) | instid1(VALU_DEP_2)
	v_mul_lo_u32 v1, v1, s21
	v_mul_lo_u32 v2, v2, s23
	s_delay_alu instid0(VALU_DEP_1) | instskip(NEXT) | instid1(VALU_DEP_1)
	v_sub_nc_u32_e32 v1, v1, v2
	v_cmp_lt_u32_e64 s0, s41, v1
	s_delay_alu instid0(VALU_DEP_1)
	s_and_b32 s2, s0, exec_lo
; %bb.68:
	s_or_b32 exec_lo, exec_lo, s6
	v_cndmask_b32_e64 v46, 0, 1, vcc_lo
	v_cndmask_b32_e64 v45, 0, 1, s2
.LBB351_69:
	s_or_b32 exec_lo, exec_lo, s1
	v_add_nc_u32_e32 v1, 9, v28
	v_mov_b32_e32 v47, 0
	v_mov_b32_e32 v49, 0
	s_mov_b32 s2, 0
	s_mov_b32 s1, exec_lo
	v_cmpx_gt_u32_e64 s3, v1
	s_cbranch_execz .LBB351_73
; %bb.70:
	v_add_nc_u32_e32 v1, s17, v9
	v_add_nc_u32_e32 v2, s19, v9
	s_mov_b32 s6, exec_lo
	s_delay_alu instid0(VALU_DEP_2) | instskip(NEXT) | instid1(VALU_DEP_2)
	v_mul_lo_u32 v1, v1, s16
	v_mul_lo_u32 v2, v2, s18
	s_delay_alu instid0(VALU_DEP_1) | instskip(NEXT) | instid1(VALU_DEP_1)
	v_sub_nc_u32_e32 v1, v1, v2
	v_cmp_lt_u32_e32 vcc_lo, s20, v1
	v_cmpx_ge_u32_e64 s20, v1
; %bb.71:
	v_add_nc_u32_e32 v1, s22, v9
	v_add_nc_u32_e32 v2, s40, v9
	s_delay_alu instid0(VALU_DEP_2) | instskip(NEXT) | instid1(VALU_DEP_2)
	v_mul_lo_u32 v1, v1, s21
	v_mul_lo_u32 v2, v2, s23
	s_delay_alu instid0(VALU_DEP_1) | instskip(NEXT) | instid1(VALU_DEP_1)
	v_sub_nc_u32_e32 v1, v1, v2
	v_cmp_lt_u32_e64 s0, s41, v1
	s_delay_alu instid0(VALU_DEP_1)
	s_and_b32 s2, s0, exec_lo
; %bb.72:
	s_or_b32 exec_lo, exec_lo, s6
	v_cndmask_b32_e64 v49, 0, 1, vcc_lo
	v_cndmask_b32_e64 v47, 0, 1, s2
.LBB351_73:
	s_or_b32 exec_lo, exec_lo, s1
	v_dual_mov_b32 v48, 0 :: v_dual_add_nc_u32 v1, 10, v28
	v_mov_b32_e32 v50, 0
	s_mov_b32 s2, 0
	s_mov_b32 s1, exec_lo
	s_delay_alu instid0(VALU_DEP_2)
	v_cmpx_gt_u32_e64 s3, v1
	s_cbranch_execz .LBB351_77
; %bb.74:
	v_add_nc_u32_e32 v1, s17, v6
	v_add_nc_u32_e32 v2, s19, v6
	s_mov_b32 s6, exec_lo
	s_delay_alu instid0(VALU_DEP_2) | instskip(NEXT) | instid1(VALU_DEP_2)
	v_mul_lo_u32 v1, v1, s16
	v_mul_lo_u32 v2, v2, s18
	s_delay_alu instid0(VALU_DEP_1) | instskip(NEXT) | instid1(VALU_DEP_1)
	v_sub_nc_u32_e32 v1, v1, v2
	v_cmp_lt_u32_e32 vcc_lo, s20, v1
	v_cmpx_ge_u32_e64 s20, v1
; %bb.75:
	v_add_nc_u32_e32 v1, s22, v6
	v_add_nc_u32_e32 v2, s40, v6
	s_delay_alu instid0(VALU_DEP_2) | instskip(NEXT) | instid1(VALU_DEP_2)
	v_mul_lo_u32 v1, v1, s21
	v_mul_lo_u32 v2, v2, s23
	s_delay_alu instid0(VALU_DEP_1) | instskip(NEXT) | instid1(VALU_DEP_1)
	v_sub_nc_u32_e32 v1, v1, v2
	v_cmp_lt_u32_e64 s0, s41, v1
	s_delay_alu instid0(VALU_DEP_1)
	s_and_b32 s2, s0, exec_lo
; %bb.76:
	s_or_b32 exec_lo, exec_lo, s6
	v_cndmask_b32_e64 v50, 0, 1, vcc_lo
	v_cndmask_b32_e64 v48, 0, 1, s2
.LBB351_77:
	s_or_b32 exec_lo, exec_lo, s1
	v_dual_mov_b32 v52, 0 :: v_dual_add_nc_u32 v1, 11, v28
	v_mov_b32_e32 v51, 0
	s_mov_b32 s2, 0
	s_mov_b32 s1, exec_lo
	s_delay_alu instid0(VALU_DEP_2)
	v_cmpx_gt_u32_e64 s3, v1
	s_cbranch_execz .LBB351_81
; %bb.78:
	v_add_nc_u32_e32 v1, s17, v7
	v_add_nc_u32_e32 v2, s19, v7
	s_mov_b32 s6, exec_lo
	s_delay_alu instid0(VALU_DEP_2) | instskip(NEXT) | instid1(VALU_DEP_2)
	v_mul_lo_u32 v1, v1, s16
	v_mul_lo_u32 v2, v2, s18
	s_delay_alu instid0(VALU_DEP_1) | instskip(NEXT) | instid1(VALU_DEP_1)
	v_sub_nc_u32_e32 v1, v1, v2
	v_cmp_lt_u32_e32 vcc_lo, s20, v1
	v_cmpx_ge_u32_e64 s20, v1
; %bb.79:
	v_add_nc_u32_e32 v1, s22, v7
	v_add_nc_u32_e32 v2, s40, v7
	s_delay_alu instid0(VALU_DEP_2) | instskip(NEXT) | instid1(VALU_DEP_2)
	v_mul_lo_u32 v1, v1, s21
	v_mul_lo_u32 v2, v2, s23
	s_delay_alu instid0(VALU_DEP_1) | instskip(NEXT) | instid1(VALU_DEP_1)
	v_sub_nc_u32_e32 v1, v1, v2
	v_cmp_lt_u32_e64 s0, s41, v1
	s_delay_alu instid0(VALU_DEP_1)
	s_and_b32 s2, s0, exec_lo
; %bb.80:
	s_or_b32 exec_lo, exec_lo, s6
	v_cndmask_b32_e64 v51, 0, 1, vcc_lo
	v_cndmask_b32_e64 v52, 0, 1, s2
.LBB351_81:
	s_or_b32 exec_lo, exec_lo, s1
	v_add_nc_u32_e32 v1, 12, v28
	s_mov_b32 s42, 0
	s_mov_b32 s43, 0
	s_mov_b32 s0, exec_lo
	s_delay_alu instid0(VALU_DEP_1)
	v_cmpx_gt_u32_e64 s3, v1
	s_cbranch_execz .LBB351_85
; %bb.82:
	v_add_nc_u32_e32 v1, s17, v27
	v_add_nc_u32_e32 v2, s19, v27
	s_mov_b32 s2, -1
	s_mov_b32 s6, 0
	s_mov_b32 s1, exec_lo
	v_mul_lo_u32 v1, v1, s16
	v_mul_lo_u32 v2, v2, s18
	s_delay_alu instid0(VALU_DEP_1) | instskip(NEXT) | instid1(VALU_DEP_1)
	v_sub_nc_u32_e32 v1, v1, v2
	v_cmpx_ge_u32_e64 s20, v1
; %bb.83:
	v_add_nc_u32_e32 v1, s22, v27
	v_add_nc_u32_e32 v2, s40, v27
	s_xor_b32 s2, exec_lo, -1
	s_delay_alu instid0(VALU_DEP_2) | instskip(NEXT) | instid1(VALU_DEP_2)
	v_mul_lo_u32 v1, v1, s21
	v_mul_lo_u32 v2, v2, s23
	s_delay_alu instid0(VALU_DEP_1) | instskip(NEXT) | instid1(VALU_DEP_1)
	v_sub_nc_u32_e32 v1, v1, v2
	v_cmp_lt_u32_e32 vcc_lo, s41, v1
	s_and_b32 s6, vcc_lo, exec_lo
; %bb.84:
	s_or_b32 exec_lo, exec_lo, s1
	s_delay_alu instid0(SALU_CYCLE_1)
	s_and_b32 s43, s6, exec_lo
	s_and_b32 s42, s2, exec_lo
.LBB351_85:
	s_or_b32 exec_lo, exec_lo, s0
.LBB351_86:
	v_and_b32_e32 v75, 0xff, v29
	v_and_b32_e32 v76, 0xff, v30
	;; [unrolled: 1-line block ×10, first 2 shown]
	v_add3_u32 v1, v71, v73, v75
	v_add3_u32 v2, v72, v74, v76
	v_and_b32_e32 v65, 0xff, v41
	v_and_b32_e32 v66, 0xff, v39
	v_and_b32_e32 v61, 0xff, v42
	v_and_b32_e32 v62, 0xff, v40
	v_add3_u32 v1, v1, v69, v67
	v_add3_u32 v2, v2, v70, v68
	v_and_b32_e32 v63, 0xff, v44
	v_and_b32_e32 v64, 0xff, v43
	v_and_b32_e32 v59, 0xff, v46
	v_and_b32_e32 v60, 0xff, v45
	;; [unrolled: 6-line block ×3, first 2 shown]
	v_add3_u32 v1, v1, v63, v59
	v_add3_u32 v2, v2, v64, v60
	v_mbcnt_lo_u32_b32 v77, -1, 0
	v_and_b32_e32 v53, 0xff, v51
	v_and_b32_e32 v54, 0xff, v52
	v_cndmask_b32_e64 v3, 0, 1, s43
	v_add3_u32 v1, v1, v57, v55
	v_cndmask_b32_e64 v4, 0, 1, s42
	v_add3_u32 v2, v2, v58, v56
	v_and_b32_e32 v81, 15, v77
	v_and_b32_e32 v80, 16, v77
	v_lshrrev_b32_e32 v78, 5, v0
	v_add3_u32 v82, v1, v53, v4
	v_add3_u32 v83, v2, v54, v3
	v_cmp_eq_u32_e64 s1, 0, v81
	v_cmp_lt_u32_e64 s0, 1, v81
	v_cmp_lt_u32_e64 s2, 3, v81
	v_cmp_lt_u32_e32 vcc_lo, 7, v81
	v_or_b32_e32 v79, 31, v0
	s_cmp_lg_u32 s15, 0
	s_mov_b32 s6, -1
	s_cbranch_scc0 .LBB351_119
; %bb.87:
	v_mov_b32_dpp v1, v83 row_shr:1 row_mask:0xf bank_mask:0xf
	v_mov_b32_dpp v2, v82 row_shr:1 row_mask:0xf bank_mask:0xf
	s_delay_alu instid0(VALU_DEP_2) | instskip(NEXT) | instid1(VALU_DEP_1)
	v_add_nc_u32_e32 v1, v1, v83
	v_cndmask_b32_e64 v1, v1, v83, s1
	s_delay_alu instid0(VALU_DEP_1) | instskip(NEXT) | instid1(VALU_DEP_1)
	v_mov_b32_dpp v3, v1 row_shr:2 row_mask:0xf bank_mask:0xf
	v_add_nc_u32_e32 v3, v1, v3
	s_delay_alu instid0(VALU_DEP_1) | instskip(NEXT) | instid1(VALU_DEP_1)
	v_cndmask_b32_e64 v1, v1, v3, s0
	v_mov_b32_dpp v3, v1 row_shr:4 row_mask:0xf bank_mask:0xf
	s_delay_alu instid0(VALU_DEP_1) | instskip(NEXT) | instid1(VALU_DEP_1)
	v_add_nc_u32_e32 v3, v1, v3
	v_cndmask_b32_e64 v1, v1, v3, s2
	s_delay_alu instid0(VALU_DEP_1) | instskip(NEXT) | instid1(VALU_DEP_1)
	v_mov_b32_dpp v3, v1 row_shr:8 row_mask:0xf bank_mask:0xf
	v_add_nc_u32_e32 v3, v1, v3
	s_delay_alu instid0(VALU_DEP_1) | instskip(NEXT) | instid1(VALU_DEP_1)
	v_dual_cndmask_b32 v1, v1, v3 :: v_dual_add_nc_u32 v2, v2, v82
	v_cndmask_b32_e64 v2, v2, v82, s1
	s_delay_alu instid0(VALU_DEP_1) | instskip(NEXT) | instid1(VALU_DEP_1)
	v_mov_b32_dpp v4, v2 row_shr:2 row_mask:0xf bank_mask:0xf
	v_add_nc_u32_e32 v4, v2, v4
	s_delay_alu instid0(VALU_DEP_1) | instskip(NEXT) | instid1(VALU_DEP_1)
	v_cndmask_b32_e64 v2, v2, v4, s0
	v_mov_b32_dpp v4, v2 row_shr:4 row_mask:0xf bank_mask:0xf
	s_delay_alu instid0(VALU_DEP_1) | instskip(NEXT) | instid1(VALU_DEP_1)
	v_add_nc_u32_e32 v4, v2, v4
	v_cndmask_b32_e64 v2, v2, v4, s2
	s_mov_b32 s2, exec_lo
	s_delay_alu instid0(VALU_DEP_1) | instskip(NEXT) | instid1(VALU_DEP_1)
	v_mov_b32_dpp v4, v2 row_shr:8 row_mask:0xf bank_mask:0xf
	v_add_nc_u32_e32 v4, v2, v4
	s_delay_alu instid0(VALU_DEP_1)
	v_cndmask_b32_e32 v3, v2, v4, vcc_lo
	ds_swizzle_b32 v2, v1 offset:swizzle(BROADCAST,32,15)
	v_cmp_eq_u32_e32 vcc_lo, 0, v80
	s_waitcnt lgkmcnt(0)
	v_add_nc_u32_e32 v2, v1, v2
	ds_swizzle_b32 v4, v3 offset:swizzle(BROADCAST,32,15)
	v_cndmask_b32_e32 v2, v2, v1, vcc_lo
	s_waitcnt lgkmcnt(0)
	v_add_nc_u32_e32 v4, v3, v4
	s_delay_alu instid0(VALU_DEP_1)
	v_cndmask_b32_e32 v1, v4, v3, vcc_lo
	v_cmpx_eq_u32_e64 v79, v0
	s_cbranch_execz .LBB351_89
; %bb.88:
	v_lshlrev_b32_e32 v3, 3, v78
	ds_store_b64 v3, v[1:2]
.LBB351_89:
	s_or_b32 exec_lo, exec_lo, s2
	s_delay_alu instid0(SALU_CYCLE_1)
	s_mov_b32 s2, exec_lo
	s_waitcnt lgkmcnt(0)
	s_barrier
	buffer_gl0_inv
	v_cmpx_gt_u32_e32 8, v0
	s_cbranch_execz .LBB351_91
; %bb.90:
	v_lshlrev_b32_e32 v5, 3, v0
	ds_load_b64 v[3:4], v5
	s_waitcnt lgkmcnt(0)
	v_mov_b32_dpp v18, v3 row_shr:1 row_mask:0xf bank_mask:0xf
	v_mov_b32_dpp v19, v4 row_shr:1 row_mask:0xf bank_mask:0xf
	s_delay_alu instid0(VALU_DEP_2) | instskip(SKIP_1) | instid1(VALU_DEP_3)
	v_add_nc_u32_e32 v18, v18, v3
	v_and_b32_e32 v20, 7, v77
	v_add_nc_u32_e32 v19, v19, v4
	s_delay_alu instid0(VALU_DEP_2) | instskip(NEXT) | instid1(VALU_DEP_2)
	v_cmp_eq_u32_e32 vcc_lo, 0, v20
	v_dual_cndmask_b32 v4, v19, v4 :: v_dual_cndmask_b32 v3, v18, v3
	v_cmp_lt_u32_e32 vcc_lo, 1, v20
	s_delay_alu instid0(VALU_DEP_2) | instskip(NEXT) | instid1(VALU_DEP_3)
	v_mov_b32_dpp v19, v4 row_shr:2 row_mask:0xf bank_mask:0xf
	v_mov_b32_dpp v18, v3 row_shr:2 row_mask:0xf bank_mask:0xf
	s_delay_alu instid0(VALU_DEP_2) | instskip(NEXT) | instid1(VALU_DEP_2)
	v_add_nc_u32_e32 v19, v4, v19
	v_add_nc_u32_e32 v18, v3, v18
	s_delay_alu instid0(VALU_DEP_1) | instskip(SKIP_1) | instid1(VALU_DEP_2)
	v_dual_cndmask_b32 v4, v4, v19 :: v_dual_cndmask_b32 v3, v3, v18
	v_cmp_lt_u32_e32 vcc_lo, 3, v20
	v_mov_b32_dpp v19, v4 row_shr:4 row_mask:0xf bank_mask:0xf
	s_delay_alu instid0(VALU_DEP_3) | instskip(NEXT) | instid1(VALU_DEP_1)
	v_mov_b32_dpp v18, v3 row_shr:4 row_mask:0xf bank_mask:0xf
	v_dual_cndmask_b32 v19, 0, v19 :: v_dual_cndmask_b32 v18, 0, v18
	s_delay_alu instid0(VALU_DEP_1) | instskip(NEXT) | instid1(VALU_DEP_2)
	v_add_nc_u32_e32 v4, v19, v4
	v_add_nc_u32_e32 v3, v18, v3
	ds_store_b64 v5, v[3:4]
.LBB351_91:
	s_or_b32 exec_lo, exec_lo, s2
	v_cmp_gt_u32_e32 vcc_lo, 32, v0
	v_cmp_lt_u32_e64 s2, 31, v0
	s_waitcnt lgkmcnt(0)
	s_barrier
	buffer_gl0_inv
                                        ; implicit-def: $vgpr19
	s_and_saveexec_b32 s6, s2
	s_delay_alu instid0(SALU_CYCLE_1)
	s_xor_b32 s2, exec_lo, s6
	s_cbranch_execz .LBB351_93
; %bb.92:
	v_lshl_add_u32 v3, v78, 3, -8
	ds_load_b64 v[18:19], v3
	s_waitcnt lgkmcnt(0)
	v_add_nc_u32_e32 v2, v19, v2
	v_add_nc_u32_e32 v1, v18, v1
.LBB351_93:
	s_and_not1_saveexec_b32 s2, s2
; %bb.94:
                                        ; implicit-def: $vgpr18
; %bb.95:
	s_delay_alu instid0(SALU_CYCLE_1) | instskip(SKIP_1) | instid1(VALU_DEP_1)
	s_or_b32 exec_lo, exec_lo, s2
	v_add_nc_u32_e32 v3, -1, v77
	v_cmp_gt_i32_e64 s2, 0, v3
	s_delay_alu instid0(VALU_DEP_1) | instskip(SKIP_1) | instid1(VALU_DEP_2)
	v_cndmask_b32_e64 v3, v3, v77, s2
	v_cmp_eq_u32_e64 s2, 0, v77
	v_lshlrev_b32_e32 v3, 2, v3
	ds_bpermute_b32 v84, v3, v1
	ds_bpermute_b32 v85, v3, v2
	s_and_saveexec_b32 s6, vcc_lo
	s_cbranch_execz .LBB351_118
; %bb.96:
	v_mov_b32_e32 v4, 0
	ds_load_b64 v[1:2], v4 offset:56
	s_waitcnt lgkmcnt(0)
	v_readfirstlane_b32 s7, v2
	s_and_saveexec_b32 s8, s2
	s_cbranch_execz .LBB351_98
; %bb.97:
	s_add_i32 s10, s15, 32
	s_mov_b32 s11, 0
	v_mov_b32_e32 v3, 1
	s_lshl_b64 s[12:13], s[10:11], 4
	s_mov_b32 s16, s11
	s_add_u32 s12, s4, s12
	s_addc_u32 s13, s5, s13
	s_and_b32 s17, s7, 0xff000000
	s_and_b32 s19, s7, 0xff0000
	s_mov_b32 s18, s11
	v_dual_mov_b32 v21, s13 :: v_dual_mov_b32 v20, s12
	s_or_b64 s[16:17], s[18:19], s[16:17]
	s_and_b32 s19, s7, 0xff00
	s_delay_alu instid0(SALU_CYCLE_1) | instskip(SKIP_1) | instid1(SALU_CYCLE_1)
	s_or_b64 s[16:17], s[16:17], s[18:19]
	s_and_b32 s19, s7, 0xff
	s_or_b64 s[10:11], s[16:17], s[18:19]
	s_delay_alu instid0(SALU_CYCLE_1)
	v_mov_b32_e32 v2, s11
	;;#ASMSTART
	global_store_dwordx4 v[20:21], v[1:4] off	
s_waitcnt vmcnt(0)
	;;#ASMEND
.LBB351_98:
	s_or_b32 exec_lo, exec_lo, s8
	v_xad_u32 v20, v77, -1, s15
	s_mov_b32 s9, 0
	s_mov_b32 s8, exec_lo
	s_delay_alu instid0(VALU_DEP_1) | instskip(NEXT) | instid1(VALU_DEP_1)
	v_add_nc_u32_e32 v3, 32, v20
	v_lshlrev_b64 v[2:3], 4, v[3:4]
	s_delay_alu instid0(VALU_DEP_1) | instskip(NEXT) | instid1(VALU_DEP_2)
	v_add_co_u32 v21, vcc_lo, s4, v2
	v_add_co_ci_u32_e32 v22, vcc_lo, s5, v3, vcc_lo
	;;#ASMSTART
	global_load_dwordx4 v[2:5], v[21:22] off glc	
s_waitcnt vmcnt(0)
	;;#ASMEND
	v_and_b32_e32 v5, 0xff, v3
	v_and_b32_e32 v23, 0xff00, v3
	v_or3_b32 v2, v2, 0, 0
	v_and_b32_e32 v24, 0xff000000, v3
	v_and_b32_e32 v3, 0xff0000, v3
	s_delay_alu instid0(VALU_DEP_4) | instskip(SKIP_2) | instid1(VALU_DEP_3)
	v_or3_b32 v5, 0, v5, v23
	v_and_b32_e32 v23, 0xff, v4
	v_or3_b32 v2, v2, 0, 0
	v_or3_b32 v3, v5, v3, v24
	s_delay_alu instid0(VALU_DEP_3)
	v_cmpx_eq_u16_e32 0, v23
	s_cbranch_execz .LBB351_104
; %bb.99:
	s_mov_b32 s10, 1
	.p2align	6
.LBB351_100:                            ; =>This Loop Header: Depth=1
                                        ;     Child Loop BB351_101 Depth 2
	s_delay_alu instid0(SALU_CYCLE_1)
	s_max_u32 s11, s10, 1
.LBB351_101:                            ;   Parent Loop BB351_100 Depth=1
                                        ; =>  This Inner Loop Header: Depth=2
	s_delay_alu instid0(SALU_CYCLE_1)
	s_add_i32 s11, s11, -1
	s_sleep 1
	s_cmp_eq_u32 s11, 0
	s_cbranch_scc0 .LBB351_101
; %bb.102:                              ;   in Loop: Header=BB351_100 Depth=1
	;;#ASMSTART
	global_load_dwordx4 v[2:5], v[21:22] off glc	
s_waitcnt vmcnt(0)
	;;#ASMEND
	v_and_b32_e32 v5, 0xff, v4
	s_cmp_lt_u32 s10, 32
	s_cselect_b32 s11, -1, 0
	s_delay_alu instid0(SALU_CYCLE_1) | instskip(NEXT) | instid1(VALU_DEP_1)
	s_cmp_lg_u32 s11, 0
	v_cmp_ne_u16_e32 vcc_lo, 0, v5
	s_addc_u32 s10, s10, 0
	s_or_b32 s9, vcc_lo, s9
	s_delay_alu instid0(SALU_CYCLE_1)
	s_and_not1_b32 exec_lo, exec_lo, s9
	s_cbranch_execnz .LBB351_100
; %bb.103:
	s_or_b32 exec_lo, exec_lo, s9
.LBB351_104:
	s_delay_alu instid0(SALU_CYCLE_1)
	s_or_b32 exec_lo, exec_lo, s8
	v_cmp_ne_u32_e32 vcc_lo, 31, v77
	v_lshlrev_b32_e64 v87, v77, -1
	v_add_nc_u32_e32 v91, 4, v77
	v_add_nc_u32_e32 v93, 8, v77
	;; [unrolled: 1-line block ×3, first 2 shown]
	v_add_co_ci_u32_e32 v5, vcc_lo, 0, v77, vcc_lo
	s_delay_alu instid0(VALU_DEP_1)
	v_lshlrev_b32_e32 v86, 2, v5
	ds_bpermute_b32 v21, v86, v3
	ds_bpermute_b32 v5, v86, v2
	s_waitcnt lgkmcnt(1)
	v_add_nc_u32_e32 v21, v21, v3
	v_and_b32_e32 v22, 0xff, v4
	s_waitcnt lgkmcnt(0)
	v_add_nc_u32_e32 v5, v5, v2
	s_delay_alu instid0(VALU_DEP_2) | instskip(SKIP_2) | instid1(VALU_DEP_2)
	v_cmp_eq_u16_e32 vcc_lo, 2, v22
	v_and_or_b32 v22, vcc_lo, v87, 0x80000000
	v_cmp_gt_u32_e32 vcc_lo, 30, v77
	v_ctz_i32_b32_e32 v22, v22
	v_cndmask_b32_e64 v23, 0, 1, vcc_lo
	s_delay_alu instid0(VALU_DEP_2) | instskip(NEXT) | instid1(VALU_DEP_2)
	v_cmp_lt_u32_e32 vcc_lo, v77, v22
	v_dual_cndmask_b32 v2, v2, v5 :: v_dual_lshlrev_b32 v23, 1, v23
	s_delay_alu instid0(VALU_DEP_1)
	v_add_lshl_u32 v88, v23, v77, 2
	v_cndmask_b32_e32 v3, v3, v21, vcc_lo
	v_cmp_gt_u32_e32 vcc_lo, 28, v77
	ds_bpermute_b32 v5, v88, v2
	ds_bpermute_b32 v21, v88, v3
	v_cndmask_b32_e64 v23, 0, 1, vcc_lo
	s_waitcnt lgkmcnt(1)
	v_add_nc_u32_e32 v5, v2, v5
	v_add_nc_u32_e32 v89, 2, v77
	s_waitcnt lgkmcnt(0)
	v_add_nc_u32_e32 v21, v3, v21
	s_delay_alu instid0(VALU_DEP_2) | instskip(SKIP_1) | instid1(VALU_DEP_3)
	v_cmp_gt_u32_e32 vcc_lo, v89, v22
	v_dual_cndmask_b32 v2, v5, v2 :: v_dual_lshlrev_b32 v23, 2, v23
	v_cndmask_b32_e32 v3, v21, v3, vcc_lo
	v_cmp_gt_u32_e32 vcc_lo, 24, v77
	s_delay_alu instid0(VALU_DEP_3)
	v_add_lshl_u32 v90, v23, v77, 2
	v_cndmask_b32_e64 v23, 0, 1, vcc_lo
	v_cmp_gt_u32_e32 vcc_lo, v91, v22
	ds_bpermute_b32 v5, v90, v2
	ds_bpermute_b32 v21, v90, v3
	v_lshlrev_b32_e32 v23, 3, v23
	s_delay_alu instid0(VALU_DEP_1) | instskip(SKIP_3) | instid1(VALU_DEP_1)
	v_add_lshl_u32 v92, v23, v77, 2
	s_waitcnt lgkmcnt(1)
	v_add_nc_u32_e32 v5, v2, v5
	s_waitcnt lgkmcnt(0)
	v_dual_cndmask_b32 v2, v5, v2 :: v_dual_add_nc_u32 v21, v3, v21
	s_delay_alu instid0(VALU_DEP_1)
	v_cndmask_b32_e32 v3, v21, v3, vcc_lo
	v_cmp_gt_u32_e32 vcc_lo, 16, v77
	ds_bpermute_b32 v5, v92, v2
	ds_bpermute_b32 v21, v92, v3
	v_cndmask_b32_e64 v23, 0, 1, vcc_lo
	v_cmp_gt_u32_e32 vcc_lo, v93, v22
	s_delay_alu instid0(VALU_DEP_2) | instskip(NEXT) | instid1(VALU_DEP_1)
	v_lshlrev_b32_e32 v23, 4, v23
	v_add_lshl_u32 v94, v23, v77, 2
	s_waitcnt lgkmcnt(1)
	v_add_nc_u32_e32 v5, v2, v5
	s_waitcnt lgkmcnt(0)
	s_delay_alu instid0(VALU_DEP_1) | instskip(NEXT) | instid1(VALU_DEP_1)
	v_dual_cndmask_b32 v2, v5, v2 :: v_dual_add_nc_u32 v21, v3, v21
	v_cndmask_b32_e32 v3, v21, v3, vcc_lo
	v_cmp_le_u32_e32 vcc_lo, v95, v22
	ds_bpermute_b32 v5, v94, v2
	ds_bpermute_b32 v21, v94, v3
	s_waitcnt lgkmcnt(1)
	v_cndmask_b32_e32 v5, 0, v5, vcc_lo
	s_waitcnt lgkmcnt(0)
	s_delay_alu instid0(VALU_DEP_1) | instskip(NEXT) | instid1(VALU_DEP_1)
	v_dual_cndmask_b32 v21, 0, v21 :: v_dual_add_nc_u32 v2, v5, v2
	v_add_nc_u32_e32 v3, v21, v3
	v_mov_b32_e32 v21, 0
	s_branch .LBB351_106
.LBB351_105:                            ;   in Loop: Header=BB351_106 Depth=1
	s_or_b32 exec_lo, exec_lo, s8
	ds_bpermute_b32 v5, v86, v2
	ds_bpermute_b32 v24, v86, v3
	v_subrev_nc_u32_e32 v20, 32, v20
	s_waitcnt lgkmcnt(1)
	v_add_nc_u32_e32 v5, v5, v2
	v_and_b32_e32 v25, 0xff, v4
	s_waitcnt lgkmcnt(0)
	v_add_nc_u32_e32 v24, v24, v3
	s_delay_alu instid0(VALU_DEP_2) | instskip(SKIP_1) | instid1(VALU_DEP_1)
	v_cmp_eq_u16_e32 vcc_lo, 2, v25
	v_and_or_b32 v25, vcc_lo, v87, 0x80000000
	v_ctz_i32_b32_e32 v25, v25
	s_delay_alu instid0(VALU_DEP_1)
	v_cmp_lt_u32_e32 vcc_lo, v77, v25
	v_cndmask_b32_e32 v2, v2, v5, vcc_lo
	ds_bpermute_b32 v5, v88, v2
	s_waitcnt lgkmcnt(0)
	v_add_nc_u32_e32 v5, v2, v5
	v_cndmask_b32_e32 v3, v3, v24, vcc_lo
	v_cmp_gt_u32_e32 vcc_lo, v89, v25
	s_delay_alu instid0(VALU_DEP_3)
	v_cndmask_b32_e32 v2, v5, v2, vcc_lo
	ds_bpermute_b32 v24, v88, v3
	ds_bpermute_b32 v5, v90, v2
	s_waitcnt lgkmcnt(1)
	v_add_nc_u32_e32 v24, v3, v24
	s_waitcnt lgkmcnt(0)
	v_add_nc_u32_e32 v5, v2, v5
	s_delay_alu instid0(VALU_DEP_2) | instskip(SKIP_1) | instid1(VALU_DEP_3)
	v_cndmask_b32_e32 v3, v24, v3, vcc_lo
	v_cmp_gt_u32_e32 vcc_lo, v91, v25
	v_cndmask_b32_e32 v2, v5, v2, vcc_lo
	ds_bpermute_b32 v24, v90, v3
	ds_bpermute_b32 v5, v92, v2
	s_waitcnt lgkmcnt(1)
	v_add_nc_u32_e32 v24, v3, v24
	s_waitcnt lgkmcnt(0)
	v_add_nc_u32_e32 v5, v2, v5
	s_delay_alu instid0(VALU_DEP_2) | instskip(SKIP_1) | instid1(VALU_DEP_3)
	v_cndmask_b32_e32 v3, v24, v3, vcc_lo
	v_cmp_gt_u32_e32 vcc_lo, v93, v25
	v_cndmask_b32_e32 v2, v5, v2, vcc_lo
	ds_bpermute_b32 v24, v92, v3
	ds_bpermute_b32 v5, v94, v2
	s_waitcnt lgkmcnt(1)
	v_add_nc_u32_e32 v24, v3, v24
	s_delay_alu instid0(VALU_DEP_1) | instskip(SKIP_4) | instid1(VALU_DEP_1)
	v_cndmask_b32_e32 v3, v24, v3, vcc_lo
	v_cmp_le_u32_e32 vcc_lo, v95, v25
	ds_bpermute_b32 v24, v94, v3
	s_waitcnt lgkmcnt(1)
	v_cndmask_b32_e32 v5, 0, v5, vcc_lo
	v_add3_u32 v2, v2, v22, v5
	s_waitcnt lgkmcnt(0)
	v_cndmask_b32_e32 v24, 0, v24, vcc_lo
	s_delay_alu instid0(VALU_DEP_1)
	v_add3_u32 v3, v3, v23, v24
.LBB351_106:                            ; =>This Loop Header: Depth=1
                                        ;     Child Loop BB351_109 Depth 2
                                        ;       Child Loop BB351_110 Depth 3
	s_delay_alu instid0(VALU_DEP_1) | instskip(SKIP_1) | instid1(VALU_DEP_2)
	v_dual_mov_b32 v23, v3 :: v_dual_and_b32 v4, 0xff, v4
	v_mov_b32_e32 v22, v2
	v_cmp_ne_u16_e32 vcc_lo, 2, v4
	v_cndmask_b32_e64 v4, 0, 1, vcc_lo
	;;#ASMSTART
	;;#ASMEND
	s_delay_alu instid0(VALU_DEP_1)
	v_cmp_ne_u32_e32 vcc_lo, 0, v4
	s_cmp_lg_u32 vcc_lo, exec_lo
	s_cbranch_scc1 .LBB351_113
; %bb.107:                              ;   in Loop: Header=BB351_106 Depth=1
	v_lshlrev_b64 v[2:3], 4, v[20:21]
	s_mov_b32 s8, exec_lo
	s_delay_alu instid0(VALU_DEP_1) | instskip(NEXT) | instid1(VALU_DEP_2)
	v_add_co_u32 v24, vcc_lo, s4, v2
	v_add_co_ci_u32_e32 v25, vcc_lo, s5, v3, vcc_lo
	;;#ASMSTART
	global_load_dwordx4 v[2:5], v[24:25] off glc	
s_waitcnt vmcnt(0)
	;;#ASMEND
	v_and_b32_e32 v5, 0xff, v3
	v_and_b32_e32 v96, 0xff00, v3
	v_or3_b32 v2, v2, 0, 0
	v_and_b32_e32 v97, 0xff000000, v3
	v_and_b32_e32 v3, 0xff0000, v3
	s_delay_alu instid0(VALU_DEP_4) | instskip(SKIP_2) | instid1(VALU_DEP_3)
	v_or3_b32 v5, 0, v5, v96
	v_and_b32_e32 v96, 0xff, v4
	v_or3_b32 v2, v2, 0, 0
	v_or3_b32 v3, v5, v3, v97
	s_delay_alu instid0(VALU_DEP_3)
	v_cmpx_eq_u16_e32 0, v96
	s_cbranch_execz .LBB351_105
; %bb.108:                              ;   in Loop: Header=BB351_106 Depth=1
	s_mov_b32 s10, 1
	s_mov_b32 s9, 0
	.p2align	6
.LBB351_109:                            ;   Parent Loop BB351_106 Depth=1
                                        ; =>  This Loop Header: Depth=2
                                        ;       Child Loop BB351_110 Depth 3
	s_max_u32 s11, s10, 1
.LBB351_110:                            ;   Parent Loop BB351_106 Depth=1
                                        ;     Parent Loop BB351_109 Depth=2
                                        ; =>    This Inner Loop Header: Depth=3
	s_delay_alu instid0(SALU_CYCLE_1)
	s_add_i32 s11, s11, -1
	s_sleep 1
	s_cmp_eq_u32 s11, 0
	s_cbranch_scc0 .LBB351_110
; %bb.111:                              ;   in Loop: Header=BB351_109 Depth=2
	;;#ASMSTART
	global_load_dwordx4 v[2:5], v[24:25] off glc	
s_waitcnt vmcnt(0)
	;;#ASMEND
	v_and_b32_e32 v5, 0xff, v4
	s_cmp_lt_u32 s10, 32
	s_cselect_b32 s11, -1, 0
	s_delay_alu instid0(SALU_CYCLE_1) | instskip(NEXT) | instid1(VALU_DEP_1)
	s_cmp_lg_u32 s11, 0
	v_cmp_ne_u16_e32 vcc_lo, 0, v5
	s_addc_u32 s10, s10, 0
	s_or_b32 s9, vcc_lo, s9
	s_delay_alu instid0(SALU_CYCLE_1)
	s_and_not1_b32 exec_lo, exec_lo, s9
	s_cbranch_execnz .LBB351_109
; %bb.112:                              ;   in Loop: Header=BB351_106 Depth=1
	s_or_b32 exec_lo, exec_lo, s9
	s_branch .LBB351_105
.LBB351_113:                            ;   in Loop: Header=BB351_106 Depth=1
                                        ; implicit-def: $vgpr4
                                        ; implicit-def: $vgpr2_vgpr3
	s_cbranch_execz .LBB351_106
; %bb.114:
	s_and_saveexec_b32 s8, s2
	s_cbranch_execnz .LBB351_357
; %bb.115:
	s_or_b32 exec_lo, exec_lo, s8
	s_and_saveexec_b32 s8, s2
	s_cbranch_execnz .LBB351_358
.LBB351_116:
	s_or_b32 exec_lo, exec_lo, s8
	v_cmp_eq_u32_e32 vcc_lo, 0, v0
	s_and_b32 exec_lo, exec_lo, vcc_lo
	s_cbranch_execz .LBB351_118
.LBB351_117:
	v_mov_b32_e32 v1, 0
	ds_store_b64 v1, v[22:23] offset:56
.LBB351_118:
	s_or_b32 exec_lo, exec_lo, s6
	v_cmp_eq_u32_e32 vcc_lo, 0, v0
	v_mov_b32_e32 v1, 0
	s_waitcnt lgkmcnt(0)
	s_barrier
	buffer_gl0_inv
	v_add_nc_u32_e64 v3, 0x3400, 0
	ds_load_b64 v[20:21], v1 offset:56
	s_waitcnt lgkmcnt(0)
	s_barrier
	buffer_gl0_inv
	ds_load_2addr_b32 v[1:2], v3 offset1:2
	ds_load_2addr_b32 v[3:4], v3 offset0:4 offset1:6
	v_cndmask_b32_e64 v5, v84, v18, s2
	v_cndmask_b32_e64 v18, v85, v19, s2
	s_delay_alu instid0(VALU_DEP_2) | instskip(NEXT) | instid1(VALU_DEP_1)
	v_add_nc_u32_e32 v19, v20, v5
	v_dual_cndmask_b32 v20, v19, v20 :: v_dual_add_nc_u32 v5, v21, v18
	s_delay_alu instid0(VALU_DEP_1)
	v_cndmask_b32_e32 v5, v5, v21, vcc_lo
	s_branch .LBB351_129
.LBB351_119:
                                        ; implicit-def: $vgpr5
                                        ; implicit-def: $vgpr3
                                        ; implicit-def: $vgpr1
                                        ; implicit-def: $vgpr20_vgpr21
	s_and_b32 vcc_lo, exec_lo, s6
	s_cbranch_vccz .LBB351_129
; %bb.120:
	s_waitcnt lgkmcnt(0)
	v_mov_b32_dpp v2, v83 row_shr:1 row_mask:0xf bank_mask:0xf
	v_cmp_lt_u32_e32 vcc_lo, 3, v81
	v_mov_b32_dpp v1, v82 row_shr:1 row_mask:0xf bank_mask:0xf
	s_delay_alu instid0(VALU_DEP_3) | instskip(NEXT) | instid1(VALU_DEP_1)
	v_add_nc_u32_e32 v2, v2, v83
	v_cndmask_b32_e64 v2, v2, v83, s1
	s_delay_alu instid0(VALU_DEP_1) | instskip(NEXT) | instid1(VALU_DEP_1)
	v_mov_b32_dpp v4, v2 row_shr:2 row_mask:0xf bank_mask:0xf
	v_add_nc_u32_e32 v4, v2, v4
	s_delay_alu instid0(VALU_DEP_1) | instskip(NEXT) | instid1(VALU_DEP_1)
	v_cndmask_b32_e64 v2, v2, v4, s0
	v_mov_b32_dpp v4, v2 row_shr:4 row_mask:0xf bank_mask:0xf
	s_delay_alu instid0(VALU_DEP_1) | instskip(NEXT) | instid1(VALU_DEP_1)
	v_add_nc_u32_e32 v4, v2, v4
	v_dual_cndmask_b32 v2, v2, v4 :: v_dual_add_nc_u32 v1, v1, v82
	s_delay_alu instid0(VALU_DEP_1) | instskip(NEXT) | instid1(VALU_DEP_2)
	v_cndmask_b32_e64 v1, v1, v82, s1
	v_mov_b32_dpp v4, v2 row_shr:8 row_mask:0xf bank_mask:0xf
	s_delay_alu instid0(VALU_DEP_2) | instskip(NEXT) | instid1(VALU_DEP_2)
	v_mov_b32_dpp v3, v1 row_shr:2 row_mask:0xf bank_mask:0xf
	v_add_nc_u32_e32 v4, v2, v4
	s_delay_alu instid0(VALU_DEP_2) | instskip(NEXT) | instid1(VALU_DEP_1)
	v_add_nc_u32_e32 v3, v1, v3
	v_cndmask_b32_e64 v1, v1, v3, s0
	s_mov_b32 s0, exec_lo
	s_delay_alu instid0(VALU_DEP_1) | instskip(NEXT) | instid1(VALU_DEP_1)
	v_mov_b32_dpp v3, v1 row_shr:4 row_mask:0xf bank_mask:0xf
	v_add_nc_u32_e32 v3, v1, v3
	s_delay_alu instid0(VALU_DEP_1) | instskip(SKIP_1) | instid1(VALU_DEP_2)
	v_cndmask_b32_e32 v1, v1, v3, vcc_lo
	v_cmp_lt_u32_e32 vcc_lo, 7, v81
	v_mov_b32_dpp v3, v1 row_shr:8 row_mask:0xf bank_mask:0xf
	s_delay_alu instid0(VALU_DEP_1) | instskip(NEXT) | instid1(VALU_DEP_1)
	v_dual_cndmask_b32 v2, v2, v4 :: v_dual_add_nc_u32 v3, v1, v3
	v_cndmask_b32_e32 v1, v1, v3, vcc_lo
	ds_swizzle_b32 v3, v2 offset:swizzle(BROADCAST,32,15)
	v_cmp_eq_u32_e32 vcc_lo, 0, v80
	ds_swizzle_b32 v4, v1 offset:swizzle(BROADCAST,32,15)
	s_waitcnt lgkmcnt(1)
	v_add_nc_u32_e32 v3, v2, v3
	s_waitcnt lgkmcnt(0)
	v_add_nc_u32_e32 v4, v1, v4
	s_delay_alu instid0(VALU_DEP_1)
	v_dual_cndmask_b32 v2, v3, v2 :: v_dual_cndmask_b32 v1, v4, v1
	v_cmpx_eq_u32_e64 v79, v0
	s_cbranch_execz .LBB351_122
; %bb.121:
	v_lshlrev_b32_e32 v3, 3, v78
	ds_store_b64 v3, v[1:2]
.LBB351_122:
	s_or_b32 exec_lo, exec_lo, s0
	s_delay_alu instid0(SALU_CYCLE_1)
	s_mov_b32 s0, exec_lo
	s_waitcnt lgkmcnt(0)
	s_barrier
	buffer_gl0_inv
	v_cmpx_gt_u32_e32 8, v0
	s_cbranch_execz .LBB351_124
; %bb.123:
	v_lshlrev_b32_e32 v5, 3, v0
	ds_load_b64 v[3:4], v5
	s_waitcnt lgkmcnt(0)
	v_mov_b32_dpp v18, v3 row_shr:1 row_mask:0xf bank_mask:0xf
	v_mov_b32_dpp v19, v4 row_shr:1 row_mask:0xf bank_mask:0xf
	s_delay_alu instid0(VALU_DEP_2) | instskip(SKIP_1) | instid1(VALU_DEP_3)
	v_add_nc_u32_e32 v18, v18, v3
	v_and_b32_e32 v20, 7, v77
	v_add_nc_u32_e32 v19, v19, v4
	s_delay_alu instid0(VALU_DEP_2) | instskip(NEXT) | instid1(VALU_DEP_2)
	v_cmp_eq_u32_e32 vcc_lo, 0, v20
	v_dual_cndmask_b32 v4, v19, v4 :: v_dual_cndmask_b32 v3, v18, v3
	v_cmp_lt_u32_e32 vcc_lo, 1, v20
	s_delay_alu instid0(VALU_DEP_2) | instskip(NEXT) | instid1(VALU_DEP_3)
	v_mov_b32_dpp v19, v4 row_shr:2 row_mask:0xf bank_mask:0xf
	v_mov_b32_dpp v18, v3 row_shr:2 row_mask:0xf bank_mask:0xf
	s_delay_alu instid0(VALU_DEP_2) | instskip(NEXT) | instid1(VALU_DEP_2)
	v_add_nc_u32_e32 v19, v4, v19
	v_add_nc_u32_e32 v18, v3, v18
	s_delay_alu instid0(VALU_DEP_1) | instskip(SKIP_1) | instid1(VALU_DEP_2)
	v_dual_cndmask_b32 v4, v4, v19 :: v_dual_cndmask_b32 v3, v3, v18
	v_cmp_lt_u32_e32 vcc_lo, 3, v20
	v_mov_b32_dpp v19, v4 row_shr:4 row_mask:0xf bank_mask:0xf
	s_delay_alu instid0(VALU_DEP_3) | instskip(NEXT) | instid1(VALU_DEP_1)
	v_mov_b32_dpp v18, v3 row_shr:4 row_mask:0xf bank_mask:0xf
	v_dual_cndmask_b32 v19, 0, v19 :: v_dual_cndmask_b32 v18, 0, v18
	s_delay_alu instid0(VALU_DEP_1) | instskip(NEXT) | instid1(VALU_DEP_2)
	v_add_nc_u32_e32 v4, v19, v4
	v_add_nc_u32_e32 v3, v18, v3
	ds_store_b64 v5, v[3:4]
.LBB351_124:
	s_or_b32 exec_lo, exec_lo, s0
	v_dual_mov_b32 v3, 0 :: v_dual_mov_b32 v18, 0
	v_mov_b32_e32 v19, 0
	s_mov_b32 s0, exec_lo
	s_waitcnt lgkmcnt(0)
	s_barrier
	buffer_gl0_inv
	v_cmpx_lt_u32_e32 31, v0
	s_cbranch_execz .LBB351_126
; %bb.125:
	v_lshl_add_u32 v4, v78, 3, -8
	ds_load_b64 v[18:19], v4
.LBB351_126:
	s_or_b32 exec_lo, exec_lo, s0
	v_add_nc_u32_e32 v4, -1, v77
	s_waitcnt lgkmcnt(0)
	v_add_nc_u32_e32 v20, v19, v2
	v_add_nc_u32_e32 v5, v18, v1
	ds_load_b64 v[1:2], v3 offset:56
	v_cmp_gt_i32_e32 vcc_lo, 0, v4
	v_cndmask_b32_e32 v4, v4, v77, vcc_lo
	v_cmp_eq_u32_e32 vcc_lo, 0, v0
	s_delay_alu instid0(VALU_DEP_2)
	v_lshlrev_b32_e32 v4, 2, v4
	ds_bpermute_b32 v5, v4, v5
	ds_bpermute_b32 v20, v4, v20
	s_waitcnt lgkmcnt(2)
	v_readfirstlane_b32 s1, v2
	s_and_saveexec_b32 s0, vcc_lo
	s_cbranch_execz .LBB351_128
; %bb.127:
	s_mov_b32 s6, 0
	s_add_u32 s4, s4, 0x200
	s_addc_u32 s5, s5, 0
	s_and_b32 s7, s1, 0xff000000
	s_and_b32 s9, s1, 0xff0000
	s_mov_b32 s8, s6
	v_mov_b32_e32 v22, s5
	s_or_b64 s[8:9], s[8:9], s[6:7]
	s_and_b32 s7, s1, 0xff00
	v_dual_mov_b32 v4, 0 :: v_dual_mov_b32 v21, s4
	s_or_b64 s[8:9], s[8:9], s[6:7]
	s_and_b32 s7, s1, 0xff
	v_mov_b32_e32 v3, 2
	s_or_b64 s[6:7], s[8:9], s[6:7]
	s_delay_alu instid0(SALU_CYCLE_1)
	v_mov_b32_e32 v2, s7
	;;#ASMSTART
	global_store_dwordx4 v[21:22], v[1:4] off	
s_waitcnt vmcnt(0)
	;;#ASMEND
.LBB351_128:
	s_or_b32 exec_lo, exec_lo, s0
	v_cmp_eq_u32_e64 s0, 0, v77
	v_dual_mov_b32 v3, 0 :: v_dual_mov_b32 v2, s1
	s_waitcnt lgkmcnt(0)
	s_barrier
	s_delay_alu instid0(VALU_DEP_2)
	v_cndmask_b32_e64 v4, v5, v18, s0
	v_cndmask_b32_e64 v5, v20, v19, s0
	buffer_gl0_inv
	v_cndmask_b32_e64 v20, v4, 0, vcc_lo
	v_cndmask_b32_e64 v5, v5, 0, vcc_lo
	v_mov_b32_e32 v4, 0
.LBB351_129:
	v_and_b32_e32 v30, 1, v30
	v_and_b32_e32 v34, 1, v34
	;; [unrolled: 1-line block ×4, first 2 shown]
	s_waitcnt lgkmcnt(0)
	v_add_co_u32 v18, s0, s28, v3
	v_cmp_eq_u32_e32 vcc_lo, 1, v30
	v_add_nc_u32_e32 v22, v5, v76
	v_sub_nc_u32_e32 v5, v5, v4
	v_add_co_ci_u32_e64 v19, null, s29, 0, s0
	s_mov_b32 s2, -1
	s_delay_alu instid0(VALU_DEP_3) | instskip(SKIP_3) | instid1(VALU_DEP_3)
	v_add_nc_u32_e32 v24, v22, v72
	v_sub_nc_u32_e32 v22, v22, v4
	v_add_nc_u32_e32 v5, v5, v1
	v_sub_co_u32 v72, s0, s30, v1
	v_add_nc_u32_e32 v22, v22, v1
	v_add_nc_u32_e32 v21, v20, v75
	v_sub_nc_u32_e32 v20, v20, v3
	s_delay_alu instid0(VALU_DEP_2)
	v_add_nc_u32_e32 v23, v21, v71
	v_add_nc_u32_e32 v71, v24, v74
	v_lshlrev_b32_e32 v74, 1, v1
	v_sub_nc_u32_e32 v21, v21, v3
	v_add_nc_u32_e32 v75, v20, v5
	v_sub_nc_u32_e32 v24, v24, v4
	s_delay_alu instid0(VALU_DEP_4) | instskip(NEXT) | instid1(VALU_DEP_4)
	v_add3_u32 v28, v74, v2, v28
	v_add_nc_u32_e32 v76, v22, v21
	s_delay_alu instid0(VALU_DEP_3) | instskip(NEXT) | instid1(VALU_DEP_3)
	v_add_nc_u32_e32 v24, v24, v1
	v_sub_nc_u32_e32 v75, v28, v75
	s_delay_alu instid0(VALU_DEP_3) | instskip(NEXT) | instid1(VALU_DEP_1)
	v_sub_nc_u32_e32 v76, v28, v76
	v_dual_cndmask_b32 v5, v75, v5 :: v_dual_add_nc_u32 v30, 1, v76
	v_cmp_eq_u32_e32 vcc_lo, 1, v34
	s_delay_alu instid0(VALU_DEP_2) | instskip(SKIP_1) | instid1(VALU_DEP_4)
	v_cndmask_b32_e32 v22, v30, v22, vcc_lo
	v_cmp_eq_u32_e32 vcc_lo, 1, v29
	v_cndmask_b32_e32 v5, v5, v20, vcc_lo
	v_and_b32_e32 v20, 1, v36
	v_cmp_eq_u32_e32 vcc_lo, 1, v33
	s_delay_alu instid0(VALU_DEP_3) | instskip(SKIP_1) | instid1(VALU_DEP_4)
	v_lshlrev_b32_e32 v5, 2, v5
	v_cndmask_b32_e32 v21, v22, v21, vcc_lo
	v_cmp_eq_u32_e32 vcc_lo, 1, v20
	v_add_nc_u32_e32 v25, v23, v73
	v_sub_nc_u32_e32 v23, v23, v3
	v_and_b32_e32 v22, 1, v31
	v_sub_co_ci_u32_e64 v73, null, s31, 0, s0
	v_and_b32_e32 v31, 1, v32
	s_delay_alu instid0(VALU_DEP_4) | instskip(NEXT) | instid1(VALU_DEP_1)
	v_add_nc_u32_e32 v77, v24, v23
	v_sub_nc_u32_e32 v75, v28, v77
	s_delay_alu instid0(VALU_DEP_1) | instskip(NEXT) | instid1(VALU_DEP_1)
	v_add_nc_u32_e32 v29, 2, v75
	v_cndmask_b32_e32 v20, v29, v24, vcc_lo
	v_sub_nc_u32_e32 v24, v71, v4
	v_cmp_eq_u32_e32 vcc_lo, 1, v22
	v_add_nc_u32_e32 v69, v25, v69
	v_lshlrev_b32_e32 v29, 2, v21
	ds_store_b32 v5, v16
	ds_store_b32 v29, v17
	v_cndmask_b32_e32 v22, v20, v23, vcc_lo
	v_sub_nc_u32_e32 v23, v25, v3
	v_add_nc_u32_e32 v24, v24, v1
	v_add_co_u32 v20, vcc_lo, v72, v4
	s_delay_alu instid0(VALU_DEP_4) | instskip(SKIP_1) | instid1(VALU_DEP_4)
	v_lshlrev_b32_e32 v5, 2, v22
	v_and_b32_e32 v22, 1, v35
	v_add_nc_u32_e32 v25, v23, v24
	v_add_co_ci_u32_e32 v21, vcc_lo, 0, v73, vcc_lo
	ds_store_b32 v5, v14
	v_cmp_eq_u32_e32 vcc_lo, 1, v22
	v_sub_nc_u32_e32 v17, v28, v25
	v_sub_nc_u32_e32 v29, v69, v3
	v_add_nc_u32_e32 v67, v69, v67
	s_delay_alu instid0(VALU_DEP_3) | instskip(NEXT) | instid1(VALU_DEP_2)
	v_add_nc_u32_e32 v17, 3, v17
	v_sub_nc_u32_e32 v30, v67, v3
	s_delay_alu instid0(VALU_DEP_2) | instskip(SKIP_2) | instid1(VALU_DEP_3)
	v_cndmask_b32_e32 v17, v17, v24, vcc_lo
	v_cmp_eq_u32_e32 vcc_lo, 1, v31
	v_and_b32_e32 v24, 1, v39
	v_cndmask_b32_e32 v14, v17, v23, vcc_lo
	v_add_nc_u32_e32 v70, v71, v70
	v_and_b32_e32 v23, 1, v38
	s_delay_alu instid0(VALU_DEP_3) | instskip(NEXT) | instid1(VALU_DEP_3)
	v_lshlrev_b32_e32 v14, 2, v14
	v_add_nc_u32_e32 v68, v70, v68
	v_sub_nc_u32_e32 v16, v70, v4
	ds_store_b32 v14, v15
	v_sub_nc_u32_e32 v25, v68, v4
	v_add_nc_u32_e32 v16, v16, v1
	s_delay_alu instid0(VALU_DEP_2) | instskip(NEXT) | instid1(VALU_DEP_2)
	v_add_nc_u32_e32 v25, v25, v1
	v_add_nc_u32_e32 v32, v29, v16
	s_delay_alu instid0(VALU_DEP_2) | instskip(NEXT) | instid1(VALU_DEP_2)
	v_add_nc_u32_e32 v22, v30, v25
	v_sub_nc_u32_e32 v5, v28, v32
	s_delay_alu instid0(VALU_DEP_2) | instskip(SKIP_1) | instid1(VALU_DEP_3)
	v_sub_nc_u32_e32 v17, v28, v22
	v_and_b32_e32 v22, 1, v37
	v_add_nc_u32_e32 v5, 4, v5
	s_delay_alu instid0(VALU_DEP_3) | instskip(NEXT) | instid1(VALU_DEP_3)
	v_add_nc_u32_e32 v17, 5, v17
	v_cmp_eq_u32_e32 vcc_lo, 1, v22
	s_delay_alu instid0(VALU_DEP_3)
	v_cndmask_b32_e32 v5, v5, v16, vcc_lo
	v_cmp_eq_u32_e32 vcc_lo, 1, v24
	v_and_b32_e32 v16, 1, v41
	v_cndmask_b32_e32 v17, v17, v25, vcc_lo
	v_cmp_eq_u32_e32 vcc_lo, 1, v23
	v_cndmask_b32_e32 v5, v5, v29, vcc_lo
	s_delay_alu instid0(VALU_DEP_4) | instskip(SKIP_1) | instid1(VALU_DEP_3)
	v_cmp_eq_u32_e32 vcc_lo, 1, v16
	v_add_nc_u32_e32 v66, v68, v66
	v_dual_cndmask_b32 v16, v17, v30 :: v_dual_lshlrev_b32 v5, 2, v5
	s_delay_alu instid0(VALU_DEP_2) | instskip(SKIP_1) | instid1(VALU_DEP_3)
	v_sub_nc_u32_e32 v22, v66, v4
	v_add_nc_u32_e32 v62, v66, v62
	v_lshlrev_b32_e32 v16, 2, v16
	ds_store_b32 v5, v12
	ds_store_b32 v16, v13
	v_and_b32_e32 v12, 1, v40
	v_add_nc_u32_e32 v22, v22, v1
	v_add_nc_u32_e32 v64, v62, v64
	v_sub_nc_u32_e32 v17, v62, v4
	v_and_b32_e32 v16, 1, v43
	v_cmp_eq_u32_e32 vcc_lo, 1, v12
	v_add_nc_u32_e32 v65, v67, v65
	v_sub_nc_u32_e32 v15, v64, v4
	v_add_nc_u32_e32 v17, v17, v1
	s_delay_alu instid0(VALU_DEP_3) | instskip(NEXT) | instid1(VALU_DEP_3)
	v_sub_nc_u32_e32 v23, v65, v3
	v_add_nc_u32_e32 v15, v15, v1
	s_delay_alu instid0(VALU_DEP_2) | instskip(NEXT) | instid1(VALU_DEP_1)
	v_add_nc_u32_e32 v24, v23, v22
	v_sub_nc_u32_e32 v14, v28, v24
	v_and_b32_e32 v24, 1, v48
	s_delay_alu instid0(VALU_DEP_2) | instskip(SKIP_1) | instid1(VALU_DEP_2)
	v_add_nc_u32_e32 v13, 6, v14
	v_and_b32_e32 v14, 1, v42
	v_cndmask_b32_e32 v12, v13, v22, vcc_lo
	v_add_nc_u32_e32 v61, v65, v61
	s_delay_alu instid0(VALU_DEP_3) | instskip(SKIP_1) | instid1(VALU_DEP_3)
	v_cmp_eq_u32_e32 vcc_lo, 1, v14
	v_and_b32_e32 v22, 1, v44
	v_sub_nc_u32_e32 v25, v61, v3
	v_add_nc_u32_e32 v63, v61, v63
	v_cndmask_b32_e32 v12, v12, v23, vcc_lo
	v_cmp_eq_u32_e32 vcc_lo, 1, v16
	v_and_b32_e32 v23, 1, v46
	v_add_nc_u32_e32 v5, v25, v17
	v_sub_nc_u32_e32 v13, v63, v3
	v_lshlrev_b32_e32 v12, 2, v12
	v_add_nc_u32_e32 v59, v63, v59
	s_delay_alu instid0(VALU_DEP_4) | instskip(NEXT) | instid1(VALU_DEP_4)
	v_sub_nc_u32_e32 v5, v28, v5
	v_add_nc_u32_e32 v14, v13, v15
	s_delay_alu instid0(VALU_DEP_3) | instskip(NEXT) | instid1(VALU_DEP_3)
	v_add_nc_u32_e32 v57, v59, v57
	v_add_nc_u32_e32 v5, 7, v5
	s_delay_alu instid0(VALU_DEP_3) | instskip(NEXT) | instid1(VALU_DEP_3)
	v_sub_nc_u32_e32 v14, v28, v14
	v_add_nc_u32_e32 v55, v57, v55
	s_delay_alu instid0(VALU_DEP_3)
	v_cndmask_b32_e32 v5, v5, v17, vcc_lo
	v_cmp_eq_u32_e32 vcc_lo, 1, v22
	v_and_b32_e32 v17, 1, v45
	v_add_nc_u32_e32 v14, 8, v14
	v_sub_nc_u32_e32 v22, v59, v3
	v_add_nc_u32_e32 v53, v55, v53
	v_cndmask_b32_e32 v5, v5, v25, vcc_lo
	v_cmp_eq_u32_e32 vcc_lo, 1, v17
	v_sub_nc_u32_e32 v17, v55, v3
	v_and_b32_e32 v25, 1, v52
	s_delay_alu instid0(VALU_DEP_4)
	v_dual_cndmask_b32 v14, v14, v15 :: v_dual_lshlrev_b32 v5, 2, v5
	v_cmp_eq_u32_e32 vcc_lo, 1, v23
	v_add_nc_u32_e32 v60, v64, v60
	ds_store_b32 v12, v10
	ds_store_b32 v5, v11
	v_and_b32_e32 v11, 1, v49
	v_cndmask_b32_e32 v5, v14, v13, vcc_lo
	v_sub_nc_u32_e32 v16, v60, v4
	v_add_nc_u32_e32 v58, v60, v58
	v_and_b32_e32 v13, 1, v47
	s_delay_alu instid0(VALU_DEP_4) | instskip(NEXT) | instid1(VALU_DEP_4)
	v_lshlrev_b32_e32 v5, 2, v5
	v_add_nc_u32_e32 v16, v16, v1
	s_delay_alu instid0(VALU_DEP_4) | instskip(SKIP_2) | instid1(VALU_DEP_4)
	v_add_nc_u32_e32 v56, v58, v56
	v_sub_nc_u32_e32 v12, v58, v4
	v_cmp_eq_u32_e32 vcc_lo, 1, v13
	v_add_nc_u32_e32 v15, v22, v16
	s_delay_alu instid0(VALU_DEP_4) | instskip(NEXT) | instid1(VALU_DEP_4)
	v_sub_nc_u32_e32 v14, v56, v4
	v_add_nc_u32_e32 v12, v12, v1
	v_add_nc_u32_e32 v54, v56, v54
	s_delay_alu instid0(VALU_DEP_4) | instskip(SKIP_2) | instid1(VALU_DEP_4)
	v_sub_nc_u32_e32 v10, v28, v15
	v_sub_nc_u32_e32 v15, v57, v3
	v_add_nc_u32_e32 v14, v14, v1
	v_sub_nc_u32_e32 v23, v54, v4
	v_sub_nc_u32_e32 v3, v53, v3
	v_add_nc_u32_e32 v10, 9, v10
	v_add_nc_u32_e32 v13, v15, v12
	s_delay_alu instid0(VALU_DEP_2) | instskip(SKIP_2) | instid1(VALU_DEP_4)
	v_dual_cndmask_b32 v10, v10, v16 :: v_dual_add_nc_u32 v23, v23, v1
	v_add_nc_u32_e32 v16, v17, v14
	v_cmp_eq_u32_e32 vcc_lo, 1, v11
	v_sub_nc_u32_e32 v11, v28, v13
	v_and_b32_e32 v13, 1, v50
	s_delay_alu instid0(VALU_DEP_4) | instskip(NEXT) | instid1(VALU_DEP_3)
	v_sub_nc_u32_e32 v16, v28, v16
	v_dual_cndmask_b32 v10, v10, v22 :: v_dual_add_nc_u32 v11, 10, v11
	v_cmp_eq_u32_e32 vcc_lo, 1, v24
	v_add_nc_u32_e32 v22, v3, v23
	s_delay_alu instid0(VALU_DEP_4) | instskip(NEXT) | instid1(VALU_DEP_4)
	v_add_nc_u32_e32 v16, 11, v16
	v_dual_cndmask_b32 v11, v11, v12 :: v_dual_lshlrev_b32 v10, 2, v10
	v_cmp_eq_u32_e32 vcc_lo, 1, v25
	s_delay_alu instid0(VALU_DEP_4) | instskip(SKIP_3) | instid1(VALU_DEP_4)
	v_sub_nc_u32_e32 v22, v28, v22
	v_and_b32_e32 v12, 1, v51
	v_cndmask_b32_e32 v14, v16, v14, vcc_lo
	v_cmp_eq_u32_e32 vcc_lo, 1, v13
	v_dual_cndmask_b32 v11, v11, v15 :: v_dual_add_nc_u32 v16, 12, v22
	s_delay_alu instid0(VALU_DEP_4) | instskip(NEXT) | instid1(VALU_DEP_2)
	v_cmp_eq_u32_e32 vcc_lo, 1, v12
	v_cndmask_b32_e64 v13, v16, v23, s43
	s_delay_alu instid0(VALU_DEP_3) | instskip(NEXT) | instid1(VALU_DEP_2)
	v_dual_cndmask_b32 v12, v14, v17 :: v_dual_lshlrev_b32 v11, 2, v11
	v_cndmask_b32_e64 v3, v13, v3, s42
	s_delay_alu instid0(VALU_DEP_2)
	v_lshlrev_b32_e32 v12, 2, v12
	ds_store_b32 v5, v8
	ds_store_b32 v10, v9
	ds_store_b32 v11, v6
	ds_store_b32 v12, v7
	v_lshlrev_b32_e32 v3, 2, v3
	v_add_co_u32 v5, s0, v2, v74
	s_delay_alu instid0(VALU_DEP_1) | instskip(SKIP_4) | instid1(VALU_DEP_2)
	v_add_co_ci_u32_e64 v6, null, 0, 0, s0
	ds_store_b32 v3, v27
	v_add_co_u32 v3, vcc_lo, v5, v20
	v_add_co_ci_u32_e32 v5, vcc_lo, v6, v21, vcc_lo
	s_add_u32 s0, s34, s33
	v_add_co_u32 v3, vcc_lo, v3, v18
	s_delay_alu instid0(VALU_DEP_2) | instskip(SKIP_1) | instid1(VALU_DEP_2)
	v_add_co_ci_u32_e32 v5, vcc_lo, v5, v19, vcc_lo
	s_addc_u32 s1, s35, 0
	v_sub_co_u32 v3, vcc_lo, s0, v3
	s_delay_alu instid0(VALU_DEP_2)
	v_sub_co_ci_u32_e32 v9, vcc_lo, s1, v5, vcc_lo
	v_lshlrev_b64 v[5:6], 2, v[20:21]
	v_lshlrev_b64 v[7:8], 2, v[18:19]
	v_add_nc_u32_e32 v10, v1, v2
	s_add_u32 s1, s26, -4
	s_waitcnt lgkmcnt(0)
	s_barrier
	v_add_co_u32 v5, vcc_lo, s38, v5
	v_add_co_ci_u32_e32 v6, vcc_lo, s39, v6, vcc_lo
	v_cmp_ne_u32_e32 vcc_lo, 1, v26
	v_add_co_u32 v7, s0, s36, v7
	s_delay_alu instid0(VALU_DEP_1)
	v_add_co_ci_u32_e64 v8, s0, s37, v8, s0
	s_addc_u32 s0, s27, -1
	buffer_gl0_inv
	s_cbranch_vccz .LBB351_133
; %bb.130:
	s_and_b32 vcc_lo, exec_lo, s2
	s_cbranch_vccnz .LBB351_238
.LBB351_131:
	v_cmp_eq_u32_e32 vcc_lo, 0, v0
	s_and_b32 s0, vcc_lo, s14
	s_delay_alu instid0(SALU_CYCLE_1)
	s_and_saveexec_b32 s1, s0
	s_cbranch_execnz .LBB351_356
.LBB351_132:
	s_nop 0
	s_sendmsg sendmsg(MSG_DEALLOC_VGPRS)
	s_endpgm
.LBB351_133:
	s_mov_b32 s2, exec_lo
	v_cmpx_le_u32_e64 v1, v0
	s_xor_b32 s2, exec_lo, s2
	s_cbranch_execz .LBB351_139
; %bb.134:
	s_mov_b32 s4, exec_lo
	v_cmpx_le_u32_e64 v10, v0
	s_xor_b32 s4, exec_lo, s4
	s_cbranch_execz .LBB351_136
; %bb.135:
	v_lshlrev_b32_e32 v11, 2, v0
	ds_load_b32 v13, v11
	v_add_co_u32 v11, vcc_lo, v3, v0
	v_add_co_ci_u32_e32 v12, vcc_lo, 0, v9, vcc_lo
	s_delay_alu instid0(VALU_DEP_1) | instskip(NEXT) | instid1(VALU_DEP_1)
	v_lshlrev_b64 v[11:12], 2, v[11:12]
	v_sub_co_u32 v11, vcc_lo, s26, v11
	s_delay_alu instid0(VALU_DEP_2)
	v_sub_co_ci_u32_e32 v12, vcc_lo, s27, v12, vcc_lo
	s_waitcnt lgkmcnt(0)
	global_store_b32 v[11:12], v13, off offset:-4
.LBB351_136:
	s_and_not1_saveexec_b32 s4, s4
	s_cbranch_execz .LBB351_138
; %bb.137:
	v_lshlrev_b32_e32 v11, 2, v0
	v_readfirstlane_b32 s6, v5
	v_readfirstlane_b32 s7, v6
	ds_load_b32 v12, v11
	s_waitcnt lgkmcnt(0)
	global_store_b32 v11, v12, s[6:7]
.LBB351_138:
	s_or_b32 exec_lo, exec_lo, s4
.LBB351_139:
	s_and_not1_saveexec_b32 s2, s2
	s_cbranch_execz .LBB351_141
; %bb.140:
	v_lshlrev_b32_e32 v11, 2, v0
	v_readfirstlane_b32 s4, v7
	v_readfirstlane_b32 s5, v8
	ds_load_b32 v12, v11
	s_waitcnt lgkmcnt(0)
	global_store_b32 v11, v12, s[4:5]
.LBB351_141:
	s_or_b32 exec_lo, exec_lo, s2
	v_or_b32_e32 v11, 0x100, v0
	s_mov_b32 s2, exec_lo
	s_delay_alu instid0(VALU_DEP_1)
	v_cmpx_le_u32_e64 v1, v11
	s_xor_b32 s2, exec_lo, s2
	s_cbranch_execz .LBB351_147
; %bb.142:
	s_mov_b32 s4, exec_lo
	v_cmpx_le_u32_e64 v10, v11
	s_xor_b32 s4, exec_lo, s4
	s_cbranch_execz .LBB351_144
; %bb.143:
	v_lshlrev_b32_e32 v11, 2, v0
	ds_load_b32 v13, v11 offset:1024
	v_add_co_u32 v11, vcc_lo, v3, v0
	v_add_co_ci_u32_e32 v12, vcc_lo, 0, v9, vcc_lo
	s_delay_alu instid0(VALU_DEP_1) | instskip(NEXT) | instid1(VALU_DEP_1)
	v_lshlrev_b64 v[11:12], 2, v[11:12]
	v_sub_co_u32 v11, vcc_lo, s1, v11
	s_delay_alu instid0(VALU_DEP_2)
	v_sub_co_ci_u32_e32 v12, vcc_lo, s0, v12, vcc_lo
	s_waitcnt lgkmcnt(0)
	global_store_b32 v[11:12], v13, off offset:-1024
.LBB351_144:
	s_and_not1_saveexec_b32 s4, s4
	s_cbranch_execz .LBB351_146
; %bb.145:
	v_lshlrev_b32_e32 v11, 2, v0
	v_readfirstlane_b32 s6, v5
	v_readfirstlane_b32 s7, v6
	ds_load_b32 v12, v11 offset:1024
	s_waitcnt lgkmcnt(0)
	global_store_b32 v11, v12, s[6:7] offset:1024
.LBB351_146:
	s_or_b32 exec_lo, exec_lo, s4
.LBB351_147:
	s_and_not1_saveexec_b32 s2, s2
	s_cbranch_execz .LBB351_149
; %bb.148:
	v_lshlrev_b32_e32 v11, 2, v0
	v_readfirstlane_b32 s4, v7
	v_readfirstlane_b32 s5, v8
	ds_load_b32 v12, v11 offset:1024
	s_waitcnt lgkmcnt(0)
	global_store_b32 v11, v12, s[4:5] offset:1024
.LBB351_149:
	s_or_b32 exec_lo, exec_lo, s2
	v_or_b32_e32 v11, 0x200, v0
	s_mov_b32 s2, exec_lo
	s_delay_alu instid0(VALU_DEP_1)
	v_cmpx_le_u32_e64 v1, v11
	s_xor_b32 s2, exec_lo, s2
	s_cbranch_execz .LBB351_155
; %bb.150:
	s_mov_b32 s4, exec_lo
	v_cmpx_le_u32_e64 v10, v11
	s_xor_b32 s4, exec_lo, s4
	s_cbranch_execz .LBB351_152
; %bb.151:
	v_lshlrev_b32_e32 v11, 2, v0
	ds_load_b32 v13, v11 offset:2048
	v_add_co_u32 v11, vcc_lo, v3, v0
	v_add_co_ci_u32_e32 v12, vcc_lo, 0, v9, vcc_lo
	s_delay_alu instid0(VALU_DEP_1) | instskip(NEXT) | instid1(VALU_DEP_1)
	v_lshlrev_b64 v[11:12], 2, v[11:12]
	v_sub_co_u32 v11, vcc_lo, s1, v11
	s_delay_alu instid0(VALU_DEP_2)
	v_sub_co_ci_u32_e32 v12, vcc_lo, s0, v12, vcc_lo
	s_waitcnt lgkmcnt(0)
	global_store_b32 v[11:12], v13, off offset:-2048
.LBB351_152:
	s_and_not1_saveexec_b32 s4, s4
	s_cbranch_execz .LBB351_154
; %bb.153:
	v_lshlrev_b32_e32 v11, 2, v0
	v_readfirstlane_b32 s6, v5
	v_readfirstlane_b32 s7, v6
	ds_load_b32 v12, v11 offset:2048
	s_waitcnt lgkmcnt(0)
	global_store_b32 v11, v12, s[6:7] offset:2048
.LBB351_154:
	s_or_b32 exec_lo, exec_lo, s4
.LBB351_155:
	s_and_not1_saveexec_b32 s2, s2
	s_cbranch_execz .LBB351_157
; %bb.156:
	v_lshlrev_b32_e32 v11, 2, v0
	v_readfirstlane_b32 s4, v7
	v_readfirstlane_b32 s5, v8
	ds_load_b32 v12, v11 offset:2048
	s_waitcnt lgkmcnt(0)
	global_store_b32 v11, v12, s[4:5] offset:2048
.LBB351_157:
	;; [unrolled: 47-line block ×3, first 2 shown]
	s_or_b32 exec_lo, exec_lo, s2
	v_or_b32_e32 v11, 0x400, v0
	s_mov_b32 s2, exec_lo
	s_delay_alu instid0(VALU_DEP_1)
	v_cmpx_le_u32_e64 v1, v11
	s_xor_b32 s2, exec_lo, s2
	s_cbranch_execz .LBB351_171
; %bb.166:
	s_mov_b32 s4, exec_lo
	v_cmpx_le_u32_e64 v10, v11
	s_xor_b32 s4, exec_lo, s4
	s_cbranch_execz .LBB351_168
; %bb.167:
	v_lshlrev_b32_e32 v11, 2, v0
	ds_load_b32 v13, v11 offset:4096
	v_add_co_u32 v11, vcc_lo, v3, v0
	v_add_co_ci_u32_e32 v12, vcc_lo, 0, v9, vcc_lo
	s_delay_alu instid0(VALU_DEP_1) | instskip(NEXT) | instid1(VALU_DEP_1)
	v_lshlrev_b64 v[11:12], 2, v[11:12]
	v_sub_co_u32 v11, vcc_lo, s1, v11
	s_delay_alu instid0(VALU_DEP_2)
	v_sub_co_ci_u32_e32 v12, vcc_lo, s0, v12, vcc_lo
	s_waitcnt lgkmcnt(0)
	global_store_b32 v[11:12], v13, off offset:-4096
                                        ; implicit-def: $vgpr11
.LBB351_168:
	s_and_not1_saveexec_b32 s4, s4
	s_cbranch_execz .LBB351_170
; %bb.169:
	v_lshlrev_b32_e32 v12, 2, v0
	v_lshlrev_b32_e32 v11, 2, v11
	v_readfirstlane_b32 s6, v5
	v_readfirstlane_b32 s7, v6
	ds_load_b32 v12, v12 offset:4096
	s_waitcnt lgkmcnt(0)
	global_store_b32 v11, v12, s[6:7]
.LBB351_170:
	s_or_b32 exec_lo, exec_lo, s4
                                        ; implicit-def: $vgpr11
.LBB351_171:
	s_and_not1_saveexec_b32 s2, s2
	s_cbranch_execz .LBB351_173
; %bb.172:
	v_lshlrev_b32_e32 v12, 2, v0
	v_lshlrev_b32_e32 v11, 2, v11
	v_readfirstlane_b32 s4, v7
	v_readfirstlane_b32 s5, v8
	ds_load_b32 v12, v12 offset:4096
	s_waitcnt lgkmcnt(0)
	global_store_b32 v11, v12, s[4:5]
.LBB351_173:
	s_or_b32 exec_lo, exec_lo, s2
	v_or_b32_e32 v11, 0x500, v0
	s_mov_b32 s2, exec_lo
	s_delay_alu instid0(VALU_DEP_1)
	v_cmpx_le_u32_e64 v1, v11
	s_xor_b32 s2, exec_lo, s2
	s_cbranch_execz .LBB351_179
; %bb.174:
	s_mov_b32 s4, exec_lo
	v_cmpx_le_u32_e64 v10, v11
	s_xor_b32 s4, exec_lo, s4
	s_cbranch_execz .LBB351_176
; %bb.175:
	v_lshlrev_b32_e32 v12, 2, v0
	v_add_co_u32 v11, vcc_lo, v3, v11
	ds_load_b32 v13, v12 offset:5120
	v_add_co_ci_u32_e32 v12, vcc_lo, 0, v9, vcc_lo
	s_delay_alu instid0(VALU_DEP_1) | instskip(NEXT) | instid1(VALU_DEP_1)
	v_lshlrev_b64 v[11:12], 2, v[11:12]
	v_sub_co_u32 v11, vcc_lo, s1, v11
	s_delay_alu instid0(VALU_DEP_2)
	v_sub_co_ci_u32_e32 v12, vcc_lo, s0, v12, vcc_lo
	s_waitcnt lgkmcnt(0)
	global_store_b32 v[11:12], v13, off
                                        ; implicit-def: $vgpr11
.LBB351_176:
	s_and_not1_saveexec_b32 s4, s4
	s_cbranch_execz .LBB351_178
; %bb.177:
	v_lshlrev_b32_e32 v12, 2, v0
	v_lshlrev_b32_e32 v11, 2, v11
	v_readfirstlane_b32 s6, v5
	v_readfirstlane_b32 s7, v6
	ds_load_b32 v12, v12 offset:5120
	s_waitcnt lgkmcnt(0)
	global_store_b32 v11, v12, s[6:7]
.LBB351_178:
	s_or_b32 exec_lo, exec_lo, s4
                                        ; implicit-def: $vgpr11
.LBB351_179:
	s_and_not1_saveexec_b32 s2, s2
	s_cbranch_execz .LBB351_181
; %bb.180:
	v_lshlrev_b32_e32 v12, 2, v0
	v_lshlrev_b32_e32 v11, 2, v11
	v_readfirstlane_b32 s4, v7
	v_readfirstlane_b32 s5, v8
	ds_load_b32 v12, v12 offset:5120
	s_waitcnt lgkmcnt(0)
	global_store_b32 v11, v12, s[4:5]
.LBB351_181:
	s_or_b32 exec_lo, exec_lo, s2
	v_or_b32_e32 v11, 0x600, v0
	s_mov_b32 s2, exec_lo
	s_delay_alu instid0(VALU_DEP_1)
	v_cmpx_le_u32_e64 v1, v11
	s_xor_b32 s2, exec_lo, s2
	s_cbranch_execz .LBB351_187
; %bb.182:
	s_mov_b32 s4, exec_lo
	v_cmpx_le_u32_e64 v10, v11
	s_xor_b32 s4, exec_lo, s4
	s_cbranch_execz .LBB351_184
; %bb.183:
	v_lshlrev_b32_e32 v12, 2, v0
	v_add_co_u32 v11, vcc_lo, v3, v11
	ds_load_b32 v13, v12 offset:6144
	v_add_co_ci_u32_e32 v12, vcc_lo, 0, v9, vcc_lo
	s_delay_alu instid0(VALU_DEP_1) | instskip(NEXT) | instid1(VALU_DEP_1)
	v_lshlrev_b64 v[11:12], 2, v[11:12]
	v_sub_co_u32 v11, vcc_lo, s1, v11
	s_delay_alu instid0(VALU_DEP_2)
	v_sub_co_ci_u32_e32 v12, vcc_lo, s0, v12, vcc_lo
	s_waitcnt lgkmcnt(0)
	global_store_b32 v[11:12], v13, off
                                        ; implicit-def: $vgpr11
.LBB351_184:
	s_and_not1_saveexec_b32 s4, s4
	s_cbranch_execz .LBB351_186
; %bb.185:
	v_lshlrev_b32_e32 v12, 2, v0
	v_lshlrev_b32_e32 v11, 2, v11
	v_readfirstlane_b32 s6, v5
	v_readfirstlane_b32 s7, v6
	ds_load_b32 v12, v12 offset:6144
	s_waitcnt lgkmcnt(0)
	global_store_b32 v11, v12, s[6:7]
.LBB351_186:
	s_or_b32 exec_lo, exec_lo, s4
                                        ; implicit-def: $vgpr11
.LBB351_187:
	;; [unrolled: 51-line block ×8, first 2 shown]
	s_and_not1_saveexec_b32 s2, s2
	s_cbranch_execz .LBB351_237
; %bb.236:
	v_lshlrev_b32_e32 v12, 2, v0
	v_lshlrev_b32_e32 v11, 2, v11
	v_readfirstlane_b32 s4, v7
	v_readfirstlane_b32 s5, v8
	ds_load_b32 v12, v12 offset:12288
	s_waitcnt lgkmcnt(0)
	global_store_b32 v11, v12, s[4:5]
.LBB351_237:
	s_or_b32 exec_lo, exec_lo, s2
	s_branch .LBB351_131
.LBB351_238:
	s_mov_b32 s2, exec_lo
	v_cmpx_gt_u32_e64 s3, v0
	s_cbranch_execz .LBB351_247
; %bb.239:
	s_mov_b32 s4, exec_lo
	v_cmpx_le_u32_e64 v1, v0
	s_xor_b32 s4, exec_lo, s4
	s_cbranch_execz .LBB351_245
; %bb.240:
	s_mov_b32 s5, exec_lo
	v_cmpx_le_u32_e64 v10, v0
	s_xor_b32 s5, exec_lo, s5
	s_cbranch_execz .LBB351_242
; %bb.241:
	v_lshlrev_b32_e32 v11, 2, v0
	ds_load_b32 v13, v11
	v_add_co_u32 v11, vcc_lo, v3, v0
	v_add_co_ci_u32_e32 v12, vcc_lo, 0, v9, vcc_lo
	s_delay_alu instid0(VALU_DEP_1) | instskip(NEXT) | instid1(VALU_DEP_1)
	v_lshlrev_b64 v[11:12], 2, v[11:12]
	v_sub_co_u32 v11, vcc_lo, s26, v11
	s_delay_alu instid0(VALU_DEP_2)
	v_sub_co_ci_u32_e32 v12, vcc_lo, s27, v12, vcc_lo
	s_waitcnt lgkmcnt(0)
	global_store_b32 v[11:12], v13, off offset:-4
.LBB351_242:
	s_and_not1_saveexec_b32 s5, s5
	s_cbranch_execz .LBB351_244
; %bb.243:
	v_lshlrev_b32_e32 v11, 2, v0
	v_readfirstlane_b32 s6, v5
	v_readfirstlane_b32 s7, v6
	ds_load_b32 v12, v11
	s_waitcnt lgkmcnt(0)
	global_store_b32 v11, v12, s[6:7]
.LBB351_244:
	s_or_b32 exec_lo, exec_lo, s5
.LBB351_245:
	s_and_not1_saveexec_b32 s4, s4
	s_cbranch_execz .LBB351_247
; %bb.246:
	v_lshlrev_b32_e32 v11, 2, v0
	v_readfirstlane_b32 s4, v7
	v_readfirstlane_b32 s5, v8
	ds_load_b32 v12, v11
	s_waitcnt lgkmcnt(0)
	global_store_b32 v11, v12, s[4:5]
.LBB351_247:
	s_or_b32 exec_lo, exec_lo, s2
	v_or_b32_e32 v11, 0x100, v0
	s_mov_b32 s2, exec_lo
	s_delay_alu instid0(VALU_DEP_1)
	v_cmpx_gt_u32_e64 s3, v11
	s_cbranch_execz .LBB351_256
; %bb.248:
	s_mov_b32 s4, exec_lo
	v_cmpx_le_u32_e64 v1, v11
	s_xor_b32 s4, exec_lo, s4
	s_cbranch_execz .LBB351_254
; %bb.249:
	s_mov_b32 s5, exec_lo
	v_cmpx_le_u32_e64 v10, v11
	s_xor_b32 s5, exec_lo, s5
	s_cbranch_execz .LBB351_251
; %bb.250:
	v_lshlrev_b32_e32 v11, 2, v0
	ds_load_b32 v13, v11 offset:1024
	v_add_co_u32 v11, vcc_lo, v3, v0
	v_add_co_ci_u32_e32 v12, vcc_lo, 0, v9, vcc_lo
	s_delay_alu instid0(VALU_DEP_1) | instskip(NEXT) | instid1(VALU_DEP_1)
	v_lshlrev_b64 v[11:12], 2, v[11:12]
	v_sub_co_u32 v11, vcc_lo, s1, v11
	s_delay_alu instid0(VALU_DEP_2)
	v_sub_co_ci_u32_e32 v12, vcc_lo, s0, v12, vcc_lo
	s_waitcnt lgkmcnt(0)
	global_store_b32 v[11:12], v13, off offset:-1024
.LBB351_251:
	s_and_not1_saveexec_b32 s5, s5
	s_cbranch_execz .LBB351_253
; %bb.252:
	v_lshlrev_b32_e32 v11, 2, v0
	v_readfirstlane_b32 s6, v5
	v_readfirstlane_b32 s7, v6
	ds_load_b32 v12, v11 offset:1024
	s_waitcnt lgkmcnt(0)
	global_store_b32 v11, v12, s[6:7] offset:1024
.LBB351_253:
	s_or_b32 exec_lo, exec_lo, s5
.LBB351_254:
	s_and_not1_saveexec_b32 s4, s4
	s_cbranch_execz .LBB351_256
; %bb.255:
	v_lshlrev_b32_e32 v11, 2, v0
	v_readfirstlane_b32 s4, v7
	v_readfirstlane_b32 s5, v8
	ds_load_b32 v12, v11 offset:1024
	s_waitcnt lgkmcnt(0)
	global_store_b32 v11, v12, s[4:5] offset:1024
.LBB351_256:
	s_or_b32 exec_lo, exec_lo, s2
	v_or_b32_e32 v11, 0x200, v0
	s_mov_b32 s2, exec_lo
	s_delay_alu instid0(VALU_DEP_1)
	v_cmpx_gt_u32_e64 s3, v11
	s_cbranch_execz .LBB351_265
; %bb.257:
	s_mov_b32 s4, exec_lo
	v_cmpx_le_u32_e64 v1, v11
	s_xor_b32 s4, exec_lo, s4
	s_cbranch_execz .LBB351_263
; %bb.258:
	s_mov_b32 s5, exec_lo
	v_cmpx_le_u32_e64 v10, v11
	s_xor_b32 s5, exec_lo, s5
	s_cbranch_execz .LBB351_260
; %bb.259:
	v_lshlrev_b32_e32 v11, 2, v0
	ds_load_b32 v13, v11 offset:2048
	v_add_co_u32 v11, vcc_lo, v3, v0
	v_add_co_ci_u32_e32 v12, vcc_lo, 0, v9, vcc_lo
	s_delay_alu instid0(VALU_DEP_1) | instskip(NEXT) | instid1(VALU_DEP_1)
	v_lshlrev_b64 v[11:12], 2, v[11:12]
	v_sub_co_u32 v11, vcc_lo, s1, v11
	s_delay_alu instid0(VALU_DEP_2)
	v_sub_co_ci_u32_e32 v12, vcc_lo, s0, v12, vcc_lo
	s_waitcnt lgkmcnt(0)
	global_store_b32 v[11:12], v13, off offset:-2048
.LBB351_260:
	s_and_not1_saveexec_b32 s5, s5
	s_cbranch_execz .LBB351_262
; %bb.261:
	v_lshlrev_b32_e32 v11, 2, v0
	v_readfirstlane_b32 s6, v5
	v_readfirstlane_b32 s7, v6
	ds_load_b32 v12, v11 offset:2048
	s_waitcnt lgkmcnt(0)
	global_store_b32 v11, v12, s[6:7] offset:2048
.LBB351_262:
	s_or_b32 exec_lo, exec_lo, s5
.LBB351_263:
	s_and_not1_saveexec_b32 s4, s4
	s_cbranch_execz .LBB351_265
; %bb.264:
	v_lshlrev_b32_e32 v11, 2, v0
	v_readfirstlane_b32 s4, v7
	v_readfirstlane_b32 s5, v8
	ds_load_b32 v12, v11 offset:2048
	s_waitcnt lgkmcnt(0)
	global_store_b32 v11, v12, s[4:5] offset:2048
.LBB351_265:
	;; [unrolled: 51-line block ×3, first 2 shown]
	s_or_b32 exec_lo, exec_lo, s2
	v_or_b32_e32 v11, 0x400, v0
	s_mov_b32 s2, exec_lo
	s_delay_alu instid0(VALU_DEP_1)
	v_cmpx_gt_u32_e64 s3, v11
	s_cbranch_execz .LBB351_283
; %bb.275:
	s_mov_b32 s4, exec_lo
	v_cmpx_le_u32_e64 v1, v11
	s_xor_b32 s4, exec_lo, s4
	s_cbranch_execz .LBB351_281
; %bb.276:
	s_mov_b32 s5, exec_lo
	v_cmpx_le_u32_e64 v10, v11
	s_xor_b32 s5, exec_lo, s5
	s_cbranch_execz .LBB351_278
; %bb.277:
	v_lshlrev_b32_e32 v11, 2, v0
	ds_load_b32 v13, v11 offset:4096
	v_add_co_u32 v11, vcc_lo, v3, v0
	v_add_co_ci_u32_e32 v12, vcc_lo, 0, v9, vcc_lo
	s_delay_alu instid0(VALU_DEP_1) | instskip(NEXT) | instid1(VALU_DEP_1)
	v_lshlrev_b64 v[11:12], 2, v[11:12]
	v_sub_co_u32 v11, vcc_lo, s1, v11
	s_delay_alu instid0(VALU_DEP_2)
	v_sub_co_ci_u32_e32 v12, vcc_lo, s0, v12, vcc_lo
	s_waitcnt lgkmcnt(0)
	global_store_b32 v[11:12], v13, off offset:-4096
                                        ; implicit-def: $vgpr11
.LBB351_278:
	s_and_not1_saveexec_b32 s5, s5
	s_cbranch_execz .LBB351_280
; %bb.279:
	v_lshlrev_b32_e32 v12, 2, v0
	v_lshlrev_b32_e32 v11, 2, v11
	v_readfirstlane_b32 s6, v5
	v_readfirstlane_b32 s7, v6
	ds_load_b32 v12, v12 offset:4096
	s_waitcnt lgkmcnt(0)
	global_store_b32 v11, v12, s[6:7]
.LBB351_280:
	s_or_b32 exec_lo, exec_lo, s5
                                        ; implicit-def: $vgpr11
.LBB351_281:
	s_and_not1_saveexec_b32 s4, s4
	s_cbranch_execz .LBB351_283
; %bb.282:
	v_lshlrev_b32_e32 v12, 2, v0
	v_lshlrev_b32_e32 v11, 2, v11
	v_readfirstlane_b32 s4, v7
	v_readfirstlane_b32 s5, v8
	ds_load_b32 v12, v12 offset:4096
	s_waitcnt lgkmcnt(0)
	global_store_b32 v11, v12, s[4:5]
.LBB351_283:
	s_or_b32 exec_lo, exec_lo, s2
	v_or_b32_e32 v11, 0x500, v0
	s_mov_b32 s2, exec_lo
	s_delay_alu instid0(VALU_DEP_1)
	v_cmpx_gt_u32_e64 s3, v11
	s_cbranch_execz .LBB351_292
; %bb.284:
	s_mov_b32 s4, exec_lo
	v_cmpx_le_u32_e64 v1, v11
	s_xor_b32 s4, exec_lo, s4
	s_cbranch_execz .LBB351_290
; %bb.285:
	s_mov_b32 s5, exec_lo
	v_cmpx_le_u32_e64 v10, v11
	s_xor_b32 s5, exec_lo, s5
	s_cbranch_execz .LBB351_287
; %bb.286:
	v_lshlrev_b32_e32 v12, 2, v0
	v_add_co_u32 v11, vcc_lo, v3, v11
	ds_load_b32 v13, v12 offset:5120
	v_add_co_ci_u32_e32 v12, vcc_lo, 0, v9, vcc_lo
	s_delay_alu instid0(VALU_DEP_1) | instskip(NEXT) | instid1(VALU_DEP_1)
	v_lshlrev_b64 v[11:12], 2, v[11:12]
	v_sub_co_u32 v11, vcc_lo, s1, v11
	s_delay_alu instid0(VALU_DEP_2)
	v_sub_co_ci_u32_e32 v12, vcc_lo, s0, v12, vcc_lo
	s_waitcnt lgkmcnt(0)
	global_store_b32 v[11:12], v13, off
                                        ; implicit-def: $vgpr11
.LBB351_287:
	s_and_not1_saveexec_b32 s5, s5
	s_cbranch_execz .LBB351_289
; %bb.288:
	v_lshlrev_b32_e32 v12, 2, v0
	v_lshlrev_b32_e32 v11, 2, v11
	v_readfirstlane_b32 s6, v5
	v_readfirstlane_b32 s7, v6
	ds_load_b32 v12, v12 offset:5120
	s_waitcnt lgkmcnt(0)
	global_store_b32 v11, v12, s[6:7]
.LBB351_289:
	s_or_b32 exec_lo, exec_lo, s5
                                        ; implicit-def: $vgpr11
.LBB351_290:
	s_and_not1_saveexec_b32 s4, s4
	s_cbranch_execz .LBB351_292
; %bb.291:
	v_lshlrev_b32_e32 v12, 2, v0
	v_lshlrev_b32_e32 v11, 2, v11
	v_readfirstlane_b32 s4, v7
	v_readfirstlane_b32 s5, v8
	ds_load_b32 v12, v12 offset:5120
	s_waitcnt lgkmcnt(0)
	global_store_b32 v11, v12, s[4:5]
.LBB351_292:
	s_or_b32 exec_lo, exec_lo, s2
	v_or_b32_e32 v11, 0x600, v0
	s_mov_b32 s2, exec_lo
	s_delay_alu instid0(VALU_DEP_1)
	v_cmpx_gt_u32_e64 s3, v11
	s_cbranch_execz .LBB351_301
; %bb.293:
	s_mov_b32 s4, exec_lo
	v_cmpx_le_u32_e64 v1, v11
	s_xor_b32 s4, exec_lo, s4
	s_cbranch_execz .LBB351_299
; %bb.294:
	s_mov_b32 s5, exec_lo
	v_cmpx_le_u32_e64 v10, v11
	s_xor_b32 s5, exec_lo, s5
	s_cbranch_execz .LBB351_296
; %bb.295:
	v_lshlrev_b32_e32 v12, 2, v0
	v_add_co_u32 v11, vcc_lo, v3, v11
	ds_load_b32 v13, v12 offset:6144
	v_add_co_ci_u32_e32 v12, vcc_lo, 0, v9, vcc_lo
	s_delay_alu instid0(VALU_DEP_1) | instskip(NEXT) | instid1(VALU_DEP_1)
	v_lshlrev_b64 v[11:12], 2, v[11:12]
	v_sub_co_u32 v11, vcc_lo, s1, v11
	s_delay_alu instid0(VALU_DEP_2)
	v_sub_co_ci_u32_e32 v12, vcc_lo, s0, v12, vcc_lo
	s_waitcnt lgkmcnt(0)
	global_store_b32 v[11:12], v13, off
                                        ; implicit-def: $vgpr11
.LBB351_296:
	s_and_not1_saveexec_b32 s5, s5
	s_cbranch_execz .LBB351_298
; %bb.297:
	v_lshlrev_b32_e32 v12, 2, v0
	v_lshlrev_b32_e32 v11, 2, v11
	v_readfirstlane_b32 s6, v5
	v_readfirstlane_b32 s7, v6
	ds_load_b32 v12, v12 offset:6144
	s_waitcnt lgkmcnt(0)
	global_store_b32 v11, v12, s[6:7]
.LBB351_298:
	s_or_b32 exec_lo, exec_lo, s5
                                        ; implicit-def: $vgpr11
.LBB351_299:
	s_and_not1_saveexec_b32 s4, s4
	s_cbranch_execz .LBB351_301
; %bb.300:
	v_lshlrev_b32_e32 v12, 2, v0
	v_lshlrev_b32_e32 v11, 2, v11
	v_readfirstlane_b32 s4, v7
	v_readfirstlane_b32 s5, v8
	ds_load_b32 v12, v12 offset:6144
	s_waitcnt lgkmcnt(0)
	global_store_b32 v11, v12, s[4:5]
.LBB351_301:
	;; [unrolled: 55-line block ×7, first 2 shown]
	s_or_b32 exec_lo, exec_lo, s2
	v_or_b32_e32 v11, 0xc00, v0
	s_mov_b32 s2, exec_lo
	s_delay_alu instid0(VALU_DEP_1)
	v_cmpx_gt_u32_e64 s3, v11
	s_cbranch_execz .LBB351_355
; %bb.347:
	s_mov_b32 s3, exec_lo
	v_cmpx_le_u32_e64 v1, v11
	s_xor_b32 s3, exec_lo, s3
	s_cbranch_execz .LBB351_353
; %bb.348:
	s_mov_b32 s4, exec_lo
	v_cmpx_le_u32_e64 v10, v11
	s_xor_b32 s4, exec_lo, s4
	s_cbranch_execz .LBB351_350
; %bb.349:
	v_lshlrev_b32_e32 v5, 2, v0
	ds_load_b32 v7, v5 offset:12288
	v_add_co_u32 v5, vcc_lo, v3, v11
	v_add_co_ci_u32_e32 v6, vcc_lo, 0, v9, vcc_lo
                                        ; implicit-def: $vgpr11
	s_delay_alu instid0(VALU_DEP_1) | instskip(NEXT) | instid1(VALU_DEP_1)
	v_lshlrev_b64 v[5:6], 2, v[5:6]
	v_sub_co_u32 v5, vcc_lo, s1, v5
	s_delay_alu instid0(VALU_DEP_2)
	v_sub_co_ci_u32_e32 v6, vcc_lo, s0, v6, vcc_lo
	s_waitcnt lgkmcnt(0)
	global_store_b32 v[5:6], v7, off
                                        ; implicit-def: $vgpr5_vgpr6
.LBB351_350:
	s_and_not1_saveexec_b32 s0, s4
	s_cbranch_execz .LBB351_352
; %bb.351:
	v_lshlrev_b32_e32 v3, 2, v0
	v_lshlrev_b32_e32 v7, 2, v11
	v_readfirstlane_b32 s4, v5
	v_readfirstlane_b32 s5, v6
	ds_load_b32 v3, v3 offset:12288
	s_waitcnt lgkmcnt(0)
	global_store_b32 v7, v3, s[4:5]
.LBB351_352:
	s_or_b32 exec_lo, exec_lo, s0
                                        ; implicit-def: $vgpr11
                                        ; implicit-def: $vgpr7_vgpr8
.LBB351_353:
	s_and_not1_saveexec_b32 s0, s3
	s_cbranch_execz .LBB351_355
; %bb.354:
	v_lshlrev_b32_e32 v3, 2, v0
	v_lshlrev_b32_e32 v5, 2, v11
	v_readfirstlane_b32 s0, v7
	v_readfirstlane_b32 s1, v8
	ds_load_b32 v3, v3 offset:12288
	s_waitcnt lgkmcnt(0)
	global_store_b32 v5, v3, s[0:1]
.LBB351_355:
	s_or_b32 exec_lo, exec_lo, s2
	v_cmp_eq_u32_e32 vcc_lo, 0, v0
	s_and_b32 s0, vcc_lo, s14
	s_delay_alu instid0(SALU_CYCLE_1)
	s_and_saveexec_b32 s1, s0
	s_cbranch_execz .LBB351_132
.LBB351_356:
	v_add_co_u32 v2, s0, s30, v2
	s_delay_alu instid0(VALU_DEP_1) | instskip(SKIP_2) | instid1(VALU_DEP_4)
	v_add_co_ci_u32_e64 v3, null, s31, 0, s0
	v_add_co_u32 v0, vcc_lo, v18, v1
	v_add_co_ci_u32_e32 v1, vcc_lo, 0, v19, vcc_lo
	v_add_co_u32 v2, vcc_lo, v2, v4
	v_mov_b32_e32 v5, 0
	v_add_co_ci_u32_e32 v3, vcc_lo, 0, v3, vcc_lo
	global_store_b128 v5, v[0:3], s[24:25]
	s_nop 0
	s_sendmsg sendmsg(MSG_DEALLOC_VGPRS)
	s_endpgm
.LBB351_357:
	v_add_nc_u32_e32 v3, s7, v23
	s_add_i32 s10, s15, 32
	s_mov_b32 s11, 0
	v_dual_mov_b32 v5, 0 :: v_dual_add_nc_u32 v2, v22, v1
	s_lshl_b64 s[10:11], s[10:11], 4
	v_and_b32_e32 v20, 0xff0000, v3
	s_add_u32 s10, s4, s10
	s_addc_u32 s11, s5, s11
	v_and_b32_e32 v4, 0xff000000, v3
	s_delay_alu instid0(VALU_DEP_1) | instskip(SKIP_2) | instid1(VALU_DEP_1)
	v_or_b32_e32 v20, v20, v4
	v_dual_mov_b32 v4, 2 :: v_dual_and_b32 v21, 0xff00, v3
	v_and_b32_e32 v3, 0xff, v3
	v_or3_b32 v3, v20, v21, v3
	v_dual_mov_b32 v21, s11 :: v_dual_mov_b32 v20, s10
	;;#ASMSTART
	global_store_dwordx4 v[20:21], v[2:5] off	
s_waitcnt vmcnt(0)
	;;#ASMEND
	s_or_b32 exec_lo, exec_lo, s8
	s_and_saveexec_b32 s8, s2
	s_cbranch_execz .LBB351_116
.LBB351_358:
	v_mov_b32_e32 v2, s7
	v_add_nc_u32_e64 v3, 0x3400, 0
	ds_store_2addr_b32 v3, v1, v2 offset1:2
	ds_store_2addr_b32 v3, v22, v23 offset0:4 offset1:6
	s_or_b32 exec_lo, exec_lo, s8
	v_cmp_eq_u32_e32 vcc_lo, 0, v0
	s_and_b32 exec_lo, exec_lo, vcc_lo
	s_cbranch_execnz .LBB351_117
	s_branch .LBB351_118
	.section	.rodata,"a",@progbits
	.p2align	6, 0x0
	.amdhsa_kernel _ZN7rocprim17ROCPRIM_400000_NS6detail17trampoline_kernelINS0_13select_configILj256ELj13ELNS0_17block_load_methodE3ELS4_3ELS4_3ELNS0_20block_scan_algorithmE0ELj4294967295EEENS1_25partition_config_selectorILNS1_17partition_subalgoE4EjNS0_10empty_typeEbEEZZNS1_14partition_implILS8_4ELb0ES6_15HIP_vector_typeIjLj2EENS0_17counting_iteratorIjlEEPS9_SG_NS0_5tupleIJPjSI_NS0_16reverse_iteratorISI_EEEEENSH_IJSG_SG_SG_EEES9_SI_JZNS1_25segmented_radix_sort_implINS0_14default_configELb0EPKaPaPKlPlN2at6native12_GLOBAL__N_18offset_tEEE10hipError_tPvRmT1_PNSt15iterator_traitsIS12_E10value_typeET2_T3_PNS13_IS18_E10value_typeET4_jRbjT5_S1E_jjP12ihipStream_tbEUljE_ZNSN_ISO_Lb0ESQ_SR_ST_SU_SY_EESZ_S10_S11_S12_S16_S17_S18_S1B_S1C_jS1D_jS1E_S1E_jjS1G_bEUljE0_EEESZ_S10_S11_S18_S1C_S1E_T6_T7_T9_mT8_S1G_bDpT10_ENKUlT_T0_E_clISt17integral_constantIbLb1EES1T_IbLb0EEEEDaS1P_S1Q_EUlS1P_E_NS1_11comp_targetILNS1_3genE9ELNS1_11target_archE1100ELNS1_3gpuE3ELNS1_3repE0EEENS1_30default_config_static_selectorELNS0_4arch9wavefront6targetE0EEEvS12_
		.amdhsa_group_segment_fixed_size 13340
		.amdhsa_private_segment_fixed_size 0
		.amdhsa_kernarg_size 176
		.amdhsa_user_sgpr_count 15
		.amdhsa_user_sgpr_dispatch_ptr 0
		.amdhsa_user_sgpr_queue_ptr 0
		.amdhsa_user_sgpr_kernarg_segment_ptr 1
		.amdhsa_user_sgpr_dispatch_id 0
		.amdhsa_user_sgpr_private_segment_size 0
		.amdhsa_wavefront_size32 1
		.amdhsa_uses_dynamic_stack 0
		.amdhsa_enable_private_segment 0
		.amdhsa_system_sgpr_workgroup_id_x 1
		.amdhsa_system_sgpr_workgroup_id_y 0
		.amdhsa_system_sgpr_workgroup_id_z 0
		.amdhsa_system_sgpr_workgroup_info 0
		.amdhsa_system_vgpr_workitem_id 0
		.amdhsa_next_free_vgpr 98
		.amdhsa_next_free_sgpr 59
		.amdhsa_reserve_vcc 1
		.amdhsa_float_round_mode_32 0
		.amdhsa_float_round_mode_16_64 0
		.amdhsa_float_denorm_mode_32 3
		.amdhsa_float_denorm_mode_16_64 3
		.amdhsa_dx10_clamp 1
		.amdhsa_ieee_mode 1
		.amdhsa_fp16_overflow 0
		.amdhsa_workgroup_processor_mode 1
		.amdhsa_memory_ordered 1
		.amdhsa_forward_progress 0
		.amdhsa_shared_vgpr_count 0
		.amdhsa_exception_fp_ieee_invalid_op 0
		.amdhsa_exception_fp_denorm_src 0
		.amdhsa_exception_fp_ieee_div_zero 0
		.amdhsa_exception_fp_ieee_overflow 0
		.amdhsa_exception_fp_ieee_underflow 0
		.amdhsa_exception_fp_ieee_inexact 0
		.amdhsa_exception_int_div_zero 0
	.end_amdhsa_kernel
	.section	.text._ZN7rocprim17ROCPRIM_400000_NS6detail17trampoline_kernelINS0_13select_configILj256ELj13ELNS0_17block_load_methodE3ELS4_3ELS4_3ELNS0_20block_scan_algorithmE0ELj4294967295EEENS1_25partition_config_selectorILNS1_17partition_subalgoE4EjNS0_10empty_typeEbEEZZNS1_14partition_implILS8_4ELb0ES6_15HIP_vector_typeIjLj2EENS0_17counting_iteratorIjlEEPS9_SG_NS0_5tupleIJPjSI_NS0_16reverse_iteratorISI_EEEEENSH_IJSG_SG_SG_EEES9_SI_JZNS1_25segmented_radix_sort_implINS0_14default_configELb0EPKaPaPKlPlN2at6native12_GLOBAL__N_18offset_tEEE10hipError_tPvRmT1_PNSt15iterator_traitsIS12_E10value_typeET2_T3_PNS13_IS18_E10value_typeET4_jRbjT5_S1E_jjP12ihipStream_tbEUljE_ZNSN_ISO_Lb0ESQ_SR_ST_SU_SY_EESZ_S10_S11_S12_S16_S17_S18_S1B_S1C_jS1D_jS1E_S1E_jjS1G_bEUljE0_EEESZ_S10_S11_S18_S1C_S1E_T6_T7_T9_mT8_S1G_bDpT10_ENKUlT_T0_E_clISt17integral_constantIbLb1EES1T_IbLb0EEEEDaS1P_S1Q_EUlS1P_E_NS1_11comp_targetILNS1_3genE9ELNS1_11target_archE1100ELNS1_3gpuE3ELNS1_3repE0EEENS1_30default_config_static_selectorELNS0_4arch9wavefront6targetE0EEEvS12_,"axG",@progbits,_ZN7rocprim17ROCPRIM_400000_NS6detail17trampoline_kernelINS0_13select_configILj256ELj13ELNS0_17block_load_methodE3ELS4_3ELS4_3ELNS0_20block_scan_algorithmE0ELj4294967295EEENS1_25partition_config_selectorILNS1_17partition_subalgoE4EjNS0_10empty_typeEbEEZZNS1_14partition_implILS8_4ELb0ES6_15HIP_vector_typeIjLj2EENS0_17counting_iteratorIjlEEPS9_SG_NS0_5tupleIJPjSI_NS0_16reverse_iteratorISI_EEEEENSH_IJSG_SG_SG_EEES9_SI_JZNS1_25segmented_radix_sort_implINS0_14default_configELb0EPKaPaPKlPlN2at6native12_GLOBAL__N_18offset_tEEE10hipError_tPvRmT1_PNSt15iterator_traitsIS12_E10value_typeET2_T3_PNS13_IS18_E10value_typeET4_jRbjT5_S1E_jjP12ihipStream_tbEUljE_ZNSN_ISO_Lb0ESQ_SR_ST_SU_SY_EESZ_S10_S11_S12_S16_S17_S18_S1B_S1C_jS1D_jS1E_S1E_jjS1G_bEUljE0_EEESZ_S10_S11_S18_S1C_S1E_T6_T7_T9_mT8_S1G_bDpT10_ENKUlT_T0_E_clISt17integral_constantIbLb1EES1T_IbLb0EEEEDaS1P_S1Q_EUlS1P_E_NS1_11comp_targetILNS1_3genE9ELNS1_11target_archE1100ELNS1_3gpuE3ELNS1_3repE0EEENS1_30default_config_static_selectorELNS0_4arch9wavefront6targetE0EEEvS12_,comdat
.Lfunc_end351:
	.size	_ZN7rocprim17ROCPRIM_400000_NS6detail17trampoline_kernelINS0_13select_configILj256ELj13ELNS0_17block_load_methodE3ELS4_3ELS4_3ELNS0_20block_scan_algorithmE0ELj4294967295EEENS1_25partition_config_selectorILNS1_17partition_subalgoE4EjNS0_10empty_typeEbEEZZNS1_14partition_implILS8_4ELb0ES6_15HIP_vector_typeIjLj2EENS0_17counting_iteratorIjlEEPS9_SG_NS0_5tupleIJPjSI_NS0_16reverse_iteratorISI_EEEEENSH_IJSG_SG_SG_EEES9_SI_JZNS1_25segmented_radix_sort_implINS0_14default_configELb0EPKaPaPKlPlN2at6native12_GLOBAL__N_18offset_tEEE10hipError_tPvRmT1_PNSt15iterator_traitsIS12_E10value_typeET2_T3_PNS13_IS18_E10value_typeET4_jRbjT5_S1E_jjP12ihipStream_tbEUljE_ZNSN_ISO_Lb0ESQ_SR_ST_SU_SY_EESZ_S10_S11_S12_S16_S17_S18_S1B_S1C_jS1D_jS1E_S1E_jjS1G_bEUljE0_EEESZ_S10_S11_S18_S1C_S1E_T6_T7_T9_mT8_S1G_bDpT10_ENKUlT_T0_E_clISt17integral_constantIbLb1EES1T_IbLb0EEEEDaS1P_S1Q_EUlS1P_E_NS1_11comp_targetILNS1_3genE9ELNS1_11target_archE1100ELNS1_3gpuE3ELNS1_3repE0EEENS1_30default_config_static_selectorELNS0_4arch9wavefront6targetE0EEEvS12_, .Lfunc_end351-_ZN7rocprim17ROCPRIM_400000_NS6detail17trampoline_kernelINS0_13select_configILj256ELj13ELNS0_17block_load_methodE3ELS4_3ELS4_3ELNS0_20block_scan_algorithmE0ELj4294967295EEENS1_25partition_config_selectorILNS1_17partition_subalgoE4EjNS0_10empty_typeEbEEZZNS1_14partition_implILS8_4ELb0ES6_15HIP_vector_typeIjLj2EENS0_17counting_iteratorIjlEEPS9_SG_NS0_5tupleIJPjSI_NS0_16reverse_iteratorISI_EEEEENSH_IJSG_SG_SG_EEES9_SI_JZNS1_25segmented_radix_sort_implINS0_14default_configELb0EPKaPaPKlPlN2at6native12_GLOBAL__N_18offset_tEEE10hipError_tPvRmT1_PNSt15iterator_traitsIS12_E10value_typeET2_T3_PNS13_IS18_E10value_typeET4_jRbjT5_S1E_jjP12ihipStream_tbEUljE_ZNSN_ISO_Lb0ESQ_SR_ST_SU_SY_EESZ_S10_S11_S12_S16_S17_S18_S1B_S1C_jS1D_jS1E_S1E_jjS1G_bEUljE0_EEESZ_S10_S11_S18_S1C_S1E_T6_T7_T9_mT8_S1G_bDpT10_ENKUlT_T0_E_clISt17integral_constantIbLb1EES1T_IbLb0EEEEDaS1P_S1Q_EUlS1P_E_NS1_11comp_targetILNS1_3genE9ELNS1_11target_archE1100ELNS1_3gpuE3ELNS1_3repE0EEENS1_30default_config_static_selectorELNS0_4arch9wavefront6targetE0EEEvS12_
                                        ; -- End function
	.section	.AMDGPU.csdata,"",@progbits
; Kernel info:
; codeLenInByte = 15084
; NumSgprs: 61
; NumVgprs: 98
; ScratchSize: 0
; MemoryBound: 0
; FloatMode: 240
; IeeeMode: 1
; LDSByteSize: 13340 bytes/workgroup (compile time only)
; SGPRBlocks: 7
; VGPRBlocks: 12
; NumSGPRsForWavesPerEU: 61
; NumVGPRsForWavesPerEU: 98
; Occupancy: 12
; WaveLimiterHint : 1
; COMPUTE_PGM_RSRC2:SCRATCH_EN: 0
; COMPUTE_PGM_RSRC2:USER_SGPR: 15
; COMPUTE_PGM_RSRC2:TRAP_HANDLER: 0
; COMPUTE_PGM_RSRC2:TGID_X_EN: 1
; COMPUTE_PGM_RSRC2:TGID_Y_EN: 0
; COMPUTE_PGM_RSRC2:TGID_Z_EN: 0
; COMPUTE_PGM_RSRC2:TIDIG_COMP_CNT: 0
	.section	.text._ZN7rocprim17ROCPRIM_400000_NS6detail17trampoline_kernelINS0_13select_configILj256ELj13ELNS0_17block_load_methodE3ELS4_3ELS4_3ELNS0_20block_scan_algorithmE0ELj4294967295EEENS1_25partition_config_selectorILNS1_17partition_subalgoE4EjNS0_10empty_typeEbEEZZNS1_14partition_implILS8_4ELb0ES6_15HIP_vector_typeIjLj2EENS0_17counting_iteratorIjlEEPS9_SG_NS0_5tupleIJPjSI_NS0_16reverse_iteratorISI_EEEEENSH_IJSG_SG_SG_EEES9_SI_JZNS1_25segmented_radix_sort_implINS0_14default_configELb0EPKaPaPKlPlN2at6native12_GLOBAL__N_18offset_tEEE10hipError_tPvRmT1_PNSt15iterator_traitsIS12_E10value_typeET2_T3_PNS13_IS18_E10value_typeET4_jRbjT5_S1E_jjP12ihipStream_tbEUljE_ZNSN_ISO_Lb0ESQ_SR_ST_SU_SY_EESZ_S10_S11_S12_S16_S17_S18_S1B_S1C_jS1D_jS1E_S1E_jjS1G_bEUljE0_EEESZ_S10_S11_S18_S1C_S1E_T6_T7_T9_mT8_S1G_bDpT10_ENKUlT_T0_E_clISt17integral_constantIbLb1EES1T_IbLb0EEEEDaS1P_S1Q_EUlS1P_E_NS1_11comp_targetILNS1_3genE8ELNS1_11target_archE1030ELNS1_3gpuE2ELNS1_3repE0EEENS1_30default_config_static_selectorELNS0_4arch9wavefront6targetE0EEEvS12_,"axG",@progbits,_ZN7rocprim17ROCPRIM_400000_NS6detail17trampoline_kernelINS0_13select_configILj256ELj13ELNS0_17block_load_methodE3ELS4_3ELS4_3ELNS0_20block_scan_algorithmE0ELj4294967295EEENS1_25partition_config_selectorILNS1_17partition_subalgoE4EjNS0_10empty_typeEbEEZZNS1_14partition_implILS8_4ELb0ES6_15HIP_vector_typeIjLj2EENS0_17counting_iteratorIjlEEPS9_SG_NS0_5tupleIJPjSI_NS0_16reverse_iteratorISI_EEEEENSH_IJSG_SG_SG_EEES9_SI_JZNS1_25segmented_radix_sort_implINS0_14default_configELb0EPKaPaPKlPlN2at6native12_GLOBAL__N_18offset_tEEE10hipError_tPvRmT1_PNSt15iterator_traitsIS12_E10value_typeET2_T3_PNS13_IS18_E10value_typeET4_jRbjT5_S1E_jjP12ihipStream_tbEUljE_ZNSN_ISO_Lb0ESQ_SR_ST_SU_SY_EESZ_S10_S11_S12_S16_S17_S18_S1B_S1C_jS1D_jS1E_S1E_jjS1G_bEUljE0_EEESZ_S10_S11_S18_S1C_S1E_T6_T7_T9_mT8_S1G_bDpT10_ENKUlT_T0_E_clISt17integral_constantIbLb1EES1T_IbLb0EEEEDaS1P_S1Q_EUlS1P_E_NS1_11comp_targetILNS1_3genE8ELNS1_11target_archE1030ELNS1_3gpuE2ELNS1_3repE0EEENS1_30default_config_static_selectorELNS0_4arch9wavefront6targetE0EEEvS12_,comdat
	.globl	_ZN7rocprim17ROCPRIM_400000_NS6detail17trampoline_kernelINS0_13select_configILj256ELj13ELNS0_17block_load_methodE3ELS4_3ELS4_3ELNS0_20block_scan_algorithmE0ELj4294967295EEENS1_25partition_config_selectorILNS1_17partition_subalgoE4EjNS0_10empty_typeEbEEZZNS1_14partition_implILS8_4ELb0ES6_15HIP_vector_typeIjLj2EENS0_17counting_iteratorIjlEEPS9_SG_NS0_5tupleIJPjSI_NS0_16reverse_iteratorISI_EEEEENSH_IJSG_SG_SG_EEES9_SI_JZNS1_25segmented_radix_sort_implINS0_14default_configELb0EPKaPaPKlPlN2at6native12_GLOBAL__N_18offset_tEEE10hipError_tPvRmT1_PNSt15iterator_traitsIS12_E10value_typeET2_T3_PNS13_IS18_E10value_typeET4_jRbjT5_S1E_jjP12ihipStream_tbEUljE_ZNSN_ISO_Lb0ESQ_SR_ST_SU_SY_EESZ_S10_S11_S12_S16_S17_S18_S1B_S1C_jS1D_jS1E_S1E_jjS1G_bEUljE0_EEESZ_S10_S11_S18_S1C_S1E_T6_T7_T9_mT8_S1G_bDpT10_ENKUlT_T0_E_clISt17integral_constantIbLb1EES1T_IbLb0EEEEDaS1P_S1Q_EUlS1P_E_NS1_11comp_targetILNS1_3genE8ELNS1_11target_archE1030ELNS1_3gpuE2ELNS1_3repE0EEENS1_30default_config_static_selectorELNS0_4arch9wavefront6targetE0EEEvS12_ ; -- Begin function _ZN7rocprim17ROCPRIM_400000_NS6detail17trampoline_kernelINS0_13select_configILj256ELj13ELNS0_17block_load_methodE3ELS4_3ELS4_3ELNS0_20block_scan_algorithmE0ELj4294967295EEENS1_25partition_config_selectorILNS1_17partition_subalgoE4EjNS0_10empty_typeEbEEZZNS1_14partition_implILS8_4ELb0ES6_15HIP_vector_typeIjLj2EENS0_17counting_iteratorIjlEEPS9_SG_NS0_5tupleIJPjSI_NS0_16reverse_iteratorISI_EEEEENSH_IJSG_SG_SG_EEES9_SI_JZNS1_25segmented_radix_sort_implINS0_14default_configELb0EPKaPaPKlPlN2at6native12_GLOBAL__N_18offset_tEEE10hipError_tPvRmT1_PNSt15iterator_traitsIS12_E10value_typeET2_T3_PNS13_IS18_E10value_typeET4_jRbjT5_S1E_jjP12ihipStream_tbEUljE_ZNSN_ISO_Lb0ESQ_SR_ST_SU_SY_EESZ_S10_S11_S12_S16_S17_S18_S1B_S1C_jS1D_jS1E_S1E_jjS1G_bEUljE0_EEESZ_S10_S11_S18_S1C_S1E_T6_T7_T9_mT8_S1G_bDpT10_ENKUlT_T0_E_clISt17integral_constantIbLb1EES1T_IbLb0EEEEDaS1P_S1Q_EUlS1P_E_NS1_11comp_targetILNS1_3genE8ELNS1_11target_archE1030ELNS1_3gpuE2ELNS1_3repE0EEENS1_30default_config_static_selectorELNS0_4arch9wavefront6targetE0EEEvS12_
	.p2align	8
	.type	_ZN7rocprim17ROCPRIM_400000_NS6detail17trampoline_kernelINS0_13select_configILj256ELj13ELNS0_17block_load_methodE3ELS4_3ELS4_3ELNS0_20block_scan_algorithmE0ELj4294967295EEENS1_25partition_config_selectorILNS1_17partition_subalgoE4EjNS0_10empty_typeEbEEZZNS1_14partition_implILS8_4ELb0ES6_15HIP_vector_typeIjLj2EENS0_17counting_iteratorIjlEEPS9_SG_NS0_5tupleIJPjSI_NS0_16reverse_iteratorISI_EEEEENSH_IJSG_SG_SG_EEES9_SI_JZNS1_25segmented_radix_sort_implINS0_14default_configELb0EPKaPaPKlPlN2at6native12_GLOBAL__N_18offset_tEEE10hipError_tPvRmT1_PNSt15iterator_traitsIS12_E10value_typeET2_T3_PNS13_IS18_E10value_typeET4_jRbjT5_S1E_jjP12ihipStream_tbEUljE_ZNSN_ISO_Lb0ESQ_SR_ST_SU_SY_EESZ_S10_S11_S12_S16_S17_S18_S1B_S1C_jS1D_jS1E_S1E_jjS1G_bEUljE0_EEESZ_S10_S11_S18_S1C_S1E_T6_T7_T9_mT8_S1G_bDpT10_ENKUlT_T0_E_clISt17integral_constantIbLb1EES1T_IbLb0EEEEDaS1P_S1Q_EUlS1P_E_NS1_11comp_targetILNS1_3genE8ELNS1_11target_archE1030ELNS1_3gpuE2ELNS1_3repE0EEENS1_30default_config_static_selectorELNS0_4arch9wavefront6targetE0EEEvS12_,@function
_ZN7rocprim17ROCPRIM_400000_NS6detail17trampoline_kernelINS0_13select_configILj256ELj13ELNS0_17block_load_methodE3ELS4_3ELS4_3ELNS0_20block_scan_algorithmE0ELj4294967295EEENS1_25partition_config_selectorILNS1_17partition_subalgoE4EjNS0_10empty_typeEbEEZZNS1_14partition_implILS8_4ELb0ES6_15HIP_vector_typeIjLj2EENS0_17counting_iteratorIjlEEPS9_SG_NS0_5tupleIJPjSI_NS0_16reverse_iteratorISI_EEEEENSH_IJSG_SG_SG_EEES9_SI_JZNS1_25segmented_radix_sort_implINS0_14default_configELb0EPKaPaPKlPlN2at6native12_GLOBAL__N_18offset_tEEE10hipError_tPvRmT1_PNSt15iterator_traitsIS12_E10value_typeET2_T3_PNS13_IS18_E10value_typeET4_jRbjT5_S1E_jjP12ihipStream_tbEUljE_ZNSN_ISO_Lb0ESQ_SR_ST_SU_SY_EESZ_S10_S11_S12_S16_S17_S18_S1B_S1C_jS1D_jS1E_S1E_jjS1G_bEUljE0_EEESZ_S10_S11_S18_S1C_S1E_T6_T7_T9_mT8_S1G_bDpT10_ENKUlT_T0_E_clISt17integral_constantIbLb1EES1T_IbLb0EEEEDaS1P_S1Q_EUlS1P_E_NS1_11comp_targetILNS1_3genE8ELNS1_11target_archE1030ELNS1_3gpuE2ELNS1_3repE0EEENS1_30default_config_static_selectorELNS0_4arch9wavefront6targetE0EEEvS12_: ; @_ZN7rocprim17ROCPRIM_400000_NS6detail17trampoline_kernelINS0_13select_configILj256ELj13ELNS0_17block_load_methodE3ELS4_3ELS4_3ELNS0_20block_scan_algorithmE0ELj4294967295EEENS1_25partition_config_selectorILNS1_17partition_subalgoE4EjNS0_10empty_typeEbEEZZNS1_14partition_implILS8_4ELb0ES6_15HIP_vector_typeIjLj2EENS0_17counting_iteratorIjlEEPS9_SG_NS0_5tupleIJPjSI_NS0_16reverse_iteratorISI_EEEEENSH_IJSG_SG_SG_EEES9_SI_JZNS1_25segmented_radix_sort_implINS0_14default_configELb0EPKaPaPKlPlN2at6native12_GLOBAL__N_18offset_tEEE10hipError_tPvRmT1_PNSt15iterator_traitsIS12_E10value_typeET2_T3_PNS13_IS18_E10value_typeET4_jRbjT5_S1E_jjP12ihipStream_tbEUljE_ZNSN_ISO_Lb0ESQ_SR_ST_SU_SY_EESZ_S10_S11_S12_S16_S17_S18_S1B_S1C_jS1D_jS1E_S1E_jjS1G_bEUljE0_EEESZ_S10_S11_S18_S1C_S1E_T6_T7_T9_mT8_S1G_bDpT10_ENKUlT_T0_E_clISt17integral_constantIbLb1EES1T_IbLb0EEEEDaS1P_S1Q_EUlS1P_E_NS1_11comp_targetILNS1_3genE8ELNS1_11target_archE1030ELNS1_3gpuE2ELNS1_3repE0EEENS1_30default_config_static_selectorELNS0_4arch9wavefront6targetE0EEEvS12_
; %bb.0:
	.section	.rodata,"a",@progbits
	.p2align	6, 0x0
	.amdhsa_kernel _ZN7rocprim17ROCPRIM_400000_NS6detail17trampoline_kernelINS0_13select_configILj256ELj13ELNS0_17block_load_methodE3ELS4_3ELS4_3ELNS0_20block_scan_algorithmE0ELj4294967295EEENS1_25partition_config_selectorILNS1_17partition_subalgoE4EjNS0_10empty_typeEbEEZZNS1_14partition_implILS8_4ELb0ES6_15HIP_vector_typeIjLj2EENS0_17counting_iteratorIjlEEPS9_SG_NS0_5tupleIJPjSI_NS0_16reverse_iteratorISI_EEEEENSH_IJSG_SG_SG_EEES9_SI_JZNS1_25segmented_radix_sort_implINS0_14default_configELb0EPKaPaPKlPlN2at6native12_GLOBAL__N_18offset_tEEE10hipError_tPvRmT1_PNSt15iterator_traitsIS12_E10value_typeET2_T3_PNS13_IS18_E10value_typeET4_jRbjT5_S1E_jjP12ihipStream_tbEUljE_ZNSN_ISO_Lb0ESQ_SR_ST_SU_SY_EESZ_S10_S11_S12_S16_S17_S18_S1B_S1C_jS1D_jS1E_S1E_jjS1G_bEUljE0_EEESZ_S10_S11_S18_S1C_S1E_T6_T7_T9_mT8_S1G_bDpT10_ENKUlT_T0_E_clISt17integral_constantIbLb1EES1T_IbLb0EEEEDaS1P_S1Q_EUlS1P_E_NS1_11comp_targetILNS1_3genE8ELNS1_11target_archE1030ELNS1_3gpuE2ELNS1_3repE0EEENS1_30default_config_static_selectorELNS0_4arch9wavefront6targetE0EEEvS12_
		.amdhsa_group_segment_fixed_size 0
		.amdhsa_private_segment_fixed_size 0
		.amdhsa_kernarg_size 176
		.amdhsa_user_sgpr_count 15
		.amdhsa_user_sgpr_dispatch_ptr 0
		.amdhsa_user_sgpr_queue_ptr 0
		.amdhsa_user_sgpr_kernarg_segment_ptr 1
		.amdhsa_user_sgpr_dispatch_id 0
		.amdhsa_user_sgpr_private_segment_size 0
		.amdhsa_wavefront_size32 1
		.amdhsa_uses_dynamic_stack 0
		.amdhsa_enable_private_segment 0
		.amdhsa_system_sgpr_workgroup_id_x 1
		.amdhsa_system_sgpr_workgroup_id_y 0
		.amdhsa_system_sgpr_workgroup_id_z 0
		.amdhsa_system_sgpr_workgroup_info 0
		.amdhsa_system_vgpr_workitem_id 0
		.amdhsa_next_free_vgpr 1
		.amdhsa_next_free_sgpr 1
		.amdhsa_reserve_vcc 0
		.amdhsa_float_round_mode_32 0
		.amdhsa_float_round_mode_16_64 0
		.amdhsa_float_denorm_mode_32 3
		.amdhsa_float_denorm_mode_16_64 3
		.amdhsa_dx10_clamp 1
		.amdhsa_ieee_mode 1
		.amdhsa_fp16_overflow 0
		.amdhsa_workgroup_processor_mode 1
		.amdhsa_memory_ordered 1
		.amdhsa_forward_progress 0
		.amdhsa_shared_vgpr_count 0
		.amdhsa_exception_fp_ieee_invalid_op 0
		.amdhsa_exception_fp_denorm_src 0
		.amdhsa_exception_fp_ieee_div_zero 0
		.amdhsa_exception_fp_ieee_overflow 0
		.amdhsa_exception_fp_ieee_underflow 0
		.amdhsa_exception_fp_ieee_inexact 0
		.amdhsa_exception_int_div_zero 0
	.end_amdhsa_kernel
	.section	.text._ZN7rocprim17ROCPRIM_400000_NS6detail17trampoline_kernelINS0_13select_configILj256ELj13ELNS0_17block_load_methodE3ELS4_3ELS4_3ELNS0_20block_scan_algorithmE0ELj4294967295EEENS1_25partition_config_selectorILNS1_17partition_subalgoE4EjNS0_10empty_typeEbEEZZNS1_14partition_implILS8_4ELb0ES6_15HIP_vector_typeIjLj2EENS0_17counting_iteratorIjlEEPS9_SG_NS0_5tupleIJPjSI_NS0_16reverse_iteratorISI_EEEEENSH_IJSG_SG_SG_EEES9_SI_JZNS1_25segmented_radix_sort_implINS0_14default_configELb0EPKaPaPKlPlN2at6native12_GLOBAL__N_18offset_tEEE10hipError_tPvRmT1_PNSt15iterator_traitsIS12_E10value_typeET2_T3_PNS13_IS18_E10value_typeET4_jRbjT5_S1E_jjP12ihipStream_tbEUljE_ZNSN_ISO_Lb0ESQ_SR_ST_SU_SY_EESZ_S10_S11_S12_S16_S17_S18_S1B_S1C_jS1D_jS1E_S1E_jjS1G_bEUljE0_EEESZ_S10_S11_S18_S1C_S1E_T6_T7_T9_mT8_S1G_bDpT10_ENKUlT_T0_E_clISt17integral_constantIbLb1EES1T_IbLb0EEEEDaS1P_S1Q_EUlS1P_E_NS1_11comp_targetILNS1_3genE8ELNS1_11target_archE1030ELNS1_3gpuE2ELNS1_3repE0EEENS1_30default_config_static_selectorELNS0_4arch9wavefront6targetE0EEEvS12_,"axG",@progbits,_ZN7rocprim17ROCPRIM_400000_NS6detail17trampoline_kernelINS0_13select_configILj256ELj13ELNS0_17block_load_methodE3ELS4_3ELS4_3ELNS0_20block_scan_algorithmE0ELj4294967295EEENS1_25partition_config_selectorILNS1_17partition_subalgoE4EjNS0_10empty_typeEbEEZZNS1_14partition_implILS8_4ELb0ES6_15HIP_vector_typeIjLj2EENS0_17counting_iteratorIjlEEPS9_SG_NS0_5tupleIJPjSI_NS0_16reverse_iteratorISI_EEEEENSH_IJSG_SG_SG_EEES9_SI_JZNS1_25segmented_radix_sort_implINS0_14default_configELb0EPKaPaPKlPlN2at6native12_GLOBAL__N_18offset_tEEE10hipError_tPvRmT1_PNSt15iterator_traitsIS12_E10value_typeET2_T3_PNS13_IS18_E10value_typeET4_jRbjT5_S1E_jjP12ihipStream_tbEUljE_ZNSN_ISO_Lb0ESQ_SR_ST_SU_SY_EESZ_S10_S11_S12_S16_S17_S18_S1B_S1C_jS1D_jS1E_S1E_jjS1G_bEUljE0_EEESZ_S10_S11_S18_S1C_S1E_T6_T7_T9_mT8_S1G_bDpT10_ENKUlT_T0_E_clISt17integral_constantIbLb1EES1T_IbLb0EEEEDaS1P_S1Q_EUlS1P_E_NS1_11comp_targetILNS1_3genE8ELNS1_11target_archE1030ELNS1_3gpuE2ELNS1_3repE0EEENS1_30default_config_static_selectorELNS0_4arch9wavefront6targetE0EEEvS12_,comdat
.Lfunc_end352:
	.size	_ZN7rocprim17ROCPRIM_400000_NS6detail17trampoline_kernelINS0_13select_configILj256ELj13ELNS0_17block_load_methodE3ELS4_3ELS4_3ELNS0_20block_scan_algorithmE0ELj4294967295EEENS1_25partition_config_selectorILNS1_17partition_subalgoE4EjNS0_10empty_typeEbEEZZNS1_14partition_implILS8_4ELb0ES6_15HIP_vector_typeIjLj2EENS0_17counting_iteratorIjlEEPS9_SG_NS0_5tupleIJPjSI_NS0_16reverse_iteratorISI_EEEEENSH_IJSG_SG_SG_EEES9_SI_JZNS1_25segmented_radix_sort_implINS0_14default_configELb0EPKaPaPKlPlN2at6native12_GLOBAL__N_18offset_tEEE10hipError_tPvRmT1_PNSt15iterator_traitsIS12_E10value_typeET2_T3_PNS13_IS18_E10value_typeET4_jRbjT5_S1E_jjP12ihipStream_tbEUljE_ZNSN_ISO_Lb0ESQ_SR_ST_SU_SY_EESZ_S10_S11_S12_S16_S17_S18_S1B_S1C_jS1D_jS1E_S1E_jjS1G_bEUljE0_EEESZ_S10_S11_S18_S1C_S1E_T6_T7_T9_mT8_S1G_bDpT10_ENKUlT_T0_E_clISt17integral_constantIbLb1EES1T_IbLb0EEEEDaS1P_S1Q_EUlS1P_E_NS1_11comp_targetILNS1_3genE8ELNS1_11target_archE1030ELNS1_3gpuE2ELNS1_3repE0EEENS1_30default_config_static_selectorELNS0_4arch9wavefront6targetE0EEEvS12_, .Lfunc_end352-_ZN7rocprim17ROCPRIM_400000_NS6detail17trampoline_kernelINS0_13select_configILj256ELj13ELNS0_17block_load_methodE3ELS4_3ELS4_3ELNS0_20block_scan_algorithmE0ELj4294967295EEENS1_25partition_config_selectorILNS1_17partition_subalgoE4EjNS0_10empty_typeEbEEZZNS1_14partition_implILS8_4ELb0ES6_15HIP_vector_typeIjLj2EENS0_17counting_iteratorIjlEEPS9_SG_NS0_5tupleIJPjSI_NS0_16reverse_iteratorISI_EEEEENSH_IJSG_SG_SG_EEES9_SI_JZNS1_25segmented_radix_sort_implINS0_14default_configELb0EPKaPaPKlPlN2at6native12_GLOBAL__N_18offset_tEEE10hipError_tPvRmT1_PNSt15iterator_traitsIS12_E10value_typeET2_T3_PNS13_IS18_E10value_typeET4_jRbjT5_S1E_jjP12ihipStream_tbEUljE_ZNSN_ISO_Lb0ESQ_SR_ST_SU_SY_EESZ_S10_S11_S12_S16_S17_S18_S1B_S1C_jS1D_jS1E_S1E_jjS1G_bEUljE0_EEESZ_S10_S11_S18_S1C_S1E_T6_T7_T9_mT8_S1G_bDpT10_ENKUlT_T0_E_clISt17integral_constantIbLb1EES1T_IbLb0EEEEDaS1P_S1Q_EUlS1P_E_NS1_11comp_targetILNS1_3genE8ELNS1_11target_archE1030ELNS1_3gpuE2ELNS1_3repE0EEENS1_30default_config_static_selectorELNS0_4arch9wavefront6targetE0EEEvS12_
                                        ; -- End function
	.section	.AMDGPU.csdata,"",@progbits
; Kernel info:
; codeLenInByte = 0
; NumSgprs: 0
; NumVgprs: 0
; ScratchSize: 0
; MemoryBound: 0
; FloatMode: 240
; IeeeMode: 1
; LDSByteSize: 0 bytes/workgroup (compile time only)
; SGPRBlocks: 0
; VGPRBlocks: 0
; NumSGPRsForWavesPerEU: 1
; NumVGPRsForWavesPerEU: 1
; Occupancy: 16
; WaveLimiterHint : 0
; COMPUTE_PGM_RSRC2:SCRATCH_EN: 0
; COMPUTE_PGM_RSRC2:USER_SGPR: 15
; COMPUTE_PGM_RSRC2:TRAP_HANDLER: 0
; COMPUTE_PGM_RSRC2:TGID_X_EN: 1
; COMPUTE_PGM_RSRC2:TGID_Y_EN: 0
; COMPUTE_PGM_RSRC2:TGID_Z_EN: 0
; COMPUTE_PGM_RSRC2:TIDIG_COMP_CNT: 0
	.section	.text._ZN7rocprim17ROCPRIM_400000_NS6detail17trampoline_kernelINS0_13select_configILj256ELj13ELNS0_17block_load_methodE3ELS4_3ELS4_3ELNS0_20block_scan_algorithmE0ELj4294967295EEENS1_25partition_config_selectorILNS1_17partition_subalgoE4EjNS0_10empty_typeEbEEZZNS1_14partition_implILS8_4ELb0ES6_15HIP_vector_typeIjLj2EENS0_17counting_iteratorIjlEEPS9_SG_NS0_5tupleIJPjSI_NS0_16reverse_iteratorISI_EEEEENSH_IJSG_SG_SG_EEES9_SI_JZNS1_25segmented_radix_sort_implINS0_14default_configELb0EPKaPaPKlPlN2at6native12_GLOBAL__N_18offset_tEEE10hipError_tPvRmT1_PNSt15iterator_traitsIS12_E10value_typeET2_T3_PNS13_IS18_E10value_typeET4_jRbjT5_S1E_jjP12ihipStream_tbEUljE_ZNSN_ISO_Lb0ESQ_SR_ST_SU_SY_EESZ_S10_S11_S12_S16_S17_S18_S1B_S1C_jS1D_jS1E_S1E_jjS1G_bEUljE0_EEESZ_S10_S11_S18_S1C_S1E_T6_T7_T9_mT8_S1G_bDpT10_ENKUlT_T0_E_clISt17integral_constantIbLb0EES1T_IbLb1EEEEDaS1P_S1Q_EUlS1P_E_NS1_11comp_targetILNS1_3genE0ELNS1_11target_archE4294967295ELNS1_3gpuE0ELNS1_3repE0EEENS1_30default_config_static_selectorELNS0_4arch9wavefront6targetE0EEEvS12_,"axG",@progbits,_ZN7rocprim17ROCPRIM_400000_NS6detail17trampoline_kernelINS0_13select_configILj256ELj13ELNS0_17block_load_methodE3ELS4_3ELS4_3ELNS0_20block_scan_algorithmE0ELj4294967295EEENS1_25partition_config_selectorILNS1_17partition_subalgoE4EjNS0_10empty_typeEbEEZZNS1_14partition_implILS8_4ELb0ES6_15HIP_vector_typeIjLj2EENS0_17counting_iteratorIjlEEPS9_SG_NS0_5tupleIJPjSI_NS0_16reverse_iteratorISI_EEEEENSH_IJSG_SG_SG_EEES9_SI_JZNS1_25segmented_radix_sort_implINS0_14default_configELb0EPKaPaPKlPlN2at6native12_GLOBAL__N_18offset_tEEE10hipError_tPvRmT1_PNSt15iterator_traitsIS12_E10value_typeET2_T3_PNS13_IS18_E10value_typeET4_jRbjT5_S1E_jjP12ihipStream_tbEUljE_ZNSN_ISO_Lb0ESQ_SR_ST_SU_SY_EESZ_S10_S11_S12_S16_S17_S18_S1B_S1C_jS1D_jS1E_S1E_jjS1G_bEUljE0_EEESZ_S10_S11_S18_S1C_S1E_T6_T7_T9_mT8_S1G_bDpT10_ENKUlT_T0_E_clISt17integral_constantIbLb0EES1T_IbLb1EEEEDaS1P_S1Q_EUlS1P_E_NS1_11comp_targetILNS1_3genE0ELNS1_11target_archE4294967295ELNS1_3gpuE0ELNS1_3repE0EEENS1_30default_config_static_selectorELNS0_4arch9wavefront6targetE0EEEvS12_,comdat
	.globl	_ZN7rocprim17ROCPRIM_400000_NS6detail17trampoline_kernelINS0_13select_configILj256ELj13ELNS0_17block_load_methodE3ELS4_3ELS4_3ELNS0_20block_scan_algorithmE0ELj4294967295EEENS1_25partition_config_selectorILNS1_17partition_subalgoE4EjNS0_10empty_typeEbEEZZNS1_14partition_implILS8_4ELb0ES6_15HIP_vector_typeIjLj2EENS0_17counting_iteratorIjlEEPS9_SG_NS0_5tupleIJPjSI_NS0_16reverse_iteratorISI_EEEEENSH_IJSG_SG_SG_EEES9_SI_JZNS1_25segmented_radix_sort_implINS0_14default_configELb0EPKaPaPKlPlN2at6native12_GLOBAL__N_18offset_tEEE10hipError_tPvRmT1_PNSt15iterator_traitsIS12_E10value_typeET2_T3_PNS13_IS18_E10value_typeET4_jRbjT5_S1E_jjP12ihipStream_tbEUljE_ZNSN_ISO_Lb0ESQ_SR_ST_SU_SY_EESZ_S10_S11_S12_S16_S17_S18_S1B_S1C_jS1D_jS1E_S1E_jjS1G_bEUljE0_EEESZ_S10_S11_S18_S1C_S1E_T6_T7_T9_mT8_S1G_bDpT10_ENKUlT_T0_E_clISt17integral_constantIbLb0EES1T_IbLb1EEEEDaS1P_S1Q_EUlS1P_E_NS1_11comp_targetILNS1_3genE0ELNS1_11target_archE4294967295ELNS1_3gpuE0ELNS1_3repE0EEENS1_30default_config_static_selectorELNS0_4arch9wavefront6targetE0EEEvS12_ ; -- Begin function _ZN7rocprim17ROCPRIM_400000_NS6detail17trampoline_kernelINS0_13select_configILj256ELj13ELNS0_17block_load_methodE3ELS4_3ELS4_3ELNS0_20block_scan_algorithmE0ELj4294967295EEENS1_25partition_config_selectorILNS1_17partition_subalgoE4EjNS0_10empty_typeEbEEZZNS1_14partition_implILS8_4ELb0ES6_15HIP_vector_typeIjLj2EENS0_17counting_iteratorIjlEEPS9_SG_NS0_5tupleIJPjSI_NS0_16reverse_iteratorISI_EEEEENSH_IJSG_SG_SG_EEES9_SI_JZNS1_25segmented_radix_sort_implINS0_14default_configELb0EPKaPaPKlPlN2at6native12_GLOBAL__N_18offset_tEEE10hipError_tPvRmT1_PNSt15iterator_traitsIS12_E10value_typeET2_T3_PNS13_IS18_E10value_typeET4_jRbjT5_S1E_jjP12ihipStream_tbEUljE_ZNSN_ISO_Lb0ESQ_SR_ST_SU_SY_EESZ_S10_S11_S12_S16_S17_S18_S1B_S1C_jS1D_jS1E_S1E_jjS1G_bEUljE0_EEESZ_S10_S11_S18_S1C_S1E_T6_T7_T9_mT8_S1G_bDpT10_ENKUlT_T0_E_clISt17integral_constantIbLb0EES1T_IbLb1EEEEDaS1P_S1Q_EUlS1P_E_NS1_11comp_targetILNS1_3genE0ELNS1_11target_archE4294967295ELNS1_3gpuE0ELNS1_3repE0EEENS1_30default_config_static_selectorELNS0_4arch9wavefront6targetE0EEEvS12_
	.p2align	8
	.type	_ZN7rocprim17ROCPRIM_400000_NS6detail17trampoline_kernelINS0_13select_configILj256ELj13ELNS0_17block_load_methodE3ELS4_3ELS4_3ELNS0_20block_scan_algorithmE0ELj4294967295EEENS1_25partition_config_selectorILNS1_17partition_subalgoE4EjNS0_10empty_typeEbEEZZNS1_14partition_implILS8_4ELb0ES6_15HIP_vector_typeIjLj2EENS0_17counting_iteratorIjlEEPS9_SG_NS0_5tupleIJPjSI_NS0_16reverse_iteratorISI_EEEEENSH_IJSG_SG_SG_EEES9_SI_JZNS1_25segmented_radix_sort_implINS0_14default_configELb0EPKaPaPKlPlN2at6native12_GLOBAL__N_18offset_tEEE10hipError_tPvRmT1_PNSt15iterator_traitsIS12_E10value_typeET2_T3_PNS13_IS18_E10value_typeET4_jRbjT5_S1E_jjP12ihipStream_tbEUljE_ZNSN_ISO_Lb0ESQ_SR_ST_SU_SY_EESZ_S10_S11_S12_S16_S17_S18_S1B_S1C_jS1D_jS1E_S1E_jjS1G_bEUljE0_EEESZ_S10_S11_S18_S1C_S1E_T6_T7_T9_mT8_S1G_bDpT10_ENKUlT_T0_E_clISt17integral_constantIbLb0EES1T_IbLb1EEEEDaS1P_S1Q_EUlS1P_E_NS1_11comp_targetILNS1_3genE0ELNS1_11target_archE4294967295ELNS1_3gpuE0ELNS1_3repE0EEENS1_30default_config_static_selectorELNS0_4arch9wavefront6targetE0EEEvS12_,@function
_ZN7rocprim17ROCPRIM_400000_NS6detail17trampoline_kernelINS0_13select_configILj256ELj13ELNS0_17block_load_methodE3ELS4_3ELS4_3ELNS0_20block_scan_algorithmE0ELj4294967295EEENS1_25partition_config_selectorILNS1_17partition_subalgoE4EjNS0_10empty_typeEbEEZZNS1_14partition_implILS8_4ELb0ES6_15HIP_vector_typeIjLj2EENS0_17counting_iteratorIjlEEPS9_SG_NS0_5tupleIJPjSI_NS0_16reverse_iteratorISI_EEEEENSH_IJSG_SG_SG_EEES9_SI_JZNS1_25segmented_radix_sort_implINS0_14default_configELb0EPKaPaPKlPlN2at6native12_GLOBAL__N_18offset_tEEE10hipError_tPvRmT1_PNSt15iterator_traitsIS12_E10value_typeET2_T3_PNS13_IS18_E10value_typeET4_jRbjT5_S1E_jjP12ihipStream_tbEUljE_ZNSN_ISO_Lb0ESQ_SR_ST_SU_SY_EESZ_S10_S11_S12_S16_S17_S18_S1B_S1C_jS1D_jS1E_S1E_jjS1G_bEUljE0_EEESZ_S10_S11_S18_S1C_S1E_T6_T7_T9_mT8_S1G_bDpT10_ENKUlT_T0_E_clISt17integral_constantIbLb0EES1T_IbLb1EEEEDaS1P_S1Q_EUlS1P_E_NS1_11comp_targetILNS1_3genE0ELNS1_11target_archE4294967295ELNS1_3gpuE0ELNS1_3repE0EEENS1_30default_config_static_selectorELNS0_4arch9wavefront6targetE0EEEvS12_: ; @_ZN7rocprim17ROCPRIM_400000_NS6detail17trampoline_kernelINS0_13select_configILj256ELj13ELNS0_17block_load_methodE3ELS4_3ELS4_3ELNS0_20block_scan_algorithmE0ELj4294967295EEENS1_25partition_config_selectorILNS1_17partition_subalgoE4EjNS0_10empty_typeEbEEZZNS1_14partition_implILS8_4ELb0ES6_15HIP_vector_typeIjLj2EENS0_17counting_iteratorIjlEEPS9_SG_NS0_5tupleIJPjSI_NS0_16reverse_iteratorISI_EEEEENSH_IJSG_SG_SG_EEES9_SI_JZNS1_25segmented_radix_sort_implINS0_14default_configELb0EPKaPaPKlPlN2at6native12_GLOBAL__N_18offset_tEEE10hipError_tPvRmT1_PNSt15iterator_traitsIS12_E10value_typeET2_T3_PNS13_IS18_E10value_typeET4_jRbjT5_S1E_jjP12ihipStream_tbEUljE_ZNSN_ISO_Lb0ESQ_SR_ST_SU_SY_EESZ_S10_S11_S12_S16_S17_S18_S1B_S1C_jS1D_jS1E_S1E_jjS1G_bEUljE0_EEESZ_S10_S11_S18_S1C_S1E_T6_T7_T9_mT8_S1G_bDpT10_ENKUlT_T0_E_clISt17integral_constantIbLb0EES1T_IbLb1EEEEDaS1P_S1Q_EUlS1P_E_NS1_11comp_targetILNS1_3genE0ELNS1_11target_archE4294967295ELNS1_3gpuE0ELNS1_3repE0EEENS1_30default_config_static_selectorELNS0_4arch9wavefront6targetE0EEEvS12_
; %bb.0:
	.section	.rodata,"a",@progbits
	.p2align	6, 0x0
	.amdhsa_kernel _ZN7rocprim17ROCPRIM_400000_NS6detail17trampoline_kernelINS0_13select_configILj256ELj13ELNS0_17block_load_methodE3ELS4_3ELS4_3ELNS0_20block_scan_algorithmE0ELj4294967295EEENS1_25partition_config_selectorILNS1_17partition_subalgoE4EjNS0_10empty_typeEbEEZZNS1_14partition_implILS8_4ELb0ES6_15HIP_vector_typeIjLj2EENS0_17counting_iteratorIjlEEPS9_SG_NS0_5tupleIJPjSI_NS0_16reverse_iteratorISI_EEEEENSH_IJSG_SG_SG_EEES9_SI_JZNS1_25segmented_radix_sort_implINS0_14default_configELb0EPKaPaPKlPlN2at6native12_GLOBAL__N_18offset_tEEE10hipError_tPvRmT1_PNSt15iterator_traitsIS12_E10value_typeET2_T3_PNS13_IS18_E10value_typeET4_jRbjT5_S1E_jjP12ihipStream_tbEUljE_ZNSN_ISO_Lb0ESQ_SR_ST_SU_SY_EESZ_S10_S11_S12_S16_S17_S18_S1B_S1C_jS1D_jS1E_S1E_jjS1G_bEUljE0_EEESZ_S10_S11_S18_S1C_S1E_T6_T7_T9_mT8_S1G_bDpT10_ENKUlT_T0_E_clISt17integral_constantIbLb0EES1T_IbLb1EEEEDaS1P_S1Q_EUlS1P_E_NS1_11comp_targetILNS1_3genE0ELNS1_11target_archE4294967295ELNS1_3gpuE0ELNS1_3repE0EEENS1_30default_config_static_selectorELNS0_4arch9wavefront6targetE0EEEvS12_
		.amdhsa_group_segment_fixed_size 0
		.amdhsa_private_segment_fixed_size 0
		.amdhsa_kernarg_size 184
		.amdhsa_user_sgpr_count 15
		.amdhsa_user_sgpr_dispatch_ptr 0
		.amdhsa_user_sgpr_queue_ptr 0
		.amdhsa_user_sgpr_kernarg_segment_ptr 1
		.amdhsa_user_sgpr_dispatch_id 0
		.amdhsa_user_sgpr_private_segment_size 0
		.amdhsa_wavefront_size32 1
		.amdhsa_uses_dynamic_stack 0
		.amdhsa_enable_private_segment 0
		.amdhsa_system_sgpr_workgroup_id_x 1
		.amdhsa_system_sgpr_workgroup_id_y 0
		.amdhsa_system_sgpr_workgroup_id_z 0
		.amdhsa_system_sgpr_workgroup_info 0
		.amdhsa_system_vgpr_workitem_id 0
		.amdhsa_next_free_vgpr 1
		.amdhsa_next_free_sgpr 1
		.amdhsa_reserve_vcc 0
		.amdhsa_float_round_mode_32 0
		.amdhsa_float_round_mode_16_64 0
		.amdhsa_float_denorm_mode_32 3
		.amdhsa_float_denorm_mode_16_64 3
		.amdhsa_dx10_clamp 1
		.amdhsa_ieee_mode 1
		.amdhsa_fp16_overflow 0
		.amdhsa_workgroup_processor_mode 1
		.amdhsa_memory_ordered 1
		.amdhsa_forward_progress 0
		.amdhsa_shared_vgpr_count 0
		.amdhsa_exception_fp_ieee_invalid_op 0
		.amdhsa_exception_fp_denorm_src 0
		.amdhsa_exception_fp_ieee_div_zero 0
		.amdhsa_exception_fp_ieee_overflow 0
		.amdhsa_exception_fp_ieee_underflow 0
		.amdhsa_exception_fp_ieee_inexact 0
		.amdhsa_exception_int_div_zero 0
	.end_amdhsa_kernel
	.section	.text._ZN7rocprim17ROCPRIM_400000_NS6detail17trampoline_kernelINS0_13select_configILj256ELj13ELNS0_17block_load_methodE3ELS4_3ELS4_3ELNS0_20block_scan_algorithmE0ELj4294967295EEENS1_25partition_config_selectorILNS1_17partition_subalgoE4EjNS0_10empty_typeEbEEZZNS1_14partition_implILS8_4ELb0ES6_15HIP_vector_typeIjLj2EENS0_17counting_iteratorIjlEEPS9_SG_NS0_5tupleIJPjSI_NS0_16reverse_iteratorISI_EEEEENSH_IJSG_SG_SG_EEES9_SI_JZNS1_25segmented_radix_sort_implINS0_14default_configELb0EPKaPaPKlPlN2at6native12_GLOBAL__N_18offset_tEEE10hipError_tPvRmT1_PNSt15iterator_traitsIS12_E10value_typeET2_T3_PNS13_IS18_E10value_typeET4_jRbjT5_S1E_jjP12ihipStream_tbEUljE_ZNSN_ISO_Lb0ESQ_SR_ST_SU_SY_EESZ_S10_S11_S12_S16_S17_S18_S1B_S1C_jS1D_jS1E_S1E_jjS1G_bEUljE0_EEESZ_S10_S11_S18_S1C_S1E_T6_T7_T9_mT8_S1G_bDpT10_ENKUlT_T0_E_clISt17integral_constantIbLb0EES1T_IbLb1EEEEDaS1P_S1Q_EUlS1P_E_NS1_11comp_targetILNS1_3genE0ELNS1_11target_archE4294967295ELNS1_3gpuE0ELNS1_3repE0EEENS1_30default_config_static_selectorELNS0_4arch9wavefront6targetE0EEEvS12_,"axG",@progbits,_ZN7rocprim17ROCPRIM_400000_NS6detail17trampoline_kernelINS0_13select_configILj256ELj13ELNS0_17block_load_methodE3ELS4_3ELS4_3ELNS0_20block_scan_algorithmE0ELj4294967295EEENS1_25partition_config_selectorILNS1_17partition_subalgoE4EjNS0_10empty_typeEbEEZZNS1_14partition_implILS8_4ELb0ES6_15HIP_vector_typeIjLj2EENS0_17counting_iteratorIjlEEPS9_SG_NS0_5tupleIJPjSI_NS0_16reverse_iteratorISI_EEEEENSH_IJSG_SG_SG_EEES9_SI_JZNS1_25segmented_radix_sort_implINS0_14default_configELb0EPKaPaPKlPlN2at6native12_GLOBAL__N_18offset_tEEE10hipError_tPvRmT1_PNSt15iterator_traitsIS12_E10value_typeET2_T3_PNS13_IS18_E10value_typeET4_jRbjT5_S1E_jjP12ihipStream_tbEUljE_ZNSN_ISO_Lb0ESQ_SR_ST_SU_SY_EESZ_S10_S11_S12_S16_S17_S18_S1B_S1C_jS1D_jS1E_S1E_jjS1G_bEUljE0_EEESZ_S10_S11_S18_S1C_S1E_T6_T7_T9_mT8_S1G_bDpT10_ENKUlT_T0_E_clISt17integral_constantIbLb0EES1T_IbLb1EEEEDaS1P_S1Q_EUlS1P_E_NS1_11comp_targetILNS1_3genE0ELNS1_11target_archE4294967295ELNS1_3gpuE0ELNS1_3repE0EEENS1_30default_config_static_selectorELNS0_4arch9wavefront6targetE0EEEvS12_,comdat
.Lfunc_end353:
	.size	_ZN7rocprim17ROCPRIM_400000_NS6detail17trampoline_kernelINS0_13select_configILj256ELj13ELNS0_17block_load_methodE3ELS4_3ELS4_3ELNS0_20block_scan_algorithmE0ELj4294967295EEENS1_25partition_config_selectorILNS1_17partition_subalgoE4EjNS0_10empty_typeEbEEZZNS1_14partition_implILS8_4ELb0ES6_15HIP_vector_typeIjLj2EENS0_17counting_iteratorIjlEEPS9_SG_NS0_5tupleIJPjSI_NS0_16reverse_iteratorISI_EEEEENSH_IJSG_SG_SG_EEES9_SI_JZNS1_25segmented_radix_sort_implINS0_14default_configELb0EPKaPaPKlPlN2at6native12_GLOBAL__N_18offset_tEEE10hipError_tPvRmT1_PNSt15iterator_traitsIS12_E10value_typeET2_T3_PNS13_IS18_E10value_typeET4_jRbjT5_S1E_jjP12ihipStream_tbEUljE_ZNSN_ISO_Lb0ESQ_SR_ST_SU_SY_EESZ_S10_S11_S12_S16_S17_S18_S1B_S1C_jS1D_jS1E_S1E_jjS1G_bEUljE0_EEESZ_S10_S11_S18_S1C_S1E_T6_T7_T9_mT8_S1G_bDpT10_ENKUlT_T0_E_clISt17integral_constantIbLb0EES1T_IbLb1EEEEDaS1P_S1Q_EUlS1P_E_NS1_11comp_targetILNS1_3genE0ELNS1_11target_archE4294967295ELNS1_3gpuE0ELNS1_3repE0EEENS1_30default_config_static_selectorELNS0_4arch9wavefront6targetE0EEEvS12_, .Lfunc_end353-_ZN7rocprim17ROCPRIM_400000_NS6detail17trampoline_kernelINS0_13select_configILj256ELj13ELNS0_17block_load_methodE3ELS4_3ELS4_3ELNS0_20block_scan_algorithmE0ELj4294967295EEENS1_25partition_config_selectorILNS1_17partition_subalgoE4EjNS0_10empty_typeEbEEZZNS1_14partition_implILS8_4ELb0ES6_15HIP_vector_typeIjLj2EENS0_17counting_iteratorIjlEEPS9_SG_NS0_5tupleIJPjSI_NS0_16reverse_iteratorISI_EEEEENSH_IJSG_SG_SG_EEES9_SI_JZNS1_25segmented_radix_sort_implINS0_14default_configELb0EPKaPaPKlPlN2at6native12_GLOBAL__N_18offset_tEEE10hipError_tPvRmT1_PNSt15iterator_traitsIS12_E10value_typeET2_T3_PNS13_IS18_E10value_typeET4_jRbjT5_S1E_jjP12ihipStream_tbEUljE_ZNSN_ISO_Lb0ESQ_SR_ST_SU_SY_EESZ_S10_S11_S12_S16_S17_S18_S1B_S1C_jS1D_jS1E_S1E_jjS1G_bEUljE0_EEESZ_S10_S11_S18_S1C_S1E_T6_T7_T9_mT8_S1G_bDpT10_ENKUlT_T0_E_clISt17integral_constantIbLb0EES1T_IbLb1EEEEDaS1P_S1Q_EUlS1P_E_NS1_11comp_targetILNS1_3genE0ELNS1_11target_archE4294967295ELNS1_3gpuE0ELNS1_3repE0EEENS1_30default_config_static_selectorELNS0_4arch9wavefront6targetE0EEEvS12_
                                        ; -- End function
	.section	.AMDGPU.csdata,"",@progbits
; Kernel info:
; codeLenInByte = 0
; NumSgprs: 0
; NumVgprs: 0
; ScratchSize: 0
; MemoryBound: 0
; FloatMode: 240
; IeeeMode: 1
; LDSByteSize: 0 bytes/workgroup (compile time only)
; SGPRBlocks: 0
; VGPRBlocks: 0
; NumSGPRsForWavesPerEU: 1
; NumVGPRsForWavesPerEU: 1
; Occupancy: 16
; WaveLimiterHint : 0
; COMPUTE_PGM_RSRC2:SCRATCH_EN: 0
; COMPUTE_PGM_RSRC2:USER_SGPR: 15
; COMPUTE_PGM_RSRC2:TRAP_HANDLER: 0
; COMPUTE_PGM_RSRC2:TGID_X_EN: 1
; COMPUTE_PGM_RSRC2:TGID_Y_EN: 0
; COMPUTE_PGM_RSRC2:TGID_Z_EN: 0
; COMPUTE_PGM_RSRC2:TIDIG_COMP_CNT: 0
	.section	.text._ZN7rocprim17ROCPRIM_400000_NS6detail17trampoline_kernelINS0_13select_configILj256ELj13ELNS0_17block_load_methodE3ELS4_3ELS4_3ELNS0_20block_scan_algorithmE0ELj4294967295EEENS1_25partition_config_selectorILNS1_17partition_subalgoE4EjNS0_10empty_typeEbEEZZNS1_14partition_implILS8_4ELb0ES6_15HIP_vector_typeIjLj2EENS0_17counting_iteratorIjlEEPS9_SG_NS0_5tupleIJPjSI_NS0_16reverse_iteratorISI_EEEEENSH_IJSG_SG_SG_EEES9_SI_JZNS1_25segmented_radix_sort_implINS0_14default_configELb0EPKaPaPKlPlN2at6native12_GLOBAL__N_18offset_tEEE10hipError_tPvRmT1_PNSt15iterator_traitsIS12_E10value_typeET2_T3_PNS13_IS18_E10value_typeET4_jRbjT5_S1E_jjP12ihipStream_tbEUljE_ZNSN_ISO_Lb0ESQ_SR_ST_SU_SY_EESZ_S10_S11_S12_S16_S17_S18_S1B_S1C_jS1D_jS1E_S1E_jjS1G_bEUljE0_EEESZ_S10_S11_S18_S1C_S1E_T6_T7_T9_mT8_S1G_bDpT10_ENKUlT_T0_E_clISt17integral_constantIbLb0EES1T_IbLb1EEEEDaS1P_S1Q_EUlS1P_E_NS1_11comp_targetILNS1_3genE5ELNS1_11target_archE942ELNS1_3gpuE9ELNS1_3repE0EEENS1_30default_config_static_selectorELNS0_4arch9wavefront6targetE0EEEvS12_,"axG",@progbits,_ZN7rocprim17ROCPRIM_400000_NS6detail17trampoline_kernelINS0_13select_configILj256ELj13ELNS0_17block_load_methodE3ELS4_3ELS4_3ELNS0_20block_scan_algorithmE0ELj4294967295EEENS1_25partition_config_selectorILNS1_17partition_subalgoE4EjNS0_10empty_typeEbEEZZNS1_14partition_implILS8_4ELb0ES6_15HIP_vector_typeIjLj2EENS0_17counting_iteratorIjlEEPS9_SG_NS0_5tupleIJPjSI_NS0_16reverse_iteratorISI_EEEEENSH_IJSG_SG_SG_EEES9_SI_JZNS1_25segmented_radix_sort_implINS0_14default_configELb0EPKaPaPKlPlN2at6native12_GLOBAL__N_18offset_tEEE10hipError_tPvRmT1_PNSt15iterator_traitsIS12_E10value_typeET2_T3_PNS13_IS18_E10value_typeET4_jRbjT5_S1E_jjP12ihipStream_tbEUljE_ZNSN_ISO_Lb0ESQ_SR_ST_SU_SY_EESZ_S10_S11_S12_S16_S17_S18_S1B_S1C_jS1D_jS1E_S1E_jjS1G_bEUljE0_EEESZ_S10_S11_S18_S1C_S1E_T6_T7_T9_mT8_S1G_bDpT10_ENKUlT_T0_E_clISt17integral_constantIbLb0EES1T_IbLb1EEEEDaS1P_S1Q_EUlS1P_E_NS1_11comp_targetILNS1_3genE5ELNS1_11target_archE942ELNS1_3gpuE9ELNS1_3repE0EEENS1_30default_config_static_selectorELNS0_4arch9wavefront6targetE0EEEvS12_,comdat
	.globl	_ZN7rocprim17ROCPRIM_400000_NS6detail17trampoline_kernelINS0_13select_configILj256ELj13ELNS0_17block_load_methodE3ELS4_3ELS4_3ELNS0_20block_scan_algorithmE0ELj4294967295EEENS1_25partition_config_selectorILNS1_17partition_subalgoE4EjNS0_10empty_typeEbEEZZNS1_14partition_implILS8_4ELb0ES6_15HIP_vector_typeIjLj2EENS0_17counting_iteratorIjlEEPS9_SG_NS0_5tupleIJPjSI_NS0_16reverse_iteratorISI_EEEEENSH_IJSG_SG_SG_EEES9_SI_JZNS1_25segmented_radix_sort_implINS0_14default_configELb0EPKaPaPKlPlN2at6native12_GLOBAL__N_18offset_tEEE10hipError_tPvRmT1_PNSt15iterator_traitsIS12_E10value_typeET2_T3_PNS13_IS18_E10value_typeET4_jRbjT5_S1E_jjP12ihipStream_tbEUljE_ZNSN_ISO_Lb0ESQ_SR_ST_SU_SY_EESZ_S10_S11_S12_S16_S17_S18_S1B_S1C_jS1D_jS1E_S1E_jjS1G_bEUljE0_EEESZ_S10_S11_S18_S1C_S1E_T6_T7_T9_mT8_S1G_bDpT10_ENKUlT_T0_E_clISt17integral_constantIbLb0EES1T_IbLb1EEEEDaS1P_S1Q_EUlS1P_E_NS1_11comp_targetILNS1_3genE5ELNS1_11target_archE942ELNS1_3gpuE9ELNS1_3repE0EEENS1_30default_config_static_selectorELNS0_4arch9wavefront6targetE0EEEvS12_ ; -- Begin function _ZN7rocprim17ROCPRIM_400000_NS6detail17trampoline_kernelINS0_13select_configILj256ELj13ELNS0_17block_load_methodE3ELS4_3ELS4_3ELNS0_20block_scan_algorithmE0ELj4294967295EEENS1_25partition_config_selectorILNS1_17partition_subalgoE4EjNS0_10empty_typeEbEEZZNS1_14partition_implILS8_4ELb0ES6_15HIP_vector_typeIjLj2EENS0_17counting_iteratorIjlEEPS9_SG_NS0_5tupleIJPjSI_NS0_16reverse_iteratorISI_EEEEENSH_IJSG_SG_SG_EEES9_SI_JZNS1_25segmented_radix_sort_implINS0_14default_configELb0EPKaPaPKlPlN2at6native12_GLOBAL__N_18offset_tEEE10hipError_tPvRmT1_PNSt15iterator_traitsIS12_E10value_typeET2_T3_PNS13_IS18_E10value_typeET4_jRbjT5_S1E_jjP12ihipStream_tbEUljE_ZNSN_ISO_Lb0ESQ_SR_ST_SU_SY_EESZ_S10_S11_S12_S16_S17_S18_S1B_S1C_jS1D_jS1E_S1E_jjS1G_bEUljE0_EEESZ_S10_S11_S18_S1C_S1E_T6_T7_T9_mT8_S1G_bDpT10_ENKUlT_T0_E_clISt17integral_constantIbLb0EES1T_IbLb1EEEEDaS1P_S1Q_EUlS1P_E_NS1_11comp_targetILNS1_3genE5ELNS1_11target_archE942ELNS1_3gpuE9ELNS1_3repE0EEENS1_30default_config_static_selectorELNS0_4arch9wavefront6targetE0EEEvS12_
	.p2align	8
	.type	_ZN7rocprim17ROCPRIM_400000_NS6detail17trampoline_kernelINS0_13select_configILj256ELj13ELNS0_17block_load_methodE3ELS4_3ELS4_3ELNS0_20block_scan_algorithmE0ELj4294967295EEENS1_25partition_config_selectorILNS1_17partition_subalgoE4EjNS0_10empty_typeEbEEZZNS1_14partition_implILS8_4ELb0ES6_15HIP_vector_typeIjLj2EENS0_17counting_iteratorIjlEEPS9_SG_NS0_5tupleIJPjSI_NS0_16reverse_iteratorISI_EEEEENSH_IJSG_SG_SG_EEES9_SI_JZNS1_25segmented_radix_sort_implINS0_14default_configELb0EPKaPaPKlPlN2at6native12_GLOBAL__N_18offset_tEEE10hipError_tPvRmT1_PNSt15iterator_traitsIS12_E10value_typeET2_T3_PNS13_IS18_E10value_typeET4_jRbjT5_S1E_jjP12ihipStream_tbEUljE_ZNSN_ISO_Lb0ESQ_SR_ST_SU_SY_EESZ_S10_S11_S12_S16_S17_S18_S1B_S1C_jS1D_jS1E_S1E_jjS1G_bEUljE0_EEESZ_S10_S11_S18_S1C_S1E_T6_T7_T9_mT8_S1G_bDpT10_ENKUlT_T0_E_clISt17integral_constantIbLb0EES1T_IbLb1EEEEDaS1P_S1Q_EUlS1P_E_NS1_11comp_targetILNS1_3genE5ELNS1_11target_archE942ELNS1_3gpuE9ELNS1_3repE0EEENS1_30default_config_static_selectorELNS0_4arch9wavefront6targetE0EEEvS12_,@function
_ZN7rocprim17ROCPRIM_400000_NS6detail17trampoline_kernelINS0_13select_configILj256ELj13ELNS0_17block_load_methodE3ELS4_3ELS4_3ELNS0_20block_scan_algorithmE0ELj4294967295EEENS1_25partition_config_selectorILNS1_17partition_subalgoE4EjNS0_10empty_typeEbEEZZNS1_14partition_implILS8_4ELb0ES6_15HIP_vector_typeIjLj2EENS0_17counting_iteratorIjlEEPS9_SG_NS0_5tupleIJPjSI_NS0_16reverse_iteratorISI_EEEEENSH_IJSG_SG_SG_EEES9_SI_JZNS1_25segmented_radix_sort_implINS0_14default_configELb0EPKaPaPKlPlN2at6native12_GLOBAL__N_18offset_tEEE10hipError_tPvRmT1_PNSt15iterator_traitsIS12_E10value_typeET2_T3_PNS13_IS18_E10value_typeET4_jRbjT5_S1E_jjP12ihipStream_tbEUljE_ZNSN_ISO_Lb0ESQ_SR_ST_SU_SY_EESZ_S10_S11_S12_S16_S17_S18_S1B_S1C_jS1D_jS1E_S1E_jjS1G_bEUljE0_EEESZ_S10_S11_S18_S1C_S1E_T6_T7_T9_mT8_S1G_bDpT10_ENKUlT_T0_E_clISt17integral_constantIbLb0EES1T_IbLb1EEEEDaS1P_S1Q_EUlS1P_E_NS1_11comp_targetILNS1_3genE5ELNS1_11target_archE942ELNS1_3gpuE9ELNS1_3repE0EEENS1_30default_config_static_selectorELNS0_4arch9wavefront6targetE0EEEvS12_: ; @_ZN7rocprim17ROCPRIM_400000_NS6detail17trampoline_kernelINS0_13select_configILj256ELj13ELNS0_17block_load_methodE3ELS4_3ELS4_3ELNS0_20block_scan_algorithmE0ELj4294967295EEENS1_25partition_config_selectorILNS1_17partition_subalgoE4EjNS0_10empty_typeEbEEZZNS1_14partition_implILS8_4ELb0ES6_15HIP_vector_typeIjLj2EENS0_17counting_iteratorIjlEEPS9_SG_NS0_5tupleIJPjSI_NS0_16reverse_iteratorISI_EEEEENSH_IJSG_SG_SG_EEES9_SI_JZNS1_25segmented_radix_sort_implINS0_14default_configELb0EPKaPaPKlPlN2at6native12_GLOBAL__N_18offset_tEEE10hipError_tPvRmT1_PNSt15iterator_traitsIS12_E10value_typeET2_T3_PNS13_IS18_E10value_typeET4_jRbjT5_S1E_jjP12ihipStream_tbEUljE_ZNSN_ISO_Lb0ESQ_SR_ST_SU_SY_EESZ_S10_S11_S12_S16_S17_S18_S1B_S1C_jS1D_jS1E_S1E_jjS1G_bEUljE0_EEESZ_S10_S11_S18_S1C_S1E_T6_T7_T9_mT8_S1G_bDpT10_ENKUlT_T0_E_clISt17integral_constantIbLb0EES1T_IbLb1EEEEDaS1P_S1Q_EUlS1P_E_NS1_11comp_targetILNS1_3genE5ELNS1_11target_archE942ELNS1_3gpuE9ELNS1_3repE0EEENS1_30default_config_static_selectorELNS0_4arch9wavefront6targetE0EEEvS12_
; %bb.0:
	.section	.rodata,"a",@progbits
	.p2align	6, 0x0
	.amdhsa_kernel _ZN7rocprim17ROCPRIM_400000_NS6detail17trampoline_kernelINS0_13select_configILj256ELj13ELNS0_17block_load_methodE3ELS4_3ELS4_3ELNS0_20block_scan_algorithmE0ELj4294967295EEENS1_25partition_config_selectorILNS1_17partition_subalgoE4EjNS0_10empty_typeEbEEZZNS1_14partition_implILS8_4ELb0ES6_15HIP_vector_typeIjLj2EENS0_17counting_iteratorIjlEEPS9_SG_NS0_5tupleIJPjSI_NS0_16reverse_iteratorISI_EEEEENSH_IJSG_SG_SG_EEES9_SI_JZNS1_25segmented_radix_sort_implINS0_14default_configELb0EPKaPaPKlPlN2at6native12_GLOBAL__N_18offset_tEEE10hipError_tPvRmT1_PNSt15iterator_traitsIS12_E10value_typeET2_T3_PNS13_IS18_E10value_typeET4_jRbjT5_S1E_jjP12ihipStream_tbEUljE_ZNSN_ISO_Lb0ESQ_SR_ST_SU_SY_EESZ_S10_S11_S12_S16_S17_S18_S1B_S1C_jS1D_jS1E_S1E_jjS1G_bEUljE0_EEESZ_S10_S11_S18_S1C_S1E_T6_T7_T9_mT8_S1G_bDpT10_ENKUlT_T0_E_clISt17integral_constantIbLb0EES1T_IbLb1EEEEDaS1P_S1Q_EUlS1P_E_NS1_11comp_targetILNS1_3genE5ELNS1_11target_archE942ELNS1_3gpuE9ELNS1_3repE0EEENS1_30default_config_static_selectorELNS0_4arch9wavefront6targetE0EEEvS12_
		.amdhsa_group_segment_fixed_size 0
		.amdhsa_private_segment_fixed_size 0
		.amdhsa_kernarg_size 184
		.amdhsa_user_sgpr_count 15
		.amdhsa_user_sgpr_dispatch_ptr 0
		.amdhsa_user_sgpr_queue_ptr 0
		.amdhsa_user_sgpr_kernarg_segment_ptr 1
		.amdhsa_user_sgpr_dispatch_id 0
		.amdhsa_user_sgpr_private_segment_size 0
		.amdhsa_wavefront_size32 1
		.amdhsa_uses_dynamic_stack 0
		.amdhsa_enable_private_segment 0
		.amdhsa_system_sgpr_workgroup_id_x 1
		.amdhsa_system_sgpr_workgroup_id_y 0
		.amdhsa_system_sgpr_workgroup_id_z 0
		.amdhsa_system_sgpr_workgroup_info 0
		.amdhsa_system_vgpr_workitem_id 0
		.amdhsa_next_free_vgpr 1
		.amdhsa_next_free_sgpr 1
		.amdhsa_reserve_vcc 0
		.amdhsa_float_round_mode_32 0
		.amdhsa_float_round_mode_16_64 0
		.amdhsa_float_denorm_mode_32 3
		.amdhsa_float_denorm_mode_16_64 3
		.amdhsa_dx10_clamp 1
		.amdhsa_ieee_mode 1
		.amdhsa_fp16_overflow 0
		.amdhsa_workgroup_processor_mode 1
		.amdhsa_memory_ordered 1
		.amdhsa_forward_progress 0
		.amdhsa_shared_vgpr_count 0
		.amdhsa_exception_fp_ieee_invalid_op 0
		.amdhsa_exception_fp_denorm_src 0
		.amdhsa_exception_fp_ieee_div_zero 0
		.amdhsa_exception_fp_ieee_overflow 0
		.amdhsa_exception_fp_ieee_underflow 0
		.amdhsa_exception_fp_ieee_inexact 0
		.amdhsa_exception_int_div_zero 0
	.end_amdhsa_kernel
	.section	.text._ZN7rocprim17ROCPRIM_400000_NS6detail17trampoline_kernelINS0_13select_configILj256ELj13ELNS0_17block_load_methodE3ELS4_3ELS4_3ELNS0_20block_scan_algorithmE0ELj4294967295EEENS1_25partition_config_selectorILNS1_17partition_subalgoE4EjNS0_10empty_typeEbEEZZNS1_14partition_implILS8_4ELb0ES6_15HIP_vector_typeIjLj2EENS0_17counting_iteratorIjlEEPS9_SG_NS0_5tupleIJPjSI_NS0_16reverse_iteratorISI_EEEEENSH_IJSG_SG_SG_EEES9_SI_JZNS1_25segmented_radix_sort_implINS0_14default_configELb0EPKaPaPKlPlN2at6native12_GLOBAL__N_18offset_tEEE10hipError_tPvRmT1_PNSt15iterator_traitsIS12_E10value_typeET2_T3_PNS13_IS18_E10value_typeET4_jRbjT5_S1E_jjP12ihipStream_tbEUljE_ZNSN_ISO_Lb0ESQ_SR_ST_SU_SY_EESZ_S10_S11_S12_S16_S17_S18_S1B_S1C_jS1D_jS1E_S1E_jjS1G_bEUljE0_EEESZ_S10_S11_S18_S1C_S1E_T6_T7_T9_mT8_S1G_bDpT10_ENKUlT_T0_E_clISt17integral_constantIbLb0EES1T_IbLb1EEEEDaS1P_S1Q_EUlS1P_E_NS1_11comp_targetILNS1_3genE5ELNS1_11target_archE942ELNS1_3gpuE9ELNS1_3repE0EEENS1_30default_config_static_selectorELNS0_4arch9wavefront6targetE0EEEvS12_,"axG",@progbits,_ZN7rocprim17ROCPRIM_400000_NS6detail17trampoline_kernelINS0_13select_configILj256ELj13ELNS0_17block_load_methodE3ELS4_3ELS4_3ELNS0_20block_scan_algorithmE0ELj4294967295EEENS1_25partition_config_selectorILNS1_17partition_subalgoE4EjNS0_10empty_typeEbEEZZNS1_14partition_implILS8_4ELb0ES6_15HIP_vector_typeIjLj2EENS0_17counting_iteratorIjlEEPS9_SG_NS0_5tupleIJPjSI_NS0_16reverse_iteratorISI_EEEEENSH_IJSG_SG_SG_EEES9_SI_JZNS1_25segmented_radix_sort_implINS0_14default_configELb0EPKaPaPKlPlN2at6native12_GLOBAL__N_18offset_tEEE10hipError_tPvRmT1_PNSt15iterator_traitsIS12_E10value_typeET2_T3_PNS13_IS18_E10value_typeET4_jRbjT5_S1E_jjP12ihipStream_tbEUljE_ZNSN_ISO_Lb0ESQ_SR_ST_SU_SY_EESZ_S10_S11_S12_S16_S17_S18_S1B_S1C_jS1D_jS1E_S1E_jjS1G_bEUljE0_EEESZ_S10_S11_S18_S1C_S1E_T6_T7_T9_mT8_S1G_bDpT10_ENKUlT_T0_E_clISt17integral_constantIbLb0EES1T_IbLb1EEEEDaS1P_S1Q_EUlS1P_E_NS1_11comp_targetILNS1_3genE5ELNS1_11target_archE942ELNS1_3gpuE9ELNS1_3repE0EEENS1_30default_config_static_selectorELNS0_4arch9wavefront6targetE0EEEvS12_,comdat
.Lfunc_end354:
	.size	_ZN7rocprim17ROCPRIM_400000_NS6detail17trampoline_kernelINS0_13select_configILj256ELj13ELNS0_17block_load_methodE3ELS4_3ELS4_3ELNS0_20block_scan_algorithmE0ELj4294967295EEENS1_25partition_config_selectorILNS1_17partition_subalgoE4EjNS0_10empty_typeEbEEZZNS1_14partition_implILS8_4ELb0ES6_15HIP_vector_typeIjLj2EENS0_17counting_iteratorIjlEEPS9_SG_NS0_5tupleIJPjSI_NS0_16reverse_iteratorISI_EEEEENSH_IJSG_SG_SG_EEES9_SI_JZNS1_25segmented_radix_sort_implINS0_14default_configELb0EPKaPaPKlPlN2at6native12_GLOBAL__N_18offset_tEEE10hipError_tPvRmT1_PNSt15iterator_traitsIS12_E10value_typeET2_T3_PNS13_IS18_E10value_typeET4_jRbjT5_S1E_jjP12ihipStream_tbEUljE_ZNSN_ISO_Lb0ESQ_SR_ST_SU_SY_EESZ_S10_S11_S12_S16_S17_S18_S1B_S1C_jS1D_jS1E_S1E_jjS1G_bEUljE0_EEESZ_S10_S11_S18_S1C_S1E_T6_T7_T9_mT8_S1G_bDpT10_ENKUlT_T0_E_clISt17integral_constantIbLb0EES1T_IbLb1EEEEDaS1P_S1Q_EUlS1P_E_NS1_11comp_targetILNS1_3genE5ELNS1_11target_archE942ELNS1_3gpuE9ELNS1_3repE0EEENS1_30default_config_static_selectorELNS0_4arch9wavefront6targetE0EEEvS12_, .Lfunc_end354-_ZN7rocprim17ROCPRIM_400000_NS6detail17trampoline_kernelINS0_13select_configILj256ELj13ELNS0_17block_load_methodE3ELS4_3ELS4_3ELNS0_20block_scan_algorithmE0ELj4294967295EEENS1_25partition_config_selectorILNS1_17partition_subalgoE4EjNS0_10empty_typeEbEEZZNS1_14partition_implILS8_4ELb0ES6_15HIP_vector_typeIjLj2EENS0_17counting_iteratorIjlEEPS9_SG_NS0_5tupleIJPjSI_NS0_16reverse_iteratorISI_EEEEENSH_IJSG_SG_SG_EEES9_SI_JZNS1_25segmented_radix_sort_implINS0_14default_configELb0EPKaPaPKlPlN2at6native12_GLOBAL__N_18offset_tEEE10hipError_tPvRmT1_PNSt15iterator_traitsIS12_E10value_typeET2_T3_PNS13_IS18_E10value_typeET4_jRbjT5_S1E_jjP12ihipStream_tbEUljE_ZNSN_ISO_Lb0ESQ_SR_ST_SU_SY_EESZ_S10_S11_S12_S16_S17_S18_S1B_S1C_jS1D_jS1E_S1E_jjS1G_bEUljE0_EEESZ_S10_S11_S18_S1C_S1E_T6_T7_T9_mT8_S1G_bDpT10_ENKUlT_T0_E_clISt17integral_constantIbLb0EES1T_IbLb1EEEEDaS1P_S1Q_EUlS1P_E_NS1_11comp_targetILNS1_3genE5ELNS1_11target_archE942ELNS1_3gpuE9ELNS1_3repE0EEENS1_30default_config_static_selectorELNS0_4arch9wavefront6targetE0EEEvS12_
                                        ; -- End function
	.section	.AMDGPU.csdata,"",@progbits
; Kernel info:
; codeLenInByte = 0
; NumSgprs: 0
; NumVgprs: 0
; ScratchSize: 0
; MemoryBound: 0
; FloatMode: 240
; IeeeMode: 1
; LDSByteSize: 0 bytes/workgroup (compile time only)
; SGPRBlocks: 0
; VGPRBlocks: 0
; NumSGPRsForWavesPerEU: 1
; NumVGPRsForWavesPerEU: 1
; Occupancy: 16
; WaveLimiterHint : 0
; COMPUTE_PGM_RSRC2:SCRATCH_EN: 0
; COMPUTE_PGM_RSRC2:USER_SGPR: 15
; COMPUTE_PGM_RSRC2:TRAP_HANDLER: 0
; COMPUTE_PGM_RSRC2:TGID_X_EN: 1
; COMPUTE_PGM_RSRC2:TGID_Y_EN: 0
; COMPUTE_PGM_RSRC2:TGID_Z_EN: 0
; COMPUTE_PGM_RSRC2:TIDIG_COMP_CNT: 0
	.section	.text._ZN7rocprim17ROCPRIM_400000_NS6detail17trampoline_kernelINS0_13select_configILj256ELj13ELNS0_17block_load_methodE3ELS4_3ELS4_3ELNS0_20block_scan_algorithmE0ELj4294967295EEENS1_25partition_config_selectorILNS1_17partition_subalgoE4EjNS0_10empty_typeEbEEZZNS1_14partition_implILS8_4ELb0ES6_15HIP_vector_typeIjLj2EENS0_17counting_iteratorIjlEEPS9_SG_NS0_5tupleIJPjSI_NS0_16reverse_iteratorISI_EEEEENSH_IJSG_SG_SG_EEES9_SI_JZNS1_25segmented_radix_sort_implINS0_14default_configELb0EPKaPaPKlPlN2at6native12_GLOBAL__N_18offset_tEEE10hipError_tPvRmT1_PNSt15iterator_traitsIS12_E10value_typeET2_T3_PNS13_IS18_E10value_typeET4_jRbjT5_S1E_jjP12ihipStream_tbEUljE_ZNSN_ISO_Lb0ESQ_SR_ST_SU_SY_EESZ_S10_S11_S12_S16_S17_S18_S1B_S1C_jS1D_jS1E_S1E_jjS1G_bEUljE0_EEESZ_S10_S11_S18_S1C_S1E_T6_T7_T9_mT8_S1G_bDpT10_ENKUlT_T0_E_clISt17integral_constantIbLb0EES1T_IbLb1EEEEDaS1P_S1Q_EUlS1P_E_NS1_11comp_targetILNS1_3genE4ELNS1_11target_archE910ELNS1_3gpuE8ELNS1_3repE0EEENS1_30default_config_static_selectorELNS0_4arch9wavefront6targetE0EEEvS12_,"axG",@progbits,_ZN7rocprim17ROCPRIM_400000_NS6detail17trampoline_kernelINS0_13select_configILj256ELj13ELNS0_17block_load_methodE3ELS4_3ELS4_3ELNS0_20block_scan_algorithmE0ELj4294967295EEENS1_25partition_config_selectorILNS1_17partition_subalgoE4EjNS0_10empty_typeEbEEZZNS1_14partition_implILS8_4ELb0ES6_15HIP_vector_typeIjLj2EENS0_17counting_iteratorIjlEEPS9_SG_NS0_5tupleIJPjSI_NS0_16reverse_iteratorISI_EEEEENSH_IJSG_SG_SG_EEES9_SI_JZNS1_25segmented_radix_sort_implINS0_14default_configELb0EPKaPaPKlPlN2at6native12_GLOBAL__N_18offset_tEEE10hipError_tPvRmT1_PNSt15iterator_traitsIS12_E10value_typeET2_T3_PNS13_IS18_E10value_typeET4_jRbjT5_S1E_jjP12ihipStream_tbEUljE_ZNSN_ISO_Lb0ESQ_SR_ST_SU_SY_EESZ_S10_S11_S12_S16_S17_S18_S1B_S1C_jS1D_jS1E_S1E_jjS1G_bEUljE0_EEESZ_S10_S11_S18_S1C_S1E_T6_T7_T9_mT8_S1G_bDpT10_ENKUlT_T0_E_clISt17integral_constantIbLb0EES1T_IbLb1EEEEDaS1P_S1Q_EUlS1P_E_NS1_11comp_targetILNS1_3genE4ELNS1_11target_archE910ELNS1_3gpuE8ELNS1_3repE0EEENS1_30default_config_static_selectorELNS0_4arch9wavefront6targetE0EEEvS12_,comdat
	.globl	_ZN7rocprim17ROCPRIM_400000_NS6detail17trampoline_kernelINS0_13select_configILj256ELj13ELNS0_17block_load_methodE3ELS4_3ELS4_3ELNS0_20block_scan_algorithmE0ELj4294967295EEENS1_25partition_config_selectorILNS1_17partition_subalgoE4EjNS0_10empty_typeEbEEZZNS1_14partition_implILS8_4ELb0ES6_15HIP_vector_typeIjLj2EENS0_17counting_iteratorIjlEEPS9_SG_NS0_5tupleIJPjSI_NS0_16reverse_iteratorISI_EEEEENSH_IJSG_SG_SG_EEES9_SI_JZNS1_25segmented_radix_sort_implINS0_14default_configELb0EPKaPaPKlPlN2at6native12_GLOBAL__N_18offset_tEEE10hipError_tPvRmT1_PNSt15iterator_traitsIS12_E10value_typeET2_T3_PNS13_IS18_E10value_typeET4_jRbjT5_S1E_jjP12ihipStream_tbEUljE_ZNSN_ISO_Lb0ESQ_SR_ST_SU_SY_EESZ_S10_S11_S12_S16_S17_S18_S1B_S1C_jS1D_jS1E_S1E_jjS1G_bEUljE0_EEESZ_S10_S11_S18_S1C_S1E_T6_T7_T9_mT8_S1G_bDpT10_ENKUlT_T0_E_clISt17integral_constantIbLb0EES1T_IbLb1EEEEDaS1P_S1Q_EUlS1P_E_NS1_11comp_targetILNS1_3genE4ELNS1_11target_archE910ELNS1_3gpuE8ELNS1_3repE0EEENS1_30default_config_static_selectorELNS0_4arch9wavefront6targetE0EEEvS12_ ; -- Begin function _ZN7rocprim17ROCPRIM_400000_NS6detail17trampoline_kernelINS0_13select_configILj256ELj13ELNS0_17block_load_methodE3ELS4_3ELS4_3ELNS0_20block_scan_algorithmE0ELj4294967295EEENS1_25partition_config_selectorILNS1_17partition_subalgoE4EjNS0_10empty_typeEbEEZZNS1_14partition_implILS8_4ELb0ES6_15HIP_vector_typeIjLj2EENS0_17counting_iteratorIjlEEPS9_SG_NS0_5tupleIJPjSI_NS0_16reverse_iteratorISI_EEEEENSH_IJSG_SG_SG_EEES9_SI_JZNS1_25segmented_radix_sort_implINS0_14default_configELb0EPKaPaPKlPlN2at6native12_GLOBAL__N_18offset_tEEE10hipError_tPvRmT1_PNSt15iterator_traitsIS12_E10value_typeET2_T3_PNS13_IS18_E10value_typeET4_jRbjT5_S1E_jjP12ihipStream_tbEUljE_ZNSN_ISO_Lb0ESQ_SR_ST_SU_SY_EESZ_S10_S11_S12_S16_S17_S18_S1B_S1C_jS1D_jS1E_S1E_jjS1G_bEUljE0_EEESZ_S10_S11_S18_S1C_S1E_T6_T7_T9_mT8_S1G_bDpT10_ENKUlT_T0_E_clISt17integral_constantIbLb0EES1T_IbLb1EEEEDaS1P_S1Q_EUlS1P_E_NS1_11comp_targetILNS1_3genE4ELNS1_11target_archE910ELNS1_3gpuE8ELNS1_3repE0EEENS1_30default_config_static_selectorELNS0_4arch9wavefront6targetE0EEEvS12_
	.p2align	8
	.type	_ZN7rocprim17ROCPRIM_400000_NS6detail17trampoline_kernelINS0_13select_configILj256ELj13ELNS0_17block_load_methodE3ELS4_3ELS4_3ELNS0_20block_scan_algorithmE0ELj4294967295EEENS1_25partition_config_selectorILNS1_17partition_subalgoE4EjNS0_10empty_typeEbEEZZNS1_14partition_implILS8_4ELb0ES6_15HIP_vector_typeIjLj2EENS0_17counting_iteratorIjlEEPS9_SG_NS0_5tupleIJPjSI_NS0_16reverse_iteratorISI_EEEEENSH_IJSG_SG_SG_EEES9_SI_JZNS1_25segmented_radix_sort_implINS0_14default_configELb0EPKaPaPKlPlN2at6native12_GLOBAL__N_18offset_tEEE10hipError_tPvRmT1_PNSt15iterator_traitsIS12_E10value_typeET2_T3_PNS13_IS18_E10value_typeET4_jRbjT5_S1E_jjP12ihipStream_tbEUljE_ZNSN_ISO_Lb0ESQ_SR_ST_SU_SY_EESZ_S10_S11_S12_S16_S17_S18_S1B_S1C_jS1D_jS1E_S1E_jjS1G_bEUljE0_EEESZ_S10_S11_S18_S1C_S1E_T6_T7_T9_mT8_S1G_bDpT10_ENKUlT_T0_E_clISt17integral_constantIbLb0EES1T_IbLb1EEEEDaS1P_S1Q_EUlS1P_E_NS1_11comp_targetILNS1_3genE4ELNS1_11target_archE910ELNS1_3gpuE8ELNS1_3repE0EEENS1_30default_config_static_selectorELNS0_4arch9wavefront6targetE0EEEvS12_,@function
_ZN7rocprim17ROCPRIM_400000_NS6detail17trampoline_kernelINS0_13select_configILj256ELj13ELNS0_17block_load_methodE3ELS4_3ELS4_3ELNS0_20block_scan_algorithmE0ELj4294967295EEENS1_25partition_config_selectorILNS1_17partition_subalgoE4EjNS0_10empty_typeEbEEZZNS1_14partition_implILS8_4ELb0ES6_15HIP_vector_typeIjLj2EENS0_17counting_iteratorIjlEEPS9_SG_NS0_5tupleIJPjSI_NS0_16reverse_iteratorISI_EEEEENSH_IJSG_SG_SG_EEES9_SI_JZNS1_25segmented_radix_sort_implINS0_14default_configELb0EPKaPaPKlPlN2at6native12_GLOBAL__N_18offset_tEEE10hipError_tPvRmT1_PNSt15iterator_traitsIS12_E10value_typeET2_T3_PNS13_IS18_E10value_typeET4_jRbjT5_S1E_jjP12ihipStream_tbEUljE_ZNSN_ISO_Lb0ESQ_SR_ST_SU_SY_EESZ_S10_S11_S12_S16_S17_S18_S1B_S1C_jS1D_jS1E_S1E_jjS1G_bEUljE0_EEESZ_S10_S11_S18_S1C_S1E_T6_T7_T9_mT8_S1G_bDpT10_ENKUlT_T0_E_clISt17integral_constantIbLb0EES1T_IbLb1EEEEDaS1P_S1Q_EUlS1P_E_NS1_11comp_targetILNS1_3genE4ELNS1_11target_archE910ELNS1_3gpuE8ELNS1_3repE0EEENS1_30default_config_static_selectorELNS0_4arch9wavefront6targetE0EEEvS12_: ; @_ZN7rocprim17ROCPRIM_400000_NS6detail17trampoline_kernelINS0_13select_configILj256ELj13ELNS0_17block_load_methodE3ELS4_3ELS4_3ELNS0_20block_scan_algorithmE0ELj4294967295EEENS1_25partition_config_selectorILNS1_17partition_subalgoE4EjNS0_10empty_typeEbEEZZNS1_14partition_implILS8_4ELb0ES6_15HIP_vector_typeIjLj2EENS0_17counting_iteratorIjlEEPS9_SG_NS0_5tupleIJPjSI_NS0_16reverse_iteratorISI_EEEEENSH_IJSG_SG_SG_EEES9_SI_JZNS1_25segmented_radix_sort_implINS0_14default_configELb0EPKaPaPKlPlN2at6native12_GLOBAL__N_18offset_tEEE10hipError_tPvRmT1_PNSt15iterator_traitsIS12_E10value_typeET2_T3_PNS13_IS18_E10value_typeET4_jRbjT5_S1E_jjP12ihipStream_tbEUljE_ZNSN_ISO_Lb0ESQ_SR_ST_SU_SY_EESZ_S10_S11_S12_S16_S17_S18_S1B_S1C_jS1D_jS1E_S1E_jjS1G_bEUljE0_EEESZ_S10_S11_S18_S1C_S1E_T6_T7_T9_mT8_S1G_bDpT10_ENKUlT_T0_E_clISt17integral_constantIbLb0EES1T_IbLb1EEEEDaS1P_S1Q_EUlS1P_E_NS1_11comp_targetILNS1_3genE4ELNS1_11target_archE910ELNS1_3gpuE8ELNS1_3repE0EEENS1_30default_config_static_selectorELNS0_4arch9wavefront6targetE0EEEvS12_
; %bb.0:
	.section	.rodata,"a",@progbits
	.p2align	6, 0x0
	.amdhsa_kernel _ZN7rocprim17ROCPRIM_400000_NS6detail17trampoline_kernelINS0_13select_configILj256ELj13ELNS0_17block_load_methodE3ELS4_3ELS4_3ELNS0_20block_scan_algorithmE0ELj4294967295EEENS1_25partition_config_selectorILNS1_17partition_subalgoE4EjNS0_10empty_typeEbEEZZNS1_14partition_implILS8_4ELb0ES6_15HIP_vector_typeIjLj2EENS0_17counting_iteratorIjlEEPS9_SG_NS0_5tupleIJPjSI_NS0_16reverse_iteratorISI_EEEEENSH_IJSG_SG_SG_EEES9_SI_JZNS1_25segmented_radix_sort_implINS0_14default_configELb0EPKaPaPKlPlN2at6native12_GLOBAL__N_18offset_tEEE10hipError_tPvRmT1_PNSt15iterator_traitsIS12_E10value_typeET2_T3_PNS13_IS18_E10value_typeET4_jRbjT5_S1E_jjP12ihipStream_tbEUljE_ZNSN_ISO_Lb0ESQ_SR_ST_SU_SY_EESZ_S10_S11_S12_S16_S17_S18_S1B_S1C_jS1D_jS1E_S1E_jjS1G_bEUljE0_EEESZ_S10_S11_S18_S1C_S1E_T6_T7_T9_mT8_S1G_bDpT10_ENKUlT_T0_E_clISt17integral_constantIbLb0EES1T_IbLb1EEEEDaS1P_S1Q_EUlS1P_E_NS1_11comp_targetILNS1_3genE4ELNS1_11target_archE910ELNS1_3gpuE8ELNS1_3repE0EEENS1_30default_config_static_selectorELNS0_4arch9wavefront6targetE0EEEvS12_
		.amdhsa_group_segment_fixed_size 0
		.amdhsa_private_segment_fixed_size 0
		.amdhsa_kernarg_size 184
		.amdhsa_user_sgpr_count 15
		.amdhsa_user_sgpr_dispatch_ptr 0
		.amdhsa_user_sgpr_queue_ptr 0
		.amdhsa_user_sgpr_kernarg_segment_ptr 1
		.amdhsa_user_sgpr_dispatch_id 0
		.amdhsa_user_sgpr_private_segment_size 0
		.amdhsa_wavefront_size32 1
		.amdhsa_uses_dynamic_stack 0
		.amdhsa_enable_private_segment 0
		.amdhsa_system_sgpr_workgroup_id_x 1
		.amdhsa_system_sgpr_workgroup_id_y 0
		.amdhsa_system_sgpr_workgroup_id_z 0
		.amdhsa_system_sgpr_workgroup_info 0
		.amdhsa_system_vgpr_workitem_id 0
		.amdhsa_next_free_vgpr 1
		.amdhsa_next_free_sgpr 1
		.amdhsa_reserve_vcc 0
		.amdhsa_float_round_mode_32 0
		.amdhsa_float_round_mode_16_64 0
		.amdhsa_float_denorm_mode_32 3
		.amdhsa_float_denorm_mode_16_64 3
		.amdhsa_dx10_clamp 1
		.amdhsa_ieee_mode 1
		.amdhsa_fp16_overflow 0
		.amdhsa_workgroup_processor_mode 1
		.amdhsa_memory_ordered 1
		.amdhsa_forward_progress 0
		.amdhsa_shared_vgpr_count 0
		.amdhsa_exception_fp_ieee_invalid_op 0
		.amdhsa_exception_fp_denorm_src 0
		.amdhsa_exception_fp_ieee_div_zero 0
		.amdhsa_exception_fp_ieee_overflow 0
		.amdhsa_exception_fp_ieee_underflow 0
		.amdhsa_exception_fp_ieee_inexact 0
		.amdhsa_exception_int_div_zero 0
	.end_amdhsa_kernel
	.section	.text._ZN7rocprim17ROCPRIM_400000_NS6detail17trampoline_kernelINS0_13select_configILj256ELj13ELNS0_17block_load_methodE3ELS4_3ELS4_3ELNS0_20block_scan_algorithmE0ELj4294967295EEENS1_25partition_config_selectorILNS1_17partition_subalgoE4EjNS0_10empty_typeEbEEZZNS1_14partition_implILS8_4ELb0ES6_15HIP_vector_typeIjLj2EENS0_17counting_iteratorIjlEEPS9_SG_NS0_5tupleIJPjSI_NS0_16reverse_iteratorISI_EEEEENSH_IJSG_SG_SG_EEES9_SI_JZNS1_25segmented_radix_sort_implINS0_14default_configELb0EPKaPaPKlPlN2at6native12_GLOBAL__N_18offset_tEEE10hipError_tPvRmT1_PNSt15iterator_traitsIS12_E10value_typeET2_T3_PNS13_IS18_E10value_typeET4_jRbjT5_S1E_jjP12ihipStream_tbEUljE_ZNSN_ISO_Lb0ESQ_SR_ST_SU_SY_EESZ_S10_S11_S12_S16_S17_S18_S1B_S1C_jS1D_jS1E_S1E_jjS1G_bEUljE0_EEESZ_S10_S11_S18_S1C_S1E_T6_T7_T9_mT8_S1G_bDpT10_ENKUlT_T0_E_clISt17integral_constantIbLb0EES1T_IbLb1EEEEDaS1P_S1Q_EUlS1P_E_NS1_11comp_targetILNS1_3genE4ELNS1_11target_archE910ELNS1_3gpuE8ELNS1_3repE0EEENS1_30default_config_static_selectorELNS0_4arch9wavefront6targetE0EEEvS12_,"axG",@progbits,_ZN7rocprim17ROCPRIM_400000_NS6detail17trampoline_kernelINS0_13select_configILj256ELj13ELNS0_17block_load_methodE3ELS4_3ELS4_3ELNS0_20block_scan_algorithmE0ELj4294967295EEENS1_25partition_config_selectorILNS1_17partition_subalgoE4EjNS0_10empty_typeEbEEZZNS1_14partition_implILS8_4ELb0ES6_15HIP_vector_typeIjLj2EENS0_17counting_iteratorIjlEEPS9_SG_NS0_5tupleIJPjSI_NS0_16reverse_iteratorISI_EEEEENSH_IJSG_SG_SG_EEES9_SI_JZNS1_25segmented_radix_sort_implINS0_14default_configELb0EPKaPaPKlPlN2at6native12_GLOBAL__N_18offset_tEEE10hipError_tPvRmT1_PNSt15iterator_traitsIS12_E10value_typeET2_T3_PNS13_IS18_E10value_typeET4_jRbjT5_S1E_jjP12ihipStream_tbEUljE_ZNSN_ISO_Lb0ESQ_SR_ST_SU_SY_EESZ_S10_S11_S12_S16_S17_S18_S1B_S1C_jS1D_jS1E_S1E_jjS1G_bEUljE0_EEESZ_S10_S11_S18_S1C_S1E_T6_T7_T9_mT8_S1G_bDpT10_ENKUlT_T0_E_clISt17integral_constantIbLb0EES1T_IbLb1EEEEDaS1P_S1Q_EUlS1P_E_NS1_11comp_targetILNS1_3genE4ELNS1_11target_archE910ELNS1_3gpuE8ELNS1_3repE0EEENS1_30default_config_static_selectorELNS0_4arch9wavefront6targetE0EEEvS12_,comdat
.Lfunc_end355:
	.size	_ZN7rocprim17ROCPRIM_400000_NS6detail17trampoline_kernelINS0_13select_configILj256ELj13ELNS0_17block_load_methodE3ELS4_3ELS4_3ELNS0_20block_scan_algorithmE0ELj4294967295EEENS1_25partition_config_selectorILNS1_17partition_subalgoE4EjNS0_10empty_typeEbEEZZNS1_14partition_implILS8_4ELb0ES6_15HIP_vector_typeIjLj2EENS0_17counting_iteratorIjlEEPS9_SG_NS0_5tupleIJPjSI_NS0_16reverse_iteratorISI_EEEEENSH_IJSG_SG_SG_EEES9_SI_JZNS1_25segmented_radix_sort_implINS0_14default_configELb0EPKaPaPKlPlN2at6native12_GLOBAL__N_18offset_tEEE10hipError_tPvRmT1_PNSt15iterator_traitsIS12_E10value_typeET2_T3_PNS13_IS18_E10value_typeET4_jRbjT5_S1E_jjP12ihipStream_tbEUljE_ZNSN_ISO_Lb0ESQ_SR_ST_SU_SY_EESZ_S10_S11_S12_S16_S17_S18_S1B_S1C_jS1D_jS1E_S1E_jjS1G_bEUljE0_EEESZ_S10_S11_S18_S1C_S1E_T6_T7_T9_mT8_S1G_bDpT10_ENKUlT_T0_E_clISt17integral_constantIbLb0EES1T_IbLb1EEEEDaS1P_S1Q_EUlS1P_E_NS1_11comp_targetILNS1_3genE4ELNS1_11target_archE910ELNS1_3gpuE8ELNS1_3repE0EEENS1_30default_config_static_selectorELNS0_4arch9wavefront6targetE0EEEvS12_, .Lfunc_end355-_ZN7rocprim17ROCPRIM_400000_NS6detail17trampoline_kernelINS0_13select_configILj256ELj13ELNS0_17block_load_methodE3ELS4_3ELS4_3ELNS0_20block_scan_algorithmE0ELj4294967295EEENS1_25partition_config_selectorILNS1_17partition_subalgoE4EjNS0_10empty_typeEbEEZZNS1_14partition_implILS8_4ELb0ES6_15HIP_vector_typeIjLj2EENS0_17counting_iteratorIjlEEPS9_SG_NS0_5tupleIJPjSI_NS0_16reverse_iteratorISI_EEEEENSH_IJSG_SG_SG_EEES9_SI_JZNS1_25segmented_radix_sort_implINS0_14default_configELb0EPKaPaPKlPlN2at6native12_GLOBAL__N_18offset_tEEE10hipError_tPvRmT1_PNSt15iterator_traitsIS12_E10value_typeET2_T3_PNS13_IS18_E10value_typeET4_jRbjT5_S1E_jjP12ihipStream_tbEUljE_ZNSN_ISO_Lb0ESQ_SR_ST_SU_SY_EESZ_S10_S11_S12_S16_S17_S18_S1B_S1C_jS1D_jS1E_S1E_jjS1G_bEUljE0_EEESZ_S10_S11_S18_S1C_S1E_T6_T7_T9_mT8_S1G_bDpT10_ENKUlT_T0_E_clISt17integral_constantIbLb0EES1T_IbLb1EEEEDaS1P_S1Q_EUlS1P_E_NS1_11comp_targetILNS1_3genE4ELNS1_11target_archE910ELNS1_3gpuE8ELNS1_3repE0EEENS1_30default_config_static_selectorELNS0_4arch9wavefront6targetE0EEEvS12_
                                        ; -- End function
	.section	.AMDGPU.csdata,"",@progbits
; Kernel info:
; codeLenInByte = 0
; NumSgprs: 0
; NumVgprs: 0
; ScratchSize: 0
; MemoryBound: 0
; FloatMode: 240
; IeeeMode: 1
; LDSByteSize: 0 bytes/workgroup (compile time only)
; SGPRBlocks: 0
; VGPRBlocks: 0
; NumSGPRsForWavesPerEU: 1
; NumVGPRsForWavesPerEU: 1
; Occupancy: 16
; WaveLimiterHint : 0
; COMPUTE_PGM_RSRC2:SCRATCH_EN: 0
; COMPUTE_PGM_RSRC2:USER_SGPR: 15
; COMPUTE_PGM_RSRC2:TRAP_HANDLER: 0
; COMPUTE_PGM_RSRC2:TGID_X_EN: 1
; COMPUTE_PGM_RSRC2:TGID_Y_EN: 0
; COMPUTE_PGM_RSRC2:TGID_Z_EN: 0
; COMPUTE_PGM_RSRC2:TIDIG_COMP_CNT: 0
	.section	.text._ZN7rocprim17ROCPRIM_400000_NS6detail17trampoline_kernelINS0_13select_configILj256ELj13ELNS0_17block_load_methodE3ELS4_3ELS4_3ELNS0_20block_scan_algorithmE0ELj4294967295EEENS1_25partition_config_selectorILNS1_17partition_subalgoE4EjNS0_10empty_typeEbEEZZNS1_14partition_implILS8_4ELb0ES6_15HIP_vector_typeIjLj2EENS0_17counting_iteratorIjlEEPS9_SG_NS0_5tupleIJPjSI_NS0_16reverse_iteratorISI_EEEEENSH_IJSG_SG_SG_EEES9_SI_JZNS1_25segmented_radix_sort_implINS0_14default_configELb0EPKaPaPKlPlN2at6native12_GLOBAL__N_18offset_tEEE10hipError_tPvRmT1_PNSt15iterator_traitsIS12_E10value_typeET2_T3_PNS13_IS18_E10value_typeET4_jRbjT5_S1E_jjP12ihipStream_tbEUljE_ZNSN_ISO_Lb0ESQ_SR_ST_SU_SY_EESZ_S10_S11_S12_S16_S17_S18_S1B_S1C_jS1D_jS1E_S1E_jjS1G_bEUljE0_EEESZ_S10_S11_S18_S1C_S1E_T6_T7_T9_mT8_S1G_bDpT10_ENKUlT_T0_E_clISt17integral_constantIbLb0EES1T_IbLb1EEEEDaS1P_S1Q_EUlS1P_E_NS1_11comp_targetILNS1_3genE3ELNS1_11target_archE908ELNS1_3gpuE7ELNS1_3repE0EEENS1_30default_config_static_selectorELNS0_4arch9wavefront6targetE0EEEvS12_,"axG",@progbits,_ZN7rocprim17ROCPRIM_400000_NS6detail17trampoline_kernelINS0_13select_configILj256ELj13ELNS0_17block_load_methodE3ELS4_3ELS4_3ELNS0_20block_scan_algorithmE0ELj4294967295EEENS1_25partition_config_selectorILNS1_17partition_subalgoE4EjNS0_10empty_typeEbEEZZNS1_14partition_implILS8_4ELb0ES6_15HIP_vector_typeIjLj2EENS0_17counting_iteratorIjlEEPS9_SG_NS0_5tupleIJPjSI_NS0_16reverse_iteratorISI_EEEEENSH_IJSG_SG_SG_EEES9_SI_JZNS1_25segmented_radix_sort_implINS0_14default_configELb0EPKaPaPKlPlN2at6native12_GLOBAL__N_18offset_tEEE10hipError_tPvRmT1_PNSt15iterator_traitsIS12_E10value_typeET2_T3_PNS13_IS18_E10value_typeET4_jRbjT5_S1E_jjP12ihipStream_tbEUljE_ZNSN_ISO_Lb0ESQ_SR_ST_SU_SY_EESZ_S10_S11_S12_S16_S17_S18_S1B_S1C_jS1D_jS1E_S1E_jjS1G_bEUljE0_EEESZ_S10_S11_S18_S1C_S1E_T6_T7_T9_mT8_S1G_bDpT10_ENKUlT_T0_E_clISt17integral_constantIbLb0EES1T_IbLb1EEEEDaS1P_S1Q_EUlS1P_E_NS1_11comp_targetILNS1_3genE3ELNS1_11target_archE908ELNS1_3gpuE7ELNS1_3repE0EEENS1_30default_config_static_selectorELNS0_4arch9wavefront6targetE0EEEvS12_,comdat
	.globl	_ZN7rocprim17ROCPRIM_400000_NS6detail17trampoline_kernelINS0_13select_configILj256ELj13ELNS0_17block_load_methodE3ELS4_3ELS4_3ELNS0_20block_scan_algorithmE0ELj4294967295EEENS1_25partition_config_selectorILNS1_17partition_subalgoE4EjNS0_10empty_typeEbEEZZNS1_14partition_implILS8_4ELb0ES6_15HIP_vector_typeIjLj2EENS0_17counting_iteratorIjlEEPS9_SG_NS0_5tupleIJPjSI_NS0_16reverse_iteratorISI_EEEEENSH_IJSG_SG_SG_EEES9_SI_JZNS1_25segmented_radix_sort_implINS0_14default_configELb0EPKaPaPKlPlN2at6native12_GLOBAL__N_18offset_tEEE10hipError_tPvRmT1_PNSt15iterator_traitsIS12_E10value_typeET2_T3_PNS13_IS18_E10value_typeET4_jRbjT5_S1E_jjP12ihipStream_tbEUljE_ZNSN_ISO_Lb0ESQ_SR_ST_SU_SY_EESZ_S10_S11_S12_S16_S17_S18_S1B_S1C_jS1D_jS1E_S1E_jjS1G_bEUljE0_EEESZ_S10_S11_S18_S1C_S1E_T6_T7_T9_mT8_S1G_bDpT10_ENKUlT_T0_E_clISt17integral_constantIbLb0EES1T_IbLb1EEEEDaS1P_S1Q_EUlS1P_E_NS1_11comp_targetILNS1_3genE3ELNS1_11target_archE908ELNS1_3gpuE7ELNS1_3repE0EEENS1_30default_config_static_selectorELNS0_4arch9wavefront6targetE0EEEvS12_ ; -- Begin function _ZN7rocprim17ROCPRIM_400000_NS6detail17trampoline_kernelINS0_13select_configILj256ELj13ELNS0_17block_load_methodE3ELS4_3ELS4_3ELNS0_20block_scan_algorithmE0ELj4294967295EEENS1_25partition_config_selectorILNS1_17partition_subalgoE4EjNS0_10empty_typeEbEEZZNS1_14partition_implILS8_4ELb0ES6_15HIP_vector_typeIjLj2EENS0_17counting_iteratorIjlEEPS9_SG_NS0_5tupleIJPjSI_NS0_16reverse_iteratorISI_EEEEENSH_IJSG_SG_SG_EEES9_SI_JZNS1_25segmented_radix_sort_implINS0_14default_configELb0EPKaPaPKlPlN2at6native12_GLOBAL__N_18offset_tEEE10hipError_tPvRmT1_PNSt15iterator_traitsIS12_E10value_typeET2_T3_PNS13_IS18_E10value_typeET4_jRbjT5_S1E_jjP12ihipStream_tbEUljE_ZNSN_ISO_Lb0ESQ_SR_ST_SU_SY_EESZ_S10_S11_S12_S16_S17_S18_S1B_S1C_jS1D_jS1E_S1E_jjS1G_bEUljE0_EEESZ_S10_S11_S18_S1C_S1E_T6_T7_T9_mT8_S1G_bDpT10_ENKUlT_T0_E_clISt17integral_constantIbLb0EES1T_IbLb1EEEEDaS1P_S1Q_EUlS1P_E_NS1_11comp_targetILNS1_3genE3ELNS1_11target_archE908ELNS1_3gpuE7ELNS1_3repE0EEENS1_30default_config_static_selectorELNS0_4arch9wavefront6targetE0EEEvS12_
	.p2align	8
	.type	_ZN7rocprim17ROCPRIM_400000_NS6detail17trampoline_kernelINS0_13select_configILj256ELj13ELNS0_17block_load_methodE3ELS4_3ELS4_3ELNS0_20block_scan_algorithmE0ELj4294967295EEENS1_25partition_config_selectorILNS1_17partition_subalgoE4EjNS0_10empty_typeEbEEZZNS1_14partition_implILS8_4ELb0ES6_15HIP_vector_typeIjLj2EENS0_17counting_iteratorIjlEEPS9_SG_NS0_5tupleIJPjSI_NS0_16reverse_iteratorISI_EEEEENSH_IJSG_SG_SG_EEES9_SI_JZNS1_25segmented_radix_sort_implINS0_14default_configELb0EPKaPaPKlPlN2at6native12_GLOBAL__N_18offset_tEEE10hipError_tPvRmT1_PNSt15iterator_traitsIS12_E10value_typeET2_T3_PNS13_IS18_E10value_typeET4_jRbjT5_S1E_jjP12ihipStream_tbEUljE_ZNSN_ISO_Lb0ESQ_SR_ST_SU_SY_EESZ_S10_S11_S12_S16_S17_S18_S1B_S1C_jS1D_jS1E_S1E_jjS1G_bEUljE0_EEESZ_S10_S11_S18_S1C_S1E_T6_T7_T9_mT8_S1G_bDpT10_ENKUlT_T0_E_clISt17integral_constantIbLb0EES1T_IbLb1EEEEDaS1P_S1Q_EUlS1P_E_NS1_11comp_targetILNS1_3genE3ELNS1_11target_archE908ELNS1_3gpuE7ELNS1_3repE0EEENS1_30default_config_static_selectorELNS0_4arch9wavefront6targetE0EEEvS12_,@function
_ZN7rocprim17ROCPRIM_400000_NS6detail17trampoline_kernelINS0_13select_configILj256ELj13ELNS0_17block_load_methodE3ELS4_3ELS4_3ELNS0_20block_scan_algorithmE0ELj4294967295EEENS1_25partition_config_selectorILNS1_17partition_subalgoE4EjNS0_10empty_typeEbEEZZNS1_14partition_implILS8_4ELb0ES6_15HIP_vector_typeIjLj2EENS0_17counting_iteratorIjlEEPS9_SG_NS0_5tupleIJPjSI_NS0_16reverse_iteratorISI_EEEEENSH_IJSG_SG_SG_EEES9_SI_JZNS1_25segmented_radix_sort_implINS0_14default_configELb0EPKaPaPKlPlN2at6native12_GLOBAL__N_18offset_tEEE10hipError_tPvRmT1_PNSt15iterator_traitsIS12_E10value_typeET2_T3_PNS13_IS18_E10value_typeET4_jRbjT5_S1E_jjP12ihipStream_tbEUljE_ZNSN_ISO_Lb0ESQ_SR_ST_SU_SY_EESZ_S10_S11_S12_S16_S17_S18_S1B_S1C_jS1D_jS1E_S1E_jjS1G_bEUljE0_EEESZ_S10_S11_S18_S1C_S1E_T6_T7_T9_mT8_S1G_bDpT10_ENKUlT_T0_E_clISt17integral_constantIbLb0EES1T_IbLb1EEEEDaS1P_S1Q_EUlS1P_E_NS1_11comp_targetILNS1_3genE3ELNS1_11target_archE908ELNS1_3gpuE7ELNS1_3repE0EEENS1_30default_config_static_selectorELNS0_4arch9wavefront6targetE0EEEvS12_: ; @_ZN7rocprim17ROCPRIM_400000_NS6detail17trampoline_kernelINS0_13select_configILj256ELj13ELNS0_17block_load_methodE3ELS4_3ELS4_3ELNS0_20block_scan_algorithmE0ELj4294967295EEENS1_25partition_config_selectorILNS1_17partition_subalgoE4EjNS0_10empty_typeEbEEZZNS1_14partition_implILS8_4ELb0ES6_15HIP_vector_typeIjLj2EENS0_17counting_iteratorIjlEEPS9_SG_NS0_5tupleIJPjSI_NS0_16reverse_iteratorISI_EEEEENSH_IJSG_SG_SG_EEES9_SI_JZNS1_25segmented_radix_sort_implINS0_14default_configELb0EPKaPaPKlPlN2at6native12_GLOBAL__N_18offset_tEEE10hipError_tPvRmT1_PNSt15iterator_traitsIS12_E10value_typeET2_T3_PNS13_IS18_E10value_typeET4_jRbjT5_S1E_jjP12ihipStream_tbEUljE_ZNSN_ISO_Lb0ESQ_SR_ST_SU_SY_EESZ_S10_S11_S12_S16_S17_S18_S1B_S1C_jS1D_jS1E_S1E_jjS1G_bEUljE0_EEESZ_S10_S11_S18_S1C_S1E_T6_T7_T9_mT8_S1G_bDpT10_ENKUlT_T0_E_clISt17integral_constantIbLb0EES1T_IbLb1EEEEDaS1P_S1Q_EUlS1P_E_NS1_11comp_targetILNS1_3genE3ELNS1_11target_archE908ELNS1_3gpuE7ELNS1_3repE0EEENS1_30default_config_static_selectorELNS0_4arch9wavefront6targetE0EEEvS12_
; %bb.0:
	.section	.rodata,"a",@progbits
	.p2align	6, 0x0
	.amdhsa_kernel _ZN7rocprim17ROCPRIM_400000_NS6detail17trampoline_kernelINS0_13select_configILj256ELj13ELNS0_17block_load_methodE3ELS4_3ELS4_3ELNS0_20block_scan_algorithmE0ELj4294967295EEENS1_25partition_config_selectorILNS1_17partition_subalgoE4EjNS0_10empty_typeEbEEZZNS1_14partition_implILS8_4ELb0ES6_15HIP_vector_typeIjLj2EENS0_17counting_iteratorIjlEEPS9_SG_NS0_5tupleIJPjSI_NS0_16reverse_iteratorISI_EEEEENSH_IJSG_SG_SG_EEES9_SI_JZNS1_25segmented_radix_sort_implINS0_14default_configELb0EPKaPaPKlPlN2at6native12_GLOBAL__N_18offset_tEEE10hipError_tPvRmT1_PNSt15iterator_traitsIS12_E10value_typeET2_T3_PNS13_IS18_E10value_typeET4_jRbjT5_S1E_jjP12ihipStream_tbEUljE_ZNSN_ISO_Lb0ESQ_SR_ST_SU_SY_EESZ_S10_S11_S12_S16_S17_S18_S1B_S1C_jS1D_jS1E_S1E_jjS1G_bEUljE0_EEESZ_S10_S11_S18_S1C_S1E_T6_T7_T9_mT8_S1G_bDpT10_ENKUlT_T0_E_clISt17integral_constantIbLb0EES1T_IbLb1EEEEDaS1P_S1Q_EUlS1P_E_NS1_11comp_targetILNS1_3genE3ELNS1_11target_archE908ELNS1_3gpuE7ELNS1_3repE0EEENS1_30default_config_static_selectorELNS0_4arch9wavefront6targetE0EEEvS12_
		.amdhsa_group_segment_fixed_size 0
		.amdhsa_private_segment_fixed_size 0
		.amdhsa_kernarg_size 184
		.amdhsa_user_sgpr_count 15
		.amdhsa_user_sgpr_dispatch_ptr 0
		.amdhsa_user_sgpr_queue_ptr 0
		.amdhsa_user_sgpr_kernarg_segment_ptr 1
		.amdhsa_user_sgpr_dispatch_id 0
		.amdhsa_user_sgpr_private_segment_size 0
		.amdhsa_wavefront_size32 1
		.amdhsa_uses_dynamic_stack 0
		.amdhsa_enable_private_segment 0
		.amdhsa_system_sgpr_workgroup_id_x 1
		.amdhsa_system_sgpr_workgroup_id_y 0
		.amdhsa_system_sgpr_workgroup_id_z 0
		.amdhsa_system_sgpr_workgroup_info 0
		.amdhsa_system_vgpr_workitem_id 0
		.amdhsa_next_free_vgpr 1
		.amdhsa_next_free_sgpr 1
		.amdhsa_reserve_vcc 0
		.amdhsa_float_round_mode_32 0
		.amdhsa_float_round_mode_16_64 0
		.amdhsa_float_denorm_mode_32 3
		.amdhsa_float_denorm_mode_16_64 3
		.amdhsa_dx10_clamp 1
		.amdhsa_ieee_mode 1
		.amdhsa_fp16_overflow 0
		.amdhsa_workgroup_processor_mode 1
		.amdhsa_memory_ordered 1
		.amdhsa_forward_progress 0
		.amdhsa_shared_vgpr_count 0
		.amdhsa_exception_fp_ieee_invalid_op 0
		.amdhsa_exception_fp_denorm_src 0
		.amdhsa_exception_fp_ieee_div_zero 0
		.amdhsa_exception_fp_ieee_overflow 0
		.amdhsa_exception_fp_ieee_underflow 0
		.amdhsa_exception_fp_ieee_inexact 0
		.amdhsa_exception_int_div_zero 0
	.end_amdhsa_kernel
	.section	.text._ZN7rocprim17ROCPRIM_400000_NS6detail17trampoline_kernelINS0_13select_configILj256ELj13ELNS0_17block_load_methodE3ELS4_3ELS4_3ELNS0_20block_scan_algorithmE0ELj4294967295EEENS1_25partition_config_selectorILNS1_17partition_subalgoE4EjNS0_10empty_typeEbEEZZNS1_14partition_implILS8_4ELb0ES6_15HIP_vector_typeIjLj2EENS0_17counting_iteratorIjlEEPS9_SG_NS0_5tupleIJPjSI_NS0_16reverse_iteratorISI_EEEEENSH_IJSG_SG_SG_EEES9_SI_JZNS1_25segmented_radix_sort_implINS0_14default_configELb0EPKaPaPKlPlN2at6native12_GLOBAL__N_18offset_tEEE10hipError_tPvRmT1_PNSt15iterator_traitsIS12_E10value_typeET2_T3_PNS13_IS18_E10value_typeET4_jRbjT5_S1E_jjP12ihipStream_tbEUljE_ZNSN_ISO_Lb0ESQ_SR_ST_SU_SY_EESZ_S10_S11_S12_S16_S17_S18_S1B_S1C_jS1D_jS1E_S1E_jjS1G_bEUljE0_EEESZ_S10_S11_S18_S1C_S1E_T6_T7_T9_mT8_S1G_bDpT10_ENKUlT_T0_E_clISt17integral_constantIbLb0EES1T_IbLb1EEEEDaS1P_S1Q_EUlS1P_E_NS1_11comp_targetILNS1_3genE3ELNS1_11target_archE908ELNS1_3gpuE7ELNS1_3repE0EEENS1_30default_config_static_selectorELNS0_4arch9wavefront6targetE0EEEvS12_,"axG",@progbits,_ZN7rocprim17ROCPRIM_400000_NS6detail17trampoline_kernelINS0_13select_configILj256ELj13ELNS0_17block_load_methodE3ELS4_3ELS4_3ELNS0_20block_scan_algorithmE0ELj4294967295EEENS1_25partition_config_selectorILNS1_17partition_subalgoE4EjNS0_10empty_typeEbEEZZNS1_14partition_implILS8_4ELb0ES6_15HIP_vector_typeIjLj2EENS0_17counting_iteratorIjlEEPS9_SG_NS0_5tupleIJPjSI_NS0_16reverse_iteratorISI_EEEEENSH_IJSG_SG_SG_EEES9_SI_JZNS1_25segmented_radix_sort_implINS0_14default_configELb0EPKaPaPKlPlN2at6native12_GLOBAL__N_18offset_tEEE10hipError_tPvRmT1_PNSt15iterator_traitsIS12_E10value_typeET2_T3_PNS13_IS18_E10value_typeET4_jRbjT5_S1E_jjP12ihipStream_tbEUljE_ZNSN_ISO_Lb0ESQ_SR_ST_SU_SY_EESZ_S10_S11_S12_S16_S17_S18_S1B_S1C_jS1D_jS1E_S1E_jjS1G_bEUljE0_EEESZ_S10_S11_S18_S1C_S1E_T6_T7_T9_mT8_S1G_bDpT10_ENKUlT_T0_E_clISt17integral_constantIbLb0EES1T_IbLb1EEEEDaS1P_S1Q_EUlS1P_E_NS1_11comp_targetILNS1_3genE3ELNS1_11target_archE908ELNS1_3gpuE7ELNS1_3repE0EEENS1_30default_config_static_selectorELNS0_4arch9wavefront6targetE0EEEvS12_,comdat
.Lfunc_end356:
	.size	_ZN7rocprim17ROCPRIM_400000_NS6detail17trampoline_kernelINS0_13select_configILj256ELj13ELNS0_17block_load_methodE3ELS4_3ELS4_3ELNS0_20block_scan_algorithmE0ELj4294967295EEENS1_25partition_config_selectorILNS1_17partition_subalgoE4EjNS0_10empty_typeEbEEZZNS1_14partition_implILS8_4ELb0ES6_15HIP_vector_typeIjLj2EENS0_17counting_iteratorIjlEEPS9_SG_NS0_5tupleIJPjSI_NS0_16reverse_iteratorISI_EEEEENSH_IJSG_SG_SG_EEES9_SI_JZNS1_25segmented_radix_sort_implINS0_14default_configELb0EPKaPaPKlPlN2at6native12_GLOBAL__N_18offset_tEEE10hipError_tPvRmT1_PNSt15iterator_traitsIS12_E10value_typeET2_T3_PNS13_IS18_E10value_typeET4_jRbjT5_S1E_jjP12ihipStream_tbEUljE_ZNSN_ISO_Lb0ESQ_SR_ST_SU_SY_EESZ_S10_S11_S12_S16_S17_S18_S1B_S1C_jS1D_jS1E_S1E_jjS1G_bEUljE0_EEESZ_S10_S11_S18_S1C_S1E_T6_T7_T9_mT8_S1G_bDpT10_ENKUlT_T0_E_clISt17integral_constantIbLb0EES1T_IbLb1EEEEDaS1P_S1Q_EUlS1P_E_NS1_11comp_targetILNS1_3genE3ELNS1_11target_archE908ELNS1_3gpuE7ELNS1_3repE0EEENS1_30default_config_static_selectorELNS0_4arch9wavefront6targetE0EEEvS12_, .Lfunc_end356-_ZN7rocprim17ROCPRIM_400000_NS6detail17trampoline_kernelINS0_13select_configILj256ELj13ELNS0_17block_load_methodE3ELS4_3ELS4_3ELNS0_20block_scan_algorithmE0ELj4294967295EEENS1_25partition_config_selectorILNS1_17partition_subalgoE4EjNS0_10empty_typeEbEEZZNS1_14partition_implILS8_4ELb0ES6_15HIP_vector_typeIjLj2EENS0_17counting_iteratorIjlEEPS9_SG_NS0_5tupleIJPjSI_NS0_16reverse_iteratorISI_EEEEENSH_IJSG_SG_SG_EEES9_SI_JZNS1_25segmented_radix_sort_implINS0_14default_configELb0EPKaPaPKlPlN2at6native12_GLOBAL__N_18offset_tEEE10hipError_tPvRmT1_PNSt15iterator_traitsIS12_E10value_typeET2_T3_PNS13_IS18_E10value_typeET4_jRbjT5_S1E_jjP12ihipStream_tbEUljE_ZNSN_ISO_Lb0ESQ_SR_ST_SU_SY_EESZ_S10_S11_S12_S16_S17_S18_S1B_S1C_jS1D_jS1E_S1E_jjS1G_bEUljE0_EEESZ_S10_S11_S18_S1C_S1E_T6_T7_T9_mT8_S1G_bDpT10_ENKUlT_T0_E_clISt17integral_constantIbLb0EES1T_IbLb1EEEEDaS1P_S1Q_EUlS1P_E_NS1_11comp_targetILNS1_3genE3ELNS1_11target_archE908ELNS1_3gpuE7ELNS1_3repE0EEENS1_30default_config_static_selectorELNS0_4arch9wavefront6targetE0EEEvS12_
                                        ; -- End function
	.section	.AMDGPU.csdata,"",@progbits
; Kernel info:
; codeLenInByte = 0
; NumSgprs: 0
; NumVgprs: 0
; ScratchSize: 0
; MemoryBound: 0
; FloatMode: 240
; IeeeMode: 1
; LDSByteSize: 0 bytes/workgroup (compile time only)
; SGPRBlocks: 0
; VGPRBlocks: 0
; NumSGPRsForWavesPerEU: 1
; NumVGPRsForWavesPerEU: 1
; Occupancy: 16
; WaveLimiterHint : 0
; COMPUTE_PGM_RSRC2:SCRATCH_EN: 0
; COMPUTE_PGM_RSRC2:USER_SGPR: 15
; COMPUTE_PGM_RSRC2:TRAP_HANDLER: 0
; COMPUTE_PGM_RSRC2:TGID_X_EN: 1
; COMPUTE_PGM_RSRC2:TGID_Y_EN: 0
; COMPUTE_PGM_RSRC2:TGID_Z_EN: 0
; COMPUTE_PGM_RSRC2:TIDIG_COMP_CNT: 0
	.section	.text._ZN7rocprim17ROCPRIM_400000_NS6detail17trampoline_kernelINS0_13select_configILj256ELj13ELNS0_17block_load_methodE3ELS4_3ELS4_3ELNS0_20block_scan_algorithmE0ELj4294967295EEENS1_25partition_config_selectorILNS1_17partition_subalgoE4EjNS0_10empty_typeEbEEZZNS1_14partition_implILS8_4ELb0ES6_15HIP_vector_typeIjLj2EENS0_17counting_iteratorIjlEEPS9_SG_NS0_5tupleIJPjSI_NS0_16reverse_iteratorISI_EEEEENSH_IJSG_SG_SG_EEES9_SI_JZNS1_25segmented_radix_sort_implINS0_14default_configELb0EPKaPaPKlPlN2at6native12_GLOBAL__N_18offset_tEEE10hipError_tPvRmT1_PNSt15iterator_traitsIS12_E10value_typeET2_T3_PNS13_IS18_E10value_typeET4_jRbjT5_S1E_jjP12ihipStream_tbEUljE_ZNSN_ISO_Lb0ESQ_SR_ST_SU_SY_EESZ_S10_S11_S12_S16_S17_S18_S1B_S1C_jS1D_jS1E_S1E_jjS1G_bEUljE0_EEESZ_S10_S11_S18_S1C_S1E_T6_T7_T9_mT8_S1G_bDpT10_ENKUlT_T0_E_clISt17integral_constantIbLb0EES1T_IbLb1EEEEDaS1P_S1Q_EUlS1P_E_NS1_11comp_targetILNS1_3genE2ELNS1_11target_archE906ELNS1_3gpuE6ELNS1_3repE0EEENS1_30default_config_static_selectorELNS0_4arch9wavefront6targetE0EEEvS12_,"axG",@progbits,_ZN7rocprim17ROCPRIM_400000_NS6detail17trampoline_kernelINS0_13select_configILj256ELj13ELNS0_17block_load_methodE3ELS4_3ELS4_3ELNS0_20block_scan_algorithmE0ELj4294967295EEENS1_25partition_config_selectorILNS1_17partition_subalgoE4EjNS0_10empty_typeEbEEZZNS1_14partition_implILS8_4ELb0ES6_15HIP_vector_typeIjLj2EENS0_17counting_iteratorIjlEEPS9_SG_NS0_5tupleIJPjSI_NS0_16reverse_iteratorISI_EEEEENSH_IJSG_SG_SG_EEES9_SI_JZNS1_25segmented_radix_sort_implINS0_14default_configELb0EPKaPaPKlPlN2at6native12_GLOBAL__N_18offset_tEEE10hipError_tPvRmT1_PNSt15iterator_traitsIS12_E10value_typeET2_T3_PNS13_IS18_E10value_typeET4_jRbjT5_S1E_jjP12ihipStream_tbEUljE_ZNSN_ISO_Lb0ESQ_SR_ST_SU_SY_EESZ_S10_S11_S12_S16_S17_S18_S1B_S1C_jS1D_jS1E_S1E_jjS1G_bEUljE0_EEESZ_S10_S11_S18_S1C_S1E_T6_T7_T9_mT8_S1G_bDpT10_ENKUlT_T0_E_clISt17integral_constantIbLb0EES1T_IbLb1EEEEDaS1P_S1Q_EUlS1P_E_NS1_11comp_targetILNS1_3genE2ELNS1_11target_archE906ELNS1_3gpuE6ELNS1_3repE0EEENS1_30default_config_static_selectorELNS0_4arch9wavefront6targetE0EEEvS12_,comdat
	.globl	_ZN7rocprim17ROCPRIM_400000_NS6detail17trampoline_kernelINS0_13select_configILj256ELj13ELNS0_17block_load_methodE3ELS4_3ELS4_3ELNS0_20block_scan_algorithmE0ELj4294967295EEENS1_25partition_config_selectorILNS1_17partition_subalgoE4EjNS0_10empty_typeEbEEZZNS1_14partition_implILS8_4ELb0ES6_15HIP_vector_typeIjLj2EENS0_17counting_iteratorIjlEEPS9_SG_NS0_5tupleIJPjSI_NS0_16reverse_iteratorISI_EEEEENSH_IJSG_SG_SG_EEES9_SI_JZNS1_25segmented_radix_sort_implINS0_14default_configELb0EPKaPaPKlPlN2at6native12_GLOBAL__N_18offset_tEEE10hipError_tPvRmT1_PNSt15iterator_traitsIS12_E10value_typeET2_T3_PNS13_IS18_E10value_typeET4_jRbjT5_S1E_jjP12ihipStream_tbEUljE_ZNSN_ISO_Lb0ESQ_SR_ST_SU_SY_EESZ_S10_S11_S12_S16_S17_S18_S1B_S1C_jS1D_jS1E_S1E_jjS1G_bEUljE0_EEESZ_S10_S11_S18_S1C_S1E_T6_T7_T9_mT8_S1G_bDpT10_ENKUlT_T0_E_clISt17integral_constantIbLb0EES1T_IbLb1EEEEDaS1P_S1Q_EUlS1P_E_NS1_11comp_targetILNS1_3genE2ELNS1_11target_archE906ELNS1_3gpuE6ELNS1_3repE0EEENS1_30default_config_static_selectorELNS0_4arch9wavefront6targetE0EEEvS12_ ; -- Begin function _ZN7rocprim17ROCPRIM_400000_NS6detail17trampoline_kernelINS0_13select_configILj256ELj13ELNS0_17block_load_methodE3ELS4_3ELS4_3ELNS0_20block_scan_algorithmE0ELj4294967295EEENS1_25partition_config_selectorILNS1_17partition_subalgoE4EjNS0_10empty_typeEbEEZZNS1_14partition_implILS8_4ELb0ES6_15HIP_vector_typeIjLj2EENS0_17counting_iteratorIjlEEPS9_SG_NS0_5tupleIJPjSI_NS0_16reverse_iteratorISI_EEEEENSH_IJSG_SG_SG_EEES9_SI_JZNS1_25segmented_radix_sort_implINS0_14default_configELb0EPKaPaPKlPlN2at6native12_GLOBAL__N_18offset_tEEE10hipError_tPvRmT1_PNSt15iterator_traitsIS12_E10value_typeET2_T3_PNS13_IS18_E10value_typeET4_jRbjT5_S1E_jjP12ihipStream_tbEUljE_ZNSN_ISO_Lb0ESQ_SR_ST_SU_SY_EESZ_S10_S11_S12_S16_S17_S18_S1B_S1C_jS1D_jS1E_S1E_jjS1G_bEUljE0_EEESZ_S10_S11_S18_S1C_S1E_T6_T7_T9_mT8_S1G_bDpT10_ENKUlT_T0_E_clISt17integral_constantIbLb0EES1T_IbLb1EEEEDaS1P_S1Q_EUlS1P_E_NS1_11comp_targetILNS1_3genE2ELNS1_11target_archE906ELNS1_3gpuE6ELNS1_3repE0EEENS1_30default_config_static_selectorELNS0_4arch9wavefront6targetE0EEEvS12_
	.p2align	8
	.type	_ZN7rocprim17ROCPRIM_400000_NS6detail17trampoline_kernelINS0_13select_configILj256ELj13ELNS0_17block_load_methodE3ELS4_3ELS4_3ELNS0_20block_scan_algorithmE0ELj4294967295EEENS1_25partition_config_selectorILNS1_17partition_subalgoE4EjNS0_10empty_typeEbEEZZNS1_14partition_implILS8_4ELb0ES6_15HIP_vector_typeIjLj2EENS0_17counting_iteratorIjlEEPS9_SG_NS0_5tupleIJPjSI_NS0_16reverse_iteratorISI_EEEEENSH_IJSG_SG_SG_EEES9_SI_JZNS1_25segmented_radix_sort_implINS0_14default_configELb0EPKaPaPKlPlN2at6native12_GLOBAL__N_18offset_tEEE10hipError_tPvRmT1_PNSt15iterator_traitsIS12_E10value_typeET2_T3_PNS13_IS18_E10value_typeET4_jRbjT5_S1E_jjP12ihipStream_tbEUljE_ZNSN_ISO_Lb0ESQ_SR_ST_SU_SY_EESZ_S10_S11_S12_S16_S17_S18_S1B_S1C_jS1D_jS1E_S1E_jjS1G_bEUljE0_EEESZ_S10_S11_S18_S1C_S1E_T6_T7_T9_mT8_S1G_bDpT10_ENKUlT_T0_E_clISt17integral_constantIbLb0EES1T_IbLb1EEEEDaS1P_S1Q_EUlS1P_E_NS1_11comp_targetILNS1_3genE2ELNS1_11target_archE906ELNS1_3gpuE6ELNS1_3repE0EEENS1_30default_config_static_selectorELNS0_4arch9wavefront6targetE0EEEvS12_,@function
_ZN7rocprim17ROCPRIM_400000_NS6detail17trampoline_kernelINS0_13select_configILj256ELj13ELNS0_17block_load_methodE3ELS4_3ELS4_3ELNS0_20block_scan_algorithmE0ELj4294967295EEENS1_25partition_config_selectorILNS1_17partition_subalgoE4EjNS0_10empty_typeEbEEZZNS1_14partition_implILS8_4ELb0ES6_15HIP_vector_typeIjLj2EENS0_17counting_iteratorIjlEEPS9_SG_NS0_5tupleIJPjSI_NS0_16reverse_iteratorISI_EEEEENSH_IJSG_SG_SG_EEES9_SI_JZNS1_25segmented_radix_sort_implINS0_14default_configELb0EPKaPaPKlPlN2at6native12_GLOBAL__N_18offset_tEEE10hipError_tPvRmT1_PNSt15iterator_traitsIS12_E10value_typeET2_T3_PNS13_IS18_E10value_typeET4_jRbjT5_S1E_jjP12ihipStream_tbEUljE_ZNSN_ISO_Lb0ESQ_SR_ST_SU_SY_EESZ_S10_S11_S12_S16_S17_S18_S1B_S1C_jS1D_jS1E_S1E_jjS1G_bEUljE0_EEESZ_S10_S11_S18_S1C_S1E_T6_T7_T9_mT8_S1G_bDpT10_ENKUlT_T0_E_clISt17integral_constantIbLb0EES1T_IbLb1EEEEDaS1P_S1Q_EUlS1P_E_NS1_11comp_targetILNS1_3genE2ELNS1_11target_archE906ELNS1_3gpuE6ELNS1_3repE0EEENS1_30default_config_static_selectorELNS0_4arch9wavefront6targetE0EEEvS12_: ; @_ZN7rocprim17ROCPRIM_400000_NS6detail17trampoline_kernelINS0_13select_configILj256ELj13ELNS0_17block_load_methodE3ELS4_3ELS4_3ELNS0_20block_scan_algorithmE0ELj4294967295EEENS1_25partition_config_selectorILNS1_17partition_subalgoE4EjNS0_10empty_typeEbEEZZNS1_14partition_implILS8_4ELb0ES6_15HIP_vector_typeIjLj2EENS0_17counting_iteratorIjlEEPS9_SG_NS0_5tupleIJPjSI_NS0_16reverse_iteratorISI_EEEEENSH_IJSG_SG_SG_EEES9_SI_JZNS1_25segmented_radix_sort_implINS0_14default_configELb0EPKaPaPKlPlN2at6native12_GLOBAL__N_18offset_tEEE10hipError_tPvRmT1_PNSt15iterator_traitsIS12_E10value_typeET2_T3_PNS13_IS18_E10value_typeET4_jRbjT5_S1E_jjP12ihipStream_tbEUljE_ZNSN_ISO_Lb0ESQ_SR_ST_SU_SY_EESZ_S10_S11_S12_S16_S17_S18_S1B_S1C_jS1D_jS1E_S1E_jjS1G_bEUljE0_EEESZ_S10_S11_S18_S1C_S1E_T6_T7_T9_mT8_S1G_bDpT10_ENKUlT_T0_E_clISt17integral_constantIbLb0EES1T_IbLb1EEEEDaS1P_S1Q_EUlS1P_E_NS1_11comp_targetILNS1_3genE2ELNS1_11target_archE906ELNS1_3gpuE6ELNS1_3repE0EEENS1_30default_config_static_selectorELNS0_4arch9wavefront6targetE0EEEvS12_
; %bb.0:
	.section	.rodata,"a",@progbits
	.p2align	6, 0x0
	.amdhsa_kernel _ZN7rocprim17ROCPRIM_400000_NS6detail17trampoline_kernelINS0_13select_configILj256ELj13ELNS0_17block_load_methodE3ELS4_3ELS4_3ELNS0_20block_scan_algorithmE0ELj4294967295EEENS1_25partition_config_selectorILNS1_17partition_subalgoE4EjNS0_10empty_typeEbEEZZNS1_14partition_implILS8_4ELb0ES6_15HIP_vector_typeIjLj2EENS0_17counting_iteratorIjlEEPS9_SG_NS0_5tupleIJPjSI_NS0_16reverse_iteratorISI_EEEEENSH_IJSG_SG_SG_EEES9_SI_JZNS1_25segmented_radix_sort_implINS0_14default_configELb0EPKaPaPKlPlN2at6native12_GLOBAL__N_18offset_tEEE10hipError_tPvRmT1_PNSt15iterator_traitsIS12_E10value_typeET2_T3_PNS13_IS18_E10value_typeET4_jRbjT5_S1E_jjP12ihipStream_tbEUljE_ZNSN_ISO_Lb0ESQ_SR_ST_SU_SY_EESZ_S10_S11_S12_S16_S17_S18_S1B_S1C_jS1D_jS1E_S1E_jjS1G_bEUljE0_EEESZ_S10_S11_S18_S1C_S1E_T6_T7_T9_mT8_S1G_bDpT10_ENKUlT_T0_E_clISt17integral_constantIbLb0EES1T_IbLb1EEEEDaS1P_S1Q_EUlS1P_E_NS1_11comp_targetILNS1_3genE2ELNS1_11target_archE906ELNS1_3gpuE6ELNS1_3repE0EEENS1_30default_config_static_selectorELNS0_4arch9wavefront6targetE0EEEvS12_
		.amdhsa_group_segment_fixed_size 0
		.amdhsa_private_segment_fixed_size 0
		.amdhsa_kernarg_size 184
		.amdhsa_user_sgpr_count 15
		.amdhsa_user_sgpr_dispatch_ptr 0
		.amdhsa_user_sgpr_queue_ptr 0
		.amdhsa_user_sgpr_kernarg_segment_ptr 1
		.amdhsa_user_sgpr_dispatch_id 0
		.amdhsa_user_sgpr_private_segment_size 0
		.amdhsa_wavefront_size32 1
		.amdhsa_uses_dynamic_stack 0
		.amdhsa_enable_private_segment 0
		.amdhsa_system_sgpr_workgroup_id_x 1
		.amdhsa_system_sgpr_workgroup_id_y 0
		.amdhsa_system_sgpr_workgroup_id_z 0
		.amdhsa_system_sgpr_workgroup_info 0
		.amdhsa_system_vgpr_workitem_id 0
		.amdhsa_next_free_vgpr 1
		.amdhsa_next_free_sgpr 1
		.amdhsa_reserve_vcc 0
		.amdhsa_float_round_mode_32 0
		.amdhsa_float_round_mode_16_64 0
		.amdhsa_float_denorm_mode_32 3
		.amdhsa_float_denorm_mode_16_64 3
		.amdhsa_dx10_clamp 1
		.amdhsa_ieee_mode 1
		.amdhsa_fp16_overflow 0
		.amdhsa_workgroup_processor_mode 1
		.amdhsa_memory_ordered 1
		.amdhsa_forward_progress 0
		.amdhsa_shared_vgpr_count 0
		.amdhsa_exception_fp_ieee_invalid_op 0
		.amdhsa_exception_fp_denorm_src 0
		.amdhsa_exception_fp_ieee_div_zero 0
		.amdhsa_exception_fp_ieee_overflow 0
		.amdhsa_exception_fp_ieee_underflow 0
		.amdhsa_exception_fp_ieee_inexact 0
		.amdhsa_exception_int_div_zero 0
	.end_amdhsa_kernel
	.section	.text._ZN7rocprim17ROCPRIM_400000_NS6detail17trampoline_kernelINS0_13select_configILj256ELj13ELNS0_17block_load_methodE3ELS4_3ELS4_3ELNS0_20block_scan_algorithmE0ELj4294967295EEENS1_25partition_config_selectorILNS1_17partition_subalgoE4EjNS0_10empty_typeEbEEZZNS1_14partition_implILS8_4ELb0ES6_15HIP_vector_typeIjLj2EENS0_17counting_iteratorIjlEEPS9_SG_NS0_5tupleIJPjSI_NS0_16reverse_iteratorISI_EEEEENSH_IJSG_SG_SG_EEES9_SI_JZNS1_25segmented_radix_sort_implINS0_14default_configELb0EPKaPaPKlPlN2at6native12_GLOBAL__N_18offset_tEEE10hipError_tPvRmT1_PNSt15iterator_traitsIS12_E10value_typeET2_T3_PNS13_IS18_E10value_typeET4_jRbjT5_S1E_jjP12ihipStream_tbEUljE_ZNSN_ISO_Lb0ESQ_SR_ST_SU_SY_EESZ_S10_S11_S12_S16_S17_S18_S1B_S1C_jS1D_jS1E_S1E_jjS1G_bEUljE0_EEESZ_S10_S11_S18_S1C_S1E_T6_T7_T9_mT8_S1G_bDpT10_ENKUlT_T0_E_clISt17integral_constantIbLb0EES1T_IbLb1EEEEDaS1P_S1Q_EUlS1P_E_NS1_11comp_targetILNS1_3genE2ELNS1_11target_archE906ELNS1_3gpuE6ELNS1_3repE0EEENS1_30default_config_static_selectorELNS0_4arch9wavefront6targetE0EEEvS12_,"axG",@progbits,_ZN7rocprim17ROCPRIM_400000_NS6detail17trampoline_kernelINS0_13select_configILj256ELj13ELNS0_17block_load_methodE3ELS4_3ELS4_3ELNS0_20block_scan_algorithmE0ELj4294967295EEENS1_25partition_config_selectorILNS1_17partition_subalgoE4EjNS0_10empty_typeEbEEZZNS1_14partition_implILS8_4ELb0ES6_15HIP_vector_typeIjLj2EENS0_17counting_iteratorIjlEEPS9_SG_NS0_5tupleIJPjSI_NS0_16reverse_iteratorISI_EEEEENSH_IJSG_SG_SG_EEES9_SI_JZNS1_25segmented_radix_sort_implINS0_14default_configELb0EPKaPaPKlPlN2at6native12_GLOBAL__N_18offset_tEEE10hipError_tPvRmT1_PNSt15iterator_traitsIS12_E10value_typeET2_T3_PNS13_IS18_E10value_typeET4_jRbjT5_S1E_jjP12ihipStream_tbEUljE_ZNSN_ISO_Lb0ESQ_SR_ST_SU_SY_EESZ_S10_S11_S12_S16_S17_S18_S1B_S1C_jS1D_jS1E_S1E_jjS1G_bEUljE0_EEESZ_S10_S11_S18_S1C_S1E_T6_T7_T9_mT8_S1G_bDpT10_ENKUlT_T0_E_clISt17integral_constantIbLb0EES1T_IbLb1EEEEDaS1P_S1Q_EUlS1P_E_NS1_11comp_targetILNS1_3genE2ELNS1_11target_archE906ELNS1_3gpuE6ELNS1_3repE0EEENS1_30default_config_static_selectorELNS0_4arch9wavefront6targetE0EEEvS12_,comdat
.Lfunc_end357:
	.size	_ZN7rocprim17ROCPRIM_400000_NS6detail17trampoline_kernelINS0_13select_configILj256ELj13ELNS0_17block_load_methodE3ELS4_3ELS4_3ELNS0_20block_scan_algorithmE0ELj4294967295EEENS1_25partition_config_selectorILNS1_17partition_subalgoE4EjNS0_10empty_typeEbEEZZNS1_14partition_implILS8_4ELb0ES6_15HIP_vector_typeIjLj2EENS0_17counting_iteratorIjlEEPS9_SG_NS0_5tupleIJPjSI_NS0_16reverse_iteratorISI_EEEEENSH_IJSG_SG_SG_EEES9_SI_JZNS1_25segmented_radix_sort_implINS0_14default_configELb0EPKaPaPKlPlN2at6native12_GLOBAL__N_18offset_tEEE10hipError_tPvRmT1_PNSt15iterator_traitsIS12_E10value_typeET2_T3_PNS13_IS18_E10value_typeET4_jRbjT5_S1E_jjP12ihipStream_tbEUljE_ZNSN_ISO_Lb0ESQ_SR_ST_SU_SY_EESZ_S10_S11_S12_S16_S17_S18_S1B_S1C_jS1D_jS1E_S1E_jjS1G_bEUljE0_EEESZ_S10_S11_S18_S1C_S1E_T6_T7_T9_mT8_S1G_bDpT10_ENKUlT_T0_E_clISt17integral_constantIbLb0EES1T_IbLb1EEEEDaS1P_S1Q_EUlS1P_E_NS1_11comp_targetILNS1_3genE2ELNS1_11target_archE906ELNS1_3gpuE6ELNS1_3repE0EEENS1_30default_config_static_selectorELNS0_4arch9wavefront6targetE0EEEvS12_, .Lfunc_end357-_ZN7rocprim17ROCPRIM_400000_NS6detail17trampoline_kernelINS0_13select_configILj256ELj13ELNS0_17block_load_methodE3ELS4_3ELS4_3ELNS0_20block_scan_algorithmE0ELj4294967295EEENS1_25partition_config_selectorILNS1_17partition_subalgoE4EjNS0_10empty_typeEbEEZZNS1_14partition_implILS8_4ELb0ES6_15HIP_vector_typeIjLj2EENS0_17counting_iteratorIjlEEPS9_SG_NS0_5tupleIJPjSI_NS0_16reverse_iteratorISI_EEEEENSH_IJSG_SG_SG_EEES9_SI_JZNS1_25segmented_radix_sort_implINS0_14default_configELb0EPKaPaPKlPlN2at6native12_GLOBAL__N_18offset_tEEE10hipError_tPvRmT1_PNSt15iterator_traitsIS12_E10value_typeET2_T3_PNS13_IS18_E10value_typeET4_jRbjT5_S1E_jjP12ihipStream_tbEUljE_ZNSN_ISO_Lb0ESQ_SR_ST_SU_SY_EESZ_S10_S11_S12_S16_S17_S18_S1B_S1C_jS1D_jS1E_S1E_jjS1G_bEUljE0_EEESZ_S10_S11_S18_S1C_S1E_T6_T7_T9_mT8_S1G_bDpT10_ENKUlT_T0_E_clISt17integral_constantIbLb0EES1T_IbLb1EEEEDaS1P_S1Q_EUlS1P_E_NS1_11comp_targetILNS1_3genE2ELNS1_11target_archE906ELNS1_3gpuE6ELNS1_3repE0EEENS1_30default_config_static_selectorELNS0_4arch9wavefront6targetE0EEEvS12_
                                        ; -- End function
	.section	.AMDGPU.csdata,"",@progbits
; Kernel info:
; codeLenInByte = 0
; NumSgprs: 0
; NumVgprs: 0
; ScratchSize: 0
; MemoryBound: 0
; FloatMode: 240
; IeeeMode: 1
; LDSByteSize: 0 bytes/workgroup (compile time only)
; SGPRBlocks: 0
; VGPRBlocks: 0
; NumSGPRsForWavesPerEU: 1
; NumVGPRsForWavesPerEU: 1
; Occupancy: 16
; WaveLimiterHint : 0
; COMPUTE_PGM_RSRC2:SCRATCH_EN: 0
; COMPUTE_PGM_RSRC2:USER_SGPR: 15
; COMPUTE_PGM_RSRC2:TRAP_HANDLER: 0
; COMPUTE_PGM_RSRC2:TGID_X_EN: 1
; COMPUTE_PGM_RSRC2:TGID_Y_EN: 0
; COMPUTE_PGM_RSRC2:TGID_Z_EN: 0
; COMPUTE_PGM_RSRC2:TIDIG_COMP_CNT: 0
	.section	.text._ZN7rocprim17ROCPRIM_400000_NS6detail17trampoline_kernelINS0_13select_configILj256ELj13ELNS0_17block_load_methodE3ELS4_3ELS4_3ELNS0_20block_scan_algorithmE0ELj4294967295EEENS1_25partition_config_selectorILNS1_17partition_subalgoE4EjNS0_10empty_typeEbEEZZNS1_14partition_implILS8_4ELb0ES6_15HIP_vector_typeIjLj2EENS0_17counting_iteratorIjlEEPS9_SG_NS0_5tupleIJPjSI_NS0_16reverse_iteratorISI_EEEEENSH_IJSG_SG_SG_EEES9_SI_JZNS1_25segmented_radix_sort_implINS0_14default_configELb0EPKaPaPKlPlN2at6native12_GLOBAL__N_18offset_tEEE10hipError_tPvRmT1_PNSt15iterator_traitsIS12_E10value_typeET2_T3_PNS13_IS18_E10value_typeET4_jRbjT5_S1E_jjP12ihipStream_tbEUljE_ZNSN_ISO_Lb0ESQ_SR_ST_SU_SY_EESZ_S10_S11_S12_S16_S17_S18_S1B_S1C_jS1D_jS1E_S1E_jjS1G_bEUljE0_EEESZ_S10_S11_S18_S1C_S1E_T6_T7_T9_mT8_S1G_bDpT10_ENKUlT_T0_E_clISt17integral_constantIbLb0EES1T_IbLb1EEEEDaS1P_S1Q_EUlS1P_E_NS1_11comp_targetILNS1_3genE10ELNS1_11target_archE1200ELNS1_3gpuE4ELNS1_3repE0EEENS1_30default_config_static_selectorELNS0_4arch9wavefront6targetE0EEEvS12_,"axG",@progbits,_ZN7rocprim17ROCPRIM_400000_NS6detail17trampoline_kernelINS0_13select_configILj256ELj13ELNS0_17block_load_methodE3ELS4_3ELS4_3ELNS0_20block_scan_algorithmE0ELj4294967295EEENS1_25partition_config_selectorILNS1_17partition_subalgoE4EjNS0_10empty_typeEbEEZZNS1_14partition_implILS8_4ELb0ES6_15HIP_vector_typeIjLj2EENS0_17counting_iteratorIjlEEPS9_SG_NS0_5tupleIJPjSI_NS0_16reverse_iteratorISI_EEEEENSH_IJSG_SG_SG_EEES9_SI_JZNS1_25segmented_radix_sort_implINS0_14default_configELb0EPKaPaPKlPlN2at6native12_GLOBAL__N_18offset_tEEE10hipError_tPvRmT1_PNSt15iterator_traitsIS12_E10value_typeET2_T3_PNS13_IS18_E10value_typeET4_jRbjT5_S1E_jjP12ihipStream_tbEUljE_ZNSN_ISO_Lb0ESQ_SR_ST_SU_SY_EESZ_S10_S11_S12_S16_S17_S18_S1B_S1C_jS1D_jS1E_S1E_jjS1G_bEUljE0_EEESZ_S10_S11_S18_S1C_S1E_T6_T7_T9_mT8_S1G_bDpT10_ENKUlT_T0_E_clISt17integral_constantIbLb0EES1T_IbLb1EEEEDaS1P_S1Q_EUlS1P_E_NS1_11comp_targetILNS1_3genE10ELNS1_11target_archE1200ELNS1_3gpuE4ELNS1_3repE0EEENS1_30default_config_static_selectorELNS0_4arch9wavefront6targetE0EEEvS12_,comdat
	.globl	_ZN7rocprim17ROCPRIM_400000_NS6detail17trampoline_kernelINS0_13select_configILj256ELj13ELNS0_17block_load_methodE3ELS4_3ELS4_3ELNS0_20block_scan_algorithmE0ELj4294967295EEENS1_25partition_config_selectorILNS1_17partition_subalgoE4EjNS0_10empty_typeEbEEZZNS1_14partition_implILS8_4ELb0ES6_15HIP_vector_typeIjLj2EENS0_17counting_iteratorIjlEEPS9_SG_NS0_5tupleIJPjSI_NS0_16reverse_iteratorISI_EEEEENSH_IJSG_SG_SG_EEES9_SI_JZNS1_25segmented_radix_sort_implINS0_14default_configELb0EPKaPaPKlPlN2at6native12_GLOBAL__N_18offset_tEEE10hipError_tPvRmT1_PNSt15iterator_traitsIS12_E10value_typeET2_T3_PNS13_IS18_E10value_typeET4_jRbjT5_S1E_jjP12ihipStream_tbEUljE_ZNSN_ISO_Lb0ESQ_SR_ST_SU_SY_EESZ_S10_S11_S12_S16_S17_S18_S1B_S1C_jS1D_jS1E_S1E_jjS1G_bEUljE0_EEESZ_S10_S11_S18_S1C_S1E_T6_T7_T9_mT8_S1G_bDpT10_ENKUlT_T0_E_clISt17integral_constantIbLb0EES1T_IbLb1EEEEDaS1P_S1Q_EUlS1P_E_NS1_11comp_targetILNS1_3genE10ELNS1_11target_archE1200ELNS1_3gpuE4ELNS1_3repE0EEENS1_30default_config_static_selectorELNS0_4arch9wavefront6targetE0EEEvS12_ ; -- Begin function _ZN7rocprim17ROCPRIM_400000_NS6detail17trampoline_kernelINS0_13select_configILj256ELj13ELNS0_17block_load_methodE3ELS4_3ELS4_3ELNS0_20block_scan_algorithmE0ELj4294967295EEENS1_25partition_config_selectorILNS1_17partition_subalgoE4EjNS0_10empty_typeEbEEZZNS1_14partition_implILS8_4ELb0ES6_15HIP_vector_typeIjLj2EENS0_17counting_iteratorIjlEEPS9_SG_NS0_5tupleIJPjSI_NS0_16reverse_iteratorISI_EEEEENSH_IJSG_SG_SG_EEES9_SI_JZNS1_25segmented_radix_sort_implINS0_14default_configELb0EPKaPaPKlPlN2at6native12_GLOBAL__N_18offset_tEEE10hipError_tPvRmT1_PNSt15iterator_traitsIS12_E10value_typeET2_T3_PNS13_IS18_E10value_typeET4_jRbjT5_S1E_jjP12ihipStream_tbEUljE_ZNSN_ISO_Lb0ESQ_SR_ST_SU_SY_EESZ_S10_S11_S12_S16_S17_S18_S1B_S1C_jS1D_jS1E_S1E_jjS1G_bEUljE0_EEESZ_S10_S11_S18_S1C_S1E_T6_T7_T9_mT8_S1G_bDpT10_ENKUlT_T0_E_clISt17integral_constantIbLb0EES1T_IbLb1EEEEDaS1P_S1Q_EUlS1P_E_NS1_11comp_targetILNS1_3genE10ELNS1_11target_archE1200ELNS1_3gpuE4ELNS1_3repE0EEENS1_30default_config_static_selectorELNS0_4arch9wavefront6targetE0EEEvS12_
	.p2align	8
	.type	_ZN7rocprim17ROCPRIM_400000_NS6detail17trampoline_kernelINS0_13select_configILj256ELj13ELNS0_17block_load_methodE3ELS4_3ELS4_3ELNS0_20block_scan_algorithmE0ELj4294967295EEENS1_25partition_config_selectorILNS1_17partition_subalgoE4EjNS0_10empty_typeEbEEZZNS1_14partition_implILS8_4ELb0ES6_15HIP_vector_typeIjLj2EENS0_17counting_iteratorIjlEEPS9_SG_NS0_5tupleIJPjSI_NS0_16reverse_iteratorISI_EEEEENSH_IJSG_SG_SG_EEES9_SI_JZNS1_25segmented_radix_sort_implINS0_14default_configELb0EPKaPaPKlPlN2at6native12_GLOBAL__N_18offset_tEEE10hipError_tPvRmT1_PNSt15iterator_traitsIS12_E10value_typeET2_T3_PNS13_IS18_E10value_typeET4_jRbjT5_S1E_jjP12ihipStream_tbEUljE_ZNSN_ISO_Lb0ESQ_SR_ST_SU_SY_EESZ_S10_S11_S12_S16_S17_S18_S1B_S1C_jS1D_jS1E_S1E_jjS1G_bEUljE0_EEESZ_S10_S11_S18_S1C_S1E_T6_T7_T9_mT8_S1G_bDpT10_ENKUlT_T0_E_clISt17integral_constantIbLb0EES1T_IbLb1EEEEDaS1P_S1Q_EUlS1P_E_NS1_11comp_targetILNS1_3genE10ELNS1_11target_archE1200ELNS1_3gpuE4ELNS1_3repE0EEENS1_30default_config_static_selectorELNS0_4arch9wavefront6targetE0EEEvS12_,@function
_ZN7rocprim17ROCPRIM_400000_NS6detail17trampoline_kernelINS0_13select_configILj256ELj13ELNS0_17block_load_methodE3ELS4_3ELS4_3ELNS0_20block_scan_algorithmE0ELj4294967295EEENS1_25partition_config_selectorILNS1_17partition_subalgoE4EjNS0_10empty_typeEbEEZZNS1_14partition_implILS8_4ELb0ES6_15HIP_vector_typeIjLj2EENS0_17counting_iteratorIjlEEPS9_SG_NS0_5tupleIJPjSI_NS0_16reverse_iteratorISI_EEEEENSH_IJSG_SG_SG_EEES9_SI_JZNS1_25segmented_radix_sort_implINS0_14default_configELb0EPKaPaPKlPlN2at6native12_GLOBAL__N_18offset_tEEE10hipError_tPvRmT1_PNSt15iterator_traitsIS12_E10value_typeET2_T3_PNS13_IS18_E10value_typeET4_jRbjT5_S1E_jjP12ihipStream_tbEUljE_ZNSN_ISO_Lb0ESQ_SR_ST_SU_SY_EESZ_S10_S11_S12_S16_S17_S18_S1B_S1C_jS1D_jS1E_S1E_jjS1G_bEUljE0_EEESZ_S10_S11_S18_S1C_S1E_T6_T7_T9_mT8_S1G_bDpT10_ENKUlT_T0_E_clISt17integral_constantIbLb0EES1T_IbLb1EEEEDaS1P_S1Q_EUlS1P_E_NS1_11comp_targetILNS1_3genE10ELNS1_11target_archE1200ELNS1_3gpuE4ELNS1_3repE0EEENS1_30default_config_static_selectorELNS0_4arch9wavefront6targetE0EEEvS12_: ; @_ZN7rocprim17ROCPRIM_400000_NS6detail17trampoline_kernelINS0_13select_configILj256ELj13ELNS0_17block_load_methodE3ELS4_3ELS4_3ELNS0_20block_scan_algorithmE0ELj4294967295EEENS1_25partition_config_selectorILNS1_17partition_subalgoE4EjNS0_10empty_typeEbEEZZNS1_14partition_implILS8_4ELb0ES6_15HIP_vector_typeIjLj2EENS0_17counting_iteratorIjlEEPS9_SG_NS0_5tupleIJPjSI_NS0_16reverse_iteratorISI_EEEEENSH_IJSG_SG_SG_EEES9_SI_JZNS1_25segmented_radix_sort_implINS0_14default_configELb0EPKaPaPKlPlN2at6native12_GLOBAL__N_18offset_tEEE10hipError_tPvRmT1_PNSt15iterator_traitsIS12_E10value_typeET2_T3_PNS13_IS18_E10value_typeET4_jRbjT5_S1E_jjP12ihipStream_tbEUljE_ZNSN_ISO_Lb0ESQ_SR_ST_SU_SY_EESZ_S10_S11_S12_S16_S17_S18_S1B_S1C_jS1D_jS1E_S1E_jjS1G_bEUljE0_EEESZ_S10_S11_S18_S1C_S1E_T6_T7_T9_mT8_S1G_bDpT10_ENKUlT_T0_E_clISt17integral_constantIbLb0EES1T_IbLb1EEEEDaS1P_S1Q_EUlS1P_E_NS1_11comp_targetILNS1_3genE10ELNS1_11target_archE1200ELNS1_3gpuE4ELNS1_3repE0EEENS1_30default_config_static_selectorELNS0_4arch9wavefront6targetE0EEEvS12_
; %bb.0:
	.section	.rodata,"a",@progbits
	.p2align	6, 0x0
	.amdhsa_kernel _ZN7rocprim17ROCPRIM_400000_NS6detail17trampoline_kernelINS0_13select_configILj256ELj13ELNS0_17block_load_methodE3ELS4_3ELS4_3ELNS0_20block_scan_algorithmE0ELj4294967295EEENS1_25partition_config_selectorILNS1_17partition_subalgoE4EjNS0_10empty_typeEbEEZZNS1_14partition_implILS8_4ELb0ES6_15HIP_vector_typeIjLj2EENS0_17counting_iteratorIjlEEPS9_SG_NS0_5tupleIJPjSI_NS0_16reverse_iteratorISI_EEEEENSH_IJSG_SG_SG_EEES9_SI_JZNS1_25segmented_radix_sort_implINS0_14default_configELb0EPKaPaPKlPlN2at6native12_GLOBAL__N_18offset_tEEE10hipError_tPvRmT1_PNSt15iterator_traitsIS12_E10value_typeET2_T3_PNS13_IS18_E10value_typeET4_jRbjT5_S1E_jjP12ihipStream_tbEUljE_ZNSN_ISO_Lb0ESQ_SR_ST_SU_SY_EESZ_S10_S11_S12_S16_S17_S18_S1B_S1C_jS1D_jS1E_S1E_jjS1G_bEUljE0_EEESZ_S10_S11_S18_S1C_S1E_T6_T7_T9_mT8_S1G_bDpT10_ENKUlT_T0_E_clISt17integral_constantIbLb0EES1T_IbLb1EEEEDaS1P_S1Q_EUlS1P_E_NS1_11comp_targetILNS1_3genE10ELNS1_11target_archE1200ELNS1_3gpuE4ELNS1_3repE0EEENS1_30default_config_static_selectorELNS0_4arch9wavefront6targetE0EEEvS12_
		.amdhsa_group_segment_fixed_size 0
		.amdhsa_private_segment_fixed_size 0
		.amdhsa_kernarg_size 184
		.amdhsa_user_sgpr_count 15
		.amdhsa_user_sgpr_dispatch_ptr 0
		.amdhsa_user_sgpr_queue_ptr 0
		.amdhsa_user_sgpr_kernarg_segment_ptr 1
		.amdhsa_user_sgpr_dispatch_id 0
		.amdhsa_user_sgpr_private_segment_size 0
		.amdhsa_wavefront_size32 1
		.amdhsa_uses_dynamic_stack 0
		.amdhsa_enable_private_segment 0
		.amdhsa_system_sgpr_workgroup_id_x 1
		.amdhsa_system_sgpr_workgroup_id_y 0
		.amdhsa_system_sgpr_workgroup_id_z 0
		.amdhsa_system_sgpr_workgroup_info 0
		.amdhsa_system_vgpr_workitem_id 0
		.amdhsa_next_free_vgpr 1
		.amdhsa_next_free_sgpr 1
		.amdhsa_reserve_vcc 0
		.amdhsa_float_round_mode_32 0
		.amdhsa_float_round_mode_16_64 0
		.amdhsa_float_denorm_mode_32 3
		.amdhsa_float_denorm_mode_16_64 3
		.amdhsa_dx10_clamp 1
		.amdhsa_ieee_mode 1
		.amdhsa_fp16_overflow 0
		.amdhsa_workgroup_processor_mode 1
		.amdhsa_memory_ordered 1
		.amdhsa_forward_progress 0
		.amdhsa_shared_vgpr_count 0
		.amdhsa_exception_fp_ieee_invalid_op 0
		.amdhsa_exception_fp_denorm_src 0
		.amdhsa_exception_fp_ieee_div_zero 0
		.amdhsa_exception_fp_ieee_overflow 0
		.amdhsa_exception_fp_ieee_underflow 0
		.amdhsa_exception_fp_ieee_inexact 0
		.amdhsa_exception_int_div_zero 0
	.end_amdhsa_kernel
	.section	.text._ZN7rocprim17ROCPRIM_400000_NS6detail17trampoline_kernelINS0_13select_configILj256ELj13ELNS0_17block_load_methodE3ELS4_3ELS4_3ELNS0_20block_scan_algorithmE0ELj4294967295EEENS1_25partition_config_selectorILNS1_17partition_subalgoE4EjNS0_10empty_typeEbEEZZNS1_14partition_implILS8_4ELb0ES6_15HIP_vector_typeIjLj2EENS0_17counting_iteratorIjlEEPS9_SG_NS0_5tupleIJPjSI_NS0_16reverse_iteratorISI_EEEEENSH_IJSG_SG_SG_EEES9_SI_JZNS1_25segmented_radix_sort_implINS0_14default_configELb0EPKaPaPKlPlN2at6native12_GLOBAL__N_18offset_tEEE10hipError_tPvRmT1_PNSt15iterator_traitsIS12_E10value_typeET2_T3_PNS13_IS18_E10value_typeET4_jRbjT5_S1E_jjP12ihipStream_tbEUljE_ZNSN_ISO_Lb0ESQ_SR_ST_SU_SY_EESZ_S10_S11_S12_S16_S17_S18_S1B_S1C_jS1D_jS1E_S1E_jjS1G_bEUljE0_EEESZ_S10_S11_S18_S1C_S1E_T6_T7_T9_mT8_S1G_bDpT10_ENKUlT_T0_E_clISt17integral_constantIbLb0EES1T_IbLb1EEEEDaS1P_S1Q_EUlS1P_E_NS1_11comp_targetILNS1_3genE10ELNS1_11target_archE1200ELNS1_3gpuE4ELNS1_3repE0EEENS1_30default_config_static_selectorELNS0_4arch9wavefront6targetE0EEEvS12_,"axG",@progbits,_ZN7rocprim17ROCPRIM_400000_NS6detail17trampoline_kernelINS0_13select_configILj256ELj13ELNS0_17block_load_methodE3ELS4_3ELS4_3ELNS0_20block_scan_algorithmE0ELj4294967295EEENS1_25partition_config_selectorILNS1_17partition_subalgoE4EjNS0_10empty_typeEbEEZZNS1_14partition_implILS8_4ELb0ES6_15HIP_vector_typeIjLj2EENS0_17counting_iteratorIjlEEPS9_SG_NS0_5tupleIJPjSI_NS0_16reverse_iteratorISI_EEEEENSH_IJSG_SG_SG_EEES9_SI_JZNS1_25segmented_radix_sort_implINS0_14default_configELb0EPKaPaPKlPlN2at6native12_GLOBAL__N_18offset_tEEE10hipError_tPvRmT1_PNSt15iterator_traitsIS12_E10value_typeET2_T3_PNS13_IS18_E10value_typeET4_jRbjT5_S1E_jjP12ihipStream_tbEUljE_ZNSN_ISO_Lb0ESQ_SR_ST_SU_SY_EESZ_S10_S11_S12_S16_S17_S18_S1B_S1C_jS1D_jS1E_S1E_jjS1G_bEUljE0_EEESZ_S10_S11_S18_S1C_S1E_T6_T7_T9_mT8_S1G_bDpT10_ENKUlT_T0_E_clISt17integral_constantIbLb0EES1T_IbLb1EEEEDaS1P_S1Q_EUlS1P_E_NS1_11comp_targetILNS1_3genE10ELNS1_11target_archE1200ELNS1_3gpuE4ELNS1_3repE0EEENS1_30default_config_static_selectorELNS0_4arch9wavefront6targetE0EEEvS12_,comdat
.Lfunc_end358:
	.size	_ZN7rocprim17ROCPRIM_400000_NS6detail17trampoline_kernelINS0_13select_configILj256ELj13ELNS0_17block_load_methodE3ELS4_3ELS4_3ELNS0_20block_scan_algorithmE0ELj4294967295EEENS1_25partition_config_selectorILNS1_17partition_subalgoE4EjNS0_10empty_typeEbEEZZNS1_14partition_implILS8_4ELb0ES6_15HIP_vector_typeIjLj2EENS0_17counting_iteratorIjlEEPS9_SG_NS0_5tupleIJPjSI_NS0_16reverse_iteratorISI_EEEEENSH_IJSG_SG_SG_EEES9_SI_JZNS1_25segmented_radix_sort_implINS0_14default_configELb0EPKaPaPKlPlN2at6native12_GLOBAL__N_18offset_tEEE10hipError_tPvRmT1_PNSt15iterator_traitsIS12_E10value_typeET2_T3_PNS13_IS18_E10value_typeET4_jRbjT5_S1E_jjP12ihipStream_tbEUljE_ZNSN_ISO_Lb0ESQ_SR_ST_SU_SY_EESZ_S10_S11_S12_S16_S17_S18_S1B_S1C_jS1D_jS1E_S1E_jjS1G_bEUljE0_EEESZ_S10_S11_S18_S1C_S1E_T6_T7_T9_mT8_S1G_bDpT10_ENKUlT_T0_E_clISt17integral_constantIbLb0EES1T_IbLb1EEEEDaS1P_S1Q_EUlS1P_E_NS1_11comp_targetILNS1_3genE10ELNS1_11target_archE1200ELNS1_3gpuE4ELNS1_3repE0EEENS1_30default_config_static_selectorELNS0_4arch9wavefront6targetE0EEEvS12_, .Lfunc_end358-_ZN7rocprim17ROCPRIM_400000_NS6detail17trampoline_kernelINS0_13select_configILj256ELj13ELNS0_17block_load_methodE3ELS4_3ELS4_3ELNS0_20block_scan_algorithmE0ELj4294967295EEENS1_25partition_config_selectorILNS1_17partition_subalgoE4EjNS0_10empty_typeEbEEZZNS1_14partition_implILS8_4ELb0ES6_15HIP_vector_typeIjLj2EENS0_17counting_iteratorIjlEEPS9_SG_NS0_5tupleIJPjSI_NS0_16reverse_iteratorISI_EEEEENSH_IJSG_SG_SG_EEES9_SI_JZNS1_25segmented_radix_sort_implINS0_14default_configELb0EPKaPaPKlPlN2at6native12_GLOBAL__N_18offset_tEEE10hipError_tPvRmT1_PNSt15iterator_traitsIS12_E10value_typeET2_T3_PNS13_IS18_E10value_typeET4_jRbjT5_S1E_jjP12ihipStream_tbEUljE_ZNSN_ISO_Lb0ESQ_SR_ST_SU_SY_EESZ_S10_S11_S12_S16_S17_S18_S1B_S1C_jS1D_jS1E_S1E_jjS1G_bEUljE0_EEESZ_S10_S11_S18_S1C_S1E_T6_T7_T9_mT8_S1G_bDpT10_ENKUlT_T0_E_clISt17integral_constantIbLb0EES1T_IbLb1EEEEDaS1P_S1Q_EUlS1P_E_NS1_11comp_targetILNS1_3genE10ELNS1_11target_archE1200ELNS1_3gpuE4ELNS1_3repE0EEENS1_30default_config_static_selectorELNS0_4arch9wavefront6targetE0EEEvS12_
                                        ; -- End function
	.section	.AMDGPU.csdata,"",@progbits
; Kernel info:
; codeLenInByte = 0
; NumSgprs: 0
; NumVgprs: 0
; ScratchSize: 0
; MemoryBound: 0
; FloatMode: 240
; IeeeMode: 1
; LDSByteSize: 0 bytes/workgroup (compile time only)
; SGPRBlocks: 0
; VGPRBlocks: 0
; NumSGPRsForWavesPerEU: 1
; NumVGPRsForWavesPerEU: 1
; Occupancy: 16
; WaveLimiterHint : 0
; COMPUTE_PGM_RSRC2:SCRATCH_EN: 0
; COMPUTE_PGM_RSRC2:USER_SGPR: 15
; COMPUTE_PGM_RSRC2:TRAP_HANDLER: 0
; COMPUTE_PGM_RSRC2:TGID_X_EN: 1
; COMPUTE_PGM_RSRC2:TGID_Y_EN: 0
; COMPUTE_PGM_RSRC2:TGID_Z_EN: 0
; COMPUTE_PGM_RSRC2:TIDIG_COMP_CNT: 0
	.section	.text._ZN7rocprim17ROCPRIM_400000_NS6detail17trampoline_kernelINS0_13select_configILj256ELj13ELNS0_17block_load_methodE3ELS4_3ELS4_3ELNS0_20block_scan_algorithmE0ELj4294967295EEENS1_25partition_config_selectorILNS1_17partition_subalgoE4EjNS0_10empty_typeEbEEZZNS1_14partition_implILS8_4ELb0ES6_15HIP_vector_typeIjLj2EENS0_17counting_iteratorIjlEEPS9_SG_NS0_5tupleIJPjSI_NS0_16reverse_iteratorISI_EEEEENSH_IJSG_SG_SG_EEES9_SI_JZNS1_25segmented_radix_sort_implINS0_14default_configELb0EPKaPaPKlPlN2at6native12_GLOBAL__N_18offset_tEEE10hipError_tPvRmT1_PNSt15iterator_traitsIS12_E10value_typeET2_T3_PNS13_IS18_E10value_typeET4_jRbjT5_S1E_jjP12ihipStream_tbEUljE_ZNSN_ISO_Lb0ESQ_SR_ST_SU_SY_EESZ_S10_S11_S12_S16_S17_S18_S1B_S1C_jS1D_jS1E_S1E_jjS1G_bEUljE0_EEESZ_S10_S11_S18_S1C_S1E_T6_T7_T9_mT8_S1G_bDpT10_ENKUlT_T0_E_clISt17integral_constantIbLb0EES1T_IbLb1EEEEDaS1P_S1Q_EUlS1P_E_NS1_11comp_targetILNS1_3genE9ELNS1_11target_archE1100ELNS1_3gpuE3ELNS1_3repE0EEENS1_30default_config_static_selectorELNS0_4arch9wavefront6targetE0EEEvS12_,"axG",@progbits,_ZN7rocprim17ROCPRIM_400000_NS6detail17trampoline_kernelINS0_13select_configILj256ELj13ELNS0_17block_load_methodE3ELS4_3ELS4_3ELNS0_20block_scan_algorithmE0ELj4294967295EEENS1_25partition_config_selectorILNS1_17partition_subalgoE4EjNS0_10empty_typeEbEEZZNS1_14partition_implILS8_4ELb0ES6_15HIP_vector_typeIjLj2EENS0_17counting_iteratorIjlEEPS9_SG_NS0_5tupleIJPjSI_NS0_16reverse_iteratorISI_EEEEENSH_IJSG_SG_SG_EEES9_SI_JZNS1_25segmented_radix_sort_implINS0_14default_configELb0EPKaPaPKlPlN2at6native12_GLOBAL__N_18offset_tEEE10hipError_tPvRmT1_PNSt15iterator_traitsIS12_E10value_typeET2_T3_PNS13_IS18_E10value_typeET4_jRbjT5_S1E_jjP12ihipStream_tbEUljE_ZNSN_ISO_Lb0ESQ_SR_ST_SU_SY_EESZ_S10_S11_S12_S16_S17_S18_S1B_S1C_jS1D_jS1E_S1E_jjS1G_bEUljE0_EEESZ_S10_S11_S18_S1C_S1E_T6_T7_T9_mT8_S1G_bDpT10_ENKUlT_T0_E_clISt17integral_constantIbLb0EES1T_IbLb1EEEEDaS1P_S1Q_EUlS1P_E_NS1_11comp_targetILNS1_3genE9ELNS1_11target_archE1100ELNS1_3gpuE3ELNS1_3repE0EEENS1_30default_config_static_selectorELNS0_4arch9wavefront6targetE0EEEvS12_,comdat
	.globl	_ZN7rocprim17ROCPRIM_400000_NS6detail17trampoline_kernelINS0_13select_configILj256ELj13ELNS0_17block_load_methodE3ELS4_3ELS4_3ELNS0_20block_scan_algorithmE0ELj4294967295EEENS1_25partition_config_selectorILNS1_17partition_subalgoE4EjNS0_10empty_typeEbEEZZNS1_14partition_implILS8_4ELb0ES6_15HIP_vector_typeIjLj2EENS0_17counting_iteratorIjlEEPS9_SG_NS0_5tupleIJPjSI_NS0_16reverse_iteratorISI_EEEEENSH_IJSG_SG_SG_EEES9_SI_JZNS1_25segmented_radix_sort_implINS0_14default_configELb0EPKaPaPKlPlN2at6native12_GLOBAL__N_18offset_tEEE10hipError_tPvRmT1_PNSt15iterator_traitsIS12_E10value_typeET2_T3_PNS13_IS18_E10value_typeET4_jRbjT5_S1E_jjP12ihipStream_tbEUljE_ZNSN_ISO_Lb0ESQ_SR_ST_SU_SY_EESZ_S10_S11_S12_S16_S17_S18_S1B_S1C_jS1D_jS1E_S1E_jjS1G_bEUljE0_EEESZ_S10_S11_S18_S1C_S1E_T6_T7_T9_mT8_S1G_bDpT10_ENKUlT_T0_E_clISt17integral_constantIbLb0EES1T_IbLb1EEEEDaS1P_S1Q_EUlS1P_E_NS1_11comp_targetILNS1_3genE9ELNS1_11target_archE1100ELNS1_3gpuE3ELNS1_3repE0EEENS1_30default_config_static_selectorELNS0_4arch9wavefront6targetE0EEEvS12_ ; -- Begin function _ZN7rocprim17ROCPRIM_400000_NS6detail17trampoline_kernelINS0_13select_configILj256ELj13ELNS0_17block_load_methodE3ELS4_3ELS4_3ELNS0_20block_scan_algorithmE0ELj4294967295EEENS1_25partition_config_selectorILNS1_17partition_subalgoE4EjNS0_10empty_typeEbEEZZNS1_14partition_implILS8_4ELb0ES6_15HIP_vector_typeIjLj2EENS0_17counting_iteratorIjlEEPS9_SG_NS0_5tupleIJPjSI_NS0_16reverse_iteratorISI_EEEEENSH_IJSG_SG_SG_EEES9_SI_JZNS1_25segmented_radix_sort_implINS0_14default_configELb0EPKaPaPKlPlN2at6native12_GLOBAL__N_18offset_tEEE10hipError_tPvRmT1_PNSt15iterator_traitsIS12_E10value_typeET2_T3_PNS13_IS18_E10value_typeET4_jRbjT5_S1E_jjP12ihipStream_tbEUljE_ZNSN_ISO_Lb0ESQ_SR_ST_SU_SY_EESZ_S10_S11_S12_S16_S17_S18_S1B_S1C_jS1D_jS1E_S1E_jjS1G_bEUljE0_EEESZ_S10_S11_S18_S1C_S1E_T6_T7_T9_mT8_S1G_bDpT10_ENKUlT_T0_E_clISt17integral_constantIbLb0EES1T_IbLb1EEEEDaS1P_S1Q_EUlS1P_E_NS1_11comp_targetILNS1_3genE9ELNS1_11target_archE1100ELNS1_3gpuE3ELNS1_3repE0EEENS1_30default_config_static_selectorELNS0_4arch9wavefront6targetE0EEEvS12_
	.p2align	8
	.type	_ZN7rocprim17ROCPRIM_400000_NS6detail17trampoline_kernelINS0_13select_configILj256ELj13ELNS0_17block_load_methodE3ELS4_3ELS4_3ELNS0_20block_scan_algorithmE0ELj4294967295EEENS1_25partition_config_selectorILNS1_17partition_subalgoE4EjNS0_10empty_typeEbEEZZNS1_14partition_implILS8_4ELb0ES6_15HIP_vector_typeIjLj2EENS0_17counting_iteratorIjlEEPS9_SG_NS0_5tupleIJPjSI_NS0_16reverse_iteratorISI_EEEEENSH_IJSG_SG_SG_EEES9_SI_JZNS1_25segmented_radix_sort_implINS0_14default_configELb0EPKaPaPKlPlN2at6native12_GLOBAL__N_18offset_tEEE10hipError_tPvRmT1_PNSt15iterator_traitsIS12_E10value_typeET2_T3_PNS13_IS18_E10value_typeET4_jRbjT5_S1E_jjP12ihipStream_tbEUljE_ZNSN_ISO_Lb0ESQ_SR_ST_SU_SY_EESZ_S10_S11_S12_S16_S17_S18_S1B_S1C_jS1D_jS1E_S1E_jjS1G_bEUljE0_EEESZ_S10_S11_S18_S1C_S1E_T6_T7_T9_mT8_S1G_bDpT10_ENKUlT_T0_E_clISt17integral_constantIbLb0EES1T_IbLb1EEEEDaS1P_S1Q_EUlS1P_E_NS1_11comp_targetILNS1_3genE9ELNS1_11target_archE1100ELNS1_3gpuE3ELNS1_3repE0EEENS1_30default_config_static_selectorELNS0_4arch9wavefront6targetE0EEEvS12_,@function
_ZN7rocprim17ROCPRIM_400000_NS6detail17trampoline_kernelINS0_13select_configILj256ELj13ELNS0_17block_load_methodE3ELS4_3ELS4_3ELNS0_20block_scan_algorithmE0ELj4294967295EEENS1_25partition_config_selectorILNS1_17partition_subalgoE4EjNS0_10empty_typeEbEEZZNS1_14partition_implILS8_4ELb0ES6_15HIP_vector_typeIjLj2EENS0_17counting_iteratorIjlEEPS9_SG_NS0_5tupleIJPjSI_NS0_16reverse_iteratorISI_EEEEENSH_IJSG_SG_SG_EEES9_SI_JZNS1_25segmented_radix_sort_implINS0_14default_configELb0EPKaPaPKlPlN2at6native12_GLOBAL__N_18offset_tEEE10hipError_tPvRmT1_PNSt15iterator_traitsIS12_E10value_typeET2_T3_PNS13_IS18_E10value_typeET4_jRbjT5_S1E_jjP12ihipStream_tbEUljE_ZNSN_ISO_Lb0ESQ_SR_ST_SU_SY_EESZ_S10_S11_S12_S16_S17_S18_S1B_S1C_jS1D_jS1E_S1E_jjS1G_bEUljE0_EEESZ_S10_S11_S18_S1C_S1E_T6_T7_T9_mT8_S1G_bDpT10_ENKUlT_T0_E_clISt17integral_constantIbLb0EES1T_IbLb1EEEEDaS1P_S1Q_EUlS1P_E_NS1_11comp_targetILNS1_3genE9ELNS1_11target_archE1100ELNS1_3gpuE3ELNS1_3repE0EEENS1_30default_config_static_selectorELNS0_4arch9wavefront6targetE0EEEvS12_: ; @_ZN7rocprim17ROCPRIM_400000_NS6detail17trampoline_kernelINS0_13select_configILj256ELj13ELNS0_17block_load_methodE3ELS4_3ELS4_3ELNS0_20block_scan_algorithmE0ELj4294967295EEENS1_25partition_config_selectorILNS1_17partition_subalgoE4EjNS0_10empty_typeEbEEZZNS1_14partition_implILS8_4ELb0ES6_15HIP_vector_typeIjLj2EENS0_17counting_iteratorIjlEEPS9_SG_NS0_5tupleIJPjSI_NS0_16reverse_iteratorISI_EEEEENSH_IJSG_SG_SG_EEES9_SI_JZNS1_25segmented_radix_sort_implINS0_14default_configELb0EPKaPaPKlPlN2at6native12_GLOBAL__N_18offset_tEEE10hipError_tPvRmT1_PNSt15iterator_traitsIS12_E10value_typeET2_T3_PNS13_IS18_E10value_typeET4_jRbjT5_S1E_jjP12ihipStream_tbEUljE_ZNSN_ISO_Lb0ESQ_SR_ST_SU_SY_EESZ_S10_S11_S12_S16_S17_S18_S1B_S1C_jS1D_jS1E_S1E_jjS1G_bEUljE0_EEESZ_S10_S11_S18_S1C_S1E_T6_T7_T9_mT8_S1G_bDpT10_ENKUlT_T0_E_clISt17integral_constantIbLb0EES1T_IbLb1EEEEDaS1P_S1Q_EUlS1P_E_NS1_11comp_targetILNS1_3genE9ELNS1_11target_archE1100ELNS1_3gpuE3ELNS1_3repE0EEENS1_30default_config_static_selectorELNS0_4arch9wavefront6targetE0EEEvS12_
; %bb.0:
	s_clause 0x7
	s_load_b64 s[34:35], s[0:1], 0x10
	s_load_b128 s[28:31], s[0:1], 0x28
	s_load_b64 s[14:15], s[0:1], 0x38
	s_load_b128 s[24:27], s[0:1], 0x58
	s_load_b64 s[4:5], s[0:1], 0x68
	s_load_b64 s[36:37], s[0:1], 0x78
	;; [unrolled: 1-line block ×3, first 2 shown]
	s_load_b256 s[16:23], s[0:1], 0x90
	v_cmp_eq_u32_e64 s2, 0, v0
	s_delay_alu instid0(VALU_DEP_1)
	s_and_saveexec_b32 s3, s2
	s_cbranch_execz .LBB359_4
; %bb.1:
	s_mov_b32 s7, exec_lo
	s_mov_b32 s6, exec_lo
	v_mbcnt_lo_u32_b32 v1, s7, 0
                                        ; implicit-def: $vgpr2
	s_delay_alu instid0(VALU_DEP_1)
	v_cmpx_eq_u32_e32 0, v1
	s_cbranch_execz .LBB359_3
; %bb.2:
	s_load_b64 s[8:9], s[0:1], 0x88
	s_bcnt1_i32_b32 s7, s7
	s_delay_alu instid0(SALU_CYCLE_1)
	v_dual_mov_b32 v2, 0 :: v_dual_mov_b32 v3, s7
	s_waitcnt lgkmcnt(0)
	global_atomic_add_u32 v2, v2, v3, s[8:9] glc
.LBB359_3:
	s_or_b32 exec_lo, exec_lo, s6
	s_waitcnt vmcnt(0)
	v_readfirstlane_b32 s6, v2
	s_delay_alu instid0(VALU_DEP_1)
	v_dual_mov_b32 v2, 0 :: v_dual_add_nc_u32 v1, s6, v1
	ds_store_b32 v2, v1
.LBB359_4:
	s_or_b32 exec_lo, exec_lo, s3
	v_mov_b32_e32 v1, 0
	s_clause 0x1
	s_load_b32 s3, s[0:1], 0x8
	s_load_b32 s0, s[0:1], 0x80
	s_waitcnt lgkmcnt(0)
	s_barrier
	buffer_gl0_inv
	ds_load_b32 v5, v1
	s_waitcnt lgkmcnt(0)
	s_barrier
	buffer_gl0_inv
	global_load_b128 v[1:4], v1, s[26:27]
	s_add_i32 s3, s3, s34
	s_mul_i32 s1, s0, 0xd00
	s_add_i32 s0, s0, -1
	s_add_u32 s6, s34, s1
	s_addc_u32 s7, s35, 0
	v_mul_lo_u32 v30, 0xd00, v5
	v_readfirstlane_b32 s26, v5
	v_cmp_lt_u64_e64 s5, s[6:7], s[4:5]
	v_cmp_ne_u32_e32 vcc_lo, s0, v5
	s_delay_alu instid0(VALU_DEP_3) | instskip(SKIP_1) | instid1(VALU_DEP_4)
	s_cmp_eq_u32 s26, s0
	s_cselect_b32 s13, -1, 0
	v_add3_u32 v5, v30, s3, v0
	s_delay_alu instid0(VALU_DEP_3) | instskip(SKIP_2) | instid1(VALU_DEP_1)
	s_or_b32 s0, s5, vcc_lo
	s_mov_b32 s3, -1
	s_and_b32 vcc_lo, exec_lo, s0
	v_add_nc_u32_e32 v6, 0x100, v5
	v_add_nc_u32_e32 v7, 0x200, v5
	;; [unrolled: 1-line block ×12, first 2 shown]
	s_cbranch_vccz .LBB359_6
; %bb.5:
	v_lshlrev_b32_e32 v18, 2, v0
	s_mov_b32 s3, 0
	ds_store_2addr_stride64_b32 v18, v5, v6 offset1:4
	ds_store_2addr_stride64_b32 v18, v7, v8 offset0:8 offset1:12
	ds_store_2addr_stride64_b32 v18, v9, v10 offset0:16 offset1:20
	;; [unrolled: 1-line block ×5, first 2 shown]
	ds_store_b32 v18, v17 offset:12288
	s_waitcnt vmcnt(0) lgkmcnt(0)
	s_barrier
.LBB359_6:
	s_and_not1_b32 vcc_lo, exec_lo, s3
	s_add_i32 s1, s1, s34
	s_cbranch_vccnz .LBB359_8
; %bb.7:
	v_lshlrev_b32_e32 v18, 2, v0
	ds_store_2addr_stride64_b32 v18, v5, v6 offset1:4
	ds_store_2addr_stride64_b32 v18, v7, v8 offset0:8 offset1:12
	ds_store_2addr_stride64_b32 v18, v9, v10 offset0:16 offset1:20
	;; [unrolled: 1-line block ×5, first 2 shown]
	ds_store_b32 v18, v17 offset:12288
	s_waitcnt vmcnt(0) lgkmcnt(0)
	s_barrier
.LBB359_8:
	v_mul_u32_u24_e32 v33, 13, v0
	s_waitcnt vmcnt(0)
	buffer_gl0_inv
	v_cndmask_b32_e64 v31, 0, 1, s0
	s_sub_i32 s40, s4, s1
	s_and_not1_b32 vcc_lo, exec_lo, s0
	v_lshlrev_b32_e32 v5, 2, v33
	ds_load_2addr_b32 v[20:21], v5 offset1:1
	ds_load_2addr_b32 v[18:19], v5 offset0:2 offset1:3
	ds_load_2addr_b32 v[16:17], v5 offset0:4 offset1:5
	;; [unrolled: 1-line block ×5, first 2 shown]
	ds_load_b32 v32, v5 offset:48
	s_waitcnt lgkmcnt(0)
	s_barrier
	buffer_gl0_inv
	s_cbranch_vccnz .LBB359_36
; %bb.9:
	v_add_nc_u32_e32 v5, s17, v20
	v_add_nc_u32_e32 v6, s19, v20
	s_mov_b32 s42, 0
	s_mov_b32 s41, 0
	s_mov_b32 s1, exec_lo
	v_mul_lo_u32 v5, v5, s16
	v_mul_lo_u32 v6, v6, s18
	s_delay_alu instid0(VALU_DEP_1) | instskip(NEXT) | instid1(VALU_DEP_1)
	v_sub_nc_u32_e32 v5, v5, v6
	v_cmp_lt_u32_e32 vcc_lo, s20, v5
	v_cmpx_ge_u32_e64 s20, v5
; %bb.10:
	v_add_nc_u32_e32 v5, s22, v20
	v_add_nc_u32_e32 v6, s38, v20
	s_delay_alu instid0(VALU_DEP_2) | instskip(NEXT) | instid1(VALU_DEP_2)
	v_mul_lo_u32 v5, v5, s21
	v_mul_lo_u32 v6, v6, s23
	s_delay_alu instid0(VALU_DEP_1) | instskip(NEXT) | instid1(VALU_DEP_1)
	v_sub_nc_u32_e32 v5, v5, v6
	v_cmp_lt_u32_e64 s0, s39, v5
	s_delay_alu instid0(VALU_DEP_1)
	s_and_b32 s41, s0, exec_lo
; %bb.11:
	s_or_b32 exec_lo, exec_lo, s1
	v_add_nc_u32_e32 v5, s17, v21
	v_add_nc_u32_e32 v6, s19, v21
	s_mov_b32 s3, exec_lo
	s_delay_alu instid0(VALU_DEP_2) | instskip(NEXT) | instid1(VALU_DEP_2)
	v_mul_lo_u32 v5, v5, s16
	v_mul_lo_u32 v6, v6, s18
	s_delay_alu instid0(VALU_DEP_1) | instskip(NEXT) | instid1(VALU_DEP_1)
	v_sub_nc_u32_e32 v5, v5, v6
	v_cmp_lt_u32_e64 s0, s20, v5
	v_cmpx_ge_u32_e64 s20, v5
; %bb.12:
	v_add_nc_u32_e32 v5, s22, v21
	v_add_nc_u32_e32 v6, s38, v21
	s_delay_alu instid0(VALU_DEP_2) | instskip(NEXT) | instid1(VALU_DEP_2)
	v_mul_lo_u32 v5, v5, s21
	v_mul_lo_u32 v6, v6, s23
	s_delay_alu instid0(VALU_DEP_1) | instskip(NEXT) | instid1(VALU_DEP_1)
	v_sub_nc_u32_e32 v5, v5, v6
	v_cmp_lt_u32_e64 s1, s39, v5
	s_delay_alu instid0(VALU_DEP_1)
	s_and_b32 s42, s1, exec_lo
; %bb.13:
	s_or_b32 exec_lo, exec_lo, s3
	v_add_nc_u32_e32 v5, s17, v18
	v_add_nc_u32_e32 v6, s19, v18
	s_mov_b32 s44, 0
	s_mov_b32 s43, 0
	s_mov_b32 s4, exec_lo
	v_mul_lo_u32 v5, v5, s16
	v_mul_lo_u32 v6, v6, s18
	s_delay_alu instid0(VALU_DEP_1) | instskip(NEXT) | instid1(VALU_DEP_1)
	v_sub_nc_u32_e32 v5, v5, v6
	v_cmp_lt_u32_e64 s1, s20, v5
	v_cmpx_ge_u32_e64 s20, v5
; %bb.14:
	v_add_nc_u32_e32 v5, s22, v18
	v_add_nc_u32_e32 v6, s38, v18
	s_delay_alu instid0(VALU_DEP_2) | instskip(NEXT) | instid1(VALU_DEP_2)
	v_mul_lo_u32 v5, v5, s21
	v_mul_lo_u32 v6, v6, s23
	s_delay_alu instid0(VALU_DEP_1) | instskip(NEXT) | instid1(VALU_DEP_1)
	v_sub_nc_u32_e32 v5, v5, v6
	v_cmp_lt_u32_e64 s3, s39, v5
	s_delay_alu instid0(VALU_DEP_1)
	s_and_b32 s43, s3, exec_lo
; %bb.15:
	s_or_b32 exec_lo, exec_lo, s4
	v_add_nc_u32_e32 v5, s17, v19
	v_add_nc_u32_e32 v6, s19, v19
	s_mov_b32 s5, exec_lo
	s_delay_alu instid0(VALU_DEP_2) | instskip(NEXT) | instid1(VALU_DEP_2)
	v_mul_lo_u32 v5, v5, s16
	v_mul_lo_u32 v6, v6, s18
	s_delay_alu instid0(VALU_DEP_1) | instskip(NEXT) | instid1(VALU_DEP_1)
	v_sub_nc_u32_e32 v5, v5, v6
	v_cmp_lt_u32_e64 s3, s20, v5
	v_cmpx_ge_u32_e64 s20, v5
; %bb.16:
	v_add_nc_u32_e32 v5, s22, v19
	v_add_nc_u32_e32 v6, s38, v19
	s_delay_alu instid0(VALU_DEP_2) | instskip(NEXT) | instid1(VALU_DEP_2)
	v_mul_lo_u32 v5, v5, s21
	v_mul_lo_u32 v6, v6, s23
	s_delay_alu instid0(VALU_DEP_1) | instskip(NEXT) | instid1(VALU_DEP_1)
	v_sub_nc_u32_e32 v5, v5, v6
	v_cmp_lt_u32_e64 s4, s39, v5
	s_delay_alu instid0(VALU_DEP_1)
	s_and_b32 s44, s4, exec_lo
; %bb.17:
	s_or_b32 exec_lo, exec_lo, s5
	v_add_nc_u32_e32 v5, s17, v16
	v_add_nc_u32_e32 v6, s19, v16
	s_mov_b32 s46, 0
	s_mov_b32 s45, 0
	s_mov_b32 s6, exec_lo
	v_mul_lo_u32 v5, v5, s16
	v_mul_lo_u32 v6, v6, s18
	s_delay_alu instid0(VALU_DEP_1) | instskip(NEXT) | instid1(VALU_DEP_1)
	v_sub_nc_u32_e32 v5, v5, v6
	v_cmp_lt_u32_e64 s4, s20, v5
	;; [unrolled: 47-line block ×5, first 2 shown]
	v_cmpx_ge_u32_e64 s20, v5
; %bb.30:
	v_add_nc_u32_e32 v5, s22, v10
	v_add_nc_u32_e32 v6, s38, v10
	s_delay_alu instid0(VALU_DEP_2) | instskip(NEXT) | instid1(VALU_DEP_2)
	v_mul_lo_u32 v5, v5, s21
	v_mul_lo_u32 v6, v6, s23
	s_delay_alu instid0(VALU_DEP_1) | instskip(NEXT) | instid1(VALU_DEP_1)
	v_sub_nc_u32_e32 v5, v5, v6
	v_cmp_lt_u32_e64 s11, s39, v5
	s_delay_alu instid0(VALU_DEP_1)
	s_and_b32 s53, s11, exec_lo
; %bb.31:
	s_or_b32 exec_lo, exec_lo, s12
	v_add_nc_u32_e32 v5, s17, v11
	v_add_nc_u32_e32 v6, s19, v11
	s_mov_b32 s27, exec_lo
	s_delay_alu instid0(VALU_DEP_2) | instskip(NEXT) | instid1(VALU_DEP_2)
	v_mul_lo_u32 v5, v5, s16
	v_mul_lo_u32 v6, v6, s18
	s_delay_alu instid0(VALU_DEP_1) | instskip(NEXT) | instid1(VALU_DEP_1)
	v_sub_nc_u32_e32 v5, v5, v6
	v_cmp_lt_u32_e64 s11, s20, v5
	v_cmpx_ge_u32_e64 s20, v5
; %bb.32:
	v_add_nc_u32_e32 v5, s22, v11
	v_add_nc_u32_e32 v6, s38, v11
	s_delay_alu instid0(VALU_DEP_2) | instskip(NEXT) | instid1(VALU_DEP_2)
	v_mul_lo_u32 v5, v5, s21
	v_mul_lo_u32 v6, v6, s23
	s_delay_alu instid0(VALU_DEP_1) | instskip(NEXT) | instid1(VALU_DEP_1)
	v_sub_nc_u32_e32 v5, v5, v6
	v_cmp_lt_u32_e64 s12, s39, v5
	s_delay_alu instid0(VALU_DEP_1)
	s_and_b32 s52, s12, exec_lo
; %bb.33:
	s_or_b32 exec_lo, exec_lo, s27
	v_add_nc_u32_e32 v5, s17, v32
	v_add_nc_u32_e32 v6, s19, v32
	s_mov_b32 s27, -1
	s_mov_b32 s49, 0
	s_mov_b32 s33, 0
	v_mul_lo_u32 v5, v5, s16
	v_mul_lo_u32 v6, v6, s18
	s_mov_b32 s54, exec_lo
	s_delay_alu instid0(VALU_DEP_1) | instskip(NEXT) | instid1(VALU_DEP_1)
	v_sub_nc_u32_e32 v5, v5, v6
	v_cmpx_ge_u32_e64 s20, v5
; %bb.34:
	v_add_nc_u32_e32 v5, s22, v32
	v_add_nc_u32_e32 v6, s38, v32
	s_xor_b32 s27, exec_lo, -1
	s_delay_alu instid0(VALU_DEP_2) | instskip(NEXT) | instid1(VALU_DEP_2)
	v_mul_lo_u32 v5, v5, s21
	v_mul_lo_u32 v6, v6, s23
	s_delay_alu instid0(VALU_DEP_1) | instskip(NEXT) | instid1(VALU_DEP_1)
	v_sub_nc_u32_e32 v5, v5, v6
	v_cmp_lt_u32_e64 s12, s39, v5
	s_delay_alu instid0(VALU_DEP_1)
	s_and_b32 s33, s12, exec_lo
; %bb.35:
	s_or_b32 exec_lo, exec_lo, s54
	v_cndmask_b32_e64 v53, 0, 1, s53
	v_cndmask_b32_e64 v56, 0, 1, s11
	;; [unrolled: 1-line block ×22, first 2 shown]
	v_cndmask_b32_e64 v34, 0, 1, vcc_lo
	v_cndmask_b32_e64 v57, 0, 1, s52
	s_and_b32 vcc_lo, exec_lo, s49
	s_add_i32 s4, s40, 0xd00
	s_cbranch_vccnz .LBB359_37
	s_branch .LBB359_90
.LBB359_36:
                                        ; implicit-def: $sgpr27
                                        ; implicit-def: $sgpr33
                                        ; implicit-def: $vgpr57
                                        ; implicit-def: $vgpr53
                                        ; implicit-def: $vgpr52
                                        ; implicit-def: $vgpr50
                                        ; implicit-def: $vgpr48
                                        ; implicit-def: $vgpr46
                                        ; implicit-def: $vgpr44
                                        ; implicit-def: $vgpr42
                                        ; implicit-def: $vgpr39
                                        ; implicit-def: $vgpr34
                                        ; implicit-def: $vgpr37
                                        ; implicit-def: $vgpr36
                                        ; implicit-def: $vgpr41
                                        ; implicit-def: $vgpr43
                                        ; implicit-def: $vgpr45
                                        ; implicit-def: $vgpr47
                                        ; implicit-def: $vgpr49
                                        ; implicit-def: $vgpr51
                                        ; implicit-def: $vgpr54
                                        ; implicit-def: $vgpr55
                                        ; implicit-def: $vgpr56
                                        ; implicit-def: $vgpr35
                                        ; implicit-def: $vgpr40
                                        ; implicit-def: $vgpr38
	s_add_i32 s4, s40, 0xd00
	s_cbranch_execz .LBB359_90
.LBB359_37:
	v_dual_mov_b32 v35, 0 :: v_dual_mov_b32 v34, 0
	s_mov_b32 s3, 0
	s_mov_b32 s1, exec_lo
	v_cmpx_gt_u32_e64 s4, v33
	s_cbranch_execz .LBB359_41
; %bb.38:
	v_add_nc_u32_e32 v5, s17, v20
	v_add_nc_u32_e32 v6, s19, v20
	s_mov_b32 s5, exec_lo
	s_delay_alu instid0(VALU_DEP_2) | instskip(NEXT) | instid1(VALU_DEP_2)
	v_mul_lo_u32 v5, v5, s16
	v_mul_lo_u32 v6, v6, s18
	s_delay_alu instid0(VALU_DEP_1) | instskip(NEXT) | instid1(VALU_DEP_1)
	v_sub_nc_u32_e32 v5, v5, v6
	v_cmp_lt_u32_e32 vcc_lo, s20, v5
	v_cmpx_ge_u32_e64 s20, v5
; %bb.39:
	v_add_nc_u32_e32 v5, s22, v20
	v_add_nc_u32_e32 v6, s38, v20
	s_delay_alu instid0(VALU_DEP_2) | instskip(NEXT) | instid1(VALU_DEP_2)
	v_mul_lo_u32 v5, v5, s21
	v_mul_lo_u32 v6, v6, s23
	s_delay_alu instid0(VALU_DEP_1) | instskip(NEXT) | instid1(VALU_DEP_1)
	v_sub_nc_u32_e32 v5, v5, v6
	v_cmp_lt_u32_e64 s0, s39, v5
	s_delay_alu instid0(VALU_DEP_1)
	s_and_b32 s3, s0, exec_lo
; %bb.40:
	s_or_b32 exec_lo, exec_lo, s5
	v_cndmask_b32_e64 v34, 0, 1, vcc_lo
	v_cndmask_b32_e64 v35, 0, 1, s3
.LBB359_41:
	s_or_b32 exec_lo, exec_lo, s1
	v_dual_mov_b32 v40, 0 :: v_dual_add_nc_u32 v5, 1, v33
	v_mov_b32_e32 v37, 0
	s_mov_b32 s3, 0
	s_mov_b32 s1, exec_lo
	s_delay_alu instid0(VALU_DEP_2)
	v_cmpx_gt_u32_e64 s4, v5
	s_cbranch_execz .LBB359_45
; %bb.42:
	v_add_nc_u32_e32 v5, s17, v21
	v_add_nc_u32_e32 v6, s19, v21
	s_mov_b32 s5, exec_lo
	s_delay_alu instid0(VALU_DEP_2) | instskip(NEXT) | instid1(VALU_DEP_2)
	v_mul_lo_u32 v5, v5, s16
	v_mul_lo_u32 v6, v6, s18
	s_delay_alu instid0(VALU_DEP_1) | instskip(NEXT) | instid1(VALU_DEP_1)
	v_sub_nc_u32_e32 v5, v5, v6
	v_cmp_lt_u32_e32 vcc_lo, s20, v5
	v_cmpx_ge_u32_e64 s20, v5
; %bb.43:
	v_add_nc_u32_e32 v5, s22, v21
	v_add_nc_u32_e32 v6, s38, v21
	s_delay_alu instid0(VALU_DEP_2) | instskip(NEXT) | instid1(VALU_DEP_2)
	v_mul_lo_u32 v5, v5, s21
	v_mul_lo_u32 v6, v6, s23
	s_delay_alu instid0(VALU_DEP_1) | instskip(NEXT) | instid1(VALU_DEP_1)
	v_sub_nc_u32_e32 v5, v5, v6
	v_cmp_lt_u32_e64 s0, s39, v5
	s_delay_alu instid0(VALU_DEP_1)
	s_and_b32 s3, s0, exec_lo
; %bb.44:
	s_or_b32 exec_lo, exec_lo, s5
	v_cndmask_b32_e64 v37, 0, 1, vcc_lo
	v_cndmask_b32_e64 v40, 0, 1, s3
.LBB359_45:
	s_or_b32 exec_lo, exec_lo, s1
	v_dual_mov_b32 v36, 0 :: v_dual_add_nc_u32 v5, 2, v33
	v_mov_b32_e32 v38, 0
	s_mov_b32 s3, 0
	s_mov_b32 s1, exec_lo
	s_delay_alu instid0(VALU_DEP_2)
	v_cmpx_gt_u32_e64 s4, v5
	s_cbranch_execz .LBB359_49
; %bb.46:
	v_add_nc_u32_e32 v5, s17, v18
	v_add_nc_u32_e32 v6, s19, v18
	s_mov_b32 s5, exec_lo
	s_delay_alu instid0(VALU_DEP_2) | instskip(NEXT) | instid1(VALU_DEP_2)
	v_mul_lo_u32 v5, v5, s16
	v_mul_lo_u32 v6, v6, s18
	s_delay_alu instid0(VALU_DEP_1) | instskip(NEXT) | instid1(VALU_DEP_1)
	v_sub_nc_u32_e32 v5, v5, v6
	v_cmp_lt_u32_e32 vcc_lo, s20, v5
	v_cmpx_ge_u32_e64 s20, v5
; %bb.47:
	v_add_nc_u32_e32 v5, s22, v18
	v_add_nc_u32_e32 v6, s38, v18
	s_delay_alu instid0(VALU_DEP_2) | instskip(NEXT) | instid1(VALU_DEP_2)
	v_mul_lo_u32 v5, v5, s21
	v_mul_lo_u32 v6, v6, s23
	s_delay_alu instid0(VALU_DEP_1) | instskip(NEXT) | instid1(VALU_DEP_1)
	v_sub_nc_u32_e32 v5, v5, v6
	v_cmp_lt_u32_e64 s0, s39, v5
	s_delay_alu instid0(VALU_DEP_1)
	s_and_b32 s3, s0, exec_lo
; %bb.48:
	s_or_b32 exec_lo, exec_lo, s5
	v_cndmask_b32_e64 v36, 0, 1, vcc_lo
	v_cndmask_b32_e64 v38, 0, 1, s3
.LBB359_49:
	s_or_b32 exec_lo, exec_lo, s1
	v_add_nc_u32_e32 v5, 3, v33
	v_mov_b32_e32 v39, 0
	v_mov_b32_e32 v41, 0
	s_mov_b32 s3, 0
	s_mov_b32 s1, exec_lo
	v_cmpx_gt_u32_e64 s4, v5
	s_cbranch_execz .LBB359_53
; %bb.50:
	v_add_nc_u32_e32 v5, s17, v19
	v_add_nc_u32_e32 v6, s19, v19
	s_mov_b32 s5, exec_lo
	s_delay_alu instid0(VALU_DEP_2) | instskip(NEXT) | instid1(VALU_DEP_2)
	v_mul_lo_u32 v5, v5, s16
	v_mul_lo_u32 v6, v6, s18
	s_delay_alu instid0(VALU_DEP_1) | instskip(NEXT) | instid1(VALU_DEP_1)
	v_sub_nc_u32_e32 v5, v5, v6
	v_cmp_lt_u32_e32 vcc_lo, s20, v5
	v_cmpx_ge_u32_e64 s20, v5
; %bb.51:
	v_add_nc_u32_e32 v5, s22, v19
	v_add_nc_u32_e32 v6, s38, v19
	s_delay_alu instid0(VALU_DEP_2) | instskip(NEXT) | instid1(VALU_DEP_2)
	v_mul_lo_u32 v5, v5, s21
	v_mul_lo_u32 v6, v6, s23
	s_delay_alu instid0(VALU_DEP_1) | instskip(NEXT) | instid1(VALU_DEP_1)
	v_sub_nc_u32_e32 v5, v5, v6
	v_cmp_lt_u32_e64 s0, s39, v5
	s_delay_alu instid0(VALU_DEP_1)
	s_and_b32 s3, s0, exec_lo
; %bb.52:
	s_or_b32 exec_lo, exec_lo, s5
	v_cndmask_b32_e64 v41, 0, 1, vcc_lo
	v_cndmask_b32_e64 v39, 0, 1, s3
.LBB359_53:
	s_or_b32 exec_lo, exec_lo, s1
	v_dual_mov_b32 v42, 0 :: v_dual_add_nc_u32 v5, 4, v33
	v_mov_b32_e32 v43, 0
	s_mov_b32 s3, 0
	s_mov_b32 s1, exec_lo
	s_delay_alu instid0(VALU_DEP_2)
	v_cmpx_gt_u32_e64 s4, v5
	s_cbranch_execz .LBB359_57
; %bb.54:
	v_add_nc_u32_e32 v5, s17, v16
	v_add_nc_u32_e32 v6, s19, v16
	s_mov_b32 s5, exec_lo
	s_delay_alu instid0(VALU_DEP_2) | instskip(NEXT) | instid1(VALU_DEP_2)
	v_mul_lo_u32 v5, v5, s16
	v_mul_lo_u32 v6, v6, s18
	s_delay_alu instid0(VALU_DEP_1) | instskip(NEXT) | instid1(VALU_DEP_1)
	v_sub_nc_u32_e32 v5, v5, v6
	v_cmp_lt_u32_e32 vcc_lo, s20, v5
	v_cmpx_ge_u32_e64 s20, v5
; %bb.55:
	v_add_nc_u32_e32 v5, s22, v16
	v_add_nc_u32_e32 v6, s38, v16
	s_delay_alu instid0(VALU_DEP_2) | instskip(NEXT) | instid1(VALU_DEP_2)
	v_mul_lo_u32 v5, v5, s21
	v_mul_lo_u32 v6, v6, s23
	s_delay_alu instid0(VALU_DEP_1) | instskip(NEXT) | instid1(VALU_DEP_1)
	v_sub_nc_u32_e32 v5, v5, v6
	v_cmp_lt_u32_e64 s0, s39, v5
	s_delay_alu instid0(VALU_DEP_1)
	s_and_b32 s3, s0, exec_lo
; %bb.56:
	s_or_b32 exec_lo, exec_lo, s5
	v_cndmask_b32_e64 v43, 0, 1, vcc_lo
	v_cndmask_b32_e64 v42, 0, 1, s3
.LBB359_57:
	s_or_b32 exec_lo, exec_lo, s1
	v_dual_mov_b32 v44, 0 :: v_dual_add_nc_u32 v5, 5, v33
	v_mov_b32_e32 v45, 0
	s_mov_b32 s3, 0
	s_mov_b32 s1, exec_lo
	s_delay_alu instid0(VALU_DEP_2)
	;; [unrolled: 35-line block ×6, first 2 shown]
	v_cmpx_gt_u32_e64 s4, v5
	s_cbranch_execz .LBB359_77
; %bb.74:
	v_add_nc_u32_e32 v5, s17, v13
	v_add_nc_u32_e32 v6, s19, v13
	s_mov_b32 s5, exec_lo
	s_delay_alu instid0(VALU_DEP_2) | instskip(NEXT) | instid1(VALU_DEP_2)
	v_mul_lo_u32 v5, v5, s16
	v_mul_lo_u32 v6, v6, s18
	s_delay_alu instid0(VALU_DEP_1) | instskip(NEXT) | instid1(VALU_DEP_1)
	v_sub_nc_u32_e32 v5, v5, v6
	v_cmp_lt_u32_e32 vcc_lo, s20, v5
	v_cmpx_ge_u32_e64 s20, v5
; %bb.75:
	v_add_nc_u32_e32 v5, s22, v13
	v_add_nc_u32_e32 v6, s38, v13
	s_delay_alu instid0(VALU_DEP_2) | instskip(NEXT) | instid1(VALU_DEP_2)
	v_mul_lo_u32 v5, v5, s21
	v_mul_lo_u32 v6, v6, s23
	s_delay_alu instid0(VALU_DEP_1) | instskip(NEXT) | instid1(VALU_DEP_1)
	v_sub_nc_u32_e32 v5, v5, v6
	v_cmp_lt_u32_e64 s0, s39, v5
	s_delay_alu instid0(VALU_DEP_1)
	s_and_b32 s3, s0, exec_lo
; %bb.76:
	s_or_b32 exec_lo, exec_lo, s5
	v_cndmask_b32_e64 v54, 0, 1, vcc_lo
	v_cndmask_b32_e64 v52, 0, 1, s3
.LBB359_77:
	s_or_b32 exec_lo, exec_lo, s1
	v_add_nc_u32_e32 v5, 10, v33
	v_mov_b32_e32 v53, 0
	v_mov_b32_e32 v55, 0
	s_mov_b32 s3, 0
	s_mov_b32 s1, exec_lo
	v_cmpx_gt_u32_e64 s4, v5
	s_cbranch_execz .LBB359_81
; %bb.78:
	v_add_nc_u32_e32 v5, s17, v10
	v_add_nc_u32_e32 v6, s19, v10
	s_mov_b32 s5, exec_lo
	s_delay_alu instid0(VALU_DEP_2) | instskip(NEXT) | instid1(VALU_DEP_2)
	v_mul_lo_u32 v5, v5, s16
	v_mul_lo_u32 v6, v6, s18
	s_delay_alu instid0(VALU_DEP_1) | instskip(NEXT) | instid1(VALU_DEP_1)
	v_sub_nc_u32_e32 v5, v5, v6
	v_cmp_lt_u32_e32 vcc_lo, s20, v5
	v_cmpx_ge_u32_e64 s20, v5
; %bb.79:
	v_add_nc_u32_e32 v5, s22, v10
	v_add_nc_u32_e32 v6, s38, v10
	s_delay_alu instid0(VALU_DEP_2) | instskip(NEXT) | instid1(VALU_DEP_2)
	v_mul_lo_u32 v5, v5, s21
	v_mul_lo_u32 v6, v6, s23
	s_delay_alu instid0(VALU_DEP_1) | instskip(NEXT) | instid1(VALU_DEP_1)
	v_sub_nc_u32_e32 v5, v5, v6
	v_cmp_lt_u32_e64 s0, s39, v5
	s_delay_alu instid0(VALU_DEP_1)
	s_and_b32 s3, s0, exec_lo
; %bb.80:
	s_or_b32 exec_lo, exec_lo, s5
	v_cndmask_b32_e64 v55, 0, 1, vcc_lo
	v_cndmask_b32_e64 v53, 0, 1, s3
.LBB359_81:
	s_or_b32 exec_lo, exec_lo, s1
	v_dual_mov_b32 v56, 0 :: v_dual_add_nc_u32 v5, 11, v33
	v_mov_b32_e32 v57, 0
	s_mov_b32 s3, 0
	s_mov_b32 s1, exec_lo
	s_delay_alu instid0(VALU_DEP_2)
	v_cmpx_gt_u32_e64 s4, v5
	s_cbranch_execz .LBB359_85
; %bb.82:
	v_add_nc_u32_e32 v5, s17, v11
	v_add_nc_u32_e32 v6, s19, v11
	s_mov_b32 s5, exec_lo
	s_delay_alu instid0(VALU_DEP_2) | instskip(NEXT) | instid1(VALU_DEP_2)
	v_mul_lo_u32 v5, v5, s16
	v_mul_lo_u32 v6, v6, s18
	s_delay_alu instid0(VALU_DEP_1) | instskip(NEXT) | instid1(VALU_DEP_1)
	v_sub_nc_u32_e32 v5, v5, v6
	v_cmp_lt_u32_e32 vcc_lo, s20, v5
	v_cmpx_ge_u32_e64 s20, v5
; %bb.83:
	v_add_nc_u32_e32 v5, s22, v11
	v_add_nc_u32_e32 v6, s38, v11
	s_delay_alu instid0(VALU_DEP_2) | instskip(NEXT) | instid1(VALU_DEP_2)
	v_mul_lo_u32 v5, v5, s21
	v_mul_lo_u32 v6, v6, s23
	s_delay_alu instid0(VALU_DEP_1) | instskip(NEXT) | instid1(VALU_DEP_1)
	v_sub_nc_u32_e32 v5, v5, v6
	v_cmp_lt_u32_e64 s0, s39, v5
	s_delay_alu instid0(VALU_DEP_1)
	s_and_b32 s3, s0, exec_lo
; %bb.84:
	s_or_b32 exec_lo, exec_lo, s5
	v_cndmask_b32_e64 v56, 0, 1, vcc_lo
	v_cndmask_b32_e64 v57, 0, 1, s3
.LBB359_85:
	s_or_b32 exec_lo, exec_lo, s1
	v_add_nc_u32_e32 v5, 12, v33
	s_mov_b32 s27, 0
	s_mov_b32 s33, 0
	s_mov_b32 s0, exec_lo
	s_delay_alu instid0(VALU_DEP_1)
	v_cmpx_gt_u32_e64 s4, v5
	s_cbranch_execz .LBB359_89
; %bb.86:
	v_add_nc_u32_e32 v5, s17, v32
	v_add_nc_u32_e32 v6, s19, v32
	s_mov_b32 s3, -1
	s_mov_b32 s5, 0
	s_mov_b32 s1, exec_lo
	v_mul_lo_u32 v5, v5, s16
	v_mul_lo_u32 v6, v6, s18
	s_delay_alu instid0(VALU_DEP_1) | instskip(NEXT) | instid1(VALU_DEP_1)
	v_sub_nc_u32_e32 v5, v5, v6
	v_cmpx_ge_u32_e64 s20, v5
; %bb.87:
	v_add_nc_u32_e32 v5, s22, v32
	v_add_nc_u32_e32 v6, s38, v32
	s_xor_b32 s3, exec_lo, -1
	s_delay_alu instid0(VALU_DEP_2) | instskip(NEXT) | instid1(VALU_DEP_2)
	v_mul_lo_u32 v5, v5, s21
	v_mul_lo_u32 v6, v6, s23
	s_delay_alu instid0(VALU_DEP_1) | instskip(NEXT) | instid1(VALU_DEP_1)
	v_sub_nc_u32_e32 v5, v5, v6
	v_cmp_lt_u32_e32 vcc_lo, s39, v5
	s_and_b32 s5, vcc_lo, exec_lo
; %bb.88:
	s_or_b32 exec_lo, exec_lo, s1
	s_delay_alu instid0(SALU_CYCLE_1)
	s_and_b32 s33, s5, exec_lo
	s_and_b32 s27, s3, exec_lo
.LBB359_89:
	s_or_b32 exec_lo, exec_lo, s0
.LBB359_90:
	v_and_b32_e32 v80, 0xff, v34
	v_and_b32_e32 v81, 0xff, v35
	;; [unrolled: 1-line block ×10, first 2 shown]
	v_add3_u32 v5, v76, v78, v80
	v_add3_u32 v6, v77, v79, v81
	v_and_b32_e32 v70, 0xff, v45
	v_and_b32_e32 v71, 0xff, v44
	v_and_b32_e32 v64, 0xff, v47
	v_and_b32_e32 v65, 0xff, v46
	v_add3_u32 v5, v5, v74, v72
	v_add3_u32 v6, v6, v75, v73
	v_and_b32_e32 v68, 0xff, v49
	v_and_b32_e32 v69, 0xff, v48
	v_and_b32_e32 v66, 0xff, v51
	v_and_b32_e32 v67, 0xff, v50
	;; [unrolled: 6-line block ×3, first 2 shown]
	v_add3_u32 v5, v5, v68, v66
	v_add3_u32 v6, v6, v69, v67
	v_mbcnt_lo_u32_b32 v82, -1, 0
	v_and_b32_e32 v58, 0xff, v56
	v_and_b32_e32 v59, 0xff, v57
	v_cndmask_b32_e64 v7, 0, 1, s33
	v_add3_u32 v5, v5, v61, v60
	v_cndmask_b32_e64 v8, 0, 1, s27
	v_add3_u32 v6, v6, v62, v63
	v_and_b32_e32 v86, 15, v82
	v_and_b32_e32 v85, 16, v82
	v_lshrrev_b32_e32 v83, 5, v0
	v_add3_u32 v87, v5, v58, v8
	v_add3_u32 v88, v6, v59, v7
	v_cmp_eq_u32_e64 s1, 0, v86
	v_cmp_lt_u32_e64 s0, 1, v86
	v_cmp_lt_u32_e64 s3, 3, v86
	v_cmp_lt_u32_e32 vcc_lo, 7, v86
	v_or_b32_e32 v84, 31, v0
	s_cmp_lg_u32 s26, 0
	s_mov_b32 s5, -1
	s_cbranch_scc0 .LBB359_118
; %bb.91:
	v_mov_b32_dpp v5, v88 row_shr:1 row_mask:0xf bank_mask:0xf
	v_mov_b32_dpp v6, v87 row_shr:1 row_mask:0xf bank_mask:0xf
	s_delay_alu instid0(VALU_DEP_2) | instskip(NEXT) | instid1(VALU_DEP_2)
	v_add_nc_u32_e32 v5, v5, v88
	v_add_nc_u32_e32 v6, v6, v87
	s_delay_alu instid0(VALU_DEP_2) | instskip(NEXT) | instid1(VALU_DEP_2)
	v_cndmask_b32_e64 v5, v5, v88, s1
	v_cndmask_b32_e64 v6, v6, v87, s1
	s_delay_alu instid0(VALU_DEP_2) | instskip(NEXT) | instid1(VALU_DEP_2)
	v_mov_b32_dpp v7, v5 row_shr:2 row_mask:0xf bank_mask:0xf
	v_mov_b32_dpp v8, v6 row_shr:2 row_mask:0xf bank_mask:0xf
	s_delay_alu instid0(VALU_DEP_2) | instskip(NEXT) | instid1(VALU_DEP_1)
	v_add_nc_u32_e32 v7, v5, v7
	v_cndmask_b32_e64 v5, v5, v7, s0
	s_delay_alu instid0(VALU_DEP_1) | instskip(NEXT) | instid1(VALU_DEP_1)
	v_mov_b32_dpp v7, v5 row_shr:4 row_mask:0xf bank_mask:0xf
	v_add_nc_u32_e32 v7, v5, v7
	s_delay_alu instid0(VALU_DEP_1) | instskip(NEXT) | instid1(VALU_DEP_1)
	v_cndmask_b32_e64 v5, v5, v7, s3
	v_mov_b32_dpp v7, v5 row_shr:8 row_mask:0xf bank_mask:0xf
	s_delay_alu instid0(VALU_DEP_1) | instskip(NEXT) | instid1(VALU_DEP_1)
	v_add_nc_u32_e32 v7, v5, v7
	v_dual_cndmask_b32 v5, v5, v7 :: v_dual_add_nc_u32 v8, v6, v8
	s_delay_alu instid0(VALU_DEP_1) | instskip(NEXT) | instid1(VALU_DEP_1)
	v_cndmask_b32_e64 v6, v6, v8, s0
	v_mov_b32_dpp v8, v6 row_shr:4 row_mask:0xf bank_mask:0xf
	s_delay_alu instid0(VALU_DEP_1) | instskip(NEXT) | instid1(VALU_DEP_1)
	v_add_nc_u32_e32 v8, v6, v8
	v_cndmask_b32_e64 v6, v6, v8, s3
	s_mov_b32 s3, exec_lo
	s_delay_alu instid0(VALU_DEP_1) | instskip(NEXT) | instid1(VALU_DEP_1)
	v_mov_b32_dpp v8, v6 row_shr:8 row_mask:0xf bank_mask:0xf
	v_add_nc_u32_e32 v8, v6, v8
	s_delay_alu instid0(VALU_DEP_1)
	v_cndmask_b32_e32 v7, v6, v8, vcc_lo
	ds_swizzle_b32 v6, v5 offset:swizzle(BROADCAST,32,15)
	v_cmp_eq_u32_e32 vcc_lo, 0, v85
	s_waitcnt lgkmcnt(0)
	v_add_nc_u32_e32 v6, v5, v6
	ds_swizzle_b32 v8, v7 offset:swizzle(BROADCAST,32,15)
	v_cndmask_b32_e32 v6, v6, v5, vcc_lo
	s_waitcnt lgkmcnt(0)
	v_add_nc_u32_e32 v8, v7, v8
	s_delay_alu instid0(VALU_DEP_1)
	v_cndmask_b32_e32 v5, v8, v7, vcc_lo
	v_cmpx_eq_u32_e64 v84, v0
	s_cbranch_execz .LBB359_93
; %bb.92:
	v_lshlrev_b32_e32 v7, 3, v83
	ds_store_b64 v7, v[5:6]
.LBB359_93:
	s_or_b32 exec_lo, exec_lo, s3
	s_delay_alu instid0(SALU_CYCLE_1)
	s_mov_b32 s3, exec_lo
	s_waitcnt lgkmcnt(0)
	s_barrier
	buffer_gl0_inv
	v_cmpx_gt_u32_e32 8, v0
	s_cbranch_execz .LBB359_95
; %bb.94:
	v_lshlrev_b32_e32 v9, 3, v0
	ds_load_b64 v[7:8], v9
	s_waitcnt lgkmcnt(0)
	v_mov_b32_dpp v22, v7 row_shr:1 row_mask:0xf bank_mask:0xf
	v_mov_b32_dpp v23, v8 row_shr:1 row_mask:0xf bank_mask:0xf
	s_delay_alu instid0(VALU_DEP_2) | instskip(SKIP_1) | instid1(VALU_DEP_3)
	v_add_nc_u32_e32 v22, v22, v7
	v_and_b32_e32 v24, 7, v82
	v_add_nc_u32_e32 v23, v23, v8
	s_delay_alu instid0(VALU_DEP_2) | instskip(NEXT) | instid1(VALU_DEP_2)
	v_cmp_eq_u32_e32 vcc_lo, 0, v24
	v_dual_cndmask_b32 v8, v23, v8 :: v_dual_cndmask_b32 v7, v22, v7
	v_cmp_lt_u32_e32 vcc_lo, 1, v24
	s_delay_alu instid0(VALU_DEP_2) | instskip(NEXT) | instid1(VALU_DEP_3)
	v_mov_b32_dpp v23, v8 row_shr:2 row_mask:0xf bank_mask:0xf
	v_mov_b32_dpp v22, v7 row_shr:2 row_mask:0xf bank_mask:0xf
	s_delay_alu instid0(VALU_DEP_2) | instskip(NEXT) | instid1(VALU_DEP_2)
	v_add_nc_u32_e32 v23, v8, v23
	v_add_nc_u32_e32 v22, v7, v22
	s_delay_alu instid0(VALU_DEP_1) | instskip(SKIP_1) | instid1(VALU_DEP_2)
	v_dual_cndmask_b32 v8, v8, v23 :: v_dual_cndmask_b32 v7, v7, v22
	v_cmp_lt_u32_e32 vcc_lo, 3, v24
	v_mov_b32_dpp v23, v8 row_shr:4 row_mask:0xf bank_mask:0xf
	s_delay_alu instid0(VALU_DEP_3) | instskip(NEXT) | instid1(VALU_DEP_1)
	v_mov_b32_dpp v22, v7 row_shr:4 row_mask:0xf bank_mask:0xf
	v_dual_cndmask_b32 v23, 0, v23 :: v_dual_cndmask_b32 v22, 0, v22
	s_delay_alu instid0(VALU_DEP_1) | instskip(NEXT) | instid1(VALU_DEP_2)
	v_add_nc_u32_e32 v8, v23, v8
	v_add_nc_u32_e32 v7, v22, v7
	ds_store_b64 v9, v[7:8]
.LBB359_95:
	s_or_b32 exec_lo, exec_lo, s3
	v_cmp_gt_u32_e32 vcc_lo, 32, v0
	v_cmp_lt_u32_e64 s3, 31, v0
	s_waitcnt lgkmcnt(0)
	s_barrier
	buffer_gl0_inv
                                        ; implicit-def: $vgpr23
	s_and_saveexec_b32 s5, s3
	s_delay_alu instid0(SALU_CYCLE_1)
	s_xor_b32 s3, exec_lo, s5
	s_cbranch_execz .LBB359_97
; %bb.96:
	v_lshl_add_u32 v7, v83, 3, -8
	ds_load_b64 v[22:23], v7
	s_waitcnt lgkmcnt(0)
	v_add_nc_u32_e32 v6, v23, v6
	v_add_nc_u32_e32 v5, v22, v5
.LBB359_97:
	s_and_not1_saveexec_b32 s3, s3
; %bb.98:
                                        ; implicit-def: $vgpr22
; %bb.99:
	s_delay_alu instid0(SALU_CYCLE_1) | instskip(SKIP_1) | instid1(VALU_DEP_1)
	s_or_b32 exec_lo, exec_lo, s3
	v_add_nc_u32_e32 v7, -1, v82
	v_cmp_gt_i32_e64 s3, 0, v7
	s_delay_alu instid0(VALU_DEP_1) | instskip(SKIP_1) | instid1(VALU_DEP_2)
	v_cndmask_b32_e64 v7, v7, v82, s3
	v_cmp_eq_u32_e64 s3, 0, v82
	v_lshlrev_b32_e32 v7, 2, v7
	ds_bpermute_b32 v89, v7, v5
	ds_bpermute_b32 v90, v7, v6
	s_and_saveexec_b32 s5, vcc_lo
	s_cbranch_execz .LBB359_117
; %bb.100:
	v_mov_b32_e32 v8, 0
	ds_load_b64 v[5:6], v8 offset:56
	s_waitcnt lgkmcnt(0)
	v_readfirstlane_b32 s6, v6
	s_and_saveexec_b32 s7, s3
	s_cbranch_execz .LBB359_102
; %bb.101:
	s_add_i32 s8, s26, 32
	s_mov_b32 s9, 0
	v_mov_b32_e32 v7, 1
	s_lshl_b64 s[10:11], s[8:9], 4
	s_mov_b32 s16, s9
	s_add_u32 s10, s36, s10
	s_addc_u32 s11, s37, s11
	s_and_b32 s17, s6, 0xff000000
	s_and_b32 s19, s6, 0xff0000
	s_mov_b32 s18, s9
	v_dual_mov_b32 v25, s11 :: v_dual_mov_b32 v24, s10
	s_or_b64 s[16:17], s[18:19], s[16:17]
	s_and_b32 s19, s6, 0xff00
	s_delay_alu instid0(SALU_CYCLE_1) | instskip(SKIP_1) | instid1(SALU_CYCLE_1)
	s_or_b64 s[16:17], s[16:17], s[18:19]
	s_and_b32 s19, s6, 0xff
	s_or_b64 s[8:9], s[16:17], s[18:19]
	s_delay_alu instid0(SALU_CYCLE_1)
	v_mov_b32_e32 v6, s9
	;;#ASMSTART
	global_store_dwordx4 v[24:25], v[5:8] off	
s_waitcnt vmcnt(0)
	;;#ASMEND
.LBB359_102:
	s_or_b32 exec_lo, exec_lo, s7
	v_xad_u32 v24, v82, -1, s26
	s_mov_b32 s8, 0
	s_mov_b32 s7, exec_lo
	s_delay_alu instid0(VALU_DEP_1) | instskip(NEXT) | instid1(VALU_DEP_1)
	v_add_nc_u32_e32 v7, 32, v24
	v_lshlrev_b64 v[6:7], 4, v[7:8]
	s_delay_alu instid0(VALU_DEP_1) | instskip(NEXT) | instid1(VALU_DEP_2)
	v_add_co_u32 v25, vcc_lo, s36, v6
	v_add_co_ci_u32_e32 v26, vcc_lo, s37, v7, vcc_lo
	;;#ASMSTART
	global_load_dwordx4 v[6:9], v[25:26] off glc	
s_waitcnt vmcnt(0)
	;;#ASMEND
	v_and_b32_e32 v9, 0xff, v7
	v_and_b32_e32 v27, 0xff00, v7
	v_or3_b32 v6, v6, 0, 0
	v_and_b32_e32 v28, 0xff000000, v7
	v_and_b32_e32 v7, 0xff0000, v7
	s_delay_alu instid0(VALU_DEP_4) | instskip(SKIP_2) | instid1(VALU_DEP_3)
	v_or3_b32 v9, 0, v9, v27
	v_and_b32_e32 v27, 0xff, v8
	v_or3_b32 v6, v6, 0, 0
	v_or3_b32 v7, v9, v7, v28
	s_delay_alu instid0(VALU_DEP_3)
	v_cmpx_eq_u16_e32 0, v27
	s_cbranch_execz .LBB359_105
.LBB359_103:                            ; =>This Inner Loop Header: Depth=1
	;;#ASMSTART
	global_load_dwordx4 v[6:9], v[25:26] off glc	
s_waitcnt vmcnt(0)
	;;#ASMEND
	v_and_b32_e32 v9, 0xff, v8
	s_delay_alu instid0(VALU_DEP_1) | instskip(SKIP_1) | instid1(SALU_CYCLE_1)
	v_cmp_ne_u16_e32 vcc_lo, 0, v9
	s_or_b32 s8, vcc_lo, s8
	s_and_not1_b32 exec_lo, exec_lo, s8
	s_cbranch_execnz .LBB359_103
; %bb.104:
	s_or_b32 exec_lo, exec_lo, s8
.LBB359_105:
	s_delay_alu instid0(SALU_CYCLE_1) | instskip(SKIP_3) | instid1(VALU_DEP_1)
	s_or_b32 exec_lo, exec_lo, s7
	v_cmp_ne_u32_e32 vcc_lo, 31, v82
	v_lshlrev_b32_e64 v92, v82, -1
	v_add_co_ci_u32_e32 v9, vcc_lo, 0, v82, vcc_lo
	v_lshlrev_b32_e32 v91, 2, v9
	ds_bpermute_b32 v25, v91, v7
	ds_bpermute_b32 v9, v91, v6
	s_waitcnt lgkmcnt(1)
	v_add_nc_u32_e32 v25, v25, v7
	v_and_b32_e32 v26, 0xff, v8
	s_waitcnt lgkmcnt(0)
	v_add_nc_u32_e32 v9, v9, v6
	s_delay_alu instid0(VALU_DEP_2) | instskip(SKIP_2) | instid1(VALU_DEP_2)
	v_cmp_eq_u16_e32 vcc_lo, 2, v26
	v_and_or_b32 v26, vcc_lo, v92, 0x80000000
	v_cmp_gt_u32_e32 vcc_lo, 30, v82
	v_ctz_i32_b32_e32 v26, v26
	v_cndmask_b32_e64 v27, 0, 1, vcc_lo
	s_delay_alu instid0(VALU_DEP_2) | instskip(NEXT) | instid1(VALU_DEP_2)
	v_cmp_lt_u32_e32 vcc_lo, v82, v26
	v_dual_cndmask_b32 v6, v6, v9 :: v_dual_lshlrev_b32 v27, 1, v27
	s_delay_alu instid0(VALU_DEP_1)
	v_add_lshl_u32 v93, v27, v82, 2
	v_cndmask_b32_e32 v7, v7, v25, vcc_lo
	v_cmp_gt_u32_e32 vcc_lo, 28, v82
	ds_bpermute_b32 v9, v93, v6
	ds_bpermute_b32 v25, v93, v7
	v_cndmask_b32_e64 v27, 0, 1, vcc_lo
	s_waitcnt lgkmcnt(1)
	v_add_nc_u32_e32 v9, v6, v9
	s_waitcnt lgkmcnt(0)
	v_add_nc_u32_e32 v25, v7, v25
	v_add_nc_u32_e32 v94, 2, v82
	s_delay_alu instid0(VALU_DEP_1) | instskip(NEXT) | instid1(VALU_DEP_3)
	v_cmp_gt_u32_e32 vcc_lo, v94, v26
	v_cndmask_b32_e32 v7, v25, v7, vcc_lo
	v_dual_cndmask_b32 v6, v9, v6 :: v_dual_lshlrev_b32 v27, 2, v27
	v_cmp_gt_u32_e32 vcc_lo, 24, v82
	s_delay_alu instid0(VALU_DEP_2) | instskip(SKIP_4) | instid1(VALU_DEP_1)
	v_add_lshl_u32 v95, v27, v82, 2
	v_cndmask_b32_e64 v27, 0, 1, vcc_lo
	ds_bpermute_b32 v25, v95, v7
	ds_bpermute_b32 v9, v95, v6
	v_lshlrev_b32_e32 v27, 3, v27
	v_add_lshl_u32 v97, v27, v82, 2
	s_waitcnt lgkmcnt(1)
	v_add_nc_u32_e32 v25, v7, v25
	v_add_nc_u32_e32 v96, 4, v82
	s_waitcnt lgkmcnt(0)
	v_add_nc_u32_e32 v9, v6, v9
	s_delay_alu instid0(VALU_DEP_2) | instskip(SKIP_1) | instid1(VALU_DEP_3)
	v_cmp_gt_u32_e32 vcc_lo, v96, v26
	v_cndmask_b32_e32 v7, v25, v7, vcc_lo
	v_cndmask_b32_e32 v6, v9, v6, vcc_lo
	v_cmp_gt_u32_e32 vcc_lo, 16, v82
	ds_bpermute_b32 v25, v97, v7
	ds_bpermute_b32 v9, v97, v6
	v_cndmask_b32_e64 v27, 0, 1, vcc_lo
	s_delay_alu instid0(VALU_DEP_1) | instskip(NEXT) | instid1(VALU_DEP_1)
	v_lshlrev_b32_e32 v27, 4, v27
	v_add_lshl_u32 v99, v27, v82, 2
	s_waitcnt lgkmcnt(1)
	v_add_nc_u32_e32 v25, v7, v25
	v_add_nc_u32_e32 v98, 8, v82
	s_waitcnt lgkmcnt(0)
	v_add_nc_u32_e32 v9, v6, v9
	s_delay_alu instid0(VALU_DEP_2) | instskip(SKIP_1) | instid1(VALU_DEP_3)
	v_cmp_gt_u32_e32 vcc_lo, v98, v26
	v_cndmask_b32_e32 v7, v25, v7, vcc_lo
	v_cndmask_b32_e32 v6, v9, v6, vcc_lo
	ds_bpermute_b32 v25, v99, v7
	ds_bpermute_b32 v9, v99, v6
	v_add_nc_u32_e32 v100, 16, v82
	s_delay_alu instid0(VALU_DEP_1) | instskip(SKIP_2) | instid1(VALU_DEP_1)
	v_cmp_le_u32_e32 vcc_lo, v100, v26
	s_waitcnt lgkmcnt(0)
	v_cndmask_b32_e32 v9, 0, v9, vcc_lo
	v_dual_cndmask_b32 v25, 0, v25 :: v_dual_add_nc_u32 v6, v9, v6
	s_delay_alu instid0(VALU_DEP_1)
	v_add_nc_u32_e32 v7, v25, v7
	v_mov_b32_e32 v25, 0
	s_branch .LBB359_107
.LBB359_106:                            ;   in Loop: Header=BB359_107 Depth=1
	s_or_b32 exec_lo, exec_lo, s7
	ds_bpermute_b32 v9, v91, v6
	ds_bpermute_b32 v28, v91, v7
	v_subrev_nc_u32_e32 v24, 32, v24
	s_waitcnt lgkmcnt(1)
	v_add_nc_u32_e32 v9, v9, v6
	v_and_b32_e32 v29, 0xff, v8
	s_waitcnt lgkmcnt(0)
	v_add_nc_u32_e32 v28, v28, v7
	s_delay_alu instid0(VALU_DEP_2) | instskip(SKIP_1) | instid1(VALU_DEP_1)
	v_cmp_eq_u16_e32 vcc_lo, 2, v29
	v_and_or_b32 v29, vcc_lo, v92, 0x80000000
	v_ctz_i32_b32_e32 v29, v29
	s_delay_alu instid0(VALU_DEP_1)
	v_cmp_lt_u32_e32 vcc_lo, v82, v29
	v_cndmask_b32_e32 v6, v6, v9, vcc_lo
	ds_bpermute_b32 v9, v93, v6
	s_waitcnt lgkmcnt(0)
	v_add_nc_u32_e32 v9, v6, v9
	v_cndmask_b32_e32 v7, v7, v28, vcc_lo
	v_cmp_gt_u32_e32 vcc_lo, v94, v29
	s_delay_alu instid0(VALU_DEP_3)
	v_cndmask_b32_e32 v6, v9, v6, vcc_lo
	ds_bpermute_b32 v28, v93, v7
	ds_bpermute_b32 v9, v95, v6
	s_waitcnt lgkmcnt(1)
	v_add_nc_u32_e32 v28, v7, v28
	s_waitcnt lgkmcnt(0)
	v_add_nc_u32_e32 v9, v6, v9
	s_delay_alu instid0(VALU_DEP_2) | instskip(SKIP_1) | instid1(VALU_DEP_3)
	v_cndmask_b32_e32 v7, v28, v7, vcc_lo
	v_cmp_gt_u32_e32 vcc_lo, v96, v29
	v_cndmask_b32_e32 v6, v9, v6, vcc_lo
	ds_bpermute_b32 v28, v95, v7
	ds_bpermute_b32 v9, v97, v6
	s_waitcnt lgkmcnt(1)
	v_add_nc_u32_e32 v28, v7, v28
	s_waitcnt lgkmcnt(0)
	v_add_nc_u32_e32 v9, v6, v9
	s_delay_alu instid0(VALU_DEP_2) | instskip(SKIP_1) | instid1(VALU_DEP_3)
	v_cndmask_b32_e32 v7, v28, v7, vcc_lo
	v_cmp_gt_u32_e32 vcc_lo, v98, v29
	v_cndmask_b32_e32 v6, v9, v6, vcc_lo
	ds_bpermute_b32 v28, v97, v7
	ds_bpermute_b32 v9, v99, v6
	s_waitcnt lgkmcnt(1)
	v_add_nc_u32_e32 v28, v7, v28
	s_delay_alu instid0(VALU_DEP_1) | instskip(SKIP_4) | instid1(VALU_DEP_1)
	v_cndmask_b32_e32 v7, v28, v7, vcc_lo
	v_cmp_le_u32_e32 vcc_lo, v100, v29
	ds_bpermute_b32 v28, v99, v7
	s_waitcnt lgkmcnt(1)
	v_cndmask_b32_e32 v9, 0, v9, vcc_lo
	v_add3_u32 v6, v6, v26, v9
	s_waitcnt lgkmcnt(0)
	v_cndmask_b32_e32 v28, 0, v28, vcc_lo
	s_delay_alu instid0(VALU_DEP_1)
	v_add3_u32 v7, v7, v27, v28
.LBB359_107:                            ; =>This Loop Header: Depth=1
                                        ;     Child Loop BB359_110 Depth 2
	s_delay_alu instid0(VALU_DEP_1) | instskip(SKIP_1) | instid1(VALU_DEP_2)
	v_dual_mov_b32 v27, v7 :: v_dual_and_b32 v8, 0xff, v8
	v_mov_b32_e32 v26, v6
	v_cmp_ne_u16_e32 vcc_lo, 2, v8
	v_cndmask_b32_e64 v8, 0, 1, vcc_lo
	;;#ASMSTART
	;;#ASMEND
	s_delay_alu instid0(VALU_DEP_1)
	v_cmp_ne_u32_e32 vcc_lo, 0, v8
	s_cmp_lg_u32 vcc_lo, exec_lo
	s_cbranch_scc1 .LBB359_112
; %bb.108:                              ;   in Loop: Header=BB359_107 Depth=1
	v_lshlrev_b64 v[6:7], 4, v[24:25]
	s_mov_b32 s7, exec_lo
	s_delay_alu instid0(VALU_DEP_1) | instskip(NEXT) | instid1(VALU_DEP_2)
	v_add_co_u32 v28, vcc_lo, s36, v6
	v_add_co_ci_u32_e32 v29, vcc_lo, s37, v7, vcc_lo
	;;#ASMSTART
	global_load_dwordx4 v[6:9], v[28:29] off glc	
s_waitcnt vmcnt(0)
	;;#ASMEND
	v_and_b32_e32 v9, 0xff, v7
	v_and_b32_e32 v101, 0xff00, v7
	v_or3_b32 v6, v6, 0, 0
	v_and_b32_e32 v102, 0xff000000, v7
	v_and_b32_e32 v7, 0xff0000, v7
	s_delay_alu instid0(VALU_DEP_4) | instskip(SKIP_2) | instid1(VALU_DEP_3)
	v_or3_b32 v9, 0, v9, v101
	v_and_b32_e32 v101, 0xff, v8
	v_or3_b32 v6, v6, 0, 0
	v_or3_b32 v7, v9, v7, v102
	s_delay_alu instid0(VALU_DEP_3)
	v_cmpx_eq_u16_e32 0, v101
	s_cbranch_execz .LBB359_106
; %bb.109:                              ;   in Loop: Header=BB359_107 Depth=1
	s_mov_b32 s8, 0
.LBB359_110:                            ;   Parent Loop BB359_107 Depth=1
                                        ; =>  This Inner Loop Header: Depth=2
	;;#ASMSTART
	global_load_dwordx4 v[6:9], v[28:29] off glc	
s_waitcnt vmcnt(0)
	;;#ASMEND
	v_and_b32_e32 v9, 0xff, v8
	s_delay_alu instid0(VALU_DEP_1) | instskip(SKIP_1) | instid1(SALU_CYCLE_1)
	v_cmp_ne_u16_e32 vcc_lo, 0, v9
	s_or_b32 s8, vcc_lo, s8
	s_and_not1_b32 exec_lo, exec_lo, s8
	s_cbranch_execnz .LBB359_110
; %bb.111:                              ;   in Loop: Header=BB359_107 Depth=1
	s_or_b32 exec_lo, exec_lo, s8
	s_branch .LBB359_106
.LBB359_112:                            ;   in Loop: Header=BB359_107 Depth=1
                                        ; implicit-def: $vgpr8
                                        ; implicit-def: $vgpr6_vgpr7
	s_cbranch_execz .LBB359_107
; %bb.113:
	s_and_saveexec_b32 s7, s3
	s_cbranch_execnz .LBB359_356
; %bb.114:
	s_or_b32 exec_lo, exec_lo, s7
	s_and_saveexec_b32 s7, s3
	s_cbranch_execnz .LBB359_357
.LBB359_115:
	s_or_b32 exec_lo, exec_lo, s7
	s_delay_alu instid0(SALU_CYCLE_1)
	s_and_b32 exec_lo, exec_lo, s2
	s_cbranch_execz .LBB359_117
.LBB359_116:
	v_mov_b32_e32 v5, 0
	ds_store_b64 v5, v[26:27] offset:56
.LBB359_117:
	s_or_b32 exec_lo, exec_lo, s5
	s_waitcnt lgkmcnt(1)
	v_cndmask_b32_e64 v22, v89, v22, s3
	v_mov_b32_e32 v5, 0
	s_waitcnt lgkmcnt(0)
	s_barrier
	buffer_gl0_inv
	v_add_nc_u32_e64 v7, 0x3400, 0
	ds_load_b64 v[24:25], v5 offset:56
	s_waitcnt lgkmcnt(0)
	s_barrier
	buffer_gl0_inv
	ds_load_2addr_b32 v[5:6], v7 offset1:2
	ds_load_2addr_b32 v[7:8], v7 offset0:4 offset1:6
	v_cndmask_b32_e64 v9, v90, v23, s3
	v_add_nc_u32_e32 v22, v24, v22
	s_delay_alu instid0(VALU_DEP_2) | instskip(NEXT) | instid1(VALU_DEP_2)
	v_add_nc_u32_e32 v9, v25, v9
	v_cndmask_b32_e64 v22, v22, v24, s2
	s_delay_alu instid0(VALU_DEP_2)
	v_cndmask_b32_e64 v9, v9, v25, s2
	s_branch .LBB359_128
.LBB359_118:
                                        ; implicit-def: $vgpr9
                                        ; implicit-def: $vgpr7
                                        ; implicit-def: $vgpr5
                                        ; implicit-def: $vgpr22_vgpr23
	s_and_b32 vcc_lo, exec_lo, s5
	s_cbranch_vccz .LBB359_128
; %bb.119:
	s_waitcnt lgkmcnt(1)
	v_mov_b32_dpp v6, v88 row_shr:1 row_mask:0xf bank_mask:0xf
	v_cmp_lt_u32_e32 vcc_lo, 3, v86
	v_mov_b32_dpp v5, v87 row_shr:1 row_mask:0xf bank_mask:0xf
	s_delay_alu instid0(VALU_DEP_3) | instskip(NEXT) | instid1(VALU_DEP_1)
	v_add_nc_u32_e32 v6, v6, v88
	v_cndmask_b32_e64 v6, v6, v88, s1
	s_waitcnt lgkmcnt(0)
	s_delay_alu instid0(VALU_DEP_1) | instskip(NEXT) | instid1(VALU_DEP_1)
	v_mov_b32_dpp v8, v6 row_shr:2 row_mask:0xf bank_mask:0xf
	v_add_nc_u32_e32 v8, v6, v8
	s_delay_alu instid0(VALU_DEP_1) | instskip(NEXT) | instid1(VALU_DEP_1)
	v_cndmask_b32_e64 v6, v6, v8, s0
	v_mov_b32_dpp v8, v6 row_shr:4 row_mask:0xf bank_mask:0xf
	s_delay_alu instid0(VALU_DEP_1) | instskip(NEXT) | instid1(VALU_DEP_1)
	v_add_nc_u32_e32 v8, v6, v8
	v_dual_cndmask_b32 v6, v6, v8 :: v_dual_add_nc_u32 v5, v5, v87
	s_delay_alu instid0(VALU_DEP_1) | instskip(NEXT) | instid1(VALU_DEP_2)
	v_cndmask_b32_e64 v5, v5, v87, s1
	v_mov_b32_dpp v8, v6 row_shr:8 row_mask:0xf bank_mask:0xf
	s_delay_alu instid0(VALU_DEP_2) | instskip(NEXT) | instid1(VALU_DEP_2)
	v_mov_b32_dpp v7, v5 row_shr:2 row_mask:0xf bank_mask:0xf
	v_add_nc_u32_e32 v8, v6, v8
	s_delay_alu instid0(VALU_DEP_2) | instskip(NEXT) | instid1(VALU_DEP_1)
	v_add_nc_u32_e32 v7, v5, v7
	v_cndmask_b32_e64 v5, v5, v7, s0
	s_mov_b32 s0, exec_lo
	s_delay_alu instid0(VALU_DEP_1) | instskip(NEXT) | instid1(VALU_DEP_1)
	v_mov_b32_dpp v7, v5 row_shr:4 row_mask:0xf bank_mask:0xf
	v_add_nc_u32_e32 v7, v5, v7
	s_delay_alu instid0(VALU_DEP_1) | instskip(SKIP_1) | instid1(VALU_DEP_2)
	v_cndmask_b32_e32 v5, v5, v7, vcc_lo
	v_cmp_lt_u32_e32 vcc_lo, 7, v86
	v_mov_b32_dpp v7, v5 row_shr:8 row_mask:0xf bank_mask:0xf
	s_delay_alu instid0(VALU_DEP_1) | instskip(NEXT) | instid1(VALU_DEP_1)
	v_dual_cndmask_b32 v6, v6, v8 :: v_dual_add_nc_u32 v7, v5, v7
	v_cndmask_b32_e32 v5, v5, v7, vcc_lo
	ds_swizzle_b32 v7, v6 offset:swizzle(BROADCAST,32,15)
	v_cmp_eq_u32_e32 vcc_lo, 0, v85
	ds_swizzle_b32 v8, v5 offset:swizzle(BROADCAST,32,15)
	s_waitcnt lgkmcnt(1)
	v_add_nc_u32_e32 v7, v6, v7
	s_waitcnt lgkmcnt(0)
	v_add_nc_u32_e32 v8, v5, v8
	s_delay_alu instid0(VALU_DEP_1)
	v_dual_cndmask_b32 v6, v7, v6 :: v_dual_cndmask_b32 v5, v8, v5
	v_cmpx_eq_u32_e64 v84, v0
	s_cbranch_execz .LBB359_121
; %bb.120:
	v_lshlrev_b32_e32 v7, 3, v83
	ds_store_b64 v7, v[5:6]
.LBB359_121:
	s_or_b32 exec_lo, exec_lo, s0
	s_delay_alu instid0(SALU_CYCLE_1)
	s_mov_b32 s0, exec_lo
	s_waitcnt lgkmcnt(0)
	s_barrier
	buffer_gl0_inv
	v_cmpx_gt_u32_e32 8, v0
	s_cbranch_execz .LBB359_123
; %bb.122:
	v_lshlrev_b32_e32 v9, 3, v0
	ds_load_b64 v[7:8], v9
	s_waitcnt lgkmcnt(0)
	v_mov_b32_dpp v22, v7 row_shr:1 row_mask:0xf bank_mask:0xf
	v_mov_b32_dpp v23, v8 row_shr:1 row_mask:0xf bank_mask:0xf
	s_delay_alu instid0(VALU_DEP_2) | instskip(SKIP_1) | instid1(VALU_DEP_3)
	v_add_nc_u32_e32 v22, v22, v7
	v_and_b32_e32 v24, 7, v82
	v_add_nc_u32_e32 v23, v23, v8
	s_delay_alu instid0(VALU_DEP_2) | instskip(NEXT) | instid1(VALU_DEP_2)
	v_cmp_eq_u32_e32 vcc_lo, 0, v24
	v_dual_cndmask_b32 v8, v23, v8 :: v_dual_cndmask_b32 v7, v22, v7
	v_cmp_lt_u32_e32 vcc_lo, 1, v24
	s_delay_alu instid0(VALU_DEP_2) | instskip(NEXT) | instid1(VALU_DEP_3)
	v_mov_b32_dpp v23, v8 row_shr:2 row_mask:0xf bank_mask:0xf
	v_mov_b32_dpp v22, v7 row_shr:2 row_mask:0xf bank_mask:0xf
	s_delay_alu instid0(VALU_DEP_2) | instskip(NEXT) | instid1(VALU_DEP_2)
	v_add_nc_u32_e32 v23, v8, v23
	v_add_nc_u32_e32 v22, v7, v22
	s_delay_alu instid0(VALU_DEP_1) | instskip(SKIP_1) | instid1(VALU_DEP_2)
	v_dual_cndmask_b32 v8, v8, v23 :: v_dual_cndmask_b32 v7, v7, v22
	v_cmp_lt_u32_e32 vcc_lo, 3, v24
	v_mov_b32_dpp v23, v8 row_shr:4 row_mask:0xf bank_mask:0xf
	s_delay_alu instid0(VALU_DEP_3) | instskip(NEXT) | instid1(VALU_DEP_1)
	v_mov_b32_dpp v22, v7 row_shr:4 row_mask:0xf bank_mask:0xf
	v_dual_cndmask_b32 v23, 0, v23 :: v_dual_cndmask_b32 v22, 0, v22
	s_delay_alu instid0(VALU_DEP_1) | instskip(NEXT) | instid1(VALU_DEP_2)
	v_add_nc_u32_e32 v8, v23, v8
	v_add_nc_u32_e32 v7, v22, v7
	ds_store_b64 v9, v[7:8]
.LBB359_123:
	s_or_b32 exec_lo, exec_lo, s0
	v_dual_mov_b32 v7, 0 :: v_dual_mov_b32 v22, 0
	v_mov_b32_e32 v23, 0
	s_mov_b32 s0, exec_lo
	s_waitcnt lgkmcnt(0)
	s_barrier
	buffer_gl0_inv
	v_cmpx_lt_u32_e32 31, v0
	s_cbranch_execz .LBB359_125
; %bb.124:
	v_lshl_add_u32 v8, v83, 3, -8
	ds_load_b64 v[22:23], v8
.LBB359_125:
	s_or_b32 exec_lo, exec_lo, s0
	v_add_nc_u32_e32 v8, -1, v82
	s_waitcnt lgkmcnt(0)
	v_add_nc_u32_e32 v24, v23, v6
	v_add_nc_u32_e32 v9, v22, v5
	ds_load_b64 v[5:6], v7 offset:56
	v_cmp_gt_i32_e32 vcc_lo, 0, v8
	v_cndmask_b32_e32 v8, v8, v82, vcc_lo
	s_delay_alu instid0(VALU_DEP_1)
	v_lshlrev_b32_e32 v8, 2, v8
	ds_bpermute_b32 v9, v8, v9
	ds_bpermute_b32 v24, v8, v24
	s_waitcnt lgkmcnt(2)
	v_readfirstlane_b32 s0, v6
	s_and_saveexec_b32 s1, s2
	s_cbranch_execz .LBB359_127
; %bb.126:
	s_mov_b32 s8, 0
	s_add_u32 s6, s36, 0x200
	s_addc_u32 s7, s37, 0
	s_and_b32 s9, s0, 0xff000000
	s_and_b32 s11, s0, 0xff0000
	s_mov_b32 s10, s8
	v_mov_b32_e32 v26, s7
	s_or_b64 s[10:11], s[10:11], s[8:9]
	s_and_b32 s9, s0, 0xff00
	v_dual_mov_b32 v8, 0 :: v_dual_mov_b32 v25, s6
	s_or_b64 s[10:11], s[10:11], s[8:9]
	s_and_b32 s9, s0, 0xff
	v_mov_b32_e32 v7, 2
	s_or_b64 s[8:9], s[10:11], s[8:9]
	s_delay_alu instid0(SALU_CYCLE_1)
	v_mov_b32_e32 v6, s9
	;;#ASMSTART
	global_store_dwordx4 v[25:26], v[5:8] off	
s_waitcnt vmcnt(0)
	;;#ASMEND
.LBB359_127:
	s_or_b32 exec_lo, exec_lo, s1
	v_cmp_eq_u32_e32 vcc_lo, 0, v82
	v_dual_mov_b32 v7, 0 :: v_dual_mov_b32 v6, s0
	s_waitcnt lgkmcnt(0)
	s_barrier
	v_dual_cndmask_b32 v8, v9, v22 :: v_dual_cndmask_b32 v9, v24, v23
	buffer_gl0_inv
	v_cndmask_b32_e64 v22, v8, 0, s2
	v_cndmask_b32_e64 v9, v9, 0, s2
	v_mov_b32_e32 v8, 0
.LBB359_128:
	s_delay_alu instid0(VALU_DEP_1) | instskip(SKIP_1) | instid1(VALU_DEP_2)
	v_add_nc_u32_e32 v24, v9, v81
	s_waitcnt lgkmcnt(0)
	v_sub_nc_u32_e32 v9, v9, v8
	v_add_co_u32 v1, vcc_lo, v1, v7
	v_and_b32_e32 v35, 1, v35
	v_add_nc_u32_e32 v26, v24, v77
	v_sub_nc_u32_e32 v24, v24, v8
	v_lshlrev_b32_e32 v77, 1, v5
	v_add_nc_u32_e32 v9, v9, v5
	v_add_co_ci_u32_e32 v2, vcc_lo, 0, v2, vcc_lo
	v_add_nc_u32_e32 v28, v26, v79
	s_delay_alu instid0(VALU_DEP_4)
	v_add3_u32 v33, v77, v6, v33
	v_and_b32_e32 v40, 1, v40
	v_and_b32_e32 v37, 1, v37
	;; [unrolled: 1-line block ×3, first 2 shown]
	v_add_nc_u32_e32 v29, v28, v75
	v_sub_nc_u32_e32 v28, v28, v8
	v_sub_co_u32 v75, vcc_lo, v3, v5
	s_add_u32 s1, s14, -4
	s_delay_alu instid0(VALU_DEP_3) | instskip(SKIP_4) | instid1(VALU_DEP_3)
	v_add_nc_u32_e32 v73, v29, v73
	v_sub_nc_u32_e32 v29, v29, v8
	v_add_nc_u32_e32 v28, v28, v5
	v_add_nc_u32_e32 v24, v24, v5
	s_mov_b32 s3, -1
	v_add_nc_u32_e32 v29, v29, v5
	v_add_nc_u32_e32 v23, v22, v80
	v_sub_nc_u32_e32 v22, v22, v7
	s_delay_alu instid0(VALU_DEP_2) | instskip(SKIP_3) | instid1(VALU_DEP_3)
	v_add_nc_u32_e32 v25, v23, v76
	v_sub_nc_u32_e32 v23, v23, v7
	v_subrev_co_ci_u32_e32 v76, vcc_lo, 0, v4, vcc_lo
	v_cmp_eq_u32_e32 vcc_lo, 1, v35
	v_add_nc_u32_e32 v79, v24, v23
	s_delay_alu instid0(VALU_DEP_1) | instskip(NEXT) | instid1(VALU_DEP_1)
	v_sub_nc_u32_e32 v79, v33, v79
	v_add_nc_u32_e32 v79, 1, v79
	v_add_nc_u32_e32 v27, v25, v78
	;; [unrolled: 1-line block ×3, first 2 shown]
	s_delay_alu instid0(VALU_DEP_1) | instskip(NEXT) | instid1(VALU_DEP_1)
	v_sub_nc_u32_e32 v78, v33, v78
	v_dual_cndmask_b32 v9, v78, v9 :: v_dual_and_b32 v34, 1, v34
	v_cmp_eq_u32_e32 vcc_lo, 1, v40
	v_cndmask_b32_e32 v24, v79, v24, vcc_lo
	s_delay_alu instid0(VALU_DEP_3) | instskip(NEXT) | instid1(VALU_DEP_4)
	v_cmp_eq_u32_e32 vcc_lo, 1, v34
	v_cndmask_b32_e32 v9, v9, v22, vcc_lo
	v_sub_nc_u32_e32 v26, v26, v8
	v_cmp_eq_u32_e32 vcc_lo, 1, v37
	v_and_b32_e32 v37, 1, v38
	s_delay_alu instid0(VALU_DEP_4) | instskip(NEXT) | instid1(VALU_DEP_4)
	v_lshlrev_b32_e32 v9, 2, v9
	v_add_nc_u32_e32 v26, v26, v5
	v_cndmask_b32_e32 v24, v24, v23, vcc_lo
	v_sub_nc_u32_e32 v25, v25, v7
	v_add_co_u32 v22, vcc_lo, v75, v8
	v_add_co_ci_u32_e32 v23, vcc_lo, 0, v76, vcc_lo
	s_delay_alu instid0(VALU_DEP_3)
	v_add_nc_u32_e32 v34, v26, v25
	v_cmp_eq_u32_e32 vcc_lo, 1, v37
	v_lshlrev_b32_e32 v24, 2, v24
	ds_store_b32 v9, v20
	v_sub_nc_u32_e32 v34, v33, v34
	ds_store_b32 v24, v21
	v_and_b32_e32 v24, 1, v39
	v_add_nc_u32_e32 v34, 2, v34
	s_delay_alu instid0(VALU_DEP_1) | instskip(SKIP_3) | instid1(VALU_DEP_4)
	v_cndmask_b32_e32 v26, v34, v26, vcc_lo
	v_cmp_eq_u32_e32 vcc_lo, 1, v36
	v_add_nc_u32_e32 v74, v27, v74
	v_sub_nc_u32_e32 v27, v27, v7
	v_cndmask_b32_e32 v25, v26, v25, vcc_lo
	s_delay_alu instid0(VALU_DEP_3) | instskip(NEXT) | instid1(VALU_DEP_3)
	v_sub_nc_u32_e32 v37, v74, v7
	v_add_nc_u32_e32 v34, v27, v28
	v_cmp_eq_u32_e32 vcc_lo, 1, v24
	v_sub_nc_u32_e32 v26, v73, v8
	v_lshlrev_b32_e32 v21, 2, v25
	v_and_b32_e32 v25, 1, v41
	v_sub_nc_u32_e32 v9, v33, v34
	v_add_nc_u32_e32 v20, v37, v29
	v_and_b32_e32 v24, 1, v42
	v_add_nc_u32_e32 v26, v26, v5
	ds_store_b32 v21, v18
	v_add_nc_u32_e32 v9, 3, v9
	v_sub_nc_u32_e32 v20, v33, v20
	s_delay_alu instid0(VALU_DEP_2) | instskip(SKIP_2) | instid1(VALU_DEP_4)
	v_cndmask_b32_e32 v9, v9, v28, vcc_lo
	v_cmp_eq_u32_e32 vcc_lo, 1, v25
	v_add_nc_u32_e32 v72, v74, v72
	v_add_nc_u32_e32 v20, 4, v20
	v_and_b32_e32 v25, 1, v43
	v_cndmask_b32_e32 v9, v9, v27, vcc_lo
	s_delay_alu instid0(VALU_DEP_4)
	v_sub_nc_u32_e32 v28, v72, v7
	v_cmp_eq_u32_e32 vcc_lo, 1, v24
	v_and_b32_e32 v24, 1, v44
	v_add_nc_u32_e32 v70, v72, v70
	v_lshlrev_b32_e32 v9, 2, v9
	v_add_nc_u32_e32 v27, v28, v26
	v_cndmask_b32_e32 v20, v20, v29, vcc_lo
	v_cmp_eq_u32_e32 vcc_lo, 1, v25
	v_and_b32_e32 v25, 1, v45
	v_add_nc_u32_e32 v64, v70, v64
	v_sub_nc_u32_e32 v18, v33, v27
	v_sub_nc_u32_e32 v27, v70, v7
	v_cndmask_b32_e32 v20, v20, v37, vcc_lo
	v_cmp_eq_u32_e32 vcc_lo, 1, v24
	ds_store_b32 v9, v19
	v_add_nc_u32_e32 v18, 5, v18
	v_and_b32_e32 v19, 1, v46
	v_lshlrev_b32_e32 v20, 2, v20
	v_add_nc_u32_e32 v68, v64, v68
	s_delay_alu instid0(VALU_DEP_4)
	v_cndmask_b32_e32 v18, v18, v26, vcc_lo
	v_cmp_eq_u32_e32 vcc_lo, 1, v25
	v_sub_nc_u32_e32 v25, v64, v7
	ds_store_b32 v20, v16
	v_and_b32_e32 v20, 1, v49
	v_add_nc_u32_e32 v66, v68, v66
	v_dual_cndmask_b32 v18, v18, v28 :: v_dual_add_nc_u32 v71, v73, v71
	v_cmp_eq_u32_e32 vcc_lo, 1, v19
	v_and_b32_e32 v19, 1, v48
	s_delay_alu instid0(VALU_DEP_4) | instskip(NEXT) | instid1(VALU_DEP_4)
	v_add_nc_u32_e32 v61, v66, v61
	v_lshlrev_b32_e32 v18, 2, v18
	v_add_nc_u32_e32 v65, v71, v65
	v_sub_nc_u32_e32 v21, v71, v8
	s_delay_alu instid0(VALU_DEP_4)
	v_add_nc_u32_e32 v60, v61, v60
	ds_store_b32 v18, v17
	v_sub_nc_u32_e32 v24, v65, v8
	v_add_nc_u32_e32 v21, v21, v5
	v_add_nc_u32_e32 v69, v65, v69
	v_and_b32_e32 v17, 1, v47
	s_delay_alu instid0(VALU_DEP_4) | instskip(NEXT) | instid1(VALU_DEP_4)
	v_add_nc_u32_e32 v24, v24, v5
	v_add_nc_u32_e32 v26, v27, v21
	s_delay_alu instid0(VALU_DEP_4) | instskip(NEXT) | instid1(VALU_DEP_3)
	v_sub_nc_u32_e32 v18, v69, v8
	v_add_nc_u32_e32 v16, v25, v24
	s_delay_alu instid0(VALU_DEP_3) | instskip(NEXT) | instid1(VALU_DEP_3)
	v_sub_nc_u32_e32 v9, v33, v26
	v_add_nc_u32_e32 v18, v18, v5
	v_sub_nc_u32_e32 v26, v60, v7
	s_delay_alu instid0(VALU_DEP_4) | instskip(NEXT) | instid1(VALU_DEP_4)
	v_sub_nc_u32_e32 v16, v33, v16
	v_add_nc_u32_e32 v9, 6, v9
	s_delay_alu instid0(VALU_DEP_1) | instskip(SKIP_2) | instid1(VALU_DEP_3)
	v_dual_cndmask_b32 v9, v9, v21 :: v_dual_add_nc_u32 v16, 7, v16
	v_cmp_eq_u32_e32 vcc_lo, 1, v19
	v_sub_nc_u32_e32 v21, v68, v7
	v_cndmask_b32_e32 v16, v16, v24, vcc_lo
	v_cmp_eq_u32_e32 vcc_lo, 1, v17
	s_delay_alu instid0(VALU_DEP_3) | instskip(SKIP_3) | instid1(VALU_DEP_4)
	v_add_nc_u32_e32 v17, v21, v18
	v_cndmask_b32_e32 v9, v9, v27, vcc_lo
	v_cmp_eq_u32_e32 vcc_lo, 1, v20
	v_add_nc_u32_e32 v67, v69, v67
	v_sub_nc_u32_e32 v17, v33, v17
	v_sub_nc_u32_e32 v20, v66, v7
	v_lshlrev_b32_e32 v9, 2, v9
	v_cndmask_b32_e32 v16, v16, v25, vcc_lo
	v_sub_nc_u32_e32 v19, v67, v8
	v_add_nc_u32_e32 v62, v67, v62
	v_sub_nc_u32_e32 v25, v61, v7
	ds_store_b32 v9, v14
	v_and_b32_e32 v9, 1, v50
	v_add_nc_u32_e32 v19, v19, v5
	v_add_nc_u32_e32 v14, 8, v17
	v_lshlrev_b32_e32 v16, 2, v16
	v_add_nc_u32_e32 v63, v62, v63
	v_cmp_eq_u32_e32 vcc_lo, 1, v9
	v_add_nc_u32_e32 v17, v20, v19
	ds_store_b32 v16, v15
	v_and_b32_e32 v15, 1, v51
	v_cndmask_b32_e32 v9, v14, v18, vcc_lo
	v_sub_nc_u32_e32 v14, v33, v17
	v_and_b32_e32 v18, 1, v52
	v_sub_nc_u32_e32 v17, v62, v8
	v_and_b32_e32 v16, 1, v54
	v_sub_nc_u32_e32 v24, v63, v8
	v_add_nc_u32_e32 v14, 9, v14
	v_cmp_eq_u32_e32 vcc_lo, 1, v18
	v_add_nc_u32_e32 v17, v17, v5
	v_add_nc_u32_e32 v35, v63, v59
	;; [unrolled: 1-line block ×3, first 2 shown]
	v_cndmask_b32_e32 v14, v14, v19, vcc_lo
	v_cmp_eq_u32_e32 vcc_lo, 1, v15
	v_add_nc_u32_e32 v15, v25, v17
	s_delay_alu instid0(VALU_DEP_4)
	v_add_nc_u32_e32 v18, v26, v24
	v_and_b32_e32 v19, 1, v55
	v_cndmask_b32_e32 v9, v9, v21, vcc_lo
	v_cmp_eq_u32_e32 vcc_lo, 1, v16
	v_sub_nc_u32_e32 v15, v33, v15
	v_sub_nc_u32_e32 v18, v33, v18
	v_and_b32_e32 v21, 1, v57
	v_sub_nc_u32_e32 v16, v35, v8
	v_cndmask_b32_e32 v14, v14, v20, vcc_lo
	v_and_b32_e32 v20, 1, v53
	v_add_nc_u32_e32 v15, 10, v15
	v_add_nc_u32_e32 v18, 11, v18
	;; [unrolled: 1-line block ×3, first 2 shown]
	v_lshlrev_b32_e32 v9, 2, v9
	v_cmp_eq_u32_e32 vcc_lo, 1, v20
	v_dual_cndmask_b32 v15, v15, v17 :: v_dual_lshlrev_b32 v14, 2, v14
	v_cmp_eq_u32_e32 vcc_lo, 1, v21
	v_and_b32_e32 v17, 1, v56
	v_cndmask_b32_e32 v18, v18, v24, vcc_lo
	v_cmp_eq_u32_e32 vcc_lo, 1, v19
	v_cndmask_b32_e32 v15, v15, v25, vcc_lo
	s_delay_alu instid0(VALU_DEP_4) | instskip(NEXT) | instid1(VALU_DEP_2)
	v_cmp_eq_u32_e32 vcc_lo, 1, v17
	v_lshlrev_b32_e32 v15, 2, v15
	v_cndmask_b32_e32 v17, v18, v26, vcc_lo
	v_add_nc_u32_e32 v40, v60, v58
	s_delay_alu instid0(VALU_DEP_2) | instskip(NEXT) | instid1(VALU_DEP_2)
	v_lshlrev_b32_e32 v17, 2, v17
	v_sub_nc_u32_e32 v7, v40, v7
	ds_store_b32 v9, v12
	ds_store_b32 v14, v13
	;; [unrolled: 1-line block ×4, first 2 shown]
	v_add_co_u32 v9, s0, v6, v77
	s_delay_alu instid0(VALU_DEP_1) | instskip(SKIP_1) | instid1(VALU_DEP_3)
	v_add_co_ci_u32_e64 v10, null, 0, 0, s0
	v_add_nc_u32_e32 v27, v7, v16
	v_add_co_u32 v9, vcc_lo, v9, v22
	s_delay_alu instid0(VALU_DEP_3) | instskip(NEXT) | instid1(VALU_DEP_3)
	v_add_co_ci_u32_e32 v10, vcc_lo, v10, v23, vcc_lo
	v_sub_nc_u32_e32 v20, v33, v27
	v_add_co_u32 v11, s0, s34, v30
	s_delay_alu instid0(VALU_DEP_4) | instskip(NEXT) | instid1(VALU_DEP_3)
	v_add_co_u32 v9, vcc_lo, v9, v1
	v_add_nc_u32_e32 v18, 12, v20
	v_add_co_ci_u32_e64 v12, null, s35, 0, s0
	v_add_co_ci_u32_e32 v10, vcc_lo, v10, v2, vcc_lo
	s_delay_alu instid0(VALU_DEP_3) | instskip(SKIP_1) | instid1(VALU_DEP_2)
	v_cndmask_b32_e64 v16, v18, v16, s33
	v_add_nc_u32_e32 v14, v5, v6
	v_cndmask_b32_e64 v7, v16, v7, s27
	s_delay_alu instid0(VALU_DEP_1)
	v_lshlrev_b32_e32 v7, 2, v7
	ds_store_b32 v7, v32
	v_sub_co_u32 v7, vcc_lo, v11, v9
	v_sub_co_ci_u32_e32 v13, vcc_lo, v12, v10, vcc_lo
	v_lshlrev_b64 v[9:10], 2, v[22:23]
	v_lshlrev_b64 v[11:12], 2, v[1:2]
	s_waitcnt lgkmcnt(0)
	s_barrier
	buffer_gl0_inv
	v_add_co_u32 v9, vcc_lo, s30, v9
	v_add_co_ci_u32_e32 v10, vcc_lo, s31, v10, vcc_lo
	v_cmp_ne_u32_e32 vcc_lo, 1, v31
	v_add_co_u32 v11, s0, s28, v11
	s_delay_alu instid0(VALU_DEP_1)
	v_add_co_ci_u32_e64 v12, s0, s29, v12, s0
	s_addc_u32 s0, s15, -1
	s_cbranch_vccz .LBB359_132
; %bb.129:
	s_and_b32 vcc_lo, exec_lo, s3
	s_cbranch_vccnz .LBB359_237
.LBB359_130:
	s_and_b32 s0, s2, s13
	s_delay_alu instid0(SALU_CYCLE_1)
	s_and_saveexec_b32 s1, s0
	s_cbranch_execnz .LBB359_355
.LBB359_131:
	s_nop 0
	s_sendmsg sendmsg(MSG_DEALLOC_VGPRS)
	s_endpgm
.LBB359_132:
	s_mov_b32 s3, exec_lo
	v_cmpx_le_u32_e64 v5, v0
	s_xor_b32 s3, exec_lo, s3
	s_cbranch_execz .LBB359_138
; %bb.133:
	s_mov_b32 s5, exec_lo
	v_cmpx_le_u32_e64 v14, v0
	s_xor_b32 s5, exec_lo, s5
	s_cbranch_execz .LBB359_135
; %bb.134:
	v_lshlrev_b32_e32 v15, 2, v0
	ds_load_b32 v17, v15
	v_add_co_u32 v15, vcc_lo, v7, v0
	v_add_co_ci_u32_e32 v16, vcc_lo, 0, v13, vcc_lo
	s_delay_alu instid0(VALU_DEP_1) | instskip(NEXT) | instid1(VALU_DEP_1)
	v_lshlrev_b64 v[15:16], 2, v[15:16]
	v_sub_co_u32 v15, vcc_lo, s14, v15
	s_delay_alu instid0(VALU_DEP_2)
	v_sub_co_ci_u32_e32 v16, vcc_lo, s15, v16, vcc_lo
	s_waitcnt lgkmcnt(0)
	global_store_b32 v[15:16], v17, off offset:-4
.LBB359_135:
	s_and_not1_saveexec_b32 s5, s5
	s_cbranch_execz .LBB359_137
; %bb.136:
	v_lshlrev_b32_e32 v15, 2, v0
	v_readfirstlane_b32 s6, v9
	v_readfirstlane_b32 s7, v10
	ds_load_b32 v16, v15
	s_waitcnt lgkmcnt(0)
	global_store_b32 v15, v16, s[6:7]
.LBB359_137:
	s_or_b32 exec_lo, exec_lo, s5
.LBB359_138:
	s_and_not1_saveexec_b32 s3, s3
	s_cbranch_execz .LBB359_140
; %bb.139:
	v_lshlrev_b32_e32 v15, 2, v0
	v_readfirstlane_b32 s6, v11
	v_readfirstlane_b32 s7, v12
	ds_load_b32 v16, v15
	s_waitcnt lgkmcnt(0)
	global_store_b32 v15, v16, s[6:7]
.LBB359_140:
	s_or_b32 exec_lo, exec_lo, s3
	v_or_b32_e32 v15, 0x100, v0
	s_mov_b32 s3, exec_lo
	s_delay_alu instid0(VALU_DEP_1)
	v_cmpx_le_u32_e64 v5, v15
	s_xor_b32 s3, exec_lo, s3
	s_cbranch_execz .LBB359_146
; %bb.141:
	s_mov_b32 s5, exec_lo
	v_cmpx_le_u32_e64 v14, v15
	s_xor_b32 s5, exec_lo, s5
	s_cbranch_execz .LBB359_143
; %bb.142:
	v_lshlrev_b32_e32 v15, 2, v0
	ds_load_b32 v17, v15 offset:1024
	v_add_co_u32 v15, vcc_lo, v7, v0
	v_add_co_ci_u32_e32 v16, vcc_lo, 0, v13, vcc_lo
	s_delay_alu instid0(VALU_DEP_1) | instskip(NEXT) | instid1(VALU_DEP_1)
	v_lshlrev_b64 v[15:16], 2, v[15:16]
	v_sub_co_u32 v15, vcc_lo, s1, v15
	s_delay_alu instid0(VALU_DEP_2)
	v_sub_co_ci_u32_e32 v16, vcc_lo, s0, v16, vcc_lo
	s_waitcnt lgkmcnt(0)
	global_store_b32 v[15:16], v17, off offset:-1024
.LBB359_143:
	s_and_not1_saveexec_b32 s5, s5
	s_cbranch_execz .LBB359_145
; %bb.144:
	v_lshlrev_b32_e32 v15, 2, v0
	v_readfirstlane_b32 s6, v9
	v_readfirstlane_b32 s7, v10
	ds_load_b32 v16, v15 offset:1024
	s_waitcnt lgkmcnt(0)
	global_store_b32 v15, v16, s[6:7] offset:1024
.LBB359_145:
	s_or_b32 exec_lo, exec_lo, s5
.LBB359_146:
	s_and_not1_saveexec_b32 s3, s3
	s_cbranch_execz .LBB359_148
; %bb.147:
	v_lshlrev_b32_e32 v15, 2, v0
	v_readfirstlane_b32 s6, v11
	v_readfirstlane_b32 s7, v12
	ds_load_b32 v16, v15 offset:1024
	s_waitcnt lgkmcnt(0)
	global_store_b32 v15, v16, s[6:7] offset:1024
.LBB359_148:
	s_or_b32 exec_lo, exec_lo, s3
	v_or_b32_e32 v15, 0x200, v0
	s_mov_b32 s3, exec_lo
	s_delay_alu instid0(VALU_DEP_1)
	v_cmpx_le_u32_e64 v5, v15
	s_xor_b32 s3, exec_lo, s3
	s_cbranch_execz .LBB359_154
; %bb.149:
	s_mov_b32 s5, exec_lo
	v_cmpx_le_u32_e64 v14, v15
	s_xor_b32 s5, exec_lo, s5
	s_cbranch_execz .LBB359_151
; %bb.150:
	v_lshlrev_b32_e32 v15, 2, v0
	ds_load_b32 v17, v15 offset:2048
	v_add_co_u32 v15, vcc_lo, v7, v0
	v_add_co_ci_u32_e32 v16, vcc_lo, 0, v13, vcc_lo
	s_delay_alu instid0(VALU_DEP_1) | instskip(NEXT) | instid1(VALU_DEP_1)
	v_lshlrev_b64 v[15:16], 2, v[15:16]
	v_sub_co_u32 v15, vcc_lo, s1, v15
	s_delay_alu instid0(VALU_DEP_2)
	v_sub_co_ci_u32_e32 v16, vcc_lo, s0, v16, vcc_lo
	s_waitcnt lgkmcnt(0)
	global_store_b32 v[15:16], v17, off offset:-2048
.LBB359_151:
	s_and_not1_saveexec_b32 s5, s5
	s_cbranch_execz .LBB359_153
; %bb.152:
	v_lshlrev_b32_e32 v15, 2, v0
	v_readfirstlane_b32 s6, v9
	v_readfirstlane_b32 s7, v10
	ds_load_b32 v16, v15 offset:2048
	s_waitcnt lgkmcnt(0)
	global_store_b32 v15, v16, s[6:7] offset:2048
.LBB359_153:
	s_or_b32 exec_lo, exec_lo, s5
.LBB359_154:
	s_and_not1_saveexec_b32 s3, s3
	s_cbranch_execz .LBB359_156
; %bb.155:
	v_lshlrev_b32_e32 v15, 2, v0
	v_readfirstlane_b32 s6, v11
	v_readfirstlane_b32 s7, v12
	ds_load_b32 v16, v15 offset:2048
	s_waitcnt lgkmcnt(0)
	global_store_b32 v15, v16, s[6:7] offset:2048
.LBB359_156:
	;; [unrolled: 47-line block ×3, first 2 shown]
	s_or_b32 exec_lo, exec_lo, s3
	v_or_b32_e32 v15, 0x400, v0
	s_mov_b32 s3, exec_lo
	s_delay_alu instid0(VALU_DEP_1)
	v_cmpx_le_u32_e64 v5, v15
	s_xor_b32 s3, exec_lo, s3
	s_cbranch_execz .LBB359_170
; %bb.165:
	s_mov_b32 s5, exec_lo
	v_cmpx_le_u32_e64 v14, v15
	s_xor_b32 s5, exec_lo, s5
	s_cbranch_execz .LBB359_167
; %bb.166:
	v_lshlrev_b32_e32 v15, 2, v0
	ds_load_b32 v17, v15 offset:4096
	v_add_co_u32 v15, vcc_lo, v7, v0
	v_add_co_ci_u32_e32 v16, vcc_lo, 0, v13, vcc_lo
	s_delay_alu instid0(VALU_DEP_1) | instskip(NEXT) | instid1(VALU_DEP_1)
	v_lshlrev_b64 v[15:16], 2, v[15:16]
	v_sub_co_u32 v15, vcc_lo, s1, v15
	s_delay_alu instid0(VALU_DEP_2)
	v_sub_co_ci_u32_e32 v16, vcc_lo, s0, v16, vcc_lo
	s_waitcnt lgkmcnt(0)
	global_store_b32 v[15:16], v17, off offset:-4096
                                        ; implicit-def: $vgpr15
.LBB359_167:
	s_and_not1_saveexec_b32 s5, s5
	s_cbranch_execz .LBB359_169
; %bb.168:
	v_lshlrev_b32_e32 v16, 2, v0
	v_lshlrev_b32_e32 v15, 2, v15
	v_readfirstlane_b32 s6, v9
	v_readfirstlane_b32 s7, v10
	ds_load_b32 v16, v16 offset:4096
	s_waitcnt lgkmcnt(0)
	global_store_b32 v15, v16, s[6:7]
.LBB359_169:
	s_or_b32 exec_lo, exec_lo, s5
                                        ; implicit-def: $vgpr15
.LBB359_170:
	s_and_not1_saveexec_b32 s3, s3
	s_cbranch_execz .LBB359_172
; %bb.171:
	v_lshlrev_b32_e32 v16, 2, v0
	v_lshlrev_b32_e32 v15, 2, v15
	v_readfirstlane_b32 s6, v11
	v_readfirstlane_b32 s7, v12
	ds_load_b32 v16, v16 offset:4096
	s_waitcnt lgkmcnt(0)
	global_store_b32 v15, v16, s[6:7]
.LBB359_172:
	s_or_b32 exec_lo, exec_lo, s3
	v_or_b32_e32 v15, 0x500, v0
	s_mov_b32 s3, exec_lo
	s_delay_alu instid0(VALU_DEP_1)
	v_cmpx_le_u32_e64 v5, v15
	s_xor_b32 s3, exec_lo, s3
	s_cbranch_execz .LBB359_178
; %bb.173:
	s_mov_b32 s5, exec_lo
	v_cmpx_le_u32_e64 v14, v15
	s_xor_b32 s5, exec_lo, s5
	s_cbranch_execz .LBB359_175
; %bb.174:
	v_lshlrev_b32_e32 v16, 2, v0
	v_add_co_u32 v15, vcc_lo, v7, v15
	ds_load_b32 v17, v16 offset:5120
	v_add_co_ci_u32_e32 v16, vcc_lo, 0, v13, vcc_lo
	s_delay_alu instid0(VALU_DEP_1) | instskip(NEXT) | instid1(VALU_DEP_1)
	v_lshlrev_b64 v[15:16], 2, v[15:16]
	v_sub_co_u32 v15, vcc_lo, s1, v15
	s_delay_alu instid0(VALU_DEP_2)
	v_sub_co_ci_u32_e32 v16, vcc_lo, s0, v16, vcc_lo
	s_waitcnt lgkmcnt(0)
	global_store_b32 v[15:16], v17, off
                                        ; implicit-def: $vgpr15
.LBB359_175:
	s_and_not1_saveexec_b32 s5, s5
	s_cbranch_execz .LBB359_177
; %bb.176:
	v_lshlrev_b32_e32 v16, 2, v0
	v_lshlrev_b32_e32 v15, 2, v15
	v_readfirstlane_b32 s6, v9
	v_readfirstlane_b32 s7, v10
	ds_load_b32 v16, v16 offset:5120
	s_waitcnt lgkmcnt(0)
	global_store_b32 v15, v16, s[6:7]
.LBB359_177:
	s_or_b32 exec_lo, exec_lo, s5
                                        ; implicit-def: $vgpr15
.LBB359_178:
	s_and_not1_saveexec_b32 s3, s3
	s_cbranch_execz .LBB359_180
; %bb.179:
	v_lshlrev_b32_e32 v16, 2, v0
	v_lshlrev_b32_e32 v15, 2, v15
	v_readfirstlane_b32 s6, v11
	v_readfirstlane_b32 s7, v12
	ds_load_b32 v16, v16 offset:5120
	s_waitcnt lgkmcnt(0)
	global_store_b32 v15, v16, s[6:7]
.LBB359_180:
	s_or_b32 exec_lo, exec_lo, s3
	v_or_b32_e32 v15, 0x600, v0
	s_mov_b32 s3, exec_lo
	s_delay_alu instid0(VALU_DEP_1)
	v_cmpx_le_u32_e64 v5, v15
	s_xor_b32 s3, exec_lo, s3
	s_cbranch_execz .LBB359_186
; %bb.181:
	s_mov_b32 s5, exec_lo
	v_cmpx_le_u32_e64 v14, v15
	s_xor_b32 s5, exec_lo, s5
	s_cbranch_execz .LBB359_183
; %bb.182:
	v_lshlrev_b32_e32 v16, 2, v0
	v_add_co_u32 v15, vcc_lo, v7, v15
	ds_load_b32 v17, v16 offset:6144
	v_add_co_ci_u32_e32 v16, vcc_lo, 0, v13, vcc_lo
	s_delay_alu instid0(VALU_DEP_1) | instskip(NEXT) | instid1(VALU_DEP_1)
	v_lshlrev_b64 v[15:16], 2, v[15:16]
	v_sub_co_u32 v15, vcc_lo, s1, v15
	s_delay_alu instid0(VALU_DEP_2)
	v_sub_co_ci_u32_e32 v16, vcc_lo, s0, v16, vcc_lo
	s_waitcnt lgkmcnt(0)
	global_store_b32 v[15:16], v17, off
                                        ; implicit-def: $vgpr15
.LBB359_183:
	s_and_not1_saveexec_b32 s5, s5
	s_cbranch_execz .LBB359_185
; %bb.184:
	v_lshlrev_b32_e32 v16, 2, v0
	v_lshlrev_b32_e32 v15, 2, v15
	v_readfirstlane_b32 s6, v9
	v_readfirstlane_b32 s7, v10
	ds_load_b32 v16, v16 offset:6144
	s_waitcnt lgkmcnt(0)
	global_store_b32 v15, v16, s[6:7]
.LBB359_185:
	s_or_b32 exec_lo, exec_lo, s5
                                        ; implicit-def: $vgpr15
.LBB359_186:
	;; [unrolled: 51-line block ×8, first 2 shown]
	s_and_not1_saveexec_b32 s3, s3
	s_cbranch_execz .LBB359_236
; %bb.235:
	v_lshlrev_b32_e32 v16, 2, v0
	v_lshlrev_b32_e32 v15, 2, v15
	v_readfirstlane_b32 s6, v11
	v_readfirstlane_b32 s7, v12
	ds_load_b32 v16, v16 offset:12288
	s_waitcnt lgkmcnt(0)
	global_store_b32 v15, v16, s[6:7]
.LBB359_236:
	s_or_b32 exec_lo, exec_lo, s3
	s_branch .LBB359_130
.LBB359_237:
	s_mov_b32 s3, exec_lo
	v_cmpx_gt_u32_e64 s4, v0
	s_cbranch_execz .LBB359_246
; %bb.238:
	s_mov_b32 s5, exec_lo
	v_cmpx_le_u32_e64 v5, v0
	s_xor_b32 s5, exec_lo, s5
	s_cbranch_execz .LBB359_244
; %bb.239:
	s_mov_b32 s6, exec_lo
	v_cmpx_le_u32_e64 v14, v0
	s_xor_b32 s6, exec_lo, s6
	s_cbranch_execz .LBB359_241
; %bb.240:
	v_lshlrev_b32_e32 v15, 2, v0
	ds_load_b32 v17, v15
	v_add_co_u32 v15, vcc_lo, v7, v0
	v_add_co_ci_u32_e32 v16, vcc_lo, 0, v13, vcc_lo
	s_delay_alu instid0(VALU_DEP_1) | instskip(NEXT) | instid1(VALU_DEP_1)
	v_lshlrev_b64 v[15:16], 2, v[15:16]
	v_sub_co_u32 v15, vcc_lo, s14, v15
	s_delay_alu instid0(VALU_DEP_2)
	v_sub_co_ci_u32_e32 v16, vcc_lo, s15, v16, vcc_lo
	s_waitcnt lgkmcnt(0)
	global_store_b32 v[15:16], v17, off offset:-4
.LBB359_241:
	s_and_not1_saveexec_b32 s6, s6
	s_cbranch_execz .LBB359_243
; %bb.242:
	v_lshlrev_b32_e32 v15, 2, v0
	v_readfirstlane_b32 s8, v9
	v_readfirstlane_b32 s9, v10
	ds_load_b32 v16, v15
	s_waitcnt lgkmcnt(0)
	global_store_b32 v15, v16, s[8:9]
.LBB359_243:
	s_or_b32 exec_lo, exec_lo, s6
.LBB359_244:
	s_and_not1_saveexec_b32 s5, s5
	s_cbranch_execz .LBB359_246
; %bb.245:
	v_lshlrev_b32_e32 v15, 2, v0
	v_readfirstlane_b32 s6, v11
	v_readfirstlane_b32 s7, v12
	ds_load_b32 v16, v15
	s_waitcnt lgkmcnt(0)
	global_store_b32 v15, v16, s[6:7]
.LBB359_246:
	s_or_b32 exec_lo, exec_lo, s3
	v_or_b32_e32 v15, 0x100, v0
	s_mov_b32 s3, exec_lo
	s_delay_alu instid0(VALU_DEP_1)
	v_cmpx_gt_u32_e64 s4, v15
	s_cbranch_execz .LBB359_255
; %bb.247:
	s_mov_b32 s5, exec_lo
	v_cmpx_le_u32_e64 v5, v15
	s_xor_b32 s5, exec_lo, s5
	s_cbranch_execz .LBB359_253
; %bb.248:
	s_mov_b32 s6, exec_lo
	v_cmpx_le_u32_e64 v14, v15
	s_xor_b32 s6, exec_lo, s6
	s_cbranch_execz .LBB359_250
; %bb.249:
	v_lshlrev_b32_e32 v15, 2, v0
	ds_load_b32 v17, v15 offset:1024
	v_add_co_u32 v15, vcc_lo, v7, v0
	v_add_co_ci_u32_e32 v16, vcc_lo, 0, v13, vcc_lo
	s_delay_alu instid0(VALU_DEP_1) | instskip(NEXT) | instid1(VALU_DEP_1)
	v_lshlrev_b64 v[15:16], 2, v[15:16]
	v_sub_co_u32 v15, vcc_lo, s1, v15
	s_delay_alu instid0(VALU_DEP_2)
	v_sub_co_ci_u32_e32 v16, vcc_lo, s0, v16, vcc_lo
	s_waitcnt lgkmcnt(0)
	global_store_b32 v[15:16], v17, off offset:-1024
.LBB359_250:
	s_and_not1_saveexec_b32 s6, s6
	s_cbranch_execz .LBB359_252
; %bb.251:
	v_lshlrev_b32_e32 v15, 2, v0
	v_readfirstlane_b32 s8, v9
	v_readfirstlane_b32 s9, v10
	ds_load_b32 v16, v15 offset:1024
	s_waitcnt lgkmcnt(0)
	global_store_b32 v15, v16, s[8:9] offset:1024
.LBB359_252:
	s_or_b32 exec_lo, exec_lo, s6
.LBB359_253:
	s_and_not1_saveexec_b32 s5, s5
	s_cbranch_execz .LBB359_255
; %bb.254:
	v_lshlrev_b32_e32 v15, 2, v0
	v_readfirstlane_b32 s6, v11
	v_readfirstlane_b32 s7, v12
	ds_load_b32 v16, v15 offset:1024
	s_waitcnt lgkmcnt(0)
	global_store_b32 v15, v16, s[6:7] offset:1024
.LBB359_255:
	s_or_b32 exec_lo, exec_lo, s3
	v_or_b32_e32 v15, 0x200, v0
	s_mov_b32 s3, exec_lo
	s_delay_alu instid0(VALU_DEP_1)
	v_cmpx_gt_u32_e64 s4, v15
	s_cbranch_execz .LBB359_264
; %bb.256:
	s_mov_b32 s5, exec_lo
	v_cmpx_le_u32_e64 v5, v15
	s_xor_b32 s5, exec_lo, s5
	s_cbranch_execz .LBB359_262
; %bb.257:
	s_mov_b32 s6, exec_lo
	v_cmpx_le_u32_e64 v14, v15
	s_xor_b32 s6, exec_lo, s6
	s_cbranch_execz .LBB359_259
; %bb.258:
	v_lshlrev_b32_e32 v15, 2, v0
	ds_load_b32 v17, v15 offset:2048
	v_add_co_u32 v15, vcc_lo, v7, v0
	v_add_co_ci_u32_e32 v16, vcc_lo, 0, v13, vcc_lo
	s_delay_alu instid0(VALU_DEP_1) | instskip(NEXT) | instid1(VALU_DEP_1)
	v_lshlrev_b64 v[15:16], 2, v[15:16]
	v_sub_co_u32 v15, vcc_lo, s1, v15
	s_delay_alu instid0(VALU_DEP_2)
	v_sub_co_ci_u32_e32 v16, vcc_lo, s0, v16, vcc_lo
	s_waitcnt lgkmcnt(0)
	global_store_b32 v[15:16], v17, off offset:-2048
.LBB359_259:
	s_and_not1_saveexec_b32 s6, s6
	s_cbranch_execz .LBB359_261
; %bb.260:
	v_lshlrev_b32_e32 v15, 2, v0
	v_readfirstlane_b32 s8, v9
	v_readfirstlane_b32 s9, v10
	ds_load_b32 v16, v15 offset:2048
	s_waitcnt lgkmcnt(0)
	global_store_b32 v15, v16, s[8:9] offset:2048
.LBB359_261:
	s_or_b32 exec_lo, exec_lo, s6
.LBB359_262:
	s_and_not1_saveexec_b32 s5, s5
	s_cbranch_execz .LBB359_264
; %bb.263:
	v_lshlrev_b32_e32 v15, 2, v0
	v_readfirstlane_b32 s6, v11
	v_readfirstlane_b32 s7, v12
	ds_load_b32 v16, v15 offset:2048
	s_waitcnt lgkmcnt(0)
	global_store_b32 v15, v16, s[6:7] offset:2048
.LBB359_264:
	;; [unrolled: 51-line block ×3, first 2 shown]
	s_or_b32 exec_lo, exec_lo, s3
	v_or_b32_e32 v15, 0x400, v0
	s_mov_b32 s3, exec_lo
	s_delay_alu instid0(VALU_DEP_1)
	v_cmpx_gt_u32_e64 s4, v15
	s_cbranch_execz .LBB359_282
; %bb.274:
	s_mov_b32 s5, exec_lo
	v_cmpx_le_u32_e64 v5, v15
	s_xor_b32 s5, exec_lo, s5
	s_cbranch_execz .LBB359_280
; %bb.275:
	s_mov_b32 s6, exec_lo
	v_cmpx_le_u32_e64 v14, v15
	s_xor_b32 s6, exec_lo, s6
	s_cbranch_execz .LBB359_277
; %bb.276:
	v_lshlrev_b32_e32 v15, 2, v0
	ds_load_b32 v17, v15 offset:4096
	v_add_co_u32 v15, vcc_lo, v7, v0
	v_add_co_ci_u32_e32 v16, vcc_lo, 0, v13, vcc_lo
	s_delay_alu instid0(VALU_DEP_1) | instskip(NEXT) | instid1(VALU_DEP_1)
	v_lshlrev_b64 v[15:16], 2, v[15:16]
	v_sub_co_u32 v15, vcc_lo, s1, v15
	s_delay_alu instid0(VALU_DEP_2)
	v_sub_co_ci_u32_e32 v16, vcc_lo, s0, v16, vcc_lo
	s_waitcnt lgkmcnt(0)
	global_store_b32 v[15:16], v17, off offset:-4096
                                        ; implicit-def: $vgpr15
.LBB359_277:
	s_and_not1_saveexec_b32 s6, s6
	s_cbranch_execz .LBB359_279
; %bb.278:
	v_lshlrev_b32_e32 v16, 2, v0
	v_lshlrev_b32_e32 v15, 2, v15
	v_readfirstlane_b32 s8, v9
	v_readfirstlane_b32 s9, v10
	ds_load_b32 v16, v16 offset:4096
	s_waitcnt lgkmcnt(0)
	global_store_b32 v15, v16, s[8:9]
.LBB359_279:
	s_or_b32 exec_lo, exec_lo, s6
                                        ; implicit-def: $vgpr15
.LBB359_280:
	s_and_not1_saveexec_b32 s5, s5
	s_cbranch_execz .LBB359_282
; %bb.281:
	v_lshlrev_b32_e32 v16, 2, v0
	v_lshlrev_b32_e32 v15, 2, v15
	v_readfirstlane_b32 s6, v11
	v_readfirstlane_b32 s7, v12
	ds_load_b32 v16, v16 offset:4096
	s_waitcnt lgkmcnt(0)
	global_store_b32 v15, v16, s[6:7]
.LBB359_282:
	s_or_b32 exec_lo, exec_lo, s3
	v_or_b32_e32 v15, 0x500, v0
	s_mov_b32 s3, exec_lo
	s_delay_alu instid0(VALU_DEP_1)
	v_cmpx_gt_u32_e64 s4, v15
	s_cbranch_execz .LBB359_291
; %bb.283:
	s_mov_b32 s5, exec_lo
	v_cmpx_le_u32_e64 v5, v15
	s_xor_b32 s5, exec_lo, s5
	s_cbranch_execz .LBB359_289
; %bb.284:
	s_mov_b32 s6, exec_lo
	v_cmpx_le_u32_e64 v14, v15
	s_xor_b32 s6, exec_lo, s6
	s_cbranch_execz .LBB359_286
; %bb.285:
	v_lshlrev_b32_e32 v16, 2, v0
	v_add_co_u32 v15, vcc_lo, v7, v15
	ds_load_b32 v17, v16 offset:5120
	v_add_co_ci_u32_e32 v16, vcc_lo, 0, v13, vcc_lo
	s_delay_alu instid0(VALU_DEP_1) | instskip(NEXT) | instid1(VALU_DEP_1)
	v_lshlrev_b64 v[15:16], 2, v[15:16]
	v_sub_co_u32 v15, vcc_lo, s1, v15
	s_delay_alu instid0(VALU_DEP_2)
	v_sub_co_ci_u32_e32 v16, vcc_lo, s0, v16, vcc_lo
	s_waitcnt lgkmcnt(0)
	global_store_b32 v[15:16], v17, off
                                        ; implicit-def: $vgpr15
.LBB359_286:
	s_and_not1_saveexec_b32 s6, s6
	s_cbranch_execz .LBB359_288
; %bb.287:
	v_lshlrev_b32_e32 v16, 2, v0
	v_lshlrev_b32_e32 v15, 2, v15
	v_readfirstlane_b32 s8, v9
	v_readfirstlane_b32 s9, v10
	ds_load_b32 v16, v16 offset:5120
	s_waitcnt lgkmcnt(0)
	global_store_b32 v15, v16, s[8:9]
.LBB359_288:
	s_or_b32 exec_lo, exec_lo, s6
                                        ; implicit-def: $vgpr15
.LBB359_289:
	s_and_not1_saveexec_b32 s5, s5
	s_cbranch_execz .LBB359_291
; %bb.290:
	v_lshlrev_b32_e32 v16, 2, v0
	v_lshlrev_b32_e32 v15, 2, v15
	v_readfirstlane_b32 s6, v11
	v_readfirstlane_b32 s7, v12
	ds_load_b32 v16, v16 offset:5120
	s_waitcnt lgkmcnt(0)
	global_store_b32 v15, v16, s[6:7]
.LBB359_291:
	s_or_b32 exec_lo, exec_lo, s3
	v_or_b32_e32 v15, 0x600, v0
	s_mov_b32 s3, exec_lo
	s_delay_alu instid0(VALU_DEP_1)
	v_cmpx_gt_u32_e64 s4, v15
	s_cbranch_execz .LBB359_300
; %bb.292:
	s_mov_b32 s5, exec_lo
	v_cmpx_le_u32_e64 v5, v15
	s_xor_b32 s5, exec_lo, s5
	s_cbranch_execz .LBB359_298
; %bb.293:
	s_mov_b32 s6, exec_lo
	v_cmpx_le_u32_e64 v14, v15
	s_xor_b32 s6, exec_lo, s6
	s_cbranch_execz .LBB359_295
; %bb.294:
	v_lshlrev_b32_e32 v16, 2, v0
	v_add_co_u32 v15, vcc_lo, v7, v15
	ds_load_b32 v17, v16 offset:6144
	v_add_co_ci_u32_e32 v16, vcc_lo, 0, v13, vcc_lo
	s_delay_alu instid0(VALU_DEP_1) | instskip(NEXT) | instid1(VALU_DEP_1)
	v_lshlrev_b64 v[15:16], 2, v[15:16]
	v_sub_co_u32 v15, vcc_lo, s1, v15
	s_delay_alu instid0(VALU_DEP_2)
	v_sub_co_ci_u32_e32 v16, vcc_lo, s0, v16, vcc_lo
	s_waitcnt lgkmcnt(0)
	global_store_b32 v[15:16], v17, off
                                        ; implicit-def: $vgpr15
.LBB359_295:
	s_and_not1_saveexec_b32 s6, s6
	s_cbranch_execz .LBB359_297
; %bb.296:
	v_lshlrev_b32_e32 v16, 2, v0
	v_lshlrev_b32_e32 v15, 2, v15
	v_readfirstlane_b32 s8, v9
	v_readfirstlane_b32 s9, v10
	ds_load_b32 v16, v16 offset:6144
	s_waitcnt lgkmcnt(0)
	global_store_b32 v15, v16, s[8:9]
.LBB359_297:
	s_or_b32 exec_lo, exec_lo, s6
                                        ; implicit-def: $vgpr15
.LBB359_298:
	s_and_not1_saveexec_b32 s5, s5
	s_cbranch_execz .LBB359_300
; %bb.299:
	v_lshlrev_b32_e32 v16, 2, v0
	v_lshlrev_b32_e32 v15, 2, v15
	v_readfirstlane_b32 s6, v11
	v_readfirstlane_b32 s7, v12
	ds_load_b32 v16, v16 offset:6144
	s_waitcnt lgkmcnt(0)
	global_store_b32 v15, v16, s[6:7]
.LBB359_300:
	;; [unrolled: 55-line block ×7, first 2 shown]
	s_or_b32 exec_lo, exec_lo, s3
	v_or_b32_e32 v15, 0xc00, v0
	s_mov_b32 s3, exec_lo
	s_delay_alu instid0(VALU_DEP_1)
	v_cmpx_gt_u32_e64 s4, v15
	s_cbranch_execz .LBB359_354
; %bb.346:
	s_mov_b32 s4, exec_lo
	v_cmpx_le_u32_e64 v5, v15
	s_xor_b32 s4, exec_lo, s4
	s_cbranch_execz .LBB359_352
; %bb.347:
	s_mov_b32 s5, exec_lo
	v_cmpx_le_u32_e64 v14, v15
	s_xor_b32 s5, exec_lo, s5
	s_cbranch_execz .LBB359_349
; %bb.348:
	v_lshlrev_b32_e32 v0, 2, v0
	v_add_co_u32 v9, vcc_lo, v7, v15
	v_add_co_ci_u32_e32 v10, vcc_lo, 0, v13, vcc_lo
	ds_load_b32 v0, v0 offset:12288
                                        ; implicit-def: $vgpr15
	v_lshlrev_b64 v[9:10], 2, v[9:10]
	s_delay_alu instid0(VALU_DEP_1) | instskip(NEXT) | instid1(VALU_DEP_2)
	v_sub_co_u32 v9, vcc_lo, s1, v9
	v_sub_co_ci_u32_e32 v10, vcc_lo, s0, v10, vcc_lo
	s_waitcnt lgkmcnt(0)
	global_store_b32 v[9:10], v0, off
                                        ; implicit-def: $vgpr0
                                        ; implicit-def: $vgpr9_vgpr10
.LBB359_349:
	s_and_not1_saveexec_b32 s0, s5
	s_cbranch_execz .LBB359_351
; %bb.350:
	v_lshlrev_b32_e32 v0, 2, v0
	v_lshlrev_b32_e32 v7, 2, v15
	v_readfirstlane_b32 s6, v9
	v_readfirstlane_b32 s7, v10
	ds_load_b32 v0, v0 offset:12288
	s_waitcnt lgkmcnt(0)
	global_store_b32 v7, v0, s[6:7]
.LBB359_351:
	s_or_b32 exec_lo, exec_lo, s0
                                        ; implicit-def: $vgpr0
                                        ; implicit-def: $vgpr15
                                        ; implicit-def: $vgpr11_vgpr12
.LBB359_352:
	s_and_not1_saveexec_b32 s0, s4
	s_cbranch_execz .LBB359_354
; %bb.353:
	v_lshlrev_b32_e32 v0, 2, v0
	v_lshlrev_b32_e32 v7, 2, v15
	v_readfirstlane_b32 s0, v11
	v_readfirstlane_b32 s1, v12
	ds_load_b32 v0, v0 offset:12288
	s_waitcnt lgkmcnt(0)
	global_store_b32 v7, v0, s[0:1]
.LBB359_354:
	s_or_b32 exec_lo, exec_lo, s3
	s_and_b32 s0, s2, s13
	s_delay_alu instid0(SALU_CYCLE_1)
	s_and_saveexec_b32 s1, s0
	s_cbranch_execz .LBB359_131
.LBB359_355:
	v_add_co_u32 v3, vcc_lo, v3, v6
	v_add_co_ci_u32_e32 v4, vcc_lo, 0, v4, vcc_lo
	v_add_co_u32 v0, vcc_lo, v1, v5
	v_add_co_ci_u32_e32 v1, vcc_lo, 0, v2, vcc_lo
	s_delay_alu instid0(VALU_DEP_4)
	v_add_co_u32 v2, vcc_lo, v3, v8
	v_mov_b32_e32 v7, 0
	v_add_co_ci_u32_e32 v3, vcc_lo, 0, v4, vcc_lo
	global_store_b128 v7, v[0:3], s[24:25]
	s_nop 0
	s_sendmsg sendmsg(MSG_DEALLOC_VGPRS)
	s_endpgm
.LBB359_356:
	v_add_nc_u32_e32 v7, s6, v27
	s_add_i32 s8, s26, 32
	s_mov_b32 s9, 0
	v_dual_mov_b32 v9, 0 :: v_dual_add_nc_u32 v6, v26, v5
	s_lshl_b64 s[8:9], s[8:9], 4
	v_and_b32_e32 v24, 0xff0000, v7
	s_add_u32 s8, s36, s8
	s_addc_u32 s9, s37, s9
	v_and_b32_e32 v8, 0xff000000, v7
	s_delay_alu instid0(VALU_DEP_1) | instskip(SKIP_2) | instid1(VALU_DEP_1)
	v_or_b32_e32 v24, v24, v8
	v_dual_mov_b32 v8, 2 :: v_dual_and_b32 v25, 0xff00, v7
	v_and_b32_e32 v7, 0xff, v7
	v_or3_b32 v7, v24, v25, v7
	v_dual_mov_b32 v25, s9 :: v_dual_mov_b32 v24, s8
	;;#ASMSTART
	global_store_dwordx4 v[24:25], v[6:9] off	
s_waitcnt vmcnt(0)
	;;#ASMEND
	s_or_b32 exec_lo, exec_lo, s7
	s_and_saveexec_b32 s7, s3
	s_cbranch_execz .LBB359_115
.LBB359_357:
	v_mov_b32_e32 v6, s6
	v_add_nc_u32_e64 v7, 0x3400, 0
	ds_store_2addr_b32 v7, v5, v6 offset1:2
	ds_store_2addr_b32 v7, v26, v27 offset0:4 offset1:6
	s_or_b32 exec_lo, exec_lo, s7
	s_delay_alu instid0(SALU_CYCLE_1)
	s_and_b32 exec_lo, exec_lo, s2
	s_cbranch_execnz .LBB359_116
	s_branch .LBB359_117
	.section	.rodata,"a",@progbits
	.p2align	6, 0x0
	.amdhsa_kernel _ZN7rocprim17ROCPRIM_400000_NS6detail17trampoline_kernelINS0_13select_configILj256ELj13ELNS0_17block_load_methodE3ELS4_3ELS4_3ELNS0_20block_scan_algorithmE0ELj4294967295EEENS1_25partition_config_selectorILNS1_17partition_subalgoE4EjNS0_10empty_typeEbEEZZNS1_14partition_implILS8_4ELb0ES6_15HIP_vector_typeIjLj2EENS0_17counting_iteratorIjlEEPS9_SG_NS0_5tupleIJPjSI_NS0_16reverse_iteratorISI_EEEEENSH_IJSG_SG_SG_EEES9_SI_JZNS1_25segmented_radix_sort_implINS0_14default_configELb0EPKaPaPKlPlN2at6native12_GLOBAL__N_18offset_tEEE10hipError_tPvRmT1_PNSt15iterator_traitsIS12_E10value_typeET2_T3_PNS13_IS18_E10value_typeET4_jRbjT5_S1E_jjP12ihipStream_tbEUljE_ZNSN_ISO_Lb0ESQ_SR_ST_SU_SY_EESZ_S10_S11_S12_S16_S17_S18_S1B_S1C_jS1D_jS1E_S1E_jjS1G_bEUljE0_EEESZ_S10_S11_S18_S1C_S1E_T6_T7_T9_mT8_S1G_bDpT10_ENKUlT_T0_E_clISt17integral_constantIbLb0EES1T_IbLb1EEEEDaS1P_S1Q_EUlS1P_E_NS1_11comp_targetILNS1_3genE9ELNS1_11target_archE1100ELNS1_3gpuE3ELNS1_3repE0EEENS1_30default_config_static_selectorELNS0_4arch9wavefront6targetE0EEEvS12_
		.amdhsa_group_segment_fixed_size 13340
		.amdhsa_private_segment_fixed_size 0
		.amdhsa_kernarg_size 184
		.amdhsa_user_sgpr_count 15
		.amdhsa_user_sgpr_dispatch_ptr 0
		.amdhsa_user_sgpr_queue_ptr 0
		.amdhsa_user_sgpr_kernarg_segment_ptr 1
		.amdhsa_user_sgpr_dispatch_id 0
		.amdhsa_user_sgpr_private_segment_size 0
		.amdhsa_wavefront_size32 1
		.amdhsa_uses_dynamic_stack 0
		.amdhsa_enable_private_segment 0
		.amdhsa_system_sgpr_workgroup_id_x 1
		.amdhsa_system_sgpr_workgroup_id_y 0
		.amdhsa_system_sgpr_workgroup_id_z 0
		.amdhsa_system_sgpr_workgroup_info 0
		.amdhsa_system_vgpr_workitem_id 0
		.amdhsa_next_free_vgpr 103
		.amdhsa_next_free_sgpr 55
		.amdhsa_reserve_vcc 1
		.amdhsa_float_round_mode_32 0
		.amdhsa_float_round_mode_16_64 0
		.amdhsa_float_denorm_mode_32 3
		.amdhsa_float_denorm_mode_16_64 3
		.amdhsa_dx10_clamp 1
		.amdhsa_ieee_mode 1
		.amdhsa_fp16_overflow 0
		.amdhsa_workgroup_processor_mode 1
		.amdhsa_memory_ordered 1
		.amdhsa_forward_progress 0
		.amdhsa_shared_vgpr_count 0
		.amdhsa_exception_fp_ieee_invalid_op 0
		.amdhsa_exception_fp_denorm_src 0
		.amdhsa_exception_fp_ieee_div_zero 0
		.amdhsa_exception_fp_ieee_overflow 0
		.amdhsa_exception_fp_ieee_underflow 0
		.amdhsa_exception_fp_ieee_inexact 0
		.amdhsa_exception_int_div_zero 0
	.end_amdhsa_kernel
	.section	.text._ZN7rocprim17ROCPRIM_400000_NS6detail17trampoline_kernelINS0_13select_configILj256ELj13ELNS0_17block_load_methodE3ELS4_3ELS4_3ELNS0_20block_scan_algorithmE0ELj4294967295EEENS1_25partition_config_selectorILNS1_17partition_subalgoE4EjNS0_10empty_typeEbEEZZNS1_14partition_implILS8_4ELb0ES6_15HIP_vector_typeIjLj2EENS0_17counting_iteratorIjlEEPS9_SG_NS0_5tupleIJPjSI_NS0_16reverse_iteratorISI_EEEEENSH_IJSG_SG_SG_EEES9_SI_JZNS1_25segmented_radix_sort_implINS0_14default_configELb0EPKaPaPKlPlN2at6native12_GLOBAL__N_18offset_tEEE10hipError_tPvRmT1_PNSt15iterator_traitsIS12_E10value_typeET2_T3_PNS13_IS18_E10value_typeET4_jRbjT5_S1E_jjP12ihipStream_tbEUljE_ZNSN_ISO_Lb0ESQ_SR_ST_SU_SY_EESZ_S10_S11_S12_S16_S17_S18_S1B_S1C_jS1D_jS1E_S1E_jjS1G_bEUljE0_EEESZ_S10_S11_S18_S1C_S1E_T6_T7_T9_mT8_S1G_bDpT10_ENKUlT_T0_E_clISt17integral_constantIbLb0EES1T_IbLb1EEEEDaS1P_S1Q_EUlS1P_E_NS1_11comp_targetILNS1_3genE9ELNS1_11target_archE1100ELNS1_3gpuE3ELNS1_3repE0EEENS1_30default_config_static_selectorELNS0_4arch9wavefront6targetE0EEEvS12_,"axG",@progbits,_ZN7rocprim17ROCPRIM_400000_NS6detail17trampoline_kernelINS0_13select_configILj256ELj13ELNS0_17block_load_methodE3ELS4_3ELS4_3ELNS0_20block_scan_algorithmE0ELj4294967295EEENS1_25partition_config_selectorILNS1_17partition_subalgoE4EjNS0_10empty_typeEbEEZZNS1_14partition_implILS8_4ELb0ES6_15HIP_vector_typeIjLj2EENS0_17counting_iteratorIjlEEPS9_SG_NS0_5tupleIJPjSI_NS0_16reverse_iteratorISI_EEEEENSH_IJSG_SG_SG_EEES9_SI_JZNS1_25segmented_radix_sort_implINS0_14default_configELb0EPKaPaPKlPlN2at6native12_GLOBAL__N_18offset_tEEE10hipError_tPvRmT1_PNSt15iterator_traitsIS12_E10value_typeET2_T3_PNS13_IS18_E10value_typeET4_jRbjT5_S1E_jjP12ihipStream_tbEUljE_ZNSN_ISO_Lb0ESQ_SR_ST_SU_SY_EESZ_S10_S11_S12_S16_S17_S18_S1B_S1C_jS1D_jS1E_S1E_jjS1G_bEUljE0_EEESZ_S10_S11_S18_S1C_S1E_T6_T7_T9_mT8_S1G_bDpT10_ENKUlT_T0_E_clISt17integral_constantIbLb0EES1T_IbLb1EEEEDaS1P_S1Q_EUlS1P_E_NS1_11comp_targetILNS1_3genE9ELNS1_11target_archE1100ELNS1_3gpuE3ELNS1_3repE0EEENS1_30default_config_static_selectorELNS0_4arch9wavefront6targetE0EEEvS12_,comdat
.Lfunc_end359:
	.size	_ZN7rocprim17ROCPRIM_400000_NS6detail17trampoline_kernelINS0_13select_configILj256ELj13ELNS0_17block_load_methodE3ELS4_3ELS4_3ELNS0_20block_scan_algorithmE0ELj4294967295EEENS1_25partition_config_selectorILNS1_17partition_subalgoE4EjNS0_10empty_typeEbEEZZNS1_14partition_implILS8_4ELb0ES6_15HIP_vector_typeIjLj2EENS0_17counting_iteratorIjlEEPS9_SG_NS0_5tupleIJPjSI_NS0_16reverse_iteratorISI_EEEEENSH_IJSG_SG_SG_EEES9_SI_JZNS1_25segmented_radix_sort_implINS0_14default_configELb0EPKaPaPKlPlN2at6native12_GLOBAL__N_18offset_tEEE10hipError_tPvRmT1_PNSt15iterator_traitsIS12_E10value_typeET2_T3_PNS13_IS18_E10value_typeET4_jRbjT5_S1E_jjP12ihipStream_tbEUljE_ZNSN_ISO_Lb0ESQ_SR_ST_SU_SY_EESZ_S10_S11_S12_S16_S17_S18_S1B_S1C_jS1D_jS1E_S1E_jjS1G_bEUljE0_EEESZ_S10_S11_S18_S1C_S1E_T6_T7_T9_mT8_S1G_bDpT10_ENKUlT_T0_E_clISt17integral_constantIbLb0EES1T_IbLb1EEEEDaS1P_S1Q_EUlS1P_E_NS1_11comp_targetILNS1_3genE9ELNS1_11target_archE1100ELNS1_3gpuE3ELNS1_3repE0EEENS1_30default_config_static_selectorELNS0_4arch9wavefront6targetE0EEEvS12_, .Lfunc_end359-_ZN7rocprim17ROCPRIM_400000_NS6detail17trampoline_kernelINS0_13select_configILj256ELj13ELNS0_17block_load_methodE3ELS4_3ELS4_3ELNS0_20block_scan_algorithmE0ELj4294967295EEENS1_25partition_config_selectorILNS1_17partition_subalgoE4EjNS0_10empty_typeEbEEZZNS1_14partition_implILS8_4ELb0ES6_15HIP_vector_typeIjLj2EENS0_17counting_iteratorIjlEEPS9_SG_NS0_5tupleIJPjSI_NS0_16reverse_iteratorISI_EEEEENSH_IJSG_SG_SG_EEES9_SI_JZNS1_25segmented_radix_sort_implINS0_14default_configELb0EPKaPaPKlPlN2at6native12_GLOBAL__N_18offset_tEEE10hipError_tPvRmT1_PNSt15iterator_traitsIS12_E10value_typeET2_T3_PNS13_IS18_E10value_typeET4_jRbjT5_S1E_jjP12ihipStream_tbEUljE_ZNSN_ISO_Lb0ESQ_SR_ST_SU_SY_EESZ_S10_S11_S12_S16_S17_S18_S1B_S1C_jS1D_jS1E_S1E_jjS1G_bEUljE0_EEESZ_S10_S11_S18_S1C_S1E_T6_T7_T9_mT8_S1G_bDpT10_ENKUlT_T0_E_clISt17integral_constantIbLb0EES1T_IbLb1EEEEDaS1P_S1Q_EUlS1P_E_NS1_11comp_targetILNS1_3genE9ELNS1_11target_archE1100ELNS1_3gpuE3ELNS1_3repE0EEENS1_30default_config_static_selectorELNS0_4arch9wavefront6targetE0EEEvS12_
                                        ; -- End function
	.section	.AMDGPU.csdata,"",@progbits
; Kernel info:
; codeLenInByte = 15060
; NumSgprs: 57
; NumVgprs: 103
; ScratchSize: 0
; MemoryBound: 0
; FloatMode: 240
; IeeeMode: 1
; LDSByteSize: 13340 bytes/workgroup (compile time only)
; SGPRBlocks: 7
; VGPRBlocks: 12
; NumSGPRsForWavesPerEU: 57
; NumVGPRsForWavesPerEU: 103
; Occupancy: 12
; WaveLimiterHint : 1
; COMPUTE_PGM_RSRC2:SCRATCH_EN: 0
; COMPUTE_PGM_RSRC2:USER_SGPR: 15
; COMPUTE_PGM_RSRC2:TRAP_HANDLER: 0
; COMPUTE_PGM_RSRC2:TGID_X_EN: 1
; COMPUTE_PGM_RSRC2:TGID_Y_EN: 0
; COMPUTE_PGM_RSRC2:TGID_Z_EN: 0
; COMPUTE_PGM_RSRC2:TIDIG_COMP_CNT: 0
	.section	.text._ZN7rocprim17ROCPRIM_400000_NS6detail17trampoline_kernelINS0_13select_configILj256ELj13ELNS0_17block_load_methodE3ELS4_3ELS4_3ELNS0_20block_scan_algorithmE0ELj4294967295EEENS1_25partition_config_selectorILNS1_17partition_subalgoE4EjNS0_10empty_typeEbEEZZNS1_14partition_implILS8_4ELb0ES6_15HIP_vector_typeIjLj2EENS0_17counting_iteratorIjlEEPS9_SG_NS0_5tupleIJPjSI_NS0_16reverse_iteratorISI_EEEEENSH_IJSG_SG_SG_EEES9_SI_JZNS1_25segmented_radix_sort_implINS0_14default_configELb0EPKaPaPKlPlN2at6native12_GLOBAL__N_18offset_tEEE10hipError_tPvRmT1_PNSt15iterator_traitsIS12_E10value_typeET2_T3_PNS13_IS18_E10value_typeET4_jRbjT5_S1E_jjP12ihipStream_tbEUljE_ZNSN_ISO_Lb0ESQ_SR_ST_SU_SY_EESZ_S10_S11_S12_S16_S17_S18_S1B_S1C_jS1D_jS1E_S1E_jjS1G_bEUljE0_EEESZ_S10_S11_S18_S1C_S1E_T6_T7_T9_mT8_S1G_bDpT10_ENKUlT_T0_E_clISt17integral_constantIbLb0EES1T_IbLb1EEEEDaS1P_S1Q_EUlS1P_E_NS1_11comp_targetILNS1_3genE8ELNS1_11target_archE1030ELNS1_3gpuE2ELNS1_3repE0EEENS1_30default_config_static_selectorELNS0_4arch9wavefront6targetE0EEEvS12_,"axG",@progbits,_ZN7rocprim17ROCPRIM_400000_NS6detail17trampoline_kernelINS0_13select_configILj256ELj13ELNS0_17block_load_methodE3ELS4_3ELS4_3ELNS0_20block_scan_algorithmE0ELj4294967295EEENS1_25partition_config_selectorILNS1_17partition_subalgoE4EjNS0_10empty_typeEbEEZZNS1_14partition_implILS8_4ELb0ES6_15HIP_vector_typeIjLj2EENS0_17counting_iteratorIjlEEPS9_SG_NS0_5tupleIJPjSI_NS0_16reverse_iteratorISI_EEEEENSH_IJSG_SG_SG_EEES9_SI_JZNS1_25segmented_radix_sort_implINS0_14default_configELb0EPKaPaPKlPlN2at6native12_GLOBAL__N_18offset_tEEE10hipError_tPvRmT1_PNSt15iterator_traitsIS12_E10value_typeET2_T3_PNS13_IS18_E10value_typeET4_jRbjT5_S1E_jjP12ihipStream_tbEUljE_ZNSN_ISO_Lb0ESQ_SR_ST_SU_SY_EESZ_S10_S11_S12_S16_S17_S18_S1B_S1C_jS1D_jS1E_S1E_jjS1G_bEUljE0_EEESZ_S10_S11_S18_S1C_S1E_T6_T7_T9_mT8_S1G_bDpT10_ENKUlT_T0_E_clISt17integral_constantIbLb0EES1T_IbLb1EEEEDaS1P_S1Q_EUlS1P_E_NS1_11comp_targetILNS1_3genE8ELNS1_11target_archE1030ELNS1_3gpuE2ELNS1_3repE0EEENS1_30default_config_static_selectorELNS0_4arch9wavefront6targetE0EEEvS12_,comdat
	.globl	_ZN7rocprim17ROCPRIM_400000_NS6detail17trampoline_kernelINS0_13select_configILj256ELj13ELNS0_17block_load_methodE3ELS4_3ELS4_3ELNS0_20block_scan_algorithmE0ELj4294967295EEENS1_25partition_config_selectorILNS1_17partition_subalgoE4EjNS0_10empty_typeEbEEZZNS1_14partition_implILS8_4ELb0ES6_15HIP_vector_typeIjLj2EENS0_17counting_iteratorIjlEEPS9_SG_NS0_5tupleIJPjSI_NS0_16reverse_iteratorISI_EEEEENSH_IJSG_SG_SG_EEES9_SI_JZNS1_25segmented_radix_sort_implINS0_14default_configELb0EPKaPaPKlPlN2at6native12_GLOBAL__N_18offset_tEEE10hipError_tPvRmT1_PNSt15iterator_traitsIS12_E10value_typeET2_T3_PNS13_IS18_E10value_typeET4_jRbjT5_S1E_jjP12ihipStream_tbEUljE_ZNSN_ISO_Lb0ESQ_SR_ST_SU_SY_EESZ_S10_S11_S12_S16_S17_S18_S1B_S1C_jS1D_jS1E_S1E_jjS1G_bEUljE0_EEESZ_S10_S11_S18_S1C_S1E_T6_T7_T9_mT8_S1G_bDpT10_ENKUlT_T0_E_clISt17integral_constantIbLb0EES1T_IbLb1EEEEDaS1P_S1Q_EUlS1P_E_NS1_11comp_targetILNS1_3genE8ELNS1_11target_archE1030ELNS1_3gpuE2ELNS1_3repE0EEENS1_30default_config_static_selectorELNS0_4arch9wavefront6targetE0EEEvS12_ ; -- Begin function _ZN7rocprim17ROCPRIM_400000_NS6detail17trampoline_kernelINS0_13select_configILj256ELj13ELNS0_17block_load_methodE3ELS4_3ELS4_3ELNS0_20block_scan_algorithmE0ELj4294967295EEENS1_25partition_config_selectorILNS1_17partition_subalgoE4EjNS0_10empty_typeEbEEZZNS1_14partition_implILS8_4ELb0ES6_15HIP_vector_typeIjLj2EENS0_17counting_iteratorIjlEEPS9_SG_NS0_5tupleIJPjSI_NS0_16reverse_iteratorISI_EEEEENSH_IJSG_SG_SG_EEES9_SI_JZNS1_25segmented_radix_sort_implINS0_14default_configELb0EPKaPaPKlPlN2at6native12_GLOBAL__N_18offset_tEEE10hipError_tPvRmT1_PNSt15iterator_traitsIS12_E10value_typeET2_T3_PNS13_IS18_E10value_typeET4_jRbjT5_S1E_jjP12ihipStream_tbEUljE_ZNSN_ISO_Lb0ESQ_SR_ST_SU_SY_EESZ_S10_S11_S12_S16_S17_S18_S1B_S1C_jS1D_jS1E_S1E_jjS1G_bEUljE0_EEESZ_S10_S11_S18_S1C_S1E_T6_T7_T9_mT8_S1G_bDpT10_ENKUlT_T0_E_clISt17integral_constantIbLb0EES1T_IbLb1EEEEDaS1P_S1Q_EUlS1P_E_NS1_11comp_targetILNS1_3genE8ELNS1_11target_archE1030ELNS1_3gpuE2ELNS1_3repE0EEENS1_30default_config_static_selectorELNS0_4arch9wavefront6targetE0EEEvS12_
	.p2align	8
	.type	_ZN7rocprim17ROCPRIM_400000_NS6detail17trampoline_kernelINS0_13select_configILj256ELj13ELNS0_17block_load_methodE3ELS4_3ELS4_3ELNS0_20block_scan_algorithmE0ELj4294967295EEENS1_25partition_config_selectorILNS1_17partition_subalgoE4EjNS0_10empty_typeEbEEZZNS1_14partition_implILS8_4ELb0ES6_15HIP_vector_typeIjLj2EENS0_17counting_iteratorIjlEEPS9_SG_NS0_5tupleIJPjSI_NS0_16reverse_iteratorISI_EEEEENSH_IJSG_SG_SG_EEES9_SI_JZNS1_25segmented_radix_sort_implINS0_14default_configELb0EPKaPaPKlPlN2at6native12_GLOBAL__N_18offset_tEEE10hipError_tPvRmT1_PNSt15iterator_traitsIS12_E10value_typeET2_T3_PNS13_IS18_E10value_typeET4_jRbjT5_S1E_jjP12ihipStream_tbEUljE_ZNSN_ISO_Lb0ESQ_SR_ST_SU_SY_EESZ_S10_S11_S12_S16_S17_S18_S1B_S1C_jS1D_jS1E_S1E_jjS1G_bEUljE0_EEESZ_S10_S11_S18_S1C_S1E_T6_T7_T9_mT8_S1G_bDpT10_ENKUlT_T0_E_clISt17integral_constantIbLb0EES1T_IbLb1EEEEDaS1P_S1Q_EUlS1P_E_NS1_11comp_targetILNS1_3genE8ELNS1_11target_archE1030ELNS1_3gpuE2ELNS1_3repE0EEENS1_30default_config_static_selectorELNS0_4arch9wavefront6targetE0EEEvS12_,@function
_ZN7rocprim17ROCPRIM_400000_NS6detail17trampoline_kernelINS0_13select_configILj256ELj13ELNS0_17block_load_methodE3ELS4_3ELS4_3ELNS0_20block_scan_algorithmE0ELj4294967295EEENS1_25partition_config_selectorILNS1_17partition_subalgoE4EjNS0_10empty_typeEbEEZZNS1_14partition_implILS8_4ELb0ES6_15HIP_vector_typeIjLj2EENS0_17counting_iteratorIjlEEPS9_SG_NS0_5tupleIJPjSI_NS0_16reverse_iteratorISI_EEEEENSH_IJSG_SG_SG_EEES9_SI_JZNS1_25segmented_radix_sort_implINS0_14default_configELb0EPKaPaPKlPlN2at6native12_GLOBAL__N_18offset_tEEE10hipError_tPvRmT1_PNSt15iterator_traitsIS12_E10value_typeET2_T3_PNS13_IS18_E10value_typeET4_jRbjT5_S1E_jjP12ihipStream_tbEUljE_ZNSN_ISO_Lb0ESQ_SR_ST_SU_SY_EESZ_S10_S11_S12_S16_S17_S18_S1B_S1C_jS1D_jS1E_S1E_jjS1G_bEUljE0_EEESZ_S10_S11_S18_S1C_S1E_T6_T7_T9_mT8_S1G_bDpT10_ENKUlT_T0_E_clISt17integral_constantIbLb0EES1T_IbLb1EEEEDaS1P_S1Q_EUlS1P_E_NS1_11comp_targetILNS1_3genE8ELNS1_11target_archE1030ELNS1_3gpuE2ELNS1_3repE0EEENS1_30default_config_static_selectorELNS0_4arch9wavefront6targetE0EEEvS12_: ; @_ZN7rocprim17ROCPRIM_400000_NS6detail17trampoline_kernelINS0_13select_configILj256ELj13ELNS0_17block_load_methodE3ELS4_3ELS4_3ELNS0_20block_scan_algorithmE0ELj4294967295EEENS1_25partition_config_selectorILNS1_17partition_subalgoE4EjNS0_10empty_typeEbEEZZNS1_14partition_implILS8_4ELb0ES6_15HIP_vector_typeIjLj2EENS0_17counting_iteratorIjlEEPS9_SG_NS0_5tupleIJPjSI_NS0_16reverse_iteratorISI_EEEEENSH_IJSG_SG_SG_EEES9_SI_JZNS1_25segmented_radix_sort_implINS0_14default_configELb0EPKaPaPKlPlN2at6native12_GLOBAL__N_18offset_tEEE10hipError_tPvRmT1_PNSt15iterator_traitsIS12_E10value_typeET2_T3_PNS13_IS18_E10value_typeET4_jRbjT5_S1E_jjP12ihipStream_tbEUljE_ZNSN_ISO_Lb0ESQ_SR_ST_SU_SY_EESZ_S10_S11_S12_S16_S17_S18_S1B_S1C_jS1D_jS1E_S1E_jjS1G_bEUljE0_EEESZ_S10_S11_S18_S1C_S1E_T6_T7_T9_mT8_S1G_bDpT10_ENKUlT_T0_E_clISt17integral_constantIbLb0EES1T_IbLb1EEEEDaS1P_S1Q_EUlS1P_E_NS1_11comp_targetILNS1_3genE8ELNS1_11target_archE1030ELNS1_3gpuE2ELNS1_3repE0EEENS1_30default_config_static_selectorELNS0_4arch9wavefront6targetE0EEEvS12_
; %bb.0:
	.section	.rodata,"a",@progbits
	.p2align	6, 0x0
	.amdhsa_kernel _ZN7rocprim17ROCPRIM_400000_NS6detail17trampoline_kernelINS0_13select_configILj256ELj13ELNS0_17block_load_methodE3ELS4_3ELS4_3ELNS0_20block_scan_algorithmE0ELj4294967295EEENS1_25partition_config_selectorILNS1_17partition_subalgoE4EjNS0_10empty_typeEbEEZZNS1_14partition_implILS8_4ELb0ES6_15HIP_vector_typeIjLj2EENS0_17counting_iteratorIjlEEPS9_SG_NS0_5tupleIJPjSI_NS0_16reverse_iteratorISI_EEEEENSH_IJSG_SG_SG_EEES9_SI_JZNS1_25segmented_radix_sort_implINS0_14default_configELb0EPKaPaPKlPlN2at6native12_GLOBAL__N_18offset_tEEE10hipError_tPvRmT1_PNSt15iterator_traitsIS12_E10value_typeET2_T3_PNS13_IS18_E10value_typeET4_jRbjT5_S1E_jjP12ihipStream_tbEUljE_ZNSN_ISO_Lb0ESQ_SR_ST_SU_SY_EESZ_S10_S11_S12_S16_S17_S18_S1B_S1C_jS1D_jS1E_S1E_jjS1G_bEUljE0_EEESZ_S10_S11_S18_S1C_S1E_T6_T7_T9_mT8_S1G_bDpT10_ENKUlT_T0_E_clISt17integral_constantIbLb0EES1T_IbLb1EEEEDaS1P_S1Q_EUlS1P_E_NS1_11comp_targetILNS1_3genE8ELNS1_11target_archE1030ELNS1_3gpuE2ELNS1_3repE0EEENS1_30default_config_static_selectorELNS0_4arch9wavefront6targetE0EEEvS12_
		.amdhsa_group_segment_fixed_size 0
		.amdhsa_private_segment_fixed_size 0
		.amdhsa_kernarg_size 184
		.amdhsa_user_sgpr_count 15
		.amdhsa_user_sgpr_dispatch_ptr 0
		.amdhsa_user_sgpr_queue_ptr 0
		.amdhsa_user_sgpr_kernarg_segment_ptr 1
		.amdhsa_user_sgpr_dispatch_id 0
		.amdhsa_user_sgpr_private_segment_size 0
		.amdhsa_wavefront_size32 1
		.amdhsa_uses_dynamic_stack 0
		.amdhsa_enable_private_segment 0
		.amdhsa_system_sgpr_workgroup_id_x 1
		.amdhsa_system_sgpr_workgroup_id_y 0
		.amdhsa_system_sgpr_workgroup_id_z 0
		.amdhsa_system_sgpr_workgroup_info 0
		.amdhsa_system_vgpr_workitem_id 0
		.amdhsa_next_free_vgpr 1
		.amdhsa_next_free_sgpr 1
		.amdhsa_reserve_vcc 0
		.amdhsa_float_round_mode_32 0
		.amdhsa_float_round_mode_16_64 0
		.amdhsa_float_denorm_mode_32 3
		.amdhsa_float_denorm_mode_16_64 3
		.amdhsa_dx10_clamp 1
		.amdhsa_ieee_mode 1
		.amdhsa_fp16_overflow 0
		.amdhsa_workgroup_processor_mode 1
		.amdhsa_memory_ordered 1
		.amdhsa_forward_progress 0
		.amdhsa_shared_vgpr_count 0
		.amdhsa_exception_fp_ieee_invalid_op 0
		.amdhsa_exception_fp_denorm_src 0
		.amdhsa_exception_fp_ieee_div_zero 0
		.amdhsa_exception_fp_ieee_overflow 0
		.amdhsa_exception_fp_ieee_underflow 0
		.amdhsa_exception_fp_ieee_inexact 0
		.amdhsa_exception_int_div_zero 0
	.end_amdhsa_kernel
	.section	.text._ZN7rocprim17ROCPRIM_400000_NS6detail17trampoline_kernelINS0_13select_configILj256ELj13ELNS0_17block_load_methodE3ELS4_3ELS4_3ELNS0_20block_scan_algorithmE0ELj4294967295EEENS1_25partition_config_selectorILNS1_17partition_subalgoE4EjNS0_10empty_typeEbEEZZNS1_14partition_implILS8_4ELb0ES6_15HIP_vector_typeIjLj2EENS0_17counting_iteratorIjlEEPS9_SG_NS0_5tupleIJPjSI_NS0_16reverse_iteratorISI_EEEEENSH_IJSG_SG_SG_EEES9_SI_JZNS1_25segmented_radix_sort_implINS0_14default_configELb0EPKaPaPKlPlN2at6native12_GLOBAL__N_18offset_tEEE10hipError_tPvRmT1_PNSt15iterator_traitsIS12_E10value_typeET2_T3_PNS13_IS18_E10value_typeET4_jRbjT5_S1E_jjP12ihipStream_tbEUljE_ZNSN_ISO_Lb0ESQ_SR_ST_SU_SY_EESZ_S10_S11_S12_S16_S17_S18_S1B_S1C_jS1D_jS1E_S1E_jjS1G_bEUljE0_EEESZ_S10_S11_S18_S1C_S1E_T6_T7_T9_mT8_S1G_bDpT10_ENKUlT_T0_E_clISt17integral_constantIbLb0EES1T_IbLb1EEEEDaS1P_S1Q_EUlS1P_E_NS1_11comp_targetILNS1_3genE8ELNS1_11target_archE1030ELNS1_3gpuE2ELNS1_3repE0EEENS1_30default_config_static_selectorELNS0_4arch9wavefront6targetE0EEEvS12_,"axG",@progbits,_ZN7rocprim17ROCPRIM_400000_NS6detail17trampoline_kernelINS0_13select_configILj256ELj13ELNS0_17block_load_methodE3ELS4_3ELS4_3ELNS0_20block_scan_algorithmE0ELj4294967295EEENS1_25partition_config_selectorILNS1_17partition_subalgoE4EjNS0_10empty_typeEbEEZZNS1_14partition_implILS8_4ELb0ES6_15HIP_vector_typeIjLj2EENS0_17counting_iteratorIjlEEPS9_SG_NS0_5tupleIJPjSI_NS0_16reverse_iteratorISI_EEEEENSH_IJSG_SG_SG_EEES9_SI_JZNS1_25segmented_radix_sort_implINS0_14default_configELb0EPKaPaPKlPlN2at6native12_GLOBAL__N_18offset_tEEE10hipError_tPvRmT1_PNSt15iterator_traitsIS12_E10value_typeET2_T3_PNS13_IS18_E10value_typeET4_jRbjT5_S1E_jjP12ihipStream_tbEUljE_ZNSN_ISO_Lb0ESQ_SR_ST_SU_SY_EESZ_S10_S11_S12_S16_S17_S18_S1B_S1C_jS1D_jS1E_S1E_jjS1G_bEUljE0_EEESZ_S10_S11_S18_S1C_S1E_T6_T7_T9_mT8_S1G_bDpT10_ENKUlT_T0_E_clISt17integral_constantIbLb0EES1T_IbLb1EEEEDaS1P_S1Q_EUlS1P_E_NS1_11comp_targetILNS1_3genE8ELNS1_11target_archE1030ELNS1_3gpuE2ELNS1_3repE0EEENS1_30default_config_static_selectorELNS0_4arch9wavefront6targetE0EEEvS12_,comdat
.Lfunc_end360:
	.size	_ZN7rocprim17ROCPRIM_400000_NS6detail17trampoline_kernelINS0_13select_configILj256ELj13ELNS0_17block_load_methodE3ELS4_3ELS4_3ELNS0_20block_scan_algorithmE0ELj4294967295EEENS1_25partition_config_selectorILNS1_17partition_subalgoE4EjNS0_10empty_typeEbEEZZNS1_14partition_implILS8_4ELb0ES6_15HIP_vector_typeIjLj2EENS0_17counting_iteratorIjlEEPS9_SG_NS0_5tupleIJPjSI_NS0_16reverse_iteratorISI_EEEEENSH_IJSG_SG_SG_EEES9_SI_JZNS1_25segmented_radix_sort_implINS0_14default_configELb0EPKaPaPKlPlN2at6native12_GLOBAL__N_18offset_tEEE10hipError_tPvRmT1_PNSt15iterator_traitsIS12_E10value_typeET2_T3_PNS13_IS18_E10value_typeET4_jRbjT5_S1E_jjP12ihipStream_tbEUljE_ZNSN_ISO_Lb0ESQ_SR_ST_SU_SY_EESZ_S10_S11_S12_S16_S17_S18_S1B_S1C_jS1D_jS1E_S1E_jjS1G_bEUljE0_EEESZ_S10_S11_S18_S1C_S1E_T6_T7_T9_mT8_S1G_bDpT10_ENKUlT_T0_E_clISt17integral_constantIbLb0EES1T_IbLb1EEEEDaS1P_S1Q_EUlS1P_E_NS1_11comp_targetILNS1_3genE8ELNS1_11target_archE1030ELNS1_3gpuE2ELNS1_3repE0EEENS1_30default_config_static_selectorELNS0_4arch9wavefront6targetE0EEEvS12_, .Lfunc_end360-_ZN7rocprim17ROCPRIM_400000_NS6detail17trampoline_kernelINS0_13select_configILj256ELj13ELNS0_17block_load_methodE3ELS4_3ELS4_3ELNS0_20block_scan_algorithmE0ELj4294967295EEENS1_25partition_config_selectorILNS1_17partition_subalgoE4EjNS0_10empty_typeEbEEZZNS1_14partition_implILS8_4ELb0ES6_15HIP_vector_typeIjLj2EENS0_17counting_iteratorIjlEEPS9_SG_NS0_5tupleIJPjSI_NS0_16reverse_iteratorISI_EEEEENSH_IJSG_SG_SG_EEES9_SI_JZNS1_25segmented_radix_sort_implINS0_14default_configELb0EPKaPaPKlPlN2at6native12_GLOBAL__N_18offset_tEEE10hipError_tPvRmT1_PNSt15iterator_traitsIS12_E10value_typeET2_T3_PNS13_IS18_E10value_typeET4_jRbjT5_S1E_jjP12ihipStream_tbEUljE_ZNSN_ISO_Lb0ESQ_SR_ST_SU_SY_EESZ_S10_S11_S12_S16_S17_S18_S1B_S1C_jS1D_jS1E_S1E_jjS1G_bEUljE0_EEESZ_S10_S11_S18_S1C_S1E_T6_T7_T9_mT8_S1G_bDpT10_ENKUlT_T0_E_clISt17integral_constantIbLb0EES1T_IbLb1EEEEDaS1P_S1Q_EUlS1P_E_NS1_11comp_targetILNS1_3genE8ELNS1_11target_archE1030ELNS1_3gpuE2ELNS1_3repE0EEENS1_30default_config_static_selectorELNS0_4arch9wavefront6targetE0EEEvS12_
                                        ; -- End function
	.section	.AMDGPU.csdata,"",@progbits
; Kernel info:
; codeLenInByte = 0
; NumSgprs: 0
; NumVgprs: 0
; ScratchSize: 0
; MemoryBound: 0
; FloatMode: 240
; IeeeMode: 1
; LDSByteSize: 0 bytes/workgroup (compile time only)
; SGPRBlocks: 0
; VGPRBlocks: 0
; NumSGPRsForWavesPerEU: 1
; NumVGPRsForWavesPerEU: 1
; Occupancy: 16
; WaveLimiterHint : 0
; COMPUTE_PGM_RSRC2:SCRATCH_EN: 0
; COMPUTE_PGM_RSRC2:USER_SGPR: 15
; COMPUTE_PGM_RSRC2:TRAP_HANDLER: 0
; COMPUTE_PGM_RSRC2:TGID_X_EN: 1
; COMPUTE_PGM_RSRC2:TGID_Y_EN: 0
; COMPUTE_PGM_RSRC2:TGID_Z_EN: 0
; COMPUTE_PGM_RSRC2:TIDIG_COMP_CNT: 0
	.section	.text._ZN7rocprim17ROCPRIM_400000_NS6detail17trampoline_kernelINS0_13select_configILj256ELj13ELNS0_17block_load_methodE3ELS4_3ELS4_3ELNS0_20block_scan_algorithmE0ELj4294967295EEENS1_25partition_config_selectorILNS1_17partition_subalgoE3EjNS0_10empty_typeEbEEZZNS1_14partition_implILS8_3ELb0ES6_jNS0_17counting_iteratorIjlEEPS9_SE_NS0_5tupleIJPjSE_EEENSF_IJSE_SE_EEES9_SG_JZNS1_25segmented_radix_sort_implINS0_14default_configELb0EPKaPaPKlPlN2at6native12_GLOBAL__N_18offset_tEEE10hipError_tPvRmT1_PNSt15iterator_traitsISY_E10value_typeET2_T3_PNSZ_IS14_E10value_typeET4_jRbjT5_S1A_jjP12ihipStream_tbEUljE_EEESV_SW_SX_S14_S18_S1A_T6_T7_T9_mT8_S1C_bDpT10_ENKUlT_T0_E_clISt17integral_constantIbLb0EES1P_EEDaS1K_S1L_EUlS1K_E_NS1_11comp_targetILNS1_3genE0ELNS1_11target_archE4294967295ELNS1_3gpuE0ELNS1_3repE0EEENS1_30default_config_static_selectorELNS0_4arch9wavefront6targetE0EEEvSY_,"axG",@progbits,_ZN7rocprim17ROCPRIM_400000_NS6detail17trampoline_kernelINS0_13select_configILj256ELj13ELNS0_17block_load_methodE3ELS4_3ELS4_3ELNS0_20block_scan_algorithmE0ELj4294967295EEENS1_25partition_config_selectorILNS1_17partition_subalgoE3EjNS0_10empty_typeEbEEZZNS1_14partition_implILS8_3ELb0ES6_jNS0_17counting_iteratorIjlEEPS9_SE_NS0_5tupleIJPjSE_EEENSF_IJSE_SE_EEES9_SG_JZNS1_25segmented_radix_sort_implINS0_14default_configELb0EPKaPaPKlPlN2at6native12_GLOBAL__N_18offset_tEEE10hipError_tPvRmT1_PNSt15iterator_traitsISY_E10value_typeET2_T3_PNSZ_IS14_E10value_typeET4_jRbjT5_S1A_jjP12ihipStream_tbEUljE_EEESV_SW_SX_S14_S18_S1A_T6_T7_T9_mT8_S1C_bDpT10_ENKUlT_T0_E_clISt17integral_constantIbLb0EES1P_EEDaS1K_S1L_EUlS1K_E_NS1_11comp_targetILNS1_3genE0ELNS1_11target_archE4294967295ELNS1_3gpuE0ELNS1_3repE0EEENS1_30default_config_static_selectorELNS0_4arch9wavefront6targetE0EEEvSY_,comdat
	.globl	_ZN7rocprim17ROCPRIM_400000_NS6detail17trampoline_kernelINS0_13select_configILj256ELj13ELNS0_17block_load_methodE3ELS4_3ELS4_3ELNS0_20block_scan_algorithmE0ELj4294967295EEENS1_25partition_config_selectorILNS1_17partition_subalgoE3EjNS0_10empty_typeEbEEZZNS1_14partition_implILS8_3ELb0ES6_jNS0_17counting_iteratorIjlEEPS9_SE_NS0_5tupleIJPjSE_EEENSF_IJSE_SE_EEES9_SG_JZNS1_25segmented_radix_sort_implINS0_14default_configELb0EPKaPaPKlPlN2at6native12_GLOBAL__N_18offset_tEEE10hipError_tPvRmT1_PNSt15iterator_traitsISY_E10value_typeET2_T3_PNSZ_IS14_E10value_typeET4_jRbjT5_S1A_jjP12ihipStream_tbEUljE_EEESV_SW_SX_S14_S18_S1A_T6_T7_T9_mT8_S1C_bDpT10_ENKUlT_T0_E_clISt17integral_constantIbLb0EES1P_EEDaS1K_S1L_EUlS1K_E_NS1_11comp_targetILNS1_3genE0ELNS1_11target_archE4294967295ELNS1_3gpuE0ELNS1_3repE0EEENS1_30default_config_static_selectorELNS0_4arch9wavefront6targetE0EEEvSY_ ; -- Begin function _ZN7rocprim17ROCPRIM_400000_NS6detail17trampoline_kernelINS0_13select_configILj256ELj13ELNS0_17block_load_methodE3ELS4_3ELS4_3ELNS0_20block_scan_algorithmE0ELj4294967295EEENS1_25partition_config_selectorILNS1_17partition_subalgoE3EjNS0_10empty_typeEbEEZZNS1_14partition_implILS8_3ELb0ES6_jNS0_17counting_iteratorIjlEEPS9_SE_NS0_5tupleIJPjSE_EEENSF_IJSE_SE_EEES9_SG_JZNS1_25segmented_radix_sort_implINS0_14default_configELb0EPKaPaPKlPlN2at6native12_GLOBAL__N_18offset_tEEE10hipError_tPvRmT1_PNSt15iterator_traitsISY_E10value_typeET2_T3_PNSZ_IS14_E10value_typeET4_jRbjT5_S1A_jjP12ihipStream_tbEUljE_EEESV_SW_SX_S14_S18_S1A_T6_T7_T9_mT8_S1C_bDpT10_ENKUlT_T0_E_clISt17integral_constantIbLb0EES1P_EEDaS1K_S1L_EUlS1K_E_NS1_11comp_targetILNS1_3genE0ELNS1_11target_archE4294967295ELNS1_3gpuE0ELNS1_3repE0EEENS1_30default_config_static_selectorELNS0_4arch9wavefront6targetE0EEEvSY_
	.p2align	8
	.type	_ZN7rocprim17ROCPRIM_400000_NS6detail17trampoline_kernelINS0_13select_configILj256ELj13ELNS0_17block_load_methodE3ELS4_3ELS4_3ELNS0_20block_scan_algorithmE0ELj4294967295EEENS1_25partition_config_selectorILNS1_17partition_subalgoE3EjNS0_10empty_typeEbEEZZNS1_14partition_implILS8_3ELb0ES6_jNS0_17counting_iteratorIjlEEPS9_SE_NS0_5tupleIJPjSE_EEENSF_IJSE_SE_EEES9_SG_JZNS1_25segmented_radix_sort_implINS0_14default_configELb0EPKaPaPKlPlN2at6native12_GLOBAL__N_18offset_tEEE10hipError_tPvRmT1_PNSt15iterator_traitsISY_E10value_typeET2_T3_PNSZ_IS14_E10value_typeET4_jRbjT5_S1A_jjP12ihipStream_tbEUljE_EEESV_SW_SX_S14_S18_S1A_T6_T7_T9_mT8_S1C_bDpT10_ENKUlT_T0_E_clISt17integral_constantIbLb0EES1P_EEDaS1K_S1L_EUlS1K_E_NS1_11comp_targetILNS1_3genE0ELNS1_11target_archE4294967295ELNS1_3gpuE0ELNS1_3repE0EEENS1_30default_config_static_selectorELNS0_4arch9wavefront6targetE0EEEvSY_,@function
_ZN7rocprim17ROCPRIM_400000_NS6detail17trampoline_kernelINS0_13select_configILj256ELj13ELNS0_17block_load_methodE3ELS4_3ELS4_3ELNS0_20block_scan_algorithmE0ELj4294967295EEENS1_25partition_config_selectorILNS1_17partition_subalgoE3EjNS0_10empty_typeEbEEZZNS1_14partition_implILS8_3ELb0ES6_jNS0_17counting_iteratorIjlEEPS9_SE_NS0_5tupleIJPjSE_EEENSF_IJSE_SE_EEES9_SG_JZNS1_25segmented_radix_sort_implINS0_14default_configELb0EPKaPaPKlPlN2at6native12_GLOBAL__N_18offset_tEEE10hipError_tPvRmT1_PNSt15iterator_traitsISY_E10value_typeET2_T3_PNSZ_IS14_E10value_typeET4_jRbjT5_S1A_jjP12ihipStream_tbEUljE_EEESV_SW_SX_S14_S18_S1A_T6_T7_T9_mT8_S1C_bDpT10_ENKUlT_T0_E_clISt17integral_constantIbLb0EES1P_EEDaS1K_S1L_EUlS1K_E_NS1_11comp_targetILNS1_3genE0ELNS1_11target_archE4294967295ELNS1_3gpuE0ELNS1_3repE0EEENS1_30default_config_static_selectorELNS0_4arch9wavefront6targetE0EEEvSY_: ; @_ZN7rocprim17ROCPRIM_400000_NS6detail17trampoline_kernelINS0_13select_configILj256ELj13ELNS0_17block_load_methodE3ELS4_3ELS4_3ELNS0_20block_scan_algorithmE0ELj4294967295EEENS1_25partition_config_selectorILNS1_17partition_subalgoE3EjNS0_10empty_typeEbEEZZNS1_14partition_implILS8_3ELb0ES6_jNS0_17counting_iteratorIjlEEPS9_SE_NS0_5tupleIJPjSE_EEENSF_IJSE_SE_EEES9_SG_JZNS1_25segmented_radix_sort_implINS0_14default_configELb0EPKaPaPKlPlN2at6native12_GLOBAL__N_18offset_tEEE10hipError_tPvRmT1_PNSt15iterator_traitsISY_E10value_typeET2_T3_PNSZ_IS14_E10value_typeET4_jRbjT5_S1A_jjP12ihipStream_tbEUljE_EEESV_SW_SX_S14_S18_S1A_T6_T7_T9_mT8_S1C_bDpT10_ENKUlT_T0_E_clISt17integral_constantIbLb0EES1P_EEDaS1K_S1L_EUlS1K_E_NS1_11comp_targetILNS1_3genE0ELNS1_11target_archE4294967295ELNS1_3gpuE0ELNS1_3repE0EEENS1_30default_config_static_selectorELNS0_4arch9wavefront6targetE0EEEvSY_
; %bb.0:
	.section	.rodata,"a",@progbits
	.p2align	6, 0x0
	.amdhsa_kernel _ZN7rocprim17ROCPRIM_400000_NS6detail17trampoline_kernelINS0_13select_configILj256ELj13ELNS0_17block_load_methodE3ELS4_3ELS4_3ELNS0_20block_scan_algorithmE0ELj4294967295EEENS1_25partition_config_selectorILNS1_17partition_subalgoE3EjNS0_10empty_typeEbEEZZNS1_14partition_implILS8_3ELb0ES6_jNS0_17counting_iteratorIjlEEPS9_SE_NS0_5tupleIJPjSE_EEENSF_IJSE_SE_EEES9_SG_JZNS1_25segmented_radix_sort_implINS0_14default_configELb0EPKaPaPKlPlN2at6native12_GLOBAL__N_18offset_tEEE10hipError_tPvRmT1_PNSt15iterator_traitsISY_E10value_typeET2_T3_PNSZ_IS14_E10value_typeET4_jRbjT5_S1A_jjP12ihipStream_tbEUljE_EEESV_SW_SX_S14_S18_S1A_T6_T7_T9_mT8_S1C_bDpT10_ENKUlT_T0_E_clISt17integral_constantIbLb0EES1P_EEDaS1K_S1L_EUlS1K_E_NS1_11comp_targetILNS1_3genE0ELNS1_11target_archE4294967295ELNS1_3gpuE0ELNS1_3repE0EEENS1_30default_config_static_selectorELNS0_4arch9wavefront6targetE0EEEvSY_
		.amdhsa_group_segment_fixed_size 0
		.amdhsa_private_segment_fixed_size 0
		.amdhsa_kernarg_size 144
		.amdhsa_user_sgpr_count 15
		.amdhsa_user_sgpr_dispatch_ptr 0
		.amdhsa_user_sgpr_queue_ptr 0
		.amdhsa_user_sgpr_kernarg_segment_ptr 1
		.amdhsa_user_sgpr_dispatch_id 0
		.amdhsa_user_sgpr_private_segment_size 0
		.amdhsa_wavefront_size32 1
		.amdhsa_uses_dynamic_stack 0
		.amdhsa_enable_private_segment 0
		.amdhsa_system_sgpr_workgroup_id_x 1
		.amdhsa_system_sgpr_workgroup_id_y 0
		.amdhsa_system_sgpr_workgroup_id_z 0
		.amdhsa_system_sgpr_workgroup_info 0
		.amdhsa_system_vgpr_workitem_id 0
		.amdhsa_next_free_vgpr 1
		.amdhsa_next_free_sgpr 1
		.amdhsa_reserve_vcc 0
		.amdhsa_float_round_mode_32 0
		.amdhsa_float_round_mode_16_64 0
		.amdhsa_float_denorm_mode_32 3
		.amdhsa_float_denorm_mode_16_64 3
		.amdhsa_dx10_clamp 1
		.amdhsa_ieee_mode 1
		.amdhsa_fp16_overflow 0
		.amdhsa_workgroup_processor_mode 1
		.amdhsa_memory_ordered 1
		.amdhsa_forward_progress 0
		.amdhsa_shared_vgpr_count 0
		.amdhsa_exception_fp_ieee_invalid_op 0
		.amdhsa_exception_fp_denorm_src 0
		.amdhsa_exception_fp_ieee_div_zero 0
		.amdhsa_exception_fp_ieee_overflow 0
		.amdhsa_exception_fp_ieee_underflow 0
		.amdhsa_exception_fp_ieee_inexact 0
		.amdhsa_exception_int_div_zero 0
	.end_amdhsa_kernel
	.section	.text._ZN7rocprim17ROCPRIM_400000_NS6detail17trampoline_kernelINS0_13select_configILj256ELj13ELNS0_17block_load_methodE3ELS4_3ELS4_3ELNS0_20block_scan_algorithmE0ELj4294967295EEENS1_25partition_config_selectorILNS1_17partition_subalgoE3EjNS0_10empty_typeEbEEZZNS1_14partition_implILS8_3ELb0ES6_jNS0_17counting_iteratorIjlEEPS9_SE_NS0_5tupleIJPjSE_EEENSF_IJSE_SE_EEES9_SG_JZNS1_25segmented_radix_sort_implINS0_14default_configELb0EPKaPaPKlPlN2at6native12_GLOBAL__N_18offset_tEEE10hipError_tPvRmT1_PNSt15iterator_traitsISY_E10value_typeET2_T3_PNSZ_IS14_E10value_typeET4_jRbjT5_S1A_jjP12ihipStream_tbEUljE_EEESV_SW_SX_S14_S18_S1A_T6_T7_T9_mT8_S1C_bDpT10_ENKUlT_T0_E_clISt17integral_constantIbLb0EES1P_EEDaS1K_S1L_EUlS1K_E_NS1_11comp_targetILNS1_3genE0ELNS1_11target_archE4294967295ELNS1_3gpuE0ELNS1_3repE0EEENS1_30default_config_static_selectorELNS0_4arch9wavefront6targetE0EEEvSY_,"axG",@progbits,_ZN7rocprim17ROCPRIM_400000_NS6detail17trampoline_kernelINS0_13select_configILj256ELj13ELNS0_17block_load_methodE3ELS4_3ELS4_3ELNS0_20block_scan_algorithmE0ELj4294967295EEENS1_25partition_config_selectorILNS1_17partition_subalgoE3EjNS0_10empty_typeEbEEZZNS1_14partition_implILS8_3ELb0ES6_jNS0_17counting_iteratorIjlEEPS9_SE_NS0_5tupleIJPjSE_EEENSF_IJSE_SE_EEES9_SG_JZNS1_25segmented_radix_sort_implINS0_14default_configELb0EPKaPaPKlPlN2at6native12_GLOBAL__N_18offset_tEEE10hipError_tPvRmT1_PNSt15iterator_traitsISY_E10value_typeET2_T3_PNSZ_IS14_E10value_typeET4_jRbjT5_S1A_jjP12ihipStream_tbEUljE_EEESV_SW_SX_S14_S18_S1A_T6_T7_T9_mT8_S1C_bDpT10_ENKUlT_T0_E_clISt17integral_constantIbLb0EES1P_EEDaS1K_S1L_EUlS1K_E_NS1_11comp_targetILNS1_3genE0ELNS1_11target_archE4294967295ELNS1_3gpuE0ELNS1_3repE0EEENS1_30default_config_static_selectorELNS0_4arch9wavefront6targetE0EEEvSY_,comdat
.Lfunc_end361:
	.size	_ZN7rocprim17ROCPRIM_400000_NS6detail17trampoline_kernelINS0_13select_configILj256ELj13ELNS0_17block_load_methodE3ELS4_3ELS4_3ELNS0_20block_scan_algorithmE0ELj4294967295EEENS1_25partition_config_selectorILNS1_17partition_subalgoE3EjNS0_10empty_typeEbEEZZNS1_14partition_implILS8_3ELb0ES6_jNS0_17counting_iteratorIjlEEPS9_SE_NS0_5tupleIJPjSE_EEENSF_IJSE_SE_EEES9_SG_JZNS1_25segmented_radix_sort_implINS0_14default_configELb0EPKaPaPKlPlN2at6native12_GLOBAL__N_18offset_tEEE10hipError_tPvRmT1_PNSt15iterator_traitsISY_E10value_typeET2_T3_PNSZ_IS14_E10value_typeET4_jRbjT5_S1A_jjP12ihipStream_tbEUljE_EEESV_SW_SX_S14_S18_S1A_T6_T7_T9_mT8_S1C_bDpT10_ENKUlT_T0_E_clISt17integral_constantIbLb0EES1P_EEDaS1K_S1L_EUlS1K_E_NS1_11comp_targetILNS1_3genE0ELNS1_11target_archE4294967295ELNS1_3gpuE0ELNS1_3repE0EEENS1_30default_config_static_selectorELNS0_4arch9wavefront6targetE0EEEvSY_, .Lfunc_end361-_ZN7rocprim17ROCPRIM_400000_NS6detail17trampoline_kernelINS0_13select_configILj256ELj13ELNS0_17block_load_methodE3ELS4_3ELS4_3ELNS0_20block_scan_algorithmE0ELj4294967295EEENS1_25partition_config_selectorILNS1_17partition_subalgoE3EjNS0_10empty_typeEbEEZZNS1_14partition_implILS8_3ELb0ES6_jNS0_17counting_iteratorIjlEEPS9_SE_NS0_5tupleIJPjSE_EEENSF_IJSE_SE_EEES9_SG_JZNS1_25segmented_radix_sort_implINS0_14default_configELb0EPKaPaPKlPlN2at6native12_GLOBAL__N_18offset_tEEE10hipError_tPvRmT1_PNSt15iterator_traitsISY_E10value_typeET2_T3_PNSZ_IS14_E10value_typeET4_jRbjT5_S1A_jjP12ihipStream_tbEUljE_EEESV_SW_SX_S14_S18_S1A_T6_T7_T9_mT8_S1C_bDpT10_ENKUlT_T0_E_clISt17integral_constantIbLb0EES1P_EEDaS1K_S1L_EUlS1K_E_NS1_11comp_targetILNS1_3genE0ELNS1_11target_archE4294967295ELNS1_3gpuE0ELNS1_3repE0EEENS1_30default_config_static_selectorELNS0_4arch9wavefront6targetE0EEEvSY_
                                        ; -- End function
	.section	.AMDGPU.csdata,"",@progbits
; Kernel info:
; codeLenInByte = 0
; NumSgprs: 0
; NumVgprs: 0
; ScratchSize: 0
; MemoryBound: 0
; FloatMode: 240
; IeeeMode: 1
; LDSByteSize: 0 bytes/workgroup (compile time only)
; SGPRBlocks: 0
; VGPRBlocks: 0
; NumSGPRsForWavesPerEU: 1
; NumVGPRsForWavesPerEU: 1
; Occupancy: 16
; WaveLimiterHint : 0
; COMPUTE_PGM_RSRC2:SCRATCH_EN: 0
; COMPUTE_PGM_RSRC2:USER_SGPR: 15
; COMPUTE_PGM_RSRC2:TRAP_HANDLER: 0
; COMPUTE_PGM_RSRC2:TGID_X_EN: 1
; COMPUTE_PGM_RSRC2:TGID_Y_EN: 0
; COMPUTE_PGM_RSRC2:TGID_Z_EN: 0
; COMPUTE_PGM_RSRC2:TIDIG_COMP_CNT: 0
	.section	.text._ZN7rocprim17ROCPRIM_400000_NS6detail17trampoline_kernelINS0_13select_configILj256ELj13ELNS0_17block_load_methodE3ELS4_3ELS4_3ELNS0_20block_scan_algorithmE0ELj4294967295EEENS1_25partition_config_selectorILNS1_17partition_subalgoE3EjNS0_10empty_typeEbEEZZNS1_14partition_implILS8_3ELb0ES6_jNS0_17counting_iteratorIjlEEPS9_SE_NS0_5tupleIJPjSE_EEENSF_IJSE_SE_EEES9_SG_JZNS1_25segmented_radix_sort_implINS0_14default_configELb0EPKaPaPKlPlN2at6native12_GLOBAL__N_18offset_tEEE10hipError_tPvRmT1_PNSt15iterator_traitsISY_E10value_typeET2_T3_PNSZ_IS14_E10value_typeET4_jRbjT5_S1A_jjP12ihipStream_tbEUljE_EEESV_SW_SX_S14_S18_S1A_T6_T7_T9_mT8_S1C_bDpT10_ENKUlT_T0_E_clISt17integral_constantIbLb0EES1P_EEDaS1K_S1L_EUlS1K_E_NS1_11comp_targetILNS1_3genE5ELNS1_11target_archE942ELNS1_3gpuE9ELNS1_3repE0EEENS1_30default_config_static_selectorELNS0_4arch9wavefront6targetE0EEEvSY_,"axG",@progbits,_ZN7rocprim17ROCPRIM_400000_NS6detail17trampoline_kernelINS0_13select_configILj256ELj13ELNS0_17block_load_methodE3ELS4_3ELS4_3ELNS0_20block_scan_algorithmE0ELj4294967295EEENS1_25partition_config_selectorILNS1_17partition_subalgoE3EjNS0_10empty_typeEbEEZZNS1_14partition_implILS8_3ELb0ES6_jNS0_17counting_iteratorIjlEEPS9_SE_NS0_5tupleIJPjSE_EEENSF_IJSE_SE_EEES9_SG_JZNS1_25segmented_radix_sort_implINS0_14default_configELb0EPKaPaPKlPlN2at6native12_GLOBAL__N_18offset_tEEE10hipError_tPvRmT1_PNSt15iterator_traitsISY_E10value_typeET2_T3_PNSZ_IS14_E10value_typeET4_jRbjT5_S1A_jjP12ihipStream_tbEUljE_EEESV_SW_SX_S14_S18_S1A_T6_T7_T9_mT8_S1C_bDpT10_ENKUlT_T0_E_clISt17integral_constantIbLb0EES1P_EEDaS1K_S1L_EUlS1K_E_NS1_11comp_targetILNS1_3genE5ELNS1_11target_archE942ELNS1_3gpuE9ELNS1_3repE0EEENS1_30default_config_static_selectorELNS0_4arch9wavefront6targetE0EEEvSY_,comdat
	.globl	_ZN7rocprim17ROCPRIM_400000_NS6detail17trampoline_kernelINS0_13select_configILj256ELj13ELNS0_17block_load_methodE3ELS4_3ELS4_3ELNS0_20block_scan_algorithmE0ELj4294967295EEENS1_25partition_config_selectorILNS1_17partition_subalgoE3EjNS0_10empty_typeEbEEZZNS1_14partition_implILS8_3ELb0ES6_jNS0_17counting_iteratorIjlEEPS9_SE_NS0_5tupleIJPjSE_EEENSF_IJSE_SE_EEES9_SG_JZNS1_25segmented_radix_sort_implINS0_14default_configELb0EPKaPaPKlPlN2at6native12_GLOBAL__N_18offset_tEEE10hipError_tPvRmT1_PNSt15iterator_traitsISY_E10value_typeET2_T3_PNSZ_IS14_E10value_typeET4_jRbjT5_S1A_jjP12ihipStream_tbEUljE_EEESV_SW_SX_S14_S18_S1A_T6_T7_T9_mT8_S1C_bDpT10_ENKUlT_T0_E_clISt17integral_constantIbLb0EES1P_EEDaS1K_S1L_EUlS1K_E_NS1_11comp_targetILNS1_3genE5ELNS1_11target_archE942ELNS1_3gpuE9ELNS1_3repE0EEENS1_30default_config_static_selectorELNS0_4arch9wavefront6targetE0EEEvSY_ ; -- Begin function _ZN7rocprim17ROCPRIM_400000_NS6detail17trampoline_kernelINS0_13select_configILj256ELj13ELNS0_17block_load_methodE3ELS4_3ELS4_3ELNS0_20block_scan_algorithmE0ELj4294967295EEENS1_25partition_config_selectorILNS1_17partition_subalgoE3EjNS0_10empty_typeEbEEZZNS1_14partition_implILS8_3ELb0ES6_jNS0_17counting_iteratorIjlEEPS9_SE_NS0_5tupleIJPjSE_EEENSF_IJSE_SE_EEES9_SG_JZNS1_25segmented_radix_sort_implINS0_14default_configELb0EPKaPaPKlPlN2at6native12_GLOBAL__N_18offset_tEEE10hipError_tPvRmT1_PNSt15iterator_traitsISY_E10value_typeET2_T3_PNSZ_IS14_E10value_typeET4_jRbjT5_S1A_jjP12ihipStream_tbEUljE_EEESV_SW_SX_S14_S18_S1A_T6_T7_T9_mT8_S1C_bDpT10_ENKUlT_T0_E_clISt17integral_constantIbLb0EES1P_EEDaS1K_S1L_EUlS1K_E_NS1_11comp_targetILNS1_3genE5ELNS1_11target_archE942ELNS1_3gpuE9ELNS1_3repE0EEENS1_30default_config_static_selectorELNS0_4arch9wavefront6targetE0EEEvSY_
	.p2align	8
	.type	_ZN7rocprim17ROCPRIM_400000_NS6detail17trampoline_kernelINS0_13select_configILj256ELj13ELNS0_17block_load_methodE3ELS4_3ELS4_3ELNS0_20block_scan_algorithmE0ELj4294967295EEENS1_25partition_config_selectorILNS1_17partition_subalgoE3EjNS0_10empty_typeEbEEZZNS1_14partition_implILS8_3ELb0ES6_jNS0_17counting_iteratorIjlEEPS9_SE_NS0_5tupleIJPjSE_EEENSF_IJSE_SE_EEES9_SG_JZNS1_25segmented_radix_sort_implINS0_14default_configELb0EPKaPaPKlPlN2at6native12_GLOBAL__N_18offset_tEEE10hipError_tPvRmT1_PNSt15iterator_traitsISY_E10value_typeET2_T3_PNSZ_IS14_E10value_typeET4_jRbjT5_S1A_jjP12ihipStream_tbEUljE_EEESV_SW_SX_S14_S18_S1A_T6_T7_T9_mT8_S1C_bDpT10_ENKUlT_T0_E_clISt17integral_constantIbLb0EES1P_EEDaS1K_S1L_EUlS1K_E_NS1_11comp_targetILNS1_3genE5ELNS1_11target_archE942ELNS1_3gpuE9ELNS1_3repE0EEENS1_30default_config_static_selectorELNS0_4arch9wavefront6targetE0EEEvSY_,@function
_ZN7rocprim17ROCPRIM_400000_NS6detail17trampoline_kernelINS0_13select_configILj256ELj13ELNS0_17block_load_methodE3ELS4_3ELS4_3ELNS0_20block_scan_algorithmE0ELj4294967295EEENS1_25partition_config_selectorILNS1_17partition_subalgoE3EjNS0_10empty_typeEbEEZZNS1_14partition_implILS8_3ELb0ES6_jNS0_17counting_iteratorIjlEEPS9_SE_NS0_5tupleIJPjSE_EEENSF_IJSE_SE_EEES9_SG_JZNS1_25segmented_radix_sort_implINS0_14default_configELb0EPKaPaPKlPlN2at6native12_GLOBAL__N_18offset_tEEE10hipError_tPvRmT1_PNSt15iterator_traitsISY_E10value_typeET2_T3_PNSZ_IS14_E10value_typeET4_jRbjT5_S1A_jjP12ihipStream_tbEUljE_EEESV_SW_SX_S14_S18_S1A_T6_T7_T9_mT8_S1C_bDpT10_ENKUlT_T0_E_clISt17integral_constantIbLb0EES1P_EEDaS1K_S1L_EUlS1K_E_NS1_11comp_targetILNS1_3genE5ELNS1_11target_archE942ELNS1_3gpuE9ELNS1_3repE0EEENS1_30default_config_static_selectorELNS0_4arch9wavefront6targetE0EEEvSY_: ; @_ZN7rocprim17ROCPRIM_400000_NS6detail17trampoline_kernelINS0_13select_configILj256ELj13ELNS0_17block_load_methodE3ELS4_3ELS4_3ELNS0_20block_scan_algorithmE0ELj4294967295EEENS1_25partition_config_selectorILNS1_17partition_subalgoE3EjNS0_10empty_typeEbEEZZNS1_14partition_implILS8_3ELb0ES6_jNS0_17counting_iteratorIjlEEPS9_SE_NS0_5tupleIJPjSE_EEENSF_IJSE_SE_EEES9_SG_JZNS1_25segmented_radix_sort_implINS0_14default_configELb0EPKaPaPKlPlN2at6native12_GLOBAL__N_18offset_tEEE10hipError_tPvRmT1_PNSt15iterator_traitsISY_E10value_typeET2_T3_PNSZ_IS14_E10value_typeET4_jRbjT5_S1A_jjP12ihipStream_tbEUljE_EEESV_SW_SX_S14_S18_S1A_T6_T7_T9_mT8_S1C_bDpT10_ENKUlT_T0_E_clISt17integral_constantIbLb0EES1P_EEDaS1K_S1L_EUlS1K_E_NS1_11comp_targetILNS1_3genE5ELNS1_11target_archE942ELNS1_3gpuE9ELNS1_3repE0EEENS1_30default_config_static_selectorELNS0_4arch9wavefront6targetE0EEEvSY_
; %bb.0:
	.section	.rodata,"a",@progbits
	.p2align	6, 0x0
	.amdhsa_kernel _ZN7rocprim17ROCPRIM_400000_NS6detail17trampoline_kernelINS0_13select_configILj256ELj13ELNS0_17block_load_methodE3ELS4_3ELS4_3ELNS0_20block_scan_algorithmE0ELj4294967295EEENS1_25partition_config_selectorILNS1_17partition_subalgoE3EjNS0_10empty_typeEbEEZZNS1_14partition_implILS8_3ELb0ES6_jNS0_17counting_iteratorIjlEEPS9_SE_NS0_5tupleIJPjSE_EEENSF_IJSE_SE_EEES9_SG_JZNS1_25segmented_radix_sort_implINS0_14default_configELb0EPKaPaPKlPlN2at6native12_GLOBAL__N_18offset_tEEE10hipError_tPvRmT1_PNSt15iterator_traitsISY_E10value_typeET2_T3_PNSZ_IS14_E10value_typeET4_jRbjT5_S1A_jjP12ihipStream_tbEUljE_EEESV_SW_SX_S14_S18_S1A_T6_T7_T9_mT8_S1C_bDpT10_ENKUlT_T0_E_clISt17integral_constantIbLb0EES1P_EEDaS1K_S1L_EUlS1K_E_NS1_11comp_targetILNS1_3genE5ELNS1_11target_archE942ELNS1_3gpuE9ELNS1_3repE0EEENS1_30default_config_static_selectorELNS0_4arch9wavefront6targetE0EEEvSY_
		.amdhsa_group_segment_fixed_size 0
		.amdhsa_private_segment_fixed_size 0
		.amdhsa_kernarg_size 144
		.amdhsa_user_sgpr_count 15
		.amdhsa_user_sgpr_dispatch_ptr 0
		.amdhsa_user_sgpr_queue_ptr 0
		.amdhsa_user_sgpr_kernarg_segment_ptr 1
		.amdhsa_user_sgpr_dispatch_id 0
		.amdhsa_user_sgpr_private_segment_size 0
		.amdhsa_wavefront_size32 1
		.amdhsa_uses_dynamic_stack 0
		.amdhsa_enable_private_segment 0
		.amdhsa_system_sgpr_workgroup_id_x 1
		.amdhsa_system_sgpr_workgroup_id_y 0
		.amdhsa_system_sgpr_workgroup_id_z 0
		.amdhsa_system_sgpr_workgroup_info 0
		.amdhsa_system_vgpr_workitem_id 0
		.amdhsa_next_free_vgpr 1
		.amdhsa_next_free_sgpr 1
		.amdhsa_reserve_vcc 0
		.amdhsa_float_round_mode_32 0
		.amdhsa_float_round_mode_16_64 0
		.amdhsa_float_denorm_mode_32 3
		.amdhsa_float_denorm_mode_16_64 3
		.amdhsa_dx10_clamp 1
		.amdhsa_ieee_mode 1
		.amdhsa_fp16_overflow 0
		.amdhsa_workgroup_processor_mode 1
		.amdhsa_memory_ordered 1
		.amdhsa_forward_progress 0
		.amdhsa_shared_vgpr_count 0
		.amdhsa_exception_fp_ieee_invalid_op 0
		.amdhsa_exception_fp_denorm_src 0
		.amdhsa_exception_fp_ieee_div_zero 0
		.amdhsa_exception_fp_ieee_overflow 0
		.amdhsa_exception_fp_ieee_underflow 0
		.amdhsa_exception_fp_ieee_inexact 0
		.amdhsa_exception_int_div_zero 0
	.end_amdhsa_kernel
	.section	.text._ZN7rocprim17ROCPRIM_400000_NS6detail17trampoline_kernelINS0_13select_configILj256ELj13ELNS0_17block_load_methodE3ELS4_3ELS4_3ELNS0_20block_scan_algorithmE0ELj4294967295EEENS1_25partition_config_selectorILNS1_17partition_subalgoE3EjNS0_10empty_typeEbEEZZNS1_14partition_implILS8_3ELb0ES6_jNS0_17counting_iteratorIjlEEPS9_SE_NS0_5tupleIJPjSE_EEENSF_IJSE_SE_EEES9_SG_JZNS1_25segmented_radix_sort_implINS0_14default_configELb0EPKaPaPKlPlN2at6native12_GLOBAL__N_18offset_tEEE10hipError_tPvRmT1_PNSt15iterator_traitsISY_E10value_typeET2_T3_PNSZ_IS14_E10value_typeET4_jRbjT5_S1A_jjP12ihipStream_tbEUljE_EEESV_SW_SX_S14_S18_S1A_T6_T7_T9_mT8_S1C_bDpT10_ENKUlT_T0_E_clISt17integral_constantIbLb0EES1P_EEDaS1K_S1L_EUlS1K_E_NS1_11comp_targetILNS1_3genE5ELNS1_11target_archE942ELNS1_3gpuE9ELNS1_3repE0EEENS1_30default_config_static_selectorELNS0_4arch9wavefront6targetE0EEEvSY_,"axG",@progbits,_ZN7rocprim17ROCPRIM_400000_NS6detail17trampoline_kernelINS0_13select_configILj256ELj13ELNS0_17block_load_methodE3ELS4_3ELS4_3ELNS0_20block_scan_algorithmE0ELj4294967295EEENS1_25partition_config_selectorILNS1_17partition_subalgoE3EjNS0_10empty_typeEbEEZZNS1_14partition_implILS8_3ELb0ES6_jNS0_17counting_iteratorIjlEEPS9_SE_NS0_5tupleIJPjSE_EEENSF_IJSE_SE_EEES9_SG_JZNS1_25segmented_radix_sort_implINS0_14default_configELb0EPKaPaPKlPlN2at6native12_GLOBAL__N_18offset_tEEE10hipError_tPvRmT1_PNSt15iterator_traitsISY_E10value_typeET2_T3_PNSZ_IS14_E10value_typeET4_jRbjT5_S1A_jjP12ihipStream_tbEUljE_EEESV_SW_SX_S14_S18_S1A_T6_T7_T9_mT8_S1C_bDpT10_ENKUlT_T0_E_clISt17integral_constantIbLb0EES1P_EEDaS1K_S1L_EUlS1K_E_NS1_11comp_targetILNS1_3genE5ELNS1_11target_archE942ELNS1_3gpuE9ELNS1_3repE0EEENS1_30default_config_static_selectorELNS0_4arch9wavefront6targetE0EEEvSY_,comdat
.Lfunc_end362:
	.size	_ZN7rocprim17ROCPRIM_400000_NS6detail17trampoline_kernelINS0_13select_configILj256ELj13ELNS0_17block_load_methodE3ELS4_3ELS4_3ELNS0_20block_scan_algorithmE0ELj4294967295EEENS1_25partition_config_selectorILNS1_17partition_subalgoE3EjNS0_10empty_typeEbEEZZNS1_14partition_implILS8_3ELb0ES6_jNS0_17counting_iteratorIjlEEPS9_SE_NS0_5tupleIJPjSE_EEENSF_IJSE_SE_EEES9_SG_JZNS1_25segmented_radix_sort_implINS0_14default_configELb0EPKaPaPKlPlN2at6native12_GLOBAL__N_18offset_tEEE10hipError_tPvRmT1_PNSt15iterator_traitsISY_E10value_typeET2_T3_PNSZ_IS14_E10value_typeET4_jRbjT5_S1A_jjP12ihipStream_tbEUljE_EEESV_SW_SX_S14_S18_S1A_T6_T7_T9_mT8_S1C_bDpT10_ENKUlT_T0_E_clISt17integral_constantIbLb0EES1P_EEDaS1K_S1L_EUlS1K_E_NS1_11comp_targetILNS1_3genE5ELNS1_11target_archE942ELNS1_3gpuE9ELNS1_3repE0EEENS1_30default_config_static_selectorELNS0_4arch9wavefront6targetE0EEEvSY_, .Lfunc_end362-_ZN7rocprim17ROCPRIM_400000_NS6detail17trampoline_kernelINS0_13select_configILj256ELj13ELNS0_17block_load_methodE3ELS4_3ELS4_3ELNS0_20block_scan_algorithmE0ELj4294967295EEENS1_25partition_config_selectorILNS1_17partition_subalgoE3EjNS0_10empty_typeEbEEZZNS1_14partition_implILS8_3ELb0ES6_jNS0_17counting_iteratorIjlEEPS9_SE_NS0_5tupleIJPjSE_EEENSF_IJSE_SE_EEES9_SG_JZNS1_25segmented_radix_sort_implINS0_14default_configELb0EPKaPaPKlPlN2at6native12_GLOBAL__N_18offset_tEEE10hipError_tPvRmT1_PNSt15iterator_traitsISY_E10value_typeET2_T3_PNSZ_IS14_E10value_typeET4_jRbjT5_S1A_jjP12ihipStream_tbEUljE_EEESV_SW_SX_S14_S18_S1A_T6_T7_T9_mT8_S1C_bDpT10_ENKUlT_T0_E_clISt17integral_constantIbLb0EES1P_EEDaS1K_S1L_EUlS1K_E_NS1_11comp_targetILNS1_3genE5ELNS1_11target_archE942ELNS1_3gpuE9ELNS1_3repE0EEENS1_30default_config_static_selectorELNS0_4arch9wavefront6targetE0EEEvSY_
                                        ; -- End function
	.section	.AMDGPU.csdata,"",@progbits
; Kernel info:
; codeLenInByte = 0
; NumSgprs: 0
; NumVgprs: 0
; ScratchSize: 0
; MemoryBound: 0
; FloatMode: 240
; IeeeMode: 1
; LDSByteSize: 0 bytes/workgroup (compile time only)
; SGPRBlocks: 0
; VGPRBlocks: 0
; NumSGPRsForWavesPerEU: 1
; NumVGPRsForWavesPerEU: 1
; Occupancy: 16
; WaveLimiterHint : 0
; COMPUTE_PGM_RSRC2:SCRATCH_EN: 0
; COMPUTE_PGM_RSRC2:USER_SGPR: 15
; COMPUTE_PGM_RSRC2:TRAP_HANDLER: 0
; COMPUTE_PGM_RSRC2:TGID_X_EN: 1
; COMPUTE_PGM_RSRC2:TGID_Y_EN: 0
; COMPUTE_PGM_RSRC2:TGID_Z_EN: 0
; COMPUTE_PGM_RSRC2:TIDIG_COMP_CNT: 0
	.section	.text._ZN7rocprim17ROCPRIM_400000_NS6detail17trampoline_kernelINS0_13select_configILj256ELj13ELNS0_17block_load_methodE3ELS4_3ELS4_3ELNS0_20block_scan_algorithmE0ELj4294967295EEENS1_25partition_config_selectorILNS1_17partition_subalgoE3EjNS0_10empty_typeEbEEZZNS1_14partition_implILS8_3ELb0ES6_jNS0_17counting_iteratorIjlEEPS9_SE_NS0_5tupleIJPjSE_EEENSF_IJSE_SE_EEES9_SG_JZNS1_25segmented_radix_sort_implINS0_14default_configELb0EPKaPaPKlPlN2at6native12_GLOBAL__N_18offset_tEEE10hipError_tPvRmT1_PNSt15iterator_traitsISY_E10value_typeET2_T3_PNSZ_IS14_E10value_typeET4_jRbjT5_S1A_jjP12ihipStream_tbEUljE_EEESV_SW_SX_S14_S18_S1A_T6_T7_T9_mT8_S1C_bDpT10_ENKUlT_T0_E_clISt17integral_constantIbLb0EES1P_EEDaS1K_S1L_EUlS1K_E_NS1_11comp_targetILNS1_3genE4ELNS1_11target_archE910ELNS1_3gpuE8ELNS1_3repE0EEENS1_30default_config_static_selectorELNS0_4arch9wavefront6targetE0EEEvSY_,"axG",@progbits,_ZN7rocprim17ROCPRIM_400000_NS6detail17trampoline_kernelINS0_13select_configILj256ELj13ELNS0_17block_load_methodE3ELS4_3ELS4_3ELNS0_20block_scan_algorithmE0ELj4294967295EEENS1_25partition_config_selectorILNS1_17partition_subalgoE3EjNS0_10empty_typeEbEEZZNS1_14partition_implILS8_3ELb0ES6_jNS0_17counting_iteratorIjlEEPS9_SE_NS0_5tupleIJPjSE_EEENSF_IJSE_SE_EEES9_SG_JZNS1_25segmented_radix_sort_implINS0_14default_configELb0EPKaPaPKlPlN2at6native12_GLOBAL__N_18offset_tEEE10hipError_tPvRmT1_PNSt15iterator_traitsISY_E10value_typeET2_T3_PNSZ_IS14_E10value_typeET4_jRbjT5_S1A_jjP12ihipStream_tbEUljE_EEESV_SW_SX_S14_S18_S1A_T6_T7_T9_mT8_S1C_bDpT10_ENKUlT_T0_E_clISt17integral_constantIbLb0EES1P_EEDaS1K_S1L_EUlS1K_E_NS1_11comp_targetILNS1_3genE4ELNS1_11target_archE910ELNS1_3gpuE8ELNS1_3repE0EEENS1_30default_config_static_selectorELNS0_4arch9wavefront6targetE0EEEvSY_,comdat
	.globl	_ZN7rocprim17ROCPRIM_400000_NS6detail17trampoline_kernelINS0_13select_configILj256ELj13ELNS0_17block_load_methodE3ELS4_3ELS4_3ELNS0_20block_scan_algorithmE0ELj4294967295EEENS1_25partition_config_selectorILNS1_17partition_subalgoE3EjNS0_10empty_typeEbEEZZNS1_14partition_implILS8_3ELb0ES6_jNS0_17counting_iteratorIjlEEPS9_SE_NS0_5tupleIJPjSE_EEENSF_IJSE_SE_EEES9_SG_JZNS1_25segmented_radix_sort_implINS0_14default_configELb0EPKaPaPKlPlN2at6native12_GLOBAL__N_18offset_tEEE10hipError_tPvRmT1_PNSt15iterator_traitsISY_E10value_typeET2_T3_PNSZ_IS14_E10value_typeET4_jRbjT5_S1A_jjP12ihipStream_tbEUljE_EEESV_SW_SX_S14_S18_S1A_T6_T7_T9_mT8_S1C_bDpT10_ENKUlT_T0_E_clISt17integral_constantIbLb0EES1P_EEDaS1K_S1L_EUlS1K_E_NS1_11comp_targetILNS1_3genE4ELNS1_11target_archE910ELNS1_3gpuE8ELNS1_3repE0EEENS1_30default_config_static_selectorELNS0_4arch9wavefront6targetE0EEEvSY_ ; -- Begin function _ZN7rocprim17ROCPRIM_400000_NS6detail17trampoline_kernelINS0_13select_configILj256ELj13ELNS0_17block_load_methodE3ELS4_3ELS4_3ELNS0_20block_scan_algorithmE0ELj4294967295EEENS1_25partition_config_selectorILNS1_17partition_subalgoE3EjNS0_10empty_typeEbEEZZNS1_14partition_implILS8_3ELb0ES6_jNS0_17counting_iteratorIjlEEPS9_SE_NS0_5tupleIJPjSE_EEENSF_IJSE_SE_EEES9_SG_JZNS1_25segmented_radix_sort_implINS0_14default_configELb0EPKaPaPKlPlN2at6native12_GLOBAL__N_18offset_tEEE10hipError_tPvRmT1_PNSt15iterator_traitsISY_E10value_typeET2_T3_PNSZ_IS14_E10value_typeET4_jRbjT5_S1A_jjP12ihipStream_tbEUljE_EEESV_SW_SX_S14_S18_S1A_T6_T7_T9_mT8_S1C_bDpT10_ENKUlT_T0_E_clISt17integral_constantIbLb0EES1P_EEDaS1K_S1L_EUlS1K_E_NS1_11comp_targetILNS1_3genE4ELNS1_11target_archE910ELNS1_3gpuE8ELNS1_3repE0EEENS1_30default_config_static_selectorELNS0_4arch9wavefront6targetE0EEEvSY_
	.p2align	8
	.type	_ZN7rocprim17ROCPRIM_400000_NS6detail17trampoline_kernelINS0_13select_configILj256ELj13ELNS0_17block_load_methodE3ELS4_3ELS4_3ELNS0_20block_scan_algorithmE0ELj4294967295EEENS1_25partition_config_selectorILNS1_17partition_subalgoE3EjNS0_10empty_typeEbEEZZNS1_14partition_implILS8_3ELb0ES6_jNS0_17counting_iteratorIjlEEPS9_SE_NS0_5tupleIJPjSE_EEENSF_IJSE_SE_EEES9_SG_JZNS1_25segmented_radix_sort_implINS0_14default_configELb0EPKaPaPKlPlN2at6native12_GLOBAL__N_18offset_tEEE10hipError_tPvRmT1_PNSt15iterator_traitsISY_E10value_typeET2_T3_PNSZ_IS14_E10value_typeET4_jRbjT5_S1A_jjP12ihipStream_tbEUljE_EEESV_SW_SX_S14_S18_S1A_T6_T7_T9_mT8_S1C_bDpT10_ENKUlT_T0_E_clISt17integral_constantIbLb0EES1P_EEDaS1K_S1L_EUlS1K_E_NS1_11comp_targetILNS1_3genE4ELNS1_11target_archE910ELNS1_3gpuE8ELNS1_3repE0EEENS1_30default_config_static_selectorELNS0_4arch9wavefront6targetE0EEEvSY_,@function
_ZN7rocprim17ROCPRIM_400000_NS6detail17trampoline_kernelINS0_13select_configILj256ELj13ELNS0_17block_load_methodE3ELS4_3ELS4_3ELNS0_20block_scan_algorithmE0ELj4294967295EEENS1_25partition_config_selectorILNS1_17partition_subalgoE3EjNS0_10empty_typeEbEEZZNS1_14partition_implILS8_3ELb0ES6_jNS0_17counting_iteratorIjlEEPS9_SE_NS0_5tupleIJPjSE_EEENSF_IJSE_SE_EEES9_SG_JZNS1_25segmented_radix_sort_implINS0_14default_configELb0EPKaPaPKlPlN2at6native12_GLOBAL__N_18offset_tEEE10hipError_tPvRmT1_PNSt15iterator_traitsISY_E10value_typeET2_T3_PNSZ_IS14_E10value_typeET4_jRbjT5_S1A_jjP12ihipStream_tbEUljE_EEESV_SW_SX_S14_S18_S1A_T6_T7_T9_mT8_S1C_bDpT10_ENKUlT_T0_E_clISt17integral_constantIbLb0EES1P_EEDaS1K_S1L_EUlS1K_E_NS1_11comp_targetILNS1_3genE4ELNS1_11target_archE910ELNS1_3gpuE8ELNS1_3repE0EEENS1_30default_config_static_selectorELNS0_4arch9wavefront6targetE0EEEvSY_: ; @_ZN7rocprim17ROCPRIM_400000_NS6detail17trampoline_kernelINS0_13select_configILj256ELj13ELNS0_17block_load_methodE3ELS4_3ELS4_3ELNS0_20block_scan_algorithmE0ELj4294967295EEENS1_25partition_config_selectorILNS1_17partition_subalgoE3EjNS0_10empty_typeEbEEZZNS1_14partition_implILS8_3ELb0ES6_jNS0_17counting_iteratorIjlEEPS9_SE_NS0_5tupleIJPjSE_EEENSF_IJSE_SE_EEES9_SG_JZNS1_25segmented_radix_sort_implINS0_14default_configELb0EPKaPaPKlPlN2at6native12_GLOBAL__N_18offset_tEEE10hipError_tPvRmT1_PNSt15iterator_traitsISY_E10value_typeET2_T3_PNSZ_IS14_E10value_typeET4_jRbjT5_S1A_jjP12ihipStream_tbEUljE_EEESV_SW_SX_S14_S18_S1A_T6_T7_T9_mT8_S1C_bDpT10_ENKUlT_T0_E_clISt17integral_constantIbLb0EES1P_EEDaS1K_S1L_EUlS1K_E_NS1_11comp_targetILNS1_3genE4ELNS1_11target_archE910ELNS1_3gpuE8ELNS1_3repE0EEENS1_30default_config_static_selectorELNS0_4arch9wavefront6targetE0EEEvSY_
; %bb.0:
	.section	.rodata,"a",@progbits
	.p2align	6, 0x0
	.amdhsa_kernel _ZN7rocprim17ROCPRIM_400000_NS6detail17trampoline_kernelINS0_13select_configILj256ELj13ELNS0_17block_load_methodE3ELS4_3ELS4_3ELNS0_20block_scan_algorithmE0ELj4294967295EEENS1_25partition_config_selectorILNS1_17partition_subalgoE3EjNS0_10empty_typeEbEEZZNS1_14partition_implILS8_3ELb0ES6_jNS0_17counting_iteratorIjlEEPS9_SE_NS0_5tupleIJPjSE_EEENSF_IJSE_SE_EEES9_SG_JZNS1_25segmented_radix_sort_implINS0_14default_configELb0EPKaPaPKlPlN2at6native12_GLOBAL__N_18offset_tEEE10hipError_tPvRmT1_PNSt15iterator_traitsISY_E10value_typeET2_T3_PNSZ_IS14_E10value_typeET4_jRbjT5_S1A_jjP12ihipStream_tbEUljE_EEESV_SW_SX_S14_S18_S1A_T6_T7_T9_mT8_S1C_bDpT10_ENKUlT_T0_E_clISt17integral_constantIbLb0EES1P_EEDaS1K_S1L_EUlS1K_E_NS1_11comp_targetILNS1_3genE4ELNS1_11target_archE910ELNS1_3gpuE8ELNS1_3repE0EEENS1_30default_config_static_selectorELNS0_4arch9wavefront6targetE0EEEvSY_
		.amdhsa_group_segment_fixed_size 0
		.amdhsa_private_segment_fixed_size 0
		.amdhsa_kernarg_size 144
		.amdhsa_user_sgpr_count 15
		.amdhsa_user_sgpr_dispatch_ptr 0
		.amdhsa_user_sgpr_queue_ptr 0
		.amdhsa_user_sgpr_kernarg_segment_ptr 1
		.amdhsa_user_sgpr_dispatch_id 0
		.amdhsa_user_sgpr_private_segment_size 0
		.amdhsa_wavefront_size32 1
		.amdhsa_uses_dynamic_stack 0
		.amdhsa_enable_private_segment 0
		.amdhsa_system_sgpr_workgroup_id_x 1
		.amdhsa_system_sgpr_workgroup_id_y 0
		.amdhsa_system_sgpr_workgroup_id_z 0
		.amdhsa_system_sgpr_workgroup_info 0
		.amdhsa_system_vgpr_workitem_id 0
		.amdhsa_next_free_vgpr 1
		.amdhsa_next_free_sgpr 1
		.amdhsa_reserve_vcc 0
		.amdhsa_float_round_mode_32 0
		.amdhsa_float_round_mode_16_64 0
		.amdhsa_float_denorm_mode_32 3
		.amdhsa_float_denorm_mode_16_64 3
		.amdhsa_dx10_clamp 1
		.amdhsa_ieee_mode 1
		.amdhsa_fp16_overflow 0
		.amdhsa_workgroup_processor_mode 1
		.amdhsa_memory_ordered 1
		.amdhsa_forward_progress 0
		.amdhsa_shared_vgpr_count 0
		.amdhsa_exception_fp_ieee_invalid_op 0
		.amdhsa_exception_fp_denorm_src 0
		.amdhsa_exception_fp_ieee_div_zero 0
		.amdhsa_exception_fp_ieee_overflow 0
		.amdhsa_exception_fp_ieee_underflow 0
		.amdhsa_exception_fp_ieee_inexact 0
		.amdhsa_exception_int_div_zero 0
	.end_amdhsa_kernel
	.section	.text._ZN7rocprim17ROCPRIM_400000_NS6detail17trampoline_kernelINS0_13select_configILj256ELj13ELNS0_17block_load_methodE3ELS4_3ELS4_3ELNS0_20block_scan_algorithmE0ELj4294967295EEENS1_25partition_config_selectorILNS1_17partition_subalgoE3EjNS0_10empty_typeEbEEZZNS1_14partition_implILS8_3ELb0ES6_jNS0_17counting_iteratorIjlEEPS9_SE_NS0_5tupleIJPjSE_EEENSF_IJSE_SE_EEES9_SG_JZNS1_25segmented_radix_sort_implINS0_14default_configELb0EPKaPaPKlPlN2at6native12_GLOBAL__N_18offset_tEEE10hipError_tPvRmT1_PNSt15iterator_traitsISY_E10value_typeET2_T3_PNSZ_IS14_E10value_typeET4_jRbjT5_S1A_jjP12ihipStream_tbEUljE_EEESV_SW_SX_S14_S18_S1A_T6_T7_T9_mT8_S1C_bDpT10_ENKUlT_T0_E_clISt17integral_constantIbLb0EES1P_EEDaS1K_S1L_EUlS1K_E_NS1_11comp_targetILNS1_3genE4ELNS1_11target_archE910ELNS1_3gpuE8ELNS1_3repE0EEENS1_30default_config_static_selectorELNS0_4arch9wavefront6targetE0EEEvSY_,"axG",@progbits,_ZN7rocprim17ROCPRIM_400000_NS6detail17trampoline_kernelINS0_13select_configILj256ELj13ELNS0_17block_load_methodE3ELS4_3ELS4_3ELNS0_20block_scan_algorithmE0ELj4294967295EEENS1_25partition_config_selectorILNS1_17partition_subalgoE3EjNS0_10empty_typeEbEEZZNS1_14partition_implILS8_3ELb0ES6_jNS0_17counting_iteratorIjlEEPS9_SE_NS0_5tupleIJPjSE_EEENSF_IJSE_SE_EEES9_SG_JZNS1_25segmented_radix_sort_implINS0_14default_configELb0EPKaPaPKlPlN2at6native12_GLOBAL__N_18offset_tEEE10hipError_tPvRmT1_PNSt15iterator_traitsISY_E10value_typeET2_T3_PNSZ_IS14_E10value_typeET4_jRbjT5_S1A_jjP12ihipStream_tbEUljE_EEESV_SW_SX_S14_S18_S1A_T6_T7_T9_mT8_S1C_bDpT10_ENKUlT_T0_E_clISt17integral_constantIbLb0EES1P_EEDaS1K_S1L_EUlS1K_E_NS1_11comp_targetILNS1_3genE4ELNS1_11target_archE910ELNS1_3gpuE8ELNS1_3repE0EEENS1_30default_config_static_selectorELNS0_4arch9wavefront6targetE0EEEvSY_,comdat
.Lfunc_end363:
	.size	_ZN7rocprim17ROCPRIM_400000_NS6detail17trampoline_kernelINS0_13select_configILj256ELj13ELNS0_17block_load_methodE3ELS4_3ELS4_3ELNS0_20block_scan_algorithmE0ELj4294967295EEENS1_25partition_config_selectorILNS1_17partition_subalgoE3EjNS0_10empty_typeEbEEZZNS1_14partition_implILS8_3ELb0ES6_jNS0_17counting_iteratorIjlEEPS9_SE_NS0_5tupleIJPjSE_EEENSF_IJSE_SE_EEES9_SG_JZNS1_25segmented_radix_sort_implINS0_14default_configELb0EPKaPaPKlPlN2at6native12_GLOBAL__N_18offset_tEEE10hipError_tPvRmT1_PNSt15iterator_traitsISY_E10value_typeET2_T3_PNSZ_IS14_E10value_typeET4_jRbjT5_S1A_jjP12ihipStream_tbEUljE_EEESV_SW_SX_S14_S18_S1A_T6_T7_T9_mT8_S1C_bDpT10_ENKUlT_T0_E_clISt17integral_constantIbLb0EES1P_EEDaS1K_S1L_EUlS1K_E_NS1_11comp_targetILNS1_3genE4ELNS1_11target_archE910ELNS1_3gpuE8ELNS1_3repE0EEENS1_30default_config_static_selectorELNS0_4arch9wavefront6targetE0EEEvSY_, .Lfunc_end363-_ZN7rocprim17ROCPRIM_400000_NS6detail17trampoline_kernelINS0_13select_configILj256ELj13ELNS0_17block_load_methodE3ELS4_3ELS4_3ELNS0_20block_scan_algorithmE0ELj4294967295EEENS1_25partition_config_selectorILNS1_17partition_subalgoE3EjNS0_10empty_typeEbEEZZNS1_14partition_implILS8_3ELb0ES6_jNS0_17counting_iteratorIjlEEPS9_SE_NS0_5tupleIJPjSE_EEENSF_IJSE_SE_EEES9_SG_JZNS1_25segmented_radix_sort_implINS0_14default_configELb0EPKaPaPKlPlN2at6native12_GLOBAL__N_18offset_tEEE10hipError_tPvRmT1_PNSt15iterator_traitsISY_E10value_typeET2_T3_PNSZ_IS14_E10value_typeET4_jRbjT5_S1A_jjP12ihipStream_tbEUljE_EEESV_SW_SX_S14_S18_S1A_T6_T7_T9_mT8_S1C_bDpT10_ENKUlT_T0_E_clISt17integral_constantIbLb0EES1P_EEDaS1K_S1L_EUlS1K_E_NS1_11comp_targetILNS1_3genE4ELNS1_11target_archE910ELNS1_3gpuE8ELNS1_3repE0EEENS1_30default_config_static_selectorELNS0_4arch9wavefront6targetE0EEEvSY_
                                        ; -- End function
	.section	.AMDGPU.csdata,"",@progbits
; Kernel info:
; codeLenInByte = 0
; NumSgprs: 0
; NumVgprs: 0
; ScratchSize: 0
; MemoryBound: 0
; FloatMode: 240
; IeeeMode: 1
; LDSByteSize: 0 bytes/workgroup (compile time only)
; SGPRBlocks: 0
; VGPRBlocks: 0
; NumSGPRsForWavesPerEU: 1
; NumVGPRsForWavesPerEU: 1
; Occupancy: 16
; WaveLimiterHint : 0
; COMPUTE_PGM_RSRC2:SCRATCH_EN: 0
; COMPUTE_PGM_RSRC2:USER_SGPR: 15
; COMPUTE_PGM_RSRC2:TRAP_HANDLER: 0
; COMPUTE_PGM_RSRC2:TGID_X_EN: 1
; COMPUTE_PGM_RSRC2:TGID_Y_EN: 0
; COMPUTE_PGM_RSRC2:TGID_Z_EN: 0
; COMPUTE_PGM_RSRC2:TIDIG_COMP_CNT: 0
	.section	.text._ZN7rocprim17ROCPRIM_400000_NS6detail17trampoline_kernelINS0_13select_configILj256ELj13ELNS0_17block_load_methodE3ELS4_3ELS4_3ELNS0_20block_scan_algorithmE0ELj4294967295EEENS1_25partition_config_selectorILNS1_17partition_subalgoE3EjNS0_10empty_typeEbEEZZNS1_14partition_implILS8_3ELb0ES6_jNS0_17counting_iteratorIjlEEPS9_SE_NS0_5tupleIJPjSE_EEENSF_IJSE_SE_EEES9_SG_JZNS1_25segmented_radix_sort_implINS0_14default_configELb0EPKaPaPKlPlN2at6native12_GLOBAL__N_18offset_tEEE10hipError_tPvRmT1_PNSt15iterator_traitsISY_E10value_typeET2_T3_PNSZ_IS14_E10value_typeET4_jRbjT5_S1A_jjP12ihipStream_tbEUljE_EEESV_SW_SX_S14_S18_S1A_T6_T7_T9_mT8_S1C_bDpT10_ENKUlT_T0_E_clISt17integral_constantIbLb0EES1P_EEDaS1K_S1L_EUlS1K_E_NS1_11comp_targetILNS1_3genE3ELNS1_11target_archE908ELNS1_3gpuE7ELNS1_3repE0EEENS1_30default_config_static_selectorELNS0_4arch9wavefront6targetE0EEEvSY_,"axG",@progbits,_ZN7rocprim17ROCPRIM_400000_NS6detail17trampoline_kernelINS0_13select_configILj256ELj13ELNS0_17block_load_methodE3ELS4_3ELS4_3ELNS0_20block_scan_algorithmE0ELj4294967295EEENS1_25partition_config_selectorILNS1_17partition_subalgoE3EjNS0_10empty_typeEbEEZZNS1_14partition_implILS8_3ELb0ES6_jNS0_17counting_iteratorIjlEEPS9_SE_NS0_5tupleIJPjSE_EEENSF_IJSE_SE_EEES9_SG_JZNS1_25segmented_radix_sort_implINS0_14default_configELb0EPKaPaPKlPlN2at6native12_GLOBAL__N_18offset_tEEE10hipError_tPvRmT1_PNSt15iterator_traitsISY_E10value_typeET2_T3_PNSZ_IS14_E10value_typeET4_jRbjT5_S1A_jjP12ihipStream_tbEUljE_EEESV_SW_SX_S14_S18_S1A_T6_T7_T9_mT8_S1C_bDpT10_ENKUlT_T0_E_clISt17integral_constantIbLb0EES1P_EEDaS1K_S1L_EUlS1K_E_NS1_11comp_targetILNS1_3genE3ELNS1_11target_archE908ELNS1_3gpuE7ELNS1_3repE0EEENS1_30default_config_static_selectorELNS0_4arch9wavefront6targetE0EEEvSY_,comdat
	.globl	_ZN7rocprim17ROCPRIM_400000_NS6detail17trampoline_kernelINS0_13select_configILj256ELj13ELNS0_17block_load_methodE3ELS4_3ELS4_3ELNS0_20block_scan_algorithmE0ELj4294967295EEENS1_25partition_config_selectorILNS1_17partition_subalgoE3EjNS0_10empty_typeEbEEZZNS1_14partition_implILS8_3ELb0ES6_jNS0_17counting_iteratorIjlEEPS9_SE_NS0_5tupleIJPjSE_EEENSF_IJSE_SE_EEES9_SG_JZNS1_25segmented_radix_sort_implINS0_14default_configELb0EPKaPaPKlPlN2at6native12_GLOBAL__N_18offset_tEEE10hipError_tPvRmT1_PNSt15iterator_traitsISY_E10value_typeET2_T3_PNSZ_IS14_E10value_typeET4_jRbjT5_S1A_jjP12ihipStream_tbEUljE_EEESV_SW_SX_S14_S18_S1A_T6_T7_T9_mT8_S1C_bDpT10_ENKUlT_T0_E_clISt17integral_constantIbLb0EES1P_EEDaS1K_S1L_EUlS1K_E_NS1_11comp_targetILNS1_3genE3ELNS1_11target_archE908ELNS1_3gpuE7ELNS1_3repE0EEENS1_30default_config_static_selectorELNS0_4arch9wavefront6targetE0EEEvSY_ ; -- Begin function _ZN7rocprim17ROCPRIM_400000_NS6detail17trampoline_kernelINS0_13select_configILj256ELj13ELNS0_17block_load_methodE3ELS4_3ELS4_3ELNS0_20block_scan_algorithmE0ELj4294967295EEENS1_25partition_config_selectorILNS1_17partition_subalgoE3EjNS0_10empty_typeEbEEZZNS1_14partition_implILS8_3ELb0ES6_jNS0_17counting_iteratorIjlEEPS9_SE_NS0_5tupleIJPjSE_EEENSF_IJSE_SE_EEES9_SG_JZNS1_25segmented_radix_sort_implINS0_14default_configELb0EPKaPaPKlPlN2at6native12_GLOBAL__N_18offset_tEEE10hipError_tPvRmT1_PNSt15iterator_traitsISY_E10value_typeET2_T3_PNSZ_IS14_E10value_typeET4_jRbjT5_S1A_jjP12ihipStream_tbEUljE_EEESV_SW_SX_S14_S18_S1A_T6_T7_T9_mT8_S1C_bDpT10_ENKUlT_T0_E_clISt17integral_constantIbLb0EES1P_EEDaS1K_S1L_EUlS1K_E_NS1_11comp_targetILNS1_3genE3ELNS1_11target_archE908ELNS1_3gpuE7ELNS1_3repE0EEENS1_30default_config_static_selectorELNS0_4arch9wavefront6targetE0EEEvSY_
	.p2align	8
	.type	_ZN7rocprim17ROCPRIM_400000_NS6detail17trampoline_kernelINS0_13select_configILj256ELj13ELNS0_17block_load_methodE3ELS4_3ELS4_3ELNS0_20block_scan_algorithmE0ELj4294967295EEENS1_25partition_config_selectorILNS1_17partition_subalgoE3EjNS0_10empty_typeEbEEZZNS1_14partition_implILS8_3ELb0ES6_jNS0_17counting_iteratorIjlEEPS9_SE_NS0_5tupleIJPjSE_EEENSF_IJSE_SE_EEES9_SG_JZNS1_25segmented_radix_sort_implINS0_14default_configELb0EPKaPaPKlPlN2at6native12_GLOBAL__N_18offset_tEEE10hipError_tPvRmT1_PNSt15iterator_traitsISY_E10value_typeET2_T3_PNSZ_IS14_E10value_typeET4_jRbjT5_S1A_jjP12ihipStream_tbEUljE_EEESV_SW_SX_S14_S18_S1A_T6_T7_T9_mT8_S1C_bDpT10_ENKUlT_T0_E_clISt17integral_constantIbLb0EES1P_EEDaS1K_S1L_EUlS1K_E_NS1_11comp_targetILNS1_3genE3ELNS1_11target_archE908ELNS1_3gpuE7ELNS1_3repE0EEENS1_30default_config_static_selectorELNS0_4arch9wavefront6targetE0EEEvSY_,@function
_ZN7rocprim17ROCPRIM_400000_NS6detail17trampoline_kernelINS0_13select_configILj256ELj13ELNS0_17block_load_methodE3ELS4_3ELS4_3ELNS0_20block_scan_algorithmE0ELj4294967295EEENS1_25partition_config_selectorILNS1_17partition_subalgoE3EjNS0_10empty_typeEbEEZZNS1_14partition_implILS8_3ELb0ES6_jNS0_17counting_iteratorIjlEEPS9_SE_NS0_5tupleIJPjSE_EEENSF_IJSE_SE_EEES9_SG_JZNS1_25segmented_radix_sort_implINS0_14default_configELb0EPKaPaPKlPlN2at6native12_GLOBAL__N_18offset_tEEE10hipError_tPvRmT1_PNSt15iterator_traitsISY_E10value_typeET2_T3_PNSZ_IS14_E10value_typeET4_jRbjT5_S1A_jjP12ihipStream_tbEUljE_EEESV_SW_SX_S14_S18_S1A_T6_T7_T9_mT8_S1C_bDpT10_ENKUlT_T0_E_clISt17integral_constantIbLb0EES1P_EEDaS1K_S1L_EUlS1K_E_NS1_11comp_targetILNS1_3genE3ELNS1_11target_archE908ELNS1_3gpuE7ELNS1_3repE0EEENS1_30default_config_static_selectorELNS0_4arch9wavefront6targetE0EEEvSY_: ; @_ZN7rocprim17ROCPRIM_400000_NS6detail17trampoline_kernelINS0_13select_configILj256ELj13ELNS0_17block_load_methodE3ELS4_3ELS4_3ELNS0_20block_scan_algorithmE0ELj4294967295EEENS1_25partition_config_selectorILNS1_17partition_subalgoE3EjNS0_10empty_typeEbEEZZNS1_14partition_implILS8_3ELb0ES6_jNS0_17counting_iteratorIjlEEPS9_SE_NS0_5tupleIJPjSE_EEENSF_IJSE_SE_EEES9_SG_JZNS1_25segmented_radix_sort_implINS0_14default_configELb0EPKaPaPKlPlN2at6native12_GLOBAL__N_18offset_tEEE10hipError_tPvRmT1_PNSt15iterator_traitsISY_E10value_typeET2_T3_PNSZ_IS14_E10value_typeET4_jRbjT5_S1A_jjP12ihipStream_tbEUljE_EEESV_SW_SX_S14_S18_S1A_T6_T7_T9_mT8_S1C_bDpT10_ENKUlT_T0_E_clISt17integral_constantIbLb0EES1P_EEDaS1K_S1L_EUlS1K_E_NS1_11comp_targetILNS1_3genE3ELNS1_11target_archE908ELNS1_3gpuE7ELNS1_3repE0EEENS1_30default_config_static_selectorELNS0_4arch9wavefront6targetE0EEEvSY_
; %bb.0:
	.section	.rodata,"a",@progbits
	.p2align	6, 0x0
	.amdhsa_kernel _ZN7rocprim17ROCPRIM_400000_NS6detail17trampoline_kernelINS0_13select_configILj256ELj13ELNS0_17block_load_methodE3ELS4_3ELS4_3ELNS0_20block_scan_algorithmE0ELj4294967295EEENS1_25partition_config_selectorILNS1_17partition_subalgoE3EjNS0_10empty_typeEbEEZZNS1_14partition_implILS8_3ELb0ES6_jNS0_17counting_iteratorIjlEEPS9_SE_NS0_5tupleIJPjSE_EEENSF_IJSE_SE_EEES9_SG_JZNS1_25segmented_radix_sort_implINS0_14default_configELb0EPKaPaPKlPlN2at6native12_GLOBAL__N_18offset_tEEE10hipError_tPvRmT1_PNSt15iterator_traitsISY_E10value_typeET2_T3_PNSZ_IS14_E10value_typeET4_jRbjT5_S1A_jjP12ihipStream_tbEUljE_EEESV_SW_SX_S14_S18_S1A_T6_T7_T9_mT8_S1C_bDpT10_ENKUlT_T0_E_clISt17integral_constantIbLb0EES1P_EEDaS1K_S1L_EUlS1K_E_NS1_11comp_targetILNS1_3genE3ELNS1_11target_archE908ELNS1_3gpuE7ELNS1_3repE0EEENS1_30default_config_static_selectorELNS0_4arch9wavefront6targetE0EEEvSY_
		.amdhsa_group_segment_fixed_size 0
		.amdhsa_private_segment_fixed_size 0
		.amdhsa_kernarg_size 144
		.amdhsa_user_sgpr_count 15
		.amdhsa_user_sgpr_dispatch_ptr 0
		.amdhsa_user_sgpr_queue_ptr 0
		.amdhsa_user_sgpr_kernarg_segment_ptr 1
		.amdhsa_user_sgpr_dispatch_id 0
		.amdhsa_user_sgpr_private_segment_size 0
		.amdhsa_wavefront_size32 1
		.amdhsa_uses_dynamic_stack 0
		.amdhsa_enable_private_segment 0
		.amdhsa_system_sgpr_workgroup_id_x 1
		.amdhsa_system_sgpr_workgroup_id_y 0
		.amdhsa_system_sgpr_workgroup_id_z 0
		.amdhsa_system_sgpr_workgroup_info 0
		.amdhsa_system_vgpr_workitem_id 0
		.amdhsa_next_free_vgpr 1
		.amdhsa_next_free_sgpr 1
		.amdhsa_reserve_vcc 0
		.amdhsa_float_round_mode_32 0
		.amdhsa_float_round_mode_16_64 0
		.amdhsa_float_denorm_mode_32 3
		.amdhsa_float_denorm_mode_16_64 3
		.amdhsa_dx10_clamp 1
		.amdhsa_ieee_mode 1
		.amdhsa_fp16_overflow 0
		.amdhsa_workgroup_processor_mode 1
		.amdhsa_memory_ordered 1
		.amdhsa_forward_progress 0
		.amdhsa_shared_vgpr_count 0
		.amdhsa_exception_fp_ieee_invalid_op 0
		.amdhsa_exception_fp_denorm_src 0
		.amdhsa_exception_fp_ieee_div_zero 0
		.amdhsa_exception_fp_ieee_overflow 0
		.amdhsa_exception_fp_ieee_underflow 0
		.amdhsa_exception_fp_ieee_inexact 0
		.amdhsa_exception_int_div_zero 0
	.end_amdhsa_kernel
	.section	.text._ZN7rocprim17ROCPRIM_400000_NS6detail17trampoline_kernelINS0_13select_configILj256ELj13ELNS0_17block_load_methodE3ELS4_3ELS4_3ELNS0_20block_scan_algorithmE0ELj4294967295EEENS1_25partition_config_selectorILNS1_17partition_subalgoE3EjNS0_10empty_typeEbEEZZNS1_14partition_implILS8_3ELb0ES6_jNS0_17counting_iteratorIjlEEPS9_SE_NS0_5tupleIJPjSE_EEENSF_IJSE_SE_EEES9_SG_JZNS1_25segmented_radix_sort_implINS0_14default_configELb0EPKaPaPKlPlN2at6native12_GLOBAL__N_18offset_tEEE10hipError_tPvRmT1_PNSt15iterator_traitsISY_E10value_typeET2_T3_PNSZ_IS14_E10value_typeET4_jRbjT5_S1A_jjP12ihipStream_tbEUljE_EEESV_SW_SX_S14_S18_S1A_T6_T7_T9_mT8_S1C_bDpT10_ENKUlT_T0_E_clISt17integral_constantIbLb0EES1P_EEDaS1K_S1L_EUlS1K_E_NS1_11comp_targetILNS1_3genE3ELNS1_11target_archE908ELNS1_3gpuE7ELNS1_3repE0EEENS1_30default_config_static_selectorELNS0_4arch9wavefront6targetE0EEEvSY_,"axG",@progbits,_ZN7rocprim17ROCPRIM_400000_NS6detail17trampoline_kernelINS0_13select_configILj256ELj13ELNS0_17block_load_methodE3ELS4_3ELS4_3ELNS0_20block_scan_algorithmE0ELj4294967295EEENS1_25partition_config_selectorILNS1_17partition_subalgoE3EjNS0_10empty_typeEbEEZZNS1_14partition_implILS8_3ELb0ES6_jNS0_17counting_iteratorIjlEEPS9_SE_NS0_5tupleIJPjSE_EEENSF_IJSE_SE_EEES9_SG_JZNS1_25segmented_radix_sort_implINS0_14default_configELb0EPKaPaPKlPlN2at6native12_GLOBAL__N_18offset_tEEE10hipError_tPvRmT1_PNSt15iterator_traitsISY_E10value_typeET2_T3_PNSZ_IS14_E10value_typeET4_jRbjT5_S1A_jjP12ihipStream_tbEUljE_EEESV_SW_SX_S14_S18_S1A_T6_T7_T9_mT8_S1C_bDpT10_ENKUlT_T0_E_clISt17integral_constantIbLb0EES1P_EEDaS1K_S1L_EUlS1K_E_NS1_11comp_targetILNS1_3genE3ELNS1_11target_archE908ELNS1_3gpuE7ELNS1_3repE0EEENS1_30default_config_static_selectorELNS0_4arch9wavefront6targetE0EEEvSY_,comdat
.Lfunc_end364:
	.size	_ZN7rocprim17ROCPRIM_400000_NS6detail17trampoline_kernelINS0_13select_configILj256ELj13ELNS0_17block_load_methodE3ELS4_3ELS4_3ELNS0_20block_scan_algorithmE0ELj4294967295EEENS1_25partition_config_selectorILNS1_17partition_subalgoE3EjNS0_10empty_typeEbEEZZNS1_14partition_implILS8_3ELb0ES6_jNS0_17counting_iteratorIjlEEPS9_SE_NS0_5tupleIJPjSE_EEENSF_IJSE_SE_EEES9_SG_JZNS1_25segmented_radix_sort_implINS0_14default_configELb0EPKaPaPKlPlN2at6native12_GLOBAL__N_18offset_tEEE10hipError_tPvRmT1_PNSt15iterator_traitsISY_E10value_typeET2_T3_PNSZ_IS14_E10value_typeET4_jRbjT5_S1A_jjP12ihipStream_tbEUljE_EEESV_SW_SX_S14_S18_S1A_T6_T7_T9_mT8_S1C_bDpT10_ENKUlT_T0_E_clISt17integral_constantIbLb0EES1P_EEDaS1K_S1L_EUlS1K_E_NS1_11comp_targetILNS1_3genE3ELNS1_11target_archE908ELNS1_3gpuE7ELNS1_3repE0EEENS1_30default_config_static_selectorELNS0_4arch9wavefront6targetE0EEEvSY_, .Lfunc_end364-_ZN7rocprim17ROCPRIM_400000_NS6detail17trampoline_kernelINS0_13select_configILj256ELj13ELNS0_17block_load_methodE3ELS4_3ELS4_3ELNS0_20block_scan_algorithmE0ELj4294967295EEENS1_25partition_config_selectorILNS1_17partition_subalgoE3EjNS0_10empty_typeEbEEZZNS1_14partition_implILS8_3ELb0ES6_jNS0_17counting_iteratorIjlEEPS9_SE_NS0_5tupleIJPjSE_EEENSF_IJSE_SE_EEES9_SG_JZNS1_25segmented_radix_sort_implINS0_14default_configELb0EPKaPaPKlPlN2at6native12_GLOBAL__N_18offset_tEEE10hipError_tPvRmT1_PNSt15iterator_traitsISY_E10value_typeET2_T3_PNSZ_IS14_E10value_typeET4_jRbjT5_S1A_jjP12ihipStream_tbEUljE_EEESV_SW_SX_S14_S18_S1A_T6_T7_T9_mT8_S1C_bDpT10_ENKUlT_T0_E_clISt17integral_constantIbLb0EES1P_EEDaS1K_S1L_EUlS1K_E_NS1_11comp_targetILNS1_3genE3ELNS1_11target_archE908ELNS1_3gpuE7ELNS1_3repE0EEENS1_30default_config_static_selectorELNS0_4arch9wavefront6targetE0EEEvSY_
                                        ; -- End function
	.section	.AMDGPU.csdata,"",@progbits
; Kernel info:
; codeLenInByte = 0
; NumSgprs: 0
; NumVgprs: 0
; ScratchSize: 0
; MemoryBound: 0
; FloatMode: 240
; IeeeMode: 1
; LDSByteSize: 0 bytes/workgroup (compile time only)
; SGPRBlocks: 0
; VGPRBlocks: 0
; NumSGPRsForWavesPerEU: 1
; NumVGPRsForWavesPerEU: 1
; Occupancy: 16
; WaveLimiterHint : 0
; COMPUTE_PGM_RSRC2:SCRATCH_EN: 0
; COMPUTE_PGM_RSRC2:USER_SGPR: 15
; COMPUTE_PGM_RSRC2:TRAP_HANDLER: 0
; COMPUTE_PGM_RSRC2:TGID_X_EN: 1
; COMPUTE_PGM_RSRC2:TGID_Y_EN: 0
; COMPUTE_PGM_RSRC2:TGID_Z_EN: 0
; COMPUTE_PGM_RSRC2:TIDIG_COMP_CNT: 0
	.section	.text._ZN7rocprim17ROCPRIM_400000_NS6detail17trampoline_kernelINS0_13select_configILj256ELj13ELNS0_17block_load_methodE3ELS4_3ELS4_3ELNS0_20block_scan_algorithmE0ELj4294967295EEENS1_25partition_config_selectorILNS1_17partition_subalgoE3EjNS0_10empty_typeEbEEZZNS1_14partition_implILS8_3ELb0ES6_jNS0_17counting_iteratorIjlEEPS9_SE_NS0_5tupleIJPjSE_EEENSF_IJSE_SE_EEES9_SG_JZNS1_25segmented_radix_sort_implINS0_14default_configELb0EPKaPaPKlPlN2at6native12_GLOBAL__N_18offset_tEEE10hipError_tPvRmT1_PNSt15iterator_traitsISY_E10value_typeET2_T3_PNSZ_IS14_E10value_typeET4_jRbjT5_S1A_jjP12ihipStream_tbEUljE_EEESV_SW_SX_S14_S18_S1A_T6_T7_T9_mT8_S1C_bDpT10_ENKUlT_T0_E_clISt17integral_constantIbLb0EES1P_EEDaS1K_S1L_EUlS1K_E_NS1_11comp_targetILNS1_3genE2ELNS1_11target_archE906ELNS1_3gpuE6ELNS1_3repE0EEENS1_30default_config_static_selectorELNS0_4arch9wavefront6targetE0EEEvSY_,"axG",@progbits,_ZN7rocprim17ROCPRIM_400000_NS6detail17trampoline_kernelINS0_13select_configILj256ELj13ELNS0_17block_load_methodE3ELS4_3ELS4_3ELNS0_20block_scan_algorithmE0ELj4294967295EEENS1_25partition_config_selectorILNS1_17partition_subalgoE3EjNS0_10empty_typeEbEEZZNS1_14partition_implILS8_3ELb0ES6_jNS0_17counting_iteratorIjlEEPS9_SE_NS0_5tupleIJPjSE_EEENSF_IJSE_SE_EEES9_SG_JZNS1_25segmented_radix_sort_implINS0_14default_configELb0EPKaPaPKlPlN2at6native12_GLOBAL__N_18offset_tEEE10hipError_tPvRmT1_PNSt15iterator_traitsISY_E10value_typeET2_T3_PNSZ_IS14_E10value_typeET4_jRbjT5_S1A_jjP12ihipStream_tbEUljE_EEESV_SW_SX_S14_S18_S1A_T6_T7_T9_mT8_S1C_bDpT10_ENKUlT_T0_E_clISt17integral_constantIbLb0EES1P_EEDaS1K_S1L_EUlS1K_E_NS1_11comp_targetILNS1_3genE2ELNS1_11target_archE906ELNS1_3gpuE6ELNS1_3repE0EEENS1_30default_config_static_selectorELNS0_4arch9wavefront6targetE0EEEvSY_,comdat
	.globl	_ZN7rocprim17ROCPRIM_400000_NS6detail17trampoline_kernelINS0_13select_configILj256ELj13ELNS0_17block_load_methodE3ELS4_3ELS4_3ELNS0_20block_scan_algorithmE0ELj4294967295EEENS1_25partition_config_selectorILNS1_17partition_subalgoE3EjNS0_10empty_typeEbEEZZNS1_14partition_implILS8_3ELb0ES6_jNS0_17counting_iteratorIjlEEPS9_SE_NS0_5tupleIJPjSE_EEENSF_IJSE_SE_EEES9_SG_JZNS1_25segmented_radix_sort_implINS0_14default_configELb0EPKaPaPKlPlN2at6native12_GLOBAL__N_18offset_tEEE10hipError_tPvRmT1_PNSt15iterator_traitsISY_E10value_typeET2_T3_PNSZ_IS14_E10value_typeET4_jRbjT5_S1A_jjP12ihipStream_tbEUljE_EEESV_SW_SX_S14_S18_S1A_T6_T7_T9_mT8_S1C_bDpT10_ENKUlT_T0_E_clISt17integral_constantIbLb0EES1P_EEDaS1K_S1L_EUlS1K_E_NS1_11comp_targetILNS1_3genE2ELNS1_11target_archE906ELNS1_3gpuE6ELNS1_3repE0EEENS1_30default_config_static_selectorELNS0_4arch9wavefront6targetE0EEEvSY_ ; -- Begin function _ZN7rocprim17ROCPRIM_400000_NS6detail17trampoline_kernelINS0_13select_configILj256ELj13ELNS0_17block_load_methodE3ELS4_3ELS4_3ELNS0_20block_scan_algorithmE0ELj4294967295EEENS1_25partition_config_selectorILNS1_17partition_subalgoE3EjNS0_10empty_typeEbEEZZNS1_14partition_implILS8_3ELb0ES6_jNS0_17counting_iteratorIjlEEPS9_SE_NS0_5tupleIJPjSE_EEENSF_IJSE_SE_EEES9_SG_JZNS1_25segmented_radix_sort_implINS0_14default_configELb0EPKaPaPKlPlN2at6native12_GLOBAL__N_18offset_tEEE10hipError_tPvRmT1_PNSt15iterator_traitsISY_E10value_typeET2_T3_PNSZ_IS14_E10value_typeET4_jRbjT5_S1A_jjP12ihipStream_tbEUljE_EEESV_SW_SX_S14_S18_S1A_T6_T7_T9_mT8_S1C_bDpT10_ENKUlT_T0_E_clISt17integral_constantIbLb0EES1P_EEDaS1K_S1L_EUlS1K_E_NS1_11comp_targetILNS1_3genE2ELNS1_11target_archE906ELNS1_3gpuE6ELNS1_3repE0EEENS1_30default_config_static_selectorELNS0_4arch9wavefront6targetE0EEEvSY_
	.p2align	8
	.type	_ZN7rocprim17ROCPRIM_400000_NS6detail17trampoline_kernelINS0_13select_configILj256ELj13ELNS0_17block_load_methodE3ELS4_3ELS4_3ELNS0_20block_scan_algorithmE0ELj4294967295EEENS1_25partition_config_selectorILNS1_17partition_subalgoE3EjNS0_10empty_typeEbEEZZNS1_14partition_implILS8_3ELb0ES6_jNS0_17counting_iteratorIjlEEPS9_SE_NS0_5tupleIJPjSE_EEENSF_IJSE_SE_EEES9_SG_JZNS1_25segmented_radix_sort_implINS0_14default_configELb0EPKaPaPKlPlN2at6native12_GLOBAL__N_18offset_tEEE10hipError_tPvRmT1_PNSt15iterator_traitsISY_E10value_typeET2_T3_PNSZ_IS14_E10value_typeET4_jRbjT5_S1A_jjP12ihipStream_tbEUljE_EEESV_SW_SX_S14_S18_S1A_T6_T7_T9_mT8_S1C_bDpT10_ENKUlT_T0_E_clISt17integral_constantIbLb0EES1P_EEDaS1K_S1L_EUlS1K_E_NS1_11comp_targetILNS1_3genE2ELNS1_11target_archE906ELNS1_3gpuE6ELNS1_3repE0EEENS1_30default_config_static_selectorELNS0_4arch9wavefront6targetE0EEEvSY_,@function
_ZN7rocprim17ROCPRIM_400000_NS6detail17trampoline_kernelINS0_13select_configILj256ELj13ELNS0_17block_load_methodE3ELS4_3ELS4_3ELNS0_20block_scan_algorithmE0ELj4294967295EEENS1_25partition_config_selectorILNS1_17partition_subalgoE3EjNS0_10empty_typeEbEEZZNS1_14partition_implILS8_3ELb0ES6_jNS0_17counting_iteratorIjlEEPS9_SE_NS0_5tupleIJPjSE_EEENSF_IJSE_SE_EEES9_SG_JZNS1_25segmented_radix_sort_implINS0_14default_configELb0EPKaPaPKlPlN2at6native12_GLOBAL__N_18offset_tEEE10hipError_tPvRmT1_PNSt15iterator_traitsISY_E10value_typeET2_T3_PNSZ_IS14_E10value_typeET4_jRbjT5_S1A_jjP12ihipStream_tbEUljE_EEESV_SW_SX_S14_S18_S1A_T6_T7_T9_mT8_S1C_bDpT10_ENKUlT_T0_E_clISt17integral_constantIbLb0EES1P_EEDaS1K_S1L_EUlS1K_E_NS1_11comp_targetILNS1_3genE2ELNS1_11target_archE906ELNS1_3gpuE6ELNS1_3repE0EEENS1_30default_config_static_selectorELNS0_4arch9wavefront6targetE0EEEvSY_: ; @_ZN7rocprim17ROCPRIM_400000_NS6detail17trampoline_kernelINS0_13select_configILj256ELj13ELNS0_17block_load_methodE3ELS4_3ELS4_3ELNS0_20block_scan_algorithmE0ELj4294967295EEENS1_25partition_config_selectorILNS1_17partition_subalgoE3EjNS0_10empty_typeEbEEZZNS1_14partition_implILS8_3ELb0ES6_jNS0_17counting_iteratorIjlEEPS9_SE_NS0_5tupleIJPjSE_EEENSF_IJSE_SE_EEES9_SG_JZNS1_25segmented_radix_sort_implINS0_14default_configELb0EPKaPaPKlPlN2at6native12_GLOBAL__N_18offset_tEEE10hipError_tPvRmT1_PNSt15iterator_traitsISY_E10value_typeET2_T3_PNSZ_IS14_E10value_typeET4_jRbjT5_S1A_jjP12ihipStream_tbEUljE_EEESV_SW_SX_S14_S18_S1A_T6_T7_T9_mT8_S1C_bDpT10_ENKUlT_T0_E_clISt17integral_constantIbLb0EES1P_EEDaS1K_S1L_EUlS1K_E_NS1_11comp_targetILNS1_3genE2ELNS1_11target_archE906ELNS1_3gpuE6ELNS1_3repE0EEENS1_30default_config_static_selectorELNS0_4arch9wavefront6targetE0EEEvSY_
; %bb.0:
	.section	.rodata,"a",@progbits
	.p2align	6, 0x0
	.amdhsa_kernel _ZN7rocprim17ROCPRIM_400000_NS6detail17trampoline_kernelINS0_13select_configILj256ELj13ELNS0_17block_load_methodE3ELS4_3ELS4_3ELNS0_20block_scan_algorithmE0ELj4294967295EEENS1_25partition_config_selectorILNS1_17partition_subalgoE3EjNS0_10empty_typeEbEEZZNS1_14partition_implILS8_3ELb0ES6_jNS0_17counting_iteratorIjlEEPS9_SE_NS0_5tupleIJPjSE_EEENSF_IJSE_SE_EEES9_SG_JZNS1_25segmented_radix_sort_implINS0_14default_configELb0EPKaPaPKlPlN2at6native12_GLOBAL__N_18offset_tEEE10hipError_tPvRmT1_PNSt15iterator_traitsISY_E10value_typeET2_T3_PNSZ_IS14_E10value_typeET4_jRbjT5_S1A_jjP12ihipStream_tbEUljE_EEESV_SW_SX_S14_S18_S1A_T6_T7_T9_mT8_S1C_bDpT10_ENKUlT_T0_E_clISt17integral_constantIbLb0EES1P_EEDaS1K_S1L_EUlS1K_E_NS1_11comp_targetILNS1_3genE2ELNS1_11target_archE906ELNS1_3gpuE6ELNS1_3repE0EEENS1_30default_config_static_selectorELNS0_4arch9wavefront6targetE0EEEvSY_
		.amdhsa_group_segment_fixed_size 0
		.amdhsa_private_segment_fixed_size 0
		.amdhsa_kernarg_size 144
		.amdhsa_user_sgpr_count 15
		.amdhsa_user_sgpr_dispatch_ptr 0
		.amdhsa_user_sgpr_queue_ptr 0
		.amdhsa_user_sgpr_kernarg_segment_ptr 1
		.amdhsa_user_sgpr_dispatch_id 0
		.amdhsa_user_sgpr_private_segment_size 0
		.amdhsa_wavefront_size32 1
		.amdhsa_uses_dynamic_stack 0
		.amdhsa_enable_private_segment 0
		.amdhsa_system_sgpr_workgroup_id_x 1
		.amdhsa_system_sgpr_workgroup_id_y 0
		.amdhsa_system_sgpr_workgroup_id_z 0
		.amdhsa_system_sgpr_workgroup_info 0
		.amdhsa_system_vgpr_workitem_id 0
		.amdhsa_next_free_vgpr 1
		.amdhsa_next_free_sgpr 1
		.amdhsa_reserve_vcc 0
		.amdhsa_float_round_mode_32 0
		.amdhsa_float_round_mode_16_64 0
		.amdhsa_float_denorm_mode_32 3
		.amdhsa_float_denorm_mode_16_64 3
		.amdhsa_dx10_clamp 1
		.amdhsa_ieee_mode 1
		.amdhsa_fp16_overflow 0
		.amdhsa_workgroup_processor_mode 1
		.amdhsa_memory_ordered 1
		.amdhsa_forward_progress 0
		.amdhsa_shared_vgpr_count 0
		.amdhsa_exception_fp_ieee_invalid_op 0
		.amdhsa_exception_fp_denorm_src 0
		.amdhsa_exception_fp_ieee_div_zero 0
		.amdhsa_exception_fp_ieee_overflow 0
		.amdhsa_exception_fp_ieee_underflow 0
		.amdhsa_exception_fp_ieee_inexact 0
		.amdhsa_exception_int_div_zero 0
	.end_amdhsa_kernel
	.section	.text._ZN7rocprim17ROCPRIM_400000_NS6detail17trampoline_kernelINS0_13select_configILj256ELj13ELNS0_17block_load_methodE3ELS4_3ELS4_3ELNS0_20block_scan_algorithmE0ELj4294967295EEENS1_25partition_config_selectorILNS1_17partition_subalgoE3EjNS0_10empty_typeEbEEZZNS1_14partition_implILS8_3ELb0ES6_jNS0_17counting_iteratorIjlEEPS9_SE_NS0_5tupleIJPjSE_EEENSF_IJSE_SE_EEES9_SG_JZNS1_25segmented_radix_sort_implINS0_14default_configELb0EPKaPaPKlPlN2at6native12_GLOBAL__N_18offset_tEEE10hipError_tPvRmT1_PNSt15iterator_traitsISY_E10value_typeET2_T3_PNSZ_IS14_E10value_typeET4_jRbjT5_S1A_jjP12ihipStream_tbEUljE_EEESV_SW_SX_S14_S18_S1A_T6_T7_T9_mT8_S1C_bDpT10_ENKUlT_T0_E_clISt17integral_constantIbLb0EES1P_EEDaS1K_S1L_EUlS1K_E_NS1_11comp_targetILNS1_3genE2ELNS1_11target_archE906ELNS1_3gpuE6ELNS1_3repE0EEENS1_30default_config_static_selectorELNS0_4arch9wavefront6targetE0EEEvSY_,"axG",@progbits,_ZN7rocprim17ROCPRIM_400000_NS6detail17trampoline_kernelINS0_13select_configILj256ELj13ELNS0_17block_load_methodE3ELS4_3ELS4_3ELNS0_20block_scan_algorithmE0ELj4294967295EEENS1_25partition_config_selectorILNS1_17partition_subalgoE3EjNS0_10empty_typeEbEEZZNS1_14partition_implILS8_3ELb0ES6_jNS0_17counting_iteratorIjlEEPS9_SE_NS0_5tupleIJPjSE_EEENSF_IJSE_SE_EEES9_SG_JZNS1_25segmented_radix_sort_implINS0_14default_configELb0EPKaPaPKlPlN2at6native12_GLOBAL__N_18offset_tEEE10hipError_tPvRmT1_PNSt15iterator_traitsISY_E10value_typeET2_T3_PNSZ_IS14_E10value_typeET4_jRbjT5_S1A_jjP12ihipStream_tbEUljE_EEESV_SW_SX_S14_S18_S1A_T6_T7_T9_mT8_S1C_bDpT10_ENKUlT_T0_E_clISt17integral_constantIbLb0EES1P_EEDaS1K_S1L_EUlS1K_E_NS1_11comp_targetILNS1_3genE2ELNS1_11target_archE906ELNS1_3gpuE6ELNS1_3repE0EEENS1_30default_config_static_selectorELNS0_4arch9wavefront6targetE0EEEvSY_,comdat
.Lfunc_end365:
	.size	_ZN7rocprim17ROCPRIM_400000_NS6detail17trampoline_kernelINS0_13select_configILj256ELj13ELNS0_17block_load_methodE3ELS4_3ELS4_3ELNS0_20block_scan_algorithmE0ELj4294967295EEENS1_25partition_config_selectorILNS1_17partition_subalgoE3EjNS0_10empty_typeEbEEZZNS1_14partition_implILS8_3ELb0ES6_jNS0_17counting_iteratorIjlEEPS9_SE_NS0_5tupleIJPjSE_EEENSF_IJSE_SE_EEES9_SG_JZNS1_25segmented_radix_sort_implINS0_14default_configELb0EPKaPaPKlPlN2at6native12_GLOBAL__N_18offset_tEEE10hipError_tPvRmT1_PNSt15iterator_traitsISY_E10value_typeET2_T3_PNSZ_IS14_E10value_typeET4_jRbjT5_S1A_jjP12ihipStream_tbEUljE_EEESV_SW_SX_S14_S18_S1A_T6_T7_T9_mT8_S1C_bDpT10_ENKUlT_T0_E_clISt17integral_constantIbLb0EES1P_EEDaS1K_S1L_EUlS1K_E_NS1_11comp_targetILNS1_3genE2ELNS1_11target_archE906ELNS1_3gpuE6ELNS1_3repE0EEENS1_30default_config_static_selectorELNS0_4arch9wavefront6targetE0EEEvSY_, .Lfunc_end365-_ZN7rocprim17ROCPRIM_400000_NS6detail17trampoline_kernelINS0_13select_configILj256ELj13ELNS0_17block_load_methodE3ELS4_3ELS4_3ELNS0_20block_scan_algorithmE0ELj4294967295EEENS1_25partition_config_selectorILNS1_17partition_subalgoE3EjNS0_10empty_typeEbEEZZNS1_14partition_implILS8_3ELb0ES6_jNS0_17counting_iteratorIjlEEPS9_SE_NS0_5tupleIJPjSE_EEENSF_IJSE_SE_EEES9_SG_JZNS1_25segmented_radix_sort_implINS0_14default_configELb0EPKaPaPKlPlN2at6native12_GLOBAL__N_18offset_tEEE10hipError_tPvRmT1_PNSt15iterator_traitsISY_E10value_typeET2_T3_PNSZ_IS14_E10value_typeET4_jRbjT5_S1A_jjP12ihipStream_tbEUljE_EEESV_SW_SX_S14_S18_S1A_T6_T7_T9_mT8_S1C_bDpT10_ENKUlT_T0_E_clISt17integral_constantIbLb0EES1P_EEDaS1K_S1L_EUlS1K_E_NS1_11comp_targetILNS1_3genE2ELNS1_11target_archE906ELNS1_3gpuE6ELNS1_3repE0EEENS1_30default_config_static_selectorELNS0_4arch9wavefront6targetE0EEEvSY_
                                        ; -- End function
	.section	.AMDGPU.csdata,"",@progbits
; Kernel info:
; codeLenInByte = 0
; NumSgprs: 0
; NumVgprs: 0
; ScratchSize: 0
; MemoryBound: 0
; FloatMode: 240
; IeeeMode: 1
; LDSByteSize: 0 bytes/workgroup (compile time only)
; SGPRBlocks: 0
; VGPRBlocks: 0
; NumSGPRsForWavesPerEU: 1
; NumVGPRsForWavesPerEU: 1
; Occupancy: 16
; WaveLimiterHint : 0
; COMPUTE_PGM_RSRC2:SCRATCH_EN: 0
; COMPUTE_PGM_RSRC2:USER_SGPR: 15
; COMPUTE_PGM_RSRC2:TRAP_HANDLER: 0
; COMPUTE_PGM_RSRC2:TGID_X_EN: 1
; COMPUTE_PGM_RSRC2:TGID_Y_EN: 0
; COMPUTE_PGM_RSRC2:TGID_Z_EN: 0
; COMPUTE_PGM_RSRC2:TIDIG_COMP_CNT: 0
	.section	.text._ZN7rocprim17ROCPRIM_400000_NS6detail17trampoline_kernelINS0_13select_configILj256ELj13ELNS0_17block_load_methodE3ELS4_3ELS4_3ELNS0_20block_scan_algorithmE0ELj4294967295EEENS1_25partition_config_selectorILNS1_17partition_subalgoE3EjNS0_10empty_typeEbEEZZNS1_14partition_implILS8_3ELb0ES6_jNS0_17counting_iteratorIjlEEPS9_SE_NS0_5tupleIJPjSE_EEENSF_IJSE_SE_EEES9_SG_JZNS1_25segmented_radix_sort_implINS0_14default_configELb0EPKaPaPKlPlN2at6native12_GLOBAL__N_18offset_tEEE10hipError_tPvRmT1_PNSt15iterator_traitsISY_E10value_typeET2_T3_PNSZ_IS14_E10value_typeET4_jRbjT5_S1A_jjP12ihipStream_tbEUljE_EEESV_SW_SX_S14_S18_S1A_T6_T7_T9_mT8_S1C_bDpT10_ENKUlT_T0_E_clISt17integral_constantIbLb0EES1P_EEDaS1K_S1L_EUlS1K_E_NS1_11comp_targetILNS1_3genE10ELNS1_11target_archE1200ELNS1_3gpuE4ELNS1_3repE0EEENS1_30default_config_static_selectorELNS0_4arch9wavefront6targetE0EEEvSY_,"axG",@progbits,_ZN7rocprim17ROCPRIM_400000_NS6detail17trampoline_kernelINS0_13select_configILj256ELj13ELNS0_17block_load_methodE3ELS4_3ELS4_3ELNS0_20block_scan_algorithmE0ELj4294967295EEENS1_25partition_config_selectorILNS1_17partition_subalgoE3EjNS0_10empty_typeEbEEZZNS1_14partition_implILS8_3ELb0ES6_jNS0_17counting_iteratorIjlEEPS9_SE_NS0_5tupleIJPjSE_EEENSF_IJSE_SE_EEES9_SG_JZNS1_25segmented_radix_sort_implINS0_14default_configELb0EPKaPaPKlPlN2at6native12_GLOBAL__N_18offset_tEEE10hipError_tPvRmT1_PNSt15iterator_traitsISY_E10value_typeET2_T3_PNSZ_IS14_E10value_typeET4_jRbjT5_S1A_jjP12ihipStream_tbEUljE_EEESV_SW_SX_S14_S18_S1A_T6_T7_T9_mT8_S1C_bDpT10_ENKUlT_T0_E_clISt17integral_constantIbLb0EES1P_EEDaS1K_S1L_EUlS1K_E_NS1_11comp_targetILNS1_3genE10ELNS1_11target_archE1200ELNS1_3gpuE4ELNS1_3repE0EEENS1_30default_config_static_selectorELNS0_4arch9wavefront6targetE0EEEvSY_,comdat
	.globl	_ZN7rocprim17ROCPRIM_400000_NS6detail17trampoline_kernelINS0_13select_configILj256ELj13ELNS0_17block_load_methodE3ELS4_3ELS4_3ELNS0_20block_scan_algorithmE0ELj4294967295EEENS1_25partition_config_selectorILNS1_17partition_subalgoE3EjNS0_10empty_typeEbEEZZNS1_14partition_implILS8_3ELb0ES6_jNS0_17counting_iteratorIjlEEPS9_SE_NS0_5tupleIJPjSE_EEENSF_IJSE_SE_EEES9_SG_JZNS1_25segmented_radix_sort_implINS0_14default_configELb0EPKaPaPKlPlN2at6native12_GLOBAL__N_18offset_tEEE10hipError_tPvRmT1_PNSt15iterator_traitsISY_E10value_typeET2_T3_PNSZ_IS14_E10value_typeET4_jRbjT5_S1A_jjP12ihipStream_tbEUljE_EEESV_SW_SX_S14_S18_S1A_T6_T7_T9_mT8_S1C_bDpT10_ENKUlT_T0_E_clISt17integral_constantIbLb0EES1P_EEDaS1K_S1L_EUlS1K_E_NS1_11comp_targetILNS1_3genE10ELNS1_11target_archE1200ELNS1_3gpuE4ELNS1_3repE0EEENS1_30default_config_static_selectorELNS0_4arch9wavefront6targetE0EEEvSY_ ; -- Begin function _ZN7rocprim17ROCPRIM_400000_NS6detail17trampoline_kernelINS0_13select_configILj256ELj13ELNS0_17block_load_methodE3ELS4_3ELS4_3ELNS0_20block_scan_algorithmE0ELj4294967295EEENS1_25partition_config_selectorILNS1_17partition_subalgoE3EjNS0_10empty_typeEbEEZZNS1_14partition_implILS8_3ELb0ES6_jNS0_17counting_iteratorIjlEEPS9_SE_NS0_5tupleIJPjSE_EEENSF_IJSE_SE_EEES9_SG_JZNS1_25segmented_radix_sort_implINS0_14default_configELb0EPKaPaPKlPlN2at6native12_GLOBAL__N_18offset_tEEE10hipError_tPvRmT1_PNSt15iterator_traitsISY_E10value_typeET2_T3_PNSZ_IS14_E10value_typeET4_jRbjT5_S1A_jjP12ihipStream_tbEUljE_EEESV_SW_SX_S14_S18_S1A_T6_T7_T9_mT8_S1C_bDpT10_ENKUlT_T0_E_clISt17integral_constantIbLb0EES1P_EEDaS1K_S1L_EUlS1K_E_NS1_11comp_targetILNS1_3genE10ELNS1_11target_archE1200ELNS1_3gpuE4ELNS1_3repE0EEENS1_30default_config_static_selectorELNS0_4arch9wavefront6targetE0EEEvSY_
	.p2align	8
	.type	_ZN7rocprim17ROCPRIM_400000_NS6detail17trampoline_kernelINS0_13select_configILj256ELj13ELNS0_17block_load_methodE3ELS4_3ELS4_3ELNS0_20block_scan_algorithmE0ELj4294967295EEENS1_25partition_config_selectorILNS1_17partition_subalgoE3EjNS0_10empty_typeEbEEZZNS1_14partition_implILS8_3ELb0ES6_jNS0_17counting_iteratorIjlEEPS9_SE_NS0_5tupleIJPjSE_EEENSF_IJSE_SE_EEES9_SG_JZNS1_25segmented_radix_sort_implINS0_14default_configELb0EPKaPaPKlPlN2at6native12_GLOBAL__N_18offset_tEEE10hipError_tPvRmT1_PNSt15iterator_traitsISY_E10value_typeET2_T3_PNSZ_IS14_E10value_typeET4_jRbjT5_S1A_jjP12ihipStream_tbEUljE_EEESV_SW_SX_S14_S18_S1A_T6_T7_T9_mT8_S1C_bDpT10_ENKUlT_T0_E_clISt17integral_constantIbLb0EES1P_EEDaS1K_S1L_EUlS1K_E_NS1_11comp_targetILNS1_3genE10ELNS1_11target_archE1200ELNS1_3gpuE4ELNS1_3repE0EEENS1_30default_config_static_selectorELNS0_4arch9wavefront6targetE0EEEvSY_,@function
_ZN7rocprim17ROCPRIM_400000_NS6detail17trampoline_kernelINS0_13select_configILj256ELj13ELNS0_17block_load_methodE3ELS4_3ELS4_3ELNS0_20block_scan_algorithmE0ELj4294967295EEENS1_25partition_config_selectorILNS1_17partition_subalgoE3EjNS0_10empty_typeEbEEZZNS1_14partition_implILS8_3ELb0ES6_jNS0_17counting_iteratorIjlEEPS9_SE_NS0_5tupleIJPjSE_EEENSF_IJSE_SE_EEES9_SG_JZNS1_25segmented_radix_sort_implINS0_14default_configELb0EPKaPaPKlPlN2at6native12_GLOBAL__N_18offset_tEEE10hipError_tPvRmT1_PNSt15iterator_traitsISY_E10value_typeET2_T3_PNSZ_IS14_E10value_typeET4_jRbjT5_S1A_jjP12ihipStream_tbEUljE_EEESV_SW_SX_S14_S18_S1A_T6_T7_T9_mT8_S1C_bDpT10_ENKUlT_T0_E_clISt17integral_constantIbLb0EES1P_EEDaS1K_S1L_EUlS1K_E_NS1_11comp_targetILNS1_3genE10ELNS1_11target_archE1200ELNS1_3gpuE4ELNS1_3repE0EEENS1_30default_config_static_selectorELNS0_4arch9wavefront6targetE0EEEvSY_: ; @_ZN7rocprim17ROCPRIM_400000_NS6detail17trampoline_kernelINS0_13select_configILj256ELj13ELNS0_17block_load_methodE3ELS4_3ELS4_3ELNS0_20block_scan_algorithmE0ELj4294967295EEENS1_25partition_config_selectorILNS1_17partition_subalgoE3EjNS0_10empty_typeEbEEZZNS1_14partition_implILS8_3ELb0ES6_jNS0_17counting_iteratorIjlEEPS9_SE_NS0_5tupleIJPjSE_EEENSF_IJSE_SE_EEES9_SG_JZNS1_25segmented_radix_sort_implINS0_14default_configELb0EPKaPaPKlPlN2at6native12_GLOBAL__N_18offset_tEEE10hipError_tPvRmT1_PNSt15iterator_traitsISY_E10value_typeET2_T3_PNSZ_IS14_E10value_typeET4_jRbjT5_S1A_jjP12ihipStream_tbEUljE_EEESV_SW_SX_S14_S18_S1A_T6_T7_T9_mT8_S1C_bDpT10_ENKUlT_T0_E_clISt17integral_constantIbLb0EES1P_EEDaS1K_S1L_EUlS1K_E_NS1_11comp_targetILNS1_3genE10ELNS1_11target_archE1200ELNS1_3gpuE4ELNS1_3repE0EEENS1_30default_config_static_selectorELNS0_4arch9wavefront6targetE0EEEvSY_
; %bb.0:
	.section	.rodata,"a",@progbits
	.p2align	6, 0x0
	.amdhsa_kernel _ZN7rocprim17ROCPRIM_400000_NS6detail17trampoline_kernelINS0_13select_configILj256ELj13ELNS0_17block_load_methodE3ELS4_3ELS4_3ELNS0_20block_scan_algorithmE0ELj4294967295EEENS1_25partition_config_selectorILNS1_17partition_subalgoE3EjNS0_10empty_typeEbEEZZNS1_14partition_implILS8_3ELb0ES6_jNS0_17counting_iteratorIjlEEPS9_SE_NS0_5tupleIJPjSE_EEENSF_IJSE_SE_EEES9_SG_JZNS1_25segmented_radix_sort_implINS0_14default_configELb0EPKaPaPKlPlN2at6native12_GLOBAL__N_18offset_tEEE10hipError_tPvRmT1_PNSt15iterator_traitsISY_E10value_typeET2_T3_PNSZ_IS14_E10value_typeET4_jRbjT5_S1A_jjP12ihipStream_tbEUljE_EEESV_SW_SX_S14_S18_S1A_T6_T7_T9_mT8_S1C_bDpT10_ENKUlT_T0_E_clISt17integral_constantIbLb0EES1P_EEDaS1K_S1L_EUlS1K_E_NS1_11comp_targetILNS1_3genE10ELNS1_11target_archE1200ELNS1_3gpuE4ELNS1_3repE0EEENS1_30default_config_static_selectorELNS0_4arch9wavefront6targetE0EEEvSY_
		.amdhsa_group_segment_fixed_size 0
		.amdhsa_private_segment_fixed_size 0
		.amdhsa_kernarg_size 144
		.amdhsa_user_sgpr_count 15
		.amdhsa_user_sgpr_dispatch_ptr 0
		.amdhsa_user_sgpr_queue_ptr 0
		.amdhsa_user_sgpr_kernarg_segment_ptr 1
		.amdhsa_user_sgpr_dispatch_id 0
		.amdhsa_user_sgpr_private_segment_size 0
		.amdhsa_wavefront_size32 1
		.amdhsa_uses_dynamic_stack 0
		.amdhsa_enable_private_segment 0
		.amdhsa_system_sgpr_workgroup_id_x 1
		.amdhsa_system_sgpr_workgroup_id_y 0
		.amdhsa_system_sgpr_workgroup_id_z 0
		.amdhsa_system_sgpr_workgroup_info 0
		.amdhsa_system_vgpr_workitem_id 0
		.amdhsa_next_free_vgpr 1
		.amdhsa_next_free_sgpr 1
		.amdhsa_reserve_vcc 0
		.amdhsa_float_round_mode_32 0
		.amdhsa_float_round_mode_16_64 0
		.amdhsa_float_denorm_mode_32 3
		.amdhsa_float_denorm_mode_16_64 3
		.amdhsa_dx10_clamp 1
		.amdhsa_ieee_mode 1
		.amdhsa_fp16_overflow 0
		.amdhsa_workgroup_processor_mode 1
		.amdhsa_memory_ordered 1
		.amdhsa_forward_progress 0
		.amdhsa_shared_vgpr_count 0
		.amdhsa_exception_fp_ieee_invalid_op 0
		.amdhsa_exception_fp_denorm_src 0
		.amdhsa_exception_fp_ieee_div_zero 0
		.amdhsa_exception_fp_ieee_overflow 0
		.amdhsa_exception_fp_ieee_underflow 0
		.amdhsa_exception_fp_ieee_inexact 0
		.amdhsa_exception_int_div_zero 0
	.end_amdhsa_kernel
	.section	.text._ZN7rocprim17ROCPRIM_400000_NS6detail17trampoline_kernelINS0_13select_configILj256ELj13ELNS0_17block_load_methodE3ELS4_3ELS4_3ELNS0_20block_scan_algorithmE0ELj4294967295EEENS1_25partition_config_selectorILNS1_17partition_subalgoE3EjNS0_10empty_typeEbEEZZNS1_14partition_implILS8_3ELb0ES6_jNS0_17counting_iteratorIjlEEPS9_SE_NS0_5tupleIJPjSE_EEENSF_IJSE_SE_EEES9_SG_JZNS1_25segmented_radix_sort_implINS0_14default_configELb0EPKaPaPKlPlN2at6native12_GLOBAL__N_18offset_tEEE10hipError_tPvRmT1_PNSt15iterator_traitsISY_E10value_typeET2_T3_PNSZ_IS14_E10value_typeET4_jRbjT5_S1A_jjP12ihipStream_tbEUljE_EEESV_SW_SX_S14_S18_S1A_T6_T7_T9_mT8_S1C_bDpT10_ENKUlT_T0_E_clISt17integral_constantIbLb0EES1P_EEDaS1K_S1L_EUlS1K_E_NS1_11comp_targetILNS1_3genE10ELNS1_11target_archE1200ELNS1_3gpuE4ELNS1_3repE0EEENS1_30default_config_static_selectorELNS0_4arch9wavefront6targetE0EEEvSY_,"axG",@progbits,_ZN7rocprim17ROCPRIM_400000_NS6detail17trampoline_kernelINS0_13select_configILj256ELj13ELNS0_17block_load_methodE3ELS4_3ELS4_3ELNS0_20block_scan_algorithmE0ELj4294967295EEENS1_25partition_config_selectorILNS1_17partition_subalgoE3EjNS0_10empty_typeEbEEZZNS1_14partition_implILS8_3ELb0ES6_jNS0_17counting_iteratorIjlEEPS9_SE_NS0_5tupleIJPjSE_EEENSF_IJSE_SE_EEES9_SG_JZNS1_25segmented_radix_sort_implINS0_14default_configELb0EPKaPaPKlPlN2at6native12_GLOBAL__N_18offset_tEEE10hipError_tPvRmT1_PNSt15iterator_traitsISY_E10value_typeET2_T3_PNSZ_IS14_E10value_typeET4_jRbjT5_S1A_jjP12ihipStream_tbEUljE_EEESV_SW_SX_S14_S18_S1A_T6_T7_T9_mT8_S1C_bDpT10_ENKUlT_T0_E_clISt17integral_constantIbLb0EES1P_EEDaS1K_S1L_EUlS1K_E_NS1_11comp_targetILNS1_3genE10ELNS1_11target_archE1200ELNS1_3gpuE4ELNS1_3repE0EEENS1_30default_config_static_selectorELNS0_4arch9wavefront6targetE0EEEvSY_,comdat
.Lfunc_end366:
	.size	_ZN7rocprim17ROCPRIM_400000_NS6detail17trampoline_kernelINS0_13select_configILj256ELj13ELNS0_17block_load_methodE3ELS4_3ELS4_3ELNS0_20block_scan_algorithmE0ELj4294967295EEENS1_25partition_config_selectorILNS1_17partition_subalgoE3EjNS0_10empty_typeEbEEZZNS1_14partition_implILS8_3ELb0ES6_jNS0_17counting_iteratorIjlEEPS9_SE_NS0_5tupleIJPjSE_EEENSF_IJSE_SE_EEES9_SG_JZNS1_25segmented_radix_sort_implINS0_14default_configELb0EPKaPaPKlPlN2at6native12_GLOBAL__N_18offset_tEEE10hipError_tPvRmT1_PNSt15iterator_traitsISY_E10value_typeET2_T3_PNSZ_IS14_E10value_typeET4_jRbjT5_S1A_jjP12ihipStream_tbEUljE_EEESV_SW_SX_S14_S18_S1A_T6_T7_T9_mT8_S1C_bDpT10_ENKUlT_T0_E_clISt17integral_constantIbLb0EES1P_EEDaS1K_S1L_EUlS1K_E_NS1_11comp_targetILNS1_3genE10ELNS1_11target_archE1200ELNS1_3gpuE4ELNS1_3repE0EEENS1_30default_config_static_selectorELNS0_4arch9wavefront6targetE0EEEvSY_, .Lfunc_end366-_ZN7rocprim17ROCPRIM_400000_NS6detail17trampoline_kernelINS0_13select_configILj256ELj13ELNS0_17block_load_methodE3ELS4_3ELS4_3ELNS0_20block_scan_algorithmE0ELj4294967295EEENS1_25partition_config_selectorILNS1_17partition_subalgoE3EjNS0_10empty_typeEbEEZZNS1_14partition_implILS8_3ELb0ES6_jNS0_17counting_iteratorIjlEEPS9_SE_NS0_5tupleIJPjSE_EEENSF_IJSE_SE_EEES9_SG_JZNS1_25segmented_radix_sort_implINS0_14default_configELb0EPKaPaPKlPlN2at6native12_GLOBAL__N_18offset_tEEE10hipError_tPvRmT1_PNSt15iterator_traitsISY_E10value_typeET2_T3_PNSZ_IS14_E10value_typeET4_jRbjT5_S1A_jjP12ihipStream_tbEUljE_EEESV_SW_SX_S14_S18_S1A_T6_T7_T9_mT8_S1C_bDpT10_ENKUlT_T0_E_clISt17integral_constantIbLb0EES1P_EEDaS1K_S1L_EUlS1K_E_NS1_11comp_targetILNS1_3genE10ELNS1_11target_archE1200ELNS1_3gpuE4ELNS1_3repE0EEENS1_30default_config_static_selectorELNS0_4arch9wavefront6targetE0EEEvSY_
                                        ; -- End function
	.section	.AMDGPU.csdata,"",@progbits
; Kernel info:
; codeLenInByte = 0
; NumSgprs: 0
; NumVgprs: 0
; ScratchSize: 0
; MemoryBound: 0
; FloatMode: 240
; IeeeMode: 1
; LDSByteSize: 0 bytes/workgroup (compile time only)
; SGPRBlocks: 0
; VGPRBlocks: 0
; NumSGPRsForWavesPerEU: 1
; NumVGPRsForWavesPerEU: 1
; Occupancy: 16
; WaveLimiterHint : 0
; COMPUTE_PGM_RSRC2:SCRATCH_EN: 0
; COMPUTE_PGM_RSRC2:USER_SGPR: 15
; COMPUTE_PGM_RSRC2:TRAP_HANDLER: 0
; COMPUTE_PGM_RSRC2:TGID_X_EN: 1
; COMPUTE_PGM_RSRC2:TGID_Y_EN: 0
; COMPUTE_PGM_RSRC2:TGID_Z_EN: 0
; COMPUTE_PGM_RSRC2:TIDIG_COMP_CNT: 0
	.section	.text._ZN7rocprim17ROCPRIM_400000_NS6detail17trampoline_kernelINS0_13select_configILj256ELj13ELNS0_17block_load_methodE3ELS4_3ELS4_3ELNS0_20block_scan_algorithmE0ELj4294967295EEENS1_25partition_config_selectorILNS1_17partition_subalgoE3EjNS0_10empty_typeEbEEZZNS1_14partition_implILS8_3ELb0ES6_jNS0_17counting_iteratorIjlEEPS9_SE_NS0_5tupleIJPjSE_EEENSF_IJSE_SE_EEES9_SG_JZNS1_25segmented_radix_sort_implINS0_14default_configELb0EPKaPaPKlPlN2at6native12_GLOBAL__N_18offset_tEEE10hipError_tPvRmT1_PNSt15iterator_traitsISY_E10value_typeET2_T3_PNSZ_IS14_E10value_typeET4_jRbjT5_S1A_jjP12ihipStream_tbEUljE_EEESV_SW_SX_S14_S18_S1A_T6_T7_T9_mT8_S1C_bDpT10_ENKUlT_T0_E_clISt17integral_constantIbLb0EES1P_EEDaS1K_S1L_EUlS1K_E_NS1_11comp_targetILNS1_3genE9ELNS1_11target_archE1100ELNS1_3gpuE3ELNS1_3repE0EEENS1_30default_config_static_selectorELNS0_4arch9wavefront6targetE0EEEvSY_,"axG",@progbits,_ZN7rocprim17ROCPRIM_400000_NS6detail17trampoline_kernelINS0_13select_configILj256ELj13ELNS0_17block_load_methodE3ELS4_3ELS4_3ELNS0_20block_scan_algorithmE0ELj4294967295EEENS1_25partition_config_selectorILNS1_17partition_subalgoE3EjNS0_10empty_typeEbEEZZNS1_14partition_implILS8_3ELb0ES6_jNS0_17counting_iteratorIjlEEPS9_SE_NS0_5tupleIJPjSE_EEENSF_IJSE_SE_EEES9_SG_JZNS1_25segmented_radix_sort_implINS0_14default_configELb0EPKaPaPKlPlN2at6native12_GLOBAL__N_18offset_tEEE10hipError_tPvRmT1_PNSt15iterator_traitsISY_E10value_typeET2_T3_PNSZ_IS14_E10value_typeET4_jRbjT5_S1A_jjP12ihipStream_tbEUljE_EEESV_SW_SX_S14_S18_S1A_T6_T7_T9_mT8_S1C_bDpT10_ENKUlT_T0_E_clISt17integral_constantIbLb0EES1P_EEDaS1K_S1L_EUlS1K_E_NS1_11comp_targetILNS1_3genE9ELNS1_11target_archE1100ELNS1_3gpuE3ELNS1_3repE0EEENS1_30default_config_static_selectorELNS0_4arch9wavefront6targetE0EEEvSY_,comdat
	.globl	_ZN7rocprim17ROCPRIM_400000_NS6detail17trampoline_kernelINS0_13select_configILj256ELj13ELNS0_17block_load_methodE3ELS4_3ELS4_3ELNS0_20block_scan_algorithmE0ELj4294967295EEENS1_25partition_config_selectorILNS1_17partition_subalgoE3EjNS0_10empty_typeEbEEZZNS1_14partition_implILS8_3ELb0ES6_jNS0_17counting_iteratorIjlEEPS9_SE_NS0_5tupleIJPjSE_EEENSF_IJSE_SE_EEES9_SG_JZNS1_25segmented_radix_sort_implINS0_14default_configELb0EPKaPaPKlPlN2at6native12_GLOBAL__N_18offset_tEEE10hipError_tPvRmT1_PNSt15iterator_traitsISY_E10value_typeET2_T3_PNSZ_IS14_E10value_typeET4_jRbjT5_S1A_jjP12ihipStream_tbEUljE_EEESV_SW_SX_S14_S18_S1A_T6_T7_T9_mT8_S1C_bDpT10_ENKUlT_T0_E_clISt17integral_constantIbLb0EES1P_EEDaS1K_S1L_EUlS1K_E_NS1_11comp_targetILNS1_3genE9ELNS1_11target_archE1100ELNS1_3gpuE3ELNS1_3repE0EEENS1_30default_config_static_selectorELNS0_4arch9wavefront6targetE0EEEvSY_ ; -- Begin function _ZN7rocprim17ROCPRIM_400000_NS6detail17trampoline_kernelINS0_13select_configILj256ELj13ELNS0_17block_load_methodE3ELS4_3ELS4_3ELNS0_20block_scan_algorithmE0ELj4294967295EEENS1_25partition_config_selectorILNS1_17partition_subalgoE3EjNS0_10empty_typeEbEEZZNS1_14partition_implILS8_3ELb0ES6_jNS0_17counting_iteratorIjlEEPS9_SE_NS0_5tupleIJPjSE_EEENSF_IJSE_SE_EEES9_SG_JZNS1_25segmented_radix_sort_implINS0_14default_configELb0EPKaPaPKlPlN2at6native12_GLOBAL__N_18offset_tEEE10hipError_tPvRmT1_PNSt15iterator_traitsISY_E10value_typeET2_T3_PNSZ_IS14_E10value_typeET4_jRbjT5_S1A_jjP12ihipStream_tbEUljE_EEESV_SW_SX_S14_S18_S1A_T6_T7_T9_mT8_S1C_bDpT10_ENKUlT_T0_E_clISt17integral_constantIbLb0EES1P_EEDaS1K_S1L_EUlS1K_E_NS1_11comp_targetILNS1_3genE9ELNS1_11target_archE1100ELNS1_3gpuE3ELNS1_3repE0EEENS1_30default_config_static_selectorELNS0_4arch9wavefront6targetE0EEEvSY_
	.p2align	8
	.type	_ZN7rocprim17ROCPRIM_400000_NS6detail17trampoline_kernelINS0_13select_configILj256ELj13ELNS0_17block_load_methodE3ELS4_3ELS4_3ELNS0_20block_scan_algorithmE0ELj4294967295EEENS1_25partition_config_selectorILNS1_17partition_subalgoE3EjNS0_10empty_typeEbEEZZNS1_14partition_implILS8_3ELb0ES6_jNS0_17counting_iteratorIjlEEPS9_SE_NS0_5tupleIJPjSE_EEENSF_IJSE_SE_EEES9_SG_JZNS1_25segmented_radix_sort_implINS0_14default_configELb0EPKaPaPKlPlN2at6native12_GLOBAL__N_18offset_tEEE10hipError_tPvRmT1_PNSt15iterator_traitsISY_E10value_typeET2_T3_PNSZ_IS14_E10value_typeET4_jRbjT5_S1A_jjP12ihipStream_tbEUljE_EEESV_SW_SX_S14_S18_S1A_T6_T7_T9_mT8_S1C_bDpT10_ENKUlT_T0_E_clISt17integral_constantIbLb0EES1P_EEDaS1K_S1L_EUlS1K_E_NS1_11comp_targetILNS1_3genE9ELNS1_11target_archE1100ELNS1_3gpuE3ELNS1_3repE0EEENS1_30default_config_static_selectorELNS0_4arch9wavefront6targetE0EEEvSY_,@function
_ZN7rocprim17ROCPRIM_400000_NS6detail17trampoline_kernelINS0_13select_configILj256ELj13ELNS0_17block_load_methodE3ELS4_3ELS4_3ELNS0_20block_scan_algorithmE0ELj4294967295EEENS1_25partition_config_selectorILNS1_17partition_subalgoE3EjNS0_10empty_typeEbEEZZNS1_14partition_implILS8_3ELb0ES6_jNS0_17counting_iteratorIjlEEPS9_SE_NS0_5tupleIJPjSE_EEENSF_IJSE_SE_EEES9_SG_JZNS1_25segmented_radix_sort_implINS0_14default_configELb0EPKaPaPKlPlN2at6native12_GLOBAL__N_18offset_tEEE10hipError_tPvRmT1_PNSt15iterator_traitsISY_E10value_typeET2_T3_PNSZ_IS14_E10value_typeET4_jRbjT5_S1A_jjP12ihipStream_tbEUljE_EEESV_SW_SX_S14_S18_S1A_T6_T7_T9_mT8_S1C_bDpT10_ENKUlT_T0_E_clISt17integral_constantIbLb0EES1P_EEDaS1K_S1L_EUlS1K_E_NS1_11comp_targetILNS1_3genE9ELNS1_11target_archE1100ELNS1_3gpuE3ELNS1_3repE0EEENS1_30default_config_static_selectorELNS0_4arch9wavefront6targetE0EEEvSY_: ; @_ZN7rocprim17ROCPRIM_400000_NS6detail17trampoline_kernelINS0_13select_configILj256ELj13ELNS0_17block_load_methodE3ELS4_3ELS4_3ELNS0_20block_scan_algorithmE0ELj4294967295EEENS1_25partition_config_selectorILNS1_17partition_subalgoE3EjNS0_10empty_typeEbEEZZNS1_14partition_implILS8_3ELb0ES6_jNS0_17counting_iteratorIjlEEPS9_SE_NS0_5tupleIJPjSE_EEENSF_IJSE_SE_EEES9_SG_JZNS1_25segmented_radix_sort_implINS0_14default_configELb0EPKaPaPKlPlN2at6native12_GLOBAL__N_18offset_tEEE10hipError_tPvRmT1_PNSt15iterator_traitsISY_E10value_typeET2_T3_PNSZ_IS14_E10value_typeET4_jRbjT5_S1A_jjP12ihipStream_tbEUljE_EEESV_SW_SX_S14_S18_S1A_T6_T7_T9_mT8_S1C_bDpT10_ENKUlT_T0_E_clISt17integral_constantIbLb0EES1P_EEDaS1K_S1L_EUlS1K_E_NS1_11comp_targetILNS1_3genE9ELNS1_11target_archE1100ELNS1_3gpuE3ELNS1_3repE0EEENS1_30default_config_static_selectorELNS0_4arch9wavefront6targetE0EEEvSY_
; %bb.0:
	s_clause 0x5
	s_load_b32 s2, s[0:1], 0x70
	s_load_b64 s[16:17], s[0:1], 0x10
	s_load_b64 s[12:13], s[0:1], 0x58
	s_load_b32 s18, s[0:1], 0x8
	s_load_b128 s[8:11], s[0:1], 0x48
	s_load_b128 s[4:7], s[0:1], 0x78
	s_mul_i32 s23, s15, 0xd00
	v_lshlrev_b32_e32 v30, 2, v0
	s_waitcnt lgkmcnt(0)
	s_mul_i32 s20, s2, 0xd00
	s_add_i32 s19, s2, -1
	s_add_u32 s2, s16, s20
	s_addc_u32 s3, s17, 0
	s_cmp_eq_u32 s15, s19
	v_cmp_lt_u64_e64 s3, s[2:3], s[12:13]
	s_cselect_b32 s14, -1, 0
	s_cmp_lg_u32 s15, s19
	s_cselect_b32 s21, -1, 0
	s_add_i32 s2, s18, s23
	s_delay_alu instid0(VALU_DEP_1)
	s_or_b32 s3, s21, s3
	s_add_i32 s18, s2, s16
	s_load_b32 s2, s[0:1], 0x88
	v_add_nc_u32_e32 v1, s18, v0
	s_load_b64 s[18:19], s[10:11], 0x0
	s_and_b32 vcc_lo, exec_lo, s3
	s_mov_b32 s10, -1
	s_delay_alu instid0(VALU_DEP_1)
	v_add_nc_u32_e32 v2, 0x100, v1
	v_add_nc_u32_e32 v3, 0x200, v1
	;; [unrolled: 1-line block ×12, first 2 shown]
	s_cbranch_vccz .LBB367_2
; %bb.1:
	ds_store_2addr_stride64_b32 v30, v1, v2 offset1:4
	ds_store_2addr_stride64_b32 v30, v3, v4 offset0:8 offset1:12
	ds_store_2addr_stride64_b32 v30, v5, v6 offset0:16 offset1:20
	;; [unrolled: 1-line block ×5, first 2 shown]
	ds_store_b32 v30, v13 offset:12288
	s_waitcnt lgkmcnt(0)
	s_mov_b32 s10, 0
	s_barrier
.LBB367_2:
	s_and_not1_b32 vcc_lo, exec_lo, s10
	s_add_i32 s20, s20, s16
	s_cbranch_vccnz .LBB367_4
; %bb.3:
	ds_store_2addr_stride64_b32 v30, v1, v2 offset1:4
	ds_store_2addr_stride64_b32 v30, v3, v4 offset0:8 offset1:12
	ds_store_2addr_stride64_b32 v30, v5, v6 offset0:16 offset1:20
	;; [unrolled: 1-line block ×5, first 2 shown]
	ds_store_b32 v30, v13 offset:12288
	s_waitcnt lgkmcnt(0)
	s_barrier
.LBB367_4:
	v_mul_u32_u24_e32 v33, 13, v0
	s_waitcnt lgkmcnt(0)
	buffer_gl0_inv
	v_cndmask_b32_e64 v31, 0, 1, s3
	s_sub_i32 s22, s12, s20
	s_and_not1_b32 vcc_lo, exec_lo, s3
	v_lshlrev_b32_e32 v1, 2, v33
	ds_load_2addr_b32 v[28:29], v1 offset1:1
	ds_load_2addr_b32 v[26:27], v1 offset0:2 offset1:3
	ds_load_2addr_b32 v[24:25], v1 offset0:4 offset1:5
	;; [unrolled: 1-line block ×5, first 2 shown]
	ds_load_b32 v32, v1 offset:48
	s_waitcnt lgkmcnt(0)
	s_barrier
	buffer_gl0_inv
	s_cbranch_vccnz .LBB367_6
; %bb.5:
	v_add_nc_u32_e32 v1, s5, v28
	v_add_nc_u32_e32 v2, s7, v28
	;; [unrolled: 1-line block ×5, first 2 shown]
	v_mul_lo_u32 v1, v1, s4
	v_mul_lo_u32 v2, v2, s6
	;; [unrolled: 1-line block ×4, first 2 shown]
	v_add_nc_u32_e32 v6, s7, v26
	v_add_nc_u32_e32 v7, s5, v27
	;; [unrolled: 1-line block ×3, first 2 shown]
	v_mul_lo_u32 v5, v5, s4
	v_add_nc_u32_e32 v9, s5, v22
	v_sub_nc_u32_e32 v1, v1, v2
	v_mul_lo_u32 v2, v6, s6
	v_sub_nc_u32_e32 v3, v3, v4
	v_mul_lo_u32 v4, v7, s4
	v_mul_lo_u32 v6, v8, s6
	v_add_nc_u32_e32 v7, s5, v24
	v_cmp_lt_u32_e32 vcc_lo, s2, v1
	v_add_nc_u32_e32 v8, s5, v25
	v_add_nc_u32_e32 v10, s7, v22
	v_sub_nc_u32_e32 v2, v5, v2
	v_add_nc_u32_e32 v5, s7, v24
	v_cndmask_b32_e64 v1, 0, 1, vcc_lo
	v_sub_nc_u32_e32 v4, v4, v6
	v_mul_lo_u32 v6, v7, s4
	v_add_nc_u32_e32 v7, s7, v25
	v_cmp_lt_u32_e32 vcc_lo, s2, v3
	v_mul_lo_u32 v5, v5, s6
	v_mul_lo_u32 v8, v8, s4
	;; [unrolled: 1-line block ×4, first 2 shown]
	v_cndmask_b32_e64 v3, 0, 1, vcc_lo
	v_cmp_lt_u32_e32 vcc_lo, s2, v2
	v_mul_lo_u32 v10, v10, s6
	v_add_nc_u32_e32 v11, s5, v20
	v_sub_nc_u32_e32 v5, v6, v5
	v_add_nc_u32_e32 v12, s7, v20
	v_cndmask_b32_e64 v2, 0, 1, vcc_lo
	v_sub_nc_u32_e32 v6, v8, v7
	v_add_nc_u32_e32 v7, s5, v23
	v_add_nc_u32_e32 v8, s7, v23
	v_cmp_lt_u32_e32 vcc_lo, s2, v4
	v_sub_nc_u32_e32 v9, v9, v10
	v_mul_lo_u32 v10, v11, s4
	v_mul_lo_u32 v7, v7, s4
	;; [unrolled: 1-line block ×4, first 2 shown]
	v_cndmask_b32_e64 v4, 0, 1, vcc_lo
	v_cmp_lt_u32_e32 vcc_lo, s2, v5
	v_add_nc_u32_e32 v12, s5, v21
	v_add_nc_u32_e32 v13, s7, v18
	;; [unrolled: 1-line block ×4, first 2 shown]
	v_cndmask_b32_e64 v5, 0, 1, vcc_lo
	v_cmp_lt_u32_e32 vcc_lo, s2, v6
	v_sub_nc_u32_e32 v7, v7, v8
	v_sub_nc_u32_e32 v8, v10, v11
	v_add_nc_u32_e32 v11, s7, v21
	v_mul_lo_u32 v10, v12, s4
	v_cndmask_b32_e64 v6, 0, 1, vcc_lo
	v_cmp_lt_u32_e32 vcc_lo, s2, v9
	v_add_nc_u32_e32 v12, s5, v18
	v_mul_lo_u32 v11, v11, s6
	v_mul_lo_u32 v13, v13, s6
	;; [unrolled: 1-line block ×3, first 2 shown]
	v_cndmask_b32_e64 v9, 0, 1, vcc_lo
	v_cmp_lt_u32_e32 vcc_lo, s2, v7
	v_mul_lo_u32 v12, v12, s4
	v_mul_lo_u32 v15, v15, s6
	v_lshlrev_b16 v3, 8, v3
	v_sub_nc_u32_e32 v10, v10, v11
	v_cndmask_b32_e64 v7, 0, 1, vcc_lo
	v_cmp_lt_u32_e32 vcc_lo, s2, v8
	v_add_nc_u32_e32 v11, s5, v32
	v_or_b32_e32 v1, v1, v3
	v_sub_nc_u32_e32 v12, v12, v13
	v_sub_nc_u32_e32 v13, v14, v15
	v_cndmask_b32_e64 v8, 0, 1, vcc_lo
	v_cmp_lt_u32_e32 vcc_lo, s2, v10
	v_add_nc_u32_e32 v16, s7, v32
	v_mul_lo_u32 v11, v11, s4
	v_lshlrev_b16 v4, 8, v4
	v_lshlrev_b16 v6, 8, v6
	v_cndmask_b32_e64 v10, 0, 1, vcc_lo
	v_cmp_lt_u32_e32 vcc_lo, s2, v12
	v_mul_lo_u32 v14, v16, s6
	v_lshlrev_b16 v7, 8, v7
	v_or_b32_e32 v2, v2, v4
	v_lshlrev_b16 v10, 8, v10
	v_cndmask_b32_e64 v3, 0, 1, vcc_lo
	v_cmp_lt_u32_e32 vcc_lo, s2, v13
	v_or_b32_e32 v4, v5, v6
	v_or_b32_e32 v5, v9, v7
	v_sub_nc_u32_e32 v11, v11, v14
	v_or_b32_e32 v6, v8, v10
	v_cndmask_b32_e64 v12, 0, 1, vcc_lo
	v_and_b32_e32 v1, 0xffff, v1
	v_lshlrev_b32_e32 v2, 16, v2
	v_and_b32_e32 v4, 0xffff, v4
	v_lshlrev_b32_e32 v5, 16, v5
	v_lshlrev_b16 v12, 8, v12
	v_and_b32_e32 v6, 0xffff, v6
	v_cmp_lt_u32_e32 vcc_lo, s2, v11
	v_or_b32_e32 v39, v1, v2
	v_or_b32_e32 v37, v4, v5
	;; [unrolled: 1-line block ×3, first 2 shown]
	s_mov_b32 s3, 0
	v_cndmask_b32_e64 v34, 0, 1, vcc_lo
	s_delay_alu instid0(VALU_DEP_2) | instskip(NEXT) | instid1(VALU_DEP_1)
	v_lshlrev_b32_e32 v3, 16, v3
	v_or_b32_e32 v35, v6, v3
	s_branch .LBB367_7
.LBB367_6:
	s_mov_b32 s3, -1
                                        ; implicit-def: $vgpr34
                                        ; implicit-def: $vgpr35
                                        ; implicit-def: $vgpr37
                                        ; implicit-def: $vgpr39
.LBB367_7:
	s_clause 0x1
	s_load_b64 s[10:11], s[0:1], 0x28
	s_load_b64 s[20:21], s[0:1], 0x68
	s_and_not1_b32 vcc_lo, exec_lo, s3
	s_addk_i32 s22, 0xd00
	s_cbranch_vccnz .LBB367_35
; %bb.8:
	v_dual_mov_b32 v2, 0 :: v_dual_mov_b32 v1, 0
	s_mov_b32 s0, exec_lo
	v_cmpx_gt_u32_e64 s22, v33
; %bb.9:
	v_add_nc_u32_e32 v1, s5, v28
	v_add_nc_u32_e32 v3, s7, v28
	s_delay_alu instid0(VALU_DEP_2) | instskip(NEXT) | instid1(VALU_DEP_2)
	v_mul_lo_u32 v1, v1, s4
	v_mul_lo_u32 v3, v3, s6
	s_delay_alu instid0(VALU_DEP_1) | instskip(NEXT) | instid1(VALU_DEP_1)
	v_sub_nc_u32_e32 v1, v1, v3
	v_cmp_lt_u32_e32 vcc_lo, s2, v1
	v_cndmask_b32_e64 v1, 0, 1, vcc_lo
; %bb.10:
	s_or_b32 exec_lo, exec_lo, s0
	v_add_nc_u32_e32 v3, 1, v33
	s_mov_b32 s0, exec_lo
	s_delay_alu instid0(VALU_DEP_1)
	v_cmpx_gt_u32_e64 s22, v3
; %bb.11:
	v_add_nc_u32_e32 v2, s5, v29
	v_add_nc_u32_e32 v3, s7, v29
	s_delay_alu instid0(VALU_DEP_2) | instskip(NEXT) | instid1(VALU_DEP_2)
	v_mul_lo_u32 v2, v2, s4
	v_mul_lo_u32 v3, v3, s6
	s_delay_alu instid0(VALU_DEP_1) | instskip(NEXT) | instid1(VALU_DEP_1)
	v_sub_nc_u32_e32 v2, v2, v3
	v_cmp_lt_u32_e32 vcc_lo, s2, v2
	v_cndmask_b32_e64 v2, 0, 1, vcc_lo
; %bb.12:
	s_or_b32 exec_lo, exec_lo, s0
	v_dual_mov_b32 v4, 0 :: v_dual_add_nc_u32 v3, 2, v33
	s_delay_alu instid0(VALU_DEP_1)
	v_cmp_gt_u32_e32 vcc_lo, s22, v3
	v_mov_b32_e32 v3, 0
	s_and_saveexec_b32 s0, vcc_lo
; %bb.13:
	v_add_nc_u32_e32 v3, s5, v26
	v_add_nc_u32_e32 v5, s7, v26
	s_delay_alu instid0(VALU_DEP_2) | instskip(NEXT) | instid1(VALU_DEP_2)
	v_mul_lo_u32 v3, v3, s4
	v_mul_lo_u32 v5, v5, s6
	s_delay_alu instid0(VALU_DEP_1) | instskip(NEXT) | instid1(VALU_DEP_1)
	v_sub_nc_u32_e32 v3, v3, v5
	v_cmp_lt_u32_e32 vcc_lo, s2, v3
	v_cndmask_b32_e64 v3, 0, 1, vcc_lo
; %bb.14:
	s_or_b32 exec_lo, exec_lo, s0
	v_add_nc_u32_e32 v5, 3, v33
	s_mov_b32 s0, exec_lo
	s_delay_alu instid0(VALU_DEP_1)
	v_cmpx_gt_u32_e64 s22, v5
; %bb.15:
	v_add_nc_u32_e32 v4, s5, v27
	v_add_nc_u32_e32 v5, s7, v27
	s_delay_alu instid0(VALU_DEP_2) | instskip(NEXT) | instid1(VALU_DEP_2)
	v_mul_lo_u32 v4, v4, s4
	v_mul_lo_u32 v5, v5, s6
	s_delay_alu instid0(VALU_DEP_1) | instskip(NEXT) | instid1(VALU_DEP_1)
	v_sub_nc_u32_e32 v4, v4, v5
	v_cmp_lt_u32_e32 vcc_lo, s2, v4
	v_cndmask_b32_e64 v4, 0, 1, vcc_lo
; %bb.16:
	s_or_b32 exec_lo, exec_lo, s0
	v_dual_mov_b32 v6, 0 :: v_dual_add_nc_u32 v5, 4, v33
	s_delay_alu instid0(VALU_DEP_1)
	v_cmp_gt_u32_e32 vcc_lo, s22, v5
	v_mov_b32_e32 v5, 0
	s_and_saveexec_b32 s0, vcc_lo
	;; [unrolled: 33-line block ×5, first 2 shown]
; %bb.29:
	v_add_nc_u32_e32 v11, s5, v18
	v_add_nc_u32_e32 v13, s7, v18
	s_delay_alu instid0(VALU_DEP_2) | instskip(NEXT) | instid1(VALU_DEP_2)
	v_mul_lo_u32 v11, v11, s4
	v_mul_lo_u32 v13, v13, s6
	s_delay_alu instid0(VALU_DEP_1) | instskip(NEXT) | instid1(VALU_DEP_1)
	v_sub_nc_u32_e32 v11, v11, v13
	v_cmp_lt_u32_e32 vcc_lo, s2, v11
	v_cndmask_b32_e64 v11, 0, 1, vcc_lo
; %bb.30:
	s_or_b32 exec_lo, exec_lo, s0
	v_add_nc_u32_e32 v13, 11, v33
	s_mov_b32 s0, exec_lo
	s_delay_alu instid0(VALU_DEP_1)
	v_cmpx_gt_u32_e64 s22, v13
; %bb.31:
	v_add_nc_u32_e32 v12, s5, v19
	v_add_nc_u32_e32 v13, s7, v19
	s_delay_alu instid0(VALU_DEP_2) | instskip(NEXT) | instid1(VALU_DEP_2)
	v_mul_lo_u32 v12, v12, s4
	v_mul_lo_u32 v13, v13, s6
	s_delay_alu instid0(VALU_DEP_1) | instskip(NEXT) | instid1(VALU_DEP_1)
	v_sub_nc_u32_e32 v12, v12, v13
	v_cmp_lt_u32_e32 vcc_lo, s2, v12
	v_cndmask_b32_e64 v12, 0, 1, vcc_lo
; %bb.32:
	s_or_b32 exec_lo, exec_lo, s0
	v_dual_mov_b32 v34, 0 :: v_dual_add_nc_u32 v13, 12, v33
	s_mov_b32 s0, exec_lo
	s_delay_alu instid0(VALU_DEP_1)
	v_cmpx_gt_u32_e64 s22, v13
; %bb.33:
	v_add_nc_u32_e32 v13, s5, v32
	v_add_nc_u32_e32 v14, s7, v32
	s_delay_alu instid0(VALU_DEP_2) | instskip(NEXT) | instid1(VALU_DEP_2)
	v_mul_lo_u32 v13, v13, s4
	v_mul_lo_u32 v14, v14, s6
	s_delay_alu instid0(VALU_DEP_1) | instskip(NEXT) | instid1(VALU_DEP_1)
	v_sub_nc_u32_e32 v13, v13, v14
	v_cmp_lt_u32_e32 vcc_lo, s2, v13
	v_cndmask_b32_e64 v34, 0, 1, vcc_lo
; %bb.34:
	s_or_b32 exec_lo, exec_lo, s0
	v_lshlrev_b16 v2, 8, v2
	v_lshlrev_b16 v4, 8, v4
	;; [unrolled: 1-line block ×5, first 2 shown]
	v_or_b32_e32 v1, v1, v2
	v_lshlrev_b16 v2, 8, v12
	v_or_b32_e32 v3, v3, v4
	v_or_b32_e32 v4, v5, v6
	;; [unrolled: 1-line block ×5, first 2 shown]
	v_and_b32_e32 v1, 0xffff, v1
	v_lshlrev_b32_e32 v3, 16, v3
	v_and_b32_e32 v4, 0xffff, v4
	v_lshlrev_b32_e32 v5, 16, v5
	;; [unrolled: 2-line block ×3, first 2 shown]
	v_or_b32_e32 v39, v1, v3
	s_delay_alu instid0(VALU_DEP_4) | instskip(NEXT) | instid1(VALU_DEP_3)
	v_or_b32_e32 v37, v4, v5
	v_or_b32_e32 v35, v6, v2
.LBB367_35:
	s_delay_alu instid0(VALU_DEP_3)
	v_and_b32_e32 v41, 0xff, v39
	v_bfe_u32 v42, v39, 8, 8
	v_bfe_u32 v43, v39, 16, 8
	v_lshrrev_b32_e32 v40, 24, v39
	v_and_b32_e32 v44, 0xff, v37
	v_bfe_u32 v45, v37, 8, 8
	v_bfe_u32 v46, v37, 16, 8
	v_add3_u32 v1, v42, v41, v43
	v_lshrrev_b32_e32 v38, 24, v37
	v_and_b32_e32 v47, 0xff, v35
	v_bfe_u32 v48, v35, 8, 8
	v_mbcnt_lo_u32_b32 v50, -1, 0
	v_add3_u32 v1, v1, v40, v44
	v_bfe_u32 v49, v35, 16, 8
	v_lshrrev_b32_e32 v36, 24, v35
	v_and_b32_e32 v2, 0xff, v34
	v_and_b32_e32 v3, 15, v50
	v_add3_u32 v1, v1, v45, v46
	v_or_b32_e32 v4, 31, v0
	v_and_b32_e32 v5, 16, v50
	v_lshrrev_b32_e32 v51, 5, v0
	v_cmp_eq_u32_e64 s5, 0, v3
	v_add3_u32 v1, v1, v38, v47
	v_cmp_lt_u32_e64 s4, 1, v3
	v_cmp_lt_u32_e64 s3, 3, v3
	;; [unrolled: 1-line block ×3, first 2 shown]
	v_cmp_eq_u32_e64 s1, 0, v5
	v_add3_u32 v1, v1, v48, v49
	v_cmp_eq_u32_e64 s0, v4, v0
	s_cmp_lg_u32 s15, 0
	s_mov_b32 s6, -1
	s_delay_alu instid0(VALU_DEP_2)
	v_add3_u32 v52, v1, v36, v2
	s_cbranch_scc0 .LBB367_61
; %bb.36:
	s_delay_alu instid0(VALU_DEP_1) | instskip(NEXT) | instid1(VALU_DEP_1)
	v_mov_b32_dpp v1, v52 row_shr:1 row_mask:0xf bank_mask:0xf
	v_cndmask_b32_e64 v1, v1, 0, s5
	s_delay_alu instid0(VALU_DEP_1) | instskip(NEXT) | instid1(VALU_DEP_1)
	v_add_nc_u32_e32 v1, v1, v52
	v_mov_b32_dpp v2, v1 row_shr:2 row_mask:0xf bank_mask:0xf
	s_delay_alu instid0(VALU_DEP_1) | instskip(NEXT) | instid1(VALU_DEP_1)
	v_cndmask_b32_e64 v2, 0, v2, s4
	v_add_nc_u32_e32 v1, v1, v2
	s_delay_alu instid0(VALU_DEP_1) | instskip(NEXT) | instid1(VALU_DEP_1)
	v_mov_b32_dpp v2, v1 row_shr:4 row_mask:0xf bank_mask:0xf
	v_cndmask_b32_e64 v2, 0, v2, s3
	s_delay_alu instid0(VALU_DEP_1) | instskip(NEXT) | instid1(VALU_DEP_1)
	v_add_nc_u32_e32 v1, v1, v2
	v_mov_b32_dpp v2, v1 row_shr:8 row_mask:0xf bank_mask:0xf
	s_delay_alu instid0(VALU_DEP_1) | instskip(NEXT) | instid1(VALU_DEP_1)
	v_cndmask_b32_e64 v2, 0, v2, s2
	v_add_nc_u32_e32 v1, v1, v2
	ds_swizzle_b32 v2, v1 offset:swizzle(BROADCAST,32,15)
	s_waitcnt lgkmcnt(0)
	v_cndmask_b32_e64 v2, v2, 0, s1
	s_delay_alu instid0(VALU_DEP_1)
	v_add_nc_u32_e32 v1, v1, v2
	s_and_saveexec_b32 s6, s0
	s_cbranch_execz .LBB367_38
; %bb.37:
	v_lshlrev_b32_e32 v2, 2, v51
	ds_store_b32 v2, v1
.LBB367_38:
	s_or_b32 exec_lo, exec_lo, s6
	s_delay_alu instid0(SALU_CYCLE_1)
	s_mov_b32 s6, exec_lo
	s_waitcnt lgkmcnt(0)
	s_barrier
	buffer_gl0_inv
	v_cmpx_gt_u32_e32 8, v0
	s_cbranch_execz .LBB367_40
; %bb.39:
	ds_load_b32 v2, v30
	s_waitcnt lgkmcnt(0)
	v_mov_b32_dpp v4, v2 row_shr:1 row_mask:0xf bank_mask:0xf
	v_and_b32_e32 v3, 7, v50
	s_delay_alu instid0(VALU_DEP_1) | instskip(NEXT) | instid1(VALU_DEP_3)
	v_cmp_ne_u32_e32 vcc_lo, 0, v3
	v_cndmask_b32_e32 v4, 0, v4, vcc_lo
	v_cmp_lt_u32_e32 vcc_lo, 1, v3
	s_delay_alu instid0(VALU_DEP_2) | instskip(NEXT) | instid1(VALU_DEP_1)
	v_add_nc_u32_e32 v2, v4, v2
	v_mov_b32_dpp v4, v2 row_shr:2 row_mask:0xf bank_mask:0xf
	s_delay_alu instid0(VALU_DEP_1) | instskip(SKIP_1) | instid1(VALU_DEP_2)
	v_cndmask_b32_e32 v4, 0, v4, vcc_lo
	v_cmp_lt_u32_e32 vcc_lo, 3, v3
	v_add_nc_u32_e32 v2, v2, v4
	s_delay_alu instid0(VALU_DEP_1) | instskip(NEXT) | instid1(VALU_DEP_1)
	v_mov_b32_dpp v4, v2 row_shr:4 row_mask:0xf bank_mask:0xf
	v_cndmask_b32_e32 v3, 0, v4, vcc_lo
	s_delay_alu instid0(VALU_DEP_1)
	v_add_nc_u32_e32 v2, v2, v3
	ds_store_b32 v30, v2
.LBB367_40:
	s_or_b32 exec_lo, exec_lo, s6
	v_cmp_gt_u32_e32 vcc_lo, 32, v0
	s_mov_b32 s7, exec_lo
	s_waitcnt lgkmcnt(0)
	s_barrier
	buffer_gl0_inv
                                        ; implicit-def: $vgpr8
	v_cmpx_lt_u32_e32 31, v0
	s_cbranch_execz .LBB367_42
; %bb.41:
	v_lshl_add_u32 v2, v51, 2, -4
	ds_load_b32 v8, v2
	s_waitcnt lgkmcnt(0)
	v_add_nc_u32_e32 v1, v8, v1
.LBB367_42:
	s_or_b32 exec_lo, exec_lo, s7
	v_add_nc_u32_e32 v2, -1, v50
	s_delay_alu instid0(VALU_DEP_1) | instskip(NEXT) | instid1(VALU_DEP_1)
	v_cmp_gt_i32_e64 s6, 0, v2
	v_cndmask_b32_e64 v2, v2, v50, s6
	v_cmp_eq_u32_e64 s6, 0, v50
	s_delay_alu instid0(VALU_DEP_2)
	v_lshlrev_b32_e32 v2, 2, v2
	ds_bpermute_b32 v9, v2, v1
	s_and_saveexec_b32 s7, vcc_lo
	s_cbranch_execz .LBB367_60
; %bb.43:
	v_mov_b32_e32 v4, 0
	ds_load_b32 v1, v4 offset:28
	s_and_saveexec_b32 s24, s6
	s_cbranch_execz .LBB367_45
; %bb.44:
	s_add_i32 s26, s15, 32
	s_mov_b32 s27, 0
	v_mov_b32_e32 v2, 1
	s_lshl_b64 s[26:27], s[26:27], 3
	s_delay_alu instid0(SALU_CYCLE_1)
	s_add_u32 s26, s20, s26
	s_addc_u32 s27, s21, s27
	s_waitcnt lgkmcnt(0)
	global_store_b64 v4, v[1:2], s[26:27]
.LBB367_45:
	s_or_b32 exec_lo, exec_lo, s24
	v_xad_u32 v2, v50, -1, s15
	s_mov_b32 s25, 0
	s_mov_b32 s24, exec_lo
	s_delay_alu instid0(VALU_DEP_1) | instskip(NEXT) | instid1(VALU_DEP_1)
	v_add_nc_u32_e32 v3, 32, v2
	v_lshlrev_b64 v[3:4], 3, v[3:4]
	s_delay_alu instid0(VALU_DEP_1) | instskip(NEXT) | instid1(VALU_DEP_2)
	v_add_co_u32 v6, vcc_lo, s20, v3
	v_add_co_ci_u32_e32 v7, vcc_lo, s21, v4, vcc_lo
	global_load_b64 v[4:5], v[6:7], off glc
	s_waitcnt vmcnt(0)
	v_and_b32_e32 v3, 0xff, v5
	s_delay_alu instid0(VALU_DEP_1)
	v_cmpx_eq_u16_e32 0, v3
	s_cbranch_execz .LBB367_48
.LBB367_46:                             ; =>This Inner Loop Header: Depth=1
	global_load_b64 v[4:5], v[6:7], off glc
	s_waitcnt vmcnt(0)
	v_and_b32_e32 v3, 0xff, v5
	s_delay_alu instid0(VALU_DEP_1) | instskip(SKIP_1) | instid1(SALU_CYCLE_1)
	v_cmp_ne_u16_e32 vcc_lo, 0, v3
	s_or_b32 s25, vcc_lo, s25
	s_and_not1_b32 exec_lo, exec_lo, s25
	s_cbranch_execnz .LBB367_46
; %bb.47:
	s_or_b32 exec_lo, exec_lo, s25
.LBB367_48:
	s_delay_alu instid0(SALU_CYCLE_1)
	s_or_b32 exec_lo, exec_lo, s24
	v_cmp_ne_u32_e32 vcc_lo, 31, v50
	v_lshlrev_b32_e64 v11, v50, -1
	v_add_nc_u32_e32 v13, 2, v50
	v_add_nc_u32_e32 v16, 4, v50
	v_add_nc_u32_e32 v53, 8, v50
	v_add_co_ci_u32_e32 v3, vcc_lo, 0, v50, vcc_lo
	v_add_nc_u32_e32 v55, 16, v50
	s_delay_alu instid0(VALU_DEP_2) | instskip(SKIP_2) | instid1(VALU_DEP_1)
	v_lshlrev_b32_e32 v10, 2, v3
	ds_bpermute_b32 v6, v10, v4
	v_and_b32_e32 v3, 0xff, v5
	v_cmp_eq_u16_e32 vcc_lo, 2, v3
	v_and_or_b32 v3, vcc_lo, v11, 0x80000000
	v_cmp_gt_u32_e32 vcc_lo, 30, v50
	s_delay_alu instid0(VALU_DEP_2) | instskip(SKIP_1) | instid1(VALU_DEP_2)
	v_ctz_i32_b32_e32 v3, v3
	v_cndmask_b32_e64 v7, 0, 1, vcc_lo
	v_cmp_lt_u32_e32 vcc_lo, v50, v3
	s_waitcnt lgkmcnt(0)
	s_delay_alu instid0(VALU_DEP_2) | instskip(NEXT) | instid1(VALU_DEP_1)
	v_dual_cndmask_b32 v6, 0, v6 :: v_dual_lshlrev_b32 v7, 1, v7
	v_add_lshl_u32 v12, v7, v50, 2
	v_cmp_gt_u32_e32 vcc_lo, 28, v50
	s_delay_alu instid0(VALU_DEP_3) | instskip(SKIP_4) | instid1(VALU_DEP_1)
	v_add_nc_u32_e32 v4, v6, v4
	v_cndmask_b32_e64 v7, 0, 1, vcc_lo
	v_cmp_le_u32_e32 vcc_lo, v13, v3
	ds_bpermute_b32 v6, v12, v4
	v_lshlrev_b32_e32 v7, 2, v7
	v_add_lshl_u32 v14, v7, v50, 2
	s_waitcnt lgkmcnt(0)
	v_cndmask_b32_e32 v6, 0, v6, vcc_lo
	v_cmp_gt_u32_e32 vcc_lo, 24, v50
	s_delay_alu instid0(VALU_DEP_2) | instskip(SKIP_4) | instid1(VALU_DEP_1)
	v_add_nc_u32_e32 v4, v4, v6
	v_cndmask_b32_e64 v7, 0, 1, vcc_lo
	v_cmp_le_u32_e32 vcc_lo, v16, v3
	ds_bpermute_b32 v6, v14, v4
	v_lshlrev_b32_e32 v7, 3, v7
	v_add_lshl_u32 v17, v7, v50, 2
	s_waitcnt lgkmcnt(0)
	v_cndmask_b32_e32 v6, 0, v6, vcc_lo
	v_cmp_gt_u32_e32 vcc_lo, 16, v50
	s_delay_alu instid0(VALU_DEP_2) | instskip(SKIP_4) | instid1(VALU_DEP_1)
	v_add_nc_u32_e32 v4, v4, v6
	v_cndmask_b32_e64 v7, 0, 1, vcc_lo
	v_cmp_le_u32_e32 vcc_lo, v53, v3
	ds_bpermute_b32 v6, v17, v4
	v_lshlrev_b32_e32 v7, 4, v7
	v_add_lshl_u32 v54, v7, v50, 2
	s_waitcnt lgkmcnt(0)
	v_cndmask_b32_e32 v6, 0, v6, vcc_lo
	v_cmp_le_u32_e32 vcc_lo, v55, v3
	s_delay_alu instid0(VALU_DEP_2) | instskip(SKIP_3) | instid1(VALU_DEP_1)
	v_add_nc_u32_e32 v4, v4, v6
	ds_bpermute_b32 v6, v54, v4
	s_waitcnt lgkmcnt(0)
	v_cndmask_b32_e32 v3, 0, v6, vcc_lo
	v_dual_mov_b32 v3, 0 :: v_dual_add_nc_u32 v4, v4, v3
	s_branch .LBB367_50
.LBB367_49:                             ;   in Loop: Header=BB367_50 Depth=1
	s_or_b32 exec_lo, exec_lo, s24
	ds_bpermute_b32 v7, v10, v4
	v_and_b32_e32 v6, 0xff, v5
	v_subrev_nc_u32_e32 v2, 32, v2
	s_delay_alu instid0(VALU_DEP_2) | instskip(SKIP_1) | instid1(VALU_DEP_1)
	v_cmp_eq_u16_e32 vcc_lo, 2, v6
	v_and_or_b32 v6, vcc_lo, v11, 0x80000000
	v_ctz_i32_b32_e32 v6, v6
	s_delay_alu instid0(VALU_DEP_1) | instskip(SKIP_3) | instid1(VALU_DEP_2)
	v_cmp_lt_u32_e32 vcc_lo, v50, v6
	s_waitcnt lgkmcnt(0)
	v_cndmask_b32_e32 v7, 0, v7, vcc_lo
	v_cmp_le_u32_e32 vcc_lo, v13, v6
	v_add_nc_u32_e32 v4, v7, v4
	ds_bpermute_b32 v7, v12, v4
	s_waitcnt lgkmcnt(0)
	v_cndmask_b32_e32 v7, 0, v7, vcc_lo
	v_cmp_le_u32_e32 vcc_lo, v16, v6
	s_delay_alu instid0(VALU_DEP_2) | instskip(SKIP_4) | instid1(VALU_DEP_2)
	v_add_nc_u32_e32 v4, v4, v7
	ds_bpermute_b32 v7, v14, v4
	s_waitcnt lgkmcnt(0)
	v_cndmask_b32_e32 v7, 0, v7, vcc_lo
	v_cmp_le_u32_e32 vcc_lo, v53, v6
	v_add_nc_u32_e32 v4, v4, v7
	ds_bpermute_b32 v7, v17, v4
	s_waitcnt lgkmcnt(0)
	v_cndmask_b32_e32 v7, 0, v7, vcc_lo
	v_cmp_le_u32_e32 vcc_lo, v55, v6
	s_delay_alu instid0(VALU_DEP_2) | instskip(SKIP_3) | instid1(VALU_DEP_1)
	v_add_nc_u32_e32 v4, v4, v7
	ds_bpermute_b32 v7, v54, v4
	s_waitcnt lgkmcnt(0)
	v_cndmask_b32_e32 v6, 0, v7, vcc_lo
	v_add3_u32 v4, v6, v15, v4
.LBB367_50:                             ; =>This Loop Header: Depth=1
                                        ;     Child Loop BB367_53 Depth 2
	v_and_b32_e32 v5, 0xff, v5
	s_delay_alu instid0(VALU_DEP_2) | instskip(NEXT) | instid1(VALU_DEP_2)
	v_mov_b32_e32 v15, v4
	v_cmp_ne_u16_e32 vcc_lo, 2, v5
	v_cndmask_b32_e64 v5, 0, 1, vcc_lo
	;;#ASMSTART
	;;#ASMEND
	s_delay_alu instid0(VALU_DEP_1)
	v_cmp_ne_u32_e32 vcc_lo, 0, v5
	s_cmp_lg_u32 vcc_lo, exec_lo
	s_cbranch_scc1 .LBB367_55
; %bb.51:                               ;   in Loop: Header=BB367_50 Depth=1
	v_lshlrev_b64 v[4:5], 3, v[2:3]
	s_mov_b32 s24, exec_lo
	s_delay_alu instid0(VALU_DEP_1) | instskip(NEXT) | instid1(VALU_DEP_2)
	v_add_co_u32 v6, vcc_lo, s20, v4
	v_add_co_ci_u32_e32 v7, vcc_lo, s21, v5, vcc_lo
	global_load_b64 v[4:5], v[6:7], off glc
	s_waitcnt vmcnt(0)
	v_and_b32_e32 v56, 0xff, v5
	s_delay_alu instid0(VALU_DEP_1)
	v_cmpx_eq_u16_e32 0, v56
	s_cbranch_execz .LBB367_49
; %bb.52:                               ;   in Loop: Header=BB367_50 Depth=1
	s_mov_b32 s25, 0
.LBB367_53:                             ;   Parent Loop BB367_50 Depth=1
                                        ; =>  This Inner Loop Header: Depth=2
	global_load_b64 v[4:5], v[6:7], off glc
	s_waitcnt vmcnt(0)
	v_and_b32_e32 v56, 0xff, v5
	s_delay_alu instid0(VALU_DEP_1) | instskip(SKIP_1) | instid1(SALU_CYCLE_1)
	v_cmp_ne_u16_e32 vcc_lo, 0, v56
	s_or_b32 s25, vcc_lo, s25
	s_and_not1_b32 exec_lo, exec_lo, s25
	s_cbranch_execnz .LBB367_53
; %bb.54:                               ;   in Loop: Header=BB367_50 Depth=1
	s_or_b32 exec_lo, exec_lo, s25
	s_branch .LBB367_49
.LBB367_55:                             ;   in Loop: Header=BB367_50 Depth=1
                                        ; implicit-def: $vgpr4
                                        ; implicit-def: $vgpr5
	s_cbranch_execz .LBB367_50
; %bb.56:
	s_and_saveexec_b32 s24, s6
	s_cbranch_execz .LBB367_58
; %bb.57:
	s_add_i32 s26, s15, 32
	s_mov_b32 s27, 0
	v_dual_mov_b32 v3, 2 :: v_dual_add_nc_u32 v2, v15, v1
	s_lshl_b64 s[26:27], s[26:27], 3
	v_mov_b32_e32 v4, 0
	v_add_nc_u32_e64 v5, 0x3400, 0
	s_add_u32 s26, s20, s26
	s_addc_u32 s27, s21, s27
	global_store_b64 v4, v[2:3], s[26:27]
	ds_store_2addr_b32 v5, v1, v15 offset1:2
.LBB367_58:
	s_or_b32 exec_lo, exec_lo, s24
	v_cmp_eq_u32_e32 vcc_lo, 0, v0
	s_and_b32 exec_lo, exec_lo, vcc_lo
	s_cbranch_execz .LBB367_60
; %bb.59:
	v_mov_b32_e32 v1, 0
	ds_store_b32 v1, v15 offset:28
.LBB367_60:
	s_or_b32 exec_lo, exec_lo, s7
	s_waitcnt lgkmcnt(0)
	v_cndmask_b32_e64 v2, v9, v8, s6
	v_cmp_ne_u32_e32 vcc_lo, 0, v0
	v_mov_b32_e32 v1, 0
	s_waitcnt_vscnt null, 0x0
	s_barrier
	buffer_gl0_inv
	v_cndmask_b32_e32 v2, 0, v2, vcc_lo
	ds_load_b32 v1, v1 offset:28
	v_add_nc_u32_e64 v11, 0x3400, 0
	s_waitcnt lgkmcnt(0)
	s_barrier
	buffer_gl0_inv
	ds_load_2addr_b32 v[16:17], v11 offset1:2
	v_add_nc_u32_e32 v1, v1, v2
	s_delay_alu instid0(VALU_DEP_1) | instskip(NEXT) | instid1(VALU_DEP_1)
	v_add_nc_u32_e32 v2, v1, v41
	v_add_nc_u32_e32 v3, v2, v42
	s_delay_alu instid0(VALU_DEP_1) | instskip(NEXT) | instid1(VALU_DEP_1)
	v_add_nc_u32_e32 v4, v3, v43
	v_add_nc_u32_e32 v5, v4, v40
	s_delay_alu instid0(VALU_DEP_1) | instskip(NEXT) | instid1(VALU_DEP_1)
	v_add_nc_u32_e32 v6, v5, v44
	v_add_nc_u32_e32 v7, v6, v45
	s_delay_alu instid0(VALU_DEP_1) | instskip(NEXT) | instid1(VALU_DEP_1)
	v_add_nc_u32_e32 v8, v7, v46
	v_add_nc_u32_e32 v9, v8, v38
	s_delay_alu instid0(VALU_DEP_1) | instskip(NEXT) | instid1(VALU_DEP_1)
	v_add_nc_u32_e32 v10, v9, v47
	v_add_nc_u32_e32 v11, v10, v48
	s_delay_alu instid0(VALU_DEP_1) | instskip(NEXT) | instid1(VALU_DEP_1)
	v_add_nc_u32_e32 v12, v11, v49
	v_add_nc_u32_e32 v13, v12, v36
	s_branch .LBB367_71
.LBB367_61:
                                        ; implicit-def: $vgpr17
                                        ; implicit-def: $vgpr1_vgpr2_vgpr3_vgpr4_vgpr5_vgpr6_vgpr7_vgpr8_vgpr9_vgpr10_vgpr11_vgpr12_vgpr13_vgpr14_vgpr15_vgpr16
	s_and_b32 vcc_lo, exec_lo, s6
	s_cbranch_vccz .LBB367_71
; %bb.62:
	s_delay_alu instid0(VALU_DEP_1) | instskip(NEXT) | instid1(VALU_DEP_1)
	v_mov_b32_dpp v1, v52 row_shr:1 row_mask:0xf bank_mask:0xf
	v_cndmask_b32_e64 v1, v1, 0, s5
	s_delay_alu instid0(VALU_DEP_1) | instskip(NEXT) | instid1(VALU_DEP_1)
	v_add_nc_u32_e32 v1, v1, v52
	v_mov_b32_dpp v2, v1 row_shr:2 row_mask:0xf bank_mask:0xf
	s_delay_alu instid0(VALU_DEP_1) | instskip(NEXT) | instid1(VALU_DEP_1)
	v_cndmask_b32_e64 v2, 0, v2, s4
	v_add_nc_u32_e32 v1, v1, v2
	s_delay_alu instid0(VALU_DEP_1) | instskip(NEXT) | instid1(VALU_DEP_1)
	v_mov_b32_dpp v2, v1 row_shr:4 row_mask:0xf bank_mask:0xf
	v_cndmask_b32_e64 v2, 0, v2, s3
	s_delay_alu instid0(VALU_DEP_1) | instskip(NEXT) | instid1(VALU_DEP_1)
	v_add_nc_u32_e32 v1, v1, v2
	v_mov_b32_dpp v2, v1 row_shr:8 row_mask:0xf bank_mask:0xf
	s_delay_alu instid0(VALU_DEP_1) | instskip(NEXT) | instid1(VALU_DEP_1)
	v_cndmask_b32_e64 v2, 0, v2, s2
	v_add_nc_u32_e32 v1, v1, v2
	ds_swizzle_b32 v2, v1 offset:swizzle(BROADCAST,32,15)
	s_waitcnt lgkmcnt(0)
	v_cndmask_b32_e64 v2, v2, 0, s1
	s_delay_alu instid0(VALU_DEP_1)
	v_add_nc_u32_e32 v1, v1, v2
	s_and_saveexec_b32 s1, s0
	s_cbranch_execz .LBB367_64
; %bb.63:
	v_lshlrev_b32_e32 v2, 2, v51
	ds_store_b32 v2, v1
.LBB367_64:
	s_or_b32 exec_lo, exec_lo, s1
	s_delay_alu instid0(SALU_CYCLE_1)
	s_mov_b32 s0, exec_lo
	s_waitcnt lgkmcnt(0)
	s_barrier
	buffer_gl0_inv
	v_cmpx_gt_u32_e32 8, v0
	s_cbranch_execz .LBB367_66
; %bb.65:
	ds_load_b32 v2, v30
	s_waitcnt lgkmcnt(0)
	v_mov_b32_dpp v4, v2 row_shr:1 row_mask:0xf bank_mask:0xf
	v_and_b32_e32 v3, 7, v50
	s_delay_alu instid0(VALU_DEP_1) | instskip(NEXT) | instid1(VALU_DEP_3)
	v_cmp_ne_u32_e32 vcc_lo, 0, v3
	v_cndmask_b32_e32 v4, 0, v4, vcc_lo
	v_cmp_lt_u32_e32 vcc_lo, 1, v3
	s_delay_alu instid0(VALU_DEP_2) | instskip(NEXT) | instid1(VALU_DEP_1)
	v_add_nc_u32_e32 v2, v4, v2
	v_mov_b32_dpp v4, v2 row_shr:2 row_mask:0xf bank_mask:0xf
	s_delay_alu instid0(VALU_DEP_1) | instskip(SKIP_1) | instid1(VALU_DEP_2)
	v_cndmask_b32_e32 v4, 0, v4, vcc_lo
	v_cmp_lt_u32_e32 vcc_lo, 3, v3
	v_add_nc_u32_e32 v2, v2, v4
	s_delay_alu instid0(VALU_DEP_1) | instskip(NEXT) | instid1(VALU_DEP_1)
	v_mov_b32_dpp v4, v2 row_shr:4 row_mask:0xf bank_mask:0xf
	v_cndmask_b32_e32 v3, 0, v4, vcc_lo
	s_delay_alu instid0(VALU_DEP_1)
	v_add_nc_u32_e32 v2, v2, v3
	ds_store_b32 v30, v2
.LBB367_66:
	s_or_b32 exec_lo, exec_lo, s0
	v_dual_mov_b32 v3, 0 :: v_dual_mov_b32 v2, 0
	s_mov_b32 s0, exec_lo
	s_waitcnt lgkmcnt(0)
	s_barrier
	buffer_gl0_inv
	v_cmpx_lt_u32_e32 31, v0
	s_cbranch_execz .LBB367_68
; %bb.67:
	v_lshl_add_u32 v2, v51, 2, -4
	ds_load_b32 v2, v2
.LBB367_68:
	s_or_b32 exec_lo, exec_lo, s0
	v_add_nc_u32_e32 v4, -1, v50
	ds_load_b32 v16, v3 offset:28
	s_waitcnt lgkmcnt(1)
	v_add_nc_u32_e32 v1, v2, v1
	v_cmp_gt_i32_e32 vcc_lo, 0, v4
	v_cndmask_b32_e32 v4, v4, v50, vcc_lo
	v_cmp_eq_u32_e32 vcc_lo, 0, v0
	s_delay_alu instid0(VALU_DEP_2)
	v_lshlrev_b32_e32 v4, 2, v4
	ds_bpermute_b32 v1, v4, v1
	s_and_saveexec_b32 s0, vcc_lo
	s_cbranch_execz .LBB367_70
; %bb.69:
	v_mov_b32_e32 v3, 0
	v_mov_b32_e32 v17, 2
	s_waitcnt lgkmcnt(1)
	global_store_b64 v3, v[16:17], s[20:21] offset:256
.LBB367_70:
	s_or_b32 exec_lo, exec_lo, s0
	v_cmp_eq_u32_e64 s0, 0, v50
	s_waitcnt lgkmcnt(0)
	s_waitcnt_vscnt null, 0x0
	s_barrier
	buffer_gl0_inv
	v_mov_b32_e32 v17, 0
	v_cndmask_b32_e64 v1, v1, v2, s0
	s_delay_alu instid0(VALU_DEP_1) | instskip(NEXT) | instid1(VALU_DEP_1)
	v_cndmask_b32_e64 v1, v1, 0, vcc_lo
	v_add_nc_u32_e32 v2, v1, v41
	s_delay_alu instid0(VALU_DEP_1) | instskip(NEXT) | instid1(VALU_DEP_1)
	v_add_nc_u32_e32 v3, v2, v42
	v_add_nc_u32_e32 v4, v3, v43
	s_delay_alu instid0(VALU_DEP_1) | instskip(NEXT) | instid1(VALU_DEP_1)
	v_add_nc_u32_e32 v5, v4, v40
	;; [unrolled: 3-line block ×5, first 2 shown]
	v_add_nc_u32_e32 v12, v11, v49
	s_delay_alu instid0(VALU_DEP_1)
	v_add_nc_u32_e32 v13, v12, v36
.LBB367_71:
	v_lshrrev_b32_e32 v44, 8, v39
	v_lshrrev_b32_e32 v43, 16, v39
	s_waitcnt lgkmcnt(0)
	v_sub_nc_u32_e32 v1, v1, v17
	v_and_b32_e32 v39, 1, v39
	v_sub_nc_u32_e32 v3, v3, v17
	v_add_nc_u32_e32 v33, v16, v33
	v_sub_nc_u32_e32 v2, v2, v17
	v_sub_nc_u32_e32 v4, v4, v17
	v_cmp_eq_u32_e32 vcc_lo, 1, v39
	v_and_b32_e32 v39, 1, v43
	v_sub_nc_u32_e32 v45, v33, v1
	v_and_b32_e32 v44, 1, v44
	v_sub_nc_u32_e32 v43, v33, v2
	v_lshrrev_b32_e32 v42, 8, v37
	v_lshrrev_b32_e32 v41, 16, v37
	v_cndmask_b32_e32 v1, v45, v1, vcc_lo
	v_sub_nc_u32_e32 v45, v33, v3
	v_add_nc_u32_e32 v43, 1, v43
	v_cmp_eq_u32_e32 vcc_lo, 1, v44
	v_and_b32_e32 v40, 1, v40
	v_lshlrev_b32_e32 v1, 2, v1
	v_add_nc_u32_e32 v45, 2, v45
	v_lshrrev_b32_e32 v15, 8, v35
	v_lshrrev_b32_e32 v14, 16, v35
	ds_store_b32 v1, v28
	v_cndmask_b32_e32 v1, v43, v2, vcc_lo
	v_cmp_eq_u32_e32 vcc_lo, 1, v39
	v_or_b32_e32 v28, 0x500, v0
	s_delay_alu instid0(VALU_DEP_3)
	v_dual_cndmask_b32 v2, v45, v3 :: v_dual_lshlrev_b32 v1, 2, v1
	v_sub_nc_u32_e32 v46, v33, v4
	v_cmp_eq_u32_e32 vcc_lo, 1, v40
	ds_store_b32 v1, v29
	v_lshlrev_b32_e32 v2, 2, v2
	v_add_nc_u32_e32 v46, 3, v46
	v_or_b32_e32 v29, 0x400, v0
	s_delay_alu instid0(VALU_DEP_2) | instskip(SKIP_2) | instid1(VALU_DEP_3)
	v_cndmask_b32_e32 v3, v46, v4, vcc_lo
	v_sub_nc_u32_e32 v4, v5, v17
	v_sub_nc_u32_e32 v5, v6, v17
	v_lshlrev_b32_e32 v3, 2, v3
	s_delay_alu instid0(VALU_DEP_3) | instskip(NEXT) | instid1(VALU_DEP_3)
	v_sub_nc_u32_e32 v1, v33, v4
	v_sub_nc_u32_e32 v6, v33, v5
	ds_store_b32 v2, v26
	ds_store_b32 v3, v27
	v_and_b32_e32 v2, 1, v37
	v_add_nc_u32_e32 v1, 4, v1
	v_add_nc_u32_e32 v3, 5, v6
	v_sub_nc_u32_e32 v6, v7, v17
	v_and_b32_e32 v7, 1, v42
	v_cmp_eq_u32_e32 vcc_lo, 1, v2
	v_sub_nc_u32_e32 v2, v8, v17
	v_and_b32_e32 v8, 1, v38
	v_or_b32_e32 v27, 0x600, v0
	v_or_b32_e32 v26, 0x700, v0
	v_cndmask_b32_e32 v1, v1, v4, vcc_lo
	v_sub_nc_u32_e32 v4, v33, v6
	v_cmp_eq_u32_e32 vcc_lo, 1, v7
	v_and_b32_e32 v7, 1, v41
	s_delay_alu instid0(VALU_DEP_4) | instskip(NEXT) | instid1(VALU_DEP_4)
	v_lshlrev_b32_e32 v1, 2, v1
	v_dual_cndmask_b32 v3, v3, v5 :: v_dual_add_nc_u32 v4, 6, v4
	v_sub_nc_u32_e32 v5, v33, v2
	s_delay_alu instid0(VALU_DEP_4) | instskip(SKIP_1) | instid1(VALU_DEP_4)
	v_cmp_eq_u32_e32 vcc_lo, 1, v7
	v_sub_nc_u32_e32 v7, v13, v17
	v_lshlrev_b32_e32 v3, 2, v3
	s_delay_alu instid0(VALU_DEP_4)
	v_dual_cndmask_b32 v4, v4, v6 :: v_dual_add_nc_u32 v5, 7, v5
	v_cmp_eq_u32_e32 vcc_lo, 1, v8
	v_sub_nc_u32_e32 v6, v9, v17
	ds_store_b32 v1, v24
	ds_store_b32 v3, v25
	v_or_b32_e32 v25, 0x800, v0
	v_dual_cndmask_b32 v2, v5, v2 :: v_dual_lshlrev_b32 v3, 2, v4
	v_and_b32_e32 v5, 1, v35
	v_sub_nc_u32_e32 v1, v33, v6
	v_sub_nc_u32_e32 v4, v10, v17
	v_and_b32_e32 v10, 1, v36
	v_or_b32_e32 v24, 0x900, v0
	v_cmp_eq_u32_e32 vcc_lo, 1, v5
	v_sub_nc_u32_e32 v5, v12, v17
	v_add_nc_u32_e32 v1, 8, v1
	s_delay_alu instid0(VALU_DEP_2) | instskip(NEXT) | instid1(VALU_DEP_2)
	v_sub_nc_u32_e32 v9, v33, v5
	v_dual_cndmask_b32 v1, v1, v6 :: v_dual_and_b32 v6, 1, v15
	v_add_co_u32 v15, s0, s18, v17
	s_delay_alu instid0(VALU_DEP_3)
	v_add_nc_u32_e32 v9, 11, v9
	v_lshlrev_b32_e32 v2, 2, v2
	ds_store_b32 v3, v22
	ds_store_b32 v2, v23
	v_sub_nc_u32_e32 v3, v11, v17
	v_sub_nc_u32_e32 v2, v33, v4
	v_cmp_eq_u32_e32 vcc_lo, 1, v6
	v_and_b32_e32 v11, 1, v34
	v_lshlrev_b32_e32 v1, 2, v1
	v_sub_nc_u32_e32 v8, v33, v3
	v_add_nc_u32_e32 v2, 9, v2
	v_add_co_ci_u32_e64 v17, null, s19, 0, s0
	s_add_u32 s0, s16, s23
	s_delay_alu instid0(VALU_DEP_3)
	v_add_nc_u32_e32 v6, 10, v8
	v_and_b32_e32 v8, 1, v14
	v_cndmask_b32_e32 v2, v2, v4, vcc_lo
	v_sub_nc_u32_e32 v4, v33, v7
	s_addc_u32 s1, s17, 0
	s_sub_u32 s0, s12, s0
	v_cmp_eq_u32_e32 vcc_lo, 1, v8
	v_lshlrev_b32_e32 v2, 2, v2
	v_add_nc_u32_e32 v4, 12, v4
	s_subb_u32 s1, s13, s1
	v_add_co_u32 v13, s0, s0, v16
	v_cndmask_b32_e32 v3, v6, v3, vcc_lo
	v_cmp_eq_u32_e32 vcc_lo, 1, v10
	v_add_co_ci_u32_e64 v14, null, s1, 0, s0
	v_or_b32_e32 v34, 0x100, v0
	s_delay_alu instid0(VALU_DEP_4)
	v_lshlrev_b32_e32 v3, 2, v3
	v_cndmask_b32_e32 v5, v9, v5, vcc_lo
	v_cmp_eq_u32_e32 vcc_lo, 1, v11
	v_or_b32_e32 v33, 0x200, v0
	v_or_b32_e32 v23, 0xa00, v0
	;; [unrolled: 1-line block ×3, first 2 shown]
	v_dual_cndmask_b32 v4, v4, v7 :: v_dual_lshlrev_b32 v5, 2, v5
	v_cmp_ne_u32_e32 vcc_lo, 1, v31
	s_delay_alu instid0(VALU_DEP_2)
	v_lshlrev_b32_e32 v4, 2, v4
	ds_store_b32 v1, v20
	ds_store_b32 v2, v21
	;; [unrolled: 1-line block ×5, first 2 shown]
	s_waitcnt lgkmcnt(0)
	s_barrier
	buffer_gl0_inv
	ds_load_2addr_stride64_b32 v[11:12], v30 offset1:4
	ds_load_2addr_stride64_b32 v[9:10], v30 offset0:8 offset1:12
	ds_load_2addr_stride64_b32 v[7:8], v30 offset0:16 offset1:20
	;; [unrolled: 1-line block ×5, first 2 shown]
	ds_load_b32 v18, v30 offset:12288
	v_add_co_u32 v20, s0, v13, v15
	v_or_b32_e32 v32, 0x300, v0
	v_or_b32_e32 v19, 0xc00, v0
	v_add_co_ci_u32_e64 v21, s0, v14, v17, s0
	s_mov_b32 s0, 0
	s_cbranch_vccnz .LBB367_125
; %bb.72:
	s_mov_b32 s0, exec_lo
                                        ; implicit-def: $vgpr13_vgpr14
	v_cmpx_ge_u32_e64 v0, v16
	s_xor_b32 s0, exec_lo, s0
; %bb.73:
	v_not_b32_e32 v13, v0
	s_delay_alu instid0(VALU_DEP_1) | instskip(SKIP_1) | instid1(VALU_DEP_2)
	v_ashrrev_i32_e32 v14, 31, v13
	v_add_co_u32 v13, vcc_lo, v20, v13
	v_add_co_ci_u32_e32 v14, vcc_lo, v21, v14, vcc_lo
; %bb.74:
	s_and_not1_saveexec_b32 s0, s0
; %bb.75:
	v_add_co_u32 v13, vcc_lo, v15, v0
	v_add_co_ci_u32_e32 v14, vcc_lo, 0, v17, vcc_lo
; %bb.76:
	s_or_b32 exec_lo, exec_lo, s0
	s_delay_alu instid0(VALU_DEP_1) | instskip(SKIP_1) | instid1(VALU_DEP_1)
	v_lshlrev_b64 v[13:14], 2, v[13:14]
	s_mov_b32 s0, exec_lo
	v_add_co_u32 v13, vcc_lo, s10, v13
	s_delay_alu instid0(VALU_DEP_2)
	v_add_co_ci_u32_e32 v14, vcc_lo, s11, v14, vcc_lo
	s_waitcnt lgkmcnt(6)
	global_store_b32 v[13:14], v11, off
                                        ; implicit-def: $vgpr13_vgpr14
	v_cmpx_ge_u32_e64 v34, v16
	s_xor_b32 s0, exec_lo, s0
; %bb.77:
	v_xor_b32_e32 v13, 0xfffffeff, v0
	s_delay_alu instid0(VALU_DEP_1) | instskip(SKIP_1) | instid1(VALU_DEP_2)
	v_ashrrev_i32_e32 v14, 31, v13
	v_add_co_u32 v13, vcc_lo, v20, v13
	v_add_co_ci_u32_e32 v14, vcc_lo, v21, v14, vcc_lo
; %bb.78:
	s_and_not1_saveexec_b32 s0, s0
; %bb.79:
	v_add_co_u32 v13, vcc_lo, v15, v34
	v_add_co_ci_u32_e32 v14, vcc_lo, 0, v17, vcc_lo
; %bb.80:
	s_or_b32 exec_lo, exec_lo, s0
	s_delay_alu instid0(VALU_DEP_1) | instskip(SKIP_1) | instid1(VALU_DEP_1)
	v_lshlrev_b64 v[13:14], 2, v[13:14]
	s_mov_b32 s0, exec_lo
	v_add_co_u32 v13, vcc_lo, s10, v13
	s_delay_alu instid0(VALU_DEP_2)
	v_add_co_ci_u32_e32 v14, vcc_lo, s11, v14, vcc_lo
	global_store_b32 v[13:14], v12, off
                                        ; implicit-def: $vgpr13_vgpr14
	v_cmpx_ge_u32_e64 v33, v16
	s_xor_b32 s0, exec_lo, s0
; %bb.81:
	v_xor_b32_e32 v13, 0xfffffdff, v0
	s_delay_alu instid0(VALU_DEP_1) | instskip(SKIP_1) | instid1(VALU_DEP_2)
	v_ashrrev_i32_e32 v14, 31, v13
	v_add_co_u32 v13, vcc_lo, v20, v13
	v_add_co_ci_u32_e32 v14, vcc_lo, v21, v14, vcc_lo
; %bb.82:
	s_and_not1_saveexec_b32 s0, s0
; %bb.83:
	v_add_co_u32 v13, vcc_lo, v15, v33
	v_add_co_ci_u32_e32 v14, vcc_lo, 0, v17, vcc_lo
; %bb.84:
	s_or_b32 exec_lo, exec_lo, s0
	s_delay_alu instid0(VALU_DEP_1) | instskip(SKIP_1) | instid1(VALU_DEP_1)
	v_lshlrev_b64 v[13:14], 2, v[13:14]
	s_mov_b32 s0, exec_lo
	v_add_co_u32 v13, vcc_lo, s10, v13
	s_delay_alu instid0(VALU_DEP_2)
	v_add_co_ci_u32_e32 v14, vcc_lo, s11, v14, vcc_lo
	s_waitcnt lgkmcnt(5)
	global_store_b32 v[13:14], v9, off
                                        ; implicit-def: $vgpr13_vgpr14
	v_cmpx_ge_u32_e64 v32, v16
	s_xor_b32 s0, exec_lo, s0
; %bb.85:
	v_xor_b32_e32 v13, 0xfffffcff, v0
	s_delay_alu instid0(VALU_DEP_1) | instskip(SKIP_1) | instid1(VALU_DEP_2)
	v_ashrrev_i32_e32 v14, 31, v13
	v_add_co_u32 v13, vcc_lo, v20, v13
	v_add_co_ci_u32_e32 v14, vcc_lo, v21, v14, vcc_lo
; %bb.86:
	s_and_not1_saveexec_b32 s0, s0
; %bb.87:
	v_add_co_u32 v13, vcc_lo, v15, v32
	v_add_co_ci_u32_e32 v14, vcc_lo, 0, v17, vcc_lo
; %bb.88:
	s_or_b32 exec_lo, exec_lo, s0
	s_delay_alu instid0(VALU_DEP_1) | instskip(SKIP_1) | instid1(VALU_DEP_1)
	v_lshlrev_b64 v[13:14], 2, v[13:14]
	s_mov_b32 s0, exec_lo
	v_add_co_u32 v13, vcc_lo, s10, v13
	s_delay_alu instid0(VALU_DEP_2)
	v_add_co_ci_u32_e32 v14, vcc_lo, s11, v14, vcc_lo
	global_store_b32 v[13:14], v10, off
                                        ; implicit-def: $vgpr13_vgpr14
	v_cmpx_ge_u32_e64 v29, v16
	s_xor_b32 s0, exec_lo, s0
; %bb.89:
	v_xor_b32_e32 v13, 0xfffffbff, v0
	;; [unrolled: 47-line block ×6, first 2 shown]
	s_delay_alu instid0(VALU_DEP_1) | instskip(SKIP_1) | instid1(VALU_DEP_2)
	v_ashrrev_i32_e32 v14, 31, v13
	v_add_co_u32 v13, vcc_lo, v20, v13
	v_add_co_ci_u32_e32 v14, vcc_lo, v21, v14, vcc_lo
; %bb.122:
	s_and_not1_saveexec_b32 s0, s0
; %bb.123:
	v_add_co_u32 v13, vcc_lo, v15, v19
	v_add_co_ci_u32_e32 v14, vcc_lo, 0, v17, vcc_lo
; %bb.124:
	s_or_b32 exec_lo, exec_lo, s0
	s_mov_b32 s0, -1
	s_branch .LBB367_205
.LBB367_125:
                                        ; implicit-def: $vgpr13_vgpr14
	s_cbranch_execz .LBB367_205
; %bb.126:
	s_mov_b32 s1, exec_lo
	v_cmpx_gt_u32_e64 s22, v0
	s_cbranch_execz .LBB367_162
; %bb.127:
	s_mov_b32 s2, exec_lo
                                        ; implicit-def: $vgpr13_vgpr14
	v_cmpx_ge_u32_e64 v0, v16
	s_xor_b32 s2, exec_lo, s2
; %bb.128:
	v_not_b32_e32 v13, v0
	s_delay_alu instid0(VALU_DEP_1) | instskip(SKIP_1) | instid1(VALU_DEP_2)
	v_ashrrev_i32_e32 v14, 31, v13
	v_add_co_u32 v13, vcc_lo, v20, v13
	v_add_co_ci_u32_e32 v14, vcc_lo, v21, v14, vcc_lo
; %bb.129:
	s_and_not1_saveexec_b32 s2, s2
; %bb.130:
	v_add_co_u32 v13, vcc_lo, v15, v0
	v_add_co_ci_u32_e32 v14, vcc_lo, 0, v17, vcc_lo
; %bb.131:
	s_or_b32 exec_lo, exec_lo, s2
	s_delay_alu instid0(VALU_DEP_1) | instskip(NEXT) | instid1(VALU_DEP_1)
	v_lshlrev_b64 v[13:14], 2, v[13:14]
	v_add_co_u32 v13, vcc_lo, s10, v13
	s_delay_alu instid0(VALU_DEP_2) | instskip(SKIP_3) | instid1(SALU_CYCLE_1)
	v_add_co_ci_u32_e32 v14, vcc_lo, s11, v14, vcc_lo
	s_waitcnt lgkmcnt(6)
	global_store_b32 v[13:14], v11, off
	s_or_b32 exec_lo, exec_lo, s1
	s_mov_b32 s1, exec_lo
	v_cmpx_gt_u32_e64 s22, v34
	s_cbranch_execnz .LBB367_163
.LBB367_132:
	s_or_b32 exec_lo, exec_lo, s1
	s_delay_alu instid0(SALU_CYCLE_1)
	s_mov_b32 s1, exec_lo
	v_cmpx_gt_u32_e64 s22, v33
	s_cbranch_execz .LBB367_168
.LBB367_133:
	s_mov_b32 s2, exec_lo
                                        ; implicit-def: $vgpr11_vgpr12
	v_cmpx_ge_u32_e64 v33, v16
	s_xor_b32 s2, exec_lo, s2
	s_cbranch_execz .LBB367_135
; %bb.134:
	s_waitcnt lgkmcnt(6)
	v_xor_b32_e32 v11, 0xfffffdff, v0
                                        ; implicit-def: $vgpr33
	s_delay_alu instid0(VALU_DEP_1) | instskip(SKIP_1) | instid1(VALU_DEP_2)
	v_ashrrev_i32_e32 v12, 31, v11
	v_add_co_u32 v11, vcc_lo, v20, v11
	v_add_co_ci_u32_e32 v12, vcc_lo, v21, v12, vcc_lo
.LBB367_135:
	s_and_not1_saveexec_b32 s2, s2
	s_cbranch_execz .LBB367_137
; %bb.136:
	s_waitcnt lgkmcnt(6)
	v_add_co_u32 v11, vcc_lo, v15, v33
	v_add_co_ci_u32_e32 v12, vcc_lo, 0, v17, vcc_lo
.LBB367_137:
	s_or_b32 exec_lo, exec_lo, s2
	s_waitcnt lgkmcnt(6)
	s_delay_alu instid0(VALU_DEP_1) | instskip(NEXT) | instid1(VALU_DEP_1)
	v_lshlrev_b64 v[11:12], 2, v[11:12]
	v_add_co_u32 v11, vcc_lo, s10, v11
	s_delay_alu instid0(VALU_DEP_2) | instskip(SKIP_3) | instid1(SALU_CYCLE_1)
	v_add_co_ci_u32_e32 v12, vcc_lo, s11, v12, vcc_lo
	s_waitcnt lgkmcnt(5)
	global_store_b32 v[11:12], v9, off
	s_or_b32 exec_lo, exec_lo, s1
	s_mov_b32 s1, exec_lo
	v_cmpx_gt_u32_e64 s22, v32
	s_cbranch_execnz .LBB367_169
.LBB367_138:
	s_or_b32 exec_lo, exec_lo, s1
	s_delay_alu instid0(SALU_CYCLE_1)
	s_mov_b32 s1, exec_lo
	v_cmpx_gt_u32_e64 s22, v29
	s_cbranch_execz .LBB367_174
.LBB367_139:
	s_mov_b32 s2, exec_lo
                                        ; implicit-def: $vgpr9_vgpr10
	v_cmpx_ge_u32_e64 v29, v16
	s_xor_b32 s2, exec_lo, s2
	s_cbranch_execz .LBB367_141
; %bb.140:
	s_waitcnt lgkmcnt(5)
	v_xor_b32_e32 v9, 0xfffffbff, v0
                                        ; implicit-def: $vgpr29
	s_delay_alu instid0(VALU_DEP_1) | instskip(SKIP_1) | instid1(VALU_DEP_2)
	v_ashrrev_i32_e32 v10, 31, v9
	v_add_co_u32 v9, vcc_lo, v20, v9
	v_add_co_ci_u32_e32 v10, vcc_lo, v21, v10, vcc_lo
.LBB367_141:
	s_and_not1_saveexec_b32 s2, s2
	s_cbranch_execz .LBB367_143
; %bb.142:
	s_waitcnt lgkmcnt(5)
	v_add_co_u32 v9, vcc_lo, v15, v29
	v_add_co_ci_u32_e32 v10, vcc_lo, 0, v17, vcc_lo
.LBB367_143:
	s_or_b32 exec_lo, exec_lo, s2
	s_waitcnt lgkmcnt(5)
	s_delay_alu instid0(VALU_DEP_1) | instskip(NEXT) | instid1(VALU_DEP_1)
	v_lshlrev_b64 v[9:10], 2, v[9:10]
	v_add_co_u32 v9, vcc_lo, s10, v9
	s_delay_alu instid0(VALU_DEP_2) | instskip(SKIP_3) | instid1(SALU_CYCLE_1)
	v_add_co_ci_u32_e32 v10, vcc_lo, s11, v10, vcc_lo
	s_waitcnt lgkmcnt(4)
	global_store_b32 v[9:10], v7, off
	s_or_b32 exec_lo, exec_lo, s1
	s_mov_b32 s1, exec_lo
	v_cmpx_gt_u32_e64 s22, v28
	s_cbranch_execnz .LBB367_175
.LBB367_144:
	s_or_b32 exec_lo, exec_lo, s1
	s_delay_alu instid0(SALU_CYCLE_1)
	s_mov_b32 s1, exec_lo
	v_cmpx_gt_u32_e64 s22, v27
	s_cbranch_execz .LBB367_180
.LBB367_145:
	s_mov_b32 s2, exec_lo
                                        ; implicit-def: $vgpr7_vgpr8
	v_cmpx_ge_u32_e64 v27, v16
	s_xor_b32 s2, exec_lo, s2
	s_cbranch_execz .LBB367_147
; %bb.146:
	s_waitcnt lgkmcnt(4)
	v_xor_b32_e32 v7, 0xfffff9ff, v0
                                        ; implicit-def: $vgpr27
	s_delay_alu instid0(VALU_DEP_1) | instskip(SKIP_1) | instid1(VALU_DEP_2)
	v_ashrrev_i32_e32 v8, 31, v7
	v_add_co_u32 v7, vcc_lo, v20, v7
	v_add_co_ci_u32_e32 v8, vcc_lo, v21, v8, vcc_lo
.LBB367_147:
	s_and_not1_saveexec_b32 s2, s2
	s_cbranch_execz .LBB367_149
; %bb.148:
	s_waitcnt lgkmcnt(4)
	v_add_co_u32 v7, vcc_lo, v15, v27
	v_add_co_ci_u32_e32 v8, vcc_lo, 0, v17, vcc_lo
.LBB367_149:
	s_or_b32 exec_lo, exec_lo, s2
	s_waitcnt lgkmcnt(4)
	s_delay_alu instid0(VALU_DEP_1) | instskip(NEXT) | instid1(VALU_DEP_1)
	v_lshlrev_b64 v[7:8], 2, v[7:8]
	v_add_co_u32 v7, vcc_lo, s10, v7
	s_delay_alu instid0(VALU_DEP_2) | instskip(SKIP_3) | instid1(SALU_CYCLE_1)
	v_add_co_ci_u32_e32 v8, vcc_lo, s11, v8, vcc_lo
	s_waitcnt lgkmcnt(3)
	global_store_b32 v[7:8], v5, off
	s_or_b32 exec_lo, exec_lo, s1
	s_mov_b32 s1, exec_lo
	v_cmpx_gt_u32_e64 s22, v26
	s_cbranch_execnz .LBB367_181
.LBB367_150:
	s_or_b32 exec_lo, exec_lo, s1
	s_delay_alu instid0(SALU_CYCLE_1)
	s_mov_b32 s1, exec_lo
	v_cmpx_gt_u32_e64 s22, v25
	s_cbranch_execz .LBB367_186
.LBB367_151:
	s_mov_b32 s2, exec_lo
                                        ; implicit-def: $vgpr5_vgpr6
	v_cmpx_ge_u32_e64 v25, v16
	s_xor_b32 s2, exec_lo, s2
	s_cbranch_execz .LBB367_153
; %bb.152:
	s_waitcnt lgkmcnt(3)
	v_xor_b32_e32 v5, 0xfffff7ff, v0
                                        ; implicit-def: $vgpr25
	s_delay_alu instid0(VALU_DEP_1) | instskip(SKIP_1) | instid1(VALU_DEP_2)
	v_ashrrev_i32_e32 v6, 31, v5
	v_add_co_u32 v5, vcc_lo, v20, v5
	v_add_co_ci_u32_e32 v6, vcc_lo, v21, v6, vcc_lo
.LBB367_153:
	s_and_not1_saveexec_b32 s2, s2
	s_cbranch_execz .LBB367_155
; %bb.154:
	s_waitcnt lgkmcnt(3)
	v_add_co_u32 v5, vcc_lo, v15, v25
	v_add_co_ci_u32_e32 v6, vcc_lo, 0, v17, vcc_lo
.LBB367_155:
	s_or_b32 exec_lo, exec_lo, s2
	s_waitcnt lgkmcnt(3)
	s_delay_alu instid0(VALU_DEP_1) | instskip(NEXT) | instid1(VALU_DEP_1)
	v_lshlrev_b64 v[5:6], 2, v[5:6]
	v_add_co_u32 v5, vcc_lo, s10, v5
	s_delay_alu instid0(VALU_DEP_2) | instskip(SKIP_3) | instid1(SALU_CYCLE_1)
	v_add_co_ci_u32_e32 v6, vcc_lo, s11, v6, vcc_lo
	s_waitcnt lgkmcnt(2)
	global_store_b32 v[5:6], v3, off
	s_or_b32 exec_lo, exec_lo, s1
	s_mov_b32 s1, exec_lo
	v_cmpx_gt_u32_e64 s22, v24
	s_cbranch_execnz .LBB367_187
.LBB367_156:
	s_or_b32 exec_lo, exec_lo, s1
	s_delay_alu instid0(SALU_CYCLE_1)
	s_mov_b32 s1, exec_lo
	v_cmpx_gt_u32_e64 s22, v23
	s_cbranch_execz .LBB367_192
.LBB367_157:
	s_mov_b32 s2, exec_lo
                                        ; implicit-def: $vgpr3_vgpr4
	v_cmpx_ge_u32_e64 v23, v16
	s_xor_b32 s2, exec_lo, s2
	s_cbranch_execz .LBB367_159
; %bb.158:
	s_waitcnt lgkmcnt(2)
	v_xor_b32_e32 v3, 0xfffff5ff, v0
                                        ; implicit-def: $vgpr23
	s_delay_alu instid0(VALU_DEP_1) | instskip(SKIP_1) | instid1(VALU_DEP_2)
	v_ashrrev_i32_e32 v4, 31, v3
	v_add_co_u32 v3, vcc_lo, v20, v3
	v_add_co_ci_u32_e32 v4, vcc_lo, v21, v4, vcc_lo
.LBB367_159:
	s_and_not1_saveexec_b32 s2, s2
	s_cbranch_execz .LBB367_161
; %bb.160:
	s_waitcnt lgkmcnt(2)
	v_add_co_u32 v3, vcc_lo, v15, v23
	v_add_co_ci_u32_e32 v4, vcc_lo, 0, v17, vcc_lo
.LBB367_161:
	s_or_b32 exec_lo, exec_lo, s2
	s_waitcnt lgkmcnt(2)
	s_delay_alu instid0(VALU_DEP_1) | instskip(NEXT) | instid1(VALU_DEP_1)
	v_lshlrev_b64 v[3:4], 2, v[3:4]
	v_add_co_u32 v3, vcc_lo, s10, v3
	s_delay_alu instid0(VALU_DEP_2) | instskip(SKIP_3) | instid1(SALU_CYCLE_1)
	v_add_co_ci_u32_e32 v4, vcc_lo, s11, v4, vcc_lo
	s_waitcnt lgkmcnt(1)
	global_store_b32 v[3:4], v1, off
	s_or_b32 exec_lo, exec_lo, s1
	s_mov_b32 s1, exec_lo
	v_cmpx_gt_u32_e64 s22, v22
	s_cbranch_execz .LBB367_198
	s_branch .LBB367_193
.LBB367_162:
	s_or_b32 exec_lo, exec_lo, s1
	s_delay_alu instid0(SALU_CYCLE_1)
	s_mov_b32 s1, exec_lo
	v_cmpx_gt_u32_e64 s22, v34
	s_cbranch_execz .LBB367_132
.LBB367_163:
	s_mov_b32 s2, exec_lo
                                        ; implicit-def: $vgpr13_vgpr14
	v_cmpx_ge_u32_e64 v34, v16
	s_xor_b32 s2, exec_lo, s2
	s_cbranch_execz .LBB367_165
; %bb.164:
	s_waitcnt lgkmcnt(6)
	v_xor_b32_e32 v11, 0xfffffeff, v0
                                        ; implicit-def: $vgpr34
	s_delay_alu instid0(VALU_DEP_1) | instskip(SKIP_1) | instid1(VALU_DEP_2)
	v_ashrrev_i32_e32 v14, 31, v11
	v_add_co_u32 v13, vcc_lo, v20, v11
	v_add_co_ci_u32_e32 v14, vcc_lo, v21, v14, vcc_lo
.LBB367_165:
	s_and_not1_saveexec_b32 s2, s2
; %bb.166:
	v_add_co_u32 v13, vcc_lo, v15, v34
	v_add_co_ci_u32_e32 v14, vcc_lo, 0, v17, vcc_lo
; %bb.167:
	s_or_b32 exec_lo, exec_lo, s2
	s_delay_alu instid0(VALU_DEP_1) | instskip(NEXT) | instid1(VALU_DEP_1)
	v_lshlrev_b64 v[13:14], 2, v[13:14]
	v_add_co_u32 v13, vcc_lo, s10, v13
	s_delay_alu instid0(VALU_DEP_2) | instskip(SKIP_3) | instid1(SALU_CYCLE_1)
	v_add_co_ci_u32_e32 v14, vcc_lo, s11, v14, vcc_lo
	s_waitcnt lgkmcnt(6)
	global_store_b32 v[13:14], v12, off
	s_or_b32 exec_lo, exec_lo, s1
	s_mov_b32 s1, exec_lo
	v_cmpx_gt_u32_e64 s22, v33
	s_cbranch_execnz .LBB367_133
.LBB367_168:
	s_or_b32 exec_lo, exec_lo, s1
	s_delay_alu instid0(SALU_CYCLE_1)
	s_mov_b32 s1, exec_lo
	v_cmpx_gt_u32_e64 s22, v32
	s_cbranch_execz .LBB367_138
.LBB367_169:
	s_mov_b32 s2, exec_lo
                                        ; implicit-def: $vgpr11_vgpr12
	v_cmpx_ge_u32_e64 v32, v16
	s_xor_b32 s2, exec_lo, s2
	s_cbranch_execz .LBB367_171
; %bb.170:
	s_waitcnt lgkmcnt(5)
	v_xor_b32_e32 v9, 0xfffffcff, v0
                                        ; implicit-def: $vgpr32
	s_delay_alu instid0(VALU_DEP_1) | instskip(SKIP_1) | instid1(VALU_DEP_2)
	v_ashrrev_i32_e32 v12, 31, v9
	v_add_co_u32 v11, vcc_lo, v20, v9
	v_add_co_ci_u32_e32 v12, vcc_lo, v21, v12, vcc_lo
.LBB367_171:
	s_and_not1_saveexec_b32 s2, s2
	s_cbranch_execz .LBB367_173
; %bb.172:
	s_waitcnt lgkmcnt(6)
	v_add_co_u32 v11, vcc_lo, v15, v32
	v_add_co_ci_u32_e32 v12, vcc_lo, 0, v17, vcc_lo
.LBB367_173:
	s_or_b32 exec_lo, exec_lo, s2
	s_waitcnt lgkmcnt(6)
	s_delay_alu instid0(VALU_DEP_1) | instskip(NEXT) | instid1(VALU_DEP_1)
	v_lshlrev_b64 v[11:12], 2, v[11:12]
	v_add_co_u32 v11, vcc_lo, s10, v11
	s_delay_alu instid0(VALU_DEP_2) | instskip(SKIP_3) | instid1(SALU_CYCLE_1)
	v_add_co_ci_u32_e32 v12, vcc_lo, s11, v12, vcc_lo
	s_waitcnt lgkmcnt(5)
	global_store_b32 v[11:12], v10, off
	s_or_b32 exec_lo, exec_lo, s1
	s_mov_b32 s1, exec_lo
	v_cmpx_gt_u32_e64 s22, v29
	s_cbranch_execnz .LBB367_139
.LBB367_174:
	s_or_b32 exec_lo, exec_lo, s1
	s_delay_alu instid0(SALU_CYCLE_1)
	s_mov_b32 s1, exec_lo
	v_cmpx_gt_u32_e64 s22, v28
	s_cbranch_execz .LBB367_144
.LBB367_175:
	s_mov_b32 s2, exec_lo
                                        ; implicit-def: $vgpr9_vgpr10
	v_cmpx_ge_u32_e64 v28, v16
	s_xor_b32 s2, exec_lo, s2
	s_cbranch_execz .LBB367_177
; %bb.176:
	s_waitcnt lgkmcnt(4)
	v_xor_b32_e32 v7, 0xfffffaff, v0
                                        ; implicit-def: $vgpr28
	s_delay_alu instid0(VALU_DEP_1) | instskip(SKIP_1) | instid1(VALU_DEP_2)
	v_ashrrev_i32_e32 v10, 31, v7
	v_add_co_u32 v9, vcc_lo, v20, v7
	v_add_co_ci_u32_e32 v10, vcc_lo, v21, v10, vcc_lo
.LBB367_177:
	s_and_not1_saveexec_b32 s2, s2
	s_cbranch_execz .LBB367_179
; %bb.178:
	s_waitcnt lgkmcnt(5)
	v_add_co_u32 v9, vcc_lo, v15, v28
	v_add_co_ci_u32_e32 v10, vcc_lo, 0, v17, vcc_lo
.LBB367_179:
	s_or_b32 exec_lo, exec_lo, s2
	s_waitcnt lgkmcnt(5)
	s_delay_alu instid0(VALU_DEP_1) | instskip(NEXT) | instid1(VALU_DEP_1)
	v_lshlrev_b64 v[9:10], 2, v[9:10]
	v_add_co_u32 v9, vcc_lo, s10, v9
	s_delay_alu instid0(VALU_DEP_2) | instskip(SKIP_3) | instid1(SALU_CYCLE_1)
	v_add_co_ci_u32_e32 v10, vcc_lo, s11, v10, vcc_lo
	s_waitcnt lgkmcnt(4)
	global_store_b32 v[9:10], v8, off
	s_or_b32 exec_lo, exec_lo, s1
	s_mov_b32 s1, exec_lo
	v_cmpx_gt_u32_e64 s22, v27
	s_cbranch_execnz .LBB367_145
.LBB367_180:
	s_or_b32 exec_lo, exec_lo, s1
	s_delay_alu instid0(SALU_CYCLE_1)
	s_mov_b32 s1, exec_lo
	v_cmpx_gt_u32_e64 s22, v26
	s_cbranch_execz .LBB367_150
.LBB367_181:
	s_mov_b32 s2, exec_lo
                                        ; implicit-def: $vgpr7_vgpr8
	v_cmpx_ge_u32_e64 v26, v16
	s_xor_b32 s2, exec_lo, s2
	s_cbranch_execz .LBB367_183
; %bb.182:
	s_waitcnt lgkmcnt(3)
	v_xor_b32_e32 v5, 0xfffff8ff, v0
                                        ; implicit-def: $vgpr26
	s_delay_alu instid0(VALU_DEP_1) | instskip(SKIP_1) | instid1(VALU_DEP_2)
	v_ashrrev_i32_e32 v8, 31, v5
	v_add_co_u32 v7, vcc_lo, v20, v5
	v_add_co_ci_u32_e32 v8, vcc_lo, v21, v8, vcc_lo
.LBB367_183:
	s_and_not1_saveexec_b32 s2, s2
	s_cbranch_execz .LBB367_185
; %bb.184:
	s_waitcnt lgkmcnt(4)
	v_add_co_u32 v7, vcc_lo, v15, v26
	v_add_co_ci_u32_e32 v8, vcc_lo, 0, v17, vcc_lo
.LBB367_185:
	s_or_b32 exec_lo, exec_lo, s2
	s_waitcnt lgkmcnt(4)
	s_delay_alu instid0(VALU_DEP_1) | instskip(NEXT) | instid1(VALU_DEP_1)
	v_lshlrev_b64 v[7:8], 2, v[7:8]
	v_add_co_u32 v7, vcc_lo, s10, v7
	s_delay_alu instid0(VALU_DEP_2) | instskip(SKIP_3) | instid1(SALU_CYCLE_1)
	v_add_co_ci_u32_e32 v8, vcc_lo, s11, v8, vcc_lo
	s_waitcnt lgkmcnt(3)
	global_store_b32 v[7:8], v6, off
	s_or_b32 exec_lo, exec_lo, s1
	s_mov_b32 s1, exec_lo
	v_cmpx_gt_u32_e64 s22, v25
	s_cbranch_execnz .LBB367_151
.LBB367_186:
	s_or_b32 exec_lo, exec_lo, s1
	s_delay_alu instid0(SALU_CYCLE_1)
	s_mov_b32 s1, exec_lo
	v_cmpx_gt_u32_e64 s22, v24
	s_cbranch_execz .LBB367_156
.LBB367_187:
	s_mov_b32 s2, exec_lo
                                        ; implicit-def: $vgpr5_vgpr6
	v_cmpx_ge_u32_e64 v24, v16
	s_xor_b32 s2, exec_lo, s2
	s_cbranch_execz .LBB367_189
; %bb.188:
	s_waitcnt lgkmcnt(2)
	v_xor_b32_e32 v3, 0xfffff6ff, v0
                                        ; implicit-def: $vgpr24
	s_delay_alu instid0(VALU_DEP_1) | instskip(SKIP_1) | instid1(VALU_DEP_2)
	v_ashrrev_i32_e32 v6, 31, v3
	v_add_co_u32 v5, vcc_lo, v20, v3
	v_add_co_ci_u32_e32 v6, vcc_lo, v21, v6, vcc_lo
.LBB367_189:
	s_and_not1_saveexec_b32 s2, s2
	s_cbranch_execz .LBB367_191
; %bb.190:
	s_waitcnt lgkmcnt(3)
	v_add_co_u32 v5, vcc_lo, v15, v24
	v_add_co_ci_u32_e32 v6, vcc_lo, 0, v17, vcc_lo
.LBB367_191:
	s_or_b32 exec_lo, exec_lo, s2
	s_waitcnt lgkmcnt(3)
	s_delay_alu instid0(VALU_DEP_1) | instskip(NEXT) | instid1(VALU_DEP_1)
	v_lshlrev_b64 v[5:6], 2, v[5:6]
	v_add_co_u32 v5, vcc_lo, s10, v5
	s_delay_alu instid0(VALU_DEP_2) | instskip(SKIP_3) | instid1(SALU_CYCLE_1)
	v_add_co_ci_u32_e32 v6, vcc_lo, s11, v6, vcc_lo
	s_waitcnt lgkmcnt(2)
	global_store_b32 v[5:6], v4, off
	s_or_b32 exec_lo, exec_lo, s1
	s_mov_b32 s1, exec_lo
	v_cmpx_gt_u32_e64 s22, v23
	s_cbranch_execnz .LBB367_157
.LBB367_192:
	s_or_b32 exec_lo, exec_lo, s1
	s_delay_alu instid0(SALU_CYCLE_1)
	s_mov_b32 s1, exec_lo
	v_cmpx_gt_u32_e64 s22, v22
	s_cbranch_execz .LBB367_198
.LBB367_193:
	s_mov_b32 s2, exec_lo
                                        ; implicit-def: $vgpr3_vgpr4
	v_cmpx_ge_u32_e64 v22, v16
	s_xor_b32 s2, exec_lo, s2
	s_cbranch_execz .LBB367_195
; %bb.194:
	s_waitcnt lgkmcnt(1)
	v_xor_b32_e32 v1, 0xfffff4ff, v0
                                        ; implicit-def: $vgpr22
	s_delay_alu instid0(VALU_DEP_1) | instskip(SKIP_1) | instid1(VALU_DEP_2)
	v_ashrrev_i32_e32 v4, 31, v1
	v_add_co_u32 v3, vcc_lo, v20, v1
	v_add_co_ci_u32_e32 v4, vcc_lo, v21, v4, vcc_lo
.LBB367_195:
	s_and_not1_saveexec_b32 s2, s2
	s_cbranch_execz .LBB367_197
; %bb.196:
	s_waitcnt lgkmcnt(2)
	v_add_co_u32 v3, vcc_lo, v15, v22
	v_add_co_ci_u32_e32 v4, vcc_lo, 0, v17, vcc_lo
.LBB367_197:
	s_or_b32 exec_lo, exec_lo, s2
	s_waitcnt lgkmcnt(2)
	s_delay_alu instid0(VALU_DEP_1) | instskip(NEXT) | instid1(VALU_DEP_1)
	v_lshlrev_b64 v[3:4], 2, v[3:4]
	v_add_co_u32 v3, vcc_lo, s10, v3
	s_delay_alu instid0(VALU_DEP_2)
	v_add_co_ci_u32_e32 v4, vcc_lo, s11, v4, vcc_lo
	s_waitcnt lgkmcnt(1)
	global_store_b32 v[3:4], v2, off
.LBB367_198:
	s_or_b32 exec_lo, exec_lo, s1
	s_delay_alu instid0(SALU_CYCLE_1)
	s_mov_b32 s1, exec_lo
                                        ; implicit-def: $vgpr13_vgpr14
	v_cmpx_gt_u32_e64 s22, v19
	s_cbranch_execz .LBB367_204
; %bb.199:
	s_mov_b32 s2, exec_lo
                                        ; implicit-def: $vgpr13_vgpr14
	v_cmpx_ge_u32_e64 v19, v16
	s_xor_b32 s2, exec_lo, s2
	s_cbranch_execz .LBB367_201
; %bb.200:
	s_waitcnt lgkmcnt(1)
	v_xor_b32_e32 v1, 0xfffff3ff, v0
                                        ; implicit-def: $vgpr19
	s_delay_alu instid0(VALU_DEP_1) | instskip(SKIP_1) | instid1(VALU_DEP_2)
	v_ashrrev_i32_e32 v2, 31, v1
	v_add_co_u32 v13, vcc_lo, v20, v1
	v_add_co_ci_u32_e32 v14, vcc_lo, v21, v2, vcc_lo
.LBB367_201:
	s_and_not1_saveexec_b32 s2, s2
; %bb.202:
	v_add_co_u32 v13, vcc_lo, v15, v19
	v_add_co_ci_u32_e32 v14, vcc_lo, 0, v17, vcc_lo
; %bb.203:
	s_or_b32 exec_lo, exec_lo, s2
	s_delay_alu instid0(SALU_CYCLE_1)
	s_or_b32 s0, s0, exec_lo
.LBB367_204:
	s_or_b32 exec_lo, exec_lo, s1
.LBB367_205:
	s_and_saveexec_b32 s1, s0
	s_cbranch_execz .LBB367_207
; %bb.206:
	s_waitcnt lgkmcnt(1)
	v_lshlrev_b64 v[1:2], 2, v[13:14]
	s_delay_alu instid0(VALU_DEP_1) | instskip(NEXT) | instid1(VALU_DEP_2)
	v_add_co_u32 v1, vcc_lo, s10, v1
	v_add_co_ci_u32_e32 v2, vcc_lo, s11, v2, vcc_lo
	s_waitcnt lgkmcnt(0)
	global_store_b32 v[1:2], v18, off
.LBB367_207:
	s_or_b32 exec_lo, exec_lo, s1
	v_cmp_eq_u32_e32 vcc_lo, 0, v0
	s_and_b32 s0, vcc_lo, s14
	s_delay_alu instid0(SALU_CYCLE_1)
	s_and_saveexec_b32 s1, s0
	s_cbranch_execz .LBB367_209
; %bb.208:
	v_add_co_u32 v0, vcc_lo, v15, v16
	s_waitcnt lgkmcnt(1)
	v_mov_b32_e32 v2, 0
	v_add_co_ci_u32_e32 v1, vcc_lo, 0, v17, vcc_lo
	global_store_b64 v2, v[0:1], s[8:9]
.LBB367_209:
	s_nop 0
	s_sendmsg sendmsg(MSG_DEALLOC_VGPRS)
	s_endpgm
	.section	.rodata,"a",@progbits
	.p2align	6, 0x0
	.amdhsa_kernel _ZN7rocprim17ROCPRIM_400000_NS6detail17trampoline_kernelINS0_13select_configILj256ELj13ELNS0_17block_load_methodE3ELS4_3ELS4_3ELNS0_20block_scan_algorithmE0ELj4294967295EEENS1_25partition_config_selectorILNS1_17partition_subalgoE3EjNS0_10empty_typeEbEEZZNS1_14partition_implILS8_3ELb0ES6_jNS0_17counting_iteratorIjlEEPS9_SE_NS0_5tupleIJPjSE_EEENSF_IJSE_SE_EEES9_SG_JZNS1_25segmented_radix_sort_implINS0_14default_configELb0EPKaPaPKlPlN2at6native12_GLOBAL__N_18offset_tEEE10hipError_tPvRmT1_PNSt15iterator_traitsISY_E10value_typeET2_T3_PNSZ_IS14_E10value_typeET4_jRbjT5_S1A_jjP12ihipStream_tbEUljE_EEESV_SW_SX_S14_S18_S1A_T6_T7_T9_mT8_S1C_bDpT10_ENKUlT_T0_E_clISt17integral_constantIbLb0EES1P_EEDaS1K_S1L_EUlS1K_E_NS1_11comp_targetILNS1_3genE9ELNS1_11target_archE1100ELNS1_3gpuE3ELNS1_3repE0EEENS1_30default_config_static_selectorELNS0_4arch9wavefront6targetE0EEEvSY_
		.amdhsa_group_segment_fixed_size 13324
		.amdhsa_private_segment_fixed_size 0
		.amdhsa_kernarg_size 144
		.amdhsa_user_sgpr_count 15
		.amdhsa_user_sgpr_dispatch_ptr 0
		.amdhsa_user_sgpr_queue_ptr 0
		.amdhsa_user_sgpr_kernarg_segment_ptr 1
		.amdhsa_user_sgpr_dispatch_id 0
		.amdhsa_user_sgpr_private_segment_size 0
		.amdhsa_wavefront_size32 1
		.amdhsa_uses_dynamic_stack 0
		.amdhsa_enable_private_segment 0
		.amdhsa_system_sgpr_workgroup_id_x 1
		.amdhsa_system_sgpr_workgroup_id_y 0
		.amdhsa_system_sgpr_workgroup_id_z 0
		.amdhsa_system_sgpr_workgroup_info 0
		.amdhsa_system_vgpr_workitem_id 0
		.amdhsa_next_free_vgpr 57
		.amdhsa_next_free_sgpr 28
		.amdhsa_reserve_vcc 1
		.amdhsa_float_round_mode_32 0
		.amdhsa_float_round_mode_16_64 0
		.amdhsa_float_denorm_mode_32 3
		.amdhsa_float_denorm_mode_16_64 3
		.amdhsa_dx10_clamp 1
		.amdhsa_ieee_mode 1
		.amdhsa_fp16_overflow 0
		.amdhsa_workgroup_processor_mode 1
		.amdhsa_memory_ordered 1
		.amdhsa_forward_progress 0
		.amdhsa_shared_vgpr_count 0
		.amdhsa_exception_fp_ieee_invalid_op 0
		.amdhsa_exception_fp_denorm_src 0
		.amdhsa_exception_fp_ieee_div_zero 0
		.amdhsa_exception_fp_ieee_overflow 0
		.amdhsa_exception_fp_ieee_underflow 0
		.amdhsa_exception_fp_ieee_inexact 0
		.amdhsa_exception_int_div_zero 0
	.end_amdhsa_kernel
	.section	.text._ZN7rocprim17ROCPRIM_400000_NS6detail17trampoline_kernelINS0_13select_configILj256ELj13ELNS0_17block_load_methodE3ELS4_3ELS4_3ELNS0_20block_scan_algorithmE0ELj4294967295EEENS1_25partition_config_selectorILNS1_17partition_subalgoE3EjNS0_10empty_typeEbEEZZNS1_14partition_implILS8_3ELb0ES6_jNS0_17counting_iteratorIjlEEPS9_SE_NS0_5tupleIJPjSE_EEENSF_IJSE_SE_EEES9_SG_JZNS1_25segmented_radix_sort_implINS0_14default_configELb0EPKaPaPKlPlN2at6native12_GLOBAL__N_18offset_tEEE10hipError_tPvRmT1_PNSt15iterator_traitsISY_E10value_typeET2_T3_PNSZ_IS14_E10value_typeET4_jRbjT5_S1A_jjP12ihipStream_tbEUljE_EEESV_SW_SX_S14_S18_S1A_T6_T7_T9_mT8_S1C_bDpT10_ENKUlT_T0_E_clISt17integral_constantIbLb0EES1P_EEDaS1K_S1L_EUlS1K_E_NS1_11comp_targetILNS1_3genE9ELNS1_11target_archE1100ELNS1_3gpuE3ELNS1_3repE0EEENS1_30default_config_static_selectorELNS0_4arch9wavefront6targetE0EEEvSY_,"axG",@progbits,_ZN7rocprim17ROCPRIM_400000_NS6detail17trampoline_kernelINS0_13select_configILj256ELj13ELNS0_17block_load_methodE3ELS4_3ELS4_3ELNS0_20block_scan_algorithmE0ELj4294967295EEENS1_25partition_config_selectorILNS1_17partition_subalgoE3EjNS0_10empty_typeEbEEZZNS1_14partition_implILS8_3ELb0ES6_jNS0_17counting_iteratorIjlEEPS9_SE_NS0_5tupleIJPjSE_EEENSF_IJSE_SE_EEES9_SG_JZNS1_25segmented_radix_sort_implINS0_14default_configELb0EPKaPaPKlPlN2at6native12_GLOBAL__N_18offset_tEEE10hipError_tPvRmT1_PNSt15iterator_traitsISY_E10value_typeET2_T3_PNSZ_IS14_E10value_typeET4_jRbjT5_S1A_jjP12ihipStream_tbEUljE_EEESV_SW_SX_S14_S18_S1A_T6_T7_T9_mT8_S1C_bDpT10_ENKUlT_T0_E_clISt17integral_constantIbLb0EES1P_EEDaS1K_S1L_EUlS1K_E_NS1_11comp_targetILNS1_3genE9ELNS1_11target_archE1100ELNS1_3gpuE3ELNS1_3repE0EEENS1_30default_config_static_selectorELNS0_4arch9wavefront6targetE0EEEvSY_,comdat
.Lfunc_end367:
	.size	_ZN7rocprim17ROCPRIM_400000_NS6detail17trampoline_kernelINS0_13select_configILj256ELj13ELNS0_17block_load_methodE3ELS4_3ELS4_3ELNS0_20block_scan_algorithmE0ELj4294967295EEENS1_25partition_config_selectorILNS1_17partition_subalgoE3EjNS0_10empty_typeEbEEZZNS1_14partition_implILS8_3ELb0ES6_jNS0_17counting_iteratorIjlEEPS9_SE_NS0_5tupleIJPjSE_EEENSF_IJSE_SE_EEES9_SG_JZNS1_25segmented_radix_sort_implINS0_14default_configELb0EPKaPaPKlPlN2at6native12_GLOBAL__N_18offset_tEEE10hipError_tPvRmT1_PNSt15iterator_traitsISY_E10value_typeET2_T3_PNSZ_IS14_E10value_typeET4_jRbjT5_S1A_jjP12ihipStream_tbEUljE_EEESV_SW_SX_S14_S18_S1A_T6_T7_T9_mT8_S1C_bDpT10_ENKUlT_T0_E_clISt17integral_constantIbLb0EES1P_EEDaS1K_S1L_EUlS1K_E_NS1_11comp_targetILNS1_3genE9ELNS1_11target_archE1100ELNS1_3gpuE3ELNS1_3repE0EEENS1_30default_config_static_selectorELNS0_4arch9wavefront6targetE0EEEvSY_, .Lfunc_end367-_ZN7rocprim17ROCPRIM_400000_NS6detail17trampoline_kernelINS0_13select_configILj256ELj13ELNS0_17block_load_methodE3ELS4_3ELS4_3ELNS0_20block_scan_algorithmE0ELj4294967295EEENS1_25partition_config_selectorILNS1_17partition_subalgoE3EjNS0_10empty_typeEbEEZZNS1_14partition_implILS8_3ELb0ES6_jNS0_17counting_iteratorIjlEEPS9_SE_NS0_5tupleIJPjSE_EEENSF_IJSE_SE_EEES9_SG_JZNS1_25segmented_radix_sort_implINS0_14default_configELb0EPKaPaPKlPlN2at6native12_GLOBAL__N_18offset_tEEE10hipError_tPvRmT1_PNSt15iterator_traitsISY_E10value_typeET2_T3_PNSZ_IS14_E10value_typeET4_jRbjT5_S1A_jjP12ihipStream_tbEUljE_EEESV_SW_SX_S14_S18_S1A_T6_T7_T9_mT8_S1C_bDpT10_ENKUlT_T0_E_clISt17integral_constantIbLb0EES1P_EEDaS1K_S1L_EUlS1K_E_NS1_11comp_targetILNS1_3genE9ELNS1_11target_archE1100ELNS1_3gpuE3ELNS1_3repE0EEENS1_30default_config_static_selectorELNS0_4arch9wavefront6targetE0EEEvSY_
                                        ; -- End function
	.section	.AMDGPU.csdata,"",@progbits
; Kernel info:
; codeLenInByte = 8864
; NumSgprs: 30
; NumVgprs: 57
; ScratchSize: 0
; MemoryBound: 0
; FloatMode: 240
; IeeeMode: 1
; LDSByteSize: 13324 bytes/workgroup (compile time only)
; SGPRBlocks: 3
; VGPRBlocks: 7
; NumSGPRsForWavesPerEU: 30
; NumVGPRsForWavesPerEU: 57
; Occupancy: 16
; WaveLimiterHint : 0
; COMPUTE_PGM_RSRC2:SCRATCH_EN: 0
; COMPUTE_PGM_RSRC2:USER_SGPR: 15
; COMPUTE_PGM_RSRC2:TRAP_HANDLER: 0
; COMPUTE_PGM_RSRC2:TGID_X_EN: 1
; COMPUTE_PGM_RSRC2:TGID_Y_EN: 0
; COMPUTE_PGM_RSRC2:TGID_Z_EN: 0
; COMPUTE_PGM_RSRC2:TIDIG_COMP_CNT: 0
	.section	.text._ZN7rocprim17ROCPRIM_400000_NS6detail17trampoline_kernelINS0_13select_configILj256ELj13ELNS0_17block_load_methodE3ELS4_3ELS4_3ELNS0_20block_scan_algorithmE0ELj4294967295EEENS1_25partition_config_selectorILNS1_17partition_subalgoE3EjNS0_10empty_typeEbEEZZNS1_14partition_implILS8_3ELb0ES6_jNS0_17counting_iteratorIjlEEPS9_SE_NS0_5tupleIJPjSE_EEENSF_IJSE_SE_EEES9_SG_JZNS1_25segmented_radix_sort_implINS0_14default_configELb0EPKaPaPKlPlN2at6native12_GLOBAL__N_18offset_tEEE10hipError_tPvRmT1_PNSt15iterator_traitsISY_E10value_typeET2_T3_PNSZ_IS14_E10value_typeET4_jRbjT5_S1A_jjP12ihipStream_tbEUljE_EEESV_SW_SX_S14_S18_S1A_T6_T7_T9_mT8_S1C_bDpT10_ENKUlT_T0_E_clISt17integral_constantIbLb0EES1P_EEDaS1K_S1L_EUlS1K_E_NS1_11comp_targetILNS1_3genE8ELNS1_11target_archE1030ELNS1_3gpuE2ELNS1_3repE0EEENS1_30default_config_static_selectorELNS0_4arch9wavefront6targetE0EEEvSY_,"axG",@progbits,_ZN7rocprim17ROCPRIM_400000_NS6detail17trampoline_kernelINS0_13select_configILj256ELj13ELNS0_17block_load_methodE3ELS4_3ELS4_3ELNS0_20block_scan_algorithmE0ELj4294967295EEENS1_25partition_config_selectorILNS1_17partition_subalgoE3EjNS0_10empty_typeEbEEZZNS1_14partition_implILS8_3ELb0ES6_jNS0_17counting_iteratorIjlEEPS9_SE_NS0_5tupleIJPjSE_EEENSF_IJSE_SE_EEES9_SG_JZNS1_25segmented_radix_sort_implINS0_14default_configELb0EPKaPaPKlPlN2at6native12_GLOBAL__N_18offset_tEEE10hipError_tPvRmT1_PNSt15iterator_traitsISY_E10value_typeET2_T3_PNSZ_IS14_E10value_typeET4_jRbjT5_S1A_jjP12ihipStream_tbEUljE_EEESV_SW_SX_S14_S18_S1A_T6_T7_T9_mT8_S1C_bDpT10_ENKUlT_T0_E_clISt17integral_constantIbLb0EES1P_EEDaS1K_S1L_EUlS1K_E_NS1_11comp_targetILNS1_3genE8ELNS1_11target_archE1030ELNS1_3gpuE2ELNS1_3repE0EEENS1_30default_config_static_selectorELNS0_4arch9wavefront6targetE0EEEvSY_,comdat
	.globl	_ZN7rocprim17ROCPRIM_400000_NS6detail17trampoline_kernelINS0_13select_configILj256ELj13ELNS0_17block_load_methodE3ELS4_3ELS4_3ELNS0_20block_scan_algorithmE0ELj4294967295EEENS1_25partition_config_selectorILNS1_17partition_subalgoE3EjNS0_10empty_typeEbEEZZNS1_14partition_implILS8_3ELb0ES6_jNS0_17counting_iteratorIjlEEPS9_SE_NS0_5tupleIJPjSE_EEENSF_IJSE_SE_EEES9_SG_JZNS1_25segmented_radix_sort_implINS0_14default_configELb0EPKaPaPKlPlN2at6native12_GLOBAL__N_18offset_tEEE10hipError_tPvRmT1_PNSt15iterator_traitsISY_E10value_typeET2_T3_PNSZ_IS14_E10value_typeET4_jRbjT5_S1A_jjP12ihipStream_tbEUljE_EEESV_SW_SX_S14_S18_S1A_T6_T7_T9_mT8_S1C_bDpT10_ENKUlT_T0_E_clISt17integral_constantIbLb0EES1P_EEDaS1K_S1L_EUlS1K_E_NS1_11comp_targetILNS1_3genE8ELNS1_11target_archE1030ELNS1_3gpuE2ELNS1_3repE0EEENS1_30default_config_static_selectorELNS0_4arch9wavefront6targetE0EEEvSY_ ; -- Begin function _ZN7rocprim17ROCPRIM_400000_NS6detail17trampoline_kernelINS0_13select_configILj256ELj13ELNS0_17block_load_methodE3ELS4_3ELS4_3ELNS0_20block_scan_algorithmE0ELj4294967295EEENS1_25partition_config_selectorILNS1_17partition_subalgoE3EjNS0_10empty_typeEbEEZZNS1_14partition_implILS8_3ELb0ES6_jNS0_17counting_iteratorIjlEEPS9_SE_NS0_5tupleIJPjSE_EEENSF_IJSE_SE_EEES9_SG_JZNS1_25segmented_radix_sort_implINS0_14default_configELb0EPKaPaPKlPlN2at6native12_GLOBAL__N_18offset_tEEE10hipError_tPvRmT1_PNSt15iterator_traitsISY_E10value_typeET2_T3_PNSZ_IS14_E10value_typeET4_jRbjT5_S1A_jjP12ihipStream_tbEUljE_EEESV_SW_SX_S14_S18_S1A_T6_T7_T9_mT8_S1C_bDpT10_ENKUlT_T0_E_clISt17integral_constantIbLb0EES1P_EEDaS1K_S1L_EUlS1K_E_NS1_11comp_targetILNS1_3genE8ELNS1_11target_archE1030ELNS1_3gpuE2ELNS1_3repE0EEENS1_30default_config_static_selectorELNS0_4arch9wavefront6targetE0EEEvSY_
	.p2align	8
	.type	_ZN7rocprim17ROCPRIM_400000_NS6detail17trampoline_kernelINS0_13select_configILj256ELj13ELNS0_17block_load_methodE3ELS4_3ELS4_3ELNS0_20block_scan_algorithmE0ELj4294967295EEENS1_25partition_config_selectorILNS1_17partition_subalgoE3EjNS0_10empty_typeEbEEZZNS1_14partition_implILS8_3ELb0ES6_jNS0_17counting_iteratorIjlEEPS9_SE_NS0_5tupleIJPjSE_EEENSF_IJSE_SE_EEES9_SG_JZNS1_25segmented_radix_sort_implINS0_14default_configELb0EPKaPaPKlPlN2at6native12_GLOBAL__N_18offset_tEEE10hipError_tPvRmT1_PNSt15iterator_traitsISY_E10value_typeET2_T3_PNSZ_IS14_E10value_typeET4_jRbjT5_S1A_jjP12ihipStream_tbEUljE_EEESV_SW_SX_S14_S18_S1A_T6_T7_T9_mT8_S1C_bDpT10_ENKUlT_T0_E_clISt17integral_constantIbLb0EES1P_EEDaS1K_S1L_EUlS1K_E_NS1_11comp_targetILNS1_3genE8ELNS1_11target_archE1030ELNS1_3gpuE2ELNS1_3repE0EEENS1_30default_config_static_selectorELNS0_4arch9wavefront6targetE0EEEvSY_,@function
_ZN7rocprim17ROCPRIM_400000_NS6detail17trampoline_kernelINS0_13select_configILj256ELj13ELNS0_17block_load_methodE3ELS4_3ELS4_3ELNS0_20block_scan_algorithmE0ELj4294967295EEENS1_25partition_config_selectorILNS1_17partition_subalgoE3EjNS0_10empty_typeEbEEZZNS1_14partition_implILS8_3ELb0ES6_jNS0_17counting_iteratorIjlEEPS9_SE_NS0_5tupleIJPjSE_EEENSF_IJSE_SE_EEES9_SG_JZNS1_25segmented_radix_sort_implINS0_14default_configELb0EPKaPaPKlPlN2at6native12_GLOBAL__N_18offset_tEEE10hipError_tPvRmT1_PNSt15iterator_traitsISY_E10value_typeET2_T3_PNSZ_IS14_E10value_typeET4_jRbjT5_S1A_jjP12ihipStream_tbEUljE_EEESV_SW_SX_S14_S18_S1A_T6_T7_T9_mT8_S1C_bDpT10_ENKUlT_T0_E_clISt17integral_constantIbLb0EES1P_EEDaS1K_S1L_EUlS1K_E_NS1_11comp_targetILNS1_3genE8ELNS1_11target_archE1030ELNS1_3gpuE2ELNS1_3repE0EEENS1_30default_config_static_selectorELNS0_4arch9wavefront6targetE0EEEvSY_: ; @_ZN7rocprim17ROCPRIM_400000_NS6detail17trampoline_kernelINS0_13select_configILj256ELj13ELNS0_17block_load_methodE3ELS4_3ELS4_3ELNS0_20block_scan_algorithmE0ELj4294967295EEENS1_25partition_config_selectorILNS1_17partition_subalgoE3EjNS0_10empty_typeEbEEZZNS1_14partition_implILS8_3ELb0ES6_jNS0_17counting_iteratorIjlEEPS9_SE_NS0_5tupleIJPjSE_EEENSF_IJSE_SE_EEES9_SG_JZNS1_25segmented_radix_sort_implINS0_14default_configELb0EPKaPaPKlPlN2at6native12_GLOBAL__N_18offset_tEEE10hipError_tPvRmT1_PNSt15iterator_traitsISY_E10value_typeET2_T3_PNSZ_IS14_E10value_typeET4_jRbjT5_S1A_jjP12ihipStream_tbEUljE_EEESV_SW_SX_S14_S18_S1A_T6_T7_T9_mT8_S1C_bDpT10_ENKUlT_T0_E_clISt17integral_constantIbLb0EES1P_EEDaS1K_S1L_EUlS1K_E_NS1_11comp_targetILNS1_3genE8ELNS1_11target_archE1030ELNS1_3gpuE2ELNS1_3repE0EEENS1_30default_config_static_selectorELNS0_4arch9wavefront6targetE0EEEvSY_
; %bb.0:
	.section	.rodata,"a",@progbits
	.p2align	6, 0x0
	.amdhsa_kernel _ZN7rocprim17ROCPRIM_400000_NS6detail17trampoline_kernelINS0_13select_configILj256ELj13ELNS0_17block_load_methodE3ELS4_3ELS4_3ELNS0_20block_scan_algorithmE0ELj4294967295EEENS1_25partition_config_selectorILNS1_17partition_subalgoE3EjNS0_10empty_typeEbEEZZNS1_14partition_implILS8_3ELb0ES6_jNS0_17counting_iteratorIjlEEPS9_SE_NS0_5tupleIJPjSE_EEENSF_IJSE_SE_EEES9_SG_JZNS1_25segmented_radix_sort_implINS0_14default_configELb0EPKaPaPKlPlN2at6native12_GLOBAL__N_18offset_tEEE10hipError_tPvRmT1_PNSt15iterator_traitsISY_E10value_typeET2_T3_PNSZ_IS14_E10value_typeET4_jRbjT5_S1A_jjP12ihipStream_tbEUljE_EEESV_SW_SX_S14_S18_S1A_T6_T7_T9_mT8_S1C_bDpT10_ENKUlT_T0_E_clISt17integral_constantIbLb0EES1P_EEDaS1K_S1L_EUlS1K_E_NS1_11comp_targetILNS1_3genE8ELNS1_11target_archE1030ELNS1_3gpuE2ELNS1_3repE0EEENS1_30default_config_static_selectorELNS0_4arch9wavefront6targetE0EEEvSY_
		.amdhsa_group_segment_fixed_size 0
		.amdhsa_private_segment_fixed_size 0
		.amdhsa_kernarg_size 144
		.amdhsa_user_sgpr_count 15
		.amdhsa_user_sgpr_dispatch_ptr 0
		.amdhsa_user_sgpr_queue_ptr 0
		.amdhsa_user_sgpr_kernarg_segment_ptr 1
		.amdhsa_user_sgpr_dispatch_id 0
		.amdhsa_user_sgpr_private_segment_size 0
		.amdhsa_wavefront_size32 1
		.amdhsa_uses_dynamic_stack 0
		.amdhsa_enable_private_segment 0
		.amdhsa_system_sgpr_workgroup_id_x 1
		.amdhsa_system_sgpr_workgroup_id_y 0
		.amdhsa_system_sgpr_workgroup_id_z 0
		.amdhsa_system_sgpr_workgroup_info 0
		.amdhsa_system_vgpr_workitem_id 0
		.amdhsa_next_free_vgpr 1
		.amdhsa_next_free_sgpr 1
		.amdhsa_reserve_vcc 0
		.amdhsa_float_round_mode_32 0
		.amdhsa_float_round_mode_16_64 0
		.amdhsa_float_denorm_mode_32 3
		.amdhsa_float_denorm_mode_16_64 3
		.amdhsa_dx10_clamp 1
		.amdhsa_ieee_mode 1
		.amdhsa_fp16_overflow 0
		.amdhsa_workgroup_processor_mode 1
		.amdhsa_memory_ordered 1
		.amdhsa_forward_progress 0
		.amdhsa_shared_vgpr_count 0
		.amdhsa_exception_fp_ieee_invalid_op 0
		.amdhsa_exception_fp_denorm_src 0
		.amdhsa_exception_fp_ieee_div_zero 0
		.amdhsa_exception_fp_ieee_overflow 0
		.amdhsa_exception_fp_ieee_underflow 0
		.amdhsa_exception_fp_ieee_inexact 0
		.amdhsa_exception_int_div_zero 0
	.end_amdhsa_kernel
	.section	.text._ZN7rocprim17ROCPRIM_400000_NS6detail17trampoline_kernelINS0_13select_configILj256ELj13ELNS0_17block_load_methodE3ELS4_3ELS4_3ELNS0_20block_scan_algorithmE0ELj4294967295EEENS1_25partition_config_selectorILNS1_17partition_subalgoE3EjNS0_10empty_typeEbEEZZNS1_14partition_implILS8_3ELb0ES6_jNS0_17counting_iteratorIjlEEPS9_SE_NS0_5tupleIJPjSE_EEENSF_IJSE_SE_EEES9_SG_JZNS1_25segmented_radix_sort_implINS0_14default_configELb0EPKaPaPKlPlN2at6native12_GLOBAL__N_18offset_tEEE10hipError_tPvRmT1_PNSt15iterator_traitsISY_E10value_typeET2_T3_PNSZ_IS14_E10value_typeET4_jRbjT5_S1A_jjP12ihipStream_tbEUljE_EEESV_SW_SX_S14_S18_S1A_T6_T7_T9_mT8_S1C_bDpT10_ENKUlT_T0_E_clISt17integral_constantIbLb0EES1P_EEDaS1K_S1L_EUlS1K_E_NS1_11comp_targetILNS1_3genE8ELNS1_11target_archE1030ELNS1_3gpuE2ELNS1_3repE0EEENS1_30default_config_static_selectorELNS0_4arch9wavefront6targetE0EEEvSY_,"axG",@progbits,_ZN7rocprim17ROCPRIM_400000_NS6detail17trampoline_kernelINS0_13select_configILj256ELj13ELNS0_17block_load_methodE3ELS4_3ELS4_3ELNS0_20block_scan_algorithmE0ELj4294967295EEENS1_25partition_config_selectorILNS1_17partition_subalgoE3EjNS0_10empty_typeEbEEZZNS1_14partition_implILS8_3ELb0ES6_jNS0_17counting_iteratorIjlEEPS9_SE_NS0_5tupleIJPjSE_EEENSF_IJSE_SE_EEES9_SG_JZNS1_25segmented_radix_sort_implINS0_14default_configELb0EPKaPaPKlPlN2at6native12_GLOBAL__N_18offset_tEEE10hipError_tPvRmT1_PNSt15iterator_traitsISY_E10value_typeET2_T3_PNSZ_IS14_E10value_typeET4_jRbjT5_S1A_jjP12ihipStream_tbEUljE_EEESV_SW_SX_S14_S18_S1A_T6_T7_T9_mT8_S1C_bDpT10_ENKUlT_T0_E_clISt17integral_constantIbLb0EES1P_EEDaS1K_S1L_EUlS1K_E_NS1_11comp_targetILNS1_3genE8ELNS1_11target_archE1030ELNS1_3gpuE2ELNS1_3repE0EEENS1_30default_config_static_selectorELNS0_4arch9wavefront6targetE0EEEvSY_,comdat
.Lfunc_end368:
	.size	_ZN7rocprim17ROCPRIM_400000_NS6detail17trampoline_kernelINS0_13select_configILj256ELj13ELNS0_17block_load_methodE3ELS4_3ELS4_3ELNS0_20block_scan_algorithmE0ELj4294967295EEENS1_25partition_config_selectorILNS1_17partition_subalgoE3EjNS0_10empty_typeEbEEZZNS1_14partition_implILS8_3ELb0ES6_jNS0_17counting_iteratorIjlEEPS9_SE_NS0_5tupleIJPjSE_EEENSF_IJSE_SE_EEES9_SG_JZNS1_25segmented_radix_sort_implINS0_14default_configELb0EPKaPaPKlPlN2at6native12_GLOBAL__N_18offset_tEEE10hipError_tPvRmT1_PNSt15iterator_traitsISY_E10value_typeET2_T3_PNSZ_IS14_E10value_typeET4_jRbjT5_S1A_jjP12ihipStream_tbEUljE_EEESV_SW_SX_S14_S18_S1A_T6_T7_T9_mT8_S1C_bDpT10_ENKUlT_T0_E_clISt17integral_constantIbLb0EES1P_EEDaS1K_S1L_EUlS1K_E_NS1_11comp_targetILNS1_3genE8ELNS1_11target_archE1030ELNS1_3gpuE2ELNS1_3repE0EEENS1_30default_config_static_selectorELNS0_4arch9wavefront6targetE0EEEvSY_, .Lfunc_end368-_ZN7rocprim17ROCPRIM_400000_NS6detail17trampoline_kernelINS0_13select_configILj256ELj13ELNS0_17block_load_methodE3ELS4_3ELS4_3ELNS0_20block_scan_algorithmE0ELj4294967295EEENS1_25partition_config_selectorILNS1_17partition_subalgoE3EjNS0_10empty_typeEbEEZZNS1_14partition_implILS8_3ELb0ES6_jNS0_17counting_iteratorIjlEEPS9_SE_NS0_5tupleIJPjSE_EEENSF_IJSE_SE_EEES9_SG_JZNS1_25segmented_radix_sort_implINS0_14default_configELb0EPKaPaPKlPlN2at6native12_GLOBAL__N_18offset_tEEE10hipError_tPvRmT1_PNSt15iterator_traitsISY_E10value_typeET2_T3_PNSZ_IS14_E10value_typeET4_jRbjT5_S1A_jjP12ihipStream_tbEUljE_EEESV_SW_SX_S14_S18_S1A_T6_T7_T9_mT8_S1C_bDpT10_ENKUlT_T0_E_clISt17integral_constantIbLb0EES1P_EEDaS1K_S1L_EUlS1K_E_NS1_11comp_targetILNS1_3genE8ELNS1_11target_archE1030ELNS1_3gpuE2ELNS1_3repE0EEENS1_30default_config_static_selectorELNS0_4arch9wavefront6targetE0EEEvSY_
                                        ; -- End function
	.section	.AMDGPU.csdata,"",@progbits
; Kernel info:
; codeLenInByte = 0
; NumSgprs: 0
; NumVgprs: 0
; ScratchSize: 0
; MemoryBound: 0
; FloatMode: 240
; IeeeMode: 1
; LDSByteSize: 0 bytes/workgroup (compile time only)
; SGPRBlocks: 0
; VGPRBlocks: 0
; NumSGPRsForWavesPerEU: 1
; NumVGPRsForWavesPerEU: 1
; Occupancy: 16
; WaveLimiterHint : 0
; COMPUTE_PGM_RSRC2:SCRATCH_EN: 0
; COMPUTE_PGM_RSRC2:USER_SGPR: 15
; COMPUTE_PGM_RSRC2:TRAP_HANDLER: 0
; COMPUTE_PGM_RSRC2:TGID_X_EN: 1
; COMPUTE_PGM_RSRC2:TGID_Y_EN: 0
; COMPUTE_PGM_RSRC2:TGID_Z_EN: 0
; COMPUTE_PGM_RSRC2:TIDIG_COMP_CNT: 0
	.section	.text._ZN7rocprim17ROCPRIM_400000_NS6detail17trampoline_kernelINS0_13select_configILj256ELj13ELNS0_17block_load_methodE3ELS4_3ELS4_3ELNS0_20block_scan_algorithmE0ELj4294967295EEENS1_25partition_config_selectorILNS1_17partition_subalgoE3EjNS0_10empty_typeEbEEZZNS1_14partition_implILS8_3ELb0ES6_jNS0_17counting_iteratorIjlEEPS9_SE_NS0_5tupleIJPjSE_EEENSF_IJSE_SE_EEES9_SG_JZNS1_25segmented_radix_sort_implINS0_14default_configELb0EPKaPaPKlPlN2at6native12_GLOBAL__N_18offset_tEEE10hipError_tPvRmT1_PNSt15iterator_traitsISY_E10value_typeET2_T3_PNSZ_IS14_E10value_typeET4_jRbjT5_S1A_jjP12ihipStream_tbEUljE_EEESV_SW_SX_S14_S18_S1A_T6_T7_T9_mT8_S1C_bDpT10_ENKUlT_T0_E_clISt17integral_constantIbLb1EES1P_EEDaS1K_S1L_EUlS1K_E_NS1_11comp_targetILNS1_3genE0ELNS1_11target_archE4294967295ELNS1_3gpuE0ELNS1_3repE0EEENS1_30default_config_static_selectorELNS0_4arch9wavefront6targetE0EEEvSY_,"axG",@progbits,_ZN7rocprim17ROCPRIM_400000_NS6detail17trampoline_kernelINS0_13select_configILj256ELj13ELNS0_17block_load_methodE3ELS4_3ELS4_3ELNS0_20block_scan_algorithmE0ELj4294967295EEENS1_25partition_config_selectorILNS1_17partition_subalgoE3EjNS0_10empty_typeEbEEZZNS1_14partition_implILS8_3ELb0ES6_jNS0_17counting_iteratorIjlEEPS9_SE_NS0_5tupleIJPjSE_EEENSF_IJSE_SE_EEES9_SG_JZNS1_25segmented_radix_sort_implINS0_14default_configELb0EPKaPaPKlPlN2at6native12_GLOBAL__N_18offset_tEEE10hipError_tPvRmT1_PNSt15iterator_traitsISY_E10value_typeET2_T3_PNSZ_IS14_E10value_typeET4_jRbjT5_S1A_jjP12ihipStream_tbEUljE_EEESV_SW_SX_S14_S18_S1A_T6_T7_T9_mT8_S1C_bDpT10_ENKUlT_T0_E_clISt17integral_constantIbLb1EES1P_EEDaS1K_S1L_EUlS1K_E_NS1_11comp_targetILNS1_3genE0ELNS1_11target_archE4294967295ELNS1_3gpuE0ELNS1_3repE0EEENS1_30default_config_static_selectorELNS0_4arch9wavefront6targetE0EEEvSY_,comdat
	.globl	_ZN7rocprim17ROCPRIM_400000_NS6detail17trampoline_kernelINS0_13select_configILj256ELj13ELNS0_17block_load_methodE3ELS4_3ELS4_3ELNS0_20block_scan_algorithmE0ELj4294967295EEENS1_25partition_config_selectorILNS1_17partition_subalgoE3EjNS0_10empty_typeEbEEZZNS1_14partition_implILS8_3ELb0ES6_jNS0_17counting_iteratorIjlEEPS9_SE_NS0_5tupleIJPjSE_EEENSF_IJSE_SE_EEES9_SG_JZNS1_25segmented_radix_sort_implINS0_14default_configELb0EPKaPaPKlPlN2at6native12_GLOBAL__N_18offset_tEEE10hipError_tPvRmT1_PNSt15iterator_traitsISY_E10value_typeET2_T3_PNSZ_IS14_E10value_typeET4_jRbjT5_S1A_jjP12ihipStream_tbEUljE_EEESV_SW_SX_S14_S18_S1A_T6_T7_T9_mT8_S1C_bDpT10_ENKUlT_T0_E_clISt17integral_constantIbLb1EES1P_EEDaS1K_S1L_EUlS1K_E_NS1_11comp_targetILNS1_3genE0ELNS1_11target_archE4294967295ELNS1_3gpuE0ELNS1_3repE0EEENS1_30default_config_static_selectorELNS0_4arch9wavefront6targetE0EEEvSY_ ; -- Begin function _ZN7rocprim17ROCPRIM_400000_NS6detail17trampoline_kernelINS0_13select_configILj256ELj13ELNS0_17block_load_methodE3ELS4_3ELS4_3ELNS0_20block_scan_algorithmE0ELj4294967295EEENS1_25partition_config_selectorILNS1_17partition_subalgoE3EjNS0_10empty_typeEbEEZZNS1_14partition_implILS8_3ELb0ES6_jNS0_17counting_iteratorIjlEEPS9_SE_NS0_5tupleIJPjSE_EEENSF_IJSE_SE_EEES9_SG_JZNS1_25segmented_radix_sort_implINS0_14default_configELb0EPKaPaPKlPlN2at6native12_GLOBAL__N_18offset_tEEE10hipError_tPvRmT1_PNSt15iterator_traitsISY_E10value_typeET2_T3_PNSZ_IS14_E10value_typeET4_jRbjT5_S1A_jjP12ihipStream_tbEUljE_EEESV_SW_SX_S14_S18_S1A_T6_T7_T9_mT8_S1C_bDpT10_ENKUlT_T0_E_clISt17integral_constantIbLb1EES1P_EEDaS1K_S1L_EUlS1K_E_NS1_11comp_targetILNS1_3genE0ELNS1_11target_archE4294967295ELNS1_3gpuE0ELNS1_3repE0EEENS1_30default_config_static_selectorELNS0_4arch9wavefront6targetE0EEEvSY_
	.p2align	8
	.type	_ZN7rocprim17ROCPRIM_400000_NS6detail17trampoline_kernelINS0_13select_configILj256ELj13ELNS0_17block_load_methodE3ELS4_3ELS4_3ELNS0_20block_scan_algorithmE0ELj4294967295EEENS1_25partition_config_selectorILNS1_17partition_subalgoE3EjNS0_10empty_typeEbEEZZNS1_14partition_implILS8_3ELb0ES6_jNS0_17counting_iteratorIjlEEPS9_SE_NS0_5tupleIJPjSE_EEENSF_IJSE_SE_EEES9_SG_JZNS1_25segmented_radix_sort_implINS0_14default_configELb0EPKaPaPKlPlN2at6native12_GLOBAL__N_18offset_tEEE10hipError_tPvRmT1_PNSt15iterator_traitsISY_E10value_typeET2_T3_PNSZ_IS14_E10value_typeET4_jRbjT5_S1A_jjP12ihipStream_tbEUljE_EEESV_SW_SX_S14_S18_S1A_T6_T7_T9_mT8_S1C_bDpT10_ENKUlT_T0_E_clISt17integral_constantIbLb1EES1P_EEDaS1K_S1L_EUlS1K_E_NS1_11comp_targetILNS1_3genE0ELNS1_11target_archE4294967295ELNS1_3gpuE0ELNS1_3repE0EEENS1_30default_config_static_selectorELNS0_4arch9wavefront6targetE0EEEvSY_,@function
_ZN7rocprim17ROCPRIM_400000_NS6detail17trampoline_kernelINS0_13select_configILj256ELj13ELNS0_17block_load_methodE3ELS4_3ELS4_3ELNS0_20block_scan_algorithmE0ELj4294967295EEENS1_25partition_config_selectorILNS1_17partition_subalgoE3EjNS0_10empty_typeEbEEZZNS1_14partition_implILS8_3ELb0ES6_jNS0_17counting_iteratorIjlEEPS9_SE_NS0_5tupleIJPjSE_EEENSF_IJSE_SE_EEES9_SG_JZNS1_25segmented_radix_sort_implINS0_14default_configELb0EPKaPaPKlPlN2at6native12_GLOBAL__N_18offset_tEEE10hipError_tPvRmT1_PNSt15iterator_traitsISY_E10value_typeET2_T3_PNSZ_IS14_E10value_typeET4_jRbjT5_S1A_jjP12ihipStream_tbEUljE_EEESV_SW_SX_S14_S18_S1A_T6_T7_T9_mT8_S1C_bDpT10_ENKUlT_T0_E_clISt17integral_constantIbLb1EES1P_EEDaS1K_S1L_EUlS1K_E_NS1_11comp_targetILNS1_3genE0ELNS1_11target_archE4294967295ELNS1_3gpuE0ELNS1_3repE0EEENS1_30default_config_static_selectorELNS0_4arch9wavefront6targetE0EEEvSY_: ; @_ZN7rocprim17ROCPRIM_400000_NS6detail17trampoline_kernelINS0_13select_configILj256ELj13ELNS0_17block_load_methodE3ELS4_3ELS4_3ELNS0_20block_scan_algorithmE0ELj4294967295EEENS1_25partition_config_selectorILNS1_17partition_subalgoE3EjNS0_10empty_typeEbEEZZNS1_14partition_implILS8_3ELb0ES6_jNS0_17counting_iteratorIjlEEPS9_SE_NS0_5tupleIJPjSE_EEENSF_IJSE_SE_EEES9_SG_JZNS1_25segmented_radix_sort_implINS0_14default_configELb0EPKaPaPKlPlN2at6native12_GLOBAL__N_18offset_tEEE10hipError_tPvRmT1_PNSt15iterator_traitsISY_E10value_typeET2_T3_PNSZ_IS14_E10value_typeET4_jRbjT5_S1A_jjP12ihipStream_tbEUljE_EEESV_SW_SX_S14_S18_S1A_T6_T7_T9_mT8_S1C_bDpT10_ENKUlT_T0_E_clISt17integral_constantIbLb1EES1P_EEDaS1K_S1L_EUlS1K_E_NS1_11comp_targetILNS1_3genE0ELNS1_11target_archE4294967295ELNS1_3gpuE0ELNS1_3repE0EEENS1_30default_config_static_selectorELNS0_4arch9wavefront6targetE0EEEvSY_
; %bb.0:
	.section	.rodata,"a",@progbits
	.p2align	6, 0x0
	.amdhsa_kernel _ZN7rocprim17ROCPRIM_400000_NS6detail17trampoline_kernelINS0_13select_configILj256ELj13ELNS0_17block_load_methodE3ELS4_3ELS4_3ELNS0_20block_scan_algorithmE0ELj4294967295EEENS1_25partition_config_selectorILNS1_17partition_subalgoE3EjNS0_10empty_typeEbEEZZNS1_14partition_implILS8_3ELb0ES6_jNS0_17counting_iteratorIjlEEPS9_SE_NS0_5tupleIJPjSE_EEENSF_IJSE_SE_EEES9_SG_JZNS1_25segmented_radix_sort_implINS0_14default_configELb0EPKaPaPKlPlN2at6native12_GLOBAL__N_18offset_tEEE10hipError_tPvRmT1_PNSt15iterator_traitsISY_E10value_typeET2_T3_PNSZ_IS14_E10value_typeET4_jRbjT5_S1A_jjP12ihipStream_tbEUljE_EEESV_SW_SX_S14_S18_S1A_T6_T7_T9_mT8_S1C_bDpT10_ENKUlT_T0_E_clISt17integral_constantIbLb1EES1P_EEDaS1K_S1L_EUlS1K_E_NS1_11comp_targetILNS1_3genE0ELNS1_11target_archE4294967295ELNS1_3gpuE0ELNS1_3repE0EEENS1_30default_config_static_selectorELNS0_4arch9wavefront6targetE0EEEvSY_
		.amdhsa_group_segment_fixed_size 0
		.amdhsa_private_segment_fixed_size 0
		.amdhsa_kernarg_size 152
		.amdhsa_user_sgpr_count 15
		.amdhsa_user_sgpr_dispatch_ptr 0
		.amdhsa_user_sgpr_queue_ptr 0
		.amdhsa_user_sgpr_kernarg_segment_ptr 1
		.amdhsa_user_sgpr_dispatch_id 0
		.amdhsa_user_sgpr_private_segment_size 0
		.amdhsa_wavefront_size32 1
		.amdhsa_uses_dynamic_stack 0
		.amdhsa_enable_private_segment 0
		.amdhsa_system_sgpr_workgroup_id_x 1
		.amdhsa_system_sgpr_workgroup_id_y 0
		.amdhsa_system_sgpr_workgroup_id_z 0
		.amdhsa_system_sgpr_workgroup_info 0
		.amdhsa_system_vgpr_workitem_id 0
		.amdhsa_next_free_vgpr 1
		.amdhsa_next_free_sgpr 1
		.amdhsa_reserve_vcc 0
		.amdhsa_float_round_mode_32 0
		.amdhsa_float_round_mode_16_64 0
		.amdhsa_float_denorm_mode_32 3
		.amdhsa_float_denorm_mode_16_64 3
		.amdhsa_dx10_clamp 1
		.amdhsa_ieee_mode 1
		.amdhsa_fp16_overflow 0
		.amdhsa_workgroup_processor_mode 1
		.amdhsa_memory_ordered 1
		.amdhsa_forward_progress 0
		.amdhsa_shared_vgpr_count 0
		.amdhsa_exception_fp_ieee_invalid_op 0
		.amdhsa_exception_fp_denorm_src 0
		.amdhsa_exception_fp_ieee_div_zero 0
		.amdhsa_exception_fp_ieee_overflow 0
		.amdhsa_exception_fp_ieee_underflow 0
		.amdhsa_exception_fp_ieee_inexact 0
		.amdhsa_exception_int_div_zero 0
	.end_amdhsa_kernel
	.section	.text._ZN7rocprim17ROCPRIM_400000_NS6detail17trampoline_kernelINS0_13select_configILj256ELj13ELNS0_17block_load_methodE3ELS4_3ELS4_3ELNS0_20block_scan_algorithmE0ELj4294967295EEENS1_25partition_config_selectorILNS1_17partition_subalgoE3EjNS0_10empty_typeEbEEZZNS1_14partition_implILS8_3ELb0ES6_jNS0_17counting_iteratorIjlEEPS9_SE_NS0_5tupleIJPjSE_EEENSF_IJSE_SE_EEES9_SG_JZNS1_25segmented_radix_sort_implINS0_14default_configELb0EPKaPaPKlPlN2at6native12_GLOBAL__N_18offset_tEEE10hipError_tPvRmT1_PNSt15iterator_traitsISY_E10value_typeET2_T3_PNSZ_IS14_E10value_typeET4_jRbjT5_S1A_jjP12ihipStream_tbEUljE_EEESV_SW_SX_S14_S18_S1A_T6_T7_T9_mT8_S1C_bDpT10_ENKUlT_T0_E_clISt17integral_constantIbLb1EES1P_EEDaS1K_S1L_EUlS1K_E_NS1_11comp_targetILNS1_3genE0ELNS1_11target_archE4294967295ELNS1_3gpuE0ELNS1_3repE0EEENS1_30default_config_static_selectorELNS0_4arch9wavefront6targetE0EEEvSY_,"axG",@progbits,_ZN7rocprim17ROCPRIM_400000_NS6detail17trampoline_kernelINS0_13select_configILj256ELj13ELNS0_17block_load_methodE3ELS4_3ELS4_3ELNS0_20block_scan_algorithmE0ELj4294967295EEENS1_25partition_config_selectorILNS1_17partition_subalgoE3EjNS0_10empty_typeEbEEZZNS1_14partition_implILS8_3ELb0ES6_jNS0_17counting_iteratorIjlEEPS9_SE_NS0_5tupleIJPjSE_EEENSF_IJSE_SE_EEES9_SG_JZNS1_25segmented_radix_sort_implINS0_14default_configELb0EPKaPaPKlPlN2at6native12_GLOBAL__N_18offset_tEEE10hipError_tPvRmT1_PNSt15iterator_traitsISY_E10value_typeET2_T3_PNSZ_IS14_E10value_typeET4_jRbjT5_S1A_jjP12ihipStream_tbEUljE_EEESV_SW_SX_S14_S18_S1A_T6_T7_T9_mT8_S1C_bDpT10_ENKUlT_T0_E_clISt17integral_constantIbLb1EES1P_EEDaS1K_S1L_EUlS1K_E_NS1_11comp_targetILNS1_3genE0ELNS1_11target_archE4294967295ELNS1_3gpuE0ELNS1_3repE0EEENS1_30default_config_static_selectorELNS0_4arch9wavefront6targetE0EEEvSY_,comdat
.Lfunc_end369:
	.size	_ZN7rocprim17ROCPRIM_400000_NS6detail17trampoline_kernelINS0_13select_configILj256ELj13ELNS0_17block_load_methodE3ELS4_3ELS4_3ELNS0_20block_scan_algorithmE0ELj4294967295EEENS1_25partition_config_selectorILNS1_17partition_subalgoE3EjNS0_10empty_typeEbEEZZNS1_14partition_implILS8_3ELb0ES6_jNS0_17counting_iteratorIjlEEPS9_SE_NS0_5tupleIJPjSE_EEENSF_IJSE_SE_EEES9_SG_JZNS1_25segmented_radix_sort_implINS0_14default_configELb0EPKaPaPKlPlN2at6native12_GLOBAL__N_18offset_tEEE10hipError_tPvRmT1_PNSt15iterator_traitsISY_E10value_typeET2_T3_PNSZ_IS14_E10value_typeET4_jRbjT5_S1A_jjP12ihipStream_tbEUljE_EEESV_SW_SX_S14_S18_S1A_T6_T7_T9_mT8_S1C_bDpT10_ENKUlT_T0_E_clISt17integral_constantIbLb1EES1P_EEDaS1K_S1L_EUlS1K_E_NS1_11comp_targetILNS1_3genE0ELNS1_11target_archE4294967295ELNS1_3gpuE0ELNS1_3repE0EEENS1_30default_config_static_selectorELNS0_4arch9wavefront6targetE0EEEvSY_, .Lfunc_end369-_ZN7rocprim17ROCPRIM_400000_NS6detail17trampoline_kernelINS0_13select_configILj256ELj13ELNS0_17block_load_methodE3ELS4_3ELS4_3ELNS0_20block_scan_algorithmE0ELj4294967295EEENS1_25partition_config_selectorILNS1_17partition_subalgoE3EjNS0_10empty_typeEbEEZZNS1_14partition_implILS8_3ELb0ES6_jNS0_17counting_iteratorIjlEEPS9_SE_NS0_5tupleIJPjSE_EEENSF_IJSE_SE_EEES9_SG_JZNS1_25segmented_radix_sort_implINS0_14default_configELb0EPKaPaPKlPlN2at6native12_GLOBAL__N_18offset_tEEE10hipError_tPvRmT1_PNSt15iterator_traitsISY_E10value_typeET2_T3_PNSZ_IS14_E10value_typeET4_jRbjT5_S1A_jjP12ihipStream_tbEUljE_EEESV_SW_SX_S14_S18_S1A_T6_T7_T9_mT8_S1C_bDpT10_ENKUlT_T0_E_clISt17integral_constantIbLb1EES1P_EEDaS1K_S1L_EUlS1K_E_NS1_11comp_targetILNS1_3genE0ELNS1_11target_archE4294967295ELNS1_3gpuE0ELNS1_3repE0EEENS1_30default_config_static_selectorELNS0_4arch9wavefront6targetE0EEEvSY_
                                        ; -- End function
	.section	.AMDGPU.csdata,"",@progbits
; Kernel info:
; codeLenInByte = 0
; NumSgprs: 0
; NumVgprs: 0
; ScratchSize: 0
; MemoryBound: 0
; FloatMode: 240
; IeeeMode: 1
; LDSByteSize: 0 bytes/workgroup (compile time only)
; SGPRBlocks: 0
; VGPRBlocks: 0
; NumSGPRsForWavesPerEU: 1
; NumVGPRsForWavesPerEU: 1
; Occupancy: 16
; WaveLimiterHint : 0
; COMPUTE_PGM_RSRC2:SCRATCH_EN: 0
; COMPUTE_PGM_RSRC2:USER_SGPR: 15
; COMPUTE_PGM_RSRC2:TRAP_HANDLER: 0
; COMPUTE_PGM_RSRC2:TGID_X_EN: 1
; COMPUTE_PGM_RSRC2:TGID_Y_EN: 0
; COMPUTE_PGM_RSRC2:TGID_Z_EN: 0
; COMPUTE_PGM_RSRC2:TIDIG_COMP_CNT: 0
	.section	.text._ZN7rocprim17ROCPRIM_400000_NS6detail17trampoline_kernelINS0_13select_configILj256ELj13ELNS0_17block_load_methodE3ELS4_3ELS4_3ELNS0_20block_scan_algorithmE0ELj4294967295EEENS1_25partition_config_selectorILNS1_17partition_subalgoE3EjNS0_10empty_typeEbEEZZNS1_14partition_implILS8_3ELb0ES6_jNS0_17counting_iteratorIjlEEPS9_SE_NS0_5tupleIJPjSE_EEENSF_IJSE_SE_EEES9_SG_JZNS1_25segmented_radix_sort_implINS0_14default_configELb0EPKaPaPKlPlN2at6native12_GLOBAL__N_18offset_tEEE10hipError_tPvRmT1_PNSt15iterator_traitsISY_E10value_typeET2_T3_PNSZ_IS14_E10value_typeET4_jRbjT5_S1A_jjP12ihipStream_tbEUljE_EEESV_SW_SX_S14_S18_S1A_T6_T7_T9_mT8_S1C_bDpT10_ENKUlT_T0_E_clISt17integral_constantIbLb1EES1P_EEDaS1K_S1L_EUlS1K_E_NS1_11comp_targetILNS1_3genE5ELNS1_11target_archE942ELNS1_3gpuE9ELNS1_3repE0EEENS1_30default_config_static_selectorELNS0_4arch9wavefront6targetE0EEEvSY_,"axG",@progbits,_ZN7rocprim17ROCPRIM_400000_NS6detail17trampoline_kernelINS0_13select_configILj256ELj13ELNS0_17block_load_methodE3ELS4_3ELS4_3ELNS0_20block_scan_algorithmE0ELj4294967295EEENS1_25partition_config_selectorILNS1_17partition_subalgoE3EjNS0_10empty_typeEbEEZZNS1_14partition_implILS8_3ELb0ES6_jNS0_17counting_iteratorIjlEEPS9_SE_NS0_5tupleIJPjSE_EEENSF_IJSE_SE_EEES9_SG_JZNS1_25segmented_radix_sort_implINS0_14default_configELb0EPKaPaPKlPlN2at6native12_GLOBAL__N_18offset_tEEE10hipError_tPvRmT1_PNSt15iterator_traitsISY_E10value_typeET2_T3_PNSZ_IS14_E10value_typeET4_jRbjT5_S1A_jjP12ihipStream_tbEUljE_EEESV_SW_SX_S14_S18_S1A_T6_T7_T9_mT8_S1C_bDpT10_ENKUlT_T0_E_clISt17integral_constantIbLb1EES1P_EEDaS1K_S1L_EUlS1K_E_NS1_11comp_targetILNS1_3genE5ELNS1_11target_archE942ELNS1_3gpuE9ELNS1_3repE0EEENS1_30default_config_static_selectorELNS0_4arch9wavefront6targetE0EEEvSY_,comdat
	.globl	_ZN7rocprim17ROCPRIM_400000_NS6detail17trampoline_kernelINS0_13select_configILj256ELj13ELNS0_17block_load_methodE3ELS4_3ELS4_3ELNS0_20block_scan_algorithmE0ELj4294967295EEENS1_25partition_config_selectorILNS1_17partition_subalgoE3EjNS0_10empty_typeEbEEZZNS1_14partition_implILS8_3ELb0ES6_jNS0_17counting_iteratorIjlEEPS9_SE_NS0_5tupleIJPjSE_EEENSF_IJSE_SE_EEES9_SG_JZNS1_25segmented_radix_sort_implINS0_14default_configELb0EPKaPaPKlPlN2at6native12_GLOBAL__N_18offset_tEEE10hipError_tPvRmT1_PNSt15iterator_traitsISY_E10value_typeET2_T3_PNSZ_IS14_E10value_typeET4_jRbjT5_S1A_jjP12ihipStream_tbEUljE_EEESV_SW_SX_S14_S18_S1A_T6_T7_T9_mT8_S1C_bDpT10_ENKUlT_T0_E_clISt17integral_constantIbLb1EES1P_EEDaS1K_S1L_EUlS1K_E_NS1_11comp_targetILNS1_3genE5ELNS1_11target_archE942ELNS1_3gpuE9ELNS1_3repE0EEENS1_30default_config_static_selectorELNS0_4arch9wavefront6targetE0EEEvSY_ ; -- Begin function _ZN7rocprim17ROCPRIM_400000_NS6detail17trampoline_kernelINS0_13select_configILj256ELj13ELNS0_17block_load_methodE3ELS4_3ELS4_3ELNS0_20block_scan_algorithmE0ELj4294967295EEENS1_25partition_config_selectorILNS1_17partition_subalgoE3EjNS0_10empty_typeEbEEZZNS1_14partition_implILS8_3ELb0ES6_jNS0_17counting_iteratorIjlEEPS9_SE_NS0_5tupleIJPjSE_EEENSF_IJSE_SE_EEES9_SG_JZNS1_25segmented_radix_sort_implINS0_14default_configELb0EPKaPaPKlPlN2at6native12_GLOBAL__N_18offset_tEEE10hipError_tPvRmT1_PNSt15iterator_traitsISY_E10value_typeET2_T3_PNSZ_IS14_E10value_typeET4_jRbjT5_S1A_jjP12ihipStream_tbEUljE_EEESV_SW_SX_S14_S18_S1A_T6_T7_T9_mT8_S1C_bDpT10_ENKUlT_T0_E_clISt17integral_constantIbLb1EES1P_EEDaS1K_S1L_EUlS1K_E_NS1_11comp_targetILNS1_3genE5ELNS1_11target_archE942ELNS1_3gpuE9ELNS1_3repE0EEENS1_30default_config_static_selectorELNS0_4arch9wavefront6targetE0EEEvSY_
	.p2align	8
	.type	_ZN7rocprim17ROCPRIM_400000_NS6detail17trampoline_kernelINS0_13select_configILj256ELj13ELNS0_17block_load_methodE3ELS4_3ELS4_3ELNS0_20block_scan_algorithmE0ELj4294967295EEENS1_25partition_config_selectorILNS1_17partition_subalgoE3EjNS0_10empty_typeEbEEZZNS1_14partition_implILS8_3ELb0ES6_jNS0_17counting_iteratorIjlEEPS9_SE_NS0_5tupleIJPjSE_EEENSF_IJSE_SE_EEES9_SG_JZNS1_25segmented_radix_sort_implINS0_14default_configELb0EPKaPaPKlPlN2at6native12_GLOBAL__N_18offset_tEEE10hipError_tPvRmT1_PNSt15iterator_traitsISY_E10value_typeET2_T3_PNSZ_IS14_E10value_typeET4_jRbjT5_S1A_jjP12ihipStream_tbEUljE_EEESV_SW_SX_S14_S18_S1A_T6_T7_T9_mT8_S1C_bDpT10_ENKUlT_T0_E_clISt17integral_constantIbLb1EES1P_EEDaS1K_S1L_EUlS1K_E_NS1_11comp_targetILNS1_3genE5ELNS1_11target_archE942ELNS1_3gpuE9ELNS1_3repE0EEENS1_30default_config_static_selectorELNS0_4arch9wavefront6targetE0EEEvSY_,@function
_ZN7rocprim17ROCPRIM_400000_NS6detail17trampoline_kernelINS0_13select_configILj256ELj13ELNS0_17block_load_methodE3ELS4_3ELS4_3ELNS0_20block_scan_algorithmE0ELj4294967295EEENS1_25partition_config_selectorILNS1_17partition_subalgoE3EjNS0_10empty_typeEbEEZZNS1_14partition_implILS8_3ELb0ES6_jNS0_17counting_iteratorIjlEEPS9_SE_NS0_5tupleIJPjSE_EEENSF_IJSE_SE_EEES9_SG_JZNS1_25segmented_radix_sort_implINS0_14default_configELb0EPKaPaPKlPlN2at6native12_GLOBAL__N_18offset_tEEE10hipError_tPvRmT1_PNSt15iterator_traitsISY_E10value_typeET2_T3_PNSZ_IS14_E10value_typeET4_jRbjT5_S1A_jjP12ihipStream_tbEUljE_EEESV_SW_SX_S14_S18_S1A_T6_T7_T9_mT8_S1C_bDpT10_ENKUlT_T0_E_clISt17integral_constantIbLb1EES1P_EEDaS1K_S1L_EUlS1K_E_NS1_11comp_targetILNS1_3genE5ELNS1_11target_archE942ELNS1_3gpuE9ELNS1_3repE0EEENS1_30default_config_static_selectorELNS0_4arch9wavefront6targetE0EEEvSY_: ; @_ZN7rocprim17ROCPRIM_400000_NS6detail17trampoline_kernelINS0_13select_configILj256ELj13ELNS0_17block_load_methodE3ELS4_3ELS4_3ELNS0_20block_scan_algorithmE0ELj4294967295EEENS1_25partition_config_selectorILNS1_17partition_subalgoE3EjNS0_10empty_typeEbEEZZNS1_14partition_implILS8_3ELb0ES6_jNS0_17counting_iteratorIjlEEPS9_SE_NS0_5tupleIJPjSE_EEENSF_IJSE_SE_EEES9_SG_JZNS1_25segmented_radix_sort_implINS0_14default_configELb0EPKaPaPKlPlN2at6native12_GLOBAL__N_18offset_tEEE10hipError_tPvRmT1_PNSt15iterator_traitsISY_E10value_typeET2_T3_PNSZ_IS14_E10value_typeET4_jRbjT5_S1A_jjP12ihipStream_tbEUljE_EEESV_SW_SX_S14_S18_S1A_T6_T7_T9_mT8_S1C_bDpT10_ENKUlT_T0_E_clISt17integral_constantIbLb1EES1P_EEDaS1K_S1L_EUlS1K_E_NS1_11comp_targetILNS1_3genE5ELNS1_11target_archE942ELNS1_3gpuE9ELNS1_3repE0EEENS1_30default_config_static_selectorELNS0_4arch9wavefront6targetE0EEEvSY_
; %bb.0:
	.section	.rodata,"a",@progbits
	.p2align	6, 0x0
	.amdhsa_kernel _ZN7rocprim17ROCPRIM_400000_NS6detail17trampoline_kernelINS0_13select_configILj256ELj13ELNS0_17block_load_methodE3ELS4_3ELS4_3ELNS0_20block_scan_algorithmE0ELj4294967295EEENS1_25partition_config_selectorILNS1_17partition_subalgoE3EjNS0_10empty_typeEbEEZZNS1_14partition_implILS8_3ELb0ES6_jNS0_17counting_iteratorIjlEEPS9_SE_NS0_5tupleIJPjSE_EEENSF_IJSE_SE_EEES9_SG_JZNS1_25segmented_radix_sort_implINS0_14default_configELb0EPKaPaPKlPlN2at6native12_GLOBAL__N_18offset_tEEE10hipError_tPvRmT1_PNSt15iterator_traitsISY_E10value_typeET2_T3_PNSZ_IS14_E10value_typeET4_jRbjT5_S1A_jjP12ihipStream_tbEUljE_EEESV_SW_SX_S14_S18_S1A_T6_T7_T9_mT8_S1C_bDpT10_ENKUlT_T0_E_clISt17integral_constantIbLb1EES1P_EEDaS1K_S1L_EUlS1K_E_NS1_11comp_targetILNS1_3genE5ELNS1_11target_archE942ELNS1_3gpuE9ELNS1_3repE0EEENS1_30default_config_static_selectorELNS0_4arch9wavefront6targetE0EEEvSY_
		.amdhsa_group_segment_fixed_size 0
		.amdhsa_private_segment_fixed_size 0
		.amdhsa_kernarg_size 152
		.amdhsa_user_sgpr_count 15
		.amdhsa_user_sgpr_dispatch_ptr 0
		.amdhsa_user_sgpr_queue_ptr 0
		.amdhsa_user_sgpr_kernarg_segment_ptr 1
		.amdhsa_user_sgpr_dispatch_id 0
		.amdhsa_user_sgpr_private_segment_size 0
		.amdhsa_wavefront_size32 1
		.amdhsa_uses_dynamic_stack 0
		.amdhsa_enable_private_segment 0
		.amdhsa_system_sgpr_workgroup_id_x 1
		.amdhsa_system_sgpr_workgroup_id_y 0
		.amdhsa_system_sgpr_workgroup_id_z 0
		.amdhsa_system_sgpr_workgroup_info 0
		.amdhsa_system_vgpr_workitem_id 0
		.amdhsa_next_free_vgpr 1
		.amdhsa_next_free_sgpr 1
		.amdhsa_reserve_vcc 0
		.amdhsa_float_round_mode_32 0
		.amdhsa_float_round_mode_16_64 0
		.amdhsa_float_denorm_mode_32 3
		.amdhsa_float_denorm_mode_16_64 3
		.amdhsa_dx10_clamp 1
		.amdhsa_ieee_mode 1
		.amdhsa_fp16_overflow 0
		.amdhsa_workgroup_processor_mode 1
		.amdhsa_memory_ordered 1
		.amdhsa_forward_progress 0
		.amdhsa_shared_vgpr_count 0
		.amdhsa_exception_fp_ieee_invalid_op 0
		.amdhsa_exception_fp_denorm_src 0
		.amdhsa_exception_fp_ieee_div_zero 0
		.amdhsa_exception_fp_ieee_overflow 0
		.amdhsa_exception_fp_ieee_underflow 0
		.amdhsa_exception_fp_ieee_inexact 0
		.amdhsa_exception_int_div_zero 0
	.end_amdhsa_kernel
	.section	.text._ZN7rocprim17ROCPRIM_400000_NS6detail17trampoline_kernelINS0_13select_configILj256ELj13ELNS0_17block_load_methodE3ELS4_3ELS4_3ELNS0_20block_scan_algorithmE0ELj4294967295EEENS1_25partition_config_selectorILNS1_17partition_subalgoE3EjNS0_10empty_typeEbEEZZNS1_14partition_implILS8_3ELb0ES6_jNS0_17counting_iteratorIjlEEPS9_SE_NS0_5tupleIJPjSE_EEENSF_IJSE_SE_EEES9_SG_JZNS1_25segmented_radix_sort_implINS0_14default_configELb0EPKaPaPKlPlN2at6native12_GLOBAL__N_18offset_tEEE10hipError_tPvRmT1_PNSt15iterator_traitsISY_E10value_typeET2_T3_PNSZ_IS14_E10value_typeET4_jRbjT5_S1A_jjP12ihipStream_tbEUljE_EEESV_SW_SX_S14_S18_S1A_T6_T7_T9_mT8_S1C_bDpT10_ENKUlT_T0_E_clISt17integral_constantIbLb1EES1P_EEDaS1K_S1L_EUlS1K_E_NS1_11comp_targetILNS1_3genE5ELNS1_11target_archE942ELNS1_3gpuE9ELNS1_3repE0EEENS1_30default_config_static_selectorELNS0_4arch9wavefront6targetE0EEEvSY_,"axG",@progbits,_ZN7rocprim17ROCPRIM_400000_NS6detail17trampoline_kernelINS0_13select_configILj256ELj13ELNS0_17block_load_methodE3ELS4_3ELS4_3ELNS0_20block_scan_algorithmE0ELj4294967295EEENS1_25partition_config_selectorILNS1_17partition_subalgoE3EjNS0_10empty_typeEbEEZZNS1_14partition_implILS8_3ELb0ES6_jNS0_17counting_iteratorIjlEEPS9_SE_NS0_5tupleIJPjSE_EEENSF_IJSE_SE_EEES9_SG_JZNS1_25segmented_radix_sort_implINS0_14default_configELb0EPKaPaPKlPlN2at6native12_GLOBAL__N_18offset_tEEE10hipError_tPvRmT1_PNSt15iterator_traitsISY_E10value_typeET2_T3_PNSZ_IS14_E10value_typeET4_jRbjT5_S1A_jjP12ihipStream_tbEUljE_EEESV_SW_SX_S14_S18_S1A_T6_T7_T9_mT8_S1C_bDpT10_ENKUlT_T0_E_clISt17integral_constantIbLb1EES1P_EEDaS1K_S1L_EUlS1K_E_NS1_11comp_targetILNS1_3genE5ELNS1_11target_archE942ELNS1_3gpuE9ELNS1_3repE0EEENS1_30default_config_static_selectorELNS0_4arch9wavefront6targetE0EEEvSY_,comdat
.Lfunc_end370:
	.size	_ZN7rocprim17ROCPRIM_400000_NS6detail17trampoline_kernelINS0_13select_configILj256ELj13ELNS0_17block_load_methodE3ELS4_3ELS4_3ELNS0_20block_scan_algorithmE0ELj4294967295EEENS1_25partition_config_selectorILNS1_17partition_subalgoE3EjNS0_10empty_typeEbEEZZNS1_14partition_implILS8_3ELb0ES6_jNS0_17counting_iteratorIjlEEPS9_SE_NS0_5tupleIJPjSE_EEENSF_IJSE_SE_EEES9_SG_JZNS1_25segmented_radix_sort_implINS0_14default_configELb0EPKaPaPKlPlN2at6native12_GLOBAL__N_18offset_tEEE10hipError_tPvRmT1_PNSt15iterator_traitsISY_E10value_typeET2_T3_PNSZ_IS14_E10value_typeET4_jRbjT5_S1A_jjP12ihipStream_tbEUljE_EEESV_SW_SX_S14_S18_S1A_T6_T7_T9_mT8_S1C_bDpT10_ENKUlT_T0_E_clISt17integral_constantIbLb1EES1P_EEDaS1K_S1L_EUlS1K_E_NS1_11comp_targetILNS1_3genE5ELNS1_11target_archE942ELNS1_3gpuE9ELNS1_3repE0EEENS1_30default_config_static_selectorELNS0_4arch9wavefront6targetE0EEEvSY_, .Lfunc_end370-_ZN7rocprim17ROCPRIM_400000_NS6detail17trampoline_kernelINS0_13select_configILj256ELj13ELNS0_17block_load_methodE3ELS4_3ELS4_3ELNS0_20block_scan_algorithmE0ELj4294967295EEENS1_25partition_config_selectorILNS1_17partition_subalgoE3EjNS0_10empty_typeEbEEZZNS1_14partition_implILS8_3ELb0ES6_jNS0_17counting_iteratorIjlEEPS9_SE_NS0_5tupleIJPjSE_EEENSF_IJSE_SE_EEES9_SG_JZNS1_25segmented_radix_sort_implINS0_14default_configELb0EPKaPaPKlPlN2at6native12_GLOBAL__N_18offset_tEEE10hipError_tPvRmT1_PNSt15iterator_traitsISY_E10value_typeET2_T3_PNSZ_IS14_E10value_typeET4_jRbjT5_S1A_jjP12ihipStream_tbEUljE_EEESV_SW_SX_S14_S18_S1A_T6_T7_T9_mT8_S1C_bDpT10_ENKUlT_T0_E_clISt17integral_constantIbLb1EES1P_EEDaS1K_S1L_EUlS1K_E_NS1_11comp_targetILNS1_3genE5ELNS1_11target_archE942ELNS1_3gpuE9ELNS1_3repE0EEENS1_30default_config_static_selectorELNS0_4arch9wavefront6targetE0EEEvSY_
                                        ; -- End function
	.section	.AMDGPU.csdata,"",@progbits
; Kernel info:
; codeLenInByte = 0
; NumSgprs: 0
; NumVgprs: 0
; ScratchSize: 0
; MemoryBound: 0
; FloatMode: 240
; IeeeMode: 1
; LDSByteSize: 0 bytes/workgroup (compile time only)
; SGPRBlocks: 0
; VGPRBlocks: 0
; NumSGPRsForWavesPerEU: 1
; NumVGPRsForWavesPerEU: 1
; Occupancy: 16
; WaveLimiterHint : 0
; COMPUTE_PGM_RSRC2:SCRATCH_EN: 0
; COMPUTE_PGM_RSRC2:USER_SGPR: 15
; COMPUTE_PGM_RSRC2:TRAP_HANDLER: 0
; COMPUTE_PGM_RSRC2:TGID_X_EN: 1
; COMPUTE_PGM_RSRC2:TGID_Y_EN: 0
; COMPUTE_PGM_RSRC2:TGID_Z_EN: 0
; COMPUTE_PGM_RSRC2:TIDIG_COMP_CNT: 0
	.section	.text._ZN7rocprim17ROCPRIM_400000_NS6detail17trampoline_kernelINS0_13select_configILj256ELj13ELNS0_17block_load_methodE3ELS4_3ELS4_3ELNS0_20block_scan_algorithmE0ELj4294967295EEENS1_25partition_config_selectorILNS1_17partition_subalgoE3EjNS0_10empty_typeEbEEZZNS1_14partition_implILS8_3ELb0ES6_jNS0_17counting_iteratorIjlEEPS9_SE_NS0_5tupleIJPjSE_EEENSF_IJSE_SE_EEES9_SG_JZNS1_25segmented_radix_sort_implINS0_14default_configELb0EPKaPaPKlPlN2at6native12_GLOBAL__N_18offset_tEEE10hipError_tPvRmT1_PNSt15iterator_traitsISY_E10value_typeET2_T3_PNSZ_IS14_E10value_typeET4_jRbjT5_S1A_jjP12ihipStream_tbEUljE_EEESV_SW_SX_S14_S18_S1A_T6_T7_T9_mT8_S1C_bDpT10_ENKUlT_T0_E_clISt17integral_constantIbLb1EES1P_EEDaS1K_S1L_EUlS1K_E_NS1_11comp_targetILNS1_3genE4ELNS1_11target_archE910ELNS1_3gpuE8ELNS1_3repE0EEENS1_30default_config_static_selectorELNS0_4arch9wavefront6targetE0EEEvSY_,"axG",@progbits,_ZN7rocprim17ROCPRIM_400000_NS6detail17trampoline_kernelINS0_13select_configILj256ELj13ELNS0_17block_load_methodE3ELS4_3ELS4_3ELNS0_20block_scan_algorithmE0ELj4294967295EEENS1_25partition_config_selectorILNS1_17partition_subalgoE3EjNS0_10empty_typeEbEEZZNS1_14partition_implILS8_3ELb0ES6_jNS0_17counting_iteratorIjlEEPS9_SE_NS0_5tupleIJPjSE_EEENSF_IJSE_SE_EEES9_SG_JZNS1_25segmented_radix_sort_implINS0_14default_configELb0EPKaPaPKlPlN2at6native12_GLOBAL__N_18offset_tEEE10hipError_tPvRmT1_PNSt15iterator_traitsISY_E10value_typeET2_T3_PNSZ_IS14_E10value_typeET4_jRbjT5_S1A_jjP12ihipStream_tbEUljE_EEESV_SW_SX_S14_S18_S1A_T6_T7_T9_mT8_S1C_bDpT10_ENKUlT_T0_E_clISt17integral_constantIbLb1EES1P_EEDaS1K_S1L_EUlS1K_E_NS1_11comp_targetILNS1_3genE4ELNS1_11target_archE910ELNS1_3gpuE8ELNS1_3repE0EEENS1_30default_config_static_selectorELNS0_4arch9wavefront6targetE0EEEvSY_,comdat
	.globl	_ZN7rocprim17ROCPRIM_400000_NS6detail17trampoline_kernelINS0_13select_configILj256ELj13ELNS0_17block_load_methodE3ELS4_3ELS4_3ELNS0_20block_scan_algorithmE0ELj4294967295EEENS1_25partition_config_selectorILNS1_17partition_subalgoE3EjNS0_10empty_typeEbEEZZNS1_14partition_implILS8_3ELb0ES6_jNS0_17counting_iteratorIjlEEPS9_SE_NS0_5tupleIJPjSE_EEENSF_IJSE_SE_EEES9_SG_JZNS1_25segmented_radix_sort_implINS0_14default_configELb0EPKaPaPKlPlN2at6native12_GLOBAL__N_18offset_tEEE10hipError_tPvRmT1_PNSt15iterator_traitsISY_E10value_typeET2_T3_PNSZ_IS14_E10value_typeET4_jRbjT5_S1A_jjP12ihipStream_tbEUljE_EEESV_SW_SX_S14_S18_S1A_T6_T7_T9_mT8_S1C_bDpT10_ENKUlT_T0_E_clISt17integral_constantIbLb1EES1P_EEDaS1K_S1L_EUlS1K_E_NS1_11comp_targetILNS1_3genE4ELNS1_11target_archE910ELNS1_3gpuE8ELNS1_3repE0EEENS1_30default_config_static_selectorELNS0_4arch9wavefront6targetE0EEEvSY_ ; -- Begin function _ZN7rocprim17ROCPRIM_400000_NS6detail17trampoline_kernelINS0_13select_configILj256ELj13ELNS0_17block_load_methodE3ELS4_3ELS4_3ELNS0_20block_scan_algorithmE0ELj4294967295EEENS1_25partition_config_selectorILNS1_17partition_subalgoE3EjNS0_10empty_typeEbEEZZNS1_14partition_implILS8_3ELb0ES6_jNS0_17counting_iteratorIjlEEPS9_SE_NS0_5tupleIJPjSE_EEENSF_IJSE_SE_EEES9_SG_JZNS1_25segmented_radix_sort_implINS0_14default_configELb0EPKaPaPKlPlN2at6native12_GLOBAL__N_18offset_tEEE10hipError_tPvRmT1_PNSt15iterator_traitsISY_E10value_typeET2_T3_PNSZ_IS14_E10value_typeET4_jRbjT5_S1A_jjP12ihipStream_tbEUljE_EEESV_SW_SX_S14_S18_S1A_T6_T7_T9_mT8_S1C_bDpT10_ENKUlT_T0_E_clISt17integral_constantIbLb1EES1P_EEDaS1K_S1L_EUlS1K_E_NS1_11comp_targetILNS1_3genE4ELNS1_11target_archE910ELNS1_3gpuE8ELNS1_3repE0EEENS1_30default_config_static_selectorELNS0_4arch9wavefront6targetE0EEEvSY_
	.p2align	8
	.type	_ZN7rocprim17ROCPRIM_400000_NS6detail17trampoline_kernelINS0_13select_configILj256ELj13ELNS0_17block_load_methodE3ELS4_3ELS4_3ELNS0_20block_scan_algorithmE0ELj4294967295EEENS1_25partition_config_selectorILNS1_17partition_subalgoE3EjNS0_10empty_typeEbEEZZNS1_14partition_implILS8_3ELb0ES6_jNS0_17counting_iteratorIjlEEPS9_SE_NS0_5tupleIJPjSE_EEENSF_IJSE_SE_EEES9_SG_JZNS1_25segmented_radix_sort_implINS0_14default_configELb0EPKaPaPKlPlN2at6native12_GLOBAL__N_18offset_tEEE10hipError_tPvRmT1_PNSt15iterator_traitsISY_E10value_typeET2_T3_PNSZ_IS14_E10value_typeET4_jRbjT5_S1A_jjP12ihipStream_tbEUljE_EEESV_SW_SX_S14_S18_S1A_T6_T7_T9_mT8_S1C_bDpT10_ENKUlT_T0_E_clISt17integral_constantIbLb1EES1P_EEDaS1K_S1L_EUlS1K_E_NS1_11comp_targetILNS1_3genE4ELNS1_11target_archE910ELNS1_3gpuE8ELNS1_3repE0EEENS1_30default_config_static_selectorELNS0_4arch9wavefront6targetE0EEEvSY_,@function
_ZN7rocprim17ROCPRIM_400000_NS6detail17trampoline_kernelINS0_13select_configILj256ELj13ELNS0_17block_load_methodE3ELS4_3ELS4_3ELNS0_20block_scan_algorithmE0ELj4294967295EEENS1_25partition_config_selectorILNS1_17partition_subalgoE3EjNS0_10empty_typeEbEEZZNS1_14partition_implILS8_3ELb0ES6_jNS0_17counting_iteratorIjlEEPS9_SE_NS0_5tupleIJPjSE_EEENSF_IJSE_SE_EEES9_SG_JZNS1_25segmented_radix_sort_implINS0_14default_configELb0EPKaPaPKlPlN2at6native12_GLOBAL__N_18offset_tEEE10hipError_tPvRmT1_PNSt15iterator_traitsISY_E10value_typeET2_T3_PNSZ_IS14_E10value_typeET4_jRbjT5_S1A_jjP12ihipStream_tbEUljE_EEESV_SW_SX_S14_S18_S1A_T6_T7_T9_mT8_S1C_bDpT10_ENKUlT_T0_E_clISt17integral_constantIbLb1EES1P_EEDaS1K_S1L_EUlS1K_E_NS1_11comp_targetILNS1_3genE4ELNS1_11target_archE910ELNS1_3gpuE8ELNS1_3repE0EEENS1_30default_config_static_selectorELNS0_4arch9wavefront6targetE0EEEvSY_: ; @_ZN7rocprim17ROCPRIM_400000_NS6detail17trampoline_kernelINS0_13select_configILj256ELj13ELNS0_17block_load_methodE3ELS4_3ELS4_3ELNS0_20block_scan_algorithmE0ELj4294967295EEENS1_25partition_config_selectorILNS1_17partition_subalgoE3EjNS0_10empty_typeEbEEZZNS1_14partition_implILS8_3ELb0ES6_jNS0_17counting_iteratorIjlEEPS9_SE_NS0_5tupleIJPjSE_EEENSF_IJSE_SE_EEES9_SG_JZNS1_25segmented_radix_sort_implINS0_14default_configELb0EPKaPaPKlPlN2at6native12_GLOBAL__N_18offset_tEEE10hipError_tPvRmT1_PNSt15iterator_traitsISY_E10value_typeET2_T3_PNSZ_IS14_E10value_typeET4_jRbjT5_S1A_jjP12ihipStream_tbEUljE_EEESV_SW_SX_S14_S18_S1A_T6_T7_T9_mT8_S1C_bDpT10_ENKUlT_T0_E_clISt17integral_constantIbLb1EES1P_EEDaS1K_S1L_EUlS1K_E_NS1_11comp_targetILNS1_3genE4ELNS1_11target_archE910ELNS1_3gpuE8ELNS1_3repE0EEENS1_30default_config_static_selectorELNS0_4arch9wavefront6targetE0EEEvSY_
; %bb.0:
	.section	.rodata,"a",@progbits
	.p2align	6, 0x0
	.amdhsa_kernel _ZN7rocprim17ROCPRIM_400000_NS6detail17trampoline_kernelINS0_13select_configILj256ELj13ELNS0_17block_load_methodE3ELS4_3ELS4_3ELNS0_20block_scan_algorithmE0ELj4294967295EEENS1_25partition_config_selectorILNS1_17partition_subalgoE3EjNS0_10empty_typeEbEEZZNS1_14partition_implILS8_3ELb0ES6_jNS0_17counting_iteratorIjlEEPS9_SE_NS0_5tupleIJPjSE_EEENSF_IJSE_SE_EEES9_SG_JZNS1_25segmented_radix_sort_implINS0_14default_configELb0EPKaPaPKlPlN2at6native12_GLOBAL__N_18offset_tEEE10hipError_tPvRmT1_PNSt15iterator_traitsISY_E10value_typeET2_T3_PNSZ_IS14_E10value_typeET4_jRbjT5_S1A_jjP12ihipStream_tbEUljE_EEESV_SW_SX_S14_S18_S1A_T6_T7_T9_mT8_S1C_bDpT10_ENKUlT_T0_E_clISt17integral_constantIbLb1EES1P_EEDaS1K_S1L_EUlS1K_E_NS1_11comp_targetILNS1_3genE4ELNS1_11target_archE910ELNS1_3gpuE8ELNS1_3repE0EEENS1_30default_config_static_selectorELNS0_4arch9wavefront6targetE0EEEvSY_
		.amdhsa_group_segment_fixed_size 0
		.amdhsa_private_segment_fixed_size 0
		.amdhsa_kernarg_size 152
		.amdhsa_user_sgpr_count 15
		.amdhsa_user_sgpr_dispatch_ptr 0
		.amdhsa_user_sgpr_queue_ptr 0
		.amdhsa_user_sgpr_kernarg_segment_ptr 1
		.amdhsa_user_sgpr_dispatch_id 0
		.amdhsa_user_sgpr_private_segment_size 0
		.amdhsa_wavefront_size32 1
		.amdhsa_uses_dynamic_stack 0
		.amdhsa_enable_private_segment 0
		.amdhsa_system_sgpr_workgroup_id_x 1
		.amdhsa_system_sgpr_workgroup_id_y 0
		.amdhsa_system_sgpr_workgroup_id_z 0
		.amdhsa_system_sgpr_workgroup_info 0
		.amdhsa_system_vgpr_workitem_id 0
		.amdhsa_next_free_vgpr 1
		.amdhsa_next_free_sgpr 1
		.amdhsa_reserve_vcc 0
		.amdhsa_float_round_mode_32 0
		.amdhsa_float_round_mode_16_64 0
		.amdhsa_float_denorm_mode_32 3
		.amdhsa_float_denorm_mode_16_64 3
		.amdhsa_dx10_clamp 1
		.amdhsa_ieee_mode 1
		.amdhsa_fp16_overflow 0
		.amdhsa_workgroup_processor_mode 1
		.amdhsa_memory_ordered 1
		.amdhsa_forward_progress 0
		.amdhsa_shared_vgpr_count 0
		.amdhsa_exception_fp_ieee_invalid_op 0
		.amdhsa_exception_fp_denorm_src 0
		.amdhsa_exception_fp_ieee_div_zero 0
		.amdhsa_exception_fp_ieee_overflow 0
		.amdhsa_exception_fp_ieee_underflow 0
		.amdhsa_exception_fp_ieee_inexact 0
		.amdhsa_exception_int_div_zero 0
	.end_amdhsa_kernel
	.section	.text._ZN7rocprim17ROCPRIM_400000_NS6detail17trampoline_kernelINS0_13select_configILj256ELj13ELNS0_17block_load_methodE3ELS4_3ELS4_3ELNS0_20block_scan_algorithmE0ELj4294967295EEENS1_25partition_config_selectorILNS1_17partition_subalgoE3EjNS0_10empty_typeEbEEZZNS1_14partition_implILS8_3ELb0ES6_jNS0_17counting_iteratorIjlEEPS9_SE_NS0_5tupleIJPjSE_EEENSF_IJSE_SE_EEES9_SG_JZNS1_25segmented_radix_sort_implINS0_14default_configELb0EPKaPaPKlPlN2at6native12_GLOBAL__N_18offset_tEEE10hipError_tPvRmT1_PNSt15iterator_traitsISY_E10value_typeET2_T3_PNSZ_IS14_E10value_typeET4_jRbjT5_S1A_jjP12ihipStream_tbEUljE_EEESV_SW_SX_S14_S18_S1A_T6_T7_T9_mT8_S1C_bDpT10_ENKUlT_T0_E_clISt17integral_constantIbLb1EES1P_EEDaS1K_S1L_EUlS1K_E_NS1_11comp_targetILNS1_3genE4ELNS1_11target_archE910ELNS1_3gpuE8ELNS1_3repE0EEENS1_30default_config_static_selectorELNS0_4arch9wavefront6targetE0EEEvSY_,"axG",@progbits,_ZN7rocprim17ROCPRIM_400000_NS6detail17trampoline_kernelINS0_13select_configILj256ELj13ELNS0_17block_load_methodE3ELS4_3ELS4_3ELNS0_20block_scan_algorithmE0ELj4294967295EEENS1_25partition_config_selectorILNS1_17partition_subalgoE3EjNS0_10empty_typeEbEEZZNS1_14partition_implILS8_3ELb0ES6_jNS0_17counting_iteratorIjlEEPS9_SE_NS0_5tupleIJPjSE_EEENSF_IJSE_SE_EEES9_SG_JZNS1_25segmented_radix_sort_implINS0_14default_configELb0EPKaPaPKlPlN2at6native12_GLOBAL__N_18offset_tEEE10hipError_tPvRmT1_PNSt15iterator_traitsISY_E10value_typeET2_T3_PNSZ_IS14_E10value_typeET4_jRbjT5_S1A_jjP12ihipStream_tbEUljE_EEESV_SW_SX_S14_S18_S1A_T6_T7_T9_mT8_S1C_bDpT10_ENKUlT_T0_E_clISt17integral_constantIbLb1EES1P_EEDaS1K_S1L_EUlS1K_E_NS1_11comp_targetILNS1_3genE4ELNS1_11target_archE910ELNS1_3gpuE8ELNS1_3repE0EEENS1_30default_config_static_selectorELNS0_4arch9wavefront6targetE0EEEvSY_,comdat
.Lfunc_end371:
	.size	_ZN7rocprim17ROCPRIM_400000_NS6detail17trampoline_kernelINS0_13select_configILj256ELj13ELNS0_17block_load_methodE3ELS4_3ELS4_3ELNS0_20block_scan_algorithmE0ELj4294967295EEENS1_25partition_config_selectorILNS1_17partition_subalgoE3EjNS0_10empty_typeEbEEZZNS1_14partition_implILS8_3ELb0ES6_jNS0_17counting_iteratorIjlEEPS9_SE_NS0_5tupleIJPjSE_EEENSF_IJSE_SE_EEES9_SG_JZNS1_25segmented_radix_sort_implINS0_14default_configELb0EPKaPaPKlPlN2at6native12_GLOBAL__N_18offset_tEEE10hipError_tPvRmT1_PNSt15iterator_traitsISY_E10value_typeET2_T3_PNSZ_IS14_E10value_typeET4_jRbjT5_S1A_jjP12ihipStream_tbEUljE_EEESV_SW_SX_S14_S18_S1A_T6_T7_T9_mT8_S1C_bDpT10_ENKUlT_T0_E_clISt17integral_constantIbLb1EES1P_EEDaS1K_S1L_EUlS1K_E_NS1_11comp_targetILNS1_3genE4ELNS1_11target_archE910ELNS1_3gpuE8ELNS1_3repE0EEENS1_30default_config_static_selectorELNS0_4arch9wavefront6targetE0EEEvSY_, .Lfunc_end371-_ZN7rocprim17ROCPRIM_400000_NS6detail17trampoline_kernelINS0_13select_configILj256ELj13ELNS0_17block_load_methodE3ELS4_3ELS4_3ELNS0_20block_scan_algorithmE0ELj4294967295EEENS1_25partition_config_selectorILNS1_17partition_subalgoE3EjNS0_10empty_typeEbEEZZNS1_14partition_implILS8_3ELb0ES6_jNS0_17counting_iteratorIjlEEPS9_SE_NS0_5tupleIJPjSE_EEENSF_IJSE_SE_EEES9_SG_JZNS1_25segmented_radix_sort_implINS0_14default_configELb0EPKaPaPKlPlN2at6native12_GLOBAL__N_18offset_tEEE10hipError_tPvRmT1_PNSt15iterator_traitsISY_E10value_typeET2_T3_PNSZ_IS14_E10value_typeET4_jRbjT5_S1A_jjP12ihipStream_tbEUljE_EEESV_SW_SX_S14_S18_S1A_T6_T7_T9_mT8_S1C_bDpT10_ENKUlT_T0_E_clISt17integral_constantIbLb1EES1P_EEDaS1K_S1L_EUlS1K_E_NS1_11comp_targetILNS1_3genE4ELNS1_11target_archE910ELNS1_3gpuE8ELNS1_3repE0EEENS1_30default_config_static_selectorELNS0_4arch9wavefront6targetE0EEEvSY_
                                        ; -- End function
	.section	.AMDGPU.csdata,"",@progbits
; Kernel info:
; codeLenInByte = 0
; NumSgprs: 0
; NumVgprs: 0
; ScratchSize: 0
; MemoryBound: 0
; FloatMode: 240
; IeeeMode: 1
; LDSByteSize: 0 bytes/workgroup (compile time only)
; SGPRBlocks: 0
; VGPRBlocks: 0
; NumSGPRsForWavesPerEU: 1
; NumVGPRsForWavesPerEU: 1
; Occupancy: 16
; WaveLimiterHint : 0
; COMPUTE_PGM_RSRC2:SCRATCH_EN: 0
; COMPUTE_PGM_RSRC2:USER_SGPR: 15
; COMPUTE_PGM_RSRC2:TRAP_HANDLER: 0
; COMPUTE_PGM_RSRC2:TGID_X_EN: 1
; COMPUTE_PGM_RSRC2:TGID_Y_EN: 0
; COMPUTE_PGM_RSRC2:TGID_Z_EN: 0
; COMPUTE_PGM_RSRC2:TIDIG_COMP_CNT: 0
	.section	.text._ZN7rocprim17ROCPRIM_400000_NS6detail17trampoline_kernelINS0_13select_configILj256ELj13ELNS0_17block_load_methodE3ELS4_3ELS4_3ELNS0_20block_scan_algorithmE0ELj4294967295EEENS1_25partition_config_selectorILNS1_17partition_subalgoE3EjNS0_10empty_typeEbEEZZNS1_14partition_implILS8_3ELb0ES6_jNS0_17counting_iteratorIjlEEPS9_SE_NS0_5tupleIJPjSE_EEENSF_IJSE_SE_EEES9_SG_JZNS1_25segmented_radix_sort_implINS0_14default_configELb0EPKaPaPKlPlN2at6native12_GLOBAL__N_18offset_tEEE10hipError_tPvRmT1_PNSt15iterator_traitsISY_E10value_typeET2_T3_PNSZ_IS14_E10value_typeET4_jRbjT5_S1A_jjP12ihipStream_tbEUljE_EEESV_SW_SX_S14_S18_S1A_T6_T7_T9_mT8_S1C_bDpT10_ENKUlT_T0_E_clISt17integral_constantIbLb1EES1P_EEDaS1K_S1L_EUlS1K_E_NS1_11comp_targetILNS1_3genE3ELNS1_11target_archE908ELNS1_3gpuE7ELNS1_3repE0EEENS1_30default_config_static_selectorELNS0_4arch9wavefront6targetE0EEEvSY_,"axG",@progbits,_ZN7rocprim17ROCPRIM_400000_NS6detail17trampoline_kernelINS0_13select_configILj256ELj13ELNS0_17block_load_methodE3ELS4_3ELS4_3ELNS0_20block_scan_algorithmE0ELj4294967295EEENS1_25partition_config_selectorILNS1_17partition_subalgoE3EjNS0_10empty_typeEbEEZZNS1_14partition_implILS8_3ELb0ES6_jNS0_17counting_iteratorIjlEEPS9_SE_NS0_5tupleIJPjSE_EEENSF_IJSE_SE_EEES9_SG_JZNS1_25segmented_radix_sort_implINS0_14default_configELb0EPKaPaPKlPlN2at6native12_GLOBAL__N_18offset_tEEE10hipError_tPvRmT1_PNSt15iterator_traitsISY_E10value_typeET2_T3_PNSZ_IS14_E10value_typeET4_jRbjT5_S1A_jjP12ihipStream_tbEUljE_EEESV_SW_SX_S14_S18_S1A_T6_T7_T9_mT8_S1C_bDpT10_ENKUlT_T0_E_clISt17integral_constantIbLb1EES1P_EEDaS1K_S1L_EUlS1K_E_NS1_11comp_targetILNS1_3genE3ELNS1_11target_archE908ELNS1_3gpuE7ELNS1_3repE0EEENS1_30default_config_static_selectorELNS0_4arch9wavefront6targetE0EEEvSY_,comdat
	.globl	_ZN7rocprim17ROCPRIM_400000_NS6detail17trampoline_kernelINS0_13select_configILj256ELj13ELNS0_17block_load_methodE3ELS4_3ELS4_3ELNS0_20block_scan_algorithmE0ELj4294967295EEENS1_25partition_config_selectorILNS1_17partition_subalgoE3EjNS0_10empty_typeEbEEZZNS1_14partition_implILS8_3ELb0ES6_jNS0_17counting_iteratorIjlEEPS9_SE_NS0_5tupleIJPjSE_EEENSF_IJSE_SE_EEES9_SG_JZNS1_25segmented_radix_sort_implINS0_14default_configELb0EPKaPaPKlPlN2at6native12_GLOBAL__N_18offset_tEEE10hipError_tPvRmT1_PNSt15iterator_traitsISY_E10value_typeET2_T3_PNSZ_IS14_E10value_typeET4_jRbjT5_S1A_jjP12ihipStream_tbEUljE_EEESV_SW_SX_S14_S18_S1A_T6_T7_T9_mT8_S1C_bDpT10_ENKUlT_T0_E_clISt17integral_constantIbLb1EES1P_EEDaS1K_S1L_EUlS1K_E_NS1_11comp_targetILNS1_3genE3ELNS1_11target_archE908ELNS1_3gpuE7ELNS1_3repE0EEENS1_30default_config_static_selectorELNS0_4arch9wavefront6targetE0EEEvSY_ ; -- Begin function _ZN7rocprim17ROCPRIM_400000_NS6detail17trampoline_kernelINS0_13select_configILj256ELj13ELNS0_17block_load_methodE3ELS4_3ELS4_3ELNS0_20block_scan_algorithmE0ELj4294967295EEENS1_25partition_config_selectorILNS1_17partition_subalgoE3EjNS0_10empty_typeEbEEZZNS1_14partition_implILS8_3ELb0ES6_jNS0_17counting_iteratorIjlEEPS9_SE_NS0_5tupleIJPjSE_EEENSF_IJSE_SE_EEES9_SG_JZNS1_25segmented_radix_sort_implINS0_14default_configELb0EPKaPaPKlPlN2at6native12_GLOBAL__N_18offset_tEEE10hipError_tPvRmT1_PNSt15iterator_traitsISY_E10value_typeET2_T3_PNSZ_IS14_E10value_typeET4_jRbjT5_S1A_jjP12ihipStream_tbEUljE_EEESV_SW_SX_S14_S18_S1A_T6_T7_T9_mT8_S1C_bDpT10_ENKUlT_T0_E_clISt17integral_constantIbLb1EES1P_EEDaS1K_S1L_EUlS1K_E_NS1_11comp_targetILNS1_3genE3ELNS1_11target_archE908ELNS1_3gpuE7ELNS1_3repE0EEENS1_30default_config_static_selectorELNS0_4arch9wavefront6targetE0EEEvSY_
	.p2align	8
	.type	_ZN7rocprim17ROCPRIM_400000_NS6detail17trampoline_kernelINS0_13select_configILj256ELj13ELNS0_17block_load_methodE3ELS4_3ELS4_3ELNS0_20block_scan_algorithmE0ELj4294967295EEENS1_25partition_config_selectorILNS1_17partition_subalgoE3EjNS0_10empty_typeEbEEZZNS1_14partition_implILS8_3ELb0ES6_jNS0_17counting_iteratorIjlEEPS9_SE_NS0_5tupleIJPjSE_EEENSF_IJSE_SE_EEES9_SG_JZNS1_25segmented_radix_sort_implINS0_14default_configELb0EPKaPaPKlPlN2at6native12_GLOBAL__N_18offset_tEEE10hipError_tPvRmT1_PNSt15iterator_traitsISY_E10value_typeET2_T3_PNSZ_IS14_E10value_typeET4_jRbjT5_S1A_jjP12ihipStream_tbEUljE_EEESV_SW_SX_S14_S18_S1A_T6_T7_T9_mT8_S1C_bDpT10_ENKUlT_T0_E_clISt17integral_constantIbLb1EES1P_EEDaS1K_S1L_EUlS1K_E_NS1_11comp_targetILNS1_3genE3ELNS1_11target_archE908ELNS1_3gpuE7ELNS1_3repE0EEENS1_30default_config_static_selectorELNS0_4arch9wavefront6targetE0EEEvSY_,@function
_ZN7rocprim17ROCPRIM_400000_NS6detail17trampoline_kernelINS0_13select_configILj256ELj13ELNS0_17block_load_methodE3ELS4_3ELS4_3ELNS0_20block_scan_algorithmE0ELj4294967295EEENS1_25partition_config_selectorILNS1_17partition_subalgoE3EjNS0_10empty_typeEbEEZZNS1_14partition_implILS8_3ELb0ES6_jNS0_17counting_iteratorIjlEEPS9_SE_NS0_5tupleIJPjSE_EEENSF_IJSE_SE_EEES9_SG_JZNS1_25segmented_radix_sort_implINS0_14default_configELb0EPKaPaPKlPlN2at6native12_GLOBAL__N_18offset_tEEE10hipError_tPvRmT1_PNSt15iterator_traitsISY_E10value_typeET2_T3_PNSZ_IS14_E10value_typeET4_jRbjT5_S1A_jjP12ihipStream_tbEUljE_EEESV_SW_SX_S14_S18_S1A_T6_T7_T9_mT8_S1C_bDpT10_ENKUlT_T0_E_clISt17integral_constantIbLb1EES1P_EEDaS1K_S1L_EUlS1K_E_NS1_11comp_targetILNS1_3genE3ELNS1_11target_archE908ELNS1_3gpuE7ELNS1_3repE0EEENS1_30default_config_static_selectorELNS0_4arch9wavefront6targetE0EEEvSY_: ; @_ZN7rocprim17ROCPRIM_400000_NS6detail17trampoline_kernelINS0_13select_configILj256ELj13ELNS0_17block_load_methodE3ELS4_3ELS4_3ELNS0_20block_scan_algorithmE0ELj4294967295EEENS1_25partition_config_selectorILNS1_17partition_subalgoE3EjNS0_10empty_typeEbEEZZNS1_14partition_implILS8_3ELb0ES6_jNS0_17counting_iteratorIjlEEPS9_SE_NS0_5tupleIJPjSE_EEENSF_IJSE_SE_EEES9_SG_JZNS1_25segmented_radix_sort_implINS0_14default_configELb0EPKaPaPKlPlN2at6native12_GLOBAL__N_18offset_tEEE10hipError_tPvRmT1_PNSt15iterator_traitsISY_E10value_typeET2_T3_PNSZ_IS14_E10value_typeET4_jRbjT5_S1A_jjP12ihipStream_tbEUljE_EEESV_SW_SX_S14_S18_S1A_T6_T7_T9_mT8_S1C_bDpT10_ENKUlT_T0_E_clISt17integral_constantIbLb1EES1P_EEDaS1K_S1L_EUlS1K_E_NS1_11comp_targetILNS1_3genE3ELNS1_11target_archE908ELNS1_3gpuE7ELNS1_3repE0EEENS1_30default_config_static_selectorELNS0_4arch9wavefront6targetE0EEEvSY_
; %bb.0:
	.section	.rodata,"a",@progbits
	.p2align	6, 0x0
	.amdhsa_kernel _ZN7rocprim17ROCPRIM_400000_NS6detail17trampoline_kernelINS0_13select_configILj256ELj13ELNS0_17block_load_methodE3ELS4_3ELS4_3ELNS0_20block_scan_algorithmE0ELj4294967295EEENS1_25partition_config_selectorILNS1_17partition_subalgoE3EjNS0_10empty_typeEbEEZZNS1_14partition_implILS8_3ELb0ES6_jNS0_17counting_iteratorIjlEEPS9_SE_NS0_5tupleIJPjSE_EEENSF_IJSE_SE_EEES9_SG_JZNS1_25segmented_radix_sort_implINS0_14default_configELb0EPKaPaPKlPlN2at6native12_GLOBAL__N_18offset_tEEE10hipError_tPvRmT1_PNSt15iterator_traitsISY_E10value_typeET2_T3_PNSZ_IS14_E10value_typeET4_jRbjT5_S1A_jjP12ihipStream_tbEUljE_EEESV_SW_SX_S14_S18_S1A_T6_T7_T9_mT8_S1C_bDpT10_ENKUlT_T0_E_clISt17integral_constantIbLb1EES1P_EEDaS1K_S1L_EUlS1K_E_NS1_11comp_targetILNS1_3genE3ELNS1_11target_archE908ELNS1_3gpuE7ELNS1_3repE0EEENS1_30default_config_static_selectorELNS0_4arch9wavefront6targetE0EEEvSY_
		.amdhsa_group_segment_fixed_size 0
		.amdhsa_private_segment_fixed_size 0
		.amdhsa_kernarg_size 152
		.amdhsa_user_sgpr_count 15
		.amdhsa_user_sgpr_dispatch_ptr 0
		.amdhsa_user_sgpr_queue_ptr 0
		.amdhsa_user_sgpr_kernarg_segment_ptr 1
		.amdhsa_user_sgpr_dispatch_id 0
		.amdhsa_user_sgpr_private_segment_size 0
		.amdhsa_wavefront_size32 1
		.amdhsa_uses_dynamic_stack 0
		.amdhsa_enable_private_segment 0
		.amdhsa_system_sgpr_workgroup_id_x 1
		.amdhsa_system_sgpr_workgroup_id_y 0
		.amdhsa_system_sgpr_workgroup_id_z 0
		.amdhsa_system_sgpr_workgroup_info 0
		.amdhsa_system_vgpr_workitem_id 0
		.amdhsa_next_free_vgpr 1
		.amdhsa_next_free_sgpr 1
		.amdhsa_reserve_vcc 0
		.amdhsa_float_round_mode_32 0
		.amdhsa_float_round_mode_16_64 0
		.amdhsa_float_denorm_mode_32 3
		.amdhsa_float_denorm_mode_16_64 3
		.amdhsa_dx10_clamp 1
		.amdhsa_ieee_mode 1
		.amdhsa_fp16_overflow 0
		.amdhsa_workgroup_processor_mode 1
		.amdhsa_memory_ordered 1
		.amdhsa_forward_progress 0
		.amdhsa_shared_vgpr_count 0
		.amdhsa_exception_fp_ieee_invalid_op 0
		.amdhsa_exception_fp_denorm_src 0
		.amdhsa_exception_fp_ieee_div_zero 0
		.amdhsa_exception_fp_ieee_overflow 0
		.amdhsa_exception_fp_ieee_underflow 0
		.amdhsa_exception_fp_ieee_inexact 0
		.amdhsa_exception_int_div_zero 0
	.end_amdhsa_kernel
	.section	.text._ZN7rocprim17ROCPRIM_400000_NS6detail17trampoline_kernelINS0_13select_configILj256ELj13ELNS0_17block_load_methodE3ELS4_3ELS4_3ELNS0_20block_scan_algorithmE0ELj4294967295EEENS1_25partition_config_selectorILNS1_17partition_subalgoE3EjNS0_10empty_typeEbEEZZNS1_14partition_implILS8_3ELb0ES6_jNS0_17counting_iteratorIjlEEPS9_SE_NS0_5tupleIJPjSE_EEENSF_IJSE_SE_EEES9_SG_JZNS1_25segmented_radix_sort_implINS0_14default_configELb0EPKaPaPKlPlN2at6native12_GLOBAL__N_18offset_tEEE10hipError_tPvRmT1_PNSt15iterator_traitsISY_E10value_typeET2_T3_PNSZ_IS14_E10value_typeET4_jRbjT5_S1A_jjP12ihipStream_tbEUljE_EEESV_SW_SX_S14_S18_S1A_T6_T7_T9_mT8_S1C_bDpT10_ENKUlT_T0_E_clISt17integral_constantIbLb1EES1P_EEDaS1K_S1L_EUlS1K_E_NS1_11comp_targetILNS1_3genE3ELNS1_11target_archE908ELNS1_3gpuE7ELNS1_3repE0EEENS1_30default_config_static_selectorELNS0_4arch9wavefront6targetE0EEEvSY_,"axG",@progbits,_ZN7rocprim17ROCPRIM_400000_NS6detail17trampoline_kernelINS0_13select_configILj256ELj13ELNS0_17block_load_methodE3ELS4_3ELS4_3ELNS0_20block_scan_algorithmE0ELj4294967295EEENS1_25partition_config_selectorILNS1_17partition_subalgoE3EjNS0_10empty_typeEbEEZZNS1_14partition_implILS8_3ELb0ES6_jNS0_17counting_iteratorIjlEEPS9_SE_NS0_5tupleIJPjSE_EEENSF_IJSE_SE_EEES9_SG_JZNS1_25segmented_radix_sort_implINS0_14default_configELb0EPKaPaPKlPlN2at6native12_GLOBAL__N_18offset_tEEE10hipError_tPvRmT1_PNSt15iterator_traitsISY_E10value_typeET2_T3_PNSZ_IS14_E10value_typeET4_jRbjT5_S1A_jjP12ihipStream_tbEUljE_EEESV_SW_SX_S14_S18_S1A_T6_T7_T9_mT8_S1C_bDpT10_ENKUlT_T0_E_clISt17integral_constantIbLb1EES1P_EEDaS1K_S1L_EUlS1K_E_NS1_11comp_targetILNS1_3genE3ELNS1_11target_archE908ELNS1_3gpuE7ELNS1_3repE0EEENS1_30default_config_static_selectorELNS0_4arch9wavefront6targetE0EEEvSY_,comdat
.Lfunc_end372:
	.size	_ZN7rocprim17ROCPRIM_400000_NS6detail17trampoline_kernelINS0_13select_configILj256ELj13ELNS0_17block_load_methodE3ELS4_3ELS4_3ELNS0_20block_scan_algorithmE0ELj4294967295EEENS1_25partition_config_selectorILNS1_17partition_subalgoE3EjNS0_10empty_typeEbEEZZNS1_14partition_implILS8_3ELb0ES6_jNS0_17counting_iteratorIjlEEPS9_SE_NS0_5tupleIJPjSE_EEENSF_IJSE_SE_EEES9_SG_JZNS1_25segmented_radix_sort_implINS0_14default_configELb0EPKaPaPKlPlN2at6native12_GLOBAL__N_18offset_tEEE10hipError_tPvRmT1_PNSt15iterator_traitsISY_E10value_typeET2_T3_PNSZ_IS14_E10value_typeET4_jRbjT5_S1A_jjP12ihipStream_tbEUljE_EEESV_SW_SX_S14_S18_S1A_T6_T7_T9_mT8_S1C_bDpT10_ENKUlT_T0_E_clISt17integral_constantIbLb1EES1P_EEDaS1K_S1L_EUlS1K_E_NS1_11comp_targetILNS1_3genE3ELNS1_11target_archE908ELNS1_3gpuE7ELNS1_3repE0EEENS1_30default_config_static_selectorELNS0_4arch9wavefront6targetE0EEEvSY_, .Lfunc_end372-_ZN7rocprim17ROCPRIM_400000_NS6detail17trampoline_kernelINS0_13select_configILj256ELj13ELNS0_17block_load_methodE3ELS4_3ELS4_3ELNS0_20block_scan_algorithmE0ELj4294967295EEENS1_25partition_config_selectorILNS1_17partition_subalgoE3EjNS0_10empty_typeEbEEZZNS1_14partition_implILS8_3ELb0ES6_jNS0_17counting_iteratorIjlEEPS9_SE_NS0_5tupleIJPjSE_EEENSF_IJSE_SE_EEES9_SG_JZNS1_25segmented_radix_sort_implINS0_14default_configELb0EPKaPaPKlPlN2at6native12_GLOBAL__N_18offset_tEEE10hipError_tPvRmT1_PNSt15iterator_traitsISY_E10value_typeET2_T3_PNSZ_IS14_E10value_typeET4_jRbjT5_S1A_jjP12ihipStream_tbEUljE_EEESV_SW_SX_S14_S18_S1A_T6_T7_T9_mT8_S1C_bDpT10_ENKUlT_T0_E_clISt17integral_constantIbLb1EES1P_EEDaS1K_S1L_EUlS1K_E_NS1_11comp_targetILNS1_3genE3ELNS1_11target_archE908ELNS1_3gpuE7ELNS1_3repE0EEENS1_30default_config_static_selectorELNS0_4arch9wavefront6targetE0EEEvSY_
                                        ; -- End function
	.section	.AMDGPU.csdata,"",@progbits
; Kernel info:
; codeLenInByte = 0
; NumSgprs: 0
; NumVgprs: 0
; ScratchSize: 0
; MemoryBound: 0
; FloatMode: 240
; IeeeMode: 1
; LDSByteSize: 0 bytes/workgroup (compile time only)
; SGPRBlocks: 0
; VGPRBlocks: 0
; NumSGPRsForWavesPerEU: 1
; NumVGPRsForWavesPerEU: 1
; Occupancy: 16
; WaveLimiterHint : 0
; COMPUTE_PGM_RSRC2:SCRATCH_EN: 0
; COMPUTE_PGM_RSRC2:USER_SGPR: 15
; COMPUTE_PGM_RSRC2:TRAP_HANDLER: 0
; COMPUTE_PGM_RSRC2:TGID_X_EN: 1
; COMPUTE_PGM_RSRC2:TGID_Y_EN: 0
; COMPUTE_PGM_RSRC2:TGID_Z_EN: 0
; COMPUTE_PGM_RSRC2:TIDIG_COMP_CNT: 0
	.section	.text._ZN7rocprim17ROCPRIM_400000_NS6detail17trampoline_kernelINS0_13select_configILj256ELj13ELNS0_17block_load_methodE3ELS4_3ELS4_3ELNS0_20block_scan_algorithmE0ELj4294967295EEENS1_25partition_config_selectorILNS1_17partition_subalgoE3EjNS0_10empty_typeEbEEZZNS1_14partition_implILS8_3ELb0ES6_jNS0_17counting_iteratorIjlEEPS9_SE_NS0_5tupleIJPjSE_EEENSF_IJSE_SE_EEES9_SG_JZNS1_25segmented_radix_sort_implINS0_14default_configELb0EPKaPaPKlPlN2at6native12_GLOBAL__N_18offset_tEEE10hipError_tPvRmT1_PNSt15iterator_traitsISY_E10value_typeET2_T3_PNSZ_IS14_E10value_typeET4_jRbjT5_S1A_jjP12ihipStream_tbEUljE_EEESV_SW_SX_S14_S18_S1A_T6_T7_T9_mT8_S1C_bDpT10_ENKUlT_T0_E_clISt17integral_constantIbLb1EES1P_EEDaS1K_S1L_EUlS1K_E_NS1_11comp_targetILNS1_3genE2ELNS1_11target_archE906ELNS1_3gpuE6ELNS1_3repE0EEENS1_30default_config_static_selectorELNS0_4arch9wavefront6targetE0EEEvSY_,"axG",@progbits,_ZN7rocprim17ROCPRIM_400000_NS6detail17trampoline_kernelINS0_13select_configILj256ELj13ELNS0_17block_load_methodE3ELS4_3ELS4_3ELNS0_20block_scan_algorithmE0ELj4294967295EEENS1_25partition_config_selectorILNS1_17partition_subalgoE3EjNS0_10empty_typeEbEEZZNS1_14partition_implILS8_3ELb0ES6_jNS0_17counting_iteratorIjlEEPS9_SE_NS0_5tupleIJPjSE_EEENSF_IJSE_SE_EEES9_SG_JZNS1_25segmented_radix_sort_implINS0_14default_configELb0EPKaPaPKlPlN2at6native12_GLOBAL__N_18offset_tEEE10hipError_tPvRmT1_PNSt15iterator_traitsISY_E10value_typeET2_T3_PNSZ_IS14_E10value_typeET4_jRbjT5_S1A_jjP12ihipStream_tbEUljE_EEESV_SW_SX_S14_S18_S1A_T6_T7_T9_mT8_S1C_bDpT10_ENKUlT_T0_E_clISt17integral_constantIbLb1EES1P_EEDaS1K_S1L_EUlS1K_E_NS1_11comp_targetILNS1_3genE2ELNS1_11target_archE906ELNS1_3gpuE6ELNS1_3repE0EEENS1_30default_config_static_selectorELNS0_4arch9wavefront6targetE0EEEvSY_,comdat
	.globl	_ZN7rocprim17ROCPRIM_400000_NS6detail17trampoline_kernelINS0_13select_configILj256ELj13ELNS0_17block_load_methodE3ELS4_3ELS4_3ELNS0_20block_scan_algorithmE0ELj4294967295EEENS1_25partition_config_selectorILNS1_17partition_subalgoE3EjNS0_10empty_typeEbEEZZNS1_14partition_implILS8_3ELb0ES6_jNS0_17counting_iteratorIjlEEPS9_SE_NS0_5tupleIJPjSE_EEENSF_IJSE_SE_EEES9_SG_JZNS1_25segmented_radix_sort_implINS0_14default_configELb0EPKaPaPKlPlN2at6native12_GLOBAL__N_18offset_tEEE10hipError_tPvRmT1_PNSt15iterator_traitsISY_E10value_typeET2_T3_PNSZ_IS14_E10value_typeET4_jRbjT5_S1A_jjP12ihipStream_tbEUljE_EEESV_SW_SX_S14_S18_S1A_T6_T7_T9_mT8_S1C_bDpT10_ENKUlT_T0_E_clISt17integral_constantIbLb1EES1P_EEDaS1K_S1L_EUlS1K_E_NS1_11comp_targetILNS1_3genE2ELNS1_11target_archE906ELNS1_3gpuE6ELNS1_3repE0EEENS1_30default_config_static_selectorELNS0_4arch9wavefront6targetE0EEEvSY_ ; -- Begin function _ZN7rocprim17ROCPRIM_400000_NS6detail17trampoline_kernelINS0_13select_configILj256ELj13ELNS0_17block_load_methodE3ELS4_3ELS4_3ELNS0_20block_scan_algorithmE0ELj4294967295EEENS1_25partition_config_selectorILNS1_17partition_subalgoE3EjNS0_10empty_typeEbEEZZNS1_14partition_implILS8_3ELb0ES6_jNS0_17counting_iteratorIjlEEPS9_SE_NS0_5tupleIJPjSE_EEENSF_IJSE_SE_EEES9_SG_JZNS1_25segmented_radix_sort_implINS0_14default_configELb0EPKaPaPKlPlN2at6native12_GLOBAL__N_18offset_tEEE10hipError_tPvRmT1_PNSt15iterator_traitsISY_E10value_typeET2_T3_PNSZ_IS14_E10value_typeET4_jRbjT5_S1A_jjP12ihipStream_tbEUljE_EEESV_SW_SX_S14_S18_S1A_T6_T7_T9_mT8_S1C_bDpT10_ENKUlT_T0_E_clISt17integral_constantIbLb1EES1P_EEDaS1K_S1L_EUlS1K_E_NS1_11comp_targetILNS1_3genE2ELNS1_11target_archE906ELNS1_3gpuE6ELNS1_3repE0EEENS1_30default_config_static_selectorELNS0_4arch9wavefront6targetE0EEEvSY_
	.p2align	8
	.type	_ZN7rocprim17ROCPRIM_400000_NS6detail17trampoline_kernelINS0_13select_configILj256ELj13ELNS0_17block_load_methodE3ELS4_3ELS4_3ELNS0_20block_scan_algorithmE0ELj4294967295EEENS1_25partition_config_selectorILNS1_17partition_subalgoE3EjNS0_10empty_typeEbEEZZNS1_14partition_implILS8_3ELb0ES6_jNS0_17counting_iteratorIjlEEPS9_SE_NS0_5tupleIJPjSE_EEENSF_IJSE_SE_EEES9_SG_JZNS1_25segmented_radix_sort_implINS0_14default_configELb0EPKaPaPKlPlN2at6native12_GLOBAL__N_18offset_tEEE10hipError_tPvRmT1_PNSt15iterator_traitsISY_E10value_typeET2_T3_PNSZ_IS14_E10value_typeET4_jRbjT5_S1A_jjP12ihipStream_tbEUljE_EEESV_SW_SX_S14_S18_S1A_T6_T7_T9_mT8_S1C_bDpT10_ENKUlT_T0_E_clISt17integral_constantIbLb1EES1P_EEDaS1K_S1L_EUlS1K_E_NS1_11comp_targetILNS1_3genE2ELNS1_11target_archE906ELNS1_3gpuE6ELNS1_3repE0EEENS1_30default_config_static_selectorELNS0_4arch9wavefront6targetE0EEEvSY_,@function
_ZN7rocprim17ROCPRIM_400000_NS6detail17trampoline_kernelINS0_13select_configILj256ELj13ELNS0_17block_load_methodE3ELS4_3ELS4_3ELNS0_20block_scan_algorithmE0ELj4294967295EEENS1_25partition_config_selectorILNS1_17partition_subalgoE3EjNS0_10empty_typeEbEEZZNS1_14partition_implILS8_3ELb0ES6_jNS0_17counting_iteratorIjlEEPS9_SE_NS0_5tupleIJPjSE_EEENSF_IJSE_SE_EEES9_SG_JZNS1_25segmented_radix_sort_implINS0_14default_configELb0EPKaPaPKlPlN2at6native12_GLOBAL__N_18offset_tEEE10hipError_tPvRmT1_PNSt15iterator_traitsISY_E10value_typeET2_T3_PNSZ_IS14_E10value_typeET4_jRbjT5_S1A_jjP12ihipStream_tbEUljE_EEESV_SW_SX_S14_S18_S1A_T6_T7_T9_mT8_S1C_bDpT10_ENKUlT_T0_E_clISt17integral_constantIbLb1EES1P_EEDaS1K_S1L_EUlS1K_E_NS1_11comp_targetILNS1_3genE2ELNS1_11target_archE906ELNS1_3gpuE6ELNS1_3repE0EEENS1_30default_config_static_selectorELNS0_4arch9wavefront6targetE0EEEvSY_: ; @_ZN7rocprim17ROCPRIM_400000_NS6detail17trampoline_kernelINS0_13select_configILj256ELj13ELNS0_17block_load_methodE3ELS4_3ELS4_3ELNS0_20block_scan_algorithmE0ELj4294967295EEENS1_25partition_config_selectorILNS1_17partition_subalgoE3EjNS0_10empty_typeEbEEZZNS1_14partition_implILS8_3ELb0ES6_jNS0_17counting_iteratorIjlEEPS9_SE_NS0_5tupleIJPjSE_EEENSF_IJSE_SE_EEES9_SG_JZNS1_25segmented_radix_sort_implINS0_14default_configELb0EPKaPaPKlPlN2at6native12_GLOBAL__N_18offset_tEEE10hipError_tPvRmT1_PNSt15iterator_traitsISY_E10value_typeET2_T3_PNSZ_IS14_E10value_typeET4_jRbjT5_S1A_jjP12ihipStream_tbEUljE_EEESV_SW_SX_S14_S18_S1A_T6_T7_T9_mT8_S1C_bDpT10_ENKUlT_T0_E_clISt17integral_constantIbLb1EES1P_EEDaS1K_S1L_EUlS1K_E_NS1_11comp_targetILNS1_3genE2ELNS1_11target_archE906ELNS1_3gpuE6ELNS1_3repE0EEENS1_30default_config_static_selectorELNS0_4arch9wavefront6targetE0EEEvSY_
; %bb.0:
	.section	.rodata,"a",@progbits
	.p2align	6, 0x0
	.amdhsa_kernel _ZN7rocprim17ROCPRIM_400000_NS6detail17trampoline_kernelINS0_13select_configILj256ELj13ELNS0_17block_load_methodE3ELS4_3ELS4_3ELNS0_20block_scan_algorithmE0ELj4294967295EEENS1_25partition_config_selectorILNS1_17partition_subalgoE3EjNS0_10empty_typeEbEEZZNS1_14partition_implILS8_3ELb0ES6_jNS0_17counting_iteratorIjlEEPS9_SE_NS0_5tupleIJPjSE_EEENSF_IJSE_SE_EEES9_SG_JZNS1_25segmented_radix_sort_implINS0_14default_configELb0EPKaPaPKlPlN2at6native12_GLOBAL__N_18offset_tEEE10hipError_tPvRmT1_PNSt15iterator_traitsISY_E10value_typeET2_T3_PNSZ_IS14_E10value_typeET4_jRbjT5_S1A_jjP12ihipStream_tbEUljE_EEESV_SW_SX_S14_S18_S1A_T6_T7_T9_mT8_S1C_bDpT10_ENKUlT_T0_E_clISt17integral_constantIbLb1EES1P_EEDaS1K_S1L_EUlS1K_E_NS1_11comp_targetILNS1_3genE2ELNS1_11target_archE906ELNS1_3gpuE6ELNS1_3repE0EEENS1_30default_config_static_selectorELNS0_4arch9wavefront6targetE0EEEvSY_
		.amdhsa_group_segment_fixed_size 0
		.amdhsa_private_segment_fixed_size 0
		.amdhsa_kernarg_size 152
		.amdhsa_user_sgpr_count 15
		.amdhsa_user_sgpr_dispatch_ptr 0
		.amdhsa_user_sgpr_queue_ptr 0
		.amdhsa_user_sgpr_kernarg_segment_ptr 1
		.amdhsa_user_sgpr_dispatch_id 0
		.amdhsa_user_sgpr_private_segment_size 0
		.amdhsa_wavefront_size32 1
		.amdhsa_uses_dynamic_stack 0
		.amdhsa_enable_private_segment 0
		.amdhsa_system_sgpr_workgroup_id_x 1
		.amdhsa_system_sgpr_workgroup_id_y 0
		.amdhsa_system_sgpr_workgroup_id_z 0
		.amdhsa_system_sgpr_workgroup_info 0
		.amdhsa_system_vgpr_workitem_id 0
		.amdhsa_next_free_vgpr 1
		.amdhsa_next_free_sgpr 1
		.amdhsa_reserve_vcc 0
		.amdhsa_float_round_mode_32 0
		.amdhsa_float_round_mode_16_64 0
		.amdhsa_float_denorm_mode_32 3
		.amdhsa_float_denorm_mode_16_64 3
		.amdhsa_dx10_clamp 1
		.amdhsa_ieee_mode 1
		.amdhsa_fp16_overflow 0
		.amdhsa_workgroup_processor_mode 1
		.amdhsa_memory_ordered 1
		.amdhsa_forward_progress 0
		.amdhsa_shared_vgpr_count 0
		.amdhsa_exception_fp_ieee_invalid_op 0
		.amdhsa_exception_fp_denorm_src 0
		.amdhsa_exception_fp_ieee_div_zero 0
		.amdhsa_exception_fp_ieee_overflow 0
		.amdhsa_exception_fp_ieee_underflow 0
		.amdhsa_exception_fp_ieee_inexact 0
		.amdhsa_exception_int_div_zero 0
	.end_amdhsa_kernel
	.section	.text._ZN7rocprim17ROCPRIM_400000_NS6detail17trampoline_kernelINS0_13select_configILj256ELj13ELNS0_17block_load_methodE3ELS4_3ELS4_3ELNS0_20block_scan_algorithmE0ELj4294967295EEENS1_25partition_config_selectorILNS1_17partition_subalgoE3EjNS0_10empty_typeEbEEZZNS1_14partition_implILS8_3ELb0ES6_jNS0_17counting_iteratorIjlEEPS9_SE_NS0_5tupleIJPjSE_EEENSF_IJSE_SE_EEES9_SG_JZNS1_25segmented_radix_sort_implINS0_14default_configELb0EPKaPaPKlPlN2at6native12_GLOBAL__N_18offset_tEEE10hipError_tPvRmT1_PNSt15iterator_traitsISY_E10value_typeET2_T3_PNSZ_IS14_E10value_typeET4_jRbjT5_S1A_jjP12ihipStream_tbEUljE_EEESV_SW_SX_S14_S18_S1A_T6_T7_T9_mT8_S1C_bDpT10_ENKUlT_T0_E_clISt17integral_constantIbLb1EES1P_EEDaS1K_S1L_EUlS1K_E_NS1_11comp_targetILNS1_3genE2ELNS1_11target_archE906ELNS1_3gpuE6ELNS1_3repE0EEENS1_30default_config_static_selectorELNS0_4arch9wavefront6targetE0EEEvSY_,"axG",@progbits,_ZN7rocprim17ROCPRIM_400000_NS6detail17trampoline_kernelINS0_13select_configILj256ELj13ELNS0_17block_load_methodE3ELS4_3ELS4_3ELNS0_20block_scan_algorithmE0ELj4294967295EEENS1_25partition_config_selectorILNS1_17partition_subalgoE3EjNS0_10empty_typeEbEEZZNS1_14partition_implILS8_3ELb0ES6_jNS0_17counting_iteratorIjlEEPS9_SE_NS0_5tupleIJPjSE_EEENSF_IJSE_SE_EEES9_SG_JZNS1_25segmented_radix_sort_implINS0_14default_configELb0EPKaPaPKlPlN2at6native12_GLOBAL__N_18offset_tEEE10hipError_tPvRmT1_PNSt15iterator_traitsISY_E10value_typeET2_T3_PNSZ_IS14_E10value_typeET4_jRbjT5_S1A_jjP12ihipStream_tbEUljE_EEESV_SW_SX_S14_S18_S1A_T6_T7_T9_mT8_S1C_bDpT10_ENKUlT_T0_E_clISt17integral_constantIbLb1EES1P_EEDaS1K_S1L_EUlS1K_E_NS1_11comp_targetILNS1_3genE2ELNS1_11target_archE906ELNS1_3gpuE6ELNS1_3repE0EEENS1_30default_config_static_selectorELNS0_4arch9wavefront6targetE0EEEvSY_,comdat
.Lfunc_end373:
	.size	_ZN7rocprim17ROCPRIM_400000_NS6detail17trampoline_kernelINS0_13select_configILj256ELj13ELNS0_17block_load_methodE3ELS4_3ELS4_3ELNS0_20block_scan_algorithmE0ELj4294967295EEENS1_25partition_config_selectorILNS1_17partition_subalgoE3EjNS0_10empty_typeEbEEZZNS1_14partition_implILS8_3ELb0ES6_jNS0_17counting_iteratorIjlEEPS9_SE_NS0_5tupleIJPjSE_EEENSF_IJSE_SE_EEES9_SG_JZNS1_25segmented_radix_sort_implINS0_14default_configELb0EPKaPaPKlPlN2at6native12_GLOBAL__N_18offset_tEEE10hipError_tPvRmT1_PNSt15iterator_traitsISY_E10value_typeET2_T3_PNSZ_IS14_E10value_typeET4_jRbjT5_S1A_jjP12ihipStream_tbEUljE_EEESV_SW_SX_S14_S18_S1A_T6_T7_T9_mT8_S1C_bDpT10_ENKUlT_T0_E_clISt17integral_constantIbLb1EES1P_EEDaS1K_S1L_EUlS1K_E_NS1_11comp_targetILNS1_3genE2ELNS1_11target_archE906ELNS1_3gpuE6ELNS1_3repE0EEENS1_30default_config_static_selectorELNS0_4arch9wavefront6targetE0EEEvSY_, .Lfunc_end373-_ZN7rocprim17ROCPRIM_400000_NS6detail17trampoline_kernelINS0_13select_configILj256ELj13ELNS0_17block_load_methodE3ELS4_3ELS4_3ELNS0_20block_scan_algorithmE0ELj4294967295EEENS1_25partition_config_selectorILNS1_17partition_subalgoE3EjNS0_10empty_typeEbEEZZNS1_14partition_implILS8_3ELb0ES6_jNS0_17counting_iteratorIjlEEPS9_SE_NS0_5tupleIJPjSE_EEENSF_IJSE_SE_EEES9_SG_JZNS1_25segmented_radix_sort_implINS0_14default_configELb0EPKaPaPKlPlN2at6native12_GLOBAL__N_18offset_tEEE10hipError_tPvRmT1_PNSt15iterator_traitsISY_E10value_typeET2_T3_PNSZ_IS14_E10value_typeET4_jRbjT5_S1A_jjP12ihipStream_tbEUljE_EEESV_SW_SX_S14_S18_S1A_T6_T7_T9_mT8_S1C_bDpT10_ENKUlT_T0_E_clISt17integral_constantIbLb1EES1P_EEDaS1K_S1L_EUlS1K_E_NS1_11comp_targetILNS1_3genE2ELNS1_11target_archE906ELNS1_3gpuE6ELNS1_3repE0EEENS1_30default_config_static_selectorELNS0_4arch9wavefront6targetE0EEEvSY_
                                        ; -- End function
	.section	.AMDGPU.csdata,"",@progbits
; Kernel info:
; codeLenInByte = 0
; NumSgprs: 0
; NumVgprs: 0
; ScratchSize: 0
; MemoryBound: 0
; FloatMode: 240
; IeeeMode: 1
; LDSByteSize: 0 bytes/workgroup (compile time only)
; SGPRBlocks: 0
; VGPRBlocks: 0
; NumSGPRsForWavesPerEU: 1
; NumVGPRsForWavesPerEU: 1
; Occupancy: 16
; WaveLimiterHint : 0
; COMPUTE_PGM_RSRC2:SCRATCH_EN: 0
; COMPUTE_PGM_RSRC2:USER_SGPR: 15
; COMPUTE_PGM_RSRC2:TRAP_HANDLER: 0
; COMPUTE_PGM_RSRC2:TGID_X_EN: 1
; COMPUTE_PGM_RSRC2:TGID_Y_EN: 0
; COMPUTE_PGM_RSRC2:TGID_Z_EN: 0
; COMPUTE_PGM_RSRC2:TIDIG_COMP_CNT: 0
	.section	.text._ZN7rocprim17ROCPRIM_400000_NS6detail17trampoline_kernelINS0_13select_configILj256ELj13ELNS0_17block_load_methodE3ELS4_3ELS4_3ELNS0_20block_scan_algorithmE0ELj4294967295EEENS1_25partition_config_selectorILNS1_17partition_subalgoE3EjNS0_10empty_typeEbEEZZNS1_14partition_implILS8_3ELb0ES6_jNS0_17counting_iteratorIjlEEPS9_SE_NS0_5tupleIJPjSE_EEENSF_IJSE_SE_EEES9_SG_JZNS1_25segmented_radix_sort_implINS0_14default_configELb0EPKaPaPKlPlN2at6native12_GLOBAL__N_18offset_tEEE10hipError_tPvRmT1_PNSt15iterator_traitsISY_E10value_typeET2_T3_PNSZ_IS14_E10value_typeET4_jRbjT5_S1A_jjP12ihipStream_tbEUljE_EEESV_SW_SX_S14_S18_S1A_T6_T7_T9_mT8_S1C_bDpT10_ENKUlT_T0_E_clISt17integral_constantIbLb1EES1P_EEDaS1K_S1L_EUlS1K_E_NS1_11comp_targetILNS1_3genE10ELNS1_11target_archE1200ELNS1_3gpuE4ELNS1_3repE0EEENS1_30default_config_static_selectorELNS0_4arch9wavefront6targetE0EEEvSY_,"axG",@progbits,_ZN7rocprim17ROCPRIM_400000_NS6detail17trampoline_kernelINS0_13select_configILj256ELj13ELNS0_17block_load_methodE3ELS4_3ELS4_3ELNS0_20block_scan_algorithmE0ELj4294967295EEENS1_25partition_config_selectorILNS1_17partition_subalgoE3EjNS0_10empty_typeEbEEZZNS1_14partition_implILS8_3ELb0ES6_jNS0_17counting_iteratorIjlEEPS9_SE_NS0_5tupleIJPjSE_EEENSF_IJSE_SE_EEES9_SG_JZNS1_25segmented_radix_sort_implINS0_14default_configELb0EPKaPaPKlPlN2at6native12_GLOBAL__N_18offset_tEEE10hipError_tPvRmT1_PNSt15iterator_traitsISY_E10value_typeET2_T3_PNSZ_IS14_E10value_typeET4_jRbjT5_S1A_jjP12ihipStream_tbEUljE_EEESV_SW_SX_S14_S18_S1A_T6_T7_T9_mT8_S1C_bDpT10_ENKUlT_T0_E_clISt17integral_constantIbLb1EES1P_EEDaS1K_S1L_EUlS1K_E_NS1_11comp_targetILNS1_3genE10ELNS1_11target_archE1200ELNS1_3gpuE4ELNS1_3repE0EEENS1_30default_config_static_selectorELNS0_4arch9wavefront6targetE0EEEvSY_,comdat
	.globl	_ZN7rocprim17ROCPRIM_400000_NS6detail17trampoline_kernelINS0_13select_configILj256ELj13ELNS0_17block_load_methodE3ELS4_3ELS4_3ELNS0_20block_scan_algorithmE0ELj4294967295EEENS1_25partition_config_selectorILNS1_17partition_subalgoE3EjNS0_10empty_typeEbEEZZNS1_14partition_implILS8_3ELb0ES6_jNS0_17counting_iteratorIjlEEPS9_SE_NS0_5tupleIJPjSE_EEENSF_IJSE_SE_EEES9_SG_JZNS1_25segmented_radix_sort_implINS0_14default_configELb0EPKaPaPKlPlN2at6native12_GLOBAL__N_18offset_tEEE10hipError_tPvRmT1_PNSt15iterator_traitsISY_E10value_typeET2_T3_PNSZ_IS14_E10value_typeET4_jRbjT5_S1A_jjP12ihipStream_tbEUljE_EEESV_SW_SX_S14_S18_S1A_T6_T7_T9_mT8_S1C_bDpT10_ENKUlT_T0_E_clISt17integral_constantIbLb1EES1P_EEDaS1K_S1L_EUlS1K_E_NS1_11comp_targetILNS1_3genE10ELNS1_11target_archE1200ELNS1_3gpuE4ELNS1_3repE0EEENS1_30default_config_static_selectorELNS0_4arch9wavefront6targetE0EEEvSY_ ; -- Begin function _ZN7rocprim17ROCPRIM_400000_NS6detail17trampoline_kernelINS0_13select_configILj256ELj13ELNS0_17block_load_methodE3ELS4_3ELS4_3ELNS0_20block_scan_algorithmE0ELj4294967295EEENS1_25partition_config_selectorILNS1_17partition_subalgoE3EjNS0_10empty_typeEbEEZZNS1_14partition_implILS8_3ELb0ES6_jNS0_17counting_iteratorIjlEEPS9_SE_NS0_5tupleIJPjSE_EEENSF_IJSE_SE_EEES9_SG_JZNS1_25segmented_radix_sort_implINS0_14default_configELb0EPKaPaPKlPlN2at6native12_GLOBAL__N_18offset_tEEE10hipError_tPvRmT1_PNSt15iterator_traitsISY_E10value_typeET2_T3_PNSZ_IS14_E10value_typeET4_jRbjT5_S1A_jjP12ihipStream_tbEUljE_EEESV_SW_SX_S14_S18_S1A_T6_T7_T9_mT8_S1C_bDpT10_ENKUlT_T0_E_clISt17integral_constantIbLb1EES1P_EEDaS1K_S1L_EUlS1K_E_NS1_11comp_targetILNS1_3genE10ELNS1_11target_archE1200ELNS1_3gpuE4ELNS1_3repE0EEENS1_30default_config_static_selectorELNS0_4arch9wavefront6targetE0EEEvSY_
	.p2align	8
	.type	_ZN7rocprim17ROCPRIM_400000_NS6detail17trampoline_kernelINS0_13select_configILj256ELj13ELNS0_17block_load_methodE3ELS4_3ELS4_3ELNS0_20block_scan_algorithmE0ELj4294967295EEENS1_25partition_config_selectorILNS1_17partition_subalgoE3EjNS0_10empty_typeEbEEZZNS1_14partition_implILS8_3ELb0ES6_jNS0_17counting_iteratorIjlEEPS9_SE_NS0_5tupleIJPjSE_EEENSF_IJSE_SE_EEES9_SG_JZNS1_25segmented_radix_sort_implINS0_14default_configELb0EPKaPaPKlPlN2at6native12_GLOBAL__N_18offset_tEEE10hipError_tPvRmT1_PNSt15iterator_traitsISY_E10value_typeET2_T3_PNSZ_IS14_E10value_typeET4_jRbjT5_S1A_jjP12ihipStream_tbEUljE_EEESV_SW_SX_S14_S18_S1A_T6_T7_T9_mT8_S1C_bDpT10_ENKUlT_T0_E_clISt17integral_constantIbLb1EES1P_EEDaS1K_S1L_EUlS1K_E_NS1_11comp_targetILNS1_3genE10ELNS1_11target_archE1200ELNS1_3gpuE4ELNS1_3repE0EEENS1_30default_config_static_selectorELNS0_4arch9wavefront6targetE0EEEvSY_,@function
_ZN7rocprim17ROCPRIM_400000_NS6detail17trampoline_kernelINS0_13select_configILj256ELj13ELNS0_17block_load_methodE3ELS4_3ELS4_3ELNS0_20block_scan_algorithmE0ELj4294967295EEENS1_25partition_config_selectorILNS1_17partition_subalgoE3EjNS0_10empty_typeEbEEZZNS1_14partition_implILS8_3ELb0ES6_jNS0_17counting_iteratorIjlEEPS9_SE_NS0_5tupleIJPjSE_EEENSF_IJSE_SE_EEES9_SG_JZNS1_25segmented_radix_sort_implINS0_14default_configELb0EPKaPaPKlPlN2at6native12_GLOBAL__N_18offset_tEEE10hipError_tPvRmT1_PNSt15iterator_traitsISY_E10value_typeET2_T3_PNSZ_IS14_E10value_typeET4_jRbjT5_S1A_jjP12ihipStream_tbEUljE_EEESV_SW_SX_S14_S18_S1A_T6_T7_T9_mT8_S1C_bDpT10_ENKUlT_T0_E_clISt17integral_constantIbLb1EES1P_EEDaS1K_S1L_EUlS1K_E_NS1_11comp_targetILNS1_3genE10ELNS1_11target_archE1200ELNS1_3gpuE4ELNS1_3repE0EEENS1_30default_config_static_selectorELNS0_4arch9wavefront6targetE0EEEvSY_: ; @_ZN7rocprim17ROCPRIM_400000_NS6detail17trampoline_kernelINS0_13select_configILj256ELj13ELNS0_17block_load_methodE3ELS4_3ELS4_3ELNS0_20block_scan_algorithmE0ELj4294967295EEENS1_25partition_config_selectorILNS1_17partition_subalgoE3EjNS0_10empty_typeEbEEZZNS1_14partition_implILS8_3ELb0ES6_jNS0_17counting_iteratorIjlEEPS9_SE_NS0_5tupleIJPjSE_EEENSF_IJSE_SE_EEES9_SG_JZNS1_25segmented_radix_sort_implINS0_14default_configELb0EPKaPaPKlPlN2at6native12_GLOBAL__N_18offset_tEEE10hipError_tPvRmT1_PNSt15iterator_traitsISY_E10value_typeET2_T3_PNSZ_IS14_E10value_typeET4_jRbjT5_S1A_jjP12ihipStream_tbEUljE_EEESV_SW_SX_S14_S18_S1A_T6_T7_T9_mT8_S1C_bDpT10_ENKUlT_T0_E_clISt17integral_constantIbLb1EES1P_EEDaS1K_S1L_EUlS1K_E_NS1_11comp_targetILNS1_3genE10ELNS1_11target_archE1200ELNS1_3gpuE4ELNS1_3repE0EEENS1_30default_config_static_selectorELNS0_4arch9wavefront6targetE0EEEvSY_
; %bb.0:
	.section	.rodata,"a",@progbits
	.p2align	6, 0x0
	.amdhsa_kernel _ZN7rocprim17ROCPRIM_400000_NS6detail17trampoline_kernelINS0_13select_configILj256ELj13ELNS0_17block_load_methodE3ELS4_3ELS4_3ELNS0_20block_scan_algorithmE0ELj4294967295EEENS1_25partition_config_selectorILNS1_17partition_subalgoE3EjNS0_10empty_typeEbEEZZNS1_14partition_implILS8_3ELb0ES6_jNS0_17counting_iteratorIjlEEPS9_SE_NS0_5tupleIJPjSE_EEENSF_IJSE_SE_EEES9_SG_JZNS1_25segmented_radix_sort_implINS0_14default_configELb0EPKaPaPKlPlN2at6native12_GLOBAL__N_18offset_tEEE10hipError_tPvRmT1_PNSt15iterator_traitsISY_E10value_typeET2_T3_PNSZ_IS14_E10value_typeET4_jRbjT5_S1A_jjP12ihipStream_tbEUljE_EEESV_SW_SX_S14_S18_S1A_T6_T7_T9_mT8_S1C_bDpT10_ENKUlT_T0_E_clISt17integral_constantIbLb1EES1P_EEDaS1K_S1L_EUlS1K_E_NS1_11comp_targetILNS1_3genE10ELNS1_11target_archE1200ELNS1_3gpuE4ELNS1_3repE0EEENS1_30default_config_static_selectorELNS0_4arch9wavefront6targetE0EEEvSY_
		.amdhsa_group_segment_fixed_size 0
		.amdhsa_private_segment_fixed_size 0
		.amdhsa_kernarg_size 152
		.amdhsa_user_sgpr_count 15
		.amdhsa_user_sgpr_dispatch_ptr 0
		.amdhsa_user_sgpr_queue_ptr 0
		.amdhsa_user_sgpr_kernarg_segment_ptr 1
		.amdhsa_user_sgpr_dispatch_id 0
		.amdhsa_user_sgpr_private_segment_size 0
		.amdhsa_wavefront_size32 1
		.amdhsa_uses_dynamic_stack 0
		.amdhsa_enable_private_segment 0
		.amdhsa_system_sgpr_workgroup_id_x 1
		.amdhsa_system_sgpr_workgroup_id_y 0
		.amdhsa_system_sgpr_workgroup_id_z 0
		.amdhsa_system_sgpr_workgroup_info 0
		.amdhsa_system_vgpr_workitem_id 0
		.amdhsa_next_free_vgpr 1
		.amdhsa_next_free_sgpr 1
		.amdhsa_reserve_vcc 0
		.amdhsa_float_round_mode_32 0
		.amdhsa_float_round_mode_16_64 0
		.amdhsa_float_denorm_mode_32 3
		.amdhsa_float_denorm_mode_16_64 3
		.amdhsa_dx10_clamp 1
		.amdhsa_ieee_mode 1
		.amdhsa_fp16_overflow 0
		.amdhsa_workgroup_processor_mode 1
		.amdhsa_memory_ordered 1
		.amdhsa_forward_progress 0
		.amdhsa_shared_vgpr_count 0
		.amdhsa_exception_fp_ieee_invalid_op 0
		.amdhsa_exception_fp_denorm_src 0
		.amdhsa_exception_fp_ieee_div_zero 0
		.amdhsa_exception_fp_ieee_overflow 0
		.amdhsa_exception_fp_ieee_underflow 0
		.amdhsa_exception_fp_ieee_inexact 0
		.amdhsa_exception_int_div_zero 0
	.end_amdhsa_kernel
	.section	.text._ZN7rocprim17ROCPRIM_400000_NS6detail17trampoline_kernelINS0_13select_configILj256ELj13ELNS0_17block_load_methodE3ELS4_3ELS4_3ELNS0_20block_scan_algorithmE0ELj4294967295EEENS1_25partition_config_selectorILNS1_17partition_subalgoE3EjNS0_10empty_typeEbEEZZNS1_14partition_implILS8_3ELb0ES6_jNS0_17counting_iteratorIjlEEPS9_SE_NS0_5tupleIJPjSE_EEENSF_IJSE_SE_EEES9_SG_JZNS1_25segmented_radix_sort_implINS0_14default_configELb0EPKaPaPKlPlN2at6native12_GLOBAL__N_18offset_tEEE10hipError_tPvRmT1_PNSt15iterator_traitsISY_E10value_typeET2_T3_PNSZ_IS14_E10value_typeET4_jRbjT5_S1A_jjP12ihipStream_tbEUljE_EEESV_SW_SX_S14_S18_S1A_T6_T7_T9_mT8_S1C_bDpT10_ENKUlT_T0_E_clISt17integral_constantIbLb1EES1P_EEDaS1K_S1L_EUlS1K_E_NS1_11comp_targetILNS1_3genE10ELNS1_11target_archE1200ELNS1_3gpuE4ELNS1_3repE0EEENS1_30default_config_static_selectorELNS0_4arch9wavefront6targetE0EEEvSY_,"axG",@progbits,_ZN7rocprim17ROCPRIM_400000_NS6detail17trampoline_kernelINS0_13select_configILj256ELj13ELNS0_17block_load_methodE3ELS4_3ELS4_3ELNS0_20block_scan_algorithmE0ELj4294967295EEENS1_25partition_config_selectorILNS1_17partition_subalgoE3EjNS0_10empty_typeEbEEZZNS1_14partition_implILS8_3ELb0ES6_jNS0_17counting_iteratorIjlEEPS9_SE_NS0_5tupleIJPjSE_EEENSF_IJSE_SE_EEES9_SG_JZNS1_25segmented_radix_sort_implINS0_14default_configELb0EPKaPaPKlPlN2at6native12_GLOBAL__N_18offset_tEEE10hipError_tPvRmT1_PNSt15iterator_traitsISY_E10value_typeET2_T3_PNSZ_IS14_E10value_typeET4_jRbjT5_S1A_jjP12ihipStream_tbEUljE_EEESV_SW_SX_S14_S18_S1A_T6_T7_T9_mT8_S1C_bDpT10_ENKUlT_T0_E_clISt17integral_constantIbLb1EES1P_EEDaS1K_S1L_EUlS1K_E_NS1_11comp_targetILNS1_3genE10ELNS1_11target_archE1200ELNS1_3gpuE4ELNS1_3repE0EEENS1_30default_config_static_selectorELNS0_4arch9wavefront6targetE0EEEvSY_,comdat
.Lfunc_end374:
	.size	_ZN7rocprim17ROCPRIM_400000_NS6detail17trampoline_kernelINS0_13select_configILj256ELj13ELNS0_17block_load_methodE3ELS4_3ELS4_3ELNS0_20block_scan_algorithmE0ELj4294967295EEENS1_25partition_config_selectorILNS1_17partition_subalgoE3EjNS0_10empty_typeEbEEZZNS1_14partition_implILS8_3ELb0ES6_jNS0_17counting_iteratorIjlEEPS9_SE_NS0_5tupleIJPjSE_EEENSF_IJSE_SE_EEES9_SG_JZNS1_25segmented_radix_sort_implINS0_14default_configELb0EPKaPaPKlPlN2at6native12_GLOBAL__N_18offset_tEEE10hipError_tPvRmT1_PNSt15iterator_traitsISY_E10value_typeET2_T3_PNSZ_IS14_E10value_typeET4_jRbjT5_S1A_jjP12ihipStream_tbEUljE_EEESV_SW_SX_S14_S18_S1A_T6_T7_T9_mT8_S1C_bDpT10_ENKUlT_T0_E_clISt17integral_constantIbLb1EES1P_EEDaS1K_S1L_EUlS1K_E_NS1_11comp_targetILNS1_3genE10ELNS1_11target_archE1200ELNS1_3gpuE4ELNS1_3repE0EEENS1_30default_config_static_selectorELNS0_4arch9wavefront6targetE0EEEvSY_, .Lfunc_end374-_ZN7rocprim17ROCPRIM_400000_NS6detail17trampoline_kernelINS0_13select_configILj256ELj13ELNS0_17block_load_methodE3ELS4_3ELS4_3ELNS0_20block_scan_algorithmE0ELj4294967295EEENS1_25partition_config_selectorILNS1_17partition_subalgoE3EjNS0_10empty_typeEbEEZZNS1_14partition_implILS8_3ELb0ES6_jNS0_17counting_iteratorIjlEEPS9_SE_NS0_5tupleIJPjSE_EEENSF_IJSE_SE_EEES9_SG_JZNS1_25segmented_radix_sort_implINS0_14default_configELb0EPKaPaPKlPlN2at6native12_GLOBAL__N_18offset_tEEE10hipError_tPvRmT1_PNSt15iterator_traitsISY_E10value_typeET2_T3_PNSZ_IS14_E10value_typeET4_jRbjT5_S1A_jjP12ihipStream_tbEUljE_EEESV_SW_SX_S14_S18_S1A_T6_T7_T9_mT8_S1C_bDpT10_ENKUlT_T0_E_clISt17integral_constantIbLb1EES1P_EEDaS1K_S1L_EUlS1K_E_NS1_11comp_targetILNS1_3genE10ELNS1_11target_archE1200ELNS1_3gpuE4ELNS1_3repE0EEENS1_30default_config_static_selectorELNS0_4arch9wavefront6targetE0EEEvSY_
                                        ; -- End function
	.section	.AMDGPU.csdata,"",@progbits
; Kernel info:
; codeLenInByte = 0
; NumSgprs: 0
; NumVgprs: 0
; ScratchSize: 0
; MemoryBound: 0
; FloatMode: 240
; IeeeMode: 1
; LDSByteSize: 0 bytes/workgroup (compile time only)
; SGPRBlocks: 0
; VGPRBlocks: 0
; NumSGPRsForWavesPerEU: 1
; NumVGPRsForWavesPerEU: 1
; Occupancy: 16
; WaveLimiterHint : 0
; COMPUTE_PGM_RSRC2:SCRATCH_EN: 0
; COMPUTE_PGM_RSRC2:USER_SGPR: 15
; COMPUTE_PGM_RSRC2:TRAP_HANDLER: 0
; COMPUTE_PGM_RSRC2:TGID_X_EN: 1
; COMPUTE_PGM_RSRC2:TGID_Y_EN: 0
; COMPUTE_PGM_RSRC2:TGID_Z_EN: 0
; COMPUTE_PGM_RSRC2:TIDIG_COMP_CNT: 0
	.section	.text._ZN7rocprim17ROCPRIM_400000_NS6detail17trampoline_kernelINS0_13select_configILj256ELj13ELNS0_17block_load_methodE3ELS4_3ELS4_3ELNS0_20block_scan_algorithmE0ELj4294967295EEENS1_25partition_config_selectorILNS1_17partition_subalgoE3EjNS0_10empty_typeEbEEZZNS1_14partition_implILS8_3ELb0ES6_jNS0_17counting_iteratorIjlEEPS9_SE_NS0_5tupleIJPjSE_EEENSF_IJSE_SE_EEES9_SG_JZNS1_25segmented_radix_sort_implINS0_14default_configELb0EPKaPaPKlPlN2at6native12_GLOBAL__N_18offset_tEEE10hipError_tPvRmT1_PNSt15iterator_traitsISY_E10value_typeET2_T3_PNSZ_IS14_E10value_typeET4_jRbjT5_S1A_jjP12ihipStream_tbEUljE_EEESV_SW_SX_S14_S18_S1A_T6_T7_T9_mT8_S1C_bDpT10_ENKUlT_T0_E_clISt17integral_constantIbLb1EES1P_EEDaS1K_S1L_EUlS1K_E_NS1_11comp_targetILNS1_3genE9ELNS1_11target_archE1100ELNS1_3gpuE3ELNS1_3repE0EEENS1_30default_config_static_selectorELNS0_4arch9wavefront6targetE0EEEvSY_,"axG",@progbits,_ZN7rocprim17ROCPRIM_400000_NS6detail17trampoline_kernelINS0_13select_configILj256ELj13ELNS0_17block_load_methodE3ELS4_3ELS4_3ELNS0_20block_scan_algorithmE0ELj4294967295EEENS1_25partition_config_selectorILNS1_17partition_subalgoE3EjNS0_10empty_typeEbEEZZNS1_14partition_implILS8_3ELb0ES6_jNS0_17counting_iteratorIjlEEPS9_SE_NS0_5tupleIJPjSE_EEENSF_IJSE_SE_EEES9_SG_JZNS1_25segmented_radix_sort_implINS0_14default_configELb0EPKaPaPKlPlN2at6native12_GLOBAL__N_18offset_tEEE10hipError_tPvRmT1_PNSt15iterator_traitsISY_E10value_typeET2_T3_PNSZ_IS14_E10value_typeET4_jRbjT5_S1A_jjP12ihipStream_tbEUljE_EEESV_SW_SX_S14_S18_S1A_T6_T7_T9_mT8_S1C_bDpT10_ENKUlT_T0_E_clISt17integral_constantIbLb1EES1P_EEDaS1K_S1L_EUlS1K_E_NS1_11comp_targetILNS1_3genE9ELNS1_11target_archE1100ELNS1_3gpuE3ELNS1_3repE0EEENS1_30default_config_static_selectorELNS0_4arch9wavefront6targetE0EEEvSY_,comdat
	.globl	_ZN7rocprim17ROCPRIM_400000_NS6detail17trampoline_kernelINS0_13select_configILj256ELj13ELNS0_17block_load_methodE3ELS4_3ELS4_3ELNS0_20block_scan_algorithmE0ELj4294967295EEENS1_25partition_config_selectorILNS1_17partition_subalgoE3EjNS0_10empty_typeEbEEZZNS1_14partition_implILS8_3ELb0ES6_jNS0_17counting_iteratorIjlEEPS9_SE_NS0_5tupleIJPjSE_EEENSF_IJSE_SE_EEES9_SG_JZNS1_25segmented_radix_sort_implINS0_14default_configELb0EPKaPaPKlPlN2at6native12_GLOBAL__N_18offset_tEEE10hipError_tPvRmT1_PNSt15iterator_traitsISY_E10value_typeET2_T3_PNSZ_IS14_E10value_typeET4_jRbjT5_S1A_jjP12ihipStream_tbEUljE_EEESV_SW_SX_S14_S18_S1A_T6_T7_T9_mT8_S1C_bDpT10_ENKUlT_T0_E_clISt17integral_constantIbLb1EES1P_EEDaS1K_S1L_EUlS1K_E_NS1_11comp_targetILNS1_3genE9ELNS1_11target_archE1100ELNS1_3gpuE3ELNS1_3repE0EEENS1_30default_config_static_selectorELNS0_4arch9wavefront6targetE0EEEvSY_ ; -- Begin function _ZN7rocprim17ROCPRIM_400000_NS6detail17trampoline_kernelINS0_13select_configILj256ELj13ELNS0_17block_load_methodE3ELS4_3ELS4_3ELNS0_20block_scan_algorithmE0ELj4294967295EEENS1_25partition_config_selectorILNS1_17partition_subalgoE3EjNS0_10empty_typeEbEEZZNS1_14partition_implILS8_3ELb0ES6_jNS0_17counting_iteratorIjlEEPS9_SE_NS0_5tupleIJPjSE_EEENSF_IJSE_SE_EEES9_SG_JZNS1_25segmented_radix_sort_implINS0_14default_configELb0EPKaPaPKlPlN2at6native12_GLOBAL__N_18offset_tEEE10hipError_tPvRmT1_PNSt15iterator_traitsISY_E10value_typeET2_T3_PNSZ_IS14_E10value_typeET4_jRbjT5_S1A_jjP12ihipStream_tbEUljE_EEESV_SW_SX_S14_S18_S1A_T6_T7_T9_mT8_S1C_bDpT10_ENKUlT_T0_E_clISt17integral_constantIbLb1EES1P_EEDaS1K_S1L_EUlS1K_E_NS1_11comp_targetILNS1_3genE9ELNS1_11target_archE1100ELNS1_3gpuE3ELNS1_3repE0EEENS1_30default_config_static_selectorELNS0_4arch9wavefront6targetE0EEEvSY_
	.p2align	8
	.type	_ZN7rocprim17ROCPRIM_400000_NS6detail17trampoline_kernelINS0_13select_configILj256ELj13ELNS0_17block_load_methodE3ELS4_3ELS4_3ELNS0_20block_scan_algorithmE0ELj4294967295EEENS1_25partition_config_selectorILNS1_17partition_subalgoE3EjNS0_10empty_typeEbEEZZNS1_14partition_implILS8_3ELb0ES6_jNS0_17counting_iteratorIjlEEPS9_SE_NS0_5tupleIJPjSE_EEENSF_IJSE_SE_EEES9_SG_JZNS1_25segmented_radix_sort_implINS0_14default_configELb0EPKaPaPKlPlN2at6native12_GLOBAL__N_18offset_tEEE10hipError_tPvRmT1_PNSt15iterator_traitsISY_E10value_typeET2_T3_PNSZ_IS14_E10value_typeET4_jRbjT5_S1A_jjP12ihipStream_tbEUljE_EEESV_SW_SX_S14_S18_S1A_T6_T7_T9_mT8_S1C_bDpT10_ENKUlT_T0_E_clISt17integral_constantIbLb1EES1P_EEDaS1K_S1L_EUlS1K_E_NS1_11comp_targetILNS1_3genE9ELNS1_11target_archE1100ELNS1_3gpuE3ELNS1_3repE0EEENS1_30default_config_static_selectorELNS0_4arch9wavefront6targetE0EEEvSY_,@function
_ZN7rocprim17ROCPRIM_400000_NS6detail17trampoline_kernelINS0_13select_configILj256ELj13ELNS0_17block_load_methodE3ELS4_3ELS4_3ELNS0_20block_scan_algorithmE0ELj4294967295EEENS1_25partition_config_selectorILNS1_17partition_subalgoE3EjNS0_10empty_typeEbEEZZNS1_14partition_implILS8_3ELb0ES6_jNS0_17counting_iteratorIjlEEPS9_SE_NS0_5tupleIJPjSE_EEENSF_IJSE_SE_EEES9_SG_JZNS1_25segmented_radix_sort_implINS0_14default_configELb0EPKaPaPKlPlN2at6native12_GLOBAL__N_18offset_tEEE10hipError_tPvRmT1_PNSt15iterator_traitsISY_E10value_typeET2_T3_PNSZ_IS14_E10value_typeET4_jRbjT5_S1A_jjP12ihipStream_tbEUljE_EEESV_SW_SX_S14_S18_S1A_T6_T7_T9_mT8_S1C_bDpT10_ENKUlT_T0_E_clISt17integral_constantIbLb1EES1P_EEDaS1K_S1L_EUlS1K_E_NS1_11comp_targetILNS1_3genE9ELNS1_11target_archE1100ELNS1_3gpuE3ELNS1_3repE0EEENS1_30default_config_static_selectorELNS0_4arch9wavefront6targetE0EEEvSY_: ; @_ZN7rocprim17ROCPRIM_400000_NS6detail17trampoline_kernelINS0_13select_configILj256ELj13ELNS0_17block_load_methodE3ELS4_3ELS4_3ELNS0_20block_scan_algorithmE0ELj4294967295EEENS1_25partition_config_selectorILNS1_17partition_subalgoE3EjNS0_10empty_typeEbEEZZNS1_14partition_implILS8_3ELb0ES6_jNS0_17counting_iteratorIjlEEPS9_SE_NS0_5tupleIJPjSE_EEENSF_IJSE_SE_EEES9_SG_JZNS1_25segmented_radix_sort_implINS0_14default_configELb0EPKaPaPKlPlN2at6native12_GLOBAL__N_18offset_tEEE10hipError_tPvRmT1_PNSt15iterator_traitsISY_E10value_typeET2_T3_PNSZ_IS14_E10value_typeET4_jRbjT5_S1A_jjP12ihipStream_tbEUljE_EEESV_SW_SX_S14_S18_S1A_T6_T7_T9_mT8_S1C_bDpT10_ENKUlT_T0_E_clISt17integral_constantIbLb1EES1P_EEDaS1K_S1L_EUlS1K_E_NS1_11comp_targetILNS1_3genE9ELNS1_11target_archE1100ELNS1_3gpuE3ELNS1_3repE0EEENS1_30default_config_static_selectorELNS0_4arch9wavefront6targetE0EEEvSY_
; %bb.0:
	s_clause 0x6
	s_load_b64 s[16:17], s[0:1], 0x10
	s_load_b64 s[12:13], s[0:1], 0x28
	;; [unrolled: 1-line block ×3, first 2 shown]
	s_load_b128 s[8:11], s[0:1], 0x48
	s_load_b32 s3, s[0:1], 0x90
	s_load_b64 s[18:19], s[0:1], 0x68
	s_load_b128 s[4:7], s[0:1], 0x80
	v_cmp_eq_u32_e64 s2, 0, v0
	s_delay_alu instid0(VALU_DEP_1)
	s_and_saveexec_b32 s20, s2
	s_cbranch_execz .LBB375_4
; %bb.1:
	s_mov_b32 s22, exec_lo
	s_mov_b32 s21, exec_lo
	v_mbcnt_lo_u32_b32 v1, s22, 0
                                        ; implicit-def: $vgpr2
	s_delay_alu instid0(VALU_DEP_1)
	v_cmpx_eq_u32_e32 0, v1
	s_cbranch_execz .LBB375_3
; %bb.2:
	s_load_b64 s[24:25], s[0:1], 0x78
	s_bcnt1_i32_b32 s22, s22
	s_delay_alu instid0(SALU_CYCLE_1)
	v_dual_mov_b32 v2, 0 :: v_dual_mov_b32 v3, s22
	s_waitcnt lgkmcnt(0)
	global_atomic_add_u32 v2, v2, v3, s[24:25] glc
.LBB375_3:
	s_or_b32 exec_lo, exec_lo, s21
	s_waitcnt vmcnt(0)
	v_readfirstlane_b32 s21, v2
	s_delay_alu instid0(VALU_DEP_1)
	v_dual_mov_b32 v2, 0 :: v_dual_add_nc_u32 v1, s21, v1
	ds_store_b32 v2, v1
.LBB375_4:
	s_or_b32 exec_lo, exec_lo, s20
	v_mov_b32_e32 v1, 0
	s_clause 0x1
	s_load_b32 s20, s[0:1], 0x8
	s_load_b32 s0, s[0:1], 0x70
	s_waitcnt lgkmcnt(0)
	s_barrier
	buffer_gl0_inv
	ds_load_b32 v2, v1
	s_waitcnt lgkmcnt(0)
	s_barrier
	buffer_gl0_inv
	global_load_b64 v[18:19], v1, s[10:11]
	v_lshlrev_b32_e32 v33, 2, v0
	s_add_i32 s21, s20, s16
	s_mul_i32 s1, s0, 0xd00
	s_add_i32 s0, s0, -1
	s_add_u32 s10, s16, s1
	s_addc_u32 s11, s17, 0
	v_mul_lo_u32 v32, 0xd00, v2
	v_readfirstlane_b32 s20, v2
	v_cmp_lt_u64_e64 s11, s[10:11], s[14:15]
	v_cmp_ne_u32_e32 vcc_lo, s0, v2
	s_delay_alu instid0(VALU_DEP_3) | instskip(SKIP_1) | instid1(VALU_DEP_4)
	s_cmp_eq_u32 s20, s0
	s_cselect_b32 s10, -1, 0
	v_add3_u32 v1, v32, s21, v0
	s_delay_alu instid0(VALU_DEP_3) | instskip(SKIP_2) | instid1(VALU_DEP_1)
	s_or_b32 s0, s11, vcc_lo
	s_mov_b32 s11, -1
	s_and_b32 vcc_lo, exec_lo, s0
	v_add_nc_u32_e32 v2, 0x100, v1
	v_add_nc_u32_e32 v3, 0x200, v1
	;; [unrolled: 1-line block ×12, first 2 shown]
	s_cbranch_vccz .LBB375_6
; %bb.5:
	ds_store_2addr_stride64_b32 v33, v1, v2 offset1:4
	ds_store_2addr_stride64_b32 v33, v3, v4 offset0:8 offset1:12
	ds_store_2addr_stride64_b32 v33, v5, v6 offset0:16 offset1:20
	ds_store_2addr_stride64_b32 v33, v7, v8 offset0:24 offset1:28
	ds_store_2addr_stride64_b32 v33, v9, v10 offset0:32 offset1:36
	ds_store_2addr_stride64_b32 v33, v11, v12 offset0:40 offset1:44
	ds_store_b32 v33, v13 offset:12288
	s_waitcnt vmcnt(0) lgkmcnt(0)
	s_mov_b32 s11, 0
	s_barrier
.LBB375_6:
	s_and_not1_b32 vcc_lo, exec_lo, s11
	s_add_i32 s1, s1, s16
	s_cbranch_vccnz .LBB375_8
; %bb.7:
	ds_store_2addr_stride64_b32 v33, v1, v2 offset1:4
	ds_store_2addr_stride64_b32 v33, v3, v4 offset0:8 offset1:12
	ds_store_2addr_stride64_b32 v33, v5, v6 offset0:16 offset1:20
	;; [unrolled: 1-line block ×5, first 2 shown]
	ds_store_b32 v33, v13 offset:12288
	s_waitcnt vmcnt(0) lgkmcnt(0)
	s_barrier
.LBB375_8:
	v_mul_u32_u24_e32 v36, 13, v0
	s_waitcnt vmcnt(0)
	buffer_gl0_inv
	v_cndmask_b32_e64 v34, 0, 1, s0
	s_sub_i32 s11, s14, s1
	s_and_not1_b32 vcc_lo, exec_lo, s0
	v_lshlrev_b32_e32 v1, 2, v36
	ds_load_2addr_b32 v[30:31], v1 offset1:1
	ds_load_2addr_b32 v[28:29], v1 offset0:2 offset1:3
	ds_load_2addr_b32 v[26:27], v1 offset0:4 offset1:5
	ds_load_2addr_b32 v[24:25], v1 offset0:6 offset1:7
	ds_load_2addr_b32 v[22:23], v1 offset0:8 offset1:9
	ds_load_2addr_b32 v[20:21], v1 offset0:10 offset1:11
	ds_load_b32 v35, v1 offset:48
	s_waitcnt lgkmcnt(0)
	s_barrier
	buffer_gl0_inv
	s_cbranch_vccnz .LBB375_10
; %bb.9:
	v_add_nc_u32_e32 v1, s5, v30
	v_add_nc_u32_e32 v2, s7, v30
	;; [unrolled: 1-line block ×5, first 2 shown]
	v_mul_lo_u32 v1, v1, s4
	v_mul_lo_u32 v2, v2, s6
	;; [unrolled: 1-line block ×4, first 2 shown]
	v_add_nc_u32_e32 v6, s7, v28
	v_add_nc_u32_e32 v7, s5, v29
	;; [unrolled: 1-line block ×3, first 2 shown]
	v_mul_lo_u32 v5, v5, s4
	v_add_nc_u32_e32 v9, s5, v24
	v_sub_nc_u32_e32 v1, v1, v2
	v_mul_lo_u32 v2, v6, s6
	v_sub_nc_u32_e32 v3, v3, v4
	v_mul_lo_u32 v4, v7, s4
	v_mul_lo_u32 v6, v8, s6
	v_add_nc_u32_e32 v7, s5, v26
	v_cmp_lt_u32_e32 vcc_lo, s3, v1
	v_add_nc_u32_e32 v8, s5, v27
	v_add_nc_u32_e32 v10, s7, v24
	v_sub_nc_u32_e32 v2, v5, v2
	v_add_nc_u32_e32 v5, s7, v26
	v_cndmask_b32_e64 v1, 0, 1, vcc_lo
	v_sub_nc_u32_e32 v4, v4, v6
	v_mul_lo_u32 v6, v7, s4
	v_add_nc_u32_e32 v7, s7, v27
	v_cmp_lt_u32_e32 vcc_lo, s3, v3
	v_mul_lo_u32 v5, v5, s6
	v_mul_lo_u32 v8, v8, s4
	;; [unrolled: 1-line block ×4, first 2 shown]
	v_cndmask_b32_e64 v3, 0, 1, vcc_lo
	v_cmp_lt_u32_e32 vcc_lo, s3, v2
	v_mul_lo_u32 v10, v10, s6
	v_add_nc_u32_e32 v11, s5, v22
	v_sub_nc_u32_e32 v5, v6, v5
	v_add_nc_u32_e32 v12, s7, v22
	v_cndmask_b32_e64 v2, 0, 1, vcc_lo
	v_sub_nc_u32_e32 v6, v8, v7
	v_add_nc_u32_e32 v7, s5, v25
	v_add_nc_u32_e32 v8, s7, v25
	v_cmp_lt_u32_e32 vcc_lo, s3, v4
	v_sub_nc_u32_e32 v9, v9, v10
	v_mul_lo_u32 v10, v11, s4
	v_mul_lo_u32 v7, v7, s4
	;; [unrolled: 1-line block ×4, first 2 shown]
	v_cndmask_b32_e64 v4, 0, 1, vcc_lo
	v_cmp_lt_u32_e32 vcc_lo, s3, v5
	v_add_nc_u32_e32 v12, s5, v23
	v_add_nc_u32_e32 v13, s7, v20
	;; [unrolled: 1-line block ×4, first 2 shown]
	v_cndmask_b32_e64 v5, 0, 1, vcc_lo
	v_cmp_lt_u32_e32 vcc_lo, s3, v6
	v_sub_nc_u32_e32 v7, v7, v8
	v_sub_nc_u32_e32 v8, v10, v11
	v_add_nc_u32_e32 v11, s7, v23
	v_mul_lo_u32 v10, v12, s4
	v_cndmask_b32_e64 v6, 0, 1, vcc_lo
	v_cmp_lt_u32_e32 vcc_lo, s3, v9
	v_add_nc_u32_e32 v12, s5, v20
	v_mul_lo_u32 v11, v11, s6
	v_mul_lo_u32 v13, v13, s6
	;; [unrolled: 1-line block ×3, first 2 shown]
	v_cndmask_b32_e64 v9, 0, 1, vcc_lo
	v_cmp_lt_u32_e32 vcc_lo, s3, v7
	v_mul_lo_u32 v12, v12, s4
	v_mul_lo_u32 v15, v15, s6
	v_lshlrev_b16 v3, 8, v3
	v_sub_nc_u32_e32 v10, v10, v11
	v_cndmask_b32_e64 v7, 0, 1, vcc_lo
	v_cmp_lt_u32_e32 vcc_lo, s3, v8
	v_add_nc_u32_e32 v11, s5, v35
	v_or_b32_e32 v1, v1, v3
	v_sub_nc_u32_e32 v12, v12, v13
	v_sub_nc_u32_e32 v13, v14, v15
	v_cndmask_b32_e64 v8, 0, 1, vcc_lo
	v_cmp_lt_u32_e32 vcc_lo, s3, v10
	v_add_nc_u32_e32 v16, s7, v35
	v_mul_lo_u32 v11, v11, s4
	v_lshlrev_b16 v4, 8, v4
	v_lshlrev_b16 v6, 8, v6
	v_cndmask_b32_e64 v10, 0, 1, vcc_lo
	v_cmp_lt_u32_e32 vcc_lo, s3, v12
	v_mul_lo_u32 v14, v16, s6
	v_lshlrev_b16 v7, 8, v7
	v_or_b32_e32 v2, v2, v4
	v_lshlrev_b16 v10, 8, v10
	v_cndmask_b32_e64 v3, 0, 1, vcc_lo
	v_cmp_lt_u32_e32 vcc_lo, s3, v13
	v_or_b32_e32 v4, v5, v6
	v_or_b32_e32 v5, v9, v7
	v_sub_nc_u32_e32 v11, v11, v14
	v_or_b32_e32 v6, v8, v10
	v_cndmask_b32_e64 v12, 0, 1, vcc_lo
	v_and_b32_e32 v1, 0xffff, v1
	v_lshlrev_b32_e32 v2, 16, v2
	v_and_b32_e32 v4, 0xffff, v4
	v_lshlrev_b32_e32 v5, 16, v5
	v_lshlrev_b16 v12, 8, v12
	v_and_b32_e32 v6, 0xffff, v6
	v_cmp_lt_u32_e32 vcc_lo, s3, v11
	v_or_b32_e32 v42, v1, v2
	v_or_b32_e32 v40, v4, v5
	v_or_b32_e32 v3, v3, v12
	v_cndmask_b32_e64 v37, 0, 1, vcc_lo
	s_delay_alu instid0(VALU_DEP_2) | instskip(NEXT) | instid1(VALU_DEP_1)
	v_lshlrev_b32_e32 v3, 16, v3
	v_or_b32_e32 v38, v6, v3
	s_addk_i32 s11, 0xd00
	s_cbranch_execz .LBB375_11
	s_branch .LBB375_38
.LBB375_10:
                                        ; implicit-def: $vgpr37
                                        ; implicit-def: $vgpr38
                                        ; implicit-def: $vgpr40
                                        ; implicit-def: $vgpr42
	s_addk_i32 s11, 0xd00
.LBB375_11:
	v_dual_mov_b32 v2, 0 :: v_dual_mov_b32 v1, 0
	s_mov_b32 s0, exec_lo
	v_cmpx_gt_u32_e64 s11, v36
; %bb.12:
	v_add_nc_u32_e32 v1, s5, v30
	v_add_nc_u32_e32 v3, s7, v30
	s_delay_alu instid0(VALU_DEP_2) | instskip(NEXT) | instid1(VALU_DEP_2)
	v_mul_lo_u32 v1, v1, s4
	v_mul_lo_u32 v3, v3, s6
	s_delay_alu instid0(VALU_DEP_1) | instskip(NEXT) | instid1(VALU_DEP_1)
	v_sub_nc_u32_e32 v1, v1, v3
	v_cmp_lt_u32_e32 vcc_lo, s3, v1
	v_cndmask_b32_e64 v1, 0, 1, vcc_lo
; %bb.13:
	s_or_b32 exec_lo, exec_lo, s0
	v_add_nc_u32_e32 v3, 1, v36
	s_mov_b32 s0, exec_lo
	s_delay_alu instid0(VALU_DEP_1)
	v_cmpx_gt_u32_e64 s11, v3
; %bb.14:
	v_add_nc_u32_e32 v2, s5, v31
	v_add_nc_u32_e32 v3, s7, v31
	s_delay_alu instid0(VALU_DEP_2) | instskip(NEXT) | instid1(VALU_DEP_2)
	v_mul_lo_u32 v2, v2, s4
	v_mul_lo_u32 v3, v3, s6
	s_delay_alu instid0(VALU_DEP_1) | instskip(NEXT) | instid1(VALU_DEP_1)
	v_sub_nc_u32_e32 v2, v2, v3
	v_cmp_lt_u32_e32 vcc_lo, s3, v2
	v_cndmask_b32_e64 v2, 0, 1, vcc_lo
; %bb.15:
	s_or_b32 exec_lo, exec_lo, s0
	v_dual_mov_b32 v4, 0 :: v_dual_add_nc_u32 v3, 2, v36
	s_delay_alu instid0(VALU_DEP_1)
	v_cmp_gt_u32_e32 vcc_lo, s11, v3
	v_mov_b32_e32 v3, 0
	s_and_saveexec_b32 s0, vcc_lo
; %bb.16:
	v_add_nc_u32_e32 v3, s5, v28
	v_add_nc_u32_e32 v5, s7, v28
	s_delay_alu instid0(VALU_DEP_2) | instskip(NEXT) | instid1(VALU_DEP_2)
	v_mul_lo_u32 v3, v3, s4
	v_mul_lo_u32 v5, v5, s6
	s_delay_alu instid0(VALU_DEP_1) | instskip(NEXT) | instid1(VALU_DEP_1)
	v_sub_nc_u32_e32 v3, v3, v5
	v_cmp_lt_u32_e32 vcc_lo, s3, v3
	v_cndmask_b32_e64 v3, 0, 1, vcc_lo
; %bb.17:
	s_or_b32 exec_lo, exec_lo, s0
	v_add_nc_u32_e32 v5, 3, v36
	s_mov_b32 s0, exec_lo
	s_delay_alu instid0(VALU_DEP_1)
	v_cmpx_gt_u32_e64 s11, v5
; %bb.18:
	v_add_nc_u32_e32 v4, s5, v29
	v_add_nc_u32_e32 v5, s7, v29
	s_delay_alu instid0(VALU_DEP_2) | instskip(NEXT) | instid1(VALU_DEP_2)
	v_mul_lo_u32 v4, v4, s4
	v_mul_lo_u32 v5, v5, s6
	s_delay_alu instid0(VALU_DEP_1) | instskip(NEXT) | instid1(VALU_DEP_1)
	v_sub_nc_u32_e32 v4, v4, v5
	v_cmp_lt_u32_e32 vcc_lo, s3, v4
	v_cndmask_b32_e64 v4, 0, 1, vcc_lo
; %bb.19:
	s_or_b32 exec_lo, exec_lo, s0
	v_dual_mov_b32 v6, 0 :: v_dual_add_nc_u32 v5, 4, v36
	s_delay_alu instid0(VALU_DEP_1)
	v_cmp_gt_u32_e32 vcc_lo, s11, v5
	v_mov_b32_e32 v5, 0
	s_and_saveexec_b32 s0, vcc_lo
	;; [unrolled: 33-line block ×5, first 2 shown]
; %bb.32:
	v_add_nc_u32_e32 v11, s5, v20
	v_add_nc_u32_e32 v13, s7, v20
	s_delay_alu instid0(VALU_DEP_2) | instskip(NEXT) | instid1(VALU_DEP_2)
	v_mul_lo_u32 v11, v11, s4
	v_mul_lo_u32 v13, v13, s6
	s_delay_alu instid0(VALU_DEP_1) | instskip(NEXT) | instid1(VALU_DEP_1)
	v_sub_nc_u32_e32 v11, v11, v13
	v_cmp_lt_u32_e32 vcc_lo, s3, v11
	v_cndmask_b32_e64 v11, 0, 1, vcc_lo
; %bb.33:
	s_or_b32 exec_lo, exec_lo, s0
	v_add_nc_u32_e32 v13, 11, v36
	s_mov_b32 s0, exec_lo
	s_delay_alu instid0(VALU_DEP_1)
	v_cmpx_gt_u32_e64 s11, v13
; %bb.34:
	v_add_nc_u32_e32 v12, s5, v21
	v_add_nc_u32_e32 v13, s7, v21
	s_delay_alu instid0(VALU_DEP_2) | instskip(NEXT) | instid1(VALU_DEP_2)
	v_mul_lo_u32 v12, v12, s4
	v_mul_lo_u32 v13, v13, s6
	s_delay_alu instid0(VALU_DEP_1) | instskip(NEXT) | instid1(VALU_DEP_1)
	v_sub_nc_u32_e32 v12, v12, v13
	v_cmp_lt_u32_e32 vcc_lo, s3, v12
	v_cndmask_b32_e64 v12, 0, 1, vcc_lo
; %bb.35:
	s_or_b32 exec_lo, exec_lo, s0
	v_add_nc_u32_e32 v13, 12, v36
	v_mov_b32_e32 v37, 0
	s_mov_b32 s0, exec_lo
	s_delay_alu instid0(VALU_DEP_2)
	v_cmpx_gt_u32_e64 s11, v13
; %bb.36:
	v_add_nc_u32_e32 v13, s5, v35
	v_add_nc_u32_e32 v14, s7, v35
	s_delay_alu instid0(VALU_DEP_2) | instskip(NEXT) | instid1(VALU_DEP_2)
	v_mul_lo_u32 v13, v13, s4
	v_mul_lo_u32 v14, v14, s6
	s_delay_alu instid0(VALU_DEP_1) | instskip(NEXT) | instid1(VALU_DEP_1)
	v_sub_nc_u32_e32 v13, v13, v14
	v_cmp_lt_u32_e32 vcc_lo, s3, v13
	v_cndmask_b32_e64 v37, 0, 1, vcc_lo
; %bb.37:
	s_or_b32 exec_lo, exec_lo, s0
	v_lshlrev_b16 v2, 8, v2
	v_lshlrev_b16 v4, 8, v4
	;; [unrolled: 1-line block ×5, first 2 shown]
	v_or_b32_e32 v1, v1, v2
	v_lshlrev_b16 v2, 8, v12
	v_or_b32_e32 v3, v3, v4
	v_or_b32_e32 v4, v5, v6
	;; [unrolled: 1-line block ×5, first 2 shown]
	v_and_b32_e32 v1, 0xffff, v1
	v_lshlrev_b32_e32 v3, 16, v3
	v_and_b32_e32 v4, 0xffff, v4
	v_lshlrev_b32_e32 v5, 16, v5
	;; [unrolled: 2-line block ×3, first 2 shown]
	v_or_b32_e32 v42, v1, v3
	s_delay_alu instid0(VALU_DEP_4) | instskip(NEXT) | instid1(VALU_DEP_3)
	v_or_b32_e32 v40, v4, v5
	v_or_b32_e32 v38, v6, v2
.LBB375_38:
	s_delay_alu instid0(VALU_DEP_3)
	v_and_b32_e32 v44, 0xff, v42
	v_bfe_u32 v45, v42, 8, 8
	v_bfe_u32 v46, v42, 16, 8
	v_lshrrev_b32_e32 v43, 24, v42
	v_and_b32_e32 v47, 0xff, v40
	v_bfe_u32 v48, v40, 8, 8
	v_bfe_u32 v49, v40, 16, 8
	v_add3_u32 v1, v45, v44, v46
	v_lshrrev_b32_e32 v41, 24, v40
	v_and_b32_e32 v50, 0xff, v38
	v_bfe_u32 v51, v38, 8, 8
	v_mbcnt_lo_u32_b32 v53, -1, 0
	v_add3_u32 v1, v1, v43, v47
	v_bfe_u32 v52, v38, 16, 8
	v_lshrrev_b32_e32 v39, 24, v38
	v_and_b32_e32 v2, 0xff, v37
	v_and_b32_e32 v3, 15, v53
	v_add3_u32 v1, v1, v48, v49
	v_or_b32_e32 v4, 31, v0
	v_and_b32_e32 v5, 16, v53
	v_lshrrev_b32_e32 v54, 5, v0
	v_cmp_eq_u32_e64 s6, 0, v3
	v_add3_u32 v1, v1, v41, v50
	v_cmp_lt_u32_e64 s5, 1, v3
	v_cmp_lt_u32_e64 s4, 3, v3
	;; [unrolled: 1-line block ×3, first 2 shown]
	v_cmp_eq_u32_e64 s1, 0, v5
	v_add3_u32 v1, v1, v51, v52
	v_cmp_eq_u32_e64 s0, v4, v0
	s_cmp_lg_u32 s20, 0
	s_mov_b32 s7, -1
	s_delay_alu instid0(VALU_DEP_2)
	v_add3_u32 v55, v1, v39, v2
	s_cbranch_scc0 .LBB375_69
; %bb.39:
	s_delay_alu instid0(VALU_DEP_1) | instskip(NEXT) | instid1(VALU_DEP_1)
	v_mov_b32_dpp v1, v55 row_shr:1 row_mask:0xf bank_mask:0xf
	v_cndmask_b32_e64 v1, v1, 0, s6
	s_delay_alu instid0(VALU_DEP_1) | instskip(NEXT) | instid1(VALU_DEP_1)
	v_add_nc_u32_e32 v1, v1, v55
	v_mov_b32_dpp v2, v1 row_shr:2 row_mask:0xf bank_mask:0xf
	s_delay_alu instid0(VALU_DEP_1) | instskip(NEXT) | instid1(VALU_DEP_1)
	v_cndmask_b32_e64 v2, 0, v2, s5
	v_add_nc_u32_e32 v1, v1, v2
	s_delay_alu instid0(VALU_DEP_1) | instskip(NEXT) | instid1(VALU_DEP_1)
	v_mov_b32_dpp v2, v1 row_shr:4 row_mask:0xf bank_mask:0xf
	v_cndmask_b32_e64 v2, 0, v2, s4
	s_delay_alu instid0(VALU_DEP_1) | instskip(NEXT) | instid1(VALU_DEP_1)
	v_add_nc_u32_e32 v1, v1, v2
	v_mov_b32_dpp v2, v1 row_shr:8 row_mask:0xf bank_mask:0xf
	s_delay_alu instid0(VALU_DEP_1) | instskip(NEXT) | instid1(VALU_DEP_1)
	v_cndmask_b32_e64 v2, 0, v2, s3
	v_add_nc_u32_e32 v1, v1, v2
	ds_swizzle_b32 v2, v1 offset:swizzle(BROADCAST,32,15)
	s_waitcnt lgkmcnt(0)
	v_cndmask_b32_e64 v2, v2, 0, s1
	s_delay_alu instid0(VALU_DEP_1)
	v_add_nc_u32_e32 v1, v1, v2
	s_and_saveexec_b32 s7, s0
	s_cbranch_execz .LBB375_41
; %bb.40:
	v_lshlrev_b32_e32 v2, 2, v54
	ds_store_b32 v2, v1
.LBB375_41:
	s_or_b32 exec_lo, exec_lo, s7
	s_delay_alu instid0(SALU_CYCLE_1)
	s_mov_b32 s7, exec_lo
	s_waitcnt lgkmcnt(0)
	s_barrier
	buffer_gl0_inv
	v_cmpx_gt_u32_e32 8, v0
	s_cbranch_execz .LBB375_43
; %bb.42:
	ds_load_b32 v2, v33
	s_waitcnt lgkmcnt(0)
	v_mov_b32_dpp v4, v2 row_shr:1 row_mask:0xf bank_mask:0xf
	v_and_b32_e32 v3, 7, v53
	s_delay_alu instid0(VALU_DEP_1) | instskip(NEXT) | instid1(VALU_DEP_3)
	v_cmp_ne_u32_e32 vcc_lo, 0, v3
	v_cndmask_b32_e32 v4, 0, v4, vcc_lo
	v_cmp_lt_u32_e32 vcc_lo, 1, v3
	s_delay_alu instid0(VALU_DEP_2) | instskip(NEXT) | instid1(VALU_DEP_1)
	v_add_nc_u32_e32 v2, v4, v2
	v_mov_b32_dpp v4, v2 row_shr:2 row_mask:0xf bank_mask:0xf
	s_delay_alu instid0(VALU_DEP_1) | instskip(SKIP_1) | instid1(VALU_DEP_2)
	v_cndmask_b32_e32 v4, 0, v4, vcc_lo
	v_cmp_lt_u32_e32 vcc_lo, 3, v3
	v_add_nc_u32_e32 v2, v2, v4
	s_delay_alu instid0(VALU_DEP_1) | instskip(NEXT) | instid1(VALU_DEP_1)
	v_mov_b32_dpp v4, v2 row_shr:4 row_mask:0xf bank_mask:0xf
	v_cndmask_b32_e32 v3, 0, v4, vcc_lo
	s_delay_alu instid0(VALU_DEP_1)
	v_add_nc_u32_e32 v2, v2, v3
	ds_store_b32 v33, v2
.LBB375_43:
	s_or_b32 exec_lo, exec_lo, s7
	v_cmp_gt_u32_e32 vcc_lo, 32, v0
	s_mov_b32 s21, exec_lo
	s_waitcnt lgkmcnt(0)
	s_barrier
	buffer_gl0_inv
                                        ; implicit-def: $vgpr8
	v_cmpx_lt_u32_e32 31, v0
	s_cbranch_execz .LBB375_45
; %bb.44:
	v_lshl_add_u32 v2, v54, 2, -4
	ds_load_b32 v8, v2
	s_waitcnt lgkmcnt(0)
	v_add_nc_u32_e32 v1, v8, v1
.LBB375_45:
	s_or_b32 exec_lo, exec_lo, s21
	v_add_nc_u32_e32 v2, -1, v53
	s_delay_alu instid0(VALU_DEP_1) | instskip(NEXT) | instid1(VALU_DEP_1)
	v_cmp_gt_i32_e64 s7, 0, v2
	v_cndmask_b32_e64 v2, v2, v53, s7
	v_cmp_eq_u32_e64 s7, 0, v53
	s_delay_alu instid0(VALU_DEP_2)
	v_lshlrev_b32_e32 v2, 2, v2
	ds_bpermute_b32 v9, v2, v1
	s_and_saveexec_b32 s21, vcc_lo
	s_cbranch_execz .LBB375_68
; %bb.46:
	v_mov_b32_e32 v4, 0
	ds_load_b32 v1, v4 offset:28
	s_and_saveexec_b32 s22, s7
	s_cbranch_execz .LBB375_48
; %bb.47:
	s_add_i32 s24, s20, 32
	s_mov_b32 s25, 0
	v_mov_b32_e32 v2, 1
	s_lshl_b64 s[24:25], s[24:25], 3
	s_delay_alu instid0(SALU_CYCLE_1)
	s_add_u32 s24, s18, s24
	s_addc_u32 s25, s19, s25
	s_waitcnt lgkmcnt(0)
	global_store_b64 v4, v[1:2], s[24:25]
.LBB375_48:
	s_or_b32 exec_lo, exec_lo, s22
	v_xad_u32 v2, v53, -1, s20
	s_mov_b32 s23, 0
	s_mov_b32 s22, exec_lo
	s_delay_alu instid0(VALU_DEP_1) | instskip(NEXT) | instid1(VALU_DEP_1)
	v_add_nc_u32_e32 v3, 32, v2
	v_lshlrev_b64 v[3:4], 3, v[3:4]
	s_delay_alu instid0(VALU_DEP_1) | instskip(NEXT) | instid1(VALU_DEP_2)
	v_add_co_u32 v6, vcc_lo, s18, v3
	v_add_co_ci_u32_e32 v7, vcc_lo, s19, v4, vcc_lo
	global_load_b64 v[4:5], v[6:7], off glc
	s_waitcnt vmcnt(0)
	v_and_b32_e32 v3, 0xff, v5
	s_delay_alu instid0(VALU_DEP_1)
	v_cmpx_eq_u16_e32 0, v3
	s_cbranch_execz .LBB375_54
; %bb.49:
	s_mov_b32 s24, 1
	.p2align	6
.LBB375_50:                             ; =>This Loop Header: Depth=1
                                        ;     Child Loop BB375_51 Depth 2
	s_delay_alu instid0(SALU_CYCLE_1)
	s_max_u32 s25, s24, 1
.LBB375_51:                             ;   Parent Loop BB375_50 Depth=1
                                        ; =>  This Inner Loop Header: Depth=2
	s_delay_alu instid0(SALU_CYCLE_1)
	s_add_i32 s25, s25, -1
	s_sleep 1
	s_cmp_eq_u32 s25, 0
	s_cbranch_scc0 .LBB375_51
; %bb.52:                               ;   in Loop: Header=BB375_50 Depth=1
	global_load_b64 v[4:5], v[6:7], off glc
	s_cmp_lt_u32 s24, 32
	s_cselect_b32 s25, -1, 0
	s_delay_alu instid0(SALU_CYCLE_1) | instskip(SKIP_3) | instid1(VALU_DEP_1)
	s_cmp_lg_u32 s25, 0
	s_addc_u32 s24, s24, 0
	s_waitcnt vmcnt(0)
	v_and_b32_e32 v3, 0xff, v5
	v_cmp_ne_u16_e32 vcc_lo, 0, v3
	s_or_b32 s23, vcc_lo, s23
	s_delay_alu instid0(SALU_CYCLE_1)
	s_and_not1_b32 exec_lo, exec_lo, s23
	s_cbranch_execnz .LBB375_50
; %bb.53:
	s_or_b32 exec_lo, exec_lo, s23
.LBB375_54:
	s_delay_alu instid0(SALU_CYCLE_1)
	s_or_b32 exec_lo, exec_lo, s22
	v_cmp_ne_u32_e32 vcc_lo, 31, v53
	v_lshlrev_b32_e64 v11, v53, -1
	v_add_nc_u32_e32 v13, 2, v53
	v_add_nc_u32_e32 v15, 4, v53
	;; [unrolled: 1-line block ×3, first 2 shown]
	v_add_co_ci_u32_e32 v3, vcc_lo, 0, v53, vcc_lo
	v_add_nc_u32_e32 v58, 16, v53
	s_delay_alu instid0(VALU_DEP_2) | instskip(SKIP_2) | instid1(VALU_DEP_1)
	v_lshlrev_b32_e32 v10, 2, v3
	ds_bpermute_b32 v6, v10, v4
	v_and_b32_e32 v3, 0xff, v5
	v_cmp_eq_u16_e32 vcc_lo, 2, v3
	v_and_or_b32 v3, vcc_lo, v11, 0x80000000
	v_cmp_gt_u32_e32 vcc_lo, 30, v53
	s_delay_alu instid0(VALU_DEP_2) | instskip(SKIP_1) | instid1(VALU_DEP_2)
	v_ctz_i32_b32_e32 v3, v3
	v_cndmask_b32_e64 v7, 0, 1, vcc_lo
	v_cmp_lt_u32_e32 vcc_lo, v53, v3
	s_waitcnt lgkmcnt(0)
	s_delay_alu instid0(VALU_DEP_2) | instskip(NEXT) | instid1(VALU_DEP_1)
	v_dual_cndmask_b32 v6, 0, v6 :: v_dual_lshlrev_b32 v7, 1, v7
	v_add_lshl_u32 v12, v7, v53, 2
	v_cmp_gt_u32_e32 vcc_lo, 28, v53
	s_delay_alu instid0(VALU_DEP_3) | instskip(SKIP_4) | instid1(VALU_DEP_1)
	v_add_nc_u32_e32 v4, v6, v4
	v_cndmask_b32_e64 v7, 0, 1, vcc_lo
	v_cmp_le_u32_e32 vcc_lo, v13, v3
	ds_bpermute_b32 v6, v12, v4
	v_lshlrev_b32_e32 v7, 2, v7
	v_add_lshl_u32 v14, v7, v53, 2
	s_waitcnt lgkmcnt(0)
	v_cndmask_b32_e32 v6, 0, v6, vcc_lo
	v_cmp_gt_u32_e32 vcc_lo, 24, v53
	s_delay_alu instid0(VALU_DEP_2) | instskip(SKIP_4) | instid1(VALU_DEP_1)
	v_add_nc_u32_e32 v4, v4, v6
	v_cndmask_b32_e64 v7, 0, 1, vcc_lo
	v_cmp_le_u32_e32 vcc_lo, v15, v3
	ds_bpermute_b32 v6, v14, v4
	v_lshlrev_b32_e32 v7, 3, v7
	v_add_lshl_u32 v17, v7, v53, 2
	s_waitcnt lgkmcnt(0)
	v_cndmask_b32_e32 v6, 0, v6, vcc_lo
	v_cmp_gt_u32_e32 vcc_lo, 16, v53
	s_delay_alu instid0(VALU_DEP_2) | instskip(SKIP_4) | instid1(VALU_DEP_1)
	v_add_nc_u32_e32 v4, v4, v6
	v_cndmask_b32_e64 v7, 0, 1, vcc_lo
	v_cmp_le_u32_e32 vcc_lo, v56, v3
	ds_bpermute_b32 v6, v17, v4
	v_lshlrev_b32_e32 v7, 4, v7
	v_add_lshl_u32 v57, v7, v53, 2
	s_waitcnt lgkmcnt(0)
	v_cndmask_b32_e32 v6, 0, v6, vcc_lo
	v_cmp_le_u32_e32 vcc_lo, v58, v3
	s_delay_alu instid0(VALU_DEP_2) | instskip(SKIP_3) | instid1(VALU_DEP_1)
	v_add_nc_u32_e32 v4, v4, v6
	ds_bpermute_b32 v6, v57, v4
	s_waitcnt lgkmcnt(0)
	v_cndmask_b32_e32 v3, 0, v6, vcc_lo
	v_dual_mov_b32 v3, 0 :: v_dual_add_nc_u32 v4, v4, v3
	s_branch .LBB375_56
.LBB375_55:                             ;   in Loop: Header=BB375_56 Depth=1
	s_or_b32 exec_lo, exec_lo, s22
	ds_bpermute_b32 v7, v10, v4
	v_and_b32_e32 v6, 0xff, v5
	v_subrev_nc_u32_e32 v2, 32, v2
	s_delay_alu instid0(VALU_DEP_2) | instskip(SKIP_1) | instid1(VALU_DEP_1)
	v_cmp_eq_u16_e32 vcc_lo, 2, v6
	v_and_or_b32 v6, vcc_lo, v11, 0x80000000
	v_ctz_i32_b32_e32 v6, v6
	s_delay_alu instid0(VALU_DEP_1) | instskip(SKIP_3) | instid1(VALU_DEP_2)
	v_cmp_lt_u32_e32 vcc_lo, v53, v6
	s_waitcnt lgkmcnt(0)
	v_cndmask_b32_e32 v7, 0, v7, vcc_lo
	v_cmp_le_u32_e32 vcc_lo, v13, v6
	v_add_nc_u32_e32 v4, v7, v4
	ds_bpermute_b32 v7, v12, v4
	s_waitcnt lgkmcnt(0)
	v_cndmask_b32_e32 v7, 0, v7, vcc_lo
	v_cmp_le_u32_e32 vcc_lo, v15, v6
	s_delay_alu instid0(VALU_DEP_2) | instskip(SKIP_4) | instid1(VALU_DEP_2)
	v_add_nc_u32_e32 v4, v4, v7
	ds_bpermute_b32 v7, v14, v4
	s_waitcnt lgkmcnt(0)
	v_cndmask_b32_e32 v7, 0, v7, vcc_lo
	v_cmp_le_u32_e32 vcc_lo, v56, v6
	v_add_nc_u32_e32 v4, v4, v7
	ds_bpermute_b32 v7, v17, v4
	s_waitcnt lgkmcnt(0)
	v_cndmask_b32_e32 v7, 0, v7, vcc_lo
	v_cmp_le_u32_e32 vcc_lo, v58, v6
	s_delay_alu instid0(VALU_DEP_2) | instskip(SKIP_3) | instid1(VALU_DEP_1)
	v_add_nc_u32_e32 v4, v4, v7
	ds_bpermute_b32 v7, v57, v4
	s_waitcnt lgkmcnt(0)
	v_cndmask_b32_e32 v6, 0, v7, vcc_lo
	v_add3_u32 v4, v6, v16, v4
.LBB375_56:                             ; =>This Loop Header: Depth=1
                                        ;     Child Loop BB375_59 Depth 2
                                        ;       Child Loop BB375_60 Depth 3
	s_delay_alu instid0(VALU_DEP_1) | instskip(NEXT) | instid1(VALU_DEP_1)
	v_dual_mov_b32 v16, v4 :: v_dual_and_b32 v5, 0xff, v5
	v_cmp_ne_u16_e32 vcc_lo, 2, v5
	v_cndmask_b32_e64 v5, 0, 1, vcc_lo
	;;#ASMSTART
	;;#ASMEND
	s_delay_alu instid0(VALU_DEP_1)
	v_cmp_ne_u32_e32 vcc_lo, 0, v5
	s_cmp_lg_u32 vcc_lo, exec_lo
	s_cbranch_scc1 .LBB375_63
; %bb.57:                               ;   in Loop: Header=BB375_56 Depth=1
	v_lshlrev_b64 v[4:5], 3, v[2:3]
	s_mov_b32 s22, exec_lo
	s_delay_alu instid0(VALU_DEP_1) | instskip(NEXT) | instid1(VALU_DEP_2)
	v_add_co_u32 v6, vcc_lo, s18, v4
	v_add_co_ci_u32_e32 v7, vcc_lo, s19, v5, vcc_lo
	global_load_b64 v[4:5], v[6:7], off glc
	s_waitcnt vmcnt(0)
	v_and_b32_e32 v59, 0xff, v5
	s_delay_alu instid0(VALU_DEP_1)
	v_cmpx_eq_u16_e32 0, v59
	s_cbranch_execz .LBB375_55
; %bb.58:                               ;   in Loop: Header=BB375_56 Depth=1
	s_mov_b32 s24, 1
	s_mov_b32 s23, 0
	.p2align	6
.LBB375_59:                             ;   Parent Loop BB375_56 Depth=1
                                        ; =>  This Loop Header: Depth=2
                                        ;       Child Loop BB375_60 Depth 3
	s_max_u32 s25, s24, 1
.LBB375_60:                             ;   Parent Loop BB375_56 Depth=1
                                        ;     Parent Loop BB375_59 Depth=2
                                        ; =>    This Inner Loop Header: Depth=3
	s_delay_alu instid0(SALU_CYCLE_1)
	s_add_i32 s25, s25, -1
	s_sleep 1
	s_cmp_eq_u32 s25, 0
	s_cbranch_scc0 .LBB375_60
; %bb.61:                               ;   in Loop: Header=BB375_59 Depth=2
	global_load_b64 v[4:5], v[6:7], off glc
	s_cmp_lt_u32 s24, 32
	s_cselect_b32 s25, -1, 0
	s_delay_alu instid0(SALU_CYCLE_1) | instskip(SKIP_3) | instid1(VALU_DEP_1)
	s_cmp_lg_u32 s25, 0
	s_addc_u32 s24, s24, 0
	s_waitcnt vmcnt(0)
	v_and_b32_e32 v59, 0xff, v5
	v_cmp_ne_u16_e32 vcc_lo, 0, v59
	s_or_b32 s23, vcc_lo, s23
	s_delay_alu instid0(SALU_CYCLE_1)
	s_and_not1_b32 exec_lo, exec_lo, s23
	s_cbranch_execnz .LBB375_59
; %bb.62:                               ;   in Loop: Header=BB375_56 Depth=1
	s_or_b32 exec_lo, exec_lo, s23
	s_branch .LBB375_55
.LBB375_63:                             ;   in Loop: Header=BB375_56 Depth=1
                                        ; implicit-def: $vgpr4
                                        ; implicit-def: $vgpr5
	s_cbranch_execz .LBB375_56
; %bb.64:
	s_and_saveexec_b32 s22, s7
	s_cbranch_execz .LBB375_66
; %bb.65:
	s_add_i32 s24, s20, 32
	s_mov_b32 s25, 0
	v_dual_mov_b32 v3, 2 :: v_dual_add_nc_u32 v2, v16, v1
	s_lshl_b64 s[24:25], s[24:25], 3
	v_mov_b32_e32 v4, 0
	v_add_nc_u32_e64 v5, 0x3400, 0
	s_add_u32 s24, s18, s24
	s_addc_u32 s25, s19, s25
	global_store_b64 v4, v[2:3], s[24:25]
	ds_store_2addr_b32 v5, v1, v16 offset1:2
.LBB375_66:
	s_or_b32 exec_lo, exec_lo, s22
	s_delay_alu instid0(SALU_CYCLE_1)
	s_and_b32 exec_lo, exec_lo, s2
	s_cbranch_execz .LBB375_68
; %bb.67:
	v_mov_b32_e32 v1, 0
	ds_store_b32 v1, v16 offset:28
.LBB375_68:
	s_or_b32 exec_lo, exec_lo, s21
	v_mov_b32_e32 v1, 0
	s_waitcnt lgkmcnt(0)
	s_waitcnt_vscnt null, 0x0
	s_barrier
	buffer_gl0_inv
	v_cndmask_b32_e64 v2, v9, v8, s7
	ds_load_b32 v1, v1 offset:28
	v_add_nc_u32_e64 v11, 0x3400, 0
	s_waitcnt lgkmcnt(0)
	s_barrier
	v_cndmask_b32_e64 v2, v2, 0, s2
	buffer_gl0_inv
	ds_load_2addr_b32 v[16:17], v11 offset1:2
	v_add_nc_u32_e32 v1, v1, v2
	s_delay_alu instid0(VALU_DEP_1) | instskip(NEXT) | instid1(VALU_DEP_1)
	v_add_nc_u32_e32 v2, v1, v44
	v_add_nc_u32_e32 v3, v2, v45
	s_delay_alu instid0(VALU_DEP_1) | instskip(NEXT) | instid1(VALU_DEP_1)
	v_add_nc_u32_e32 v4, v3, v46
	;; [unrolled: 3-line block ×6, first 2 shown]
	v_add_nc_u32_e32 v13, v12, v39
	s_branch .LBB375_79
.LBB375_69:
                                        ; implicit-def: $vgpr17
                                        ; implicit-def: $vgpr1_vgpr2_vgpr3_vgpr4_vgpr5_vgpr6_vgpr7_vgpr8_vgpr9_vgpr10_vgpr11_vgpr12_vgpr13_vgpr14_vgpr15_vgpr16
	s_and_b32 vcc_lo, exec_lo, s7
	s_cbranch_vccz .LBB375_79
; %bb.70:
	s_delay_alu instid0(VALU_DEP_1) | instskip(NEXT) | instid1(VALU_DEP_1)
	v_mov_b32_dpp v1, v55 row_shr:1 row_mask:0xf bank_mask:0xf
	v_cndmask_b32_e64 v1, v1, 0, s6
	s_delay_alu instid0(VALU_DEP_1) | instskip(NEXT) | instid1(VALU_DEP_1)
	v_add_nc_u32_e32 v1, v1, v55
	v_mov_b32_dpp v2, v1 row_shr:2 row_mask:0xf bank_mask:0xf
	s_delay_alu instid0(VALU_DEP_1) | instskip(NEXT) | instid1(VALU_DEP_1)
	v_cndmask_b32_e64 v2, 0, v2, s5
	v_add_nc_u32_e32 v1, v1, v2
	s_delay_alu instid0(VALU_DEP_1) | instskip(NEXT) | instid1(VALU_DEP_1)
	v_mov_b32_dpp v2, v1 row_shr:4 row_mask:0xf bank_mask:0xf
	v_cndmask_b32_e64 v2, 0, v2, s4
	s_delay_alu instid0(VALU_DEP_1) | instskip(NEXT) | instid1(VALU_DEP_1)
	v_add_nc_u32_e32 v1, v1, v2
	v_mov_b32_dpp v2, v1 row_shr:8 row_mask:0xf bank_mask:0xf
	s_delay_alu instid0(VALU_DEP_1) | instskip(NEXT) | instid1(VALU_DEP_1)
	v_cndmask_b32_e64 v2, 0, v2, s3
	v_add_nc_u32_e32 v1, v1, v2
	ds_swizzle_b32 v2, v1 offset:swizzle(BROADCAST,32,15)
	s_waitcnt lgkmcnt(0)
	v_cndmask_b32_e64 v2, v2, 0, s1
	s_delay_alu instid0(VALU_DEP_1)
	v_add_nc_u32_e32 v1, v1, v2
	s_and_saveexec_b32 s1, s0
	s_cbranch_execz .LBB375_72
; %bb.71:
	v_lshlrev_b32_e32 v2, 2, v54
	ds_store_b32 v2, v1
.LBB375_72:
	s_or_b32 exec_lo, exec_lo, s1
	s_delay_alu instid0(SALU_CYCLE_1)
	s_mov_b32 s0, exec_lo
	s_waitcnt lgkmcnt(0)
	s_barrier
	buffer_gl0_inv
	v_cmpx_gt_u32_e32 8, v0
	s_cbranch_execz .LBB375_74
; %bb.73:
	ds_load_b32 v2, v33
	s_waitcnt lgkmcnt(0)
	v_mov_b32_dpp v4, v2 row_shr:1 row_mask:0xf bank_mask:0xf
	v_and_b32_e32 v3, 7, v53
	s_delay_alu instid0(VALU_DEP_1) | instskip(NEXT) | instid1(VALU_DEP_3)
	v_cmp_ne_u32_e32 vcc_lo, 0, v3
	v_cndmask_b32_e32 v4, 0, v4, vcc_lo
	v_cmp_lt_u32_e32 vcc_lo, 1, v3
	s_delay_alu instid0(VALU_DEP_2) | instskip(NEXT) | instid1(VALU_DEP_1)
	v_add_nc_u32_e32 v2, v4, v2
	v_mov_b32_dpp v4, v2 row_shr:2 row_mask:0xf bank_mask:0xf
	s_delay_alu instid0(VALU_DEP_1) | instskip(SKIP_1) | instid1(VALU_DEP_2)
	v_cndmask_b32_e32 v4, 0, v4, vcc_lo
	v_cmp_lt_u32_e32 vcc_lo, 3, v3
	v_add_nc_u32_e32 v2, v2, v4
	s_delay_alu instid0(VALU_DEP_1) | instskip(NEXT) | instid1(VALU_DEP_1)
	v_mov_b32_dpp v4, v2 row_shr:4 row_mask:0xf bank_mask:0xf
	v_cndmask_b32_e32 v3, 0, v4, vcc_lo
	s_delay_alu instid0(VALU_DEP_1)
	v_add_nc_u32_e32 v2, v2, v3
	ds_store_b32 v33, v2
.LBB375_74:
	s_or_b32 exec_lo, exec_lo, s0
	v_dual_mov_b32 v3, 0 :: v_dual_mov_b32 v2, 0
	s_mov_b32 s0, exec_lo
	s_waitcnt lgkmcnt(0)
	s_barrier
	buffer_gl0_inv
	v_cmpx_lt_u32_e32 31, v0
	s_cbranch_execz .LBB375_76
; %bb.75:
	v_lshl_add_u32 v2, v54, 2, -4
	ds_load_b32 v2, v2
.LBB375_76:
	s_or_b32 exec_lo, exec_lo, s0
	v_add_nc_u32_e32 v4, -1, v53
	s_waitcnt lgkmcnt(0)
	v_add_nc_u32_e32 v1, v2, v1
	ds_load_b32 v16, v3 offset:28
	v_cmp_gt_i32_e32 vcc_lo, 0, v4
	v_cndmask_b32_e32 v4, v4, v53, vcc_lo
	s_delay_alu instid0(VALU_DEP_1)
	v_lshlrev_b32_e32 v4, 2, v4
	ds_bpermute_b32 v1, v4, v1
	s_and_saveexec_b32 s0, s2
	s_cbranch_execz .LBB375_78
; %bb.77:
	v_mov_b32_e32 v3, 0
	v_mov_b32_e32 v17, 2
	s_waitcnt lgkmcnt(1)
	global_store_b64 v3, v[16:17], s[18:19] offset:256
.LBB375_78:
	s_or_b32 exec_lo, exec_lo, s0
	v_cmp_eq_u32_e32 vcc_lo, 0, v53
	s_waitcnt lgkmcnt(0)
	s_waitcnt_vscnt null, 0x0
	s_barrier
	buffer_gl0_inv
	v_mov_b32_e32 v17, 0
	v_cndmask_b32_e32 v1, v1, v2, vcc_lo
	s_delay_alu instid0(VALU_DEP_1) | instskip(NEXT) | instid1(VALU_DEP_1)
	v_cndmask_b32_e64 v1, v1, 0, s2
	v_add_nc_u32_e32 v2, v1, v44
	s_delay_alu instid0(VALU_DEP_1) | instskip(NEXT) | instid1(VALU_DEP_1)
	v_add_nc_u32_e32 v3, v2, v45
	v_add_nc_u32_e32 v4, v3, v46
	s_delay_alu instid0(VALU_DEP_1) | instskip(NEXT) | instid1(VALU_DEP_1)
	v_add_nc_u32_e32 v5, v4, v43
	v_add_nc_u32_e32 v6, v5, v47
	s_delay_alu instid0(VALU_DEP_1) | instskip(NEXT) | instid1(VALU_DEP_1)
	v_add_nc_u32_e32 v7, v6, v48
	v_add_nc_u32_e32 v8, v7, v49
	s_delay_alu instid0(VALU_DEP_1) | instskip(NEXT) | instid1(VALU_DEP_1)
	v_add_nc_u32_e32 v9, v8, v41
	v_add_nc_u32_e32 v10, v9, v50
	s_delay_alu instid0(VALU_DEP_1) | instskip(NEXT) | instid1(VALU_DEP_1)
	v_add_nc_u32_e32 v11, v10, v51
	v_add_nc_u32_e32 v12, v11, v52
	s_delay_alu instid0(VALU_DEP_1)
	v_add_nc_u32_e32 v13, v12, v39
.LBB375_79:
	s_waitcnt lgkmcnt(0)
	v_sub_nc_u32_e32 v1, v1, v17
	v_sub_nc_u32_e32 v2, v2, v17
	v_add_nc_u32_e32 v36, v16, v36
	v_lshrrev_b32_e32 v47, 8, v42
	v_lshrrev_b32_e32 v46, 16, v42
	v_sub_nc_u32_e32 v4, v4, v17
	v_sub_nc_u32_e32 v3, v3, v17
	;; [unrolled: 1-line block ×3, first 2 shown]
	v_and_b32_e32 v42, 1, v42
	v_and_b32_e32 v47, 1, v47
	;; [unrolled: 1-line block ×3, first 2 shown]
	v_lshrrev_b32_e32 v45, 8, v40
	v_lshrrev_b32_e32 v44, 16, v40
	v_cmp_eq_u32_e32 vcc_lo, 1, v42
	v_and_b32_e32 v42, 1, v46
	v_sub_nc_u32_e32 v46, v36, v2
	v_lshrrev_b32_e32 v15, 8, v38
	v_lshrrev_b32_e32 v14, 16, v38
	v_cndmask_b32_e32 v1, v48, v1, vcc_lo
	v_cmp_eq_u32_e32 vcc_lo, 1, v47
	v_add_nc_u32_e32 v46, 1, v46
	s_delay_alu instid0(VALU_DEP_3)
	v_lshlrev_b32_e32 v1, 2, v1
	ds_store_b32 v1, v30
	v_cndmask_b32_e32 v1, v46, v2, vcc_lo
	v_sub_nc_u32_e32 v48, v36, v3
	v_sub_nc_u32_e32 v49, v36, v4
	v_cmp_eq_u32_e32 vcc_lo, 1, v42
	v_or_b32_e32 v30, 0x300, v0
	v_lshlrev_b32_e32 v1, 2, v1
	v_add_nc_u32_e32 v48, 2, v48
	v_add_nc_u32_e32 v49, 3, v49
	ds_store_b32 v1, v31
	v_cndmask_b32_e32 v2, v48, v3, vcc_lo
	v_cmp_eq_u32_e32 vcc_lo, 1, v43
	v_or_b32_e32 v31, 0x200, v0
	s_delay_alu instid0(VALU_DEP_3) | instskip(SKIP_2) | instid1(VALU_DEP_3)
	v_dual_cndmask_b32 v3, v49, v4 :: v_dual_lshlrev_b32 v2, 2, v2
	v_sub_nc_u32_e32 v4, v5, v17
	v_sub_nc_u32_e32 v5, v6, v17
	v_lshlrev_b32_e32 v3, 2, v3
	s_delay_alu instid0(VALU_DEP_3) | instskip(NEXT) | instid1(VALU_DEP_3)
	v_sub_nc_u32_e32 v1, v36, v4
	v_sub_nc_u32_e32 v6, v36, v5
	ds_store_b32 v2, v28
	ds_store_b32 v3, v29
	v_and_b32_e32 v2, 1, v40
	v_add_nc_u32_e32 v1, 4, v1
	v_add_nc_u32_e32 v3, 5, v6
	v_sub_nc_u32_e32 v6, v7, v17
	v_and_b32_e32 v7, 1, v45
	v_cmp_eq_u32_e32 vcc_lo, 1, v2
	v_sub_nc_u32_e32 v2, v8, v17
	v_and_b32_e32 v8, 1, v41
	v_or_b32_e32 v29, 0x400, v0
	v_or_b32_e32 v28, 0x500, v0
	v_cndmask_b32_e32 v1, v1, v4, vcc_lo
	v_sub_nc_u32_e32 v4, v36, v6
	v_cmp_eq_u32_e32 vcc_lo, 1, v7
	v_and_b32_e32 v7, 1, v44
	s_delay_alu instid0(VALU_DEP_4) | instskip(NEXT) | instid1(VALU_DEP_4)
	v_lshlrev_b32_e32 v1, 2, v1
	v_dual_cndmask_b32 v3, v3, v5 :: v_dual_add_nc_u32 v4, 6, v4
	v_sub_nc_u32_e32 v5, v36, v2
	s_delay_alu instid0(VALU_DEP_4) | instskip(SKIP_2) | instid1(VALU_DEP_4)
	v_cmp_eq_u32_e32 vcc_lo, 1, v7
	v_sub_nc_u32_e32 v7, v13, v17
	v_add_co_u32 v13, s0, s16, v32
	v_dual_cndmask_b32 v4, v4, v6 :: v_dual_add_nc_u32 v5, 7, v5
	v_cmp_eq_u32_e32 vcc_lo, 1, v8
	v_sub_nc_u32_e32 v6, v9, v17
	v_lshlrev_b32_e32 v3, 2, v3
	ds_store_b32 v1, v26
	ds_store_b32 v3, v27
	v_cndmask_b32_e32 v2, v5, v2, vcc_lo
	v_sub_nc_u32_e32 v1, v36, v6
	v_lshlrev_b32_e32 v3, 2, v4
	v_and_b32_e32 v5, 1, v38
	v_sub_nc_u32_e32 v4, v10, v17
	v_lshlrev_b32_e32 v2, 2, v2
	v_add_nc_u32_e32 v1, 8, v1
	ds_store_b32 v3, v24
	ds_store_b32 v2, v25
	v_cmp_eq_u32_e32 vcc_lo, 1, v5
	v_sub_nc_u32_e32 v3, v11, v17
	v_sub_nc_u32_e32 v2, v36, v4
	;; [unrolled: 1-line block ×3, first 2 shown]
	v_dual_cndmask_b32 v1, v1, v6 :: v_dual_and_b32 v10, 1, v39
	v_and_b32_e32 v6, 1, v15
	v_sub_nc_u32_e32 v8, v36, v3
	v_add_nc_u32_e32 v2, 9, v2
	v_sub_nc_u32_e32 v9, v36, v5
	v_and_b32_e32 v11, 1, v37
	v_cmp_eq_u32_e32 vcc_lo, 1, v6
	v_add_nc_u32_e32 v6, 10, v8
	v_and_b32_e32 v8, 1, v14
	v_add_nc_u32_e32 v9, 11, v9
	v_dual_cndmask_b32 v2, v2, v4 :: v_dual_lshlrev_b32 v1, 2, v1
	v_sub_nc_u32_e32 v4, v36, v7
	s_delay_alu instid0(VALU_DEP_4) | instskip(SKIP_1) | instid1(VALU_DEP_4)
	v_cmp_eq_u32_e32 vcc_lo, 1, v8
	v_add_co_ci_u32_e64 v14, null, s17, 0, s0
	v_lshlrev_b32_e32 v2, 2, v2
	s_delay_alu instid0(VALU_DEP_4)
	v_dual_cndmask_b32 v3, v6, v3 :: v_dual_add_nc_u32 v4, 12, v4
	v_cmp_eq_u32_e32 vcc_lo, 1, v10
	v_or_b32_e32 v27, 0x600, v0
	v_or_b32_e32 v26, 0x700, v0
	;; [unrolled: 1-line block ×3, first 2 shown]
	v_lshlrev_b32_e32 v3, 2, v3
	v_cndmask_b32_e32 v5, v9, v5, vcc_lo
	v_cmp_eq_u32_e32 vcc_lo, 1, v11
	v_or_b32_e32 v24, 0x900, v0
	s_delay_alu instid0(VALU_DEP_3) | instskip(SKIP_2) | instid1(VALU_DEP_3)
	v_dual_cndmask_b32 v4, v4, v7 :: v_dual_lshlrev_b32 v5, 2, v5
	v_sub_co_u32 v13, vcc_lo, s14, v13
	v_sub_co_ci_u32_e32 v14, vcc_lo, s15, v14, vcc_lo
	v_lshlrev_b32_e32 v4, 2, v4
	ds_store_b32 v1, v22
	ds_store_b32 v2, v23
	;; [unrolled: 1-line block ×5, first 2 shown]
	s_waitcnt lgkmcnt(0)
	s_barrier
	buffer_gl0_inv
	ds_load_2addr_stride64_b32 v[11:12], v33 offset1:4
	ds_load_2addr_stride64_b32 v[9:10], v33 offset0:8 offset1:12
	ds_load_2addr_stride64_b32 v[7:8], v33 offset0:16 offset1:20
	;; [unrolled: 1-line block ×5, first 2 shown]
	ds_load_b32 v20, v33 offset:12288
	v_add_co_u32 v15, vcc_lo, v18, v17
	v_add_co_ci_u32_e32 v17, vcc_lo, 0, v19, vcc_lo
	v_add_co_u32 v13, vcc_lo, v13, v16
	v_add_co_ci_u32_e32 v14, vcc_lo, 0, v14, vcc_lo
	v_cmp_ne_u32_e32 vcc_lo, 1, v34
	s_delay_alu instid0(VALU_DEP_3)
	v_add_co_u32 v18, s0, v13, v15
	v_or_b32_e32 v35, 0x100, v0
	v_or_b32_e32 v23, 0xa00, v0
	;; [unrolled: 1-line block ×4, first 2 shown]
	v_add_co_ci_u32_e64 v19, s0, v14, v17, s0
	s_mov_b32 s0, 0
	s_cbranch_vccnz .LBB375_136
; %bb.80:
	s_mov_b32 s0, exec_lo
                                        ; implicit-def: $vgpr13_vgpr14
	v_cmpx_ge_u32_e64 v0, v16
	s_xor_b32 s0, exec_lo, s0
; %bb.81:
	v_not_b32_e32 v13, v0
	s_delay_alu instid0(VALU_DEP_1) | instskip(SKIP_1) | instid1(VALU_DEP_2)
	v_ashrrev_i32_e32 v14, 31, v13
	v_add_co_u32 v13, vcc_lo, v18, v13
	v_add_co_ci_u32_e32 v14, vcc_lo, v19, v14, vcc_lo
; %bb.82:
	s_and_not1_saveexec_b32 s0, s0
; %bb.83:
	v_add_co_u32 v13, vcc_lo, v15, v0
	v_add_co_ci_u32_e32 v14, vcc_lo, 0, v17, vcc_lo
; %bb.84:
	s_or_b32 exec_lo, exec_lo, s0
	s_delay_alu instid0(VALU_DEP_1) | instskip(SKIP_1) | instid1(VALU_DEP_1)
	v_lshlrev_b64 v[13:14], 2, v[13:14]
	s_mov_b32 s0, exec_lo
	v_add_co_u32 v13, vcc_lo, s12, v13
	s_delay_alu instid0(VALU_DEP_2)
	v_add_co_ci_u32_e32 v14, vcc_lo, s13, v14, vcc_lo
	s_waitcnt lgkmcnt(6)
	global_store_b32 v[13:14], v11, off
                                        ; implicit-def: $vgpr13_vgpr14
	v_cmpx_ge_u32_e64 v35, v16
	s_xor_b32 s0, exec_lo, s0
; %bb.85:
	v_xor_b32_e32 v13, 0xfffffeff, v0
	s_delay_alu instid0(VALU_DEP_1) | instskip(SKIP_1) | instid1(VALU_DEP_2)
	v_ashrrev_i32_e32 v14, 31, v13
	v_add_co_u32 v13, vcc_lo, v18, v13
	v_add_co_ci_u32_e32 v14, vcc_lo, v19, v14, vcc_lo
; %bb.86:
	s_and_not1_saveexec_b32 s0, s0
; %bb.87:
	v_add_co_u32 v13, vcc_lo, v15, v35
	v_add_co_ci_u32_e32 v14, vcc_lo, 0, v17, vcc_lo
; %bb.88:
	s_or_b32 exec_lo, exec_lo, s0
	s_delay_alu instid0(VALU_DEP_1) | instskip(SKIP_1) | instid1(VALU_DEP_1)
	v_lshlrev_b64 v[13:14], 2, v[13:14]
	s_mov_b32 s0, exec_lo
	v_add_co_u32 v13, vcc_lo, s12, v13
	s_delay_alu instid0(VALU_DEP_2)
	v_add_co_ci_u32_e32 v14, vcc_lo, s13, v14, vcc_lo
	global_store_b32 v[13:14], v12, off
                                        ; implicit-def: $vgpr13_vgpr14
	v_cmpx_ge_u32_e64 v31, v16
	s_xor_b32 s0, exec_lo, s0
; %bb.89:
	v_xor_b32_e32 v13, 0xfffffdff, v0
	s_delay_alu instid0(VALU_DEP_1) | instskip(SKIP_1) | instid1(VALU_DEP_2)
	v_ashrrev_i32_e32 v14, 31, v13
	v_add_co_u32 v13, vcc_lo, v18, v13
	v_add_co_ci_u32_e32 v14, vcc_lo, v19, v14, vcc_lo
; %bb.90:
	s_and_not1_saveexec_b32 s0, s0
; %bb.91:
	v_add_co_u32 v13, vcc_lo, v15, v31
	v_add_co_ci_u32_e32 v14, vcc_lo, 0, v17, vcc_lo
; %bb.92:
	s_or_b32 exec_lo, exec_lo, s0
	s_delay_alu instid0(VALU_DEP_1) | instskip(SKIP_1) | instid1(VALU_DEP_1)
	v_lshlrev_b64 v[13:14], 2, v[13:14]
	s_mov_b32 s0, exec_lo
	v_add_co_u32 v13, vcc_lo, s12, v13
	s_delay_alu instid0(VALU_DEP_2)
	v_add_co_ci_u32_e32 v14, vcc_lo, s13, v14, vcc_lo
	s_waitcnt lgkmcnt(5)
	global_store_b32 v[13:14], v9, off
                                        ; implicit-def: $vgpr13_vgpr14
	v_cmpx_ge_u32_e64 v30, v16
	s_xor_b32 s0, exec_lo, s0
; %bb.93:
	v_xor_b32_e32 v13, 0xfffffcff, v0
	s_delay_alu instid0(VALU_DEP_1) | instskip(SKIP_1) | instid1(VALU_DEP_2)
	v_ashrrev_i32_e32 v14, 31, v13
	v_add_co_u32 v13, vcc_lo, v18, v13
	v_add_co_ci_u32_e32 v14, vcc_lo, v19, v14, vcc_lo
; %bb.94:
	s_and_not1_saveexec_b32 s0, s0
; %bb.95:
	v_add_co_u32 v13, vcc_lo, v15, v30
	v_add_co_ci_u32_e32 v14, vcc_lo, 0, v17, vcc_lo
; %bb.96:
	s_or_b32 exec_lo, exec_lo, s0
	s_delay_alu instid0(VALU_DEP_1) | instskip(SKIP_1) | instid1(VALU_DEP_1)
	v_lshlrev_b64 v[13:14], 2, v[13:14]
	s_mov_b32 s0, exec_lo
	v_add_co_u32 v13, vcc_lo, s12, v13
	s_delay_alu instid0(VALU_DEP_2)
	v_add_co_ci_u32_e32 v14, vcc_lo, s13, v14, vcc_lo
	global_store_b32 v[13:14], v10, off
                                        ; implicit-def: $vgpr13_vgpr14
	v_cmpx_ge_u32_e64 v29, v16
	s_xor_b32 s0, exec_lo, s0
; %bb.97:
	v_xor_b32_e32 v13, 0xfffffbff, v0
	;; [unrolled: 47-line block ×6, first 2 shown]
	s_delay_alu instid0(VALU_DEP_1) | instskip(SKIP_1) | instid1(VALU_DEP_2)
	v_ashrrev_i32_e32 v14, 31, v13
	v_add_co_u32 v13, vcc_lo, v18, v13
	v_add_co_ci_u32_e32 v14, vcc_lo, v19, v14, vcc_lo
; %bb.130:
	s_and_not1_saveexec_b32 s0, s0
; %bb.131:
	v_add_co_u32 v13, vcc_lo, v15, v21
	v_add_co_ci_u32_e32 v14, vcc_lo, 0, v17, vcc_lo
; %bb.132:
	s_or_b32 exec_lo, exec_lo, s0
	s_mov_b32 s0, -1
.LBB375_133:
	s_delay_alu instid0(SALU_CYCLE_1)
	s_and_saveexec_b32 s1, s0
	s_cbranch_execz .LBB375_216
.LBB375_134:
	s_waitcnt lgkmcnt(1)
	v_lshlrev_b64 v[0:1], 2, v[13:14]
	s_delay_alu instid0(VALU_DEP_1) | instskip(NEXT) | instid1(VALU_DEP_2)
	v_add_co_u32 v0, vcc_lo, s12, v0
	v_add_co_ci_u32_e32 v1, vcc_lo, s13, v1, vcc_lo
	s_waitcnt lgkmcnt(0)
	global_store_b32 v[0:1], v20, off
	s_or_b32 exec_lo, exec_lo, s1
	s_and_b32 s0, s2, s10
	s_delay_alu instid0(SALU_CYCLE_1)
	s_and_saveexec_b32 s1, s0
	s_cbranch_execnz .LBB375_217
.LBB375_135:
	s_nop 0
	s_sendmsg sendmsg(MSG_DEALLOC_VGPRS)
	s_endpgm
.LBB375_136:
                                        ; implicit-def: $vgpr13_vgpr14
	s_cbranch_execz .LBB375_133
; %bb.137:
	s_mov_b32 s1, exec_lo
	v_cmpx_gt_u32_e64 s11, v0
	s_cbranch_execz .LBB375_173
; %bb.138:
	s_mov_b32 s3, exec_lo
                                        ; implicit-def: $vgpr13_vgpr14
	v_cmpx_ge_u32_e64 v0, v16
	s_xor_b32 s3, exec_lo, s3
; %bb.139:
	v_not_b32_e32 v13, v0
	s_delay_alu instid0(VALU_DEP_1) | instskip(SKIP_1) | instid1(VALU_DEP_2)
	v_ashrrev_i32_e32 v14, 31, v13
	v_add_co_u32 v13, vcc_lo, v18, v13
	v_add_co_ci_u32_e32 v14, vcc_lo, v19, v14, vcc_lo
; %bb.140:
	s_and_not1_saveexec_b32 s3, s3
; %bb.141:
	v_add_co_u32 v13, vcc_lo, v15, v0
	v_add_co_ci_u32_e32 v14, vcc_lo, 0, v17, vcc_lo
; %bb.142:
	s_or_b32 exec_lo, exec_lo, s3
	s_delay_alu instid0(VALU_DEP_1) | instskip(NEXT) | instid1(VALU_DEP_1)
	v_lshlrev_b64 v[13:14], 2, v[13:14]
	v_add_co_u32 v13, vcc_lo, s12, v13
	s_delay_alu instid0(VALU_DEP_2) | instskip(SKIP_3) | instid1(SALU_CYCLE_1)
	v_add_co_ci_u32_e32 v14, vcc_lo, s13, v14, vcc_lo
	s_waitcnt lgkmcnt(6)
	global_store_b32 v[13:14], v11, off
	s_or_b32 exec_lo, exec_lo, s1
	s_mov_b32 s1, exec_lo
	v_cmpx_gt_u32_e64 s11, v35
	s_cbranch_execnz .LBB375_174
.LBB375_143:
	s_or_b32 exec_lo, exec_lo, s1
	s_delay_alu instid0(SALU_CYCLE_1)
	s_mov_b32 s1, exec_lo
	v_cmpx_gt_u32_e64 s11, v31
	s_cbranch_execz .LBB375_179
.LBB375_144:
	s_mov_b32 s3, exec_lo
                                        ; implicit-def: $vgpr11_vgpr12
	v_cmpx_ge_u32_e64 v31, v16
	s_xor_b32 s3, exec_lo, s3
	s_cbranch_execz .LBB375_146
; %bb.145:
	s_waitcnt lgkmcnt(6)
	v_xor_b32_e32 v11, 0xfffffdff, v0
                                        ; implicit-def: $vgpr31
	s_delay_alu instid0(VALU_DEP_1) | instskip(SKIP_1) | instid1(VALU_DEP_2)
	v_ashrrev_i32_e32 v12, 31, v11
	v_add_co_u32 v11, vcc_lo, v18, v11
	v_add_co_ci_u32_e32 v12, vcc_lo, v19, v12, vcc_lo
.LBB375_146:
	s_and_not1_saveexec_b32 s3, s3
	s_cbranch_execz .LBB375_148
; %bb.147:
	s_waitcnt lgkmcnt(6)
	v_add_co_u32 v11, vcc_lo, v15, v31
	v_add_co_ci_u32_e32 v12, vcc_lo, 0, v17, vcc_lo
.LBB375_148:
	s_or_b32 exec_lo, exec_lo, s3
	s_waitcnt lgkmcnt(6)
	s_delay_alu instid0(VALU_DEP_1) | instskip(NEXT) | instid1(VALU_DEP_1)
	v_lshlrev_b64 v[11:12], 2, v[11:12]
	v_add_co_u32 v11, vcc_lo, s12, v11
	s_delay_alu instid0(VALU_DEP_2) | instskip(SKIP_3) | instid1(SALU_CYCLE_1)
	v_add_co_ci_u32_e32 v12, vcc_lo, s13, v12, vcc_lo
	s_waitcnt lgkmcnt(5)
	global_store_b32 v[11:12], v9, off
	s_or_b32 exec_lo, exec_lo, s1
	s_mov_b32 s1, exec_lo
	v_cmpx_gt_u32_e64 s11, v30
	s_cbranch_execnz .LBB375_180
.LBB375_149:
	s_or_b32 exec_lo, exec_lo, s1
	s_delay_alu instid0(SALU_CYCLE_1)
	s_mov_b32 s1, exec_lo
	v_cmpx_gt_u32_e64 s11, v29
	s_cbranch_execz .LBB375_185
.LBB375_150:
	s_mov_b32 s3, exec_lo
                                        ; implicit-def: $vgpr9_vgpr10
	v_cmpx_ge_u32_e64 v29, v16
	s_xor_b32 s3, exec_lo, s3
	s_cbranch_execz .LBB375_152
; %bb.151:
	s_waitcnt lgkmcnt(5)
	v_xor_b32_e32 v9, 0xfffffbff, v0
                                        ; implicit-def: $vgpr29
	s_delay_alu instid0(VALU_DEP_1) | instskip(SKIP_1) | instid1(VALU_DEP_2)
	v_ashrrev_i32_e32 v10, 31, v9
	v_add_co_u32 v9, vcc_lo, v18, v9
	v_add_co_ci_u32_e32 v10, vcc_lo, v19, v10, vcc_lo
.LBB375_152:
	s_and_not1_saveexec_b32 s3, s3
	s_cbranch_execz .LBB375_154
; %bb.153:
	s_waitcnt lgkmcnt(5)
	v_add_co_u32 v9, vcc_lo, v15, v29
	v_add_co_ci_u32_e32 v10, vcc_lo, 0, v17, vcc_lo
.LBB375_154:
	s_or_b32 exec_lo, exec_lo, s3
	s_waitcnt lgkmcnt(5)
	s_delay_alu instid0(VALU_DEP_1) | instskip(NEXT) | instid1(VALU_DEP_1)
	v_lshlrev_b64 v[9:10], 2, v[9:10]
	v_add_co_u32 v9, vcc_lo, s12, v9
	s_delay_alu instid0(VALU_DEP_2) | instskip(SKIP_3) | instid1(SALU_CYCLE_1)
	v_add_co_ci_u32_e32 v10, vcc_lo, s13, v10, vcc_lo
	s_waitcnt lgkmcnt(4)
	global_store_b32 v[9:10], v7, off
	s_or_b32 exec_lo, exec_lo, s1
	s_mov_b32 s1, exec_lo
	v_cmpx_gt_u32_e64 s11, v28
	s_cbranch_execnz .LBB375_186
.LBB375_155:
	s_or_b32 exec_lo, exec_lo, s1
	s_delay_alu instid0(SALU_CYCLE_1)
	s_mov_b32 s1, exec_lo
	v_cmpx_gt_u32_e64 s11, v27
	s_cbranch_execz .LBB375_191
.LBB375_156:
	s_mov_b32 s3, exec_lo
                                        ; implicit-def: $vgpr7_vgpr8
	v_cmpx_ge_u32_e64 v27, v16
	s_xor_b32 s3, exec_lo, s3
	s_cbranch_execz .LBB375_158
; %bb.157:
	s_waitcnt lgkmcnt(4)
	v_xor_b32_e32 v7, 0xfffff9ff, v0
                                        ; implicit-def: $vgpr27
	s_delay_alu instid0(VALU_DEP_1) | instskip(SKIP_1) | instid1(VALU_DEP_2)
	v_ashrrev_i32_e32 v8, 31, v7
	v_add_co_u32 v7, vcc_lo, v18, v7
	v_add_co_ci_u32_e32 v8, vcc_lo, v19, v8, vcc_lo
.LBB375_158:
	s_and_not1_saveexec_b32 s3, s3
	s_cbranch_execz .LBB375_160
; %bb.159:
	s_waitcnt lgkmcnt(4)
	v_add_co_u32 v7, vcc_lo, v15, v27
	v_add_co_ci_u32_e32 v8, vcc_lo, 0, v17, vcc_lo
.LBB375_160:
	s_or_b32 exec_lo, exec_lo, s3
	s_waitcnt lgkmcnt(4)
	s_delay_alu instid0(VALU_DEP_1) | instskip(NEXT) | instid1(VALU_DEP_1)
	v_lshlrev_b64 v[7:8], 2, v[7:8]
	v_add_co_u32 v7, vcc_lo, s12, v7
	s_delay_alu instid0(VALU_DEP_2) | instskip(SKIP_3) | instid1(SALU_CYCLE_1)
	v_add_co_ci_u32_e32 v8, vcc_lo, s13, v8, vcc_lo
	s_waitcnt lgkmcnt(3)
	global_store_b32 v[7:8], v5, off
	s_or_b32 exec_lo, exec_lo, s1
	s_mov_b32 s1, exec_lo
	v_cmpx_gt_u32_e64 s11, v26
	s_cbranch_execnz .LBB375_192
.LBB375_161:
	s_or_b32 exec_lo, exec_lo, s1
	s_delay_alu instid0(SALU_CYCLE_1)
	s_mov_b32 s1, exec_lo
	v_cmpx_gt_u32_e64 s11, v25
	s_cbranch_execz .LBB375_197
.LBB375_162:
	s_mov_b32 s3, exec_lo
                                        ; implicit-def: $vgpr5_vgpr6
	v_cmpx_ge_u32_e64 v25, v16
	s_xor_b32 s3, exec_lo, s3
	s_cbranch_execz .LBB375_164
; %bb.163:
	s_waitcnt lgkmcnt(3)
	v_xor_b32_e32 v5, 0xfffff7ff, v0
                                        ; implicit-def: $vgpr25
	s_delay_alu instid0(VALU_DEP_1) | instskip(SKIP_1) | instid1(VALU_DEP_2)
	v_ashrrev_i32_e32 v6, 31, v5
	v_add_co_u32 v5, vcc_lo, v18, v5
	v_add_co_ci_u32_e32 v6, vcc_lo, v19, v6, vcc_lo
.LBB375_164:
	s_and_not1_saveexec_b32 s3, s3
	s_cbranch_execz .LBB375_166
; %bb.165:
	s_waitcnt lgkmcnt(3)
	v_add_co_u32 v5, vcc_lo, v15, v25
	v_add_co_ci_u32_e32 v6, vcc_lo, 0, v17, vcc_lo
.LBB375_166:
	s_or_b32 exec_lo, exec_lo, s3
	s_waitcnt lgkmcnt(3)
	s_delay_alu instid0(VALU_DEP_1) | instskip(NEXT) | instid1(VALU_DEP_1)
	v_lshlrev_b64 v[5:6], 2, v[5:6]
	v_add_co_u32 v5, vcc_lo, s12, v5
	s_delay_alu instid0(VALU_DEP_2) | instskip(SKIP_3) | instid1(SALU_CYCLE_1)
	v_add_co_ci_u32_e32 v6, vcc_lo, s13, v6, vcc_lo
	s_waitcnt lgkmcnt(2)
	global_store_b32 v[5:6], v3, off
	s_or_b32 exec_lo, exec_lo, s1
	s_mov_b32 s1, exec_lo
	v_cmpx_gt_u32_e64 s11, v24
	s_cbranch_execnz .LBB375_198
.LBB375_167:
	s_or_b32 exec_lo, exec_lo, s1
	s_delay_alu instid0(SALU_CYCLE_1)
	s_mov_b32 s1, exec_lo
	v_cmpx_gt_u32_e64 s11, v23
	s_cbranch_execz .LBB375_203
.LBB375_168:
	s_mov_b32 s3, exec_lo
                                        ; implicit-def: $vgpr3_vgpr4
	v_cmpx_ge_u32_e64 v23, v16
	s_xor_b32 s3, exec_lo, s3
	s_cbranch_execz .LBB375_170
; %bb.169:
	s_waitcnt lgkmcnt(2)
	v_xor_b32_e32 v3, 0xfffff5ff, v0
                                        ; implicit-def: $vgpr23
	s_delay_alu instid0(VALU_DEP_1) | instskip(SKIP_1) | instid1(VALU_DEP_2)
	v_ashrrev_i32_e32 v4, 31, v3
	v_add_co_u32 v3, vcc_lo, v18, v3
	v_add_co_ci_u32_e32 v4, vcc_lo, v19, v4, vcc_lo
.LBB375_170:
	s_and_not1_saveexec_b32 s3, s3
	s_cbranch_execz .LBB375_172
; %bb.171:
	s_waitcnt lgkmcnt(2)
	v_add_co_u32 v3, vcc_lo, v15, v23
	v_add_co_ci_u32_e32 v4, vcc_lo, 0, v17, vcc_lo
.LBB375_172:
	s_or_b32 exec_lo, exec_lo, s3
	s_waitcnt lgkmcnt(2)
	s_delay_alu instid0(VALU_DEP_1) | instskip(NEXT) | instid1(VALU_DEP_1)
	v_lshlrev_b64 v[3:4], 2, v[3:4]
	v_add_co_u32 v3, vcc_lo, s12, v3
	s_delay_alu instid0(VALU_DEP_2) | instskip(SKIP_3) | instid1(SALU_CYCLE_1)
	v_add_co_ci_u32_e32 v4, vcc_lo, s13, v4, vcc_lo
	s_waitcnt lgkmcnt(1)
	global_store_b32 v[3:4], v1, off
	s_or_b32 exec_lo, exec_lo, s1
	s_mov_b32 s1, exec_lo
	v_cmpx_gt_u32_e64 s11, v22
	s_cbranch_execz .LBB375_209
	s_branch .LBB375_204
.LBB375_173:
	s_or_b32 exec_lo, exec_lo, s1
	s_delay_alu instid0(SALU_CYCLE_1)
	s_mov_b32 s1, exec_lo
	v_cmpx_gt_u32_e64 s11, v35
	s_cbranch_execz .LBB375_143
.LBB375_174:
	s_mov_b32 s3, exec_lo
                                        ; implicit-def: $vgpr13_vgpr14
	v_cmpx_ge_u32_e64 v35, v16
	s_xor_b32 s3, exec_lo, s3
	s_cbranch_execz .LBB375_176
; %bb.175:
	s_waitcnt lgkmcnt(6)
	v_xor_b32_e32 v11, 0xfffffeff, v0
                                        ; implicit-def: $vgpr35
	s_delay_alu instid0(VALU_DEP_1) | instskip(SKIP_1) | instid1(VALU_DEP_2)
	v_ashrrev_i32_e32 v14, 31, v11
	v_add_co_u32 v13, vcc_lo, v18, v11
	v_add_co_ci_u32_e32 v14, vcc_lo, v19, v14, vcc_lo
.LBB375_176:
	s_and_not1_saveexec_b32 s3, s3
; %bb.177:
	v_add_co_u32 v13, vcc_lo, v15, v35
	v_add_co_ci_u32_e32 v14, vcc_lo, 0, v17, vcc_lo
; %bb.178:
	s_or_b32 exec_lo, exec_lo, s3
	s_delay_alu instid0(VALU_DEP_1) | instskip(NEXT) | instid1(VALU_DEP_1)
	v_lshlrev_b64 v[13:14], 2, v[13:14]
	v_add_co_u32 v13, vcc_lo, s12, v13
	s_delay_alu instid0(VALU_DEP_2) | instskip(SKIP_3) | instid1(SALU_CYCLE_1)
	v_add_co_ci_u32_e32 v14, vcc_lo, s13, v14, vcc_lo
	s_waitcnt lgkmcnt(6)
	global_store_b32 v[13:14], v12, off
	s_or_b32 exec_lo, exec_lo, s1
	s_mov_b32 s1, exec_lo
	v_cmpx_gt_u32_e64 s11, v31
	s_cbranch_execnz .LBB375_144
.LBB375_179:
	s_or_b32 exec_lo, exec_lo, s1
	s_delay_alu instid0(SALU_CYCLE_1)
	s_mov_b32 s1, exec_lo
	v_cmpx_gt_u32_e64 s11, v30
	s_cbranch_execz .LBB375_149
.LBB375_180:
	s_mov_b32 s3, exec_lo
                                        ; implicit-def: $vgpr11_vgpr12
	v_cmpx_ge_u32_e64 v30, v16
	s_xor_b32 s3, exec_lo, s3
	s_cbranch_execz .LBB375_182
; %bb.181:
	s_waitcnt lgkmcnt(5)
	v_xor_b32_e32 v9, 0xfffffcff, v0
                                        ; implicit-def: $vgpr30
	s_delay_alu instid0(VALU_DEP_1) | instskip(SKIP_1) | instid1(VALU_DEP_2)
	v_ashrrev_i32_e32 v12, 31, v9
	v_add_co_u32 v11, vcc_lo, v18, v9
	v_add_co_ci_u32_e32 v12, vcc_lo, v19, v12, vcc_lo
.LBB375_182:
	s_and_not1_saveexec_b32 s3, s3
	s_cbranch_execz .LBB375_184
; %bb.183:
	s_waitcnt lgkmcnt(6)
	v_add_co_u32 v11, vcc_lo, v15, v30
	v_add_co_ci_u32_e32 v12, vcc_lo, 0, v17, vcc_lo
.LBB375_184:
	s_or_b32 exec_lo, exec_lo, s3
	s_waitcnt lgkmcnt(6)
	s_delay_alu instid0(VALU_DEP_1) | instskip(NEXT) | instid1(VALU_DEP_1)
	v_lshlrev_b64 v[11:12], 2, v[11:12]
	v_add_co_u32 v11, vcc_lo, s12, v11
	s_delay_alu instid0(VALU_DEP_2) | instskip(SKIP_3) | instid1(SALU_CYCLE_1)
	v_add_co_ci_u32_e32 v12, vcc_lo, s13, v12, vcc_lo
	s_waitcnt lgkmcnt(5)
	global_store_b32 v[11:12], v10, off
	s_or_b32 exec_lo, exec_lo, s1
	s_mov_b32 s1, exec_lo
	v_cmpx_gt_u32_e64 s11, v29
	s_cbranch_execnz .LBB375_150
.LBB375_185:
	s_or_b32 exec_lo, exec_lo, s1
	s_delay_alu instid0(SALU_CYCLE_1)
	s_mov_b32 s1, exec_lo
	v_cmpx_gt_u32_e64 s11, v28
	s_cbranch_execz .LBB375_155
.LBB375_186:
	s_mov_b32 s3, exec_lo
                                        ; implicit-def: $vgpr9_vgpr10
	v_cmpx_ge_u32_e64 v28, v16
	s_xor_b32 s3, exec_lo, s3
	s_cbranch_execz .LBB375_188
; %bb.187:
	s_waitcnt lgkmcnt(4)
	v_xor_b32_e32 v7, 0xfffffaff, v0
                                        ; implicit-def: $vgpr28
	s_delay_alu instid0(VALU_DEP_1) | instskip(SKIP_1) | instid1(VALU_DEP_2)
	v_ashrrev_i32_e32 v10, 31, v7
	v_add_co_u32 v9, vcc_lo, v18, v7
	v_add_co_ci_u32_e32 v10, vcc_lo, v19, v10, vcc_lo
.LBB375_188:
	s_and_not1_saveexec_b32 s3, s3
	s_cbranch_execz .LBB375_190
; %bb.189:
	s_waitcnt lgkmcnt(5)
	v_add_co_u32 v9, vcc_lo, v15, v28
	v_add_co_ci_u32_e32 v10, vcc_lo, 0, v17, vcc_lo
.LBB375_190:
	s_or_b32 exec_lo, exec_lo, s3
	s_waitcnt lgkmcnt(5)
	s_delay_alu instid0(VALU_DEP_1) | instskip(NEXT) | instid1(VALU_DEP_1)
	v_lshlrev_b64 v[9:10], 2, v[9:10]
	v_add_co_u32 v9, vcc_lo, s12, v9
	s_delay_alu instid0(VALU_DEP_2) | instskip(SKIP_3) | instid1(SALU_CYCLE_1)
	v_add_co_ci_u32_e32 v10, vcc_lo, s13, v10, vcc_lo
	s_waitcnt lgkmcnt(4)
	global_store_b32 v[9:10], v8, off
	s_or_b32 exec_lo, exec_lo, s1
	s_mov_b32 s1, exec_lo
	v_cmpx_gt_u32_e64 s11, v27
	s_cbranch_execnz .LBB375_156
.LBB375_191:
	s_or_b32 exec_lo, exec_lo, s1
	s_delay_alu instid0(SALU_CYCLE_1)
	s_mov_b32 s1, exec_lo
	v_cmpx_gt_u32_e64 s11, v26
	s_cbranch_execz .LBB375_161
.LBB375_192:
	s_mov_b32 s3, exec_lo
                                        ; implicit-def: $vgpr7_vgpr8
	v_cmpx_ge_u32_e64 v26, v16
	s_xor_b32 s3, exec_lo, s3
	s_cbranch_execz .LBB375_194
; %bb.193:
	s_waitcnt lgkmcnt(3)
	v_xor_b32_e32 v5, 0xfffff8ff, v0
                                        ; implicit-def: $vgpr26
	s_delay_alu instid0(VALU_DEP_1) | instskip(SKIP_1) | instid1(VALU_DEP_2)
	v_ashrrev_i32_e32 v8, 31, v5
	v_add_co_u32 v7, vcc_lo, v18, v5
	v_add_co_ci_u32_e32 v8, vcc_lo, v19, v8, vcc_lo
.LBB375_194:
	s_and_not1_saveexec_b32 s3, s3
	s_cbranch_execz .LBB375_196
; %bb.195:
	s_waitcnt lgkmcnt(4)
	v_add_co_u32 v7, vcc_lo, v15, v26
	v_add_co_ci_u32_e32 v8, vcc_lo, 0, v17, vcc_lo
.LBB375_196:
	s_or_b32 exec_lo, exec_lo, s3
	s_waitcnt lgkmcnt(4)
	s_delay_alu instid0(VALU_DEP_1) | instskip(NEXT) | instid1(VALU_DEP_1)
	v_lshlrev_b64 v[7:8], 2, v[7:8]
	v_add_co_u32 v7, vcc_lo, s12, v7
	s_delay_alu instid0(VALU_DEP_2) | instskip(SKIP_3) | instid1(SALU_CYCLE_1)
	v_add_co_ci_u32_e32 v8, vcc_lo, s13, v8, vcc_lo
	s_waitcnt lgkmcnt(3)
	global_store_b32 v[7:8], v6, off
	s_or_b32 exec_lo, exec_lo, s1
	s_mov_b32 s1, exec_lo
	v_cmpx_gt_u32_e64 s11, v25
	s_cbranch_execnz .LBB375_162
.LBB375_197:
	s_or_b32 exec_lo, exec_lo, s1
	s_delay_alu instid0(SALU_CYCLE_1)
	s_mov_b32 s1, exec_lo
	v_cmpx_gt_u32_e64 s11, v24
	s_cbranch_execz .LBB375_167
.LBB375_198:
	s_mov_b32 s3, exec_lo
                                        ; implicit-def: $vgpr5_vgpr6
	v_cmpx_ge_u32_e64 v24, v16
	s_xor_b32 s3, exec_lo, s3
	s_cbranch_execz .LBB375_200
; %bb.199:
	s_waitcnt lgkmcnt(2)
	v_xor_b32_e32 v3, 0xfffff6ff, v0
                                        ; implicit-def: $vgpr24
	s_delay_alu instid0(VALU_DEP_1) | instskip(SKIP_1) | instid1(VALU_DEP_2)
	v_ashrrev_i32_e32 v6, 31, v3
	v_add_co_u32 v5, vcc_lo, v18, v3
	v_add_co_ci_u32_e32 v6, vcc_lo, v19, v6, vcc_lo
.LBB375_200:
	s_and_not1_saveexec_b32 s3, s3
	s_cbranch_execz .LBB375_202
; %bb.201:
	s_waitcnt lgkmcnt(3)
	v_add_co_u32 v5, vcc_lo, v15, v24
	v_add_co_ci_u32_e32 v6, vcc_lo, 0, v17, vcc_lo
.LBB375_202:
	s_or_b32 exec_lo, exec_lo, s3
	s_waitcnt lgkmcnt(3)
	s_delay_alu instid0(VALU_DEP_1) | instskip(NEXT) | instid1(VALU_DEP_1)
	v_lshlrev_b64 v[5:6], 2, v[5:6]
	v_add_co_u32 v5, vcc_lo, s12, v5
	s_delay_alu instid0(VALU_DEP_2) | instskip(SKIP_3) | instid1(SALU_CYCLE_1)
	v_add_co_ci_u32_e32 v6, vcc_lo, s13, v6, vcc_lo
	s_waitcnt lgkmcnt(2)
	global_store_b32 v[5:6], v4, off
	s_or_b32 exec_lo, exec_lo, s1
	s_mov_b32 s1, exec_lo
	v_cmpx_gt_u32_e64 s11, v23
	s_cbranch_execnz .LBB375_168
.LBB375_203:
	s_or_b32 exec_lo, exec_lo, s1
	s_delay_alu instid0(SALU_CYCLE_1)
	s_mov_b32 s1, exec_lo
	v_cmpx_gt_u32_e64 s11, v22
	s_cbranch_execz .LBB375_209
.LBB375_204:
	s_mov_b32 s3, exec_lo
                                        ; implicit-def: $vgpr3_vgpr4
	v_cmpx_ge_u32_e64 v22, v16
	s_xor_b32 s3, exec_lo, s3
	s_cbranch_execz .LBB375_206
; %bb.205:
	s_waitcnt lgkmcnt(1)
	v_xor_b32_e32 v1, 0xfffff4ff, v0
                                        ; implicit-def: $vgpr22
	s_delay_alu instid0(VALU_DEP_1) | instskip(SKIP_1) | instid1(VALU_DEP_2)
	v_ashrrev_i32_e32 v4, 31, v1
	v_add_co_u32 v3, vcc_lo, v18, v1
	v_add_co_ci_u32_e32 v4, vcc_lo, v19, v4, vcc_lo
.LBB375_206:
	s_and_not1_saveexec_b32 s3, s3
	s_cbranch_execz .LBB375_208
; %bb.207:
	s_waitcnt lgkmcnt(2)
	v_add_co_u32 v3, vcc_lo, v15, v22
	v_add_co_ci_u32_e32 v4, vcc_lo, 0, v17, vcc_lo
.LBB375_208:
	s_or_b32 exec_lo, exec_lo, s3
	s_waitcnt lgkmcnt(2)
	s_delay_alu instid0(VALU_DEP_1) | instskip(NEXT) | instid1(VALU_DEP_1)
	v_lshlrev_b64 v[3:4], 2, v[3:4]
	v_add_co_u32 v3, vcc_lo, s12, v3
	s_delay_alu instid0(VALU_DEP_2)
	v_add_co_ci_u32_e32 v4, vcc_lo, s13, v4, vcc_lo
	s_waitcnt lgkmcnt(1)
	global_store_b32 v[3:4], v2, off
.LBB375_209:
	s_or_b32 exec_lo, exec_lo, s1
	s_delay_alu instid0(SALU_CYCLE_1)
	s_mov_b32 s1, exec_lo
                                        ; implicit-def: $vgpr13_vgpr14
	v_cmpx_gt_u32_e64 s11, v21
	s_cbranch_execz .LBB375_215
; %bb.210:
	s_mov_b32 s3, exec_lo
                                        ; implicit-def: $vgpr13_vgpr14
	v_cmpx_ge_u32_e64 v21, v16
	s_xor_b32 s3, exec_lo, s3
	s_cbranch_execz .LBB375_212
; %bb.211:
	v_xor_b32_e32 v0, 0xfffff3ff, v0
                                        ; implicit-def: $vgpr21
	s_waitcnt lgkmcnt(1)
	s_delay_alu instid0(VALU_DEP_1) | instskip(SKIP_1) | instid1(VALU_DEP_2)
	v_ashrrev_i32_e32 v1, 31, v0
	v_add_co_u32 v13, vcc_lo, v18, v0
	v_add_co_ci_u32_e32 v14, vcc_lo, v19, v1, vcc_lo
.LBB375_212:
	s_and_not1_saveexec_b32 s3, s3
; %bb.213:
	v_add_co_u32 v13, vcc_lo, v15, v21
	v_add_co_ci_u32_e32 v14, vcc_lo, 0, v17, vcc_lo
; %bb.214:
	s_or_b32 exec_lo, exec_lo, s3
	s_delay_alu instid0(SALU_CYCLE_1)
	s_or_b32 s0, s0, exec_lo
.LBB375_215:
	s_or_b32 exec_lo, exec_lo, s1
	s_and_saveexec_b32 s1, s0
	s_cbranch_execnz .LBB375_134
.LBB375_216:
	s_or_b32 exec_lo, exec_lo, s1
	s_and_b32 s0, s2, s10
	s_delay_alu instid0(SALU_CYCLE_1)
	s_and_saveexec_b32 s1, s0
	s_cbranch_execz .LBB375_135
.LBB375_217:
	v_add_co_u32 v0, vcc_lo, v15, v16
	s_waitcnt lgkmcnt(1)
	v_mov_b32_e32 v2, 0
	v_add_co_ci_u32_e32 v1, vcc_lo, 0, v17, vcc_lo
	global_store_b64 v2, v[0:1], s[8:9]
	s_nop 0
	s_sendmsg sendmsg(MSG_DEALLOC_VGPRS)
	s_endpgm
	.section	.rodata,"a",@progbits
	.p2align	6, 0x0
	.amdhsa_kernel _ZN7rocprim17ROCPRIM_400000_NS6detail17trampoline_kernelINS0_13select_configILj256ELj13ELNS0_17block_load_methodE3ELS4_3ELS4_3ELNS0_20block_scan_algorithmE0ELj4294967295EEENS1_25partition_config_selectorILNS1_17partition_subalgoE3EjNS0_10empty_typeEbEEZZNS1_14partition_implILS8_3ELb0ES6_jNS0_17counting_iteratorIjlEEPS9_SE_NS0_5tupleIJPjSE_EEENSF_IJSE_SE_EEES9_SG_JZNS1_25segmented_radix_sort_implINS0_14default_configELb0EPKaPaPKlPlN2at6native12_GLOBAL__N_18offset_tEEE10hipError_tPvRmT1_PNSt15iterator_traitsISY_E10value_typeET2_T3_PNSZ_IS14_E10value_typeET4_jRbjT5_S1A_jjP12ihipStream_tbEUljE_EEESV_SW_SX_S14_S18_S1A_T6_T7_T9_mT8_S1C_bDpT10_ENKUlT_T0_E_clISt17integral_constantIbLb1EES1P_EEDaS1K_S1L_EUlS1K_E_NS1_11comp_targetILNS1_3genE9ELNS1_11target_archE1100ELNS1_3gpuE3ELNS1_3repE0EEENS1_30default_config_static_selectorELNS0_4arch9wavefront6targetE0EEEvSY_
		.amdhsa_group_segment_fixed_size 13324
		.amdhsa_private_segment_fixed_size 0
		.amdhsa_kernarg_size 152
		.amdhsa_user_sgpr_count 15
		.amdhsa_user_sgpr_dispatch_ptr 0
		.amdhsa_user_sgpr_queue_ptr 0
		.amdhsa_user_sgpr_kernarg_segment_ptr 1
		.amdhsa_user_sgpr_dispatch_id 0
		.amdhsa_user_sgpr_private_segment_size 0
		.amdhsa_wavefront_size32 1
		.amdhsa_uses_dynamic_stack 0
		.amdhsa_enable_private_segment 0
		.amdhsa_system_sgpr_workgroup_id_x 1
		.amdhsa_system_sgpr_workgroup_id_y 0
		.amdhsa_system_sgpr_workgroup_id_z 0
		.amdhsa_system_sgpr_workgroup_info 0
		.amdhsa_system_vgpr_workitem_id 0
		.amdhsa_next_free_vgpr 60
		.amdhsa_next_free_sgpr 26
		.amdhsa_reserve_vcc 1
		.amdhsa_float_round_mode_32 0
		.amdhsa_float_round_mode_16_64 0
		.amdhsa_float_denorm_mode_32 3
		.amdhsa_float_denorm_mode_16_64 3
		.amdhsa_dx10_clamp 1
		.amdhsa_ieee_mode 1
		.amdhsa_fp16_overflow 0
		.amdhsa_workgroup_processor_mode 1
		.amdhsa_memory_ordered 1
		.amdhsa_forward_progress 0
		.amdhsa_shared_vgpr_count 0
		.amdhsa_exception_fp_ieee_invalid_op 0
		.amdhsa_exception_fp_denorm_src 0
		.amdhsa_exception_fp_ieee_div_zero 0
		.amdhsa_exception_fp_ieee_overflow 0
		.amdhsa_exception_fp_ieee_underflow 0
		.amdhsa_exception_fp_ieee_inexact 0
		.amdhsa_exception_int_div_zero 0
	.end_amdhsa_kernel
	.section	.text._ZN7rocprim17ROCPRIM_400000_NS6detail17trampoline_kernelINS0_13select_configILj256ELj13ELNS0_17block_load_methodE3ELS4_3ELS4_3ELNS0_20block_scan_algorithmE0ELj4294967295EEENS1_25partition_config_selectorILNS1_17partition_subalgoE3EjNS0_10empty_typeEbEEZZNS1_14partition_implILS8_3ELb0ES6_jNS0_17counting_iteratorIjlEEPS9_SE_NS0_5tupleIJPjSE_EEENSF_IJSE_SE_EEES9_SG_JZNS1_25segmented_radix_sort_implINS0_14default_configELb0EPKaPaPKlPlN2at6native12_GLOBAL__N_18offset_tEEE10hipError_tPvRmT1_PNSt15iterator_traitsISY_E10value_typeET2_T3_PNSZ_IS14_E10value_typeET4_jRbjT5_S1A_jjP12ihipStream_tbEUljE_EEESV_SW_SX_S14_S18_S1A_T6_T7_T9_mT8_S1C_bDpT10_ENKUlT_T0_E_clISt17integral_constantIbLb1EES1P_EEDaS1K_S1L_EUlS1K_E_NS1_11comp_targetILNS1_3genE9ELNS1_11target_archE1100ELNS1_3gpuE3ELNS1_3repE0EEENS1_30default_config_static_selectorELNS0_4arch9wavefront6targetE0EEEvSY_,"axG",@progbits,_ZN7rocprim17ROCPRIM_400000_NS6detail17trampoline_kernelINS0_13select_configILj256ELj13ELNS0_17block_load_methodE3ELS4_3ELS4_3ELNS0_20block_scan_algorithmE0ELj4294967295EEENS1_25partition_config_selectorILNS1_17partition_subalgoE3EjNS0_10empty_typeEbEEZZNS1_14partition_implILS8_3ELb0ES6_jNS0_17counting_iteratorIjlEEPS9_SE_NS0_5tupleIJPjSE_EEENSF_IJSE_SE_EEES9_SG_JZNS1_25segmented_radix_sort_implINS0_14default_configELb0EPKaPaPKlPlN2at6native12_GLOBAL__N_18offset_tEEE10hipError_tPvRmT1_PNSt15iterator_traitsISY_E10value_typeET2_T3_PNSZ_IS14_E10value_typeET4_jRbjT5_S1A_jjP12ihipStream_tbEUljE_EEESV_SW_SX_S14_S18_S1A_T6_T7_T9_mT8_S1C_bDpT10_ENKUlT_T0_E_clISt17integral_constantIbLb1EES1P_EEDaS1K_S1L_EUlS1K_E_NS1_11comp_targetILNS1_3genE9ELNS1_11target_archE1100ELNS1_3gpuE3ELNS1_3repE0EEENS1_30default_config_static_selectorELNS0_4arch9wavefront6targetE0EEEvSY_,comdat
.Lfunc_end375:
	.size	_ZN7rocprim17ROCPRIM_400000_NS6detail17trampoline_kernelINS0_13select_configILj256ELj13ELNS0_17block_load_methodE3ELS4_3ELS4_3ELNS0_20block_scan_algorithmE0ELj4294967295EEENS1_25partition_config_selectorILNS1_17partition_subalgoE3EjNS0_10empty_typeEbEEZZNS1_14partition_implILS8_3ELb0ES6_jNS0_17counting_iteratorIjlEEPS9_SE_NS0_5tupleIJPjSE_EEENSF_IJSE_SE_EEES9_SG_JZNS1_25segmented_radix_sort_implINS0_14default_configELb0EPKaPaPKlPlN2at6native12_GLOBAL__N_18offset_tEEE10hipError_tPvRmT1_PNSt15iterator_traitsISY_E10value_typeET2_T3_PNSZ_IS14_E10value_typeET4_jRbjT5_S1A_jjP12ihipStream_tbEUljE_EEESV_SW_SX_S14_S18_S1A_T6_T7_T9_mT8_S1C_bDpT10_ENKUlT_T0_E_clISt17integral_constantIbLb1EES1P_EEDaS1K_S1L_EUlS1K_E_NS1_11comp_targetILNS1_3genE9ELNS1_11target_archE1100ELNS1_3gpuE3ELNS1_3repE0EEENS1_30default_config_static_selectorELNS0_4arch9wavefront6targetE0EEEvSY_, .Lfunc_end375-_ZN7rocprim17ROCPRIM_400000_NS6detail17trampoline_kernelINS0_13select_configILj256ELj13ELNS0_17block_load_methodE3ELS4_3ELS4_3ELNS0_20block_scan_algorithmE0ELj4294967295EEENS1_25partition_config_selectorILNS1_17partition_subalgoE3EjNS0_10empty_typeEbEEZZNS1_14partition_implILS8_3ELb0ES6_jNS0_17counting_iteratorIjlEEPS9_SE_NS0_5tupleIJPjSE_EEENSF_IJSE_SE_EEES9_SG_JZNS1_25segmented_radix_sort_implINS0_14default_configELb0EPKaPaPKlPlN2at6native12_GLOBAL__N_18offset_tEEE10hipError_tPvRmT1_PNSt15iterator_traitsISY_E10value_typeET2_T3_PNSZ_IS14_E10value_typeET4_jRbjT5_S1A_jjP12ihipStream_tbEUljE_EEESV_SW_SX_S14_S18_S1A_T6_T7_T9_mT8_S1C_bDpT10_ENKUlT_T0_E_clISt17integral_constantIbLb1EES1P_EEDaS1K_S1L_EUlS1K_E_NS1_11comp_targetILNS1_3genE9ELNS1_11target_archE1100ELNS1_3gpuE3ELNS1_3repE0EEENS1_30default_config_static_selectorELNS0_4arch9wavefront6targetE0EEEvSY_
                                        ; -- End function
	.section	.AMDGPU.csdata,"",@progbits
; Kernel info:
; codeLenInByte = 9140
; NumSgprs: 28
; NumVgprs: 60
; ScratchSize: 0
; MemoryBound: 0
; FloatMode: 240
; IeeeMode: 1
; LDSByteSize: 13324 bytes/workgroup (compile time only)
; SGPRBlocks: 3
; VGPRBlocks: 7
; NumSGPRsForWavesPerEU: 28
; NumVGPRsForWavesPerEU: 60
; Occupancy: 16
; WaveLimiterHint : 0
; COMPUTE_PGM_RSRC2:SCRATCH_EN: 0
; COMPUTE_PGM_RSRC2:USER_SGPR: 15
; COMPUTE_PGM_RSRC2:TRAP_HANDLER: 0
; COMPUTE_PGM_RSRC2:TGID_X_EN: 1
; COMPUTE_PGM_RSRC2:TGID_Y_EN: 0
; COMPUTE_PGM_RSRC2:TGID_Z_EN: 0
; COMPUTE_PGM_RSRC2:TIDIG_COMP_CNT: 0
	.section	.text._ZN7rocprim17ROCPRIM_400000_NS6detail17trampoline_kernelINS0_13select_configILj256ELj13ELNS0_17block_load_methodE3ELS4_3ELS4_3ELNS0_20block_scan_algorithmE0ELj4294967295EEENS1_25partition_config_selectorILNS1_17partition_subalgoE3EjNS0_10empty_typeEbEEZZNS1_14partition_implILS8_3ELb0ES6_jNS0_17counting_iteratorIjlEEPS9_SE_NS0_5tupleIJPjSE_EEENSF_IJSE_SE_EEES9_SG_JZNS1_25segmented_radix_sort_implINS0_14default_configELb0EPKaPaPKlPlN2at6native12_GLOBAL__N_18offset_tEEE10hipError_tPvRmT1_PNSt15iterator_traitsISY_E10value_typeET2_T3_PNSZ_IS14_E10value_typeET4_jRbjT5_S1A_jjP12ihipStream_tbEUljE_EEESV_SW_SX_S14_S18_S1A_T6_T7_T9_mT8_S1C_bDpT10_ENKUlT_T0_E_clISt17integral_constantIbLb1EES1P_EEDaS1K_S1L_EUlS1K_E_NS1_11comp_targetILNS1_3genE8ELNS1_11target_archE1030ELNS1_3gpuE2ELNS1_3repE0EEENS1_30default_config_static_selectorELNS0_4arch9wavefront6targetE0EEEvSY_,"axG",@progbits,_ZN7rocprim17ROCPRIM_400000_NS6detail17trampoline_kernelINS0_13select_configILj256ELj13ELNS0_17block_load_methodE3ELS4_3ELS4_3ELNS0_20block_scan_algorithmE0ELj4294967295EEENS1_25partition_config_selectorILNS1_17partition_subalgoE3EjNS0_10empty_typeEbEEZZNS1_14partition_implILS8_3ELb0ES6_jNS0_17counting_iteratorIjlEEPS9_SE_NS0_5tupleIJPjSE_EEENSF_IJSE_SE_EEES9_SG_JZNS1_25segmented_radix_sort_implINS0_14default_configELb0EPKaPaPKlPlN2at6native12_GLOBAL__N_18offset_tEEE10hipError_tPvRmT1_PNSt15iterator_traitsISY_E10value_typeET2_T3_PNSZ_IS14_E10value_typeET4_jRbjT5_S1A_jjP12ihipStream_tbEUljE_EEESV_SW_SX_S14_S18_S1A_T6_T7_T9_mT8_S1C_bDpT10_ENKUlT_T0_E_clISt17integral_constantIbLb1EES1P_EEDaS1K_S1L_EUlS1K_E_NS1_11comp_targetILNS1_3genE8ELNS1_11target_archE1030ELNS1_3gpuE2ELNS1_3repE0EEENS1_30default_config_static_selectorELNS0_4arch9wavefront6targetE0EEEvSY_,comdat
	.globl	_ZN7rocprim17ROCPRIM_400000_NS6detail17trampoline_kernelINS0_13select_configILj256ELj13ELNS0_17block_load_methodE3ELS4_3ELS4_3ELNS0_20block_scan_algorithmE0ELj4294967295EEENS1_25partition_config_selectorILNS1_17partition_subalgoE3EjNS0_10empty_typeEbEEZZNS1_14partition_implILS8_3ELb0ES6_jNS0_17counting_iteratorIjlEEPS9_SE_NS0_5tupleIJPjSE_EEENSF_IJSE_SE_EEES9_SG_JZNS1_25segmented_radix_sort_implINS0_14default_configELb0EPKaPaPKlPlN2at6native12_GLOBAL__N_18offset_tEEE10hipError_tPvRmT1_PNSt15iterator_traitsISY_E10value_typeET2_T3_PNSZ_IS14_E10value_typeET4_jRbjT5_S1A_jjP12ihipStream_tbEUljE_EEESV_SW_SX_S14_S18_S1A_T6_T7_T9_mT8_S1C_bDpT10_ENKUlT_T0_E_clISt17integral_constantIbLb1EES1P_EEDaS1K_S1L_EUlS1K_E_NS1_11comp_targetILNS1_3genE8ELNS1_11target_archE1030ELNS1_3gpuE2ELNS1_3repE0EEENS1_30default_config_static_selectorELNS0_4arch9wavefront6targetE0EEEvSY_ ; -- Begin function _ZN7rocprim17ROCPRIM_400000_NS6detail17trampoline_kernelINS0_13select_configILj256ELj13ELNS0_17block_load_methodE3ELS4_3ELS4_3ELNS0_20block_scan_algorithmE0ELj4294967295EEENS1_25partition_config_selectorILNS1_17partition_subalgoE3EjNS0_10empty_typeEbEEZZNS1_14partition_implILS8_3ELb0ES6_jNS0_17counting_iteratorIjlEEPS9_SE_NS0_5tupleIJPjSE_EEENSF_IJSE_SE_EEES9_SG_JZNS1_25segmented_radix_sort_implINS0_14default_configELb0EPKaPaPKlPlN2at6native12_GLOBAL__N_18offset_tEEE10hipError_tPvRmT1_PNSt15iterator_traitsISY_E10value_typeET2_T3_PNSZ_IS14_E10value_typeET4_jRbjT5_S1A_jjP12ihipStream_tbEUljE_EEESV_SW_SX_S14_S18_S1A_T6_T7_T9_mT8_S1C_bDpT10_ENKUlT_T0_E_clISt17integral_constantIbLb1EES1P_EEDaS1K_S1L_EUlS1K_E_NS1_11comp_targetILNS1_3genE8ELNS1_11target_archE1030ELNS1_3gpuE2ELNS1_3repE0EEENS1_30default_config_static_selectorELNS0_4arch9wavefront6targetE0EEEvSY_
	.p2align	8
	.type	_ZN7rocprim17ROCPRIM_400000_NS6detail17trampoline_kernelINS0_13select_configILj256ELj13ELNS0_17block_load_methodE3ELS4_3ELS4_3ELNS0_20block_scan_algorithmE0ELj4294967295EEENS1_25partition_config_selectorILNS1_17partition_subalgoE3EjNS0_10empty_typeEbEEZZNS1_14partition_implILS8_3ELb0ES6_jNS0_17counting_iteratorIjlEEPS9_SE_NS0_5tupleIJPjSE_EEENSF_IJSE_SE_EEES9_SG_JZNS1_25segmented_radix_sort_implINS0_14default_configELb0EPKaPaPKlPlN2at6native12_GLOBAL__N_18offset_tEEE10hipError_tPvRmT1_PNSt15iterator_traitsISY_E10value_typeET2_T3_PNSZ_IS14_E10value_typeET4_jRbjT5_S1A_jjP12ihipStream_tbEUljE_EEESV_SW_SX_S14_S18_S1A_T6_T7_T9_mT8_S1C_bDpT10_ENKUlT_T0_E_clISt17integral_constantIbLb1EES1P_EEDaS1K_S1L_EUlS1K_E_NS1_11comp_targetILNS1_3genE8ELNS1_11target_archE1030ELNS1_3gpuE2ELNS1_3repE0EEENS1_30default_config_static_selectorELNS0_4arch9wavefront6targetE0EEEvSY_,@function
_ZN7rocprim17ROCPRIM_400000_NS6detail17trampoline_kernelINS0_13select_configILj256ELj13ELNS0_17block_load_methodE3ELS4_3ELS4_3ELNS0_20block_scan_algorithmE0ELj4294967295EEENS1_25partition_config_selectorILNS1_17partition_subalgoE3EjNS0_10empty_typeEbEEZZNS1_14partition_implILS8_3ELb0ES6_jNS0_17counting_iteratorIjlEEPS9_SE_NS0_5tupleIJPjSE_EEENSF_IJSE_SE_EEES9_SG_JZNS1_25segmented_radix_sort_implINS0_14default_configELb0EPKaPaPKlPlN2at6native12_GLOBAL__N_18offset_tEEE10hipError_tPvRmT1_PNSt15iterator_traitsISY_E10value_typeET2_T3_PNSZ_IS14_E10value_typeET4_jRbjT5_S1A_jjP12ihipStream_tbEUljE_EEESV_SW_SX_S14_S18_S1A_T6_T7_T9_mT8_S1C_bDpT10_ENKUlT_T0_E_clISt17integral_constantIbLb1EES1P_EEDaS1K_S1L_EUlS1K_E_NS1_11comp_targetILNS1_3genE8ELNS1_11target_archE1030ELNS1_3gpuE2ELNS1_3repE0EEENS1_30default_config_static_selectorELNS0_4arch9wavefront6targetE0EEEvSY_: ; @_ZN7rocprim17ROCPRIM_400000_NS6detail17trampoline_kernelINS0_13select_configILj256ELj13ELNS0_17block_load_methodE3ELS4_3ELS4_3ELNS0_20block_scan_algorithmE0ELj4294967295EEENS1_25partition_config_selectorILNS1_17partition_subalgoE3EjNS0_10empty_typeEbEEZZNS1_14partition_implILS8_3ELb0ES6_jNS0_17counting_iteratorIjlEEPS9_SE_NS0_5tupleIJPjSE_EEENSF_IJSE_SE_EEES9_SG_JZNS1_25segmented_radix_sort_implINS0_14default_configELb0EPKaPaPKlPlN2at6native12_GLOBAL__N_18offset_tEEE10hipError_tPvRmT1_PNSt15iterator_traitsISY_E10value_typeET2_T3_PNSZ_IS14_E10value_typeET4_jRbjT5_S1A_jjP12ihipStream_tbEUljE_EEESV_SW_SX_S14_S18_S1A_T6_T7_T9_mT8_S1C_bDpT10_ENKUlT_T0_E_clISt17integral_constantIbLb1EES1P_EEDaS1K_S1L_EUlS1K_E_NS1_11comp_targetILNS1_3genE8ELNS1_11target_archE1030ELNS1_3gpuE2ELNS1_3repE0EEENS1_30default_config_static_selectorELNS0_4arch9wavefront6targetE0EEEvSY_
; %bb.0:
	.section	.rodata,"a",@progbits
	.p2align	6, 0x0
	.amdhsa_kernel _ZN7rocprim17ROCPRIM_400000_NS6detail17trampoline_kernelINS0_13select_configILj256ELj13ELNS0_17block_load_methodE3ELS4_3ELS4_3ELNS0_20block_scan_algorithmE0ELj4294967295EEENS1_25partition_config_selectorILNS1_17partition_subalgoE3EjNS0_10empty_typeEbEEZZNS1_14partition_implILS8_3ELb0ES6_jNS0_17counting_iteratorIjlEEPS9_SE_NS0_5tupleIJPjSE_EEENSF_IJSE_SE_EEES9_SG_JZNS1_25segmented_radix_sort_implINS0_14default_configELb0EPKaPaPKlPlN2at6native12_GLOBAL__N_18offset_tEEE10hipError_tPvRmT1_PNSt15iterator_traitsISY_E10value_typeET2_T3_PNSZ_IS14_E10value_typeET4_jRbjT5_S1A_jjP12ihipStream_tbEUljE_EEESV_SW_SX_S14_S18_S1A_T6_T7_T9_mT8_S1C_bDpT10_ENKUlT_T0_E_clISt17integral_constantIbLb1EES1P_EEDaS1K_S1L_EUlS1K_E_NS1_11comp_targetILNS1_3genE8ELNS1_11target_archE1030ELNS1_3gpuE2ELNS1_3repE0EEENS1_30default_config_static_selectorELNS0_4arch9wavefront6targetE0EEEvSY_
		.amdhsa_group_segment_fixed_size 0
		.amdhsa_private_segment_fixed_size 0
		.amdhsa_kernarg_size 152
		.amdhsa_user_sgpr_count 15
		.amdhsa_user_sgpr_dispatch_ptr 0
		.amdhsa_user_sgpr_queue_ptr 0
		.amdhsa_user_sgpr_kernarg_segment_ptr 1
		.amdhsa_user_sgpr_dispatch_id 0
		.amdhsa_user_sgpr_private_segment_size 0
		.amdhsa_wavefront_size32 1
		.amdhsa_uses_dynamic_stack 0
		.amdhsa_enable_private_segment 0
		.amdhsa_system_sgpr_workgroup_id_x 1
		.amdhsa_system_sgpr_workgroup_id_y 0
		.amdhsa_system_sgpr_workgroup_id_z 0
		.amdhsa_system_sgpr_workgroup_info 0
		.amdhsa_system_vgpr_workitem_id 0
		.amdhsa_next_free_vgpr 1
		.amdhsa_next_free_sgpr 1
		.amdhsa_reserve_vcc 0
		.amdhsa_float_round_mode_32 0
		.amdhsa_float_round_mode_16_64 0
		.amdhsa_float_denorm_mode_32 3
		.amdhsa_float_denorm_mode_16_64 3
		.amdhsa_dx10_clamp 1
		.amdhsa_ieee_mode 1
		.amdhsa_fp16_overflow 0
		.amdhsa_workgroup_processor_mode 1
		.amdhsa_memory_ordered 1
		.amdhsa_forward_progress 0
		.amdhsa_shared_vgpr_count 0
		.amdhsa_exception_fp_ieee_invalid_op 0
		.amdhsa_exception_fp_denorm_src 0
		.amdhsa_exception_fp_ieee_div_zero 0
		.amdhsa_exception_fp_ieee_overflow 0
		.amdhsa_exception_fp_ieee_underflow 0
		.amdhsa_exception_fp_ieee_inexact 0
		.amdhsa_exception_int_div_zero 0
	.end_amdhsa_kernel
	.section	.text._ZN7rocprim17ROCPRIM_400000_NS6detail17trampoline_kernelINS0_13select_configILj256ELj13ELNS0_17block_load_methodE3ELS4_3ELS4_3ELNS0_20block_scan_algorithmE0ELj4294967295EEENS1_25partition_config_selectorILNS1_17partition_subalgoE3EjNS0_10empty_typeEbEEZZNS1_14partition_implILS8_3ELb0ES6_jNS0_17counting_iteratorIjlEEPS9_SE_NS0_5tupleIJPjSE_EEENSF_IJSE_SE_EEES9_SG_JZNS1_25segmented_radix_sort_implINS0_14default_configELb0EPKaPaPKlPlN2at6native12_GLOBAL__N_18offset_tEEE10hipError_tPvRmT1_PNSt15iterator_traitsISY_E10value_typeET2_T3_PNSZ_IS14_E10value_typeET4_jRbjT5_S1A_jjP12ihipStream_tbEUljE_EEESV_SW_SX_S14_S18_S1A_T6_T7_T9_mT8_S1C_bDpT10_ENKUlT_T0_E_clISt17integral_constantIbLb1EES1P_EEDaS1K_S1L_EUlS1K_E_NS1_11comp_targetILNS1_3genE8ELNS1_11target_archE1030ELNS1_3gpuE2ELNS1_3repE0EEENS1_30default_config_static_selectorELNS0_4arch9wavefront6targetE0EEEvSY_,"axG",@progbits,_ZN7rocprim17ROCPRIM_400000_NS6detail17trampoline_kernelINS0_13select_configILj256ELj13ELNS0_17block_load_methodE3ELS4_3ELS4_3ELNS0_20block_scan_algorithmE0ELj4294967295EEENS1_25partition_config_selectorILNS1_17partition_subalgoE3EjNS0_10empty_typeEbEEZZNS1_14partition_implILS8_3ELb0ES6_jNS0_17counting_iteratorIjlEEPS9_SE_NS0_5tupleIJPjSE_EEENSF_IJSE_SE_EEES9_SG_JZNS1_25segmented_radix_sort_implINS0_14default_configELb0EPKaPaPKlPlN2at6native12_GLOBAL__N_18offset_tEEE10hipError_tPvRmT1_PNSt15iterator_traitsISY_E10value_typeET2_T3_PNSZ_IS14_E10value_typeET4_jRbjT5_S1A_jjP12ihipStream_tbEUljE_EEESV_SW_SX_S14_S18_S1A_T6_T7_T9_mT8_S1C_bDpT10_ENKUlT_T0_E_clISt17integral_constantIbLb1EES1P_EEDaS1K_S1L_EUlS1K_E_NS1_11comp_targetILNS1_3genE8ELNS1_11target_archE1030ELNS1_3gpuE2ELNS1_3repE0EEENS1_30default_config_static_selectorELNS0_4arch9wavefront6targetE0EEEvSY_,comdat
.Lfunc_end376:
	.size	_ZN7rocprim17ROCPRIM_400000_NS6detail17trampoline_kernelINS0_13select_configILj256ELj13ELNS0_17block_load_methodE3ELS4_3ELS4_3ELNS0_20block_scan_algorithmE0ELj4294967295EEENS1_25partition_config_selectorILNS1_17partition_subalgoE3EjNS0_10empty_typeEbEEZZNS1_14partition_implILS8_3ELb0ES6_jNS0_17counting_iteratorIjlEEPS9_SE_NS0_5tupleIJPjSE_EEENSF_IJSE_SE_EEES9_SG_JZNS1_25segmented_radix_sort_implINS0_14default_configELb0EPKaPaPKlPlN2at6native12_GLOBAL__N_18offset_tEEE10hipError_tPvRmT1_PNSt15iterator_traitsISY_E10value_typeET2_T3_PNSZ_IS14_E10value_typeET4_jRbjT5_S1A_jjP12ihipStream_tbEUljE_EEESV_SW_SX_S14_S18_S1A_T6_T7_T9_mT8_S1C_bDpT10_ENKUlT_T0_E_clISt17integral_constantIbLb1EES1P_EEDaS1K_S1L_EUlS1K_E_NS1_11comp_targetILNS1_3genE8ELNS1_11target_archE1030ELNS1_3gpuE2ELNS1_3repE0EEENS1_30default_config_static_selectorELNS0_4arch9wavefront6targetE0EEEvSY_, .Lfunc_end376-_ZN7rocprim17ROCPRIM_400000_NS6detail17trampoline_kernelINS0_13select_configILj256ELj13ELNS0_17block_load_methodE3ELS4_3ELS4_3ELNS0_20block_scan_algorithmE0ELj4294967295EEENS1_25partition_config_selectorILNS1_17partition_subalgoE3EjNS0_10empty_typeEbEEZZNS1_14partition_implILS8_3ELb0ES6_jNS0_17counting_iteratorIjlEEPS9_SE_NS0_5tupleIJPjSE_EEENSF_IJSE_SE_EEES9_SG_JZNS1_25segmented_radix_sort_implINS0_14default_configELb0EPKaPaPKlPlN2at6native12_GLOBAL__N_18offset_tEEE10hipError_tPvRmT1_PNSt15iterator_traitsISY_E10value_typeET2_T3_PNSZ_IS14_E10value_typeET4_jRbjT5_S1A_jjP12ihipStream_tbEUljE_EEESV_SW_SX_S14_S18_S1A_T6_T7_T9_mT8_S1C_bDpT10_ENKUlT_T0_E_clISt17integral_constantIbLb1EES1P_EEDaS1K_S1L_EUlS1K_E_NS1_11comp_targetILNS1_3genE8ELNS1_11target_archE1030ELNS1_3gpuE2ELNS1_3repE0EEENS1_30default_config_static_selectorELNS0_4arch9wavefront6targetE0EEEvSY_
                                        ; -- End function
	.section	.AMDGPU.csdata,"",@progbits
; Kernel info:
; codeLenInByte = 0
; NumSgprs: 0
; NumVgprs: 0
; ScratchSize: 0
; MemoryBound: 0
; FloatMode: 240
; IeeeMode: 1
; LDSByteSize: 0 bytes/workgroup (compile time only)
; SGPRBlocks: 0
; VGPRBlocks: 0
; NumSGPRsForWavesPerEU: 1
; NumVGPRsForWavesPerEU: 1
; Occupancy: 16
; WaveLimiterHint : 0
; COMPUTE_PGM_RSRC2:SCRATCH_EN: 0
; COMPUTE_PGM_RSRC2:USER_SGPR: 15
; COMPUTE_PGM_RSRC2:TRAP_HANDLER: 0
; COMPUTE_PGM_RSRC2:TGID_X_EN: 1
; COMPUTE_PGM_RSRC2:TGID_Y_EN: 0
; COMPUTE_PGM_RSRC2:TGID_Z_EN: 0
; COMPUTE_PGM_RSRC2:TIDIG_COMP_CNT: 0
	.section	.text._ZN7rocprim17ROCPRIM_400000_NS6detail17trampoline_kernelINS0_13select_configILj256ELj13ELNS0_17block_load_methodE3ELS4_3ELS4_3ELNS0_20block_scan_algorithmE0ELj4294967295EEENS1_25partition_config_selectorILNS1_17partition_subalgoE3EjNS0_10empty_typeEbEEZZNS1_14partition_implILS8_3ELb0ES6_jNS0_17counting_iteratorIjlEEPS9_SE_NS0_5tupleIJPjSE_EEENSF_IJSE_SE_EEES9_SG_JZNS1_25segmented_radix_sort_implINS0_14default_configELb0EPKaPaPKlPlN2at6native12_GLOBAL__N_18offset_tEEE10hipError_tPvRmT1_PNSt15iterator_traitsISY_E10value_typeET2_T3_PNSZ_IS14_E10value_typeET4_jRbjT5_S1A_jjP12ihipStream_tbEUljE_EEESV_SW_SX_S14_S18_S1A_T6_T7_T9_mT8_S1C_bDpT10_ENKUlT_T0_E_clISt17integral_constantIbLb1EES1O_IbLb0EEEEDaS1K_S1L_EUlS1K_E_NS1_11comp_targetILNS1_3genE0ELNS1_11target_archE4294967295ELNS1_3gpuE0ELNS1_3repE0EEENS1_30default_config_static_selectorELNS0_4arch9wavefront6targetE0EEEvSY_,"axG",@progbits,_ZN7rocprim17ROCPRIM_400000_NS6detail17trampoline_kernelINS0_13select_configILj256ELj13ELNS0_17block_load_methodE3ELS4_3ELS4_3ELNS0_20block_scan_algorithmE0ELj4294967295EEENS1_25partition_config_selectorILNS1_17partition_subalgoE3EjNS0_10empty_typeEbEEZZNS1_14partition_implILS8_3ELb0ES6_jNS0_17counting_iteratorIjlEEPS9_SE_NS0_5tupleIJPjSE_EEENSF_IJSE_SE_EEES9_SG_JZNS1_25segmented_radix_sort_implINS0_14default_configELb0EPKaPaPKlPlN2at6native12_GLOBAL__N_18offset_tEEE10hipError_tPvRmT1_PNSt15iterator_traitsISY_E10value_typeET2_T3_PNSZ_IS14_E10value_typeET4_jRbjT5_S1A_jjP12ihipStream_tbEUljE_EEESV_SW_SX_S14_S18_S1A_T6_T7_T9_mT8_S1C_bDpT10_ENKUlT_T0_E_clISt17integral_constantIbLb1EES1O_IbLb0EEEEDaS1K_S1L_EUlS1K_E_NS1_11comp_targetILNS1_3genE0ELNS1_11target_archE4294967295ELNS1_3gpuE0ELNS1_3repE0EEENS1_30default_config_static_selectorELNS0_4arch9wavefront6targetE0EEEvSY_,comdat
	.globl	_ZN7rocprim17ROCPRIM_400000_NS6detail17trampoline_kernelINS0_13select_configILj256ELj13ELNS0_17block_load_methodE3ELS4_3ELS4_3ELNS0_20block_scan_algorithmE0ELj4294967295EEENS1_25partition_config_selectorILNS1_17partition_subalgoE3EjNS0_10empty_typeEbEEZZNS1_14partition_implILS8_3ELb0ES6_jNS0_17counting_iteratorIjlEEPS9_SE_NS0_5tupleIJPjSE_EEENSF_IJSE_SE_EEES9_SG_JZNS1_25segmented_radix_sort_implINS0_14default_configELb0EPKaPaPKlPlN2at6native12_GLOBAL__N_18offset_tEEE10hipError_tPvRmT1_PNSt15iterator_traitsISY_E10value_typeET2_T3_PNSZ_IS14_E10value_typeET4_jRbjT5_S1A_jjP12ihipStream_tbEUljE_EEESV_SW_SX_S14_S18_S1A_T6_T7_T9_mT8_S1C_bDpT10_ENKUlT_T0_E_clISt17integral_constantIbLb1EES1O_IbLb0EEEEDaS1K_S1L_EUlS1K_E_NS1_11comp_targetILNS1_3genE0ELNS1_11target_archE4294967295ELNS1_3gpuE0ELNS1_3repE0EEENS1_30default_config_static_selectorELNS0_4arch9wavefront6targetE0EEEvSY_ ; -- Begin function _ZN7rocprim17ROCPRIM_400000_NS6detail17trampoline_kernelINS0_13select_configILj256ELj13ELNS0_17block_load_methodE3ELS4_3ELS4_3ELNS0_20block_scan_algorithmE0ELj4294967295EEENS1_25partition_config_selectorILNS1_17partition_subalgoE3EjNS0_10empty_typeEbEEZZNS1_14partition_implILS8_3ELb0ES6_jNS0_17counting_iteratorIjlEEPS9_SE_NS0_5tupleIJPjSE_EEENSF_IJSE_SE_EEES9_SG_JZNS1_25segmented_radix_sort_implINS0_14default_configELb0EPKaPaPKlPlN2at6native12_GLOBAL__N_18offset_tEEE10hipError_tPvRmT1_PNSt15iterator_traitsISY_E10value_typeET2_T3_PNSZ_IS14_E10value_typeET4_jRbjT5_S1A_jjP12ihipStream_tbEUljE_EEESV_SW_SX_S14_S18_S1A_T6_T7_T9_mT8_S1C_bDpT10_ENKUlT_T0_E_clISt17integral_constantIbLb1EES1O_IbLb0EEEEDaS1K_S1L_EUlS1K_E_NS1_11comp_targetILNS1_3genE0ELNS1_11target_archE4294967295ELNS1_3gpuE0ELNS1_3repE0EEENS1_30default_config_static_selectorELNS0_4arch9wavefront6targetE0EEEvSY_
	.p2align	8
	.type	_ZN7rocprim17ROCPRIM_400000_NS6detail17trampoline_kernelINS0_13select_configILj256ELj13ELNS0_17block_load_methodE3ELS4_3ELS4_3ELNS0_20block_scan_algorithmE0ELj4294967295EEENS1_25partition_config_selectorILNS1_17partition_subalgoE3EjNS0_10empty_typeEbEEZZNS1_14partition_implILS8_3ELb0ES6_jNS0_17counting_iteratorIjlEEPS9_SE_NS0_5tupleIJPjSE_EEENSF_IJSE_SE_EEES9_SG_JZNS1_25segmented_radix_sort_implINS0_14default_configELb0EPKaPaPKlPlN2at6native12_GLOBAL__N_18offset_tEEE10hipError_tPvRmT1_PNSt15iterator_traitsISY_E10value_typeET2_T3_PNSZ_IS14_E10value_typeET4_jRbjT5_S1A_jjP12ihipStream_tbEUljE_EEESV_SW_SX_S14_S18_S1A_T6_T7_T9_mT8_S1C_bDpT10_ENKUlT_T0_E_clISt17integral_constantIbLb1EES1O_IbLb0EEEEDaS1K_S1L_EUlS1K_E_NS1_11comp_targetILNS1_3genE0ELNS1_11target_archE4294967295ELNS1_3gpuE0ELNS1_3repE0EEENS1_30default_config_static_selectorELNS0_4arch9wavefront6targetE0EEEvSY_,@function
_ZN7rocprim17ROCPRIM_400000_NS6detail17trampoline_kernelINS0_13select_configILj256ELj13ELNS0_17block_load_methodE3ELS4_3ELS4_3ELNS0_20block_scan_algorithmE0ELj4294967295EEENS1_25partition_config_selectorILNS1_17partition_subalgoE3EjNS0_10empty_typeEbEEZZNS1_14partition_implILS8_3ELb0ES6_jNS0_17counting_iteratorIjlEEPS9_SE_NS0_5tupleIJPjSE_EEENSF_IJSE_SE_EEES9_SG_JZNS1_25segmented_radix_sort_implINS0_14default_configELb0EPKaPaPKlPlN2at6native12_GLOBAL__N_18offset_tEEE10hipError_tPvRmT1_PNSt15iterator_traitsISY_E10value_typeET2_T3_PNSZ_IS14_E10value_typeET4_jRbjT5_S1A_jjP12ihipStream_tbEUljE_EEESV_SW_SX_S14_S18_S1A_T6_T7_T9_mT8_S1C_bDpT10_ENKUlT_T0_E_clISt17integral_constantIbLb1EES1O_IbLb0EEEEDaS1K_S1L_EUlS1K_E_NS1_11comp_targetILNS1_3genE0ELNS1_11target_archE4294967295ELNS1_3gpuE0ELNS1_3repE0EEENS1_30default_config_static_selectorELNS0_4arch9wavefront6targetE0EEEvSY_: ; @_ZN7rocprim17ROCPRIM_400000_NS6detail17trampoline_kernelINS0_13select_configILj256ELj13ELNS0_17block_load_methodE3ELS4_3ELS4_3ELNS0_20block_scan_algorithmE0ELj4294967295EEENS1_25partition_config_selectorILNS1_17partition_subalgoE3EjNS0_10empty_typeEbEEZZNS1_14partition_implILS8_3ELb0ES6_jNS0_17counting_iteratorIjlEEPS9_SE_NS0_5tupleIJPjSE_EEENSF_IJSE_SE_EEES9_SG_JZNS1_25segmented_radix_sort_implINS0_14default_configELb0EPKaPaPKlPlN2at6native12_GLOBAL__N_18offset_tEEE10hipError_tPvRmT1_PNSt15iterator_traitsISY_E10value_typeET2_T3_PNSZ_IS14_E10value_typeET4_jRbjT5_S1A_jjP12ihipStream_tbEUljE_EEESV_SW_SX_S14_S18_S1A_T6_T7_T9_mT8_S1C_bDpT10_ENKUlT_T0_E_clISt17integral_constantIbLb1EES1O_IbLb0EEEEDaS1K_S1L_EUlS1K_E_NS1_11comp_targetILNS1_3genE0ELNS1_11target_archE4294967295ELNS1_3gpuE0ELNS1_3repE0EEENS1_30default_config_static_selectorELNS0_4arch9wavefront6targetE0EEEvSY_
; %bb.0:
	.section	.rodata,"a",@progbits
	.p2align	6, 0x0
	.amdhsa_kernel _ZN7rocprim17ROCPRIM_400000_NS6detail17trampoline_kernelINS0_13select_configILj256ELj13ELNS0_17block_load_methodE3ELS4_3ELS4_3ELNS0_20block_scan_algorithmE0ELj4294967295EEENS1_25partition_config_selectorILNS1_17partition_subalgoE3EjNS0_10empty_typeEbEEZZNS1_14partition_implILS8_3ELb0ES6_jNS0_17counting_iteratorIjlEEPS9_SE_NS0_5tupleIJPjSE_EEENSF_IJSE_SE_EEES9_SG_JZNS1_25segmented_radix_sort_implINS0_14default_configELb0EPKaPaPKlPlN2at6native12_GLOBAL__N_18offset_tEEE10hipError_tPvRmT1_PNSt15iterator_traitsISY_E10value_typeET2_T3_PNSZ_IS14_E10value_typeET4_jRbjT5_S1A_jjP12ihipStream_tbEUljE_EEESV_SW_SX_S14_S18_S1A_T6_T7_T9_mT8_S1C_bDpT10_ENKUlT_T0_E_clISt17integral_constantIbLb1EES1O_IbLb0EEEEDaS1K_S1L_EUlS1K_E_NS1_11comp_targetILNS1_3genE0ELNS1_11target_archE4294967295ELNS1_3gpuE0ELNS1_3repE0EEENS1_30default_config_static_selectorELNS0_4arch9wavefront6targetE0EEEvSY_
		.amdhsa_group_segment_fixed_size 0
		.amdhsa_private_segment_fixed_size 0
		.amdhsa_kernarg_size 144
		.amdhsa_user_sgpr_count 15
		.amdhsa_user_sgpr_dispatch_ptr 0
		.amdhsa_user_sgpr_queue_ptr 0
		.amdhsa_user_sgpr_kernarg_segment_ptr 1
		.amdhsa_user_sgpr_dispatch_id 0
		.amdhsa_user_sgpr_private_segment_size 0
		.amdhsa_wavefront_size32 1
		.amdhsa_uses_dynamic_stack 0
		.amdhsa_enable_private_segment 0
		.amdhsa_system_sgpr_workgroup_id_x 1
		.amdhsa_system_sgpr_workgroup_id_y 0
		.amdhsa_system_sgpr_workgroup_id_z 0
		.amdhsa_system_sgpr_workgroup_info 0
		.amdhsa_system_vgpr_workitem_id 0
		.amdhsa_next_free_vgpr 1
		.amdhsa_next_free_sgpr 1
		.amdhsa_reserve_vcc 0
		.amdhsa_float_round_mode_32 0
		.amdhsa_float_round_mode_16_64 0
		.amdhsa_float_denorm_mode_32 3
		.amdhsa_float_denorm_mode_16_64 3
		.amdhsa_dx10_clamp 1
		.amdhsa_ieee_mode 1
		.amdhsa_fp16_overflow 0
		.amdhsa_workgroup_processor_mode 1
		.amdhsa_memory_ordered 1
		.amdhsa_forward_progress 0
		.amdhsa_shared_vgpr_count 0
		.amdhsa_exception_fp_ieee_invalid_op 0
		.amdhsa_exception_fp_denorm_src 0
		.amdhsa_exception_fp_ieee_div_zero 0
		.amdhsa_exception_fp_ieee_overflow 0
		.amdhsa_exception_fp_ieee_underflow 0
		.amdhsa_exception_fp_ieee_inexact 0
		.amdhsa_exception_int_div_zero 0
	.end_amdhsa_kernel
	.section	.text._ZN7rocprim17ROCPRIM_400000_NS6detail17trampoline_kernelINS0_13select_configILj256ELj13ELNS0_17block_load_methodE3ELS4_3ELS4_3ELNS0_20block_scan_algorithmE0ELj4294967295EEENS1_25partition_config_selectorILNS1_17partition_subalgoE3EjNS0_10empty_typeEbEEZZNS1_14partition_implILS8_3ELb0ES6_jNS0_17counting_iteratorIjlEEPS9_SE_NS0_5tupleIJPjSE_EEENSF_IJSE_SE_EEES9_SG_JZNS1_25segmented_radix_sort_implINS0_14default_configELb0EPKaPaPKlPlN2at6native12_GLOBAL__N_18offset_tEEE10hipError_tPvRmT1_PNSt15iterator_traitsISY_E10value_typeET2_T3_PNSZ_IS14_E10value_typeET4_jRbjT5_S1A_jjP12ihipStream_tbEUljE_EEESV_SW_SX_S14_S18_S1A_T6_T7_T9_mT8_S1C_bDpT10_ENKUlT_T0_E_clISt17integral_constantIbLb1EES1O_IbLb0EEEEDaS1K_S1L_EUlS1K_E_NS1_11comp_targetILNS1_3genE0ELNS1_11target_archE4294967295ELNS1_3gpuE0ELNS1_3repE0EEENS1_30default_config_static_selectorELNS0_4arch9wavefront6targetE0EEEvSY_,"axG",@progbits,_ZN7rocprim17ROCPRIM_400000_NS6detail17trampoline_kernelINS0_13select_configILj256ELj13ELNS0_17block_load_methodE3ELS4_3ELS4_3ELNS0_20block_scan_algorithmE0ELj4294967295EEENS1_25partition_config_selectorILNS1_17partition_subalgoE3EjNS0_10empty_typeEbEEZZNS1_14partition_implILS8_3ELb0ES6_jNS0_17counting_iteratorIjlEEPS9_SE_NS0_5tupleIJPjSE_EEENSF_IJSE_SE_EEES9_SG_JZNS1_25segmented_radix_sort_implINS0_14default_configELb0EPKaPaPKlPlN2at6native12_GLOBAL__N_18offset_tEEE10hipError_tPvRmT1_PNSt15iterator_traitsISY_E10value_typeET2_T3_PNSZ_IS14_E10value_typeET4_jRbjT5_S1A_jjP12ihipStream_tbEUljE_EEESV_SW_SX_S14_S18_S1A_T6_T7_T9_mT8_S1C_bDpT10_ENKUlT_T0_E_clISt17integral_constantIbLb1EES1O_IbLb0EEEEDaS1K_S1L_EUlS1K_E_NS1_11comp_targetILNS1_3genE0ELNS1_11target_archE4294967295ELNS1_3gpuE0ELNS1_3repE0EEENS1_30default_config_static_selectorELNS0_4arch9wavefront6targetE0EEEvSY_,comdat
.Lfunc_end377:
	.size	_ZN7rocprim17ROCPRIM_400000_NS6detail17trampoline_kernelINS0_13select_configILj256ELj13ELNS0_17block_load_methodE3ELS4_3ELS4_3ELNS0_20block_scan_algorithmE0ELj4294967295EEENS1_25partition_config_selectorILNS1_17partition_subalgoE3EjNS0_10empty_typeEbEEZZNS1_14partition_implILS8_3ELb0ES6_jNS0_17counting_iteratorIjlEEPS9_SE_NS0_5tupleIJPjSE_EEENSF_IJSE_SE_EEES9_SG_JZNS1_25segmented_radix_sort_implINS0_14default_configELb0EPKaPaPKlPlN2at6native12_GLOBAL__N_18offset_tEEE10hipError_tPvRmT1_PNSt15iterator_traitsISY_E10value_typeET2_T3_PNSZ_IS14_E10value_typeET4_jRbjT5_S1A_jjP12ihipStream_tbEUljE_EEESV_SW_SX_S14_S18_S1A_T6_T7_T9_mT8_S1C_bDpT10_ENKUlT_T0_E_clISt17integral_constantIbLb1EES1O_IbLb0EEEEDaS1K_S1L_EUlS1K_E_NS1_11comp_targetILNS1_3genE0ELNS1_11target_archE4294967295ELNS1_3gpuE0ELNS1_3repE0EEENS1_30default_config_static_selectorELNS0_4arch9wavefront6targetE0EEEvSY_, .Lfunc_end377-_ZN7rocprim17ROCPRIM_400000_NS6detail17trampoline_kernelINS0_13select_configILj256ELj13ELNS0_17block_load_methodE3ELS4_3ELS4_3ELNS0_20block_scan_algorithmE0ELj4294967295EEENS1_25partition_config_selectorILNS1_17partition_subalgoE3EjNS0_10empty_typeEbEEZZNS1_14partition_implILS8_3ELb0ES6_jNS0_17counting_iteratorIjlEEPS9_SE_NS0_5tupleIJPjSE_EEENSF_IJSE_SE_EEES9_SG_JZNS1_25segmented_radix_sort_implINS0_14default_configELb0EPKaPaPKlPlN2at6native12_GLOBAL__N_18offset_tEEE10hipError_tPvRmT1_PNSt15iterator_traitsISY_E10value_typeET2_T3_PNSZ_IS14_E10value_typeET4_jRbjT5_S1A_jjP12ihipStream_tbEUljE_EEESV_SW_SX_S14_S18_S1A_T6_T7_T9_mT8_S1C_bDpT10_ENKUlT_T0_E_clISt17integral_constantIbLb1EES1O_IbLb0EEEEDaS1K_S1L_EUlS1K_E_NS1_11comp_targetILNS1_3genE0ELNS1_11target_archE4294967295ELNS1_3gpuE0ELNS1_3repE0EEENS1_30default_config_static_selectorELNS0_4arch9wavefront6targetE0EEEvSY_
                                        ; -- End function
	.section	.AMDGPU.csdata,"",@progbits
; Kernel info:
; codeLenInByte = 0
; NumSgprs: 0
; NumVgprs: 0
; ScratchSize: 0
; MemoryBound: 0
; FloatMode: 240
; IeeeMode: 1
; LDSByteSize: 0 bytes/workgroup (compile time only)
; SGPRBlocks: 0
; VGPRBlocks: 0
; NumSGPRsForWavesPerEU: 1
; NumVGPRsForWavesPerEU: 1
; Occupancy: 16
; WaveLimiterHint : 0
; COMPUTE_PGM_RSRC2:SCRATCH_EN: 0
; COMPUTE_PGM_RSRC2:USER_SGPR: 15
; COMPUTE_PGM_RSRC2:TRAP_HANDLER: 0
; COMPUTE_PGM_RSRC2:TGID_X_EN: 1
; COMPUTE_PGM_RSRC2:TGID_Y_EN: 0
; COMPUTE_PGM_RSRC2:TGID_Z_EN: 0
; COMPUTE_PGM_RSRC2:TIDIG_COMP_CNT: 0
	.section	.text._ZN7rocprim17ROCPRIM_400000_NS6detail17trampoline_kernelINS0_13select_configILj256ELj13ELNS0_17block_load_methodE3ELS4_3ELS4_3ELNS0_20block_scan_algorithmE0ELj4294967295EEENS1_25partition_config_selectorILNS1_17partition_subalgoE3EjNS0_10empty_typeEbEEZZNS1_14partition_implILS8_3ELb0ES6_jNS0_17counting_iteratorIjlEEPS9_SE_NS0_5tupleIJPjSE_EEENSF_IJSE_SE_EEES9_SG_JZNS1_25segmented_radix_sort_implINS0_14default_configELb0EPKaPaPKlPlN2at6native12_GLOBAL__N_18offset_tEEE10hipError_tPvRmT1_PNSt15iterator_traitsISY_E10value_typeET2_T3_PNSZ_IS14_E10value_typeET4_jRbjT5_S1A_jjP12ihipStream_tbEUljE_EEESV_SW_SX_S14_S18_S1A_T6_T7_T9_mT8_S1C_bDpT10_ENKUlT_T0_E_clISt17integral_constantIbLb1EES1O_IbLb0EEEEDaS1K_S1L_EUlS1K_E_NS1_11comp_targetILNS1_3genE5ELNS1_11target_archE942ELNS1_3gpuE9ELNS1_3repE0EEENS1_30default_config_static_selectorELNS0_4arch9wavefront6targetE0EEEvSY_,"axG",@progbits,_ZN7rocprim17ROCPRIM_400000_NS6detail17trampoline_kernelINS0_13select_configILj256ELj13ELNS0_17block_load_methodE3ELS4_3ELS4_3ELNS0_20block_scan_algorithmE0ELj4294967295EEENS1_25partition_config_selectorILNS1_17partition_subalgoE3EjNS0_10empty_typeEbEEZZNS1_14partition_implILS8_3ELb0ES6_jNS0_17counting_iteratorIjlEEPS9_SE_NS0_5tupleIJPjSE_EEENSF_IJSE_SE_EEES9_SG_JZNS1_25segmented_radix_sort_implINS0_14default_configELb0EPKaPaPKlPlN2at6native12_GLOBAL__N_18offset_tEEE10hipError_tPvRmT1_PNSt15iterator_traitsISY_E10value_typeET2_T3_PNSZ_IS14_E10value_typeET4_jRbjT5_S1A_jjP12ihipStream_tbEUljE_EEESV_SW_SX_S14_S18_S1A_T6_T7_T9_mT8_S1C_bDpT10_ENKUlT_T0_E_clISt17integral_constantIbLb1EES1O_IbLb0EEEEDaS1K_S1L_EUlS1K_E_NS1_11comp_targetILNS1_3genE5ELNS1_11target_archE942ELNS1_3gpuE9ELNS1_3repE0EEENS1_30default_config_static_selectorELNS0_4arch9wavefront6targetE0EEEvSY_,comdat
	.globl	_ZN7rocprim17ROCPRIM_400000_NS6detail17trampoline_kernelINS0_13select_configILj256ELj13ELNS0_17block_load_methodE3ELS4_3ELS4_3ELNS0_20block_scan_algorithmE0ELj4294967295EEENS1_25partition_config_selectorILNS1_17partition_subalgoE3EjNS0_10empty_typeEbEEZZNS1_14partition_implILS8_3ELb0ES6_jNS0_17counting_iteratorIjlEEPS9_SE_NS0_5tupleIJPjSE_EEENSF_IJSE_SE_EEES9_SG_JZNS1_25segmented_radix_sort_implINS0_14default_configELb0EPKaPaPKlPlN2at6native12_GLOBAL__N_18offset_tEEE10hipError_tPvRmT1_PNSt15iterator_traitsISY_E10value_typeET2_T3_PNSZ_IS14_E10value_typeET4_jRbjT5_S1A_jjP12ihipStream_tbEUljE_EEESV_SW_SX_S14_S18_S1A_T6_T7_T9_mT8_S1C_bDpT10_ENKUlT_T0_E_clISt17integral_constantIbLb1EES1O_IbLb0EEEEDaS1K_S1L_EUlS1K_E_NS1_11comp_targetILNS1_3genE5ELNS1_11target_archE942ELNS1_3gpuE9ELNS1_3repE0EEENS1_30default_config_static_selectorELNS0_4arch9wavefront6targetE0EEEvSY_ ; -- Begin function _ZN7rocprim17ROCPRIM_400000_NS6detail17trampoline_kernelINS0_13select_configILj256ELj13ELNS0_17block_load_methodE3ELS4_3ELS4_3ELNS0_20block_scan_algorithmE0ELj4294967295EEENS1_25partition_config_selectorILNS1_17partition_subalgoE3EjNS0_10empty_typeEbEEZZNS1_14partition_implILS8_3ELb0ES6_jNS0_17counting_iteratorIjlEEPS9_SE_NS0_5tupleIJPjSE_EEENSF_IJSE_SE_EEES9_SG_JZNS1_25segmented_radix_sort_implINS0_14default_configELb0EPKaPaPKlPlN2at6native12_GLOBAL__N_18offset_tEEE10hipError_tPvRmT1_PNSt15iterator_traitsISY_E10value_typeET2_T3_PNSZ_IS14_E10value_typeET4_jRbjT5_S1A_jjP12ihipStream_tbEUljE_EEESV_SW_SX_S14_S18_S1A_T6_T7_T9_mT8_S1C_bDpT10_ENKUlT_T0_E_clISt17integral_constantIbLb1EES1O_IbLb0EEEEDaS1K_S1L_EUlS1K_E_NS1_11comp_targetILNS1_3genE5ELNS1_11target_archE942ELNS1_3gpuE9ELNS1_3repE0EEENS1_30default_config_static_selectorELNS0_4arch9wavefront6targetE0EEEvSY_
	.p2align	8
	.type	_ZN7rocprim17ROCPRIM_400000_NS6detail17trampoline_kernelINS0_13select_configILj256ELj13ELNS0_17block_load_methodE3ELS4_3ELS4_3ELNS0_20block_scan_algorithmE0ELj4294967295EEENS1_25partition_config_selectorILNS1_17partition_subalgoE3EjNS0_10empty_typeEbEEZZNS1_14partition_implILS8_3ELb0ES6_jNS0_17counting_iteratorIjlEEPS9_SE_NS0_5tupleIJPjSE_EEENSF_IJSE_SE_EEES9_SG_JZNS1_25segmented_radix_sort_implINS0_14default_configELb0EPKaPaPKlPlN2at6native12_GLOBAL__N_18offset_tEEE10hipError_tPvRmT1_PNSt15iterator_traitsISY_E10value_typeET2_T3_PNSZ_IS14_E10value_typeET4_jRbjT5_S1A_jjP12ihipStream_tbEUljE_EEESV_SW_SX_S14_S18_S1A_T6_T7_T9_mT8_S1C_bDpT10_ENKUlT_T0_E_clISt17integral_constantIbLb1EES1O_IbLb0EEEEDaS1K_S1L_EUlS1K_E_NS1_11comp_targetILNS1_3genE5ELNS1_11target_archE942ELNS1_3gpuE9ELNS1_3repE0EEENS1_30default_config_static_selectorELNS0_4arch9wavefront6targetE0EEEvSY_,@function
_ZN7rocprim17ROCPRIM_400000_NS6detail17trampoline_kernelINS0_13select_configILj256ELj13ELNS0_17block_load_methodE3ELS4_3ELS4_3ELNS0_20block_scan_algorithmE0ELj4294967295EEENS1_25partition_config_selectorILNS1_17partition_subalgoE3EjNS0_10empty_typeEbEEZZNS1_14partition_implILS8_3ELb0ES6_jNS0_17counting_iteratorIjlEEPS9_SE_NS0_5tupleIJPjSE_EEENSF_IJSE_SE_EEES9_SG_JZNS1_25segmented_radix_sort_implINS0_14default_configELb0EPKaPaPKlPlN2at6native12_GLOBAL__N_18offset_tEEE10hipError_tPvRmT1_PNSt15iterator_traitsISY_E10value_typeET2_T3_PNSZ_IS14_E10value_typeET4_jRbjT5_S1A_jjP12ihipStream_tbEUljE_EEESV_SW_SX_S14_S18_S1A_T6_T7_T9_mT8_S1C_bDpT10_ENKUlT_T0_E_clISt17integral_constantIbLb1EES1O_IbLb0EEEEDaS1K_S1L_EUlS1K_E_NS1_11comp_targetILNS1_3genE5ELNS1_11target_archE942ELNS1_3gpuE9ELNS1_3repE0EEENS1_30default_config_static_selectorELNS0_4arch9wavefront6targetE0EEEvSY_: ; @_ZN7rocprim17ROCPRIM_400000_NS6detail17trampoline_kernelINS0_13select_configILj256ELj13ELNS0_17block_load_methodE3ELS4_3ELS4_3ELNS0_20block_scan_algorithmE0ELj4294967295EEENS1_25partition_config_selectorILNS1_17partition_subalgoE3EjNS0_10empty_typeEbEEZZNS1_14partition_implILS8_3ELb0ES6_jNS0_17counting_iteratorIjlEEPS9_SE_NS0_5tupleIJPjSE_EEENSF_IJSE_SE_EEES9_SG_JZNS1_25segmented_radix_sort_implINS0_14default_configELb0EPKaPaPKlPlN2at6native12_GLOBAL__N_18offset_tEEE10hipError_tPvRmT1_PNSt15iterator_traitsISY_E10value_typeET2_T3_PNSZ_IS14_E10value_typeET4_jRbjT5_S1A_jjP12ihipStream_tbEUljE_EEESV_SW_SX_S14_S18_S1A_T6_T7_T9_mT8_S1C_bDpT10_ENKUlT_T0_E_clISt17integral_constantIbLb1EES1O_IbLb0EEEEDaS1K_S1L_EUlS1K_E_NS1_11comp_targetILNS1_3genE5ELNS1_11target_archE942ELNS1_3gpuE9ELNS1_3repE0EEENS1_30default_config_static_selectorELNS0_4arch9wavefront6targetE0EEEvSY_
; %bb.0:
	.section	.rodata,"a",@progbits
	.p2align	6, 0x0
	.amdhsa_kernel _ZN7rocprim17ROCPRIM_400000_NS6detail17trampoline_kernelINS0_13select_configILj256ELj13ELNS0_17block_load_methodE3ELS4_3ELS4_3ELNS0_20block_scan_algorithmE0ELj4294967295EEENS1_25partition_config_selectorILNS1_17partition_subalgoE3EjNS0_10empty_typeEbEEZZNS1_14partition_implILS8_3ELb0ES6_jNS0_17counting_iteratorIjlEEPS9_SE_NS0_5tupleIJPjSE_EEENSF_IJSE_SE_EEES9_SG_JZNS1_25segmented_radix_sort_implINS0_14default_configELb0EPKaPaPKlPlN2at6native12_GLOBAL__N_18offset_tEEE10hipError_tPvRmT1_PNSt15iterator_traitsISY_E10value_typeET2_T3_PNSZ_IS14_E10value_typeET4_jRbjT5_S1A_jjP12ihipStream_tbEUljE_EEESV_SW_SX_S14_S18_S1A_T6_T7_T9_mT8_S1C_bDpT10_ENKUlT_T0_E_clISt17integral_constantIbLb1EES1O_IbLb0EEEEDaS1K_S1L_EUlS1K_E_NS1_11comp_targetILNS1_3genE5ELNS1_11target_archE942ELNS1_3gpuE9ELNS1_3repE0EEENS1_30default_config_static_selectorELNS0_4arch9wavefront6targetE0EEEvSY_
		.amdhsa_group_segment_fixed_size 0
		.amdhsa_private_segment_fixed_size 0
		.amdhsa_kernarg_size 144
		.amdhsa_user_sgpr_count 15
		.amdhsa_user_sgpr_dispatch_ptr 0
		.amdhsa_user_sgpr_queue_ptr 0
		.amdhsa_user_sgpr_kernarg_segment_ptr 1
		.amdhsa_user_sgpr_dispatch_id 0
		.amdhsa_user_sgpr_private_segment_size 0
		.amdhsa_wavefront_size32 1
		.amdhsa_uses_dynamic_stack 0
		.amdhsa_enable_private_segment 0
		.amdhsa_system_sgpr_workgroup_id_x 1
		.amdhsa_system_sgpr_workgroup_id_y 0
		.amdhsa_system_sgpr_workgroup_id_z 0
		.amdhsa_system_sgpr_workgroup_info 0
		.amdhsa_system_vgpr_workitem_id 0
		.amdhsa_next_free_vgpr 1
		.amdhsa_next_free_sgpr 1
		.amdhsa_reserve_vcc 0
		.amdhsa_float_round_mode_32 0
		.amdhsa_float_round_mode_16_64 0
		.amdhsa_float_denorm_mode_32 3
		.amdhsa_float_denorm_mode_16_64 3
		.amdhsa_dx10_clamp 1
		.amdhsa_ieee_mode 1
		.amdhsa_fp16_overflow 0
		.amdhsa_workgroup_processor_mode 1
		.amdhsa_memory_ordered 1
		.amdhsa_forward_progress 0
		.amdhsa_shared_vgpr_count 0
		.amdhsa_exception_fp_ieee_invalid_op 0
		.amdhsa_exception_fp_denorm_src 0
		.amdhsa_exception_fp_ieee_div_zero 0
		.amdhsa_exception_fp_ieee_overflow 0
		.amdhsa_exception_fp_ieee_underflow 0
		.amdhsa_exception_fp_ieee_inexact 0
		.amdhsa_exception_int_div_zero 0
	.end_amdhsa_kernel
	.section	.text._ZN7rocprim17ROCPRIM_400000_NS6detail17trampoline_kernelINS0_13select_configILj256ELj13ELNS0_17block_load_methodE3ELS4_3ELS4_3ELNS0_20block_scan_algorithmE0ELj4294967295EEENS1_25partition_config_selectorILNS1_17partition_subalgoE3EjNS0_10empty_typeEbEEZZNS1_14partition_implILS8_3ELb0ES6_jNS0_17counting_iteratorIjlEEPS9_SE_NS0_5tupleIJPjSE_EEENSF_IJSE_SE_EEES9_SG_JZNS1_25segmented_radix_sort_implINS0_14default_configELb0EPKaPaPKlPlN2at6native12_GLOBAL__N_18offset_tEEE10hipError_tPvRmT1_PNSt15iterator_traitsISY_E10value_typeET2_T3_PNSZ_IS14_E10value_typeET4_jRbjT5_S1A_jjP12ihipStream_tbEUljE_EEESV_SW_SX_S14_S18_S1A_T6_T7_T9_mT8_S1C_bDpT10_ENKUlT_T0_E_clISt17integral_constantIbLb1EES1O_IbLb0EEEEDaS1K_S1L_EUlS1K_E_NS1_11comp_targetILNS1_3genE5ELNS1_11target_archE942ELNS1_3gpuE9ELNS1_3repE0EEENS1_30default_config_static_selectorELNS0_4arch9wavefront6targetE0EEEvSY_,"axG",@progbits,_ZN7rocprim17ROCPRIM_400000_NS6detail17trampoline_kernelINS0_13select_configILj256ELj13ELNS0_17block_load_methodE3ELS4_3ELS4_3ELNS0_20block_scan_algorithmE0ELj4294967295EEENS1_25partition_config_selectorILNS1_17partition_subalgoE3EjNS0_10empty_typeEbEEZZNS1_14partition_implILS8_3ELb0ES6_jNS0_17counting_iteratorIjlEEPS9_SE_NS0_5tupleIJPjSE_EEENSF_IJSE_SE_EEES9_SG_JZNS1_25segmented_radix_sort_implINS0_14default_configELb0EPKaPaPKlPlN2at6native12_GLOBAL__N_18offset_tEEE10hipError_tPvRmT1_PNSt15iterator_traitsISY_E10value_typeET2_T3_PNSZ_IS14_E10value_typeET4_jRbjT5_S1A_jjP12ihipStream_tbEUljE_EEESV_SW_SX_S14_S18_S1A_T6_T7_T9_mT8_S1C_bDpT10_ENKUlT_T0_E_clISt17integral_constantIbLb1EES1O_IbLb0EEEEDaS1K_S1L_EUlS1K_E_NS1_11comp_targetILNS1_3genE5ELNS1_11target_archE942ELNS1_3gpuE9ELNS1_3repE0EEENS1_30default_config_static_selectorELNS0_4arch9wavefront6targetE0EEEvSY_,comdat
.Lfunc_end378:
	.size	_ZN7rocprim17ROCPRIM_400000_NS6detail17trampoline_kernelINS0_13select_configILj256ELj13ELNS0_17block_load_methodE3ELS4_3ELS4_3ELNS0_20block_scan_algorithmE0ELj4294967295EEENS1_25partition_config_selectorILNS1_17partition_subalgoE3EjNS0_10empty_typeEbEEZZNS1_14partition_implILS8_3ELb0ES6_jNS0_17counting_iteratorIjlEEPS9_SE_NS0_5tupleIJPjSE_EEENSF_IJSE_SE_EEES9_SG_JZNS1_25segmented_radix_sort_implINS0_14default_configELb0EPKaPaPKlPlN2at6native12_GLOBAL__N_18offset_tEEE10hipError_tPvRmT1_PNSt15iterator_traitsISY_E10value_typeET2_T3_PNSZ_IS14_E10value_typeET4_jRbjT5_S1A_jjP12ihipStream_tbEUljE_EEESV_SW_SX_S14_S18_S1A_T6_T7_T9_mT8_S1C_bDpT10_ENKUlT_T0_E_clISt17integral_constantIbLb1EES1O_IbLb0EEEEDaS1K_S1L_EUlS1K_E_NS1_11comp_targetILNS1_3genE5ELNS1_11target_archE942ELNS1_3gpuE9ELNS1_3repE0EEENS1_30default_config_static_selectorELNS0_4arch9wavefront6targetE0EEEvSY_, .Lfunc_end378-_ZN7rocprim17ROCPRIM_400000_NS6detail17trampoline_kernelINS0_13select_configILj256ELj13ELNS0_17block_load_methodE3ELS4_3ELS4_3ELNS0_20block_scan_algorithmE0ELj4294967295EEENS1_25partition_config_selectorILNS1_17partition_subalgoE3EjNS0_10empty_typeEbEEZZNS1_14partition_implILS8_3ELb0ES6_jNS0_17counting_iteratorIjlEEPS9_SE_NS0_5tupleIJPjSE_EEENSF_IJSE_SE_EEES9_SG_JZNS1_25segmented_radix_sort_implINS0_14default_configELb0EPKaPaPKlPlN2at6native12_GLOBAL__N_18offset_tEEE10hipError_tPvRmT1_PNSt15iterator_traitsISY_E10value_typeET2_T3_PNSZ_IS14_E10value_typeET4_jRbjT5_S1A_jjP12ihipStream_tbEUljE_EEESV_SW_SX_S14_S18_S1A_T6_T7_T9_mT8_S1C_bDpT10_ENKUlT_T0_E_clISt17integral_constantIbLb1EES1O_IbLb0EEEEDaS1K_S1L_EUlS1K_E_NS1_11comp_targetILNS1_3genE5ELNS1_11target_archE942ELNS1_3gpuE9ELNS1_3repE0EEENS1_30default_config_static_selectorELNS0_4arch9wavefront6targetE0EEEvSY_
                                        ; -- End function
	.section	.AMDGPU.csdata,"",@progbits
; Kernel info:
; codeLenInByte = 0
; NumSgprs: 0
; NumVgprs: 0
; ScratchSize: 0
; MemoryBound: 0
; FloatMode: 240
; IeeeMode: 1
; LDSByteSize: 0 bytes/workgroup (compile time only)
; SGPRBlocks: 0
; VGPRBlocks: 0
; NumSGPRsForWavesPerEU: 1
; NumVGPRsForWavesPerEU: 1
; Occupancy: 16
; WaveLimiterHint : 0
; COMPUTE_PGM_RSRC2:SCRATCH_EN: 0
; COMPUTE_PGM_RSRC2:USER_SGPR: 15
; COMPUTE_PGM_RSRC2:TRAP_HANDLER: 0
; COMPUTE_PGM_RSRC2:TGID_X_EN: 1
; COMPUTE_PGM_RSRC2:TGID_Y_EN: 0
; COMPUTE_PGM_RSRC2:TGID_Z_EN: 0
; COMPUTE_PGM_RSRC2:TIDIG_COMP_CNT: 0
	.section	.text._ZN7rocprim17ROCPRIM_400000_NS6detail17trampoline_kernelINS0_13select_configILj256ELj13ELNS0_17block_load_methodE3ELS4_3ELS4_3ELNS0_20block_scan_algorithmE0ELj4294967295EEENS1_25partition_config_selectorILNS1_17partition_subalgoE3EjNS0_10empty_typeEbEEZZNS1_14partition_implILS8_3ELb0ES6_jNS0_17counting_iteratorIjlEEPS9_SE_NS0_5tupleIJPjSE_EEENSF_IJSE_SE_EEES9_SG_JZNS1_25segmented_radix_sort_implINS0_14default_configELb0EPKaPaPKlPlN2at6native12_GLOBAL__N_18offset_tEEE10hipError_tPvRmT1_PNSt15iterator_traitsISY_E10value_typeET2_T3_PNSZ_IS14_E10value_typeET4_jRbjT5_S1A_jjP12ihipStream_tbEUljE_EEESV_SW_SX_S14_S18_S1A_T6_T7_T9_mT8_S1C_bDpT10_ENKUlT_T0_E_clISt17integral_constantIbLb1EES1O_IbLb0EEEEDaS1K_S1L_EUlS1K_E_NS1_11comp_targetILNS1_3genE4ELNS1_11target_archE910ELNS1_3gpuE8ELNS1_3repE0EEENS1_30default_config_static_selectorELNS0_4arch9wavefront6targetE0EEEvSY_,"axG",@progbits,_ZN7rocprim17ROCPRIM_400000_NS6detail17trampoline_kernelINS0_13select_configILj256ELj13ELNS0_17block_load_methodE3ELS4_3ELS4_3ELNS0_20block_scan_algorithmE0ELj4294967295EEENS1_25partition_config_selectorILNS1_17partition_subalgoE3EjNS0_10empty_typeEbEEZZNS1_14partition_implILS8_3ELb0ES6_jNS0_17counting_iteratorIjlEEPS9_SE_NS0_5tupleIJPjSE_EEENSF_IJSE_SE_EEES9_SG_JZNS1_25segmented_radix_sort_implINS0_14default_configELb0EPKaPaPKlPlN2at6native12_GLOBAL__N_18offset_tEEE10hipError_tPvRmT1_PNSt15iterator_traitsISY_E10value_typeET2_T3_PNSZ_IS14_E10value_typeET4_jRbjT5_S1A_jjP12ihipStream_tbEUljE_EEESV_SW_SX_S14_S18_S1A_T6_T7_T9_mT8_S1C_bDpT10_ENKUlT_T0_E_clISt17integral_constantIbLb1EES1O_IbLb0EEEEDaS1K_S1L_EUlS1K_E_NS1_11comp_targetILNS1_3genE4ELNS1_11target_archE910ELNS1_3gpuE8ELNS1_3repE0EEENS1_30default_config_static_selectorELNS0_4arch9wavefront6targetE0EEEvSY_,comdat
	.globl	_ZN7rocprim17ROCPRIM_400000_NS6detail17trampoline_kernelINS0_13select_configILj256ELj13ELNS0_17block_load_methodE3ELS4_3ELS4_3ELNS0_20block_scan_algorithmE0ELj4294967295EEENS1_25partition_config_selectorILNS1_17partition_subalgoE3EjNS0_10empty_typeEbEEZZNS1_14partition_implILS8_3ELb0ES6_jNS0_17counting_iteratorIjlEEPS9_SE_NS0_5tupleIJPjSE_EEENSF_IJSE_SE_EEES9_SG_JZNS1_25segmented_radix_sort_implINS0_14default_configELb0EPKaPaPKlPlN2at6native12_GLOBAL__N_18offset_tEEE10hipError_tPvRmT1_PNSt15iterator_traitsISY_E10value_typeET2_T3_PNSZ_IS14_E10value_typeET4_jRbjT5_S1A_jjP12ihipStream_tbEUljE_EEESV_SW_SX_S14_S18_S1A_T6_T7_T9_mT8_S1C_bDpT10_ENKUlT_T0_E_clISt17integral_constantIbLb1EES1O_IbLb0EEEEDaS1K_S1L_EUlS1K_E_NS1_11comp_targetILNS1_3genE4ELNS1_11target_archE910ELNS1_3gpuE8ELNS1_3repE0EEENS1_30default_config_static_selectorELNS0_4arch9wavefront6targetE0EEEvSY_ ; -- Begin function _ZN7rocprim17ROCPRIM_400000_NS6detail17trampoline_kernelINS0_13select_configILj256ELj13ELNS0_17block_load_methodE3ELS4_3ELS4_3ELNS0_20block_scan_algorithmE0ELj4294967295EEENS1_25partition_config_selectorILNS1_17partition_subalgoE3EjNS0_10empty_typeEbEEZZNS1_14partition_implILS8_3ELb0ES6_jNS0_17counting_iteratorIjlEEPS9_SE_NS0_5tupleIJPjSE_EEENSF_IJSE_SE_EEES9_SG_JZNS1_25segmented_radix_sort_implINS0_14default_configELb0EPKaPaPKlPlN2at6native12_GLOBAL__N_18offset_tEEE10hipError_tPvRmT1_PNSt15iterator_traitsISY_E10value_typeET2_T3_PNSZ_IS14_E10value_typeET4_jRbjT5_S1A_jjP12ihipStream_tbEUljE_EEESV_SW_SX_S14_S18_S1A_T6_T7_T9_mT8_S1C_bDpT10_ENKUlT_T0_E_clISt17integral_constantIbLb1EES1O_IbLb0EEEEDaS1K_S1L_EUlS1K_E_NS1_11comp_targetILNS1_3genE4ELNS1_11target_archE910ELNS1_3gpuE8ELNS1_3repE0EEENS1_30default_config_static_selectorELNS0_4arch9wavefront6targetE0EEEvSY_
	.p2align	8
	.type	_ZN7rocprim17ROCPRIM_400000_NS6detail17trampoline_kernelINS0_13select_configILj256ELj13ELNS0_17block_load_methodE3ELS4_3ELS4_3ELNS0_20block_scan_algorithmE0ELj4294967295EEENS1_25partition_config_selectorILNS1_17partition_subalgoE3EjNS0_10empty_typeEbEEZZNS1_14partition_implILS8_3ELb0ES6_jNS0_17counting_iteratorIjlEEPS9_SE_NS0_5tupleIJPjSE_EEENSF_IJSE_SE_EEES9_SG_JZNS1_25segmented_radix_sort_implINS0_14default_configELb0EPKaPaPKlPlN2at6native12_GLOBAL__N_18offset_tEEE10hipError_tPvRmT1_PNSt15iterator_traitsISY_E10value_typeET2_T3_PNSZ_IS14_E10value_typeET4_jRbjT5_S1A_jjP12ihipStream_tbEUljE_EEESV_SW_SX_S14_S18_S1A_T6_T7_T9_mT8_S1C_bDpT10_ENKUlT_T0_E_clISt17integral_constantIbLb1EES1O_IbLb0EEEEDaS1K_S1L_EUlS1K_E_NS1_11comp_targetILNS1_3genE4ELNS1_11target_archE910ELNS1_3gpuE8ELNS1_3repE0EEENS1_30default_config_static_selectorELNS0_4arch9wavefront6targetE0EEEvSY_,@function
_ZN7rocprim17ROCPRIM_400000_NS6detail17trampoline_kernelINS0_13select_configILj256ELj13ELNS0_17block_load_methodE3ELS4_3ELS4_3ELNS0_20block_scan_algorithmE0ELj4294967295EEENS1_25partition_config_selectorILNS1_17partition_subalgoE3EjNS0_10empty_typeEbEEZZNS1_14partition_implILS8_3ELb0ES6_jNS0_17counting_iteratorIjlEEPS9_SE_NS0_5tupleIJPjSE_EEENSF_IJSE_SE_EEES9_SG_JZNS1_25segmented_radix_sort_implINS0_14default_configELb0EPKaPaPKlPlN2at6native12_GLOBAL__N_18offset_tEEE10hipError_tPvRmT1_PNSt15iterator_traitsISY_E10value_typeET2_T3_PNSZ_IS14_E10value_typeET4_jRbjT5_S1A_jjP12ihipStream_tbEUljE_EEESV_SW_SX_S14_S18_S1A_T6_T7_T9_mT8_S1C_bDpT10_ENKUlT_T0_E_clISt17integral_constantIbLb1EES1O_IbLb0EEEEDaS1K_S1L_EUlS1K_E_NS1_11comp_targetILNS1_3genE4ELNS1_11target_archE910ELNS1_3gpuE8ELNS1_3repE0EEENS1_30default_config_static_selectorELNS0_4arch9wavefront6targetE0EEEvSY_: ; @_ZN7rocprim17ROCPRIM_400000_NS6detail17trampoline_kernelINS0_13select_configILj256ELj13ELNS0_17block_load_methodE3ELS4_3ELS4_3ELNS0_20block_scan_algorithmE0ELj4294967295EEENS1_25partition_config_selectorILNS1_17partition_subalgoE3EjNS0_10empty_typeEbEEZZNS1_14partition_implILS8_3ELb0ES6_jNS0_17counting_iteratorIjlEEPS9_SE_NS0_5tupleIJPjSE_EEENSF_IJSE_SE_EEES9_SG_JZNS1_25segmented_radix_sort_implINS0_14default_configELb0EPKaPaPKlPlN2at6native12_GLOBAL__N_18offset_tEEE10hipError_tPvRmT1_PNSt15iterator_traitsISY_E10value_typeET2_T3_PNSZ_IS14_E10value_typeET4_jRbjT5_S1A_jjP12ihipStream_tbEUljE_EEESV_SW_SX_S14_S18_S1A_T6_T7_T9_mT8_S1C_bDpT10_ENKUlT_T0_E_clISt17integral_constantIbLb1EES1O_IbLb0EEEEDaS1K_S1L_EUlS1K_E_NS1_11comp_targetILNS1_3genE4ELNS1_11target_archE910ELNS1_3gpuE8ELNS1_3repE0EEENS1_30default_config_static_selectorELNS0_4arch9wavefront6targetE0EEEvSY_
; %bb.0:
	.section	.rodata,"a",@progbits
	.p2align	6, 0x0
	.amdhsa_kernel _ZN7rocprim17ROCPRIM_400000_NS6detail17trampoline_kernelINS0_13select_configILj256ELj13ELNS0_17block_load_methodE3ELS4_3ELS4_3ELNS0_20block_scan_algorithmE0ELj4294967295EEENS1_25partition_config_selectorILNS1_17partition_subalgoE3EjNS0_10empty_typeEbEEZZNS1_14partition_implILS8_3ELb0ES6_jNS0_17counting_iteratorIjlEEPS9_SE_NS0_5tupleIJPjSE_EEENSF_IJSE_SE_EEES9_SG_JZNS1_25segmented_radix_sort_implINS0_14default_configELb0EPKaPaPKlPlN2at6native12_GLOBAL__N_18offset_tEEE10hipError_tPvRmT1_PNSt15iterator_traitsISY_E10value_typeET2_T3_PNSZ_IS14_E10value_typeET4_jRbjT5_S1A_jjP12ihipStream_tbEUljE_EEESV_SW_SX_S14_S18_S1A_T6_T7_T9_mT8_S1C_bDpT10_ENKUlT_T0_E_clISt17integral_constantIbLb1EES1O_IbLb0EEEEDaS1K_S1L_EUlS1K_E_NS1_11comp_targetILNS1_3genE4ELNS1_11target_archE910ELNS1_3gpuE8ELNS1_3repE0EEENS1_30default_config_static_selectorELNS0_4arch9wavefront6targetE0EEEvSY_
		.amdhsa_group_segment_fixed_size 0
		.amdhsa_private_segment_fixed_size 0
		.amdhsa_kernarg_size 144
		.amdhsa_user_sgpr_count 15
		.amdhsa_user_sgpr_dispatch_ptr 0
		.amdhsa_user_sgpr_queue_ptr 0
		.amdhsa_user_sgpr_kernarg_segment_ptr 1
		.amdhsa_user_sgpr_dispatch_id 0
		.amdhsa_user_sgpr_private_segment_size 0
		.amdhsa_wavefront_size32 1
		.amdhsa_uses_dynamic_stack 0
		.amdhsa_enable_private_segment 0
		.amdhsa_system_sgpr_workgroup_id_x 1
		.amdhsa_system_sgpr_workgroup_id_y 0
		.amdhsa_system_sgpr_workgroup_id_z 0
		.amdhsa_system_sgpr_workgroup_info 0
		.amdhsa_system_vgpr_workitem_id 0
		.amdhsa_next_free_vgpr 1
		.amdhsa_next_free_sgpr 1
		.amdhsa_reserve_vcc 0
		.amdhsa_float_round_mode_32 0
		.amdhsa_float_round_mode_16_64 0
		.amdhsa_float_denorm_mode_32 3
		.amdhsa_float_denorm_mode_16_64 3
		.amdhsa_dx10_clamp 1
		.amdhsa_ieee_mode 1
		.amdhsa_fp16_overflow 0
		.amdhsa_workgroup_processor_mode 1
		.amdhsa_memory_ordered 1
		.amdhsa_forward_progress 0
		.amdhsa_shared_vgpr_count 0
		.amdhsa_exception_fp_ieee_invalid_op 0
		.amdhsa_exception_fp_denorm_src 0
		.amdhsa_exception_fp_ieee_div_zero 0
		.amdhsa_exception_fp_ieee_overflow 0
		.amdhsa_exception_fp_ieee_underflow 0
		.amdhsa_exception_fp_ieee_inexact 0
		.amdhsa_exception_int_div_zero 0
	.end_amdhsa_kernel
	.section	.text._ZN7rocprim17ROCPRIM_400000_NS6detail17trampoline_kernelINS0_13select_configILj256ELj13ELNS0_17block_load_methodE3ELS4_3ELS4_3ELNS0_20block_scan_algorithmE0ELj4294967295EEENS1_25partition_config_selectorILNS1_17partition_subalgoE3EjNS0_10empty_typeEbEEZZNS1_14partition_implILS8_3ELb0ES6_jNS0_17counting_iteratorIjlEEPS9_SE_NS0_5tupleIJPjSE_EEENSF_IJSE_SE_EEES9_SG_JZNS1_25segmented_radix_sort_implINS0_14default_configELb0EPKaPaPKlPlN2at6native12_GLOBAL__N_18offset_tEEE10hipError_tPvRmT1_PNSt15iterator_traitsISY_E10value_typeET2_T3_PNSZ_IS14_E10value_typeET4_jRbjT5_S1A_jjP12ihipStream_tbEUljE_EEESV_SW_SX_S14_S18_S1A_T6_T7_T9_mT8_S1C_bDpT10_ENKUlT_T0_E_clISt17integral_constantIbLb1EES1O_IbLb0EEEEDaS1K_S1L_EUlS1K_E_NS1_11comp_targetILNS1_3genE4ELNS1_11target_archE910ELNS1_3gpuE8ELNS1_3repE0EEENS1_30default_config_static_selectorELNS0_4arch9wavefront6targetE0EEEvSY_,"axG",@progbits,_ZN7rocprim17ROCPRIM_400000_NS6detail17trampoline_kernelINS0_13select_configILj256ELj13ELNS0_17block_load_methodE3ELS4_3ELS4_3ELNS0_20block_scan_algorithmE0ELj4294967295EEENS1_25partition_config_selectorILNS1_17partition_subalgoE3EjNS0_10empty_typeEbEEZZNS1_14partition_implILS8_3ELb0ES6_jNS0_17counting_iteratorIjlEEPS9_SE_NS0_5tupleIJPjSE_EEENSF_IJSE_SE_EEES9_SG_JZNS1_25segmented_radix_sort_implINS0_14default_configELb0EPKaPaPKlPlN2at6native12_GLOBAL__N_18offset_tEEE10hipError_tPvRmT1_PNSt15iterator_traitsISY_E10value_typeET2_T3_PNSZ_IS14_E10value_typeET4_jRbjT5_S1A_jjP12ihipStream_tbEUljE_EEESV_SW_SX_S14_S18_S1A_T6_T7_T9_mT8_S1C_bDpT10_ENKUlT_T0_E_clISt17integral_constantIbLb1EES1O_IbLb0EEEEDaS1K_S1L_EUlS1K_E_NS1_11comp_targetILNS1_3genE4ELNS1_11target_archE910ELNS1_3gpuE8ELNS1_3repE0EEENS1_30default_config_static_selectorELNS0_4arch9wavefront6targetE0EEEvSY_,comdat
.Lfunc_end379:
	.size	_ZN7rocprim17ROCPRIM_400000_NS6detail17trampoline_kernelINS0_13select_configILj256ELj13ELNS0_17block_load_methodE3ELS4_3ELS4_3ELNS0_20block_scan_algorithmE0ELj4294967295EEENS1_25partition_config_selectorILNS1_17partition_subalgoE3EjNS0_10empty_typeEbEEZZNS1_14partition_implILS8_3ELb0ES6_jNS0_17counting_iteratorIjlEEPS9_SE_NS0_5tupleIJPjSE_EEENSF_IJSE_SE_EEES9_SG_JZNS1_25segmented_radix_sort_implINS0_14default_configELb0EPKaPaPKlPlN2at6native12_GLOBAL__N_18offset_tEEE10hipError_tPvRmT1_PNSt15iterator_traitsISY_E10value_typeET2_T3_PNSZ_IS14_E10value_typeET4_jRbjT5_S1A_jjP12ihipStream_tbEUljE_EEESV_SW_SX_S14_S18_S1A_T6_T7_T9_mT8_S1C_bDpT10_ENKUlT_T0_E_clISt17integral_constantIbLb1EES1O_IbLb0EEEEDaS1K_S1L_EUlS1K_E_NS1_11comp_targetILNS1_3genE4ELNS1_11target_archE910ELNS1_3gpuE8ELNS1_3repE0EEENS1_30default_config_static_selectorELNS0_4arch9wavefront6targetE0EEEvSY_, .Lfunc_end379-_ZN7rocprim17ROCPRIM_400000_NS6detail17trampoline_kernelINS0_13select_configILj256ELj13ELNS0_17block_load_methodE3ELS4_3ELS4_3ELNS0_20block_scan_algorithmE0ELj4294967295EEENS1_25partition_config_selectorILNS1_17partition_subalgoE3EjNS0_10empty_typeEbEEZZNS1_14partition_implILS8_3ELb0ES6_jNS0_17counting_iteratorIjlEEPS9_SE_NS0_5tupleIJPjSE_EEENSF_IJSE_SE_EEES9_SG_JZNS1_25segmented_radix_sort_implINS0_14default_configELb0EPKaPaPKlPlN2at6native12_GLOBAL__N_18offset_tEEE10hipError_tPvRmT1_PNSt15iterator_traitsISY_E10value_typeET2_T3_PNSZ_IS14_E10value_typeET4_jRbjT5_S1A_jjP12ihipStream_tbEUljE_EEESV_SW_SX_S14_S18_S1A_T6_T7_T9_mT8_S1C_bDpT10_ENKUlT_T0_E_clISt17integral_constantIbLb1EES1O_IbLb0EEEEDaS1K_S1L_EUlS1K_E_NS1_11comp_targetILNS1_3genE4ELNS1_11target_archE910ELNS1_3gpuE8ELNS1_3repE0EEENS1_30default_config_static_selectorELNS0_4arch9wavefront6targetE0EEEvSY_
                                        ; -- End function
	.section	.AMDGPU.csdata,"",@progbits
; Kernel info:
; codeLenInByte = 0
; NumSgprs: 0
; NumVgprs: 0
; ScratchSize: 0
; MemoryBound: 0
; FloatMode: 240
; IeeeMode: 1
; LDSByteSize: 0 bytes/workgroup (compile time only)
; SGPRBlocks: 0
; VGPRBlocks: 0
; NumSGPRsForWavesPerEU: 1
; NumVGPRsForWavesPerEU: 1
; Occupancy: 16
; WaveLimiterHint : 0
; COMPUTE_PGM_RSRC2:SCRATCH_EN: 0
; COMPUTE_PGM_RSRC2:USER_SGPR: 15
; COMPUTE_PGM_RSRC2:TRAP_HANDLER: 0
; COMPUTE_PGM_RSRC2:TGID_X_EN: 1
; COMPUTE_PGM_RSRC2:TGID_Y_EN: 0
; COMPUTE_PGM_RSRC2:TGID_Z_EN: 0
; COMPUTE_PGM_RSRC2:TIDIG_COMP_CNT: 0
	.section	.text._ZN7rocprim17ROCPRIM_400000_NS6detail17trampoline_kernelINS0_13select_configILj256ELj13ELNS0_17block_load_methodE3ELS4_3ELS4_3ELNS0_20block_scan_algorithmE0ELj4294967295EEENS1_25partition_config_selectorILNS1_17partition_subalgoE3EjNS0_10empty_typeEbEEZZNS1_14partition_implILS8_3ELb0ES6_jNS0_17counting_iteratorIjlEEPS9_SE_NS0_5tupleIJPjSE_EEENSF_IJSE_SE_EEES9_SG_JZNS1_25segmented_radix_sort_implINS0_14default_configELb0EPKaPaPKlPlN2at6native12_GLOBAL__N_18offset_tEEE10hipError_tPvRmT1_PNSt15iterator_traitsISY_E10value_typeET2_T3_PNSZ_IS14_E10value_typeET4_jRbjT5_S1A_jjP12ihipStream_tbEUljE_EEESV_SW_SX_S14_S18_S1A_T6_T7_T9_mT8_S1C_bDpT10_ENKUlT_T0_E_clISt17integral_constantIbLb1EES1O_IbLb0EEEEDaS1K_S1L_EUlS1K_E_NS1_11comp_targetILNS1_3genE3ELNS1_11target_archE908ELNS1_3gpuE7ELNS1_3repE0EEENS1_30default_config_static_selectorELNS0_4arch9wavefront6targetE0EEEvSY_,"axG",@progbits,_ZN7rocprim17ROCPRIM_400000_NS6detail17trampoline_kernelINS0_13select_configILj256ELj13ELNS0_17block_load_methodE3ELS4_3ELS4_3ELNS0_20block_scan_algorithmE0ELj4294967295EEENS1_25partition_config_selectorILNS1_17partition_subalgoE3EjNS0_10empty_typeEbEEZZNS1_14partition_implILS8_3ELb0ES6_jNS0_17counting_iteratorIjlEEPS9_SE_NS0_5tupleIJPjSE_EEENSF_IJSE_SE_EEES9_SG_JZNS1_25segmented_radix_sort_implINS0_14default_configELb0EPKaPaPKlPlN2at6native12_GLOBAL__N_18offset_tEEE10hipError_tPvRmT1_PNSt15iterator_traitsISY_E10value_typeET2_T3_PNSZ_IS14_E10value_typeET4_jRbjT5_S1A_jjP12ihipStream_tbEUljE_EEESV_SW_SX_S14_S18_S1A_T6_T7_T9_mT8_S1C_bDpT10_ENKUlT_T0_E_clISt17integral_constantIbLb1EES1O_IbLb0EEEEDaS1K_S1L_EUlS1K_E_NS1_11comp_targetILNS1_3genE3ELNS1_11target_archE908ELNS1_3gpuE7ELNS1_3repE0EEENS1_30default_config_static_selectorELNS0_4arch9wavefront6targetE0EEEvSY_,comdat
	.globl	_ZN7rocprim17ROCPRIM_400000_NS6detail17trampoline_kernelINS0_13select_configILj256ELj13ELNS0_17block_load_methodE3ELS4_3ELS4_3ELNS0_20block_scan_algorithmE0ELj4294967295EEENS1_25partition_config_selectorILNS1_17partition_subalgoE3EjNS0_10empty_typeEbEEZZNS1_14partition_implILS8_3ELb0ES6_jNS0_17counting_iteratorIjlEEPS9_SE_NS0_5tupleIJPjSE_EEENSF_IJSE_SE_EEES9_SG_JZNS1_25segmented_radix_sort_implINS0_14default_configELb0EPKaPaPKlPlN2at6native12_GLOBAL__N_18offset_tEEE10hipError_tPvRmT1_PNSt15iterator_traitsISY_E10value_typeET2_T3_PNSZ_IS14_E10value_typeET4_jRbjT5_S1A_jjP12ihipStream_tbEUljE_EEESV_SW_SX_S14_S18_S1A_T6_T7_T9_mT8_S1C_bDpT10_ENKUlT_T0_E_clISt17integral_constantIbLb1EES1O_IbLb0EEEEDaS1K_S1L_EUlS1K_E_NS1_11comp_targetILNS1_3genE3ELNS1_11target_archE908ELNS1_3gpuE7ELNS1_3repE0EEENS1_30default_config_static_selectorELNS0_4arch9wavefront6targetE0EEEvSY_ ; -- Begin function _ZN7rocprim17ROCPRIM_400000_NS6detail17trampoline_kernelINS0_13select_configILj256ELj13ELNS0_17block_load_methodE3ELS4_3ELS4_3ELNS0_20block_scan_algorithmE0ELj4294967295EEENS1_25partition_config_selectorILNS1_17partition_subalgoE3EjNS0_10empty_typeEbEEZZNS1_14partition_implILS8_3ELb0ES6_jNS0_17counting_iteratorIjlEEPS9_SE_NS0_5tupleIJPjSE_EEENSF_IJSE_SE_EEES9_SG_JZNS1_25segmented_radix_sort_implINS0_14default_configELb0EPKaPaPKlPlN2at6native12_GLOBAL__N_18offset_tEEE10hipError_tPvRmT1_PNSt15iterator_traitsISY_E10value_typeET2_T3_PNSZ_IS14_E10value_typeET4_jRbjT5_S1A_jjP12ihipStream_tbEUljE_EEESV_SW_SX_S14_S18_S1A_T6_T7_T9_mT8_S1C_bDpT10_ENKUlT_T0_E_clISt17integral_constantIbLb1EES1O_IbLb0EEEEDaS1K_S1L_EUlS1K_E_NS1_11comp_targetILNS1_3genE3ELNS1_11target_archE908ELNS1_3gpuE7ELNS1_3repE0EEENS1_30default_config_static_selectorELNS0_4arch9wavefront6targetE0EEEvSY_
	.p2align	8
	.type	_ZN7rocprim17ROCPRIM_400000_NS6detail17trampoline_kernelINS0_13select_configILj256ELj13ELNS0_17block_load_methodE3ELS4_3ELS4_3ELNS0_20block_scan_algorithmE0ELj4294967295EEENS1_25partition_config_selectorILNS1_17partition_subalgoE3EjNS0_10empty_typeEbEEZZNS1_14partition_implILS8_3ELb0ES6_jNS0_17counting_iteratorIjlEEPS9_SE_NS0_5tupleIJPjSE_EEENSF_IJSE_SE_EEES9_SG_JZNS1_25segmented_radix_sort_implINS0_14default_configELb0EPKaPaPKlPlN2at6native12_GLOBAL__N_18offset_tEEE10hipError_tPvRmT1_PNSt15iterator_traitsISY_E10value_typeET2_T3_PNSZ_IS14_E10value_typeET4_jRbjT5_S1A_jjP12ihipStream_tbEUljE_EEESV_SW_SX_S14_S18_S1A_T6_T7_T9_mT8_S1C_bDpT10_ENKUlT_T0_E_clISt17integral_constantIbLb1EES1O_IbLb0EEEEDaS1K_S1L_EUlS1K_E_NS1_11comp_targetILNS1_3genE3ELNS1_11target_archE908ELNS1_3gpuE7ELNS1_3repE0EEENS1_30default_config_static_selectorELNS0_4arch9wavefront6targetE0EEEvSY_,@function
_ZN7rocprim17ROCPRIM_400000_NS6detail17trampoline_kernelINS0_13select_configILj256ELj13ELNS0_17block_load_methodE3ELS4_3ELS4_3ELNS0_20block_scan_algorithmE0ELj4294967295EEENS1_25partition_config_selectorILNS1_17partition_subalgoE3EjNS0_10empty_typeEbEEZZNS1_14partition_implILS8_3ELb0ES6_jNS0_17counting_iteratorIjlEEPS9_SE_NS0_5tupleIJPjSE_EEENSF_IJSE_SE_EEES9_SG_JZNS1_25segmented_radix_sort_implINS0_14default_configELb0EPKaPaPKlPlN2at6native12_GLOBAL__N_18offset_tEEE10hipError_tPvRmT1_PNSt15iterator_traitsISY_E10value_typeET2_T3_PNSZ_IS14_E10value_typeET4_jRbjT5_S1A_jjP12ihipStream_tbEUljE_EEESV_SW_SX_S14_S18_S1A_T6_T7_T9_mT8_S1C_bDpT10_ENKUlT_T0_E_clISt17integral_constantIbLb1EES1O_IbLb0EEEEDaS1K_S1L_EUlS1K_E_NS1_11comp_targetILNS1_3genE3ELNS1_11target_archE908ELNS1_3gpuE7ELNS1_3repE0EEENS1_30default_config_static_selectorELNS0_4arch9wavefront6targetE0EEEvSY_: ; @_ZN7rocprim17ROCPRIM_400000_NS6detail17trampoline_kernelINS0_13select_configILj256ELj13ELNS0_17block_load_methodE3ELS4_3ELS4_3ELNS0_20block_scan_algorithmE0ELj4294967295EEENS1_25partition_config_selectorILNS1_17partition_subalgoE3EjNS0_10empty_typeEbEEZZNS1_14partition_implILS8_3ELb0ES6_jNS0_17counting_iteratorIjlEEPS9_SE_NS0_5tupleIJPjSE_EEENSF_IJSE_SE_EEES9_SG_JZNS1_25segmented_radix_sort_implINS0_14default_configELb0EPKaPaPKlPlN2at6native12_GLOBAL__N_18offset_tEEE10hipError_tPvRmT1_PNSt15iterator_traitsISY_E10value_typeET2_T3_PNSZ_IS14_E10value_typeET4_jRbjT5_S1A_jjP12ihipStream_tbEUljE_EEESV_SW_SX_S14_S18_S1A_T6_T7_T9_mT8_S1C_bDpT10_ENKUlT_T0_E_clISt17integral_constantIbLb1EES1O_IbLb0EEEEDaS1K_S1L_EUlS1K_E_NS1_11comp_targetILNS1_3genE3ELNS1_11target_archE908ELNS1_3gpuE7ELNS1_3repE0EEENS1_30default_config_static_selectorELNS0_4arch9wavefront6targetE0EEEvSY_
; %bb.0:
	.section	.rodata,"a",@progbits
	.p2align	6, 0x0
	.amdhsa_kernel _ZN7rocprim17ROCPRIM_400000_NS6detail17trampoline_kernelINS0_13select_configILj256ELj13ELNS0_17block_load_methodE3ELS4_3ELS4_3ELNS0_20block_scan_algorithmE0ELj4294967295EEENS1_25partition_config_selectorILNS1_17partition_subalgoE3EjNS0_10empty_typeEbEEZZNS1_14partition_implILS8_3ELb0ES6_jNS0_17counting_iteratorIjlEEPS9_SE_NS0_5tupleIJPjSE_EEENSF_IJSE_SE_EEES9_SG_JZNS1_25segmented_radix_sort_implINS0_14default_configELb0EPKaPaPKlPlN2at6native12_GLOBAL__N_18offset_tEEE10hipError_tPvRmT1_PNSt15iterator_traitsISY_E10value_typeET2_T3_PNSZ_IS14_E10value_typeET4_jRbjT5_S1A_jjP12ihipStream_tbEUljE_EEESV_SW_SX_S14_S18_S1A_T6_T7_T9_mT8_S1C_bDpT10_ENKUlT_T0_E_clISt17integral_constantIbLb1EES1O_IbLb0EEEEDaS1K_S1L_EUlS1K_E_NS1_11comp_targetILNS1_3genE3ELNS1_11target_archE908ELNS1_3gpuE7ELNS1_3repE0EEENS1_30default_config_static_selectorELNS0_4arch9wavefront6targetE0EEEvSY_
		.amdhsa_group_segment_fixed_size 0
		.amdhsa_private_segment_fixed_size 0
		.amdhsa_kernarg_size 144
		.amdhsa_user_sgpr_count 15
		.amdhsa_user_sgpr_dispatch_ptr 0
		.amdhsa_user_sgpr_queue_ptr 0
		.amdhsa_user_sgpr_kernarg_segment_ptr 1
		.amdhsa_user_sgpr_dispatch_id 0
		.amdhsa_user_sgpr_private_segment_size 0
		.amdhsa_wavefront_size32 1
		.amdhsa_uses_dynamic_stack 0
		.amdhsa_enable_private_segment 0
		.amdhsa_system_sgpr_workgroup_id_x 1
		.amdhsa_system_sgpr_workgroup_id_y 0
		.amdhsa_system_sgpr_workgroup_id_z 0
		.amdhsa_system_sgpr_workgroup_info 0
		.amdhsa_system_vgpr_workitem_id 0
		.amdhsa_next_free_vgpr 1
		.amdhsa_next_free_sgpr 1
		.amdhsa_reserve_vcc 0
		.amdhsa_float_round_mode_32 0
		.amdhsa_float_round_mode_16_64 0
		.amdhsa_float_denorm_mode_32 3
		.amdhsa_float_denorm_mode_16_64 3
		.amdhsa_dx10_clamp 1
		.amdhsa_ieee_mode 1
		.amdhsa_fp16_overflow 0
		.amdhsa_workgroup_processor_mode 1
		.amdhsa_memory_ordered 1
		.amdhsa_forward_progress 0
		.amdhsa_shared_vgpr_count 0
		.amdhsa_exception_fp_ieee_invalid_op 0
		.amdhsa_exception_fp_denorm_src 0
		.amdhsa_exception_fp_ieee_div_zero 0
		.amdhsa_exception_fp_ieee_overflow 0
		.amdhsa_exception_fp_ieee_underflow 0
		.amdhsa_exception_fp_ieee_inexact 0
		.amdhsa_exception_int_div_zero 0
	.end_amdhsa_kernel
	.section	.text._ZN7rocprim17ROCPRIM_400000_NS6detail17trampoline_kernelINS0_13select_configILj256ELj13ELNS0_17block_load_methodE3ELS4_3ELS4_3ELNS0_20block_scan_algorithmE0ELj4294967295EEENS1_25partition_config_selectorILNS1_17partition_subalgoE3EjNS0_10empty_typeEbEEZZNS1_14partition_implILS8_3ELb0ES6_jNS0_17counting_iteratorIjlEEPS9_SE_NS0_5tupleIJPjSE_EEENSF_IJSE_SE_EEES9_SG_JZNS1_25segmented_radix_sort_implINS0_14default_configELb0EPKaPaPKlPlN2at6native12_GLOBAL__N_18offset_tEEE10hipError_tPvRmT1_PNSt15iterator_traitsISY_E10value_typeET2_T3_PNSZ_IS14_E10value_typeET4_jRbjT5_S1A_jjP12ihipStream_tbEUljE_EEESV_SW_SX_S14_S18_S1A_T6_T7_T9_mT8_S1C_bDpT10_ENKUlT_T0_E_clISt17integral_constantIbLb1EES1O_IbLb0EEEEDaS1K_S1L_EUlS1K_E_NS1_11comp_targetILNS1_3genE3ELNS1_11target_archE908ELNS1_3gpuE7ELNS1_3repE0EEENS1_30default_config_static_selectorELNS0_4arch9wavefront6targetE0EEEvSY_,"axG",@progbits,_ZN7rocprim17ROCPRIM_400000_NS6detail17trampoline_kernelINS0_13select_configILj256ELj13ELNS0_17block_load_methodE3ELS4_3ELS4_3ELNS0_20block_scan_algorithmE0ELj4294967295EEENS1_25partition_config_selectorILNS1_17partition_subalgoE3EjNS0_10empty_typeEbEEZZNS1_14partition_implILS8_3ELb0ES6_jNS0_17counting_iteratorIjlEEPS9_SE_NS0_5tupleIJPjSE_EEENSF_IJSE_SE_EEES9_SG_JZNS1_25segmented_radix_sort_implINS0_14default_configELb0EPKaPaPKlPlN2at6native12_GLOBAL__N_18offset_tEEE10hipError_tPvRmT1_PNSt15iterator_traitsISY_E10value_typeET2_T3_PNSZ_IS14_E10value_typeET4_jRbjT5_S1A_jjP12ihipStream_tbEUljE_EEESV_SW_SX_S14_S18_S1A_T6_T7_T9_mT8_S1C_bDpT10_ENKUlT_T0_E_clISt17integral_constantIbLb1EES1O_IbLb0EEEEDaS1K_S1L_EUlS1K_E_NS1_11comp_targetILNS1_3genE3ELNS1_11target_archE908ELNS1_3gpuE7ELNS1_3repE0EEENS1_30default_config_static_selectorELNS0_4arch9wavefront6targetE0EEEvSY_,comdat
.Lfunc_end380:
	.size	_ZN7rocprim17ROCPRIM_400000_NS6detail17trampoline_kernelINS0_13select_configILj256ELj13ELNS0_17block_load_methodE3ELS4_3ELS4_3ELNS0_20block_scan_algorithmE0ELj4294967295EEENS1_25partition_config_selectorILNS1_17partition_subalgoE3EjNS0_10empty_typeEbEEZZNS1_14partition_implILS8_3ELb0ES6_jNS0_17counting_iteratorIjlEEPS9_SE_NS0_5tupleIJPjSE_EEENSF_IJSE_SE_EEES9_SG_JZNS1_25segmented_radix_sort_implINS0_14default_configELb0EPKaPaPKlPlN2at6native12_GLOBAL__N_18offset_tEEE10hipError_tPvRmT1_PNSt15iterator_traitsISY_E10value_typeET2_T3_PNSZ_IS14_E10value_typeET4_jRbjT5_S1A_jjP12ihipStream_tbEUljE_EEESV_SW_SX_S14_S18_S1A_T6_T7_T9_mT8_S1C_bDpT10_ENKUlT_T0_E_clISt17integral_constantIbLb1EES1O_IbLb0EEEEDaS1K_S1L_EUlS1K_E_NS1_11comp_targetILNS1_3genE3ELNS1_11target_archE908ELNS1_3gpuE7ELNS1_3repE0EEENS1_30default_config_static_selectorELNS0_4arch9wavefront6targetE0EEEvSY_, .Lfunc_end380-_ZN7rocprim17ROCPRIM_400000_NS6detail17trampoline_kernelINS0_13select_configILj256ELj13ELNS0_17block_load_methodE3ELS4_3ELS4_3ELNS0_20block_scan_algorithmE0ELj4294967295EEENS1_25partition_config_selectorILNS1_17partition_subalgoE3EjNS0_10empty_typeEbEEZZNS1_14partition_implILS8_3ELb0ES6_jNS0_17counting_iteratorIjlEEPS9_SE_NS0_5tupleIJPjSE_EEENSF_IJSE_SE_EEES9_SG_JZNS1_25segmented_radix_sort_implINS0_14default_configELb0EPKaPaPKlPlN2at6native12_GLOBAL__N_18offset_tEEE10hipError_tPvRmT1_PNSt15iterator_traitsISY_E10value_typeET2_T3_PNSZ_IS14_E10value_typeET4_jRbjT5_S1A_jjP12ihipStream_tbEUljE_EEESV_SW_SX_S14_S18_S1A_T6_T7_T9_mT8_S1C_bDpT10_ENKUlT_T0_E_clISt17integral_constantIbLb1EES1O_IbLb0EEEEDaS1K_S1L_EUlS1K_E_NS1_11comp_targetILNS1_3genE3ELNS1_11target_archE908ELNS1_3gpuE7ELNS1_3repE0EEENS1_30default_config_static_selectorELNS0_4arch9wavefront6targetE0EEEvSY_
                                        ; -- End function
	.section	.AMDGPU.csdata,"",@progbits
; Kernel info:
; codeLenInByte = 0
; NumSgprs: 0
; NumVgprs: 0
; ScratchSize: 0
; MemoryBound: 0
; FloatMode: 240
; IeeeMode: 1
; LDSByteSize: 0 bytes/workgroup (compile time only)
; SGPRBlocks: 0
; VGPRBlocks: 0
; NumSGPRsForWavesPerEU: 1
; NumVGPRsForWavesPerEU: 1
; Occupancy: 16
; WaveLimiterHint : 0
; COMPUTE_PGM_RSRC2:SCRATCH_EN: 0
; COMPUTE_PGM_RSRC2:USER_SGPR: 15
; COMPUTE_PGM_RSRC2:TRAP_HANDLER: 0
; COMPUTE_PGM_RSRC2:TGID_X_EN: 1
; COMPUTE_PGM_RSRC2:TGID_Y_EN: 0
; COMPUTE_PGM_RSRC2:TGID_Z_EN: 0
; COMPUTE_PGM_RSRC2:TIDIG_COMP_CNT: 0
	.section	.text._ZN7rocprim17ROCPRIM_400000_NS6detail17trampoline_kernelINS0_13select_configILj256ELj13ELNS0_17block_load_methodE3ELS4_3ELS4_3ELNS0_20block_scan_algorithmE0ELj4294967295EEENS1_25partition_config_selectorILNS1_17partition_subalgoE3EjNS0_10empty_typeEbEEZZNS1_14partition_implILS8_3ELb0ES6_jNS0_17counting_iteratorIjlEEPS9_SE_NS0_5tupleIJPjSE_EEENSF_IJSE_SE_EEES9_SG_JZNS1_25segmented_radix_sort_implINS0_14default_configELb0EPKaPaPKlPlN2at6native12_GLOBAL__N_18offset_tEEE10hipError_tPvRmT1_PNSt15iterator_traitsISY_E10value_typeET2_T3_PNSZ_IS14_E10value_typeET4_jRbjT5_S1A_jjP12ihipStream_tbEUljE_EEESV_SW_SX_S14_S18_S1A_T6_T7_T9_mT8_S1C_bDpT10_ENKUlT_T0_E_clISt17integral_constantIbLb1EES1O_IbLb0EEEEDaS1K_S1L_EUlS1K_E_NS1_11comp_targetILNS1_3genE2ELNS1_11target_archE906ELNS1_3gpuE6ELNS1_3repE0EEENS1_30default_config_static_selectorELNS0_4arch9wavefront6targetE0EEEvSY_,"axG",@progbits,_ZN7rocprim17ROCPRIM_400000_NS6detail17trampoline_kernelINS0_13select_configILj256ELj13ELNS0_17block_load_methodE3ELS4_3ELS4_3ELNS0_20block_scan_algorithmE0ELj4294967295EEENS1_25partition_config_selectorILNS1_17partition_subalgoE3EjNS0_10empty_typeEbEEZZNS1_14partition_implILS8_3ELb0ES6_jNS0_17counting_iteratorIjlEEPS9_SE_NS0_5tupleIJPjSE_EEENSF_IJSE_SE_EEES9_SG_JZNS1_25segmented_radix_sort_implINS0_14default_configELb0EPKaPaPKlPlN2at6native12_GLOBAL__N_18offset_tEEE10hipError_tPvRmT1_PNSt15iterator_traitsISY_E10value_typeET2_T3_PNSZ_IS14_E10value_typeET4_jRbjT5_S1A_jjP12ihipStream_tbEUljE_EEESV_SW_SX_S14_S18_S1A_T6_T7_T9_mT8_S1C_bDpT10_ENKUlT_T0_E_clISt17integral_constantIbLb1EES1O_IbLb0EEEEDaS1K_S1L_EUlS1K_E_NS1_11comp_targetILNS1_3genE2ELNS1_11target_archE906ELNS1_3gpuE6ELNS1_3repE0EEENS1_30default_config_static_selectorELNS0_4arch9wavefront6targetE0EEEvSY_,comdat
	.globl	_ZN7rocprim17ROCPRIM_400000_NS6detail17trampoline_kernelINS0_13select_configILj256ELj13ELNS0_17block_load_methodE3ELS4_3ELS4_3ELNS0_20block_scan_algorithmE0ELj4294967295EEENS1_25partition_config_selectorILNS1_17partition_subalgoE3EjNS0_10empty_typeEbEEZZNS1_14partition_implILS8_3ELb0ES6_jNS0_17counting_iteratorIjlEEPS9_SE_NS0_5tupleIJPjSE_EEENSF_IJSE_SE_EEES9_SG_JZNS1_25segmented_radix_sort_implINS0_14default_configELb0EPKaPaPKlPlN2at6native12_GLOBAL__N_18offset_tEEE10hipError_tPvRmT1_PNSt15iterator_traitsISY_E10value_typeET2_T3_PNSZ_IS14_E10value_typeET4_jRbjT5_S1A_jjP12ihipStream_tbEUljE_EEESV_SW_SX_S14_S18_S1A_T6_T7_T9_mT8_S1C_bDpT10_ENKUlT_T0_E_clISt17integral_constantIbLb1EES1O_IbLb0EEEEDaS1K_S1L_EUlS1K_E_NS1_11comp_targetILNS1_3genE2ELNS1_11target_archE906ELNS1_3gpuE6ELNS1_3repE0EEENS1_30default_config_static_selectorELNS0_4arch9wavefront6targetE0EEEvSY_ ; -- Begin function _ZN7rocprim17ROCPRIM_400000_NS6detail17trampoline_kernelINS0_13select_configILj256ELj13ELNS0_17block_load_methodE3ELS4_3ELS4_3ELNS0_20block_scan_algorithmE0ELj4294967295EEENS1_25partition_config_selectorILNS1_17partition_subalgoE3EjNS0_10empty_typeEbEEZZNS1_14partition_implILS8_3ELb0ES6_jNS0_17counting_iteratorIjlEEPS9_SE_NS0_5tupleIJPjSE_EEENSF_IJSE_SE_EEES9_SG_JZNS1_25segmented_radix_sort_implINS0_14default_configELb0EPKaPaPKlPlN2at6native12_GLOBAL__N_18offset_tEEE10hipError_tPvRmT1_PNSt15iterator_traitsISY_E10value_typeET2_T3_PNSZ_IS14_E10value_typeET4_jRbjT5_S1A_jjP12ihipStream_tbEUljE_EEESV_SW_SX_S14_S18_S1A_T6_T7_T9_mT8_S1C_bDpT10_ENKUlT_T0_E_clISt17integral_constantIbLb1EES1O_IbLb0EEEEDaS1K_S1L_EUlS1K_E_NS1_11comp_targetILNS1_3genE2ELNS1_11target_archE906ELNS1_3gpuE6ELNS1_3repE0EEENS1_30default_config_static_selectorELNS0_4arch9wavefront6targetE0EEEvSY_
	.p2align	8
	.type	_ZN7rocprim17ROCPRIM_400000_NS6detail17trampoline_kernelINS0_13select_configILj256ELj13ELNS0_17block_load_methodE3ELS4_3ELS4_3ELNS0_20block_scan_algorithmE0ELj4294967295EEENS1_25partition_config_selectorILNS1_17partition_subalgoE3EjNS0_10empty_typeEbEEZZNS1_14partition_implILS8_3ELb0ES6_jNS0_17counting_iteratorIjlEEPS9_SE_NS0_5tupleIJPjSE_EEENSF_IJSE_SE_EEES9_SG_JZNS1_25segmented_radix_sort_implINS0_14default_configELb0EPKaPaPKlPlN2at6native12_GLOBAL__N_18offset_tEEE10hipError_tPvRmT1_PNSt15iterator_traitsISY_E10value_typeET2_T3_PNSZ_IS14_E10value_typeET4_jRbjT5_S1A_jjP12ihipStream_tbEUljE_EEESV_SW_SX_S14_S18_S1A_T6_T7_T9_mT8_S1C_bDpT10_ENKUlT_T0_E_clISt17integral_constantIbLb1EES1O_IbLb0EEEEDaS1K_S1L_EUlS1K_E_NS1_11comp_targetILNS1_3genE2ELNS1_11target_archE906ELNS1_3gpuE6ELNS1_3repE0EEENS1_30default_config_static_selectorELNS0_4arch9wavefront6targetE0EEEvSY_,@function
_ZN7rocprim17ROCPRIM_400000_NS6detail17trampoline_kernelINS0_13select_configILj256ELj13ELNS0_17block_load_methodE3ELS4_3ELS4_3ELNS0_20block_scan_algorithmE0ELj4294967295EEENS1_25partition_config_selectorILNS1_17partition_subalgoE3EjNS0_10empty_typeEbEEZZNS1_14partition_implILS8_3ELb0ES6_jNS0_17counting_iteratorIjlEEPS9_SE_NS0_5tupleIJPjSE_EEENSF_IJSE_SE_EEES9_SG_JZNS1_25segmented_radix_sort_implINS0_14default_configELb0EPKaPaPKlPlN2at6native12_GLOBAL__N_18offset_tEEE10hipError_tPvRmT1_PNSt15iterator_traitsISY_E10value_typeET2_T3_PNSZ_IS14_E10value_typeET4_jRbjT5_S1A_jjP12ihipStream_tbEUljE_EEESV_SW_SX_S14_S18_S1A_T6_T7_T9_mT8_S1C_bDpT10_ENKUlT_T0_E_clISt17integral_constantIbLb1EES1O_IbLb0EEEEDaS1K_S1L_EUlS1K_E_NS1_11comp_targetILNS1_3genE2ELNS1_11target_archE906ELNS1_3gpuE6ELNS1_3repE0EEENS1_30default_config_static_selectorELNS0_4arch9wavefront6targetE0EEEvSY_: ; @_ZN7rocprim17ROCPRIM_400000_NS6detail17trampoline_kernelINS0_13select_configILj256ELj13ELNS0_17block_load_methodE3ELS4_3ELS4_3ELNS0_20block_scan_algorithmE0ELj4294967295EEENS1_25partition_config_selectorILNS1_17partition_subalgoE3EjNS0_10empty_typeEbEEZZNS1_14partition_implILS8_3ELb0ES6_jNS0_17counting_iteratorIjlEEPS9_SE_NS0_5tupleIJPjSE_EEENSF_IJSE_SE_EEES9_SG_JZNS1_25segmented_radix_sort_implINS0_14default_configELb0EPKaPaPKlPlN2at6native12_GLOBAL__N_18offset_tEEE10hipError_tPvRmT1_PNSt15iterator_traitsISY_E10value_typeET2_T3_PNSZ_IS14_E10value_typeET4_jRbjT5_S1A_jjP12ihipStream_tbEUljE_EEESV_SW_SX_S14_S18_S1A_T6_T7_T9_mT8_S1C_bDpT10_ENKUlT_T0_E_clISt17integral_constantIbLb1EES1O_IbLb0EEEEDaS1K_S1L_EUlS1K_E_NS1_11comp_targetILNS1_3genE2ELNS1_11target_archE906ELNS1_3gpuE6ELNS1_3repE0EEENS1_30default_config_static_selectorELNS0_4arch9wavefront6targetE0EEEvSY_
; %bb.0:
	.section	.rodata,"a",@progbits
	.p2align	6, 0x0
	.amdhsa_kernel _ZN7rocprim17ROCPRIM_400000_NS6detail17trampoline_kernelINS0_13select_configILj256ELj13ELNS0_17block_load_methodE3ELS4_3ELS4_3ELNS0_20block_scan_algorithmE0ELj4294967295EEENS1_25partition_config_selectorILNS1_17partition_subalgoE3EjNS0_10empty_typeEbEEZZNS1_14partition_implILS8_3ELb0ES6_jNS0_17counting_iteratorIjlEEPS9_SE_NS0_5tupleIJPjSE_EEENSF_IJSE_SE_EEES9_SG_JZNS1_25segmented_radix_sort_implINS0_14default_configELb0EPKaPaPKlPlN2at6native12_GLOBAL__N_18offset_tEEE10hipError_tPvRmT1_PNSt15iterator_traitsISY_E10value_typeET2_T3_PNSZ_IS14_E10value_typeET4_jRbjT5_S1A_jjP12ihipStream_tbEUljE_EEESV_SW_SX_S14_S18_S1A_T6_T7_T9_mT8_S1C_bDpT10_ENKUlT_T0_E_clISt17integral_constantIbLb1EES1O_IbLb0EEEEDaS1K_S1L_EUlS1K_E_NS1_11comp_targetILNS1_3genE2ELNS1_11target_archE906ELNS1_3gpuE6ELNS1_3repE0EEENS1_30default_config_static_selectorELNS0_4arch9wavefront6targetE0EEEvSY_
		.amdhsa_group_segment_fixed_size 0
		.amdhsa_private_segment_fixed_size 0
		.amdhsa_kernarg_size 144
		.amdhsa_user_sgpr_count 15
		.amdhsa_user_sgpr_dispatch_ptr 0
		.amdhsa_user_sgpr_queue_ptr 0
		.amdhsa_user_sgpr_kernarg_segment_ptr 1
		.amdhsa_user_sgpr_dispatch_id 0
		.amdhsa_user_sgpr_private_segment_size 0
		.amdhsa_wavefront_size32 1
		.amdhsa_uses_dynamic_stack 0
		.amdhsa_enable_private_segment 0
		.amdhsa_system_sgpr_workgroup_id_x 1
		.amdhsa_system_sgpr_workgroup_id_y 0
		.amdhsa_system_sgpr_workgroup_id_z 0
		.amdhsa_system_sgpr_workgroup_info 0
		.amdhsa_system_vgpr_workitem_id 0
		.amdhsa_next_free_vgpr 1
		.amdhsa_next_free_sgpr 1
		.amdhsa_reserve_vcc 0
		.amdhsa_float_round_mode_32 0
		.amdhsa_float_round_mode_16_64 0
		.amdhsa_float_denorm_mode_32 3
		.amdhsa_float_denorm_mode_16_64 3
		.amdhsa_dx10_clamp 1
		.amdhsa_ieee_mode 1
		.amdhsa_fp16_overflow 0
		.amdhsa_workgroup_processor_mode 1
		.amdhsa_memory_ordered 1
		.amdhsa_forward_progress 0
		.amdhsa_shared_vgpr_count 0
		.amdhsa_exception_fp_ieee_invalid_op 0
		.amdhsa_exception_fp_denorm_src 0
		.amdhsa_exception_fp_ieee_div_zero 0
		.amdhsa_exception_fp_ieee_overflow 0
		.amdhsa_exception_fp_ieee_underflow 0
		.amdhsa_exception_fp_ieee_inexact 0
		.amdhsa_exception_int_div_zero 0
	.end_amdhsa_kernel
	.section	.text._ZN7rocprim17ROCPRIM_400000_NS6detail17trampoline_kernelINS0_13select_configILj256ELj13ELNS0_17block_load_methodE3ELS4_3ELS4_3ELNS0_20block_scan_algorithmE0ELj4294967295EEENS1_25partition_config_selectorILNS1_17partition_subalgoE3EjNS0_10empty_typeEbEEZZNS1_14partition_implILS8_3ELb0ES6_jNS0_17counting_iteratorIjlEEPS9_SE_NS0_5tupleIJPjSE_EEENSF_IJSE_SE_EEES9_SG_JZNS1_25segmented_radix_sort_implINS0_14default_configELb0EPKaPaPKlPlN2at6native12_GLOBAL__N_18offset_tEEE10hipError_tPvRmT1_PNSt15iterator_traitsISY_E10value_typeET2_T3_PNSZ_IS14_E10value_typeET4_jRbjT5_S1A_jjP12ihipStream_tbEUljE_EEESV_SW_SX_S14_S18_S1A_T6_T7_T9_mT8_S1C_bDpT10_ENKUlT_T0_E_clISt17integral_constantIbLb1EES1O_IbLb0EEEEDaS1K_S1L_EUlS1K_E_NS1_11comp_targetILNS1_3genE2ELNS1_11target_archE906ELNS1_3gpuE6ELNS1_3repE0EEENS1_30default_config_static_selectorELNS0_4arch9wavefront6targetE0EEEvSY_,"axG",@progbits,_ZN7rocprim17ROCPRIM_400000_NS6detail17trampoline_kernelINS0_13select_configILj256ELj13ELNS0_17block_load_methodE3ELS4_3ELS4_3ELNS0_20block_scan_algorithmE0ELj4294967295EEENS1_25partition_config_selectorILNS1_17partition_subalgoE3EjNS0_10empty_typeEbEEZZNS1_14partition_implILS8_3ELb0ES6_jNS0_17counting_iteratorIjlEEPS9_SE_NS0_5tupleIJPjSE_EEENSF_IJSE_SE_EEES9_SG_JZNS1_25segmented_radix_sort_implINS0_14default_configELb0EPKaPaPKlPlN2at6native12_GLOBAL__N_18offset_tEEE10hipError_tPvRmT1_PNSt15iterator_traitsISY_E10value_typeET2_T3_PNSZ_IS14_E10value_typeET4_jRbjT5_S1A_jjP12ihipStream_tbEUljE_EEESV_SW_SX_S14_S18_S1A_T6_T7_T9_mT8_S1C_bDpT10_ENKUlT_T0_E_clISt17integral_constantIbLb1EES1O_IbLb0EEEEDaS1K_S1L_EUlS1K_E_NS1_11comp_targetILNS1_3genE2ELNS1_11target_archE906ELNS1_3gpuE6ELNS1_3repE0EEENS1_30default_config_static_selectorELNS0_4arch9wavefront6targetE0EEEvSY_,comdat
.Lfunc_end381:
	.size	_ZN7rocprim17ROCPRIM_400000_NS6detail17trampoline_kernelINS0_13select_configILj256ELj13ELNS0_17block_load_methodE3ELS4_3ELS4_3ELNS0_20block_scan_algorithmE0ELj4294967295EEENS1_25partition_config_selectorILNS1_17partition_subalgoE3EjNS0_10empty_typeEbEEZZNS1_14partition_implILS8_3ELb0ES6_jNS0_17counting_iteratorIjlEEPS9_SE_NS0_5tupleIJPjSE_EEENSF_IJSE_SE_EEES9_SG_JZNS1_25segmented_radix_sort_implINS0_14default_configELb0EPKaPaPKlPlN2at6native12_GLOBAL__N_18offset_tEEE10hipError_tPvRmT1_PNSt15iterator_traitsISY_E10value_typeET2_T3_PNSZ_IS14_E10value_typeET4_jRbjT5_S1A_jjP12ihipStream_tbEUljE_EEESV_SW_SX_S14_S18_S1A_T6_T7_T9_mT8_S1C_bDpT10_ENKUlT_T0_E_clISt17integral_constantIbLb1EES1O_IbLb0EEEEDaS1K_S1L_EUlS1K_E_NS1_11comp_targetILNS1_3genE2ELNS1_11target_archE906ELNS1_3gpuE6ELNS1_3repE0EEENS1_30default_config_static_selectorELNS0_4arch9wavefront6targetE0EEEvSY_, .Lfunc_end381-_ZN7rocprim17ROCPRIM_400000_NS6detail17trampoline_kernelINS0_13select_configILj256ELj13ELNS0_17block_load_methodE3ELS4_3ELS4_3ELNS0_20block_scan_algorithmE0ELj4294967295EEENS1_25partition_config_selectorILNS1_17partition_subalgoE3EjNS0_10empty_typeEbEEZZNS1_14partition_implILS8_3ELb0ES6_jNS0_17counting_iteratorIjlEEPS9_SE_NS0_5tupleIJPjSE_EEENSF_IJSE_SE_EEES9_SG_JZNS1_25segmented_radix_sort_implINS0_14default_configELb0EPKaPaPKlPlN2at6native12_GLOBAL__N_18offset_tEEE10hipError_tPvRmT1_PNSt15iterator_traitsISY_E10value_typeET2_T3_PNSZ_IS14_E10value_typeET4_jRbjT5_S1A_jjP12ihipStream_tbEUljE_EEESV_SW_SX_S14_S18_S1A_T6_T7_T9_mT8_S1C_bDpT10_ENKUlT_T0_E_clISt17integral_constantIbLb1EES1O_IbLb0EEEEDaS1K_S1L_EUlS1K_E_NS1_11comp_targetILNS1_3genE2ELNS1_11target_archE906ELNS1_3gpuE6ELNS1_3repE0EEENS1_30default_config_static_selectorELNS0_4arch9wavefront6targetE0EEEvSY_
                                        ; -- End function
	.section	.AMDGPU.csdata,"",@progbits
; Kernel info:
; codeLenInByte = 0
; NumSgprs: 0
; NumVgprs: 0
; ScratchSize: 0
; MemoryBound: 0
; FloatMode: 240
; IeeeMode: 1
; LDSByteSize: 0 bytes/workgroup (compile time only)
; SGPRBlocks: 0
; VGPRBlocks: 0
; NumSGPRsForWavesPerEU: 1
; NumVGPRsForWavesPerEU: 1
; Occupancy: 16
; WaveLimiterHint : 0
; COMPUTE_PGM_RSRC2:SCRATCH_EN: 0
; COMPUTE_PGM_RSRC2:USER_SGPR: 15
; COMPUTE_PGM_RSRC2:TRAP_HANDLER: 0
; COMPUTE_PGM_RSRC2:TGID_X_EN: 1
; COMPUTE_PGM_RSRC2:TGID_Y_EN: 0
; COMPUTE_PGM_RSRC2:TGID_Z_EN: 0
; COMPUTE_PGM_RSRC2:TIDIG_COMP_CNT: 0
	.section	.text._ZN7rocprim17ROCPRIM_400000_NS6detail17trampoline_kernelINS0_13select_configILj256ELj13ELNS0_17block_load_methodE3ELS4_3ELS4_3ELNS0_20block_scan_algorithmE0ELj4294967295EEENS1_25partition_config_selectorILNS1_17partition_subalgoE3EjNS0_10empty_typeEbEEZZNS1_14partition_implILS8_3ELb0ES6_jNS0_17counting_iteratorIjlEEPS9_SE_NS0_5tupleIJPjSE_EEENSF_IJSE_SE_EEES9_SG_JZNS1_25segmented_radix_sort_implINS0_14default_configELb0EPKaPaPKlPlN2at6native12_GLOBAL__N_18offset_tEEE10hipError_tPvRmT1_PNSt15iterator_traitsISY_E10value_typeET2_T3_PNSZ_IS14_E10value_typeET4_jRbjT5_S1A_jjP12ihipStream_tbEUljE_EEESV_SW_SX_S14_S18_S1A_T6_T7_T9_mT8_S1C_bDpT10_ENKUlT_T0_E_clISt17integral_constantIbLb1EES1O_IbLb0EEEEDaS1K_S1L_EUlS1K_E_NS1_11comp_targetILNS1_3genE10ELNS1_11target_archE1200ELNS1_3gpuE4ELNS1_3repE0EEENS1_30default_config_static_selectorELNS0_4arch9wavefront6targetE0EEEvSY_,"axG",@progbits,_ZN7rocprim17ROCPRIM_400000_NS6detail17trampoline_kernelINS0_13select_configILj256ELj13ELNS0_17block_load_methodE3ELS4_3ELS4_3ELNS0_20block_scan_algorithmE0ELj4294967295EEENS1_25partition_config_selectorILNS1_17partition_subalgoE3EjNS0_10empty_typeEbEEZZNS1_14partition_implILS8_3ELb0ES6_jNS0_17counting_iteratorIjlEEPS9_SE_NS0_5tupleIJPjSE_EEENSF_IJSE_SE_EEES9_SG_JZNS1_25segmented_radix_sort_implINS0_14default_configELb0EPKaPaPKlPlN2at6native12_GLOBAL__N_18offset_tEEE10hipError_tPvRmT1_PNSt15iterator_traitsISY_E10value_typeET2_T3_PNSZ_IS14_E10value_typeET4_jRbjT5_S1A_jjP12ihipStream_tbEUljE_EEESV_SW_SX_S14_S18_S1A_T6_T7_T9_mT8_S1C_bDpT10_ENKUlT_T0_E_clISt17integral_constantIbLb1EES1O_IbLb0EEEEDaS1K_S1L_EUlS1K_E_NS1_11comp_targetILNS1_3genE10ELNS1_11target_archE1200ELNS1_3gpuE4ELNS1_3repE0EEENS1_30default_config_static_selectorELNS0_4arch9wavefront6targetE0EEEvSY_,comdat
	.globl	_ZN7rocprim17ROCPRIM_400000_NS6detail17trampoline_kernelINS0_13select_configILj256ELj13ELNS0_17block_load_methodE3ELS4_3ELS4_3ELNS0_20block_scan_algorithmE0ELj4294967295EEENS1_25partition_config_selectorILNS1_17partition_subalgoE3EjNS0_10empty_typeEbEEZZNS1_14partition_implILS8_3ELb0ES6_jNS0_17counting_iteratorIjlEEPS9_SE_NS0_5tupleIJPjSE_EEENSF_IJSE_SE_EEES9_SG_JZNS1_25segmented_radix_sort_implINS0_14default_configELb0EPKaPaPKlPlN2at6native12_GLOBAL__N_18offset_tEEE10hipError_tPvRmT1_PNSt15iterator_traitsISY_E10value_typeET2_T3_PNSZ_IS14_E10value_typeET4_jRbjT5_S1A_jjP12ihipStream_tbEUljE_EEESV_SW_SX_S14_S18_S1A_T6_T7_T9_mT8_S1C_bDpT10_ENKUlT_T0_E_clISt17integral_constantIbLb1EES1O_IbLb0EEEEDaS1K_S1L_EUlS1K_E_NS1_11comp_targetILNS1_3genE10ELNS1_11target_archE1200ELNS1_3gpuE4ELNS1_3repE0EEENS1_30default_config_static_selectorELNS0_4arch9wavefront6targetE0EEEvSY_ ; -- Begin function _ZN7rocprim17ROCPRIM_400000_NS6detail17trampoline_kernelINS0_13select_configILj256ELj13ELNS0_17block_load_methodE3ELS4_3ELS4_3ELNS0_20block_scan_algorithmE0ELj4294967295EEENS1_25partition_config_selectorILNS1_17partition_subalgoE3EjNS0_10empty_typeEbEEZZNS1_14partition_implILS8_3ELb0ES6_jNS0_17counting_iteratorIjlEEPS9_SE_NS0_5tupleIJPjSE_EEENSF_IJSE_SE_EEES9_SG_JZNS1_25segmented_radix_sort_implINS0_14default_configELb0EPKaPaPKlPlN2at6native12_GLOBAL__N_18offset_tEEE10hipError_tPvRmT1_PNSt15iterator_traitsISY_E10value_typeET2_T3_PNSZ_IS14_E10value_typeET4_jRbjT5_S1A_jjP12ihipStream_tbEUljE_EEESV_SW_SX_S14_S18_S1A_T6_T7_T9_mT8_S1C_bDpT10_ENKUlT_T0_E_clISt17integral_constantIbLb1EES1O_IbLb0EEEEDaS1K_S1L_EUlS1K_E_NS1_11comp_targetILNS1_3genE10ELNS1_11target_archE1200ELNS1_3gpuE4ELNS1_3repE0EEENS1_30default_config_static_selectorELNS0_4arch9wavefront6targetE0EEEvSY_
	.p2align	8
	.type	_ZN7rocprim17ROCPRIM_400000_NS6detail17trampoline_kernelINS0_13select_configILj256ELj13ELNS0_17block_load_methodE3ELS4_3ELS4_3ELNS0_20block_scan_algorithmE0ELj4294967295EEENS1_25partition_config_selectorILNS1_17partition_subalgoE3EjNS0_10empty_typeEbEEZZNS1_14partition_implILS8_3ELb0ES6_jNS0_17counting_iteratorIjlEEPS9_SE_NS0_5tupleIJPjSE_EEENSF_IJSE_SE_EEES9_SG_JZNS1_25segmented_radix_sort_implINS0_14default_configELb0EPKaPaPKlPlN2at6native12_GLOBAL__N_18offset_tEEE10hipError_tPvRmT1_PNSt15iterator_traitsISY_E10value_typeET2_T3_PNSZ_IS14_E10value_typeET4_jRbjT5_S1A_jjP12ihipStream_tbEUljE_EEESV_SW_SX_S14_S18_S1A_T6_T7_T9_mT8_S1C_bDpT10_ENKUlT_T0_E_clISt17integral_constantIbLb1EES1O_IbLb0EEEEDaS1K_S1L_EUlS1K_E_NS1_11comp_targetILNS1_3genE10ELNS1_11target_archE1200ELNS1_3gpuE4ELNS1_3repE0EEENS1_30default_config_static_selectorELNS0_4arch9wavefront6targetE0EEEvSY_,@function
_ZN7rocprim17ROCPRIM_400000_NS6detail17trampoline_kernelINS0_13select_configILj256ELj13ELNS0_17block_load_methodE3ELS4_3ELS4_3ELNS0_20block_scan_algorithmE0ELj4294967295EEENS1_25partition_config_selectorILNS1_17partition_subalgoE3EjNS0_10empty_typeEbEEZZNS1_14partition_implILS8_3ELb0ES6_jNS0_17counting_iteratorIjlEEPS9_SE_NS0_5tupleIJPjSE_EEENSF_IJSE_SE_EEES9_SG_JZNS1_25segmented_radix_sort_implINS0_14default_configELb0EPKaPaPKlPlN2at6native12_GLOBAL__N_18offset_tEEE10hipError_tPvRmT1_PNSt15iterator_traitsISY_E10value_typeET2_T3_PNSZ_IS14_E10value_typeET4_jRbjT5_S1A_jjP12ihipStream_tbEUljE_EEESV_SW_SX_S14_S18_S1A_T6_T7_T9_mT8_S1C_bDpT10_ENKUlT_T0_E_clISt17integral_constantIbLb1EES1O_IbLb0EEEEDaS1K_S1L_EUlS1K_E_NS1_11comp_targetILNS1_3genE10ELNS1_11target_archE1200ELNS1_3gpuE4ELNS1_3repE0EEENS1_30default_config_static_selectorELNS0_4arch9wavefront6targetE0EEEvSY_: ; @_ZN7rocprim17ROCPRIM_400000_NS6detail17trampoline_kernelINS0_13select_configILj256ELj13ELNS0_17block_load_methodE3ELS4_3ELS4_3ELNS0_20block_scan_algorithmE0ELj4294967295EEENS1_25partition_config_selectorILNS1_17partition_subalgoE3EjNS0_10empty_typeEbEEZZNS1_14partition_implILS8_3ELb0ES6_jNS0_17counting_iteratorIjlEEPS9_SE_NS0_5tupleIJPjSE_EEENSF_IJSE_SE_EEES9_SG_JZNS1_25segmented_radix_sort_implINS0_14default_configELb0EPKaPaPKlPlN2at6native12_GLOBAL__N_18offset_tEEE10hipError_tPvRmT1_PNSt15iterator_traitsISY_E10value_typeET2_T3_PNSZ_IS14_E10value_typeET4_jRbjT5_S1A_jjP12ihipStream_tbEUljE_EEESV_SW_SX_S14_S18_S1A_T6_T7_T9_mT8_S1C_bDpT10_ENKUlT_T0_E_clISt17integral_constantIbLb1EES1O_IbLb0EEEEDaS1K_S1L_EUlS1K_E_NS1_11comp_targetILNS1_3genE10ELNS1_11target_archE1200ELNS1_3gpuE4ELNS1_3repE0EEENS1_30default_config_static_selectorELNS0_4arch9wavefront6targetE0EEEvSY_
; %bb.0:
	.section	.rodata,"a",@progbits
	.p2align	6, 0x0
	.amdhsa_kernel _ZN7rocprim17ROCPRIM_400000_NS6detail17trampoline_kernelINS0_13select_configILj256ELj13ELNS0_17block_load_methodE3ELS4_3ELS4_3ELNS0_20block_scan_algorithmE0ELj4294967295EEENS1_25partition_config_selectorILNS1_17partition_subalgoE3EjNS0_10empty_typeEbEEZZNS1_14partition_implILS8_3ELb0ES6_jNS0_17counting_iteratorIjlEEPS9_SE_NS0_5tupleIJPjSE_EEENSF_IJSE_SE_EEES9_SG_JZNS1_25segmented_radix_sort_implINS0_14default_configELb0EPKaPaPKlPlN2at6native12_GLOBAL__N_18offset_tEEE10hipError_tPvRmT1_PNSt15iterator_traitsISY_E10value_typeET2_T3_PNSZ_IS14_E10value_typeET4_jRbjT5_S1A_jjP12ihipStream_tbEUljE_EEESV_SW_SX_S14_S18_S1A_T6_T7_T9_mT8_S1C_bDpT10_ENKUlT_T0_E_clISt17integral_constantIbLb1EES1O_IbLb0EEEEDaS1K_S1L_EUlS1K_E_NS1_11comp_targetILNS1_3genE10ELNS1_11target_archE1200ELNS1_3gpuE4ELNS1_3repE0EEENS1_30default_config_static_selectorELNS0_4arch9wavefront6targetE0EEEvSY_
		.amdhsa_group_segment_fixed_size 0
		.amdhsa_private_segment_fixed_size 0
		.amdhsa_kernarg_size 144
		.amdhsa_user_sgpr_count 15
		.amdhsa_user_sgpr_dispatch_ptr 0
		.amdhsa_user_sgpr_queue_ptr 0
		.amdhsa_user_sgpr_kernarg_segment_ptr 1
		.amdhsa_user_sgpr_dispatch_id 0
		.amdhsa_user_sgpr_private_segment_size 0
		.amdhsa_wavefront_size32 1
		.amdhsa_uses_dynamic_stack 0
		.amdhsa_enable_private_segment 0
		.amdhsa_system_sgpr_workgroup_id_x 1
		.amdhsa_system_sgpr_workgroup_id_y 0
		.amdhsa_system_sgpr_workgroup_id_z 0
		.amdhsa_system_sgpr_workgroup_info 0
		.amdhsa_system_vgpr_workitem_id 0
		.amdhsa_next_free_vgpr 1
		.amdhsa_next_free_sgpr 1
		.amdhsa_reserve_vcc 0
		.amdhsa_float_round_mode_32 0
		.amdhsa_float_round_mode_16_64 0
		.amdhsa_float_denorm_mode_32 3
		.amdhsa_float_denorm_mode_16_64 3
		.amdhsa_dx10_clamp 1
		.amdhsa_ieee_mode 1
		.amdhsa_fp16_overflow 0
		.amdhsa_workgroup_processor_mode 1
		.amdhsa_memory_ordered 1
		.amdhsa_forward_progress 0
		.amdhsa_shared_vgpr_count 0
		.amdhsa_exception_fp_ieee_invalid_op 0
		.amdhsa_exception_fp_denorm_src 0
		.amdhsa_exception_fp_ieee_div_zero 0
		.amdhsa_exception_fp_ieee_overflow 0
		.amdhsa_exception_fp_ieee_underflow 0
		.amdhsa_exception_fp_ieee_inexact 0
		.amdhsa_exception_int_div_zero 0
	.end_amdhsa_kernel
	.section	.text._ZN7rocprim17ROCPRIM_400000_NS6detail17trampoline_kernelINS0_13select_configILj256ELj13ELNS0_17block_load_methodE3ELS4_3ELS4_3ELNS0_20block_scan_algorithmE0ELj4294967295EEENS1_25partition_config_selectorILNS1_17partition_subalgoE3EjNS0_10empty_typeEbEEZZNS1_14partition_implILS8_3ELb0ES6_jNS0_17counting_iteratorIjlEEPS9_SE_NS0_5tupleIJPjSE_EEENSF_IJSE_SE_EEES9_SG_JZNS1_25segmented_radix_sort_implINS0_14default_configELb0EPKaPaPKlPlN2at6native12_GLOBAL__N_18offset_tEEE10hipError_tPvRmT1_PNSt15iterator_traitsISY_E10value_typeET2_T3_PNSZ_IS14_E10value_typeET4_jRbjT5_S1A_jjP12ihipStream_tbEUljE_EEESV_SW_SX_S14_S18_S1A_T6_T7_T9_mT8_S1C_bDpT10_ENKUlT_T0_E_clISt17integral_constantIbLb1EES1O_IbLb0EEEEDaS1K_S1L_EUlS1K_E_NS1_11comp_targetILNS1_3genE10ELNS1_11target_archE1200ELNS1_3gpuE4ELNS1_3repE0EEENS1_30default_config_static_selectorELNS0_4arch9wavefront6targetE0EEEvSY_,"axG",@progbits,_ZN7rocprim17ROCPRIM_400000_NS6detail17trampoline_kernelINS0_13select_configILj256ELj13ELNS0_17block_load_methodE3ELS4_3ELS4_3ELNS0_20block_scan_algorithmE0ELj4294967295EEENS1_25partition_config_selectorILNS1_17partition_subalgoE3EjNS0_10empty_typeEbEEZZNS1_14partition_implILS8_3ELb0ES6_jNS0_17counting_iteratorIjlEEPS9_SE_NS0_5tupleIJPjSE_EEENSF_IJSE_SE_EEES9_SG_JZNS1_25segmented_radix_sort_implINS0_14default_configELb0EPKaPaPKlPlN2at6native12_GLOBAL__N_18offset_tEEE10hipError_tPvRmT1_PNSt15iterator_traitsISY_E10value_typeET2_T3_PNSZ_IS14_E10value_typeET4_jRbjT5_S1A_jjP12ihipStream_tbEUljE_EEESV_SW_SX_S14_S18_S1A_T6_T7_T9_mT8_S1C_bDpT10_ENKUlT_T0_E_clISt17integral_constantIbLb1EES1O_IbLb0EEEEDaS1K_S1L_EUlS1K_E_NS1_11comp_targetILNS1_3genE10ELNS1_11target_archE1200ELNS1_3gpuE4ELNS1_3repE0EEENS1_30default_config_static_selectorELNS0_4arch9wavefront6targetE0EEEvSY_,comdat
.Lfunc_end382:
	.size	_ZN7rocprim17ROCPRIM_400000_NS6detail17trampoline_kernelINS0_13select_configILj256ELj13ELNS0_17block_load_methodE3ELS4_3ELS4_3ELNS0_20block_scan_algorithmE0ELj4294967295EEENS1_25partition_config_selectorILNS1_17partition_subalgoE3EjNS0_10empty_typeEbEEZZNS1_14partition_implILS8_3ELb0ES6_jNS0_17counting_iteratorIjlEEPS9_SE_NS0_5tupleIJPjSE_EEENSF_IJSE_SE_EEES9_SG_JZNS1_25segmented_radix_sort_implINS0_14default_configELb0EPKaPaPKlPlN2at6native12_GLOBAL__N_18offset_tEEE10hipError_tPvRmT1_PNSt15iterator_traitsISY_E10value_typeET2_T3_PNSZ_IS14_E10value_typeET4_jRbjT5_S1A_jjP12ihipStream_tbEUljE_EEESV_SW_SX_S14_S18_S1A_T6_T7_T9_mT8_S1C_bDpT10_ENKUlT_T0_E_clISt17integral_constantIbLb1EES1O_IbLb0EEEEDaS1K_S1L_EUlS1K_E_NS1_11comp_targetILNS1_3genE10ELNS1_11target_archE1200ELNS1_3gpuE4ELNS1_3repE0EEENS1_30default_config_static_selectorELNS0_4arch9wavefront6targetE0EEEvSY_, .Lfunc_end382-_ZN7rocprim17ROCPRIM_400000_NS6detail17trampoline_kernelINS0_13select_configILj256ELj13ELNS0_17block_load_methodE3ELS4_3ELS4_3ELNS0_20block_scan_algorithmE0ELj4294967295EEENS1_25partition_config_selectorILNS1_17partition_subalgoE3EjNS0_10empty_typeEbEEZZNS1_14partition_implILS8_3ELb0ES6_jNS0_17counting_iteratorIjlEEPS9_SE_NS0_5tupleIJPjSE_EEENSF_IJSE_SE_EEES9_SG_JZNS1_25segmented_radix_sort_implINS0_14default_configELb0EPKaPaPKlPlN2at6native12_GLOBAL__N_18offset_tEEE10hipError_tPvRmT1_PNSt15iterator_traitsISY_E10value_typeET2_T3_PNSZ_IS14_E10value_typeET4_jRbjT5_S1A_jjP12ihipStream_tbEUljE_EEESV_SW_SX_S14_S18_S1A_T6_T7_T9_mT8_S1C_bDpT10_ENKUlT_T0_E_clISt17integral_constantIbLb1EES1O_IbLb0EEEEDaS1K_S1L_EUlS1K_E_NS1_11comp_targetILNS1_3genE10ELNS1_11target_archE1200ELNS1_3gpuE4ELNS1_3repE0EEENS1_30default_config_static_selectorELNS0_4arch9wavefront6targetE0EEEvSY_
                                        ; -- End function
	.section	.AMDGPU.csdata,"",@progbits
; Kernel info:
; codeLenInByte = 0
; NumSgprs: 0
; NumVgprs: 0
; ScratchSize: 0
; MemoryBound: 0
; FloatMode: 240
; IeeeMode: 1
; LDSByteSize: 0 bytes/workgroup (compile time only)
; SGPRBlocks: 0
; VGPRBlocks: 0
; NumSGPRsForWavesPerEU: 1
; NumVGPRsForWavesPerEU: 1
; Occupancy: 16
; WaveLimiterHint : 0
; COMPUTE_PGM_RSRC2:SCRATCH_EN: 0
; COMPUTE_PGM_RSRC2:USER_SGPR: 15
; COMPUTE_PGM_RSRC2:TRAP_HANDLER: 0
; COMPUTE_PGM_RSRC2:TGID_X_EN: 1
; COMPUTE_PGM_RSRC2:TGID_Y_EN: 0
; COMPUTE_PGM_RSRC2:TGID_Z_EN: 0
; COMPUTE_PGM_RSRC2:TIDIG_COMP_CNT: 0
	.section	.text._ZN7rocprim17ROCPRIM_400000_NS6detail17trampoline_kernelINS0_13select_configILj256ELj13ELNS0_17block_load_methodE3ELS4_3ELS4_3ELNS0_20block_scan_algorithmE0ELj4294967295EEENS1_25partition_config_selectorILNS1_17partition_subalgoE3EjNS0_10empty_typeEbEEZZNS1_14partition_implILS8_3ELb0ES6_jNS0_17counting_iteratorIjlEEPS9_SE_NS0_5tupleIJPjSE_EEENSF_IJSE_SE_EEES9_SG_JZNS1_25segmented_radix_sort_implINS0_14default_configELb0EPKaPaPKlPlN2at6native12_GLOBAL__N_18offset_tEEE10hipError_tPvRmT1_PNSt15iterator_traitsISY_E10value_typeET2_T3_PNSZ_IS14_E10value_typeET4_jRbjT5_S1A_jjP12ihipStream_tbEUljE_EEESV_SW_SX_S14_S18_S1A_T6_T7_T9_mT8_S1C_bDpT10_ENKUlT_T0_E_clISt17integral_constantIbLb1EES1O_IbLb0EEEEDaS1K_S1L_EUlS1K_E_NS1_11comp_targetILNS1_3genE9ELNS1_11target_archE1100ELNS1_3gpuE3ELNS1_3repE0EEENS1_30default_config_static_selectorELNS0_4arch9wavefront6targetE0EEEvSY_,"axG",@progbits,_ZN7rocprim17ROCPRIM_400000_NS6detail17trampoline_kernelINS0_13select_configILj256ELj13ELNS0_17block_load_methodE3ELS4_3ELS4_3ELNS0_20block_scan_algorithmE0ELj4294967295EEENS1_25partition_config_selectorILNS1_17partition_subalgoE3EjNS0_10empty_typeEbEEZZNS1_14partition_implILS8_3ELb0ES6_jNS0_17counting_iteratorIjlEEPS9_SE_NS0_5tupleIJPjSE_EEENSF_IJSE_SE_EEES9_SG_JZNS1_25segmented_radix_sort_implINS0_14default_configELb0EPKaPaPKlPlN2at6native12_GLOBAL__N_18offset_tEEE10hipError_tPvRmT1_PNSt15iterator_traitsISY_E10value_typeET2_T3_PNSZ_IS14_E10value_typeET4_jRbjT5_S1A_jjP12ihipStream_tbEUljE_EEESV_SW_SX_S14_S18_S1A_T6_T7_T9_mT8_S1C_bDpT10_ENKUlT_T0_E_clISt17integral_constantIbLb1EES1O_IbLb0EEEEDaS1K_S1L_EUlS1K_E_NS1_11comp_targetILNS1_3genE9ELNS1_11target_archE1100ELNS1_3gpuE3ELNS1_3repE0EEENS1_30default_config_static_selectorELNS0_4arch9wavefront6targetE0EEEvSY_,comdat
	.globl	_ZN7rocprim17ROCPRIM_400000_NS6detail17trampoline_kernelINS0_13select_configILj256ELj13ELNS0_17block_load_methodE3ELS4_3ELS4_3ELNS0_20block_scan_algorithmE0ELj4294967295EEENS1_25partition_config_selectorILNS1_17partition_subalgoE3EjNS0_10empty_typeEbEEZZNS1_14partition_implILS8_3ELb0ES6_jNS0_17counting_iteratorIjlEEPS9_SE_NS0_5tupleIJPjSE_EEENSF_IJSE_SE_EEES9_SG_JZNS1_25segmented_radix_sort_implINS0_14default_configELb0EPKaPaPKlPlN2at6native12_GLOBAL__N_18offset_tEEE10hipError_tPvRmT1_PNSt15iterator_traitsISY_E10value_typeET2_T3_PNSZ_IS14_E10value_typeET4_jRbjT5_S1A_jjP12ihipStream_tbEUljE_EEESV_SW_SX_S14_S18_S1A_T6_T7_T9_mT8_S1C_bDpT10_ENKUlT_T0_E_clISt17integral_constantIbLb1EES1O_IbLb0EEEEDaS1K_S1L_EUlS1K_E_NS1_11comp_targetILNS1_3genE9ELNS1_11target_archE1100ELNS1_3gpuE3ELNS1_3repE0EEENS1_30default_config_static_selectorELNS0_4arch9wavefront6targetE0EEEvSY_ ; -- Begin function _ZN7rocprim17ROCPRIM_400000_NS6detail17trampoline_kernelINS0_13select_configILj256ELj13ELNS0_17block_load_methodE3ELS4_3ELS4_3ELNS0_20block_scan_algorithmE0ELj4294967295EEENS1_25partition_config_selectorILNS1_17partition_subalgoE3EjNS0_10empty_typeEbEEZZNS1_14partition_implILS8_3ELb0ES6_jNS0_17counting_iteratorIjlEEPS9_SE_NS0_5tupleIJPjSE_EEENSF_IJSE_SE_EEES9_SG_JZNS1_25segmented_radix_sort_implINS0_14default_configELb0EPKaPaPKlPlN2at6native12_GLOBAL__N_18offset_tEEE10hipError_tPvRmT1_PNSt15iterator_traitsISY_E10value_typeET2_T3_PNSZ_IS14_E10value_typeET4_jRbjT5_S1A_jjP12ihipStream_tbEUljE_EEESV_SW_SX_S14_S18_S1A_T6_T7_T9_mT8_S1C_bDpT10_ENKUlT_T0_E_clISt17integral_constantIbLb1EES1O_IbLb0EEEEDaS1K_S1L_EUlS1K_E_NS1_11comp_targetILNS1_3genE9ELNS1_11target_archE1100ELNS1_3gpuE3ELNS1_3repE0EEENS1_30default_config_static_selectorELNS0_4arch9wavefront6targetE0EEEvSY_
	.p2align	8
	.type	_ZN7rocprim17ROCPRIM_400000_NS6detail17trampoline_kernelINS0_13select_configILj256ELj13ELNS0_17block_load_methodE3ELS4_3ELS4_3ELNS0_20block_scan_algorithmE0ELj4294967295EEENS1_25partition_config_selectorILNS1_17partition_subalgoE3EjNS0_10empty_typeEbEEZZNS1_14partition_implILS8_3ELb0ES6_jNS0_17counting_iteratorIjlEEPS9_SE_NS0_5tupleIJPjSE_EEENSF_IJSE_SE_EEES9_SG_JZNS1_25segmented_radix_sort_implINS0_14default_configELb0EPKaPaPKlPlN2at6native12_GLOBAL__N_18offset_tEEE10hipError_tPvRmT1_PNSt15iterator_traitsISY_E10value_typeET2_T3_PNSZ_IS14_E10value_typeET4_jRbjT5_S1A_jjP12ihipStream_tbEUljE_EEESV_SW_SX_S14_S18_S1A_T6_T7_T9_mT8_S1C_bDpT10_ENKUlT_T0_E_clISt17integral_constantIbLb1EES1O_IbLb0EEEEDaS1K_S1L_EUlS1K_E_NS1_11comp_targetILNS1_3genE9ELNS1_11target_archE1100ELNS1_3gpuE3ELNS1_3repE0EEENS1_30default_config_static_selectorELNS0_4arch9wavefront6targetE0EEEvSY_,@function
_ZN7rocprim17ROCPRIM_400000_NS6detail17trampoline_kernelINS0_13select_configILj256ELj13ELNS0_17block_load_methodE3ELS4_3ELS4_3ELNS0_20block_scan_algorithmE0ELj4294967295EEENS1_25partition_config_selectorILNS1_17partition_subalgoE3EjNS0_10empty_typeEbEEZZNS1_14partition_implILS8_3ELb0ES6_jNS0_17counting_iteratorIjlEEPS9_SE_NS0_5tupleIJPjSE_EEENSF_IJSE_SE_EEES9_SG_JZNS1_25segmented_radix_sort_implINS0_14default_configELb0EPKaPaPKlPlN2at6native12_GLOBAL__N_18offset_tEEE10hipError_tPvRmT1_PNSt15iterator_traitsISY_E10value_typeET2_T3_PNSZ_IS14_E10value_typeET4_jRbjT5_S1A_jjP12ihipStream_tbEUljE_EEESV_SW_SX_S14_S18_S1A_T6_T7_T9_mT8_S1C_bDpT10_ENKUlT_T0_E_clISt17integral_constantIbLb1EES1O_IbLb0EEEEDaS1K_S1L_EUlS1K_E_NS1_11comp_targetILNS1_3genE9ELNS1_11target_archE1100ELNS1_3gpuE3ELNS1_3repE0EEENS1_30default_config_static_selectorELNS0_4arch9wavefront6targetE0EEEvSY_: ; @_ZN7rocprim17ROCPRIM_400000_NS6detail17trampoline_kernelINS0_13select_configILj256ELj13ELNS0_17block_load_methodE3ELS4_3ELS4_3ELNS0_20block_scan_algorithmE0ELj4294967295EEENS1_25partition_config_selectorILNS1_17partition_subalgoE3EjNS0_10empty_typeEbEEZZNS1_14partition_implILS8_3ELb0ES6_jNS0_17counting_iteratorIjlEEPS9_SE_NS0_5tupleIJPjSE_EEENSF_IJSE_SE_EEES9_SG_JZNS1_25segmented_radix_sort_implINS0_14default_configELb0EPKaPaPKlPlN2at6native12_GLOBAL__N_18offset_tEEE10hipError_tPvRmT1_PNSt15iterator_traitsISY_E10value_typeET2_T3_PNSZ_IS14_E10value_typeET4_jRbjT5_S1A_jjP12ihipStream_tbEUljE_EEESV_SW_SX_S14_S18_S1A_T6_T7_T9_mT8_S1C_bDpT10_ENKUlT_T0_E_clISt17integral_constantIbLb1EES1O_IbLb0EEEEDaS1K_S1L_EUlS1K_E_NS1_11comp_targetILNS1_3genE9ELNS1_11target_archE1100ELNS1_3gpuE3ELNS1_3repE0EEENS1_30default_config_static_selectorELNS0_4arch9wavefront6targetE0EEEvSY_
; %bb.0:
	s_clause 0x5
	s_load_b32 s2, s[0:1], 0x70
	s_load_b64 s[16:17], s[0:1], 0x10
	s_load_b64 s[12:13], s[0:1], 0x58
	s_load_b32 s18, s[0:1], 0x8
	s_load_b128 s[8:11], s[0:1], 0x48
	s_load_b128 s[4:7], s[0:1], 0x78
	s_mul_i32 s23, s15, 0xd00
	v_lshlrev_b32_e32 v30, 2, v0
	s_waitcnt lgkmcnt(0)
	s_mul_i32 s20, s2, 0xd00
	s_add_i32 s19, s2, -1
	s_add_u32 s2, s16, s20
	s_addc_u32 s3, s17, 0
	s_cmp_eq_u32 s15, s19
	v_cmp_lt_u64_e64 s3, s[2:3], s[12:13]
	s_cselect_b32 s14, -1, 0
	s_cmp_lg_u32 s15, s19
	s_cselect_b32 s21, -1, 0
	s_add_i32 s2, s18, s23
	s_delay_alu instid0(VALU_DEP_1)
	s_or_b32 s3, s21, s3
	s_add_i32 s18, s2, s16
	s_load_b32 s2, s[0:1], 0x88
	v_add_nc_u32_e32 v1, s18, v0
	s_load_b64 s[18:19], s[10:11], 0x0
	s_and_b32 vcc_lo, exec_lo, s3
	s_mov_b32 s10, -1
	s_delay_alu instid0(VALU_DEP_1)
	v_add_nc_u32_e32 v2, 0x100, v1
	v_add_nc_u32_e32 v3, 0x200, v1
	;; [unrolled: 1-line block ×12, first 2 shown]
	s_cbranch_vccz .LBB383_2
; %bb.1:
	ds_store_2addr_stride64_b32 v30, v1, v2 offset1:4
	ds_store_2addr_stride64_b32 v30, v3, v4 offset0:8 offset1:12
	ds_store_2addr_stride64_b32 v30, v5, v6 offset0:16 offset1:20
	;; [unrolled: 1-line block ×5, first 2 shown]
	ds_store_b32 v30, v13 offset:12288
	s_waitcnt lgkmcnt(0)
	s_mov_b32 s10, 0
	s_barrier
.LBB383_2:
	s_and_not1_b32 vcc_lo, exec_lo, s10
	s_add_i32 s20, s20, s16
	s_cbranch_vccnz .LBB383_4
; %bb.3:
	ds_store_2addr_stride64_b32 v30, v1, v2 offset1:4
	ds_store_2addr_stride64_b32 v30, v3, v4 offset0:8 offset1:12
	ds_store_2addr_stride64_b32 v30, v5, v6 offset0:16 offset1:20
	;; [unrolled: 1-line block ×5, first 2 shown]
	ds_store_b32 v30, v13 offset:12288
	s_waitcnt lgkmcnt(0)
	s_barrier
.LBB383_4:
	v_mul_u32_u24_e32 v33, 13, v0
	s_waitcnt lgkmcnt(0)
	buffer_gl0_inv
	v_cndmask_b32_e64 v31, 0, 1, s3
	s_sub_i32 s22, s12, s20
	s_and_not1_b32 vcc_lo, exec_lo, s3
	v_lshlrev_b32_e32 v1, 2, v33
	ds_load_2addr_b32 v[28:29], v1 offset1:1
	ds_load_2addr_b32 v[26:27], v1 offset0:2 offset1:3
	ds_load_2addr_b32 v[24:25], v1 offset0:4 offset1:5
	;; [unrolled: 1-line block ×5, first 2 shown]
	ds_load_b32 v32, v1 offset:48
	s_waitcnt lgkmcnt(0)
	s_barrier
	buffer_gl0_inv
	s_cbranch_vccnz .LBB383_6
; %bb.5:
	v_add_nc_u32_e32 v1, s5, v28
	v_add_nc_u32_e32 v2, s7, v28
	;; [unrolled: 1-line block ×5, first 2 shown]
	v_mul_lo_u32 v1, v1, s4
	v_mul_lo_u32 v2, v2, s6
	;; [unrolled: 1-line block ×4, first 2 shown]
	v_add_nc_u32_e32 v6, s7, v26
	v_add_nc_u32_e32 v7, s5, v27
	;; [unrolled: 1-line block ×3, first 2 shown]
	v_mul_lo_u32 v5, v5, s4
	v_add_nc_u32_e32 v9, s5, v22
	v_sub_nc_u32_e32 v1, v1, v2
	v_mul_lo_u32 v2, v6, s6
	v_sub_nc_u32_e32 v3, v3, v4
	v_mul_lo_u32 v4, v7, s4
	v_mul_lo_u32 v6, v8, s6
	v_add_nc_u32_e32 v7, s5, v24
	v_cmp_lt_u32_e32 vcc_lo, s2, v1
	v_add_nc_u32_e32 v8, s5, v25
	v_add_nc_u32_e32 v10, s7, v22
	v_sub_nc_u32_e32 v2, v5, v2
	v_add_nc_u32_e32 v5, s7, v24
	v_cndmask_b32_e64 v1, 0, 1, vcc_lo
	v_sub_nc_u32_e32 v4, v4, v6
	v_mul_lo_u32 v6, v7, s4
	v_add_nc_u32_e32 v7, s7, v25
	v_cmp_lt_u32_e32 vcc_lo, s2, v3
	v_mul_lo_u32 v5, v5, s6
	v_mul_lo_u32 v8, v8, s4
	;; [unrolled: 1-line block ×4, first 2 shown]
	v_cndmask_b32_e64 v3, 0, 1, vcc_lo
	v_cmp_lt_u32_e32 vcc_lo, s2, v2
	v_mul_lo_u32 v10, v10, s6
	v_add_nc_u32_e32 v11, s5, v20
	v_sub_nc_u32_e32 v5, v6, v5
	v_add_nc_u32_e32 v12, s7, v20
	v_cndmask_b32_e64 v2, 0, 1, vcc_lo
	v_sub_nc_u32_e32 v6, v8, v7
	v_add_nc_u32_e32 v7, s5, v23
	v_add_nc_u32_e32 v8, s7, v23
	v_cmp_lt_u32_e32 vcc_lo, s2, v4
	v_sub_nc_u32_e32 v9, v9, v10
	v_mul_lo_u32 v10, v11, s4
	v_mul_lo_u32 v7, v7, s4
	;; [unrolled: 1-line block ×4, first 2 shown]
	v_cndmask_b32_e64 v4, 0, 1, vcc_lo
	v_cmp_lt_u32_e32 vcc_lo, s2, v5
	v_add_nc_u32_e32 v12, s5, v21
	v_add_nc_u32_e32 v13, s7, v18
	;; [unrolled: 1-line block ×4, first 2 shown]
	v_cndmask_b32_e64 v5, 0, 1, vcc_lo
	v_cmp_lt_u32_e32 vcc_lo, s2, v6
	v_sub_nc_u32_e32 v7, v7, v8
	v_sub_nc_u32_e32 v8, v10, v11
	v_add_nc_u32_e32 v11, s7, v21
	v_mul_lo_u32 v10, v12, s4
	v_cndmask_b32_e64 v6, 0, 1, vcc_lo
	v_cmp_lt_u32_e32 vcc_lo, s2, v9
	v_add_nc_u32_e32 v12, s5, v18
	v_mul_lo_u32 v11, v11, s6
	v_mul_lo_u32 v13, v13, s6
	;; [unrolled: 1-line block ×3, first 2 shown]
	v_cndmask_b32_e64 v9, 0, 1, vcc_lo
	v_cmp_lt_u32_e32 vcc_lo, s2, v7
	v_mul_lo_u32 v12, v12, s4
	v_mul_lo_u32 v15, v15, s6
	v_lshlrev_b16 v3, 8, v3
	v_sub_nc_u32_e32 v10, v10, v11
	v_cndmask_b32_e64 v7, 0, 1, vcc_lo
	v_cmp_lt_u32_e32 vcc_lo, s2, v8
	v_add_nc_u32_e32 v11, s5, v32
	v_or_b32_e32 v1, v1, v3
	v_sub_nc_u32_e32 v12, v12, v13
	v_sub_nc_u32_e32 v13, v14, v15
	v_cndmask_b32_e64 v8, 0, 1, vcc_lo
	v_cmp_lt_u32_e32 vcc_lo, s2, v10
	v_add_nc_u32_e32 v16, s7, v32
	v_mul_lo_u32 v11, v11, s4
	v_lshlrev_b16 v4, 8, v4
	v_lshlrev_b16 v6, 8, v6
	v_cndmask_b32_e64 v10, 0, 1, vcc_lo
	v_cmp_lt_u32_e32 vcc_lo, s2, v12
	v_mul_lo_u32 v14, v16, s6
	v_lshlrev_b16 v7, 8, v7
	v_or_b32_e32 v2, v2, v4
	v_lshlrev_b16 v10, 8, v10
	v_cndmask_b32_e64 v3, 0, 1, vcc_lo
	v_cmp_lt_u32_e32 vcc_lo, s2, v13
	v_or_b32_e32 v4, v5, v6
	v_or_b32_e32 v5, v9, v7
	v_sub_nc_u32_e32 v11, v11, v14
	v_or_b32_e32 v6, v8, v10
	v_cndmask_b32_e64 v12, 0, 1, vcc_lo
	v_and_b32_e32 v1, 0xffff, v1
	v_lshlrev_b32_e32 v2, 16, v2
	v_and_b32_e32 v4, 0xffff, v4
	v_lshlrev_b32_e32 v5, 16, v5
	v_lshlrev_b16 v12, 8, v12
	v_and_b32_e32 v6, 0xffff, v6
	v_cmp_lt_u32_e32 vcc_lo, s2, v11
	v_or_b32_e32 v39, v1, v2
	v_or_b32_e32 v37, v4, v5
	;; [unrolled: 1-line block ×3, first 2 shown]
	s_mov_b32 s3, 0
	v_cndmask_b32_e64 v34, 0, 1, vcc_lo
	s_delay_alu instid0(VALU_DEP_2) | instskip(NEXT) | instid1(VALU_DEP_1)
	v_lshlrev_b32_e32 v3, 16, v3
	v_or_b32_e32 v35, v6, v3
	s_branch .LBB383_7
.LBB383_6:
	s_mov_b32 s3, -1
                                        ; implicit-def: $vgpr34
                                        ; implicit-def: $vgpr35
                                        ; implicit-def: $vgpr37
                                        ; implicit-def: $vgpr39
.LBB383_7:
	s_clause 0x1
	s_load_b64 s[10:11], s[0:1], 0x28
	s_load_b64 s[20:21], s[0:1], 0x68
	s_and_not1_b32 vcc_lo, exec_lo, s3
	s_addk_i32 s22, 0xd00
	s_cbranch_vccnz .LBB383_35
; %bb.8:
	v_dual_mov_b32 v2, 0 :: v_dual_mov_b32 v1, 0
	s_mov_b32 s0, exec_lo
	v_cmpx_gt_u32_e64 s22, v33
; %bb.9:
	v_add_nc_u32_e32 v1, s5, v28
	v_add_nc_u32_e32 v3, s7, v28
	s_delay_alu instid0(VALU_DEP_2) | instskip(NEXT) | instid1(VALU_DEP_2)
	v_mul_lo_u32 v1, v1, s4
	v_mul_lo_u32 v3, v3, s6
	s_delay_alu instid0(VALU_DEP_1) | instskip(NEXT) | instid1(VALU_DEP_1)
	v_sub_nc_u32_e32 v1, v1, v3
	v_cmp_lt_u32_e32 vcc_lo, s2, v1
	v_cndmask_b32_e64 v1, 0, 1, vcc_lo
; %bb.10:
	s_or_b32 exec_lo, exec_lo, s0
	v_add_nc_u32_e32 v3, 1, v33
	s_mov_b32 s0, exec_lo
	s_delay_alu instid0(VALU_DEP_1)
	v_cmpx_gt_u32_e64 s22, v3
; %bb.11:
	v_add_nc_u32_e32 v2, s5, v29
	v_add_nc_u32_e32 v3, s7, v29
	s_delay_alu instid0(VALU_DEP_2) | instskip(NEXT) | instid1(VALU_DEP_2)
	v_mul_lo_u32 v2, v2, s4
	v_mul_lo_u32 v3, v3, s6
	s_delay_alu instid0(VALU_DEP_1) | instskip(NEXT) | instid1(VALU_DEP_1)
	v_sub_nc_u32_e32 v2, v2, v3
	v_cmp_lt_u32_e32 vcc_lo, s2, v2
	v_cndmask_b32_e64 v2, 0, 1, vcc_lo
; %bb.12:
	s_or_b32 exec_lo, exec_lo, s0
	v_dual_mov_b32 v4, 0 :: v_dual_add_nc_u32 v3, 2, v33
	s_delay_alu instid0(VALU_DEP_1)
	v_cmp_gt_u32_e32 vcc_lo, s22, v3
	v_mov_b32_e32 v3, 0
	s_and_saveexec_b32 s0, vcc_lo
; %bb.13:
	v_add_nc_u32_e32 v3, s5, v26
	v_add_nc_u32_e32 v5, s7, v26
	s_delay_alu instid0(VALU_DEP_2) | instskip(NEXT) | instid1(VALU_DEP_2)
	v_mul_lo_u32 v3, v3, s4
	v_mul_lo_u32 v5, v5, s6
	s_delay_alu instid0(VALU_DEP_1) | instskip(NEXT) | instid1(VALU_DEP_1)
	v_sub_nc_u32_e32 v3, v3, v5
	v_cmp_lt_u32_e32 vcc_lo, s2, v3
	v_cndmask_b32_e64 v3, 0, 1, vcc_lo
; %bb.14:
	s_or_b32 exec_lo, exec_lo, s0
	v_add_nc_u32_e32 v5, 3, v33
	s_mov_b32 s0, exec_lo
	s_delay_alu instid0(VALU_DEP_1)
	v_cmpx_gt_u32_e64 s22, v5
; %bb.15:
	v_add_nc_u32_e32 v4, s5, v27
	v_add_nc_u32_e32 v5, s7, v27
	s_delay_alu instid0(VALU_DEP_2) | instskip(NEXT) | instid1(VALU_DEP_2)
	v_mul_lo_u32 v4, v4, s4
	v_mul_lo_u32 v5, v5, s6
	s_delay_alu instid0(VALU_DEP_1) | instskip(NEXT) | instid1(VALU_DEP_1)
	v_sub_nc_u32_e32 v4, v4, v5
	v_cmp_lt_u32_e32 vcc_lo, s2, v4
	v_cndmask_b32_e64 v4, 0, 1, vcc_lo
; %bb.16:
	s_or_b32 exec_lo, exec_lo, s0
	v_dual_mov_b32 v6, 0 :: v_dual_add_nc_u32 v5, 4, v33
	s_delay_alu instid0(VALU_DEP_1)
	v_cmp_gt_u32_e32 vcc_lo, s22, v5
	v_mov_b32_e32 v5, 0
	s_and_saveexec_b32 s0, vcc_lo
	;; [unrolled: 33-line block ×5, first 2 shown]
; %bb.29:
	v_add_nc_u32_e32 v11, s5, v18
	v_add_nc_u32_e32 v13, s7, v18
	s_delay_alu instid0(VALU_DEP_2) | instskip(NEXT) | instid1(VALU_DEP_2)
	v_mul_lo_u32 v11, v11, s4
	v_mul_lo_u32 v13, v13, s6
	s_delay_alu instid0(VALU_DEP_1) | instskip(NEXT) | instid1(VALU_DEP_1)
	v_sub_nc_u32_e32 v11, v11, v13
	v_cmp_lt_u32_e32 vcc_lo, s2, v11
	v_cndmask_b32_e64 v11, 0, 1, vcc_lo
; %bb.30:
	s_or_b32 exec_lo, exec_lo, s0
	v_add_nc_u32_e32 v13, 11, v33
	s_mov_b32 s0, exec_lo
	s_delay_alu instid0(VALU_DEP_1)
	v_cmpx_gt_u32_e64 s22, v13
; %bb.31:
	v_add_nc_u32_e32 v12, s5, v19
	v_add_nc_u32_e32 v13, s7, v19
	s_delay_alu instid0(VALU_DEP_2) | instskip(NEXT) | instid1(VALU_DEP_2)
	v_mul_lo_u32 v12, v12, s4
	v_mul_lo_u32 v13, v13, s6
	s_delay_alu instid0(VALU_DEP_1) | instskip(NEXT) | instid1(VALU_DEP_1)
	v_sub_nc_u32_e32 v12, v12, v13
	v_cmp_lt_u32_e32 vcc_lo, s2, v12
	v_cndmask_b32_e64 v12, 0, 1, vcc_lo
; %bb.32:
	s_or_b32 exec_lo, exec_lo, s0
	v_dual_mov_b32 v34, 0 :: v_dual_add_nc_u32 v13, 12, v33
	s_mov_b32 s0, exec_lo
	s_delay_alu instid0(VALU_DEP_1)
	v_cmpx_gt_u32_e64 s22, v13
; %bb.33:
	v_add_nc_u32_e32 v13, s5, v32
	v_add_nc_u32_e32 v14, s7, v32
	s_delay_alu instid0(VALU_DEP_2) | instskip(NEXT) | instid1(VALU_DEP_2)
	v_mul_lo_u32 v13, v13, s4
	v_mul_lo_u32 v14, v14, s6
	s_delay_alu instid0(VALU_DEP_1) | instskip(NEXT) | instid1(VALU_DEP_1)
	v_sub_nc_u32_e32 v13, v13, v14
	v_cmp_lt_u32_e32 vcc_lo, s2, v13
	v_cndmask_b32_e64 v34, 0, 1, vcc_lo
; %bb.34:
	s_or_b32 exec_lo, exec_lo, s0
	v_lshlrev_b16 v2, 8, v2
	v_lshlrev_b16 v4, 8, v4
	;; [unrolled: 1-line block ×5, first 2 shown]
	v_or_b32_e32 v1, v1, v2
	v_lshlrev_b16 v2, 8, v12
	v_or_b32_e32 v3, v3, v4
	v_or_b32_e32 v4, v5, v6
	;; [unrolled: 1-line block ×5, first 2 shown]
	v_and_b32_e32 v1, 0xffff, v1
	v_lshlrev_b32_e32 v3, 16, v3
	v_and_b32_e32 v4, 0xffff, v4
	v_lshlrev_b32_e32 v5, 16, v5
	;; [unrolled: 2-line block ×3, first 2 shown]
	v_or_b32_e32 v39, v1, v3
	s_delay_alu instid0(VALU_DEP_4) | instskip(NEXT) | instid1(VALU_DEP_3)
	v_or_b32_e32 v37, v4, v5
	v_or_b32_e32 v35, v6, v2
.LBB383_35:
	s_delay_alu instid0(VALU_DEP_3)
	v_and_b32_e32 v41, 0xff, v39
	v_bfe_u32 v42, v39, 8, 8
	v_bfe_u32 v43, v39, 16, 8
	v_lshrrev_b32_e32 v40, 24, v39
	v_and_b32_e32 v44, 0xff, v37
	v_bfe_u32 v45, v37, 8, 8
	v_bfe_u32 v46, v37, 16, 8
	v_add3_u32 v1, v42, v41, v43
	v_lshrrev_b32_e32 v38, 24, v37
	v_and_b32_e32 v47, 0xff, v35
	v_bfe_u32 v48, v35, 8, 8
	v_mbcnt_lo_u32_b32 v50, -1, 0
	v_add3_u32 v1, v1, v40, v44
	v_bfe_u32 v49, v35, 16, 8
	v_lshrrev_b32_e32 v36, 24, v35
	v_and_b32_e32 v2, 0xff, v34
	v_and_b32_e32 v3, 15, v50
	v_add3_u32 v1, v1, v45, v46
	v_or_b32_e32 v4, 31, v0
	v_and_b32_e32 v5, 16, v50
	v_lshrrev_b32_e32 v51, 5, v0
	v_cmp_eq_u32_e64 s5, 0, v3
	v_add3_u32 v1, v1, v38, v47
	v_cmp_lt_u32_e64 s4, 1, v3
	v_cmp_lt_u32_e64 s3, 3, v3
	;; [unrolled: 1-line block ×3, first 2 shown]
	v_cmp_eq_u32_e64 s1, 0, v5
	v_add3_u32 v1, v1, v48, v49
	v_cmp_eq_u32_e64 s0, v4, v0
	s_cmp_lg_u32 s15, 0
	s_mov_b32 s6, -1
	s_delay_alu instid0(VALU_DEP_2)
	v_add3_u32 v52, v1, v36, v2
	s_cbranch_scc0 .LBB383_66
; %bb.36:
	s_delay_alu instid0(VALU_DEP_1) | instskip(NEXT) | instid1(VALU_DEP_1)
	v_mov_b32_dpp v1, v52 row_shr:1 row_mask:0xf bank_mask:0xf
	v_cndmask_b32_e64 v1, v1, 0, s5
	s_delay_alu instid0(VALU_DEP_1) | instskip(NEXT) | instid1(VALU_DEP_1)
	v_add_nc_u32_e32 v1, v1, v52
	v_mov_b32_dpp v2, v1 row_shr:2 row_mask:0xf bank_mask:0xf
	s_delay_alu instid0(VALU_DEP_1) | instskip(NEXT) | instid1(VALU_DEP_1)
	v_cndmask_b32_e64 v2, 0, v2, s4
	v_add_nc_u32_e32 v1, v1, v2
	s_delay_alu instid0(VALU_DEP_1) | instskip(NEXT) | instid1(VALU_DEP_1)
	v_mov_b32_dpp v2, v1 row_shr:4 row_mask:0xf bank_mask:0xf
	v_cndmask_b32_e64 v2, 0, v2, s3
	s_delay_alu instid0(VALU_DEP_1) | instskip(NEXT) | instid1(VALU_DEP_1)
	v_add_nc_u32_e32 v1, v1, v2
	v_mov_b32_dpp v2, v1 row_shr:8 row_mask:0xf bank_mask:0xf
	s_delay_alu instid0(VALU_DEP_1) | instskip(NEXT) | instid1(VALU_DEP_1)
	v_cndmask_b32_e64 v2, 0, v2, s2
	v_add_nc_u32_e32 v1, v1, v2
	ds_swizzle_b32 v2, v1 offset:swizzle(BROADCAST,32,15)
	s_waitcnt lgkmcnt(0)
	v_cndmask_b32_e64 v2, v2, 0, s1
	s_delay_alu instid0(VALU_DEP_1)
	v_add_nc_u32_e32 v1, v1, v2
	s_and_saveexec_b32 s6, s0
	s_cbranch_execz .LBB383_38
; %bb.37:
	v_lshlrev_b32_e32 v2, 2, v51
	ds_store_b32 v2, v1
.LBB383_38:
	s_or_b32 exec_lo, exec_lo, s6
	s_delay_alu instid0(SALU_CYCLE_1)
	s_mov_b32 s6, exec_lo
	s_waitcnt lgkmcnt(0)
	s_barrier
	buffer_gl0_inv
	v_cmpx_gt_u32_e32 8, v0
	s_cbranch_execz .LBB383_40
; %bb.39:
	ds_load_b32 v2, v30
	s_waitcnt lgkmcnt(0)
	v_mov_b32_dpp v4, v2 row_shr:1 row_mask:0xf bank_mask:0xf
	v_and_b32_e32 v3, 7, v50
	s_delay_alu instid0(VALU_DEP_1) | instskip(NEXT) | instid1(VALU_DEP_3)
	v_cmp_ne_u32_e32 vcc_lo, 0, v3
	v_cndmask_b32_e32 v4, 0, v4, vcc_lo
	v_cmp_lt_u32_e32 vcc_lo, 1, v3
	s_delay_alu instid0(VALU_DEP_2) | instskip(NEXT) | instid1(VALU_DEP_1)
	v_add_nc_u32_e32 v2, v4, v2
	v_mov_b32_dpp v4, v2 row_shr:2 row_mask:0xf bank_mask:0xf
	s_delay_alu instid0(VALU_DEP_1) | instskip(SKIP_1) | instid1(VALU_DEP_2)
	v_cndmask_b32_e32 v4, 0, v4, vcc_lo
	v_cmp_lt_u32_e32 vcc_lo, 3, v3
	v_add_nc_u32_e32 v2, v2, v4
	s_delay_alu instid0(VALU_DEP_1) | instskip(NEXT) | instid1(VALU_DEP_1)
	v_mov_b32_dpp v4, v2 row_shr:4 row_mask:0xf bank_mask:0xf
	v_cndmask_b32_e32 v3, 0, v4, vcc_lo
	s_delay_alu instid0(VALU_DEP_1)
	v_add_nc_u32_e32 v2, v2, v3
	ds_store_b32 v30, v2
.LBB383_40:
	s_or_b32 exec_lo, exec_lo, s6
	v_cmp_gt_u32_e32 vcc_lo, 32, v0
	s_mov_b32 s7, exec_lo
	s_waitcnt lgkmcnt(0)
	s_barrier
	buffer_gl0_inv
                                        ; implicit-def: $vgpr8
	v_cmpx_lt_u32_e32 31, v0
	s_cbranch_execz .LBB383_42
; %bb.41:
	v_lshl_add_u32 v2, v51, 2, -4
	ds_load_b32 v8, v2
	s_waitcnt lgkmcnt(0)
	v_add_nc_u32_e32 v1, v8, v1
.LBB383_42:
	s_or_b32 exec_lo, exec_lo, s7
	v_add_nc_u32_e32 v2, -1, v50
	s_delay_alu instid0(VALU_DEP_1) | instskip(NEXT) | instid1(VALU_DEP_1)
	v_cmp_gt_i32_e64 s6, 0, v2
	v_cndmask_b32_e64 v2, v2, v50, s6
	v_cmp_eq_u32_e64 s6, 0, v50
	s_delay_alu instid0(VALU_DEP_2)
	v_lshlrev_b32_e32 v2, 2, v2
	ds_bpermute_b32 v9, v2, v1
	s_and_saveexec_b32 s7, vcc_lo
	s_cbranch_execz .LBB383_65
; %bb.43:
	v_mov_b32_e32 v4, 0
	ds_load_b32 v1, v4 offset:28
	s_and_saveexec_b32 s24, s6
	s_cbranch_execz .LBB383_45
; %bb.44:
	s_add_i32 s26, s15, 32
	s_mov_b32 s27, 0
	v_mov_b32_e32 v2, 1
	s_lshl_b64 s[26:27], s[26:27], 3
	s_delay_alu instid0(SALU_CYCLE_1)
	s_add_u32 s26, s20, s26
	s_addc_u32 s27, s21, s27
	s_waitcnt lgkmcnt(0)
	global_store_b64 v4, v[1:2], s[26:27]
.LBB383_45:
	s_or_b32 exec_lo, exec_lo, s24
	v_xad_u32 v2, v50, -1, s15
	s_mov_b32 s25, 0
	s_mov_b32 s24, exec_lo
	s_delay_alu instid0(VALU_DEP_1) | instskip(NEXT) | instid1(VALU_DEP_1)
	v_add_nc_u32_e32 v3, 32, v2
	v_lshlrev_b64 v[3:4], 3, v[3:4]
	s_delay_alu instid0(VALU_DEP_1) | instskip(NEXT) | instid1(VALU_DEP_2)
	v_add_co_u32 v6, vcc_lo, s20, v3
	v_add_co_ci_u32_e32 v7, vcc_lo, s21, v4, vcc_lo
	global_load_b64 v[4:5], v[6:7], off glc
	s_waitcnt vmcnt(0)
	v_and_b32_e32 v3, 0xff, v5
	s_delay_alu instid0(VALU_DEP_1)
	v_cmpx_eq_u16_e32 0, v3
	s_cbranch_execz .LBB383_51
; %bb.46:
	s_mov_b32 s26, 1
	.p2align	6
.LBB383_47:                             ; =>This Loop Header: Depth=1
                                        ;     Child Loop BB383_48 Depth 2
	s_delay_alu instid0(SALU_CYCLE_1)
	s_max_u32 s27, s26, 1
.LBB383_48:                             ;   Parent Loop BB383_47 Depth=1
                                        ; =>  This Inner Loop Header: Depth=2
	s_delay_alu instid0(SALU_CYCLE_1)
	s_add_i32 s27, s27, -1
	s_sleep 1
	s_cmp_eq_u32 s27, 0
	s_cbranch_scc0 .LBB383_48
; %bb.49:                               ;   in Loop: Header=BB383_47 Depth=1
	global_load_b64 v[4:5], v[6:7], off glc
	s_cmp_lt_u32 s26, 32
	s_cselect_b32 s27, -1, 0
	s_delay_alu instid0(SALU_CYCLE_1) | instskip(SKIP_3) | instid1(VALU_DEP_1)
	s_cmp_lg_u32 s27, 0
	s_addc_u32 s26, s26, 0
	s_waitcnt vmcnt(0)
	v_and_b32_e32 v3, 0xff, v5
	v_cmp_ne_u16_e32 vcc_lo, 0, v3
	s_or_b32 s25, vcc_lo, s25
	s_delay_alu instid0(SALU_CYCLE_1)
	s_and_not1_b32 exec_lo, exec_lo, s25
	s_cbranch_execnz .LBB383_47
; %bb.50:
	s_or_b32 exec_lo, exec_lo, s25
.LBB383_51:
	s_delay_alu instid0(SALU_CYCLE_1)
	s_or_b32 exec_lo, exec_lo, s24
	v_cmp_ne_u32_e32 vcc_lo, 31, v50
	v_lshlrev_b32_e64 v11, v50, -1
	v_add_nc_u32_e32 v13, 2, v50
	v_add_nc_u32_e32 v16, 4, v50
	v_add_nc_u32_e32 v53, 8, v50
	v_add_co_ci_u32_e32 v3, vcc_lo, 0, v50, vcc_lo
	v_add_nc_u32_e32 v55, 16, v50
	s_delay_alu instid0(VALU_DEP_2) | instskip(SKIP_2) | instid1(VALU_DEP_1)
	v_lshlrev_b32_e32 v10, 2, v3
	ds_bpermute_b32 v6, v10, v4
	v_and_b32_e32 v3, 0xff, v5
	v_cmp_eq_u16_e32 vcc_lo, 2, v3
	v_and_or_b32 v3, vcc_lo, v11, 0x80000000
	v_cmp_gt_u32_e32 vcc_lo, 30, v50
	s_delay_alu instid0(VALU_DEP_2) | instskip(SKIP_1) | instid1(VALU_DEP_2)
	v_ctz_i32_b32_e32 v3, v3
	v_cndmask_b32_e64 v7, 0, 1, vcc_lo
	v_cmp_lt_u32_e32 vcc_lo, v50, v3
	s_waitcnt lgkmcnt(0)
	s_delay_alu instid0(VALU_DEP_2) | instskip(NEXT) | instid1(VALU_DEP_1)
	v_dual_cndmask_b32 v6, 0, v6 :: v_dual_lshlrev_b32 v7, 1, v7
	v_add_lshl_u32 v12, v7, v50, 2
	v_cmp_gt_u32_e32 vcc_lo, 28, v50
	s_delay_alu instid0(VALU_DEP_3) | instskip(SKIP_4) | instid1(VALU_DEP_1)
	v_add_nc_u32_e32 v4, v6, v4
	v_cndmask_b32_e64 v7, 0, 1, vcc_lo
	v_cmp_le_u32_e32 vcc_lo, v13, v3
	ds_bpermute_b32 v6, v12, v4
	v_lshlrev_b32_e32 v7, 2, v7
	v_add_lshl_u32 v14, v7, v50, 2
	s_waitcnt lgkmcnt(0)
	v_cndmask_b32_e32 v6, 0, v6, vcc_lo
	v_cmp_gt_u32_e32 vcc_lo, 24, v50
	s_delay_alu instid0(VALU_DEP_2) | instskip(SKIP_4) | instid1(VALU_DEP_1)
	v_add_nc_u32_e32 v4, v4, v6
	v_cndmask_b32_e64 v7, 0, 1, vcc_lo
	v_cmp_le_u32_e32 vcc_lo, v16, v3
	ds_bpermute_b32 v6, v14, v4
	v_lshlrev_b32_e32 v7, 3, v7
	v_add_lshl_u32 v17, v7, v50, 2
	s_waitcnt lgkmcnt(0)
	v_cndmask_b32_e32 v6, 0, v6, vcc_lo
	v_cmp_gt_u32_e32 vcc_lo, 16, v50
	s_delay_alu instid0(VALU_DEP_2) | instskip(SKIP_4) | instid1(VALU_DEP_1)
	v_add_nc_u32_e32 v4, v4, v6
	v_cndmask_b32_e64 v7, 0, 1, vcc_lo
	v_cmp_le_u32_e32 vcc_lo, v53, v3
	ds_bpermute_b32 v6, v17, v4
	v_lshlrev_b32_e32 v7, 4, v7
	v_add_lshl_u32 v54, v7, v50, 2
	s_waitcnt lgkmcnt(0)
	v_cndmask_b32_e32 v6, 0, v6, vcc_lo
	v_cmp_le_u32_e32 vcc_lo, v55, v3
	s_delay_alu instid0(VALU_DEP_2) | instskip(SKIP_3) | instid1(VALU_DEP_1)
	v_add_nc_u32_e32 v4, v4, v6
	ds_bpermute_b32 v6, v54, v4
	s_waitcnt lgkmcnt(0)
	v_cndmask_b32_e32 v3, 0, v6, vcc_lo
	v_dual_mov_b32 v3, 0 :: v_dual_add_nc_u32 v4, v4, v3
	s_branch .LBB383_53
.LBB383_52:                             ;   in Loop: Header=BB383_53 Depth=1
	s_or_b32 exec_lo, exec_lo, s24
	ds_bpermute_b32 v7, v10, v4
	v_and_b32_e32 v6, 0xff, v5
	v_subrev_nc_u32_e32 v2, 32, v2
	s_delay_alu instid0(VALU_DEP_2) | instskip(SKIP_1) | instid1(VALU_DEP_1)
	v_cmp_eq_u16_e32 vcc_lo, 2, v6
	v_and_or_b32 v6, vcc_lo, v11, 0x80000000
	v_ctz_i32_b32_e32 v6, v6
	s_delay_alu instid0(VALU_DEP_1) | instskip(SKIP_3) | instid1(VALU_DEP_2)
	v_cmp_lt_u32_e32 vcc_lo, v50, v6
	s_waitcnt lgkmcnt(0)
	v_cndmask_b32_e32 v7, 0, v7, vcc_lo
	v_cmp_le_u32_e32 vcc_lo, v13, v6
	v_add_nc_u32_e32 v4, v7, v4
	ds_bpermute_b32 v7, v12, v4
	s_waitcnt lgkmcnt(0)
	v_cndmask_b32_e32 v7, 0, v7, vcc_lo
	v_cmp_le_u32_e32 vcc_lo, v16, v6
	s_delay_alu instid0(VALU_DEP_2) | instskip(SKIP_4) | instid1(VALU_DEP_2)
	v_add_nc_u32_e32 v4, v4, v7
	ds_bpermute_b32 v7, v14, v4
	s_waitcnt lgkmcnt(0)
	v_cndmask_b32_e32 v7, 0, v7, vcc_lo
	v_cmp_le_u32_e32 vcc_lo, v53, v6
	v_add_nc_u32_e32 v4, v4, v7
	ds_bpermute_b32 v7, v17, v4
	s_waitcnt lgkmcnt(0)
	v_cndmask_b32_e32 v7, 0, v7, vcc_lo
	v_cmp_le_u32_e32 vcc_lo, v55, v6
	s_delay_alu instid0(VALU_DEP_2) | instskip(SKIP_3) | instid1(VALU_DEP_1)
	v_add_nc_u32_e32 v4, v4, v7
	ds_bpermute_b32 v7, v54, v4
	s_waitcnt lgkmcnt(0)
	v_cndmask_b32_e32 v6, 0, v7, vcc_lo
	v_add3_u32 v4, v6, v15, v4
.LBB383_53:                             ; =>This Loop Header: Depth=1
                                        ;     Child Loop BB383_56 Depth 2
                                        ;       Child Loop BB383_57 Depth 3
	v_and_b32_e32 v5, 0xff, v5
	s_delay_alu instid0(VALU_DEP_2) | instskip(NEXT) | instid1(VALU_DEP_2)
	v_mov_b32_e32 v15, v4
	v_cmp_ne_u16_e32 vcc_lo, 2, v5
	v_cndmask_b32_e64 v5, 0, 1, vcc_lo
	;;#ASMSTART
	;;#ASMEND
	s_delay_alu instid0(VALU_DEP_1)
	v_cmp_ne_u32_e32 vcc_lo, 0, v5
	s_cmp_lg_u32 vcc_lo, exec_lo
	s_cbranch_scc1 .LBB383_60
; %bb.54:                               ;   in Loop: Header=BB383_53 Depth=1
	v_lshlrev_b64 v[4:5], 3, v[2:3]
	s_mov_b32 s24, exec_lo
	s_delay_alu instid0(VALU_DEP_1) | instskip(NEXT) | instid1(VALU_DEP_2)
	v_add_co_u32 v6, vcc_lo, s20, v4
	v_add_co_ci_u32_e32 v7, vcc_lo, s21, v5, vcc_lo
	global_load_b64 v[4:5], v[6:7], off glc
	s_waitcnt vmcnt(0)
	v_and_b32_e32 v56, 0xff, v5
	s_delay_alu instid0(VALU_DEP_1)
	v_cmpx_eq_u16_e32 0, v56
	s_cbranch_execz .LBB383_52
; %bb.55:                               ;   in Loop: Header=BB383_53 Depth=1
	s_mov_b32 s26, 1
	s_mov_b32 s25, 0
	.p2align	6
.LBB383_56:                             ;   Parent Loop BB383_53 Depth=1
                                        ; =>  This Loop Header: Depth=2
                                        ;       Child Loop BB383_57 Depth 3
	s_max_u32 s27, s26, 1
.LBB383_57:                             ;   Parent Loop BB383_53 Depth=1
                                        ;     Parent Loop BB383_56 Depth=2
                                        ; =>    This Inner Loop Header: Depth=3
	s_delay_alu instid0(SALU_CYCLE_1)
	s_add_i32 s27, s27, -1
	s_sleep 1
	s_cmp_eq_u32 s27, 0
	s_cbranch_scc0 .LBB383_57
; %bb.58:                               ;   in Loop: Header=BB383_56 Depth=2
	global_load_b64 v[4:5], v[6:7], off glc
	s_cmp_lt_u32 s26, 32
	s_cselect_b32 s27, -1, 0
	s_delay_alu instid0(SALU_CYCLE_1) | instskip(SKIP_3) | instid1(VALU_DEP_1)
	s_cmp_lg_u32 s27, 0
	s_addc_u32 s26, s26, 0
	s_waitcnt vmcnt(0)
	v_and_b32_e32 v56, 0xff, v5
	v_cmp_ne_u16_e32 vcc_lo, 0, v56
	s_or_b32 s25, vcc_lo, s25
	s_delay_alu instid0(SALU_CYCLE_1)
	s_and_not1_b32 exec_lo, exec_lo, s25
	s_cbranch_execnz .LBB383_56
; %bb.59:                               ;   in Loop: Header=BB383_53 Depth=1
	s_or_b32 exec_lo, exec_lo, s25
	s_branch .LBB383_52
.LBB383_60:                             ;   in Loop: Header=BB383_53 Depth=1
                                        ; implicit-def: $vgpr4
                                        ; implicit-def: $vgpr5
	s_cbranch_execz .LBB383_53
; %bb.61:
	s_and_saveexec_b32 s24, s6
	s_cbranch_execz .LBB383_63
; %bb.62:
	s_add_i32 s26, s15, 32
	s_mov_b32 s27, 0
	v_dual_mov_b32 v3, 2 :: v_dual_add_nc_u32 v2, v15, v1
	s_lshl_b64 s[26:27], s[26:27], 3
	v_mov_b32_e32 v4, 0
	v_add_nc_u32_e64 v5, 0x3400, 0
	s_add_u32 s26, s20, s26
	s_addc_u32 s27, s21, s27
	global_store_b64 v4, v[2:3], s[26:27]
	ds_store_2addr_b32 v5, v1, v15 offset1:2
.LBB383_63:
	s_or_b32 exec_lo, exec_lo, s24
	v_cmp_eq_u32_e32 vcc_lo, 0, v0
	s_and_b32 exec_lo, exec_lo, vcc_lo
	s_cbranch_execz .LBB383_65
; %bb.64:
	v_mov_b32_e32 v1, 0
	ds_store_b32 v1, v15 offset:28
.LBB383_65:
	s_or_b32 exec_lo, exec_lo, s7
	s_waitcnt lgkmcnt(0)
	v_cndmask_b32_e64 v2, v9, v8, s6
	v_cmp_ne_u32_e32 vcc_lo, 0, v0
	v_mov_b32_e32 v1, 0
	s_waitcnt_vscnt null, 0x0
	s_barrier
	buffer_gl0_inv
	v_cndmask_b32_e32 v2, 0, v2, vcc_lo
	ds_load_b32 v1, v1 offset:28
	v_add_nc_u32_e64 v11, 0x3400, 0
	s_waitcnt lgkmcnt(0)
	s_barrier
	buffer_gl0_inv
	ds_load_2addr_b32 v[16:17], v11 offset1:2
	v_add_nc_u32_e32 v1, v1, v2
	s_delay_alu instid0(VALU_DEP_1) | instskip(NEXT) | instid1(VALU_DEP_1)
	v_add_nc_u32_e32 v2, v1, v41
	v_add_nc_u32_e32 v3, v2, v42
	s_delay_alu instid0(VALU_DEP_1) | instskip(NEXT) | instid1(VALU_DEP_1)
	v_add_nc_u32_e32 v4, v3, v43
	;; [unrolled: 3-line block ×6, first 2 shown]
	v_add_nc_u32_e32 v13, v12, v36
	s_branch .LBB383_76
.LBB383_66:
                                        ; implicit-def: $vgpr17
                                        ; implicit-def: $vgpr1_vgpr2_vgpr3_vgpr4_vgpr5_vgpr6_vgpr7_vgpr8_vgpr9_vgpr10_vgpr11_vgpr12_vgpr13_vgpr14_vgpr15_vgpr16
	s_and_b32 vcc_lo, exec_lo, s6
	s_cbranch_vccz .LBB383_76
; %bb.67:
	s_delay_alu instid0(VALU_DEP_1) | instskip(NEXT) | instid1(VALU_DEP_1)
	v_mov_b32_dpp v1, v52 row_shr:1 row_mask:0xf bank_mask:0xf
	v_cndmask_b32_e64 v1, v1, 0, s5
	s_delay_alu instid0(VALU_DEP_1) | instskip(NEXT) | instid1(VALU_DEP_1)
	v_add_nc_u32_e32 v1, v1, v52
	v_mov_b32_dpp v2, v1 row_shr:2 row_mask:0xf bank_mask:0xf
	s_delay_alu instid0(VALU_DEP_1) | instskip(NEXT) | instid1(VALU_DEP_1)
	v_cndmask_b32_e64 v2, 0, v2, s4
	v_add_nc_u32_e32 v1, v1, v2
	s_delay_alu instid0(VALU_DEP_1) | instskip(NEXT) | instid1(VALU_DEP_1)
	v_mov_b32_dpp v2, v1 row_shr:4 row_mask:0xf bank_mask:0xf
	v_cndmask_b32_e64 v2, 0, v2, s3
	s_delay_alu instid0(VALU_DEP_1) | instskip(NEXT) | instid1(VALU_DEP_1)
	v_add_nc_u32_e32 v1, v1, v2
	v_mov_b32_dpp v2, v1 row_shr:8 row_mask:0xf bank_mask:0xf
	s_delay_alu instid0(VALU_DEP_1) | instskip(NEXT) | instid1(VALU_DEP_1)
	v_cndmask_b32_e64 v2, 0, v2, s2
	v_add_nc_u32_e32 v1, v1, v2
	ds_swizzle_b32 v2, v1 offset:swizzle(BROADCAST,32,15)
	s_waitcnt lgkmcnt(0)
	v_cndmask_b32_e64 v2, v2, 0, s1
	s_delay_alu instid0(VALU_DEP_1)
	v_add_nc_u32_e32 v1, v1, v2
	s_and_saveexec_b32 s1, s0
	s_cbranch_execz .LBB383_69
; %bb.68:
	v_lshlrev_b32_e32 v2, 2, v51
	ds_store_b32 v2, v1
.LBB383_69:
	s_or_b32 exec_lo, exec_lo, s1
	s_delay_alu instid0(SALU_CYCLE_1)
	s_mov_b32 s0, exec_lo
	s_waitcnt lgkmcnt(0)
	s_barrier
	buffer_gl0_inv
	v_cmpx_gt_u32_e32 8, v0
	s_cbranch_execz .LBB383_71
; %bb.70:
	ds_load_b32 v2, v30
	s_waitcnt lgkmcnt(0)
	v_mov_b32_dpp v4, v2 row_shr:1 row_mask:0xf bank_mask:0xf
	v_and_b32_e32 v3, 7, v50
	s_delay_alu instid0(VALU_DEP_1) | instskip(NEXT) | instid1(VALU_DEP_3)
	v_cmp_ne_u32_e32 vcc_lo, 0, v3
	v_cndmask_b32_e32 v4, 0, v4, vcc_lo
	v_cmp_lt_u32_e32 vcc_lo, 1, v3
	s_delay_alu instid0(VALU_DEP_2) | instskip(NEXT) | instid1(VALU_DEP_1)
	v_add_nc_u32_e32 v2, v4, v2
	v_mov_b32_dpp v4, v2 row_shr:2 row_mask:0xf bank_mask:0xf
	s_delay_alu instid0(VALU_DEP_1) | instskip(SKIP_1) | instid1(VALU_DEP_2)
	v_cndmask_b32_e32 v4, 0, v4, vcc_lo
	v_cmp_lt_u32_e32 vcc_lo, 3, v3
	v_add_nc_u32_e32 v2, v2, v4
	s_delay_alu instid0(VALU_DEP_1) | instskip(NEXT) | instid1(VALU_DEP_1)
	v_mov_b32_dpp v4, v2 row_shr:4 row_mask:0xf bank_mask:0xf
	v_cndmask_b32_e32 v3, 0, v4, vcc_lo
	s_delay_alu instid0(VALU_DEP_1)
	v_add_nc_u32_e32 v2, v2, v3
	ds_store_b32 v30, v2
.LBB383_71:
	s_or_b32 exec_lo, exec_lo, s0
	v_dual_mov_b32 v3, 0 :: v_dual_mov_b32 v2, 0
	s_mov_b32 s0, exec_lo
	s_waitcnt lgkmcnt(0)
	s_barrier
	buffer_gl0_inv
	v_cmpx_lt_u32_e32 31, v0
	s_cbranch_execz .LBB383_73
; %bb.72:
	v_lshl_add_u32 v2, v51, 2, -4
	ds_load_b32 v2, v2
.LBB383_73:
	s_or_b32 exec_lo, exec_lo, s0
	v_add_nc_u32_e32 v4, -1, v50
	ds_load_b32 v16, v3 offset:28
	s_waitcnt lgkmcnt(1)
	v_add_nc_u32_e32 v1, v2, v1
	v_cmp_gt_i32_e32 vcc_lo, 0, v4
	v_cndmask_b32_e32 v4, v4, v50, vcc_lo
	v_cmp_eq_u32_e32 vcc_lo, 0, v0
	s_delay_alu instid0(VALU_DEP_2)
	v_lshlrev_b32_e32 v4, 2, v4
	ds_bpermute_b32 v1, v4, v1
	s_and_saveexec_b32 s0, vcc_lo
	s_cbranch_execz .LBB383_75
; %bb.74:
	v_mov_b32_e32 v3, 0
	v_mov_b32_e32 v17, 2
	s_waitcnt lgkmcnt(1)
	global_store_b64 v3, v[16:17], s[20:21] offset:256
.LBB383_75:
	s_or_b32 exec_lo, exec_lo, s0
	v_cmp_eq_u32_e64 s0, 0, v50
	s_waitcnt lgkmcnt(0)
	s_waitcnt_vscnt null, 0x0
	s_barrier
	buffer_gl0_inv
	v_mov_b32_e32 v17, 0
	v_cndmask_b32_e64 v1, v1, v2, s0
	s_delay_alu instid0(VALU_DEP_1) | instskip(NEXT) | instid1(VALU_DEP_1)
	v_cndmask_b32_e64 v1, v1, 0, vcc_lo
	v_add_nc_u32_e32 v2, v1, v41
	s_delay_alu instid0(VALU_DEP_1) | instskip(NEXT) | instid1(VALU_DEP_1)
	v_add_nc_u32_e32 v3, v2, v42
	v_add_nc_u32_e32 v4, v3, v43
	s_delay_alu instid0(VALU_DEP_1) | instskip(NEXT) | instid1(VALU_DEP_1)
	v_add_nc_u32_e32 v5, v4, v40
	;; [unrolled: 3-line block ×5, first 2 shown]
	v_add_nc_u32_e32 v12, v11, v49
	s_delay_alu instid0(VALU_DEP_1)
	v_add_nc_u32_e32 v13, v12, v36
.LBB383_76:
	v_lshrrev_b32_e32 v44, 8, v39
	v_lshrrev_b32_e32 v43, 16, v39
	s_waitcnt lgkmcnt(0)
	v_sub_nc_u32_e32 v1, v1, v17
	v_and_b32_e32 v39, 1, v39
	v_sub_nc_u32_e32 v3, v3, v17
	v_add_nc_u32_e32 v33, v16, v33
	v_sub_nc_u32_e32 v2, v2, v17
	v_sub_nc_u32_e32 v4, v4, v17
	v_cmp_eq_u32_e32 vcc_lo, 1, v39
	v_and_b32_e32 v39, 1, v43
	v_sub_nc_u32_e32 v45, v33, v1
	v_and_b32_e32 v44, 1, v44
	v_sub_nc_u32_e32 v43, v33, v2
	v_lshrrev_b32_e32 v42, 8, v37
	v_lshrrev_b32_e32 v41, 16, v37
	v_cndmask_b32_e32 v1, v45, v1, vcc_lo
	v_sub_nc_u32_e32 v45, v33, v3
	v_add_nc_u32_e32 v43, 1, v43
	v_cmp_eq_u32_e32 vcc_lo, 1, v44
	v_and_b32_e32 v40, 1, v40
	v_lshlrev_b32_e32 v1, 2, v1
	v_add_nc_u32_e32 v45, 2, v45
	v_lshrrev_b32_e32 v15, 8, v35
	v_lshrrev_b32_e32 v14, 16, v35
	ds_store_b32 v1, v28
	v_cndmask_b32_e32 v1, v43, v2, vcc_lo
	v_cmp_eq_u32_e32 vcc_lo, 1, v39
	v_or_b32_e32 v28, 0x500, v0
	s_delay_alu instid0(VALU_DEP_3)
	v_dual_cndmask_b32 v2, v45, v3 :: v_dual_lshlrev_b32 v1, 2, v1
	v_sub_nc_u32_e32 v46, v33, v4
	v_cmp_eq_u32_e32 vcc_lo, 1, v40
	ds_store_b32 v1, v29
	v_lshlrev_b32_e32 v2, 2, v2
	v_add_nc_u32_e32 v46, 3, v46
	v_or_b32_e32 v29, 0x400, v0
	s_delay_alu instid0(VALU_DEP_2) | instskip(SKIP_2) | instid1(VALU_DEP_3)
	v_cndmask_b32_e32 v3, v46, v4, vcc_lo
	v_sub_nc_u32_e32 v4, v5, v17
	v_sub_nc_u32_e32 v5, v6, v17
	v_lshlrev_b32_e32 v3, 2, v3
	s_delay_alu instid0(VALU_DEP_3) | instskip(NEXT) | instid1(VALU_DEP_3)
	v_sub_nc_u32_e32 v1, v33, v4
	v_sub_nc_u32_e32 v6, v33, v5
	ds_store_b32 v2, v26
	ds_store_b32 v3, v27
	v_and_b32_e32 v2, 1, v37
	v_add_nc_u32_e32 v1, 4, v1
	v_add_nc_u32_e32 v3, 5, v6
	v_sub_nc_u32_e32 v6, v7, v17
	v_and_b32_e32 v7, 1, v42
	v_cmp_eq_u32_e32 vcc_lo, 1, v2
	v_sub_nc_u32_e32 v2, v8, v17
	v_and_b32_e32 v8, 1, v38
	v_or_b32_e32 v27, 0x600, v0
	v_or_b32_e32 v26, 0x700, v0
	v_cndmask_b32_e32 v1, v1, v4, vcc_lo
	v_sub_nc_u32_e32 v4, v33, v6
	v_cmp_eq_u32_e32 vcc_lo, 1, v7
	v_and_b32_e32 v7, 1, v41
	s_delay_alu instid0(VALU_DEP_4) | instskip(NEXT) | instid1(VALU_DEP_4)
	v_lshlrev_b32_e32 v1, 2, v1
	v_dual_cndmask_b32 v3, v3, v5 :: v_dual_add_nc_u32 v4, 6, v4
	v_sub_nc_u32_e32 v5, v33, v2
	s_delay_alu instid0(VALU_DEP_4) | instskip(SKIP_1) | instid1(VALU_DEP_4)
	v_cmp_eq_u32_e32 vcc_lo, 1, v7
	v_sub_nc_u32_e32 v7, v13, v17
	v_lshlrev_b32_e32 v3, 2, v3
	s_delay_alu instid0(VALU_DEP_4)
	v_dual_cndmask_b32 v4, v4, v6 :: v_dual_add_nc_u32 v5, 7, v5
	v_cmp_eq_u32_e32 vcc_lo, 1, v8
	v_sub_nc_u32_e32 v6, v9, v17
	ds_store_b32 v1, v24
	ds_store_b32 v3, v25
	v_or_b32_e32 v25, 0x800, v0
	v_dual_cndmask_b32 v2, v5, v2 :: v_dual_lshlrev_b32 v3, 2, v4
	v_and_b32_e32 v5, 1, v35
	v_sub_nc_u32_e32 v1, v33, v6
	v_sub_nc_u32_e32 v4, v10, v17
	v_and_b32_e32 v10, 1, v36
	v_or_b32_e32 v24, 0x900, v0
	v_cmp_eq_u32_e32 vcc_lo, 1, v5
	v_sub_nc_u32_e32 v5, v12, v17
	v_add_nc_u32_e32 v1, 8, v1
	s_delay_alu instid0(VALU_DEP_2) | instskip(NEXT) | instid1(VALU_DEP_2)
	v_sub_nc_u32_e32 v9, v33, v5
	v_dual_cndmask_b32 v1, v1, v6 :: v_dual_and_b32 v6, 1, v15
	v_add_co_u32 v15, s0, s18, v17
	s_delay_alu instid0(VALU_DEP_3)
	v_add_nc_u32_e32 v9, 11, v9
	v_lshlrev_b32_e32 v2, 2, v2
	ds_store_b32 v3, v22
	ds_store_b32 v2, v23
	v_sub_nc_u32_e32 v3, v11, v17
	v_sub_nc_u32_e32 v2, v33, v4
	v_cmp_eq_u32_e32 vcc_lo, 1, v6
	v_and_b32_e32 v11, 1, v34
	v_lshlrev_b32_e32 v1, 2, v1
	v_sub_nc_u32_e32 v8, v33, v3
	v_add_nc_u32_e32 v2, 9, v2
	v_add_co_ci_u32_e64 v17, null, s19, 0, s0
	s_add_u32 s0, s16, s23
	s_delay_alu instid0(VALU_DEP_3)
	v_add_nc_u32_e32 v6, 10, v8
	v_and_b32_e32 v8, 1, v14
	v_cndmask_b32_e32 v2, v2, v4, vcc_lo
	v_sub_nc_u32_e32 v4, v33, v7
	s_addc_u32 s1, s17, 0
	s_sub_u32 s0, s12, s0
	v_cmp_eq_u32_e32 vcc_lo, 1, v8
	v_lshlrev_b32_e32 v2, 2, v2
	v_add_nc_u32_e32 v4, 12, v4
	s_subb_u32 s1, s13, s1
	v_add_co_u32 v13, s0, s0, v16
	v_cndmask_b32_e32 v3, v6, v3, vcc_lo
	v_cmp_eq_u32_e32 vcc_lo, 1, v10
	v_add_co_ci_u32_e64 v14, null, s1, 0, s0
	v_or_b32_e32 v34, 0x100, v0
	s_delay_alu instid0(VALU_DEP_4)
	v_lshlrev_b32_e32 v3, 2, v3
	v_cndmask_b32_e32 v5, v9, v5, vcc_lo
	v_cmp_eq_u32_e32 vcc_lo, 1, v11
	v_or_b32_e32 v33, 0x200, v0
	v_or_b32_e32 v23, 0xa00, v0
	v_or_b32_e32 v22, 0xb00, v0
	v_dual_cndmask_b32 v4, v4, v7 :: v_dual_lshlrev_b32 v5, 2, v5
	v_cmp_ne_u32_e32 vcc_lo, 1, v31
	s_delay_alu instid0(VALU_DEP_2)
	v_lshlrev_b32_e32 v4, 2, v4
	ds_store_b32 v1, v20
	ds_store_b32 v2, v21
	ds_store_b32 v3, v18
	ds_store_b32 v5, v19
	ds_store_b32 v4, v32
	s_waitcnt lgkmcnt(0)
	s_barrier
	buffer_gl0_inv
	ds_load_2addr_stride64_b32 v[11:12], v30 offset1:4
	ds_load_2addr_stride64_b32 v[9:10], v30 offset0:8 offset1:12
	ds_load_2addr_stride64_b32 v[7:8], v30 offset0:16 offset1:20
	ds_load_2addr_stride64_b32 v[5:6], v30 offset0:24 offset1:28
	ds_load_2addr_stride64_b32 v[3:4], v30 offset0:32 offset1:36
	ds_load_2addr_stride64_b32 v[1:2], v30 offset0:40 offset1:44
	ds_load_b32 v18, v30 offset:12288
	v_add_co_u32 v20, s0, v13, v15
	v_or_b32_e32 v32, 0x300, v0
	v_or_b32_e32 v19, 0xc00, v0
	v_add_co_ci_u32_e64 v21, s0, v14, v17, s0
	s_mov_b32 s0, 0
	s_cbranch_vccnz .LBB383_130
; %bb.77:
	s_mov_b32 s0, exec_lo
                                        ; implicit-def: $vgpr13_vgpr14
	v_cmpx_ge_u32_e64 v0, v16
	s_xor_b32 s0, exec_lo, s0
; %bb.78:
	v_not_b32_e32 v13, v0
	s_delay_alu instid0(VALU_DEP_1) | instskip(SKIP_1) | instid1(VALU_DEP_2)
	v_ashrrev_i32_e32 v14, 31, v13
	v_add_co_u32 v13, vcc_lo, v20, v13
	v_add_co_ci_u32_e32 v14, vcc_lo, v21, v14, vcc_lo
; %bb.79:
	s_and_not1_saveexec_b32 s0, s0
; %bb.80:
	v_add_co_u32 v13, vcc_lo, v15, v0
	v_add_co_ci_u32_e32 v14, vcc_lo, 0, v17, vcc_lo
; %bb.81:
	s_or_b32 exec_lo, exec_lo, s0
	s_delay_alu instid0(VALU_DEP_1) | instskip(SKIP_1) | instid1(VALU_DEP_1)
	v_lshlrev_b64 v[13:14], 2, v[13:14]
	s_mov_b32 s0, exec_lo
	v_add_co_u32 v13, vcc_lo, s10, v13
	s_delay_alu instid0(VALU_DEP_2)
	v_add_co_ci_u32_e32 v14, vcc_lo, s11, v14, vcc_lo
	s_waitcnt lgkmcnt(6)
	global_store_b32 v[13:14], v11, off
                                        ; implicit-def: $vgpr13_vgpr14
	v_cmpx_ge_u32_e64 v34, v16
	s_xor_b32 s0, exec_lo, s0
; %bb.82:
	v_xor_b32_e32 v13, 0xfffffeff, v0
	s_delay_alu instid0(VALU_DEP_1) | instskip(SKIP_1) | instid1(VALU_DEP_2)
	v_ashrrev_i32_e32 v14, 31, v13
	v_add_co_u32 v13, vcc_lo, v20, v13
	v_add_co_ci_u32_e32 v14, vcc_lo, v21, v14, vcc_lo
; %bb.83:
	s_and_not1_saveexec_b32 s0, s0
; %bb.84:
	v_add_co_u32 v13, vcc_lo, v15, v34
	v_add_co_ci_u32_e32 v14, vcc_lo, 0, v17, vcc_lo
; %bb.85:
	s_or_b32 exec_lo, exec_lo, s0
	s_delay_alu instid0(VALU_DEP_1) | instskip(SKIP_1) | instid1(VALU_DEP_1)
	v_lshlrev_b64 v[13:14], 2, v[13:14]
	s_mov_b32 s0, exec_lo
	v_add_co_u32 v13, vcc_lo, s10, v13
	s_delay_alu instid0(VALU_DEP_2)
	v_add_co_ci_u32_e32 v14, vcc_lo, s11, v14, vcc_lo
	global_store_b32 v[13:14], v12, off
                                        ; implicit-def: $vgpr13_vgpr14
	v_cmpx_ge_u32_e64 v33, v16
	s_xor_b32 s0, exec_lo, s0
; %bb.86:
	v_xor_b32_e32 v13, 0xfffffdff, v0
	s_delay_alu instid0(VALU_DEP_1) | instskip(SKIP_1) | instid1(VALU_DEP_2)
	v_ashrrev_i32_e32 v14, 31, v13
	v_add_co_u32 v13, vcc_lo, v20, v13
	v_add_co_ci_u32_e32 v14, vcc_lo, v21, v14, vcc_lo
; %bb.87:
	s_and_not1_saveexec_b32 s0, s0
; %bb.88:
	v_add_co_u32 v13, vcc_lo, v15, v33
	v_add_co_ci_u32_e32 v14, vcc_lo, 0, v17, vcc_lo
; %bb.89:
	s_or_b32 exec_lo, exec_lo, s0
	s_delay_alu instid0(VALU_DEP_1) | instskip(SKIP_1) | instid1(VALU_DEP_1)
	v_lshlrev_b64 v[13:14], 2, v[13:14]
	s_mov_b32 s0, exec_lo
	v_add_co_u32 v13, vcc_lo, s10, v13
	s_delay_alu instid0(VALU_DEP_2)
	v_add_co_ci_u32_e32 v14, vcc_lo, s11, v14, vcc_lo
	s_waitcnt lgkmcnt(5)
	global_store_b32 v[13:14], v9, off
                                        ; implicit-def: $vgpr13_vgpr14
	v_cmpx_ge_u32_e64 v32, v16
	s_xor_b32 s0, exec_lo, s0
; %bb.90:
	v_xor_b32_e32 v13, 0xfffffcff, v0
	s_delay_alu instid0(VALU_DEP_1) | instskip(SKIP_1) | instid1(VALU_DEP_2)
	v_ashrrev_i32_e32 v14, 31, v13
	v_add_co_u32 v13, vcc_lo, v20, v13
	v_add_co_ci_u32_e32 v14, vcc_lo, v21, v14, vcc_lo
; %bb.91:
	s_and_not1_saveexec_b32 s0, s0
; %bb.92:
	v_add_co_u32 v13, vcc_lo, v15, v32
	v_add_co_ci_u32_e32 v14, vcc_lo, 0, v17, vcc_lo
; %bb.93:
	s_or_b32 exec_lo, exec_lo, s0
	s_delay_alu instid0(VALU_DEP_1) | instskip(SKIP_1) | instid1(VALU_DEP_1)
	v_lshlrev_b64 v[13:14], 2, v[13:14]
	s_mov_b32 s0, exec_lo
	v_add_co_u32 v13, vcc_lo, s10, v13
	s_delay_alu instid0(VALU_DEP_2)
	v_add_co_ci_u32_e32 v14, vcc_lo, s11, v14, vcc_lo
	global_store_b32 v[13:14], v10, off
                                        ; implicit-def: $vgpr13_vgpr14
	v_cmpx_ge_u32_e64 v29, v16
	s_xor_b32 s0, exec_lo, s0
; %bb.94:
	v_xor_b32_e32 v13, 0xfffffbff, v0
	;; [unrolled: 47-line block ×6, first 2 shown]
	s_delay_alu instid0(VALU_DEP_1) | instskip(SKIP_1) | instid1(VALU_DEP_2)
	v_ashrrev_i32_e32 v14, 31, v13
	v_add_co_u32 v13, vcc_lo, v20, v13
	v_add_co_ci_u32_e32 v14, vcc_lo, v21, v14, vcc_lo
; %bb.127:
	s_and_not1_saveexec_b32 s0, s0
; %bb.128:
	v_add_co_u32 v13, vcc_lo, v15, v19
	v_add_co_ci_u32_e32 v14, vcc_lo, 0, v17, vcc_lo
; %bb.129:
	s_or_b32 exec_lo, exec_lo, s0
	s_mov_b32 s0, -1
	s_branch .LBB383_210
.LBB383_130:
                                        ; implicit-def: $vgpr13_vgpr14
	s_cbranch_execz .LBB383_210
; %bb.131:
	s_mov_b32 s1, exec_lo
	v_cmpx_gt_u32_e64 s22, v0
	s_cbranch_execz .LBB383_167
; %bb.132:
	s_mov_b32 s2, exec_lo
                                        ; implicit-def: $vgpr13_vgpr14
	v_cmpx_ge_u32_e64 v0, v16
	s_xor_b32 s2, exec_lo, s2
; %bb.133:
	v_not_b32_e32 v13, v0
	s_delay_alu instid0(VALU_DEP_1) | instskip(SKIP_1) | instid1(VALU_DEP_2)
	v_ashrrev_i32_e32 v14, 31, v13
	v_add_co_u32 v13, vcc_lo, v20, v13
	v_add_co_ci_u32_e32 v14, vcc_lo, v21, v14, vcc_lo
; %bb.134:
	s_and_not1_saveexec_b32 s2, s2
; %bb.135:
	v_add_co_u32 v13, vcc_lo, v15, v0
	v_add_co_ci_u32_e32 v14, vcc_lo, 0, v17, vcc_lo
; %bb.136:
	s_or_b32 exec_lo, exec_lo, s2
	s_delay_alu instid0(VALU_DEP_1) | instskip(NEXT) | instid1(VALU_DEP_1)
	v_lshlrev_b64 v[13:14], 2, v[13:14]
	v_add_co_u32 v13, vcc_lo, s10, v13
	s_delay_alu instid0(VALU_DEP_2) | instskip(SKIP_3) | instid1(SALU_CYCLE_1)
	v_add_co_ci_u32_e32 v14, vcc_lo, s11, v14, vcc_lo
	s_waitcnt lgkmcnt(6)
	global_store_b32 v[13:14], v11, off
	s_or_b32 exec_lo, exec_lo, s1
	s_mov_b32 s1, exec_lo
	v_cmpx_gt_u32_e64 s22, v34
	s_cbranch_execnz .LBB383_168
.LBB383_137:
	s_or_b32 exec_lo, exec_lo, s1
	s_delay_alu instid0(SALU_CYCLE_1)
	s_mov_b32 s1, exec_lo
	v_cmpx_gt_u32_e64 s22, v33
	s_cbranch_execz .LBB383_173
.LBB383_138:
	s_mov_b32 s2, exec_lo
                                        ; implicit-def: $vgpr11_vgpr12
	v_cmpx_ge_u32_e64 v33, v16
	s_xor_b32 s2, exec_lo, s2
	s_cbranch_execz .LBB383_140
; %bb.139:
	s_waitcnt lgkmcnt(6)
	v_xor_b32_e32 v11, 0xfffffdff, v0
                                        ; implicit-def: $vgpr33
	s_delay_alu instid0(VALU_DEP_1) | instskip(SKIP_1) | instid1(VALU_DEP_2)
	v_ashrrev_i32_e32 v12, 31, v11
	v_add_co_u32 v11, vcc_lo, v20, v11
	v_add_co_ci_u32_e32 v12, vcc_lo, v21, v12, vcc_lo
.LBB383_140:
	s_and_not1_saveexec_b32 s2, s2
	s_cbranch_execz .LBB383_142
; %bb.141:
	s_waitcnt lgkmcnt(6)
	v_add_co_u32 v11, vcc_lo, v15, v33
	v_add_co_ci_u32_e32 v12, vcc_lo, 0, v17, vcc_lo
.LBB383_142:
	s_or_b32 exec_lo, exec_lo, s2
	s_waitcnt lgkmcnt(6)
	s_delay_alu instid0(VALU_DEP_1) | instskip(NEXT) | instid1(VALU_DEP_1)
	v_lshlrev_b64 v[11:12], 2, v[11:12]
	v_add_co_u32 v11, vcc_lo, s10, v11
	s_delay_alu instid0(VALU_DEP_2) | instskip(SKIP_3) | instid1(SALU_CYCLE_1)
	v_add_co_ci_u32_e32 v12, vcc_lo, s11, v12, vcc_lo
	s_waitcnt lgkmcnt(5)
	global_store_b32 v[11:12], v9, off
	s_or_b32 exec_lo, exec_lo, s1
	s_mov_b32 s1, exec_lo
	v_cmpx_gt_u32_e64 s22, v32
	s_cbranch_execnz .LBB383_174
.LBB383_143:
	s_or_b32 exec_lo, exec_lo, s1
	s_delay_alu instid0(SALU_CYCLE_1)
	s_mov_b32 s1, exec_lo
	v_cmpx_gt_u32_e64 s22, v29
	s_cbranch_execz .LBB383_179
.LBB383_144:
	s_mov_b32 s2, exec_lo
                                        ; implicit-def: $vgpr9_vgpr10
	v_cmpx_ge_u32_e64 v29, v16
	s_xor_b32 s2, exec_lo, s2
	s_cbranch_execz .LBB383_146
; %bb.145:
	s_waitcnt lgkmcnt(5)
	v_xor_b32_e32 v9, 0xfffffbff, v0
                                        ; implicit-def: $vgpr29
	s_delay_alu instid0(VALU_DEP_1) | instskip(SKIP_1) | instid1(VALU_DEP_2)
	v_ashrrev_i32_e32 v10, 31, v9
	v_add_co_u32 v9, vcc_lo, v20, v9
	v_add_co_ci_u32_e32 v10, vcc_lo, v21, v10, vcc_lo
.LBB383_146:
	s_and_not1_saveexec_b32 s2, s2
	s_cbranch_execz .LBB383_148
; %bb.147:
	s_waitcnt lgkmcnt(5)
	v_add_co_u32 v9, vcc_lo, v15, v29
	v_add_co_ci_u32_e32 v10, vcc_lo, 0, v17, vcc_lo
.LBB383_148:
	s_or_b32 exec_lo, exec_lo, s2
	s_waitcnt lgkmcnt(5)
	s_delay_alu instid0(VALU_DEP_1) | instskip(NEXT) | instid1(VALU_DEP_1)
	v_lshlrev_b64 v[9:10], 2, v[9:10]
	v_add_co_u32 v9, vcc_lo, s10, v9
	s_delay_alu instid0(VALU_DEP_2) | instskip(SKIP_3) | instid1(SALU_CYCLE_1)
	v_add_co_ci_u32_e32 v10, vcc_lo, s11, v10, vcc_lo
	s_waitcnt lgkmcnt(4)
	global_store_b32 v[9:10], v7, off
	s_or_b32 exec_lo, exec_lo, s1
	s_mov_b32 s1, exec_lo
	v_cmpx_gt_u32_e64 s22, v28
	s_cbranch_execnz .LBB383_180
.LBB383_149:
	s_or_b32 exec_lo, exec_lo, s1
	s_delay_alu instid0(SALU_CYCLE_1)
	s_mov_b32 s1, exec_lo
	v_cmpx_gt_u32_e64 s22, v27
	s_cbranch_execz .LBB383_185
.LBB383_150:
	s_mov_b32 s2, exec_lo
                                        ; implicit-def: $vgpr7_vgpr8
	v_cmpx_ge_u32_e64 v27, v16
	s_xor_b32 s2, exec_lo, s2
	s_cbranch_execz .LBB383_152
; %bb.151:
	s_waitcnt lgkmcnt(4)
	v_xor_b32_e32 v7, 0xfffff9ff, v0
                                        ; implicit-def: $vgpr27
	s_delay_alu instid0(VALU_DEP_1) | instskip(SKIP_1) | instid1(VALU_DEP_2)
	v_ashrrev_i32_e32 v8, 31, v7
	v_add_co_u32 v7, vcc_lo, v20, v7
	v_add_co_ci_u32_e32 v8, vcc_lo, v21, v8, vcc_lo
.LBB383_152:
	s_and_not1_saveexec_b32 s2, s2
	s_cbranch_execz .LBB383_154
; %bb.153:
	s_waitcnt lgkmcnt(4)
	v_add_co_u32 v7, vcc_lo, v15, v27
	v_add_co_ci_u32_e32 v8, vcc_lo, 0, v17, vcc_lo
.LBB383_154:
	s_or_b32 exec_lo, exec_lo, s2
	s_waitcnt lgkmcnt(4)
	s_delay_alu instid0(VALU_DEP_1) | instskip(NEXT) | instid1(VALU_DEP_1)
	v_lshlrev_b64 v[7:8], 2, v[7:8]
	v_add_co_u32 v7, vcc_lo, s10, v7
	s_delay_alu instid0(VALU_DEP_2) | instskip(SKIP_3) | instid1(SALU_CYCLE_1)
	v_add_co_ci_u32_e32 v8, vcc_lo, s11, v8, vcc_lo
	s_waitcnt lgkmcnt(3)
	global_store_b32 v[7:8], v5, off
	s_or_b32 exec_lo, exec_lo, s1
	s_mov_b32 s1, exec_lo
	v_cmpx_gt_u32_e64 s22, v26
	s_cbranch_execnz .LBB383_186
.LBB383_155:
	s_or_b32 exec_lo, exec_lo, s1
	s_delay_alu instid0(SALU_CYCLE_1)
	s_mov_b32 s1, exec_lo
	v_cmpx_gt_u32_e64 s22, v25
	s_cbranch_execz .LBB383_191
.LBB383_156:
	s_mov_b32 s2, exec_lo
                                        ; implicit-def: $vgpr5_vgpr6
	v_cmpx_ge_u32_e64 v25, v16
	s_xor_b32 s2, exec_lo, s2
	s_cbranch_execz .LBB383_158
; %bb.157:
	s_waitcnt lgkmcnt(3)
	v_xor_b32_e32 v5, 0xfffff7ff, v0
                                        ; implicit-def: $vgpr25
	s_delay_alu instid0(VALU_DEP_1) | instskip(SKIP_1) | instid1(VALU_DEP_2)
	v_ashrrev_i32_e32 v6, 31, v5
	v_add_co_u32 v5, vcc_lo, v20, v5
	v_add_co_ci_u32_e32 v6, vcc_lo, v21, v6, vcc_lo
.LBB383_158:
	s_and_not1_saveexec_b32 s2, s2
	s_cbranch_execz .LBB383_160
; %bb.159:
	s_waitcnt lgkmcnt(3)
	v_add_co_u32 v5, vcc_lo, v15, v25
	v_add_co_ci_u32_e32 v6, vcc_lo, 0, v17, vcc_lo
.LBB383_160:
	s_or_b32 exec_lo, exec_lo, s2
	s_waitcnt lgkmcnt(3)
	s_delay_alu instid0(VALU_DEP_1) | instskip(NEXT) | instid1(VALU_DEP_1)
	v_lshlrev_b64 v[5:6], 2, v[5:6]
	v_add_co_u32 v5, vcc_lo, s10, v5
	s_delay_alu instid0(VALU_DEP_2) | instskip(SKIP_3) | instid1(SALU_CYCLE_1)
	v_add_co_ci_u32_e32 v6, vcc_lo, s11, v6, vcc_lo
	s_waitcnt lgkmcnt(2)
	global_store_b32 v[5:6], v3, off
	s_or_b32 exec_lo, exec_lo, s1
	s_mov_b32 s1, exec_lo
	v_cmpx_gt_u32_e64 s22, v24
	s_cbranch_execnz .LBB383_192
.LBB383_161:
	s_or_b32 exec_lo, exec_lo, s1
	s_delay_alu instid0(SALU_CYCLE_1)
	s_mov_b32 s1, exec_lo
	v_cmpx_gt_u32_e64 s22, v23
	s_cbranch_execz .LBB383_197
.LBB383_162:
	s_mov_b32 s2, exec_lo
                                        ; implicit-def: $vgpr3_vgpr4
	v_cmpx_ge_u32_e64 v23, v16
	s_xor_b32 s2, exec_lo, s2
	s_cbranch_execz .LBB383_164
; %bb.163:
	s_waitcnt lgkmcnt(2)
	v_xor_b32_e32 v3, 0xfffff5ff, v0
                                        ; implicit-def: $vgpr23
	s_delay_alu instid0(VALU_DEP_1) | instskip(SKIP_1) | instid1(VALU_DEP_2)
	v_ashrrev_i32_e32 v4, 31, v3
	v_add_co_u32 v3, vcc_lo, v20, v3
	v_add_co_ci_u32_e32 v4, vcc_lo, v21, v4, vcc_lo
.LBB383_164:
	s_and_not1_saveexec_b32 s2, s2
	s_cbranch_execz .LBB383_166
; %bb.165:
	s_waitcnt lgkmcnt(2)
	v_add_co_u32 v3, vcc_lo, v15, v23
	v_add_co_ci_u32_e32 v4, vcc_lo, 0, v17, vcc_lo
.LBB383_166:
	s_or_b32 exec_lo, exec_lo, s2
	s_waitcnt lgkmcnt(2)
	s_delay_alu instid0(VALU_DEP_1) | instskip(NEXT) | instid1(VALU_DEP_1)
	v_lshlrev_b64 v[3:4], 2, v[3:4]
	v_add_co_u32 v3, vcc_lo, s10, v3
	s_delay_alu instid0(VALU_DEP_2) | instskip(SKIP_3) | instid1(SALU_CYCLE_1)
	v_add_co_ci_u32_e32 v4, vcc_lo, s11, v4, vcc_lo
	s_waitcnt lgkmcnt(1)
	global_store_b32 v[3:4], v1, off
	s_or_b32 exec_lo, exec_lo, s1
	s_mov_b32 s1, exec_lo
	v_cmpx_gt_u32_e64 s22, v22
	s_cbranch_execz .LBB383_203
	s_branch .LBB383_198
.LBB383_167:
	s_or_b32 exec_lo, exec_lo, s1
	s_delay_alu instid0(SALU_CYCLE_1)
	s_mov_b32 s1, exec_lo
	v_cmpx_gt_u32_e64 s22, v34
	s_cbranch_execz .LBB383_137
.LBB383_168:
	s_mov_b32 s2, exec_lo
                                        ; implicit-def: $vgpr13_vgpr14
	v_cmpx_ge_u32_e64 v34, v16
	s_xor_b32 s2, exec_lo, s2
	s_cbranch_execz .LBB383_170
; %bb.169:
	s_waitcnt lgkmcnt(6)
	v_xor_b32_e32 v11, 0xfffffeff, v0
                                        ; implicit-def: $vgpr34
	s_delay_alu instid0(VALU_DEP_1) | instskip(SKIP_1) | instid1(VALU_DEP_2)
	v_ashrrev_i32_e32 v14, 31, v11
	v_add_co_u32 v13, vcc_lo, v20, v11
	v_add_co_ci_u32_e32 v14, vcc_lo, v21, v14, vcc_lo
.LBB383_170:
	s_and_not1_saveexec_b32 s2, s2
; %bb.171:
	v_add_co_u32 v13, vcc_lo, v15, v34
	v_add_co_ci_u32_e32 v14, vcc_lo, 0, v17, vcc_lo
; %bb.172:
	s_or_b32 exec_lo, exec_lo, s2
	s_delay_alu instid0(VALU_DEP_1) | instskip(NEXT) | instid1(VALU_DEP_1)
	v_lshlrev_b64 v[13:14], 2, v[13:14]
	v_add_co_u32 v13, vcc_lo, s10, v13
	s_delay_alu instid0(VALU_DEP_2) | instskip(SKIP_3) | instid1(SALU_CYCLE_1)
	v_add_co_ci_u32_e32 v14, vcc_lo, s11, v14, vcc_lo
	s_waitcnt lgkmcnt(6)
	global_store_b32 v[13:14], v12, off
	s_or_b32 exec_lo, exec_lo, s1
	s_mov_b32 s1, exec_lo
	v_cmpx_gt_u32_e64 s22, v33
	s_cbranch_execnz .LBB383_138
.LBB383_173:
	s_or_b32 exec_lo, exec_lo, s1
	s_delay_alu instid0(SALU_CYCLE_1)
	s_mov_b32 s1, exec_lo
	v_cmpx_gt_u32_e64 s22, v32
	s_cbranch_execz .LBB383_143
.LBB383_174:
	s_mov_b32 s2, exec_lo
                                        ; implicit-def: $vgpr11_vgpr12
	v_cmpx_ge_u32_e64 v32, v16
	s_xor_b32 s2, exec_lo, s2
	s_cbranch_execz .LBB383_176
; %bb.175:
	s_waitcnt lgkmcnt(5)
	v_xor_b32_e32 v9, 0xfffffcff, v0
                                        ; implicit-def: $vgpr32
	s_delay_alu instid0(VALU_DEP_1) | instskip(SKIP_1) | instid1(VALU_DEP_2)
	v_ashrrev_i32_e32 v12, 31, v9
	v_add_co_u32 v11, vcc_lo, v20, v9
	v_add_co_ci_u32_e32 v12, vcc_lo, v21, v12, vcc_lo
.LBB383_176:
	s_and_not1_saveexec_b32 s2, s2
	s_cbranch_execz .LBB383_178
; %bb.177:
	s_waitcnt lgkmcnt(6)
	v_add_co_u32 v11, vcc_lo, v15, v32
	v_add_co_ci_u32_e32 v12, vcc_lo, 0, v17, vcc_lo
.LBB383_178:
	s_or_b32 exec_lo, exec_lo, s2
	s_waitcnt lgkmcnt(6)
	s_delay_alu instid0(VALU_DEP_1) | instskip(NEXT) | instid1(VALU_DEP_1)
	v_lshlrev_b64 v[11:12], 2, v[11:12]
	v_add_co_u32 v11, vcc_lo, s10, v11
	s_delay_alu instid0(VALU_DEP_2) | instskip(SKIP_3) | instid1(SALU_CYCLE_1)
	v_add_co_ci_u32_e32 v12, vcc_lo, s11, v12, vcc_lo
	s_waitcnt lgkmcnt(5)
	global_store_b32 v[11:12], v10, off
	s_or_b32 exec_lo, exec_lo, s1
	s_mov_b32 s1, exec_lo
	v_cmpx_gt_u32_e64 s22, v29
	s_cbranch_execnz .LBB383_144
.LBB383_179:
	s_or_b32 exec_lo, exec_lo, s1
	s_delay_alu instid0(SALU_CYCLE_1)
	s_mov_b32 s1, exec_lo
	v_cmpx_gt_u32_e64 s22, v28
	s_cbranch_execz .LBB383_149
.LBB383_180:
	s_mov_b32 s2, exec_lo
                                        ; implicit-def: $vgpr9_vgpr10
	v_cmpx_ge_u32_e64 v28, v16
	s_xor_b32 s2, exec_lo, s2
	s_cbranch_execz .LBB383_182
; %bb.181:
	s_waitcnt lgkmcnt(4)
	v_xor_b32_e32 v7, 0xfffffaff, v0
                                        ; implicit-def: $vgpr28
	s_delay_alu instid0(VALU_DEP_1) | instskip(SKIP_1) | instid1(VALU_DEP_2)
	v_ashrrev_i32_e32 v10, 31, v7
	v_add_co_u32 v9, vcc_lo, v20, v7
	v_add_co_ci_u32_e32 v10, vcc_lo, v21, v10, vcc_lo
.LBB383_182:
	s_and_not1_saveexec_b32 s2, s2
	s_cbranch_execz .LBB383_184
; %bb.183:
	s_waitcnt lgkmcnt(5)
	v_add_co_u32 v9, vcc_lo, v15, v28
	v_add_co_ci_u32_e32 v10, vcc_lo, 0, v17, vcc_lo
.LBB383_184:
	s_or_b32 exec_lo, exec_lo, s2
	s_waitcnt lgkmcnt(5)
	s_delay_alu instid0(VALU_DEP_1) | instskip(NEXT) | instid1(VALU_DEP_1)
	v_lshlrev_b64 v[9:10], 2, v[9:10]
	v_add_co_u32 v9, vcc_lo, s10, v9
	s_delay_alu instid0(VALU_DEP_2) | instskip(SKIP_3) | instid1(SALU_CYCLE_1)
	v_add_co_ci_u32_e32 v10, vcc_lo, s11, v10, vcc_lo
	s_waitcnt lgkmcnt(4)
	global_store_b32 v[9:10], v8, off
	s_or_b32 exec_lo, exec_lo, s1
	s_mov_b32 s1, exec_lo
	v_cmpx_gt_u32_e64 s22, v27
	s_cbranch_execnz .LBB383_150
.LBB383_185:
	s_or_b32 exec_lo, exec_lo, s1
	s_delay_alu instid0(SALU_CYCLE_1)
	s_mov_b32 s1, exec_lo
	v_cmpx_gt_u32_e64 s22, v26
	s_cbranch_execz .LBB383_155
.LBB383_186:
	s_mov_b32 s2, exec_lo
                                        ; implicit-def: $vgpr7_vgpr8
	v_cmpx_ge_u32_e64 v26, v16
	s_xor_b32 s2, exec_lo, s2
	s_cbranch_execz .LBB383_188
; %bb.187:
	s_waitcnt lgkmcnt(3)
	v_xor_b32_e32 v5, 0xfffff8ff, v0
                                        ; implicit-def: $vgpr26
	s_delay_alu instid0(VALU_DEP_1) | instskip(SKIP_1) | instid1(VALU_DEP_2)
	v_ashrrev_i32_e32 v8, 31, v5
	v_add_co_u32 v7, vcc_lo, v20, v5
	v_add_co_ci_u32_e32 v8, vcc_lo, v21, v8, vcc_lo
.LBB383_188:
	s_and_not1_saveexec_b32 s2, s2
	s_cbranch_execz .LBB383_190
; %bb.189:
	s_waitcnt lgkmcnt(4)
	v_add_co_u32 v7, vcc_lo, v15, v26
	v_add_co_ci_u32_e32 v8, vcc_lo, 0, v17, vcc_lo
.LBB383_190:
	s_or_b32 exec_lo, exec_lo, s2
	s_waitcnt lgkmcnt(4)
	s_delay_alu instid0(VALU_DEP_1) | instskip(NEXT) | instid1(VALU_DEP_1)
	v_lshlrev_b64 v[7:8], 2, v[7:8]
	v_add_co_u32 v7, vcc_lo, s10, v7
	s_delay_alu instid0(VALU_DEP_2) | instskip(SKIP_3) | instid1(SALU_CYCLE_1)
	v_add_co_ci_u32_e32 v8, vcc_lo, s11, v8, vcc_lo
	s_waitcnt lgkmcnt(3)
	global_store_b32 v[7:8], v6, off
	s_or_b32 exec_lo, exec_lo, s1
	s_mov_b32 s1, exec_lo
	v_cmpx_gt_u32_e64 s22, v25
	s_cbranch_execnz .LBB383_156
.LBB383_191:
	s_or_b32 exec_lo, exec_lo, s1
	s_delay_alu instid0(SALU_CYCLE_1)
	s_mov_b32 s1, exec_lo
	v_cmpx_gt_u32_e64 s22, v24
	s_cbranch_execz .LBB383_161
.LBB383_192:
	s_mov_b32 s2, exec_lo
                                        ; implicit-def: $vgpr5_vgpr6
	v_cmpx_ge_u32_e64 v24, v16
	s_xor_b32 s2, exec_lo, s2
	s_cbranch_execz .LBB383_194
; %bb.193:
	s_waitcnt lgkmcnt(2)
	v_xor_b32_e32 v3, 0xfffff6ff, v0
                                        ; implicit-def: $vgpr24
	s_delay_alu instid0(VALU_DEP_1) | instskip(SKIP_1) | instid1(VALU_DEP_2)
	v_ashrrev_i32_e32 v6, 31, v3
	v_add_co_u32 v5, vcc_lo, v20, v3
	v_add_co_ci_u32_e32 v6, vcc_lo, v21, v6, vcc_lo
.LBB383_194:
	s_and_not1_saveexec_b32 s2, s2
	s_cbranch_execz .LBB383_196
; %bb.195:
	s_waitcnt lgkmcnt(3)
	v_add_co_u32 v5, vcc_lo, v15, v24
	v_add_co_ci_u32_e32 v6, vcc_lo, 0, v17, vcc_lo
.LBB383_196:
	s_or_b32 exec_lo, exec_lo, s2
	s_waitcnt lgkmcnt(3)
	s_delay_alu instid0(VALU_DEP_1) | instskip(NEXT) | instid1(VALU_DEP_1)
	v_lshlrev_b64 v[5:6], 2, v[5:6]
	v_add_co_u32 v5, vcc_lo, s10, v5
	s_delay_alu instid0(VALU_DEP_2) | instskip(SKIP_3) | instid1(SALU_CYCLE_1)
	v_add_co_ci_u32_e32 v6, vcc_lo, s11, v6, vcc_lo
	s_waitcnt lgkmcnt(2)
	global_store_b32 v[5:6], v4, off
	s_or_b32 exec_lo, exec_lo, s1
	s_mov_b32 s1, exec_lo
	v_cmpx_gt_u32_e64 s22, v23
	s_cbranch_execnz .LBB383_162
.LBB383_197:
	s_or_b32 exec_lo, exec_lo, s1
	s_delay_alu instid0(SALU_CYCLE_1)
	s_mov_b32 s1, exec_lo
	v_cmpx_gt_u32_e64 s22, v22
	s_cbranch_execz .LBB383_203
.LBB383_198:
	s_mov_b32 s2, exec_lo
                                        ; implicit-def: $vgpr3_vgpr4
	v_cmpx_ge_u32_e64 v22, v16
	s_xor_b32 s2, exec_lo, s2
	s_cbranch_execz .LBB383_200
; %bb.199:
	s_waitcnt lgkmcnt(1)
	v_xor_b32_e32 v1, 0xfffff4ff, v0
                                        ; implicit-def: $vgpr22
	s_delay_alu instid0(VALU_DEP_1) | instskip(SKIP_1) | instid1(VALU_DEP_2)
	v_ashrrev_i32_e32 v4, 31, v1
	v_add_co_u32 v3, vcc_lo, v20, v1
	v_add_co_ci_u32_e32 v4, vcc_lo, v21, v4, vcc_lo
.LBB383_200:
	s_and_not1_saveexec_b32 s2, s2
	s_cbranch_execz .LBB383_202
; %bb.201:
	s_waitcnt lgkmcnt(2)
	v_add_co_u32 v3, vcc_lo, v15, v22
	v_add_co_ci_u32_e32 v4, vcc_lo, 0, v17, vcc_lo
.LBB383_202:
	s_or_b32 exec_lo, exec_lo, s2
	s_waitcnt lgkmcnt(2)
	s_delay_alu instid0(VALU_DEP_1) | instskip(NEXT) | instid1(VALU_DEP_1)
	v_lshlrev_b64 v[3:4], 2, v[3:4]
	v_add_co_u32 v3, vcc_lo, s10, v3
	s_delay_alu instid0(VALU_DEP_2)
	v_add_co_ci_u32_e32 v4, vcc_lo, s11, v4, vcc_lo
	s_waitcnt lgkmcnt(1)
	global_store_b32 v[3:4], v2, off
.LBB383_203:
	s_or_b32 exec_lo, exec_lo, s1
	s_delay_alu instid0(SALU_CYCLE_1)
	s_mov_b32 s1, exec_lo
                                        ; implicit-def: $vgpr13_vgpr14
	v_cmpx_gt_u32_e64 s22, v19
	s_cbranch_execz .LBB383_209
; %bb.204:
	s_mov_b32 s2, exec_lo
                                        ; implicit-def: $vgpr13_vgpr14
	v_cmpx_ge_u32_e64 v19, v16
	s_xor_b32 s2, exec_lo, s2
	s_cbranch_execz .LBB383_206
; %bb.205:
	s_waitcnt lgkmcnt(1)
	v_xor_b32_e32 v1, 0xfffff3ff, v0
                                        ; implicit-def: $vgpr19
	s_delay_alu instid0(VALU_DEP_1) | instskip(SKIP_1) | instid1(VALU_DEP_2)
	v_ashrrev_i32_e32 v2, 31, v1
	v_add_co_u32 v13, vcc_lo, v20, v1
	v_add_co_ci_u32_e32 v14, vcc_lo, v21, v2, vcc_lo
.LBB383_206:
	s_and_not1_saveexec_b32 s2, s2
; %bb.207:
	v_add_co_u32 v13, vcc_lo, v15, v19
	v_add_co_ci_u32_e32 v14, vcc_lo, 0, v17, vcc_lo
; %bb.208:
	s_or_b32 exec_lo, exec_lo, s2
	s_delay_alu instid0(SALU_CYCLE_1)
	s_or_b32 s0, s0, exec_lo
.LBB383_209:
	s_or_b32 exec_lo, exec_lo, s1
.LBB383_210:
	s_and_saveexec_b32 s1, s0
	s_cbranch_execz .LBB383_212
; %bb.211:
	s_waitcnt lgkmcnt(1)
	v_lshlrev_b64 v[1:2], 2, v[13:14]
	s_delay_alu instid0(VALU_DEP_1) | instskip(NEXT) | instid1(VALU_DEP_2)
	v_add_co_u32 v1, vcc_lo, s10, v1
	v_add_co_ci_u32_e32 v2, vcc_lo, s11, v2, vcc_lo
	s_waitcnt lgkmcnt(0)
	global_store_b32 v[1:2], v18, off
.LBB383_212:
	s_or_b32 exec_lo, exec_lo, s1
	v_cmp_eq_u32_e32 vcc_lo, 0, v0
	s_and_b32 s0, vcc_lo, s14
	s_delay_alu instid0(SALU_CYCLE_1)
	s_and_saveexec_b32 s1, s0
	s_cbranch_execz .LBB383_214
; %bb.213:
	v_add_co_u32 v0, vcc_lo, v15, v16
	s_waitcnt lgkmcnt(1)
	v_mov_b32_e32 v2, 0
	v_add_co_ci_u32_e32 v1, vcc_lo, 0, v17, vcc_lo
	global_store_b64 v2, v[0:1], s[8:9]
.LBB383_214:
	s_nop 0
	s_sendmsg sendmsg(MSG_DEALLOC_VGPRS)
	s_endpgm
	.section	.rodata,"a",@progbits
	.p2align	6, 0x0
	.amdhsa_kernel _ZN7rocprim17ROCPRIM_400000_NS6detail17trampoline_kernelINS0_13select_configILj256ELj13ELNS0_17block_load_methodE3ELS4_3ELS4_3ELNS0_20block_scan_algorithmE0ELj4294967295EEENS1_25partition_config_selectorILNS1_17partition_subalgoE3EjNS0_10empty_typeEbEEZZNS1_14partition_implILS8_3ELb0ES6_jNS0_17counting_iteratorIjlEEPS9_SE_NS0_5tupleIJPjSE_EEENSF_IJSE_SE_EEES9_SG_JZNS1_25segmented_radix_sort_implINS0_14default_configELb0EPKaPaPKlPlN2at6native12_GLOBAL__N_18offset_tEEE10hipError_tPvRmT1_PNSt15iterator_traitsISY_E10value_typeET2_T3_PNSZ_IS14_E10value_typeET4_jRbjT5_S1A_jjP12ihipStream_tbEUljE_EEESV_SW_SX_S14_S18_S1A_T6_T7_T9_mT8_S1C_bDpT10_ENKUlT_T0_E_clISt17integral_constantIbLb1EES1O_IbLb0EEEEDaS1K_S1L_EUlS1K_E_NS1_11comp_targetILNS1_3genE9ELNS1_11target_archE1100ELNS1_3gpuE3ELNS1_3repE0EEENS1_30default_config_static_selectorELNS0_4arch9wavefront6targetE0EEEvSY_
		.amdhsa_group_segment_fixed_size 13324
		.amdhsa_private_segment_fixed_size 0
		.amdhsa_kernarg_size 144
		.amdhsa_user_sgpr_count 15
		.amdhsa_user_sgpr_dispatch_ptr 0
		.amdhsa_user_sgpr_queue_ptr 0
		.amdhsa_user_sgpr_kernarg_segment_ptr 1
		.amdhsa_user_sgpr_dispatch_id 0
		.amdhsa_user_sgpr_private_segment_size 0
		.amdhsa_wavefront_size32 1
		.amdhsa_uses_dynamic_stack 0
		.amdhsa_enable_private_segment 0
		.amdhsa_system_sgpr_workgroup_id_x 1
		.amdhsa_system_sgpr_workgroup_id_y 0
		.amdhsa_system_sgpr_workgroup_id_z 0
		.amdhsa_system_sgpr_workgroup_info 0
		.amdhsa_system_vgpr_workitem_id 0
		.amdhsa_next_free_vgpr 57
		.amdhsa_next_free_sgpr 28
		.amdhsa_reserve_vcc 1
		.amdhsa_float_round_mode_32 0
		.amdhsa_float_round_mode_16_64 0
		.amdhsa_float_denorm_mode_32 3
		.amdhsa_float_denorm_mode_16_64 3
		.amdhsa_dx10_clamp 1
		.amdhsa_ieee_mode 1
		.amdhsa_fp16_overflow 0
		.amdhsa_workgroup_processor_mode 1
		.amdhsa_memory_ordered 1
		.amdhsa_forward_progress 0
		.amdhsa_shared_vgpr_count 0
		.amdhsa_exception_fp_ieee_invalid_op 0
		.amdhsa_exception_fp_denorm_src 0
		.amdhsa_exception_fp_ieee_div_zero 0
		.amdhsa_exception_fp_ieee_overflow 0
		.amdhsa_exception_fp_ieee_underflow 0
		.amdhsa_exception_fp_ieee_inexact 0
		.amdhsa_exception_int_div_zero 0
	.end_amdhsa_kernel
	.section	.text._ZN7rocprim17ROCPRIM_400000_NS6detail17trampoline_kernelINS0_13select_configILj256ELj13ELNS0_17block_load_methodE3ELS4_3ELS4_3ELNS0_20block_scan_algorithmE0ELj4294967295EEENS1_25partition_config_selectorILNS1_17partition_subalgoE3EjNS0_10empty_typeEbEEZZNS1_14partition_implILS8_3ELb0ES6_jNS0_17counting_iteratorIjlEEPS9_SE_NS0_5tupleIJPjSE_EEENSF_IJSE_SE_EEES9_SG_JZNS1_25segmented_radix_sort_implINS0_14default_configELb0EPKaPaPKlPlN2at6native12_GLOBAL__N_18offset_tEEE10hipError_tPvRmT1_PNSt15iterator_traitsISY_E10value_typeET2_T3_PNSZ_IS14_E10value_typeET4_jRbjT5_S1A_jjP12ihipStream_tbEUljE_EEESV_SW_SX_S14_S18_S1A_T6_T7_T9_mT8_S1C_bDpT10_ENKUlT_T0_E_clISt17integral_constantIbLb1EES1O_IbLb0EEEEDaS1K_S1L_EUlS1K_E_NS1_11comp_targetILNS1_3genE9ELNS1_11target_archE1100ELNS1_3gpuE3ELNS1_3repE0EEENS1_30default_config_static_selectorELNS0_4arch9wavefront6targetE0EEEvSY_,"axG",@progbits,_ZN7rocprim17ROCPRIM_400000_NS6detail17trampoline_kernelINS0_13select_configILj256ELj13ELNS0_17block_load_methodE3ELS4_3ELS4_3ELNS0_20block_scan_algorithmE0ELj4294967295EEENS1_25partition_config_selectorILNS1_17partition_subalgoE3EjNS0_10empty_typeEbEEZZNS1_14partition_implILS8_3ELb0ES6_jNS0_17counting_iteratorIjlEEPS9_SE_NS0_5tupleIJPjSE_EEENSF_IJSE_SE_EEES9_SG_JZNS1_25segmented_radix_sort_implINS0_14default_configELb0EPKaPaPKlPlN2at6native12_GLOBAL__N_18offset_tEEE10hipError_tPvRmT1_PNSt15iterator_traitsISY_E10value_typeET2_T3_PNSZ_IS14_E10value_typeET4_jRbjT5_S1A_jjP12ihipStream_tbEUljE_EEESV_SW_SX_S14_S18_S1A_T6_T7_T9_mT8_S1C_bDpT10_ENKUlT_T0_E_clISt17integral_constantIbLb1EES1O_IbLb0EEEEDaS1K_S1L_EUlS1K_E_NS1_11comp_targetILNS1_3genE9ELNS1_11target_archE1100ELNS1_3gpuE3ELNS1_3repE0EEENS1_30default_config_static_selectorELNS0_4arch9wavefront6targetE0EEEvSY_,comdat
.Lfunc_end383:
	.size	_ZN7rocprim17ROCPRIM_400000_NS6detail17trampoline_kernelINS0_13select_configILj256ELj13ELNS0_17block_load_methodE3ELS4_3ELS4_3ELNS0_20block_scan_algorithmE0ELj4294967295EEENS1_25partition_config_selectorILNS1_17partition_subalgoE3EjNS0_10empty_typeEbEEZZNS1_14partition_implILS8_3ELb0ES6_jNS0_17counting_iteratorIjlEEPS9_SE_NS0_5tupleIJPjSE_EEENSF_IJSE_SE_EEES9_SG_JZNS1_25segmented_radix_sort_implINS0_14default_configELb0EPKaPaPKlPlN2at6native12_GLOBAL__N_18offset_tEEE10hipError_tPvRmT1_PNSt15iterator_traitsISY_E10value_typeET2_T3_PNSZ_IS14_E10value_typeET4_jRbjT5_S1A_jjP12ihipStream_tbEUljE_EEESV_SW_SX_S14_S18_S1A_T6_T7_T9_mT8_S1C_bDpT10_ENKUlT_T0_E_clISt17integral_constantIbLb1EES1O_IbLb0EEEEDaS1K_S1L_EUlS1K_E_NS1_11comp_targetILNS1_3genE9ELNS1_11target_archE1100ELNS1_3gpuE3ELNS1_3repE0EEENS1_30default_config_static_selectorELNS0_4arch9wavefront6targetE0EEEvSY_, .Lfunc_end383-_ZN7rocprim17ROCPRIM_400000_NS6detail17trampoline_kernelINS0_13select_configILj256ELj13ELNS0_17block_load_methodE3ELS4_3ELS4_3ELNS0_20block_scan_algorithmE0ELj4294967295EEENS1_25partition_config_selectorILNS1_17partition_subalgoE3EjNS0_10empty_typeEbEEZZNS1_14partition_implILS8_3ELb0ES6_jNS0_17counting_iteratorIjlEEPS9_SE_NS0_5tupleIJPjSE_EEENSF_IJSE_SE_EEES9_SG_JZNS1_25segmented_radix_sort_implINS0_14default_configELb0EPKaPaPKlPlN2at6native12_GLOBAL__N_18offset_tEEE10hipError_tPvRmT1_PNSt15iterator_traitsISY_E10value_typeET2_T3_PNSZ_IS14_E10value_typeET4_jRbjT5_S1A_jjP12ihipStream_tbEUljE_EEESV_SW_SX_S14_S18_S1A_T6_T7_T9_mT8_S1C_bDpT10_ENKUlT_T0_E_clISt17integral_constantIbLb1EES1O_IbLb0EEEEDaS1K_S1L_EUlS1K_E_NS1_11comp_targetILNS1_3genE9ELNS1_11target_archE1100ELNS1_3gpuE3ELNS1_3repE0EEENS1_30default_config_static_selectorELNS0_4arch9wavefront6targetE0EEEvSY_
                                        ; -- End function
	.section	.AMDGPU.csdata,"",@progbits
; Kernel info:
; codeLenInByte = 8964
; NumSgprs: 30
; NumVgprs: 57
; ScratchSize: 0
; MemoryBound: 0
; FloatMode: 240
; IeeeMode: 1
; LDSByteSize: 13324 bytes/workgroup (compile time only)
; SGPRBlocks: 3
; VGPRBlocks: 7
; NumSGPRsForWavesPerEU: 30
; NumVGPRsForWavesPerEU: 57
; Occupancy: 16
; WaveLimiterHint : 0
; COMPUTE_PGM_RSRC2:SCRATCH_EN: 0
; COMPUTE_PGM_RSRC2:USER_SGPR: 15
; COMPUTE_PGM_RSRC2:TRAP_HANDLER: 0
; COMPUTE_PGM_RSRC2:TGID_X_EN: 1
; COMPUTE_PGM_RSRC2:TGID_Y_EN: 0
; COMPUTE_PGM_RSRC2:TGID_Z_EN: 0
; COMPUTE_PGM_RSRC2:TIDIG_COMP_CNT: 0
	.section	.text._ZN7rocprim17ROCPRIM_400000_NS6detail17trampoline_kernelINS0_13select_configILj256ELj13ELNS0_17block_load_methodE3ELS4_3ELS4_3ELNS0_20block_scan_algorithmE0ELj4294967295EEENS1_25partition_config_selectorILNS1_17partition_subalgoE3EjNS0_10empty_typeEbEEZZNS1_14partition_implILS8_3ELb0ES6_jNS0_17counting_iteratorIjlEEPS9_SE_NS0_5tupleIJPjSE_EEENSF_IJSE_SE_EEES9_SG_JZNS1_25segmented_radix_sort_implINS0_14default_configELb0EPKaPaPKlPlN2at6native12_GLOBAL__N_18offset_tEEE10hipError_tPvRmT1_PNSt15iterator_traitsISY_E10value_typeET2_T3_PNSZ_IS14_E10value_typeET4_jRbjT5_S1A_jjP12ihipStream_tbEUljE_EEESV_SW_SX_S14_S18_S1A_T6_T7_T9_mT8_S1C_bDpT10_ENKUlT_T0_E_clISt17integral_constantIbLb1EES1O_IbLb0EEEEDaS1K_S1L_EUlS1K_E_NS1_11comp_targetILNS1_3genE8ELNS1_11target_archE1030ELNS1_3gpuE2ELNS1_3repE0EEENS1_30default_config_static_selectorELNS0_4arch9wavefront6targetE0EEEvSY_,"axG",@progbits,_ZN7rocprim17ROCPRIM_400000_NS6detail17trampoline_kernelINS0_13select_configILj256ELj13ELNS0_17block_load_methodE3ELS4_3ELS4_3ELNS0_20block_scan_algorithmE0ELj4294967295EEENS1_25partition_config_selectorILNS1_17partition_subalgoE3EjNS0_10empty_typeEbEEZZNS1_14partition_implILS8_3ELb0ES6_jNS0_17counting_iteratorIjlEEPS9_SE_NS0_5tupleIJPjSE_EEENSF_IJSE_SE_EEES9_SG_JZNS1_25segmented_radix_sort_implINS0_14default_configELb0EPKaPaPKlPlN2at6native12_GLOBAL__N_18offset_tEEE10hipError_tPvRmT1_PNSt15iterator_traitsISY_E10value_typeET2_T3_PNSZ_IS14_E10value_typeET4_jRbjT5_S1A_jjP12ihipStream_tbEUljE_EEESV_SW_SX_S14_S18_S1A_T6_T7_T9_mT8_S1C_bDpT10_ENKUlT_T0_E_clISt17integral_constantIbLb1EES1O_IbLb0EEEEDaS1K_S1L_EUlS1K_E_NS1_11comp_targetILNS1_3genE8ELNS1_11target_archE1030ELNS1_3gpuE2ELNS1_3repE0EEENS1_30default_config_static_selectorELNS0_4arch9wavefront6targetE0EEEvSY_,comdat
	.globl	_ZN7rocprim17ROCPRIM_400000_NS6detail17trampoline_kernelINS0_13select_configILj256ELj13ELNS0_17block_load_methodE3ELS4_3ELS4_3ELNS0_20block_scan_algorithmE0ELj4294967295EEENS1_25partition_config_selectorILNS1_17partition_subalgoE3EjNS0_10empty_typeEbEEZZNS1_14partition_implILS8_3ELb0ES6_jNS0_17counting_iteratorIjlEEPS9_SE_NS0_5tupleIJPjSE_EEENSF_IJSE_SE_EEES9_SG_JZNS1_25segmented_radix_sort_implINS0_14default_configELb0EPKaPaPKlPlN2at6native12_GLOBAL__N_18offset_tEEE10hipError_tPvRmT1_PNSt15iterator_traitsISY_E10value_typeET2_T3_PNSZ_IS14_E10value_typeET4_jRbjT5_S1A_jjP12ihipStream_tbEUljE_EEESV_SW_SX_S14_S18_S1A_T6_T7_T9_mT8_S1C_bDpT10_ENKUlT_T0_E_clISt17integral_constantIbLb1EES1O_IbLb0EEEEDaS1K_S1L_EUlS1K_E_NS1_11comp_targetILNS1_3genE8ELNS1_11target_archE1030ELNS1_3gpuE2ELNS1_3repE0EEENS1_30default_config_static_selectorELNS0_4arch9wavefront6targetE0EEEvSY_ ; -- Begin function _ZN7rocprim17ROCPRIM_400000_NS6detail17trampoline_kernelINS0_13select_configILj256ELj13ELNS0_17block_load_methodE3ELS4_3ELS4_3ELNS0_20block_scan_algorithmE0ELj4294967295EEENS1_25partition_config_selectorILNS1_17partition_subalgoE3EjNS0_10empty_typeEbEEZZNS1_14partition_implILS8_3ELb0ES6_jNS0_17counting_iteratorIjlEEPS9_SE_NS0_5tupleIJPjSE_EEENSF_IJSE_SE_EEES9_SG_JZNS1_25segmented_radix_sort_implINS0_14default_configELb0EPKaPaPKlPlN2at6native12_GLOBAL__N_18offset_tEEE10hipError_tPvRmT1_PNSt15iterator_traitsISY_E10value_typeET2_T3_PNSZ_IS14_E10value_typeET4_jRbjT5_S1A_jjP12ihipStream_tbEUljE_EEESV_SW_SX_S14_S18_S1A_T6_T7_T9_mT8_S1C_bDpT10_ENKUlT_T0_E_clISt17integral_constantIbLb1EES1O_IbLb0EEEEDaS1K_S1L_EUlS1K_E_NS1_11comp_targetILNS1_3genE8ELNS1_11target_archE1030ELNS1_3gpuE2ELNS1_3repE0EEENS1_30default_config_static_selectorELNS0_4arch9wavefront6targetE0EEEvSY_
	.p2align	8
	.type	_ZN7rocprim17ROCPRIM_400000_NS6detail17trampoline_kernelINS0_13select_configILj256ELj13ELNS0_17block_load_methodE3ELS4_3ELS4_3ELNS0_20block_scan_algorithmE0ELj4294967295EEENS1_25partition_config_selectorILNS1_17partition_subalgoE3EjNS0_10empty_typeEbEEZZNS1_14partition_implILS8_3ELb0ES6_jNS0_17counting_iteratorIjlEEPS9_SE_NS0_5tupleIJPjSE_EEENSF_IJSE_SE_EEES9_SG_JZNS1_25segmented_radix_sort_implINS0_14default_configELb0EPKaPaPKlPlN2at6native12_GLOBAL__N_18offset_tEEE10hipError_tPvRmT1_PNSt15iterator_traitsISY_E10value_typeET2_T3_PNSZ_IS14_E10value_typeET4_jRbjT5_S1A_jjP12ihipStream_tbEUljE_EEESV_SW_SX_S14_S18_S1A_T6_T7_T9_mT8_S1C_bDpT10_ENKUlT_T0_E_clISt17integral_constantIbLb1EES1O_IbLb0EEEEDaS1K_S1L_EUlS1K_E_NS1_11comp_targetILNS1_3genE8ELNS1_11target_archE1030ELNS1_3gpuE2ELNS1_3repE0EEENS1_30default_config_static_selectorELNS0_4arch9wavefront6targetE0EEEvSY_,@function
_ZN7rocprim17ROCPRIM_400000_NS6detail17trampoline_kernelINS0_13select_configILj256ELj13ELNS0_17block_load_methodE3ELS4_3ELS4_3ELNS0_20block_scan_algorithmE0ELj4294967295EEENS1_25partition_config_selectorILNS1_17partition_subalgoE3EjNS0_10empty_typeEbEEZZNS1_14partition_implILS8_3ELb0ES6_jNS0_17counting_iteratorIjlEEPS9_SE_NS0_5tupleIJPjSE_EEENSF_IJSE_SE_EEES9_SG_JZNS1_25segmented_radix_sort_implINS0_14default_configELb0EPKaPaPKlPlN2at6native12_GLOBAL__N_18offset_tEEE10hipError_tPvRmT1_PNSt15iterator_traitsISY_E10value_typeET2_T3_PNSZ_IS14_E10value_typeET4_jRbjT5_S1A_jjP12ihipStream_tbEUljE_EEESV_SW_SX_S14_S18_S1A_T6_T7_T9_mT8_S1C_bDpT10_ENKUlT_T0_E_clISt17integral_constantIbLb1EES1O_IbLb0EEEEDaS1K_S1L_EUlS1K_E_NS1_11comp_targetILNS1_3genE8ELNS1_11target_archE1030ELNS1_3gpuE2ELNS1_3repE0EEENS1_30default_config_static_selectorELNS0_4arch9wavefront6targetE0EEEvSY_: ; @_ZN7rocprim17ROCPRIM_400000_NS6detail17trampoline_kernelINS0_13select_configILj256ELj13ELNS0_17block_load_methodE3ELS4_3ELS4_3ELNS0_20block_scan_algorithmE0ELj4294967295EEENS1_25partition_config_selectorILNS1_17partition_subalgoE3EjNS0_10empty_typeEbEEZZNS1_14partition_implILS8_3ELb0ES6_jNS0_17counting_iteratorIjlEEPS9_SE_NS0_5tupleIJPjSE_EEENSF_IJSE_SE_EEES9_SG_JZNS1_25segmented_radix_sort_implINS0_14default_configELb0EPKaPaPKlPlN2at6native12_GLOBAL__N_18offset_tEEE10hipError_tPvRmT1_PNSt15iterator_traitsISY_E10value_typeET2_T3_PNSZ_IS14_E10value_typeET4_jRbjT5_S1A_jjP12ihipStream_tbEUljE_EEESV_SW_SX_S14_S18_S1A_T6_T7_T9_mT8_S1C_bDpT10_ENKUlT_T0_E_clISt17integral_constantIbLb1EES1O_IbLb0EEEEDaS1K_S1L_EUlS1K_E_NS1_11comp_targetILNS1_3genE8ELNS1_11target_archE1030ELNS1_3gpuE2ELNS1_3repE0EEENS1_30default_config_static_selectorELNS0_4arch9wavefront6targetE0EEEvSY_
; %bb.0:
	.section	.rodata,"a",@progbits
	.p2align	6, 0x0
	.amdhsa_kernel _ZN7rocprim17ROCPRIM_400000_NS6detail17trampoline_kernelINS0_13select_configILj256ELj13ELNS0_17block_load_methodE3ELS4_3ELS4_3ELNS0_20block_scan_algorithmE0ELj4294967295EEENS1_25partition_config_selectorILNS1_17partition_subalgoE3EjNS0_10empty_typeEbEEZZNS1_14partition_implILS8_3ELb0ES6_jNS0_17counting_iteratorIjlEEPS9_SE_NS0_5tupleIJPjSE_EEENSF_IJSE_SE_EEES9_SG_JZNS1_25segmented_radix_sort_implINS0_14default_configELb0EPKaPaPKlPlN2at6native12_GLOBAL__N_18offset_tEEE10hipError_tPvRmT1_PNSt15iterator_traitsISY_E10value_typeET2_T3_PNSZ_IS14_E10value_typeET4_jRbjT5_S1A_jjP12ihipStream_tbEUljE_EEESV_SW_SX_S14_S18_S1A_T6_T7_T9_mT8_S1C_bDpT10_ENKUlT_T0_E_clISt17integral_constantIbLb1EES1O_IbLb0EEEEDaS1K_S1L_EUlS1K_E_NS1_11comp_targetILNS1_3genE8ELNS1_11target_archE1030ELNS1_3gpuE2ELNS1_3repE0EEENS1_30default_config_static_selectorELNS0_4arch9wavefront6targetE0EEEvSY_
		.amdhsa_group_segment_fixed_size 0
		.amdhsa_private_segment_fixed_size 0
		.amdhsa_kernarg_size 144
		.amdhsa_user_sgpr_count 15
		.amdhsa_user_sgpr_dispatch_ptr 0
		.amdhsa_user_sgpr_queue_ptr 0
		.amdhsa_user_sgpr_kernarg_segment_ptr 1
		.amdhsa_user_sgpr_dispatch_id 0
		.amdhsa_user_sgpr_private_segment_size 0
		.amdhsa_wavefront_size32 1
		.amdhsa_uses_dynamic_stack 0
		.amdhsa_enable_private_segment 0
		.amdhsa_system_sgpr_workgroup_id_x 1
		.amdhsa_system_sgpr_workgroup_id_y 0
		.amdhsa_system_sgpr_workgroup_id_z 0
		.amdhsa_system_sgpr_workgroup_info 0
		.amdhsa_system_vgpr_workitem_id 0
		.amdhsa_next_free_vgpr 1
		.amdhsa_next_free_sgpr 1
		.amdhsa_reserve_vcc 0
		.amdhsa_float_round_mode_32 0
		.amdhsa_float_round_mode_16_64 0
		.amdhsa_float_denorm_mode_32 3
		.amdhsa_float_denorm_mode_16_64 3
		.amdhsa_dx10_clamp 1
		.amdhsa_ieee_mode 1
		.amdhsa_fp16_overflow 0
		.amdhsa_workgroup_processor_mode 1
		.amdhsa_memory_ordered 1
		.amdhsa_forward_progress 0
		.amdhsa_shared_vgpr_count 0
		.amdhsa_exception_fp_ieee_invalid_op 0
		.amdhsa_exception_fp_denorm_src 0
		.amdhsa_exception_fp_ieee_div_zero 0
		.amdhsa_exception_fp_ieee_overflow 0
		.amdhsa_exception_fp_ieee_underflow 0
		.amdhsa_exception_fp_ieee_inexact 0
		.amdhsa_exception_int_div_zero 0
	.end_amdhsa_kernel
	.section	.text._ZN7rocprim17ROCPRIM_400000_NS6detail17trampoline_kernelINS0_13select_configILj256ELj13ELNS0_17block_load_methodE3ELS4_3ELS4_3ELNS0_20block_scan_algorithmE0ELj4294967295EEENS1_25partition_config_selectorILNS1_17partition_subalgoE3EjNS0_10empty_typeEbEEZZNS1_14partition_implILS8_3ELb0ES6_jNS0_17counting_iteratorIjlEEPS9_SE_NS0_5tupleIJPjSE_EEENSF_IJSE_SE_EEES9_SG_JZNS1_25segmented_radix_sort_implINS0_14default_configELb0EPKaPaPKlPlN2at6native12_GLOBAL__N_18offset_tEEE10hipError_tPvRmT1_PNSt15iterator_traitsISY_E10value_typeET2_T3_PNSZ_IS14_E10value_typeET4_jRbjT5_S1A_jjP12ihipStream_tbEUljE_EEESV_SW_SX_S14_S18_S1A_T6_T7_T9_mT8_S1C_bDpT10_ENKUlT_T0_E_clISt17integral_constantIbLb1EES1O_IbLb0EEEEDaS1K_S1L_EUlS1K_E_NS1_11comp_targetILNS1_3genE8ELNS1_11target_archE1030ELNS1_3gpuE2ELNS1_3repE0EEENS1_30default_config_static_selectorELNS0_4arch9wavefront6targetE0EEEvSY_,"axG",@progbits,_ZN7rocprim17ROCPRIM_400000_NS6detail17trampoline_kernelINS0_13select_configILj256ELj13ELNS0_17block_load_methodE3ELS4_3ELS4_3ELNS0_20block_scan_algorithmE0ELj4294967295EEENS1_25partition_config_selectorILNS1_17partition_subalgoE3EjNS0_10empty_typeEbEEZZNS1_14partition_implILS8_3ELb0ES6_jNS0_17counting_iteratorIjlEEPS9_SE_NS0_5tupleIJPjSE_EEENSF_IJSE_SE_EEES9_SG_JZNS1_25segmented_radix_sort_implINS0_14default_configELb0EPKaPaPKlPlN2at6native12_GLOBAL__N_18offset_tEEE10hipError_tPvRmT1_PNSt15iterator_traitsISY_E10value_typeET2_T3_PNSZ_IS14_E10value_typeET4_jRbjT5_S1A_jjP12ihipStream_tbEUljE_EEESV_SW_SX_S14_S18_S1A_T6_T7_T9_mT8_S1C_bDpT10_ENKUlT_T0_E_clISt17integral_constantIbLb1EES1O_IbLb0EEEEDaS1K_S1L_EUlS1K_E_NS1_11comp_targetILNS1_3genE8ELNS1_11target_archE1030ELNS1_3gpuE2ELNS1_3repE0EEENS1_30default_config_static_selectorELNS0_4arch9wavefront6targetE0EEEvSY_,comdat
.Lfunc_end384:
	.size	_ZN7rocprim17ROCPRIM_400000_NS6detail17trampoline_kernelINS0_13select_configILj256ELj13ELNS0_17block_load_methodE3ELS4_3ELS4_3ELNS0_20block_scan_algorithmE0ELj4294967295EEENS1_25partition_config_selectorILNS1_17partition_subalgoE3EjNS0_10empty_typeEbEEZZNS1_14partition_implILS8_3ELb0ES6_jNS0_17counting_iteratorIjlEEPS9_SE_NS0_5tupleIJPjSE_EEENSF_IJSE_SE_EEES9_SG_JZNS1_25segmented_radix_sort_implINS0_14default_configELb0EPKaPaPKlPlN2at6native12_GLOBAL__N_18offset_tEEE10hipError_tPvRmT1_PNSt15iterator_traitsISY_E10value_typeET2_T3_PNSZ_IS14_E10value_typeET4_jRbjT5_S1A_jjP12ihipStream_tbEUljE_EEESV_SW_SX_S14_S18_S1A_T6_T7_T9_mT8_S1C_bDpT10_ENKUlT_T0_E_clISt17integral_constantIbLb1EES1O_IbLb0EEEEDaS1K_S1L_EUlS1K_E_NS1_11comp_targetILNS1_3genE8ELNS1_11target_archE1030ELNS1_3gpuE2ELNS1_3repE0EEENS1_30default_config_static_selectorELNS0_4arch9wavefront6targetE0EEEvSY_, .Lfunc_end384-_ZN7rocprim17ROCPRIM_400000_NS6detail17trampoline_kernelINS0_13select_configILj256ELj13ELNS0_17block_load_methodE3ELS4_3ELS4_3ELNS0_20block_scan_algorithmE0ELj4294967295EEENS1_25partition_config_selectorILNS1_17partition_subalgoE3EjNS0_10empty_typeEbEEZZNS1_14partition_implILS8_3ELb0ES6_jNS0_17counting_iteratorIjlEEPS9_SE_NS0_5tupleIJPjSE_EEENSF_IJSE_SE_EEES9_SG_JZNS1_25segmented_radix_sort_implINS0_14default_configELb0EPKaPaPKlPlN2at6native12_GLOBAL__N_18offset_tEEE10hipError_tPvRmT1_PNSt15iterator_traitsISY_E10value_typeET2_T3_PNSZ_IS14_E10value_typeET4_jRbjT5_S1A_jjP12ihipStream_tbEUljE_EEESV_SW_SX_S14_S18_S1A_T6_T7_T9_mT8_S1C_bDpT10_ENKUlT_T0_E_clISt17integral_constantIbLb1EES1O_IbLb0EEEEDaS1K_S1L_EUlS1K_E_NS1_11comp_targetILNS1_3genE8ELNS1_11target_archE1030ELNS1_3gpuE2ELNS1_3repE0EEENS1_30default_config_static_selectorELNS0_4arch9wavefront6targetE0EEEvSY_
                                        ; -- End function
	.section	.AMDGPU.csdata,"",@progbits
; Kernel info:
; codeLenInByte = 0
; NumSgprs: 0
; NumVgprs: 0
; ScratchSize: 0
; MemoryBound: 0
; FloatMode: 240
; IeeeMode: 1
; LDSByteSize: 0 bytes/workgroup (compile time only)
; SGPRBlocks: 0
; VGPRBlocks: 0
; NumSGPRsForWavesPerEU: 1
; NumVGPRsForWavesPerEU: 1
; Occupancy: 16
; WaveLimiterHint : 0
; COMPUTE_PGM_RSRC2:SCRATCH_EN: 0
; COMPUTE_PGM_RSRC2:USER_SGPR: 15
; COMPUTE_PGM_RSRC2:TRAP_HANDLER: 0
; COMPUTE_PGM_RSRC2:TGID_X_EN: 1
; COMPUTE_PGM_RSRC2:TGID_Y_EN: 0
; COMPUTE_PGM_RSRC2:TGID_Z_EN: 0
; COMPUTE_PGM_RSRC2:TIDIG_COMP_CNT: 0
	.section	.text._ZN7rocprim17ROCPRIM_400000_NS6detail17trampoline_kernelINS0_13select_configILj256ELj13ELNS0_17block_load_methodE3ELS4_3ELS4_3ELNS0_20block_scan_algorithmE0ELj4294967295EEENS1_25partition_config_selectorILNS1_17partition_subalgoE3EjNS0_10empty_typeEbEEZZNS1_14partition_implILS8_3ELb0ES6_jNS0_17counting_iteratorIjlEEPS9_SE_NS0_5tupleIJPjSE_EEENSF_IJSE_SE_EEES9_SG_JZNS1_25segmented_radix_sort_implINS0_14default_configELb0EPKaPaPKlPlN2at6native12_GLOBAL__N_18offset_tEEE10hipError_tPvRmT1_PNSt15iterator_traitsISY_E10value_typeET2_T3_PNSZ_IS14_E10value_typeET4_jRbjT5_S1A_jjP12ihipStream_tbEUljE_EEESV_SW_SX_S14_S18_S1A_T6_T7_T9_mT8_S1C_bDpT10_ENKUlT_T0_E_clISt17integral_constantIbLb0EES1O_IbLb1EEEEDaS1K_S1L_EUlS1K_E_NS1_11comp_targetILNS1_3genE0ELNS1_11target_archE4294967295ELNS1_3gpuE0ELNS1_3repE0EEENS1_30default_config_static_selectorELNS0_4arch9wavefront6targetE0EEEvSY_,"axG",@progbits,_ZN7rocprim17ROCPRIM_400000_NS6detail17trampoline_kernelINS0_13select_configILj256ELj13ELNS0_17block_load_methodE3ELS4_3ELS4_3ELNS0_20block_scan_algorithmE0ELj4294967295EEENS1_25partition_config_selectorILNS1_17partition_subalgoE3EjNS0_10empty_typeEbEEZZNS1_14partition_implILS8_3ELb0ES6_jNS0_17counting_iteratorIjlEEPS9_SE_NS0_5tupleIJPjSE_EEENSF_IJSE_SE_EEES9_SG_JZNS1_25segmented_radix_sort_implINS0_14default_configELb0EPKaPaPKlPlN2at6native12_GLOBAL__N_18offset_tEEE10hipError_tPvRmT1_PNSt15iterator_traitsISY_E10value_typeET2_T3_PNSZ_IS14_E10value_typeET4_jRbjT5_S1A_jjP12ihipStream_tbEUljE_EEESV_SW_SX_S14_S18_S1A_T6_T7_T9_mT8_S1C_bDpT10_ENKUlT_T0_E_clISt17integral_constantIbLb0EES1O_IbLb1EEEEDaS1K_S1L_EUlS1K_E_NS1_11comp_targetILNS1_3genE0ELNS1_11target_archE4294967295ELNS1_3gpuE0ELNS1_3repE0EEENS1_30default_config_static_selectorELNS0_4arch9wavefront6targetE0EEEvSY_,comdat
	.globl	_ZN7rocprim17ROCPRIM_400000_NS6detail17trampoline_kernelINS0_13select_configILj256ELj13ELNS0_17block_load_methodE3ELS4_3ELS4_3ELNS0_20block_scan_algorithmE0ELj4294967295EEENS1_25partition_config_selectorILNS1_17partition_subalgoE3EjNS0_10empty_typeEbEEZZNS1_14partition_implILS8_3ELb0ES6_jNS0_17counting_iteratorIjlEEPS9_SE_NS0_5tupleIJPjSE_EEENSF_IJSE_SE_EEES9_SG_JZNS1_25segmented_radix_sort_implINS0_14default_configELb0EPKaPaPKlPlN2at6native12_GLOBAL__N_18offset_tEEE10hipError_tPvRmT1_PNSt15iterator_traitsISY_E10value_typeET2_T3_PNSZ_IS14_E10value_typeET4_jRbjT5_S1A_jjP12ihipStream_tbEUljE_EEESV_SW_SX_S14_S18_S1A_T6_T7_T9_mT8_S1C_bDpT10_ENKUlT_T0_E_clISt17integral_constantIbLb0EES1O_IbLb1EEEEDaS1K_S1L_EUlS1K_E_NS1_11comp_targetILNS1_3genE0ELNS1_11target_archE4294967295ELNS1_3gpuE0ELNS1_3repE0EEENS1_30default_config_static_selectorELNS0_4arch9wavefront6targetE0EEEvSY_ ; -- Begin function _ZN7rocprim17ROCPRIM_400000_NS6detail17trampoline_kernelINS0_13select_configILj256ELj13ELNS0_17block_load_methodE3ELS4_3ELS4_3ELNS0_20block_scan_algorithmE0ELj4294967295EEENS1_25partition_config_selectorILNS1_17partition_subalgoE3EjNS0_10empty_typeEbEEZZNS1_14partition_implILS8_3ELb0ES6_jNS0_17counting_iteratorIjlEEPS9_SE_NS0_5tupleIJPjSE_EEENSF_IJSE_SE_EEES9_SG_JZNS1_25segmented_radix_sort_implINS0_14default_configELb0EPKaPaPKlPlN2at6native12_GLOBAL__N_18offset_tEEE10hipError_tPvRmT1_PNSt15iterator_traitsISY_E10value_typeET2_T3_PNSZ_IS14_E10value_typeET4_jRbjT5_S1A_jjP12ihipStream_tbEUljE_EEESV_SW_SX_S14_S18_S1A_T6_T7_T9_mT8_S1C_bDpT10_ENKUlT_T0_E_clISt17integral_constantIbLb0EES1O_IbLb1EEEEDaS1K_S1L_EUlS1K_E_NS1_11comp_targetILNS1_3genE0ELNS1_11target_archE4294967295ELNS1_3gpuE0ELNS1_3repE0EEENS1_30default_config_static_selectorELNS0_4arch9wavefront6targetE0EEEvSY_
	.p2align	8
	.type	_ZN7rocprim17ROCPRIM_400000_NS6detail17trampoline_kernelINS0_13select_configILj256ELj13ELNS0_17block_load_methodE3ELS4_3ELS4_3ELNS0_20block_scan_algorithmE0ELj4294967295EEENS1_25partition_config_selectorILNS1_17partition_subalgoE3EjNS0_10empty_typeEbEEZZNS1_14partition_implILS8_3ELb0ES6_jNS0_17counting_iteratorIjlEEPS9_SE_NS0_5tupleIJPjSE_EEENSF_IJSE_SE_EEES9_SG_JZNS1_25segmented_radix_sort_implINS0_14default_configELb0EPKaPaPKlPlN2at6native12_GLOBAL__N_18offset_tEEE10hipError_tPvRmT1_PNSt15iterator_traitsISY_E10value_typeET2_T3_PNSZ_IS14_E10value_typeET4_jRbjT5_S1A_jjP12ihipStream_tbEUljE_EEESV_SW_SX_S14_S18_S1A_T6_T7_T9_mT8_S1C_bDpT10_ENKUlT_T0_E_clISt17integral_constantIbLb0EES1O_IbLb1EEEEDaS1K_S1L_EUlS1K_E_NS1_11comp_targetILNS1_3genE0ELNS1_11target_archE4294967295ELNS1_3gpuE0ELNS1_3repE0EEENS1_30default_config_static_selectorELNS0_4arch9wavefront6targetE0EEEvSY_,@function
_ZN7rocprim17ROCPRIM_400000_NS6detail17trampoline_kernelINS0_13select_configILj256ELj13ELNS0_17block_load_methodE3ELS4_3ELS4_3ELNS0_20block_scan_algorithmE0ELj4294967295EEENS1_25partition_config_selectorILNS1_17partition_subalgoE3EjNS0_10empty_typeEbEEZZNS1_14partition_implILS8_3ELb0ES6_jNS0_17counting_iteratorIjlEEPS9_SE_NS0_5tupleIJPjSE_EEENSF_IJSE_SE_EEES9_SG_JZNS1_25segmented_radix_sort_implINS0_14default_configELb0EPKaPaPKlPlN2at6native12_GLOBAL__N_18offset_tEEE10hipError_tPvRmT1_PNSt15iterator_traitsISY_E10value_typeET2_T3_PNSZ_IS14_E10value_typeET4_jRbjT5_S1A_jjP12ihipStream_tbEUljE_EEESV_SW_SX_S14_S18_S1A_T6_T7_T9_mT8_S1C_bDpT10_ENKUlT_T0_E_clISt17integral_constantIbLb0EES1O_IbLb1EEEEDaS1K_S1L_EUlS1K_E_NS1_11comp_targetILNS1_3genE0ELNS1_11target_archE4294967295ELNS1_3gpuE0ELNS1_3repE0EEENS1_30default_config_static_selectorELNS0_4arch9wavefront6targetE0EEEvSY_: ; @_ZN7rocprim17ROCPRIM_400000_NS6detail17trampoline_kernelINS0_13select_configILj256ELj13ELNS0_17block_load_methodE3ELS4_3ELS4_3ELNS0_20block_scan_algorithmE0ELj4294967295EEENS1_25partition_config_selectorILNS1_17partition_subalgoE3EjNS0_10empty_typeEbEEZZNS1_14partition_implILS8_3ELb0ES6_jNS0_17counting_iteratorIjlEEPS9_SE_NS0_5tupleIJPjSE_EEENSF_IJSE_SE_EEES9_SG_JZNS1_25segmented_radix_sort_implINS0_14default_configELb0EPKaPaPKlPlN2at6native12_GLOBAL__N_18offset_tEEE10hipError_tPvRmT1_PNSt15iterator_traitsISY_E10value_typeET2_T3_PNSZ_IS14_E10value_typeET4_jRbjT5_S1A_jjP12ihipStream_tbEUljE_EEESV_SW_SX_S14_S18_S1A_T6_T7_T9_mT8_S1C_bDpT10_ENKUlT_T0_E_clISt17integral_constantIbLb0EES1O_IbLb1EEEEDaS1K_S1L_EUlS1K_E_NS1_11comp_targetILNS1_3genE0ELNS1_11target_archE4294967295ELNS1_3gpuE0ELNS1_3repE0EEENS1_30default_config_static_selectorELNS0_4arch9wavefront6targetE0EEEvSY_
; %bb.0:
	.section	.rodata,"a",@progbits
	.p2align	6, 0x0
	.amdhsa_kernel _ZN7rocprim17ROCPRIM_400000_NS6detail17trampoline_kernelINS0_13select_configILj256ELj13ELNS0_17block_load_methodE3ELS4_3ELS4_3ELNS0_20block_scan_algorithmE0ELj4294967295EEENS1_25partition_config_selectorILNS1_17partition_subalgoE3EjNS0_10empty_typeEbEEZZNS1_14partition_implILS8_3ELb0ES6_jNS0_17counting_iteratorIjlEEPS9_SE_NS0_5tupleIJPjSE_EEENSF_IJSE_SE_EEES9_SG_JZNS1_25segmented_radix_sort_implINS0_14default_configELb0EPKaPaPKlPlN2at6native12_GLOBAL__N_18offset_tEEE10hipError_tPvRmT1_PNSt15iterator_traitsISY_E10value_typeET2_T3_PNSZ_IS14_E10value_typeET4_jRbjT5_S1A_jjP12ihipStream_tbEUljE_EEESV_SW_SX_S14_S18_S1A_T6_T7_T9_mT8_S1C_bDpT10_ENKUlT_T0_E_clISt17integral_constantIbLb0EES1O_IbLb1EEEEDaS1K_S1L_EUlS1K_E_NS1_11comp_targetILNS1_3genE0ELNS1_11target_archE4294967295ELNS1_3gpuE0ELNS1_3repE0EEENS1_30default_config_static_selectorELNS0_4arch9wavefront6targetE0EEEvSY_
		.amdhsa_group_segment_fixed_size 0
		.amdhsa_private_segment_fixed_size 0
		.amdhsa_kernarg_size 152
		.amdhsa_user_sgpr_count 15
		.amdhsa_user_sgpr_dispatch_ptr 0
		.amdhsa_user_sgpr_queue_ptr 0
		.amdhsa_user_sgpr_kernarg_segment_ptr 1
		.amdhsa_user_sgpr_dispatch_id 0
		.amdhsa_user_sgpr_private_segment_size 0
		.amdhsa_wavefront_size32 1
		.amdhsa_uses_dynamic_stack 0
		.amdhsa_enable_private_segment 0
		.amdhsa_system_sgpr_workgroup_id_x 1
		.amdhsa_system_sgpr_workgroup_id_y 0
		.amdhsa_system_sgpr_workgroup_id_z 0
		.amdhsa_system_sgpr_workgroup_info 0
		.amdhsa_system_vgpr_workitem_id 0
		.amdhsa_next_free_vgpr 1
		.amdhsa_next_free_sgpr 1
		.amdhsa_reserve_vcc 0
		.amdhsa_float_round_mode_32 0
		.amdhsa_float_round_mode_16_64 0
		.amdhsa_float_denorm_mode_32 3
		.amdhsa_float_denorm_mode_16_64 3
		.amdhsa_dx10_clamp 1
		.amdhsa_ieee_mode 1
		.amdhsa_fp16_overflow 0
		.amdhsa_workgroup_processor_mode 1
		.amdhsa_memory_ordered 1
		.amdhsa_forward_progress 0
		.amdhsa_shared_vgpr_count 0
		.amdhsa_exception_fp_ieee_invalid_op 0
		.amdhsa_exception_fp_denorm_src 0
		.amdhsa_exception_fp_ieee_div_zero 0
		.amdhsa_exception_fp_ieee_overflow 0
		.amdhsa_exception_fp_ieee_underflow 0
		.amdhsa_exception_fp_ieee_inexact 0
		.amdhsa_exception_int_div_zero 0
	.end_amdhsa_kernel
	.section	.text._ZN7rocprim17ROCPRIM_400000_NS6detail17trampoline_kernelINS0_13select_configILj256ELj13ELNS0_17block_load_methodE3ELS4_3ELS4_3ELNS0_20block_scan_algorithmE0ELj4294967295EEENS1_25partition_config_selectorILNS1_17partition_subalgoE3EjNS0_10empty_typeEbEEZZNS1_14partition_implILS8_3ELb0ES6_jNS0_17counting_iteratorIjlEEPS9_SE_NS0_5tupleIJPjSE_EEENSF_IJSE_SE_EEES9_SG_JZNS1_25segmented_radix_sort_implINS0_14default_configELb0EPKaPaPKlPlN2at6native12_GLOBAL__N_18offset_tEEE10hipError_tPvRmT1_PNSt15iterator_traitsISY_E10value_typeET2_T3_PNSZ_IS14_E10value_typeET4_jRbjT5_S1A_jjP12ihipStream_tbEUljE_EEESV_SW_SX_S14_S18_S1A_T6_T7_T9_mT8_S1C_bDpT10_ENKUlT_T0_E_clISt17integral_constantIbLb0EES1O_IbLb1EEEEDaS1K_S1L_EUlS1K_E_NS1_11comp_targetILNS1_3genE0ELNS1_11target_archE4294967295ELNS1_3gpuE0ELNS1_3repE0EEENS1_30default_config_static_selectorELNS0_4arch9wavefront6targetE0EEEvSY_,"axG",@progbits,_ZN7rocprim17ROCPRIM_400000_NS6detail17trampoline_kernelINS0_13select_configILj256ELj13ELNS0_17block_load_methodE3ELS4_3ELS4_3ELNS0_20block_scan_algorithmE0ELj4294967295EEENS1_25partition_config_selectorILNS1_17partition_subalgoE3EjNS0_10empty_typeEbEEZZNS1_14partition_implILS8_3ELb0ES6_jNS0_17counting_iteratorIjlEEPS9_SE_NS0_5tupleIJPjSE_EEENSF_IJSE_SE_EEES9_SG_JZNS1_25segmented_radix_sort_implINS0_14default_configELb0EPKaPaPKlPlN2at6native12_GLOBAL__N_18offset_tEEE10hipError_tPvRmT1_PNSt15iterator_traitsISY_E10value_typeET2_T3_PNSZ_IS14_E10value_typeET4_jRbjT5_S1A_jjP12ihipStream_tbEUljE_EEESV_SW_SX_S14_S18_S1A_T6_T7_T9_mT8_S1C_bDpT10_ENKUlT_T0_E_clISt17integral_constantIbLb0EES1O_IbLb1EEEEDaS1K_S1L_EUlS1K_E_NS1_11comp_targetILNS1_3genE0ELNS1_11target_archE4294967295ELNS1_3gpuE0ELNS1_3repE0EEENS1_30default_config_static_selectorELNS0_4arch9wavefront6targetE0EEEvSY_,comdat
.Lfunc_end385:
	.size	_ZN7rocprim17ROCPRIM_400000_NS6detail17trampoline_kernelINS0_13select_configILj256ELj13ELNS0_17block_load_methodE3ELS4_3ELS4_3ELNS0_20block_scan_algorithmE0ELj4294967295EEENS1_25partition_config_selectorILNS1_17partition_subalgoE3EjNS0_10empty_typeEbEEZZNS1_14partition_implILS8_3ELb0ES6_jNS0_17counting_iteratorIjlEEPS9_SE_NS0_5tupleIJPjSE_EEENSF_IJSE_SE_EEES9_SG_JZNS1_25segmented_radix_sort_implINS0_14default_configELb0EPKaPaPKlPlN2at6native12_GLOBAL__N_18offset_tEEE10hipError_tPvRmT1_PNSt15iterator_traitsISY_E10value_typeET2_T3_PNSZ_IS14_E10value_typeET4_jRbjT5_S1A_jjP12ihipStream_tbEUljE_EEESV_SW_SX_S14_S18_S1A_T6_T7_T9_mT8_S1C_bDpT10_ENKUlT_T0_E_clISt17integral_constantIbLb0EES1O_IbLb1EEEEDaS1K_S1L_EUlS1K_E_NS1_11comp_targetILNS1_3genE0ELNS1_11target_archE4294967295ELNS1_3gpuE0ELNS1_3repE0EEENS1_30default_config_static_selectorELNS0_4arch9wavefront6targetE0EEEvSY_, .Lfunc_end385-_ZN7rocprim17ROCPRIM_400000_NS6detail17trampoline_kernelINS0_13select_configILj256ELj13ELNS0_17block_load_methodE3ELS4_3ELS4_3ELNS0_20block_scan_algorithmE0ELj4294967295EEENS1_25partition_config_selectorILNS1_17partition_subalgoE3EjNS0_10empty_typeEbEEZZNS1_14partition_implILS8_3ELb0ES6_jNS0_17counting_iteratorIjlEEPS9_SE_NS0_5tupleIJPjSE_EEENSF_IJSE_SE_EEES9_SG_JZNS1_25segmented_radix_sort_implINS0_14default_configELb0EPKaPaPKlPlN2at6native12_GLOBAL__N_18offset_tEEE10hipError_tPvRmT1_PNSt15iterator_traitsISY_E10value_typeET2_T3_PNSZ_IS14_E10value_typeET4_jRbjT5_S1A_jjP12ihipStream_tbEUljE_EEESV_SW_SX_S14_S18_S1A_T6_T7_T9_mT8_S1C_bDpT10_ENKUlT_T0_E_clISt17integral_constantIbLb0EES1O_IbLb1EEEEDaS1K_S1L_EUlS1K_E_NS1_11comp_targetILNS1_3genE0ELNS1_11target_archE4294967295ELNS1_3gpuE0ELNS1_3repE0EEENS1_30default_config_static_selectorELNS0_4arch9wavefront6targetE0EEEvSY_
                                        ; -- End function
	.section	.AMDGPU.csdata,"",@progbits
; Kernel info:
; codeLenInByte = 0
; NumSgprs: 0
; NumVgprs: 0
; ScratchSize: 0
; MemoryBound: 0
; FloatMode: 240
; IeeeMode: 1
; LDSByteSize: 0 bytes/workgroup (compile time only)
; SGPRBlocks: 0
; VGPRBlocks: 0
; NumSGPRsForWavesPerEU: 1
; NumVGPRsForWavesPerEU: 1
; Occupancy: 16
; WaveLimiterHint : 0
; COMPUTE_PGM_RSRC2:SCRATCH_EN: 0
; COMPUTE_PGM_RSRC2:USER_SGPR: 15
; COMPUTE_PGM_RSRC2:TRAP_HANDLER: 0
; COMPUTE_PGM_RSRC2:TGID_X_EN: 1
; COMPUTE_PGM_RSRC2:TGID_Y_EN: 0
; COMPUTE_PGM_RSRC2:TGID_Z_EN: 0
; COMPUTE_PGM_RSRC2:TIDIG_COMP_CNT: 0
	.section	.text._ZN7rocprim17ROCPRIM_400000_NS6detail17trampoline_kernelINS0_13select_configILj256ELj13ELNS0_17block_load_methodE3ELS4_3ELS4_3ELNS0_20block_scan_algorithmE0ELj4294967295EEENS1_25partition_config_selectorILNS1_17partition_subalgoE3EjNS0_10empty_typeEbEEZZNS1_14partition_implILS8_3ELb0ES6_jNS0_17counting_iteratorIjlEEPS9_SE_NS0_5tupleIJPjSE_EEENSF_IJSE_SE_EEES9_SG_JZNS1_25segmented_radix_sort_implINS0_14default_configELb0EPKaPaPKlPlN2at6native12_GLOBAL__N_18offset_tEEE10hipError_tPvRmT1_PNSt15iterator_traitsISY_E10value_typeET2_T3_PNSZ_IS14_E10value_typeET4_jRbjT5_S1A_jjP12ihipStream_tbEUljE_EEESV_SW_SX_S14_S18_S1A_T6_T7_T9_mT8_S1C_bDpT10_ENKUlT_T0_E_clISt17integral_constantIbLb0EES1O_IbLb1EEEEDaS1K_S1L_EUlS1K_E_NS1_11comp_targetILNS1_3genE5ELNS1_11target_archE942ELNS1_3gpuE9ELNS1_3repE0EEENS1_30default_config_static_selectorELNS0_4arch9wavefront6targetE0EEEvSY_,"axG",@progbits,_ZN7rocprim17ROCPRIM_400000_NS6detail17trampoline_kernelINS0_13select_configILj256ELj13ELNS0_17block_load_methodE3ELS4_3ELS4_3ELNS0_20block_scan_algorithmE0ELj4294967295EEENS1_25partition_config_selectorILNS1_17partition_subalgoE3EjNS0_10empty_typeEbEEZZNS1_14partition_implILS8_3ELb0ES6_jNS0_17counting_iteratorIjlEEPS9_SE_NS0_5tupleIJPjSE_EEENSF_IJSE_SE_EEES9_SG_JZNS1_25segmented_radix_sort_implINS0_14default_configELb0EPKaPaPKlPlN2at6native12_GLOBAL__N_18offset_tEEE10hipError_tPvRmT1_PNSt15iterator_traitsISY_E10value_typeET2_T3_PNSZ_IS14_E10value_typeET4_jRbjT5_S1A_jjP12ihipStream_tbEUljE_EEESV_SW_SX_S14_S18_S1A_T6_T7_T9_mT8_S1C_bDpT10_ENKUlT_T0_E_clISt17integral_constantIbLb0EES1O_IbLb1EEEEDaS1K_S1L_EUlS1K_E_NS1_11comp_targetILNS1_3genE5ELNS1_11target_archE942ELNS1_3gpuE9ELNS1_3repE0EEENS1_30default_config_static_selectorELNS0_4arch9wavefront6targetE0EEEvSY_,comdat
	.globl	_ZN7rocprim17ROCPRIM_400000_NS6detail17trampoline_kernelINS0_13select_configILj256ELj13ELNS0_17block_load_methodE3ELS4_3ELS4_3ELNS0_20block_scan_algorithmE0ELj4294967295EEENS1_25partition_config_selectorILNS1_17partition_subalgoE3EjNS0_10empty_typeEbEEZZNS1_14partition_implILS8_3ELb0ES6_jNS0_17counting_iteratorIjlEEPS9_SE_NS0_5tupleIJPjSE_EEENSF_IJSE_SE_EEES9_SG_JZNS1_25segmented_radix_sort_implINS0_14default_configELb0EPKaPaPKlPlN2at6native12_GLOBAL__N_18offset_tEEE10hipError_tPvRmT1_PNSt15iterator_traitsISY_E10value_typeET2_T3_PNSZ_IS14_E10value_typeET4_jRbjT5_S1A_jjP12ihipStream_tbEUljE_EEESV_SW_SX_S14_S18_S1A_T6_T7_T9_mT8_S1C_bDpT10_ENKUlT_T0_E_clISt17integral_constantIbLb0EES1O_IbLb1EEEEDaS1K_S1L_EUlS1K_E_NS1_11comp_targetILNS1_3genE5ELNS1_11target_archE942ELNS1_3gpuE9ELNS1_3repE0EEENS1_30default_config_static_selectorELNS0_4arch9wavefront6targetE0EEEvSY_ ; -- Begin function _ZN7rocprim17ROCPRIM_400000_NS6detail17trampoline_kernelINS0_13select_configILj256ELj13ELNS0_17block_load_methodE3ELS4_3ELS4_3ELNS0_20block_scan_algorithmE0ELj4294967295EEENS1_25partition_config_selectorILNS1_17partition_subalgoE3EjNS0_10empty_typeEbEEZZNS1_14partition_implILS8_3ELb0ES6_jNS0_17counting_iteratorIjlEEPS9_SE_NS0_5tupleIJPjSE_EEENSF_IJSE_SE_EEES9_SG_JZNS1_25segmented_radix_sort_implINS0_14default_configELb0EPKaPaPKlPlN2at6native12_GLOBAL__N_18offset_tEEE10hipError_tPvRmT1_PNSt15iterator_traitsISY_E10value_typeET2_T3_PNSZ_IS14_E10value_typeET4_jRbjT5_S1A_jjP12ihipStream_tbEUljE_EEESV_SW_SX_S14_S18_S1A_T6_T7_T9_mT8_S1C_bDpT10_ENKUlT_T0_E_clISt17integral_constantIbLb0EES1O_IbLb1EEEEDaS1K_S1L_EUlS1K_E_NS1_11comp_targetILNS1_3genE5ELNS1_11target_archE942ELNS1_3gpuE9ELNS1_3repE0EEENS1_30default_config_static_selectorELNS0_4arch9wavefront6targetE0EEEvSY_
	.p2align	8
	.type	_ZN7rocprim17ROCPRIM_400000_NS6detail17trampoline_kernelINS0_13select_configILj256ELj13ELNS0_17block_load_methodE3ELS4_3ELS4_3ELNS0_20block_scan_algorithmE0ELj4294967295EEENS1_25partition_config_selectorILNS1_17partition_subalgoE3EjNS0_10empty_typeEbEEZZNS1_14partition_implILS8_3ELb0ES6_jNS0_17counting_iteratorIjlEEPS9_SE_NS0_5tupleIJPjSE_EEENSF_IJSE_SE_EEES9_SG_JZNS1_25segmented_radix_sort_implINS0_14default_configELb0EPKaPaPKlPlN2at6native12_GLOBAL__N_18offset_tEEE10hipError_tPvRmT1_PNSt15iterator_traitsISY_E10value_typeET2_T3_PNSZ_IS14_E10value_typeET4_jRbjT5_S1A_jjP12ihipStream_tbEUljE_EEESV_SW_SX_S14_S18_S1A_T6_T7_T9_mT8_S1C_bDpT10_ENKUlT_T0_E_clISt17integral_constantIbLb0EES1O_IbLb1EEEEDaS1K_S1L_EUlS1K_E_NS1_11comp_targetILNS1_3genE5ELNS1_11target_archE942ELNS1_3gpuE9ELNS1_3repE0EEENS1_30default_config_static_selectorELNS0_4arch9wavefront6targetE0EEEvSY_,@function
_ZN7rocprim17ROCPRIM_400000_NS6detail17trampoline_kernelINS0_13select_configILj256ELj13ELNS0_17block_load_methodE3ELS4_3ELS4_3ELNS0_20block_scan_algorithmE0ELj4294967295EEENS1_25partition_config_selectorILNS1_17partition_subalgoE3EjNS0_10empty_typeEbEEZZNS1_14partition_implILS8_3ELb0ES6_jNS0_17counting_iteratorIjlEEPS9_SE_NS0_5tupleIJPjSE_EEENSF_IJSE_SE_EEES9_SG_JZNS1_25segmented_radix_sort_implINS0_14default_configELb0EPKaPaPKlPlN2at6native12_GLOBAL__N_18offset_tEEE10hipError_tPvRmT1_PNSt15iterator_traitsISY_E10value_typeET2_T3_PNSZ_IS14_E10value_typeET4_jRbjT5_S1A_jjP12ihipStream_tbEUljE_EEESV_SW_SX_S14_S18_S1A_T6_T7_T9_mT8_S1C_bDpT10_ENKUlT_T0_E_clISt17integral_constantIbLb0EES1O_IbLb1EEEEDaS1K_S1L_EUlS1K_E_NS1_11comp_targetILNS1_3genE5ELNS1_11target_archE942ELNS1_3gpuE9ELNS1_3repE0EEENS1_30default_config_static_selectorELNS0_4arch9wavefront6targetE0EEEvSY_: ; @_ZN7rocprim17ROCPRIM_400000_NS6detail17trampoline_kernelINS0_13select_configILj256ELj13ELNS0_17block_load_methodE3ELS4_3ELS4_3ELNS0_20block_scan_algorithmE0ELj4294967295EEENS1_25partition_config_selectorILNS1_17partition_subalgoE3EjNS0_10empty_typeEbEEZZNS1_14partition_implILS8_3ELb0ES6_jNS0_17counting_iteratorIjlEEPS9_SE_NS0_5tupleIJPjSE_EEENSF_IJSE_SE_EEES9_SG_JZNS1_25segmented_radix_sort_implINS0_14default_configELb0EPKaPaPKlPlN2at6native12_GLOBAL__N_18offset_tEEE10hipError_tPvRmT1_PNSt15iterator_traitsISY_E10value_typeET2_T3_PNSZ_IS14_E10value_typeET4_jRbjT5_S1A_jjP12ihipStream_tbEUljE_EEESV_SW_SX_S14_S18_S1A_T6_T7_T9_mT8_S1C_bDpT10_ENKUlT_T0_E_clISt17integral_constantIbLb0EES1O_IbLb1EEEEDaS1K_S1L_EUlS1K_E_NS1_11comp_targetILNS1_3genE5ELNS1_11target_archE942ELNS1_3gpuE9ELNS1_3repE0EEENS1_30default_config_static_selectorELNS0_4arch9wavefront6targetE0EEEvSY_
; %bb.0:
	.section	.rodata,"a",@progbits
	.p2align	6, 0x0
	.amdhsa_kernel _ZN7rocprim17ROCPRIM_400000_NS6detail17trampoline_kernelINS0_13select_configILj256ELj13ELNS0_17block_load_methodE3ELS4_3ELS4_3ELNS0_20block_scan_algorithmE0ELj4294967295EEENS1_25partition_config_selectorILNS1_17partition_subalgoE3EjNS0_10empty_typeEbEEZZNS1_14partition_implILS8_3ELb0ES6_jNS0_17counting_iteratorIjlEEPS9_SE_NS0_5tupleIJPjSE_EEENSF_IJSE_SE_EEES9_SG_JZNS1_25segmented_radix_sort_implINS0_14default_configELb0EPKaPaPKlPlN2at6native12_GLOBAL__N_18offset_tEEE10hipError_tPvRmT1_PNSt15iterator_traitsISY_E10value_typeET2_T3_PNSZ_IS14_E10value_typeET4_jRbjT5_S1A_jjP12ihipStream_tbEUljE_EEESV_SW_SX_S14_S18_S1A_T6_T7_T9_mT8_S1C_bDpT10_ENKUlT_T0_E_clISt17integral_constantIbLb0EES1O_IbLb1EEEEDaS1K_S1L_EUlS1K_E_NS1_11comp_targetILNS1_3genE5ELNS1_11target_archE942ELNS1_3gpuE9ELNS1_3repE0EEENS1_30default_config_static_selectorELNS0_4arch9wavefront6targetE0EEEvSY_
		.amdhsa_group_segment_fixed_size 0
		.amdhsa_private_segment_fixed_size 0
		.amdhsa_kernarg_size 152
		.amdhsa_user_sgpr_count 15
		.amdhsa_user_sgpr_dispatch_ptr 0
		.amdhsa_user_sgpr_queue_ptr 0
		.amdhsa_user_sgpr_kernarg_segment_ptr 1
		.amdhsa_user_sgpr_dispatch_id 0
		.amdhsa_user_sgpr_private_segment_size 0
		.amdhsa_wavefront_size32 1
		.amdhsa_uses_dynamic_stack 0
		.amdhsa_enable_private_segment 0
		.amdhsa_system_sgpr_workgroup_id_x 1
		.amdhsa_system_sgpr_workgroup_id_y 0
		.amdhsa_system_sgpr_workgroup_id_z 0
		.amdhsa_system_sgpr_workgroup_info 0
		.amdhsa_system_vgpr_workitem_id 0
		.amdhsa_next_free_vgpr 1
		.amdhsa_next_free_sgpr 1
		.amdhsa_reserve_vcc 0
		.amdhsa_float_round_mode_32 0
		.amdhsa_float_round_mode_16_64 0
		.amdhsa_float_denorm_mode_32 3
		.amdhsa_float_denorm_mode_16_64 3
		.amdhsa_dx10_clamp 1
		.amdhsa_ieee_mode 1
		.amdhsa_fp16_overflow 0
		.amdhsa_workgroup_processor_mode 1
		.amdhsa_memory_ordered 1
		.amdhsa_forward_progress 0
		.amdhsa_shared_vgpr_count 0
		.amdhsa_exception_fp_ieee_invalid_op 0
		.amdhsa_exception_fp_denorm_src 0
		.amdhsa_exception_fp_ieee_div_zero 0
		.amdhsa_exception_fp_ieee_overflow 0
		.amdhsa_exception_fp_ieee_underflow 0
		.amdhsa_exception_fp_ieee_inexact 0
		.amdhsa_exception_int_div_zero 0
	.end_amdhsa_kernel
	.section	.text._ZN7rocprim17ROCPRIM_400000_NS6detail17trampoline_kernelINS0_13select_configILj256ELj13ELNS0_17block_load_methodE3ELS4_3ELS4_3ELNS0_20block_scan_algorithmE0ELj4294967295EEENS1_25partition_config_selectorILNS1_17partition_subalgoE3EjNS0_10empty_typeEbEEZZNS1_14partition_implILS8_3ELb0ES6_jNS0_17counting_iteratorIjlEEPS9_SE_NS0_5tupleIJPjSE_EEENSF_IJSE_SE_EEES9_SG_JZNS1_25segmented_radix_sort_implINS0_14default_configELb0EPKaPaPKlPlN2at6native12_GLOBAL__N_18offset_tEEE10hipError_tPvRmT1_PNSt15iterator_traitsISY_E10value_typeET2_T3_PNSZ_IS14_E10value_typeET4_jRbjT5_S1A_jjP12ihipStream_tbEUljE_EEESV_SW_SX_S14_S18_S1A_T6_T7_T9_mT8_S1C_bDpT10_ENKUlT_T0_E_clISt17integral_constantIbLb0EES1O_IbLb1EEEEDaS1K_S1L_EUlS1K_E_NS1_11comp_targetILNS1_3genE5ELNS1_11target_archE942ELNS1_3gpuE9ELNS1_3repE0EEENS1_30default_config_static_selectorELNS0_4arch9wavefront6targetE0EEEvSY_,"axG",@progbits,_ZN7rocprim17ROCPRIM_400000_NS6detail17trampoline_kernelINS0_13select_configILj256ELj13ELNS0_17block_load_methodE3ELS4_3ELS4_3ELNS0_20block_scan_algorithmE0ELj4294967295EEENS1_25partition_config_selectorILNS1_17partition_subalgoE3EjNS0_10empty_typeEbEEZZNS1_14partition_implILS8_3ELb0ES6_jNS0_17counting_iteratorIjlEEPS9_SE_NS0_5tupleIJPjSE_EEENSF_IJSE_SE_EEES9_SG_JZNS1_25segmented_radix_sort_implINS0_14default_configELb0EPKaPaPKlPlN2at6native12_GLOBAL__N_18offset_tEEE10hipError_tPvRmT1_PNSt15iterator_traitsISY_E10value_typeET2_T3_PNSZ_IS14_E10value_typeET4_jRbjT5_S1A_jjP12ihipStream_tbEUljE_EEESV_SW_SX_S14_S18_S1A_T6_T7_T9_mT8_S1C_bDpT10_ENKUlT_T0_E_clISt17integral_constantIbLb0EES1O_IbLb1EEEEDaS1K_S1L_EUlS1K_E_NS1_11comp_targetILNS1_3genE5ELNS1_11target_archE942ELNS1_3gpuE9ELNS1_3repE0EEENS1_30default_config_static_selectorELNS0_4arch9wavefront6targetE0EEEvSY_,comdat
.Lfunc_end386:
	.size	_ZN7rocprim17ROCPRIM_400000_NS6detail17trampoline_kernelINS0_13select_configILj256ELj13ELNS0_17block_load_methodE3ELS4_3ELS4_3ELNS0_20block_scan_algorithmE0ELj4294967295EEENS1_25partition_config_selectorILNS1_17partition_subalgoE3EjNS0_10empty_typeEbEEZZNS1_14partition_implILS8_3ELb0ES6_jNS0_17counting_iteratorIjlEEPS9_SE_NS0_5tupleIJPjSE_EEENSF_IJSE_SE_EEES9_SG_JZNS1_25segmented_radix_sort_implINS0_14default_configELb0EPKaPaPKlPlN2at6native12_GLOBAL__N_18offset_tEEE10hipError_tPvRmT1_PNSt15iterator_traitsISY_E10value_typeET2_T3_PNSZ_IS14_E10value_typeET4_jRbjT5_S1A_jjP12ihipStream_tbEUljE_EEESV_SW_SX_S14_S18_S1A_T6_T7_T9_mT8_S1C_bDpT10_ENKUlT_T0_E_clISt17integral_constantIbLb0EES1O_IbLb1EEEEDaS1K_S1L_EUlS1K_E_NS1_11comp_targetILNS1_3genE5ELNS1_11target_archE942ELNS1_3gpuE9ELNS1_3repE0EEENS1_30default_config_static_selectorELNS0_4arch9wavefront6targetE0EEEvSY_, .Lfunc_end386-_ZN7rocprim17ROCPRIM_400000_NS6detail17trampoline_kernelINS0_13select_configILj256ELj13ELNS0_17block_load_methodE3ELS4_3ELS4_3ELNS0_20block_scan_algorithmE0ELj4294967295EEENS1_25partition_config_selectorILNS1_17partition_subalgoE3EjNS0_10empty_typeEbEEZZNS1_14partition_implILS8_3ELb0ES6_jNS0_17counting_iteratorIjlEEPS9_SE_NS0_5tupleIJPjSE_EEENSF_IJSE_SE_EEES9_SG_JZNS1_25segmented_radix_sort_implINS0_14default_configELb0EPKaPaPKlPlN2at6native12_GLOBAL__N_18offset_tEEE10hipError_tPvRmT1_PNSt15iterator_traitsISY_E10value_typeET2_T3_PNSZ_IS14_E10value_typeET4_jRbjT5_S1A_jjP12ihipStream_tbEUljE_EEESV_SW_SX_S14_S18_S1A_T6_T7_T9_mT8_S1C_bDpT10_ENKUlT_T0_E_clISt17integral_constantIbLb0EES1O_IbLb1EEEEDaS1K_S1L_EUlS1K_E_NS1_11comp_targetILNS1_3genE5ELNS1_11target_archE942ELNS1_3gpuE9ELNS1_3repE0EEENS1_30default_config_static_selectorELNS0_4arch9wavefront6targetE0EEEvSY_
                                        ; -- End function
	.section	.AMDGPU.csdata,"",@progbits
; Kernel info:
; codeLenInByte = 0
; NumSgprs: 0
; NumVgprs: 0
; ScratchSize: 0
; MemoryBound: 0
; FloatMode: 240
; IeeeMode: 1
; LDSByteSize: 0 bytes/workgroup (compile time only)
; SGPRBlocks: 0
; VGPRBlocks: 0
; NumSGPRsForWavesPerEU: 1
; NumVGPRsForWavesPerEU: 1
; Occupancy: 16
; WaveLimiterHint : 0
; COMPUTE_PGM_RSRC2:SCRATCH_EN: 0
; COMPUTE_PGM_RSRC2:USER_SGPR: 15
; COMPUTE_PGM_RSRC2:TRAP_HANDLER: 0
; COMPUTE_PGM_RSRC2:TGID_X_EN: 1
; COMPUTE_PGM_RSRC2:TGID_Y_EN: 0
; COMPUTE_PGM_RSRC2:TGID_Z_EN: 0
; COMPUTE_PGM_RSRC2:TIDIG_COMP_CNT: 0
	.section	.text._ZN7rocprim17ROCPRIM_400000_NS6detail17trampoline_kernelINS0_13select_configILj256ELj13ELNS0_17block_load_methodE3ELS4_3ELS4_3ELNS0_20block_scan_algorithmE0ELj4294967295EEENS1_25partition_config_selectorILNS1_17partition_subalgoE3EjNS0_10empty_typeEbEEZZNS1_14partition_implILS8_3ELb0ES6_jNS0_17counting_iteratorIjlEEPS9_SE_NS0_5tupleIJPjSE_EEENSF_IJSE_SE_EEES9_SG_JZNS1_25segmented_radix_sort_implINS0_14default_configELb0EPKaPaPKlPlN2at6native12_GLOBAL__N_18offset_tEEE10hipError_tPvRmT1_PNSt15iterator_traitsISY_E10value_typeET2_T3_PNSZ_IS14_E10value_typeET4_jRbjT5_S1A_jjP12ihipStream_tbEUljE_EEESV_SW_SX_S14_S18_S1A_T6_T7_T9_mT8_S1C_bDpT10_ENKUlT_T0_E_clISt17integral_constantIbLb0EES1O_IbLb1EEEEDaS1K_S1L_EUlS1K_E_NS1_11comp_targetILNS1_3genE4ELNS1_11target_archE910ELNS1_3gpuE8ELNS1_3repE0EEENS1_30default_config_static_selectorELNS0_4arch9wavefront6targetE0EEEvSY_,"axG",@progbits,_ZN7rocprim17ROCPRIM_400000_NS6detail17trampoline_kernelINS0_13select_configILj256ELj13ELNS0_17block_load_methodE3ELS4_3ELS4_3ELNS0_20block_scan_algorithmE0ELj4294967295EEENS1_25partition_config_selectorILNS1_17partition_subalgoE3EjNS0_10empty_typeEbEEZZNS1_14partition_implILS8_3ELb0ES6_jNS0_17counting_iteratorIjlEEPS9_SE_NS0_5tupleIJPjSE_EEENSF_IJSE_SE_EEES9_SG_JZNS1_25segmented_radix_sort_implINS0_14default_configELb0EPKaPaPKlPlN2at6native12_GLOBAL__N_18offset_tEEE10hipError_tPvRmT1_PNSt15iterator_traitsISY_E10value_typeET2_T3_PNSZ_IS14_E10value_typeET4_jRbjT5_S1A_jjP12ihipStream_tbEUljE_EEESV_SW_SX_S14_S18_S1A_T6_T7_T9_mT8_S1C_bDpT10_ENKUlT_T0_E_clISt17integral_constantIbLb0EES1O_IbLb1EEEEDaS1K_S1L_EUlS1K_E_NS1_11comp_targetILNS1_3genE4ELNS1_11target_archE910ELNS1_3gpuE8ELNS1_3repE0EEENS1_30default_config_static_selectorELNS0_4arch9wavefront6targetE0EEEvSY_,comdat
	.globl	_ZN7rocprim17ROCPRIM_400000_NS6detail17trampoline_kernelINS0_13select_configILj256ELj13ELNS0_17block_load_methodE3ELS4_3ELS4_3ELNS0_20block_scan_algorithmE0ELj4294967295EEENS1_25partition_config_selectorILNS1_17partition_subalgoE3EjNS0_10empty_typeEbEEZZNS1_14partition_implILS8_3ELb0ES6_jNS0_17counting_iteratorIjlEEPS9_SE_NS0_5tupleIJPjSE_EEENSF_IJSE_SE_EEES9_SG_JZNS1_25segmented_radix_sort_implINS0_14default_configELb0EPKaPaPKlPlN2at6native12_GLOBAL__N_18offset_tEEE10hipError_tPvRmT1_PNSt15iterator_traitsISY_E10value_typeET2_T3_PNSZ_IS14_E10value_typeET4_jRbjT5_S1A_jjP12ihipStream_tbEUljE_EEESV_SW_SX_S14_S18_S1A_T6_T7_T9_mT8_S1C_bDpT10_ENKUlT_T0_E_clISt17integral_constantIbLb0EES1O_IbLb1EEEEDaS1K_S1L_EUlS1K_E_NS1_11comp_targetILNS1_3genE4ELNS1_11target_archE910ELNS1_3gpuE8ELNS1_3repE0EEENS1_30default_config_static_selectorELNS0_4arch9wavefront6targetE0EEEvSY_ ; -- Begin function _ZN7rocprim17ROCPRIM_400000_NS6detail17trampoline_kernelINS0_13select_configILj256ELj13ELNS0_17block_load_methodE3ELS4_3ELS4_3ELNS0_20block_scan_algorithmE0ELj4294967295EEENS1_25partition_config_selectorILNS1_17partition_subalgoE3EjNS0_10empty_typeEbEEZZNS1_14partition_implILS8_3ELb0ES6_jNS0_17counting_iteratorIjlEEPS9_SE_NS0_5tupleIJPjSE_EEENSF_IJSE_SE_EEES9_SG_JZNS1_25segmented_radix_sort_implINS0_14default_configELb0EPKaPaPKlPlN2at6native12_GLOBAL__N_18offset_tEEE10hipError_tPvRmT1_PNSt15iterator_traitsISY_E10value_typeET2_T3_PNSZ_IS14_E10value_typeET4_jRbjT5_S1A_jjP12ihipStream_tbEUljE_EEESV_SW_SX_S14_S18_S1A_T6_T7_T9_mT8_S1C_bDpT10_ENKUlT_T0_E_clISt17integral_constantIbLb0EES1O_IbLb1EEEEDaS1K_S1L_EUlS1K_E_NS1_11comp_targetILNS1_3genE4ELNS1_11target_archE910ELNS1_3gpuE8ELNS1_3repE0EEENS1_30default_config_static_selectorELNS0_4arch9wavefront6targetE0EEEvSY_
	.p2align	8
	.type	_ZN7rocprim17ROCPRIM_400000_NS6detail17trampoline_kernelINS0_13select_configILj256ELj13ELNS0_17block_load_methodE3ELS4_3ELS4_3ELNS0_20block_scan_algorithmE0ELj4294967295EEENS1_25partition_config_selectorILNS1_17partition_subalgoE3EjNS0_10empty_typeEbEEZZNS1_14partition_implILS8_3ELb0ES6_jNS0_17counting_iteratorIjlEEPS9_SE_NS0_5tupleIJPjSE_EEENSF_IJSE_SE_EEES9_SG_JZNS1_25segmented_radix_sort_implINS0_14default_configELb0EPKaPaPKlPlN2at6native12_GLOBAL__N_18offset_tEEE10hipError_tPvRmT1_PNSt15iterator_traitsISY_E10value_typeET2_T3_PNSZ_IS14_E10value_typeET4_jRbjT5_S1A_jjP12ihipStream_tbEUljE_EEESV_SW_SX_S14_S18_S1A_T6_T7_T9_mT8_S1C_bDpT10_ENKUlT_T0_E_clISt17integral_constantIbLb0EES1O_IbLb1EEEEDaS1K_S1L_EUlS1K_E_NS1_11comp_targetILNS1_3genE4ELNS1_11target_archE910ELNS1_3gpuE8ELNS1_3repE0EEENS1_30default_config_static_selectorELNS0_4arch9wavefront6targetE0EEEvSY_,@function
_ZN7rocprim17ROCPRIM_400000_NS6detail17trampoline_kernelINS0_13select_configILj256ELj13ELNS0_17block_load_methodE3ELS4_3ELS4_3ELNS0_20block_scan_algorithmE0ELj4294967295EEENS1_25partition_config_selectorILNS1_17partition_subalgoE3EjNS0_10empty_typeEbEEZZNS1_14partition_implILS8_3ELb0ES6_jNS0_17counting_iteratorIjlEEPS9_SE_NS0_5tupleIJPjSE_EEENSF_IJSE_SE_EEES9_SG_JZNS1_25segmented_radix_sort_implINS0_14default_configELb0EPKaPaPKlPlN2at6native12_GLOBAL__N_18offset_tEEE10hipError_tPvRmT1_PNSt15iterator_traitsISY_E10value_typeET2_T3_PNSZ_IS14_E10value_typeET4_jRbjT5_S1A_jjP12ihipStream_tbEUljE_EEESV_SW_SX_S14_S18_S1A_T6_T7_T9_mT8_S1C_bDpT10_ENKUlT_T0_E_clISt17integral_constantIbLb0EES1O_IbLb1EEEEDaS1K_S1L_EUlS1K_E_NS1_11comp_targetILNS1_3genE4ELNS1_11target_archE910ELNS1_3gpuE8ELNS1_3repE0EEENS1_30default_config_static_selectorELNS0_4arch9wavefront6targetE0EEEvSY_: ; @_ZN7rocprim17ROCPRIM_400000_NS6detail17trampoline_kernelINS0_13select_configILj256ELj13ELNS0_17block_load_methodE3ELS4_3ELS4_3ELNS0_20block_scan_algorithmE0ELj4294967295EEENS1_25partition_config_selectorILNS1_17partition_subalgoE3EjNS0_10empty_typeEbEEZZNS1_14partition_implILS8_3ELb0ES6_jNS0_17counting_iteratorIjlEEPS9_SE_NS0_5tupleIJPjSE_EEENSF_IJSE_SE_EEES9_SG_JZNS1_25segmented_radix_sort_implINS0_14default_configELb0EPKaPaPKlPlN2at6native12_GLOBAL__N_18offset_tEEE10hipError_tPvRmT1_PNSt15iterator_traitsISY_E10value_typeET2_T3_PNSZ_IS14_E10value_typeET4_jRbjT5_S1A_jjP12ihipStream_tbEUljE_EEESV_SW_SX_S14_S18_S1A_T6_T7_T9_mT8_S1C_bDpT10_ENKUlT_T0_E_clISt17integral_constantIbLb0EES1O_IbLb1EEEEDaS1K_S1L_EUlS1K_E_NS1_11comp_targetILNS1_3genE4ELNS1_11target_archE910ELNS1_3gpuE8ELNS1_3repE0EEENS1_30default_config_static_selectorELNS0_4arch9wavefront6targetE0EEEvSY_
; %bb.0:
	.section	.rodata,"a",@progbits
	.p2align	6, 0x0
	.amdhsa_kernel _ZN7rocprim17ROCPRIM_400000_NS6detail17trampoline_kernelINS0_13select_configILj256ELj13ELNS0_17block_load_methodE3ELS4_3ELS4_3ELNS0_20block_scan_algorithmE0ELj4294967295EEENS1_25partition_config_selectorILNS1_17partition_subalgoE3EjNS0_10empty_typeEbEEZZNS1_14partition_implILS8_3ELb0ES6_jNS0_17counting_iteratorIjlEEPS9_SE_NS0_5tupleIJPjSE_EEENSF_IJSE_SE_EEES9_SG_JZNS1_25segmented_radix_sort_implINS0_14default_configELb0EPKaPaPKlPlN2at6native12_GLOBAL__N_18offset_tEEE10hipError_tPvRmT1_PNSt15iterator_traitsISY_E10value_typeET2_T3_PNSZ_IS14_E10value_typeET4_jRbjT5_S1A_jjP12ihipStream_tbEUljE_EEESV_SW_SX_S14_S18_S1A_T6_T7_T9_mT8_S1C_bDpT10_ENKUlT_T0_E_clISt17integral_constantIbLb0EES1O_IbLb1EEEEDaS1K_S1L_EUlS1K_E_NS1_11comp_targetILNS1_3genE4ELNS1_11target_archE910ELNS1_3gpuE8ELNS1_3repE0EEENS1_30default_config_static_selectorELNS0_4arch9wavefront6targetE0EEEvSY_
		.amdhsa_group_segment_fixed_size 0
		.amdhsa_private_segment_fixed_size 0
		.amdhsa_kernarg_size 152
		.amdhsa_user_sgpr_count 15
		.amdhsa_user_sgpr_dispatch_ptr 0
		.amdhsa_user_sgpr_queue_ptr 0
		.amdhsa_user_sgpr_kernarg_segment_ptr 1
		.amdhsa_user_sgpr_dispatch_id 0
		.amdhsa_user_sgpr_private_segment_size 0
		.amdhsa_wavefront_size32 1
		.amdhsa_uses_dynamic_stack 0
		.amdhsa_enable_private_segment 0
		.amdhsa_system_sgpr_workgroup_id_x 1
		.amdhsa_system_sgpr_workgroup_id_y 0
		.amdhsa_system_sgpr_workgroup_id_z 0
		.amdhsa_system_sgpr_workgroup_info 0
		.amdhsa_system_vgpr_workitem_id 0
		.amdhsa_next_free_vgpr 1
		.amdhsa_next_free_sgpr 1
		.amdhsa_reserve_vcc 0
		.amdhsa_float_round_mode_32 0
		.amdhsa_float_round_mode_16_64 0
		.amdhsa_float_denorm_mode_32 3
		.amdhsa_float_denorm_mode_16_64 3
		.amdhsa_dx10_clamp 1
		.amdhsa_ieee_mode 1
		.amdhsa_fp16_overflow 0
		.amdhsa_workgroup_processor_mode 1
		.amdhsa_memory_ordered 1
		.amdhsa_forward_progress 0
		.amdhsa_shared_vgpr_count 0
		.amdhsa_exception_fp_ieee_invalid_op 0
		.amdhsa_exception_fp_denorm_src 0
		.amdhsa_exception_fp_ieee_div_zero 0
		.amdhsa_exception_fp_ieee_overflow 0
		.amdhsa_exception_fp_ieee_underflow 0
		.amdhsa_exception_fp_ieee_inexact 0
		.amdhsa_exception_int_div_zero 0
	.end_amdhsa_kernel
	.section	.text._ZN7rocprim17ROCPRIM_400000_NS6detail17trampoline_kernelINS0_13select_configILj256ELj13ELNS0_17block_load_methodE3ELS4_3ELS4_3ELNS0_20block_scan_algorithmE0ELj4294967295EEENS1_25partition_config_selectorILNS1_17partition_subalgoE3EjNS0_10empty_typeEbEEZZNS1_14partition_implILS8_3ELb0ES6_jNS0_17counting_iteratorIjlEEPS9_SE_NS0_5tupleIJPjSE_EEENSF_IJSE_SE_EEES9_SG_JZNS1_25segmented_radix_sort_implINS0_14default_configELb0EPKaPaPKlPlN2at6native12_GLOBAL__N_18offset_tEEE10hipError_tPvRmT1_PNSt15iterator_traitsISY_E10value_typeET2_T3_PNSZ_IS14_E10value_typeET4_jRbjT5_S1A_jjP12ihipStream_tbEUljE_EEESV_SW_SX_S14_S18_S1A_T6_T7_T9_mT8_S1C_bDpT10_ENKUlT_T0_E_clISt17integral_constantIbLb0EES1O_IbLb1EEEEDaS1K_S1L_EUlS1K_E_NS1_11comp_targetILNS1_3genE4ELNS1_11target_archE910ELNS1_3gpuE8ELNS1_3repE0EEENS1_30default_config_static_selectorELNS0_4arch9wavefront6targetE0EEEvSY_,"axG",@progbits,_ZN7rocprim17ROCPRIM_400000_NS6detail17trampoline_kernelINS0_13select_configILj256ELj13ELNS0_17block_load_methodE3ELS4_3ELS4_3ELNS0_20block_scan_algorithmE0ELj4294967295EEENS1_25partition_config_selectorILNS1_17partition_subalgoE3EjNS0_10empty_typeEbEEZZNS1_14partition_implILS8_3ELb0ES6_jNS0_17counting_iteratorIjlEEPS9_SE_NS0_5tupleIJPjSE_EEENSF_IJSE_SE_EEES9_SG_JZNS1_25segmented_radix_sort_implINS0_14default_configELb0EPKaPaPKlPlN2at6native12_GLOBAL__N_18offset_tEEE10hipError_tPvRmT1_PNSt15iterator_traitsISY_E10value_typeET2_T3_PNSZ_IS14_E10value_typeET4_jRbjT5_S1A_jjP12ihipStream_tbEUljE_EEESV_SW_SX_S14_S18_S1A_T6_T7_T9_mT8_S1C_bDpT10_ENKUlT_T0_E_clISt17integral_constantIbLb0EES1O_IbLb1EEEEDaS1K_S1L_EUlS1K_E_NS1_11comp_targetILNS1_3genE4ELNS1_11target_archE910ELNS1_3gpuE8ELNS1_3repE0EEENS1_30default_config_static_selectorELNS0_4arch9wavefront6targetE0EEEvSY_,comdat
.Lfunc_end387:
	.size	_ZN7rocprim17ROCPRIM_400000_NS6detail17trampoline_kernelINS0_13select_configILj256ELj13ELNS0_17block_load_methodE3ELS4_3ELS4_3ELNS0_20block_scan_algorithmE0ELj4294967295EEENS1_25partition_config_selectorILNS1_17partition_subalgoE3EjNS0_10empty_typeEbEEZZNS1_14partition_implILS8_3ELb0ES6_jNS0_17counting_iteratorIjlEEPS9_SE_NS0_5tupleIJPjSE_EEENSF_IJSE_SE_EEES9_SG_JZNS1_25segmented_radix_sort_implINS0_14default_configELb0EPKaPaPKlPlN2at6native12_GLOBAL__N_18offset_tEEE10hipError_tPvRmT1_PNSt15iterator_traitsISY_E10value_typeET2_T3_PNSZ_IS14_E10value_typeET4_jRbjT5_S1A_jjP12ihipStream_tbEUljE_EEESV_SW_SX_S14_S18_S1A_T6_T7_T9_mT8_S1C_bDpT10_ENKUlT_T0_E_clISt17integral_constantIbLb0EES1O_IbLb1EEEEDaS1K_S1L_EUlS1K_E_NS1_11comp_targetILNS1_3genE4ELNS1_11target_archE910ELNS1_3gpuE8ELNS1_3repE0EEENS1_30default_config_static_selectorELNS0_4arch9wavefront6targetE0EEEvSY_, .Lfunc_end387-_ZN7rocprim17ROCPRIM_400000_NS6detail17trampoline_kernelINS0_13select_configILj256ELj13ELNS0_17block_load_methodE3ELS4_3ELS4_3ELNS0_20block_scan_algorithmE0ELj4294967295EEENS1_25partition_config_selectorILNS1_17partition_subalgoE3EjNS0_10empty_typeEbEEZZNS1_14partition_implILS8_3ELb0ES6_jNS0_17counting_iteratorIjlEEPS9_SE_NS0_5tupleIJPjSE_EEENSF_IJSE_SE_EEES9_SG_JZNS1_25segmented_radix_sort_implINS0_14default_configELb0EPKaPaPKlPlN2at6native12_GLOBAL__N_18offset_tEEE10hipError_tPvRmT1_PNSt15iterator_traitsISY_E10value_typeET2_T3_PNSZ_IS14_E10value_typeET4_jRbjT5_S1A_jjP12ihipStream_tbEUljE_EEESV_SW_SX_S14_S18_S1A_T6_T7_T9_mT8_S1C_bDpT10_ENKUlT_T0_E_clISt17integral_constantIbLb0EES1O_IbLb1EEEEDaS1K_S1L_EUlS1K_E_NS1_11comp_targetILNS1_3genE4ELNS1_11target_archE910ELNS1_3gpuE8ELNS1_3repE0EEENS1_30default_config_static_selectorELNS0_4arch9wavefront6targetE0EEEvSY_
                                        ; -- End function
	.section	.AMDGPU.csdata,"",@progbits
; Kernel info:
; codeLenInByte = 0
; NumSgprs: 0
; NumVgprs: 0
; ScratchSize: 0
; MemoryBound: 0
; FloatMode: 240
; IeeeMode: 1
; LDSByteSize: 0 bytes/workgroup (compile time only)
; SGPRBlocks: 0
; VGPRBlocks: 0
; NumSGPRsForWavesPerEU: 1
; NumVGPRsForWavesPerEU: 1
; Occupancy: 16
; WaveLimiterHint : 0
; COMPUTE_PGM_RSRC2:SCRATCH_EN: 0
; COMPUTE_PGM_RSRC2:USER_SGPR: 15
; COMPUTE_PGM_RSRC2:TRAP_HANDLER: 0
; COMPUTE_PGM_RSRC2:TGID_X_EN: 1
; COMPUTE_PGM_RSRC2:TGID_Y_EN: 0
; COMPUTE_PGM_RSRC2:TGID_Z_EN: 0
; COMPUTE_PGM_RSRC2:TIDIG_COMP_CNT: 0
	.section	.text._ZN7rocprim17ROCPRIM_400000_NS6detail17trampoline_kernelINS0_13select_configILj256ELj13ELNS0_17block_load_methodE3ELS4_3ELS4_3ELNS0_20block_scan_algorithmE0ELj4294967295EEENS1_25partition_config_selectorILNS1_17partition_subalgoE3EjNS0_10empty_typeEbEEZZNS1_14partition_implILS8_3ELb0ES6_jNS0_17counting_iteratorIjlEEPS9_SE_NS0_5tupleIJPjSE_EEENSF_IJSE_SE_EEES9_SG_JZNS1_25segmented_radix_sort_implINS0_14default_configELb0EPKaPaPKlPlN2at6native12_GLOBAL__N_18offset_tEEE10hipError_tPvRmT1_PNSt15iterator_traitsISY_E10value_typeET2_T3_PNSZ_IS14_E10value_typeET4_jRbjT5_S1A_jjP12ihipStream_tbEUljE_EEESV_SW_SX_S14_S18_S1A_T6_T7_T9_mT8_S1C_bDpT10_ENKUlT_T0_E_clISt17integral_constantIbLb0EES1O_IbLb1EEEEDaS1K_S1L_EUlS1K_E_NS1_11comp_targetILNS1_3genE3ELNS1_11target_archE908ELNS1_3gpuE7ELNS1_3repE0EEENS1_30default_config_static_selectorELNS0_4arch9wavefront6targetE0EEEvSY_,"axG",@progbits,_ZN7rocprim17ROCPRIM_400000_NS6detail17trampoline_kernelINS0_13select_configILj256ELj13ELNS0_17block_load_methodE3ELS4_3ELS4_3ELNS0_20block_scan_algorithmE0ELj4294967295EEENS1_25partition_config_selectorILNS1_17partition_subalgoE3EjNS0_10empty_typeEbEEZZNS1_14partition_implILS8_3ELb0ES6_jNS0_17counting_iteratorIjlEEPS9_SE_NS0_5tupleIJPjSE_EEENSF_IJSE_SE_EEES9_SG_JZNS1_25segmented_radix_sort_implINS0_14default_configELb0EPKaPaPKlPlN2at6native12_GLOBAL__N_18offset_tEEE10hipError_tPvRmT1_PNSt15iterator_traitsISY_E10value_typeET2_T3_PNSZ_IS14_E10value_typeET4_jRbjT5_S1A_jjP12ihipStream_tbEUljE_EEESV_SW_SX_S14_S18_S1A_T6_T7_T9_mT8_S1C_bDpT10_ENKUlT_T0_E_clISt17integral_constantIbLb0EES1O_IbLb1EEEEDaS1K_S1L_EUlS1K_E_NS1_11comp_targetILNS1_3genE3ELNS1_11target_archE908ELNS1_3gpuE7ELNS1_3repE0EEENS1_30default_config_static_selectorELNS0_4arch9wavefront6targetE0EEEvSY_,comdat
	.globl	_ZN7rocprim17ROCPRIM_400000_NS6detail17trampoline_kernelINS0_13select_configILj256ELj13ELNS0_17block_load_methodE3ELS4_3ELS4_3ELNS0_20block_scan_algorithmE0ELj4294967295EEENS1_25partition_config_selectorILNS1_17partition_subalgoE3EjNS0_10empty_typeEbEEZZNS1_14partition_implILS8_3ELb0ES6_jNS0_17counting_iteratorIjlEEPS9_SE_NS0_5tupleIJPjSE_EEENSF_IJSE_SE_EEES9_SG_JZNS1_25segmented_radix_sort_implINS0_14default_configELb0EPKaPaPKlPlN2at6native12_GLOBAL__N_18offset_tEEE10hipError_tPvRmT1_PNSt15iterator_traitsISY_E10value_typeET2_T3_PNSZ_IS14_E10value_typeET4_jRbjT5_S1A_jjP12ihipStream_tbEUljE_EEESV_SW_SX_S14_S18_S1A_T6_T7_T9_mT8_S1C_bDpT10_ENKUlT_T0_E_clISt17integral_constantIbLb0EES1O_IbLb1EEEEDaS1K_S1L_EUlS1K_E_NS1_11comp_targetILNS1_3genE3ELNS1_11target_archE908ELNS1_3gpuE7ELNS1_3repE0EEENS1_30default_config_static_selectorELNS0_4arch9wavefront6targetE0EEEvSY_ ; -- Begin function _ZN7rocprim17ROCPRIM_400000_NS6detail17trampoline_kernelINS0_13select_configILj256ELj13ELNS0_17block_load_methodE3ELS4_3ELS4_3ELNS0_20block_scan_algorithmE0ELj4294967295EEENS1_25partition_config_selectorILNS1_17partition_subalgoE3EjNS0_10empty_typeEbEEZZNS1_14partition_implILS8_3ELb0ES6_jNS0_17counting_iteratorIjlEEPS9_SE_NS0_5tupleIJPjSE_EEENSF_IJSE_SE_EEES9_SG_JZNS1_25segmented_radix_sort_implINS0_14default_configELb0EPKaPaPKlPlN2at6native12_GLOBAL__N_18offset_tEEE10hipError_tPvRmT1_PNSt15iterator_traitsISY_E10value_typeET2_T3_PNSZ_IS14_E10value_typeET4_jRbjT5_S1A_jjP12ihipStream_tbEUljE_EEESV_SW_SX_S14_S18_S1A_T6_T7_T9_mT8_S1C_bDpT10_ENKUlT_T0_E_clISt17integral_constantIbLb0EES1O_IbLb1EEEEDaS1K_S1L_EUlS1K_E_NS1_11comp_targetILNS1_3genE3ELNS1_11target_archE908ELNS1_3gpuE7ELNS1_3repE0EEENS1_30default_config_static_selectorELNS0_4arch9wavefront6targetE0EEEvSY_
	.p2align	8
	.type	_ZN7rocprim17ROCPRIM_400000_NS6detail17trampoline_kernelINS0_13select_configILj256ELj13ELNS0_17block_load_methodE3ELS4_3ELS4_3ELNS0_20block_scan_algorithmE0ELj4294967295EEENS1_25partition_config_selectorILNS1_17partition_subalgoE3EjNS0_10empty_typeEbEEZZNS1_14partition_implILS8_3ELb0ES6_jNS0_17counting_iteratorIjlEEPS9_SE_NS0_5tupleIJPjSE_EEENSF_IJSE_SE_EEES9_SG_JZNS1_25segmented_radix_sort_implINS0_14default_configELb0EPKaPaPKlPlN2at6native12_GLOBAL__N_18offset_tEEE10hipError_tPvRmT1_PNSt15iterator_traitsISY_E10value_typeET2_T3_PNSZ_IS14_E10value_typeET4_jRbjT5_S1A_jjP12ihipStream_tbEUljE_EEESV_SW_SX_S14_S18_S1A_T6_T7_T9_mT8_S1C_bDpT10_ENKUlT_T0_E_clISt17integral_constantIbLb0EES1O_IbLb1EEEEDaS1K_S1L_EUlS1K_E_NS1_11comp_targetILNS1_3genE3ELNS1_11target_archE908ELNS1_3gpuE7ELNS1_3repE0EEENS1_30default_config_static_selectorELNS0_4arch9wavefront6targetE0EEEvSY_,@function
_ZN7rocprim17ROCPRIM_400000_NS6detail17trampoline_kernelINS0_13select_configILj256ELj13ELNS0_17block_load_methodE3ELS4_3ELS4_3ELNS0_20block_scan_algorithmE0ELj4294967295EEENS1_25partition_config_selectorILNS1_17partition_subalgoE3EjNS0_10empty_typeEbEEZZNS1_14partition_implILS8_3ELb0ES6_jNS0_17counting_iteratorIjlEEPS9_SE_NS0_5tupleIJPjSE_EEENSF_IJSE_SE_EEES9_SG_JZNS1_25segmented_radix_sort_implINS0_14default_configELb0EPKaPaPKlPlN2at6native12_GLOBAL__N_18offset_tEEE10hipError_tPvRmT1_PNSt15iterator_traitsISY_E10value_typeET2_T3_PNSZ_IS14_E10value_typeET4_jRbjT5_S1A_jjP12ihipStream_tbEUljE_EEESV_SW_SX_S14_S18_S1A_T6_T7_T9_mT8_S1C_bDpT10_ENKUlT_T0_E_clISt17integral_constantIbLb0EES1O_IbLb1EEEEDaS1K_S1L_EUlS1K_E_NS1_11comp_targetILNS1_3genE3ELNS1_11target_archE908ELNS1_3gpuE7ELNS1_3repE0EEENS1_30default_config_static_selectorELNS0_4arch9wavefront6targetE0EEEvSY_: ; @_ZN7rocprim17ROCPRIM_400000_NS6detail17trampoline_kernelINS0_13select_configILj256ELj13ELNS0_17block_load_methodE3ELS4_3ELS4_3ELNS0_20block_scan_algorithmE0ELj4294967295EEENS1_25partition_config_selectorILNS1_17partition_subalgoE3EjNS0_10empty_typeEbEEZZNS1_14partition_implILS8_3ELb0ES6_jNS0_17counting_iteratorIjlEEPS9_SE_NS0_5tupleIJPjSE_EEENSF_IJSE_SE_EEES9_SG_JZNS1_25segmented_radix_sort_implINS0_14default_configELb0EPKaPaPKlPlN2at6native12_GLOBAL__N_18offset_tEEE10hipError_tPvRmT1_PNSt15iterator_traitsISY_E10value_typeET2_T3_PNSZ_IS14_E10value_typeET4_jRbjT5_S1A_jjP12ihipStream_tbEUljE_EEESV_SW_SX_S14_S18_S1A_T6_T7_T9_mT8_S1C_bDpT10_ENKUlT_T0_E_clISt17integral_constantIbLb0EES1O_IbLb1EEEEDaS1K_S1L_EUlS1K_E_NS1_11comp_targetILNS1_3genE3ELNS1_11target_archE908ELNS1_3gpuE7ELNS1_3repE0EEENS1_30default_config_static_selectorELNS0_4arch9wavefront6targetE0EEEvSY_
; %bb.0:
	.section	.rodata,"a",@progbits
	.p2align	6, 0x0
	.amdhsa_kernel _ZN7rocprim17ROCPRIM_400000_NS6detail17trampoline_kernelINS0_13select_configILj256ELj13ELNS0_17block_load_methodE3ELS4_3ELS4_3ELNS0_20block_scan_algorithmE0ELj4294967295EEENS1_25partition_config_selectorILNS1_17partition_subalgoE3EjNS0_10empty_typeEbEEZZNS1_14partition_implILS8_3ELb0ES6_jNS0_17counting_iteratorIjlEEPS9_SE_NS0_5tupleIJPjSE_EEENSF_IJSE_SE_EEES9_SG_JZNS1_25segmented_radix_sort_implINS0_14default_configELb0EPKaPaPKlPlN2at6native12_GLOBAL__N_18offset_tEEE10hipError_tPvRmT1_PNSt15iterator_traitsISY_E10value_typeET2_T3_PNSZ_IS14_E10value_typeET4_jRbjT5_S1A_jjP12ihipStream_tbEUljE_EEESV_SW_SX_S14_S18_S1A_T6_T7_T9_mT8_S1C_bDpT10_ENKUlT_T0_E_clISt17integral_constantIbLb0EES1O_IbLb1EEEEDaS1K_S1L_EUlS1K_E_NS1_11comp_targetILNS1_3genE3ELNS1_11target_archE908ELNS1_3gpuE7ELNS1_3repE0EEENS1_30default_config_static_selectorELNS0_4arch9wavefront6targetE0EEEvSY_
		.amdhsa_group_segment_fixed_size 0
		.amdhsa_private_segment_fixed_size 0
		.amdhsa_kernarg_size 152
		.amdhsa_user_sgpr_count 15
		.amdhsa_user_sgpr_dispatch_ptr 0
		.amdhsa_user_sgpr_queue_ptr 0
		.amdhsa_user_sgpr_kernarg_segment_ptr 1
		.amdhsa_user_sgpr_dispatch_id 0
		.amdhsa_user_sgpr_private_segment_size 0
		.amdhsa_wavefront_size32 1
		.amdhsa_uses_dynamic_stack 0
		.amdhsa_enable_private_segment 0
		.amdhsa_system_sgpr_workgroup_id_x 1
		.amdhsa_system_sgpr_workgroup_id_y 0
		.amdhsa_system_sgpr_workgroup_id_z 0
		.amdhsa_system_sgpr_workgroup_info 0
		.amdhsa_system_vgpr_workitem_id 0
		.amdhsa_next_free_vgpr 1
		.amdhsa_next_free_sgpr 1
		.amdhsa_reserve_vcc 0
		.amdhsa_float_round_mode_32 0
		.amdhsa_float_round_mode_16_64 0
		.amdhsa_float_denorm_mode_32 3
		.amdhsa_float_denorm_mode_16_64 3
		.amdhsa_dx10_clamp 1
		.amdhsa_ieee_mode 1
		.amdhsa_fp16_overflow 0
		.amdhsa_workgroup_processor_mode 1
		.amdhsa_memory_ordered 1
		.amdhsa_forward_progress 0
		.amdhsa_shared_vgpr_count 0
		.amdhsa_exception_fp_ieee_invalid_op 0
		.amdhsa_exception_fp_denorm_src 0
		.amdhsa_exception_fp_ieee_div_zero 0
		.amdhsa_exception_fp_ieee_overflow 0
		.amdhsa_exception_fp_ieee_underflow 0
		.amdhsa_exception_fp_ieee_inexact 0
		.amdhsa_exception_int_div_zero 0
	.end_amdhsa_kernel
	.section	.text._ZN7rocprim17ROCPRIM_400000_NS6detail17trampoline_kernelINS0_13select_configILj256ELj13ELNS0_17block_load_methodE3ELS4_3ELS4_3ELNS0_20block_scan_algorithmE0ELj4294967295EEENS1_25partition_config_selectorILNS1_17partition_subalgoE3EjNS0_10empty_typeEbEEZZNS1_14partition_implILS8_3ELb0ES6_jNS0_17counting_iteratorIjlEEPS9_SE_NS0_5tupleIJPjSE_EEENSF_IJSE_SE_EEES9_SG_JZNS1_25segmented_radix_sort_implINS0_14default_configELb0EPKaPaPKlPlN2at6native12_GLOBAL__N_18offset_tEEE10hipError_tPvRmT1_PNSt15iterator_traitsISY_E10value_typeET2_T3_PNSZ_IS14_E10value_typeET4_jRbjT5_S1A_jjP12ihipStream_tbEUljE_EEESV_SW_SX_S14_S18_S1A_T6_T7_T9_mT8_S1C_bDpT10_ENKUlT_T0_E_clISt17integral_constantIbLb0EES1O_IbLb1EEEEDaS1K_S1L_EUlS1K_E_NS1_11comp_targetILNS1_3genE3ELNS1_11target_archE908ELNS1_3gpuE7ELNS1_3repE0EEENS1_30default_config_static_selectorELNS0_4arch9wavefront6targetE0EEEvSY_,"axG",@progbits,_ZN7rocprim17ROCPRIM_400000_NS6detail17trampoline_kernelINS0_13select_configILj256ELj13ELNS0_17block_load_methodE3ELS4_3ELS4_3ELNS0_20block_scan_algorithmE0ELj4294967295EEENS1_25partition_config_selectorILNS1_17partition_subalgoE3EjNS0_10empty_typeEbEEZZNS1_14partition_implILS8_3ELb0ES6_jNS0_17counting_iteratorIjlEEPS9_SE_NS0_5tupleIJPjSE_EEENSF_IJSE_SE_EEES9_SG_JZNS1_25segmented_radix_sort_implINS0_14default_configELb0EPKaPaPKlPlN2at6native12_GLOBAL__N_18offset_tEEE10hipError_tPvRmT1_PNSt15iterator_traitsISY_E10value_typeET2_T3_PNSZ_IS14_E10value_typeET4_jRbjT5_S1A_jjP12ihipStream_tbEUljE_EEESV_SW_SX_S14_S18_S1A_T6_T7_T9_mT8_S1C_bDpT10_ENKUlT_T0_E_clISt17integral_constantIbLb0EES1O_IbLb1EEEEDaS1K_S1L_EUlS1K_E_NS1_11comp_targetILNS1_3genE3ELNS1_11target_archE908ELNS1_3gpuE7ELNS1_3repE0EEENS1_30default_config_static_selectorELNS0_4arch9wavefront6targetE0EEEvSY_,comdat
.Lfunc_end388:
	.size	_ZN7rocprim17ROCPRIM_400000_NS6detail17trampoline_kernelINS0_13select_configILj256ELj13ELNS0_17block_load_methodE3ELS4_3ELS4_3ELNS0_20block_scan_algorithmE0ELj4294967295EEENS1_25partition_config_selectorILNS1_17partition_subalgoE3EjNS0_10empty_typeEbEEZZNS1_14partition_implILS8_3ELb0ES6_jNS0_17counting_iteratorIjlEEPS9_SE_NS0_5tupleIJPjSE_EEENSF_IJSE_SE_EEES9_SG_JZNS1_25segmented_radix_sort_implINS0_14default_configELb0EPKaPaPKlPlN2at6native12_GLOBAL__N_18offset_tEEE10hipError_tPvRmT1_PNSt15iterator_traitsISY_E10value_typeET2_T3_PNSZ_IS14_E10value_typeET4_jRbjT5_S1A_jjP12ihipStream_tbEUljE_EEESV_SW_SX_S14_S18_S1A_T6_T7_T9_mT8_S1C_bDpT10_ENKUlT_T0_E_clISt17integral_constantIbLb0EES1O_IbLb1EEEEDaS1K_S1L_EUlS1K_E_NS1_11comp_targetILNS1_3genE3ELNS1_11target_archE908ELNS1_3gpuE7ELNS1_3repE0EEENS1_30default_config_static_selectorELNS0_4arch9wavefront6targetE0EEEvSY_, .Lfunc_end388-_ZN7rocprim17ROCPRIM_400000_NS6detail17trampoline_kernelINS0_13select_configILj256ELj13ELNS0_17block_load_methodE3ELS4_3ELS4_3ELNS0_20block_scan_algorithmE0ELj4294967295EEENS1_25partition_config_selectorILNS1_17partition_subalgoE3EjNS0_10empty_typeEbEEZZNS1_14partition_implILS8_3ELb0ES6_jNS0_17counting_iteratorIjlEEPS9_SE_NS0_5tupleIJPjSE_EEENSF_IJSE_SE_EEES9_SG_JZNS1_25segmented_radix_sort_implINS0_14default_configELb0EPKaPaPKlPlN2at6native12_GLOBAL__N_18offset_tEEE10hipError_tPvRmT1_PNSt15iterator_traitsISY_E10value_typeET2_T3_PNSZ_IS14_E10value_typeET4_jRbjT5_S1A_jjP12ihipStream_tbEUljE_EEESV_SW_SX_S14_S18_S1A_T6_T7_T9_mT8_S1C_bDpT10_ENKUlT_T0_E_clISt17integral_constantIbLb0EES1O_IbLb1EEEEDaS1K_S1L_EUlS1K_E_NS1_11comp_targetILNS1_3genE3ELNS1_11target_archE908ELNS1_3gpuE7ELNS1_3repE0EEENS1_30default_config_static_selectorELNS0_4arch9wavefront6targetE0EEEvSY_
                                        ; -- End function
	.section	.AMDGPU.csdata,"",@progbits
; Kernel info:
; codeLenInByte = 0
; NumSgprs: 0
; NumVgprs: 0
; ScratchSize: 0
; MemoryBound: 0
; FloatMode: 240
; IeeeMode: 1
; LDSByteSize: 0 bytes/workgroup (compile time only)
; SGPRBlocks: 0
; VGPRBlocks: 0
; NumSGPRsForWavesPerEU: 1
; NumVGPRsForWavesPerEU: 1
; Occupancy: 16
; WaveLimiterHint : 0
; COMPUTE_PGM_RSRC2:SCRATCH_EN: 0
; COMPUTE_PGM_RSRC2:USER_SGPR: 15
; COMPUTE_PGM_RSRC2:TRAP_HANDLER: 0
; COMPUTE_PGM_RSRC2:TGID_X_EN: 1
; COMPUTE_PGM_RSRC2:TGID_Y_EN: 0
; COMPUTE_PGM_RSRC2:TGID_Z_EN: 0
; COMPUTE_PGM_RSRC2:TIDIG_COMP_CNT: 0
	.section	.text._ZN7rocprim17ROCPRIM_400000_NS6detail17trampoline_kernelINS0_13select_configILj256ELj13ELNS0_17block_load_methodE3ELS4_3ELS4_3ELNS0_20block_scan_algorithmE0ELj4294967295EEENS1_25partition_config_selectorILNS1_17partition_subalgoE3EjNS0_10empty_typeEbEEZZNS1_14partition_implILS8_3ELb0ES6_jNS0_17counting_iteratorIjlEEPS9_SE_NS0_5tupleIJPjSE_EEENSF_IJSE_SE_EEES9_SG_JZNS1_25segmented_radix_sort_implINS0_14default_configELb0EPKaPaPKlPlN2at6native12_GLOBAL__N_18offset_tEEE10hipError_tPvRmT1_PNSt15iterator_traitsISY_E10value_typeET2_T3_PNSZ_IS14_E10value_typeET4_jRbjT5_S1A_jjP12ihipStream_tbEUljE_EEESV_SW_SX_S14_S18_S1A_T6_T7_T9_mT8_S1C_bDpT10_ENKUlT_T0_E_clISt17integral_constantIbLb0EES1O_IbLb1EEEEDaS1K_S1L_EUlS1K_E_NS1_11comp_targetILNS1_3genE2ELNS1_11target_archE906ELNS1_3gpuE6ELNS1_3repE0EEENS1_30default_config_static_selectorELNS0_4arch9wavefront6targetE0EEEvSY_,"axG",@progbits,_ZN7rocprim17ROCPRIM_400000_NS6detail17trampoline_kernelINS0_13select_configILj256ELj13ELNS0_17block_load_methodE3ELS4_3ELS4_3ELNS0_20block_scan_algorithmE0ELj4294967295EEENS1_25partition_config_selectorILNS1_17partition_subalgoE3EjNS0_10empty_typeEbEEZZNS1_14partition_implILS8_3ELb0ES6_jNS0_17counting_iteratorIjlEEPS9_SE_NS0_5tupleIJPjSE_EEENSF_IJSE_SE_EEES9_SG_JZNS1_25segmented_radix_sort_implINS0_14default_configELb0EPKaPaPKlPlN2at6native12_GLOBAL__N_18offset_tEEE10hipError_tPvRmT1_PNSt15iterator_traitsISY_E10value_typeET2_T3_PNSZ_IS14_E10value_typeET4_jRbjT5_S1A_jjP12ihipStream_tbEUljE_EEESV_SW_SX_S14_S18_S1A_T6_T7_T9_mT8_S1C_bDpT10_ENKUlT_T0_E_clISt17integral_constantIbLb0EES1O_IbLb1EEEEDaS1K_S1L_EUlS1K_E_NS1_11comp_targetILNS1_3genE2ELNS1_11target_archE906ELNS1_3gpuE6ELNS1_3repE0EEENS1_30default_config_static_selectorELNS0_4arch9wavefront6targetE0EEEvSY_,comdat
	.globl	_ZN7rocprim17ROCPRIM_400000_NS6detail17trampoline_kernelINS0_13select_configILj256ELj13ELNS0_17block_load_methodE3ELS4_3ELS4_3ELNS0_20block_scan_algorithmE0ELj4294967295EEENS1_25partition_config_selectorILNS1_17partition_subalgoE3EjNS0_10empty_typeEbEEZZNS1_14partition_implILS8_3ELb0ES6_jNS0_17counting_iteratorIjlEEPS9_SE_NS0_5tupleIJPjSE_EEENSF_IJSE_SE_EEES9_SG_JZNS1_25segmented_radix_sort_implINS0_14default_configELb0EPKaPaPKlPlN2at6native12_GLOBAL__N_18offset_tEEE10hipError_tPvRmT1_PNSt15iterator_traitsISY_E10value_typeET2_T3_PNSZ_IS14_E10value_typeET4_jRbjT5_S1A_jjP12ihipStream_tbEUljE_EEESV_SW_SX_S14_S18_S1A_T6_T7_T9_mT8_S1C_bDpT10_ENKUlT_T0_E_clISt17integral_constantIbLb0EES1O_IbLb1EEEEDaS1K_S1L_EUlS1K_E_NS1_11comp_targetILNS1_3genE2ELNS1_11target_archE906ELNS1_3gpuE6ELNS1_3repE0EEENS1_30default_config_static_selectorELNS0_4arch9wavefront6targetE0EEEvSY_ ; -- Begin function _ZN7rocprim17ROCPRIM_400000_NS6detail17trampoline_kernelINS0_13select_configILj256ELj13ELNS0_17block_load_methodE3ELS4_3ELS4_3ELNS0_20block_scan_algorithmE0ELj4294967295EEENS1_25partition_config_selectorILNS1_17partition_subalgoE3EjNS0_10empty_typeEbEEZZNS1_14partition_implILS8_3ELb0ES6_jNS0_17counting_iteratorIjlEEPS9_SE_NS0_5tupleIJPjSE_EEENSF_IJSE_SE_EEES9_SG_JZNS1_25segmented_radix_sort_implINS0_14default_configELb0EPKaPaPKlPlN2at6native12_GLOBAL__N_18offset_tEEE10hipError_tPvRmT1_PNSt15iterator_traitsISY_E10value_typeET2_T3_PNSZ_IS14_E10value_typeET4_jRbjT5_S1A_jjP12ihipStream_tbEUljE_EEESV_SW_SX_S14_S18_S1A_T6_T7_T9_mT8_S1C_bDpT10_ENKUlT_T0_E_clISt17integral_constantIbLb0EES1O_IbLb1EEEEDaS1K_S1L_EUlS1K_E_NS1_11comp_targetILNS1_3genE2ELNS1_11target_archE906ELNS1_3gpuE6ELNS1_3repE0EEENS1_30default_config_static_selectorELNS0_4arch9wavefront6targetE0EEEvSY_
	.p2align	8
	.type	_ZN7rocprim17ROCPRIM_400000_NS6detail17trampoline_kernelINS0_13select_configILj256ELj13ELNS0_17block_load_methodE3ELS4_3ELS4_3ELNS0_20block_scan_algorithmE0ELj4294967295EEENS1_25partition_config_selectorILNS1_17partition_subalgoE3EjNS0_10empty_typeEbEEZZNS1_14partition_implILS8_3ELb0ES6_jNS0_17counting_iteratorIjlEEPS9_SE_NS0_5tupleIJPjSE_EEENSF_IJSE_SE_EEES9_SG_JZNS1_25segmented_radix_sort_implINS0_14default_configELb0EPKaPaPKlPlN2at6native12_GLOBAL__N_18offset_tEEE10hipError_tPvRmT1_PNSt15iterator_traitsISY_E10value_typeET2_T3_PNSZ_IS14_E10value_typeET4_jRbjT5_S1A_jjP12ihipStream_tbEUljE_EEESV_SW_SX_S14_S18_S1A_T6_T7_T9_mT8_S1C_bDpT10_ENKUlT_T0_E_clISt17integral_constantIbLb0EES1O_IbLb1EEEEDaS1K_S1L_EUlS1K_E_NS1_11comp_targetILNS1_3genE2ELNS1_11target_archE906ELNS1_3gpuE6ELNS1_3repE0EEENS1_30default_config_static_selectorELNS0_4arch9wavefront6targetE0EEEvSY_,@function
_ZN7rocprim17ROCPRIM_400000_NS6detail17trampoline_kernelINS0_13select_configILj256ELj13ELNS0_17block_load_methodE3ELS4_3ELS4_3ELNS0_20block_scan_algorithmE0ELj4294967295EEENS1_25partition_config_selectorILNS1_17partition_subalgoE3EjNS0_10empty_typeEbEEZZNS1_14partition_implILS8_3ELb0ES6_jNS0_17counting_iteratorIjlEEPS9_SE_NS0_5tupleIJPjSE_EEENSF_IJSE_SE_EEES9_SG_JZNS1_25segmented_radix_sort_implINS0_14default_configELb0EPKaPaPKlPlN2at6native12_GLOBAL__N_18offset_tEEE10hipError_tPvRmT1_PNSt15iterator_traitsISY_E10value_typeET2_T3_PNSZ_IS14_E10value_typeET4_jRbjT5_S1A_jjP12ihipStream_tbEUljE_EEESV_SW_SX_S14_S18_S1A_T6_T7_T9_mT8_S1C_bDpT10_ENKUlT_T0_E_clISt17integral_constantIbLb0EES1O_IbLb1EEEEDaS1K_S1L_EUlS1K_E_NS1_11comp_targetILNS1_3genE2ELNS1_11target_archE906ELNS1_3gpuE6ELNS1_3repE0EEENS1_30default_config_static_selectorELNS0_4arch9wavefront6targetE0EEEvSY_: ; @_ZN7rocprim17ROCPRIM_400000_NS6detail17trampoline_kernelINS0_13select_configILj256ELj13ELNS0_17block_load_methodE3ELS4_3ELS4_3ELNS0_20block_scan_algorithmE0ELj4294967295EEENS1_25partition_config_selectorILNS1_17partition_subalgoE3EjNS0_10empty_typeEbEEZZNS1_14partition_implILS8_3ELb0ES6_jNS0_17counting_iteratorIjlEEPS9_SE_NS0_5tupleIJPjSE_EEENSF_IJSE_SE_EEES9_SG_JZNS1_25segmented_radix_sort_implINS0_14default_configELb0EPKaPaPKlPlN2at6native12_GLOBAL__N_18offset_tEEE10hipError_tPvRmT1_PNSt15iterator_traitsISY_E10value_typeET2_T3_PNSZ_IS14_E10value_typeET4_jRbjT5_S1A_jjP12ihipStream_tbEUljE_EEESV_SW_SX_S14_S18_S1A_T6_T7_T9_mT8_S1C_bDpT10_ENKUlT_T0_E_clISt17integral_constantIbLb0EES1O_IbLb1EEEEDaS1K_S1L_EUlS1K_E_NS1_11comp_targetILNS1_3genE2ELNS1_11target_archE906ELNS1_3gpuE6ELNS1_3repE0EEENS1_30default_config_static_selectorELNS0_4arch9wavefront6targetE0EEEvSY_
; %bb.0:
	.section	.rodata,"a",@progbits
	.p2align	6, 0x0
	.amdhsa_kernel _ZN7rocprim17ROCPRIM_400000_NS6detail17trampoline_kernelINS0_13select_configILj256ELj13ELNS0_17block_load_methodE3ELS4_3ELS4_3ELNS0_20block_scan_algorithmE0ELj4294967295EEENS1_25partition_config_selectorILNS1_17partition_subalgoE3EjNS0_10empty_typeEbEEZZNS1_14partition_implILS8_3ELb0ES6_jNS0_17counting_iteratorIjlEEPS9_SE_NS0_5tupleIJPjSE_EEENSF_IJSE_SE_EEES9_SG_JZNS1_25segmented_radix_sort_implINS0_14default_configELb0EPKaPaPKlPlN2at6native12_GLOBAL__N_18offset_tEEE10hipError_tPvRmT1_PNSt15iterator_traitsISY_E10value_typeET2_T3_PNSZ_IS14_E10value_typeET4_jRbjT5_S1A_jjP12ihipStream_tbEUljE_EEESV_SW_SX_S14_S18_S1A_T6_T7_T9_mT8_S1C_bDpT10_ENKUlT_T0_E_clISt17integral_constantIbLb0EES1O_IbLb1EEEEDaS1K_S1L_EUlS1K_E_NS1_11comp_targetILNS1_3genE2ELNS1_11target_archE906ELNS1_3gpuE6ELNS1_3repE0EEENS1_30default_config_static_selectorELNS0_4arch9wavefront6targetE0EEEvSY_
		.amdhsa_group_segment_fixed_size 0
		.amdhsa_private_segment_fixed_size 0
		.amdhsa_kernarg_size 152
		.amdhsa_user_sgpr_count 15
		.amdhsa_user_sgpr_dispatch_ptr 0
		.amdhsa_user_sgpr_queue_ptr 0
		.amdhsa_user_sgpr_kernarg_segment_ptr 1
		.amdhsa_user_sgpr_dispatch_id 0
		.amdhsa_user_sgpr_private_segment_size 0
		.amdhsa_wavefront_size32 1
		.amdhsa_uses_dynamic_stack 0
		.amdhsa_enable_private_segment 0
		.amdhsa_system_sgpr_workgroup_id_x 1
		.amdhsa_system_sgpr_workgroup_id_y 0
		.amdhsa_system_sgpr_workgroup_id_z 0
		.amdhsa_system_sgpr_workgroup_info 0
		.amdhsa_system_vgpr_workitem_id 0
		.amdhsa_next_free_vgpr 1
		.amdhsa_next_free_sgpr 1
		.amdhsa_reserve_vcc 0
		.amdhsa_float_round_mode_32 0
		.amdhsa_float_round_mode_16_64 0
		.amdhsa_float_denorm_mode_32 3
		.amdhsa_float_denorm_mode_16_64 3
		.amdhsa_dx10_clamp 1
		.amdhsa_ieee_mode 1
		.amdhsa_fp16_overflow 0
		.amdhsa_workgroup_processor_mode 1
		.amdhsa_memory_ordered 1
		.amdhsa_forward_progress 0
		.amdhsa_shared_vgpr_count 0
		.amdhsa_exception_fp_ieee_invalid_op 0
		.amdhsa_exception_fp_denorm_src 0
		.amdhsa_exception_fp_ieee_div_zero 0
		.amdhsa_exception_fp_ieee_overflow 0
		.amdhsa_exception_fp_ieee_underflow 0
		.amdhsa_exception_fp_ieee_inexact 0
		.amdhsa_exception_int_div_zero 0
	.end_amdhsa_kernel
	.section	.text._ZN7rocprim17ROCPRIM_400000_NS6detail17trampoline_kernelINS0_13select_configILj256ELj13ELNS0_17block_load_methodE3ELS4_3ELS4_3ELNS0_20block_scan_algorithmE0ELj4294967295EEENS1_25partition_config_selectorILNS1_17partition_subalgoE3EjNS0_10empty_typeEbEEZZNS1_14partition_implILS8_3ELb0ES6_jNS0_17counting_iteratorIjlEEPS9_SE_NS0_5tupleIJPjSE_EEENSF_IJSE_SE_EEES9_SG_JZNS1_25segmented_radix_sort_implINS0_14default_configELb0EPKaPaPKlPlN2at6native12_GLOBAL__N_18offset_tEEE10hipError_tPvRmT1_PNSt15iterator_traitsISY_E10value_typeET2_T3_PNSZ_IS14_E10value_typeET4_jRbjT5_S1A_jjP12ihipStream_tbEUljE_EEESV_SW_SX_S14_S18_S1A_T6_T7_T9_mT8_S1C_bDpT10_ENKUlT_T0_E_clISt17integral_constantIbLb0EES1O_IbLb1EEEEDaS1K_S1L_EUlS1K_E_NS1_11comp_targetILNS1_3genE2ELNS1_11target_archE906ELNS1_3gpuE6ELNS1_3repE0EEENS1_30default_config_static_selectorELNS0_4arch9wavefront6targetE0EEEvSY_,"axG",@progbits,_ZN7rocprim17ROCPRIM_400000_NS6detail17trampoline_kernelINS0_13select_configILj256ELj13ELNS0_17block_load_methodE3ELS4_3ELS4_3ELNS0_20block_scan_algorithmE0ELj4294967295EEENS1_25partition_config_selectorILNS1_17partition_subalgoE3EjNS0_10empty_typeEbEEZZNS1_14partition_implILS8_3ELb0ES6_jNS0_17counting_iteratorIjlEEPS9_SE_NS0_5tupleIJPjSE_EEENSF_IJSE_SE_EEES9_SG_JZNS1_25segmented_radix_sort_implINS0_14default_configELb0EPKaPaPKlPlN2at6native12_GLOBAL__N_18offset_tEEE10hipError_tPvRmT1_PNSt15iterator_traitsISY_E10value_typeET2_T3_PNSZ_IS14_E10value_typeET4_jRbjT5_S1A_jjP12ihipStream_tbEUljE_EEESV_SW_SX_S14_S18_S1A_T6_T7_T9_mT8_S1C_bDpT10_ENKUlT_T0_E_clISt17integral_constantIbLb0EES1O_IbLb1EEEEDaS1K_S1L_EUlS1K_E_NS1_11comp_targetILNS1_3genE2ELNS1_11target_archE906ELNS1_3gpuE6ELNS1_3repE0EEENS1_30default_config_static_selectorELNS0_4arch9wavefront6targetE0EEEvSY_,comdat
.Lfunc_end389:
	.size	_ZN7rocprim17ROCPRIM_400000_NS6detail17trampoline_kernelINS0_13select_configILj256ELj13ELNS0_17block_load_methodE3ELS4_3ELS4_3ELNS0_20block_scan_algorithmE0ELj4294967295EEENS1_25partition_config_selectorILNS1_17partition_subalgoE3EjNS0_10empty_typeEbEEZZNS1_14partition_implILS8_3ELb0ES6_jNS0_17counting_iteratorIjlEEPS9_SE_NS0_5tupleIJPjSE_EEENSF_IJSE_SE_EEES9_SG_JZNS1_25segmented_radix_sort_implINS0_14default_configELb0EPKaPaPKlPlN2at6native12_GLOBAL__N_18offset_tEEE10hipError_tPvRmT1_PNSt15iterator_traitsISY_E10value_typeET2_T3_PNSZ_IS14_E10value_typeET4_jRbjT5_S1A_jjP12ihipStream_tbEUljE_EEESV_SW_SX_S14_S18_S1A_T6_T7_T9_mT8_S1C_bDpT10_ENKUlT_T0_E_clISt17integral_constantIbLb0EES1O_IbLb1EEEEDaS1K_S1L_EUlS1K_E_NS1_11comp_targetILNS1_3genE2ELNS1_11target_archE906ELNS1_3gpuE6ELNS1_3repE0EEENS1_30default_config_static_selectorELNS0_4arch9wavefront6targetE0EEEvSY_, .Lfunc_end389-_ZN7rocprim17ROCPRIM_400000_NS6detail17trampoline_kernelINS0_13select_configILj256ELj13ELNS0_17block_load_methodE3ELS4_3ELS4_3ELNS0_20block_scan_algorithmE0ELj4294967295EEENS1_25partition_config_selectorILNS1_17partition_subalgoE3EjNS0_10empty_typeEbEEZZNS1_14partition_implILS8_3ELb0ES6_jNS0_17counting_iteratorIjlEEPS9_SE_NS0_5tupleIJPjSE_EEENSF_IJSE_SE_EEES9_SG_JZNS1_25segmented_radix_sort_implINS0_14default_configELb0EPKaPaPKlPlN2at6native12_GLOBAL__N_18offset_tEEE10hipError_tPvRmT1_PNSt15iterator_traitsISY_E10value_typeET2_T3_PNSZ_IS14_E10value_typeET4_jRbjT5_S1A_jjP12ihipStream_tbEUljE_EEESV_SW_SX_S14_S18_S1A_T6_T7_T9_mT8_S1C_bDpT10_ENKUlT_T0_E_clISt17integral_constantIbLb0EES1O_IbLb1EEEEDaS1K_S1L_EUlS1K_E_NS1_11comp_targetILNS1_3genE2ELNS1_11target_archE906ELNS1_3gpuE6ELNS1_3repE0EEENS1_30default_config_static_selectorELNS0_4arch9wavefront6targetE0EEEvSY_
                                        ; -- End function
	.section	.AMDGPU.csdata,"",@progbits
; Kernel info:
; codeLenInByte = 0
; NumSgprs: 0
; NumVgprs: 0
; ScratchSize: 0
; MemoryBound: 0
; FloatMode: 240
; IeeeMode: 1
; LDSByteSize: 0 bytes/workgroup (compile time only)
; SGPRBlocks: 0
; VGPRBlocks: 0
; NumSGPRsForWavesPerEU: 1
; NumVGPRsForWavesPerEU: 1
; Occupancy: 16
; WaveLimiterHint : 0
; COMPUTE_PGM_RSRC2:SCRATCH_EN: 0
; COMPUTE_PGM_RSRC2:USER_SGPR: 15
; COMPUTE_PGM_RSRC2:TRAP_HANDLER: 0
; COMPUTE_PGM_RSRC2:TGID_X_EN: 1
; COMPUTE_PGM_RSRC2:TGID_Y_EN: 0
; COMPUTE_PGM_RSRC2:TGID_Z_EN: 0
; COMPUTE_PGM_RSRC2:TIDIG_COMP_CNT: 0
	.section	.text._ZN7rocprim17ROCPRIM_400000_NS6detail17trampoline_kernelINS0_13select_configILj256ELj13ELNS0_17block_load_methodE3ELS4_3ELS4_3ELNS0_20block_scan_algorithmE0ELj4294967295EEENS1_25partition_config_selectorILNS1_17partition_subalgoE3EjNS0_10empty_typeEbEEZZNS1_14partition_implILS8_3ELb0ES6_jNS0_17counting_iteratorIjlEEPS9_SE_NS0_5tupleIJPjSE_EEENSF_IJSE_SE_EEES9_SG_JZNS1_25segmented_radix_sort_implINS0_14default_configELb0EPKaPaPKlPlN2at6native12_GLOBAL__N_18offset_tEEE10hipError_tPvRmT1_PNSt15iterator_traitsISY_E10value_typeET2_T3_PNSZ_IS14_E10value_typeET4_jRbjT5_S1A_jjP12ihipStream_tbEUljE_EEESV_SW_SX_S14_S18_S1A_T6_T7_T9_mT8_S1C_bDpT10_ENKUlT_T0_E_clISt17integral_constantIbLb0EES1O_IbLb1EEEEDaS1K_S1L_EUlS1K_E_NS1_11comp_targetILNS1_3genE10ELNS1_11target_archE1200ELNS1_3gpuE4ELNS1_3repE0EEENS1_30default_config_static_selectorELNS0_4arch9wavefront6targetE0EEEvSY_,"axG",@progbits,_ZN7rocprim17ROCPRIM_400000_NS6detail17trampoline_kernelINS0_13select_configILj256ELj13ELNS0_17block_load_methodE3ELS4_3ELS4_3ELNS0_20block_scan_algorithmE0ELj4294967295EEENS1_25partition_config_selectorILNS1_17partition_subalgoE3EjNS0_10empty_typeEbEEZZNS1_14partition_implILS8_3ELb0ES6_jNS0_17counting_iteratorIjlEEPS9_SE_NS0_5tupleIJPjSE_EEENSF_IJSE_SE_EEES9_SG_JZNS1_25segmented_radix_sort_implINS0_14default_configELb0EPKaPaPKlPlN2at6native12_GLOBAL__N_18offset_tEEE10hipError_tPvRmT1_PNSt15iterator_traitsISY_E10value_typeET2_T3_PNSZ_IS14_E10value_typeET4_jRbjT5_S1A_jjP12ihipStream_tbEUljE_EEESV_SW_SX_S14_S18_S1A_T6_T7_T9_mT8_S1C_bDpT10_ENKUlT_T0_E_clISt17integral_constantIbLb0EES1O_IbLb1EEEEDaS1K_S1L_EUlS1K_E_NS1_11comp_targetILNS1_3genE10ELNS1_11target_archE1200ELNS1_3gpuE4ELNS1_3repE0EEENS1_30default_config_static_selectorELNS0_4arch9wavefront6targetE0EEEvSY_,comdat
	.globl	_ZN7rocprim17ROCPRIM_400000_NS6detail17trampoline_kernelINS0_13select_configILj256ELj13ELNS0_17block_load_methodE3ELS4_3ELS4_3ELNS0_20block_scan_algorithmE0ELj4294967295EEENS1_25partition_config_selectorILNS1_17partition_subalgoE3EjNS0_10empty_typeEbEEZZNS1_14partition_implILS8_3ELb0ES6_jNS0_17counting_iteratorIjlEEPS9_SE_NS0_5tupleIJPjSE_EEENSF_IJSE_SE_EEES9_SG_JZNS1_25segmented_radix_sort_implINS0_14default_configELb0EPKaPaPKlPlN2at6native12_GLOBAL__N_18offset_tEEE10hipError_tPvRmT1_PNSt15iterator_traitsISY_E10value_typeET2_T3_PNSZ_IS14_E10value_typeET4_jRbjT5_S1A_jjP12ihipStream_tbEUljE_EEESV_SW_SX_S14_S18_S1A_T6_T7_T9_mT8_S1C_bDpT10_ENKUlT_T0_E_clISt17integral_constantIbLb0EES1O_IbLb1EEEEDaS1K_S1L_EUlS1K_E_NS1_11comp_targetILNS1_3genE10ELNS1_11target_archE1200ELNS1_3gpuE4ELNS1_3repE0EEENS1_30default_config_static_selectorELNS0_4arch9wavefront6targetE0EEEvSY_ ; -- Begin function _ZN7rocprim17ROCPRIM_400000_NS6detail17trampoline_kernelINS0_13select_configILj256ELj13ELNS0_17block_load_methodE3ELS4_3ELS4_3ELNS0_20block_scan_algorithmE0ELj4294967295EEENS1_25partition_config_selectorILNS1_17partition_subalgoE3EjNS0_10empty_typeEbEEZZNS1_14partition_implILS8_3ELb0ES6_jNS0_17counting_iteratorIjlEEPS9_SE_NS0_5tupleIJPjSE_EEENSF_IJSE_SE_EEES9_SG_JZNS1_25segmented_radix_sort_implINS0_14default_configELb0EPKaPaPKlPlN2at6native12_GLOBAL__N_18offset_tEEE10hipError_tPvRmT1_PNSt15iterator_traitsISY_E10value_typeET2_T3_PNSZ_IS14_E10value_typeET4_jRbjT5_S1A_jjP12ihipStream_tbEUljE_EEESV_SW_SX_S14_S18_S1A_T6_T7_T9_mT8_S1C_bDpT10_ENKUlT_T0_E_clISt17integral_constantIbLb0EES1O_IbLb1EEEEDaS1K_S1L_EUlS1K_E_NS1_11comp_targetILNS1_3genE10ELNS1_11target_archE1200ELNS1_3gpuE4ELNS1_3repE0EEENS1_30default_config_static_selectorELNS0_4arch9wavefront6targetE0EEEvSY_
	.p2align	8
	.type	_ZN7rocprim17ROCPRIM_400000_NS6detail17trampoline_kernelINS0_13select_configILj256ELj13ELNS0_17block_load_methodE3ELS4_3ELS4_3ELNS0_20block_scan_algorithmE0ELj4294967295EEENS1_25partition_config_selectorILNS1_17partition_subalgoE3EjNS0_10empty_typeEbEEZZNS1_14partition_implILS8_3ELb0ES6_jNS0_17counting_iteratorIjlEEPS9_SE_NS0_5tupleIJPjSE_EEENSF_IJSE_SE_EEES9_SG_JZNS1_25segmented_radix_sort_implINS0_14default_configELb0EPKaPaPKlPlN2at6native12_GLOBAL__N_18offset_tEEE10hipError_tPvRmT1_PNSt15iterator_traitsISY_E10value_typeET2_T3_PNSZ_IS14_E10value_typeET4_jRbjT5_S1A_jjP12ihipStream_tbEUljE_EEESV_SW_SX_S14_S18_S1A_T6_T7_T9_mT8_S1C_bDpT10_ENKUlT_T0_E_clISt17integral_constantIbLb0EES1O_IbLb1EEEEDaS1K_S1L_EUlS1K_E_NS1_11comp_targetILNS1_3genE10ELNS1_11target_archE1200ELNS1_3gpuE4ELNS1_3repE0EEENS1_30default_config_static_selectorELNS0_4arch9wavefront6targetE0EEEvSY_,@function
_ZN7rocprim17ROCPRIM_400000_NS6detail17trampoline_kernelINS0_13select_configILj256ELj13ELNS0_17block_load_methodE3ELS4_3ELS4_3ELNS0_20block_scan_algorithmE0ELj4294967295EEENS1_25partition_config_selectorILNS1_17partition_subalgoE3EjNS0_10empty_typeEbEEZZNS1_14partition_implILS8_3ELb0ES6_jNS0_17counting_iteratorIjlEEPS9_SE_NS0_5tupleIJPjSE_EEENSF_IJSE_SE_EEES9_SG_JZNS1_25segmented_radix_sort_implINS0_14default_configELb0EPKaPaPKlPlN2at6native12_GLOBAL__N_18offset_tEEE10hipError_tPvRmT1_PNSt15iterator_traitsISY_E10value_typeET2_T3_PNSZ_IS14_E10value_typeET4_jRbjT5_S1A_jjP12ihipStream_tbEUljE_EEESV_SW_SX_S14_S18_S1A_T6_T7_T9_mT8_S1C_bDpT10_ENKUlT_T0_E_clISt17integral_constantIbLb0EES1O_IbLb1EEEEDaS1K_S1L_EUlS1K_E_NS1_11comp_targetILNS1_3genE10ELNS1_11target_archE1200ELNS1_3gpuE4ELNS1_3repE0EEENS1_30default_config_static_selectorELNS0_4arch9wavefront6targetE0EEEvSY_: ; @_ZN7rocprim17ROCPRIM_400000_NS6detail17trampoline_kernelINS0_13select_configILj256ELj13ELNS0_17block_load_methodE3ELS4_3ELS4_3ELNS0_20block_scan_algorithmE0ELj4294967295EEENS1_25partition_config_selectorILNS1_17partition_subalgoE3EjNS0_10empty_typeEbEEZZNS1_14partition_implILS8_3ELb0ES6_jNS0_17counting_iteratorIjlEEPS9_SE_NS0_5tupleIJPjSE_EEENSF_IJSE_SE_EEES9_SG_JZNS1_25segmented_radix_sort_implINS0_14default_configELb0EPKaPaPKlPlN2at6native12_GLOBAL__N_18offset_tEEE10hipError_tPvRmT1_PNSt15iterator_traitsISY_E10value_typeET2_T3_PNSZ_IS14_E10value_typeET4_jRbjT5_S1A_jjP12ihipStream_tbEUljE_EEESV_SW_SX_S14_S18_S1A_T6_T7_T9_mT8_S1C_bDpT10_ENKUlT_T0_E_clISt17integral_constantIbLb0EES1O_IbLb1EEEEDaS1K_S1L_EUlS1K_E_NS1_11comp_targetILNS1_3genE10ELNS1_11target_archE1200ELNS1_3gpuE4ELNS1_3repE0EEENS1_30default_config_static_selectorELNS0_4arch9wavefront6targetE0EEEvSY_
; %bb.0:
	.section	.rodata,"a",@progbits
	.p2align	6, 0x0
	.amdhsa_kernel _ZN7rocprim17ROCPRIM_400000_NS6detail17trampoline_kernelINS0_13select_configILj256ELj13ELNS0_17block_load_methodE3ELS4_3ELS4_3ELNS0_20block_scan_algorithmE0ELj4294967295EEENS1_25partition_config_selectorILNS1_17partition_subalgoE3EjNS0_10empty_typeEbEEZZNS1_14partition_implILS8_3ELb0ES6_jNS0_17counting_iteratorIjlEEPS9_SE_NS0_5tupleIJPjSE_EEENSF_IJSE_SE_EEES9_SG_JZNS1_25segmented_radix_sort_implINS0_14default_configELb0EPKaPaPKlPlN2at6native12_GLOBAL__N_18offset_tEEE10hipError_tPvRmT1_PNSt15iterator_traitsISY_E10value_typeET2_T3_PNSZ_IS14_E10value_typeET4_jRbjT5_S1A_jjP12ihipStream_tbEUljE_EEESV_SW_SX_S14_S18_S1A_T6_T7_T9_mT8_S1C_bDpT10_ENKUlT_T0_E_clISt17integral_constantIbLb0EES1O_IbLb1EEEEDaS1K_S1L_EUlS1K_E_NS1_11comp_targetILNS1_3genE10ELNS1_11target_archE1200ELNS1_3gpuE4ELNS1_3repE0EEENS1_30default_config_static_selectorELNS0_4arch9wavefront6targetE0EEEvSY_
		.amdhsa_group_segment_fixed_size 0
		.amdhsa_private_segment_fixed_size 0
		.amdhsa_kernarg_size 152
		.amdhsa_user_sgpr_count 15
		.amdhsa_user_sgpr_dispatch_ptr 0
		.amdhsa_user_sgpr_queue_ptr 0
		.amdhsa_user_sgpr_kernarg_segment_ptr 1
		.amdhsa_user_sgpr_dispatch_id 0
		.amdhsa_user_sgpr_private_segment_size 0
		.amdhsa_wavefront_size32 1
		.amdhsa_uses_dynamic_stack 0
		.amdhsa_enable_private_segment 0
		.amdhsa_system_sgpr_workgroup_id_x 1
		.amdhsa_system_sgpr_workgroup_id_y 0
		.amdhsa_system_sgpr_workgroup_id_z 0
		.amdhsa_system_sgpr_workgroup_info 0
		.amdhsa_system_vgpr_workitem_id 0
		.amdhsa_next_free_vgpr 1
		.amdhsa_next_free_sgpr 1
		.amdhsa_reserve_vcc 0
		.amdhsa_float_round_mode_32 0
		.amdhsa_float_round_mode_16_64 0
		.amdhsa_float_denorm_mode_32 3
		.amdhsa_float_denorm_mode_16_64 3
		.amdhsa_dx10_clamp 1
		.amdhsa_ieee_mode 1
		.amdhsa_fp16_overflow 0
		.amdhsa_workgroup_processor_mode 1
		.amdhsa_memory_ordered 1
		.amdhsa_forward_progress 0
		.amdhsa_shared_vgpr_count 0
		.amdhsa_exception_fp_ieee_invalid_op 0
		.amdhsa_exception_fp_denorm_src 0
		.amdhsa_exception_fp_ieee_div_zero 0
		.amdhsa_exception_fp_ieee_overflow 0
		.amdhsa_exception_fp_ieee_underflow 0
		.amdhsa_exception_fp_ieee_inexact 0
		.amdhsa_exception_int_div_zero 0
	.end_amdhsa_kernel
	.section	.text._ZN7rocprim17ROCPRIM_400000_NS6detail17trampoline_kernelINS0_13select_configILj256ELj13ELNS0_17block_load_methodE3ELS4_3ELS4_3ELNS0_20block_scan_algorithmE0ELj4294967295EEENS1_25partition_config_selectorILNS1_17partition_subalgoE3EjNS0_10empty_typeEbEEZZNS1_14partition_implILS8_3ELb0ES6_jNS0_17counting_iteratorIjlEEPS9_SE_NS0_5tupleIJPjSE_EEENSF_IJSE_SE_EEES9_SG_JZNS1_25segmented_radix_sort_implINS0_14default_configELb0EPKaPaPKlPlN2at6native12_GLOBAL__N_18offset_tEEE10hipError_tPvRmT1_PNSt15iterator_traitsISY_E10value_typeET2_T3_PNSZ_IS14_E10value_typeET4_jRbjT5_S1A_jjP12ihipStream_tbEUljE_EEESV_SW_SX_S14_S18_S1A_T6_T7_T9_mT8_S1C_bDpT10_ENKUlT_T0_E_clISt17integral_constantIbLb0EES1O_IbLb1EEEEDaS1K_S1L_EUlS1K_E_NS1_11comp_targetILNS1_3genE10ELNS1_11target_archE1200ELNS1_3gpuE4ELNS1_3repE0EEENS1_30default_config_static_selectorELNS0_4arch9wavefront6targetE0EEEvSY_,"axG",@progbits,_ZN7rocprim17ROCPRIM_400000_NS6detail17trampoline_kernelINS0_13select_configILj256ELj13ELNS0_17block_load_methodE3ELS4_3ELS4_3ELNS0_20block_scan_algorithmE0ELj4294967295EEENS1_25partition_config_selectorILNS1_17partition_subalgoE3EjNS0_10empty_typeEbEEZZNS1_14partition_implILS8_3ELb0ES6_jNS0_17counting_iteratorIjlEEPS9_SE_NS0_5tupleIJPjSE_EEENSF_IJSE_SE_EEES9_SG_JZNS1_25segmented_radix_sort_implINS0_14default_configELb0EPKaPaPKlPlN2at6native12_GLOBAL__N_18offset_tEEE10hipError_tPvRmT1_PNSt15iterator_traitsISY_E10value_typeET2_T3_PNSZ_IS14_E10value_typeET4_jRbjT5_S1A_jjP12ihipStream_tbEUljE_EEESV_SW_SX_S14_S18_S1A_T6_T7_T9_mT8_S1C_bDpT10_ENKUlT_T0_E_clISt17integral_constantIbLb0EES1O_IbLb1EEEEDaS1K_S1L_EUlS1K_E_NS1_11comp_targetILNS1_3genE10ELNS1_11target_archE1200ELNS1_3gpuE4ELNS1_3repE0EEENS1_30default_config_static_selectorELNS0_4arch9wavefront6targetE0EEEvSY_,comdat
.Lfunc_end390:
	.size	_ZN7rocprim17ROCPRIM_400000_NS6detail17trampoline_kernelINS0_13select_configILj256ELj13ELNS0_17block_load_methodE3ELS4_3ELS4_3ELNS0_20block_scan_algorithmE0ELj4294967295EEENS1_25partition_config_selectorILNS1_17partition_subalgoE3EjNS0_10empty_typeEbEEZZNS1_14partition_implILS8_3ELb0ES6_jNS0_17counting_iteratorIjlEEPS9_SE_NS0_5tupleIJPjSE_EEENSF_IJSE_SE_EEES9_SG_JZNS1_25segmented_radix_sort_implINS0_14default_configELb0EPKaPaPKlPlN2at6native12_GLOBAL__N_18offset_tEEE10hipError_tPvRmT1_PNSt15iterator_traitsISY_E10value_typeET2_T3_PNSZ_IS14_E10value_typeET4_jRbjT5_S1A_jjP12ihipStream_tbEUljE_EEESV_SW_SX_S14_S18_S1A_T6_T7_T9_mT8_S1C_bDpT10_ENKUlT_T0_E_clISt17integral_constantIbLb0EES1O_IbLb1EEEEDaS1K_S1L_EUlS1K_E_NS1_11comp_targetILNS1_3genE10ELNS1_11target_archE1200ELNS1_3gpuE4ELNS1_3repE0EEENS1_30default_config_static_selectorELNS0_4arch9wavefront6targetE0EEEvSY_, .Lfunc_end390-_ZN7rocprim17ROCPRIM_400000_NS6detail17trampoline_kernelINS0_13select_configILj256ELj13ELNS0_17block_load_methodE3ELS4_3ELS4_3ELNS0_20block_scan_algorithmE0ELj4294967295EEENS1_25partition_config_selectorILNS1_17partition_subalgoE3EjNS0_10empty_typeEbEEZZNS1_14partition_implILS8_3ELb0ES6_jNS0_17counting_iteratorIjlEEPS9_SE_NS0_5tupleIJPjSE_EEENSF_IJSE_SE_EEES9_SG_JZNS1_25segmented_radix_sort_implINS0_14default_configELb0EPKaPaPKlPlN2at6native12_GLOBAL__N_18offset_tEEE10hipError_tPvRmT1_PNSt15iterator_traitsISY_E10value_typeET2_T3_PNSZ_IS14_E10value_typeET4_jRbjT5_S1A_jjP12ihipStream_tbEUljE_EEESV_SW_SX_S14_S18_S1A_T6_T7_T9_mT8_S1C_bDpT10_ENKUlT_T0_E_clISt17integral_constantIbLb0EES1O_IbLb1EEEEDaS1K_S1L_EUlS1K_E_NS1_11comp_targetILNS1_3genE10ELNS1_11target_archE1200ELNS1_3gpuE4ELNS1_3repE0EEENS1_30default_config_static_selectorELNS0_4arch9wavefront6targetE0EEEvSY_
                                        ; -- End function
	.section	.AMDGPU.csdata,"",@progbits
; Kernel info:
; codeLenInByte = 0
; NumSgprs: 0
; NumVgprs: 0
; ScratchSize: 0
; MemoryBound: 0
; FloatMode: 240
; IeeeMode: 1
; LDSByteSize: 0 bytes/workgroup (compile time only)
; SGPRBlocks: 0
; VGPRBlocks: 0
; NumSGPRsForWavesPerEU: 1
; NumVGPRsForWavesPerEU: 1
; Occupancy: 16
; WaveLimiterHint : 0
; COMPUTE_PGM_RSRC2:SCRATCH_EN: 0
; COMPUTE_PGM_RSRC2:USER_SGPR: 15
; COMPUTE_PGM_RSRC2:TRAP_HANDLER: 0
; COMPUTE_PGM_RSRC2:TGID_X_EN: 1
; COMPUTE_PGM_RSRC2:TGID_Y_EN: 0
; COMPUTE_PGM_RSRC2:TGID_Z_EN: 0
; COMPUTE_PGM_RSRC2:TIDIG_COMP_CNT: 0
	.section	.text._ZN7rocprim17ROCPRIM_400000_NS6detail17trampoline_kernelINS0_13select_configILj256ELj13ELNS0_17block_load_methodE3ELS4_3ELS4_3ELNS0_20block_scan_algorithmE0ELj4294967295EEENS1_25partition_config_selectorILNS1_17partition_subalgoE3EjNS0_10empty_typeEbEEZZNS1_14partition_implILS8_3ELb0ES6_jNS0_17counting_iteratorIjlEEPS9_SE_NS0_5tupleIJPjSE_EEENSF_IJSE_SE_EEES9_SG_JZNS1_25segmented_radix_sort_implINS0_14default_configELb0EPKaPaPKlPlN2at6native12_GLOBAL__N_18offset_tEEE10hipError_tPvRmT1_PNSt15iterator_traitsISY_E10value_typeET2_T3_PNSZ_IS14_E10value_typeET4_jRbjT5_S1A_jjP12ihipStream_tbEUljE_EEESV_SW_SX_S14_S18_S1A_T6_T7_T9_mT8_S1C_bDpT10_ENKUlT_T0_E_clISt17integral_constantIbLb0EES1O_IbLb1EEEEDaS1K_S1L_EUlS1K_E_NS1_11comp_targetILNS1_3genE9ELNS1_11target_archE1100ELNS1_3gpuE3ELNS1_3repE0EEENS1_30default_config_static_selectorELNS0_4arch9wavefront6targetE0EEEvSY_,"axG",@progbits,_ZN7rocprim17ROCPRIM_400000_NS6detail17trampoline_kernelINS0_13select_configILj256ELj13ELNS0_17block_load_methodE3ELS4_3ELS4_3ELNS0_20block_scan_algorithmE0ELj4294967295EEENS1_25partition_config_selectorILNS1_17partition_subalgoE3EjNS0_10empty_typeEbEEZZNS1_14partition_implILS8_3ELb0ES6_jNS0_17counting_iteratorIjlEEPS9_SE_NS0_5tupleIJPjSE_EEENSF_IJSE_SE_EEES9_SG_JZNS1_25segmented_radix_sort_implINS0_14default_configELb0EPKaPaPKlPlN2at6native12_GLOBAL__N_18offset_tEEE10hipError_tPvRmT1_PNSt15iterator_traitsISY_E10value_typeET2_T3_PNSZ_IS14_E10value_typeET4_jRbjT5_S1A_jjP12ihipStream_tbEUljE_EEESV_SW_SX_S14_S18_S1A_T6_T7_T9_mT8_S1C_bDpT10_ENKUlT_T0_E_clISt17integral_constantIbLb0EES1O_IbLb1EEEEDaS1K_S1L_EUlS1K_E_NS1_11comp_targetILNS1_3genE9ELNS1_11target_archE1100ELNS1_3gpuE3ELNS1_3repE0EEENS1_30default_config_static_selectorELNS0_4arch9wavefront6targetE0EEEvSY_,comdat
	.globl	_ZN7rocprim17ROCPRIM_400000_NS6detail17trampoline_kernelINS0_13select_configILj256ELj13ELNS0_17block_load_methodE3ELS4_3ELS4_3ELNS0_20block_scan_algorithmE0ELj4294967295EEENS1_25partition_config_selectorILNS1_17partition_subalgoE3EjNS0_10empty_typeEbEEZZNS1_14partition_implILS8_3ELb0ES6_jNS0_17counting_iteratorIjlEEPS9_SE_NS0_5tupleIJPjSE_EEENSF_IJSE_SE_EEES9_SG_JZNS1_25segmented_radix_sort_implINS0_14default_configELb0EPKaPaPKlPlN2at6native12_GLOBAL__N_18offset_tEEE10hipError_tPvRmT1_PNSt15iterator_traitsISY_E10value_typeET2_T3_PNSZ_IS14_E10value_typeET4_jRbjT5_S1A_jjP12ihipStream_tbEUljE_EEESV_SW_SX_S14_S18_S1A_T6_T7_T9_mT8_S1C_bDpT10_ENKUlT_T0_E_clISt17integral_constantIbLb0EES1O_IbLb1EEEEDaS1K_S1L_EUlS1K_E_NS1_11comp_targetILNS1_3genE9ELNS1_11target_archE1100ELNS1_3gpuE3ELNS1_3repE0EEENS1_30default_config_static_selectorELNS0_4arch9wavefront6targetE0EEEvSY_ ; -- Begin function _ZN7rocprim17ROCPRIM_400000_NS6detail17trampoline_kernelINS0_13select_configILj256ELj13ELNS0_17block_load_methodE3ELS4_3ELS4_3ELNS0_20block_scan_algorithmE0ELj4294967295EEENS1_25partition_config_selectorILNS1_17partition_subalgoE3EjNS0_10empty_typeEbEEZZNS1_14partition_implILS8_3ELb0ES6_jNS0_17counting_iteratorIjlEEPS9_SE_NS0_5tupleIJPjSE_EEENSF_IJSE_SE_EEES9_SG_JZNS1_25segmented_radix_sort_implINS0_14default_configELb0EPKaPaPKlPlN2at6native12_GLOBAL__N_18offset_tEEE10hipError_tPvRmT1_PNSt15iterator_traitsISY_E10value_typeET2_T3_PNSZ_IS14_E10value_typeET4_jRbjT5_S1A_jjP12ihipStream_tbEUljE_EEESV_SW_SX_S14_S18_S1A_T6_T7_T9_mT8_S1C_bDpT10_ENKUlT_T0_E_clISt17integral_constantIbLb0EES1O_IbLb1EEEEDaS1K_S1L_EUlS1K_E_NS1_11comp_targetILNS1_3genE9ELNS1_11target_archE1100ELNS1_3gpuE3ELNS1_3repE0EEENS1_30default_config_static_selectorELNS0_4arch9wavefront6targetE0EEEvSY_
	.p2align	8
	.type	_ZN7rocprim17ROCPRIM_400000_NS6detail17trampoline_kernelINS0_13select_configILj256ELj13ELNS0_17block_load_methodE3ELS4_3ELS4_3ELNS0_20block_scan_algorithmE0ELj4294967295EEENS1_25partition_config_selectorILNS1_17partition_subalgoE3EjNS0_10empty_typeEbEEZZNS1_14partition_implILS8_3ELb0ES6_jNS0_17counting_iteratorIjlEEPS9_SE_NS0_5tupleIJPjSE_EEENSF_IJSE_SE_EEES9_SG_JZNS1_25segmented_radix_sort_implINS0_14default_configELb0EPKaPaPKlPlN2at6native12_GLOBAL__N_18offset_tEEE10hipError_tPvRmT1_PNSt15iterator_traitsISY_E10value_typeET2_T3_PNSZ_IS14_E10value_typeET4_jRbjT5_S1A_jjP12ihipStream_tbEUljE_EEESV_SW_SX_S14_S18_S1A_T6_T7_T9_mT8_S1C_bDpT10_ENKUlT_T0_E_clISt17integral_constantIbLb0EES1O_IbLb1EEEEDaS1K_S1L_EUlS1K_E_NS1_11comp_targetILNS1_3genE9ELNS1_11target_archE1100ELNS1_3gpuE3ELNS1_3repE0EEENS1_30default_config_static_selectorELNS0_4arch9wavefront6targetE0EEEvSY_,@function
_ZN7rocprim17ROCPRIM_400000_NS6detail17trampoline_kernelINS0_13select_configILj256ELj13ELNS0_17block_load_methodE3ELS4_3ELS4_3ELNS0_20block_scan_algorithmE0ELj4294967295EEENS1_25partition_config_selectorILNS1_17partition_subalgoE3EjNS0_10empty_typeEbEEZZNS1_14partition_implILS8_3ELb0ES6_jNS0_17counting_iteratorIjlEEPS9_SE_NS0_5tupleIJPjSE_EEENSF_IJSE_SE_EEES9_SG_JZNS1_25segmented_radix_sort_implINS0_14default_configELb0EPKaPaPKlPlN2at6native12_GLOBAL__N_18offset_tEEE10hipError_tPvRmT1_PNSt15iterator_traitsISY_E10value_typeET2_T3_PNSZ_IS14_E10value_typeET4_jRbjT5_S1A_jjP12ihipStream_tbEUljE_EEESV_SW_SX_S14_S18_S1A_T6_T7_T9_mT8_S1C_bDpT10_ENKUlT_T0_E_clISt17integral_constantIbLb0EES1O_IbLb1EEEEDaS1K_S1L_EUlS1K_E_NS1_11comp_targetILNS1_3genE9ELNS1_11target_archE1100ELNS1_3gpuE3ELNS1_3repE0EEENS1_30default_config_static_selectorELNS0_4arch9wavefront6targetE0EEEvSY_: ; @_ZN7rocprim17ROCPRIM_400000_NS6detail17trampoline_kernelINS0_13select_configILj256ELj13ELNS0_17block_load_methodE3ELS4_3ELS4_3ELNS0_20block_scan_algorithmE0ELj4294967295EEENS1_25partition_config_selectorILNS1_17partition_subalgoE3EjNS0_10empty_typeEbEEZZNS1_14partition_implILS8_3ELb0ES6_jNS0_17counting_iteratorIjlEEPS9_SE_NS0_5tupleIJPjSE_EEENSF_IJSE_SE_EEES9_SG_JZNS1_25segmented_radix_sort_implINS0_14default_configELb0EPKaPaPKlPlN2at6native12_GLOBAL__N_18offset_tEEE10hipError_tPvRmT1_PNSt15iterator_traitsISY_E10value_typeET2_T3_PNSZ_IS14_E10value_typeET4_jRbjT5_S1A_jjP12ihipStream_tbEUljE_EEESV_SW_SX_S14_S18_S1A_T6_T7_T9_mT8_S1C_bDpT10_ENKUlT_T0_E_clISt17integral_constantIbLb0EES1O_IbLb1EEEEDaS1K_S1L_EUlS1K_E_NS1_11comp_targetILNS1_3genE9ELNS1_11target_archE1100ELNS1_3gpuE3ELNS1_3repE0EEENS1_30default_config_static_selectorELNS0_4arch9wavefront6targetE0EEEvSY_
; %bb.0:
	s_clause 0x6
	s_load_b64 s[16:17], s[0:1], 0x10
	s_load_b64 s[12:13], s[0:1], 0x28
	;; [unrolled: 1-line block ×3, first 2 shown]
	s_load_b128 s[8:11], s[0:1], 0x48
	s_load_b32 s3, s[0:1], 0x90
	s_load_b64 s[18:19], s[0:1], 0x68
	s_load_b128 s[4:7], s[0:1], 0x80
	v_cmp_eq_u32_e64 s2, 0, v0
	s_delay_alu instid0(VALU_DEP_1)
	s_and_saveexec_b32 s20, s2
	s_cbranch_execz .LBB391_4
; %bb.1:
	s_mov_b32 s22, exec_lo
	s_mov_b32 s21, exec_lo
	v_mbcnt_lo_u32_b32 v1, s22, 0
                                        ; implicit-def: $vgpr2
	s_delay_alu instid0(VALU_DEP_1)
	v_cmpx_eq_u32_e32 0, v1
	s_cbranch_execz .LBB391_3
; %bb.2:
	s_load_b64 s[24:25], s[0:1], 0x78
	s_bcnt1_i32_b32 s22, s22
	s_delay_alu instid0(SALU_CYCLE_1)
	v_dual_mov_b32 v2, 0 :: v_dual_mov_b32 v3, s22
	s_waitcnt lgkmcnt(0)
	global_atomic_add_u32 v2, v2, v3, s[24:25] glc
.LBB391_3:
	s_or_b32 exec_lo, exec_lo, s21
	s_waitcnt vmcnt(0)
	v_readfirstlane_b32 s21, v2
	s_delay_alu instid0(VALU_DEP_1)
	v_dual_mov_b32 v2, 0 :: v_dual_add_nc_u32 v1, s21, v1
	ds_store_b32 v2, v1
.LBB391_4:
	s_or_b32 exec_lo, exec_lo, s20
	v_mov_b32_e32 v1, 0
	s_clause 0x1
	s_load_b32 s20, s[0:1], 0x8
	s_load_b32 s0, s[0:1], 0x70
	s_waitcnt lgkmcnt(0)
	s_barrier
	buffer_gl0_inv
	ds_load_b32 v2, v1
	s_waitcnt lgkmcnt(0)
	s_barrier
	buffer_gl0_inv
	global_load_b64 v[18:19], v1, s[10:11]
	v_lshlrev_b32_e32 v33, 2, v0
	s_add_i32 s21, s20, s16
	s_mul_i32 s1, s0, 0xd00
	s_add_i32 s0, s0, -1
	s_add_u32 s10, s16, s1
	s_addc_u32 s11, s17, 0
	v_mul_lo_u32 v32, 0xd00, v2
	v_readfirstlane_b32 s20, v2
	v_cmp_lt_u64_e64 s11, s[10:11], s[14:15]
	v_cmp_ne_u32_e32 vcc_lo, s0, v2
	s_delay_alu instid0(VALU_DEP_3) | instskip(SKIP_1) | instid1(VALU_DEP_4)
	s_cmp_eq_u32 s20, s0
	s_cselect_b32 s10, -1, 0
	v_add3_u32 v1, v32, s21, v0
	s_delay_alu instid0(VALU_DEP_3) | instskip(SKIP_2) | instid1(VALU_DEP_1)
	s_or_b32 s0, s11, vcc_lo
	s_mov_b32 s11, -1
	s_and_b32 vcc_lo, exec_lo, s0
	v_add_nc_u32_e32 v2, 0x100, v1
	v_add_nc_u32_e32 v3, 0x200, v1
	;; [unrolled: 1-line block ×12, first 2 shown]
	s_cbranch_vccz .LBB391_6
; %bb.5:
	ds_store_2addr_stride64_b32 v33, v1, v2 offset1:4
	ds_store_2addr_stride64_b32 v33, v3, v4 offset0:8 offset1:12
	ds_store_2addr_stride64_b32 v33, v5, v6 offset0:16 offset1:20
	;; [unrolled: 1-line block ×5, first 2 shown]
	ds_store_b32 v33, v13 offset:12288
	s_waitcnt vmcnt(0) lgkmcnt(0)
	s_mov_b32 s11, 0
	s_barrier
.LBB391_6:
	s_and_not1_b32 vcc_lo, exec_lo, s11
	s_add_i32 s1, s1, s16
	s_cbranch_vccnz .LBB391_8
; %bb.7:
	ds_store_2addr_stride64_b32 v33, v1, v2 offset1:4
	ds_store_2addr_stride64_b32 v33, v3, v4 offset0:8 offset1:12
	ds_store_2addr_stride64_b32 v33, v5, v6 offset0:16 offset1:20
	;; [unrolled: 1-line block ×5, first 2 shown]
	ds_store_b32 v33, v13 offset:12288
	s_waitcnt vmcnt(0) lgkmcnt(0)
	s_barrier
.LBB391_8:
	v_mul_u32_u24_e32 v36, 13, v0
	s_waitcnt vmcnt(0)
	buffer_gl0_inv
	v_cndmask_b32_e64 v34, 0, 1, s0
	s_sub_i32 s11, s14, s1
	s_and_not1_b32 vcc_lo, exec_lo, s0
	v_lshlrev_b32_e32 v1, 2, v36
	ds_load_2addr_b32 v[30:31], v1 offset1:1
	ds_load_2addr_b32 v[28:29], v1 offset0:2 offset1:3
	ds_load_2addr_b32 v[26:27], v1 offset0:4 offset1:5
	;; [unrolled: 1-line block ×5, first 2 shown]
	ds_load_b32 v35, v1 offset:48
	s_waitcnt lgkmcnt(0)
	s_barrier
	buffer_gl0_inv
	s_cbranch_vccnz .LBB391_10
; %bb.9:
	v_add_nc_u32_e32 v1, s5, v30
	v_add_nc_u32_e32 v2, s7, v30
	;; [unrolled: 1-line block ×5, first 2 shown]
	v_mul_lo_u32 v1, v1, s4
	v_mul_lo_u32 v2, v2, s6
	;; [unrolled: 1-line block ×4, first 2 shown]
	v_add_nc_u32_e32 v6, s7, v28
	v_add_nc_u32_e32 v7, s5, v29
	;; [unrolled: 1-line block ×3, first 2 shown]
	v_mul_lo_u32 v5, v5, s4
	v_add_nc_u32_e32 v9, s5, v24
	v_sub_nc_u32_e32 v1, v1, v2
	v_mul_lo_u32 v2, v6, s6
	v_sub_nc_u32_e32 v3, v3, v4
	v_mul_lo_u32 v4, v7, s4
	v_mul_lo_u32 v6, v8, s6
	v_add_nc_u32_e32 v7, s5, v26
	v_cmp_lt_u32_e32 vcc_lo, s3, v1
	v_add_nc_u32_e32 v8, s5, v27
	v_add_nc_u32_e32 v10, s7, v24
	v_sub_nc_u32_e32 v2, v5, v2
	v_add_nc_u32_e32 v5, s7, v26
	v_cndmask_b32_e64 v1, 0, 1, vcc_lo
	v_sub_nc_u32_e32 v4, v4, v6
	v_mul_lo_u32 v6, v7, s4
	v_add_nc_u32_e32 v7, s7, v27
	v_cmp_lt_u32_e32 vcc_lo, s3, v3
	v_mul_lo_u32 v5, v5, s6
	v_mul_lo_u32 v8, v8, s4
	;; [unrolled: 1-line block ×4, first 2 shown]
	v_cndmask_b32_e64 v3, 0, 1, vcc_lo
	v_cmp_lt_u32_e32 vcc_lo, s3, v2
	v_mul_lo_u32 v10, v10, s6
	v_add_nc_u32_e32 v11, s5, v22
	v_sub_nc_u32_e32 v5, v6, v5
	v_add_nc_u32_e32 v12, s7, v22
	v_cndmask_b32_e64 v2, 0, 1, vcc_lo
	v_sub_nc_u32_e32 v6, v8, v7
	v_add_nc_u32_e32 v7, s5, v25
	v_add_nc_u32_e32 v8, s7, v25
	v_cmp_lt_u32_e32 vcc_lo, s3, v4
	v_sub_nc_u32_e32 v9, v9, v10
	v_mul_lo_u32 v10, v11, s4
	v_mul_lo_u32 v7, v7, s4
	;; [unrolled: 1-line block ×4, first 2 shown]
	v_cndmask_b32_e64 v4, 0, 1, vcc_lo
	v_cmp_lt_u32_e32 vcc_lo, s3, v5
	v_add_nc_u32_e32 v12, s5, v23
	v_add_nc_u32_e32 v13, s7, v20
	;; [unrolled: 1-line block ×4, first 2 shown]
	v_cndmask_b32_e64 v5, 0, 1, vcc_lo
	v_cmp_lt_u32_e32 vcc_lo, s3, v6
	v_sub_nc_u32_e32 v7, v7, v8
	v_sub_nc_u32_e32 v8, v10, v11
	v_add_nc_u32_e32 v11, s7, v23
	v_mul_lo_u32 v10, v12, s4
	v_cndmask_b32_e64 v6, 0, 1, vcc_lo
	v_cmp_lt_u32_e32 vcc_lo, s3, v9
	v_add_nc_u32_e32 v12, s5, v20
	v_mul_lo_u32 v11, v11, s6
	v_mul_lo_u32 v13, v13, s6
	;; [unrolled: 1-line block ×3, first 2 shown]
	v_cndmask_b32_e64 v9, 0, 1, vcc_lo
	v_cmp_lt_u32_e32 vcc_lo, s3, v7
	v_mul_lo_u32 v12, v12, s4
	v_mul_lo_u32 v15, v15, s6
	v_lshlrev_b16 v3, 8, v3
	v_sub_nc_u32_e32 v10, v10, v11
	v_cndmask_b32_e64 v7, 0, 1, vcc_lo
	v_cmp_lt_u32_e32 vcc_lo, s3, v8
	v_add_nc_u32_e32 v11, s5, v35
	v_or_b32_e32 v1, v1, v3
	v_sub_nc_u32_e32 v12, v12, v13
	v_sub_nc_u32_e32 v13, v14, v15
	v_cndmask_b32_e64 v8, 0, 1, vcc_lo
	v_cmp_lt_u32_e32 vcc_lo, s3, v10
	v_add_nc_u32_e32 v16, s7, v35
	v_mul_lo_u32 v11, v11, s4
	v_lshlrev_b16 v4, 8, v4
	v_lshlrev_b16 v6, 8, v6
	v_cndmask_b32_e64 v10, 0, 1, vcc_lo
	v_cmp_lt_u32_e32 vcc_lo, s3, v12
	v_mul_lo_u32 v14, v16, s6
	v_lshlrev_b16 v7, 8, v7
	v_or_b32_e32 v2, v2, v4
	v_lshlrev_b16 v10, 8, v10
	v_cndmask_b32_e64 v3, 0, 1, vcc_lo
	v_cmp_lt_u32_e32 vcc_lo, s3, v13
	v_or_b32_e32 v4, v5, v6
	v_or_b32_e32 v5, v9, v7
	v_sub_nc_u32_e32 v11, v11, v14
	v_or_b32_e32 v6, v8, v10
	v_cndmask_b32_e64 v12, 0, 1, vcc_lo
	v_and_b32_e32 v1, 0xffff, v1
	v_lshlrev_b32_e32 v2, 16, v2
	v_and_b32_e32 v4, 0xffff, v4
	v_lshlrev_b32_e32 v5, 16, v5
	v_lshlrev_b16 v12, 8, v12
	v_and_b32_e32 v6, 0xffff, v6
	v_cmp_lt_u32_e32 vcc_lo, s3, v11
	v_or_b32_e32 v42, v1, v2
	v_or_b32_e32 v40, v4, v5
	;; [unrolled: 1-line block ×3, first 2 shown]
	v_cndmask_b32_e64 v37, 0, 1, vcc_lo
	s_delay_alu instid0(VALU_DEP_2) | instskip(NEXT) | instid1(VALU_DEP_1)
	v_lshlrev_b32_e32 v3, 16, v3
	v_or_b32_e32 v38, v6, v3
	s_addk_i32 s11, 0xd00
	s_cbranch_execz .LBB391_11
	s_branch .LBB391_38
.LBB391_10:
                                        ; implicit-def: $vgpr37
                                        ; implicit-def: $vgpr38
                                        ; implicit-def: $vgpr40
                                        ; implicit-def: $vgpr42
	s_addk_i32 s11, 0xd00
.LBB391_11:
	v_dual_mov_b32 v2, 0 :: v_dual_mov_b32 v1, 0
	s_mov_b32 s0, exec_lo
	v_cmpx_gt_u32_e64 s11, v36
; %bb.12:
	v_add_nc_u32_e32 v1, s5, v30
	v_add_nc_u32_e32 v3, s7, v30
	s_delay_alu instid0(VALU_DEP_2) | instskip(NEXT) | instid1(VALU_DEP_2)
	v_mul_lo_u32 v1, v1, s4
	v_mul_lo_u32 v3, v3, s6
	s_delay_alu instid0(VALU_DEP_1) | instskip(NEXT) | instid1(VALU_DEP_1)
	v_sub_nc_u32_e32 v1, v1, v3
	v_cmp_lt_u32_e32 vcc_lo, s3, v1
	v_cndmask_b32_e64 v1, 0, 1, vcc_lo
; %bb.13:
	s_or_b32 exec_lo, exec_lo, s0
	v_add_nc_u32_e32 v3, 1, v36
	s_mov_b32 s0, exec_lo
	s_delay_alu instid0(VALU_DEP_1)
	v_cmpx_gt_u32_e64 s11, v3
; %bb.14:
	v_add_nc_u32_e32 v2, s5, v31
	v_add_nc_u32_e32 v3, s7, v31
	s_delay_alu instid0(VALU_DEP_2) | instskip(NEXT) | instid1(VALU_DEP_2)
	v_mul_lo_u32 v2, v2, s4
	v_mul_lo_u32 v3, v3, s6
	s_delay_alu instid0(VALU_DEP_1) | instskip(NEXT) | instid1(VALU_DEP_1)
	v_sub_nc_u32_e32 v2, v2, v3
	v_cmp_lt_u32_e32 vcc_lo, s3, v2
	v_cndmask_b32_e64 v2, 0, 1, vcc_lo
; %bb.15:
	s_or_b32 exec_lo, exec_lo, s0
	v_dual_mov_b32 v4, 0 :: v_dual_add_nc_u32 v3, 2, v36
	s_delay_alu instid0(VALU_DEP_1)
	v_cmp_gt_u32_e32 vcc_lo, s11, v3
	v_mov_b32_e32 v3, 0
	s_and_saveexec_b32 s0, vcc_lo
; %bb.16:
	v_add_nc_u32_e32 v3, s5, v28
	v_add_nc_u32_e32 v5, s7, v28
	s_delay_alu instid0(VALU_DEP_2) | instskip(NEXT) | instid1(VALU_DEP_2)
	v_mul_lo_u32 v3, v3, s4
	v_mul_lo_u32 v5, v5, s6
	s_delay_alu instid0(VALU_DEP_1) | instskip(NEXT) | instid1(VALU_DEP_1)
	v_sub_nc_u32_e32 v3, v3, v5
	v_cmp_lt_u32_e32 vcc_lo, s3, v3
	v_cndmask_b32_e64 v3, 0, 1, vcc_lo
; %bb.17:
	s_or_b32 exec_lo, exec_lo, s0
	v_add_nc_u32_e32 v5, 3, v36
	s_mov_b32 s0, exec_lo
	s_delay_alu instid0(VALU_DEP_1)
	v_cmpx_gt_u32_e64 s11, v5
; %bb.18:
	v_add_nc_u32_e32 v4, s5, v29
	v_add_nc_u32_e32 v5, s7, v29
	s_delay_alu instid0(VALU_DEP_2) | instskip(NEXT) | instid1(VALU_DEP_2)
	v_mul_lo_u32 v4, v4, s4
	v_mul_lo_u32 v5, v5, s6
	s_delay_alu instid0(VALU_DEP_1) | instskip(NEXT) | instid1(VALU_DEP_1)
	v_sub_nc_u32_e32 v4, v4, v5
	v_cmp_lt_u32_e32 vcc_lo, s3, v4
	v_cndmask_b32_e64 v4, 0, 1, vcc_lo
; %bb.19:
	s_or_b32 exec_lo, exec_lo, s0
	v_dual_mov_b32 v6, 0 :: v_dual_add_nc_u32 v5, 4, v36
	s_delay_alu instid0(VALU_DEP_1)
	v_cmp_gt_u32_e32 vcc_lo, s11, v5
	v_mov_b32_e32 v5, 0
	s_and_saveexec_b32 s0, vcc_lo
	;; [unrolled: 33-line block ×5, first 2 shown]
; %bb.32:
	v_add_nc_u32_e32 v11, s5, v20
	v_add_nc_u32_e32 v13, s7, v20
	s_delay_alu instid0(VALU_DEP_2) | instskip(NEXT) | instid1(VALU_DEP_2)
	v_mul_lo_u32 v11, v11, s4
	v_mul_lo_u32 v13, v13, s6
	s_delay_alu instid0(VALU_DEP_1) | instskip(NEXT) | instid1(VALU_DEP_1)
	v_sub_nc_u32_e32 v11, v11, v13
	v_cmp_lt_u32_e32 vcc_lo, s3, v11
	v_cndmask_b32_e64 v11, 0, 1, vcc_lo
; %bb.33:
	s_or_b32 exec_lo, exec_lo, s0
	v_add_nc_u32_e32 v13, 11, v36
	s_mov_b32 s0, exec_lo
	s_delay_alu instid0(VALU_DEP_1)
	v_cmpx_gt_u32_e64 s11, v13
; %bb.34:
	v_add_nc_u32_e32 v12, s5, v21
	v_add_nc_u32_e32 v13, s7, v21
	s_delay_alu instid0(VALU_DEP_2) | instskip(NEXT) | instid1(VALU_DEP_2)
	v_mul_lo_u32 v12, v12, s4
	v_mul_lo_u32 v13, v13, s6
	s_delay_alu instid0(VALU_DEP_1) | instskip(NEXT) | instid1(VALU_DEP_1)
	v_sub_nc_u32_e32 v12, v12, v13
	v_cmp_lt_u32_e32 vcc_lo, s3, v12
	v_cndmask_b32_e64 v12, 0, 1, vcc_lo
; %bb.35:
	s_or_b32 exec_lo, exec_lo, s0
	v_add_nc_u32_e32 v13, 12, v36
	v_mov_b32_e32 v37, 0
	s_mov_b32 s0, exec_lo
	s_delay_alu instid0(VALU_DEP_2)
	v_cmpx_gt_u32_e64 s11, v13
; %bb.36:
	v_add_nc_u32_e32 v13, s5, v35
	v_add_nc_u32_e32 v14, s7, v35
	s_delay_alu instid0(VALU_DEP_2) | instskip(NEXT) | instid1(VALU_DEP_2)
	v_mul_lo_u32 v13, v13, s4
	v_mul_lo_u32 v14, v14, s6
	s_delay_alu instid0(VALU_DEP_1) | instskip(NEXT) | instid1(VALU_DEP_1)
	v_sub_nc_u32_e32 v13, v13, v14
	v_cmp_lt_u32_e32 vcc_lo, s3, v13
	v_cndmask_b32_e64 v37, 0, 1, vcc_lo
; %bb.37:
	s_or_b32 exec_lo, exec_lo, s0
	v_lshlrev_b16 v2, 8, v2
	v_lshlrev_b16 v4, 8, v4
	;; [unrolled: 1-line block ×5, first 2 shown]
	v_or_b32_e32 v1, v1, v2
	v_lshlrev_b16 v2, 8, v12
	v_or_b32_e32 v3, v3, v4
	v_or_b32_e32 v4, v5, v6
	;; [unrolled: 1-line block ×5, first 2 shown]
	v_and_b32_e32 v1, 0xffff, v1
	v_lshlrev_b32_e32 v3, 16, v3
	v_and_b32_e32 v4, 0xffff, v4
	v_lshlrev_b32_e32 v5, 16, v5
	;; [unrolled: 2-line block ×3, first 2 shown]
	v_or_b32_e32 v42, v1, v3
	s_delay_alu instid0(VALU_DEP_4) | instskip(NEXT) | instid1(VALU_DEP_3)
	v_or_b32_e32 v40, v4, v5
	v_or_b32_e32 v38, v6, v2
.LBB391_38:
	s_delay_alu instid0(VALU_DEP_3)
	v_and_b32_e32 v44, 0xff, v42
	v_bfe_u32 v45, v42, 8, 8
	v_bfe_u32 v46, v42, 16, 8
	v_lshrrev_b32_e32 v43, 24, v42
	v_and_b32_e32 v47, 0xff, v40
	v_bfe_u32 v48, v40, 8, 8
	v_bfe_u32 v49, v40, 16, 8
	v_add3_u32 v1, v45, v44, v46
	v_lshrrev_b32_e32 v41, 24, v40
	v_and_b32_e32 v50, 0xff, v38
	v_bfe_u32 v51, v38, 8, 8
	v_mbcnt_lo_u32_b32 v53, -1, 0
	v_add3_u32 v1, v1, v43, v47
	v_bfe_u32 v52, v38, 16, 8
	v_lshrrev_b32_e32 v39, 24, v38
	v_and_b32_e32 v2, 0xff, v37
	v_and_b32_e32 v3, 15, v53
	v_add3_u32 v1, v1, v48, v49
	v_or_b32_e32 v4, 31, v0
	v_and_b32_e32 v5, 16, v53
	v_lshrrev_b32_e32 v54, 5, v0
	v_cmp_eq_u32_e64 s6, 0, v3
	v_add3_u32 v1, v1, v41, v50
	v_cmp_lt_u32_e64 s5, 1, v3
	v_cmp_lt_u32_e64 s4, 3, v3
	;; [unrolled: 1-line block ×3, first 2 shown]
	v_cmp_eq_u32_e64 s1, 0, v5
	v_add3_u32 v1, v1, v51, v52
	v_cmp_eq_u32_e64 s0, v4, v0
	s_cmp_lg_u32 s20, 0
	s_mov_b32 s7, -1
	s_delay_alu instid0(VALU_DEP_2)
	v_add3_u32 v55, v1, v39, v2
	s_cbranch_scc0 .LBB391_64
; %bb.39:
	s_delay_alu instid0(VALU_DEP_1) | instskip(NEXT) | instid1(VALU_DEP_1)
	v_mov_b32_dpp v1, v55 row_shr:1 row_mask:0xf bank_mask:0xf
	v_cndmask_b32_e64 v1, v1, 0, s6
	s_delay_alu instid0(VALU_DEP_1) | instskip(NEXT) | instid1(VALU_DEP_1)
	v_add_nc_u32_e32 v1, v1, v55
	v_mov_b32_dpp v2, v1 row_shr:2 row_mask:0xf bank_mask:0xf
	s_delay_alu instid0(VALU_DEP_1) | instskip(NEXT) | instid1(VALU_DEP_1)
	v_cndmask_b32_e64 v2, 0, v2, s5
	v_add_nc_u32_e32 v1, v1, v2
	s_delay_alu instid0(VALU_DEP_1) | instskip(NEXT) | instid1(VALU_DEP_1)
	v_mov_b32_dpp v2, v1 row_shr:4 row_mask:0xf bank_mask:0xf
	v_cndmask_b32_e64 v2, 0, v2, s4
	s_delay_alu instid0(VALU_DEP_1) | instskip(NEXT) | instid1(VALU_DEP_1)
	v_add_nc_u32_e32 v1, v1, v2
	v_mov_b32_dpp v2, v1 row_shr:8 row_mask:0xf bank_mask:0xf
	s_delay_alu instid0(VALU_DEP_1) | instskip(NEXT) | instid1(VALU_DEP_1)
	v_cndmask_b32_e64 v2, 0, v2, s3
	v_add_nc_u32_e32 v1, v1, v2
	ds_swizzle_b32 v2, v1 offset:swizzle(BROADCAST,32,15)
	s_waitcnt lgkmcnt(0)
	v_cndmask_b32_e64 v2, v2, 0, s1
	s_delay_alu instid0(VALU_DEP_1)
	v_add_nc_u32_e32 v1, v1, v2
	s_and_saveexec_b32 s7, s0
	s_cbranch_execz .LBB391_41
; %bb.40:
	v_lshlrev_b32_e32 v2, 2, v54
	ds_store_b32 v2, v1
.LBB391_41:
	s_or_b32 exec_lo, exec_lo, s7
	s_delay_alu instid0(SALU_CYCLE_1)
	s_mov_b32 s7, exec_lo
	s_waitcnt lgkmcnt(0)
	s_barrier
	buffer_gl0_inv
	v_cmpx_gt_u32_e32 8, v0
	s_cbranch_execz .LBB391_43
; %bb.42:
	ds_load_b32 v2, v33
	s_waitcnt lgkmcnt(0)
	v_mov_b32_dpp v4, v2 row_shr:1 row_mask:0xf bank_mask:0xf
	v_and_b32_e32 v3, 7, v53
	s_delay_alu instid0(VALU_DEP_1) | instskip(NEXT) | instid1(VALU_DEP_3)
	v_cmp_ne_u32_e32 vcc_lo, 0, v3
	v_cndmask_b32_e32 v4, 0, v4, vcc_lo
	v_cmp_lt_u32_e32 vcc_lo, 1, v3
	s_delay_alu instid0(VALU_DEP_2) | instskip(NEXT) | instid1(VALU_DEP_1)
	v_add_nc_u32_e32 v2, v4, v2
	v_mov_b32_dpp v4, v2 row_shr:2 row_mask:0xf bank_mask:0xf
	s_delay_alu instid0(VALU_DEP_1) | instskip(SKIP_1) | instid1(VALU_DEP_2)
	v_cndmask_b32_e32 v4, 0, v4, vcc_lo
	v_cmp_lt_u32_e32 vcc_lo, 3, v3
	v_add_nc_u32_e32 v2, v2, v4
	s_delay_alu instid0(VALU_DEP_1) | instskip(NEXT) | instid1(VALU_DEP_1)
	v_mov_b32_dpp v4, v2 row_shr:4 row_mask:0xf bank_mask:0xf
	v_cndmask_b32_e32 v3, 0, v4, vcc_lo
	s_delay_alu instid0(VALU_DEP_1)
	v_add_nc_u32_e32 v2, v2, v3
	ds_store_b32 v33, v2
.LBB391_43:
	s_or_b32 exec_lo, exec_lo, s7
	v_cmp_gt_u32_e32 vcc_lo, 32, v0
	s_mov_b32 s21, exec_lo
	s_waitcnt lgkmcnt(0)
	s_barrier
	buffer_gl0_inv
                                        ; implicit-def: $vgpr8
	v_cmpx_lt_u32_e32 31, v0
	s_cbranch_execz .LBB391_45
; %bb.44:
	v_lshl_add_u32 v2, v54, 2, -4
	ds_load_b32 v8, v2
	s_waitcnt lgkmcnt(0)
	v_add_nc_u32_e32 v1, v8, v1
.LBB391_45:
	s_or_b32 exec_lo, exec_lo, s21
	v_add_nc_u32_e32 v2, -1, v53
	s_delay_alu instid0(VALU_DEP_1) | instskip(NEXT) | instid1(VALU_DEP_1)
	v_cmp_gt_i32_e64 s7, 0, v2
	v_cndmask_b32_e64 v2, v2, v53, s7
	v_cmp_eq_u32_e64 s7, 0, v53
	s_delay_alu instid0(VALU_DEP_2)
	v_lshlrev_b32_e32 v2, 2, v2
	ds_bpermute_b32 v9, v2, v1
	s_and_saveexec_b32 s21, vcc_lo
	s_cbranch_execz .LBB391_63
; %bb.46:
	v_mov_b32_e32 v4, 0
	ds_load_b32 v1, v4 offset:28
	s_and_saveexec_b32 s22, s7
	s_cbranch_execz .LBB391_48
; %bb.47:
	s_add_i32 s24, s20, 32
	s_mov_b32 s25, 0
	v_mov_b32_e32 v2, 1
	s_lshl_b64 s[24:25], s[24:25], 3
	s_delay_alu instid0(SALU_CYCLE_1)
	s_add_u32 s24, s18, s24
	s_addc_u32 s25, s19, s25
	s_waitcnt lgkmcnt(0)
	global_store_b64 v4, v[1:2], s[24:25]
.LBB391_48:
	s_or_b32 exec_lo, exec_lo, s22
	v_xad_u32 v2, v53, -1, s20
	s_mov_b32 s23, 0
	s_mov_b32 s22, exec_lo
	s_delay_alu instid0(VALU_DEP_1) | instskip(NEXT) | instid1(VALU_DEP_1)
	v_add_nc_u32_e32 v3, 32, v2
	v_lshlrev_b64 v[3:4], 3, v[3:4]
	s_delay_alu instid0(VALU_DEP_1) | instskip(NEXT) | instid1(VALU_DEP_2)
	v_add_co_u32 v6, vcc_lo, s18, v3
	v_add_co_ci_u32_e32 v7, vcc_lo, s19, v4, vcc_lo
	global_load_b64 v[4:5], v[6:7], off glc
	s_waitcnt vmcnt(0)
	v_and_b32_e32 v3, 0xff, v5
	s_delay_alu instid0(VALU_DEP_1)
	v_cmpx_eq_u16_e32 0, v3
	s_cbranch_execz .LBB391_51
.LBB391_49:                             ; =>This Inner Loop Header: Depth=1
	global_load_b64 v[4:5], v[6:7], off glc
	s_waitcnt vmcnt(0)
	v_and_b32_e32 v3, 0xff, v5
	s_delay_alu instid0(VALU_DEP_1) | instskip(SKIP_1) | instid1(SALU_CYCLE_1)
	v_cmp_ne_u16_e32 vcc_lo, 0, v3
	s_or_b32 s23, vcc_lo, s23
	s_and_not1_b32 exec_lo, exec_lo, s23
	s_cbranch_execnz .LBB391_49
; %bb.50:
	s_or_b32 exec_lo, exec_lo, s23
.LBB391_51:
	s_delay_alu instid0(SALU_CYCLE_1)
	s_or_b32 exec_lo, exec_lo, s22
	v_cmp_ne_u32_e32 vcc_lo, 31, v53
	v_lshlrev_b32_e64 v11, v53, -1
	v_add_nc_u32_e32 v13, 2, v53
	v_add_nc_u32_e32 v15, 4, v53
	;; [unrolled: 1-line block ×3, first 2 shown]
	v_add_co_ci_u32_e32 v3, vcc_lo, 0, v53, vcc_lo
	v_add_nc_u32_e32 v58, 16, v53
	s_delay_alu instid0(VALU_DEP_2) | instskip(SKIP_2) | instid1(VALU_DEP_1)
	v_lshlrev_b32_e32 v10, 2, v3
	ds_bpermute_b32 v6, v10, v4
	v_and_b32_e32 v3, 0xff, v5
	v_cmp_eq_u16_e32 vcc_lo, 2, v3
	v_and_or_b32 v3, vcc_lo, v11, 0x80000000
	v_cmp_gt_u32_e32 vcc_lo, 30, v53
	s_delay_alu instid0(VALU_DEP_2) | instskip(SKIP_1) | instid1(VALU_DEP_2)
	v_ctz_i32_b32_e32 v3, v3
	v_cndmask_b32_e64 v7, 0, 1, vcc_lo
	v_cmp_lt_u32_e32 vcc_lo, v53, v3
	s_waitcnt lgkmcnt(0)
	s_delay_alu instid0(VALU_DEP_2) | instskip(NEXT) | instid1(VALU_DEP_1)
	v_dual_cndmask_b32 v6, 0, v6 :: v_dual_lshlrev_b32 v7, 1, v7
	v_add_lshl_u32 v12, v7, v53, 2
	v_cmp_gt_u32_e32 vcc_lo, 28, v53
	s_delay_alu instid0(VALU_DEP_3) | instskip(SKIP_4) | instid1(VALU_DEP_1)
	v_add_nc_u32_e32 v4, v6, v4
	v_cndmask_b32_e64 v7, 0, 1, vcc_lo
	v_cmp_le_u32_e32 vcc_lo, v13, v3
	ds_bpermute_b32 v6, v12, v4
	v_lshlrev_b32_e32 v7, 2, v7
	v_add_lshl_u32 v14, v7, v53, 2
	s_waitcnt lgkmcnt(0)
	v_cndmask_b32_e32 v6, 0, v6, vcc_lo
	v_cmp_gt_u32_e32 vcc_lo, 24, v53
	s_delay_alu instid0(VALU_DEP_2) | instskip(SKIP_4) | instid1(VALU_DEP_1)
	v_add_nc_u32_e32 v4, v4, v6
	v_cndmask_b32_e64 v7, 0, 1, vcc_lo
	v_cmp_le_u32_e32 vcc_lo, v15, v3
	ds_bpermute_b32 v6, v14, v4
	v_lshlrev_b32_e32 v7, 3, v7
	v_add_lshl_u32 v17, v7, v53, 2
	s_waitcnt lgkmcnt(0)
	v_cndmask_b32_e32 v6, 0, v6, vcc_lo
	v_cmp_gt_u32_e32 vcc_lo, 16, v53
	s_delay_alu instid0(VALU_DEP_2) | instskip(SKIP_4) | instid1(VALU_DEP_1)
	v_add_nc_u32_e32 v4, v4, v6
	v_cndmask_b32_e64 v7, 0, 1, vcc_lo
	v_cmp_le_u32_e32 vcc_lo, v56, v3
	ds_bpermute_b32 v6, v17, v4
	v_lshlrev_b32_e32 v7, 4, v7
	v_add_lshl_u32 v57, v7, v53, 2
	s_waitcnt lgkmcnt(0)
	v_cndmask_b32_e32 v6, 0, v6, vcc_lo
	v_cmp_le_u32_e32 vcc_lo, v58, v3
	s_delay_alu instid0(VALU_DEP_2) | instskip(SKIP_3) | instid1(VALU_DEP_1)
	v_add_nc_u32_e32 v4, v4, v6
	ds_bpermute_b32 v6, v57, v4
	s_waitcnt lgkmcnt(0)
	v_cndmask_b32_e32 v3, 0, v6, vcc_lo
	v_dual_mov_b32 v3, 0 :: v_dual_add_nc_u32 v4, v4, v3
	s_branch .LBB391_53
.LBB391_52:                             ;   in Loop: Header=BB391_53 Depth=1
	s_or_b32 exec_lo, exec_lo, s22
	ds_bpermute_b32 v7, v10, v4
	v_and_b32_e32 v6, 0xff, v5
	v_subrev_nc_u32_e32 v2, 32, v2
	s_delay_alu instid0(VALU_DEP_2) | instskip(SKIP_1) | instid1(VALU_DEP_1)
	v_cmp_eq_u16_e32 vcc_lo, 2, v6
	v_and_or_b32 v6, vcc_lo, v11, 0x80000000
	v_ctz_i32_b32_e32 v6, v6
	s_delay_alu instid0(VALU_DEP_1) | instskip(SKIP_3) | instid1(VALU_DEP_2)
	v_cmp_lt_u32_e32 vcc_lo, v53, v6
	s_waitcnt lgkmcnt(0)
	v_cndmask_b32_e32 v7, 0, v7, vcc_lo
	v_cmp_le_u32_e32 vcc_lo, v13, v6
	v_add_nc_u32_e32 v4, v7, v4
	ds_bpermute_b32 v7, v12, v4
	s_waitcnt lgkmcnt(0)
	v_cndmask_b32_e32 v7, 0, v7, vcc_lo
	v_cmp_le_u32_e32 vcc_lo, v15, v6
	s_delay_alu instid0(VALU_DEP_2) | instskip(SKIP_4) | instid1(VALU_DEP_2)
	v_add_nc_u32_e32 v4, v4, v7
	ds_bpermute_b32 v7, v14, v4
	s_waitcnt lgkmcnt(0)
	v_cndmask_b32_e32 v7, 0, v7, vcc_lo
	v_cmp_le_u32_e32 vcc_lo, v56, v6
	v_add_nc_u32_e32 v4, v4, v7
	ds_bpermute_b32 v7, v17, v4
	s_waitcnt lgkmcnt(0)
	v_cndmask_b32_e32 v7, 0, v7, vcc_lo
	v_cmp_le_u32_e32 vcc_lo, v58, v6
	s_delay_alu instid0(VALU_DEP_2) | instskip(SKIP_3) | instid1(VALU_DEP_1)
	v_add_nc_u32_e32 v4, v4, v7
	ds_bpermute_b32 v7, v57, v4
	s_waitcnt lgkmcnt(0)
	v_cndmask_b32_e32 v6, 0, v7, vcc_lo
	v_add3_u32 v4, v6, v16, v4
.LBB391_53:                             ; =>This Loop Header: Depth=1
                                        ;     Child Loop BB391_56 Depth 2
	s_delay_alu instid0(VALU_DEP_1) | instskip(NEXT) | instid1(VALU_DEP_1)
	v_dual_mov_b32 v16, v4 :: v_dual_and_b32 v5, 0xff, v5
	v_cmp_ne_u16_e32 vcc_lo, 2, v5
	v_cndmask_b32_e64 v5, 0, 1, vcc_lo
	;;#ASMSTART
	;;#ASMEND
	s_delay_alu instid0(VALU_DEP_1)
	v_cmp_ne_u32_e32 vcc_lo, 0, v5
	s_cmp_lg_u32 vcc_lo, exec_lo
	s_cbranch_scc1 .LBB391_58
; %bb.54:                               ;   in Loop: Header=BB391_53 Depth=1
	v_lshlrev_b64 v[4:5], 3, v[2:3]
	s_mov_b32 s22, exec_lo
	s_delay_alu instid0(VALU_DEP_1) | instskip(NEXT) | instid1(VALU_DEP_2)
	v_add_co_u32 v6, vcc_lo, s18, v4
	v_add_co_ci_u32_e32 v7, vcc_lo, s19, v5, vcc_lo
	global_load_b64 v[4:5], v[6:7], off glc
	s_waitcnt vmcnt(0)
	v_and_b32_e32 v59, 0xff, v5
	s_delay_alu instid0(VALU_DEP_1)
	v_cmpx_eq_u16_e32 0, v59
	s_cbranch_execz .LBB391_52
; %bb.55:                               ;   in Loop: Header=BB391_53 Depth=1
	s_mov_b32 s23, 0
.LBB391_56:                             ;   Parent Loop BB391_53 Depth=1
                                        ; =>  This Inner Loop Header: Depth=2
	global_load_b64 v[4:5], v[6:7], off glc
	s_waitcnt vmcnt(0)
	v_and_b32_e32 v59, 0xff, v5
	s_delay_alu instid0(VALU_DEP_1) | instskip(SKIP_1) | instid1(SALU_CYCLE_1)
	v_cmp_ne_u16_e32 vcc_lo, 0, v59
	s_or_b32 s23, vcc_lo, s23
	s_and_not1_b32 exec_lo, exec_lo, s23
	s_cbranch_execnz .LBB391_56
; %bb.57:                               ;   in Loop: Header=BB391_53 Depth=1
	s_or_b32 exec_lo, exec_lo, s23
	s_branch .LBB391_52
.LBB391_58:                             ;   in Loop: Header=BB391_53 Depth=1
                                        ; implicit-def: $vgpr4
                                        ; implicit-def: $vgpr5
	s_cbranch_execz .LBB391_53
; %bb.59:
	s_and_saveexec_b32 s22, s7
	s_cbranch_execz .LBB391_61
; %bb.60:
	s_add_i32 s24, s20, 32
	s_mov_b32 s25, 0
	v_dual_mov_b32 v3, 2 :: v_dual_add_nc_u32 v2, v16, v1
	s_lshl_b64 s[24:25], s[24:25], 3
	v_mov_b32_e32 v4, 0
	v_add_nc_u32_e64 v5, 0x3400, 0
	s_add_u32 s24, s18, s24
	s_addc_u32 s25, s19, s25
	global_store_b64 v4, v[2:3], s[24:25]
	ds_store_2addr_b32 v5, v1, v16 offset1:2
.LBB391_61:
	s_or_b32 exec_lo, exec_lo, s22
	s_delay_alu instid0(SALU_CYCLE_1)
	s_and_b32 exec_lo, exec_lo, s2
	s_cbranch_execz .LBB391_63
; %bb.62:
	v_mov_b32_e32 v1, 0
	ds_store_b32 v1, v16 offset:28
.LBB391_63:
	s_or_b32 exec_lo, exec_lo, s21
	v_mov_b32_e32 v1, 0
	s_waitcnt lgkmcnt(0)
	s_waitcnt_vscnt null, 0x0
	s_barrier
	buffer_gl0_inv
	v_cndmask_b32_e64 v2, v9, v8, s7
	ds_load_b32 v1, v1 offset:28
	v_add_nc_u32_e64 v11, 0x3400, 0
	s_waitcnt lgkmcnt(0)
	s_barrier
	v_cndmask_b32_e64 v2, v2, 0, s2
	buffer_gl0_inv
	ds_load_2addr_b32 v[16:17], v11 offset1:2
	v_add_nc_u32_e32 v1, v1, v2
	s_delay_alu instid0(VALU_DEP_1) | instskip(NEXT) | instid1(VALU_DEP_1)
	v_add_nc_u32_e32 v2, v1, v44
	v_add_nc_u32_e32 v3, v2, v45
	s_delay_alu instid0(VALU_DEP_1) | instskip(NEXT) | instid1(VALU_DEP_1)
	v_add_nc_u32_e32 v4, v3, v46
	;; [unrolled: 3-line block ×6, first 2 shown]
	v_add_nc_u32_e32 v13, v12, v39
	s_branch .LBB391_74
.LBB391_64:
                                        ; implicit-def: $vgpr17
                                        ; implicit-def: $vgpr1_vgpr2_vgpr3_vgpr4_vgpr5_vgpr6_vgpr7_vgpr8_vgpr9_vgpr10_vgpr11_vgpr12_vgpr13_vgpr14_vgpr15_vgpr16
	s_and_b32 vcc_lo, exec_lo, s7
	s_cbranch_vccz .LBB391_74
; %bb.65:
	s_delay_alu instid0(VALU_DEP_1) | instskip(NEXT) | instid1(VALU_DEP_1)
	v_mov_b32_dpp v1, v55 row_shr:1 row_mask:0xf bank_mask:0xf
	v_cndmask_b32_e64 v1, v1, 0, s6
	s_delay_alu instid0(VALU_DEP_1) | instskip(NEXT) | instid1(VALU_DEP_1)
	v_add_nc_u32_e32 v1, v1, v55
	v_mov_b32_dpp v2, v1 row_shr:2 row_mask:0xf bank_mask:0xf
	s_delay_alu instid0(VALU_DEP_1) | instskip(NEXT) | instid1(VALU_DEP_1)
	v_cndmask_b32_e64 v2, 0, v2, s5
	v_add_nc_u32_e32 v1, v1, v2
	s_delay_alu instid0(VALU_DEP_1) | instskip(NEXT) | instid1(VALU_DEP_1)
	v_mov_b32_dpp v2, v1 row_shr:4 row_mask:0xf bank_mask:0xf
	v_cndmask_b32_e64 v2, 0, v2, s4
	s_delay_alu instid0(VALU_DEP_1) | instskip(NEXT) | instid1(VALU_DEP_1)
	v_add_nc_u32_e32 v1, v1, v2
	v_mov_b32_dpp v2, v1 row_shr:8 row_mask:0xf bank_mask:0xf
	s_delay_alu instid0(VALU_DEP_1) | instskip(NEXT) | instid1(VALU_DEP_1)
	v_cndmask_b32_e64 v2, 0, v2, s3
	v_add_nc_u32_e32 v1, v1, v2
	ds_swizzle_b32 v2, v1 offset:swizzle(BROADCAST,32,15)
	s_waitcnt lgkmcnt(0)
	v_cndmask_b32_e64 v2, v2, 0, s1
	s_delay_alu instid0(VALU_DEP_1)
	v_add_nc_u32_e32 v1, v1, v2
	s_and_saveexec_b32 s1, s0
	s_cbranch_execz .LBB391_67
; %bb.66:
	v_lshlrev_b32_e32 v2, 2, v54
	ds_store_b32 v2, v1
.LBB391_67:
	s_or_b32 exec_lo, exec_lo, s1
	s_delay_alu instid0(SALU_CYCLE_1)
	s_mov_b32 s0, exec_lo
	s_waitcnt lgkmcnt(0)
	s_barrier
	buffer_gl0_inv
	v_cmpx_gt_u32_e32 8, v0
	s_cbranch_execz .LBB391_69
; %bb.68:
	ds_load_b32 v2, v33
	s_waitcnt lgkmcnt(0)
	v_mov_b32_dpp v4, v2 row_shr:1 row_mask:0xf bank_mask:0xf
	v_and_b32_e32 v3, 7, v53
	s_delay_alu instid0(VALU_DEP_1) | instskip(NEXT) | instid1(VALU_DEP_3)
	v_cmp_ne_u32_e32 vcc_lo, 0, v3
	v_cndmask_b32_e32 v4, 0, v4, vcc_lo
	v_cmp_lt_u32_e32 vcc_lo, 1, v3
	s_delay_alu instid0(VALU_DEP_2) | instskip(NEXT) | instid1(VALU_DEP_1)
	v_add_nc_u32_e32 v2, v4, v2
	v_mov_b32_dpp v4, v2 row_shr:2 row_mask:0xf bank_mask:0xf
	s_delay_alu instid0(VALU_DEP_1) | instskip(SKIP_1) | instid1(VALU_DEP_2)
	v_cndmask_b32_e32 v4, 0, v4, vcc_lo
	v_cmp_lt_u32_e32 vcc_lo, 3, v3
	v_add_nc_u32_e32 v2, v2, v4
	s_delay_alu instid0(VALU_DEP_1) | instskip(NEXT) | instid1(VALU_DEP_1)
	v_mov_b32_dpp v4, v2 row_shr:4 row_mask:0xf bank_mask:0xf
	v_cndmask_b32_e32 v3, 0, v4, vcc_lo
	s_delay_alu instid0(VALU_DEP_1)
	v_add_nc_u32_e32 v2, v2, v3
	ds_store_b32 v33, v2
.LBB391_69:
	s_or_b32 exec_lo, exec_lo, s0
	v_dual_mov_b32 v3, 0 :: v_dual_mov_b32 v2, 0
	s_mov_b32 s0, exec_lo
	s_waitcnt lgkmcnt(0)
	s_barrier
	buffer_gl0_inv
	v_cmpx_lt_u32_e32 31, v0
	s_cbranch_execz .LBB391_71
; %bb.70:
	v_lshl_add_u32 v2, v54, 2, -4
	ds_load_b32 v2, v2
.LBB391_71:
	s_or_b32 exec_lo, exec_lo, s0
	v_add_nc_u32_e32 v4, -1, v53
	s_waitcnt lgkmcnt(0)
	v_add_nc_u32_e32 v1, v2, v1
	ds_load_b32 v16, v3 offset:28
	v_cmp_gt_i32_e32 vcc_lo, 0, v4
	v_cndmask_b32_e32 v4, v4, v53, vcc_lo
	s_delay_alu instid0(VALU_DEP_1)
	v_lshlrev_b32_e32 v4, 2, v4
	ds_bpermute_b32 v1, v4, v1
	s_and_saveexec_b32 s0, s2
	s_cbranch_execz .LBB391_73
; %bb.72:
	v_mov_b32_e32 v3, 0
	v_mov_b32_e32 v17, 2
	s_waitcnt lgkmcnt(1)
	global_store_b64 v3, v[16:17], s[18:19] offset:256
.LBB391_73:
	s_or_b32 exec_lo, exec_lo, s0
	v_cmp_eq_u32_e32 vcc_lo, 0, v53
	s_waitcnt lgkmcnt(0)
	s_waitcnt_vscnt null, 0x0
	s_barrier
	buffer_gl0_inv
	v_mov_b32_e32 v17, 0
	v_cndmask_b32_e32 v1, v1, v2, vcc_lo
	s_delay_alu instid0(VALU_DEP_1) | instskip(NEXT) | instid1(VALU_DEP_1)
	v_cndmask_b32_e64 v1, v1, 0, s2
	v_add_nc_u32_e32 v2, v1, v44
	s_delay_alu instid0(VALU_DEP_1) | instskip(NEXT) | instid1(VALU_DEP_1)
	v_add_nc_u32_e32 v3, v2, v45
	v_add_nc_u32_e32 v4, v3, v46
	s_delay_alu instid0(VALU_DEP_1) | instskip(NEXT) | instid1(VALU_DEP_1)
	v_add_nc_u32_e32 v5, v4, v43
	;; [unrolled: 3-line block ×5, first 2 shown]
	v_add_nc_u32_e32 v12, v11, v52
	s_delay_alu instid0(VALU_DEP_1)
	v_add_nc_u32_e32 v13, v12, v39
.LBB391_74:
	s_waitcnt lgkmcnt(0)
	v_sub_nc_u32_e32 v1, v1, v17
	v_sub_nc_u32_e32 v2, v2, v17
	v_add_nc_u32_e32 v36, v16, v36
	v_lshrrev_b32_e32 v47, 8, v42
	v_lshrrev_b32_e32 v46, 16, v42
	v_sub_nc_u32_e32 v4, v4, v17
	v_sub_nc_u32_e32 v3, v3, v17
	;; [unrolled: 1-line block ×3, first 2 shown]
	v_and_b32_e32 v42, 1, v42
	v_and_b32_e32 v47, 1, v47
	;; [unrolled: 1-line block ×3, first 2 shown]
	v_lshrrev_b32_e32 v45, 8, v40
	v_lshrrev_b32_e32 v44, 16, v40
	v_cmp_eq_u32_e32 vcc_lo, 1, v42
	v_and_b32_e32 v42, 1, v46
	v_sub_nc_u32_e32 v46, v36, v2
	v_lshrrev_b32_e32 v15, 8, v38
	v_lshrrev_b32_e32 v14, 16, v38
	v_cndmask_b32_e32 v1, v48, v1, vcc_lo
	v_cmp_eq_u32_e32 vcc_lo, 1, v47
	v_add_nc_u32_e32 v46, 1, v46
	s_delay_alu instid0(VALU_DEP_3)
	v_lshlrev_b32_e32 v1, 2, v1
	ds_store_b32 v1, v30
	v_cndmask_b32_e32 v1, v46, v2, vcc_lo
	v_sub_nc_u32_e32 v48, v36, v3
	v_sub_nc_u32_e32 v49, v36, v4
	v_cmp_eq_u32_e32 vcc_lo, 1, v42
	v_or_b32_e32 v30, 0x300, v0
	v_lshlrev_b32_e32 v1, 2, v1
	v_add_nc_u32_e32 v48, 2, v48
	v_add_nc_u32_e32 v49, 3, v49
	ds_store_b32 v1, v31
	v_cndmask_b32_e32 v2, v48, v3, vcc_lo
	v_cmp_eq_u32_e32 vcc_lo, 1, v43
	v_or_b32_e32 v31, 0x200, v0
	s_delay_alu instid0(VALU_DEP_3) | instskip(SKIP_2) | instid1(VALU_DEP_3)
	v_dual_cndmask_b32 v3, v49, v4 :: v_dual_lshlrev_b32 v2, 2, v2
	v_sub_nc_u32_e32 v4, v5, v17
	v_sub_nc_u32_e32 v5, v6, v17
	v_lshlrev_b32_e32 v3, 2, v3
	s_delay_alu instid0(VALU_DEP_3) | instskip(NEXT) | instid1(VALU_DEP_3)
	v_sub_nc_u32_e32 v1, v36, v4
	v_sub_nc_u32_e32 v6, v36, v5
	ds_store_b32 v2, v28
	ds_store_b32 v3, v29
	v_and_b32_e32 v2, 1, v40
	v_add_nc_u32_e32 v1, 4, v1
	v_add_nc_u32_e32 v3, 5, v6
	v_sub_nc_u32_e32 v6, v7, v17
	v_and_b32_e32 v7, 1, v45
	v_cmp_eq_u32_e32 vcc_lo, 1, v2
	v_sub_nc_u32_e32 v2, v8, v17
	v_and_b32_e32 v8, 1, v41
	v_or_b32_e32 v29, 0x400, v0
	v_or_b32_e32 v28, 0x500, v0
	v_cndmask_b32_e32 v1, v1, v4, vcc_lo
	v_sub_nc_u32_e32 v4, v36, v6
	v_cmp_eq_u32_e32 vcc_lo, 1, v7
	v_and_b32_e32 v7, 1, v44
	s_delay_alu instid0(VALU_DEP_4) | instskip(NEXT) | instid1(VALU_DEP_4)
	v_lshlrev_b32_e32 v1, 2, v1
	v_dual_cndmask_b32 v3, v3, v5 :: v_dual_add_nc_u32 v4, 6, v4
	v_sub_nc_u32_e32 v5, v36, v2
	s_delay_alu instid0(VALU_DEP_4) | instskip(SKIP_2) | instid1(VALU_DEP_4)
	v_cmp_eq_u32_e32 vcc_lo, 1, v7
	v_sub_nc_u32_e32 v7, v13, v17
	v_add_co_u32 v13, s0, s16, v32
	v_dual_cndmask_b32 v4, v4, v6 :: v_dual_add_nc_u32 v5, 7, v5
	v_cmp_eq_u32_e32 vcc_lo, 1, v8
	v_sub_nc_u32_e32 v6, v9, v17
	v_lshlrev_b32_e32 v3, 2, v3
	ds_store_b32 v1, v26
	ds_store_b32 v3, v27
	v_cndmask_b32_e32 v2, v5, v2, vcc_lo
	v_sub_nc_u32_e32 v1, v36, v6
	v_lshlrev_b32_e32 v3, 2, v4
	v_and_b32_e32 v5, 1, v38
	v_sub_nc_u32_e32 v4, v10, v17
	v_lshlrev_b32_e32 v2, 2, v2
	v_add_nc_u32_e32 v1, 8, v1
	ds_store_b32 v3, v24
	ds_store_b32 v2, v25
	v_cmp_eq_u32_e32 vcc_lo, 1, v5
	v_sub_nc_u32_e32 v3, v11, v17
	v_sub_nc_u32_e32 v2, v36, v4
	;; [unrolled: 1-line block ×3, first 2 shown]
	v_dual_cndmask_b32 v1, v1, v6 :: v_dual_and_b32 v10, 1, v39
	v_and_b32_e32 v6, 1, v15
	v_sub_nc_u32_e32 v8, v36, v3
	v_add_nc_u32_e32 v2, 9, v2
	v_sub_nc_u32_e32 v9, v36, v5
	v_and_b32_e32 v11, 1, v37
	v_cmp_eq_u32_e32 vcc_lo, 1, v6
	v_add_nc_u32_e32 v6, 10, v8
	v_and_b32_e32 v8, 1, v14
	v_add_nc_u32_e32 v9, 11, v9
	v_dual_cndmask_b32 v2, v2, v4 :: v_dual_lshlrev_b32 v1, 2, v1
	v_sub_nc_u32_e32 v4, v36, v7
	s_delay_alu instid0(VALU_DEP_4) | instskip(SKIP_1) | instid1(VALU_DEP_4)
	v_cmp_eq_u32_e32 vcc_lo, 1, v8
	v_add_co_ci_u32_e64 v14, null, s17, 0, s0
	v_lshlrev_b32_e32 v2, 2, v2
	s_delay_alu instid0(VALU_DEP_4)
	v_dual_cndmask_b32 v3, v6, v3 :: v_dual_add_nc_u32 v4, 12, v4
	v_cmp_eq_u32_e32 vcc_lo, 1, v10
	v_or_b32_e32 v27, 0x600, v0
	v_or_b32_e32 v26, 0x700, v0
	;; [unrolled: 1-line block ×3, first 2 shown]
	v_lshlrev_b32_e32 v3, 2, v3
	v_cndmask_b32_e32 v5, v9, v5, vcc_lo
	v_cmp_eq_u32_e32 vcc_lo, 1, v11
	v_or_b32_e32 v24, 0x900, v0
	s_delay_alu instid0(VALU_DEP_3) | instskip(SKIP_2) | instid1(VALU_DEP_3)
	v_dual_cndmask_b32 v4, v4, v7 :: v_dual_lshlrev_b32 v5, 2, v5
	v_sub_co_u32 v13, vcc_lo, s14, v13
	v_sub_co_ci_u32_e32 v14, vcc_lo, s15, v14, vcc_lo
	v_lshlrev_b32_e32 v4, 2, v4
	ds_store_b32 v1, v22
	ds_store_b32 v2, v23
	;; [unrolled: 1-line block ×5, first 2 shown]
	s_waitcnt lgkmcnt(0)
	s_barrier
	buffer_gl0_inv
	ds_load_2addr_stride64_b32 v[11:12], v33 offset1:4
	ds_load_2addr_stride64_b32 v[9:10], v33 offset0:8 offset1:12
	ds_load_2addr_stride64_b32 v[7:8], v33 offset0:16 offset1:20
	;; [unrolled: 1-line block ×5, first 2 shown]
	ds_load_b32 v20, v33 offset:12288
	v_add_co_u32 v15, vcc_lo, v18, v17
	v_add_co_ci_u32_e32 v17, vcc_lo, 0, v19, vcc_lo
	v_add_co_u32 v13, vcc_lo, v13, v16
	v_add_co_ci_u32_e32 v14, vcc_lo, 0, v14, vcc_lo
	v_cmp_ne_u32_e32 vcc_lo, 1, v34
	s_delay_alu instid0(VALU_DEP_3)
	v_add_co_u32 v18, s0, v13, v15
	v_or_b32_e32 v35, 0x100, v0
	v_or_b32_e32 v23, 0xa00, v0
	;; [unrolled: 1-line block ×4, first 2 shown]
	v_add_co_ci_u32_e64 v19, s0, v14, v17, s0
	s_mov_b32 s0, 0
	s_cbranch_vccnz .LBB391_131
; %bb.75:
	s_mov_b32 s0, exec_lo
                                        ; implicit-def: $vgpr13_vgpr14
	v_cmpx_ge_u32_e64 v0, v16
	s_xor_b32 s0, exec_lo, s0
; %bb.76:
	v_not_b32_e32 v13, v0
	s_delay_alu instid0(VALU_DEP_1) | instskip(SKIP_1) | instid1(VALU_DEP_2)
	v_ashrrev_i32_e32 v14, 31, v13
	v_add_co_u32 v13, vcc_lo, v18, v13
	v_add_co_ci_u32_e32 v14, vcc_lo, v19, v14, vcc_lo
; %bb.77:
	s_and_not1_saveexec_b32 s0, s0
; %bb.78:
	v_add_co_u32 v13, vcc_lo, v15, v0
	v_add_co_ci_u32_e32 v14, vcc_lo, 0, v17, vcc_lo
; %bb.79:
	s_or_b32 exec_lo, exec_lo, s0
	s_delay_alu instid0(VALU_DEP_1) | instskip(SKIP_1) | instid1(VALU_DEP_1)
	v_lshlrev_b64 v[13:14], 2, v[13:14]
	s_mov_b32 s0, exec_lo
	v_add_co_u32 v13, vcc_lo, s12, v13
	s_delay_alu instid0(VALU_DEP_2)
	v_add_co_ci_u32_e32 v14, vcc_lo, s13, v14, vcc_lo
	s_waitcnt lgkmcnt(6)
	global_store_b32 v[13:14], v11, off
                                        ; implicit-def: $vgpr13_vgpr14
	v_cmpx_ge_u32_e64 v35, v16
	s_xor_b32 s0, exec_lo, s0
; %bb.80:
	v_xor_b32_e32 v13, 0xfffffeff, v0
	s_delay_alu instid0(VALU_DEP_1) | instskip(SKIP_1) | instid1(VALU_DEP_2)
	v_ashrrev_i32_e32 v14, 31, v13
	v_add_co_u32 v13, vcc_lo, v18, v13
	v_add_co_ci_u32_e32 v14, vcc_lo, v19, v14, vcc_lo
; %bb.81:
	s_and_not1_saveexec_b32 s0, s0
; %bb.82:
	v_add_co_u32 v13, vcc_lo, v15, v35
	v_add_co_ci_u32_e32 v14, vcc_lo, 0, v17, vcc_lo
; %bb.83:
	s_or_b32 exec_lo, exec_lo, s0
	s_delay_alu instid0(VALU_DEP_1) | instskip(SKIP_1) | instid1(VALU_DEP_1)
	v_lshlrev_b64 v[13:14], 2, v[13:14]
	s_mov_b32 s0, exec_lo
	v_add_co_u32 v13, vcc_lo, s12, v13
	s_delay_alu instid0(VALU_DEP_2)
	v_add_co_ci_u32_e32 v14, vcc_lo, s13, v14, vcc_lo
	global_store_b32 v[13:14], v12, off
                                        ; implicit-def: $vgpr13_vgpr14
	v_cmpx_ge_u32_e64 v31, v16
	s_xor_b32 s0, exec_lo, s0
; %bb.84:
	v_xor_b32_e32 v13, 0xfffffdff, v0
	s_delay_alu instid0(VALU_DEP_1) | instskip(SKIP_1) | instid1(VALU_DEP_2)
	v_ashrrev_i32_e32 v14, 31, v13
	v_add_co_u32 v13, vcc_lo, v18, v13
	v_add_co_ci_u32_e32 v14, vcc_lo, v19, v14, vcc_lo
; %bb.85:
	s_and_not1_saveexec_b32 s0, s0
; %bb.86:
	v_add_co_u32 v13, vcc_lo, v15, v31
	v_add_co_ci_u32_e32 v14, vcc_lo, 0, v17, vcc_lo
; %bb.87:
	s_or_b32 exec_lo, exec_lo, s0
	s_delay_alu instid0(VALU_DEP_1) | instskip(SKIP_1) | instid1(VALU_DEP_1)
	v_lshlrev_b64 v[13:14], 2, v[13:14]
	s_mov_b32 s0, exec_lo
	v_add_co_u32 v13, vcc_lo, s12, v13
	s_delay_alu instid0(VALU_DEP_2)
	v_add_co_ci_u32_e32 v14, vcc_lo, s13, v14, vcc_lo
	s_waitcnt lgkmcnt(5)
	global_store_b32 v[13:14], v9, off
                                        ; implicit-def: $vgpr13_vgpr14
	v_cmpx_ge_u32_e64 v30, v16
	s_xor_b32 s0, exec_lo, s0
; %bb.88:
	v_xor_b32_e32 v13, 0xfffffcff, v0
	s_delay_alu instid0(VALU_DEP_1) | instskip(SKIP_1) | instid1(VALU_DEP_2)
	v_ashrrev_i32_e32 v14, 31, v13
	v_add_co_u32 v13, vcc_lo, v18, v13
	v_add_co_ci_u32_e32 v14, vcc_lo, v19, v14, vcc_lo
; %bb.89:
	s_and_not1_saveexec_b32 s0, s0
; %bb.90:
	v_add_co_u32 v13, vcc_lo, v15, v30
	v_add_co_ci_u32_e32 v14, vcc_lo, 0, v17, vcc_lo
; %bb.91:
	s_or_b32 exec_lo, exec_lo, s0
	s_delay_alu instid0(VALU_DEP_1) | instskip(SKIP_1) | instid1(VALU_DEP_1)
	v_lshlrev_b64 v[13:14], 2, v[13:14]
	s_mov_b32 s0, exec_lo
	v_add_co_u32 v13, vcc_lo, s12, v13
	s_delay_alu instid0(VALU_DEP_2)
	v_add_co_ci_u32_e32 v14, vcc_lo, s13, v14, vcc_lo
	global_store_b32 v[13:14], v10, off
                                        ; implicit-def: $vgpr13_vgpr14
	v_cmpx_ge_u32_e64 v29, v16
	s_xor_b32 s0, exec_lo, s0
; %bb.92:
	v_xor_b32_e32 v13, 0xfffffbff, v0
	;; [unrolled: 47-line block ×6, first 2 shown]
	s_delay_alu instid0(VALU_DEP_1) | instskip(SKIP_1) | instid1(VALU_DEP_2)
	v_ashrrev_i32_e32 v14, 31, v13
	v_add_co_u32 v13, vcc_lo, v18, v13
	v_add_co_ci_u32_e32 v14, vcc_lo, v19, v14, vcc_lo
; %bb.125:
	s_and_not1_saveexec_b32 s0, s0
; %bb.126:
	v_add_co_u32 v13, vcc_lo, v15, v21
	v_add_co_ci_u32_e32 v14, vcc_lo, 0, v17, vcc_lo
; %bb.127:
	s_or_b32 exec_lo, exec_lo, s0
	s_mov_b32 s0, -1
.LBB391_128:
	s_delay_alu instid0(SALU_CYCLE_1)
	s_and_saveexec_b32 s1, s0
	s_cbranch_execz .LBB391_211
.LBB391_129:
	s_waitcnt lgkmcnt(1)
	v_lshlrev_b64 v[0:1], 2, v[13:14]
	s_delay_alu instid0(VALU_DEP_1) | instskip(NEXT) | instid1(VALU_DEP_2)
	v_add_co_u32 v0, vcc_lo, s12, v0
	v_add_co_ci_u32_e32 v1, vcc_lo, s13, v1, vcc_lo
	s_waitcnt lgkmcnt(0)
	global_store_b32 v[0:1], v20, off
	s_or_b32 exec_lo, exec_lo, s1
	s_and_b32 s0, s2, s10
	s_delay_alu instid0(SALU_CYCLE_1)
	s_and_saveexec_b32 s1, s0
	s_cbranch_execnz .LBB391_212
.LBB391_130:
	s_nop 0
	s_sendmsg sendmsg(MSG_DEALLOC_VGPRS)
	s_endpgm
.LBB391_131:
                                        ; implicit-def: $vgpr13_vgpr14
	s_cbranch_execz .LBB391_128
; %bb.132:
	s_mov_b32 s1, exec_lo
	v_cmpx_gt_u32_e64 s11, v0
	s_cbranch_execz .LBB391_168
; %bb.133:
	s_mov_b32 s3, exec_lo
                                        ; implicit-def: $vgpr13_vgpr14
	v_cmpx_ge_u32_e64 v0, v16
	s_xor_b32 s3, exec_lo, s3
; %bb.134:
	v_not_b32_e32 v13, v0
	s_delay_alu instid0(VALU_DEP_1) | instskip(SKIP_1) | instid1(VALU_DEP_2)
	v_ashrrev_i32_e32 v14, 31, v13
	v_add_co_u32 v13, vcc_lo, v18, v13
	v_add_co_ci_u32_e32 v14, vcc_lo, v19, v14, vcc_lo
; %bb.135:
	s_and_not1_saveexec_b32 s3, s3
; %bb.136:
	v_add_co_u32 v13, vcc_lo, v15, v0
	v_add_co_ci_u32_e32 v14, vcc_lo, 0, v17, vcc_lo
; %bb.137:
	s_or_b32 exec_lo, exec_lo, s3
	s_delay_alu instid0(VALU_DEP_1) | instskip(NEXT) | instid1(VALU_DEP_1)
	v_lshlrev_b64 v[13:14], 2, v[13:14]
	v_add_co_u32 v13, vcc_lo, s12, v13
	s_delay_alu instid0(VALU_DEP_2) | instskip(SKIP_3) | instid1(SALU_CYCLE_1)
	v_add_co_ci_u32_e32 v14, vcc_lo, s13, v14, vcc_lo
	s_waitcnt lgkmcnt(6)
	global_store_b32 v[13:14], v11, off
	s_or_b32 exec_lo, exec_lo, s1
	s_mov_b32 s1, exec_lo
	v_cmpx_gt_u32_e64 s11, v35
	s_cbranch_execnz .LBB391_169
.LBB391_138:
	s_or_b32 exec_lo, exec_lo, s1
	s_delay_alu instid0(SALU_CYCLE_1)
	s_mov_b32 s1, exec_lo
	v_cmpx_gt_u32_e64 s11, v31
	s_cbranch_execz .LBB391_174
.LBB391_139:
	s_mov_b32 s3, exec_lo
                                        ; implicit-def: $vgpr11_vgpr12
	v_cmpx_ge_u32_e64 v31, v16
	s_xor_b32 s3, exec_lo, s3
	s_cbranch_execz .LBB391_141
; %bb.140:
	s_waitcnt lgkmcnt(6)
	v_xor_b32_e32 v11, 0xfffffdff, v0
                                        ; implicit-def: $vgpr31
	s_delay_alu instid0(VALU_DEP_1) | instskip(SKIP_1) | instid1(VALU_DEP_2)
	v_ashrrev_i32_e32 v12, 31, v11
	v_add_co_u32 v11, vcc_lo, v18, v11
	v_add_co_ci_u32_e32 v12, vcc_lo, v19, v12, vcc_lo
.LBB391_141:
	s_and_not1_saveexec_b32 s3, s3
	s_cbranch_execz .LBB391_143
; %bb.142:
	s_waitcnt lgkmcnt(6)
	v_add_co_u32 v11, vcc_lo, v15, v31
	v_add_co_ci_u32_e32 v12, vcc_lo, 0, v17, vcc_lo
.LBB391_143:
	s_or_b32 exec_lo, exec_lo, s3
	s_waitcnt lgkmcnt(6)
	s_delay_alu instid0(VALU_DEP_1) | instskip(NEXT) | instid1(VALU_DEP_1)
	v_lshlrev_b64 v[11:12], 2, v[11:12]
	v_add_co_u32 v11, vcc_lo, s12, v11
	s_delay_alu instid0(VALU_DEP_2) | instskip(SKIP_3) | instid1(SALU_CYCLE_1)
	v_add_co_ci_u32_e32 v12, vcc_lo, s13, v12, vcc_lo
	s_waitcnt lgkmcnt(5)
	global_store_b32 v[11:12], v9, off
	s_or_b32 exec_lo, exec_lo, s1
	s_mov_b32 s1, exec_lo
	v_cmpx_gt_u32_e64 s11, v30
	s_cbranch_execnz .LBB391_175
.LBB391_144:
	s_or_b32 exec_lo, exec_lo, s1
	s_delay_alu instid0(SALU_CYCLE_1)
	s_mov_b32 s1, exec_lo
	v_cmpx_gt_u32_e64 s11, v29
	s_cbranch_execz .LBB391_180
.LBB391_145:
	s_mov_b32 s3, exec_lo
                                        ; implicit-def: $vgpr9_vgpr10
	v_cmpx_ge_u32_e64 v29, v16
	s_xor_b32 s3, exec_lo, s3
	s_cbranch_execz .LBB391_147
; %bb.146:
	s_waitcnt lgkmcnt(5)
	v_xor_b32_e32 v9, 0xfffffbff, v0
                                        ; implicit-def: $vgpr29
	s_delay_alu instid0(VALU_DEP_1) | instskip(SKIP_1) | instid1(VALU_DEP_2)
	v_ashrrev_i32_e32 v10, 31, v9
	v_add_co_u32 v9, vcc_lo, v18, v9
	v_add_co_ci_u32_e32 v10, vcc_lo, v19, v10, vcc_lo
.LBB391_147:
	s_and_not1_saveexec_b32 s3, s3
	s_cbranch_execz .LBB391_149
; %bb.148:
	s_waitcnt lgkmcnt(5)
	v_add_co_u32 v9, vcc_lo, v15, v29
	v_add_co_ci_u32_e32 v10, vcc_lo, 0, v17, vcc_lo
.LBB391_149:
	s_or_b32 exec_lo, exec_lo, s3
	s_waitcnt lgkmcnt(5)
	s_delay_alu instid0(VALU_DEP_1) | instskip(NEXT) | instid1(VALU_DEP_1)
	v_lshlrev_b64 v[9:10], 2, v[9:10]
	v_add_co_u32 v9, vcc_lo, s12, v9
	s_delay_alu instid0(VALU_DEP_2) | instskip(SKIP_3) | instid1(SALU_CYCLE_1)
	v_add_co_ci_u32_e32 v10, vcc_lo, s13, v10, vcc_lo
	s_waitcnt lgkmcnt(4)
	global_store_b32 v[9:10], v7, off
	s_or_b32 exec_lo, exec_lo, s1
	s_mov_b32 s1, exec_lo
	v_cmpx_gt_u32_e64 s11, v28
	s_cbranch_execnz .LBB391_181
.LBB391_150:
	s_or_b32 exec_lo, exec_lo, s1
	s_delay_alu instid0(SALU_CYCLE_1)
	s_mov_b32 s1, exec_lo
	v_cmpx_gt_u32_e64 s11, v27
	s_cbranch_execz .LBB391_186
.LBB391_151:
	s_mov_b32 s3, exec_lo
                                        ; implicit-def: $vgpr7_vgpr8
	v_cmpx_ge_u32_e64 v27, v16
	s_xor_b32 s3, exec_lo, s3
	s_cbranch_execz .LBB391_153
; %bb.152:
	s_waitcnt lgkmcnt(4)
	v_xor_b32_e32 v7, 0xfffff9ff, v0
                                        ; implicit-def: $vgpr27
	s_delay_alu instid0(VALU_DEP_1) | instskip(SKIP_1) | instid1(VALU_DEP_2)
	v_ashrrev_i32_e32 v8, 31, v7
	v_add_co_u32 v7, vcc_lo, v18, v7
	v_add_co_ci_u32_e32 v8, vcc_lo, v19, v8, vcc_lo
.LBB391_153:
	s_and_not1_saveexec_b32 s3, s3
	s_cbranch_execz .LBB391_155
; %bb.154:
	s_waitcnt lgkmcnt(4)
	v_add_co_u32 v7, vcc_lo, v15, v27
	v_add_co_ci_u32_e32 v8, vcc_lo, 0, v17, vcc_lo
.LBB391_155:
	s_or_b32 exec_lo, exec_lo, s3
	s_waitcnt lgkmcnt(4)
	s_delay_alu instid0(VALU_DEP_1) | instskip(NEXT) | instid1(VALU_DEP_1)
	v_lshlrev_b64 v[7:8], 2, v[7:8]
	v_add_co_u32 v7, vcc_lo, s12, v7
	s_delay_alu instid0(VALU_DEP_2) | instskip(SKIP_3) | instid1(SALU_CYCLE_1)
	v_add_co_ci_u32_e32 v8, vcc_lo, s13, v8, vcc_lo
	s_waitcnt lgkmcnt(3)
	global_store_b32 v[7:8], v5, off
	s_or_b32 exec_lo, exec_lo, s1
	s_mov_b32 s1, exec_lo
	v_cmpx_gt_u32_e64 s11, v26
	s_cbranch_execnz .LBB391_187
.LBB391_156:
	s_or_b32 exec_lo, exec_lo, s1
	s_delay_alu instid0(SALU_CYCLE_1)
	s_mov_b32 s1, exec_lo
	v_cmpx_gt_u32_e64 s11, v25
	s_cbranch_execz .LBB391_192
.LBB391_157:
	s_mov_b32 s3, exec_lo
                                        ; implicit-def: $vgpr5_vgpr6
	v_cmpx_ge_u32_e64 v25, v16
	s_xor_b32 s3, exec_lo, s3
	s_cbranch_execz .LBB391_159
; %bb.158:
	s_waitcnt lgkmcnt(3)
	v_xor_b32_e32 v5, 0xfffff7ff, v0
                                        ; implicit-def: $vgpr25
	s_delay_alu instid0(VALU_DEP_1) | instskip(SKIP_1) | instid1(VALU_DEP_2)
	v_ashrrev_i32_e32 v6, 31, v5
	v_add_co_u32 v5, vcc_lo, v18, v5
	v_add_co_ci_u32_e32 v6, vcc_lo, v19, v6, vcc_lo
.LBB391_159:
	s_and_not1_saveexec_b32 s3, s3
	s_cbranch_execz .LBB391_161
; %bb.160:
	s_waitcnt lgkmcnt(3)
	v_add_co_u32 v5, vcc_lo, v15, v25
	v_add_co_ci_u32_e32 v6, vcc_lo, 0, v17, vcc_lo
.LBB391_161:
	s_or_b32 exec_lo, exec_lo, s3
	s_waitcnt lgkmcnt(3)
	s_delay_alu instid0(VALU_DEP_1) | instskip(NEXT) | instid1(VALU_DEP_1)
	v_lshlrev_b64 v[5:6], 2, v[5:6]
	v_add_co_u32 v5, vcc_lo, s12, v5
	s_delay_alu instid0(VALU_DEP_2) | instskip(SKIP_3) | instid1(SALU_CYCLE_1)
	v_add_co_ci_u32_e32 v6, vcc_lo, s13, v6, vcc_lo
	s_waitcnt lgkmcnt(2)
	global_store_b32 v[5:6], v3, off
	s_or_b32 exec_lo, exec_lo, s1
	s_mov_b32 s1, exec_lo
	v_cmpx_gt_u32_e64 s11, v24
	s_cbranch_execnz .LBB391_193
.LBB391_162:
	s_or_b32 exec_lo, exec_lo, s1
	s_delay_alu instid0(SALU_CYCLE_1)
	s_mov_b32 s1, exec_lo
	v_cmpx_gt_u32_e64 s11, v23
	s_cbranch_execz .LBB391_198
.LBB391_163:
	s_mov_b32 s3, exec_lo
                                        ; implicit-def: $vgpr3_vgpr4
	v_cmpx_ge_u32_e64 v23, v16
	s_xor_b32 s3, exec_lo, s3
	s_cbranch_execz .LBB391_165
; %bb.164:
	s_waitcnt lgkmcnt(2)
	v_xor_b32_e32 v3, 0xfffff5ff, v0
                                        ; implicit-def: $vgpr23
	s_delay_alu instid0(VALU_DEP_1) | instskip(SKIP_1) | instid1(VALU_DEP_2)
	v_ashrrev_i32_e32 v4, 31, v3
	v_add_co_u32 v3, vcc_lo, v18, v3
	v_add_co_ci_u32_e32 v4, vcc_lo, v19, v4, vcc_lo
.LBB391_165:
	s_and_not1_saveexec_b32 s3, s3
	s_cbranch_execz .LBB391_167
; %bb.166:
	s_waitcnt lgkmcnt(2)
	v_add_co_u32 v3, vcc_lo, v15, v23
	v_add_co_ci_u32_e32 v4, vcc_lo, 0, v17, vcc_lo
.LBB391_167:
	s_or_b32 exec_lo, exec_lo, s3
	s_waitcnt lgkmcnt(2)
	s_delay_alu instid0(VALU_DEP_1) | instskip(NEXT) | instid1(VALU_DEP_1)
	v_lshlrev_b64 v[3:4], 2, v[3:4]
	v_add_co_u32 v3, vcc_lo, s12, v3
	s_delay_alu instid0(VALU_DEP_2) | instskip(SKIP_3) | instid1(SALU_CYCLE_1)
	v_add_co_ci_u32_e32 v4, vcc_lo, s13, v4, vcc_lo
	s_waitcnt lgkmcnt(1)
	global_store_b32 v[3:4], v1, off
	s_or_b32 exec_lo, exec_lo, s1
	s_mov_b32 s1, exec_lo
	v_cmpx_gt_u32_e64 s11, v22
	s_cbranch_execz .LBB391_204
	s_branch .LBB391_199
.LBB391_168:
	s_or_b32 exec_lo, exec_lo, s1
	s_delay_alu instid0(SALU_CYCLE_1)
	s_mov_b32 s1, exec_lo
	v_cmpx_gt_u32_e64 s11, v35
	s_cbranch_execz .LBB391_138
.LBB391_169:
	s_mov_b32 s3, exec_lo
                                        ; implicit-def: $vgpr13_vgpr14
	v_cmpx_ge_u32_e64 v35, v16
	s_xor_b32 s3, exec_lo, s3
	s_cbranch_execz .LBB391_171
; %bb.170:
	s_waitcnt lgkmcnt(6)
	v_xor_b32_e32 v11, 0xfffffeff, v0
                                        ; implicit-def: $vgpr35
	s_delay_alu instid0(VALU_DEP_1) | instskip(SKIP_1) | instid1(VALU_DEP_2)
	v_ashrrev_i32_e32 v14, 31, v11
	v_add_co_u32 v13, vcc_lo, v18, v11
	v_add_co_ci_u32_e32 v14, vcc_lo, v19, v14, vcc_lo
.LBB391_171:
	s_and_not1_saveexec_b32 s3, s3
; %bb.172:
	v_add_co_u32 v13, vcc_lo, v15, v35
	v_add_co_ci_u32_e32 v14, vcc_lo, 0, v17, vcc_lo
; %bb.173:
	s_or_b32 exec_lo, exec_lo, s3
	s_delay_alu instid0(VALU_DEP_1) | instskip(NEXT) | instid1(VALU_DEP_1)
	v_lshlrev_b64 v[13:14], 2, v[13:14]
	v_add_co_u32 v13, vcc_lo, s12, v13
	s_delay_alu instid0(VALU_DEP_2) | instskip(SKIP_3) | instid1(SALU_CYCLE_1)
	v_add_co_ci_u32_e32 v14, vcc_lo, s13, v14, vcc_lo
	s_waitcnt lgkmcnt(6)
	global_store_b32 v[13:14], v12, off
	s_or_b32 exec_lo, exec_lo, s1
	s_mov_b32 s1, exec_lo
	v_cmpx_gt_u32_e64 s11, v31
	s_cbranch_execnz .LBB391_139
.LBB391_174:
	s_or_b32 exec_lo, exec_lo, s1
	s_delay_alu instid0(SALU_CYCLE_1)
	s_mov_b32 s1, exec_lo
	v_cmpx_gt_u32_e64 s11, v30
	s_cbranch_execz .LBB391_144
.LBB391_175:
	s_mov_b32 s3, exec_lo
                                        ; implicit-def: $vgpr11_vgpr12
	v_cmpx_ge_u32_e64 v30, v16
	s_xor_b32 s3, exec_lo, s3
	s_cbranch_execz .LBB391_177
; %bb.176:
	s_waitcnt lgkmcnt(5)
	v_xor_b32_e32 v9, 0xfffffcff, v0
                                        ; implicit-def: $vgpr30
	s_delay_alu instid0(VALU_DEP_1) | instskip(SKIP_1) | instid1(VALU_DEP_2)
	v_ashrrev_i32_e32 v12, 31, v9
	v_add_co_u32 v11, vcc_lo, v18, v9
	v_add_co_ci_u32_e32 v12, vcc_lo, v19, v12, vcc_lo
.LBB391_177:
	s_and_not1_saveexec_b32 s3, s3
	s_cbranch_execz .LBB391_179
; %bb.178:
	s_waitcnt lgkmcnt(6)
	v_add_co_u32 v11, vcc_lo, v15, v30
	v_add_co_ci_u32_e32 v12, vcc_lo, 0, v17, vcc_lo
.LBB391_179:
	s_or_b32 exec_lo, exec_lo, s3
	s_waitcnt lgkmcnt(6)
	s_delay_alu instid0(VALU_DEP_1) | instskip(NEXT) | instid1(VALU_DEP_1)
	v_lshlrev_b64 v[11:12], 2, v[11:12]
	v_add_co_u32 v11, vcc_lo, s12, v11
	s_delay_alu instid0(VALU_DEP_2) | instskip(SKIP_3) | instid1(SALU_CYCLE_1)
	v_add_co_ci_u32_e32 v12, vcc_lo, s13, v12, vcc_lo
	s_waitcnt lgkmcnt(5)
	global_store_b32 v[11:12], v10, off
	s_or_b32 exec_lo, exec_lo, s1
	s_mov_b32 s1, exec_lo
	v_cmpx_gt_u32_e64 s11, v29
	s_cbranch_execnz .LBB391_145
.LBB391_180:
	s_or_b32 exec_lo, exec_lo, s1
	s_delay_alu instid0(SALU_CYCLE_1)
	s_mov_b32 s1, exec_lo
	v_cmpx_gt_u32_e64 s11, v28
	s_cbranch_execz .LBB391_150
.LBB391_181:
	s_mov_b32 s3, exec_lo
                                        ; implicit-def: $vgpr9_vgpr10
	v_cmpx_ge_u32_e64 v28, v16
	s_xor_b32 s3, exec_lo, s3
	s_cbranch_execz .LBB391_183
; %bb.182:
	s_waitcnt lgkmcnt(4)
	v_xor_b32_e32 v7, 0xfffffaff, v0
                                        ; implicit-def: $vgpr28
	s_delay_alu instid0(VALU_DEP_1) | instskip(SKIP_1) | instid1(VALU_DEP_2)
	v_ashrrev_i32_e32 v10, 31, v7
	v_add_co_u32 v9, vcc_lo, v18, v7
	v_add_co_ci_u32_e32 v10, vcc_lo, v19, v10, vcc_lo
.LBB391_183:
	s_and_not1_saveexec_b32 s3, s3
	s_cbranch_execz .LBB391_185
; %bb.184:
	s_waitcnt lgkmcnt(5)
	v_add_co_u32 v9, vcc_lo, v15, v28
	v_add_co_ci_u32_e32 v10, vcc_lo, 0, v17, vcc_lo
.LBB391_185:
	s_or_b32 exec_lo, exec_lo, s3
	s_waitcnt lgkmcnt(5)
	s_delay_alu instid0(VALU_DEP_1) | instskip(NEXT) | instid1(VALU_DEP_1)
	v_lshlrev_b64 v[9:10], 2, v[9:10]
	v_add_co_u32 v9, vcc_lo, s12, v9
	s_delay_alu instid0(VALU_DEP_2) | instskip(SKIP_3) | instid1(SALU_CYCLE_1)
	v_add_co_ci_u32_e32 v10, vcc_lo, s13, v10, vcc_lo
	s_waitcnt lgkmcnt(4)
	global_store_b32 v[9:10], v8, off
	s_or_b32 exec_lo, exec_lo, s1
	s_mov_b32 s1, exec_lo
	v_cmpx_gt_u32_e64 s11, v27
	s_cbranch_execnz .LBB391_151
.LBB391_186:
	s_or_b32 exec_lo, exec_lo, s1
	s_delay_alu instid0(SALU_CYCLE_1)
	s_mov_b32 s1, exec_lo
	v_cmpx_gt_u32_e64 s11, v26
	s_cbranch_execz .LBB391_156
.LBB391_187:
	s_mov_b32 s3, exec_lo
                                        ; implicit-def: $vgpr7_vgpr8
	v_cmpx_ge_u32_e64 v26, v16
	s_xor_b32 s3, exec_lo, s3
	s_cbranch_execz .LBB391_189
; %bb.188:
	s_waitcnt lgkmcnt(3)
	v_xor_b32_e32 v5, 0xfffff8ff, v0
                                        ; implicit-def: $vgpr26
	s_delay_alu instid0(VALU_DEP_1) | instskip(SKIP_1) | instid1(VALU_DEP_2)
	v_ashrrev_i32_e32 v8, 31, v5
	v_add_co_u32 v7, vcc_lo, v18, v5
	v_add_co_ci_u32_e32 v8, vcc_lo, v19, v8, vcc_lo
.LBB391_189:
	s_and_not1_saveexec_b32 s3, s3
	s_cbranch_execz .LBB391_191
; %bb.190:
	s_waitcnt lgkmcnt(4)
	v_add_co_u32 v7, vcc_lo, v15, v26
	v_add_co_ci_u32_e32 v8, vcc_lo, 0, v17, vcc_lo
.LBB391_191:
	s_or_b32 exec_lo, exec_lo, s3
	s_waitcnt lgkmcnt(4)
	s_delay_alu instid0(VALU_DEP_1) | instskip(NEXT) | instid1(VALU_DEP_1)
	v_lshlrev_b64 v[7:8], 2, v[7:8]
	v_add_co_u32 v7, vcc_lo, s12, v7
	s_delay_alu instid0(VALU_DEP_2) | instskip(SKIP_3) | instid1(SALU_CYCLE_1)
	v_add_co_ci_u32_e32 v8, vcc_lo, s13, v8, vcc_lo
	s_waitcnt lgkmcnt(3)
	global_store_b32 v[7:8], v6, off
	s_or_b32 exec_lo, exec_lo, s1
	s_mov_b32 s1, exec_lo
	v_cmpx_gt_u32_e64 s11, v25
	s_cbranch_execnz .LBB391_157
.LBB391_192:
	s_or_b32 exec_lo, exec_lo, s1
	s_delay_alu instid0(SALU_CYCLE_1)
	s_mov_b32 s1, exec_lo
	v_cmpx_gt_u32_e64 s11, v24
	s_cbranch_execz .LBB391_162
.LBB391_193:
	s_mov_b32 s3, exec_lo
                                        ; implicit-def: $vgpr5_vgpr6
	v_cmpx_ge_u32_e64 v24, v16
	s_xor_b32 s3, exec_lo, s3
	s_cbranch_execz .LBB391_195
; %bb.194:
	s_waitcnt lgkmcnt(2)
	v_xor_b32_e32 v3, 0xfffff6ff, v0
                                        ; implicit-def: $vgpr24
	s_delay_alu instid0(VALU_DEP_1) | instskip(SKIP_1) | instid1(VALU_DEP_2)
	v_ashrrev_i32_e32 v6, 31, v3
	v_add_co_u32 v5, vcc_lo, v18, v3
	v_add_co_ci_u32_e32 v6, vcc_lo, v19, v6, vcc_lo
.LBB391_195:
	s_and_not1_saveexec_b32 s3, s3
	s_cbranch_execz .LBB391_197
; %bb.196:
	s_waitcnt lgkmcnt(3)
	v_add_co_u32 v5, vcc_lo, v15, v24
	v_add_co_ci_u32_e32 v6, vcc_lo, 0, v17, vcc_lo
.LBB391_197:
	s_or_b32 exec_lo, exec_lo, s3
	s_waitcnt lgkmcnt(3)
	s_delay_alu instid0(VALU_DEP_1) | instskip(NEXT) | instid1(VALU_DEP_1)
	v_lshlrev_b64 v[5:6], 2, v[5:6]
	v_add_co_u32 v5, vcc_lo, s12, v5
	s_delay_alu instid0(VALU_DEP_2) | instskip(SKIP_3) | instid1(SALU_CYCLE_1)
	v_add_co_ci_u32_e32 v6, vcc_lo, s13, v6, vcc_lo
	s_waitcnt lgkmcnt(2)
	global_store_b32 v[5:6], v4, off
	s_or_b32 exec_lo, exec_lo, s1
	s_mov_b32 s1, exec_lo
	v_cmpx_gt_u32_e64 s11, v23
	s_cbranch_execnz .LBB391_163
.LBB391_198:
	s_or_b32 exec_lo, exec_lo, s1
	s_delay_alu instid0(SALU_CYCLE_1)
	s_mov_b32 s1, exec_lo
	v_cmpx_gt_u32_e64 s11, v22
	s_cbranch_execz .LBB391_204
.LBB391_199:
	s_mov_b32 s3, exec_lo
                                        ; implicit-def: $vgpr3_vgpr4
	v_cmpx_ge_u32_e64 v22, v16
	s_xor_b32 s3, exec_lo, s3
	s_cbranch_execz .LBB391_201
; %bb.200:
	s_waitcnt lgkmcnt(1)
	v_xor_b32_e32 v1, 0xfffff4ff, v0
                                        ; implicit-def: $vgpr22
	s_delay_alu instid0(VALU_DEP_1) | instskip(SKIP_1) | instid1(VALU_DEP_2)
	v_ashrrev_i32_e32 v4, 31, v1
	v_add_co_u32 v3, vcc_lo, v18, v1
	v_add_co_ci_u32_e32 v4, vcc_lo, v19, v4, vcc_lo
.LBB391_201:
	s_and_not1_saveexec_b32 s3, s3
	s_cbranch_execz .LBB391_203
; %bb.202:
	s_waitcnt lgkmcnt(2)
	v_add_co_u32 v3, vcc_lo, v15, v22
	v_add_co_ci_u32_e32 v4, vcc_lo, 0, v17, vcc_lo
.LBB391_203:
	s_or_b32 exec_lo, exec_lo, s3
	s_waitcnt lgkmcnt(2)
	s_delay_alu instid0(VALU_DEP_1) | instskip(NEXT) | instid1(VALU_DEP_1)
	v_lshlrev_b64 v[3:4], 2, v[3:4]
	v_add_co_u32 v3, vcc_lo, s12, v3
	s_delay_alu instid0(VALU_DEP_2)
	v_add_co_ci_u32_e32 v4, vcc_lo, s13, v4, vcc_lo
	s_waitcnt lgkmcnt(1)
	global_store_b32 v[3:4], v2, off
.LBB391_204:
	s_or_b32 exec_lo, exec_lo, s1
	s_delay_alu instid0(SALU_CYCLE_1)
	s_mov_b32 s1, exec_lo
                                        ; implicit-def: $vgpr13_vgpr14
	v_cmpx_gt_u32_e64 s11, v21
	s_cbranch_execz .LBB391_210
; %bb.205:
	s_mov_b32 s3, exec_lo
                                        ; implicit-def: $vgpr13_vgpr14
	v_cmpx_ge_u32_e64 v21, v16
	s_xor_b32 s3, exec_lo, s3
	s_cbranch_execz .LBB391_207
; %bb.206:
	v_xor_b32_e32 v0, 0xfffff3ff, v0
                                        ; implicit-def: $vgpr21
	s_waitcnt lgkmcnt(1)
	s_delay_alu instid0(VALU_DEP_1) | instskip(SKIP_1) | instid1(VALU_DEP_2)
	v_ashrrev_i32_e32 v1, 31, v0
	v_add_co_u32 v13, vcc_lo, v18, v0
	v_add_co_ci_u32_e32 v14, vcc_lo, v19, v1, vcc_lo
.LBB391_207:
	s_and_not1_saveexec_b32 s3, s3
; %bb.208:
	v_add_co_u32 v13, vcc_lo, v15, v21
	v_add_co_ci_u32_e32 v14, vcc_lo, 0, v17, vcc_lo
; %bb.209:
	s_or_b32 exec_lo, exec_lo, s3
	s_delay_alu instid0(SALU_CYCLE_1)
	s_or_b32 s0, s0, exec_lo
.LBB391_210:
	s_or_b32 exec_lo, exec_lo, s1
	s_and_saveexec_b32 s1, s0
	s_cbranch_execnz .LBB391_129
.LBB391_211:
	s_or_b32 exec_lo, exec_lo, s1
	s_and_b32 s0, s2, s10
	s_delay_alu instid0(SALU_CYCLE_1)
	s_and_saveexec_b32 s1, s0
	s_cbranch_execz .LBB391_130
.LBB391_212:
	v_add_co_u32 v0, vcc_lo, v15, v16
	s_waitcnt lgkmcnt(1)
	v_mov_b32_e32 v2, 0
	v_add_co_ci_u32_e32 v1, vcc_lo, 0, v17, vcc_lo
	global_store_b64 v2, v[0:1], s[8:9]
	s_nop 0
	s_sendmsg sendmsg(MSG_DEALLOC_VGPRS)
	s_endpgm
	.section	.rodata,"a",@progbits
	.p2align	6, 0x0
	.amdhsa_kernel _ZN7rocprim17ROCPRIM_400000_NS6detail17trampoline_kernelINS0_13select_configILj256ELj13ELNS0_17block_load_methodE3ELS4_3ELS4_3ELNS0_20block_scan_algorithmE0ELj4294967295EEENS1_25partition_config_selectorILNS1_17partition_subalgoE3EjNS0_10empty_typeEbEEZZNS1_14partition_implILS8_3ELb0ES6_jNS0_17counting_iteratorIjlEEPS9_SE_NS0_5tupleIJPjSE_EEENSF_IJSE_SE_EEES9_SG_JZNS1_25segmented_radix_sort_implINS0_14default_configELb0EPKaPaPKlPlN2at6native12_GLOBAL__N_18offset_tEEE10hipError_tPvRmT1_PNSt15iterator_traitsISY_E10value_typeET2_T3_PNSZ_IS14_E10value_typeET4_jRbjT5_S1A_jjP12ihipStream_tbEUljE_EEESV_SW_SX_S14_S18_S1A_T6_T7_T9_mT8_S1C_bDpT10_ENKUlT_T0_E_clISt17integral_constantIbLb0EES1O_IbLb1EEEEDaS1K_S1L_EUlS1K_E_NS1_11comp_targetILNS1_3genE9ELNS1_11target_archE1100ELNS1_3gpuE3ELNS1_3repE0EEENS1_30default_config_static_selectorELNS0_4arch9wavefront6targetE0EEEvSY_
		.amdhsa_group_segment_fixed_size 13324
		.amdhsa_private_segment_fixed_size 0
		.amdhsa_kernarg_size 152
		.amdhsa_user_sgpr_count 15
		.amdhsa_user_sgpr_dispatch_ptr 0
		.amdhsa_user_sgpr_queue_ptr 0
		.amdhsa_user_sgpr_kernarg_segment_ptr 1
		.amdhsa_user_sgpr_dispatch_id 0
		.amdhsa_user_sgpr_private_segment_size 0
		.amdhsa_wavefront_size32 1
		.amdhsa_uses_dynamic_stack 0
		.amdhsa_enable_private_segment 0
		.amdhsa_system_sgpr_workgroup_id_x 1
		.amdhsa_system_sgpr_workgroup_id_y 0
		.amdhsa_system_sgpr_workgroup_id_z 0
		.amdhsa_system_sgpr_workgroup_info 0
		.amdhsa_system_vgpr_workitem_id 0
		.amdhsa_next_free_vgpr 60
		.amdhsa_next_free_sgpr 26
		.amdhsa_reserve_vcc 1
		.amdhsa_float_round_mode_32 0
		.amdhsa_float_round_mode_16_64 0
		.amdhsa_float_denorm_mode_32 3
		.amdhsa_float_denorm_mode_16_64 3
		.amdhsa_dx10_clamp 1
		.amdhsa_ieee_mode 1
		.amdhsa_fp16_overflow 0
		.amdhsa_workgroup_processor_mode 1
		.amdhsa_memory_ordered 1
		.amdhsa_forward_progress 0
		.amdhsa_shared_vgpr_count 0
		.amdhsa_exception_fp_ieee_invalid_op 0
		.amdhsa_exception_fp_denorm_src 0
		.amdhsa_exception_fp_ieee_div_zero 0
		.amdhsa_exception_fp_ieee_overflow 0
		.amdhsa_exception_fp_ieee_underflow 0
		.amdhsa_exception_fp_ieee_inexact 0
		.amdhsa_exception_int_div_zero 0
	.end_amdhsa_kernel
	.section	.text._ZN7rocprim17ROCPRIM_400000_NS6detail17trampoline_kernelINS0_13select_configILj256ELj13ELNS0_17block_load_methodE3ELS4_3ELS4_3ELNS0_20block_scan_algorithmE0ELj4294967295EEENS1_25partition_config_selectorILNS1_17partition_subalgoE3EjNS0_10empty_typeEbEEZZNS1_14partition_implILS8_3ELb0ES6_jNS0_17counting_iteratorIjlEEPS9_SE_NS0_5tupleIJPjSE_EEENSF_IJSE_SE_EEES9_SG_JZNS1_25segmented_radix_sort_implINS0_14default_configELb0EPKaPaPKlPlN2at6native12_GLOBAL__N_18offset_tEEE10hipError_tPvRmT1_PNSt15iterator_traitsISY_E10value_typeET2_T3_PNSZ_IS14_E10value_typeET4_jRbjT5_S1A_jjP12ihipStream_tbEUljE_EEESV_SW_SX_S14_S18_S1A_T6_T7_T9_mT8_S1C_bDpT10_ENKUlT_T0_E_clISt17integral_constantIbLb0EES1O_IbLb1EEEEDaS1K_S1L_EUlS1K_E_NS1_11comp_targetILNS1_3genE9ELNS1_11target_archE1100ELNS1_3gpuE3ELNS1_3repE0EEENS1_30default_config_static_selectorELNS0_4arch9wavefront6targetE0EEEvSY_,"axG",@progbits,_ZN7rocprim17ROCPRIM_400000_NS6detail17trampoline_kernelINS0_13select_configILj256ELj13ELNS0_17block_load_methodE3ELS4_3ELS4_3ELNS0_20block_scan_algorithmE0ELj4294967295EEENS1_25partition_config_selectorILNS1_17partition_subalgoE3EjNS0_10empty_typeEbEEZZNS1_14partition_implILS8_3ELb0ES6_jNS0_17counting_iteratorIjlEEPS9_SE_NS0_5tupleIJPjSE_EEENSF_IJSE_SE_EEES9_SG_JZNS1_25segmented_radix_sort_implINS0_14default_configELb0EPKaPaPKlPlN2at6native12_GLOBAL__N_18offset_tEEE10hipError_tPvRmT1_PNSt15iterator_traitsISY_E10value_typeET2_T3_PNSZ_IS14_E10value_typeET4_jRbjT5_S1A_jjP12ihipStream_tbEUljE_EEESV_SW_SX_S14_S18_S1A_T6_T7_T9_mT8_S1C_bDpT10_ENKUlT_T0_E_clISt17integral_constantIbLb0EES1O_IbLb1EEEEDaS1K_S1L_EUlS1K_E_NS1_11comp_targetILNS1_3genE9ELNS1_11target_archE1100ELNS1_3gpuE3ELNS1_3repE0EEENS1_30default_config_static_selectorELNS0_4arch9wavefront6targetE0EEEvSY_,comdat
.Lfunc_end391:
	.size	_ZN7rocprim17ROCPRIM_400000_NS6detail17trampoline_kernelINS0_13select_configILj256ELj13ELNS0_17block_load_methodE3ELS4_3ELS4_3ELNS0_20block_scan_algorithmE0ELj4294967295EEENS1_25partition_config_selectorILNS1_17partition_subalgoE3EjNS0_10empty_typeEbEEZZNS1_14partition_implILS8_3ELb0ES6_jNS0_17counting_iteratorIjlEEPS9_SE_NS0_5tupleIJPjSE_EEENSF_IJSE_SE_EEES9_SG_JZNS1_25segmented_radix_sort_implINS0_14default_configELb0EPKaPaPKlPlN2at6native12_GLOBAL__N_18offset_tEEE10hipError_tPvRmT1_PNSt15iterator_traitsISY_E10value_typeET2_T3_PNSZ_IS14_E10value_typeET4_jRbjT5_S1A_jjP12ihipStream_tbEUljE_EEESV_SW_SX_S14_S18_S1A_T6_T7_T9_mT8_S1C_bDpT10_ENKUlT_T0_E_clISt17integral_constantIbLb0EES1O_IbLb1EEEEDaS1K_S1L_EUlS1K_E_NS1_11comp_targetILNS1_3genE9ELNS1_11target_archE1100ELNS1_3gpuE3ELNS1_3repE0EEENS1_30default_config_static_selectorELNS0_4arch9wavefront6targetE0EEEvSY_, .Lfunc_end391-_ZN7rocprim17ROCPRIM_400000_NS6detail17trampoline_kernelINS0_13select_configILj256ELj13ELNS0_17block_load_methodE3ELS4_3ELS4_3ELNS0_20block_scan_algorithmE0ELj4294967295EEENS1_25partition_config_selectorILNS1_17partition_subalgoE3EjNS0_10empty_typeEbEEZZNS1_14partition_implILS8_3ELb0ES6_jNS0_17counting_iteratorIjlEEPS9_SE_NS0_5tupleIJPjSE_EEENSF_IJSE_SE_EEES9_SG_JZNS1_25segmented_radix_sort_implINS0_14default_configELb0EPKaPaPKlPlN2at6native12_GLOBAL__N_18offset_tEEE10hipError_tPvRmT1_PNSt15iterator_traitsISY_E10value_typeET2_T3_PNSZ_IS14_E10value_typeET4_jRbjT5_S1A_jjP12ihipStream_tbEUljE_EEESV_SW_SX_S14_S18_S1A_T6_T7_T9_mT8_S1C_bDpT10_ENKUlT_T0_E_clISt17integral_constantIbLb0EES1O_IbLb1EEEEDaS1K_S1L_EUlS1K_E_NS1_11comp_targetILNS1_3genE9ELNS1_11target_archE1100ELNS1_3gpuE3ELNS1_3repE0EEENS1_30default_config_static_selectorELNS0_4arch9wavefront6targetE0EEEvSY_
                                        ; -- End function
	.section	.AMDGPU.csdata,"",@progbits
; Kernel info:
; codeLenInByte = 9040
; NumSgprs: 28
; NumVgprs: 60
; ScratchSize: 0
; MemoryBound: 0
; FloatMode: 240
; IeeeMode: 1
; LDSByteSize: 13324 bytes/workgroup (compile time only)
; SGPRBlocks: 3
; VGPRBlocks: 7
; NumSGPRsForWavesPerEU: 28
; NumVGPRsForWavesPerEU: 60
; Occupancy: 16
; WaveLimiterHint : 0
; COMPUTE_PGM_RSRC2:SCRATCH_EN: 0
; COMPUTE_PGM_RSRC2:USER_SGPR: 15
; COMPUTE_PGM_RSRC2:TRAP_HANDLER: 0
; COMPUTE_PGM_RSRC2:TGID_X_EN: 1
; COMPUTE_PGM_RSRC2:TGID_Y_EN: 0
; COMPUTE_PGM_RSRC2:TGID_Z_EN: 0
; COMPUTE_PGM_RSRC2:TIDIG_COMP_CNT: 0
	.section	.text._ZN7rocprim17ROCPRIM_400000_NS6detail17trampoline_kernelINS0_13select_configILj256ELj13ELNS0_17block_load_methodE3ELS4_3ELS4_3ELNS0_20block_scan_algorithmE0ELj4294967295EEENS1_25partition_config_selectorILNS1_17partition_subalgoE3EjNS0_10empty_typeEbEEZZNS1_14partition_implILS8_3ELb0ES6_jNS0_17counting_iteratorIjlEEPS9_SE_NS0_5tupleIJPjSE_EEENSF_IJSE_SE_EEES9_SG_JZNS1_25segmented_radix_sort_implINS0_14default_configELb0EPKaPaPKlPlN2at6native12_GLOBAL__N_18offset_tEEE10hipError_tPvRmT1_PNSt15iterator_traitsISY_E10value_typeET2_T3_PNSZ_IS14_E10value_typeET4_jRbjT5_S1A_jjP12ihipStream_tbEUljE_EEESV_SW_SX_S14_S18_S1A_T6_T7_T9_mT8_S1C_bDpT10_ENKUlT_T0_E_clISt17integral_constantIbLb0EES1O_IbLb1EEEEDaS1K_S1L_EUlS1K_E_NS1_11comp_targetILNS1_3genE8ELNS1_11target_archE1030ELNS1_3gpuE2ELNS1_3repE0EEENS1_30default_config_static_selectorELNS0_4arch9wavefront6targetE0EEEvSY_,"axG",@progbits,_ZN7rocprim17ROCPRIM_400000_NS6detail17trampoline_kernelINS0_13select_configILj256ELj13ELNS0_17block_load_methodE3ELS4_3ELS4_3ELNS0_20block_scan_algorithmE0ELj4294967295EEENS1_25partition_config_selectorILNS1_17partition_subalgoE3EjNS0_10empty_typeEbEEZZNS1_14partition_implILS8_3ELb0ES6_jNS0_17counting_iteratorIjlEEPS9_SE_NS0_5tupleIJPjSE_EEENSF_IJSE_SE_EEES9_SG_JZNS1_25segmented_radix_sort_implINS0_14default_configELb0EPKaPaPKlPlN2at6native12_GLOBAL__N_18offset_tEEE10hipError_tPvRmT1_PNSt15iterator_traitsISY_E10value_typeET2_T3_PNSZ_IS14_E10value_typeET4_jRbjT5_S1A_jjP12ihipStream_tbEUljE_EEESV_SW_SX_S14_S18_S1A_T6_T7_T9_mT8_S1C_bDpT10_ENKUlT_T0_E_clISt17integral_constantIbLb0EES1O_IbLb1EEEEDaS1K_S1L_EUlS1K_E_NS1_11comp_targetILNS1_3genE8ELNS1_11target_archE1030ELNS1_3gpuE2ELNS1_3repE0EEENS1_30default_config_static_selectorELNS0_4arch9wavefront6targetE0EEEvSY_,comdat
	.globl	_ZN7rocprim17ROCPRIM_400000_NS6detail17trampoline_kernelINS0_13select_configILj256ELj13ELNS0_17block_load_methodE3ELS4_3ELS4_3ELNS0_20block_scan_algorithmE0ELj4294967295EEENS1_25partition_config_selectorILNS1_17partition_subalgoE3EjNS0_10empty_typeEbEEZZNS1_14partition_implILS8_3ELb0ES6_jNS0_17counting_iteratorIjlEEPS9_SE_NS0_5tupleIJPjSE_EEENSF_IJSE_SE_EEES9_SG_JZNS1_25segmented_radix_sort_implINS0_14default_configELb0EPKaPaPKlPlN2at6native12_GLOBAL__N_18offset_tEEE10hipError_tPvRmT1_PNSt15iterator_traitsISY_E10value_typeET2_T3_PNSZ_IS14_E10value_typeET4_jRbjT5_S1A_jjP12ihipStream_tbEUljE_EEESV_SW_SX_S14_S18_S1A_T6_T7_T9_mT8_S1C_bDpT10_ENKUlT_T0_E_clISt17integral_constantIbLb0EES1O_IbLb1EEEEDaS1K_S1L_EUlS1K_E_NS1_11comp_targetILNS1_3genE8ELNS1_11target_archE1030ELNS1_3gpuE2ELNS1_3repE0EEENS1_30default_config_static_selectorELNS0_4arch9wavefront6targetE0EEEvSY_ ; -- Begin function _ZN7rocprim17ROCPRIM_400000_NS6detail17trampoline_kernelINS0_13select_configILj256ELj13ELNS0_17block_load_methodE3ELS4_3ELS4_3ELNS0_20block_scan_algorithmE0ELj4294967295EEENS1_25partition_config_selectorILNS1_17partition_subalgoE3EjNS0_10empty_typeEbEEZZNS1_14partition_implILS8_3ELb0ES6_jNS0_17counting_iteratorIjlEEPS9_SE_NS0_5tupleIJPjSE_EEENSF_IJSE_SE_EEES9_SG_JZNS1_25segmented_radix_sort_implINS0_14default_configELb0EPKaPaPKlPlN2at6native12_GLOBAL__N_18offset_tEEE10hipError_tPvRmT1_PNSt15iterator_traitsISY_E10value_typeET2_T3_PNSZ_IS14_E10value_typeET4_jRbjT5_S1A_jjP12ihipStream_tbEUljE_EEESV_SW_SX_S14_S18_S1A_T6_T7_T9_mT8_S1C_bDpT10_ENKUlT_T0_E_clISt17integral_constantIbLb0EES1O_IbLb1EEEEDaS1K_S1L_EUlS1K_E_NS1_11comp_targetILNS1_3genE8ELNS1_11target_archE1030ELNS1_3gpuE2ELNS1_3repE0EEENS1_30default_config_static_selectorELNS0_4arch9wavefront6targetE0EEEvSY_
	.p2align	8
	.type	_ZN7rocprim17ROCPRIM_400000_NS6detail17trampoline_kernelINS0_13select_configILj256ELj13ELNS0_17block_load_methodE3ELS4_3ELS4_3ELNS0_20block_scan_algorithmE0ELj4294967295EEENS1_25partition_config_selectorILNS1_17partition_subalgoE3EjNS0_10empty_typeEbEEZZNS1_14partition_implILS8_3ELb0ES6_jNS0_17counting_iteratorIjlEEPS9_SE_NS0_5tupleIJPjSE_EEENSF_IJSE_SE_EEES9_SG_JZNS1_25segmented_radix_sort_implINS0_14default_configELb0EPKaPaPKlPlN2at6native12_GLOBAL__N_18offset_tEEE10hipError_tPvRmT1_PNSt15iterator_traitsISY_E10value_typeET2_T3_PNSZ_IS14_E10value_typeET4_jRbjT5_S1A_jjP12ihipStream_tbEUljE_EEESV_SW_SX_S14_S18_S1A_T6_T7_T9_mT8_S1C_bDpT10_ENKUlT_T0_E_clISt17integral_constantIbLb0EES1O_IbLb1EEEEDaS1K_S1L_EUlS1K_E_NS1_11comp_targetILNS1_3genE8ELNS1_11target_archE1030ELNS1_3gpuE2ELNS1_3repE0EEENS1_30default_config_static_selectorELNS0_4arch9wavefront6targetE0EEEvSY_,@function
_ZN7rocprim17ROCPRIM_400000_NS6detail17trampoline_kernelINS0_13select_configILj256ELj13ELNS0_17block_load_methodE3ELS4_3ELS4_3ELNS0_20block_scan_algorithmE0ELj4294967295EEENS1_25partition_config_selectorILNS1_17partition_subalgoE3EjNS0_10empty_typeEbEEZZNS1_14partition_implILS8_3ELb0ES6_jNS0_17counting_iteratorIjlEEPS9_SE_NS0_5tupleIJPjSE_EEENSF_IJSE_SE_EEES9_SG_JZNS1_25segmented_radix_sort_implINS0_14default_configELb0EPKaPaPKlPlN2at6native12_GLOBAL__N_18offset_tEEE10hipError_tPvRmT1_PNSt15iterator_traitsISY_E10value_typeET2_T3_PNSZ_IS14_E10value_typeET4_jRbjT5_S1A_jjP12ihipStream_tbEUljE_EEESV_SW_SX_S14_S18_S1A_T6_T7_T9_mT8_S1C_bDpT10_ENKUlT_T0_E_clISt17integral_constantIbLb0EES1O_IbLb1EEEEDaS1K_S1L_EUlS1K_E_NS1_11comp_targetILNS1_3genE8ELNS1_11target_archE1030ELNS1_3gpuE2ELNS1_3repE0EEENS1_30default_config_static_selectorELNS0_4arch9wavefront6targetE0EEEvSY_: ; @_ZN7rocprim17ROCPRIM_400000_NS6detail17trampoline_kernelINS0_13select_configILj256ELj13ELNS0_17block_load_methodE3ELS4_3ELS4_3ELNS0_20block_scan_algorithmE0ELj4294967295EEENS1_25partition_config_selectorILNS1_17partition_subalgoE3EjNS0_10empty_typeEbEEZZNS1_14partition_implILS8_3ELb0ES6_jNS0_17counting_iteratorIjlEEPS9_SE_NS0_5tupleIJPjSE_EEENSF_IJSE_SE_EEES9_SG_JZNS1_25segmented_radix_sort_implINS0_14default_configELb0EPKaPaPKlPlN2at6native12_GLOBAL__N_18offset_tEEE10hipError_tPvRmT1_PNSt15iterator_traitsISY_E10value_typeET2_T3_PNSZ_IS14_E10value_typeET4_jRbjT5_S1A_jjP12ihipStream_tbEUljE_EEESV_SW_SX_S14_S18_S1A_T6_T7_T9_mT8_S1C_bDpT10_ENKUlT_T0_E_clISt17integral_constantIbLb0EES1O_IbLb1EEEEDaS1K_S1L_EUlS1K_E_NS1_11comp_targetILNS1_3genE8ELNS1_11target_archE1030ELNS1_3gpuE2ELNS1_3repE0EEENS1_30default_config_static_selectorELNS0_4arch9wavefront6targetE0EEEvSY_
; %bb.0:
	.section	.rodata,"a",@progbits
	.p2align	6, 0x0
	.amdhsa_kernel _ZN7rocprim17ROCPRIM_400000_NS6detail17trampoline_kernelINS0_13select_configILj256ELj13ELNS0_17block_load_methodE3ELS4_3ELS4_3ELNS0_20block_scan_algorithmE0ELj4294967295EEENS1_25partition_config_selectorILNS1_17partition_subalgoE3EjNS0_10empty_typeEbEEZZNS1_14partition_implILS8_3ELb0ES6_jNS0_17counting_iteratorIjlEEPS9_SE_NS0_5tupleIJPjSE_EEENSF_IJSE_SE_EEES9_SG_JZNS1_25segmented_radix_sort_implINS0_14default_configELb0EPKaPaPKlPlN2at6native12_GLOBAL__N_18offset_tEEE10hipError_tPvRmT1_PNSt15iterator_traitsISY_E10value_typeET2_T3_PNSZ_IS14_E10value_typeET4_jRbjT5_S1A_jjP12ihipStream_tbEUljE_EEESV_SW_SX_S14_S18_S1A_T6_T7_T9_mT8_S1C_bDpT10_ENKUlT_T0_E_clISt17integral_constantIbLb0EES1O_IbLb1EEEEDaS1K_S1L_EUlS1K_E_NS1_11comp_targetILNS1_3genE8ELNS1_11target_archE1030ELNS1_3gpuE2ELNS1_3repE0EEENS1_30default_config_static_selectorELNS0_4arch9wavefront6targetE0EEEvSY_
		.amdhsa_group_segment_fixed_size 0
		.amdhsa_private_segment_fixed_size 0
		.amdhsa_kernarg_size 152
		.amdhsa_user_sgpr_count 15
		.amdhsa_user_sgpr_dispatch_ptr 0
		.amdhsa_user_sgpr_queue_ptr 0
		.amdhsa_user_sgpr_kernarg_segment_ptr 1
		.amdhsa_user_sgpr_dispatch_id 0
		.amdhsa_user_sgpr_private_segment_size 0
		.amdhsa_wavefront_size32 1
		.amdhsa_uses_dynamic_stack 0
		.amdhsa_enable_private_segment 0
		.amdhsa_system_sgpr_workgroup_id_x 1
		.amdhsa_system_sgpr_workgroup_id_y 0
		.amdhsa_system_sgpr_workgroup_id_z 0
		.amdhsa_system_sgpr_workgroup_info 0
		.amdhsa_system_vgpr_workitem_id 0
		.amdhsa_next_free_vgpr 1
		.amdhsa_next_free_sgpr 1
		.amdhsa_reserve_vcc 0
		.amdhsa_float_round_mode_32 0
		.amdhsa_float_round_mode_16_64 0
		.amdhsa_float_denorm_mode_32 3
		.amdhsa_float_denorm_mode_16_64 3
		.amdhsa_dx10_clamp 1
		.amdhsa_ieee_mode 1
		.amdhsa_fp16_overflow 0
		.amdhsa_workgroup_processor_mode 1
		.amdhsa_memory_ordered 1
		.amdhsa_forward_progress 0
		.amdhsa_shared_vgpr_count 0
		.amdhsa_exception_fp_ieee_invalid_op 0
		.amdhsa_exception_fp_denorm_src 0
		.amdhsa_exception_fp_ieee_div_zero 0
		.amdhsa_exception_fp_ieee_overflow 0
		.amdhsa_exception_fp_ieee_underflow 0
		.amdhsa_exception_fp_ieee_inexact 0
		.amdhsa_exception_int_div_zero 0
	.end_amdhsa_kernel
	.section	.text._ZN7rocprim17ROCPRIM_400000_NS6detail17trampoline_kernelINS0_13select_configILj256ELj13ELNS0_17block_load_methodE3ELS4_3ELS4_3ELNS0_20block_scan_algorithmE0ELj4294967295EEENS1_25partition_config_selectorILNS1_17partition_subalgoE3EjNS0_10empty_typeEbEEZZNS1_14partition_implILS8_3ELb0ES6_jNS0_17counting_iteratorIjlEEPS9_SE_NS0_5tupleIJPjSE_EEENSF_IJSE_SE_EEES9_SG_JZNS1_25segmented_radix_sort_implINS0_14default_configELb0EPKaPaPKlPlN2at6native12_GLOBAL__N_18offset_tEEE10hipError_tPvRmT1_PNSt15iterator_traitsISY_E10value_typeET2_T3_PNSZ_IS14_E10value_typeET4_jRbjT5_S1A_jjP12ihipStream_tbEUljE_EEESV_SW_SX_S14_S18_S1A_T6_T7_T9_mT8_S1C_bDpT10_ENKUlT_T0_E_clISt17integral_constantIbLb0EES1O_IbLb1EEEEDaS1K_S1L_EUlS1K_E_NS1_11comp_targetILNS1_3genE8ELNS1_11target_archE1030ELNS1_3gpuE2ELNS1_3repE0EEENS1_30default_config_static_selectorELNS0_4arch9wavefront6targetE0EEEvSY_,"axG",@progbits,_ZN7rocprim17ROCPRIM_400000_NS6detail17trampoline_kernelINS0_13select_configILj256ELj13ELNS0_17block_load_methodE3ELS4_3ELS4_3ELNS0_20block_scan_algorithmE0ELj4294967295EEENS1_25partition_config_selectorILNS1_17partition_subalgoE3EjNS0_10empty_typeEbEEZZNS1_14partition_implILS8_3ELb0ES6_jNS0_17counting_iteratorIjlEEPS9_SE_NS0_5tupleIJPjSE_EEENSF_IJSE_SE_EEES9_SG_JZNS1_25segmented_radix_sort_implINS0_14default_configELb0EPKaPaPKlPlN2at6native12_GLOBAL__N_18offset_tEEE10hipError_tPvRmT1_PNSt15iterator_traitsISY_E10value_typeET2_T3_PNSZ_IS14_E10value_typeET4_jRbjT5_S1A_jjP12ihipStream_tbEUljE_EEESV_SW_SX_S14_S18_S1A_T6_T7_T9_mT8_S1C_bDpT10_ENKUlT_T0_E_clISt17integral_constantIbLb0EES1O_IbLb1EEEEDaS1K_S1L_EUlS1K_E_NS1_11comp_targetILNS1_3genE8ELNS1_11target_archE1030ELNS1_3gpuE2ELNS1_3repE0EEENS1_30default_config_static_selectorELNS0_4arch9wavefront6targetE0EEEvSY_,comdat
.Lfunc_end392:
	.size	_ZN7rocprim17ROCPRIM_400000_NS6detail17trampoline_kernelINS0_13select_configILj256ELj13ELNS0_17block_load_methodE3ELS4_3ELS4_3ELNS0_20block_scan_algorithmE0ELj4294967295EEENS1_25partition_config_selectorILNS1_17partition_subalgoE3EjNS0_10empty_typeEbEEZZNS1_14partition_implILS8_3ELb0ES6_jNS0_17counting_iteratorIjlEEPS9_SE_NS0_5tupleIJPjSE_EEENSF_IJSE_SE_EEES9_SG_JZNS1_25segmented_radix_sort_implINS0_14default_configELb0EPKaPaPKlPlN2at6native12_GLOBAL__N_18offset_tEEE10hipError_tPvRmT1_PNSt15iterator_traitsISY_E10value_typeET2_T3_PNSZ_IS14_E10value_typeET4_jRbjT5_S1A_jjP12ihipStream_tbEUljE_EEESV_SW_SX_S14_S18_S1A_T6_T7_T9_mT8_S1C_bDpT10_ENKUlT_T0_E_clISt17integral_constantIbLb0EES1O_IbLb1EEEEDaS1K_S1L_EUlS1K_E_NS1_11comp_targetILNS1_3genE8ELNS1_11target_archE1030ELNS1_3gpuE2ELNS1_3repE0EEENS1_30default_config_static_selectorELNS0_4arch9wavefront6targetE0EEEvSY_, .Lfunc_end392-_ZN7rocprim17ROCPRIM_400000_NS6detail17trampoline_kernelINS0_13select_configILj256ELj13ELNS0_17block_load_methodE3ELS4_3ELS4_3ELNS0_20block_scan_algorithmE0ELj4294967295EEENS1_25partition_config_selectorILNS1_17partition_subalgoE3EjNS0_10empty_typeEbEEZZNS1_14partition_implILS8_3ELb0ES6_jNS0_17counting_iteratorIjlEEPS9_SE_NS0_5tupleIJPjSE_EEENSF_IJSE_SE_EEES9_SG_JZNS1_25segmented_radix_sort_implINS0_14default_configELb0EPKaPaPKlPlN2at6native12_GLOBAL__N_18offset_tEEE10hipError_tPvRmT1_PNSt15iterator_traitsISY_E10value_typeET2_T3_PNSZ_IS14_E10value_typeET4_jRbjT5_S1A_jjP12ihipStream_tbEUljE_EEESV_SW_SX_S14_S18_S1A_T6_T7_T9_mT8_S1C_bDpT10_ENKUlT_T0_E_clISt17integral_constantIbLb0EES1O_IbLb1EEEEDaS1K_S1L_EUlS1K_E_NS1_11comp_targetILNS1_3genE8ELNS1_11target_archE1030ELNS1_3gpuE2ELNS1_3repE0EEENS1_30default_config_static_selectorELNS0_4arch9wavefront6targetE0EEEvSY_
                                        ; -- End function
	.section	.AMDGPU.csdata,"",@progbits
; Kernel info:
; codeLenInByte = 0
; NumSgprs: 0
; NumVgprs: 0
; ScratchSize: 0
; MemoryBound: 0
; FloatMode: 240
; IeeeMode: 1
; LDSByteSize: 0 bytes/workgroup (compile time only)
; SGPRBlocks: 0
; VGPRBlocks: 0
; NumSGPRsForWavesPerEU: 1
; NumVGPRsForWavesPerEU: 1
; Occupancy: 16
; WaveLimiterHint : 0
; COMPUTE_PGM_RSRC2:SCRATCH_EN: 0
; COMPUTE_PGM_RSRC2:USER_SGPR: 15
; COMPUTE_PGM_RSRC2:TRAP_HANDLER: 0
; COMPUTE_PGM_RSRC2:TGID_X_EN: 1
; COMPUTE_PGM_RSRC2:TGID_Y_EN: 0
; COMPUTE_PGM_RSRC2:TGID_Z_EN: 0
; COMPUTE_PGM_RSRC2:TIDIG_COMP_CNT: 0
	.section	.text._ZN7rocprim17ROCPRIM_400000_NS6detail17trampoline_kernelINS0_14default_configENS1_36segmented_radix_sort_config_selectorIalEEZNS1_25segmented_radix_sort_implIS3_Lb0EPKaPaPKlPlN2at6native12_GLOBAL__N_18offset_tEEE10hipError_tPvRmT1_PNSt15iterator_traitsISK_E10value_typeET2_T3_PNSL_ISQ_E10value_typeET4_jRbjT5_SW_jjP12ihipStream_tbEUlT_E_NS1_11comp_targetILNS1_3genE0ELNS1_11target_archE4294967295ELNS1_3gpuE0ELNS1_3repE0EEENS1_30default_config_static_selectorELNS0_4arch9wavefront6targetE0EEEvSK_,"axG",@progbits,_ZN7rocprim17ROCPRIM_400000_NS6detail17trampoline_kernelINS0_14default_configENS1_36segmented_radix_sort_config_selectorIalEEZNS1_25segmented_radix_sort_implIS3_Lb0EPKaPaPKlPlN2at6native12_GLOBAL__N_18offset_tEEE10hipError_tPvRmT1_PNSt15iterator_traitsISK_E10value_typeET2_T3_PNSL_ISQ_E10value_typeET4_jRbjT5_SW_jjP12ihipStream_tbEUlT_E_NS1_11comp_targetILNS1_3genE0ELNS1_11target_archE4294967295ELNS1_3gpuE0ELNS1_3repE0EEENS1_30default_config_static_selectorELNS0_4arch9wavefront6targetE0EEEvSK_,comdat
	.globl	_ZN7rocprim17ROCPRIM_400000_NS6detail17trampoline_kernelINS0_14default_configENS1_36segmented_radix_sort_config_selectorIalEEZNS1_25segmented_radix_sort_implIS3_Lb0EPKaPaPKlPlN2at6native12_GLOBAL__N_18offset_tEEE10hipError_tPvRmT1_PNSt15iterator_traitsISK_E10value_typeET2_T3_PNSL_ISQ_E10value_typeET4_jRbjT5_SW_jjP12ihipStream_tbEUlT_E_NS1_11comp_targetILNS1_3genE0ELNS1_11target_archE4294967295ELNS1_3gpuE0ELNS1_3repE0EEENS1_30default_config_static_selectorELNS0_4arch9wavefront6targetE0EEEvSK_ ; -- Begin function _ZN7rocprim17ROCPRIM_400000_NS6detail17trampoline_kernelINS0_14default_configENS1_36segmented_radix_sort_config_selectorIalEEZNS1_25segmented_radix_sort_implIS3_Lb0EPKaPaPKlPlN2at6native12_GLOBAL__N_18offset_tEEE10hipError_tPvRmT1_PNSt15iterator_traitsISK_E10value_typeET2_T3_PNSL_ISQ_E10value_typeET4_jRbjT5_SW_jjP12ihipStream_tbEUlT_E_NS1_11comp_targetILNS1_3genE0ELNS1_11target_archE4294967295ELNS1_3gpuE0ELNS1_3repE0EEENS1_30default_config_static_selectorELNS0_4arch9wavefront6targetE0EEEvSK_
	.p2align	8
	.type	_ZN7rocprim17ROCPRIM_400000_NS6detail17trampoline_kernelINS0_14default_configENS1_36segmented_radix_sort_config_selectorIalEEZNS1_25segmented_radix_sort_implIS3_Lb0EPKaPaPKlPlN2at6native12_GLOBAL__N_18offset_tEEE10hipError_tPvRmT1_PNSt15iterator_traitsISK_E10value_typeET2_T3_PNSL_ISQ_E10value_typeET4_jRbjT5_SW_jjP12ihipStream_tbEUlT_E_NS1_11comp_targetILNS1_3genE0ELNS1_11target_archE4294967295ELNS1_3gpuE0ELNS1_3repE0EEENS1_30default_config_static_selectorELNS0_4arch9wavefront6targetE0EEEvSK_,@function
_ZN7rocprim17ROCPRIM_400000_NS6detail17trampoline_kernelINS0_14default_configENS1_36segmented_radix_sort_config_selectorIalEEZNS1_25segmented_radix_sort_implIS3_Lb0EPKaPaPKlPlN2at6native12_GLOBAL__N_18offset_tEEE10hipError_tPvRmT1_PNSt15iterator_traitsISK_E10value_typeET2_T3_PNSL_ISQ_E10value_typeET4_jRbjT5_SW_jjP12ihipStream_tbEUlT_E_NS1_11comp_targetILNS1_3genE0ELNS1_11target_archE4294967295ELNS1_3gpuE0ELNS1_3repE0EEENS1_30default_config_static_selectorELNS0_4arch9wavefront6targetE0EEEvSK_: ; @_ZN7rocprim17ROCPRIM_400000_NS6detail17trampoline_kernelINS0_14default_configENS1_36segmented_radix_sort_config_selectorIalEEZNS1_25segmented_radix_sort_implIS3_Lb0EPKaPaPKlPlN2at6native12_GLOBAL__N_18offset_tEEE10hipError_tPvRmT1_PNSt15iterator_traitsISK_E10value_typeET2_T3_PNSL_ISQ_E10value_typeET4_jRbjT5_SW_jjP12ihipStream_tbEUlT_E_NS1_11comp_targetILNS1_3genE0ELNS1_11target_archE4294967295ELNS1_3gpuE0ELNS1_3repE0EEENS1_30default_config_static_selectorELNS0_4arch9wavefront6targetE0EEEvSK_
; %bb.0:
	.section	.rodata,"a",@progbits
	.p2align	6, 0x0
	.amdhsa_kernel _ZN7rocprim17ROCPRIM_400000_NS6detail17trampoline_kernelINS0_14default_configENS1_36segmented_radix_sort_config_selectorIalEEZNS1_25segmented_radix_sort_implIS3_Lb0EPKaPaPKlPlN2at6native12_GLOBAL__N_18offset_tEEE10hipError_tPvRmT1_PNSt15iterator_traitsISK_E10value_typeET2_T3_PNSL_ISQ_E10value_typeET4_jRbjT5_SW_jjP12ihipStream_tbEUlT_E_NS1_11comp_targetILNS1_3genE0ELNS1_11target_archE4294967295ELNS1_3gpuE0ELNS1_3repE0EEENS1_30default_config_static_selectorELNS0_4arch9wavefront6targetE0EEEvSK_
		.amdhsa_group_segment_fixed_size 0
		.amdhsa_private_segment_fixed_size 0
		.amdhsa_kernarg_size 96
		.amdhsa_user_sgpr_count 15
		.amdhsa_user_sgpr_dispatch_ptr 0
		.amdhsa_user_sgpr_queue_ptr 0
		.amdhsa_user_sgpr_kernarg_segment_ptr 1
		.amdhsa_user_sgpr_dispatch_id 0
		.amdhsa_user_sgpr_private_segment_size 0
		.amdhsa_wavefront_size32 1
		.amdhsa_uses_dynamic_stack 0
		.amdhsa_enable_private_segment 0
		.amdhsa_system_sgpr_workgroup_id_x 1
		.amdhsa_system_sgpr_workgroup_id_y 0
		.amdhsa_system_sgpr_workgroup_id_z 0
		.amdhsa_system_sgpr_workgroup_info 0
		.amdhsa_system_vgpr_workitem_id 0
		.amdhsa_next_free_vgpr 1
		.amdhsa_next_free_sgpr 1
		.amdhsa_reserve_vcc 0
		.amdhsa_float_round_mode_32 0
		.amdhsa_float_round_mode_16_64 0
		.amdhsa_float_denorm_mode_32 3
		.amdhsa_float_denorm_mode_16_64 3
		.amdhsa_dx10_clamp 1
		.amdhsa_ieee_mode 1
		.amdhsa_fp16_overflow 0
		.amdhsa_workgroup_processor_mode 1
		.amdhsa_memory_ordered 1
		.amdhsa_forward_progress 0
		.amdhsa_shared_vgpr_count 0
		.amdhsa_exception_fp_ieee_invalid_op 0
		.amdhsa_exception_fp_denorm_src 0
		.amdhsa_exception_fp_ieee_div_zero 0
		.amdhsa_exception_fp_ieee_overflow 0
		.amdhsa_exception_fp_ieee_underflow 0
		.amdhsa_exception_fp_ieee_inexact 0
		.amdhsa_exception_int_div_zero 0
	.end_amdhsa_kernel
	.section	.text._ZN7rocprim17ROCPRIM_400000_NS6detail17trampoline_kernelINS0_14default_configENS1_36segmented_radix_sort_config_selectorIalEEZNS1_25segmented_radix_sort_implIS3_Lb0EPKaPaPKlPlN2at6native12_GLOBAL__N_18offset_tEEE10hipError_tPvRmT1_PNSt15iterator_traitsISK_E10value_typeET2_T3_PNSL_ISQ_E10value_typeET4_jRbjT5_SW_jjP12ihipStream_tbEUlT_E_NS1_11comp_targetILNS1_3genE0ELNS1_11target_archE4294967295ELNS1_3gpuE0ELNS1_3repE0EEENS1_30default_config_static_selectorELNS0_4arch9wavefront6targetE0EEEvSK_,"axG",@progbits,_ZN7rocprim17ROCPRIM_400000_NS6detail17trampoline_kernelINS0_14default_configENS1_36segmented_radix_sort_config_selectorIalEEZNS1_25segmented_radix_sort_implIS3_Lb0EPKaPaPKlPlN2at6native12_GLOBAL__N_18offset_tEEE10hipError_tPvRmT1_PNSt15iterator_traitsISK_E10value_typeET2_T3_PNSL_ISQ_E10value_typeET4_jRbjT5_SW_jjP12ihipStream_tbEUlT_E_NS1_11comp_targetILNS1_3genE0ELNS1_11target_archE4294967295ELNS1_3gpuE0ELNS1_3repE0EEENS1_30default_config_static_selectorELNS0_4arch9wavefront6targetE0EEEvSK_,comdat
.Lfunc_end393:
	.size	_ZN7rocprim17ROCPRIM_400000_NS6detail17trampoline_kernelINS0_14default_configENS1_36segmented_radix_sort_config_selectorIalEEZNS1_25segmented_radix_sort_implIS3_Lb0EPKaPaPKlPlN2at6native12_GLOBAL__N_18offset_tEEE10hipError_tPvRmT1_PNSt15iterator_traitsISK_E10value_typeET2_T3_PNSL_ISQ_E10value_typeET4_jRbjT5_SW_jjP12ihipStream_tbEUlT_E_NS1_11comp_targetILNS1_3genE0ELNS1_11target_archE4294967295ELNS1_3gpuE0ELNS1_3repE0EEENS1_30default_config_static_selectorELNS0_4arch9wavefront6targetE0EEEvSK_, .Lfunc_end393-_ZN7rocprim17ROCPRIM_400000_NS6detail17trampoline_kernelINS0_14default_configENS1_36segmented_radix_sort_config_selectorIalEEZNS1_25segmented_radix_sort_implIS3_Lb0EPKaPaPKlPlN2at6native12_GLOBAL__N_18offset_tEEE10hipError_tPvRmT1_PNSt15iterator_traitsISK_E10value_typeET2_T3_PNSL_ISQ_E10value_typeET4_jRbjT5_SW_jjP12ihipStream_tbEUlT_E_NS1_11comp_targetILNS1_3genE0ELNS1_11target_archE4294967295ELNS1_3gpuE0ELNS1_3repE0EEENS1_30default_config_static_selectorELNS0_4arch9wavefront6targetE0EEEvSK_
                                        ; -- End function
	.section	.AMDGPU.csdata,"",@progbits
; Kernel info:
; codeLenInByte = 0
; NumSgprs: 0
; NumVgprs: 0
; ScratchSize: 0
; MemoryBound: 0
; FloatMode: 240
; IeeeMode: 1
; LDSByteSize: 0 bytes/workgroup (compile time only)
; SGPRBlocks: 0
; VGPRBlocks: 0
; NumSGPRsForWavesPerEU: 1
; NumVGPRsForWavesPerEU: 1
; Occupancy: 16
; WaveLimiterHint : 0
; COMPUTE_PGM_RSRC2:SCRATCH_EN: 0
; COMPUTE_PGM_RSRC2:USER_SGPR: 15
; COMPUTE_PGM_RSRC2:TRAP_HANDLER: 0
; COMPUTE_PGM_RSRC2:TGID_X_EN: 1
; COMPUTE_PGM_RSRC2:TGID_Y_EN: 0
; COMPUTE_PGM_RSRC2:TGID_Z_EN: 0
; COMPUTE_PGM_RSRC2:TIDIG_COMP_CNT: 0
	.section	.text._ZN7rocprim17ROCPRIM_400000_NS6detail17trampoline_kernelINS0_14default_configENS1_36segmented_radix_sort_config_selectorIalEEZNS1_25segmented_radix_sort_implIS3_Lb0EPKaPaPKlPlN2at6native12_GLOBAL__N_18offset_tEEE10hipError_tPvRmT1_PNSt15iterator_traitsISK_E10value_typeET2_T3_PNSL_ISQ_E10value_typeET4_jRbjT5_SW_jjP12ihipStream_tbEUlT_E_NS1_11comp_targetILNS1_3genE5ELNS1_11target_archE942ELNS1_3gpuE9ELNS1_3repE0EEENS1_30default_config_static_selectorELNS0_4arch9wavefront6targetE0EEEvSK_,"axG",@progbits,_ZN7rocprim17ROCPRIM_400000_NS6detail17trampoline_kernelINS0_14default_configENS1_36segmented_radix_sort_config_selectorIalEEZNS1_25segmented_radix_sort_implIS3_Lb0EPKaPaPKlPlN2at6native12_GLOBAL__N_18offset_tEEE10hipError_tPvRmT1_PNSt15iterator_traitsISK_E10value_typeET2_T3_PNSL_ISQ_E10value_typeET4_jRbjT5_SW_jjP12ihipStream_tbEUlT_E_NS1_11comp_targetILNS1_3genE5ELNS1_11target_archE942ELNS1_3gpuE9ELNS1_3repE0EEENS1_30default_config_static_selectorELNS0_4arch9wavefront6targetE0EEEvSK_,comdat
	.globl	_ZN7rocprim17ROCPRIM_400000_NS6detail17trampoline_kernelINS0_14default_configENS1_36segmented_radix_sort_config_selectorIalEEZNS1_25segmented_radix_sort_implIS3_Lb0EPKaPaPKlPlN2at6native12_GLOBAL__N_18offset_tEEE10hipError_tPvRmT1_PNSt15iterator_traitsISK_E10value_typeET2_T3_PNSL_ISQ_E10value_typeET4_jRbjT5_SW_jjP12ihipStream_tbEUlT_E_NS1_11comp_targetILNS1_3genE5ELNS1_11target_archE942ELNS1_3gpuE9ELNS1_3repE0EEENS1_30default_config_static_selectorELNS0_4arch9wavefront6targetE0EEEvSK_ ; -- Begin function _ZN7rocprim17ROCPRIM_400000_NS6detail17trampoline_kernelINS0_14default_configENS1_36segmented_radix_sort_config_selectorIalEEZNS1_25segmented_radix_sort_implIS3_Lb0EPKaPaPKlPlN2at6native12_GLOBAL__N_18offset_tEEE10hipError_tPvRmT1_PNSt15iterator_traitsISK_E10value_typeET2_T3_PNSL_ISQ_E10value_typeET4_jRbjT5_SW_jjP12ihipStream_tbEUlT_E_NS1_11comp_targetILNS1_3genE5ELNS1_11target_archE942ELNS1_3gpuE9ELNS1_3repE0EEENS1_30default_config_static_selectorELNS0_4arch9wavefront6targetE0EEEvSK_
	.p2align	8
	.type	_ZN7rocprim17ROCPRIM_400000_NS6detail17trampoline_kernelINS0_14default_configENS1_36segmented_radix_sort_config_selectorIalEEZNS1_25segmented_radix_sort_implIS3_Lb0EPKaPaPKlPlN2at6native12_GLOBAL__N_18offset_tEEE10hipError_tPvRmT1_PNSt15iterator_traitsISK_E10value_typeET2_T3_PNSL_ISQ_E10value_typeET4_jRbjT5_SW_jjP12ihipStream_tbEUlT_E_NS1_11comp_targetILNS1_3genE5ELNS1_11target_archE942ELNS1_3gpuE9ELNS1_3repE0EEENS1_30default_config_static_selectorELNS0_4arch9wavefront6targetE0EEEvSK_,@function
_ZN7rocprim17ROCPRIM_400000_NS6detail17trampoline_kernelINS0_14default_configENS1_36segmented_radix_sort_config_selectorIalEEZNS1_25segmented_radix_sort_implIS3_Lb0EPKaPaPKlPlN2at6native12_GLOBAL__N_18offset_tEEE10hipError_tPvRmT1_PNSt15iterator_traitsISK_E10value_typeET2_T3_PNSL_ISQ_E10value_typeET4_jRbjT5_SW_jjP12ihipStream_tbEUlT_E_NS1_11comp_targetILNS1_3genE5ELNS1_11target_archE942ELNS1_3gpuE9ELNS1_3repE0EEENS1_30default_config_static_selectorELNS0_4arch9wavefront6targetE0EEEvSK_: ; @_ZN7rocprim17ROCPRIM_400000_NS6detail17trampoline_kernelINS0_14default_configENS1_36segmented_radix_sort_config_selectorIalEEZNS1_25segmented_radix_sort_implIS3_Lb0EPKaPaPKlPlN2at6native12_GLOBAL__N_18offset_tEEE10hipError_tPvRmT1_PNSt15iterator_traitsISK_E10value_typeET2_T3_PNSL_ISQ_E10value_typeET4_jRbjT5_SW_jjP12ihipStream_tbEUlT_E_NS1_11comp_targetILNS1_3genE5ELNS1_11target_archE942ELNS1_3gpuE9ELNS1_3repE0EEENS1_30default_config_static_selectorELNS0_4arch9wavefront6targetE0EEEvSK_
; %bb.0:
	.section	.rodata,"a",@progbits
	.p2align	6, 0x0
	.amdhsa_kernel _ZN7rocprim17ROCPRIM_400000_NS6detail17trampoline_kernelINS0_14default_configENS1_36segmented_radix_sort_config_selectorIalEEZNS1_25segmented_radix_sort_implIS3_Lb0EPKaPaPKlPlN2at6native12_GLOBAL__N_18offset_tEEE10hipError_tPvRmT1_PNSt15iterator_traitsISK_E10value_typeET2_T3_PNSL_ISQ_E10value_typeET4_jRbjT5_SW_jjP12ihipStream_tbEUlT_E_NS1_11comp_targetILNS1_3genE5ELNS1_11target_archE942ELNS1_3gpuE9ELNS1_3repE0EEENS1_30default_config_static_selectorELNS0_4arch9wavefront6targetE0EEEvSK_
		.amdhsa_group_segment_fixed_size 0
		.amdhsa_private_segment_fixed_size 0
		.amdhsa_kernarg_size 96
		.amdhsa_user_sgpr_count 15
		.amdhsa_user_sgpr_dispatch_ptr 0
		.amdhsa_user_sgpr_queue_ptr 0
		.amdhsa_user_sgpr_kernarg_segment_ptr 1
		.amdhsa_user_sgpr_dispatch_id 0
		.amdhsa_user_sgpr_private_segment_size 0
		.amdhsa_wavefront_size32 1
		.amdhsa_uses_dynamic_stack 0
		.amdhsa_enable_private_segment 0
		.amdhsa_system_sgpr_workgroup_id_x 1
		.amdhsa_system_sgpr_workgroup_id_y 0
		.amdhsa_system_sgpr_workgroup_id_z 0
		.amdhsa_system_sgpr_workgroup_info 0
		.amdhsa_system_vgpr_workitem_id 0
		.amdhsa_next_free_vgpr 1
		.amdhsa_next_free_sgpr 1
		.amdhsa_reserve_vcc 0
		.amdhsa_float_round_mode_32 0
		.amdhsa_float_round_mode_16_64 0
		.amdhsa_float_denorm_mode_32 3
		.amdhsa_float_denorm_mode_16_64 3
		.amdhsa_dx10_clamp 1
		.amdhsa_ieee_mode 1
		.amdhsa_fp16_overflow 0
		.amdhsa_workgroup_processor_mode 1
		.amdhsa_memory_ordered 1
		.amdhsa_forward_progress 0
		.amdhsa_shared_vgpr_count 0
		.amdhsa_exception_fp_ieee_invalid_op 0
		.amdhsa_exception_fp_denorm_src 0
		.amdhsa_exception_fp_ieee_div_zero 0
		.amdhsa_exception_fp_ieee_overflow 0
		.amdhsa_exception_fp_ieee_underflow 0
		.amdhsa_exception_fp_ieee_inexact 0
		.amdhsa_exception_int_div_zero 0
	.end_amdhsa_kernel
	.section	.text._ZN7rocprim17ROCPRIM_400000_NS6detail17trampoline_kernelINS0_14default_configENS1_36segmented_radix_sort_config_selectorIalEEZNS1_25segmented_radix_sort_implIS3_Lb0EPKaPaPKlPlN2at6native12_GLOBAL__N_18offset_tEEE10hipError_tPvRmT1_PNSt15iterator_traitsISK_E10value_typeET2_T3_PNSL_ISQ_E10value_typeET4_jRbjT5_SW_jjP12ihipStream_tbEUlT_E_NS1_11comp_targetILNS1_3genE5ELNS1_11target_archE942ELNS1_3gpuE9ELNS1_3repE0EEENS1_30default_config_static_selectorELNS0_4arch9wavefront6targetE0EEEvSK_,"axG",@progbits,_ZN7rocprim17ROCPRIM_400000_NS6detail17trampoline_kernelINS0_14default_configENS1_36segmented_radix_sort_config_selectorIalEEZNS1_25segmented_radix_sort_implIS3_Lb0EPKaPaPKlPlN2at6native12_GLOBAL__N_18offset_tEEE10hipError_tPvRmT1_PNSt15iterator_traitsISK_E10value_typeET2_T3_PNSL_ISQ_E10value_typeET4_jRbjT5_SW_jjP12ihipStream_tbEUlT_E_NS1_11comp_targetILNS1_3genE5ELNS1_11target_archE942ELNS1_3gpuE9ELNS1_3repE0EEENS1_30default_config_static_selectorELNS0_4arch9wavefront6targetE0EEEvSK_,comdat
.Lfunc_end394:
	.size	_ZN7rocprim17ROCPRIM_400000_NS6detail17trampoline_kernelINS0_14default_configENS1_36segmented_radix_sort_config_selectorIalEEZNS1_25segmented_radix_sort_implIS3_Lb0EPKaPaPKlPlN2at6native12_GLOBAL__N_18offset_tEEE10hipError_tPvRmT1_PNSt15iterator_traitsISK_E10value_typeET2_T3_PNSL_ISQ_E10value_typeET4_jRbjT5_SW_jjP12ihipStream_tbEUlT_E_NS1_11comp_targetILNS1_3genE5ELNS1_11target_archE942ELNS1_3gpuE9ELNS1_3repE0EEENS1_30default_config_static_selectorELNS0_4arch9wavefront6targetE0EEEvSK_, .Lfunc_end394-_ZN7rocprim17ROCPRIM_400000_NS6detail17trampoline_kernelINS0_14default_configENS1_36segmented_radix_sort_config_selectorIalEEZNS1_25segmented_radix_sort_implIS3_Lb0EPKaPaPKlPlN2at6native12_GLOBAL__N_18offset_tEEE10hipError_tPvRmT1_PNSt15iterator_traitsISK_E10value_typeET2_T3_PNSL_ISQ_E10value_typeET4_jRbjT5_SW_jjP12ihipStream_tbEUlT_E_NS1_11comp_targetILNS1_3genE5ELNS1_11target_archE942ELNS1_3gpuE9ELNS1_3repE0EEENS1_30default_config_static_selectorELNS0_4arch9wavefront6targetE0EEEvSK_
                                        ; -- End function
	.section	.AMDGPU.csdata,"",@progbits
; Kernel info:
; codeLenInByte = 0
; NumSgprs: 0
; NumVgprs: 0
; ScratchSize: 0
; MemoryBound: 0
; FloatMode: 240
; IeeeMode: 1
; LDSByteSize: 0 bytes/workgroup (compile time only)
; SGPRBlocks: 0
; VGPRBlocks: 0
; NumSGPRsForWavesPerEU: 1
; NumVGPRsForWavesPerEU: 1
; Occupancy: 16
; WaveLimiterHint : 0
; COMPUTE_PGM_RSRC2:SCRATCH_EN: 0
; COMPUTE_PGM_RSRC2:USER_SGPR: 15
; COMPUTE_PGM_RSRC2:TRAP_HANDLER: 0
; COMPUTE_PGM_RSRC2:TGID_X_EN: 1
; COMPUTE_PGM_RSRC2:TGID_Y_EN: 0
; COMPUTE_PGM_RSRC2:TGID_Z_EN: 0
; COMPUTE_PGM_RSRC2:TIDIG_COMP_CNT: 0
	.section	.text._ZN7rocprim17ROCPRIM_400000_NS6detail17trampoline_kernelINS0_14default_configENS1_36segmented_radix_sort_config_selectorIalEEZNS1_25segmented_radix_sort_implIS3_Lb0EPKaPaPKlPlN2at6native12_GLOBAL__N_18offset_tEEE10hipError_tPvRmT1_PNSt15iterator_traitsISK_E10value_typeET2_T3_PNSL_ISQ_E10value_typeET4_jRbjT5_SW_jjP12ihipStream_tbEUlT_E_NS1_11comp_targetILNS1_3genE4ELNS1_11target_archE910ELNS1_3gpuE8ELNS1_3repE0EEENS1_30default_config_static_selectorELNS0_4arch9wavefront6targetE0EEEvSK_,"axG",@progbits,_ZN7rocprim17ROCPRIM_400000_NS6detail17trampoline_kernelINS0_14default_configENS1_36segmented_radix_sort_config_selectorIalEEZNS1_25segmented_radix_sort_implIS3_Lb0EPKaPaPKlPlN2at6native12_GLOBAL__N_18offset_tEEE10hipError_tPvRmT1_PNSt15iterator_traitsISK_E10value_typeET2_T3_PNSL_ISQ_E10value_typeET4_jRbjT5_SW_jjP12ihipStream_tbEUlT_E_NS1_11comp_targetILNS1_3genE4ELNS1_11target_archE910ELNS1_3gpuE8ELNS1_3repE0EEENS1_30default_config_static_selectorELNS0_4arch9wavefront6targetE0EEEvSK_,comdat
	.globl	_ZN7rocprim17ROCPRIM_400000_NS6detail17trampoline_kernelINS0_14default_configENS1_36segmented_radix_sort_config_selectorIalEEZNS1_25segmented_radix_sort_implIS3_Lb0EPKaPaPKlPlN2at6native12_GLOBAL__N_18offset_tEEE10hipError_tPvRmT1_PNSt15iterator_traitsISK_E10value_typeET2_T3_PNSL_ISQ_E10value_typeET4_jRbjT5_SW_jjP12ihipStream_tbEUlT_E_NS1_11comp_targetILNS1_3genE4ELNS1_11target_archE910ELNS1_3gpuE8ELNS1_3repE0EEENS1_30default_config_static_selectorELNS0_4arch9wavefront6targetE0EEEvSK_ ; -- Begin function _ZN7rocprim17ROCPRIM_400000_NS6detail17trampoline_kernelINS0_14default_configENS1_36segmented_radix_sort_config_selectorIalEEZNS1_25segmented_radix_sort_implIS3_Lb0EPKaPaPKlPlN2at6native12_GLOBAL__N_18offset_tEEE10hipError_tPvRmT1_PNSt15iterator_traitsISK_E10value_typeET2_T3_PNSL_ISQ_E10value_typeET4_jRbjT5_SW_jjP12ihipStream_tbEUlT_E_NS1_11comp_targetILNS1_3genE4ELNS1_11target_archE910ELNS1_3gpuE8ELNS1_3repE0EEENS1_30default_config_static_selectorELNS0_4arch9wavefront6targetE0EEEvSK_
	.p2align	8
	.type	_ZN7rocprim17ROCPRIM_400000_NS6detail17trampoline_kernelINS0_14default_configENS1_36segmented_radix_sort_config_selectorIalEEZNS1_25segmented_radix_sort_implIS3_Lb0EPKaPaPKlPlN2at6native12_GLOBAL__N_18offset_tEEE10hipError_tPvRmT1_PNSt15iterator_traitsISK_E10value_typeET2_T3_PNSL_ISQ_E10value_typeET4_jRbjT5_SW_jjP12ihipStream_tbEUlT_E_NS1_11comp_targetILNS1_3genE4ELNS1_11target_archE910ELNS1_3gpuE8ELNS1_3repE0EEENS1_30default_config_static_selectorELNS0_4arch9wavefront6targetE0EEEvSK_,@function
_ZN7rocprim17ROCPRIM_400000_NS6detail17trampoline_kernelINS0_14default_configENS1_36segmented_radix_sort_config_selectorIalEEZNS1_25segmented_radix_sort_implIS3_Lb0EPKaPaPKlPlN2at6native12_GLOBAL__N_18offset_tEEE10hipError_tPvRmT1_PNSt15iterator_traitsISK_E10value_typeET2_T3_PNSL_ISQ_E10value_typeET4_jRbjT5_SW_jjP12ihipStream_tbEUlT_E_NS1_11comp_targetILNS1_3genE4ELNS1_11target_archE910ELNS1_3gpuE8ELNS1_3repE0EEENS1_30default_config_static_selectorELNS0_4arch9wavefront6targetE0EEEvSK_: ; @_ZN7rocprim17ROCPRIM_400000_NS6detail17trampoline_kernelINS0_14default_configENS1_36segmented_radix_sort_config_selectorIalEEZNS1_25segmented_radix_sort_implIS3_Lb0EPKaPaPKlPlN2at6native12_GLOBAL__N_18offset_tEEE10hipError_tPvRmT1_PNSt15iterator_traitsISK_E10value_typeET2_T3_PNSL_ISQ_E10value_typeET4_jRbjT5_SW_jjP12ihipStream_tbEUlT_E_NS1_11comp_targetILNS1_3genE4ELNS1_11target_archE910ELNS1_3gpuE8ELNS1_3repE0EEENS1_30default_config_static_selectorELNS0_4arch9wavefront6targetE0EEEvSK_
; %bb.0:
	.section	.rodata,"a",@progbits
	.p2align	6, 0x0
	.amdhsa_kernel _ZN7rocprim17ROCPRIM_400000_NS6detail17trampoline_kernelINS0_14default_configENS1_36segmented_radix_sort_config_selectorIalEEZNS1_25segmented_radix_sort_implIS3_Lb0EPKaPaPKlPlN2at6native12_GLOBAL__N_18offset_tEEE10hipError_tPvRmT1_PNSt15iterator_traitsISK_E10value_typeET2_T3_PNSL_ISQ_E10value_typeET4_jRbjT5_SW_jjP12ihipStream_tbEUlT_E_NS1_11comp_targetILNS1_3genE4ELNS1_11target_archE910ELNS1_3gpuE8ELNS1_3repE0EEENS1_30default_config_static_selectorELNS0_4arch9wavefront6targetE0EEEvSK_
		.amdhsa_group_segment_fixed_size 0
		.amdhsa_private_segment_fixed_size 0
		.amdhsa_kernarg_size 96
		.amdhsa_user_sgpr_count 15
		.amdhsa_user_sgpr_dispatch_ptr 0
		.amdhsa_user_sgpr_queue_ptr 0
		.amdhsa_user_sgpr_kernarg_segment_ptr 1
		.amdhsa_user_sgpr_dispatch_id 0
		.amdhsa_user_sgpr_private_segment_size 0
		.amdhsa_wavefront_size32 1
		.amdhsa_uses_dynamic_stack 0
		.amdhsa_enable_private_segment 0
		.amdhsa_system_sgpr_workgroup_id_x 1
		.amdhsa_system_sgpr_workgroup_id_y 0
		.amdhsa_system_sgpr_workgroup_id_z 0
		.amdhsa_system_sgpr_workgroup_info 0
		.amdhsa_system_vgpr_workitem_id 0
		.amdhsa_next_free_vgpr 1
		.amdhsa_next_free_sgpr 1
		.amdhsa_reserve_vcc 0
		.amdhsa_float_round_mode_32 0
		.amdhsa_float_round_mode_16_64 0
		.amdhsa_float_denorm_mode_32 3
		.amdhsa_float_denorm_mode_16_64 3
		.amdhsa_dx10_clamp 1
		.amdhsa_ieee_mode 1
		.amdhsa_fp16_overflow 0
		.amdhsa_workgroup_processor_mode 1
		.amdhsa_memory_ordered 1
		.amdhsa_forward_progress 0
		.amdhsa_shared_vgpr_count 0
		.amdhsa_exception_fp_ieee_invalid_op 0
		.amdhsa_exception_fp_denorm_src 0
		.amdhsa_exception_fp_ieee_div_zero 0
		.amdhsa_exception_fp_ieee_overflow 0
		.amdhsa_exception_fp_ieee_underflow 0
		.amdhsa_exception_fp_ieee_inexact 0
		.amdhsa_exception_int_div_zero 0
	.end_amdhsa_kernel
	.section	.text._ZN7rocprim17ROCPRIM_400000_NS6detail17trampoline_kernelINS0_14default_configENS1_36segmented_radix_sort_config_selectorIalEEZNS1_25segmented_radix_sort_implIS3_Lb0EPKaPaPKlPlN2at6native12_GLOBAL__N_18offset_tEEE10hipError_tPvRmT1_PNSt15iterator_traitsISK_E10value_typeET2_T3_PNSL_ISQ_E10value_typeET4_jRbjT5_SW_jjP12ihipStream_tbEUlT_E_NS1_11comp_targetILNS1_3genE4ELNS1_11target_archE910ELNS1_3gpuE8ELNS1_3repE0EEENS1_30default_config_static_selectorELNS0_4arch9wavefront6targetE0EEEvSK_,"axG",@progbits,_ZN7rocprim17ROCPRIM_400000_NS6detail17trampoline_kernelINS0_14default_configENS1_36segmented_radix_sort_config_selectorIalEEZNS1_25segmented_radix_sort_implIS3_Lb0EPKaPaPKlPlN2at6native12_GLOBAL__N_18offset_tEEE10hipError_tPvRmT1_PNSt15iterator_traitsISK_E10value_typeET2_T3_PNSL_ISQ_E10value_typeET4_jRbjT5_SW_jjP12ihipStream_tbEUlT_E_NS1_11comp_targetILNS1_3genE4ELNS1_11target_archE910ELNS1_3gpuE8ELNS1_3repE0EEENS1_30default_config_static_selectorELNS0_4arch9wavefront6targetE0EEEvSK_,comdat
.Lfunc_end395:
	.size	_ZN7rocprim17ROCPRIM_400000_NS6detail17trampoline_kernelINS0_14default_configENS1_36segmented_radix_sort_config_selectorIalEEZNS1_25segmented_radix_sort_implIS3_Lb0EPKaPaPKlPlN2at6native12_GLOBAL__N_18offset_tEEE10hipError_tPvRmT1_PNSt15iterator_traitsISK_E10value_typeET2_T3_PNSL_ISQ_E10value_typeET4_jRbjT5_SW_jjP12ihipStream_tbEUlT_E_NS1_11comp_targetILNS1_3genE4ELNS1_11target_archE910ELNS1_3gpuE8ELNS1_3repE0EEENS1_30default_config_static_selectorELNS0_4arch9wavefront6targetE0EEEvSK_, .Lfunc_end395-_ZN7rocprim17ROCPRIM_400000_NS6detail17trampoline_kernelINS0_14default_configENS1_36segmented_radix_sort_config_selectorIalEEZNS1_25segmented_radix_sort_implIS3_Lb0EPKaPaPKlPlN2at6native12_GLOBAL__N_18offset_tEEE10hipError_tPvRmT1_PNSt15iterator_traitsISK_E10value_typeET2_T3_PNSL_ISQ_E10value_typeET4_jRbjT5_SW_jjP12ihipStream_tbEUlT_E_NS1_11comp_targetILNS1_3genE4ELNS1_11target_archE910ELNS1_3gpuE8ELNS1_3repE0EEENS1_30default_config_static_selectorELNS0_4arch9wavefront6targetE0EEEvSK_
                                        ; -- End function
	.section	.AMDGPU.csdata,"",@progbits
; Kernel info:
; codeLenInByte = 0
; NumSgprs: 0
; NumVgprs: 0
; ScratchSize: 0
; MemoryBound: 0
; FloatMode: 240
; IeeeMode: 1
; LDSByteSize: 0 bytes/workgroup (compile time only)
; SGPRBlocks: 0
; VGPRBlocks: 0
; NumSGPRsForWavesPerEU: 1
; NumVGPRsForWavesPerEU: 1
; Occupancy: 16
; WaveLimiterHint : 0
; COMPUTE_PGM_RSRC2:SCRATCH_EN: 0
; COMPUTE_PGM_RSRC2:USER_SGPR: 15
; COMPUTE_PGM_RSRC2:TRAP_HANDLER: 0
; COMPUTE_PGM_RSRC2:TGID_X_EN: 1
; COMPUTE_PGM_RSRC2:TGID_Y_EN: 0
; COMPUTE_PGM_RSRC2:TGID_Z_EN: 0
; COMPUTE_PGM_RSRC2:TIDIG_COMP_CNT: 0
	.section	.text._ZN7rocprim17ROCPRIM_400000_NS6detail17trampoline_kernelINS0_14default_configENS1_36segmented_radix_sort_config_selectorIalEEZNS1_25segmented_radix_sort_implIS3_Lb0EPKaPaPKlPlN2at6native12_GLOBAL__N_18offset_tEEE10hipError_tPvRmT1_PNSt15iterator_traitsISK_E10value_typeET2_T3_PNSL_ISQ_E10value_typeET4_jRbjT5_SW_jjP12ihipStream_tbEUlT_E_NS1_11comp_targetILNS1_3genE3ELNS1_11target_archE908ELNS1_3gpuE7ELNS1_3repE0EEENS1_30default_config_static_selectorELNS0_4arch9wavefront6targetE0EEEvSK_,"axG",@progbits,_ZN7rocprim17ROCPRIM_400000_NS6detail17trampoline_kernelINS0_14default_configENS1_36segmented_radix_sort_config_selectorIalEEZNS1_25segmented_radix_sort_implIS3_Lb0EPKaPaPKlPlN2at6native12_GLOBAL__N_18offset_tEEE10hipError_tPvRmT1_PNSt15iterator_traitsISK_E10value_typeET2_T3_PNSL_ISQ_E10value_typeET4_jRbjT5_SW_jjP12ihipStream_tbEUlT_E_NS1_11comp_targetILNS1_3genE3ELNS1_11target_archE908ELNS1_3gpuE7ELNS1_3repE0EEENS1_30default_config_static_selectorELNS0_4arch9wavefront6targetE0EEEvSK_,comdat
	.globl	_ZN7rocprim17ROCPRIM_400000_NS6detail17trampoline_kernelINS0_14default_configENS1_36segmented_radix_sort_config_selectorIalEEZNS1_25segmented_radix_sort_implIS3_Lb0EPKaPaPKlPlN2at6native12_GLOBAL__N_18offset_tEEE10hipError_tPvRmT1_PNSt15iterator_traitsISK_E10value_typeET2_T3_PNSL_ISQ_E10value_typeET4_jRbjT5_SW_jjP12ihipStream_tbEUlT_E_NS1_11comp_targetILNS1_3genE3ELNS1_11target_archE908ELNS1_3gpuE7ELNS1_3repE0EEENS1_30default_config_static_selectorELNS0_4arch9wavefront6targetE0EEEvSK_ ; -- Begin function _ZN7rocprim17ROCPRIM_400000_NS6detail17trampoline_kernelINS0_14default_configENS1_36segmented_radix_sort_config_selectorIalEEZNS1_25segmented_radix_sort_implIS3_Lb0EPKaPaPKlPlN2at6native12_GLOBAL__N_18offset_tEEE10hipError_tPvRmT1_PNSt15iterator_traitsISK_E10value_typeET2_T3_PNSL_ISQ_E10value_typeET4_jRbjT5_SW_jjP12ihipStream_tbEUlT_E_NS1_11comp_targetILNS1_3genE3ELNS1_11target_archE908ELNS1_3gpuE7ELNS1_3repE0EEENS1_30default_config_static_selectorELNS0_4arch9wavefront6targetE0EEEvSK_
	.p2align	8
	.type	_ZN7rocprim17ROCPRIM_400000_NS6detail17trampoline_kernelINS0_14default_configENS1_36segmented_radix_sort_config_selectorIalEEZNS1_25segmented_radix_sort_implIS3_Lb0EPKaPaPKlPlN2at6native12_GLOBAL__N_18offset_tEEE10hipError_tPvRmT1_PNSt15iterator_traitsISK_E10value_typeET2_T3_PNSL_ISQ_E10value_typeET4_jRbjT5_SW_jjP12ihipStream_tbEUlT_E_NS1_11comp_targetILNS1_3genE3ELNS1_11target_archE908ELNS1_3gpuE7ELNS1_3repE0EEENS1_30default_config_static_selectorELNS0_4arch9wavefront6targetE0EEEvSK_,@function
_ZN7rocprim17ROCPRIM_400000_NS6detail17trampoline_kernelINS0_14default_configENS1_36segmented_radix_sort_config_selectorIalEEZNS1_25segmented_radix_sort_implIS3_Lb0EPKaPaPKlPlN2at6native12_GLOBAL__N_18offset_tEEE10hipError_tPvRmT1_PNSt15iterator_traitsISK_E10value_typeET2_T3_PNSL_ISQ_E10value_typeET4_jRbjT5_SW_jjP12ihipStream_tbEUlT_E_NS1_11comp_targetILNS1_3genE3ELNS1_11target_archE908ELNS1_3gpuE7ELNS1_3repE0EEENS1_30default_config_static_selectorELNS0_4arch9wavefront6targetE0EEEvSK_: ; @_ZN7rocprim17ROCPRIM_400000_NS6detail17trampoline_kernelINS0_14default_configENS1_36segmented_radix_sort_config_selectorIalEEZNS1_25segmented_radix_sort_implIS3_Lb0EPKaPaPKlPlN2at6native12_GLOBAL__N_18offset_tEEE10hipError_tPvRmT1_PNSt15iterator_traitsISK_E10value_typeET2_T3_PNSL_ISQ_E10value_typeET4_jRbjT5_SW_jjP12ihipStream_tbEUlT_E_NS1_11comp_targetILNS1_3genE3ELNS1_11target_archE908ELNS1_3gpuE7ELNS1_3repE0EEENS1_30default_config_static_selectorELNS0_4arch9wavefront6targetE0EEEvSK_
; %bb.0:
	.section	.rodata,"a",@progbits
	.p2align	6, 0x0
	.amdhsa_kernel _ZN7rocprim17ROCPRIM_400000_NS6detail17trampoline_kernelINS0_14default_configENS1_36segmented_radix_sort_config_selectorIalEEZNS1_25segmented_radix_sort_implIS3_Lb0EPKaPaPKlPlN2at6native12_GLOBAL__N_18offset_tEEE10hipError_tPvRmT1_PNSt15iterator_traitsISK_E10value_typeET2_T3_PNSL_ISQ_E10value_typeET4_jRbjT5_SW_jjP12ihipStream_tbEUlT_E_NS1_11comp_targetILNS1_3genE3ELNS1_11target_archE908ELNS1_3gpuE7ELNS1_3repE0EEENS1_30default_config_static_selectorELNS0_4arch9wavefront6targetE0EEEvSK_
		.amdhsa_group_segment_fixed_size 0
		.amdhsa_private_segment_fixed_size 0
		.amdhsa_kernarg_size 96
		.amdhsa_user_sgpr_count 15
		.amdhsa_user_sgpr_dispatch_ptr 0
		.amdhsa_user_sgpr_queue_ptr 0
		.amdhsa_user_sgpr_kernarg_segment_ptr 1
		.amdhsa_user_sgpr_dispatch_id 0
		.amdhsa_user_sgpr_private_segment_size 0
		.amdhsa_wavefront_size32 1
		.amdhsa_uses_dynamic_stack 0
		.amdhsa_enable_private_segment 0
		.amdhsa_system_sgpr_workgroup_id_x 1
		.amdhsa_system_sgpr_workgroup_id_y 0
		.amdhsa_system_sgpr_workgroup_id_z 0
		.amdhsa_system_sgpr_workgroup_info 0
		.amdhsa_system_vgpr_workitem_id 0
		.amdhsa_next_free_vgpr 1
		.amdhsa_next_free_sgpr 1
		.amdhsa_reserve_vcc 0
		.amdhsa_float_round_mode_32 0
		.amdhsa_float_round_mode_16_64 0
		.amdhsa_float_denorm_mode_32 3
		.amdhsa_float_denorm_mode_16_64 3
		.amdhsa_dx10_clamp 1
		.amdhsa_ieee_mode 1
		.amdhsa_fp16_overflow 0
		.amdhsa_workgroup_processor_mode 1
		.amdhsa_memory_ordered 1
		.amdhsa_forward_progress 0
		.amdhsa_shared_vgpr_count 0
		.amdhsa_exception_fp_ieee_invalid_op 0
		.amdhsa_exception_fp_denorm_src 0
		.amdhsa_exception_fp_ieee_div_zero 0
		.amdhsa_exception_fp_ieee_overflow 0
		.amdhsa_exception_fp_ieee_underflow 0
		.amdhsa_exception_fp_ieee_inexact 0
		.amdhsa_exception_int_div_zero 0
	.end_amdhsa_kernel
	.section	.text._ZN7rocprim17ROCPRIM_400000_NS6detail17trampoline_kernelINS0_14default_configENS1_36segmented_radix_sort_config_selectorIalEEZNS1_25segmented_radix_sort_implIS3_Lb0EPKaPaPKlPlN2at6native12_GLOBAL__N_18offset_tEEE10hipError_tPvRmT1_PNSt15iterator_traitsISK_E10value_typeET2_T3_PNSL_ISQ_E10value_typeET4_jRbjT5_SW_jjP12ihipStream_tbEUlT_E_NS1_11comp_targetILNS1_3genE3ELNS1_11target_archE908ELNS1_3gpuE7ELNS1_3repE0EEENS1_30default_config_static_selectorELNS0_4arch9wavefront6targetE0EEEvSK_,"axG",@progbits,_ZN7rocprim17ROCPRIM_400000_NS6detail17trampoline_kernelINS0_14default_configENS1_36segmented_radix_sort_config_selectorIalEEZNS1_25segmented_radix_sort_implIS3_Lb0EPKaPaPKlPlN2at6native12_GLOBAL__N_18offset_tEEE10hipError_tPvRmT1_PNSt15iterator_traitsISK_E10value_typeET2_T3_PNSL_ISQ_E10value_typeET4_jRbjT5_SW_jjP12ihipStream_tbEUlT_E_NS1_11comp_targetILNS1_3genE3ELNS1_11target_archE908ELNS1_3gpuE7ELNS1_3repE0EEENS1_30default_config_static_selectorELNS0_4arch9wavefront6targetE0EEEvSK_,comdat
.Lfunc_end396:
	.size	_ZN7rocprim17ROCPRIM_400000_NS6detail17trampoline_kernelINS0_14default_configENS1_36segmented_radix_sort_config_selectorIalEEZNS1_25segmented_radix_sort_implIS3_Lb0EPKaPaPKlPlN2at6native12_GLOBAL__N_18offset_tEEE10hipError_tPvRmT1_PNSt15iterator_traitsISK_E10value_typeET2_T3_PNSL_ISQ_E10value_typeET4_jRbjT5_SW_jjP12ihipStream_tbEUlT_E_NS1_11comp_targetILNS1_3genE3ELNS1_11target_archE908ELNS1_3gpuE7ELNS1_3repE0EEENS1_30default_config_static_selectorELNS0_4arch9wavefront6targetE0EEEvSK_, .Lfunc_end396-_ZN7rocprim17ROCPRIM_400000_NS6detail17trampoline_kernelINS0_14default_configENS1_36segmented_radix_sort_config_selectorIalEEZNS1_25segmented_radix_sort_implIS3_Lb0EPKaPaPKlPlN2at6native12_GLOBAL__N_18offset_tEEE10hipError_tPvRmT1_PNSt15iterator_traitsISK_E10value_typeET2_T3_PNSL_ISQ_E10value_typeET4_jRbjT5_SW_jjP12ihipStream_tbEUlT_E_NS1_11comp_targetILNS1_3genE3ELNS1_11target_archE908ELNS1_3gpuE7ELNS1_3repE0EEENS1_30default_config_static_selectorELNS0_4arch9wavefront6targetE0EEEvSK_
                                        ; -- End function
	.section	.AMDGPU.csdata,"",@progbits
; Kernel info:
; codeLenInByte = 0
; NumSgprs: 0
; NumVgprs: 0
; ScratchSize: 0
; MemoryBound: 0
; FloatMode: 240
; IeeeMode: 1
; LDSByteSize: 0 bytes/workgroup (compile time only)
; SGPRBlocks: 0
; VGPRBlocks: 0
; NumSGPRsForWavesPerEU: 1
; NumVGPRsForWavesPerEU: 1
; Occupancy: 16
; WaveLimiterHint : 0
; COMPUTE_PGM_RSRC2:SCRATCH_EN: 0
; COMPUTE_PGM_RSRC2:USER_SGPR: 15
; COMPUTE_PGM_RSRC2:TRAP_HANDLER: 0
; COMPUTE_PGM_RSRC2:TGID_X_EN: 1
; COMPUTE_PGM_RSRC2:TGID_Y_EN: 0
; COMPUTE_PGM_RSRC2:TGID_Z_EN: 0
; COMPUTE_PGM_RSRC2:TIDIG_COMP_CNT: 0
	.section	.text._ZN7rocprim17ROCPRIM_400000_NS6detail17trampoline_kernelINS0_14default_configENS1_36segmented_radix_sort_config_selectorIalEEZNS1_25segmented_radix_sort_implIS3_Lb0EPKaPaPKlPlN2at6native12_GLOBAL__N_18offset_tEEE10hipError_tPvRmT1_PNSt15iterator_traitsISK_E10value_typeET2_T3_PNSL_ISQ_E10value_typeET4_jRbjT5_SW_jjP12ihipStream_tbEUlT_E_NS1_11comp_targetILNS1_3genE2ELNS1_11target_archE906ELNS1_3gpuE6ELNS1_3repE0EEENS1_30default_config_static_selectorELNS0_4arch9wavefront6targetE0EEEvSK_,"axG",@progbits,_ZN7rocprim17ROCPRIM_400000_NS6detail17trampoline_kernelINS0_14default_configENS1_36segmented_radix_sort_config_selectorIalEEZNS1_25segmented_radix_sort_implIS3_Lb0EPKaPaPKlPlN2at6native12_GLOBAL__N_18offset_tEEE10hipError_tPvRmT1_PNSt15iterator_traitsISK_E10value_typeET2_T3_PNSL_ISQ_E10value_typeET4_jRbjT5_SW_jjP12ihipStream_tbEUlT_E_NS1_11comp_targetILNS1_3genE2ELNS1_11target_archE906ELNS1_3gpuE6ELNS1_3repE0EEENS1_30default_config_static_selectorELNS0_4arch9wavefront6targetE0EEEvSK_,comdat
	.globl	_ZN7rocprim17ROCPRIM_400000_NS6detail17trampoline_kernelINS0_14default_configENS1_36segmented_radix_sort_config_selectorIalEEZNS1_25segmented_radix_sort_implIS3_Lb0EPKaPaPKlPlN2at6native12_GLOBAL__N_18offset_tEEE10hipError_tPvRmT1_PNSt15iterator_traitsISK_E10value_typeET2_T3_PNSL_ISQ_E10value_typeET4_jRbjT5_SW_jjP12ihipStream_tbEUlT_E_NS1_11comp_targetILNS1_3genE2ELNS1_11target_archE906ELNS1_3gpuE6ELNS1_3repE0EEENS1_30default_config_static_selectorELNS0_4arch9wavefront6targetE0EEEvSK_ ; -- Begin function _ZN7rocprim17ROCPRIM_400000_NS6detail17trampoline_kernelINS0_14default_configENS1_36segmented_radix_sort_config_selectorIalEEZNS1_25segmented_radix_sort_implIS3_Lb0EPKaPaPKlPlN2at6native12_GLOBAL__N_18offset_tEEE10hipError_tPvRmT1_PNSt15iterator_traitsISK_E10value_typeET2_T3_PNSL_ISQ_E10value_typeET4_jRbjT5_SW_jjP12ihipStream_tbEUlT_E_NS1_11comp_targetILNS1_3genE2ELNS1_11target_archE906ELNS1_3gpuE6ELNS1_3repE0EEENS1_30default_config_static_selectorELNS0_4arch9wavefront6targetE0EEEvSK_
	.p2align	8
	.type	_ZN7rocprim17ROCPRIM_400000_NS6detail17trampoline_kernelINS0_14default_configENS1_36segmented_radix_sort_config_selectorIalEEZNS1_25segmented_radix_sort_implIS3_Lb0EPKaPaPKlPlN2at6native12_GLOBAL__N_18offset_tEEE10hipError_tPvRmT1_PNSt15iterator_traitsISK_E10value_typeET2_T3_PNSL_ISQ_E10value_typeET4_jRbjT5_SW_jjP12ihipStream_tbEUlT_E_NS1_11comp_targetILNS1_3genE2ELNS1_11target_archE906ELNS1_3gpuE6ELNS1_3repE0EEENS1_30default_config_static_selectorELNS0_4arch9wavefront6targetE0EEEvSK_,@function
_ZN7rocprim17ROCPRIM_400000_NS6detail17trampoline_kernelINS0_14default_configENS1_36segmented_radix_sort_config_selectorIalEEZNS1_25segmented_radix_sort_implIS3_Lb0EPKaPaPKlPlN2at6native12_GLOBAL__N_18offset_tEEE10hipError_tPvRmT1_PNSt15iterator_traitsISK_E10value_typeET2_T3_PNSL_ISQ_E10value_typeET4_jRbjT5_SW_jjP12ihipStream_tbEUlT_E_NS1_11comp_targetILNS1_3genE2ELNS1_11target_archE906ELNS1_3gpuE6ELNS1_3repE0EEENS1_30default_config_static_selectorELNS0_4arch9wavefront6targetE0EEEvSK_: ; @_ZN7rocprim17ROCPRIM_400000_NS6detail17trampoline_kernelINS0_14default_configENS1_36segmented_radix_sort_config_selectorIalEEZNS1_25segmented_radix_sort_implIS3_Lb0EPKaPaPKlPlN2at6native12_GLOBAL__N_18offset_tEEE10hipError_tPvRmT1_PNSt15iterator_traitsISK_E10value_typeET2_T3_PNSL_ISQ_E10value_typeET4_jRbjT5_SW_jjP12ihipStream_tbEUlT_E_NS1_11comp_targetILNS1_3genE2ELNS1_11target_archE906ELNS1_3gpuE6ELNS1_3repE0EEENS1_30default_config_static_selectorELNS0_4arch9wavefront6targetE0EEEvSK_
; %bb.0:
	.section	.rodata,"a",@progbits
	.p2align	6, 0x0
	.amdhsa_kernel _ZN7rocprim17ROCPRIM_400000_NS6detail17trampoline_kernelINS0_14default_configENS1_36segmented_radix_sort_config_selectorIalEEZNS1_25segmented_radix_sort_implIS3_Lb0EPKaPaPKlPlN2at6native12_GLOBAL__N_18offset_tEEE10hipError_tPvRmT1_PNSt15iterator_traitsISK_E10value_typeET2_T3_PNSL_ISQ_E10value_typeET4_jRbjT5_SW_jjP12ihipStream_tbEUlT_E_NS1_11comp_targetILNS1_3genE2ELNS1_11target_archE906ELNS1_3gpuE6ELNS1_3repE0EEENS1_30default_config_static_selectorELNS0_4arch9wavefront6targetE0EEEvSK_
		.amdhsa_group_segment_fixed_size 0
		.amdhsa_private_segment_fixed_size 0
		.amdhsa_kernarg_size 96
		.amdhsa_user_sgpr_count 15
		.amdhsa_user_sgpr_dispatch_ptr 0
		.amdhsa_user_sgpr_queue_ptr 0
		.amdhsa_user_sgpr_kernarg_segment_ptr 1
		.amdhsa_user_sgpr_dispatch_id 0
		.amdhsa_user_sgpr_private_segment_size 0
		.amdhsa_wavefront_size32 1
		.amdhsa_uses_dynamic_stack 0
		.amdhsa_enable_private_segment 0
		.amdhsa_system_sgpr_workgroup_id_x 1
		.amdhsa_system_sgpr_workgroup_id_y 0
		.amdhsa_system_sgpr_workgroup_id_z 0
		.amdhsa_system_sgpr_workgroup_info 0
		.amdhsa_system_vgpr_workitem_id 0
		.amdhsa_next_free_vgpr 1
		.amdhsa_next_free_sgpr 1
		.amdhsa_reserve_vcc 0
		.amdhsa_float_round_mode_32 0
		.amdhsa_float_round_mode_16_64 0
		.amdhsa_float_denorm_mode_32 3
		.amdhsa_float_denorm_mode_16_64 3
		.amdhsa_dx10_clamp 1
		.amdhsa_ieee_mode 1
		.amdhsa_fp16_overflow 0
		.amdhsa_workgroup_processor_mode 1
		.amdhsa_memory_ordered 1
		.amdhsa_forward_progress 0
		.amdhsa_shared_vgpr_count 0
		.amdhsa_exception_fp_ieee_invalid_op 0
		.amdhsa_exception_fp_denorm_src 0
		.amdhsa_exception_fp_ieee_div_zero 0
		.amdhsa_exception_fp_ieee_overflow 0
		.amdhsa_exception_fp_ieee_underflow 0
		.amdhsa_exception_fp_ieee_inexact 0
		.amdhsa_exception_int_div_zero 0
	.end_amdhsa_kernel
	.section	.text._ZN7rocprim17ROCPRIM_400000_NS6detail17trampoline_kernelINS0_14default_configENS1_36segmented_radix_sort_config_selectorIalEEZNS1_25segmented_radix_sort_implIS3_Lb0EPKaPaPKlPlN2at6native12_GLOBAL__N_18offset_tEEE10hipError_tPvRmT1_PNSt15iterator_traitsISK_E10value_typeET2_T3_PNSL_ISQ_E10value_typeET4_jRbjT5_SW_jjP12ihipStream_tbEUlT_E_NS1_11comp_targetILNS1_3genE2ELNS1_11target_archE906ELNS1_3gpuE6ELNS1_3repE0EEENS1_30default_config_static_selectorELNS0_4arch9wavefront6targetE0EEEvSK_,"axG",@progbits,_ZN7rocprim17ROCPRIM_400000_NS6detail17trampoline_kernelINS0_14default_configENS1_36segmented_radix_sort_config_selectorIalEEZNS1_25segmented_radix_sort_implIS3_Lb0EPKaPaPKlPlN2at6native12_GLOBAL__N_18offset_tEEE10hipError_tPvRmT1_PNSt15iterator_traitsISK_E10value_typeET2_T3_PNSL_ISQ_E10value_typeET4_jRbjT5_SW_jjP12ihipStream_tbEUlT_E_NS1_11comp_targetILNS1_3genE2ELNS1_11target_archE906ELNS1_3gpuE6ELNS1_3repE0EEENS1_30default_config_static_selectorELNS0_4arch9wavefront6targetE0EEEvSK_,comdat
.Lfunc_end397:
	.size	_ZN7rocprim17ROCPRIM_400000_NS6detail17trampoline_kernelINS0_14default_configENS1_36segmented_radix_sort_config_selectorIalEEZNS1_25segmented_radix_sort_implIS3_Lb0EPKaPaPKlPlN2at6native12_GLOBAL__N_18offset_tEEE10hipError_tPvRmT1_PNSt15iterator_traitsISK_E10value_typeET2_T3_PNSL_ISQ_E10value_typeET4_jRbjT5_SW_jjP12ihipStream_tbEUlT_E_NS1_11comp_targetILNS1_3genE2ELNS1_11target_archE906ELNS1_3gpuE6ELNS1_3repE0EEENS1_30default_config_static_selectorELNS0_4arch9wavefront6targetE0EEEvSK_, .Lfunc_end397-_ZN7rocprim17ROCPRIM_400000_NS6detail17trampoline_kernelINS0_14default_configENS1_36segmented_radix_sort_config_selectorIalEEZNS1_25segmented_radix_sort_implIS3_Lb0EPKaPaPKlPlN2at6native12_GLOBAL__N_18offset_tEEE10hipError_tPvRmT1_PNSt15iterator_traitsISK_E10value_typeET2_T3_PNSL_ISQ_E10value_typeET4_jRbjT5_SW_jjP12ihipStream_tbEUlT_E_NS1_11comp_targetILNS1_3genE2ELNS1_11target_archE906ELNS1_3gpuE6ELNS1_3repE0EEENS1_30default_config_static_selectorELNS0_4arch9wavefront6targetE0EEEvSK_
                                        ; -- End function
	.section	.AMDGPU.csdata,"",@progbits
; Kernel info:
; codeLenInByte = 0
; NumSgprs: 0
; NumVgprs: 0
; ScratchSize: 0
; MemoryBound: 0
; FloatMode: 240
; IeeeMode: 1
; LDSByteSize: 0 bytes/workgroup (compile time only)
; SGPRBlocks: 0
; VGPRBlocks: 0
; NumSGPRsForWavesPerEU: 1
; NumVGPRsForWavesPerEU: 1
; Occupancy: 16
; WaveLimiterHint : 0
; COMPUTE_PGM_RSRC2:SCRATCH_EN: 0
; COMPUTE_PGM_RSRC2:USER_SGPR: 15
; COMPUTE_PGM_RSRC2:TRAP_HANDLER: 0
; COMPUTE_PGM_RSRC2:TGID_X_EN: 1
; COMPUTE_PGM_RSRC2:TGID_Y_EN: 0
; COMPUTE_PGM_RSRC2:TGID_Z_EN: 0
; COMPUTE_PGM_RSRC2:TIDIG_COMP_CNT: 0
	.section	.text._ZN7rocprim17ROCPRIM_400000_NS6detail17trampoline_kernelINS0_14default_configENS1_36segmented_radix_sort_config_selectorIalEEZNS1_25segmented_radix_sort_implIS3_Lb0EPKaPaPKlPlN2at6native12_GLOBAL__N_18offset_tEEE10hipError_tPvRmT1_PNSt15iterator_traitsISK_E10value_typeET2_T3_PNSL_ISQ_E10value_typeET4_jRbjT5_SW_jjP12ihipStream_tbEUlT_E_NS1_11comp_targetILNS1_3genE10ELNS1_11target_archE1201ELNS1_3gpuE5ELNS1_3repE0EEENS1_30default_config_static_selectorELNS0_4arch9wavefront6targetE0EEEvSK_,"axG",@progbits,_ZN7rocprim17ROCPRIM_400000_NS6detail17trampoline_kernelINS0_14default_configENS1_36segmented_radix_sort_config_selectorIalEEZNS1_25segmented_radix_sort_implIS3_Lb0EPKaPaPKlPlN2at6native12_GLOBAL__N_18offset_tEEE10hipError_tPvRmT1_PNSt15iterator_traitsISK_E10value_typeET2_T3_PNSL_ISQ_E10value_typeET4_jRbjT5_SW_jjP12ihipStream_tbEUlT_E_NS1_11comp_targetILNS1_3genE10ELNS1_11target_archE1201ELNS1_3gpuE5ELNS1_3repE0EEENS1_30default_config_static_selectorELNS0_4arch9wavefront6targetE0EEEvSK_,comdat
	.globl	_ZN7rocprim17ROCPRIM_400000_NS6detail17trampoline_kernelINS0_14default_configENS1_36segmented_radix_sort_config_selectorIalEEZNS1_25segmented_radix_sort_implIS3_Lb0EPKaPaPKlPlN2at6native12_GLOBAL__N_18offset_tEEE10hipError_tPvRmT1_PNSt15iterator_traitsISK_E10value_typeET2_T3_PNSL_ISQ_E10value_typeET4_jRbjT5_SW_jjP12ihipStream_tbEUlT_E_NS1_11comp_targetILNS1_3genE10ELNS1_11target_archE1201ELNS1_3gpuE5ELNS1_3repE0EEENS1_30default_config_static_selectorELNS0_4arch9wavefront6targetE0EEEvSK_ ; -- Begin function _ZN7rocprim17ROCPRIM_400000_NS6detail17trampoline_kernelINS0_14default_configENS1_36segmented_radix_sort_config_selectorIalEEZNS1_25segmented_radix_sort_implIS3_Lb0EPKaPaPKlPlN2at6native12_GLOBAL__N_18offset_tEEE10hipError_tPvRmT1_PNSt15iterator_traitsISK_E10value_typeET2_T3_PNSL_ISQ_E10value_typeET4_jRbjT5_SW_jjP12ihipStream_tbEUlT_E_NS1_11comp_targetILNS1_3genE10ELNS1_11target_archE1201ELNS1_3gpuE5ELNS1_3repE0EEENS1_30default_config_static_selectorELNS0_4arch9wavefront6targetE0EEEvSK_
	.p2align	8
	.type	_ZN7rocprim17ROCPRIM_400000_NS6detail17trampoline_kernelINS0_14default_configENS1_36segmented_radix_sort_config_selectorIalEEZNS1_25segmented_radix_sort_implIS3_Lb0EPKaPaPKlPlN2at6native12_GLOBAL__N_18offset_tEEE10hipError_tPvRmT1_PNSt15iterator_traitsISK_E10value_typeET2_T3_PNSL_ISQ_E10value_typeET4_jRbjT5_SW_jjP12ihipStream_tbEUlT_E_NS1_11comp_targetILNS1_3genE10ELNS1_11target_archE1201ELNS1_3gpuE5ELNS1_3repE0EEENS1_30default_config_static_selectorELNS0_4arch9wavefront6targetE0EEEvSK_,@function
_ZN7rocprim17ROCPRIM_400000_NS6detail17trampoline_kernelINS0_14default_configENS1_36segmented_radix_sort_config_selectorIalEEZNS1_25segmented_radix_sort_implIS3_Lb0EPKaPaPKlPlN2at6native12_GLOBAL__N_18offset_tEEE10hipError_tPvRmT1_PNSt15iterator_traitsISK_E10value_typeET2_T3_PNSL_ISQ_E10value_typeET4_jRbjT5_SW_jjP12ihipStream_tbEUlT_E_NS1_11comp_targetILNS1_3genE10ELNS1_11target_archE1201ELNS1_3gpuE5ELNS1_3repE0EEENS1_30default_config_static_selectorELNS0_4arch9wavefront6targetE0EEEvSK_: ; @_ZN7rocprim17ROCPRIM_400000_NS6detail17trampoline_kernelINS0_14default_configENS1_36segmented_radix_sort_config_selectorIalEEZNS1_25segmented_radix_sort_implIS3_Lb0EPKaPaPKlPlN2at6native12_GLOBAL__N_18offset_tEEE10hipError_tPvRmT1_PNSt15iterator_traitsISK_E10value_typeET2_T3_PNSL_ISQ_E10value_typeET4_jRbjT5_SW_jjP12ihipStream_tbEUlT_E_NS1_11comp_targetILNS1_3genE10ELNS1_11target_archE1201ELNS1_3gpuE5ELNS1_3repE0EEENS1_30default_config_static_selectorELNS0_4arch9wavefront6targetE0EEEvSK_
; %bb.0:
	.section	.rodata,"a",@progbits
	.p2align	6, 0x0
	.amdhsa_kernel _ZN7rocprim17ROCPRIM_400000_NS6detail17trampoline_kernelINS0_14default_configENS1_36segmented_radix_sort_config_selectorIalEEZNS1_25segmented_radix_sort_implIS3_Lb0EPKaPaPKlPlN2at6native12_GLOBAL__N_18offset_tEEE10hipError_tPvRmT1_PNSt15iterator_traitsISK_E10value_typeET2_T3_PNSL_ISQ_E10value_typeET4_jRbjT5_SW_jjP12ihipStream_tbEUlT_E_NS1_11comp_targetILNS1_3genE10ELNS1_11target_archE1201ELNS1_3gpuE5ELNS1_3repE0EEENS1_30default_config_static_selectorELNS0_4arch9wavefront6targetE0EEEvSK_
		.amdhsa_group_segment_fixed_size 0
		.amdhsa_private_segment_fixed_size 0
		.amdhsa_kernarg_size 96
		.amdhsa_user_sgpr_count 15
		.amdhsa_user_sgpr_dispatch_ptr 0
		.amdhsa_user_sgpr_queue_ptr 0
		.amdhsa_user_sgpr_kernarg_segment_ptr 1
		.amdhsa_user_sgpr_dispatch_id 0
		.amdhsa_user_sgpr_private_segment_size 0
		.amdhsa_wavefront_size32 1
		.amdhsa_uses_dynamic_stack 0
		.amdhsa_enable_private_segment 0
		.amdhsa_system_sgpr_workgroup_id_x 1
		.amdhsa_system_sgpr_workgroup_id_y 0
		.amdhsa_system_sgpr_workgroup_id_z 0
		.amdhsa_system_sgpr_workgroup_info 0
		.amdhsa_system_vgpr_workitem_id 0
		.amdhsa_next_free_vgpr 1
		.amdhsa_next_free_sgpr 1
		.amdhsa_reserve_vcc 0
		.amdhsa_float_round_mode_32 0
		.amdhsa_float_round_mode_16_64 0
		.amdhsa_float_denorm_mode_32 3
		.amdhsa_float_denorm_mode_16_64 3
		.amdhsa_dx10_clamp 1
		.amdhsa_ieee_mode 1
		.amdhsa_fp16_overflow 0
		.amdhsa_workgroup_processor_mode 1
		.amdhsa_memory_ordered 1
		.amdhsa_forward_progress 0
		.amdhsa_shared_vgpr_count 0
		.amdhsa_exception_fp_ieee_invalid_op 0
		.amdhsa_exception_fp_denorm_src 0
		.amdhsa_exception_fp_ieee_div_zero 0
		.amdhsa_exception_fp_ieee_overflow 0
		.amdhsa_exception_fp_ieee_underflow 0
		.amdhsa_exception_fp_ieee_inexact 0
		.amdhsa_exception_int_div_zero 0
	.end_amdhsa_kernel
	.section	.text._ZN7rocprim17ROCPRIM_400000_NS6detail17trampoline_kernelINS0_14default_configENS1_36segmented_radix_sort_config_selectorIalEEZNS1_25segmented_radix_sort_implIS3_Lb0EPKaPaPKlPlN2at6native12_GLOBAL__N_18offset_tEEE10hipError_tPvRmT1_PNSt15iterator_traitsISK_E10value_typeET2_T3_PNSL_ISQ_E10value_typeET4_jRbjT5_SW_jjP12ihipStream_tbEUlT_E_NS1_11comp_targetILNS1_3genE10ELNS1_11target_archE1201ELNS1_3gpuE5ELNS1_3repE0EEENS1_30default_config_static_selectorELNS0_4arch9wavefront6targetE0EEEvSK_,"axG",@progbits,_ZN7rocprim17ROCPRIM_400000_NS6detail17trampoline_kernelINS0_14default_configENS1_36segmented_radix_sort_config_selectorIalEEZNS1_25segmented_radix_sort_implIS3_Lb0EPKaPaPKlPlN2at6native12_GLOBAL__N_18offset_tEEE10hipError_tPvRmT1_PNSt15iterator_traitsISK_E10value_typeET2_T3_PNSL_ISQ_E10value_typeET4_jRbjT5_SW_jjP12ihipStream_tbEUlT_E_NS1_11comp_targetILNS1_3genE10ELNS1_11target_archE1201ELNS1_3gpuE5ELNS1_3repE0EEENS1_30default_config_static_selectorELNS0_4arch9wavefront6targetE0EEEvSK_,comdat
.Lfunc_end398:
	.size	_ZN7rocprim17ROCPRIM_400000_NS6detail17trampoline_kernelINS0_14default_configENS1_36segmented_radix_sort_config_selectorIalEEZNS1_25segmented_radix_sort_implIS3_Lb0EPKaPaPKlPlN2at6native12_GLOBAL__N_18offset_tEEE10hipError_tPvRmT1_PNSt15iterator_traitsISK_E10value_typeET2_T3_PNSL_ISQ_E10value_typeET4_jRbjT5_SW_jjP12ihipStream_tbEUlT_E_NS1_11comp_targetILNS1_3genE10ELNS1_11target_archE1201ELNS1_3gpuE5ELNS1_3repE0EEENS1_30default_config_static_selectorELNS0_4arch9wavefront6targetE0EEEvSK_, .Lfunc_end398-_ZN7rocprim17ROCPRIM_400000_NS6detail17trampoline_kernelINS0_14default_configENS1_36segmented_radix_sort_config_selectorIalEEZNS1_25segmented_radix_sort_implIS3_Lb0EPKaPaPKlPlN2at6native12_GLOBAL__N_18offset_tEEE10hipError_tPvRmT1_PNSt15iterator_traitsISK_E10value_typeET2_T3_PNSL_ISQ_E10value_typeET4_jRbjT5_SW_jjP12ihipStream_tbEUlT_E_NS1_11comp_targetILNS1_3genE10ELNS1_11target_archE1201ELNS1_3gpuE5ELNS1_3repE0EEENS1_30default_config_static_selectorELNS0_4arch9wavefront6targetE0EEEvSK_
                                        ; -- End function
	.section	.AMDGPU.csdata,"",@progbits
; Kernel info:
; codeLenInByte = 0
; NumSgprs: 0
; NumVgprs: 0
; ScratchSize: 0
; MemoryBound: 0
; FloatMode: 240
; IeeeMode: 1
; LDSByteSize: 0 bytes/workgroup (compile time only)
; SGPRBlocks: 0
; VGPRBlocks: 0
; NumSGPRsForWavesPerEU: 1
; NumVGPRsForWavesPerEU: 1
; Occupancy: 16
; WaveLimiterHint : 0
; COMPUTE_PGM_RSRC2:SCRATCH_EN: 0
; COMPUTE_PGM_RSRC2:USER_SGPR: 15
; COMPUTE_PGM_RSRC2:TRAP_HANDLER: 0
; COMPUTE_PGM_RSRC2:TGID_X_EN: 1
; COMPUTE_PGM_RSRC2:TGID_Y_EN: 0
; COMPUTE_PGM_RSRC2:TGID_Z_EN: 0
; COMPUTE_PGM_RSRC2:TIDIG_COMP_CNT: 0
	.section	.text._ZN7rocprim17ROCPRIM_400000_NS6detail17trampoline_kernelINS0_14default_configENS1_36segmented_radix_sort_config_selectorIalEEZNS1_25segmented_radix_sort_implIS3_Lb0EPKaPaPKlPlN2at6native12_GLOBAL__N_18offset_tEEE10hipError_tPvRmT1_PNSt15iterator_traitsISK_E10value_typeET2_T3_PNSL_ISQ_E10value_typeET4_jRbjT5_SW_jjP12ihipStream_tbEUlT_E_NS1_11comp_targetILNS1_3genE10ELNS1_11target_archE1200ELNS1_3gpuE4ELNS1_3repE0EEENS1_30default_config_static_selectorELNS0_4arch9wavefront6targetE0EEEvSK_,"axG",@progbits,_ZN7rocprim17ROCPRIM_400000_NS6detail17trampoline_kernelINS0_14default_configENS1_36segmented_radix_sort_config_selectorIalEEZNS1_25segmented_radix_sort_implIS3_Lb0EPKaPaPKlPlN2at6native12_GLOBAL__N_18offset_tEEE10hipError_tPvRmT1_PNSt15iterator_traitsISK_E10value_typeET2_T3_PNSL_ISQ_E10value_typeET4_jRbjT5_SW_jjP12ihipStream_tbEUlT_E_NS1_11comp_targetILNS1_3genE10ELNS1_11target_archE1200ELNS1_3gpuE4ELNS1_3repE0EEENS1_30default_config_static_selectorELNS0_4arch9wavefront6targetE0EEEvSK_,comdat
	.globl	_ZN7rocprim17ROCPRIM_400000_NS6detail17trampoline_kernelINS0_14default_configENS1_36segmented_radix_sort_config_selectorIalEEZNS1_25segmented_radix_sort_implIS3_Lb0EPKaPaPKlPlN2at6native12_GLOBAL__N_18offset_tEEE10hipError_tPvRmT1_PNSt15iterator_traitsISK_E10value_typeET2_T3_PNSL_ISQ_E10value_typeET4_jRbjT5_SW_jjP12ihipStream_tbEUlT_E_NS1_11comp_targetILNS1_3genE10ELNS1_11target_archE1200ELNS1_3gpuE4ELNS1_3repE0EEENS1_30default_config_static_selectorELNS0_4arch9wavefront6targetE0EEEvSK_ ; -- Begin function _ZN7rocprim17ROCPRIM_400000_NS6detail17trampoline_kernelINS0_14default_configENS1_36segmented_radix_sort_config_selectorIalEEZNS1_25segmented_radix_sort_implIS3_Lb0EPKaPaPKlPlN2at6native12_GLOBAL__N_18offset_tEEE10hipError_tPvRmT1_PNSt15iterator_traitsISK_E10value_typeET2_T3_PNSL_ISQ_E10value_typeET4_jRbjT5_SW_jjP12ihipStream_tbEUlT_E_NS1_11comp_targetILNS1_3genE10ELNS1_11target_archE1200ELNS1_3gpuE4ELNS1_3repE0EEENS1_30default_config_static_selectorELNS0_4arch9wavefront6targetE0EEEvSK_
	.p2align	8
	.type	_ZN7rocprim17ROCPRIM_400000_NS6detail17trampoline_kernelINS0_14default_configENS1_36segmented_radix_sort_config_selectorIalEEZNS1_25segmented_radix_sort_implIS3_Lb0EPKaPaPKlPlN2at6native12_GLOBAL__N_18offset_tEEE10hipError_tPvRmT1_PNSt15iterator_traitsISK_E10value_typeET2_T3_PNSL_ISQ_E10value_typeET4_jRbjT5_SW_jjP12ihipStream_tbEUlT_E_NS1_11comp_targetILNS1_3genE10ELNS1_11target_archE1200ELNS1_3gpuE4ELNS1_3repE0EEENS1_30default_config_static_selectorELNS0_4arch9wavefront6targetE0EEEvSK_,@function
_ZN7rocprim17ROCPRIM_400000_NS6detail17trampoline_kernelINS0_14default_configENS1_36segmented_radix_sort_config_selectorIalEEZNS1_25segmented_radix_sort_implIS3_Lb0EPKaPaPKlPlN2at6native12_GLOBAL__N_18offset_tEEE10hipError_tPvRmT1_PNSt15iterator_traitsISK_E10value_typeET2_T3_PNSL_ISQ_E10value_typeET4_jRbjT5_SW_jjP12ihipStream_tbEUlT_E_NS1_11comp_targetILNS1_3genE10ELNS1_11target_archE1200ELNS1_3gpuE4ELNS1_3repE0EEENS1_30default_config_static_selectorELNS0_4arch9wavefront6targetE0EEEvSK_: ; @_ZN7rocprim17ROCPRIM_400000_NS6detail17trampoline_kernelINS0_14default_configENS1_36segmented_radix_sort_config_selectorIalEEZNS1_25segmented_radix_sort_implIS3_Lb0EPKaPaPKlPlN2at6native12_GLOBAL__N_18offset_tEEE10hipError_tPvRmT1_PNSt15iterator_traitsISK_E10value_typeET2_T3_PNSL_ISQ_E10value_typeET4_jRbjT5_SW_jjP12ihipStream_tbEUlT_E_NS1_11comp_targetILNS1_3genE10ELNS1_11target_archE1200ELNS1_3gpuE4ELNS1_3repE0EEENS1_30default_config_static_selectorELNS0_4arch9wavefront6targetE0EEEvSK_
; %bb.0:
	.section	.rodata,"a",@progbits
	.p2align	6, 0x0
	.amdhsa_kernel _ZN7rocprim17ROCPRIM_400000_NS6detail17trampoline_kernelINS0_14default_configENS1_36segmented_radix_sort_config_selectorIalEEZNS1_25segmented_radix_sort_implIS3_Lb0EPKaPaPKlPlN2at6native12_GLOBAL__N_18offset_tEEE10hipError_tPvRmT1_PNSt15iterator_traitsISK_E10value_typeET2_T3_PNSL_ISQ_E10value_typeET4_jRbjT5_SW_jjP12ihipStream_tbEUlT_E_NS1_11comp_targetILNS1_3genE10ELNS1_11target_archE1200ELNS1_3gpuE4ELNS1_3repE0EEENS1_30default_config_static_selectorELNS0_4arch9wavefront6targetE0EEEvSK_
		.amdhsa_group_segment_fixed_size 0
		.amdhsa_private_segment_fixed_size 0
		.amdhsa_kernarg_size 96
		.amdhsa_user_sgpr_count 15
		.amdhsa_user_sgpr_dispatch_ptr 0
		.amdhsa_user_sgpr_queue_ptr 0
		.amdhsa_user_sgpr_kernarg_segment_ptr 1
		.amdhsa_user_sgpr_dispatch_id 0
		.amdhsa_user_sgpr_private_segment_size 0
		.amdhsa_wavefront_size32 1
		.amdhsa_uses_dynamic_stack 0
		.amdhsa_enable_private_segment 0
		.amdhsa_system_sgpr_workgroup_id_x 1
		.amdhsa_system_sgpr_workgroup_id_y 0
		.amdhsa_system_sgpr_workgroup_id_z 0
		.amdhsa_system_sgpr_workgroup_info 0
		.amdhsa_system_vgpr_workitem_id 0
		.amdhsa_next_free_vgpr 1
		.amdhsa_next_free_sgpr 1
		.amdhsa_reserve_vcc 0
		.amdhsa_float_round_mode_32 0
		.amdhsa_float_round_mode_16_64 0
		.amdhsa_float_denorm_mode_32 3
		.amdhsa_float_denorm_mode_16_64 3
		.amdhsa_dx10_clamp 1
		.amdhsa_ieee_mode 1
		.amdhsa_fp16_overflow 0
		.amdhsa_workgroup_processor_mode 1
		.amdhsa_memory_ordered 1
		.amdhsa_forward_progress 0
		.amdhsa_shared_vgpr_count 0
		.amdhsa_exception_fp_ieee_invalid_op 0
		.amdhsa_exception_fp_denorm_src 0
		.amdhsa_exception_fp_ieee_div_zero 0
		.amdhsa_exception_fp_ieee_overflow 0
		.amdhsa_exception_fp_ieee_underflow 0
		.amdhsa_exception_fp_ieee_inexact 0
		.amdhsa_exception_int_div_zero 0
	.end_amdhsa_kernel
	.section	.text._ZN7rocprim17ROCPRIM_400000_NS6detail17trampoline_kernelINS0_14default_configENS1_36segmented_radix_sort_config_selectorIalEEZNS1_25segmented_radix_sort_implIS3_Lb0EPKaPaPKlPlN2at6native12_GLOBAL__N_18offset_tEEE10hipError_tPvRmT1_PNSt15iterator_traitsISK_E10value_typeET2_T3_PNSL_ISQ_E10value_typeET4_jRbjT5_SW_jjP12ihipStream_tbEUlT_E_NS1_11comp_targetILNS1_3genE10ELNS1_11target_archE1200ELNS1_3gpuE4ELNS1_3repE0EEENS1_30default_config_static_selectorELNS0_4arch9wavefront6targetE0EEEvSK_,"axG",@progbits,_ZN7rocprim17ROCPRIM_400000_NS6detail17trampoline_kernelINS0_14default_configENS1_36segmented_radix_sort_config_selectorIalEEZNS1_25segmented_radix_sort_implIS3_Lb0EPKaPaPKlPlN2at6native12_GLOBAL__N_18offset_tEEE10hipError_tPvRmT1_PNSt15iterator_traitsISK_E10value_typeET2_T3_PNSL_ISQ_E10value_typeET4_jRbjT5_SW_jjP12ihipStream_tbEUlT_E_NS1_11comp_targetILNS1_3genE10ELNS1_11target_archE1200ELNS1_3gpuE4ELNS1_3repE0EEENS1_30default_config_static_selectorELNS0_4arch9wavefront6targetE0EEEvSK_,comdat
.Lfunc_end399:
	.size	_ZN7rocprim17ROCPRIM_400000_NS6detail17trampoline_kernelINS0_14default_configENS1_36segmented_radix_sort_config_selectorIalEEZNS1_25segmented_radix_sort_implIS3_Lb0EPKaPaPKlPlN2at6native12_GLOBAL__N_18offset_tEEE10hipError_tPvRmT1_PNSt15iterator_traitsISK_E10value_typeET2_T3_PNSL_ISQ_E10value_typeET4_jRbjT5_SW_jjP12ihipStream_tbEUlT_E_NS1_11comp_targetILNS1_3genE10ELNS1_11target_archE1200ELNS1_3gpuE4ELNS1_3repE0EEENS1_30default_config_static_selectorELNS0_4arch9wavefront6targetE0EEEvSK_, .Lfunc_end399-_ZN7rocprim17ROCPRIM_400000_NS6detail17trampoline_kernelINS0_14default_configENS1_36segmented_radix_sort_config_selectorIalEEZNS1_25segmented_radix_sort_implIS3_Lb0EPKaPaPKlPlN2at6native12_GLOBAL__N_18offset_tEEE10hipError_tPvRmT1_PNSt15iterator_traitsISK_E10value_typeET2_T3_PNSL_ISQ_E10value_typeET4_jRbjT5_SW_jjP12ihipStream_tbEUlT_E_NS1_11comp_targetILNS1_3genE10ELNS1_11target_archE1200ELNS1_3gpuE4ELNS1_3repE0EEENS1_30default_config_static_selectorELNS0_4arch9wavefront6targetE0EEEvSK_
                                        ; -- End function
	.section	.AMDGPU.csdata,"",@progbits
; Kernel info:
; codeLenInByte = 0
; NumSgprs: 0
; NumVgprs: 0
; ScratchSize: 0
; MemoryBound: 0
; FloatMode: 240
; IeeeMode: 1
; LDSByteSize: 0 bytes/workgroup (compile time only)
; SGPRBlocks: 0
; VGPRBlocks: 0
; NumSGPRsForWavesPerEU: 1
; NumVGPRsForWavesPerEU: 1
; Occupancy: 16
; WaveLimiterHint : 0
; COMPUTE_PGM_RSRC2:SCRATCH_EN: 0
; COMPUTE_PGM_RSRC2:USER_SGPR: 15
; COMPUTE_PGM_RSRC2:TRAP_HANDLER: 0
; COMPUTE_PGM_RSRC2:TGID_X_EN: 1
; COMPUTE_PGM_RSRC2:TGID_Y_EN: 0
; COMPUTE_PGM_RSRC2:TGID_Z_EN: 0
; COMPUTE_PGM_RSRC2:TIDIG_COMP_CNT: 0
	.text
	.p2align	2                               ; -- Begin function _ZN7rocprim17ROCPRIM_400000_NS6detail40segmented_radix_sort_single_block_helperIalLj256ELj8ELb0EE4sortIPKaPaPKlPlEEbT_T0_T1_T2_jjjjRNS3_12storage_typeE
	.type	_ZN7rocprim17ROCPRIM_400000_NS6detail40segmented_radix_sort_single_block_helperIalLj256ELj8ELb0EE4sortIPKaPaPKlPlEEbT_T0_T1_T2_jjjjRNS3_12storage_typeE,@function
_ZN7rocprim17ROCPRIM_400000_NS6detail40segmented_radix_sort_single_block_helperIalLj256ELj8ELb0EE4sortIPKaPaPKlPlEEbT_T0_T1_T2_jjjjRNS3_12storage_typeE: ; @_ZN7rocprim17ROCPRIM_400000_NS6detail40segmented_radix_sort_single_block_helperIalLj256ELj8ELb0EE4sortIPKaPaPKlPlEEbT_T0_T1_T2_jjjjRNS3_12storage_typeE
; %bb.0:
	s_waitcnt vmcnt(0) expcnt(0) lgkmcnt(0)
	v_sub_nc_u32_e32 v134, v9, v8
	s_mov_b32 s24, exec_lo
	s_delay_alu instid0(VALU_DEP_1)
	v_cmpx_gt_u32_e32 0x801, v134
	s_cbranch_execz .LBB400_199
; %bb.1:
	v_bfe_u32 v14, v31, 10, 10
	v_bfe_u32 v15, v31, 20, 10
	v_and_b32_e32 v26, 0x3ff, v31
	v_mbcnt_lo_u32_b32 v16, -1, 0
	s_mov_b32 s0, exec_lo
	v_cmpx_lt_u32_e32 0x400, v134
	s_xor_b32 s19, exec_lo, s0
	s_cbranch_execz .LBB400_79
; %bb.2:
	s_load_b64 s[0:1], s[8:9], 0x0
	v_mov_b32_e32 v9, 0
	v_add_co_u32 v0, vcc_lo, v0, v8
	v_add_co_ci_u32_e32 v1, vcc_lo, 0, v1, vcc_lo
	v_dual_mov_b32 v29, 0x7f :: v_dual_mov_b32 v32, 0x7f
	s_delay_alu instid0(VALU_DEP_3) | instskip(NEXT) | instid1(VALU_DEP_3)
	v_add_co_u32 v0, vcc_lo, v0, v16
	v_add_co_ci_u32_e32 v1, vcc_lo, 0, v1, vcc_lo
	v_dual_mov_b32 v33, 0x7f :: v_dual_mov_b32 v30, 0x7f
	v_dual_mov_b32 v31, 0x7f :: v_dual_mov_b32 v34, 0x7f
	s_waitcnt lgkmcnt(0)
	s_cmp_lt_u32 s13, s1
	s_cselect_b32 s1, 14, 20
	s_delay_alu instid0(SALU_CYCLE_1) | instskip(SKIP_4) | instid1(SALU_CYCLE_1)
	s_add_u32 s2, s8, s1
	s_addc_u32 s3, s9, 0
	s_cmp_lt_u32 s12, s0
	global_load_u16 v17, v9, s[2:3]
	s_cselect_b32 s0, 12, 18
	s_add_u32 s0, s8, s0
	s_addc_u32 s1, s9, 0
	global_load_u16 v18, v9, s[0:1]
	s_waitcnt vmcnt(1)
	v_mad_u32_u24 v14, v15, v17, v14
	s_waitcnt vmcnt(0)
	s_delay_alu instid0(VALU_DEP_1) | instskip(SKIP_1) | instid1(VALU_DEP_2)
	v_mad_u64_u32 v[27:28], null, v14, v18, v[26:27]
	v_dual_mov_b32 v17, 0x7f :: v_dual_mov_b32 v28, 0x7f
	v_dual_mov_b32 v15, v9 :: v_dual_lshlrev_b32 v14, 3, v27
	s_delay_alu instid0(VALU_DEP_1) | instskip(NEXT) | instid1(VALU_DEP_1)
	v_and_b32_e32 v14, 0xffffff00, v14
	v_or_b32_e32 v18, v14, v16
	v_add_co_u32 v0, vcc_lo, v0, v14
	v_add_co_ci_u32_e32 v1, vcc_lo, 0, v1, vcc_lo
	s_delay_alu instid0(VALU_DEP_3)
	v_cmp_lt_u32_e32 vcc_lo, v18, v134
	s_and_saveexec_b32 s0, vcc_lo
	s_cbranch_execz .LBB400_4
; %bb.3:
	flat_load_u8 v28, v[0:1]
	v_dual_mov_b32 v29, 0x7f :: v_dual_mov_b32 v32, 0x7f
	v_dual_mov_b32 v33, 0x7f :: v_dual_mov_b32 v30, 0x7f
	;; [unrolled: 1-line block ×3, first 2 shown]
	v_mov_b32_e32 v17, 0x7f
.LBB400_4:
	s_or_b32 exec_lo, exec_lo, s0
	v_or_b32_e32 v19, 32, v18
	s_delay_alu instid0(VALU_DEP_1) | instskip(NEXT) | instid1(VALU_DEP_1)
	v_cmp_lt_u32_e64 s0, v19, v134
	s_and_saveexec_b32 s1, s0
	s_cbranch_execz .LBB400_6
; %bb.5:
	flat_load_u8 v29, v[0:1] offset:32
.LBB400_6:
	s_or_b32 exec_lo, exec_lo, s1
	v_or_b32_e32 v19, 64, v18
	s_delay_alu instid0(VALU_DEP_1) | instskip(NEXT) | instid1(VALU_DEP_1)
	v_cmp_lt_u32_e64 s1, v19, v134
	s_and_saveexec_b32 s2, s1
	s_cbranch_execz .LBB400_8
; %bb.7:
	flat_load_u8 v32, v[0:1] offset:64
.LBB400_8:
	s_or_b32 exec_lo, exec_lo, s2
	v_or_b32_e32 v19, 0x60, v18
	s_delay_alu instid0(VALU_DEP_1) | instskip(NEXT) | instid1(VALU_DEP_1)
	v_cmp_lt_u32_e64 s2, v19, v134
	s_and_saveexec_b32 s3, s2
	s_cbranch_execz .LBB400_10
; %bb.9:
	flat_load_u8 v33, v[0:1] offset:96
.LBB400_10:
	s_or_b32 exec_lo, exec_lo, s3
	v_or_b32_e32 v19, 0x80, v18
	s_delay_alu instid0(VALU_DEP_1) | instskip(NEXT) | instid1(VALU_DEP_1)
	v_cmp_lt_u32_e64 s3, v19, v134
	s_and_saveexec_b32 s4, s3
	s_cbranch_execz .LBB400_12
; %bb.11:
	flat_load_u8 v30, v[0:1] offset:128
.LBB400_12:
	s_or_b32 exec_lo, exec_lo, s4
	v_or_b32_e32 v19, 0xa0, v18
	s_delay_alu instid0(VALU_DEP_1) | instskip(NEXT) | instid1(VALU_DEP_1)
	v_cmp_lt_u32_e64 s4, v19, v134
	s_and_saveexec_b32 s5, s4
	s_cbranch_execz .LBB400_14
; %bb.13:
	flat_load_u8 v31, v[0:1] offset:160
.LBB400_14:
	s_or_b32 exec_lo, exec_lo, s5
	v_or_b32_e32 v19, 0xc0, v18
	s_delay_alu instid0(VALU_DEP_1) | instskip(NEXT) | instid1(VALU_DEP_1)
	v_cmp_lt_u32_e64 s5, v19, v134
	s_and_saveexec_b32 s6, s5
	s_cbranch_execz .LBB400_16
; %bb.15:
	flat_load_u8 v34, v[0:1] offset:192
.LBB400_16:
	s_or_b32 exec_lo, exec_lo, s6
	v_or_b32_e32 v18, 0xe0, v18
	s_delay_alu instid0(VALU_DEP_1) | instskip(NEXT) | instid1(VALU_DEP_1)
	v_cmp_lt_u32_e64 s6, v18, v134
	s_and_saveexec_b32 s7, s6
	s_cbranch_execz .LBB400_18
; %bb.17:
	flat_load_u8 v17, v[0:1] offset:224
.LBB400_18:
	s_or_b32 exec_lo, exec_lo, s7
	v_lshlrev_b64 v[0:1], 3, v[8:9]
	v_lshlrev_b32_e32 v9, 3, v16
	s_delay_alu instid0(VALU_DEP_2) | instskip(NEXT) | instid1(VALU_DEP_1)
	v_add_co_u32 v18, s7, v4, v0
	v_add_co_ci_u32_e64 v19, s7, v5, v1, s7
	v_lshlrev_b64 v[4:5], 3, v[14:15]
	s_delay_alu instid0(VALU_DEP_3) | instskip(NEXT) | instid1(VALU_DEP_1)
	v_add_co_u32 v9, s7, v18, v9
	v_add_co_ci_u32_e64 v14, s7, 0, v19, s7
                                        ; implicit-def: $vgpr18_vgpr19
	s_delay_alu instid0(VALU_DEP_2) | instskip(NEXT) | instid1(VALU_DEP_1)
	v_add_co_u32 v4, s7, v9, v4
	v_add_co_ci_u32_e64 v5, s7, v14, v5, s7
	s_and_saveexec_b32 s7, vcc_lo
	s_cbranch_execnz .LBB400_112
; %bb.19:
	s_or_b32 exec_lo, exec_lo, s7
                                        ; implicit-def: $vgpr20_vgpr21
	s_and_saveexec_b32 s7, s0
	s_cbranch_execnz .LBB400_113
.LBB400_20:
	s_or_b32 exec_lo, exec_lo, s7
                                        ; implicit-def: $vgpr22_vgpr23
	s_and_saveexec_b32 s0, s1
	s_cbranch_execnz .LBB400_114
.LBB400_21:
	s_or_b32 exec_lo, exec_lo, s0
                                        ; implicit-def: $vgpr24_vgpr25
	s_and_saveexec_b32 s0, s2
	s_cbranch_execnz .LBB400_115
.LBB400_22:
	s_or_b32 exec_lo, exec_lo, s0
                                        ; implicit-def: $vgpr84_vgpr85
	s_and_saveexec_b32 s0, s3
	s_cbranch_execnz .LBB400_116
.LBB400_23:
	s_or_b32 exec_lo, exec_lo, s0
                                        ; implicit-def: $vgpr86_vgpr87
	s_and_saveexec_b32 s0, s4
	s_cbranch_execnz .LBB400_117
.LBB400_24:
	s_or_b32 exec_lo, exec_lo, s0
                                        ; implicit-def: $vgpr96_vgpr97
	s_and_saveexec_b32 s0, s5
	s_cbranch_execnz .LBB400_118
.LBB400_25:
	s_or_b32 exec_lo, exec_lo, s0
                                        ; implicit-def: $vgpr98_vgpr99
	s_and_saveexec_b32 s0, s6
	s_cbranch_execz .LBB400_27
.LBB400_26:
	flat_load_b64 v[98:99], v[4:5] offset:1792
.LBB400_27:
	s_or_b32 exec_lo, exec_lo, s0
	v_dual_mov_b32 v15, 0 :: v_dual_lshlrev_b32 v14, 5, v26
	s_mov_b32 s20, 0
	v_add_co_u32 v9, vcc_lo, v12, 32
	s_waitcnt vmcnt(0) lgkmcnt(0)
	v_xor_b32_e32 v37, 0x80, v32
	v_xor_b32_e32 v48, 0x80, v31
	s_mov_b32 s21, s20
	s_mov_b32 s22, s20
	;; [unrolled: 1-line block ×3, first 2 shown]
	v_and_b32_e32 v31, 0x3e0, v26
	v_add_nc_u32_e32 v32, -1, v16
	v_add_co_ci_u32_e32 v135, vcc_lo, 0, v13, vcc_lo
	v_add_co_u32 v4, vcc_lo, v12, v14
	v_add_co_ci_u32_e32 v5, vcc_lo, 0, v13, vcc_lo
	v_xor_b32_e32 v35, 0x80, v28
	v_xor_b32_e32 v39, 0x80, v30
	v_and_b32_e32 v30, 15, v16
	v_add_co_u32 v28, vcc_lo, v9, v14
	v_min_u32_e32 v14, 0xe0, v31
	v_cmp_gt_i32_e64 s4, 0, v32
	s_getpc_b64 s[0:1]
	s_add_u32 s0, s0, _ZN7rocprim17ROCPRIM_400000_NS16block_radix_sortIaLj256ELj8ElLj1ELj1ELj8ELNS0_26block_radix_rank_algorithmE2ELNS0_18block_padding_hintE2ELNS0_4arch9wavefront6targetE0EE19radix_bits_per_passE@rel32@lo+4
	s_addc_u32 s1, s1, _ZN7rocprim17ROCPRIM_400000_NS16block_radix_sortIaLj256ELj8ElLj1ELj1ELj8ELNS0_26block_radix_rank_algorithmE2ELNS0_18block_padding_hintE2ELNS0_4arch9wavefront6targetE0EE19radix_bits_per_passE@rel32@hi+12
	v_xor_b32_e32 v36, 0x80, v29
	v_add_co_ci_u32_e32 v29, vcc_lo, 0, v135, vcc_lo
	s_load_b32 s25, s[0:1], 0x0
	v_cmp_eq_u32_e32 vcc_lo, 0, v30
	v_cmp_lt_u32_e64 s0, 1, v30
	v_cmp_lt_u32_e64 s1, 3, v30
	v_cmp_lt_u32_e64 s2, 7, v30
	v_or_b32_e32 v14, 31, v14
	v_cndmask_b32_e64 v30, v32, v16, s4
	v_lshrrev_b32_e32 v32, 5, v26
	v_xor_b32_e32 v38, 0x80, v33
	v_xor_b32_e32 v34, 0x80, v34
	;; [unrolled: 1-line block ×3, first 2 shown]
	v_lshlrev_b32_e32 v49, 3, v26
	v_cmp_eq_u32_e64 s4, v14, v26
	v_lshlrev_b32_e32 v14, 2, v32
	v_and_b32_e32 v35, 0xff, v35
	v_lshlrev_b16 v36, 8, v36
	v_and_b32_e32 v37, 0xff, v37
	v_lshlrev_b16 v38, 8, v38
	;; [unrolled: 2-line block ×4, first 2 shown]
	v_and_b32_e32 v31, 16, v16
	v_cmp_eq_u32_e64 s7, 0, v16
	v_and_b32_e32 v50, 7, v16
	v_and_or_b32 v16, 0x1f00, v49, v16
	v_lshlrev_b32_e32 v145, 2, v30
	v_lshlrev_b32_e32 v33, 2, v26
	v_add_co_u32 v30, s11, v12, v14
	v_add_nc_u32_e32 v14, -1, v32
	v_or_b32_e32 v36, v35, v36
	v_or_b32_e32 v37, v37, v38
	;; [unrolled: 1-line block ×4, first 2 shown]
	v_cmp_eq_u32_e64 s3, 0, v31
	v_add_co_ci_u32_e64 v31, s11, 0, v13, s11
	v_add_co_u32 v34, s16, v12, v16
	v_add_co_u32 v32, s11, v12, v33
	v_lshlrev_b64 v[14:15], 2, v[14:15]
	v_add_co_ci_u32_e64 v35, s16, 0, v13, s16
	v_add_co_ci_u32_e64 v33, s11, 0, v13, s11
	v_cmp_eq_u32_e64 s11, 0, v50
	v_cmp_lt_u32_e64 s14, 1, v50
	v_cmp_lt_u32_e64 s15, 3, v50
	v_and_b32_e32 v48, 0xffff, v36
	v_lshlrev_b32_e32 v49, 16, v37
	v_and_b32_e32 v50, 0xffff, v38
	v_lshlrev_b32_e32 v17, 16, v17
	v_add_co_u32 v36, s16, v12, v14
	v_mad_u64_u32 v[38:39], null, v16, 7, v[34:35]
	v_add_co_ci_u32_e64 v37, s16, v13, v15, s16
	v_or_b32_e32 v48, v48, v49
	v_or_b32_e32 v49, v50, v17
	v_mov_b32_e32 v14, s20
	v_lshrrev_b32_e32 v144, 5, v27
	v_cmp_gt_u32_e64 s5, 8, v26
	v_cmp_lt_u32_e64 s6, 31, v26
	v_cmp_eq_u32_e64 s10, 0, v26
	v_sub_nc_u32_e32 v146, v11, v10
	v_dual_mov_b32 v15, s21 :: v_dual_mov_b32 v16, s22
	v_mov_b32_e32 v17, s23
	s_waitcnt lgkmcnt(0)
	s_waitcnt_vscnt null, 0x0
	s_barrier
	buffer_gl0_inv
	s_branch .LBB400_29
.LBB400_28:                             ;   in Loop: Header=BB400_29 Depth=1
	s_or_b32 exec_lo, exec_lo, s17
	s_delay_alu instid0(SALU_CYCLE_1) | instskip(NEXT) | instid1(SALU_CYCLE_1)
	s_and_b32 s16, exec_lo, s18
	s_or_b32 s20, s16, s20
	s_delay_alu instid0(SALU_CYCLE_1)
	s_and_not1_b32 exec_lo, exec_lo, s20
	s_cbranch_execz .LBB400_53
.LBB400_29:                             ; =>This Inner Loop Header: Depth=1
	v_min_u32_e32 v50, s25, v146
	v_and_b32_e32 v51, 0xff, v48
	v_dual_mov_b32 v81, v19 :: v_dual_mov_b32 v80, v18
	s_clause 0x1
	flat_store_b128 v[4:5], v[14:17] offset:32
	flat_store_b128 v[28:29], v[14:17] offset:16
	v_lshlrev_b32_e64 v50, v50, -1
	v_lshrrev_b32_e32 v51, v10, v51
	s_waitcnt lgkmcnt(0)
	s_waitcnt_vscnt null, 0x0
	s_barrier
	buffer_gl0_inv
	v_not_b32_e32 v114, v50
	; wave barrier
	v_dual_mov_b32 v71, v21 :: v_dual_mov_b32 v70, v20
	s_delay_alu instid0(VALU_DEP_2) | instskip(SKIP_1) | instid1(VALU_DEP_2)
	v_dual_mov_b32 v69, v25 :: v_dual_and_b32 v82, v51, v114
	v_mov_b32_e32 v68, v24
	v_and_b32_e32 v50, 1, v82
	v_lshlrev_b32_e32 v51, 30, v82
	v_lshlrev_b32_e32 v52, 29, v82
	v_lshlrev_b32_e32 v53, 28, v82
	v_lshlrev_b32_e32 v55, 27, v82
	v_add_co_u32 v50, s16, v50, -1
	s_delay_alu instid0(VALU_DEP_1)
	v_cndmask_b32_e64 v54, 0, 1, s16
	v_not_b32_e32 v66, v51
	v_cmp_gt_i32_e64 s17, 0, v51
	v_not_b32_e32 v51, v52
	v_lshlrev_b32_e32 v64, 26, v82
	v_cmp_ne_u32_e64 s16, 0, v54
	v_ashrrev_i32_e32 v66, 31, v66
	v_lshlrev_b32_e32 v65, 25, v82
	v_ashrrev_i32_e32 v51, 31, v51
	v_lshlrev_b32_e32 v54, 24, v82
	v_xor_b32_e32 v50, s16, v50
	v_cmp_gt_i32_e64 s16, 0, v52
	v_not_b32_e32 v52, v53
	v_xor_b32_e32 v66, s17, v66
	v_cmp_gt_i32_e64 s17, 0, v53
	v_and_b32_e32 v50, exec_lo, v50
	v_not_b32_e32 v53, v55
	v_ashrrev_i32_e32 v52, 31, v52
	v_xor_b32_e32 v51, s16, v51
	v_cmp_gt_i32_e64 s16, 0, v55
	v_and_b32_e32 v50, v50, v66
	v_mov_b32_e32 v66, v84
	v_ashrrev_i32_e32 v53, 31, v53
	v_xor_b32_e32 v52, s17, v52
	v_mov_b32_e32 v67, v85
	v_not_b32_e32 v55, v64
	v_and_b32_e32 v50, v50, v51
	v_cmp_gt_i32_e64 s17, 0, v64
	v_not_b32_e32 v51, v65
	v_xor_b32_e32 v53, s16, v53
	v_ashrrev_i32_e32 v55, 31, v55
	v_and_b32_e32 v50, v50, v52
	v_cmp_gt_i32_e64 s16, 0, v65
	v_mov_b32_e32 v64, v86
	v_ashrrev_i32_e32 v51, 31, v51
	v_xor_b32_e32 v55, s17, v55
	v_dual_mov_b32 v65, v87 :: v_dual_and_b32 v50, v50, v53
	v_not_b32_e32 v52, v54
	v_cmp_gt_i32_e64 s17, 0, v54
	v_xor_b32_e32 v51, s16, v51
	s_delay_alu instid0(VALU_DEP_4) | instskip(NEXT) | instid1(VALU_DEP_4)
	v_dual_mov_b32 v55, v23 :: v_dual_and_b32 v50, v50, v55
	v_ashrrev_i32_e32 v52, 31, v52
	v_mov_b32_e32 v54, v22
	s_delay_alu instid0(VALU_DEP_3) | instskip(NEXT) | instid1(VALU_DEP_3)
	v_dual_mov_b32 v50, v96 :: v_dual_and_b32 v19, v50, v51
	v_xor_b32_e32 v18, s17, v52
	v_dual_mov_b32 v52, v98 :: v_dual_mov_b32 v51, v97
	v_mov_b32_e32 v53, v99
	s_delay_alu instid0(VALU_DEP_3) | instskip(SKIP_1) | instid1(VALU_DEP_2)
	v_and_b32_e32 v18, v19, v18
	v_lshlrev_b32_e32 v19, 3, v82
	v_mbcnt_lo_u32_b32 v116, v18, 0
	s_delay_alu instid0(VALU_DEP_2) | instskip(SKIP_1) | instid1(VALU_DEP_3)
	v_add_lshl_u32 v19, v19, v144, 2
	v_cmp_ne_u32_e64 s16, 0, v18
	v_cmp_eq_u32_e64 s17, 0, v116
	s_delay_alu instid0(VALU_DEP_3) | instskip(NEXT) | instid1(VALU_DEP_1)
	v_add_co_u32 v84, s18, v9, v19
	v_add_co_ci_u32_e64 v85, s18, 0, v135, s18
	s_delay_alu instid0(VALU_DEP_3) | instskip(NEXT) | instid1(SALU_CYCLE_1)
	s_and_b32 s17, s16, s17
	s_and_saveexec_b32 s16, s17
	s_cbranch_execz .LBB400_31
; %bb.30:                               ;   in Loop: Header=BB400_29 Depth=1
	v_bcnt_u32_b32 v18, v18, 0
	flat_store_b32 v[84:85], v18
.LBB400_31:                             ;   in Loop: Header=BB400_29 Depth=1
	s_or_b32 exec_lo, exec_lo, s16
	v_bfe_u32 v18, v48, 8, 8
	; wave barrier
	v_dual_mov_b32 v83, v49 :: v_dual_mov_b32 v82, v48
	s_delay_alu instid0(VALU_DEP_2) | instskip(NEXT) | instid1(VALU_DEP_1)
	v_lshrrev_b32_e32 v18, v10, v18
	v_and_b32_e32 v18, v18, v114
	s_delay_alu instid0(VALU_DEP_1) | instskip(SKIP_3) | instid1(VALU_DEP_4)
	v_lshlrev_b32_e32 v19, 3, v18
	v_lshlrev_b32_e32 v21, 30, v18
	;; [unrolled: 1-line block ×4, first 2 shown]
	v_add_lshl_u32 v19, v19, v144, 2
	s_delay_alu instid0(VALU_DEP_1) | instskip(NEXT) | instid1(VALU_DEP_1)
	v_add_co_u32 v86, s16, v9, v19
	v_add_co_ci_u32_e64 v87, s16, 0, v135, s16
	v_and_b32_e32 v19, 1, v18
	flat_load_b32 v117, v[86:87]
	v_add_co_u32 v19, s16, v19, -1
	s_delay_alu instid0(VALU_DEP_1) | instskip(NEXT) | instid1(VALU_DEP_1)
	v_cndmask_b32_e64 v20, 0, 1, s16
	; wave barrier
	v_cmp_ne_u32_e64 s16, 0, v20
	v_not_b32_e32 v20, v21
	s_delay_alu instid0(VALU_DEP_2) | instskip(SKIP_1) | instid1(VALU_DEP_3)
	v_xor_b32_e32 v19, s16, v19
	v_cmp_gt_i32_e64 s16, 0, v21
	v_ashrrev_i32_e32 v20, 31, v20
	v_not_b32_e32 v21, v22
	s_delay_alu instid0(VALU_DEP_4) | instskip(NEXT) | instid1(VALU_DEP_3)
	v_and_b32_e32 v19, exec_lo, v19
	v_xor_b32_e32 v20, s16, v20
	v_cmp_gt_i32_e64 s16, 0, v22
	s_delay_alu instid0(VALU_DEP_4) | instskip(SKIP_1) | instid1(VALU_DEP_4)
	v_ashrrev_i32_e32 v21, 31, v21
	v_not_b32_e32 v22, v23
	v_and_b32_e32 v19, v19, v20
	v_lshlrev_b32_e32 v20, 27, v18
	s_delay_alu instid0(VALU_DEP_4) | instskip(SKIP_2) | instid1(VALU_DEP_4)
	v_xor_b32_e32 v21, s16, v21
	v_cmp_gt_i32_e64 s16, 0, v23
	v_ashrrev_i32_e32 v22, 31, v22
	v_not_b32_e32 v23, v20
	s_delay_alu instid0(VALU_DEP_4) | instskip(SKIP_1) | instid1(VALU_DEP_4)
	v_and_b32_e32 v19, v19, v21
	v_lshlrev_b32_e32 v21, 26, v18
	v_xor_b32_e32 v22, s16, v22
	v_cmp_gt_i32_e64 s16, 0, v20
	v_ashrrev_i32_e32 v20, 31, v23
	s_delay_alu instid0(VALU_DEP_4) | instskip(NEXT) | instid1(VALU_DEP_4)
	v_not_b32_e32 v23, v21
	v_and_b32_e32 v19, v19, v22
	v_lshlrev_b32_e32 v22, 25, v18
	s_delay_alu instid0(VALU_DEP_4)
	v_xor_b32_e32 v20, s16, v20
	v_cmp_gt_i32_e64 s16, 0, v21
	v_ashrrev_i32_e32 v21, 31, v23
	v_lshlrev_b32_e32 v18, 24, v18
	v_not_b32_e32 v23, v22
	v_and_b32_e32 v19, v19, v20
	s_delay_alu instid0(VALU_DEP_4) | instskip(SKIP_1) | instid1(VALU_DEP_4)
	v_xor_b32_e32 v20, s16, v21
	v_cmp_gt_i32_e64 s16, 0, v22
	v_ashrrev_i32_e32 v21, 31, v23
	v_not_b32_e32 v22, v18
	s_delay_alu instid0(VALU_DEP_4) | instskip(NEXT) | instid1(VALU_DEP_3)
	v_and_b32_e32 v19, v19, v20
	v_xor_b32_e32 v20, s16, v21
	v_cmp_gt_i32_e64 s16, 0, v18
	s_delay_alu instid0(VALU_DEP_4) | instskip(NEXT) | instid1(VALU_DEP_3)
	v_ashrrev_i32_e32 v18, 31, v22
	v_and_b32_e32 v19, v19, v20
	s_delay_alu instid0(VALU_DEP_2) | instskip(NEXT) | instid1(VALU_DEP_1)
	v_xor_b32_e32 v18, s16, v18
	v_and_b32_e32 v18, v19, v18
	s_delay_alu instid0(VALU_DEP_1) | instskip(SKIP_1) | instid1(VALU_DEP_2)
	v_mbcnt_lo_u32_b32 v118, v18, 0
	v_cmp_ne_u32_e64 s17, 0, v18
	v_cmp_eq_u32_e64 s16, 0, v118
	s_delay_alu instid0(VALU_DEP_1) | instskip(NEXT) | instid1(SALU_CYCLE_1)
	s_and_b32 s17, s17, s16
	s_and_saveexec_b32 s16, s17
	s_cbranch_execz .LBB400_33
; %bb.32:                               ;   in Loop: Header=BB400_29 Depth=1
	s_waitcnt vmcnt(0) lgkmcnt(0)
	v_bcnt_u32_b32 v18, v18, v117
	flat_store_b32 v[86:87], v18
.LBB400_33:                             ;   in Loop: Header=BB400_29 Depth=1
	s_or_b32 exec_lo, exec_lo, s16
	v_bfe_u32 v18, v48, 16, 8
	; wave barrier
	s_delay_alu instid0(VALU_DEP_1) | instskip(NEXT) | instid1(VALU_DEP_1)
	v_lshrrev_b32_e32 v18, v10, v18
	v_and_b32_e32 v18, v18, v114
	s_delay_alu instid0(VALU_DEP_1) | instskip(SKIP_3) | instid1(VALU_DEP_4)
	v_lshlrev_b32_e32 v19, 3, v18
	v_lshlrev_b32_e32 v21, 30, v18
	;; [unrolled: 1-line block ×4, first 2 shown]
	v_add_lshl_u32 v19, v19, v144, 2
	s_delay_alu instid0(VALU_DEP_1) | instskip(NEXT) | instid1(VALU_DEP_1)
	v_add_co_u32 v96, s16, v9, v19
	v_add_co_ci_u32_e64 v97, s16, 0, v135, s16
	v_and_b32_e32 v19, 1, v18
	flat_load_b32 v82, v[96:97]
	v_add_co_u32 v19, s16, v19, -1
	s_delay_alu instid0(VALU_DEP_1) | instskip(NEXT) | instid1(VALU_DEP_1)
	v_cndmask_b32_e64 v20, 0, 1, s16
	; wave barrier
	v_cmp_ne_u32_e64 s16, 0, v20
	v_not_b32_e32 v20, v21
	s_delay_alu instid0(VALU_DEP_2) | instskip(SKIP_1) | instid1(VALU_DEP_3)
	v_xor_b32_e32 v19, s16, v19
	v_cmp_gt_i32_e64 s16, 0, v21
	v_ashrrev_i32_e32 v20, 31, v20
	v_not_b32_e32 v21, v22
	s_delay_alu instid0(VALU_DEP_4) | instskip(NEXT) | instid1(VALU_DEP_3)
	v_and_b32_e32 v19, exec_lo, v19
	v_xor_b32_e32 v20, s16, v20
	v_cmp_gt_i32_e64 s16, 0, v22
	s_delay_alu instid0(VALU_DEP_4) | instskip(SKIP_1) | instid1(VALU_DEP_4)
	v_ashrrev_i32_e32 v21, 31, v21
	v_not_b32_e32 v22, v23
	v_and_b32_e32 v19, v19, v20
	v_lshlrev_b32_e32 v20, 27, v18
	s_delay_alu instid0(VALU_DEP_4) | instskip(SKIP_2) | instid1(VALU_DEP_4)
	v_xor_b32_e32 v21, s16, v21
	v_cmp_gt_i32_e64 s16, 0, v23
	v_ashrrev_i32_e32 v22, 31, v22
	v_not_b32_e32 v23, v20
	s_delay_alu instid0(VALU_DEP_4) | instskip(SKIP_1) | instid1(VALU_DEP_4)
	v_and_b32_e32 v19, v19, v21
	v_lshlrev_b32_e32 v21, 26, v18
	v_xor_b32_e32 v22, s16, v22
	v_cmp_gt_i32_e64 s16, 0, v20
	v_ashrrev_i32_e32 v20, 31, v23
	s_delay_alu instid0(VALU_DEP_4) | instskip(NEXT) | instid1(VALU_DEP_4)
	v_not_b32_e32 v23, v21
	v_and_b32_e32 v19, v19, v22
	v_lshlrev_b32_e32 v22, 25, v18
	s_delay_alu instid0(VALU_DEP_4)
	v_xor_b32_e32 v20, s16, v20
	v_cmp_gt_i32_e64 s16, 0, v21
	v_ashrrev_i32_e32 v21, 31, v23
	v_lshlrev_b32_e32 v18, 24, v18
	v_not_b32_e32 v23, v22
	v_and_b32_e32 v19, v19, v20
	s_delay_alu instid0(VALU_DEP_4) | instskip(SKIP_1) | instid1(VALU_DEP_4)
	v_xor_b32_e32 v20, s16, v21
	v_cmp_gt_i32_e64 s16, 0, v22
	v_ashrrev_i32_e32 v21, 31, v23
	v_not_b32_e32 v22, v18
	s_delay_alu instid0(VALU_DEP_4) | instskip(NEXT) | instid1(VALU_DEP_3)
	v_and_b32_e32 v19, v19, v20
	v_xor_b32_e32 v20, s16, v21
	v_cmp_gt_i32_e64 s16, 0, v18
	s_delay_alu instid0(VALU_DEP_4) | instskip(NEXT) | instid1(VALU_DEP_3)
	v_ashrrev_i32_e32 v18, 31, v22
	v_and_b32_e32 v19, v19, v20
	s_delay_alu instid0(VALU_DEP_2) | instskip(NEXT) | instid1(VALU_DEP_1)
	v_xor_b32_e32 v18, s16, v18
	v_and_b32_e32 v18, v19, v18
	s_delay_alu instid0(VALU_DEP_1) | instskip(SKIP_1) | instid1(VALU_DEP_2)
	v_mbcnt_lo_u32_b32 v119, v18, 0
	v_cmp_ne_u32_e64 s17, 0, v18
	v_cmp_eq_u32_e64 s16, 0, v119
	s_delay_alu instid0(VALU_DEP_1) | instskip(NEXT) | instid1(SALU_CYCLE_1)
	s_and_b32 s17, s17, s16
	s_and_saveexec_b32 s16, s17
	s_cbranch_execz .LBB400_35
; %bb.34:                               ;   in Loop: Header=BB400_29 Depth=1
	s_waitcnt vmcnt(0) lgkmcnt(0)
	v_bcnt_u32_b32 v18, v18, v82
	flat_store_b32 v[96:97], v18
.LBB400_35:                             ;   in Loop: Header=BB400_29 Depth=1
	s_or_b32 exec_lo, exec_lo, s16
	v_alignbit_b32 v18, v49, v48, 24
	; wave barrier
	s_delay_alu instid0(VALU_DEP_1) | instskip(NEXT) | instid1(VALU_DEP_1)
	v_and_b32_e32 v18, 0xff, v18
	v_lshrrev_b32_e32 v18, v10, v18
	s_delay_alu instid0(VALU_DEP_1) | instskip(NEXT) | instid1(VALU_DEP_1)
	v_and_b32_e32 v18, v18, v114
	v_lshlrev_b32_e32 v19, 3, v18
	v_lshlrev_b32_e32 v21, 30, v18
	;; [unrolled: 1-line block ×4, first 2 shown]
	s_delay_alu instid0(VALU_DEP_4) | instskip(NEXT) | instid1(VALU_DEP_1)
	v_add_lshl_u32 v19, v19, v144, 2
	v_add_co_u32 v98, s16, v9, v19
	s_delay_alu instid0(VALU_DEP_1) | instskip(SKIP_3) | instid1(VALU_DEP_1)
	v_add_co_ci_u32_e64 v99, s16, 0, v135, s16
	v_and_b32_e32 v19, 1, v18
	flat_load_b32 v128, v[98:99]
	v_add_co_u32 v19, s16, v19, -1
	v_cndmask_b32_e64 v20, 0, 1, s16
	; wave barrier
	s_delay_alu instid0(VALU_DEP_1) | instskip(SKIP_1) | instid1(VALU_DEP_2)
	v_cmp_ne_u32_e64 s16, 0, v20
	v_not_b32_e32 v20, v21
	v_xor_b32_e32 v19, s16, v19
	v_cmp_gt_i32_e64 s16, 0, v21
	s_delay_alu instid0(VALU_DEP_3) | instskip(SKIP_1) | instid1(VALU_DEP_4)
	v_ashrrev_i32_e32 v20, 31, v20
	v_not_b32_e32 v21, v22
	v_and_b32_e32 v19, exec_lo, v19
	s_delay_alu instid0(VALU_DEP_3) | instskip(SKIP_1) | instid1(VALU_DEP_4)
	v_xor_b32_e32 v20, s16, v20
	v_cmp_gt_i32_e64 s16, 0, v22
	v_ashrrev_i32_e32 v21, 31, v21
	v_not_b32_e32 v22, v23
	s_delay_alu instid0(VALU_DEP_4) | instskip(SKIP_1) | instid1(VALU_DEP_4)
	v_and_b32_e32 v19, v19, v20
	v_lshlrev_b32_e32 v20, 27, v18
	v_xor_b32_e32 v21, s16, v21
	v_cmp_gt_i32_e64 s16, 0, v23
	v_ashrrev_i32_e32 v22, 31, v22
	s_delay_alu instid0(VALU_DEP_4) | instskip(NEXT) | instid1(VALU_DEP_4)
	v_not_b32_e32 v23, v20
	v_and_b32_e32 v19, v19, v21
	v_lshlrev_b32_e32 v21, 26, v18
	s_delay_alu instid0(VALU_DEP_4) | instskip(SKIP_2) | instid1(VALU_DEP_4)
	v_xor_b32_e32 v22, s16, v22
	v_cmp_gt_i32_e64 s16, 0, v20
	v_ashrrev_i32_e32 v20, 31, v23
	v_not_b32_e32 v23, v21
	s_delay_alu instid0(VALU_DEP_4) | instskip(SKIP_1) | instid1(VALU_DEP_4)
	v_and_b32_e32 v19, v19, v22
	v_lshlrev_b32_e32 v22, 25, v18
	v_xor_b32_e32 v20, s16, v20
	v_cmp_gt_i32_e64 s16, 0, v21
	v_ashrrev_i32_e32 v21, 31, v23
	v_lshlrev_b32_e32 v18, 24, v18
	v_not_b32_e32 v23, v22
	v_and_b32_e32 v19, v19, v20
	s_delay_alu instid0(VALU_DEP_4) | instskip(SKIP_1) | instid1(VALU_DEP_4)
	v_xor_b32_e32 v20, s16, v21
	v_cmp_gt_i32_e64 s16, 0, v22
	v_ashrrev_i32_e32 v21, 31, v23
	v_not_b32_e32 v22, v18
	s_delay_alu instid0(VALU_DEP_4) | instskip(NEXT) | instid1(VALU_DEP_3)
	v_and_b32_e32 v19, v19, v20
	v_xor_b32_e32 v20, s16, v21
	v_cmp_gt_i32_e64 s16, 0, v18
	s_delay_alu instid0(VALU_DEP_4) | instskip(NEXT) | instid1(VALU_DEP_3)
	v_ashrrev_i32_e32 v18, 31, v22
	v_and_b32_e32 v19, v19, v20
	s_delay_alu instid0(VALU_DEP_2) | instskip(NEXT) | instid1(VALU_DEP_1)
	v_xor_b32_e32 v18, s16, v18
	v_and_b32_e32 v18, v19, v18
	s_delay_alu instid0(VALU_DEP_1) | instskip(SKIP_1) | instid1(VALU_DEP_2)
	v_mbcnt_lo_u32_b32 v129, v18, 0
	v_cmp_ne_u32_e64 s17, 0, v18
	v_cmp_eq_u32_e64 s16, 0, v129
	s_delay_alu instid0(VALU_DEP_1) | instskip(NEXT) | instid1(SALU_CYCLE_1)
	s_and_b32 s17, s17, s16
	s_and_saveexec_b32 s16, s17
	s_cbranch_execz .LBB400_37
; %bb.36:                               ;   in Loop: Header=BB400_29 Depth=1
	s_waitcnt vmcnt(0) lgkmcnt(0)
	v_bcnt_u32_b32 v18, v18, v128
	flat_store_b32 v[98:99], v18
.LBB400_37:                             ;   in Loop: Header=BB400_29 Depth=1
	s_or_b32 exec_lo, exec_lo, s16
	v_and_b32_e32 v18, 0xff, v49
	; wave barrier
	s_delay_alu instid0(VALU_DEP_1) | instskip(NEXT) | instid1(VALU_DEP_1)
	v_lshrrev_b32_e32 v18, v10, v18
	v_and_b32_e32 v18, v18, v114
	s_delay_alu instid0(VALU_DEP_1) | instskip(SKIP_3) | instid1(VALU_DEP_4)
	v_lshlrev_b32_e32 v19, 3, v18
	v_lshlrev_b32_e32 v21, 30, v18
	;; [unrolled: 1-line block ×4, first 2 shown]
	v_add_lshl_u32 v19, v19, v144, 2
	s_delay_alu instid0(VALU_DEP_1) | instskip(NEXT) | instid1(VALU_DEP_1)
	v_add_co_u32 v100, s16, v9, v19
	v_add_co_ci_u32_e64 v101, s16, 0, v135, s16
	v_and_b32_e32 v19, 1, v18
	flat_load_b32 v130, v[100:101]
	v_add_co_u32 v19, s16, v19, -1
	s_delay_alu instid0(VALU_DEP_1) | instskip(NEXT) | instid1(VALU_DEP_1)
	v_cndmask_b32_e64 v20, 0, 1, s16
	; wave barrier
	v_cmp_ne_u32_e64 s16, 0, v20
	v_not_b32_e32 v20, v21
	s_delay_alu instid0(VALU_DEP_2) | instskip(SKIP_1) | instid1(VALU_DEP_3)
	v_xor_b32_e32 v19, s16, v19
	v_cmp_gt_i32_e64 s16, 0, v21
	v_ashrrev_i32_e32 v20, 31, v20
	v_not_b32_e32 v21, v22
	s_delay_alu instid0(VALU_DEP_4) | instskip(NEXT) | instid1(VALU_DEP_3)
	v_and_b32_e32 v19, exec_lo, v19
	v_xor_b32_e32 v20, s16, v20
	v_cmp_gt_i32_e64 s16, 0, v22
	s_delay_alu instid0(VALU_DEP_4) | instskip(SKIP_1) | instid1(VALU_DEP_4)
	v_ashrrev_i32_e32 v21, 31, v21
	v_not_b32_e32 v22, v23
	v_and_b32_e32 v19, v19, v20
	v_lshlrev_b32_e32 v20, 27, v18
	s_delay_alu instid0(VALU_DEP_4) | instskip(SKIP_2) | instid1(VALU_DEP_4)
	v_xor_b32_e32 v21, s16, v21
	v_cmp_gt_i32_e64 s16, 0, v23
	v_ashrrev_i32_e32 v22, 31, v22
	v_not_b32_e32 v23, v20
	s_delay_alu instid0(VALU_DEP_4) | instskip(SKIP_1) | instid1(VALU_DEP_4)
	v_and_b32_e32 v19, v19, v21
	v_lshlrev_b32_e32 v21, 26, v18
	v_xor_b32_e32 v22, s16, v22
	v_cmp_gt_i32_e64 s16, 0, v20
	v_ashrrev_i32_e32 v20, 31, v23
	s_delay_alu instid0(VALU_DEP_4) | instskip(NEXT) | instid1(VALU_DEP_4)
	v_not_b32_e32 v23, v21
	v_and_b32_e32 v19, v19, v22
	v_lshlrev_b32_e32 v22, 25, v18
	s_delay_alu instid0(VALU_DEP_4)
	v_xor_b32_e32 v20, s16, v20
	v_cmp_gt_i32_e64 s16, 0, v21
	v_ashrrev_i32_e32 v21, 31, v23
	v_lshlrev_b32_e32 v18, 24, v18
	v_not_b32_e32 v23, v22
	v_and_b32_e32 v19, v19, v20
	s_delay_alu instid0(VALU_DEP_4) | instskip(SKIP_1) | instid1(VALU_DEP_4)
	v_xor_b32_e32 v20, s16, v21
	v_cmp_gt_i32_e64 s16, 0, v22
	v_ashrrev_i32_e32 v21, 31, v23
	v_not_b32_e32 v22, v18
	s_delay_alu instid0(VALU_DEP_4) | instskip(NEXT) | instid1(VALU_DEP_3)
	v_and_b32_e32 v19, v19, v20
	v_xor_b32_e32 v20, s16, v21
	v_cmp_gt_i32_e64 s16, 0, v18
	s_delay_alu instid0(VALU_DEP_4) | instskip(NEXT) | instid1(VALU_DEP_3)
	v_ashrrev_i32_e32 v18, 31, v22
	v_and_b32_e32 v19, v19, v20
	s_delay_alu instid0(VALU_DEP_2) | instskip(NEXT) | instid1(VALU_DEP_1)
	v_xor_b32_e32 v18, s16, v18
	v_and_b32_e32 v18, v19, v18
	s_delay_alu instid0(VALU_DEP_1) | instskip(SKIP_1) | instid1(VALU_DEP_2)
	v_mbcnt_lo_u32_b32 v131, v18, 0
	v_cmp_ne_u32_e64 s17, 0, v18
	v_cmp_eq_u32_e64 s16, 0, v131
	s_delay_alu instid0(VALU_DEP_1) | instskip(NEXT) | instid1(SALU_CYCLE_1)
	s_and_b32 s17, s17, s16
	s_and_saveexec_b32 s16, s17
	s_cbranch_execz .LBB400_39
; %bb.38:                               ;   in Loop: Header=BB400_29 Depth=1
	s_waitcnt vmcnt(0) lgkmcnt(0)
	v_bcnt_u32_b32 v18, v18, v130
	flat_store_b32 v[100:101], v18
.LBB400_39:                             ;   in Loop: Header=BB400_29 Depth=1
	s_or_b32 exec_lo, exec_lo, s16
	v_bfe_u32 v18, v49, 8, 8
	; wave barrier
	s_delay_alu instid0(VALU_DEP_1) | instskip(NEXT) | instid1(VALU_DEP_1)
	v_lshrrev_b32_e32 v18, v10, v18
	v_and_b32_e32 v18, v18, v114
	s_delay_alu instid0(VALU_DEP_1) | instskip(SKIP_3) | instid1(VALU_DEP_4)
	v_lshlrev_b32_e32 v19, 3, v18
	v_lshlrev_b32_e32 v21, 30, v18
	v_lshlrev_b32_e32 v22, 29, v18
	v_lshlrev_b32_e32 v23, 28, v18
	v_add_lshl_u32 v19, v19, v144, 2
	s_delay_alu instid0(VALU_DEP_1) | instskip(NEXT) | instid1(VALU_DEP_1)
	v_add_co_u32 v102, s16, v9, v19
	v_add_co_ci_u32_e64 v103, s16, 0, v135, s16
	v_and_b32_e32 v19, 1, v18
	flat_load_b32 v147, v[102:103]
	v_add_co_u32 v19, s16, v19, -1
	s_delay_alu instid0(VALU_DEP_1) | instskip(NEXT) | instid1(VALU_DEP_1)
	v_cndmask_b32_e64 v20, 0, 1, s16
	; wave barrier
	v_cmp_ne_u32_e64 s16, 0, v20
	v_not_b32_e32 v20, v21
	s_delay_alu instid0(VALU_DEP_2) | instskip(SKIP_1) | instid1(VALU_DEP_3)
	v_xor_b32_e32 v19, s16, v19
	v_cmp_gt_i32_e64 s16, 0, v21
	v_ashrrev_i32_e32 v20, 31, v20
	v_not_b32_e32 v21, v22
	s_delay_alu instid0(VALU_DEP_4) | instskip(NEXT) | instid1(VALU_DEP_3)
	v_and_b32_e32 v19, exec_lo, v19
	v_xor_b32_e32 v20, s16, v20
	v_cmp_gt_i32_e64 s16, 0, v22
	s_delay_alu instid0(VALU_DEP_4) | instskip(SKIP_1) | instid1(VALU_DEP_4)
	v_ashrrev_i32_e32 v21, 31, v21
	v_not_b32_e32 v22, v23
	v_and_b32_e32 v19, v19, v20
	v_lshlrev_b32_e32 v20, 27, v18
	s_delay_alu instid0(VALU_DEP_4) | instskip(SKIP_2) | instid1(VALU_DEP_4)
	v_xor_b32_e32 v21, s16, v21
	v_cmp_gt_i32_e64 s16, 0, v23
	v_ashrrev_i32_e32 v22, 31, v22
	v_not_b32_e32 v23, v20
	s_delay_alu instid0(VALU_DEP_4) | instskip(SKIP_1) | instid1(VALU_DEP_4)
	v_and_b32_e32 v19, v19, v21
	v_lshlrev_b32_e32 v21, 26, v18
	v_xor_b32_e32 v22, s16, v22
	v_cmp_gt_i32_e64 s16, 0, v20
	v_ashrrev_i32_e32 v20, 31, v23
	s_delay_alu instid0(VALU_DEP_4) | instskip(NEXT) | instid1(VALU_DEP_4)
	v_not_b32_e32 v23, v21
	v_and_b32_e32 v19, v19, v22
	v_lshlrev_b32_e32 v22, 25, v18
	s_delay_alu instid0(VALU_DEP_4)
	v_xor_b32_e32 v20, s16, v20
	v_cmp_gt_i32_e64 s16, 0, v21
	v_ashrrev_i32_e32 v21, 31, v23
	v_lshlrev_b32_e32 v18, 24, v18
	v_not_b32_e32 v23, v22
	v_and_b32_e32 v19, v19, v20
	s_delay_alu instid0(VALU_DEP_4) | instskip(SKIP_1) | instid1(VALU_DEP_4)
	v_xor_b32_e32 v20, s16, v21
	v_cmp_gt_i32_e64 s16, 0, v22
	v_ashrrev_i32_e32 v21, 31, v23
	v_not_b32_e32 v22, v18
	s_delay_alu instid0(VALU_DEP_4) | instskip(NEXT) | instid1(VALU_DEP_3)
	v_and_b32_e32 v19, v19, v20
	v_xor_b32_e32 v20, s16, v21
	v_cmp_gt_i32_e64 s16, 0, v18
	s_delay_alu instid0(VALU_DEP_4) | instskip(NEXT) | instid1(VALU_DEP_3)
	v_ashrrev_i32_e32 v18, 31, v22
	v_and_b32_e32 v19, v19, v20
	s_delay_alu instid0(VALU_DEP_2) | instskip(NEXT) | instid1(VALU_DEP_1)
	v_xor_b32_e32 v18, s16, v18
	v_and_b32_e32 v18, v19, v18
	s_delay_alu instid0(VALU_DEP_1) | instskip(SKIP_1) | instid1(VALU_DEP_2)
	v_mbcnt_lo_u32_b32 v149, v18, 0
	v_cmp_ne_u32_e64 s17, 0, v18
	v_cmp_eq_u32_e64 s16, 0, v149
	s_delay_alu instid0(VALU_DEP_1) | instskip(NEXT) | instid1(SALU_CYCLE_1)
	s_and_b32 s17, s17, s16
	s_and_saveexec_b32 s16, s17
	s_cbranch_execz .LBB400_41
; %bb.40:                               ;   in Loop: Header=BB400_29 Depth=1
	s_waitcnt vmcnt(0) lgkmcnt(0)
	v_bcnt_u32_b32 v18, v18, v147
	flat_store_b32 v[102:103], v18
.LBB400_41:                             ;   in Loop: Header=BB400_29 Depth=1
	s_or_b32 exec_lo, exec_lo, s16
	v_bfe_u32 v18, v49, 16, 8
	; wave barrier
	s_delay_alu instid0(VALU_DEP_1) | instskip(NEXT) | instid1(VALU_DEP_1)
	v_lshrrev_b32_e32 v18, v10, v18
	v_and_b32_e32 v18, v18, v114
	s_delay_alu instid0(VALU_DEP_1) | instskip(SKIP_3) | instid1(VALU_DEP_4)
	v_lshlrev_b32_e32 v19, 3, v18
	v_lshlrev_b32_e32 v21, 30, v18
	;; [unrolled: 1-line block ×4, first 2 shown]
	v_add_lshl_u32 v19, v19, v144, 2
	s_delay_alu instid0(VALU_DEP_1) | instskip(NEXT) | instid1(VALU_DEP_1)
	v_add_co_u32 v112, s16, v9, v19
	v_add_co_ci_u32_e64 v113, s16, 0, v135, s16
	v_and_b32_e32 v19, 1, v18
	flat_load_b32 v150, v[112:113]
	v_add_co_u32 v19, s16, v19, -1
	s_delay_alu instid0(VALU_DEP_1) | instskip(NEXT) | instid1(VALU_DEP_1)
	v_cndmask_b32_e64 v20, 0, 1, s16
	; wave barrier
	v_cmp_ne_u32_e64 s16, 0, v20
	v_not_b32_e32 v20, v21
	s_delay_alu instid0(VALU_DEP_2) | instskip(SKIP_1) | instid1(VALU_DEP_3)
	v_xor_b32_e32 v19, s16, v19
	v_cmp_gt_i32_e64 s16, 0, v21
	v_ashrrev_i32_e32 v20, 31, v20
	v_not_b32_e32 v21, v22
	s_delay_alu instid0(VALU_DEP_4) | instskip(NEXT) | instid1(VALU_DEP_3)
	v_and_b32_e32 v19, exec_lo, v19
	v_xor_b32_e32 v20, s16, v20
	v_cmp_gt_i32_e64 s16, 0, v22
	s_delay_alu instid0(VALU_DEP_4) | instskip(SKIP_1) | instid1(VALU_DEP_4)
	v_ashrrev_i32_e32 v21, 31, v21
	v_not_b32_e32 v22, v23
	v_and_b32_e32 v19, v19, v20
	v_lshlrev_b32_e32 v20, 27, v18
	s_delay_alu instid0(VALU_DEP_4) | instskip(SKIP_2) | instid1(VALU_DEP_4)
	v_xor_b32_e32 v21, s16, v21
	v_cmp_gt_i32_e64 s16, 0, v23
	v_ashrrev_i32_e32 v22, 31, v22
	v_not_b32_e32 v23, v20
	s_delay_alu instid0(VALU_DEP_4) | instskip(SKIP_1) | instid1(VALU_DEP_4)
	v_and_b32_e32 v19, v19, v21
	v_lshlrev_b32_e32 v21, 26, v18
	v_xor_b32_e32 v22, s16, v22
	v_cmp_gt_i32_e64 s16, 0, v20
	v_ashrrev_i32_e32 v20, 31, v23
	s_delay_alu instid0(VALU_DEP_4) | instskip(NEXT) | instid1(VALU_DEP_4)
	v_not_b32_e32 v23, v21
	v_and_b32_e32 v19, v19, v22
	v_lshlrev_b32_e32 v22, 25, v18
	s_delay_alu instid0(VALU_DEP_4)
	v_xor_b32_e32 v20, s16, v20
	v_cmp_gt_i32_e64 s16, 0, v21
	v_ashrrev_i32_e32 v21, 31, v23
	v_lshlrev_b32_e32 v18, 24, v18
	v_not_b32_e32 v23, v22
	v_and_b32_e32 v19, v19, v20
	s_delay_alu instid0(VALU_DEP_4) | instskip(SKIP_1) | instid1(VALU_DEP_4)
	v_xor_b32_e32 v20, s16, v21
	v_cmp_gt_i32_e64 s16, 0, v22
	v_ashrrev_i32_e32 v21, 31, v23
	v_not_b32_e32 v22, v18
	s_delay_alu instid0(VALU_DEP_4) | instskip(NEXT) | instid1(VALU_DEP_3)
	v_and_b32_e32 v19, v19, v20
	v_xor_b32_e32 v20, s16, v21
	v_cmp_gt_i32_e64 s16, 0, v18
	s_delay_alu instid0(VALU_DEP_4) | instskip(NEXT) | instid1(VALU_DEP_3)
	v_ashrrev_i32_e32 v18, 31, v22
	v_and_b32_e32 v19, v19, v20
	s_delay_alu instid0(VALU_DEP_2) | instskip(NEXT) | instid1(VALU_DEP_1)
	v_xor_b32_e32 v18, s16, v18
	v_and_b32_e32 v18, v19, v18
	s_delay_alu instid0(VALU_DEP_1) | instskip(SKIP_1) | instid1(VALU_DEP_2)
	v_mbcnt_lo_u32_b32 v151, v18, 0
	v_cmp_ne_u32_e64 s17, 0, v18
	v_cmp_eq_u32_e64 s16, 0, v151
	s_delay_alu instid0(VALU_DEP_1) | instskip(NEXT) | instid1(SALU_CYCLE_1)
	s_and_b32 s17, s17, s16
	s_and_saveexec_b32 s16, s17
	s_cbranch_execz .LBB400_43
; %bb.42:                               ;   in Loop: Header=BB400_29 Depth=1
	s_waitcnt vmcnt(0) lgkmcnt(0)
	v_bcnt_u32_b32 v18, v18, v150
	flat_store_b32 v[112:113], v18
.LBB400_43:                             ;   in Loop: Header=BB400_29 Depth=1
	s_or_b32 exec_lo, exec_lo, s16
	v_lshrrev_b32_e32 v148, 24, v49
	; wave barrier
	s_delay_alu instid0(VALU_DEP_1) | instskip(NEXT) | instid1(VALU_DEP_1)
	v_lshrrev_b32_e32 v18, v10, v148
	v_and_b32_e32 v18, v18, v114
	s_delay_alu instid0(VALU_DEP_1) | instskip(SKIP_3) | instid1(VALU_DEP_4)
	v_lshlrev_b32_e32 v19, 3, v18
	v_lshlrev_b32_e32 v21, 30, v18
	;; [unrolled: 1-line block ×4, first 2 shown]
	v_add_lshl_u32 v19, v19, v144, 2
	s_delay_alu instid0(VALU_DEP_1) | instskip(NEXT) | instid1(VALU_DEP_1)
	v_add_co_u32 v114, s16, v9, v19
	v_add_co_ci_u32_e64 v115, s16, 0, v135, s16
	v_and_b32_e32 v19, 1, v18
	flat_load_b32 v163, v[114:115]
	v_add_co_u32 v19, s16, v19, -1
	s_delay_alu instid0(VALU_DEP_1) | instskip(NEXT) | instid1(VALU_DEP_1)
	v_cndmask_b32_e64 v20, 0, 1, s16
	; wave barrier
	v_cmp_ne_u32_e64 s16, 0, v20
	v_not_b32_e32 v20, v21
	s_delay_alu instid0(VALU_DEP_2) | instskip(SKIP_1) | instid1(VALU_DEP_3)
	v_xor_b32_e32 v19, s16, v19
	v_cmp_gt_i32_e64 s16, 0, v21
	v_ashrrev_i32_e32 v20, 31, v20
	v_not_b32_e32 v21, v22
	s_delay_alu instid0(VALU_DEP_4) | instskip(NEXT) | instid1(VALU_DEP_3)
	v_and_b32_e32 v19, exec_lo, v19
	v_xor_b32_e32 v20, s16, v20
	v_cmp_gt_i32_e64 s16, 0, v22
	s_delay_alu instid0(VALU_DEP_4) | instskip(SKIP_1) | instid1(VALU_DEP_4)
	v_ashrrev_i32_e32 v21, 31, v21
	v_not_b32_e32 v22, v23
	v_and_b32_e32 v19, v19, v20
	v_lshlrev_b32_e32 v20, 27, v18
	s_delay_alu instid0(VALU_DEP_4) | instskip(SKIP_2) | instid1(VALU_DEP_4)
	v_xor_b32_e32 v21, s16, v21
	v_cmp_gt_i32_e64 s16, 0, v23
	v_ashrrev_i32_e32 v22, 31, v22
	v_not_b32_e32 v23, v20
	s_delay_alu instid0(VALU_DEP_4) | instskip(SKIP_1) | instid1(VALU_DEP_4)
	v_and_b32_e32 v19, v19, v21
	v_lshlrev_b32_e32 v21, 26, v18
	v_xor_b32_e32 v22, s16, v22
	v_cmp_gt_i32_e64 s16, 0, v20
	v_ashrrev_i32_e32 v20, 31, v23
	s_delay_alu instid0(VALU_DEP_4) | instskip(NEXT) | instid1(VALU_DEP_4)
	v_not_b32_e32 v23, v21
	v_and_b32_e32 v19, v19, v22
	v_lshlrev_b32_e32 v22, 25, v18
	s_delay_alu instid0(VALU_DEP_4)
	v_xor_b32_e32 v20, s16, v20
	v_cmp_gt_i32_e64 s16, 0, v21
	v_ashrrev_i32_e32 v21, 31, v23
	v_lshlrev_b32_e32 v18, 24, v18
	v_not_b32_e32 v23, v22
	v_and_b32_e32 v19, v19, v20
	s_delay_alu instid0(VALU_DEP_4) | instskip(SKIP_1) | instid1(VALU_DEP_4)
	v_xor_b32_e32 v20, s16, v21
	v_cmp_gt_i32_e64 s16, 0, v22
	v_ashrrev_i32_e32 v21, 31, v23
	v_not_b32_e32 v22, v18
	s_delay_alu instid0(VALU_DEP_4) | instskip(NEXT) | instid1(VALU_DEP_3)
	v_and_b32_e32 v19, v19, v20
	v_xor_b32_e32 v20, s16, v21
	v_cmp_gt_i32_e64 s16, 0, v18
	s_delay_alu instid0(VALU_DEP_4) | instskip(NEXT) | instid1(VALU_DEP_3)
	v_ashrrev_i32_e32 v18, 31, v22
	v_and_b32_e32 v19, v19, v20
	s_delay_alu instid0(VALU_DEP_2) | instskip(NEXT) | instid1(VALU_DEP_1)
	v_xor_b32_e32 v18, s16, v18
	v_and_b32_e32 v18, v19, v18
	s_delay_alu instid0(VALU_DEP_1) | instskip(SKIP_1) | instid1(VALU_DEP_2)
	v_mbcnt_lo_u32_b32 v179, v18, 0
	v_cmp_ne_u32_e64 s17, 0, v18
	v_cmp_eq_u32_e64 s16, 0, v179
	s_delay_alu instid0(VALU_DEP_1) | instskip(NEXT) | instid1(SALU_CYCLE_1)
	s_and_b32 s17, s17, s16
	s_and_saveexec_b32 s16, s17
	s_cbranch_execz .LBB400_45
; %bb.44:                               ;   in Loop: Header=BB400_29 Depth=1
	s_waitcnt vmcnt(0) lgkmcnt(0)
	v_bcnt_u32_b32 v18, v18, v163
	flat_store_b32 v[114:115], v18
.LBB400_45:                             ;   in Loop: Header=BB400_29 Depth=1
	s_or_b32 exec_lo, exec_lo, s16
	; wave barrier
	s_waitcnt vmcnt(0) lgkmcnt(0)
	s_waitcnt_vscnt null, 0x0
	s_barrier
	buffer_gl0_inv
	s_clause 0x1
	flat_load_b128 v[22:25], v[4:5] offset:32
	flat_load_b128 v[18:21], v[28:29] offset:16
	s_waitcnt vmcnt(1) lgkmcnt(1)
	v_add_nc_u32_e32 v132, v23, v22
	s_delay_alu instid0(VALU_DEP_1) | instskip(SKIP_1) | instid1(VALU_DEP_1)
	v_add3_u32 v132, v132, v24, v25
	s_waitcnt vmcnt(0) lgkmcnt(0)
	v_add3_u32 v132, v132, v18, v19
	s_delay_alu instid0(VALU_DEP_1) | instskip(NEXT) | instid1(VALU_DEP_1)
	v_add3_u32 v21, v132, v20, v21
	v_mov_b32_dpp v132, v21 row_shr:1 row_mask:0xf bank_mask:0xf
	s_delay_alu instid0(VALU_DEP_1) | instskip(NEXT) | instid1(VALU_DEP_1)
	v_cndmask_b32_e64 v132, v132, 0, vcc_lo
	v_add_nc_u32_e32 v21, v132, v21
	s_delay_alu instid0(VALU_DEP_1) | instskip(NEXT) | instid1(VALU_DEP_1)
	v_mov_b32_dpp v132, v21 row_shr:2 row_mask:0xf bank_mask:0xf
	v_cndmask_b32_e64 v132, 0, v132, s0
	s_delay_alu instid0(VALU_DEP_1) | instskip(NEXT) | instid1(VALU_DEP_1)
	v_add_nc_u32_e32 v21, v21, v132
	v_mov_b32_dpp v132, v21 row_shr:4 row_mask:0xf bank_mask:0xf
	s_delay_alu instid0(VALU_DEP_1) | instskip(NEXT) | instid1(VALU_DEP_1)
	v_cndmask_b32_e64 v132, 0, v132, s1
	v_add_nc_u32_e32 v21, v21, v132
	s_delay_alu instid0(VALU_DEP_1) | instskip(NEXT) | instid1(VALU_DEP_1)
	v_mov_b32_dpp v132, v21 row_shr:8 row_mask:0xf bank_mask:0xf
	v_cndmask_b32_e64 v132, 0, v132, s2
	s_delay_alu instid0(VALU_DEP_1) | instskip(SKIP_3) | instid1(VALU_DEP_1)
	v_add_nc_u32_e32 v21, v21, v132
	ds_swizzle_b32 v132, v21 offset:swizzle(BROADCAST,32,15)
	s_waitcnt lgkmcnt(0)
	v_cndmask_b32_e64 v132, v132, 0, s3
	v_add_nc_u32_e32 v21, v21, v132
	s_and_saveexec_b32 s16, s4
	s_cbranch_execz .LBB400_47
; %bb.46:                               ;   in Loop: Header=BB400_29 Depth=1
	flat_store_b32 v[30:31], v21
.LBB400_47:                             ;   in Loop: Header=BB400_29 Depth=1
	s_or_b32 exec_lo, exec_lo, s16
	s_waitcnt lgkmcnt(0)
	s_waitcnt_vscnt null, 0x0
	s_barrier
	buffer_gl0_inv
	s_and_saveexec_b32 s16, s5
	s_cbranch_execz .LBB400_49
; %bb.48:                               ;   in Loop: Header=BB400_29 Depth=1
	flat_load_b32 v132, v[32:33]
	s_waitcnt vmcnt(0) lgkmcnt(0)
	v_mov_b32_dpp v133, v132 row_shr:1 row_mask:0xf bank_mask:0xf
	s_delay_alu instid0(VALU_DEP_1) | instskip(NEXT) | instid1(VALU_DEP_1)
	v_cndmask_b32_e64 v133, v133, 0, s11
	v_add_nc_u32_e32 v132, v133, v132
	s_delay_alu instid0(VALU_DEP_1) | instskip(NEXT) | instid1(VALU_DEP_1)
	v_mov_b32_dpp v133, v132 row_shr:2 row_mask:0xf bank_mask:0xf
	v_cndmask_b32_e64 v133, 0, v133, s14
	s_delay_alu instid0(VALU_DEP_1) | instskip(NEXT) | instid1(VALU_DEP_1)
	v_add_nc_u32_e32 v132, v132, v133
	v_mov_b32_dpp v133, v132 row_shr:4 row_mask:0xf bank_mask:0xf
	s_delay_alu instid0(VALU_DEP_1) | instskip(NEXT) | instid1(VALU_DEP_1)
	v_cndmask_b32_e64 v133, 0, v133, s15
	v_add_nc_u32_e32 v132, v132, v133
	flat_store_b32 v[32:33], v132
.LBB400_49:                             ;   in Loop: Header=BB400_29 Depth=1
	s_or_b32 exec_lo, exec_lo, s16
	v_mov_b32_e32 v132, 0
	s_waitcnt lgkmcnt(0)
	s_waitcnt_vscnt null, 0x0
	s_barrier
	buffer_gl0_inv
	s_and_saveexec_b32 s16, s6
	s_cbranch_execz .LBB400_51
; %bb.50:                               ;   in Loop: Header=BB400_29 Depth=1
	flat_load_b32 v132, v[36:37]
.LBB400_51:                             ;   in Loop: Header=BB400_29 Depth=1
	s_or_b32 exec_lo, exec_lo, s16
	s_waitcnt vmcnt(0) lgkmcnt(0)
	v_add_nc_u32_e32 v21, v132, v21
	v_add_nc_u32_e32 v10, 8, v10
	v_lshrrev_b32_e32 v178, 16, v48
	v_lshrrev_b32_e32 v176, 8, v49
	;; [unrolled: 1-line block ×3, first 2 shown]
	ds_bpermute_b32 v21, v145, v21
	v_cmp_lt_u32_e64 s16, v10, v11
	s_mov_b32 s18, -1
	s_waitcnt lgkmcnt(0)
	v_cndmask_b32_e64 v21, v21, v132, s7
	v_lshrrev_b64 v[132:133], 24, v[48:49]
	s_delay_alu instid0(VALU_DEP_2) | instskip(NEXT) | instid1(VALU_DEP_1)
	v_cndmask_b32_e64 v21, v21, 0, s10
	v_add_nc_u32_e32 v22, v21, v22
	s_delay_alu instid0(VALU_DEP_1) | instskip(NEXT) | instid1(VALU_DEP_1)
	v_add_nc_u32_e32 v23, v22, v23
	v_add_nc_u32_e32 v24, v23, v24
	s_delay_alu instid0(VALU_DEP_1) | instskip(NEXT) | instid1(VALU_DEP_1)
	v_add_nc_u32_e32 v164, v24, v25
	;; [unrolled: 3-line block ×3, first 2 shown]
	v_add_nc_u32_e32 v167, v166, v20
	s_clause 0x1
	flat_store_b128 v[4:5], v[21:24] offset:32
	flat_store_b128 v[28:29], v[164:167] offset:16
	v_mov_b32_e32 v166, v48
	s_waitcnt lgkmcnt(0)
	s_waitcnt_vscnt null, 0x0
	s_barrier
	buffer_gl0_inv
	s_clause 0x7
	flat_load_b32 v18, v[84:85]
	flat_load_b32 v19, v[86:87]
	;; [unrolled: 1-line block ×8, first 2 shown]
	v_lshrrev_b32_e32 v167, 8, v48
	s_waitcnt vmcnt(0) lgkmcnt(0)
	s_waitcnt_vscnt null, 0x0
                                        ; implicit-def: $vgpr84_vgpr85
                                        ; implicit-def: $vgpr86_vgpr87
                                        ; implicit-def: $vgpr96_vgpr97
                                        ; implicit-def: $vgpr98_vgpr99
	s_waitcnt vmcnt(7) lgkmcnt(7)
	v_add_nc_u32_e32 v165, v18, v116
	s_waitcnt vmcnt(6) lgkmcnt(6)
	v_add3_u32 v164, v118, v117, v19
	s_waitcnt vmcnt(5) lgkmcnt(5)
	v_add3_u32 v162, v119, v82, v20
	;; [unrolled: 2-line block ×4, first 2 shown]
	v_add_co_u32 v112, s17, v12, v165
	s_delay_alu instid0(VALU_DEP_1) | instskip(SKIP_1) | instid1(VALU_DEP_1)
	v_add_co_ci_u32_e64 v113, s17, 0, v13, s17
	v_add_co_u32 v116, s17, v12, v164
	v_add_co_ci_u32_e64 v117, s17, 0, v13, s17
	v_add_co_u32 v100, s17, v12, v162
	s_delay_alu instid0(VALU_DEP_1)
	v_add_co_ci_u32_e64 v101, s17, 0, v13, s17
	v_add_co_u32 v102, s17, v12, v161
	s_waitcnt vmcnt(2) lgkmcnt(2)
	v_add3_u32 v147, v149, v147, v23
	v_add_co_ci_u32_e64 v103, s17, 0, v13, s17
	v_add_co_u32 v114, s17, v12, v160
	s_waitcnt vmcnt(1) lgkmcnt(1)
	v_add3_u32 v133, v151, v150, v24
	;; [unrolled: 4-line block ×3, first 2 shown]
	v_add_co_ci_u32_e64 v119, s17, 0, v13, s17
	v_add_co_u32 v128, s17, v12, v133
	s_delay_alu instid0(VALU_DEP_1) | instskip(NEXT) | instid1(VALU_DEP_4)
	v_add_co_ci_u32_e64 v129, s17, 0, v13, s17
	v_add_co_u32 v130, s17, v12, v82
	s_delay_alu instid0(VALU_DEP_1)
	v_add_co_ci_u32_e64 v131, s17, 0, v13, s17
                                        ; implicit-def: $vgpr18_vgpr19
                                        ; implicit-def: $vgpr20_vgpr21
                                        ; implicit-def: $vgpr22_vgpr23
                                        ; implicit-def: $vgpr24_vgpr25
	s_and_saveexec_b32 s17, s16
	s_cbranch_execz .LBB400_28
; %bb.52:                               ;   in Loop: Header=BB400_29 Depth=1
	s_barrier
	buffer_gl0_inv
	s_clause 0x7
	flat_store_b8 v[112:113], v48
	flat_store_b8 v[116:117], v167
	;; [unrolled: 1-line block ×8, first 2 shown]
	s_waitcnt lgkmcnt(0)
	s_waitcnt_vscnt null, 0x0
	s_barrier
	buffer_gl0_inv
	s_clause 0x7
	flat_load_u8 v149, v[34:35]
	flat_load_u8 v150, v[34:35] offset:32
	flat_load_u8 v151, v[34:35] offset:64
	;; [unrolled: 1-line block ×7, first 2 shown]
	v_mad_u64_u32 v[18:19], null, v165, 7, v[112:113]
	v_mad_u64_u32 v[20:21], null, v164, 7, v[116:117]
	;; [unrolled: 1-line block ×8, first 2 shown]
	s_waitcnt vmcnt(0) lgkmcnt(0)
	s_barrier
	buffer_gl0_inv
	s_clause 0x7
	flat_store_b64 v[18:19], v[80:81]
	flat_store_b64 v[20:21], v[70:71]
	flat_store_b64 v[22:23], v[54:55]
	flat_store_b64 v[24:25], v[68:69]
	flat_store_b64 v[48:49], v[66:67]
	flat_store_b64 v[84:85], v[64:65]
	flat_store_b64 v[86:87], v[50:51]
	flat_store_b64 v[96:97], v[52:53]
	s_waitcnt lgkmcnt(0)
	s_waitcnt_vscnt null, 0x0
	s_barrier
	buffer_gl0_inv
	s_clause 0x7
	flat_load_b64 v[18:19], v[38:39]
	flat_load_b64 v[20:21], v[38:39] offset:256
	flat_load_b64 v[22:23], v[38:39] offset:512
	;; [unrolled: 1-line block ×7, first 2 shown]
	v_add_nc_u32_e32 v146, -8, v146
	s_xor_b32 s18, exec_lo, -1
	s_waitcnt vmcnt(0) lgkmcnt(0)
	s_barrier
	buffer_gl0_inv
	v_lshlrev_b16 v48, 8, v150
	v_lshlrev_b16 v49, 8, v163
	;; [unrolled: 1-line block ×3, first 2 shown]
	s_delay_alu instid0(VALU_DEP_3) | instskip(SKIP_1) | instid1(VALU_DEP_4)
	v_or_b32_e32 v48, v149, v48
	v_lshlrev_b16 v163, 8, v182
	v_or_b32_e32 v49, v151, v49
	s_delay_alu instid0(VALU_DEP_4) | instskip(NEXT) | instid1(VALU_DEP_4)
	v_or_b32_e32 v149, v179, v150
	v_and_b32_e32 v48, 0xffff, v48
	s_delay_alu instid0(VALU_DEP_4) | instskip(NEXT) | instid1(VALU_DEP_4)
	v_or_b32_e32 v150, v181, v163
	v_lshlrev_b32_e32 v49, 16, v49
	s_delay_alu instid0(VALU_DEP_4) | instskip(NEXT) | instid1(VALU_DEP_3)
	v_and_b32_e32 v149, 0xffff, v149
	v_lshlrev_b32_e32 v150, 16, v150
	s_delay_alu instid0(VALU_DEP_3) | instskip(NEXT) | instid1(VALU_DEP_2)
	v_or_b32_e32 v48, v48, v49
	v_or_b32_e32 v49, v149, v150
	s_branch .LBB400_28
.LBB400_53:
	s_or_b32 exec_lo, exec_lo, s20
	v_mad_u64_u32 v[9:10], null, v165, 7, v[112:113]
	v_add_co_u32 v4, vcc_lo, v12, v26
	v_mad_u64_u32 v[14:15], null, v164, 7, v[116:117]
	v_add_co_ci_u32_e32 v5, vcc_lo, 0, v13, vcc_lo
	s_barrier
	buffer_gl0_inv
	s_clause 0x7
	flat_store_b8 v[112:113], v166
	flat_store_b8 v[116:117], v167
	;; [unrolled: 1-line block ×8, first 2 shown]
	s_waitcnt lgkmcnt(0)
	s_waitcnt_vscnt null, 0x0
	s_barrier
	buffer_gl0_inv
	s_clause 0x7
	flat_load_u8 v33, v[4:5]
	flat_load_u8 v32, v[4:5] offset:256
	flat_load_u8 v31, v[4:5] offset:512
	flat_load_u8 v30, v[4:5] offset:768
	flat_load_u8 v29, v[4:5] offset:1024
	flat_load_u8 v25, v[4:5] offset:1280
	flat_load_u8 v24, v[4:5] offset:1536
	flat_load_u8 v23, v[4:5] offset:1792
	s_waitcnt vmcnt(0) lgkmcnt(0)
	s_barrier
	buffer_gl0_inv
	s_clause 0x1
	flat_store_b64 v[9:10], v[80:81]
	flat_store_b64 v[14:15], v[70:71]
	v_mad_u64_u32 v[9:10], null, v162, 7, v[100:101]
	v_mad_u64_u32 v[14:15], null, v161, 7, v[102:103]
	;; [unrolled: 1-line block ×4, first 2 shown]
	s_clause 0x3
	flat_store_b64 v[9:10], v[54:55]
	flat_store_b64 v[14:15], v[68:69]
	;; [unrolled: 1-line block ×4, first 2 shown]
	v_mad_u64_u32 v[9:10], null, v26, 7, v[4:5]
	v_mad_u64_u32 v[20:21], null, v133, 7, v[128:129]
	v_lshl_or_b32 v11, v26, 3, 0x2000
	v_mad_u64_u32 v[34:35], null, v82, 7, v[130:131]
	s_clause 0x1
	flat_store_b64 v[20:21], v[50:51]
	flat_store_b64 v[34:35], v[52:53]
	v_add_co_u32 v4, vcc_lo, 0x1000, v9
	v_add_co_ci_u32_e32 v5, vcc_lo, 0, v10, vcc_lo
	v_add_co_u32 v11, vcc_lo, v12, v11
	v_add_co_ci_u32_e32 v12, vcc_lo, 0, v13, vcc_lo
	;; [unrolled: 2-line block ×3, first 2 shown]
	v_add_co_u32 v36, vcc_lo, 0x3000, v9
	s_waitcnt lgkmcnt(0)
	s_waitcnt_vscnt null, 0x0
	s_barrier
	buffer_gl0_inv
	v_add_co_ci_u32_e32 v37, vcc_lo, 0, v10, vcc_lo
	s_clause 0x7
	flat_load_b64 v[21:22], v[9:10]
	flat_load_b64 v[19:20], v[9:10] offset:2048
	flat_load_b64 v[17:18], v[4:5]
	flat_load_b64 v[15:16], v[4:5] offset:2048
	flat_load_b64 v[13:14], v[11:12]
	flat_load_b64 v[11:12], v[34:35] offset:2048
	flat_load_b64 v[9:10], v[36:37]
	flat_load_b64 v[4:5], v[36:37] offset:2048
	v_add_co_u32 v2, vcc_lo, v2, v8
	v_add_co_ci_u32_e32 v3, vcc_lo, 0, v3, vcc_lo
	v_mov_b32_e32 v28, 0
	s_delay_alu instid0(VALU_DEP_3) | instskip(NEXT) | instid1(VALU_DEP_3)
	v_add_co_u32 v2, vcc_lo, v2, v27
	v_add_co_ci_u32_e32 v3, vcc_lo, 0, v3, vcc_lo
	v_cmp_lt_u32_e32 vcc_lo, v27, v134
	s_waitcnt vmcnt(0) lgkmcnt(0)
	s_barrier
	buffer_gl0_inv
	s_and_saveexec_b32 s0, vcc_lo
	s_cbranch_execz .LBB400_55
; %bb.54:
	v_xor_b32_e32 v8, 0x80, v33
	flat_store_b8 v[2:3], v8
.LBB400_55:
	s_or_b32 exec_lo, exec_lo, s0
	v_add_nc_u32_e32 v8, 0x100, v27
	s_delay_alu instid0(VALU_DEP_1) | instskip(NEXT) | instid1(VALU_DEP_1)
	v_cmp_lt_u32_e64 s2, v8, v134
	s_and_saveexec_b32 s0, s2
	s_cbranch_execz .LBB400_57
; %bb.56:
	v_xor_b32_e32 v8, 0x80, v32
	flat_store_b8 v[2:3], v8 offset:256
.LBB400_57:
	s_or_b32 exec_lo, exec_lo, s0
	v_add_nc_u32_e32 v8, 0x200, v27
	s_delay_alu instid0(VALU_DEP_1) | instskip(NEXT) | instid1(VALU_DEP_1)
	v_cmp_lt_u32_e64 s6, v8, v134
	s_and_saveexec_b32 s0, s6
	s_cbranch_execz .LBB400_59
; %bb.58:
	v_xor_b32_e32 v8, 0x80, v31
	flat_store_b8 v[2:3], v8 offset:512
.LBB400_59:
	;; [unrolled: 10-line block ×7, first 2 shown]
	s_or_b32 exec_lo, exec_lo, s7
	v_lshlrev_b64 v[2:3], 3, v[27:28]
	v_add_co_u32 v0, s7, v6, v0
	s_delay_alu instid0(VALU_DEP_1) | instskip(NEXT) | instid1(VALU_DEP_2)
	v_add_co_ci_u32_e64 v1, s7, v7, v1, s7
	v_add_co_u32 v0, s7, v0, v2
	s_delay_alu instid0(VALU_DEP_1)
	v_add_co_ci_u32_e64 v1, s7, v1, v3, s7
	s_and_saveexec_b32 s7, vcc_lo
	s_cbranch_execnz .LBB400_119
; %bb.70:
	s_or_b32 exec_lo, exec_lo, s7
	s_and_saveexec_b32 s7, s2
	s_cbranch_execnz .LBB400_120
.LBB400_71:
	s_or_b32 exec_lo, exec_lo, s7
	s_and_saveexec_b32 s2, s6
	s_cbranch_execnz .LBB400_121
.LBB400_72:
	s_or_b32 exec_lo, exec_lo, s2
	s_and_saveexec_b32 s2, s5
	s_cbranch_execnz .LBB400_122
.LBB400_73:
	s_or_b32 exec_lo, exec_lo, s2
	s_and_saveexec_b32 s2, s4
	s_cbranch_execnz .LBB400_123
.LBB400_74:
	s_or_b32 exec_lo, exec_lo, s2
	s_and_saveexec_b32 s2, s3
	s_cbranch_execnz .LBB400_124
.LBB400_75:
	s_or_b32 exec_lo, exec_lo, s2
	s_and_saveexec_b32 s2, s1
	s_cbranch_execnz .LBB400_125
.LBB400_76:
	s_or_b32 exec_lo, exec_lo, s2
	s_and_saveexec_b32 s1, s0
	s_cbranch_execz .LBB400_78
.LBB400_77:
	v_add_co_u32 v0, vcc_lo, 0x3000, v0
	v_add_co_ci_u32_e32 v1, vcc_lo, 0, v1, vcc_lo
	flat_store_b64 v[0:1], v[4:5] offset:2048
.LBB400_78:
	s_or_b32 exec_lo, exec_lo, s1
                                        ; implicit-def: $vgpr134
                                        ; implicit-def: $vgpr0
                                        ; implicit-def: $vgpr1
                                        ; implicit-def: $vgpr2
                                        ; implicit-def: $vgpr3
                                        ; implicit-def: $vgpr4
                                        ; implicit-def: $vgpr5
                                        ; implicit-def: $vgpr6
                                        ; implicit-def: $vgpr7
                                        ; implicit-def: $vgpr8
                                        ; implicit-def: $vgpr10
                                        ; implicit-def: $vgpr11
                                        ; implicit-def: $vgpr12
                                        ; implicit-def: $vgpr13
                                        ; implicit-def: $vgpr14
                                        ; implicit-def: $vgpr15
                                        ; implicit-def: $vgpr26
                                        ; implicit-def: $vgpr16
.LBB400_79:
	s_and_not1_saveexec_b32 s0, s19
	s_cbranch_execz .LBB400_199
; %bb.80:
	s_mov_b32 s0, exec_lo
	v_cmpx_lt_u32_e32 0x200, v134
	s_xor_b32 s19, exec_lo, s0
	s_cbranch_execz .LBB400_140
; %bb.81:
	s_load_b64 s[0:1], s[8:9], 0x0
	v_mov_b32_e32 v9, 0
	v_add_co_u32 v0, vcc_lo, v0, v8
	v_add_co_ci_u32_e32 v1, vcc_lo, 0, v1, vcc_lo
	v_dual_mov_b32 v29, 0x7f :: v_dual_mov_b32 v30, 0x7f
	s_delay_alu instid0(VALU_DEP_3) | instskip(NEXT) | instid1(VALU_DEP_3)
	v_add_co_u32 v0, vcc_lo, v0, v16
	v_add_co_ci_u32_e32 v1, vcc_lo, 0, v1, vcc_lo
	s_waitcnt lgkmcnt(0)
	s_cmp_lt_u32 s13, s1
	s_cselect_b32 s1, 14, 20
	s_delay_alu instid0(SALU_CYCLE_1) | instskip(SKIP_4) | instid1(SALU_CYCLE_1)
	s_add_u32 s2, s8, s1
	s_addc_u32 s3, s9, 0
	s_cmp_lt_u32 s12, s0
	global_load_u16 v17, v9, s[2:3]
	s_cselect_b32 s0, 12, 18
	s_add_u32 s0, s8, s0
	s_addc_u32 s1, s9, 0
	global_load_u16 v18, v9, s[0:1]
	s_waitcnt vmcnt(1)
	v_mad_u32_u24 v14, v15, v17, v14
	v_mov_b32_e32 v17, 0x7f
	s_waitcnt vmcnt(0)
	s_delay_alu instid0(VALU_DEP_2) | instskip(SKIP_1) | instid1(VALU_DEP_2)
	v_mad_u64_u32 v[27:28], null, v14, v18, v[26:27]
	v_mov_b32_e32 v28, 0x7f
	v_dual_mov_b32 v15, v9 :: v_dual_lshlrev_b32 v14, 2, v27
	s_delay_alu instid0(VALU_DEP_1) | instskip(NEXT) | instid1(VALU_DEP_1)
	v_and_b32_e32 v14, 0xffffff80, v14
	v_or_b32_e32 v18, v14, v16
	v_add_co_u32 v0, vcc_lo, v0, v14
	v_add_co_ci_u32_e32 v1, vcc_lo, 0, v1, vcc_lo
	s_delay_alu instid0(VALU_DEP_3)
	v_cmp_lt_u32_e32 vcc_lo, v18, v134
	s_and_saveexec_b32 s0, vcc_lo
	s_cbranch_execz .LBB400_83
; %bb.82:
	flat_load_u8 v17, v[0:1]
	v_dual_mov_b32 v29, 0x7f :: v_dual_mov_b32 v30, 0x7f
	v_mov_b32_e32 v28, 0x7f
.LBB400_83:
	s_or_b32 exec_lo, exec_lo, s0
	v_or_b32_e32 v19, 32, v18
	s_delay_alu instid0(VALU_DEP_1) | instskip(NEXT) | instid1(VALU_DEP_1)
	v_cmp_lt_u32_e64 s0, v19, v134
	s_and_saveexec_b32 s1, s0
	s_cbranch_execz .LBB400_85
; %bb.84:
	flat_load_u8 v29, v[0:1] offset:32
.LBB400_85:
	s_or_b32 exec_lo, exec_lo, s1
	v_or_b32_e32 v19, 64, v18
	s_delay_alu instid0(VALU_DEP_1) | instskip(NEXT) | instid1(VALU_DEP_1)
	v_cmp_lt_u32_e64 s1, v19, v134
	s_and_saveexec_b32 s2, s1
	s_cbranch_execz .LBB400_87
; %bb.86:
	flat_load_u8 v30, v[0:1] offset:64
.LBB400_87:
	;; [unrolled: 9-line block ×3, first 2 shown]
	s_or_b32 exec_lo, exec_lo, s3
	v_lshlrev_b64 v[0:1], 3, v[8:9]
	v_lshlrev_b32_e32 v9, 3, v16
	s_delay_alu instid0(VALU_DEP_2) | instskip(NEXT) | instid1(VALU_DEP_1)
	v_add_co_u32 v18, s3, v4, v0
	v_add_co_ci_u32_e64 v19, s3, v5, v1, s3
	v_lshlrev_b64 v[4:5], 3, v[14:15]
	s_delay_alu instid0(VALU_DEP_3) | instskip(NEXT) | instid1(VALU_DEP_1)
	v_add_co_u32 v9, s3, v18, v9
	v_add_co_ci_u32_e64 v14, s3, 0, v19, s3
                                        ; implicit-def: $vgpr18_vgpr19
	s_delay_alu instid0(VALU_DEP_2) | instskip(NEXT) | instid1(VALU_DEP_1)
	v_add_co_u32 v4, s3, v9, v4
	v_add_co_ci_u32_e64 v5, s3, v14, v5, s3
	s_and_saveexec_b32 s3, vcc_lo
	s_cbranch_execnz .LBB400_164
; %bb.90:
	s_or_b32 exec_lo, exec_lo, s3
                                        ; implicit-def: $vgpr20_vgpr21
	s_and_saveexec_b32 s3, s0
	s_cbranch_execnz .LBB400_165
.LBB400_91:
	s_or_b32 exec_lo, exec_lo, s3
                                        ; implicit-def: $vgpr22_vgpr23
	s_and_saveexec_b32 s0, s1
	s_cbranch_execnz .LBB400_166
.LBB400_92:
	s_or_b32 exec_lo, exec_lo, s0
                                        ; implicit-def: $vgpr24_vgpr25
	s_and_saveexec_b32 s0, s2
	s_cbranch_execz .LBB400_94
.LBB400_93:
	flat_load_b64 v[24:25], v[4:5] offset:768
.LBB400_94:
	s_or_b32 exec_lo, exec_lo, s0
	s_waitcnt vmcnt(0) lgkmcnt(0)
	v_xor_b32_e32 v4, 0x80, v17
	v_xor_b32_e32 v5, 0x80, v29
	;; [unrolled: 1-line block ×4, first 2 shown]
	s_mov_b32 s20, 0
	v_dual_mov_b32 v15, 0 :: v_dual_and_b32 v4, 0xff, v4
	v_lshlrev_b16 v5, 8, v5
	s_delay_alu instid0(VALU_DEP_3)
	v_lshlrev_b16 v14, 8, v14
	s_mov_b32 s21, s20
	s_mov_b32 s22, s20
	;; [unrolled: 1-line block ×3, first 2 shown]
	v_and_b32_e32 v9, 0xff, v9
	v_or_b32_e32 v4, v4, v5
	v_add_nc_u32_e32 v31, -1, v16
	v_and_b32_e32 v30, 0x3e0, v26
	v_and_b32_e32 v17, 15, v16
	v_or_b32_e32 v5, v9, v14
	v_and_b32_e32 v4, 0xffff, v4
	v_lshlrev_b32_e32 v14, 5, v26
	v_add_co_u32 v9, vcc_lo, v12, 32
	s_delay_alu instid0(VALU_DEP_4)
	v_lshlrev_b32_e32 v5, 16, v5
	v_add_co_ci_u32_e32 v80, vcc_lo, 0, v13, vcc_lo
	v_cmp_gt_i32_e64 s4, 0, v31
	s_getpc_b64 s[0:1]
	s_add_u32 s0, s0, _ZN7rocprim17ROCPRIM_400000_NS16block_radix_sortIaLj256ELj4ElLj1ELj1ELj8ELNS0_26block_radix_rank_algorithmE2ELNS0_18block_padding_hintE2ELNS0_4arch9wavefront6targetE0EE19radix_bits_per_passE@rel32@lo+4
	s_addc_u32 s1, s1, _ZN7rocprim17ROCPRIM_400000_NS16block_radix_sortIaLj256ELj4ElLj1ELj1ELj8ELNS0_26block_radix_rank_algorithmE2ELNS0_18block_padding_hintE2ELNS0_4arch9wavefront6targetE0EE19radix_bits_per_passE@rel32@hi+12
	v_or_b32_e32 v83, v4, v5
	v_add_co_u32 v4, vcc_lo, v12, v14
	v_add_co_ci_u32_e32 v5, vcc_lo, 0, v13, vcc_lo
	v_add_co_u32 v28, vcc_lo, v9, v14
	v_min_u32_e32 v14, 0xe0, v30
	v_add_co_ci_u32_e32 v29, vcc_lo, 0, v80, vcc_lo
	s_load_b32 s25, s[0:1], 0x0
	v_cmp_eq_u32_e32 vcc_lo, 0, v17
	v_cmp_lt_u32_e64 s0, 1, v17
	v_cmp_lt_u32_e64 s1, 3, v17
	;; [unrolled: 1-line block ×3, first 2 shown]
	v_cndmask_b32_e64 v17, v31, v16, s4
	v_or_b32_e32 v14, 31, v14
	v_lshrrev_b32_e32 v34, 5, v26
	v_and_b32_e32 v30, 16, v16
	v_cmp_eq_u32_e64 s7, 0, v16
	v_lshlrev_b32_e32 v82, 2, v17
	v_lshlrev_b32_e32 v17, 2, v26
	v_cmp_eq_u32_e64 s4, v14, v26
	v_lshlrev_b32_e32 v14, 2, v34
	v_and_b32_e32 v35, 7, v16
	v_cmp_eq_u32_e64 s3, 0, v30
	v_and_or_b32 v16, 0xf80, v17, v16
	v_lshrrev_b32_e32 v81, 5, v27
	v_add_co_u32 v30, s11, v12, v14
	v_add_nc_u32_e32 v14, -1, v34
	v_add_co_ci_u32_e64 v31, s11, 0, v13, s11
	v_add_co_u32 v32, s11, v12, v17
	v_add_co_u32 v34, s16, v12, v16
	v_add_co_ci_u32_e64 v33, s11, 0, v13, s11
	v_lshlrev_b64 v[14:15], 2, v[14:15]
	v_cmp_eq_u32_e64 s11, 0, v35
	v_cmp_lt_u32_e64 s14, 1, v35
	v_cmp_lt_u32_e64 s15, 3, v35
	v_add_co_ci_u32_e64 v35, s16, 0, v13, s16
	v_add_co_u32 v36, s16, v12, v14
	s_delay_alu instid0(VALU_DEP_1) | instskip(NEXT) | instid1(VALU_DEP_3)
	v_add_co_ci_u32_e64 v37, s16, v13, v15, s16
	v_mad_u64_u32 v[38:39], null, v16, 7, v[34:35]
	v_mov_b32_e32 v14, s20
	v_mov_b32_e32 v16, s22
	v_cmp_gt_u32_e64 s5, 8, v26
	v_cmp_lt_u32_e64 s6, 31, v26
	v_cmp_eq_u32_e64 s10, 0, v26
	v_sub_nc_u32_e32 v84, v11, v10
	v_mov_b32_e32 v15, s21
	v_mov_b32_e32 v17, s23
	s_waitcnt lgkmcnt(0)
	s_waitcnt_vscnt null, 0x0
	s_barrier
	buffer_gl0_inv
	s_branch .LBB400_96
.LBB400_95:                             ;   in Loop: Header=BB400_96 Depth=1
	s_or_b32 exec_lo, exec_lo, s17
	s_delay_alu instid0(SALU_CYCLE_1) | instskip(NEXT) | instid1(SALU_CYCLE_1)
	s_and_b32 s16, exec_lo, s18
	s_or_b32 s20, s16, s20
	s_delay_alu instid0(SALU_CYCLE_1)
	s_and_not1_b32 exec_lo, exec_lo, s20
	s_cbranch_execz .LBB400_126
.LBB400_96:                             ; =>This Inner Loop Header: Depth=1
	v_min_u32_e32 v48, s25, v84
	v_and_b32_e32 v49, 0xff, v83
	s_clause 0x1
	flat_store_b128 v[4:5], v[14:17] offset:32
	flat_store_b128 v[28:29], v[14:17] offset:16
	s_waitcnt lgkmcnt(0)
	s_waitcnt_vscnt null, 0x0
	s_barrier
	v_lshlrev_b32_e64 v48, v48, -1
	v_lshrrev_b32_e32 v49, v10, v49
	buffer_gl0_inv
	; wave barrier
	v_not_b32_e32 v70, v48
	s_delay_alu instid0(VALU_DEP_1) | instskip(NEXT) | instid1(VALU_DEP_1)
	v_and_b32_e32 v64, v49, v70
	v_and_b32_e32 v48, 1, v64
	v_lshlrev_b32_e32 v49, 30, v64
	v_lshlrev_b32_e32 v50, 29, v64
	;; [unrolled: 1-line block ×4, first 2 shown]
	v_add_co_u32 v48, s16, v48, -1
	s_delay_alu instid0(VALU_DEP_1)
	v_cndmask_b32_e64 v52, 0, 1, s16
	v_not_b32_e32 v65, v49
	v_cmp_gt_i32_e64 s17, 0, v49
	v_not_b32_e32 v49, v50
	v_lshlrev_b32_e32 v54, 26, v64
	v_cmp_ne_u32_e64 s16, 0, v52
	v_ashrrev_i32_e32 v65, 31, v65
	v_lshlrev_b32_e32 v52, 24, v64
	v_ashrrev_i32_e32 v49, 31, v49
	s_delay_alu instid0(VALU_DEP_4)
	v_xor_b32_e32 v48, s16, v48
	v_cmp_gt_i32_e64 s16, 0, v50
	v_not_b32_e32 v50, v51
	v_xor_b32_e32 v65, s17, v65
	v_cmp_gt_i32_e64 s17, 0, v51
	v_and_b32_e32 v48, exec_lo, v48
	v_not_b32_e32 v51, v53
	v_ashrrev_i32_e32 v50, 31, v50
	v_xor_b32_e32 v49, s16, v49
	v_cmp_gt_i32_e64 s16, 0, v53
	v_and_b32_e32 v48, v48, v65
	v_not_b32_e32 v53, v54
	v_ashrrev_i32_e32 v51, 31, v51
	v_xor_b32_e32 v50, s17, v50
	v_cmp_gt_i32_e64 s17, 0, v54
	v_and_b32_e32 v48, v48, v49
	v_ashrrev_i32_e32 v53, 31, v53
	v_xor_b32_e32 v51, s16, v51
	s_delay_alu instid0(VALU_DEP_3) | instskip(NEXT) | instid1(VALU_DEP_3)
	v_and_b32_e32 v48, v48, v50
	v_xor_b32_e32 v53, s17, v53
	v_not_b32_e32 v50, v52
	v_cmp_gt_i32_e64 s17, 0, v52
	s_delay_alu instid0(VALU_DEP_4) | instskip(NEXT) | instid1(VALU_DEP_3)
	v_and_b32_e32 v48, v48, v51
	v_ashrrev_i32_e32 v50, 31, v50
	s_delay_alu instid0(VALU_DEP_2) | instskip(SKIP_1) | instid1(VALU_DEP_3)
	v_dual_mov_b32 v53, v19 :: v_dual_and_b32 v48, v48, v53
	v_lshlrev_b32_e32 v55, 25, v64
	v_xor_b32_e32 v54, s17, v50
	v_dual_mov_b32 v52, v18 :: v_dual_lshlrev_b32 v19, 3, v64
	v_mov_b32_e32 v51, v21
	s_delay_alu instid0(VALU_DEP_4) | instskip(SKIP_3) | instid1(VALU_DEP_4)
	v_not_b32_e32 v49, v55
	v_cmp_gt_i32_e64 s16, 0, v55
	v_mov_b32_e32 v50, v20
	v_add_lshl_u32 v19, v19, v81, 2
	v_ashrrev_i32_e32 v49, 31, v49
	s_delay_alu instid0(VALU_DEP_2) | instskip(NEXT) | instid1(VALU_DEP_2)
	v_add_co_u32 v64, s18, v9, v19
	v_xor_b32_e32 v49, s16, v49
	v_add_co_ci_u32_e64 v65, s18, 0, v80, s18
	s_delay_alu instid0(VALU_DEP_2) | instskip(SKIP_1) | instid1(VALU_DEP_2)
	v_and_b32_e32 v55, v48, v49
	v_dual_mov_b32 v49, v23 :: v_dual_mov_b32 v48, v22
	v_dual_mov_b32 v55, v25 :: v_dual_and_b32 v18, v55, v54
	v_mov_b32_e32 v54, v24
	s_delay_alu instid0(VALU_DEP_2) | instskip(SKIP_1) | instid1(VALU_DEP_2)
	v_mbcnt_lo_u32_b32 v85, v18, 0
	v_cmp_ne_u32_e64 s16, 0, v18
	v_cmp_eq_u32_e64 s17, 0, v85
	s_delay_alu instid0(VALU_DEP_1) | instskip(NEXT) | instid1(SALU_CYCLE_1)
	s_and_b32 s17, s16, s17
	s_and_saveexec_b32 s16, s17
	s_cbranch_execz .LBB400_98
; %bb.97:                               ;   in Loop: Header=BB400_96 Depth=1
	v_bcnt_u32_b32 v18, v18, 0
	flat_store_b32 v[64:65], v18
.LBB400_98:                             ;   in Loop: Header=BB400_96 Depth=1
	s_or_b32 exec_lo, exec_lo, s16
	v_bfe_u32 v18, v83, 8, 8
	; wave barrier
	s_delay_alu instid0(VALU_DEP_1) | instskip(NEXT) | instid1(VALU_DEP_1)
	v_lshrrev_b32_e32 v18, v10, v18
	v_and_b32_e32 v18, v18, v70
	s_delay_alu instid0(VALU_DEP_1) | instskip(SKIP_3) | instid1(VALU_DEP_4)
	v_lshlrev_b32_e32 v19, 3, v18
	v_lshlrev_b32_e32 v21, 30, v18
	;; [unrolled: 1-line block ×4, first 2 shown]
	v_add_lshl_u32 v19, v19, v81, 2
	s_delay_alu instid0(VALU_DEP_1) | instskip(NEXT) | instid1(VALU_DEP_1)
	v_add_co_u32 v66, s16, v9, v19
	v_add_co_ci_u32_e64 v67, s16, 0, v80, s16
	v_and_b32_e32 v19, 1, v18
	flat_load_b32 v86, v[66:67]
	v_add_co_u32 v19, s16, v19, -1
	s_delay_alu instid0(VALU_DEP_1) | instskip(NEXT) | instid1(VALU_DEP_1)
	v_cndmask_b32_e64 v20, 0, 1, s16
	; wave barrier
	v_cmp_ne_u32_e64 s16, 0, v20
	v_not_b32_e32 v20, v21
	s_delay_alu instid0(VALU_DEP_2) | instskip(SKIP_1) | instid1(VALU_DEP_3)
	v_xor_b32_e32 v19, s16, v19
	v_cmp_gt_i32_e64 s16, 0, v21
	v_ashrrev_i32_e32 v20, 31, v20
	v_not_b32_e32 v21, v22
	s_delay_alu instid0(VALU_DEP_4) | instskip(NEXT) | instid1(VALU_DEP_3)
	v_and_b32_e32 v19, exec_lo, v19
	v_xor_b32_e32 v20, s16, v20
	v_cmp_gt_i32_e64 s16, 0, v22
	s_delay_alu instid0(VALU_DEP_4) | instskip(SKIP_1) | instid1(VALU_DEP_4)
	v_ashrrev_i32_e32 v21, 31, v21
	v_not_b32_e32 v22, v23
	v_and_b32_e32 v19, v19, v20
	v_lshlrev_b32_e32 v20, 27, v18
	s_delay_alu instid0(VALU_DEP_4) | instskip(SKIP_2) | instid1(VALU_DEP_4)
	v_xor_b32_e32 v21, s16, v21
	v_cmp_gt_i32_e64 s16, 0, v23
	v_ashrrev_i32_e32 v22, 31, v22
	v_not_b32_e32 v23, v20
	s_delay_alu instid0(VALU_DEP_4) | instskip(SKIP_1) | instid1(VALU_DEP_4)
	v_and_b32_e32 v19, v19, v21
	v_lshlrev_b32_e32 v21, 26, v18
	v_xor_b32_e32 v22, s16, v22
	v_cmp_gt_i32_e64 s16, 0, v20
	v_ashrrev_i32_e32 v20, 31, v23
	s_delay_alu instid0(VALU_DEP_4) | instskip(NEXT) | instid1(VALU_DEP_4)
	v_not_b32_e32 v23, v21
	v_and_b32_e32 v19, v19, v22
	v_lshlrev_b32_e32 v22, 25, v18
	s_delay_alu instid0(VALU_DEP_4)
	v_xor_b32_e32 v20, s16, v20
	v_cmp_gt_i32_e64 s16, 0, v21
	v_ashrrev_i32_e32 v21, 31, v23
	v_lshlrev_b32_e32 v18, 24, v18
	v_not_b32_e32 v23, v22
	v_and_b32_e32 v19, v19, v20
	s_delay_alu instid0(VALU_DEP_4) | instskip(SKIP_1) | instid1(VALU_DEP_4)
	v_xor_b32_e32 v20, s16, v21
	v_cmp_gt_i32_e64 s16, 0, v22
	v_ashrrev_i32_e32 v21, 31, v23
	v_not_b32_e32 v22, v18
	s_delay_alu instid0(VALU_DEP_4) | instskip(NEXT) | instid1(VALU_DEP_3)
	v_and_b32_e32 v19, v19, v20
	v_xor_b32_e32 v20, s16, v21
	v_cmp_gt_i32_e64 s16, 0, v18
	s_delay_alu instid0(VALU_DEP_4) | instskip(NEXT) | instid1(VALU_DEP_3)
	v_ashrrev_i32_e32 v18, 31, v22
	v_and_b32_e32 v19, v19, v20
	s_delay_alu instid0(VALU_DEP_2) | instskip(NEXT) | instid1(VALU_DEP_1)
	v_xor_b32_e32 v18, s16, v18
	v_and_b32_e32 v18, v19, v18
	s_delay_alu instid0(VALU_DEP_1) | instskip(SKIP_1) | instid1(VALU_DEP_2)
	v_mbcnt_lo_u32_b32 v96, v18, 0
	v_cmp_ne_u32_e64 s17, 0, v18
	v_cmp_eq_u32_e64 s16, 0, v96
	s_delay_alu instid0(VALU_DEP_1) | instskip(NEXT) | instid1(SALU_CYCLE_1)
	s_and_b32 s17, s17, s16
	s_and_saveexec_b32 s16, s17
	s_cbranch_execz .LBB400_100
; %bb.99:                               ;   in Loop: Header=BB400_96 Depth=1
	s_waitcnt vmcnt(0) lgkmcnt(0)
	v_bcnt_u32_b32 v18, v18, v86
	flat_store_b32 v[66:67], v18
.LBB400_100:                            ;   in Loop: Header=BB400_96 Depth=1
	s_or_b32 exec_lo, exec_lo, s16
	v_bfe_u32 v18, v83, 16, 8
	; wave barrier
	s_delay_alu instid0(VALU_DEP_1) | instskip(NEXT) | instid1(VALU_DEP_1)
	v_lshrrev_b32_e32 v18, v10, v18
	v_and_b32_e32 v18, v18, v70
	s_delay_alu instid0(VALU_DEP_1) | instskip(SKIP_3) | instid1(VALU_DEP_4)
	v_lshlrev_b32_e32 v19, 3, v18
	v_lshlrev_b32_e32 v21, 30, v18
	;; [unrolled: 1-line block ×4, first 2 shown]
	v_add_lshl_u32 v19, v19, v81, 2
	s_delay_alu instid0(VALU_DEP_1) | instskip(NEXT) | instid1(VALU_DEP_1)
	v_add_co_u32 v68, s16, v9, v19
	v_add_co_ci_u32_e64 v69, s16, 0, v80, s16
	v_and_b32_e32 v19, 1, v18
	flat_load_b32 v97, v[68:69]
	v_add_co_u32 v19, s16, v19, -1
	s_delay_alu instid0(VALU_DEP_1) | instskip(NEXT) | instid1(VALU_DEP_1)
	v_cndmask_b32_e64 v20, 0, 1, s16
	; wave barrier
	v_cmp_ne_u32_e64 s16, 0, v20
	v_not_b32_e32 v20, v21
	s_delay_alu instid0(VALU_DEP_2) | instskip(SKIP_1) | instid1(VALU_DEP_3)
	v_xor_b32_e32 v19, s16, v19
	v_cmp_gt_i32_e64 s16, 0, v21
	v_ashrrev_i32_e32 v20, 31, v20
	v_not_b32_e32 v21, v22
	s_delay_alu instid0(VALU_DEP_4) | instskip(NEXT) | instid1(VALU_DEP_3)
	v_and_b32_e32 v19, exec_lo, v19
	v_xor_b32_e32 v20, s16, v20
	v_cmp_gt_i32_e64 s16, 0, v22
	s_delay_alu instid0(VALU_DEP_4) | instskip(SKIP_1) | instid1(VALU_DEP_4)
	v_ashrrev_i32_e32 v21, 31, v21
	v_not_b32_e32 v22, v23
	v_and_b32_e32 v19, v19, v20
	v_lshlrev_b32_e32 v20, 27, v18
	s_delay_alu instid0(VALU_DEP_4) | instskip(SKIP_2) | instid1(VALU_DEP_4)
	v_xor_b32_e32 v21, s16, v21
	v_cmp_gt_i32_e64 s16, 0, v23
	v_ashrrev_i32_e32 v22, 31, v22
	v_not_b32_e32 v23, v20
	s_delay_alu instid0(VALU_DEP_4) | instskip(SKIP_1) | instid1(VALU_DEP_4)
	v_and_b32_e32 v19, v19, v21
	v_lshlrev_b32_e32 v21, 26, v18
	v_xor_b32_e32 v22, s16, v22
	v_cmp_gt_i32_e64 s16, 0, v20
	v_ashrrev_i32_e32 v20, 31, v23
	s_delay_alu instid0(VALU_DEP_4) | instskip(NEXT) | instid1(VALU_DEP_4)
	v_not_b32_e32 v23, v21
	v_and_b32_e32 v19, v19, v22
	v_lshlrev_b32_e32 v22, 25, v18
	s_delay_alu instid0(VALU_DEP_4)
	v_xor_b32_e32 v20, s16, v20
	v_cmp_gt_i32_e64 s16, 0, v21
	v_ashrrev_i32_e32 v21, 31, v23
	v_lshlrev_b32_e32 v18, 24, v18
	v_not_b32_e32 v23, v22
	v_and_b32_e32 v19, v19, v20
	s_delay_alu instid0(VALU_DEP_4) | instskip(SKIP_1) | instid1(VALU_DEP_4)
	v_xor_b32_e32 v20, s16, v21
	v_cmp_gt_i32_e64 s16, 0, v22
	v_ashrrev_i32_e32 v21, 31, v23
	v_not_b32_e32 v22, v18
	s_delay_alu instid0(VALU_DEP_4) | instskip(NEXT) | instid1(VALU_DEP_3)
	v_and_b32_e32 v19, v19, v20
	v_xor_b32_e32 v20, s16, v21
	v_cmp_gt_i32_e64 s16, 0, v18
	s_delay_alu instid0(VALU_DEP_4) | instskip(NEXT) | instid1(VALU_DEP_3)
	v_ashrrev_i32_e32 v18, 31, v22
	v_and_b32_e32 v19, v19, v20
	s_delay_alu instid0(VALU_DEP_2) | instskip(NEXT) | instid1(VALU_DEP_1)
	v_xor_b32_e32 v18, s16, v18
	v_and_b32_e32 v18, v19, v18
	s_delay_alu instid0(VALU_DEP_1) | instskip(SKIP_1) | instid1(VALU_DEP_2)
	v_mbcnt_lo_u32_b32 v98, v18, 0
	v_cmp_ne_u32_e64 s17, 0, v18
	v_cmp_eq_u32_e64 s16, 0, v98
	s_delay_alu instid0(VALU_DEP_1) | instskip(NEXT) | instid1(SALU_CYCLE_1)
	s_and_b32 s17, s17, s16
	s_and_saveexec_b32 s16, s17
	s_cbranch_execz .LBB400_102
; %bb.101:                              ;   in Loop: Header=BB400_96 Depth=1
	s_waitcnt vmcnt(0) lgkmcnt(0)
	v_bcnt_u32_b32 v18, v18, v97
	flat_store_b32 v[68:69], v18
.LBB400_102:                            ;   in Loop: Header=BB400_96 Depth=1
	s_or_b32 exec_lo, exec_lo, s16
	v_lshrrev_b32_e32 v87, 24, v83
	; wave barrier
	s_delay_alu instid0(VALU_DEP_1) | instskip(NEXT) | instid1(VALU_DEP_1)
	v_lshrrev_b32_e32 v18, v10, v87
	v_and_b32_e32 v18, v18, v70
	s_delay_alu instid0(VALU_DEP_1) | instskip(SKIP_3) | instid1(VALU_DEP_4)
	v_lshlrev_b32_e32 v19, 3, v18
	v_lshlrev_b32_e32 v21, 30, v18
	;; [unrolled: 1-line block ×4, first 2 shown]
	v_add_lshl_u32 v19, v19, v81, 2
	s_delay_alu instid0(VALU_DEP_1) | instskip(NEXT) | instid1(VALU_DEP_1)
	v_add_co_u32 v70, s16, v9, v19
	v_add_co_ci_u32_e64 v71, s16, 0, v80, s16
	v_and_b32_e32 v19, 1, v18
	flat_load_b32 v99, v[70:71]
	v_add_co_u32 v19, s16, v19, -1
	s_delay_alu instid0(VALU_DEP_1) | instskip(NEXT) | instid1(VALU_DEP_1)
	v_cndmask_b32_e64 v20, 0, 1, s16
	; wave barrier
	v_cmp_ne_u32_e64 s16, 0, v20
	v_not_b32_e32 v20, v21
	s_delay_alu instid0(VALU_DEP_2) | instskip(SKIP_1) | instid1(VALU_DEP_3)
	v_xor_b32_e32 v19, s16, v19
	v_cmp_gt_i32_e64 s16, 0, v21
	v_ashrrev_i32_e32 v20, 31, v20
	v_not_b32_e32 v21, v22
	s_delay_alu instid0(VALU_DEP_4) | instskip(NEXT) | instid1(VALU_DEP_3)
	v_and_b32_e32 v19, exec_lo, v19
	v_xor_b32_e32 v20, s16, v20
	v_cmp_gt_i32_e64 s16, 0, v22
	s_delay_alu instid0(VALU_DEP_4) | instskip(SKIP_1) | instid1(VALU_DEP_4)
	v_ashrrev_i32_e32 v21, 31, v21
	v_not_b32_e32 v22, v23
	v_and_b32_e32 v19, v19, v20
	v_lshlrev_b32_e32 v20, 27, v18
	s_delay_alu instid0(VALU_DEP_4) | instskip(SKIP_2) | instid1(VALU_DEP_4)
	v_xor_b32_e32 v21, s16, v21
	v_cmp_gt_i32_e64 s16, 0, v23
	v_ashrrev_i32_e32 v22, 31, v22
	v_not_b32_e32 v23, v20
	s_delay_alu instid0(VALU_DEP_4) | instskip(SKIP_1) | instid1(VALU_DEP_4)
	v_and_b32_e32 v19, v19, v21
	v_lshlrev_b32_e32 v21, 26, v18
	v_xor_b32_e32 v22, s16, v22
	v_cmp_gt_i32_e64 s16, 0, v20
	v_ashrrev_i32_e32 v20, 31, v23
	s_delay_alu instid0(VALU_DEP_4) | instskip(NEXT) | instid1(VALU_DEP_4)
	v_not_b32_e32 v23, v21
	v_and_b32_e32 v19, v19, v22
	v_lshlrev_b32_e32 v22, 25, v18
	s_delay_alu instid0(VALU_DEP_4)
	v_xor_b32_e32 v20, s16, v20
	v_cmp_gt_i32_e64 s16, 0, v21
	v_ashrrev_i32_e32 v21, 31, v23
	v_lshlrev_b32_e32 v18, 24, v18
	v_not_b32_e32 v23, v22
	v_and_b32_e32 v19, v19, v20
	s_delay_alu instid0(VALU_DEP_4) | instskip(SKIP_1) | instid1(VALU_DEP_4)
	v_xor_b32_e32 v20, s16, v21
	v_cmp_gt_i32_e64 s16, 0, v22
	v_ashrrev_i32_e32 v21, 31, v23
	v_not_b32_e32 v22, v18
	s_delay_alu instid0(VALU_DEP_4) | instskip(NEXT) | instid1(VALU_DEP_3)
	v_and_b32_e32 v19, v19, v20
	v_xor_b32_e32 v20, s16, v21
	v_cmp_gt_i32_e64 s16, 0, v18
	s_delay_alu instid0(VALU_DEP_4) | instskip(NEXT) | instid1(VALU_DEP_3)
	v_ashrrev_i32_e32 v18, 31, v22
	v_and_b32_e32 v19, v19, v20
	s_delay_alu instid0(VALU_DEP_2) | instskip(NEXT) | instid1(VALU_DEP_1)
	v_xor_b32_e32 v18, s16, v18
	v_and_b32_e32 v18, v19, v18
	s_delay_alu instid0(VALU_DEP_1) | instskip(SKIP_1) | instid1(VALU_DEP_2)
	v_mbcnt_lo_u32_b32 v112, v18, 0
	v_cmp_ne_u32_e64 s17, 0, v18
	v_cmp_eq_u32_e64 s16, 0, v112
	s_delay_alu instid0(VALU_DEP_1) | instskip(NEXT) | instid1(SALU_CYCLE_1)
	s_and_b32 s17, s17, s16
	s_and_saveexec_b32 s16, s17
	s_cbranch_execz .LBB400_104
; %bb.103:                              ;   in Loop: Header=BB400_96 Depth=1
	s_waitcnt vmcnt(0) lgkmcnt(0)
	v_bcnt_u32_b32 v18, v18, v99
	flat_store_b32 v[70:71], v18
.LBB400_104:                            ;   in Loop: Header=BB400_96 Depth=1
	s_or_b32 exec_lo, exec_lo, s16
	; wave barrier
	s_waitcnt vmcnt(0) lgkmcnt(0)
	s_waitcnt_vscnt null, 0x0
	s_barrier
	buffer_gl0_inv
	s_clause 0x1
	flat_load_b128 v[22:25], v[4:5] offset:32
	flat_load_b128 v[18:21], v[28:29] offset:16
	s_waitcnt vmcnt(1) lgkmcnt(1)
	v_add_nc_u32_e32 v100, v23, v22
	s_delay_alu instid0(VALU_DEP_1) | instskip(SKIP_1) | instid1(VALU_DEP_1)
	v_add3_u32 v100, v100, v24, v25
	s_waitcnt vmcnt(0) lgkmcnt(0)
	v_add3_u32 v100, v100, v18, v19
	s_delay_alu instid0(VALU_DEP_1) | instskip(NEXT) | instid1(VALU_DEP_1)
	v_add3_u32 v21, v100, v20, v21
	v_mov_b32_dpp v100, v21 row_shr:1 row_mask:0xf bank_mask:0xf
	s_delay_alu instid0(VALU_DEP_1) | instskip(NEXT) | instid1(VALU_DEP_1)
	v_cndmask_b32_e64 v100, v100, 0, vcc_lo
	v_add_nc_u32_e32 v21, v100, v21
	s_delay_alu instid0(VALU_DEP_1) | instskip(NEXT) | instid1(VALU_DEP_1)
	v_mov_b32_dpp v100, v21 row_shr:2 row_mask:0xf bank_mask:0xf
	v_cndmask_b32_e64 v100, 0, v100, s0
	s_delay_alu instid0(VALU_DEP_1) | instskip(NEXT) | instid1(VALU_DEP_1)
	v_add_nc_u32_e32 v21, v21, v100
	v_mov_b32_dpp v100, v21 row_shr:4 row_mask:0xf bank_mask:0xf
	s_delay_alu instid0(VALU_DEP_1) | instskip(NEXT) | instid1(VALU_DEP_1)
	v_cndmask_b32_e64 v100, 0, v100, s1
	v_add_nc_u32_e32 v21, v21, v100
	s_delay_alu instid0(VALU_DEP_1) | instskip(NEXT) | instid1(VALU_DEP_1)
	v_mov_b32_dpp v100, v21 row_shr:8 row_mask:0xf bank_mask:0xf
	v_cndmask_b32_e64 v100, 0, v100, s2
	s_delay_alu instid0(VALU_DEP_1) | instskip(SKIP_3) | instid1(VALU_DEP_1)
	v_add_nc_u32_e32 v21, v21, v100
	ds_swizzle_b32 v100, v21 offset:swizzle(BROADCAST,32,15)
	s_waitcnt lgkmcnt(0)
	v_cndmask_b32_e64 v100, v100, 0, s3
	v_add_nc_u32_e32 v21, v21, v100
	s_and_saveexec_b32 s16, s4
	s_cbranch_execz .LBB400_106
; %bb.105:                              ;   in Loop: Header=BB400_96 Depth=1
	flat_store_b32 v[30:31], v21
.LBB400_106:                            ;   in Loop: Header=BB400_96 Depth=1
	s_or_b32 exec_lo, exec_lo, s16
	s_waitcnt lgkmcnt(0)
	s_waitcnt_vscnt null, 0x0
	s_barrier
	buffer_gl0_inv
	s_and_saveexec_b32 s16, s5
	s_cbranch_execz .LBB400_108
; %bb.107:                              ;   in Loop: Header=BB400_96 Depth=1
	flat_load_b32 v100, v[32:33]
	s_waitcnt vmcnt(0) lgkmcnt(0)
	v_mov_b32_dpp v101, v100 row_shr:1 row_mask:0xf bank_mask:0xf
	s_delay_alu instid0(VALU_DEP_1) | instskip(NEXT) | instid1(VALU_DEP_1)
	v_cndmask_b32_e64 v101, v101, 0, s11
	v_add_nc_u32_e32 v100, v101, v100
	s_delay_alu instid0(VALU_DEP_1) | instskip(NEXT) | instid1(VALU_DEP_1)
	v_mov_b32_dpp v101, v100 row_shr:2 row_mask:0xf bank_mask:0xf
	v_cndmask_b32_e64 v101, 0, v101, s14
	s_delay_alu instid0(VALU_DEP_1) | instskip(NEXT) | instid1(VALU_DEP_1)
	v_add_nc_u32_e32 v100, v100, v101
	v_mov_b32_dpp v101, v100 row_shr:4 row_mask:0xf bank_mask:0xf
	s_delay_alu instid0(VALU_DEP_1) | instskip(NEXT) | instid1(VALU_DEP_1)
	v_cndmask_b32_e64 v101, 0, v101, s15
	v_add_nc_u32_e32 v100, v100, v101
	flat_store_b32 v[32:33], v100
.LBB400_108:                            ;   in Loop: Header=BB400_96 Depth=1
	s_or_b32 exec_lo, exec_lo, s16
	v_mov_b32_e32 v100, 0
	s_waitcnt lgkmcnt(0)
	s_waitcnt_vscnt null, 0x0
	s_barrier
	buffer_gl0_inv
	s_and_saveexec_b32 s16, s6
	s_cbranch_execz .LBB400_110
; %bb.109:                              ;   in Loop: Header=BB400_96 Depth=1
	flat_load_b32 v100, v[36:37]
.LBB400_110:                            ;   in Loop: Header=BB400_96 Depth=1
	s_or_b32 exec_lo, exec_lo, s16
	s_waitcnt vmcnt(0) lgkmcnt(0)
	v_add_nc_u32_e32 v21, v100, v21
	v_add_nc_u32_e32 v10, 8, v10
	s_mov_b32 s18, -1
	ds_bpermute_b32 v21, v82, v21
	s_waitcnt lgkmcnt(0)
	v_cndmask_b32_e64 v21, v21, v100, s7
	s_delay_alu instid0(VALU_DEP_1) | instskip(NEXT) | instid1(VALU_DEP_1)
	v_cndmask_b32_e64 v21, v21, 0, s10
	v_add_nc_u32_e32 v22, v21, v22
	s_delay_alu instid0(VALU_DEP_1) | instskip(NEXT) | instid1(VALU_DEP_1)
	v_add_nc_u32_e32 v23, v22, v23
	v_add_nc_u32_e32 v24, v23, v24
	s_delay_alu instid0(VALU_DEP_1) | instskip(NEXT) | instid1(VALU_DEP_1)
	v_add_nc_u32_e32 v100, v24, v25
	;; [unrolled: 3-line block ×3, first 2 shown]
	v_add_nc_u32_e32 v103, v102, v20
	s_clause 0x1
	flat_store_b128 v[4:5], v[21:24] offset:32
	flat_store_b128 v[28:29], v[100:103] offset:16
	v_mov_b32_e32 v101, v83
	s_waitcnt lgkmcnt(0)
	s_waitcnt_vscnt null, 0x0
	s_barrier
	buffer_gl0_inv
	s_clause 0x3
	flat_load_b32 v18, v[64:65]
	flat_load_b32 v19, v[66:67]
	;; [unrolled: 1-line block ×4, first 2 shown]
	v_lshrrev_b32_e32 v102, 8, v83
	v_lshrrev_b32_e32 v103, 16, v83
	s_waitcnt vmcnt(0) lgkmcnt(0)
	s_waitcnt_vscnt null, 0x0
                                        ; implicit-def: $vgpr22_vgpr23
                                        ; implicit-def: $vgpr24_vgpr25
	s_waitcnt vmcnt(3) lgkmcnt(3)
	v_add_nc_u32_e32 v100, v18, v85
	s_waitcnt vmcnt(2) lgkmcnt(2)
	v_add3_u32 v96, v96, v86, v19
	s_waitcnt vmcnt(1) lgkmcnt(1)
	v_add3_u32 v86, v98, v97, v20
	;; [unrolled: 2-line block ×3, first 2 shown]
                                        ; implicit-def: $vgpr18_vgpr19
                                        ; implicit-def: $vgpr20_vgpr21
	v_add_co_u32 v64, s17, v12, v100
	s_delay_alu instid0(VALU_DEP_1) | instskip(SKIP_1) | instid1(VALU_DEP_1)
	v_add_co_ci_u32_e64 v65, s17, 0, v13, s17
	v_add_co_u32 v66, s17, v12, v96
	v_add_co_ci_u32_e64 v67, s17, 0, v13, s17
	v_add_co_u32 v68, s17, v12, v86
	s_delay_alu instid0(VALU_DEP_1) | instskip(SKIP_1) | instid1(VALU_DEP_1)
	v_add_co_ci_u32_e64 v69, s17, 0, v13, s17
	v_add_co_u32 v70, s17, v12, v85
	v_add_co_ci_u32_e64 v71, s17, 0, v13, s17
	s_mov_b32 s17, exec_lo
	v_cmpx_lt_u32_e64 v10, v11
	s_cbranch_execz .LBB400_95
; %bb.111:                              ;   in Loop: Header=BB400_96 Depth=1
	s_barrier
	buffer_gl0_inv
	s_clause 0x3
	flat_store_b8 v[64:65], v83
	flat_store_b8 v[66:67], v102
	;; [unrolled: 1-line block ×4, first 2 shown]
	s_waitcnt lgkmcnt(0)
	s_waitcnt_vscnt null, 0x0
	s_barrier
	buffer_gl0_inv
	s_clause 0x3
	flat_load_u8 v83, v[34:35]
	flat_load_u8 v97, v[34:35] offset:32
	flat_load_u8 v98, v[34:35] offset:64
	;; [unrolled: 1-line block ×3, first 2 shown]
	v_mad_u64_u32 v[18:19], null, v100, 7, v[64:65]
	v_mad_u64_u32 v[20:21], null, v96, 7, v[66:67]
	;; [unrolled: 1-line block ×4, first 2 shown]
	s_waitcnt vmcnt(0) lgkmcnt(0)
	s_barrier
	buffer_gl0_inv
	s_clause 0x3
	flat_store_b64 v[18:19], v[52:53]
	flat_store_b64 v[20:21], v[50:51]
	;; [unrolled: 1-line block ×4, first 2 shown]
	s_waitcnt lgkmcnt(0)
	s_waitcnt_vscnt null, 0x0
	s_barrier
	buffer_gl0_inv
	s_clause 0x3
	flat_load_b64 v[18:19], v[38:39]
	flat_load_b64 v[20:21], v[38:39] offset:256
	flat_load_b64 v[22:23], v[38:39] offset:512
	;; [unrolled: 1-line block ×3, first 2 shown]
	v_add_nc_u32_e32 v84, -8, v84
	s_xor_b32 s18, exec_lo, -1
	s_waitcnt vmcnt(0) lgkmcnt(0)
	s_barrier
	buffer_gl0_inv
	v_lshlrev_b16 v97, 8, v97
	v_lshlrev_b16 v99, 8, v99
	s_delay_alu instid0(VALU_DEP_2) | instskip(NEXT) | instid1(VALU_DEP_2)
	v_or_b32_e32 v83, v83, v97
	v_or_b32_e32 v97, v98, v99
	s_delay_alu instid0(VALU_DEP_2) | instskip(NEXT) | instid1(VALU_DEP_2)
	v_and_b32_e32 v83, 0xffff, v83
	v_lshlrev_b32_e32 v97, 16, v97
	s_delay_alu instid0(VALU_DEP_1)
	v_or_b32_e32 v83, v83, v97
	s_branch .LBB400_95
.LBB400_112:
	flat_load_b64 v[18:19], v[4:5]
	s_or_b32 exec_lo, exec_lo, s7
                                        ; implicit-def: $vgpr20_vgpr21
	s_and_saveexec_b32 s7, s0
	s_cbranch_execz .LBB400_20
.LBB400_113:
	flat_load_b64 v[20:21], v[4:5] offset:256
	s_or_b32 exec_lo, exec_lo, s7
                                        ; implicit-def: $vgpr22_vgpr23
	s_and_saveexec_b32 s0, s1
	s_cbranch_execz .LBB400_21
.LBB400_114:
	flat_load_b64 v[22:23], v[4:5] offset:512
	s_or_b32 exec_lo, exec_lo, s0
                                        ; implicit-def: $vgpr24_vgpr25
	s_and_saveexec_b32 s0, s2
	s_cbranch_execz .LBB400_22
.LBB400_115:
	flat_load_b64 v[24:25], v[4:5] offset:768
	s_or_b32 exec_lo, exec_lo, s0
                                        ; implicit-def: $vgpr84_vgpr85
	s_and_saveexec_b32 s0, s3
	s_cbranch_execz .LBB400_23
.LBB400_116:
	flat_load_b64 v[84:85], v[4:5] offset:1024
	s_or_b32 exec_lo, exec_lo, s0
                                        ; implicit-def: $vgpr86_vgpr87
	s_and_saveexec_b32 s0, s4
	s_cbranch_execz .LBB400_24
.LBB400_117:
	flat_load_b64 v[86:87], v[4:5] offset:1280
	s_or_b32 exec_lo, exec_lo, s0
                                        ; implicit-def: $vgpr96_vgpr97
	s_and_saveexec_b32 s0, s5
	s_cbranch_execz .LBB400_25
.LBB400_118:
	flat_load_b64 v[96:97], v[4:5] offset:1536
	s_or_b32 exec_lo, exec_lo, s0
                                        ; implicit-def: $vgpr98_vgpr99
	s_and_saveexec_b32 s0, s6
	s_cbranch_execnz .LBB400_26
	s_branch .LBB400_27
.LBB400_119:
	flat_store_b64 v[0:1], v[21:22]
	s_or_b32 exec_lo, exec_lo, s7
	s_and_saveexec_b32 s7, s2
	s_cbranch_execz .LBB400_71
.LBB400_120:
	flat_store_b64 v[0:1], v[19:20] offset:2048
	s_or_b32 exec_lo, exec_lo, s7
	s_and_saveexec_b32 s2, s6
	s_cbranch_execz .LBB400_72
.LBB400_121:
	v_add_co_u32 v2, vcc_lo, 0x1000, v0
	v_add_co_ci_u32_e32 v3, vcc_lo, 0, v1, vcc_lo
	flat_store_b64 v[2:3], v[17:18]
	s_or_b32 exec_lo, exec_lo, s2
	s_and_saveexec_b32 s2, s5
	s_cbranch_execz .LBB400_73
.LBB400_122:
	v_add_co_u32 v2, vcc_lo, 0x1000, v0
	v_add_co_ci_u32_e32 v3, vcc_lo, 0, v1, vcc_lo
	flat_store_b64 v[2:3], v[15:16] offset:2048
	s_or_b32 exec_lo, exec_lo, s2
	s_and_saveexec_b32 s2, s4
	s_cbranch_execz .LBB400_74
.LBB400_123:
	v_add_co_u32 v2, vcc_lo, 0x2000, v0
	v_add_co_ci_u32_e32 v3, vcc_lo, 0, v1, vcc_lo
	flat_store_b64 v[2:3], v[13:14]
	s_or_b32 exec_lo, exec_lo, s2
	s_and_saveexec_b32 s2, s3
	s_cbranch_execz .LBB400_75
.LBB400_124:
	v_add_co_u32 v2, vcc_lo, 0x2000, v0
	v_add_co_ci_u32_e32 v3, vcc_lo, 0, v1, vcc_lo
	flat_store_b64 v[2:3], v[11:12] offset:2048
	s_or_b32 exec_lo, exec_lo, s2
	s_and_saveexec_b32 s2, s1
	s_cbranch_execz .LBB400_76
.LBB400_125:
	v_add_co_u32 v2, vcc_lo, 0x3000, v0
	v_add_co_ci_u32_e32 v3, vcc_lo, 0, v1, vcc_lo
	flat_store_b64 v[2:3], v[9:10]
	s_or_b32 exec_lo, exec_lo, s2
	s_and_saveexec_b32 s1, s0
	s_cbranch_execnz .LBB400_77
	s_branch .LBB400_78
.LBB400_126:
	s_or_b32 exec_lo, exec_lo, s20
	v_add_co_u32 v4, vcc_lo, v12, v26
	v_add_co_ci_u32_e32 v5, vcc_lo, 0, v13, vcc_lo
	v_mad_u64_u32 v[9:10], null, v100, 7, v[64:65]
	v_mad_u64_u32 v[11:12], null, v96, 7, v[66:67]
	s_delay_alu instid0(VALU_DEP_3)
	v_mad_u64_u32 v[21:22], null, v26, 7, v[4:5]
	v_mad_u64_u32 v[13:14], null, v86, 7, v[68:69]
	s_barrier
	buffer_gl0_inv
	s_clause 0x3
	flat_store_b8 v[64:65], v101
	flat_store_b8 v[66:67], v102
	;; [unrolled: 1-line block ×4, first 2 shown]
	s_waitcnt lgkmcnt(0)
	s_waitcnt_vscnt null, 0x0
	s_barrier
	buffer_gl0_inv
	s_clause 0x3
	flat_load_u8 v18, v[4:5]
	flat_load_u8 v17, v[4:5] offset:256
	flat_load_u8 v16, v[4:5] offset:512
	;; [unrolled: 1-line block ×3, first 2 shown]
	v_mad_u64_u32 v[19:20], null, v85, 7, v[70:71]
	v_add_co_u32 v4, vcc_lo, 0x1000, v21
	v_add_co_ci_u32_e32 v5, vcc_lo, 0, v22, vcc_lo
	s_waitcnt vmcnt(0) lgkmcnt(0)
	s_barrier
	buffer_gl0_inv
	s_clause 0x3
	flat_store_b64 v[9:10], v[52:53]
	flat_store_b64 v[11:12], v[50:51]
	;; [unrolled: 1-line block ×4, first 2 shown]
	s_waitcnt lgkmcnt(0)
	s_waitcnt_vscnt null, 0x0
	s_barrier
	buffer_gl0_inv
	s_clause 0x3
	flat_load_b64 v[13:14], v[21:22]
	flat_load_b64 v[11:12], v[21:22] offset:2048
	flat_load_b64 v[9:10], v[4:5]
	flat_load_b64 v[4:5], v[4:5] offset:2048
	v_add_co_u32 v2, vcc_lo, v2, v8
	v_add_co_ci_u32_e32 v3, vcc_lo, 0, v3, vcc_lo
	v_mov_b32_e32 v28, 0
	s_delay_alu instid0(VALU_DEP_3) | instskip(NEXT) | instid1(VALU_DEP_3)
	v_add_co_u32 v2, vcc_lo, v2, v27
	v_add_co_ci_u32_e32 v3, vcc_lo, 0, v3, vcc_lo
	v_cmp_lt_u32_e32 vcc_lo, v27, v134
	s_waitcnt vmcnt(0) lgkmcnt(0)
	s_barrier
	buffer_gl0_inv
	s_and_saveexec_b32 s0, vcc_lo
	s_cbranch_execz .LBB400_128
; %bb.127:
	v_xor_b32_e32 v8, 0x80, v18
	flat_store_b8 v[2:3], v8
.LBB400_128:
	s_or_b32 exec_lo, exec_lo, s0
	v_add_nc_u32_e32 v8, 0x100, v27
	s_delay_alu instid0(VALU_DEP_1) | instskip(NEXT) | instid1(VALU_DEP_1)
	v_cmp_lt_u32_e64 s0, v8, v134
	s_and_saveexec_b32 s1, s0
	s_cbranch_execz .LBB400_130
; %bb.129:
	v_xor_b32_e32 v8, 0x80, v17
	flat_store_b8 v[2:3], v8 offset:256
.LBB400_130:
	s_or_b32 exec_lo, exec_lo, s1
	v_add_nc_u32_e32 v8, 0x200, v27
	s_delay_alu instid0(VALU_DEP_1) | instskip(NEXT) | instid1(VALU_DEP_1)
	v_cmp_lt_u32_e64 s2, v8, v134
	s_and_saveexec_b32 s1, s2
	s_cbranch_execz .LBB400_132
; %bb.131:
	v_xor_b32_e32 v8, 0x80, v16
	flat_store_b8 v[2:3], v8 offset:512
.LBB400_132:
	;; [unrolled: 10-line block ×3, first 2 shown]
	s_or_b32 exec_lo, exec_lo, s3
	v_lshlrev_b64 v[2:3], 3, v[27:28]
	v_add_co_u32 v0, s3, v6, v0
	s_delay_alu instid0(VALU_DEP_1) | instskip(NEXT) | instid1(VALU_DEP_2)
	v_add_co_ci_u32_e64 v1, s3, v7, v1, s3
	v_add_co_u32 v0, s3, v0, v2
	s_delay_alu instid0(VALU_DEP_1)
	v_add_co_ci_u32_e64 v1, s3, v1, v3, s3
	s_and_saveexec_b32 s3, vcc_lo
	s_cbranch_execnz .LBB400_167
; %bb.135:
	s_or_b32 exec_lo, exec_lo, s3
	s_and_saveexec_b32 s3, s0
	s_cbranch_execnz .LBB400_168
.LBB400_136:
	s_or_b32 exec_lo, exec_lo, s3
	s_and_saveexec_b32 s0, s2
	s_cbranch_execnz .LBB400_169
.LBB400_137:
	s_or_b32 exec_lo, exec_lo, s0
	s_and_saveexec_b32 s0, s1
	s_cbranch_execz .LBB400_139
.LBB400_138:
	v_add_co_u32 v0, vcc_lo, 0x1000, v0
	v_add_co_ci_u32_e32 v1, vcc_lo, 0, v1, vcc_lo
	flat_store_b64 v[0:1], v[4:5] offset:2048
.LBB400_139:
	s_or_b32 exec_lo, exec_lo, s0
                                        ; implicit-def: $vgpr134
                                        ; implicit-def: $vgpr0
                                        ; implicit-def: $vgpr1
                                        ; implicit-def: $vgpr2
                                        ; implicit-def: $vgpr3
                                        ; implicit-def: $vgpr4
                                        ; implicit-def: $vgpr5
                                        ; implicit-def: $vgpr6
                                        ; implicit-def: $vgpr7
                                        ; implicit-def: $vgpr8
                                        ; implicit-def: $vgpr10
                                        ; implicit-def: $vgpr11
                                        ; implicit-def: $vgpr12
                                        ; implicit-def: $vgpr13
                                        ; implicit-def: $vgpr14
                                        ; implicit-def: $vgpr15
                                        ; implicit-def: $vgpr26
                                        ; implicit-def: $vgpr16
.LBB400_140:
	s_and_not1_saveexec_b32 s0, s19
	s_cbranch_execz .LBB400_199
; %bb.141:
	s_load_b64 s[0:1], s[8:9], 0x0
	v_mov_b32_e32 v9, 0
	s_waitcnt lgkmcnt(0)
	s_cmp_lt_u32 s13, s1
	s_cselect_b32 s1, 14, 20
	s_delay_alu instid0(SALU_CYCLE_1) | instskip(SKIP_4) | instid1(SALU_CYCLE_1)
	s_add_u32 s2, s8, s1
	s_addc_u32 s3, s9, 0
	s_cmp_lt_u32 s12, s0
	global_load_u16 v17, v9, s[2:3]
	s_cselect_b32 s0, 12, 18
	s_add_u32 s0, s8, s0
	s_addc_u32 s1, s9, 0
	global_load_u16 v18, v9, s[0:1]
	s_mov_b32 s0, exec_lo
	s_waitcnt vmcnt(1)
	v_mad_u32_u24 v14, v15, v17, v14
	s_waitcnt vmcnt(0)
	s_delay_alu instid0(VALU_DEP_1)
	v_mad_u64_u32 v[27:28], null, v14, v18, v[26:27]
	v_cmpx_lt_u32_e32 0x100, v134
	s_xor_b32 s15, exec_lo, s0
	s_cbranch_execz .LBB400_179
; %bb.142:
	s_delay_alu instid0(VALU_DEP_2) | instskip(SKIP_2) | instid1(VALU_DEP_3)
	v_dual_mov_b32 v15, v9 :: v_dual_lshlrev_b32 v14, 1, v27
	v_add_co_u32 v0, vcc_lo, v0, v8
	v_add_co_ci_u32_e32 v1, vcc_lo, 0, v1, vcc_lo
	v_and_b32_e32 v14, 0xffffffc0, v14
	s_delay_alu instid0(VALU_DEP_3) | instskip(NEXT) | instid1(VALU_DEP_3)
	v_add_co_u32 v0, vcc_lo, v0, v16
	v_add_co_ci_u32_e32 v1, vcc_lo, 0, v1, vcc_lo
	s_delay_alu instid0(VALU_DEP_3) | instskip(NEXT) | instid1(VALU_DEP_3)
	v_or_b32_e32 v18, v16, v14
	v_add_co_u32 v0, vcc_lo, v0, v14
	s_delay_alu instid0(VALU_DEP_3) | instskip(NEXT) | instid1(VALU_DEP_3)
	v_add_co_ci_u32_e32 v1, vcc_lo, 0, v1, vcc_lo
	v_cmp_lt_u32_e32 vcc_lo, v18, v134
	v_dual_mov_b32 v17, 0x7f :: v_dual_mov_b32 v22, 0x7f
	s_and_saveexec_b32 s0, vcc_lo
	s_cbranch_execz .LBB400_144
; %bb.143:
	flat_load_u8 v17, v[0:1]
.LBB400_144:
	s_or_b32 exec_lo, exec_lo, s0
	v_or_b32_e32 v18, 32, v18
	s_delay_alu instid0(VALU_DEP_1) | instskip(NEXT) | instid1(VALU_DEP_1)
	v_cmp_lt_u32_e64 s0, v18, v134
	s_and_saveexec_b32 s1, s0
	s_cbranch_execz .LBB400_146
; %bb.145:
	flat_load_u8 v22, v[0:1] offset:32
.LBB400_146:
	s_or_b32 exec_lo, exec_lo, s1
	v_lshlrev_b64 v[0:1], 3, v[8:9]
	v_lshlrev_b32_e32 v9, 3, v16
	s_delay_alu instid0(VALU_DEP_2) | instskip(NEXT) | instid1(VALU_DEP_1)
	v_add_co_u32 v18, s1, v4, v0
	v_add_co_ci_u32_e64 v19, s1, v5, v1, s1
	v_lshlrev_b64 v[4:5], 3, v[14:15]
	s_delay_alu instid0(VALU_DEP_3) | instskip(NEXT) | instid1(VALU_DEP_1)
	v_add_co_u32 v9, s1, v18, v9
	v_add_co_ci_u32_e64 v14, s1, 0, v19, s1
                                        ; implicit-def: $vgpr18_vgpr19
	s_delay_alu instid0(VALU_DEP_2) | instskip(NEXT) | instid1(VALU_DEP_1)
	v_add_co_u32 v4, s1, v9, v4
	v_add_co_ci_u32_e64 v5, s1, v14, v5, s1
	s_and_saveexec_b32 s1, vcc_lo
	s_cbranch_execz .LBB400_148
; %bb.147:
	flat_load_b64 v[18:19], v[4:5]
.LBB400_148:
	s_or_b32 exec_lo, exec_lo, s1
                                        ; implicit-def: $vgpr20_vgpr21
	s_and_saveexec_b32 s1, s0
	s_cbranch_execz .LBB400_150
; %bb.149:
	flat_load_b64 v[20:21], v[4:5] offset:256
.LBB400_150:
	s_or_b32 exec_lo, exec_lo, s1
	s_waitcnt vmcnt(0) lgkmcnt(0)
	v_xor_b32_e32 v4, 0x80, v17
	v_xor_b32_e32 v5, 0x80, v22
	s_mov_b32 s16, 0
	v_add_co_u32 v9, vcc_lo, v12, 32
	s_delay_alu instid0(VALU_DEP_3) | instskip(NEXT) | instid1(VALU_DEP_3)
	v_dual_mov_b32 v15, 0 :: v_dual_and_b32 v4, 0xff, v4
	v_lshlrev_b16 v5, 8, v5
	s_mov_b32 s17, s16
	s_mov_b32 s18, s16
	;; [unrolled: 1-line block ×3, first 2 shown]
	v_lshlrev_b32_e32 v14, 5, v26
	v_or_b32_e32 v4, v4, v5
	v_and_b32_e32 v22, 0x3e0, v26
	v_add_co_ci_u32_e32 v64, vcc_lo, 0, v13, vcc_lo
	v_add_nc_u32_e32 v23, -1, v16
	s_delay_alu instid0(VALU_DEP_4)
	v_and_b32_e32 v66, 0xffff, v4
	v_add_co_u32 v4, vcc_lo, v12, v14
	v_add_co_ci_u32_e32 v5, vcc_lo, 0, v13, vcc_lo
	v_add_co_u32 v28, vcc_lo, v9, v14
	v_min_u32_e32 v14, 0xe0, v22
	v_and_b32_e32 v22, 16, v16
	v_and_b32_e32 v17, 15, v16
	v_cmp_gt_i32_e64 s4, 0, v23
	s_getpc_b64 s[0:1]
	s_add_u32 s0, s0, _ZN7rocprim17ROCPRIM_400000_NS16block_radix_sortIaLj256ELj2ElLj1ELj1ELj8ELNS0_26block_radix_rank_algorithmE2ELNS0_18block_padding_hintE2ELNS0_4arch9wavefront6targetE0EE19radix_bits_per_passE@rel32@lo+4
	s_addc_u32 s1, s1, _ZN7rocprim17ROCPRIM_400000_NS16block_radix_sortIaLj256ELj2ElLj1ELj1ELj8ELNS0_26block_radix_rank_algorithmE2ELNS0_18block_padding_hintE2ELNS0_4arch9wavefront6targetE0EE19radix_bits_per_passE@rel32@hi+12
	v_or_b32_e32 v14, 31, v14
	v_cmp_eq_u32_e64 s3, 0, v22
	v_lshrrev_b32_e32 v22, 5, v26
	v_add_co_ci_u32_e32 v29, vcc_lo, 0, v64, vcc_lo
	v_lshlrev_b32_e32 v24, 1, v26
	s_load_b32 s20, s[0:1], 0x0
	v_cmp_eq_u32_e32 vcc_lo, 0, v17
	v_cmp_lt_u32_e64 s0, 1, v17
	v_cmp_lt_u32_e64 s1, 3, v17
	;; [unrolled: 1-line block ×3, first 2 shown]
	v_cndmask_b32_e64 v17, v23, v16, s4
	v_cmp_eq_u32_e64 s4, v14, v26
	v_lshlrev_b32_e32 v14, 2, v22
	v_cmp_eq_u32_e64 s7, 0, v16
	v_and_b32_e32 v23, 7, v16
	v_and_or_b32 v16, 0x7c0, v24, v16
	v_lshlrev_b32_e32 v67, 2, v17
	v_add_co_u32 v30, s9, v12, v14
	v_add_nc_u32_e32 v14, -1, v22
	s_delay_alu instid0(VALU_DEP_4) | instskip(SKIP_2) | instid1(VALU_DEP_4)
	v_add_co_u32 v34, s12, v12, v16
	v_lshlrev_b32_e32 v17, 2, v26
	v_add_co_ci_u32_e64 v35, s12, 0, v13, s12
	v_lshlrev_b64 v[14:15], 2, v[14:15]
	v_add_co_ci_u32_e64 v31, s9, 0, v13, s9
	s_delay_alu instid0(VALU_DEP_4) | instskip(NEXT) | instid1(VALU_DEP_4)
	v_add_co_u32 v32, s9, v12, v17
	v_mad_u64_u32 v[38:39], null, v16, 7, v[34:35]
	s_delay_alu instid0(VALU_DEP_4)
	v_add_co_u32 v36, s12, v12, v14
	v_add_co_ci_u32_e64 v33, s9, 0, v13, s9
	v_add_co_ci_u32_e64 v37, s12, v13, v15, s12
	v_mov_b32_e32 v14, s16
	v_mov_b32_e32 v16, s18
	v_lshrrev_b32_e32 v65, 5, v27
	v_cmp_gt_u32_e64 s5, 8, v26
	v_cmp_lt_u32_e64 s6, 31, v26
	v_cmp_eq_u32_e64 s8, 0, v26
	v_cmp_eq_u32_e64 s9, 0, v23
	v_cmp_lt_u32_e64 s10, 1, v23
	v_cmp_lt_u32_e64 s11, 3, v23
	v_sub_nc_u32_e32 v68, v11, v10
	v_mov_b32_e32 v15, s17
	v_mov_b32_e32 v17, s19
	s_waitcnt lgkmcnt(0)
	s_waitcnt_vscnt null, 0x0
	s_barrier
	buffer_gl0_inv
	s_branch .LBB400_152
.LBB400_151:                            ;   in Loop: Header=BB400_152 Depth=1
	s_or_b32 exec_lo, exec_lo, s13
	s_delay_alu instid0(SALU_CYCLE_1) | instskip(NEXT) | instid1(SALU_CYCLE_1)
	s_and_b32 s12, exec_lo, s14
	s_or_b32 s16, s12, s16
	s_delay_alu instid0(SALU_CYCLE_1)
	s_and_not1_b32 exec_lo, exec_lo, s16
	s_cbranch_execz .LBB400_170
.LBB400_152:                            ; =>This Inner Loop Header: Depth=1
	v_min_u32_e32 v22, s20, v68
	v_and_b32_e32 v23, 0xff, v66
	s_clause 0x1
	flat_store_b128 v[4:5], v[14:17] offset:32
	flat_store_b128 v[28:29], v[14:17] offset:16
	s_waitcnt lgkmcnt(0)
	s_waitcnt_vscnt null, 0x0
	s_barrier
	v_lshlrev_b32_e64 v22, v22, -1
	v_lshrrev_b32_e32 v23, v10, v23
	buffer_gl0_inv
	; wave barrier
	v_not_b32_e32 v22, v22
	s_delay_alu instid0(VALU_DEP_1) | instskip(NEXT) | instid1(VALU_DEP_1)
	v_and_b32_e32 v23, v23, v22
	v_and_b32_e32 v24, 1, v23
	v_lshlrev_b32_e32 v25, 30, v23
	v_lshlrev_b32_e32 v48, 29, v23
	;; [unrolled: 1-line block ×4, first 2 shown]
	v_add_co_u32 v24, s12, v24, -1
	s_delay_alu instid0(VALU_DEP_1)
	v_cndmask_b32_e64 v50, 0, 1, s12
	v_not_b32_e32 v54, v25
	v_cmp_gt_i32_e64 s13, 0, v25
	v_not_b32_e32 v25, v48
	v_lshlrev_b32_e32 v52, 26, v23
	v_cmp_ne_u32_e64 s12, 0, v50
	v_ashrrev_i32_e32 v54, 31, v54
	v_lshlrev_b32_e32 v53, 25, v23
	v_ashrrev_i32_e32 v25, 31, v25
	v_lshlrev_b32_e32 v50, 24, v23
	v_xor_b32_e32 v24, s12, v24
	v_cmp_gt_i32_e64 s12, 0, v48
	v_not_b32_e32 v48, v49
	v_xor_b32_e32 v54, s13, v54
	v_cmp_gt_i32_e64 s13, 0, v49
	v_and_b32_e32 v24, exec_lo, v24
	v_not_b32_e32 v49, v51
	v_ashrrev_i32_e32 v48, 31, v48
	v_xor_b32_e32 v25, s12, v25
	v_cmp_gt_i32_e64 s12, 0, v51
	v_and_b32_e32 v24, v24, v54
	v_not_b32_e32 v51, v52
	v_ashrrev_i32_e32 v49, 31, v49
	v_xor_b32_e32 v48, s13, v48
	v_cmp_gt_i32_e64 s13, 0, v52
	v_and_b32_e32 v24, v24, v25
	;; [unrolled: 5-line block ×4, first 2 shown]
	v_ashrrev_i32_e32 v48, 31, v48
	v_xor_b32_e32 v25, s12, v25
	s_delay_alu instid0(VALU_DEP_3) | instskip(NEXT) | instid1(VALU_DEP_3)
	v_and_b32_e32 v24, v24, v51
	v_xor_b32_e32 v50, s13, v48
	v_dual_mov_b32 v49, v21 :: v_dual_mov_b32 v48, v20
	s_delay_alu instid0(VALU_DEP_3) | instskip(NEXT) | instid1(VALU_DEP_1)
	v_and_b32_e32 v24, v24, v25
	v_dual_mov_b32 v51, v19 :: v_dual_and_b32 v20, v24, v50
	v_mov_b32_e32 v50, v18
	v_lshlrev_b32_e32 v18, 3, v23
	s_delay_alu instid0(VALU_DEP_3) | instskip(SKIP_1) | instid1(VALU_DEP_3)
	v_mbcnt_lo_u32_b32 v70, v20, 0
	v_cmp_ne_u32_e64 s12, 0, v20
	v_add_lshl_u32 v18, v18, v65, 2
	s_delay_alu instid0(VALU_DEP_3) | instskip(NEXT) | instid1(VALU_DEP_2)
	v_cmp_eq_u32_e64 s13, 0, v70
	v_add_co_u32 v52, s14, v9, v18
	s_delay_alu instid0(VALU_DEP_1) | instskip(NEXT) | instid1(VALU_DEP_3)
	v_add_co_ci_u32_e64 v53, s14, 0, v64, s14
	s_and_b32 s13, s12, s13
	s_delay_alu instid0(SALU_CYCLE_1)
	s_and_saveexec_b32 s12, s13
	s_cbranch_execz .LBB400_154
; %bb.153:                              ;   in Loop: Header=BB400_152 Depth=1
	v_bcnt_u32_b32 v18, v20, 0
	flat_store_b32 v[52:53], v18
.LBB400_154:                            ;   in Loop: Header=BB400_152 Depth=1
	s_or_b32 exec_lo, exec_lo, s12
	v_lshrrev_b16 v69, 8, v66
	; wave barrier
	s_delay_alu instid0(VALU_DEP_1) | instskip(NEXT) | instid1(VALU_DEP_1)
	v_and_b32_e32 v18, 0xffff, v69
	v_lshrrev_b32_e32 v18, v10, v18
	s_delay_alu instid0(VALU_DEP_1) | instskip(NEXT) | instid1(VALU_DEP_1)
	v_and_b32_e32 v18, v18, v22
	v_lshlrev_b32_e32 v19, 3, v18
	v_lshlrev_b32_e32 v21, 30, v18
	;; [unrolled: 1-line block ×4, first 2 shown]
	s_delay_alu instid0(VALU_DEP_4) | instskip(NEXT) | instid1(VALU_DEP_1)
	v_add_lshl_u32 v19, v19, v65, 2
	v_add_co_u32 v54, s12, v9, v19
	s_delay_alu instid0(VALU_DEP_1) | instskip(SKIP_3) | instid1(VALU_DEP_1)
	v_add_co_ci_u32_e64 v55, s12, 0, v64, s12
	v_and_b32_e32 v19, 1, v18
	flat_load_b32 v71, v[54:55]
	v_add_co_u32 v19, s12, v19, -1
	v_cndmask_b32_e64 v20, 0, 1, s12
	; wave barrier
	s_delay_alu instid0(VALU_DEP_1) | instskip(SKIP_1) | instid1(VALU_DEP_2)
	v_cmp_ne_u32_e64 s12, 0, v20
	v_not_b32_e32 v20, v21
	v_xor_b32_e32 v19, s12, v19
	v_cmp_gt_i32_e64 s12, 0, v21
	s_delay_alu instid0(VALU_DEP_3) | instskip(SKIP_1) | instid1(VALU_DEP_4)
	v_ashrrev_i32_e32 v20, 31, v20
	v_not_b32_e32 v21, v22
	v_and_b32_e32 v19, exec_lo, v19
	s_delay_alu instid0(VALU_DEP_3) | instskip(SKIP_1) | instid1(VALU_DEP_4)
	v_xor_b32_e32 v20, s12, v20
	v_cmp_gt_i32_e64 s12, 0, v22
	v_ashrrev_i32_e32 v21, 31, v21
	v_not_b32_e32 v22, v23
	s_delay_alu instid0(VALU_DEP_4) | instskip(SKIP_1) | instid1(VALU_DEP_4)
	v_and_b32_e32 v19, v19, v20
	v_lshlrev_b32_e32 v20, 27, v18
	v_xor_b32_e32 v21, s12, v21
	v_cmp_gt_i32_e64 s12, 0, v23
	v_ashrrev_i32_e32 v22, 31, v22
	s_delay_alu instid0(VALU_DEP_4) | instskip(NEXT) | instid1(VALU_DEP_4)
	v_not_b32_e32 v23, v20
	v_and_b32_e32 v19, v19, v21
	v_lshlrev_b32_e32 v21, 26, v18
	s_delay_alu instid0(VALU_DEP_4) | instskip(SKIP_2) | instid1(VALU_DEP_4)
	v_xor_b32_e32 v22, s12, v22
	v_cmp_gt_i32_e64 s12, 0, v20
	v_ashrrev_i32_e32 v20, 31, v23
	v_not_b32_e32 v23, v21
	s_delay_alu instid0(VALU_DEP_4) | instskip(SKIP_1) | instid1(VALU_DEP_4)
	v_and_b32_e32 v19, v19, v22
	v_lshlrev_b32_e32 v22, 25, v18
	v_xor_b32_e32 v20, s12, v20
	v_cmp_gt_i32_e64 s12, 0, v21
	v_ashrrev_i32_e32 v21, 31, v23
	v_lshlrev_b32_e32 v18, 24, v18
	v_not_b32_e32 v23, v22
	v_and_b32_e32 v19, v19, v20
	s_delay_alu instid0(VALU_DEP_4) | instskip(SKIP_1) | instid1(VALU_DEP_4)
	v_xor_b32_e32 v20, s12, v21
	v_cmp_gt_i32_e64 s12, 0, v22
	v_ashrrev_i32_e32 v21, 31, v23
	v_not_b32_e32 v22, v18
	s_delay_alu instid0(VALU_DEP_4) | instskip(NEXT) | instid1(VALU_DEP_3)
	v_and_b32_e32 v19, v19, v20
	v_xor_b32_e32 v20, s12, v21
	v_cmp_gt_i32_e64 s12, 0, v18
	s_delay_alu instid0(VALU_DEP_4) | instskip(NEXT) | instid1(VALU_DEP_3)
	v_ashrrev_i32_e32 v18, 31, v22
	v_and_b32_e32 v19, v19, v20
	s_delay_alu instid0(VALU_DEP_2) | instskip(NEXT) | instid1(VALU_DEP_1)
	v_xor_b32_e32 v18, s12, v18
	v_and_b32_e32 v18, v19, v18
	s_delay_alu instid0(VALU_DEP_1) | instskip(SKIP_1) | instid1(VALU_DEP_2)
	v_mbcnt_lo_u32_b32 v80, v18, 0
	v_cmp_ne_u32_e64 s13, 0, v18
	v_cmp_eq_u32_e64 s12, 0, v80
	s_delay_alu instid0(VALU_DEP_1) | instskip(NEXT) | instid1(SALU_CYCLE_1)
	s_and_b32 s13, s13, s12
	s_and_saveexec_b32 s12, s13
	s_cbranch_execz .LBB400_156
; %bb.155:                              ;   in Loop: Header=BB400_152 Depth=1
	s_waitcnt vmcnt(0) lgkmcnt(0)
	v_bcnt_u32_b32 v18, v18, v71
	flat_store_b32 v[54:55], v18
.LBB400_156:                            ;   in Loop: Header=BB400_152 Depth=1
	s_or_b32 exec_lo, exec_lo, s12
	; wave barrier
	s_waitcnt vmcnt(0) lgkmcnt(0)
	s_waitcnt_vscnt null, 0x0
	s_barrier
	buffer_gl0_inv
	s_clause 0x1
	flat_load_b128 v[22:25], v[4:5] offset:32
	flat_load_b128 v[18:21], v[28:29] offset:16
	s_waitcnt vmcnt(1) lgkmcnt(1)
	v_add_nc_u32_e32 v81, v23, v22
	s_delay_alu instid0(VALU_DEP_1) | instskip(SKIP_1) | instid1(VALU_DEP_1)
	v_add3_u32 v81, v81, v24, v25
	s_waitcnt vmcnt(0) lgkmcnt(0)
	v_add3_u32 v81, v81, v18, v19
	s_delay_alu instid0(VALU_DEP_1) | instskip(NEXT) | instid1(VALU_DEP_1)
	v_add3_u32 v21, v81, v20, v21
	v_mov_b32_dpp v81, v21 row_shr:1 row_mask:0xf bank_mask:0xf
	s_delay_alu instid0(VALU_DEP_1) | instskip(NEXT) | instid1(VALU_DEP_1)
	v_cndmask_b32_e64 v81, v81, 0, vcc_lo
	v_add_nc_u32_e32 v21, v81, v21
	s_delay_alu instid0(VALU_DEP_1) | instskip(NEXT) | instid1(VALU_DEP_1)
	v_mov_b32_dpp v81, v21 row_shr:2 row_mask:0xf bank_mask:0xf
	v_cndmask_b32_e64 v81, 0, v81, s0
	s_delay_alu instid0(VALU_DEP_1) | instskip(NEXT) | instid1(VALU_DEP_1)
	v_add_nc_u32_e32 v21, v21, v81
	v_mov_b32_dpp v81, v21 row_shr:4 row_mask:0xf bank_mask:0xf
	s_delay_alu instid0(VALU_DEP_1) | instskip(NEXT) | instid1(VALU_DEP_1)
	v_cndmask_b32_e64 v81, 0, v81, s1
	v_add_nc_u32_e32 v21, v21, v81
	s_delay_alu instid0(VALU_DEP_1) | instskip(NEXT) | instid1(VALU_DEP_1)
	v_mov_b32_dpp v81, v21 row_shr:8 row_mask:0xf bank_mask:0xf
	v_cndmask_b32_e64 v81, 0, v81, s2
	s_delay_alu instid0(VALU_DEP_1) | instskip(SKIP_3) | instid1(VALU_DEP_1)
	v_add_nc_u32_e32 v21, v21, v81
	ds_swizzle_b32 v81, v21 offset:swizzle(BROADCAST,32,15)
	s_waitcnt lgkmcnt(0)
	v_cndmask_b32_e64 v81, v81, 0, s3
	v_add_nc_u32_e32 v21, v21, v81
	s_and_saveexec_b32 s12, s4
	s_cbranch_execz .LBB400_158
; %bb.157:                              ;   in Loop: Header=BB400_152 Depth=1
	flat_store_b32 v[30:31], v21
.LBB400_158:                            ;   in Loop: Header=BB400_152 Depth=1
	s_or_b32 exec_lo, exec_lo, s12
	s_waitcnt lgkmcnt(0)
	s_waitcnt_vscnt null, 0x0
	s_barrier
	buffer_gl0_inv
	s_and_saveexec_b32 s12, s5
	s_cbranch_execz .LBB400_160
; %bb.159:                              ;   in Loop: Header=BB400_152 Depth=1
	flat_load_b32 v81, v[32:33]
	s_waitcnt vmcnt(0) lgkmcnt(0)
	v_mov_b32_dpp v82, v81 row_shr:1 row_mask:0xf bank_mask:0xf
	s_delay_alu instid0(VALU_DEP_1) | instskip(NEXT) | instid1(VALU_DEP_1)
	v_cndmask_b32_e64 v82, v82, 0, s9
	v_add_nc_u32_e32 v81, v82, v81
	s_delay_alu instid0(VALU_DEP_1) | instskip(NEXT) | instid1(VALU_DEP_1)
	v_mov_b32_dpp v82, v81 row_shr:2 row_mask:0xf bank_mask:0xf
	v_cndmask_b32_e64 v82, 0, v82, s10
	s_delay_alu instid0(VALU_DEP_1) | instskip(NEXT) | instid1(VALU_DEP_1)
	v_add_nc_u32_e32 v81, v81, v82
	v_mov_b32_dpp v82, v81 row_shr:4 row_mask:0xf bank_mask:0xf
	s_delay_alu instid0(VALU_DEP_1) | instskip(NEXT) | instid1(VALU_DEP_1)
	v_cndmask_b32_e64 v82, 0, v82, s11
	v_add_nc_u32_e32 v81, v81, v82
	flat_store_b32 v[32:33], v81
.LBB400_160:                            ;   in Loop: Header=BB400_152 Depth=1
	s_or_b32 exec_lo, exec_lo, s12
	v_mov_b32_e32 v81, 0
	s_waitcnt lgkmcnt(0)
	s_waitcnt_vscnt null, 0x0
	s_barrier
	buffer_gl0_inv
	s_and_saveexec_b32 s12, s6
	s_cbranch_execz .LBB400_162
; %bb.161:                              ;   in Loop: Header=BB400_152 Depth=1
	flat_load_b32 v81, v[36:37]
.LBB400_162:                            ;   in Loop: Header=BB400_152 Depth=1
	s_or_b32 exec_lo, exec_lo, s12
	s_waitcnt vmcnt(0) lgkmcnt(0)
	v_add_nc_u32_e32 v21, v81, v21
	v_add_nc_u32_e32 v10, 8, v10
	s_mov_b32 s14, -1
	ds_bpermute_b32 v21, v67, v21
	s_waitcnt lgkmcnt(0)
	v_cndmask_b32_e64 v21, v21, v81, s7
	s_delay_alu instid0(VALU_DEP_1) | instskip(NEXT) | instid1(VALU_DEP_1)
	v_cndmask_b32_e64 v21, v21, 0, s8
	v_add_nc_u32_e32 v22, v21, v22
	s_delay_alu instid0(VALU_DEP_1) | instskip(NEXT) | instid1(VALU_DEP_1)
	v_add_nc_u32_e32 v23, v22, v23
	v_add_nc_u32_e32 v24, v23, v24
	s_delay_alu instid0(VALU_DEP_1) | instskip(NEXT) | instid1(VALU_DEP_1)
	v_add_nc_u32_e32 v81, v24, v25
	;; [unrolled: 3-line block ×3, first 2 shown]
	v_add_nc_u32_e32 v84, v83, v20
	s_clause 0x1
	flat_store_b128 v[4:5], v[21:24] offset:32
	flat_store_b128 v[28:29], v[81:84] offset:16
	s_waitcnt lgkmcnt(0)
	s_waitcnt_vscnt null, 0x0
	s_barrier
	buffer_gl0_inv
	s_clause 0x1
	flat_load_b32 v18, v[52:53]
	flat_load_b32 v19, v[54:55]
	v_mov_b32_e32 v54, v66
	s_waitcnt vmcnt(0) lgkmcnt(0)
	s_waitcnt_vscnt null, 0x0
                                        ; implicit-def: $vgpr20_vgpr21
	s_waitcnt vmcnt(1) lgkmcnt(1)
	v_add_nc_u32_e32 v52, v18, v70
	s_waitcnt vmcnt(0) lgkmcnt(0)
	v_add3_u32 v53, v80, v71, v19
                                        ; implicit-def: $vgpr18_vgpr19
	s_delay_alu instid0(VALU_DEP_2) | instskip(NEXT) | instid1(VALU_DEP_1)
	v_add_co_u32 v22, s13, v12, v52
	v_add_co_ci_u32_e64 v23, s13, 0, v13, s13
	s_delay_alu instid0(VALU_DEP_3) | instskip(NEXT) | instid1(VALU_DEP_1)
	v_add_co_u32 v24, s13, v12, v53
	v_add_co_ci_u32_e64 v25, s13, 0, v13, s13
	s_mov_b32 s13, exec_lo
	v_cmpx_lt_u32_e64 v10, v11
	s_cbranch_execz .LBB400_151
; %bb.163:                              ;   in Loop: Header=BB400_152 Depth=1
	s_barrier
	buffer_gl0_inv
	s_clause 0x1
	flat_store_b8 v[22:23], v66
	flat_store_b8 v[24:25], v69
	s_waitcnt lgkmcnt(0)
	s_waitcnt_vscnt null, 0x0
	s_barrier
	buffer_gl0_inv
	s_clause 0x1
	flat_load_u8 v55, v[34:35] offset:32
	flat_load_u8 v66, v[34:35]
	v_mad_u64_u32 v[18:19], null, v52, 7, v[22:23]
	v_mad_u64_u32 v[20:21], null, v53, 7, v[24:25]
	s_waitcnt vmcnt(0) lgkmcnt(0)
	s_barrier
	buffer_gl0_inv
	s_clause 0x1
	flat_store_b64 v[18:19], v[50:51]
	flat_store_b64 v[20:21], v[48:49]
	s_waitcnt lgkmcnt(0)
	s_waitcnt_vscnt null, 0x0
	s_barrier
	buffer_gl0_inv
	s_clause 0x1
	flat_load_b64 v[18:19], v[38:39]
	flat_load_b64 v[20:21], v[38:39] offset:256
	v_add_nc_u32_e32 v68, -8, v68
	s_xor_b32 s14, exec_lo, -1
	s_waitcnt vmcnt(0) lgkmcnt(0)
	s_barrier
	buffer_gl0_inv
	v_lshlrev_b16 v55, 8, v55
	s_delay_alu instid0(VALU_DEP_1) | instskip(NEXT) | instid1(VALU_DEP_1)
	v_or_b32_e32 v55, v66, v55
	v_and_b32_e32 v66, 0xffff, v55
	s_branch .LBB400_151
.LBB400_164:
	flat_load_b64 v[18:19], v[4:5]
	s_or_b32 exec_lo, exec_lo, s3
                                        ; implicit-def: $vgpr20_vgpr21
	s_and_saveexec_b32 s3, s0
	s_cbranch_execz .LBB400_91
.LBB400_165:
	flat_load_b64 v[20:21], v[4:5] offset:256
	s_or_b32 exec_lo, exec_lo, s3
                                        ; implicit-def: $vgpr22_vgpr23
	s_and_saveexec_b32 s0, s1
	s_cbranch_execz .LBB400_92
.LBB400_166:
	flat_load_b64 v[22:23], v[4:5] offset:512
	s_or_b32 exec_lo, exec_lo, s0
                                        ; implicit-def: $vgpr24_vgpr25
	s_and_saveexec_b32 s0, s2
	s_cbranch_execnz .LBB400_93
	s_branch .LBB400_94
.LBB400_167:
	flat_store_b64 v[0:1], v[13:14]
	s_or_b32 exec_lo, exec_lo, s3
	s_and_saveexec_b32 s3, s0
	s_cbranch_execz .LBB400_136
.LBB400_168:
	flat_store_b64 v[0:1], v[11:12] offset:2048
	s_or_b32 exec_lo, exec_lo, s3
	s_and_saveexec_b32 s0, s2
	s_cbranch_execz .LBB400_137
.LBB400_169:
	v_add_co_u32 v2, vcc_lo, 0x1000, v0
	v_add_co_ci_u32_e32 v3, vcc_lo, 0, v1, vcc_lo
	flat_store_b64 v[2:3], v[9:10]
	s_or_b32 exec_lo, exec_lo, s0
	s_and_saveexec_b32 s0, s1
	s_cbranch_execnz .LBB400_138
	s_branch .LBB400_139
.LBB400_170:
	s_or_b32 exec_lo, exec_lo, s16
	v_add_co_u32 v4, vcc_lo, v12, v26
	v_add_co_ci_u32_e32 v5, vcc_lo, 0, v13, vcc_lo
	v_mad_u64_u32 v[9:10], null, v52, 7, v[22:23]
	v_mad_u64_u32 v[13:14], null, v53, 7, v[24:25]
	s_delay_alu instid0(VALU_DEP_3)
	v_mad_u64_u32 v[15:16], null, v26, 7, v[4:5]
	s_barrier
	buffer_gl0_inv
	s_clause 0x1
	flat_store_b8 v[22:23], v54
	flat_store_b8 v[24:25], v69
	s_waitcnt lgkmcnt(0)
	s_waitcnt_vscnt null, 0x0
	s_barrier
	buffer_gl0_inv
	s_clause 0x1
	flat_load_u8 v12, v[4:5]
	flat_load_u8 v11, v[4:5] offset:256
	s_waitcnt vmcnt(0) lgkmcnt(0)
	s_barrier
	buffer_gl0_inv
	s_clause 0x1
	flat_store_b64 v[9:10], v[50:51]
	flat_store_b64 v[13:14], v[48:49]
	s_waitcnt lgkmcnt(0)
	s_waitcnt_vscnt null, 0x0
	s_barrier
	buffer_gl0_inv
	s_clause 0x1
	flat_load_b64 v[9:10], v[15:16]
	flat_load_b64 v[4:5], v[15:16] offset:2048
	v_add_co_u32 v2, vcc_lo, v2, v8
	v_add_co_ci_u32_e32 v3, vcc_lo, 0, v3, vcc_lo
	v_mov_b32_e32 v28, 0
	s_delay_alu instid0(VALU_DEP_3) | instskip(NEXT) | instid1(VALU_DEP_3)
	v_add_co_u32 v2, vcc_lo, v2, v27
	v_add_co_ci_u32_e32 v3, vcc_lo, 0, v3, vcc_lo
	v_cmp_lt_u32_e32 vcc_lo, v27, v134
	s_waitcnt vmcnt(0) lgkmcnt(0)
	s_barrier
	buffer_gl0_inv
	s_and_saveexec_b32 s0, vcc_lo
	s_cbranch_execz .LBB400_172
; %bb.171:
	v_xor_b32_e32 v8, 0x80, v12
	flat_store_b8 v[2:3], v8
.LBB400_172:
	s_or_b32 exec_lo, exec_lo, s0
	v_add_nc_u32_e32 v8, 0x100, v27
	s_delay_alu instid0(VALU_DEP_1) | instskip(NEXT) | instid1(VALU_DEP_1)
	v_cmp_lt_u32_e64 s0, v8, v134
	s_and_saveexec_b32 s1, s0
	s_cbranch_execz .LBB400_174
; %bb.173:
	v_xor_b32_e32 v8, 0x80, v11
	flat_store_b8 v[2:3], v8 offset:256
.LBB400_174:
	s_or_b32 exec_lo, exec_lo, s1
	v_lshlrev_b64 v[2:3], 3, v[27:28]
	v_add_co_u32 v0, s1, v6, v0
	s_delay_alu instid0(VALU_DEP_1) | instskip(NEXT) | instid1(VALU_DEP_2)
	v_add_co_ci_u32_e64 v1, s1, v7, v1, s1
	v_add_co_u32 v0, s1, v0, v2
	s_delay_alu instid0(VALU_DEP_1)
	v_add_co_ci_u32_e64 v1, s1, v1, v3, s1
	s_and_saveexec_b32 s1, vcc_lo
	s_cbranch_execz .LBB400_176
; %bb.175:
	flat_store_b64 v[0:1], v[9:10]
.LBB400_176:
	s_or_b32 exec_lo, exec_lo, s1
	s_and_saveexec_b32 s1, s0
	s_cbranch_execz .LBB400_178
; %bb.177:
	flat_store_b64 v[0:1], v[4:5] offset:2048
.LBB400_178:
	s_or_b32 exec_lo, exec_lo, s1
                                        ; implicit-def: $vgpr27_vgpr28
                                        ; implicit-def: $vgpr8_vgpr9
                                        ; implicit-def: $vgpr134
                                        ; implicit-def: $vgpr0
                                        ; implicit-def: $vgpr1
                                        ; implicit-def: $vgpr2
                                        ; implicit-def: $vgpr3
                                        ; implicit-def: $vgpr4
                                        ; implicit-def: $vgpr5
                                        ; implicit-def: $vgpr6
                                        ; implicit-def: $vgpr7
                                        ; implicit-def: $vgpr10
                                        ; implicit-def: $vgpr11
                                        ; implicit-def: $vgpr12
                                        ; implicit-def: $vgpr13
                                        ; implicit-def: $vgpr26
                                        ; implicit-def: $vgpr16
.LBB400_179:
	s_and_not1_saveexec_b32 s0, s15
	s_cbranch_execz .LBB400_199
; %bb.180:
	s_delay_alu instid0(VALU_DEP_2) | instskip(SKIP_1) | instid1(VALU_DEP_2)
	v_and_b32_e32 v14, 0xffffffe0, v27
	v_mov_b32_e32 v22, 0xff
	v_or_b32_e32 v15, v16, v14
	s_delay_alu instid0(VALU_DEP_1)
	v_cmp_lt_u32_e32 vcc_lo, v15, v134
	s_and_saveexec_b32 s1, vcc_lo
	s_cbranch_execz .LBB400_182
; %bb.181:
	v_add_co_u32 v0, s0, v0, v8
	s_delay_alu instid0(VALU_DEP_1) | instskip(NEXT) | instid1(VALU_DEP_2)
	v_add_co_ci_u32_e64 v1, s0, 0, v1, s0
	v_add_co_u32 v0, s0, v0, v16
	s_delay_alu instid0(VALU_DEP_1) | instskip(NEXT) | instid1(VALU_DEP_2)
	v_add_co_ci_u32_e64 v1, s0, 0, v1, s0
	v_add_co_u32 v0, s0, v0, v14
	s_delay_alu instid0(VALU_DEP_1)
	v_add_co_ci_u32_e64 v1, s0, 0, v1, s0
	flat_load_u8 v0, v[0:1]
	s_waitcnt vmcnt(0) lgkmcnt(0)
	v_xor_b32_e32 v22, 0xffffff80, v0
.LBB400_182:
	s_or_b32 exec_lo, exec_lo, s1
	v_lshlrev_b64 v[0:1], 3, v[8:9]
                                        ; implicit-def: $vgpr18_vgpr19
	s_and_saveexec_b32 s0, vcc_lo
	s_cbranch_execz .LBB400_184
; %bb.183:
	v_mov_b32_e32 v15, 0
	v_lshlrev_b32_e32 v9, 3, v16
	s_delay_alu instid0(VALU_DEP_3) | instskip(SKIP_1) | instid1(VALU_DEP_4)
	v_add_co_u32 v17, vcc_lo, v4, v0
	v_add_co_ci_u32_e32 v18, vcc_lo, v5, v1, vcc_lo
	v_lshlrev_b64 v[4:5], 3, v[14:15]
	s_delay_alu instid0(VALU_DEP_3) | instskip(NEXT) | instid1(VALU_DEP_3)
	v_add_co_u32 v9, vcc_lo, v17, v9
	v_add_co_ci_u32_e32 v14, vcc_lo, 0, v18, vcc_lo
	s_delay_alu instid0(VALU_DEP_2) | instskip(NEXT) | instid1(VALU_DEP_2)
	v_add_co_u32 v4, vcc_lo, v9, v4
	v_add_co_ci_u32_e32 v5, vcc_lo, v14, v5, vcc_lo
	flat_load_b64 v[18:19], v[4:5]
.LBB400_184:
	s_or_b32 exec_lo, exec_lo, s0
	v_dual_mov_b32 v15, 0 :: v_dual_lshlrev_b32 v14, 5, v26
	s_mov_b32 s16, 0
	v_add_co_u32 v9, vcc_lo, v12, 32
	s_mov_b32 s17, s16
	s_mov_b32 s18, s16
	;; [unrolled: 1-line block ×3, first 2 shown]
	v_and_b32_e32 v20, 0x3e0, v26
	v_add_co_ci_u32_e32 v52, vcc_lo, 0, v13, vcc_lo
	v_add_co_u32 v4, vcc_lo, v12, v14
	v_add_co_ci_u32_e32 v5, vcc_lo, 0, v13, vcc_lo
	v_add_co_u32 v28, vcc_lo, v9, v14
	v_min_u32_e32 v14, 0xe0, v20
	v_and_b32_e32 v21, 16, v16
	v_add_nc_u32_e32 v23, -1, v16
	v_and_b32_e32 v17, 15, v16
	s_getpc_b64 s[0:1]
	s_add_u32 s0, s0, _ZN7rocprim17ROCPRIM_400000_NS16block_radix_sortIaLj256ELj1ElLj1ELj1ELj8ELNS0_26block_radix_rank_algorithmE2ELNS0_18block_padding_hintE2ELNS0_4arch9wavefront6targetE0EE19radix_bits_per_passE@rel32@lo+4
	s_addc_u32 s1, s1, _ZN7rocprim17ROCPRIM_400000_NS16block_radix_sortIaLj256ELj1ElLj1ELj1ELj8ELNS0_26block_radix_rank_algorithmE2ELNS0_18block_padding_hintE2ELNS0_4arch9wavefront6targetE0EE19radix_bits_per_passE@rel32@hi+12
	v_or_b32_e32 v14, 31, v14
	v_cmp_eq_u32_e64 s3, 0, v21
	v_cmp_gt_i32_e64 s4, 0, v23
	v_lshrrev_b32_e32 v21, 5, v26
	v_add_co_ci_u32_e32 v29, vcc_lo, 0, v52, vcc_lo
	s_load_b32 s15, s[0:1], 0x0
	v_cmp_eq_u32_e32 vcc_lo, 0, v17
	v_cmp_lt_u32_e64 s0, 1, v17
	v_cmp_lt_u32_e64 s1, 3, v17
	;; [unrolled: 1-line block ×3, first 2 shown]
	v_cndmask_b32_e64 v17, v23, v16, s4
	v_cmp_eq_u32_e64 s4, v14, v26
	v_lshlrev_b32_e32 v14, 2, v21
	v_cmp_eq_u32_e64 s7, 0, v16
	v_and_b32_e32 v23, 7, v16
	v_or_b32_e32 v16, v16, v20
	v_lshlrev_b32_e32 v54, 2, v17
	v_add_co_u32 v30, s9, v12, v14
	v_add_nc_u32_e32 v14, -1, v21
	s_delay_alu instid0(VALU_DEP_4) | instskip(SKIP_2) | instid1(VALU_DEP_4)
	v_add_co_u32 v34, s12, v12, v16
	v_lshlrev_b32_e32 v17, 2, v26
	v_add_co_ci_u32_e64 v35, s12, 0, v13, s12
	v_lshlrev_b64 v[14:15], 2, v[14:15]
	v_add_co_ci_u32_e64 v31, s9, 0, v13, s9
	s_delay_alu instid0(VALU_DEP_4) | instskip(NEXT) | instid1(VALU_DEP_4)
	v_add_co_u32 v32, s9, v12, v17
	v_mad_u64_u32 v[38:39], null, v16, 7, v[34:35]
	s_delay_alu instid0(VALU_DEP_4)
	v_add_co_u32 v36, s12, v12, v14
	v_add_co_ci_u32_e64 v33, s9, 0, v13, s9
	v_add_co_ci_u32_e64 v37, s12, v13, v15, s12
	v_dual_mov_b32 v14, s16 :: v_dual_mov_b32 v17, s19
	v_lshrrev_b32_e32 v53, 5, v27
	v_cmp_gt_u32_e64 s5, 8, v26
	v_cmp_lt_u32_e64 s6, 31, v26
	v_cmp_eq_u32_e64 s8, 0, v26
	v_cmp_eq_u32_e64 s9, 0, v23
	v_cmp_lt_u32_e64 s10, 1, v23
	v_cmp_lt_u32_e64 s11, 3, v23
	v_sub_nc_u32_e32 v55, v11, v10
	v_dual_mov_b32 v15, s17 :: v_dual_mov_b32 v16, s18
	s_waitcnt vmcnt(0) lgkmcnt(0)
	s_waitcnt_vscnt null, 0x0
	s_barrier
	buffer_gl0_inv
	s_branch .LBB400_186
.LBB400_185:                            ;   in Loop: Header=BB400_186 Depth=1
	s_or_b32 exec_lo, exec_lo, s13
	s_delay_alu instid0(SALU_CYCLE_1) | instskip(NEXT) | instid1(SALU_CYCLE_1)
	s_and_b32 s12, exec_lo, s14
	s_or_b32 s16, s12, s16
	s_delay_alu instid0(SALU_CYCLE_1)
	s_and_not1_b32 exec_lo, exec_lo, s16
	s_cbranch_execz .LBB400_196
.LBB400_186:                            ; =>This Inner Loop Header: Depth=1
	v_mov_b32_e32 v64, v22
	v_min_u32_e32 v21, s15, v55
	s_clause 0x1
	flat_store_b128 v[4:5], v[14:17] offset:32
	flat_store_b128 v[28:29], v[14:17] offset:16
	s_waitcnt lgkmcnt(0)
	s_waitcnt_vscnt null, 0x0
	s_barrier
	v_and_b32_e32 v20, 0xff, v64
	buffer_gl0_inv
	; wave barrier
	v_lshrrev_b32_e32 v20, v10, v20
	s_delay_alu instid0(VALU_DEP_1) | instskip(NEXT) | instid1(VALU_DEP_1)
	v_bfe_u32 v21, v20, 0, v21
	v_and_b32_e32 v20, 1, v21
	v_lshlrev_b32_e32 v22, 30, v21
	v_lshlrev_b32_e32 v23, 29, v21
	;; [unrolled: 1-line block ×4, first 2 shown]
	v_add_co_u32 v20, s12, v20, -1
	s_delay_alu instid0(VALU_DEP_1)
	v_cndmask_b32_e64 v25, 0, 1, s12
	v_not_b32_e32 v51, v22
	v_cmp_gt_i32_e64 s13, 0, v22
	v_not_b32_e32 v22, v23
	v_lshlrev_b32_e32 v49, 26, v21
	v_cmp_ne_u32_e64 s12, 0, v25
	v_ashrrev_i32_e32 v51, 31, v51
	v_lshlrev_b32_e32 v50, 25, v21
	v_ashrrev_i32_e32 v22, 31, v22
	v_lshlrev_b32_e32 v25, 24, v21
	v_xor_b32_e32 v20, s12, v20
	v_cmp_gt_i32_e64 s12, 0, v23
	v_not_b32_e32 v23, v24
	v_xor_b32_e32 v51, s13, v51
	v_cmp_gt_i32_e64 s13, 0, v24
	v_and_b32_e32 v20, exec_lo, v20
	v_not_b32_e32 v24, v48
	v_ashrrev_i32_e32 v23, 31, v23
	v_xor_b32_e32 v22, s12, v22
	v_cmp_gt_i32_e64 s12, 0, v48
	v_and_b32_e32 v20, v20, v51
	v_not_b32_e32 v48, v49
	v_ashrrev_i32_e32 v24, 31, v24
	v_xor_b32_e32 v23, s13, v23
	v_cmp_gt_i32_e64 s13, 0, v49
	v_and_b32_e32 v20, v20, v22
	;; [unrolled: 5-line block ×4, first 2 shown]
	v_ashrrev_i32_e32 v23, 31, v23
	v_xor_b32_e32 v22, s12, v22
	s_delay_alu instid0(VALU_DEP_3) | instskip(NEXT) | instid1(VALU_DEP_3)
	v_and_b32_e32 v20, v20, v48
	v_xor_b32_e32 v23, s13, v23
	v_dual_mov_b32 v49, v19 :: v_dual_mov_b32 v48, v18
	v_lshlrev_b32_e32 v18, 3, v21
	s_delay_alu instid0(VALU_DEP_4) | instskip(NEXT) | instid1(VALU_DEP_2)
	v_and_b32_e32 v20, v20, v22
	v_add_lshl_u32 v18, v18, v53, 2
	s_delay_alu instid0(VALU_DEP_2) | instskip(NEXT) | instid1(VALU_DEP_2)
	v_and_b32_e32 v20, v20, v23
	v_add_co_u32 v50, s14, v9, v18
	s_delay_alu instid0(VALU_DEP_2) | instskip(SKIP_2) | instid1(VALU_DEP_3)
	v_mbcnt_lo_u32_b32 v65, v20, 0
	v_cmp_ne_u32_e64 s12, 0, v20
	v_add_co_ci_u32_e64 v51, s14, 0, v52, s14
	v_cmp_eq_u32_e64 s13, 0, v65
	s_delay_alu instid0(VALU_DEP_1) | instskip(NEXT) | instid1(SALU_CYCLE_1)
	s_and_b32 s13, s12, s13
	s_and_saveexec_b32 s12, s13
	s_cbranch_execz .LBB400_188
; %bb.187:                              ;   in Loop: Header=BB400_186 Depth=1
	v_bcnt_u32_b32 v18, v20, 0
	flat_store_b32 v[50:51], v18
.LBB400_188:                            ;   in Loop: Header=BB400_186 Depth=1
	s_or_b32 exec_lo, exec_lo, s12
	; wave barrier
	s_waitcnt lgkmcnt(0)
	s_waitcnt_vscnt null, 0x0
	s_barrier
	buffer_gl0_inv
	s_clause 0x1
	flat_load_b128 v[22:25], v[4:5] offset:32
	flat_load_b128 v[18:21], v[28:29] offset:16
	s_waitcnt vmcnt(1) lgkmcnt(1)
	v_add_nc_u32_e32 v66, v23, v22
	s_delay_alu instid0(VALU_DEP_1) | instskip(SKIP_1) | instid1(VALU_DEP_1)
	v_add3_u32 v66, v66, v24, v25
	s_waitcnt vmcnt(0) lgkmcnt(0)
	v_add3_u32 v66, v66, v18, v19
	s_delay_alu instid0(VALU_DEP_1) | instskip(NEXT) | instid1(VALU_DEP_1)
	v_add3_u32 v21, v66, v20, v21
	v_mov_b32_dpp v66, v21 row_shr:1 row_mask:0xf bank_mask:0xf
	s_delay_alu instid0(VALU_DEP_1) | instskip(NEXT) | instid1(VALU_DEP_1)
	v_cndmask_b32_e64 v66, v66, 0, vcc_lo
	v_add_nc_u32_e32 v21, v66, v21
	s_delay_alu instid0(VALU_DEP_1) | instskip(NEXT) | instid1(VALU_DEP_1)
	v_mov_b32_dpp v66, v21 row_shr:2 row_mask:0xf bank_mask:0xf
	v_cndmask_b32_e64 v66, 0, v66, s0
	s_delay_alu instid0(VALU_DEP_1) | instskip(NEXT) | instid1(VALU_DEP_1)
	v_add_nc_u32_e32 v21, v21, v66
	v_mov_b32_dpp v66, v21 row_shr:4 row_mask:0xf bank_mask:0xf
	s_delay_alu instid0(VALU_DEP_1) | instskip(NEXT) | instid1(VALU_DEP_1)
	v_cndmask_b32_e64 v66, 0, v66, s1
	v_add_nc_u32_e32 v21, v21, v66
	s_delay_alu instid0(VALU_DEP_1) | instskip(NEXT) | instid1(VALU_DEP_1)
	v_mov_b32_dpp v66, v21 row_shr:8 row_mask:0xf bank_mask:0xf
	v_cndmask_b32_e64 v66, 0, v66, s2
	s_delay_alu instid0(VALU_DEP_1) | instskip(SKIP_3) | instid1(VALU_DEP_1)
	v_add_nc_u32_e32 v21, v21, v66
	ds_swizzle_b32 v66, v21 offset:swizzle(BROADCAST,32,15)
	s_waitcnt lgkmcnt(0)
	v_cndmask_b32_e64 v66, v66, 0, s3
	v_add_nc_u32_e32 v21, v21, v66
	s_and_saveexec_b32 s12, s4
	s_cbranch_execz .LBB400_190
; %bb.189:                              ;   in Loop: Header=BB400_186 Depth=1
	flat_store_b32 v[30:31], v21
.LBB400_190:                            ;   in Loop: Header=BB400_186 Depth=1
	s_or_b32 exec_lo, exec_lo, s12
	s_waitcnt lgkmcnt(0)
	s_waitcnt_vscnt null, 0x0
	s_barrier
	buffer_gl0_inv
	s_and_saveexec_b32 s12, s5
	s_cbranch_execz .LBB400_192
; %bb.191:                              ;   in Loop: Header=BB400_186 Depth=1
	flat_load_b32 v66, v[32:33]
	s_waitcnt vmcnt(0) lgkmcnt(0)
	v_mov_b32_dpp v67, v66 row_shr:1 row_mask:0xf bank_mask:0xf
	s_delay_alu instid0(VALU_DEP_1) | instskip(NEXT) | instid1(VALU_DEP_1)
	v_cndmask_b32_e64 v67, v67, 0, s9
	v_add_nc_u32_e32 v66, v67, v66
	s_delay_alu instid0(VALU_DEP_1) | instskip(NEXT) | instid1(VALU_DEP_1)
	v_mov_b32_dpp v67, v66 row_shr:2 row_mask:0xf bank_mask:0xf
	v_cndmask_b32_e64 v67, 0, v67, s10
	s_delay_alu instid0(VALU_DEP_1) | instskip(NEXT) | instid1(VALU_DEP_1)
	v_add_nc_u32_e32 v66, v66, v67
	v_mov_b32_dpp v67, v66 row_shr:4 row_mask:0xf bank_mask:0xf
	s_delay_alu instid0(VALU_DEP_1) | instskip(NEXT) | instid1(VALU_DEP_1)
	v_cndmask_b32_e64 v67, 0, v67, s11
	v_add_nc_u32_e32 v66, v66, v67
	flat_store_b32 v[32:33], v66
.LBB400_192:                            ;   in Loop: Header=BB400_186 Depth=1
	s_or_b32 exec_lo, exec_lo, s12
	v_mov_b32_e32 v66, 0
	s_waitcnt lgkmcnt(0)
	s_waitcnt_vscnt null, 0x0
	s_barrier
	buffer_gl0_inv
	s_and_saveexec_b32 s12, s6
	s_cbranch_execz .LBB400_194
; %bb.193:                              ;   in Loop: Header=BB400_186 Depth=1
	flat_load_b32 v66, v[36:37]
.LBB400_194:                            ;   in Loop: Header=BB400_186 Depth=1
	s_or_b32 exec_lo, exec_lo, s12
	s_waitcnt vmcnt(0) lgkmcnt(0)
	v_add_nc_u32_e32 v21, v66, v21
	v_add_nc_u32_e32 v10, 8, v10
	s_mov_b32 s14, -1
	ds_bpermute_b32 v21, v54, v21
	s_waitcnt lgkmcnt(0)
	v_cndmask_b32_e64 v21, v21, v66, s7
	s_delay_alu instid0(VALU_DEP_1) | instskip(NEXT) | instid1(VALU_DEP_1)
	v_cndmask_b32_e64 v21, v21, 0, s8
	v_add_nc_u32_e32 v22, v21, v22
	s_delay_alu instid0(VALU_DEP_1) | instskip(NEXT) | instid1(VALU_DEP_1)
	v_add_nc_u32_e32 v23, v22, v23
	v_add_nc_u32_e32 v24, v23, v24
	s_delay_alu instid0(VALU_DEP_1) | instskip(NEXT) | instid1(VALU_DEP_1)
	v_add_nc_u32_e32 v66, v24, v25
	;; [unrolled: 3-line block ×3, first 2 shown]
	v_add_nc_u32_e32 v69, v68, v20
	s_clause 0x1
	flat_store_b128 v[4:5], v[21:24] offset:32
	flat_store_b128 v[28:29], v[66:69] offset:16
	s_waitcnt lgkmcnt(0)
	s_waitcnt_vscnt null, 0x0
	s_barrier
	buffer_gl0_inv
	flat_load_b32 v18, v[50:51]
	s_waitcnt vmcnt(0) lgkmcnt(0)
	s_waitcnt_vscnt null, 0x0
                                        ; implicit-def: $vgpr22
	s_waitcnt vmcnt(0) lgkmcnt(0)
	v_add_nc_u32_e32 v23, v18, v65
                                        ; implicit-def: $vgpr18_vgpr19
	s_delay_alu instid0(VALU_DEP_1) | instskip(NEXT) | instid1(VALU_DEP_1)
	v_add_co_u32 v20, s13, v12, v23
	v_add_co_ci_u32_e64 v21, s13, 0, v13, s13
	s_mov_b32 s13, exec_lo
	v_cmpx_lt_u32_e64 v10, v11
	s_cbranch_execz .LBB400_185
; %bb.195:                              ;   in Loop: Header=BB400_186 Depth=1
	s_delay_alu instid0(VALU_DEP_2)
	v_mad_u64_u32 v[18:19], null, v23, 7, v[20:21]
	s_barrier
	buffer_gl0_inv
	flat_store_b8 v[20:21], v64
	s_waitcnt lgkmcnt(0)
	s_waitcnt_vscnt null, 0x0
	s_barrier
	buffer_gl0_inv
	flat_load_u8 v22, v[34:35]
	s_waitcnt vmcnt(0) lgkmcnt(0)
	s_barrier
	buffer_gl0_inv
	flat_store_b64 v[18:19], v[48:49]
	s_waitcnt lgkmcnt(0)
	s_waitcnt_vscnt null, 0x0
	s_barrier
	buffer_gl0_inv
	flat_load_b64 v[18:19], v[38:39]
	v_add_nc_u32_e32 v55, -8, v55
	s_xor_b32 s14, exec_lo, -1
	s_waitcnt vmcnt(0) lgkmcnt(0)
	s_barrier
	buffer_gl0_inv
	s_branch .LBB400_185
.LBB400_196:
	s_or_b32 exec_lo, exec_lo, s16
	v_add_co_u32 v4, vcc_lo, v12, v26
	v_add_co_ci_u32_e32 v5, vcc_lo, 0, v13, vcc_lo
	v_mad_u64_u32 v[10:11], null, v23, 7, v[20:21]
	s_barrier
	s_delay_alu instid0(VALU_DEP_2)
	v_mad_u64_u32 v[12:13], null, v26, 7, v[4:5]
	buffer_gl0_inv
	flat_store_b8 v[20:21], v64
	s_waitcnt lgkmcnt(0)
	s_waitcnt_vscnt null, 0x0
	s_barrier
	buffer_gl0_inv
	flat_load_u8 v9, v[4:5]
	s_waitcnt vmcnt(0) lgkmcnt(0)
	s_barrier
	buffer_gl0_inv
	flat_store_b64 v[10:11], v[48:49]
	s_waitcnt lgkmcnt(0)
	s_waitcnt_vscnt null, 0x0
	s_barrier
	buffer_gl0_inv
	flat_load_b64 v[4:5], v[12:13]
	s_mov_b32 s0, exec_lo
	s_waitcnt vmcnt(0) lgkmcnt(0)
	s_barrier
	buffer_gl0_inv
	v_cmpx_lt_u32_e64 v27, v134
	s_cbranch_execz .LBB400_198
; %bb.197:
	v_mov_b32_e32 v28, 0
	v_add_co_u32 v6, vcc_lo, v6, v0
	v_add_co_ci_u32_e32 v7, vcc_lo, v7, v1, vcc_lo
	v_add_co_u32 v2, vcc_lo, v2, v8
	s_delay_alu instid0(VALU_DEP_4) | instskip(SKIP_1) | instid1(VALU_DEP_3)
	v_lshlrev_b64 v[0:1], 3, v[27:28]
	v_add_co_ci_u32_e32 v3, vcc_lo, 0, v3, vcc_lo
	v_add_co_u32 v2, vcc_lo, v2, v27
	v_xor_b32_e32 v8, 0x80, v9
	s_delay_alu instid0(VALU_DEP_3)
	v_add_co_ci_u32_e32 v3, vcc_lo, 0, v3, vcc_lo
	v_add_co_u32 v0, vcc_lo, v6, v0
	v_add_co_ci_u32_e32 v1, vcc_lo, v7, v1, vcc_lo
	flat_store_b8 v[2:3], v8
	flat_store_b64 v[0:1], v[4:5]
.LBB400_198:
	s_or_b32 exec_lo, exec_lo, s0
.LBB400_199:
	s_delay_alu instid0(SALU_CYCLE_1)
	s_or_b32 exec_lo, exec_lo, s24
	s_waitcnt lgkmcnt(0)
	s_setpc_b64 s[30:31]
.Lfunc_end400:
	.size	_ZN7rocprim17ROCPRIM_400000_NS6detail40segmented_radix_sort_single_block_helperIalLj256ELj8ELb0EE4sortIPKaPaPKlPlEEbT_T0_T1_T2_jjjjRNS3_12storage_typeE, .Lfunc_end400-_ZN7rocprim17ROCPRIM_400000_NS6detail40segmented_radix_sort_single_block_helperIalLj256ELj8ELb0EE4sortIPKaPaPKlPlEEbT_T0_T1_T2_jjjjRNS3_12storage_typeE
                                        ; -- End function
	.section	.AMDGPU.csdata,"",@progbits
; Function info:
; codeLenInByte = 17344
; NumSgprs: 34
; NumVgprs: 183
; ScratchSize: 0
; MemoryBound: 1
	.section	.text._ZN7rocprim17ROCPRIM_400000_NS6detail17trampoline_kernelINS0_14default_configENS1_36segmented_radix_sort_config_selectorIalEEZNS1_25segmented_radix_sort_implIS3_Lb0EPKaPaPKlPlN2at6native12_GLOBAL__N_18offset_tEEE10hipError_tPvRmT1_PNSt15iterator_traitsISK_E10value_typeET2_T3_PNSL_ISQ_E10value_typeET4_jRbjT5_SW_jjP12ihipStream_tbEUlT_E_NS1_11comp_targetILNS1_3genE9ELNS1_11target_archE1100ELNS1_3gpuE3ELNS1_3repE0EEENS1_30default_config_static_selectorELNS0_4arch9wavefront6targetE0EEEvSK_,"axG",@progbits,_ZN7rocprim17ROCPRIM_400000_NS6detail17trampoline_kernelINS0_14default_configENS1_36segmented_radix_sort_config_selectorIalEEZNS1_25segmented_radix_sort_implIS3_Lb0EPKaPaPKlPlN2at6native12_GLOBAL__N_18offset_tEEE10hipError_tPvRmT1_PNSt15iterator_traitsISK_E10value_typeET2_T3_PNSL_ISQ_E10value_typeET4_jRbjT5_SW_jjP12ihipStream_tbEUlT_E_NS1_11comp_targetILNS1_3genE9ELNS1_11target_archE1100ELNS1_3gpuE3ELNS1_3repE0EEENS1_30default_config_static_selectorELNS0_4arch9wavefront6targetE0EEEvSK_,comdat
	.globl	_ZN7rocprim17ROCPRIM_400000_NS6detail17trampoline_kernelINS0_14default_configENS1_36segmented_radix_sort_config_selectorIalEEZNS1_25segmented_radix_sort_implIS3_Lb0EPKaPaPKlPlN2at6native12_GLOBAL__N_18offset_tEEE10hipError_tPvRmT1_PNSt15iterator_traitsISK_E10value_typeET2_T3_PNSL_ISQ_E10value_typeET4_jRbjT5_SW_jjP12ihipStream_tbEUlT_E_NS1_11comp_targetILNS1_3genE9ELNS1_11target_archE1100ELNS1_3gpuE3ELNS1_3repE0EEENS1_30default_config_static_selectorELNS0_4arch9wavefront6targetE0EEEvSK_ ; -- Begin function _ZN7rocprim17ROCPRIM_400000_NS6detail17trampoline_kernelINS0_14default_configENS1_36segmented_radix_sort_config_selectorIalEEZNS1_25segmented_radix_sort_implIS3_Lb0EPKaPaPKlPlN2at6native12_GLOBAL__N_18offset_tEEE10hipError_tPvRmT1_PNSt15iterator_traitsISK_E10value_typeET2_T3_PNSL_ISQ_E10value_typeET4_jRbjT5_SW_jjP12ihipStream_tbEUlT_E_NS1_11comp_targetILNS1_3genE9ELNS1_11target_archE1100ELNS1_3gpuE3ELNS1_3repE0EEENS1_30default_config_static_selectorELNS0_4arch9wavefront6targetE0EEEvSK_
	.p2align	8
	.type	_ZN7rocprim17ROCPRIM_400000_NS6detail17trampoline_kernelINS0_14default_configENS1_36segmented_radix_sort_config_selectorIalEEZNS1_25segmented_radix_sort_implIS3_Lb0EPKaPaPKlPlN2at6native12_GLOBAL__N_18offset_tEEE10hipError_tPvRmT1_PNSt15iterator_traitsISK_E10value_typeET2_T3_PNSL_ISQ_E10value_typeET4_jRbjT5_SW_jjP12ihipStream_tbEUlT_E_NS1_11comp_targetILNS1_3genE9ELNS1_11target_archE1100ELNS1_3gpuE3ELNS1_3repE0EEENS1_30default_config_static_selectorELNS0_4arch9wavefront6targetE0EEEvSK_,@function
_ZN7rocprim17ROCPRIM_400000_NS6detail17trampoline_kernelINS0_14default_configENS1_36segmented_radix_sort_config_selectorIalEEZNS1_25segmented_radix_sort_implIS3_Lb0EPKaPaPKlPlN2at6native12_GLOBAL__N_18offset_tEEE10hipError_tPvRmT1_PNSt15iterator_traitsISK_E10value_typeET2_T3_PNSL_ISQ_E10value_typeET4_jRbjT5_SW_jjP12ihipStream_tbEUlT_E_NS1_11comp_targetILNS1_3genE9ELNS1_11target_archE1100ELNS1_3gpuE3ELNS1_3repE0EEENS1_30default_config_static_selectorELNS0_4arch9wavefront6targetE0EEEvSK_: ; @_ZN7rocprim17ROCPRIM_400000_NS6detail17trampoline_kernelINS0_14default_configENS1_36segmented_radix_sort_config_selectorIalEEZNS1_25segmented_radix_sort_implIS3_Lb0EPKaPaPKlPlN2at6native12_GLOBAL__N_18offset_tEEE10hipError_tPvRmT1_PNSt15iterator_traitsISK_E10value_typeET2_T3_PNSL_ISQ_E10value_typeET4_jRbjT5_SW_jjP12ihipStream_tbEUlT_E_NS1_11comp_targetILNS1_3genE9ELNS1_11target_archE1100ELNS1_3gpuE3ELNS1_3repE0EEENS1_30default_config_static_selectorELNS0_4arch9wavefront6targetE0EEEvSK_
; %bb.0:
	s_clause 0x1
	s_load_b64 s[2:3], s[0:1], 0x38
	s_load_b128 s[4:7], s[0:1], 0x40
	s_mov_b32 s26, s14
	s_mov_b32 s27, 0
	;; [unrolled: 1-line block ×3, first 2 shown]
	s_lshl_b64 s[8:9], s[26:27], 2
	s_waitcnt lgkmcnt(0)
	s_add_u32 s2, s2, s8
	s_addc_u32 s3, s3, s9
	s_load_b32 s2, s[2:3], 0x0
	s_waitcnt lgkmcnt(0)
	s_add_i32 s27, s2, s5
	s_add_i32 s33, s2, s7
	s_mul_i32 s27, s27, s4
	s_mul_i32 s33, s33, s6
	s_delay_alu instid0(SALU_CYCLE_1)
	s_cmp_le_u32 s33, s27
	s_cbranch_scc1 .LBB401_678
; %bb.1:
	s_clause 0x3
	s_load_b32 s2, s[0:1], 0x30
	s_load_b128 s[44:47], s[0:1], 0x20
	s_load_b128 s[48:51], s[0:1], 0x50
	s_load_b256 s[36:43], s[0:1], 0x0
	s_waitcnt lgkmcnt(0)
	s_bitcmp1_b32 s2, 0
	s_mov_b32 s2, -1
	s_cselect_b32 s34, -1, 0
	s_sub_i32 s35, s33, s27
	s_delay_alu instid0(SALU_CYCLE_1)
	s_cmpk_lt_u32 s35, 0x801
	s_cbranch_scc0 .LBB401_7
; %bb.2:
	v_cndmask_b32_e64 v1, 0, 1, s34
	s_and_b32 s2, s48, 1
	s_delay_alu instid0(VALU_DEP_1) | instid1(SALU_CYCLE_1)
	v_cmp_ne_u32_e32 vcc_lo, s2, v1
	s_mov_b32 s2, -1
	s_cbranch_vccnz .LBB401_4
; %bb.3:
	s_mov_b64 s[2:3], src_shared_base
	v_mov_b32_e32 v31, v0
	v_dual_mov_b32 v40, v0 :: v_dual_mov_b32 v1, s37
	v_mov_b32_e32 v0, s36
	v_dual_mov_b32 v2, s40 :: v_dual_mov_b32 v3, s41
	v_dual_mov_b32 v4, s42 :: v_dual_mov_b32 v5, s43
	;; [unrolled: 1-line block ×6, first 2 shown]
	s_add_u32 s8, s0, 0x60
	s_addc_u32 s9, s1, 0
	s_mov_b32 s12, s26
	s_mov_b32 s13, s15
	s_getpc_b64 s[4:5]
	s_add_u32 s4, s4, _ZN7rocprim17ROCPRIM_400000_NS6detail40segmented_radix_sort_single_block_helperIalLj256ELj8ELb0EE4sortIPKaPaPKlPlEEbT_T0_T1_T2_jjjjRNS3_12storage_typeE@rel32@lo+4
	s_addc_u32 s5, s5, _ZN7rocprim17ROCPRIM_400000_NS6detail40segmented_radix_sort_single_block_helperIalLj256ELj8ELb0EE4sortIPKaPaPKlPlEEbT_T0_T1_T2_jjjjRNS3_12storage_typeE@rel32@hi+12
	s_mov_b64 s[28:29], s[0:1]
	s_mov_b32 s48, s15
	s_swappc_b64 s[30:31], s[4:5]
	v_mov_b32_e32 v0, v40
	s_mov_b32 s15, s48
	s_mov_b64 s[0:1], s[28:29]
	s_mov_b32 s2, 0
.LBB401_4:
	s_delay_alu instid0(SALU_CYCLE_1)
	s_and_not1_b32 vcc_lo, exec_lo, s2
	s_cbranch_vccnz .LBB401_6
; %bb.5:
	s_mov_b64 s[2:3], src_shared_base
	v_mov_b32_e32 v31, v0
	v_dual_mov_b32 v40, v0 :: v_dual_mov_b32 v1, s37
	v_mov_b32_e32 v0, s36
	v_dual_mov_b32 v2, s38 :: v_dual_mov_b32 v3, s39
	v_dual_mov_b32 v4, s42 :: v_dual_mov_b32 v5, s43
	v_dual_mov_b32 v6, s44 :: v_dual_mov_b32 v7, s45
	v_dual_mov_b32 v8, s27 :: v_dual_mov_b32 v9, s33
	v_dual_mov_b32 v10, s49 :: v_dual_mov_b32 v11, s50
	v_dual_mov_b32 v12, 0 :: v_dual_mov_b32 v13, s3
	s_add_u32 s8, s0, 0x60
	s_addc_u32 s9, s1, 0
	s_mov_b32 s12, s26
	s_mov_b32 s13, s15
	s_getpc_b64 s[4:5]
	s_add_u32 s4, s4, _ZN7rocprim17ROCPRIM_400000_NS6detail40segmented_radix_sort_single_block_helperIalLj256ELj8ELb0EE4sortIPKaPaPKlPlEEbT_T0_T1_T2_jjjjRNS3_12storage_typeE@rel32@lo+4
	s_addc_u32 s5, s5, _ZN7rocprim17ROCPRIM_400000_NS6detail40segmented_radix_sort_single_block_helperIalLj256ELj8ELb0EE4sortIPKaPaPKlPlEEbT_T0_T1_T2_jjjjRNS3_12storage_typeE@rel32@hi+12
	s_mov_b64 s[28:29], s[0:1]
	s_mov_b32 s48, s15
	s_swappc_b64 s[30:31], s[4:5]
	v_mov_b32_e32 v0, v40
	s_mov_b32 s15, s48
	s_mov_b64 s[0:1], s[28:29]
.LBB401_6:
	s_mov_b32 s2, 0
.LBB401_7:
	s_delay_alu instid0(SALU_CYCLE_1)
	s_and_not1_b32 vcc_lo, exec_lo, s2
	s_cbranch_vccnz .LBB401_678
; %bb.8:
	s_cmp_ge_u32 s49, s50
	s_cbranch_scc1 .LBB401_678
; %bb.9:
	v_dual_mov_b32 v66, 1 :: v_dual_and_b32 v1, 0x3ff, v0
	v_mov_b32_e32 v3, 0
	v_mbcnt_lo_u32_b32 v63, -1, 0
	v_bfe_u32 v45, v0, 20, 10
	s_delay_alu instid0(VALU_DEP_4) | instskip(SKIP_4) | instid1(VALU_DEP_4)
	v_lshlrev_b32_e32 v28, 2, v1
	v_lshrrev_b32_e32 v2, 3, v1
	v_or_b32_e32 v4, 31, v1
	v_lshlrev_b32_e32 v5, 5, v1
	v_add_co_u32 v33, s2, s40, v1
	v_and_b32_e32 v38, 28, v2
	v_lshlrev_b32_e32 v2, 3, v1
	v_cmp_eq_u32_e64 s3, v4, v1
	v_add_nc_u32_e32 v4, 1, v1
	v_sub_nc_u32_e32 v48, 0, v5
	v_mad_u32_u24 v40, v1, 12, v28
	v_and_b32_e32 v44, 0x700, v2
	v_mul_u32_u24_e32 v2, 9, v1
	v_cmp_ne_u32_e64 s7, 0x100, v4
	v_or_b32_e32 v29, 0x100, v1
	v_or_b32_e32 v30, 0x200, v1
	v_lshlrev_b32_e32 v5, 3, v44
	v_lshl_add_u32 v47, v2, 2, 0x420
	v_mul_u32_u24_e32 v2, 9, v4
	v_or_b32_e32 v31, 0x300, v1
	v_and_b32_e32 v32, 3, v1
	v_add_co_u32 v50, s8, s46, v5
	s_delay_alu instid0(VALU_DEP_4) | instskip(SKIP_2) | instid1(VALU_DEP_1)
	v_lshlrev_b32_e32 v49, 2, v2
	v_add_co_ci_u32_e64 v51, null, s47, 0, s8
	v_add_co_u32 v2, s8, s40, v44
	v_add_co_ci_u32_e64 v4, null, s41, 0, s8
	v_add_co_u32 v53, s8, s38, v1
	s_delay_alu instid0(VALU_DEP_1) | instskip(SKIP_1) | instid1(VALU_DEP_1)
	v_add_co_ci_u32_e64 v54, null, s39, 0, s8
	v_add_co_u32 v55, s8, s44, v5
	v_add_co_ci_u32_e64 v56, null, s45, 0, s8
	v_add_co_u32 v57, s8, s38, v44
	s_delay_alu instid0(VALU_DEP_1) | instskip(SKIP_1) | instid1(VALU_DEP_1)
	v_add_co_ci_u32_e64 v58, null, s39, 0, s8
	v_add_co_u32 v59, s8, s36, v1
	v_add_co_ci_u32_e64 v60, null, s37, 0, s8
	v_add_co_u32 v61, s8, s42, v5
	s_delay_alu instid0(VALU_DEP_1)
	v_add_co_ci_u32_e64 v62, null, s43, 0, s8
	v_add_co_u32 v64, s8, s36, v44
	v_add_co_u32 v67, vcc_lo, v2, v63
	v_add_co_ci_u32_e64 v34, null, s41, 0, s2
	v_or_b32_e32 v35, 0x400, v1
	v_or_b32_e32 v36, 0x500, v1
	;; [unrolled: 1-line block ×4, first 2 shown]
	v_cmp_gt_u32_e64 s2, 0x100, v1
	v_or_b32_e32 v41, 0x4400, v38
	v_cmp_gt_u32_e64 s4, 8, v1
	v_add_nc_u32_e32 v42, 0x4400, v28
	v_cmp_lt_u32_e64 s5, 31, v1
	v_add_nc_u32_e32 v43, 0x43fc, v38
	v_bfe_u32 v0, v0, 10, 10
	v_mad_u32_u24 v46, v1, 20, v40
	v_cmp_eq_u32_e64 s6, 0, v1
	v_mul_u32_u24_e32 v52, 7, v1
	v_add_co_ci_u32_e64 v65, null, s37, 0, s8
	v_add_co_ci_u32_e32 v68, vcc_lo, 0, v4, vcc_lo
	s_add_u32 s28, s0, 0x60
	s_mov_b32 s25, 0
	s_addc_u32 s29, s1, 0
	s_mov_b32 s30, s49
	s_branch .LBB401_12
.LBB401_10:                             ;   in Loop: Header=BB401_12 Depth=1
	s_waitcnt lgkmcnt(0)
	s_barrier
.LBB401_11:                             ;   in Loop: Header=BB401_12 Depth=1
	s_add_i32 s30, s30, 8
	buffer_gl0_inv
	s_cmp_ge_u32 s30, s50
	s_cbranch_scc1 .LBB401_678
.LBB401_12:                             ; =>This Loop Header: Depth=1
                                        ;     Child Loop BB401_16 Depth 2
                                        ;     Child Loop BB401_66 Depth 2
	;; [unrolled: 1-line block ×8, first 2 shown]
	s_sub_i32 s0, s50, s30
	s_xor_b32 s34, s34, -1
	s_min_u32 s0, s0, 8
	ds_store_2addr_stride64_b32 v28, v3, v3 offset1:4
	s_lshl_b32 s0, -1, s0
	ds_store_2addr_stride64_b32 v28, v3, v3 offset0:8 offset1:12
	s_not_b32 s31, s0
	s_cmp_lg_u32 s30, s49
	s_mov_b32 s0, -1
	s_waitcnt lgkmcnt(0)
	s_waitcnt_vscnt null, 0x0
	s_cbranch_scc0 .LBB401_346
; %bb.13:                               ;   in Loop: Header=BB401_12 Depth=1
	s_and_b32 vcc_lo, exec_lo, s34
	s_cbranch_vccz .LBB401_179
; %bb.14:                               ;   in Loop: Header=BB401_12 Depth=1
	s_mov_b32 s0, s35
	s_mov_b32 s9, s27
	s_barrier
	buffer_gl0_inv
                                        ; implicit-def: $vgpr2
                                        ; implicit-def: $vgpr6
                                        ; implicit-def: $vgpr7
                                        ; implicit-def: $vgpr8
                                        ; implicit-def: $vgpr9
                                        ; implicit-def: $vgpr10
                                        ; implicit-def: $vgpr11
                                        ; implicit-def: $vgpr12
	s_branch .LBB401_16
.LBB401_15:                             ;   in Loop: Header=BB401_16 Depth=2
	s_or_b32 exec_lo, exec_lo, s8
	s_addk_i32 s0, 0xf800
	s_cmp_ge_u32 s1, s33
	s_mov_b32 s9, s1
	s_cbranch_scc1 .LBB401_54
.LBB401_16:                             ;   Parent Loop BB401_12 Depth=1
                                        ; =>  This Inner Loop Header: Depth=2
	s_add_i32 s1, s9, 0x800
	s_delay_alu instid0(SALU_CYCLE_1)
	s_cmp_gt_u32 s1, s33
	s_cbranch_scc1 .LBB401_19
; %bb.17:                               ;   in Loop: Header=BB401_16 Depth=2
	v_add_co_u32 v4, vcc_lo, v33, s9
	v_add_co_ci_u32_e32 v5, vcc_lo, 0, v34, vcc_lo
	s_mov_b32 s8, -1
	s_movk_i32 s12, 0x800
	s_clause 0x6
	global_load_u8 v20, v[4:5], off offset:1536
	global_load_u8 v19, v[4:5], off offset:1280
	;; [unrolled: 1-line block ×6, first 2 shown]
	global_load_u8 v14, v[4:5], off
	v_add_co_u32 v4, vcc_lo, 0x700, v4
	v_add_co_ci_u32_e32 v5, vcc_lo, 0, v5, vcc_lo
	s_cbranch_execz .LBB401_20
; %bb.18:                               ;   in Loop: Header=BB401_16 Depth=2
                                        ; implicit-def: $vgpr2
                                        ; implicit-def: $vgpr6
                                        ; implicit-def: $vgpr7
                                        ; implicit-def: $vgpr8
                                        ; implicit-def: $vgpr9
                                        ; implicit-def: $vgpr10
                                        ; implicit-def: $vgpr11
                                        ; implicit-def: $vgpr12
	v_mov_b32_e32 v13, s0
	s_and_saveexec_b32 s9, s8
	s_cbranch_execnz .LBB401_31
	s_branch .LBB401_32
.LBB401_19:                             ;   in Loop: Header=BB401_16 Depth=2
	s_mov_b32 s8, 0
                                        ; implicit-def: $sgpr12
                                        ; implicit-def: $vgpr14
                                        ; implicit-def: $vgpr15
                                        ; implicit-def: $vgpr16
                                        ; implicit-def: $vgpr17
                                        ; implicit-def: $vgpr18
                                        ; implicit-def: $vgpr19
                                        ; implicit-def: $vgpr20
                                        ; implicit-def: $vgpr4_vgpr5
.LBB401_20:                             ;   in Loop: Header=BB401_16 Depth=2
	s_add_u32 s10, s40, s9
	s_addc_u32 s11, s41, 0
	s_mov_b32 s12, exec_lo
	v_cmpx_gt_u32_e64 s0, v1
	s_cbranch_execz .LBB401_48
; %bb.21:                               ;   in Loop: Header=BB401_16 Depth=2
	v_add_co_u32 v4, s13, s10, v1
	s_delay_alu instid0(VALU_DEP_1) | instskip(SKIP_2) | instid1(SALU_CYCLE_1)
	v_add_co_ci_u32_e64 v5, null, s11, 0, s13
	global_load_u8 v2, v[4:5], off
	s_or_b32 exec_lo, exec_lo, s12
	s_mov_b32 s12, exec_lo
	v_cmpx_gt_u32_e64 s0, v29
	s_cbranch_execnz .LBB401_49
.LBB401_22:                             ;   in Loop: Header=BB401_16 Depth=2
	s_or_b32 exec_lo, exec_lo, s12
	s_delay_alu instid0(SALU_CYCLE_1)
	s_mov_b32 s12, exec_lo
	v_cmpx_gt_u32_e64 s0, v30
	s_cbranch_execz .LBB401_50
.LBB401_23:                             ;   in Loop: Header=BB401_16 Depth=2
	v_add_co_u32 v4, s13, s10, v1
	s_delay_alu instid0(VALU_DEP_1) | instskip(SKIP_2) | instid1(SALU_CYCLE_1)
	v_add_co_ci_u32_e64 v5, null, s11, 0, s13
	global_load_u8 v7, v[4:5], off offset:512
	s_or_b32 exec_lo, exec_lo, s12
	s_mov_b32 s12, exec_lo
	v_cmpx_gt_u32_e64 s0, v31
	s_cbranch_execnz .LBB401_51
.LBB401_24:                             ;   in Loop: Header=BB401_16 Depth=2
	s_or_b32 exec_lo, exec_lo, s12
	s_delay_alu instid0(SALU_CYCLE_1)
	s_mov_b32 s12, exec_lo
	v_cmpx_gt_u32_e64 s0, v35
	s_cbranch_execz .LBB401_52
.LBB401_25:                             ;   in Loop: Header=BB401_16 Depth=2
	v_add_co_u32 v4, s13, s10, v1
	s_delay_alu instid0(VALU_DEP_1) | instskip(SKIP_2) | instid1(SALU_CYCLE_1)
	v_add_co_ci_u32_e64 v5, null, s11, 0, s13
	global_load_u8 v9, v[4:5], off offset:1024
	s_or_b32 exec_lo, exec_lo, s12
	s_mov_b32 s12, exec_lo
	v_cmpx_gt_u32_e64 s0, v36
	s_cbranch_execnz .LBB401_53
.LBB401_26:                             ;   in Loop: Header=BB401_16 Depth=2
	s_or_b32 exec_lo, exec_lo, s12
	s_delay_alu instid0(SALU_CYCLE_1)
	s_mov_b32 s12, exec_lo
	v_cmpx_gt_u32_e64 s0, v37
	s_cbranch_execz .LBB401_28
.LBB401_27:                             ;   in Loop: Header=BB401_16 Depth=2
	v_add_co_u32 v4, s13, s10, v1
	s_delay_alu instid0(VALU_DEP_1)
	v_add_co_ci_u32_e64 v5, null, s11, 0, s13
	global_load_u8 v11, v[4:5], off offset:1536
.LBB401_28:                             ;   in Loop: Header=BB401_16 Depth=2
	s_or_b32 exec_lo, exec_lo, s12
	s_delay_alu instid0(SALU_CYCLE_1)
	s_mov_b32 s13, exec_lo
                                        ; implicit-def: $sgpr12
                                        ; implicit-def: $vgpr4_vgpr5
	v_cmpx_gt_u32_e64 s0, v39
; %bb.29:                               ;   in Loop: Header=BB401_16 Depth=2
	v_add_co_u32 v4, s10, s10, v1
	s_delay_alu instid0(VALU_DEP_1) | instskip(SKIP_1) | instid1(VALU_DEP_2)
	v_add_co_ci_u32_e64 v5, null, s11, 0, s10
	s_sub_i32 s12, s33, s9
	v_add_co_u32 v4, vcc_lo, 0x700, v4
	s_delay_alu instid0(VALU_DEP_2)
	v_add_co_ci_u32_e32 v5, vcc_lo, 0, v5, vcc_lo
	s_or_b32 s8, s8, exec_lo
                                        ; implicit-def: $vgpr12
; %bb.30:                               ;   in Loop: Header=BB401_16 Depth=2
	s_or_b32 exec_lo, exec_lo, s13
	s_waitcnt vmcnt(0)
	v_dual_mov_b32 v14, v2 :: v_dual_mov_b32 v17, v8
	v_dual_mov_b32 v15, v6 :: v_dual_mov_b32 v16, v7
	;; [unrolled: 1-line block ×4, first 2 shown]
	s_and_saveexec_b32 s9, s8
	s_cbranch_execz .LBB401_32
.LBB401_31:                             ;   in Loop: Header=BB401_16 Depth=2
	global_load_u8 v12, v[4:5], off
	s_waitcnt vmcnt(1)
	v_dual_mov_b32 v13, s12 :: v_dual_mov_b32 v2, v14
	v_dual_mov_b32 v6, v15 :: v_dual_mov_b32 v7, v16
	;; [unrolled: 1-line block ×4, first 2 shown]
.LBB401_32:                             ;   in Loop: Header=BB401_16 Depth=2
	s_or_b32 exec_lo, exec_lo, s9
	s_delay_alu instid0(SALU_CYCLE_1)
	s_mov_b32 s8, exec_lo
	v_cmpx_lt_u32_e64 v1, v13
	s_cbranch_execz .LBB401_40
; %bb.33:                               ;   in Loop: Header=BB401_16 Depth=2
	v_xor_b32_e32 v4, 0x80, v2
	v_lshlrev_b32_e32 v5, 2, v32
	s_delay_alu instid0(VALU_DEP_2) | instskip(NEXT) | instid1(VALU_DEP_1)
	v_and_b32_e32 v4, 0xff, v4
	v_lshrrev_b32_e32 v4, s30, v4
	s_delay_alu instid0(VALU_DEP_1) | instskip(NEXT) | instid1(VALU_DEP_1)
	v_and_b32_e32 v4, s31, v4
	v_lshl_or_b32 v4, v4, 4, v5
	ds_add_u32 v4, v66
	s_or_b32 exec_lo, exec_lo, s8
	s_delay_alu instid0(SALU_CYCLE_1)
	s_mov_b32 s8, exec_lo
	v_cmpx_lt_u32_e64 v29, v13
	s_cbranch_execnz .LBB401_41
.LBB401_34:                             ;   in Loop: Header=BB401_16 Depth=2
	s_or_b32 exec_lo, exec_lo, s8
	s_delay_alu instid0(SALU_CYCLE_1)
	s_mov_b32 s8, exec_lo
	v_cmpx_lt_u32_e64 v30, v13
	s_cbranch_execz .LBB401_42
.LBB401_35:                             ;   in Loop: Header=BB401_16 Depth=2
	v_xor_b32_e32 v4, 0x80, v7
	v_lshlrev_b32_e32 v5, 2, v32
	s_delay_alu instid0(VALU_DEP_2) | instskip(NEXT) | instid1(VALU_DEP_1)
	v_and_b32_e32 v4, 0xff, v4
	v_lshrrev_b32_e32 v4, s30, v4
	s_delay_alu instid0(VALU_DEP_1) | instskip(NEXT) | instid1(VALU_DEP_1)
	v_and_b32_e32 v4, s31, v4
	v_lshl_or_b32 v4, v4, 4, v5
	ds_add_u32 v4, v66
	s_or_b32 exec_lo, exec_lo, s8
	s_delay_alu instid0(SALU_CYCLE_1)
	s_mov_b32 s8, exec_lo
	v_cmpx_lt_u32_e64 v31, v13
	s_cbranch_execnz .LBB401_43
.LBB401_36:                             ;   in Loop: Header=BB401_16 Depth=2
	s_or_b32 exec_lo, exec_lo, s8
	s_delay_alu instid0(SALU_CYCLE_1)
	s_mov_b32 s8, exec_lo
	v_cmpx_lt_u32_e64 v35, v13
	s_cbranch_execz .LBB401_44
.LBB401_37:                             ;   in Loop: Header=BB401_16 Depth=2
	v_xor_b32_e32 v4, 0x80, v9
	v_lshlrev_b32_e32 v5, 2, v32
	s_delay_alu instid0(VALU_DEP_2) | instskip(NEXT) | instid1(VALU_DEP_1)
	v_and_b32_e32 v4, 0xff, v4
	v_lshrrev_b32_e32 v4, s30, v4
	s_delay_alu instid0(VALU_DEP_1) | instskip(NEXT) | instid1(VALU_DEP_1)
	v_and_b32_e32 v4, s31, v4
	v_lshl_or_b32 v4, v4, 4, v5
	ds_add_u32 v4, v66
	s_or_b32 exec_lo, exec_lo, s8
	s_delay_alu instid0(SALU_CYCLE_1)
	s_mov_b32 s8, exec_lo
	v_cmpx_lt_u32_e64 v36, v13
	s_cbranch_execnz .LBB401_45
.LBB401_38:                             ;   in Loop: Header=BB401_16 Depth=2
	s_or_b32 exec_lo, exec_lo, s8
	s_delay_alu instid0(SALU_CYCLE_1)
	s_mov_b32 s8, exec_lo
	v_cmpx_lt_u32_e64 v37, v13
	s_cbranch_execz .LBB401_46
.LBB401_39:                             ;   in Loop: Header=BB401_16 Depth=2
	v_xor_b32_e32 v4, 0x80, v11
	v_lshlrev_b32_e32 v5, 2, v32
	s_delay_alu instid0(VALU_DEP_2) | instskip(NEXT) | instid1(VALU_DEP_1)
	v_and_b32_e32 v4, 0xff, v4
	v_lshrrev_b32_e32 v4, s30, v4
	s_delay_alu instid0(VALU_DEP_1) | instskip(NEXT) | instid1(VALU_DEP_1)
	v_and_b32_e32 v4, s31, v4
	v_lshl_or_b32 v4, v4, 4, v5
	ds_add_u32 v4, v66
	s_or_b32 exec_lo, exec_lo, s8
	s_delay_alu instid0(SALU_CYCLE_1)
	s_mov_b32 s8, exec_lo
	v_cmpx_lt_u32_e64 v39, v13
	s_cbranch_execz .LBB401_15
	s_branch .LBB401_47
.LBB401_40:                             ;   in Loop: Header=BB401_16 Depth=2
	s_or_b32 exec_lo, exec_lo, s8
	s_delay_alu instid0(SALU_CYCLE_1)
	s_mov_b32 s8, exec_lo
	v_cmpx_lt_u32_e64 v29, v13
	s_cbranch_execz .LBB401_34
.LBB401_41:                             ;   in Loop: Header=BB401_16 Depth=2
	v_xor_b32_e32 v4, 0x80, v6
	v_lshlrev_b32_e32 v5, 2, v32
	s_delay_alu instid0(VALU_DEP_2) | instskip(NEXT) | instid1(VALU_DEP_1)
	v_and_b32_e32 v4, 0xff, v4
	v_lshrrev_b32_e32 v4, s30, v4
	s_delay_alu instid0(VALU_DEP_1) | instskip(NEXT) | instid1(VALU_DEP_1)
	v_and_b32_e32 v4, s31, v4
	v_lshl_or_b32 v4, v4, 4, v5
	ds_add_u32 v4, v66
	s_or_b32 exec_lo, exec_lo, s8
	s_delay_alu instid0(SALU_CYCLE_1)
	s_mov_b32 s8, exec_lo
	v_cmpx_lt_u32_e64 v30, v13
	s_cbranch_execnz .LBB401_35
.LBB401_42:                             ;   in Loop: Header=BB401_16 Depth=2
	s_or_b32 exec_lo, exec_lo, s8
	s_delay_alu instid0(SALU_CYCLE_1)
	s_mov_b32 s8, exec_lo
	v_cmpx_lt_u32_e64 v31, v13
	s_cbranch_execz .LBB401_36
.LBB401_43:                             ;   in Loop: Header=BB401_16 Depth=2
	v_xor_b32_e32 v4, 0x80, v8
	v_lshlrev_b32_e32 v5, 2, v32
	s_delay_alu instid0(VALU_DEP_2) | instskip(NEXT) | instid1(VALU_DEP_1)
	v_and_b32_e32 v4, 0xff, v4
	v_lshrrev_b32_e32 v4, s30, v4
	s_delay_alu instid0(VALU_DEP_1) | instskip(NEXT) | instid1(VALU_DEP_1)
	v_and_b32_e32 v4, s31, v4
	v_lshl_or_b32 v4, v4, 4, v5
	ds_add_u32 v4, v66
	s_or_b32 exec_lo, exec_lo, s8
	s_delay_alu instid0(SALU_CYCLE_1)
	s_mov_b32 s8, exec_lo
	v_cmpx_lt_u32_e64 v35, v13
	s_cbranch_execnz .LBB401_37
.LBB401_44:                             ;   in Loop: Header=BB401_16 Depth=2
	s_or_b32 exec_lo, exec_lo, s8
	s_delay_alu instid0(SALU_CYCLE_1)
	s_mov_b32 s8, exec_lo
	v_cmpx_lt_u32_e64 v36, v13
	s_cbranch_execz .LBB401_38
.LBB401_45:                             ;   in Loop: Header=BB401_16 Depth=2
	v_xor_b32_e32 v4, 0x80, v10
	v_lshlrev_b32_e32 v5, 2, v32
	s_delay_alu instid0(VALU_DEP_2) | instskip(NEXT) | instid1(VALU_DEP_1)
	v_and_b32_e32 v4, 0xff, v4
	v_lshrrev_b32_e32 v4, s30, v4
	s_delay_alu instid0(VALU_DEP_1) | instskip(NEXT) | instid1(VALU_DEP_1)
	v_and_b32_e32 v4, s31, v4
	v_lshl_or_b32 v4, v4, 4, v5
	ds_add_u32 v4, v66
	s_or_b32 exec_lo, exec_lo, s8
	s_delay_alu instid0(SALU_CYCLE_1)
	s_mov_b32 s8, exec_lo
	v_cmpx_lt_u32_e64 v37, v13
	s_cbranch_execnz .LBB401_39
.LBB401_46:                             ;   in Loop: Header=BB401_16 Depth=2
	s_or_b32 exec_lo, exec_lo, s8
	s_delay_alu instid0(SALU_CYCLE_1)
	s_mov_b32 s8, exec_lo
	v_cmpx_lt_u32_e64 v39, v13
	s_cbranch_execz .LBB401_15
.LBB401_47:                             ;   in Loop: Header=BB401_16 Depth=2
	s_waitcnt vmcnt(0)
	v_xor_b32_e32 v4, 0x80, v12
	v_lshlrev_b32_e32 v5, 2, v32
	s_delay_alu instid0(VALU_DEP_2) | instskip(NEXT) | instid1(VALU_DEP_1)
	v_and_b32_e32 v4, 0xff, v4
	v_lshrrev_b32_e32 v4, s30, v4
	s_delay_alu instid0(VALU_DEP_1) | instskip(NEXT) | instid1(VALU_DEP_1)
	v_and_b32_e32 v4, s31, v4
	v_lshl_or_b32 v4, v4, 4, v5
	ds_add_u32 v4, v66
	s_branch .LBB401_15
.LBB401_48:                             ;   in Loop: Header=BB401_16 Depth=2
	s_or_b32 exec_lo, exec_lo, s12
	s_delay_alu instid0(SALU_CYCLE_1)
	s_mov_b32 s12, exec_lo
	v_cmpx_gt_u32_e64 s0, v29
	s_cbranch_execz .LBB401_22
.LBB401_49:                             ;   in Loop: Header=BB401_16 Depth=2
	v_add_co_u32 v4, s13, s10, v1
	s_delay_alu instid0(VALU_DEP_1) | instskip(SKIP_2) | instid1(SALU_CYCLE_1)
	v_add_co_ci_u32_e64 v5, null, s11, 0, s13
	global_load_u8 v6, v[4:5], off offset:256
	s_or_b32 exec_lo, exec_lo, s12
	s_mov_b32 s12, exec_lo
	v_cmpx_gt_u32_e64 s0, v30
	s_cbranch_execnz .LBB401_23
.LBB401_50:                             ;   in Loop: Header=BB401_16 Depth=2
	s_or_b32 exec_lo, exec_lo, s12
	s_delay_alu instid0(SALU_CYCLE_1)
	s_mov_b32 s12, exec_lo
	v_cmpx_gt_u32_e64 s0, v31
	s_cbranch_execz .LBB401_24
.LBB401_51:                             ;   in Loop: Header=BB401_16 Depth=2
	v_add_co_u32 v4, s13, s10, v1
	s_delay_alu instid0(VALU_DEP_1) | instskip(SKIP_2) | instid1(SALU_CYCLE_1)
	v_add_co_ci_u32_e64 v5, null, s11, 0, s13
	global_load_u8 v8, v[4:5], off offset:768
	s_or_b32 exec_lo, exec_lo, s12
	s_mov_b32 s12, exec_lo
	v_cmpx_gt_u32_e64 s0, v35
	s_cbranch_execnz .LBB401_25
.LBB401_52:                             ;   in Loop: Header=BB401_16 Depth=2
	s_or_b32 exec_lo, exec_lo, s12
	s_delay_alu instid0(SALU_CYCLE_1)
	s_mov_b32 s12, exec_lo
	v_cmpx_gt_u32_e64 s0, v36
	s_cbranch_execz .LBB401_26
.LBB401_53:                             ;   in Loop: Header=BB401_16 Depth=2
	v_add_co_u32 v4, s13, s10, v1
	s_delay_alu instid0(VALU_DEP_1) | instskip(SKIP_2) | instid1(SALU_CYCLE_1)
	v_add_co_ci_u32_e64 v5, null, s11, 0, s13
	global_load_u8 v10, v[4:5], off offset:1280
	s_or_b32 exec_lo, exec_lo, s12
	s_mov_b32 s12, exec_lo
	v_cmpx_gt_u32_e64 s0, v37
	s_cbranch_execz .LBB401_28
	s_branch .LBB401_27
.LBB401_54:                             ;   in Loop: Header=BB401_12 Depth=1
	v_mov_b32_e32 v2, 0
	s_waitcnt vmcnt(0) lgkmcnt(0)
	s_barrier
	buffer_gl0_inv
	s_and_saveexec_b32 s0, s2
	s_cbranch_execz .LBB401_56
; %bb.55:                               ;   in Loop: Header=BB401_12 Depth=1
	ds_load_2addr_b64 v[4:7], v40 offset1:1
	s_waitcnt lgkmcnt(0)
	v_add_nc_u32_e32 v2, v5, v4
	s_delay_alu instid0(VALU_DEP_1)
	v_add3_u32 v2, v2, v6, v7
.LBB401_56:                             ;   in Loop: Header=BB401_12 Depth=1
	s_or_b32 exec_lo, exec_lo, s0
	v_and_b32_e32 v4, 15, v63
	s_delay_alu instid0(VALU_DEP_2) | instskip(SKIP_1) | instid1(VALU_DEP_3)
	v_mov_b32_dpp v5, v2 row_shr:1 row_mask:0xf bank_mask:0xf
	v_and_b32_e32 v6, 16, v63
	v_cmp_eq_u32_e64 s0, 0, v4
	v_cmp_lt_u32_e64 s1, 1, v4
	v_cmp_lt_u32_e64 s8, 3, v4
	;; [unrolled: 1-line block ×3, first 2 shown]
	v_cmp_eq_u32_e64 s10, 0, v6
	v_cndmask_b32_e64 v5, v5, 0, s0
	s_delay_alu instid0(VALU_DEP_1) | instskip(NEXT) | instid1(VALU_DEP_1)
	v_add_nc_u32_e32 v2, v5, v2
	v_mov_b32_dpp v5, v2 row_shr:2 row_mask:0xf bank_mask:0xf
	s_delay_alu instid0(VALU_DEP_1) | instskip(NEXT) | instid1(VALU_DEP_1)
	v_cndmask_b32_e64 v5, 0, v5, s1
	v_add_nc_u32_e32 v2, v2, v5
	s_delay_alu instid0(VALU_DEP_1) | instskip(NEXT) | instid1(VALU_DEP_1)
	v_mov_b32_dpp v5, v2 row_shr:4 row_mask:0xf bank_mask:0xf
	v_cndmask_b32_e64 v5, 0, v5, s8
	s_delay_alu instid0(VALU_DEP_1) | instskip(NEXT) | instid1(VALU_DEP_1)
	v_add_nc_u32_e32 v2, v2, v5
	v_mov_b32_dpp v5, v2 row_shr:8 row_mask:0xf bank_mask:0xf
	s_delay_alu instid0(VALU_DEP_1) | instskip(SKIP_1) | instid1(VALU_DEP_2)
	v_cndmask_b32_e64 v4, 0, v5, s9
	v_bfe_i32 v5, v63, 4, 1
	v_add_nc_u32_e32 v2, v2, v4
	ds_swizzle_b32 v4, v2 offset:swizzle(BROADCAST,32,15)
	s_waitcnt lgkmcnt(0)
	v_and_b32_e32 v4, v5, v4
	s_delay_alu instid0(VALU_DEP_1)
	v_add_nc_u32_e32 v4, v2, v4
	s_and_saveexec_b32 s11, s3
	s_cbranch_execz .LBB401_58
; %bb.57:                               ;   in Loop: Header=BB401_12 Depth=1
	ds_store_b32 v41, v4
.LBB401_58:                             ;   in Loop: Header=BB401_12 Depth=1
	s_or_b32 exec_lo, exec_lo, s11
	v_and_b32_e32 v2, 7, v63
	s_waitcnt lgkmcnt(0)
	s_barrier
	buffer_gl0_inv
	s_and_saveexec_b32 s11, s4
	s_cbranch_execz .LBB401_60
; %bb.59:                               ;   in Loop: Header=BB401_12 Depth=1
	ds_load_b32 v5, v42
	v_cmp_ne_u32_e32 vcc_lo, 0, v2
	s_waitcnt lgkmcnt(0)
	v_mov_b32_dpp v6, v5 row_shr:1 row_mask:0xf bank_mask:0xf
	s_delay_alu instid0(VALU_DEP_1) | instskip(SKIP_1) | instid1(VALU_DEP_2)
	v_cndmask_b32_e32 v6, 0, v6, vcc_lo
	v_cmp_lt_u32_e32 vcc_lo, 1, v2
	v_add_nc_u32_e32 v5, v6, v5
	s_delay_alu instid0(VALU_DEP_1) | instskip(NEXT) | instid1(VALU_DEP_1)
	v_mov_b32_dpp v6, v5 row_shr:2 row_mask:0xf bank_mask:0xf
	v_cndmask_b32_e32 v6, 0, v6, vcc_lo
	v_cmp_lt_u32_e32 vcc_lo, 3, v2
	s_delay_alu instid0(VALU_DEP_2) | instskip(NEXT) | instid1(VALU_DEP_1)
	v_add_nc_u32_e32 v5, v5, v6
	v_mov_b32_dpp v6, v5 row_shr:4 row_mask:0xf bank_mask:0xf
	s_delay_alu instid0(VALU_DEP_1) | instskip(NEXT) | instid1(VALU_DEP_1)
	v_cndmask_b32_e32 v6, 0, v6, vcc_lo
	v_add_nc_u32_e32 v5, v5, v6
	ds_store_b32 v42, v5
.LBB401_60:                             ;   in Loop: Header=BB401_12 Depth=1
	s_or_b32 exec_lo, exec_lo, s11
	v_mov_b32_e32 v5, 0
	s_waitcnt lgkmcnt(0)
	s_barrier
	buffer_gl0_inv
	s_and_saveexec_b32 s11, s5
	s_cbranch_execz .LBB401_62
; %bb.61:                               ;   in Loop: Header=BB401_12 Depth=1
	ds_load_b32 v5, v43
.LBB401_62:                             ;   in Loop: Header=BB401_12 Depth=1
	s_or_b32 exec_lo, exec_lo, s11
	v_add_nc_u32_e32 v6, -1, v63
	s_waitcnt lgkmcnt(0)
	v_add_nc_u32_e32 v4, v5, v4
	v_cmp_eq_u32_e64 s11, 0, v63
	s_barrier
	v_cmp_gt_i32_e32 vcc_lo, 0, v6
	buffer_gl0_inv
	v_cndmask_b32_e32 v6, v6, v63, vcc_lo
	s_delay_alu instid0(VALU_DEP_1)
	v_lshlrev_b32_e32 v69, 2, v6
	ds_bpermute_b32 v4, v69, v4
	s_and_saveexec_b32 s12, s2
	s_cbranch_execz .LBB401_64
; %bb.63:                               ;   in Loop: Header=BB401_12 Depth=1
	s_waitcnt lgkmcnt(0)
	v_cndmask_b32_e64 v4, v4, v5, s11
	s_delay_alu instid0(VALU_DEP_1)
	v_add_nc_u32_e32 v4, s27, v4
	ds_store_b32 v28, v4
.LBB401_64:                             ;   in Loop: Header=BB401_12 Depth=1
	s_or_b32 exec_lo, exec_lo, s12
	s_clause 0x1
	s_load_b32 s12, s[28:29], 0x4
	s_load_b32 s16, s[28:29], 0xc
	v_lshlrev_b32_e32 v5, 3, v63
	v_cmp_lt_u32_e64 s14, 3, v2
	v_or_b32_e32 v70, v63, v44
	s_mov_b32 s42, s35
	s_mov_b32 s24, s27
	v_add_co_u32 v71, vcc_lo, v50, v5
	v_add_co_ci_u32_e32 v72, vcc_lo, 0, v51, vcc_lo
	v_add_co_u32 v81, vcc_lo, 0xe0, v67
	v_or_b32_e32 v73, 32, v70
	v_or_b32_e32 v74, 64, v70
	;; [unrolled: 1-line block ×7, first 2 shown]
	s_waitcnt lgkmcnt(0)
	s_cmp_lt_u32 s15, s12
	v_add_co_ci_u32_e32 v82, vcc_lo, 0, v68, vcc_lo
	s_cselect_b32 s12, 14, 20
                                        ; implicit-def: $vgpr6_vgpr7
                                        ; implicit-def: $vgpr8_vgpr9
                                        ; implicit-def: $vgpr10_vgpr11
                                        ; implicit-def: $vgpr12_vgpr13
                                        ; implicit-def: $vgpr14_vgpr15
                                        ; implicit-def: $vgpr16_vgpr17
                                        ; implicit-def: $vgpr18_vgpr19
                                        ; implicit-def: $vgpr83
                                        ; implicit-def: $vgpr84
                                        ; implicit-def: $vgpr85
                                        ; implicit-def: $vgpr86
                                        ; implicit-def: $vgpr87
                                        ; implicit-def: $vgpr88
                                        ; implicit-def: $vgpr89
                                        ; implicit-def: $vgpr90
	s_delay_alu instid0(SALU_CYCLE_1)
	s_add_u32 s12, s28, s12
	s_addc_u32 s13, s29, 0
	s_and_b32 s16, s16, 0xffff
	global_load_u16 v4, v3, s[12:13]
	v_cmp_eq_u32_e64 s12, 0, v2
	v_cmp_lt_u32_e64 s13, 1, v2
	s_waitcnt vmcnt(0)
	v_mad_u32_u24 v2, v45, v4, v0
	s_delay_alu instid0(VALU_DEP_1) | instskip(NEXT) | instid1(VALU_DEP_1)
	v_mad_u64_u32 v[4:5], null, v2, s16, v[1:2]
	v_lshrrev_b32_e32 v80, 5, v4
                                        ; implicit-def: $vgpr4_vgpr5
	s_branch .LBB401_66
.LBB401_65:                             ;   in Loop: Header=BB401_66 Depth=2
	s_or_b32 exec_lo, exec_lo, s16
	s_addk_i32 s42, 0xf800
	s_cmp_lt_u32 s43, s33
	s_mov_b32 s24, s43
	s_cbranch_scc0 .LBB401_178
.LBB401_66:                             ;   Parent Loop BB401_12 Depth=1
                                        ; =>  This Inner Loop Header: Depth=2
	s_add_i32 s43, s24, 0x800
	s_delay_alu instid0(SALU_CYCLE_1)
	s_cmp_gt_u32 s43, s33
	s_cbranch_scc1 .LBB401_69
; %bb.67:                               ;   in Loop: Header=BB401_66 Depth=2
	v_add_co_u32 v20, vcc_lo, v67, s24
	v_add_co_ci_u32_e32 v21, vcc_lo, 0, v68, vcc_lo
	s_mov_b32 s17, 0
	s_mov_b32 s16, s24
	s_mov_b32 s19, -1
	s_clause 0x6
	global_load_u8 v23, v[20:21], off offset:192
	global_load_u8 v24, v[20:21], off offset:160
	;; [unrolled: 1-line block ×6, first 2 shown]
	global_load_u8 v91, v[20:21], off
	s_movk_i32 s18, 0x800
	s_cbranch_execz .LBB401_70
; %bb.68:                               ;   in Loop: Header=BB401_66 Depth=2
                                        ; implicit-def: $vgpr22
	v_mov_b32_e32 v2, s42
	s_and_saveexec_b32 s20, s19
	s_cbranch_execnz .LBB401_79
	s_branch .LBB401_80
.LBB401_69:                             ;   in Loop: Header=BB401_66 Depth=2
	s_mov_b32 s17, -1
	s_mov_b32 s19, 0
                                        ; implicit-def: $sgpr18
                                        ; implicit-def: $vgpr91
                                        ; implicit-def: $vgpr93
                                        ; implicit-def: $vgpr27
                                        ; implicit-def: $vgpr26
                                        ; implicit-def: $vgpr25
                                        ; implicit-def: $vgpr24
                                        ; implicit-def: $vgpr23
.LBB401_70:                             ;   in Loop: Header=BB401_66 Depth=2
	v_add_co_u32 v20, vcc_lo, v67, s24
	v_add_co_ci_u32_e32 v21, vcc_lo, 0, v68, vcc_lo
	s_waitcnt vmcnt(0)
	v_dual_mov_b32 v91, 0x7f :: v_dual_mov_b32 v22, 0x7f
	v_dual_mov_b32 v93, 0x7f :: v_dual_mov_b32 v26, 0x7f
	;; [unrolled: 1-line block ×3, first 2 shown]
	v_mov_b32_e32 v25, 0x7f
	v_mov_b32_e32 v23, 0x7f
	s_mov_b32 s16, exec_lo
	v_cmpx_gt_u32_e64 s42, v70
	s_cbranch_execz .LBB401_172
; %bb.71:                               ;   in Loop: Header=BB401_66 Depth=2
	global_load_u8 v91, v[20:21], off
	v_dual_mov_b32 v93, 0x7f :: v_dual_mov_b32 v26, 0x7f
	v_dual_mov_b32 v27, 0x7f :: v_dual_mov_b32 v24, 0x7f
	;; [unrolled: 1-line block ×3, first 2 shown]
	v_mov_b32_e32 v23, 0x7f
	s_or_b32 exec_lo, exec_lo, s16
	s_delay_alu instid0(SALU_CYCLE_1)
	s_mov_b32 s16, exec_lo
	v_cmpx_gt_u32_e64 s42, v73
	s_cbranch_execnz .LBB401_173
.LBB401_72:                             ;   in Loop: Header=BB401_66 Depth=2
	s_or_b32 exec_lo, exec_lo, s16
	s_delay_alu instid0(SALU_CYCLE_1)
	s_mov_b32 s16, exec_lo
	v_cmpx_gt_u32_e64 s42, v74
	s_cbranch_execz .LBB401_174
.LBB401_73:                             ;   in Loop: Header=BB401_66 Depth=2
	global_load_u8 v27, v[20:21], off offset:64
	s_or_b32 exec_lo, exec_lo, s16
	s_delay_alu instid0(SALU_CYCLE_1)
	s_mov_b32 s16, exec_lo
	v_cmpx_gt_u32_e64 s42, v75
	s_cbranch_execnz .LBB401_175
.LBB401_74:                             ;   in Loop: Header=BB401_66 Depth=2
	s_or_b32 exec_lo, exec_lo, s16
	s_delay_alu instid0(SALU_CYCLE_1)
	s_mov_b32 s16, exec_lo
	v_cmpx_gt_u32_e64 s42, v76
	s_cbranch_execz .LBB401_176
.LBB401_75:                             ;   in Loop: Header=BB401_66 Depth=2
	global_load_u8 v25, v[20:21], off offset:128
	s_or_b32 exec_lo, exec_lo, s16
	s_delay_alu instid0(SALU_CYCLE_1)
	s_mov_b32 s16, exec_lo
	v_cmpx_gt_u32_e64 s42, v77
	s_cbranch_execnz .LBB401_177
.LBB401_76:                             ;   in Loop: Header=BB401_66 Depth=2
	s_or_b32 exec_lo, exec_lo, s16
	s_delay_alu instid0(SALU_CYCLE_1)
	s_mov_b32 s16, exec_lo
	v_cmpx_gt_u32_e64 s42, v78
	s_cbranch_execz .LBB401_78
.LBB401_77:                             ;   in Loop: Header=BB401_66 Depth=2
	global_load_u8 v23, v[20:21], off offset:192
.LBB401_78:                             ;   in Loop: Header=BB401_66 Depth=2
	s_or_b32 exec_lo, exec_lo, s16
	v_cmp_gt_u32_e64 s19, s42, v79
	s_sub_i32 s18, s33, s24
	s_mov_b64 s[16:17], s[24:25]
	v_mov_b32_e32 v2, s42
	s_delay_alu instid0(VALU_DEP_2)
	s_and_saveexec_b32 s20, s19
	s_cbranch_execz .LBB401_80
.LBB401_79:                             ;   in Loop: Header=BB401_66 Depth=2
	v_add_co_u32 v20, vcc_lo, v81, s16
	v_add_co_ci_u32_e32 v21, vcc_lo, s17, v82, vcc_lo
	v_mov_b32_e32 v2, s18
	global_load_u8 v22, v[20:21], off
.LBB401_80:                             ;   in Loop: Header=BB401_66 Depth=2
	s_or_b32 exec_lo, exec_lo, s20
	s_waitcnt vmcnt(0)
	v_xor_b32_e32 v91, 0xffffff80, v91
	ds_store_b32 v46, v3 offset:1056
	ds_store_2addr_b32 v47, v3, v3 offset0:1 offset1:2
	ds_store_2addr_b32 v47, v3, v3 offset0:3 offset1:4
	;; [unrolled: 1-line block ×4, first 2 shown]
	s_waitcnt lgkmcnt(0)
	s_barrier
	v_and_b32_e32 v20, 0xff, v91
	buffer_gl0_inv
	; wave barrier
	v_lshrrev_b32_e32 v20, s30, v20
	s_delay_alu instid0(VALU_DEP_1) | instskip(NEXT) | instid1(VALU_DEP_1)
	v_and_b32_e32 v21, s31, v20
	v_and_b32_e32 v20, 1, v21
	v_lshlrev_b32_e32 v92, 30, v21
	v_lshlrev_b32_e32 v94, 29, v21
	;; [unrolled: 1-line block ×4, first 2 shown]
	v_add_co_u32 v20, s16, v20, -1
	s_delay_alu instid0(VALU_DEP_1)
	v_cndmask_b32_e64 v96, 0, 1, s16
	v_not_b32_e32 v100, v92
	v_cmp_gt_i32_e64 s16, 0, v92
	v_not_b32_e32 v92, v94
	v_lshlrev_b32_e32 v98, 26, v21
	v_cmp_ne_u32_e32 vcc_lo, 0, v96
	v_ashrrev_i32_e32 v100, 31, v100
	v_lshlrev_b32_e32 v99, 25, v21
	v_ashrrev_i32_e32 v92, 31, v92
	v_lshlrev_b32_e32 v96, 24, v21
	v_xor_b32_e32 v20, vcc_lo, v20
	v_cmp_gt_i32_e32 vcc_lo, 0, v94
	v_not_b32_e32 v94, v95
	v_xor_b32_e32 v100, s16, v100
	v_cmp_gt_i32_e64 s16, 0, v95
	v_and_b32_e32 v20, exec_lo, v20
	v_not_b32_e32 v95, v97
	v_ashrrev_i32_e32 v94, 31, v94
	v_xor_b32_e32 v92, vcc_lo, v92
	v_cmp_gt_i32_e32 vcc_lo, 0, v97
	v_and_b32_e32 v20, v20, v100
	v_not_b32_e32 v97, v98
	v_ashrrev_i32_e32 v95, 31, v95
	v_xor_b32_e32 v94, s16, v94
	v_cmp_gt_i32_e64 s16, 0, v98
	v_and_b32_e32 v20, v20, v92
	v_not_b32_e32 v92, v99
	v_ashrrev_i32_e32 v97, 31, v97
	v_xor_b32_e32 v95, vcc_lo, v95
	v_cmp_gt_i32_e32 vcc_lo, 0, v99
	v_and_b32_e32 v20, v20, v94
	v_not_b32_e32 v94, v96
	v_ashrrev_i32_e32 v92, 31, v92
	v_xor_b32_e32 v97, s16, v97
	v_cmp_gt_i32_e64 s16, 0, v96
	v_and_b32_e32 v20, v20, v95
	v_ashrrev_i32_e32 v94, 31, v94
	v_xor_b32_e32 v92, vcc_lo, v92
	v_mad_u32_u24 v21, v21, 9, v80
	s_delay_alu instid0(VALU_DEP_4) | instskip(NEXT) | instid1(VALU_DEP_4)
	v_and_b32_e32 v20, v20, v97
	v_xor_b32_e32 v94, s16, v94
	s_delay_alu instid0(VALU_DEP_2) | instskip(NEXT) | instid1(VALU_DEP_1)
	v_and_b32_e32 v20, v20, v92
	v_and_b32_e32 v20, v20, v94
	v_lshl_add_u32 v94, v21, 2, 0x420
	s_delay_alu instid0(VALU_DEP_2) | instskip(SKIP_1) | instid1(VALU_DEP_2)
	v_mbcnt_lo_u32_b32 v92, v20, 0
	v_cmp_ne_u32_e64 s16, 0, v20
	v_cmp_eq_u32_e32 vcc_lo, 0, v92
	s_delay_alu instid0(VALU_DEP_2) | instskip(NEXT) | instid1(SALU_CYCLE_1)
	s_and_b32 s17, s16, vcc_lo
	s_and_saveexec_b32 s16, s17
	s_cbranch_execz .LBB401_82
; %bb.81:                               ;   in Loop: Header=BB401_66 Depth=2
	v_bcnt_u32_b32 v20, v20, 0
	ds_store_b32 v94, v20
.LBB401_82:                             ;   in Loop: Header=BB401_66 Depth=2
	s_or_b32 exec_lo, exec_lo, s16
	v_xor_b32_e32 v93, 0xffffff80, v93
	; wave barrier
	s_delay_alu instid0(VALU_DEP_1) | instskip(NEXT) | instid1(VALU_DEP_1)
	v_and_b32_e32 v20, 0xff, v93
	v_lshrrev_b32_e32 v20, s30, v20
	s_delay_alu instid0(VALU_DEP_1) | instskip(NEXT) | instid1(VALU_DEP_1)
	v_and_b32_e32 v20, s31, v20
	v_and_b32_e32 v21, 1, v20
	v_lshlrev_b32_e32 v95, 30, v20
	v_lshlrev_b32_e32 v96, 29, v20
	v_lshlrev_b32_e32 v97, 28, v20
	v_lshlrev_b32_e32 v99, 27, v20
	v_add_co_u32 v21, s16, v21, -1
	s_delay_alu instid0(VALU_DEP_1)
	v_cndmask_b32_e64 v98, 0, 1, s16
	v_not_b32_e32 v102, v95
	v_cmp_gt_i32_e64 s16, 0, v95
	v_not_b32_e32 v95, v96
	v_lshlrev_b32_e32 v100, 26, v20
	v_cmp_ne_u32_e32 vcc_lo, 0, v98
	v_ashrrev_i32_e32 v102, 31, v102
	v_lshlrev_b32_e32 v101, 25, v20
	v_ashrrev_i32_e32 v95, 31, v95
	v_lshlrev_b32_e32 v98, 24, v20
	v_xor_b32_e32 v21, vcc_lo, v21
	v_cmp_gt_i32_e32 vcc_lo, 0, v96
	v_not_b32_e32 v96, v97
	v_xor_b32_e32 v102, s16, v102
	v_cmp_gt_i32_e64 s16, 0, v97
	v_and_b32_e32 v21, exec_lo, v21
	v_not_b32_e32 v97, v99
	v_ashrrev_i32_e32 v96, 31, v96
	v_xor_b32_e32 v95, vcc_lo, v95
	v_cmp_gt_i32_e32 vcc_lo, 0, v99
	v_and_b32_e32 v21, v21, v102
	v_not_b32_e32 v99, v100
	v_ashrrev_i32_e32 v97, 31, v97
	v_xor_b32_e32 v96, s16, v96
	v_cmp_gt_i32_e64 s16, 0, v100
	v_and_b32_e32 v21, v21, v95
	v_not_b32_e32 v95, v101
	v_ashrrev_i32_e32 v99, 31, v99
	v_xor_b32_e32 v97, vcc_lo, v97
	v_cmp_gt_i32_e32 vcc_lo, 0, v101
	v_and_b32_e32 v21, v21, v96
	v_not_b32_e32 v96, v98
	v_ashrrev_i32_e32 v95, 31, v95
	v_xor_b32_e32 v99, s16, v99
	v_mul_u32_u24_e32 v20, 9, v20
	v_and_b32_e32 v21, v21, v97
	v_cmp_gt_i32_e64 s16, 0, v98
	v_ashrrev_i32_e32 v96, 31, v96
	v_xor_b32_e32 v95, vcc_lo, v95
	v_add_lshl_u32 v97, v20, v80, 2
	v_and_b32_e32 v21, v21, v99
	s_delay_alu instid0(VALU_DEP_4) | instskip(NEXT) | instid1(VALU_DEP_3)
	v_xor_b32_e32 v20, s16, v96
	v_add_nc_u32_e32 v98, 0x420, v97
	s_delay_alu instid0(VALU_DEP_3) | instskip(SKIP_2) | instid1(VALU_DEP_1)
	v_and_b32_e32 v21, v21, v95
	ds_load_b32 v95, v97 offset:1056
	; wave barrier
	v_and_b32_e32 v20, v21, v20
	v_mbcnt_lo_u32_b32 v96, v20, 0
	v_cmp_ne_u32_e64 s16, 0, v20
	s_delay_alu instid0(VALU_DEP_2) | instskip(NEXT) | instid1(VALU_DEP_2)
	v_cmp_eq_u32_e32 vcc_lo, 0, v96
	s_and_b32 s17, s16, vcc_lo
	s_delay_alu instid0(SALU_CYCLE_1)
	s_and_saveexec_b32 s16, s17
	s_cbranch_execz .LBB401_84
; %bb.83:                               ;   in Loop: Header=BB401_66 Depth=2
	s_waitcnt lgkmcnt(0)
	v_bcnt_u32_b32 v20, v20, v95
	ds_store_b32 v98, v20
.LBB401_84:                             ;   in Loop: Header=BB401_66 Depth=2
	s_or_b32 exec_lo, exec_lo, s16
	v_xor_b32_e32 v97, 0xffffff80, v27
	; wave barrier
	s_delay_alu instid0(VALU_DEP_1) | instskip(NEXT) | instid1(VALU_DEP_1)
	v_and_b32_e32 v20, 0xff, v97
	v_lshrrev_b32_e32 v20, s30, v20
	s_delay_alu instid0(VALU_DEP_1) | instskip(NEXT) | instid1(VALU_DEP_1)
	v_and_b32_e32 v20, s31, v20
	v_and_b32_e32 v21, 1, v20
	v_lshlrev_b32_e32 v27, 30, v20
	v_lshlrev_b32_e32 v99, 29, v20
	;; [unrolled: 1-line block ×4, first 2 shown]
	v_add_co_u32 v21, s16, v21, -1
	s_delay_alu instid0(VALU_DEP_1)
	v_cndmask_b32_e64 v101, 0, 1, s16
	v_not_b32_e32 v105, v27
	v_cmp_gt_i32_e64 s16, 0, v27
	v_not_b32_e32 v27, v99
	v_lshlrev_b32_e32 v103, 26, v20
	v_cmp_ne_u32_e32 vcc_lo, 0, v101
	v_ashrrev_i32_e32 v105, 31, v105
	v_lshlrev_b32_e32 v104, 25, v20
	v_ashrrev_i32_e32 v27, 31, v27
	v_lshlrev_b32_e32 v101, 24, v20
	v_xor_b32_e32 v21, vcc_lo, v21
	v_cmp_gt_i32_e32 vcc_lo, 0, v99
	v_not_b32_e32 v99, v100
	v_xor_b32_e32 v105, s16, v105
	v_cmp_gt_i32_e64 s16, 0, v100
	v_and_b32_e32 v21, exec_lo, v21
	v_not_b32_e32 v100, v102
	v_ashrrev_i32_e32 v99, 31, v99
	v_xor_b32_e32 v27, vcc_lo, v27
	v_cmp_gt_i32_e32 vcc_lo, 0, v102
	v_and_b32_e32 v21, v21, v105
	v_not_b32_e32 v102, v103
	v_ashrrev_i32_e32 v100, 31, v100
	v_xor_b32_e32 v99, s16, v99
	v_cmp_gt_i32_e64 s16, 0, v103
	v_and_b32_e32 v21, v21, v27
	v_not_b32_e32 v27, v104
	v_ashrrev_i32_e32 v102, 31, v102
	v_xor_b32_e32 v100, vcc_lo, v100
	v_cmp_gt_i32_e32 vcc_lo, 0, v104
	v_and_b32_e32 v21, v21, v99
	v_not_b32_e32 v99, v101
	v_ashrrev_i32_e32 v27, 31, v27
	v_xor_b32_e32 v102, s16, v102
	v_mul_u32_u24_e32 v20, 9, v20
	v_and_b32_e32 v21, v21, v100
	v_cmp_gt_i32_e64 s16, 0, v101
	v_ashrrev_i32_e32 v99, 31, v99
	v_xor_b32_e32 v27, vcc_lo, v27
	v_add_lshl_u32 v101, v20, v80, 2
	v_and_b32_e32 v21, v21, v102
	s_delay_alu instid0(VALU_DEP_4) | instskip(SKIP_3) | instid1(VALU_DEP_2)
	v_xor_b32_e32 v20, s16, v99
	ds_load_b32 v99, v101 offset:1056
	v_and_b32_e32 v21, v21, v27
	v_add_nc_u32_e32 v102, 0x420, v101
	; wave barrier
	v_and_b32_e32 v20, v21, v20
	s_delay_alu instid0(VALU_DEP_1) | instskip(SKIP_1) | instid1(VALU_DEP_2)
	v_mbcnt_lo_u32_b32 v100, v20, 0
	v_cmp_ne_u32_e64 s16, 0, v20
	v_cmp_eq_u32_e32 vcc_lo, 0, v100
	s_delay_alu instid0(VALU_DEP_2) | instskip(NEXT) | instid1(SALU_CYCLE_1)
	s_and_b32 s17, s16, vcc_lo
	s_and_saveexec_b32 s16, s17
	s_cbranch_execz .LBB401_86
; %bb.85:                               ;   in Loop: Header=BB401_66 Depth=2
	s_waitcnt lgkmcnt(0)
	v_bcnt_u32_b32 v20, v20, v99
	ds_store_b32 v102, v20
.LBB401_86:                             ;   in Loop: Header=BB401_66 Depth=2
	s_or_b32 exec_lo, exec_lo, s16
	v_xor_b32_e32 v101, 0xffffff80, v26
	; wave barrier
	s_delay_alu instid0(VALU_DEP_1) | instskip(NEXT) | instid1(VALU_DEP_1)
	v_and_b32_e32 v20, 0xff, v101
	v_lshrrev_b32_e32 v20, s30, v20
	s_delay_alu instid0(VALU_DEP_1) | instskip(NEXT) | instid1(VALU_DEP_1)
	v_and_b32_e32 v20, s31, v20
	v_and_b32_e32 v21, 1, v20
	v_lshlrev_b32_e32 v26, 30, v20
	v_lshlrev_b32_e32 v27, 29, v20
	;; [unrolled: 1-line block ×4, first 2 shown]
	v_add_co_u32 v21, s16, v21, -1
	s_delay_alu instid0(VALU_DEP_1)
	v_cndmask_b32_e64 v104, 0, 1, s16
	v_not_b32_e32 v108, v26
	v_cmp_gt_i32_e64 s16, 0, v26
	v_not_b32_e32 v26, v27
	v_lshlrev_b32_e32 v106, 26, v20
	v_cmp_ne_u32_e32 vcc_lo, 0, v104
	v_ashrrev_i32_e32 v108, 31, v108
	v_lshlrev_b32_e32 v107, 25, v20
	v_ashrrev_i32_e32 v26, 31, v26
	v_lshlrev_b32_e32 v104, 24, v20
	v_xor_b32_e32 v21, vcc_lo, v21
	v_cmp_gt_i32_e32 vcc_lo, 0, v27
	v_not_b32_e32 v27, v103
	v_xor_b32_e32 v108, s16, v108
	v_cmp_gt_i32_e64 s16, 0, v103
	v_and_b32_e32 v21, exec_lo, v21
	v_not_b32_e32 v103, v105
	v_ashrrev_i32_e32 v27, 31, v27
	v_xor_b32_e32 v26, vcc_lo, v26
	v_cmp_gt_i32_e32 vcc_lo, 0, v105
	v_and_b32_e32 v21, v21, v108
	v_not_b32_e32 v105, v106
	v_ashrrev_i32_e32 v103, 31, v103
	v_xor_b32_e32 v27, s16, v27
	v_cmp_gt_i32_e64 s16, 0, v106
	v_and_b32_e32 v21, v21, v26
	v_not_b32_e32 v26, v107
	v_ashrrev_i32_e32 v105, 31, v105
	v_xor_b32_e32 v103, vcc_lo, v103
	v_cmp_gt_i32_e32 vcc_lo, 0, v107
	v_and_b32_e32 v21, v21, v27
	v_not_b32_e32 v27, v104
	v_ashrrev_i32_e32 v26, 31, v26
	v_xor_b32_e32 v105, s16, v105
	v_mul_u32_u24_e32 v20, 9, v20
	v_and_b32_e32 v21, v21, v103
	v_cmp_gt_i32_e64 s16, 0, v104
	v_ashrrev_i32_e32 v27, 31, v27
	v_xor_b32_e32 v26, vcc_lo, v26
	s_delay_alu instid0(VALU_DEP_4) | instskip(SKIP_1) | instid1(VALU_DEP_4)
	v_and_b32_e32 v21, v21, v105
	v_add_lshl_u32 v105, v20, v80, 2
	v_xor_b32_e32 v20, s16, v27
	s_delay_alu instid0(VALU_DEP_3) | instskip(SKIP_3) | instid1(VALU_DEP_1)
	v_and_b32_e32 v21, v21, v26
	ds_load_b32 v103, v105 offset:1056
	v_add_nc_u32_e32 v106, 0x420, v105
	; wave barrier
	v_and_b32_e32 v20, v21, v20
	v_mbcnt_lo_u32_b32 v104, v20, 0
	v_cmp_ne_u32_e64 s16, 0, v20
	s_delay_alu instid0(VALU_DEP_2) | instskip(NEXT) | instid1(VALU_DEP_2)
	v_cmp_eq_u32_e32 vcc_lo, 0, v104
	s_and_b32 s17, s16, vcc_lo
	s_delay_alu instid0(SALU_CYCLE_1)
	s_and_saveexec_b32 s16, s17
	s_cbranch_execz .LBB401_88
; %bb.87:                               ;   in Loop: Header=BB401_66 Depth=2
	s_waitcnt lgkmcnt(0)
	v_bcnt_u32_b32 v20, v20, v103
	ds_store_b32 v106, v20
.LBB401_88:                             ;   in Loop: Header=BB401_66 Depth=2
	s_or_b32 exec_lo, exec_lo, s16
	v_xor_b32_e32 v105, 0xffffff80, v25
	; wave barrier
	s_delay_alu instid0(VALU_DEP_1) | instskip(NEXT) | instid1(VALU_DEP_1)
	v_and_b32_e32 v20, 0xff, v105
	v_lshrrev_b32_e32 v20, s30, v20
	s_delay_alu instid0(VALU_DEP_1) | instskip(NEXT) | instid1(VALU_DEP_1)
	v_and_b32_e32 v20, s31, v20
	v_and_b32_e32 v21, 1, v20
	v_lshlrev_b32_e32 v25, 30, v20
	v_lshlrev_b32_e32 v26, 29, v20
	;; [unrolled: 1-line block ×4, first 2 shown]
	v_add_co_u32 v21, s16, v21, -1
	s_delay_alu instid0(VALU_DEP_1)
	v_cndmask_b32_e64 v107, 0, 1, s16
	v_not_b32_e32 v111, v25
	v_cmp_gt_i32_e64 s16, 0, v25
	v_not_b32_e32 v25, v26
	v_lshlrev_b32_e32 v109, 26, v20
	v_cmp_ne_u32_e32 vcc_lo, 0, v107
	v_ashrrev_i32_e32 v111, 31, v111
	v_lshlrev_b32_e32 v110, 25, v20
	v_ashrrev_i32_e32 v25, 31, v25
	v_lshlrev_b32_e32 v107, 24, v20
	v_xor_b32_e32 v21, vcc_lo, v21
	v_cmp_gt_i32_e32 vcc_lo, 0, v26
	v_not_b32_e32 v26, v27
	v_xor_b32_e32 v111, s16, v111
	v_cmp_gt_i32_e64 s16, 0, v27
	v_and_b32_e32 v21, exec_lo, v21
	v_not_b32_e32 v27, v108
	v_ashrrev_i32_e32 v26, 31, v26
	v_xor_b32_e32 v25, vcc_lo, v25
	v_cmp_gt_i32_e32 vcc_lo, 0, v108
	v_and_b32_e32 v21, v21, v111
	v_not_b32_e32 v108, v109
	v_ashrrev_i32_e32 v27, 31, v27
	v_xor_b32_e32 v26, s16, v26
	v_cmp_gt_i32_e64 s16, 0, v109
	v_and_b32_e32 v21, v21, v25
	v_not_b32_e32 v25, v110
	v_ashrrev_i32_e32 v108, 31, v108
	v_xor_b32_e32 v27, vcc_lo, v27
	v_cmp_gt_i32_e32 vcc_lo, 0, v110
	v_and_b32_e32 v21, v21, v26
	v_not_b32_e32 v26, v107
	v_ashrrev_i32_e32 v25, 31, v25
	v_xor_b32_e32 v108, s16, v108
	v_mul_u32_u24_e32 v20, 9, v20
	v_and_b32_e32 v21, v21, v27
	v_cmp_gt_i32_e64 s16, 0, v107
	v_ashrrev_i32_e32 v26, 31, v26
	v_xor_b32_e32 v25, vcc_lo, v25
	v_add_lshl_u32 v27, v20, v80, 2
	v_and_b32_e32 v21, v21, v108
	s_delay_alu instid0(VALU_DEP_4) | instskip(SKIP_3) | instid1(VALU_DEP_2)
	v_xor_b32_e32 v20, s16, v26
	ds_load_b32 v107, v27 offset:1056
	v_and_b32_e32 v21, v21, v25
	v_add_nc_u32_e32 v110, 0x420, v27
	; wave barrier
	v_and_b32_e32 v20, v21, v20
	s_delay_alu instid0(VALU_DEP_1) | instskip(SKIP_1) | instid1(VALU_DEP_2)
	v_mbcnt_lo_u32_b32 v108, v20, 0
	v_cmp_ne_u32_e64 s16, 0, v20
	v_cmp_eq_u32_e32 vcc_lo, 0, v108
	s_delay_alu instid0(VALU_DEP_2) | instskip(NEXT) | instid1(SALU_CYCLE_1)
	s_and_b32 s17, s16, vcc_lo
	s_and_saveexec_b32 s16, s17
	s_cbranch_execz .LBB401_90
; %bb.89:                               ;   in Loop: Header=BB401_66 Depth=2
	s_waitcnt lgkmcnt(0)
	v_bcnt_u32_b32 v20, v20, v107
	ds_store_b32 v110, v20
.LBB401_90:                             ;   in Loop: Header=BB401_66 Depth=2
	s_or_b32 exec_lo, exec_lo, s16
	v_xor_b32_e32 v109, 0xffffff80, v24
	; wave barrier
	s_delay_alu instid0(VALU_DEP_1) | instskip(NEXT) | instid1(VALU_DEP_1)
	v_and_b32_e32 v20, 0xff, v109
	v_lshrrev_b32_e32 v20, s30, v20
	s_delay_alu instid0(VALU_DEP_1) | instskip(NEXT) | instid1(VALU_DEP_1)
	v_and_b32_e32 v20, s31, v20
	v_and_b32_e32 v21, 1, v20
	v_lshlrev_b32_e32 v24, 30, v20
	v_lshlrev_b32_e32 v25, 29, v20
	;; [unrolled: 1-line block ×4, first 2 shown]
	v_add_co_u32 v21, s16, v21, -1
	s_delay_alu instid0(VALU_DEP_1)
	v_cndmask_b32_e64 v27, 0, 1, s16
	v_not_b32_e32 v114, v24
	v_cmp_gt_i32_e64 s16, 0, v24
	v_not_b32_e32 v24, v25
	v_lshlrev_b32_e32 v112, 26, v20
	v_cmp_ne_u32_e32 vcc_lo, 0, v27
	v_ashrrev_i32_e32 v114, 31, v114
	v_lshlrev_b32_e32 v113, 25, v20
	v_ashrrev_i32_e32 v24, 31, v24
	v_lshlrev_b32_e32 v27, 24, v20
	v_xor_b32_e32 v21, vcc_lo, v21
	v_cmp_gt_i32_e32 vcc_lo, 0, v25
	v_not_b32_e32 v25, v26
	v_xor_b32_e32 v114, s16, v114
	v_cmp_gt_i32_e64 s16, 0, v26
	v_and_b32_e32 v21, exec_lo, v21
	v_not_b32_e32 v26, v111
	v_ashrrev_i32_e32 v25, 31, v25
	v_xor_b32_e32 v24, vcc_lo, v24
	v_cmp_gt_i32_e32 vcc_lo, 0, v111
	v_and_b32_e32 v21, v21, v114
	v_not_b32_e32 v111, v112
	v_ashrrev_i32_e32 v26, 31, v26
	v_xor_b32_e32 v25, s16, v25
	v_cmp_gt_i32_e64 s16, 0, v112
	v_and_b32_e32 v21, v21, v24
	v_not_b32_e32 v24, v113
	v_ashrrev_i32_e32 v111, 31, v111
	v_xor_b32_e32 v26, vcc_lo, v26
	v_cmp_gt_i32_e32 vcc_lo, 0, v113
	v_and_b32_e32 v21, v21, v25
	v_not_b32_e32 v25, v27
	v_ashrrev_i32_e32 v24, 31, v24
	v_xor_b32_e32 v111, s16, v111
	v_mul_u32_u24_e32 v20, 9, v20
	v_and_b32_e32 v21, v21, v26
	v_cmp_gt_i32_e64 s16, 0, v27
	v_ashrrev_i32_e32 v25, 31, v25
	v_xor_b32_e32 v24, vcc_lo, v24
	v_add_lshl_u32 v26, v20, v80, 2
	v_and_b32_e32 v21, v21, v111
	s_delay_alu instid0(VALU_DEP_4) | instskip(SKIP_3) | instid1(VALU_DEP_2)
	v_xor_b32_e32 v20, s16, v25
	ds_load_b32 v111, v26 offset:1056
	v_and_b32_e32 v21, v21, v24
	v_add_nc_u32_e32 v114, 0x420, v26
	; wave barrier
	v_and_b32_e32 v20, v21, v20
	s_delay_alu instid0(VALU_DEP_1) | instskip(SKIP_1) | instid1(VALU_DEP_2)
	v_mbcnt_lo_u32_b32 v112, v20, 0
	v_cmp_ne_u32_e64 s16, 0, v20
	v_cmp_eq_u32_e32 vcc_lo, 0, v112
	s_delay_alu instid0(VALU_DEP_2) | instskip(NEXT) | instid1(SALU_CYCLE_1)
	s_and_b32 s17, s16, vcc_lo
	s_and_saveexec_b32 s16, s17
	s_cbranch_execz .LBB401_92
; %bb.91:                               ;   in Loop: Header=BB401_66 Depth=2
	s_waitcnt lgkmcnt(0)
	v_bcnt_u32_b32 v20, v20, v111
	ds_store_b32 v114, v20
.LBB401_92:                             ;   in Loop: Header=BB401_66 Depth=2
	s_or_b32 exec_lo, exec_lo, s16
	v_xor_b32_e32 v113, 0xffffff80, v23
	; wave barrier
	s_delay_alu instid0(VALU_DEP_1) | instskip(NEXT) | instid1(VALU_DEP_1)
	v_and_b32_e32 v20, 0xff, v113
	v_lshrrev_b32_e32 v20, s30, v20
	s_delay_alu instid0(VALU_DEP_1) | instskip(NEXT) | instid1(VALU_DEP_1)
	v_and_b32_e32 v20, s31, v20
	v_and_b32_e32 v21, 1, v20
	v_lshlrev_b32_e32 v23, 30, v20
	v_lshlrev_b32_e32 v24, 29, v20
	;; [unrolled: 1-line block ×4, first 2 shown]
	v_add_co_u32 v21, s16, v21, -1
	s_delay_alu instid0(VALU_DEP_1)
	v_cndmask_b32_e64 v26, 0, 1, s16
	v_not_b32_e32 v117, v23
	v_cmp_gt_i32_e64 s16, 0, v23
	v_not_b32_e32 v23, v24
	v_lshlrev_b32_e32 v115, 26, v20
	v_cmp_ne_u32_e32 vcc_lo, 0, v26
	v_ashrrev_i32_e32 v117, 31, v117
	v_lshlrev_b32_e32 v116, 25, v20
	v_ashrrev_i32_e32 v23, 31, v23
	v_lshlrev_b32_e32 v26, 24, v20
	v_xor_b32_e32 v21, vcc_lo, v21
	v_cmp_gt_i32_e32 vcc_lo, 0, v24
	v_not_b32_e32 v24, v25
	v_xor_b32_e32 v117, s16, v117
	v_cmp_gt_i32_e64 s16, 0, v25
	v_and_b32_e32 v21, exec_lo, v21
	v_not_b32_e32 v25, v27
	v_ashrrev_i32_e32 v24, 31, v24
	v_xor_b32_e32 v23, vcc_lo, v23
	v_cmp_gt_i32_e32 vcc_lo, 0, v27
	v_and_b32_e32 v21, v21, v117
	v_not_b32_e32 v27, v115
	v_ashrrev_i32_e32 v25, 31, v25
	v_xor_b32_e32 v24, s16, v24
	v_cmp_gt_i32_e64 s16, 0, v115
	v_and_b32_e32 v21, v21, v23
	v_not_b32_e32 v23, v116
	v_ashrrev_i32_e32 v27, 31, v27
	v_xor_b32_e32 v25, vcc_lo, v25
	v_cmp_gt_i32_e32 vcc_lo, 0, v116
	v_and_b32_e32 v21, v21, v24
	v_not_b32_e32 v24, v26
	v_ashrrev_i32_e32 v23, 31, v23
	v_xor_b32_e32 v27, s16, v27
	v_mul_u32_u24_e32 v20, 9, v20
	v_and_b32_e32 v21, v21, v25
	v_cmp_gt_i32_e64 s16, 0, v26
	v_ashrrev_i32_e32 v24, 31, v24
	v_xor_b32_e32 v23, vcc_lo, v23
	v_add_lshl_u32 v25, v20, v80, 2
	v_and_b32_e32 v21, v21, v27
	s_delay_alu instid0(VALU_DEP_4) | instskip(SKIP_3) | instid1(VALU_DEP_2)
	v_xor_b32_e32 v20, s16, v24
	ds_load_b32 v115, v25 offset:1056
	v_and_b32_e32 v21, v21, v23
	v_add_nc_u32_e32 v118, 0x420, v25
	; wave barrier
	v_and_b32_e32 v20, v21, v20
	s_delay_alu instid0(VALU_DEP_1) | instskip(SKIP_1) | instid1(VALU_DEP_2)
	v_mbcnt_lo_u32_b32 v116, v20, 0
	v_cmp_ne_u32_e64 s16, 0, v20
	v_cmp_eq_u32_e32 vcc_lo, 0, v116
	s_delay_alu instid0(VALU_DEP_2) | instskip(NEXT) | instid1(SALU_CYCLE_1)
	s_and_b32 s17, s16, vcc_lo
	s_and_saveexec_b32 s16, s17
	s_cbranch_execz .LBB401_94
; %bb.93:                               ;   in Loop: Header=BB401_66 Depth=2
	s_waitcnt lgkmcnt(0)
	v_bcnt_u32_b32 v20, v20, v115
	ds_store_b32 v118, v20
.LBB401_94:                             ;   in Loop: Header=BB401_66 Depth=2
	s_or_b32 exec_lo, exec_lo, s16
	v_xor_b32_e32 v117, 0xffffff80, v22
	; wave barrier
	s_delay_alu instid0(VALU_DEP_1) | instskip(NEXT) | instid1(VALU_DEP_1)
	v_and_b32_e32 v20, 0xff, v117
	v_lshrrev_b32_e32 v20, s30, v20
	s_delay_alu instid0(VALU_DEP_1) | instskip(NEXT) | instid1(VALU_DEP_1)
	v_and_b32_e32 v20, s31, v20
	v_and_b32_e32 v21, 1, v20
	v_lshlrev_b32_e32 v22, 30, v20
	v_lshlrev_b32_e32 v23, 29, v20
	;; [unrolled: 1-line block ×4, first 2 shown]
	v_add_co_u32 v21, s16, v21, -1
	s_delay_alu instid0(VALU_DEP_1)
	v_cndmask_b32_e64 v25, 0, 1, s16
	v_not_b32_e32 v120, v22
	v_cmp_gt_i32_e64 s16, 0, v22
	v_not_b32_e32 v22, v23
	v_lshlrev_b32_e32 v27, 26, v20
	v_cmp_ne_u32_e32 vcc_lo, 0, v25
	v_ashrrev_i32_e32 v120, 31, v120
	v_lshlrev_b32_e32 v119, 25, v20
	v_ashrrev_i32_e32 v22, 31, v22
	v_lshlrev_b32_e32 v25, 24, v20
	v_xor_b32_e32 v21, vcc_lo, v21
	v_cmp_gt_i32_e32 vcc_lo, 0, v23
	v_not_b32_e32 v23, v24
	v_xor_b32_e32 v120, s16, v120
	v_cmp_gt_i32_e64 s16, 0, v24
	v_and_b32_e32 v21, exec_lo, v21
	v_not_b32_e32 v24, v26
	v_ashrrev_i32_e32 v23, 31, v23
	v_xor_b32_e32 v22, vcc_lo, v22
	v_cmp_gt_i32_e32 vcc_lo, 0, v26
	v_and_b32_e32 v21, v21, v120
	v_not_b32_e32 v26, v27
	v_ashrrev_i32_e32 v24, 31, v24
	v_xor_b32_e32 v23, s16, v23
	v_cmp_gt_i32_e64 s16, 0, v27
	v_and_b32_e32 v21, v21, v22
	v_not_b32_e32 v22, v119
	v_ashrrev_i32_e32 v26, 31, v26
	v_xor_b32_e32 v24, vcc_lo, v24
	v_cmp_gt_i32_e32 vcc_lo, 0, v119
	v_and_b32_e32 v21, v21, v23
	v_not_b32_e32 v23, v25
	v_ashrrev_i32_e32 v22, 31, v22
	v_xor_b32_e32 v26, s16, v26
	v_mul_u32_u24_e32 v20, 9, v20
	v_and_b32_e32 v21, v21, v24
	v_cmp_gt_i32_e64 s16, 0, v25
	v_ashrrev_i32_e32 v23, 31, v23
	v_xor_b32_e32 v22, vcc_lo, v22
	v_add_lshl_u32 v24, v20, v80, 2
	v_and_b32_e32 v21, v21, v26
	s_delay_alu instid0(VALU_DEP_4) | instskip(SKIP_3) | instid1(VALU_DEP_2)
	v_xor_b32_e32 v20, s16, v23
	ds_load_b32 v119, v24 offset:1056
	v_and_b32_e32 v21, v21, v22
	v_add_nc_u32_e32 v121, 0x420, v24
	; wave barrier
	v_and_b32_e32 v20, v21, v20
	s_delay_alu instid0(VALU_DEP_1) | instskip(SKIP_1) | instid1(VALU_DEP_2)
	v_mbcnt_lo_u32_b32 v120, v20, 0
	v_cmp_ne_u32_e64 s16, 0, v20
	v_cmp_eq_u32_e32 vcc_lo, 0, v120
	s_delay_alu instid0(VALU_DEP_2) | instskip(NEXT) | instid1(SALU_CYCLE_1)
	s_and_b32 s17, s16, vcc_lo
	s_and_saveexec_b32 s16, s17
	s_cbranch_execz .LBB401_96
; %bb.95:                               ;   in Loop: Header=BB401_66 Depth=2
	s_waitcnt lgkmcnt(0)
	v_bcnt_u32_b32 v20, v20, v119
	ds_store_b32 v121, v20
.LBB401_96:                             ;   in Loop: Header=BB401_66 Depth=2
	s_or_b32 exec_lo, exec_lo, s16
	; wave barrier
	s_waitcnt lgkmcnt(0)
	s_barrier
	buffer_gl0_inv
	ds_load_b32 v122, v46 offset:1056
	ds_load_2addr_b32 v[26:27], v47 offset0:1 offset1:2
	ds_load_2addr_b32 v[24:25], v47 offset0:3 offset1:4
	;; [unrolled: 1-line block ×4, first 2 shown]
	s_waitcnt lgkmcnt(3)
	v_add3_u32 v123, v26, v122, v27
	s_waitcnt lgkmcnt(2)
	s_delay_alu instid0(VALU_DEP_1) | instskip(SKIP_1) | instid1(VALU_DEP_1)
	v_add3_u32 v123, v123, v24, v25
	s_waitcnt lgkmcnt(1)
	v_add3_u32 v123, v123, v20, v21
	s_waitcnt lgkmcnt(0)
	s_delay_alu instid0(VALU_DEP_1) | instskip(NEXT) | instid1(VALU_DEP_1)
	v_add3_u32 v23, v123, v22, v23
	v_mov_b32_dpp v123, v23 row_shr:1 row_mask:0xf bank_mask:0xf
	s_delay_alu instid0(VALU_DEP_1) | instskip(NEXT) | instid1(VALU_DEP_1)
	v_cndmask_b32_e64 v123, v123, 0, s0
	v_add_nc_u32_e32 v23, v123, v23
	s_delay_alu instid0(VALU_DEP_1) | instskip(NEXT) | instid1(VALU_DEP_1)
	v_mov_b32_dpp v123, v23 row_shr:2 row_mask:0xf bank_mask:0xf
	v_cndmask_b32_e64 v123, 0, v123, s1
	s_delay_alu instid0(VALU_DEP_1) | instskip(NEXT) | instid1(VALU_DEP_1)
	v_add_nc_u32_e32 v23, v23, v123
	v_mov_b32_dpp v123, v23 row_shr:4 row_mask:0xf bank_mask:0xf
	s_delay_alu instid0(VALU_DEP_1) | instskip(NEXT) | instid1(VALU_DEP_1)
	v_cndmask_b32_e64 v123, 0, v123, s8
	v_add_nc_u32_e32 v23, v23, v123
	s_delay_alu instid0(VALU_DEP_1) | instskip(NEXT) | instid1(VALU_DEP_1)
	v_mov_b32_dpp v123, v23 row_shr:8 row_mask:0xf bank_mask:0xf
	v_cndmask_b32_e64 v123, 0, v123, s9
	s_delay_alu instid0(VALU_DEP_1) | instskip(SKIP_3) | instid1(VALU_DEP_1)
	v_add_nc_u32_e32 v23, v23, v123
	ds_swizzle_b32 v123, v23 offset:swizzle(BROADCAST,32,15)
	s_waitcnt lgkmcnt(0)
	v_cndmask_b32_e64 v123, v123, 0, s10
	v_add_nc_u32_e32 v23, v23, v123
	s_and_saveexec_b32 s16, s3
	s_cbranch_execz .LBB401_98
; %bb.97:                               ;   in Loop: Header=BB401_66 Depth=2
	ds_store_b32 v38, v23 offset:1024
.LBB401_98:                             ;   in Loop: Header=BB401_66 Depth=2
	s_or_b32 exec_lo, exec_lo, s16
	s_waitcnt lgkmcnt(0)
	s_barrier
	buffer_gl0_inv
	s_and_saveexec_b32 s16, s4
	s_cbranch_execz .LBB401_100
; %bb.99:                               ;   in Loop: Header=BB401_66 Depth=2
	v_add_nc_u32_e32 v123, v46, v48
	ds_load_b32 v124, v123 offset:1024
	s_waitcnt lgkmcnt(0)
	v_mov_b32_dpp v125, v124 row_shr:1 row_mask:0xf bank_mask:0xf
	s_delay_alu instid0(VALU_DEP_1) | instskip(NEXT) | instid1(VALU_DEP_1)
	v_cndmask_b32_e64 v125, v125, 0, s12
	v_add_nc_u32_e32 v124, v125, v124
	s_delay_alu instid0(VALU_DEP_1) | instskip(NEXT) | instid1(VALU_DEP_1)
	v_mov_b32_dpp v125, v124 row_shr:2 row_mask:0xf bank_mask:0xf
	v_cndmask_b32_e64 v125, 0, v125, s13
	s_delay_alu instid0(VALU_DEP_1) | instskip(NEXT) | instid1(VALU_DEP_1)
	v_add_nc_u32_e32 v124, v124, v125
	v_mov_b32_dpp v125, v124 row_shr:4 row_mask:0xf bank_mask:0xf
	s_delay_alu instid0(VALU_DEP_1) | instskip(NEXT) | instid1(VALU_DEP_1)
	v_cndmask_b32_e64 v125, 0, v125, s14
	v_add_nc_u32_e32 v124, v124, v125
	ds_store_b32 v123, v124 offset:1024
.LBB401_100:                            ;   in Loop: Header=BB401_66 Depth=2
	s_or_b32 exec_lo, exec_lo, s16
	v_mov_b32_e32 v123, 0
	s_waitcnt lgkmcnt(0)
	s_barrier
	buffer_gl0_inv
	s_and_saveexec_b32 s16, s5
	s_cbranch_execz .LBB401_102
; %bb.101:                              ;   in Loop: Header=BB401_66 Depth=2
	ds_load_b32 v123, v38 offset:1020
.LBB401_102:                            ;   in Loop: Header=BB401_66 Depth=2
	s_or_b32 exec_lo, exec_lo, s16
	s_waitcnt lgkmcnt(0)
	v_add_nc_u32_e32 v23, v123, v23
	ds_bpermute_b32 v23, v69, v23
	s_waitcnt lgkmcnt(0)
	v_cndmask_b32_e64 v23, v23, v123, s11
	s_delay_alu instid0(VALU_DEP_1) | instskip(NEXT) | instid1(VALU_DEP_1)
	v_cndmask_b32_e64 v23, v23, 0, s6
	v_add_nc_u32_e32 v122, v23, v122
	s_delay_alu instid0(VALU_DEP_1) | instskip(NEXT) | instid1(VALU_DEP_1)
	v_add_nc_u32_e32 v26, v122, v26
	v_add_nc_u32_e32 v27, v26, v27
	s_delay_alu instid0(VALU_DEP_1) | instskip(NEXT) | instid1(VALU_DEP_1)
	v_add_nc_u32_e32 v24, v27, v24
	;; [unrolled: 3-line block ×3, first 2 shown]
	v_add_nc_u32_e32 v21, v20, v21
	s_delay_alu instid0(VALU_DEP_1)
	v_add_nc_u32_e32 v22, v21, v22
	ds_store_b32 v46, v23 offset:1056
	ds_store_2addr_b32 v47, v122, v26 offset0:1 offset1:2
	ds_store_2addr_b32 v47, v27, v24 offset0:3 offset1:4
	;; [unrolled: 1-line block ×4, first 2 shown]
	v_mov_b32_e32 v22, 0x800
	s_waitcnt lgkmcnt(0)
	s_barrier
	buffer_gl0_inv
	ds_load_b32 v20, v98
	ds_load_b32 v21, v102
	ds_load_b32 v23, v106
	ds_load_b32 v24, v110
	ds_load_b32 v25, v114
	ds_load_b32 v102, v118
	ds_load_b32 v106, v121
	ds_load_b32 v26, v94
	ds_load_b32 v27, v46 offset:1056
	s_and_saveexec_b32 s16, s7
	s_cbranch_execz .LBB401_104
; %bb.103:                              ;   in Loop: Header=BB401_66 Depth=2
	ds_load_b32 v22, v49 offset:1056
.LBB401_104:                            ;   in Loop: Header=BB401_66 Depth=2
	s_or_b32 exec_lo, exec_lo, s16
	s_waitcnt lgkmcnt(0)
	s_barrier
	buffer_gl0_inv
	s_and_saveexec_b32 s16, s2
	s_cbranch_execz .LBB401_106
; %bb.105:                              ;   in Loop: Header=BB401_66 Depth=2
	ds_load_b32 v94, v28
	s_waitcnt lgkmcnt(0)
	v_sub_nc_u32_e32 v27, v94, v27
	ds_store_b32 v28, v27
.LBB401_106:                            ;   in Loop: Header=BB401_66 Depth=2
	s_or_b32 exec_lo, exec_lo, s16
	v_add_nc_u32_e32 v98, v26, v92
	v_add3_u32 v94, v96, v95, v20
	v_add3_u32 v92, v100, v99, v21
	;; [unrolled: 1-line block ×7, first 2 shown]
	v_cmp_lt_u32_e64 s21, v1, v2
	ds_store_b8 v98, v91 offset:1024
	ds_store_b8 v94, v93 offset:1024
	;; [unrolled: 1-line block ×8, first 2 shown]
	s_waitcnt lgkmcnt(0)
	s_barrier
	buffer_gl0_inv
	s_and_saveexec_b32 s16, s21
	s_cbranch_execz .LBB401_114
; %bb.107:                              ;   in Loop: Header=BB401_66 Depth=2
	ds_load_u8 v20, v1 offset:1024
	s_waitcnt lgkmcnt(0)
	v_and_b32_e32 v21, 0xff, v20
	v_xor_b32_e32 v20, 0x80, v20
	s_delay_alu instid0(VALU_DEP_2) | instskip(NEXT) | instid1(VALU_DEP_1)
	v_lshrrev_b32_e32 v21, s30, v21
	v_and_b32_e32 v21, s31, v21
	s_delay_alu instid0(VALU_DEP_1)
	v_lshlrev_b32_e32 v21, 2, v21
	ds_load_b32 v21, v21
	s_waitcnt lgkmcnt(0)
	v_add_nc_u32_e32 v21, v21, v1
	global_store_b8 v21, v20, s[38:39]
	s_or_b32 exec_lo, exec_lo, s16
	v_cmp_lt_u32_e64 s22, v29, v2
	s_delay_alu instid0(VALU_DEP_1)
	s_and_saveexec_b32 s16, s22
	s_cbranch_execnz .LBB401_115
.LBB401_108:                            ;   in Loop: Header=BB401_66 Depth=2
	s_or_b32 exec_lo, exec_lo, s16
	v_cmp_lt_u32_e64 s20, v30, v2
	s_delay_alu instid0(VALU_DEP_1)
	s_and_saveexec_b32 s16, s20
	s_cbranch_execz .LBB401_116
.LBB401_109:                            ;   in Loop: Header=BB401_66 Depth=2
	ds_load_u8 v20, v35 offset:512
	s_waitcnt lgkmcnt(0)
	v_and_b32_e32 v21, 0xff, v20
	v_xor_b32_e32 v20, 0x80, v20
	s_delay_alu instid0(VALU_DEP_2) | instskip(NEXT) | instid1(VALU_DEP_1)
	v_lshrrev_b32_e32 v21, s30, v21
	v_and_b32_e32 v21, s31, v21
	s_delay_alu instid0(VALU_DEP_1)
	v_lshlrev_b32_e32 v21, 2, v21
	ds_load_b32 v21, v21
	s_waitcnt lgkmcnt(0)
	v_add_nc_u32_e32 v21, v21, v30
	global_store_b8 v21, v20, s[38:39]
	s_or_b32 exec_lo, exec_lo, s16
	v_cmp_lt_u32_e64 s19, v31, v2
	s_delay_alu instid0(VALU_DEP_1)
	s_and_saveexec_b32 s16, s19
	s_cbranch_execnz .LBB401_117
.LBB401_110:                            ;   in Loop: Header=BB401_66 Depth=2
	s_or_b32 exec_lo, exec_lo, s16
	v_cmp_lt_u32_e64 s18, v35, v2
	s_delay_alu instid0(VALU_DEP_1)
	s_and_saveexec_b32 s16, s18
	s_cbranch_execz .LBB401_118
.LBB401_111:                            ;   in Loop: Header=BB401_66 Depth=2
	ds_load_u8 v20, v35 offset:1024
	s_waitcnt lgkmcnt(0)
	v_and_b32_e32 v21, 0xff, v20
	v_xor_b32_e32 v20, 0x80, v20
	s_delay_alu instid0(VALU_DEP_2) | instskip(NEXT) | instid1(VALU_DEP_1)
	v_lshrrev_b32_e32 v21, s30, v21
	v_and_b32_e32 v21, s31, v21
	s_delay_alu instid0(VALU_DEP_1)
	v_lshlrev_b32_e32 v21, 2, v21
	ds_load_b32 v21, v21
	s_waitcnt lgkmcnt(0)
	v_add_nc_u32_e32 v21, v21, v35
	global_store_b8 v21, v20, s[38:39]
	s_or_b32 exec_lo, exec_lo, s16
	v_cmp_lt_u32_e64 s17, v36, v2
	s_delay_alu instid0(VALU_DEP_1)
	s_and_saveexec_b32 s16, s17
	s_cbranch_execnz .LBB401_119
.LBB401_112:                            ;   in Loop: Header=BB401_66 Depth=2
	s_or_b32 exec_lo, exec_lo, s16
	v_cmp_lt_u32_e64 s16, v37, v2
	s_delay_alu instid0(VALU_DEP_1)
	s_and_saveexec_b32 s23, s16
	s_cbranch_execz .LBB401_120
.LBB401_113:                            ;   in Loop: Header=BB401_66 Depth=2
	ds_load_u8 v20, v35 offset:1536
	s_waitcnt lgkmcnt(0)
	v_and_b32_e32 v21, 0xff, v20
	v_xor_b32_e32 v20, 0x80, v20
	s_delay_alu instid0(VALU_DEP_2) | instskip(NEXT) | instid1(VALU_DEP_1)
	v_lshrrev_b32_e32 v21, s30, v21
	v_and_b32_e32 v21, s31, v21
	s_delay_alu instid0(VALU_DEP_1)
	v_lshlrev_b32_e32 v21, 2, v21
	ds_load_b32 v21, v21
	s_waitcnt lgkmcnt(0)
	v_add_nc_u32_e32 v21, v21, v37
	global_store_b8 v21, v20, s[38:39]
	s_or_b32 exec_lo, exec_lo, s23
	v_cmp_lt_u32_e32 vcc_lo, v39, v2
	s_and_saveexec_b32 s23, vcc_lo
	s_cbranch_execnz .LBB401_121
	s_branch .LBB401_122
.LBB401_114:                            ;   in Loop: Header=BB401_66 Depth=2
	s_or_b32 exec_lo, exec_lo, s16
	v_cmp_lt_u32_e64 s22, v29, v2
	s_delay_alu instid0(VALU_DEP_1)
	s_and_saveexec_b32 s16, s22
	s_cbranch_execz .LBB401_108
.LBB401_115:                            ;   in Loop: Header=BB401_66 Depth=2
	ds_load_u8 v20, v35 offset:256
	s_waitcnt lgkmcnt(0)
	v_and_b32_e32 v21, 0xff, v20
	v_xor_b32_e32 v20, 0x80, v20
	s_delay_alu instid0(VALU_DEP_2) | instskip(NEXT) | instid1(VALU_DEP_1)
	v_lshrrev_b32_e32 v21, s30, v21
	v_and_b32_e32 v21, s31, v21
	s_delay_alu instid0(VALU_DEP_1)
	v_lshlrev_b32_e32 v21, 2, v21
	ds_load_b32 v21, v21
	s_waitcnt lgkmcnt(0)
	v_add_nc_u32_e32 v21, v21, v29
	global_store_b8 v21, v20, s[38:39]
	s_or_b32 exec_lo, exec_lo, s16
	v_cmp_lt_u32_e64 s20, v30, v2
	s_delay_alu instid0(VALU_DEP_1)
	s_and_saveexec_b32 s16, s20
	s_cbranch_execnz .LBB401_109
.LBB401_116:                            ;   in Loop: Header=BB401_66 Depth=2
	s_or_b32 exec_lo, exec_lo, s16
	v_cmp_lt_u32_e64 s19, v31, v2
	s_delay_alu instid0(VALU_DEP_1)
	s_and_saveexec_b32 s16, s19
	s_cbranch_execz .LBB401_110
.LBB401_117:                            ;   in Loop: Header=BB401_66 Depth=2
	ds_load_u8 v20, v35 offset:768
	s_waitcnt lgkmcnt(0)
	v_and_b32_e32 v21, 0xff, v20
	v_xor_b32_e32 v20, 0x80, v20
	s_delay_alu instid0(VALU_DEP_2) | instskip(NEXT) | instid1(VALU_DEP_1)
	v_lshrrev_b32_e32 v21, s30, v21
	v_and_b32_e32 v21, s31, v21
	s_delay_alu instid0(VALU_DEP_1)
	v_lshlrev_b32_e32 v21, 2, v21
	ds_load_b32 v21, v21
	s_waitcnt lgkmcnt(0)
	v_add_nc_u32_e32 v21, v21, v31
	global_store_b8 v21, v20, s[38:39]
	s_or_b32 exec_lo, exec_lo, s16
	v_cmp_lt_u32_e64 s18, v35, v2
	s_delay_alu instid0(VALU_DEP_1)
	s_and_saveexec_b32 s16, s18
	s_cbranch_execnz .LBB401_111
.LBB401_118:                            ;   in Loop: Header=BB401_66 Depth=2
	s_or_b32 exec_lo, exec_lo, s16
	v_cmp_lt_u32_e64 s17, v36, v2
	s_delay_alu instid0(VALU_DEP_1)
	s_and_saveexec_b32 s16, s17
	s_cbranch_execz .LBB401_112
.LBB401_119:                            ;   in Loop: Header=BB401_66 Depth=2
	ds_load_u8 v20, v35 offset:1280
	s_waitcnt lgkmcnt(0)
	v_and_b32_e32 v21, 0xff, v20
	v_xor_b32_e32 v20, 0x80, v20
	s_delay_alu instid0(VALU_DEP_2) | instskip(NEXT) | instid1(VALU_DEP_1)
	v_lshrrev_b32_e32 v21, s30, v21
	v_and_b32_e32 v21, s31, v21
	s_delay_alu instid0(VALU_DEP_1)
	v_lshlrev_b32_e32 v21, 2, v21
	ds_load_b32 v21, v21
	s_waitcnt lgkmcnt(0)
	v_add_nc_u32_e32 v21, v21, v36
	global_store_b8 v21, v20, s[38:39]
	s_or_b32 exec_lo, exec_lo, s16
	v_cmp_lt_u32_e64 s16, v37, v2
	s_delay_alu instid0(VALU_DEP_1)
	s_and_saveexec_b32 s23, s16
	s_cbranch_execnz .LBB401_113
.LBB401_120:                            ;   in Loop: Header=BB401_66 Depth=2
	s_or_b32 exec_lo, exec_lo, s23
	v_cmp_lt_u32_e32 vcc_lo, v39, v2
	s_and_saveexec_b32 s23, vcc_lo
	s_cbranch_execz .LBB401_122
.LBB401_121:                            ;   in Loop: Header=BB401_66 Depth=2
	ds_load_u8 v20, v35 offset:1792
	s_waitcnt lgkmcnt(0)
	v_and_b32_e32 v21, 0xff, v20
	v_xor_b32_e32 v20, 0x80, v20
	s_delay_alu instid0(VALU_DEP_2) | instskip(NEXT) | instid1(VALU_DEP_1)
	v_lshrrev_b32_e32 v21, s30, v21
	v_and_b32_e32 v21, s31, v21
	s_delay_alu instid0(VALU_DEP_1)
	v_lshlrev_b32_e32 v21, 2, v21
	ds_load_b32 v21, v21
	s_waitcnt lgkmcnt(0)
	v_add_nc_u32_e32 v21, v21, v39
	global_store_b8 v21, v20, s[38:39]
.LBB401_122:                            ;   in Loop: Header=BB401_66 Depth=2
	s_or_b32 exec_lo, exec_lo, s23
	s_lshl_b64 s[52:53], s[24:25], 3
	s_delay_alu instid0(SALU_CYCLE_1) | instskip(NEXT) | instid1(VALU_DEP_1)
	v_add_co_u32 v20, s23, v71, s52
	v_add_co_ci_u32_e64 v21, s23, s53, v72, s23
	v_cmp_lt_u32_e64 s23, v70, v2
	s_delay_alu instid0(VALU_DEP_1) | instskip(NEXT) | instid1(SALU_CYCLE_1)
	s_and_saveexec_b32 s24, s23
	s_xor_b32 s23, exec_lo, s24
	s_cbranch_execz .LBB401_138
; %bb.123:                              ;   in Loop: Header=BB401_66 Depth=2
	global_load_b64 v[18:19], v[20:21], off
	s_or_b32 exec_lo, exec_lo, s23
	s_delay_alu instid0(SALU_CYCLE_1)
	s_mov_b32 s24, exec_lo
	v_cmpx_lt_u32_e64 v73, v2
	s_cbranch_execnz .LBB401_139
.LBB401_124:                            ;   in Loop: Header=BB401_66 Depth=2
	s_or_b32 exec_lo, exec_lo, s24
	s_delay_alu instid0(SALU_CYCLE_1)
	s_mov_b32 s24, exec_lo
	v_cmpx_lt_u32_e64 v74, v2
	s_cbranch_execz .LBB401_140
.LBB401_125:                            ;   in Loop: Header=BB401_66 Depth=2
	global_load_b64 v[14:15], v[20:21], off offset:512
	s_or_b32 exec_lo, exec_lo, s24
	s_delay_alu instid0(SALU_CYCLE_1)
	s_mov_b32 s24, exec_lo
	v_cmpx_lt_u32_e64 v75, v2
	s_cbranch_execnz .LBB401_141
.LBB401_126:                            ;   in Loop: Header=BB401_66 Depth=2
	s_or_b32 exec_lo, exec_lo, s24
	s_delay_alu instid0(SALU_CYCLE_1)
	s_mov_b32 s24, exec_lo
	v_cmpx_lt_u32_e64 v76, v2
	s_cbranch_execz .LBB401_142
.LBB401_127:                            ;   in Loop: Header=BB401_66 Depth=2
	global_load_b64 v[10:11], v[20:21], off offset:1024
	s_or_b32 exec_lo, exec_lo, s24
	s_delay_alu instid0(SALU_CYCLE_1)
	s_mov_b32 s24, exec_lo
	v_cmpx_lt_u32_e64 v77, v2
	s_cbranch_execnz .LBB401_143
.LBB401_128:                            ;   in Loop: Header=BB401_66 Depth=2
	s_or_b32 exec_lo, exec_lo, s24
	s_delay_alu instid0(SALU_CYCLE_1)
	s_mov_b32 s24, exec_lo
	v_cmpx_lt_u32_e64 v78, v2
	s_cbranch_execz .LBB401_144
.LBB401_129:                            ;   in Loop: Header=BB401_66 Depth=2
	global_load_b64 v[6:7], v[20:21], off offset:1536
	s_or_b32 exec_lo, exec_lo, s24
	s_delay_alu instid0(SALU_CYCLE_1)
	s_mov_b32 s24, exec_lo
	v_cmpx_lt_u32_e64 v79, v2
	s_cbranch_execnz .LBB401_145
.LBB401_130:                            ;   in Loop: Header=BB401_66 Depth=2
	s_or_b32 exec_lo, exec_lo, s24
	s_and_saveexec_b32 s23, s21
	s_cbranch_execz .LBB401_146
.LBB401_131:                            ;   in Loop: Header=BB401_66 Depth=2
	ds_load_u8 v2, v1 offset:1024
	s_waitcnt lgkmcnt(0)
	v_lshrrev_b32_e32 v2, s30, v2
	s_delay_alu instid0(VALU_DEP_1)
	v_and_b32_e32 v90, s31, v2
	s_or_b32 exec_lo, exec_lo, s23
	s_and_saveexec_b32 s23, s22
	s_cbranch_execnz .LBB401_147
.LBB401_132:                            ;   in Loop: Header=BB401_66 Depth=2
	s_or_b32 exec_lo, exec_lo, s23
	s_and_saveexec_b32 s23, s20
	s_cbranch_execz .LBB401_148
.LBB401_133:                            ;   in Loop: Header=BB401_66 Depth=2
	ds_load_u8 v2, v35 offset:512
	s_waitcnt lgkmcnt(0)
	v_lshrrev_b32_e32 v2, s30, v2
	s_delay_alu instid0(VALU_DEP_1)
	v_and_b32_e32 v88, s31, v2
	s_or_b32 exec_lo, exec_lo, s23
	s_and_saveexec_b32 s23, s19
	s_cbranch_execnz .LBB401_149
.LBB401_134:                            ;   in Loop: Header=BB401_66 Depth=2
	s_or_b32 exec_lo, exec_lo, s23
	s_and_saveexec_b32 s23, s18
	s_cbranch_execz .LBB401_150
.LBB401_135:                            ;   in Loop: Header=BB401_66 Depth=2
	ds_load_u8 v2, v35 offset:1024
	s_waitcnt lgkmcnt(0)
	v_lshrrev_b32_e32 v2, s30, v2
	s_delay_alu instid0(VALU_DEP_1)
	v_and_b32_e32 v86, s31, v2
	s_or_b32 exec_lo, exec_lo, s23
	s_and_saveexec_b32 s23, s17
	s_cbranch_execnz .LBB401_151
.LBB401_136:                            ;   in Loop: Header=BB401_66 Depth=2
	s_or_b32 exec_lo, exec_lo, s23
	s_and_saveexec_b32 s23, s16
	s_cbranch_execz .LBB401_152
.LBB401_137:                            ;   in Loop: Header=BB401_66 Depth=2
	ds_load_u8 v2, v35 offset:1536
	s_waitcnt lgkmcnt(0)
	v_lshrrev_b32_e32 v2, s30, v2
	s_delay_alu instid0(VALU_DEP_1)
	v_and_b32_e32 v84, s31, v2
	s_or_b32 exec_lo, exec_lo, s23
	s_and_saveexec_b32 s23, vcc_lo
	s_cbranch_execnz .LBB401_153
	s_branch .LBB401_154
.LBB401_138:                            ;   in Loop: Header=BB401_66 Depth=2
	s_or_b32 exec_lo, exec_lo, s23
	s_delay_alu instid0(SALU_CYCLE_1)
	s_mov_b32 s24, exec_lo
	v_cmpx_lt_u32_e64 v73, v2
	s_cbranch_execz .LBB401_124
.LBB401_139:                            ;   in Loop: Header=BB401_66 Depth=2
	global_load_b64 v[16:17], v[20:21], off offset:256
	s_or_b32 exec_lo, exec_lo, s24
	s_delay_alu instid0(SALU_CYCLE_1)
	s_mov_b32 s24, exec_lo
	v_cmpx_lt_u32_e64 v74, v2
	s_cbranch_execnz .LBB401_125
.LBB401_140:                            ;   in Loop: Header=BB401_66 Depth=2
	s_or_b32 exec_lo, exec_lo, s24
	s_delay_alu instid0(SALU_CYCLE_1)
	s_mov_b32 s24, exec_lo
	v_cmpx_lt_u32_e64 v75, v2
	s_cbranch_execz .LBB401_126
.LBB401_141:                            ;   in Loop: Header=BB401_66 Depth=2
	global_load_b64 v[12:13], v[20:21], off offset:768
	s_or_b32 exec_lo, exec_lo, s24
	s_delay_alu instid0(SALU_CYCLE_1)
	s_mov_b32 s24, exec_lo
	v_cmpx_lt_u32_e64 v76, v2
	s_cbranch_execnz .LBB401_127
.LBB401_142:                            ;   in Loop: Header=BB401_66 Depth=2
	s_or_b32 exec_lo, exec_lo, s24
	s_delay_alu instid0(SALU_CYCLE_1)
	s_mov_b32 s24, exec_lo
	v_cmpx_lt_u32_e64 v77, v2
	s_cbranch_execz .LBB401_128
.LBB401_143:                            ;   in Loop: Header=BB401_66 Depth=2
	global_load_b64 v[8:9], v[20:21], off offset:1280
	s_or_b32 exec_lo, exec_lo, s24
	s_delay_alu instid0(SALU_CYCLE_1)
	s_mov_b32 s24, exec_lo
	v_cmpx_lt_u32_e64 v78, v2
	s_cbranch_execnz .LBB401_129
.LBB401_144:                            ;   in Loop: Header=BB401_66 Depth=2
	s_or_b32 exec_lo, exec_lo, s24
	s_delay_alu instid0(SALU_CYCLE_1)
	s_mov_b32 s24, exec_lo
	v_cmpx_lt_u32_e64 v79, v2
	s_cbranch_execz .LBB401_130
.LBB401_145:                            ;   in Loop: Header=BB401_66 Depth=2
	global_load_b64 v[4:5], v[20:21], off offset:1792
	s_or_b32 exec_lo, exec_lo, s24
	s_and_saveexec_b32 s23, s21
	s_cbranch_execnz .LBB401_131
.LBB401_146:                            ;   in Loop: Header=BB401_66 Depth=2
	s_or_b32 exec_lo, exec_lo, s23
	s_and_saveexec_b32 s23, s22
	s_cbranch_execz .LBB401_132
.LBB401_147:                            ;   in Loop: Header=BB401_66 Depth=2
	ds_load_u8 v2, v35 offset:256
	s_waitcnt lgkmcnt(0)
	v_lshrrev_b32_e32 v2, s30, v2
	s_delay_alu instid0(VALU_DEP_1)
	v_and_b32_e32 v89, s31, v2
	s_or_b32 exec_lo, exec_lo, s23
	s_and_saveexec_b32 s23, s20
	s_cbranch_execnz .LBB401_133
.LBB401_148:                            ;   in Loop: Header=BB401_66 Depth=2
	s_or_b32 exec_lo, exec_lo, s23
	s_and_saveexec_b32 s23, s19
	s_cbranch_execz .LBB401_134
.LBB401_149:                            ;   in Loop: Header=BB401_66 Depth=2
	ds_load_u8 v2, v35 offset:768
	s_waitcnt lgkmcnt(0)
	v_lshrrev_b32_e32 v2, s30, v2
	s_delay_alu instid0(VALU_DEP_1)
	v_and_b32_e32 v87, s31, v2
	s_or_b32 exec_lo, exec_lo, s23
	s_and_saveexec_b32 s23, s18
	s_cbranch_execnz .LBB401_135
.LBB401_150:                            ;   in Loop: Header=BB401_66 Depth=2
	s_or_b32 exec_lo, exec_lo, s23
	s_and_saveexec_b32 s23, s17
	s_cbranch_execz .LBB401_136
.LBB401_151:                            ;   in Loop: Header=BB401_66 Depth=2
	ds_load_u8 v2, v35 offset:1280
	s_waitcnt lgkmcnt(0)
	v_lshrrev_b32_e32 v2, s30, v2
	s_delay_alu instid0(VALU_DEP_1)
	v_and_b32_e32 v85, s31, v2
	s_or_b32 exec_lo, exec_lo, s23
	s_and_saveexec_b32 s23, s16
	s_cbranch_execnz .LBB401_137
.LBB401_152:                            ;   in Loop: Header=BB401_66 Depth=2
	s_or_b32 exec_lo, exec_lo, s23
	s_and_saveexec_b32 s23, vcc_lo
	s_cbranch_execz .LBB401_154
.LBB401_153:                            ;   in Loop: Header=BB401_66 Depth=2
	ds_load_u8 v2, v35 offset:1792
	s_waitcnt lgkmcnt(0)
	v_lshrrev_b32_e32 v2, s30, v2
	s_delay_alu instid0(VALU_DEP_1)
	v_and_b32_e32 v83, s31, v2
.LBB401_154:                            ;   in Loop: Header=BB401_66 Depth=2
	s_or_b32 exec_lo, exec_lo, s23
	v_lshlrev_b32_e32 v2, 3, v98
	v_lshlrev_b32_e32 v20, 3, v94
	;; [unrolled: 1-line block ×3, first 2 shown]
	s_waitcnt vmcnt(0)
	s_waitcnt_vscnt null, 0x0
	s_barrier
	buffer_gl0_inv
	ds_store_b64 v2, v[18:19] offset:1024
	ds_store_b64 v20, v[16:17] offset:1024
	;; [unrolled: 1-line block ×3, first 2 shown]
	v_lshlrev_b32_e32 v2, 3, v27
	v_lshlrev_b32_e32 v20, 3, v26
	;; [unrolled: 1-line block ×5, first 2 shown]
	ds_store_b64 v2, v[12:13] offset:1024
	ds_store_b64 v20, v[10:11] offset:1024
	;; [unrolled: 1-line block ×5, first 2 shown]
	s_waitcnt lgkmcnt(0)
	s_barrier
	buffer_gl0_inv
	s_and_saveexec_b32 s23, s21
	s_cbranch_execz .LBB401_162
; %bb.155:                              ;   in Loop: Header=BB401_66 Depth=2
	v_lshlrev_b32_e32 v2, 2, v90
	v_add_nc_u32_e32 v20, v1, v52
	ds_load_b32 v2, v2
	ds_load_b64 v[20:21], v20 offset:1024
	s_waitcnt lgkmcnt(1)
	v_add_nc_u32_e32 v2, v2, v1
	s_delay_alu instid0(VALU_DEP_1) | instskip(NEXT) | instid1(VALU_DEP_1)
	v_lshlrev_b64 v[23:24], 3, v[2:3]
	v_add_co_u32 v23, s21, s44, v23
	s_delay_alu instid0(VALU_DEP_1)
	v_add_co_ci_u32_e64 v24, s21, s45, v24, s21
	s_waitcnt lgkmcnt(0)
	global_store_b64 v[23:24], v[20:21], off
	s_or_b32 exec_lo, exec_lo, s23
	s_and_saveexec_b32 s23, s22
	s_cbranch_execnz .LBB401_163
.LBB401_156:                            ;   in Loop: Header=BB401_66 Depth=2
	s_or_b32 exec_lo, exec_lo, s23
	s_and_saveexec_b32 s21, s20
	s_cbranch_execz .LBB401_164
.LBB401_157:                            ;   in Loop: Header=BB401_66 Depth=2
	v_lshlrev_b32_e32 v2, 2, v88
	v_add_nc_u32_e32 v20, v35, v52
	ds_load_b32 v2, v2
	ds_load_b64 v[20:21], v20 offset:4096
	s_waitcnt lgkmcnt(1)
	v_add_nc_u32_e32 v2, v2, v30
	s_delay_alu instid0(VALU_DEP_1) | instskip(NEXT) | instid1(VALU_DEP_1)
	v_lshlrev_b64 v[23:24], 3, v[2:3]
	v_add_co_u32 v23, s20, s44, v23
	s_delay_alu instid0(VALU_DEP_1)
	v_add_co_ci_u32_e64 v24, s20, s45, v24, s20
	s_waitcnt lgkmcnt(0)
	global_store_b64 v[23:24], v[20:21], off
	s_or_b32 exec_lo, exec_lo, s21
	s_and_saveexec_b32 s20, s19
	s_cbranch_execnz .LBB401_165
.LBB401_158:                            ;   in Loop: Header=BB401_66 Depth=2
	s_or_b32 exec_lo, exec_lo, s20
	s_and_saveexec_b32 s19, s18
	s_cbranch_execz .LBB401_166
.LBB401_159:                            ;   in Loop: Header=BB401_66 Depth=2
	v_lshlrev_b32_e32 v2, 2, v86
	v_add_nc_u32_e32 v20, v35, v52
	ds_load_b32 v2, v2
	ds_load_b64 v[20:21], v20 offset:8192
	s_waitcnt lgkmcnt(1)
	v_add_nc_u32_e32 v2, v2, v35
	s_delay_alu instid0(VALU_DEP_1) | instskip(NEXT) | instid1(VALU_DEP_1)
	v_lshlrev_b64 v[23:24], 3, v[2:3]
	v_add_co_u32 v23, s18, s44, v23
	s_delay_alu instid0(VALU_DEP_1)
	v_add_co_ci_u32_e64 v24, s18, s45, v24, s18
	s_waitcnt lgkmcnt(0)
	global_store_b64 v[23:24], v[20:21], off
	s_or_b32 exec_lo, exec_lo, s19
	s_and_saveexec_b32 s18, s17
	s_cbranch_execnz .LBB401_167
.LBB401_160:                            ;   in Loop: Header=BB401_66 Depth=2
	s_or_b32 exec_lo, exec_lo, s18
	s_and_saveexec_b32 s17, s16
	s_cbranch_execz .LBB401_168
.LBB401_161:                            ;   in Loop: Header=BB401_66 Depth=2
	v_lshlrev_b32_e32 v2, 2, v84
	v_add_nc_u32_e32 v20, v35, v52
	ds_load_b32 v2, v2
	ds_load_b64 v[20:21], v20 offset:12288
	s_waitcnt lgkmcnt(1)
	v_add_nc_u32_e32 v2, v2, v37
	s_delay_alu instid0(VALU_DEP_1) | instskip(NEXT) | instid1(VALU_DEP_1)
	v_lshlrev_b64 v[23:24], 3, v[2:3]
	v_add_co_u32 v23, s16, s44, v23
	s_delay_alu instid0(VALU_DEP_1)
	v_add_co_ci_u32_e64 v24, s16, s45, v24, s16
	s_waitcnt lgkmcnt(0)
	global_store_b64 v[23:24], v[20:21], off
	s_or_b32 exec_lo, exec_lo, s17
	s_and_saveexec_b32 s16, vcc_lo
	s_cbranch_execnz .LBB401_169
	s_branch .LBB401_170
.LBB401_162:                            ;   in Loop: Header=BB401_66 Depth=2
	s_or_b32 exec_lo, exec_lo, s23
	s_and_saveexec_b32 s23, s22
	s_cbranch_execz .LBB401_156
.LBB401_163:                            ;   in Loop: Header=BB401_66 Depth=2
	v_lshlrev_b32_e32 v2, 2, v89
	v_add_nc_u32_e32 v20, v35, v52
	ds_load_b32 v2, v2
	ds_load_b64 v[20:21], v20 offset:2048
	s_waitcnt lgkmcnt(1)
	v_add_nc_u32_e32 v2, v2, v29
	s_delay_alu instid0(VALU_DEP_1) | instskip(NEXT) | instid1(VALU_DEP_1)
	v_lshlrev_b64 v[23:24], 3, v[2:3]
	v_add_co_u32 v23, s21, s44, v23
	s_delay_alu instid0(VALU_DEP_1)
	v_add_co_ci_u32_e64 v24, s21, s45, v24, s21
	s_waitcnt lgkmcnt(0)
	global_store_b64 v[23:24], v[20:21], off
	s_or_b32 exec_lo, exec_lo, s23
	s_and_saveexec_b32 s21, s20
	s_cbranch_execnz .LBB401_157
.LBB401_164:                            ;   in Loop: Header=BB401_66 Depth=2
	s_or_b32 exec_lo, exec_lo, s21
	s_and_saveexec_b32 s20, s19
	s_cbranch_execz .LBB401_158
.LBB401_165:                            ;   in Loop: Header=BB401_66 Depth=2
	v_lshlrev_b32_e32 v2, 2, v87
	v_add_nc_u32_e32 v20, v35, v52
	ds_load_b32 v2, v2
	ds_load_b64 v[20:21], v20 offset:6144
	s_waitcnt lgkmcnt(1)
	v_add_nc_u32_e32 v2, v2, v31
	s_delay_alu instid0(VALU_DEP_1) | instskip(NEXT) | instid1(VALU_DEP_1)
	v_lshlrev_b64 v[23:24], 3, v[2:3]
	v_add_co_u32 v23, s19, s44, v23
	s_delay_alu instid0(VALU_DEP_1)
	v_add_co_ci_u32_e64 v24, s19, s45, v24, s19
	s_waitcnt lgkmcnt(0)
	global_store_b64 v[23:24], v[20:21], off
	s_or_b32 exec_lo, exec_lo, s20
	s_and_saveexec_b32 s19, s18
	s_cbranch_execnz .LBB401_159
.LBB401_166:                            ;   in Loop: Header=BB401_66 Depth=2
	s_or_b32 exec_lo, exec_lo, s19
	s_and_saveexec_b32 s18, s17
	s_cbranch_execz .LBB401_160
.LBB401_167:                            ;   in Loop: Header=BB401_66 Depth=2
	v_lshlrev_b32_e32 v2, 2, v85
	v_add_nc_u32_e32 v20, v35, v52
	ds_load_b32 v2, v2
	ds_load_b64 v[20:21], v20 offset:10240
	s_waitcnt lgkmcnt(1)
	v_add_nc_u32_e32 v2, v2, v36
	s_delay_alu instid0(VALU_DEP_1) | instskip(NEXT) | instid1(VALU_DEP_1)
	v_lshlrev_b64 v[23:24], 3, v[2:3]
	v_add_co_u32 v23, s17, s44, v23
	s_delay_alu instid0(VALU_DEP_1)
	v_add_co_ci_u32_e64 v24, s17, s45, v24, s17
	s_waitcnt lgkmcnt(0)
	global_store_b64 v[23:24], v[20:21], off
	s_or_b32 exec_lo, exec_lo, s18
	s_and_saveexec_b32 s17, s16
	s_cbranch_execnz .LBB401_161
.LBB401_168:                            ;   in Loop: Header=BB401_66 Depth=2
	s_or_b32 exec_lo, exec_lo, s17
	s_and_saveexec_b32 s16, vcc_lo
	s_cbranch_execz .LBB401_170
.LBB401_169:                            ;   in Loop: Header=BB401_66 Depth=2
	v_lshlrev_b32_e32 v2, 2, v83
	v_add_nc_u32_e32 v20, v35, v52
	ds_load_b32 v2, v2
	ds_load_b64 v[20:21], v20 offset:14336
	s_waitcnt lgkmcnt(1)
	v_add_nc_u32_e32 v2, v2, v39
	s_delay_alu instid0(VALU_DEP_1) | instskip(NEXT) | instid1(VALU_DEP_1)
	v_lshlrev_b64 v[23:24], 3, v[2:3]
	v_add_co_u32 v23, vcc_lo, s44, v23
	s_delay_alu instid0(VALU_DEP_2)
	v_add_co_ci_u32_e32 v24, vcc_lo, s45, v24, vcc_lo
	s_waitcnt lgkmcnt(0)
	global_store_b64 v[23:24], v[20:21], off
.LBB401_170:                            ;   in Loop: Header=BB401_66 Depth=2
	s_or_b32 exec_lo, exec_lo, s16
	s_waitcnt_vscnt null, 0x0
	s_barrier
	buffer_gl0_inv
	s_and_saveexec_b32 s16, s2
	s_cbranch_execz .LBB401_65
; %bb.171:                              ;   in Loop: Header=BB401_66 Depth=2
	ds_load_b32 v2, v28
	s_waitcnt lgkmcnt(0)
	v_add_nc_u32_e32 v2, v2, v22
	ds_store_b32 v28, v2
	s_branch .LBB401_65
.LBB401_172:                            ;   in Loop: Header=BB401_66 Depth=2
	s_or_b32 exec_lo, exec_lo, s16
	s_delay_alu instid0(SALU_CYCLE_1)
	s_mov_b32 s16, exec_lo
	v_cmpx_gt_u32_e64 s42, v73
	s_cbranch_execz .LBB401_72
.LBB401_173:                            ;   in Loop: Header=BB401_66 Depth=2
	global_load_u8 v93, v[20:21], off offset:32
	s_or_b32 exec_lo, exec_lo, s16
	s_delay_alu instid0(SALU_CYCLE_1)
	s_mov_b32 s16, exec_lo
	v_cmpx_gt_u32_e64 s42, v74
	s_cbranch_execnz .LBB401_73
.LBB401_174:                            ;   in Loop: Header=BB401_66 Depth=2
	s_or_b32 exec_lo, exec_lo, s16
	s_delay_alu instid0(SALU_CYCLE_1)
	s_mov_b32 s16, exec_lo
	v_cmpx_gt_u32_e64 s42, v75
	s_cbranch_execz .LBB401_74
.LBB401_175:                            ;   in Loop: Header=BB401_66 Depth=2
	global_load_u8 v26, v[20:21], off offset:96
	s_or_b32 exec_lo, exec_lo, s16
	s_delay_alu instid0(SALU_CYCLE_1)
	s_mov_b32 s16, exec_lo
	v_cmpx_gt_u32_e64 s42, v76
	s_cbranch_execnz .LBB401_75
.LBB401_176:                            ;   in Loop: Header=BB401_66 Depth=2
	s_or_b32 exec_lo, exec_lo, s16
	s_delay_alu instid0(SALU_CYCLE_1)
	s_mov_b32 s16, exec_lo
	v_cmpx_gt_u32_e64 s42, v77
	s_cbranch_execz .LBB401_76
.LBB401_177:                            ;   in Loop: Header=BB401_66 Depth=2
	global_load_u8 v24, v[20:21], off offset:160
	s_or_b32 exec_lo, exec_lo, s16
	s_delay_alu instid0(SALU_CYCLE_1)
	s_mov_b32 s16, exec_lo
	v_cmpx_gt_u32_e64 s42, v78
	s_cbranch_execnz .LBB401_77
	s_branch .LBB401_78
.LBB401_178:                            ;   in Loop: Header=BB401_12 Depth=1
	s_waitcnt lgkmcnt(0)
	s_mov_b32 s0, 0
	s_barrier
.LBB401_179:                            ;   in Loop: Header=BB401_12 Depth=1
	s_and_b32 vcc_lo, exec_lo, s0
	s_cbranch_vccz .LBB401_345
; %bb.180:                              ;   in Loop: Header=BB401_12 Depth=1
	s_mov_b32 s0, s35
	s_mov_b32 s9, s27
	s_barrier
	buffer_gl0_inv
                                        ; implicit-def: $vgpr2
                                        ; implicit-def: $vgpr6
                                        ; implicit-def: $vgpr7
                                        ; implicit-def: $vgpr8
                                        ; implicit-def: $vgpr9
                                        ; implicit-def: $vgpr10
                                        ; implicit-def: $vgpr11
                                        ; implicit-def: $vgpr12
	s_branch .LBB401_182
.LBB401_181:                            ;   in Loop: Header=BB401_182 Depth=2
	s_or_b32 exec_lo, exec_lo, s8
	s_addk_i32 s0, 0xf800
	s_cmp_ge_u32 s1, s33
	s_mov_b32 s9, s1
	s_cbranch_scc1 .LBB401_220
.LBB401_182:                            ;   Parent Loop BB401_12 Depth=1
                                        ; =>  This Inner Loop Header: Depth=2
	s_add_i32 s1, s9, 0x800
	s_delay_alu instid0(SALU_CYCLE_1)
	s_cmp_gt_u32 s1, s33
	s_cbranch_scc1 .LBB401_185
; %bb.183:                              ;   in Loop: Header=BB401_182 Depth=2
	v_add_co_u32 v4, vcc_lo, v53, s9
	v_add_co_ci_u32_e32 v5, vcc_lo, 0, v54, vcc_lo
	s_mov_b32 s8, -1
	s_movk_i32 s12, 0x800
	s_clause 0x6
	global_load_u8 v20, v[4:5], off offset:1536
	global_load_u8 v19, v[4:5], off offset:1280
	;; [unrolled: 1-line block ×6, first 2 shown]
	global_load_u8 v14, v[4:5], off
	v_add_co_u32 v4, vcc_lo, 0x700, v4
	v_add_co_ci_u32_e32 v5, vcc_lo, 0, v5, vcc_lo
	s_cbranch_execz .LBB401_186
; %bb.184:                              ;   in Loop: Header=BB401_182 Depth=2
                                        ; implicit-def: $vgpr2
                                        ; implicit-def: $vgpr6
                                        ; implicit-def: $vgpr7
                                        ; implicit-def: $vgpr8
                                        ; implicit-def: $vgpr9
                                        ; implicit-def: $vgpr10
                                        ; implicit-def: $vgpr11
                                        ; implicit-def: $vgpr12
	v_mov_b32_e32 v13, s0
	s_and_saveexec_b32 s9, s8
	s_cbranch_execnz .LBB401_197
	s_branch .LBB401_198
.LBB401_185:                            ;   in Loop: Header=BB401_182 Depth=2
	s_mov_b32 s8, 0
                                        ; implicit-def: $sgpr12
                                        ; implicit-def: $vgpr14
                                        ; implicit-def: $vgpr15
                                        ; implicit-def: $vgpr16
                                        ; implicit-def: $vgpr17
                                        ; implicit-def: $vgpr18
                                        ; implicit-def: $vgpr19
                                        ; implicit-def: $vgpr20
                                        ; implicit-def: $vgpr4_vgpr5
.LBB401_186:                            ;   in Loop: Header=BB401_182 Depth=2
	s_add_u32 s10, s38, s9
	s_addc_u32 s11, s39, 0
	s_mov_b32 s12, exec_lo
	v_cmpx_gt_u32_e64 s0, v1
	s_cbranch_execz .LBB401_214
; %bb.187:                              ;   in Loop: Header=BB401_182 Depth=2
	v_add_co_u32 v4, s13, s10, v1
	s_delay_alu instid0(VALU_DEP_1) | instskip(SKIP_2) | instid1(SALU_CYCLE_1)
	v_add_co_ci_u32_e64 v5, null, s11, 0, s13
	global_load_u8 v2, v[4:5], off
	s_or_b32 exec_lo, exec_lo, s12
	s_mov_b32 s12, exec_lo
	v_cmpx_gt_u32_e64 s0, v29
	s_cbranch_execnz .LBB401_215
.LBB401_188:                            ;   in Loop: Header=BB401_182 Depth=2
	s_or_b32 exec_lo, exec_lo, s12
	s_delay_alu instid0(SALU_CYCLE_1)
	s_mov_b32 s12, exec_lo
	v_cmpx_gt_u32_e64 s0, v30
	s_cbranch_execz .LBB401_216
.LBB401_189:                            ;   in Loop: Header=BB401_182 Depth=2
	v_add_co_u32 v4, s13, s10, v1
	s_delay_alu instid0(VALU_DEP_1) | instskip(SKIP_2) | instid1(SALU_CYCLE_1)
	v_add_co_ci_u32_e64 v5, null, s11, 0, s13
	global_load_u8 v7, v[4:5], off offset:512
	s_or_b32 exec_lo, exec_lo, s12
	s_mov_b32 s12, exec_lo
	v_cmpx_gt_u32_e64 s0, v31
	s_cbranch_execnz .LBB401_217
.LBB401_190:                            ;   in Loop: Header=BB401_182 Depth=2
	s_or_b32 exec_lo, exec_lo, s12
	s_delay_alu instid0(SALU_CYCLE_1)
	s_mov_b32 s12, exec_lo
	v_cmpx_gt_u32_e64 s0, v35
	s_cbranch_execz .LBB401_218
.LBB401_191:                            ;   in Loop: Header=BB401_182 Depth=2
	v_add_co_u32 v4, s13, s10, v1
	s_delay_alu instid0(VALU_DEP_1) | instskip(SKIP_2) | instid1(SALU_CYCLE_1)
	v_add_co_ci_u32_e64 v5, null, s11, 0, s13
	global_load_u8 v9, v[4:5], off offset:1024
	s_or_b32 exec_lo, exec_lo, s12
	s_mov_b32 s12, exec_lo
	v_cmpx_gt_u32_e64 s0, v36
	s_cbranch_execnz .LBB401_219
.LBB401_192:                            ;   in Loop: Header=BB401_182 Depth=2
	s_or_b32 exec_lo, exec_lo, s12
	s_delay_alu instid0(SALU_CYCLE_1)
	s_mov_b32 s12, exec_lo
	v_cmpx_gt_u32_e64 s0, v37
	s_cbranch_execz .LBB401_194
.LBB401_193:                            ;   in Loop: Header=BB401_182 Depth=2
	v_add_co_u32 v4, s13, s10, v1
	s_delay_alu instid0(VALU_DEP_1)
	v_add_co_ci_u32_e64 v5, null, s11, 0, s13
	global_load_u8 v11, v[4:5], off offset:1536
.LBB401_194:                            ;   in Loop: Header=BB401_182 Depth=2
	s_or_b32 exec_lo, exec_lo, s12
	s_delay_alu instid0(SALU_CYCLE_1)
	s_mov_b32 s13, exec_lo
                                        ; implicit-def: $sgpr12
                                        ; implicit-def: $vgpr4_vgpr5
	v_cmpx_gt_u32_e64 s0, v39
; %bb.195:                              ;   in Loop: Header=BB401_182 Depth=2
	v_add_co_u32 v4, s10, s10, v1
	s_delay_alu instid0(VALU_DEP_1) | instskip(SKIP_1) | instid1(VALU_DEP_2)
	v_add_co_ci_u32_e64 v5, null, s11, 0, s10
	s_sub_i32 s12, s33, s9
	v_add_co_u32 v4, vcc_lo, 0x700, v4
	s_delay_alu instid0(VALU_DEP_2)
	v_add_co_ci_u32_e32 v5, vcc_lo, 0, v5, vcc_lo
	s_or_b32 s8, s8, exec_lo
                                        ; implicit-def: $vgpr12
; %bb.196:                              ;   in Loop: Header=BB401_182 Depth=2
	s_or_b32 exec_lo, exec_lo, s13
	s_waitcnt vmcnt(0)
	v_dual_mov_b32 v14, v2 :: v_dual_mov_b32 v17, v8
	v_dual_mov_b32 v15, v6 :: v_dual_mov_b32 v16, v7
	;; [unrolled: 1-line block ×4, first 2 shown]
	s_and_saveexec_b32 s9, s8
	s_cbranch_execz .LBB401_198
.LBB401_197:                            ;   in Loop: Header=BB401_182 Depth=2
	global_load_u8 v12, v[4:5], off
	s_waitcnt vmcnt(1)
	v_dual_mov_b32 v13, s12 :: v_dual_mov_b32 v2, v14
	v_dual_mov_b32 v6, v15 :: v_dual_mov_b32 v7, v16
	;; [unrolled: 1-line block ×4, first 2 shown]
.LBB401_198:                            ;   in Loop: Header=BB401_182 Depth=2
	s_or_b32 exec_lo, exec_lo, s9
	s_delay_alu instid0(SALU_CYCLE_1)
	s_mov_b32 s8, exec_lo
	v_cmpx_lt_u32_e64 v1, v13
	s_cbranch_execz .LBB401_206
; %bb.199:                              ;   in Loop: Header=BB401_182 Depth=2
	v_xor_b32_e32 v4, 0x80, v2
	v_lshlrev_b32_e32 v5, 2, v32
	s_delay_alu instid0(VALU_DEP_2) | instskip(NEXT) | instid1(VALU_DEP_1)
	v_and_b32_e32 v4, 0xff, v4
	v_lshrrev_b32_e32 v4, s30, v4
	s_delay_alu instid0(VALU_DEP_1) | instskip(NEXT) | instid1(VALU_DEP_1)
	v_and_b32_e32 v4, s31, v4
	v_lshl_or_b32 v4, v4, 4, v5
	ds_add_u32 v4, v66
	s_or_b32 exec_lo, exec_lo, s8
	s_delay_alu instid0(SALU_CYCLE_1)
	s_mov_b32 s8, exec_lo
	v_cmpx_lt_u32_e64 v29, v13
	s_cbranch_execnz .LBB401_207
.LBB401_200:                            ;   in Loop: Header=BB401_182 Depth=2
	s_or_b32 exec_lo, exec_lo, s8
	s_delay_alu instid0(SALU_CYCLE_1)
	s_mov_b32 s8, exec_lo
	v_cmpx_lt_u32_e64 v30, v13
	s_cbranch_execz .LBB401_208
.LBB401_201:                            ;   in Loop: Header=BB401_182 Depth=2
	v_xor_b32_e32 v4, 0x80, v7
	v_lshlrev_b32_e32 v5, 2, v32
	s_delay_alu instid0(VALU_DEP_2) | instskip(NEXT) | instid1(VALU_DEP_1)
	v_and_b32_e32 v4, 0xff, v4
	v_lshrrev_b32_e32 v4, s30, v4
	s_delay_alu instid0(VALU_DEP_1) | instskip(NEXT) | instid1(VALU_DEP_1)
	v_and_b32_e32 v4, s31, v4
	v_lshl_or_b32 v4, v4, 4, v5
	ds_add_u32 v4, v66
	s_or_b32 exec_lo, exec_lo, s8
	s_delay_alu instid0(SALU_CYCLE_1)
	s_mov_b32 s8, exec_lo
	v_cmpx_lt_u32_e64 v31, v13
	s_cbranch_execnz .LBB401_209
.LBB401_202:                            ;   in Loop: Header=BB401_182 Depth=2
	s_or_b32 exec_lo, exec_lo, s8
	s_delay_alu instid0(SALU_CYCLE_1)
	s_mov_b32 s8, exec_lo
	v_cmpx_lt_u32_e64 v35, v13
	s_cbranch_execz .LBB401_210
.LBB401_203:                            ;   in Loop: Header=BB401_182 Depth=2
	v_xor_b32_e32 v4, 0x80, v9
	v_lshlrev_b32_e32 v5, 2, v32
	s_delay_alu instid0(VALU_DEP_2) | instskip(NEXT) | instid1(VALU_DEP_1)
	v_and_b32_e32 v4, 0xff, v4
	v_lshrrev_b32_e32 v4, s30, v4
	s_delay_alu instid0(VALU_DEP_1) | instskip(NEXT) | instid1(VALU_DEP_1)
	v_and_b32_e32 v4, s31, v4
	v_lshl_or_b32 v4, v4, 4, v5
	ds_add_u32 v4, v66
	s_or_b32 exec_lo, exec_lo, s8
	s_delay_alu instid0(SALU_CYCLE_1)
	s_mov_b32 s8, exec_lo
	v_cmpx_lt_u32_e64 v36, v13
	s_cbranch_execnz .LBB401_211
.LBB401_204:                            ;   in Loop: Header=BB401_182 Depth=2
	s_or_b32 exec_lo, exec_lo, s8
	s_delay_alu instid0(SALU_CYCLE_1)
	s_mov_b32 s8, exec_lo
	v_cmpx_lt_u32_e64 v37, v13
	s_cbranch_execz .LBB401_212
.LBB401_205:                            ;   in Loop: Header=BB401_182 Depth=2
	v_xor_b32_e32 v4, 0x80, v11
	v_lshlrev_b32_e32 v5, 2, v32
	s_delay_alu instid0(VALU_DEP_2) | instskip(NEXT) | instid1(VALU_DEP_1)
	v_and_b32_e32 v4, 0xff, v4
	v_lshrrev_b32_e32 v4, s30, v4
	s_delay_alu instid0(VALU_DEP_1) | instskip(NEXT) | instid1(VALU_DEP_1)
	v_and_b32_e32 v4, s31, v4
	v_lshl_or_b32 v4, v4, 4, v5
	ds_add_u32 v4, v66
	s_or_b32 exec_lo, exec_lo, s8
	s_delay_alu instid0(SALU_CYCLE_1)
	s_mov_b32 s8, exec_lo
	v_cmpx_lt_u32_e64 v39, v13
	s_cbranch_execz .LBB401_181
	s_branch .LBB401_213
.LBB401_206:                            ;   in Loop: Header=BB401_182 Depth=2
	s_or_b32 exec_lo, exec_lo, s8
	s_delay_alu instid0(SALU_CYCLE_1)
	s_mov_b32 s8, exec_lo
	v_cmpx_lt_u32_e64 v29, v13
	s_cbranch_execz .LBB401_200
.LBB401_207:                            ;   in Loop: Header=BB401_182 Depth=2
	v_xor_b32_e32 v4, 0x80, v6
	v_lshlrev_b32_e32 v5, 2, v32
	s_delay_alu instid0(VALU_DEP_2) | instskip(NEXT) | instid1(VALU_DEP_1)
	v_and_b32_e32 v4, 0xff, v4
	v_lshrrev_b32_e32 v4, s30, v4
	s_delay_alu instid0(VALU_DEP_1) | instskip(NEXT) | instid1(VALU_DEP_1)
	v_and_b32_e32 v4, s31, v4
	v_lshl_or_b32 v4, v4, 4, v5
	ds_add_u32 v4, v66
	s_or_b32 exec_lo, exec_lo, s8
	s_delay_alu instid0(SALU_CYCLE_1)
	s_mov_b32 s8, exec_lo
	v_cmpx_lt_u32_e64 v30, v13
	s_cbranch_execnz .LBB401_201
.LBB401_208:                            ;   in Loop: Header=BB401_182 Depth=2
	s_or_b32 exec_lo, exec_lo, s8
	s_delay_alu instid0(SALU_CYCLE_1)
	s_mov_b32 s8, exec_lo
	v_cmpx_lt_u32_e64 v31, v13
	s_cbranch_execz .LBB401_202
.LBB401_209:                            ;   in Loop: Header=BB401_182 Depth=2
	v_xor_b32_e32 v4, 0x80, v8
	v_lshlrev_b32_e32 v5, 2, v32
	s_delay_alu instid0(VALU_DEP_2) | instskip(NEXT) | instid1(VALU_DEP_1)
	v_and_b32_e32 v4, 0xff, v4
	v_lshrrev_b32_e32 v4, s30, v4
	s_delay_alu instid0(VALU_DEP_1) | instskip(NEXT) | instid1(VALU_DEP_1)
	v_and_b32_e32 v4, s31, v4
	v_lshl_or_b32 v4, v4, 4, v5
	ds_add_u32 v4, v66
	s_or_b32 exec_lo, exec_lo, s8
	s_delay_alu instid0(SALU_CYCLE_1)
	s_mov_b32 s8, exec_lo
	v_cmpx_lt_u32_e64 v35, v13
	s_cbranch_execnz .LBB401_203
.LBB401_210:                            ;   in Loop: Header=BB401_182 Depth=2
	s_or_b32 exec_lo, exec_lo, s8
	s_delay_alu instid0(SALU_CYCLE_1)
	s_mov_b32 s8, exec_lo
	v_cmpx_lt_u32_e64 v36, v13
	s_cbranch_execz .LBB401_204
.LBB401_211:                            ;   in Loop: Header=BB401_182 Depth=2
	v_xor_b32_e32 v4, 0x80, v10
	v_lshlrev_b32_e32 v5, 2, v32
	s_delay_alu instid0(VALU_DEP_2) | instskip(NEXT) | instid1(VALU_DEP_1)
	v_and_b32_e32 v4, 0xff, v4
	v_lshrrev_b32_e32 v4, s30, v4
	s_delay_alu instid0(VALU_DEP_1) | instskip(NEXT) | instid1(VALU_DEP_1)
	v_and_b32_e32 v4, s31, v4
	v_lshl_or_b32 v4, v4, 4, v5
	ds_add_u32 v4, v66
	s_or_b32 exec_lo, exec_lo, s8
	s_delay_alu instid0(SALU_CYCLE_1)
	s_mov_b32 s8, exec_lo
	v_cmpx_lt_u32_e64 v37, v13
	s_cbranch_execnz .LBB401_205
.LBB401_212:                            ;   in Loop: Header=BB401_182 Depth=2
	s_or_b32 exec_lo, exec_lo, s8
	s_delay_alu instid0(SALU_CYCLE_1)
	s_mov_b32 s8, exec_lo
	v_cmpx_lt_u32_e64 v39, v13
	s_cbranch_execz .LBB401_181
.LBB401_213:                            ;   in Loop: Header=BB401_182 Depth=2
	s_waitcnt vmcnt(0)
	v_xor_b32_e32 v4, 0x80, v12
	v_lshlrev_b32_e32 v5, 2, v32
	s_delay_alu instid0(VALU_DEP_2) | instskip(NEXT) | instid1(VALU_DEP_1)
	v_and_b32_e32 v4, 0xff, v4
	v_lshrrev_b32_e32 v4, s30, v4
	s_delay_alu instid0(VALU_DEP_1) | instskip(NEXT) | instid1(VALU_DEP_1)
	v_and_b32_e32 v4, s31, v4
	v_lshl_or_b32 v4, v4, 4, v5
	ds_add_u32 v4, v66
	s_branch .LBB401_181
.LBB401_214:                            ;   in Loop: Header=BB401_182 Depth=2
	s_or_b32 exec_lo, exec_lo, s12
	s_delay_alu instid0(SALU_CYCLE_1)
	s_mov_b32 s12, exec_lo
	v_cmpx_gt_u32_e64 s0, v29
	s_cbranch_execz .LBB401_188
.LBB401_215:                            ;   in Loop: Header=BB401_182 Depth=2
	v_add_co_u32 v4, s13, s10, v1
	s_delay_alu instid0(VALU_DEP_1) | instskip(SKIP_2) | instid1(SALU_CYCLE_1)
	v_add_co_ci_u32_e64 v5, null, s11, 0, s13
	global_load_u8 v6, v[4:5], off offset:256
	s_or_b32 exec_lo, exec_lo, s12
	s_mov_b32 s12, exec_lo
	v_cmpx_gt_u32_e64 s0, v30
	s_cbranch_execnz .LBB401_189
.LBB401_216:                            ;   in Loop: Header=BB401_182 Depth=2
	s_or_b32 exec_lo, exec_lo, s12
	s_delay_alu instid0(SALU_CYCLE_1)
	s_mov_b32 s12, exec_lo
	v_cmpx_gt_u32_e64 s0, v31
	s_cbranch_execz .LBB401_190
.LBB401_217:                            ;   in Loop: Header=BB401_182 Depth=2
	v_add_co_u32 v4, s13, s10, v1
	s_delay_alu instid0(VALU_DEP_1) | instskip(SKIP_2) | instid1(SALU_CYCLE_1)
	v_add_co_ci_u32_e64 v5, null, s11, 0, s13
	global_load_u8 v8, v[4:5], off offset:768
	s_or_b32 exec_lo, exec_lo, s12
	s_mov_b32 s12, exec_lo
	v_cmpx_gt_u32_e64 s0, v35
	s_cbranch_execnz .LBB401_191
.LBB401_218:                            ;   in Loop: Header=BB401_182 Depth=2
	s_or_b32 exec_lo, exec_lo, s12
	s_delay_alu instid0(SALU_CYCLE_1)
	s_mov_b32 s12, exec_lo
	v_cmpx_gt_u32_e64 s0, v36
	s_cbranch_execz .LBB401_192
.LBB401_219:                            ;   in Loop: Header=BB401_182 Depth=2
	v_add_co_u32 v4, s13, s10, v1
	s_delay_alu instid0(VALU_DEP_1) | instskip(SKIP_2) | instid1(SALU_CYCLE_1)
	v_add_co_ci_u32_e64 v5, null, s11, 0, s13
	global_load_u8 v10, v[4:5], off offset:1280
	s_or_b32 exec_lo, exec_lo, s12
	s_mov_b32 s12, exec_lo
	v_cmpx_gt_u32_e64 s0, v37
	s_cbranch_execz .LBB401_194
	s_branch .LBB401_193
.LBB401_220:                            ;   in Loop: Header=BB401_12 Depth=1
	v_mov_b32_e32 v2, 0
	s_waitcnt vmcnt(0) lgkmcnt(0)
	s_barrier
	buffer_gl0_inv
	s_and_saveexec_b32 s0, s2
	s_cbranch_execz .LBB401_222
; %bb.221:                              ;   in Loop: Header=BB401_12 Depth=1
	ds_load_2addr_b64 v[4:7], v40 offset1:1
	s_waitcnt lgkmcnt(0)
	v_add_nc_u32_e32 v2, v5, v4
	s_delay_alu instid0(VALU_DEP_1)
	v_add3_u32 v2, v2, v6, v7
.LBB401_222:                            ;   in Loop: Header=BB401_12 Depth=1
	s_or_b32 exec_lo, exec_lo, s0
	v_and_b32_e32 v4, 15, v63
	s_delay_alu instid0(VALU_DEP_2) | instskip(SKIP_1) | instid1(VALU_DEP_3)
	v_mov_b32_dpp v5, v2 row_shr:1 row_mask:0xf bank_mask:0xf
	v_and_b32_e32 v6, 16, v63
	v_cmp_eq_u32_e64 s0, 0, v4
	v_cmp_lt_u32_e64 s1, 1, v4
	v_cmp_lt_u32_e64 s8, 3, v4
	;; [unrolled: 1-line block ×3, first 2 shown]
	v_cmp_eq_u32_e64 s10, 0, v6
	v_cndmask_b32_e64 v5, v5, 0, s0
	s_delay_alu instid0(VALU_DEP_1) | instskip(NEXT) | instid1(VALU_DEP_1)
	v_add_nc_u32_e32 v2, v5, v2
	v_mov_b32_dpp v5, v2 row_shr:2 row_mask:0xf bank_mask:0xf
	s_delay_alu instid0(VALU_DEP_1) | instskip(NEXT) | instid1(VALU_DEP_1)
	v_cndmask_b32_e64 v5, 0, v5, s1
	v_add_nc_u32_e32 v2, v2, v5
	s_delay_alu instid0(VALU_DEP_1) | instskip(NEXT) | instid1(VALU_DEP_1)
	v_mov_b32_dpp v5, v2 row_shr:4 row_mask:0xf bank_mask:0xf
	v_cndmask_b32_e64 v5, 0, v5, s8
	s_delay_alu instid0(VALU_DEP_1) | instskip(NEXT) | instid1(VALU_DEP_1)
	v_add_nc_u32_e32 v2, v2, v5
	v_mov_b32_dpp v5, v2 row_shr:8 row_mask:0xf bank_mask:0xf
	s_delay_alu instid0(VALU_DEP_1) | instskip(SKIP_1) | instid1(VALU_DEP_2)
	v_cndmask_b32_e64 v4, 0, v5, s9
	v_bfe_i32 v5, v63, 4, 1
	v_add_nc_u32_e32 v2, v2, v4
	ds_swizzle_b32 v4, v2 offset:swizzle(BROADCAST,32,15)
	s_waitcnt lgkmcnt(0)
	v_and_b32_e32 v4, v5, v4
	s_delay_alu instid0(VALU_DEP_1)
	v_add_nc_u32_e32 v4, v2, v4
	s_and_saveexec_b32 s11, s3
	s_cbranch_execz .LBB401_224
; %bb.223:                              ;   in Loop: Header=BB401_12 Depth=1
	ds_store_b32 v41, v4
.LBB401_224:                            ;   in Loop: Header=BB401_12 Depth=1
	s_or_b32 exec_lo, exec_lo, s11
	v_and_b32_e32 v2, 7, v63
	s_waitcnt lgkmcnt(0)
	s_barrier
	buffer_gl0_inv
	s_and_saveexec_b32 s11, s4
	s_cbranch_execz .LBB401_226
; %bb.225:                              ;   in Loop: Header=BB401_12 Depth=1
	ds_load_b32 v5, v42
	v_cmp_ne_u32_e32 vcc_lo, 0, v2
	s_waitcnt lgkmcnt(0)
	v_mov_b32_dpp v6, v5 row_shr:1 row_mask:0xf bank_mask:0xf
	s_delay_alu instid0(VALU_DEP_1) | instskip(SKIP_1) | instid1(VALU_DEP_2)
	v_cndmask_b32_e32 v6, 0, v6, vcc_lo
	v_cmp_lt_u32_e32 vcc_lo, 1, v2
	v_add_nc_u32_e32 v5, v6, v5
	s_delay_alu instid0(VALU_DEP_1) | instskip(NEXT) | instid1(VALU_DEP_1)
	v_mov_b32_dpp v6, v5 row_shr:2 row_mask:0xf bank_mask:0xf
	v_cndmask_b32_e32 v6, 0, v6, vcc_lo
	v_cmp_lt_u32_e32 vcc_lo, 3, v2
	s_delay_alu instid0(VALU_DEP_2) | instskip(NEXT) | instid1(VALU_DEP_1)
	v_add_nc_u32_e32 v5, v5, v6
	v_mov_b32_dpp v6, v5 row_shr:4 row_mask:0xf bank_mask:0xf
	s_delay_alu instid0(VALU_DEP_1) | instskip(NEXT) | instid1(VALU_DEP_1)
	v_cndmask_b32_e32 v6, 0, v6, vcc_lo
	v_add_nc_u32_e32 v5, v5, v6
	ds_store_b32 v42, v5
.LBB401_226:                            ;   in Loop: Header=BB401_12 Depth=1
	s_or_b32 exec_lo, exec_lo, s11
	v_mov_b32_e32 v5, 0
	s_waitcnt lgkmcnt(0)
	s_barrier
	buffer_gl0_inv
	s_and_saveexec_b32 s11, s5
	s_cbranch_execz .LBB401_228
; %bb.227:                              ;   in Loop: Header=BB401_12 Depth=1
	ds_load_b32 v5, v43
.LBB401_228:                            ;   in Loop: Header=BB401_12 Depth=1
	s_or_b32 exec_lo, exec_lo, s11
	v_add_nc_u32_e32 v6, -1, v63
	s_waitcnt lgkmcnt(0)
	v_add_nc_u32_e32 v4, v5, v4
	v_cmp_eq_u32_e64 s11, 0, v63
	s_barrier
	v_cmp_gt_i32_e32 vcc_lo, 0, v6
	buffer_gl0_inv
	v_cndmask_b32_e32 v6, v6, v63, vcc_lo
	s_delay_alu instid0(VALU_DEP_1)
	v_lshlrev_b32_e32 v69, 2, v6
	ds_bpermute_b32 v4, v69, v4
	s_and_saveexec_b32 s12, s2
	s_cbranch_execz .LBB401_230
; %bb.229:                              ;   in Loop: Header=BB401_12 Depth=1
	s_waitcnt lgkmcnt(0)
	v_cndmask_b32_e64 v4, v4, v5, s11
	s_delay_alu instid0(VALU_DEP_1)
	v_add_nc_u32_e32 v4, s27, v4
	ds_store_b32 v28, v4
.LBB401_230:                            ;   in Loop: Header=BB401_12 Depth=1
	s_or_b32 exec_lo, exec_lo, s12
	s_load_b64 s[12:13], s[28:29], 0x0
	v_cmp_lt_u32_e64 s14, 3, v2
	v_add_co_u32 v71, vcc_lo, v57, v63
	v_add_co_ci_u32_e32 v72, vcc_lo, 0, v58, vcc_lo
	v_or_b32_e32 v70, v63, v44
	s_mov_b32 s42, s35
	s_mov_b32 s24, s27
                                        ; implicit-def: $vgpr8_vgpr9
                                        ; implicit-def: $vgpr10_vgpr11
                                        ; implicit-def: $vgpr12_vgpr13
                                        ; implicit-def: $vgpr14_vgpr15
                                        ; implicit-def: $vgpr16_vgpr17
                                        ; implicit-def: $vgpr18_vgpr19
                                        ; implicit-def: $vgpr85
                                        ; implicit-def: $vgpr86
                                        ; implicit-def: $vgpr87
                                        ; implicit-def: $vgpr88
                                        ; implicit-def: $vgpr89
                                        ; implicit-def: $vgpr90
                                        ; implicit-def: $vgpr91
                                        ; implicit-def: $vgpr92
	s_delay_alu instid0(VALU_DEP_1)
	v_or_b32_e32 v75, 32, v70
	v_or_b32_e32 v76, 64, v70
	;; [unrolled: 1-line block ×7, first 2 shown]
	s_waitcnt lgkmcnt(0)
	s_cmp_lt_u32 s15, s13
	s_cselect_b32 s13, 14, 20
	s_delay_alu instid0(SALU_CYCLE_1) | instskip(SKIP_4) | instid1(SALU_CYCLE_1)
	s_add_u32 s16, s28, s13
	s_addc_u32 s17, s29, 0
	s_cmp_lt_u32 s26, s12
	global_load_u16 v4, v3, s[16:17]
	s_cselect_b32 s12, 12, 18
	s_add_u32 s12, s28, s12
	s_addc_u32 s13, s29, 0
	global_load_u16 v6, v3, s[12:13]
	v_cmp_eq_u32_e64 s12, 0, v2
	v_cmp_lt_u32_e64 s13, 1, v2
	v_lshlrev_b32_e32 v2, 3, v63
	s_delay_alu instid0(VALU_DEP_1)
	v_add_co_u32 v73, vcc_lo, v55, v2
	v_add_co_ci_u32_e32 v74, vcc_lo, 0, v56, vcc_lo
	v_add_co_u32 v83, vcc_lo, 0xe0, v71
	v_add_co_ci_u32_e32 v84, vcc_lo, 0, v72, vcc_lo
	s_waitcnt vmcnt(1)
	v_mad_u32_u24 v7, v45, v4, v0
	s_waitcnt vmcnt(0)
	s_delay_alu instid0(VALU_DEP_1) | instskip(NEXT) | instid1(VALU_DEP_1)
	v_mad_u64_u32 v[4:5], null, v7, v6, v[1:2]
                                        ; implicit-def: $vgpr6_vgpr7
	v_lshrrev_b32_e32 v82, 5, v4
                                        ; implicit-def: $vgpr4_vgpr5
	s_branch .LBB401_232
.LBB401_231:                            ;   in Loop: Header=BB401_232 Depth=2
	s_or_b32 exec_lo, exec_lo, s16
	s_addk_i32 s42, 0xf800
	s_cmp_lt_u32 s43, s33
	s_mov_b32 s24, s43
	s_cbranch_scc0 .LBB401_344
.LBB401_232:                            ;   Parent Loop BB401_12 Depth=1
                                        ; =>  This Inner Loop Header: Depth=2
	s_add_i32 s43, s24, 0x800
	s_delay_alu instid0(SALU_CYCLE_1)
	s_cmp_gt_u32 s43, s33
	s_cbranch_scc1 .LBB401_235
; %bb.233:                              ;   in Loop: Header=BB401_232 Depth=2
	v_add_co_u32 v20, vcc_lo, v71, s24
	v_add_co_ci_u32_e32 v21, vcc_lo, 0, v72, vcc_lo
	s_mov_b32 s17, 0
	s_mov_b32 s16, s24
	s_mov_b32 s19, -1
	s_clause 0x6
	global_load_u8 v23, v[20:21], off offset:192
	global_load_u8 v24, v[20:21], off offset:160
	;; [unrolled: 1-line block ×6, first 2 shown]
	global_load_u8 v93, v[20:21], off
	s_movk_i32 s18, 0x800
	s_cbranch_execz .LBB401_236
; %bb.234:                              ;   in Loop: Header=BB401_232 Depth=2
                                        ; implicit-def: $vgpr22
	v_mov_b32_e32 v2, s42
	s_and_saveexec_b32 s20, s19
	s_cbranch_execnz .LBB401_245
	s_branch .LBB401_246
.LBB401_235:                            ;   in Loop: Header=BB401_232 Depth=2
	s_mov_b32 s17, -1
	s_mov_b32 s19, 0
                                        ; implicit-def: $sgpr18
                                        ; implicit-def: $vgpr93
                                        ; implicit-def: $vgpr95
                                        ; implicit-def: $vgpr27
                                        ; implicit-def: $vgpr26
                                        ; implicit-def: $vgpr25
                                        ; implicit-def: $vgpr24
                                        ; implicit-def: $vgpr23
.LBB401_236:                            ;   in Loop: Header=BB401_232 Depth=2
	v_add_co_u32 v20, vcc_lo, v71, s24
	v_add_co_ci_u32_e32 v21, vcc_lo, 0, v72, vcc_lo
	s_waitcnt vmcnt(0)
	v_dual_mov_b32 v93, 0x7f :: v_dual_mov_b32 v22, 0x7f
	v_dual_mov_b32 v95, 0x7f :: v_dual_mov_b32 v26, 0x7f
	;; [unrolled: 1-line block ×3, first 2 shown]
	v_mov_b32_e32 v25, 0x7f
	v_mov_b32_e32 v23, 0x7f
	s_mov_b32 s16, exec_lo
	v_cmpx_gt_u32_e64 s42, v70
	s_cbranch_execz .LBB401_338
; %bb.237:                              ;   in Loop: Header=BB401_232 Depth=2
	global_load_u8 v93, v[20:21], off
	v_dual_mov_b32 v95, 0x7f :: v_dual_mov_b32 v26, 0x7f
	v_dual_mov_b32 v27, 0x7f :: v_dual_mov_b32 v24, 0x7f
	;; [unrolled: 1-line block ×3, first 2 shown]
	v_mov_b32_e32 v23, 0x7f
	s_or_b32 exec_lo, exec_lo, s16
	s_delay_alu instid0(SALU_CYCLE_1)
	s_mov_b32 s16, exec_lo
	v_cmpx_gt_u32_e64 s42, v75
	s_cbranch_execnz .LBB401_339
.LBB401_238:                            ;   in Loop: Header=BB401_232 Depth=2
	s_or_b32 exec_lo, exec_lo, s16
	s_delay_alu instid0(SALU_CYCLE_1)
	s_mov_b32 s16, exec_lo
	v_cmpx_gt_u32_e64 s42, v76
	s_cbranch_execz .LBB401_340
.LBB401_239:                            ;   in Loop: Header=BB401_232 Depth=2
	global_load_u8 v27, v[20:21], off offset:64
	s_or_b32 exec_lo, exec_lo, s16
	s_delay_alu instid0(SALU_CYCLE_1)
	s_mov_b32 s16, exec_lo
	v_cmpx_gt_u32_e64 s42, v77
	s_cbranch_execnz .LBB401_341
.LBB401_240:                            ;   in Loop: Header=BB401_232 Depth=2
	s_or_b32 exec_lo, exec_lo, s16
	s_delay_alu instid0(SALU_CYCLE_1)
	s_mov_b32 s16, exec_lo
	v_cmpx_gt_u32_e64 s42, v78
	s_cbranch_execz .LBB401_342
.LBB401_241:                            ;   in Loop: Header=BB401_232 Depth=2
	global_load_u8 v25, v[20:21], off offset:128
	s_or_b32 exec_lo, exec_lo, s16
	s_delay_alu instid0(SALU_CYCLE_1)
	s_mov_b32 s16, exec_lo
	v_cmpx_gt_u32_e64 s42, v79
	s_cbranch_execnz .LBB401_343
.LBB401_242:                            ;   in Loop: Header=BB401_232 Depth=2
	s_or_b32 exec_lo, exec_lo, s16
	s_delay_alu instid0(SALU_CYCLE_1)
	s_mov_b32 s16, exec_lo
	v_cmpx_gt_u32_e64 s42, v80
	s_cbranch_execz .LBB401_244
.LBB401_243:                            ;   in Loop: Header=BB401_232 Depth=2
	global_load_u8 v23, v[20:21], off offset:192
.LBB401_244:                            ;   in Loop: Header=BB401_232 Depth=2
	s_or_b32 exec_lo, exec_lo, s16
	v_cmp_gt_u32_e64 s19, s42, v81
	s_sub_i32 s18, s33, s24
	s_mov_b64 s[16:17], s[24:25]
	v_mov_b32_e32 v2, s42
	s_delay_alu instid0(VALU_DEP_2)
	s_and_saveexec_b32 s20, s19
	s_cbranch_execz .LBB401_246
.LBB401_245:                            ;   in Loop: Header=BB401_232 Depth=2
	v_add_co_u32 v20, vcc_lo, v83, s16
	v_add_co_ci_u32_e32 v21, vcc_lo, s17, v84, vcc_lo
	v_mov_b32_e32 v2, s18
	global_load_u8 v22, v[20:21], off
.LBB401_246:                            ;   in Loop: Header=BB401_232 Depth=2
	s_or_b32 exec_lo, exec_lo, s20
	s_waitcnt vmcnt(0)
	v_xor_b32_e32 v93, 0xffffff80, v93
	ds_store_b32 v46, v3 offset:1056
	ds_store_2addr_b32 v47, v3, v3 offset0:1 offset1:2
	ds_store_2addr_b32 v47, v3, v3 offset0:3 offset1:4
	;; [unrolled: 1-line block ×4, first 2 shown]
	s_waitcnt lgkmcnt(0)
	s_barrier
	v_and_b32_e32 v20, 0xff, v93
	buffer_gl0_inv
	; wave barrier
	v_lshrrev_b32_e32 v20, s30, v20
	s_delay_alu instid0(VALU_DEP_1) | instskip(NEXT) | instid1(VALU_DEP_1)
	v_and_b32_e32 v21, s31, v20
	v_and_b32_e32 v20, 1, v21
	v_lshlrev_b32_e32 v94, 30, v21
	v_lshlrev_b32_e32 v96, 29, v21
	;; [unrolled: 1-line block ×4, first 2 shown]
	v_add_co_u32 v20, s16, v20, -1
	s_delay_alu instid0(VALU_DEP_1)
	v_cndmask_b32_e64 v98, 0, 1, s16
	v_not_b32_e32 v102, v94
	v_cmp_gt_i32_e64 s16, 0, v94
	v_not_b32_e32 v94, v96
	v_lshlrev_b32_e32 v100, 26, v21
	v_cmp_ne_u32_e32 vcc_lo, 0, v98
	v_ashrrev_i32_e32 v102, 31, v102
	v_lshlrev_b32_e32 v101, 25, v21
	v_ashrrev_i32_e32 v94, 31, v94
	v_lshlrev_b32_e32 v98, 24, v21
	v_xor_b32_e32 v20, vcc_lo, v20
	v_cmp_gt_i32_e32 vcc_lo, 0, v96
	v_not_b32_e32 v96, v97
	v_xor_b32_e32 v102, s16, v102
	v_cmp_gt_i32_e64 s16, 0, v97
	v_and_b32_e32 v20, exec_lo, v20
	v_not_b32_e32 v97, v99
	v_ashrrev_i32_e32 v96, 31, v96
	v_xor_b32_e32 v94, vcc_lo, v94
	v_cmp_gt_i32_e32 vcc_lo, 0, v99
	v_and_b32_e32 v20, v20, v102
	v_not_b32_e32 v99, v100
	v_ashrrev_i32_e32 v97, 31, v97
	v_xor_b32_e32 v96, s16, v96
	v_cmp_gt_i32_e64 s16, 0, v100
	v_and_b32_e32 v20, v20, v94
	v_not_b32_e32 v94, v101
	v_ashrrev_i32_e32 v99, 31, v99
	v_xor_b32_e32 v97, vcc_lo, v97
	v_cmp_gt_i32_e32 vcc_lo, 0, v101
	v_and_b32_e32 v20, v20, v96
	v_not_b32_e32 v96, v98
	v_ashrrev_i32_e32 v94, 31, v94
	v_xor_b32_e32 v99, s16, v99
	v_cmp_gt_i32_e64 s16, 0, v98
	v_and_b32_e32 v20, v20, v97
	v_ashrrev_i32_e32 v96, 31, v96
	v_xor_b32_e32 v94, vcc_lo, v94
	v_mad_u32_u24 v21, v21, 9, v82
	s_delay_alu instid0(VALU_DEP_4) | instskip(NEXT) | instid1(VALU_DEP_4)
	v_and_b32_e32 v20, v20, v99
	v_xor_b32_e32 v96, s16, v96
	s_delay_alu instid0(VALU_DEP_2) | instskip(NEXT) | instid1(VALU_DEP_1)
	v_and_b32_e32 v20, v20, v94
	v_and_b32_e32 v20, v20, v96
	v_lshl_add_u32 v96, v21, 2, 0x420
	s_delay_alu instid0(VALU_DEP_2) | instskip(SKIP_1) | instid1(VALU_DEP_2)
	v_mbcnt_lo_u32_b32 v94, v20, 0
	v_cmp_ne_u32_e64 s16, 0, v20
	v_cmp_eq_u32_e32 vcc_lo, 0, v94
	s_delay_alu instid0(VALU_DEP_2) | instskip(NEXT) | instid1(SALU_CYCLE_1)
	s_and_b32 s17, s16, vcc_lo
	s_and_saveexec_b32 s16, s17
	s_cbranch_execz .LBB401_248
; %bb.247:                              ;   in Loop: Header=BB401_232 Depth=2
	v_bcnt_u32_b32 v20, v20, 0
	ds_store_b32 v96, v20
.LBB401_248:                            ;   in Loop: Header=BB401_232 Depth=2
	s_or_b32 exec_lo, exec_lo, s16
	v_xor_b32_e32 v95, 0xffffff80, v95
	; wave barrier
	s_delay_alu instid0(VALU_DEP_1) | instskip(NEXT) | instid1(VALU_DEP_1)
	v_and_b32_e32 v20, 0xff, v95
	v_lshrrev_b32_e32 v20, s30, v20
	s_delay_alu instid0(VALU_DEP_1) | instskip(NEXT) | instid1(VALU_DEP_1)
	v_and_b32_e32 v20, s31, v20
	v_and_b32_e32 v21, 1, v20
	v_lshlrev_b32_e32 v97, 30, v20
	v_lshlrev_b32_e32 v98, 29, v20
	;; [unrolled: 1-line block ×4, first 2 shown]
	v_add_co_u32 v21, s16, v21, -1
	s_delay_alu instid0(VALU_DEP_1)
	v_cndmask_b32_e64 v100, 0, 1, s16
	v_not_b32_e32 v104, v97
	v_cmp_gt_i32_e64 s16, 0, v97
	v_not_b32_e32 v97, v98
	v_lshlrev_b32_e32 v102, 26, v20
	v_cmp_ne_u32_e32 vcc_lo, 0, v100
	v_ashrrev_i32_e32 v104, 31, v104
	v_lshlrev_b32_e32 v103, 25, v20
	v_ashrrev_i32_e32 v97, 31, v97
	v_lshlrev_b32_e32 v100, 24, v20
	v_xor_b32_e32 v21, vcc_lo, v21
	v_cmp_gt_i32_e32 vcc_lo, 0, v98
	v_not_b32_e32 v98, v99
	v_xor_b32_e32 v104, s16, v104
	v_cmp_gt_i32_e64 s16, 0, v99
	v_and_b32_e32 v21, exec_lo, v21
	v_not_b32_e32 v99, v101
	v_ashrrev_i32_e32 v98, 31, v98
	v_xor_b32_e32 v97, vcc_lo, v97
	v_cmp_gt_i32_e32 vcc_lo, 0, v101
	v_and_b32_e32 v21, v21, v104
	v_not_b32_e32 v101, v102
	v_ashrrev_i32_e32 v99, 31, v99
	v_xor_b32_e32 v98, s16, v98
	v_cmp_gt_i32_e64 s16, 0, v102
	v_and_b32_e32 v21, v21, v97
	v_not_b32_e32 v97, v103
	v_ashrrev_i32_e32 v101, 31, v101
	v_xor_b32_e32 v99, vcc_lo, v99
	v_cmp_gt_i32_e32 vcc_lo, 0, v103
	v_and_b32_e32 v21, v21, v98
	v_not_b32_e32 v98, v100
	v_ashrrev_i32_e32 v97, 31, v97
	v_xor_b32_e32 v101, s16, v101
	v_mul_u32_u24_e32 v20, 9, v20
	v_and_b32_e32 v21, v21, v99
	v_cmp_gt_i32_e64 s16, 0, v100
	v_ashrrev_i32_e32 v98, 31, v98
	v_xor_b32_e32 v97, vcc_lo, v97
	v_add_lshl_u32 v99, v20, v82, 2
	v_and_b32_e32 v21, v21, v101
	s_delay_alu instid0(VALU_DEP_4) | instskip(NEXT) | instid1(VALU_DEP_3)
	v_xor_b32_e32 v20, s16, v98
	v_add_nc_u32_e32 v100, 0x420, v99
	s_delay_alu instid0(VALU_DEP_3) | instskip(SKIP_2) | instid1(VALU_DEP_1)
	v_and_b32_e32 v21, v21, v97
	ds_load_b32 v97, v99 offset:1056
	; wave barrier
	v_and_b32_e32 v20, v21, v20
	v_mbcnt_lo_u32_b32 v98, v20, 0
	v_cmp_ne_u32_e64 s16, 0, v20
	s_delay_alu instid0(VALU_DEP_2) | instskip(NEXT) | instid1(VALU_DEP_2)
	v_cmp_eq_u32_e32 vcc_lo, 0, v98
	s_and_b32 s17, s16, vcc_lo
	s_delay_alu instid0(SALU_CYCLE_1)
	s_and_saveexec_b32 s16, s17
	s_cbranch_execz .LBB401_250
; %bb.249:                              ;   in Loop: Header=BB401_232 Depth=2
	s_waitcnt lgkmcnt(0)
	v_bcnt_u32_b32 v20, v20, v97
	ds_store_b32 v100, v20
.LBB401_250:                            ;   in Loop: Header=BB401_232 Depth=2
	s_or_b32 exec_lo, exec_lo, s16
	v_xor_b32_e32 v99, 0xffffff80, v27
	; wave barrier
	s_delay_alu instid0(VALU_DEP_1) | instskip(NEXT) | instid1(VALU_DEP_1)
	v_and_b32_e32 v20, 0xff, v99
	v_lshrrev_b32_e32 v20, s30, v20
	s_delay_alu instid0(VALU_DEP_1) | instskip(NEXT) | instid1(VALU_DEP_1)
	v_and_b32_e32 v20, s31, v20
	v_and_b32_e32 v21, 1, v20
	v_lshlrev_b32_e32 v27, 30, v20
	v_lshlrev_b32_e32 v101, 29, v20
	;; [unrolled: 1-line block ×4, first 2 shown]
	v_add_co_u32 v21, s16, v21, -1
	s_delay_alu instid0(VALU_DEP_1)
	v_cndmask_b32_e64 v103, 0, 1, s16
	v_not_b32_e32 v107, v27
	v_cmp_gt_i32_e64 s16, 0, v27
	v_not_b32_e32 v27, v101
	v_lshlrev_b32_e32 v105, 26, v20
	v_cmp_ne_u32_e32 vcc_lo, 0, v103
	v_ashrrev_i32_e32 v107, 31, v107
	v_lshlrev_b32_e32 v106, 25, v20
	v_ashrrev_i32_e32 v27, 31, v27
	v_lshlrev_b32_e32 v103, 24, v20
	v_xor_b32_e32 v21, vcc_lo, v21
	v_cmp_gt_i32_e32 vcc_lo, 0, v101
	v_not_b32_e32 v101, v102
	v_xor_b32_e32 v107, s16, v107
	v_cmp_gt_i32_e64 s16, 0, v102
	v_and_b32_e32 v21, exec_lo, v21
	v_not_b32_e32 v102, v104
	v_ashrrev_i32_e32 v101, 31, v101
	v_xor_b32_e32 v27, vcc_lo, v27
	v_cmp_gt_i32_e32 vcc_lo, 0, v104
	v_and_b32_e32 v21, v21, v107
	v_not_b32_e32 v104, v105
	v_ashrrev_i32_e32 v102, 31, v102
	v_xor_b32_e32 v101, s16, v101
	v_cmp_gt_i32_e64 s16, 0, v105
	v_and_b32_e32 v21, v21, v27
	v_not_b32_e32 v27, v106
	v_ashrrev_i32_e32 v104, 31, v104
	v_xor_b32_e32 v102, vcc_lo, v102
	v_cmp_gt_i32_e32 vcc_lo, 0, v106
	v_and_b32_e32 v21, v21, v101
	v_not_b32_e32 v101, v103
	v_ashrrev_i32_e32 v27, 31, v27
	v_xor_b32_e32 v104, s16, v104
	v_mul_u32_u24_e32 v20, 9, v20
	v_and_b32_e32 v21, v21, v102
	v_cmp_gt_i32_e64 s16, 0, v103
	v_ashrrev_i32_e32 v101, 31, v101
	v_xor_b32_e32 v27, vcc_lo, v27
	v_add_lshl_u32 v103, v20, v82, 2
	v_and_b32_e32 v21, v21, v104
	s_delay_alu instid0(VALU_DEP_4) | instskip(SKIP_3) | instid1(VALU_DEP_2)
	v_xor_b32_e32 v20, s16, v101
	ds_load_b32 v101, v103 offset:1056
	v_and_b32_e32 v21, v21, v27
	v_add_nc_u32_e32 v104, 0x420, v103
	; wave barrier
	v_and_b32_e32 v20, v21, v20
	s_delay_alu instid0(VALU_DEP_1) | instskip(SKIP_1) | instid1(VALU_DEP_2)
	v_mbcnt_lo_u32_b32 v102, v20, 0
	v_cmp_ne_u32_e64 s16, 0, v20
	v_cmp_eq_u32_e32 vcc_lo, 0, v102
	s_delay_alu instid0(VALU_DEP_2) | instskip(NEXT) | instid1(SALU_CYCLE_1)
	s_and_b32 s17, s16, vcc_lo
	s_and_saveexec_b32 s16, s17
	s_cbranch_execz .LBB401_252
; %bb.251:                              ;   in Loop: Header=BB401_232 Depth=2
	s_waitcnt lgkmcnt(0)
	v_bcnt_u32_b32 v20, v20, v101
	ds_store_b32 v104, v20
.LBB401_252:                            ;   in Loop: Header=BB401_232 Depth=2
	s_or_b32 exec_lo, exec_lo, s16
	v_xor_b32_e32 v103, 0xffffff80, v26
	; wave barrier
	s_delay_alu instid0(VALU_DEP_1) | instskip(NEXT) | instid1(VALU_DEP_1)
	v_and_b32_e32 v20, 0xff, v103
	v_lshrrev_b32_e32 v20, s30, v20
	s_delay_alu instid0(VALU_DEP_1) | instskip(NEXT) | instid1(VALU_DEP_1)
	v_and_b32_e32 v20, s31, v20
	v_and_b32_e32 v21, 1, v20
	v_lshlrev_b32_e32 v26, 30, v20
	v_lshlrev_b32_e32 v27, 29, v20
	;; [unrolled: 1-line block ×4, first 2 shown]
	v_add_co_u32 v21, s16, v21, -1
	s_delay_alu instid0(VALU_DEP_1)
	v_cndmask_b32_e64 v106, 0, 1, s16
	v_not_b32_e32 v110, v26
	v_cmp_gt_i32_e64 s16, 0, v26
	v_not_b32_e32 v26, v27
	v_lshlrev_b32_e32 v108, 26, v20
	v_cmp_ne_u32_e32 vcc_lo, 0, v106
	v_ashrrev_i32_e32 v110, 31, v110
	v_lshlrev_b32_e32 v109, 25, v20
	v_ashrrev_i32_e32 v26, 31, v26
	v_lshlrev_b32_e32 v106, 24, v20
	v_xor_b32_e32 v21, vcc_lo, v21
	v_cmp_gt_i32_e32 vcc_lo, 0, v27
	v_not_b32_e32 v27, v105
	v_xor_b32_e32 v110, s16, v110
	v_cmp_gt_i32_e64 s16, 0, v105
	v_and_b32_e32 v21, exec_lo, v21
	v_not_b32_e32 v105, v107
	v_ashrrev_i32_e32 v27, 31, v27
	v_xor_b32_e32 v26, vcc_lo, v26
	v_cmp_gt_i32_e32 vcc_lo, 0, v107
	v_and_b32_e32 v21, v21, v110
	v_not_b32_e32 v107, v108
	v_ashrrev_i32_e32 v105, 31, v105
	v_xor_b32_e32 v27, s16, v27
	v_cmp_gt_i32_e64 s16, 0, v108
	v_and_b32_e32 v21, v21, v26
	v_not_b32_e32 v26, v109
	v_ashrrev_i32_e32 v107, 31, v107
	v_xor_b32_e32 v105, vcc_lo, v105
	v_cmp_gt_i32_e32 vcc_lo, 0, v109
	v_and_b32_e32 v21, v21, v27
	v_not_b32_e32 v27, v106
	v_ashrrev_i32_e32 v26, 31, v26
	v_xor_b32_e32 v107, s16, v107
	v_mul_u32_u24_e32 v20, 9, v20
	v_and_b32_e32 v21, v21, v105
	v_cmp_gt_i32_e64 s16, 0, v106
	v_ashrrev_i32_e32 v27, 31, v27
	v_xor_b32_e32 v26, vcc_lo, v26
	s_delay_alu instid0(VALU_DEP_4) | instskip(SKIP_1) | instid1(VALU_DEP_4)
	v_and_b32_e32 v21, v21, v107
	v_add_lshl_u32 v107, v20, v82, 2
	v_xor_b32_e32 v20, s16, v27
	s_delay_alu instid0(VALU_DEP_3) | instskip(SKIP_3) | instid1(VALU_DEP_1)
	v_and_b32_e32 v21, v21, v26
	ds_load_b32 v105, v107 offset:1056
	v_add_nc_u32_e32 v108, 0x420, v107
	; wave barrier
	v_and_b32_e32 v20, v21, v20
	v_mbcnt_lo_u32_b32 v106, v20, 0
	v_cmp_ne_u32_e64 s16, 0, v20
	s_delay_alu instid0(VALU_DEP_2) | instskip(NEXT) | instid1(VALU_DEP_2)
	v_cmp_eq_u32_e32 vcc_lo, 0, v106
	s_and_b32 s17, s16, vcc_lo
	s_delay_alu instid0(SALU_CYCLE_1)
	s_and_saveexec_b32 s16, s17
	s_cbranch_execz .LBB401_254
; %bb.253:                              ;   in Loop: Header=BB401_232 Depth=2
	s_waitcnt lgkmcnt(0)
	v_bcnt_u32_b32 v20, v20, v105
	ds_store_b32 v108, v20
.LBB401_254:                            ;   in Loop: Header=BB401_232 Depth=2
	s_or_b32 exec_lo, exec_lo, s16
	v_xor_b32_e32 v107, 0xffffff80, v25
	; wave barrier
	s_delay_alu instid0(VALU_DEP_1) | instskip(NEXT) | instid1(VALU_DEP_1)
	v_and_b32_e32 v20, 0xff, v107
	v_lshrrev_b32_e32 v20, s30, v20
	s_delay_alu instid0(VALU_DEP_1) | instskip(NEXT) | instid1(VALU_DEP_1)
	v_and_b32_e32 v20, s31, v20
	v_and_b32_e32 v21, 1, v20
	v_lshlrev_b32_e32 v25, 30, v20
	v_lshlrev_b32_e32 v26, 29, v20
	v_lshlrev_b32_e32 v27, 28, v20
	v_lshlrev_b32_e32 v110, 27, v20
	v_add_co_u32 v21, s16, v21, -1
	s_delay_alu instid0(VALU_DEP_1)
	v_cndmask_b32_e64 v109, 0, 1, s16
	v_not_b32_e32 v113, v25
	v_cmp_gt_i32_e64 s16, 0, v25
	v_not_b32_e32 v25, v26
	v_lshlrev_b32_e32 v111, 26, v20
	v_cmp_ne_u32_e32 vcc_lo, 0, v109
	v_ashrrev_i32_e32 v113, 31, v113
	v_lshlrev_b32_e32 v112, 25, v20
	v_ashrrev_i32_e32 v25, 31, v25
	v_lshlrev_b32_e32 v109, 24, v20
	v_xor_b32_e32 v21, vcc_lo, v21
	v_cmp_gt_i32_e32 vcc_lo, 0, v26
	v_not_b32_e32 v26, v27
	v_xor_b32_e32 v113, s16, v113
	v_cmp_gt_i32_e64 s16, 0, v27
	v_and_b32_e32 v21, exec_lo, v21
	v_not_b32_e32 v27, v110
	v_ashrrev_i32_e32 v26, 31, v26
	v_xor_b32_e32 v25, vcc_lo, v25
	v_cmp_gt_i32_e32 vcc_lo, 0, v110
	v_and_b32_e32 v21, v21, v113
	v_not_b32_e32 v110, v111
	v_ashrrev_i32_e32 v27, 31, v27
	v_xor_b32_e32 v26, s16, v26
	v_cmp_gt_i32_e64 s16, 0, v111
	v_and_b32_e32 v21, v21, v25
	v_not_b32_e32 v25, v112
	v_ashrrev_i32_e32 v110, 31, v110
	v_xor_b32_e32 v27, vcc_lo, v27
	v_cmp_gt_i32_e32 vcc_lo, 0, v112
	v_and_b32_e32 v21, v21, v26
	v_not_b32_e32 v26, v109
	v_ashrrev_i32_e32 v25, 31, v25
	v_xor_b32_e32 v110, s16, v110
	v_mul_u32_u24_e32 v20, 9, v20
	v_and_b32_e32 v21, v21, v27
	v_cmp_gt_i32_e64 s16, 0, v109
	v_ashrrev_i32_e32 v26, 31, v26
	v_xor_b32_e32 v25, vcc_lo, v25
	v_add_lshl_u32 v27, v20, v82, 2
	v_and_b32_e32 v21, v21, v110
	s_delay_alu instid0(VALU_DEP_4) | instskip(SKIP_3) | instid1(VALU_DEP_2)
	v_xor_b32_e32 v20, s16, v26
	ds_load_b32 v109, v27 offset:1056
	v_and_b32_e32 v21, v21, v25
	v_add_nc_u32_e32 v112, 0x420, v27
	; wave barrier
	v_and_b32_e32 v20, v21, v20
	s_delay_alu instid0(VALU_DEP_1) | instskip(SKIP_1) | instid1(VALU_DEP_2)
	v_mbcnt_lo_u32_b32 v110, v20, 0
	v_cmp_ne_u32_e64 s16, 0, v20
	v_cmp_eq_u32_e32 vcc_lo, 0, v110
	s_delay_alu instid0(VALU_DEP_2) | instskip(NEXT) | instid1(SALU_CYCLE_1)
	s_and_b32 s17, s16, vcc_lo
	s_and_saveexec_b32 s16, s17
	s_cbranch_execz .LBB401_256
; %bb.255:                              ;   in Loop: Header=BB401_232 Depth=2
	s_waitcnt lgkmcnt(0)
	v_bcnt_u32_b32 v20, v20, v109
	ds_store_b32 v112, v20
.LBB401_256:                            ;   in Loop: Header=BB401_232 Depth=2
	s_or_b32 exec_lo, exec_lo, s16
	v_xor_b32_e32 v111, 0xffffff80, v24
	; wave barrier
	s_delay_alu instid0(VALU_DEP_1) | instskip(NEXT) | instid1(VALU_DEP_1)
	v_and_b32_e32 v20, 0xff, v111
	v_lshrrev_b32_e32 v20, s30, v20
	s_delay_alu instid0(VALU_DEP_1) | instskip(NEXT) | instid1(VALU_DEP_1)
	v_and_b32_e32 v20, s31, v20
	v_and_b32_e32 v21, 1, v20
	v_lshlrev_b32_e32 v24, 30, v20
	v_lshlrev_b32_e32 v25, 29, v20
	;; [unrolled: 1-line block ×4, first 2 shown]
	v_add_co_u32 v21, s16, v21, -1
	s_delay_alu instid0(VALU_DEP_1)
	v_cndmask_b32_e64 v27, 0, 1, s16
	v_not_b32_e32 v116, v24
	v_cmp_gt_i32_e64 s16, 0, v24
	v_not_b32_e32 v24, v25
	v_lshlrev_b32_e32 v114, 26, v20
	v_cmp_ne_u32_e32 vcc_lo, 0, v27
	v_ashrrev_i32_e32 v116, 31, v116
	v_lshlrev_b32_e32 v115, 25, v20
	v_ashrrev_i32_e32 v24, 31, v24
	v_lshlrev_b32_e32 v27, 24, v20
	v_xor_b32_e32 v21, vcc_lo, v21
	v_cmp_gt_i32_e32 vcc_lo, 0, v25
	v_not_b32_e32 v25, v26
	v_xor_b32_e32 v116, s16, v116
	v_cmp_gt_i32_e64 s16, 0, v26
	v_and_b32_e32 v21, exec_lo, v21
	v_not_b32_e32 v26, v113
	v_ashrrev_i32_e32 v25, 31, v25
	v_xor_b32_e32 v24, vcc_lo, v24
	v_cmp_gt_i32_e32 vcc_lo, 0, v113
	v_and_b32_e32 v21, v21, v116
	v_not_b32_e32 v113, v114
	v_ashrrev_i32_e32 v26, 31, v26
	v_xor_b32_e32 v25, s16, v25
	v_cmp_gt_i32_e64 s16, 0, v114
	v_and_b32_e32 v21, v21, v24
	v_not_b32_e32 v24, v115
	v_ashrrev_i32_e32 v113, 31, v113
	v_xor_b32_e32 v26, vcc_lo, v26
	v_cmp_gt_i32_e32 vcc_lo, 0, v115
	v_and_b32_e32 v21, v21, v25
	v_not_b32_e32 v25, v27
	v_ashrrev_i32_e32 v24, 31, v24
	v_xor_b32_e32 v113, s16, v113
	v_mul_u32_u24_e32 v20, 9, v20
	v_and_b32_e32 v21, v21, v26
	v_cmp_gt_i32_e64 s16, 0, v27
	v_ashrrev_i32_e32 v25, 31, v25
	v_xor_b32_e32 v24, vcc_lo, v24
	v_add_lshl_u32 v26, v20, v82, 2
	v_and_b32_e32 v21, v21, v113
	s_delay_alu instid0(VALU_DEP_4) | instskip(SKIP_3) | instid1(VALU_DEP_2)
	v_xor_b32_e32 v20, s16, v25
	ds_load_b32 v113, v26 offset:1056
	v_and_b32_e32 v21, v21, v24
	v_add_nc_u32_e32 v116, 0x420, v26
	; wave barrier
	v_and_b32_e32 v20, v21, v20
	s_delay_alu instid0(VALU_DEP_1) | instskip(SKIP_1) | instid1(VALU_DEP_2)
	v_mbcnt_lo_u32_b32 v114, v20, 0
	v_cmp_ne_u32_e64 s16, 0, v20
	v_cmp_eq_u32_e32 vcc_lo, 0, v114
	s_delay_alu instid0(VALU_DEP_2) | instskip(NEXT) | instid1(SALU_CYCLE_1)
	s_and_b32 s17, s16, vcc_lo
	s_and_saveexec_b32 s16, s17
	s_cbranch_execz .LBB401_258
; %bb.257:                              ;   in Loop: Header=BB401_232 Depth=2
	s_waitcnt lgkmcnt(0)
	v_bcnt_u32_b32 v20, v20, v113
	ds_store_b32 v116, v20
.LBB401_258:                            ;   in Loop: Header=BB401_232 Depth=2
	s_or_b32 exec_lo, exec_lo, s16
	v_xor_b32_e32 v115, 0xffffff80, v23
	; wave barrier
	s_delay_alu instid0(VALU_DEP_1) | instskip(NEXT) | instid1(VALU_DEP_1)
	v_and_b32_e32 v20, 0xff, v115
	v_lshrrev_b32_e32 v20, s30, v20
	s_delay_alu instid0(VALU_DEP_1) | instskip(NEXT) | instid1(VALU_DEP_1)
	v_and_b32_e32 v20, s31, v20
	v_and_b32_e32 v21, 1, v20
	v_lshlrev_b32_e32 v23, 30, v20
	v_lshlrev_b32_e32 v24, 29, v20
	;; [unrolled: 1-line block ×4, first 2 shown]
	v_add_co_u32 v21, s16, v21, -1
	s_delay_alu instid0(VALU_DEP_1)
	v_cndmask_b32_e64 v26, 0, 1, s16
	v_not_b32_e32 v119, v23
	v_cmp_gt_i32_e64 s16, 0, v23
	v_not_b32_e32 v23, v24
	v_lshlrev_b32_e32 v117, 26, v20
	v_cmp_ne_u32_e32 vcc_lo, 0, v26
	v_ashrrev_i32_e32 v119, 31, v119
	v_lshlrev_b32_e32 v118, 25, v20
	v_ashrrev_i32_e32 v23, 31, v23
	v_lshlrev_b32_e32 v26, 24, v20
	v_xor_b32_e32 v21, vcc_lo, v21
	v_cmp_gt_i32_e32 vcc_lo, 0, v24
	v_not_b32_e32 v24, v25
	v_xor_b32_e32 v119, s16, v119
	v_cmp_gt_i32_e64 s16, 0, v25
	v_and_b32_e32 v21, exec_lo, v21
	v_not_b32_e32 v25, v27
	v_ashrrev_i32_e32 v24, 31, v24
	v_xor_b32_e32 v23, vcc_lo, v23
	v_cmp_gt_i32_e32 vcc_lo, 0, v27
	v_and_b32_e32 v21, v21, v119
	v_not_b32_e32 v27, v117
	v_ashrrev_i32_e32 v25, 31, v25
	v_xor_b32_e32 v24, s16, v24
	v_cmp_gt_i32_e64 s16, 0, v117
	v_and_b32_e32 v21, v21, v23
	v_not_b32_e32 v23, v118
	v_ashrrev_i32_e32 v27, 31, v27
	v_xor_b32_e32 v25, vcc_lo, v25
	v_cmp_gt_i32_e32 vcc_lo, 0, v118
	v_and_b32_e32 v21, v21, v24
	v_not_b32_e32 v24, v26
	v_ashrrev_i32_e32 v23, 31, v23
	v_xor_b32_e32 v27, s16, v27
	v_mul_u32_u24_e32 v20, 9, v20
	v_and_b32_e32 v21, v21, v25
	v_cmp_gt_i32_e64 s16, 0, v26
	v_ashrrev_i32_e32 v24, 31, v24
	v_xor_b32_e32 v23, vcc_lo, v23
	v_add_lshl_u32 v25, v20, v82, 2
	v_and_b32_e32 v21, v21, v27
	s_delay_alu instid0(VALU_DEP_4) | instskip(SKIP_3) | instid1(VALU_DEP_2)
	v_xor_b32_e32 v20, s16, v24
	ds_load_b32 v117, v25 offset:1056
	v_and_b32_e32 v21, v21, v23
	v_add_nc_u32_e32 v120, 0x420, v25
	; wave barrier
	v_and_b32_e32 v20, v21, v20
	s_delay_alu instid0(VALU_DEP_1) | instskip(SKIP_1) | instid1(VALU_DEP_2)
	v_mbcnt_lo_u32_b32 v118, v20, 0
	v_cmp_ne_u32_e64 s16, 0, v20
	v_cmp_eq_u32_e32 vcc_lo, 0, v118
	s_delay_alu instid0(VALU_DEP_2) | instskip(NEXT) | instid1(SALU_CYCLE_1)
	s_and_b32 s17, s16, vcc_lo
	s_and_saveexec_b32 s16, s17
	s_cbranch_execz .LBB401_260
; %bb.259:                              ;   in Loop: Header=BB401_232 Depth=2
	s_waitcnt lgkmcnt(0)
	v_bcnt_u32_b32 v20, v20, v117
	ds_store_b32 v120, v20
.LBB401_260:                            ;   in Loop: Header=BB401_232 Depth=2
	s_or_b32 exec_lo, exec_lo, s16
	v_xor_b32_e32 v119, 0xffffff80, v22
	; wave barrier
	s_delay_alu instid0(VALU_DEP_1) | instskip(NEXT) | instid1(VALU_DEP_1)
	v_and_b32_e32 v20, 0xff, v119
	v_lshrrev_b32_e32 v20, s30, v20
	s_delay_alu instid0(VALU_DEP_1) | instskip(NEXT) | instid1(VALU_DEP_1)
	v_and_b32_e32 v20, s31, v20
	v_and_b32_e32 v21, 1, v20
	v_lshlrev_b32_e32 v22, 30, v20
	v_lshlrev_b32_e32 v23, 29, v20
	;; [unrolled: 1-line block ×4, first 2 shown]
	v_add_co_u32 v21, s16, v21, -1
	s_delay_alu instid0(VALU_DEP_1)
	v_cndmask_b32_e64 v25, 0, 1, s16
	v_not_b32_e32 v122, v22
	v_cmp_gt_i32_e64 s16, 0, v22
	v_not_b32_e32 v22, v23
	v_lshlrev_b32_e32 v27, 26, v20
	v_cmp_ne_u32_e32 vcc_lo, 0, v25
	v_ashrrev_i32_e32 v122, 31, v122
	v_lshlrev_b32_e32 v121, 25, v20
	v_ashrrev_i32_e32 v22, 31, v22
	v_lshlrev_b32_e32 v25, 24, v20
	v_xor_b32_e32 v21, vcc_lo, v21
	v_cmp_gt_i32_e32 vcc_lo, 0, v23
	v_not_b32_e32 v23, v24
	v_xor_b32_e32 v122, s16, v122
	v_cmp_gt_i32_e64 s16, 0, v24
	v_and_b32_e32 v21, exec_lo, v21
	v_not_b32_e32 v24, v26
	v_ashrrev_i32_e32 v23, 31, v23
	v_xor_b32_e32 v22, vcc_lo, v22
	v_cmp_gt_i32_e32 vcc_lo, 0, v26
	v_and_b32_e32 v21, v21, v122
	v_not_b32_e32 v26, v27
	v_ashrrev_i32_e32 v24, 31, v24
	v_xor_b32_e32 v23, s16, v23
	v_cmp_gt_i32_e64 s16, 0, v27
	v_and_b32_e32 v21, v21, v22
	v_not_b32_e32 v22, v121
	v_ashrrev_i32_e32 v26, 31, v26
	v_xor_b32_e32 v24, vcc_lo, v24
	v_cmp_gt_i32_e32 vcc_lo, 0, v121
	v_and_b32_e32 v21, v21, v23
	v_not_b32_e32 v23, v25
	v_ashrrev_i32_e32 v22, 31, v22
	v_xor_b32_e32 v26, s16, v26
	v_mul_u32_u24_e32 v20, 9, v20
	v_and_b32_e32 v21, v21, v24
	v_cmp_gt_i32_e64 s16, 0, v25
	v_ashrrev_i32_e32 v23, 31, v23
	v_xor_b32_e32 v22, vcc_lo, v22
	v_add_lshl_u32 v24, v20, v82, 2
	v_and_b32_e32 v21, v21, v26
	s_delay_alu instid0(VALU_DEP_4) | instskip(SKIP_3) | instid1(VALU_DEP_2)
	v_xor_b32_e32 v20, s16, v23
	ds_load_b32 v121, v24 offset:1056
	v_and_b32_e32 v21, v21, v22
	v_add_nc_u32_e32 v123, 0x420, v24
	; wave barrier
	v_and_b32_e32 v20, v21, v20
	s_delay_alu instid0(VALU_DEP_1) | instskip(SKIP_1) | instid1(VALU_DEP_2)
	v_mbcnt_lo_u32_b32 v122, v20, 0
	v_cmp_ne_u32_e64 s16, 0, v20
	v_cmp_eq_u32_e32 vcc_lo, 0, v122
	s_delay_alu instid0(VALU_DEP_2) | instskip(NEXT) | instid1(SALU_CYCLE_1)
	s_and_b32 s17, s16, vcc_lo
	s_and_saveexec_b32 s16, s17
	s_cbranch_execz .LBB401_262
; %bb.261:                              ;   in Loop: Header=BB401_232 Depth=2
	s_waitcnt lgkmcnt(0)
	v_bcnt_u32_b32 v20, v20, v121
	ds_store_b32 v123, v20
.LBB401_262:                            ;   in Loop: Header=BB401_232 Depth=2
	s_or_b32 exec_lo, exec_lo, s16
	; wave barrier
	s_waitcnt lgkmcnt(0)
	s_barrier
	buffer_gl0_inv
	ds_load_b32 v124, v46 offset:1056
	ds_load_2addr_b32 v[26:27], v47 offset0:1 offset1:2
	ds_load_2addr_b32 v[24:25], v47 offset0:3 offset1:4
	;; [unrolled: 1-line block ×4, first 2 shown]
	s_waitcnt lgkmcnt(3)
	v_add3_u32 v125, v26, v124, v27
	s_waitcnt lgkmcnt(2)
	s_delay_alu instid0(VALU_DEP_1) | instskip(SKIP_1) | instid1(VALU_DEP_1)
	v_add3_u32 v125, v125, v24, v25
	s_waitcnt lgkmcnt(1)
	v_add3_u32 v125, v125, v20, v21
	s_waitcnt lgkmcnt(0)
	s_delay_alu instid0(VALU_DEP_1) | instskip(NEXT) | instid1(VALU_DEP_1)
	v_add3_u32 v23, v125, v22, v23
	v_mov_b32_dpp v125, v23 row_shr:1 row_mask:0xf bank_mask:0xf
	s_delay_alu instid0(VALU_DEP_1) | instskip(NEXT) | instid1(VALU_DEP_1)
	v_cndmask_b32_e64 v125, v125, 0, s0
	v_add_nc_u32_e32 v23, v125, v23
	s_delay_alu instid0(VALU_DEP_1) | instskip(NEXT) | instid1(VALU_DEP_1)
	v_mov_b32_dpp v125, v23 row_shr:2 row_mask:0xf bank_mask:0xf
	v_cndmask_b32_e64 v125, 0, v125, s1
	s_delay_alu instid0(VALU_DEP_1) | instskip(NEXT) | instid1(VALU_DEP_1)
	v_add_nc_u32_e32 v23, v23, v125
	v_mov_b32_dpp v125, v23 row_shr:4 row_mask:0xf bank_mask:0xf
	s_delay_alu instid0(VALU_DEP_1) | instskip(NEXT) | instid1(VALU_DEP_1)
	v_cndmask_b32_e64 v125, 0, v125, s8
	v_add_nc_u32_e32 v23, v23, v125
	s_delay_alu instid0(VALU_DEP_1) | instskip(NEXT) | instid1(VALU_DEP_1)
	v_mov_b32_dpp v125, v23 row_shr:8 row_mask:0xf bank_mask:0xf
	v_cndmask_b32_e64 v125, 0, v125, s9
	s_delay_alu instid0(VALU_DEP_1) | instskip(SKIP_3) | instid1(VALU_DEP_1)
	v_add_nc_u32_e32 v23, v23, v125
	ds_swizzle_b32 v125, v23 offset:swizzle(BROADCAST,32,15)
	s_waitcnt lgkmcnt(0)
	v_cndmask_b32_e64 v125, v125, 0, s10
	v_add_nc_u32_e32 v23, v23, v125
	s_and_saveexec_b32 s16, s3
	s_cbranch_execz .LBB401_264
; %bb.263:                              ;   in Loop: Header=BB401_232 Depth=2
	ds_store_b32 v38, v23 offset:1024
.LBB401_264:                            ;   in Loop: Header=BB401_232 Depth=2
	s_or_b32 exec_lo, exec_lo, s16
	s_waitcnt lgkmcnt(0)
	s_barrier
	buffer_gl0_inv
	s_and_saveexec_b32 s16, s4
	s_cbranch_execz .LBB401_266
; %bb.265:                              ;   in Loop: Header=BB401_232 Depth=2
	v_add_nc_u32_e32 v125, v46, v48
	ds_load_b32 v126, v125 offset:1024
	s_waitcnt lgkmcnt(0)
	v_mov_b32_dpp v127, v126 row_shr:1 row_mask:0xf bank_mask:0xf
	s_delay_alu instid0(VALU_DEP_1) | instskip(NEXT) | instid1(VALU_DEP_1)
	v_cndmask_b32_e64 v127, v127, 0, s12
	v_add_nc_u32_e32 v126, v127, v126
	s_delay_alu instid0(VALU_DEP_1) | instskip(NEXT) | instid1(VALU_DEP_1)
	v_mov_b32_dpp v127, v126 row_shr:2 row_mask:0xf bank_mask:0xf
	v_cndmask_b32_e64 v127, 0, v127, s13
	s_delay_alu instid0(VALU_DEP_1) | instskip(NEXT) | instid1(VALU_DEP_1)
	v_add_nc_u32_e32 v126, v126, v127
	v_mov_b32_dpp v127, v126 row_shr:4 row_mask:0xf bank_mask:0xf
	s_delay_alu instid0(VALU_DEP_1) | instskip(NEXT) | instid1(VALU_DEP_1)
	v_cndmask_b32_e64 v127, 0, v127, s14
	v_add_nc_u32_e32 v126, v126, v127
	ds_store_b32 v125, v126 offset:1024
.LBB401_266:                            ;   in Loop: Header=BB401_232 Depth=2
	s_or_b32 exec_lo, exec_lo, s16
	v_mov_b32_e32 v125, 0
	s_waitcnt lgkmcnt(0)
	s_barrier
	buffer_gl0_inv
	s_and_saveexec_b32 s16, s5
	s_cbranch_execz .LBB401_268
; %bb.267:                              ;   in Loop: Header=BB401_232 Depth=2
	ds_load_b32 v125, v38 offset:1020
.LBB401_268:                            ;   in Loop: Header=BB401_232 Depth=2
	s_or_b32 exec_lo, exec_lo, s16
	s_waitcnt lgkmcnt(0)
	v_add_nc_u32_e32 v23, v125, v23
	ds_bpermute_b32 v23, v69, v23
	s_waitcnt lgkmcnt(0)
	v_cndmask_b32_e64 v23, v23, v125, s11
	s_delay_alu instid0(VALU_DEP_1) | instskip(NEXT) | instid1(VALU_DEP_1)
	v_cndmask_b32_e64 v23, v23, 0, s6
	v_add_nc_u32_e32 v124, v23, v124
	s_delay_alu instid0(VALU_DEP_1) | instskip(NEXT) | instid1(VALU_DEP_1)
	v_add_nc_u32_e32 v26, v124, v26
	v_add_nc_u32_e32 v27, v26, v27
	s_delay_alu instid0(VALU_DEP_1) | instskip(NEXT) | instid1(VALU_DEP_1)
	v_add_nc_u32_e32 v24, v27, v24
	v_add_nc_u32_e32 v25, v24, v25
	s_delay_alu instid0(VALU_DEP_1) | instskip(NEXT) | instid1(VALU_DEP_1)
	v_add_nc_u32_e32 v20, v25, v20
	v_add_nc_u32_e32 v21, v20, v21
	s_delay_alu instid0(VALU_DEP_1)
	v_add_nc_u32_e32 v22, v21, v22
	ds_store_b32 v46, v23 offset:1056
	ds_store_2addr_b32 v47, v124, v26 offset0:1 offset1:2
	ds_store_2addr_b32 v47, v27, v24 offset0:3 offset1:4
	;; [unrolled: 1-line block ×4, first 2 shown]
	v_mov_b32_e32 v22, 0x800
	s_waitcnt lgkmcnt(0)
	s_barrier
	buffer_gl0_inv
	ds_load_b32 v20, v100
	ds_load_b32 v21, v104
	;; [unrolled: 1-line block ×8, first 2 shown]
	ds_load_b32 v27, v46 offset:1056
	s_and_saveexec_b32 s16, s7
	s_cbranch_execz .LBB401_270
; %bb.269:                              ;   in Loop: Header=BB401_232 Depth=2
	ds_load_b32 v22, v49 offset:1056
.LBB401_270:                            ;   in Loop: Header=BB401_232 Depth=2
	s_or_b32 exec_lo, exec_lo, s16
	s_waitcnt lgkmcnt(0)
	s_barrier
	buffer_gl0_inv
	s_and_saveexec_b32 s16, s2
	s_cbranch_execz .LBB401_272
; %bb.271:                              ;   in Loop: Header=BB401_232 Depth=2
	ds_load_b32 v96, v28
	s_waitcnt lgkmcnt(0)
	v_sub_nc_u32_e32 v27, v96, v27
	ds_store_b32 v28, v27
.LBB401_272:                            ;   in Loop: Header=BB401_232 Depth=2
	s_or_b32 exec_lo, exec_lo, s16
	v_add_nc_u32_e32 v100, v26, v94
	v_add3_u32 v96, v98, v97, v20
	v_add3_u32 v94, v102, v101, v21
	;; [unrolled: 1-line block ×7, first 2 shown]
	v_cmp_lt_u32_e64 s21, v1, v2
	ds_store_b8 v100, v93 offset:1024
	ds_store_b8 v96, v95 offset:1024
	;; [unrolled: 1-line block ×8, first 2 shown]
	s_waitcnt lgkmcnt(0)
	s_barrier
	buffer_gl0_inv
	s_and_saveexec_b32 s16, s21
	s_cbranch_execz .LBB401_280
; %bb.273:                              ;   in Loop: Header=BB401_232 Depth=2
	ds_load_u8 v20, v1 offset:1024
	s_waitcnt lgkmcnt(0)
	v_and_b32_e32 v21, 0xff, v20
	v_xor_b32_e32 v20, 0x80, v20
	s_delay_alu instid0(VALU_DEP_2) | instskip(NEXT) | instid1(VALU_DEP_1)
	v_lshrrev_b32_e32 v21, s30, v21
	v_and_b32_e32 v21, s31, v21
	s_delay_alu instid0(VALU_DEP_1)
	v_lshlrev_b32_e32 v21, 2, v21
	ds_load_b32 v21, v21
	s_waitcnt lgkmcnt(0)
	v_add_nc_u32_e32 v21, v21, v1
	global_store_b8 v21, v20, s[40:41]
	s_or_b32 exec_lo, exec_lo, s16
	v_cmp_lt_u32_e64 s22, v29, v2
	s_delay_alu instid0(VALU_DEP_1)
	s_and_saveexec_b32 s16, s22
	s_cbranch_execnz .LBB401_281
.LBB401_274:                            ;   in Loop: Header=BB401_232 Depth=2
	s_or_b32 exec_lo, exec_lo, s16
	v_cmp_lt_u32_e64 s20, v30, v2
	s_delay_alu instid0(VALU_DEP_1)
	s_and_saveexec_b32 s16, s20
	s_cbranch_execz .LBB401_282
.LBB401_275:                            ;   in Loop: Header=BB401_232 Depth=2
	ds_load_u8 v20, v35 offset:512
	s_waitcnt lgkmcnt(0)
	v_and_b32_e32 v21, 0xff, v20
	v_xor_b32_e32 v20, 0x80, v20
	s_delay_alu instid0(VALU_DEP_2) | instskip(NEXT) | instid1(VALU_DEP_1)
	v_lshrrev_b32_e32 v21, s30, v21
	v_and_b32_e32 v21, s31, v21
	s_delay_alu instid0(VALU_DEP_1)
	v_lshlrev_b32_e32 v21, 2, v21
	ds_load_b32 v21, v21
	s_waitcnt lgkmcnt(0)
	v_add_nc_u32_e32 v21, v21, v30
	global_store_b8 v21, v20, s[40:41]
	s_or_b32 exec_lo, exec_lo, s16
	v_cmp_lt_u32_e64 s19, v31, v2
	s_delay_alu instid0(VALU_DEP_1)
	s_and_saveexec_b32 s16, s19
	s_cbranch_execnz .LBB401_283
.LBB401_276:                            ;   in Loop: Header=BB401_232 Depth=2
	s_or_b32 exec_lo, exec_lo, s16
	v_cmp_lt_u32_e64 s18, v35, v2
	s_delay_alu instid0(VALU_DEP_1)
	s_and_saveexec_b32 s16, s18
	s_cbranch_execz .LBB401_284
.LBB401_277:                            ;   in Loop: Header=BB401_232 Depth=2
	ds_load_u8 v20, v35 offset:1024
	s_waitcnt lgkmcnt(0)
	v_and_b32_e32 v21, 0xff, v20
	v_xor_b32_e32 v20, 0x80, v20
	s_delay_alu instid0(VALU_DEP_2) | instskip(NEXT) | instid1(VALU_DEP_1)
	v_lshrrev_b32_e32 v21, s30, v21
	v_and_b32_e32 v21, s31, v21
	s_delay_alu instid0(VALU_DEP_1)
	v_lshlrev_b32_e32 v21, 2, v21
	ds_load_b32 v21, v21
	s_waitcnt lgkmcnt(0)
	v_add_nc_u32_e32 v21, v21, v35
	global_store_b8 v21, v20, s[40:41]
	s_or_b32 exec_lo, exec_lo, s16
	v_cmp_lt_u32_e64 s17, v36, v2
	s_delay_alu instid0(VALU_DEP_1)
	s_and_saveexec_b32 s16, s17
	s_cbranch_execnz .LBB401_285
.LBB401_278:                            ;   in Loop: Header=BB401_232 Depth=2
	s_or_b32 exec_lo, exec_lo, s16
	v_cmp_lt_u32_e64 s16, v37, v2
	s_delay_alu instid0(VALU_DEP_1)
	s_and_saveexec_b32 s23, s16
	s_cbranch_execz .LBB401_286
.LBB401_279:                            ;   in Loop: Header=BB401_232 Depth=2
	ds_load_u8 v20, v35 offset:1536
	s_waitcnt lgkmcnt(0)
	v_and_b32_e32 v21, 0xff, v20
	v_xor_b32_e32 v20, 0x80, v20
	s_delay_alu instid0(VALU_DEP_2) | instskip(NEXT) | instid1(VALU_DEP_1)
	v_lshrrev_b32_e32 v21, s30, v21
	v_and_b32_e32 v21, s31, v21
	s_delay_alu instid0(VALU_DEP_1)
	v_lshlrev_b32_e32 v21, 2, v21
	ds_load_b32 v21, v21
	s_waitcnt lgkmcnt(0)
	v_add_nc_u32_e32 v21, v21, v37
	global_store_b8 v21, v20, s[40:41]
	s_or_b32 exec_lo, exec_lo, s23
	v_cmp_lt_u32_e32 vcc_lo, v39, v2
	s_and_saveexec_b32 s23, vcc_lo
	s_cbranch_execnz .LBB401_287
	s_branch .LBB401_288
.LBB401_280:                            ;   in Loop: Header=BB401_232 Depth=2
	s_or_b32 exec_lo, exec_lo, s16
	v_cmp_lt_u32_e64 s22, v29, v2
	s_delay_alu instid0(VALU_DEP_1)
	s_and_saveexec_b32 s16, s22
	s_cbranch_execz .LBB401_274
.LBB401_281:                            ;   in Loop: Header=BB401_232 Depth=2
	ds_load_u8 v20, v35 offset:256
	s_waitcnt lgkmcnt(0)
	v_and_b32_e32 v21, 0xff, v20
	v_xor_b32_e32 v20, 0x80, v20
	s_delay_alu instid0(VALU_DEP_2) | instskip(NEXT) | instid1(VALU_DEP_1)
	v_lshrrev_b32_e32 v21, s30, v21
	v_and_b32_e32 v21, s31, v21
	s_delay_alu instid0(VALU_DEP_1)
	v_lshlrev_b32_e32 v21, 2, v21
	ds_load_b32 v21, v21
	s_waitcnt lgkmcnt(0)
	v_add_nc_u32_e32 v21, v21, v29
	global_store_b8 v21, v20, s[40:41]
	s_or_b32 exec_lo, exec_lo, s16
	v_cmp_lt_u32_e64 s20, v30, v2
	s_delay_alu instid0(VALU_DEP_1)
	s_and_saveexec_b32 s16, s20
	s_cbranch_execnz .LBB401_275
.LBB401_282:                            ;   in Loop: Header=BB401_232 Depth=2
	s_or_b32 exec_lo, exec_lo, s16
	v_cmp_lt_u32_e64 s19, v31, v2
	s_delay_alu instid0(VALU_DEP_1)
	s_and_saveexec_b32 s16, s19
	s_cbranch_execz .LBB401_276
.LBB401_283:                            ;   in Loop: Header=BB401_232 Depth=2
	ds_load_u8 v20, v35 offset:768
	s_waitcnt lgkmcnt(0)
	v_and_b32_e32 v21, 0xff, v20
	v_xor_b32_e32 v20, 0x80, v20
	s_delay_alu instid0(VALU_DEP_2) | instskip(NEXT) | instid1(VALU_DEP_1)
	v_lshrrev_b32_e32 v21, s30, v21
	v_and_b32_e32 v21, s31, v21
	s_delay_alu instid0(VALU_DEP_1)
	v_lshlrev_b32_e32 v21, 2, v21
	ds_load_b32 v21, v21
	s_waitcnt lgkmcnt(0)
	v_add_nc_u32_e32 v21, v21, v31
	global_store_b8 v21, v20, s[40:41]
	s_or_b32 exec_lo, exec_lo, s16
	v_cmp_lt_u32_e64 s18, v35, v2
	s_delay_alu instid0(VALU_DEP_1)
	s_and_saveexec_b32 s16, s18
	s_cbranch_execnz .LBB401_277
.LBB401_284:                            ;   in Loop: Header=BB401_232 Depth=2
	s_or_b32 exec_lo, exec_lo, s16
	v_cmp_lt_u32_e64 s17, v36, v2
	s_delay_alu instid0(VALU_DEP_1)
	s_and_saveexec_b32 s16, s17
	s_cbranch_execz .LBB401_278
.LBB401_285:                            ;   in Loop: Header=BB401_232 Depth=2
	ds_load_u8 v20, v35 offset:1280
	s_waitcnt lgkmcnt(0)
	v_and_b32_e32 v21, 0xff, v20
	v_xor_b32_e32 v20, 0x80, v20
	s_delay_alu instid0(VALU_DEP_2) | instskip(NEXT) | instid1(VALU_DEP_1)
	v_lshrrev_b32_e32 v21, s30, v21
	v_and_b32_e32 v21, s31, v21
	s_delay_alu instid0(VALU_DEP_1)
	v_lshlrev_b32_e32 v21, 2, v21
	ds_load_b32 v21, v21
	s_waitcnt lgkmcnt(0)
	v_add_nc_u32_e32 v21, v21, v36
	global_store_b8 v21, v20, s[40:41]
	s_or_b32 exec_lo, exec_lo, s16
	v_cmp_lt_u32_e64 s16, v37, v2
	s_delay_alu instid0(VALU_DEP_1)
	s_and_saveexec_b32 s23, s16
	s_cbranch_execnz .LBB401_279
.LBB401_286:                            ;   in Loop: Header=BB401_232 Depth=2
	s_or_b32 exec_lo, exec_lo, s23
	v_cmp_lt_u32_e32 vcc_lo, v39, v2
	s_and_saveexec_b32 s23, vcc_lo
	s_cbranch_execz .LBB401_288
.LBB401_287:                            ;   in Loop: Header=BB401_232 Depth=2
	ds_load_u8 v20, v35 offset:1792
	s_waitcnt lgkmcnt(0)
	v_and_b32_e32 v21, 0xff, v20
	v_xor_b32_e32 v20, 0x80, v20
	s_delay_alu instid0(VALU_DEP_2) | instskip(NEXT) | instid1(VALU_DEP_1)
	v_lshrrev_b32_e32 v21, s30, v21
	v_and_b32_e32 v21, s31, v21
	s_delay_alu instid0(VALU_DEP_1)
	v_lshlrev_b32_e32 v21, 2, v21
	ds_load_b32 v21, v21
	s_waitcnt lgkmcnt(0)
	v_add_nc_u32_e32 v21, v21, v39
	global_store_b8 v21, v20, s[40:41]
.LBB401_288:                            ;   in Loop: Header=BB401_232 Depth=2
	s_or_b32 exec_lo, exec_lo, s23
	s_lshl_b64 s[52:53], s[24:25], 3
	s_delay_alu instid0(SALU_CYCLE_1) | instskip(NEXT) | instid1(VALU_DEP_1)
	v_add_co_u32 v20, s23, v73, s52
	v_add_co_ci_u32_e64 v21, s23, s53, v74, s23
	v_cmp_lt_u32_e64 s23, v70, v2
	s_delay_alu instid0(VALU_DEP_1) | instskip(NEXT) | instid1(SALU_CYCLE_1)
	s_and_saveexec_b32 s24, s23
	s_xor_b32 s23, exec_lo, s24
	s_cbranch_execz .LBB401_304
; %bb.289:                              ;   in Loop: Header=BB401_232 Depth=2
	global_load_b64 v[18:19], v[20:21], off
	s_or_b32 exec_lo, exec_lo, s23
	s_delay_alu instid0(SALU_CYCLE_1)
	s_mov_b32 s24, exec_lo
	v_cmpx_lt_u32_e64 v75, v2
	s_cbranch_execnz .LBB401_305
.LBB401_290:                            ;   in Loop: Header=BB401_232 Depth=2
	s_or_b32 exec_lo, exec_lo, s24
	s_delay_alu instid0(SALU_CYCLE_1)
	s_mov_b32 s24, exec_lo
	v_cmpx_lt_u32_e64 v76, v2
	s_cbranch_execz .LBB401_306
.LBB401_291:                            ;   in Loop: Header=BB401_232 Depth=2
	global_load_b64 v[14:15], v[20:21], off offset:512
	s_or_b32 exec_lo, exec_lo, s24
	s_delay_alu instid0(SALU_CYCLE_1)
	s_mov_b32 s24, exec_lo
	v_cmpx_lt_u32_e64 v77, v2
	s_cbranch_execnz .LBB401_307
.LBB401_292:                            ;   in Loop: Header=BB401_232 Depth=2
	s_or_b32 exec_lo, exec_lo, s24
	s_delay_alu instid0(SALU_CYCLE_1)
	s_mov_b32 s24, exec_lo
	v_cmpx_lt_u32_e64 v78, v2
	s_cbranch_execz .LBB401_308
.LBB401_293:                            ;   in Loop: Header=BB401_232 Depth=2
	global_load_b64 v[10:11], v[20:21], off offset:1024
	s_or_b32 exec_lo, exec_lo, s24
	s_delay_alu instid0(SALU_CYCLE_1)
	s_mov_b32 s24, exec_lo
	v_cmpx_lt_u32_e64 v79, v2
	s_cbranch_execnz .LBB401_309
.LBB401_294:                            ;   in Loop: Header=BB401_232 Depth=2
	s_or_b32 exec_lo, exec_lo, s24
	s_delay_alu instid0(SALU_CYCLE_1)
	s_mov_b32 s24, exec_lo
	v_cmpx_lt_u32_e64 v80, v2
	s_cbranch_execz .LBB401_310
.LBB401_295:                            ;   in Loop: Header=BB401_232 Depth=2
	global_load_b64 v[6:7], v[20:21], off offset:1536
	s_or_b32 exec_lo, exec_lo, s24
	s_delay_alu instid0(SALU_CYCLE_1)
	s_mov_b32 s24, exec_lo
	v_cmpx_lt_u32_e64 v81, v2
	s_cbranch_execnz .LBB401_311
.LBB401_296:                            ;   in Loop: Header=BB401_232 Depth=2
	s_or_b32 exec_lo, exec_lo, s24
	s_and_saveexec_b32 s23, s21
	s_cbranch_execz .LBB401_312
.LBB401_297:                            ;   in Loop: Header=BB401_232 Depth=2
	ds_load_u8 v2, v1 offset:1024
	s_waitcnt lgkmcnt(0)
	v_lshrrev_b32_e32 v2, s30, v2
	s_delay_alu instid0(VALU_DEP_1)
	v_and_b32_e32 v92, s31, v2
	s_or_b32 exec_lo, exec_lo, s23
	s_and_saveexec_b32 s23, s22
	s_cbranch_execnz .LBB401_313
.LBB401_298:                            ;   in Loop: Header=BB401_232 Depth=2
	s_or_b32 exec_lo, exec_lo, s23
	s_and_saveexec_b32 s23, s20
	s_cbranch_execz .LBB401_314
.LBB401_299:                            ;   in Loop: Header=BB401_232 Depth=2
	ds_load_u8 v2, v35 offset:512
	s_waitcnt lgkmcnt(0)
	v_lshrrev_b32_e32 v2, s30, v2
	s_delay_alu instid0(VALU_DEP_1)
	v_and_b32_e32 v90, s31, v2
	s_or_b32 exec_lo, exec_lo, s23
	s_and_saveexec_b32 s23, s19
	s_cbranch_execnz .LBB401_315
.LBB401_300:                            ;   in Loop: Header=BB401_232 Depth=2
	s_or_b32 exec_lo, exec_lo, s23
	s_and_saveexec_b32 s23, s18
	s_cbranch_execz .LBB401_316
.LBB401_301:                            ;   in Loop: Header=BB401_232 Depth=2
	ds_load_u8 v2, v35 offset:1024
	s_waitcnt lgkmcnt(0)
	v_lshrrev_b32_e32 v2, s30, v2
	s_delay_alu instid0(VALU_DEP_1)
	v_and_b32_e32 v88, s31, v2
	s_or_b32 exec_lo, exec_lo, s23
	s_and_saveexec_b32 s23, s17
	s_cbranch_execnz .LBB401_317
.LBB401_302:                            ;   in Loop: Header=BB401_232 Depth=2
	s_or_b32 exec_lo, exec_lo, s23
	s_and_saveexec_b32 s23, s16
	s_cbranch_execz .LBB401_318
.LBB401_303:                            ;   in Loop: Header=BB401_232 Depth=2
	ds_load_u8 v2, v35 offset:1536
	s_waitcnt lgkmcnt(0)
	v_lshrrev_b32_e32 v2, s30, v2
	s_delay_alu instid0(VALU_DEP_1)
	v_and_b32_e32 v86, s31, v2
	s_or_b32 exec_lo, exec_lo, s23
	s_and_saveexec_b32 s23, vcc_lo
	s_cbranch_execnz .LBB401_319
	s_branch .LBB401_320
.LBB401_304:                            ;   in Loop: Header=BB401_232 Depth=2
	s_or_b32 exec_lo, exec_lo, s23
	s_delay_alu instid0(SALU_CYCLE_1)
	s_mov_b32 s24, exec_lo
	v_cmpx_lt_u32_e64 v75, v2
	s_cbranch_execz .LBB401_290
.LBB401_305:                            ;   in Loop: Header=BB401_232 Depth=2
	global_load_b64 v[16:17], v[20:21], off offset:256
	s_or_b32 exec_lo, exec_lo, s24
	s_delay_alu instid0(SALU_CYCLE_1)
	s_mov_b32 s24, exec_lo
	v_cmpx_lt_u32_e64 v76, v2
	s_cbranch_execnz .LBB401_291
.LBB401_306:                            ;   in Loop: Header=BB401_232 Depth=2
	s_or_b32 exec_lo, exec_lo, s24
	s_delay_alu instid0(SALU_CYCLE_1)
	s_mov_b32 s24, exec_lo
	v_cmpx_lt_u32_e64 v77, v2
	s_cbranch_execz .LBB401_292
.LBB401_307:                            ;   in Loop: Header=BB401_232 Depth=2
	global_load_b64 v[12:13], v[20:21], off offset:768
	s_or_b32 exec_lo, exec_lo, s24
	s_delay_alu instid0(SALU_CYCLE_1)
	s_mov_b32 s24, exec_lo
	v_cmpx_lt_u32_e64 v78, v2
	s_cbranch_execnz .LBB401_293
.LBB401_308:                            ;   in Loop: Header=BB401_232 Depth=2
	s_or_b32 exec_lo, exec_lo, s24
	s_delay_alu instid0(SALU_CYCLE_1)
	s_mov_b32 s24, exec_lo
	v_cmpx_lt_u32_e64 v79, v2
	s_cbranch_execz .LBB401_294
.LBB401_309:                            ;   in Loop: Header=BB401_232 Depth=2
	global_load_b64 v[8:9], v[20:21], off offset:1280
	s_or_b32 exec_lo, exec_lo, s24
	s_delay_alu instid0(SALU_CYCLE_1)
	s_mov_b32 s24, exec_lo
	v_cmpx_lt_u32_e64 v80, v2
	s_cbranch_execnz .LBB401_295
.LBB401_310:                            ;   in Loop: Header=BB401_232 Depth=2
	s_or_b32 exec_lo, exec_lo, s24
	s_delay_alu instid0(SALU_CYCLE_1)
	s_mov_b32 s24, exec_lo
	v_cmpx_lt_u32_e64 v81, v2
	s_cbranch_execz .LBB401_296
.LBB401_311:                            ;   in Loop: Header=BB401_232 Depth=2
	global_load_b64 v[4:5], v[20:21], off offset:1792
	s_or_b32 exec_lo, exec_lo, s24
	s_and_saveexec_b32 s23, s21
	s_cbranch_execnz .LBB401_297
.LBB401_312:                            ;   in Loop: Header=BB401_232 Depth=2
	s_or_b32 exec_lo, exec_lo, s23
	s_and_saveexec_b32 s23, s22
	s_cbranch_execz .LBB401_298
.LBB401_313:                            ;   in Loop: Header=BB401_232 Depth=2
	ds_load_u8 v2, v35 offset:256
	s_waitcnt lgkmcnt(0)
	v_lshrrev_b32_e32 v2, s30, v2
	s_delay_alu instid0(VALU_DEP_1)
	v_and_b32_e32 v91, s31, v2
	s_or_b32 exec_lo, exec_lo, s23
	s_and_saveexec_b32 s23, s20
	s_cbranch_execnz .LBB401_299
.LBB401_314:                            ;   in Loop: Header=BB401_232 Depth=2
	s_or_b32 exec_lo, exec_lo, s23
	s_and_saveexec_b32 s23, s19
	s_cbranch_execz .LBB401_300
.LBB401_315:                            ;   in Loop: Header=BB401_232 Depth=2
	ds_load_u8 v2, v35 offset:768
	s_waitcnt lgkmcnt(0)
	v_lshrrev_b32_e32 v2, s30, v2
	s_delay_alu instid0(VALU_DEP_1)
	v_and_b32_e32 v89, s31, v2
	s_or_b32 exec_lo, exec_lo, s23
	s_and_saveexec_b32 s23, s18
	s_cbranch_execnz .LBB401_301
.LBB401_316:                            ;   in Loop: Header=BB401_232 Depth=2
	s_or_b32 exec_lo, exec_lo, s23
	s_and_saveexec_b32 s23, s17
	s_cbranch_execz .LBB401_302
.LBB401_317:                            ;   in Loop: Header=BB401_232 Depth=2
	ds_load_u8 v2, v35 offset:1280
	s_waitcnt lgkmcnt(0)
	v_lshrrev_b32_e32 v2, s30, v2
	s_delay_alu instid0(VALU_DEP_1)
	v_and_b32_e32 v87, s31, v2
	s_or_b32 exec_lo, exec_lo, s23
	s_and_saveexec_b32 s23, s16
	s_cbranch_execnz .LBB401_303
.LBB401_318:                            ;   in Loop: Header=BB401_232 Depth=2
	s_or_b32 exec_lo, exec_lo, s23
	s_and_saveexec_b32 s23, vcc_lo
	s_cbranch_execz .LBB401_320
.LBB401_319:                            ;   in Loop: Header=BB401_232 Depth=2
	ds_load_u8 v2, v35 offset:1792
	s_waitcnt lgkmcnt(0)
	v_lshrrev_b32_e32 v2, s30, v2
	s_delay_alu instid0(VALU_DEP_1)
	v_and_b32_e32 v85, s31, v2
.LBB401_320:                            ;   in Loop: Header=BB401_232 Depth=2
	s_or_b32 exec_lo, exec_lo, s23
	v_lshlrev_b32_e32 v2, 3, v100
	v_lshlrev_b32_e32 v20, 3, v96
	;; [unrolled: 1-line block ×3, first 2 shown]
	s_waitcnt vmcnt(0)
	s_waitcnt_vscnt null, 0x0
	s_barrier
	buffer_gl0_inv
	ds_store_b64 v2, v[18:19] offset:1024
	ds_store_b64 v20, v[16:17] offset:1024
	;; [unrolled: 1-line block ×3, first 2 shown]
	v_lshlrev_b32_e32 v2, 3, v27
	v_lshlrev_b32_e32 v20, 3, v26
	;; [unrolled: 1-line block ×5, first 2 shown]
	ds_store_b64 v2, v[12:13] offset:1024
	ds_store_b64 v20, v[10:11] offset:1024
	;; [unrolled: 1-line block ×5, first 2 shown]
	s_waitcnt lgkmcnt(0)
	s_barrier
	buffer_gl0_inv
	s_and_saveexec_b32 s23, s21
	s_cbranch_execz .LBB401_328
; %bb.321:                              ;   in Loop: Header=BB401_232 Depth=2
	v_lshlrev_b32_e32 v2, 2, v92
	v_add_nc_u32_e32 v20, v1, v52
	ds_load_b32 v2, v2
	ds_load_b64 v[20:21], v20 offset:1024
	s_waitcnt lgkmcnt(1)
	v_add_nc_u32_e32 v2, v2, v1
	s_delay_alu instid0(VALU_DEP_1) | instskip(NEXT) | instid1(VALU_DEP_1)
	v_lshlrev_b64 v[23:24], 3, v[2:3]
	v_add_co_u32 v23, s21, s46, v23
	s_delay_alu instid0(VALU_DEP_1)
	v_add_co_ci_u32_e64 v24, s21, s47, v24, s21
	s_waitcnt lgkmcnt(0)
	global_store_b64 v[23:24], v[20:21], off
	s_or_b32 exec_lo, exec_lo, s23
	s_and_saveexec_b32 s23, s22
	s_cbranch_execnz .LBB401_329
.LBB401_322:                            ;   in Loop: Header=BB401_232 Depth=2
	s_or_b32 exec_lo, exec_lo, s23
	s_and_saveexec_b32 s21, s20
	s_cbranch_execz .LBB401_330
.LBB401_323:                            ;   in Loop: Header=BB401_232 Depth=2
	v_lshlrev_b32_e32 v2, 2, v90
	v_add_nc_u32_e32 v20, v35, v52
	ds_load_b32 v2, v2
	ds_load_b64 v[20:21], v20 offset:4096
	s_waitcnt lgkmcnt(1)
	v_add_nc_u32_e32 v2, v2, v30
	s_delay_alu instid0(VALU_DEP_1) | instskip(NEXT) | instid1(VALU_DEP_1)
	v_lshlrev_b64 v[23:24], 3, v[2:3]
	v_add_co_u32 v23, s20, s46, v23
	s_delay_alu instid0(VALU_DEP_1)
	v_add_co_ci_u32_e64 v24, s20, s47, v24, s20
	s_waitcnt lgkmcnt(0)
	global_store_b64 v[23:24], v[20:21], off
	s_or_b32 exec_lo, exec_lo, s21
	s_and_saveexec_b32 s20, s19
	s_cbranch_execnz .LBB401_331
.LBB401_324:                            ;   in Loop: Header=BB401_232 Depth=2
	s_or_b32 exec_lo, exec_lo, s20
	s_and_saveexec_b32 s19, s18
	s_cbranch_execz .LBB401_332
.LBB401_325:                            ;   in Loop: Header=BB401_232 Depth=2
	v_lshlrev_b32_e32 v2, 2, v88
	v_add_nc_u32_e32 v20, v35, v52
	ds_load_b32 v2, v2
	ds_load_b64 v[20:21], v20 offset:8192
	s_waitcnt lgkmcnt(1)
	v_add_nc_u32_e32 v2, v2, v35
	s_delay_alu instid0(VALU_DEP_1) | instskip(NEXT) | instid1(VALU_DEP_1)
	v_lshlrev_b64 v[23:24], 3, v[2:3]
	v_add_co_u32 v23, s18, s46, v23
	s_delay_alu instid0(VALU_DEP_1)
	v_add_co_ci_u32_e64 v24, s18, s47, v24, s18
	s_waitcnt lgkmcnt(0)
	global_store_b64 v[23:24], v[20:21], off
	s_or_b32 exec_lo, exec_lo, s19
	s_and_saveexec_b32 s18, s17
	s_cbranch_execnz .LBB401_333
.LBB401_326:                            ;   in Loop: Header=BB401_232 Depth=2
	s_or_b32 exec_lo, exec_lo, s18
	s_and_saveexec_b32 s17, s16
	s_cbranch_execz .LBB401_334
.LBB401_327:                            ;   in Loop: Header=BB401_232 Depth=2
	v_lshlrev_b32_e32 v2, 2, v86
	v_add_nc_u32_e32 v20, v35, v52
	ds_load_b32 v2, v2
	ds_load_b64 v[20:21], v20 offset:12288
	s_waitcnt lgkmcnt(1)
	v_add_nc_u32_e32 v2, v2, v37
	s_delay_alu instid0(VALU_DEP_1) | instskip(NEXT) | instid1(VALU_DEP_1)
	v_lshlrev_b64 v[23:24], 3, v[2:3]
	v_add_co_u32 v23, s16, s46, v23
	s_delay_alu instid0(VALU_DEP_1)
	v_add_co_ci_u32_e64 v24, s16, s47, v24, s16
	s_waitcnt lgkmcnt(0)
	global_store_b64 v[23:24], v[20:21], off
	s_or_b32 exec_lo, exec_lo, s17
	s_and_saveexec_b32 s16, vcc_lo
	s_cbranch_execnz .LBB401_335
	s_branch .LBB401_336
.LBB401_328:                            ;   in Loop: Header=BB401_232 Depth=2
	s_or_b32 exec_lo, exec_lo, s23
	s_and_saveexec_b32 s23, s22
	s_cbranch_execz .LBB401_322
.LBB401_329:                            ;   in Loop: Header=BB401_232 Depth=2
	v_lshlrev_b32_e32 v2, 2, v91
	v_add_nc_u32_e32 v20, v35, v52
	ds_load_b32 v2, v2
	ds_load_b64 v[20:21], v20 offset:2048
	s_waitcnt lgkmcnt(1)
	v_add_nc_u32_e32 v2, v2, v29
	s_delay_alu instid0(VALU_DEP_1) | instskip(NEXT) | instid1(VALU_DEP_1)
	v_lshlrev_b64 v[23:24], 3, v[2:3]
	v_add_co_u32 v23, s21, s46, v23
	s_delay_alu instid0(VALU_DEP_1)
	v_add_co_ci_u32_e64 v24, s21, s47, v24, s21
	s_waitcnt lgkmcnt(0)
	global_store_b64 v[23:24], v[20:21], off
	s_or_b32 exec_lo, exec_lo, s23
	s_and_saveexec_b32 s21, s20
	s_cbranch_execnz .LBB401_323
.LBB401_330:                            ;   in Loop: Header=BB401_232 Depth=2
	s_or_b32 exec_lo, exec_lo, s21
	s_and_saveexec_b32 s20, s19
	s_cbranch_execz .LBB401_324
.LBB401_331:                            ;   in Loop: Header=BB401_232 Depth=2
	v_lshlrev_b32_e32 v2, 2, v89
	v_add_nc_u32_e32 v20, v35, v52
	ds_load_b32 v2, v2
	ds_load_b64 v[20:21], v20 offset:6144
	s_waitcnt lgkmcnt(1)
	v_add_nc_u32_e32 v2, v2, v31
	s_delay_alu instid0(VALU_DEP_1) | instskip(NEXT) | instid1(VALU_DEP_1)
	v_lshlrev_b64 v[23:24], 3, v[2:3]
	v_add_co_u32 v23, s19, s46, v23
	s_delay_alu instid0(VALU_DEP_1)
	v_add_co_ci_u32_e64 v24, s19, s47, v24, s19
	s_waitcnt lgkmcnt(0)
	global_store_b64 v[23:24], v[20:21], off
	s_or_b32 exec_lo, exec_lo, s20
	s_and_saveexec_b32 s19, s18
	s_cbranch_execnz .LBB401_325
.LBB401_332:                            ;   in Loop: Header=BB401_232 Depth=2
	s_or_b32 exec_lo, exec_lo, s19
	s_and_saveexec_b32 s18, s17
	s_cbranch_execz .LBB401_326
.LBB401_333:                            ;   in Loop: Header=BB401_232 Depth=2
	v_lshlrev_b32_e32 v2, 2, v87
	v_add_nc_u32_e32 v20, v35, v52
	ds_load_b32 v2, v2
	ds_load_b64 v[20:21], v20 offset:10240
	s_waitcnt lgkmcnt(1)
	v_add_nc_u32_e32 v2, v2, v36
	s_delay_alu instid0(VALU_DEP_1) | instskip(NEXT) | instid1(VALU_DEP_1)
	v_lshlrev_b64 v[23:24], 3, v[2:3]
	v_add_co_u32 v23, s17, s46, v23
	s_delay_alu instid0(VALU_DEP_1)
	v_add_co_ci_u32_e64 v24, s17, s47, v24, s17
	s_waitcnt lgkmcnt(0)
	global_store_b64 v[23:24], v[20:21], off
	s_or_b32 exec_lo, exec_lo, s18
	s_and_saveexec_b32 s17, s16
	s_cbranch_execnz .LBB401_327
.LBB401_334:                            ;   in Loop: Header=BB401_232 Depth=2
	s_or_b32 exec_lo, exec_lo, s17
	s_and_saveexec_b32 s16, vcc_lo
	s_cbranch_execz .LBB401_336
.LBB401_335:                            ;   in Loop: Header=BB401_232 Depth=2
	v_lshlrev_b32_e32 v2, 2, v85
	v_add_nc_u32_e32 v20, v35, v52
	ds_load_b32 v2, v2
	ds_load_b64 v[20:21], v20 offset:14336
	s_waitcnt lgkmcnt(1)
	v_add_nc_u32_e32 v2, v2, v39
	s_delay_alu instid0(VALU_DEP_1) | instskip(NEXT) | instid1(VALU_DEP_1)
	v_lshlrev_b64 v[23:24], 3, v[2:3]
	v_add_co_u32 v23, vcc_lo, s46, v23
	s_delay_alu instid0(VALU_DEP_2)
	v_add_co_ci_u32_e32 v24, vcc_lo, s47, v24, vcc_lo
	s_waitcnt lgkmcnt(0)
	global_store_b64 v[23:24], v[20:21], off
.LBB401_336:                            ;   in Loop: Header=BB401_232 Depth=2
	s_or_b32 exec_lo, exec_lo, s16
	s_waitcnt_vscnt null, 0x0
	s_barrier
	buffer_gl0_inv
	s_and_saveexec_b32 s16, s2
	s_cbranch_execz .LBB401_231
; %bb.337:                              ;   in Loop: Header=BB401_232 Depth=2
	ds_load_b32 v2, v28
	s_waitcnt lgkmcnt(0)
	v_add_nc_u32_e32 v2, v2, v22
	ds_store_b32 v28, v2
	s_branch .LBB401_231
.LBB401_338:                            ;   in Loop: Header=BB401_232 Depth=2
	s_or_b32 exec_lo, exec_lo, s16
	s_delay_alu instid0(SALU_CYCLE_1)
	s_mov_b32 s16, exec_lo
	v_cmpx_gt_u32_e64 s42, v75
	s_cbranch_execz .LBB401_238
.LBB401_339:                            ;   in Loop: Header=BB401_232 Depth=2
	global_load_u8 v95, v[20:21], off offset:32
	s_or_b32 exec_lo, exec_lo, s16
	s_delay_alu instid0(SALU_CYCLE_1)
	s_mov_b32 s16, exec_lo
	v_cmpx_gt_u32_e64 s42, v76
	s_cbranch_execnz .LBB401_239
.LBB401_340:                            ;   in Loop: Header=BB401_232 Depth=2
	s_or_b32 exec_lo, exec_lo, s16
	s_delay_alu instid0(SALU_CYCLE_1)
	s_mov_b32 s16, exec_lo
	v_cmpx_gt_u32_e64 s42, v77
	s_cbranch_execz .LBB401_240
.LBB401_341:                            ;   in Loop: Header=BB401_232 Depth=2
	global_load_u8 v26, v[20:21], off offset:96
	s_or_b32 exec_lo, exec_lo, s16
	s_delay_alu instid0(SALU_CYCLE_1)
	s_mov_b32 s16, exec_lo
	v_cmpx_gt_u32_e64 s42, v78
	s_cbranch_execnz .LBB401_241
.LBB401_342:                            ;   in Loop: Header=BB401_232 Depth=2
	s_or_b32 exec_lo, exec_lo, s16
	s_delay_alu instid0(SALU_CYCLE_1)
	s_mov_b32 s16, exec_lo
	v_cmpx_gt_u32_e64 s42, v79
	s_cbranch_execz .LBB401_242
.LBB401_343:                            ;   in Loop: Header=BB401_232 Depth=2
	global_load_u8 v24, v[20:21], off offset:160
	s_or_b32 exec_lo, exec_lo, s16
	s_delay_alu instid0(SALU_CYCLE_1)
	s_mov_b32 s16, exec_lo
	v_cmpx_gt_u32_e64 s42, v80
	s_cbranch_execnz .LBB401_243
	s_branch .LBB401_244
.LBB401_344:                            ;   in Loop: Header=BB401_12 Depth=1
	s_waitcnt lgkmcnt(0)
	s_barrier
.LBB401_345:                            ;   in Loop: Header=BB401_12 Depth=1
	s_mov_b32 s0, 0
.LBB401_346:                            ;   in Loop: Header=BB401_12 Depth=1
	s_delay_alu instid0(SALU_CYCLE_1)
	s_and_not1_b32 vcc_lo, exec_lo, s0
	s_cbranch_vccnz .LBB401_11
; %bb.347:                              ;   in Loop: Header=BB401_12 Depth=1
	s_and_b32 vcc_lo, exec_lo, s34
	s_mov_b32 s0, -1
	s_cbranch_vccz .LBB401_513
; %bb.348:                              ;   in Loop: Header=BB401_12 Depth=1
	s_mov_b32 s0, s35
	s_mov_b32 s9, s27
	s_barrier
	buffer_gl0_inv
                                        ; implicit-def: $vgpr2
                                        ; implicit-def: $vgpr6
                                        ; implicit-def: $vgpr7
                                        ; implicit-def: $vgpr8
                                        ; implicit-def: $vgpr9
                                        ; implicit-def: $vgpr10
                                        ; implicit-def: $vgpr11
                                        ; implicit-def: $vgpr12
	s_branch .LBB401_350
.LBB401_349:                            ;   in Loop: Header=BB401_350 Depth=2
	s_or_b32 exec_lo, exec_lo, s8
	s_addk_i32 s0, 0xf800
	s_cmp_ge_u32 s1, s33
	s_mov_b32 s9, s1
	s_cbranch_scc1 .LBB401_388
.LBB401_350:                            ;   Parent Loop BB401_12 Depth=1
                                        ; =>  This Inner Loop Header: Depth=2
	s_add_i32 s1, s9, 0x800
	s_delay_alu instid0(SALU_CYCLE_1)
	s_cmp_gt_u32 s1, s33
	s_cbranch_scc1 .LBB401_353
; %bb.351:                              ;   in Loop: Header=BB401_350 Depth=2
	v_add_co_u32 v4, vcc_lo, v59, s9
	v_add_co_ci_u32_e32 v5, vcc_lo, 0, v60, vcc_lo
	s_mov_b32 s8, -1
	s_movk_i32 s12, 0x800
	s_clause 0x6
	global_load_u8 v20, v[4:5], off offset:1536
	global_load_u8 v19, v[4:5], off offset:1280
	;; [unrolled: 1-line block ×6, first 2 shown]
	global_load_u8 v14, v[4:5], off
	v_add_co_u32 v4, vcc_lo, 0x700, v4
	v_add_co_ci_u32_e32 v5, vcc_lo, 0, v5, vcc_lo
	s_cbranch_execz .LBB401_354
; %bb.352:                              ;   in Loop: Header=BB401_350 Depth=2
                                        ; implicit-def: $vgpr2
                                        ; implicit-def: $vgpr6
                                        ; implicit-def: $vgpr7
                                        ; implicit-def: $vgpr8
                                        ; implicit-def: $vgpr9
                                        ; implicit-def: $vgpr10
                                        ; implicit-def: $vgpr11
                                        ; implicit-def: $vgpr12
	v_mov_b32_e32 v13, s0
	s_and_saveexec_b32 s9, s8
	s_cbranch_execnz .LBB401_365
	s_branch .LBB401_366
.LBB401_353:                            ;   in Loop: Header=BB401_350 Depth=2
	s_mov_b32 s8, 0
                                        ; implicit-def: $sgpr12
                                        ; implicit-def: $vgpr14
                                        ; implicit-def: $vgpr15
                                        ; implicit-def: $vgpr16
                                        ; implicit-def: $vgpr17
                                        ; implicit-def: $vgpr18
                                        ; implicit-def: $vgpr19
                                        ; implicit-def: $vgpr20
                                        ; implicit-def: $vgpr4_vgpr5
.LBB401_354:                            ;   in Loop: Header=BB401_350 Depth=2
	s_add_u32 s10, s36, s9
	s_addc_u32 s11, s37, 0
	s_mov_b32 s12, exec_lo
	v_cmpx_gt_u32_e64 s0, v1
	s_cbranch_execz .LBB401_382
; %bb.355:                              ;   in Loop: Header=BB401_350 Depth=2
	v_add_co_u32 v4, s13, s10, v1
	s_delay_alu instid0(VALU_DEP_1) | instskip(SKIP_2) | instid1(SALU_CYCLE_1)
	v_add_co_ci_u32_e64 v5, null, s11, 0, s13
	global_load_u8 v2, v[4:5], off
	s_or_b32 exec_lo, exec_lo, s12
	s_mov_b32 s12, exec_lo
	v_cmpx_gt_u32_e64 s0, v29
	s_cbranch_execnz .LBB401_383
.LBB401_356:                            ;   in Loop: Header=BB401_350 Depth=2
	s_or_b32 exec_lo, exec_lo, s12
	s_delay_alu instid0(SALU_CYCLE_1)
	s_mov_b32 s12, exec_lo
	v_cmpx_gt_u32_e64 s0, v30
	s_cbranch_execz .LBB401_384
.LBB401_357:                            ;   in Loop: Header=BB401_350 Depth=2
	v_add_co_u32 v4, s13, s10, v1
	s_delay_alu instid0(VALU_DEP_1) | instskip(SKIP_2) | instid1(SALU_CYCLE_1)
	v_add_co_ci_u32_e64 v5, null, s11, 0, s13
	global_load_u8 v7, v[4:5], off offset:512
	s_or_b32 exec_lo, exec_lo, s12
	s_mov_b32 s12, exec_lo
	v_cmpx_gt_u32_e64 s0, v31
	s_cbranch_execnz .LBB401_385
.LBB401_358:                            ;   in Loop: Header=BB401_350 Depth=2
	s_or_b32 exec_lo, exec_lo, s12
	s_delay_alu instid0(SALU_CYCLE_1)
	s_mov_b32 s12, exec_lo
	v_cmpx_gt_u32_e64 s0, v35
	s_cbranch_execz .LBB401_386
.LBB401_359:                            ;   in Loop: Header=BB401_350 Depth=2
	v_add_co_u32 v4, s13, s10, v1
	s_delay_alu instid0(VALU_DEP_1) | instskip(SKIP_2) | instid1(SALU_CYCLE_1)
	v_add_co_ci_u32_e64 v5, null, s11, 0, s13
	global_load_u8 v9, v[4:5], off offset:1024
	s_or_b32 exec_lo, exec_lo, s12
	s_mov_b32 s12, exec_lo
	v_cmpx_gt_u32_e64 s0, v36
	s_cbranch_execnz .LBB401_387
.LBB401_360:                            ;   in Loop: Header=BB401_350 Depth=2
	s_or_b32 exec_lo, exec_lo, s12
	s_delay_alu instid0(SALU_CYCLE_1)
	s_mov_b32 s12, exec_lo
	v_cmpx_gt_u32_e64 s0, v37
	s_cbranch_execz .LBB401_362
.LBB401_361:                            ;   in Loop: Header=BB401_350 Depth=2
	v_add_co_u32 v4, s13, s10, v1
	s_delay_alu instid0(VALU_DEP_1)
	v_add_co_ci_u32_e64 v5, null, s11, 0, s13
	global_load_u8 v11, v[4:5], off offset:1536
.LBB401_362:                            ;   in Loop: Header=BB401_350 Depth=2
	s_or_b32 exec_lo, exec_lo, s12
	s_delay_alu instid0(SALU_CYCLE_1)
	s_mov_b32 s13, exec_lo
                                        ; implicit-def: $sgpr12
                                        ; implicit-def: $vgpr4_vgpr5
	v_cmpx_gt_u32_e64 s0, v39
; %bb.363:                              ;   in Loop: Header=BB401_350 Depth=2
	v_add_co_u32 v4, s10, s10, v1
	s_delay_alu instid0(VALU_DEP_1) | instskip(SKIP_1) | instid1(VALU_DEP_2)
	v_add_co_ci_u32_e64 v5, null, s11, 0, s10
	s_sub_i32 s12, s33, s9
	v_add_co_u32 v4, vcc_lo, 0x700, v4
	s_delay_alu instid0(VALU_DEP_2)
	v_add_co_ci_u32_e32 v5, vcc_lo, 0, v5, vcc_lo
	s_or_b32 s8, s8, exec_lo
                                        ; implicit-def: $vgpr12
; %bb.364:                              ;   in Loop: Header=BB401_350 Depth=2
	s_or_b32 exec_lo, exec_lo, s13
	s_waitcnt vmcnt(0)
	v_dual_mov_b32 v14, v2 :: v_dual_mov_b32 v17, v8
	v_dual_mov_b32 v15, v6 :: v_dual_mov_b32 v16, v7
	;; [unrolled: 1-line block ×4, first 2 shown]
	s_and_saveexec_b32 s9, s8
	s_cbranch_execz .LBB401_366
.LBB401_365:                            ;   in Loop: Header=BB401_350 Depth=2
	global_load_u8 v12, v[4:5], off
	s_waitcnt vmcnt(1)
	v_dual_mov_b32 v13, s12 :: v_dual_mov_b32 v2, v14
	v_dual_mov_b32 v6, v15 :: v_dual_mov_b32 v7, v16
	;; [unrolled: 1-line block ×4, first 2 shown]
.LBB401_366:                            ;   in Loop: Header=BB401_350 Depth=2
	s_or_b32 exec_lo, exec_lo, s9
	s_delay_alu instid0(SALU_CYCLE_1)
	s_mov_b32 s8, exec_lo
	v_cmpx_lt_u32_e64 v1, v13
	s_cbranch_execz .LBB401_374
; %bb.367:                              ;   in Loop: Header=BB401_350 Depth=2
	v_xor_b32_e32 v4, 0x80, v2
	v_lshlrev_b32_e32 v5, 2, v32
	s_delay_alu instid0(VALU_DEP_2) | instskip(NEXT) | instid1(VALU_DEP_1)
	v_and_b32_e32 v4, 0xff, v4
	v_lshrrev_b32_e32 v4, s49, v4
	s_delay_alu instid0(VALU_DEP_1) | instskip(NEXT) | instid1(VALU_DEP_1)
	v_and_b32_e32 v4, s31, v4
	v_lshl_or_b32 v4, v4, 4, v5
	ds_add_u32 v4, v66
	s_or_b32 exec_lo, exec_lo, s8
	s_delay_alu instid0(SALU_CYCLE_1)
	s_mov_b32 s8, exec_lo
	v_cmpx_lt_u32_e64 v29, v13
	s_cbranch_execnz .LBB401_375
.LBB401_368:                            ;   in Loop: Header=BB401_350 Depth=2
	s_or_b32 exec_lo, exec_lo, s8
	s_delay_alu instid0(SALU_CYCLE_1)
	s_mov_b32 s8, exec_lo
	v_cmpx_lt_u32_e64 v30, v13
	s_cbranch_execz .LBB401_376
.LBB401_369:                            ;   in Loop: Header=BB401_350 Depth=2
	v_xor_b32_e32 v4, 0x80, v7
	v_lshlrev_b32_e32 v5, 2, v32
	s_delay_alu instid0(VALU_DEP_2) | instskip(NEXT) | instid1(VALU_DEP_1)
	v_and_b32_e32 v4, 0xff, v4
	v_lshrrev_b32_e32 v4, s49, v4
	s_delay_alu instid0(VALU_DEP_1) | instskip(NEXT) | instid1(VALU_DEP_1)
	v_and_b32_e32 v4, s31, v4
	v_lshl_or_b32 v4, v4, 4, v5
	ds_add_u32 v4, v66
	s_or_b32 exec_lo, exec_lo, s8
	s_delay_alu instid0(SALU_CYCLE_1)
	s_mov_b32 s8, exec_lo
	v_cmpx_lt_u32_e64 v31, v13
	s_cbranch_execnz .LBB401_377
.LBB401_370:                            ;   in Loop: Header=BB401_350 Depth=2
	s_or_b32 exec_lo, exec_lo, s8
	s_delay_alu instid0(SALU_CYCLE_1)
	s_mov_b32 s8, exec_lo
	v_cmpx_lt_u32_e64 v35, v13
	s_cbranch_execz .LBB401_378
.LBB401_371:                            ;   in Loop: Header=BB401_350 Depth=2
	v_xor_b32_e32 v4, 0x80, v9
	v_lshlrev_b32_e32 v5, 2, v32
	s_delay_alu instid0(VALU_DEP_2) | instskip(NEXT) | instid1(VALU_DEP_1)
	v_and_b32_e32 v4, 0xff, v4
	v_lshrrev_b32_e32 v4, s49, v4
	s_delay_alu instid0(VALU_DEP_1) | instskip(NEXT) | instid1(VALU_DEP_1)
	v_and_b32_e32 v4, s31, v4
	v_lshl_or_b32 v4, v4, 4, v5
	ds_add_u32 v4, v66
	s_or_b32 exec_lo, exec_lo, s8
	s_delay_alu instid0(SALU_CYCLE_1)
	s_mov_b32 s8, exec_lo
	v_cmpx_lt_u32_e64 v36, v13
	s_cbranch_execnz .LBB401_379
.LBB401_372:                            ;   in Loop: Header=BB401_350 Depth=2
	s_or_b32 exec_lo, exec_lo, s8
	s_delay_alu instid0(SALU_CYCLE_1)
	s_mov_b32 s8, exec_lo
	v_cmpx_lt_u32_e64 v37, v13
	s_cbranch_execz .LBB401_380
.LBB401_373:                            ;   in Loop: Header=BB401_350 Depth=2
	v_xor_b32_e32 v4, 0x80, v11
	v_lshlrev_b32_e32 v5, 2, v32
	s_delay_alu instid0(VALU_DEP_2) | instskip(NEXT) | instid1(VALU_DEP_1)
	v_and_b32_e32 v4, 0xff, v4
	v_lshrrev_b32_e32 v4, s49, v4
	s_delay_alu instid0(VALU_DEP_1) | instskip(NEXT) | instid1(VALU_DEP_1)
	v_and_b32_e32 v4, s31, v4
	v_lshl_or_b32 v4, v4, 4, v5
	ds_add_u32 v4, v66
	s_or_b32 exec_lo, exec_lo, s8
	s_delay_alu instid0(SALU_CYCLE_1)
	s_mov_b32 s8, exec_lo
	v_cmpx_lt_u32_e64 v39, v13
	s_cbranch_execz .LBB401_349
	s_branch .LBB401_381
.LBB401_374:                            ;   in Loop: Header=BB401_350 Depth=2
	s_or_b32 exec_lo, exec_lo, s8
	s_delay_alu instid0(SALU_CYCLE_1)
	s_mov_b32 s8, exec_lo
	v_cmpx_lt_u32_e64 v29, v13
	s_cbranch_execz .LBB401_368
.LBB401_375:                            ;   in Loop: Header=BB401_350 Depth=2
	v_xor_b32_e32 v4, 0x80, v6
	v_lshlrev_b32_e32 v5, 2, v32
	s_delay_alu instid0(VALU_DEP_2) | instskip(NEXT) | instid1(VALU_DEP_1)
	v_and_b32_e32 v4, 0xff, v4
	v_lshrrev_b32_e32 v4, s49, v4
	s_delay_alu instid0(VALU_DEP_1) | instskip(NEXT) | instid1(VALU_DEP_1)
	v_and_b32_e32 v4, s31, v4
	v_lshl_or_b32 v4, v4, 4, v5
	ds_add_u32 v4, v66
	s_or_b32 exec_lo, exec_lo, s8
	s_delay_alu instid0(SALU_CYCLE_1)
	s_mov_b32 s8, exec_lo
	v_cmpx_lt_u32_e64 v30, v13
	s_cbranch_execnz .LBB401_369
.LBB401_376:                            ;   in Loop: Header=BB401_350 Depth=2
	s_or_b32 exec_lo, exec_lo, s8
	s_delay_alu instid0(SALU_CYCLE_1)
	s_mov_b32 s8, exec_lo
	v_cmpx_lt_u32_e64 v31, v13
	s_cbranch_execz .LBB401_370
.LBB401_377:                            ;   in Loop: Header=BB401_350 Depth=2
	v_xor_b32_e32 v4, 0x80, v8
	v_lshlrev_b32_e32 v5, 2, v32
	s_delay_alu instid0(VALU_DEP_2) | instskip(NEXT) | instid1(VALU_DEP_1)
	v_and_b32_e32 v4, 0xff, v4
	v_lshrrev_b32_e32 v4, s49, v4
	s_delay_alu instid0(VALU_DEP_1) | instskip(NEXT) | instid1(VALU_DEP_1)
	v_and_b32_e32 v4, s31, v4
	v_lshl_or_b32 v4, v4, 4, v5
	ds_add_u32 v4, v66
	s_or_b32 exec_lo, exec_lo, s8
	s_delay_alu instid0(SALU_CYCLE_1)
	s_mov_b32 s8, exec_lo
	v_cmpx_lt_u32_e64 v35, v13
	s_cbranch_execnz .LBB401_371
.LBB401_378:                            ;   in Loop: Header=BB401_350 Depth=2
	s_or_b32 exec_lo, exec_lo, s8
	s_delay_alu instid0(SALU_CYCLE_1)
	s_mov_b32 s8, exec_lo
	v_cmpx_lt_u32_e64 v36, v13
	s_cbranch_execz .LBB401_372
.LBB401_379:                            ;   in Loop: Header=BB401_350 Depth=2
	v_xor_b32_e32 v4, 0x80, v10
	v_lshlrev_b32_e32 v5, 2, v32
	s_delay_alu instid0(VALU_DEP_2) | instskip(NEXT) | instid1(VALU_DEP_1)
	v_and_b32_e32 v4, 0xff, v4
	v_lshrrev_b32_e32 v4, s49, v4
	s_delay_alu instid0(VALU_DEP_1) | instskip(NEXT) | instid1(VALU_DEP_1)
	v_and_b32_e32 v4, s31, v4
	v_lshl_or_b32 v4, v4, 4, v5
	ds_add_u32 v4, v66
	s_or_b32 exec_lo, exec_lo, s8
	s_delay_alu instid0(SALU_CYCLE_1)
	s_mov_b32 s8, exec_lo
	v_cmpx_lt_u32_e64 v37, v13
	s_cbranch_execnz .LBB401_373
.LBB401_380:                            ;   in Loop: Header=BB401_350 Depth=2
	s_or_b32 exec_lo, exec_lo, s8
	s_delay_alu instid0(SALU_CYCLE_1)
	s_mov_b32 s8, exec_lo
	v_cmpx_lt_u32_e64 v39, v13
	s_cbranch_execz .LBB401_349
.LBB401_381:                            ;   in Loop: Header=BB401_350 Depth=2
	s_waitcnt vmcnt(0)
	v_xor_b32_e32 v4, 0x80, v12
	v_lshlrev_b32_e32 v5, 2, v32
	s_delay_alu instid0(VALU_DEP_2) | instskip(NEXT) | instid1(VALU_DEP_1)
	v_and_b32_e32 v4, 0xff, v4
	v_lshrrev_b32_e32 v4, s49, v4
	s_delay_alu instid0(VALU_DEP_1) | instskip(NEXT) | instid1(VALU_DEP_1)
	v_and_b32_e32 v4, s31, v4
	v_lshl_or_b32 v4, v4, 4, v5
	ds_add_u32 v4, v66
	s_branch .LBB401_349
.LBB401_382:                            ;   in Loop: Header=BB401_350 Depth=2
	s_or_b32 exec_lo, exec_lo, s12
	s_delay_alu instid0(SALU_CYCLE_1)
	s_mov_b32 s12, exec_lo
	v_cmpx_gt_u32_e64 s0, v29
	s_cbranch_execz .LBB401_356
.LBB401_383:                            ;   in Loop: Header=BB401_350 Depth=2
	v_add_co_u32 v4, s13, s10, v1
	s_delay_alu instid0(VALU_DEP_1) | instskip(SKIP_2) | instid1(SALU_CYCLE_1)
	v_add_co_ci_u32_e64 v5, null, s11, 0, s13
	global_load_u8 v6, v[4:5], off offset:256
	s_or_b32 exec_lo, exec_lo, s12
	s_mov_b32 s12, exec_lo
	v_cmpx_gt_u32_e64 s0, v30
	s_cbranch_execnz .LBB401_357
.LBB401_384:                            ;   in Loop: Header=BB401_350 Depth=2
	s_or_b32 exec_lo, exec_lo, s12
	s_delay_alu instid0(SALU_CYCLE_1)
	s_mov_b32 s12, exec_lo
	v_cmpx_gt_u32_e64 s0, v31
	s_cbranch_execz .LBB401_358
.LBB401_385:                            ;   in Loop: Header=BB401_350 Depth=2
	v_add_co_u32 v4, s13, s10, v1
	s_delay_alu instid0(VALU_DEP_1) | instskip(SKIP_2) | instid1(SALU_CYCLE_1)
	v_add_co_ci_u32_e64 v5, null, s11, 0, s13
	global_load_u8 v8, v[4:5], off offset:768
	s_or_b32 exec_lo, exec_lo, s12
	s_mov_b32 s12, exec_lo
	v_cmpx_gt_u32_e64 s0, v35
	s_cbranch_execnz .LBB401_359
.LBB401_386:                            ;   in Loop: Header=BB401_350 Depth=2
	s_or_b32 exec_lo, exec_lo, s12
	s_delay_alu instid0(SALU_CYCLE_1)
	s_mov_b32 s12, exec_lo
	v_cmpx_gt_u32_e64 s0, v36
	s_cbranch_execz .LBB401_360
.LBB401_387:                            ;   in Loop: Header=BB401_350 Depth=2
	v_add_co_u32 v4, s13, s10, v1
	s_delay_alu instid0(VALU_DEP_1) | instskip(SKIP_2) | instid1(SALU_CYCLE_1)
	v_add_co_ci_u32_e64 v5, null, s11, 0, s13
	global_load_u8 v10, v[4:5], off offset:1280
	s_or_b32 exec_lo, exec_lo, s12
	s_mov_b32 s12, exec_lo
	v_cmpx_gt_u32_e64 s0, v37
	s_cbranch_execz .LBB401_362
	s_branch .LBB401_361
.LBB401_388:                            ;   in Loop: Header=BB401_12 Depth=1
	v_mov_b32_e32 v2, 0
	s_waitcnt vmcnt(0) lgkmcnt(0)
	s_barrier
	buffer_gl0_inv
	s_and_saveexec_b32 s0, s2
	s_cbranch_execz .LBB401_390
; %bb.389:                              ;   in Loop: Header=BB401_12 Depth=1
	ds_load_2addr_b64 v[4:7], v40 offset1:1
	s_waitcnt lgkmcnt(0)
	v_add_nc_u32_e32 v2, v5, v4
	s_delay_alu instid0(VALU_DEP_1)
	v_add3_u32 v2, v2, v6, v7
.LBB401_390:                            ;   in Loop: Header=BB401_12 Depth=1
	s_or_b32 exec_lo, exec_lo, s0
	v_and_b32_e32 v4, 15, v63
	s_delay_alu instid0(VALU_DEP_2) | instskip(SKIP_1) | instid1(VALU_DEP_3)
	v_mov_b32_dpp v5, v2 row_shr:1 row_mask:0xf bank_mask:0xf
	v_and_b32_e32 v6, 16, v63
	v_cmp_eq_u32_e64 s0, 0, v4
	v_cmp_lt_u32_e64 s1, 1, v4
	v_cmp_lt_u32_e64 s8, 3, v4
	;; [unrolled: 1-line block ×3, first 2 shown]
	v_cmp_eq_u32_e64 s10, 0, v6
	v_cndmask_b32_e64 v5, v5, 0, s0
	s_delay_alu instid0(VALU_DEP_1) | instskip(NEXT) | instid1(VALU_DEP_1)
	v_add_nc_u32_e32 v2, v5, v2
	v_mov_b32_dpp v5, v2 row_shr:2 row_mask:0xf bank_mask:0xf
	s_delay_alu instid0(VALU_DEP_1) | instskip(NEXT) | instid1(VALU_DEP_1)
	v_cndmask_b32_e64 v5, 0, v5, s1
	v_add_nc_u32_e32 v2, v2, v5
	s_delay_alu instid0(VALU_DEP_1) | instskip(NEXT) | instid1(VALU_DEP_1)
	v_mov_b32_dpp v5, v2 row_shr:4 row_mask:0xf bank_mask:0xf
	v_cndmask_b32_e64 v5, 0, v5, s8
	s_delay_alu instid0(VALU_DEP_1) | instskip(NEXT) | instid1(VALU_DEP_1)
	v_add_nc_u32_e32 v2, v2, v5
	v_mov_b32_dpp v5, v2 row_shr:8 row_mask:0xf bank_mask:0xf
	s_delay_alu instid0(VALU_DEP_1) | instskip(SKIP_1) | instid1(VALU_DEP_2)
	v_cndmask_b32_e64 v4, 0, v5, s9
	v_bfe_i32 v5, v63, 4, 1
	v_add_nc_u32_e32 v2, v2, v4
	ds_swizzle_b32 v4, v2 offset:swizzle(BROADCAST,32,15)
	s_waitcnt lgkmcnt(0)
	v_and_b32_e32 v4, v5, v4
	s_delay_alu instid0(VALU_DEP_1)
	v_add_nc_u32_e32 v4, v2, v4
	s_and_saveexec_b32 s11, s3
	s_cbranch_execz .LBB401_392
; %bb.391:                              ;   in Loop: Header=BB401_12 Depth=1
	ds_store_b32 v41, v4
.LBB401_392:                            ;   in Loop: Header=BB401_12 Depth=1
	s_or_b32 exec_lo, exec_lo, s11
	v_and_b32_e32 v2, 7, v63
	s_waitcnt lgkmcnt(0)
	s_barrier
	buffer_gl0_inv
	s_and_saveexec_b32 s11, s4
	s_cbranch_execz .LBB401_394
; %bb.393:                              ;   in Loop: Header=BB401_12 Depth=1
	ds_load_b32 v5, v42
	v_cmp_ne_u32_e32 vcc_lo, 0, v2
	s_waitcnt lgkmcnt(0)
	v_mov_b32_dpp v6, v5 row_shr:1 row_mask:0xf bank_mask:0xf
	s_delay_alu instid0(VALU_DEP_1) | instskip(SKIP_1) | instid1(VALU_DEP_2)
	v_cndmask_b32_e32 v6, 0, v6, vcc_lo
	v_cmp_lt_u32_e32 vcc_lo, 1, v2
	v_add_nc_u32_e32 v5, v6, v5
	s_delay_alu instid0(VALU_DEP_1) | instskip(NEXT) | instid1(VALU_DEP_1)
	v_mov_b32_dpp v6, v5 row_shr:2 row_mask:0xf bank_mask:0xf
	v_cndmask_b32_e32 v6, 0, v6, vcc_lo
	v_cmp_lt_u32_e32 vcc_lo, 3, v2
	s_delay_alu instid0(VALU_DEP_2) | instskip(NEXT) | instid1(VALU_DEP_1)
	v_add_nc_u32_e32 v5, v5, v6
	v_mov_b32_dpp v6, v5 row_shr:4 row_mask:0xf bank_mask:0xf
	s_delay_alu instid0(VALU_DEP_1) | instskip(NEXT) | instid1(VALU_DEP_1)
	v_cndmask_b32_e32 v6, 0, v6, vcc_lo
	v_add_nc_u32_e32 v5, v5, v6
	ds_store_b32 v42, v5
.LBB401_394:                            ;   in Loop: Header=BB401_12 Depth=1
	s_or_b32 exec_lo, exec_lo, s11
	v_mov_b32_e32 v5, 0
	s_waitcnt lgkmcnt(0)
	s_barrier
	buffer_gl0_inv
	s_and_saveexec_b32 s11, s5
	s_cbranch_execz .LBB401_396
; %bb.395:                              ;   in Loop: Header=BB401_12 Depth=1
	ds_load_b32 v5, v43
.LBB401_396:                            ;   in Loop: Header=BB401_12 Depth=1
	s_or_b32 exec_lo, exec_lo, s11
	v_add_nc_u32_e32 v6, -1, v63
	s_waitcnt lgkmcnt(0)
	v_add_nc_u32_e32 v4, v5, v4
	v_cmp_eq_u32_e64 s11, 0, v63
	s_barrier
	v_cmp_gt_i32_e32 vcc_lo, 0, v6
	buffer_gl0_inv
	v_cndmask_b32_e32 v6, v6, v63, vcc_lo
	s_delay_alu instid0(VALU_DEP_1)
	v_lshlrev_b32_e32 v69, 2, v6
	ds_bpermute_b32 v4, v69, v4
	s_and_saveexec_b32 s12, s2
	s_cbranch_execz .LBB401_398
; %bb.397:                              ;   in Loop: Header=BB401_12 Depth=1
	s_waitcnt lgkmcnt(0)
	v_cndmask_b32_e64 v4, v4, v5, s11
	s_delay_alu instid0(VALU_DEP_1)
	v_add_nc_u32_e32 v4, s27, v4
	ds_store_b32 v28, v4
.LBB401_398:                            ;   in Loop: Header=BB401_12 Depth=1
	s_or_b32 exec_lo, exec_lo, s12
	s_load_b64 s[12:13], s[28:29], 0x0
	v_cmp_lt_u32_e64 s14, 3, v2
	v_add_co_u32 v71, vcc_lo, v64, v63
	v_add_co_ci_u32_e32 v72, vcc_lo, 0, v65, vcc_lo
	v_or_b32_e32 v70, v63, v44
	s_mov_b32 s42, s35
	s_mov_b32 s24, s27
                                        ; implicit-def: $vgpr8_vgpr9
                                        ; implicit-def: $vgpr10_vgpr11
                                        ; implicit-def: $vgpr12_vgpr13
                                        ; implicit-def: $vgpr14_vgpr15
                                        ; implicit-def: $vgpr16_vgpr17
                                        ; implicit-def: $vgpr18_vgpr19
                                        ; implicit-def: $vgpr85
                                        ; implicit-def: $vgpr86
                                        ; implicit-def: $vgpr87
                                        ; implicit-def: $vgpr88
                                        ; implicit-def: $vgpr89
                                        ; implicit-def: $vgpr90
                                        ; implicit-def: $vgpr91
                                        ; implicit-def: $vgpr92
	s_delay_alu instid0(VALU_DEP_1)
	v_or_b32_e32 v75, 32, v70
	v_or_b32_e32 v76, 64, v70
	;; [unrolled: 1-line block ×7, first 2 shown]
	s_waitcnt lgkmcnt(0)
	s_cmp_lt_u32 s15, s13
	s_cselect_b32 s13, 14, 20
	s_delay_alu instid0(SALU_CYCLE_1) | instskip(SKIP_4) | instid1(SALU_CYCLE_1)
	s_add_u32 s16, s28, s13
	s_addc_u32 s17, s29, 0
	s_cmp_lt_u32 s26, s12
	global_load_u16 v4, v3, s[16:17]
	s_cselect_b32 s12, 12, 18
	s_add_u32 s12, s28, s12
	s_addc_u32 s13, s29, 0
	global_load_u16 v6, v3, s[12:13]
	v_cmp_eq_u32_e64 s12, 0, v2
	v_cmp_lt_u32_e64 s13, 1, v2
	v_lshlrev_b32_e32 v2, 3, v63
	s_delay_alu instid0(VALU_DEP_1)
	v_add_co_u32 v73, vcc_lo, v61, v2
	v_add_co_ci_u32_e32 v74, vcc_lo, 0, v62, vcc_lo
	v_add_co_u32 v83, vcc_lo, 0xe0, v71
	v_add_co_ci_u32_e32 v84, vcc_lo, 0, v72, vcc_lo
	s_waitcnt vmcnt(1)
	v_mad_u32_u24 v7, v45, v4, v0
	s_waitcnt vmcnt(0)
	s_delay_alu instid0(VALU_DEP_1) | instskip(NEXT) | instid1(VALU_DEP_1)
	v_mad_u64_u32 v[4:5], null, v7, v6, v[1:2]
                                        ; implicit-def: $vgpr6_vgpr7
	v_lshrrev_b32_e32 v82, 5, v4
                                        ; implicit-def: $vgpr4_vgpr5
	s_branch .LBB401_400
.LBB401_399:                            ;   in Loop: Header=BB401_400 Depth=2
	s_or_b32 exec_lo, exec_lo, s16
	s_addk_i32 s42, 0xf800
	s_cmp_lt_u32 s43, s33
	s_mov_b32 s24, s43
	s_cbranch_scc0 .LBB401_512
.LBB401_400:                            ;   Parent Loop BB401_12 Depth=1
                                        ; =>  This Inner Loop Header: Depth=2
	s_add_i32 s43, s24, 0x800
	s_delay_alu instid0(SALU_CYCLE_1)
	s_cmp_gt_u32 s43, s33
	s_cbranch_scc1 .LBB401_403
; %bb.401:                              ;   in Loop: Header=BB401_400 Depth=2
	v_add_co_u32 v20, vcc_lo, v71, s24
	v_add_co_ci_u32_e32 v21, vcc_lo, 0, v72, vcc_lo
	s_mov_b32 s17, 0
	s_mov_b32 s16, s24
	s_mov_b32 s19, -1
	s_clause 0x6
	global_load_u8 v23, v[20:21], off offset:192
	global_load_u8 v24, v[20:21], off offset:160
	;; [unrolled: 1-line block ×6, first 2 shown]
	global_load_u8 v93, v[20:21], off
	s_movk_i32 s18, 0x800
	s_cbranch_execz .LBB401_404
; %bb.402:                              ;   in Loop: Header=BB401_400 Depth=2
                                        ; implicit-def: $vgpr22
	v_mov_b32_e32 v2, s42
	s_and_saveexec_b32 s20, s19
	s_cbranch_execnz .LBB401_413
	s_branch .LBB401_414
.LBB401_403:                            ;   in Loop: Header=BB401_400 Depth=2
	s_mov_b32 s17, -1
	s_mov_b32 s19, 0
                                        ; implicit-def: $sgpr18
                                        ; implicit-def: $vgpr93
                                        ; implicit-def: $vgpr95
                                        ; implicit-def: $vgpr27
                                        ; implicit-def: $vgpr26
                                        ; implicit-def: $vgpr25
                                        ; implicit-def: $vgpr24
                                        ; implicit-def: $vgpr23
.LBB401_404:                            ;   in Loop: Header=BB401_400 Depth=2
	v_add_co_u32 v20, vcc_lo, v71, s24
	v_add_co_ci_u32_e32 v21, vcc_lo, 0, v72, vcc_lo
	s_waitcnt vmcnt(0)
	v_dual_mov_b32 v93, 0x7f :: v_dual_mov_b32 v22, 0x7f
	v_dual_mov_b32 v95, 0x7f :: v_dual_mov_b32 v26, 0x7f
	;; [unrolled: 1-line block ×3, first 2 shown]
	v_mov_b32_e32 v25, 0x7f
	v_mov_b32_e32 v23, 0x7f
	s_mov_b32 s16, exec_lo
	v_cmpx_gt_u32_e64 s42, v70
	s_cbranch_execz .LBB401_506
; %bb.405:                              ;   in Loop: Header=BB401_400 Depth=2
	global_load_u8 v93, v[20:21], off
	v_dual_mov_b32 v95, 0x7f :: v_dual_mov_b32 v26, 0x7f
	v_dual_mov_b32 v27, 0x7f :: v_dual_mov_b32 v24, 0x7f
	;; [unrolled: 1-line block ×3, first 2 shown]
	v_mov_b32_e32 v23, 0x7f
	s_or_b32 exec_lo, exec_lo, s16
	s_delay_alu instid0(SALU_CYCLE_1)
	s_mov_b32 s16, exec_lo
	v_cmpx_gt_u32_e64 s42, v75
	s_cbranch_execnz .LBB401_507
.LBB401_406:                            ;   in Loop: Header=BB401_400 Depth=2
	s_or_b32 exec_lo, exec_lo, s16
	s_delay_alu instid0(SALU_CYCLE_1)
	s_mov_b32 s16, exec_lo
	v_cmpx_gt_u32_e64 s42, v76
	s_cbranch_execz .LBB401_508
.LBB401_407:                            ;   in Loop: Header=BB401_400 Depth=2
	global_load_u8 v27, v[20:21], off offset:64
	s_or_b32 exec_lo, exec_lo, s16
	s_delay_alu instid0(SALU_CYCLE_1)
	s_mov_b32 s16, exec_lo
	v_cmpx_gt_u32_e64 s42, v77
	s_cbranch_execnz .LBB401_509
.LBB401_408:                            ;   in Loop: Header=BB401_400 Depth=2
	s_or_b32 exec_lo, exec_lo, s16
	s_delay_alu instid0(SALU_CYCLE_1)
	s_mov_b32 s16, exec_lo
	v_cmpx_gt_u32_e64 s42, v78
	s_cbranch_execz .LBB401_510
.LBB401_409:                            ;   in Loop: Header=BB401_400 Depth=2
	global_load_u8 v25, v[20:21], off offset:128
	s_or_b32 exec_lo, exec_lo, s16
	s_delay_alu instid0(SALU_CYCLE_1)
	s_mov_b32 s16, exec_lo
	v_cmpx_gt_u32_e64 s42, v79
	s_cbranch_execnz .LBB401_511
.LBB401_410:                            ;   in Loop: Header=BB401_400 Depth=2
	s_or_b32 exec_lo, exec_lo, s16
	s_delay_alu instid0(SALU_CYCLE_1)
	s_mov_b32 s16, exec_lo
	v_cmpx_gt_u32_e64 s42, v80
	s_cbranch_execz .LBB401_412
.LBB401_411:                            ;   in Loop: Header=BB401_400 Depth=2
	global_load_u8 v23, v[20:21], off offset:192
.LBB401_412:                            ;   in Loop: Header=BB401_400 Depth=2
	s_or_b32 exec_lo, exec_lo, s16
	v_cmp_gt_u32_e64 s19, s42, v81
	s_sub_i32 s18, s33, s24
	s_mov_b64 s[16:17], s[24:25]
	v_mov_b32_e32 v2, s42
	s_delay_alu instid0(VALU_DEP_2)
	s_and_saveexec_b32 s20, s19
	s_cbranch_execz .LBB401_414
.LBB401_413:                            ;   in Loop: Header=BB401_400 Depth=2
	v_add_co_u32 v20, vcc_lo, v83, s16
	v_add_co_ci_u32_e32 v21, vcc_lo, s17, v84, vcc_lo
	v_mov_b32_e32 v2, s18
	global_load_u8 v22, v[20:21], off
.LBB401_414:                            ;   in Loop: Header=BB401_400 Depth=2
	s_or_b32 exec_lo, exec_lo, s20
	s_waitcnt vmcnt(0)
	v_xor_b32_e32 v93, 0xffffff80, v93
	ds_store_b32 v46, v3 offset:1056
	ds_store_2addr_b32 v47, v3, v3 offset0:1 offset1:2
	ds_store_2addr_b32 v47, v3, v3 offset0:3 offset1:4
	;; [unrolled: 1-line block ×4, first 2 shown]
	s_waitcnt lgkmcnt(0)
	s_barrier
	v_and_b32_e32 v20, 0xff, v93
	buffer_gl0_inv
	; wave barrier
	v_lshrrev_b32_e32 v20, s49, v20
	s_delay_alu instid0(VALU_DEP_1) | instskip(NEXT) | instid1(VALU_DEP_1)
	v_and_b32_e32 v21, s31, v20
	v_and_b32_e32 v20, 1, v21
	v_lshlrev_b32_e32 v94, 30, v21
	v_lshlrev_b32_e32 v96, 29, v21
	;; [unrolled: 1-line block ×4, first 2 shown]
	v_add_co_u32 v20, s16, v20, -1
	s_delay_alu instid0(VALU_DEP_1)
	v_cndmask_b32_e64 v98, 0, 1, s16
	v_not_b32_e32 v102, v94
	v_cmp_gt_i32_e64 s16, 0, v94
	v_not_b32_e32 v94, v96
	v_lshlrev_b32_e32 v100, 26, v21
	v_cmp_ne_u32_e32 vcc_lo, 0, v98
	v_ashrrev_i32_e32 v102, 31, v102
	v_lshlrev_b32_e32 v101, 25, v21
	v_ashrrev_i32_e32 v94, 31, v94
	v_lshlrev_b32_e32 v98, 24, v21
	v_xor_b32_e32 v20, vcc_lo, v20
	v_cmp_gt_i32_e32 vcc_lo, 0, v96
	v_not_b32_e32 v96, v97
	v_xor_b32_e32 v102, s16, v102
	v_cmp_gt_i32_e64 s16, 0, v97
	v_and_b32_e32 v20, exec_lo, v20
	v_not_b32_e32 v97, v99
	v_ashrrev_i32_e32 v96, 31, v96
	v_xor_b32_e32 v94, vcc_lo, v94
	v_cmp_gt_i32_e32 vcc_lo, 0, v99
	v_and_b32_e32 v20, v20, v102
	v_not_b32_e32 v99, v100
	v_ashrrev_i32_e32 v97, 31, v97
	v_xor_b32_e32 v96, s16, v96
	v_cmp_gt_i32_e64 s16, 0, v100
	v_and_b32_e32 v20, v20, v94
	v_not_b32_e32 v94, v101
	v_ashrrev_i32_e32 v99, 31, v99
	v_xor_b32_e32 v97, vcc_lo, v97
	v_cmp_gt_i32_e32 vcc_lo, 0, v101
	v_and_b32_e32 v20, v20, v96
	v_not_b32_e32 v96, v98
	v_ashrrev_i32_e32 v94, 31, v94
	v_xor_b32_e32 v99, s16, v99
	v_cmp_gt_i32_e64 s16, 0, v98
	v_and_b32_e32 v20, v20, v97
	v_ashrrev_i32_e32 v96, 31, v96
	v_xor_b32_e32 v94, vcc_lo, v94
	v_mad_u32_u24 v21, v21, 9, v82
	s_delay_alu instid0(VALU_DEP_4) | instskip(NEXT) | instid1(VALU_DEP_4)
	v_and_b32_e32 v20, v20, v99
	v_xor_b32_e32 v96, s16, v96
	s_delay_alu instid0(VALU_DEP_2) | instskip(NEXT) | instid1(VALU_DEP_1)
	v_and_b32_e32 v20, v20, v94
	v_and_b32_e32 v20, v20, v96
	v_lshl_add_u32 v96, v21, 2, 0x420
	s_delay_alu instid0(VALU_DEP_2) | instskip(SKIP_1) | instid1(VALU_DEP_2)
	v_mbcnt_lo_u32_b32 v94, v20, 0
	v_cmp_ne_u32_e64 s16, 0, v20
	v_cmp_eq_u32_e32 vcc_lo, 0, v94
	s_delay_alu instid0(VALU_DEP_2) | instskip(NEXT) | instid1(SALU_CYCLE_1)
	s_and_b32 s17, s16, vcc_lo
	s_and_saveexec_b32 s16, s17
	s_cbranch_execz .LBB401_416
; %bb.415:                              ;   in Loop: Header=BB401_400 Depth=2
	v_bcnt_u32_b32 v20, v20, 0
	ds_store_b32 v96, v20
.LBB401_416:                            ;   in Loop: Header=BB401_400 Depth=2
	s_or_b32 exec_lo, exec_lo, s16
	v_xor_b32_e32 v95, 0xffffff80, v95
	; wave barrier
	s_delay_alu instid0(VALU_DEP_1) | instskip(NEXT) | instid1(VALU_DEP_1)
	v_and_b32_e32 v20, 0xff, v95
	v_lshrrev_b32_e32 v20, s49, v20
	s_delay_alu instid0(VALU_DEP_1) | instskip(NEXT) | instid1(VALU_DEP_1)
	v_and_b32_e32 v20, s31, v20
	v_and_b32_e32 v21, 1, v20
	v_lshlrev_b32_e32 v97, 30, v20
	v_lshlrev_b32_e32 v98, 29, v20
	;; [unrolled: 1-line block ×4, first 2 shown]
	v_add_co_u32 v21, s16, v21, -1
	s_delay_alu instid0(VALU_DEP_1)
	v_cndmask_b32_e64 v100, 0, 1, s16
	v_not_b32_e32 v104, v97
	v_cmp_gt_i32_e64 s16, 0, v97
	v_not_b32_e32 v97, v98
	v_lshlrev_b32_e32 v102, 26, v20
	v_cmp_ne_u32_e32 vcc_lo, 0, v100
	v_ashrrev_i32_e32 v104, 31, v104
	v_lshlrev_b32_e32 v103, 25, v20
	v_ashrrev_i32_e32 v97, 31, v97
	v_lshlrev_b32_e32 v100, 24, v20
	v_xor_b32_e32 v21, vcc_lo, v21
	v_cmp_gt_i32_e32 vcc_lo, 0, v98
	v_not_b32_e32 v98, v99
	v_xor_b32_e32 v104, s16, v104
	v_cmp_gt_i32_e64 s16, 0, v99
	v_and_b32_e32 v21, exec_lo, v21
	v_not_b32_e32 v99, v101
	v_ashrrev_i32_e32 v98, 31, v98
	v_xor_b32_e32 v97, vcc_lo, v97
	v_cmp_gt_i32_e32 vcc_lo, 0, v101
	v_and_b32_e32 v21, v21, v104
	v_not_b32_e32 v101, v102
	v_ashrrev_i32_e32 v99, 31, v99
	v_xor_b32_e32 v98, s16, v98
	v_cmp_gt_i32_e64 s16, 0, v102
	v_and_b32_e32 v21, v21, v97
	v_not_b32_e32 v97, v103
	v_ashrrev_i32_e32 v101, 31, v101
	v_xor_b32_e32 v99, vcc_lo, v99
	v_cmp_gt_i32_e32 vcc_lo, 0, v103
	v_and_b32_e32 v21, v21, v98
	v_not_b32_e32 v98, v100
	v_ashrrev_i32_e32 v97, 31, v97
	v_xor_b32_e32 v101, s16, v101
	v_mul_u32_u24_e32 v20, 9, v20
	v_and_b32_e32 v21, v21, v99
	v_cmp_gt_i32_e64 s16, 0, v100
	v_ashrrev_i32_e32 v98, 31, v98
	v_xor_b32_e32 v97, vcc_lo, v97
	v_add_lshl_u32 v99, v20, v82, 2
	v_and_b32_e32 v21, v21, v101
	s_delay_alu instid0(VALU_DEP_4) | instskip(NEXT) | instid1(VALU_DEP_3)
	v_xor_b32_e32 v20, s16, v98
	v_add_nc_u32_e32 v100, 0x420, v99
	s_delay_alu instid0(VALU_DEP_3) | instskip(SKIP_2) | instid1(VALU_DEP_1)
	v_and_b32_e32 v21, v21, v97
	ds_load_b32 v97, v99 offset:1056
	; wave barrier
	v_and_b32_e32 v20, v21, v20
	v_mbcnt_lo_u32_b32 v98, v20, 0
	v_cmp_ne_u32_e64 s16, 0, v20
	s_delay_alu instid0(VALU_DEP_2) | instskip(NEXT) | instid1(VALU_DEP_2)
	v_cmp_eq_u32_e32 vcc_lo, 0, v98
	s_and_b32 s17, s16, vcc_lo
	s_delay_alu instid0(SALU_CYCLE_1)
	s_and_saveexec_b32 s16, s17
	s_cbranch_execz .LBB401_418
; %bb.417:                              ;   in Loop: Header=BB401_400 Depth=2
	s_waitcnt lgkmcnt(0)
	v_bcnt_u32_b32 v20, v20, v97
	ds_store_b32 v100, v20
.LBB401_418:                            ;   in Loop: Header=BB401_400 Depth=2
	s_or_b32 exec_lo, exec_lo, s16
	v_xor_b32_e32 v99, 0xffffff80, v27
	; wave barrier
	s_delay_alu instid0(VALU_DEP_1) | instskip(NEXT) | instid1(VALU_DEP_1)
	v_and_b32_e32 v20, 0xff, v99
	v_lshrrev_b32_e32 v20, s49, v20
	s_delay_alu instid0(VALU_DEP_1) | instskip(NEXT) | instid1(VALU_DEP_1)
	v_and_b32_e32 v20, s31, v20
	v_and_b32_e32 v21, 1, v20
	v_lshlrev_b32_e32 v27, 30, v20
	v_lshlrev_b32_e32 v101, 29, v20
	;; [unrolled: 1-line block ×4, first 2 shown]
	v_add_co_u32 v21, s16, v21, -1
	s_delay_alu instid0(VALU_DEP_1)
	v_cndmask_b32_e64 v103, 0, 1, s16
	v_not_b32_e32 v107, v27
	v_cmp_gt_i32_e64 s16, 0, v27
	v_not_b32_e32 v27, v101
	v_lshlrev_b32_e32 v105, 26, v20
	v_cmp_ne_u32_e32 vcc_lo, 0, v103
	v_ashrrev_i32_e32 v107, 31, v107
	v_lshlrev_b32_e32 v106, 25, v20
	v_ashrrev_i32_e32 v27, 31, v27
	v_lshlrev_b32_e32 v103, 24, v20
	v_xor_b32_e32 v21, vcc_lo, v21
	v_cmp_gt_i32_e32 vcc_lo, 0, v101
	v_not_b32_e32 v101, v102
	v_xor_b32_e32 v107, s16, v107
	v_cmp_gt_i32_e64 s16, 0, v102
	v_and_b32_e32 v21, exec_lo, v21
	v_not_b32_e32 v102, v104
	v_ashrrev_i32_e32 v101, 31, v101
	v_xor_b32_e32 v27, vcc_lo, v27
	v_cmp_gt_i32_e32 vcc_lo, 0, v104
	v_and_b32_e32 v21, v21, v107
	v_not_b32_e32 v104, v105
	v_ashrrev_i32_e32 v102, 31, v102
	v_xor_b32_e32 v101, s16, v101
	v_cmp_gt_i32_e64 s16, 0, v105
	v_and_b32_e32 v21, v21, v27
	v_not_b32_e32 v27, v106
	v_ashrrev_i32_e32 v104, 31, v104
	v_xor_b32_e32 v102, vcc_lo, v102
	v_cmp_gt_i32_e32 vcc_lo, 0, v106
	v_and_b32_e32 v21, v21, v101
	v_not_b32_e32 v101, v103
	v_ashrrev_i32_e32 v27, 31, v27
	v_xor_b32_e32 v104, s16, v104
	v_mul_u32_u24_e32 v20, 9, v20
	v_and_b32_e32 v21, v21, v102
	v_cmp_gt_i32_e64 s16, 0, v103
	v_ashrrev_i32_e32 v101, 31, v101
	v_xor_b32_e32 v27, vcc_lo, v27
	v_add_lshl_u32 v103, v20, v82, 2
	v_and_b32_e32 v21, v21, v104
	s_delay_alu instid0(VALU_DEP_4) | instskip(SKIP_3) | instid1(VALU_DEP_2)
	v_xor_b32_e32 v20, s16, v101
	ds_load_b32 v101, v103 offset:1056
	v_and_b32_e32 v21, v21, v27
	v_add_nc_u32_e32 v104, 0x420, v103
	; wave barrier
	v_and_b32_e32 v20, v21, v20
	s_delay_alu instid0(VALU_DEP_1) | instskip(SKIP_1) | instid1(VALU_DEP_2)
	v_mbcnt_lo_u32_b32 v102, v20, 0
	v_cmp_ne_u32_e64 s16, 0, v20
	v_cmp_eq_u32_e32 vcc_lo, 0, v102
	s_delay_alu instid0(VALU_DEP_2) | instskip(NEXT) | instid1(SALU_CYCLE_1)
	s_and_b32 s17, s16, vcc_lo
	s_and_saveexec_b32 s16, s17
	s_cbranch_execz .LBB401_420
; %bb.419:                              ;   in Loop: Header=BB401_400 Depth=2
	s_waitcnt lgkmcnt(0)
	v_bcnt_u32_b32 v20, v20, v101
	ds_store_b32 v104, v20
.LBB401_420:                            ;   in Loop: Header=BB401_400 Depth=2
	s_or_b32 exec_lo, exec_lo, s16
	v_xor_b32_e32 v103, 0xffffff80, v26
	; wave barrier
	s_delay_alu instid0(VALU_DEP_1) | instskip(NEXT) | instid1(VALU_DEP_1)
	v_and_b32_e32 v20, 0xff, v103
	v_lshrrev_b32_e32 v20, s49, v20
	s_delay_alu instid0(VALU_DEP_1) | instskip(NEXT) | instid1(VALU_DEP_1)
	v_and_b32_e32 v20, s31, v20
	v_and_b32_e32 v21, 1, v20
	v_lshlrev_b32_e32 v26, 30, v20
	v_lshlrev_b32_e32 v27, 29, v20
	;; [unrolled: 1-line block ×4, first 2 shown]
	v_add_co_u32 v21, s16, v21, -1
	s_delay_alu instid0(VALU_DEP_1)
	v_cndmask_b32_e64 v106, 0, 1, s16
	v_not_b32_e32 v110, v26
	v_cmp_gt_i32_e64 s16, 0, v26
	v_not_b32_e32 v26, v27
	v_lshlrev_b32_e32 v108, 26, v20
	v_cmp_ne_u32_e32 vcc_lo, 0, v106
	v_ashrrev_i32_e32 v110, 31, v110
	v_lshlrev_b32_e32 v109, 25, v20
	v_ashrrev_i32_e32 v26, 31, v26
	v_lshlrev_b32_e32 v106, 24, v20
	v_xor_b32_e32 v21, vcc_lo, v21
	v_cmp_gt_i32_e32 vcc_lo, 0, v27
	v_not_b32_e32 v27, v105
	v_xor_b32_e32 v110, s16, v110
	v_cmp_gt_i32_e64 s16, 0, v105
	v_and_b32_e32 v21, exec_lo, v21
	v_not_b32_e32 v105, v107
	v_ashrrev_i32_e32 v27, 31, v27
	v_xor_b32_e32 v26, vcc_lo, v26
	v_cmp_gt_i32_e32 vcc_lo, 0, v107
	v_and_b32_e32 v21, v21, v110
	v_not_b32_e32 v107, v108
	v_ashrrev_i32_e32 v105, 31, v105
	v_xor_b32_e32 v27, s16, v27
	v_cmp_gt_i32_e64 s16, 0, v108
	v_and_b32_e32 v21, v21, v26
	v_not_b32_e32 v26, v109
	v_ashrrev_i32_e32 v107, 31, v107
	v_xor_b32_e32 v105, vcc_lo, v105
	v_cmp_gt_i32_e32 vcc_lo, 0, v109
	v_and_b32_e32 v21, v21, v27
	v_not_b32_e32 v27, v106
	v_ashrrev_i32_e32 v26, 31, v26
	v_xor_b32_e32 v107, s16, v107
	v_mul_u32_u24_e32 v20, 9, v20
	v_and_b32_e32 v21, v21, v105
	v_cmp_gt_i32_e64 s16, 0, v106
	v_ashrrev_i32_e32 v27, 31, v27
	v_xor_b32_e32 v26, vcc_lo, v26
	s_delay_alu instid0(VALU_DEP_4) | instskip(SKIP_1) | instid1(VALU_DEP_4)
	v_and_b32_e32 v21, v21, v107
	v_add_lshl_u32 v107, v20, v82, 2
	v_xor_b32_e32 v20, s16, v27
	s_delay_alu instid0(VALU_DEP_3) | instskip(SKIP_3) | instid1(VALU_DEP_1)
	v_and_b32_e32 v21, v21, v26
	ds_load_b32 v105, v107 offset:1056
	v_add_nc_u32_e32 v108, 0x420, v107
	; wave barrier
	v_and_b32_e32 v20, v21, v20
	v_mbcnt_lo_u32_b32 v106, v20, 0
	v_cmp_ne_u32_e64 s16, 0, v20
	s_delay_alu instid0(VALU_DEP_2) | instskip(NEXT) | instid1(VALU_DEP_2)
	v_cmp_eq_u32_e32 vcc_lo, 0, v106
	s_and_b32 s17, s16, vcc_lo
	s_delay_alu instid0(SALU_CYCLE_1)
	s_and_saveexec_b32 s16, s17
	s_cbranch_execz .LBB401_422
; %bb.421:                              ;   in Loop: Header=BB401_400 Depth=2
	s_waitcnt lgkmcnt(0)
	v_bcnt_u32_b32 v20, v20, v105
	ds_store_b32 v108, v20
.LBB401_422:                            ;   in Loop: Header=BB401_400 Depth=2
	s_or_b32 exec_lo, exec_lo, s16
	v_xor_b32_e32 v107, 0xffffff80, v25
	; wave barrier
	s_delay_alu instid0(VALU_DEP_1) | instskip(NEXT) | instid1(VALU_DEP_1)
	v_and_b32_e32 v20, 0xff, v107
	v_lshrrev_b32_e32 v20, s49, v20
	s_delay_alu instid0(VALU_DEP_1) | instskip(NEXT) | instid1(VALU_DEP_1)
	v_and_b32_e32 v20, s31, v20
	v_and_b32_e32 v21, 1, v20
	v_lshlrev_b32_e32 v25, 30, v20
	v_lshlrev_b32_e32 v26, 29, v20
	;; [unrolled: 1-line block ×4, first 2 shown]
	v_add_co_u32 v21, s16, v21, -1
	s_delay_alu instid0(VALU_DEP_1)
	v_cndmask_b32_e64 v109, 0, 1, s16
	v_not_b32_e32 v113, v25
	v_cmp_gt_i32_e64 s16, 0, v25
	v_not_b32_e32 v25, v26
	v_lshlrev_b32_e32 v111, 26, v20
	v_cmp_ne_u32_e32 vcc_lo, 0, v109
	v_ashrrev_i32_e32 v113, 31, v113
	v_lshlrev_b32_e32 v112, 25, v20
	v_ashrrev_i32_e32 v25, 31, v25
	v_lshlrev_b32_e32 v109, 24, v20
	v_xor_b32_e32 v21, vcc_lo, v21
	v_cmp_gt_i32_e32 vcc_lo, 0, v26
	v_not_b32_e32 v26, v27
	v_xor_b32_e32 v113, s16, v113
	v_cmp_gt_i32_e64 s16, 0, v27
	v_and_b32_e32 v21, exec_lo, v21
	v_not_b32_e32 v27, v110
	v_ashrrev_i32_e32 v26, 31, v26
	v_xor_b32_e32 v25, vcc_lo, v25
	v_cmp_gt_i32_e32 vcc_lo, 0, v110
	v_and_b32_e32 v21, v21, v113
	v_not_b32_e32 v110, v111
	v_ashrrev_i32_e32 v27, 31, v27
	v_xor_b32_e32 v26, s16, v26
	v_cmp_gt_i32_e64 s16, 0, v111
	v_and_b32_e32 v21, v21, v25
	v_not_b32_e32 v25, v112
	v_ashrrev_i32_e32 v110, 31, v110
	v_xor_b32_e32 v27, vcc_lo, v27
	v_cmp_gt_i32_e32 vcc_lo, 0, v112
	v_and_b32_e32 v21, v21, v26
	v_not_b32_e32 v26, v109
	v_ashrrev_i32_e32 v25, 31, v25
	v_xor_b32_e32 v110, s16, v110
	v_mul_u32_u24_e32 v20, 9, v20
	v_and_b32_e32 v21, v21, v27
	v_cmp_gt_i32_e64 s16, 0, v109
	v_ashrrev_i32_e32 v26, 31, v26
	v_xor_b32_e32 v25, vcc_lo, v25
	v_add_lshl_u32 v27, v20, v82, 2
	v_and_b32_e32 v21, v21, v110
	s_delay_alu instid0(VALU_DEP_4) | instskip(SKIP_3) | instid1(VALU_DEP_2)
	v_xor_b32_e32 v20, s16, v26
	ds_load_b32 v109, v27 offset:1056
	v_and_b32_e32 v21, v21, v25
	v_add_nc_u32_e32 v112, 0x420, v27
	; wave barrier
	v_and_b32_e32 v20, v21, v20
	s_delay_alu instid0(VALU_DEP_1) | instskip(SKIP_1) | instid1(VALU_DEP_2)
	v_mbcnt_lo_u32_b32 v110, v20, 0
	v_cmp_ne_u32_e64 s16, 0, v20
	v_cmp_eq_u32_e32 vcc_lo, 0, v110
	s_delay_alu instid0(VALU_DEP_2) | instskip(NEXT) | instid1(SALU_CYCLE_1)
	s_and_b32 s17, s16, vcc_lo
	s_and_saveexec_b32 s16, s17
	s_cbranch_execz .LBB401_424
; %bb.423:                              ;   in Loop: Header=BB401_400 Depth=2
	s_waitcnt lgkmcnt(0)
	v_bcnt_u32_b32 v20, v20, v109
	ds_store_b32 v112, v20
.LBB401_424:                            ;   in Loop: Header=BB401_400 Depth=2
	s_or_b32 exec_lo, exec_lo, s16
	v_xor_b32_e32 v111, 0xffffff80, v24
	; wave barrier
	s_delay_alu instid0(VALU_DEP_1) | instskip(NEXT) | instid1(VALU_DEP_1)
	v_and_b32_e32 v20, 0xff, v111
	v_lshrrev_b32_e32 v20, s49, v20
	s_delay_alu instid0(VALU_DEP_1) | instskip(NEXT) | instid1(VALU_DEP_1)
	v_and_b32_e32 v20, s31, v20
	v_and_b32_e32 v21, 1, v20
	v_lshlrev_b32_e32 v24, 30, v20
	v_lshlrev_b32_e32 v25, 29, v20
	;; [unrolled: 1-line block ×4, first 2 shown]
	v_add_co_u32 v21, s16, v21, -1
	s_delay_alu instid0(VALU_DEP_1)
	v_cndmask_b32_e64 v27, 0, 1, s16
	v_not_b32_e32 v116, v24
	v_cmp_gt_i32_e64 s16, 0, v24
	v_not_b32_e32 v24, v25
	v_lshlrev_b32_e32 v114, 26, v20
	v_cmp_ne_u32_e32 vcc_lo, 0, v27
	v_ashrrev_i32_e32 v116, 31, v116
	v_lshlrev_b32_e32 v115, 25, v20
	v_ashrrev_i32_e32 v24, 31, v24
	v_lshlrev_b32_e32 v27, 24, v20
	v_xor_b32_e32 v21, vcc_lo, v21
	v_cmp_gt_i32_e32 vcc_lo, 0, v25
	v_not_b32_e32 v25, v26
	v_xor_b32_e32 v116, s16, v116
	v_cmp_gt_i32_e64 s16, 0, v26
	v_and_b32_e32 v21, exec_lo, v21
	v_not_b32_e32 v26, v113
	v_ashrrev_i32_e32 v25, 31, v25
	v_xor_b32_e32 v24, vcc_lo, v24
	v_cmp_gt_i32_e32 vcc_lo, 0, v113
	v_and_b32_e32 v21, v21, v116
	v_not_b32_e32 v113, v114
	v_ashrrev_i32_e32 v26, 31, v26
	v_xor_b32_e32 v25, s16, v25
	v_cmp_gt_i32_e64 s16, 0, v114
	v_and_b32_e32 v21, v21, v24
	v_not_b32_e32 v24, v115
	v_ashrrev_i32_e32 v113, 31, v113
	v_xor_b32_e32 v26, vcc_lo, v26
	v_cmp_gt_i32_e32 vcc_lo, 0, v115
	v_and_b32_e32 v21, v21, v25
	v_not_b32_e32 v25, v27
	v_ashrrev_i32_e32 v24, 31, v24
	v_xor_b32_e32 v113, s16, v113
	v_mul_u32_u24_e32 v20, 9, v20
	v_and_b32_e32 v21, v21, v26
	v_cmp_gt_i32_e64 s16, 0, v27
	v_ashrrev_i32_e32 v25, 31, v25
	v_xor_b32_e32 v24, vcc_lo, v24
	v_add_lshl_u32 v26, v20, v82, 2
	v_and_b32_e32 v21, v21, v113
	s_delay_alu instid0(VALU_DEP_4) | instskip(SKIP_3) | instid1(VALU_DEP_2)
	v_xor_b32_e32 v20, s16, v25
	ds_load_b32 v113, v26 offset:1056
	v_and_b32_e32 v21, v21, v24
	v_add_nc_u32_e32 v116, 0x420, v26
	; wave barrier
	v_and_b32_e32 v20, v21, v20
	s_delay_alu instid0(VALU_DEP_1) | instskip(SKIP_1) | instid1(VALU_DEP_2)
	v_mbcnt_lo_u32_b32 v114, v20, 0
	v_cmp_ne_u32_e64 s16, 0, v20
	v_cmp_eq_u32_e32 vcc_lo, 0, v114
	s_delay_alu instid0(VALU_DEP_2) | instskip(NEXT) | instid1(SALU_CYCLE_1)
	s_and_b32 s17, s16, vcc_lo
	s_and_saveexec_b32 s16, s17
	s_cbranch_execz .LBB401_426
; %bb.425:                              ;   in Loop: Header=BB401_400 Depth=2
	s_waitcnt lgkmcnt(0)
	v_bcnt_u32_b32 v20, v20, v113
	ds_store_b32 v116, v20
.LBB401_426:                            ;   in Loop: Header=BB401_400 Depth=2
	s_or_b32 exec_lo, exec_lo, s16
	v_xor_b32_e32 v115, 0xffffff80, v23
	; wave barrier
	s_delay_alu instid0(VALU_DEP_1) | instskip(NEXT) | instid1(VALU_DEP_1)
	v_and_b32_e32 v20, 0xff, v115
	v_lshrrev_b32_e32 v20, s49, v20
	s_delay_alu instid0(VALU_DEP_1) | instskip(NEXT) | instid1(VALU_DEP_1)
	v_and_b32_e32 v20, s31, v20
	v_and_b32_e32 v21, 1, v20
	v_lshlrev_b32_e32 v23, 30, v20
	v_lshlrev_b32_e32 v24, 29, v20
	;; [unrolled: 1-line block ×4, first 2 shown]
	v_add_co_u32 v21, s16, v21, -1
	s_delay_alu instid0(VALU_DEP_1)
	v_cndmask_b32_e64 v26, 0, 1, s16
	v_not_b32_e32 v119, v23
	v_cmp_gt_i32_e64 s16, 0, v23
	v_not_b32_e32 v23, v24
	v_lshlrev_b32_e32 v117, 26, v20
	v_cmp_ne_u32_e32 vcc_lo, 0, v26
	v_ashrrev_i32_e32 v119, 31, v119
	v_lshlrev_b32_e32 v118, 25, v20
	v_ashrrev_i32_e32 v23, 31, v23
	v_lshlrev_b32_e32 v26, 24, v20
	v_xor_b32_e32 v21, vcc_lo, v21
	v_cmp_gt_i32_e32 vcc_lo, 0, v24
	v_not_b32_e32 v24, v25
	v_xor_b32_e32 v119, s16, v119
	v_cmp_gt_i32_e64 s16, 0, v25
	v_and_b32_e32 v21, exec_lo, v21
	v_not_b32_e32 v25, v27
	v_ashrrev_i32_e32 v24, 31, v24
	v_xor_b32_e32 v23, vcc_lo, v23
	v_cmp_gt_i32_e32 vcc_lo, 0, v27
	v_and_b32_e32 v21, v21, v119
	v_not_b32_e32 v27, v117
	v_ashrrev_i32_e32 v25, 31, v25
	v_xor_b32_e32 v24, s16, v24
	v_cmp_gt_i32_e64 s16, 0, v117
	v_and_b32_e32 v21, v21, v23
	v_not_b32_e32 v23, v118
	v_ashrrev_i32_e32 v27, 31, v27
	v_xor_b32_e32 v25, vcc_lo, v25
	v_cmp_gt_i32_e32 vcc_lo, 0, v118
	v_and_b32_e32 v21, v21, v24
	v_not_b32_e32 v24, v26
	v_ashrrev_i32_e32 v23, 31, v23
	v_xor_b32_e32 v27, s16, v27
	v_mul_u32_u24_e32 v20, 9, v20
	v_and_b32_e32 v21, v21, v25
	v_cmp_gt_i32_e64 s16, 0, v26
	v_ashrrev_i32_e32 v24, 31, v24
	v_xor_b32_e32 v23, vcc_lo, v23
	v_add_lshl_u32 v25, v20, v82, 2
	v_and_b32_e32 v21, v21, v27
	s_delay_alu instid0(VALU_DEP_4) | instskip(SKIP_3) | instid1(VALU_DEP_2)
	v_xor_b32_e32 v20, s16, v24
	ds_load_b32 v117, v25 offset:1056
	v_and_b32_e32 v21, v21, v23
	v_add_nc_u32_e32 v120, 0x420, v25
	; wave barrier
	v_and_b32_e32 v20, v21, v20
	s_delay_alu instid0(VALU_DEP_1) | instskip(SKIP_1) | instid1(VALU_DEP_2)
	v_mbcnt_lo_u32_b32 v118, v20, 0
	v_cmp_ne_u32_e64 s16, 0, v20
	v_cmp_eq_u32_e32 vcc_lo, 0, v118
	s_delay_alu instid0(VALU_DEP_2) | instskip(NEXT) | instid1(SALU_CYCLE_1)
	s_and_b32 s17, s16, vcc_lo
	s_and_saveexec_b32 s16, s17
	s_cbranch_execz .LBB401_428
; %bb.427:                              ;   in Loop: Header=BB401_400 Depth=2
	s_waitcnt lgkmcnt(0)
	v_bcnt_u32_b32 v20, v20, v117
	ds_store_b32 v120, v20
.LBB401_428:                            ;   in Loop: Header=BB401_400 Depth=2
	s_or_b32 exec_lo, exec_lo, s16
	v_xor_b32_e32 v119, 0xffffff80, v22
	; wave barrier
	s_delay_alu instid0(VALU_DEP_1) | instskip(NEXT) | instid1(VALU_DEP_1)
	v_and_b32_e32 v20, 0xff, v119
	v_lshrrev_b32_e32 v20, s49, v20
	s_delay_alu instid0(VALU_DEP_1) | instskip(NEXT) | instid1(VALU_DEP_1)
	v_and_b32_e32 v20, s31, v20
	v_and_b32_e32 v21, 1, v20
	v_lshlrev_b32_e32 v22, 30, v20
	v_lshlrev_b32_e32 v23, 29, v20
	;; [unrolled: 1-line block ×4, first 2 shown]
	v_add_co_u32 v21, s16, v21, -1
	s_delay_alu instid0(VALU_DEP_1)
	v_cndmask_b32_e64 v25, 0, 1, s16
	v_not_b32_e32 v122, v22
	v_cmp_gt_i32_e64 s16, 0, v22
	v_not_b32_e32 v22, v23
	v_lshlrev_b32_e32 v27, 26, v20
	v_cmp_ne_u32_e32 vcc_lo, 0, v25
	v_ashrrev_i32_e32 v122, 31, v122
	v_lshlrev_b32_e32 v121, 25, v20
	v_ashrrev_i32_e32 v22, 31, v22
	v_lshlrev_b32_e32 v25, 24, v20
	v_xor_b32_e32 v21, vcc_lo, v21
	v_cmp_gt_i32_e32 vcc_lo, 0, v23
	v_not_b32_e32 v23, v24
	v_xor_b32_e32 v122, s16, v122
	v_cmp_gt_i32_e64 s16, 0, v24
	v_and_b32_e32 v21, exec_lo, v21
	v_not_b32_e32 v24, v26
	v_ashrrev_i32_e32 v23, 31, v23
	v_xor_b32_e32 v22, vcc_lo, v22
	v_cmp_gt_i32_e32 vcc_lo, 0, v26
	v_and_b32_e32 v21, v21, v122
	v_not_b32_e32 v26, v27
	v_ashrrev_i32_e32 v24, 31, v24
	v_xor_b32_e32 v23, s16, v23
	v_cmp_gt_i32_e64 s16, 0, v27
	v_and_b32_e32 v21, v21, v22
	v_not_b32_e32 v22, v121
	v_ashrrev_i32_e32 v26, 31, v26
	v_xor_b32_e32 v24, vcc_lo, v24
	v_cmp_gt_i32_e32 vcc_lo, 0, v121
	v_and_b32_e32 v21, v21, v23
	v_not_b32_e32 v23, v25
	v_ashrrev_i32_e32 v22, 31, v22
	v_xor_b32_e32 v26, s16, v26
	v_mul_u32_u24_e32 v20, 9, v20
	v_and_b32_e32 v21, v21, v24
	v_cmp_gt_i32_e64 s16, 0, v25
	v_ashrrev_i32_e32 v23, 31, v23
	v_xor_b32_e32 v22, vcc_lo, v22
	v_add_lshl_u32 v24, v20, v82, 2
	v_and_b32_e32 v21, v21, v26
	s_delay_alu instid0(VALU_DEP_4) | instskip(SKIP_3) | instid1(VALU_DEP_2)
	v_xor_b32_e32 v20, s16, v23
	ds_load_b32 v121, v24 offset:1056
	v_and_b32_e32 v21, v21, v22
	v_add_nc_u32_e32 v123, 0x420, v24
	; wave barrier
	v_and_b32_e32 v20, v21, v20
	s_delay_alu instid0(VALU_DEP_1) | instskip(SKIP_1) | instid1(VALU_DEP_2)
	v_mbcnt_lo_u32_b32 v122, v20, 0
	v_cmp_ne_u32_e64 s16, 0, v20
	v_cmp_eq_u32_e32 vcc_lo, 0, v122
	s_delay_alu instid0(VALU_DEP_2) | instskip(NEXT) | instid1(SALU_CYCLE_1)
	s_and_b32 s17, s16, vcc_lo
	s_and_saveexec_b32 s16, s17
	s_cbranch_execz .LBB401_430
; %bb.429:                              ;   in Loop: Header=BB401_400 Depth=2
	s_waitcnt lgkmcnt(0)
	v_bcnt_u32_b32 v20, v20, v121
	ds_store_b32 v123, v20
.LBB401_430:                            ;   in Loop: Header=BB401_400 Depth=2
	s_or_b32 exec_lo, exec_lo, s16
	; wave barrier
	s_waitcnt lgkmcnt(0)
	s_barrier
	buffer_gl0_inv
	ds_load_b32 v124, v46 offset:1056
	ds_load_2addr_b32 v[26:27], v47 offset0:1 offset1:2
	ds_load_2addr_b32 v[24:25], v47 offset0:3 offset1:4
	;; [unrolled: 1-line block ×4, first 2 shown]
	s_waitcnt lgkmcnt(3)
	v_add3_u32 v125, v26, v124, v27
	s_waitcnt lgkmcnt(2)
	s_delay_alu instid0(VALU_DEP_1) | instskip(SKIP_1) | instid1(VALU_DEP_1)
	v_add3_u32 v125, v125, v24, v25
	s_waitcnt lgkmcnt(1)
	v_add3_u32 v125, v125, v20, v21
	s_waitcnt lgkmcnt(0)
	s_delay_alu instid0(VALU_DEP_1) | instskip(NEXT) | instid1(VALU_DEP_1)
	v_add3_u32 v23, v125, v22, v23
	v_mov_b32_dpp v125, v23 row_shr:1 row_mask:0xf bank_mask:0xf
	s_delay_alu instid0(VALU_DEP_1) | instskip(NEXT) | instid1(VALU_DEP_1)
	v_cndmask_b32_e64 v125, v125, 0, s0
	v_add_nc_u32_e32 v23, v125, v23
	s_delay_alu instid0(VALU_DEP_1) | instskip(NEXT) | instid1(VALU_DEP_1)
	v_mov_b32_dpp v125, v23 row_shr:2 row_mask:0xf bank_mask:0xf
	v_cndmask_b32_e64 v125, 0, v125, s1
	s_delay_alu instid0(VALU_DEP_1) | instskip(NEXT) | instid1(VALU_DEP_1)
	v_add_nc_u32_e32 v23, v23, v125
	v_mov_b32_dpp v125, v23 row_shr:4 row_mask:0xf bank_mask:0xf
	s_delay_alu instid0(VALU_DEP_1) | instskip(NEXT) | instid1(VALU_DEP_1)
	v_cndmask_b32_e64 v125, 0, v125, s8
	v_add_nc_u32_e32 v23, v23, v125
	s_delay_alu instid0(VALU_DEP_1) | instskip(NEXT) | instid1(VALU_DEP_1)
	v_mov_b32_dpp v125, v23 row_shr:8 row_mask:0xf bank_mask:0xf
	v_cndmask_b32_e64 v125, 0, v125, s9
	s_delay_alu instid0(VALU_DEP_1) | instskip(SKIP_3) | instid1(VALU_DEP_1)
	v_add_nc_u32_e32 v23, v23, v125
	ds_swizzle_b32 v125, v23 offset:swizzle(BROADCAST,32,15)
	s_waitcnt lgkmcnt(0)
	v_cndmask_b32_e64 v125, v125, 0, s10
	v_add_nc_u32_e32 v23, v23, v125
	s_and_saveexec_b32 s16, s3
	s_cbranch_execz .LBB401_432
; %bb.431:                              ;   in Loop: Header=BB401_400 Depth=2
	ds_store_b32 v38, v23 offset:1024
.LBB401_432:                            ;   in Loop: Header=BB401_400 Depth=2
	s_or_b32 exec_lo, exec_lo, s16
	s_waitcnt lgkmcnt(0)
	s_barrier
	buffer_gl0_inv
	s_and_saveexec_b32 s16, s4
	s_cbranch_execz .LBB401_434
; %bb.433:                              ;   in Loop: Header=BB401_400 Depth=2
	v_add_nc_u32_e32 v125, v46, v48
	ds_load_b32 v126, v125 offset:1024
	s_waitcnt lgkmcnt(0)
	v_mov_b32_dpp v127, v126 row_shr:1 row_mask:0xf bank_mask:0xf
	s_delay_alu instid0(VALU_DEP_1) | instskip(NEXT) | instid1(VALU_DEP_1)
	v_cndmask_b32_e64 v127, v127, 0, s12
	v_add_nc_u32_e32 v126, v127, v126
	s_delay_alu instid0(VALU_DEP_1) | instskip(NEXT) | instid1(VALU_DEP_1)
	v_mov_b32_dpp v127, v126 row_shr:2 row_mask:0xf bank_mask:0xf
	v_cndmask_b32_e64 v127, 0, v127, s13
	s_delay_alu instid0(VALU_DEP_1) | instskip(NEXT) | instid1(VALU_DEP_1)
	v_add_nc_u32_e32 v126, v126, v127
	v_mov_b32_dpp v127, v126 row_shr:4 row_mask:0xf bank_mask:0xf
	s_delay_alu instid0(VALU_DEP_1) | instskip(NEXT) | instid1(VALU_DEP_1)
	v_cndmask_b32_e64 v127, 0, v127, s14
	v_add_nc_u32_e32 v126, v126, v127
	ds_store_b32 v125, v126 offset:1024
.LBB401_434:                            ;   in Loop: Header=BB401_400 Depth=2
	s_or_b32 exec_lo, exec_lo, s16
	v_mov_b32_e32 v125, 0
	s_waitcnt lgkmcnt(0)
	s_barrier
	buffer_gl0_inv
	s_and_saveexec_b32 s16, s5
	s_cbranch_execz .LBB401_436
; %bb.435:                              ;   in Loop: Header=BB401_400 Depth=2
	ds_load_b32 v125, v38 offset:1020
.LBB401_436:                            ;   in Loop: Header=BB401_400 Depth=2
	s_or_b32 exec_lo, exec_lo, s16
	s_waitcnt lgkmcnt(0)
	v_add_nc_u32_e32 v23, v125, v23
	ds_bpermute_b32 v23, v69, v23
	s_waitcnt lgkmcnt(0)
	v_cndmask_b32_e64 v23, v23, v125, s11
	s_delay_alu instid0(VALU_DEP_1) | instskip(NEXT) | instid1(VALU_DEP_1)
	v_cndmask_b32_e64 v23, v23, 0, s6
	v_add_nc_u32_e32 v124, v23, v124
	s_delay_alu instid0(VALU_DEP_1) | instskip(NEXT) | instid1(VALU_DEP_1)
	v_add_nc_u32_e32 v26, v124, v26
	v_add_nc_u32_e32 v27, v26, v27
	s_delay_alu instid0(VALU_DEP_1) | instskip(NEXT) | instid1(VALU_DEP_1)
	v_add_nc_u32_e32 v24, v27, v24
	v_add_nc_u32_e32 v25, v24, v25
	s_delay_alu instid0(VALU_DEP_1) | instskip(NEXT) | instid1(VALU_DEP_1)
	v_add_nc_u32_e32 v20, v25, v20
	v_add_nc_u32_e32 v21, v20, v21
	s_delay_alu instid0(VALU_DEP_1)
	v_add_nc_u32_e32 v22, v21, v22
	ds_store_b32 v46, v23 offset:1056
	ds_store_2addr_b32 v47, v124, v26 offset0:1 offset1:2
	ds_store_2addr_b32 v47, v27, v24 offset0:3 offset1:4
	;; [unrolled: 1-line block ×4, first 2 shown]
	v_mov_b32_e32 v22, 0x800
	s_waitcnt lgkmcnt(0)
	s_barrier
	buffer_gl0_inv
	ds_load_b32 v20, v100
	ds_load_b32 v21, v104
	;; [unrolled: 1-line block ×8, first 2 shown]
	ds_load_b32 v27, v46 offset:1056
	s_and_saveexec_b32 s16, s7
	s_cbranch_execz .LBB401_438
; %bb.437:                              ;   in Loop: Header=BB401_400 Depth=2
	ds_load_b32 v22, v49 offset:1056
.LBB401_438:                            ;   in Loop: Header=BB401_400 Depth=2
	s_or_b32 exec_lo, exec_lo, s16
	s_waitcnt lgkmcnt(0)
	s_barrier
	buffer_gl0_inv
	s_and_saveexec_b32 s16, s2
	s_cbranch_execz .LBB401_440
; %bb.439:                              ;   in Loop: Header=BB401_400 Depth=2
	ds_load_b32 v96, v28
	s_waitcnt lgkmcnt(0)
	v_sub_nc_u32_e32 v27, v96, v27
	ds_store_b32 v28, v27
.LBB401_440:                            ;   in Loop: Header=BB401_400 Depth=2
	s_or_b32 exec_lo, exec_lo, s16
	v_add_nc_u32_e32 v100, v26, v94
	v_add3_u32 v96, v98, v97, v20
	v_add3_u32 v94, v102, v101, v21
	;; [unrolled: 1-line block ×7, first 2 shown]
	v_cmp_lt_u32_e64 s21, v1, v2
	ds_store_b8 v100, v93 offset:1024
	ds_store_b8 v96, v95 offset:1024
	;; [unrolled: 1-line block ×8, first 2 shown]
	s_waitcnt lgkmcnt(0)
	s_barrier
	buffer_gl0_inv
	s_and_saveexec_b32 s16, s21
	s_cbranch_execz .LBB401_448
; %bb.441:                              ;   in Loop: Header=BB401_400 Depth=2
	ds_load_u8 v20, v1 offset:1024
	s_waitcnt lgkmcnt(0)
	v_and_b32_e32 v21, 0xff, v20
	v_xor_b32_e32 v20, 0x80, v20
	s_delay_alu instid0(VALU_DEP_2) | instskip(NEXT) | instid1(VALU_DEP_1)
	v_lshrrev_b32_e32 v21, s49, v21
	v_and_b32_e32 v21, s31, v21
	s_delay_alu instid0(VALU_DEP_1)
	v_lshlrev_b32_e32 v21, 2, v21
	ds_load_b32 v21, v21
	s_waitcnt lgkmcnt(0)
	v_add_nc_u32_e32 v21, v21, v1
	global_store_b8 v21, v20, s[38:39]
	s_or_b32 exec_lo, exec_lo, s16
	v_cmp_lt_u32_e64 s22, v29, v2
	s_delay_alu instid0(VALU_DEP_1)
	s_and_saveexec_b32 s16, s22
	s_cbranch_execnz .LBB401_449
.LBB401_442:                            ;   in Loop: Header=BB401_400 Depth=2
	s_or_b32 exec_lo, exec_lo, s16
	v_cmp_lt_u32_e64 s20, v30, v2
	s_delay_alu instid0(VALU_DEP_1)
	s_and_saveexec_b32 s16, s20
	s_cbranch_execz .LBB401_450
.LBB401_443:                            ;   in Loop: Header=BB401_400 Depth=2
	ds_load_u8 v20, v35 offset:512
	s_waitcnt lgkmcnt(0)
	v_and_b32_e32 v21, 0xff, v20
	v_xor_b32_e32 v20, 0x80, v20
	s_delay_alu instid0(VALU_DEP_2) | instskip(NEXT) | instid1(VALU_DEP_1)
	v_lshrrev_b32_e32 v21, s49, v21
	v_and_b32_e32 v21, s31, v21
	s_delay_alu instid0(VALU_DEP_1)
	v_lshlrev_b32_e32 v21, 2, v21
	ds_load_b32 v21, v21
	s_waitcnt lgkmcnt(0)
	v_add_nc_u32_e32 v21, v21, v30
	global_store_b8 v21, v20, s[38:39]
	s_or_b32 exec_lo, exec_lo, s16
	v_cmp_lt_u32_e64 s19, v31, v2
	s_delay_alu instid0(VALU_DEP_1)
	s_and_saveexec_b32 s16, s19
	s_cbranch_execnz .LBB401_451
.LBB401_444:                            ;   in Loop: Header=BB401_400 Depth=2
	s_or_b32 exec_lo, exec_lo, s16
	v_cmp_lt_u32_e64 s18, v35, v2
	s_delay_alu instid0(VALU_DEP_1)
	s_and_saveexec_b32 s16, s18
	s_cbranch_execz .LBB401_452
.LBB401_445:                            ;   in Loop: Header=BB401_400 Depth=2
	ds_load_u8 v20, v35 offset:1024
	s_waitcnt lgkmcnt(0)
	v_and_b32_e32 v21, 0xff, v20
	v_xor_b32_e32 v20, 0x80, v20
	s_delay_alu instid0(VALU_DEP_2) | instskip(NEXT) | instid1(VALU_DEP_1)
	v_lshrrev_b32_e32 v21, s49, v21
	v_and_b32_e32 v21, s31, v21
	s_delay_alu instid0(VALU_DEP_1)
	v_lshlrev_b32_e32 v21, 2, v21
	ds_load_b32 v21, v21
	s_waitcnt lgkmcnt(0)
	v_add_nc_u32_e32 v21, v21, v35
	global_store_b8 v21, v20, s[38:39]
	s_or_b32 exec_lo, exec_lo, s16
	v_cmp_lt_u32_e64 s17, v36, v2
	s_delay_alu instid0(VALU_DEP_1)
	s_and_saveexec_b32 s16, s17
	s_cbranch_execnz .LBB401_453
.LBB401_446:                            ;   in Loop: Header=BB401_400 Depth=2
	s_or_b32 exec_lo, exec_lo, s16
	v_cmp_lt_u32_e64 s16, v37, v2
	s_delay_alu instid0(VALU_DEP_1)
	s_and_saveexec_b32 s23, s16
	s_cbranch_execz .LBB401_454
.LBB401_447:                            ;   in Loop: Header=BB401_400 Depth=2
	ds_load_u8 v20, v35 offset:1536
	s_waitcnt lgkmcnt(0)
	v_and_b32_e32 v21, 0xff, v20
	v_xor_b32_e32 v20, 0x80, v20
	s_delay_alu instid0(VALU_DEP_2) | instskip(NEXT) | instid1(VALU_DEP_1)
	v_lshrrev_b32_e32 v21, s49, v21
	v_and_b32_e32 v21, s31, v21
	s_delay_alu instid0(VALU_DEP_1)
	v_lshlrev_b32_e32 v21, 2, v21
	ds_load_b32 v21, v21
	s_waitcnt lgkmcnt(0)
	v_add_nc_u32_e32 v21, v21, v37
	global_store_b8 v21, v20, s[38:39]
	s_or_b32 exec_lo, exec_lo, s23
	v_cmp_lt_u32_e32 vcc_lo, v39, v2
	s_and_saveexec_b32 s23, vcc_lo
	s_cbranch_execnz .LBB401_455
	s_branch .LBB401_456
.LBB401_448:                            ;   in Loop: Header=BB401_400 Depth=2
	s_or_b32 exec_lo, exec_lo, s16
	v_cmp_lt_u32_e64 s22, v29, v2
	s_delay_alu instid0(VALU_DEP_1)
	s_and_saveexec_b32 s16, s22
	s_cbranch_execz .LBB401_442
.LBB401_449:                            ;   in Loop: Header=BB401_400 Depth=2
	ds_load_u8 v20, v35 offset:256
	s_waitcnt lgkmcnt(0)
	v_and_b32_e32 v21, 0xff, v20
	v_xor_b32_e32 v20, 0x80, v20
	s_delay_alu instid0(VALU_DEP_2) | instskip(NEXT) | instid1(VALU_DEP_1)
	v_lshrrev_b32_e32 v21, s49, v21
	v_and_b32_e32 v21, s31, v21
	s_delay_alu instid0(VALU_DEP_1)
	v_lshlrev_b32_e32 v21, 2, v21
	ds_load_b32 v21, v21
	s_waitcnt lgkmcnt(0)
	v_add_nc_u32_e32 v21, v21, v29
	global_store_b8 v21, v20, s[38:39]
	s_or_b32 exec_lo, exec_lo, s16
	v_cmp_lt_u32_e64 s20, v30, v2
	s_delay_alu instid0(VALU_DEP_1)
	s_and_saveexec_b32 s16, s20
	s_cbranch_execnz .LBB401_443
.LBB401_450:                            ;   in Loop: Header=BB401_400 Depth=2
	s_or_b32 exec_lo, exec_lo, s16
	v_cmp_lt_u32_e64 s19, v31, v2
	s_delay_alu instid0(VALU_DEP_1)
	s_and_saveexec_b32 s16, s19
	s_cbranch_execz .LBB401_444
.LBB401_451:                            ;   in Loop: Header=BB401_400 Depth=2
	ds_load_u8 v20, v35 offset:768
	s_waitcnt lgkmcnt(0)
	v_and_b32_e32 v21, 0xff, v20
	v_xor_b32_e32 v20, 0x80, v20
	s_delay_alu instid0(VALU_DEP_2) | instskip(NEXT) | instid1(VALU_DEP_1)
	v_lshrrev_b32_e32 v21, s49, v21
	v_and_b32_e32 v21, s31, v21
	s_delay_alu instid0(VALU_DEP_1)
	v_lshlrev_b32_e32 v21, 2, v21
	ds_load_b32 v21, v21
	s_waitcnt lgkmcnt(0)
	v_add_nc_u32_e32 v21, v21, v31
	global_store_b8 v21, v20, s[38:39]
	s_or_b32 exec_lo, exec_lo, s16
	v_cmp_lt_u32_e64 s18, v35, v2
	s_delay_alu instid0(VALU_DEP_1)
	s_and_saveexec_b32 s16, s18
	s_cbranch_execnz .LBB401_445
.LBB401_452:                            ;   in Loop: Header=BB401_400 Depth=2
	s_or_b32 exec_lo, exec_lo, s16
	v_cmp_lt_u32_e64 s17, v36, v2
	s_delay_alu instid0(VALU_DEP_1)
	s_and_saveexec_b32 s16, s17
	s_cbranch_execz .LBB401_446
.LBB401_453:                            ;   in Loop: Header=BB401_400 Depth=2
	ds_load_u8 v20, v35 offset:1280
	s_waitcnt lgkmcnt(0)
	v_and_b32_e32 v21, 0xff, v20
	v_xor_b32_e32 v20, 0x80, v20
	s_delay_alu instid0(VALU_DEP_2) | instskip(NEXT) | instid1(VALU_DEP_1)
	v_lshrrev_b32_e32 v21, s49, v21
	v_and_b32_e32 v21, s31, v21
	s_delay_alu instid0(VALU_DEP_1)
	v_lshlrev_b32_e32 v21, 2, v21
	ds_load_b32 v21, v21
	s_waitcnt lgkmcnt(0)
	v_add_nc_u32_e32 v21, v21, v36
	global_store_b8 v21, v20, s[38:39]
	s_or_b32 exec_lo, exec_lo, s16
	v_cmp_lt_u32_e64 s16, v37, v2
	s_delay_alu instid0(VALU_DEP_1)
	s_and_saveexec_b32 s23, s16
	s_cbranch_execnz .LBB401_447
.LBB401_454:                            ;   in Loop: Header=BB401_400 Depth=2
	s_or_b32 exec_lo, exec_lo, s23
	v_cmp_lt_u32_e32 vcc_lo, v39, v2
	s_and_saveexec_b32 s23, vcc_lo
	s_cbranch_execz .LBB401_456
.LBB401_455:                            ;   in Loop: Header=BB401_400 Depth=2
	ds_load_u8 v20, v35 offset:1792
	s_waitcnt lgkmcnt(0)
	v_and_b32_e32 v21, 0xff, v20
	v_xor_b32_e32 v20, 0x80, v20
	s_delay_alu instid0(VALU_DEP_2) | instskip(NEXT) | instid1(VALU_DEP_1)
	v_lshrrev_b32_e32 v21, s49, v21
	v_and_b32_e32 v21, s31, v21
	s_delay_alu instid0(VALU_DEP_1)
	v_lshlrev_b32_e32 v21, 2, v21
	ds_load_b32 v21, v21
	s_waitcnt lgkmcnt(0)
	v_add_nc_u32_e32 v21, v21, v39
	global_store_b8 v21, v20, s[38:39]
.LBB401_456:                            ;   in Loop: Header=BB401_400 Depth=2
	s_or_b32 exec_lo, exec_lo, s23
	s_lshl_b64 s[52:53], s[24:25], 3
	s_delay_alu instid0(SALU_CYCLE_1) | instskip(NEXT) | instid1(VALU_DEP_1)
	v_add_co_u32 v20, s23, v73, s52
	v_add_co_ci_u32_e64 v21, s23, s53, v74, s23
	v_cmp_lt_u32_e64 s23, v70, v2
	s_delay_alu instid0(VALU_DEP_1) | instskip(NEXT) | instid1(SALU_CYCLE_1)
	s_and_saveexec_b32 s24, s23
	s_xor_b32 s23, exec_lo, s24
	s_cbranch_execz .LBB401_472
; %bb.457:                              ;   in Loop: Header=BB401_400 Depth=2
	global_load_b64 v[18:19], v[20:21], off
	s_or_b32 exec_lo, exec_lo, s23
	s_delay_alu instid0(SALU_CYCLE_1)
	s_mov_b32 s24, exec_lo
	v_cmpx_lt_u32_e64 v75, v2
	s_cbranch_execnz .LBB401_473
.LBB401_458:                            ;   in Loop: Header=BB401_400 Depth=2
	s_or_b32 exec_lo, exec_lo, s24
	s_delay_alu instid0(SALU_CYCLE_1)
	s_mov_b32 s24, exec_lo
	v_cmpx_lt_u32_e64 v76, v2
	s_cbranch_execz .LBB401_474
.LBB401_459:                            ;   in Loop: Header=BB401_400 Depth=2
	global_load_b64 v[14:15], v[20:21], off offset:512
	s_or_b32 exec_lo, exec_lo, s24
	s_delay_alu instid0(SALU_CYCLE_1)
	s_mov_b32 s24, exec_lo
	v_cmpx_lt_u32_e64 v77, v2
	s_cbranch_execnz .LBB401_475
.LBB401_460:                            ;   in Loop: Header=BB401_400 Depth=2
	s_or_b32 exec_lo, exec_lo, s24
	s_delay_alu instid0(SALU_CYCLE_1)
	s_mov_b32 s24, exec_lo
	v_cmpx_lt_u32_e64 v78, v2
	s_cbranch_execz .LBB401_476
.LBB401_461:                            ;   in Loop: Header=BB401_400 Depth=2
	global_load_b64 v[10:11], v[20:21], off offset:1024
	s_or_b32 exec_lo, exec_lo, s24
	s_delay_alu instid0(SALU_CYCLE_1)
	s_mov_b32 s24, exec_lo
	v_cmpx_lt_u32_e64 v79, v2
	s_cbranch_execnz .LBB401_477
.LBB401_462:                            ;   in Loop: Header=BB401_400 Depth=2
	s_or_b32 exec_lo, exec_lo, s24
	s_delay_alu instid0(SALU_CYCLE_1)
	s_mov_b32 s24, exec_lo
	v_cmpx_lt_u32_e64 v80, v2
	s_cbranch_execz .LBB401_478
.LBB401_463:                            ;   in Loop: Header=BB401_400 Depth=2
	global_load_b64 v[6:7], v[20:21], off offset:1536
	s_or_b32 exec_lo, exec_lo, s24
	s_delay_alu instid0(SALU_CYCLE_1)
	s_mov_b32 s24, exec_lo
	v_cmpx_lt_u32_e64 v81, v2
	s_cbranch_execnz .LBB401_479
.LBB401_464:                            ;   in Loop: Header=BB401_400 Depth=2
	s_or_b32 exec_lo, exec_lo, s24
	s_and_saveexec_b32 s23, s21
	s_cbranch_execz .LBB401_480
.LBB401_465:                            ;   in Loop: Header=BB401_400 Depth=2
	ds_load_u8 v2, v1 offset:1024
	s_waitcnt lgkmcnt(0)
	v_lshrrev_b32_e32 v2, s49, v2
	s_delay_alu instid0(VALU_DEP_1)
	v_and_b32_e32 v92, s31, v2
	s_or_b32 exec_lo, exec_lo, s23
	s_and_saveexec_b32 s23, s22
	s_cbranch_execnz .LBB401_481
.LBB401_466:                            ;   in Loop: Header=BB401_400 Depth=2
	s_or_b32 exec_lo, exec_lo, s23
	s_and_saveexec_b32 s23, s20
	s_cbranch_execz .LBB401_482
.LBB401_467:                            ;   in Loop: Header=BB401_400 Depth=2
	ds_load_u8 v2, v35 offset:512
	s_waitcnt lgkmcnt(0)
	v_lshrrev_b32_e32 v2, s49, v2
	s_delay_alu instid0(VALU_DEP_1)
	v_and_b32_e32 v90, s31, v2
	s_or_b32 exec_lo, exec_lo, s23
	s_and_saveexec_b32 s23, s19
	s_cbranch_execnz .LBB401_483
.LBB401_468:                            ;   in Loop: Header=BB401_400 Depth=2
	s_or_b32 exec_lo, exec_lo, s23
	s_and_saveexec_b32 s23, s18
	s_cbranch_execz .LBB401_484
.LBB401_469:                            ;   in Loop: Header=BB401_400 Depth=2
	ds_load_u8 v2, v35 offset:1024
	s_waitcnt lgkmcnt(0)
	v_lshrrev_b32_e32 v2, s49, v2
	s_delay_alu instid0(VALU_DEP_1)
	v_and_b32_e32 v88, s31, v2
	s_or_b32 exec_lo, exec_lo, s23
	s_and_saveexec_b32 s23, s17
	s_cbranch_execnz .LBB401_485
.LBB401_470:                            ;   in Loop: Header=BB401_400 Depth=2
	s_or_b32 exec_lo, exec_lo, s23
	s_and_saveexec_b32 s23, s16
	s_cbranch_execz .LBB401_486
.LBB401_471:                            ;   in Loop: Header=BB401_400 Depth=2
	ds_load_u8 v2, v35 offset:1536
	s_waitcnt lgkmcnt(0)
	v_lshrrev_b32_e32 v2, s49, v2
	s_delay_alu instid0(VALU_DEP_1)
	v_and_b32_e32 v86, s31, v2
	s_or_b32 exec_lo, exec_lo, s23
	s_and_saveexec_b32 s23, vcc_lo
	s_cbranch_execnz .LBB401_487
	s_branch .LBB401_488
.LBB401_472:                            ;   in Loop: Header=BB401_400 Depth=2
	s_or_b32 exec_lo, exec_lo, s23
	s_delay_alu instid0(SALU_CYCLE_1)
	s_mov_b32 s24, exec_lo
	v_cmpx_lt_u32_e64 v75, v2
	s_cbranch_execz .LBB401_458
.LBB401_473:                            ;   in Loop: Header=BB401_400 Depth=2
	global_load_b64 v[16:17], v[20:21], off offset:256
	s_or_b32 exec_lo, exec_lo, s24
	s_delay_alu instid0(SALU_CYCLE_1)
	s_mov_b32 s24, exec_lo
	v_cmpx_lt_u32_e64 v76, v2
	s_cbranch_execnz .LBB401_459
.LBB401_474:                            ;   in Loop: Header=BB401_400 Depth=2
	s_or_b32 exec_lo, exec_lo, s24
	s_delay_alu instid0(SALU_CYCLE_1)
	s_mov_b32 s24, exec_lo
	v_cmpx_lt_u32_e64 v77, v2
	s_cbranch_execz .LBB401_460
.LBB401_475:                            ;   in Loop: Header=BB401_400 Depth=2
	global_load_b64 v[12:13], v[20:21], off offset:768
	s_or_b32 exec_lo, exec_lo, s24
	s_delay_alu instid0(SALU_CYCLE_1)
	s_mov_b32 s24, exec_lo
	v_cmpx_lt_u32_e64 v78, v2
	s_cbranch_execnz .LBB401_461
.LBB401_476:                            ;   in Loop: Header=BB401_400 Depth=2
	s_or_b32 exec_lo, exec_lo, s24
	s_delay_alu instid0(SALU_CYCLE_1)
	s_mov_b32 s24, exec_lo
	v_cmpx_lt_u32_e64 v79, v2
	s_cbranch_execz .LBB401_462
.LBB401_477:                            ;   in Loop: Header=BB401_400 Depth=2
	global_load_b64 v[8:9], v[20:21], off offset:1280
	s_or_b32 exec_lo, exec_lo, s24
	s_delay_alu instid0(SALU_CYCLE_1)
	s_mov_b32 s24, exec_lo
	v_cmpx_lt_u32_e64 v80, v2
	s_cbranch_execnz .LBB401_463
.LBB401_478:                            ;   in Loop: Header=BB401_400 Depth=2
	s_or_b32 exec_lo, exec_lo, s24
	s_delay_alu instid0(SALU_CYCLE_1)
	s_mov_b32 s24, exec_lo
	v_cmpx_lt_u32_e64 v81, v2
	s_cbranch_execz .LBB401_464
.LBB401_479:                            ;   in Loop: Header=BB401_400 Depth=2
	global_load_b64 v[4:5], v[20:21], off offset:1792
	s_or_b32 exec_lo, exec_lo, s24
	s_and_saveexec_b32 s23, s21
	s_cbranch_execnz .LBB401_465
.LBB401_480:                            ;   in Loop: Header=BB401_400 Depth=2
	s_or_b32 exec_lo, exec_lo, s23
	s_and_saveexec_b32 s23, s22
	s_cbranch_execz .LBB401_466
.LBB401_481:                            ;   in Loop: Header=BB401_400 Depth=2
	ds_load_u8 v2, v35 offset:256
	s_waitcnt lgkmcnt(0)
	v_lshrrev_b32_e32 v2, s49, v2
	s_delay_alu instid0(VALU_DEP_1)
	v_and_b32_e32 v91, s31, v2
	s_or_b32 exec_lo, exec_lo, s23
	s_and_saveexec_b32 s23, s20
	s_cbranch_execnz .LBB401_467
.LBB401_482:                            ;   in Loop: Header=BB401_400 Depth=2
	s_or_b32 exec_lo, exec_lo, s23
	s_and_saveexec_b32 s23, s19
	s_cbranch_execz .LBB401_468
.LBB401_483:                            ;   in Loop: Header=BB401_400 Depth=2
	ds_load_u8 v2, v35 offset:768
	s_waitcnt lgkmcnt(0)
	v_lshrrev_b32_e32 v2, s49, v2
	s_delay_alu instid0(VALU_DEP_1)
	v_and_b32_e32 v89, s31, v2
	s_or_b32 exec_lo, exec_lo, s23
	s_and_saveexec_b32 s23, s18
	s_cbranch_execnz .LBB401_469
.LBB401_484:                            ;   in Loop: Header=BB401_400 Depth=2
	s_or_b32 exec_lo, exec_lo, s23
	s_and_saveexec_b32 s23, s17
	s_cbranch_execz .LBB401_470
.LBB401_485:                            ;   in Loop: Header=BB401_400 Depth=2
	ds_load_u8 v2, v35 offset:1280
	s_waitcnt lgkmcnt(0)
	v_lshrrev_b32_e32 v2, s49, v2
	s_delay_alu instid0(VALU_DEP_1)
	v_and_b32_e32 v87, s31, v2
	s_or_b32 exec_lo, exec_lo, s23
	s_and_saveexec_b32 s23, s16
	s_cbranch_execnz .LBB401_471
.LBB401_486:                            ;   in Loop: Header=BB401_400 Depth=2
	s_or_b32 exec_lo, exec_lo, s23
	s_and_saveexec_b32 s23, vcc_lo
	s_cbranch_execz .LBB401_488
.LBB401_487:                            ;   in Loop: Header=BB401_400 Depth=2
	ds_load_u8 v2, v35 offset:1792
	s_waitcnt lgkmcnt(0)
	v_lshrrev_b32_e32 v2, s49, v2
	s_delay_alu instid0(VALU_DEP_1)
	v_and_b32_e32 v85, s31, v2
.LBB401_488:                            ;   in Loop: Header=BB401_400 Depth=2
	s_or_b32 exec_lo, exec_lo, s23
	v_lshlrev_b32_e32 v2, 3, v100
	v_lshlrev_b32_e32 v20, 3, v96
	;; [unrolled: 1-line block ×3, first 2 shown]
	s_waitcnt vmcnt(0)
	s_waitcnt_vscnt null, 0x0
	s_barrier
	buffer_gl0_inv
	ds_store_b64 v2, v[18:19] offset:1024
	ds_store_b64 v20, v[16:17] offset:1024
	;; [unrolled: 1-line block ×3, first 2 shown]
	v_lshlrev_b32_e32 v2, 3, v27
	v_lshlrev_b32_e32 v20, 3, v26
	;; [unrolled: 1-line block ×5, first 2 shown]
	ds_store_b64 v2, v[12:13] offset:1024
	ds_store_b64 v20, v[10:11] offset:1024
	;; [unrolled: 1-line block ×5, first 2 shown]
	s_waitcnt lgkmcnt(0)
	s_barrier
	buffer_gl0_inv
	s_and_saveexec_b32 s23, s21
	s_cbranch_execz .LBB401_496
; %bb.489:                              ;   in Loop: Header=BB401_400 Depth=2
	v_lshlrev_b32_e32 v2, 2, v92
	v_add_nc_u32_e32 v20, v1, v52
	ds_load_b32 v2, v2
	ds_load_b64 v[20:21], v20 offset:1024
	s_waitcnt lgkmcnt(1)
	v_add_nc_u32_e32 v2, v2, v1
	s_delay_alu instid0(VALU_DEP_1) | instskip(NEXT) | instid1(VALU_DEP_1)
	v_lshlrev_b64 v[23:24], 3, v[2:3]
	v_add_co_u32 v23, s21, s44, v23
	s_delay_alu instid0(VALU_DEP_1)
	v_add_co_ci_u32_e64 v24, s21, s45, v24, s21
	s_waitcnt lgkmcnt(0)
	global_store_b64 v[23:24], v[20:21], off
	s_or_b32 exec_lo, exec_lo, s23
	s_and_saveexec_b32 s23, s22
	s_cbranch_execnz .LBB401_497
.LBB401_490:                            ;   in Loop: Header=BB401_400 Depth=2
	s_or_b32 exec_lo, exec_lo, s23
	s_and_saveexec_b32 s21, s20
	s_cbranch_execz .LBB401_498
.LBB401_491:                            ;   in Loop: Header=BB401_400 Depth=2
	v_lshlrev_b32_e32 v2, 2, v90
	v_add_nc_u32_e32 v20, v35, v52
	ds_load_b32 v2, v2
	ds_load_b64 v[20:21], v20 offset:4096
	s_waitcnt lgkmcnt(1)
	v_add_nc_u32_e32 v2, v2, v30
	s_delay_alu instid0(VALU_DEP_1) | instskip(NEXT) | instid1(VALU_DEP_1)
	v_lshlrev_b64 v[23:24], 3, v[2:3]
	v_add_co_u32 v23, s20, s44, v23
	s_delay_alu instid0(VALU_DEP_1)
	v_add_co_ci_u32_e64 v24, s20, s45, v24, s20
	s_waitcnt lgkmcnt(0)
	global_store_b64 v[23:24], v[20:21], off
	s_or_b32 exec_lo, exec_lo, s21
	s_and_saveexec_b32 s20, s19
	s_cbranch_execnz .LBB401_499
.LBB401_492:                            ;   in Loop: Header=BB401_400 Depth=2
	s_or_b32 exec_lo, exec_lo, s20
	s_and_saveexec_b32 s19, s18
	s_cbranch_execz .LBB401_500
.LBB401_493:                            ;   in Loop: Header=BB401_400 Depth=2
	v_lshlrev_b32_e32 v2, 2, v88
	v_add_nc_u32_e32 v20, v35, v52
	ds_load_b32 v2, v2
	ds_load_b64 v[20:21], v20 offset:8192
	s_waitcnt lgkmcnt(1)
	v_add_nc_u32_e32 v2, v2, v35
	s_delay_alu instid0(VALU_DEP_1) | instskip(NEXT) | instid1(VALU_DEP_1)
	v_lshlrev_b64 v[23:24], 3, v[2:3]
	v_add_co_u32 v23, s18, s44, v23
	s_delay_alu instid0(VALU_DEP_1)
	v_add_co_ci_u32_e64 v24, s18, s45, v24, s18
	s_waitcnt lgkmcnt(0)
	global_store_b64 v[23:24], v[20:21], off
	s_or_b32 exec_lo, exec_lo, s19
	s_and_saveexec_b32 s18, s17
	s_cbranch_execnz .LBB401_501
.LBB401_494:                            ;   in Loop: Header=BB401_400 Depth=2
	s_or_b32 exec_lo, exec_lo, s18
	s_and_saveexec_b32 s17, s16
	s_cbranch_execz .LBB401_502
.LBB401_495:                            ;   in Loop: Header=BB401_400 Depth=2
	v_lshlrev_b32_e32 v2, 2, v86
	v_add_nc_u32_e32 v20, v35, v52
	ds_load_b32 v2, v2
	ds_load_b64 v[20:21], v20 offset:12288
	s_waitcnt lgkmcnt(1)
	v_add_nc_u32_e32 v2, v2, v37
	s_delay_alu instid0(VALU_DEP_1) | instskip(NEXT) | instid1(VALU_DEP_1)
	v_lshlrev_b64 v[23:24], 3, v[2:3]
	v_add_co_u32 v23, s16, s44, v23
	s_delay_alu instid0(VALU_DEP_1)
	v_add_co_ci_u32_e64 v24, s16, s45, v24, s16
	s_waitcnt lgkmcnt(0)
	global_store_b64 v[23:24], v[20:21], off
	s_or_b32 exec_lo, exec_lo, s17
	s_and_saveexec_b32 s16, vcc_lo
	s_cbranch_execnz .LBB401_503
	s_branch .LBB401_504
.LBB401_496:                            ;   in Loop: Header=BB401_400 Depth=2
	s_or_b32 exec_lo, exec_lo, s23
	s_and_saveexec_b32 s23, s22
	s_cbranch_execz .LBB401_490
.LBB401_497:                            ;   in Loop: Header=BB401_400 Depth=2
	v_lshlrev_b32_e32 v2, 2, v91
	v_add_nc_u32_e32 v20, v35, v52
	ds_load_b32 v2, v2
	ds_load_b64 v[20:21], v20 offset:2048
	s_waitcnt lgkmcnt(1)
	v_add_nc_u32_e32 v2, v2, v29
	s_delay_alu instid0(VALU_DEP_1) | instskip(NEXT) | instid1(VALU_DEP_1)
	v_lshlrev_b64 v[23:24], 3, v[2:3]
	v_add_co_u32 v23, s21, s44, v23
	s_delay_alu instid0(VALU_DEP_1)
	v_add_co_ci_u32_e64 v24, s21, s45, v24, s21
	s_waitcnt lgkmcnt(0)
	global_store_b64 v[23:24], v[20:21], off
	s_or_b32 exec_lo, exec_lo, s23
	s_and_saveexec_b32 s21, s20
	s_cbranch_execnz .LBB401_491
.LBB401_498:                            ;   in Loop: Header=BB401_400 Depth=2
	s_or_b32 exec_lo, exec_lo, s21
	s_and_saveexec_b32 s20, s19
	s_cbranch_execz .LBB401_492
.LBB401_499:                            ;   in Loop: Header=BB401_400 Depth=2
	v_lshlrev_b32_e32 v2, 2, v89
	v_add_nc_u32_e32 v20, v35, v52
	ds_load_b32 v2, v2
	ds_load_b64 v[20:21], v20 offset:6144
	s_waitcnt lgkmcnt(1)
	v_add_nc_u32_e32 v2, v2, v31
	s_delay_alu instid0(VALU_DEP_1) | instskip(NEXT) | instid1(VALU_DEP_1)
	v_lshlrev_b64 v[23:24], 3, v[2:3]
	v_add_co_u32 v23, s19, s44, v23
	s_delay_alu instid0(VALU_DEP_1)
	v_add_co_ci_u32_e64 v24, s19, s45, v24, s19
	s_waitcnt lgkmcnt(0)
	global_store_b64 v[23:24], v[20:21], off
	s_or_b32 exec_lo, exec_lo, s20
	s_and_saveexec_b32 s19, s18
	s_cbranch_execnz .LBB401_493
.LBB401_500:                            ;   in Loop: Header=BB401_400 Depth=2
	s_or_b32 exec_lo, exec_lo, s19
	s_and_saveexec_b32 s18, s17
	s_cbranch_execz .LBB401_494
.LBB401_501:                            ;   in Loop: Header=BB401_400 Depth=2
	v_lshlrev_b32_e32 v2, 2, v87
	v_add_nc_u32_e32 v20, v35, v52
	ds_load_b32 v2, v2
	ds_load_b64 v[20:21], v20 offset:10240
	s_waitcnt lgkmcnt(1)
	v_add_nc_u32_e32 v2, v2, v36
	s_delay_alu instid0(VALU_DEP_1) | instskip(NEXT) | instid1(VALU_DEP_1)
	v_lshlrev_b64 v[23:24], 3, v[2:3]
	v_add_co_u32 v23, s17, s44, v23
	s_delay_alu instid0(VALU_DEP_1)
	v_add_co_ci_u32_e64 v24, s17, s45, v24, s17
	s_waitcnt lgkmcnt(0)
	global_store_b64 v[23:24], v[20:21], off
	s_or_b32 exec_lo, exec_lo, s18
	s_and_saveexec_b32 s17, s16
	s_cbranch_execnz .LBB401_495
.LBB401_502:                            ;   in Loop: Header=BB401_400 Depth=2
	s_or_b32 exec_lo, exec_lo, s17
	s_and_saveexec_b32 s16, vcc_lo
	s_cbranch_execz .LBB401_504
.LBB401_503:                            ;   in Loop: Header=BB401_400 Depth=2
	v_lshlrev_b32_e32 v2, 2, v85
	v_add_nc_u32_e32 v20, v35, v52
	ds_load_b32 v2, v2
	ds_load_b64 v[20:21], v20 offset:14336
	s_waitcnt lgkmcnt(1)
	v_add_nc_u32_e32 v2, v2, v39
	s_delay_alu instid0(VALU_DEP_1) | instskip(NEXT) | instid1(VALU_DEP_1)
	v_lshlrev_b64 v[23:24], 3, v[2:3]
	v_add_co_u32 v23, vcc_lo, s44, v23
	s_delay_alu instid0(VALU_DEP_2)
	v_add_co_ci_u32_e32 v24, vcc_lo, s45, v24, vcc_lo
	s_waitcnt lgkmcnt(0)
	global_store_b64 v[23:24], v[20:21], off
.LBB401_504:                            ;   in Loop: Header=BB401_400 Depth=2
	s_or_b32 exec_lo, exec_lo, s16
	s_waitcnt_vscnt null, 0x0
	s_barrier
	buffer_gl0_inv
	s_and_saveexec_b32 s16, s2
	s_cbranch_execz .LBB401_399
; %bb.505:                              ;   in Loop: Header=BB401_400 Depth=2
	ds_load_b32 v2, v28
	s_waitcnt lgkmcnt(0)
	v_add_nc_u32_e32 v2, v2, v22
	ds_store_b32 v28, v2
	s_branch .LBB401_399
.LBB401_506:                            ;   in Loop: Header=BB401_400 Depth=2
	s_or_b32 exec_lo, exec_lo, s16
	s_delay_alu instid0(SALU_CYCLE_1)
	s_mov_b32 s16, exec_lo
	v_cmpx_gt_u32_e64 s42, v75
	s_cbranch_execz .LBB401_406
.LBB401_507:                            ;   in Loop: Header=BB401_400 Depth=2
	global_load_u8 v95, v[20:21], off offset:32
	s_or_b32 exec_lo, exec_lo, s16
	s_delay_alu instid0(SALU_CYCLE_1)
	s_mov_b32 s16, exec_lo
	v_cmpx_gt_u32_e64 s42, v76
	s_cbranch_execnz .LBB401_407
.LBB401_508:                            ;   in Loop: Header=BB401_400 Depth=2
	s_or_b32 exec_lo, exec_lo, s16
	s_delay_alu instid0(SALU_CYCLE_1)
	s_mov_b32 s16, exec_lo
	v_cmpx_gt_u32_e64 s42, v77
	s_cbranch_execz .LBB401_408
.LBB401_509:                            ;   in Loop: Header=BB401_400 Depth=2
	global_load_u8 v26, v[20:21], off offset:96
	s_or_b32 exec_lo, exec_lo, s16
	s_delay_alu instid0(SALU_CYCLE_1)
	s_mov_b32 s16, exec_lo
	v_cmpx_gt_u32_e64 s42, v78
	s_cbranch_execnz .LBB401_409
.LBB401_510:                            ;   in Loop: Header=BB401_400 Depth=2
	s_or_b32 exec_lo, exec_lo, s16
	s_delay_alu instid0(SALU_CYCLE_1)
	s_mov_b32 s16, exec_lo
	v_cmpx_gt_u32_e64 s42, v79
	s_cbranch_execz .LBB401_410
.LBB401_511:                            ;   in Loop: Header=BB401_400 Depth=2
	global_load_u8 v24, v[20:21], off offset:160
	s_or_b32 exec_lo, exec_lo, s16
	s_delay_alu instid0(SALU_CYCLE_1)
	s_mov_b32 s16, exec_lo
	v_cmpx_gt_u32_e64 s42, v80
	s_cbranch_execnz .LBB401_411
	s_branch .LBB401_412
.LBB401_512:                            ;   in Loop: Header=BB401_12 Depth=1
	s_waitcnt lgkmcnt(0)
	s_mov_b32 s0, 0
	s_barrier
.LBB401_513:                            ;   in Loop: Header=BB401_12 Depth=1
	s_and_b32 vcc_lo, exec_lo, s0
	s_cbranch_vccz .LBB401_11
; %bb.514:                              ;   in Loop: Header=BB401_12 Depth=1
	s_mov_b32 s0, s35
	s_mov_b32 s9, s27
	s_barrier
	buffer_gl0_inv
                                        ; implicit-def: $vgpr2
                                        ; implicit-def: $vgpr6
                                        ; implicit-def: $vgpr7
                                        ; implicit-def: $vgpr8
                                        ; implicit-def: $vgpr9
                                        ; implicit-def: $vgpr10
                                        ; implicit-def: $vgpr11
                                        ; implicit-def: $vgpr12
	s_branch .LBB401_516
.LBB401_515:                            ;   in Loop: Header=BB401_516 Depth=2
	s_or_b32 exec_lo, exec_lo, s8
	s_addk_i32 s0, 0xf800
	s_cmp_ge_u32 s1, s33
	s_mov_b32 s9, s1
	s_cbranch_scc1 .LBB401_554
.LBB401_516:                            ;   Parent Loop BB401_12 Depth=1
                                        ; =>  This Inner Loop Header: Depth=2
	s_add_i32 s1, s9, 0x800
	s_delay_alu instid0(SALU_CYCLE_1)
	s_cmp_gt_u32 s1, s33
	s_cbranch_scc1 .LBB401_519
; %bb.517:                              ;   in Loop: Header=BB401_516 Depth=2
	v_add_co_u32 v4, vcc_lo, v59, s9
	v_add_co_ci_u32_e32 v5, vcc_lo, 0, v60, vcc_lo
	s_mov_b32 s8, -1
	s_movk_i32 s12, 0x800
	s_clause 0x6
	global_load_u8 v20, v[4:5], off offset:1536
	global_load_u8 v19, v[4:5], off offset:1280
	;; [unrolled: 1-line block ×6, first 2 shown]
	global_load_u8 v14, v[4:5], off
	v_add_co_u32 v4, vcc_lo, 0x700, v4
	v_add_co_ci_u32_e32 v5, vcc_lo, 0, v5, vcc_lo
	s_cbranch_execz .LBB401_520
; %bb.518:                              ;   in Loop: Header=BB401_516 Depth=2
                                        ; implicit-def: $vgpr2
                                        ; implicit-def: $vgpr6
                                        ; implicit-def: $vgpr7
                                        ; implicit-def: $vgpr8
                                        ; implicit-def: $vgpr9
                                        ; implicit-def: $vgpr10
                                        ; implicit-def: $vgpr11
                                        ; implicit-def: $vgpr12
	v_mov_b32_e32 v13, s0
	s_and_saveexec_b32 s9, s8
	s_cbranch_execnz .LBB401_531
	s_branch .LBB401_532
.LBB401_519:                            ;   in Loop: Header=BB401_516 Depth=2
	s_mov_b32 s8, 0
                                        ; implicit-def: $sgpr12
                                        ; implicit-def: $vgpr14
                                        ; implicit-def: $vgpr15
                                        ; implicit-def: $vgpr16
                                        ; implicit-def: $vgpr17
                                        ; implicit-def: $vgpr18
                                        ; implicit-def: $vgpr19
                                        ; implicit-def: $vgpr20
                                        ; implicit-def: $vgpr4_vgpr5
.LBB401_520:                            ;   in Loop: Header=BB401_516 Depth=2
	s_add_u32 s10, s36, s9
	s_addc_u32 s11, s37, 0
	s_mov_b32 s12, exec_lo
	v_cmpx_gt_u32_e64 s0, v1
	s_cbranch_execz .LBB401_548
; %bb.521:                              ;   in Loop: Header=BB401_516 Depth=2
	v_add_co_u32 v4, s13, s10, v1
	s_delay_alu instid0(VALU_DEP_1) | instskip(SKIP_2) | instid1(SALU_CYCLE_1)
	v_add_co_ci_u32_e64 v5, null, s11, 0, s13
	global_load_u8 v2, v[4:5], off
	s_or_b32 exec_lo, exec_lo, s12
	s_mov_b32 s12, exec_lo
	v_cmpx_gt_u32_e64 s0, v29
	s_cbranch_execnz .LBB401_549
.LBB401_522:                            ;   in Loop: Header=BB401_516 Depth=2
	s_or_b32 exec_lo, exec_lo, s12
	s_delay_alu instid0(SALU_CYCLE_1)
	s_mov_b32 s12, exec_lo
	v_cmpx_gt_u32_e64 s0, v30
	s_cbranch_execz .LBB401_550
.LBB401_523:                            ;   in Loop: Header=BB401_516 Depth=2
	v_add_co_u32 v4, s13, s10, v1
	s_delay_alu instid0(VALU_DEP_1) | instskip(SKIP_2) | instid1(SALU_CYCLE_1)
	v_add_co_ci_u32_e64 v5, null, s11, 0, s13
	global_load_u8 v7, v[4:5], off offset:512
	s_or_b32 exec_lo, exec_lo, s12
	s_mov_b32 s12, exec_lo
	v_cmpx_gt_u32_e64 s0, v31
	s_cbranch_execnz .LBB401_551
.LBB401_524:                            ;   in Loop: Header=BB401_516 Depth=2
	s_or_b32 exec_lo, exec_lo, s12
	s_delay_alu instid0(SALU_CYCLE_1)
	s_mov_b32 s12, exec_lo
	v_cmpx_gt_u32_e64 s0, v35
	s_cbranch_execz .LBB401_552
.LBB401_525:                            ;   in Loop: Header=BB401_516 Depth=2
	v_add_co_u32 v4, s13, s10, v1
	s_delay_alu instid0(VALU_DEP_1) | instskip(SKIP_2) | instid1(SALU_CYCLE_1)
	v_add_co_ci_u32_e64 v5, null, s11, 0, s13
	global_load_u8 v9, v[4:5], off offset:1024
	s_or_b32 exec_lo, exec_lo, s12
	s_mov_b32 s12, exec_lo
	v_cmpx_gt_u32_e64 s0, v36
	s_cbranch_execnz .LBB401_553
.LBB401_526:                            ;   in Loop: Header=BB401_516 Depth=2
	s_or_b32 exec_lo, exec_lo, s12
	s_delay_alu instid0(SALU_CYCLE_1)
	s_mov_b32 s12, exec_lo
	v_cmpx_gt_u32_e64 s0, v37
	s_cbranch_execz .LBB401_528
.LBB401_527:                            ;   in Loop: Header=BB401_516 Depth=2
	v_add_co_u32 v4, s13, s10, v1
	s_delay_alu instid0(VALU_DEP_1)
	v_add_co_ci_u32_e64 v5, null, s11, 0, s13
	global_load_u8 v11, v[4:5], off offset:1536
.LBB401_528:                            ;   in Loop: Header=BB401_516 Depth=2
	s_or_b32 exec_lo, exec_lo, s12
	s_delay_alu instid0(SALU_CYCLE_1)
	s_mov_b32 s13, exec_lo
                                        ; implicit-def: $sgpr12
                                        ; implicit-def: $vgpr4_vgpr5
	v_cmpx_gt_u32_e64 s0, v39
; %bb.529:                              ;   in Loop: Header=BB401_516 Depth=2
	v_add_co_u32 v4, s10, s10, v1
	s_delay_alu instid0(VALU_DEP_1) | instskip(SKIP_1) | instid1(VALU_DEP_2)
	v_add_co_ci_u32_e64 v5, null, s11, 0, s10
	s_sub_i32 s12, s33, s9
	v_add_co_u32 v4, vcc_lo, 0x700, v4
	s_delay_alu instid0(VALU_DEP_2)
	v_add_co_ci_u32_e32 v5, vcc_lo, 0, v5, vcc_lo
	s_or_b32 s8, s8, exec_lo
                                        ; implicit-def: $vgpr12
; %bb.530:                              ;   in Loop: Header=BB401_516 Depth=2
	s_or_b32 exec_lo, exec_lo, s13
	s_waitcnt vmcnt(0)
	v_dual_mov_b32 v14, v2 :: v_dual_mov_b32 v17, v8
	v_dual_mov_b32 v15, v6 :: v_dual_mov_b32 v16, v7
	;; [unrolled: 1-line block ×4, first 2 shown]
	s_and_saveexec_b32 s9, s8
	s_cbranch_execz .LBB401_532
.LBB401_531:                            ;   in Loop: Header=BB401_516 Depth=2
	global_load_u8 v12, v[4:5], off
	s_waitcnt vmcnt(1)
	v_dual_mov_b32 v13, s12 :: v_dual_mov_b32 v2, v14
	v_dual_mov_b32 v6, v15 :: v_dual_mov_b32 v7, v16
	;; [unrolled: 1-line block ×4, first 2 shown]
.LBB401_532:                            ;   in Loop: Header=BB401_516 Depth=2
	s_or_b32 exec_lo, exec_lo, s9
	v_lshlrev_b32_e32 v4, 2, v32
	s_mov_b32 s8, exec_lo
	v_cmpx_lt_u32_e64 v1, v13
	s_cbranch_execz .LBB401_540
; %bb.533:                              ;   in Loop: Header=BB401_516 Depth=2
	v_xor_b32_e32 v5, 0x80, v2
	s_delay_alu instid0(VALU_DEP_1) | instskip(NEXT) | instid1(VALU_DEP_1)
	v_and_b32_e32 v5, 0xff, v5
	v_lshrrev_b32_e32 v5, s49, v5
	s_delay_alu instid0(VALU_DEP_1) | instskip(NEXT) | instid1(VALU_DEP_1)
	v_and_b32_e32 v5, s31, v5
	v_lshl_or_b32 v5, v5, 4, v4
	ds_add_u32 v5, v66
	s_or_b32 exec_lo, exec_lo, s8
	s_delay_alu instid0(SALU_CYCLE_1)
	s_mov_b32 s8, exec_lo
	v_cmpx_lt_u32_e64 v29, v13
	s_cbranch_execnz .LBB401_541
.LBB401_534:                            ;   in Loop: Header=BB401_516 Depth=2
	s_or_b32 exec_lo, exec_lo, s8
	s_delay_alu instid0(SALU_CYCLE_1)
	s_mov_b32 s8, exec_lo
	v_cmpx_lt_u32_e64 v30, v13
	s_cbranch_execz .LBB401_542
.LBB401_535:                            ;   in Loop: Header=BB401_516 Depth=2
	v_xor_b32_e32 v5, 0x80, v7
	s_delay_alu instid0(VALU_DEP_1) | instskip(NEXT) | instid1(VALU_DEP_1)
	v_and_b32_e32 v5, 0xff, v5
	v_lshrrev_b32_e32 v5, s49, v5
	s_delay_alu instid0(VALU_DEP_1) | instskip(NEXT) | instid1(VALU_DEP_1)
	v_and_b32_e32 v5, s31, v5
	v_lshl_or_b32 v5, v5, 4, v4
	ds_add_u32 v5, v66
	s_or_b32 exec_lo, exec_lo, s8
	s_delay_alu instid0(SALU_CYCLE_1)
	s_mov_b32 s8, exec_lo
	v_cmpx_lt_u32_e64 v31, v13
	s_cbranch_execnz .LBB401_543
.LBB401_536:                            ;   in Loop: Header=BB401_516 Depth=2
	s_or_b32 exec_lo, exec_lo, s8
	s_delay_alu instid0(SALU_CYCLE_1)
	s_mov_b32 s8, exec_lo
	v_cmpx_lt_u32_e64 v35, v13
	s_cbranch_execz .LBB401_544
.LBB401_537:                            ;   in Loop: Header=BB401_516 Depth=2
	v_xor_b32_e32 v5, 0x80, v9
	s_delay_alu instid0(VALU_DEP_1) | instskip(NEXT) | instid1(VALU_DEP_1)
	v_and_b32_e32 v5, 0xff, v5
	v_lshrrev_b32_e32 v5, s49, v5
	s_delay_alu instid0(VALU_DEP_1) | instskip(NEXT) | instid1(VALU_DEP_1)
	v_and_b32_e32 v5, s31, v5
	v_lshl_or_b32 v5, v5, 4, v4
	ds_add_u32 v5, v66
	s_or_b32 exec_lo, exec_lo, s8
	s_delay_alu instid0(SALU_CYCLE_1)
	s_mov_b32 s8, exec_lo
	v_cmpx_lt_u32_e64 v36, v13
	s_cbranch_execnz .LBB401_545
.LBB401_538:                            ;   in Loop: Header=BB401_516 Depth=2
	s_or_b32 exec_lo, exec_lo, s8
	s_delay_alu instid0(SALU_CYCLE_1)
	s_mov_b32 s8, exec_lo
	v_cmpx_lt_u32_e64 v37, v13
	s_cbranch_execz .LBB401_546
.LBB401_539:                            ;   in Loop: Header=BB401_516 Depth=2
	v_xor_b32_e32 v5, 0x80, v11
	s_delay_alu instid0(VALU_DEP_1) | instskip(NEXT) | instid1(VALU_DEP_1)
	v_and_b32_e32 v5, 0xff, v5
	v_lshrrev_b32_e32 v5, s49, v5
	s_delay_alu instid0(VALU_DEP_1) | instskip(NEXT) | instid1(VALU_DEP_1)
	v_and_b32_e32 v5, s31, v5
	v_lshl_or_b32 v5, v5, 4, v4
	ds_add_u32 v5, v66
	s_or_b32 exec_lo, exec_lo, s8
	s_delay_alu instid0(SALU_CYCLE_1)
	s_mov_b32 s8, exec_lo
	v_cmpx_lt_u32_e64 v39, v13
	s_cbranch_execz .LBB401_515
	s_branch .LBB401_547
.LBB401_540:                            ;   in Loop: Header=BB401_516 Depth=2
	s_or_b32 exec_lo, exec_lo, s8
	s_delay_alu instid0(SALU_CYCLE_1)
	s_mov_b32 s8, exec_lo
	v_cmpx_lt_u32_e64 v29, v13
	s_cbranch_execz .LBB401_534
.LBB401_541:                            ;   in Loop: Header=BB401_516 Depth=2
	v_xor_b32_e32 v5, 0x80, v6
	s_delay_alu instid0(VALU_DEP_1) | instskip(NEXT) | instid1(VALU_DEP_1)
	v_and_b32_e32 v5, 0xff, v5
	v_lshrrev_b32_e32 v5, s49, v5
	s_delay_alu instid0(VALU_DEP_1) | instskip(NEXT) | instid1(VALU_DEP_1)
	v_and_b32_e32 v5, s31, v5
	v_lshl_or_b32 v5, v5, 4, v4
	ds_add_u32 v5, v66
	s_or_b32 exec_lo, exec_lo, s8
	s_delay_alu instid0(SALU_CYCLE_1)
	s_mov_b32 s8, exec_lo
	v_cmpx_lt_u32_e64 v30, v13
	s_cbranch_execnz .LBB401_535
.LBB401_542:                            ;   in Loop: Header=BB401_516 Depth=2
	s_or_b32 exec_lo, exec_lo, s8
	s_delay_alu instid0(SALU_CYCLE_1)
	s_mov_b32 s8, exec_lo
	v_cmpx_lt_u32_e64 v31, v13
	s_cbranch_execz .LBB401_536
.LBB401_543:                            ;   in Loop: Header=BB401_516 Depth=2
	v_xor_b32_e32 v5, 0x80, v8
	s_delay_alu instid0(VALU_DEP_1) | instskip(NEXT) | instid1(VALU_DEP_1)
	v_and_b32_e32 v5, 0xff, v5
	v_lshrrev_b32_e32 v5, s49, v5
	s_delay_alu instid0(VALU_DEP_1) | instskip(NEXT) | instid1(VALU_DEP_1)
	v_and_b32_e32 v5, s31, v5
	v_lshl_or_b32 v5, v5, 4, v4
	ds_add_u32 v5, v66
	s_or_b32 exec_lo, exec_lo, s8
	s_delay_alu instid0(SALU_CYCLE_1)
	s_mov_b32 s8, exec_lo
	v_cmpx_lt_u32_e64 v35, v13
	s_cbranch_execnz .LBB401_537
.LBB401_544:                            ;   in Loop: Header=BB401_516 Depth=2
	s_or_b32 exec_lo, exec_lo, s8
	s_delay_alu instid0(SALU_CYCLE_1)
	s_mov_b32 s8, exec_lo
	v_cmpx_lt_u32_e64 v36, v13
	s_cbranch_execz .LBB401_538
.LBB401_545:                            ;   in Loop: Header=BB401_516 Depth=2
	v_xor_b32_e32 v5, 0x80, v10
	s_delay_alu instid0(VALU_DEP_1) | instskip(NEXT) | instid1(VALU_DEP_1)
	v_and_b32_e32 v5, 0xff, v5
	v_lshrrev_b32_e32 v5, s49, v5
	s_delay_alu instid0(VALU_DEP_1) | instskip(NEXT) | instid1(VALU_DEP_1)
	v_and_b32_e32 v5, s31, v5
	v_lshl_or_b32 v5, v5, 4, v4
	ds_add_u32 v5, v66
	s_or_b32 exec_lo, exec_lo, s8
	s_delay_alu instid0(SALU_CYCLE_1)
	s_mov_b32 s8, exec_lo
	v_cmpx_lt_u32_e64 v37, v13
	s_cbranch_execnz .LBB401_539
.LBB401_546:                            ;   in Loop: Header=BB401_516 Depth=2
	s_or_b32 exec_lo, exec_lo, s8
	s_delay_alu instid0(SALU_CYCLE_1)
	s_mov_b32 s8, exec_lo
	v_cmpx_lt_u32_e64 v39, v13
	s_cbranch_execz .LBB401_515
.LBB401_547:                            ;   in Loop: Header=BB401_516 Depth=2
	s_waitcnt vmcnt(0)
	v_xor_b32_e32 v5, 0x80, v12
	s_delay_alu instid0(VALU_DEP_1) | instskip(NEXT) | instid1(VALU_DEP_1)
	v_and_b32_e32 v5, 0xff, v5
	v_lshrrev_b32_e32 v5, s49, v5
	s_delay_alu instid0(VALU_DEP_1) | instskip(NEXT) | instid1(VALU_DEP_1)
	v_and_b32_e32 v5, s31, v5
	v_lshl_or_b32 v4, v5, 4, v4
	ds_add_u32 v4, v66
	s_branch .LBB401_515
.LBB401_548:                            ;   in Loop: Header=BB401_516 Depth=2
	s_or_b32 exec_lo, exec_lo, s12
	s_delay_alu instid0(SALU_CYCLE_1)
	s_mov_b32 s12, exec_lo
	v_cmpx_gt_u32_e64 s0, v29
	s_cbranch_execz .LBB401_522
.LBB401_549:                            ;   in Loop: Header=BB401_516 Depth=2
	v_add_co_u32 v4, s13, s10, v1
	s_delay_alu instid0(VALU_DEP_1) | instskip(SKIP_2) | instid1(SALU_CYCLE_1)
	v_add_co_ci_u32_e64 v5, null, s11, 0, s13
	global_load_u8 v6, v[4:5], off offset:256
	s_or_b32 exec_lo, exec_lo, s12
	s_mov_b32 s12, exec_lo
	v_cmpx_gt_u32_e64 s0, v30
	s_cbranch_execnz .LBB401_523
.LBB401_550:                            ;   in Loop: Header=BB401_516 Depth=2
	s_or_b32 exec_lo, exec_lo, s12
	s_delay_alu instid0(SALU_CYCLE_1)
	s_mov_b32 s12, exec_lo
	v_cmpx_gt_u32_e64 s0, v31
	s_cbranch_execz .LBB401_524
.LBB401_551:                            ;   in Loop: Header=BB401_516 Depth=2
	v_add_co_u32 v4, s13, s10, v1
	s_delay_alu instid0(VALU_DEP_1) | instskip(SKIP_2) | instid1(SALU_CYCLE_1)
	v_add_co_ci_u32_e64 v5, null, s11, 0, s13
	global_load_u8 v8, v[4:5], off offset:768
	s_or_b32 exec_lo, exec_lo, s12
	s_mov_b32 s12, exec_lo
	v_cmpx_gt_u32_e64 s0, v35
	s_cbranch_execnz .LBB401_525
.LBB401_552:                            ;   in Loop: Header=BB401_516 Depth=2
	s_or_b32 exec_lo, exec_lo, s12
	s_delay_alu instid0(SALU_CYCLE_1)
	s_mov_b32 s12, exec_lo
	v_cmpx_gt_u32_e64 s0, v36
	s_cbranch_execz .LBB401_526
.LBB401_553:                            ;   in Loop: Header=BB401_516 Depth=2
	v_add_co_u32 v4, s13, s10, v1
	s_delay_alu instid0(VALU_DEP_1) | instskip(SKIP_2) | instid1(SALU_CYCLE_1)
	v_add_co_ci_u32_e64 v5, null, s11, 0, s13
	global_load_u8 v10, v[4:5], off offset:1280
	s_or_b32 exec_lo, exec_lo, s12
	s_mov_b32 s12, exec_lo
	v_cmpx_gt_u32_e64 s0, v37
	s_cbranch_execz .LBB401_528
	s_branch .LBB401_527
.LBB401_554:                            ;   in Loop: Header=BB401_12 Depth=1
	v_mov_b32_e32 v2, 0
	s_waitcnt vmcnt(0) lgkmcnt(0)
	s_barrier
	buffer_gl0_inv
	s_and_saveexec_b32 s0, s2
	s_cbranch_execz .LBB401_556
; %bb.555:                              ;   in Loop: Header=BB401_12 Depth=1
	ds_load_2addr_b64 v[4:7], v40 offset1:1
	s_waitcnt lgkmcnt(0)
	v_add_nc_u32_e32 v2, v5, v4
	s_delay_alu instid0(VALU_DEP_1)
	v_add3_u32 v2, v2, v6, v7
.LBB401_556:                            ;   in Loop: Header=BB401_12 Depth=1
	s_or_b32 exec_lo, exec_lo, s0
	v_and_b32_e32 v4, 15, v63
	s_delay_alu instid0(VALU_DEP_2) | instskip(SKIP_1) | instid1(VALU_DEP_3)
	v_mov_b32_dpp v5, v2 row_shr:1 row_mask:0xf bank_mask:0xf
	v_and_b32_e32 v6, 16, v63
	v_cmp_eq_u32_e64 s0, 0, v4
	v_cmp_lt_u32_e64 s1, 1, v4
	v_cmp_lt_u32_e64 s8, 3, v4
	v_cmp_lt_u32_e64 s9, 7, v4
	v_cmp_eq_u32_e64 s10, 0, v6
	v_cndmask_b32_e64 v5, v5, 0, s0
	s_delay_alu instid0(VALU_DEP_1) | instskip(NEXT) | instid1(VALU_DEP_1)
	v_add_nc_u32_e32 v2, v5, v2
	v_mov_b32_dpp v5, v2 row_shr:2 row_mask:0xf bank_mask:0xf
	s_delay_alu instid0(VALU_DEP_1) | instskip(NEXT) | instid1(VALU_DEP_1)
	v_cndmask_b32_e64 v5, 0, v5, s1
	v_add_nc_u32_e32 v2, v2, v5
	s_delay_alu instid0(VALU_DEP_1) | instskip(NEXT) | instid1(VALU_DEP_1)
	v_mov_b32_dpp v5, v2 row_shr:4 row_mask:0xf bank_mask:0xf
	v_cndmask_b32_e64 v5, 0, v5, s8
	s_delay_alu instid0(VALU_DEP_1) | instskip(NEXT) | instid1(VALU_DEP_1)
	v_add_nc_u32_e32 v2, v2, v5
	v_mov_b32_dpp v5, v2 row_shr:8 row_mask:0xf bank_mask:0xf
	s_delay_alu instid0(VALU_DEP_1) | instskip(SKIP_1) | instid1(VALU_DEP_2)
	v_cndmask_b32_e64 v4, 0, v5, s9
	v_bfe_i32 v5, v63, 4, 1
	v_add_nc_u32_e32 v2, v2, v4
	ds_swizzle_b32 v4, v2 offset:swizzle(BROADCAST,32,15)
	s_waitcnt lgkmcnt(0)
	v_and_b32_e32 v4, v5, v4
	s_delay_alu instid0(VALU_DEP_1)
	v_add_nc_u32_e32 v4, v2, v4
	s_and_saveexec_b32 s11, s3
	s_cbranch_execz .LBB401_558
; %bb.557:                              ;   in Loop: Header=BB401_12 Depth=1
	ds_store_b32 v41, v4
.LBB401_558:                            ;   in Loop: Header=BB401_12 Depth=1
	s_or_b32 exec_lo, exec_lo, s11
	v_and_b32_e32 v2, 7, v63
	s_waitcnt lgkmcnt(0)
	s_barrier
	buffer_gl0_inv
	s_and_saveexec_b32 s11, s4
	s_cbranch_execz .LBB401_560
; %bb.559:                              ;   in Loop: Header=BB401_12 Depth=1
	ds_load_b32 v5, v42
	v_cmp_ne_u32_e32 vcc_lo, 0, v2
	s_waitcnt lgkmcnt(0)
	v_mov_b32_dpp v6, v5 row_shr:1 row_mask:0xf bank_mask:0xf
	s_delay_alu instid0(VALU_DEP_1) | instskip(SKIP_1) | instid1(VALU_DEP_2)
	v_cndmask_b32_e32 v6, 0, v6, vcc_lo
	v_cmp_lt_u32_e32 vcc_lo, 1, v2
	v_add_nc_u32_e32 v5, v6, v5
	s_delay_alu instid0(VALU_DEP_1) | instskip(NEXT) | instid1(VALU_DEP_1)
	v_mov_b32_dpp v6, v5 row_shr:2 row_mask:0xf bank_mask:0xf
	v_cndmask_b32_e32 v6, 0, v6, vcc_lo
	v_cmp_lt_u32_e32 vcc_lo, 3, v2
	s_delay_alu instid0(VALU_DEP_2) | instskip(NEXT) | instid1(VALU_DEP_1)
	v_add_nc_u32_e32 v5, v5, v6
	v_mov_b32_dpp v6, v5 row_shr:4 row_mask:0xf bank_mask:0xf
	s_delay_alu instid0(VALU_DEP_1) | instskip(NEXT) | instid1(VALU_DEP_1)
	v_cndmask_b32_e32 v6, 0, v6, vcc_lo
	v_add_nc_u32_e32 v5, v5, v6
	ds_store_b32 v42, v5
.LBB401_560:                            ;   in Loop: Header=BB401_12 Depth=1
	s_or_b32 exec_lo, exec_lo, s11
	v_mov_b32_e32 v5, 0
	s_waitcnt lgkmcnt(0)
	s_barrier
	buffer_gl0_inv
	s_and_saveexec_b32 s11, s5
	s_cbranch_execz .LBB401_562
; %bb.561:                              ;   in Loop: Header=BB401_12 Depth=1
	ds_load_b32 v5, v43
.LBB401_562:                            ;   in Loop: Header=BB401_12 Depth=1
	s_or_b32 exec_lo, exec_lo, s11
	v_add_nc_u32_e32 v6, -1, v63
	s_waitcnt lgkmcnt(0)
	v_add_nc_u32_e32 v4, v5, v4
	v_cmp_eq_u32_e64 s11, 0, v63
	s_barrier
	v_cmp_gt_i32_e32 vcc_lo, 0, v6
	buffer_gl0_inv
	v_cndmask_b32_e32 v6, v6, v63, vcc_lo
	s_delay_alu instid0(VALU_DEP_1)
	v_lshlrev_b32_e32 v69, 2, v6
	ds_bpermute_b32 v4, v69, v4
	s_and_saveexec_b32 s12, s2
	s_cbranch_execz .LBB401_564
; %bb.563:                              ;   in Loop: Header=BB401_12 Depth=1
	s_waitcnt lgkmcnt(0)
	v_cndmask_b32_e64 v4, v4, v5, s11
	s_delay_alu instid0(VALU_DEP_1)
	v_add_nc_u32_e32 v4, s27, v4
	ds_store_b32 v28, v4
.LBB401_564:                            ;   in Loop: Header=BB401_12 Depth=1
	s_or_b32 exec_lo, exec_lo, s12
	s_load_b64 s[12:13], s[28:29], 0x0
	v_cmp_lt_u32_e64 s14, 3, v2
	v_add_co_u32 v71, vcc_lo, v64, v63
	v_add_co_ci_u32_e32 v72, vcc_lo, 0, v65, vcc_lo
	v_or_b32_e32 v70, v63, v44
	s_mov_b32 s42, s35
	s_mov_b32 s24, s27
                                        ; implicit-def: $vgpr8_vgpr9
                                        ; implicit-def: $vgpr10_vgpr11
                                        ; implicit-def: $vgpr12_vgpr13
                                        ; implicit-def: $vgpr14_vgpr15
                                        ; implicit-def: $vgpr16_vgpr17
                                        ; implicit-def: $vgpr18_vgpr19
                                        ; implicit-def: $vgpr85
                                        ; implicit-def: $vgpr86
                                        ; implicit-def: $vgpr87
                                        ; implicit-def: $vgpr88
                                        ; implicit-def: $vgpr89
                                        ; implicit-def: $vgpr90
                                        ; implicit-def: $vgpr91
                                        ; implicit-def: $vgpr92
	s_delay_alu instid0(VALU_DEP_1)
	v_or_b32_e32 v75, 32, v70
	v_or_b32_e32 v76, 64, v70
	;; [unrolled: 1-line block ×7, first 2 shown]
	s_waitcnt lgkmcnt(0)
	s_cmp_lt_u32 s15, s13
	s_cselect_b32 s13, 14, 20
	s_delay_alu instid0(SALU_CYCLE_1) | instskip(SKIP_4) | instid1(SALU_CYCLE_1)
	s_add_u32 s16, s28, s13
	s_addc_u32 s17, s29, 0
	s_cmp_lt_u32 s26, s12
	global_load_u16 v4, v3, s[16:17]
	s_cselect_b32 s12, 12, 18
	s_add_u32 s12, s28, s12
	s_addc_u32 s13, s29, 0
	global_load_u16 v6, v3, s[12:13]
	v_cmp_eq_u32_e64 s12, 0, v2
	v_cmp_lt_u32_e64 s13, 1, v2
	v_lshlrev_b32_e32 v2, 3, v63
	s_delay_alu instid0(VALU_DEP_1)
	v_add_co_u32 v73, vcc_lo, v61, v2
	v_add_co_ci_u32_e32 v74, vcc_lo, 0, v62, vcc_lo
	v_add_co_u32 v83, vcc_lo, 0xe0, v71
	v_add_co_ci_u32_e32 v84, vcc_lo, 0, v72, vcc_lo
	s_waitcnt vmcnt(1)
	v_mad_u32_u24 v7, v45, v4, v0
	s_waitcnt vmcnt(0)
	s_delay_alu instid0(VALU_DEP_1) | instskip(NEXT) | instid1(VALU_DEP_1)
	v_mad_u64_u32 v[4:5], null, v7, v6, v[1:2]
                                        ; implicit-def: $vgpr6_vgpr7
	v_lshrrev_b32_e32 v82, 5, v4
                                        ; implicit-def: $vgpr4_vgpr5
	s_branch .LBB401_566
.LBB401_565:                            ;   in Loop: Header=BB401_566 Depth=2
	s_or_b32 exec_lo, exec_lo, s16
	s_addk_i32 s42, 0xf800
	s_cmp_lt_u32 s43, s33
	s_mov_b32 s24, s43
	s_cbranch_scc0 .LBB401_10
.LBB401_566:                            ;   Parent Loop BB401_12 Depth=1
                                        ; =>  This Inner Loop Header: Depth=2
	s_add_i32 s43, s24, 0x800
	s_delay_alu instid0(SALU_CYCLE_1)
	s_cmp_gt_u32 s43, s33
	s_cbranch_scc1 .LBB401_569
; %bb.567:                              ;   in Loop: Header=BB401_566 Depth=2
	v_add_co_u32 v20, vcc_lo, v71, s24
	v_add_co_ci_u32_e32 v21, vcc_lo, 0, v72, vcc_lo
	s_mov_b32 s17, 0
	s_mov_b32 s16, s24
	s_mov_b32 s19, -1
	s_clause 0x6
	global_load_u8 v23, v[20:21], off offset:192
	global_load_u8 v24, v[20:21], off offset:160
	;; [unrolled: 1-line block ×6, first 2 shown]
	global_load_u8 v93, v[20:21], off
	s_movk_i32 s18, 0x800
	s_cbranch_execz .LBB401_570
; %bb.568:                              ;   in Loop: Header=BB401_566 Depth=2
                                        ; implicit-def: $vgpr22
	v_mov_b32_e32 v2, s42
	s_and_saveexec_b32 s20, s19
	s_cbranch_execnz .LBB401_579
	s_branch .LBB401_580
.LBB401_569:                            ;   in Loop: Header=BB401_566 Depth=2
	s_mov_b32 s17, -1
	s_mov_b32 s19, 0
                                        ; implicit-def: $sgpr18
                                        ; implicit-def: $vgpr93
                                        ; implicit-def: $vgpr95
                                        ; implicit-def: $vgpr27
                                        ; implicit-def: $vgpr26
                                        ; implicit-def: $vgpr25
                                        ; implicit-def: $vgpr24
                                        ; implicit-def: $vgpr23
.LBB401_570:                            ;   in Loop: Header=BB401_566 Depth=2
	v_add_co_u32 v20, vcc_lo, v71, s24
	v_add_co_ci_u32_e32 v21, vcc_lo, 0, v72, vcc_lo
	s_waitcnt vmcnt(0)
	v_dual_mov_b32 v93, 0x7f :: v_dual_mov_b32 v22, 0x7f
	v_dual_mov_b32 v95, 0x7f :: v_dual_mov_b32 v26, 0x7f
	;; [unrolled: 1-line block ×3, first 2 shown]
	v_mov_b32_e32 v25, 0x7f
	v_mov_b32_e32 v23, 0x7f
	s_mov_b32 s16, exec_lo
	v_cmpx_gt_u32_e64 s42, v70
	s_cbranch_execz .LBB401_672
; %bb.571:                              ;   in Loop: Header=BB401_566 Depth=2
	global_load_u8 v93, v[20:21], off
	v_dual_mov_b32 v95, 0x7f :: v_dual_mov_b32 v26, 0x7f
	v_dual_mov_b32 v27, 0x7f :: v_dual_mov_b32 v24, 0x7f
	;; [unrolled: 1-line block ×3, first 2 shown]
	v_mov_b32_e32 v23, 0x7f
	s_or_b32 exec_lo, exec_lo, s16
	s_delay_alu instid0(SALU_CYCLE_1)
	s_mov_b32 s16, exec_lo
	v_cmpx_gt_u32_e64 s42, v75
	s_cbranch_execnz .LBB401_673
.LBB401_572:                            ;   in Loop: Header=BB401_566 Depth=2
	s_or_b32 exec_lo, exec_lo, s16
	s_delay_alu instid0(SALU_CYCLE_1)
	s_mov_b32 s16, exec_lo
	v_cmpx_gt_u32_e64 s42, v76
	s_cbranch_execz .LBB401_674
.LBB401_573:                            ;   in Loop: Header=BB401_566 Depth=2
	global_load_u8 v27, v[20:21], off offset:64
	s_or_b32 exec_lo, exec_lo, s16
	s_delay_alu instid0(SALU_CYCLE_1)
	s_mov_b32 s16, exec_lo
	v_cmpx_gt_u32_e64 s42, v77
	s_cbranch_execnz .LBB401_675
.LBB401_574:                            ;   in Loop: Header=BB401_566 Depth=2
	s_or_b32 exec_lo, exec_lo, s16
	s_delay_alu instid0(SALU_CYCLE_1)
	s_mov_b32 s16, exec_lo
	v_cmpx_gt_u32_e64 s42, v78
	s_cbranch_execz .LBB401_676
.LBB401_575:                            ;   in Loop: Header=BB401_566 Depth=2
	global_load_u8 v25, v[20:21], off offset:128
	s_or_b32 exec_lo, exec_lo, s16
	s_delay_alu instid0(SALU_CYCLE_1)
	s_mov_b32 s16, exec_lo
	v_cmpx_gt_u32_e64 s42, v79
	s_cbranch_execnz .LBB401_677
.LBB401_576:                            ;   in Loop: Header=BB401_566 Depth=2
	s_or_b32 exec_lo, exec_lo, s16
	s_delay_alu instid0(SALU_CYCLE_1)
	s_mov_b32 s16, exec_lo
	v_cmpx_gt_u32_e64 s42, v80
	s_cbranch_execz .LBB401_578
.LBB401_577:                            ;   in Loop: Header=BB401_566 Depth=2
	global_load_u8 v23, v[20:21], off offset:192
.LBB401_578:                            ;   in Loop: Header=BB401_566 Depth=2
	s_or_b32 exec_lo, exec_lo, s16
	v_cmp_gt_u32_e64 s19, s42, v81
	s_sub_i32 s18, s33, s24
	s_mov_b64 s[16:17], s[24:25]
	v_mov_b32_e32 v2, s42
	s_delay_alu instid0(VALU_DEP_2)
	s_and_saveexec_b32 s20, s19
	s_cbranch_execz .LBB401_580
.LBB401_579:                            ;   in Loop: Header=BB401_566 Depth=2
	v_add_co_u32 v20, vcc_lo, v83, s16
	v_add_co_ci_u32_e32 v21, vcc_lo, s17, v84, vcc_lo
	v_mov_b32_e32 v2, s18
	global_load_u8 v22, v[20:21], off
.LBB401_580:                            ;   in Loop: Header=BB401_566 Depth=2
	s_or_b32 exec_lo, exec_lo, s20
	s_waitcnt vmcnt(0)
	v_xor_b32_e32 v93, 0xffffff80, v93
	ds_store_b32 v46, v3 offset:1056
	ds_store_2addr_b32 v47, v3, v3 offset0:1 offset1:2
	ds_store_2addr_b32 v47, v3, v3 offset0:3 offset1:4
	;; [unrolled: 1-line block ×4, first 2 shown]
	s_waitcnt lgkmcnt(0)
	s_barrier
	v_and_b32_e32 v20, 0xff, v93
	buffer_gl0_inv
	; wave barrier
	v_lshrrev_b32_e32 v20, s49, v20
	s_delay_alu instid0(VALU_DEP_1) | instskip(NEXT) | instid1(VALU_DEP_1)
	v_and_b32_e32 v21, s31, v20
	v_and_b32_e32 v20, 1, v21
	v_lshlrev_b32_e32 v94, 30, v21
	v_lshlrev_b32_e32 v96, 29, v21
	v_lshlrev_b32_e32 v97, 28, v21
	v_lshlrev_b32_e32 v99, 27, v21
	v_add_co_u32 v20, s16, v20, -1
	s_delay_alu instid0(VALU_DEP_1)
	v_cndmask_b32_e64 v98, 0, 1, s16
	v_not_b32_e32 v102, v94
	v_cmp_gt_i32_e64 s16, 0, v94
	v_not_b32_e32 v94, v96
	v_lshlrev_b32_e32 v100, 26, v21
	v_cmp_ne_u32_e32 vcc_lo, 0, v98
	v_ashrrev_i32_e32 v102, 31, v102
	v_lshlrev_b32_e32 v101, 25, v21
	v_ashrrev_i32_e32 v94, 31, v94
	v_lshlrev_b32_e32 v98, 24, v21
	v_xor_b32_e32 v20, vcc_lo, v20
	v_cmp_gt_i32_e32 vcc_lo, 0, v96
	v_not_b32_e32 v96, v97
	v_xor_b32_e32 v102, s16, v102
	v_cmp_gt_i32_e64 s16, 0, v97
	v_and_b32_e32 v20, exec_lo, v20
	v_not_b32_e32 v97, v99
	v_ashrrev_i32_e32 v96, 31, v96
	v_xor_b32_e32 v94, vcc_lo, v94
	v_cmp_gt_i32_e32 vcc_lo, 0, v99
	v_and_b32_e32 v20, v20, v102
	v_not_b32_e32 v99, v100
	v_ashrrev_i32_e32 v97, 31, v97
	v_xor_b32_e32 v96, s16, v96
	v_cmp_gt_i32_e64 s16, 0, v100
	v_and_b32_e32 v20, v20, v94
	v_not_b32_e32 v94, v101
	v_ashrrev_i32_e32 v99, 31, v99
	v_xor_b32_e32 v97, vcc_lo, v97
	v_cmp_gt_i32_e32 vcc_lo, 0, v101
	v_and_b32_e32 v20, v20, v96
	v_not_b32_e32 v96, v98
	v_ashrrev_i32_e32 v94, 31, v94
	v_xor_b32_e32 v99, s16, v99
	v_cmp_gt_i32_e64 s16, 0, v98
	v_and_b32_e32 v20, v20, v97
	v_ashrrev_i32_e32 v96, 31, v96
	v_xor_b32_e32 v94, vcc_lo, v94
	v_mad_u32_u24 v21, v21, 9, v82
	s_delay_alu instid0(VALU_DEP_4) | instskip(NEXT) | instid1(VALU_DEP_4)
	v_and_b32_e32 v20, v20, v99
	v_xor_b32_e32 v96, s16, v96
	s_delay_alu instid0(VALU_DEP_2) | instskip(NEXT) | instid1(VALU_DEP_1)
	v_and_b32_e32 v20, v20, v94
	v_and_b32_e32 v20, v20, v96
	v_lshl_add_u32 v96, v21, 2, 0x420
	s_delay_alu instid0(VALU_DEP_2) | instskip(SKIP_1) | instid1(VALU_DEP_2)
	v_mbcnt_lo_u32_b32 v94, v20, 0
	v_cmp_ne_u32_e64 s16, 0, v20
	v_cmp_eq_u32_e32 vcc_lo, 0, v94
	s_delay_alu instid0(VALU_DEP_2) | instskip(NEXT) | instid1(SALU_CYCLE_1)
	s_and_b32 s17, s16, vcc_lo
	s_and_saveexec_b32 s16, s17
	s_cbranch_execz .LBB401_582
; %bb.581:                              ;   in Loop: Header=BB401_566 Depth=2
	v_bcnt_u32_b32 v20, v20, 0
	ds_store_b32 v96, v20
.LBB401_582:                            ;   in Loop: Header=BB401_566 Depth=2
	s_or_b32 exec_lo, exec_lo, s16
	v_xor_b32_e32 v95, 0xffffff80, v95
	; wave barrier
	s_delay_alu instid0(VALU_DEP_1) | instskip(NEXT) | instid1(VALU_DEP_1)
	v_and_b32_e32 v20, 0xff, v95
	v_lshrrev_b32_e32 v20, s49, v20
	s_delay_alu instid0(VALU_DEP_1) | instskip(NEXT) | instid1(VALU_DEP_1)
	v_and_b32_e32 v20, s31, v20
	v_and_b32_e32 v21, 1, v20
	v_lshlrev_b32_e32 v97, 30, v20
	v_lshlrev_b32_e32 v98, 29, v20
	;; [unrolled: 1-line block ×4, first 2 shown]
	v_add_co_u32 v21, s16, v21, -1
	s_delay_alu instid0(VALU_DEP_1)
	v_cndmask_b32_e64 v100, 0, 1, s16
	v_not_b32_e32 v104, v97
	v_cmp_gt_i32_e64 s16, 0, v97
	v_not_b32_e32 v97, v98
	v_lshlrev_b32_e32 v102, 26, v20
	v_cmp_ne_u32_e32 vcc_lo, 0, v100
	v_ashrrev_i32_e32 v104, 31, v104
	v_lshlrev_b32_e32 v103, 25, v20
	v_ashrrev_i32_e32 v97, 31, v97
	v_lshlrev_b32_e32 v100, 24, v20
	v_xor_b32_e32 v21, vcc_lo, v21
	v_cmp_gt_i32_e32 vcc_lo, 0, v98
	v_not_b32_e32 v98, v99
	v_xor_b32_e32 v104, s16, v104
	v_cmp_gt_i32_e64 s16, 0, v99
	v_and_b32_e32 v21, exec_lo, v21
	v_not_b32_e32 v99, v101
	v_ashrrev_i32_e32 v98, 31, v98
	v_xor_b32_e32 v97, vcc_lo, v97
	v_cmp_gt_i32_e32 vcc_lo, 0, v101
	v_and_b32_e32 v21, v21, v104
	v_not_b32_e32 v101, v102
	v_ashrrev_i32_e32 v99, 31, v99
	v_xor_b32_e32 v98, s16, v98
	v_cmp_gt_i32_e64 s16, 0, v102
	v_and_b32_e32 v21, v21, v97
	v_not_b32_e32 v97, v103
	v_ashrrev_i32_e32 v101, 31, v101
	v_xor_b32_e32 v99, vcc_lo, v99
	v_cmp_gt_i32_e32 vcc_lo, 0, v103
	v_and_b32_e32 v21, v21, v98
	v_not_b32_e32 v98, v100
	v_ashrrev_i32_e32 v97, 31, v97
	v_xor_b32_e32 v101, s16, v101
	v_mul_u32_u24_e32 v20, 9, v20
	v_and_b32_e32 v21, v21, v99
	v_cmp_gt_i32_e64 s16, 0, v100
	v_ashrrev_i32_e32 v98, 31, v98
	v_xor_b32_e32 v97, vcc_lo, v97
	v_add_lshl_u32 v99, v20, v82, 2
	v_and_b32_e32 v21, v21, v101
	s_delay_alu instid0(VALU_DEP_4) | instskip(NEXT) | instid1(VALU_DEP_3)
	v_xor_b32_e32 v20, s16, v98
	v_add_nc_u32_e32 v100, 0x420, v99
	s_delay_alu instid0(VALU_DEP_3) | instskip(SKIP_2) | instid1(VALU_DEP_1)
	v_and_b32_e32 v21, v21, v97
	ds_load_b32 v97, v99 offset:1056
	; wave barrier
	v_and_b32_e32 v20, v21, v20
	v_mbcnt_lo_u32_b32 v98, v20, 0
	v_cmp_ne_u32_e64 s16, 0, v20
	s_delay_alu instid0(VALU_DEP_2) | instskip(NEXT) | instid1(VALU_DEP_2)
	v_cmp_eq_u32_e32 vcc_lo, 0, v98
	s_and_b32 s17, s16, vcc_lo
	s_delay_alu instid0(SALU_CYCLE_1)
	s_and_saveexec_b32 s16, s17
	s_cbranch_execz .LBB401_584
; %bb.583:                              ;   in Loop: Header=BB401_566 Depth=2
	s_waitcnt lgkmcnt(0)
	v_bcnt_u32_b32 v20, v20, v97
	ds_store_b32 v100, v20
.LBB401_584:                            ;   in Loop: Header=BB401_566 Depth=2
	s_or_b32 exec_lo, exec_lo, s16
	v_xor_b32_e32 v99, 0xffffff80, v27
	; wave barrier
	s_delay_alu instid0(VALU_DEP_1) | instskip(NEXT) | instid1(VALU_DEP_1)
	v_and_b32_e32 v20, 0xff, v99
	v_lshrrev_b32_e32 v20, s49, v20
	s_delay_alu instid0(VALU_DEP_1) | instskip(NEXT) | instid1(VALU_DEP_1)
	v_and_b32_e32 v20, s31, v20
	v_and_b32_e32 v21, 1, v20
	v_lshlrev_b32_e32 v27, 30, v20
	v_lshlrev_b32_e32 v101, 29, v20
	;; [unrolled: 1-line block ×4, first 2 shown]
	v_add_co_u32 v21, s16, v21, -1
	s_delay_alu instid0(VALU_DEP_1)
	v_cndmask_b32_e64 v103, 0, 1, s16
	v_not_b32_e32 v107, v27
	v_cmp_gt_i32_e64 s16, 0, v27
	v_not_b32_e32 v27, v101
	v_lshlrev_b32_e32 v105, 26, v20
	v_cmp_ne_u32_e32 vcc_lo, 0, v103
	v_ashrrev_i32_e32 v107, 31, v107
	v_lshlrev_b32_e32 v106, 25, v20
	v_ashrrev_i32_e32 v27, 31, v27
	v_lshlrev_b32_e32 v103, 24, v20
	v_xor_b32_e32 v21, vcc_lo, v21
	v_cmp_gt_i32_e32 vcc_lo, 0, v101
	v_not_b32_e32 v101, v102
	v_xor_b32_e32 v107, s16, v107
	v_cmp_gt_i32_e64 s16, 0, v102
	v_and_b32_e32 v21, exec_lo, v21
	v_not_b32_e32 v102, v104
	v_ashrrev_i32_e32 v101, 31, v101
	v_xor_b32_e32 v27, vcc_lo, v27
	v_cmp_gt_i32_e32 vcc_lo, 0, v104
	v_and_b32_e32 v21, v21, v107
	v_not_b32_e32 v104, v105
	v_ashrrev_i32_e32 v102, 31, v102
	v_xor_b32_e32 v101, s16, v101
	v_cmp_gt_i32_e64 s16, 0, v105
	v_and_b32_e32 v21, v21, v27
	v_not_b32_e32 v27, v106
	v_ashrrev_i32_e32 v104, 31, v104
	v_xor_b32_e32 v102, vcc_lo, v102
	v_cmp_gt_i32_e32 vcc_lo, 0, v106
	v_and_b32_e32 v21, v21, v101
	v_not_b32_e32 v101, v103
	v_ashrrev_i32_e32 v27, 31, v27
	v_xor_b32_e32 v104, s16, v104
	v_mul_u32_u24_e32 v20, 9, v20
	v_and_b32_e32 v21, v21, v102
	v_cmp_gt_i32_e64 s16, 0, v103
	v_ashrrev_i32_e32 v101, 31, v101
	v_xor_b32_e32 v27, vcc_lo, v27
	v_add_lshl_u32 v103, v20, v82, 2
	v_and_b32_e32 v21, v21, v104
	s_delay_alu instid0(VALU_DEP_4) | instskip(SKIP_3) | instid1(VALU_DEP_2)
	v_xor_b32_e32 v20, s16, v101
	ds_load_b32 v101, v103 offset:1056
	v_and_b32_e32 v21, v21, v27
	v_add_nc_u32_e32 v104, 0x420, v103
	; wave barrier
	v_and_b32_e32 v20, v21, v20
	s_delay_alu instid0(VALU_DEP_1) | instskip(SKIP_1) | instid1(VALU_DEP_2)
	v_mbcnt_lo_u32_b32 v102, v20, 0
	v_cmp_ne_u32_e64 s16, 0, v20
	v_cmp_eq_u32_e32 vcc_lo, 0, v102
	s_delay_alu instid0(VALU_DEP_2) | instskip(NEXT) | instid1(SALU_CYCLE_1)
	s_and_b32 s17, s16, vcc_lo
	s_and_saveexec_b32 s16, s17
	s_cbranch_execz .LBB401_586
; %bb.585:                              ;   in Loop: Header=BB401_566 Depth=2
	s_waitcnt lgkmcnt(0)
	v_bcnt_u32_b32 v20, v20, v101
	ds_store_b32 v104, v20
.LBB401_586:                            ;   in Loop: Header=BB401_566 Depth=2
	s_or_b32 exec_lo, exec_lo, s16
	v_xor_b32_e32 v103, 0xffffff80, v26
	; wave barrier
	s_delay_alu instid0(VALU_DEP_1) | instskip(NEXT) | instid1(VALU_DEP_1)
	v_and_b32_e32 v20, 0xff, v103
	v_lshrrev_b32_e32 v20, s49, v20
	s_delay_alu instid0(VALU_DEP_1) | instskip(NEXT) | instid1(VALU_DEP_1)
	v_and_b32_e32 v20, s31, v20
	v_and_b32_e32 v21, 1, v20
	v_lshlrev_b32_e32 v26, 30, v20
	v_lshlrev_b32_e32 v27, 29, v20
	;; [unrolled: 1-line block ×4, first 2 shown]
	v_add_co_u32 v21, s16, v21, -1
	s_delay_alu instid0(VALU_DEP_1)
	v_cndmask_b32_e64 v106, 0, 1, s16
	v_not_b32_e32 v110, v26
	v_cmp_gt_i32_e64 s16, 0, v26
	v_not_b32_e32 v26, v27
	v_lshlrev_b32_e32 v108, 26, v20
	v_cmp_ne_u32_e32 vcc_lo, 0, v106
	v_ashrrev_i32_e32 v110, 31, v110
	v_lshlrev_b32_e32 v109, 25, v20
	v_ashrrev_i32_e32 v26, 31, v26
	v_lshlrev_b32_e32 v106, 24, v20
	v_xor_b32_e32 v21, vcc_lo, v21
	v_cmp_gt_i32_e32 vcc_lo, 0, v27
	v_not_b32_e32 v27, v105
	v_xor_b32_e32 v110, s16, v110
	v_cmp_gt_i32_e64 s16, 0, v105
	v_and_b32_e32 v21, exec_lo, v21
	v_not_b32_e32 v105, v107
	v_ashrrev_i32_e32 v27, 31, v27
	v_xor_b32_e32 v26, vcc_lo, v26
	v_cmp_gt_i32_e32 vcc_lo, 0, v107
	v_and_b32_e32 v21, v21, v110
	v_not_b32_e32 v107, v108
	v_ashrrev_i32_e32 v105, 31, v105
	v_xor_b32_e32 v27, s16, v27
	v_cmp_gt_i32_e64 s16, 0, v108
	v_and_b32_e32 v21, v21, v26
	v_not_b32_e32 v26, v109
	v_ashrrev_i32_e32 v107, 31, v107
	v_xor_b32_e32 v105, vcc_lo, v105
	v_cmp_gt_i32_e32 vcc_lo, 0, v109
	v_and_b32_e32 v21, v21, v27
	v_not_b32_e32 v27, v106
	v_ashrrev_i32_e32 v26, 31, v26
	v_xor_b32_e32 v107, s16, v107
	v_mul_u32_u24_e32 v20, 9, v20
	v_and_b32_e32 v21, v21, v105
	v_cmp_gt_i32_e64 s16, 0, v106
	v_ashrrev_i32_e32 v27, 31, v27
	v_xor_b32_e32 v26, vcc_lo, v26
	s_delay_alu instid0(VALU_DEP_4) | instskip(SKIP_1) | instid1(VALU_DEP_4)
	v_and_b32_e32 v21, v21, v107
	v_add_lshl_u32 v107, v20, v82, 2
	v_xor_b32_e32 v20, s16, v27
	s_delay_alu instid0(VALU_DEP_3) | instskip(SKIP_3) | instid1(VALU_DEP_1)
	v_and_b32_e32 v21, v21, v26
	ds_load_b32 v105, v107 offset:1056
	v_add_nc_u32_e32 v108, 0x420, v107
	; wave barrier
	v_and_b32_e32 v20, v21, v20
	v_mbcnt_lo_u32_b32 v106, v20, 0
	v_cmp_ne_u32_e64 s16, 0, v20
	s_delay_alu instid0(VALU_DEP_2) | instskip(NEXT) | instid1(VALU_DEP_2)
	v_cmp_eq_u32_e32 vcc_lo, 0, v106
	s_and_b32 s17, s16, vcc_lo
	s_delay_alu instid0(SALU_CYCLE_1)
	s_and_saveexec_b32 s16, s17
	s_cbranch_execz .LBB401_588
; %bb.587:                              ;   in Loop: Header=BB401_566 Depth=2
	s_waitcnt lgkmcnt(0)
	v_bcnt_u32_b32 v20, v20, v105
	ds_store_b32 v108, v20
.LBB401_588:                            ;   in Loop: Header=BB401_566 Depth=2
	s_or_b32 exec_lo, exec_lo, s16
	v_xor_b32_e32 v107, 0xffffff80, v25
	; wave barrier
	s_delay_alu instid0(VALU_DEP_1) | instskip(NEXT) | instid1(VALU_DEP_1)
	v_and_b32_e32 v20, 0xff, v107
	v_lshrrev_b32_e32 v20, s49, v20
	s_delay_alu instid0(VALU_DEP_1) | instskip(NEXT) | instid1(VALU_DEP_1)
	v_and_b32_e32 v20, s31, v20
	v_and_b32_e32 v21, 1, v20
	v_lshlrev_b32_e32 v25, 30, v20
	v_lshlrev_b32_e32 v26, 29, v20
	;; [unrolled: 1-line block ×4, first 2 shown]
	v_add_co_u32 v21, s16, v21, -1
	s_delay_alu instid0(VALU_DEP_1)
	v_cndmask_b32_e64 v109, 0, 1, s16
	v_not_b32_e32 v113, v25
	v_cmp_gt_i32_e64 s16, 0, v25
	v_not_b32_e32 v25, v26
	v_lshlrev_b32_e32 v111, 26, v20
	v_cmp_ne_u32_e32 vcc_lo, 0, v109
	v_ashrrev_i32_e32 v113, 31, v113
	v_lshlrev_b32_e32 v112, 25, v20
	v_ashrrev_i32_e32 v25, 31, v25
	v_lshlrev_b32_e32 v109, 24, v20
	v_xor_b32_e32 v21, vcc_lo, v21
	v_cmp_gt_i32_e32 vcc_lo, 0, v26
	v_not_b32_e32 v26, v27
	v_xor_b32_e32 v113, s16, v113
	v_cmp_gt_i32_e64 s16, 0, v27
	v_and_b32_e32 v21, exec_lo, v21
	v_not_b32_e32 v27, v110
	v_ashrrev_i32_e32 v26, 31, v26
	v_xor_b32_e32 v25, vcc_lo, v25
	v_cmp_gt_i32_e32 vcc_lo, 0, v110
	v_and_b32_e32 v21, v21, v113
	v_not_b32_e32 v110, v111
	v_ashrrev_i32_e32 v27, 31, v27
	v_xor_b32_e32 v26, s16, v26
	v_cmp_gt_i32_e64 s16, 0, v111
	v_and_b32_e32 v21, v21, v25
	v_not_b32_e32 v25, v112
	v_ashrrev_i32_e32 v110, 31, v110
	v_xor_b32_e32 v27, vcc_lo, v27
	v_cmp_gt_i32_e32 vcc_lo, 0, v112
	v_and_b32_e32 v21, v21, v26
	v_not_b32_e32 v26, v109
	v_ashrrev_i32_e32 v25, 31, v25
	v_xor_b32_e32 v110, s16, v110
	v_mul_u32_u24_e32 v20, 9, v20
	v_and_b32_e32 v21, v21, v27
	v_cmp_gt_i32_e64 s16, 0, v109
	v_ashrrev_i32_e32 v26, 31, v26
	v_xor_b32_e32 v25, vcc_lo, v25
	v_add_lshl_u32 v27, v20, v82, 2
	v_and_b32_e32 v21, v21, v110
	s_delay_alu instid0(VALU_DEP_4) | instskip(SKIP_3) | instid1(VALU_DEP_2)
	v_xor_b32_e32 v20, s16, v26
	ds_load_b32 v109, v27 offset:1056
	v_and_b32_e32 v21, v21, v25
	v_add_nc_u32_e32 v112, 0x420, v27
	; wave barrier
	v_and_b32_e32 v20, v21, v20
	s_delay_alu instid0(VALU_DEP_1) | instskip(SKIP_1) | instid1(VALU_DEP_2)
	v_mbcnt_lo_u32_b32 v110, v20, 0
	v_cmp_ne_u32_e64 s16, 0, v20
	v_cmp_eq_u32_e32 vcc_lo, 0, v110
	s_delay_alu instid0(VALU_DEP_2) | instskip(NEXT) | instid1(SALU_CYCLE_1)
	s_and_b32 s17, s16, vcc_lo
	s_and_saveexec_b32 s16, s17
	s_cbranch_execz .LBB401_590
; %bb.589:                              ;   in Loop: Header=BB401_566 Depth=2
	s_waitcnt lgkmcnt(0)
	v_bcnt_u32_b32 v20, v20, v109
	ds_store_b32 v112, v20
.LBB401_590:                            ;   in Loop: Header=BB401_566 Depth=2
	s_or_b32 exec_lo, exec_lo, s16
	v_xor_b32_e32 v111, 0xffffff80, v24
	; wave barrier
	s_delay_alu instid0(VALU_DEP_1) | instskip(NEXT) | instid1(VALU_DEP_1)
	v_and_b32_e32 v20, 0xff, v111
	v_lshrrev_b32_e32 v20, s49, v20
	s_delay_alu instid0(VALU_DEP_1) | instskip(NEXT) | instid1(VALU_DEP_1)
	v_and_b32_e32 v20, s31, v20
	v_and_b32_e32 v21, 1, v20
	v_lshlrev_b32_e32 v24, 30, v20
	v_lshlrev_b32_e32 v25, 29, v20
	;; [unrolled: 1-line block ×4, first 2 shown]
	v_add_co_u32 v21, s16, v21, -1
	s_delay_alu instid0(VALU_DEP_1)
	v_cndmask_b32_e64 v27, 0, 1, s16
	v_not_b32_e32 v116, v24
	v_cmp_gt_i32_e64 s16, 0, v24
	v_not_b32_e32 v24, v25
	v_lshlrev_b32_e32 v114, 26, v20
	v_cmp_ne_u32_e32 vcc_lo, 0, v27
	v_ashrrev_i32_e32 v116, 31, v116
	v_lshlrev_b32_e32 v115, 25, v20
	v_ashrrev_i32_e32 v24, 31, v24
	v_lshlrev_b32_e32 v27, 24, v20
	v_xor_b32_e32 v21, vcc_lo, v21
	v_cmp_gt_i32_e32 vcc_lo, 0, v25
	v_not_b32_e32 v25, v26
	v_xor_b32_e32 v116, s16, v116
	v_cmp_gt_i32_e64 s16, 0, v26
	v_and_b32_e32 v21, exec_lo, v21
	v_not_b32_e32 v26, v113
	v_ashrrev_i32_e32 v25, 31, v25
	v_xor_b32_e32 v24, vcc_lo, v24
	v_cmp_gt_i32_e32 vcc_lo, 0, v113
	v_and_b32_e32 v21, v21, v116
	v_not_b32_e32 v113, v114
	v_ashrrev_i32_e32 v26, 31, v26
	v_xor_b32_e32 v25, s16, v25
	v_cmp_gt_i32_e64 s16, 0, v114
	v_and_b32_e32 v21, v21, v24
	v_not_b32_e32 v24, v115
	v_ashrrev_i32_e32 v113, 31, v113
	v_xor_b32_e32 v26, vcc_lo, v26
	v_cmp_gt_i32_e32 vcc_lo, 0, v115
	v_and_b32_e32 v21, v21, v25
	v_not_b32_e32 v25, v27
	v_ashrrev_i32_e32 v24, 31, v24
	v_xor_b32_e32 v113, s16, v113
	v_mul_u32_u24_e32 v20, 9, v20
	v_and_b32_e32 v21, v21, v26
	v_cmp_gt_i32_e64 s16, 0, v27
	v_ashrrev_i32_e32 v25, 31, v25
	v_xor_b32_e32 v24, vcc_lo, v24
	v_add_lshl_u32 v26, v20, v82, 2
	v_and_b32_e32 v21, v21, v113
	s_delay_alu instid0(VALU_DEP_4) | instskip(SKIP_3) | instid1(VALU_DEP_2)
	v_xor_b32_e32 v20, s16, v25
	ds_load_b32 v113, v26 offset:1056
	v_and_b32_e32 v21, v21, v24
	v_add_nc_u32_e32 v116, 0x420, v26
	; wave barrier
	v_and_b32_e32 v20, v21, v20
	s_delay_alu instid0(VALU_DEP_1) | instskip(SKIP_1) | instid1(VALU_DEP_2)
	v_mbcnt_lo_u32_b32 v114, v20, 0
	v_cmp_ne_u32_e64 s16, 0, v20
	v_cmp_eq_u32_e32 vcc_lo, 0, v114
	s_delay_alu instid0(VALU_DEP_2) | instskip(NEXT) | instid1(SALU_CYCLE_1)
	s_and_b32 s17, s16, vcc_lo
	s_and_saveexec_b32 s16, s17
	s_cbranch_execz .LBB401_592
; %bb.591:                              ;   in Loop: Header=BB401_566 Depth=2
	s_waitcnt lgkmcnt(0)
	v_bcnt_u32_b32 v20, v20, v113
	ds_store_b32 v116, v20
.LBB401_592:                            ;   in Loop: Header=BB401_566 Depth=2
	s_or_b32 exec_lo, exec_lo, s16
	v_xor_b32_e32 v115, 0xffffff80, v23
	; wave barrier
	s_delay_alu instid0(VALU_DEP_1) | instskip(NEXT) | instid1(VALU_DEP_1)
	v_and_b32_e32 v20, 0xff, v115
	v_lshrrev_b32_e32 v20, s49, v20
	s_delay_alu instid0(VALU_DEP_1) | instskip(NEXT) | instid1(VALU_DEP_1)
	v_and_b32_e32 v20, s31, v20
	v_and_b32_e32 v21, 1, v20
	v_lshlrev_b32_e32 v23, 30, v20
	v_lshlrev_b32_e32 v24, 29, v20
	v_lshlrev_b32_e32 v25, 28, v20
	v_lshlrev_b32_e32 v27, 27, v20
	v_add_co_u32 v21, s16, v21, -1
	s_delay_alu instid0(VALU_DEP_1)
	v_cndmask_b32_e64 v26, 0, 1, s16
	v_not_b32_e32 v119, v23
	v_cmp_gt_i32_e64 s16, 0, v23
	v_not_b32_e32 v23, v24
	v_lshlrev_b32_e32 v117, 26, v20
	v_cmp_ne_u32_e32 vcc_lo, 0, v26
	v_ashrrev_i32_e32 v119, 31, v119
	v_lshlrev_b32_e32 v118, 25, v20
	v_ashrrev_i32_e32 v23, 31, v23
	v_lshlrev_b32_e32 v26, 24, v20
	v_xor_b32_e32 v21, vcc_lo, v21
	v_cmp_gt_i32_e32 vcc_lo, 0, v24
	v_not_b32_e32 v24, v25
	v_xor_b32_e32 v119, s16, v119
	v_cmp_gt_i32_e64 s16, 0, v25
	v_and_b32_e32 v21, exec_lo, v21
	v_not_b32_e32 v25, v27
	v_ashrrev_i32_e32 v24, 31, v24
	v_xor_b32_e32 v23, vcc_lo, v23
	v_cmp_gt_i32_e32 vcc_lo, 0, v27
	v_and_b32_e32 v21, v21, v119
	v_not_b32_e32 v27, v117
	v_ashrrev_i32_e32 v25, 31, v25
	v_xor_b32_e32 v24, s16, v24
	v_cmp_gt_i32_e64 s16, 0, v117
	v_and_b32_e32 v21, v21, v23
	v_not_b32_e32 v23, v118
	v_ashrrev_i32_e32 v27, 31, v27
	v_xor_b32_e32 v25, vcc_lo, v25
	v_cmp_gt_i32_e32 vcc_lo, 0, v118
	v_and_b32_e32 v21, v21, v24
	v_not_b32_e32 v24, v26
	v_ashrrev_i32_e32 v23, 31, v23
	v_xor_b32_e32 v27, s16, v27
	v_mul_u32_u24_e32 v20, 9, v20
	v_and_b32_e32 v21, v21, v25
	v_cmp_gt_i32_e64 s16, 0, v26
	v_ashrrev_i32_e32 v24, 31, v24
	v_xor_b32_e32 v23, vcc_lo, v23
	v_add_lshl_u32 v25, v20, v82, 2
	v_and_b32_e32 v21, v21, v27
	s_delay_alu instid0(VALU_DEP_4) | instskip(SKIP_3) | instid1(VALU_DEP_2)
	v_xor_b32_e32 v20, s16, v24
	ds_load_b32 v117, v25 offset:1056
	v_and_b32_e32 v21, v21, v23
	v_add_nc_u32_e32 v120, 0x420, v25
	; wave barrier
	v_and_b32_e32 v20, v21, v20
	s_delay_alu instid0(VALU_DEP_1) | instskip(SKIP_1) | instid1(VALU_DEP_2)
	v_mbcnt_lo_u32_b32 v118, v20, 0
	v_cmp_ne_u32_e64 s16, 0, v20
	v_cmp_eq_u32_e32 vcc_lo, 0, v118
	s_delay_alu instid0(VALU_DEP_2) | instskip(NEXT) | instid1(SALU_CYCLE_1)
	s_and_b32 s17, s16, vcc_lo
	s_and_saveexec_b32 s16, s17
	s_cbranch_execz .LBB401_594
; %bb.593:                              ;   in Loop: Header=BB401_566 Depth=2
	s_waitcnt lgkmcnt(0)
	v_bcnt_u32_b32 v20, v20, v117
	ds_store_b32 v120, v20
.LBB401_594:                            ;   in Loop: Header=BB401_566 Depth=2
	s_or_b32 exec_lo, exec_lo, s16
	v_xor_b32_e32 v119, 0xffffff80, v22
	; wave barrier
	s_delay_alu instid0(VALU_DEP_1) | instskip(NEXT) | instid1(VALU_DEP_1)
	v_and_b32_e32 v20, 0xff, v119
	v_lshrrev_b32_e32 v20, s49, v20
	s_delay_alu instid0(VALU_DEP_1) | instskip(NEXT) | instid1(VALU_DEP_1)
	v_and_b32_e32 v20, s31, v20
	v_and_b32_e32 v21, 1, v20
	v_lshlrev_b32_e32 v22, 30, v20
	v_lshlrev_b32_e32 v23, 29, v20
	;; [unrolled: 1-line block ×4, first 2 shown]
	v_add_co_u32 v21, s16, v21, -1
	s_delay_alu instid0(VALU_DEP_1)
	v_cndmask_b32_e64 v25, 0, 1, s16
	v_not_b32_e32 v122, v22
	v_cmp_gt_i32_e64 s16, 0, v22
	v_not_b32_e32 v22, v23
	v_lshlrev_b32_e32 v27, 26, v20
	v_cmp_ne_u32_e32 vcc_lo, 0, v25
	v_ashrrev_i32_e32 v122, 31, v122
	v_lshlrev_b32_e32 v121, 25, v20
	v_ashrrev_i32_e32 v22, 31, v22
	v_lshlrev_b32_e32 v25, 24, v20
	v_xor_b32_e32 v21, vcc_lo, v21
	v_cmp_gt_i32_e32 vcc_lo, 0, v23
	v_not_b32_e32 v23, v24
	v_xor_b32_e32 v122, s16, v122
	v_cmp_gt_i32_e64 s16, 0, v24
	v_and_b32_e32 v21, exec_lo, v21
	v_not_b32_e32 v24, v26
	v_ashrrev_i32_e32 v23, 31, v23
	v_xor_b32_e32 v22, vcc_lo, v22
	v_cmp_gt_i32_e32 vcc_lo, 0, v26
	v_and_b32_e32 v21, v21, v122
	v_not_b32_e32 v26, v27
	v_ashrrev_i32_e32 v24, 31, v24
	v_xor_b32_e32 v23, s16, v23
	v_cmp_gt_i32_e64 s16, 0, v27
	v_and_b32_e32 v21, v21, v22
	v_not_b32_e32 v22, v121
	v_ashrrev_i32_e32 v26, 31, v26
	v_xor_b32_e32 v24, vcc_lo, v24
	v_cmp_gt_i32_e32 vcc_lo, 0, v121
	v_and_b32_e32 v21, v21, v23
	v_not_b32_e32 v23, v25
	v_ashrrev_i32_e32 v22, 31, v22
	v_xor_b32_e32 v26, s16, v26
	v_mul_u32_u24_e32 v20, 9, v20
	v_and_b32_e32 v21, v21, v24
	v_cmp_gt_i32_e64 s16, 0, v25
	v_ashrrev_i32_e32 v23, 31, v23
	v_xor_b32_e32 v22, vcc_lo, v22
	v_add_lshl_u32 v24, v20, v82, 2
	v_and_b32_e32 v21, v21, v26
	s_delay_alu instid0(VALU_DEP_4) | instskip(SKIP_3) | instid1(VALU_DEP_2)
	v_xor_b32_e32 v20, s16, v23
	ds_load_b32 v121, v24 offset:1056
	v_and_b32_e32 v21, v21, v22
	v_add_nc_u32_e32 v123, 0x420, v24
	; wave barrier
	v_and_b32_e32 v20, v21, v20
	s_delay_alu instid0(VALU_DEP_1) | instskip(SKIP_1) | instid1(VALU_DEP_2)
	v_mbcnt_lo_u32_b32 v122, v20, 0
	v_cmp_ne_u32_e64 s16, 0, v20
	v_cmp_eq_u32_e32 vcc_lo, 0, v122
	s_delay_alu instid0(VALU_DEP_2) | instskip(NEXT) | instid1(SALU_CYCLE_1)
	s_and_b32 s17, s16, vcc_lo
	s_and_saveexec_b32 s16, s17
	s_cbranch_execz .LBB401_596
; %bb.595:                              ;   in Loop: Header=BB401_566 Depth=2
	s_waitcnt lgkmcnt(0)
	v_bcnt_u32_b32 v20, v20, v121
	ds_store_b32 v123, v20
.LBB401_596:                            ;   in Loop: Header=BB401_566 Depth=2
	s_or_b32 exec_lo, exec_lo, s16
	; wave barrier
	s_waitcnt lgkmcnt(0)
	s_barrier
	buffer_gl0_inv
	ds_load_b32 v124, v46 offset:1056
	ds_load_2addr_b32 v[26:27], v47 offset0:1 offset1:2
	ds_load_2addr_b32 v[24:25], v47 offset0:3 offset1:4
	ds_load_2addr_b32 v[20:21], v47 offset0:5 offset1:6
	ds_load_2addr_b32 v[22:23], v47 offset0:7 offset1:8
	s_waitcnt lgkmcnt(3)
	v_add3_u32 v125, v26, v124, v27
	s_waitcnt lgkmcnt(2)
	s_delay_alu instid0(VALU_DEP_1) | instskip(SKIP_1) | instid1(VALU_DEP_1)
	v_add3_u32 v125, v125, v24, v25
	s_waitcnt lgkmcnt(1)
	v_add3_u32 v125, v125, v20, v21
	s_waitcnt lgkmcnt(0)
	s_delay_alu instid0(VALU_DEP_1) | instskip(NEXT) | instid1(VALU_DEP_1)
	v_add3_u32 v23, v125, v22, v23
	v_mov_b32_dpp v125, v23 row_shr:1 row_mask:0xf bank_mask:0xf
	s_delay_alu instid0(VALU_DEP_1) | instskip(NEXT) | instid1(VALU_DEP_1)
	v_cndmask_b32_e64 v125, v125, 0, s0
	v_add_nc_u32_e32 v23, v125, v23
	s_delay_alu instid0(VALU_DEP_1) | instskip(NEXT) | instid1(VALU_DEP_1)
	v_mov_b32_dpp v125, v23 row_shr:2 row_mask:0xf bank_mask:0xf
	v_cndmask_b32_e64 v125, 0, v125, s1
	s_delay_alu instid0(VALU_DEP_1) | instskip(NEXT) | instid1(VALU_DEP_1)
	v_add_nc_u32_e32 v23, v23, v125
	v_mov_b32_dpp v125, v23 row_shr:4 row_mask:0xf bank_mask:0xf
	s_delay_alu instid0(VALU_DEP_1) | instskip(NEXT) | instid1(VALU_DEP_1)
	v_cndmask_b32_e64 v125, 0, v125, s8
	v_add_nc_u32_e32 v23, v23, v125
	s_delay_alu instid0(VALU_DEP_1) | instskip(NEXT) | instid1(VALU_DEP_1)
	v_mov_b32_dpp v125, v23 row_shr:8 row_mask:0xf bank_mask:0xf
	v_cndmask_b32_e64 v125, 0, v125, s9
	s_delay_alu instid0(VALU_DEP_1) | instskip(SKIP_3) | instid1(VALU_DEP_1)
	v_add_nc_u32_e32 v23, v23, v125
	ds_swizzle_b32 v125, v23 offset:swizzle(BROADCAST,32,15)
	s_waitcnt lgkmcnt(0)
	v_cndmask_b32_e64 v125, v125, 0, s10
	v_add_nc_u32_e32 v23, v23, v125
	s_and_saveexec_b32 s16, s3
	s_cbranch_execz .LBB401_598
; %bb.597:                              ;   in Loop: Header=BB401_566 Depth=2
	ds_store_b32 v38, v23 offset:1024
.LBB401_598:                            ;   in Loop: Header=BB401_566 Depth=2
	s_or_b32 exec_lo, exec_lo, s16
	s_waitcnt lgkmcnt(0)
	s_barrier
	buffer_gl0_inv
	s_and_saveexec_b32 s16, s4
	s_cbranch_execz .LBB401_600
; %bb.599:                              ;   in Loop: Header=BB401_566 Depth=2
	v_add_nc_u32_e32 v125, v46, v48
	ds_load_b32 v126, v125 offset:1024
	s_waitcnt lgkmcnt(0)
	v_mov_b32_dpp v127, v126 row_shr:1 row_mask:0xf bank_mask:0xf
	s_delay_alu instid0(VALU_DEP_1) | instskip(NEXT) | instid1(VALU_DEP_1)
	v_cndmask_b32_e64 v127, v127, 0, s12
	v_add_nc_u32_e32 v126, v127, v126
	s_delay_alu instid0(VALU_DEP_1) | instskip(NEXT) | instid1(VALU_DEP_1)
	v_mov_b32_dpp v127, v126 row_shr:2 row_mask:0xf bank_mask:0xf
	v_cndmask_b32_e64 v127, 0, v127, s13
	s_delay_alu instid0(VALU_DEP_1) | instskip(NEXT) | instid1(VALU_DEP_1)
	v_add_nc_u32_e32 v126, v126, v127
	v_mov_b32_dpp v127, v126 row_shr:4 row_mask:0xf bank_mask:0xf
	s_delay_alu instid0(VALU_DEP_1) | instskip(NEXT) | instid1(VALU_DEP_1)
	v_cndmask_b32_e64 v127, 0, v127, s14
	v_add_nc_u32_e32 v126, v126, v127
	ds_store_b32 v125, v126 offset:1024
.LBB401_600:                            ;   in Loop: Header=BB401_566 Depth=2
	s_or_b32 exec_lo, exec_lo, s16
	v_mov_b32_e32 v125, 0
	s_waitcnt lgkmcnt(0)
	s_barrier
	buffer_gl0_inv
	s_and_saveexec_b32 s16, s5
	s_cbranch_execz .LBB401_602
; %bb.601:                              ;   in Loop: Header=BB401_566 Depth=2
	ds_load_b32 v125, v38 offset:1020
.LBB401_602:                            ;   in Loop: Header=BB401_566 Depth=2
	s_or_b32 exec_lo, exec_lo, s16
	s_waitcnt lgkmcnt(0)
	v_add_nc_u32_e32 v23, v125, v23
	ds_bpermute_b32 v23, v69, v23
	s_waitcnt lgkmcnt(0)
	v_cndmask_b32_e64 v23, v23, v125, s11
	s_delay_alu instid0(VALU_DEP_1) | instskip(NEXT) | instid1(VALU_DEP_1)
	v_cndmask_b32_e64 v23, v23, 0, s6
	v_add_nc_u32_e32 v124, v23, v124
	s_delay_alu instid0(VALU_DEP_1) | instskip(NEXT) | instid1(VALU_DEP_1)
	v_add_nc_u32_e32 v26, v124, v26
	v_add_nc_u32_e32 v27, v26, v27
	s_delay_alu instid0(VALU_DEP_1) | instskip(NEXT) | instid1(VALU_DEP_1)
	v_add_nc_u32_e32 v24, v27, v24
	v_add_nc_u32_e32 v25, v24, v25
	s_delay_alu instid0(VALU_DEP_1) | instskip(NEXT) | instid1(VALU_DEP_1)
	v_add_nc_u32_e32 v20, v25, v20
	v_add_nc_u32_e32 v21, v20, v21
	s_delay_alu instid0(VALU_DEP_1)
	v_add_nc_u32_e32 v22, v21, v22
	ds_store_b32 v46, v23 offset:1056
	ds_store_2addr_b32 v47, v124, v26 offset0:1 offset1:2
	ds_store_2addr_b32 v47, v27, v24 offset0:3 offset1:4
	;; [unrolled: 1-line block ×4, first 2 shown]
	v_mov_b32_e32 v22, 0x800
	s_waitcnt lgkmcnt(0)
	s_barrier
	buffer_gl0_inv
	ds_load_b32 v20, v100
	ds_load_b32 v21, v104
	;; [unrolled: 1-line block ×8, first 2 shown]
	ds_load_b32 v27, v46 offset:1056
	s_and_saveexec_b32 s16, s7
	s_cbranch_execz .LBB401_604
; %bb.603:                              ;   in Loop: Header=BB401_566 Depth=2
	ds_load_b32 v22, v49 offset:1056
.LBB401_604:                            ;   in Loop: Header=BB401_566 Depth=2
	s_or_b32 exec_lo, exec_lo, s16
	s_waitcnt lgkmcnt(0)
	s_barrier
	buffer_gl0_inv
	s_and_saveexec_b32 s16, s2
	s_cbranch_execz .LBB401_606
; %bb.605:                              ;   in Loop: Header=BB401_566 Depth=2
	ds_load_b32 v96, v28
	s_waitcnt lgkmcnt(0)
	v_sub_nc_u32_e32 v27, v96, v27
	ds_store_b32 v28, v27
.LBB401_606:                            ;   in Loop: Header=BB401_566 Depth=2
	s_or_b32 exec_lo, exec_lo, s16
	v_add_nc_u32_e32 v100, v26, v94
	v_add3_u32 v96, v98, v97, v20
	v_add3_u32 v94, v102, v101, v21
	;; [unrolled: 1-line block ×7, first 2 shown]
	v_cmp_lt_u32_e64 s22, v1, v2
	ds_store_b8 v100, v93 offset:1024
	ds_store_b8 v96, v95 offset:1024
	ds_store_b8 v94, v99 offset:1024
	ds_store_b8 v27, v103 offset:1024
	ds_store_b8 v26, v107 offset:1024
	ds_store_b8 v25, v111 offset:1024
	ds_store_b8 v24, v115 offset:1024
	ds_store_b8 v23, v119 offset:1024
	s_waitcnt lgkmcnt(0)
	s_barrier
	buffer_gl0_inv
	s_and_saveexec_b32 s16, s22
	s_cbranch_execz .LBB401_614
; %bb.607:                              ;   in Loop: Header=BB401_566 Depth=2
	ds_load_u8 v20, v1 offset:1024
	s_waitcnt lgkmcnt(0)
	v_and_b32_e32 v21, 0xff, v20
	v_xor_b32_e32 v20, 0x80, v20
	s_delay_alu instid0(VALU_DEP_2) | instskip(NEXT) | instid1(VALU_DEP_1)
	v_lshrrev_b32_e32 v21, s49, v21
	v_and_b32_e32 v21, s31, v21
	s_delay_alu instid0(VALU_DEP_1)
	v_lshlrev_b32_e32 v21, 2, v21
	ds_load_b32 v21, v21
	s_waitcnt lgkmcnt(0)
	v_add_nc_u32_e32 v21, v21, v1
	global_store_b8 v21, v20, s[40:41]
	s_or_b32 exec_lo, exec_lo, s16
	v_cmp_lt_u32_e64 s21, v29, v2
	s_delay_alu instid0(VALU_DEP_1)
	s_and_saveexec_b32 s16, s21
	s_cbranch_execnz .LBB401_615
.LBB401_608:                            ;   in Loop: Header=BB401_566 Depth=2
	s_or_b32 exec_lo, exec_lo, s16
	v_cmp_lt_u32_e64 s20, v30, v2
	s_delay_alu instid0(VALU_DEP_1)
	s_and_saveexec_b32 s16, s20
	s_cbranch_execz .LBB401_616
.LBB401_609:                            ;   in Loop: Header=BB401_566 Depth=2
	ds_load_u8 v20, v35 offset:512
	s_waitcnt lgkmcnt(0)
	v_and_b32_e32 v21, 0xff, v20
	v_xor_b32_e32 v20, 0x80, v20
	s_delay_alu instid0(VALU_DEP_2) | instskip(NEXT) | instid1(VALU_DEP_1)
	v_lshrrev_b32_e32 v21, s49, v21
	v_and_b32_e32 v21, s31, v21
	s_delay_alu instid0(VALU_DEP_1)
	v_lshlrev_b32_e32 v21, 2, v21
	ds_load_b32 v21, v21
	s_waitcnt lgkmcnt(0)
	v_add_nc_u32_e32 v21, v21, v30
	global_store_b8 v21, v20, s[40:41]
	s_or_b32 exec_lo, exec_lo, s16
	v_cmp_lt_u32_e64 s19, v31, v2
	s_delay_alu instid0(VALU_DEP_1)
	s_and_saveexec_b32 s16, s19
	s_cbranch_execnz .LBB401_617
.LBB401_610:                            ;   in Loop: Header=BB401_566 Depth=2
	s_or_b32 exec_lo, exec_lo, s16
	v_cmp_lt_u32_e64 s18, v35, v2
	s_delay_alu instid0(VALU_DEP_1)
	s_and_saveexec_b32 s16, s18
	s_cbranch_execz .LBB401_618
.LBB401_611:                            ;   in Loop: Header=BB401_566 Depth=2
	ds_load_u8 v20, v35 offset:1024
	s_waitcnt lgkmcnt(0)
	v_and_b32_e32 v21, 0xff, v20
	v_xor_b32_e32 v20, 0x80, v20
	s_delay_alu instid0(VALU_DEP_2) | instskip(NEXT) | instid1(VALU_DEP_1)
	v_lshrrev_b32_e32 v21, s49, v21
	v_and_b32_e32 v21, s31, v21
	s_delay_alu instid0(VALU_DEP_1)
	v_lshlrev_b32_e32 v21, 2, v21
	ds_load_b32 v21, v21
	s_waitcnt lgkmcnt(0)
	v_add_nc_u32_e32 v21, v21, v35
	global_store_b8 v21, v20, s[40:41]
	s_or_b32 exec_lo, exec_lo, s16
	v_cmp_lt_u32_e64 s17, v36, v2
	s_delay_alu instid0(VALU_DEP_1)
	s_and_saveexec_b32 s16, s17
	s_cbranch_execnz .LBB401_619
.LBB401_612:                            ;   in Loop: Header=BB401_566 Depth=2
	s_or_b32 exec_lo, exec_lo, s16
	v_cmp_lt_u32_e64 s16, v37, v2
	s_delay_alu instid0(VALU_DEP_1)
	s_and_saveexec_b32 s23, s16
	s_cbranch_execz .LBB401_620
.LBB401_613:                            ;   in Loop: Header=BB401_566 Depth=2
	ds_load_u8 v20, v35 offset:1536
	s_waitcnt lgkmcnt(0)
	v_and_b32_e32 v21, 0xff, v20
	v_xor_b32_e32 v20, 0x80, v20
	s_delay_alu instid0(VALU_DEP_2) | instskip(NEXT) | instid1(VALU_DEP_1)
	v_lshrrev_b32_e32 v21, s49, v21
	v_and_b32_e32 v21, s31, v21
	s_delay_alu instid0(VALU_DEP_1)
	v_lshlrev_b32_e32 v21, 2, v21
	ds_load_b32 v21, v21
	s_waitcnt lgkmcnt(0)
	v_add_nc_u32_e32 v21, v21, v37
	global_store_b8 v21, v20, s[40:41]
	s_or_b32 exec_lo, exec_lo, s23
	v_cmp_lt_u32_e32 vcc_lo, v39, v2
	s_and_saveexec_b32 s23, vcc_lo
	s_cbranch_execnz .LBB401_621
	s_branch .LBB401_622
.LBB401_614:                            ;   in Loop: Header=BB401_566 Depth=2
	s_or_b32 exec_lo, exec_lo, s16
	v_cmp_lt_u32_e64 s21, v29, v2
	s_delay_alu instid0(VALU_DEP_1)
	s_and_saveexec_b32 s16, s21
	s_cbranch_execz .LBB401_608
.LBB401_615:                            ;   in Loop: Header=BB401_566 Depth=2
	ds_load_u8 v20, v35 offset:256
	s_waitcnt lgkmcnt(0)
	v_and_b32_e32 v21, 0xff, v20
	v_xor_b32_e32 v20, 0x80, v20
	s_delay_alu instid0(VALU_DEP_2) | instskip(NEXT) | instid1(VALU_DEP_1)
	v_lshrrev_b32_e32 v21, s49, v21
	v_and_b32_e32 v21, s31, v21
	s_delay_alu instid0(VALU_DEP_1)
	v_lshlrev_b32_e32 v21, 2, v21
	ds_load_b32 v21, v21
	s_waitcnt lgkmcnt(0)
	v_add_nc_u32_e32 v21, v21, v29
	global_store_b8 v21, v20, s[40:41]
	s_or_b32 exec_lo, exec_lo, s16
	v_cmp_lt_u32_e64 s20, v30, v2
	s_delay_alu instid0(VALU_DEP_1)
	s_and_saveexec_b32 s16, s20
	s_cbranch_execnz .LBB401_609
.LBB401_616:                            ;   in Loop: Header=BB401_566 Depth=2
	s_or_b32 exec_lo, exec_lo, s16
	v_cmp_lt_u32_e64 s19, v31, v2
	s_delay_alu instid0(VALU_DEP_1)
	s_and_saveexec_b32 s16, s19
	s_cbranch_execz .LBB401_610
.LBB401_617:                            ;   in Loop: Header=BB401_566 Depth=2
	ds_load_u8 v20, v35 offset:768
	s_waitcnt lgkmcnt(0)
	v_and_b32_e32 v21, 0xff, v20
	v_xor_b32_e32 v20, 0x80, v20
	s_delay_alu instid0(VALU_DEP_2) | instskip(NEXT) | instid1(VALU_DEP_1)
	v_lshrrev_b32_e32 v21, s49, v21
	v_and_b32_e32 v21, s31, v21
	s_delay_alu instid0(VALU_DEP_1)
	v_lshlrev_b32_e32 v21, 2, v21
	ds_load_b32 v21, v21
	s_waitcnt lgkmcnt(0)
	v_add_nc_u32_e32 v21, v21, v31
	global_store_b8 v21, v20, s[40:41]
	s_or_b32 exec_lo, exec_lo, s16
	v_cmp_lt_u32_e64 s18, v35, v2
	s_delay_alu instid0(VALU_DEP_1)
	s_and_saveexec_b32 s16, s18
	s_cbranch_execnz .LBB401_611
.LBB401_618:                            ;   in Loop: Header=BB401_566 Depth=2
	s_or_b32 exec_lo, exec_lo, s16
	v_cmp_lt_u32_e64 s17, v36, v2
	s_delay_alu instid0(VALU_DEP_1)
	s_and_saveexec_b32 s16, s17
	s_cbranch_execz .LBB401_612
.LBB401_619:                            ;   in Loop: Header=BB401_566 Depth=2
	ds_load_u8 v20, v35 offset:1280
	s_waitcnt lgkmcnt(0)
	v_and_b32_e32 v21, 0xff, v20
	v_xor_b32_e32 v20, 0x80, v20
	s_delay_alu instid0(VALU_DEP_2) | instskip(NEXT) | instid1(VALU_DEP_1)
	v_lshrrev_b32_e32 v21, s49, v21
	v_and_b32_e32 v21, s31, v21
	s_delay_alu instid0(VALU_DEP_1)
	v_lshlrev_b32_e32 v21, 2, v21
	ds_load_b32 v21, v21
	s_waitcnt lgkmcnt(0)
	v_add_nc_u32_e32 v21, v21, v36
	global_store_b8 v21, v20, s[40:41]
	s_or_b32 exec_lo, exec_lo, s16
	v_cmp_lt_u32_e64 s16, v37, v2
	s_delay_alu instid0(VALU_DEP_1)
	s_and_saveexec_b32 s23, s16
	s_cbranch_execnz .LBB401_613
.LBB401_620:                            ;   in Loop: Header=BB401_566 Depth=2
	s_or_b32 exec_lo, exec_lo, s23
	v_cmp_lt_u32_e32 vcc_lo, v39, v2
	s_and_saveexec_b32 s23, vcc_lo
	s_cbranch_execz .LBB401_622
.LBB401_621:                            ;   in Loop: Header=BB401_566 Depth=2
	ds_load_u8 v20, v35 offset:1792
	s_waitcnt lgkmcnt(0)
	v_and_b32_e32 v21, 0xff, v20
	v_xor_b32_e32 v20, 0x80, v20
	s_delay_alu instid0(VALU_DEP_2) | instskip(NEXT) | instid1(VALU_DEP_1)
	v_lshrrev_b32_e32 v21, s49, v21
	v_and_b32_e32 v21, s31, v21
	s_delay_alu instid0(VALU_DEP_1)
	v_lshlrev_b32_e32 v21, 2, v21
	ds_load_b32 v21, v21
	s_waitcnt lgkmcnt(0)
	v_add_nc_u32_e32 v21, v21, v39
	global_store_b8 v21, v20, s[40:41]
.LBB401_622:                            ;   in Loop: Header=BB401_566 Depth=2
	s_or_b32 exec_lo, exec_lo, s23
	s_lshl_b64 s[52:53], s[24:25], 3
	s_delay_alu instid0(SALU_CYCLE_1) | instskip(NEXT) | instid1(VALU_DEP_1)
	v_add_co_u32 v20, s23, v73, s52
	v_add_co_ci_u32_e64 v21, s23, s53, v74, s23
	v_cmp_lt_u32_e64 s23, v70, v2
	s_delay_alu instid0(VALU_DEP_1) | instskip(NEXT) | instid1(SALU_CYCLE_1)
	s_and_saveexec_b32 s24, s23
	s_xor_b32 s23, exec_lo, s24
	s_cbranch_execz .LBB401_638
; %bb.623:                              ;   in Loop: Header=BB401_566 Depth=2
	global_load_b64 v[18:19], v[20:21], off
	s_or_b32 exec_lo, exec_lo, s23
	s_delay_alu instid0(SALU_CYCLE_1)
	s_mov_b32 s24, exec_lo
	v_cmpx_lt_u32_e64 v75, v2
	s_cbranch_execnz .LBB401_639
.LBB401_624:                            ;   in Loop: Header=BB401_566 Depth=2
	s_or_b32 exec_lo, exec_lo, s24
	s_delay_alu instid0(SALU_CYCLE_1)
	s_mov_b32 s24, exec_lo
	v_cmpx_lt_u32_e64 v76, v2
	s_cbranch_execz .LBB401_640
.LBB401_625:                            ;   in Loop: Header=BB401_566 Depth=2
	global_load_b64 v[14:15], v[20:21], off offset:512
	s_or_b32 exec_lo, exec_lo, s24
	s_delay_alu instid0(SALU_CYCLE_1)
	s_mov_b32 s24, exec_lo
	v_cmpx_lt_u32_e64 v77, v2
	s_cbranch_execnz .LBB401_641
.LBB401_626:                            ;   in Loop: Header=BB401_566 Depth=2
	s_or_b32 exec_lo, exec_lo, s24
	s_delay_alu instid0(SALU_CYCLE_1)
	s_mov_b32 s24, exec_lo
	v_cmpx_lt_u32_e64 v78, v2
	s_cbranch_execz .LBB401_642
.LBB401_627:                            ;   in Loop: Header=BB401_566 Depth=2
	global_load_b64 v[10:11], v[20:21], off offset:1024
	s_or_b32 exec_lo, exec_lo, s24
	s_delay_alu instid0(SALU_CYCLE_1)
	s_mov_b32 s24, exec_lo
	v_cmpx_lt_u32_e64 v79, v2
	s_cbranch_execnz .LBB401_643
.LBB401_628:                            ;   in Loop: Header=BB401_566 Depth=2
	s_or_b32 exec_lo, exec_lo, s24
	s_delay_alu instid0(SALU_CYCLE_1)
	s_mov_b32 s24, exec_lo
	v_cmpx_lt_u32_e64 v80, v2
	s_cbranch_execz .LBB401_644
.LBB401_629:                            ;   in Loop: Header=BB401_566 Depth=2
	global_load_b64 v[6:7], v[20:21], off offset:1536
	s_or_b32 exec_lo, exec_lo, s24
	s_delay_alu instid0(SALU_CYCLE_1)
	s_mov_b32 s24, exec_lo
	v_cmpx_lt_u32_e64 v81, v2
	s_cbranch_execnz .LBB401_645
.LBB401_630:                            ;   in Loop: Header=BB401_566 Depth=2
	s_or_b32 exec_lo, exec_lo, s24
	s_and_saveexec_b32 s23, s22
	s_cbranch_execz .LBB401_646
.LBB401_631:                            ;   in Loop: Header=BB401_566 Depth=2
	ds_load_u8 v2, v1 offset:1024
	s_waitcnt lgkmcnt(0)
	v_lshrrev_b32_e32 v2, s49, v2
	s_delay_alu instid0(VALU_DEP_1)
	v_and_b32_e32 v92, s31, v2
	s_or_b32 exec_lo, exec_lo, s23
	s_and_saveexec_b32 s23, s21
	s_cbranch_execnz .LBB401_647
.LBB401_632:                            ;   in Loop: Header=BB401_566 Depth=2
	s_or_b32 exec_lo, exec_lo, s23
	s_and_saveexec_b32 s23, s20
	s_cbranch_execz .LBB401_648
.LBB401_633:                            ;   in Loop: Header=BB401_566 Depth=2
	ds_load_u8 v2, v35 offset:512
	s_waitcnt lgkmcnt(0)
	v_lshrrev_b32_e32 v2, s49, v2
	s_delay_alu instid0(VALU_DEP_1)
	v_and_b32_e32 v90, s31, v2
	s_or_b32 exec_lo, exec_lo, s23
	s_and_saveexec_b32 s23, s19
	s_cbranch_execnz .LBB401_649
.LBB401_634:                            ;   in Loop: Header=BB401_566 Depth=2
	s_or_b32 exec_lo, exec_lo, s23
	s_and_saveexec_b32 s23, s18
	s_cbranch_execz .LBB401_650
.LBB401_635:                            ;   in Loop: Header=BB401_566 Depth=2
	ds_load_u8 v2, v35 offset:1024
	s_waitcnt lgkmcnt(0)
	v_lshrrev_b32_e32 v2, s49, v2
	s_delay_alu instid0(VALU_DEP_1)
	v_and_b32_e32 v88, s31, v2
	s_or_b32 exec_lo, exec_lo, s23
	s_and_saveexec_b32 s23, s17
	s_cbranch_execnz .LBB401_651
.LBB401_636:                            ;   in Loop: Header=BB401_566 Depth=2
	s_or_b32 exec_lo, exec_lo, s23
	s_and_saveexec_b32 s23, s16
	s_cbranch_execz .LBB401_652
.LBB401_637:                            ;   in Loop: Header=BB401_566 Depth=2
	ds_load_u8 v2, v35 offset:1536
	s_waitcnt lgkmcnt(0)
	v_lshrrev_b32_e32 v2, s49, v2
	s_delay_alu instid0(VALU_DEP_1)
	v_and_b32_e32 v86, s31, v2
	s_or_b32 exec_lo, exec_lo, s23
	s_and_saveexec_b32 s23, vcc_lo
	s_cbranch_execnz .LBB401_653
	s_branch .LBB401_654
.LBB401_638:                            ;   in Loop: Header=BB401_566 Depth=2
	s_or_b32 exec_lo, exec_lo, s23
	s_delay_alu instid0(SALU_CYCLE_1)
	s_mov_b32 s24, exec_lo
	v_cmpx_lt_u32_e64 v75, v2
	s_cbranch_execz .LBB401_624
.LBB401_639:                            ;   in Loop: Header=BB401_566 Depth=2
	global_load_b64 v[16:17], v[20:21], off offset:256
	s_or_b32 exec_lo, exec_lo, s24
	s_delay_alu instid0(SALU_CYCLE_1)
	s_mov_b32 s24, exec_lo
	v_cmpx_lt_u32_e64 v76, v2
	s_cbranch_execnz .LBB401_625
.LBB401_640:                            ;   in Loop: Header=BB401_566 Depth=2
	s_or_b32 exec_lo, exec_lo, s24
	s_delay_alu instid0(SALU_CYCLE_1)
	s_mov_b32 s24, exec_lo
	v_cmpx_lt_u32_e64 v77, v2
	s_cbranch_execz .LBB401_626
.LBB401_641:                            ;   in Loop: Header=BB401_566 Depth=2
	global_load_b64 v[12:13], v[20:21], off offset:768
	s_or_b32 exec_lo, exec_lo, s24
	s_delay_alu instid0(SALU_CYCLE_1)
	s_mov_b32 s24, exec_lo
	v_cmpx_lt_u32_e64 v78, v2
	s_cbranch_execnz .LBB401_627
.LBB401_642:                            ;   in Loop: Header=BB401_566 Depth=2
	s_or_b32 exec_lo, exec_lo, s24
	s_delay_alu instid0(SALU_CYCLE_1)
	s_mov_b32 s24, exec_lo
	v_cmpx_lt_u32_e64 v79, v2
	s_cbranch_execz .LBB401_628
.LBB401_643:                            ;   in Loop: Header=BB401_566 Depth=2
	global_load_b64 v[8:9], v[20:21], off offset:1280
	s_or_b32 exec_lo, exec_lo, s24
	s_delay_alu instid0(SALU_CYCLE_1)
	s_mov_b32 s24, exec_lo
	v_cmpx_lt_u32_e64 v80, v2
	s_cbranch_execnz .LBB401_629
.LBB401_644:                            ;   in Loop: Header=BB401_566 Depth=2
	s_or_b32 exec_lo, exec_lo, s24
	s_delay_alu instid0(SALU_CYCLE_1)
	s_mov_b32 s24, exec_lo
	v_cmpx_lt_u32_e64 v81, v2
	s_cbranch_execz .LBB401_630
.LBB401_645:                            ;   in Loop: Header=BB401_566 Depth=2
	global_load_b64 v[4:5], v[20:21], off offset:1792
	s_or_b32 exec_lo, exec_lo, s24
	s_and_saveexec_b32 s23, s22
	s_cbranch_execnz .LBB401_631
.LBB401_646:                            ;   in Loop: Header=BB401_566 Depth=2
	s_or_b32 exec_lo, exec_lo, s23
	s_and_saveexec_b32 s23, s21
	s_cbranch_execz .LBB401_632
.LBB401_647:                            ;   in Loop: Header=BB401_566 Depth=2
	ds_load_u8 v2, v35 offset:256
	s_waitcnt lgkmcnt(0)
	v_lshrrev_b32_e32 v2, s49, v2
	s_delay_alu instid0(VALU_DEP_1)
	v_and_b32_e32 v91, s31, v2
	s_or_b32 exec_lo, exec_lo, s23
	s_and_saveexec_b32 s23, s20
	s_cbranch_execnz .LBB401_633
.LBB401_648:                            ;   in Loop: Header=BB401_566 Depth=2
	s_or_b32 exec_lo, exec_lo, s23
	s_and_saveexec_b32 s23, s19
	s_cbranch_execz .LBB401_634
.LBB401_649:                            ;   in Loop: Header=BB401_566 Depth=2
	ds_load_u8 v2, v35 offset:768
	s_waitcnt lgkmcnt(0)
	v_lshrrev_b32_e32 v2, s49, v2
	s_delay_alu instid0(VALU_DEP_1)
	v_and_b32_e32 v89, s31, v2
	s_or_b32 exec_lo, exec_lo, s23
	s_and_saveexec_b32 s23, s18
	s_cbranch_execnz .LBB401_635
.LBB401_650:                            ;   in Loop: Header=BB401_566 Depth=2
	s_or_b32 exec_lo, exec_lo, s23
	s_and_saveexec_b32 s23, s17
	s_cbranch_execz .LBB401_636
.LBB401_651:                            ;   in Loop: Header=BB401_566 Depth=2
	ds_load_u8 v2, v35 offset:1280
	s_waitcnt lgkmcnt(0)
	v_lshrrev_b32_e32 v2, s49, v2
	s_delay_alu instid0(VALU_DEP_1)
	v_and_b32_e32 v87, s31, v2
	s_or_b32 exec_lo, exec_lo, s23
	s_and_saveexec_b32 s23, s16
	s_cbranch_execnz .LBB401_637
.LBB401_652:                            ;   in Loop: Header=BB401_566 Depth=2
	s_or_b32 exec_lo, exec_lo, s23
	s_and_saveexec_b32 s23, vcc_lo
	s_cbranch_execz .LBB401_654
.LBB401_653:                            ;   in Loop: Header=BB401_566 Depth=2
	ds_load_u8 v2, v35 offset:1792
	s_waitcnt lgkmcnt(0)
	v_lshrrev_b32_e32 v2, s49, v2
	s_delay_alu instid0(VALU_DEP_1)
	v_and_b32_e32 v85, s31, v2
.LBB401_654:                            ;   in Loop: Header=BB401_566 Depth=2
	s_or_b32 exec_lo, exec_lo, s23
	v_lshlrev_b32_e32 v2, 3, v100
	v_lshlrev_b32_e32 v20, 3, v96
	;; [unrolled: 1-line block ×3, first 2 shown]
	s_waitcnt vmcnt(0)
	s_waitcnt_vscnt null, 0x0
	s_barrier
	buffer_gl0_inv
	ds_store_b64 v2, v[18:19] offset:1024
	ds_store_b64 v20, v[16:17] offset:1024
	;; [unrolled: 1-line block ×3, first 2 shown]
	v_lshlrev_b32_e32 v2, 3, v27
	v_lshlrev_b32_e32 v20, 3, v26
	v_lshlrev_b32_e32 v21, 3, v25
	v_lshlrev_b32_e32 v24, 3, v24
	v_lshlrev_b32_e32 v23, 3, v23
	ds_store_b64 v2, v[12:13] offset:1024
	ds_store_b64 v20, v[10:11] offset:1024
	;; [unrolled: 1-line block ×5, first 2 shown]
	s_waitcnt lgkmcnt(0)
	s_barrier
	buffer_gl0_inv
	s_and_saveexec_b32 s23, s22
	s_cbranch_execz .LBB401_662
; %bb.655:                              ;   in Loop: Header=BB401_566 Depth=2
	v_lshlrev_b32_e32 v2, 2, v92
	v_add_nc_u32_e32 v20, v1, v52
	ds_load_b32 v2, v2
	ds_load_b64 v[20:21], v20 offset:1024
	s_waitcnt lgkmcnt(1)
	v_add_nc_u32_e32 v2, v2, v1
	s_delay_alu instid0(VALU_DEP_1) | instskip(NEXT) | instid1(VALU_DEP_1)
	v_lshlrev_b64 v[23:24], 3, v[2:3]
	v_add_co_u32 v23, s22, s46, v23
	s_delay_alu instid0(VALU_DEP_1)
	v_add_co_ci_u32_e64 v24, s22, s47, v24, s22
	s_waitcnt lgkmcnt(0)
	global_store_b64 v[23:24], v[20:21], off
	s_or_b32 exec_lo, exec_lo, s23
	v_add_nc_u32_e32 v20, v35, v52
	s_and_saveexec_b32 s22, s21
	s_cbranch_execnz .LBB401_663
.LBB401_656:                            ;   in Loop: Header=BB401_566 Depth=2
	s_or_b32 exec_lo, exec_lo, s22
	s_and_saveexec_b32 s21, s20
	s_cbranch_execz .LBB401_664
.LBB401_657:                            ;   in Loop: Header=BB401_566 Depth=2
	v_lshlrev_b32_e32 v2, 2, v90
	ds_load_b32 v2, v2
	ds_load_b64 v[23:24], v20 offset:4096
	s_waitcnt lgkmcnt(1)
	v_add_nc_u32_e32 v2, v2, v30
	s_delay_alu instid0(VALU_DEP_1) | instskip(NEXT) | instid1(VALU_DEP_1)
	v_lshlrev_b64 v[25:26], 3, v[2:3]
	v_add_co_u32 v25, s20, s46, v25
	s_delay_alu instid0(VALU_DEP_1)
	v_add_co_ci_u32_e64 v26, s20, s47, v26, s20
	s_waitcnt lgkmcnt(0)
	global_store_b64 v[25:26], v[23:24], off
	s_or_b32 exec_lo, exec_lo, s21
	s_and_saveexec_b32 s20, s19
	s_cbranch_execnz .LBB401_665
.LBB401_658:                            ;   in Loop: Header=BB401_566 Depth=2
	s_or_b32 exec_lo, exec_lo, s20
	s_and_saveexec_b32 s19, s18
	s_cbranch_execz .LBB401_666
.LBB401_659:                            ;   in Loop: Header=BB401_566 Depth=2
	v_lshlrev_b32_e32 v2, 2, v88
	ds_load_b32 v2, v2
	ds_load_b64 v[23:24], v20 offset:8192
	s_waitcnt lgkmcnt(1)
	v_add_nc_u32_e32 v2, v2, v35
	s_delay_alu instid0(VALU_DEP_1) | instskip(NEXT) | instid1(VALU_DEP_1)
	v_lshlrev_b64 v[25:26], 3, v[2:3]
	v_add_co_u32 v25, s18, s46, v25
	s_delay_alu instid0(VALU_DEP_1)
	v_add_co_ci_u32_e64 v26, s18, s47, v26, s18
	s_waitcnt lgkmcnt(0)
	global_store_b64 v[25:26], v[23:24], off
	s_or_b32 exec_lo, exec_lo, s19
	s_and_saveexec_b32 s18, s17
	s_cbranch_execnz .LBB401_667
.LBB401_660:                            ;   in Loop: Header=BB401_566 Depth=2
	s_or_b32 exec_lo, exec_lo, s18
	s_and_saveexec_b32 s17, s16
	s_cbranch_execz .LBB401_668
.LBB401_661:                            ;   in Loop: Header=BB401_566 Depth=2
	v_lshlrev_b32_e32 v2, 2, v86
	ds_load_b32 v2, v2
	ds_load_b64 v[23:24], v20 offset:12288
	s_waitcnt lgkmcnt(1)
	v_add_nc_u32_e32 v2, v2, v37
	s_delay_alu instid0(VALU_DEP_1) | instskip(NEXT) | instid1(VALU_DEP_1)
	v_lshlrev_b64 v[25:26], 3, v[2:3]
	v_add_co_u32 v25, s16, s46, v25
	s_delay_alu instid0(VALU_DEP_1)
	v_add_co_ci_u32_e64 v26, s16, s47, v26, s16
	s_waitcnt lgkmcnt(0)
	global_store_b64 v[25:26], v[23:24], off
	s_or_b32 exec_lo, exec_lo, s17
	s_and_saveexec_b32 s16, vcc_lo
	s_cbranch_execnz .LBB401_669
	s_branch .LBB401_670
.LBB401_662:                            ;   in Loop: Header=BB401_566 Depth=2
	s_or_b32 exec_lo, exec_lo, s23
	v_add_nc_u32_e32 v20, v35, v52
	s_and_saveexec_b32 s22, s21
	s_cbranch_execz .LBB401_656
.LBB401_663:                            ;   in Loop: Header=BB401_566 Depth=2
	v_lshlrev_b32_e32 v2, 2, v91
	ds_load_b32 v2, v2
	ds_load_b64 v[23:24], v20 offset:2048
	s_waitcnt lgkmcnt(1)
	v_add_nc_u32_e32 v2, v2, v29
	s_delay_alu instid0(VALU_DEP_1) | instskip(NEXT) | instid1(VALU_DEP_1)
	v_lshlrev_b64 v[25:26], 3, v[2:3]
	v_add_co_u32 v25, s21, s46, v25
	s_delay_alu instid0(VALU_DEP_1)
	v_add_co_ci_u32_e64 v26, s21, s47, v26, s21
	s_waitcnt lgkmcnt(0)
	global_store_b64 v[25:26], v[23:24], off
	s_or_b32 exec_lo, exec_lo, s22
	s_and_saveexec_b32 s21, s20
	s_cbranch_execnz .LBB401_657
.LBB401_664:                            ;   in Loop: Header=BB401_566 Depth=2
	s_or_b32 exec_lo, exec_lo, s21
	s_and_saveexec_b32 s20, s19
	s_cbranch_execz .LBB401_658
.LBB401_665:                            ;   in Loop: Header=BB401_566 Depth=2
	v_lshlrev_b32_e32 v2, 2, v89
	ds_load_b32 v2, v2
	ds_load_b64 v[23:24], v20 offset:6144
	s_waitcnt lgkmcnt(1)
	v_add_nc_u32_e32 v2, v2, v31
	s_delay_alu instid0(VALU_DEP_1) | instskip(NEXT) | instid1(VALU_DEP_1)
	v_lshlrev_b64 v[25:26], 3, v[2:3]
	v_add_co_u32 v25, s19, s46, v25
	s_delay_alu instid0(VALU_DEP_1)
	v_add_co_ci_u32_e64 v26, s19, s47, v26, s19
	s_waitcnt lgkmcnt(0)
	global_store_b64 v[25:26], v[23:24], off
	s_or_b32 exec_lo, exec_lo, s20
	s_and_saveexec_b32 s19, s18
	s_cbranch_execnz .LBB401_659
.LBB401_666:                            ;   in Loop: Header=BB401_566 Depth=2
	s_or_b32 exec_lo, exec_lo, s19
	s_and_saveexec_b32 s18, s17
	s_cbranch_execz .LBB401_660
.LBB401_667:                            ;   in Loop: Header=BB401_566 Depth=2
	v_lshlrev_b32_e32 v2, 2, v87
	ds_load_b32 v2, v2
	ds_load_b64 v[23:24], v20 offset:10240
	s_waitcnt lgkmcnt(1)
	v_add_nc_u32_e32 v2, v2, v36
	s_delay_alu instid0(VALU_DEP_1) | instskip(NEXT) | instid1(VALU_DEP_1)
	v_lshlrev_b64 v[25:26], 3, v[2:3]
	v_add_co_u32 v25, s17, s46, v25
	s_delay_alu instid0(VALU_DEP_1)
	v_add_co_ci_u32_e64 v26, s17, s47, v26, s17
	s_waitcnt lgkmcnt(0)
	global_store_b64 v[25:26], v[23:24], off
	s_or_b32 exec_lo, exec_lo, s18
	s_and_saveexec_b32 s17, s16
	s_cbranch_execnz .LBB401_661
.LBB401_668:                            ;   in Loop: Header=BB401_566 Depth=2
	s_or_b32 exec_lo, exec_lo, s17
	s_and_saveexec_b32 s16, vcc_lo
	s_cbranch_execz .LBB401_670
.LBB401_669:                            ;   in Loop: Header=BB401_566 Depth=2
	v_lshlrev_b32_e32 v2, 2, v85
	ds_load_b32 v2, v2
	ds_load_b64 v[20:21], v20 offset:14336
	s_waitcnt lgkmcnt(1)
	v_add_nc_u32_e32 v2, v2, v39
	s_delay_alu instid0(VALU_DEP_1) | instskip(NEXT) | instid1(VALU_DEP_1)
	v_lshlrev_b64 v[23:24], 3, v[2:3]
	v_add_co_u32 v23, vcc_lo, s46, v23
	s_delay_alu instid0(VALU_DEP_2)
	v_add_co_ci_u32_e32 v24, vcc_lo, s47, v24, vcc_lo
	s_waitcnt lgkmcnt(0)
	global_store_b64 v[23:24], v[20:21], off
.LBB401_670:                            ;   in Loop: Header=BB401_566 Depth=2
	s_or_b32 exec_lo, exec_lo, s16
	s_waitcnt_vscnt null, 0x0
	s_barrier
	buffer_gl0_inv
	s_and_saveexec_b32 s16, s2
	s_cbranch_execz .LBB401_565
; %bb.671:                              ;   in Loop: Header=BB401_566 Depth=2
	ds_load_b32 v2, v28
	s_waitcnt lgkmcnt(0)
	v_add_nc_u32_e32 v2, v2, v22
	ds_store_b32 v28, v2
	s_branch .LBB401_565
.LBB401_672:                            ;   in Loop: Header=BB401_566 Depth=2
	s_or_b32 exec_lo, exec_lo, s16
	s_delay_alu instid0(SALU_CYCLE_1)
	s_mov_b32 s16, exec_lo
	v_cmpx_gt_u32_e64 s42, v75
	s_cbranch_execz .LBB401_572
.LBB401_673:                            ;   in Loop: Header=BB401_566 Depth=2
	global_load_u8 v95, v[20:21], off offset:32
	s_or_b32 exec_lo, exec_lo, s16
	s_delay_alu instid0(SALU_CYCLE_1)
	s_mov_b32 s16, exec_lo
	v_cmpx_gt_u32_e64 s42, v76
	s_cbranch_execnz .LBB401_573
.LBB401_674:                            ;   in Loop: Header=BB401_566 Depth=2
	s_or_b32 exec_lo, exec_lo, s16
	s_delay_alu instid0(SALU_CYCLE_1)
	s_mov_b32 s16, exec_lo
	v_cmpx_gt_u32_e64 s42, v77
	s_cbranch_execz .LBB401_574
.LBB401_675:                            ;   in Loop: Header=BB401_566 Depth=2
	global_load_u8 v26, v[20:21], off offset:96
	s_or_b32 exec_lo, exec_lo, s16
	s_delay_alu instid0(SALU_CYCLE_1)
	s_mov_b32 s16, exec_lo
	v_cmpx_gt_u32_e64 s42, v78
	s_cbranch_execnz .LBB401_575
.LBB401_676:                            ;   in Loop: Header=BB401_566 Depth=2
	s_or_b32 exec_lo, exec_lo, s16
	s_delay_alu instid0(SALU_CYCLE_1)
	s_mov_b32 s16, exec_lo
	v_cmpx_gt_u32_e64 s42, v79
	s_cbranch_execz .LBB401_576
.LBB401_677:                            ;   in Loop: Header=BB401_566 Depth=2
	global_load_u8 v24, v[20:21], off offset:160
	s_or_b32 exec_lo, exec_lo, s16
	s_delay_alu instid0(SALU_CYCLE_1)
	s_mov_b32 s16, exec_lo
	v_cmpx_gt_u32_e64 s42, v80
	s_cbranch_execnz .LBB401_577
	s_branch .LBB401_578
.LBB401_678:
	s_endpgm
	.section	.rodata,"a",@progbits
	.p2align	6, 0x0
	.amdhsa_kernel _ZN7rocprim17ROCPRIM_400000_NS6detail17trampoline_kernelINS0_14default_configENS1_36segmented_radix_sort_config_selectorIalEEZNS1_25segmented_radix_sort_implIS3_Lb0EPKaPaPKlPlN2at6native12_GLOBAL__N_18offset_tEEE10hipError_tPvRmT1_PNSt15iterator_traitsISK_E10value_typeET2_T3_PNSL_ISQ_E10value_typeET4_jRbjT5_SW_jjP12ihipStream_tbEUlT_E_NS1_11comp_targetILNS1_3genE9ELNS1_11target_archE1100ELNS1_3gpuE3ELNS1_3repE0EEENS1_30default_config_static_selectorELNS0_4arch9wavefront6targetE0EEEvSK_
		.amdhsa_group_segment_fixed_size 17440
		.amdhsa_private_segment_fixed_size 0
		.amdhsa_kernarg_size 352
		.amdhsa_user_sgpr_count 14
		.amdhsa_user_sgpr_dispatch_ptr 0
		.amdhsa_user_sgpr_queue_ptr 0
		.amdhsa_user_sgpr_kernarg_segment_ptr 1
		.amdhsa_user_sgpr_dispatch_id 0
		.amdhsa_user_sgpr_private_segment_size 0
		.amdhsa_wavefront_size32 1
		.amdhsa_uses_dynamic_stack 0
		.amdhsa_enable_private_segment 0
		.amdhsa_system_sgpr_workgroup_id_x 1
		.amdhsa_system_sgpr_workgroup_id_y 1
		.amdhsa_system_sgpr_workgroup_id_z 0
		.amdhsa_system_sgpr_workgroup_info 0
		.amdhsa_system_vgpr_workitem_id 2
		.amdhsa_next_free_vgpr 183
		.amdhsa_next_free_sgpr 54
		.amdhsa_reserve_vcc 1
		.amdhsa_float_round_mode_32 0
		.amdhsa_float_round_mode_16_64 0
		.amdhsa_float_denorm_mode_32 3
		.amdhsa_float_denorm_mode_16_64 3
		.amdhsa_dx10_clamp 1
		.amdhsa_ieee_mode 1
		.amdhsa_fp16_overflow 0
		.amdhsa_workgroup_processor_mode 1
		.amdhsa_memory_ordered 1
		.amdhsa_forward_progress 0
		.amdhsa_shared_vgpr_count 0
		.amdhsa_exception_fp_ieee_invalid_op 0
		.amdhsa_exception_fp_denorm_src 0
		.amdhsa_exception_fp_ieee_div_zero 0
		.amdhsa_exception_fp_ieee_overflow 0
		.amdhsa_exception_fp_ieee_underflow 0
		.amdhsa_exception_fp_ieee_inexact 0
		.amdhsa_exception_int_div_zero 0
	.end_amdhsa_kernel
	.section	.text._ZN7rocprim17ROCPRIM_400000_NS6detail17trampoline_kernelINS0_14default_configENS1_36segmented_radix_sort_config_selectorIalEEZNS1_25segmented_radix_sort_implIS3_Lb0EPKaPaPKlPlN2at6native12_GLOBAL__N_18offset_tEEE10hipError_tPvRmT1_PNSt15iterator_traitsISK_E10value_typeET2_T3_PNSL_ISQ_E10value_typeET4_jRbjT5_SW_jjP12ihipStream_tbEUlT_E_NS1_11comp_targetILNS1_3genE9ELNS1_11target_archE1100ELNS1_3gpuE3ELNS1_3repE0EEENS1_30default_config_static_selectorELNS0_4arch9wavefront6targetE0EEEvSK_,"axG",@progbits,_ZN7rocprim17ROCPRIM_400000_NS6detail17trampoline_kernelINS0_14default_configENS1_36segmented_radix_sort_config_selectorIalEEZNS1_25segmented_radix_sort_implIS3_Lb0EPKaPaPKlPlN2at6native12_GLOBAL__N_18offset_tEEE10hipError_tPvRmT1_PNSt15iterator_traitsISK_E10value_typeET2_T3_PNSL_ISQ_E10value_typeET4_jRbjT5_SW_jjP12ihipStream_tbEUlT_E_NS1_11comp_targetILNS1_3genE9ELNS1_11target_archE1100ELNS1_3gpuE3ELNS1_3repE0EEENS1_30default_config_static_selectorELNS0_4arch9wavefront6targetE0EEEvSK_,comdat
.Lfunc_end401:
	.size	_ZN7rocprim17ROCPRIM_400000_NS6detail17trampoline_kernelINS0_14default_configENS1_36segmented_radix_sort_config_selectorIalEEZNS1_25segmented_radix_sort_implIS3_Lb0EPKaPaPKlPlN2at6native12_GLOBAL__N_18offset_tEEE10hipError_tPvRmT1_PNSt15iterator_traitsISK_E10value_typeET2_T3_PNSL_ISQ_E10value_typeET4_jRbjT5_SW_jjP12ihipStream_tbEUlT_E_NS1_11comp_targetILNS1_3genE9ELNS1_11target_archE1100ELNS1_3gpuE3ELNS1_3repE0EEENS1_30default_config_static_selectorELNS0_4arch9wavefront6targetE0EEEvSK_, .Lfunc_end401-_ZN7rocprim17ROCPRIM_400000_NS6detail17trampoline_kernelINS0_14default_configENS1_36segmented_radix_sort_config_selectorIalEEZNS1_25segmented_radix_sort_implIS3_Lb0EPKaPaPKlPlN2at6native12_GLOBAL__N_18offset_tEEE10hipError_tPvRmT1_PNSt15iterator_traitsISK_E10value_typeET2_T3_PNSL_ISQ_E10value_typeET4_jRbjT5_SW_jjP12ihipStream_tbEUlT_E_NS1_11comp_targetILNS1_3genE9ELNS1_11target_archE1100ELNS1_3gpuE3ELNS1_3repE0EEENS1_30default_config_static_selectorELNS0_4arch9wavefront6targetE0EEEvSK_
                                        ; -- End function
	.section	.AMDGPU.csdata,"",@progbits
; Kernel info:
; codeLenInByte = 39112
; NumSgprs: 56
; NumVgprs: 183
; ScratchSize: 0
; MemoryBound: 0
; FloatMode: 240
; IeeeMode: 1
; LDSByteSize: 17440 bytes/workgroup (compile time only)
; SGPRBlocks: 6
; VGPRBlocks: 22
; NumSGPRsForWavesPerEU: 56
; NumVGPRsForWavesPerEU: 183
; Occupancy: 8
; WaveLimiterHint : 1
; COMPUTE_PGM_RSRC2:SCRATCH_EN: 0
; COMPUTE_PGM_RSRC2:USER_SGPR: 14
; COMPUTE_PGM_RSRC2:TRAP_HANDLER: 0
; COMPUTE_PGM_RSRC2:TGID_X_EN: 1
; COMPUTE_PGM_RSRC2:TGID_Y_EN: 1
; COMPUTE_PGM_RSRC2:TGID_Z_EN: 0
; COMPUTE_PGM_RSRC2:TIDIG_COMP_CNT: 2
	.section	.text._ZN7rocprim17ROCPRIM_400000_NS6detail17trampoline_kernelINS0_14default_configENS1_36segmented_radix_sort_config_selectorIalEEZNS1_25segmented_radix_sort_implIS3_Lb0EPKaPaPKlPlN2at6native12_GLOBAL__N_18offset_tEEE10hipError_tPvRmT1_PNSt15iterator_traitsISK_E10value_typeET2_T3_PNSL_ISQ_E10value_typeET4_jRbjT5_SW_jjP12ihipStream_tbEUlT_E_NS1_11comp_targetILNS1_3genE8ELNS1_11target_archE1030ELNS1_3gpuE2ELNS1_3repE0EEENS1_30default_config_static_selectorELNS0_4arch9wavefront6targetE0EEEvSK_,"axG",@progbits,_ZN7rocprim17ROCPRIM_400000_NS6detail17trampoline_kernelINS0_14default_configENS1_36segmented_radix_sort_config_selectorIalEEZNS1_25segmented_radix_sort_implIS3_Lb0EPKaPaPKlPlN2at6native12_GLOBAL__N_18offset_tEEE10hipError_tPvRmT1_PNSt15iterator_traitsISK_E10value_typeET2_T3_PNSL_ISQ_E10value_typeET4_jRbjT5_SW_jjP12ihipStream_tbEUlT_E_NS1_11comp_targetILNS1_3genE8ELNS1_11target_archE1030ELNS1_3gpuE2ELNS1_3repE0EEENS1_30default_config_static_selectorELNS0_4arch9wavefront6targetE0EEEvSK_,comdat
	.globl	_ZN7rocprim17ROCPRIM_400000_NS6detail17trampoline_kernelINS0_14default_configENS1_36segmented_radix_sort_config_selectorIalEEZNS1_25segmented_radix_sort_implIS3_Lb0EPKaPaPKlPlN2at6native12_GLOBAL__N_18offset_tEEE10hipError_tPvRmT1_PNSt15iterator_traitsISK_E10value_typeET2_T3_PNSL_ISQ_E10value_typeET4_jRbjT5_SW_jjP12ihipStream_tbEUlT_E_NS1_11comp_targetILNS1_3genE8ELNS1_11target_archE1030ELNS1_3gpuE2ELNS1_3repE0EEENS1_30default_config_static_selectorELNS0_4arch9wavefront6targetE0EEEvSK_ ; -- Begin function _ZN7rocprim17ROCPRIM_400000_NS6detail17trampoline_kernelINS0_14default_configENS1_36segmented_radix_sort_config_selectorIalEEZNS1_25segmented_radix_sort_implIS3_Lb0EPKaPaPKlPlN2at6native12_GLOBAL__N_18offset_tEEE10hipError_tPvRmT1_PNSt15iterator_traitsISK_E10value_typeET2_T3_PNSL_ISQ_E10value_typeET4_jRbjT5_SW_jjP12ihipStream_tbEUlT_E_NS1_11comp_targetILNS1_3genE8ELNS1_11target_archE1030ELNS1_3gpuE2ELNS1_3repE0EEENS1_30default_config_static_selectorELNS0_4arch9wavefront6targetE0EEEvSK_
	.p2align	8
	.type	_ZN7rocprim17ROCPRIM_400000_NS6detail17trampoline_kernelINS0_14default_configENS1_36segmented_radix_sort_config_selectorIalEEZNS1_25segmented_radix_sort_implIS3_Lb0EPKaPaPKlPlN2at6native12_GLOBAL__N_18offset_tEEE10hipError_tPvRmT1_PNSt15iterator_traitsISK_E10value_typeET2_T3_PNSL_ISQ_E10value_typeET4_jRbjT5_SW_jjP12ihipStream_tbEUlT_E_NS1_11comp_targetILNS1_3genE8ELNS1_11target_archE1030ELNS1_3gpuE2ELNS1_3repE0EEENS1_30default_config_static_selectorELNS0_4arch9wavefront6targetE0EEEvSK_,@function
_ZN7rocprim17ROCPRIM_400000_NS6detail17trampoline_kernelINS0_14default_configENS1_36segmented_radix_sort_config_selectorIalEEZNS1_25segmented_radix_sort_implIS3_Lb0EPKaPaPKlPlN2at6native12_GLOBAL__N_18offset_tEEE10hipError_tPvRmT1_PNSt15iterator_traitsISK_E10value_typeET2_T3_PNSL_ISQ_E10value_typeET4_jRbjT5_SW_jjP12ihipStream_tbEUlT_E_NS1_11comp_targetILNS1_3genE8ELNS1_11target_archE1030ELNS1_3gpuE2ELNS1_3repE0EEENS1_30default_config_static_selectorELNS0_4arch9wavefront6targetE0EEEvSK_: ; @_ZN7rocprim17ROCPRIM_400000_NS6detail17trampoline_kernelINS0_14default_configENS1_36segmented_radix_sort_config_selectorIalEEZNS1_25segmented_radix_sort_implIS3_Lb0EPKaPaPKlPlN2at6native12_GLOBAL__N_18offset_tEEE10hipError_tPvRmT1_PNSt15iterator_traitsISK_E10value_typeET2_T3_PNSL_ISQ_E10value_typeET4_jRbjT5_SW_jjP12ihipStream_tbEUlT_E_NS1_11comp_targetILNS1_3genE8ELNS1_11target_archE1030ELNS1_3gpuE2ELNS1_3repE0EEENS1_30default_config_static_selectorELNS0_4arch9wavefront6targetE0EEEvSK_
; %bb.0:
	.section	.rodata,"a",@progbits
	.p2align	6, 0x0
	.amdhsa_kernel _ZN7rocprim17ROCPRIM_400000_NS6detail17trampoline_kernelINS0_14default_configENS1_36segmented_radix_sort_config_selectorIalEEZNS1_25segmented_radix_sort_implIS3_Lb0EPKaPaPKlPlN2at6native12_GLOBAL__N_18offset_tEEE10hipError_tPvRmT1_PNSt15iterator_traitsISK_E10value_typeET2_T3_PNSL_ISQ_E10value_typeET4_jRbjT5_SW_jjP12ihipStream_tbEUlT_E_NS1_11comp_targetILNS1_3genE8ELNS1_11target_archE1030ELNS1_3gpuE2ELNS1_3repE0EEENS1_30default_config_static_selectorELNS0_4arch9wavefront6targetE0EEEvSK_
		.amdhsa_group_segment_fixed_size 0
		.amdhsa_private_segment_fixed_size 0
		.amdhsa_kernarg_size 96
		.amdhsa_user_sgpr_count 15
		.amdhsa_user_sgpr_dispatch_ptr 0
		.amdhsa_user_sgpr_queue_ptr 0
		.amdhsa_user_sgpr_kernarg_segment_ptr 1
		.amdhsa_user_sgpr_dispatch_id 0
		.amdhsa_user_sgpr_private_segment_size 0
		.amdhsa_wavefront_size32 1
		.amdhsa_uses_dynamic_stack 0
		.amdhsa_enable_private_segment 0
		.amdhsa_system_sgpr_workgroup_id_x 1
		.amdhsa_system_sgpr_workgroup_id_y 0
		.amdhsa_system_sgpr_workgroup_id_z 0
		.amdhsa_system_sgpr_workgroup_info 0
		.amdhsa_system_vgpr_workitem_id 0
		.amdhsa_next_free_vgpr 1
		.amdhsa_next_free_sgpr 1
		.amdhsa_reserve_vcc 0
		.amdhsa_float_round_mode_32 0
		.amdhsa_float_round_mode_16_64 0
		.amdhsa_float_denorm_mode_32 3
		.amdhsa_float_denorm_mode_16_64 3
		.amdhsa_dx10_clamp 1
		.amdhsa_ieee_mode 1
		.amdhsa_fp16_overflow 0
		.amdhsa_workgroup_processor_mode 1
		.amdhsa_memory_ordered 1
		.amdhsa_forward_progress 0
		.amdhsa_shared_vgpr_count 0
		.amdhsa_exception_fp_ieee_invalid_op 0
		.amdhsa_exception_fp_denorm_src 0
		.amdhsa_exception_fp_ieee_div_zero 0
		.amdhsa_exception_fp_ieee_overflow 0
		.amdhsa_exception_fp_ieee_underflow 0
		.amdhsa_exception_fp_ieee_inexact 0
		.amdhsa_exception_int_div_zero 0
	.end_amdhsa_kernel
	.section	.text._ZN7rocprim17ROCPRIM_400000_NS6detail17trampoline_kernelINS0_14default_configENS1_36segmented_radix_sort_config_selectorIalEEZNS1_25segmented_radix_sort_implIS3_Lb0EPKaPaPKlPlN2at6native12_GLOBAL__N_18offset_tEEE10hipError_tPvRmT1_PNSt15iterator_traitsISK_E10value_typeET2_T3_PNSL_ISQ_E10value_typeET4_jRbjT5_SW_jjP12ihipStream_tbEUlT_E_NS1_11comp_targetILNS1_3genE8ELNS1_11target_archE1030ELNS1_3gpuE2ELNS1_3repE0EEENS1_30default_config_static_selectorELNS0_4arch9wavefront6targetE0EEEvSK_,"axG",@progbits,_ZN7rocprim17ROCPRIM_400000_NS6detail17trampoline_kernelINS0_14default_configENS1_36segmented_radix_sort_config_selectorIalEEZNS1_25segmented_radix_sort_implIS3_Lb0EPKaPaPKlPlN2at6native12_GLOBAL__N_18offset_tEEE10hipError_tPvRmT1_PNSt15iterator_traitsISK_E10value_typeET2_T3_PNSL_ISQ_E10value_typeET4_jRbjT5_SW_jjP12ihipStream_tbEUlT_E_NS1_11comp_targetILNS1_3genE8ELNS1_11target_archE1030ELNS1_3gpuE2ELNS1_3repE0EEENS1_30default_config_static_selectorELNS0_4arch9wavefront6targetE0EEEvSK_,comdat
.Lfunc_end402:
	.size	_ZN7rocprim17ROCPRIM_400000_NS6detail17trampoline_kernelINS0_14default_configENS1_36segmented_radix_sort_config_selectorIalEEZNS1_25segmented_radix_sort_implIS3_Lb0EPKaPaPKlPlN2at6native12_GLOBAL__N_18offset_tEEE10hipError_tPvRmT1_PNSt15iterator_traitsISK_E10value_typeET2_T3_PNSL_ISQ_E10value_typeET4_jRbjT5_SW_jjP12ihipStream_tbEUlT_E_NS1_11comp_targetILNS1_3genE8ELNS1_11target_archE1030ELNS1_3gpuE2ELNS1_3repE0EEENS1_30default_config_static_selectorELNS0_4arch9wavefront6targetE0EEEvSK_, .Lfunc_end402-_ZN7rocprim17ROCPRIM_400000_NS6detail17trampoline_kernelINS0_14default_configENS1_36segmented_radix_sort_config_selectorIalEEZNS1_25segmented_radix_sort_implIS3_Lb0EPKaPaPKlPlN2at6native12_GLOBAL__N_18offset_tEEE10hipError_tPvRmT1_PNSt15iterator_traitsISK_E10value_typeET2_T3_PNSL_ISQ_E10value_typeET4_jRbjT5_SW_jjP12ihipStream_tbEUlT_E_NS1_11comp_targetILNS1_3genE8ELNS1_11target_archE1030ELNS1_3gpuE2ELNS1_3repE0EEENS1_30default_config_static_selectorELNS0_4arch9wavefront6targetE0EEEvSK_
                                        ; -- End function
	.section	.AMDGPU.csdata,"",@progbits
; Kernel info:
; codeLenInByte = 0
; NumSgprs: 0
; NumVgprs: 0
; ScratchSize: 0
; MemoryBound: 0
; FloatMode: 240
; IeeeMode: 1
; LDSByteSize: 0 bytes/workgroup (compile time only)
; SGPRBlocks: 0
; VGPRBlocks: 0
; NumSGPRsForWavesPerEU: 1
; NumVGPRsForWavesPerEU: 1
; Occupancy: 16
; WaveLimiterHint : 0
; COMPUTE_PGM_RSRC2:SCRATCH_EN: 0
; COMPUTE_PGM_RSRC2:USER_SGPR: 15
; COMPUTE_PGM_RSRC2:TRAP_HANDLER: 0
; COMPUTE_PGM_RSRC2:TGID_X_EN: 1
; COMPUTE_PGM_RSRC2:TGID_Y_EN: 0
; COMPUTE_PGM_RSRC2:TGID_Z_EN: 0
; COMPUTE_PGM_RSRC2:TIDIG_COMP_CNT: 0
	.section	.text._ZN7rocprim17ROCPRIM_400000_NS6detail17trampoline_kernelINS0_14default_configENS1_36segmented_radix_sort_config_selectorIalEEZNS1_25segmented_radix_sort_implIS3_Lb0EPKaPaPKlPlN2at6native12_GLOBAL__N_18offset_tEEE10hipError_tPvRmT1_PNSt15iterator_traitsISK_E10value_typeET2_T3_PNSL_ISQ_E10value_typeET4_jRbjT5_SW_jjP12ihipStream_tbEUlT_E0_NS1_11comp_targetILNS1_3genE0ELNS1_11target_archE4294967295ELNS1_3gpuE0ELNS1_3repE0EEENS1_60segmented_radix_sort_warp_sort_medium_config_static_selectorELNS0_4arch9wavefront6targetE0EEEvSK_,"axG",@progbits,_ZN7rocprim17ROCPRIM_400000_NS6detail17trampoline_kernelINS0_14default_configENS1_36segmented_radix_sort_config_selectorIalEEZNS1_25segmented_radix_sort_implIS3_Lb0EPKaPaPKlPlN2at6native12_GLOBAL__N_18offset_tEEE10hipError_tPvRmT1_PNSt15iterator_traitsISK_E10value_typeET2_T3_PNSL_ISQ_E10value_typeET4_jRbjT5_SW_jjP12ihipStream_tbEUlT_E0_NS1_11comp_targetILNS1_3genE0ELNS1_11target_archE4294967295ELNS1_3gpuE0ELNS1_3repE0EEENS1_60segmented_radix_sort_warp_sort_medium_config_static_selectorELNS0_4arch9wavefront6targetE0EEEvSK_,comdat
	.globl	_ZN7rocprim17ROCPRIM_400000_NS6detail17trampoline_kernelINS0_14default_configENS1_36segmented_radix_sort_config_selectorIalEEZNS1_25segmented_radix_sort_implIS3_Lb0EPKaPaPKlPlN2at6native12_GLOBAL__N_18offset_tEEE10hipError_tPvRmT1_PNSt15iterator_traitsISK_E10value_typeET2_T3_PNSL_ISQ_E10value_typeET4_jRbjT5_SW_jjP12ihipStream_tbEUlT_E0_NS1_11comp_targetILNS1_3genE0ELNS1_11target_archE4294967295ELNS1_3gpuE0ELNS1_3repE0EEENS1_60segmented_radix_sort_warp_sort_medium_config_static_selectorELNS0_4arch9wavefront6targetE0EEEvSK_ ; -- Begin function _ZN7rocprim17ROCPRIM_400000_NS6detail17trampoline_kernelINS0_14default_configENS1_36segmented_radix_sort_config_selectorIalEEZNS1_25segmented_radix_sort_implIS3_Lb0EPKaPaPKlPlN2at6native12_GLOBAL__N_18offset_tEEE10hipError_tPvRmT1_PNSt15iterator_traitsISK_E10value_typeET2_T3_PNSL_ISQ_E10value_typeET4_jRbjT5_SW_jjP12ihipStream_tbEUlT_E0_NS1_11comp_targetILNS1_3genE0ELNS1_11target_archE4294967295ELNS1_3gpuE0ELNS1_3repE0EEENS1_60segmented_radix_sort_warp_sort_medium_config_static_selectorELNS0_4arch9wavefront6targetE0EEEvSK_
	.p2align	8
	.type	_ZN7rocprim17ROCPRIM_400000_NS6detail17trampoline_kernelINS0_14default_configENS1_36segmented_radix_sort_config_selectorIalEEZNS1_25segmented_radix_sort_implIS3_Lb0EPKaPaPKlPlN2at6native12_GLOBAL__N_18offset_tEEE10hipError_tPvRmT1_PNSt15iterator_traitsISK_E10value_typeET2_T3_PNSL_ISQ_E10value_typeET4_jRbjT5_SW_jjP12ihipStream_tbEUlT_E0_NS1_11comp_targetILNS1_3genE0ELNS1_11target_archE4294967295ELNS1_3gpuE0ELNS1_3repE0EEENS1_60segmented_radix_sort_warp_sort_medium_config_static_selectorELNS0_4arch9wavefront6targetE0EEEvSK_,@function
_ZN7rocprim17ROCPRIM_400000_NS6detail17trampoline_kernelINS0_14default_configENS1_36segmented_radix_sort_config_selectorIalEEZNS1_25segmented_radix_sort_implIS3_Lb0EPKaPaPKlPlN2at6native12_GLOBAL__N_18offset_tEEE10hipError_tPvRmT1_PNSt15iterator_traitsISK_E10value_typeET2_T3_PNSL_ISQ_E10value_typeET4_jRbjT5_SW_jjP12ihipStream_tbEUlT_E0_NS1_11comp_targetILNS1_3genE0ELNS1_11target_archE4294967295ELNS1_3gpuE0ELNS1_3repE0EEENS1_60segmented_radix_sort_warp_sort_medium_config_static_selectorELNS0_4arch9wavefront6targetE0EEEvSK_: ; @_ZN7rocprim17ROCPRIM_400000_NS6detail17trampoline_kernelINS0_14default_configENS1_36segmented_radix_sort_config_selectorIalEEZNS1_25segmented_radix_sort_implIS3_Lb0EPKaPaPKlPlN2at6native12_GLOBAL__N_18offset_tEEE10hipError_tPvRmT1_PNSt15iterator_traitsISK_E10value_typeET2_T3_PNSL_ISQ_E10value_typeET4_jRbjT5_SW_jjP12ihipStream_tbEUlT_E0_NS1_11comp_targetILNS1_3genE0ELNS1_11target_archE4294967295ELNS1_3gpuE0ELNS1_3repE0EEENS1_60segmented_radix_sort_warp_sort_medium_config_static_selectorELNS0_4arch9wavefront6targetE0EEEvSK_
; %bb.0:
	.section	.rodata,"a",@progbits
	.p2align	6, 0x0
	.amdhsa_kernel _ZN7rocprim17ROCPRIM_400000_NS6detail17trampoline_kernelINS0_14default_configENS1_36segmented_radix_sort_config_selectorIalEEZNS1_25segmented_radix_sort_implIS3_Lb0EPKaPaPKlPlN2at6native12_GLOBAL__N_18offset_tEEE10hipError_tPvRmT1_PNSt15iterator_traitsISK_E10value_typeET2_T3_PNSL_ISQ_E10value_typeET4_jRbjT5_SW_jjP12ihipStream_tbEUlT_E0_NS1_11comp_targetILNS1_3genE0ELNS1_11target_archE4294967295ELNS1_3gpuE0ELNS1_3repE0EEENS1_60segmented_radix_sort_warp_sort_medium_config_static_selectorELNS0_4arch9wavefront6targetE0EEEvSK_
		.amdhsa_group_segment_fixed_size 0
		.amdhsa_private_segment_fixed_size 0
		.amdhsa_kernarg_size 88
		.amdhsa_user_sgpr_count 15
		.amdhsa_user_sgpr_dispatch_ptr 0
		.amdhsa_user_sgpr_queue_ptr 0
		.amdhsa_user_sgpr_kernarg_segment_ptr 1
		.amdhsa_user_sgpr_dispatch_id 0
		.amdhsa_user_sgpr_private_segment_size 0
		.amdhsa_wavefront_size32 1
		.amdhsa_uses_dynamic_stack 0
		.amdhsa_enable_private_segment 0
		.amdhsa_system_sgpr_workgroup_id_x 1
		.amdhsa_system_sgpr_workgroup_id_y 0
		.amdhsa_system_sgpr_workgroup_id_z 0
		.amdhsa_system_sgpr_workgroup_info 0
		.amdhsa_system_vgpr_workitem_id 0
		.amdhsa_next_free_vgpr 1
		.amdhsa_next_free_sgpr 1
		.amdhsa_reserve_vcc 0
		.amdhsa_float_round_mode_32 0
		.amdhsa_float_round_mode_16_64 0
		.amdhsa_float_denorm_mode_32 3
		.amdhsa_float_denorm_mode_16_64 3
		.amdhsa_dx10_clamp 1
		.amdhsa_ieee_mode 1
		.amdhsa_fp16_overflow 0
		.amdhsa_workgroup_processor_mode 1
		.amdhsa_memory_ordered 1
		.amdhsa_forward_progress 0
		.amdhsa_shared_vgpr_count 0
		.amdhsa_exception_fp_ieee_invalid_op 0
		.amdhsa_exception_fp_denorm_src 0
		.amdhsa_exception_fp_ieee_div_zero 0
		.amdhsa_exception_fp_ieee_overflow 0
		.amdhsa_exception_fp_ieee_underflow 0
		.amdhsa_exception_fp_ieee_inexact 0
		.amdhsa_exception_int_div_zero 0
	.end_amdhsa_kernel
	.section	.text._ZN7rocprim17ROCPRIM_400000_NS6detail17trampoline_kernelINS0_14default_configENS1_36segmented_radix_sort_config_selectorIalEEZNS1_25segmented_radix_sort_implIS3_Lb0EPKaPaPKlPlN2at6native12_GLOBAL__N_18offset_tEEE10hipError_tPvRmT1_PNSt15iterator_traitsISK_E10value_typeET2_T3_PNSL_ISQ_E10value_typeET4_jRbjT5_SW_jjP12ihipStream_tbEUlT_E0_NS1_11comp_targetILNS1_3genE0ELNS1_11target_archE4294967295ELNS1_3gpuE0ELNS1_3repE0EEENS1_60segmented_radix_sort_warp_sort_medium_config_static_selectorELNS0_4arch9wavefront6targetE0EEEvSK_,"axG",@progbits,_ZN7rocprim17ROCPRIM_400000_NS6detail17trampoline_kernelINS0_14default_configENS1_36segmented_radix_sort_config_selectorIalEEZNS1_25segmented_radix_sort_implIS3_Lb0EPKaPaPKlPlN2at6native12_GLOBAL__N_18offset_tEEE10hipError_tPvRmT1_PNSt15iterator_traitsISK_E10value_typeET2_T3_PNSL_ISQ_E10value_typeET4_jRbjT5_SW_jjP12ihipStream_tbEUlT_E0_NS1_11comp_targetILNS1_3genE0ELNS1_11target_archE4294967295ELNS1_3gpuE0ELNS1_3repE0EEENS1_60segmented_radix_sort_warp_sort_medium_config_static_selectorELNS0_4arch9wavefront6targetE0EEEvSK_,comdat
.Lfunc_end403:
	.size	_ZN7rocprim17ROCPRIM_400000_NS6detail17trampoline_kernelINS0_14default_configENS1_36segmented_radix_sort_config_selectorIalEEZNS1_25segmented_radix_sort_implIS3_Lb0EPKaPaPKlPlN2at6native12_GLOBAL__N_18offset_tEEE10hipError_tPvRmT1_PNSt15iterator_traitsISK_E10value_typeET2_T3_PNSL_ISQ_E10value_typeET4_jRbjT5_SW_jjP12ihipStream_tbEUlT_E0_NS1_11comp_targetILNS1_3genE0ELNS1_11target_archE4294967295ELNS1_3gpuE0ELNS1_3repE0EEENS1_60segmented_radix_sort_warp_sort_medium_config_static_selectorELNS0_4arch9wavefront6targetE0EEEvSK_, .Lfunc_end403-_ZN7rocprim17ROCPRIM_400000_NS6detail17trampoline_kernelINS0_14default_configENS1_36segmented_radix_sort_config_selectorIalEEZNS1_25segmented_radix_sort_implIS3_Lb0EPKaPaPKlPlN2at6native12_GLOBAL__N_18offset_tEEE10hipError_tPvRmT1_PNSt15iterator_traitsISK_E10value_typeET2_T3_PNSL_ISQ_E10value_typeET4_jRbjT5_SW_jjP12ihipStream_tbEUlT_E0_NS1_11comp_targetILNS1_3genE0ELNS1_11target_archE4294967295ELNS1_3gpuE0ELNS1_3repE0EEENS1_60segmented_radix_sort_warp_sort_medium_config_static_selectorELNS0_4arch9wavefront6targetE0EEEvSK_
                                        ; -- End function
	.section	.AMDGPU.csdata,"",@progbits
; Kernel info:
; codeLenInByte = 0
; NumSgprs: 0
; NumVgprs: 0
; ScratchSize: 0
; MemoryBound: 0
; FloatMode: 240
; IeeeMode: 1
; LDSByteSize: 0 bytes/workgroup (compile time only)
; SGPRBlocks: 0
; VGPRBlocks: 0
; NumSGPRsForWavesPerEU: 1
; NumVGPRsForWavesPerEU: 1
; Occupancy: 16
; WaveLimiterHint : 0
; COMPUTE_PGM_RSRC2:SCRATCH_EN: 0
; COMPUTE_PGM_RSRC2:USER_SGPR: 15
; COMPUTE_PGM_RSRC2:TRAP_HANDLER: 0
; COMPUTE_PGM_RSRC2:TGID_X_EN: 1
; COMPUTE_PGM_RSRC2:TGID_Y_EN: 0
; COMPUTE_PGM_RSRC2:TGID_Z_EN: 0
; COMPUTE_PGM_RSRC2:TIDIG_COMP_CNT: 0
	.section	.text._ZN7rocprim17ROCPRIM_400000_NS6detail17trampoline_kernelINS0_14default_configENS1_36segmented_radix_sort_config_selectorIalEEZNS1_25segmented_radix_sort_implIS3_Lb0EPKaPaPKlPlN2at6native12_GLOBAL__N_18offset_tEEE10hipError_tPvRmT1_PNSt15iterator_traitsISK_E10value_typeET2_T3_PNSL_ISQ_E10value_typeET4_jRbjT5_SW_jjP12ihipStream_tbEUlT_E0_NS1_11comp_targetILNS1_3genE5ELNS1_11target_archE942ELNS1_3gpuE9ELNS1_3repE0EEENS1_60segmented_radix_sort_warp_sort_medium_config_static_selectorELNS0_4arch9wavefront6targetE0EEEvSK_,"axG",@progbits,_ZN7rocprim17ROCPRIM_400000_NS6detail17trampoline_kernelINS0_14default_configENS1_36segmented_radix_sort_config_selectorIalEEZNS1_25segmented_radix_sort_implIS3_Lb0EPKaPaPKlPlN2at6native12_GLOBAL__N_18offset_tEEE10hipError_tPvRmT1_PNSt15iterator_traitsISK_E10value_typeET2_T3_PNSL_ISQ_E10value_typeET4_jRbjT5_SW_jjP12ihipStream_tbEUlT_E0_NS1_11comp_targetILNS1_3genE5ELNS1_11target_archE942ELNS1_3gpuE9ELNS1_3repE0EEENS1_60segmented_radix_sort_warp_sort_medium_config_static_selectorELNS0_4arch9wavefront6targetE0EEEvSK_,comdat
	.globl	_ZN7rocprim17ROCPRIM_400000_NS6detail17trampoline_kernelINS0_14default_configENS1_36segmented_radix_sort_config_selectorIalEEZNS1_25segmented_radix_sort_implIS3_Lb0EPKaPaPKlPlN2at6native12_GLOBAL__N_18offset_tEEE10hipError_tPvRmT1_PNSt15iterator_traitsISK_E10value_typeET2_T3_PNSL_ISQ_E10value_typeET4_jRbjT5_SW_jjP12ihipStream_tbEUlT_E0_NS1_11comp_targetILNS1_3genE5ELNS1_11target_archE942ELNS1_3gpuE9ELNS1_3repE0EEENS1_60segmented_radix_sort_warp_sort_medium_config_static_selectorELNS0_4arch9wavefront6targetE0EEEvSK_ ; -- Begin function _ZN7rocprim17ROCPRIM_400000_NS6detail17trampoline_kernelINS0_14default_configENS1_36segmented_radix_sort_config_selectorIalEEZNS1_25segmented_radix_sort_implIS3_Lb0EPKaPaPKlPlN2at6native12_GLOBAL__N_18offset_tEEE10hipError_tPvRmT1_PNSt15iterator_traitsISK_E10value_typeET2_T3_PNSL_ISQ_E10value_typeET4_jRbjT5_SW_jjP12ihipStream_tbEUlT_E0_NS1_11comp_targetILNS1_3genE5ELNS1_11target_archE942ELNS1_3gpuE9ELNS1_3repE0EEENS1_60segmented_radix_sort_warp_sort_medium_config_static_selectorELNS0_4arch9wavefront6targetE0EEEvSK_
	.p2align	8
	.type	_ZN7rocprim17ROCPRIM_400000_NS6detail17trampoline_kernelINS0_14default_configENS1_36segmented_radix_sort_config_selectorIalEEZNS1_25segmented_radix_sort_implIS3_Lb0EPKaPaPKlPlN2at6native12_GLOBAL__N_18offset_tEEE10hipError_tPvRmT1_PNSt15iterator_traitsISK_E10value_typeET2_T3_PNSL_ISQ_E10value_typeET4_jRbjT5_SW_jjP12ihipStream_tbEUlT_E0_NS1_11comp_targetILNS1_3genE5ELNS1_11target_archE942ELNS1_3gpuE9ELNS1_3repE0EEENS1_60segmented_radix_sort_warp_sort_medium_config_static_selectorELNS0_4arch9wavefront6targetE0EEEvSK_,@function
_ZN7rocprim17ROCPRIM_400000_NS6detail17trampoline_kernelINS0_14default_configENS1_36segmented_radix_sort_config_selectorIalEEZNS1_25segmented_radix_sort_implIS3_Lb0EPKaPaPKlPlN2at6native12_GLOBAL__N_18offset_tEEE10hipError_tPvRmT1_PNSt15iterator_traitsISK_E10value_typeET2_T3_PNSL_ISQ_E10value_typeET4_jRbjT5_SW_jjP12ihipStream_tbEUlT_E0_NS1_11comp_targetILNS1_3genE5ELNS1_11target_archE942ELNS1_3gpuE9ELNS1_3repE0EEENS1_60segmented_radix_sort_warp_sort_medium_config_static_selectorELNS0_4arch9wavefront6targetE0EEEvSK_: ; @_ZN7rocprim17ROCPRIM_400000_NS6detail17trampoline_kernelINS0_14default_configENS1_36segmented_radix_sort_config_selectorIalEEZNS1_25segmented_radix_sort_implIS3_Lb0EPKaPaPKlPlN2at6native12_GLOBAL__N_18offset_tEEE10hipError_tPvRmT1_PNSt15iterator_traitsISK_E10value_typeET2_T3_PNSL_ISQ_E10value_typeET4_jRbjT5_SW_jjP12ihipStream_tbEUlT_E0_NS1_11comp_targetILNS1_3genE5ELNS1_11target_archE942ELNS1_3gpuE9ELNS1_3repE0EEENS1_60segmented_radix_sort_warp_sort_medium_config_static_selectorELNS0_4arch9wavefront6targetE0EEEvSK_
; %bb.0:
	.section	.rodata,"a",@progbits
	.p2align	6, 0x0
	.amdhsa_kernel _ZN7rocprim17ROCPRIM_400000_NS6detail17trampoline_kernelINS0_14default_configENS1_36segmented_radix_sort_config_selectorIalEEZNS1_25segmented_radix_sort_implIS3_Lb0EPKaPaPKlPlN2at6native12_GLOBAL__N_18offset_tEEE10hipError_tPvRmT1_PNSt15iterator_traitsISK_E10value_typeET2_T3_PNSL_ISQ_E10value_typeET4_jRbjT5_SW_jjP12ihipStream_tbEUlT_E0_NS1_11comp_targetILNS1_3genE5ELNS1_11target_archE942ELNS1_3gpuE9ELNS1_3repE0EEENS1_60segmented_radix_sort_warp_sort_medium_config_static_selectorELNS0_4arch9wavefront6targetE0EEEvSK_
		.amdhsa_group_segment_fixed_size 0
		.amdhsa_private_segment_fixed_size 0
		.amdhsa_kernarg_size 88
		.amdhsa_user_sgpr_count 15
		.amdhsa_user_sgpr_dispatch_ptr 0
		.amdhsa_user_sgpr_queue_ptr 0
		.amdhsa_user_sgpr_kernarg_segment_ptr 1
		.amdhsa_user_sgpr_dispatch_id 0
		.amdhsa_user_sgpr_private_segment_size 0
		.amdhsa_wavefront_size32 1
		.amdhsa_uses_dynamic_stack 0
		.amdhsa_enable_private_segment 0
		.amdhsa_system_sgpr_workgroup_id_x 1
		.amdhsa_system_sgpr_workgroup_id_y 0
		.amdhsa_system_sgpr_workgroup_id_z 0
		.amdhsa_system_sgpr_workgroup_info 0
		.amdhsa_system_vgpr_workitem_id 0
		.amdhsa_next_free_vgpr 1
		.amdhsa_next_free_sgpr 1
		.amdhsa_reserve_vcc 0
		.amdhsa_float_round_mode_32 0
		.amdhsa_float_round_mode_16_64 0
		.amdhsa_float_denorm_mode_32 3
		.amdhsa_float_denorm_mode_16_64 3
		.amdhsa_dx10_clamp 1
		.amdhsa_ieee_mode 1
		.amdhsa_fp16_overflow 0
		.amdhsa_workgroup_processor_mode 1
		.amdhsa_memory_ordered 1
		.amdhsa_forward_progress 0
		.amdhsa_shared_vgpr_count 0
		.amdhsa_exception_fp_ieee_invalid_op 0
		.amdhsa_exception_fp_denorm_src 0
		.amdhsa_exception_fp_ieee_div_zero 0
		.amdhsa_exception_fp_ieee_overflow 0
		.amdhsa_exception_fp_ieee_underflow 0
		.amdhsa_exception_fp_ieee_inexact 0
		.amdhsa_exception_int_div_zero 0
	.end_amdhsa_kernel
	.section	.text._ZN7rocprim17ROCPRIM_400000_NS6detail17trampoline_kernelINS0_14default_configENS1_36segmented_radix_sort_config_selectorIalEEZNS1_25segmented_radix_sort_implIS3_Lb0EPKaPaPKlPlN2at6native12_GLOBAL__N_18offset_tEEE10hipError_tPvRmT1_PNSt15iterator_traitsISK_E10value_typeET2_T3_PNSL_ISQ_E10value_typeET4_jRbjT5_SW_jjP12ihipStream_tbEUlT_E0_NS1_11comp_targetILNS1_3genE5ELNS1_11target_archE942ELNS1_3gpuE9ELNS1_3repE0EEENS1_60segmented_radix_sort_warp_sort_medium_config_static_selectorELNS0_4arch9wavefront6targetE0EEEvSK_,"axG",@progbits,_ZN7rocprim17ROCPRIM_400000_NS6detail17trampoline_kernelINS0_14default_configENS1_36segmented_radix_sort_config_selectorIalEEZNS1_25segmented_radix_sort_implIS3_Lb0EPKaPaPKlPlN2at6native12_GLOBAL__N_18offset_tEEE10hipError_tPvRmT1_PNSt15iterator_traitsISK_E10value_typeET2_T3_PNSL_ISQ_E10value_typeET4_jRbjT5_SW_jjP12ihipStream_tbEUlT_E0_NS1_11comp_targetILNS1_3genE5ELNS1_11target_archE942ELNS1_3gpuE9ELNS1_3repE0EEENS1_60segmented_radix_sort_warp_sort_medium_config_static_selectorELNS0_4arch9wavefront6targetE0EEEvSK_,comdat
.Lfunc_end404:
	.size	_ZN7rocprim17ROCPRIM_400000_NS6detail17trampoline_kernelINS0_14default_configENS1_36segmented_radix_sort_config_selectorIalEEZNS1_25segmented_radix_sort_implIS3_Lb0EPKaPaPKlPlN2at6native12_GLOBAL__N_18offset_tEEE10hipError_tPvRmT1_PNSt15iterator_traitsISK_E10value_typeET2_T3_PNSL_ISQ_E10value_typeET4_jRbjT5_SW_jjP12ihipStream_tbEUlT_E0_NS1_11comp_targetILNS1_3genE5ELNS1_11target_archE942ELNS1_3gpuE9ELNS1_3repE0EEENS1_60segmented_radix_sort_warp_sort_medium_config_static_selectorELNS0_4arch9wavefront6targetE0EEEvSK_, .Lfunc_end404-_ZN7rocprim17ROCPRIM_400000_NS6detail17trampoline_kernelINS0_14default_configENS1_36segmented_radix_sort_config_selectorIalEEZNS1_25segmented_radix_sort_implIS3_Lb0EPKaPaPKlPlN2at6native12_GLOBAL__N_18offset_tEEE10hipError_tPvRmT1_PNSt15iterator_traitsISK_E10value_typeET2_T3_PNSL_ISQ_E10value_typeET4_jRbjT5_SW_jjP12ihipStream_tbEUlT_E0_NS1_11comp_targetILNS1_3genE5ELNS1_11target_archE942ELNS1_3gpuE9ELNS1_3repE0EEENS1_60segmented_radix_sort_warp_sort_medium_config_static_selectorELNS0_4arch9wavefront6targetE0EEEvSK_
                                        ; -- End function
	.section	.AMDGPU.csdata,"",@progbits
; Kernel info:
; codeLenInByte = 0
; NumSgprs: 0
; NumVgprs: 0
; ScratchSize: 0
; MemoryBound: 0
; FloatMode: 240
; IeeeMode: 1
; LDSByteSize: 0 bytes/workgroup (compile time only)
; SGPRBlocks: 0
; VGPRBlocks: 0
; NumSGPRsForWavesPerEU: 1
; NumVGPRsForWavesPerEU: 1
; Occupancy: 16
; WaveLimiterHint : 0
; COMPUTE_PGM_RSRC2:SCRATCH_EN: 0
; COMPUTE_PGM_RSRC2:USER_SGPR: 15
; COMPUTE_PGM_RSRC2:TRAP_HANDLER: 0
; COMPUTE_PGM_RSRC2:TGID_X_EN: 1
; COMPUTE_PGM_RSRC2:TGID_Y_EN: 0
; COMPUTE_PGM_RSRC2:TGID_Z_EN: 0
; COMPUTE_PGM_RSRC2:TIDIG_COMP_CNT: 0
	.section	.text._ZN7rocprim17ROCPRIM_400000_NS6detail17trampoline_kernelINS0_14default_configENS1_36segmented_radix_sort_config_selectorIalEEZNS1_25segmented_radix_sort_implIS3_Lb0EPKaPaPKlPlN2at6native12_GLOBAL__N_18offset_tEEE10hipError_tPvRmT1_PNSt15iterator_traitsISK_E10value_typeET2_T3_PNSL_ISQ_E10value_typeET4_jRbjT5_SW_jjP12ihipStream_tbEUlT_E0_NS1_11comp_targetILNS1_3genE4ELNS1_11target_archE910ELNS1_3gpuE8ELNS1_3repE0EEENS1_60segmented_radix_sort_warp_sort_medium_config_static_selectorELNS0_4arch9wavefront6targetE0EEEvSK_,"axG",@progbits,_ZN7rocprim17ROCPRIM_400000_NS6detail17trampoline_kernelINS0_14default_configENS1_36segmented_radix_sort_config_selectorIalEEZNS1_25segmented_radix_sort_implIS3_Lb0EPKaPaPKlPlN2at6native12_GLOBAL__N_18offset_tEEE10hipError_tPvRmT1_PNSt15iterator_traitsISK_E10value_typeET2_T3_PNSL_ISQ_E10value_typeET4_jRbjT5_SW_jjP12ihipStream_tbEUlT_E0_NS1_11comp_targetILNS1_3genE4ELNS1_11target_archE910ELNS1_3gpuE8ELNS1_3repE0EEENS1_60segmented_radix_sort_warp_sort_medium_config_static_selectorELNS0_4arch9wavefront6targetE0EEEvSK_,comdat
	.globl	_ZN7rocprim17ROCPRIM_400000_NS6detail17trampoline_kernelINS0_14default_configENS1_36segmented_radix_sort_config_selectorIalEEZNS1_25segmented_radix_sort_implIS3_Lb0EPKaPaPKlPlN2at6native12_GLOBAL__N_18offset_tEEE10hipError_tPvRmT1_PNSt15iterator_traitsISK_E10value_typeET2_T3_PNSL_ISQ_E10value_typeET4_jRbjT5_SW_jjP12ihipStream_tbEUlT_E0_NS1_11comp_targetILNS1_3genE4ELNS1_11target_archE910ELNS1_3gpuE8ELNS1_3repE0EEENS1_60segmented_radix_sort_warp_sort_medium_config_static_selectorELNS0_4arch9wavefront6targetE0EEEvSK_ ; -- Begin function _ZN7rocprim17ROCPRIM_400000_NS6detail17trampoline_kernelINS0_14default_configENS1_36segmented_radix_sort_config_selectorIalEEZNS1_25segmented_radix_sort_implIS3_Lb0EPKaPaPKlPlN2at6native12_GLOBAL__N_18offset_tEEE10hipError_tPvRmT1_PNSt15iterator_traitsISK_E10value_typeET2_T3_PNSL_ISQ_E10value_typeET4_jRbjT5_SW_jjP12ihipStream_tbEUlT_E0_NS1_11comp_targetILNS1_3genE4ELNS1_11target_archE910ELNS1_3gpuE8ELNS1_3repE0EEENS1_60segmented_radix_sort_warp_sort_medium_config_static_selectorELNS0_4arch9wavefront6targetE0EEEvSK_
	.p2align	8
	.type	_ZN7rocprim17ROCPRIM_400000_NS6detail17trampoline_kernelINS0_14default_configENS1_36segmented_radix_sort_config_selectorIalEEZNS1_25segmented_radix_sort_implIS3_Lb0EPKaPaPKlPlN2at6native12_GLOBAL__N_18offset_tEEE10hipError_tPvRmT1_PNSt15iterator_traitsISK_E10value_typeET2_T3_PNSL_ISQ_E10value_typeET4_jRbjT5_SW_jjP12ihipStream_tbEUlT_E0_NS1_11comp_targetILNS1_3genE4ELNS1_11target_archE910ELNS1_3gpuE8ELNS1_3repE0EEENS1_60segmented_radix_sort_warp_sort_medium_config_static_selectorELNS0_4arch9wavefront6targetE0EEEvSK_,@function
_ZN7rocprim17ROCPRIM_400000_NS6detail17trampoline_kernelINS0_14default_configENS1_36segmented_radix_sort_config_selectorIalEEZNS1_25segmented_radix_sort_implIS3_Lb0EPKaPaPKlPlN2at6native12_GLOBAL__N_18offset_tEEE10hipError_tPvRmT1_PNSt15iterator_traitsISK_E10value_typeET2_T3_PNSL_ISQ_E10value_typeET4_jRbjT5_SW_jjP12ihipStream_tbEUlT_E0_NS1_11comp_targetILNS1_3genE4ELNS1_11target_archE910ELNS1_3gpuE8ELNS1_3repE0EEENS1_60segmented_radix_sort_warp_sort_medium_config_static_selectorELNS0_4arch9wavefront6targetE0EEEvSK_: ; @_ZN7rocprim17ROCPRIM_400000_NS6detail17trampoline_kernelINS0_14default_configENS1_36segmented_radix_sort_config_selectorIalEEZNS1_25segmented_radix_sort_implIS3_Lb0EPKaPaPKlPlN2at6native12_GLOBAL__N_18offset_tEEE10hipError_tPvRmT1_PNSt15iterator_traitsISK_E10value_typeET2_T3_PNSL_ISQ_E10value_typeET4_jRbjT5_SW_jjP12ihipStream_tbEUlT_E0_NS1_11comp_targetILNS1_3genE4ELNS1_11target_archE910ELNS1_3gpuE8ELNS1_3repE0EEENS1_60segmented_radix_sort_warp_sort_medium_config_static_selectorELNS0_4arch9wavefront6targetE0EEEvSK_
; %bb.0:
	.section	.rodata,"a",@progbits
	.p2align	6, 0x0
	.amdhsa_kernel _ZN7rocprim17ROCPRIM_400000_NS6detail17trampoline_kernelINS0_14default_configENS1_36segmented_radix_sort_config_selectorIalEEZNS1_25segmented_radix_sort_implIS3_Lb0EPKaPaPKlPlN2at6native12_GLOBAL__N_18offset_tEEE10hipError_tPvRmT1_PNSt15iterator_traitsISK_E10value_typeET2_T3_PNSL_ISQ_E10value_typeET4_jRbjT5_SW_jjP12ihipStream_tbEUlT_E0_NS1_11comp_targetILNS1_3genE4ELNS1_11target_archE910ELNS1_3gpuE8ELNS1_3repE0EEENS1_60segmented_radix_sort_warp_sort_medium_config_static_selectorELNS0_4arch9wavefront6targetE0EEEvSK_
		.amdhsa_group_segment_fixed_size 0
		.amdhsa_private_segment_fixed_size 0
		.amdhsa_kernarg_size 88
		.amdhsa_user_sgpr_count 15
		.amdhsa_user_sgpr_dispatch_ptr 0
		.amdhsa_user_sgpr_queue_ptr 0
		.amdhsa_user_sgpr_kernarg_segment_ptr 1
		.amdhsa_user_sgpr_dispatch_id 0
		.amdhsa_user_sgpr_private_segment_size 0
		.amdhsa_wavefront_size32 1
		.amdhsa_uses_dynamic_stack 0
		.amdhsa_enable_private_segment 0
		.amdhsa_system_sgpr_workgroup_id_x 1
		.amdhsa_system_sgpr_workgroup_id_y 0
		.amdhsa_system_sgpr_workgroup_id_z 0
		.amdhsa_system_sgpr_workgroup_info 0
		.amdhsa_system_vgpr_workitem_id 0
		.amdhsa_next_free_vgpr 1
		.amdhsa_next_free_sgpr 1
		.amdhsa_reserve_vcc 0
		.amdhsa_float_round_mode_32 0
		.amdhsa_float_round_mode_16_64 0
		.amdhsa_float_denorm_mode_32 3
		.amdhsa_float_denorm_mode_16_64 3
		.amdhsa_dx10_clamp 1
		.amdhsa_ieee_mode 1
		.amdhsa_fp16_overflow 0
		.amdhsa_workgroup_processor_mode 1
		.amdhsa_memory_ordered 1
		.amdhsa_forward_progress 0
		.amdhsa_shared_vgpr_count 0
		.amdhsa_exception_fp_ieee_invalid_op 0
		.amdhsa_exception_fp_denorm_src 0
		.amdhsa_exception_fp_ieee_div_zero 0
		.amdhsa_exception_fp_ieee_overflow 0
		.amdhsa_exception_fp_ieee_underflow 0
		.amdhsa_exception_fp_ieee_inexact 0
		.amdhsa_exception_int_div_zero 0
	.end_amdhsa_kernel
	.section	.text._ZN7rocprim17ROCPRIM_400000_NS6detail17trampoline_kernelINS0_14default_configENS1_36segmented_radix_sort_config_selectorIalEEZNS1_25segmented_radix_sort_implIS3_Lb0EPKaPaPKlPlN2at6native12_GLOBAL__N_18offset_tEEE10hipError_tPvRmT1_PNSt15iterator_traitsISK_E10value_typeET2_T3_PNSL_ISQ_E10value_typeET4_jRbjT5_SW_jjP12ihipStream_tbEUlT_E0_NS1_11comp_targetILNS1_3genE4ELNS1_11target_archE910ELNS1_3gpuE8ELNS1_3repE0EEENS1_60segmented_radix_sort_warp_sort_medium_config_static_selectorELNS0_4arch9wavefront6targetE0EEEvSK_,"axG",@progbits,_ZN7rocprim17ROCPRIM_400000_NS6detail17trampoline_kernelINS0_14default_configENS1_36segmented_radix_sort_config_selectorIalEEZNS1_25segmented_radix_sort_implIS3_Lb0EPKaPaPKlPlN2at6native12_GLOBAL__N_18offset_tEEE10hipError_tPvRmT1_PNSt15iterator_traitsISK_E10value_typeET2_T3_PNSL_ISQ_E10value_typeET4_jRbjT5_SW_jjP12ihipStream_tbEUlT_E0_NS1_11comp_targetILNS1_3genE4ELNS1_11target_archE910ELNS1_3gpuE8ELNS1_3repE0EEENS1_60segmented_radix_sort_warp_sort_medium_config_static_selectorELNS0_4arch9wavefront6targetE0EEEvSK_,comdat
.Lfunc_end405:
	.size	_ZN7rocprim17ROCPRIM_400000_NS6detail17trampoline_kernelINS0_14default_configENS1_36segmented_radix_sort_config_selectorIalEEZNS1_25segmented_radix_sort_implIS3_Lb0EPKaPaPKlPlN2at6native12_GLOBAL__N_18offset_tEEE10hipError_tPvRmT1_PNSt15iterator_traitsISK_E10value_typeET2_T3_PNSL_ISQ_E10value_typeET4_jRbjT5_SW_jjP12ihipStream_tbEUlT_E0_NS1_11comp_targetILNS1_3genE4ELNS1_11target_archE910ELNS1_3gpuE8ELNS1_3repE0EEENS1_60segmented_radix_sort_warp_sort_medium_config_static_selectorELNS0_4arch9wavefront6targetE0EEEvSK_, .Lfunc_end405-_ZN7rocprim17ROCPRIM_400000_NS6detail17trampoline_kernelINS0_14default_configENS1_36segmented_radix_sort_config_selectorIalEEZNS1_25segmented_radix_sort_implIS3_Lb0EPKaPaPKlPlN2at6native12_GLOBAL__N_18offset_tEEE10hipError_tPvRmT1_PNSt15iterator_traitsISK_E10value_typeET2_T3_PNSL_ISQ_E10value_typeET4_jRbjT5_SW_jjP12ihipStream_tbEUlT_E0_NS1_11comp_targetILNS1_3genE4ELNS1_11target_archE910ELNS1_3gpuE8ELNS1_3repE0EEENS1_60segmented_radix_sort_warp_sort_medium_config_static_selectorELNS0_4arch9wavefront6targetE0EEEvSK_
                                        ; -- End function
	.section	.AMDGPU.csdata,"",@progbits
; Kernel info:
; codeLenInByte = 0
; NumSgprs: 0
; NumVgprs: 0
; ScratchSize: 0
; MemoryBound: 0
; FloatMode: 240
; IeeeMode: 1
; LDSByteSize: 0 bytes/workgroup (compile time only)
; SGPRBlocks: 0
; VGPRBlocks: 0
; NumSGPRsForWavesPerEU: 1
; NumVGPRsForWavesPerEU: 1
; Occupancy: 16
; WaveLimiterHint : 0
; COMPUTE_PGM_RSRC2:SCRATCH_EN: 0
; COMPUTE_PGM_RSRC2:USER_SGPR: 15
; COMPUTE_PGM_RSRC2:TRAP_HANDLER: 0
; COMPUTE_PGM_RSRC2:TGID_X_EN: 1
; COMPUTE_PGM_RSRC2:TGID_Y_EN: 0
; COMPUTE_PGM_RSRC2:TGID_Z_EN: 0
; COMPUTE_PGM_RSRC2:TIDIG_COMP_CNT: 0
	.section	.text._ZN7rocprim17ROCPRIM_400000_NS6detail17trampoline_kernelINS0_14default_configENS1_36segmented_radix_sort_config_selectorIalEEZNS1_25segmented_radix_sort_implIS3_Lb0EPKaPaPKlPlN2at6native12_GLOBAL__N_18offset_tEEE10hipError_tPvRmT1_PNSt15iterator_traitsISK_E10value_typeET2_T3_PNSL_ISQ_E10value_typeET4_jRbjT5_SW_jjP12ihipStream_tbEUlT_E0_NS1_11comp_targetILNS1_3genE3ELNS1_11target_archE908ELNS1_3gpuE7ELNS1_3repE0EEENS1_60segmented_radix_sort_warp_sort_medium_config_static_selectorELNS0_4arch9wavefront6targetE0EEEvSK_,"axG",@progbits,_ZN7rocprim17ROCPRIM_400000_NS6detail17trampoline_kernelINS0_14default_configENS1_36segmented_radix_sort_config_selectorIalEEZNS1_25segmented_radix_sort_implIS3_Lb0EPKaPaPKlPlN2at6native12_GLOBAL__N_18offset_tEEE10hipError_tPvRmT1_PNSt15iterator_traitsISK_E10value_typeET2_T3_PNSL_ISQ_E10value_typeET4_jRbjT5_SW_jjP12ihipStream_tbEUlT_E0_NS1_11comp_targetILNS1_3genE3ELNS1_11target_archE908ELNS1_3gpuE7ELNS1_3repE0EEENS1_60segmented_radix_sort_warp_sort_medium_config_static_selectorELNS0_4arch9wavefront6targetE0EEEvSK_,comdat
	.globl	_ZN7rocprim17ROCPRIM_400000_NS6detail17trampoline_kernelINS0_14default_configENS1_36segmented_radix_sort_config_selectorIalEEZNS1_25segmented_radix_sort_implIS3_Lb0EPKaPaPKlPlN2at6native12_GLOBAL__N_18offset_tEEE10hipError_tPvRmT1_PNSt15iterator_traitsISK_E10value_typeET2_T3_PNSL_ISQ_E10value_typeET4_jRbjT5_SW_jjP12ihipStream_tbEUlT_E0_NS1_11comp_targetILNS1_3genE3ELNS1_11target_archE908ELNS1_3gpuE7ELNS1_3repE0EEENS1_60segmented_radix_sort_warp_sort_medium_config_static_selectorELNS0_4arch9wavefront6targetE0EEEvSK_ ; -- Begin function _ZN7rocprim17ROCPRIM_400000_NS6detail17trampoline_kernelINS0_14default_configENS1_36segmented_radix_sort_config_selectorIalEEZNS1_25segmented_radix_sort_implIS3_Lb0EPKaPaPKlPlN2at6native12_GLOBAL__N_18offset_tEEE10hipError_tPvRmT1_PNSt15iterator_traitsISK_E10value_typeET2_T3_PNSL_ISQ_E10value_typeET4_jRbjT5_SW_jjP12ihipStream_tbEUlT_E0_NS1_11comp_targetILNS1_3genE3ELNS1_11target_archE908ELNS1_3gpuE7ELNS1_3repE0EEENS1_60segmented_radix_sort_warp_sort_medium_config_static_selectorELNS0_4arch9wavefront6targetE0EEEvSK_
	.p2align	8
	.type	_ZN7rocprim17ROCPRIM_400000_NS6detail17trampoline_kernelINS0_14default_configENS1_36segmented_radix_sort_config_selectorIalEEZNS1_25segmented_radix_sort_implIS3_Lb0EPKaPaPKlPlN2at6native12_GLOBAL__N_18offset_tEEE10hipError_tPvRmT1_PNSt15iterator_traitsISK_E10value_typeET2_T3_PNSL_ISQ_E10value_typeET4_jRbjT5_SW_jjP12ihipStream_tbEUlT_E0_NS1_11comp_targetILNS1_3genE3ELNS1_11target_archE908ELNS1_3gpuE7ELNS1_3repE0EEENS1_60segmented_radix_sort_warp_sort_medium_config_static_selectorELNS0_4arch9wavefront6targetE0EEEvSK_,@function
_ZN7rocprim17ROCPRIM_400000_NS6detail17trampoline_kernelINS0_14default_configENS1_36segmented_radix_sort_config_selectorIalEEZNS1_25segmented_radix_sort_implIS3_Lb0EPKaPaPKlPlN2at6native12_GLOBAL__N_18offset_tEEE10hipError_tPvRmT1_PNSt15iterator_traitsISK_E10value_typeET2_T3_PNSL_ISQ_E10value_typeET4_jRbjT5_SW_jjP12ihipStream_tbEUlT_E0_NS1_11comp_targetILNS1_3genE3ELNS1_11target_archE908ELNS1_3gpuE7ELNS1_3repE0EEENS1_60segmented_radix_sort_warp_sort_medium_config_static_selectorELNS0_4arch9wavefront6targetE0EEEvSK_: ; @_ZN7rocprim17ROCPRIM_400000_NS6detail17trampoline_kernelINS0_14default_configENS1_36segmented_radix_sort_config_selectorIalEEZNS1_25segmented_radix_sort_implIS3_Lb0EPKaPaPKlPlN2at6native12_GLOBAL__N_18offset_tEEE10hipError_tPvRmT1_PNSt15iterator_traitsISK_E10value_typeET2_T3_PNSL_ISQ_E10value_typeET4_jRbjT5_SW_jjP12ihipStream_tbEUlT_E0_NS1_11comp_targetILNS1_3genE3ELNS1_11target_archE908ELNS1_3gpuE7ELNS1_3repE0EEENS1_60segmented_radix_sort_warp_sort_medium_config_static_selectorELNS0_4arch9wavefront6targetE0EEEvSK_
; %bb.0:
	.section	.rodata,"a",@progbits
	.p2align	6, 0x0
	.amdhsa_kernel _ZN7rocprim17ROCPRIM_400000_NS6detail17trampoline_kernelINS0_14default_configENS1_36segmented_radix_sort_config_selectorIalEEZNS1_25segmented_radix_sort_implIS3_Lb0EPKaPaPKlPlN2at6native12_GLOBAL__N_18offset_tEEE10hipError_tPvRmT1_PNSt15iterator_traitsISK_E10value_typeET2_T3_PNSL_ISQ_E10value_typeET4_jRbjT5_SW_jjP12ihipStream_tbEUlT_E0_NS1_11comp_targetILNS1_3genE3ELNS1_11target_archE908ELNS1_3gpuE7ELNS1_3repE0EEENS1_60segmented_radix_sort_warp_sort_medium_config_static_selectorELNS0_4arch9wavefront6targetE0EEEvSK_
		.amdhsa_group_segment_fixed_size 0
		.amdhsa_private_segment_fixed_size 0
		.amdhsa_kernarg_size 88
		.amdhsa_user_sgpr_count 15
		.amdhsa_user_sgpr_dispatch_ptr 0
		.amdhsa_user_sgpr_queue_ptr 0
		.amdhsa_user_sgpr_kernarg_segment_ptr 1
		.amdhsa_user_sgpr_dispatch_id 0
		.amdhsa_user_sgpr_private_segment_size 0
		.amdhsa_wavefront_size32 1
		.amdhsa_uses_dynamic_stack 0
		.amdhsa_enable_private_segment 0
		.amdhsa_system_sgpr_workgroup_id_x 1
		.amdhsa_system_sgpr_workgroup_id_y 0
		.amdhsa_system_sgpr_workgroup_id_z 0
		.amdhsa_system_sgpr_workgroup_info 0
		.amdhsa_system_vgpr_workitem_id 0
		.amdhsa_next_free_vgpr 1
		.amdhsa_next_free_sgpr 1
		.amdhsa_reserve_vcc 0
		.amdhsa_float_round_mode_32 0
		.amdhsa_float_round_mode_16_64 0
		.amdhsa_float_denorm_mode_32 3
		.amdhsa_float_denorm_mode_16_64 3
		.amdhsa_dx10_clamp 1
		.amdhsa_ieee_mode 1
		.amdhsa_fp16_overflow 0
		.amdhsa_workgroup_processor_mode 1
		.amdhsa_memory_ordered 1
		.amdhsa_forward_progress 0
		.amdhsa_shared_vgpr_count 0
		.amdhsa_exception_fp_ieee_invalid_op 0
		.amdhsa_exception_fp_denorm_src 0
		.amdhsa_exception_fp_ieee_div_zero 0
		.amdhsa_exception_fp_ieee_overflow 0
		.amdhsa_exception_fp_ieee_underflow 0
		.amdhsa_exception_fp_ieee_inexact 0
		.amdhsa_exception_int_div_zero 0
	.end_amdhsa_kernel
	.section	.text._ZN7rocprim17ROCPRIM_400000_NS6detail17trampoline_kernelINS0_14default_configENS1_36segmented_radix_sort_config_selectorIalEEZNS1_25segmented_radix_sort_implIS3_Lb0EPKaPaPKlPlN2at6native12_GLOBAL__N_18offset_tEEE10hipError_tPvRmT1_PNSt15iterator_traitsISK_E10value_typeET2_T3_PNSL_ISQ_E10value_typeET4_jRbjT5_SW_jjP12ihipStream_tbEUlT_E0_NS1_11comp_targetILNS1_3genE3ELNS1_11target_archE908ELNS1_3gpuE7ELNS1_3repE0EEENS1_60segmented_radix_sort_warp_sort_medium_config_static_selectorELNS0_4arch9wavefront6targetE0EEEvSK_,"axG",@progbits,_ZN7rocprim17ROCPRIM_400000_NS6detail17trampoline_kernelINS0_14default_configENS1_36segmented_radix_sort_config_selectorIalEEZNS1_25segmented_radix_sort_implIS3_Lb0EPKaPaPKlPlN2at6native12_GLOBAL__N_18offset_tEEE10hipError_tPvRmT1_PNSt15iterator_traitsISK_E10value_typeET2_T3_PNSL_ISQ_E10value_typeET4_jRbjT5_SW_jjP12ihipStream_tbEUlT_E0_NS1_11comp_targetILNS1_3genE3ELNS1_11target_archE908ELNS1_3gpuE7ELNS1_3repE0EEENS1_60segmented_radix_sort_warp_sort_medium_config_static_selectorELNS0_4arch9wavefront6targetE0EEEvSK_,comdat
.Lfunc_end406:
	.size	_ZN7rocprim17ROCPRIM_400000_NS6detail17trampoline_kernelINS0_14default_configENS1_36segmented_radix_sort_config_selectorIalEEZNS1_25segmented_radix_sort_implIS3_Lb0EPKaPaPKlPlN2at6native12_GLOBAL__N_18offset_tEEE10hipError_tPvRmT1_PNSt15iterator_traitsISK_E10value_typeET2_T3_PNSL_ISQ_E10value_typeET4_jRbjT5_SW_jjP12ihipStream_tbEUlT_E0_NS1_11comp_targetILNS1_3genE3ELNS1_11target_archE908ELNS1_3gpuE7ELNS1_3repE0EEENS1_60segmented_radix_sort_warp_sort_medium_config_static_selectorELNS0_4arch9wavefront6targetE0EEEvSK_, .Lfunc_end406-_ZN7rocprim17ROCPRIM_400000_NS6detail17trampoline_kernelINS0_14default_configENS1_36segmented_radix_sort_config_selectorIalEEZNS1_25segmented_radix_sort_implIS3_Lb0EPKaPaPKlPlN2at6native12_GLOBAL__N_18offset_tEEE10hipError_tPvRmT1_PNSt15iterator_traitsISK_E10value_typeET2_T3_PNSL_ISQ_E10value_typeET4_jRbjT5_SW_jjP12ihipStream_tbEUlT_E0_NS1_11comp_targetILNS1_3genE3ELNS1_11target_archE908ELNS1_3gpuE7ELNS1_3repE0EEENS1_60segmented_radix_sort_warp_sort_medium_config_static_selectorELNS0_4arch9wavefront6targetE0EEEvSK_
                                        ; -- End function
	.section	.AMDGPU.csdata,"",@progbits
; Kernel info:
; codeLenInByte = 0
; NumSgprs: 0
; NumVgprs: 0
; ScratchSize: 0
; MemoryBound: 0
; FloatMode: 240
; IeeeMode: 1
; LDSByteSize: 0 bytes/workgroup (compile time only)
; SGPRBlocks: 0
; VGPRBlocks: 0
; NumSGPRsForWavesPerEU: 1
; NumVGPRsForWavesPerEU: 1
; Occupancy: 16
; WaveLimiterHint : 0
; COMPUTE_PGM_RSRC2:SCRATCH_EN: 0
; COMPUTE_PGM_RSRC2:USER_SGPR: 15
; COMPUTE_PGM_RSRC2:TRAP_HANDLER: 0
; COMPUTE_PGM_RSRC2:TGID_X_EN: 1
; COMPUTE_PGM_RSRC2:TGID_Y_EN: 0
; COMPUTE_PGM_RSRC2:TGID_Z_EN: 0
; COMPUTE_PGM_RSRC2:TIDIG_COMP_CNT: 0
	.section	.text._ZN7rocprim17ROCPRIM_400000_NS6detail17trampoline_kernelINS0_14default_configENS1_36segmented_radix_sort_config_selectorIalEEZNS1_25segmented_radix_sort_implIS3_Lb0EPKaPaPKlPlN2at6native12_GLOBAL__N_18offset_tEEE10hipError_tPvRmT1_PNSt15iterator_traitsISK_E10value_typeET2_T3_PNSL_ISQ_E10value_typeET4_jRbjT5_SW_jjP12ihipStream_tbEUlT_E0_NS1_11comp_targetILNS1_3genE2ELNS1_11target_archE906ELNS1_3gpuE6ELNS1_3repE0EEENS1_60segmented_radix_sort_warp_sort_medium_config_static_selectorELNS0_4arch9wavefront6targetE0EEEvSK_,"axG",@progbits,_ZN7rocprim17ROCPRIM_400000_NS6detail17trampoline_kernelINS0_14default_configENS1_36segmented_radix_sort_config_selectorIalEEZNS1_25segmented_radix_sort_implIS3_Lb0EPKaPaPKlPlN2at6native12_GLOBAL__N_18offset_tEEE10hipError_tPvRmT1_PNSt15iterator_traitsISK_E10value_typeET2_T3_PNSL_ISQ_E10value_typeET4_jRbjT5_SW_jjP12ihipStream_tbEUlT_E0_NS1_11comp_targetILNS1_3genE2ELNS1_11target_archE906ELNS1_3gpuE6ELNS1_3repE0EEENS1_60segmented_radix_sort_warp_sort_medium_config_static_selectorELNS0_4arch9wavefront6targetE0EEEvSK_,comdat
	.globl	_ZN7rocprim17ROCPRIM_400000_NS6detail17trampoline_kernelINS0_14default_configENS1_36segmented_radix_sort_config_selectorIalEEZNS1_25segmented_radix_sort_implIS3_Lb0EPKaPaPKlPlN2at6native12_GLOBAL__N_18offset_tEEE10hipError_tPvRmT1_PNSt15iterator_traitsISK_E10value_typeET2_T3_PNSL_ISQ_E10value_typeET4_jRbjT5_SW_jjP12ihipStream_tbEUlT_E0_NS1_11comp_targetILNS1_3genE2ELNS1_11target_archE906ELNS1_3gpuE6ELNS1_3repE0EEENS1_60segmented_radix_sort_warp_sort_medium_config_static_selectorELNS0_4arch9wavefront6targetE0EEEvSK_ ; -- Begin function _ZN7rocprim17ROCPRIM_400000_NS6detail17trampoline_kernelINS0_14default_configENS1_36segmented_radix_sort_config_selectorIalEEZNS1_25segmented_radix_sort_implIS3_Lb0EPKaPaPKlPlN2at6native12_GLOBAL__N_18offset_tEEE10hipError_tPvRmT1_PNSt15iterator_traitsISK_E10value_typeET2_T3_PNSL_ISQ_E10value_typeET4_jRbjT5_SW_jjP12ihipStream_tbEUlT_E0_NS1_11comp_targetILNS1_3genE2ELNS1_11target_archE906ELNS1_3gpuE6ELNS1_3repE0EEENS1_60segmented_radix_sort_warp_sort_medium_config_static_selectorELNS0_4arch9wavefront6targetE0EEEvSK_
	.p2align	8
	.type	_ZN7rocprim17ROCPRIM_400000_NS6detail17trampoline_kernelINS0_14default_configENS1_36segmented_radix_sort_config_selectorIalEEZNS1_25segmented_radix_sort_implIS3_Lb0EPKaPaPKlPlN2at6native12_GLOBAL__N_18offset_tEEE10hipError_tPvRmT1_PNSt15iterator_traitsISK_E10value_typeET2_T3_PNSL_ISQ_E10value_typeET4_jRbjT5_SW_jjP12ihipStream_tbEUlT_E0_NS1_11comp_targetILNS1_3genE2ELNS1_11target_archE906ELNS1_3gpuE6ELNS1_3repE0EEENS1_60segmented_radix_sort_warp_sort_medium_config_static_selectorELNS0_4arch9wavefront6targetE0EEEvSK_,@function
_ZN7rocprim17ROCPRIM_400000_NS6detail17trampoline_kernelINS0_14default_configENS1_36segmented_radix_sort_config_selectorIalEEZNS1_25segmented_radix_sort_implIS3_Lb0EPKaPaPKlPlN2at6native12_GLOBAL__N_18offset_tEEE10hipError_tPvRmT1_PNSt15iterator_traitsISK_E10value_typeET2_T3_PNSL_ISQ_E10value_typeET4_jRbjT5_SW_jjP12ihipStream_tbEUlT_E0_NS1_11comp_targetILNS1_3genE2ELNS1_11target_archE906ELNS1_3gpuE6ELNS1_3repE0EEENS1_60segmented_radix_sort_warp_sort_medium_config_static_selectorELNS0_4arch9wavefront6targetE0EEEvSK_: ; @_ZN7rocprim17ROCPRIM_400000_NS6detail17trampoline_kernelINS0_14default_configENS1_36segmented_radix_sort_config_selectorIalEEZNS1_25segmented_radix_sort_implIS3_Lb0EPKaPaPKlPlN2at6native12_GLOBAL__N_18offset_tEEE10hipError_tPvRmT1_PNSt15iterator_traitsISK_E10value_typeET2_T3_PNSL_ISQ_E10value_typeET4_jRbjT5_SW_jjP12ihipStream_tbEUlT_E0_NS1_11comp_targetILNS1_3genE2ELNS1_11target_archE906ELNS1_3gpuE6ELNS1_3repE0EEENS1_60segmented_radix_sort_warp_sort_medium_config_static_selectorELNS0_4arch9wavefront6targetE0EEEvSK_
; %bb.0:
	.section	.rodata,"a",@progbits
	.p2align	6, 0x0
	.amdhsa_kernel _ZN7rocprim17ROCPRIM_400000_NS6detail17trampoline_kernelINS0_14default_configENS1_36segmented_radix_sort_config_selectorIalEEZNS1_25segmented_radix_sort_implIS3_Lb0EPKaPaPKlPlN2at6native12_GLOBAL__N_18offset_tEEE10hipError_tPvRmT1_PNSt15iterator_traitsISK_E10value_typeET2_T3_PNSL_ISQ_E10value_typeET4_jRbjT5_SW_jjP12ihipStream_tbEUlT_E0_NS1_11comp_targetILNS1_3genE2ELNS1_11target_archE906ELNS1_3gpuE6ELNS1_3repE0EEENS1_60segmented_radix_sort_warp_sort_medium_config_static_selectorELNS0_4arch9wavefront6targetE0EEEvSK_
		.amdhsa_group_segment_fixed_size 0
		.amdhsa_private_segment_fixed_size 0
		.amdhsa_kernarg_size 88
		.amdhsa_user_sgpr_count 15
		.amdhsa_user_sgpr_dispatch_ptr 0
		.amdhsa_user_sgpr_queue_ptr 0
		.amdhsa_user_sgpr_kernarg_segment_ptr 1
		.amdhsa_user_sgpr_dispatch_id 0
		.amdhsa_user_sgpr_private_segment_size 0
		.amdhsa_wavefront_size32 1
		.amdhsa_uses_dynamic_stack 0
		.amdhsa_enable_private_segment 0
		.amdhsa_system_sgpr_workgroup_id_x 1
		.amdhsa_system_sgpr_workgroup_id_y 0
		.amdhsa_system_sgpr_workgroup_id_z 0
		.amdhsa_system_sgpr_workgroup_info 0
		.amdhsa_system_vgpr_workitem_id 0
		.amdhsa_next_free_vgpr 1
		.amdhsa_next_free_sgpr 1
		.amdhsa_reserve_vcc 0
		.amdhsa_float_round_mode_32 0
		.amdhsa_float_round_mode_16_64 0
		.amdhsa_float_denorm_mode_32 3
		.amdhsa_float_denorm_mode_16_64 3
		.amdhsa_dx10_clamp 1
		.amdhsa_ieee_mode 1
		.amdhsa_fp16_overflow 0
		.amdhsa_workgroup_processor_mode 1
		.amdhsa_memory_ordered 1
		.amdhsa_forward_progress 0
		.amdhsa_shared_vgpr_count 0
		.amdhsa_exception_fp_ieee_invalid_op 0
		.amdhsa_exception_fp_denorm_src 0
		.amdhsa_exception_fp_ieee_div_zero 0
		.amdhsa_exception_fp_ieee_overflow 0
		.amdhsa_exception_fp_ieee_underflow 0
		.amdhsa_exception_fp_ieee_inexact 0
		.amdhsa_exception_int_div_zero 0
	.end_amdhsa_kernel
	.section	.text._ZN7rocprim17ROCPRIM_400000_NS6detail17trampoline_kernelINS0_14default_configENS1_36segmented_radix_sort_config_selectorIalEEZNS1_25segmented_radix_sort_implIS3_Lb0EPKaPaPKlPlN2at6native12_GLOBAL__N_18offset_tEEE10hipError_tPvRmT1_PNSt15iterator_traitsISK_E10value_typeET2_T3_PNSL_ISQ_E10value_typeET4_jRbjT5_SW_jjP12ihipStream_tbEUlT_E0_NS1_11comp_targetILNS1_3genE2ELNS1_11target_archE906ELNS1_3gpuE6ELNS1_3repE0EEENS1_60segmented_radix_sort_warp_sort_medium_config_static_selectorELNS0_4arch9wavefront6targetE0EEEvSK_,"axG",@progbits,_ZN7rocprim17ROCPRIM_400000_NS6detail17trampoline_kernelINS0_14default_configENS1_36segmented_radix_sort_config_selectorIalEEZNS1_25segmented_radix_sort_implIS3_Lb0EPKaPaPKlPlN2at6native12_GLOBAL__N_18offset_tEEE10hipError_tPvRmT1_PNSt15iterator_traitsISK_E10value_typeET2_T3_PNSL_ISQ_E10value_typeET4_jRbjT5_SW_jjP12ihipStream_tbEUlT_E0_NS1_11comp_targetILNS1_3genE2ELNS1_11target_archE906ELNS1_3gpuE6ELNS1_3repE0EEENS1_60segmented_radix_sort_warp_sort_medium_config_static_selectorELNS0_4arch9wavefront6targetE0EEEvSK_,comdat
.Lfunc_end407:
	.size	_ZN7rocprim17ROCPRIM_400000_NS6detail17trampoline_kernelINS0_14default_configENS1_36segmented_radix_sort_config_selectorIalEEZNS1_25segmented_radix_sort_implIS3_Lb0EPKaPaPKlPlN2at6native12_GLOBAL__N_18offset_tEEE10hipError_tPvRmT1_PNSt15iterator_traitsISK_E10value_typeET2_T3_PNSL_ISQ_E10value_typeET4_jRbjT5_SW_jjP12ihipStream_tbEUlT_E0_NS1_11comp_targetILNS1_3genE2ELNS1_11target_archE906ELNS1_3gpuE6ELNS1_3repE0EEENS1_60segmented_radix_sort_warp_sort_medium_config_static_selectorELNS0_4arch9wavefront6targetE0EEEvSK_, .Lfunc_end407-_ZN7rocprim17ROCPRIM_400000_NS6detail17trampoline_kernelINS0_14default_configENS1_36segmented_radix_sort_config_selectorIalEEZNS1_25segmented_radix_sort_implIS3_Lb0EPKaPaPKlPlN2at6native12_GLOBAL__N_18offset_tEEE10hipError_tPvRmT1_PNSt15iterator_traitsISK_E10value_typeET2_T3_PNSL_ISQ_E10value_typeET4_jRbjT5_SW_jjP12ihipStream_tbEUlT_E0_NS1_11comp_targetILNS1_3genE2ELNS1_11target_archE906ELNS1_3gpuE6ELNS1_3repE0EEENS1_60segmented_radix_sort_warp_sort_medium_config_static_selectorELNS0_4arch9wavefront6targetE0EEEvSK_
                                        ; -- End function
	.section	.AMDGPU.csdata,"",@progbits
; Kernel info:
; codeLenInByte = 0
; NumSgprs: 0
; NumVgprs: 0
; ScratchSize: 0
; MemoryBound: 0
; FloatMode: 240
; IeeeMode: 1
; LDSByteSize: 0 bytes/workgroup (compile time only)
; SGPRBlocks: 0
; VGPRBlocks: 0
; NumSGPRsForWavesPerEU: 1
; NumVGPRsForWavesPerEU: 1
; Occupancy: 16
; WaveLimiterHint : 0
; COMPUTE_PGM_RSRC2:SCRATCH_EN: 0
; COMPUTE_PGM_RSRC2:USER_SGPR: 15
; COMPUTE_PGM_RSRC2:TRAP_HANDLER: 0
; COMPUTE_PGM_RSRC2:TGID_X_EN: 1
; COMPUTE_PGM_RSRC2:TGID_Y_EN: 0
; COMPUTE_PGM_RSRC2:TGID_Z_EN: 0
; COMPUTE_PGM_RSRC2:TIDIG_COMP_CNT: 0
	.section	.text._ZN7rocprim17ROCPRIM_400000_NS6detail17trampoline_kernelINS0_14default_configENS1_36segmented_radix_sort_config_selectorIalEEZNS1_25segmented_radix_sort_implIS3_Lb0EPKaPaPKlPlN2at6native12_GLOBAL__N_18offset_tEEE10hipError_tPvRmT1_PNSt15iterator_traitsISK_E10value_typeET2_T3_PNSL_ISQ_E10value_typeET4_jRbjT5_SW_jjP12ihipStream_tbEUlT_E0_NS1_11comp_targetILNS1_3genE10ELNS1_11target_archE1201ELNS1_3gpuE5ELNS1_3repE0EEENS1_60segmented_radix_sort_warp_sort_medium_config_static_selectorELNS0_4arch9wavefront6targetE0EEEvSK_,"axG",@progbits,_ZN7rocprim17ROCPRIM_400000_NS6detail17trampoline_kernelINS0_14default_configENS1_36segmented_radix_sort_config_selectorIalEEZNS1_25segmented_radix_sort_implIS3_Lb0EPKaPaPKlPlN2at6native12_GLOBAL__N_18offset_tEEE10hipError_tPvRmT1_PNSt15iterator_traitsISK_E10value_typeET2_T3_PNSL_ISQ_E10value_typeET4_jRbjT5_SW_jjP12ihipStream_tbEUlT_E0_NS1_11comp_targetILNS1_3genE10ELNS1_11target_archE1201ELNS1_3gpuE5ELNS1_3repE0EEENS1_60segmented_radix_sort_warp_sort_medium_config_static_selectorELNS0_4arch9wavefront6targetE0EEEvSK_,comdat
	.globl	_ZN7rocprim17ROCPRIM_400000_NS6detail17trampoline_kernelINS0_14default_configENS1_36segmented_radix_sort_config_selectorIalEEZNS1_25segmented_radix_sort_implIS3_Lb0EPKaPaPKlPlN2at6native12_GLOBAL__N_18offset_tEEE10hipError_tPvRmT1_PNSt15iterator_traitsISK_E10value_typeET2_T3_PNSL_ISQ_E10value_typeET4_jRbjT5_SW_jjP12ihipStream_tbEUlT_E0_NS1_11comp_targetILNS1_3genE10ELNS1_11target_archE1201ELNS1_3gpuE5ELNS1_3repE0EEENS1_60segmented_radix_sort_warp_sort_medium_config_static_selectorELNS0_4arch9wavefront6targetE0EEEvSK_ ; -- Begin function _ZN7rocprim17ROCPRIM_400000_NS6detail17trampoline_kernelINS0_14default_configENS1_36segmented_radix_sort_config_selectorIalEEZNS1_25segmented_radix_sort_implIS3_Lb0EPKaPaPKlPlN2at6native12_GLOBAL__N_18offset_tEEE10hipError_tPvRmT1_PNSt15iterator_traitsISK_E10value_typeET2_T3_PNSL_ISQ_E10value_typeET4_jRbjT5_SW_jjP12ihipStream_tbEUlT_E0_NS1_11comp_targetILNS1_3genE10ELNS1_11target_archE1201ELNS1_3gpuE5ELNS1_3repE0EEENS1_60segmented_radix_sort_warp_sort_medium_config_static_selectorELNS0_4arch9wavefront6targetE0EEEvSK_
	.p2align	8
	.type	_ZN7rocprim17ROCPRIM_400000_NS6detail17trampoline_kernelINS0_14default_configENS1_36segmented_radix_sort_config_selectorIalEEZNS1_25segmented_radix_sort_implIS3_Lb0EPKaPaPKlPlN2at6native12_GLOBAL__N_18offset_tEEE10hipError_tPvRmT1_PNSt15iterator_traitsISK_E10value_typeET2_T3_PNSL_ISQ_E10value_typeET4_jRbjT5_SW_jjP12ihipStream_tbEUlT_E0_NS1_11comp_targetILNS1_3genE10ELNS1_11target_archE1201ELNS1_3gpuE5ELNS1_3repE0EEENS1_60segmented_radix_sort_warp_sort_medium_config_static_selectorELNS0_4arch9wavefront6targetE0EEEvSK_,@function
_ZN7rocprim17ROCPRIM_400000_NS6detail17trampoline_kernelINS0_14default_configENS1_36segmented_radix_sort_config_selectorIalEEZNS1_25segmented_radix_sort_implIS3_Lb0EPKaPaPKlPlN2at6native12_GLOBAL__N_18offset_tEEE10hipError_tPvRmT1_PNSt15iterator_traitsISK_E10value_typeET2_T3_PNSL_ISQ_E10value_typeET4_jRbjT5_SW_jjP12ihipStream_tbEUlT_E0_NS1_11comp_targetILNS1_3genE10ELNS1_11target_archE1201ELNS1_3gpuE5ELNS1_3repE0EEENS1_60segmented_radix_sort_warp_sort_medium_config_static_selectorELNS0_4arch9wavefront6targetE0EEEvSK_: ; @_ZN7rocprim17ROCPRIM_400000_NS6detail17trampoline_kernelINS0_14default_configENS1_36segmented_radix_sort_config_selectorIalEEZNS1_25segmented_radix_sort_implIS3_Lb0EPKaPaPKlPlN2at6native12_GLOBAL__N_18offset_tEEE10hipError_tPvRmT1_PNSt15iterator_traitsISK_E10value_typeET2_T3_PNSL_ISQ_E10value_typeET4_jRbjT5_SW_jjP12ihipStream_tbEUlT_E0_NS1_11comp_targetILNS1_3genE10ELNS1_11target_archE1201ELNS1_3gpuE5ELNS1_3repE0EEENS1_60segmented_radix_sort_warp_sort_medium_config_static_selectorELNS0_4arch9wavefront6targetE0EEEvSK_
; %bb.0:
	.section	.rodata,"a",@progbits
	.p2align	6, 0x0
	.amdhsa_kernel _ZN7rocprim17ROCPRIM_400000_NS6detail17trampoline_kernelINS0_14default_configENS1_36segmented_radix_sort_config_selectorIalEEZNS1_25segmented_radix_sort_implIS3_Lb0EPKaPaPKlPlN2at6native12_GLOBAL__N_18offset_tEEE10hipError_tPvRmT1_PNSt15iterator_traitsISK_E10value_typeET2_T3_PNSL_ISQ_E10value_typeET4_jRbjT5_SW_jjP12ihipStream_tbEUlT_E0_NS1_11comp_targetILNS1_3genE10ELNS1_11target_archE1201ELNS1_3gpuE5ELNS1_3repE0EEENS1_60segmented_radix_sort_warp_sort_medium_config_static_selectorELNS0_4arch9wavefront6targetE0EEEvSK_
		.amdhsa_group_segment_fixed_size 0
		.amdhsa_private_segment_fixed_size 0
		.amdhsa_kernarg_size 88
		.amdhsa_user_sgpr_count 15
		.amdhsa_user_sgpr_dispatch_ptr 0
		.amdhsa_user_sgpr_queue_ptr 0
		.amdhsa_user_sgpr_kernarg_segment_ptr 1
		.amdhsa_user_sgpr_dispatch_id 0
		.amdhsa_user_sgpr_private_segment_size 0
		.amdhsa_wavefront_size32 1
		.amdhsa_uses_dynamic_stack 0
		.amdhsa_enable_private_segment 0
		.amdhsa_system_sgpr_workgroup_id_x 1
		.amdhsa_system_sgpr_workgroup_id_y 0
		.amdhsa_system_sgpr_workgroup_id_z 0
		.amdhsa_system_sgpr_workgroup_info 0
		.amdhsa_system_vgpr_workitem_id 0
		.amdhsa_next_free_vgpr 1
		.amdhsa_next_free_sgpr 1
		.amdhsa_reserve_vcc 0
		.amdhsa_float_round_mode_32 0
		.amdhsa_float_round_mode_16_64 0
		.amdhsa_float_denorm_mode_32 3
		.amdhsa_float_denorm_mode_16_64 3
		.amdhsa_dx10_clamp 1
		.amdhsa_ieee_mode 1
		.amdhsa_fp16_overflow 0
		.amdhsa_workgroup_processor_mode 1
		.amdhsa_memory_ordered 1
		.amdhsa_forward_progress 0
		.amdhsa_shared_vgpr_count 0
		.amdhsa_exception_fp_ieee_invalid_op 0
		.amdhsa_exception_fp_denorm_src 0
		.amdhsa_exception_fp_ieee_div_zero 0
		.amdhsa_exception_fp_ieee_overflow 0
		.amdhsa_exception_fp_ieee_underflow 0
		.amdhsa_exception_fp_ieee_inexact 0
		.amdhsa_exception_int_div_zero 0
	.end_amdhsa_kernel
	.section	.text._ZN7rocprim17ROCPRIM_400000_NS6detail17trampoline_kernelINS0_14default_configENS1_36segmented_radix_sort_config_selectorIalEEZNS1_25segmented_radix_sort_implIS3_Lb0EPKaPaPKlPlN2at6native12_GLOBAL__N_18offset_tEEE10hipError_tPvRmT1_PNSt15iterator_traitsISK_E10value_typeET2_T3_PNSL_ISQ_E10value_typeET4_jRbjT5_SW_jjP12ihipStream_tbEUlT_E0_NS1_11comp_targetILNS1_3genE10ELNS1_11target_archE1201ELNS1_3gpuE5ELNS1_3repE0EEENS1_60segmented_radix_sort_warp_sort_medium_config_static_selectorELNS0_4arch9wavefront6targetE0EEEvSK_,"axG",@progbits,_ZN7rocprim17ROCPRIM_400000_NS6detail17trampoline_kernelINS0_14default_configENS1_36segmented_radix_sort_config_selectorIalEEZNS1_25segmented_radix_sort_implIS3_Lb0EPKaPaPKlPlN2at6native12_GLOBAL__N_18offset_tEEE10hipError_tPvRmT1_PNSt15iterator_traitsISK_E10value_typeET2_T3_PNSL_ISQ_E10value_typeET4_jRbjT5_SW_jjP12ihipStream_tbEUlT_E0_NS1_11comp_targetILNS1_3genE10ELNS1_11target_archE1201ELNS1_3gpuE5ELNS1_3repE0EEENS1_60segmented_radix_sort_warp_sort_medium_config_static_selectorELNS0_4arch9wavefront6targetE0EEEvSK_,comdat
.Lfunc_end408:
	.size	_ZN7rocprim17ROCPRIM_400000_NS6detail17trampoline_kernelINS0_14default_configENS1_36segmented_radix_sort_config_selectorIalEEZNS1_25segmented_radix_sort_implIS3_Lb0EPKaPaPKlPlN2at6native12_GLOBAL__N_18offset_tEEE10hipError_tPvRmT1_PNSt15iterator_traitsISK_E10value_typeET2_T3_PNSL_ISQ_E10value_typeET4_jRbjT5_SW_jjP12ihipStream_tbEUlT_E0_NS1_11comp_targetILNS1_3genE10ELNS1_11target_archE1201ELNS1_3gpuE5ELNS1_3repE0EEENS1_60segmented_radix_sort_warp_sort_medium_config_static_selectorELNS0_4arch9wavefront6targetE0EEEvSK_, .Lfunc_end408-_ZN7rocprim17ROCPRIM_400000_NS6detail17trampoline_kernelINS0_14default_configENS1_36segmented_radix_sort_config_selectorIalEEZNS1_25segmented_radix_sort_implIS3_Lb0EPKaPaPKlPlN2at6native12_GLOBAL__N_18offset_tEEE10hipError_tPvRmT1_PNSt15iterator_traitsISK_E10value_typeET2_T3_PNSL_ISQ_E10value_typeET4_jRbjT5_SW_jjP12ihipStream_tbEUlT_E0_NS1_11comp_targetILNS1_3genE10ELNS1_11target_archE1201ELNS1_3gpuE5ELNS1_3repE0EEENS1_60segmented_radix_sort_warp_sort_medium_config_static_selectorELNS0_4arch9wavefront6targetE0EEEvSK_
                                        ; -- End function
	.section	.AMDGPU.csdata,"",@progbits
; Kernel info:
; codeLenInByte = 0
; NumSgprs: 0
; NumVgprs: 0
; ScratchSize: 0
; MemoryBound: 0
; FloatMode: 240
; IeeeMode: 1
; LDSByteSize: 0 bytes/workgroup (compile time only)
; SGPRBlocks: 0
; VGPRBlocks: 0
; NumSGPRsForWavesPerEU: 1
; NumVGPRsForWavesPerEU: 1
; Occupancy: 16
; WaveLimiterHint : 0
; COMPUTE_PGM_RSRC2:SCRATCH_EN: 0
; COMPUTE_PGM_RSRC2:USER_SGPR: 15
; COMPUTE_PGM_RSRC2:TRAP_HANDLER: 0
; COMPUTE_PGM_RSRC2:TGID_X_EN: 1
; COMPUTE_PGM_RSRC2:TGID_Y_EN: 0
; COMPUTE_PGM_RSRC2:TGID_Z_EN: 0
; COMPUTE_PGM_RSRC2:TIDIG_COMP_CNT: 0
	.section	.text._ZN7rocprim17ROCPRIM_400000_NS6detail17trampoline_kernelINS0_14default_configENS1_36segmented_radix_sort_config_selectorIalEEZNS1_25segmented_radix_sort_implIS3_Lb0EPKaPaPKlPlN2at6native12_GLOBAL__N_18offset_tEEE10hipError_tPvRmT1_PNSt15iterator_traitsISK_E10value_typeET2_T3_PNSL_ISQ_E10value_typeET4_jRbjT5_SW_jjP12ihipStream_tbEUlT_E0_NS1_11comp_targetILNS1_3genE10ELNS1_11target_archE1200ELNS1_3gpuE4ELNS1_3repE0EEENS1_60segmented_radix_sort_warp_sort_medium_config_static_selectorELNS0_4arch9wavefront6targetE0EEEvSK_,"axG",@progbits,_ZN7rocprim17ROCPRIM_400000_NS6detail17trampoline_kernelINS0_14default_configENS1_36segmented_radix_sort_config_selectorIalEEZNS1_25segmented_radix_sort_implIS3_Lb0EPKaPaPKlPlN2at6native12_GLOBAL__N_18offset_tEEE10hipError_tPvRmT1_PNSt15iterator_traitsISK_E10value_typeET2_T3_PNSL_ISQ_E10value_typeET4_jRbjT5_SW_jjP12ihipStream_tbEUlT_E0_NS1_11comp_targetILNS1_3genE10ELNS1_11target_archE1200ELNS1_3gpuE4ELNS1_3repE0EEENS1_60segmented_radix_sort_warp_sort_medium_config_static_selectorELNS0_4arch9wavefront6targetE0EEEvSK_,comdat
	.globl	_ZN7rocprim17ROCPRIM_400000_NS6detail17trampoline_kernelINS0_14default_configENS1_36segmented_radix_sort_config_selectorIalEEZNS1_25segmented_radix_sort_implIS3_Lb0EPKaPaPKlPlN2at6native12_GLOBAL__N_18offset_tEEE10hipError_tPvRmT1_PNSt15iterator_traitsISK_E10value_typeET2_T3_PNSL_ISQ_E10value_typeET4_jRbjT5_SW_jjP12ihipStream_tbEUlT_E0_NS1_11comp_targetILNS1_3genE10ELNS1_11target_archE1200ELNS1_3gpuE4ELNS1_3repE0EEENS1_60segmented_radix_sort_warp_sort_medium_config_static_selectorELNS0_4arch9wavefront6targetE0EEEvSK_ ; -- Begin function _ZN7rocprim17ROCPRIM_400000_NS6detail17trampoline_kernelINS0_14default_configENS1_36segmented_radix_sort_config_selectorIalEEZNS1_25segmented_radix_sort_implIS3_Lb0EPKaPaPKlPlN2at6native12_GLOBAL__N_18offset_tEEE10hipError_tPvRmT1_PNSt15iterator_traitsISK_E10value_typeET2_T3_PNSL_ISQ_E10value_typeET4_jRbjT5_SW_jjP12ihipStream_tbEUlT_E0_NS1_11comp_targetILNS1_3genE10ELNS1_11target_archE1200ELNS1_3gpuE4ELNS1_3repE0EEENS1_60segmented_radix_sort_warp_sort_medium_config_static_selectorELNS0_4arch9wavefront6targetE0EEEvSK_
	.p2align	8
	.type	_ZN7rocprim17ROCPRIM_400000_NS6detail17trampoline_kernelINS0_14default_configENS1_36segmented_radix_sort_config_selectorIalEEZNS1_25segmented_radix_sort_implIS3_Lb0EPKaPaPKlPlN2at6native12_GLOBAL__N_18offset_tEEE10hipError_tPvRmT1_PNSt15iterator_traitsISK_E10value_typeET2_T3_PNSL_ISQ_E10value_typeET4_jRbjT5_SW_jjP12ihipStream_tbEUlT_E0_NS1_11comp_targetILNS1_3genE10ELNS1_11target_archE1200ELNS1_3gpuE4ELNS1_3repE0EEENS1_60segmented_radix_sort_warp_sort_medium_config_static_selectorELNS0_4arch9wavefront6targetE0EEEvSK_,@function
_ZN7rocprim17ROCPRIM_400000_NS6detail17trampoline_kernelINS0_14default_configENS1_36segmented_radix_sort_config_selectorIalEEZNS1_25segmented_radix_sort_implIS3_Lb0EPKaPaPKlPlN2at6native12_GLOBAL__N_18offset_tEEE10hipError_tPvRmT1_PNSt15iterator_traitsISK_E10value_typeET2_T3_PNSL_ISQ_E10value_typeET4_jRbjT5_SW_jjP12ihipStream_tbEUlT_E0_NS1_11comp_targetILNS1_3genE10ELNS1_11target_archE1200ELNS1_3gpuE4ELNS1_3repE0EEENS1_60segmented_radix_sort_warp_sort_medium_config_static_selectorELNS0_4arch9wavefront6targetE0EEEvSK_: ; @_ZN7rocprim17ROCPRIM_400000_NS6detail17trampoline_kernelINS0_14default_configENS1_36segmented_radix_sort_config_selectorIalEEZNS1_25segmented_radix_sort_implIS3_Lb0EPKaPaPKlPlN2at6native12_GLOBAL__N_18offset_tEEE10hipError_tPvRmT1_PNSt15iterator_traitsISK_E10value_typeET2_T3_PNSL_ISQ_E10value_typeET4_jRbjT5_SW_jjP12ihipStream_tbEUlT_E0_NS1_11comp_targetILNS1_3genE10ELNS1_11target_archE1200ELNS1_3gpuE4ELNS1_3repE0EEENS1_60segmented_radix_sort_warp_sort_medium_config_static_selectorELNS0_4arch9wavefront6targetE0EEEvSK_
; %bb.0:
	.section	.rodata,"a",@progbits
	.p2align	6, 0x0
	.amdhsa_kernel _ZN7rocprim17ROCPRIM_400000_NS6detail17trampoline_kernelINS0_14default_configENS1_36segmented_radix_sort_config_selectorIalEEZNS1_25segmented_radix_sort_implIS3_Lb0EPKaPaPKlPlN2at6native12_GLOBAL__N_18offset_tEEE10hipError_tPvRmT1_PNSt15iterator_traitsISK_E10value_typeET2_T3_PNSL_ISQ_E10value_typeET4_jRbjT5_SW_jjP12ihipStream_tbEUlT_E0_NS1_11comp_targetILNS1_3genE10ELNS1_11target_archE1200ELNS1_3gpuE4ELNS1_3repE0EEENS1_60segmented_radix_sort_warp_sort_medium_config_static_selectorELNS0_4arch9wavefront6targetE0EEEvSK_
		.amdhsa_group_segment_fixed_size 0
		.amdhsa_private_segment_fixed_size 0
		.amdhsa_kernarg_size 88
		.amdhsa_user_sgpr_count 15
		.amdhsa_user_sgpr_dispatch_ptr 0
		.amdhsa_user_sgpr_queue_ptr 0
		.amdhsa_user_sgpr_kernarg_segment_ptr 1
		.amdhsa_user_sgpr_dispatch_id 0
		.amdhsa_user_sgpr_private_segment_size 0
		.amdhsa_wavefront_size32 1
		.amdhsa_uses_dynamic_stack 0
		.amdhsa_enable_private_segment 0
		.amdhsa_system_sgpr_workgroup_id_x 1
		.amdhsa_system_sgpr_workgroup_id_y 0
		.amdhsa_system_sgpr_workgroup_id_z 0
		.amdhsa_system_sgpr_workgroup_info 0
		.amdhsa_system_vgpr_workitem_id 0
		.amdhsa_next_free_vgpr 1
		.amdhsa_next_free_sgpr 1
		.amdhsa_reserve_vcc 0
		.amdhsa_float_round_mode_32 0
		.amdhsa_float_round_mode_16_64 0
		.amdhsa_float_denorm_mode_32 3
		.amdhsa_float_denorm_mode_16_64 3
		.amdhsa_dx10_clamp 1
		.amdhsa_ieee_mode 1
		.amdhsa_fp16_overflow 0
		.amdhsa_workgroup_processor_mode 1
		.amdhsa_memory_ordered 1
		.amdhsa_forward_progress 0
		.amdhsa_shared_vgpr_count 0
		.amdhsa_exception_fp_ieee_invalid_op 0
		.amdhsa_exception_fp_denorm_src 0
		.amdhsa_exception_fp_ieee_div_zero 0
		.amdhsa_exception_fp_ieee_overflow 0
		.amdhsa_exception_fp_ieee_underflow 0
		.amdhsa_exception_fp_ieee_inexact 0
		.amdhsa_exception_int_div_zero 0
	.end_amdhsa_kernel
	.section	.text._ZN7rocprim17ROCPRIM_400000_NS6detail17trampoline_kernelINS0_14default_configENS1_36segmented_radix_sort_config_selectorIalEEZNS1_25segmented_radix_sort_implIS3_Lb0EPKaPaPKlPlN2at6native12_GLOBAL__N_18offset_tEEE10hipError_tPvRmT1_PNSt15iterator_traitsISK_E10value_typeET2_T3_PNSL_ISQ_E10value_typeET4_jRbjT5_SW_jjP12ihipStream_tbEUlT_E0_NS1_11comp_targetILNS1_3genE10ELNS1_11target_archE1200ELNS1_3gpuE4ELNS1_3repE0EEENS1_60segmented_radix_sort_warp_sort_medium_config_static_selectorELNS0_4arch9wavefront6targetE0EEEvSK_,"axG",@progbits,_ZN7rocprim17ROCPRIM_400000_NS6detail17trampoline_kernelINS0_14default_configENS1_36segmented_radix_sort_config_selectorIalEEZNS1_25segmented_radix_sort_implIS3_Lb0EPKaPaPKlPlN2at6native12_GLOBAL__N_18offset_tEEE10hipError_tPvRmT1_PNSt15iterator_traitsISK_E10value_typeET2_T3_PNSL_ISQ_E10value_typeET4_jRbjT5_SW_jjP12ihipStream_tbEUlT_E0_NS1_11comp_targetILNS1_3genE10ELNS1_11target_archE1200ELNS1_3gpuE4ELNS1_3repE0EEENS1_60segmented_radix_sort_warp_sort_medium_config_static_selectorELNS0_4arch9wavefront6targetE0EEEvSK_,comdat
.Lfunc_end409:
	.size	_ZN7rocprim17ROCPRIM_400000_NS6detail17trampoline_kernelINS0_14default_configENS1_36segmented_radix_sort_config_selectorIalEEZNS1_25segmented_radix_sort_implIS3_Lb0EPKaPaPKlPlN2at6native12_GLOBAL__N_18offset_tEEE10hipError_tPvRmT1_PNSt15iterator_traitsISK_E10value_typeET2_T3_PNSL_ISQ_E10value_typeET4_jRbjT5_SW_jjP12ihipStream_tbEUlT_E0_NS1_11comp_targetILNS1_3genE10ELNS1_11target_archE1200ELNS1_3gpuE4ELNS1_3repE0EEENS1_60segmented_radix_sort_warp_sort_medium_config_static_selectorELNS0_4arch9wavefront6targetE0EEEvSK_, .Lfunc_end409-_ZN7rocprim17ROCPRIM_400000_NS6detail17trampoline_kernelINS0_14default_configENS1_36segmented_radix_sort_config_selectorIalEEZNS1_25segmented_radix_sort_implIS3_Lb0EPKaPaPKlPlN2at6native12_GLOBAL__N_18offset_tEEE10hipError_tPvRmT1_PNSt15iterator_traitsISK_E10value_typeET2_T3_PNSL_ISQ_E10value_typeET4_jRbjT5_SW_jjP12ihipStream_tbEUlT_E0_NS1_11comp_targetILNS1_3genE10ELNS1_11target_archE1200ELNS1_3gpuE4ELNS1_3repE0EEENS1_60segmented_radix_sort_warp_sort_medium_config_static_selectorELNS0_4arch9wavefront6targetE0EEEvSK_
                                        ; -- End function
	.section	.AMDGPU.csdata,"",@progbits
; Kernel info:
; codeLenInByte = 0
; NumSgprs: 0
; NumVgprs: 0
; ScratchSize: 0
; MemoryBound: 0
; FloatMode: 240
; IeeeMode: 1
; LDSByteSize: 0 bytes/workgroup (compile time only)
; SGPRBlocks: 0
; VGPRBlocks: 0
; NumSGPRsForWavesPerEU: 1
; NumVGPRsForWavesPerEU: 1
; Occupancy: 16
; WaveLimiterHint : 0
; COMPUTE_PGM_RSRC2:SCRATCH_EN: 0
; COMPUTE_PGM_RSRC2:USER_SGPR: 15
; COMPUTE_PGM_RSRC2:TRAP_HANDLER: 0
; COMPUTE_PGM_RSRC2:TGID_X_EN: 1
; COMPUTE_PGM_RSRC2:TGID_Y_EN: 0
; COMPUTE_PGM_RSRC2:TGID_Z_EN: 0
; COMPUTE_PGM_RSRC2:TIDIG_COMP_CNT: 0
	.text
	.p2align	2                               ; -- Begin function _ZN7rocprim17ROCPRIM_400000_NS6detail26segmented_warp_sort_helperINS1_20WarpSortHelperConfigILj16ELj8ELj256EEEalLi256ELb0EvE4sortIPKaPaPKlPlEEvT_T0_T1_T2_jjjjRNS5_12storage_typeE
	.type	_ZN7rocprim17ROCPRIM_400000_NS6detail26segmented_warp_sort_helperINS1_20WarpSortHelperConfigILj16ELj8ELj256EEEalLi256ELb0EvE4sortIPKaPaPKlPlEEvT_T0_T1_T2_jjjjRNS5_12storage_typeE,@function
_ZN7rocprim17ROCPRIM_400000_NS6detail26segmented_warp_sort_helperINS1_20WarpSortHelperConfigILj16ELj8ELj256EEEalLi256ELb0EvE4sortIPKaPaPKlPlEEvT_T0_T1_T2_jjjjRNS5_12storage_typeE: ; @_ZN7rocprim17ROCPRIM_400000_NS6detail26segmented_warp_sort_helperINS1_20WarpSortHelperConfigILj16ELj8ELj256EEEalLi256ELb0EvE4sortIPKaPaPKlPlEEvT_T0_T1_T2_jjjjRNS5_12storage_typeE
; %bb.0:
	s_waitcnt vmcnt(0) expcnt(0) lgkmcnt(0)
	v_mbcnt_lo_u32_b32 v12, -1, 0
	v_add_co_u32 v0, vcc_lo, v0, v8
	v_dual_mov_b32 v24, 0x7f :: v_dual_mov_b32 v39, 0x7f
	s_delay_alu instid0(VALU_DEP_3) | instskip(SKIP_3) | instid1(VALU_DEP_4)
	v_lshlrev_b32_e32 v34, 3, v12
	v_sub_nc_u32_e32 v12, v9, v8
	v_mov_b32_e32 v9, 0
	v_add_co_ci_u32_e32 v1, vcc_lo, 0, v1, vcc_lo
	v_dual_mov_b32 v25, v24 :: v_dual_and_b32 v32, 0x78, v34
	v_dual_mov_b32 v36, 0x7f :: v_dual_mov_b32 v37, v24
	v_dual_mov_b32 v38, 0x7f :: v_dual_mov_b32 v35, v24
	s_delay_alu instid0(VALU_DEP_3)
	v_add_co_u32 v0, vcc_lo, v0, v32
	v_add_co_ci_u32_e32 v1, vcc_lo, 0, v1, vcc_lo
	v_cmp_lt_u32_e32 vcc_lo, v32, v12
	v_mov_b32_e32 v28, 0x7f
	s_and_saveexec_b32 s0, vcc_lo
	s_cbranch_execz .LBB410_2
; %bb.1:
	flat_load_u8 v24, v[0:1]
	v_dual_mov_b32 v38, 0x7f :: v_dual_mov_b32 v39, 0x7f
	v_dual_mov_b32 v28, 0x7f :: v_dual_mov_b32 v37, 0x7f
	s_delay_alu instid0(VALU_DEP_2)
	v_dual_mov_b32 v36, 0x7f :: v_dual_mov_b32 v25, v38
	v_mov_b32_e32 v35, 0x7f
.LBB410_2:
	s_or_b32 exec_lo, exec_lo, s0
	v_or_b32_e32 v13, 1, v32
	s_delay_alu instid0(VALU_DEP_1) | instskip(NEXT) | instid1(VALU_DEP_1)
	v_cmp_lt_u32_e64 s0, v13, v12
	s_and_saveexec_b32 s1, s0
	s_cbranch_execz .LBB410_4
; %bb.3:
	flat_load_u8 v38, v[0:1] offset:1
.LBB410_4:
	s_or_b32 exec_lo, exec_lo, s1
	v_or_b32_e32 v13, 2, v32
	s_delay_alu instid0(VALU_DEP_1) | instskip(NEXT) | instid1(VALU_DEP_1)
	v_cmp_lt_u32_e64 s1, v13, v12
	s_and_saveexec_b32 s2, s1
	s_cbranch_execz .LBB410_6
; %bb.5:
	flat_load_u8 v39, v[0:1] offset:2
.LBB410_6:
	;; [unrolled: 9-line block ×7, first 2 shown]
	s_or_b32 exec_lo, exec_lo, s7
	v_lshlrev_b64 v[0:1], 3, v[8:9]
	v_lshlrev_b32_e32 v33, 3, v32
	; wave barrier
	s_delay_alu instid0(VALU_DEP_2) | instskip(NEXT) | instid1(VALU_DEP_1)
	v_add_co_u32 v4, s7, v4, v0
	v_add_co_ci_u32_e64 v5, s7, v5, v1, s7
	s_delay_alu instid0(VALU_DEP_2) | instskip(NEXT) | instid1(VALU_DEP_1)
	v_add_co_u32 v29, s7, v4, v33
	v_add_co_ci_u32_e64 v30, s7, 0, v5, s7
                                        ; implicit-def: $vgpr4_vgpr5
	s_and_saveexec_b32 s7, vcc_lo
	s_cbranch_execnz .LBB410_135
; %bb.17:
	s_or_b32 exec_lo, exec_lo, s7
                                        ; implicit-def: $vgpr14_vgpr15
	s_and_saveexec_b32 s7, s0
	s_cbranch_execnz .LBB410_136
.LBB410_18:
	s_or_b32 exec_lo, exec_lo, s7
                                        ; implicit-def: $vgpr16_vgpr17
	s_and_saveexec_b32 s7, s1
	s_cbranch_execnz .LBB410_137
.LBB410_19:
	s_or_b32 exec_lo, exec_lo, s7
                                        ; implicit-def: $vgpr22_vgpr23
	s_and_saveexec_b32 s7, s2
	s_cbranch_execnz .LBB410_138
.LBB410_20:
	s_or_b32 exec_lo, exec_lo, s7
                                        ; implicit-def: $vgpr26_vgpr27
	s_and_saveexec_b32 s7, s3
	s_cbranch_execnz .LBB410_139
.LBB410_21:
	s_or_b32 exec_lo, exec_lo, s7
                                        ; implicit-def: $vgpr20_vgpr21
	s_and_saveexec_b32 s7, s4
	s_cbranch_execnz .LBB410_140
.LBB410_22:
	s_or_b32 exec_lo, exec_lo, s7
                                        ; implicit-def: $vgpr18_vgpr19
	s_and_saveexec_b32 s7, s5
	s_cbranch_execnz .LBB410_141
.LBB410_23:
	s_or_b32 exec_lo, exec_lo, s7
                                        ; implicit-def: $vgpr12_vgpr13
	s_and_saveexec_b32 s7, s6
	s_cbranch_execz .LBB410_25
.LBB410_24:
	flat_load_b64 v[12:13], v[29:30] offset:56
.LBB410_25:
	s_or_b32 exec_lo, exec_lo, s7
	v_cmp_ne_u32_e64 s7, 0, v10
	v_cmp_ne_u32_e64 s10, 8, v11
	v_bfe_u32 v29, v31, 10, 10
	v_bfe_u32 v30, v31, 20, 10
	v_and_b32_e32 v9, 0x3ff, v31
	s_delay_alu instid0(VALU_DEP_4) | instskip(NEXT) | instid1(SALU_CYCLE_1)
	s_or_b32 s7, s7, s10
	; wave barrier
	s_and_saveexec_b32 s10, s7
	s_delay_alu instid0(SALU_CYCLE_1)
	s_xor_b32 s21, exec_lo, s10
	s_cbranch_execz .LBB410_71
; %bb.26:
	s_load_b64 s[10:11], s[8:9], 0x0
	v_mov_b32_e32 v31, 0
	v_lshlrev_b32_e64 v11, v11, -1
	v_lshlrev_b32_e64 v10, v10, -1
	s_mov_b32 s19, exec_lo
	s_delay_alu instid0(VALU_DEP_1) | instskip(SKIP_3) | instid1(SALU_CYCLE_1)
	v_xor_b32_e32 v11, v11, v10
	s_waitcnt lgkmcnt(0)
	s_cmp_lt_u32 s13, s11
	s_cselect_b32 s7, 14, 20
	s_add_u32 s14, s8, s7
	s_addc_u32 s15, s9, 0
	s_cmp_lt_u32 s12, s10
	global_load_u16 v48, v31, s[14:15]
	s_cselect_b32 s7, 12, 18
	s_delay_alu instid0(SALU_CYCLE_1)
	s_add_u32 s10, s8, s7
	s_addc_u32 s11, s9, 0
	global_load_u16 v31, v31, s[10:11]
	s_waitcnt vmcnt(1)
	v_mad_u32_u24 v29, v30, v48, v29
	s_waitcnt vmcnt(0)
	s_delay_alu instid0(VALU_DEP_1) | instskip(NEXT) | instid1(VALU_DEP_1)
	v_mul_lo_u32 v29, v29, v31
	v_add_lshl_u32 v30, v29, v9, 3
	s_delay_alu instid0(VALU_DEP_1)
	v_cmpx_gt_u32_e32 0x800, v30
	s_cbranch_execz .LBB410_30
; %bb.27:
	v_and_b32_e32 v9, 0xff, v25
	v_and_b32_e32 v10, 0xff, v24
	v_lshlrev_b16 v25, 8, v38
	v_lshlrev_b16 v29, 8, v24
	v_and_b32_e32 v31, 0xff, v38
	v_and_b32_e32 v39, 0xff, v39
	v_lshlrev_b16 v28, 8, v28
	v_or_b32_e32 v10, v10, v25
	v_and_b32_e32 v24, v24, v11
	v_or_b32_e32 v25, v31, v29
	v_and_b32_e32 v29, v38, v11
	v_or_b32_e32 v28, v39, v28
	v_lshlrev_b16 v37, 8, v37
	v_and_b32_e32 v35, 0xff, v35
	v_and_b32_e32 v10, 0xffff, v10
	v_and_b32_e32 v25, 0xffff, v25
	v_lshlrev_b32_e32 v28, 16, v28
	v_bfe_i32 v29, v29, 0, 8
	v_bfe_i32 v24, v24, 0, 8
	v_lshlrev_b16 v31, 8, v36
	v_or_b32_e32 v9, v9, v37
	v_or_b32_e32 v25, v25, v28
	;; [unrolled: 1-line block ×3, first 2 shown]
	v_cmp_gt_i16_e64 s10, v24, v29
	v_or_b32_e32 v24, v35, v31
	v_and_b32_e32 v28, 0xffff, v9
	v_and_b32_e32 v9, v9, v11
	s_delay_alu instid0(VALU_DEP_4) | instskip(NEXT) | instid1(VALU_DEP_4)
	v_cndmask_b32_e64 v10, v10, v25, s10
	v_lshlrev_b32_e32 v24, 16, v24
	v_cndmask_b32_e64 v29, v14, v4, s10
	s_delay_alu instid0(VALU_DEP_4)
	v_bfe_i32 v9, v9, 0, 8
	v_cndmask_b32_e64 v4, v4, v14, s10
	v_lshrrev_b32_e32 v25, 24, v10
	v_or_b32_e32 v24, v28, v24
	v_lshrrev_b32_e32 v28, 16, v10
	v_cndmask_b32_e64 v37, v15, v5, s10
	v_cndmask_b32_e64 v5, v5, v15, s10
	v_and_b32_e32 v25, v25, v11
	v_lshrrev_b32_e32 v31, 8, v24
	v_perm_b32 v35, 0, v28, 0xc0c0001
	v_and_b32_e32 v28, v28, v11
	s_delay_alu instid0(VALU_DEP_4) | instskip(NEXT) | instid1(VALU_DEP_4)
	v_bfe_i32 v25, v25, 0, 8
	v_and_b32_e32 v31, v31, v11
	s_delay_alu instid0(VALU_DEP_4) | instskip(NEXT) | instid1(VALU_DEP_4)
	v_lshlrev_b32_e32 v35, 16, v35
	v_bfe_i32 v28, v28, 0, 8
	s_delay_alu instid0(VALU_DEP_3) | instskip(NEXT) | instid1(VALU_DEP_3)
	v_bfe_i32 v31, v31, 0, 8
	v_and_or_b32 v35, 0xffff, v10, v35
	s_delay_alu instid0(VALU_DEP_3) | instskip(SKIP_1) | instid1(VALU_DEP_4)
	v_cmp_gt_i16_e64 s7, v28, v25
	v_perm_b32 v25, v24, v24, 0x7060405
	v_cmp_gt_i16_e64 s11, v9, v31
	s_delay_alu instid0(VALU_DEP_3) | instskip(SKIP_2) | instid1(VALU_DEP_4)
	v_cndmask_b32_e64 v10, v10, v35, s7
	v_cndmask_b32_e64 v38, v17, v23, s7
	;; [unrolled: 1-line block ×5, first 2 shown]
	v_lshrrev_b32_e32 v25, 16, v10
	v_lshrrev_b32_e32 v31, 8, v10
	v_perm_b32 v39, v10, v10, 0x7050604
	v_lshrrev_b32_e32 v35, 24, v24
	v_lshrrev_b32_e32 v36, 16, v24
	v_and_b32_e32 v25, v25, v11
	v_and_b32_e32 v31, v31, v11
	v_cndmask_b32_e64 v9, v22, v16, s7
	v_and_b32_e32 v35, v35, v11
	v_and_b32_e32 v36, v36, v11
	v_bfe_i32 v25, v25, 0, 8
	v_bfe_i32 v31, v31, 0, 8
	v_cndmask_b32_e64 v16, v16, v22, s7
	v_bfe_i32 v35, v35, 0, 8
	v_bfe_i32 v36, v36, 0, 8
	v_cndmask_b32_e64 v28, v26, v20, s11
	v_cmp_gt_i16_e64 s14, v31, v25
	v_perm_b32 v25, v24, v24, 0x6070504
	v_cndmask_b32_e64 v20, v20, v26, s11
	v_cmp_gt_i16_e64 s15, v36, v35
	s_delay_alu instid0(VALU_DEP_4) | instskip(SKIP_1) | instid1(VALU_DEP_3)
	v_cndmask_b32_e64 v10, v10, v39, s14
	v_cndmask_b32_e64 v31, v38, v37, s14
	;; [unrolled: 1-line block ×4, first 2 shown]
	s_delay_alu instid0(VALU_DEP_4)
	v_lshrrev_b32_e32 v25, 16, v10
	v_lshrrev_b32_e32 v39, 24, v10
	v_cndmask_b32_e64 v12, v12, v18, s15
	v_lshlrev_b16 v36, 8, v24
	v_and_b32_e32 v48, v24, v11
	v_and_b32_e32 v25, 0xff, v25
	s_delay_alu instid0(VALU_DEP_1) | instskip(SKIP_1) | instid1(VALU_DEP_4)
	v_or_b32_e32 v25, v25, v36
	v_and_b32_e32 v36, v39, v11
	v_bfe_i32 v39, v48, 0, 8
	v_cndmask_b32_e64 v48, v27, v21, s11
	s_delay_alu instid0(VALU_DEP_4) | instskip(NEXT) | instid1(VALU_DEP_4)
	v_lshlrev_b32_e32 v25, 16, v25
	v_bfe_i32 v36, v36, 0, 8
	s_delay_alu instid0(VALU_DEP_2) | instskip(NEXT) | instid1(VALU_DEP_2)
	v_and_or_b32 v23, 0xffff, v10, v25
	v_cmp_gt_i16_e64 s16, v36, v39
	v_perm_b32 v25, v10, v24, 0x3020107
	v_cndmask_b32_e64 v39, v29, v16, s14
	v_cndmask_b32_e64 v16, v16, v29, s14
	s_delay_alu instid0(VALU_DEP_4) | instskip(NEXT) | instid1(VALU_DEP_4)
	v_cndmask_b32_e64 v10, v10, v23, s16
	v_cndmask_b32_e64 v23, v24, v25, s16
	;; [unrolled: 1-line block ×5, first 2 shown]
	v_lshrrev_b32_e32 v21, 8, v10
	v_lshrrev_b32_e32 v24, 16, v23
	;; [unrolled: 1-line block ×3, first 2 shown]
	v_and_b32_e32 v22, v10, v11
	v_perm_b32 v27, 0, v10, 0xc0c0001
	v_and_b32_e32 v21, v21, v11
	v_and_b32_e32 v24, v24, v11
	;; [unrolled: 1-line block ×3, first 2 shown]
	v_bfe_i32 v22, v22, 0, 8
	v_and_or_b32 v27, 0xffff0000, v10, v27
	v_bfe_i32 v21, v21, 0, 8
	v_bfe_i32 v24, v24, 0, 8
	v_bfe_i32 v25, v25, 0, 8
	v_cndmask_b32_e64 v17, v48, v17, s16
	s_delay_alu instid0(VALU_DEP_4) | instskip(SKIP_1) | instid1(VALU_DEP_4)
	v_cmp_gt_i16_e64 s7, v22, v21
	v_perm_b32 v22, v23, v23, 0x7050604
	v_cmp_gt_i16_e64 s17, v25, v24
	v_cndmask_b32_e64 v21, v19, v13, s15
	v_cndmask_b32_e64 v13, v13, v19, s15
	;; [unrolled: 1-line block ×7, first 2 shown]
	v_lshrrev_b32_e32 v23, 24, v10
	v_lshrrev_b32_e32 v25, 16, v10
	;; [unrolled: 1-line block ×3, first 2 shown]
	v_and_b32_e32 v50, v22, v11
	v_cndmask_b32_e64 v4, v4, v39, s7
	v_and_b32_e32 v23, v23, v11
	v_perm_b32 v29, 0, v25, 0xc0c0001
	v_and_b32_e32 v25, v25, v11
	v_and_b32_e32 v27, v27, v11
	v_bfe_i32 v28, v50, 0, 8
	v_bfe_i32 v23, v23, 0, 8
	v_lshlrev_b32_e32 v29, 16, v29
	v_bfe_i32 v25, v25, 0, 8
	v_bfe_i32 v27, v27, 0, 8
	s_delay_alu instid0(VALU_DEP_3) | instskip(NEXT) | instid1(VALU_DEP_3)
	v_and_or_b32 v29, 0xffff, v10, v29
	v_cmp_gt_i16_e64 s11, v25, v23
	v_perm_b32 v25, v22, v22, 0x7060405
	s_delay_alu instid0(VALU_DEP_4)
	v_cmp_gt_i16_e64 s18, v28, v27
	v_cndmask_b32_e64 v28, v37, v38, s14
	v_cndmask_b32_e64 v23, v20, v35, s17
	;; [unrolled: 1-line block ×7, first 2 shown]
	v_lshrrev_b32_e32 v18, 16, v10
	v_lshrrev_b32_e32 v25, 8, v10
	;; [unrolled: 1-line block ×4, first 2 shown]
	v_perm_b32 v51, v10, v10, 0x7050604
	v_and_b32_e32 v18, v18, v11
	v_and_b32_e32 v25, v25, v11
	v_and_b32_e32 v29, v29, v11
	v_and_b32_e32 v37, v37, v11
	v_cndmask_b32_e64 v16, v16, v26, s11
	v_bfe_i32 v18, v18, 0, 8
	v_bfe_i32 v25, v25, 0, 8
	;; [unrolled: 1-line block ×4, first 2 shown]
	v_cndmask_b32_e64 v50, v31, v36, s11
	v_cndmask_b32_e64 v31, v36, v31, s11
	v_cmp_gt_i16_e64 s10, v25, v18
	v_cndmask_b32_e64 v18, v35, v20, s17
	v_perm_b32 v20, v22, v22, 0x6070504
	v_cmp_gt_i16_e64 s14, v37, v29
	v_cndmask_b32_e64 v15, v9, v23, s18
	v_cndmask_b32_e64 v10, v10, v51, s10
	;; [unrolled: 1-line block ×6, first 2 shown]
	v_lshrrev_b32_e32 v22, 16, v10
	v_lshrrev_b32_e32 v37, 24, v10
	v_cndmask_b32_e64 v38, v28, v5, s7
	v_lshlrev_b16 v35, 8, v20
	v_and_b32_e32 v51, v20, v11
	v_and_b32_e32 v22, 0xff, v22
	v_cndmask_b32_e64 v29, v18, v12, s14
	v_cndmask_b32_e64 v12, v12, v18, s14
	;; [unrolled: 1-line block ×4, first 2 shown]
	v_or_b32_e32 v22, v22, v35
	v_and_b32_e32 v35, v37, v11
	v_bfe_i32 v37, v51, 0, 8
	s_delay_alu instid0(VALU_DEP_3) | instskip(NEXT) | instid1(VALU_DEP_3)
	v_lshlrev_b32_e32 v22, 16, v22
	v_bfe_i32 v35, v35, 0, 8
	s_delay_alu instid0(VALU_DEP_2) | instskip(NEXT) | instid1(VALU_DEP_2)
	v_and_or_b32 v22, 0xffff, v10, v22
	v_cmp_gt_i16_e64 s16, v35, v37
	v_perm_b32 v35, v10, v20, 0x3020107
	s_delay_alu instid0(VALU_DEP_2) | instskip(NEXT) | instid1(VALU_DEP_2)
	v_cndmask_b32_e64 v10, v10, v22, s16
	v_cndmask_b32_e64 v20, v20, v35, s16
	;; [unrolled: 1-line block ×4, first 2 shown]
	s_delay_alu instid0(VALU_DEP_4) | instskip(NEXT) | instid1(VALU_DEP_4)
	v_lshrrev_b32_e32 v21, 8, v10
	v_lshrrev_b32_e32 v22, 16, v20
	;; [unrolled: 1-line block ×3, first 2 shown]
	v_and_b32_e32 v26, v10, v11
	v_perm_b32 v35, 0, v10, 0xc0c0001
	v_and_b32_e32 v21, v21, v11
	v_and_b32_e32 v22, v22, v11
	v_and_b32_e32 v24, v24, v11
	v_bfe_i32 v26, v26, 0, 8
	v_and_or_b32 v35, 0xffff0000, v10, v35
	v_bfe_i32 v21, v21, 0, 8
	v_bfe_i32 v22, v22, 0, 8
	;; [unrolled: 1-line block ×3, first 2 shown]
	s_delay_alu instid0(VALU_DEP_3) | instskip(SKIP_1) | instid1(VALU_DEP_3)
	v_cmp_gt_i16_e64 s11, v26, v21
	v_perm_b32 v26, v20, v20, 0x7050604
	v_cmp_gt_i16_e64 s15, v24, v22
	v_cndmask_b32_e64 v21, v14, v13, s14
	v_cndmask_b32_e64 v13, v13, v14, s14
	;; [unrolled: 1-line block ×7, first 2 shown]
	v_lshrrev_b32_e32 v23, 24, v10
	v_lshrrev_b32_e32 v24, 16, v10
	;; [unrolled: 1-line block ×3, first 2 shown]
	v_and_b32_e32 v49, v20, v11
	v_cndmask_b32_e64 v22, v17, v21, s15
	v_and_b32_e32 v23, v23, v11
	v_perm_b32 v39, 0, v24, 0xc0c0001
	v_and_b32_e32 v24, v24, v11
	v_and_b32_e32 v35, v35, v11
	v_bfe_i32 v27, v49, 0, 8
	v_bfe_i32 v23, v23, 0, 8
	v_lshlrev_b32_e32 v39, 16, v39
	v_bfe_i32 v24, v24, 0, 8
	v_bfe_i32 v35, v35, 0, 8
	v_cndmask_b32_e64 v14, v21, v17, s15
	v_cndmask_b32_e64 v4, v4, v36, s11
	v_and_or_b32 v39, 0xffff, v10, v39
	v_cmp_gt_i16_e64 s17, v24, v23
	v_perm_b32 v24, v20, v20, 0x7060405
	v_cmp_gt_i16_e64 s18, v27, v35
	v_cndmask_b32_e64 v35, v38, v50, s10
	v_cndmask_b32_e64 v23, v9, v29, s15
	v_cndmask_b32_e64 v10, v10, v39, s17
	v_cndmask_b32_e64 v50, v25, v19, s17
	v_cndmask_b32_e64 v20, v20, v24, s18
	v_cndmask_b32_e64 v19, v19, v25, s17
	v_cndmask_b32_e64 v48, v31, v22, s18
	v_lshrrev_b32_e32 v18, 16, v10
	v_lshrrev_b32_e32 v24, 8, v10
	;; [unrolled: 1-line block ×4, first 2 shown]
	v_perm_b32 v51, v10, v10, 0x7050604
	v_and_b32_e32 v18, v18, v11
	v_and_b32_e32 v24, v24, v11
	;; [unrolled: 1-line block ×4, first 2 shown]
	v_cndmask_b32_e64 v27, v26, v16, s17
	v_bfe_i32 v18, v18, 0, 8
	v_bfe_i32 v24, v24, 0, 8
	;; [unrolled: 1-line block ×4, first 2 shown]
	v_cndmask_b32_e64 v16, v16, v26, s17
	v_cndmask_b32_e64 v49, v35, v5, s11
	v_cmp_gt_i16_e64 s7, v24, v18
	v_perm_b32 v18, v20, v20, 0x6070504
	v_cmp_gt_i16_e64 s10, v39, v38
	v_cndmask_b32_e64 v5, v5, v35, s11
	v_cndmask_b32_e64 v28, v15, v23, s18
	;; [unrolled: 1-line block ×7, first 2 shown]
	v_lshrrev_b32_e32 v20, 16, v10
	v_lshrrev_b32_e32 v39, 24, v10
	v_lshlrev_b16 v38, 8, v18
	v_and_b32_e32 v51, v18, v11
	v_perm_b32 v25, v10, v18, 0x3020107
	v_and_b32_e32 v20, 0xff, v20
	v_cndmask_b32_e64 v29, v9, v12, s10
	v_cndmask_b32_e64 v12, v12, v9, s10
	s_delay_alu instid0(VALU_DEP_3) | instskip(SKIP_2) | instid1(VALU_DEP_3)
	v_or_b32_e32 v20, v20, v38
	v_and_b32_e32 v38, v39, v11
	v_bfe_i32 v39, v51, 0, 8
	v_lshlrev_b32_e32 v20, 16, v20
	s_delay_alu instid0(VALU_DEP_3) | instskip(NEXT) | instid1(VALU_DEP_2)
	v_bfe_i32 v38, v38, 0, 8
	v_and_or_b32 v20, 0xffff, v10, v20
	s_delay_alu instid0(VALU_DEP_2) | instskip(NEXT) | instid1(VALU_DEP_1)
	v_cmp_gt_i16_e64 s16, v38, v39
	v_cndmask_b32_e64 v10, v10, v20, s16
	v_cndmask_b32_e64 v17, v18, v25, s16
	v_cndmask_b32_e64 v18, v22, v31, s18
	v_cndmask_b32_e64 v23, v27, v28, s16
	v_cndmask_b32_e64 v27, v28, v27, s16
	v_lshrrev_b32_e32 v20, 8, v10
	v_lshrrev_b32_e32 v21, 16, v17
	;; [unrolled: 1-line block ×3, first 2 shown]
	v_and_b32_e32 v25, v10, v11
	v_perm_b32 v26, 0, v10, 0xc0c0001
	v_and_b32_e32 v20, v20, v11
	v_and_b32_e32 v21, v21, v11
	;; [unrolled: 1-line block ×3, first 2 shown]
	v_bfe_i32 v25, v25, 0, 8
	v_and_or_b32 v26, 0xffff0000, v10, v26
	v_bfe_i32 v20, v20, 0, 8
	v_bfe_i32 v21, v21, 0, 8
	;; [unrolled: 1-line block ×3, first 2 shown]
	v_cndmask_b32_e64 v31, v37, v16, s7
	v_cndmask_b32_e64 v16, v16, v37, s7
	v_cmp_gt_i16_e64 s11, v25, v20
	v_perm_b32 v25, v17, v17, 0x7050604
	v_cmp_gt_i16_e64 s14, v22, v21
	v_cndmask_b32_e64 v20, v14, v13, s10
	v_cndmask_b32_e64 v13, v13, v14, s10
	;; [unrolled: 1-line block ×7, first 2 shown]
	v_lshrrev_b32_e32 v21, 24, v10
	v_lshrrev_b32_e32 v22, 16, v10
	;; [unrolled: 1-line block ×3, first 2 shown]
	v_and_b32_e32 v35, v17, v11
	v_cndmask_b32_e64 v19, v48, v19, s16
	v_and_b32_e32 v21, v21, v11
	v_perm_b32 v26, 0, v22, 0xc0c0001
	v_and_b32_e32 v22, v22, v11
	v_and_b32_e32 v25, v25, v11
	v_bfe_i32 v28, v35, 0, 8
	v_bfe_i32 v21, v21, 0, 8
	v_lshlrev_b32_e32 v26, 16, v26
	v_bfe_i32 v22, v22, 0, 8
	v_bfe_i32 v25, v25, 0, 8
	v_cndmask_b32_e64 v36, v31, v4, s11
	v_cndmask_b32_e64 v4, v4, v31, s11
	v_and_or_b32 v26, 0xffff, v10, v26
	v_cmp_gt_i16_e64 s15, v22, v21
	v_perm_b32 v21, v17, v17, 0x7060405
	v_cmp_gt_i16_e64 s17, v28, v25
	v_cndmask_b32_e64 v22, v15, v29, s14
	v_cndmask_b32_e64 v15, v29, v15, s14
	;; [unrolled: 1-line block ×7, first 2 shown]
	v_lshrrev_b32_e32 v17, 16, v10
	v_lshrrev_b32_e32 v25, 8, v10
	;; [unrolled: 1-line block ×4, first 2 shown]
	v_perm_b32 v49, v10, v10, 0x7050604
	v_and_b32_e32 v17, v17, v11
	v_and_b32_e32 v25, v25, v11
	;; [unrolled: 1-line block ×4, first 2 shown]
	v_perm_b32 v20, v14, v14, 0x6070504
	v_bfe_i32 v17, v17, 0, 8
	v_bfe_i32 v25, v25, 0, 8
	;; [unrolled: 1-line block ×4, first 2 shown]
	v_cndmask_b32_e64 v39, v21, v5, s11
	v_cndmask_b32_e64 v5, v5, v21, s11
	v_cmp_gt_i16_e64 s7, v25, v17
	v_cndmask_b32_e64 v21, v9, v19, s17
	v_cmp_gt_i16_e64 s10, v37, v35
	v_cndmask_b32_e64 v26, v27, v22, s17
	v_cndmask_b32_e64 v48, v24, v38, s15
	;; [unrolled: 1-line block ×7, first 2 shown]
	v_lshrrev_b32_e32 v20, 24, v49
	v_cndmask_b32_e64 v17, v48, v39, s7
	v_and_b32_e32 v9, v14, v11
	v_perm_b32 v25, v49, v14, 0x3020107
	s_delay_alu instid0(VALU_DEP_4)
	v_and_b32_e32 v19, v20, v11
	v_cndmask_b32_e64 v20, v22, v27, s17
	v_lshrrev_b32_e32 v22, 16, v49
	v_bfe_i32 v9, v9, 0, 8
	v_cndmask_b32_e64 v27, v16, v23, s15
	v_bfe_i32 v19, v19, 0, 8
	v_lshlrev_b16 v16, 8, v14
	v_and_b32_e32 v22, 0xff, v22
	s_delay_alu instid0(VALU_DEP_3) | instskip(SKIP_1) | instid1(VALU_DEP_3)
	v_cmp_gt_i16_e64 s11, v19, v9
	v_cndmask_b32_e64 v9, v15, v12, s10
	v_or_b32_e32 v18, v22, v16
	v_cndmask_b32_e64 v16, v27, v36, s7
	v_cndmask_b32_e64 v12, v12, v15, s10
	;; [unrolled: 1-line block ×4, first 2 shown]
	v_lshlrev_b32_e32 v18, 16, v18
	v_cndmask_b32_e64 v14, v36, v27, s7
	v_cndmask_b32_e64 v27, v29, v24, s11
	v_lshrrev_b32_e32 v35, 16, v25
	v_lshrrev_b32_e32 v37, 8, v25
	v_and_or_b32 v18, 0xffff, v49, v18
	v_cndmask_b32_e64 v15, v39, v48, s7
	v_cndmask_b32_e64 v22, v28, v26, s11
	v_and_b32_e32 v19, v35, v11
	v_and_b32_e32 v31, v37, v11
	v_cndmask_b32_e64 v24, v49, v18, s11
	v_cndmask_b32_e64 v26, v26, v28, s11
	v_lshrrev_b32_e32 v36, 24, v25
	v_bfe_i32 v18, v19, 0, 8
	v_bfe_i32 v19, v31, 0, 8
	v_lshrrev_b64 v[28:29], 24, v[24:25]
	v_lshrrev_b32_e32 v39, 16, v24
	v_lshrrev_b32_e32 v38, 8, v24
	s_delay_alu instid0(VALU_DEP_4) | instskip(SKIP_1) | instid1(VALU_DEP_2)
	v_cmp_gt_i16_e64 s7, v19, v18
	v_dual_mov_b32 v19, v10 :: v_dual_mov_b32 v18, v9
	s_and_saveexec_b32 s10, s7
; %bb.28:
	v_lshrrev_b32_e32 v36, 24, v25
	v_lshrrev_b32_e32 v35, 8, v25
	;; [unrolled: 1-line block ×5, first 2 shown]
	v_dual_mov_b32 v18, v20 :: v_dual_mov_b32 v19, v21
	v_dual_mov_b32 v21, v10 :: v_dual_mov_b32 v20, v9
; %bb.29:
	s_or_b32 exec_lo, exec_lo, s10
.LBB410_30:
	s_delay_alu instid0(SALU_CYCLE_1)
	s_or_b32 exec_lo, exec_lo, s19
	v_and_b32_e32 v10, 0xffffff00, v30
	v_or_b32_e32 v30, 8, v34
	v_and_b32_e32 v31, 8, v34
	v_and_b32_e32 v50, 0xf0, v34
	s_mov_b32 s10, exec_lo
	v_sub_nc_u32_e64 v29, 0x800, v10 clamp
	v_lshlrev_b32_e32 v9, 3, v10
	v_or_b32_e32 v53, v10, v34
	s_delay_alu instid0(VALU_DEP_3) | instskip(SKIP_1) | instid1(VALU_DEP_4)
	v_min_u32_e32 v48, v29, v30
	v_min_u32_e32 v51, v29, v31
	v_lshl_or_b32 v30, v34, 3, v9
	ds_store_b8 v53, v24
	ds_store_b64 v30, v[4:5] offset:2048
	ds_store_b8 v53, v38 offset:1
	v_add_nc_u32_e32 v49, 8, v48
	v_sub_nc_u32_e32 v54, v48, v50
	ds_store_b64 v30, v[14:15] offset:2056
	ds_store_b8 v53, v39 offset:2
	ds_store_b64 v30, v[16:17] offset:2064
	ds_store_b8 v53, v28 offset:3
	;; [unrolled: 2-line block ×6, first 2 shown]
	ds_store_b64 v30, v[12:13] offset:2104
	v_min_u32_e32 v49, v29, v49
	; wave barrier
	s_delay_alu instid0(VALU_DEP_1) | instskip(NEXT) | instid1(VALU_DEP_1)
	v_sub_nc_u32_e32 v31, v49, v48
	v_sub_nc_u32_e64 v52, v51, v31 clamp
	v_min_u32_e32 v31, v51, v54
	s_delay_alu instid0(VALU_DEP_1)
	v_cmpx_lt_u32_e64 v52, v31
	s_cbranch_execz .LBB410_34
; %bb.31:
	v_add_nc_u32_e32 v53, v10, v50
	v_add3_u32 v54, v10, v48, v51
	s_mov_b32 s11, 0
	.p2align	6
.LBB410_32:                             ; =>This Inner Loop Header: Depth=1
	v_add_nc_u32_e32 v55, v31, v52
	s_delay_alu instid0(VALU_DEP_1) | instskip(NEXT) | instid1(VALU_DEP_1)
	v_lshrrev_b32_e32 v55, 1, v55
	v_xad_u32 v64, v55, -1, v54
	v_add_nc_u32_e32 v65, v53, v55
	v_add_nc_u32_e32 v66, 1, v55
	ds_load_u8 v64, v64
	ds_load_u8 v65, v65
	s_waitcnt lgkmcnt(1)
	v_and_b32_e32 v64, v64, v11
	s_waitcnt lgkmcnt(0)
	v_and_b32_e32 v65, v65, v11
	s_delay_alu instid0(VALU_DEP_2) | instskip(NEXT) | instid1(VALU_DEP_2)
	v_bfe_i32 v64, v64, 0, 8
	v_bfe_i32 v65, v65, 0, 8
	s_delay_alu instid0(VALU_DEP_1) | instskip(NEXT) | instid1(VALU_DEP_1)
	v_cmp_gt_i16_e64 s7, v65, v64
	v_cndmask_b32_e64 v31, v31, v55, s7
	v_cndmask_b32_e64 v52, v66, v52, s7
	s_delay_alu instid0(VALU_DEP_1) | instskip(NEXT) | instid1(VALU_DEP_1)
	v_cmp_ge_u32_e64 s7, v52, v31
	s_or_b32 s11, s7, s11
	s_delay_alu instid0(SALU_CYCLE_1)
	s_and_not1_b32 exec_lo, exec_lo, s11
	s_cbranch_execnz .LBB410_32
; %bb.33:
	s_or_b32 exec_lo, exec_lo, s11
.LBB410_34:
	s_delay_alu instid0(SALU_CYCLE_1) | instskip(SKIP_3) | instid1(VALU_DEP_3)
	s_or_b32 exec_lo, exec_lo, s10
	v_add_nc_u32_e32 v53, v48, v51
	v_add_nc_u32_e32 v51, v52, v50
	;; [unrolled: 1-line block ×3, first 2 shown]
	v_sub_nc_u32_e32 v50, v53, v52
	s_delay_alu instid0(VALU_DEP_3) | instskip(NEXT) | instid1(VALU_DEP_2)
	v_cmp_le_u32_e64 s7, v51, v48
	v_cmp_le_u32_e64 s10, v50, v49
	s_delay_alu instid0(VALU_DEP_1) | instskip(NEXT) | instid1(SALU_CYCLE_1)
	s_or_b32 s7, s7, s10
	s_and_saveexec_b32 s22, s7
	s_cbranch_execz .LBB410_40
; %bb.35:
	v_cmp_lt_u32_e64 s7, v51, v48
                                        ; implicit-def: $vgpr24
	s_delay_alu instid0(VALU_DEP_1)
	s_and_saveexec_b32 s10, s7
	s_cbranch_execz .LBB410_37
; %bb.36:
	v_add_nc_u32_e32 v4, v10, v51
	ds_load_u8 v24, v4
.LBB410_37:
	s_or_b32 exec_lo, exec_lo, s10
	v_cmp_ge_u32_e64 s10, v50, v49
	s_mov_b32 s14, exec_lo
                                        ; implicit-def: $vgpr25
	v_cmpx_lt_u32_e64 v50, v49
	s_cbranch_execz .LBB410_39
; %bb.38:
	v_add_nc_u32_e32 v4, v10, v50
	ds_load_u8 v25, v4
.LBB410_39:
	s_or_b32 exec_lo, exec_lo, s14
	s_waitcnt lgkmcnt(0)
	v_and_b32_e32 v4, v25, v11
	v_and_b32_e32 v5, v24, v11
	s_delay_alu instid0(VALU_DEP_2) | instskip(NEXT) | instid1(VALU_DEP_2)
	v_bfe_i32 v4, v4, 0, 8
	v_bfe_i32 v5, v5, 0, 8
	s_delay_alu instid0(VALU_DEP_1) | instskip(NEXT) | instid1(VALU_DEP_1)
	v_cmp_le_i16_e64 s11, v5, v4
	s_and_b32 s7, s7, s11
	s_delay_alu instid0(SALU_CYCLE_1) | instskip(NEXT) | instid1(SALU_CYCLE_1)
	s_or_b32 s7, s10, s7
	v_cndmask_b32_e64 v4, v50, v51, s7
	v_cndmask_b32_e64 v5, v49, v48, s7
	s_delay_alu instid0(VALU_DEP_2) | instskip(NEXT) | instid1(VALU_DEP_2)
	v_add_nc_u32_e32 v12, 1, v4
	v_add_nc_u32_e32 v5, -1, v5
	v_lshl_add_u32 v4, v4, 3, v9
	s_delay_alu instid0(VALU_DEP_3) | instskip(NEXT) | instid1(VALU_DEP_3)
	v_cndmask_b32_e64 v14, v51, v12, s7
	v_min_u32_e32 v5, v12, v5
	v_cndmask_b32_e64 v12, v12, v50, s7
	s_delay_alu instid0(VALU_DEP_3) | instskip(NEXT) | instid1(VALU_DEP_3)
	v_cmp_lt_u32_e64 s10, v14, v48
	v_add_nc_u32_e32 v5, v10, v5
	s_delay_alu instid0(VALU_DEP_3)
	v_cmp_ge_u32_e64 s14, v12, v49
	ds_load_u8 v5, v5
	s_waitcnt lgkmcnt(0)
	v_cndmask_b32_e64 v28, v5, v25, s7
	v_cndmask_b32_e64 v35, v24, v5, s7
	;; [unrolled: 1-line block ×3, first 2 shown]
	s_delay_alu instid0(VALU_DEP_3) | instskip(NEXT) | instid1(VALU_DEP_3)
	v_and_b32_e32 v5, v28, v11
	v_and_b32_e32 v13, v35, v11
	s_delay_alu instid0(VALU_DEP_2) | instskip(NEXT) | instid1(VALU_DEP_2)
	v_bfe_i32 v5, v5, 0, 8
	v_bfe_i32 v13, v13, 0, 8
	s_delay_alu instid0(VALU_DEP_1) | instskip(NEXT) | instid1(VALU_DEP_1)
	v_cmp_le_i16_e64 s11, v13, v5
	s_and_b32 s10, s10, s11
	s_delay_alu instid0(SALU_CYCLE_1) | instskip(NEXT) | instid1(SALU_CYCLE_1)
	s_or_b32 s10, s14, s10
	v_cndmask_b32_e64 v5, v12, v14, s10
	v_cndmask_b32_e64 v13, v49, v48, s10
	s_delay_alu instid0(VALU_DEP_2) | instskip(NEXT) | instid1(VALU_DEP_2)
	v_add_nc_u32_e32 v15, 1, v5
	v_add_nc_u32_e32 v13, -1, v13
	s_delay_alu instid0(VALU_DEP_2) | instskip(NEXT) | instid1(VALU_DEP_2)
	v_cndmask_b32_e64 v14, v14, v15, s10
	v_min_u32_e32 v13, v15, v13
	v_cndmask_b32_e64 v12, v15, v12, s10
	s_delay_alu instid0(VALU_DEP_3) | instskip(NEXT) | instid1(VALU_DEP_3)
	v_cmp_lt_u32_e64 s11, v14, v48
	v_add_nc_u32_e32 v13, v10, v13
	s_delay_alu instid0(VALU_DEP_3) | instskip(SKIP_4) | instid1(VALU_DEP_2)
	v_cmp_ge_u32_e64 s15, v12, v49
	ds_load_u8 v13, v13
	s_waitcnt lgkmcnt(0)
	v_cndmask_b32_e64 v36, v13, v28, s10
	v_cndmask_b32_e64 v37, v35, v13, s10
	v_and_b32_e32 v13, v36, v11
	s_delay_alu instid0(VALU_DEP_2) | instskip(NEXT) | instid1(VALU_DEP_2)
	v_and_b32_e32 v16, v37, v11
	v_bfe_i32 v13, v13, 0, 8
	s_delay_alu instid0(VALU_DEP_2) | instskip(NEXT) | instid1(VALU_DEP_1)
	v_bfe_i32 v16, v16, 0, 8
	v_cmp_le_i16_e64 s14, v16, v13
	s_delay_alu instid0(VALU_DEP_1) | instskip(NEXT) | instid1(SALU_CYCLE_1)
	s_and_b32 s11, s11, s14
	s_or_b32 s11, s15, s11
	s_delay_alu instid0(SALU_CYCLE_1) | instskip(SKIP_2) | instid1(VALU_DEP_3)
	v_cndmask_b32_e64 v13, v12, v14, s11
	v_cndmask_b32_e64 v15, v49, v48, s11
	;; [unrolled: 1-line block ×3, first 2 shown]
	v_add_nc_u32_e32 v16, 1, v13
	s_delay_alu instid0(VALU_DEP_3) | instskip(SKIP_1) | instid1(VALU_DEP_3)
	v_add_nc_u32_e32 v15, -1, v15
	v_lshl_add_u32 v13, v13, 3, v9
	v_cndmask_b32_e64 v14, v14, v16, s11
	s_delay_alu instid0(VALU_DEP_3) | instskip(SKIP_1) | instid1(VALU_DEP_3)
	v_min_u32_e32 v15, v16, v15
	v_cndmask_b32_e64 v12, v16, v12, s11
	v_cmp_lt_u32_e64 s14, v14, v48
	s_delay_alu instid0(VALU_DEP_3) | instskip(NEXT) | instid1(VALU_DEP_3)
	v_add_nc_u32_e32 v15, v10, v15
	v_cmp_ge_u32_e64 s16, v12, v49
	ds_load_u8 v15, v15
	s_waitcnt lgkmcnt(0)
	v_cndmask_b32_e64 v50, v15, v36, s11
	v_cndmask_b32_e64 v51, v37, v15, s11
	s_delay_alu instid0(VALU_DEP_2) | instskip(NEXT) | instid1(VALU_DEP_2)
	v_and_b32_e32 v15, v50, v11
	v_and_b32_e32 v17, v51, v11
	s_delay_alu instid0(VALU_DEP_2) | instskip(NEXT) | instid1(VALU_DEP_2)
	v_bfe_i32 v15, v15, 0, 8
	v_bfe_i32 v17, v17, 0, 8
	s_delay_alu instid0(VALU_DEP_1) | instskip(NEXT) | instid1(VALU_DEP_1)
	v_cmp_le_i16_e64 s15, v17, v15
	s_and_b32 s14, s14, s15
	s_delay_alu instid0(SALU_CYCLE_1) | instskip(NEXT) | instid1(SALU_CYCLE_1)
	s_or_b32 s14, s16, s14
	v_cndmask_b32_e64 v18, v12, v14, s14
	v_cndmask_b32_e64 v15, v49, v48, s14
	s_delay_alu instid0(VALU_DEP_2) | instskip(NEXT) | instid1(VALU_DEP_2)
	v_add_nc_u32_e32 v16, 1, v18
	v_add_nc_u32_e32 v15, -1, v15
	s_delay_alu instid0(VALU_DEP_2) | instskip(NEXT) | instid1(VALU_DEP_2)
	v_cndmask_b32_e64 v14, v14, v16, s14
	v_min_u32_e32 v15, v16, v15
	v_cndmask_b32_e64 v12, v16, v12, s14
	s_delay_alu instid0(VALU_DEP_3) | instskip(NEXT) | instid1(VALU_DEP_3)
	v_cmp_lt_u32_e64 s15, v14, v48
	v_add_nc_u32_e32 v15, v10, v15
	s_delay_alu instid0(VALU_DEP_3) | instskip(SKIP_4) | instid1(VALU_DEP_2)
	v_cmp_ge_u32_e64 s17, v12, v49
	ds_load_u8 v15, v15
	s_waitcnt lgkmcnt(0)
	v_cndmask_b32_e64 v52, v15, v50, s14
	v_cndmask_b32_e64 v53, v51, v15, s14
	v_and_b32_e32 v15, v52, v11
	s_delay_alu instid0(VALU_DEP_2) | instskip(NEXT) | instid1(VALU_DEP_2)
	v_and_b32_e32 v17, v53, v11
	v_bfe_i32 v15, v15, 0, 8
	s_delay_alu instid0(VALU_DEP_2) | instskip(NEXT) | instid1(VALU_DEP_1)
	v_bfe_i32 v17, v17, 0, 8
	v_cmp_le_i16_e64 s16, v17, v15
	s_delay_alu instid0(VALU_DEP_1) | instskip(NEXT) | instid1(SALU_CYCLE_1)
	s_and_b32 s15, s15, s16
	s_or_b32 s15, s17, s15
	s_delay_alu instid0(SALU_CYCLE_1) | instskip(SKIP_2) | instid1(VALU_DEP_3)
	v_cndmask_b32_e64 v19, v12, v14, s15
	v_cndmask_b32_e64 v15, v49, v48, s15
	;; [unrolled: 1-line block ×3, first 2 shown]
	v_add_nc_u32_e32 v16, 1, v19
	s_delay_alu instid0(VALU_DEP_3) | instskip(NEXT) | instid1(VALU_DEP_2)
	v_add_nc_u32_e32 v15, -1, v15
	v_cndmask_b32_e64 v14, v14, v16, s15
	s_delay_alu instid0(VALU_DEP_2) | instskip(SKIP_1) | instid1(VALU_DEP_3)
	v_min_u32_e32 v15, v16, v15
	v_cndmask_b32_e64 v12, v16, v12, s15
	v_cmp_lt_u32_e64 s16, v14, v48
	s_delay_alu instid0(VALU_DEP_3) | instskip(NEXT) | instid1(VALU_DEP_3)
	v_add_nc_u32_e32 v15, v10, v15
	v_cmp_ge_u32_e64 s18, v12, v49
	ds_load_u8 v15, v15
	s_waitcnt lgkmcnt(0)
	v_cndmask_b32_e64 v54, v15, v52, s15
	v_cndmask_b32_e64 v55, v53, v15, s15
	s_delay_alu instid0(VALU_DEP_2) | instskip(NEXT) | instid1(VALU_DEP_2)
	v_and_b32_e32 v15, v54, v11
	v_and_b32_e32 v17, v55, v11
	s_delay_alu instid0(VALU_DEP_2) | instskip(NEXT) | instid1(VALU_DEP_2)
	v_bfe_i32 v15, v15, 0, 8
	v_bfe_i32 v17, v17, 0, 8
	s_delay_alu instid0(VALU_DEP_1) | instskip(NEXT) | instid1(VALU_DEP_1)
	v_cmp_le_i16_e64 s17, v17, v15
	s_and_b32 s16, s16, s17
	s_delay_alu instid0(SALU_CYCLE_1) | instskip(NEXT) | instid1(SALU_CYCLE_1)
	s_or_b32 s16, s18, s16
	v_cndmask_b32_e64 v20, v12, v14, s16
	v_cndmask_b32_e64 v15, v49, v48, s16
	;; [unrolled: 1-line block ×3, first 2 shown]
	s_delay_alu instid0(VALU_DEP_3) | instskip(NEXT) | instid1(VALU_DEP_3)
	v_add_nc_u32_e32 v16, 1, v20
	v_add_nc_u32_e32 v15, -1, v15
	s_delay_alu instid0(VALU_DEP_2) | instskip(NEXT) | instid1(VALU_DEP_2)
	v_cndmask_b32_e64 v14, v14, v16, s16
	v_min_u32_e32 v15, v16, v15
	v_cndmask_b32_e64 v12, v16, v12, s16
	s_delay_alu instid0(VALU_DEP_3) | instskip(NEXT) | instid1(VALU_DEP_3)
	v_cmp_lt_u32_e64 s17, v14, v48
	v_add_nc_u32_e32 v15, v10, v15
	s_delay_alu instid0(VALU_DEP_3) | instskip(SKIP_4) | instid1(VALU_DEP_2)
	v_cmp_ge_u32_e64 s19, v12, v49
	ds_load_u8 v15, v15
	s_waitcnt lgkmcnt(0)
	v_cndmask_b32_e64 v64, v15, v54, s16
	v_cndmask_b32_e64 v65, v55, v15, s16
	v_and_b32_e32 v15, v64, v11
	s_delay_alu instid0(VALU_DEP_2) | instskip(NEXT) | instid1(VALU_DEP_2)
	v_and_b32_e32 v17, v65, v11
	v_bfe_i32 v15, v15, 0, 8
	s_delay_alu instid0(VALU_DEP_2) | instskip(NEXT) | instid1(VALU_DEP_1)
	v_bfe_i32 v17, v17, 0, 8
	v_cmp_le_i16_e64 s18, v17, v15
	s_delay_alu instid0(VALU_DEP_1) | instskip(NEXT) | instid1(SALU_CYCLE_1)
	s_and_b32 s17, s17, s18
	s_or_b32 s17, s19, s17
	s_delay_alu instid0(SALU_CYCLE_1) | instskip(SKIP_1) | instid1(VALU_DEP_2)
	v_cndmask_b32_e64 v21, v12, v14, s17
	v_cndmask_b32_e64 v15, v49, v48, s17
	v_add_nc_u32_e32 v16, 1, v21
	s_delay_alu instid0(VALU_DEP_2) | instskip(SKIP_1) | instid1(VALU_DEP_3)
	v_add_nc_u32_e32 v15, -1, v15
	v_lshl_add_u32 v38, v21, 3, v9
	v_cndmask_b32_e64 v22, v14, v16, s17
	s_delay_alu instid0(VALU_DEP_3) | instskip(SKIP_2) | instid1(VALU_DEP_4)
	v_min_u32_e32 v15, v16, v15
	v_cndmask_b32_e64 v12, v16, v12, s17
	v_lshl_add_u32 v16, v5, 3, v9
	v_cmp_lt_u32_e64 s18, v22, v48
	s_delay_alu instid0(VALU_DEP_4) | instskip(NEXT) | instid1(VALU_DEP_4)
	v_add_nc_u32_e32 v15, v10, v15
	v_cmp_ge_u32_e64 s20, v12, v49
	ds_load_u8 v15, v15
	s_waitcnt lgkmcnt(0)
	v_cndmask_b32_e64 v66, v15, v64, s17
	v_cndmask_b32_e64 v67, v65, v15, s17
	s_delay_alu instid0(VALU_DEP_2) | instskip(NEXT) | instid1(VALU_DEP_2)
	v_and_b32_e32 v15, v66, v11
	v_and_b32_e32 v17, v67, v11
	s_delay_alu instid0(VALU_DEP_2) | instskip(NEXT) | instid1(VALU_DEP_2)
	v_bfe_i32 v14, v15, 0, 8
	v_bfe_i32 v15, v17, 0, 8
	s_delay_alu instid0(VALU_DEP_1)
	v_cmp_le_i16_e64 s19, v15, v14
	ds_load_b64 v[4:5], v4 offset:2048
	ds_load_b64 v[14:15], v16 offset:2048
	;; [unrolled: 1-line block ×3, first 2 shown]
	v_lshl_add_u32 v13, v18, 3, v9
	v_lshl_add_u32 v18, v19, 3, v9
	s_and_b32 s18, s18, s19
	v_lshl_add_u32 v19, v20, 3, v9
	s_or_b32 s18, s20, s18
	s_delay_alu instid0(SALU_CYCLE_1) | instskip(SKIP_1) | instid1(VALU_DEP_2)
	v_cndmask_b32_e64 v12, v12, v22, s18
	v_cndmask_b32_e64 v36, v66, v67, s18
	v_lshl_add_u32 v12, v12, 3, v9
	ds_load_b64 v[22:23], v13 offset:2048
	ds_load_b64 v[26:27], v18 offset:2048
	;; [unrolled: 1-line block ×5, first 2 shown]
	v_cndmask_b32_e64 v38, v28, v35, s10
	v_cndmask_b32_e64 v28, v50, v51, s14
	;; [unrolled: 1-line block ×3, first 2 shown]
.LBB410_40:
	s_or_b32 exec_lo, exec_lo, s22
	v_and_b32_e32 v51, 0xe0, v34
	v_and_b32_e32 v52, 24, v34
	s_mov_b32 s10, exec_lo
	; wave barrier
	s_delay_alu instid0(VALU_DEP_2) | instskip(NEXT) | instid1(VALU_DEP_2)
	v_or_b32_e32 v48, 16, v51
	v_min_u32_e32 v52, v29, v52
	s_delay_alu instid0(VALU_DEP_2)
	v_min_u32_e32 v49, v29, v48
	v_add_nc_u32_e32 v48, v10, v34
	ds_store_b8 v48, v24
	s_waitcnt lgkmcnt(8)
	ds_store_b64 v30, v[4:5] offset:2048
	ds_store_b8 v48, v38 offset:1
	s_waitcnt lgkmcnt(9)
	ds_store_b64 v31, v[14:15] offset:8
	v_add_nc_u32_e32 v50, 16, v49
	v_sub_nc_u32_e32 v54, v49, v51
	ds_store_b8 v48, v39 offset:2
	s_waitcnt lgkmcnt(10)
	ds_store_b64 v31, v[16:17] offset:16
	ds_store_b8 v48, v28 offset:3
	s_waitcnt lgkmcnt(11)
	ds_store_b64 v31, v[22:23] offset:24
	;; [unrolled: 3-line block ×6, first 2 shown]
	v_min_u32_e32 v50, v29, v50
	v_min_u32_e32 v54, v52, v54
	; wave barrier
	s_delay_alu instid0(VALU_DEP_2) | instskip(NEXT) | instid1(VALU_DEP_1)
	v_sub_nc_u32_e32 v53, v50, v49
	v_sub_nc_u32_e64 v53, v52, v53 clamp
	s_delay_alu instid0(VALU_DEP_1)
	v_cmpx_lt_u32_e64 v53, v54
	s_cbranch_execz .LBB410_44
; %bb.41:
	v_add_nc_u32_e32 v55, v10, v51
	v_add3_u32 v64, v10, v49, v52
	s_mov_b32 s11, 0
	.p2align	6
.LBB410_42:                             ; =>This Inner Loop Header: Depth=1
	v_add_nc_u32_e32 v65, v54, v53
	s_delay_alu instid0(VALU_DEP_1) | instskip(NEXT) | instid1(VALU_DEP_1)
	v_lshrrev_b32_e32 v65, 1, v65
	v_xad_u32 v66, v65, -1, v64
	v_add_nc_u32_e32 v67, v55, v65
	v_add_nc_u32_e32 v68, 1, v65
	ds_load_u8 v66, v66
	ds_load_u8 v67, v67
	s_waitcnt lgkmcnt(1)
	v_and_b32_e32 v66, v66, v11
	s_waitcnt lgkmcnt(0)
	v_and_b32_e32 v67, v67, v11
	s_delay_alu instid0(VALU_DEP_2) | instskip(NEXT) | instid1(VALU_DEP_2)
	v_bfe_i32 v66, v66, 0, 8
	v_bfe_i32 v67, v67, 0, 8
	s_delay_alu instid0(VALU_DEP_1) | instskip(NEXT) | instid1(VALU_DEP_1)
	v_cmp_gt_i16_e64 s7, v67, v66
	v_cndmask_b32_e64 v54, v54, v65, s7
	v_cndmask_b32_e64 v53, v68, v53, s7
	s_delay_alu instid0(VALU_DEP_1) | instskip(NEXT) | instid1(VALU_DEP_1)
	v_cmp_ge_u32_e64 s7, v53, v54
	s_or_b32 s11, s7, s11
	s_delay_alu instid0(SALU_CYCLE_1)
	s_and_not1_b32 exec_lo, exec_lo, s11
	s_cbranch_execnz .LBB410_42
; %bb.43:
	s_or_b32 exec_lo, exec_lo, s11
.LBB410_44:
	s_delay_alu instid0(SALU_CYCLE_1) | instskip(SKIP_2) | instid1(VALU_DEP_2)
	s_or_b32 exec_lo, exec_lo, s10
	v_add_nc_u32_e32 v54, v49, v52
	v_add_nc_u32_e32 v52, v53, v51
	v_sub_nc_u32_e32 v51, v54, v53
	s_delay_alu instid0(VALU_DEP_2) | instskip(NEXT) | instid1(VALU_DEP_2)
	v_cmp_le_u32_e64 s7, v52, v49
	v_cmp_le_u32_e64 s10, v51, v50
	s_delay_alu instid0(VALU_DEP_1) | instskip(NEXT) | instid1(SALU_CYCLE_1)
	s_or_b32 s7, s7, s10
	s_and_saveexec_b32 s22, s7
	s_cbranch_execz .LBB410_50
; %bb.45:
	v_cmp_lt_u32_e64 s7, v52, v49
                                        ; implicit-def: $vgpr24
	s_delay_alu instid0(VALU_DEP_1)
	s_and_saveexec_b32 s10, s7
	s_cbranch_execz .LBB410_47
; %bb.46:
	v_add_nc_u32_e32 v4, v10, v52
	ds_load_u8 v24, v4
.LBB410_47:
	s_or_b32 exec_lo, exec_lo, s10
	v_cmp_ge_u32_e64 s10, v51, v50
	s_mov_b32 s14, exec_lo
                                        ; implicit-def: $vgpr25
	v_cmpx_lt_u32_e64 v51, v50
	s_cbranch_execz .LBB410_49
; %bb.48:
	v_add_nc_u32_e32 v4, v10, v51
	ds_load_u8 v25, v4
.LBB410_49:
	s_or_b32 exec_lo, exec_lo, s14
	s_waitcnt lgkmcnt(0)
	v_and_b32_e32 v4, v25, v11
	v_and_b32_e32 v5, v24, v11
	s_delay_alu instid0(VALU_DEP_2) | instskip(NEXT) | instid1(VALU_DEP_2)
	v_bfe_i32 v4, v4, 0, 8
	v_bfe_i32 v5, v5, 0, 8
	s_delay_alu instid0(VALU_DEP_1) | instskip(NEXT) | instid1(VALU_DEP_1)
	v_cmp_le_i16_e64 s11, v5, v4
	s_and_b32 s7, s7, s11
	s_delay_alu instid0(SALU_CYCLE_1) | instskip(NEXT) | instid1(SALU_CYCLE_1)
	s_or_b32 s7, s10, s7
	v_cndmask_b32_e64 v4, v51, v52, s7
	v_cndmask_b32_e64 v5, v50, v49, s7
	s_delay_alu instid0(VALU_DEP_2) | instskip(NEXT) | instid1(VALU_DEP_2)
	v_add_nc_u32_e32 v12, 1, v4
	v_add_nc_u32_e32 v5, -1, v5
	v_lshl_add_u32 v4, v4, 3, v9
	s_delay_alu instid0(VALU_DEP_3) | instskip(NEXT) | instid1(VALU_DEP_3)
	v_cndmask_b32_e64 v14, v52, v12, s7
	v_min_u32_e32 v5, v12, v5
	v_cndmask_b32_e64 v12, v12, v51, s7
	s_delay_alu instid0(VALU_DEP_3) | instskip(NEXT) | instid1(VALU_DEP_3)
	v_cmp_lt_u32_e64 s10, v14, v49
	v_add_nc_u32_e32 v5, v10, v5
	s_delay_alu instid0(VALU_DEP_3)
	v_cmp_ge_u32_e64 s14, v12, v50
	ds_load_u8 v5, v5
	s_waitcnt lgkmcnt(0)
	v_cndmask_b32_e64 v28, v5, v25, s7
	v_cndmask_b32_e64 v35, v24, v5, s7
	;; [unrolled: 1-line block ×3, first 2 shown]
	s_delay_alu instid0(VALU_DEP_3) | instskip(NEXT) | instid1(VALU_DEP_3)
	v_and_b32_e32 v5, v28, v11
	v_and_b32_e32 v13, v35, v11
	s_delay_alu instid0(VALU_DEP_2) | instskip(NEXT) | instid1(VALU_DEP_2)
	v_bfe_i32 v5, v5, 0, 8
	v_bfe_i32 v13, v13, 0, 8
	s_delay_alu instid0(VALU_DEP_1) | instskip(NEXT) | instid1(VALU_DEP_1)
	v_cmp_le_i16_e64 s11, v13, v5
	s_and_b32 s10, s10, s11
	s_delay_alu instid0(SALU_CYCLE_1) | instskip(NEXT) | instid1(SALU_CYCLE_1)
	s_or_b32 s10, s14, s10
	v_cndmask_b32_e64 v5, v12, v14, s10
	v_cndmask_b32_e64 v13, v50, v49, s10
	s_delay_alu instid0(VALU_DEP_2) | instskip(NEXT) | instid1(VALU_DEP_2)
	v_add_nc_u32_e32 v15, 1, v5
	v_add_nc_u32_e32 v13, -1, v13
	s_delay_alu instid0(VALU_DEP_2) | instskip(NEXT) | instid1(VALU_DEP_2)
	v_cndmask_b32_e64 v14, v14, v15, s10
	v_min_u32_e32 v13, v15, v13
	v_cndmask_b32_e64 v12, v15, v12, s10
	s_delay_alu instid0(VALU_DEP_3) | instskip(NEXT) | instid1(VALU_DEP_3)
	v_cmp_lt_u32_e64 s11, v14, v49
	v_add_nc_u32_e32 v13, v10, v13
	s_delay_alu instid0(VALU_DEP_3) | instskip(SKIP_4) | instid1(VALU_DEP_2)
	v_cmp_ge_u32_e64 s15, v12, v50
	ds_load_u8 v13, v13
	s_waitcnt lgkmcnt(0)
	v_cndmask_b32_e64 v36, v13, v28, s10
	v_cndmask_b32_e64 v37, v35, v13, s10
	v_and_b32_e32 v13, v36, v11
	s_delay_alu instid0(VALU_DEP_2) | instskip(NEXT) | instid1(VALU_DEP_2)
	v_and_b32_e32 v16, v37, v11
	v_bfe_i32 v13, v13, 0, 8
	s_delay_alu instid0(VALU_DEP_2) | instskip(NEXT) | instid1(VALU_DEP_1)
	v_bfe_i32 v16, v16, 0, 8
	v_cmp_le_i16_e64 s14, v16, v13
	s_delay_alu instid0(VALU_DEP_1) | instskip(NEXT) | instid1(SALU_CYCLE_1)
	s_and_b32 s11, s11, s14
	s_or_b32 s11, s15, s11
	s_delay_alu instid0(SALU_CYCLE_1) | instskip(SKIP_2) | instid1(VALU_DEP_3)
	v_cndmask_b32_e64 v13, v12, v14, s11
	v_cndmask_b32_e64 v15, v50, v49, s11
	v_cndmask_b32_e64 v39, v36, v37, s11
	v_add_nc_u32_e32 v16, 1, v13
	s_delay_alu instid0(VALU_DEP_3) | instskip(SKIP_1) | instid1(VALU_DEP_3)
	v_add_nc_u32_e32 v15, -1, v15
	v_lshl_add_u32 v13, v13, 3, v9
	v_cndmask_b32_e64 v14, v14, v16, s11
	s_delay_alu instid0(VALU_DEP_3) | instskip(SKIP_1) | instid1(VALU_DEP_3)
	v_min_u32_e32 v15, v16, v15
	v_cndmask_b32_e64 v12, v16, v12, s11
	v_cmp_lt_u32_e64 s14, v14, v49
	s_delay_alu instid0(VALU_DEP_3) | instskip(NEXT) | instid1(VALU_DEP_3)
	v_add_nc_u32_e32 v15, v10, v15
	v_cmp_ge_u32_e64 s16, v12, v50
	ds_load_u8 v15, v15
	s_waitcnt lgkmcnt(0)
	v_cndmask_b32_e64 v51, v15, v36, s11
	v_cndmask_b32_e64 v52, v37, v15, s11
	s_delay_alu instid0(VALU_DEP_2) | instskip(NEXT) | instid1(VALU_DEP_2)
	v_and_b32_e32 v15, v51, v11
	v_and_b32_e32 v17, v52, v11
	s_delay_alu instid0(VALU_DEP_2) | instskip(NEXT) | instid1(VALU_DEP_2)
	v_bfe_i32 v15, v15, 0, 8
	v_bfe_i32 v17, v17, 0, 8
	s_delay_alu instid0(VALU_DEP_1) | instskip(NEXT) | instid1(VALU_DEP_1)
	v_cmp_le_i16_e64 s15, v17, v15
	s_and_b32 s14, s14, s15
	s_delay_alu instid0(SALU_CYCLE_1) | instskip(NEXT) | instid1(SALU_CYCLE_1)
	s_or_b32 s14, s16, s14
	v_cndmask_b32_e64 v18, v12, v14, s14
	v_cndmask_b32_e64 v15, v50, v49, s14
	s_delay_alu instid0(VALU_DEP_2) | instskip(NEXT) | instid1(VALU_DEP_2)
	v_add_nc_u32_e32 v16, 1, v18
	v_add_nc_u32_e32 v15, -1, v15
	s_delay_alu instid0(VALU_DEP_2) | instskip(NEXT) | instid1(VALU_DEP_2)
	v_cndmask_b32_e64 v14, v14, v16, s14
	v_min_u32_e32 v15, v16, v15
	v_cndmask_b32_e64 v12, v16, v12, s14
	s_delay_alu instid0(VALU_DEP_3) | instskip(NEXT) | instid1(VALU_DEP_3)
	v_cmp_lt_u32_e64 s15, v14, v49
	v_add_nc_u32_e32 v15, v10, v15
	s_delay_alu instid0(VALU_DEP_3) | instskip(SKIP_4) | instid1(VALU_DEP_2)
	v_cmp_ge_u32_e64 s17, v12, v50
	ds_load_u8 v15, v15
	s_waitcnt lgkmcnt(0)
	v_cndmask_b32_e64 v53, v15, v51, s14
	v_cndmask_b32_e64 v54, v52, v15, s14
	v_and_b32_e32 v15, v53, v11
	s_delay_alu instid0(VALU_DEP_2) | instskip(NEXT) | instid1(VALU_DEP_2)
	v_and_b32_e32 v17, v54, v11
	v_bfe_i32 v15, v15, 0, 8
	s_delay_alu instid0(VALU_DEP_2) | instskip(NEXT) | instid1(VALU_DEP_1)
	v_bfe_i32 v17, v17, 0, 8
	v_cmp_le_i16_e64 s16, v17, v15
	s_delay_alu instid0(VALU_DEP_1) | instskip(NEXT) | instid1(SALU_CYCLE_1)
	s_and_b32 s15, s15, s16
	s_or_b32 s15, s17, s15
	s_delay_alu instid0(SALU_CYCLE_1) | instskip(SKIP_2) | instid1(VALU_DEP_3)
	v_cndmask_b32_e64 v19, v12, v14, s15
	v_cndmask_b32_e64 v15, v50, v49, s15
	;; [unrolled: 1-line block ×3, first 2 shown]
	v_add_nc_u32_e32 v16, 1, v19
	s_delay_alu instid0(VALU_DEP_3) | instskip(NEXT) | instid1(VALU_DEP_2)
	v_add_nc_u32_e32 v15, -1, v15
	v_cndmask_b32_e64 v14, v14, v16, s15
	s_delay_alu instid0(VALU_DEP_2) | instskip(SKIP_1) | instid1(VALU_DEP_3)
	v_min_u32_e32 v15, v16, v15
	v_cndmask_b32_e64 v12, v16, v12, s15
	v_cmp_lt_u32_e64 s16, v14, v49
	s_delay_alu instid0(VALU_DEP_3) | instskip(NEXT) | instid1(VALU_DEP_3)
	v_add_nc_u32_e32 v15, v10, v15
	v_cmp_ge_u32_e64 s18, v12, v50
	ds_load_u8 v15, v15
	s_waitcnt lgkmcnt(0)
	v_cndmask_b32_e64 v55, v15, v53, s15
	v_cndmask_b32_e64 v64, v54, v15, s15
	s_delay_alu instid0(VALU_DEP_2) | instskip(NEXT) | instid1(VALU_DEP_2)
	v_and_b32_e32 v15, v55, v11
	v_and_b32_e32 v17, v64, v11
	s_delay_alu instid0(VALU_DEP_2) | instskip(NEXT) | instid1(VALU_DEP_2)
	v_bfe_i32 v15, v15, 0, 8
	v_bfe_i32 v17, v17, 0, 8
	s_delay_alu instid0(VALU_DEP_1) | instskip(NEXT) | instid1(VALU_DEP_1)
	v_cmp_le_i16_e64 s17, v17, v15
	s_and_b32 s16, s16, s17
	s_delay_alu instid0(SALU_CYCLE_1) | instskip(NEXT) | instid1(SALU_CYCLE_1)
	s_or_b32 s16, s18, s16
	v_cndmask_b32_e64 v20, v12, v14, s16
	v_cndmask_b32_e64 v15, v50, v49, s16
	;; [unrolled: 1-line block ×3, first 2 shown]
	s_delay_alu instid0(VALU_DEP_3) | instskip(NEXT) | instid1(VALU_DEP_3)
	v_add_nc_u32_e32 v16, 1, v20
	v_add_nc_u32_e32 v15, -1, v15
	s_delay_alu instid0(VALU_DEP_2) | instskip(NEXT) | instid1(VALU_DEP_2)
	v_cndmask_b32_e64 v14, v14, v16, s16
	v_min_u32_e32 v15, v16, v15
	v_cndmask_b32_e64 v12, v16, v12, s16
	s_delay_alu instid0(VALU_DEP_3) | instskip(NEXT) | instid1(VALU_DEP_3)
	v_cmp_lt_u32_e64 s17, v14, v49
	v_add_nc_u32_e32 v15, v10, v15
	s_delay_alu instid0(VALU_DEP_3) | instskip(SKIP_4) | instid1(VALU_DEP_2)
	v_cmp_ge_u32_e64 s19, v12, v50
	ds_load_u8 v15, v15
	s_waitcnt lgkmcnt(0)
	v_cndmask_b32_e64 v65, v15, v55, s16
	v_cndmask_b32_e64 v66, v64, v15, s16
	v_and_b32_e32 v15, v65, v11
	s_delay_alu instid0(VALU_DEP_2) | instskip(NEXT) | instid1(VALU_DEP_2)
	v_and_b32_e32 v17, v66, v11
	v_bfe_i32 v15, v15, 0, 8
	s_delay_alu instid0(VALU_DEP_2) | instskip(NEXT) | instid1(VALU_DEP_1)
	v_bfe_i32 v17, v17, 0, 8
	v_cmp_le_i16_e64 s18, v17, v15
	s_delay_alu instid0(VALU_DEP_1) | instskip(NEXT) | instid1(SALU_CYCLE_1)
	s_and_b32 s17, s17, s18
	s_or_b32 s17, s19, s17
	s_delay_alu instid0(SALU_CYCLE_1) | instskip(SKIP_1) | instid1(VALU_DEP_2)
	v_cndmask_b32_e64 v21, v12, v14, s17
	v_cndmask_b32_e64 v15, v50, v49, s17
	v_add_nc_u32_e32 v16, 1, v21
	s_delay_alu instid0(VALU_DEP_2) | instskip(SKIP_1) | instid1(VALU_DEP_3)
	v_add_nc_u32_e32 v15, -1, v15
	v_lshl_add_u32 v38, v21, 3, v9
	v_cndmask_b32_e64 v22, v14, v16, s17
	s_delay_alu instid0(VALU_DEP_3) | instskip(SKIP_2) | instid1(VALU_DEP_4)
	v_min_u32_e32 v15, v16, v15
	v_cndmask_b32_e64 v12, v16, v12, s17
	v_lshl_add_u32 v16, v5, 3, v9
	v_cmp_lt_u32_e64 s18, v22, v49
	s_delay_alu instid0(VALU_DEP_4) | instskip(NEXT) | instid1(VALU_DEP_4)
	v_add_nc_u32_e32 v15, v10, v15
	v_cmp_ge_u32_e64 s20, v12, v50
	ds_load_u8 v15, v15
	s_waitcnt lgkmcnt(0)
	v_cndmask_b32_e64 v67, v15, v65, s17
	v_cndmask_b32_e64 v68, v66, v15, s17
	s_delay_alu instid0(VALU_DEP_2) | instskip(NEXT) | instid1(VALU_DEP_2)
	v_and_b32_e32 v15, v67, v11
	v_and_b32_e32 v17, v68, v11
	s_delay_alu instid0(VALU_DEP_2) | instskip(NEXT) | instid1(VALU_DEP_2)
	v_bfe_i32 v14, v15, 0, 8
	v_bfe_i32 v15, v17, 0, 8
	s_delay_alu instid0(VALU_DEP_1)
	v_cmp_le_i16_e64 s19, v15, v14
	ds_load_b64 v[4:5], v4 offset:2048
	ds_load_b64 v[14:15], v16 offset:2048
	;; [unrolled: 1-line block ×3, first 2 shown]
	v_lshl_add_u32 v13, v18, 3, v9
	v_lshl_add_u32 v18, v19, 3, v9
	s_and_b32 s18, s18, s19
	v_lshl_add_u32 v19, v20, 3, v9
	s_or_b32 s18, s20, s18
	s_delay_alu instid0(SALU_CYCLE_1) | instskip(SKIP_1) | instid1(VALU_DEP_2)
	v_cndmask_b32_e64 v12, v12, v22, s18
	v_cndmask_b32_e64 v36, v67, v68, s18
	v_lshl_add_u32 v12, v12, 3, v9
	ds_load_b64 v[22:23], v13 offset:2048
	ds_load_b64 v[26:27], v18 offset:2048
	;; [unrolled: 1-line block ×5, first 2 shown]
	v_cndmask_b32_e64 v38, v28, v35, s10
	v_cndmask_b32_e64 v28, v51, v52, s14
	;; [unrolled: 1-line block ×3, first 2 shown]
.LBB410_50:
	s_or_b32 exec_lo, exec_lo, s22
	v_and_b32_e32 v51, 0xc0, v34
	v_and_b32_e32 v52, 56, v34
	s_mov_b32 s10, exec_lo
	; wave barrier
	s_delay_alu instid0(VALU_DEP_2) | instskip(NEXT) | instid1(VALU_DEP_2)
	v_or_b32_e32 v49, 32, v51
	v_min_u32_e32 v52, v29, v52
	ds_store_b8 v48, v24
	s_waitcnt lgkmcnt(8)
	ds_store_b64 v30, v[4:5] offset:2048
	ds_store_b8 v48, v38 offset:1
	s_waitcnt lgkmcnt(9)
	ds_store_b64 v31, v[14:15] offset:8
	ds_store_b8 v48, v39 offset:2
	;; [unrolled: 3-line block ×3, first 2 shown]
	v_min_u32_e32 v49, v29, v49
	s_waitcnt lgkmcnt(11)
	ds_store_b64 v31, v[22:23] offset:24
	ds_store_b8 v48, v25 offset:4
	s_waitcnt lgkmcnt(12)
	ds_store_b64 v31, v[26:27] offset:32
	ds_store_b8 v48, v37 offset:5
	;; [unrolled: 3-line block ×4, first 2 shown]
	s_waitcnt lgkmcnt(15)
	ds_store_b64 v31, v[12:13] offset:56
	; wave barrier
	v_add_nc_u32_e32 v50, 32, v49
	v_sub_nc_u32_e32 v54, v49, v51
	s_delay_alu instid0(VALU_DEP_2) | instskip(NEXT) | instid1(VALU_DEP_2)
	v_min_u32_e32 v50, v29, v50
	v_min_u32_e32 v54, v52, v54
	s_delay_alu instid0(VALU_DEP_2) | instskip(NEXT) | instid1(VALU_DEP_1)
	v_sub_nc_u32_e32 v53, v50, v49
	v_sub_nc_u32_e64 v53, v52, v53 clamp
	s_delay_alu instid0(VALU_DEP_1)
	v_cmpx_lt_u32_e64 v53, v54
	s_cbranch_execz .LBB410_54
; %bb.51:
	v_add_nc_u32_e32 v55, v10, v51
	v_add3_u32 v64, v10, v49, v52
	s_mov_b32 s11, 0
	.p2align	6
.LBB410_52:                             ; =>This Inner Loop Header: Depth=1
	v_add_nc_u32_e32 v65, v54, v53
	s_delay_alu instid0(VALU_DEP_1) | instskip(NEXT) | instid1(VALU_DEP_1)
	v_lshrrev_b32_e32 v65, 1, v65
	v_xad_u32 v66, v65, -1, v64
	v_add_nc_u32_e32 v67, v55, v65
	v_add_nc_u32_e32 v68, 1, v65
	ds_load_u8 v66, v66
	ds_load_u8 v67, v67
	s_waitcnt lgkmcnt(1)
	v_and_b32_e32 v66, v66, v11
	s_waitcnt lgkmcnt(0)
	v_and_b32_e32 v67, v67, v11
	s_delay_alu instid0(VALU_DEP_2) | instskip(NEXT) | instid1(VALU_DEP_2)
	v_bfe_i32 v66, v66, 0, 8
	v_bfe_i32 v67, v67, 0, 8
	s_delay_alu instid0(VALU_DEP_1) | instskip(NEXT) | instid1(VALU_DEP_1)
	v_cmp_gt_i16_e64 s7, v67, v66
	v_cndmask_b32_e64 v54, v54, v65, s7
	v_cndmask_b32_e64 v53, v68, v53, s7
	s_delay_alu instid0(VALU_DEP_1) | instskip(NEXT) | instid1(VALU_DEP_1)
	v_cmp_ge_u32_e64 s7, v53, v54
	s_or_b32 s11, s7, s11
	s_delay_alu instid0(SALU_CYCLE_1)
	s_and_not1_b32 exec_lo, exec_lo, s11
	s_cbranch_execnz .LBB410_52
; %bb.53:
	s_or_b32 exec_lo, exec_lo, s11
.LBB410_54:
	s_delay_alu instid0(SALU_CYCLE_1) | instskip(SKIP_2) | instid1(VALU_DEP_2)
	s_or_b32 exec_lo, exec_lo, s10
	v_add_nc_u32_e32 v54, v49, v52
	v_add_nc_u32_e32 v52, v53, v51
	v_sub_nc_u32_e32 v51, v54, v53
	s_delay_alu instid0(VALU_DEP_2) | instskip(NEXT) | instid1(VALU_DEP_2)
	v_cmp_le_u32_e64 s7, v52, v49
	v_cmp_le_u32_e64 s10, v51, v50
	s_delay_alu instid0(VALU_DEP_1) | instskip(NEXT) | instid1(SALU_CYCLE_1)
	s_or_b32 s7, s7, s10
	s_and_saveexec_b32 s22, s7
	s_cbranch_execz .LBB410_60
; %bb.55:
	v_cmp_lt_u32_e64 s7, v52, v49
                                        ; implicit-def: $vgpr24
	s_delay_alu instid0(VALU_DEP_1)
	s_and_saveexec_b32 s10, s7
	s_cbranch_execz .LBB410_57
; %bb.56:
	v_add_nc_u32_e32 v4, v10, v52
	ds_load_u8 v24, v4
.LBB410_57:
	s_or_b32 exec_lo, exec_lo, s10
	v_cmp_ge_u32_e64 s10, v51, v50
	s_mov_b32 s14, exec_lo
                                        ; implicit-def: $vgpr25
	v_cmpx_lt_u32_e64 v51, v50
	s_cbranch_execz .LBB410_59
; %bb.58:
	v_add_nc_u32_e32 v4, v10, v51
	ds_load_u8 v25, v4
.LBB410_59:
	s_or_b32 exec_lo, exec_lo, s14
	s_waitcnt lgkmcnt(0)
	v_and_b32_e32 v4, v25, v11
	v_and_b32_e32 v5, v24, v11
	s_delay_alu instid0(VALU_DEP_2) | instskip(NEXT) | instid1(VALU_DEP_2)
	v_bfe_i32 v4, v4, 0, 8
	v_bfe_i32 v5, v5, 0, 8
	s_delay_alu instid0(VALU_DEP_1) | instskip(NEXT) | instid1(VALU_DEP_1)
	v_cmp_le_i16_e64 s11, v5, v4
	s_and_b32 s7, s7, s11
	s_delay_alu instid0(SALU_CYCLE_1) | instskip(NEXT) | instid1(SALU_CYCLE_1)
	s_or_b32 s7, s10, s7
	v_cndmask_b32_e64 v4, v51, v52, s7
	v_cndmask_b32_e64 v5, v50, v49, s7
	s_delay_alu instid0(VALU_DEP_2) | instskip(NEXT) | instid1(VALU_DEP_2)
	v_add_nc_u32_e32 v12, 1, v4
	v_add_nc_u32_e32 v5, -1, v5
	v_lshl_add_u32 v4, v4, 3, v9
	s_delay_alu instid0(VALU_DEP_3) | instskip(NEXT) | instid1(VALU_DEP_3)
	v_cndmask_b32_e64 v14, v52, v12, s7
	v_min_u32_e32 v5, v12, v5
	v_cndmask_b32_e64 v12, v12, v51, s7
	s_delay_alu instid0(VALU_DEP_3) | instskip(NEXT) | instid1(VALU_DEP_3)
	v_cmp_lt_u32_e64 s10, v14, v49
	v_add_nc_u32_e32 v5, v10, v5
	s_delay_alu instid0(VALU_DEP_3)
	v_cmp_ge_u32_e64 s14, v12, v50
	ds_load_u8 v5, v5
	s_waitcnt lgkmcnt(0)
	v_cndmask_b32_e64 v28, v5, v25, s7
	v_cndmask_b32_e64 v35, v24, v5, s7
	;; [unrolled: 1-line block ×3, first 2 shown]
	s_delay_alu instid0(VALU_DEP_3) | instskip(NEXT) | instid1(VALU_DEP_3)
	v_and_b32_e32 v5, v28, v11
	v_and_b32_e32 v13, v35, v11
	s_delay_alu instid0(VALU_DEP_2) | instskip(NEXT) | instid1(VALU_DEP_2)
	v_bfe_i32 v5, v5, 0, 8
	v_bfe_i32 v13, v13, 0, 8
	s_delay_alu instid0(VALU_DEP_1) | instskip(NEXT) | instid1(VALU_DEP_1)
	v_cmp_le_i16_e64 s11, v13, v5
	s_and_b32 s10, s10, s11
	s_delay_alu instid0(SALU_CYCLE_1) | instskip(NEXT) | instid1(SALU_CYCLE_1)
	s_or_b32 s10, s14, s10
	v_cndmask_b32_e64 v5, v12, v14, s10
	v_cndmask_b32_e64 v13, v50, v49, s10
	s_delay_alu instid0(VALU_DEP_2) | instskip(NEXT) | instid1(VALU_DEP_2)
	v_add_nc_u32_e32 v15, 1, v5
	v_add_nc_u32_e32 v13, -1, v13
	s_delay_alu instid0(VALU_DEP_2) | instskip(NEXT) | instid1(VALU_DEP_2)
	v_cndmask_b32_e64 v14, v14, v15, s10
	v_min_u32_e32 v13, v15, v13
	v_cndmask_b32_e64 v12, v15, v12, s10
	s_delay_alu instid0(VALU_DEP_3) | instskip(NEXT) | instid1(VALU_DEP_3)
	v_cmp_lt_u32_e64 s11, v14, v49
	v_add_nc_u32_e32 v13, v10, v13
	s_delay_alu instid0(VALU_DEP_3) | instskip(SKIP_4) | instid1(VALU_DEP_2)
	v_cmp_ge_u32_e64 s15, v12, v50
	ds_load_u8 v13, v13
	s_waitcnt lgkmcnt(0)
	v_cndmask_b32_e64 v36, v13, v28, s10
	v_cndmask_b32_e64 v37, v35, v13, s10
	v_and_b32_e32 v13, v36, v11
	s_delay_alu instid0(VALU_DEP_2) | instskip(NEXT) | instid1(VALU_DEP_2)
	v_and_b32_e32 v16, v37, v11
	v_bfe_i32 v13, v13, 0, 8
	s_delay_alu instid0(VALU_DEP_2) | instskip(NEXT) | instid1(VALU_DEP_1)
	v_bfe_i32 v16, v16, 0, 8
	v_cmp_le_i16_e64 s14, v16, v13
	s_delay_alu instid0(VALU_DEP_1) | instskip(NEXT) | instid1(SALU_CYCLE_1)
	s_and_b32 s11, s11, s14
	s_or_b32 s11, s15, s11
	s_delay_alu instid0(SALU_CYCLE_1) | instskip(SKIP_2) | instid1(VALU_DEP_3)
	v_cndmask_b32_e64 v13, v12, v14, s11
	v_cndmask_b32_e64 v15, v50, v49, s11
	;; [unrolled: 1-line block ×3, first 2 shown]
	v_add_nc_u32_e32 v16, 1, v13
	s_delay_alu instid0(VALU_DEP_3) | instskip(SKIP_1) | instid1(VALU_DEP_3)
	v_add_nc_u32_e32 v15, -1, v15
	v_lshl_add_u32 v13, v13, 3, v9
	v_cndmask_b32_e64 v14, v14, v16, s11
	s_delay_alu instid0(VALU_DEP_3) | instskip(SKIP_1) | instid1(VALU_DEP_3)
	v_min_u32_e32 v15, v16, v15
	v_cndmask_b32_e64 v12, v16, v12, s11
	v_cmp_lt_u32_e64 s14, v14, v49
	s_delay_alu instid0(VALU_DEP_3) | instskip(NEXT) | instid1(VALU_DEP_3)
	v_add_nc_u32_e32 v15, v10, v15
	v_cmp_ge_u32_e64 s16, v12, v50
	ds_load_u8 v15, v15
	s_waitcnt lgkmcnt(0)
	v_cndmask_b32_e64 v51, v15, v36, s11
	v_cndmask_b32_e64 v52, v37, v15, s11
	s_delay_alu instid0(VALU_DEP_2) | instskip(NEXT) | instid1(VALU_DEP_2)
	v_and_b32_e32 v15, v51, v11
	v_and_b32_e32 v17, v52, v11
	s_delay_alu instid0(VALU_DEP_2) | instskip(NEXT) | instid1(VALU_DEP_2)
	v_bfe_i32 v15, v15, 0, 8
	v_bfe_i32 v17, v17, 0, 8
	s_delay_alu instid0(VALU_DEP_1) | instskip(NEXT) | instid1(VALU_DEP_1)
	v_cmp_le_i16_e64 s15, v17, v15
	s_and_b32 s14, s14, s15
	s_delay_alu instid0(SALU_CYCLE_1) | instskip(NEXT) | instid1(SALU_CYCLE_1)
	s_or_b32 s14, s16, s14
	v_cndmask_b32_e64 v18, v12, v14, s14
	v_cndmask_b32_e64 v15, v50, v49, s14
	s_delay_alu instid0(VALU_DEP_2) | instskip(NEXT) | instid1(VALU_DEP_2)
	v_add_nc_u32_e32 v16, 1, v18
	v_add_nc_u32_e32 v15, -1, v15
	s_delay_alu instid0(VALU_DEP_2) | instskip(NEXT) | instid1(VALU_DEP_2)
	v_cndmask_b32_e64 v14, v14, v16, s14
	v_min_u32_e32 v15, v16, v15
	v_cndmask_b32_e64 v12, v16, v12, s14
	s_delay_alu instid0(VALU_DEP_3) | instskip(NEXT) | instid1(VALU_DEP_3)
	v_cmp_lt_u32_e64 s15, v14, v49
	v_add_nc_u32_e32 v15, v10, v15
	s_delay_alu instid0(VALU_DEP_3) | instskip(SKIP_4) | instid1(VALU_DEP_2)
	v_cmp_ge_u32_e64 s17, v12, v50
	ds_load_u8 v15, v15
	s_waitcnt lgkmcnt(0)
	v_cndmask_b32_e64 v53, v15, v51, s14
	v_cndmask_b32_e64 v54, v52, v15, s14
	v_and_b32_e32 v15, v53, v11
	s_delay_alu instid0(VALU_DEP_2) | instskip(NEXT) | instid1(VALU_DEP_2)
	v_and_b32_e32 v17, v54, v11
	v_bfe_i32 v15, v15, 0, 8
	s_delay_alu instid0(VALU_DEP_2) | instskip(NEXT) | instid1(VALU_DEP_1)
	v_bfe_i32 v17, v17, 0, 8
	v_cmp_le_i16_e64 s16, v17, v15
	s_delay_alu instid0(VALU_DEP_1) | instskip(NEXT) | instid1(SALU_CYCLE_1)
	s_and_b32 s15, s15, s16
	s_or_b32 s15, s17, s15
	s_delay_alu instid0(SALU_CYCLE_1) | instskip(SKIP_2) | instid1(VALU_DEP_3)
	v_cndmask_b32_e64 v19, v12, v14, s15
	v_cndmask_b32_e64 v15, v50, v49, s15
	;; [unrolled: 1-line block ×3, first 2 shown]
	v_add_nc_u32_e32 v16, 1, v19
	s_delay_alu instid0(VALU_DEP_3) | instskip(NEXT) | instid1(VALU_DEP_2)
	v_add_nc_u32_e32 v15, -1, v15
	v_cndmask_b32_e64 v14, v14, v16, s15
	s_delay_alu instid0(VALU_DEP_2) | instskip(SKIP_1) | instid1(VALU_DEP_3)
	v_min_u32_e32 v15, v16, v15
	v_cndmask_b32_e64 v12, v16, v12, s15
	v_cmp_lt_u32_e64 s16, v14, v49
	s_delay_alu instid0(VALU_DEP_3) | instskip(NEXT) | instid1(VALU_DEP_3)
	v_add_nc_u32_e32 v15, v10, v15
	v_cmp_ge_u32_e64 s18, v12, v50
	ds_load_u8 v15, v15
	s_waitcnt lgkmcnt(0)
	v_cndmask_b32_e64 v55, v15, v53, s15
	v_cndmask_b32_e64 v64, v54, v15, s15
	s_delay_alu instid0(VALU_DEP_2) | instskip(NEXT) | instid1(VALU_DEP_2)
	v_and_b32_e32 v15, v55, v11
	v_and_b32_e32 v17, v64, v11
	s_delay_alu instid0(VALU_DEP_2) | instskip(NEXT) | instid1(VALU_DEP_2)
	v_bfe_i32 v15, v15, 0, 8
	v_bfe_i32 v17, v17, 0, 8
	s_delay_alu instid0(VALU_DEP_1) | instskip(NEXT) | instid1(VALU_DEP_1)
	v_cmp_le_i16_e64 s17, v17, v15
	s_and_b32 s16, s16, s17
	s_delay_alu instid0(SALU_CYCLE_1) | instskip(NEXT) | instid1(SALU_CYCLE_1)
	s_or_b32 s16, s18, s16
	v_cndmask_b32_e64 v20, v12, v14, s16
	v_cndmask_b32_e64 v15, v50, v49, s16
	v_cndmask_b32_e64 v37, v55, v64, s16
	s_delay_alu instid0(VALU_DEP_3) | instskip(NEXT) | instid1(VALU_DEP_3)
	v_add_nc_u32_e32 v16, 1, v20
	v_add_nc_u32_e32 v15, -1, v15
	s_delay_alu instid0(VALU_DEP_2) | instskip(NEXT) | instid1(VALU_DEP_2)
	v_cndmask_b32_e64 v14, v14, v16, s16
	v_min_u32_e32 v15, v16, v15
	v_cndmask_b32_e64 v12, v16, v12, s16
	s_delay_alu instid0(VALU_DEP_3) | instskip(NEXT) | instid1(VALU_DEP_3)
	v_cmp_lt_u32_e64 s17, v14, v49
	v_add_nc_u32_e32 v15, v10, v15
	s_delay_alu instid0(VALU_DEP_3) | instskip(SKIP_4) | instid1(VALU_DEP_2)
	v_cmp_ge_u32_e64 s19, v12, v50
	ds_load_u8 v15, v15
	s_waitcnt lgkmcnt(0)
	v_cndmask_b32_e64 v65, v15, v55, s16
	v_cndmask_b32_e64 v66, v64, v15, s16
	v_and_b32_e32 v15, v65, v11
	s_delay_alu instid0(VALU_DEP_2) | instskip(NEXT) | instid1(VALU_DEP_2)
	v_and_b32_e32 v17, v66, v11
	v_bfe_i32 v15, v15, 0, 8
	s_delay_alu instid0(VALU_DEP_2) | instskip(NEXT) | instid1(VALU_DEP_1)
	v_bfe_i32 v17, v17, 0, 8
	v_cmp_le_i16_e64 s18, v17, v15
	s_delay_alu instid0(VALU_DEP_1) | instskip(NEXT) | instid1(SALU_CYCLE_1)
	s_and_b32 s17, s17, s18
	s_or_b32 s17, s19, s17
	s_delay_alu instid0(SALU_CYCLE_1) | instskip(SKIP_1) | instid1(VALU_DEP_2)
	v_cndmask_b32_e64 v21, v12, v14, s17
	v_cndmask_b32_e64 v15, v50, v49, s17
	v_add_nc_u32_e32 v16, 1, v21
	s_delay_alu instid0(VALU_DEP_2) | instskip(SKIP_1) | instid1(VALU_DEP_3)
	v_add_nc_u32_e32 v15, -1, v15
	v_lshl_add_u32 v38, v21, 3, v9
	v_cndmask_b32_e64 v22, v14, v16, s17
	s_delay_alu instid0(VALU_DEP_3) | instskip(SKIP_2) | instid1(VALU_DEP_4)
	v_min_u32_e32 v15, v16, v15
	v_cndmask_b32_e64 v12, v16, v12, s17
	v_lshl_add_u32 v16, v5, 3, v9
	v_cmp_lt_u32_e64 s18, v22, v49
	s_delay_alu instid0(VALU_DEP_4) | instskip(NEXT) | instid1(VALU_DEP_4)
	v_add_nc_u32_e32 v15, v10, v15
	v_cmp_ge_u32_e64 s20, v12, v50
	ds_load_u8 v15, v15
	s_waitcnt lgkmcnt(0)
	v_cndmask_b32_e64 v67, v15, v65, s17
	v_cndmask_b32_e64 v68, v66, v15, s17
	s_delay_alu instid0(VALU_DEP_2) | instskip(NEXT) | instid1(VALU_DEP_2)
	v_and_b32_e32 v15, v67, v11
	v_and_b32_e32 v17, v68, v11
	s_delay_alu instid0(VALU_DEP_2) | instskip(NEXT) | instid1(VALU_DEP_2)
	v_bfe_i32 v14, v15, 0, 8
	v_bfe_i32 v15, v17, 0, 8
	s_delay_alu instid0(VALU_DEP_1)
	v_cmp_le_i16_e64 s19, v15, v14
	ds_load_b64 v[4:5], v4 offset:2048
	ds_load_b64 v[14:15], v16 offset:2048
	;; [unrolled: 1-line block ×3, first 2 shown]
	v_lshl_add_u32 v13, v18, 3, v9
	v_lshl_add_u32 v18, v19, 3, v9
	s_and_b32 s18, s18, s19
	v_lshl_add_u32 v19, v20, 3, v9
	s_or_b32 s18, s20, s18
	s_delay_alu instid0(SALU_CYCLE_1) | instskip(SKIP_1) | instid1(VALU_DEP_2)
	v_cndmask_b32_e64 v12, v12, v22, s18
	v_cndmask_b32_e64 v36, v67, v68, s18
	v_lshl_add_u32 v12, v12, 3, v9
	ds_load_b64 v[22:23], v13 offset:2048
	ds_load_b64 v[26:27], v18 offset:2048
	;; [unrolled: 1-line block ×5, first 2 shown]
	v_cndmask_b32_e64 v38, v28, v35, s10
	v_cndmask_b32_e64 v28, v51, v52, s14
	v_cndmask_b32_e64 v35, v65, v66, s17
.LBB410_60:
	s_or_b32 exec_lo, exec_lo, s22
	v_and_b32_e32 v49, 0x80, v34
	; wave barrier
	ds_store_b8 v48, v24
	s_waitcnt lgkmcnt(8)
	ds_store_b64 v30, v[4:5] offset:2048
	ds_store_b8 v48, v38 offset:1
	s_waitcnt lgkmcnt(9)
	ds_store_b64 v31, v[14:15] offset:8
	s_mov_b32 s10, exec_lo
	v_or_b32_e32 v34, 64, v49
	ds_store_b8 v48, v39 offset:2
	s_waitcnt lgkmcnt(10)
	ds_store_b64 v31, v[16:17] offset:16
	ds_store_b8 v48, v28 offset:3
	s_waitcnt lgkmcnt(11)
	ds_store_b64 v31, v[22:23] offset:24
	;; [unrolled: 3-line block ×6, first 2 shown]
	v_min_u32_e32 v34, v29, v34
	; wave barrier
	s_delay_alu instid0(VALU_DEP_1) | instskip(SKIP_1) | instid1(VALU_DEP_2)
	v_add_nc_u32_e32 v50, 64, v34
	v_sub_nc_u32_e32 v51, v34, v49
	v_min_u32_e32 v30, v29, v50
	v_min_u32_e32 v29, v29, v32
	s_delay_alu instid0(VALU_DEP_2) | instskip(NEXT) | instid1(VALU_DEP_2)
	v_sub_nc_u32_e32 v50, v30, v34
	v_min_u32_e32 v51, v29, v51
	s_delay_alu instid0(VALU_DEP_2) | instskip(NEXT) | instid1(VALU_DEP_1)
	v_sub_nc_u32_e64 v50, v29, v50 clamp
	v_cmpx_lt_u32_e64 v50, v51
	s_cbranch_execz .LBB410_64
; %bb.61:
	v_add_nc_u32_e32 v31, v10, v49
	v_add3_u32 v48, v10, v34, v29
	s_mov_b32 s11, 0
	.p2align	6
.LBB410_62:                             ; =>This Inner Loop Header: Depth=1
	v_add_nc_u32_e32 v52, v51, v50
	s_delay_alu instid0(VALU_DEP_1) | instskip(NEXT) | instid1(VALU_DEP_1)
	v_lshrrev_b32_e32 v52, 1, v52
	v_xad_u32 v53, v52, -1, v48
	v_add_nc_u32_e32 v54, v31, v52
	v_add_nc_u32_e32 v55, 1, v52
	ds_load_u8 v53, v53
	ds_load_u8 v54, v54
	s_waitcnt lgkmcnt(1)
	v_and_b32_e32 v53, v53, v11
	s_waitcnt lgkmcnt(0)
	v_and_b32_e32 v54, v54, v11
	s_delay_alu instid0(VALU_DEP_2) | instskip(NEXT) | instid1(VALU_DEP_2)
	v_bfe_i32 v53, v53, 0, 8
	v_bfe_i32 v54, v54, 0, 8
	s_delay_alu instid0(VALU_DEP_1) | instskip(NEXT) | instid1(VALU_DEP_1)
	v_cmp_gt_i16_e64 s7, v54, v53
	v_cndmask_b32_e64 v51, v51, v52, s7
	v_cndmask_b32_e64 v50, v55, v50, s7
	s_delay_alu instid0(VALU_DEP_1) | instskip(NEXT) | instid1(VALU_DEP_1)
	v_cmp_ge_u32_e64 s7, v50, v51
	s_or_b32 s11, s7, s11
	s_delay_alu instid0(SALU_CYCLE_1)
	s_and_not1_b32 exec_lo, exec_lo, s11
	s_cbranch_execnz .LBB410_62
; %bb.63:
	s_or_b32 exec_lo, exec_lo, s11
.LBB410_64:
	s_delay_alu instid0(SALU_CYCLE_1) | instskip(SKIP_2) | instid1(VALU_DEP_2)
	s_or_b32 exec_lo, exec_lo, s10
	v_add_nc_u32_e32 v29, v34, v29
	v_add_nc_u32_e32 v31, v50, v49
	v_sub_nc_u32_e32 v29, v29, v50
	s_delay_alu instid0(VALU_DEP_2) | instskip(NEXT) | instid1(VALU_DEP_2)
	v_cmp_le_u32_e64 s7, v31, v34
	v_cmp_le_u32_e64 s10, v29, v30
	s_delay_alu instid0(VALU_DEP_1) | instskip(NEXT) | instid1(SALU_CYCLE_1)
	s_or_b32 s7, s7, s10
	s_and_saveexec_b32 s22, s7
	s_cbranch_execz .LBB410_70
; %bb.65:
	v_cmp_lt_u32_e64 s7, v31, v34
                                        ; implicit-def: $vgpr24
	s_delay_alu instid0(VALU_DEP_1)
	s_and_saveexec_b32 s10, s7
	s_cbranch_execz .LBB410_67
; %bb.66:
	v_add_nc_u32_e32 v4, v10, v31
	ds_load_u8 v24, v4
.LBB410_67:
	s_or_b32 exec_lo, exec_lo, s10
	v_cmp_ge_u32_e64 s10, v29, v30
	s_mov_b32 s14, exec_lo
                                        ; implicit-def: $vgpr25
	v_cmpx_lt_u32_e64 v29, v30
	s_cbranch_execz .LBB410_69
; %bb.68:
	v_add_nc_u32_e32 v4, v10, v29
	ds_load_u8 v25, v4
.LBB410_69:
	s_or_b32 exec_lo, exec_lo, s14
	s_waitcnt lgkmcnt(0)
	v_and_b32_e32 v4, v25, v11
	v_and_b32_e32 v5, v24, v11
	s_delay_alu instid0(VALU_DEP_2) | instskip(NEXT) | instid1(VALU_DEP_2)
	v_bfe_i32 v4, v4, 0, 8
	v_bfe_i32 v5, v5, 0, 8
	s_delay_alu instid0(VALU_DEP_1) | instskip(NEXT) | instid1(VALU_DEP_1)
	v_cmp_le_i16_e64 s11, v5, v4
	s_and_b32 s7, s7, s11
	s_delay_alu instid0(SALU_CYCLE_1) | instskip(NEXT) | instid1(SALU_CYCLE_1)
	s_or_b32 s7, s10, s7
	v_cndmask_b32_e64 v4, v29, v31, s7
	v_cndmask_b32_e64 v5, v30, v34, s7
	s_delay_alu instid0(VALU_DEP_2) | instskip(NEXT) | instid1(VALU_DEP_2)
	v_add_nc_u32_e32 v12, 1, v4
	v_add_nc_u32_e32 v5, -1, v5
	v_lshl_add_u32 v4, v4, 3, v9
	s_delay_alu instid0(VALU_DEP_3) | instskip(NEXT) | instid1(VALU_DEP_3)
	v_cndmask_b32_e64 v14, v31, v12, s7
	v_min_u32_e32 v5, v12, v5
	v_cndmask_b32_e64 v12, v12, v29, s7
	s_delay_alu instid0(VALU_DEP_3) | instskip(NEXT) | instid1(VALU_DEP_3)
	v_cmp_lt_u32_e64 s10, v14, v34
	v_add_nc_u32_e32 v5, v10, v5
	s_delay_alu instid0(VALU_DEP_3)
	v_cmp_ge_u32_e64 s14, v12, v30
	ds_load_u8 v5, v5
	s_waitcnt lgkmcnt(0)
	v_cndmask_b32_e64 v28, v5, v25, s7
	v_cndmask_b32_e64 v35, v24, v5, s7
	;; [unrolled: 1-line block ×3, first 2 shown]
	s_delay_alu instid0(VALU_DEP_3) | instskip(NEXT) | instid1(VALU_DEP_3)
	v_and_b32_e32 v5, v28, v11
	v_and_b32_e32 v13, v35, v11
	s_delay_alu instid0(VALU_DEP_2) | instskip(NEXT) | instid1(VALU_DEP_2)
	v_bfe_i32 v5, v5, 0, 8
	v_bfe_i32 v13, v13, 0, 8
	s_delay_alu instid0(VALU_DEP_1) | instskip(NEXT) | instid1(VALU_DEP_1)
	v_cmp_le_i16_e64 s11, v13, v5
	s_and_b32 s10, s10, s11
	s_delay_alu instid0(SALU_CYCLE_1) | instskip(NEXT) | instid1(SALU_CYCLE_1)
	s_or_b32 s10, s14, s10
	v_cndmask_b32_e64 v5, v12, v14, s10
	v_cndmask_b32_e64 v13, v30, v34, s10
	v_cndmask_b32_e64 v38, v28, v35, s10
	s_delay_alu instid0(VALU_DEP_3) | instskip(NEXT) | instid1(VALU_DEP_3)
	v_add_nc_u32_e32 v15, 1, v5
	v_add_nc_u32_e32 v13, -1, v13
	s_delay_alu instid0(VALU_DEP_2) | instskip(NEXT) | instid1(VALU_DEP_2)
	v_cndmask_b32_e64 v14, v14, v15, s10
	v_min_u32_e32 v13, v15, v13
	v_cndmask_b32_e64 v12, v15, v12, s10
	s_delay_alu instid0(VALU_DEP_3) | instskip(NEXT) | instid1(VALU_DEP_3)
	v_cmp_lt_u32_e64 s11, v14, v34
	v_add_nc_u32_e32 v13, v10, v13
	s_delay_alu instid0(VALU_DEP_3) | instskip(SKIP_4) | instid1(VALU_DEP_2)
	v_cmp_ge_u32_e64 s15, v12, v30
	ds_load_u8 v13, v13
	s_waitcnt lgkmcnt(0)
	v_cndmask_b32_e64 v29, v13, v28, s10
	v_cndmask_b32_e64 v31, v35, v13, s10
	v_and_b32_e32 v13, v29, v11
	s_delay_alu instid0(VALU_DEP_2) | instskip(NEXT) | instid1(VALU_DEP_2)
	v_and_b32_e32 v16, v31, v11
	v_bfe_i32 v13, v13, 0, 8
	s_delay_alu instid0(VALU_DEP_2) | instskip(NEXT) | instid1(VALU_DEP_1)
	v_bfe_i32 v16, v16, 0, 8
	v_cmp_le_i16_e64 s14, v16, v13
	s_delay_alu instid0(VALU_DEP_1) | instskip(NEXT) | instid1(SALU_CYCLE_1)
	s_and_b32 s11, s11, s14
	s_or_b32 s11, s15, s11
	s_delay_alu instid0(SALU_CYCLE_1) | instskip(SKIP_2) | instid1(VALU_DEP_3)
	v_cndmask_b32_e64 v13, v12, v14, s11
	v_cndmask_b32_e64 v15, v30, v34, s11
	v_cndmask_b32_e64 v39, v29, v31, s11
	v_add_nc_u32_e32 v16, 1, v13
	s_delay_alu instid0(VALU_DEP_3) | instskip(NEXT) | instid1(VALU_DEP_2)
	v_add_nc_u32_e32 v15, -1, v15
	v_cndmask_b32_e64 v14, v14, v16, s11
	s_delay_alu instid0(VALU_DEP_2) | instskip(SKIP_1) | instid1(VALU_DEP_3)
	v_min_u32_e32 v15, v16, v15
	v_cndmask_b32_e64 v12, v16, v12, s11
	v_cmp_lt_u32_e64 s14, v14, v34
	s_delay_alu instid0(VALU_DEP_3) | instskip(NEXT) | instid1(VALU_DEP_3)
	v_add_nc_u32_e32 v15, v10, v15
	v_cmp_ge_u32_e64 s16, v12, v30
	ds_load_u8 v15, v15
	s_waitcnt lgkmcnt(0)
	v_cndmask_b32_e64 v36, v15, v29, s11
	v_cndmask_b32_e64 v37, v31, v15, s11
	s_delay_alu instid0(VALU_DEP_2) | instskip(NEXT) | instid1(VALU_DEP_2)
	v_and_b32_e32 v15, v36, v11
	v_and_b32_e32 v17, v37, v11
	s_delay_alu instid0(VALU_DEP_2) | instskip(NEXT) | instid1(VALU_DEP_2)
	v_bfe_i32 v15, v15, 0, 8
	v_bfe_i32 v17, v17, 0, 8
	s_delay_alu instid0(VALU_DEP_1) | instskip(NEXT) | instid1(VALU_DEP_1)
	v_cmp_le_i16_e64 s15, v17, v15
	s_and_b32 s14, s14, s15
	s_delay_alu instid0(SALU_CYCLE_1) | instskip(NEXT) | instid1(SALU_CYCLE_1)
	s_or_b32 s14, s16, s14
	v_cndmask_b32_e64 v18, v12, v14, s14
	v_cndmask_b32_e64 v15, v30, v34, s14
	v_cndmask_b32_e64 v28, v36, v37, s14
	s_delay_alu instid0(VALU_DEP_3) | instskip(NEXT) | instid1(VALU_DEP_3)
	v_add_nc_u32_e32 v16, 1, v18
	v_add_nc_u32_e32 v15, -1, v15
	s_delay_alu instid0(VALU_DEP_2) | instskip(NEXT) | instid1(VALU_DEP_2)
	v_cndmask_b32_e64 v14, v14, v16, s14
	v_min_u32_e32 v15, v16, v15
	v_cndmask_b32_e64 v12, v16, v12, s14
	s_delay_alu instid0(VALU_DEP_3) | instskip(NEXT) | instid1(VALU_DEP_3)
	v_cmp_lt_u32_e64 s15, v14, v34
	v_add_nc_u32_e32 v15, v10, v15
	s_delay_alu instid0(VALU_DEP_3) | instskip(SKIP_4) | instid1(VALU_DEP_2)
	v_cmp_ge_u32_e64 s17, v12, v30
	ds_load_u8 v15, v15
	s_waitcnt lgkmcnt(0)
	v_cndmask_b32_e64 v48, v15, v36, s14
	v_cndmask_b32_e64 v49, v37, v15, s14
	v_and_b32_e32 v15, v48, v11
	s_delay_alu instid0(VALU_DEP_2) | instskip(NEXT) | instid1(VALU_DEP_2)
	v_and_b32_e32 v17, v49, v11
	v_bfe_i32 v15, v15, 0, 8
	s_delay_alu instid0(VALU_DEP_2) | instskip(NEXT) | instid1(VALU_DEP_1)
	v_bfe_i32 v17, v17, 0, 8
	v_cmp_le_i16_e64 s16, v17, v15
	s_delay_alu instid0(VALU_DEP_1) | instskip(NEXT) | instid1(SALU_CYCLE_1)
	s_and_b32 s15, s15, s16
	s_or_b32 s15, s17, s15
	s_delay_alu instid0(SALU_CYCLE_1) | instskip(SKIP_2) | instid1(VALU_DEP_3)
	v_cndmask_b32_e64 v19, v12, v14, s15
	v_cndmask_b32_e64 v15, v30, v34, s15
	v_cndmask_b32_e64 v25, v48, v49, s15
	v_add_nc_u32_e32 v16, 1, v19
	s_delay_alu instid0(VALU_DEP_3) | instskip(NEXT) | instid1(VALU_DEP_2)
	v_add_nc_u32_e32 v15, -1, v15
	v_cndmask_b32_e64 v14, v14, v16, s15
	s_delay_alu instid0(VALU_DEP_2) | instskip(SKIP_1) | instid1(VALU_DEP_3)
	v_min_u32_e32 v15, v16, v15
	v_cndmask_b32_e64 v12, v16, v12, s15
	v_cmp_lt_u32_e64 s16, v14, v34
	s_delay_alu instid0(VALU_DEP_3) | instskip(NEXT) | instid1(VALU_DEP_3)
	v_add_nc_u32_e32 v15, v10, v15
	v_cmp_ge_u32_e64 s18, v12, v30
	ds_load_u8 v15, v15
	s_waitcnt lgkmcnt(0)
	v_cndmask_b32_e64 v50, v15, v48, s15
	v_cndmask_b32_e64 v51, v49, v15, s15
	s_delay_alu instid0(VALU_DEP_2) | instskip(NEXT) | instid1(VALU_DEP_2)
	v_and_b32_e32 v15, v50, v11
	v_and_b32_e32 v17, v51, v11
	s_delay_alu instid0(VALU_DEP_2) | instskip(NEXT) | instid1(VALU_DEP_2)
	v_bfe_i32 v15, v15, 0, 8
	v_bfe_i32 v17, v17, 0, 8
	s_delay_alu instid0(VALU_DEP_1) | instskip(NEXT) | instid1(VALU_DEP_1)
	v_cmp_le_i16_e64 s17, v17, v15
	s_and_b32 s16, s16, s17
	s_delay_alu instid0(SALU_CYCLE_1) | instskip(NEXT) | instid1(SALU_CYCLE_1)
	s_or_b32 s16, s18, s16
	v_cndmask_b32_e64 v20, v12, v14, s16
	v_cndmask_b32_e64 v15, v30, v34, s16
	v_cndmask_b32_e64 v37, v50, v51, s16
	s_delay_alu instid0(VALU_DEP_3) | instskip(NEXT) | instid1(VALU_DEP_3)
	v_add_nc_u32_e32 v16, 1, v20
	v_add_nc_u32_e32 v15, -1, v15
	s_delay_alu instid0(VALU_DEP_2) | instskip(NEXT) | instid1(VALU_DEP_2)
	v_cndmask_b32_e64 v14, v14, v16, s16
	v_min_u32_e32 v15, v16, v15
	v_cndmask_b32_e64 v12, v16, v12, s16
	s_delay_alu instid0(VALU_DEP_3) | instskip(NEXT) | instid1(VALU_DEP_3)
	v_cmp_lt_u32_e64 s17, v14, v34
	v_add_nc_u32_e32 v15, v10, v15
	s_delay_alu instid0(VALU_DEP_3) | instskip(SKIP_4) | instid1(VALU_DEP_2)
	v_cmp_ge_u32_e64 s19, v12, v30
	ds_load_u8 v15, v15
	s_waitcnt lgkmcnt(0)
	v_cndmask_b32_e64 v52, v15, v50, s16
	v_cndmask_b32_e64 v53, v51, v15, s16
	v_and_b32_e32 v15, v52, v11
	s_delay_alu instid0(VALU_DEP_2) | instskip(NEXT) | instid1(VALU_DEP_2)
	v_and_b32_e32 v17, v53, v11
	v_bfe_i32 v15, v15, 0, 8
	s_delay_alu instid0(VALU_DEP_2) | instskip(NEXT) | instid1(VALU_DEP_1)
	v_bfe_i32 v17, v17, 0, 8
	v_cmp_le_i16_e64 s18, v17, v15
	s_delay_alu instid0(VALU_DEP_1) | instskip(NEXT) | instid1(SALU_CYCLE_1)
	s_and_b32 s17, s17, s18
	s_or_b32 s17, s19, s17
	s_delay_alu instid0(SALU_CYCLE_1) | instskip(SKIP_2) | instid1(VALU_DEP_3)
	v_cndmask_b32_e64 v21, v12, v14, s17
	v_cndmask_b32_e64 v15, v30, v34, s17
	v_cndmask_b32_e64 v35, v52, v53, s17
	v_add_nc_u32_e32 v16, 1, v21
	s_delay_alu instid0(VALU_DEP_3) | instskip(NEXT) | instid1(VALU_DEP_2)
	v_add_nc_u32_e32 v15, -1, v15
	v_cndmask_b32_e64 v22, v14, v16, s17
	s_delay_alu instid0(VALU_DEP_2) | instskip(SKIP_1) | instid1(VALU_DEP_3)
	v_min_u32_e32 v15, v16, v15
	v_cndmask_b32_e64 v12, v16, v12, s17
	v_cmp_lt_u32_e64 s18, v22, v34
	s_delay_alu instid0(VALU_DEP_3) | instskip(NEXT) | instid1(VALU_DEP_3)
	v_add_nc_u32_e32 v10, v10, v15
	v_cmp_ge_u32_e64 s20, v12, v30
	ds_load_u8 v10, v10
	s_waitcnt lgkmcnt(0)
	v_cndmask_b32_e64 v54, v10, v52, s17
	v_cndmask_b32_e64 v10, v53, v10, s17
	s_delay_alu instid0(VALU_DEP_2) | instskip(NEXT) | instid1(VALU_DEP_2)
	v_and_b32_e32 v15, v54, v11
	v_and_b32_e32 v11, v10, v11
	s_delay_alu instid0(VALU_DEP_2) | instskip(NEXT) | instid1(VALU_DEP_2)
	v_bfe_i32 v14, v15, 0, 8
	v_bfe_i32 v11, v11, 0, 8
	v_lshl_add_u32 v15, v5, 3, v9
	s_delay_alu instid0(VALU_DEP_2)
	v_cmp_le_i16_e64 s19, v11, v14
	v_lshl_add_u32 v11, v13, 3, v9
	ds_load_b64 v[4:5], v4 offset:2048
	ds_load_b64 v[14:15], v15 offset:2048
	v_lshl_add_u32 v13, v19, 3, v9
	v_lshl_add_u32 v19, v21, 3, v9
	s_and_b32 s18, s18, s19
	ds_load_b64 v[16:17], v11 offset:2048
	s_or_b32 s18, s20, s18
	s_delay_alu instid0(SALU_CYCLE_1) | instskip(SKIP_3) | instid1(VALU_DEP_4)
	v_cndmask_b32_e64 v11, v12, v22, s18
	v_lshl_add_u32 v12, v18, 3, v9
	v_lshl_add_u32 v18, v20, 3, v9
	v_cndmask_b32_e64 v36, v54, v10, s18
	v_lshl_add_u32 v9, v11, 3, v9
	ds_load_b64 v[22:23], v12 offset:2048
	ds_load_b64 v[26:27], v13 offset:2048
	;; [unrolled: 1-line block ×5, first 2 shown]
.LBB410_70:
	s_or_b32 exec_lo, exec_lo, s22
	; wave barrier
	s_waitcnt lgkmcnt(0)
	s_waitcnt_vscnt null, 0x0
	s_barrier
                                        ; implicit-def: $vgpr34
                                        ; implicit-def: $vgpr29
                                        ; implicit-def: $vgpr30
                                        ; implicit-def: $vgpr9
.LBB410_71:
	s_and_not1_saveexec_b32 s17, s21
	s_cbranch_execz .LBB410_117
; %bb.72:
	s_load_b64 s[10:11], s[8:9], 0x0
	v_mov_b32_e32 v10, 0
	s_waitcnt lgkmcnt(0)
	s_cmp_lt_u32 s13, s11
	s_cselect_b32 s7, 14, 20
	s_delay_alu instid0(SALU_CYCLE_1)
	s_add_u32 s14, s8, s7
	s_addc_u32 s15, s9, 0
	s_cmp_lt_u32 s12, s10
	global_load_u16 v11, v10, s[14:15]
	s_cselect_b32 s7, 12, 18
	s_mov_b32 s15, exec_lo
	s_add_u32 s8, s8, s7
	s_addc_u32 s9, s9, 0
	global_load_u16 v10, v10, s[8:9]
	s_waitcnt vmcnt(1)
	v_mad_u32_u24 v11, v30, v11, v29
	s_waitcnt vmcnt(0)
	s_delay_alu instid0(VALU_DEP_1) | instskip(NEXT) | instid1(VALU_DEP_1)
	v_mul_lo_u32 v10, v11, v10
	v_add_lshl_u32 v11, v10, v9, 3
	s_delay_alu instid0(VALU_DEP_1)
	v_cmpx_gt_u32_e32 0x800, v11
	s_cbranch_execz .LBB410_76
; %bb.73:
	v_and_b32_e32 v9, 0xff, v24
	v_lshlrev_b16 v10, 8, v38
	v_lshlrev_b16 v29, 8, v24
	v_and_b32_e32 v30, 0xff, v38
	v_and_b32_e32 v31, 0xff, v39
	v_lshlrev_b16 v28, 8, v28
	v_or_b32_e32 v9, v9, v10
	v_bfe_i32 v24, v24, 0, 8
	v_or_b32_e32 v10, v30, v29
	v_bfe_i32 v30, v38, 0, 8
	v_or_b32_e32 v28, v31, v28
	v_and_b32_e32 v9, 0xffff, v9
	v_and_b32_e32 v25, 0xff, v25
	;; [unrolled: 1-line block ×3, first 2 shown]
	v_lshlrev_b16 v29, 8, v37
	v_lshlrev_b32_e32 v28, 16, v28
	v_and_b32_e32 v31, 0xff, v35
	v_lshlrev_b16 v35, 8, v36
	v_cmp_gt_i16_e64 s7, v24, v30
	v_or_b32_e32 v24, v25, v29
	v_or_b32_e32 v10, v10, v28
	;; [unrolled: 1-line block ×4, first 2 shown]
	v_cndmask_b32_e64 v28, v14, v4, s7
	v_cndmask_b32_e64 v4, v4, v14, s7
	s_delay_alu instid0(VALU_DEP_4) | instskip(SKIP_3) | instid1(VALU_DEP_4)
	v_cndmask_b32_e64 v9, v9, v10, s7
	v_and_b32_e32 v10, 0xffff, v24
	v_lshlrev_b32_e32 v25, 16, v25
	v_bfe_i32 v24, v24, 0, 8
	v_lshrrev_b32_e32 v29, 16, v9
	s_delay_alu instid0(VALU_DEP_3) | instskip(SKIP_1) | instid1(VALU_DEP_3)
	v_or_b32_e32 v10, v10, v25
	v_lshrrev_b32_e32 v25, 24, v9
	v_perm_b32 v30, 0, v29, 0xc0c0001
	v_bfe_i32 v29, v29, 0, 8
	s_delay_alu instid0(VALU_DEP_4) | instskip(NEXT) | instid1(VALU_DEP_4)
	v_lshrrev_b32_e32 v31, 8, v10
	v_bfe_i32 v25, v25, 0, 8
	s_delay_alu instid0(VALU_DEP_4) | instskip(NEXT) | instid1(VALU_DEP_3)
	v_lshlrev_b32_e32 v30, 16, v30
	v_bfe_i32 v31, v31, 0, 8
	s_delay_alu instid0(VALU_DEP_3) | instskip(SKIP_1) | instid1(VALU_DEP_4)
	v_cmp_gt_i16_e64 s8, v29, v25
	v_perm_b32 v25, v10, v10, 0x7060405
	v_and_or_b32 v30, 0xffff, v9, v30
	s_delay_alu instid0(VALU_DEP_4) | instskip(NEXT) | instid1(VALU_DEP_4)
	v_cmp_gt_i16_e64 s9, v24, v31
	v_cndmask_b32_e64 v37, v17, v23, s8
	v_cndmask_b32_e64 v17, v23, v17, s8
	s_delay_alu instid0(VALU_DEP_4)
	v_cndmask_b32_e64 v9, v9, v30, s8
	v_cndmask_b32_e64 v24, v22, v16, s8
	;; [unrolled: 1-line block ×5, first 2 shown]
	v_lshrrev_b32_e32 v25, 16, v9
	v_lshrrev_b32_e32 v30, 8, v9
	;; [unrolled: 1-line block ×4, first 2 shown]
	v_perm_b32 v38, v9, v9, 0x7050604
	v_bfe_i32 v25, v25, 0, 8
	v_bfe_i32 v30, v30, 0, 8
	;; [unrolled: 1-line block ×4, first 2 shown]
	v_cndmask_b32_e64 v31, v15, v5, s7
	v_cndmask_b32_e64 v5, v5, v15, s7
	v_cmp_gt_i16_e64 s10, v30, v25
	v_perm_b32 v25, v10, v10, 0x6070504
	v_cmp_gt_i16_e64 s11, v36, v35
	v_cndmask_b32_e64 v29, v26, v20, s9
	v_cndmask_b32_e64 v20, v20, v26, s9
	v_cndmask_b32_e64 v9, v9, v38, s10
	v_cndmask_b32_e64 v30, v37, v31, s10
	v_cndmask_b32_e64 v10, v10, v25, s11
	v_cndmask_b32_e64 v35, v18, v12, s11
	v_cndmask_b32_e64 v12, v12, v18, s11
	v_lshrrev_b32_e32 v25, 16, v9
	s_delay_alu instid0(VALU_DEP_4) | instskip(SKIP_1) | instid1(VALU_DEP_3)
	v_lshlrev_b16 v36, 8, v10
	v_bfe_i32 v38, v10, 0, 8
	v_and_b32_e32 v25, 0xff, v25
	s_delay_alu instid0(VALU_DEP_1) | instskip(SKIP_1) | instid1(VALU_DEP_2)
	v_or_b32_e32 v25, v25, v36
	v_lshrrev_b32_e32 v36, 24, v9
	v_lshlrev_b32_e32 v25, 16, v25
	s_delay_alu instid0(VALU_DEP_2) | instskip(NEXT) | instid1(VALU_DEP_2)
	v_bfe_i32 v36, v36, 0, 8
	v_and_or_b32 v23, 0xffff, v9, v25
	s_delay_alu instid0(VALU_DEP_2) | instskip(SKIP_2) | instid1(VALU_DEP_3)
	v_cmp_gt_i16_e64 s12, v36, v38
	v_cndmask_b32_e64 v36, v28, v16, s10
	v_cndmask_b32_e64 v16, v16, v28, s10
	;; [unrolled: 1-line block ×3, first 2 shown]
	v_perm_b32 v9, v9, v10, 0x3020107
	v_cndmask_b32_e64 v28, v24, v29, s12
	v_cndmask_b32_e64 v24, v29, v24, s12
	;; [unrolled: 1-line block ×3, first 2 shown]
	v_lshrrev_b32_e32 v14, 8, v23
	v_cndmask_b32_e64 v9, v10, v9, s12
	v_perm_b32 v10, 0, v23, 0xc0c0001
	v_bfe_i32 v22, v23, 0, 8
	v_cndmask_b32_e64 v17, v39, v17, s12
	v_bfe_i32 v14, v14, 0, 8
	v_lshrrev_b32_e32 v38, 16, v9
	v_lshrrev_b32_e32 v48, 8, v9
	v_and_or_b32 v10, 0xffff0000, v23, v10
	s_delay_alu instid0(VALU_DEP_4)
	v_cmp_gt_i16_e64 s8, v22, v14
	v_cndmask_b32_e64 v14, v21, v27, s9
	v_bfe_i32 v21, v38, 0, 8
	v_bfe_i32 v22, v48, 0, 8
	v_perm_b32 v38, v9, v9, 0x7050604
	v_cndmask_b32_e64 v10, v23, v10, s8
	v_cndmask_b32_e64 v23, v19, v13, s11
	;; [unrolled: 1-line block ×3, first 2 shown]
	v_cmp_gt_i16_e64 s13, v22, v21
	v_cndmask_b32_e64 v27, v36, v4, s8
	v_lshrrev_b32_e32 v15, 16, v10
	v_lshrrev_b32_e32 v22, 24, v10
	v_cndmask_b32_e64 v4, v4, v36, s8
	v_cndmask_b32_e64 v9, v9, v38, s13
	;; [unrolled: 1-line block ×3, first 2 shown]
	v_perm_b32 v26, 0, v15, 0xc0c0001
	v_bfe_i32 v22, v22, 0, 8
	v_bfe_i32 v15, v15, 0, 8
	v_lshrrev_b32_e32 v38, 8, v9
	v_bfe_i32 v29, v9, 0, 8
	v_lshlrev_b32_e32 v26, 16, v26
	v_cndmask_b32_e64 v14, v23, v14, s13
	v_cmp_gt_i16_e64 s7, v15, v22
	v_bfe_i32 v38, v38, 0, 8
	v_perm_b32 v22, v9, v9, 0x7060405
	v_and_or_b32 v26, 0xffff, v10, v26
	v_cndmask_b32_e64 v15, v20, v35, s13
	v_cndmask_b32_e64 v49, v30, v25, s7
	v_cmp_gt_i16_e64 s9, v29, v38
	v_cndmask_b32_e64 v29, v28, v16, s7
	v_cndmask_b32_e64 v10, v10, v26, s7
	;; [unrolled: 1-line block ×6, first 2 shown]
	v_lshrrev_b32_e32 v18, 16, v10
	v_lshrrev_b32_e32 v22, 8, v10
	v_perm_b32 v50, v10, v10, 0x7050604
	v_lshrrev_b32_e32 v38, 24, v9
	v_lshrrev_b32_e32 v48, 16, v9
	v_bfe_i32 v18, v18, 0, 8
	v_bfe_i32 v22, v22, 0, 8
	v_cndmask_b32_e64 v31, v24, v15, s9
	v_bfe_i32 v38, v38, 0, 8
	v_bfe_i32 v48, v48, 0, 8
	v_cndmask_b32_e64 v37, v26, v5, s8
	v_cmp_gt_i16_e64 s10, v22, v18
	v_cndmask_b32_e64 v18, v35, v20, s13
	v_perm_b32 v20, v9, v9, 0x6070504
	v_cmp_gt_i16_e64 s14, v48, v38
	v_cndmask_b32_e64 v48, v17, v21, s9
	v_cndmask_b32_e64 v10, v10, v50, s10
	;; [unrolled: 1-line block ×6, first 2 shown]
	v_lshrrev_b32_e32 v20, 16, v10
	v_cndmask_b32_e64 v28, v27, v16, s10
	v_cndmask_b32_e64 v16, v16, v27, s10
	v_lshlrev_b16 v38, 8, v9
	v_bfe_i32 v39, v9, 0, 8
	v_and_b32_e32 v20, 0xff, v20
	v_cndmask_b32_e64 v35, v18, v12, s14
	v_cndmask_b32_e64 v12, v12, v18, s14
	;; [unrolled: 1-line block ×3, first 2 shown]
	s_delay_alu instid0(VALU_DEP_4) | instskip(SKIP_1) | instid1(VALU_DEP_2)
	v_or_b32_e32 v20, v20, v38
	v_lshrrev_b32_e32 v38, 24, v10
	v_lshlrev_b32_e32 v20, 16, v20
	s_delay_alu instid0(VALU_DEP_2) | instskip(NEXT) | instid1(VALU_DEP_2)
	v_bfe_i32 v38, v38, 0, 8
	v_and_or_b32 v20, 0xffff, v10, v20
	s_delay_alu instid0(VALU_DEP_2) | instskip(NEXT) | instid1(VALU_DEP_1)
	v_cmp_gt_i16_e64 s12, v38, v39
	v_cndmask_b32_e64 v20, v10, v20, s12
	v_perm_b32 v10, v10, v9, 0x3020107
	v_cndmask_b32_e64 v27, v29, v31, s12
	v_cndmask_b32_e64 v29, v31, v29, s12
	;; [unrolled: 1-line block ×3, first 2 shown]
	v_lshrrev_b32_e32 v19, 8, v20
	v_cndmask_b32_e64 v9, v9, v10, s12
	v_perm_b32 v10, 0, v20, 0xc0c0001
	v_bfe_i32 v23, v20, 0, 8
	v_cndmask_b32_e64 v25, v48, v25, s12
	v_bfe_i32 v19, v19, 0, 8
	v_lshrrev_b32_e32 v36, 16, v9
	v_lshrrev_b32_e32 v38, 8, v9
	v_and_or_b32 v10, 0xffff0000, v20, v10
	s_delay_alu instid0(VALU_DEP_4) | instskip(NEXT) | instid1(VALU_DEP_4)
	v_cmp_gt_i16_e64 s7, v23, v19
	v_bfe_i32 v19, v36, 0, 8
	s_delay_alu instid0(VALU_DEP_4) | instskip(SKIP_1) | instid1(VALU_DEP_4)
	v_bfe_i32 v21, v38, 0, 8
	v_perm_b32 v36, v9, v9, 0x7050604
	v_cndmask_b32_e64 v10, v20, v10, s7
	v_cndmask_b32_e64 v20, v14, v13, s14
	s_delay_alu instid0(VALU_DEP_4)
	v_cmp_gt_i16_e64 s11, v21, v19
	v_cndmask_b32_e64 v13, v13, v14, s14
	v_cndmask_b32_e64 v23, v28, v4, s7
	v_lshrrev_b32_e32 v19, 16, v10
	v_lshrrev_b32_e32 v24, 24, v10
	v_cndmask_b32_e64 v9, v9, v36, s11
	v_cndmask_b32_e64 v21, v17, v20, s11
	;; [unrolled: 1-line block ×3, first 2 shown]
	v_perm_b32 v26, 0, v19, 0xc0c0001
	v_bfe_i32 v24, v24, 0, 8
	v_lshrrev_b32_e32 v36, 8, v9
	v_bfe_i32 v19, v19, 0, 8
	v_bfe_i32 v31, v9, 0, 8
	v_lshlrev_b32_e32 v26, 16, v26
	v_cndmask_b32_e64 v4, v4, v28, s7
	v_bfe_i32 v36, v36, 0, 8
	v_cmp_gt_i16_e64 s8, v19, v24
	v_perm_b32 v24, v9, v9, 0x7060405
	v_and_or_b32 v26, 0xffff, v10, v26
	v_cndmask_b32_e64 v19, v15, v35, s11
	v_cmp_gt_i16_e64 s9, v31, v36
	v_cndmask_b32_e64 v15, v35, v15, s11
	v_cndmask_b32_e64 v31, v27, v16, s8
	;; [unrolled: 1-line block ×7, first 2 shown]
	v_lshrrev_b32_e32 v18, 16, v10
	v_lshrrev_b32_e32 v24, 8, v10
	v_lshrrev_b32_e32 v38, 24, v9
	v_lshrrev_b32_e32 v39, 16, v9
	v_perm_b32 v50, v10, v10, 0x7050604
	v_bfe_i32 v18, v18, 0, 8
	v_bfe_i32 v24, v24, 0, 8
	;; [unrolled: 1-line block ×4, first 2 shown]
	v_cndmask_b32_e64 v37, v26, v5, s7
	v_cndmask_b32_e64 v5, v5, v26, s7
	v_cmp_gt_i16_e64 s10, v24, v18
	v_perm_b32 v18, v9, v9, 0x6070504
	v_cmp_gt_i16_e64 s13, v39, v38
	v_cndmask_b32_e64 v26, v25, v21, s9
	v_cndmask_b32_e64 v49, v22, v30, s8
	;; [unrolled: 1-line block ×7, first 2 shown]
	v_lshrrev_b32_e32 v18, 16, v10
	v_cndmask_b32_e64 v24, v49, v37, s10
	v_lshlrev_b16 v38, 8, v9
	v_bfe_i32 v20, v9, 0, 8
	s_delay_alu instid0(VALU_DEP_4) | instskip(NEXT) | instid1(VALU_DEP_1)
	v_and_b32_e32 v18, 0xff, v18
	v_or_b32_e32 v14, v18, v38
	v_lshrrev_b32_e32 v18, 24, v10
	s_delay_alu instid0(VALU_DEP_2) | instskip(NEXT) | instid1(VALU_DEP_2)
	v_lshlrev_b32_e32 v14, 16, v14
	v_bfe_i32 v18, v18, 0, 8
	s_delay_alu instid0(VALU_DEP_2) | instskip(NEXT) | instid1(VALU_DEP_2)
	v_and_or_b32 v14, 0xffff, v10, v14
	v_cmp_gt_i16_e64 s11, v18, v20
	v_cndmask_b32_e64 v20, v17, v13, s13
	v_cndmask_b32_e64 v13, v13, v17, s13
	;; [unrolled: 1-line block ×5, first 2 shown]
	v_perm_b32 v10, v10, v9, 0x3020107
	v_cndmask_b32_e64 v21, v23, v16, s10
	v_cndmask_b32_e64 v29, v36, v31, s11
	;; [unrolled: 1-line block ×3, first 2 shown]
	v_lshrrev_b32_e32 v15, 8, v14
	v_cndmask_b32_e64 v9, v9, v10, s11
	v_perm_b32 v10, 0, v14, 0xc0c0001
	v_bfe_i32 v17, v14, 0, 8
	v_cndmask_b32_e64 v22, v26, v22, s11
	v_bfe_i32 v15, v15, 0, 8
	v_lshrrev_b32_e32 v27, 16, v9
	v_lshrrev_b32_e32 v28, 8, v9
	v_and_or_b32 v10, 0xffff0000, v14, v10
	s_delay_alu instid0(VALU_DEP_4)
	v_cmp_gt_i16_e64 s7, v17, v15
	v_cndmask_b32_e64 v15, v16, v23, s10
	v_bfe_i32 v16, v27, 0, 8
	v_bfe_i32 v17, v28, 0, 8
	v_perm_b32 v23, v9, v9, 0x7050604
	v_cndmask_b32_e64 v10, v14, v10, s7
	v_cndmask_b32_e64 v14, v37, v49, s10
	;; [unrolled: 1-line block ×3, first 2 shown]
	v_cmp_gt_i16_e64 s8, v17, v16
	v_cndmask_b32_e64 v16, v31, v36, s11
	v_lshrrev_b32_e32 v17, 16, v10
	v_cndmask_b32_e64 v4, v4, v21, s7
	s_delay_alu instid0(VALU_DEP_4) | instskip(SKIP_1) | instid1(VALU_DEP_4)
	v_cndmask_b32_e64 v9, v9, v23, s8
	v_lshrrev_b32_e32 v23, 24, v10
	v_perm_b32 v28, 0, v17, 0xc0c0001
	v_bfe_i32 v17, v17, 0, 8
	v_cndmask_b32_e64 v30, v18, v35, s8
	v_lshrrev_b32_e32 v31, 8, v9
	v_bfe_i32 v23, v23, 0, 8
	v_lshlrev_b32_e32 v28, 16, v28
	v_cndmask_b32_e64 v18, v35, v18, s8
	v_bfe_i32 v35, v9, 0, 8
	v_bfe_i32 v31, v31, 0, 8
	v_cmp_gt_i16_e64 s9, v17, v23
	v_and_or_b32 v28, 0xffff, v10, v28
	v_cndmask_b32_e64 v26, v19, v20, s8
	v_cndmask_b32_e64 v19, v20, v19, s8
	v_perm_b32 v17, v9, v9, 0x7060405
	v_cmp_gt_i16_e64 s8, v35, v31
	v_cndmask_b32_e64 v10, v10, v28, s9
	v_cndmask_b32_e64 v28, v14, v5, s7
	;; [unrolled: 1-line block ×5, first 2 shown]
	v_lshrrev_b32_e32 v14, 16, v10
	v_lshrrev_b32_e32 v17, 8, v10
	v_perm_b32 v23, v10, v10, 0x7050604
	v_cndmask_b32_e64 v38, v22, v26, s8
	v_lshrrev_b32_e32 v20, 24, v9
	v_lshrrev_b32_e32 v21, 16, v9
	v_bfe_i32 v14, v14, 0, 8
	v_bfe_i32 v17, v17, 0, 8
	v_cndmask_b32_e64 v36, v29, v30, s8
	v_bfe_i32 v20, v20, 0, 8
	v_bfe_i32 v21, v21, 0, 8
	v_cndmask_b32_e64 v35, v24, v25, s9
	v_cmp_gt_i16_e64 s7, v17, v14
	v_perm_b32 v14, v9, v9, 0x6070504
	v_cndmask_b32_e64 v24, v25, v24, s9
	v_cmp_gt_i16_e64 s10, v21, v20
	v_cndmask_b32_e64 v21, v26, v22, s8
	v_cndmask_b32_e64 v39, v10, v23, s7
	;; [unrolled: 1-line block ×6, first 2 shown]
	v_lshrrev_b32_e32 v9, 16, v39
	v_lshrrev_b32_e32 v22, 24, v39
	v_cndmask_b32_e64 v13, v13, v19, s10
	v_lshlrev_b16 v15, 8, v14
	v_bfe_i32 v23, v14, 0, 8
	v_and_b32_e32 v16, 0xff, v9
	v_bfe_i32 v22, v22, 0, 8
	v_perm_b32 v19, v39, v14, 0x3020107
	v_cndmask_b32_e64 v9, v18, v12, s10
	v_cndmask_b32_e64 v12, v12, v18, s10
	v_or_b32_e32 v15, v16, v15
	v_cmp_gt_i16_e64 s8, v22, v23
	v_cndmask_b32_e64 v17, v35, v28, s7
	v_cndmask_b32_e64 v16, v26, v27, s7
	s_delay_alu instid0(VALU_DEP_4) | instskip(NEXT) | instid1(VALU_DEP_4)
	v_lshlrev_b32_e32 v18, 16, v15
	v_cndmask_b32_e64 v25, v14, v19, s8
	v_cndmask_b32_e64 v15, v28, v35, s7
	;; [unrolled: 1-line block ×4, first 2 shown]
	v_and_or_b32 v18, 0xffff, v39, v18
	v_lshrrev_b32_e32 v35, 16, v25
	v_lshrrev_b32_e32 v37, 8, v25
	v_cndmask_b32_e64 v27, v38, v24, s8
	v_cndmask_b32_e64 v22, v31, v36, s8
	;; [unrolled: 1-line block ×3, first 2 shown]
	v_bfe_i32 v18, v35, 0, 8
	v_bfe_i32 v19, v37, 0, 8
	v_cndmask_b32_e64 v26, v36, v31, s8
	v_lshrrev_b32_e32 v36, 24, v25
	v_lshrrev_b64 v[28:29], 24, v[24:25]
	v_lshrrev_b32_e32 v39, 16, v24
	v_cmp_gt_i16_e64 s7, v19, v18
	v_dual_mov_b32 v19, v10 :: v_dual_mov_b32 v18, v9
	v_lshrrev_b32_e32 v38, 8, v24
	s_delay_alu instid0(VALU_DEP_3)
	s_and_saveexec_b32 s8, s7
; %bb.74:
	v_lshrrev_b32_e32 v36, 24, v25
	v_lshrrev_b32_e32 v35, 8, v25
	;; [unrolled: 1-line block ×5, first 2 shown]
	v_dual_mov_b32 v18, v20 :: v_dual_mov_b32 v19, v21
	v_dual_mov_b32 v21, v10 :: v_dual_mov_b32 v20, v9
; %bb.75:
	s_or_b32 exec_lo, exec_lo, s8
.LBB410_76:
	s_delay_alu instid0(SALU_CYCLE_1)
	s_or_b32 exec_lo, exec_lo, s15
	v_and_b32_e32 v10, 0xffffff00, v11
	v_or_b32_e32 v29, 8, v34
	v_and_b32_e32 v30, 8, v34
	v_and_b32_e32 v49, 0xf0, v34
	s_mov_b32 s8, exec_lo
	v_sub_nc_u32_e64 v11, 0x800, v10 clamp
	v_lshlrev_b32_e32 v9, 3, v10
	v_or_b32_e32 v52, v10, v34
	s_delay_alu instid0(VALU_DEP_3) | instskip(SKIP_1) | instid1(VALU_DEP_4)
	v_min_u32_e32 v31, v11, v29
	v_min_u32_e32 v50, v11, v30
	v_lshl_or_b32 v29, v34, 3, v9
	ds_store_b8 v52, v24
	ds_store_b64 v29, v[4:5] offset:2048
	ds_store_b8 v52, v38 offset:1
	v_add_nc_u32_e32 v48, 8, v31
	v_sub_nc_u32_e32 v53, v31, v49
	ds_store_b64 v29, v[14:15] offset:2056
	ds_store_b8 v52, v39 offset:2
	ds_store_b64 v29, v[16:17] offset:2064
	ds_store_b8 v52, v28 offset:3
	;; [unrolled: 2-line block ×6, first 2 shown]
	ds_store_b64 v29, v[12:13] offset:2104
	v_min_u32_e32 v48, v11, v48
	; wave barrier
	s_delay_alu instid0(VALU_DEP_1) | instskip(NEXT) | instid1(VALU_DEP_1)
	v_sub_nc_u32_e32 v30, v48, v31
	v_sub_nc_u32_e64 v51, v50, v30 clamp
	v_min_u32_e32 v30, v50, v53
	s_delay_alu instid0(VALU_DEP_1)
	v_cmpx_lt_u32_e64 v51, v30
	s_cbranch_execz .LBB410_80
; %bb.77:
	v_add_nc_u32_e32 v52, v10, v49
	v_add3_u32 v53, v10, v31, v50
	s_mov_b32 s9, 0
	.p2align	6
.LBB410_78:                             ; =>This Inner Loop Header: Depth=1
	v_add_nc_u32_e32 v54, v30, v51
	s_delay_alu instid0(VALU_DEP_1) | instskip(NEXT) | instid1(VALU_DEP_1)
	v_lshrrev_b32_e32 v54, 1, v54
	v_add_nc_u32_e32 v55, v52, v54
	v_xad_u32 v64, v54, -1, v53
	v_add_nc_u32_e32 v65, 1, v54
	ds_load_i8 v55, v55
	ds_load_i8 v64, v64
	s_waitcnt lgkmcnt(0)
	v_cmp_gt_i16_e64 s7, v55, v64
	s_delay_alu instid0(VALU_DEP_1) | instskip(SKIP_1) | instid1(VALU_DEP_1)
	v_cndmask_b32_e64 v30, v30, v54, s7
	v_cndmask_b32_e64 v51, v65, v51, s7
	v_cmp_ge_u32_e64 s7, v51, v30
	s_delay_alu instid0(VALU_DEP_1) | instskip(NEXT) | instid1(SALU_CYCLE_1)
	s_or_b32 s9, s7, s9
	s_and_not1_b32 exec_lo, exec_lo, s9
	s_cbranch_execnz .LBB410_78
; %bb.79:
	s_or_b32 exec_lo, exec_lo, s9
.LBB410_80:
	s_delay_alu instid0(SALU_CYCLE_1) | instskip(SKIP_3) | instid1(VALU_DEP_3)
	s_or_b32 exec_lo, exec_lo, s8
	v_add_nc_u32_e32 v52, v31, v50
	v_add_nc_u32_e32 v50, v51, v49
	;; [unrolled: 1-line block ×3, first 2 shown]
	v_sub_nc_u32_e32 v49, v52, v51
	s_delay_alu instid0(VALU_DEP_3) | instskip(NEXT) | instid1(VALU_DEP_2)
	v_cmp_le_u32_e64 s7, v50, v31
	v_cmp_le_u32_e64 s8, v49, v48
	s_delay_alu instid0(VALU_DEP_1) | instskip(NEXT) | instid1(SALU_CYCLE_1)
	s_or_b32 s7, s7, s8
	s_and_saveexec_b32 s18, s7
	s_cbranch_execz .LBB410_86
; %bb.81:
	v_cmp_lt_u32_e64 s7, v50, v31
                                        ; implicit-def: $vgpr24
	s_delay_alu instid0(VALU_DEP_1)
	s_and_saveexec_b32 s8, s7
	s_cbranch_execz .LBB410_83
; %bb.82:
	v_add_nc_u32_e32 v4, v10, v50
	ds_load_u8 v24, v4
.LBB410_83:
	s_or_b32 exec_lo, exec_lo, s8
	v_cmp_ge_u32_e64 s8, v49, v48
	s_mov_b32 s10, exec_lo
                                        ; implicit-def: $vgpr25
	v_cmpx_lt_u32_e64 v49, v48
	s_cbranch_execz .LBB410_85
; %bb.84:
	v_add_nc_u32_e32 v4, v10, v49
	ds_load_u8 v25, v4
.LBB410_85:
	s_or_b32 exec_lo, exec_lo, s10
	s_waitcnt lgkmcnt(0)
	v_bfe_i32 v4, v25, 0, 8
	v_bfe_i32 v5, v24, 0, 8
	s_delay_alu instid0(VALU_DEP_1) | instskip(NEXT) | instid1(VALU_DEP_1)
	v_cmp_le_i16_e64 s9, v5, v4
	s_and_b32 s7, s7, s9
	s_delay_alu instid0(SALU_CYCLE_1) | instskip(NEXT) | instid1(SALU_CYCLE_1)
	s_or_b32 s7, s8, s7
	v_cndmask_b32_e64 v4, v49, v50, s7
	v_cndmask_b32_e64 v5, v48, v31, s7
	s_delay_alu instid0(VALU_DEP_2) | instskip(NEXT) | instid1(VALU_DEP_2)
	v_add_nc_u32_e32 v12, 1, v4
	v_add_nc_u32_e32 v5, -1, v5
	v_lshl_add_u32 v4, v4, 3, v9
	s_delay_alu instid0(VALU_DEP_2) | instskip(NEXT) | instid1(VALU_DEP_1)
	v_min_u32_e32 v5, v12, v5
	v_add_nc_u32_e32 v5, v10, v5
	ds_load_u8 v5, v5
	s_waitcnt lgkmcnt(0)
	v_cndmask_b32_e64 v28, v5, v25, s7
	v_cndmask_b32_e64 v35, v24, v5, s7
	;; [unrolled: 1-line block ×5, first 2 shown]
	v_bfe_i32 v13, v28, 0, 8
	v_bfe_i32 v14, v35, 0, 8
	v_cmp_lt_u32_e64 s8, v5, v31
	v_cmp_ge_u32_e64 s10, v12, v48
	s_delay_alu instid0(VALU_DEP_3) | instskip(NEXT) | instid1(VALU_DEP_1)
	v_cmp_le_i16_e64 s9, v14, v13
	s_and_b32 s8, s8, s9
	s_delay_alu instid0(VALU_DEP_2) | instid1(SALU_CYCLE_1)
	s_or_b32 s8, s10, s8
	s_delay_alu instid0(SALU_CYCLE_1) | instskip(SKIP_2) | instid1(VALU_DEP_3)
	v_cndmask_b32_e64 v13, v12, v5, s8
	v_cndmask_b32_e64 v14, v48, v31, s8
	;; [unrolled: 1-line block ×3, first 2 shown]
	v_add_nc_u32_e32 v15, 1, v13
	s_delay_alu instid0(VALU_DEP_3) | instskip(SKIP_1) | instid1(VALU_DEP_3)
	v_add_nc_u32_e32 v14, -1, v14
	v_lshl_add_u32 v13, v13, 3, v9
	v_cndmask_b32_e64 v5, v5, v15, s8
	s_delay_alu instid0(VALU_DEP_3) | instskip(SKIP_1) | instid1(VALU_DEP_3)
	v_min_u32_e32 v14, v15, v14
	v_cndmask_b32_e64 v12, v15, v12, s8
	v_cmp_lt_u32_e64 s9, v5, v31
	s_delay_alu instid0(VALU_DEP_3) | instskip(NEXT) | instid1(VALU_DEP_3)
	v_add_nc_u32_e32 v14, v10, v14
	v_cmp_ge_u32_e64 s11, v12, v48
	ds_load_u8 v14, v14
	s_waitcnt lgkmcnt(0)
	v_cndmask_b32_e64 v36, v14, v28, s8
	v_cndmask_b32_e64 v37, v35, v14, s8
	s_delay_alu instid0(VALU_DEP_2) | instskip(NEXT) | instid1(VALU_DEP_2)
	v_bfe_i32 v14, v36, 0, 8
	v_bfe_i32 v16, v37, 0, 8
	s_delay_alu instid0(VALU_DEP_1) | instskip(NEXT) | instid1(VALU_DEP_1)
	v_cmp_le_i16_e64 s10, v16, v14
	s_and_b32 s9, s9, s10
	s_delay_alu instid0(SALU_CYCLE_1) | instskip(NEXT) | instid1(SALU_CYCLE_1)
	s_or_b32 s9, s11, s9
	v_cndmask_b32_e64 v14, v12, v5, s9
	v_cndmask_b32_e64 v15, v48, v31, s9
	v_cndmask_b32_e64 v39, v36, v37, s9
	s_delay_alu instid0(VALU_DEP_3) | instskip(NEXT) | instid1(VALU_DEP_3)
	v_add_nc_u32_e32 v16, 1, v14
	v_add_nc_u32_e32 v15, -1, v15
	s_delay_alu instid0(VALU_DEP_2) | instskip(NEXT) | instid1(VALU_DEP_2)
	v_cndmask_b32_e64 v5, v5, v16, s9
	v_min_u32_e32 v15, v16, v15
	v_cndmask_b32_e64 v12, v16, v12, s9
	s_delay_alu instid0(VALU_DEP_3) | instskip(NEXT) | instid1(VALU_DEP_3)
	v_cmp_lt_u32_e64 s10, v5, v31
	v_add_nc_u32_e32 v15, v10, v15
	s_delay_alu instid0(VALU_DEP_3) | instskip(SKIP_4) | instid1(VALU_DEP_2)
	v_cmp_ge_u32_e64 s12, v12, v48
	ds_load_u8 v15, v15
	s_waitcnt lgkmcnt(0)
	v_cndmask_b32_e64 v49, v15, v36, s9
	v_cndmask_b32_e64 v50, v37, v15, s9
	v_bfe_i32 v15, v49, 0, 8
	s_delay_alu instid0(VALU_DEP_2) | instskip(NEXT) | instid1(VALU_DEP_1)
	v_bfe_i32 v17, v50, 0, 8
	v_cmp_le_i16_e64 s11, v17, v15
	s_delay_alu instid0(VALU_DEP_1) | instskip(NEXT) | instid1(SALU_CYCLE_1)
	s_and_b32 s10, s10, s11
	s_or_b32 s10, s12, s10
	s_delay_alu instid0(SALU_CYCLE_1) | instskip(SKIP_2) | instid1(VALU_DEP_3)
	v_cndmask_b32_e64 v18, v12, v5, s10
	v_cndmask_b32_e64 v15, v48, v31, s10
	;; [unrolled: 1-line block ×3, first 2 shown]
	v_add_nc_u32_e32 v16, 1, v18
	s_delay_alu instid0(VALU_DEP_3) | instskip(NEXT) | instid1(VALU_DEP_2)
	v_add_nc_u32_e32 v15, -1, v15
	v_cndmask_b32_e64 v5, v5, v16, s10
	s_delay_alu instid0(VALU_DEP_2) | instskip(SKIP_1) | instid1(VALU_DEP_3)
	v_min_u32_e32 v15, v16, v15
	v_cndmask_b32_e64 v12, v16, v12, s10
	v_cmp_lt_u32_e64 s11, v5, v31
	s_delay_alu instid0(VALU_DEP_3) | instskip(NEXT) | instid1(VALU_DEP_3)
	v_add_nc_u32_e32 v15, v10, v15
	v_cmp_ge_u32_e64 s13, v12, v48
	ds_load_u8 v15, v15
	s_waitcnt lgkmcnt(0)
	v_cndmask_b32_e64 v51, v15, v49, s10
	v_cndmask_b32_e64 v52, v50, v15, s10
	s_delay_alu instid0(VALU_DEP_2) | instskip(NEXT) | instid1(VALU_DEP_2)
	v_bfe_i32 v15, v51, 0, 8
	v_bfe_i32 v17, v52, 0, 8
	s_delay_alu instid0(VALU_DEP_1) | instskip(NEXT) | instid1(VALU_DEP_1)
	v_cmp_le_i16_e64 s12, v17, v15
	s_and_b32 s11, s11, s12
	s_delay_alu instid0(SALU_CYCLE_1) | instskip(NEXT) | instid1(SALU_CYCLE_1)
	s_or_b32 s11, s13, s11
	v_cndmask_b32_e64 v19, v12, v5, s11
	v_cndmask_b32_e64 v15, v48, v31, s11
	;; [unrolled: 1-line block ×3, first 2 shown]
	s_delay_alu instid0(VALU_DEP_3) | instskip(NEXT) | instid1(VALU_DEP_3)
	v_add_nc_u32_e32 v16, 1, v19
	v_add_nc_u32_e32 v15, -1, v15
	s_delay_alu instid0(VALU_DEP_2) | instskip(NEXT) | instid1(VALU_DEP_2)
	v_cndmask_b32_e64 v5, v5, v16, s11
	v_min_u32_e32 v15, v16, v15
	v_cndmask_b32_e64 v12, v16, v12, s11
	s_delay_alu instid0(VALU_DEP_3) | instskip(NEXT) | instid1(VALU_DEP_3)
	v_cmp_lt_u32_e64 s12, v5, v31
	v_add_nc_u32_e32 v15, v10, v15
	s_delay_alu instid0(VALU_DEP_3) | instskip(SKIP_4) | instid1(VALU_DEP_2)
	v_cmp_ge_u32_e64 s14, v12, v48
	ds_load_u8 v15, v15
	s_waitcnt lgkmcnt(0)
	v_cndmask_b32_e64 v53, v15, v51, s11
	v_cndmask_b32_e64 v54, v52, v15, s11
	v_bfe_i32 v15, v53, 0, 8
	s_delay_alu instid0(VALU_DEP_2) | instskip(NEXT) | instid1(VALU_DEP_1)
	v_bfe_i32 v17, v54, 0, 8
	v_cmp_le_i16_e64 s13, v17, v15
	s_delay_alu instid0(VALU_DEP_1) | instskip(NEXT) | instid1(SALU_CYCLE_1)
	s_and_b32 s12, s12, s13
	s_or_b32 s12, s14, s12
	s_delay_alu instid0(SALU_CYCLE_1) | instskip(SKIP_2) | instid1(VALU_DEP_3)
	v_cndmask_b32_e64 v20, v12, v5, s12
	v_cndmask_b32_e64 v15, v48, v31, s12
	;; [unrolled: 1-line block ×3, first 2 shown]
	v_add_nc_u32_e32 v16, 1, v20
	s_delay_alu instid0(VALU_DEP_3) | instskip(NEXT) | instid1(VALU_DEP_2)
	v_add_nc_u32_e32 v15, -1, v15
	v_cndmask_b32_e64 v5, v5, v16, s12
	s_delay_alu instid0(VALU_DEP_2) | instskip(SKIP_1) | instid1(VALU_DEP_3)
	v_min_u32_e32 v15, v16, v15
	v_cndmask_b32_e64 v12, v16, v12, s12
	v_cmp_lt_u32_e64 s13, v5, v31
	s_delay_alu instid0(VALU_DEP_3) | instskip(NEXT) | instid1(VALU_DEP_3)
	v_add_nc_u32_e32 v15, v10, v15
	v_cmp_ge_u32_e64 s15, v12, v48
	ds_load_u8 v15, v15
	s_waitcnt lgkmcnt(0)
	v_cndmask_b32_e64 v55, v15, v53, s12
	v_cndmask_b32_e64 v64, v54, v15, s12
	s_delay_alu instid0(VALU_DEP_2) | instskip(NEXT) | instid1(VALU_DEP_2)
	v_bfe_i32 v15, v55, 0, 8
	v_bfe_i32 v17, v64, 0, 8
	s_delay_alu instid0(VALU_DEP_1) | instskip(NEXT) | instid1(VALU_DEP_1)
	v_cmp_le_i16_e64 s14, v17, v15
	s_and_b32 s13, s13, s14
	s_delay_alu instid0(SALU_CYCLE_1) | instskip(NEXT) | instid1(SALU_CYCLE_1)
	s_or_b32 s13, s15, s13
	v_cndmask_b32_e64 v21, v12, v5, s13
	v_cndmask_b32_e64 v15, v48, v31, s13
	;; [unrolled: 1-line block ×3, first 2 shown]
	s_delay_alu instid0(VALU_DEP_3) | instskip(NEXT) | instid1(VALU_DEP_3)
	v_add_nc_u32_e32 v16, 1, v21
	v_add_nc_u32_e32 v15, -1, v15
	s_delay_alu instid0(VALU_DEP_2) | instskip(NEXT) | instid1(VALU_DEP_2)
	v_cndmask_b32_e64 v22, v5, v16, s13
	v_min_u32_e32 v15, v16, v15
	v_cndmask_b32_e64 v12, v16, v12, s13
	v_lshl_add_u32 v16, v14, 3, v9
	s_delay_alu instid0(VALU_DEP_4) | instskip(NEXT) | instid1(VALU_DEP_4)
	v_cmp_lt_u32_e64 s14, v22, v31
	v_add_nc_u32_e32 v15, v10, v15
	s_delay_alu instid0(VALU_DEP_4)
	v_cmp_ge_u32_e64 s16, v12, v48
	v_lshl_add_u32 v31, v21, 3, v9
	ds_load_u8 v15, v15
	s_waitcnt lgkmcnt(0)
	v_cndmask_b32_e64 v65, v15, v55, s13
	v_cndmask_b32_e64 v66, v64, v15, s13
	s_delay_alu instid0(VALU_DEP_2) | instskip(NEXT) | instid1(VALU_DEP_2)
	v_bfe_i32 v5, v65, 0, 8
	v_bfe_i32 v15, v66, 0, 8
	s_delay_alu instid0(VALU_DEP_1)
	v_cmp_le_i16_e64 s15, v15, v5
	ds_load_b64 v[4:5], v4 offset:2048
	ds_load_b64 v[14:15], v13 offset:2048
	v_lshl_add_u32 v13, v18, 3, v9
	v_lshl_add_u32 v18, v19, 3, v9
	;; [unrolled: 1-line block ×3, first 2 shown]
	s_and_b32 s14, s14, s15
	ds_load_b64 v[16:17], v16 offset:2048
	s_or_b32 s14, s16, s14
	s_delay_alu instid0(SALU_CYCLE_1) | instskip(SKIP_1) | instid1(VALU_DEP_2)
	v_cndmask_b32_e64 v12, v12, v22, s14
	v_cndmask_b32_e64 v36, v65, v66, s14
	v_lshl_add_u32 v12, v12, 3, v9
	ds_load_b64 v[22:23], v13 offset:2048
	ds_load_b64 v[26:27], v18 offset:2048
	ds_load_b64 v[20:21], v19 offset:2048
	ds_load_b64 v[18:19], v31 offset:2048
	ds_load_b64 v[12:13], v12 offset:2048
.LBB410_86:
	s_or_b32 exec_lo, exec_lo, s18
	v_and_b32_e32 v50, 0xe0, v34
	v_and_b32_e32 v51, 24, v34
	s_mov_b32 s8, exec_lo
	; wave barrier
	s_delay_alu instid0(VALU_DEP_2) | instskip(NEXT) | instid1(VALU_DEP_2)
	v_or_b32_e32 v31, 16, v50
	v_min_u32_e32 v51, v11, v51
	s_delay_alu instid0(VALU_DEP_2)
	v_min_u32_e32 v48, v11, v31
	v_add_nc_u32_e32 v31, v10, v34
	ds_store_b8 v31, v24
	s_waitcnt lgkmcnt(8)
	ds_store_b64 v29, v[4:5] offset:2048
	ds_store_b8 v31, v38 offset:1
	s_waitcnt lgkmcnt(9)
	ds_store_b64 v30, v[14:15] offset:8
	v_add_nc_u32_e32 v49, 16, v48
	v_sub_nc_u32_e32 v53, v48, v50
	ds_store_b8 v31, v39 offset:2
	s_waitcnt lgkmcnt(10)
	ds_store_b64 v30, v[16:17] offset:16
	ds_store_b8 v31, v28 offset:3
	s_waitcnt lgkmcnt(11)
	ds_store_b64 v30, v[22:23] offset:24
	;; [unrolled: 3-line block ×6, first 2 shown]
	v_min_u32_e32 v49, v11, v49
	v_min_u32_e32 v53, v51, v53
	; wave barrier
	s_delay_alu instid0(VALU_DEP_2) | instskip(NEXT) | instid1(VALU_DEP_1)
	v_sub_nc_u32_e32 v52, v49, v48
	v_sub_nc_u32_e64 v52, v51, v52 clamp
	s_delay_alu instid0(VALU_DEP_1)
	v_cmpx_lt_u32_e64 v52, v53
	s_cbranch_execz .LBB410_90
; %bb.87:
	v_add_nc_u32_e32 v54, v10, v50
	v_add3_u32 v55, v10, v48, v51
	s_mov_b32 s9, 0
	.p2align	6
.LBB410_88:                             ; =>This Inner Loop Header: Depth=1
	v_add_nc_u32_e32 v64, v53, v52
	s_delay_alu instid0(VALU_DEP_1) | instskip(NEXT) | instid1(VALU_DEP_1)
	v_lshrrev_b32_e32 v64, 1, v64
	v_add_nc_u32_e32 v65, v54, v64
	v_xad_u32 v66, v64, -1, v55
	v_add_nc_u32_e32 v67, 1, v64
	ds_load_i8 v65, v65
	ds_load_i8 v66, v66
	s_waitcnt lgkmcnt(0)
	v_cmp_gt_i16_e64 s7, v65, v66
	s_delay_alu instid0(VALU_DEP_1) | instskip(SKIP_1) | instid1(VALU_DEP_1)
	v_cndmask_b32_e64 v53, v53, v64, s7
	v_cndmask_b32_e64 v52, v67, v52, s7
	v_cmp_ge_u32_e64 s7, v52, v53
	s_delay_alu instid0(VALU_DEP_1) | instskip(NEXT) | instid1(SALU_CYCLE_1)
	s_or_b32 s9, s7, s9
	s_and_not1_b32 exec_lo, exec_lo, s9
	s_cbranch_execnz .LBB410_88
; %bb.89:
	s_or_b32 exec_lo, exec_lo, s9
.LBB410_90:
	s_delay_alu instid0(SALU_CYCLE_1) | instskip(SKIP_2) | instid1(VALU_DEP_2)
	s_or_b32 exec_lo, exec_lo, s8
	v_add_nc_u32_e32 v53, v48, v51
	v_add_nc_u32_e32 v51, v52, v50
	v_sub_nc_u32_e32 v50, v53, v52
	s_delay_alu instid0(VALU_DEP_2) | instskip(NEXT) | instid1(VALU_DEP_2)
	v_cmp_le_u32_e64 s7, v51, v48
	v_cmp_le_u32_e64 s8, v50, v49
	s_delay_alu instid0(VALU_DEP_1) | instskip(NEXT) | instid1(SALU_CYCLE_1)
	s_or_b32 s7, s7, s8
	s_and_saveexec_b32 s18, s7
	s_cbranch_execz .LBB410_96
; %bb.91:
	v_cmp_lt_u32_e64 s7, v51, v48
                                        ; implicit-def: $vgpr24
	s_delay_alu instid0(VALU_DEP_1)
	s_and_saveexec_b32 s8, s7
	s_cbranch_execz .LBB410_93
; %bb.92:
	v_add_nc_u32_e32 v4, v10, v51
	ds_load_u8 v24, v4
.LBB410_93:
	s_or_b32 exec_lo, exec_lo, s8
	v_cmp_ge_u32_e64 s8, v50, v49
	s_mov_b32 s10, exec_lo
                                        ; implicit-def: $vgpr25
	v_cmpx_lt_u32_e64 v50, v49
	s_cbranch_execz .LBB410_95
; %bb.94:
	v_add_nc_u32_e32 v4, v10, v50
	ds_load_u8 v25, v4
.LBB410_95:
	s_or_b32 exec_lo, exec_lo, s10
	s_waitcnt lgkmcnt(0)
	v_bfe_i32 v4, v25, 0, 8
	v_bfe_i32 v5, v24, 0, 8
	s_delay_alu instid0(VALU_DEP_1) | instskip(NEXT) | instid1(VALU_DEP_1)
	v_cmp_le_i16_e64 s9, v5, v4
	s_and_b32 s7, s7, s9
	s_delay_alu instid0(SALU_CYCLE_1) | instskip(NEXT) | instid1(SALU_CYCLE_1)
	s_or_b32 s7, s8, s7
	v_cndmask_b32_e64 v4, v50, v51, s7
	v_cndmask_b32_e64 v5, v49, v48, s7
	s_delay_alu instid0(VALU_DEP_2) | instskip(NEXT) | instid1(VALU_DEP_2)
	v_add_nc_u32_e32 v12, 1, v4
	v_add_nc_u32_e32 v5, -1, v5
	v_lshl_add_u32 v4, v4, 3, v9
	s_delay_alu instid0(VALU_DEP_2) | instskip(NEXT) | instid1(VALU_DEP_1)
	v_min_u32_e32 v5, v12, v5
	v_add_nc_u32_e32 v5, v10, v5
	ds_load_u8 v5, v5
	s_waitcnt lgkmcnt(0)
	v_cndmask_b32_e64 v28, v5, v25, s7
	v_cndmask_b32_e64 v35, v24, v5, s7
	;; [unrolled: 1-line block ×5, first 2 shown]
	v_bfe_i32 v13, v28, 0, 8
	v_bfe_i32 v14, v35, 0, 8
	v_cmp_lt_u32_e64 s8, v5, v48
	v_cmp_ge_u32_e64 s10, v12, v49
	s_delay_alu instid0(VALU_DEP_3) | instskip(NEXT) | instid1(VALU_DEP_1)
	v_cmp_le_i16_e64 s9, v14, v13
	s_and_b32 s8, s8, s9
	s_delay_alu instid0(VALU_DEP_2) | instid1(SALU_CYCLE_1)
	s_or_b32 s8, s10, s8
	s_delay_alu instid0(SALU_CYCLE_1) | instskip(SKIP_1) | instid1(VALU_DEP_2)
	v_cndmask_b32_e64 v13, v12, v5, s8
	v_cndmask_b32_e64 v14, v49, v48, s8
	v_add_nc_u32_e32 v15, 1, v13
	s_delay_alu instid0(VALU_DEP_2) | instskip(SKIP_1) | instid1(VALU_DEP_3)
	v_add_nc_u32_e32 v14, -1, v14
	v_lshl_add_u32 v13, v13, 3, v9
	v_cndmask_b32_e64 v5, v5, v15, s8
	s_delay_alu instid0(VALU_DEP_3) | instskip(SKIP_1) | instid1(VALU_DEP_3)
	v_min_u32_e32 v14, v15, v14
	v_cndmask_b32_e64 v12, v15, v12, s8
	v_cmp_lt_u32_e64 s9, v5, v48
	s_delay_alu instid0(VALU_DEP_3) | instskip(NEXT) | instid1(VALU_DEP_3)
	v_add_nc_u32_e32 v14, v10, v14
	v_cmp_ge_u32_e64 s11, v12, v49
	ds_load_u8 v14, v14
	s_waitcnt lgkmcnt(0)
	v_cndmask_b32_e64 v36, v14, v28, s8
	v_cndmask_b32_e64 v37, v35, v14, s8
	s_delay_alu instid0(VALU_DEP_2) | instskip(NEXT) | instid1(VALU_DEP_2)
	v_bfe_i32 v14, v36, 0, 8
	v_bfe_i32 v16, v37, 0, 8
	s_delay_alu instid0(VALU_DEP_1) | instskip(NEXT) | instid1(VALU_DEP_1)
	v_cmp_le_i16_e64 s10, v16, v14
	s_and_b32 s9, s9, s10
	s_delay_alu instid0(SALU_CYCLE_1) | instskip(NEXT) | instid1(SALU_CYCLE_1)
	s_or_b32 s9, s11, s9
	v_cndmask_b32_e64 v14, v12, v5, s9
	v_cndmask_b32_e64 v15, v49, v48, s9
	;; [unrolled: 1-line block ×3, first 2 shown]
	s_delay_alu instid0(VALU_DEP_3) | instskip(NEXT) | instid1(VALU_DEP_3)
	v_add_nc_u32_e32 v16, 1, v14
	v_add_nc_u32_e32 v15, -1, v15
	s_delay_alu instid0(VALU_DEP_2) | instskip(NEXT) | instid1(VALU_DEP_2)
	v_cndmask_b32_e64 v5, v5, v16, s9
	v_min_u32_e32 v15, v16, v15
	v_cndmask_b32_e64 v12, v16, v12, s9
	s_delay_alu instid0(VALU_DEP_3) | instskip(NEXT) | instid1(VALU_DEP_3)
	v_cmp_lt_u32_e64 s10, v5, v48
	v_add_nc_u32_e32 v15, v10, v15
	s_delay_alu instid0(VALU_DEP_3) | instskip(SKIP_4) | instid1(VALU_DEP_2)
	v_cmp_ge_u32_e64 s12, v12, v49
	ds_load_u8 v15, v15
	s_waitcnt lgkmcnt(0)
	v_cndmask_b32_e64 v50, v15, v36, s9
	v_cndmask_b32_e64 v51, v37, v15, s9
	v_bfe_i32 v15, v50, 0, 8
	s_delay_alu instid0(VALU_DEP_2) | instskip(NEXT) | instid1(VALU_DEP_1)
	v_bfe_i32 v17, v51, 0, 8
	v_cmp_le_i16_e64 s11, v17, v15
	s_delay_alu instid0(VALU_DEP_1) | instskip(NEXT) | instid1(SALU_CYCLE_1)
	s_and_b32 s10, s10, s11
	s_or_b32 s10, s12, s10
	s_delay_alu instid0(SALU_CYCLE_1) | instskip(SKIP_1) | instid1(VALU_DEP_2)
	v_cndmask_b32_e64 v18, v12, v5, s10
	v_cndmask_b32_e64 v15, v49, v48, s10
	v_add_nc_u32_e32 v16, 1, v18
	s_delay_alu instid0(VALU_DEP_2) | instskip(NEXT) | instid1(VALU_DEP_2)
	v_add_nc_u32_e32 v15, -1, v15
	v_cndmask_b32_e64 v5, v5, v16, s10
	s_delay_alu instid0(VALU_DEP_2) | instskip(SKIP_1) | instid1(VALU_DEP_3)
	v_min_u32_e32 v15, v16, v15
	v_cndmask_b32_e64 v12, v16, v12, s10
	v_cmp_lt_u32_e64 s11, v5, v48
	s_delay_alu instid0(VALU_DEP_3) | instskip(NEXT) | instid1(VALU_DEP_3)
	v_add_nc_u32_e32 v15, v10, v15
	v_cmp_ge_u32_e64 s13, v12, v49
	ds_load_u8 v15, v15
	s_waitcnt lgkmcnt(0)
	v_cndmask_b32_e64 v52, v15, v50, s10
	v_cndmask_b32_e64 v53, v51, v15, s10
	s_delay_alu instid0(VALU_DEP_2) | instskip(NEXT) | instid1(VALU_DEP_2)
	v_bfe_i32 v15, v52, 0, 8
	v_bfe_i32 v17, v53, 0, 8
	s_delay_alu instid0(VALU_DEP_1) | instskip(NEXT) | instid1(VALU_DEP_1)
	v_cmp_le_i16_e64 s12, v17, v15
	s_and_b32 s11, s11, s12
	s_delay_alu instid0(SALU_CYCLE_1) | instskip(NEXT) | instid1(SALU_CYCLE_1)
	s_or_b32 s11, s13, s11
	v_cndmask_b32_e64 v19, v12, v5, s11
	v_cndmask_b32_e64 v15, v49, v48, s11
	;; [unrolled: 1-line block ×3, first 2 shown]
	s_delay_alu instid0(VALU_DEP_3) | instskip(NEXT) | instid1(VALU_DEP_3)
	v_add_nc_u32_e32 v16, 1, v19
	v_add_nc_u32_e32 v15, -1, v15
	s_delay_alu instid0(VALU_DEP_2) | instskip(NEXT) | instid1(VALU_DEP_2)
	v_cndmask_b32_e64 v5, v5, v16, s11
	v_min_u32_e32 v15, v16, v15
	v_cndmask_b32_e64 v12, v16, v12, s11
	s_delay_alu instid0(VALU_DEP_3) | instskip(NEXT) | instid1(VALU_DEP_3)
	v_cmp_lt_u32_e64 s12, v5, v48
	v_add_nc_u32_e32 v15, v10, v15
	s_delay_alu instid0(VALU_DEP_3) | instskip(SKIP_4) | instid1(VALU_DEP_2)
	v_cmp_ge_u32_e64 s14, v12, v49
	ds_load_u8 v15, v15
	s_waitcnt lgkmcnt(0)
	v_cndmask_b32_e64 v54, v15, v52, s11
	v_cndmask_b32_e64 v55, v53, v15, s11
	v_bfe_i32 v15, v54, 0, 8
	s_delay_alu instid0(VALU_DEP_2) | instskip(NEXT) | instid1(VALU_DEP_1)
	v_bfe_i32 v17, v55, 0, 8
	v_cmp_le_i16_e64 s13, v17, v15
	s_delay_alu instid0(VALU_DEP_1) | instskip(NEXT) | instid1(SALU_CYCLE_1)
	s_and_b32 s12, s12, s13
	s_or_b32 s12, s14, s12
	s_delay_alu instid0(SALU_CYCLE_1) | instskip(SKIP_2) | instid1(VALU_DEP_3)
	v_cndmask_b32_e64 v20, v12, v5, s12
	v_cndmask_b32_e64 v15, v49, v48, s12
	;; [unrolled: 1-line block ×3, first 2 shown]
	v_add_nc_u32_e32 v16, 1, v20
	s_delay_alu instid0(VALU_DEP_3) | instskip(NEXT) | instid1(VALU_DEP_2)
	v_add_nc_u32_e32 v15, -1, v15
	v_cndmask_b32_e64 v5, v5, v16, s12
	s_delay_alu instid0(VALU_DEP_2) | instskip(SKIP_1) | instid1(VALU_DEP_3)
	v_min_u32_e32 v15, v16, v15
	v_cndmask_b32_e64 v12, v16, v12, s12
	v_cmp_lt_u32_e64 s13, v5, v48
	s_delay_alu instid0(VALU_DEP_3) | instskip(NEXT) | instid1(VALU_DEP_3)
	v_add_nc_u32_e32 v15, v10, v15
	v_cmp_ge_u32_e64 s15, v12, v49
	ds_load_u8 v15, v15
	s_waitcnt lgkmcnt(0)
	v_cndmask_b32_e64 v64, v15, v54, s12
	v_cndmask_b32_e64 v65, v55, v15, s12
	s_delay_alu instid0(VALU_DEP_2) | instskip(NEXT) | instid1(VALU_DEP_2)
	v_bfe_i32 v15, v64, 0, 8
	v_bfe_i32 v17, v65, 0, 8
	s_delay_alu instid0(VALU_DEP_1) | instskip(NEXT) | instid1(VALU_DEP_1)
	v_cmp_le_i16_e64 s14, v17, v15
	s_and_b32 s13, s13, s14
	s_delay_alu instid0(SALU_CYCLE_1) | instskip(NEXT) | instid1(SALU_CYCLE_1)
	s_or_b32 s13, s15, s13
	v_cndmask_b32_e64 v21, v12, v5, s13
	v_cndmask_b32_e64 v15, v49, v48, s13
	s_delay_alu instid0(VALU_DEP_2) | instskip(NEXT) | instid1(VALU_DEP_2)
	v_add_nc_u32_e32 v16, 1, v21
	v_add_nc_u32_e32 v15, -1, v15
	v_lshl_add_u32 v38, v21, 3, v9
	s_delay_alu instid0(VALU_DEP_3) | instskip(NEXT) | instid1(VALU_DEP_3)
	v_cndmask_b32_e64 v22, v5, v16, s13
	v_min_u32_e32 v15, v16, v15
	v_cndmask_b32_e64 v12, v16, v12, s13
	v_lshl_add_u32 v16, v14, 3, v9
	s_delay_alu instid0(VALU_DEP_4) | instskip(NEXT) | instid1(VALU_DEP_4)
	v_cmp_lt_u32_e64 s14, v22, v48
	v_add_nc_u32_e32 v15, v10, v15
	s_delay_alu instid0(VALU_DEP_4) | instskip(SKIP_4) | instid1(VALU_DEP_2)
	v_cmp_ge_u32_e64 s16, v12, v49
	ds_load_u8 v15, v15
	s_waitcnt lgkmcnt(0)
	v_cndmask_b32_e64 v66, v15, v64, s13
	v_cndmask_b32_e64 v67, v65, v15, s13
	v_bfe_i32 v5, v66, 0, 8
	s_delay_alu instid0(VALU_DEP_2) | instskip(NEXT) | instid1(VALU_DEP_1)
	v_bfe_i32 v15, v67, 0, 8
	v_cmp_le_i16_e64 s15, v15, v5
	ds_load_b64 v[4:5], v4 offset:2048
	ds_load_b64 v[14:15], v13 offset:2048
	v_lshl_add_u32 v13, v18, 3, v9
	v_lshl_add_u32 v18, v19, 3, v9
	;; [unrolled: 1-line block ×3, first 2 shown]
	s_and_b32 s14, s14, s15
	ds_load_b64 v[16:17], v16 offset:2048
	s_or_b32 s14, s16, s14
	s_delay_alu instid0(SALU_CYCLE_1) | instskip(SKIP_1) | instid1(VALU_DEP_2)
	v_cndmask_b32_e64 v12, v12, v22, s14
	v_cndmask_b32_e64 v36, v66, v67, s14
	v_lshl_add_u32 v12, v12, 3, v9
	ds_load_b64 v[22:23], v13 offset:2048
	ds_load_b64 v[26:27], v18 offset:2048
	;; [unrolled: 1-line block ×5, first 2 shown]
	v_cndmask_b32_e64 v38, v28, v35, s8
	v_cndmask_b32_e64 v28, v50, v51, s10
	;; [unrolled: 1-line block ×3, first 2 shown]
.LBB410_96:
	s_or_b32 exec_lo, exec_lo, s18
	v_and_b32_e32 v50, 0xc0, v34
	v_and_b32_e32 v51, 56, v34
	s_mov_b32 s8, exec_lo
	; wave barrier
	s_delay_alu instid0(VALU_DEP_2) | instskip(NEXT) | instid1(VALU_DEP_2)
	v_or_b32_e32 v48, 32, v50
	v_min_u32_e32 v51, v11, v51
	ds_store_b8 v31, v24
	s_waitcnt lgkmcnt(8)
	ds_store_b64 v29, v[4:5] offset:2048
	ds_store_b8 v31, v38 offset:1
	s_waitcnt lgkmcnt(9)
	ds_store_b64 v30, v[14:15] offset:8
	ds_store_b8 v31, v39 offset:2
	;; [unrolled: 3-line block ×3, first 2 shown]
	v_min_u32_e32 v48, v11, v48
	s_waitcnt lgkmcnt(11)
	ds_store_b64 v30, v[22:23] offset:24
	ds_store_b8 v31, v25 offset:4
	s_waitcnt lgkmcnt(12)
	ds_store_b64 v30, v[26:27] offset:32
	ds_store_b8 v31, v37 offset:5
	;; [unrolled: 3-line block ×4, first 2 shown]
	s_waitcnt lgkmcnt(15)
	ds_store_b64 v30, v[12:13] offset:56
	; wave barrier
	v_add_nc_u32_e32 v49, 32, v48
	v_sub_nc_u32_e32 v53, v48, v50
	s_delay_alu instid0(VALU_DEP_2) | instskip(NEXT) | instid1(VALU_DEP_2)
	v_min_u32_e32 v49, v11, v49
	v_min_u32_e32 v53, v51, v53
	s_delay_alu instid0(VALU_DEP_2) | instskip(NEXT) | instid1(VALU_DEP_1)
	v_sub_nc_u32_e32 v52, v49, v48
	v_sub_nc_u32_e64 v52, v51, v52 clamp
	s_delay_alu instid0(VALU_DEP_1)
	v_cmpx_lt_u32_e64 v52, v53
	s_cbranch_execz .LBB410_100
; %bb.97:
	v_add_nc_u32_e32 v54, v10, v50
	v_add3_u32 v55, v10, v48, v51
	s_mov_b32 s9, 0
	.p2align	6
.LBB410_98:                             ; =>This Inner Loop Header: Depth=1
	v_add_nc_u32_e32 v64, v53, v52
	s_delay_alu instid0(VALU_DEP_1) | instskip(NEXT) | instid1(VALU_DEP_1)
	v_lshrrev_b32_e32 v64, 1, v64
	v_add_nc_u32_e32 v65, v54, v64
	v_xad_u32 v66, v64, -1, v55
	v_add_nc_u32_e32 v67, 1, v64
	ds_load_i8 v65, v65
	ds_load_i8 v66, v66
	s_waitcnt lgkmcnt(0)
	v_cmp_gt_i16_e64 s7, v65, v66
	s_delay_alu instid0(VALU_DEP_1) | instskip(SKIP_1) | instid1(VALU_DEP_1)
	v_cndmask_b32_e64 v53, v53, v64, s7
	v_cndmask_b32_e64 v52, v67, v52, s7
	v_cmp_ge_u32_e64 s7, v52, v53
	s_delay_alu instid0(VALU_DEP_1) | instskip(NEXT) | instid1(SALU_CYCLE_1)
	s_or_b32 s9, s7, s9
	s_and_not1_b32 exec_lo, exec_lo, s9
	s_cbranch_execnz .LBB410_98
; %bb.99:
	s_or_b32 exec_lo, exec_lo, s9
.LBB410_100:
	s_delay_alu instid0(SALU_CYCLE_1) | instskip(SKIP_2) | instid1(VALU_DEP_2)
	s_or_b32 exec_lo, exec_lo, s8
	v_add_nc_u32_e32 v53, v48, v51
	v_add_nc_u32_e32 v51, v52, v50
	v_sub_nc_u32_e32 v50, v53, v52
	s_delay_alu instid0(VALU_DEP_2) | instskip(NEXT) | instid1(VALU_DEP_2)
	v_cmp_le_u32_e64 s7, v51, v48
	v_cmp_le_u32_e64 s8, v50, v49
	s_delay_alu instid0(VALU_DEP_1) | instskip(NEXT) | instid1(SALU_CYCLE_1)
	s_or_b32 s7, s7, s8
	s_and_saveexec_b32 s18, s7
	s_cbranch_execz .LBB410_106
; %bb.101:
	v_cmp_lt_u32_e64 s7, v51, v48
                                        ; implicit-def: $vgpr24
	s_delay_alu instid0(VALU_DEP_1)
	s_and_saveexec_b32 s8, s7
	s_cbranch_execz .LBB410_103
; %bb.102:
	v_add_nc_u32_e32 v4, v10, v51
	ds_load_u8 v24, v4
.LBB410_103:
	s_or_b32 exec_lo, exec_lo, s8
	v_cmp_ge_u32_e64 s8, v50, v49
	s_mov_b32 s10, exec_lo
                                        ; implicit-def: $vgpr25
	v_cmpx_lt_u32_e64 v50, v49
	s_cbranch_execz .LBB410_105
; %bb.104:
	v_add_nc_u32_e32 v4, v10, v50
	ds_load_u8 v25, v4
.LBB410_105:
	s_or_b32 exec_lo, exec_lo, s10
	s_waitcnt lgkmcnt(0)
	v_bfe_i32 v4, v25, 0, 8
	v_bfe_i32 v5, v24, 0, 8
	s_delay_alu instid0(VALU_DEP_1) | instskip(NEXT) | instid1(VALU_DEP_1)
	v_cmp_le_i16_e64 s9, v5, v4
	s_and_b32 s7, s7, s9
	s_delay_alu instid0(SALU_CYCLE_1) | instskip(NEXT) | instid1(SALU_CYCLE_1)
	s_or_b32 s7, s8, s7
	v_cndmask_b32_e64 v4, v50, v51, s7
	v_cndmask_b32_e64 v5, v49, v48, s7
	s_delay_alu instid0(VALU_DEP_2) | instskip(NEXT) | instid1(VALU_DEP_2)
	v_add_nc_u32_e32 v12, 1, v4
	v_add_nc_u32_e32 v5, -1, v5
	v_lshl_add_u32 v4, v4, 3, v9
	s_delay_alu instid0(VALU_DEP_2) | instskip(NEXT) | instid1(VALU_DEP_1)
	v_min_u32_e32 v5, v12, v5
	v_add_nc_u32_e32 v5, v10, v5
	ds_load_u8 v5, v5
	s_waitcnt lgkmcnt(0)
	v_cndmask_b32_e64 v28, v5, v25, s7
	v_cndmask_b32_e64 v35, v24, v5, s7
	v_cndmask_b32_e64 v5, v51, v12, s7
	v_cndmask_b32_e64 v12, v12, v50, s7
	v_cndmask_b32_e64 v24, v25, v24, s7
	v_bfe_i32 v13, v28, 0, 8
	v_bfe_i32 v14, v35, 0, 8
	v_cmp_lt_u32_e64 s8, v5, v48
	v_cmp_ge_u32_e64 s10, v12, v49
	s_delay_alu instid0(VALU_DEP_3) | instskip(NEXT) | instid1(VALU_DEP_1)
	v_cmp_le_i16_e64 s9, v14, v13
	s_and_b32 s8, s8, s9
	s_delay_alu instid0(VALU_DEP_2) | instid1(SALU_CYCLE_1)
	s_or_b32 s8, s10, s8
	s_delay_alu instid0(SALU_CYCLE_1) | instskip(SKIP_1) | instid1(VALU_DEP_2)
	v_cndmask_b32_e64 v13, v12, v5, s8
	v_cndmask_b32_e64 v14, v49, v48, s8
	v_add_nc_u32_e32 v15, 1, v13
	s_delay_alu instid0(VALU_DEP_2) | instskip(SKIP_1) | instid1(VALU_DEP_3)
	v_add_nc_u32_e32 v14, -1, v14
	v_lshl_add_u32 v13, v13, 3, v9
	v_cndmask_b32_e64 v5, v5, v15, s8
	s_delay_alu instid0(VALU_DEP_3) | instskip(SKIP_1) | instid1(VALU_DEP_3)
	v_min_u32_e32 v14, v15, v14
	v_cndmask_b32_e64 v12, v15, v12, s8
	v_cmp_lt_u32_e64 s9, v5, v48
	s_delay_alu instid0(VALU_DEP_3) | instskip(NEXT) | instid1(VALU_DEP_3)
	v_add_nc_u32_e32 v14, v10, v14
	v_cmp_ge_u32_e64 s11, v12, v49
	ds_load_u8 v14, v14
	s_waitcnt lgkmcnt(0)
	v_cndmask_b32_e64 v36, v14, v28, s8
	v_cndmask_b32_e64 v37, v35, v14, s8
	s_delay_alu instid0(VALU_DEP_2) | instskip(NEXT) | instid1(VALU_DEP_2)
	v_bfe_i32 v14, v36, 0, 8
	v_bfe_i32 v16, v37, 0, 8
	s_delay_alu instid0(VALU_DEP_1) | instskip(NEXT) | instid1(VALU_DEP_1)
	v_cmp_le_i16_e64 s10, v16, v14
	s_and_b32 s9, s9, s10
	s_delay_alu instid0(SALU_CYCLE_1) | instskip(NEXT) | instid1(SALU_CYCLE_1)
	s_or_b32 s9, s11, s9
	v_cndmask_b32_e64 v14, v12, v5, s9
	v_cndmask_b32_e64 v15, v49, v48, s9
	;; [unrolled: 1-line block ×3, first 2 shown]
	s_delay_alu instid0(VALU_DEP_3) | instskip(NEXT) | instid1(VALU_DEP_3)
	v_add_nc_u32_e32 v16, 1, v14
	v_add_nc_u32_e32 v15, -1, v15
	s_delay_alu instid0(VALU_DEP_2) | instskip(NEXT) | instid1(VALU_DEP_2)
	v_cndmask_b32_e64 v5, v5, v16, s9
	v_min_u32_e32 v15, v16, v15
	v_cndmask_b32_e64 v12, v16, v12, s9
	s_delay_alu instid0(VALU_DEP_3) | instskip(NEXT) | instid1(VALU_DEP_3)
	v_cmp_lt_u32_e64 s10, v5, v48
	v_add_nc_u32_e32 v15, v10, v15
	s_delay_alu instid0(VALU_DEP_3) | instskip(SKIP_4) | instid1(VALU_DEP_2)
	v_cmp_ge_u32_e64 s12, v12, v49
	ds_load_u8 v15, v15
	s_waitcnt lgkmcnt(0)
	v_cndmask_b32_e64 v50, v15, v36, s9
	v_cndmask_b32_e64 v51, v37, v15, s9
	v_bfe_i32 v15, v50, 0, 8
	s_delay_alu instid0(VALU_DEP_2) | instskip(NEXT) | instid1(VALU_DEP_1)
	v_bfe_i32 v17, v51, 0, 8
	v_cmp_le_i16_e64 s11, v17, v15
	s_delay_alu instid0(VALU_DEP_1) | instskip(NEXT) | instid1(SALU_CYCLE_1)
	s_and_b32 s10, s10, s11
	s_or_b32 s10, s12, s10
	s_delay_alu instid0(SALU_CYCLE_1) | instskip(SKIP_1) | instid1(VALU_DEP_2)
	v_cndmask_b32_e64 v18, v12, v5, s10
	v_cndmask_b32_e64 v15, v49, v48, s10
	v_add_nc_u32_e32 v16, 1, v18
	s_delay_alu instid0(VALU_DEP_2) | instskip(NEXT) | instid1(VALU_DEP_2)
	v_add_nc_u32_e32 v15, -1, v15
	v_cndmask_b32_e64 v5, v5, v16, s10
	s_delay_alu instid0(VALU_DEP_2) | instskip(SKIP_1) | instid1(VALU_DEP_3)
	v_min_u32_e32 v15, v16, v15
	v_cndmask_b32_e64 v12, v16, v12, s10
	v_cmp_lt_u32_e64 s11, v5, v48
	s_delay_alu instid0(VALU_DEP_3) | instskip(NEXT) | instid1(VALU_DEP_3)
	v_add_nc_u32_e32 v15, v10, v15
	v_cmp_ge_u32_e64 s13, v12, v49
	ds_load_u8 v15, v15
	s_waitcnt lgkmcnt(0)
	v_cndmask_b32_e64 v52, v15, v50, s10
	v_cndmask_b32_e64 v53, v51, v15, s10
	s_delay_alu instid0(VALU_DEP_2) | instskip(NEXT) | instid1(VALU_DEP_2)
	v_bfe_i32 v15, v52, 0, 8
	v_bfe_i32 v17, v53, 0, 8
	s_delay_alu instid0(VALU_DEP_1) | instskip(NEXT) | instid1(VALU_DEP_1)
	v_cmp_le_i16_e64 s12, v17, v15
	s_and_b32 s11, s11, s12
	s_delay_alu instid0(SALU_CYCLE_1) | instskip(NEXT) | instid1(SALU_CYCLE_1)
	s_or_b32 s11, s13, s11
	v_cndmask_b32_e64 v19, v12, v5, s11
	v_cndmask_b32_e64 v15, v49, v48, s11
	;; [unrolled: 1-line block ×3, first 2 shown]
	s_delay_alu instid0(VALU_DEP_3) | instskip(NEXT) | instid1(VALU_DEP_3)
	v_add_nc_u32_e32 v16, 1, v19
	v_add_nc_u32_e32 v15, -1, v15
	s_delay_alu instid0(VALU_DEP_2) | instskip(NEXT) | instid1(VALU_DEP_2)
	v_cndmask_b32_e64 v5, v5, v16, s11
	v_min_u32_e32 v15, v16, v15
	v_cndmask_b32_e64 v12, v16, v12, s11
	s_delay_alu instid0(VALU_DEP_3) | instskip(NEXT) | instid1(VALU_DEP_3)
	v_cmp_lt_u32_e64 s12, v5, v48
	v_add_nc_u32_e32 v15, v10, v15
	s_delay_alu instid0(VALU_DEP_3) | instskip(SKIP_4) | instid1(VALU_DEP_2)
	v_cmp_ge_u32_e64 s14, v12, v49
	ds_load_u8 v15, v15
	s_waitcnt lgkmcnt(0)
	v_cndmask_b32_e64 v54, v15, v52, s11
	v_cndmask_b32_e64 v55, v53, v15, s11
	v_bfe_i32 v15, v54, 0, 8
	s_delay_alu instid0(VALU_DEP_2) | instskip(NEXT) | instid1(VALU_DEP_1)
	v_bfe_i32 v17, v55, 0, 8
	v_cmp_le_i16_e64 s13, v17, v15
	s_delay_alu instid0(VALU_DEP_1) | instskip(NEXT) | instid1(SALU_CYCLE_1)
	s_and_b32 s12, s12, s13
	s_or_b32 s12, s14, s12
	s_delay_alu instid0(SALU_CYCLE_1) | instskip(SKIP_2) | instid1(VALU_DEP_3)
	v_cndmask_b32_e64 v20, v12, v5, s12
	v_cndmask_b32_e64 v15, v49, v48, s12
	;; [unrolled: 1-line block ×3, first 2 shown]
	v_add_nc_u32_e32 v16, 1, v20
	s_delay_alu instid0(VALU_DEP_3) | instskip(NEXT) | instid1(VALU_DEP_2)
	v_add_nc_u32_e32 v15, -1, v15
	v_cndmask_b32_e64 v5, v5, v16, s12
	s_delay_alu instid0(VALU_DEP_2) | instskip(SKIP_1) | instid1(VALU_DEP_3)
	v_min_u32_e32 v15, v16, v15
	v_cndmask_b32_e64 v12, v16, v12, s12
	v_cmp_lt_u32_e64 s13, v5, v48
	s_delay_alu instid0(VALU_DEP_3) | instskip(NEXT) | instid1(VALU_DEP_3)
	v_add_nc_u32_e32 v15, v10, v15
	v_cmp_ge_u32_e64 s15, v12, v49
	ds_load_u8 v15, v15
	s_waitcnt lgkmcnt(0)
	v_cndmask_b32_e64 v64, v15, v54, s12
	v_cndmask_b32_e64 v65, v55, v15, s12
	s_delay_alu instid0(VALU_DEP_2) | instskip(NEXT) | instid1(VALU_DEP_2)
	v_bfe_i32 v15, v64, 0, 8
	v_bfe_i32 v17, v65, 0, 8
	s_delay_alu instid0(VALU_DEP_1) | instskip(NEXT) | instid1(VALU_DEP_1)
	v_cmp_le_i16_e64 s14, v17, v15
	s_and_b32 s13, s13, s14
	s_delay_alu instid0(SALU_CYCLE_1) | instskip(NEXT) | instid1(SALU_CYCLE_1)
	s_or_b32 s13, s15, s13
	v_cndmask_b32_e64 v21, v12, v5, s13
	v_cndmask_b32_e64 v15, v49, v48, s13
	s_delay_alu instid0(VALU_DEP_2) | instskip(NEXT) | instid1(VALU_DEP_2)
	v_add_nc_u32_e32 v16, 1, v21
	v_add_nc_u32_e32 v15, -1, v15
	v_lshl_add_u32 v38, v21, 3, v9
	s_delay_alu instid0(VALU_DEP_3) | instskip(NEXT) | instid1(VALU_DEP_3)
	v_cndmask_b32_e64 v22, v5, v16, s13
	v_min_u32_e32 v15, v16, v15
	v_cndmask_b32_e64 v12, v16, v12, s13
	v_lshl_add_u32 v16, v14, 3, v9
	s_delay_alu instid0(VALU_DEP_4) | instskip(NEXT) | instid1(VALU_DEP_4)
	v_cmp_lt_u32_e64 s14, v22, v48
	v_add_nc_u32_e32 v15, v10, v15
	s_delay_alu instid0(VALU_DEP_4) | instskip(SKIP_4) | instid1(VALU_DEP_2)
	v_cmp_ge_u32_e64 s16, v12, v49
	ds_load_u8 v15, v15
	s_waitcnt lgkmcnt(0)
	v_cndmask_b32_e64 v66, v15, v64, s13
	v_cndmask_b32_e64 v67, v65, v15, s13
	v_bfe_i32 v5, v66, 0, 8
	s_delay_alu instid0(VALU_DEP_2) | instskip(NEXT) | instid1(VALU_DEP_1)
	v_bfe_i32 v15, v67, 0, 8
	v_cmp_le_i16_e64 s15, v15, v5
	ds_load_b64 v[4:5], v4 offset:2048
	ds_load_b64 v[14:15], v13 offset:2048
	v_lshl_add_u32 v13, v18, 3, v9
	v_lshl_add_u32 v18, v19, 3, v9
	;; [unrolled: 1-line block ×3, first 2 shown]
	s_and_b32 s14, s14, s15
	ds_load_b64 v[16:17], v16 offset:2048
	s_or_b32 s14, s16, s14
	s_delay_alu instid0(SALU_CYCLE_1) | instskip(SKIP_1) | instid1(VALU_DEP_2)
	v_cndmask_b32_e64 v12, v12, v22, s14
	v_cndmask_b32_e64 v36, v66, v67, s14
	v_lshl_add_u32 v12, v12, 3, v9
	ds_load_b64 v[22:23], v13 offset:2048
	ds_load_b64 v[26:27], v18 offset:2048
	;; [unrolled: 1-line block ×5, first 2 shown]
	v_cndmask_b32_e64 v38, v28, v35, s8
	v_cndmask_b32_e64 v28, v50, v51, s10
	;; [unrolled: 1-line block ×3, first 2 shown]
.LBB410_106:
	s_or_b32 exec_lo, exec_lo, s18
	v_and_b32_e32 v48, 0x80, v34
	; wave barrier
	ds_store_b8 v31, v24
	s_waitcnt lgkmcnt(8)
	ds_store_b64 v29, v[4:5] offset:2048
	ds_store_b8 v31, v38 offset:1
	s_waitcnt lgkmcnt(9)
	ds_store_b64 v30, v[14:15] offset:8
	s_mov_b32 s8, exec_lo
	v_or_b32_e32 v34, 64, v48
	ds_store_b8 v31, v39 offset:2
	s_waitcnt lgkmcnt(10)
	ds_store_b64 v30, v[16:17] offset:16
	ds_store_b8 v31, v28 offset:3
	s_waitcnt lgkmcnt(11)
	ds_store_b64 v30, v[22:23] offset:24
	;; [unrolled: 3-line block ×6, first 2 shown]
	v_min_u32_e32 v34, v11, v34
	; wave barrier
	s_delay_alu instid0(VALU_DEP_1) | instskip(SKIP_1) | instid1(VALU_DEP_2)
	v_add_nc_u32_e32 v49, 64, v34
	v_sub_nc_u32_e32 v50, v34, v48
	v_min_u32_e32 v29, v11, v49
	v_min_u32_e32 v11, v11, v32
	s_delay_alu instid0(VALU_DEP_2) | instskip(NEXT) | instid1(VALU_DEP_2)
	v_sub_nc_u32_e32 v49, v29, v34
	v_min_u32_e32 v50, v11, v50
	s_delay_alu instid0(VALU_DEP_2) | instskip(NEXT) | instid1(VALU_DEP_1)
	v_sub_nc_u32_e64 v49, v11, v49 clamp
	v_cmpx_lt_u32_e64 v49, v50
	s_cbranch_execz .LBB410_110
; %bb.107:
	v_add_nc_u32_e32 v30, v10, v48
	v_add3_u32 v31, v10, v34, v11
	s_mov_b32 s9, 0
	.p2align	6
.LBB410_108:                            ; =>This Inner Loop Header: Depth=1
	v_add_nc_u32_e32 v51, v50, v49
	s_delay_alu instid0(VALU_DEP_1) | instskip(NEXT) | instid1(VALU_DEP_1)
	v_lshrrev_b32_e32 v51, 1, v51
	v_add_nc_u32_e32 v52, v30, v51
	v_xad_u32 v53, v51, -1, v31
	v_add_nc_u32_e32 v54, 1, v51
	ds_load_i8 v52, v52
	ds_load_i8 v53, v53
	s_waitcnt lgkmcnt(0)
	v_cmp_gt_i16_e64 s7, v52, v53
	s_delay_alu instid0(VALU_DEP_1) | instskip(SKIP_1) | instid1(VALU_DEP_1)
	v_cndmask_b32_e64 v50, v50, v51, s7
	v_cndmask_b32_e64 v49, v54, v49, s7
	v_cmp_ge_u32_e64 s7, v49, v50
	s_delay_alu instid0(VALU_DEP_1) | instskip(NEXT) | instid1(SALU_CYCLE_1)
	s_or_b32 s9, s7, s9
	s_and_not1_b32 exec_lo, exec_lo, s9
	s_cbranch_execnz .LBB410_108
; %bb.109:
	s_or_b32 exec_lo, exec_lo, s9
.LBB410_110:
	s_delay_alu instid0(SALU_CYCLE_1) | instskip(SKIP_2) | instid1(VALU_DEP_2)
	s_or_b32 exec_lo, exec_lo, s8
	v_add_nc_u32_e32 v11, v34, v11
	v_add_nc_u32_e32 v31, v49, v48
	v_sub_nc_u32_e32 v30, v11, v49
	s_delay_alu instid0(VALU_DEP_2) | instskip(NEXT) | instid1(VALU_DEP_2)
	v_cmp_le_u32_e64 s7, v31, v34
	v_cmp_le_u32_e64 s8, v30, v29
	s_delay_alu instid0(VALU_DEP_1) | instskip(NEXT) | instid1(SALU_CYCLE_1)
	s_or_b32 s7, s7, s8
	s_and_saveexec_b32 s18, s7
	s_cbranch_execz .LBB410_116
; %bb.111:
	v_cmp_lt_u32_e64 s7, v31, v34
                                        ; implicit-def: $vgpr11
	s_delay_alu instid0(VALU_DEP_1)
	s_and_saveexec_b32 s8, s7
	s_cbranch_execz .LBB410_113
; %bb.112:
	v_add_nc_u32_e32 v4, v10, v31
	ds_load_u8 v11, v4
.LBB410_113:
	s_or_b32 exec_lo, exec_lo, s8
	v_cmp_ge_u32_e64 s8, v30, v29
	s_mov_b32 s10, exec_lo
                                        ; implicit-def: $vgpr24
	v_cmpx_lt_u32_e64 v30, v29
	s_cbranch_execz .LBB410_115
; %bb.114:
	v_add_nc_u32_e32 v4, v10, v30
	ds_load_u8 v24, v4
.LBB410_115:
	s_or_b32 exec_lo, exec_lo, s10
	s_waitcnt lgkmcnt(0)
	v_bfe_i32 v4, v24, 0, 8
	v_bfe_i32 v5, v11, 0, 8
	s_delay_alu instid0(VALU_DEP_1) | instskip(NEXT) | instid1(VALU_DEP_1)
	v_cmp_le_i16_e64 s9, v5, v4
	s_and_b32 s7, s7, s9
	s_delay_alu instid0(SALU_CYCLE_1) | instskip(NEXT) | instid1(SALU_CYCLE_1)
	s_or_b32 s7, s8, s7
	v_cndmask_b32_e64 v4, v30, v31, s7
	v_cndmask_b32_e64 v5, v29, v34, s7
	s_delay_alu instid0(VALU_DEP_2) | instskip(NEXT) | instid1(VALU_DEP_2)
	v_add_nc_u32_e32 v12, 1, v4
	v_add_nc_u32_e32 v5, -1, v5
	v_lshl_add_u32 v4, v4, 3, v9
	s_delay_alu instid0(VALU_DEP_2) | instskip(NEXT) | instid1(VALU_DEP_1)
	v_min_u32_e32 v5, v12, v5
	v_add_nc_u32_e32 v5, v10, v5
	ds_load_u8 v5, v5
	s_waitcnt lgkmcnt(0)
	v_cndmask_b32_e64 v25, v5, v24, s7
	v_cndmask_b32_e64 v28, v11, v5, s7
	;; [unrolled: 1-line block ×5, first 2 shown]
	v_bfe_i32 v13, v25, 0, 8
	v_bfe_i32 v14, v28, 0, 8
	v_cmp_lt_u32_e64 s8, v5, v34
	v_cmp_ge_u32_e64 s10, v12, v29
	s_delay_alu instid0(VALU_DEP_3) | instskip(NEXT) | instid1(VALU_DEP_1)
	v_cmp_le_i16_e64 s9, v14, v13
	s_and_b32 s8, s8, s9
	s_delay_alu instid0(VALU_DEP_2) | instid1(SALU_CYCLE_1)
	s_or_b32 s8, s10, s8
	s_delay_alu instid0(SALU_CYCLE_1) | instskip(SKIP_2) | instid1(VALU_DEP_3)
	v_cndmask_b32_e64 v13, v12, v5, s8
	v_cndmask_b32_e64 v14, v29, v34, s8
	;; [unrolled: 1-line block ×3, first 2 shown]
	v_add_nc_u32_e32 v15, 1, v13
	s_delay_alu instid0(VALU_DEP_3) | instskip(SKIP_1) | instid1(VALU_DEP_3)
	v_add_nc_u32_e32 v14, -1, v14
	v_lshl_add_u32 v13, v13, 3, v9
	v_cndmask_b32_e64 v5, v5, v15, s8
	s_delay_alu instid0(VALU_DEP_3) | instskip(SKIP_1) | instid1(VALU_DEP_3)
	v_min_u32_e32 v14, v15, v14
	v_cndmask_b32_e64 v12, v15, v12, s8
	v_cmp_lt_u32_e64 s9, v5, v34
	s_delay_alu instid0(VALU_DEP_3) | instskip(NEXT) | instid1(VALU_DEP_3)
	v_add_nc_u32_e32 v14, v10, v14
	v_cmp_ge_u32_e64 s11, v12, v29
	ds_load_u8 v14, v14
	s_waitcnt lgkmcnt(0)
	v_cndmask_b32_e64 v30, v14, v25, s8
	v_cndmask_b32_e64 v31, v28, v14, s8
	s_delay_alu instid0(VALU_DEP_2) | instskip(NEXT) | instid1(VALU_DEP_2)
	v_bfe_i32 v14, v30, 0, 8
	v_bfe_i32 v16, v31, 0, 8
	s_delay_alu instid0(VALU_DEP_1) | instskip(NEXT) | instid1(VALU_DEP_1)
	v_cmp_le_i16_e64 s10, v16, v14
	s_and_b32 s9, s9, s10
	s_delay_alu instid0(SALU_CYCLE_1) | instskip(NEXT) | instid1(SALU_CYCLE_1)
	s_or_b32 s9, s11, s9
	v_cndmask_b32_e64 v14, v12, v5, s9
	v_cndmask_b32_e64 v15, v29, v34, s9
	v_cndmask_b32_e64 v39, v30, v31, s9
	s_delay_alu instid0(VALU_DEP_3) | instskip(NEXT) | instid1(VALU_DEP_3)
	v_add_nc_u32_e32 v16, 1, v14
	v_add_nc_u32_e32 v15, -1, v15
	s_delay_alu instid0(VALU_DEP_2) | instskip(NEXT) | instid1(VALU_DEP_2)
	v_cndmask_b32_e64 v5, v5, v16, s9
	v_min_u32_e32 v15, v16, v15
	v_cndmask_b32_e64 v12, v16, v12, s9
	s_delay_alu instid0(VALU_DEP_3) | instskip(NEXT) | instid1(VALU_DEP_3)
	v_cmp_lt_u32_e64 s10, v5, v34
	v_add_nc_u32_e32 v15, v10, v15
	s_delay_alu instid0(VALU_DEP_3) | instskip(SKIP_4) | instid1(VALU_DEP_2)
	v_cmp_ge_u32_e64 s12, v12, v29
	ds_load_u8 v15, v15
	s_waitcnt lgkmcnt(0)
	v_cndmask_b32_e64 v35, v15, v30, s9
	v_cndmask_b32_e64 v36, v31, v15, s9
	v_bfe_i32 v15, v35, 0, 8
	s_delay_alu instid0(VALU_DEP_2) | instskip(NEXT) | instid1(VALU_DEP_1)
	v_bfe_i32 v17, v36, 0, 8
	v_cmp_le_i16_e64 s11, v17, v15
	s_delay_alu instid0(VALU_DEP_1) | instskip(NEXT) | instid1(SALU_CYCLE_1)
	s_and_b32 s10, s10, s11
	s_or_b32 s10, s12, s10
	s_delay_alu instid0(SALU_CYCLE_1) | instskip(SKIP_2) | instid1(VALU_DEP_3)
	v_cndmask_b32_e64 v18, v12, v5, s10
	v_cndmask_b32_e64 v15, v29, v34, s10
	;; [unrolled: 1-line block ×3, first 2 shown]
	v_add_nc_u32_e32 v16, 1, v18
	s_delay_alu instid0(VALU_DEP_3) | instskip(NEXT) | instid1(VALU_DEP_2)
	v_add_nc_u32_e32 v15, -1, v15
	v_cndmask_b32_e64 v5, v5, v16, s10
	s_delay_alu instid0(VALU_DEP_2) | instskip(SKIP_1) | instid1(VALU_DEP_3)
	v_min_u32_e32 v15, v16, v15
	v_cndmask_b32_e64 v12, v16, v12, s10
	v_cmp_lt_u32_e64 s11, v5, v34
	s_delay_alu instid0(VALU_DEP_3) | instskip(NEXT) | instid1(VALU_DEP_3)
	v_add_nc_u32_e32 v15, v10, v15
	v_cmp_ge_u32_e64 s13, v12, v29
	ds_load_u8 v15, v15
	s_waitcnt lgkmcnt(0)
	v_cndmask_b32_e64 v37, v15, v35, s10
	v_cndmask_b32_e64 v48, v36, v15, s10
	s_delay_alu instid0(VALU_DEP_2) | instskip(NEXT) | instid1(VALU_DEP_2)
	v_bfe_i32 v15, v37, 0, 8
	v_bfe_i32 v17, v48, 0, 8
	s_delay_alu instid0(VALU_DEP_1) | instskip(NEXT) | instid1(VALU_DEP_1)
	v_cmp_le_i16_e64 s12, v17, v15
	s_and_b32 s11, s11, s12
	s_delay_alu instid0(SALU_CYCLE_1) | instskip(NEXT) | instid1(SALU_CYCLE_1)
	s_or_b32 s11, s13, s11
	v_cndmask_b32_e64 v19, v12, v5, s11
	v_cndmask_b32_e64 v15, v29, v34, s11
	v_cndmask_b32_e64 v25, v37, v48, s11
	s_delay_alu instid0(VALU_DEP_3) | instskip(NEXT) | instid1(VALU_DEP_3)
	v_add_nc_u32_e32 v16, 1, v19
	v_add_nc_u32_e32 v15, -1, v15
	s_delay_alu instid0(VALU_DEP_2) | instskip(NEXT) | instid1(VALU_DEP_2)
	v_cndmask_b32_e64 v5, v5, v16, s11
	v_min_u32_e32 v15, v16, v15
	v_cndmask_b32_e64 v12, v16, v12, s11
	s_delay_alu instid0(VALU_DEP_3) | instskip(NEXT) | instid1(VALU_DEP_3)
	v_cmp_lt_u32_e64 s12, v5, v34
	v_add_nc_u32_e32 v15, v10, v15
	s_delay_alu instid0(VALU_DEP_3) | instskip(SKIP_4) | instid1(VALU_DEP_2)
	v_cmp_ge_u32_e64 s14, v12, v29
	ds_load_u8 v15, v15
	s_waitcnt lgkmcnt(0)
	v_cndmask_b32_e64 v49, v15, v37, s11
	v_cndmask_b32_e64 v50, v48, v15, s11
	v_bfe_i32 v15, v49, 0, 8
	s_delay_alu instid0(VALU_DEP_2) | instskip(NEXT) | instid1(VALU_DEP_1)
	v_bfe_i32 v17, v50, 0, 8
	v_cmp_le_i16_e64 s13, v17, v15
	s_delay_alu instid0(VALU_DEP_1) | instskip(NEXT) | instid1(SALU_CYCLE_1)
	s_and_b32 s12, s12, s13
	s_or_b32 s12, s14, s12
	s_delay_alu instid0(SALU_CYCLE_1) | instskip(SKIP_2) | instid1(VALU_DEP_3)
	v_cndmask_b32_e64 v20, v12, v5, s12
	v_cndmask_b32_e64 v15, v29, v34, s12
	;; [unrolled: 1-line block ×3, first 2 shown]
	v_add_nc_u32_e32 v16, 1, v20
	s_delay_alu instid0(VALU_DEP_3) | instskip(NEXT) | instid1(VALU_DEP_2)
	v_add_nc_u32_e32 v15, -1, v15
	v_cndmask_b32_e64 v5, v5, v16, s12
	s_delay_alu instid0(VALU_DEP_2) | instskip(SKIP_1) | instid1(VALU_DEP_3)
	v_min_u32_e32 v15, v16, v15
	v_cndmask_b32_e64 v12, v16, v12, s12
	v_cmp_lt_u32_e64 s13, v5, v34
	s_delay_alu instid0(VALU_DEP_3) | instskip(NEXT) | instid1(VALU_DEP_3)
	v_add_nc_u32_e32 v15, v10, v15
	v_cmp_ge_u32_e64 s15, v12, v29
	ds_load_u8 v15, v15
	s_waitcnt lgkmcnt(0)
	v_cndmask_b32_e64 v51, v15, v49, s12
	v_cndmask_b32_e64 v52, v50, v15, s12
	s_delay_alu instid0(VALU_DEP_2) | instskip(NEXT) | instid1(VALU_DEP_2)
	v_bfe_i32 v15, v51, 0, 8
	v_bfe_i32 v17, v52, 0, 8
	s_delay_alu instid0(VALU_DEP_1) | instskip(NEXT) | instid1(VALU_DEP_1)
	v_cmp_le_i16_e64 s14, v17, v15
	s_and_b32 s13, s13, s14
	s_delay_alu instid0(SALU_CYCLE_1) | instskip(NEXT) | instid1(SALU_CYCLE_1)
	s_or_b32 s13, s15, s13
	v_cndmask_b32_e64 v21, v12, v5, s13
	v_cndmask_b32_e64 v15, v29, v34, s13
	;; [unrolled: 1-line block ×3, first 2 shown]
	s_delay_alu instid0(VALU_DEP_3) | instskip(NEXT) | instid1(VALU_DEP_3)
	v_add_nc_u32_e32 v16, 1, v21
	v_add_nc_u32_e32 v15, -1, v15
	s_delay_alu instid0(VALU_DEP_2) | instskip(NEXT) | instid1(VALU_DEP_2)
	v_cndmask_b32_e64 v22, v5, v16, s13
	v_min_u32_e32 v15, v16, v15
	v_cndmask_b32_e64 v12, v16, v12, s13
	v_lshl_add_u32 v16, v14, 3, v9
	s_delay_alu instid0(VALU_DEP_4) | instskip(NEXT) | instid1(VALU_DEP_4)
	v_cmp_lt_u32_e64 s14, v22, v34
	v_add_nc_u32_e32 v10, v10, v15
	s_delay_alu instid0(VALU_DEP_4)
	v_cmp_ge_u32_e64 s16, v12, v29
	v_lshl_add_u32 v29, v21, 3, v9
	ds_load_u8 v10, v10
	s_waitcnt lgkmcnt(0)
	v_cndmask_b32_e64 v53, v10, v51, s13
	v_cndmask_b32_e64 v10, v52, v10, s13
	s_delay_alu instid0(VALU_DEP_2) | instskip(NEXT) | instid1(VALU_DEP_2)
	v_bfe_i32 v5, v53, 0, 8
	v_bfe_i32 v15, v10, 0, 8
	s_delay_alu instid0(VALU_DEP_1)
	v_cmp_le_i16_e64 s15, v15, v5
	ds_load_b64 v[4:5], v4 offset:2048
	ds_load_b64 v[14:15], v13 offset:2048
	v_lshl_add_u32 v13, v18, 3, v9
	v_lshl_add_u32 v18, v19, 3, v9
	;; [unrolled: 1-line block ×3, first 2 shown]
	s_and_b32 s14, s14, s15
	ds_load_b64 v[16:17], v16 offset:2048
	s_or_b32 s14, s16, s14
	s_delay_alu instid0(SALU_CYCLE_1) | instskip(SKIP_1) | instid1(VALU_DEP_2)
	v_cndmask_b32_e64 v12, v12, v22, s14
	v_cndmask_b32_e64 v36, v53, v10, s14
	v_lshl_add_u32 v9, v12, 3, v9
	ds_load_b64 v[22:23], v13 offset:2048
	ds_load_b64 v[26:27], v18 offset:2048
	;; [unrolled: 1-line block ×5, first 2 shown]
.LBB410_116:
	s_or_b32 exec_lo, exec_lo, s18
	; wave barrier
	s_waitcnt lgkmcnt(0)
	s_waitcnt_vscnt null, 0x0
	s_barrier
.LBB410_117:
	s_or_b32 exec_lo, exec_lo, s17
	v_add_co_u32 v2, s7, v2, v8
	s_delay_alu instid0(VALU_DEP_1) | instskip(SKIP_4) | instid1(VALU_DEP_1)
	v_add_co_ci_u32_e64 v3, s7, 0, v3, s7
	s_waitcnt vmcnt(0) lgkmcnt(0)
	s_waitcnt_vscnt null, 0x0
	buffer_gl0_inv
	v_add_co_u32 v2, s7, v2, v32
	v_add_co_ci_u32_e64 v3, s7, 0, v3, s7
	; wave barrier
	s_and_saveexec_b32 s7, vcc_lo
	s_cbranch_execnz .LBB410_142
; %bb.118:
	s_or_b32 exec_lo, exec_lo, s7
	s_and_saveexec_b32 s7, s0
	s_cbranch_execnz .LBB410_143
.LBB410_119:
	s_or_b32 exec_lo, exec_lo, s7
	s_and_saveexec_b32 s7, s1
	s_cbranch_execnz .LBB410_144
.LBB410_120:
	s_or_b32 exec_lo, exec_lo, s7
	s_and_saveexec_b32 s7, s2
	s_cbranch_execnz .LBB410_145
.LBB410_121:
	s_or_b32 exec_lo, exec_lo, s7
	s_and_saveexec_b32 s7, s3
	s_cbranch_execnz .LBB410_146
.LBB410_122:
	s_or_b32 exec_lo, exec_lo, s7
	s_and_saveexec_b32 s7, s4
	s_cbranch_execnz .LBB410_147
.LBB410_123:
	s_or_b32 exec_lo, exec_lo, s7
	s_and_saveexec_b32 s7, s5
	s_cbranch_execnz .LBB410_148
.LBB410_124:
	s_or_b32 exec_lo, exec_lo, s7
	s_and_saveexec_b32 s7, s6
	s_cbranch_execz .LBB410_126
.LBB410_125:
	flat_store_b8 v[2:3], v36 offset:7
.LBB410_126:
	s_or_b32 exec_lo, exec_lo, s7
	v_add_co_u32 v0, s7, v6, v0
	s_delay_alu instid0(VALU_DEP_1) | instskip(NEXT) | instid1(VALU_DEP_2)
	v_add_co_ci_u32_e64 v1, s7, v7, v1, s7
	v_add_co_u32 v0, s7, v0, v33
	s_delay_alu instid0(VALU_DEP_1)
	v_add_co_ci_u32_e64 v1, s7, 0, v1, s7
	; wave barrier
	s_and_saveexec_b32 s7, vcc_lo
	s_cbranch_execnz .LBB410_149
; %bb.127:
	s_or_b32 exec_lo, exec_lo, s7
	s_and_saveexec_b32 s7, s0
	s_cbranch_execnz .LBB410_150
.LBB410_128:
	s_or_b32 exec_lo, exec_lo, s7
	s_and_saveexec_b32 s0, s1
	s_cbranch_execnz .LBB410_151
.LBB410_129:
	s_or_b32 exec_lo, exec_lo, s0
	s_and_saveexec_b32 s0, s2
	s_cbranch_execnz .LBB410_152
.LBB410_130:
	s_or_b32 exec_lo, exec_lo, s0
	s_and_saveexec_b32 s0, s3
	s_cbranch_execnz .LBB410_153
.LBB410_131:
	s_or_b32 exec_lo, exec_lo, s0
	s_and_saveexec_b32 s0, s4
	s_cbranch_execnz .LBB410_154
.LBB410_132:
	s_or_b32 exec_lo, exec_lo, s0
	s_and_saveexec_b32 s0, s5
	s_cbranch_execnz .LBB410_155
.LBB410_133:
	s_or_b32 exec_lo, exec_lo, s0
	s_and_saveexec_b32 s0, s6
	s_cbranch_execnz .LBB410_156
.LBB410_134:
	s_or_b32 exec_lo, exec_lo, s0
	s_waitcnt lgkmcnt(0)
	s_setpc_b64 s[30:31]
.LBB410_135:
	flat_load_b64 v[4:5], v[29:30]
	s_or_b32 exec_lo, exec_lo, s7
                                        ; implicit-def: $vgpr14_vgpr15
	s_and_saveexec_b32 s7, s0
	s_cbranch_execz .LBB410_18
.LBB410_136:
	flat_load_b64 v[14:15], v[29:30] offset:8
	s_or_b32 exec_lo, exec_lo, s7
                                        ; implicit-def: $vgpr16_vgpr17
	s_and_saveexec_b32 s7, s1
	s_cbranch_execz .LBB410_19
.LBB410_137:
	flat_load_b64 v[16:17], v[29:30] offset:16
	s_or_b32 exec_lo, exec_lo, s7
                                        ; implicit-def: $vgpr22_vgpr23
	s_and_saveexec_b32 s7, s2
	s_cbranch_execz .LBB410_20
.LBB410_138:
	flat_load_b64 v[22:23], v[29:30] offset:24
	s_or_b32 exec_lo, exec_lo, s7
                                        ; implicit-def: $vgpr26_vgpr27
	s_and_saveexec_b32 s7, s3
	s_cbranch_execz .LBB410_21
.LBB410_139:
	flat_load_b64 v[26:27], v[29:30] offset:32
	s_or_b32 exec_lo, exec_lo, s7
                                        ; implicit-def: $vgpr20_vgpr21
	s_and_saveexec_b32 s7, s4
	s_cbranch_execz .LBB410_22
.LBB410_140:
	flat_load_b64 v[20:21], v[29:30] offset:40
	s_or_b32 exec_lo, exec_lo, s7
                                        ; implicit-def: $vgpr18_vgpr19
	s_and_saveexec_b32 s7, s5
	s_cbranch_execz .LBB410_23
.LBB410_141:
	flat_load_b64 v[18:19], v[29:30] offset:48
	s_or_b32 exec_lo, exec_lo, s7
                                        ; implicit-def: $vgpr12_vgpr13
	s_and_saveexec_b32 s7, s6
	s_cbranch_execnz .LBB410_24
	s_branch .LBB410_25
.LBB410_142:
	flat_store_b8 v[2:3], v24
	s_or_b32 exec_lo, exec_lo, s7
	s_and_saveexec_b32 s7, s0
	s_cbranch_execz .LBB410_119
.LBB410_143:
	flat_store_b8 v[2:3], v38 offset:1
	s_or_b32 exec_lo, exec_lo, s7
	s_and_saveexec_b32 s7, s1
	s_cbranch_execz .LBB410_120
.LBB410_144:
	flat_store_b8 v[2:3], v39 offset:2
	s_or_b32 exec_lo, exec_lo, s7
	s_and_saveexec_b32 s7, s2
	s_cbranch_execz .LBB410_121
.LBB410_145:
	flat_store_b8 v[2:3], v28 offset:3
	s_or_b32 exec_lo, exec_lo, s7
	s_and_saveexec_b32 s7, s3
	s_cbranch_execz .LBB410_122
.LBB410_146:
	flat_store_b8 v[2:3], v25 offset:4
	s_or_b32 exec_lo, exec_lo, s7
	s_and_saveexec_b32 s7, s4
	s_cbranch_execz .LBB410_123
.LBB410_147:
	flat_store_b8 v[2:3], v37 offset:5
	s_or_b32 exec_lo, exec_lo, s7
	s_and_saveexec_b32 s7, s5
	s_cbranch_execz .LBB410_124
.LBB410_148:
	flat_store_b8 v[2:3], v35 offset:6
	s_or_b32 exec_lo, exec_lo, s7
	s_and_saveexec_b32 s7, s6
	s_cbranch_execnz .LBB410_125
	s_branch .LBB410_126
.LBB410_149:
	flat_store_b64 v[0:1], v[4:5]
	s_or_b32 exec_lo, exec_lo, s7
	s_and_saveexec_b32 s7, s0
	s_cbranch_execz .LBB410_128
.LBB410_150:
	flat_store_b64 v[0:1], v[14:15] offset:8
	s_or_b32 exec_lo, exec_lo, s7
	s_and_saveexec_b32 s0, s1
	s_cbranch_execz .LBB410_129
.LBB410_151:
	flat_store_b64 v[0:1], v[16:17] offset:16
	s_or_b32 exec_lo, exec_lo, s0
	s_and_saveexec_b32 s0, s2
	s_cbranch_execz .LBB410_130
.LBB410_152:
	flat_store_b64 v[0:1], v[22:23] offset:24
	s_or_b32 exec_lo, exec_lo, s0
	s_and_saveexec_b32 s0, s3
	s_cbranch_execz .LBB410_131
.LBB410_153:
	flat_store_b64 v[0:1], v[26:27] offset:32
	s_or_b32 exec_lo, exec_lo, s0
	s_and_saveexec_b32 s0, s4
	s_cbranch_execz .LBB410_132
.LBB410_154:
	flat_store_b64 v[0:1], v[20:21] offset:40
	s_or_b32 exec_lo, exec_lo, s0
	s_and_saveexec_b32 s0, s5
	s_cbranch_execz .LBB410_133
.LBB410_155:
	flat_store_b64 v[0:1], v[18:19] offset:48
	s_or_b32 exec_lo, exec_lo, s0
	s_and_saveexec_b32 s0, s6
	s_cbranch_execz .LBB410_134
.LBB410_156:
	flat_store_b64 v[0:1], v[12:13] offset:56
	s_or_b32 exec_lo, exec_lo, s0
	s_waitcnt lgkmcnt(0)
	s_setpc_b64 s[30:31]
.Lfunc_end410:
	.size	_ZN7rocprim17ROCPRIM_400000_NS6detail26segmented_warp_sort_helperINS1_20WarpSortHelperConfigILj16ELj8ELj256EEEalLi256ELb0EvE4sortIPKaPaPKlPlEEvT_T0_T1_T2_jjjjRNS5_12storage_typeE, .Lfunc_end410-_ZN7rocprim17ROCPRIM_400000_NS6detail26segmented_warp_sort_helperINS1_20WarpSortHelperConfigILj16ELj8ELj256EEEalLi256ELb0EvE4sortIPKaPaPKlPlEEvT_T0_T1_T2_jjjjRNS5_12storage_typeE
                                        ; -- End function
	.section	.AMDGPU.csdata,"",@progbits
; Function info:
; codeLenInByte = 22512
; NumSgprs: 34
; NumVgprs: 69
; ScratchSize: 0
; MemoryBound: 0
	.section	.text._ZN7rocprim17ROCPRIM_400000_NS6detail17trampoline_kernelINS0_14default_configENS1_36segmented_radix_sort_config_selectorIalEEZNS1_25segmented_radix_sort_implIS3_Lb0EPKaPaPKlPlN2at6native12_GLOBAL__N_18offset_tEEE10hipError_tPvRmT1_PNSt15iterator_traitsISK_E10value_typeET2_T3_PNSL_ISQ_E10value_typeET4_jRbjT5_SW_jjP12ihipStream_tbEUlT_E0_NS1_11comp_targetILNS1_3genE9ELNS1_11target_archE1100ELNS1_3gpuE3ELNS1_3repE0EEENS1_60segmented_radix_sort_warp_sort_medium_config_static_selectorELNS0_4arch9wavefront6targetE0EEEvSK_,"axG",@progbits,_ZN7rocprim17ROCPRIM_400000_NS6detail17trampoline_kernelINS0_14default_configENS1_36segmented_radix_sort_config_selectorIalEEZNS1_25segmented_radix_sort_implIS3_Lb0EPKaPaPKlPlN2at6native12_GLOBAL__N_18offset_tEEE10hipError_tPvRmT1_PNSt15iterator_traitsISK_E10value_typeET2_T3_PNSL_ISQ_E10value_typeET4_jRbjT5_SW_jjP12ihipStream_tbEUlT_E0_NS1_11comp_targetILNS1_3genE9ELNS1_11target_archE1100ELNS1_3gpuE3ELNS1_3repE0EEENS1_60segmented_radix_sort_warp_sort_medium_config_static_selectorELNS0_4arch9wavefront6targetE0EEEvSK_,comdat
	.globl	_ZN7rocprim17ROCPRIM_400000_NS6detail17trampoline_kernelINS0_14default_configENS1_36segmented_radix_sort_config_selectorIalEEZNS1_25segmented_radix_sort_implIS3_Lb0EPKaPaPKlPlN2at6native12_GLOBAL__N_18offset_tEEE10hipError_tPvRmT1_PNSt15iterator_traitsISK_E10value_typeET2_T3_PNSL_ISQ_E10value_typeET4_jRbjT5_SW_jjP12ihipStream_tbEUlT_E0_NS1_11comp_targetILNS1_3genE9ELNS1_11target_archE1100ELNS1_3gpuE3ELNS1_3repE0EEENS1_60segmented_radix_sort_warp_sort_medium_config_static_selectorELNS0_4arch9wavefront6targetE0EEEvSK_ ; -- Begin function _ZN7rocprim17ROCPRIM_400000_NS6detail17trampoline_kernelINS0_14default_configENS1_36segmented_radix_sort_config_selectorIalEEZNS1_25segmented_radix_sort_implIS3_Lb0EPKaPaPKlPlN2at6native12_GLOBAL__N_18offset_tEEE10hipError_tPvRmT1_PNSt15iterator_traitsISK_E10value_typeET2_T3_PNSL_ISQ_E10value_typeET4_jRbjT5_SW_jjP12ihipStream_tbEUlT_E0_NS1_11comp_targetILNS1_3genE9ELNS1_11target_archE1100ELNS1_3gpuE3ELNS1_3repE0EEENS1_60segmented_radix_sort_warp_sort_medium_config_static_selectorELNS0_4arch9wavefront6targetE0EEEvSK_
	.p2align	8
	.type	_ZN7rocprim17ROCPRIM_400000_NS6detail17trampoline_kernelINS0_14default_configENS1_36segmented_radix_sort_config_selectorIalEEZNS1_25segmented_radix_sort_implIS3_Lb0EPKaPaPKlPlN2at6native12_GLOBAL__N_18offset_tEEE10hipError_tPvRmT1_PNSt15iterator_traitsISK_E10value_typeET2_T3_PNSL_ISQ_E10value_typeET4_jRbjT5_SW_jjP12ihipStream_tbEUlT_E0_NS1_11comp_targetILNS1_3genE9ELNS1_11target_archE1100ELNS1_3gpuE3ELNS1_3repE0EEENS1_60segmented_radix_sort_warp_sort_medium_config_static_selectorELNS0_4arch9wavefront6targetE0EEEvSK_,@function
_ZN7rocprim17ROCPRIM_400000_NS6detail17trampoline_kernelINS0_14default_configENS1_36segmented_radix_sort_config_selectorIalEEZNS1_25segmented_radix_sort_implIS3_Lb0EPKaPaPKlPlN2at6native12_GLOBAL__N_18offset_tEEE10hipError_tPvRmT1_PNSt15iterator_traitsISK_E10value_typeET2_T3_PNSL_ISQ_E10value_typeET4_jRbjT5_SW_jjP12ihipStream_tbEUlT_E0_NS1_11comp_targetILNS1_3genE9ELNS1_11target_archE1100ELNS1_3gpuE3ELNS1_3repE0EEENS1_60segmented_radix_sort_warp_sort_medium_config_static_selectorELNS0_4arch9wavefront6targetE0EEEvSK_: ; @_ZN7rocprim17ROCPRIM_400000_NS6detail17trampoline_kernelINS0_14default_configENS1_36segmented_radix_sort_config_selectorIalEEZNS1_25segmented_radix_sort_implIS3_Lb0EPKaPaPKlPlN2at6native12_GLOBAL__N_18offset_tEEE10hipError_tPvRmT1_PNSt15iterator_traitsISK_E10value_typeET2_T3_PNSL_ISQ_E10value_typeET4_jRbjT5_SW_jjP12ihipStream_tbEUlT_E0_NS1_11comp_targetILNS1_3genE9ELNS1_11target_archE1100ELNS1_3gpuE3ELNS1_3repE0EEENS1_60segmented_radix_sort_warp_sort_medium_config_static_selectorELNS0_4arch9wavefront6targetE0EEEvSK_
; %bb.0:
	s_load_b32 s2, s[0:1], 0x64
	v_bfe_u32 v1, v0, 10, 10
	v_bfe_u32 v2, v0, 20, 10
	s_mov_b32 s32, 0
	s_waitcnt lgkmcnt(0)
	s_lshr_b32 s3, s2, 16
	s_and_b32 s2, s2, 0xffff
	v_mad_u32_u24 v4, v2, s3, v1
	v_and_b32_e32 v1, 0x3ff, v0
	s_load_b32 s3, s[0:1], 0x34
	s_delay_alu instid0(VALU_DEP_1) | instskip(SKIP_1) | instid1(VALU_DEP_1)
	v_mad_u64_u32 v[2:3], null, v4, s2, v[1:2]
	s_mov_b32 s2, exec_lo
	v_lshrrev_b32_e32 v1, 4, v2
	s_delay_alu instid0(VALU_DEP_1) | instskip(SKIP_1) | instid1(VALU_DEP_1)
	v_lshl_add_u32 v1, s14, 4, v1
	s_waitcnt lgkmcnt(0)
	v_cmpx_gt_u32_e64 s3, v1
	s_cbranch_execz .LBB411_6
; %bb.1:
	s_clause 0x1
	s_load_b64 s[2:3], s[0:1], 0x38
	s_load_b128 s[4:7], s[0:1], 0x40
	v_mov_b32_e32 v2, 0
	s_delay_alu instid0(VALU_DEP_1) | instskip(SKIP_1) | instid1(VALU_DEP_1)
	v_lshlrev_b64 v[1:2], 2, v[1:2]
	s_waitcnt lgkmcnt(0)
	v_add_co_u32 v1, vcc_lo, s2, v1
	s_delay_alu instid0(VALU_DEP_2) | instskip(SKIP_4) | instid1(VALU_DEP_2)
	v_add_co_ci_u32_e32 v2, vcc_lo, s3, v2, vcc_lo
	global_load_b32 v1, v[1:2], off
	s_waitcnt vmcnt(0)
	v_add_nc_u32_e32 v2, s5, v1
	v_add_nc_u32_e32 v1, s7, v1
	v_mul_lo_u32 v8, v2, s4
	s_delay_alu instid0(VALU_DEP_2) | instskip(NEXT) | instid1(VALU_DEP_1)
	v_mul_lo_u32 v40, v1, s6
	v_cmp_gt_u32_e32 vcc_lo, v40, v8
	s_and_b32 exec_lo, exec_lo, vcc_lo
	s_cbranch_execz .LBB411_6
; %bb.2:
	s_clause 0x3
	s_load_b32 s2, s[0:1], 0x30
	s_load_b128 s[24:27], s[0:1], 0x20
	s_load_b256 s[36:43], s[0:1], 0x0
	s_load_b64 s[28:29], s[0:1], 0x50
	s_waitcnt lgkmcnt(0)
	s_bitcmp0_b32 s2, 0
	s_mov_b32 s2, -1
	s_cbranch_scc0 .LBB411_4
; %bb.3:
	v_mov_b32_e32 v31, v0
	v_dual_mov_b32 v41, v0 :: v_dual_mov_b32 v2, s38
	v_dual_mov_b32 v0, s36 :: v_dual_mov_b32 v1, s37
	;; [unrolled: 1-line block ×5, first 2 shown]
	v_mov_b32_e32 v9, v40
	v_mov_b32_e32 v11, s29
	s_add_u32 s8, s0, 0x58
	s_addc_u32 s9, s1, 0
	s_mov_b32 s12, s14
	s_mov_b32 s13, s15
	s_getpc_b64 s[2:3]
	s_add_u32 s2, s2, _ZN7rocprim17ROCPRIM_400000_NS6detail26segmented_warp_sort_helperINS1_20WarpSortHelperConfigILj16ELj8ELj256EEEalLi256ELb0EvE4sortIPKaPaPKlPlEEvT_T0_T1_T2_jjjjRNS5_12storage_typeE@rel32@lo+4
	s_addc_u32 s3, s3, _ZN7rocprim17ROCPRIM_400000_NS6detail26segmented_warp_sort_helperINS1_20WarpSortHelperConfigILj16ELj8ELj256EEEalLi256ELb0EvE4sortIPKaPaPKlPlEEvT_T0_T1_T2_jjjjRNS5_12storage_typeE@rel32@hi+12
	s_mov_b64 s[24:25], s[0:1]
	s_mov_b32 s23, s15
	s_mov_b32 s33, s14
	s_swappc_b64 s[30:31], s[2:3]
	v_mov_b32_e32 v0, v41
	s_mov_b32 s14, s33
	s_mov_b32 s15, s23
	s_mov_b64 s[0:1], s[24:25]
	s_mov_b32 s2, 0
.LBB411_4:
	s_delay_alu instid0(SALU_CYCLE_1)
	s_and_not1_b32 vcc_lo, exec_lo, s2
	s_cbranch_vccnz .LBB411_6
; %bb.5:
	v_dual_mov_b32 v31, v0 :: v_dual_mov_b32 v0, s36
	v_dual_mov_b32 v1, s37 :: v_dual_mov_b32 v2, s40
	;; [unrolled: 1-line block ×5, first 2 shown]
	v_mov_b32_e32 v9, v40
	v_mov_b32_e32 v11, s29
	s_add_u32 s8, s0, 0x58
	s_addc_u32 s9, s1, 0
	s_mov_b32 s12, s14
	s_mov_b32 s13, s15
	s_getpc_b64 s[0:1]
	s_add_u32 s0, s0, _ZN7rocprim17ROCPRIM_400000_NS6detail26segmented_warp_sort_helperINS1_20WarpSortHelperConfigILj16ELj8ELj256EEEalLi256ELb0EvE4sortIPKaPaPKlPlEEvT_T0_T1_T2_jjjjRNS5_12storage_typeE@rel32@lo+4
	s_addc_u32 s1, s1, _ZN7rocprim17ROCPRIM_400000_NS6detail26segmented_warp_sort_helperINS1_20WarpSortHelperConfigILj16ELj8ELj256EEEalLi256ELb0EvE4sortIPKaPaPKlPlEEvT_T0_T1_T2_jjjjRNS5_12storage_typeE@rel32@hi+12
	s_delay_alu instid0(SALU_CYCLE_1)
	s_swappc_b64 s[30:31], s[0:1]
.LBB411_6:
	s_endpgm
	.section	.rodata,"a",@progbits
	.p2align	6, 0x0
	.amdhsa_kernel _ZN7rocprim17ROCPRIM_400000_NS6detail17trampoline_kernelINS0_14default_configENS1_36segmented_radix_sort_config_selectorIalEEZNS1_25segmented_radix_sort_implIS3_Lb0EPKaPaPKlPlN2at6native12_GLOBAL__N_18offset_tEEE10hipError_tPvRmT1_PNSt15iterator_traitsISK_E10value_typeET2_T3_PNSL_ISQ_E10value_typeET4_jRbjT5_SW_jjP12ihipStream_tbEUlT_E0_NS1_11comp_targetILNS1_3genE9ELNS1_11target_archE1100ELNS1_3gpuE3ELNS1_3repE0EEENS1_60segmented_radix_sort_warp_sort_medium_config_static_selectorELNS0_4arch9wavefront6targetE0EEEvSK_
		.amdhsa_group_segment_fixed_size 18432
		.amdhsa_private_segment_fixed_size 0
		.amdhsa_kernarg_size 344
		.amdhsa_user_sgpr_count 14
		.amdhsa_user_sgpr_dispatch_ptr 0
		.amdhsa_user_sgpr_queue_ptr 0
		.amdhsa_user_sgpr_kernarg_segment_ptr 1
		.amdhsa_user_sgpr_dispatch_id 0
		.amdhsa_user_sgpr_private_segment_size 0
		.amdhsa_wavefront_size32 1
		.amdhsa_uses_dynamic_stack 0
		.amdhsa_enable_private_segment 0
		.amdhsa_system_sgpr_workgroup_id_x 1
		.amdhsa_system_sgpr_workgroup_id_y 1
		.amdhsa_system_sgpr_workgroup_id_z 0
		.amdhsa_system_sgpr_workgroup_info 0
		.amdhsa_system_vgpr_workitem_id 2
		.amdhsa_next_free_vgpr 69
		.amdhsa_next_free_sgpr 44
		.amdhsa_reserve_vcc 1
		.amdhsa_float_round_mode_32 0
		.amdhsa_float_round_mode_16_64 0
		.amdhsa_float_denorm_mode_32 3
		.amdhsa_float_denorm_mode_16_64 3
		.amdhsa_dx10_clamp 1
		.amdhsa_ieee_mode 1
		.amdhsa_fp16_overflow 0
		.amdhsa_workgroup_processor_mode 1
		.amdhsa_memory_ordered 1
		.amdhsa_forward_progress 0
		.amdhsa_shared_vgpr_count 0
		.amdhsa_exception_fp_ieee_invalid_op 0
		.amdhsa_exception_fp_denorm_src 0
		.amdhsa_exception_fp_ieee_div_zero 0
		.amdhsa_exception_fp_ieee_overflow 0
		.amdhsa_exception_fp_ieee_underflow 0
		.amdhsa_exception_fp_ieee_inexact 0
		.amdhsa_exception_int_div_zero 0
	.end_amdhsa_kernel
	.section	.text._ZN7rocprim17ROCPRIM_400000_NS6detail17trampoline_kernelINS0_14default_configENS1_36segmented_radix_sort_config_selectorIalEEZNS1_25segmented_radix_sort_implIS3_Lb0EPKaPaPKlPlN2at6native12_GLOBAL__N_18offset_tEEE10hipError_tPvRmT1_PNSt15iterator_traitsISK_E10value_typeET2_T3_PNSL_ISQ_E10value_typeET4_jRbjT5_SW_jjP12ihipStream_tbEUlT_E0_NS1_11comp_targetILNS1_3genE9ELNS1_11target_archE1100ELNS1_3gpuE3ELNS1_3repE0EEENS1_60segmented_radix_sort_warp_sort_medium_config_static_selectorELNS0_4arch9wavefront6targetE0EEEvSK_,"axG",@progbits,_ZN7rocprim17ROCPRIM_400000_NS6detail17trampoline_kernelINS0_14default_configENS1_36segmented_radix_sort_config_selectorIalEEZNS1_25segmented_radix_sort_implIS3_Lb0EPKaPaPKlPlN2at6native12_GLOBAL__N_18offset_tEEE10hipError_tPvRmT1_PNSt15iterator_traitsISK_E10value_typeET2_T3_PNSL_ISQ_E10value_typeET4_jRbjT5_SW_jjP12ihipStream_tbEUlT_E0_NS1_11comp_targetILNS1_3genE9ELNS1_11target_archE1100ELNS1_3gpuE3ELNS1_3repE0EEENS1_60segmented_radix_sort_warp_sort_medium_config_static_selectorELNS0_4arch9wavefront6targetE0EEEvSK_,comdat
.Lfunc_end411:
	.size	_ZN7rocprim17ROCPRIM_400000_NS6detail17trampoline_kernelINS0_14default_configENS1_36segmented_radix_sort_config_selectorIalEEZNS1_25segmented_radix_sort_implIS3_Lb0EPKaPaPKlPlN2at6native12_GLOBAL__N_18offset_tEEE10hipError_tPvRmT1_PNSt15iterator_traitsISK_E10value_typeET2_T3_PNSL_ISQ_E10value_typeET4_jRbjT5_SW_jjP12ihipStream_tbEUlT_E0_NS1_11comp_targetILNS1_3genE9ELNS1_11target_archE1100ELNS1_3gpuE3ELNS1_3repE0EEENS1_60segmented_radix_sort_warp_sort_medium_config_static_selectorELNS0_4arch9wavefront6targetE0EEEvSK_, .Lfunc_end411-_ZN7rocprim17ROCPRIM_400000_NS6detail17trampoline_kernelINS0_14default_configENS1_36segmented_radix_sort_config_selectorIalEEZNS1_25segmented_radix_sort_implIS3_Lb0EPKaPaPKlPlN2at6native12_GLOBAL__N_18offset_tEEE10hipError_tPvRmT1_PNSt15iterator_traitsISK_E10value_typeET2_T3_PNSL_ISQ_E10value_typeET4_jRbjT5_SW_jjP12ihipStream_tbEUlT_E0_NS1_11comp_targetILNS1_3genE9ELNS1_11target_archE1100ELNS1_3gpuE3ELNS1_3repE0EEENS1_60segmented_radix_sort_warp_sort_medium_config_static_selectorELNS0_4arch9wavefront6targetE0EEEvSK_
                                        ; -- End function
	.section	.AMDGPU.csdata,"",@progbits
; Kernel info:
; codeLenInByte = 516
; NumSgprs: 46
; NumVgprs: 69
; ScratchSize: 0
; MemoryBound: 0
; FloatMode: 240
; IeeeMode: 1
; LDSByteSize: 18432 bytes/workgroup (compile time only)
; SGPRBlocks: 5
; VGPRBlocks: 8
; NumSGPRsForWavesPerEU: 46
; NumVGPRsForWavesPerEU: 69
; Occupancy: 14
; WaveLimiterHint : 0
; COMPUTE_PGM_RSRC2:SCRATCH_EN: 0
; COMPUTE_PGM_RSRC2:USER_SGPR: 14
; COMPUTE_PGM_RSRC2:TRAP_HANDLER: 0
; COMPUTE_PGM_RSRC2:TGID_X_EN: 1
; COMPUTE_PGM_RSRC2:TGID_Y_EN: 1
; COMPUTE_PGM_RSRC2:TGID_Z_EN: 0
; COMPUTE_PGM_RSRC2:TIDIG_COMP_CNT: 2
	.section	.text._ZN7rocprim17ROCPRIM_400000_NS6detail17trampoline_kernelINS0_14default_configENS1_36segmented_radix_sort_config_selectorIalEEZNS1_25segmented_radix_sort_implIS3_Lb0EPKaPaPKlPlN2at6native12_GLOBAL__N_18offset_tEEE10hipError_tPvRmT1_PNSt15iterator_traitsISK_E10value_typeET2_T3_PNSL_ISQ_E10value_typeET4_jRbjT5_SW_jjP12ihipStream_tbEUlT_E0_NS1_11comp_targetILNS1_3genE8ELNS1_11target_archE1030ELNS1_3gpuE2ELNS1_3repE0EEENS1_60segmented_radix_sort_warp_sort_medium_config_static_selectorELNS0_4arch9wavefront6targetE0EEEvSK_,"axG",@progbits,_ZN7rocprim17ROCPRIM_400000_NS6detail17trampoline_kernelINS0_14default_configENS1_36segmented_radix_sort_config_selectorIalEEZNS1_25segmented_radix_sort_implIS3_Lb0EPKaPaPKlPlN2at6native12_GLOBAL__N_18offset_tEEE10hipError_tPvRmT1_PNSt15iterator_traitsISK_E10value_typeET2_T3_PNSL_ISQ_E10value_typeET4_jRbjT5_SW_jjP12ihipStream_tbEUlT_E0_NS1_11comp_targetILNS1_3genE8ELNS1_11target_archE1030ELNS1_3gpuE2ELNS1_3repE0EEENS1_60segmented_radix_sort_warp_sort_medium_config_static_selectorELNS0_4arch9wavefront6targetE0EEEvSK_,comdat
	.globl	_ZN7rocprim17ROCPRIM_400000_NS6detail17trampoline_kernelINS0_14default_configENS1_36segmented_radix_sort_config_selectorIalEEZNS1_25segmented_radix_sort_implIS3_Lb0EPKaPaPKlPlN2at6native12_GLOBAL__N_18offset_tEEE10hipError_tPvRmT1_PNSt15iterator_traitsISK_E10value_typeET2_T3_PNSL_ISQ_E10value_typeET4_jRbjT5_SW_jjP12ihipStream_tbEUlT_E0_NS1_11comp_targetILNS1_3genE8ELNS1_11target_archE1030ELNS1_3gpuE2ELNS1_3repE0EEENS1_60segmented_radix_sort_warp_sort_medium_config_static_selectorELNS0_4arch9wavefront6targetE0EEEvSK_ ; -- Begin function _ZN7rocprim17ROCPRIM_400000_NS6detail17trampoline_kernelINS0_14default_configENS1_36segmented_radix_sort_config_selectorIalEEZNS1_25segmented_radix_sort_implIS3_Lb0EPKaPaPKlPlN2at6native12_GLOBAL__N_18offset_tEEE10hipError_tPvRmT1_PNSt15iterator_traitsISK_E10value_typeET2_T3_PNSL_ISQ_E10value_typeET4_jRbjT5_SW_jjP12ihipStream_tbEUlT_E0_NS1_11comp_targetILNS1_3genE8ELNS1_11target_archE1030ELNS1_3gpuE2ELNS1_3repE0EEENS1_60segmented_radix_sort_warp_sort_medium_config_static_selectorELNS0_4arch9wavefront6targetE0EEEvSK_
	.p2align	8
	.type	_ZN7rocprim17ROCPRIM_400000_NS6detail17trampoline_kernelINS0_14default_configENS1_36segmented_radix_sort_config_selectorIalEEZNS1_25segmented_radix_sort_implIS3_Lb0EPKaPaPKlPlN2at6native12_GLOBAL__N_18offset_tEEE10hipError_tPvRmT1_PNSt15iterator_traitsISK_E10value_typeET2_T3_PNSL_ISQ_E10value_typeET4_jRbjT5_SW_jjP12ihipStream_tbEUlT_E0_NS1_11comp_targetILNS1_3genE8ELNS1_11target_archE1030ELNS1_3gpuE2ELNS1_3repE0EEENS1_60segmented_radix_sort_warp_sort_medium_config_static_selectorELNS0_4arch9wavefront6targetE0EEEvSK_,@function
_ZN7rocprim17ROCPRIM_400000_NS6detail17trampoline_kernelINS0_14default_configENS1_36segmented_radix_sort_config_selectorIalEEZNS1_25segmented_radix_sort_implIS3_Lb0EPKaPaPKlPlN2at6native12_GLOBAL__N_18offset_tEEE10hipError_tPvRmT1_PNSt15iterator_traitsISK_E10value_typeET2_T3_PNSL_ISQ_E10value_typeET4_jRbjT5_SW_jjP12ihipStream_tbEUlT_E0_NS1_11comp_targetILNS1_3genE8ELNS1_11target_archE1030ELNS1_3gpuE2ELNS1_3repE0EEENS1_60segmented_radix_sort_warp_sort_medium_config_static_selectorELNS0_4arch9wavefront6targetE0EEEvSK_: ; @_ZN7rocprim17ROCPRIM_400000_NS6detail17trampoline_kernelINS0_14default_configENS1_36segmented_radix_sort_config_selectorIalEEZNS1_25segmented_radix_sort_implIS3_Lb0EPKaPaPKlPlN2at6native12_GLOBAL__N_18offset_tEEE10hipError_tPvRmT1_PNSt15iterator_traitsISK_E10value_typeET2_T3_PNSL_ISQ_E10value_typeET4_jRbjT5_SW_jjP12ihipStream_tbEUlT_E0_NS1_11comp_targetILNS1_3genE8ELNS1_11target_archE1030ELNS1_3gpuE2ELNS1_3repE0EEENS1_60segmented_radix_sort_warp_sort_medium_config_static_selectorELNS0_4arch9wavefront6targetE0EEEvSK_
; %bb.0:
	.section	.rodata,"a",@progbits
	.p2align	6, 0x0
	.amdhsa_kernel _ZN7rocprim17ROCPRIM_400000_NS6detail17trampoline_kernelINS0_14default_configENS1_36segmented_radix_sort_config_selectorIalEEZNS1_25segmented_radix_sort_implIS3_Lb0EPKaPaPKlPlN2at6native12_GLOBAL__N_18offset_tEEE10hipError_tPvRmT1_PNSt15iterator_traitsISK_E10value_typeET2_T3_PNSL_ISQ_E10value_typeET4_jRbjT5_SW_jjP12ihipStream_tbEUlT_E0_NS1_11comp_targetILNS1_3genE8ELNS1_11target_archE1030ELNS1_3gpuE2ELNS1_3repE0EEENS1_60segmented_radix_sort_warp_sort_medium_config_static_selectorELNS0_4arch9wavefront6targetE0EEEvSK_
		.amdhsa_group_segment_fixed_size 0
		.amdhsa_private_segment_fixed_size 0
		.amdhsa_kernarg_size 88
		.amdhsa_user_sgpr_count 15
		.amdhsa_user_sgpr_dispatch_ptr 0
		.amdhsa_user_sgpr_queue_ptr 0
		.amdhsa_user_sgpr_kernarg_segment_ptr 1
		.amdhsa_user_sgpr_dispatch_id 0
		.amdhsa_user_sgpr_private_segment_size 0
		.amdhsa_wavefront_size32 1
		.amdhsa_uses_dynamic_stack 0
		.amdhsa_enable_private_segment 0
		.amdhsa_system_sgpr_workgroup_id_x 1
		.amdhsa_system_sgpr_workgroup_id_y 0
		.amdhsa_system_sgpr_workgroup_id_z 0
		.amdhsa_system_sgpr_workgroup_info 0
		.amdhsa_system_vgpr_workitem_id 0
		.amdhsa_next_free_vgpr 1
		.amdhsa_next_free_sgpr 1
		.amdhsa_reserve_vcc 0
		.amdhsa_float_round_mode_32 0
		.amdhsa_float_round_mode_16_64 0
		.amdhsa_float_denorm_mode_32 3
		.amdhsa_float_denorm_mode_16_64 3
		.amdhsa_dx10_clamp 1
		.amdhsa_ieee_mode 1
		.amdhsa_fp16_overflow 0
		.amdhsa_workgroup_processor_mode 1
		.amdhsa_memory_ordered 1
		.amdhsa_forward_progress 0
		.amdhsa_shared_vgpr_count 0
		.amdhsa_exception_fp_ieee_invalid_op 0
		.amdhsa_exception_fp_denorm_src 0
		.amdhsa_exception_fp_ieee_div_zero 0
		.amdhsa_exception_fp_ieee_overflow 0
		.amdhsa_exception_fp_ieee_underflow 0
		.amdhsa_exception_fp_ieee_inexact 0
		.amdhsa_exception_int_div_zero 0
	.end_amdhsa_kernel
	.section	.text._ZN7rocprim17ROCPRIM_400000_NS6detail17trampoline_kernelINS0_14default_configENS1_36segmented_radix_sort_config_selectorIalEEZNS1_25segmented_radix_sort_implIS3_Lb0EPKaPaPKlPlN2at6native12_GLOBAL__N_18offset_tEEE10hipError_tPvRmT1_PNSt15iterator_traitsISK_E10value_typeET2_T3_PNSL_ISQ_E10value_typeET4_jRbjT5_SW_jjP12ihipStream_tbEUlT_E0_NS1_11comp_targetILNS1_3genE8ELNS1_11target_archE1030ELNS1_3gpuE2ELNS1_3repE0EEENS1_60segmented_radix_sort_warp_sort_medium_config_static_selectorELNS0_4arch9wavefront6targetE0EEEvSK_,"axG",@progbits,_ZN7rocprim17ROCPRIM_400000_NS6detail17trampoline_kernelINS0_14default_configENS1_36segmented_radix_sort_config_selectorIalEEZNS1_25segmented_radix_sort_implIS3_Lb0EPKaPaPKlPlN2at6native12_GLOBAL__N_18offset_tEEE10hipError_tPvRmT1_PNSt15iterator_traitsISK_E10value_typeET2_T3_PNSL_ISQ_E10value_typeET4_jRbjT5_SW_jjP12ihipStream_tbEUlT_E0_NS1_11comp_targetILNS1_3genE8ELNS1_11target_archE1030ELNS1_3gpuE2ELNS1_3repE0EEENS1_60segmented_radix_sort_warp_sort_medium_config_static_selectorELNS0_4arch9wavefront6targetE0EEEvSK_,comdat
.Lfunc_end412:
	.size	_ZN7rocprim17ROCPRIM_400000_NS6detail17trampoline_kernelINS0_14default_configENS1_36segmented_radix_sort_config_selectorIalEEZNS1_25segmented_radix_sort_implIS3_Lb0EPKaPaPKlPlN2at6native12_GLOBAL__N_18offset_tEEE10hipError_tPvRmT1_PNSt15iterator_traitsISK_E10value_typeET2_T3_PNSL_ISQ_E10value_typeET4_jRbjT5_SW_jjP12ihipStream_tbEUlT_E0_NS1_11comp_targetILNS1_3genE8ELNS1_11target_archE1030ELNS1_3gpuE2ELNS1_3repE0EEENS1_60segmented_radix_sort_warp_sort_medium_config_static_selectorELNS0_4arch9wavefront6targetE0EEEvSK_, .Lfunc_end412-_ZN7rocprim17ROCPRIM_400000_NS6detail17trampoline_kernelINS0_14default_configENS1_36segmented_radix_sort_config_selectorIalEEZNS1_25segmented_radix_sort_implIS3_Lb0EPKaPaPKlPlN2at6native12_GLOBAL__N_18offset_tEEE10hipError_tPvRmT1_PNSt15iterator_traitsISK_E10value_typeET2_T3_PNSL_ISQ_E10value_typeET4_jRbjT5_SW_jjP12ihipStream_tbEUlT_E0_NS1_11comp_targetILNS1_3genE8ELNS1_11target_archE1030ELNS1_3gpuE2ELNS1_3repE0EEENS1_60segmented_radix_sort_warp_sort_medium_config_static_selectorELNS0_4arch9wavefront6targetE0EEEvSK_
                                        ; -- End function
	.section	.AMDGPU.csdata,"",@progbits
; Kernel info:
; codeLenInByte = 0
; NumSgprs: 0
; NumVgprs: 0
; ScratchSize: 0
; MemoryBound: 0
; FloatMode: 240
; IeeeMode: 1
; LDSByteSize: 0 bytes/workgroup (compile time only)
; SGPRBlocks: 0
; VGPRBlocks: 0
; NumSGPRsForWavesPerEU: 1
; NumVGPRsForWavesPerEU: 1
; Occupancy: 16
; WaveLimiterHint : 0
; COMPUTE_PGM_RSRC2:SCRATCH_EN: 0
; COMPUTE_PGM_RSRC2:USER_SGPR: 15
; COMPUTE_PGM_RSRC2:TRAP_HANDLER: 0
; COMPUTE_PGM_RSRC2:TGID_X_EN: 1
; COMPUTE_PGM_RSRC2:TGID_Y_EN: 0
; COMPUTE_PGM_RSRC2:TGID_Z_EN: 0
; COMPUTE_PGM_RSRC2:TIDIG_COMP_CNT: 0
	.section	.text._ZN7rocprim17ROCPRIM_400000_NS6detail17trampoline_kernelINS0_14default_configENS1_36segmented_radix_sort_config_selectorIalEEZNS1_25segmented_radix_sort_implIS3_Lb0EPKaPaPKlPlN2at6native12_GLOBAL__N_18offset_tEEE10hipError_tPvRmT1_PNSt15iterator_traitsISK_E10value_typeET2_T3_PNSL_ISQ_E10value_typeET4_jRbjT5_SW_jjP12ihipStream_tbEUlT_E1_NS1_11comp_targetILNS1_3genE0ELNS1_11target_archE4294967295ELNS1_3gpuE0ELNS1_3repE0EEENS1_59segmented_radix_sort_warp_sort_small_config_static_selectorELNS0_4arch9wavefront6targetE0EEEvSK_,"axG",@progbits,_ZN7rocprim17ROCPRIM_400000_NS6detail17trampoline_kernelINS0_14default_configENS1_36segmented_radix_sort_config_selectorIalEEZNS1_25segmented_radix_sort_implIS3_Lb0EPKaPaPKlPlN2at6native12_GLOBAL__N_18offset_tEEE10hipError_tPvRmT1_PNSt15iterator_traitsISK_E10value_typeET2_T3_PNSL_ISQ_E10value_typeET4_jRbjT5_SW_jjP12ihipStream_tbEUlT_E1_NS1_11comp_targetILNS1_3genE0ELNS1_11target_archE4294967295ELNS1_3gpuE0ELNS1_3repE0EEENS1_59segmented_radix_sort_warp_sort_small_config_static_selectorELNS0_4arch9wavefront6targetE0EEEvSK_,comdat
	.globl	_ZN7rocprim17ROCPRIM_400000_NS6detail17trampoline_kernelINS0_14default_configENS1_36segmented_radix_sort_config_selectorIalEEZNS1_25segmented_radix_sort_implIS3_Lb0EPKaPaPKlPlN2at6native12_GLOBAL__N_18offset_tEEE10hipError_tPvRmT1_PNSt15iterator_traitsISK_E10value_typeET2_T3_PNSL_ISQ_E10value_typeET4_jRbjT5_SW_jjP12ihipStream_tbEUlT_E1_NS1_11comp_targetILNS1_3genE0ELNS1_11target_archE4294967295ELNS1_3gpuE0ELNS1_3repE0EEENS1_59segmented_radix_sort_warp_sort_small_config_static_selectorELNS0_4arch9wavefront6targetE0EEEvSK_ ; -- Begin function _ZN7rocprim17ROCPRIM_400000_NS6detail17trampoline_kernelINS0_14default_configENS1_36segmented_radix_sort_config_selectorIalEEZNS1_25segmented_radix_sort_implIS3_Lb0EPKaPaPKlPlN2at6native12_GLOBAL__N_18offset_tEEE10hipError_tPvRmT1_PNSt15iterator_traitsISK_E10value_typeET2_T3_PNSL_ISQ_E10value_typeET4_jRbjT5_SW_jjP12ihipStream_tbEUlT_E1_NS1_11comp_targetILNS1_3genE0ELNS1_11target_archE4294967295ELNS1_3gpuE0ELNS1_3repE0EEENS1_59segmented_radix_sort_warp_sort_small_config_static_selectorELNS0_4arch9wavefront6targetE0EEEvSK_
	.p2align	8
	.type	_ZN7rocprim17ROCPRIM_400000_NS6detail17trampoline_kernelINS0_14default_configENS1_36segmented_radix_sort_config_selectorIalEEZNS1_25segmented_radix_sort_implIS3_Lb0EPKaPaPKlPlN2at6native12_GLOBAL__N_18offset_tEEE10hipError_tPvRmT1_PNSt15iterator_traitsISK_E10value_typeET2_T3_PNSL_ISQ_E10value_typeET4_jRbjT5_SW_jjP12ihipStream_tbEUlT_E1_NS1_11comp_targetILNS1_3genE0ELNS1_11target_archE4294967295ELNS1_3gpuE0ELNS1_3repE0EEENS1_59segmented_radix_sort_warp_sort_small_config_static_selectorELNS0_4arch9wavefront6targetE0EEEvSK_,@function
_ZN7rocprim17ROCPRIM_400000_NS6detail17trampoline_kernelINS0_14default_configENS1_36segmented_radix_sort_config_selectorIalEEZNS1_25segmented_radix_sort_implIS3_Lb0EPKaPaPKlPlN2at6native12_GLOBAL__N_18offset_tEEE10hipError_tPvRmT1_PNSt15iterator_traitsISK_E10value_typeET2_T3_PNSL_ISQ_E10value_typeET4_jRbjT5_SW_jjP12ihipStream_tbEUlT_E1_NS1_11comp_targetILNS1_3genE0ELNS1_11target_archE4294967295ELNS1_3gpuE0ELNS1_3repE0EEENS1_59segmented_radix_sort_warp_sort_small_config_static_selectorELNS0_4arch9wavefront6targetE0EEEvSK_: ; @_ZN7rocprim17ROCPRIM_400000_NS6detail17trampoline_kernelINS0_14default_configENS1_36segmented_radix_sort_config_selectorIalEEZNS1_25segmented_radix_sort_implIS3_Lb0EPKaPaPKlPlN2at6native12_GLOBAL__N_18offset_tEEE10hipError_tPvRmT1_PNSt15iterator_traitsISK_E10value_typeET2_T3_PNSL_ISQ_E10value_typeET4_jRbjT5_SW_jjP12ihipStream_tbEUlT_E1_NS1_11comp_targetILNS1_3genE0ELNS1_11target_archE4294967295ELNS1_3gpuE0ELNS1_3repE0EEENS1_59segmented_radix_sort_warp_sort_small_config_static_selectorELNS0_4arch9wavefront6targetE0EEEvSK_
; %bb.0:
	.section	.rodata,"a",@progbits
	.p2align	6, 0x0
	.amdhsa_kernel _ZN7rocprim17ROCPRIM_400000_NS6detail17trampoline_kernelINS0_14default_configENS1_36segmented_radix_sort_config_selectorIalEEZNS1_25segmented_radix_sort_implIS3_Lb0EPKaPaPKlPlN2at6native12_GLOBAL__N_18offset_tEEE10hipError_tPvRmT1_PNSt15iterator_traitsISK_E10value_typeET2_T3_PNSL_ISQ_E10value_typeET4_jRbjT5_SW_jjP12ihipStream_tbEUlT_E1_NS1_11comp_targetILNS1_3genE0ELNS1_11target_archE4294967295ELNS1_3gpuE0ELNS1_3repE0EEENS1_59segmented_radix_sort_warp_sort_small_config_static_selectorELNS0_4arch9wavefront6targetE0EEEvSK_
		.amdhsa_group_segment_fixed_size 0
		.amdhsa_private_segment_fixed_size 0
		.amdhsa_kernarg_size 88
		.amdhsa_user_sgpr_count 15
		.amdhsa_user_sgpr_dispatch_ptr 0
		.amdhsa_user_sgpr_queue_ptr 0
		.amdhsa_user_sgpr_kernarg_segment_ptr 1
		.amdhsa_user_sgpr_dispatch_id 0
		.amdhsa_user_sgpr_private_segment_size 0
		.amdhsa_wavefront_size32 1
		.amdhsa_uses_dynamic_stack 0
		.amdhsa_enable_private_segment 0
		.amdhsa_system_sgpr_workgroup_id_x 1
		.amdhsa_system_sgpr_workgroup_id_y 0
		.amdhsa_system_sgpr_workgroup_id_z 0
		.amdhsa_system_sgpr_workgroup_info 0
		.amdhsa_system_vgpr_workitem_id 0
		.amdhsa_next_free_vgpr 1
		.amdhsa_next_free_sgpr 1
		.amdhsa_reserve_vcc 0
		.amdhsa_float_round_mode_32 0
		.amdhsa_float_round_mode_16_64 0
		.amdhsa_float_denorm_mode_32 3
		.amdhsa_float_denorm_mode_16_64 3
		.amdhsa_dx10_clamp 1
		.amdhsa_ieee_mode 1
		.amdhsa_fp16_overflow 0
		.amdhsa_workgroup_processor_mode 1
		.amdhsa_memory_ordered 1
		.amdhsa_forward_progress 0
		.amdhsa_shared_vgpr_count 0
		.amdhsa_exception_fp_ieee_invalid_op 0
		.amdhsa_exception_fp_denorm_src 0
		.amdhsa_exception_fp_ieee_div_zero 0
		.amdhsa_exception_fp_ieee_overflow 0
		.amdhsa_exception_fp_ieee_underflow 0
		.amdhsa_exception_fp_ieee_inexact 0
		.amdhsa_exception_int_div_zero 0
	.end_amdhsa_kernel
	.section	.text._ZN7rocprim17ROCPRIM_400000_NS6detail17trampoline_kernelINS0_14default_configENS1_36segmented_radix_sort_config_selectorIalEEZNS1_25segmented_radix_sort_implIS3_Lb0EPKaPaPKlPlN2at6native12_GLOBAL__N_18offset_tEEE10hipError_tPvRmT1_PNSt15iterator_traitsISK_E10value_typeET2_T3_PNSL_ISQ_E10value_typeET4_jRbjT5_SW_jjP12ihipStream_tbEUlT_E1_NS1_11comp_targetILNS1_3genE0ELNS1_11target_archE4294967295ELNS1_3gpuE0ELNS1_3repE0EEENS1_59segmented_radix_sort_warp_sort_small_config_static_selectorELNS0_4arch9wavefront6targetE0EEEvSK_,"axG",@progbits,_ZN7rocprim17ROCPRIM_400000_NS6detail17trampoline_kernelINS0_14default_configENS1_36segmented_radix_sort_config_selectorIalEEZNS1_25segmented_radix_sort_implIS3_Lb0EPKaPaPKlPlN2at6native12_GLOBAL__N_18offset_tEEE10hipError_tPvRmT1_PNSt15iterator_traitsISK_E10value_typeET2_T3_PNSL_ISQ_E10value_typeET4_jRbjT5_SW_jjP12ihipStream_tbEUlT_E1_NS1_11comp_targetILNS1_3genE0ELNS1_11target_archE4294967295ELNS1_3gpuE0ELNS1_3repE0EEENS1_59segmented_radix_sort_warp_sort_small_config_static_selectorELNS0_4arch9wavefront6targetE0EEEvSK_,comdat
.Lfunc_end413:
	.size	_ZN7rocprim17ROCPRIM_400000_NS6detail17trampoline_kernelINS0_14default_configENS1_36segmented_radix_sort_config_selectorIalEEZNS1_25segmented_radix_sort_implIS3_Lb0EPKaPaPKlPlN2at6native12_GLOBAL__N_18offset_tEEE10hipError_tPvRmT1_PNSt15iterator_traitsISK_E10value_typeET2_T3_PNSL_ISQ_E10value_typeET4_jRbjT5_SW_jjP12ihipStream_tbEUlT_E1_NS1_11comp_targetILNS1_3genE0ELNS1_11target_archE4294967295ELNS1_3gpuE0ELNS1_3repE0EEENS1_59segmented_radix_sort_warp_sort_small_config_static_selectorELNS0_4arch9wavefront6targetE0EEEvSK_, .Lfunc_end413-_ZN7rocprim17ROCPRIM_400000_NS6detail17trampoline_kernelINS0_14default_configENS1_36segmented_radix_sort_config_selectorIalEEZNS1_25segmented_radix_sort_implIS3_Lb0EPKaPaPKlPlN2at6native12_GLOBAL__N_18offset_tEEE10hipError_tPvRmT1_PNSt15iterator_traitsISK_E10value_typeET2_T3_PNSL_ISQ_E10value_typeET4_jRbjT5_SW_jjP12ihipStream_tbEUlT_E1_NS1_11comp_targetILNS1_3genE0ELNS1_11target_archE4294967295ELNS1_3gpuE0ELNS1_3repE0EEENS1_59segmented_radix_sort_warp_sort_small_config_static_selectorELNS0_4arch9wavefront6targetE0EEEvSK_
                                        ; -- End function
	.section	.AMDGPU.csdata,"",@progbits
; Kernel info:
; codeLenInByte = 0
; NumSgprs: 0
; NumVgprs: 0
; ScratchSize: 0
; MemoryBound: 0
; FloatMode: 240
; IeeeMode: 1
; LDSByteSize: 0 bytes/workgroup (compile time only)
; SGPRBlocks: 0
; VGPRBlocks: 0
; NumSGPRsForWavesPerEU: 1
; NumVGPRsForWavesPerEU: 1
; Occupancy: 16
; WaveLimiterHint : 0
; COMPUTE_PGM_RSRC2:SCRATCH_EN: 0
; COMPUTE_PGM_RSRC2:USER_SGPR: 15
; COMPUTE_PGM_RSRC2:TRAP_HANDLER: 0
; COMPUTE_PGM_RSRC2:TGID_X_EN: 1
; COMPUTE_PGM_RSRC2:TGID_Y_EN: 0
; COMPUTE_PGM_RSRC2:TGID_Z_EN: 0
; COMPUTE_PGM_RSRC2:TIDIG_COMP_CNT: 0
	.section	.text._ZN7rocprim17ROCPRIM_400000_NS6detail17trampoline_kernelINS0_14default_configENS1_36segmented_radix_sort_config_selectorIalEEZNS1_25segmented_radix_sort_implIS3_Lb0EPKaPaPKlPlN2at6native12_GLOBAL__N_18offset_tEEE10hipError_tPvRmT1_PNSt15iterator_traitsISK_E10value_typeET2_T3_PNSL_ISQ_E10value_typeET4_jRbjT5_SW_jjP12ihipStream_tbEUlT_E1_NS1_11comp_targetILNS1_3genE5ELNS1_11target_archE942ELNS1_3gpuE9ELNS1_3repE0EEENS1_59segmented_radix_sort_warp_sort_small_config_static_selectorELNS0_4arch9wavefront6targetE0EEEvSK_,"axG",@progbits,_ZN7rocprim17ROCPRIM_400000_NS6detail17trampoline_kernelINS0_14default_configENS1_36segmented_radix_sort_config_selectorIalEEZNS1_25segmented_radix_sort_implIS3_Lb0EPKaPaPKlPlN2at6native12_GLOBAL__N_18offset_tEEE10hipError_tPvRmT1_PNSt15iterator_traitsISK_E10value_typeET2_T3_PNSL_ISQ_E10value_typeET4_jRbjT5_SW_jjP12ihipStream_tbEUlT_E1_NS1_11comp_targetILNS1_3genE5ELNS1_11target_archE942ELNS1_3gpuE9ELNS1_3repE0EEENS1_59segmented_radix_sort_warp_sort_small_config_static_selectorELNS0_4arch9wavefront6targetE0EEEvSK_,comdat
	.globl	_ZN7rocprim17ROCPRIM_400000_NS6detail17trampoline_kernelINS0_14default_configENS1_36segmented_radix_sort_config_selectorIalEEZNS1_25segmented_radix_sort_implIS3_Lb0EPKaPaPKlPlN2at6native12_GLOBAL__N_18offset_tEEE10hipError_tPvRmT1_PNSt15iterator_traitsISK_E10value_typeET2_T3_PNSL_ISQ_E10value_typeET4_jRbjT5_SW_jjP12ihipStream_tbEUlT_E1_NS1_11comp_targetILNS1_3genE5ELNS1_11target_archE942ELNS1_3gpuE9ELNS1_3repE0EEENS1_59segmented_radix_sort_warp_sort_small_config_static_selectorELNS0_4arch9wavefront6targetE0EEEvSK_ ; -- Begin function _ZN7rocprim17ROCPRIM_400000_NS6detail17trampoline_kernelINS0_14default_configENS1_36segmented_radix_sort_config_selectorIalEEZNS1_25segmented_radix_sort_implIS3_Lb0EPKaPaPKlPlN2at6native12_GLOBAL__N_18offset_tEEE10hipError_tPvRmT1_PNSt15iterator_traitsISK_E10value_typeET2_T3_PNSL_ISQ_E10value_typeET4_jRbjT5_SW_jjP12ihipStream_tbEUlT_E1_NS1_11comp_targetILNS1_3genE5ELNS1_11target_archE942ELNS1_3gpuE9ELNS1_3repE0EEENS1_59segmented_radix_sort_warp_sort_small_config_static_selectorELNS0_4arch9wavefront6targetE0EEEvSK_
	.p2align	8
	.type	_ZN7rocprim17ROCPRIM_400000_NS6detail17trampoline_kernelINS0_14default_configENS1_36segmented_radix_sort_config_selectorIalEEZNS1_25segmented_radix_sort_implIS3_Lb0EPKaPaPKlPlN2at6native12_GLOBAL__N_18offset_tEEE10hipError_tPvRmT1_PNSt15iterator_traitsISK_E10value_typeET2_T3_PNSL_ISQ_E10value_typeET4_jRbjT5_SW_jjP12ihipStream_tbEUlT_E1_NS1_11comp_targetILNS1_3genE5ELNS1_11target_archE942ELNS1_3gpuE9ELNS1_3repE0EEENS1_59segmented_radix_sort_warp_sort_small_config_static_selectorELNS0_4arch9wavefront6targetE0EEEvSK_,@function
_ZN7rocprim17ROCPRIM_400000_NS6detail17trampoline_kernelINS0_14default_configENS1_36segmented_radix_sort_config_selectorIalEEZNS1_25segmented_radix_sort_implIS3_Lb0EPKaPaPKlPlN2at6native12_GLOBAL__N_18offset_tEEE10hipError_tPvRmT1_PNSt15iterator_traitsISK_E10value_typeET2_T3_PNSL_ISQ_E10value_typeET4_jRbjT5_SW_jjP12ihipStream_tbEUlT_E1_NS1_11comp_targetILNS1_3genE5ELNS1_11target_archE942ELNS1_3gpuE9ELNS1_3repE0EEENS1_59segmented_radix_sort_warp_sort_small_config_static_selectorELNS0_4arch9wavefront6targetE0EEEvSK_: ; @_ZN7rocprim17ROCPRIM_400000_NS6detail17trampoline_kernelINS0_14default_configENS1_36segmented_radix_sort_config_selectorIalEEZNS1_25segmented_radix_sort_implIS3_Lb0EPKaPaPKlPlN2at6native12_GLOBAL__N_18offset_tEEE10hipError_tPvRmT1_PNSt15iterator_traitsISK_E10value_typeET2_T3_PNSL_ISQ_E10value_typeET4_jRbjT5_SW_jjP12ihipStream_tbEUlT_E1_NS1_11comp_targetILNS1_3genE5ELNS1_11target_archE942ELNS1_3gpuE9ELNS1_3repE0EEENS1_59segmented_radix_sort_warp_sort_small_config_static_selectorELNS0_4arch9wavefront6targetE0EEEvSK_
; %bb.0:
	.section	.rodata,"a",@progbits
	.p2align	6, 0x0
	.amdhsa_kernel _ZN7rocprim17ROCPRIM_400000_NS6detail17trampoline_kernelINS0_14default_configENS1_36segmented_radix_sort_config_selectorIalEEZNS1_25segmented_radix_sort_implIS3_Lb0EPKaPaPKlPlN2at6native12_GLOBAL__N_18offset_tEEE10hipError_tPvRmT1_PNSt15iterator_traitsISK_E10value_typeET2_T3_PNSL_ISQ_E10value_typeET4_jRbjT5_SW_jjP12ihipStream_tbEUlT_E1_NS1_11comp_targetILNS1_3genE5ELNS1_11target_archE942ELNS1_3gpuE9ELNS1_3repE0EEENS1_59segmented_radix_sort_warp_sort_small_config_static_selectorELNS0_4arch9wavefront6targetE0EEEvSK_
		.amdhsa_group_segment_fixed_size 0
		.amdhsa_private_segment_fixed_size 0
		.amdhsa_kernarg_size 88
		.amdhsa_user_sgpr_count 15
		.amdhsa_user_sgpr_dispatch_ptr 0
		.amdhsa_user_sgpr_queue_ptr 0
		.amdhsa_user_sgpr_kernarg_segment_ptr 1
		.amdhsa_user_sgpr_dispatch_id 0
		.amdhsa_user_sgpr_private_segment_size 0
		.amdhsa_wavefront_size32 1
		.amdhsa_uses_dynamic_stack 0
		.amdhsa_enable_private_segment 0
		.amdhsa_system_sgpr_workgroup_id_x 1
		.amdhsa_system_sgpr_workgroup_id_y 0
		.amdhsa_system_sgpr_workgroup_id_z 0
		.amdhsa_system_sgpr_workgroup_info 0
		.amdhsa_system_vgpr_workitem_id 0
		.amdhsa_next_free_vgpr 1
		.amdhsa_next_free_sgpr 1
		.amdhsa_reserve_vcc 0
		.amdhsa_float_round_mode_32 0
		.amdhsa_float_round_mode_16_64 0
		.amdhsa_float_denorm_mode_32 3
		.amdhsa_float_denorm_mode_16_64 3
		.amdhsa_dx10_clamp 1
		.amdhsa_ieee_mode 1
		.amdhsa_fp16_overflow 0
		.amdhsa_workgroup_processor_mode 1
		.amdhsa_memory_ordered 1
		.amdhsa_forward_progress 0
		.amdhsa_shared_vgpr_count 0
		.amdhsa_exception_fp_ieee_invalid_op 0
		.amdhsa_exception_fp_denorm_src 0
		.amdhsa_exception_fp_ieee_div_zero 0
		.amdhsa_exception_fp_ieee_overflow 0
		.amdhsa_exception_fp_ieee_underflow 0
		.amdhsa_exception_fp_ieee_inexact 0
		.amdhsa_exception_int_div_zero 0
	.end_amdhsa_kernel
	.section	.text._ZN7rocprim17ROCPRIM_400000_NS6detail17trampoline_kernelINS0_14default_configENS1_36segmented_radix_sort_config_selectorIalEEZNS1_25segmented_radix_sort_implIS3_Lb0EPKaPaPKlPlN2at6native12_GLOBAL__N_18offset_tEEE10hipError_tPvRmT1_PNSt15iterator_traitsISK_E10value_typeET2_T3_PNSL_ISQ_E10value_typeET4_jRbjT5_SW_jjP12ihipStream_tbEUlT_E1_NS1_11comp_targetILNS1_3genE5ELNS1_11target_archE942ELNS1_3gpuE9ELNS1_3repE0EEENS1_59segmented_radix_sort_warp_sort_small_config_static_selectorELNS0_4arch9wavefront6targetE0EEEvSK_,"axG",@progbits,_ZN7rocprim17ROCPRIM_400000_NS6detail17trampoline_kernelINS0_14default_configENS1_36segmented_radix_sort_config_selectorIalEEZNS1_25segmented_radix_sort_implIS3_Lb0EPKaPaPKlPlN2at6native12_GLOBAL__N_18offset_tEEE10hipError_tPvRmT1_PNSt15iterator_traitsISK_E10value_typeET2_T3_PNSL_ISQ_E10value_typeET4_jRbjT5_SW_jjP12ihipStream_tbEUlT_E1_NS1_11comp_targetILNS1_3genE5ELNS1_11target_archE942ELNS1_3gpuE9ELNS1_3repE0EEENS1_59segmented_radix_sort_warp_sort_small_config_static_selectorELNS0_4arch9wavefront6targetE0EEEvSK_,comdat
.Lfunc_end414:
	.size	_ZN7rocprim17ROCPRIM_400000_NS6detail17trampoline_kernelINS0_14default_configENS1_36segmented_radix_sort_config_selectorIalEEZNS1_25segmented_radix_sort_implIS3_Lb0EPKaPaPKlPlN2at6native12_GLOBAL__N_18offset_tEEE10hipError_tPvRmT1_PNSt15iterator_traitsISK_E10value_typeET2_T3_PNSL_ISQ_E10value_typeET4_jRbjT5_SW_jjP12ihipStream_tbEUlT_E1_NS1_11comp_targetILNS1_3genE5ELNS1_11target_archE942ELNS1_3gpuE9ELNS1_3repE0EEENS1_59segmented_radix_sort_warp_sort_small_config_static_selectorELNS0_4arch9wavefront6targetE0EEEvSK_, .Lfunc_end414-_ZN7rocprim17ROCPRIM_400000_NS6detail17trampoline_kernelINS0_14default_configENS1_36segmented_radix_sort_config_selectorIalEEZNS1_25segmented_radix_sort_implIS3_Lb0EPKaPaPKlPlN2at6native12_GLOBAL__N_18offset_tEEE10hipError_tPvRmT1_PNSt15iterator_traitsISK_E10value_typeET2_T3_PNSL_ISQ_E10value_typeET4_jRbjT5_SW_jjP12ihipStream_tbEUlT_E1_NS1_11comp_targetILNS1_3genE5ELNS1_11target_archE942ELNS1_3gpuE9ELNS1_3repE0EEENS1_59segmented_radix_sort_warp_sort_small_config_static_selectorELNS0_4arch9wavefront6targetE0EEEvSK_
                                        ; -- End function
	.section	.AMDGPU.csdata,"",@progbits
; Kernel info:
; codeLenInByte = 0
; NumSgprs: 0
; NumVgprs: 0
; ScratchSize: 0
; MemoryBound: 0
; FloatMode: 240
; IeeeMode: 1
; LDSByteSize: 0 bytes/workgroup (compile time only)
; SGPRBlocks: 0
; VGPRBlocks: 0
; NumSGPRsForWavesPerEU: 1
; NumVGPRsForWavesPerEU: 1
; Occupancy: 16
; WaveLimiterHint : 0
; COMPUTE_PGM_RSRC2:SCRATCH_EN: 0
; COMPUTE_PGM_RSRC2:USER_SGPR: 15
; COMPUTE_PGM_RSRC2:TRAP_HANDLER: 0
; COMPUTE_PGM_RSRC2:TGID_X_EN: 1
; COMPUTE_PGM_RSRC2:TGID_Y_EN: 0
; COMPUTE_PGM_RSRC2:TGID_Z_EN: 0
; COMPUTE_PGM_RSRC2:TIDIG_COMP_CNT: 0
	.section	.text._ZN7rocprim17ROCPRIM_400000_NS6detail17trampoline_kernelINS0_14default_configENS1_36segmented_radix_sort_config_selectorIalEEZNS1_25segmented_radix_sort_implIS3_Lb0EPKaPaPKlPlN2at6native12_GLOBAL__N_18offset_tEEE10hipError_tPvRmT1_PNSt15iterator_traitsISK_E10value_typeET2_T3_PNSL_ISQ_E10value_typeET4_jRbjT5_SW_jjP12ihipStream_tbEUlT_E1_NS1_11comp_targetILNS1_3genE4ELNS1_11target_archE910ELNS1_3gpuE8ELNS1_3repE0EEENS1_59segmented_radix_sort_warp_sort_small_config_static_selectorELNS0_4arch9wavefront6targetE0EEEvSK_,"axG",@progbits,_ZN7rocprim17ROCPRIM_400000_NS6detail17trampoline_kernelINS0_14default_configENS1_36segmented_radix_sort_config_selectorIalEEZNS1_25segmented_radix_sort_implIS3_Lb0EPKaPaPKlPlN2at6native12_GLOBAL__N_18offset_tEEE10hipError_tPvRmT1_PNSt15iterator_traitsISK_E10value_typeET2_T3_PNSL_ISQ_E10value_typeET4_jRbjT5_SW_jjP12ihipStream_tbEUlT_E1_NS1_11comp_targetILNS1_3genE4ELNS1_11target_archE910ELNS1_3gpuE8ELNS1_3repE0EEENS1_59segmented_radix_sort_warp_sort_small_config_static_selectorELNS0_4arch9wavefront6targetE0EEEvSK_,comdat
	.globl	_ZN7rocprim17ROCPRIM_400000_NS6detail17trampoline_kernelINS0_14default_configENS1_36segmented_radix_sort_config_selectorIalEEZNS1_25segmented_radix_sort_implIS3_Lb0EPKaPaPKlPlN2at6native12_GLOBAL__N_18offset_tEEE10hipError_tPvRmT1_PNSt15iterator_traitsISK_E10value_typeET2_T3_PNSL_ISQ_E10value_typeET4_jRbjT5_SW_jjP12ihipStream_tbEUlT_E1_NS1_11comp_targetILNS1_3genE4ELNS1_11target_archE910ELNS1_3gpuE8ELNS1_3repE0EEENS1_59segmented_radix_sort_warp_sort_small_config_static_selectorELNS0_4arch9wavefront6targetE0EEEvSK_ ; -- Begin function _ZN7rocprim17ROCPRIM_400000_NS6detail17trampoline_kernelINS0_14default_configENS1_36segmented_radix_sort_config_selectorIalEEZNS1_25segmented_radix_sort_implIS3_Lb0EPKaPaPKlPlN2at6native12_GLOBAL__N_18offset_tEEE10hipError_tPvRmT1_PNSt15iterator_traitsISK_E10value_typeET2_T3_PNSL_ISQ_E10value_typeET4_jRbjT5_SW_jjP12ihipStream_tbEUlT_E1_NS1_11comp_targetILNS1_3genE4ELNS1_11target_archE910ELNS1_3gpuE8ELNS1_3repE0EEENS1_59segmented_radix_sort_warp_sort_small_config_static_selectorELNS0_4arch9wavefront6targetE0EEEvSK_
	.p2align	8
	.type	_ZN7rocprim17ROCPRIM_400000_NS6detail17trampoline_kernelINS0_14default_configENS1_36segmented_radix_sort_config_selectorIalEEZNS1_25segmented_radix_sort_implIS3_Lb0EPKaPaPKlPlN2at6native12_GLOBAL__N_18offset_tEEE10hipError_tPvRmT1_PNSt15iterator_traitsISK_E10value_typeET2_T3_PNSL_ISQ_E10value_typeET4_jRbjT5_SW_jjP12ihipStream_tbEUlT_E1_NS1_11comp_targetILNS1_3genE4ELNS1_11target_archE910ELNS1_3gpuE8ELNS1_3repE0EEENS1_59segmented_radix_sort_warp_sort_small_config_static_selectorELNS0_4arch9wavefront6targetE0EEEvSK_,@function
_ZN7rocprim17ROCPRIM_400000_NS6detail17trampoline_kernelINS0_14default_configENS1_36segmented_radix_sort_config_selectorIalEEZNS1_25segmented_radix_sort_implIS3_Lb0EPKaPaPKlPlN2at6native12_GLOBAL__N_18offset_tEEE10hipError_tPvRmT1_PNSt15iterator_traitsISK_E10value_typeET2_T3_PNSL_ISQ_E10value_typeET4_jRbjT5_SW_jjP12ihipStream_tbEUlT_E1_NS1_11comp_targetILNS1_3genE4ELNS1_11target_archE910ELNS1_3gpuE8ELNS1_3repE0EEENS1_59segmented_radix_sort_warp_sort_small_config_static_selectorELNS0_4arch9wavefront6targetE0EEEvSK_: ; @_ZN7rocprim17ROCPRIM_400000_NS6detail17trampoline_kernelINS0_14default_configENS1_36segmented_radix_sort_config_selectorIalEEZNS1_25segmented_radix_sort_implIS3_Lb0EPKaPaPKlPlN2at6native12_GLOBAL__N_18offset_tEEE10hipError_tPvRmT1_PNSt15iterator_traitsISK_E10value_typeET2_T3_PNSL_ISQ_E10value_typeET4_jRbjT5_SW_jjP12ihipStream_tbEUlT_E1_NS1_11comp_targetILNS1_3genE4ELNS1_11target_archE910ELNS1_3gpuE8ELNS1_3repE0EEENS1_59segmented_radix_sort_warp_sort_small_config_static_selectorELNS0_4arch9wavefront6targetE0EEEvSK_
; %bb.0:
	.section	.rodata,"a",@progbits
	.p2align	6, 0x0
	.amdhsa_kernel _ZN7rocprim17ROCPRIM_400000_NS6detail17trampoline_kernelINS0_14default_configENS1_36segmented_radix_sort_config_selectorIalEEZNS1_25segmented_radix_sort_implIS3_Lb0EPKaPaPKlPlN2at6native12_GLOBAL__N_18offset_tEEE10hipError_tPvRmT1_PNSt15iterator_traitsISK_E10value_typeET2_T3_PNSL_ISQ_E10value_typeET4_jRbjT5_SW_jjP12ihipStream_tbEUlT_E1_NS1_11comp_targetILNS1_3genE4ELNS1_11target_archE910ELNS1_3gpuE8ELNS1_3repE0EEENS1_59segmented_radix_sort_warp_sort_small_config_static_selectorELNS0_4arch9wavefront6targetE0EEEvSK_
		.amdhsa_group_segment_fixed_size 0
		.amdhsa_private_segment_fixed_size 0
		.amdhsa_kernarg_size 88
		.amdhsa_user_sgpr_count 15
		.amdhsa_user_sgpr_dispatch_ptr 0
		.amdhsa_user_sgpr_queue_ptr 0
		.amdhsa_user_sgpr_kernarg_segment_ptr 1
		.amdhsa_user_sgpr_dispatch_id 0
		.amdhsa_user_sgpr_private_segment_size 0
		.amdhsa_wavefront_size32 1
		.amdhsa_uses_dynamic_stack 0
		.amdhsa_enable_private_segment 0
		.amdhsa_system_sgpr_workgroup_id_x 1
		.amdhsa_system_sgpr_workgroup_id_y 0
		.amdhsa_system_sgpr_workgroup_id_z 0
		.amdhsa_system_sgpr_workgroup_info 0
		.amdhsa_system_vgpr_workitem_id 0
		.amdhsa_next_free_vgpr 1
		.amdhsa_next_free_sgpr 1
		.amdhsa_reserve_vcc 0
		.amdhsa_float_round_mode_32 0
		.amdhsa_float_round_mode_16_64 0
		.amdhsa_float_denorm_mode_32 3
		.amdhsa_float_denorm_mode_16_64 3
		.amdhsa_dx10_clamp 1
		.amdhsa_ieee_mode 1
		.amdhsa_fp16_overflow 0
		.amdhsa_workgroup_processor_mode 1
		.amdhsa_memory_ordered 1
		.amdhsa_forward_progress 0
		.amdhsa_shared_vgpr_count 0
		.amdhsa_exception_fp_ieee_invalid_op 0
		.amdhsa_exception_fp_denorm_src 0
		.amdhsa_exception_fp_ieee_div_zero 0
		.amdhsa_exception_fp_ieee_overflow 0
		.amdhsa_exception_fp_ieee_underflow 0
		.amdhsa_exception_fp_ieee_inexact 0
		.amdhsa_exception_int_div_zero 0
	.end_amdhsa_kernel
	.section	.text._ZN7rocprim17ROCPRIM_400000_NS6detail17trampoline_kernelINS0_14default_configENS1_36segmented_radix_sort_config_selectorIalEEZNS1_25segmented_radix_sort_implIS3_Lb0EPKaPaPKlPlN2at6native12_GLOBAL__N_18offset_tEEE10hipError_tPvRmT1_PNSt15iterator_traitsISK_E10value_typeET2_T3_PNSL_ISQ_E10value_typeET4_jRbjT5_SW_jjP12ihipStream_tbEUlT_E1_NS1_11comp_targetILNS1_3genE4ELNS1_11target_archE910ELNS1_3gpuE8ELNS1_3repE0EEENS1_59segmented_radix_sort_warp_sort_small_config_static_selectorELNS0_4arch9wavefront6targetE0EEEvSK_,"axG",@progbits,_ZN7rocprim17ROCPRIM_400000_NS6detail17trampoline_kernelINS0_14default_configENS1_36segmented_radix_sort_config_selectorIalEEZNS1_25segmented_radix_sort_implIS3_Lb0EPKaPaPKlPlN2at6native12_GLOBAL__N_18offset_tEEE10hipError_tPvRmT1_PNSt15iterator_traitsISK_E10value_typeET2_T3_PNSL_ISQ_E10value_typeET4_jRbjT5_SW_jjP12ihipStream_tbEUlT_E1_NS1_11comp_targetILNS1_3genE4ELNS1_11target_archE910ELNS1_3gpuE8ELNS1_3repE0EEENS1_59segmented_radix_sort_warp_sort_small_config_static_selectorELNS0_4arch9wavefront6targetE0EEEvSK_,comdat
.Lfunc_end415:
	.size	_ZN7rocprim17ROCPRIM_400000_NS6detail17trampoline_kernelINS0_14default_configENS1_36segmented_radix_sort_config_selectorIalEEZNS1_25segmented_radix_sort_implIS3_Lb0EPKaPaPKlPlN2at6native12_GLOBAL__N_18offset_tEEE10hipError_tPvRmT1_PNSt15iterator_traitsISK_E10value_typeET2_T3_PNSL_ISQ_E10value_typeET4_jRbjT5_SW_jjP12ihipStream_tbEUlT_E1_NS1_11comp_targetILNS1_3genE4ELNS1_11target_archE910ELNS1_3gpuE8ELNS1_3repE0EEENS1_59segmented_radix_sort_warp_sort_small_config_static_selectorELNS0_4arch9wavefront6targetE0EEEvSK_, .Lfunc_end415-_ZN7rocprim17ROCPRIM_400000_NS6detail17trampoline_kernelINS0_14default_configENS1_36segmented_radix_sort_config_selectorIalEEZNS1_25segmented_radix_sort_implIS3_Lb0EPKaPaPKlPlN2at6native12_GLOBAL__N_18offset_tEEE10hipError_tPvRmT1_PNSt15iterator_traitsISK_E10value_typeET2_T3_PNSL_ISQ_E10value_typeET4_jRbjT5_SW_jjP12ihipStream_tbEUlT_E1_NS1_11comp_targetILNS1_3genE4ELNS1_11target_archE910ELNS1_3gpuE8ELNS1_3repE0EEENS1_59segmented_radix_sort_warp_sort_small_config_static_selectorELNS0_4arch9wavefront6targetE0EEEvSK_
                                        ; -- End function
	.section	.AMDGPU.csdata,"",@progbits
; Kernel info:
; codeLenInByte = 0
; NumSgprs: 0
; NumVgprs: 0
; ScratchSize: 0
; MemoryBound: 0
; FloatMode: 240
; IeeeMode: 1
; LDSByteSize: 0 bytes/workgroup (compile time only)
; SGPRBlocks: 0
; VGPRBlocks: 0
; NumSGPRsForWavesPerEU: 1
; NumVGPRsForWavesPerEU: 1
; Occupancy: 16
; WaveLimiterHint : 0
; COMPUTE_PGM_RSRC2:SCRATCH_EN: 0
; COMPUTE_PGM_RSRC2:USER_SGPR: 15
; COMPUTE_PGM_RSRC2:TRAP_HANDLER: 0
; COMPUTE_PGM_RSRC2:TGID_X_EN: 1
; COMPUTE_PGM_RSRC2:TGID_Y_EN: 0
; COMPUTE_PGM_RSRC2:TGID_Z_EN: 0
; COMPUTE_PGM_RSRC2:TIDIG_COMP_CNT: 0
	.section	.text._ZN7rocprim17ROCPRIM_400000_NS6detail17trampoline_kernelINS0_14default_configENS1_36segmented_radix_sort_config_selectorIalEEZNS1_25segmented_radix_sort_implIS3_Lb0EPKaPaPKlPlN2at6native12_GLOBAL__N_18offset_tEEE10hipError_tPvRmT1_PNSt15iterator_traitsISK_E10value_typeET2_T3_PNSL_ISQ_E10value_typeET4_jRbjT5_SW_jjP12ihipStream_tbEUlT_E1_NS1_11comp_targetILNS1_3genE3ELNS1_11target_archE908ELNS1_3gpuE7ELNS1_3repE0EEENS1_59segmented_radix_sort_warp_sort_small_config_static_selectorELNS0_4arch9wavefront6targetE0EEEvSK_,"axG",@progbits,_ZN7rocprim17ROCPRIM_400000_NS6detail17trampoline_kernelINS0_14default_configENS1_36segmented_radix_sort_config_selectorIalEEZNS1_25segmented_radix_sort_implIS3_Lb0EPKaPaPKlPlN2at6native12_GLOBAL__N_18offset_tEEE10hipError_tPvRmT1_PNSt15iterator_traitsISK_E10value_typeET2_T3_PNSL_ISQ_E10value_typeET4_jRbjT5_SW_jjP12ihipStream_tbEUlT_E1_NS1_11comp_targetILNS1_3genE3ELNS1_11target_archE908ELNS1_3gpuE7ELNS1_3repE0EEENS1_59segmented_radix_sort_warp_sort_small_config_static_selectorELNS0_4arch9wavefront6targetE0EEEvSK_,comdat
	.globl	_ZN7rocprim17ROCPRIM_400000_NS6detail17trampoline_kernelINS0_14default_configENS1_36segmented_radix_sort_config_selectorIalEEZNS1_25segmented_radix_sort_implIS3_Lb0EPKaPaPKlPlN2at6native12_GLOBAL__N_18offset_tEEE10hipError_tPvRmT1_PNSt15iterator_traitsISK_E10value_typeET2_T3_PNSL_ISQ_E10value_typeET4_jRbjT5_SW_jjP12ihipStream_tbEUlT_E1_NS1_11comp_targetILNS1_3genE3ELNS1_11target_archE908ELNS1_3gpuE7ELNS1_3repE0EEENS1_59segmented_radix_sort_warp_sort_small_config_static_selectorELNS0_4arch9wavefront6targetE0EEEvSK_ ; -- Begin function _ZN7rocprim17ROCPRIM_400000_NS6detail17trampoline_kernelINS0_14default_configENS1_36segmented_radix_sort_config_selectorIalEEZNS1_25segmented_radix_sort_implIS3_Lb0EPKaPaPKlPlN2at6native12_GLOBAL__N_18offset_tEEE10hipError_tPvRmT1_PNSt15iterator_traitsISK_E10value_typeET2_T3_PNSL_ISQ_E10value_typeET4_jRbjT5_SW_jjP12ihipStream_tbEUlT_E1_NS1_11comp_targetILNS1_3genE3ELNS1_11target_archE908ELNS1_3gpuE7ELNS1_3repE0EEENS1_59segmented_radix_sort_warp_sort_small_config_static_selectorELNS0_4arch9wavefront6targetE0EEEvSK_
	.p2align	8
	.type	_ZN7rocprim17ROCPRIM_400000_NS6detail17trampoline_kernelINS0_14default_configENS1_36segmented_radix_sort_config_selectorIalEEZNS1_25segmented_radix_sort_implIS3_Lb0EPKaPaPKlPlN2at6native12_GLOBAL__N_18offset_tEEE10hipError_tPvRmT1_PNSt15iterator_traitsISK_E10value_typeET2_T3_PNSL_ISQ_E10value_typeET4_jRbjT5_SW_jjP12ihipStream_tbEUlT_E1_NS1_11comp_targetILNS1_3genE3ELNS1_11target_archE908ELNS1_3gpuE7ELNS1_3repE0EEENS1_59segmented_radix_sort_warp_sort_small_config_static_selectorELNS0_4arch9wavefront6targetE0EEEvSK_,@function
_ZN7rocprim17ROCPRIM_400000_NS6detail17trampoline_kernelINS0_14default_configENS1_36segmented_radix_sort_config_selectorIalEEZNS1_25segmented_radix_sort_implIS3_Lb0EPKaPaPKlPlN2at6native12_GLOBAL__N_18offset_tEEE10hipError_tPvRmT1_PNSt15iterator_traitsISK_E10value_typeET2_T3_PNSL_ISQ_E10value_typeET4_jRbjT5_SW_jjP12ihipStream_tbEUlT_E1_NS1_11comp_targetILNS1_3genE3ELNS1_11target_archE908ELNS1_3gpuE7ELNS1_3repE0EEENS1_59segmented_radix_sort_warp_sort_small_config_static_selectorELNS0_4arch9wavefront6targetE0EEEvSK_: ; @_ZN7rocprim17ROCPRIM_400000_NS6detail17trampoline_kernelINS0_14default_configENS1_36segmented_radix_sort_config_selectorIalEEZNS1_25segmented_radix_sort_implIS3_Lb0EPKaPaPKlPlN2at6native12_GLOBAL__N_18offset_tEEE10hipError_tPvRmT1_PNSt15iterator_traitsISK_E10value_typeET2_T3_PNSL_ISQ_E10value_typeET4_jRbjT5_SW_jjP12ihipStream_tbEUlT_E1_NS1_11comp_targetILNS1_3genE3ELNS1_11target_archE908ELNS1_3gpuE7ELNS1_3repE0EEENS1_59segmented_radix_sort_warp_sort_small_config_static_selectorELNS0_4arch9wavefront6targetE0EEEvSK_
; %bb.0:
	.section	.rodata,"a",@progbits
	.p2align	6, 0x0
	.amdhsa_kernel _ZN7rocprim17ROCPRIM_400000_NS6detail17trampoline_kernelINS0_14default_configENS1_36segmented_radix_sort_config_selectorIalEEZNS1_25segmented_radix_sort_implIS3_Lb0EPKaPaPKlPlN2at6native12_GLOBAL__N_18offset_tEEE10hipError_tPvRmT1_PNSt15iterator_traitsISK_E10value_typeET2_T3_PNSL_ISQ_E10value_typeET4_jRbjT5_SW_jjP12ihipStream_tbEUlT_E1_NS1_11comp_targetILNS1_3genE3ELNS1_11target_archE908ELNS1_3gpuE7ELNS1_3repE0EEENS1_59segmented_radix_sort_warp_sort_small_config_static_selectorELNS0_4arch9wavefront6targetE0EEEvSK_
		.amdhsa_group_segment_fixed_size 0
		.amdhsa_private_segment_fixed_size 0
		.amdhsa_kernarg_size 88
		.amdhsa_user_sgpr_count 15
		.amdhsa_user_sgpr_dispatch_ptr 0
		.amdhsa_user_sgpr_queue_ptr 0
		.amdhsa_user_sgpr_kernarg_segment_ptr 1
		.amdhsa_user_sgpr_dispatch_id 0
		.amdhsa_user_sgpr_private_segment_size 0
		.amdhsa_wavefront_size32 1
		.amdhsa_uses_dynamic_stack 0
		.amdhsa_enable_private_segment 0
		.amdhsa_system_sgpr_workgroup_id_x 1
		.amdhsa_system_sgpr_workgroup_id_y 0
		.amdhsa_system_sgpr_workgroup_id_z 0
		.amdhsa_system_sgpr_workgroup_info 0
		.amdhsa_system_vgpr_workitem_id 0
		.amdhsa_next_free_vgpr 1
		.amdhsa_next_free_sgpr 1
		.amdhsa_reserve_vcc 0
		.amdhsa_float_round_mode_32 0
		.amdhsa_float_round_mode_16_64 0
		.amdhsa_float_denorm_mode_32 3
		.amdhsa_float_denorm_mode_16_64 3
		.amdhsa_dx10_clamp 1
		.amdhsa_ieee_mode 1
		.amdhsa_fp16_overflow 0
		.amdhsa_workgroup_processor_mode 1
		.amdhsa_memory_ordered 1
		.amdhsa_forward_progress 0
		.amdhsa_shared_vgpr_count 0
		.amdhsa_exception_fp_ieee_invalid_op 0
		.amdhsa_exception_fp_denorm_src 0
		.amdhsa_exception_fp_ieee_div_zero 0
		.amdhsa_exception_fp_ieee_overflow 0
		.amdhsa_exception_fp_ieee_underflow 0
		.amdhsa_exception_fp_ieee_inexact 0
		.amdhsa_exception_int_div_zero 0
	.end_amdhsa_kernel
	.section	.text._ZN7rocprim17ROCPRIM_400000_NS6detail17trampoline_kernelINS0_14default_configENS1_36segmented_radix_sort_config_selectorIalEEZNS1_25segmented_radix_sort_implIS3_Lb0EPKaPaPKlPlN2at6native12_GLOBAL__N_18offset_tEEE10hipError_tPvRmT1_PNSt15iterator_traitsISK_E10value_typeET2_T3_PNSL_ISQ_E10value_typeET4_jRbjT5_SW_jjP12ihipStream_tbEUlT_E1_NS1_11comp_targetILNS1_3genE3ELNS1_11target_archE908ELNS1_3gpuE7ELNS1_3repE0EEENS1_59segmented_radix_sort_warp_sort_small_config_static_selectorELNS0_4arch9wavefront6targetE0EEEvSK_,"axG",@progbits,_ZN7rocprim17ROCPRIM_400000_NS6detail17trampoline_kernelINS0_14default_configENS1_36segmented_radix_sort_config_selectorIalEEZNS1_25segmented_radix_sort_implIS3_Lb0EPKaPaPKlPlN2at6native12_GLOBAL__N_18offset_tEEE10hipError_tPvRmT1_PNSt15iterator_traitsISK_E10value_typeET2_T3_PNSL_ISQ_E10value_typeET4_jRbjT5_SW_jjP12ihipStream_tbEUlT_E1_NS1_11comp_targetILNS1_3genE3ELNS1_11target_archE908ELNS1_3gpuE7ELNS1_3repE0EEENS1_59segmented_radix_sort_warp_sort_small_config_static_selectorELNS0_4arch9wavefront6targetE0EEEvSK_,comdat
.Lfunc_end416:
	.size	_ZN7rocprim17ROCPRIM_400000_NS6detail17trampoline_kernelINS0_14default_configENS1_36segmented_radix_sort_config_selectorIalEEZNS1_25segmented_radix_sort_implIS3_Lb0EPKaPaPKlPlN2at6native12_GLOBAL__N_18offset_tEEE10hipError_tPvRmT1_PNSt15iterator_traitsISK_E10value_typeET2_T3_PNSL_ISQ_E10value_typeET4_jRbjT5_SW_jjP12ihipStream_tbEUlT_E1_NS1_11comp_targetILNS1_3genE3ELNS1_11target_archE908ELNS1_3gpuE7ELNS1_3repE0EEENS1_59segmented_radix_sort_warp_sort_small_config_static_selectorELNS0_4arch9wavefront6targetE0EEEvSK_, .Lfunc_end416-_ZN7rocprim17ROCPRIM_400000_NS6detail17trampoline_kernelINS0_14default_configENS1_36segmented_radix_sort_config_selectorIalEEZNS1_25segmented_radix_sort_implIS3_Lb0EPKaPaPKlPlN2at6native12_GLOBAL__N_18offset_tEEE10hipError_tPvRmT1_PNSt15iterator_traitsISK_E10value_typeET2_T3_PNSL_ISQ_E10value_typeET4_jRbjT5_SW_jjP12ihipStream_tbEUlT_E1_NS1_11comp_targetILNS1_3genE3ELNS1_11target_archE908ELNS1_3gpuE7ELNS1_3repE0EEENS1_59segmented_radix_sort_warp_sort_small_config_static_selectorELNS0_4arch9wavefront6targetE0EEEvSK_
                                        ; -- End function
	.section	.AMDGPU.csdata,"",@progbits
; Kernel info:
; codeLenInByte = 0
; NumSgprs: 0
; NumVgprs: 0
; ScratchSize: 0
; MemoryBound: 0
; FloatMode: 240
; IeeeMode: 1
; LDSByteSize: 0 bytes/workgroup (compile time only)
; SGPRBlocks: 0
; VGPRBlocks: 0
; NumSGPRsForWavesPerEU: 1
; NumVGPRsForWavesPerEU: 1
; Occupancy: 16
; WaveLimiterHint : 0
; COMPUTE_PGM_RSRC2:SCRATCH_EN: 0
; COMPUTE_PGM_RSRC2:USER_SGPR: 15
; COMPUTE_PGM_RSRC2:TRAP_HANDLER: 0
; COMPUTE_PGM_RSRC2:TGID_X_EN: 1
; COMPUTE_PGM_RSRC2:TGID_Y_EN: 0
; COMPUTE_PGM_RSRC2:TGID_Z_EN: 0
; COMPUTE_PGM_RSRC2:TIDIG_COMP_CNT: 0
	.section	.text._ZN7rocprim17ROCPRIM_400000_NS6detail17trampoline_kernelINS0_14default_configENS1_36segmented_radix_sort_config_selectorIalEEZNS1_25segmented_radix_sort_implIS3_Lb0EPKaPaPKlPlN2at6native12_GLOBAL__N_18offset_tEEE10hipError_tPvRmT1_PNSt15iterator_traitsISK_E10value_typeET2_T3_PNSL_ISQ_E10value_typeET4_jRbjT5_SW_jjP12ihipStream_tbEUlT_E1_NS1_11comp_targetILNS1_3genE2ELNS1_11target_archE906ELNS1_3gpuE6ELNS1_3repE0EEENS1_59segmented_radix_sort_warp_sort_small_config_static_selectorELNS0_4arch9wavefront6targetE0EEEvSK_,"axG",@progbits,_ZN7rocprim17ROCPRIM_400000_NS6detail17trampoline_kernelINS0_14default_configENS1_36segmented_radix_sort_config_selectorIalEEZNS1_25segmented_radix_sort_implIS3_Lb0EPKaPaPKlPlN2at6native12_GLOBAL__N_18offset_tEEE10hipError_tPvRmT1_PNSt15iterator_traitsISK_E10value_typeET2_T3_PNSL_ISQ_E10value_typeET4_jRbjT5_SW_jjP12ihipStream_tbEUlT_E1_NS1_11comp_targetILNS1_3genE2ELNS1_11target_archE906ELNS1_3gpuE6ELNS1_3repE0EEENS1_59segmented_radix_sort_warp_sort_small_config_static_selectorELNS0_4arch9wavefront6targetE0EEEvSK_,comdat
	.globl	_ZN7rocprim17ROCPRIM_400000_NS6detail17trampoline_kernelINS0_14default_configENS1_36segmented_radix_sort_config_selectorIalEEZNS1_25segmented_radix_sort_implIS3_Lb0EPKaPaPKlPlN2at6native12_GLOBAL__N_18offset_tEEE10hipError_tPvRmT1_PNSt15iterator_traitsISK_E10value_typeET2_T3_PNSL_ISQ_E10value_typeET4_jRbjT5_SW_jjP12ihipStream_tbEUlT_E1_NS1_11comp_targetILNS1_3genE2ELNS1_11target_archE906ELNS1_3gpuE6ELNS1_3repE0EEENS1_59segmented_radix_sort_warp_sort_small_config_static_selectorELNS0_4arch9wavefront6targetE0EEEvSK_ ; -- Begin function _ZN7rocprim17ROCPRIM_400000_NS6detail17trampoline_kernelINS0_14default_configENS1_36segmented_radix_sort_config_selectorIalEEZNS1_25segmented_radix_sort_implIS3_Lb0EPKaPaPKlPlN2at6native12_GLOBAL__N_18offset_tEEE10hipError_tPvRmT1_PNSt15iterator_traitsISK_E10value_typeET2_T3_PNSL_ISQ_E10value_typeET4_jRbjT5_SW_jjP12ihipStream_tbEUlT_E1_NS1_11comp_targetILNS1_3genE2ELNS1_11target_archE906ELNS1_3gpuE6ELNS1_3repE0EEENS1_59segmented_radix_sort_warp_sort_small_config_static_selectorELNS0_4arch9wavefront6targetE0EEEvSK_
	.p2align	8
	.type	_ZN7rocprim17ROCPRIM_400000_NS6detail17trampoline_kernelINS0_14default_configENS1_36segmented_radix_sort_config_selectorIalEEZNS1_25segmented_radix_sort_implIS3_Lb0EPKaPaPKlPlN2at6native12_GLOBAL__N_18offset_tEEE10hipError_tPvRmT1_PNSt15iterator_traitsISK_E10value_typeET2_T3_PNSL_ISQ_E10value_typeET4_jRbjT5_SW_jjP12ihipStream_tbEUlT_E1_NS1_11comp_targetILNS1_3genE2ELNS1_11target_archE906ELNS1_3gpuE6ELNS1_3repE0EEENS1_59segmented_radix_sort_warp_sort_small_config_static_selectorELNS0_4arch9wavefront6targetE0EEEvSK_,@function
_ZN7rocprim17ROCPRIM_400000_NS6detail17trampoline_kernelINS0_14default_configENS1_36segmented_radix_sort_config_selectorIalEEZNS1_25segmented_radix_sort_implIS3_Lb0EPKaPaPKlPlN2at6native12_GLOBAL__N_18offset_tEEE10hipError_tPvRmT1_PNSt15iterator_traitsISK_E10value_typeET2_T3_PNSL_ISQ_E10value_typeET4_jRbjT5_SW_jjP12ihipStream_tbEUlT_E1_NS1_11comp_targetILNS1_3genE2ELNS1_11target_archE906ELNS1_3gpuE6ELNS1_3repE0EEENS1_59segmented_radix_sort_warp_sort_small_config_static_selectorELNS0_4arch9wavefront6targetE0EEEvSK_: ; @_ZN7rocprim17ROCPRIM_400000_NS6detail17trampoline_kernelINS0_14default_configENS1_36segmented_radix_sort_config_selectorIalEEZNS1_25segmented_radix_sort_implIS3_Lb0EPKaPaPKlPlN2at6native12_GLOBAL__N_18offset_tEEE10hipError_tPvRmT1_PNSt15iterator_traitsISK_E10value_typeET2_T3_PNSL_ISQ_E10value_typeET4_jRbjT5_SW_jjP12ihipStream_tbEUlT_E1_NS1_11comp_targetILNS1_3genE2ELNS1_11target_archE906ELNS1_3gpuE6ELNS1_3repE0EEENS1_59segmented_radix_sort_warp_sort_small_config_static_selectorELNS0_4arch9wavefront6targetE0EEEvSK_
; %bb.0:
	.section	.rodata,"a",@progbits
	.p2align	6, 0x0
	.amdhsa_kernel _ZN7rocprim17ROCPRIM_400000_NS6detail17trampoline_kernelINS0_14default_configENS1_36segmented_radix_sort_config_selectorIalEEZNS1_25segmented_radix_sort_implIS3_Lb0EPKaPaPKlPlN2at6native12_GLOBAL__N_18offset_tEEE10hipError_tPvRmT1_PNSt15iterator_traitsISK_E10value_typeET2_T3_PNSL_ISQ_E10value_typeET4_jRbjT5_SW_jjP12ihipStream_tbEUlT_E1_NS1_11comp_targetILNS1_3genE2ELNS1_11target_archE906ELNS1_3gpuE6ELNS1_3repE0EEENS1_59segmented_radix_sort_warp_sort_small_config_static_selectorELNS0_4arch9wavefront6targetE0EEEvSK_
		.amdhsa_group_segment_fixed_size 0
		.amdhsa_private_segment_fixed_size 0
		.amdhsa_kernarg_size 88
		.amdhsa_user_sgpr_count 15
		.amdhsa_user_sgpr_dispatch_ptr 0
		.amdhsa_user_sgpr_queue_ptr 0
		.amdhsa_user_sgpr_kernarg_segment_ptr 1
		.amdhsa_user_sgpr_dispatch_id 0
		.amdhsa_user_sgpr_private_segment_size 0
		.amdhsa_wavefront_size32 1
		.amdhsa_uses_dynamic_stack 0
		.amdhsa_enable_private_segment 0
		.amdhsa_system_sgpr_workgroup_id_x 1
		.amdhsa_system_sgpr_workgroup_id_y 0
		.amdhsa_system_sgpr_workgroup_id_z 0
		.amdhsa_system_sgpr_workgroup_info 0
		.amdhsa_system_vgpr_workitem_id 0
		.amdhsa_next_free_vgpr 1
		.amdhsa_next_free_sgpr 1
		.amdhsa_reserve_vcc 0
		.amdhsa_float_round_mode_32 0
		.amdhsa_float_round_mode_16_64 0
		.amdhsa_float_denorm_mode_32 3
		.amdhsa_float_denorm_mode_16_64 3
		.amdhsa_dx10_clamp 1
		.amdhsa_ieee_mode 1
		.amdhsa_fp16_overflow 0
		.amdhsa_workgroup_processor_mode 1
		.amdhsa_memory_ordered 1
		.amdhsa_forward_progress 0
		.amdhsa_shared_vgpr_count 0
		.amdhsa_exception_fp_ieee_invalid_op 0
		.amdhsa_exception_fp_denorm_src 0
		.amdhsa_exception_fp_ieee_div_zero 0
		.amdhsa_exception_fp_ieee_overflow 0
		.amdhsa_exception_fp_ieee_underflow 0
		.amdhsa_exception_fp_ieee_inexact 0
		.amdhsa_exception_int_div_zero 0
	.end_amdhsa_kernel
	.section	.text._ZN7rocprim17ROCPRIM_400000_NS6detail17trampoline_kernelINS0_14default_configENS1_36segmented_radix_sort_config_selectorIalEEZNS1_25segmented_radix_sort_implIS3_Lb0EPKaPaPKlPlN2at6native12_GLOBAL__N_18offset_tEEE10hipError_tPvRmT1_PNSt15iterator_traitsISK_E10value_typeET2_T3_PNSL_ISQ_E10value_typeET4_jRbjT5_SW_jjP12ihipStream_tbEUlT_E1_NS1_11comp_targetILNS1_3genE2ELNS1_11target_archE906ELNS1_3gpuE6ELNS1_3repE0EEENS1_59segmented_radix_sort_warp_sort_small_config_static_selectorELNS0_4arch9wavefront6targetE0EEEvSK_,"axG",@progbits,_ZN7rocprim17ROCPRIM_400000_NS6detail17trampoline_kernelINS0_14default_configENS1_36segmented_radix_sort_config_selectorIalEEZNS1_25segmented_radix_sort_implIS3_Lb0EPKaPaPKlPlN2at6native12_GLOBAL__N_18offset_tEEE10hipError_tPvRmT1_PNSt15iterator_traitsISK_E10value_typeET2_T3_PNSL_ISQ_E10value_typeET4_jRbjT5_SW_jjP12ihipStream_tbEUlT_E1_NS1_11comp_targetILNS1_3genE2ELNS1_11target_archE906ELNS1_3gpuE6ELNS1_3repE0EEENS1_59segmented_radix_sort_warp_sort_small_config_static_selectorELNS0_4arch9wavefront6targetE0EEEvSK_,comdat
.Lfunc_end417:
	.size	_ZN7rocprim17ROCPRIM_400000_NS6detail17trampoline_kernelINS0_14default_configENS1_36segmented_radix_sort_config_selectorIalEEZNS1_25segmented_radix_sort_implIS3_Lb0EPKaPaPKlPlN2at6native12_GLOBAL__N_18offset_tEEE10hipError_tPvRmT1_PNSt15iterator_traitsISK_E10value_typeET2_T3_PNSL_ISQ_E10value_typeET4_jRbjT5_SW_jjP12ihipStream_tbEUlT_E1_NS1_11comp_targetILNS1_3genE2ELNS1_11target_archE906ELNS1_3gpuE6ELNS1_3repE0EEENS1_59segmented_radix_sort_warp_sort_small_config_static_selectorELNS0_4arch9wavefront6targetE0EEEvSK_, .Lfunc_end417-_ZN7rocprim17ROCPRIM_400000_NS6detail17trampoline_kernelINS0_14default_configENS1_36segmented_radix_sort_config_selectorIalEEZNS1_25segmented_radix_sort_implIS3_Lb0EPKaPaPKlPlN2at6native12_GLOBAL__N_18offset_tEEE10hipError_tPvRmT1_PNSt15iterator_traitsISK_E10value_typeET2_T3_PNSL_ISQ_E10value_typeET4_jRbjT5_SW_jjP12ihipStream_tbEUlT_E1_NS1_11comp_targetILNS1_3genE2ELNS1_11target_archE906ELNS1_3gpuE6ELNS1_3repE0EEENS1_59segmented_radix_sort_warp_sort_small_config_static_selectorELNS0_4arch9wavefront6targetE0EEEvSK_
                                        ; -- End function
	.section	.AMDGPU.csdata,"",@progbits
; Kernel info:
; codeLenInByte = 0
; NumSgprs: 0
; NumVgprs: 0
; ScratchSize: 0
; MemoryBound: 0
; FloatMode: 240
; IeeeMode: 1
; LDSByteSize: 0 bytes/workgroup (compile time only)
; SGPRBlocks: 0
; VGPRBlocks: 0
; NumSGPRsForWavesPerEU: 1
; NumVGPRsForWavesPerEU: 1
; Occupancy: 16
; WaveLimiterHint : 0
; COMPUTE_PGM_RSRC2:SCRATCH_EN: 0
; COMPUTE_PGM_RSRC2:USER_SGPR: 15
; COMPUTE_PGM_RSRC2:TRAP_HANDLER: 0
; COMPUTE_PGM_RSRC2:TGID_X_EN: 1
; COMPUTE_PGM_RSRC2:TGID_Y_EN: 0
; COMPUTE_PGM_RSRC2:TGID_Z_EN: 0
; COMPUTE_PGM_RSRC2:TIDIG_COMP_CNT: 0
	.section	.text._ZN7rocprim17ROCPRIM_400000_NS6detail17trampoline_kernelINS0_14default_configENS1_36segmented_radix_sort_config_selectorIalEEZNS1_25segmented_radix_sort_implIS3_Lb0EPKaPaPKlPlN2at6native12_GLOBAL__N_18offset_tEEE10hipError_tPvRmT1_PNSt15iterator_traitsISK_E10value_typeET2_T3_PNSL_ISQ_E10value_typeET4_jRbjT5_SW_jjP12ihipStream_tbEUlT_E1_NS1_11comp_targetILNS1_3genE10ELNS1_11target_archE1201ELNS1_3gpuE5ELNS1_3repE0EEENS1_59segmented_radix_sort_warp_sort_small_config_static_selectorELNS0_4arch9wavefront6targetE0EEEvSK_,"axG",@progbits,_ZN7rocprim17ROCPRIM_400000_NS6detail17trampoline_kernelINS0_14default_configENS1_36segmented_radix_sort_config_selectorIalEEZNS1_25segmented_radix_sort_implIS3_Lb0EPKaPaPKlPlN2at6native12_GLOBAL__N_18offset_tEEE10hipError_tPvRmT1_PNSt15iterator_traitsISK_E10value_typeET2_T3_PNSL_ISQ_E10value_typeET4_jRbjT5_SW_jjP12ihipStream_tbEUlT_E1_NS1_11comp_targetILNS1_3genE10ELNS1_11target_archE1201ELNS1_3gpuE5ELNS1_3repE0EEENS1_59segmented_radix_sort_warp_sort_small_config_static_selectorELNS0_4arch9wavefront6targetE0EEEvSK_,comdat
	.globl	_ZN7rocprim17ROCPRIM_400000_NS6detail17trampoline_kernelINS0_14default_configENS1_36segmented_radix_sort_config_selectorIalEEZNS1_25segmented_radix_sort_implIS3_Lb0EPKaPaPKlPlN2at6native12_GLOBAL__N_18offset_tEEE10hipError_tPvRmT1_PNSt15iterator_traitsISK_E10value_typeET2_T3_PNSL_ISQ_E10value_typeET4_jRbjT5_SW_jjP12ihipStream_tbEUlT_E1_NS1_11comp_targetILNS1_3genE10ELNS1_11target_archE1201ELNS1_3gpuE5ELNS1_3repE0EEENS1_59segmented_radix_sort_warp_sort_small_config_static_selectorELNS0_4arch9wavefront6targetE0EEEvSK_ ; -- Begin function _ZN7rocprim17ROCPRIM_400000_NS6detail17trampoline_kernelINS0_14default_configENS1_36segmented_radix_sort_config_selectorIalEEZNS1_25segmented_radix_sort_implIS3_Lb0EPKaPaPKlPlN2at6native12_GLOBAL__N_18offset_tEEE10hipError_tPvRmT1_PNSt15iterator_traitsISK_E10value_typeET2_T3_PNSL_ISQ_E10value_typeET4_jRbjT5_SW_jjP12ihipStream_tbEUlT_E1_NS1_11comp_targetILNS1_3genE10ELNS1_11target_archE1201ELNS1_3gpuE5ELNS1_3repE0EEENS1_59segmented_radix_sort_warp_sort_small_config_static_selectorELNS0_4arch9wavefront6targetE0EEEvSK_
	.p2align	8
	.type	_ZN7rocprim17ROCPRIM_400000_NS6detail17trampoline_kernelINS0_14default_configENS1_36segmented_radix_sort_config_selectorIalEEZNS1_25segmented_radix_sort_implIS3_Lb0EPKaPaPKlPlN2at6native12_GLOBAL__N_18offset_tEEE10hipError_tPvRmT1_PNSt15iterator_traitsISK_E10value_typeET2_T3_PNSL_ISQ_E10value_typeET4_jRbjT5_SW_jjP12ihipStream_tbEUlT_E1_NS1_11comp_targetILNS1_3genE10ELNS1_11target_archE1201ELNS1_3gpuE5ELNS1_3repE0EEENS1_59segmented_radix_sort_warp_sort_small_config_static_selectorELNS0_4arch9wavefront6targetE0EEEvSK_,@function
_ZN7rocprim17ROCPRIM_400000_NS6detail17trampoline_kernelINS0_14default_configENS1_36segmented_radix_sort_config_selectorIalEEZNS1_25segmented_radix_sort_implIS3_Lb0EPKaPaPKlPlN2at6native12_GLOBAL__N_18offset_tEEE10hipError_tPvRmT1_PNSt15iterator_traitsISK_E10value_typeET2_T3_PNSL_ISQ_E10value_typeET4_jRbjT5_SW_jjP12ihipStream_tbEUlT_E1_NS1_11comp_targetILNS1_3genE10ELNS1_11target_archE1201ELNS1_3gpuE5ELNS1_3repE0EEENS1_59segmented_radix_sort_warp_sort_small_config_static_selectorELNS0_4arch9wavefront6targetE0EEEvSK_: ; @_ZN7rocprim17ROCPRIM_400000_NS6detail17trampoline_kernelINS0_14default_configENS1_36segmented_radix_sort_config_selectorIalEEZNS1_25segmented_radix_sort_implIS3_Lb0EPKaPaPKlPlN2at6native12_GLOBAL__N_18offset_tEEE10hipError_tPvRmT1_PNSt15iterator_traitsISK_E10value_typeET2_T3_PNSL_ISQ_E10value_typeET4_jRbjT5_SW_jjP12ihipStream_tbEUlT_E1_NS1_11comp_targetILNS1_3genE10ELNS1_11target_archE1201ELNS1_3gpuE5ELNS1_3repE0EEENS1_59segmented_radix_sort_warp_sort_small_config_static_selectorELNS0_4arch9wavefront6targetE0EEEvSK_
; %bb.0:
	.section	.rodata,"a",@progbits
	.p2align	6, 0x0
	.amdhsa_kernel _ZN7rocprim17ROCPRIM_400000_NS6detail17trampoline_kernelINS0_14default_configENS1_36segmented_radix_sort_config_selectorIalEEZNS1_25segmented_radix_sort_implIS3_Lb0EPKaPaPKlPlN2at6native12_GLOBAL__N_18offset_tEEE10hipError_tPvRmT1_PNSt15iterator_traitsISK_E10value_typeET2_T3_PNSL_ISQ_E10value_typeET4_jRbjT5_SW_jjP12ihipStream_tbEUlT_E1_NS1_11comp_targetILNS1_3genE10ELNS1_11target_archE1201ELNS1_3gpuE5ELNS1_3repE0EEENS1_59segmented_radix_sort_warp_sort_small_config_static_selectorELNS0_4arch9wavefront6targetE0EEEvSK_
		.amdhsa_group_segment_fixed_size 0
		.amdhsa_private_segment_fixed_size 0
		.amdhsa_kernarg_size 88
		.amdhsa_user_sgpr_count 15
		.amdhsa_user_sgpr_dispatch_ptr 0
		.amdhsa_user_sgpr_queue_ptr 0
		.amdhsa_user_sgpr_kernarg_segment_ptr 1
		.amdhsa_user_sgpr_dispatch_id 0
		.amdhsa_user_sgpr_private_segment_size 0
		.amdhsa_wavefront_size32 1
		.amdhsa_uses_dynamic_stack 0
		.amdhsa_enable_private_segment 0
		.amdhsa_system_sgpr_workgroup_id_x 1
		.amdhsa_system_sgpr_workgroup_id_y 0
		.amdhsa_system_sgpr_workgroup_id_z 0
		.amdhsa_system_sgpr_workgroup_info 0
		.amdhsa_system_vgpr_workitem_id 0
		.amdhsa_next_free_vgpr 1
		.amdhsa_next_free_sgpr 1
		.amdhsa_reserve_vcc 0
		.amdhsa_float_round_mode_32 0
		.amdhsa_float_round_mode_16_64 0
		.amdhsa_float_denorm_mode_32 3
		.amdhsa_float_denorm_mode_16_64 3
		.amdhsa_dx10_clamp 1
		.amdhsa_ieee_mode 1
		.amdhsa_fp16_overflow 0
		.amdhsa_workgroup_processor_mode 1
		.amdhsa_memory_ordered 1
		.amdhsa_forward_progress 0
		.amdhsa_shared_vgpr_count 0
		.amdhsa_exception_fp_ieee_invalid_op 0
		.amdhsa_exception_fp_denorm_src 0
		.amdhsa_exception_fp_ieee_div_zero 0
		.amdhsa_exception_fp_ieee_overflow 0
		.amdhsa_exception_fp_ieee_underflow 0
		.amdhsa_exception_fp_ieee_inexact 0
		.amdhsa_exception_int_div_zero 0
	.end_amdhsa_kernel
	.section	.text._ZN7rocprim17ROCPRIM_400000_NS6detail17trampoline_kernelINS0_14default_configENS1_36segmented_radix_sort_config_selectorIalEEZNS1_25segmented_radix_sort_implIS3_Lb0EPKaPaPKlPlN2at6native12_GLOBAL__N_18offset_tEEE10hipError_tPvRmT1_PNSt15iterator_traitsISK_E10value_typeET2_T3_PNSL_ISQ_E10value_typeET4_jRbjT5_SW_jjP12ihipStream_tbEUlT_E1_NS1_11comp_targetILNS1_3genE10ELNS1_11target_archE1201ELNS1_3gpuE5ELNS1_3repE0EEENS1_59segmented_radix_sort_warp_sort_small_config_static_selectorELNS0_4arch9wavefront6targetE0EEEvSK_,"axG",@progbits,_ZN7rocprim17ROCPRIM_400000_NS6detail17trampoline_kernelINS0_14default_configENS1_36segmented_radix_sort_config_selectorIalEEZNS1_25segmented_radix_sort_implIS3_Lb0EPKaPaPKlPlN2at6native12_GLOBAL__N_18offset_tEEE10hipError_tPvRmT1_PNSt15iterator_traitsISK_E10value_typeET2_T3_PNSL_ISQ_E10value_typeET4_jRbjT5_SW_jjP12ihipStream_tbEUlT_E1_NS1_11comp_targetILNS1_3genE10ELNS1_11target_archE1201ELNS1_3gpuE5ELNS1_3repE0EEENS1_59segmented_radix_sort_warp_sort_small_config_static_selectorELNS0_4arch9wavefront6targetE0EEEvSK_,comdat
.Lfunc_end418:
	.size	_ZN7rocprim17ROCPRIM_400000_NS6detail17trampoline_kernelINS0_14default_configENS1_36segmented_radix_sort_config_selectorIalEEZNS1_25segmented_radix_sort_implIS3_Lb0EPKaPaPKlPlN2at6native12_GLOBAL__N_18offset_tEEE10hipError_tPvRmT1_PNSt15iterator_traitsISK_E10value_typeET2_T3_PNSL_ISQ_E10value_typeET4_jRbjT5_SW_jjP12ihipStream_tbEUlT_E1_NS1_11comp_targetILNS1_3genE10ELNS1_11target_archE1201ELNS1_3gpuE5ELNS1_3repE0EEENS1_59segmented_radix_sort_warp_sort_small_config_static_selectorELNS0_4arch9wavefront6targetE0EEEvSK_, .Lfunc_end418-_ZN7rocprim17ROCPRIM_400000_NS6detail17trampoline_kernelINS0_14default_configENS1_36segmented_radix_sort_config_selectorIalEEZNS1_25segmented_radix_sort_implIS3_Lb0EPKaPaPKlPlN2at6native12_GLOBAL__N_18offset_tEEE10hipError_tPvRmT1_PNSt15iterator_traitsISK_E10value_typeET2_T3_PNSL_ISQ_E10value_typeET4_jRbjT5_SW_jjP12ihipStream_tbEUlT_E1_NS1_11comp_targetILNS1_3genE10ELNS1_11target_archE1201ELNS1_3gpuE5ELNS1_3repE0EEENS1_59segmented_radix_sort_warp_sort_small_config_static_selectorELNS0_4arch9wavefront6targetE0EEEvSK_
                                        ; -- End function
	.section	.AMDGPU.csdata,"",@progbits
; Kernel info:
; codeLenInByte = 0
; NumSgprs: 0
; NumVgprs: 0
; ScratchSize: 0
; MemoryBound: 0
; FloatMode: 240
; IeeeMode: 1
; LDSByteSize: 0 bytes/workgroup (compile time only)
; SGPRBlocks: 0
; VGPRBlocks: 0
; NumSGPRsForWavesPerEU: 1
; NumVGPRsForWavesPerEU: 1
; Occupancy: 16
; WaveLimiterHint : 0
; COMPUTE_PGM_RSRC2:SCRATCH_EN: 0
; COMPUTE_PGM_RSRC2:USER_SGPR: 15
; COMPUTE_PGM_RSRC2:TRAP_HANDLER: 0
; COMPUTE_PGM_RSRC2:TGID_X_EN: 1
; COMPUTE_PGM_RSRC2:TGID_Y_EN: 0
; COMPUTE_PGM_RSRC2:TGID_Z_EN: 0
; COMPUTE_PGM_RSRC2:TIDIG_COMP_CNT: 0
	.section	.text._ZN7rocprim17ROCPRIM_400000_NS6detail17trampoline_kernelINS0_14default_configENS1_36segmented_radix_sort_config_selectorIalEEZNS1_25segmented_radix_sort_implIS3_Lb0EPKaPaPKlPlN2at6native12_GLOBAL__N_18offset_tEEE10hipError_tPvRmT1_PNSt15iterator_traitsISK_E10value_typeET2_T3_PNSL_ISQ_E10value_typeET4_jRbjT5_SW_jjP12ihipStream_tbEUlT_E1_NS1_11comp_targetILNS1_3genE10ELNS1_11target_archE1200ELNS1_3gpuE4ELNS1_3repE0EEENS1_59segmented_radix_sort_warp_sort_small_config_static_selectorELNS0_4arch9wavefront6targetE0EEEvSK_,"axG",@progbits,_ZN7rocprim17ROCPRIM_400000_NS6detail17trampoline_kernelINS0_14default_configENS1_36segmented_radix_sort_config_selectorIalEEZNS1_25segmented_radix_sort_implIS3_Lb0EPKaPaPKlPlN2at6native12_GLOBAL__N_18offset_tEEE10hipError_tPvRmT1_PNSt15iterator_traitsISK_E10value_typeET2_T3_PNSL_ISQ_E10value_typeET4_jRbjT5_SW_jjP12ihipStream_tbEUlT_E1_NS1_11comp_targetILNS1_3genE10ELNS1_11target_archE1200ELNS1_3gpuE4ELNS1_3repE0EEENS1_59segmented_radix_sort_warp_sort_small_config_static_selectorELNS0_4arch9wavefront6targetE0EEEvSK_,comdat
	.globl	_ZN7rocprim17ROCPRIM_400000_NS6detail17trampoline_kernelINS0_14default_configENS1_36segmented_radix_sort_config_selectorIalEEZNS1_25segmented_radix_sort_implIS3_Lb0EPKaPaPKlPlN2at6native12_GLOBAL__N_18offset_tEEE10hipError_tPvRmT1_PNSt15iterator_traitsISK_E10value_typeET2_T3_PNSL_ISQ_E10value_typeET4_jRbjT5_SW_jjP12ihipStream_tbEUlT_E1_NS1_11comp_targetILNS1_3genE10ELNS1_11target_archE1200ELNS1_3gpuE4ELNS1_3repE0EEENS1_59segmented_radix_sort_warp_sort_small_config_static_selectorELNS0_4arch9wavefront6targetE0EEEvSK_ ; -- Begin function _ZN7rocprim17ROCPRIM_400000_NS6detail17trampoline_kernelINS0_14default_configENS1_36segmented_radix_sort_config_selectorIalEEZNS1_25segmented_radix_sort_implIS3_Lb0EPKaPaPKlPlN2at6native12_GLOBAL__N_18offset_tEEE10hipError_tPvRmT1_PNSt15iterator_traitsISK_E10value_typeET2_T3_PNSL_ISQ_E10value_typeET4_jRbjT5_SW_jjP12ihipStream_tbEUlT_E1_NS1_11comp_targetILNS1_3genE10ELNS1_11target_archE1200ELNS1_3gpuE4ELNS1_3repE0EEENS1_59segmented_radix_sort_warp_sort_small_config_static_selectorELNS0_4arch9wavefront6targetE0EEEvSK_
	.p2align	8
	.type	_ZN7rocprim17ROCPRIM_400000_NS6detail17trampoline_kernelINS0_14default_configENS1_36segmented_radix_sort_config_selectorIalEEZNS1_25segmented_radix_sort_implIS3_Lb0EPKaPaPKlPlN2at6native12_GLOBAL__N_18offset_tEEE10hipError_tPvRmT1_PNSt15iterator_traitsISK_E10value_typeET2_T3_PNSL_ISQ_E10value_typeET4_jRbjT5_SW_jjP12ihipStream_tbEUlT_E1_NS1_11comp_targetILNS1_3genE10ELNS1_11target_archE1200ELNS1_3gpuE4ELNS1_3repE0EEENS1_59segmented_radix_sort_warp_sort_small_config_static_selectorELNS0_4arch9wavefront6targetE0EEEvSK_,@function
_ZN7rocprim17ROCPRIM_400000_NS6detail17trampoline_kernelINS0_14default_configENS1_36segmented_radix_sort_config_selectorIalEEZNS1_25segmented_radix_sort_implIS3_Lb0EPKaPaPKlPlN2at6native12_GLOBAL__N_18offset_tEEE10hipError_tPvRmT1_PNSt15iterator_traitsISK_E10value_typeET2_T3_PNSL_ISQ_E10value_typeET4_jRbjT5_SW_jjP12ihipStream_tbEUlT_E1_NS1_11comp_targetILNS1_3genE10ELNS1_11target_archE1200ELNS1_3gpuE4ELNS1_3repE0EEENS1_59segmented_radix_sort_warp_sort_small_config_static_selectorELNS0_4arch9wavefront6targetE0EEEvSK_: ; @_ZN7rocprim17ROCPRIM_400000_NS6detail17trampoline_kernelINS0_14default_configENS1_36segmented_radix_sort_config_selectorIalEEZNS1_25segmented_radix_sort_implIS3_Lb0EPKaPaPKlPlN2at6native12_GLOBAL__N_18offset_tEEE10hipError_tPvRmT1_PNSt15iterator_traitsISK_E10value_typeET2_T3_PNSL_ISQ_E10value_typeET4_jRbjT5_SW_jjP12ihipStream_tbEUlT_E1_NS1_11comp_targetILNS1_3genE10ELNS1_11target_archE1200ELNS1_3gpuE4ELNS1_3repE0EEENS1_59segmented_radix_sort_warp_sort_small_config_static_selectorELNS0_4arch9wavefront6targetE0EEEvSK_
; %bb.0:
	.section	.rodata,"a",@progbits
	.p2align	6, 0x0
	.amdhsa_kernel _ZN7rocprim17ROCPRIM_400000_NS6detail17trampoline_kernelINS0_14default_configENS1_36segmented_radix_sort_config_selectorIalEEZNS1_25segmented_radix_sort_implIS3_Lb0EPKaPaPKlPlN2at6native12_GLOBAL__N_18offset_tEEE10hipError_tPvRmT1_PNSt15iterator_traitsISK_E10value_typeET2_T3_PNSL_ISQ_E10value_typeET4_jRbjT5_SW_jjP12ihipStream_tbEUlT_E1_NS1_11comp_targetILNS1_3genE10ELNS1_11target_archE1200ELNS1_3gpuE4ELNS1_3repE0EEENS1_59segmented_radix_sort_warp_sort_small_config_static_selectorELNS0_4arch9wavefront6targetE0EEEvSK_
		.amdhsa_group_segment_fixed_size 0
		.amdhsa_private_segment_fixed_size 0
		.amdhsa_kernarg_size 88
		.amdhsa_user_sgpr_count 15
		.amdhsa_user_sgpr_dispatch_ptr 0
		.amdhsa_user_sgpr_queue_ptr 0
		.amdhsa_user_sgpr_kernarg_segment_ptr 1
		.amdhsa_user_sgpr_dispatch_id 0
		.amdhsa_user_sgpr_private_segment_size 0
		.amdhsa_wavefront_size32 1
		.amdhsa_uses_dynamic_stack 0
		.amdhsa_enable_private_segment 0
		.amdhsa_system_sgpr_workgroup_id_x 1
		.amdhsa_system_sgpr_workgroup_id_y 0
		.amdhsa_system_sgpr_workgroup_id_z 0
		.amdhsa_system_sgpr_workgroup_info 0
		.amdhsa_system_vgpr_workitem_id 0
		.amdhsa_next_free_vgpr 1
		.amdhsa_next_free_sgpr 1
		.amdhsa_reserve_vcc 0
		.amdhsa_float_round_mode_32 0
		.amdhsa_float_round_mode_16_64 0
		.amdhsa_float_denorm_mode_32 3
		.amdhsa_float_denorm_mode_16_64 3
		.amdhsa_dx10_clamp 1
		.amdhsa_ieee_mode 1
		.amdhsa_fp16_overflow 0
		.amdhsa_workgroup_processor_mode 1
		.amdhsa_memory_ordered 1
		.amdhsa_forward_progress 0
		.amdhsa_shared_vgpr_count 0
		.amdhsa_exception_fp_ieee_invalid_op 0
		.amdhsa_exception_fp_denorm_src 0
		.amdhsa_exception_fp_ieee_div_zero 0
		.amdhsa_exception_fp_ieee_overflow 0
		.amdhsa_exception_fp_ieee_underflow 0
		.amdhsa_exception_fp_ieee_inexact 0
		.amdhsa_exception_int_div_zero 0
	.end_amdhsa_kernel
	.section	.text._ZN7rocprim17ROCPRIM_400000_NS6detail17trampoline_kernelINS0_14default_configENS1_36segmented_radix_sort_config_selectorIalEEZNS1_25segmented_radix_sort_implIS3_Lb0EPKaPaPKlPlN2at6native12_GLOBAL__N_18offset_tEEE10hipError_tPvRmT1_PNSt15iterator_traitsISK_E10value_typeET2_T3_PNSL_ISQ_E10value_typeET4_jRbjT5_SW_jjP12ihipStream_tbEUlT_E1_NS1_11comp_targetILNS1_3genE10ELNS1_11target_archE1200ELNS1_3gpuE4ELNS1_3repE0EEENS1_59segmented_radix_sort_warp_sort_small_config_static_selectorELNS0_4arch9wavefront6targetE0EEEvSK_,"axG",@progbits,_ZN7rocprim17ROCPRIM_400000_NS6detail17trampoline_kernelINS0_14default_configENS1_36segmented_radix_sort_config_selectorIalEEZNS1_25segmented_radix_sort_implIS3_Lb0EPKaPaPKlPlN2at6native12_GLOBAL__N_18offset_tEEE10hipError_tPvRmT1_PNSt15iterator_traitsISK_E10value_typeET2_T3_PNSL_ISQ_E10value_typeET4_jRbjT5_SW_jjP12ihipStream_tbEUlT_E1_NS1_11comp_targetILNS1_3genE10ELNS1_11target_archE1200ELNS1_3gpuE4ELNS1_3repE0EEENS1_59segmented_radix_sort_warp_sort_small_config_static_selectorELNS0_4arch9wavefront6targetE0EEEvSK_,comdat
.Lfunc_end419:
	.size	_ZN7rocprim17ROCPRIM_400000_NS6detail17trampoline_kernelINS0_14default_configENS1_36segmented_radix_sort_config_selectorIalEEZNS1_25segmented_radix_sort_implIS3_Lb0EPKaPaPKlPlN2at6native12_GLOBAL__N_18offset_tEEE10hipError_tPvRmT1_PNSt15iterator_traitsISK_E10value_typeET2_T3_PNSL_ISQ_E10value_typeET4_jRbjT5_SW_jjP12ihipStream_tbEUlT_E1_NS1_11comp_targetILNS1_3genE10ELNS1_11target_archE1200ELNS1_3gpuE4ELNS1_3repE0EEENS1_59segmented_radix_sort_warp_sort_small_config_static_selectorELNS0_4arch9wavefront6targetE0EEEvSK_, .Lfunc_end419-_ZN7rocprim17ROCPRIM_400000_NS6detail17trampoline_kernelINS0_14default_configENS1_36segmented_radix_sort_config_selectorIalEEZNS1_25segmented_radix_sort_implIS3_Lb0EPKaPaPKlPlN2at6native12_GLOBAL__N_18offset_tEEE10hipError_tPvRmT1_PNSt15iterator_traitsISK_E10value_typeET2_T3_PNSL_ISQ_E10value_typeET4_jRbjT5_SW_jjP12ihipStream_tbEUlT_E1_NS1_11comp_targetILNS1_3genE10ELNS1_11target_archE1200ELNS1_3gpuE4ELNS1_3repE0EEENS1_59segmented_radix_sort_warp_sort_small_config_static_selectorELNS0_4arch9wavefront6targetE0EEEvSK_
                                        ; -- End function
	.section	.AMDGPU.csdata,"",@progbits
; Kernel info:
; codeLenInByte = 0
; NumSgprs: 0
; NumVgprs: 0
; ScratchSize: 0
; MemoryBound: 0
; FloatMode: 240
; IeeeMode: 1
; LDSByteSize: 0 bytes/workgroup (compile time only)
; SGPRBlocks: 0
; VGPRBlocks: 0
; NumSGPRsForWavesPerEU: 1
; NumVGPRsForWavesPerEU: 1
; Occupancy: 16
; WaveLimiterHint : 0
; COMPUTE_PGM_RSRC2:SCRATCH_EN: 0
; COMPUTE_PGM_RSRC2:USER_SGPR: 15
; COMPUTE_PGM_RSRC2:TRAP_HANDLER: 0
; COMPUTE_PGM_RSRC2:TGID_X_EN: 1
; COMPUTE_PGM_RSRC2:TGID_Y_EN: 0
; COMPUTE_PGM_RSRC2:TGID_Z_EN: 0
; COMPUTE_PGM_RSRC2:TIDIG_COMP_CNT: 0
	.text
	.p2align	2                               ; -- Begin function _ZN7rocprim17ROCPRIM_400000_NS6detail26segmented_warp_sort_helperINS1_20WarpSortHelperConfigILj8ELj4ELj256EEEalLi256ELb0EvE4sortIPKaPaPKlPlEEvT_T0_T1_T2_jjjjRNS5_12storage_typeE
	.type	_ZN7rocprim17ROCPRIM_400000_NS6detail26segmented_warp_sort_helperINS1_20WarpSortHelperConfigILj8ELj4ELj256EEEalLi256ELb0EvE4sortIPKaPaPKlPlEEvT_T0_T1_T2_jjjjRNS5_12storage_typeE,@function
_ZN7rocprim17ROCPRIM_400000_NS6detail26segmented_warp_sort_helperINS1_20WarpSortHelperConfigILj8ELj4ELj256EEEalLi256ELb0EvE4sortIPKaPaPKlPlEEvT_T0_T1_T2_jjjjRNS5_12storage_typeE: ; @_ZN7rocprim17ROCPRIM_400000_NS6detail26segmented_warp_sort_helperINS1_20WarpSortHelperConfigILj8ELj4ELj256EEEalLi256ELb0EvE4sortIPKaPaPKlPlEEvT_T0_T1_T2_jjjjRNS5_12storage_typeE
; %bb.0:
	s_waitcnt vmcnt(0) expcnt(0) lgkmcnt(0)
	v_mbcnt_lo_u32_b32 v14, -1, 0
	v_add_co_u32 v0, vcc_lo, v0, v8
	v_add_co_ci_u32_e32 v1, vcc_lo, 0, v1, vcc_lo
	s_delay_alu instid0(VALU_DEP_3) | instskip(SKIP_2) | instid1(VALU_DEP_3)
	v_lshlrev_b32_e32 v28, 2, v14
	v_sub_nc_u32_e32 v14, v9, v8
	v_dual_mov_b32 v9, 0 :: v_dual_mov_b32 v32, 0x7f
	v_dual_mov_b32 v33, 0x7f :: v_dual_and_b32 v26, 28, v28
	v_dual_mov_b32 v29, 0x7f :: v_dual_mov_b32 v30, 0x7f
	s_delay_alu instid0(VALU_DEP_2)
	v_add_co_u32 v0, vcc_lo, v0, v26
	v_add_co_ci_u32_e32 v1, vcc_lo, 0, v1, vcc_lo
	v_cmp_lt_u32_e32 vcc_lo, v26, v14
	s_and_saveexec_b32 s0, vcc_lo
	s_cbranch_execz .LBB420_2
; %bb.1:
	flat_load_u8 v29, v[0:1]
	v_dual_mov_b32 v30, 0x7f :: v_dual_mov_b32 v33, 0x7f
	v_mov_b32_e32 v32, 0x7f
.LBB420_2:
	s_or_b32 exec_lo, exec_lo, s0
	v_or_b32_e32 v15, 1, v26
	s_delay_alu instid0(VALU_DEP_1) | instskip(NEXT) | instid1(VALU_DEP_1)
	v_cmp_lt_u32_e64 s0, v15, v14
	s_and_saveexec_b32 s1, s0
	s_cbranch_execz .LBB420_4
; %bb.3:
	flat_load_u8 v30, v[0:1] offset:1
.LBB420_4:
	s_or_b32 exec_lo, exec_lo, s1
	v_or_b32_e32 v15, 2, v26
	s_delay_alu instid0(VALU_DEP_1) | instskip(NEXT) | instid1(VALU_DEP_1)
	v_cmp_lt_u32_e64 s1, v15, v14
	s_and_saveexec_b32 s2, s1
	s_cbranch_execz .LBB420_6
; %bb.5:
	flat_load_u8 v33, v[0:1] offset:2
.LBB420_6:
	;; [unrolled: 9-line block ×3, first 2 shown]
	s_or_b32 exec_lo, exec_lo, s3
	v_lshlrev_b64 v[0:1], 3, v[8:9]
	v_lshlrev_b32_e32 v27, 3, v26
	; wave barrier
                                        ; implicit-def: $vgpr14_vgpr15
	s_delay_alu instid0(VALU_DEP_2) | instskip(NEXT) | instid1(VALU_DEP_1)
	v_add_co_u32 v4, s3, v4, v0
	v_add_co_ci_u32_e64 v5, s3, v5, v1, s3
	s_delay_alu instid0(VALU_DEP_2) | instskip(NEXT) | instid1(VALU_DEP_1)
	v_add_co_u32 v4, s3, v4, v27
	v_add_co_ci_u32_e64 v5, s3, 0, v5, s3
	s_and_saveexec_b32 s3, vcc_lo
	s_cbranch_execnz .LBB420_107
; %bb.9:
	s_or_b32 exec_lo, exec_lo, s3
	s_and_saveexec_b32 s3, s0
	s_cbranch_execnz .LBB420_108
.LBB420_10:
	s_or_b32 exec_lo, exec_lo, s3
                                        ; implicit-def: $vgpr18_vgpr19
	s_and_saveexec_b32 s3, s1
	s_cbranch_execnz .LBB420_109
.LBB420_11:
	s_or_b32 exec_lo, exec_lo, s3
	s_and_saveexec_b32 s3, s2
	s_cbranch_execz .LBB420_13
.LBB420_12:
	flat_load_b64 v[20:21], v[4:5] offset:24
.LBB420_13:
	s_or_b32 exec_lo, exec_lo, s3
	v_cmp_ne_u32_e64 s3, 0, v10
	v_cmp_ne_u32_e64 s4, 8, v11
	v_bfe_u32 v5, v31, 10, 10
	v_bfe_u32 v9, v31, 20, 10
	v_and_b32_e32 v4, 0x3ff, v31
	s_delay_alu instid0(VALU_DEP_4) | instskip(NEXT) | instid1(SALU_CYCLE_1)
	s_or_b32 s3, s3, s4
	; wave barrier
	s_and_saveexec_b32 s4, s3
	s_delay_alu instid0(SALU_CYCLE_1)
	s_xor_b32 s14, exec_lo, s4
	s_cbranch_execz .LBB420_55
; %bb.14:
	s_load_b64 s[4:5], s[8:9], 0x0
	v_mov_b32_e32 v22, 0
	v_lshlrev_b32_e64 v10, v10, -1
	s_waitcnt lgkmcnt(0)
	s_cmp_lt_u32 s13, s5
	s_cselect_b32 s3, 14, 20
	s_delay_alu instid0(SALU_CYCLE_1)
	s_add_u32 s6, s8, s3
	s_addc_u32 s7, s9, 0
	s_cmp_lt_u32 s12, s4
	global_load_u16 v23, v22, s[6:7]
	s_cselect_b32 s3, 12, 18
	s_mov_b32 s6, exec_lo
	s_add_u32 s4, s8, s3
	s_addc_u32 s5, s9, 0
	global_load_u16 v22, v22, s[4:5]
	s_waitcnt vmcnt(1)
	v_mad_u32_u24 v5, v9, v23, v5
	v_lshlrev_b32_e64 v9, v11, -1
	s_delay_alu instid0(VALU_DEP_1) | instskip(SKIP_1) | instid1(VALU_DEP_3)
	v_xor_b32_e32 v31, v9, v10
	s_waitcnt vmcnt(0)
	v_mul_lo_u32 v5, v5, v22
	s_delay_alu instid0(VALU_DEP_1) | instskip(NEXT) | instid1(VALU_DEP_1)
	v_add_lshl_u32 v11, v5, v4, 2
	v_cmpx_gt_u32_e32 0x400, v11
	s_cbranch_execz .LBB420_24
; %bb.15:
	v_and_b32_e32 v4, 0xff, v33
	v_lshlrev_b16 v5, 8, v32
	v_lshlrev_b16 v9, 8, v29
	v_and_b32_e32 v10, 0xff, v30
	v_and_b32_e32 v22, 0xff, v29
	v_lshlrev_b16 v23, 8, v30
	v_or_b32_e32 v4, v4, v5
	s_mov_b32 s5, exec_lo
	v_or_b32_e32 v5, v10, v9
	v_and_b32_e32 v10, v30, v31
	v_or_b32_e32 v9, v22, v23
	v_and_b32_e32 v22, v29, v31
	v_lshlrev_b32_e32 v4, 16, v4
	v_and_b32_e32 v5, 0xffff, v5
	v_bfe_i32 v10, v10, 0, 8
	v_and_b32_e32 v9, 0xffff, v9
	v_bfe_i32 v22, v22, 0, 8
	s_delay_alu instid0(VALU_DEP_4) | instskip(NEXT) | instid1(VALU_DEP_3)
	v_or_b32_e32 v5, v5, v4
	v_or_b32_e32 v4, v9, v4
	s_delay_alu instid0(VALU_DEP_3) | instskip(NEXT) | instid1(VALU_DEP_1)
	v_cmp_gt_i16_e64 s3, v22, v10
	v_cndmask_b32_e64 v22, v4, v5, s3
	s_delay_alu instid0(VALU_DEP_1) | instskip(SKIP_1) | instid1(VALU_DEP_2)
	v_lshrrev_b32_e32 v10, 24, v22
	v_lshrrev_b32_e32 v23, 16, v22
	v_and_b32_e32 v4, v10, v31
	s_delay_alu instid0(VALU_DEP_2) | instskip(NEXT) | instid1(VALU_DEP_2)
	v_and_b32_e32 v5, v23, v31
	v_bfe_i32 v24, v4, 0, 8
	s_delay_alu instid0(VALU_DEP_2) | instskip(SKIP_1) | instid1(VALU_DEP_2)
	v_bfe_i32 v9, v5, 0, 8
	v_dual_mov_b32 v4, v18 :: v_dual_mov_b32 v5, v19
	v_cmpx_gt_i16_e64 v9, v24
; %bb.16:
	v_perm_b32 v22, v22, v22, 0x6070504
	v_dual_mov_b32 v4, v20 :: v_dual_mov_b32 v5, v21
	v_dual_mov_b32 v21, v19 :: v_dual_mov_b32 v20, v18
	v_mov_b32_e32 v9, v24
	v_mov_b32_e32 v23, v10
; %bb.17:
	s_or_b32 exec_lo, exec_lo, s5
	v_lshrrev_b32_e32 v25, 8, v22
	v_cndmask_b32_e64 v19, v17, v15, s3
	v_cndmask_b32_e64 v18, v16, v14, s3
	s_delay_alu instid0(VALU_DEP_3) | instskip(NEXT) | instid1(VALU_DEP_1)
	v_and_b32_e32 v10, v25, v31
	v_bfe_i32 v24, v10, 0, 8
	s_delay_alu instid0(VALU_DEP_1) | instskip(NEXT) | instid1(VALU_DEP_4)
	v_cmp_gt_i16_e64 s4, v24, v9
	v_dual_mov_b32 v9, v18 :: v_dual_mov_b32 v10, v19
	s_delay_alu instid0(VALU_DEP_2) | instskip(NEXT) | instid1(SALU_CYCLE_1)
	s_and_saveexec_b32 s5, s4
	s_xor_b32 s4, exec_lo, s5
; %bb.18:
	v_mov_b32_e32 v10, v5
	v_dual_mov_b32 v9, v4 :: v_dual_and_b32 v24, v23, v31
	v_dual_mov_b32 v4, v18 :: v_dual_mov_b32 v25, v23
	v_perm_b32 v22, v22, v23, 0x7050004
	v_mov_b32_e32 v5, v19
; %bb.19:
	s_or_b32 exec_lo, exec_lo, s4
	s_delay_alu instid0(VALU_DEP_2) | instskip(SKIP_3) | instid1(VALU_DEP_3)
	v_and_b32_e32 v18, v22, v31
	v_bfe_i32 v19, v24, 0, 8
	v_perm_b32 v23, v25, v22, 0x3020004
	s_mov_b32 s7, exec_lo
	v_bfe_i32 v18, v18, 0, 8
	s_delay_alu instid0(VALU_DEP_1) | instskip(NEXT) | instid1(VALU_DEP_1)
	v_cmp_gt_i16_e64 s4, v18, v19
	v_cndmask_b32_e64 v29, v22, v23, s4
	s_delay_alu instid0(VALU_DEP_1) | instskip(SKIP_2) | instid1(VALU_DEP_3)
	v_lshrrev_b32_e32 v19, 24, v29
	v_lshrrev_b32_e32 v33, 16, v29
	;; [unrolled: 1-line block ×3, first 2 shown]
	v_and_b32_e32 v18, v19, v31
	s_delay_alu instid0(VALU_DEP_3) | instskip(SKIP_1) | instid1(VALU_DEP_3)
	v_and_b32_e32 v22, v33, v31
	v_mov_b32_e32 v32, v19
	v_bfe_i32 v24, v18, 0, 8
	s_delay_alu instid0(VALU_DEP_3) | instskip(SKIP_1) | instid1(VALU_DEP_2)
	v_bfe_i32 v18, v22, 0, 8
	v_dual_mov_b32 v23, v5 :: v_dual_mov_b32 v22, v4
	v_cmpx_gt_i16_e64 v18, v24
; %bb.20:
	v_dual_mov_b32 v32, v33 :: v_dual_mov_b32 v33, v19
	v_dual_mov_b32 v23, v21 :: v_dual_mov_b32 v22, v20
	;; [unrolled: 1-line block ×3, first 2 shown]
	v_mov_b32_e32 v18, v24
; %bb.21:
	s_or_b32 exec_lo, exec_lo, s7
	v_and_b32_e32 v4, v30, v31
	v_cndmask_b32_e64 v5, v15, v17, s3
	v_cndmask_b32_e64 v16, v14, v16, s3
	s_delay_alu instid0(VALU_DEP_3) | instskip(NEXT) | instid1(VALU_DEP_3)
	v_bfe_i32 v4, v4, 0, 8
	v_cndmask_b32_e64 v15, v5, v10, s4
	s_delay_alu instid0(VALU_DEP_3) | instskip(SKIP_4) | instid1(VALU_DEP_2)
	v_cndmask_b32_e64 v14, v16, v9, s4
	v_cndmask_b32_e64 v17, v10, v5, s4
	;; [unrolled: 1-line block ×3, first 2 shown]
	v_cmp_gt_i16_e64 s3, v4, v18
	v_dual_mov_b32 v18, v22 :: v_dual_mov_b32 v19, v23
	s_and_saveexec_b32 s4, s3
; %bb.22:
	v_dual_mov_b32 v4, v30 :: v_dual_mov_b32 v19, v17
	v_swap_b32 v30, v33
	v_mov_b32_e32 v18, v16
	v_dual_mov_b32 v16, v22 :: v_dual_mov_b32 v17, v23
; %bb.23:
	s_or_b32 exec_lo, exec_lo, s4
.LBB420_24:
	s_delay_alu instid0(SALU_CYCLE_1)
	s_or_b32 exec_lo, exec_lo, s6
	v_and_b32_e32 v11, 0xffffff80, v11
	v_and_b32_e32 v22, 0xff, v29
	v_lshlrev_b16 v23, 8, v30
	v_and_b32_e32 v24, 0xff, v33
	v_lshlrev_b16 v25, 8, v32
	v_add_co_u32 v9, s3, v12, v11
	s_delay_alu instid0(VALU_DEP_1) | instskip(SKIP_3) | instid1(VALU_DEP_4)
	v_add_co_ci_u32_e64 v10, s3, 0, v13, s3
	v_or_b32_e32 v12, 4, v28
	v_sub_nc_u32_e64 v13, 0x400, v11 clamp
	v_lshlrev_b32_e32 v38, 3, v28
	v_mad_u64_u32 v[4:5], null, v11, 7, v[9:10]
	v_or_b32_e32 v22, v22, v23
	s_delay_alu instid0(VALU_DEP_4)
	v_min_u32_e32 v34, v13, v12
	v_or_b32_e32 v23, v24, v25
	v_and_b32_e32 v24, 4, v28
	v_and_b32_e32 v36, 0x78, v28
	v_add_co_u32 v11, s3, v9, v28
	v_add_nc_u32_e32 v35, 4, v34
	v_add_co_ci_u32_e64 v12, s3, 0, v10, s3
	v_and_b32_e32 v25, 0xffff, v22
	v_lshlrev_b32_e32 v39, 16, v23
	s_delay_alu instid0(VALU_DEP_4) | instskip(SKIP_3) | instid1(VALU_DEP_4)
	v_min_u32_e32 v35, v13, v35
	v_min_u32_e32 v37, v13, v24
	v_sub_nc_u32_e32 v24, v34, v36
	v_add_co_u32 v22, s3, v4, v38
	v_sub_nc_u32_e32 v48, v35, v34
	v_add_co_ci_u32_e64 v23, s3, 0, v5, s3
	v_or_b32_e32 v49, v25, v39
	v_min_u32_e32 v39, v37, v24
	v_add_co_u32 v24, s3, 0x400, v22
	v_sub_nc_u32_e64 v38, v37, v48 clamp
	v_add_co_ci_u32_e64 v25, s3, 0, v23, s3
	s_mov_b32 s4, exec_lo
	s_clause 0x2
	flat_store_b128 v[22:23], v[14:17] offset:1024
	flat_store_b32 v[11:12], v49
	flat_store_b128 v[22:23], v[18:21] offset:1040
	; wave barrier
	v_cmpx_lt_u32_e64 v38, v39
	s_cbranch_execz .LBB420_28
; %bb.25:
	v_add_co_u32 v48, s3, v9, v36
	s_delay_alu instid0(VALU_DEP_1) | instskip(SKIP_1) | instid1(VALU_DEP_1)
	v_add_co_ci_u32_e64 v49, s3, 0, v10, s3
	v_add_co_u32 v50, s3, v9, v34
	v_add_co_ci_u32_e64 v51, s3, 0, v10, s3
	s_mov_b32 s5, 0
	s_set_inst_prefetch_distance 0x1
	.p2align	6
.LBB420_26:                             ; =>This Inner Loop Header: Depth=1
	v_add_nc_u32_e32 v52, v39, v38
	s_delay_alu instid0(VALU_DEP_1) | instskip(NEXT) | instid1(VALU_DEP_1)
	v_lshrrev_b32_e32 v64, 1, v52
	v_xad_u32 v54, v64, -1, v37
	v_add_co_u32 v52, s3, v48, v64
	s_delay_alu instid0(VALU_DEP_1) | instskip(NEXT) | instid1(VALU_DEP_3)
	v_add_co_ci_u32_e64 v53, s3, 0, v49, s3
	v_add_co_u32 v54, s3, v50, v54
	s_delay_alu instid0(VALU_DEP_1)
	v_add_co_ci_u32_e64 v55, s3, 0, v51, s3
	s_clause 0x1
	flat_load_u8 v52, v[52:53]
	flat_load_u8 v53, v[54:55]
	v_add_nc_u32_e32 v54, 1, v64
	s_waitcnt vmcnt(1) lgkmcnt(1)
	v_and_b32_e32 v52, v52, v31
	s_waitcnt vmcnt(0) lgkmcnt(0)
	v_and_b32_e32 v53, v53, v31
	s_delay_alu instid0(VALU_DEP_2) | instskip(NEXT) | instid1(VALU_DEP_2)
	v_bfe_i32 v52, v52, 0, 8
	v_bfe_i32 v53, v53, 0, 8
	s_delay_alu instid0(VALU_DEP_1) | instskip(NEXT) | instid1(VALU_DEP_1)
	v_cmp_gt_i16_e64 s3, v52, v53
	v_cndmask_b32_e64 v39, v39, v64, s3
	v_cndmask_b32_e64 v38, v54, v38, s3
	s_delay_alu instid0(VALU_DEP_1) | instskip(NEXT) | instid1(VALU_DEP_1)
	v_cmp_ge_u32_e64 s3, v38, v39
	s_or_b32 s5, s3, s5
	s_delay_alu instid0(SALU_CYCLE_1)
	s_and_not1_b32 exec_lo, exec_lo, s5
	s_cbranch_execnz .LBB420_26
; %bb.27:
	s_set_inst_prefetch_distance 0x2
	s_or_b32 exec_lo, exec_lo, s5
.LBB420_28:
	s_delay_alu instid0(SALU_CYCLE_1) | instskip(SKIP_2) | instid1(VALU_DEP_2)
	s_or_b32 exec_lo, exec_lo, s4
	v_add_nc_u32_e32 v39, v34, v37
	v_add_nc_u32_e32 v37, v38, v36
	v_sub_nc_u32_e32 v36, v39, v38
	s_delay_alu instid0(VALU_DEP_2) | instskip(NEXT) | instid1(VALU_DEP_2)
	v_cmp_le_u32_e64 s3, v37, v34
	v_cmp_le_u32_e64 s4, v36, v35
	s_delay_alu instid0(VALU_DEP_1) | instskip(NEXT) | instid1(SALU_CYCLE_1)
	s_or_b32 s3, s3, s4
	s_and_saveexec_b32 s15, s3
	s_cbranch_execz .LBB420_34
; %bb.29:
	v_cmp_lt_u32_e64 s3, v37, v34
                                        ; implicit-def: $vgpr29
	s_delay_alu instid0(VALU_DEP_1)
	s_and_saveexec_b32 s5, s3
	s_cbranch_execz .LBB420_31
; %bb.30:
	v_add_co_u32 v14, s4, v9, v37
	s_delay_alu instid0(VALU_DEP_1)
	v_add_co_ci_u32_e64 v15, s4, 0, v10, s4
	flat_load_u8 v29, v[14:15]
.LBB420_31:
	s_or_b32 exec_lo, exec_lo, s5
	v_cmp_ge_u32_e64 s4, v36, v35
	s_mov_b32 s6, exec_lo
                                        ; implicit-def: $vgpr30
	v_cmpx_lt_u32_e64 v36, v35
	s_cbranch_execz .LBB420_33
; %bb.32:
	v_add_co_u32 v14, s5, v9, v36
	s_delay_alu instid0(VALU_DEP_1)
	v_add_co_ci_u32_e64 v15, s5, 0, v10, s5
	flat_load_u8 v30, v[14:15]
.LBB420_33:
	s_or_b32 exec_lo, exec_lo, s6
	s_waitcnt vmcnt(0) lgkmcnt(0)
	v_and_b32_e32 v14, v30, v31
	v_and_b32_e32 v15, v29, v31
	s_delay_alu instid0(VALU_DEP_2) | instskip(NEXT) | instid1(VALU_DEP_2)
	v_bfe_i32 v14, v14, 0, 8
	v_bfe_i32 v15, v15, 0, 8
	s_delay_alu instid0(VALU_DEP_1) | instskip(NEXT) | instid1(VALU_DEP_1)
	v_cmp_le_i16_e64 s5, v15, v14
	s_and_b32 s3, s3, s5
	s_delay_alu instid0(SALU_CYCLE_1) | instskip(NEXT) | instid1(SALU_CYCLE_1)
	s_or_b32 s3, s4, s3
	v_cndmask_b32_e64 v14, v36, v37, s3
	v_cndmask_b32_e64 v15, v35, v34, s3
	s_delay_alu instid0(VALU_DEP_2) | instskip(NEXT) | instid1(VALU_DEP_2)
	v_add_nc_u32_e32 v17, 1, v14
	v_add_nc_u32_e32 v15, -1, v15
	s_delay_alu instid0(VALU_DEP_2) | instskip(NEXT) | instid1(VALU_DEP_2)
	v_cndmask_b32_e64 v20, v37, v17, s3
	v_min_u32_e32 v15, v17, v15
	v_cndmask_b32_e64 v21, v17, v36, s3
	s_delay_alu instid0(VALU_DEP_2) | instskip(NEXT) | instid1(VALU_DEP_1)
	v_add_co_u32 v15, s4, v9, v15
	v_add_co_ci_u32_e64 v16, s4, 0, v10, s4
	v_cmp_lt_u32_e64 s4, v20, v34
	s_delay_alu instid0(VALU_DEP_4)
	v_cmp_ge_u32_e64 s6, v21, v35
	flat_load_u8 v15, v[15:16]
	s_waitcnt vmcnt(0) lgkmcnt(0)
	v_cndmask_b32_e64 v38, v15, v30, s3
	v_cndmask_b32_e64 v39, v29, v15, s3
	;; [unrolled: 1-line block ×3, first 2 shown]
	s_delay_alu instid0(VALU_DEP_3) | instskip(NEXT) | instid1(VALU_DEP_3)
	v_and_b32_e32 v15, v38, v31
	v_and_b32_e32 v16, v39, v31
	s_delay_alu instid0(VALU_DEP_2) | instskip(NEXT) | instid1(VALU_DEP_2)
	v_bfe_i32 v15, v15, 0, 8
	v_bfe_i32 v16, v16, 0, 8
	s_delay_alu instid0(VALU_DEP_1) | instskip(SKIP_1) | instid1(VALU_DEP_2)
	v_cmp_le_i16_e64 s5, v16, v15
	v_mov_b32_e32 v15, 0
	s_and_b32 s4, s4, s5
	s_delay_alu instid0(VALU_DEP_1) | instskip(SKIP_1) | instid1(SALU_CYCLE_1)
	v_lshlrev_b64 v[16:17], 3, v[14:15]
	s_or_b32 s4, s6, s4
	v_cndmask_b32_e64 v14, v21, v20, s4
	v_cndmask_b32_e64 v18, v35, v34, s4
	;; [unrolled: 1-line block ×3, first 2 shown]
	s_delay_alu instid0(VALU_DEP_4) | instskip(NEXT) | instid1(VALU_DEP_4)
	v_add_co_u32 v16, s11, v4, v16
	v_add_nc_u32_e32 v32, 1, v14
	s_delay_alu instid0(VALU_DEP_4) | instskip(SKIP_1) | instid1(VALU_DEP_3)
	v_add_nc_u32_e32 v18, -1, v18
	v_add_co_ci_u32_e64 v17, s11, v5, v17, s11
	v_cndmask_b32_e64 v33, v20, v32, s4
	s_delay_alu instid0(VALU_DEP_3) | instskip(SKIP_1) | instid1(VALU_DEP_2)
	v_min_u32_e32 v18, v32, v18
	v_cndmask_b32_e64 v32, v32, v21, s4
	v_add_co_u32 v18, s5, v9, v18
	s_delay_alu instid0(VALU_DEP_1) | instskip(SKIP_1) | instid1(VALU_DEP_4)
	v_add_co_ci_u32_e64 v19, s5, 0, v10, s5
	v_cmp_lt_u32_e64 s5, v33, v34
	v_cmp_ge_u32_e64 s7, v32, v35
	flat_load_u8 v18, v[18:19]
	s_waitcnt vmcnt(0) lgkmcnt(0)
	v_cndmask_b32_e64 v36, v18, v38, s4
	v_cndmask_b32_e64 v37, v39, v18, s4
	s_delay_alu instid0(VALU_DEP_2) | instskip(NEXT) | instid1(VALU_DEP_2)
	v_and_b32_e32 v18, v36, v31
	v_and_b32_e32 v19, v37, v31
	s_delay_alu instid0(VALU_DEP_2) | instskip(NEXT) | instid1(VALU_DEP_2)
	v_bfe_i32 v18, v18, 0, 8
	v_bfe_i32 v19, v19, 0, 8
	s_delay_alu instid0(VALU_DEP_1) | instskip(SKIP_1) | instid1(VALU_DEP_2)
	v_cmp_le_i16_e64 s6, v19, v18
	v_lshlrev_b64 v[18:19], 3, v[14:15]
	s_and_b32 s5, s5, s6
	s_delay_alu instid0(SALU_CYCLE_1) | instskip(NEXT) | instid1(SALU_CYCLE_1)
	s_or_b32 s5, s7, s5
	v_cndmask_b32_e64 v14, v32, v33, s5
	v_cndmask_b32_e64 v20, v35, v34, s5
	s_delay_alu instid0(VALU_DEP_2) | instskip(NEXT) | instid1(VALU_DEP_2)
	v_add_nc_u32_e32 v48, 1, v14
	v_add_nc_u32_e32 v20, -1, v20
	s_delay_alu instid0(VALU_DEP_2) | instskip(NEXT) | instid1(VALU_DEP_2)
	v_cndmask_b32_e64 v33, v33, v48, s5
	v_min_u32_e32 v20, v48, v20
	v_cndmask_b32_e64 v32, v48, v32, s5
	s_delay_alu instid0(VALU_DEP_3) | instskip(NEXT) | instid1(VALU_DEP_3)
	v_cmp_lt_u32_e64 s7, v33, v34
	v_add_co_u32 v20, s6, v9, v20
	s_delay_alu instid0(VALU_DEP_1) | instskip(NEXT) | instid1(VALU_DEP_4)
	v_add_co_ci_u32_e64 v21, s6, 0, v10, s6
	v_cmp_ge_u32_e64 s6, v32, v35
	flat_load_u8 v20, v[20:21]
	s_waitcnt vmcnt(0) lgkmcnt(0)
	v_cndmask_b32_e64 v49, v20, v36, s5
	v_cndmask_b32_e64 v50, v37, v20, s5
	s_delay_alu instid0(VALU_DEP_2) | instskip(NEXT) | instid1(VALU_DEP_2)
	v_and_b32_e32 v20, v49, v31
	v_and_b32_e32 v21, v50, v31
	s_delay_alu instid0(VALU_DEP_2) | instskip(NEXT) | instid1(VALU_DEP_2)
	v_bfe_i32 v20, v20, 0, 8
	v_bfe_i32 v21, v21, 0, 8
	s_delay_alu instid0(VALU_DEP_1) | instskip(SKIP_1) | instid1(VALU_DEP_2)
	v_cmp_le_i16_e64 s10, v21, v20
	v_lshlrev_b64 v[20:21], 3, v[14:15]
	s_and_b32 s7, s7, s10
	s_delay_alu instid0(SALU_CYCLE_1) | instskip(SKIP_4) | instid1(VALU_DEP_3)
	s_or_b32 s6, s6, s7
	v_add_co_u32 v18, s7, v4, v18
	v_cndmask_b32_e64 v14, v32, v33, s6
	v_add_co_ci_u32_e64 v19, s7, v5, v19, s7
	v_add_co_u32 v20, s7, v4, v20
	v_lshlrev_b64 v[14:15], 3, v[14:15]
	v_add_co_ci_u32_e64 v21, s7, v5, v21, s7
	s_delay_alu instid0(VALU_DEP_2) | instskip(NEXT) | instid1(VALU_DEP_1)
	v_add_co_u32 v32, s7, v4, v14
	v_add_co_ci_u32_e64 v33, s7, v5, v15, s7
	s_clause 0x3
	flat_load_b64 v[14:15], v[16:17] offset:1024
	flat_load_b64 v[16:17], v[18:19] offset:1024
	;; [unrolled: 1-line block ×4, first 2 shown]
	v_cndmask_b32_e64 v33, v36, v37, s5
	v_cndmask_b32_e64 v32, v49, v50, s6
.LBB420_34:
	s_or_b32 exec_lo, exec_lo, s15
	v_and_b32_e32 v36, 0x70, v28
	v_lshlrev_b16 v37, 8, v30
	v_and_b32_e32 v38, 0xff, v29
	v_lshlrev_b16 v39, 8, v32
	v_and_b32_e32 v48, 0xff, v33
	v_or_b32_e32 v34, 8, v36
	v_and_b32_e32 v49, 12, v28
	v_or_b32_e32 v38, v38, v37
	s_mov_b32 s4, exec_lo
	v_or_b32_e32 v39, v48, v39
	v_min_u32_e32 v34, v13, v34
	v_min_u32_e32 v37, v13, v49
	v_and_b32_e32 v50, 0xffff, v38
	s_delay_alu instid0(VALU_DEP_4) | instskip(NEXT) | instid1(VALU_DEP_4)
	v_lshlrev_b32_e32 v51, 16, v39
	v_add_nc_u32_e32 v35, 8, v34
	v_sub_nc_u32_e32 v48, v34, v36
	; wave barrier
	s_delay_alu instid0(VALU_DEP_2) | instskip(NEXT) | instid1(VALU_DEP_2)
	v_min_u32_e32 v35, v13, v35
	v_min_u32_e32 v39, v37, v48
	v_or_b32_e32 v48, v50, v51
	s_waitcnt vmcnt(2) lgkmcnt(2)
	s_clause 0x1
	flat_store_b128 v[22:23], v[14:17] offset:1024
	flat_store_b32 v[11:12], v48
	s_waitcnt vmcnt(0) lgkmcnt(2)
	flat_store_b128 v[24:25], v[18:21] offset:16
	v_sub_nc_u32_e32 v49, v35, v34
	; wave barrier
	s_delay_alu instid0(VALU_DEP_1) | instskip(NEXT) | instid1(VALU_DEP_1)
	v_sub_nc_u32_e64 v38, v37, v49 clamp
	v_cmpx_lt_u32_e64 v38, v39
	s_cbranch_execz .LBB420_38
; %bb.35:
	v_add_co_u32 v48, s3, v9, v36
	s_delay_alu instid0(VALU_DEP_1) | instskip(SKIP_1) | instid1(VALU_DEP_1)
	v_add_co_ci_u32_e64 v49, s3, 0, v10, s3
	v_add_co_u32 v50, s3, v9, v34
	v_add_co_ci_u32_e64 v51, s3, 0, v10, s3
	s_mov_b32 s5, 0
	s_set_inst_prefetch_distance 0x1
	.p2align	6
.LBB420_36:                             ; =>This Inner Loop Header: Depth=1
	v_add_nc_u32_e32 v52, v39, v38
	s_delay_alu instid0(VALU_DEP_1) | instskip(NEXT) | instid1(VALU_DEP_1)
	v_lshrrev_b32_e32 v64, 1, v52
	v_xad_u32 v54, v64, -1, v37
	v_add_co_u32 v52, s3, v48, v64
	s_delay_alu instid0(VALU_DEP_1) | instskip(NEXT) | instid1(VALU_DEP_3)
	v_add_co_ci_u32_e64 v53, s3, 0, v49, s3
	v_add_co_u32 v54, s3, v50, v54
	s_delay_alu instid0(VALU_DEP_1)
	v_add_co_ci_u32_e64 v55, s3, 0, v51, s3
	s_clause 0x1
	flat_load_u8 v52, v[52:53]
	flat_load_u8 v53, v[54:55]
	v_add_nc_u32_e32 v54, 1, v64
	s_waitcnt vmcnt(1) lgkmcnt(1)
	v_and_b32_e32 v52, v52, v31
	s_waitcnt vmcnt(0) lgkmcnt(0)
	v_and_b32_e32 v53, v53, v31
	s_delay_alu instid0(VALU_DEP_2) | instskip(NEXT) | instid1(VALU_DEP_2)
	v_bfe_i32 v52, v52, 0, 8
	v_bfe_i32 v53, v53, 0, 8
	s_delay_alu instid0(VALU_DEP_1) | instskip(NEXT) | instid1(VALU_DEP_1)
	v_cmp_gt_i16_e64 s3, v52, v53
	v_cndmask_b32_e64 v39, v39, v64, s3
	v_cndmask_b32_e64 v38, v54, v38, s3
	s_delay_alu instid0(VALU_DEP_1) | instskip(NEXT) | instid1(VALU_DEP_1)
	v_cmp_ge_u32_e64 s3, v38, v39
	s_or_b32 s5, s3, s5
	s_delay_alu instid0(SALU_CYCLE_1)
	s_and_not1_b32 exec_lo, exec_lo, s5
	s_cbranch_execnz .LBB420_36
; %bb.37:
	s_set_inst_prefetch_distance 0x2
	s_or_b32 exec_lo, exec_lo, s5
.LBB420_38:
	s_delay_alu instid0(SALU_CYCLE_1) | instskip(SKIP_2) | instid1(VALU_DEP_2)
	s_or_b32 exec_lo, exec_lo, s4
	v_add_nc_u32_e32 v39, v34, v37
	v_add_nc_u32_e32 v37, v38, v36
	v_sub_nc_u32_e32 v36, v39, v38
	s_delay_alu instid0(VALU_DEP_2) | instskip(NEXT) | instid1(VALU_DEP_2)
	v_cmp_le_u32_e64 s3, v37, v34
	v_cmp_le_u32_e64 s4, v36, v35
	s_delay_alu instid0(VALU_DEP_1) | instskip(NEXT) | instid1(SALU_CYCLE_1)
	s_or_b32 s3, s3, s4
	s_and_saveexec_b32 s15, s3
	s_cbranch_execz .LBB420_44
; %bb.39:
	v_cmp_lt_u32_e64 s3, v37, v34
                                        ; implicit-def: $vgpr29
	s_delay_alu instid0(VALU_DEP_1)
	s_and_saveexec_b32 s5, s3
	s_cbranch_execz .LBB420_41
; %bb.40:
	v_add_co_u32 v14, s4, v9, v37
	s_delay_alu instid0(VALU_DEP_1)
	v_add_co_ci_u32_e64 v15, s4, 0, v10, s4
	flat_load_u8 v29, v[14:15]
.LBB420_41:
	s_or_b32 exec_lo, exec_lo, s5
	v_cmp_ge_u32_e64 s4, v36, v35
	s_mov_b32 s6, exec_lo
                                        ; implicit-def: $vgpr30
	v_cmpx_lt_u32_e64 v36, v35
	s_cbranch_execz .LBB420_43
; %bb.42:
	v_add_co_u32 v14, s5, v9, v36
	s_delay_alu instid0(VALU_DEP_1)
	v_add_co_ci_u32_e64 v15, s5, 0, v10, s5
	flat_load_u8 v30, v[14:15]
.LBB420_43:
	s_or_b32 exec_lo, exec_lo, s6
	s_waitcnt vmcnt(0) lgkmcnt(0)
	v_and_b32_e32 v14, v30, v31
	v_and_b32_e32 v15, v29, v31
	s_delay_alu instid0(VALU_DEP_2) | instskip(NEXT) | instid1(VALU_DEP_2)
	v_bfe_i32 v14, v14, 0, 8
	v_bfe_i32 v15, v15, 0, 8
	s_delay_alu instid0(VALU_DEP_1) | instskip(NEXT) | instid1(VALU_DEP_1)
	v_cmp_le_i16_e64 s5, v15, v14
	s_and_b32 s3, s3, s5
	s_delay_alu instid0(SALU_CYCLE_1) | instskip(NEXT) | instid1(SALU_CYCLE_1)
	s_or_b32 s3, s4, s3
	v_cndmask_b32_e64 v14, v36, v37, s3
	v_cndmask_b32_e64 v15, v35, v34, s3
	s_delay_alu instid0(VALU_DEP_2) | instskip(NEXT) | instid1(VALU_DEP_2)
	v_add_nc_u32_e32 v17, 1, v14
	v_add_nc_u32_e32 v15, -1, v15
	s_delay_alu instid0(VALU_DEP_2) | instskip(NEXT) | instid1(VALU_DEP_2)
	v_cndmask_b32_e64 v20, v37, v17, s3
	v_min_u32_e32 v15, v17, v15
	v_cndmask_b32_e64 v21, v17, v36, s3
	s_delay_alu instid0(VALU_DEP_2) | instskip(NEXT) | instid1(VALU_DEP_1)
	v_add_co_u32 v15, s4, v9, v15
	v_add_co_ci_u32_e64 v16, s4, 0, v10, s4
	v_cmp_lt_u32_e64 s4, v20, v34
	s_delay_alu instid0(VALU_DEP_4)
	v_cmp_ge_u32_e64 s6, v21, v35
	flat_load_u8 v15, v[15:16]
	s_waitcnt vmcnt(0) lgkmcnt(0)
	v_cndmask_b32_e64 v38, v15, v30, s3
	v_cndmask_b32_e64 v39, v29, v15, s3
	;; [unrolled: 1-line block ×3, first 2 shown]
	s_delay_alu instid0(VALU_DEP_3) | instskip(NEXT) | instid1(VALU_DEP_3)
	v_and_b32_e32 v15, v38, v31
	v_and_b32_e32 v16, v39, v31
	s_delay_alu instid0(VALU_DEP_2) | instskip(NEXT) | instid1(VALU_DEP_2)
	v_bfe_i32 v15, v15, 0, 8
	v_bfe_i32 v16, v16, 0, 8
	s_delay_alu instid0(VALU_DEP_1) | instskip(SKIP_1) | instid1(VALU_DEP_2)
	v_cmp_le_i16_e64 s5, v16, v15
	v_mov_b32_e32 v15, 0
	s_and_b32 s4, s4, s5
	s_delay_alu instid0(VALU_DEP_1) | instskip(SKIP_1) | instid1(SALU_CYCLE_1)
	v_lshlrev_b64 v[16:17], 3, v[14:15]
	s_or_b32 s4, s6, s4
	v_cndmask_b32_e64 v14, v21, v20, s4
	v_cndmask_b32_e64 v18, v35, v34, s4
	;; [unrolled: 1-line block ×3, first 2 shown]
	s_delay_alu instid0(VALU_DEP_4) | instskip(NEXT) | instid1(VALU_DEP_4)
	v_add_co_u32 v16, s11, v4, v16
	v_add_nc_u32_e32 v32, 1, v14
	s_delay_alu instid0(VALU_DEP_4) | instskip(SKIP_1) | instid1(VALU_DEP_3)
	v_add_nc_u32_e32 v18, -1, v18
	v_add_co_ci_u32_e64 v17, s11, v5, v17, s11
	v_cndmask_b32_e64 v33, v20, v32, s4
	s_delay_alu instid0(VALU_DEP_3) | instskip(SKIP_1) | instid1(VALU_DEP_2)
	v_min_u32_e32 v18, v32, v18
	v_cndmask_b32_e64 v32, v32, v21, s4
	v_add_co_u32 v18, s5, v9, v18
	s_delay_alu instid0(VALU_DEP_1) | instskip(SKIP_1) | instid1(VALU_DEP_4)
	v_add_co_ci_u32_e64 v19, s5, 0, v10, s5
	v_cmp_lt_u32_e64 s5, v33, v34
	v_cmp_ge_u32_e64 s7, v32, v35
	flat_load_u8 v18, v[18:19]
	s_waitcnt vmcnt(0) lgkmcnt(0)
	v_cndmask_b32_e64 v36, v18, v38, s4
	v_cndmask_b32_e64 v37, v39, v18, s4
	s_delay_alu instid0(VALU_DEP_2) | instskip(NEXT) | instid1(VALU_DEP_2)
	v_and_b32_e32 v18, v36, v31
	v_and_b32_e32 v19, v37, v31
	s_delay_alu instid0(VALU_DEP_2) | instskip(NEXT) | instid1(VALU_DEP_2)
	v_bfe_i32 v18, v18, 0, 8
	v_bfe_i32 v19, v19, 0, 8
	s_delay_alu instid0(VALU_DEP_1) | instskip(SKIP_1) | instid1(VALU_DEP_2)
	v_cmp_le_i16_e64 s6, v19, v18
	v_lshlrev_b64 v[18:19], 3, v[14:15]
	s_and_b32 s5, s5, s6
	s_delay_alu instid0(SALU_CYCLE_1) | instskip(NEXT) | instid1(SALU_CYCLE_1)
	s_or_b32 s5, s7, s5
	v_cndmask_b32_e64 v14, v32, v33, s5
	v_cndmask_b32_e64 v20, v35, v34, s5
	s_delay_alu instid0(VALU_DEP_2) | instskip(NEXT) | instid1(VALU_DEP_2)
	v_add_nc_u32_e32 v48, 1, v14
	v_add_nc_u32_e32 v20, -1, v20
	s_delay_alu instid0(VALU_DEP_2) | instskip(NEXT) | instid1(VALU_DEP_2)
	v_cndmask_b32_e64 v33, v33, v48, s5
	v_min_u32_e32 v20, v48, v20
	v_cndmask_b32_e64 v32, v48, v32, s5
	s_delay_alu instid0(VALU_DEP_3) | instskip(NEXT) | instid1(VALU_DEP_3)
	v_cmp_lt_u32_e64 s7, v33, v34
	v_add_co_u32 v20, s6, v9, v20
	s_delay_alu instid0(VALU_DEP_1) | instskip(NEXT) | instid1(VALU_DEP_4)
	v_add_co_ci_u32_e64 v21, s6, 0, v10, s6
	v_cmp_ge_u32_e64 s6, v32, v35
	flat_load_u8 v20, v[20:21]
	s_waitcnt vmcnt(0) lgkmcnt(0)
	v_cndmask_b32_e64 v49, v20, v36, s5
	v_cndmask_b32_e64 v50, v37, v20, s5
	s_delay_alu instid0(VALU_DEP_2) | instskip(NEXT) | instid1(VALU_DEP_2)
	v_and_b32_e32 v20, v49, v31
	v_and_b32_e32 v21, v50, v31
	s_delay_alu instid0(VALU_DEP_2) | instskip(NEXT) | instid1(VALU_DEP_2)
	v_bfe_i32 v20, v20, 0, 8
	v_bfe_i32 v21, v21, 0, 8
	s_delay_alu instid0(VALU_DEP_1) | instskip(SKIP_1) | instid1(VALU_DEP_2)
	v_cmp_le_i16_e64 s10, v21, v20
	v_lshlrev_b64 v[20:21], 3, v[14:15]
	s_and_b32 s7, s7, s10
	s_delay_alu instid0(SALU_CYCLE_1) | instskip(SKIP_4) | instid1(VALU_DEP_3)
	s_or_b32 s6, s6, s7
	v_add_co_u32 v18, s7, v4, v18
	v_cndmask_b32_e64 v14, v32, v33, s6
	v_add_co_ci_u32_e64 v19, s7, v5, v19, s7
	v_add_co_u32 v20, s7, v4, v20
	v_lshlrev_b64 v[14:15], 3, v[14:15]
	v_add_co_ci_u32_e64 v21, s7, v5, v21, s7
	s_delay_alu instid0(VALU_DEP_2) | instskip(NEXT) | instid1(VALU_DEP_1)
	v_add_co_u32 v32, s7, v4, v14
	v_add_co_ci_u32_e64 v33, s7, v5, v15, s7
	s_clause 0x3
	flat_load_b64 v[14:15], v[16:17] offset:1024
	flat_load_b64 v[16:17], v[18:19] offset:1024
	;; [unrolled: 1-line block ×4, first 2 shown]
	v_cndmask_b32_e64 v33, v36, v37, s5
	v_cndmask_b32_e64 v32, v49, v50, s6
.LBB420_44:
	s_or_b32 exec_lo, exec_lo, s15
	v_and_b32_e32 v35, 0x60, v28
	v_lshlrev_b16 v36, 8, v30
	v_and_b32_e32 v37, 0xff, v29
	v_lshlrev_b16 v38, 8, v32
	v_and_b32_e32 v39, 0xff, v33
	v_or_b32_e32 v28, 16, v35
	s_mov_b32 s4, exec_lo
	v_or_b32_e32 v36, v37, v36
	s_delay_alu instid0(VALU_DEP_3) | instskip(NEXT) | instid1(VALU_DEP_3)
	v_or_b32_e32 v37, v39, v38
	v_min_u32_e32 v28, v13, v28
	; wave barrier
	s_delay_alu instid0(VALU_DEP_3) | instskip(NEXT) | instid1(VALU_DEP_3)
	v_and_b32_e32 v48, 0xffff, v36
	v_lshlrev_b32_e32 v49, 16, v37
	s_delay_alu instid0(VALU_DEP_3) | instskip(SKIP_1) | instid1(VALU_DEP_2)
	v_add_nc_u32_e32 v34, 16, v28
	v_sub_nc_u32_e32 v38, v28, v35
	v_min_u32_e32 v34, v13, v34
	v_min_u32_e32 v13, v13, v26
	s_delay_alu instid0(VALU_DEP_2) | instskip(NEXT) | instid1(VALU_DEP_2)
	v_sub_nc_u32_e32 v39, v34, v28
	v_min_u32_e32 v37, v13, v38
	v_or_b32_e32 v38, v48, v49
	s_waitcnt vmcnt(2) lgkmcnt(2)
	s_clause 0x1
	flat_store_b128 v[22:23], v[14:17] offset:1024
	flat_store_b32 v[11:12], v38
	s_waitcnt vmcnt(0) lgkmcnt(2)
	flat_store_b128 v[24:25], v[18:21] offset:16
	v_sub_nc_u32_e64 v36, v13, v39 clamp
	; wave barrier
	s_delay_alu instid0(VALU_DEP_1)
	v_cmpx_lt_u32_e64 v36, v37
	s_cbranch_execz .LBB420_48
; %bb.45:
	v_add_co_u32 v11, s3, v9, v35
	s_delay_alu instid0(VALU_DEP_1) | instskip(SKIP_1) | instid1(VALU_DEP_1)
	v_add_co_ci_u32_e64 v12, s3, 0, v10, s3
	v_add_co_u32 v22, s3, v9, v28
	v_add_co_ci_u32_e64 v23, s3, 0, v10, s3
	s_mov_b32 s5, 0
	s_set_inst_prefetch_distance 0x1
	.p2align	6
.LBB420_46:                             ; =>This Inner Loop Header: Depth=1
	v_add_nc_u32_e32 v24, v37, v36
	s_delay_alu instid0(VALU_DEP_1) | instskip(NEXT) | instid1(VALU_DEP_1)
	v_lshrrev_b32_e32 v48, 1, v24
	v_xad_u32 v38, v48, -1, v13
	v_add_co_u32 v24, s3, v11, v48
	s_delay_alu instid0(VALU_DEP_1) | instskip(NEXT) | instid1(VALU_DEP_3)
	v_add_co_ci_u32_e64 v25, s3, 0, v12, s3
	v_add_co_u32 v38, s3, v22, v38
	s_delay_alu instid0(VALU_DEP_1)
	v_add_co_ci_u32_e64 v39, s3, 0, v23, s3
	s_clause 0x1
	flat_load_u8 v24, v[24:25]
	flat_load_u8 v25, v[38:39]
	v_add_nc_u32_e32 v38, 1, v48
	s_waitcnt vmcnt(1) lgkmcnt(1)
	v_and_b32_e32 v24, v24, v31
	s_waitcnt vmcnt(0) lgkmcnt(0)
	v_and_b32_e32 v25, v25, v31
	s_delay_alu instid0(VALU_DEP_2) | instskip(NEXT) | instid1(VALU_DEP_2)
	v_bfe_i32 v24, v24, 0, 8
	v_bfe_i32 v25, v25, 0, 8
	s_delay_alu instid0(VALU_DEP_1) | instskip(NEXT) | instid1(VALU_DEP_1)
	v_cmp_gt_i16_e64 s3, v24, v25
	v_cndmask_b32_e64 v37, v37, v48, s3
	v_cndmask_b32_e64 v36, v38, v36, s3
	s_delay_alu instid0(VALU_DEP_1) | instskip(NEXT) | instid1(VALU_DEP_1)
	v_cmp_ge_u32_e64 s3, v36, v37
	s_or_b32 s5, s3, s5
	s_delay_alu instid0(SALU_CYCLE_1)
	s_and_not1_b32 exec_lo, exec_lo, s5
	s_cbranch_execnz .LBB420_46
; %bb.47:
	s_set_inst_prefetch_distance 0x2
	s_or_b32 exec_lo, exec_lo, s5
.LBB420_48:
	s_delay_alu instid0(SALU_CYCLE_1) | instskip(SKIP_2) | instid1(VALU_DEP_2)
	s_or_b32 exec_lo, exec_lo, s4
	v_add_nc_u32_e32 v11, v28, v13
	v_add_nc_u32_e32 v22, v36, v35
	v_sub_nc_u32_e32 v13, v11, v36
	s_delay_alu instid0(VALU_DEP_2) | instskip(NEXT) | instid1(VALU_DEP_2)
	v_cmp_le_u32_e64 s3, v22, v28
	v_cmp_le_u32_e64 s4, v13, v34
	s_delay_alu instid0(VALU_DEP_1) | instskip(NEXT) | instid1(SALU_CYCLE_1)
	s_or_b32 s3, s3, s4
	s_and_saveexec_b32 s15, s3
	s_cbranch_execz .LBB420_54
; %bb.49:
	v_cmp_lt_u32_e64 s3, v22, v28
                                        ; implicit-def: $vgpr11
	s_delay_alu instid0(VALU_DEP_1)
	s_and_saveexec_b32 s5, s3
	s_cbranch_execz .LBB420_51
; %bb.50:
	v_add_co_u32 v11, s4, v9, v22
	s_delay_alu instid0(VALU_DEP_1)
	v_add_co_ci_u32_e64 v12, s4, 0, v10, s4
	flat_load_u8 v11, v[11:12]
.LBB420_51:
	s_or_b32 exec_lo, exec_lo, s5
	v_cmp_ge_u32_e64 s4, v13, v34
	s_mov_b32 s6, exec_lo
                                        ; implicit-def: $vgpr12
	v_cmpx_lt_u32_e64 v13, v34
	s_cbranch_execz .LBB420_53
; %bb.52:
	v_add_co_u32 v14, s5, v9, v13
	s_delay_alu instid0(VALU_DEP_1)
	v_add_co_ci_u32_e64 v15, s5, 0, v10, s5
	flat_load_u8 v12, v[14:15]
.LBB420_53:
	s_or_b32 exec_lo, exec_lo, s6
	s_waitcnt vmcnt(0) lgkmcnt(0)
	v_and_b32_e32 v14, v12, v31
	v_and_b32_e32 v15, v11, v31
	s_delay_alu instid0(VALU_DEP_2) | instskip(NEXT) | instid1(VALU_DEP_2)
	v_bfe_i32 v14, v14, 0, 8
	v_bfe_i32 v15, v15, 0, 8
	s_delay_alu instid0(VALU_DEP_1) | instskip(NEXT) | instid1(VALU_DEP_1)
	v_cmp_le_i16_e64 s5, v15, v14
	s_and_b32 s3, s3, s5
	s_delay_alu instid0(SALU_CYCLE_1) | instskip(NEXT) | instid1(SALU_CYCLE_1)
	s_or_b32 s3, s4, s3
	v_cndmask_b32_e64 v14, v13, v22, s3
	v_cndmask_b32_e64 v15, v34, v28, s3
	s_delay_alu instid0(VALU_DEP_2) | instskip(NEXT) | instid1(VALU_DEP_2)
	v_add_nc_u32_e32 v17, 1, v14
	v_add_nc_u32_e32 v15, -1, v15
	s_delay_alu instid0(VALU_DEP_2) | instskip(NEXT) | instid1(VALU_DEP_2)
	v_cndmask_b32_e64 v20, v22, v17, s3
	v_min_u32_e32 v15, v17, v15
	v_cndmask_b32_e64 v13, v17, v13, s3
	s_delay_alu instid0(VALU_DEP_2) | instskip(NEXT) | instid1(VALU_DEP_1)
	v_add_co_u32 v15, s4, v9, v15
	v_add_co_ci_u32_e64 v16, s4, 0, v10, s4
	v_cmp_lt_u32_e64 s4, v20, v28
	s_delay_alu instid0(VALU_DEP_4) | instskip(SKIP_4) | instid1(VALU_DEP_2)
	v_cmp_ge_u32_e64 s6, v13, v34
	flat_load_u8 v15, v[15:16]
	s_waitcnt vmcnt(0) lgkmcnt(0)
	v_cndmask_b32_e64 v23, v15, v12, s3
	v_cndmask_b32_e64 v24, v11, v15, s3
	v_and_b32_e32 v15, v23, v31
	s_delay_alu instid0(VALU_DEP_2) | instskip(NEXT) | instid1(VALU_DEP_2)
	v_and_b32_e32 v16, v24, v31
	v_bfe_i32 v15, v15, 0, 8
	s_delay_alu instid0(VALU_DEP_2) | instskip(NEXT) | instid1(VALU_DEP_1)
	v_bfe_i32 v16, v16, 0, 8
	v_cmp_le_i16_e64 s5, v16, v15
	v_mov_b32_e32 v15, 0
	s_delay_alu instid0(VALU_DEP_2) | instskip(NEXT) | instid1(VALU_DEP_1)
	s_and_b32 s4, s4, s5
	v_lshlrev_b64 v[16:17], 3, v[14:15]
	s_or_b32 s4, s6, s4
	s_delay_alu instid0(SALU_CYCLE_1) | instskip(SKIP_2) | instid1(VALU_DEP_3)
	v_cndmask_b32_e64 v14, v13, v20, s4
	v_cndmask_b32_e64 v18, v34, v28, s4
	;; [unrolled: 1-line block ×3, first 2 shown]
	v_add_nc_u32_e32 v21, 1, v14
	s_delay_alu instid0(VALU_DEP_3) | instskip(NEXT) | instid1(VALU_DEP_2)
	v_add_nc_u32_e32 v18, -1, v18
	v_cndmask_b32_e64 v20, v20, v21, s4
	s_delay_alu instid0(VALU_DEP_2) | instskip(SKIP_1) | instid1(VALU_DEP_2)
	v_min_u32_e32 v18, v21, v18
	v_cndmask_b32_e64 v13, v21, v13, s4
	v_add_co_u32 v18, s5, v9, v18
	s_delay_alu instid0(VALU_DEP_1) | instskip(SKIP_1) | instid1(VALU_DEP_4)
	v_add_co_ci_u32_e64 v19, s5, 0, v10, s5
	v_cmp_lt_u32_e64 s5, v20, v28
	v_cmp_ge_u32_e64 s7, v13, v34
	flat_load_u8 v18, v[18:19]
	s_waitcnt vmcnt(0) lgkmcnt(0)
	v_cndmask_b32_e64 v22, v18, v23, s4
	v_cndmask_b32_e64 v25, v24, v18, s4
	s_delay_alu instid0(VALU_DEP_2) | instskip(NEXT) | instid1(VALU_DEP_2)
	v_and_b32_e32 v18, v22, v31
	v_and_b32_e32 v19, v25, v31
	s_delay_alu instid0(VALU_DEP_2) | instskip(NEXT) | instid1(VALU_DEP_2)
	v_bfe_i32 v18, v18, 0, 8
	v_bfe_i32 v19, v19, 0, 8
	s_delay_alu instid0(VALU_DEP_1) | instskip(SKIP_1) | instid1(VALU_DEP_2)
	v_cmp_le_i16_e64 s6, v19, v18
	v_lshlrev_b64 v[18:19], 3, v[14:15]
	s_and_b32 s5, s5, s6
	s_delay_alu instid0(SALU_CYCLE_1) | instskip(NEXT) | instid1(SALU_CYCLE_1)
	s_or_b32 s5, s7, s5
	v_cndmask_b32_e64 v14, v13, v20, s5
	v_cndmask_b32_e64 v21, v34, v28, s5
	v_cndmask_b32_e64 v33, v22, v25, s5
	s_delay_alu instid0(VALU_DEP_3) | instskip(NEXT) | instid1(VALU_DEP_3)
	v_add_nc_u32_e32 v29, 1, v14
	v_add_nc_u32_e32 v21, -1, v21
	s_delay_alu instid0(VALU_DEP_2) | instskip(NEXT) | instid1(VALU_DEP_2)
	v_cndmask_b32_e64 v20, v20, v29, s5
	v_min_u32_e32 v21, v29, v21
	v_cndmask_b32_e64 v13, v29, v13, s5
	v_cndmask_b32_e64 v29, v12, v11, s3
	s_delay_alu instid0(VALU_DEP_4) | instskip(NEXT) | instid1(VALU_DEP_4)
	v_cmp_lt_u32_e64 s7, v20, v28
	v_add_co_u32 v9, s6, v9, v21
	s_delay_alu instid0(VALU_DEP_1)
	v_add_co_ci_u32_e64 v10, s6, 0, v10, s6
	v_cmp_ge_u32_e64 s6, v13, v34
	flat_load_u8 v9, v[9:10]
	s_waitcnt vmcnt(0) lgkmcnt(0)
	v_cndmask_b32_e64 v32, v9, v22, s5
	v_cndmask_b32_e64 v35, v25, v9, s5
	s_delay_alu instid0(VALU_DEP_2) | instskip(NEXT) | instid1(VALU_DEP_2)
	v_and_b32_e32 v9, v32, v31
	v_and_b32_e32 v10, v35, v31
	s_delay_alu instid0(VALU_DEP_2) | instskip(NEXT) | instid1(VALU_DEP_2)
	v_bfe_i32 v9, v9, 0, 8
	v_bfe_i32 v10, v10, 0, 8
	s_delay_alu instid0(VALU_DEP_1) | instskip(SKIP_1) | instid1(VALU_DEP_1)
	v_cmp_le_i16_e64 s10, v10, v9
	v_add_co_u32 v9, s11, v4, v16
	v_add_co_ci_u32_e64 v10, s11, v5, v17, s11
	s_delay_alu instid0(VALU_DEP_3)
	s_and_b32 s7, s7, s10
	v_lshlrev_b64 v[16:17], 3, v[14:15]
	s_or_b32 s6, s6, s7
	v_add_co_u32 v18, s7, v4, v18
	v_cndmask_b32_e64 v14, v13, v20, s6
	v_add_co_ci_u32_e64 v19, s7, v5, v19, s7
	s_delay_alu instid0(VALU_DEP_4) | instskip(NEXT) | instid1(VALU_DEP_3)
	v_add_co_u32 v20, s7, v4, v16
	v_lshlrev_b64 v[13:14], 3, v[14:15]
	v_add_co_ci_u32_e64 v21, s7, v5, v17, s7
	v_cndmask_b32_e64 v32, v32, v35, s6
	s_delay_alu instid0(VALU_DEP_3) | instskip(NEXT) | instid1(VALU_DEP_1)
	v_add_co_u32 v4, s7, v4, v13
	v_add_co_ci_u32_e64 v5, s7, v5, v14, s7
	s_clause 0x3
	flat_load_b64 v[14:15], v[9:10] offset:1024
	flat_load_b64 v[16:17], v[18:19] offset:1024
	;; [unrolled: 1-line block ×4, first 2 shown]
.LBB420_54:
	s_or_b32 exec_lo, exec_lo, s15
	; wave barrier
	s_waitcnt vmcnt(0) lgkmcnt(0)
	s_waitcnt_vscnt null, 0x0
	s_barrier
                                        ; implicit-def: $vgpr28
                                        ; implicit-def: $vgpr12
                                        ; implicit-def: $vgpr13
                                        ; implicit-def: $vgpr5
                                        ; implicit-def: $vgpr9
                                        ; implicit-def: $vgpr4
.LBB420_55:
	s_and_not1_saveexec_b32 s10, s14
	s_cbranch_execz .LBB420_97
; %bb.56:
	s_load_b64 s[4:5], s[8:9], 0x0
	v_mov_b32_e32 v10, 0
	s_waitcnt lgkmcnt(0)
	s_cmp_lt_u32 s13, s5
	s_cselect_b32 s3, 14, 20
	s_delay_alu instid0(SALU_CYCLE_1)
	s_add_u32 s6, s8, s3
	s_addc_u32 s7, s9, 0
	s_cmp_lt_u32 s12, s4
	global_load_u16 v11, v10, s[6:7]
	s_cselect_b32 s3, 12, 18
	s_mov_b32 s6, exec_lo
	s_add_u32 s4, s8, s3
	s_addc_u32 s5, s9, 0
	global_load_u16 v10, v10, s[4:5]
	s_waitcnt vmcnt(1)
	v_mad_u32_u24 v5, v9, v11, v5
	s_waitcnt vmcnt(0)
	s_delay_alu instid0(VALU_DEP_1) | instskip(NEXT) | instid1(VALU_DEP_1)
	v_mul_lo_u32 v5, v5, v10
	v_add_lshl_u32 v11, v5, v4, 2
	s_delay_alu instid0(VALU_DEP_1)
	v_cmpx_gt_u32_e32 0x400, v11
	s_cbranch_execz .LBB420_66
; %bb.57:
	v_and_b32_e32 v4, 0xff, v33
	v_lshlrev_b16 v5, 8, v32
	v_lshlrev_b16 v9, 8, v29
	v_and_b32_e32 v10, 0xff, v30
	v_and_b32_e32 v22, 0xff, v29
	v_lshlrev_b16 v23, 8, v30
	v_or_b32_e32 v4, v4, v5
	s_mov_b32 s5, exec_lo
	v_or_b32_e32 v5, v10, v9
	v_bfe_i32 v10, v29, 0, 8
	v_or_b32_e32 v9, v22, v23
	v_lshlrev_b32_e32 v4, 16, v4
	v_bfe_i32 v22, v30, 0, 8
	v_and_b32_e32 v5, 0xffff, v5
	s_delay_alu instid0(VALU_DEP_4) | instskip(NEXT) | instid1(VALU_DEP_3)
	v_and_b32_e32 v9, 0xffff, v9
	v_cmp_gt_i16_e64 s3, v10, v22
	s_delay_alu instid0(VALU_DEP_3) | instskip(NEXT) | instid1(VALU_DEP_3)
	v_or_b32_e32 v5, v5, v4
	v_or_b32_e32 v4, v9, v4
	s_delay_alu instid0(VALU_DEP_1) | instskip(NEXT) | instid1(VALU_DEP_1)
	v_cndmask_b32_e64 v22, v4, v5, s3
	v_lshrrev_b32_e32 v4, 24, v22
	v_lshrrev_b32_e32 v5, 16, v22
	s_delay_alu instid0(VALU_DEP_2) | instskip(NEXT) | instid1(VALU_DEP_2)
	v_bfe_i32 v9, v4, 0, 8
	v_bfe_i32 v23, v5, 0, 8
	v_dual_mov_b32 v4, v18 :: v_dual_mov_b32 v5, v19
	s_delay_alu instid0(VALU_DEP_2)
	v_cmpx_gt_i16_e64 v23, v9
; %bb.58:
	v_perm_b32 v22, v22, v22, 0x6070504
	v_dual_mov_b32 v4, v20 :: v_dual_mov_b32 v5, v21
	v_dual_mov_b32 v21, v19 :: v_dual_mov_b32 v20, v18
	v_mov_b32_e32 v23, v9
; %bb.59:
	s_or_b32 exec_lo, exec_lo, s5
	v_lshrrev_b32_e32 v9, 8, v22
	v_cndmask_b32_e64 v19, v17, v15, s3
	v_cndmask_b32_e64 v18, v16, v14, s3
	s_delay_alu instid0(VALU_DEP_3) | instskip(NEXT) | instid1(VALU_DEP_2)
	v_bfe_i32 v24, v9, 0, 8
	v_dual_mov_b32 v9, v18 :: v_dual_mov_b32 v10, v19
	s_delay_alu instid0(VALU_DEP_2) | instskip(NEXT) | instid1(VALU_DEP_1)
	v_cmp_gt_i16_e64 s4, v24, v23
	s_and_saveexec_b32 s5, s4
	s_delay_alu instid0(SALU_CYCLE_1)
	s_xor_b32 s4, exec_lo, s5
; %bb.60:
	v_perm_b32 v22, v22, v23, 0x7050004
	v_dual_mov_b32 v10, v5 :: v_dual_mov_b32 v9, v4
	v_dual_mov_b32 v4, v18 :: v_dual_mov_b32 v5, v19
	v_mov_b32_e32 v24, v23
; %bb.61:
	s_or_b32 exec_lo, exec_lo, s4
	v_bfe_i32 v18, v22, 0, 8
	s_delay_alu instid0(VALU_DEP_2) | instskip(SKIP_1) | instid1(VALU_DEP_2)
	v_perm_b32 v19, v24, v22, 0x3020004
	s_mov_b32 s7, exec_lo
	v_cmp_gt_i16_e64 s4, v18, v24
	s_delay_alu instid0(VALU_DEP_1) | instskip(SKIP_1) | instid1(VALU_DEP_2)
	v_cndmask_b32_e64 v29, v22, v19, s4
	v_dual_mov_b32 v23, v5 :: v_dual_mov_b32 v22, v4
	v_lshrrev_b32_e32 v32, 24, v29
	v_lshrrev_b32_e32 v33, 16, v29
	;; [unrolled: 1-line block ×3, first 2 shown]
	s_delay_alu instid0(VALU_DEP_3) | instskip(NEXT) | instid1(VALU_DEP_3)
	v_bfe_i32 v18, v32, 0, 8
	v_bfe_i32 v24, v33, 0, 8
	s_delay_alu instid0(VALU_DEP_1)
	v_cmpx_gt_i16_e64 v24, v18
; %bb.62:
	v_mov_b32_e32 v23, v21
	v_dual_mov_b32 v19, v33 :: v_dual_mov_b32 v22, v20
	v_dual_mov_b32 v21, v5 :: v_dual_mov_b32 v24, v18
	v_swap_b32 v33, v32
	v_mov_b32_e32 v20, v4
; %bb.63:
	s_or_b32 exec_lo, exec_lo, s7
	v_cndmask_b32_e64 v4, v15, v17, s3
	v_cndmask_b32_e64 v5, v14, v16, s3
	v_bfe_i32 v18, v30, 0, 8
	s_delay_alu instid0(VALU_DEP_3) | instskip(NEXT) | instid1(VALU_DEP_3)
	v_cndmask_b32_e64 v15, v4, v10, s4
	v_cndmask_b32_e64 v14, v5, v9, s4
	;; [unrolled: 1-line block ×4, first 2 shown]
	v_cmp_gt_i16_e64 s3, v18, v24
	v_dual_mov_b32 v18, v22 :: v_dual_mov_b32 v19, v23
	s_delay_alu instid0(VALU_DEP_2)
	s_and_saveexec_b32 s4, s3
; %bb.64:
	v_dual_mov_b32 v33, v30 :: v_dual_mov_b32 v30, v24
	v_dual_mov_b32 v19, v17 :: v_dual_mov_b32 v18, v16
	;; [unrolled: 1-line block ×3, first 2 shown]
; %bb.65:
	s_or_b32 exec_lo, exec_lo, s4
.LBB420_66:
	s_delay_alu instid0(SALU_CYCLE_1)
	s_or_b32 exec_lo, exec_lo, s6
	v_and_b32_e32 v11, 0xffffff80, v11
	v_and_b32_e32 v22, 0xff, v29
	v_lshlrev_b16 v23, 8, v30
	v_and_b32_e32 v24, 0xff, v33
	v_lshlrev_b16 v25, 8, v32
	v_add_co_u32 v9, s3, v12, v11
	s_delay_alu instid0(VALU_DEP_1) | instskip(SKIP_3) | instid1(VALU_DEP_4)
	v_add_co_ci_u32_e64 v10, s3, 0, v13, s3
	v_or_b32_e32 v12, 4, v28
	v_sub_nc_u32_e64 v13, 0x400, v11 clamp
	v_lshlrev_b32_e32 v37, 3, v28
	v_mad_u64_u32 v[4:5], null, v11, 7, v[9:10]
	v_or_b32_e32 v22, v22, v23
	s_delay_alu instid0(VALU_DEP_4)
	v_min_u32_e32 v31, v13, v12
	v_or_b32_e32 v23, v24, v25
	v_and_b32_e32 v24, 4, v28
	v_and_b32_e32 v35, 0x78, v28
	v_add_co_u32 v11, s3, v9, v28
	v_add_nc_u32_e32 v34, 4, v31
	v_add_co_ci_u32_e64 v12, s3, 0, v10, s3
	v_and_b32_e32 v25, 0xffff, v22
	v_lshlrev_b32_e32 v38, 16, v23
	s_delay_alu instid0(VALU_DEP_4) | instskip(SKIP_3) | instid1(VALU_DEP_4)
	v_min_u32_e32 v34, v13, v34
	v_min_u32_e32 v36, v13, v24
	v_sub_nc_u32_e32 v24, v31, v35
	v_add_co_u32 v22, s3, v4, v37
	v_sub_nc_u32_e32 v39, v34, v31
	v_add_co_ci_u32_e64 v23, s3, 0, v5, s3
	v_or_b32_e32 v48, v25, v38
	v_min_u32_e32 v38, v36, v24
	v_add_co_u32 v24, s3, 0x400, v22
	v_sub_nc_u32_e64 v37, v36, v39 clamp
	v_add_co_ci_u32_e64 v25, s3, 0, v23, s3
	s_mov_b32 s4, exec_lo
	s_clause 0x2
	flat_store_b128 v[22:23], v[14:17] offset:1024
	flat_store_b32 v[11:12], v48
	flat_store_b128 v[22:23], v[18:21] offset:1040
	; wave barrier
	v_cmpx_lt_u32_e64 v37, v38
	s_cbranch_execz .LBB420_70
; %bb.67:
	v_add_co_u32 v39, s3, v9, v35
	s_delay_alu instid0(VALU_DEP_1) | instskip(SKIP_1) | instid1(VALU_DEP_1)
	v_add_co_ci_u32_e64 v48, s3, 0, v10, s3
	v_add_co_u32 v49, s3, v9, v31
	v_add_co_ci_u32_e64 v50, s3, 0, v10, s3
	s_mov_b32 s5, 0
	.p2align	6
.LBB420_68:                             ; =>This Inner Loop Header: Depth=1
	v_add_nc_u32_e32 v51, v38, v37
	s_delay_alu instid0(VALU_DEP_1) | instskip(NEXT) | instid1(VALU_DEP_1)
	v_lshrrev_b32_e32 v55, 1, v51
	v_xad_u32 v53, v55, -1, v36
	v_add_co_u32 v51, s3, v39, v55
	s_delay_alu instid0(VALU_DEP_1) | instskip(NEXT) | instid1(VALU_DEP_3)
	v_add_co_ci_u32_e64 v52, s3, 0, v48, s3
	v_add_co_u32 v53, s3, v49, v53
	s_delay_alu instid0(VALU_DEP_1)
	v_add_co_ci_u32_e64 v54, s3, 0, v50, s3
	s_clause 0x1
	flat_load_i8 v51, v[51:52]
	flat_load_i8 v52, v[53:54]
	v_add_nc_u32_e32 v53, 1, v55
	s_waitcnt vmcnt(0) lgkmcnt(0)
	v_cmp_gt_i16_e64 s3, v51, v52
	s_delay_alu instid0(VALU_DEP_1) | instskip(NEXT) | instid1(VALU_DEP_3)
	v_cndmask_b32_e64 v38, v38, v55, s3
	v_cndmask_b32_e64 v37, v53, v37, s3
	s_delay_alu instid0(VALU_DEP_1) | instskip(NEXT) | instid1(VALU_DEP_1)
	v_cmp_ge_u32_e64 s3, v37, v38
	s_or_b32 s5, s3, s5
	s_delay_alu instid0(SALU_CYCLE_1)
	s_and_not1_b32 exec_lo, exec_lo, s5
	s_cbranch_execnz .LBB420_68
; %bb.69:
	s_or_b32 exec_lo, exec_lo, s5
.LBB420_70:
	s_delay_alu instid0(SALU_CYCLE_1) | instskip(SKIP_2) | instid1(VALU_DEP_2)
	s_or_b32 exec_lo, exec_lo, s4
	v_add_nc_u32_e32 v38, v31, v36
	v_add_nc_u32_e32 v36, v37, v35
	v_sub_nc_u32_e32 v35, v38, v37
	s_delay_alu instid0(VALU_DEP_2) | instskip(NEXT) | instid1(VALU_DEP_2)
	v_cmp_le_u32_e64 s3, v36, v31
	v_cmp_le_u32_e64 s4, v35, v34
	s_delay_alu instid0(VALU_DEP_1) | instskip(NEXT) | instid1(SALU_CYCLE_1)
	s_or_b32 s3, s3, s4
	s_and_saveexec_b32 s11, s3
	s_cbranch_execz .LBB420_76
; %bb.71:
	v_cmp_lt_u32_e64 s3, v36, v31
                                        ; implicit-def: $vgpr29
	s_delay_alu instid0(VALU_DEP_1)
	s_and_saveexec_b32 s5, s3
	s_cbranch_execz .LBB420_73
; %bb.72:
	v_add_co_u32 v14, s4, v9, v36
	s_delay_alu instid0(VALU_DEP_1)
	v_add_co_ci_u32_e64 v15, s4, 0, v10, s4
	flat_load_u8 v29, v[14:15]
.LBB420_73:
	s_or_b32 exec_lo, exec_lo, s5
	v_cmp_ge_u32_e64 s4, v35, v34
	s_mov_b32 s6, exec_lo
                                        ; implicit-def: $vgpr30
	v_cmpx_lt_u32_e64 v35, v34
	s_cbranch_execz .LBB420_75
; %bb.74:
	v_add_co_u32 v14, s5, v9, v35
	s_delay_alu instid0(VALU_DEP_1)
	v_add_co_ci_u32_e64 v15, s5, 0, v10, s5
	flat_load_u8 v30, v[14:15]
.LBB420_75:
	s_or_b32 exec_lo, exec_lo, s6
	s_waitcnt vmcnt(0) lgkmcnt(0)
	v_bfe_i32 v14, v30, 0, 8
	v_bfe_i32 v15, v29, 0, 8
	s_delay_alu instid0(VALU_DEP_1) | instskip(NEXT) | instid1(VALU_DEP_1)
	v_cmp_le_i16_e64 s5, v15, v14
	s_and_b32 s3, s3, s5
	s_delay_alu instid0(SALU_CYCLE_1) | instskip(NEXT) | instid1(SALU_CYCLE_1)
	s_or_b32 s3, s4, s3
	v_cndmask_b32_e64 v14, v35, v36, s3
	v_cndmask_b32_e64 v15, v34, v31, s3
	s_delay_alu instid0(VALU_DEP_2) | instskip(NEXT) | instid1(VALU_DEP_2)
	v_add_nc_u32_e32 v17, 1, v14
	v_add_nc_u32_e32 v15, -1, v15
	s_delay_alu instid0(VALU_DEP_2) | instskip(NEXT) | instid1(VALU_DEP_2)
	v_cndmask_b32_e64 v20, v36, v17, s3
	v_min_u32_e32 v15, v17, v15
	v_cndmask_b32_e64 v21, v17, v35, s3
	s_delay_alu instid0(VALU_DEP_2) | instskip(NEXT) | instid1(VALU_DEP_1)
	v_add_co_u32 v15, s4, v9, v15
	v_add_co_ci_u32_e64 v16, s4, 0, v10, s4
	v_cmp_lt_u32_e64 s4, v20, v31
	s_delay_alu instid0(VALU_DEP_4)
	v_cmp_ge_u32_e64 s6, v21, v34
	flat_load_u8 v15, v[15:16]
	s_waitcnt vmcnt(0) lgkmcnt(0)
	v_cndmask_b32_e64 v33, v15, v30, s3
	v_cndmask_b32_e64 v37, v29, v15, s3
	;; [unrolled: 1-line block ×3, first 2 shown]
	s_delay_alu instid0(VALU_DEP_3) | instskip(NEXT) | instid1(VALU_DEP_3)
	v_bfe_i32 v15, v33, 0, 8
	v_bfe_i32 v16, v37, 0, 8
	s_delay_alu instid0(VALU_DEP_1) | instskip(SKIP_1) | instid1(VALU_DEP_2)
	v_cmp_le_i16_e64 s5, v16, v15
	v_mov_b32_e32 v15, 0
	s_and_b32 s4, s4, s5
	s_delay_alu instid0(VALU_DEP_1) | instskip(SKIP_1) | instid1(SALU_CYCLE_1)
	v_lshlrev_b64 v[16:17], 3, v[14:15]
	s_or_b32 s4, s6, s4
	v_cndmask_b32_e64 v14, v21, v20, s4
	v_cndmask_b32_e64 v18, v34, v31, s4
	;; [unrolled: 1-line block ×3, first 2 shown]
	s_delay_alu instid0(VALU_DEP_4) | instskip(NEXT) | instid1(VALU_DEP_4)
	v_add_co_u32 v16, s9, v4, v16
	v_add_nc_u32_e32 v32, 1, v14
	s_delay_alu instid0(VALU_DEP_4) | instskip(SKIP_1) | instid1(VALU_DEP_3)
	v_add_nc_u32_e32 v18, -1, v18
	v_add_co_ci_u32_e64 v17, s9, v5, v17, s9
	v_cndmask_b32_e64 v38, v20, v32, s4
	s_delay_alu instid0(VALU_DEP_3) | instskip(SKIP_1) | instid1(VALU_DEP_2)
	v_min_u32_e32 v18, v32, v18
	v_cndmask_b32_e64 v32, v32, v21, s4
	v_add_co_u32 v18, s5, v9, v18
	s_delay_alu instid0(VALU_DEP_1) | instskip(SKIP_1) | instid1(VALU_DEP_4)
	v_add_co_ci_u32_e64 v19, s5, 0, v10, s5
	v_cmp_lt_u32_e64 s5, v38, v31
	v_cmp_ge_u32_e64 s7, v32, v34
	flat_load_u8 v18, v[18:19]
	s_waitcnt vmcnt(0) lgkmcnt(0)
	v_cndmask_b32_e64 v35, v18, v33, s4
	v_cndmask_b32_e64 v36, v37, v18, s4
	s_delay_alu instid0(VALU_DEP_2) | instskip(NEXT) | instid1(VALU_DEP_2)
	v_bfe_i32 v18, v35, 0, 8
	v_bfe_i32 v19, v36, 0, 8
	s_delay_alu instid0(VALU_DEP_1) | instskip(SKIP_1) | instid1(VALU_DEP_2)
	v_cmp_le_i16_e64 s6, v19, v18
	v_lshlrev_b64 v[18:19], 3, v[14:15]
	s_and_b32 s5, s5, s6
	s_delay_alu instid0(SALU_CYCLE_1) | instskip(NEXT) | instid1(SALU_CYCLE_1)
	s_or_b32 s5, s7, s5
	v_cndmask_b32_e64 v14, v32, v38, s5
	v_cndmask_b32_e64 v20, v34, v31, s5
	;; [unrolled: 1-line block ×3, first 2 shown]
	s_delay_alu instid0(VALU_DEP_3) | instskip(NEXT) | instid1(VALU_DEP_3)
	v_add_nc_u32_e32 v39, 1, v14
	v_add_nc_u32_e32 v20, -1, v20
	s_delay_alu instid0(VALU_DEP_2) | instskip(NEXT) | instid1(VALU_DEP_2)
	v_cndmask_b32_e64 v38, v38, v39, s5
	v_min_u32_e32 v20, v39, v20
	v_cndmask_b32_e64 v32, v39, v32, s5
	s_delay_alu instid0(VALU_DEP_3) | instskip(NEXT) | instid1(VALU_DEP_3)
	v_cmp_lt_u32_e64 s7, v38, v31
	v_add_co_u32 v20, s6, v9, v20
	s_delay_alu instid0(VALU_DEP_1) | instskip(NEXT) | instid1(VALU_DEP_4)
	v_add_co_ci_u32_e64 v21, s6, 0, v10, s6
	v_cmp_ge_u32_e64 s6, v32, v34
	flat_load_u8 v20, v[20:21]
	s_waitcnt vmcnt(0) lgkmcnt(0)
	v_cndmask_b32_e64 v48, v20, v35, s5
	v_cndmask_b32_e64 v49, v36, v20, s5
	s_delay_alu instid0(VALU_DEP_2) | instskip(NEXT) | instid1(VALU_DEP_2)
	v_bfe_i32 v20, v48, 0, 8
	v_bfe_i32 v21, v49, 0, 8
	s_delay_alu instid0(VALU_DEP_1) | instskip(SKIP_1) | instid1(VALU_DEP_2)
	v_cmp_le_i16_e64 s8, v21, v20
	v_lshlrev_b64 v[20:21], 3, v[14:15]
	s_and_b32 s7, s7, s8
	s_delay_alu instid0(SALU_CYCLE_1) | instskip(SKIP_4) | instid1(VALU_DEP_3)
	s_or_b32 s6, s6, s7
	v_add_co_u32 v18, s7, v4, v18
	v_cndmask_b32_e64 v14, v32, v38, s6
	v_add_co_ci_u32_e64 v19, s7, v5, v19, s7
	v_add_co_u32 v20, s7, v4, v20
	v_lshlrev_b64 v[14:15], 3, v[14:15]
	v_add_co_ci_u32_e64 v21, s7, v5, v21, s7
	s_delay_alu instid0(VALU_DEP_2) | instskip(NEXT) | instid1(VALU_DEP_1)
	v_add_co_u32 v31, s7, v4, v14
	v_add_co_ci_u32_e64 v32, s7, v5, v15, s7
	s_clause 0x3
	flat_load_b64 v[14:15], v[16:17] offset:1024
	flat_load_b64 v[16:17], v[18:19] offset:1024
	;; [unrolled: 1-line block ×4, first 2 shown]
	v_cndmask_b32_e64 v32, v48, v49, s6
.LBB420_76:
	s_or_b32 exec_lo, exec_lo, s11
	v_and_b32_e32 v35, 0x70, v28
	v_lshlrev_b16 v36, 8, v30
	v_and_b32_e32 v37, 0xff, v29
	v_lshlrev_b16 v38, 8, v32
	v_and_b32_e32 v39, 0xff, v33
	v_or_b32_e32 v31, 8, v35
	v_and_b32_e32 v48, 12, v28
	v_or_b32_e32 v37, v37, v36
	s_mov_b32 s4, exec_lo
	v_or_b32_e32 v38, v39, v38
	v_min_u32_e32 v31, v13, v31
	v_min_u32_e32 v36, v13, v48
	v_and_b32_e32 v49, 0xffff, v37
	s_delay_alu instid0(VALU_DEP_4) | instskip(NEXT) | instid1(VALU_DEP_4)
	v_lshlrev_b32_e32 v50, 16, v38
	v_add_nc_u32_e32 v34, 8, v31
	v_sub_nc_u32_e32 v39, v31, v35
	; wave barrier
	s_delay_alu instid0(VALU_DEP_2) | instskip(NEXT) | instid1(VALU_DEP_2)
	v_min_u32_e32 v34, v13, v34
	v_min_u32_e32 v38, v36, v39
	v_or_b32_e32 v39, v49, v50
	s_waitcnt vmcnt(2) lgkmcnt(2)
	s_clause 0x1
	flat_store_b128 v[22:23], v[14:17] offset:1024
	flat_store_b32 v[11:12], v39
	s_waitcnt vmcnt(0) lgkmcnt(2)
	flat_store_b128 v[24:25], v[18:21] offset:16
	v_sub_nc_u32_e32 v48, v34, v31
	; wave barrier
	s_delay_alu instid0(VALU_DEP_1) | instskip(NEXT) | instid1(VALU_DEP_1)
	v_sub_nc_u32_e64 v37, v36, v48 clamp
	v_cmpx_lt_u32_e64 v37, v38
	s_cbranch_execz .LBB420_80
; %bb.77:
	v_add_co_u32 v39, s3, v9, v35
	s_delay_alu instid0(VALU_DEP_1) | instskip(SKIP_1) | instid1(VALU_DEP_1)
	v_add_co_ci_u32_e64 v48, s3, 0, v10, s3
	v_add_co_u32 v49, s3, v9, v31
	v_add_co_ci_u32_e64 v50, s3, 0, v10, s3
	s_mov_b32 s5, 0
	.p2align	6
.LBB420_78:                             ; =>This Inner Loop Header: Depth=1
	v_add_nc_u32_e32 v51, v38, v37
	s_delay_alu instid0(VALU_DEP_1) | instskip(NEXT) | instid1(VALU_DEP_1)
	v_lshrrev_b32_e32 v55, 1, v51
	v_xad_u32 v53, v55, -1, v36
	v_add_co_u32 v51, s3, v39, v55
	s_delay_alu instid0(VALU_DEP_1) | instskip(NEXT) | instid1(VALU_DEP_3)
	v_add_co_ci_u32_e64 v52, s3, 0, v48, s3
	v_add_co_u32 v53, s3, v49, v53
	s_delay_alu instid0(VALU_DEP_1)
	v_add_co_ci_u32_e64 v54, s3, 0, v50, s3
	s_clause 0x1
	flat_load_i8 v51, v[51:52]
	flat_load_i8 v52, v[53:54]
	v_add_nc_u32_e32 v53, 1, v55
	s_waitcnt vmcnt(0) lgkmcnt(0)
	v_cmp_gt_i16_e64 s3, v51, v52
	s_delay_alu instid0(VALU_DEP_1) | instskip(NEXT) | instid1(VALU_DEP_3)
	v_cndmask_b32_e64 v38, v38, v55, s3
	v_cndmask_b32_e64 v37, v53, v37, s3
	s_delay_alu instid0(VALU_DEP_1) | instskip(NEXT) | instid1(VALU_DEP_1)
	v_cmp_ge_u32_e64 s3, v37, v38
	s_or_b32 s5, s3, s5
	s_delay_alu instid0(SALU_CYCLE_1)
	s_and_not1_b32 exec_lo, exec_lo, s5
	s_cbranch_execnz .LBB420_78
; %bb.79:
	s_or_b32 exec_lo, exec_lo, s5
.LBB420_80:
	s_delay_alu instid0(SALU_CYCLE_1) | instskip(SKIP_2) | instid1(VALU_DEP_2)
	s_or_b32 exec_lo, exec_lo, s4
	v_add_nc_u32_e32 v38, v31, v36
	v_add_nc_u32_e32 v36, v37, v35
	v_sub_nc_u32_e32 v35, v38, v37
	s_delay_alu instid0(VALU_DEP_2) | instskip(NEXT) | instid1(VALU_DEP_2)
	v_cmp_le_u32_e64 s3, v36, v31
	v_cmp_le_u32_e64 s4, v35, v34
	s_delay_alu instid0(VALU_DEP_1) | instskip(NEXT) | instid1(SALU_CYCLE_1)
	s_or_b32 s3, s3, s4
	s_and_saveexec_b32 s11, s3
	s_cbranch_execz .LBB420_86
; %bb.81:
	v_cmp_lt_u32_e64 s3, v36, v31
                                        ; implicit-def: $vgpr29
	s_delay_alu instid0(VALU_DEP_1)
	s_and_saveexec_b32 s5, s3
	s_cbranch_execz .LBB420_83
; %bb.82:
	v_add_co_u32 v14, s4, v9, v36
	s_delay_alu instid0(VALU_DEP_1)
	v_add_co_ci_u32_e64 v15, s4, 0, v10, s4
	flat_load_u8 v29, v[14:15]
.LBB420_83:
	s_or_b32 exec_lo, exec_lo, s5
	v_cmp_ge_u32_e64 s4, v35, v34
	s_mov_b32 s6, exec_lo
                                        ; implicit-def: $vgpr30
	v_cmpx_lt_u32_e64 v35, v34
	s_cbranch_execz .LBB420_85
; %bb.84:
	v_add_co_u32 v14, s5, v9, v35
	s_delay_alu instid0(VALU_DEP_1)
	v_add_co_ci_u32_e64 v15, s5, 0, v10, s5
	flat_load_u8 v30, v[14:15]
.LBB420_85:
	s_or_b32 exec_lo, exec_lo, s6
	s_waitcnt vmcnt(0) lgkmcnt(0)
	v_bfe_i32 v14, v30, 0, 8
	v_bfe_i32 v15, v29, 0, 8
	s_delay_alu instid0(VALU_DEP_1) | instskip(NEXT) | instid1(VALU_DEP_1)
	v_cmp_le_i16_e64 s5, v15, v14
	s_and_b32 s3, s3, s5
	s_delay_alu instid0(SALU_CYCLE_1) | instskip(NEXT) | instid1(SALU_CYCLE_1)
	s_or_b32 s3, s4, s3
	v_cndmask_b32_e64 v14, v35, v36, s3
	v_cndmask_b32_e64 v15, v34, v31, s3
	s_delay_alu instid0(VALU_DEP_2) | instskip(NEXT) | instid1(VALU_DEP_2)
	v_add_nc_u32_e32 v17, 1, v14
	v_add_nc_u32_e32 v15, -1, v15
	s_delay_alu instid0(VALU_DEP_2) | instskip(NEXT) | instid1(VALU_DEP_2)
	v_cndmask_b32_e64 v20, v36, v17, s3
	v_min_u32_e32 v15, v17, v15
	v_cndmask_b32_e64 v21, v17, v35, s3
	s_delay_alu instid0(VALU_DEP_2) | instskip(NEXT) | instid1(VALU_DEP_1)
	v_add_co_u32 v15, s4, v9, v15
	v_add_co_ci_u32_e64 v16, s4, 0, v10, s4
	v_cmp_lt_u32_e64 s4, v20, v31
	s_delay_alu instid0(VALU_DEP_4)
	v_cmp_ge_u32_e64 s6, v21, v34
	flat_load_u8 v15, v[15:16]
	s_waitcnt vmcnt(0) lgkmcnt(0)
	v_cndmask_b32_e64 v33, v15, v30, s3
	v_cndmask_b32_e64 v37, v29, v15, s3
	;; [unrolled: 1-line block ×3, first 2 shown]
	s_delay_alu instid0(VALU_DEP_3) | instskip(NEXT) | instid1(VALU_DEP_3)
	v_bfe_i32 v15, v33, 0, 8
	v_bfe_i32 v16, v37, 0, 8
	s_delay_alu instid0(VALU_DEP_1) | instskip(SKIP_1) | instid1(VALU_DEP_2)
	v_cmp_le_i16_e64 s5, v16, v15
	v_mov_b32_e32 v15, 0
	s_and_b32 s4, s4, s5
	s_delay_alu instid0(VALU_DEP_1) | instskip(SKIP_1) | instid1(SALU_CYCLE_1)
	v_lshlrev_b64 v[16:17], 3, v[14:15]
	s_or_b32 s4, s6, s4
	v_cndmask_b32_e64 v14, v21, v20, s4
	v_cndmask_b32_e64 v18, v34, v31, s4
	;; [unrolled: 1-line block ×3, first 2 shown]
	s_delay_alu instid0(VALU_DEP_4) | instskip(NEXT) | instid1(VALU_DEP_4)
	v_add_co_u32 v16, s9, v4, v16
	v_add_nc_u32_e32 v32, 1, v14
	s_delay_alu instid0(VALU_DEP_4) | instskip(SKIP_1) | instid1(VALU_DEP_3)
	v_add_nc_u32_e32 v18, -1, v18
	v_add_co_ci_u32_e64 v17, s9, v5, v17, s9
	v_cndmask_b32_e64 v38, v20, v32, s4
	s_delay_alu instid0(VALU_DEP_3) | instskip(SKIP_1) | instid1(VALU_DEP_2)
	v_min_u32_e32 v18, v32, v18
	v_cndmask_b32_e64 v32, v32, v21, s4
	v_add_co_u32 v18, s5, v9, v18
	s_delay_alu instid0(VALU_DEP_1) | instskip(SKIP_1) | instid1(VALU_DEP_4)
	v_add_co_ci_u32_e64 v19, s5, 0, v10, s5
	v_cmp_lt_u32_e64 s5, v38, v31
	v_cmp_ge_u32_e64 s7, v32, v34
	flat_load_u8 v18, v[18:19]
	s_waitcnt vmcnt(0) lgkmcnt(0)
	v_cndmask_b32_e64 v35, v18, v33, s4
	v_cndmask_b32_e64 v36, v37, v18, s4
	s_delay_alu instid0(VALU_DEP_2) | instskip(NEXT) | instid1(VALU_DEP_2)
	v_bfe_i32 v18, v35, 0, 8
	v_bfe_i32 v19, v36, 0, 8
	s_delay_alu instid0(VALU_DEP_1) | instskip(SKIP_1) | instid1(VALU_DEP_2)
	v_cmp_le_i16_e64 s6, v19, v18
	v_lshlrev_b64 v[18:19], 3, v[14:15]
	s_and_b32 s5, s5, s6
	s_delay_alu instid0(SALU_CYCLE_1) | instskip(NEXT) | instid1(SALU_CYCLE_1)
	s_or_b32 s5, s7, s5
	v_cndmask_b32_e64 v14, v32, v38, s5
	v_cndmask_b32_e64 v20, v34, v31, s5
	;; [unrolled: 1-line block ×3, first 2 shown]
	s_delay_alu instid0(VALU_DEP_3) | instskip(NEXT) | instid1(VALU_DEP_3)
	v_add_nc_u32_e32 v39, 1, v14
	v_add_nc_u32_e32 v20, -1, v20
	s_delay_alu instid0(VALU_DEP_2) | instskip(NEXT) | instid1(VALU_DEP_2)
	v_cndmask_b32_e64 v38, v38, v39, s5
	v_min_u32_e32 v20, v39, v20
	v_cndmask_b32_e64 v32, v39, v32, s5
	s_delay_alu instid0(VALU_DEP_3) | instskip(NEXT) | instid1(VALU_DEP_3)
	v_cmp_lt_u32_e64 s7, v38, v31
	v_add_co_u32 v20, s6, v9, v20
	s_delay_alu instid0(VALU_DEP_1) | instskip(NEXT) | instid1(VALU_DEP_4)
	v_add_co_ci_u32_e64 v21, s6, 0, v10, s6
	v_cmp_ge_u32_e64 s6, v32, v34
	flat_load_u8 v20, v[20:21]
	s_waitcnt vmcnt(0) lgkmcnt(0)
	v_cndmask_b32_e64 v48, v20, v35, s5
	v_cndmask_b32_e64 v49, v36, v20, s5
	s_delay_alu instid0(VALU_DEP_2) | instskip(NEXT) | instid1(VALU_DEP_2)
	v_bfe_i32 v20, v48, 0, 8
	v_bfe_i32 v21, v49, 0, 8
	s_delay_alu instid0(VALU_DEP_1) | instskip(SKIP_1) | instid1(VALU_DEP_2)
	v_cmp_le_i16_e64 s8, v21, v20
	v_lshlrev_b64 v[20:21], 3, v[14:15]
	s_and_b32 s7, s7, s8
	s_delay_alu instid0(SALU_CYCLE_1) | instskip(SKIP_4) | instid1(VALU_DEP_3)
	s_or_b32 s6, s6, s7
	v_add_co_u32 v18, s7, v4, v18
	v_cndmask_b32_e64 v14, v32, v38, s6
	v_add_co_ci_u32_e64 v19, s7, v5, v19, s7
	v_add_co_u32 v20, s7, v4, v20
	v_lshlrev_b64 v[14:15], 3, v[14:15]
	v_add_co_ci_u32_e64 v21, s7, v5, v21, s7
	s_delay_alu instid0(VALU_DEP_2) | instskip(NEXT) | instid1(VALU_DEP_1)
	v_add_co_u32 v31, s7, v4, v14
	v_add_co_ci_u32_e64 v32, s7, v5, v15, s7
	s_clause 0x3
	flat_load_b64 v[14:15], v[16:17] offset:1024
	flat_load_b64 v[16:17], v[18:19] offset:1024
	;; [unrolled: 1-line block ×4, first 2 shown]
	v_cndmask_b32_e64 v32, v48, v49, s6
.LBB420_86:
	s_or_b32 exec_lo, exec_lo, s11
	v_and_b32_e32 v34, 0x60, v28
	v_lshlrev_b16 v35, 8, v30
	v_and_b32_e32 v36, 0xff, v29
	v_lshlrev_b16 v37, 8, v32
	v_and_b32_e32 v38, 0xff, v33
	v_or_b32_e32 v28, 16, v34
	s_mov_b32 s4, exec_lo
	v_or_b32_e32 v35, v36, v35
	s_delay_alu instid0(VALU_DEP_3) | instskip(NEXT) | instid1(VALU_DEP_3)
	v_or_b32_e32 v36, v38, v37
	v_min_u32_e32 v28, v13, v28
	; wave barrier
	s_delay_alu instid0(VALU_DEP_3) | instskip(NEXT) | instid1(VALU_DEP_3)
	v_and_b32_e32 v39, 0xffff, v35
	v_lshlrev_b32_e32 v48, 16, v36
	s_delay_alu instid0(VALU_DEP_3) | instskip(SKIP_1) | instid1(VALU_DEP_2)
	v_add_nc_u32_e32 v31, 16, v28
	v_sub_nc_u32_e32 v37, v28, v34
	v_min_u32_e32 v31, v13, v31
	v_min_u32_e32 v13, v13, v26
	s_delay_alu instid0(VALU_DEP_2) | instskip(NEXT) | instid1(VALU_DEP_2)
	v_sub_nc_u32_e32 v38, v31, v28
	v_min_u32_e32 v36, v13, v37
	v_or_b32_e32 v37, v39, v48
	s_waitcnt vmcnt(2) lgkmcnt(2)
	s_clause 0x1
	flat_store_b128 v[22:23], v[14:17] offset:1024
	flat_store_b32 v[11:12], v37
	s_waitcnt vmcnt(0) lgkmcnt(2)
	flat_store_b128 v[24:25], v[18:21] offset:16
	v_sub_nc_u32_e64 v35, v13, v38 clamp
	; wave barrier
	s_delay_alu instid0(VALU_DEP_1)
	v_cmpx_lt_u32_e64 v35, v36
	s_cbranch_execz .LBB420_90
; %bb.87:
	v_add_co_u32 v11, s3, v9, v34
	s_delay_alu instid0(VALU_DEP_1) | instskip(SKIP_1) | instid1(VALU_DEP_1)
	v_add_co_ci_u32_e64 v12, s3, 0, v10, s3
	v_add_co_u32 v22, s3, v9, v28
	v_add_co_ci_u32_e64 v23, s3, 0, v10, s3
	s_mov_b32 s5, 0
	.p2align	6
.LBB420_88:                             ; =>This Inner Loop Header: Depth=1
	v_add_nc_u32_e32 v24, v36, v35
	s_delay_alu instid0(VALU_DEP_1) | instskip(NEXT) | instid1(VALU_DEP_1)
	v_lshrrev_b32_e32 v39, 1, v24
	v_xad_u32 v37, v39, -1, v13
	v_add_co_u32 v24, s3, v11, v39
	s_delay_alu instid0(VALU_DEP_1) | instskip(NEXT) | instid1(VALU_DEP_3)
	v_add_co_ci_u32_e64 v25, s3, 0, v12, s3
	v_add_co_u32 v37, s3, v22, v37
	s_delay_alu instid0(VALU_DEP_1)
	v_add_co_ci_u32_e64 v38, s3, 0, v23, s3
	s_clause 0x1
	flat_load_i8 v24, v[24:25]
	flat_load_i8 v25, v[37:38]
	v_add_nc_u32_e32 v37, 1, v39
	s_waitcnt vmcnt(0) lgkmcnt(0)
	v_cmp_gt_i16_e64 s3, v24, v25
	s_delay_alu instid0(VALU_DEP_1) | instskip(NEXT) | instid1(VALU_DEP_3)
	v_cndmask_b32_e64 v36, v36, v39, s3
	v_cndmask_b32_e64 v35, v37, v35, s3
	s_delay_alu instid0(VALU_DEP_1) | instskip(NEXT) | instid1(VALU_DEP_1)
	v_cmp_ge_u32_e64 s3, v35, v36
	s_or_b32 s5, s3, s5
	s_delay_alu instid0(SALU_CYCLE_1)
	s_and_not1_b32 exec_lo, exec_lo, s5
	s_cbranch_execnz .LBB420_88
; %bb.89:
	s_or_b32 exec_lo, exec_lo, s5
.LBB420_90:
	s_delay_alu instid0(SALU_CYCLE_1) | instskip(SKIP_2) | instid1(VALU_DEP_2)
	s_or_b32 exec_lo, exec_lo, s4
	v_add_nc_u32_e32 v11, v28, v13
	v_add_nc_u32_e32 v22, v35, v34
	v_sub_nc_u32_e32 v13, v11, v35
	s_delay_alu instid0(VALU_DEP_2) | instskip(NEXT) | instid1(VALU_DEP_2)
	v_cmp_le_u32_e64 s3, v22, v28
	v_cmp_le_u32_e64 s4, v13, v31
	s_delay_alu instid0(VALU_DEP_1) | instskip(NEXT) | instid1(SALU_CYCLE_1)
	s_or_b32 s3, s3, s4
	s_and_saveexec_b32 s11, s3
	s_cbranch_execz .LBB420_96
; %bb.91:
	v_cmp_lt_u32_e64 s3, v22, v28
                                        ; implicit-def: $vgpr11
	s_delay_alu instid0(VALU_DEP_1)
	s_and_saveexec_b32 s5, s3
	s_cbranch_execz .LBB420_93
; %bb.92:
	v_add_co_u32 v11, s4, v9, v22
	s_delay_alu instid0(VALU_DEP_1)
	v_add_co_ci_u32_e64 v12, s4, 0, v10, s4
	flat_load_u8 v11, v[11:12]
.LBB420_93:
	s_or_b32 exec_lo, exec_lo, s5
	v_cmp_ge_u32_e64 s4, v13, v31
	s_mov_b32 s6, exec_lo
                                        ; implicit-def: $vgpr12
	v_cmpx_lt_u32_e64 v13, v31
	s_cbranch_execz .LBB420_95
; %bb.94:
	v_add_co_u32 v14, s5, v9, v13
	s_delay_alu instid0(VALU_DEP_1)
	v_add_co_ci_u32_e64 v15, s5, 0, v10, s5
	flat_load_u8 v12, v[14:15]
.LBB420_95:
	s_or_b32 exec_lo, exec_lo, s6
	s_waitcnt vmcnt(0) lgkmcnt(0)
	v_bfe_i32 v14, v12, 0, 8
	v_bfe_i32 v15, v11, 0, 8
	s_delay_alu instid0(VALU_DEP_1) | instskip(NEXT) | instid1(VALU_DEP_1)
	v_cmp_le_i16_e64 s5, v15, v14
	s_and_b32 s3, s3, s5
	s_delay_alu instid0(SALU_CYCLE_1) | instskip(NEXT) | instid1(SALU_CYCLE_1)
	s_or_b32 s3, s4, s3
	v_cndmask_b32_e64 v14, v13, v22, s3
	v_cndmask_b32_e64 v15, v31, v28, s3
	s_delay_alu instid0(VALU_DEP_2) | instskip(NEXT) | instid1(VALU_DEP_2)
	v_add_nc_u32_e32 v17, 1, v14
	v_add_nc_u32_e32 v15, -1, v15
	s_delay_alu instid0(VALU_DEP_2) | instskip(NEXT) | instid1(VALU_DEP_2)
	v_cndmask_b32_e64 v20, v22, v17, s3
	v_min_u32_e32 v15, v17, v15
	v_cndmask_b32_e64 v13, v17, v13, s3
	s_delay_alu instid0(VALU_DEP_2) | instskip(NEXT) | instid1(VALU_DEP_1)
	v_add_co_u32 v15, s4, v9, v15
	v_add_co_ci_u32_e64 v16, s4, 0, v10, s4
	v_cmp_lt_u32_e64 s4, v20, v28
	s_delay_alu instid0(VALU_DEP_4) | instskip(SKIP_4) | instid1(VALU_DEP_2)
	v_cmp_ge_u32_e64 s6, v13, v31
	flat_load_u8 v15, v[15:16]
	s_waitcnt vmcnt(0) lgkmcnt(0)
	v_cndmask_b32_e64 v23, v15, v12, s3
	v_cndmask_b32_e64 v24, v11, v15, s3
	v_bfe_i32 v15, v23, 0, 8
	s_delay_alu instid0(VALU_DEP_2) | instskip(NEXT) | instid1(VALU_DEP_1)
	v_bfe_i32 v16, v24, 0, 8
	v_cmp_le_i16_e64 s5, v16, v15
	s_delay_alu instid0(VALU_DEP_1) | instskip(NEXT) | instid1(SALU_CYCLE_1)
	s_and_b32 s4, s4, s5
	s_or_b32 s4, s6, s4
	s_delay_alu instid0(SALU_CYCLE_1) | instskip(SKIP_2) | instid1(VALU_DEP_3)
	v_cndmask_b32_e64 v18, v31, v28, s4
	v_mov_b32_e32 v15, 0
	v_cndmask_b32_e64 v30, v23, v24, s4
	v_add_nc_u32_e32 v18, -1, v18
	s_delay_alu instid0(VALU_DEP_3) | instskip(SKIP_1) | instid1(VALU_DEP_1)
	v_lshlrev_b64 v[16:17], 3, v[14:15]
	v_cndmask_b32_e64 v14, v13, v20, s4
	v_add_nc_u32_e32 v21, 1, v14
	s_delay_alu instid0(VALU_DEP_1) | instskip(SKIP_2) | instid1(VALU_DEP_3)
	v_min_u32_e32 v18, v21, v18
	v_cndmask_b32_e64 v20, v20, v21, s4
	v_cndmask_b32_e64 v13, v21, v13, s4
	v_add_co_u32 v18, s5, v9, v18
	s_delay_alu instid0(VALU_DEP_1) | instskip(NEXT) | instid1(VALU_DEP_4)
	v_add_co_ci_u32_e64 v19, s5, 0, v10, s5
	v_cmp_lt_u32_e64 s5, v20, v28
	s_delay_alu instid0(VALU_DEP_4) | instskip(SKIP_4) | instid1(VALU_DEP_2)
	v_cmp_ge_u32_e64 s7, v13, v31
	flat_load_u8 v18, v[18:19]
	s_waitcnt vmcnt(0) lgkmcnt(0)
	v_cndmask_b32_e64 v22, v18, v23, s4
	v_cndmask_b32_e64 v25, v24, v18, s4
	v_bfe_i32 v18, v22, 0, 8
	s_delay_alu instid0(VALU_DEP_2) | instskip(NEXT) | instid1(VALU_DEP_1)
	v_bfe_i32 v19, v25, 0, 8
	v_cmp_le_i16_e64 s6, v19, v18
	v_lshlrev_b64 v[18:19], 3, v[14:15]
	s_delay_alu instid0(VALU_DEP_2) | instskip(NEXT) | instid1(SALU_CYCLE_1)
	s_and_b32 s5, s5, s6
	s_or_b32 s5, s7, s5
	s_delay_alu instid0(SALU_CYCLE_1) | instskip(SKIP_2) | instid1(VALU_DEP_3)
	v_cndmask_b32_e64 v14, v13, v20, s5
	v_cndmask_b32_e64 v21, v31, v28, s5
	;; [unrolled: 1-line block ×3, first 2 shown]
	v_add_nc_u32_e32 v29, 1, v14
	s_delay_alu instid0(VALU_DEP_3) | instskip(NEXT) | instid1(VALU_DEP_2)
	v_add_nc_u32_e32 v21, -1, v21
	v_cndmask_b32_e64 v20, v20, v29, s5
	s_delay_alu instid0(VALU_DEP_2) | instskip(SKIP_2) | instid1(VALU_DEP_4)
	v_min_u32_e32 v21, v29, v21
	v_cndmask_b32_e64 v13, v29, v13, s5
	v_cndmask_b32_e64 v29, v12, v11, s3
	v_cmp_lt_u32_e64 s7, v20, v28
	s_delay_alu instid0(VALU_DEP_4) | instskip(NEXT) | instid1(VALU_DEP_1)
	v_add_co_u32 v9, s6, v9, v21
	v_add_co_ci_u32_e64 v10, s6, 0, v10, s6
	v_cmp_ge_u32_e64 s6, v13, v31
	flat_load_u8 v9, v[9:10]
	s_waitcnt vmcnt(0) lgkmcnt(0)
	v_cndmask_b32_e64 v32, v9, v22, s5
	v_cndmask_b32_e64 v34, v25, v9, s5
	s_delay_alu instid0(VALU_DEP_2) | instskip(NEXT) | instid1(VALU_DEP_2)
	v_bfe_i32 v9, v32, 0, 8
	v_bfe_i32 v10, v34, 0, 8
	s_delay_alu instid0(VALU_DEP_1) | instskip(SKIP_1) | instid1(VALU_DEP_1)
	v_cmp_le_i16_e64 s8, v10, v9
	v_add_co_u32 v9, s9, v4, v16
	v_add_co_ci_u32_e64 v10, s9, v5, v17, s9
	s_delay_alu instid0(VALU_DEP_3)
	s_and_b32 s7, s7, s8
	v_lshlrev_b64 v[16:17], 3, v[14:15]
	s_or_b32 s6, s6, s7
	v_add_co_u32 v18, s7, v4, v18
	v_cndmask_b32_e64 v14, v13, v20, s6
	v_add_co_ci_u32_e64 v19, s7, v5, v19, s7
	s_delay_alu instid0(VALU_DEP_4) | instskip(NEXT) | instid1(VALU_DEP_3)
	v_add_co_u32 v20, s7, v4, v16
	v_lshlrev_b64 v[13:14], 3, v[14:15]
	v_add_co_ci_u32_e64 v21, s7, v5, v17, s7
	v_cndmask_b32_e64 v32, v32, v34, s6
	s_delay_alu instid0(VALU_DEP_3) | instskip(NEXT) | instid1(VALU_DEP_1)
	v_add_co_u32 v4, s7, v4, v13
	v_add_co_ci_u32_e64 v5, s7, v5, v14, s7
	s_clause 0x3
	flat_load_b64 v[14:15], v[9:10] offset:1024
	flat_load_b64 v[16:17], v[18:19] offset:1024
	;; [unrolled: 1-line block ×4, first 2 shown]
.LBB420_96:
	s_or_b32 exec_lo, exec_lo, s11
	; wave barrier
	s_waitcnt vmcnt(0) lgkmcnt(0)
	s_waitcnt_vscnt null, 0x0
	s_barrier
.LBB420_97:
	s_or_b32 exec_lo, exec_lo, s10
	v_add_co_u32 v2, s3, v2, v8
	s_delay_alu instid0(VALU_DEP_1) | instskip(SKIP_4) | instid1(VALU_DEP_1)
	v_add_co_ci_u32_e64 v3, s3, 0, v3, s3
	s_waitcnt vmcnt(0) lgkmcnt(0)
	s_waitcnt_vscnt null, 0x0
	buffer_gl0_inv
	v_add_co_u32 v2, s3, v2, v26
	v_add_co_ci_u32_e64 v3, s3, 0, v3, s3
	; wave barrier
	s_and_saveexec_b32 s3, vcc_lo
	s_cbranch_execnz .LBB420_110
; %bb.98:
	s_or_b32 exec_lo, exec_lo, s3
	s_and_saveexec_b32 s3, s0
	s_cbranch_execnz .LBB420_111
.LBB420_99:
	s_or_b32 exec_lo, exec_lo, s3
	s_and_saveexec_b32 s3, s1
	s_cbranch_execnz .LBB420_112
.LBB420_100:
	s_or_b32 exec_lo, exec_lo, s3
	s_and_saveexec_b32 s3, s2
	s_cbranch_execz .LBB420_102
.LBB420_101:
	flat_store_b8 v[2:3], v32 offset:3
.LBB420_102:
	s_or_b32 exec_lo, exec_lo, s3
	v_add_co_u32 v0, s3, v6, v0
	s_delay_alu instid0(VALU_DEP_1) | instskip(NEXT) | instid1(VALU_DEP_2)
	v_add_co_ci_u32_e64 v1, s3, v7, v1, s3
	v_add_co_u32 v0, s3, v0, v27
	s_delay_alu instid0(VALU_DEP_1)
	v_add_co_ci_u32_e64 v1, s3, 0, v1, s3
	; wave barrier
	s_and_saveexec_b32 s3, vcc_lo
	s_cbranch_execnz .LBB420_113
; %bb.103:
	s_or_b32 exec_lo, exec_lo, s3
	s_and_saveexec_b32 s3, s0
	s_cbranch_execnz .LBB420_114
.LBB420_104:
	s_or_b32 exec_lo, exec_lo, s3
	s_and_saveexec_b32 s0, s1
	s_cbranch_execnz .LBB420_115
.LBB420_105:
	s_or_b32 exec_lo, exec_lo, s0
	s_and_saveexec_b32 s0, s2
	s_cbranch_execnz .LBB420_116
.LBB420_106:
	s_or_b32 exec_lo, exec_lo, s0
	s_waitcnt lgkmcnt(0)
	s_setpc_b64 s[30:31]
.LBB420_107:
	flat_load_b64 v[14:15], v[4:5]
	s_or_b32 exec_lo, exec_lo, s3
	s_and_saveexec_b32 s3, s0
	s_cbranch_execz .LBB420_10
.LBB420_108:
	flat_load_b64 v[16:17], v[4:5] offset:8
	s_or_b32 exec_lo, exec_lo, s3
                                        ; implicit-def: $vgpr18_vgpr19
	s_and_saveexec_b32 s3, s1
	s_cbranch_execz .LBB420_11
.LBB420_109:
	flat_load_b64 v[18:19], v[4:5] offset:16
	s_or_b32 exec_lo, exec_lo, s3
	s_and_saveexec_b32 s3, s2
	s_cbranch_execnz .LBB420_12
	s_branch .LBB420_13
.LBB420_110:
	flat_store_b8 v[2:3], v29
	s_or_b32 exec_lo, exec_lo, s3
	s_and_saveexec_b32 s3, s0
	s_cbranch_execz .LBB420_99
.LBB420_111:
	flat_store_b8 v[2:3], v30 offset:1
	s_or_b32 exec_lo, exec_lo, s3
	s_and_saveexec_b32 s3, s1
	s_cbranch_execz .LBB420_100
.LBB420_112:
	flat_store_b8 v[2:3], v33 offset:2
	s_or_b32 exec_lo, exec_lo, s3
	s_and_saveexec_b32 s3, s2
	s_cbranch_execnz .LBB420_101
	s_branch .LBB420_102
.LBB420_113:
	flat_store_b64 v[0:1], v[14:15]
	s_or_b32 exec_lo, exec_lo, s3
	s_and_saveexec_b32 s3, s0
	s_cbranch_execz .LBB420_104
.LBB420_114:
	flat_store_b64 v[0:1], v[16:17] offset:8
	s_or_b32 exec_lo, exec_lo, s3
	s_and_saveexec_b32 s0, s1
	s_cbranch_execz .LBB420_105
.LBB420_115:
	flat_store_b64 v[0:1], v[18:19] offset:16
	s_or_b32 exec_lo, exec_lo, s0
	s_and_saveexec_b32 s0, s2
	s_cbranch_execz .LBB420_106
.LBB420_116:
	flat_store_b64 v[0:1], v[20:21] offset:24
	s_or_b32 exec_lo, exec_lo, s0
	s_waitcnt lgkmcnt(0)
	s_setpc_b64 s[30:31]
.Lfunc_end420:
	.size	_ZN7rocprim17ROCPRIM_400000_NS6detail26segmented_warp_sort_helperINS1_20WarpSortHelperConfigILj8ELj4ELj256EEEalLi256ELb0EvE4sortIPKaPaPKlPlEEvT_T0_T1_T2_jjjjRNS5_12storage_typeE, .Lfunc_end420-_ZN7rocprim17ROCPRIM_400000_NS6detail26segmented_warp_sort_helperINS1_20WarpSortHelperConfigILj8ELj4ELj256EEEalLi256ELb0EvE4sortIPKaPaPKlPlEEvT_T0_T1_T2_jjjjRNS5_12storage_typeE
                                        ; -- End function
	.section	.AMDGPU.csdata,"",@progbits
; Function info:
; codeLenInByte = 10252
; NumSgprs: 34
; NumVgprs: 65
; ScratchSize: 0
; MemoryBound: 0
	.section	.text._ZN7rocprim17ROCPRIM_400000_NS6detail17trampoline_kernelINS0_14default_configENS1_36segmented_radix_sort_config_selectorIalEEZNS1_25segmented_radix_sort_implIS3_Lb0EPKaPaPKlPlN2at6native12_GLOBAL__N_18offset_tEEE10hipError_tPvRmT1_PNSt15iterator_traitsISK_E10value_typeET2_T3_PNSL_ISQ_E10value_typeET4_jRbjT5_SW_jjP12ihipStream_tbEUlT_E1_NS1_11comp_targetILNS1_3genE9ELNS1_11target_archE1100ELNS1_3gpuE3ELNS1_3repE0EEENS1_59segmented_radix_sort_warp_sort_small_config_static_selectorELNS0_4arch9wavefront6targetE0EEEvSK_,"axG",@progbits,_ZN7rocprim17ROCPRIM_400000_NS6detail17trampoline_kernelINS0_14default_configENS1_36segmented_radix_sort_config_selectorIalEEZNS1_25segmented_radix_sort_implIS3_Lb0EPKaPaPKlPlN2at6native12_GLOBAL__N_18offset_tEEE10hipError_tPvRmT1_PNSt15iterator_traitsISK_E10value_typeET2_T3_PNSL_ISQ_E10value_typeET4_jRbjT5_SW_jjP12ihipStream_tbEUlT_E1_NS1_11comp_targetILNS1_3genE9ELNS1_11target_archE1100ELNS1_3gpuE3ELNS1_3repE0EEENS1_59segmented_radix_sort_warp_sort_small_config_static_selectorELNS0_4arch9wavefront6targetE0EEEvSK_,comdat
	.globl	_ZN7rocprim17ROCPRIM_400000_NS6detail17trampoline_kernelINS0_14default_configENS1_36segmented_radix_sort_config_selectorIalEEZNS1_25segmented_radix_sort_implIS3_Lb0EPKaPaPKlPlN2at6native12_GLOBAL__N_18offset_tEEE10hipError_tPvRmT1_PNSt15iterator_traitsISK_E10value_typeET2_T3_PNSL_ISQ_E10value_typeET4_jRbjT5_SW_jjP12ihipStream_tbEUlT_E1_NS1_11comp_targetILNS1_3genE9ELNS1_11target_archE1100ELNS1_3gpuE3ELNS1_3repE0EEENS1_59segmented_radix_sort_warp_sort_small_config_static_selectorELNS0_4arch9wavefront6targetE0EEEvSK_ ; -- Begin function _ZN7rocprim17ROCPRIM_400000_NS6detail17trampoline_kernelINS0_14default_configENS1_36segmented_radix_sort_config_selectorIalEEZNS1_25segmented_radix_sort_implIS3_Lb0EPKaPaPKlPlN2at6native12_GLOBAL__N_18offset_tEEE10hipError_tPvRmT1_PNSt15iterator_traitsISK_E10value_typeET2_T3_PNSL_ISQ_E10value_typeET4_jRbjT5_SW_jjP12ihipStream_tbEUlT_E1_NS1_11comp_targetILNS1_3genE9ELNS1_11target_archE1100ELNS1_3gpuE3ELNS1_3repE0EEENS1_59segmented_radix_sort_warp_sort_small_config_static_selectorELNS0_4arch9wavefront6targetE0EEEvSK_
	.p2align	8
	.type	_ZN7rocprim17ROCPRIM_400000_NS6detail17trampoline_kernelINS0_14default_configENS1_36segmented_radix_sort_config_selectorIalEEZNS1_25segmented_radix_sort_implIS3_Lb0EPKaPaPKlPlN2at6native12_GLOBAL__N_18offset_tEEE10hipError_tPvRmT1_PNSt15iterator_traitsISK_E10value_typeET2_T3_PNSL_ISQ_E10value_typeET4_jRbjT5_SW_jjP12ihipStream_tbEUlT_E1_NS1_11comp_targetILNS1_3genE9ELNS1_11target_archE1100ELNS1_3gpuE3ELNS1_3repE0EEENS1_59segmented_radix_sort_warp_sort_small_config_static_selectorELNS0_4arch9wavefront6targetE0EEEvSK_,@function
_ZN7rocprim17ROCPRIM_400000_NS6detail17trampoline_kernelINS0_14default_configENS1_36segmented_radix_sort_config_selectorIalEEZNS1_25segmented_radix_sort_implIS3_Lb0EPKaPaPKlPlN2at6native12_GLOBAL__N_18offset_tEEE10hipError_tPvRmT1_PNSt15iterator_traitsISK_E10value_typeET2_T3_PNSL_ISQ_E10value_typeET4_jRbjT5_SW_jjP12ihipStream_tbEUlT_E1_NS1_11comp_targetILNS1_3genE9ELNS1_11target_archE1100ELNS1_3gpuE3ELNS1_3repE0EEENS1_59segmented_radix_sort_warp_sort_small_config_static_selectorELNS0_4arch9wavefront6targetE0EEEvSK_: ; @_ZN7rocprim17ROCPRIM_400000_NS6detail17trampoline_kernelINS0_14default_configENS1_36segmented_radix_sort_config_selectorIalEEZNS1_25segmented_radix_sort_implIS3_Lb0EPKaPaPKlPlN2at6native12_GLOBAL__N_18offset_tEEE10hipError_tPvRmT1_PNSt15iterator_traitsISK_E10value_typeET2_T3_PNSL_ISQ_E10value_typeET4_jRbjT5_SW_jjP12ihipStream_tbEUlT_E1_NS1_11comp_targetILNS1_3genE9ELNS1_11target_archE1100ELNS1_3gpuE3ELNS1_3repE0EEENS1_59segmented_radix_sort_warp_sort_small_config_static_selectorELNS0_4arch9wavefront6targetE0EEEvSK_
; %bb.0:
	s_load_b32 s2, s[0:1], 0x64
	v_bfe_u32 v1, v0, 10, 10
	v_bfe_u32 v2, v0, 20, 10
	s_mov_b32 s12, s14
	s_mov_b32 s32, 0
	s_waitcnt lgkmcnt(0)
	s_lshr_b32 s3, s2, 16
	s_and_b32 s2, s2, 0xffff
	v_mad_u32_u24 v4, v2, s3, v1
	v_and_b32_e32 v1, 0x3ff, v0
	s_load_b32 s3, s[0:1], 0x34
	s_delay_alu instid0(VALU_DEP_1) | instskip(SKIP_1) | instid1(VALU_DEP_1)
	v_mad_u64_u32 v[2:3], null, v4, s2, v[1:2]
	s_mov_b32 s2, exec_lo
	v_lshrrev_b32_e32 v1, 3, v2
	s_delay_alu instid0(VALU_DEP_1) | instskip(SKIP_1) | instid1(VALU_DEP_1)
	v_lshl_add_u32 v1, s12, 5, v1
	s_waitcnt lgkmcnt(0)
	v_cmpx_gt_u32_e64 s3, v1
	s_cbranch_execz .LBB421_6
; %bb.1:
	s_clause 0x1
	s_load_b64 s[2:3], s[0:1], 0x38
	s_load_b128 s[4:7], s[0:1], 0x40
	v_mov_b32_e32 v2, 0
	s_delay_alu instid0(VALU_DEP_1) | instskip(SKIP_1) | instid1(VALU_DEP_1)
	v_lshlrev_b64 v[1:2], 2, v[1:2]
	s_waitcnt lgkmcnt(0)
	v_sub_co_u32 v1, vcc_lo, s2, v1
	s_delay_alu instid0(VALU_DEP_2) | instskip(SKIP_4) | instid1(VALU_DEP_2)
	v_sub_co_ci_u32_e32 v2, vcc_lo, s3, v2, vcc_lo
	global_load_b32 v1, v[1:2], off offset:-4
	s_waitcnt vmcnt(0)
	v_add_nc_u32_e32 v2, s5, v1
	v_add_nc_u32_e32 v1, s7, v1
	v_mul_lo_u32 v8, v2, s4
	s_delay_alu instid0(VALU_DEP_2) | instskip(NEXT) | instid1(VALU_DEP_1)
	v_mul_lo_u32 v40, v1, s6
	v_cmp_gt_u32_e32 vcc_lo, v40, v8
	s_and_b32 exec_lo, exec_lo, vcc_lo
	s_cbranch_execz .LBB421_6
; %bb.2:
	s_clause 0x3
	s_load_b32 s2, s[0:1], 0x30
	s_load_b128 s[24:27], s[0:1], 0x20
	s_load_b256 s[16:23], s[0:1], 0x0
	s_load_b64 s[28:29], s[0:1], 0x50
	s_mov_b32 s13, s15
	s_waitcnt lgkmcnt(0)
	s_bitcmp0_b32 s2, 0
	s_mov_b32 s2, -1
	s_cbranch_scc0 .LBB421_4
; %bb.3:
	s_mov_b64 s[2:3], src_shared_base
	v_mov_b32_e32 v31, v0
	v_dual_mov_b32 v41, v0 :: v_dual_mov_b32 v2, s18
	v_dual_mov_b32 v0, s16 :: v_dual_mov_b32 v1, s17
	;; [unrolled: 1-line block ×6, first 2 shown]
	v_mov_b32_e32 v11, s29
	v_mov_b32_e32 v13, s3
	s_add_u32 s8, s0, 0x58
	s_addc_u32 s9, s1, 0
	s_getpc_b64 s[4:5]
	s_add_u32 s4, s4, _ZN7rocprim17ROCPRIM_400000_NS6detail26segmented_warp_sort_helperINS1_20WarpSortHelperConfigILj8ELj4ELj256EEEalLi256ELb0EvE4sortIPKaPaPKlPlEEvT_T0_T1_T2_jjjjRNS5_12storage_typeE@rel32@lo+4
	s_addc_u32 s5, s5, _ZN7rocprim17ROCPRIM_400000_NS6detail26segmented_warp_sort_helperINS1_20WarpSortHelperConfigILj8ELj4ELj256EEEalLi256ELb0EvE4sortIPKaPaPKlPlEEvT_T0_T1_T2_jjjjRNS5_12storage_typeE@rel32@hi+12
	s_mov_b64 s[18:19], s[0:1]
	s_swappc_b64 s[30:31], s[4:5]
	v_mov_b32_e32 v0, v41
	s_mov_b64 s[0:1], s[18:19]
	s_mov_b32 s2, 0
.LBB421_4:
	s_delay_alu instid0(SALU_CYCLE_1)
	s_and_not1_b32 vcc_lo, exec_lo, s2
	s_cbranch_vccnz .LBB421_6
; %bb.5:
	s_add_u32 s8, s0, 0x58
	s_addc_u32 s9, s1, 0
	s_mov_b64 s[0:1], src_shared_base
	v_dual_mov_b32 v31, v0 :: v_dual_mov_b32 v0, s16
	v_dual_mov_b32 v1, s17 :: v_dual_mov_b32 v2, s20
	;; [unrolled: 1-line block ×6, first 2 shown]
	v_mov_b32_e32 v11, s29
	v_mov_b32_e32 v13, s1
	s_getpc_b64 s[2:3]
	s_add_u32 s2, s2, _ZN7rocprim17ROCPRIM_400000_NS6detail26segmented_warp_sort_helperINS1_20WarpSortHelperConfigILj8ELj4ELj256EEEalLi256ELb0EvE4sortIPKaPaPKlPlEEvT_T0_T1_T2_jjjjRNS5_12storage_typeE@rel32@lo+4
	s_addc_u32 s3, s3, _ZN7rocprim17ROCPRIM_400000_NS6detail26segmented_warp_sort_helperINS1_20WarpSortHelperConfigILj8ELj4ELj256EEEalLi256ELb0EvE4sortIPKaPaPKlPlEEvT_T0_T1_T2_jjjjRNS5_12storage_typeE@rel32@hi+12
	s_delay_alu instid0(SALU_CYCLE_1)
	s_swappc_b64 s[30:31], s[2:3]
.LBB421_6:
	s_endpgm
	.section	.rodata,"a",@progbits
	.p2align	6, 0x0
	.amdhsa_kernel _ZN7rocprim17ROCPRIM_400000_NS6detail17trampoline_kernelINS0_14default_configENS1_36segmented_radix_sort_config_selectorIalEEZNS1_25segmented_radix_sort_implIS3_Lb0EPKaPaPKlPlN2at6native12_GLOBAL__N_18offset_tEEE10hipError_tPvRmT1_PNSt15iterator_traitsISK_E10value_typeET2_T3_PNSL_ISQ_E10value_typeET4_jRbjT5_SW_jjP12ihipStream_tbEUlT_E1_NS1_11comp_targetILNS1_3genE9ELNS1_11target_archE1100ELNS1_3gpuE3ELNS1_3repE0EEENS1_59segmented_radix_sort_warp_sort_small_config_static_selectorELNS0_4arch9wavefront6targetE0EEEvSK_
		.amdhsa_group_segment_fixed_size 9216
		.amdhsa_private_segment_fixed_size 0
		.amdhsa_kernarg_size 344
		.amdhsa_user_sgpr_count 14
		.amdhsa_user_sgpr_dispatch_ptr 0
		.amdhsa_user_sgpr_queue_ptr 0
		.amdhsa_user_sgpr_kernarg_segment_ptr 1
		.amdhsa_user_sgpr_dispatch_id 0
		.amdhsa_user_sgpr_private_segment_size 0
		.amdhsa_wavefront_size32 1
		.amdhsa_uses_dynamic_stack 0
		.amdhsa_enable_private_segment 0
		.amdhsa_system_sgpr_workgroup_id_x 1
		.amdhsa_system_sgpr_workgroup_id_y 1
		.amdhsa_system_sgpr_workgroup_id_z 0
		.amdhsa_system_sgpr_workgroup_info 0
		.amdhsa_system_vgpr_workitem_id 2
		.amdhsa_next_free_vgpr 65
		.amdhsa_next_free_sgpr 33
		.amdhsa_reserve_vcc 1
		.amdhsa_float_round_mode_32 0
		.amdhsa_float_round_mode_16_64 0
		.amdhsa_float_denorm_mode_32 3
		.amdhsa_float_denorm_mode_16_64 3
		.amdhsa_dx10_clamp 1
		.amdhsa_ieee_mode 1
		.amdhsa_fp16_overflow 0
		.amdhsa_workgroup_processor_mode 1
		.amdhsa_memory_ordered 1
		.amdhsa_forward_progress 0
		.amdhsa_shared_vgpr_count 0
		.amdhsa_exception_fp_ieee_invalid_op 0
		.amdhsa_exception_fp_denorm_src 0
		.amdhsa_exception_fp_ieee_div_zero 0
		.amdhsa_exception_fp_ieee_overflow 0
		.amdhsa_exception_fp_ieee_underflow 0
		.amdhsa_exception_fp_ieee_inexact 0
		.amdhsa_exception_int_div_zero 0
	.end_amdhsa_kernel
	.section	.text._ZN7rocprim17ROCPRIM_400000_NS6detail17trampoline_kernelINS0_14default_configENS1_36segmented_radix_sort_config_selectorIalEEZNS1_25segmented_radix_sort_implIS3_Lb0EPKaPaPKlPlN2at6native12_GLOBAL__N_18offset_tEEE10hipError_tPvRmT1_PNSt15iterator_traitsISK_E10value_typeET2_T3_PNSL_ISQ_E10value_typeET4_jRbjT5_SW_jjP12ihipStream_tbEUlT_E1_NS1_11comp_targetILNS1_3genE9ELNS1_11target_archE1100ELNS1_3gpuE3ELNS1_3repE0EEENS1_59segmented_radix_sort_warp_sort_small_config_static_selectorELNS0_4arch9wavefront6targetE0EEEvSK_,"axG",@progbits,_ZN7rocprim17ROCPRIM_400000_NS6detail17trampoline_kernelINS0_14default_configENS1_36segmented_radix_sort_config_selectorIalEEZNS1_25segmented_radix_sort_implIS3_Lb0EPKaPaPKlPlN2at6native12_GLOBAL__N_18offset_tEEE10hipError_tPvRmT1_PNSt15iterator_traitsISK_E10value_typeET2_T3_PNSL_ISQ_E10value_typeET4_jRbjT5_SW_jjP12ihipStream_tbEUlT_E1_NS1_11comp_targetILNS1_3genE9ELNS1_11target_archE1100ELNS1_3gpuE3ELNS1_3repE0EEENS1_59segmented_radix_sort_warp_sort_small_config_static_selectorELNS0_4arch9wavefront6targetE0EEEvSK_,comdat
.Lfunc_end421:
	.size	_ZN7rocprim17ROCPRIM_400000_NS6detail17trampoline_kernelINS0_14default_configENS1_36segmented_radix_sort_config_selectorIalEEZNS1_25segmented_radix_sort_implIS3_Lb0EPKaPaPKlPlN2at6native12_GLOBAL__N_18offset_tEEE10hipError_tPvRmT1_PNSt15iterator_traitsISK_E10value_typeET2_T3_PNSL_ISQ_E10value_typeET4_jRbjT5_SW_jjP12ihipStream_tbEUlT_E1_NS1_11comp_targetILNS1_3genE9ELNS1_11target_archE1100ELNS1_3gpuE3ELNS1_3repE0EEENS1_59segmented_radix_sort_warp_sort_small_config_static_selectorELNS0_4arch9wavefront6targetE0EEEvSK_, .Lfunc_end421-_ZN7rocprim17ROCPRIM_400000_NS6detail17trampoline_kernelINS0_14default_configENS1_36segmented_radix_sort_config_selectorIalEEZNS1_25segmented_radix_sort_implIS3_Lb0EPKaPaPKlPlN2at6native12_GLOBAL__N_18offset_tEEE10hipError_tPvRmT1_PNSt15iterator_traitsISK_E10value_typeET2_T3_PNSL_ISQ_E10value_typeET4_jRbjT5_SW_jjP12ihipStream_tbEUlT_E1_NS1_11comp_targetILNS1_3genE9ELNS1_11target_archE1100ELNS1_3gpuE3ELNS1_3repE0EEENS1_59segmented_radix_sort_warp_sort_small_config_static_selectorELNS0_4arch9wavefront6targetE0EEEvSK_
                                        ; -- End function
	.section	.AMDGPU.csdata,"",@progbits
; Kernel info:
; codeLenInByte = 516
; NumSgprs: 35
; NumVgprs: 65
; ScratchSize: 0
; MemoryBound: 0
; FloatMode: 240
; IeeeMode: 1
; LDSByteSize: 9216 bytes/workgroup (compile time only)
; SGPRBlocks: 4
; VGPRBlocks: 8
; NumSGPRsForWavesPerEU: 35
; NumVGPRsForWavesPerEU: 65
; Occupancy: 16
; WaveLimiterHint : 0
; COMPUTE_PGM_RSRC2:SCRATCH_EN: 0
; COMPUTE_PGM_RSRC2:USER_SGPR: 14
; COMPUTE_PGM_RSRC2:TRAP_HANDLER: 0
; COMPUTE_PGM_RSRC2:TGID_X_EN: 1
; COMPUTE_PGM_RSRC2:TGID_Y_EN: 1
; COMPUTE_PGM_RSRC2:TGID_Z_EN: 0
; COMPUTE_PGM_RSRC2:TIDIG_COMP_CNT: 2
	.section	.text._ZN7rocprim17ROCPRIM_400000_NS6detail17trampoline_kernelINS0_14default_configENS1_36segmented_radix_sort_config_selectorIalEEZNS1_25segmented_radix_sort_implIS3_Lb0EPKaPaPKlPlN2at6native12_GLOBAL__N_18offset_tEEE10hipError_tPvRmT1_PNSt15iterator_traitsISK_E10value_typeET2_T3_PNSL_ISQ_E10value_typeET4_jRbjT5_SW_jjP12ihipStream_tbEUlT_E1_NS1_11comp_targetILNS1_3genE8ELNS1_11target_archE1030ELNS1_3gpuE2ELNS1_3repE0EEENS1_59segmented_radix_sort_warp_sort_small_config_static_selectorELNS0_4arch9wavefront6targetE0EEEvSK_,"axG",@progbits,_ZN7rocprim17ROCPRIM_400000_NS6detail17trampoline_kernelINS0_14default_configENS1_36segmented_radix_sort_config_selectorIalEEZNS1_25segmented_radix_sort_implIS3_Lb0EPKaPaPKlPlN2at6native12_GLOBAL__N_18offset_tEEE10hipError_tPvRmT1_PNSt15iterator_traitsISK_E10value_typeET2_T3_PNSL_ISQ_E10value_typeET4_jRbjT5_SW_jjP12ihipStream_tbEUlT_E1_NS1_11comp_targetILNS1_3genE8ELNS1_11target_archE1030ELNS1_3gpuE2ELNS1_3repE0EEENS1_59segmented_radix_sort_warp_sort_small_config_static_selectorELNS0_4arch9wavefront6targetE0EEEvSK_,comdat
	.globl	_ZN7rocprim17ROCPRIM_400000_NS6detail17trampoline_kernelINS0_14default_configENS1_36segmented_radix_sort_config_selectorIalEEZNS1_25segmented_radix_sort_implIS3_Lb0EPKaPaPKlPlN2at6native12_GLOBAL__N_18offset_tEEE10hipError_tPvRmT1_PNSt15iterator_traitsISK_E10value_typeET2_T3_PNSL_ISQ_E10value_typeET4_jRbjT5_SW_jjP12ihipStream_tbEUlT_E1_NS1_11comp_targetILNS1_3genE8ELNS1_11target_archE1030ELNS1_3gpuE2ELNS1_3repE0EEENS1_59segmented_radix_sort_warp_sort_small_config_static_selectorELNS0_4arch9wavefront6targetE0EEEvSK_ ; -- Begin function _ZN7rocprim17ROCPRIM_400000_NS6detail17trampoline_kernelINS0_14default_configENS1_36segmented_radix_sort_config_selectorIalEEZNS1_25segmented_radix_sort_implIS3_Lb0EPKaPaPKlPlN2at6native12_GLOBAL__N_18offset_tEEE10hipError_tPvRmT1_PNSt15iterator_traitsISK_E10value_typeET2_T3_PNSL_ISQ_E10value_typeET4_jRbjT5_SW_jjP12ihipStream_tbEUlT_E1_NS1_11comp_targetILNS1_3genE8ELNS1_11target_archE1030ELNS1_3gpuE2ELNS1_3repE0EEENS1_59segmented_radix_sort_warp_sort_small_config_static_selectorELNS0_4arch9wavefront6targetE0EEEvSK_
	.p2align	8
	.type	_ZN7rocprim17ROCPRIM_400000_NS6detail17trampoline_kernelINS0_14default_configENS1_36segmented_radix_sort_config_selectorIalEEZNS1_25segmented_radix_sort_implIS3_Lb0EPKaPaPKlPlN2at6native12_GLOBAL__N_18offset_tEEE10hipError_tPvRmT1_PNSt15iterator_traitsISK_E10value_typeET2_T3_PNSL_ISQ_E10value_typeET4_jRbjT5_SW_jjP12ihipStream_tbEUlT_E1_NS1_11comp_targetILNS1_3genE8ELNS1_11target_archE1030ELNS1_3gpuE2ELNS1_3repE0EEENS1_59segmented_radix_sort_warp_sort_small_config_static_selectorELNS0_4arch9wavefront6targetE0EEEvSK_,@function
_ZN7rocprim17ROCPRIM_400000_NS6detail17trampoline_kernelINS0_14default_configENS1_36segmented_radix_sort_config_selectorIalEEZNS1_25segmented_radix_sort_implIS3_Lb0EPKaPaPKlPlN2at6native12_GLOBAL__N_18offset_tEEE10hipError_tPvRmT1_PNSt15iterator_traitsISK_E10value_typeET2_T3_PNSL_ISQ_E10value_typeET4_jRbjT5_SW_jjP12ihipStream_tbEUlT_E1_NS1_11comp_targetILNS1_3genE8ELNS1_11target_archE1030ELNS1_3gpuE2ELNS1_3repE0EEENS1_59segmented_radix_sort_warp_sort_small_config_static_selectorELNS0_4arch9wavefront6targetE0EEEvSK_: ; @_ZN7rocprim17ROCPRIM_400000_NS6detail17trampoline_kernelINS0_14default_configENS1_36segmented_radix_sort_config_selectorIalEEZNS1_25segmented_radix_sort_implIS3_Lb0EPKaPaPKlPlN2at6native12_GLOBAL__N_18offset_tEEE10hipError_tPvRmT1_PNSt15iterator_traitsISK_E10value_typeET2_T3_PNSL_ISQ_E10value_typeET4_jRbjT5_SW_jjP12ihipStream_tbEUlT_E1_NS1_11comp_targetILNS1_3genE8ELNS1_11target_archE1030ELNS1_3gpuE2ELNS1_3repE0EEENS1_59segmented_radix_sort_warp_sort_small_config_static_selectorELNS0_4arch9wavefront6targetE0EEEvSK_
; %bb.0:
	.section	.rodata,"a",@progbits
	.p2align	6, 0x0
	.amdhsa_kernel _ZN7rocprim17ROCPRIM_400000_NS6detail17trampoline_kernelINS0_14default_configENS1_36segmented_radix_sort_config_selectorIalEEZNS1_25segmented_radix_sort_implIS3_Lb0EPKaPaPKlPlN2at6native12_GLOBAL__N_18offset_tEEE10hipError_tPvRmT1_PNSt15iterator_traitsISK_E10value_typeET2_T3_PNSL_ISQ_E10value_typeET4_jRbjT5_SW_jjP12ihipStream_tbEUlT_E1_NS1_11comp_targetILNS1_3genE8ELNS1_11target_archE1030ELNS1_3gpuE2ELNS1_3repE0EEENS1_59segmented_radix_sort_warp_sort_small_config_static_selectorELNS0_4arch9wavefront6targetE0EEEvSK_
		.amdhsa_group_segment_fixed_size 0
		.amdhsa_private_segment_fixed_size 0
		.amdhsa_kernarg_size 88
		.amdhsa_user_sgpr_count 15
		.amdhsa_user_sgpr_dispatch_ptr 0
		.amdhsa_user_sgpr_queue_ptr 0
		.amdhsa_user_sgpr_kernarg_segment_ptr 1
		.amdhsa_user_sgpr_dispatch_id 0
		.amdhsa_user_sgpr_private_segment_size 0
		.amdhsa_wavefront_size32 1
		.amdhsa_uses_dynamic_stack 0
		.amdhsa_enable_private_segment 0
		.amdhsa_system_sgpr_workgroup_id_x 1
		.amdhsa_system_sgpr_workgroup_id_y 0
		.amdhsa_system_sgpr_workgroup_id_z 0
		.amdhsa_system_sgpr_workgroup_info 0
		.amdhsa_system_vgpr_workitem_id 0
		.amdhsa_next_free_vgpr 1
		.amdhsa_next_free_sgpr 1
		.amdhsa_reserve_vcc 0
		.amdhsa_float_round_mode_32 0
		.amdhsa_float_round_mode_16_64 0
		.amdhsa_float_denorm_mode_32 3
		.amdhsa_float_denorm_mode_16_64 3
		.amdhsa_dx10_clamp 1
		.amdhsa_ieee_mode 1
		.amdhsa_fp16_overflow 0
		.amdhsa_workgroup_processor_mode 1
		.amdhsa_memory_ordered 1
		.amdhsa_forward_progress 0
		.amdhsa_shared_vgpr_count 0
		.amdhsa_exception_fp_ieee_invalid_op 0
		.amdhsa_exception_fp_denorm_src 0
		.amdhsa_exception_fp_ieee_div_zero 0
		.amdhsa_exception_fp_ieee_overflow 0
		.amdhsa_exception_fp_ieee_underflow 0
		.amdhsa_exception_fp_ieee_inexact 0
		.amdhsa_exception_int_div_zero 0
	.end_amdhsa_kernel
	.section	.text._ZN7rocprim17ROCPRIM_400000_NS6detail17trampoline_kernelINS0_14default_configENS1_36segmented_radix_sort_config_selectorIalEEZNS1_25segmented_radix_sort_implIS3_Lb0EPKaPaPKlPlN2at6native12_GLOBAL__N_18offset_tEEE10hipError_tPvRmT1_PNSt15iterator_traitsISK_E10value_typeET2_T3_PNSL_ISQ_E10value_typeET4_jRbjT5_SW_jjP12ihipStream_tbEUlT_E1_NS1_11comp_targetILNS1_3genE8ELNS1_11target_archE1030ELNS1_3gpuE2ELNS1_3repE0EEENS1_59segmented_radix_sort_warp_sort_small_config_static_selectorELNS0_4arch9wavefront6targetE0EEEvSK_,"axG",@progbits,_ZN7rocprim17ROCPRIM_400000_NS6detail17trampoline_kernelINS0_14default_configENS1_36segmented_radix_sort_config_selectorIalEEZNS1_25segmented_radix_sort_implIS3_Lb0EPKaPaPKlPlN2at6native12_GLOBAL__N_18offset_tEEE10hipError_tPvRmT1_PNSt15iterator_traitsISK_E10value_typeET2_T3_PNSL_ISQ_E10value_typeET4_jRbjT5_SW_jjP12ihipStream_tbEUlT_E1_NS1_11comp_targetILNS1_3genE8ELNS1_11target_archE1030ELNS1_3gpuE2ELNS1_3repE0EEENS1_59segmented_radix_sort_warp_sort_small_config_static_selectorELNS0_4arch9wavefront6targetE0EEEvSK_,comdat
.Lfunc_end422:
	.size	_ZN7rocprim17ROCPRIM_400000_NS6detail17trampoline_kernelINS0_14default_configENS1_36segmented_radix_sort_config_selectorIalEEZNS1_25segmented_radix_sort_implIS3_Lb0EPKaPaPKlPlN2at6native12_GLOBAL__N_18offset_tEEE10hipError_tPvRmT1_PNSt15iterator_traitsISK_E10value_typeET2_T3_PNSL_ISQ_E10value_typeET4_jRbjT5_SW_jjP12ihipStream_tbEUlT_E1_NS1_11comp_targetILNS1_3genE8ELNS1_11target_archE1030ELNS1_3gpuE2ELNS1_3repE0EEENS1_59segmented_radix_sort_warp_sort_small_config_static_selectorELNS0_4arch9wavefront6targetE0EEEvSK_, .Lfunc_end422-_ZN7rocprim17ROCPRIM_400000_NS6detail17trampoline_kernelINS0_14default_configENS1_36segmented_radix_sort_config_selectorIalEEZNS1_25segmented_radix_sort_implIS3_Lb0EPKaPaPKlPlN2at6native12_GLOBAL__N_18offset_tEEE10hipError_tPvRmT1_PNSt15iterator_traitsISK_E10value_typeET2_T3_PNSL_ISQ_E10value_typeET4_jRbjT5_SW_jjP12ihipStream_tbEUlT_E1_NS1_11comp_targetILNS1_3genE8ELNS1_11target_archE1030ELNS1_3gpuE2ELNS1_3repE0EEENS1_59segmented_radix_sort_warp_sort_small_config_static_selectorELNS0_4arch9wavefront6targetE0EEEvSK_
                                        ; -- End function
	.section	.AMDGPU.csdata,"",@progbits
; Kernel info:
; codeLenInByte = 0
; NumSgprs: 0
; NumVgprs: 0
; ScratchSize: 0
; MemoryBound: 0
; FloatMode: 240
; IeeeMode: 1
; LDSByteSize: 0 bytes/workgroup (compile time only)
; SGPRBlocks: 0
; VGPRBlocks: 0
; NumSGPRsForWavesPerEU: 1
; NumVGPRsForWavesPerEU: 1
; Occupancy: 16
; WaveLimiterHint : 0
; COMPUTE_PGM_RSRC2:SCRATCH_EN: 0
; COMPUTE_PGM_RSRC2:USER_SGPR: 15
; COMPUTE_PGM_RSRC2:TRAP_HANDLER: 0
; COMPUTE_PGM_RSRC2:TGID_X_EN: 1
; COMPUTE_PGM_RSRC2:TGID_Y_EN: 0
; COMPUTE_PGM_RSRC2:TGID_Z_EN: 0
; COMPUTE_PGM_RSRC2:TIDIG_COMP_CNT: 0
	.section	.text._ZN7rocprim17ROCPRIM_400000_NS6detail17trampoline_kernelINS0_14default_configENS1_36segmented_radix_sort_config_selectorIalEEZNS1_25segmented_radix_sort_implIS3_Lb0EPKaPaPKlPlN2at6native12_GLOBAL__N_18offset_tEEE10hipError_tPvRmT1_PNSt15iterator_traitsISK_E10value_typeET2_T3_PNSL_ISQ_E10value_typeET4_jRbjT5_SW_jjP12ihipStream_tbEUlT_E2_NS1_11comp_targetILNS1_3genE0ELNS1_11target_archE4294967295ELNS1_3gpuE0ELNS1_3repE0EEENS1_30default_config_static_selectorELNS0_4arch9wavefront6targetE0EEEvSK_,"axG",@progbits,_ZN7rocprim17ROCPRIM_400000_NS6detail17trampoline_kernelINS0_14default_configENS1_36segmented_radix_sort_config_selectorIalEEZNS1_25segmented_radix_sort_implIS3_Lb0EPKaPaPKlPlN2at6native12_GLOBAL__N_18offset_tEEE10hipError_tPvRmT1_PNSt15iterator_traitsISK_E10value_typeET2_T3_PNSL_ISQ_E10value_typeET4_jRbjT5_SW_jjP12ihipStream_tbEUlT_E2_NS1_11comp_targetILNS1_3genE0ELNS1_11target_archE4294967295ELNS1_3gpuE0ELNS1_3repE0EEENS1_30default_config_static_selectorELNS0_4arch9wavefront6targetE0EEEvSK_,comdat
	.globl	_ZN7rocprim17ROCPRIM_400000_NS6detail17trampoline_kernelINS0_14default_configENS1_36segmented_radix_sort_config_selectorIalEEZNS1_25segmented_radix_sort_implIS3_Lb0EPKaPaPKlPlN2at6native12_GLOBAL__N_18offset_tEEE10hipError_tPvRmT1_PNSt15iterator_traitsISK_E10value_typeET2_T3_PNSL_ISQ_E10value_typeET4_jRbjT5_SW_jjP12ihipStream_tbEUlT_E2_NS1_11comp_targetILNS1_3genE0ELNS1_11target_archE4294967295ELNS1_3gpuE0ELNS1_3repE0EEENS1_30default_config_static_selectorELNS0_4arch9wavefront6targetE0EEEvSK_ ; -- Begin function _ZN7rocprim17ROCPRIM_400000_NS6detail17trampoline_kernelINS0_14default_configENS1_36segmented_radix_sort_config_selectorIalEEZNS1_25segmented_radix_sort_implIS3_Lb0EPKaPaPKlPlN2at6native12_GLOBAL__N_18offset_tEEE10hipError_tPvRmT1_PNSt15iterator_traitsISK_E10value_typeET2_T3_PNSL_ISQ_E10value_typeET4_jRbjT5_SW_jjP12ihipStream_tbEUlT_E2_NS1_11comp_targetILNS1_3genE0ELNS1_11target_archE4294967295ELNS1_3gpuE0ELNS1_3repE0EEENS1_30default_config_static_selectorELNS0_4arch9wavefront6targetE0EEEvSK_
	.p2align	8
	.type	_ZN7rocprim17ROCPRIM_400000_NS6detail17trampoline_kernelINS0_14default_configENS1_36segmented_radix_sort_config_selectorIalEEZNS1_25segmented_radix_sort_implIS3_Lb0EPKaPaPKlPlN2at6native12_GLOBAL__N_18offset_tEEE10hipError_tPvRmT1_PNSt15iterator_traitsISK_E10value_typeET2_T3_PNSL_ISQ_E10value_typeET4_jRbjT5_SW_jjP12ihipStream_tbEUlT_E2_NS1_11comp_targetILNS1_3genE0ELNS1_11target_archE4294967295ELNS1_3gpuE0ELNS1_3repE0EEENS1_30default_config_static_selectorELNS0_4arch9wavefront6targetE0EEEvSK_,@function
_ZN7rocprim17ROCPRIM_400000_NS6detail17trampoline_kernelINS0_14default_configENS1_36segmented_radix_sort_config_selectorIalEEZNS1_25segmented_radix_sort_implIS3_Lb0EPKaPaPKlPlN2at6native12_GLOBAL__N_18offset_tEEE10hipError_tPvRmT1_PNSt15iterator_traitsISK_E10value_typeET2_T3_PNSL_ISQ_E10value_typeET4_jRbjT5_SW_jjP12ihipStream_tbEUlT_E2_NS1_11comp_targetILNS1_3genE0ELNS1_11target_archE4294967295ELNS1_3gpuE0ELNS1_3repE0EEENS1_30default_config_static_selectorELNS0_4arch9wavefront6targetE0EEEvSK_: ; @_ZN7rocprim17ROCPRIM_400000_NS6detail17trampoline_kernelINS0_14default_configENS1_36segmented_radix_sort_config_selectorIalEEZNS1_25segmented_radix_sort_implIS3_Lb0EPKaPaPKlPlN2at6native12_GLOBAL__N_18offset_tEEE10hipError_tPvRmT1_PNSt15iterator_traitsISK_E10value_typeET2_T3_PNSL_ISQ_E10value_typeET4_jRbjT5_SW_jjP12ihipStream_tbEUlT_E2_NS1_11comp_targetILNS1_3genE0ELNS1_11target_archE4294967295ELNS1_3gpuE0ELNS1_3repE0EEENS1_30default_config_static_selectorELNS0_4arch9wavefront6targetE0EEEvSK_
; %bb.0:
	.section	.rodata,"a",@progbits
	.p2align	6, 0x0
	.amdhsa_kernel _ZN7rocprim17ROCPRIM_400000_NS6detail17trampoline_kernelINS0_14default_configENS1_36segmented_radix_sort_config_selectorIalEEZNS1_25segmented_radix_sort_implIS3_Lb0EPKaPaPKlPlN2at6native12_GLOBAL__N_18offset_tEEE10hipError_tPvRmT1_PNSt15iterator_traitsISK_E10value_typeET2_T3_PNSL_ISQ_E10value_typeET4_jRbjT5_SW_jjP12ihipStream_tbEUlT_E2_NS1_11comp_targetILNS1_3genE0ELNS1_11target_archE4294967295ELNS1_3gpuE0ELNS1_3repE0EEENS1_30default_config_static_selectorELNS0_4arch9wavefront6targetE0EEEvSK_
		.amdhsa_group_segment_fixed_size 0
		.amdhsa_private_segment_fixed_size 0
		.amdhsa_kernarg_size 80
		.amdhsa_user_sgpr_count 15
		.amdhsa_user_sgpr_dispatch_ptr 0
		.amdhsa_user_sgpr_queue_ptr 0
		.amdhsa_user_sgpr_kernarg_segment_ptr 1
		.amdhsa_user_sgpr_dispatch_id 0
		.amdhsa_user_sgpr_private_segment_size 0
		.amdhsa_wavefront_size32 1
		.amdhsa_uses_dynamic_stack 0
		.amdhsa_enable_private_segment 0
		.amdhsa_system_sgpr_workgroup_id_x 1
		.amdhsa_system_sgpr_workgroup_id_y 0
		.amdhsa_system_sgpr_workgroup_id_z 0
		.amdhsa_system_sgpr_workgroup_info 0
		.amdhsa_system_vgpr_workitem_id 0
		.amdhsa_next_free_vgpr 1
		.amdhsa_next_free_sgpr 1
		.amdhsa_reserve_vcc 0
		.amdhsa_float_round_mode_32 0
		.amdhsa_float_round_mode_16_64 0
		.amdhsa_float_denorm_mode_32 3
		.amdhsa_float_denorm_mode_16_64 3
		.amdhsa_dx10_clamp 1
		.amdhsa_ieee_mode 1
		.amdhsa_fp16_overflow 0
		.amdhsa_workgroup_processor_mode 1
		.amdhsa_memory_ordered 1
		.amdhsa_forward_progress 0
		.amdhsa_shared_vgpr_count 0
		.amdhsa_exception_fp_ieee_invalid_op 0
		.amdhsa_exception_fp_denorm_src 0
		.amdhsa_exception_fp_ieee_div_zero 0
		.amdhsa_exception_fp_ieee_overflow 0
		.amdhsa_exception_fp_ieee_underflow 0
		.amdhsa_exception_fp_ieee_inexact 0
		.amdhsa_exception_int_div_zero 0
	.end_amdhsa_kernel
	.section	.text._ZN7rocprim17ROCPRIM_400000_NS6detail17trampoline_kernelINS0_14default_configENS1_36segmented_radix_sort_config_selectorIalEEZNS1_25segmented_radix_sort_implIS3_Lb0EPKaPaPKlPlN2at6native12_GLOBAL__N_18offset_tEEE10hipError_tPvRmT1_PNSt15iterator_traitsISK_E10value_typeET2_T3_PNSL_ISQ_E10value_typeET4_jRbjT5_SW_jjP12ihipStream_tbEUlT_E2_NS1_11comp_targetILNS1_3genE0ELNS1_11target_archE4294967295ELNS1_3gpuE0ELNS1_3repE0EEENS1_30default_config_static_selectorELNS0_4arch9wavefront6targetE0EEEvSK_,"axG",@progbits,_ZN7rocprim17ROCPRIM_400000_NS6detail17trampoline_kernelINS0_14default_configENS1_36segmented_radix_sort_config_selectorIalEEZNS1_25segmented_radix_sort_implIS3_Lb0EPKaPaPKlPlN2at6native12_GLOBAL__N_18offset_tEEE10hipError_tPvRmT1_PNSt15iterator_traitsISK_E10value_typeET2_T3_PNSL_ISQ_E10value_typeET4_jRbjT5_SW_jjP12ihipStream_tbEUlT_E2_NS1_11comp_targetILNS1_3genE0ELNS1_11target_archE4294967295ELNS1_3gpuE0ELNS1_3repE0EEENS1_30default_config_static_selectorELNS0_4arch9wavefront6targetE0EEEvSK_,comdat
.Lfunc_end423:
	.size	_ZN7rocprim17ROCPRIM_400000_NS6detail17trampoline_kernelINS0_14default_configENS1_36segmented_radix_sort_config_selectorIalEEZNS1_25segmented_radix_sort_implIS3_Lb0EPKaPaPKlPlN2at6native12_GLOBAL__N_18offset_tEEE10hipError_tPvRmT1_PNSt15iterator_traitsISK_E10value_typeET2_T3_PNSL_ISQ_E10value_typeET4_jRbjT5_SW_jjP12ihipStream_tbEUlT_E2_NS1_11comp_targetILNS1_3genE0ELNS1_11target_archE4294967295ELNS1_3gpuE0ELNS1_3repE0EEENS1_30default_config_static_selectorELNS0_4arch9wavefront6targetE0EEEvSK_, .Lfunc_end423-_ZN7rocprim17ROCPRIM_400000_NS6detail17trampoline_kernelINS0_14default_configENS1_36segmented_radix_sort_config_selectorIalEEZNS1_25segmented_radix_sort_implIS3_Lb0EPKaPaPKlPlN2at6native12_GLOBAL__N_18offset_tEEE10hipError_tPvRmT1_PNSt15iterator_traitsISK_E10value_typeET2_T3_PNSL_ISQ_E10value_typeET4_jRbjT5_SW_jjP12ihipStream_tbEUlT_E2_NS1_11comp_targetILNS1_3genE0ELNS1_11target_archE4294967295ELNS1_3gpuE0ELNS1_3repE0EEENS1_30default_config_static_selectorELNS0_4arch9wavefront6targetE0EEEvSK_
                                        ; -- End function
	.section	.AMDGPU.csdata,"",@progbits
; Kernel info:
; codeLenInByte = 0
; NumSgprs: 0
; NumVgprs: 0
; ScratchSize: 0
; MemoryBound: 0
; FloatMode: 240
; IeeeMode: 1
; LDSByteSize: 0 bytes/workgroup (compile time only)
; SGPRBlocks: 0
; VGPRBlocks: 0
; NumSGPRsForWavesPerEU: 1
; NumVGPRsForWavesPerEU: 1
; Occupancy: 16
; WaveLimiterHint : 0
; COMPUTE_PGM_RSRC2:SCRATCH_EN: 0
; COMPUTE_PGM_RSRC2:USER_SGPR: 15
; COMPUTE_PGM_RSRC2:TRAP_HANDLER: 0
; COMPUTE_PGM_RSRC2:TGID_X_EN: 1
; COMPUTE_PGM_RSRC2:TGID_Y_EN: 0
; COMPUTE_PGM_RSRC2:TGID_Z_EN: 0
; COMPUTE_PGM_RSRC2:TIDIG_COMP_CNT: 0
	.section	.text._ZN7rocprim17ROCPRIM_400000_NS6detail17trampoline_kernelINS0_14default_configENS1_36segmented_radix_sort_config_selectorIalEEZNS1_25segmented_radix_sort_implIS3_Lb0EPKaPaPKlPlN2at6native12_GLOBAL__N_18offset_tEEE10hipError_tPvRmT1_PNSt15iterator_traitsISK_E10value_typeET2_T3_PNSL_ISQ_E10value_typeET4_jRbjT5_SW_jjP12ihipStream_tbEUlT_E2_NS1_11comp_targetILNS1_3genE5ELNS1_11target_archE942ELNS1_3gpuE9ELNS1_3repE0EEENS1_30default_config_static_selectorELNS0_4arch9wavefront6targetE0EEEvSK_,"axG",@progbits,_ZN7rocprim17ROCPRIM_400000_NS6detail17trampoline_kernelINS0_14default_configENS1_36segmented_radix_sort_config_selectorIalEEZNS1_25segmented_radix_sort_implIS3_Lb0EPKaPaPKlPlN2at6native12_GLOBAL__N_18offset_tEEE10hipError_tPvRmT1_PNSt15iterator_traitsISK_E10value_typeET2_T3_PNSL_ISQ_E10value_typeET4_jRbjT5_SW_jjP12ihipStream_tbEUlT_E2_NS1_11comp_targetILNS1_3genE5ELNS1_11target_archE942ELNS1_3gpuE9ELNS1_3repE0EEENS1_30default_config_static_selectorELNS0_4arch9wavefront6targetE0EEEvSK_,comdat
	.globl	_ZN7rocprim17ROCPRIM_400000_NS6detail17trampoline_kernelINS0_14default_configENS1_36segmented_radix_sort_config_selectorIalEEZNS1_25segmented_radix_sort_implIS3_Lb0EPKaPaPKlPlN2at6native12_GLOBAL__N_18offset_tEEE10hipError_tPvRmT1_PNSt15iterator_traitsISK_E10value_typeET2_T3_PNSL_ISQ_E10value_typeET4_jRbjT5_SW_jjP12ihipStream_tbEUlT_E2_NS1_11comp_targetILNS1_3genE5ELNS1_11target_archE942ELNS1_3gpuE9ELNS1_3repE0EEENS1_30default_config_static_selectorELNS0_4arch9wavefront6targetE0EEEvSK_ ; -- Begin function _ZN7rocprim17ROCPRIM_400000_NS6detail17trampoline_kernelINS0_14default_configENS1_36segmented_radix_sort_config_selectorIalEEZNS1_25segmented_radix_sort_implIS3_Lb0EPKaPaPKlPlN2at6native12_GLOBAL__N_18offset_tEEE10hipError_tPvRmT1_PNSt15iterator_traitsISK_E10value_typeET2_T3_PNSL_ISQ_E10value_typeET4_jRbjT5_SW_jjP12ihipStream_tbEUlT_E2_NS1_11comp_targetILNS1_3genE5ELNS1_11target_archE942ELNS1_3gpuE9ELNS1_3repE0EEENS1_30default_config_static_selectorELNS0_4arch9wavefront6targetE0EEEvSK_
	.p2align	8
	.type	_ZN7rocprim17ROCPRIM_400000_NS6detail17trampoline_kernelINS0_14default_configENS1_36segmented_radix_sort_config_selectorIalEEZNS1_25segmented_radix_sort_implIS3_Lb0EPKaPaPKlPlN2at6native12_GLOBAL__N_18offset_tEEE10hipError_tPvRmT1_PNSt15iterator_traitsISK_E10value_typeET2_T3_PNSL_ISQ_E10value_typeET4_jRbjT5_SW_jjP12ihipStream_tbEUlT_E2_NS1_11comp_targetILNS1_3genE5ELNS1_11target_archE942ELNS1_3gpuE9ELNS1_3repE0EEENS1_30default_config_static_selectorELNS0_4arch9wavefront6targetE0EEEvSK_,@function
_ZN7rocprim17ROCPRIM_400000_NS6detail17trampoline_kernelINS0_14default_configENS1_36segmented_radix_sort_config_selectorIalEEZNS1_25segmented_radix_sort_implIS3_Lb0EPKaPaPKlPlN2at6native12_GLOBAL__N_18offset_tEEE10hipError_tPvRmT1_PNSt15iterator_traitsISK_E10value_typeET2_T3_PNSL_ISQ_E10value_typeET4_jRbjT5_SW_jjP12ihipStream_tbEUlT_E2_NS1_11comp_targetILNS1_3genE5ELNS1_11target_archE942ELNS1_3gpuE9ELNS1_3repE0EEENS1_30default_config_static_selectorELNS0_4arch9wavefront6targetE0EEEvSK_: ; @_ZN7rocprim17ROCPRIM_400000_NS6detail17trampoline_kernelINS0_14default_configENS1_36segmented_radix_sort_config_selectorIalEEZNS1_25segmented_radix_sort_implIS3_Lb0EPKaPaPKlPlN2at6native12_GLOBAL__N_18offset_tEEE10hipError_tPvRmT1_PNSt15iterator_traitsISK_E10value_typeET2_T3_PNSL_ISQ_E10value_typeET4_jRbjT5_SW_jjP12ihipStream_tbEUlT_E2_NS1_11comp_targetILNS1_3genE5ELNS1_11target_archE942ELNS1_3gpuE9ELNS1_3repE0EEENS1_30default_config_static_selectorELNS0_4arch9wavefront6targetE0EEEvSK_
; %bb.0:
	.section	.rodata,"a",@progbits
	.p2align	6, 0x0
	.amdhsa_kernel _ZN7rocprim17ROCPRIM_400000_NS6detail17trampoline_kernelINS0_14default_configENS1_36segmented_radix_sort_config_selectorIalEEZNS1_25segmented_radix_sort_implIS3_Lb0EPKaPaPKlPlN2at6native12_GLOBAL__N_18offset_tEEE10hipError_tPvRmT1_PNSt15iterator_traitsISK_E10value_typeET2_T3_PNSL_ISQ_E10value_typeET4_jRbjT5_SW_jjP12ihipStream_tbEUlT_E2_NS1_11comp_targetILNS1_3genE5ELNS1_11target_archE942ELNS1_3gpuE9ELNS1_3repE0EEENS1_30default_config_static_selectorELNS0_4arch9wavefront6targetE0EEEvSK_
		.amdhsa_group_segment_fixed_size 0
		.amdhsa_private_segment_fixed_size 0
		.amdhsa_kernarg_size 80
		.amdhsa_user_sgpr_count 15
		.amdhsa_user_sgpr_dispatch_ptr 0
		.amdhsa_user_sgpr_queue_ptr 0
		.amdhsa_user_sgpr_kernarg_segment_ptr 1
		.amdhsa_user_sgpr_dispatch_id 0
		.amdhsa_user_sgpr_private_segment_size 0
		.amdhsa_wavefront_size32 1
		.amdhsa_uses_dynamic_stack 0
		.amdhsa_enable_private_segment 0
		.amdhsa_system_sgpr_workgroup_id_x 1
		.amdhsa_system_sgpr_workgroup_id_y 0
		.amdhsa_system_sgpr_workgroup_id_z 0
		.amdhsa_system_sgpr_workgroup_info 0
		.amdhsa_system_vgpr_workitem_id 0
		.amdhsa_next_free_vgpr 1
		.amdhsa_next_free_sgpr 1
		.amdhsa_reserve_vcc 0
		.amdhsa_float_round_mode_32 0
		.amdhsa_float_round_mode_16_64 0
		.amdhsa_float_denorm_mode_32 3
		.amdhsa_float_denorm_mode_16_64 3
		.amdhsa_dx10_clamp 1
		.amdhsa_ieee_mode 1
		.amdhsa_fp16_overflow 0
		.amdhsa_workgroup_processor_mode 1
		.amdhsa_memory_ordered 1
		.amdhsa_forward_progress 0
		.amdhsa_shared_vgpr_count 0
		.amdhsa_exception_fp_ieee_invalid_op 0
		.amdhsa_exception_fp_denorm_src 0
		.amdhsa_exception_fp_ieee_div_zero 0
		.amdhsa_exception_fp_ieee_overflow 0
		.amdhsa_exception_fp_ieee_underflow 0
		.amdhsa_exception_fp_ieee_inexact 0
		.amdhsa_exception_int_div_zero 0
	.end_amdhsa_kernel
	.section	.text._ZN7rocprim17ROCPRIM_400000_NS6detail17trampoline_kernelINS0_14default_configENS1_36segmented_radix_sort_config_selectorIalEEZNS1_25segmented_radix_sort_implIS3_Lb0EPKaPaPKlPlN2at6native12_GLOBAL__N_18offset_tEEE10hipError_tPvRmT1_PNSt15iterator_traitsISK_E10value_typeET2_T3_PNSL_ISQ_E10value_typeET4_jRbjT5_SW_jjP12ihipStream_tbEUlT_E2_NS1_11comp_targetILNS1_3genE5ELNS1_11target_archE942ELNS1_3gpuE9ELNS1_3repE0EEENS1_30default_config_static_selectorELNS0_4arch9wavefront6targetE0EEEvSK_,"axG",@progbits,_ZN7rocprim17ROCPRIM_400000_NS6detail17trampoline_kernelINS0_14default_configENS1_36segmented_radix_sort_config_selectorIalEEZNS1_25segmented_radix_sort_implIS3_Lb0EPKaPaPKlPlN2at6native12_GLOBAL__N_18offset_tEEE10hipError_tPvRmT1_PNSt15iterator_traitsISK_E10value_typeET2_T3_PNSL_ISQ_E10value_typeET4_jRbjT5_SW_jjP12ihipStream_tbEUlT_E2_NS1_11comp_targetILNS1_3genE5ELNS1_11target_archE942ELNS1_3gpuE9ELNS1_3repE0EEENS1_30default_config_static_selectorELNS0_4arch9wavefront6targetE0EEEvSK_,comdat
.Lfunc_end424:
	.size	_ZN7rocprim17ROCPRIM_400000_NS6detail17trampoline_kernelINS0_14default_configENS1_36segmented_radix_sort_config_selectorIalEEZNS1_25segmented_radix_sort_implIS3_Lb0EPKaPaPKlPlN2at6native12_GLOBAL__N_18offset_tEEE10hipError_tPvRmT1_PNSt15iterator_traitsISK_E10value_typeET2_T3_PNSL_ISQ_E10value_typeET4_jRbjT5_SW_jjP12ihipStream_tbEUlT_E2_NS1_11comp_targetILNS1_3genE5ELNS1_11target_archE942ELNS1_3gpuE9ELNS1_3repE0EEENS1_30default_config_static_selectorELNS0_4arch9wavefront6targetE0EEEvSK_, .Lfunc_end424-_ZN7rocprim17ROCPRIM_400000_NS6detail17trampoline_kernelINS0_14default_configENS1_36segmented_radix_sort_config_selectorIalEEZNS1_25segmented_radix_sort_implIS3_Lb0EPKaPaPKlPlN2at6native12_GLOBAL__N_18offset_tEEE10hipError_tPvRmT1_PNSt15iterator_traitsISK_E10value_typeET2_T3_PNSL_ISQ_E10value_typeET4_jRbjT5_SW_jjP12ihipStream_tbEUlT_E2_NS1_11comp_targetILNS1_3genE5ELNS1_11target_archE942ELNS1_3gpuE9ELNS1_3repE0EEENS1_30default_config_static_selectorELNS0_4arch9wavefront6targetE0EEEvSK_
                                        ; -- End function
	.section	.AMDGPU.csdata,"",@progbits
; Kernel info:
; codeLenInByte = 0
; NumSgprs: 0
; NumVgprs: 0
; ScratchSize: 0
; MemoryBound: 0
; FloatMode: 240
; IeeeMode: 1
; LDSByteSize: 0 bytes/workgroup (compile time only)
; SGPRBlocks: 0
; VGPRBlocks: 0
; NumSGPRsForWavesPerEU: 1
; NumVGPRsForWavesPerEU: 1
; Occupancy: 16
; WaveLimiterHint : 0
; COMPUTE_PGM_RSRC2:SCRATCH_EN: 0
; COMPUTE_PGM_RSRC2:USER_SGPR: 15
; COMPUTE_PGM_RSRC2:TRAP_HANDLER: 0
; COMPUTE_PGM_RSRC2:TGID_X_EN: 1
; COMPUTE_PGM_RSRC2:TGID_Y_EN: 0
; COMPUTE_PGM_RSRC2:TGID_Z_EN: 0
; COMPUTE_PGM_RSRC2:TIDIG_COMP_CNT: 0
	.section	.text._ZN7rocprim17ROCPRIM_400000_NS6detail17trampoline_kernelINS0_14default_configENS1_36segmented_radix_sort_config_selectorIalEEZNS1_25segmented_radix_sort_implIS3_Lb0EPKaPaPKlPlN2at6native12_GLOBAL__N_18offset_tEEE10hipError_tPvRmT1_PNSt15iterator_traitsISK_E10value_typeET2_T3_PNSL_ISQ_E10value_typeET4_jRbjT5_SW_jjP12ihipStream_tbEUlT_E2_NS1_11comp_targetILNS1_3genE4ELNS1_11target_archE910ELNS1_3gpuE8ELNS1_3repE0EEENS1_30default_config_static_selectorELNS0_4arch9wavefront6targetE0EEEvSK_,"axG",@progbits,_ZN7rocprim17ROCPRIM_400000_NS6detail17trampoline_kernelINS0_14default_configENS1_36segmented_radix_sort_config_selectorIalEEZNS1_25segmented_radix_sort_implIS3_Lb0EPKaPaPKlPlN2at6native12_GLOBAL__N_18offset_tEEE10hipError_tPvRmT1_PNSt15iterator_traitsISK_E10value_typeET2_T3_PNSL_ISQ_E10value_typeET4_jRbjT5_SW_jjP12ihipStream_tbEUlT_E2_NS1_11comp_targetILNS1_3genE4ELNS1_11target_archE910ELNS1_3gpuE8ELNS1_3repE0EEENS1_30default_config_static_selectorELNS0_4arch9wavefront6targetE0EEEvSK_,comdat
	.globl	_ZN7rocprim17ROCPRIM_400000_NS6detail17trampoline_kernelINS0_14default_configENS1_36segmented_radix_sort_config_selectorIalEEZNS1_25segmented_radix_sort_implIS3_Lb0EPKaPaPKlPlN2at6native12_GLOBAL__N_18offset_tEEE10hipError_tPvRmT1_PNSt15iterator_traitsISK_E10value_typeET2_T3_PNSL_ISQ_E10value_typeET4_jRbjT5_SW_jjP12ihipStream_tbEUlT_E2_NS1_11comp_targetILNS1_3genE4ELNS1_11target_archE910ELNS1_3gpuE8ELNS1_3repE0EEENS1_30default_config_static_selectorELNS0_4arch9wavefront6targetE0EEEvSK_ ; -- Begin function _ZN7rocprim17ROCPRIM_400000_NS6detail17trampoline_kernelINS0_14default_configENS1_36segmented_radix_sort_config_selectorIalEEZNS1_25segmented_radix_sort_implIS3_Lb0EPKaPaPKlPlN2at6native12_GLOBAL__N_18offset_tEEE10hipError_tPvRmT1_PNSt15iterator_traitsISK_E10value_typeET2_T3_PNSL_ISQ_E10value_typeET4_jRbjT5_SW_jjP12ihipStream_tbEUlT_E2_NS1_11comp_targetILNS1_3genE4ELNS1_11target_archE910ELNS1_3gpuE8ELNS1_3repE0EEENS1_30default_config_static_selectorELNS0_4arch9wavefront6targetE0EEEvSK_
	.p2align	8
	.type	_ZN7rocprim17ROCPRIM_400000_NS6detail17trampoline_kernelINS0_14default_configENS1_36segmented_radix_sort_config_selectorIalEEZNS1_25segmented_radix_sort_implIS3_Lb0EPKaPaPKlPlN2at6native12_GLOBAL__N_18offset_tEEE10hipError_tPvRmT1_PNSt15iterator_traitsISK_E10value_typeET2_T3_PNSL_ISQ_E10value_typeET4_jRbjT5_SW_jjP12ihipStream_tbEUlT_E2_NS1_11comp_targetILNS1_3genE4ELNS1_11target_archE910ELNS1_3gpuE8ELNS1_3repE0EEENS1_30default_config_static_selectorELNS0_4arch9wavefront6targetE0EEEvSK_,@function
_ZN7rocprim17ROCPRIM_400000_NS6detail17trampoline_kernelINS0_14default_configENS1_36segmented_radix_sort_config_selectorIalEEZNS1_25segmented_radix_sort_implIS3_Lb0EPKaPaPKlPlN2at6native12_GLOBAL__N_18offset_tEEE10hipError_tPvRmT1_PNSt15iterator_traitsISK_E10value_typeET2_T3_PNSL_ISQ_E10value_typeET4_jRbjT5_SW_jjP12ihipStream_tbEUlT_E2_NS1_11comp_targetILNS1_3genE4ELNS1_11target_archE910ELNS1_3gpuE8ELNS1_3repE0EEENS1_30default_config_static_selectorELNS0_4arch9wavefront6targetE0EEEvSK_: ; @_ZN7rocprim17ROCPRIM_400000_NS6detail17trampoline_kernelINS0_14default_configENS1_36segmented_radix_sort_config_selectorIalEEZNS1_25segmented_radix_sort_implIS3_Lb0EPKaPaPKlPlN2at6native12_GLOBAL__N_18offset_tEEE10hipError_tPvRmT1_PNSt15iterator_traitsISK_E10value_typeET2_T3_PNSL_ISQ_E10value_typeET4_jRbjT5_SW_jjP12ihipStream_tbEUlT_E2_NS1_11comp_targetILNS1_3genE4ELNS1_11target_archE910ELNS1_3gpuE8ELNS1_3repE0EEENS1_30default_config_static_selectorELNS0_4arch9wavefront6targetE0EEEvSK_
; %bb.0:
	.section	.rodata,"a",@progbits
	.p2align	6, 0x0
	.amdhsa_kernel _ZN7rocprim17ROCPRIM_400000_NS6detail17trampoline_kernelINS0_14default_configENS1_36segmented_radix_sort_config_selectorIalEEZNS1_25segmented_radix_sort_implIS3_Lb0EPKaPaPKlPlN2at6native12_GLOBAL__N_18offset_tEEE10hipError_tPvRmT1_PNSt15iterator_traitsISK_E10value_typeET2_T3_PNSL_ISQ_E10value_typeET4_jRbjT5_SW_jjP12ihipStream_tbEUlT_E2_NS1_11comp_targetILNS1_3genE4ELNS1_11target_archE910ELNS1_3gpuE8ELNS1_3repE0EEENS1_30default_config_static_selectorELNS0_4arch9wavefront6targetE0EEEvSK_
		.amdhsa_group_segment_fixed_size 0
		.amdhsa_private_segment_fixed_size 0
		.amdhsa_kernarg_size 80
		.amdhsa_user_sgpr_count 15
		.amdhsa_user_sgpr_dispatch_ptr 0
		.amdhsa_user_sgpr_queue_ptr 0
		.amdhsa_user_sgpr_kernarg_segment_ptr 1
		.amdhsa_user_sgpr_dispatch_id 0
		.amdhsa_user_sgpr_private_segment_size 0
		.amdhsa_wavefront_size32 1
		.amdhsa_uses_dynamic_stack 0
		.amdhsa_enable_private_segment 0
		.amdhsa_system_sgpr_workgroup_id_x 1
		.amdhsa_system_sgpr_workgroup_id_y 0
		.amdhsa_system_sgpr_workgroup_id_z 0
		.amdhsa_system_sgpr_workgroup_info 0
		.amdhsa_system_vgpr_workitem_id 0
		.amdhsa_next_free_vgpr 1
		.amdhsa_next_free_sgpr 1
		.amdhsa_reserve_vcc 0
		.amdhsa_float_round_mode_32 0
		.amdhsa_float_round_mode_16_64 0
		.amdhsa_float_denorm_mode_32 3
		.amdhsa_float_denorm_mode_16_64 3
		.amdhsa_dx10_clamp 1
		.amdhsa_ieee_mode 1
		.amdhsa_fp16_overflow 0
		.amdhsa_workgroup_processor_mode 1
		.amdhsa_memory_ordered 1
		.amdhsa_forward_progress 0
		.amdhsa_shared_vgpr_count 0
		.amdhsa_exception_fp_ieee_invalid_op 0
		.amdhsa_exception_fp_denorm_src 0
		.amdhsa_exception_fp_ieee_div_zero 0
		.amdhsa_exception_fp_ieee_overflow 0
		.amdhsa_exception_fp_ieee_underflow 0
		.amdhsa_exception_fp_ieee_inexact 0
		.amdhsa_exception_int_div_zero 0
	.end_amdhsa_kernel
	.section	.text._ZN7rocprim17ROCPRIM_400000_NS6detail17trampoline_kernelINS0_14default_configENS1_36segmented_radix_sort_config_selectorIalEEZNS1_25segmented_radix_sort_implIS3_Lb0EPKaPaPKlPlN2at6native12_GLOBAL__N_18offset_tEEE10hipError_tPvRmT1_PNSt15iterator_traitsISK_E10value_typeET2_T3_PNSL_ISQ_E10value_typeET4_jRbjT5_SW_jjP12ihipStream_tbEUlT_E2_NS1_11comp_targetILNS1_3genE4ELNS1_11target_archE910ELNS1_3gpuE8ELNS1_3repE0EEENS1_30default_config_static_selectorELNS0_4arch9wavefront6targetE0EEEvSK_,"axG",@progbits,_ZN7rocprim17ROCPRIM_400000_NS6detail17trampoline_kernelINS0_14default_configENS1_36segmented_radix_sort_config_selectorIalEEZNS1_25segmented_radix_sort_implIS3_Lb0EPKaPaPKlPlN2at6native12_GLOBAL__N_18offset_tEEE10hipError_tPvRmT1_PNSt15iterator_traitsISK_E10value_typeET2_T3_PNSL_ISQ_E10value_typeET4_jRbjT5_SW_jjP12ihipStream_tbEUlT_E2_NS1_11comp_targetILNS1_3genE4ELNS1_11target_archE910ELNS1_3gpuE8ELNS1_3repE0EEENS1_30default_config_static_selectorELNS0_4arch9wavefront6targetE0EEEvSK_,comdat
.Lfunc_end425:
	.size	_ZN7rocprim17ROCPRIM_400000_NS6detail17trampoline_kernelINS0_14default_configENS1_36segmented_radix_sort_config_selectorIalEEZNS1_25segmented_radix_sort_implIS3_Lb0EPKaPaPKlPlN2at6native12_GLOBAL__N_18offset_tEEE10hipError_tPvRmT1_PNSt15iterator_traitsISK_E10value_typeET2_T3_PNSL_ISQ_E10value_typeET4_jRbjT5_SW_jjP12ihipStream_tbEUlT_E2_NS1_11comp_targetILNS1_3genE4ELNS1_11target_archE910ELNS1_3gpuE8ELNS1_3repE0EEENS1_30default_config_static_selectorELNS0_4arch9wavefront6targetE0EEEvSK_, .Lfunc_end425-_ZN7rocprim17ROCPRIM_400000_NS6detail17trampoline_kernelINS0_14default_configENS1_36segmented_radix_sort_config_selectorIalEEZNS1_25segmented_radix_sort_implIS3_Lb0EPKaPaPKlPlN2at6native12_GLOBAL__N_18offset_tEEE10hipError_tPvRmT1_PNSt15iterator_traitsISK_E10value_typeET2_T3_PNSL_ISQ_E10value_typeET4_jRbjT5_SW_jjP12ihipStream_tbEUlT_E2_NS1_11comp_targetILNS1_3genE4ELNS1_11target_archE910ELNS1_3gpuE8ELNS1_3repE0EEENS1_30default_config_static_selectorELNS0_4arch9wavefront6targetE0EEEvSK_
                                        ; -- End function
	.section	.AMDGPU.csdata,"",@progbits
; Kernel info:
; codeLenInByte = 0
; NumSgprs: 0
; NumVgprs: 0
; ScratchSize: 0
; MemoryBound: 0
; FloatMode: 240
; IeeeMode: 1
; LDSByteSize: 0 bytes/workgroup (compile time only)
; SGPRBlocks: 0
; VGPRBlocks: 0
; NumSGPRsForWavesPerEU: 1
; NumVGPRsForWavesPerEU: 1
; Occupancy: 16
; WaveLimiterHint : 0
; COMPUTE_PGM_RSRC2:SCRATCH_EN: 0
; COMPUTE_PGM_RSRC2:USER_SGPR: 15
; COMPUTE_PGM_RSRC2:TRAP_HANDLER: 0
; COMPUTE_PGM_RSRC2:TGID_X_EN: 1
; COMPUTE_PGM_RSRC2:TGID_Y_EN: 0
; COMPUTE_PGM_RSRC2:TGID_Z_EN: 0
; COMPUTE_PGM_RSRC2:TIDIG_COMP_CNT: 0
	.section	.text._ZN7rocprim17ROCPRIM_400000_NS6detail17trampoline_kernelINS0_14default_configENS1_36segmented_radix_sort_config_selectorIalEEZNS1_25segmented_radix_sort_implIS3_Lb0EPKaPaPKlPlN2at6native12_GLOBAL__N_18offset_tEEE10hipError_tPvRmT1_PNSt15iterator_traitsISK_E10value_typeET2_T3_PNSL_ISQ_E10value_typeET4_jRbjT5_SW_jjP12ihipStream_tbEUlT_E2_NS1_11comp_targetILNS1_3genE3ELNS1_11target_archE908ELNS1_3gpuE7ELNS1_3repE0EEENS1_30default_config_static_selectorELNS0_4arch9wavefront6targetE0EEEvSK_,"axG",@progbits,_ZN7rocprim17ROCPRIM_400000_NS6detail17trampoline_kernelINS0_14default_configENS1_36segmented_radix_sort_config_selectorIalEEZNS1_25segmented_radix_sort_implIS3_Lb0EPKaPaPKlPlN2at6native12_GLOBAL__N_18offset_tEEE10hipError_tPvRmT1_PNSt15iterator_traitsISK_E10value_typeET2_T3_PNSL_ISQ_E10value_typeET4_jRbjT5_SW_jjP12ihipStream_tbEUlT_E2_NS1_11comp_targetILNS1_3genE3ELNS1_11target_archE908ELNS1_3gpuE7ELNS1_3repE0EEENS1_30default_config_static_selectorELNS0_4arch9wavefront6targetE0EEEvSK_,comdat
	.globl	_ZN7rocprim17ROCPRIM_400000_NS6detail17trampoline_kernelINS0_14default_configENS1_36segmented_radix_sort_config_selectorIalEEZNS1_25segmented_radix_sort_implIS3_Lb0EPKaPaPKlPlN2at6native12_GLOBAL__N_18offset_tEEE10hipError_tPvRmT1_PNSt15iterator_traitsISK_E10value_typeET2_T3_PNSL_ISQ_E10value_typeET4_jRbjT5_SW_jjP12ihipStream_tbEUlT_E2_NS1_11comp_targetILNS1_3genE3ELNS1_11target_archE908ELNS1_3gpuE7ELNS1_3repE0EEENS1_30default_config_static_selectorELNS0_4arch9wavefront6targetE0EEEvSK_ ; -- Begin function _ZN7rocprim17ROCPRIM_400000_NS6detail17trampoline_kernelINS0_14default_configENS1_36segmented_radix_sort_config_selectorIalEEZNS1_25segmented_radix_sort_implIS3_Lb0EPKaPaPKlPlN2at6native12_GLOBAL__N_18offset_tEEE10hipError_tPvRmT1_PNSt15iterator_traitsISK_E10value_typeET2_T3_PNSL_ISQ_E10value_typeET4_jRbjT5_SW_jjP12ihipStream_tbEUlT_E2_NS1_11comp_targetILNS1_3genE3ELNS1_11target_archE908ELNS1_3gpuE7ELNS1_3repE0EEENS1_30default_config_static_selectorELNS0_4arch9wavefront6targetE0EEEvSK_
	.p2align	8
	.type	_ZN7rocprim17ROCPRIM_400000_NS6detail17trampoline_kernelINS0_14default_configENS1_36segmented_radix_sort_config_selectorIalEEZNS1_25segmented_radix_sort_implIS3_Lb0EPKaPaPKlPlN2at6native12_GLOBAL__N_18offset_tEEE10hipError_tPvRmT1_PNSt15iterator_traitsISK_E10value_typeET2_T3_PNSL_ISQ_E10value_typeET4_jRbjT5_SW_jjP12ihipStream_tbEUlT_E2_NS1_11comp_targetILNS1_3genE3ELNS1_11target_archE908ELNS1_3gpuE7ELNS1_3repE0EEENS1_30default_config_static_selectorELNS0_4arch9wavefront6targetE0EEEvSK_,@function
_ZN7rocprim17ROCPRIM_400000_NS6detail17trampoline_kernelINS0_14default_configENS1_36segmented_radix_sort_config_selectorIalEEZNS1_25segmented_radix_sort_implIS3_Lb0EPKaPaPKlPlN2at6native12_GLOBAL__N_18offset_tEEE10hipError_tPvRmT1_PNSt15iterator_traitsISK_E10value_typeET2_T3_PNSL_ISQ_E10value_typeET4_jRbjT5_SW_jjP12ihipStream_tbEUlT_E2_NS1_11comp_targetILNS1_3genE3ELNS1_11target_archE908ELNS1_3gpuE7ELNS1_3repE0EEENS1_30default_config_static_selectorELNS0_4arch9wavefront6targetE0EEEvSK_: ; @_ZN7rocprim17ROCPRIM_400000_NS6detail17trampoline_kernelINS0_14default_configENS1_36segmented_radix_sort_config_selectorIalEEZNS1_25segmented_radix_sort_implIS3_Lb0EPKaPaPKlPlN2at6native12_GLOBAL__N_18offset_tEEE10hipError_tPvRmT1_PNSt15iterator_traitsISK_E10value_typeET2_T3_PNSL_ISQ_E10value_typeET4_jRbjT5_SW_jjP12ihipStream_tbEUlT_E2_NS1_11comp_targetILNS1_3genE3ELNS1_11target_archE908ELNS1_3gpuE7ELNS1_3repE0EEENS1_30default_config_static_selectorELNS0_4arch9wavefront6targetE0EEEvSK_
; %bb.0:
	.section	.rodata,"a",@progbits
	.p2align	6, 0x0
	.amdhsa_kernel _ZN7rocprim17ROCPRIM_400000_NS6detail17trampoline_kernelINS0_14default_configENS1_36segmented_radix_sort_config_selectorIalEEZNS1_25segmented_radix_sort_implIS3_Lb0EPKaPaPKlPlN2at6native12_GLOBAL__N_18offset_tEEE10hipError_tPvRmT1_PNSt15iterator_traitsISK_E10value_typeET2_T3_PNSL_ISQ_E10value_typeET4_jRbjT5_SW_jjP12ihipStream_tbEUlT_E2_NS1_11comp_targetILNS1_3genE3ELNS1_11target_archE908ELNS1_3gpuE7ELNS1_3repE0EEENS1_30default_config_static_selectorELNS0_4arch9wavefront6targetE0EEEvSK_
		.amdhsa_group_segment_fixed_size 0
		.amdhsa_private_segment_fixed_size 0
		.amdhsa_kernarg_size 80
		.amdhsa_user_sgpr_count 15
		.amdhsa_user_sgpr_dispatch_ptr 0
		.amdhsa_user_sgpr_queue_ptr 0
		.amdhsa_user_sgpr_kernarg_segment_ptr 1
		.amdhsa_user_sgpr_dispatch_id 0
		.amdhsa_user_sgpr_private_segment_size 0
		.amdhsa_wavefront_size32 1
		.amdhsa_uses_dynamic_stack 0
		.amdhsa_enable_private_segment 0
		.amdhsa_system_sgpr_workgroup_id_x 1
		.amdhsa_system_sgpr_workgroup_id_y 0
		.amdhsa_system_sgpr_workgroup_id_z 0
		.amdhsa_system_sgpr_workgroup_info 0
		.amdhsa_system_vgpr_workitem_id 0
		.amdhsa_next_free_vgpr 1
		.amdhsa_next_free_sgpr 1
		.amdhsa_reserve_vcc 0
		.amdhsa_float_round_mode_32 0
		.amdhsa_float_round_mode_16_64 0
		.amdhsa_float_denorm_mode_32 3
		.amdhsa_float_denorm_mode_16_64 3
		.amdhsa_dx10_clamp 1
		.amdhsa_ieee_mode 1
		.amdhsa_fp16_overflow 0
		.amdhsa_workgroup_processor_mode 1
		.amdhsa_memory_ordered 1
		.amdhsa_forward_progress 0
		.amdhsa_shared_vgpr_count 0
		.amdhsa_exception_fp_ieee_invalid_op 0
		.amdhsa_exception_fp_denorm_src 0
		.amdhsa_exception_fp_ieee_div_zero 0
		.amdhsa_exception_fp_ieee_overflow 0
		.amdhsa_exception_fp_ieee_underflow 0
		.amdhsa_exception_fp_ieee_inexact 0
		.amdhsa_exception_int_div_zero 0
	.end_amdhsa_kernel
	.section	.text._ZN7rocprim17ROCPRIM_400000_NS6detail17trampoline_kernelINS0_14default_configENS1_36segmented_radix_sort_config_selectorIalEEZNS1_25segmented_radix_sort_implIS3_Lb0EPKaPaPKlPlN2at6native12_GLOBAL__N_18offset_tEEE10hipError_tPvRmT1_PNSt15iterator_traitsISK_E10value_typeET2_T3_PNSL_ISQ_E10value_typeET4_jRbjT5_SW_jjP12ihipStream_tbEUlT_E2_NS1_11comp_targetILNS1_3genE3ELNS1_11target_archE908ELNS1_3gpuE7ELNS1_3repE0EEENS1_30default_config_static_selectorELNS0_4arch9wavefront6targetE0EEEvSK_,"axG",@progbits,_ZN7rocprim17ROCPRIM_400000_NS6detail17trampoline_kernelINS0_14default_configENS1_36segmented_radix_sort_config_selectorIalEEZNS1_25segmented_radix_sort_implIS3_Lb0EPKaPaPKlPlN2at6native12_GLOBAL__N_18offset_tEEE10hipError_tPvRmT1_PNSt15iterator_traitsISK_E10value_typeET2_T3_PNSL_ISQ_E10value_typeET4_jRbjT5_SW_jjP12ihipStream_tbEUlT_E2_NS1_11comp_targetILNS1_3genE3ELNS1_11target_archE908ELNS1_3gpuE7ELNS1_3repE0EEENS1_30default_config_static_selectorELNS0_4arch9wavefront6targetE0EEEvSK_,comdat
.Lfunc_end426:
	.size	_ZN7rocprim17ROCPRIM_400000_NS6detail17trampoline_kernelINS0_14default_configENS1_36segmented_radix_sort_config_selectorIalEEZNS1_25segmented_radix_sort_implIS3_Lb0EPKaPaPKlPlN2at6native12_GLOBAL__N_18offset_tEEE10hipError_tPvRmT1_PNSt15iterator_traitsISK_E10value_typeET2_T3_PNSL_ISQ_E10value_typeET4_jRbjT5_SW_jjP12ihipStream_tbEUlT_E2_NS1_11comp_targetILNS1_3genE3ELNS1_11target_archE908ELNS1_3gpuE7ELNS1_3repE0EEENS1_30default_config_static_selectorELNS0_4arch9wavefront6targetE0EEEvSK_, .Lfunc_end426-_ZN7rocprim17ROCPRIM_400000_NS6detail17trampoline_kernelINS0_14default_configENS1_36segmented_radix_sort_config_selectorIalEEZNS1_25segmented_radix_sort_implIS3_Lb0EPKaPaPKlPlN2at6native12_GLOBAL__N_18offset_tEEE10hipError_tPvRmT1_PNSt15iterator_traitsISK_E10value_typeET2_T3_PNSL_ISQ_E10value_typeET4_jRbjT5_SW_jjP12ihipStream_tbEUlT_E2_NS1_11comp_targetILNS1_3genE3ELNS1_11target_archE908ELNS1_3gpuE7ELNS1_3repE0EEENS1_30default_config_static_selectorELNS0_4arch9wavefront6targetE0EEEvSK_
                                        ; -- End function
	.section	.AMDGPU.csdata,"",@progbits
; Kernel info:
; codeLenInByte = 0
; NumSgprs: 0
; NumVgprs: 0
; ScratchSize: 0
; MemoryBound: 0
; FloatMode: 240
; IeeeMode: 1
; LDSByteSize: 0 bytes/workgroup (compile time only)
; SGPRBlocks: 0
; VGPRBlocks: 0
; NumSGPRsForWavesPerEU: 1
; NumVGPRsForWavesPerEU: 1
; Occupancy: 16
; WaveLimiterHint : 0
; COMPUTE_PGM_RSRC2:SCRATCH_EN: 0
; COMPUTE_PGM_RSRC2:USER_SGPR: 15
; COMPUTE_PGM_RSRC2:TRAP_HANDLER: 0
; COMPUTE_PGM_RSRC2:TGID_X_EN: 1
; COMPUTE_PGM_RSRC2:TGID_Y_EN: 0
; COMPUTE_PGM_RSRC2:TGID_Z_EN: 0
; COMPUTE_PGM_RSRC2:TIDIG_COMP_CNT: 0
	.section	.text._ZN7rocprim17ROCPRIM_400000_NS6detail17trampoline_kernelINS0_14default_configENS1_36segmented_radix_sort_config_selectorIalEEZNS1_25segmented_radix_sort_implIS3_Lb0EPKaPaPKlPlN2at6native12_GLOBAL__N_18offset_tEEE10hipError_tPvRmT1_PNSt15iterator_traitsISK_E10value_typeET2_T3_PNSL_ISQ_E10value_typeET4_jRbjT5_SW_jjP12ihipStream_tbEUlT_E2_NS1_11comp_targetILNS1_3genE2ELNS1_11target_archE906ELNS1_3gpuE6ELNS1_3repE0EEENS1_30default_config_static_selectorELNS0_4arch9wavefront6targetE0EEEvSK_,"axG",@progbits,_ZN7rocprim17ROCPRIM_400000_NS6detail17trampoline_kernelINS0_14default_configENS1_36segmented_radix_sort_config_selectorIalEEZNS1_25segmented_radix_sort_implIS3_Lb0EPKaPaPKlPlN2at6native12_GLOBAL__N_18offset_tEEE10hipError_tPvRmT1_PNSt15iterator_traitsISK_E10value_typeET2_T3_PNSL_ISQ_E10value_typeET4_jRbjT5_SW_jjP12ihipStream_tbEUlT_E2_NS1_11comp_targetILNS1_3genE2ELNS1_11target_archE906ELNS1_3gpuE6ELNS1_3repE0EEENS1_30default_config_static_selectorELNS0_4arch9wavefront6targetE0EEEvSK_,comdat
	.globl	_ZN7rocprim17ROCPRIM_400000_NS6detail17trampoline_kernelINS0_14default_configENS1_36segmented_radix_sort_config_selectorIalEEZNS1_25segmented_radix_sort_implIS3_Lb0EPKaPaPKlPlN2at6native12_GLOBAL__N_18offset_tEEE10hipError_tPvRmT1_PNSt15iterator_traitsISK_E10value_typeET2_T3_PNSL_ISQ_E10value_typeET4_jRbjT5_SW_jjP12ihipStream_tbEUlT_E2_NS1_11comp_targetILNS1_3genE2ELNS1_11target_archE906ELNS1_3gpuE6ELNS1_3repE0EEENS1_30default_config_static_selectorELNS0_4arch9wavefront6targetE0EEEvSK_ ; -- Begin function _ZN7rocprim17ROCPRIM_400000_NS6detail17trampoline_kernelINS0_14default_configENS1_36segmented_radix_sort_config_selectorIalEEZNS1_25segmented_radix_sort_implIS3_Lb0EPKaPaPKlPlN2at6native12_GLOBAL__N_18offset_tEEE10hipError_tPvRmT1_PNSt15iterator_traitsISK_E10value_typeET2_T3_PNSL_ISQ_E10value_typeET4_jRbjT5_SW_jjP12ihipStream_tbEUlT_E2_NS1_11comp_targetILNS1_3genE2ELNS1_11target_archE906ELNS1_3gpuE6ELNS1_3repE0EEENS1_30default_config_static_selectorELNS0_4arch9wavefront6targetE0EEEvSK_
	.p2align	8
	.type	_ZN7rocprim17ROCPRIM_400000_NS6detail17trampoline_kernelINS0_14default_configENS1_36segmented_radix_sort_config_selectorIalEEZNS1_25segmented_radix_sort_implIS3_Lb0EPKaPaPKlPlN2at6native12_GLOBAL__N_18offset_tEEE10hipError_tPvRmT1_PNSt15iterator_traitsISK_E10value_typeET2_T3_PNSL_ISQ_E10value_typeET4_jRbjT5_SW_jjP12ihipStream_tbEUlT_E2_NS1_11comp_targetILNS1_3genE2ELNS1_11target_archE906ELNS1_3gpuE6ELNS1_3repE0EEENS1_30default_config_static_selectorELNS0_4arch9wavefront6targetE0EEEvSK_,@function
_ZN7rocprim17ROCPRIM_400000_NS6detail17trampoline_kernelINS0_14default_configENS1_36segmented_radix_sort_config_selectorIalEEZNS1_25segmented_radix_sort_implIS3_Lb0EPKaPaPKlPlN2at6native12_GLOBAL__N_18offset_tEEE10hipError_tPvRmT1_PNSt15iterator_traitsISK_E10value_typeET2_T3_PNSL_ISQ_E10value_typeET4_jRbjT5_SW_jjP12ihipStream_tbEUlT_E2_NS1_11comp_targetILNS1_3genE2ELNS1_11target_archE906ELNS1_3gpuE6ELNS1_3repE0EEENS1_30default_config_static_selectorELNS0_4arch9wavefront6targetE0EEEvSK_: ; @_ZN7rocprim17ROCPRIM_400000_NS6detail17trampoline_kernelINS0_14default_configENS1_36segmented_radix_sort_config_selectorIalEEZNS1_25segmented_radix_sort_implIS3_Lb0EPKaPaPKlPlN2at6native12_GLOBAL__N_18offset_tEEE10hipError_tPvRmT1_PNSt15iterator_traitsISK_E10value_typeET2_T3_PNSL_ISQ_E10value_typeET4_jRbjT5_SW_jjP12ihipStream_tbEUlT_E2_NS1_11comp_targetILNS1_3genE2ELNS1_11target_archE906ELNS1_3gpuE6ELNS1_3repE0EEENS1_30default_config_static_selectorELNS0_4arch9wavefront6targetE0EEEvSK_
; %bb.0:
	.section	.rodata,"a",@progbits
	.p2align	6, 0x0
	.amdhsa_kernel _ZN7rocprim17ROCPRIM_400000_NS6detail17trampoline_kernelINS0_14default_configENS1_36segmented_radix_sort_config_selectorIalEEZNS1_25segmented_radix_sort_implIS3_Lb0EPKaPaPKlPlN2at6native12_GLOBAL__N_18offset_tEEE10hipError_tPvRmT1_PNSt15iterator_traitsISK_E10value_typeET2_T3_PNSL_ISQ_E10value_typeET4_jRbjT5_SW_jjP12ihipStream_tbEUlT_E2_NS1_11comp_targetILNS1_3genE2ELNS1_11target_archE906ELNS1_3gpuE6ELNS1_3repE0EEENS1_30default_config_static_selectorELNS0_4arch9wavefront6targetE0EEEvSK_
		.amdhsa_group_segment_fixed_size 0
		.amdhsa_private_segment_fixed_size 0
		.amdhsa_kernarg_size 80
		.amdhsa_user_sgpr_count 15
		.amdhsa_user_sgpr_dispatch_ptr 0
		.amdhsa_user_sgpr_queue_ptr 0
		.amdhsa_user_sgpr_kernarg_segment_ptr 1
		.amdhsa_user_sgpr_dispatch_id 0
		.amdhsa_user_sgpr_private_segment_size 0
		.amdhsa_wavefront_size32 1
		.amdhsa_uses_dynamic_stack 0
		.amdhsa_enable_private_segment 0
		.amdhsa_system_sgpr_workgroup_id_x 1
		.amdhsa_system_sgpr_workgroup_id_y 0
		.amdhsa_system_sgpr_workgroup_id_z 0
		.amdhsa_system_sgpr_workgroup_info 0
		.amdhsa_system_vgpr_workitem_id 0
		.amdhsa_next_free_vgpr 1
		.amdhsa_next_free_sgpr 1
		.amdhsa_reserve_vcc 0
		.amdhsa_float_round_mode_32 0
		.amdhsa_float_round_mode_16_64 0
		.amdhsa_float_denorm_mode_32 3
		.amdhsa_float_denorm_mode_16_64 3
		.amdhsa_dx10_clamp 1
		.amdhsa_ieee_mode 1
		.amdhsa_fp16_overflow 0
		.amdhsa_workgroup_processor_mode 1
		.amdhsa_memory_ordered 1
		.amdhsa_forward_progress 0
		.amdhsa_shared_vgpr_count 0
		.amdhsa_exception_fp_ieee_invalid_op 0
		.amdhsa_exception_fp_denorm_src 0
		.amdhsa_exception_fp_ieee_div_zero 0
		.amdhsa_exception_fp_ieee_overflow 0
		.amdhsa_exception_fp_ieee_underflow 0
		.amdhsa_exception_fp_ieee_inexact 0
		.amdhsa_exception_int_div_zero 0
	.end_amdhsa_kernel
	.section	.text._ZN7rocprim17ROCPRIM_400000_NS6detail17trampoline_kernelINS0_14default_configENS1_36segmented_radix_sort_config_selectorIalEEZNS1_25segmented_radix_sort_implIS3_Lb0EPKaPaPKlPlN2at6native12_GLOBAL__N_18offset_tEEE10hipError_tPvRmT1_PNSt15iterator_traitsISK_E10value_typeET2_T3_PNSL_ISQ_E10value_typeET4_jRbjT5_SW_jjP12ihipStream_tbEUlT_E2_NS1_11comp_targetILNS1_3genE2ELNS1_11target_archE906ELNS1_3gpuE6ELNS1_3repE0EEENS1_30default_config_static_selectorELNS0_4arch9wavefront6targetE0EEEvSK_,"axG",@progbits,_ZN7rocprim17ROCPRIM_400000_NS6detail17trampoline_kernelINS0_14default_configENS1_36segmented_radix_sort_config_selectorIalEEZNS1_25segmented_radix_sort_implIS3_Lb0EPKaPaPKlPlN2at6native12_GLOBAL__N_18offset_tEEE10hipError_tPvRmT1_PNSt15iterator_traitsISK_E10value_typeET2_T3_PNSL_ISQ_E10value_typeET4_jRbjT5_SW_jjP12ihipStream_tbEUlT_E2_NS1_11comp_targetILNS1_3genE2ELNS1_11target_archE906ELNS1_3gpuE6ELNS1_3repE0EEENS1_30default_config_static_selectorELNS0_4arch9wavefront6targetE0EEEvSK_,comdat
.Lfunc_end427:
	.size	_ZN7rocprim17ROCPRIM_400000_NS6detail17trampoline_kernelINS0_14default_configENS1_36segmented_radix_sort_config_selectorIalEEZNS1_25segmented_radix_sort_implIS3_Lb0EPKaPaPKlPlN2at6native12_GLOBAL__N_18offset_tEEE10hipError_tPvRmT1_PNSt15iterator_traitsISK_E10value_typeET2_T3_PNSL_ISQ_E10value_typeET4_jRbjT5_SW_jjP12ihipStream_tbEUlT_E2_NS1_11comp_targetILNS1_3genE2ELNS1_11target_archE906ELNS1_3gpuE6ELNS1_3repE0EEENS1_30default_config_static_selectorELNS0_4arch9wavefront6targetE0EEEvSK_, .Lfunc_end427-_ZN7rocprim17ROCPRIM_400000_NS6detail17trampoline_kernelINS0_14default_configENS1_36segmented_radix_sort_config_selectorIalEEZNS1_25segmented_radix_sort_implIS3_Lb0EPKaPaPKlPlN2at6native12_GLOBAL__N_18offset_tEEE10hipError_tPvRmT1_PNSt15iterator_traitsISK_E10value_typeET2_T3_PNSL_ISQ_E10value_typeET4_jRbjT5_SW_jjP12ihipStream_tbEUlT_E2_NS1_11comp_targetILNS1_3genE2ELNS1_11target_archE906ELNS1_3gpuE6ELNS1_3repE0EEENS1_30default_config_static_selectorELNS0_4arch9wavefront6targetE0EEEvSK_
                                        ; -- End function
	.section	.AMDGPU.csdata,"",@progbits
; Kernel info:
; codeLenInByte = 0
; NumSgprs: 0
; NumVgprs: 0
; ScratchSize: 0
; MemoryBound: 0
; FloatMode: 240
; IeeeMode: 1
; LDSByteSize: 0 bytes/workgroup (compile time only)
; SGPRBlocks: 0
; VGPRBlocks: 0
; NumSGPRsForWavesPerEU: 1
; NumVGPRsForWavesPerEU: 1
; Occupancy: 16
; WaveLimiterHint : 0
; COMPUTE_PGM_RSRC2:SCRATCH_EN: 0
; COMPUTE_PGM_RSRC2:USER_SGPR: 15
; COMPUTE_PGM_RSRC2:TRAP_HANDLER: 0
; COMPUTE_PGM_RSRC2:TGID_X_EN: 1
; COMPUTE_PGM_RSRC2:TGID_Y_EN: 0
; COMPUTE_PGM_RSRC2:TGID_Z_EN: 0
; COMPUTE_PGM_RSRC2:TIDIG_COMP_CNT: 0
	.section	.text._ZN7rocprim17ROCPRIM_400000_NS6detail17trampoline_kernelINS0_14default_configENS1_36segmented_radix_sort_config_selectorIalEEZNS1_25segmented_radix_sort_implIS3_Lb0EPKaPaPKlPlN2at6native12_GLOBAL__N_18offset_tEEE10hipError_tPvRmT1_PNSt15iterator_traitsISK_E10value_typeET2_T3_PNSL_ISQ_E10value_typeET4_jRbjT5_SW_jjP12ihipStream_tbEUlT_E2_NS1_11comp_targetILNS1_3genE10ELNS1_11target_archE1201ELNS1_3gpuE5ELNS1_3repE0EEENS1_30default_config_static_selectorELNS0_4arch9wavefront6targetE0EEEvSK_,"axG",@progbits,_ZN7rocprim17ROCPRIM_400000_NS6detail17trampoline_kernelINS0_14default_configENS1_36segmented_radix_sort_config_selectorIalEEZNS1_25segmented_radix_sort_implIS3_Lb0EPKaPaPKlPlN2at6native12_GLOBAL__N_18offset_tEEE10hipError_tPvRmT1_PNSt15iterator_traitsISK_E10value_typeET2_T3_PNSL_ISQ_E10value_typeET4_jRbjT5_SW_jjP12ihipStream_tbEUlT_E2_NS1_11comp_targetILNS1_3genE10ELNS1_11target_archE1201ELNS1_3gpuE5ELNS1_3repE0EEENS1_30default_config_static_selectorELNS0_4arch9wavefront6targetE0EEEvSK_,comdat
	.globl	_ZN7rocprim17ROCPRIM_400000_NS6detail17trampoline_kernelINS0_14default_configENS1_36segmented_radix_sort_config_selectorIalEEZNS1_25segmented_radix_sort_implIS3_Lb0EPKaPaPKlPlN2at6native12_GLOBAL__N_18offset_tEEE10hipError_tPvRmT1_PNSt15iterator_traitsISK_E10value_typeET2_T3_PNSL_ISQ_E10value_typeET4_jRbjT5_SW_jjP12ihipStream_tbEUlT_E2_NS1_11comp_targetILNS1_3genE10ELNS1_11target_archE1201ELNS1_3gpuE5ELNS1_3repE0EEENS1_30default_config_static_selectorELNS0_4arch9wavefront6targetE0EEEvSK_ ; -- Begin function _ZN7rocprim17ROCPRIM_400000_NS6detail17trampoline_kernelINS0_14default_configENS1_36segmented_radix_sort_config_selectorIalEEZNS1_25segmented_radix_sort_implIS3_Lb0EPKaPaPKlPlN2at6native12_GLOBAL__N_18offset_tEEE10hipError_tPvRmT1_PNSt15iterator_traitsISK_E10value_typeET2_T3_PNSL_ISQ_E10value_typeET4_jRbjT5_SW_jjP12ihipStream_tbEUlT_E2_NS1_11comp_targetILNS1_3genE10ELNS1_11target_archE1201ELNS1_3gpuE5ELNS1_3repE0EEENS1_30default_config_static_selectorELNS0_4arch9wavefront6targetE0EEEvSK_
	.p2align	8
	.type	_ZN7rocprim17ROCPRIM_400000_NS6detail17trampoline_kernelINS0_14default_configENS1_36segmented_radix_sort_config_selectorIalEEZNS1_25segmented_radix_sort_implIS3_Lb0EPKaPaPKlPlN2at6native12_GLOBAL__N_18offset_tEEE10hipError_tPvRmT1_PNSt15iterator_traitsISK_E10value_typeET2_T3_PNSL_ISQ_E10value_typeET4_jRbjT5_SW_jjP12ihipStream_tbEUlT_E2_NS1_11comp_targetILNS1_3genE10ELNS1_11target_archE1201ELNS1_3gpuE5ELNS1_3repE0EEENS1_30default_config_static_selectorELNS0_4arch9wavefront6targetE0EEEvSK_,@function
_ZN7rocprim17ROCPRIM_400000_NS6detail17trampoline_kernelINS0_14default_configENS1_36segmented_radix_sort_config_selectorIalEEZNS1_25segmented_radix_sort_implIS3_Lb0EPKaPaPKlPlN2at6native12_GLOBAL__N_18offset_tEEE10hipError_tPvRmT1_PNSt15iterator_traitsISK_E10value_typeET2_T3_PNSL_ISQ_E10value_typeET4_jRbjT5_SW_jjP12ihipStream_tbEUlT_E2_NS1_11comp_targetILNS1_3genE10ELNS1_11target_archE1201ELNS1_3gpuE5ELNS1_3repE0EEENS1_30default_config_static_selectorELNS0_4arch9wavefront6targetE0EEEvSK_: ; @_ZN7rocprim17ROCPRIM_400000_NS6detail17trampoline_kernelINS0_14default_configENS1_36segmented_radix_sort_config_selectorIalEEZNS1_25segmented_radix_sort_implIS3_Lb0EPKaPaPKlPlN2at6native12_GLOBAL__N_18offset_tEEE10hipError_tPvRmT1_PNSt15iterator_traitsISK_E10value_typeET2_T3_PNSL_ISQ_E10value_typeET4_jRbjT5_SW_jjP12ihipStream_tbEUlT_E2_NS1_11comp_targetILNS1_3genE10ELNS1_11target_archE1201ELNS1_3gpuE5ELNS1_3repE0EEENS1_30default_config_static_selectorELNS0_4arch9wavefront6targetE0EEEvSK_
; %bb.0:
	.section	.rodata,"a",@progbits
	.p2align	6, 0x0
	.amdhsa_kernel _ZN7rocprim17ROCPRIM_400000_NS6detail17trampoline_kernelINS0_14default_configENS1_36segmented_radix_sort_config_selectorIalEEZNS1_25segmented_radix_sort_implIS3_Lb0EPKaPaPKlPlN2at6native12_GLOBAL__N_18offset_tEEE10hipError_tPvRmT1_PNSt15iterator_traitsISK_E10value_typeET2_T3_PNSL_ISQ_E10value_typeET4_jRbjT5_SW_jjP12ihipStream_tbEUlT_E2_NS1_11comp_targetILNS1_3genE10ELNS1_11target_archE1201ELNS1_3gpuE5ELNS1_3repE0EEENS1_30default_config_static_selectorELNS0_4arch9wavefront6targetE0EEEvSK_
		.amdhsa_group_segment_fixed_size 0
		.amdhsa_private_segment_fixed_size 0
		.amdhsa_kernarg_size 80
		.amdhsa_user_sgpr_count 15
		.amdhsa_user_sgpr_dispatch_ptr 0
		.amdhsa_user_sgpr_queue_ptr 0
		.amdhsa_user_sgpr_kernarg_segment_ptr 1
		.amdhsa_user_sgpr_dispatch_id 0
		.amdhsa_user_sgpr_private_segment_size 0
		.amdhsa_wavefront_size32 1
		.amdhsa_uses_dynamic_stack 0
		.amdhsa_enable_private_segment 0
		.amdhsa_system_sgpr_workgroup_id_x 1
		.amdhsa_system_sgpr_workgroup_id_y 0
		.amdhsa_system_sgpr_workgroup_id_z 0
		.amdhsa_system_sgpr_workgroup_info 0
		.amdhsa_system_vgpr_workitem_id 0
		.amdhsa_next_free_vgpr 1
		.amdhsa_next_free_sgpr 1
		.amdhsa_reserve_vcc 0
		.amdhsa_float_round_mode_32 0
		.amdhsa_float_round_mode_16_64 0
		.amdhsa_float_denorm_mode_32 3
		.amdhsa_float_denorm_mode_16_64 3
		.amdhsa_dx10_clamp 1
		.amdhsa_ieee_mode 1
		.amdhsa_fp16_overflow 0
		.amdhsa_workgroup_processor_mode 1
		.amdhsa_memory_ordered 1
		.amdhsa_forward_progress 0
		.amdhsa_shared_vgpr_count 0
		.amdhsa_exception_fp_ieee_invalid_op 0
		.amdhsa_exception_fp_denorm_src 0
		.amdhsa_exception_fp_ieee_div_zero 0
		.amdhsa_exception_fp_ieee_overflow 0
		.amdhsa_exception_fp_ieee_underflow 0
		.amdhsa_exception_fp_ieee_inexact 0
		.amdhsa_exception_int_div_zero 0
	.end_amdhsa_kernel
	.section	.text._ZN7rocprim17ROCPRIM_400000_NS6detail17trampoline_kernelINS0_14default_configENS1_36segmented_radix_sort_config_selectorIalEEZNS1_25segmented_radix_sort_implIS3_Lb0EPKaPaPKlPlN2at6native12_GLOBAL__N_18offset_tEEE10hipError_tPvRmT1_PNSt15iterator_traitsISK_E10value_typeET2_T3_PNSL_ISQ_E10value_typeET4_jRbjT5_SW_jjP12ihipStream_tbEUlT_E2_NS1_11comp_targetILNS1_3genE10ELNS1_11target_archE1201ELNS1_3gpuE5ELNS1_3repE0EEENS1_30default_config_static_selectorELNS0_4arch9wavefront6targetE0EEEvSK_,"axG",@progbits,_ZN7rocprim17ROCPRIM_400000_NS6detail17trampoline_kernelINS0_14default_configENS1_36segmented_radix_sort_config_selectorIalEEZNS1_25segmented_radix_sort_implIS3_Lb0EPKaPaPKlPlN2at6native12_GLOBAL__N_18offset_tEEE10hipError_tPvRmT1_PNSt15iterator_traitsISK_E10value_typeET2_T3_PNSL_ISQ_E10value_typeET4_jRbjT5_SW_jjP12ihipStream_tbEUlT_E2_NS1_11comp_targetILNS1_3genE10ELNS1_11target_archE1201ELNS1_3gpuE5ELNS1_3repE0EEENS1_30default_config_static_selectorELNS0_4arch9wavefront6targetE0EEEvSK_,comdat
.Lfunc_end428:
	.size	_ZN7rocprim17ROCPRIM_400000_NS6detail17trampoline_kernelINS0_14default_configENS1_36segmented_radix_sort_config_selectorIalEEZNS1_25segmented_radix_sort_implIS3_Lb0EPKaPaPKlPlN2at6native12_GLOBAL__N_18offset_tEEE10hipError_tPvRmT1_PNSt15iterator_traitsISK_E10value_typeET2_T3_PNSL_ISQ_E10value_typeET4_jRbjT5_SW_jjP12ihipStream_tbEUlT_E2_NS1_11comp_targetILNS1_3genE10ELNS1_11target_archE1201ELNS1_3gpuE5ELNS1_3repE0EEENS1_30default_config_static_selectorELNS0_4arch9wavefront6targetE0EEEvSK_, .Lfunc_end428-_ZN7rocprim17ROCPRIM_400000_NS6detail17trampoline_kernelINS0_14default_configENS1_36segmented_radix_sort_config_selectorIalEEZNS1_25segmented_radix_sort_implIS3_Lb0EPKaPaPKlPlN2at6native12_GLOBAL__N_18offset_tEEE10hipError_tPvRmT1_PNSt15iterator_traitsISK_E10value_typeET2_T3_PNSL_ISQ_E10value_typeET4_jRbjT5_SW_jjP12ihipStream_tbEUlT_E2_NS1_11comp_targetILNS1_3genE10ELNS1_11target_archE1201ELNS1_3gpuE5ELNS1_3repE0EEENS1_30default_config_static_selectorELNS0_4arch9wavefront6targetE0EEEvSK_
                                        ; -- End function
	.section	.AMDGPU.csdata,"",@progbits
; Kernel info:
; codeLenInByte = 0
; NumSgprs: 0
; NumVgprs: 0
; ScratchSize: 0
; MemoryBound: 0
; FloatMode: 240
; IeeeMode: 1
; LDSByteSize: 0 bytes/workgroup (compile time only)
; SGPRBlocks: 0
; VGPRBlocks: 0
; NumSGPRsForWavesPerEU: 1
; NumVGPRsForWavesPerEU: 1
; Occupancy: 16
; WaveLimiterHint : 0
; COMPUTE_PGM_RSRC2:SCRATCH_EN: 0
; COMPUTE_PGM_RSRC2:USER_SGPR: 15
; COMPUTE_PGM_RSRC2:TRAP_HANDLER: 0
; COMPUTE_PGM_RSRC2:TGID_X_EN: 1
; COMPUTE_PGM_RSRC2:TGID_Y_EN: 0
; COMPUTE_PGM_RSRC2:TGID_Z_EN: 0
; COMPUTE_PGM_RSRC2:TIDIG_COMP_CNT: 0
	.section	.text._ZN7rocprim17ROCPRIM_400000_NS6detail17trampoline_kernelINS0_14default_configENS1_36segmented_radix_sort_config_selectorIalEEZNS1_25segmented_radix_sort_implIS3_Lb0EPKaPaPKlPlN2at6native12_GLOBAL__N_18offset_tEEE10hipError_tPvRmT1_PNSt15iterator_traitsISK_E10value_typeET2_T3_PNSL_ISQ_E10value_typeET4_jRbjT5_SW_jjP12ihipStream_tbEUlT_E2_NS1_11comp_targetILNS1_3genE10ELNS1_11target_archE1200ELNS1_3gpuE4ELNS1_3repE0EEENS1_30default_config_static_selectorELNS0_4arch9wavefront6targetE0EEEvSK_,"axG",@progbits,_ZN7rocprim17ROCPRIM_400000_NS6detail17trampoline_kernelINS0_14default_configENS1_36segmented_radix_sort_config_selectorIalEEZNS1_25segmented_radix_sort_implIS3_Lb0EPKaPaPKlPlN2at6native12_GLOBAL__N_18offset_tEEE10hipError_tPvRmT1_PNSt15iterator_traitsISK_E10value_typeET2_T3_PNSL_ISQ_E10value_typeET4_jRbjT5_SW_jjP12ihipStream_tbEUlT_E2_NS1_11comp_targetILNS1_3genE10ELNS1_11target_archE1200ELNS1_3gpuE4ELNS1_3repE0EEENS1_30default_config_static_selectorELNS0_4arch9wavefront6targetE0EEEvSK_,comdat
	.globl	_ZN7rocprim17ROCPRIM_400000_NS6detail17trampoline_kernelINS0_14default_configENS1_36segmented_radix_sort_config_selectorIalEEZNS1_25segmented_radix_sort_implIS3_Lb0EPKaPaPKlPlN2at6native12_GLOBAL__N_18offset_tEEE10hipError_tPvRmT1_PNSt15iterator_traitsISK_E10value_typeET2_T3_PNSL_ISQ_E10value_typeET4_jRbjT5_SW_jjP12ihipStream_tbEUlT_E2_NS1_11comp_targetILNS1_3genE10ELNS1_11target_archE1200ELNS1_3gpuE4ELNS1_3repE0EEENS1_30default_config_static_selectorELNS0_4arch9wavefront6targetE0EEEvSK_ ; -- Begin function _ZN7rocprim17ROCPRIM_400000_NS6detail17trampoline_kernelINS0_14default_configENS1_36segmented_radix_sort_config_selectorIalEEZNS1_25segmented_radix_sort_implIS3_Lb0EPKaPaPKlPlN2at6native12_GLOBAL__N_18offset_tEEE10hipError_tPvRmT1_PNSt15iterator_traitsISK_E10value_typeET2_T3_PNSL_ISQ_E10value_typeET4_jRbjT5_SW_jjP12ihipStream_tbEUlT_E2_NS1_11comp_targetILNS1_3genE10ELNS1_11target_archE1200ELNS1_3gpuE4ELNS1_3repE0EEENS1_30default_config_static_selectorELNS0_4arch9wavefront6targetE0EEEvSK_
	.p2align	8
	.type	_ZN7rocprim17ROCPRIM_400000_NS6detail17trampoline_kernelINS0_14default_configENS1_36segmented_radix_sort_config_selectorIalEEZNS1_25segmented_radix_sort_implIS3_Lb0EPKaPaPKlPlN2at6native12_GLOBAL__N_18offset_tEEE10hipError_tPvRmT1_PNSt15iterator_traitsISK_E10value_typeET2_T3_PNSL_ISQ_E10value_typeET4_jRbjT5_SW_jjP12ihipStream_tbEUlT_E2_NS1_11comp_targetILNS1_3genE10ELNS1_11target_archE1200ELNS1_3gpuE4ELNS1_3repE0EEENS1_30default_config_static_selectorELNS0_4arch9wavefront6targetE0EEEvSK_,@function
_ZN7rocprim17ROCPRIM_400000_NS6detail17trampoline_kernelINS0_14default_configENS1_36segmented_radix_sort_config_selectorIalEEZNS1_25segmented_radix_sort_implIS3_Lb0EPKaPaPKlPlN2at6native12_GLOBAL__N_18offset_tEEE10hipError_tPvRmT1_PNSt15iterator_traitsISK_E10value_typeET2_T3_PNSL_ISQ_E10value_typeET4_jRbjT5_SW_jjP12ihipStream_tbEUlT_E2_NS1_11comp_targetILNS1_3genE10ELNS1_11target_archE1200ELNS1_3gpuE4ELNS1_3repE0EEENS1_30default_config_static_selectorELNS0_4arch9wavefront6targetE0EEEvSK_: ; @_ZN7rocprim17ROCPRIM_400000_NS6detail17trampoline_kernelINS0_14default_configENS1_36segmented_radix_sort_config_selectorIalEEZNS1_25segmented_radix_sort_implIS3_Lb0EPKaPaPKlPlN2at6native12_GLOBAL__N_18offset_tEEE10hipError_tPvRmT1_PNSt15iterator_traitsISK_E10value_typeET2_T3_PNSL_ISQ_E10value_typeET4_jRbjT5_SW_jjP12ihipStream_tbEUlT_E2_NS1_11comp_targetILNS1_3genE10ELNS1_11target_archE1200ELNS1_3gpuE4ELNS1_3repE0EEENS1_30default_config_static_selectorELNS0_4arch9wavefront6targetE0EEEvSK_
; %bb.0:
	.section	.rodata,"a",@progbits
	.p2align	6, 0x0
	.amdhsa_kernel _ZN7rocprim17ROCPRIM_400000_NS6detail17trampoline_kernelINS0_14default_configENS1_36segmented_radix_sort_config_selectorIalEEZNS1_25segmented_radix_sort_implIS3_Lb0EPKaPaPKlPlN2at6native12_GLOBAL__N_18offset_tEEE10hipError_tPvRmT1_PNSt15iterator_traitsISK_E10value_typeET2_T3_PNSL_ISQ_E10value_typeET4_jRbjT5_SW_jjP12ihipStream_tbEUlT_E2_NS1_11comp_targetILNS1_3genE10ELNS1_11target_archE1200ELNS1_3gpuE4ELNS1_3repE0EEENS1_30default_config_static_selectorELNS0_4arch9wavefront6targetE0EEEvSK_
		.amdhsa_group_segment_fixed_size 0
		.amdhsa_private_segment_fixed_size 0
		.amdhsa_kernarg_size 80
		.amdhsa_user_sgpr_count 15
		.amdhsa_user_sgpr_dispatch_ptr 0
		.amdhsa_user_sgpr_queue_ptr 0
		.amdhsa_user_sgpr_kernarg_segment_ptr 1
		.amdhsa_user_sgpr_dispatch_id 0
		.amdhsa_user_sgpr_private_segment_size 0
		.amdhsa_wavefront_size32 1
		.amdhsa_uses_dynamic_stack 0
		.amdhsa_enable_private_segment 0
		.amdhsa_system_sgpr_workgroup_id_x 1
		.amdhsa_system_sgpr_workgroup_id_y 0
		.amdhsa_system_sgpr_workgroup_id_z 0
		.amdhsa_system_sgpr_workgroup_info 0
		.amdhsa_system_vgpr_workitem_id 0
		.amdhsa_next_free_vgpr 1
		.amdhsa_next_free_sgpr 1
		.amdhsa_reserve_vcc 0
		.amdhsa_float_round_mode_32 0
		.amdhsa_float_round_mode_16_64 0
		.amdhsa_float_denorm_mode_32 3
		.amdhsa_float_denorm_mode_16_64 3
		.amdhsa_dx10_clamp 1
		.amdhsa_ieee_mode 1
		.amdhsa_fp16_overflow 0
		.amdhsa_workgroup_processor_mode 1
		.amdhsa_memory_ordered 1
		.amdhsa_forward_progress 0
		.amdhsa_shared_vgpr_count 0
		.amdhsa_exception_fp_ieee_invalid_op 0
		.amdhsa_exception_fp_denorm_src 0
		.amdhsa_exception_fp_ieee_div_zero 0
		.amdhsa_exception_fp_ieee_overflow 0
		.amdhsa_exception_fp_ieee_underflow 0
		.amdhsa_exception_fp_ieee_inexact 0
		.amdhsa_exception_int_div_zero 0
	.end_amdhsa_kernel
	.section	.text._ZN7rocprim17ROCPRIM_400000_NS6detail17trampoline_kernelINS0_14default_configENS1_36segmented_radix_sort_config_selectorIalEEZNS1_25segmented_radix_sort_implIS3_Lb0EPKaPaPKlPlN2at6native12_GLOBAL__N_18offset_tEEE10hipError_tPvRmT1_PNSt15iterator_traitsISK_E10value_typeET2_T3_PNSL_ISQ_E10value_typeET4_jRbjT5_SW_jjP12ihipStream_tbEUlT_E2_NS1_11comp_targetILNS1_3genE10ELNS1_11target_archE1200ELNS1_3gpuE4ELNS1_3repE0EEENS1_30default_config_static_selectorELNS0_4arch9wavefront6targetE0EEEvSK_,"axG",@progbits,_ZN7rocprim17ROCPRIM_400000_NS6detail17trampoline_kernelINS0_14default_configENS1_36segmented_radix_sort_config_selectorIalEEZNS1_25segmented_radix_sort_implIS3_Lb0EPKaPaPKlPlN2at6native12_GLOBAL__N_18offset_tEEE10hipError_tPvRmT1_PNSt15iterator_traitsISK_E10value_typeET2_T3_PNSL_ISQ_E10value_typeET4_jRbjT5_SW_jjP12ihipStream_tbEUlT_E2_NS1_11comp_targetILNS1_3genE10ELNS1_11target_archE1200ELNS1_3gpuE4ELNS1_3repE0EEENS1_30default_config_static_selectorELNS0_4arch9wavefront6targetE0EEEvSK_,comdat
.Lfunc_end429:
	.size	_ZN7rocprim17ROCPRIM_400000_NS6detail17trampoline_kernelINS0_14default_configENS1_36segmented_radix_sort_config_selectorIalEEZNS1_25segmented_radix_sort_implIS3_Lb0EPKaPaPKlPlN2at6native12_GLOBAL__N_18offset_tEEE10hipError_tPvRmT1_PNSt15iterator_traitsISK_E10value_typeET2_T3_PNSL_ISQ_E10value_typeET4_jRbjT5_SW_jjP12ihipStream_tbEUlT_E2_NS1_11comp_targetILNS1_3genE10ELNS1_11target_archE1200ELNS1_3gpuE4ELNS1_3repE0EEENS1_30default_config_static_selectorELNS0_4arch9wavefront6targetE0EEEvSK_, .Lfunc_end429-_ZN7rocprim17ROCPRIM_400000_NS6detail17trampoline_kernelINS0_14default_configENS1_36segmented_radix_sort_config_selectorIalEEZNS1_25segmented_radix_sort_implIS3_Lb0EPKaPaPKlPlN2at6native12_GLOBAL__N_18offset_tEEE10hipError_tPvRmT1_PNSt15iterator_traitsISK_E10value_typeET2_T3_PNSL_ISQ_E10value_typeET4_jRbjT5_SW_jjP12ihipStream_tbEUlT_E2_NS1_11comp_targetILNS1_3genE10ELNS1_11target_archE1200ELNS1_3gpuE4ELNS1_3repE0EEENS1_30default_config_static_selectorELNS0_4arch9wavefront6targetE0EEEvSK_
                                        ; -- End function
	.section	.AMDGPU.csdata,"",@progbits
; Kernel info:
; codeLenInByte = 0
; NumSgprs: 0
; NumVgprs: 0
; ScratchSize: 0
; MemoryBound: 0
; FloatMode: 240
; IeeeMode: 1
; LDSByteSize: 0 bytes/workgroup (compile time only)
; SGPRBlocks: 0
; VGPRBlocks: 0
; NumSGPRsForWavesPerEU: 1
; NumVGPRsForWavesPerEU: 1
; Occupancy: 16
; WaveLimiterHint : 0
; COMPUTE_PGM_RSRC2:SCRATCH_EN: 0
; COMPUTE_PGM_RSRC2:USER_SGPR: 15
; COMPUTE_PGM_RSRC2:TRAP_HANDLER: 0
; COMPUTE_PGM_RSRC2:TGID_X_EN: 1
; COMPUTE_PGM_RSRC2:TGID_Y_EN: 0
; COMPUTE_PGM_RSRC2:TGID_Z_EN: 0
; COMPUTE_PGM_RSRC2:TIDIG_COMP_CNT: 0
	.section	.text._ZN7rocprim17ROCPRIM_400000_NS6detail17trampoline_kernelINS0_14default_configENS1_36segmented_radix_sort_config_selectorIalEEZNS1_25segmented_radix_sort_implIS3_Lb0EPKaPaPKlPlN2at6native12_GLOBAL__N_18offset_tEEE10hipError_tPvRmT1_PNSt15iterator_traitsISK_E10value_typeET2_T3_PNSL_ISQ_E10value_typeET4_jRbjT5_SW_jjP12ihipStream_tbEUlT_E2_NS1_11comp_targetILNS1_3genE9ELNS1_11target_archE1100ELNS1_3gpuE3ELNS1_3repE0EEENS1_30default_config_static_selectorELNS0_4arch9wavefront6targetE0EEEvSK_,"axG",@progbits,_ZN7rocprim17ROCPRIM_400000_NS6detail17trampoline_kernelINS0_14default_configENS1_36segmented_radix_sort_config_selectorIalEEZNS1_25segmented_radix_sort_implIS3_Lb0EPKaPaPKlPlN2at6native12_GLOBAL__N_18offset_tEEE10hipError_tPvRmT1_PNSt15iterator_traitsISK_E10value_typeET2_T3_PNSL_ISQ_E10value_typeET4_jRbjT5_SW_jjP12ihipStream_tbEUlT_E2_NS1_11comp_targetILNS1_3genE9ELNS1_11target_archE1100ELNS1_3gpuE3ELNS1_3repE0EEENS1_30default_config_static_selectorELNS0_4arch9wavefront6targetE0EEEvSK_,comdat
	.globl	_ZN7rocprim17ROCPRIM_400000_NS6detail17trampoline_kernelINS0_14default_configENS1_36segmented_radix_sort_config_selectorIalEEZNS1_25segmented_radix_sort_implIS3_Lb0EPKaPaPKlPlN2at6native12_GLOBAL__N_18offset_tEEE10hipError_tPvRmT1_PNSt15iterator_traitsISK_E10value_typeET2_T3_PNSL_ISQ_E10value_typeET4_jRbjT5_SW_jjP12ihipStream_tbEUlT_E2_NS1_11comp_targetILNS1_3genE9ELNS1_11target_archE1100ELNS1_3gpuE3ELNS1_3repE0EEENS1_30default_config_static_selectorELNS0_4arch9wavefront6targetE0EEEvSK_ ; -- Begin function _ZN7rocprim17ROCPRIM_400000_NS6detail17trampoline_kernelINS0_14default_configENS1_36segmented_radix_sort_config_selectorIalEEZNS1_25segmented_radix_sort_implIS3_Lb0EPKaPaPKlPlN2at6native12_GLOBAL__N_18offset_tEEE10hipError_tPvRmT1_PNSt15iterator_traitsISK_E10value_typeET2_T3_PNSL_ISQ_E10value_typeET4_jRbjT5_SW_jjP12ihipStream_tbEUlT_E2_NS1_11comp_targetILNS1_3genE9ELNS1_11target_archE1100ELNS1_3gpuE3ELNS1_3repE0EEENS1_30default_config_static_selectorELNS0_4arch9wavefront6targetE0EEEvSK_
	.p2align	8
	.type	_ZN7rocprim17ROCPRIM_400000_NS6detail17trampoline_kernelINS0_14default_configENS1_36segmented_radix_sort_config_selectorIalEEZNS1_25segmented_radix_sort_implIS3_Lb0EPKaPaPKlPlN2at6native12_GLOBAL__N_18offset_tEEE10hipError_tPvRmT1_PNSt15iterator_traitsISK_E10value_typeET2_T3_PNSL_ISQ_E10value_typeET4_jRbjT5_SW_jjP12ihipStream_tbEUlT_E2_NS1_11comp_targetILNS1_3genE9ELNS1_11target_archE1100ELNS1_3gpuE3ELNS1_3repE0EEENS1_30default_config_static_selectorELNS0_4arch9wavefront6targetE0EEEvSK_,@function
_ZN7rocprim17ROCPRIM_400000_NS6detail17trampoline_kernelINS0_14default_configENS1_36segmented_radix_sort_config_selectorIalEEZNS1_25segmented_radix_sort_implIS3_Lb0EPKaPaPKlPlN2at6native12_GLOBAL__N_18offset_tEEE10hipError_tPvRmT1_PNSt15iterator_traitsISK_E10value_typeET2_T3_PNSL_ISQ_E10value_typeET4_jRbjT5_SW_jjP12ihipStream_tbEUlT_E2_NS1_11comp_targetILNS1_3genE9ELNS1_11target_archE1100ELNS1_3gpuE3ELNS1_3repE0EEENS1_30default_config_static_selectorELNS0_4arch9wavefront6targetE0EEEvSK_: ; @_ZN7rocprim17ROCPRIM_400000_NS6detail17trampoline_kernelINS0_14default_configENS1_36segmented_radix_sort_config_selectorIalEEZNS1_25segmented_radix_sort_implIS3_Lb0EPKaPaPKlPlN2at6native12_GLOBAL__N_18offset_tEEE10hipError_tPvRmT1_PNSt15iterator_traitsISK_E10value_typeET2_T3_PNSL_ISQ_E10value_typeET4_jRbjT5_SW_jjP12ihipStream_tbEUlT_E2_NS1_11comp_targetILNS1_3genE9ELNS1_11target_archE1100ELNS1_3gpuE3ELNS1_3repE0EEENS1_30default_config_static_selectorELNS0_4arch9wavefront6targetE0EEEvSK_
; %bb.0:
	s_load_b128 s[4:7], s[0:1], 0x34
	s_mov_b32 s32, 0
	s_waitcnt lgkmcnt(0)
	s_add_i32 s28, s5, s14
	s_add_i32 s29, s7, s14
	s_mul_i32 s28, s28, s4
	s_mul_i32 s29, s29, s6
	s_delay_alu instid0(SALU_CYCLE_1)
	s_cmp_le_u32 s29, s28
	s_cbranch_scc1 .LBB430_686
; %bb.1:
	s_clause 0x3
	s_load_b32 s2, s[0:1], 0x30
	s_load_b128 s[44:47], s[0:1], 0x20
	s_load_b128 s[48:51], s[0:1], 0x44
	s_load_b256 s[36:43], s[0:1], 0x0
	s_waitcnt lgkmcnt(0)
	s_bitcmp1_b32 s2, 0
	s_mov_b32 s2, -1
	s_cselect_b32 s33, -1, 0
	s_sub_i32 s34, s29, s28
	s_delay_alu instid0(SALU_CYCLE_1)
	s_cmpk_lt_u32 s34, 0x801
	s_cbranch_scc0 .LBB430_15
; %bb.2:
	s_cmp_lt_u32 s34, 33
	s_cbranch_scc0 .LBB430_9
; %bb.3:
	s_load_b32 s2, s[0:1], 0x5c
	v_bfe_u32 v1, v0, 10, 10
	v_bfe_u32 v2, v0, 20, 10
	s_mov_b32 s18, exec_lo
	s_waitcnt lgkmcnt(0)
	s_lshr_b32 s3, s2, 16
	s_and_b32 s2, s2, 0xffff
	v_mad_u32_u24 v4, v2, s3, v1
	v_and_b32_e32 v1, 0x3ff, v0
	s_delay_alu instid0(VALU_DEP_1) | instskip(NEXT) | instid1(VALU_DEP_1)
	v_mad_u64_u32 v[2:3], null, v4, s2, v[1:2]
	v_cmpx_gt_u32_e32 8, v2
	s_cbranch_execz .LBB430_8
; %bb.4:
	v_cndmask_b32_e64 v1, 0, 1, s33
	s_and_b32 s2, s48, 1
	s_delay_alu instid0(VALU_DEP_1) | instid1(SALU_CYCLE_1)
	v_cmp_ne_u32_e32 vcc_lo, s2, v1
	s_mov_b32 s2, -1
	s_cbranch_vccnz .LBB430_6
; %bb.5:
	s_mov_b64 s[2:3], src_shared_base
	v_mov_b32_e32 v31, v0
	v_dual_mov_b32 v40, v0 :: v_dual_mov_b32 v1, s37
	v_mov_b32_e32 v0, s36
	v_dual_mov_b32 v2, s40 :: v_dual_mov_b32 v3, s41
	v_dual_mov_b32 v4, s42 :: v_dual_mov_b32 v5, s43
	;; [unrolled: 1-line block ×6, first 2 shown]
	s_add_u32 s8, s0, 0x50
	s_addc_u32 s9, s1, 0
	s_mov_b32 s12, s14
	s_mov_b32 s13, s15
	s_getpc_b64 s[4:5]
	s_add_u32 s4, s4, _ZN7rocprim17ROCPRIM_400000_NS6detail26segmented_warp_sort_helperINS1_20WarpSortHelperConfigILj8ELj4ELj256EEEalLi256ELb0EvE4sortIPKaPaPKlPlEEvT_T0_T1_T2_jjjjRNS5_12storage_typeE@rel32@lo+4
	s_addc_u32 s5, s5, _ZN7rocprim17ROCPRIM_400000_NS6detail26segmented_warp_sort_helperINS1_20WarpSortHelperConfigILj8ELj4ELj256EEEalLi256ELb0EvE4sortIPKaPaPKlPlEEvT_T0_T1_T2_jjjjRNS5_12storage_typeE@rel32@hi+12
	s_mov_b64 s[16:17], s[0:1]
	s_mov_b32 s19, s15
	s_mov_b32 s20, s14
	s_swappc_b64 s[30:31], s[4:5]
	v_mov_b32_e32 v0, v40
	s_mov_b32 s14, s20
	s_mov_b32 s15, s19
	s_mov_b64 s[0:1], s[16:17]
	s_mov_b32 s2, 0
.LBB430_6:
	s_delay_alu instid0(SALU_CYCLE_1)
	s_and_not1_b32 vcc_lo, exec_lo, s2
	s_cbranch_vccnz .LBB430_8
; %bb.7:
	s_mov_b64 s[2:3], src_shared_base
	v_mov_b32_e32 v31, v0
	v_dual_mov_b32 v40, v0 :: v_dual_mov_b32 v1, s37
	v_mov_b32_e32 v0, s36
	v_dual_mov_b32 v2, s38 :: v_dual_mov_b32 v3, s39
	v_dual_mov_b32 v4, s42 :: v_dual_mov_b32 v5, s43
	;; [unrolled: 1-line block ×6, first 2 shown]
	s_add_u32 s8, s0, 0x50
	s_addc_u32 s9, s1, 0
	s_mov_b32 s12, s14
	s_mov_b32 s13, s15
	s_getpc_b64 s[4:5]
	s_add_u32 s4, s4, _ZN7rocprim17ROCPRIM_400000_NS6detail26segmented_warp_sort_helperINS1_20WarpSortHelperConfigILj8ELj4ELj256EEEalLi256ELb0EvE4sortIPKaPaPKlPlEEvT_T0_T1_T2_jjjjRNS5_12storage_typeE@rel32@lo+4
	s_addc_u32 s5, s5, _ZN7rocprim17ROCPRIM_400000_NS6detail26segmented_warp_sort_helperINS1_20WarpSortHelperConfigILj8ELj4ELj256EEEalLi256ELb0EvE4sortIPKaPaPKlPlEEvT_T0_T1_T2_jjjjRNS5_12storage_typeE@rel32@hi+12
	s_mov_b64 s[16:17], s[0:1]
	s_mov_b32 s20, s15
	s_mov_b32 s19, s14
	s_swappc_b64 s[30:31], s[4:5]
	v_mov_b32_e32 v0, v40
	s_mov_b32 s14, s19
	s_mov_b32 s15, s20
	s_mov_b64 s[0:1], s[16:17]
.LBB430_8:
	s_or_b32 exec_lo, exec_lo, s18
	s_mov_b32 s2, 0
.LBB430_9:
	s_delay_alu instid0(SALU_CYCLE_1)
	s_and_not1_b32 vcc_lo, exec_lo, s2
	s_cbranch_vccnz .LBB430_14
; %bb.10:
	v_cndmask_b32_e64 v1, 0, 1, s33
	s_and_b32 s2, s48, 1
	s_delay_alu instid0(VALU_DEP_1) | instid1(SALU_CYCLE_1)
	v_cmp_ne_u32_e32 vcc_lo, s2, v1
	s_mov_b32 s2, -1
	s_cbranch_vccnz .LBB430_12
; %bb.11:
	s_mov_b64 s[2:3], src_shared_base
	v_mov_b32_e32 v31, v0
	v_dual_mov_b32 v40, v0 :: v_dual_mov_b32 v1, s37
	v_mov_b32_e32 v0, s36
	v_dual_mov_b32 v2, s40 :: v_dual_mov_b32 v3, s41
	v_dual_mov_b32 v4, s42 :: v_dual_mov_b32 v5, s43
	;; [unrolled: 1-line block ×6, first 2 shown]
	s_add_u32 s8, s0, 0x50
	s_addc_u32 s9, s1, 0
	s_mov_b32 s12, s14
	s_mov_b32 s13, s15
	s_getpc_b64 s[4:5]
	s_add_u32 s4, s4, _ZN7rocprim17ROCPRIM_400000_NS6detail40segmented_radix_sort_single_block_helperIalLj256ELj8ELb0EE4sortIPKaPaPKlPlEEbT_T0_T1_T2_jjjjRNS3_12storage_typeE@rel32@lo+4
	s_addc_u32 s5, s5, _ZN7rocprim17ROCPRIM_400000_NS6detail40segmented_radix_sort_single_block_helperIalLj256ELj8ELb0EE4sortIPKaPaPKlPlEEbT_T0_T1_T2_jjjjRNS3_12storage_typeE@rel32@hi+12
	s_mov_b64 s[26:27], s[0:1]
	s_mov_b32 s35, s15
	s_mov_b32 s48, s14
	s_swappc_b64 s[30:31], s[4:5]
	v_mov_b32_e32 v0, v40
	s_mov_b32 s14, s48
	s_mov_b32 s15, s35
	s_mov_b64 s[0:1], s[26:27]
	s_mov_b32 s2, 0
.LBB430_12:
	s_delay_alu instid0(SALU_CYCLE_1)
	s_and_not1_b32 vcc_lo, exec_lo, s2
	s_cbranch_vccnz .LBB430_14
; %bb.13:
	s_mov_b64 s[2:3], src_shared_base
	v_mov_b32_e32 v31, v0
	v_dual_mov_b32 v40, v0 :: v_dual_mov_b32 v1, s37
	v_mov_b32_e32 v0, s36
	v_dual_mov_b32 v2, s38 :: v_dual_mov_b32 v3, s39
	v_dual_mov_b32 v4, s42 :: v_dual_mov_b32 v5, s43
	;; [unrolled: 1-line block ×6, first 2 shown]
	s_add_u32 s8, s0, 0x50
	s_addc_u32 s9, s1, 0
	s_mov_b32 s12, s14
	s_mov_b32 s13, s15
	s_getpc_b64 s[4:5]
	s_add_u32 s4, s4, _ZN7rocprim17ROCPRIM_400000_NS6detail40segmented_radix_sort_single_block_helperIalLj256ELj8ELb0EE4sortIPKaPaPKlPlEEbT_T0_T1_T2_jjjjRNS3_12storage_typeE@rel32@lo+4
	s_addc_u32 s5, s5, _ZN7rocprim17ROCPRIM_400000_NS6detail40segmented_radix_sort_single_block_helperIalLj256ELj8ELb0EE4sortIPKaPaPKlPlEEbT_T0_T1_T2_jjjjRNS3_12storage_typeE@rel32@hi+12
	s_mov_b64 s[26:27], s[0:1]
	s_mov_b32 s48, s15
	s_mov_b32 s35, s14
	s_swappc_b64 s[30:31], s[4:5]
	v_mov_b32_e32 v0, v40
	s_mov_b32 s14, s35
	s_mov_b32 s15, s48
	s_mov_b64 s[0:1], s[26:27]
.LBB430_14:
	s_mov_b32 s2, 0
.LBB430_15:
	s_delay_alu instid0(SALU_CYCLE_1)
	s_and_not1_b32 vcc_lo, exec_lo, s2
	s_cbranch_vccnz .LBB430_686
; %bb.16:
	s_cmp_ge_u32 s49, s50
	s_cbranch_scc1 .LBB430_686
; %bb.17:
	v_dual_mov_b32 v66, 1 :: v_dual_and_b32 v1, 0x3ff, v0
	v_mov_b32_e32 v3, 0
	v_mbcnt_lo_u32_b32 v63, -1, 0
	v_bfe_u32 v45, v0, 20, 10
	s_delay_alu instid0(VALU_DEP_4) | instskip(SKIP_4) | instid1(VALU_DEP_4)
	v_lshlrev_b32_e32 v28, 2, v1
	v_lshrrev_b32_e32 v2, 3, v1
	v_or_b32_e32 v4, 31, v1
	v_lshlrev_b32_e32 v5, 5, v1
	v_add_co_u32 v33, s2, s40, v1
	v_and_b32_e32 v38, 28, v2
	v_lshlrev_b32_e32 v2, 3, v1
	v_cmp_eq_u32_e64 s3, v4, v1
	v_add_nc_u32_e32 v4, 1, v1
	v_sub_nc_u32_e32 v48, 0, v5
	v_mad_u32_u24 v40, v1, 12, v28
	v_and_b32_e32 v44, 0x700, v2
	v_mul_u32_u24_e32 v2, 9, v1
	v_cmp_ne_u32_e64 s7, 0x100, v4
	v_or_b32_e32 v29, 0x100, v1
	v_or_b32_e32 v30, 0x200, v1
	v_lshlrev_b32_e32 v5, 3, v44
	v_lshl_add_u32 v47, v2, 2, 0x420
	v_mul_u32_u24_e32 v2, 9, v4
	v_or_b32_e32 v31, 0x300, v1
	v_and_b32_e32 v32, 3, v1
	v_add_co_u32 v50, s8, s46, v5
	s_delay_alu instid0(VALU_DEP_4) | instskip(SKIP_2) | instid1(VALU_DEP_1)
	v_lshlrev_b32_e32 v49, 2, v2
	v_add_co_ci_u32_e64 v51, null, s47, 0, s8
	v_add_co_u32 v2, s8, s40, v44
	v_add_co_ci_u32_e64 v4, null, s41, 0, s8
	v_add_co_u32 v53, s8, s38, v1
	s_delay_alu instid0(VALU_DEP_1) | instskip(SKIP_1) | instid1(VALU_DEP_1)
	v_add_co_ci_u32_e64 v54, null, s39, 0, s8
	v_add_co_u32 v55, s8, s44, v5
	v_add_co_ci_u32_e64 v56, null, s45, 0, s8
	v_add_co_u32 v57, s8, s38, v44
	s_delay_alu instid0(VALU_DEP_1) | instskip(SKIP_1) | instid1(VALU_DEP_1)
	v_add_co_ci_u32_e64 v58, null, s39, 0, s8
	v_add_co_u32 v59, s8, s36, v1
	v_add_co_ci_u32_e64 v60, null, s37, 0, s8
	v_add_co_u32 v61, s8, s42, v5
	s_delay_alu instid0(VALU_DEP_1)
	v_add_co_ci_u32_e64 v62, null, s43, 0, s8
	v_add_co_u32 v64, s8, s36, v44
	v_add_co_u32 v67, vcc_lo, v2, v63
	v_add_co_ci_u32_e64 v34, null, s41, 0, s2
	v_or_b32_e32 v35, 0x400, v1
	v_or_b32_e32 v36, 0x500, v1
	;; [unrolled: 1-line block ×4, first 2 shown]
	v_cmp_gt_u32_e64 s2, 0x100, v1
	v_or_b32_e32 v41, 0x4400, v38
	v_cmp_gt_u32_e64 s4, 8, v1
	v_add_nc_u32_e32 v42, 0x4400, v28
	v_cmp_lt_u32_e64 s5, 31, v1
	v_add_nc_u32_e32 v43, 0x43fc, v38
	v_bfe_u32 v0, v0, 10, 10
	v_mad_u32_u24 v46, v1, 20, v40
	v_cmp_eq_u32_e64 s6, 0, v1
	v_mul_u32_u24_e32 v52, 7, v1
	v_add_co_ci_u32_e64 v65, null, s37, 0, s8
	v_add_co_ci_u32_e32 v68, vcc_lo, 0, v4, vcc_lo
	s_add_u32 s26, s0, 0x50
	s_mov_b32 s25, 0
	s_addc_u32 s27, s1, 0
	s_mov_b32 s30, s49
	s_branch .LBB430_20
.LBB430_18:                             ;   in Loop: Header=BB430_20 Depth=1
	s_waitcnt lgkmcnt(0)
	s_barrier
.LBB430_19:                             ;   in Loop: Header=BB430_20 Depth=1
	s_add_i32 s30, s30, 8
	buffer_gl0_inv
	s_cmp_ge_u32 s30, s50
	s_cbranch_scc1 .LBB430_686
.LBB430_20:                             ; =>This Loop Header: Depth=1
                                        ;     Child Loop BB430_24 Depth 2
                                        ;     Child Loop BB430_74 Depth 2
	;; [unrolled: 1-line block ×8, first 2 shown]
	s_sub_i32 s0, s50, s30
	s_xor_b32 s33, s33, -1
	s_min_u32 s0, s0, 8
	ds_store_2addr_stride64_b32 v28, v3, v3 offset1:4
	s_lshl_b32 s0, -1, s0
	ds_store_2addr_stride64_b32 v28, v3, v3 offset0:8 offset1:12
	s_not_b32 s31, s0
	s_cmp_lg_u32 s30, s49
	s_mov_b32 s0, -1
	s_waitcnt lgkmcnt(0)
	s_waitcnt_vscnt null, 0x0
	s_cbranch_scc0 .LBB430_354
; %bb.21:                               ;   in Loop: Header=BB430_20 Depth=1
	s_and_b32 vcc_lo, exec_lo, s33
	s_cbranch_vccz .LBB430_187
; %bb.22:                               ;   in Loop: Header=BB430_20 Depth=1
	s_mov_b32 s0, s34
	s_mov_b32 s9, s28
	s_barrier
	buffer_gl0_inv
                                        ; implicit-def: $vgpr2
                                        ; implicit-def: $vgpr6
                                        ; implicit-def: $vgpr7
                                        ; implicit-def: $vgpr8
                                        ; implicit-def: $vgpr9
                                        ; implicit-def: $vgpr10
                                        ; implicit-def: $vgpr11
                                        ; implicit-def: $vgpr12
	s_branch .LBB430_24
.LBB430_23:                             ;   in Loop: Header=BB430_24 Depth=2
	s_or_b32 exec_lo, exec_lo, s8
	s_addk_i32 s0, 0xf800
	s_cmp_ge_u32 s1, s29
	s_mov_b32 s9, s1
	s_cbranch_scc1 .LBB430_62
.LBB430_24:                             ;   Parent Loop BB430_20 Depth=1
                                        ; =>  This Inner Loop Header: Depth=2
	s_add_i32 s1, s9, 0x800
	s_delay_alu instid0(SALU_CYCLE_1)
	s_cmp_gt_u32 s1, s29
	s_cbranch_scc1 .LBB430_27
; %bb.25:                               ;   in Loop: Header=BB430_24 Depth=2
	v_add_co_u32 v4, vcc_lo, v33, s9
	v_add_co_ci_u32_e32 v5, vcc_lo, 0, v34, vcc_lo
	s_mov_b32 s8, -1
	s_movk_i32 s12, 0x800
	s_clause 0x6
	global_load_u8 v20, v[4:5], off offset:1536
	global_load_u8 v19, v[4:5], off offset:1280
	;; [unrolled: 1-line block ×6, first 2 shown]
	global_load_u8 v14, v[4:5], off
	v_add_co_u32 v4, vcc_lo, 0x700, v4
	v_add_co_ci_u32_e32 v5, vcc_lo, 0, v5, vcc_lo
	s_cbranch_execz .LBB430_28
; %bb.26:                               ;   in Loop: Header=BB430_24 Depth=2
                                        ; implicit-def: $vgpr2
                                        ; implicit-def: $vgpr6
                                        ; implicit-def: $vgpr7
                                        ; implicit-def: $vgpr8
                                        ; implicit-def: $vgpr9
                                        ; implicit-def: $vgpr10
                                        ; implicit-def: $vgpr11
                                        ; implicit-def: $vgpr12
	v_mov_b32_e32 v13, s0
	s_and_saveexec_b32 s9, s8
	s_cbranch_execnz .LBB430_39
	s_branch .LBB430_40
.LBB430_27:                             ;   in Loop: Header=BB430_24 Depth=2
	s_mov_b32 s8, 0
                                        ; implicit-def: $sgpr12
                                        ; implicit-def: $vgpr14
                                        ; implicit-def: $vgpr15
                                        ; implicit-def: $vgpr16
                                        ; implicit-def: $vgpr17
                                        ; implicit-def: $vgpr18
                                        ; implicit-def: $vgpr19
                                        ; implicit-def: $vgpr20
                                        ; implicit-def: $vgpr4_vgpr5
.LBB430_28:                             ;   in Loop: Header=BB430_24 Depth=2
	s_add_u32 s10, s40, s9
	s_addc_u32 s11, s41, 0
	s_mov_b32 s12, exec_lo
	v_cmpx_gt_u32_e64 s0, v1
	s_cbranch_execz .LBB430_56
; %bb.29:                               ;   in Loop: Header=BB430_24 Depth=2
	v_add_co_u32 v4, s13, s10, v1
	s_delay_alu instid0(VALU_DEP_1) | instskip(SKIP_2) | instid1(SALU_CYCLE_1)
	v_add_co_ci_u32_e64 v5, null, s11, 0, s13
	global_load_u8 v2, v[4:5], off
	s_or_b32 exec_lo, exec_lo, s12
	s_mov_b32 s12, exec_lo
	v_cmpx_gt_u32_e64 s0, v29
	s_cbranch_execnz .LBB430_57
.LBB430_30:                             ;   in Loop: Header=BB430_24 Depth=2
	s_or_b32 exec_lo, exec_lo, s12
	s_delay_alu instid0(SALU_CYCLE_1)
	s_mov_b32 s12, exec_lo
	v_cmpx_gt_u32_e64 s0, v30
	s_cbranch_execz .LBB430_58
.LBB430_31:                             ;   in Loop: Header=BB430_24 Depth=2
	v_add_co_u32 v4, s13, s10, v1
	s_delay_alu instid0(VALU_DEP_1) | instskip(SKIP_2) | instid1(SALU_CYCLE_1)
	v_add_co_ci_u32_e64 v5, null, s11, 0, s13
	global_load_u8 v7, v[4:5], off offset:512
	s_or_b32 exec_lo, exec_lo, s12
	s_mov_b32 s12, exec_lo
	v_cmpx_gt_u32_e64 s0, v31
	s_cbranch_execnz .LBB430_59
.LBB430_32:                             ;   in Loop: Header=BB430_24 Depth=2
	s_or_b32 exec_lo, exec_lo, s12
	s_delay_alu instid0(SALU_CYCLE_1)
	s_mov_b32 s12, exec_lo
	v_cmpx_gt_u32_e64 s0, v35
	s_cbranch_execz .LBB430_60
.LBB430_33:                             ;   in Loop: Header=BB430_24 Depth=2
	v_add_co_u32 v4, s13, s10, v1
	s_delay_alu instid0(VALU_DEP_1) | instskip(SKIP_2) | instid1(SALU_CYCLE_1)
	v_add_co_ci_u32_e64 v5, null, s11, 0, s13
	global_load_u8 v9, v[4:5], off offset:1024
	s_or_b32 exec_lo, exec_lo, s12
	s_mov_b32 s12, exec_lo
	v_cmpx_gt_u32_e64 s0, v36
	s_cbranch_execnz .LBB430_61
.LBB430_34:                             ;   in Loop: Header=BB430_24 Depth=2
	s_or_b32 exec_lo, exec_lo, s12
	s_delay_alu instid0(SALU_CYCLE_1)
	s_mov_b32 s12, exec_lo
	v_cmpx_gt_u32_e64 s0, v37
	s_cbranch_execz .LBB430_36
.LBB430_35:                             ;   in Loop: Header=BB430_24 Depth=2
	v_add_co_u32 v4, s13, s10, v1
	s_delay_alu instid0(VALU_DEP_1)
	v_add_co_ci_u32_e64 v5, null, s11, 0, s13
	global_load_u8 v11, v[4:5], off offset:1536
.LBB430_36:                             ;   in Loop: Header=BB430_24 Depth=2
	s_or_b32 exec_lo, exec_lo, s12
	s_delay_alu instid0(SALU_CYCLE_1)
	s_mov_b32 s13, exec_lo
                                        ; implicit-def: $sgpr12
                                        ; implicit-def: $vgpr4_vgpr5
	v_cmpx_gt_u32_e64 s0, v39
; %bb.37:                               ;   in Loop: Header=BB430_24 Depth=2
	v_add_co_u32 v4, s10, s10, v1
	s_delay_alu instid0(VALU_DEP_1) | instskip(SKIP_1) | instid1(VALU_DEP_2)
	v_add_co_ci_u32_e64 v5, null, s11, 0, s10
	s_sub_i32 s12, s29, s9
	v_add_co_u32 v4, vcc_lo, 0x700, v4
	s_delay_alu instid0(VALU_DEP_2)
	v_add_co_ci_u32_e32 v5, vcc_lo, 0, v5, vcc_lo
	s_or_b32 s8, s8, exec_lo
                                        ; implicit-def: $vgpr12
; %bb.38:                               ;   in Loop: Header=BB430_24 Depth=2
	s_or_b32 exec_lo, exec_lo, s13
	s_waitcnt vmcnt(0)
	v_dual_mov_b32 v14, v2 :: v_dual_mov_b32 v17, v8
	v_dual_mov_b32 v15, v6 :: v_dual_mov_b32 v16, v7
	v_dual_mov_b32 v18, v9 :: v_dual_mov_b32 v19, v10
	v_dual_mov_b32 v20, v11 :: v_dual_mov_b32 v13, s0
	s_and_saveexec_b32 s9, s8
	s_cbranch_execz .LBB430_40
.LBB430_39:                             ;   in Loop: Header=BB430_24 Depth=2
	global_load_u8 v12, v[4:5], off
	s_waitcnt vmcnt(1)
	v_dual_mov_b32 v13, s12 :: v_dual_mov_b32 v2, v14
	v_dual_mov_b32 v6, v15 :: v_dual_mov_b32 v7, v16
	;; [unrolled: 1-line block ×4, first 2 shown]
.LBB430_40:                             ;   in Loop: Header=BB430_24 Depth=2
	s_or_b32 exec_lo, exec_lo, s9
	s_delay_alu instid0(SALU_CYCLE_1)
	s_mov_b32 s8, exec_lo
	v_cmpx_lt_u32_e64 v1, v13
	s_cbranch_execz .LBB430_48
; %bb.41:                               ;   in Loop: Header=BB430_24 Depth=2
	v_xor_b32_e32 v4, 0x80, v2
	v_lshlrev_b32_e32 v5, 2, v32
	s_delay_alu instid0(VALU_DEP_2) | instskip(NEXT) | instid1(VALU_DEP_1)
	v_and_b32_e32 v4, 0xff, v4
	v_lshrrev_b32_e32 v4, s30, v4
	s_delay_alu instid0(VALU_DEP_1) | instskip(NEXT) | instid1(VALU_DEP_1)
	v_and_b32_e32 v4, s31, v4
	v_lshl_or_b32 v4, v4, 4, v5
	ds_add_u32 v4, v66
	s_or_b32 exec_lo, exec_lo, s8
	s_delay_alu instid0(SALU_CYCLE_1)
	s_mov_b32 s8, exec_lo
	v_cmpx_lt_u32_e64 v29, v13
	s_cbranch_execnz .LBB430_49
.LBB430_42:                             ;   in Loop: Header=BB430_24 Depth=2
	s_or_b32 exec_lo, exec_lo, s8
	s_delay_alu instid0(SALU_CYCLE_1)
	s_mov_b32 s8, exec_lo
	v_cmpx_lt_u32_e64 v30, v13
	s_cbranch_execz .LBB430_50
.LBB430_43:                             ;   in Loop: Header=BB430_24 Depth=2
	v_xor_b32_e32 v4, 0x80, v7
	v_lshlrev_b32_e32 v5, 2, v32
	s_delay_alu instid0(VALU_DEP_2) | instskip(NEXT) | instid1(VALU_DEP_1)
	v_and_b32_e32 v4, 0xff, v4
	v_lshrrev_b32_e32 v4, s30, v4
	s_delay_alu instid0(VALU_DEP_1) | instskip(NEXT) | instid1(VALU_DEP_1)
	v_and_b32_e32 v4, s31, v4
	v_lshl_or_b32 v4, v4, 4, v5
	ds_add_u32 v4, v66
	s_or_b32 exec_lo, exec_lo, s8
	s_delay_alu instid0(SALU_CYCLE_1)
	s_mov_b32 s8, exec_lo
	v_cmpx_lt_u32_e64 v31, v13
	s_cbranch_execnz .LBB430_51
.LBB430_44:                             ;   in Loop: Header=BB430_24 Depth=2
	s_or_b32 exec_lo, exec_lo, s8
	s_delay_alu instid0(SALU_CYCLE_1)
	s_mov_b32 s8, exec_lo
	v_cmpx_lt_u32_e64 v35, v13
	s_cbranch_execz .LBB430_52
.LBB430_45:                             ;   in Loop: Header=BB430_24 Depth=2
	v_xor_b32_e32 v4, 0x80, v9
	v_lshlrev_b32_e32 v5, 2, v32
	s_delay_alu instid0(VALU_DEP_2) | instskip(NEXT) | instid1(VALU_DEP_1)
	v_and_b32_e32 v4, 0xff, v4
	v_lshrrev_b32_e32 v4, s30, v4
	s_delay_alu instid0(VALU_DEP_1) | instskip(NEXT) | instid1(VALU_DEP_1)
	v_and_b32_e32 v4, s31, v4
	v_lshl_or_b32 v4, v4, 4, v5
	ds_add_u32 v4, v66
	s_or_b32 exec_lo, exec_lo, s8
	s_delay_alu instid0(SALU_CYCLE_1)
	s_mov_b32 s8, exec_lo
	v_cmpx_lt_u32_e64 v36, v13
	s_cbranch_execnz .LBB430_53
.LBB430_46:                             ;   in Loop: Header=BB430_24 Depth=2
	s_or_b32 exec_lo, exec_lo, s8
	s_delay_alu instid0(SALU_CYCLE_1)
	s_mov_b32 s8, exec_lo
	v_cmpx_lt_u32_e64 v37, v13
	s_cbranch_execz .LBB430_54
.LBB430_47:                             ;   in Loop: Header=BB430_24 Depth=2
	v_xor_b32_e32 v4, 0x80, v11
	v_lshlrev_b32_e32 v5, 2, v32
	s_delay_alu instid0(VALU_DEP_2) | instskip(NEXT) | instid1(VALU_DEP_1)
	v_and_b32_e32 v4, 0xff, v4
	v_lshrrev_b32_e32 v4, s30, v4
	s_delay_alu instid0(VALU_DEP_1) | instskip(NEXT) | instid1(VALU_DEP_1)
	v_and_b32_e32 v4, s31, v4
	v_lshl_or_b32 v4, v4, 4, v5
	ds_add_u32 v4, v66
	s_or_b32 exec_lo, exec_lo, s8
	s_delay_alu instid0(SALU_CYCLE_1)
	s_mov_b32 s8, exec_lo
	v_cmpx_lt_u32_e64 v39, v13
	s_cbranch_execz .LBB430_23
	s_branch .LBB430_55
.LBB430_48:                             ;   in Loop: Header=BB430_24 Depth=2
	s_or_b32 exec_lo, exec_lo, s8
	s_delay_alu instid0(SALU_CYCLE_1)
	s_mov_b32 s8, exec_lo
	v_cmpx_lt_u32_e64 v29, v13
	s_cbranch_execz .LBB430_42
.LBB430_49:                             ;   in Loop: Header=BB430_24 Depth=2
	v_xor_b32_e32 v4, 0x80, v6
	v_lshlrev_b32_e32 v5, 2, v32
	s_delay_alu instid0(VALU_DEP_2) | instskip(NEXT) | instid1(VALU_DEP_1)
	v_and_b32_e32 v4, 0xff, v4
	v_lshrrev_b32_e32 v4, s30, v4
	s_delay_alu instid0(VALU_DEP_1) | instskip(NEXT) | instid1(VALU_DEP_1)
	v_and_b32_e32 v4, s31, v4
	v_lshl_or_b32 v4, v4, 4, v5
	ds_add_u32 v4, v66
	s_or_b32 exec_lo, exec_lo, s8
	s_delay_alu instid0(SALU_CYCLE_1)
	s_mov_b32 s8, exec_lo
	v_cmpx_lt_u32_e64 v30, v13
	s_cbranch_execnz .LBB430_43
.LBB430_50:                             ;   in Loop: Header=BB430_24 Depth=2
	s_or_b32 exec_lo, exec_lo, s8
	s_delay_alu instid0(SALU_CYCLE_1)
	s_mov_b32 s8, exec_lo
	v_cmpx_lt_u32_e64 v31, v13
	s_cbranch_execz .LBB430_44
.LBB430_51:                             ;   in Loop: Header=BB430_24 Depth=2
	v_xor_b32_e32 v4, 0x80, v8
	v_lshlrev_b32_e32 v5, 2, v32
	s_delay_alu instid0(VALU_DEP_2) | instskip(NEXT) | instid1(VALU_DEP_1)
	v_and_b32_e32 v4, 0xff, v4
	v_lshrrev_b32_e32 v4, s30, v4
	s_delay_alu instid0(VALU_DEP_1) | instskip(NEXT) | instid1(VALU_DEP_1)
	v_and_b32_e32 v4, s31, v4
	v_lshl_or_b32 v4, v4, 4, v5
	ds_add_u32 v4, v66
	s_or_b32 exec_lo, exec_lo, s8
	s_delay_alu instid0(SALU_CYCLE_1)
	s_mov_b32 s8, exec_lo
	v_cmpx_lt_u32_e64 v35, v13
	s_cbranch_execnz .LBB430_45
.LBB430_52:                             ;   in Loop: Header=BB430_24 Depth=2
	s_or_b32 exec_lo, exec_lo, s8
	s_delay_alu instid0(SALU_CYCLE_1)
	s_mov_b32 s8, exec_lo
	v_cmpx_lt_u32_e64 v36, v13
	s_cbranch_execz .LBB430_46
.LBB430_53:                             ;   in Loop: Header=BB430_24 Depth=2
	v_xor_b32_e32 v4, 0x80, v10
	v_lshlrev_b32_e32 v5, 2, v32
	s_delay_alu instid0(VALU_DEP_2) | instskip(NEXT) | instid1(VALU_DEP_1)
	v_and_b32_e32 v4, 0xff, v4
	v_lshrrev_b32_e32 v4, s30, v4
	s_delay_alu instid0(VALU_DEP_1) | instskip(NEXT) | instid1(VALU_DEP_1)
	v_and_b32_e32 v4, s31, v4
	v_lshl_or_b32 v4, v4, 4, v5
	ds_add_u32 v4, v66
	s_or_b32 exec_lo, exec_lo, s8
	s_delay_alu instid0(SALU_CYCLE_1)
	s_mov_b32 s8, exec_lo
	v_cmpx_lt_u32_e64 v37, v13
	s_cbranch_execnz .LBB430_47
.LBB430_54:                             ;   in Loop: Header=BB430_24 Depth=2
	s_or_b32 exec_lo, exec_lo, s8
	s_delay_alu instid0(SALU_CYCLE_1)
	s_mov_b32 s8, exec_lo
	v_cmpx_lt_u32_e64 v39, v13
	s_cbranch_execz .LBB430_23
.LBB430_55:                             ;   in Loop: Header=BB430_24 Depth=2
	s_waitcnt vmcnt(0)
	v_xor_b32_e32 v4, 0x80, v12
	v_lshlrev_b32_e32 v5, 2, v32
	s_delay_alu instid0(VALU_DEP_2) | instskip(NEXT) | instid1(VALU_DEP_1)
	v_and_b32_e32 v4, 0xff, v4
	v_lshrrev_b32_e32 v4, s30, v4
	s_delay_alu instid0(VALU_DEP_1) | instskip(NEXT) | instid1(VALU_DEP_1)
	v_and_b32_e32 v4, s31, v4
	v_lshl_or_b32 v4, v4, 4, v5
	ds_add_u32 v4, v66
	s_branch .LBB430_23
.LBB430_56:                             ;   in Loop: Header=BB430_24 Depth=2
	s_or_b32 exec_lo, exec_lo, s12
	s_delay_alu instid0(SALU_CYCLE_1)
	s_mov_b32 s12, exec_lo
	v_cmpx_gt_u32_e64 s0, v29
	s_cbranch_execz .LBB430_30
.LBB430_57:                             ;   in Loop: Header=BB430_24 Depth=2
	v_add_co_u32 v4, s13, s10, v1
	s_delay_alu instid0(VALU_DEP_1) | instskip(SKIP_2) | instid1(SALU_CYCLE_1)
	v_add_co_ci_u32_e64 v5, null, s11, 0, s13
	global_load_u8 v6, v[4:5], off offset:256
	s_or_b32 exec_lo, exec_lo, s12
	s_mov_b32 s12, exec_lo
	v_cmpx_gt_u32_e64 s0, v30
	s_cbranch_execnz .LBB430_31
.LBB430_58:                             ;   in Loop: Header=BB430_24 Depth=2
	s_or_b32 exec_lo, exec_lo, s12
	s_delay_alu instid0(SALU_CYCLE_1)
	s_mov_b32 s12, exec_lo
	v_cmpx_gt_u32_e64 s0, v31
	s_cbranch_execz .LBB430_32
.LBB430_59:                             ;   in Loop: Header=BB430_24 Depth=2
	v_add_co_u32 v4, s13, s10, v1
	s_delay_alu instid0(VALU_DEP_1) | instskip(SKIP_2) | instid1(SALU_CYCLE_1)
	v_add_co_ci_u32_e64 v5, null, s11, 0, s13
	global_load_u8 v8, v[4:5], off offset:768
	s_or_b32 exec_lo, exec_lo, s12
	s_mov_b32 s12, exec_lo
	v_cmpx_gt_u32_e64 s0, v35
	s_cbranch_execnz .LBB430_33
.LBB430_60:                             ;   in Loop: Header=BB430_24 Depth=2
	s_or_b32 exec_lo, exec_lo, s12
	s_delay_alu instid0(SALU_CYCLE_1)
	s_mov_b32 s12, exec_lo
	v_cmpx_gt_u32_e64 s0, v36
	s_cbranch_execz .LBB430_34
.LBB430_61:                             ;   in Loop: Header=BB430_24 Depth=2
	v_add_co_u32 v4, s13, s10, v1
	s_delay_alu instid0(VALU_DEP_1) | instskip(SKIP_2) | instid1(SALU_CYCLE_1)
	v_add_co_ci_u32_e64 v5, null, s11, 0, s13
	global_load_u8 v10, v[4:5], off offset:1280
	s_or_b32 exec_lo, exec_lo, s12
	s_mov_b32 s12, exec_lo
	v_cmpx_gt_u32_e64 s0, v37
	s_cbranch_execz .LBB430_36
	s_branch .LBB430_35
.LBB430_62:                             ;   in Loop: Header=BB430_20 Depth=1
	v_mov_b32_e32 v2, 0
	s_waitcnt vmcnt(0) lgkmcnt(0)
	s_barrier
	buffer_gl0_inv
	s_and_saveexec_b32 s0, s2
	s_cbranch_execz .LBB430_64
; %bb.63:                               ;   in Loop: Header=BB430_20 Depth=1
	ds_load_2addr_b64 v[4:7], v40 offset1:1
	s_waitcnt lgkmcnt(0)
	v_add_nc_u32_e32 v2, v5, v4
	s_delay_alu instid0(VALU_DEP_1)
	v_add3_u32 v2, v2, v6, v7
.LBB430_64:                             ;   in Loop: Header=BB430_20 Depth=1
	s_or_b32 exec_lo, exec_lo, s0
	v_and_b32_e32 v4, 15, v63
	s_delay_alu instid0(VALU_DEP_2) | instskip(SKIP_1) | instid1(VALU_DEP_3)
	v_mov_b32_dpp v5, v2 row_shr:1 row_mask:0xf bank_mask:0xf
	v_and_b32_e32 v6, 16, v63
	v_cmp_eq_u32_e64 s0, 0, v4
	v_cmp_lt_u32_e64 s1, 1, v4
	v_cmp_lt_u32_e64 s8, 3, v4
	;; [unrolled: 1-line block ×3, first 2 shown]
	v_cmp_eq_u32_e64 s10, 0, v6
	v_cndmask_b32_e64 v5, v5, 0, s0
	s_delay_alu instid0(VALU_DEP_1) | instskip(NEXT) | instid1(VALU_DEP_1)
	v_add_nc_u32_e32 v2, v5, v2
	v_mov_b32_dpp v5, v2 row_shr:2 row_mask:0xf bank_mask:0xf
	s_delay_alu instid0(VALU_DEP_1) | instskip(NEXT) | instid1(VALU_DEP_1)
	v_cndmask_b32_e64 v5, 0, v5, s1
	v_add_nc_u32_e32 v2, v2, v5
	s_delay_alu instid0(VALU_DEP_1) | instskip(NEXT) | instid1(VALU_DEP_1)
	v_mov_b32_dpp v5, v2 row_shr:4 row_mask:0xf bank_mask:0xf
	v_cndmask_b32_e64 v5, 0, v5, s8
	s_delay_alu instid0(VALU_DEP_1) | instskip(NEXT) | instid1(VALU_DEP_1)
	v_add_nc_u32_e32 v2, v2, v5
	v_mov_b32_dpp v5, v2 row_shr:8 row_mask:0xf bank_mask:0xf
	s_delay_alu instid0(VALU_DEP_1) | instskip(SKIP_1) | instid1(VALU_DEP_2)
	v_cndmask_b32_e64 v4, 0, v5, s9
	v_bfe_i32 v5, v63, 4, 1
	v_add_nc_u32_e32 v2, v2, v4
	ds_swizzle_b32 v4, v2 offset:swizzle(BROADCAST,32,15)
	s_waitcnt lgkmcnt(0)
	v_and_b32_e32 v4, v5, v4
	s_delay_alu instid0(VALU_DEP_1)
	v_add_nc_u32_e32 v4, v2, v4
	s_and_saveexec_b32 s11, s3
	s_cbranch_execz .LBB430_66
; %bb.65:                               ;   in Loop: Header=BB430_20 Depth=1
	ds_store_b32 v41, v4
.LBB430_66:                             ;   in Loop: Header=BB430_20 Depth=1
	s_or_b32 exec_lo, exec_lo, s11
	v_and_b32_e32 v2, 7, v63
	s_waitcnt lgkmcnt(0)
	s_barrier
	buffer_gl0_inv
	s_and_saveexec_b32 s11, s4
	s_cbranch_execz .LBB430_68
; %bb.67:                               ;   in Loop: Header=BB430_20 Depth=1
	ds_load_b32 v5, v42
	v_cmp_ne_u32_e32 vcc_lo, 0, v2
	s_waitcnt lgkmcnt(0)
	v_mov_b32_dpp v6, v5 row_shr:1 row_mask:0xf bank_mask:0xf
	s_delay_alu instid0(VALU_DEP_1) | instskip(SKIP_1) | instid1(VALU_DEP_2)
	v_cndmask_b32_e32 v6, 0, v6, vcc_lo
	v_cmp_lt_u32_e32 vcc_lo, 1, v2
	v_add_nc_u32_e32 v5, v6, v5
	s_delay_alu instid0(VALU_DEP_1) | instskip(NEXT) | instid1(VALU_DEP_1)
	v_mov_b32_dpp v6, v5 row_shr:2 row_mask:0xf bank_mask:0xf
	v_cndmask_b32_e32 v6, 0, v6, vcc_lo
	v_cmp_lt_u32_e32 vcc_lo, 3, v2
	s_delay_alu instid0(VALU_DEP_2) | instskip(NEXT) | instid1(VALU_DEP_1)
	v_add_nc_u32_e32 v5, v5, v6
	v_mov_b32_dpp v6, v5 row_shr:4 row_mask:0xf bank_mask:0xf
	s_delay_alu instid0(VALU_DEP_1) | instskip(NEXT) | instid1(VALU_DEP_1)
	v_cndmask_b32_e32 v6, 0, v6, vcc_lo
	v_add_nc_u32_e32 v5, v5, v6
	ds_store_b32 v42, v5
.LBB430_68:                             ;   in Loop: Header=BB430_20 Depth=1
	s_or_b32 exec_lo, exec_lo, s11
	v_mov_b32_e32 v5, 0
	s_waitcnt lgkmcnt(0)
	s_barrier
	buffer_gl0_inv
	s_and_saveexec_b32 s11, s5
	s_cbranch_execz .LBB430_70
; %bb.69:                               ;   in Loop: Header=BB430_20 Depth=1
	ds_load_b32 v5, v43
.LBB430_70:                             ;   in Loop: Header=BB430_20 Depth=1
	s_or_b32 exec_lo, exec_lo, s11
	v_add_nc_u32_e32 v6, -1, v63
	s_waitcnt lgkmcnt(0)
	v_add_nc_u32_e32 v4, v5, v4
	v_cmp_eq_u32_e64 s11, 0, v63
	s_barrier
	v_cmp_gt_i32_e32 vcc_lo, 0, v6
	buffer_gl0_inv
	v_cndmask_b32_e32 v6, v6, v63, vcc_lo
	s_delay_alu instid0(VALU_DEP_1)
	v_lshlrev_b32_e32 v69, 2, v6
	ds_bpermute_b32 v4, v69, v4
	s_and_saveexec_b32 s12, s2
	s_cbranch_execz .LBB430_72
; %bb.71:                               ;   in Loop: Header=BB430_20 Depth=1
	s_waitcnt lgkmcnt(0)
	v_cndmask_b32_e64 v4, v4, v5, s11
	s_delay_alu instid0(VALU_DEP_1)
	v_add_nc_u32_e32 v4, s28, v4
	ds_store_b32 v28, v4
.LBB430_72:                             ;   in Loop: Header=BB430_20 Depth=1
	s_or_b32 exec_lo, exec_lo, s12
	s_clause 0x1
	s_load_b32 s12, s[26:27], 0x4
	s_load_b32 s17, s[26:27], 0xc
	v_lshlrev_b32_e32 v5, 3, v63
	v_cmp_lt_u32_e64 s16, 3, v2
	v_or_b32_e32 v70, v63, v44
	s_mov_b32 s35, s34
	s_mov_b32 s24, s28
	v_add_co_u32 v71, vcc_lo, v50, v5
	v_add_co_ci_u32_e32 v72, vcc_lo, 0, v51, vcc_lo
	v_add_co_u32 v81, vcc_lo, 0xe0, v67
	v_or_b32_e32 v73, 32, v70
	v_or_b32_e32 v74, 64, v70
	;; [unrolled: 1-line block ×7, first 2 shown]
	s_waitcnt lgkmcnt(0)
	s_cmp_lt_u32 s15, s12
	v_add_co_ci_u32_e32 v82, vcc_lo, 0, v68, vcc_lo
	s_cselect_b32 s12, 14, 20
                                        ; implicit-def: $vgpr6_vgpr7
                                        ; implicit-def: $vgpr8_vgpr9
                                        ; implicit-def: $vgpr10_vgpr11
                                        ; implicit-def: $vgpr12_vgpr13
                                        ; implicit-def: $vgpr14_vgpr15
                                        ; implicit-def: $vgpr16_vgpr17
                                        ; implicit-def: $vgpr18_vgpr19
                                        ; implicit-def: $vgpr83
                                        ; implicit-def: $vgpr84
                                        ; implicit-def: $vgpr85
                                        ; implicit-def: $vgpr86
                                        ; implicit-def: $vgpr87
                                        ; implicit-def: $vgpr88
                                        ; implicit-def: $vgpr89
                                        ; implicit-def: $vgpr90
	s_delay_alu instid0(SALU_CYCLE_1)
	s_add_u32 s12, s26, s12
	s_addc_u32 s13, s27, 0
	s_and_b32 s17, s17, 0xffff
	global_load_u16 v4, v3, s[12:13]
	v_cmp_eq_u32_e64 s12, 0, v2
	v_cmp_lt_u32_e64 s13, 1, v2
	s_waitcnt vmcnt(0)
	v_mad_u32_u24 v2, v45, v4, v0
	s_delay_alu instid0(VALU_DEP_1) | instskip(NEXT) | instid1(VALU_DEP_1)
	v_mad_u64_u32 v[4:5], null, v2, s17, v[1:2]
	v_lshrrev_b32_e32 v80, 5, v4
                                        ; implicit-def: $vgpr4_vgpr5
	s_branch .LBB430_74
.LBB430_73:                             ;   in Loop: Header=BB430_74 Depth=2
	s_or_b32 exec_lo, exec_lo, s17
	s_addk_i32 s35, 0xf800
	s_cmp_lt_u32 s42, s29
	s_mov_b32 s24, s42
	s_cbranch_scc0 .LBB430_186
.LBB430_74:                             ;   Parent Loop BB430_20 Depth=1
                                        ; =>  This Inner Loop Header: Depth=2
	s_add_i32 s42, s24, 0x800
	s_delay_alu instid0(SALU_CYCLE_1)
	s_cmp_gt_u32 s42, s29
	s_cbranch_scc1 .LBB430_77
; %bb.75:                               ;   in Loop: Header=BB430_74 Depth=2
	v_add_co_u32 v20, vcc_lo, v67, s24
	v_add_co_ci_u32_e32 v21, vcc_lo, 0, v68, vcc_lo
	s_mov_b32 s19, 0
	s_mov_b32 s18, s24
	s_mov_b32 s20, -1
	s_clause 0x6
	global_load_u8 v23, v[20:21], off offset:192
	global_load_u8 v24, v[20:21], off offset:160
	;; [unrolled: 1-line block ×6, first 2 shown]
	global_load_u8 v91, v[20:21], off
	s_movk_i32 s17, 0x800
	s_cbranch_execz .LBB430_78
; %bb.76:                               ;   in Loop: Header=BB430_74 Depth=2
                                        ; implicit-def: $vgpr22
	v_mov_b32_e32 v2, s35
	s_and_saveexec_b32 s21, s20
	s_cbranch_execnz .LBB430_87
	s_branch .LBB430_88
.LBB430_77:                             ;   in Loop: Header=BB430_74 Depth=2
	s_mov_b32 s19, -1
	s_mov_b32 s20, 0
                                        ; implicit-def: $sgpr17
                                        ; implicit-def: $vgpr91
                                        ; implicit-def: $vgpr93
                                        ; implicit-def: $vgpr27
                                        ; implicit-def: $vgpr26
                                        ; implicit-def: $vgpr25
                                        ; implicit-def: $vgpr24
                                        ; implicit-def: $vgpr23
.LBB430_78:                             ;   in Loop: Header=BB430_74 Depth=2
	v_add_co_u32 v20, vcc_lo, v67, s24
	v_add_co_ci_u32_e32 v21, vcc_lo, 0, v68, vcc_lo
	s_waitcnt vmcnt(0)
	v_dual_mov_b32 v91, 0x7f :: v_dual_mov_b32 v22, 0x7f
	v_dual_mov_b32 v93, 0x7f :: v_dual_mov_b32 v26, 0x7f
	;; [unrolled: 1-line block ×3, first 2 shown]
	v_mov_b32_e32 v25, 0x7f
	v_mov_b32_e32 v23, 0x7f
	s_mov_b32 s17, exec_lo
	v_cmpx_gt_u32_e64 s35, v70
	s_cbranch_execz .LBB430_180
; %bb.79:                               ;   in Loop: Header=BB430_74 Depth=2
	global_load_u8 v91, v[20:21], off
	v_dual_mov_b32 v93, 0x7f :: v_dual_mov_b32 v26, 0x7f
	v_dual_mov_b32 v27, 0x7f :: v_dual_mov_b32 v24, 0x7f
	;; [unrolled: 1-line block ×3, first 2 shown]
	v_mov_b32_e32 v23, 0x7f
	s_or_b32 exec_lo, exec_lo, s17
	s_delay_alu instid0(SALU_CYCLE_1)
	s_mov_b32 s17, exec_lo
	v_cmpx_gt_u32_e64 s35, v73
	s_cbranch_execnz .LBB430_181
.LBB430_80:                             ;   in Loop: Header=BB430_74 Depth=2
	s_or_b32 exec_lo, exec_lo, s17
	s_delay_alu instid0(SALU_CYCLE_1)
	s_mov_b32 s17, exec_lo
	v_cmpx_gt_u32_e64 s35, v74
	s_cbranch_execz .LBB430_182
.LBB430_81:                             ;   in Loop: Header=BB430_74 Depth=2
	global_load_u8 v27, v[20:21], off offset:64
	s_or_b32 exec_lo, exec_lo, s17
	s_delay_alu instid0(SALU_CYCLE_1)
	s_mov_b32 s17, exec_lo
	v_cmpx_gt_u32_e64 s35, v75
	s_cbranch_execnz .LBB430_183
.LBB430_82:                             ;   in Loop: Header=BB430_74 Depth=2
	s_or_b32 exec_lo, exec_lo, s17
	s_delay_alu instid0(SALU_CYCLE_1)
	s_mov_b32 s17, exec_lo
	v_cmpx_gt_u32_e64 s35, v76
	s_cbranch_execz .LBB430_184
.LBB430_83:                             ;   in Loop: Header=BB430_74 Depth=2
	global_load_u8 v25, v[20:21], off offset:128
	s_or_b32 exec_lo, exec_lo, s17
	s_delay_alu instid0(SALU_CYCLE_1)
	s_mov_b32 s17, exec_lo
	v_cmpx_gt_u32_e64 s35, v77
	s_cbranch_execnz .LBB430_185
.LBB430_84:                             ;   in Loop: Header=BB430_74 Depth=2
	s_or_b32 exec_lo, exec_lo, s17
	s_delay_alu instid0(SALU_CYCLE_1)
	s_mov_b32 s17, exec_lo
	v_cmpx_gt_u32_e64 s35, v78
	s_cbranch_execz .LBB430_86
.LBB430_85:                             ;   in Loop: Header=BB430_74 Depth=2
	global_load_u8 v23, v[20:21], off offset:192
.LBB430_86:                             ;   in Loop: Header=BB430_74 Depth=2
	s_or_b32 exec_lo, exec_lo, s17
	v_cmp_gt_u32_e64 s20, s35, v79
	s_sub_i32 s17, s29, s24
	s_mov_b64 s[18:19], s[24:25]
	v_mov_b32_e32 v2, s35
	s_delay_alu instid0(VALU_DEP_2)
	s_and_saveexec_b32 s21, s20
	s_cbranch_execz .LBB430_88
.LBB430_87:                             ;   in Loop: Header=BB430_74 Depth=2
	v_add_co_u32 v20, vcc_lo, v81, s18
	v_add_co_ci_u32_e32 v21, vcc_lo, s19, v82, vcc_lo
	v_mov_b32_e32 v2, s17
	global_load_u8 v22, v[20:21], off
.LBB430_88:                             ;   in Loop: Header=BB430_74 Depth=2
	s_or_b32 exec_lo, exec_lo, s21
	s_waitcnt vmcnt(0)
	v_xor_b32_e32 v91, 0xffffff80, v91
	ds_store_b32 v46, v3 offset:1056
	ds_store_2addr_b32 v47, v3, v3 offset0:1 offset1:2
	ds_store_2addr_b32 v47, v3, v3 offset0:3 offset1:4
	;; [unrolled: 1-line block ×4, first 2 shown]
	s_waitcnt lgkmcnt(0)
	s_barrier
	v_and_b32_e32 v20, 0xff, v91
	buffer_gl0_inv
	; wave barrier
	v_lshrrev_b32_e32 v20, s30, v20
	s_delay_alu instid0(VALU_DEP_1) | instskip(NEXT) | instid1(VALU_DEP_1)
	v_and_b32_e32 v21, s31, v20
	v_and_b32_e32 v20, 1, v21
	v_lshlrev_b32_e32 v92, 30, v21
	v_lshlrev_b32_e32 v94, 29, v21
	;; [unrolled: 1-line block ×4, first 2 shown]
	v_add_co_u32 v20, s17, v20, -1
	s_delay_alu instid0(VALU_DEP_1)
	v_cndmask_b32_e64 v96, 0, 1, s17
	v_not_b32_e32 v100, v92
	v_cmp_gt_i32_e64 s17, 0, v92
	v_not_b32_e32 v92, v94
	v_lshlrev_b32_e32 v98, 26, v21
	v_cmp_ne_u32_e32 vcc_lo, 0, v96
	v_ashrrev_i32_e32 v100, 31, v100
	v_lshlrev_b32_e32 v99, 25, v21
	v_ashrrev_i32_e32 v92, 31, v92
	v_lshlrev_b32_e32 v96, 24, v21
	v_xor_b32_e32 v20, vcc_lo, v20
	v_cmp_gt_i32_e32 vcc_lo, 0, v94
	v_not_b32_e32 v94, v95
	v_xor_b32_e32 v100, s17, v100
	v_cmp_gt_i32_e64 s17, 0, v95
	v_and_b32_e32 v20, exec_lo, v20
	v_not_b32_e32 v95, v97
	v_ashrrev_i32_e32 v94, 31, v94
	v_xor_b32_e32 v92, vcc_lo, v92
	v_cmp_gt_i32_e32 vcc_lo, 0, v97
	v_and_b32_e32 v20, v20, v100
	v_not_b32_e32 v97, v98
	v_ashrrev_i32_e32 v95, 31, v95
	v_xor_b32_e32 v94, s17, v94
	v_cmp_gt_i32_e64 s17, 0, v98
	v_and_b32_e32 v20, v20, v92
	v_not_b32_e32 v92, v99
	v_ashrrev_i32_e32 v97, 31, v97
	v_xor_b32_e32 v95, vcc_lo, v95
	v_cmp_gt_i32_e32 vcc_lo, 0, v99
	v_and_b32_e32 v20, v20, v94
	v_not_b32_e32 v94, v96
	v_ashrrev_i32_e32 v92, 31, v92
	v_xor_b32_e32 v97, s17, v97
	v_cmp_gt_i32_e64 s17, 0, v96
	v_and_b32_e32 v20, v20, v95
	v_ashrrev_i32_e32 v94, 31, v94
	v_xor_b32_e32 v92, vcc_lo, v92
	v_mad_u32_u24 v21, v21, 9, v80
	s_delay_alu instid0(VALU_DEP_4) | instskip(NEXT) | instid1(VALU_DEP_4)
	v_and_b32_e32 v20, v20, v97
	v_xor_b32_e32 v94, s17, v94
	s_delay_alu instid0(VALU_DEP_2) | instskip(NEXT) | instid1(VALU_DEP_1)
	v_and_b32_e32 v20, v20, v92
	v_and_b32_e32 v20, v20, v94
	v_lshl_add_u32 v94, v21, 2, 0x420
	s_delay_alu instid0(VALU_DEP_2) | instskip(SKIP_1) | instid1(VALU_DEP_2)
	v_mbcnt_lo_u32_b32 v92, v20, 0
	v_cmp_ne_u32_e64 s17, 0, v20
	v_cmp_eq_u32_e32 vcc_lo, 0, v92
	s_delay_alu instid0(VALU_DEP_2) | instskip(NEXT) | instid1(SALU_CYCLE_1)
	s_and_b32 s18, s17, vcc_lo
	s_and_saveexec_b32 s17, s18
	s_cbranch_execz .LBB430_90
; %bb.89:                               ;   in Loop: Header=BB430_74 Depth=2
	v_bcnt_u32_b32 v20, v20, 0
	ds_store_b32 v94, v20
.LBB430_90:                             ;   in Loop: Header=BB430_74 Depth=2
	s_or_b32 exec_lo, exec_lo, s17
	v_xor_b32_e32 v93, 0xffffff80, v93
	; wave barrier
	s_delay_alu instid0(VALU_DEP_1) | instskip(NEXT) | instid1(VALU_DEP_1)
	v_and_b32_e32 v20, 0xff, v93
	v_lshrrev_b32_e32 v20, s30, v20
	s_delay_alu instid0(VALU_DEP_1) | instskip(NEXT) | instid1(VALU_DEP_1)
	v_and_b32_e32 v20, s31, v20
	v_and_b32_e32 v21, 1, v20
	v_lshlrev_b32_e32 v95, 30, v20
	v_lshlrev_b32_e32 v96, 29, v20
	;; [unrolled: 1-line block ×4, first 2 shown]
	v_add_co_u32 v21, s17, v21, -1
	s_delay_alu instid0(VALU_DEP_1)
	v_cndmask_b32_e64 v98, 0, 1, s17
	v_not_b32_e32 v102, v95
	v_cmp_gt_i32_e64 s17, 0, v95
	v_not_b32_e32 v95, v96
	v_lshlrev_b32_e32 v100, 26, v20
	v_cmp_ne_u32_e32 vcc_lo, 0, v98
	v_ashrrev_i32_e32 v102, 31, v102
	v_lshlrev_b32_e32 v101, 25, v20
	v_ashrrev_i32_e32 v95, 31, v95
	v_lshlrev_b32_e32 v98, 24, v20
	v_xor_b32_e32 v21, vcc_lo, v21
	v_cmp_gt_i32_e32 vcc_lo, 0, v96
	v_not_b32_e32 v96, v97
	v_xor_b32_e32 v102, s17, v102
	v_cmp_gt_i32_e64 s17, 0, v97
	v_and_b32_e32 v21, exec_lo, v21
	v_not_b32_e32 v97, v99
	v_ashrrev_i32_e32 v96, 31, v96
	v_xor_b32_e32 v95, vcc_lo, v95
	v_cmp_gt_i32_e32 vcc_lo, 0, v99
	v_and_b32_e32 v21, v21, v102
	v_not_b32_e32 v99, v100
	v_ashrrev_i32_e32 v97, 31, v97
	v_xor_b32_e32 v96, s17, v96
	v_cmp_gt_i32_e64 s17, 0, v100
	v_and_b32_e32 v21, v21, v95
	v_not_b32_e32 v95, v101
	v_ashrrev_i32_e32 v99, 31, v99
	v_xor_b32_e32 v97, vcc_lo, v97
	v_cmp_gt_i32_e32 vcc_lo, 0, v101
	v_and_b32_e32 v21, v21, v96
	v_not_b32_e32 v96, v98
	v_ashrrev_i32_e32 v95, 31, v95
	v_xor_b32_e32 v99, s17, v99
	v_mul_u32_u24_e32 v20, 9, v20
	v_and_b32_e32 v21, v21, v97
	v_cmp_gt_i32_e64 s17, 0, v98
	v_ashrrev_i32_e32 v96, 31, v96
	v_xor_b32_e32 v95, vcc_lo, v95
	v_add_lshl_u32 v97, v20, v80, 2
	v_and_b32_e32 v21, v21, v99
	s_delay_alu instid0(VALU_DEP_4) | instskip(NEXT) | instid1(VALU_DEP_3)
	v_xor_b32_e32 v20, s17, v96
	v_add_nc_u32_e32 v98, 0x420, v97
	s_delay_alu instid0(VALU_DEP_3) | instskip(SKIP_2) | instid1(VALU_DEP_1)
	v_and_b32_e32 v21, v21, v95
	ds_load_b32 v95, v97 offset:1056
	; wave barrier
	v_and_b32_e32 v20, v21, v20
	v_mbcnt_lo_u32_b32 v96, v20, 0
	v_cmp_ne_u32_e64 s17, 0, v20
	s_delay_alu instid0(VALU_DEP_2) | instskip(NEXT) | instid1(VALU_DEP_2)
	v_cmp_eq_u32_e32 vcc_lo, 0, v96
	s_and_b32 s18, s17, vcc_lo
	s_delay_alu instid0(SALU_CYCLE_1)
	s_and_saveexec_b32 s17, s18
	s_cbranch_execz .LBB430_92
; %bb.91:                               ;   in Loop: Header=BB430_74 Depth=2
	s_waitcnt lgkmcnt(0)
	v_bcnt_u32_b32 v20, v20, v95
	ds_store_b32 v98, v20
.LBB430_92:                             ;   in Loop: Header=BB430_74 Depth=2
	s_or_b32 exec_lo, exec_lo, s17
	v_xor_b32_e32 v97, 0xffffff80, v27
	; wave barrier
	s_delay_alu instid0(VALU_DEP_1) | instskip(NEXT) | instid1(VALU_DEP_1)
	v_and_b32_e32 v20, 0xff, v97
	v_lshrrev_b32_e32 v20, s30, v20
	s_delay_alu instid0(VALU_DEP_1) | instskip(NEXT) | instid1(VALU_DEP_1)
	v_and_b32_e32 v20, s31, v20
	v_and_b32_e32 v21, 1, v20
	v_lshlrev_b32_e32 v27, 30, v20
	v_lshlrev_b32_e32 v99, 29, v20
	;; [unrolled: 1-line block ×4, first 2 shown]
	v_add_co_u32 v21, s17, v21, -1
	s_delay_alu instid0(VALU_DEP_1)
	v_cndmask_b32_e64 v101, 0, 1, s17
	v_not_b32_e32 v105, v27
	v_cmp_gt_i32_e64 s17, 0, v27
	v_not_b32_e32 v27, v99
	v_lshlrev_b32_e32 v103, 26, v20
	v_cmp_ne_u32_e32 vcc_lo, 0, v101
	v_ashrrev_i32_e32 v105, 31, v105
	v_lshlrev_b32_e32 v104, 25, v20
	v_ashrrev_i32_e32 v27, 31, v27
	v_lshlrev_b32_e32 v101, 24, v20
	v_xor_b32_e32 v21, vcc_lo, v21
	v_cmp_gt_i32_e32 vcc_lo, 0, v99
	v_not_b32_e32 v99, v100
	v_xor_b32_e32 v105, s17, v105
	v_cmp_gt_i32_e64 s17, 0, v100
	v_and_b32_e32 v21, exec_lo, v21
	v_not_b32_e32 v100, v102
	v_ashrrev_i32_e32 v99, 31, v99
	v_xor_b32_e32 v27, vcc_lo, v27
	v_cmp_gt_i32_e32 vcc_lo, 0, v102
	v_and_b32_e32 v21, v21, v105
	v_not_b32_e32 v102, v103
	v_ashrrev_i32_e32 v100, 31, v100
	v_xor_b32_e32 v99, s17, v99
	v_cmp_gt_i32_e64 s17, 0, v103
	v_and_b32_e32 v21, v21, v27
	v_not_b32_e32 v27, v104
	v_ashrrev_i32_e32 v102, 31, v102
	v_xor_b32_e32 v100, vcc_lo, v100
	v_cmp_gt_i32_e32 vcc_lo, 0, v104
	v_and_b32_e32 v21, v21, v99
	v_not_b32_e32 v99, v101
	v_ashrrev_i32_e32 v27, 31, v27
	v_xor_b32_e32 v102, s17, v102
	v_mul_u32_u24_e32 v20, 9, v20
	v_and_b32_e32 v21, v21, v100
	v_cmp_gt_i32_e64 s17, 0, v101
	v_ashrrev_i32_e32 v99, 31, v99
	v_xor_b32_e32 v27, vcc_lo, v27
	v_add_lshl_u32 v101, v20, v80, 2
	v_and_b32_e32 v21, v21, v102
	s_delay_alu instid0(VALU_DEP_4) | instskip(SKIP_3) | instid1(VALU_DEP_2)
	v_xor_b32_e32 v20, s17, v99
	ds_load_b32 v99, v101 offset:1056
	v_and_b32_e32 v21, v21, v27
	v_add_nc_u32_e32 v102, 0x420, v101
	; wave barrier
	v_and_b32_e32 v20, v21, v20
	s_delay_alu instid0(VALU_DEP_1) | instskip(SKIP_1) | instid1(VALU_DEP_2)
	v_mbcnt_lo_u32_b32 v100, v20, 0
	v_cmp_ne_u32_e64 s17, 0, v20
	v_cmp_eq_u32_e32 vcc_lo, 0, v100
	s_delay_alu instid0(VALU_DEP_2) | instskip(NEXT) | instid1(SALU_CYCLE_1)
	s_and_b32 s18, s17, vcc_lo
	s_and_saveexec_b32 s17, s18
	s_cbranch_execz .LBB430_94
; %bb.93:                               ;   in Loop: Header=BB430_74 Depth=2
	s_waitcnt lgkmcnt(0)
	v_bcnt_u32_b32 v20, v20, v99
	ds_store_b32 v102, v20
.LBB430_94:                             ;   in Loop: Header=BB430_74 Depth=2
	s_or_b32 exec_lo, exec_lo, s17
	v_xor_b32_e32 v101, 0xffffff80, v26
	; wave barrier
	s_delay_alu instid0(VALU_DEP_1) | instskip(NEXT) | instid1(VALU_DEP_1)
	v_and_b32_e32 v20, 0xff, v101
	v_lshrrev_b32_e32 v20, s30, v20
	s_delay_alu instid0(VALU_DEP_1) | instskip(NEXT) | instid1(VALU_DEP_1)
	v_and_b32_e32 v20, s31, v20
	v_and_b32_e32 v21, 1, v20
	v_lshlrev_b32_e32 v26, 30, v20
	v_lshlrev_b32_e32 v27, 29, v20
	;; [unrolled: 1-line block ×4, first 2 shown]
	v_add_co_u32 v21, s17, v21, -1
	s_delay_alu instid0(VALU_DEP_1)
	v_cndmask_b32_e64 v104, 0, 1, s17
	v_not_b32_e32 v108, v26
	v_cmp_gt_i32_e64 s17, 0, v26
	v_not_b32_e32 v26, v27
	v_lshlrev_b32_e32 v106, 26, v20
	v_cmp_ne_u32_e32 vcc_lo, 0, v104
	v_ashrrev_i32_e32 v108, 31, v108
	v_lshlrev_b32_e32 v107, 25, v20
	v_ashrrev_i32_e32 v26, 31, v26
	v_lshlrev_b32_e32 v104, 24, v20
	v_xor_b32_e32 v21, vcc_lo, v21
	v_cmp_gt_i32_e32 vcc_lo, 0, v27
	v_not_b32_e32 v27, v103
	v_xor_b32_e32 v108, s17, v108
	v_cmp_gt_i32_e64 s17, 0, v103
	v_and_b32_e32 v21, exec_lo, v21
	v_not_b32_e32 v103, v105
	v_ashrrev_i32_e32 v27, 31, v27
	v_xor_b32_e32 v26, vcc_lo, v26
	v_cmp_gt_i32_e32 vcc_lo, 0, v105
	v_and_b32_e32 v21, v21, v108
	v_not_b32_e32 v105, v106
	v_ashrrev_i32_e32 v103, 31, v103
	v_xor_b32_e32 v27, s17, v27
	v_cmp_gt_i32_e64 s17, 0, v106
	v_and_b32_e32 v21, v21, v26
	v_not_b32_e32 v26, v107
	v_ashrrev_i32_e32 v105, 31, v105
	v_xor_b32_e32 v103, vcc_lo, v103
	v_cmp_gt_i32_e32 vcc_lo, 0, v107
	v_and_b32_e32 v21, v21, v27
	v_not_b32_e32 v27, v104
	v_ashrrev_i32_e32 v26, 31, v26
	v_xor_b32_e32 v105, s17, v105
	v_mul_u32_u24_e32 v20, 9, v20
	v_and_b32_e32 v21, v21, v103
	v_cmp_gt_i32_e64 s17, 0, v104
	v_ashrrev_i32_e32 v27, 31, v27
	v_xor_b32_e32 v26, vcc_lo, v26
	s_delay_alu instid0(VALU_DEP_4) | instskip(SKIP_1) | instid1(VALU_DEP_4)
	v_and_b32_e32 v21, v21, v105
	v_add_lshl_u32 v105, v20, v80, 2
	v_xor_b32_e32 v20, s17, v27
	s_delay_alu instid0(VALU_DEP_3) | instskip(SKIP_3) | instid1(VALU_DEP_1)
	v_and_b32_e32 v21, v21, v26
	ds_load_b32 v103, v105 offset:1056
	v_add_nc_u32_e32 v106, 0x420, v105
	; wave barrier
	v_and_b32_e32 v20, v21, v20
	v_mbcnt_lo_u32_b32 v104, v20, 0
	v_cmp_ne_u32_e64 s17, 0, v20
	s_delay_alu instid0(VALU_DEP_2) | instskip(NEXT) | instid1(VALU_DEP_2)
	v_cmp_eq_u32_e32 vcc_lo, 0, v104
	s_and_b32 s18, s17, vcc_lo
	s_delay_alu instid0(SALU_CYCLE_1)
	s_and_saveexec_b32 s17, s18
	s_cbranch_execz .LBB430_96
; %bb.95:                               ;   in Loop: Header=BB430_74 Depth=2
	s_waitcnt lgkmcnt(0)
	v_bcnt_u32_b32 v20, v20, v103
	ds_store_b32 v106, v20
.LBB430_96:                             ;   in Loop: Header=BB430_74 Depth=2
	s_or_b32 exec_lo, exec_lo, s17
	v_xor_b32_e32 v105, 0xffffff80, v25
	; wave barrier
	s_delay_alu instid0(VALU_DEP_1) | instskip(NEXT) | instid1(VALU_DEP_1)
	v_and_b32_e32 v20, 0xff, v105
	v_lshrrev_b32_e32 v20, s30, v20
	s_delay_alu instid0(VALU_DEP_1) | instskip(NEXT) | instid1(VALU_DEP_1)
	v_and_b32_e32 v20, s31, v20
	v_and_b32_e32 v21, 1, v20
	v_lshlrev_b32_e32 v25, 30, v20
	v_lshlrev_b32_e32 v26, 29, v20
	;; [unrolled: 1-line block ×4, first 2 shown]
	v_add_co_u32 v21, s17, v21, -1
	s_delay_alu instid0(VALU_DEP_1)
	v_cndmask_b32_e64 v107, 0, 1, s17
	v_not_b32_e32 v111, v25
	v_cmp_gt_i32_e64 s17, 0, v25
	v_not_b32_e32 v25, v26
	v_lshlrev_b32_e32 v109, 26, v20
	v_cmp_ne_u32_e32 vcc_lo, 0, v107
	v_ashrrev_i32_e32 v111, 31, v111
	v_lshlrev_b32_e32 v110, 25, v20
	v_ashrrev_i32_e32 v25, 31, v25
	v_lshlrev_b32_e32 v107, 24, v20
	v_xor_b32_e32 v21, vcc_lo, v21
	v_cmp_gt_i32_e32 vcc_lo, 0, v26
	v_not_b32_e32 v26, v27
	v_xor_b32_e32 v111, s17, v111
	v_cmp_gt_i32_e64 s17, 0, v27
	v_and_b32_e32 v21, exec_lo, v21
	v_not_b32_e32 v27, v108
	v_ashrrev_i32_e32 v26, 31, v26
	v_xor_b32_e32 v25, vcc_lo, v25
	v_cmp_gt_i32_e32 vcc_lo, 0, v108
	v_and_b32_e32 v21, v21, v111
	v_not_b32_e32 v108, v109
	v_ashrrev_i32_e32 v27, 31, v27
	v_xor_b32_e32 v26, s17, v26
	v_cmp_gt_i32_e64 s17, 0, v109
	v_and_b32_e32 v21, v21, v25
	v_not_b32_e32 v25, v110
	v_ashrrev_i32_e32 v108, 31, v108
	v_xor_b32_e32 v27, vcc_lo, v27
	v_cmp_gt_i32_e32 vcc_lo, 0, v110
	v_and_b32_e32 v21, v21, v26
	v_not_b32_e32 v26, v107
	v_ashrrev_i32_e32 v25, 31, v25
	v_xor_b32_e32 v108, s17, v108
	v_mul_u32_u24_e32 v20, 9, v20
	v_and_b32_e32 v21, v21, v27
	v_cmp_gt_i32_e64 s17, 0, v107
	v_ashrrev_i32_e32 v26, 31, v26
	v_xor_b32_e32 v25, vcc_lo, v25
	v_add_lshl_u32 v27, v20, v80, 2
	v_and_b32_e32 v21, v21, v108
	s_delay_alu instid0(VALU_DEP_4) | instskip(SKIP_3) | instid1(VALU_DEP_2)
	v_xor_b32_e32 v20, s17, v26
	ds_load_b32 v107, v27 offset:1056
	v_and_b32_e32 v21, v21, v25
	v_add_nc_u32_e32 v110, 0x420, v27
	; wave barrier
	v_and_b32_e32 v20, v21, v20
	s_delay_alu instid0(VALU_DEP_1) | instskip(SKIP_1) | instid1(VALU_DEP_2)
	v_mbcnt_lo_u32_b32 v108, v20, 0
	v_cmp_ne_u32_e64 s17, 0, v20
	v_cmp_eq_u32_e32 vcc_lo, 0, v108
	s_delay_alu instid0(VALU_DEP_2) | instskip(NEXT) | instid1(SALU_CYCLE_1)
	s_and_b32 s18, s17, vcc_lo
	s_and_saveexec_b32 s17, s18
	s_cbranch_execz .LBB430_98
; %bb.97:                               ;   in Loop: Header=BB430_74 Depth=2
	s_waitcnt lgkmcnt(0)
	v_bcnt_u32_b32 v20, v20, v107
	ds_store_b32 v110, v20
.LBB430_98:                             ;   in Loop: Header=BB430_74 Depth=2
	s_or_b32 exec_lo, exec_lo, s17
	v_xor_b32_e32 v109, 0xffffff80, v24
	; wave barrier
	s_delay_alu instid0(VALU_DEP_1) | instskip(NEXT) | instid1(VALU_DEP_1)
	v_and_b32_e32 v20, 0xff, v109
	v_lshrrev_b32_e32 v20, s30, v20
	s_delay_alu instid0(VALU_DEP_1) | instskip(NEXT) | instid1(VALU_DEP_1)
	v_and_b32_e32 v20, s31, v20
	v_and_b32_e32 v21, 1, v20
	v_lshlrev_b32_e32 v24, 30, v20
	v_lshlrev_b32_e32 v25, 29, v20
	;; [unrolled: 1-line block ×4, first 2 shown]
	v_add_co_u32 v21, s17, v21, -1
	s_delay_alu instid0(VALU_DEP_1)
	v_cndmask_b32_e64 v27, 0, 1, s17
	v_not_b32_e32 v114, v24
	v_cmp_gt_i32_e64 s17, 0, v24
	v_not_b32_e32 v24, v25
	v_lshlrev_b32_e32 v112, 26, v20
	v_cmp_ne_u32_e32 vcc_lo, 0, v27
	v_ashrrev_i32_e32 v114, 31, v114
	v_lshlrev_b32_e32 v113, 25, v20
	v_ashrrev_i32_e32 v24, 31, v24
	v_lshlrev_b32_e32 v27, 24, v20
	v_xor_b32_e32 v21, vcc_lo, v21
	v_cmp_gt_i32_e32 vcc_lo, 0, v25
	v_not_b32_e32 v25, v26
	v_xor_b32_e32 v114, s17, v114
	v_cmp_gt_i32_e64 s17, 0, v26
	v_and_b32_e32 v21, exec_lo, v21
	v_not_b32_e32 v26, v111
	v_ashrrev_i32_e32 v25, 31, v25
	v_xor_b32_e32 v24, vcc_lo, v24
	v_cmp_gt_i32_e32 vcc_lo, 0, v111
	v_and_b32_e32 v21, v21, v114
	v_not_b32_e32 v111, v112
	v_ashrrev_i32_e32 v26, 31, v26
	v_xor_b32_e32 v25, s17, v25
	v_cmp_gt_i32_e64 s17, 0, v112
	v_and_b32_e32 v21, v21, v24
	v_not_b32_e32 v24, v113
	v_ashrrev_i32_e32 v111, 31, v111
	v_xor_b32_e32 v26, vcc_lo, v26
	v_cmp_gt_i32_e32 vcc_lo, 0, v113
	v_and_b32_e32 v21, v21, v25
	v_not_b32_e32 v25, v27
	v_ashrrev_i32_e32 v24, 31, v24
	v_xor_b32_e32 v111, s17, v111
	v_mul_u32_u24_e32 v20, 9, v20
	v_and_b32_e32 v21, v21, v26
	v_cmp_gt_i32_e64 s17, 0, v27
	v_ashrrev_i32_e32 v25, 31, v25
	v_xor_b32_e32 v24, vcc_lo, v24
	v_add_lshl_u32 v26, v20, v80, 2
	v_and_b32_e32 v21, v21, v111
	s_delay_alu instid0(VALU_DEP_4) | instskip(SKIP_3) | instid1(VALU_DEP_2)
	v_xor_b32_e32 v20, s17, v25
	ds_load_b32 v111, v26 offset:1056
	v_and_b32_e32 v21, v21, v24
	v_add_nc_u32_e32 v114, 0x420, v26
	; wave barrier
	v_and_b32_e32 v20, v21, v20
	s_delay_alu instid0(VALU_DEP_1) | instskip(SKIP_1) | instid1(VALU_DEP_2)
	v_mbcnt_lo_u32_b32 v112, v20, 0
	v_cmp_ne_u32_e64 s17, 0, v20
	v_cmp_eq_u32_e32 vcc_lo, 0, v112
	s_delay_alu instid0(VALU_DEP_2) | instskip(NEXT) | instid1(SALU_CYCLE_1)
	s_and_b32 s18, s17, vcc_lo
	s_and_saveexec_b32 s17, s18
	s_cbranch_execz .LBB430_100
; %bb.99:                               ;   in Loop: Header=BB430_74 Depth=2
	s_waitcnt lgkmcnt(0)
	v_bcnt_u32_b32 v20, v20, v111
	ds_store_b32 v114, v20
.LBB430_100:                            ;   in Loop: Header=BB430_74 Depth=2
	s_or_b32 exec_lo, exec_lo, s17
	v_xor_b32_e32 v113, 0xffffff80, v23
	; wave barrier
	s_delay_alu instid0(VALU_DEP_1) | instskip(NEXT) | instid1(VALU_DEP_1)
	v_and_b32_e32 v20, 0xff, v113
	v_lshrrev_b32_e32 v20, s30, v20
	s_delay_alu instid0(VALU_DEP_1) | instskip(NEXT) | instid1(VALU_DEP_1)
	v_and_b32_e32 v20, s31, v20
	v_and_b32_e32 v21, 1, v20
	v_lshlrev_b32_e32 v23, 30, v20
	v_lshlrev_b32_e32 v24, 29, v20
	;; [unrolled: 1-line block ×4, first 2 shown]
	v_add_co_u32 v21, s17, v21, -1
	s_delay_alu instid0(VALU_DEP_1)
	v_cndmask_b32_e64 v26, 0, 1, s17
	v_not_b32_e32 v117, v23
	v_cmp_gt_i32_e64 s17, 0, v23
	v_not_b32_e32 v23, v24
	v_lshlrev_b32_e32 v115, 26, v20
	v_cmp_ne_u32_e32 vcc_lo, 0, v26
	v_ashrrev_i32_e32 v117, 31, v117
	v_lshlrev_b32_e32 v116, 25, v20
	v_ashrrev_i32_e32 v23, 31, v23
	v_lshlrev_b32_e32 v26, 24, v20
	v_xor_b32_e32 v21, vcc_lo, v21
	v_cmp_gt_i32_e32 vcc_lo, 0, v24
	v_not_b32_e32 v24, v25
	v_xor_b32_e32 v117, s17, v117
	v_cmp_gt_i32_e64 s17, 0, v25
	v_and_b32_e32 v21, exec_lo, v21
	v_not_b32_e32 v25, v27
	v_ashrrev_i32_e32 v24, 31, v24
	v_xor_b32_e32 v23, vcc_lo, v23
	v_cmp_gt_i32_e32 vcc_lo, 0, v27
	v_and_b32_e32 v21, v21, v117
	v_not_b32_e32 v27, v115
	v_ashrrev_i32_e32 v25, 31, v25
	v_xor_b32_e32 v24, s17, v24
	v_cmp_gt_i32_e64 s17, 0, v115
	v_and_b32_e32 v21, v21, v23
	v_not_b32_e32 v23, v116
	v_ashrrev_i32_e32 v27, 31, v27
	v_xor_b32_e32 v25, vcc_lo, v25
	v_cmp_gt_i32_e32 vcc_lo, 0, v116
	v_and_b32_e32 v21, v21, v24
	v_not_b32_e32 v24, v26
	v_ashrrev_i32_e32 v23, 31, v23
	v_xor_b32_e32 v27, s17, v27
	v_mul_u32_u24_e32 v20, 9, v20
	v_and_b32_e32 v21, v21, v25
	v_cmp_gt_i32_e64 s17, 0, v26
	v_ashrrev_i32_e32 v24, 31, v24
	v_xor_b32_e32 v23, vcc_lo, v23
	v_add_lshl_u32 v25, v20, v80, 2
	v_and_b32_e32 v21, v21, v27
	s_delay_alu instid0(VALU_DEP_4) | instskip(SKIP_3) | instid1(VALU_DEP_2)
	v_xor_b32_e32 v20, s17, v24
	ds_load_b32 v115, v25 offset:1056
	v_and_b32_e32 v21, v21, v23
	v_add_nc_u32_e32 v118, 0x420, v25
	; wave barrier
	v_and_b32_e32 v20, v21, v20
	s_delay_alu instid0(VALU_DEP_1) | instskip(SKIP_1) | instid1(VALU_DEP_2)
	v_mbcnt_lo_u32_b32 v116, v20, 0
	v_cmp_ne_u32_e64 s17, 0, v20
	v_cmp_eq_u32_e32 vcc_lo, 0, v116
	s_delay_alu instid0(VALU_DEP_2) | instskip(NEXT) | instid1(SALU_CYCLE_1)
	s_and_b32 s18, s17, vcc_lo
	s_and_saveexec_b32 s17, s18
	s_cbranch_execz .LBB430_102
; %bb.101:                              ;   in Loop: Header=BB430_74 Depth=2
	s_waitcnt lgkmcnt(0)
	v_bcnt_u32_b32 v20, v20, v115
	ds_store_b32 v118, v20
.LBB430_102:                            ;   in Loop: Header=BB430_74 Depth=2
	s_or_b32 exec_lo, exec_lo, s17
	v_xor_b32_e32 v117, 0xffffff80, v22
	; wave barrier
	s_delay_alu instid0(VALU_DEP_1) | instskip(NEXT) | instid1(VALU_DEP_1)
	v_and_b32_e32 v20, 0xff, v117
	v_lshrrev_b32_e32 v20, s30, v20
	s_delay_alu instid0(VALU_DEP_1) | instskip(NEXT) | instid1(VALU_DEP_1)
	v_and_b32_e32 v20, s31, v20
	v_and_b32_e32 v21, 1, v20
	v_lshlrev_b32_e32 v22, 30, v20
	v_lshlrev_b32_e32 v23, 29, v20
	;; [unrolled: 1-line block ×4, first 2 shown]
	v_add_co_u32 v21, s17, v21, -1
	s_delay_alu instid0(VALU_DEP_1)
	v_cndmask_b32_e64 v25, 0, 1, s17
	v_not_b32_e32 v120, v22
	v_cmp_gt_i32_e64 s17, 0, v22
	v_not_b32_e32 v22, v23
	v_lshlrev_b32_e32 v27, 26, v20
	v_cmp_ne_u32_e32 vcc_lo, 0, v25
	v_ashrrev_i32_e32 v120, 31, v120
	v_lshlrev_b32_e32 v119, 25, v20
	v_ashrrev_i32_e32 v22, 31, v22
	v_lshlrev_b32_e32 v25, 24, v20
	v_xor_b32_e32 v21, vcc_lo, v21
	v_cmp_gt_i32_e32 vcc_lo, 0, v23
	v_not_b32_e32 v23, v24
	v_xor_b32_e32 v120, s17, v120
	v_cmp_gt_i32_e64 s17, 0, v24
	v_and_b32_e32 v21, exec_lo, v21
	v_not_b32_e32 v24, v26
	v_ashrrev_i32_e32 v23, 31, v23
	v_xor_b32_e32 v22, vcc_lo, v22
	v_cmp_gt_i32_e32 vcc_lo, 0, v26
	v_and_b32_e32 v21, v21, v120
	v_not_b32_e32 v26, v27
	v_ashrrev_i32_e32 v24, 31, v24
	v_xor_b32_e32 v23, s17, v23
	v_cmp_gt_i32_e64 s17, 0, v27
	v_and_b32_e32 v21, v21, v22
	v_not_b32_e32 v22, v119
	v_ashrrev_i32_e32 v26, 31, v26
	v_xor_b32_e32 v24, vcc_lo, v24
	v_cmp_gt_i32_e32 vcc_lo, 0, v119
	v_and_b32_e32 v21, v21, v23
	v_not_b32_e32 v23, v25
	v_ashrrev_i32_e32 v22, 31, v22
	v_xor_b32_e32 v26, s17, v26
	v_mul_u32_u24_e32 v20, 9, v20
	v_and_b32_e32 v21, v21, v24
	v_cmp_gt_i32_e64 s17, 0, v25
	v_ashrrev_i32_e32 v23, 31, v23
	v_xor_b32_e32 v22, vcc_lo, v22
	v_add_lshl_u32 v24, v20, v80, 2
	v_and_b32_e32 v21, v21, v26
	s_delay_alu instid0(VALU_DEP_4) | instskip(SKIP_3) | instid1(VALU_DEP_2)
	v_xor_b32_e32 v20, s17, v23
	ds_load_b32 v119, v24 offset:1056
	v_and_b32_e32 v21, v21, v22
	v_add_nc_u32_e32 v121, 0x420, v24
	; wave barrier
	v_and_b32_e32 v20, v21, v20
	s_delay_alu instid0(VALU_DEP_1) | instskip(SKIP_1) | instid1(VALU_DEP_2)
	v_mbcnt_lo_u32_b32 v120, v20, 0
	v_cmp_ne_u32_e64 s17, 0, v20
	v_cmp_eq_u32_e32 vcc_lo, 0, v120
	s_delay_alu instid0(VALU_DEP_2) | instskip(NEXT) | instid1(SALU_CYCLE_1)
	s_and_b32 s18, s17, vcc_lo
	s_and_saveexec_b32 s17, s18
	s_cbranch_execz .LBB430_104
; %bb.103:                              ;   in Loop: Header=BB430_74 Depth=2
	s_waitcnt lgkmcnt(0)
	v_bcnt_u32_b32 v20, v20, v119
	ds_store_b32 v121, v20
.LBB430_104:                            ;   in Loop: Header=BB430_74 Depth=2
	s_or_b32 exec_lo, exec_lo, s17
	; wave barrier
	s_waitcnt lgkmcnt(0)
	s_barrier
	buffer_gl0_inv
	ds_load_b32 v122, v46 offset:1056
	ds_load_2addr_b32 v[26:27], v47 offset0:1 offset1:2
	ds_load_2addr_b32 v[24:25], v47 offset0:3 offset1:4
	;; [unrolled: 1-line block ×4, first 2 shown]
	s_waitcnt lgkmcnt(3)
	v_add3_u32 v123, v26, v122, v27
	s_waitcnt lgkmcnt(2)
	s_delay_alu instid0(VALU_DEP_1) | instskip(SKIP_1) | instid1(VALU_DEP_1)
	v_add3_u32 v123, v123, v24, v25
	s_waitcnt lgkmcnt(1)
	v_add3_u32 v123, v123, v20, v21
	s_waitcnt lgkmcnt(0)
	s_delay_alu instid0(VALU_DEP_1) | instskip(NEXT) | instid1(VALU_DEP_1)
	v_add3_u32 v23, v123, v22, v23
	v_mov_b32_dpp v123, v23 row_shr:1 row_mask:0xf bank_mask:0xf
	s_delay_alu instid0(VALU_DEP_1) | instskip(NEXT) | instid1(VALU_DEP_1)
	v_cndmask_b32_e64 v123, v123, 0, s0
	v_add_nc_u32_e32 v23, v123, v23
	s_delay_alu instid0(VALU_DEP_1) | instskip(NEXT) | instid1(VALU_DEP_1)
	v_mov_b32_dpp v123, v23 row_shr:2 row_mask:0xf bank_mask:0xf
	v_cndmask_b32_e64 v123, 0, v123, s1
	s_delay_alu instid0(VALU_DEP_1) | instskip(NEXT) | instid1(VALU_DEP_1)
	v_add_nc_u32_e32 v23, v23, v123
	v_mov_b32_dpp v123, v23 row_shr:4 row_mask:0xf bank_mask:0xf
	s_delay_alu instid0(VALU_DEP_1) | instskip(NEXT) | instid1(VALU_DEP_1)
	v_cndmask_b32_e64 v123, 0, v123, s8
	v_add_nc_u32_e32 v23, v23, v123
	s_delay_alu instid0(VALU_DEP_1) | instskip(NEXT) | instid1(VALU_DEP_1)
	v_mov_b32_dpp v123, v23 row_shr:8 row_mask:0xf bank_mask:0xf
	v_cndmask_b32_e64 v123, 0, v123, s9
	s_delay_alu instid0(VALU_DEP_1) | instskip(SKIP_3) | instid1(VALU_DEP_1)
	v_add_nc_u32_e32 v23, v23, v123
	ds_swizzle_b32 v123, v23 offset:swizzle(BROADCAST,32,15)
	s_waitcnt lgkmcnt(0)
	v_cndmask_b32_e64 v123, v123, 0, s10
	v_add_nc_u32_e32 v23, v23, v123
	s_and_saveexec_b32 s17, s3
	s_cbranch_execz .LBB430_106
; %bb.105:                              ;   in Loop: Header=BB430_74 Depth=2
	ds_store_b32 v38, v23 offset:1024
.LBB430_106:                            ;   in Loop: Header=BB430_74 Depth=2
	s_or_b32 exec_lo, exec_lo, s17
	s_waitcnt lgkmcnt(0)
	s_barrier
	buffer_gl0_inv
	s_and_saveexec_b32 s17, s4
	s_cbranch_execz .LBB430_108
; %bb.107:                              ;   in Loop: Header=BB430_74 Depth=2
	v_add_nc_u32_e32 v123, v46, v48
	ds_load_b32 v124, v123 offset:1024
	s_waitcnt lgkmcnt(0)
	v_mov_b32_dpp v125, v124 row_shr:1 row_mask:0xf bank_mask:0xf
	s_delay_alu instid0(VALU_DEP_1) | instskip(NEXT) | instid1(VALU_DEP_1)
	v_cndmask_b32_e64 v125, v125, 0, s12
	v_add_nc_u32_e32 v124, v125, v124
	s_delay_alu instid0(VALU_DEP_1) | instskip(NEXT) | instid1(VALU_DEP_1)
	v_mov_b32_dpp v125, v124 row_shr:2 row_mask:0xf bank_mask:0xf
	v_cndmask_b32_e64 v125, 0, v125, s13
	s_delay_alu instid0(VALU_DEP_1) | instskip(NEXT) | instid1(VALU_DEP_1)
	v_add_nc_u32_e32 v124, v124, v125
	v_mov_b32_dpp v125, v124 row_shr:4 row_mask:0xf bank_mask:0xf
	s_delay_alu instid0(VALU_DEP_1) | instskip(NEXT) | instid1(VALU_DEP_1)
	v_cndmask_b32_e64 v125, 0, v125, s16
	v_add_nc_u32_e32 v124, v124, v125
	ds_store_b32 v123, v124 offset:1024
.LBB430_108:                            ;   in Loop: Header=BB430_74 Depth=2
	s_or_b32 exec_lo, exec_lo, s17
	v_mov_b32_e32 v123, 0
	s_waitcnt lgkmcnt(0)
	s_barrier
	buffer_gl0_inv
	s_and_saveexec_b32 s17, s5
	s_cbranch_execz .LBB430_110
; %bb.109:                              ;   in Loop: Header=BB430_74 Depth=2
	ds_load_b32 v123, v38 offset:1020
.LBB430_110:                            ;   in Loop: Header=BB430_74 Depth=2
	s_or_b32 exec_lo, exec_lo, s17
	s_waitcnt lgkmcnt(0)
	v_add_nc_u32_e32 v23, v123, v23
	ds_bpermute_b32 v23, v69, v23
	s_waitcnt lgkmcnt(0)
	v_cndmask_b32_e64 v23, v23, v123, s11
	s_delay_alu instid0(VALU_DEP_1) | instskip(NEXT) | instid1(VALU_DEP_1)
	v_cndmask_b32_e64 v23, v23, 0, s6
	v_add_nc_u32_e32 v122, v23, v122
	s_delay_alu instid0(VALU_DEP_1) | instskip(NEXT) | instid1(VALU_DEP_1)
	v_add_nc_u32_e32 v26, v122, v26
	v_add_nc_u32_e32 v27, v26, v27
	s_delay_alu instid0(VALU_DEP_1) | instskip(NEXT) | instid1(VALU_DEP_1)
	v_add_nc_u32_e32 v24, v27, v24
	;; [unrolled: 3-line block ×3, first 2 shown]
	v_add_nc_u32_e32 v21, v20, v21
	s_delay_alu instid0(VALU_DEP_1)
	v_add_nc_u32_e32 v22, v21, v22
	ds_store_b32 v46, v23 offset:1056
	ds_store_2addr_b32 v47, v122, v26 offset0:1 offset1:2
	ds_store_2addr_b32 v47, v27, v24 offset0:3 offset1:4
	;; [unrolled: 1-line block ×4, first 2 shown]
	v_mov_b32_e32 v22, 0x800
	s_waitcnt lgkmcnt(0)
	s_barrier
	buffer_gl0_inv
	ds_load_b32 v20, v98
	ds_load_b32 v21, v102
	;; [unrolled: 1-line block ×8, first 2 shown]
	ds_load_b32 v27, v46 offset:1056
	s_and_saveexec_b32 s17, s7
	s_cbranch_execz .LBB430_112
; %bb.111:                              ;   in Loop: Header=BB430_74 Depth=2
	ds_load_b32 v22, v49 offset:1056
.LBB430_112:                            ;   in Loop: Header=BB430_74 Depth=2
	s_or_b32 exec_lo, exec_lo, s17
	s_waitcnt lgkmcnt(0)
	s_barrier
	buffer_gl0_inv
	s_and_saveexec_b32 s17, s2
	s_cbranch_execz .LBB430_114
; %bb.113:                              ;   in Loop: Header=BB430_74 Depth=2
	ds_load_b32 v94, v28
	s_waitcnt lgkmcnt(0)
	v_sub_nc_u32_e32 v27, v94, v27
	ds_store_b32 v28, v27
.LBB430_114:                            ;   in Loop: Header=BB430_74 Depth=2
	s_or_b32 exec_lo, exec_lo, s17
	v_add_nc_u32_e32 v98, v26, v92
	v_add3_u32 v94, v96, v95, v20
	v_add3_u32 v92, v100, v99, v21
	;; [unrolled: 1-line block ×7, first 2 shown]
	v_cmp_lt_u32_e64 s22, v1, v2
	ds_store_b8 v98, v91 offset:1024
	ds_store_b8 v94, v93 offset:1024
	;; [unrolled: 1-line block ×8, first 2 shown]
	s_waitcnt lgkmcnt(0)
	s_barrier
	buffer_gl0_inv
	s_and_saveexec_b32 s17, s22
	s_cbranch_execz .LBB430_122
; %bb.115:                              ;   in Loop: Header=BB430_74 Depth=2
	ds_load_u8 v20, v1 offset:1024
	s_waitcnt lgkmcnt(0)
	v_and_b32_e32 v21, 0xff, v20
	v_xor_b32_e32 v20, 0x80, v20
	s_delay_alu instid0(VALU_DEP_2) | instskip(NEXT) | instid1(VALU_DEP_1)
	v_lshrrev_b32_e32 v21, s30, v21
	v_and_b32_e32 v21, s31, v21
	s_delay_alu instid0(VALU_DEP_1)
	v_lshlrev_b32_e32 v21, 2, v21
	ds_load_b32 v21, v21
	s_waitcnt lgkmcnt(0)
	v_add_nc_u32_e32 v21, v21, v1
	global_store_b8 v21, v20, s[38:39]
	s_or_b32 exec_lo, exec_lo, s17
	v_cmp_lt_u32_e64 s23, v29, v2
	s_delay_alu instid0(VALU_DEP_1)
	s_and_saveexec_b32 s17, s23
	s_cbranch_execnz .LBB430_123
.LBB430_116:                            ;   in Loop: Header=BB430_74 Depth=2
	s_or_b32 exec_lo, exec_lo, s17
	v_cmp_lt_u32_e64 s21, v30, v2
	s_delay_alu instid0(VALU_DEP_1)
	s_and_saveexec_b32 s17, s21
	s_cbranch_execz .LBB430_124
.LBB430_117:                            ;   in Loop: Header=BB430_74 Depth=2
	ds_load_u8 v20, v35 offset:512
	s_waitcnt lgkmcnt(0)
	v_and_b32_e32 v21, 0xff, v20
	v_xor_b32_e32 v20, 0x80, v20
	s_delay_alu instid0(VALU_DEP_2) | instskip(NEXT) | instid1(VALU_DEP_1)
	v_lshrrev_b32_e32 v21, s30, v21
	v_and_b32_e32 v21, s31, v21
	s_delay_alu instid0(VALU_DEP_1)
	v_lshlrev_b32_e32 v21, 2, v21
	ds_load_b32 v21, v21
	s_waitcnt lgkmcnt(0)
	v_add_nc_u32_e32 v21, v21, v30
	global_store_b8 v21, v20, s[38:39]
	s_or_b32 exec_lo, exec_lo, s17
	v_cmp_lt_u32_e64 s20, v31, v2
	s_delay_alu instid0(VALU_DEP_1)
	s_and_saveexec_b32 s17, s20
	s_cbranch_execnz .LBB430_125
.LBB430_118:                            ;   in Loop: Header=BB430_74 Depth=2
	s_or_b32 exec_lo, exec_lo, s17
	v_cmp_lt_u32_e64 s19, v35, v2
	s_delay_alu instid0(VALU_DEP_1)
	s_and_saveexec_b32 s17, s19
	s_cbranch_execz .LBB430_126
.LBB430_119:                            ;   in Loop: Header=BB430_74 Depth=2
	ds_load_u8 v20, v35 offset:1024
	s_waitcnt lgkmcnt(0)
	v_and_b32_e32 v21, 0xff, v20
	v_xor_b32_e32 v20, 0x80, v20
	s_delay_alu instid0(VALU_DEP_2) | instskip(NEXT) | instid1(VALU_DEP_1)
	v_lshrrev_b32_e32 v21, s30, v21
	v_and_b32_e32 v21, s31, v21
	s_delay_alu instid0(VALU_DEP_1)
	v_lshlrev_b32_e32 v21, 2, v21
	ds_load_b32 v21, v21
	s_waitcnt lgkmcnt(0)
	v_add_nc_u32_e32 v21, v21, v35
	global_store_b8 v21, v20, s[38:39]
	s_or_b32 exec_lo, exec_lo, s17
	v_cmp_lt_u32_e64 s18, v36, v2
	s_delay_alu instid0(VALU_DEP_1)
	s_and_saveexec_b32 s17, s18
	s_cbranch_execnz .LBB430_127
.LBB430_120:                            ;   in Loop: Header=BB430_74 Depth=2
	s_or_b32 exec_lo, exec_lo, s17
	v_cmp_lt_u32_e64 s17, v37, v2
	s_delay_alu instid0(VALU_DEP_1)
	s_and_saveexec_b32 s43, s17
	s_cbranch_execz .LBB430_128
.LBB430_121:                            ;   in Loop: Header=BB430_74 Depth=2
	ds_load_u8 v20, v35 offset:1536
	s_waitcnt lgkmcnt(0)
	v_and_b32_e32 v21, 0xff, v20
	v_xor_b32_e32 v20, 0x80, v20
	s_delay_alu instid0(VALU_DEP_2) | instskip(NEXT) | instid1(VALU_DEP_1)
	v_lshrrev_b32_e32 v21, s30, v21
	v_and_b32_e32 v21, s31, v21
	s_delay_alu instid0(VALU_DEP_1)
	v_lshlrev_b32_e32 v21, 2, v21
	ds_load_b32 v21, v21
	s_waitcnt lgkmcnt(0)
	v_add_nc_u32_e32 v21, v21, v37
	global_store_b8 v21, v20, s[38:39]
	s_or_b32 exec_lo, exec_lo, s43
	v_cmp_lt_u32_e32 vcc_lo, v39, v2
	s_and_saveexec_b32 s43, vcc_lo
	s_cbranch_execnz .LBB430_129
	s_branch .LBB430_130
.LBB430_122:                            ;   in Loop: Header=BB430_74 Depth=2
	s_or_b32 exec_lo, exec_lo, s17
	v_cmp_lt_u32_e64 s23, v29, v2
	s_delay_alu instid0(VALU_DEP_1)
	s_and_saveexec_b32 s17, s23
	s_cbranch_execz .LBB430_116
.LBB430_123:                            ;   in Loop: Header=BB430_74 Depth=2
	ds_load_u8 v20, v35 offset:256
	s_waitcnt lgkmcnt(0)
	v_and_b32_e32 v21, 0xff, v20
	v_xor_b32_e32 v20, 0x80, v20
	s_delay_alu instid0(VALU_DEP_2) | instskip(NEXT) | instid1(VALU_DEP_1)
	v_lshrrev_b32_e32 v21, s30, v21
	v_and_b32_e32 v21, s31, v21
	s_delay_alu instid0(VALU_DEP_1)
	v_lshlrev_b32_e32 v21, 2, v21
	ds_load_b32 v21, v21
	s_waitcnt lgkmcnt(0)
	v_add_nc_u32_e32 v21, v21, v29
	global_store_b8 v21, v20, s[38:39]
	s_or_b32 exec_lo, exec_lo, s17
	v_cmp_lt_u32_e64 s21, v30, v2
	s_delay_alu instid0(VALU_DEP_1)
	s_and_saveexec_b32 s17, s21
	s_cbranch_execnz .LBB430_117
.LBB430_124:                            ;   in Loop: Header=BB430_74 Depth=2
	s_or_b32 exec_lo, exec_lo, s17
	v_cmp_lt_u32_e64 s20, v31, v2
	s_delay_alu instid0(VALU_DEP_1)
	s_and_saveexec_b32 s17, s20
	s_cbranch_execz .LBB430_118
.LBB430_125:                            ;   in Loop: Header=BB430_74 Depth=2
	ds_load_u8 v20, v35 offset:768
	s_waitcnt lgkmcnt(0)
	v_and_b32_e32 v21, 0xff, v20
	v_xor_b32_e32 v20, 0x80, v20
	s_delay_alu instid0(VALU_DEP_2) | instskip(NEXT) | instid1(VALU_DEP_1)
	v_lshrrev_b32_e32 v21, s30, v21
	v_and_b32_e32 v21, s31, v21
	s_delay_alu instid0(VALU_DEP_1)
	v_lshlrev_b32_e32 v21, 2, v21
	ds_load_b32 v21, v21
	s_waitcnt lgkmcnt(0)
	v_add_nc_u32_e32 v21, v21, v31
	global_store_b8 v21, v20, s[38:39]
	s_or_b32 exec_lo, exec_lo, s17
	v_cmp_lt_u32_e64 s19, v35, v2
	s_delay_alu instid0(VALU_DEP_1)
	s_and_saveexec_b32 s17, s19
	s_cbranch_execnz .LBB430_119
.LBB430_126:                            ;   in Loop: Header=BB430_74 Depth=2
	s_or_b32 exec_lo, exec_lo, s17
	v_cmp_lt_u32_e64 s18, v36, v2
	s_delay_alu instid0(VALU_DEP_1)
	s_and_saveexec_b32 s17, s18
	s_cbranch_execz .LBB430_120
.LBB430_127:                            ;   in Loop: Header=BB430_74 Depth=2
	ds_load_u8 v20, v35 offset:1280
	s_waitcnt lgkmcnt(0)
	v_and_b32_e32 v21, 0xff, v20
	v_xor_b32_e32 v20, 0x80, v20
	s_delay_alu instid0(VALU_DEP_2) | instskip(NEXT) | instid1(VALU_DEP_1)
	v_lshrrev_b32_e32 v21, s30, v21
	v_and_b32_e32 v21, s31, v21
	s_delay_alu instid0(VALU_DEP_1)
	v_lshlrev_b32_e32 v21, 2, v21
	ds_load_b32 v21, v21
	s_waitcnt lgkmcnt(0)
	v_add_nc_u32_e32 v21, v21, v36
	global_store_b8 v21, v20, s[38:39]
	s_or_b32 exec_lo, exec_lo, s17
	v_cmp_lt_u32_e64 s17, v37, v2
	s_delay_alu instid0(VALU_DEP_1)
	s_and_saveexec_b32 s43, s17
	s_cbranch_execnz .LBB430_121
.LBB430_128:                            ;   in Loop: Header=BB430_74 Depth=2
	s_or_b32 exec_lo, exec_lo, s43
	v_cmp_lt_u32_e32 vcc_lo, v39, v2
	s_and_saveexec_b32 s43, vcc_lo
	s_cbranch_execz .LBB430_130
.LBB430_129:                            ;   in Loop: Header=BB430_74 Depth=2
	ds_load_u8 v20, v35 offset:1792
	s_waitcnt lgkmcnt(0)
	v_and_b32_e32 v21, 0xff, v20
	v_xor_b32_e32 v20, 0x80, v20
	s_delay_alu instid0(VALU_DEP_2) | instskip(NEXT) | instid1(VALU_DEP_1)
	v_lshrrev_b32_e32 v21, s30, v21
	v_and_b32_e32 v21, s31, v21
	s_delay_alu instid0(VALU_DEP_1)
	v_lshlrev_b32_e32 v21, 2, v21
	ds_load_b32 v21, v21
	s_waitcnt lgkmcnt(0)
	v_add_nc_u32_e32 v21, v21, v39
	global_store_b8 v21, v20, s[38:39]
.LBB430_130:                            ;   in Loop: Header=BB430_74 Depth=2
	s_or_b32 exec_lo, exec_lo, s43
	s_lshl_b64 s[52:53], s[24:25], 3
	s_delay_alu instid0(SALU_CYCLE_1) | instskip(NEXT) | instid1(VALU_DEP_1)
	v_add_co_u32 v20, s24, v71, s52
	v_add_co_ci_u32_e64 v21, s24, s53, v72, s24
	v_cmp_lt_u32_e64 s24, v70, v2
	s_delay_alu instid0(VALU_DEP_1) | instskip(NEXT) | instid1(SALU_CYCLE_1)
	s_and_saveexec_b32 s43, s24
	s_xor_b32 s24, exec_lo, s43
	s_cbranch_execz .LBB430_146
; %bb.131:                              ;   in Loop: Header=BB430_74 Depth=2
	global_load_b64 v[18:19], v[20:21], off
	s_or_b32 exec_lo, exec_lo, s24
	s_delay_alu instid0(SALU_CYCLE_1)
	s_mov_b32 s43, exec_lo
	v_cmpx_lt_u32_e64 v73, v2
	s_cbranch_execnz .LBB430_147
.LBB430_132:                            ;   in Loop: Header=BB430_74 Depth=2
	s_or_b32 exec_lo, exec_lo, s43
	s_delay_alu instid0(SALU_CYCLE_1)
	s_mov_b32 s43, exec_lo
	v_cmpx_lt_u32_e64 v74, v2
	s_cbranch_execz .LBB430_148
.LBB430_133:                            ;   in Loop: Header=BB430_74 Depth=2
	global_load_b64 v[14:15], v[20:21], off offset:512
	s_or_b32 exec_lo, exec_lo, s43
	s_delay_alu instid0(SALU_CYCLE_1)
	s_mov_b32 s43, exec_lo
	v_cmpx_lt_u32_e64 v75, v2
	s_cbranch_execnz .LBB430_149
.LBB430_134:                            ;   in Loop: Header=BB430_74 Depth=2
	s_or_b32 exec_lo, exec_lo, s43
	s_delay_alu instid0(SALU_CYCLE_1)
	s_mov_b32 s43, exec_lo
	v_cmpx_lt_u32_e64 v76, v2
	s_cbranch_execz .LBB430_150
.LBB430_135:                            ;   in Loop: Header=BB430_74 Depth=2
	global_load_b64 v[10:11], v[20:21], off offset:1024
	s_or_b32 exec_lo, exec_lo, s43
	s_delay_alu instid0(SALU_CYCLE_1)
	s_mov_b32 s43, exec_lo
	v_cmpx_lt_u32_e64 v77, v2
	s_cbranch_execnz .LBB430_151
.LBB430_136:                            ;   in Loop: Header=BB430_74 Depth=2
	s_or_b32 exec_lo, exec_lo, s43
	s_delay_alu instid0(SALU_CYCLE_1)
	s_mov_b32 s43, exec_lo
	v_cmpx_lt_u32_e64 v78, v2
	s_cbranch_execz .LBB430_152
.LBB430_137:                            ;   in Loop: Header=BB430_74 Depth=2
	global_load_b64 v[6:7], v[20:21], off offset:1536
	s_or_b32 exec_lo, exec_lo, s43
	s_delay_alu instid0(SALU_CYCLE_1)
	s_mov_b32 s43, exec_lo
	v_cmpx_lt_u32_e64 v79, v2
	s_cbranch_execnz .LBB430_153
.LBB430_138:                            ;   in Loop: Header=BB430_74 Depth=2
	s_or_b32 exec_lo, exec_lo, s43
	s_and_saveexec_b32 s24, s22
	s_cbranch_execz .LBB430_154
.LBB430_139:                            ;   in Loop: Header=BB430_74 Depth=2
	ds_load_u8 v2, v1 offset:1024
	s_waitcnt lgkmcnt(0)
	v_lshrrev_b32_e32 v2, s30, v2
	s_delay_alu instid0(VALU_DEP_1)
	v_and_b32_e32 v90, s31, v2
	s_or_b32 exec_lo, exec_lo, s24
	s_and_saveexec_b32 s24, s23
	s_cbranch_execnz .LBB430_155
.LBB430_140:                            ;   in Loop: Header=BB430_74 Depth=2
	s_or_b32 exec_lo, exec_lo, s24
	s_and_saveexec_b32 s24, s21
	s_cbranch_execz .LBB430_156
.LBB430_141:                            ;   in Loop: Header=BB430_74 Depth=2
	ds_load_u8 v2, v35 offset:512
	s_waitcnt lgkmcnt(0)
	v_lshrrev_b32_e32 v2, s30, v2
	s_delay_alu instid0(VALU_DEP_1)
	v_and_b32_e32 v88, s31, v2
	s_or_b32 exec_lo, exec_lo, s24
	s_and_saveexec_b32 s24, s20
	s_cbranch_execnz .LBB430_157
.LBB430_142:                            ;   in Loop: Header=BB430_74 Depth=2
	s_or_b32 exec_lo, exec_lo, s24
	s_and_saveexec_b32 s24, s19
	s_cbranch_execz .LBB430_158
.LBB430_143:                            ;   in Loop: Header=BB430_74 Depth=2
	ds_load_u8 v2, v35 offset:1024
	s_waitcnt lgkmcnt(0)
	v_lshrrev_b32_e32 v2, s30, v2
	s_delay_alu instid0(VALU_DEP_1)
	v_and_b32_e32 v86, s31, v2
	s_or_b32 exec_lo, exec_lo, s24
	s_and_saveexec_b32 s24, s18
	s_cbranch_execnz .LBB430_159
.LBB430_144:                            ;   in Loop: Header=BB430_74 Depth=2
	s_or_b32 exec_lo, exec_lo, s24
	s_and_saveexec_b32 s24, s17
	s_cbranch_execz .LBB430_160
.LBB430_145:                            ;   in Loop: Header=BB430_74 Depth=2
	ds_load_u8 v2, v35 offset:1536
	s_waitcnt lgkmcnt(0)
	v_lshrrev_b32_e32 v2, s30, v2
	s_delay_alu instid0(VALU_DEP_1)
	v_and_b32_e32 v84, s31, v2
	s_or_b32 exec_lo, exec_lo, s24
	s_and_saveexec_b32 s24, vcc_lo
	s_cbranch_execnz .LBB430_161
	s_branch .LBB430_162
.LBB430_146:                            ;   in Loop: Header=BB430_74 Depth=2
	s_or_b32 exec_lo, exec_lo, s24
	s_delay_alu instid0(SALU_CYCLE_1)
	s_mov_b32 s43, exec_lo
	v_cmpx_lt_u32_e64 v73, v2
	s_cbranch_execz .LBB430_132
.LBB430_147:                            ;   in Loop: Header=BB430_74 Depth=2
	global_load_b64 v[16:17], v[20:21], off offset:256
	s_or_b32 exec_lo, exec_lo, s43
	s_delay_alu instid0(SALU_CYCLE_1)
	s_mov_b32 s43, exec_lo
	v_cmpx_lt_u32_e64 v74, v2
	s_cbranch_execnz .LBB430_133
.LBB430_148:                            ;   in Loop: Header=BB430_74 Depth=2
	s_or_b32 exec_lo, exec_lo, s43
	s_delay_alu instid0(SALU_CYCLE_1)
	s_mov_b32 s43, exec_lo
	v_cmpx_lt_u32_e64 v75, v2
	s_cbranch_execz .LBB430_134
.LBB430_149:                            ;   in Loop: Header=BB430_74 Depth=2
	global_load_b64 v[12:13], v[20:21], off offset:768
	s_or_b32 exec_lo, exec_lo, s43
	s_delay_alu instid0(SALU_CYCLE_1)
	s_mov_b32 s43, exec_lo
	v_cmpx_lt_u32_e64 v76, v2
	s_cbranch_execnz .LBB430_135
.LBB430_150:                            ;   in Loop: Header=BB430_74 Depth=2
	s_or_b32 exec_lo, exec_lo, s43
	s_delay_alu instid0(SALU_CYCLE_1)
	s_mov_b32 s43, exec_lo
	v_cmpx_lt_u32_e64 v77, v2
	s_cbranch_execz .LBB430_136
.LBB430_151:                            ;   in Loop: Header=BB430_74 Depth=2
	global_load_b64 v[8:9], v[20:21], off offset:1280
	s_or_b32 exec_lo, exec_lo, s43
	s_delay_alu instid0(SALU_CYCLE_1)
	s_mov_b32 s43, exec_lo
	v_cmpx_lt_u32_e64 v78, v2
	s_cbranch_execnz .LBB430_137
.LBB430_152:                            ;   in Loop: Header=BB430_74 Depth=2
	s_or_b32 exec_lo, exec_lo, s43
	s_delay_alu instid0(SALU_CYCLE_1)
	s_mov_b32 s43, exec_lo
	v_cmpx_lt_u32_e64 v79, v2
	s_cbranch_execz .LBB430_138
.LBB430_153:                            ;   in Loop: Header=BB430_74 Depth=2
	global_load_b64 v[4:5], v[20:21], off offset:1792
	s_or_b32 exec_lo, exec_lo, s43
	s_and_saveexec_b32 s24, s22
	s_cbranch_execnz .LBB430_139
.LBB430_154:                            ;   in Loop: Header=BB430_74 Depth=2
	s_or_b32 exec_lo, exec_lo, s24
	s_and_saveexec_b32 s24, s23
	s_cbranch_execz .LBB430_140
.LBB430_155:                            ;   in Loop: Header=BB430_74 Depth=2
	ds_load_u8 v2, v35 offset:256
	s_waitcnt lgkmcnt(0)
	v_lshrrev_b32_e32 v2, s30, v2
	s_delay_alu instid0(VALU_DEP_1)
	v_and_b32_e32 v89, s31, v2
	s_or_b32 exec_lo, exec_lo, s24
	s_and_saveexec_b32 s24, s21
	s_cbranch_execnz .LBB430_141
.LBB430_156:                            ;   in Loop: Header=BB430_74 Depth=2
	s_or_b32 exec_lo, exec_lo, s24
	s_and_saveexec_b32 s24, s20
	s_cbranch_execz .LBB430_142
.LBB430_157:                            ;   in Loop: Header=BB430_74 Depth=2
	ds_load_u8 v2, v35 offset:768
	s_waitcnt lgkmcnt(0)
	v_lshrrev_b32_e32 v2, s30, v2
	s_delay_alu instid0(VALU_DEP_1)
	v_and_b32_e32 v87, s31, v2
	s_or_b32 exec_lo, exec_lo, s24
	s_and_saveexec_b32 s24, s19
	s_cbranch_execnz .LBB430_143
.LBB430_158:                            ;   in Loop: Header=BB430_74 Depth=2
	s_or_b32 exec_lo, exec_lo, s24
	s_and_saveexec_b32 s24, s18
	s_cbranch_execz .LBB430_144
.LBB430_159:                            ;   in Loop: Header=BB430_74 Depth=2
	ds_load_u8 v2, v35 offset:1280
	s_waitcnt lgkmcnt(0)
	v_lshrrev_b32_e32 v2, s30, v2
	s_delay_alu instid0(VALU_DEP_1)
	v_and_b32_e32 v85, s31, v2
	s_or_b32 exec_lo, exec_lo, s24
	s_and_saveexec_b32 s24, s17
	s_cbranch_execnz .LBB430_145
.LBB430_160:                            ;   in Loop: Header=BB430_74 Depth=2
	s_or_b32 exec_lo, exec_lo, s24
	s_and_saveexec_b32 s24, vcc_lo
	s_cbranch_execz .LBB430_162
.LBB430_161:                            ;   in Loop: Header=BB430_74 Depth=2
	ds_load_u8 v2, v35 offset:1792
	s_waitcnt lgkmcnt(0)
	v_lshrrev_b32_e32 v2, s30, v2
	s_delay_alu instid0(VALU_DEP_1)
	v_and_b32_e32 v83, s31, v2
.LBB430_162:                            ;   in Loop: Header=BB430_74 Depth=2
	s_or_b32 exec_lo, exec_lo, s24
	v_lshlrev_b32_e32 v2, 3, v98
	v_lshlrev_b32_e32 v20, 3, v94
	;; [unrolled: 1-line block ×3, first 2 shown]
	s_waitcnt vmcnt(0)
	s_waitcnt_vscnt null, 0x0
	s_barrier
	buffer_gl0_inv
	ds_store_b64 v2, v[18:19] offset:1024
	ds_store_b64 v20, v[16:17] offset:1024
	;; [unrolled: 1-line block ×3, first 2 shown]
	v_lshlrev_b32_e32 v2, 3, v27
	v_lshlrev_b32_e32 v20, 3, v26
	;; [unrolled: 1-line block ×5, first 2 shown]
	ds_store_b64 v2, v[12:13] offset:1024
	ds_store_b64 v20, v[10:11] offset:1024
	;; [unrolled: 1-line block ×5, first 2 shown]
	s_waitcnt lgkmcnt(0)
	s_barrier
	buffer_gl0_inv
	s_and_saveexec_b32 s24, s22
	s_cbranch_execz .LBB430_170
; %bb.163:                              ;   in Loop: Header=BB430_74 Depth=2
	v_lshlrev_b32_e32 v2, 2, v90
	v_add_nc_u32_e32 v20, v1, v52
	ds_load_b32 v2, v2
	ds_load_b64 v[20:21], v20 offset:1024
	s_waitcnt lgkmcnt(1)
	v_add_nc_u32_e32 v2, v2, v1
	s_delay_alu instid0(VALU_DEP_1) | instskip(NEXT) | instid1(VALU_DEP_1)
	v_lshlrev_b64 v[23:24], 3, v[2:3]
	v_add_co_u32 v23, s22, s44, v23
	s_delay_alu instid0(VALU_DEP_1)
	v_add_co_ci_u32_e64 v24, s22, s45, v24, s22
	s_waitcnt lgkmcnt(0)
	global_store_b64 v[23:24], v[20:21], off
	s_or_b32 exec_lo, exec_lo, s24
	s_and_saveexec_b32 s24, s23
	s_cbranch_execnz .LBB430_171
.LBB430_164:                            ;   in Loop: Header=BB430_74 Depth=2
	s_or_b32 exec_lo, exec_lo, s24
	s_and_saveexec_b32 s22, s21
	s_cbranch_execz .LBB430_172
.LBB430_165:                            ;   in Loop: Header=BB430_74 Depth=2
	v_lshlrev_b32_e32 v2, 2, v88
	v_add_nc_u32_e32 v20, v35, v52
	ds_load_b32 v2, v2
	ds_load_b64 v[20:21], v20 offset:4096
	s_waitcnt lgkmcnt(1)
	v_add_nc_u32_e32 v2, v2, v30
	s_delay_alu instid0(VALU_DEP_1) | instskip(NEXT) | instid1(VALU_DEP_1)
	v_lshlrev_b64 v[23:24], 3, v[2:3]
	v_add_co_u32 v23, s21, s44, v23
	s_delay_alu instid0(VALU_DEP_1)
	v_add_co_ci_u32_e64 v24, s21, s45, v24, s21
	s_waitcnt lgkmcnt(0)
	global_store_b64 v[23:24], v[20:21], off
	s_or_b32 exec_lo, exec_lo, s22
	s_and_saveexec_b32 s21, s20
	s_cbranch_execnz .LBB430_173
.LBB430_166:                            ;   in Loop: Header=BB430_74 Depth=2
	s_or_b32 exec_lo, exec_lo, s21
	s_and_saveexec_b32 s20, s19
	s_cbranch_execz .LBB430_174
.LBB430_167:                            ;   in Loop: Header=BB430_74 Depth=2
	v_lshlrev_b32_e32 v2, 2, v86
	v_add_nc_u32_e32 v20, v35, v52
	ds_load_b32 v2, v2
	ds_load_b64 v[20:21], v20 offset:8192
	s_waitcnt lgkmcnt(1)
	v_add_nc_u32_e32 v2, v2, v35
	s_delay_alu instid0(VALU_DEP_1) | instskip(NEXT) | instid1(VALU_DEP_1)
	v_lshlrev_b64 v[23:24], 3, v[2:3]
	v_add_co_u32 v23, s19, s44, v23
	s_delay_alu instid0(VALU_DEP_1)
	v_add_co_ci_u32_e64 v24, s19, s45, v24, s19
	s_waitcnt lgkmcnt(0)
	global_store_b64 v[23:24], v[20:21], off
	s_or_b32 exec_lo, exec_lo, s20
	s_and_saveexec_b32 s19, s18
	s_cbranch_execnz .LBB430_175
.LBB430_168:                            ;   in Loop: Header=BB430_74 Depth=2
	s_or_b32 exec_lo, exec_lo, s19
	s_and_saveexec_b32 s18, s17
	s_cbranch_execz .LBB430_176
.LBB430_169:                            ;   in Loop: Header=BB430_74 Depth=2
	v_lshlrev_b32_e32 v2, 2, v84
	v_add_nc_u32_e32 v20, v35, v52
	ds_load_b32 v2, v2
	ds_load_b64 v[20:21], v20 offset:12288
	s_waitcnt lgkmcnt(1)
	v_add_nc_u32_e32 v2, v2, v37
	s_delay_alu instid0(VALU_DEP_1) | instskip(NEXT) | instid1(VALU_DEP_1)
	v_lshlrev_b64 v[23:24], 3, v[2:3]
	v_add_co_u32 v23, s17, s44, v23
	s_delay_alu instid0(VALU_DEP_1)
	v_add_co_ci_u32_e64 v24, s17, s45, v24, s17
	s_waitcnt lgkmcnt(0)
	global_store_b64 v[23:24], v[20:21], off
	s_or_b32 exec_lo, exec_lo, s18
	s_and_saveexec_b32 s17, vcc_lo
	s_cbranch_execnz .LBB430_177
	s_branch .LBB430_178
.LBB430_170:                            ;   in Loop: Header=BB430_74 Depth=2
	s_or_b32 exec_lo, exec_lo, s24
	s_and_saveexec_b32 s24, s23
	s_cbranch_execz .LBB430_164
.LBB430_171:                            ;   in Loop: Header=BB430_74 Depth=2
	v_lshlrev_b32_e32 v2, 2, v89
	v_add_nc_u32_e32 v20, v35, v52
	ds_load_b32 v2, v2
	ds_load_b64 v[20:21], v20 offset:2048
	s_waitcnt lgkmcnt(1)
	v_add_nc_u32_e32 v2, v2, v29
	s_delay_alu instid0(VALU_DEP_1) | instskip(NEXT) | instid1(VALU_DEP_1)
	v_lshlrev_b64 v[23:24], 3, v[2:3]
	v_add_co_u32 v23, s22, s44, v23
	s_delay_alu instid0(VALU_DEP_1)
	v_add_co_ci_u32_e64 v24, s22, s45, v24, s22
	s_waitcnt lgkmcnt(0)
	global_store_b64 v[23:24], v[20:21], off
	s_or_b32 exec_lo, exec_lo, s24
	s_and_saveexec_b32 s22, s21
	s_cbranch_execnz .LBB430_165
.LBB430_172:                            ;   in Loop: Header=BB430_74 Depth=2
	s_or_b32 exec_lo, exec_lo, s22
	s_and_saveexec_b32 s21, s20
	s_cbranch_execz .LBB430_166
.LBB430_173:                            ;   in Loop: Header=BB430_74 Depth=2
	v_lshlrev_b32_e32 v2, 2, v87
	v_add_nc_u32_e32 v20, v35, v52
	ds_load_b32 v2, v2
	ds_load_b64 v[20:21], v20 offset:6144
	s_waitcnt lgkmcnt(1)
	v_add_nc_u32_e32 v2, v2, v31
	s_delay_alu instid0(VALU_DEP_1) | instskip(NEXT) | instid1(VALU_DEP_1)
	v_lshlrev_b64 v[23:24], 3, v[2:3]
	v_add_co_u32 v23, s20, s44, v23
	s_delay_alu instid0(VALU_DEP_1)
	v_add_co_ci_u32_e64 v24, s20, s45, v24, s20
	s_waitcnt lgkmcnt(0)
	global_store_b64 v[23:24], v[20:21], off
	s_or_b32 exec_lo, exec_lo, s21
	s_and_saveexec_b32 s20, s19
	s_cbranch_execnz .LBB430_167
.LBB430_174:                            ;   in Loop: Header=BB430_74 Depth=2
	s_or_b32 exec_lo, exec_lo, s20
	s_and_saveexec_b32 s19, s18
	s_cbranch_execz .LBB430_168
.LBB430_175:                            ;   in Loop: Header=BB430_74 Depth=2
	v_lshlrev_b32_e32 v2, 2, v85
	v_add_nc_u32_e32 v20, v35, v52
	ds_load_b32 v2, v2
	ds_load_b64 v[20:21], v20 offset:10240
	s_waitcnt lgkmcnt(1)
	v_add_nc_u32_e32 v2, v2, v36
	s_delay_alu instid0(VALU_DEP_1) | instskip(NEXT) | instid1(VALU_DEP_1)
	v_lshlrev_b64 v[23:24], 3, v[2:3]
	v_add_co_u32 v23, s18, s44, v23
	s_delay_alu instid0(VALU_DEP_1)
	v_add_co_ci_u32_e64 v24, s18, s45, v24, s18
	s_waitcnt lgkmcnt(0)
	global_store_b64 v[23:24], v[20:21], off
	s_or_b32 exec_lo, exec_lo, s19
	s_and_saveexec_b32 s18, s17
	s_cbranch_execnz .LBB430_169
.LBB430_176:                            ;   in Loop: Header=BB430_74 Depth=2
	s_or_b32 exec_lo, exec_lo, s18
	s_and_saveexec_b32 s17, vcc_lo
	s_cbranch_execz .LBB430_178
.LBB430_177:                            ;   in Loop: Header=BB430_74 Depth=2
	v_lshlrev_b32_e32 v2, 2, v83
	v_add_nc_u32_e32 v20, v35, v52
	ds_load_b32 v2, v2
	ds_load_b64 v[20:21], v20 offset:14336
	s_waitcnt lgkmcnt(1)
	v_add_nc_u32_e32 v2, v2, v39
	s_delay_alu instid0(VALU_DEP_1) | instskip(NEXT) | instid1(VALU_DEP_1)
	v_lshlrev_b64 v[23:24], 3, v[2:3]
	v_add_co_u32 v23, vcc_lo, s44, v23
	s_delay_alu instid0(VALU_DEP_2)
	v_add_co_ci_u32_e32 v24, vcc_lo, s45, v24, vcc_lo
	s_waitcnt lgkmcnt(0)
	global_store_b64 v[23:24], v[20:21], off
.LBB430_178:                            ;   in Loop: Header=BB430_74 Depth=2
	s_or_b32 exec_lo, exec_lo, s17
	s_waitcnt_vscnt null, 0x0
	s_barrier
	buffer_gl0_inv
	s_and_saveexec_b32 s17, s2
	s_cbranch_execz .LBB430_73
; %bb.179:                              ;   in Loop: Header=BB430_74 Depth=2
	ds_load_b32 v2, v28
	s_waitcnt lgkmcnt(0)
	v_add_nc_u32_e32 v2, v2, v22
	ds_store_b32 v28, v2
	s_branch .LBB430_73
.LBB430_180:                            ;   in Loop: Header=BB430_74 Depth=2
	s_or_b32 exec_lo, exec_lo, s17
	s_delay_alu instid0(SALU_CYCLE_1)
	s_mov_b32 s17, exec_lo
	v_cmpx_gt_u32_e64 s35, v73
	s_cbranch_execz .LBB430_80
.LBB430_181:                            ;   in Loop: Header=BB430_74 Depth=2
	global_load_u8 v93, v[20:21], off offset:32
	s_or_b32 exec_lo, exec_lo, s17
	s_delay_alu instid0(SALU_CYCLE_1)
	s_mov_b32 s17, exec_lo
	v_cmpx_gt_u32_e64 s35, v74
	s_cbranch_execnz .LBB430_81
.LBB430_182:                            ;   in Loop: Header=BB430_74 Depth=2
	s_or_b32 exec_lo, exec_lo, s17
	s_delay_alu instid0(SALU_CYCLE_1)
	s_mov_b32 s17, exec_lo
	v_cmpx_gt_u32_e64 s35, v75
	s_cbranch_execz .LBB430_82
.LBB430_183:                            ;   in Loop: Header=BB430_74 Depth=2
	global_load_u8 v26, v[20:21], off offset:96
	s_or_b32 exec_lo, exec_lo, s17
	s_delay_alu instid0(SALU_CYCLE_1)
	s_mov_b32 s17, exec_lo
	v_cmpx_gt_u32_e64 s35, v76
	s_cbranch_execnz .LBB430_83
.LBB430_184:                            ;   in Loop: Header=BB430_74 Depth=2
	s_or_b32 exec_lo, exec_lo, s17
	s_delay_alu instid0(SALU_CYCLE_1)
	s_mov_b32 s17, exec_lo
	v_cmpx_gt_u32_e64 s35, v77
	s_cbranch_execz .LBB430_84
.LBB430_185:                            ;   in Loop: Header=BB430_74 Depth=2
	global_load_u8 v24, v[20:21], off offset:160
	s_or_b32 exec_lo, exec_lo, s17
	s_delay_alu instid0(SALU_CYCLE_1)
	s_mov_b32 s17, exec_lo
	v_cmpx_gt_u32_e64 s35, v78
	s_cbranch_execnz .LBB430_85
	s_branch .LBB430_86
.LBB430_186:                            ;   in Loop: Header=BB430_20 Depth=1
	s_waitcnt lgkmcnt(0)
	s_mov_b32 s0, 0
	s_barrier
.LBB430_187:                            ;   in Loop: Header=BB430_20 Depth=1
	s_and_b32 vcc_lo, exec_lo, s0
	s_cbranch_vccz .LBB430_353
; %bb.188:                              ;   in Loop: Header=BB430_20 Depth=1
	s_mov_b32 s0, s34
	s_mov_b32 s9, s28
	s_barrier
	buffer_gl0_inv
                                        ; implicit-def: $vgpr2
                                        ; implicit-def: $vgpr6
                                        ; implicit-def: $vgpr7
                                        ; implicit-def: $vgpr8
                                        ; implicit-def: $vgpr9
                                        ; implicit-def: $vgpr10
                                        ; implicit-def: $vgpr11
                                        ; implicit-def: $vgpr12
	s_branch .LBB430_190
.LBB430_189:                            ;   in Loop: Header=BB430_190 Depth=2
	s_or_b32 exec_lo, exec_lo, s8
	s_addk_i32 s0, 0xf800
	s_cmp_ge_u32 s1, s29
	s_mov_b32 s9, s1
	s_cbranch_scc1 .LBB430_228
.LBB430_190:                            ;   Parent Loop BB430_20 Depth=1
                                        ; =>  This Inner Loop Header: Depth=2
	s_add_i32 s1, s9, 0x800
	s_delay_alu instid0(SALU_CYCLE_1)
	s_cmp_gt_u32 s1, s29
	s_cbranch_scc1 .LBB430_193
; %bb.191:                              ;   in Loop: Header=BB430_190 Depth=2
	v_add_co_u32 v4, vcc_lo, v53, s9
	v_add_co_ci_u32_e32 v5, vcc_lo, 0, v54, vcc_lo
	s_mov_b32 s8, -1
	s_movk_i32 s12, 0x800
	s_clause 0x6
	global_load_u8 v20, v[4:5], off offset:1536
	global_load_u8 v19, v[4:5], off offset:1280
	;; [unrolled: 1-line block ×6, first 2 shown]
	global_load_u8 v14, v[4:5], off
	v_add_co_u32 v4, vcc_lo, 0x700, v4
	v_add_co_ci_u32_e32 v5, vcc_lo, 0, v5, vcc_lo
	s_cbranch_execz .LBB430_194
; %bb.192:                              ;   in Loop: Header=BB430_190 Depth=2
                                        ; implicit-def: $vgpr2
                                        ; implicit-def: $vgpr6
                                        ; implicit-def: $vgpr7
                                        ; implicit-def: $vgpr8
                                        ; implicit-def: $vgpr9
                                        ; implicit-def: $vgpr10
                                        ; implicit-def: $vgpr11
                                        ; implicit-def: $vgpr12
	v_mov_b32_e32 v13, s0
	s_and_saveexec_b32 s9, s8
	s_cbranch_execnz .LBB430_205
	s_branch .LBB430_206
.LBB430_193:                            ;   in Loop: Header=BB430_190 Depth=2
	s_mov_b32 s8, 0
                                        ; implicit-def: $sgpr12
                                        ; implicit-def: $vgpr14
                                        ; implicit-def: $vgpr15
                                        ; implicit-def: $vgpr16
                                        ; implicit-def: $vgpr17
                                        ; implicit-def: $vgpr18
                                        ; implicit-def: $vgpr19
                                        ; implicit-def: $vgpr20
                                        ; implicit-def: $vgpr4_vgpr5
.LBB430_194:                            ;   in Loop: Header=BB430_190 Depth=2
	s_add_u32 s10, s38, s9
	s_addc_u32 s11, s39, 0
	s_mov_b32 s12, exec_lo
	v_cmpx_gt_u32_e64 s0, v1
	s_cbranch_execz .LBB430_222
; %bb.195:                              ;   in Loop: Header=BB430_190 Depth=2
	v_add_co_u32 v4, s13, s10, v1
	s_delay_alu instid0(VALU_DEP_1) | instskip(SKIP_2) | instid1(SALU_CYCLE_1)
	v_add_co_ci_u32_e64 v5, null, s11, 0, s13
	global_load_u8 v2, v[4:5], off
	s_or_b32 exec_lo, exec_lo, s12
	s_mov_b32 s12, exec_lo
	v_cmpx_gt_u32_e64 s0, v29
	s_cbranch_execnz .LBB430_223
.LBB430_196:                            ;   in Loop: Header=BB430_190 Depth=2
	s_or_b32 exec_lo, exec_lo, s12
	s_delay_alu instid0(SALU_CYCLE_1)
	s_mov_b32 s12, exec_lo
	v_cmpx_gt_u32_e64 s0, v30
	s_cbranch_execz .LBB430_224
.LBB430_197:                            ;   in Loop: Header=BB430_190 Depth=2
	v_add_co_u32 v4, s13, s10, v1
	s_delay_alu instid0(VALU_DEP_1) | instskip(SKIP_2) | instid1(SALU_CYCLE_1)
	v_add_co_ci_u32_e64 v5, null, s11, 0, s13
	global_load_u8 v7, v[4:5], off offset:512
	s_or_b32 exec_lo, exec_lo, s12
	s_mov_b32 s12, exec_lo
	v_cmpx_gt_u32_e64 s0, v31
	s_cbranch_execnz .LBB430_225
.LBB430_198:                            ;   in Loop: Header=BB430_190 Depth=2
	s_or_b32 exec_lo, exec_lo, s12
	s_delay_alu instid0(SALU_CYCLE_1)
	s_mov_b32 s12, exec_lo
	v_cmpx_gt_u32_e64 s0, v35
	s_cbranch_execz .LBB430_226
.LBB430_199:                            ;   in Loop: Header=BB430_190 Depth=2
	v_add_co_u32 v4, s13, s10, v1
	s_delay_alu instid0(VALU_DEP_1) | instskip(SKIP_2) | instid1(SALU_CYCLE_1)
	v_add_co_ci_u32_e64 v5, null, s11, 0, s13
	global_load_u8 v9, v[4:5], off offset:1024
	s_or_b32 exec_lo, exec_lo, s12
	s_mov_b32 s12, exec_lo
	v_cmpx_gt_u32_e64 s0, v36
	s_cbranch_execnz .LBB430_227
.LBB430_200:                            ;   in Loop: Header=BB430_190 Depth=2
	s_or_b32 exec_lo, exec_lo, s12
	s_delay_alu instid0(SALU_CYCLE_1)
	s_mov_b32 s12, exec_lo
	v_cmpx_gt_u32_e64 s0, v37
	s_cbranch_execz .LBB430_202
.LBB430_201:                            ;   in Loop: Header=BB430_190 Depth=2
	v_add_co_u32 v4, s13, s10, v1
	s_delay_alu instid0(VALU_DEP_1)
	v_add_co_ci_u32_e64 v5, null, s11, 0, s13
	global_load_u8 v11, v[4:5], off offset:1536
.LBB430_202:                            ;   in Loop: Header=BB430_190 Depth=2
	s_or_b32 exec_lo, exec_lo, s12
	s_delay_alu instid0(SALU_CYCLE_1)
	s_mov_b32 s13, exec_lo
                                        ; implicit-def: $sgpr12
                                        ; implicit-def: $vgpr4_vgpr5
	v_cmpx_gt_u32_e64 s0, v39
; %bb.203:                              ;   in Loop: Header=BB430_190 Depth=2
	v_add_co_u32 v4, s10, s10, v1
	s_delay_alu instid0(VALU_DEP_1) | instskip(SKIP_1) | instid1(VALU_DEP_2)
	v_add_co_ci_u32_e64 v5, null, s11, 0, s10
	s_sub_i32 s12, s29, s9
	v_add_co_u32 v4, vcc_lo, 0x700, v4
	s_delay_alu instid0(VALU_DEP_2)
	v_add_co_ci_u32_e32 v5, vcc_lo, 0, v5, vcc_lo
	s_or_b32 s8, s8, exec_lo
                                        ; implicit-def: $vgpr12
; %bb.204:                              ;   in Loop: Header=BB430_190 Depth=2
	s_or_b32 exec_lo, exec_lo, s13
	s_waitcnt vmcnt(0)
	v_dual_mov_b32 v14, v2 :: v_dual_mov_b32 v17, v8
	v_dual_mov_b32 v15, v6 :: v_dual_mov_b32 v16, v7
	;; [unrolled: 1-line block ×4, first 2 shown]
	s_and_saveexec_b32 s9, s8
	s_cbranch_execz .LBB430_206
.LBB430_205:                            ;   in Loop: Header=BB430_190 Depth=2
	global_load_u8 v12, v[4:5], off
	s_waitcnt vmcnt(1)
	v_dual_mov_b32 v13, s12 :: v_dual_mov_b32 v2, v14
	v_dual_mov_b32 v6, v15 :: v_dual_mov_b32 v7, v16
	;; [unrolled: 1-line block ×4, first 2 shown]
.LBB430_206:                            ;   in Loop: Header=BB430_190 Depth=2
	s_or_b32 exec_lo, exec_lo, s9
	s_delay_alu instid0(SALU_CYCLE_1)
	s_mov_b32 s8, exec_lo
	v_cmpx_lt_u32_e64 v1, v13
	s_cbranch_execz .LBB430_214
; %bb.207:                              ;   in Loop: Header=BB430_190 Depth=2
	v_xor_b32_e32 v4, 0x80, v2
	v_lshlrev_b32_e32 v5, 2, v32
	s_delay_alu instid0(VALU_DEP_2) | instskip(NEXT) | instid1(VALU_DEP_1)
	v_and_b32_e32 v4, 0xff, v4
	v_lshrrev_b32_e32 v4, s30, v4
	s_delay_alu instid0(VALU_DEP_1) | instskip(NEXT) | instid1(VALU_DEP_1)
	v_and_b32_e32 v4, s31, v4
	v_lshl_or_b32 v4, v4, 4, v5
	ds_add_u32 v4, v66
	s_or_b32 exec_lo, exec_lo, s8
	s_delay_alu instid0(SALU_CYCLE_1)
	s_mov_b32 s8, exec_lo
	v_cmpx_lt_u32_e64 v29, v13
	s_cbranch_execnz .LBB430_215
.LBB430_208:                            ;   in Loop: Header=BB430_190 Depth=2
	s_or_b32 exec_lo, exec_lo, s8
	s_delay_alu instid0(SALU_CYCLE_1)
	s_mov_b32 s8, exec_lo
	v_cmpx_lt_u32_e64 v30, v13
	s_cbranch_execz .LBB430_216
.LBB430_209:                            ;   in Loop: Header=BB430_190 Depth=2
	v_xor_b32_e32 v4, 0x80, v7
	v_lshlrev_b32_e32 v5, 2, v32
	s_delay_alu instid0(VALU_DEP_2) | instskip(NEXT) | instid1(VALU_DEP_1)
	v_and_b32_e32 v4, 0xff, v4
	v_lshrrev_b32_e32 v4, s30, v4
	s_delay_alu instid0(VALU_DEP_1) | instskip(NEXT) | instid1(VALU_DEP_1)
	v_and_b32_e32 v4, s31, v4
	v_lshl_or_b32 v4, v4, 4, v5
	ds_add_u32 v4, v66
	s_or_b32 exec_lo, exec_lo, s8
	s_delay_alu instid0(SALU_CYCLE_1)
	s_mov_b32 s8, exec_lo
	v_cmpx_lt_u32_e64 v31, v13
	s_cbranch_execnz .LBB430_217
.LBB430_210:                            ;   in Loop: Header=BB430_190 Depth=2
	s_or_b32 exec_lo, exec_lo, s8
	s_delay_alu instid0(SALU_CYCLE_1)
	s_mov_b32 s8, exec_lo
	v_cmpx_lt_u32_e64 v35, v13
	s_cbranch_execz .LBB430_218
.LBB430_211:                            ;   in Loop: Header=BB430_190 Depth=2
	v_xor_b32_e32 v4, 0x80, v9
	v_lshlrev_b32_e32 v5, 2, v32
	s_delay_alu instid0(VALU_DEP_2) | instskip(NEXT) | instid1(VALU_DEP_1)
	v_and_b32_e32 v4, 0xff, v4
	v_lshrrev_b32_e32 v4, s30, v4
	s_delay_alu instid0(VALU_DEP_1) | instskip(NEXT) | instid1(VALU_DEP_1)
	v_and_b32_e32 v4, s31, v4
	v_lshl_or_b32 v4, v4, 4, v5
	ds_add_u32 v4, v66
	s_or_b32 exec_lo, exec_lo, s8
	s_delay_alu instid0(SALU_CYCLE_1)
	s_mov_b32 s8, exec_lo
	v_cmpx_lt_u32_e64 v36, v13
	s_cbranch_execnz .LBB430_219
.LBB430_212:                            ;   in Loop: Header=BB430_190 Depth=2
	s_or_b32 exec_lo, exec_lo, s8
	s_delay_alu instid0(SALU_CYCLE_1)
	s_mov_b32 s8, exec_lo
	v_cmpx_lt_u32_e64 v37, v13
	s_cbranch_execz .LBB430_220
.LBB430_213:                            ;   in Loop: Header=BB430_190 Depth=2
	v_xor_b32_e32 v4, 0x80, v11
	v_lshlrev_b32_e32 v5, 2, v32
	s_delay_alu instid0(VALU_DEP_2) | instskip(NEXT) | instid1(VALU_DEP_1)
	v_and_b32_e32 v4, 0xff, v4
	v_lshrrev_b32_e32 v4, s30, v4
	s_delay_alu instid0(VALU_DEP_1) | instskip(NEXT) | instid1(VALU_DEP_1)
	v_and_b32_e32 v4, s31, v4
	v_lshl_or_b32 v4, v4, 4, v5
	ds_add_u32 v4, v66
	s_or_b32 exec_lo, exec_lo, s8
	s_delay_alu instid0(SALU_CYCLE_1)
	s_mov_b32 s8, exec_lo
	v_cmpx_lt_u32_e64 v39, v13
	s_cbranch_execz .LBB430_189
	s_branch .LBB430_221
.LBB430_214:                            ;   in Loop: Header=BB430_190 Depth=2
	s_or_b32 exec_lo, exec_lo, s8
	s_delay_alu instid0(SALU_CYCLE_1)
	s_mov_b32 s8, exec_lo
	v_cmpx_lt_u32_e64 v29, v13
	s_cbranch_execz .LBB430_208
.LBB430_215:                            ;   in Loop: Header=BB430_190 Depth=2
	v_xor_b32_e32 v4, 0x80, v6
	v_lshlrev_b32_e32 v5, 2, v32
	s_delay_alu instid0(VALU_DEP_2) | instskip(NEXT) | instid1(VALU_DEP_1)
	v_and_b32_e32 v4, 0xff, v4
	v_lshrrev_b32_e32 v4, s30, v4
	s_delay_alu instid0(VALU_DEP_1) | instskip(NEXT) | instid1(VALU_DEP_1)
	v_and_b32_e32 v4, s31, v4
	v_lshl_or_b32 v4, v4, 4, v5
	ds_add_u32 v4, v66
	s_or_b32 exec_lo, exec_lo, s8
	s_delay_alu instid0(SALU_CYCLE_1)
	s_mov_b32 s8, exec_lo
	v_cmpx_lt_u32_e64 v30, v13
	s_cbranch_execnz .LBB430_209
.LBB430_216:                            ;   in Loop: Header=BB430_190 Depth=2
	s_or_b32 exec_lo, exec_lo, s8
	s_delay_alu instid0(SALU_CYCLE_1)
	s_mov_b32 s8, exec_lo
	v_cmpx_lt_u32_e64 v31, v13
	s_cbranch_execz .LBB430_210
.LBB430_217:                            ;   in Loop: Header=BB430_190 Depth=2
	v_xor_b32_e32 v4, 0x80, v8
	v_lshlrev_b32_e32 v5, 2, v32
	s_delay_alu instid0(VALU_DEP_2) | instskip(NEXT) | instid1(VALU_DEP_1)
	v_and_b32_e32 v4, 0xff, v4
	v_lshrrev_b32_e32 v4, s30, v4
	s_delay_alu instid0(VALU_DEP_1) | instskip(NEXT) | instid1(VALU_DEP_1)
	v_and_b32_e32 v4, s31, v4
	v_lshl_or_b32 v4, v4, 4, v5
	ds_add_u32 v4, v66
	s_or_b32 exec_lo, exec_lo, s8
	s_delay_alu instid0(SALU_CYCLE_1)
	s_mov_b32 s8, exec_lo
	v_cmpx_lt_u32_e64 v35, v13
	s_cbranch_execnz .LBB430_211
.LBB430_218:                            ;   in Loop: Header=BB430_190 Depth=2
	s_or_b32 exec_lo, exec_lo, s8
	s_delay_alu instid0(SALU_CYCLE_1)
	s_mov_b32 s8, exec_lo
	v_cmpx_lt_u32_e64 v36, v13
	s_cbranch_execz .LBB430_212
.LBB430_219:                            ;   in Loop: Header=BB430_190 Depth=2
	v_xor_b32_e32 v4, 0x80, v10
	v_lshlrev_b32_e32 v5, 2, v32
	s_delay_alu instid0(VALU_DEP_2) | instskip(NEXT) | instid1(VALU_DEP_1)
	v_and_b32_e32 v4, 0xff, v4
	v_lshrrev_b32_e32 v4, s30, v4
	s_delay_alu instid0(VALU_DEP_1) | instskip(NEXT) | instid1(VALU_DEP_1)
	v_and_b32_e32 v4, s31, v4
	v_lshl_or_b32 v4, v4, 4, v5
	ds_add_u32 v4, v66
	s_or_b32 exec_lo, exec_lo, s8
	s_delay_alu instid0(SALU_CYCLE_1)
	s_mov_b32 s8, exec_lo
	v_cmpx_lt_u32_e64 v37, v13
	s_cbranch_execnz .LBB430_213
.LBB430_220:                            ;   in Loop: Header=BB430_190 Depth=2
	s_or_b32 exec_lo, exec_lo, s8
	s_delay_alu instid0(SALU_CYCLE_1)
	s_mov_b32 s8, exec_lo
	v_cmpx_lt_u32_e64 v39, v13
	s_cbranch_execz .LBB430_189
.LBB430_221:                            ;   in Loop: Header=BB430_190 Depth=2
	s_waitcnt vmcnt(0)
	v_xor_b32_e32 v4, 0x80, v12
	v_lshlrev_b32_e32 v5, 2, v32
	s_delay_alu instid0(VALU_DEP_2) | instskip(NEXT) | instid1(VALU_DEP_1)
	v_and_b32_e32 v4, 0xff, v4
	v_lshrrev_b32_e32 v4, s30, v4
	s_delay_alu instid0(VALU_DEP_1) | instskip(NEXT) | instid1(VALU_DEP_1)
	v_and_b32_e32 v4, s31, v4
	v_lshl_or_b32 v4, v4, 4, v5
	ds_add_u32 v4, v66
	s_branch .LBB430_189
.LBB430_222:                            ;   in Loop: Header=BB430_190 Depth=2
	s_or_b32 exec_lo, exec_lo, s12
	s_delay_alu instid0(SALU_CYCLE_1)
	s_mov_b32 s12, exec_lo
	v_cmpx_gt_u32_e64 s0, v29
	s_cbranch_execz .LBB430_196
.LBB430_223:                            ;   in Loop: Header=BB430_190 Depth=2
	v_add_co_u32 v4, s13, s10, v1
	s_delay_alu instid0(VALU_DEP_1) | instskip(SKIP_2) | instid1(SALU_CYCLE_1)
	v_add_co_ci_u32_e64 v5, null, s11, 0, s13
	global_load_u8 v6, v[4:5], off offset:256
	s_or_b32 exec_lo, exec_lo, s12
	s_mov_b32 s12, exec_lo
	v_cmpx_gt_u32_e64 s0, v30
	s_cbranch_execnz .LBB430_197
.LBB430_224:                            ;   in Loop: Header=BB430_190 Depth=2
	s_or_b32 exec_lo, exec_lo, s12
	s_delay_alu instid0(SALU_CYCLE_1)
	s_mov_b32 s12, exec_lo
	v_cmpx_gt_u32_e64 s0, v31
	s_cbranch_execz .LBB430_198
.LBB430_225:                            ;   in Loop: Header=BB430_190 Depth=2
	v_add_co_u32 v4, s13, s10, v1
	s_delay_alu instid0(VALU_DEP_1) | instskip(SKIP_2) | instid1(SALU_CYCLE_1)
	v_add_co_ci_u32_e64 v5, null, s11, 0, s13
	global_load_u8 v8, v[4:5], off offset:768
	s_or_b32 exec_lo, exec_lo, s12
	s_mov_b32 s12, exec_lo
	v_cmpx_gt_u32_e64 s0, v35
	s_cbranch_execnz .LBB430_199
.LBB430_226:                            ;   in Loop: Header=BB430_190 Depth=2
	s_or_b32 exec_lo, exec_lo, s12
	s_delay_alu instid0(SALU_CYCLE_1)
	s_mov_b32 s12, exec_lo
	v_cmpx_gt_u32_e64 s0, v36
	s_cbranch_execz .LBB430_200
.LBB430_227:                            ;   in Loop: Header=BB430_190 Depth=2
	v_add_co_u32 v4, s13, s10, v1
	s_delay_alu instid0(VALU_DEP_1) | instskip(SKIP_2) | instid1(SALU_CYCLE_1)
	v_add_co_ci_u32_e64 v5, null, s11, 0, s13
	global_load_u8 v10, v[4:5], off offset:1280
	s_or_b32 exec_lo, exec_lo, s12
	s_mov_b32 s12, exec_lo
	v_cmpx_gt_u32_e64 s0, v37
	s_cbranch_execz .LBB430_202
	s_branch .LBB430_201
.LBB430_228:                            ;   in Loop: Header=BB430_20 Depth=1
	v_mov_b32_e32 v2, 0
	s_waitcnt vmcnt(0) lgkmcnt(0)
	s_barrier
	buffer_gl0_inv
	s_and_saveexec_b32 s0, s2
	s_cbranch_execz .LBB430_230
; %bb.229:                              ;   in Loop: Header=BB430_20 Depth=1
	ds_load_2addr_b64 v[4:7], v40 offset1:1
	s_waitcnt lgkmcnt(0)
	v_add_nc_u32_e32 v2, v5, v4
	s_delay_alu instid0(VALU_DEP_1)
	v_add3_u32 v2, v2, v6, v7
.LBB430_230:                            ;   in Loop: Header=BB430_20 Depth=1
	s_or_b32 exec_lo, exec_lo, s0
	v_and_b32_e32 v4, 15, v63
	s_delay_alu instid0(VALU_DEP_2) | instskip(SKIP_1) | instid1(VALU_DEP_3)
	v_mov_b32_dpp v5, v2 row_shr:1 row_mask:0xf bank_mask:0xf
	v_and_b32_e32 v6, 16, v63
	v_cmp_eq_u32_e64 s0, 0, v4
	v_cmp_lt_u32_e64 s1, 1, v4
	v_cmp_lt_u32_e64 s8, 3, v4
	;; [unrolled: 1-line block ×3, first 2 shown]
	v_cmp_eq_u32_e64 s10, 0, v6
	v_cndmask_b32_e64 v5, v5, 0, s0
	s_delay_alu instid0(VALU_DEP_1) | instskip(NEXT) | instid1(VALU_DEP_1)
	v_add_nc_u32_e32 v2, v5, v2
	v_mov_b32_dpp v5, v2 row_shr:2 row_mask:0xf bank_mask:0xf
	s_delay_alu instid0(VALU_DEP_1) | instskip(NEXT) | instid1(VALU_DEP_1)
	v_cndmask_b32_e64 v5, 0, v5, s1
	v_add_nc_u32_e32 v2, v2, v5
	s_delay_alu instid0(VALU_DEP_1) | instskip(NEXT) | instid1(VALU_DEP_1)
	v_mov_b32_dpp v5, v2 row_shr:4 row_mask:0xf bank_mask:0xf
	v_cndmask_b32_e64 v5, 0, v5, s8
	s_delay_alu instid0(VALU_DEP_1) | instskip(NEXT) | instid1(VALU_DEP_1)
	v_add_nc_u32_e32 v2, v2, v5
	v_mov_b32_dpp v5, v2 row_shr:8 row_mask:0xf bank_mask:0xf
	s_delay_alu instid0(VALU_DEP_1) | instskip(SKIP_1) | instid1(VALU_DEP_2)
	v_cndmask_b32_e64 v4, 0, v5, s9
	v_bfe_i32 v5, v63, 4, 1
	v_add_nc_u32_e32 v2, v2, v4
	ds_swizzle_b32 v4, v2 offset:swizzle(BROADCAST,32,15)
	s_waitcnt lgkmcnt(0)
	v_and_b32_e32 v4, v5, v4
	s_delay_alu instid0(VALU_DEP_1)
	v_add_nc_u32_e32 v4, v2, v4
	s_and_saveexec_b32 s11, s3
	s_cbranch_execz .LBB430_232
; %bb.231:                              ;   in Loop: Header=BB430_20 Depth=1
	ds_store_b32 v41, v4
.LBB430_232:                            ;   in Loop: Header=BB430_20 Depth=1
	s_or_b32 exec_lo, exec_lo, s11
	v_and_b32_e32 v2, 7, v63
	s_waitcnt lgkmcnt(0)
	s_barrier
	buffer_gl0_inv
	s_and_saveexec_b32 s11, s4
	s_cbranch_execz .LBB430_234
; %bb.233:                              ;   in Loop: Header=BB430_20 Depth=1
	ds_load_b32 v5, v42
	v_cmp_ne_u32_e32 vcc_lo, 0, v2
	s_waitcnt lgkmcnt(0)
	v_mov_b32_dpp v6, v5 row_shr:1 row_mask:0xf bank_mask:0xf
	s_delay_alu instid0(VALU_DEP_1) | instskip(SKIP_1) | instid1(VALU_DEP_2)
	v_cndmask_b32_e32 v6, 0, v6, vcc_lo
	v_cmp_lt_u32_e32 vcc_lo, 1, v2
	v_add_nc_u32_e32 v5, v6, v5
	s_delay_alu instid0(VALU_DEP_1) | instskip(NEXT) | instid1(VALU_DEP_1)
	v_mov_b32_dpp v6, v5 row_shr:2 row_mask:0xf bank_mask:0xf
	v_cndmask_b32_e32 v6, 0, v6, vcc_lo
	v_cmp_lt_u32_e32 vcc_lo, 3, v2
	s_delay_alu instid0(VALU_DEP_2) | instskip(NEXT) | instid1(VALU_DEP_1)
	v_add_nc_u32_e32 v5, v5, v6
	v_mov_b32_dpp v6, v5 row_shr:4 row_mask:0xf bank_mask:0xf
	s_delay_alu instid0(VALU_DEP_1) | instskip(NEXT) | instid1(VALU_DEP_1)
	v_cndmask_b32_e32 v6, 0, v6, vcc_lo
	v_add_nc_u32_e32 v5, v5, v6
	ds_store_b32 v42, v5
.LBB430_234:                            ;   in Loop: Header=BB430_20 Depth=1
	s_or_b32 exec_lo, exec_lo, s11
	v_mov_b32_e32 v5, 0
	s_waitcnt lgkmcnt(0)
	s_barrier
	buffer_gl0_inv
	s_and_saveexec_b32 s11, s5
	s_cbranch_execz .LBB430_236
; %bb.235:                              ;   in Loop: Header=BB430_20 Depth=1
	ds_load_b32 v5, v43
.LBB430_236:                            ;   in Loop: Header=BB430_20 Depth=1
	s_or_b32 exec_lo, exec_lo, s11
	v_add_nc_u32_e32 v6, -1, v63
	s_waitcnt lgkmcnt(0)
	v_add_nc_u32_e32 v4, v5, v4
	v_cmp_eq_u32_e64 s11, 0, v63
	s_barrier
	v_cmp_gt_i32_e32 vcc_lo, 0, v6
	buffer_gl0_inv
	v_cndmask_b32_e32 v6, v6, v63, vcc_lo
	s_delay_alu instid0(VALU_DEP_1)
	v_lshlrev_b32_e32 v69, 2, v6
	ds_bpermute_b32 v4, v69, v4
	s_and_saveexec_b32 s12, s2
	s_cbranch_execz .LBB430_238
; %bb.237:                              ;   in Loop: Header=BB430_20 Depth=1
	s_waitcnt lgkmcnt(0)
	v_cndmask_b32_e64 v4, v4, v5, s11
	s_delay_alu instid0(VALU_DEP_1)
	v_add_nc_u32_e32 v4, s28, v4
	ds_store_b32 v28, v4
.LBB430_238:                            ;   in Loop: Header=BB430_20 Depth=1
	s_or_b32 exec_lo, exec_lo, s12
	s_load_b64 s[12:13], s[26:27], 0x0
	v_add_co_u32 v71, vcc_lo, v57, v63
	v_add_co_ci_u32_e32 v72, vcc_lo, 0, v58, vcc_lo
	v_or_b32_e32 v70, v63, v44
	s_mov_b32 s35, s34
	s_mov_b32 s24, s28
                                        ; implicit-def: $vgpr8_vgpr9
                                        ; implicit-def: $vgpr10_vgpr11
                                        ; implicit-def: $vgpr12_vgpr13
                                        ; implicit-def: $vgpr14_vgpr15
                                        ; implicit-def: $vgpr16_vgpr17
                                        ; implicit-def: $vgpr18_vgpr19
                                        ; implicit-def: $vgpr85
                                        ; implicit-def: $vgpr86
                                        ; implicit-def: $vgpr87
                                        ; implicit-def: $vgpr88
                                        ; implicit-def: $vgpr89
                                        ; implicit-def: $vgpr90
                                        ; implicit-def: $vgpr91
                                        ; implicit-def: $vgpr92
	s_delay_alu instid0(VALU_DEP_1)
	v_or_b32_e32 v75, 32, v70
	v_or_b32_e32 v76, 64, v70
	v_or_b32_e32 v77, 0x60, v70
	v_or_b32_e32 v78, 0x80, v70
	v_or_b32_e32 v79, 0xa0, v70
	v_or_b32_e32 v80, 0xc0, v70
	v_or_b32_e32 v81, 0xe0, v70
	s_waitcnt lgkmcnt(0)
	s_cmp_lt_u32 s15, s13
	s_cselect_b32 s13, 14, 20
	s_delay_alu instid0(SALU_CYCLE_1) | instskip(SKIP_4) | instid1(SALU_CYCLE_1)
	s_add_u32 s16, s26, s13
	s_addc_u32 s17, s27, 0
	s_cmp_lt_u32 s14, s12
	global_load_u16 v4, v3, s[16:17]
	s_cselect_b32 s12, 12, 18
	s_add_u32 s12, s26, s12
	s_addc_u32 s13, s27, 0
	global_load_u16 v6, v3, s[12:13]
	v_cmp_eq_u32_e64 s12, 0, v2
	v_cmp_lt_u32_e64 s13, 1, v2
	v_cmp_lt_u32_e64 s16, 3, v2
	v_lshlrev_b32_e32 v2, 3, v63
	s_delay_alu instid0(VALU_DEP_1)
	v_add_co_u32 v73, vcc_lo, v55, v2
	v_add_co_ci_u32_e32 v74, vcc_lo, 0, v56, vcc_lo
	v_add_co_u32 v83, vcc_lo, 0xe0, v71
	v_add_co_ci_u32_e32 v84, vcc_lo, 0, v72, vcc_lo
	s_waitcnt vmcnt(1)
	v_mad_u32_u24 v7, v45, v4, v0
	s_waitcnt vmcnt(0)
	s_delay_alu instid0(VALU_DEP_1) | instskip(NEXT) | instid1(VALU_DEP_1)
	v_mad_u64_u32 v[4:5], null, v7, v6, v[1:2]
                                        ; implicit-def: $vgpr6_vgpr7
	v_lshrrev_b32_e32 v82, 5, v4
                                        ; implicit-def: $vgpr4_vgpr5
	s_branch .LBB430_240
.LBB430_239:                            ;   in Loop: Header=BB430_240 Depth=2
	s_or_b32 exec_lo, exec_lo, s17
	s_addk_i32 s35, 0xf800
	s_cmp_lt_u32 s42, s29
	s_mov_b32 s24, s42
	s_cbranch_scc0 .LBB430_352
.LBB430_240:                            ;   Parent Loop BB430_20 Depth=1
                                        ; =>  This Inner Loop Header: Depth=2
	s_add_i32 s42, s24, 0x800
	s_delay_alu instid0(SALU_CYCLE_1)
	s_cmp_gt_u32 s42, s29
	s_cbranch_scc1 .LBB430_243
; %bb.241:                              ;   in Loop: Header=BB430_240 Depth=2
	v_add_co_u32 v20, vcc_lo, v71, s24
	v_add_co_ci_u32_e32 v21, vcc_lo, 0, v72, vcc_lo
	s_mov_b32 s19, 0
	s_mov_b32 s18, s24
	s_mov_b32 s20, -1
	s_clause 0x6
	global_load_u8 v23, v[20:21], off offset:192
	global_load_u8 v24, v[20:21], off offset:160
	;; [unrolled: 1-line block ×6, first 2 shown]
	global_load_u8 v93, v[20:21], off
	s_movk_i32 s17, 0x800
	s_cbranch_execz .LBB430_244
; %bb.242:                              ;   in Loop: Header=BB430_240 Depth=2
                                        ; implicit-def: $vgpr22
	v_mov_b32_e32 v2, s35
	s_and_saveexec_b32 s21, s20
	s_cbranch_execnz .LBB430_253
	s_branch .LBB430_254
.LBB430_243:                            ;   in Loop: Header=BB430_240 Depth=2
	s_mov_b32 s19, -1
	s_mov_b32 s20, 0
                                        ; implicit-def: $sgpr17
                                        ; implicit-def: $vgpr93
                                        ; implicit-def: $vgpr95
                                        ; implicit-def: $vgpr27
                                        ; implicit-def: $vgpr26
                                        ; implicit-def: $vgpr25
                                        ; implicit-def: $vgpr24
                                        ; implicit-def: $vgpr23
.LBB430_244:                            ;   in Loop: Header=BB430_240 Depth=2
	v_add_co_u32 v20, vcc_lo, v71, s24
	v_add_co_ci_u32_e32 v21, vcc_lo, 0, v72, vcc_lo
	s_waitcnt vmcnt(0)
	v_dual_mov_b32 v93, 0x7f :: v_dual_mov_b32 v22, 0x7f
	v_dual_mov_b32 v95, 0x7f :: v_dual_mov_b32 v26, 0x7f
	;; [unrolled: 1-line block ×3, first 2 shown]
	v_mov_b32_e32 v25, 0x7f
	v_mov_b32_e32 v23, 0x7f
	s_mov_b32 s17, exec_lo
	v_cmpx_gt_u32_e64 s35, v70
	s_cbranch_execz .LBB430_346
; %bb.245:                              ;   in Loop: Header=BB430_240 Depth=2
	global_load_u8 v93, v[20:21], off
	v_dual_mov_b32 v95, 0x7f :: v_dual_mov_b32 v26, 0x7f
	v_dual_mov_b32 v27, 0x7f :: v_dual_mov_b32 v24, 0x7f
	v_dual_mov_b32 v25, 0x7f :: v_dual_mov_b32 v22, 0x7f
	v_mov_b32_e32 v23, 0x7f
	s_or_b32 exec_lo, exec_lo, s17
	s_delay_alu instid0(SALU_CYCLE_1)
	s_mov_b32 s17, exec_lo
	v_cmpx_gt_u32_e64 s35, v75
	s_cbranch_execnz .LBB430_347
.LBB430_246:                            ;   in Loop: Header=BB430_240 Depth=2
	s_or_b32 exec_lo, exec_lo, s17
	s_delay_alu instid0(SALU_CYCLE_1)
	s_mov_b32 s17, exec_lo
	v_cmpx_gt_u32_e64 s35, v76
	s_cbranch_execz .LBB430_348
.LBB430_247:                            ;   in Loop: Header=BB430_240 Depth=2
	global_load_u8 v27, v[20:21], off offset:64
	s_or_b32 exec_lo, exec_lo, s17
	s_delay_alu instid0(SALU_CYCLE_1)
	s_mov_b32 s17, exec_lo
	v_cmpx_gt_u32_e64 s35, v77
	s_cbranch_execnz .LBB430_349
.LBB430_248:                            ;   in Loop: Header=BB430_240 Depth=2
	s_or_b32 exec_lo, exec_lo, s17
	s_delay_alu instid0(SALU_CYCLE_1)
	s_mov_b32 s17, exec_lo
	v_cmpx_gt_u32_e64 s35, v78
	s_cbranch_execz .LBB430_350
.LBB430_249:                            ;   in Loop: Header=BB430_240 Depth=2
	global_load_u8 v25, v[20:21], off offset:128
	s_or_b32 exec_lo, exec_lo, s17
	s_delay_alu instid0(SALU_CYCLE_1)
	s_mov_b32 s17, exec_lo
	v_cmpx_gt_u32_e64 s35, v79
	s_cbranch_execnz .LBB430_351
.LBB430_250:                            ;   in Loop: Header=BB430_240 Depth=2
	s_or_b32 exec_lo, exec_lo, s17
	s_delay_alu instid0(SALU_CYCLE_1)
	s_mov_b32 s17, exec_lo
	v_cmpx_gt_u32_e64 s35, v80
	s_cbranch_execz .LBB430_252
.LBB430_251:                            ;   in Loop: Header=BB430_240 Depth=2
	global_load_u8 v23, v[20:21], off offset:192
.LBB430_252:                            ;   in Loop: Header=BB430_240 Depth=2
	s_or_b32 exec_lo, exec_lo, s17
	v_cmp_gt_u32_e64 s20, s35, v81
	s_sub_i32 s17, s29, s24
	s_mov_b64 s[18:19], s[24:25]
	v_mov_b32_e32 v2, s35
	s_delay_alu instid0(VALU_DEP_2)
	s_and_saveexec_b32 s21, s20
	s_cbranch_execz .LBB430_254
.LBB430_253:                            ;   in Loop: Header=BB430_240 Depth=2
	v_add_co_u32 v20, vcc_lo, v83, s18
	v_add_co_ci_u32_e32 v21, vcc_lo, s19, v84, vcc_lo
	v_mov_b32_e32 v2, s17
	global_load_u8 v22, v[20:21], off
.LBB430_254:                            ;   in Loop: Header=BB430_240 Depth=2
	s_or_b32 exec_lo, exec_lo, s21
	s_waitcnt vmcnt(0)
	v_xor_b32_e32 v93, 0xffffff80, v93
	ds_store_b32 v46, v3 offset:1056
	ds_store_2addr_b32 v47, v3, v3 offset0:1 offset1:2
	ds_store_2addr_b32 v47, v3, v3 offset0:3 offset1:4
	;; [unrolled: 1-line block ×4, first 2 shown]
	s_waitcnt lgkmcnt(0)
	s_barrier
	v_and_b32_e32 v20, 0xff, v93
	buffer_gl0_inv
	; wave barrier
	v_lshrrev_b32_e32 v20, s30, v20
	s_delay_alu instid0(VALU_DEP_1) | instskip(NEXT) | instid1(VALU_DEP_1)
	v_and_b32_e32 v21, s31, v20
	v_and_b32_e32 v20, 1, v21
	v_lshlrev_b32_e32 v94, 30, v21
	v_lshlrev_b32_e32 v96, 29, v21
	;; [unrolled: 1-line block ×4, first 2 shown]
	v_add_co_u32 v20, s17, v20, -1
	s_delay_alu instid0(VALU_DEP_1)
	v_cndmask_b32_e64 v98, 0, 1, s17
	v_not_b32_e32 v102, v94
	v_cmp_gt_i32_e64 s17, 0, v94
	v_not_b32_e32 v94, v96
	v_lshlrev_b32_e32 v100, 26, v21
	v_cmp_ne_u32_e32 vcc_lo, 0, v98
	v_ashrrev_i32_e32 v102, 31, v102
	v_lshlrev_b32_e32 v101, 25, v21
	v_ashrrev_i32_e32 v94, 31, v94
	v_lshlrev_b32_e32 v98, 24, v21
	v_xor_b32_e32 v20, vcc_lo, v20
	v_cmp_gt_i32_e32 vcc_lo, 0, v96
	v_not_b32_e32 v96, v97
	v_xor_b32_e32 v102, s17, v102
	v_cmp_gt_i32_e64 s17, 0, v97
	v_and_b32_e32 v20, exec_lo, v20
	v_not_b32_e32 v97, v99
	v_ashrrev_i32_e32 v96, 31, v96
	v_xor_b32_e32 v94, vcc_lo, v94
	v_cmp_gt_i32_e32 vcc_lo, 0, v99
	v_and_b32_e32 v20, v20, v102
	v_not_b32_e32 v99, v100
	v_ashrrev_i32_e32 v97, 31, v97
	v_xor_b32_e32 v96, s17, v96
	v_cmp_gt_i32_e64 s17, 0, v100
	v_and_b32_e32 v20, v20, v94
	v_not_b32_e32 v94, v101
	v_ashrrev_i32_e32 v99, 31, v99
	v_xor_b32_e32 v97, vcc_lo, v97
	v_cmp_gt_i32_e32 vcc_lo, 0, v101
	v_and_b32_e32 v20, v20, v96
	v_not_b32_e32 v96, v98
	v_ashrrev_i32_e32 v94, 31, v94
	v_xor_b32_e32 v99, s17, v99
	v_cmp_gt_i32_e64 s17, 0, v98
	v_and_b32_e32 v20, v20, v97
	v_ashrrev_i32_e32 v96, 31, v96
	v_xor_b32_e32 v94, vcc_lo, v94
	v_mad_u32_u24 v21, v21, 9, v82
	s_delay_alu instid0(VALU_DEP_4) | instskip(NEXT) | instid1(VALU_DEP_4)
	v_and_b32_e32 v20, v20, v99
	v_xor_b32_e32 v96, s17, v96
	s_delay_alu instid0(VALU_DEP_2) | instskip(NEXT) | instid1(VALU_DEP_1)
	v_and_b32_e32 v20, v20, v94
	v_and_b32_e32 v20, v20, v96
	v_lshl_add_u32 v96, v21, 2, 0x420
	s_delay_alu instid0(VALU_DEP_2) | instskip(SKIP_1) | instid1(VALU_DEP_2)
	v_mbcnt_lo_u32_b32 v94, v20, 0
	v_cmp_ne_u32_e64 s17, 0, v20
	v_cmp_eq_u32_e32 vcc_lo, 0, v94
	s_delay_alu instid0(VALU_DEP_2) | instskip(NEXT) | instid1(SALU_CYCLE_1)
	s_and_b32 s18, s17, vcc_lo
	s_and_saveexec_b32 s17, s18
	s_cbranch_execz .LBB430_256
; %bb.255:                              ;   in Loop: Header=BB430_240 Depth=2
	v_bcnt_u32_b32 v20, v20, 0
	ds_store_b32 v96, v20
.LBB430_256:                            ;   in Loop: Header=BB430_240 Depth=2
	s_or_b32 exec_lo, exec_lo, s17
	v_xor_b32_e32 v95, 0xffffff80, v95
	; wave barrier
	s_delay_alu instid0(VALU_DEP_1) | instskip(NEXT) | instid1(VALU_DEP_1)
	v_and_b32_e32 v20, 0xff, v95
	v_lshrrev_b32_e32 v20, s30, v20
	s_delay_alu instid0(VALU_DEP_1) | instskip(NEXT) | instid1(VALU_DEP_1)
	v_and_b32_e32 v20, s31, v20
	v_and_b32_e32 v21, 1, v20
	v_lshlrev_b32_e32 v97, 30, v20
	v_lshlrev_b32_e32 v98, 29, v20
	;; [unrolled: 1-line block ×4, first 2 shown]
	v_add_co_u32 v21, s17, v21, -1
	s_delay_alu instid0(VALU_DEP_1)
	v_cndmask_b32_e64 v100, 0, 1, s17
	v_not_b32_e32 v104, v97
	v_cmp_gt_i32_e64 s17, 0, v97
	v_not_b32_e32 v97, v98
	v_lshlrev_b32_e32 v102, 26, v20
	v_cmp_ne_u32_e32 vcc_lo, 0, v100
	v_ashrrev_i32_e32 v104, 31, v104
	v_lshlrev_b32_e32 v103, 25, v20
	v_ashrrev_i32_e32 v97, 31, v97
	v_lshlrev_b32_e32 v100, 24, v20
	v_xor_b32_e32 v21, vcc_lo, v21
	v_cmp_gt_i32_e32 vcc_lo, 0, v98
	v_not_b32_e32 v98, v99
	v_xor_b32_e32 v104, s17, v104
	v_cmp_gt_i32_e64 s17, 0, v99
	v_and_b32_e32 v21, exec_lo, v21
	v_not_b32_e32 v99, v101
	v_ashrrev_i32_e32 v98, 31, v98
	v_xor_b32_e32 v97, vcc_lo, v97
	v_cmp_gt_i32_e32 vcc_lo, 0, v101
	v_and_b32_e32 v21, v21, v104
	v_not_b32_e32 v101, v102
	v_ashrrev_i32_e32 v99, 31, v99
	v_xor_b32_e32 v98, s17, v98
	v_cmp_gt_i32_e64 s17, 0, v102
	v_and_b32_e32 v21, v21, v97
	v_not_b32_e32 v97, v103
	v_ashrrev_i32_e32 v101, 31, v101
	v_xor_b32_e32 v99, vcc_lo, v99
	v_cmp_gt_i32_e32 vcc_lo, 0, v103
	v_and_b32_e32 v21, v21, v98
	v_not_b32_e32 v98, v100
	v_ashrrev_i32_e32 v97, 31, v97
	v_xor_b32_e32 v101, s17, v101
	v_mul_u32_u24_e32 v20, 9, v20
	v_and_b32_e32 v21, v21, v99
	v_cmp_gt_i32_e64 s17, 0, v100
	v_ashrrev_i32_e32 v98, 31, v98
	v_xor_b32_e32 v97, vcc_lo, v97
	v_add_lshl_u32 v99, v20, v82, 2
	v_and_b32_e32 v21, v21, v101
	s_delay_alu instid0(VALU_DEP_4) | instskip(NEXT) | instid1(VALU_DEP_3)
	v_xor_b32_e32 v20, s17, v98
	v_add_nc_u32_e32 v100, 0x420, v99
	s_delay_alu instid0(VALU_DEP_3) | instskip(SKIP_2) | instid1(VALU_DEP_1)
	v_and_b32_e32 v21, v21, v97
	ds_load_b32 v97, v99 offset:1056
	; wave barrier
	v_and_b32_e32 v20, v21, v20
	v_mbcnt_lo_u32_b32 v98, v20, 0
	v_cmp_ne_u32_e64 s17, 0, v20
	s_delay_alu instid0(VALU_DEP_2) | instskip(NEXT) | instid1(VALU_DEP_2)
	v_cmp_eq_u32_e32 vcc_lo, 0, v98
	s_and_b32 s18, s17, vcc_lo
	s_delay_alu instid0(SALU_CYCLE_1)
	s_and_saveexec_b32 s17, s18
	s_cbranch_execz .LBB430_258
; %bb.257:                              ;   in Loop: Header=BB430_240 Depth=2
	s_waitcnt lgkmcnt(0)
	v_bcnt_u32_b32 v20, v20, v97
	ds_store_b32 v100, v20
.LBB430_258:                            ;   in Loop: Header=BB430_240 Depth=2
	s_or_b32 exec_lo, exec_lo, s17
	v_xor_b32_e32 v99, 0xffffff80, v27
	; wave barrier
	s_delay_alu instid0(VALU_DEP_1) | instskip(NEXT) | instid1(VALU_DEP_1)
	v_and_b32_e32 v20, 0xff, v99
	v_lshrrev_b32_e32 v20, s30, v20
	s_delay_alu instid0(VALU_DEP_1) | instskip(NEXT) | instid1(VALU_DEP_1)
	v_and_b32_e32 v20, s31, v20
	v_and_b32_e32 v21, 1, v20
	v_lshlrev_b32_e32 v27, 30, v20
	v_lshlrev_b32_e32 v101, 29, v20
	;; [unrolled: 1-line block ×4, first 2 shown]
	v_add_co_u32 v21, s17, v21, -1
	s_delay_alu instid0(VALU_DEP_1)
	v_cndmask_b32_e64 v103, 0, 1, s17
	v_not_b32_e32 v107, v27
	v_cmp_gt_i32_e64 s17, 0, v27
	v_not_b32_e32 v27, v101
	v_lshlrev_b32_e32 v105, 26, v20
	v_cmp_ne_u32_e32 vcc_lo, 0, v103
	v_ashrrev_i32_e32 v107, 31, v107
	v_lshlrev_b32_e32 v106, 25, v20
	v_ashrrev_i32_e32 v27, 31, v27
	v_lshlrev_b32_e32 v103, 24, v20
	v_xor_b32_e32 v21, vcc_lo, v21
	v_cmp_gt_i32_e32 vcc_lo, 0, v101
	v_not_b32_e32 v101, v102
	v_xor_b32_e32 v107, s17, v107
	v_cmp_gt_i32_e64 s17, 0, v102
	v_and_b32_e32 v21, exec_lo, v21
	v_not_b32_e32 v102, v104
	v_ashrrev_i32_e32 v101, 31, v101
	v_xor_b32_e32 v27, vcc_lo, v27
	v_cmp_gt_i32_e32 vcc_lo, 0, v104
	v_and_b32_e32 v21, v21, v107
	v_not_b32_e32 v104, v105
	v_ashrrev_i32_e32 v102, 31, v102
	v_xor_b32_e32 v101, s17, v101
	v_cmp_gt_i32_e64 s17, 0, v105
	v_and_b32_e32 v21, v21, v27
	v_not_b32_e32 v27, v106
	v_ashrrev_i32_e32 v104, 31, v104
	v_xor_b32_e32 v102, vcc_lo, v102
	v_cmp_gt_i32_e32 vcc_lo, 0, v106
	v_and_b32_e32 v21, v21, v101
	v_not_b32_e32 v101, v103
	v_ashrrev_i32_e32 v27, 31, v27
	v_xor_b32_e32 v104, s17, v104
	v_mul_u32_u24_e32 v20, 9, v20
	v_and_b32_e32 v21, v21, v102
	v_cmp_gt_i32_e64 s17, 0, v103
	v_ashrrev_i32_e32 v101, 31, v101
	v_xor_b32_e32 v27, vcc_lo, v27
	v_add_lshl_u32 v103, v20, v82, 2
	v_and_b32_e32 v21, v21, v104
	s_delay_alu instid0(VALU_DEP_4) | instskip(SKIP_3) | instid1(VALU_DEP_2)
	v_xor_b32_e32 v20, s17, v101
	ds_load_b32 v101, v103 offset:1056
	v_and_b32_e32 v21, v21, v27
	v_add_nc_u32_e32 v104, 0x420, v103
	; wave barrier
	v_and_b32_e32 v20, v21, v20
	s_delay_alu instid0(VALU_DEP_1) | instskip(SKIP_1) | instid1(VALU_DEP_2)
	v_mbcnt_lo_u32_b32 v102, v20, 0
	v_cmp_ne_u32_e64 s17, 0, v20
	v_cmp_eq_u32_e32 vcc_lo, 0, v102
	s_delay_alu instid0(VALU_DEP_2) | instskip(NEXT) | instid1(SALU_CYCLE_1)
	s_and_b32 s18, s17, vcc_lo
	s_and_saveexec_b32 s17, s18
	s_cbranch_execz .LBB430_260
; %bb.259:                              ;   in Loop: Header=BB430_240 Depth=2
	s_waitcnt lgkmcnt(0)
	v_bcnt_u32_b32 v20, v20, v101
	ds_store_b32 v104, v20
.LBB430_260:                            ;   in Loop: Header=BB430_240 Depth=2
	s_or_b32 exec_lo, exec_lo, s17
	v_xor_b32_e32 v103, 0xffffff80, v26
	; wave barrier
	s_delay_alu instid0(VALU_DEP_1) | instskip(NEXT) | instid1(VALU_DEP_1)
	v_and_b32_e32 v20, 0xff, v103
	v_lshrrev_b32_e32 v20, s30, v20
	s_delay_alu instid0(VALU_DEP_1) | instskip(NEXT) | instid1(VALU_DEP_1)
	v_and_b32_e32 v20, s31, v20
	v_and_b32_e32 v21, 1, v20
	v_lshlrev_b32_e32 v26, 30, v20
	v_lshlrev_b32_e32 v27, 29, v20
	;; [unrolled: 1-line block ×4, first 2 shown]
	v_add_co_u32 v21, s17, v21, -1
	s_delay_alu instid0(VALU_DEP_1)
	v_cndmask_b32_e64 v106, 0, 1, s17
	v_not_b32_e32 v110, v26
	v_cmp_gt_i32_e64 s17, 0, v26
	v_not_b32_e32 v26, v27
	v_lshlrev_b32_e32 v108, 26, v20
	v_cmp_ne_u32_e32 vcc_lo, 0, v106
	v_ashrrev_i32_e32 v110, 31, v110
	v_lshlrev_b32_e32 v109, 25, v20
	v_ashrrev_i32_e32 v26, 31, v26
	v_lshlrev_b32_e32 v106, 24, v20
	v_xor_b32_e32 v21, vcc_lo, v21
	v_cmp_gt_i32_e32 vcc_lo, 0, v27
	v_not_b32_e32 v27, v105
	v_xor_b32_e32 v110, s17, v110
	v_cmp_gt_i32_e64 s17, 0, v105
	v_and_b32_e32 v21, exec_lo, v21
	v_not_b32_e32 v105, v107
	v_ashrrev_i32_e32 v27, 31, v27
	v_xor_b32_e32 v26, vcc_lo, v26
	v_cmp_gt_i32_e32 vcc_lo, 0, v107
	v_and_b32_e32 v21, v21, v110
	v_not_b32_e32 v107, v108
	v_ashrrev_i32_e32 v105, 31, v105
	v_xor_b32_e32 v27, s17, v27
	v_cmp_gt_i32_e64 s17, 0, v108
	v_and_b32_e32 v21, v21, v26
	v_not_b32_e32 v26, v109
	v_ashrrev_i32_e32 v107, 31, v107
	v_xor_b32_e32 v105, vcc_lo, v105
	v_cmp_gt_i32_e32 vcc_lo, 0, v109
	v_and_b32_e32 v21, v21, v27
	v_not_b32_e32 v27, v106
	v_ashrrev_i32_e32 v26, 31, v26
	v_xor_b32_e32 v107, s17, v107
	v_mul_u32_u24_e32 v20, 9, v20
	v_and_b32_e32 v21, v21, v105
	v_cmp_gt_i32_e64 s17, 0, v106
	v_ashrrev_i32_e32 v27, 31, v27
	v_xor_b32_e32 v26, vcc_lo, v26
	s_delay_alu instid0(VALU_DEP_4) | instskip(SKIP_1) | instid1(VALU_DEP_4)
	v_and_b32_e32 v21, v21, v107
	v_add_lshl_u32 v107, v20, v82, 2
	v_xor_b32_e32 v20, s17, v27
	s_delay_alu instid0(VALU_DEP_3) | instskip(SKIP_3) | instid1(VALU_DEP_1)
	v_and_b32_e32 v21, v21, v26
	ds_load_b32 v105, v107 offset:1056
	v_add_nc_u32_e32 v108, 0x420, v107
	; wave barrier
	v_and_b32_e32 v20, v21, v20
	v_mbcnt_lo_u32_b32 v106, v20, 0
	v_cmp_ne_u32_e64 s17, 0, v20
	s_delay_alu instid0(VALU_DEP_2) | instskip(NEXT) | instid1(VALU_DEP_2)
	v_cmp_eq_u32_e32 vcc_lo, 0, v106
	s_and_b32 s18, s17, vcc_lo
	s_delay_alu instid0(SALU_CYCLE_1)
	s_and_saveexec_b32 s17, s18
	s_cbranch_execz .LBB430_262
; %bb.261:                              ;   in Loop: Header=BB430_240 Depth=2
	s_waitcnt lgkmcnt(0)
	v_bcnt_u32_b32 v20, v20, v105
	ds_store_b32 v108, v20
.LBB430_262:                            ;   in Loop: Header=BB430_240 Depth=2
	s_or_b32 exec_lo, exec_lo, s17
	v_xor_b32_e32 v107, 0xffffff80, v25
	; wave barrier
	s_delay_alu instid0(VALU_DEP_1) | instskip(NEXT) | instid1(VALU_DEP_1)
	v_and_b32_e32 v20, 0xff, v107
	v_lshrrev_b32_e32 v20, s30, v20
	s_delay_alu instid0(VALU_DEP_1) | instskip(NEXT) | instid1(VALU_DEP_1)
	v_and_b32_e32 v20, s31, v20
	v_and_b32_e32 v21, 1, v20
	v_lshlrev_b32_e32 v25, 30, v20
	v_lshlrev_b32_e32 v26, 29, v20
	;; [unrolled: 1-line block ×4, first 2 shown]
	v_add_co_u32 v21, s17, v21, -1
	s_delay_alu instid0(VALU_DEP_1)
	v_cndmask_b32_e64 v109, 0, 1, s17
	v_not_b32_e32 v113, v25
	v_cmp_gt_i32_e64 s17, 0, v25
	v_not_b32_e32 v25, v26
	v_lshlrev_b32_e32 v111, 26, v20
	v_cmp_ne_u32_e32 vcc_lo, 0, v109
	v_ashrrev_i32_e32 v113, 31, v113
	v_lshlrev_b32_e32 v112, 25, v20
	v_ashrrev_i32_e32 v25, 31, v25
	v_lshlrev_b32_e32 v109, 24, v20
	v_xor_b32_e32 v21, vcc_lo, v21
	v_cmp_gt_i32_e32 vcc_lo, 0, v26
	v_not_b32_e32 v26, v27
	v_xor_b32_e32 v113, s17, v113
	v_cmp_gt_i32_e64 s17, 0, v27
	v_and_b32_e32 v21, exec_lo, v21
	v_not_b32_e32 v27, v110
	v_ashrrev_i32_e32 v26, 31, v26
	v_xor_b32_e32 v25, vcc_lo, v25
	v_cmp_gt_i32_e32 vcc_lo, 0, v110
	v_and_b32_e32 v21, v21, v113
	v_not_b32_e32 v110, v111
	v_ashrrev_i32_e32 v27, 31, v27
	v_xor_b32_e32 v26, s17, v26
	v_cmp_gt_i32_e64 s17, 0, v111
	v_and_b32_e32 v21, v21, v25
	v_not_b32_e32 v25, v112
	v_ashrrev_i32_e32 v110, 31, v110
	v_xor_b32_e32 v27, vcc_lo, v27
	v_cmp_gt_i32_e32 vcc_lo, 0, v112
	v_and_b32_e32 v21, v21, v26
	v_not_b32_e32 v26, v109
	v_ashrrev_i32_e32 v25, 31, v25
	v_xor_b32_e32 v110, s17, v110
	v_mul_u32_u24_e32 v20, 9, v20
	v_and_b32_e32 v21, v21, v27
	v_cmp_gt_i32_e64 s17, 0, v109
	v_ashrrev_i32_e32 v26, 31, v26
	v_xor_b32_e32 v25, vcc_lo, v25
	v_add_lshl_u32 v27, v20, v82, 2
	v_and_b32_e32 v21, v21, v110
	s_delay_alu instid0(VALU_DEP_4) | instskip(SKIP_3) | instid1(VALU_DEP_2)
	v_xor_b32_e32 v20, s17, v26
	ds_load_b32 v109, v27 offset:1056
	v_and_b32_e32 v21, v21, v25
	v_add_nc_u32_e32 v112, 0x420, v27
	; wave barrier
	v_and_b32_e32 v20, v21, v20
	s_delay_alu instid0(VALU_DEP_1) | instskip(SKIP_1) | instid1(VALU_DEP_2)
	v_mbcnt_lo_u32_b32 v110, v20, 0
	v_cmp_ne_u32_e64 s17, 0, v20
	v_cmp_eq_u32_e32 vcc_lo, 0, v110
	s_delay_alu instid0(VALU_DEP_2) | instskip(NEXT) | instid1(SALU_CYCLE_1)
	s_and_b32 s18, s17, vcc_lo
	s_and_saveexec_b32 s17, s18
	s_cbranch_execz .LBB430_264
; %bb.263:                              ;   in Loop: Header=BB430_240 Depth=2
	s_waitcnt lgkmcnt(0)
	v_bcnt_u32_b32 v20, v20, v109
	ds_store_b32 v112, v20
.LBB430_264:                            ;   in Loop: Header=BB430_240 Depth=2
	s_or_b32 exec_lo, exec_lo, s17
	v_xor_b32_e32 v111, 0xffffff80, v24
	; wave barrier
	s_delay_alu instid0(VALU_DEP_1) | instskip(NEXT) | instid1(VALU_DEP_1)
	v_and_b32_e32 v20, 0xff, v111
	v_lshrrev_b32_e32 v20, s30, v20
	s_delay_alu instid0(VALU_DEP_1) | instskip(NEXT) | instid1(VALU_DEP_1)
	v_and_b32_e32 v20, s31, v20
	v_and_b32_e32 v21, 1, v20
	v_lshlrev_b32_e32 v24, 30, v20
	v_lshlrev_b32_e32 v25, 29, v20
	;; [unrolled: 1-line block ×4, first 2 shown]
	v_add_co_u32 v21, s17, v21, -1
	s_delay_alu instid0(VALU_DEP_1)
	v_cndmask_b32_e64 v27, 0, 1, s17
	v_not_b32_e32 v116, v24
	v_cmp_gt_i32_e64 s17, 0, v24
	v_not_b32_e32 v24, v25
	v_lshlrev_b32_e32 v114, 26, v20
	v_cmp_ne_u32_e32 vcc_lo, 0, v27
	v_ashrrev_i32_e32 v116, 31, v116
	v_lshlrev_b32_e32 v115, 25, v20
	v_ashrrev_i32_e32 v24, 31, v24
	v_lshlrev_b32_e32 v27, 24, v20
	v_xor_b32_e32 v21, vcc_lo, v21
	v_cmp_gt_i32_e32 vcc_lo, 0, v25
	v_not_b32_e32 v25, v26
	v_xor_b32_e32 v116, s17, v116
	v_cmp_gt_i32_e64 s17, 0, v26
	v_and_b32_e32 v21, exec_lo, v21
	v_not_b32_e32 v26, v113
	v_ashrrev_i32_e32 v25, 31, v25
	v_xor_b32_e32 v24, vcc_lo, v24
	v_cmp_gt_i32_e32 vcc_lo, 0, v113
	v_and_b32_e32 v21, v21, v116
	v_not_b32_e32 v113, v114
	v_ashrrev_i32_e32 v26, 31, v26
	v_xor_b32_e32 v25, s17, v25
	v_cmp_gt_i32_e64 s17, 0, v114
	v_and_b32_e32 v21, v21, v24
	v_not_b32_e32 v24, v115
	v_ashrrev_i32_e32 v113, 31, v113
	v_xor_b32_e32 v26, vcc_lo, v26
	v_cmp_gt_i32_e32 vcc_lo, 0, v115
	v_and_b32_e32 v21, v21, v25
	v_not_b32_e32 v25, v27
	v_ashrrev_i32_e32 v24, 31, v24
	v_xor_b32_e32 v113, s17, v113
	v_mul_u32_u24_e32 v20, 9, v20
	v_and_b32_e32 v21, v21, v26
	v_cmp_gt_i32_e64 s17, 0, v27
	v_ashrrev_i32_e32 v25, 31, v25
	v_xor_b32_e32 v24, vcc_lo, v24
	v_add_lshl_u32 v26, v20, v82, 2
	v_and_b32_e32 v21, v21, v113
	s_delay_alu instid0(VALU_DEP_4) | instskip(SKIP_3) | instid1(VALU_DEP_2)
	v_xor_b32_e32 v20, s17, v25
	ds_load_b32 v113, v26 offset:1056
	v_and_b32_e32 v21, v21, v24
	v_add_nc_u32_e32 v116, 0x420, v26
	; wave barrier
	v_and_b32_e32 v20, v21, v20
	s_delay_alu instid0(VALU_DEP_1) | instskip(SKIP_1) | instid1(VALU_DEP_2)
	v_mbcnt_lo_u32_b32 v114, v20, 0
	v_cmp_ne_u32_e64 s17, 0, v20
	v_cmp_eq_u32_e32 vcc_lo, 0, v114
	s_delay_alu instid0(VALU_DEP_2) | instskip(NEXT) | instid1(SALU_CYCLE_1)
	s_and_b32 s18, s17, vcc_lo
	s_and_saveexec_b32 s17, s18
	s_cbranch_execz .LBB430_266
; %bb.265:                              ;   in Loop: Header=BB430_240 Depth=2
	s_waitcnt lgkmcnt(0)
	v_bcnt_u32_b32 v20, v20, v113
	ds_store_b32 v116, v20
.LBB430_266:                            ;   in Loop: Header=BB430_240 Depth=2
	s_or_b32 exec_lo, exec_lo, s17
	v_xor_b32_e32 v115, 0xffffff80, v23
	; wave barrier
	s_delay_alu instid0(VALU_DEP_1) | instskip(NEXT) | instid1(VALU_DEP_1)
	v_and_b32_e32 v20, 0xff, v115
	v_lshrrev_b32_e32 v20, s30, v20
	s_delay_alu instid0(VALU_DEP_1) | instskip(NEXT) | instid1(VALU_DEP_1)
	v_and_b32_e32 v20, s31, v20
	v_and_b32_e32 v21, 1, v20
	v_lshlrev_b32_e32 v23, 30, v20
	v_lshlrev_b32_e32 v24, 29, v20
	;; [unrolled: 1-line block ×4, first 2 shown]
	v_add_co_u32 v21, s17, v21, -1
	s_delay_alu instid0(VALU_DEP_1)
	v_cndmask_b32_e64 v26, 0, 1, s17
	v_not_b32_e32 v119, v23
	v_cmp_gt_i32_e64 s17, 0, v23
	v_not_b32_e32 v23, v24
	v_lshlrev_b32_e32 v117, 26, v20
	v_cmp_ne_u32_e32 vcc_lo, 0, v26
	v_ashrrev_i32_e32 v119, 31, v119
	v_lshlrev_b32_e32 v118, 25, v20
	v_ashrrev_i32_e32 v23, 31, v23
	v_lshlrev_b32_e32 v26, 24, v20
	v_xor_b32_e32 v21, vcc_lo, v21
	v_cmp_gt_i32_e32 vcc_lo, 0, v24
	v_not_b32_e32 v24, v25
	v_xor_b32_e32 v119, s17, v119
	v_cmp_gt_i32_e64 s17, 0, v25
	v_and_b32_e32 v21, exec_lo, v21
	v_not_b32_e32 v25, v27
	v_ashrrev_i32_e32 v24, 31, v24
	v_xor_b32_e32 v23, vcc_lo, v23
	v_cmp_gt_i32_e32 vcc_lo, 0, v27
	v_and_b32_e32 v21, v21, v119
	v_not_b32_e32 v27, v117
	v_ashrrev_i32_e32 v25, 31, v25
	v_xor_b32_e32 v24, s17, v24
	v_cmp_gt_i32_e64 s17, 0, v117
	v_and_b32_e32 v21, v21, v23
	v_not_b32_e32 v23, v118
	v_ashrrev_i32_e32 v27, 31, v27
	v_xor_b32_e32 v25, vcc_lo, v25
	v_cmp_gt_i32_e32 vcc_lo, 0, v118
	v_and_b32_e32 v21, v21, v24
	v_not_b32_e32 v24, v26
	v_ashrrev_i32_e32 v23, 31, v23
	v_xor_b32_e32 v27, s17, v27
	v_mul_u32_u24_e32 v20, 9, v20
	v_and_b32_e32 v21, v21, v25
	v_cmp_gt_i32_e64 s17, 0, v26
	v_ashrrev_i32_e32 v24, 31, v24
	v_xor_b32_e32 v23, vcc_lo, v23
	v_add_lshl_u32 v25, v20, v82, 2
	v_and_b32_e32 v21, v21, v27
	s_delay_alu instid0(VALU_DEP_4) | instskip(SKIP_3) | instid1(VALU_DEP_2)
	v_xor_b32_e32 v20, s17, v24
	ds_load_b32 v117, v25 offset:1056
	v_and_b32_e32 v21, v21, v23
	v_add_nc_u32_e32 v120, 0x420, v25
	; wave barrier
	v_and_b32_e32 v20, v21, v20
	s_delay_alu instid0(VALU_DEP_1) | instskip(SKIP_1) | instid1(VALU_DEP_2)
	v_mbcnt_lo_u32_b32 v118, v20, 0
	v_cmp_ne_u32_e64 s17, 0, v20
	v_cmp_eq_u32_e32 vcc_lo, 0, v118
	s_delay_alu instid0(VALU_DEP_2) | instskip(NEXT) | instid1(SALU_CYCLE_1)
	s_and_b32 s18, s17, vcc_lo
	s_and_saveexec_b32 s17, s18
	s_cbranch_execz .LBB430_268
; %bb.267:                              ;   in Loop: Header=BB430_240 Depth=2
	s_waitcnt lgkmcnt(0)
	v_bcnt_u32_b32 v20, v20, v117
	ds_store_b32 v120, v20
.LBB430_268:                            ;   in Loop: Header=BB430_240 Depth=2
	s_or_b32 exec_lo, exec_lo, s17
	v_xor_b32_e32 v119, 0xffffff80, v22
	; wave barrier
	s_delay_alu instid0(VALU_DEP_1) | instskip(NEXT) | instid1(VALU_DEP_1)
	v_and_b32_e32 v20, 0xff, v119
	v_lshrrev_b32_e32 v20, s30, v20
	s_delay_alu instid0(VALU_DEP_1) | instskip(NEXT) | instid1(VALU_DEP_1)
	v_and_b32_e32 v20, s31, v20
	v_and_b32_e32 v21, 1, v20
	v_lshlrev_b32_e32 v22, 30, v20
	v_lshlrev_b32_e32 v23, 29, v20
	;; [unrolled: 1-line block ×4, first 2 shown]
	v_add_co_u32 v21, s17, v21, -1
	s_delay_alu instid0(VALU_DEP_1)
	v_cndmask_b32_e64 v25, 0, 1, s17
	v_not_b32_e32 v122, v22
	v_cmp_gt_i32_e64 s17, 0, v22
	v_not_b32_e32 v22, v23
	v_lshlrev_b32_e32 v27, 26, v20
	v_cmp_ne_u32_e32 vcc_lo, 0, v25
	v_ashrrev_i32_e32 v122, 31, v122
	v_lshlrev_b32_e32 v121, 25, v20
	v_ashrrev_i32_e32 v22, 31, v22
	v_lshlrev_b32_e32 v25, 24, v20
	v_xor_b32_e32 v21, vcc_lo, v21
	v_cmp_gt_i32_e32 vcc_lo, 0, v23
	v_not_b32_e32 v23, v24
	v_xor_b32_e32 v122, s17, v122
	v_cmp_gt_i32_e64 s17, 0, v24
	v_and_b32_e32 v21, exec_lo, v21
	v_not_b32_e32 v24, v26
	v_ashrrev_i32_e32 v23, 31, v23
	v_xor_b32_e32 v22, vcc_lo, v22
	v_cmp_gt_i32_e32 vcc_lo, 0, v26
	v_and_b32_e32 v21, v21, v122
	v_not_b32_e32 v26, v27
	v_ashrrev_i32_e32 v24, 31, v24
	v_xor_b32_e32 v23, s17, v23
	v_cmp_gt_i32_e64 s17, 0, v27
	v_and_b32_e32 v21, v21, v22
	v_not_b32_e32 v22, v121
	v_ashrrev_i32_e32 v26, 31, v26
	v_xor_b32_e32 v24, vcc_lo, v24
	v_cmp_gt_i32_e32 vcc_lo, 0, v121
	v_and_b32_e32 v21, v21, v23
	v_not_b32_e32 v23, v25
	v_ashrrev_i32_e32 v22, 31, v22
	v_xor_b32_e32 v26, s17, v26
	v_mul_u32_u24_e32 v20, 9, v20
	v_and_b32_e32 v21, v21, v24
	v_cmp_gt_i32_e64 s17, 0, v25
	v_ashrrev_i32_e32 v23, 31, v23
	v_xor_b32_e32 v22, vcc_lo, v22
	v_add_lshl_u32 v24, v20, v82, 2
	v_and_b32_e32 v21, v21, v26
	s_delay_alu instid0(VALU_DEP_4) | instskip(SKIP_3) | instid1(VALU_DEP_2)
	v_xor_b32_e32 v20, s17, v23
	ds_load_b32 v121, v24 offset:1056
	v_and_b32_e32 v21, v21, v22
	v_add_nc_u32_e32 v123, 0x420, v24
	; wave barrier
	v_and_b32_e32 v20, v21, v20
	s_delay_alu instid0(VALU_DEP_1) | instskip(SKIP_1) | instid1(VALU_DEP_2)
	v_mbcnt_lo_u32_b32 v122, v20, 0
	v_cmp_ne_u32_e64 s17, 0, v20
	v_cmp_eq_u32_e32 vcc_lo, 0, v122
	s_delay_alu instid0(VALU_DEP_2) | instskip(NEXT) | instid1(SALU_CYCLE_1)
	s_and_b32 s18, s17, vcc_lo
	s_and_saveexec_b32 s17, s18
	s_cbranch_execz .LBB430_270
; %bb.269:                              ;   in Loop: Header=BB430_240 Depth=2
	s_waitcnt lgkmcnt(0)
	v_bcnt_u32_b32 v20, v20, v121
	ds_store_b32 v123, v20
.LBB430_270:                            ;   in Loop: Header=BB430_240 Depth=2
	s_or_b32 exec_lo, exec_lo, s17
	; wave barrier
	s_waitcnt lgkmcnt(0)
	s_barrier
	buffer_gl0_inv
	ds_load_b32 v124, v46 offset:1056
	ds_load_2addr_b32 v[26:27], v47 offset0:1 offset1:2
	ds_load_2addr_b32 v[24:25], v47 offset0:3 offset1:4
	;; [unrolled: 1-line block ×4, first 2 shown]
	s_waitcnt lgkmcnt(3)
	v_add3_u32 v125, v26, v124, v27
	s_waitcnt lgkmcnt(2)
	s_delay_alu instid0(VALU_DEP_1) | instskip(SKIP_1) | instid1(VALU_DEP_1)
	v_add3_u32 v125, v125, v24, v25
	s_waitcnt lgkmcnt(1)
	v_add3_u32 v125, v125, v20, v21
	s_waitcnt lgkmcnt(0)
	s_delay_alu instid0(VALU_DEP_1) | instskip(NEXT) | instid1(VALU_DEP_1)
	v_add3_u32 v23, v125, v22, v23
	v_mov_b32_dpp v125, v23 row_shr:1 row_mask:0xf bank_mask:0xf
	s_delay_alu instid0(VALU_DEP_1) | instskip(NEXT) | instid1(VALU_DEP_1)
	v_cndmask_b32_e64 v125, v125, 0, s0
	v_add_nc_u32_e32 v23, v125, v23
	s_delay_alu instid0(VALU_DEP_1) | instskip(NEXT) | instid1(VALU_DEP_1)
	v_mov_b32_dpp v125, v23 row_shr:2 row_mask:0xf bank_mask:0xf
	v_cndmask_b32_e64 v125, 0, v125, s1
	s_delay_alu instid0(VALU_DEP_1) | instskip(NEXT) | instid1(VALU_DEP_1)
	v_add_nc_u32_e32 v23, v23, v125
	v_mov_b32_dpp v125, v23 row_shr:4 row_mask:0xf bank_mask:0xf
	s_delay_alu instid0(VALU_DEP_1) | instskip(NEXT) | instid1(VALU_DEP_1)
	v_cndmask_b32_e64 v125, 0, v125, s8
	v_add_nc_u32_e32 v23, v23, v125
	s_delay_alu instid0(VALU_DEP_1) | instskip(NEXT) | instid1(VALU_DEP_1)
	v_mov_b32_dpp v125, v23 row_shr:8 row_mask:0xf bank_mask:0xf
	v_cndmask_b32_e64 v125, 0, v125, s9
	s_delay_alu instid0(VALU_DEP_1) | instskip(SKIP_3) | instid1(VALU_DEP_1)
	v_add_nc_u32_e32 v23, v23, v125
	ds_swizzle_b32 v125, v23 offset:swizzle(BROADCAST,32,15)
	s_waitcnt lgkmcnt(0)
	v_cndmask_b32_e64 v125, v125, 0, s10
	v_add_nc_u32_e32 v23, v23, v125
	s_and_saveexec_b32 s17, s3
	s_cbranch_execz .LBB430_272
; %bb.271:                              ;   in Loop: Header=BB430_240 Depth=2
	ds_store_b32 v38, v23 offset:1024
.LBB430_272:                            ;   in Loop: Header=BB430_240 Depth=2
	s_or_b32 exec_lo, exec_lo, s17
	s_waitcnt lgkmcnt(0)
	s_barrier
	buffer_gl0_inv
	s_and_saveexec_b32 s17, s4
	s_cbranch_execz .LBB430_274
; %bb.273:                              ;   in Loop: Header=BB430_240 Depth=2
	v_add_nc_u32_e32 v125, v46, v48
	ds_load_b32 v126, v125 offset:1024
	s_waitcnt lgkmcnt(0)
	v_mov_b32_dpp v127, v126 row_shr:1 row_mask:0xf bank_mask:0xf
	s_delay_alu instid0(VALU_DEP_1) | instskip(NEXT) | instid1(VALU_DEP_1)
	v_cndmask_b32_e64 v127, v127, 0, s12
	v_add_nc_u32_e32 v126, v127, v126
	s_delay_alu instid0(VALU_DEP_1) | instskip(NEXT) | instid1(VALU_DEP_1)
	v_mov_b32_dpp v127, v126 row_shr:2 row_mask:0xf bank_mask:0xf
	v_cndmask_b32_e64 v127, 0, v127, s13
	s_delay_alu instid0(VALU_DEP_1) | instskip(NEXT) | instid1(VALU_DEP_1)
	v_add_nc_u32_e32 v126, v126, v127
	v_mov_b32_dpp v127, v126 row_shr:4 row_mask:0xf bank_mask:0xf
	s_delay_alu instid0(VALU_DEP_1) | instskip(NEXT) | instid1(VALU_DEP_1)
	v_cndmask_b32_e64 v127, 0, v127, s16
	v_add_nc_u32_e32 v126, v126, v127
	ds_store_b32 v125, v126 offset:1024
.LBB430_274:                            ;   in Loop: Header=BB430_240 Depth=2
	s_or_b32 exec_lo, exec_lo, s17
	v_mov_b32_e32 v125, 0
	s_waitcnt lgkmcnt(0)
	s_barrier
	buffer_gl0_inv
	s_and_saveexec_b32 s17, s5
	s_cbranch_execz .LBB430_276
; %bb.275:                              ;   in Loop: Header=BB430_240 Depth=2
	ds_load_b32 v125, v38 offset:1020
.LBB430_276:                            ;   in Loop: Header=BB430_240 Depth=2
	s_or_b32 exec_lo, exec_lo, s17
	s_waitcnt lgkmcnt(0)
	v_add_nc_u32_e32 v23, v125, v23
	ds_bpermute_b32 v23, v69, v23
	s_waitcnt lgkmcnt(0)
	v_cndmask_b32_e64 v23, v23, v125, s11
	s_delay_alu instid0(VALU_DEP_1) | instskip(NEXT) | instid1(VALU_DEP_1)
	v_cndmask_b32_e64 v23, v23, 0, s6
	v_add_nc_u32_e32 v124, v23, v124
	s_delay_alu instid0(VALU_DEP_1) | instskip(NEXT) | instid1(VALU_DEP_1)
	v_add_nc_u32_e32 v26, v124, v26
	v_add_nc_u32_e32 v27, v26, v27
	s_delay_alu instid0(VALU_DEP_1) | instskip(NEXT) | instid1(VALU_DEP_1)
	v_add_nc_u32_e32 v24, v27, v24
	v_add_nc_u32_e32 v25, v24, v25
	s_delay_alu instid0(VALU_DEP_1) | instskip(NEXT) | instid1(VALU_DEP_1)
	v_add_nc_u32_e32 v20, v25, v20
	v_add_nc_u32_e32 v21, v20, v21
	s_delay_alu instid0(VALU_DEP_1)
	v_add_nc_u32_e32 v22, v21, v22
	ds_store_b32 v46, v23 offset:1056
	ds_store_2addr_b32 v47, v124, v26 offset0:1 offset1:2
	ds_store_2addr_b32 v47, v27, v24 offset0:3 offset1:4
	;; [unrolled: 1-line block ×4, first 2 shown]
	v_mov_b32_e32 v22, 0x800
	s_waitcnt lgkmcnt(0)
	s_barrier
	buffer_gl0_inv
	ds_load_b32 v20, v100
	ds_load_b32 v21, v104
	;; [unrolled: 1-line block ×8, first 2 shown]
	ds_load_b32 v27, v46 offset:1056
	s_and_saveexec_b32 s17, s7
	s_cbranch_execz .LBB430_278
; %bb.277:                              ;   in Loop: Header=BB430_240 Depth=2
	ds_load_b32 v22, v49 offset:1056
.LBB430_278:                            ;   in Loop: Header=BB430_240 Depth=2
	s_or_b32 exec_lo, exec_lo, s17
	s_waitcnt lgkmcnt(0)
	s_barrier
	buffer_gl0_inv
	s_and_saveexec_b32 s17, s2
	s_cbranch_execz .LBB430_280
; %bb.279:                              ;   in Loop: Header=BB430_240 Depth=2
	ds_load_b32 v96, v28
	s_waitcnt lgkmcnt(0)
	v_sub_nc_u32_e32 v27, v96, v27
	ds_store_b32 v28, v27
.LBB430_280:                            ;   in Loop: Header=BB430_240 Depth=2
	s_or_b32 exec_lo, exec_lo, s17
	v_add_nc_u32_e32 v100, v26, v94
	v_add3_u32 v96, v98, v97, v20
	v_add3_u32 v94, v102, v101, v21
	;; [unrolled: 1-line block ×7, first 2 shown]
	v_cmp_lt_u32_e64 s22, v1, v2
	ds_store_b8 v100, v93 offset:1024
	ds_store_b8 v96, v95 offset:1024
	;; [unrolled: 1-line block ×8, first 2 shown]
	s_waitcnt lgkmcnt(0)
	s_barrier
	buffer_gl0_inv
	s_and_saveexec_b32 s17, s22
	s_cbranch_execz .LBB430_288
; %bb.281:                              ;   in Loop: Header=BB430_240 Depth=2
	ds_load_u8 v20, v1 offset:1024
	s_waitcnt lgkmcnt(0)
	v_and_b32_e32 v21, 0xff, v20
	v_xor_b32_e32 v20, 0x80, v20
	s_delay_alu instid0(VALU_DEP_2) | instskip(NEXT) | instid1(VALU_DEP_1)
	v_lshrrev_b32_e32 v21, s30, v21
	v_and_b32_e32 v21, s31, v21
	s_delay_alu instid0(VALU_DEP_1)
	v_lshlrev_b32_e32 v21, 2, v21
	ds_load_b32 v21, v21
	s_waitcnt lgkmcnt(0)
	v_add_nc_u32_e32 v21, v21, v1
	global_store_b8 v21, v20, s[40:41]
	s_or_b32 exec_lo, exec_lo, s17
	v_cmp_lt_u32_e64 s23, v29, v2
	s_delay_alu instid0(VALU_DEP_1)
	s_and_saveexec_b32 s17, s23
	s_cbranch_execnz .LBB430_289
.LBB430_282:                            ;   in Loop: Header=BB430_240 Depth=2
	s_or_b32 exec_lo, exec_lo, s17
	v_cmp_lt_u32_e64 s21, v30, v2
	s_delay_alu instid0(VALU_DEP_1)
	s_and_saveexec_b32 s17, s21
	s_cbranch_execz .LBB430_290
.LBB430_283:                            ;   in Loop: Header=BB430_240 Depth=2
	ds_load_u8 v20, v35 offset:512
	s_waitcnt lgkmcnt(0)
	v_and_b32_e32 v21, 0xff, v20
	v_xor_b32_e32 v20, 0x80, v20
	s_delay_alu instid0(VALU_DEP_2) | instskip(NEXT) | instid1(VALU_DEP_1)
	v_lshrrev_b32_e32 v21, s30, v21
	v_and_b32_e32 v21, s31, v21
	s_delay_alu instid0(VALU_DEP_1)
	v_lshlrev_b32_e32 v21, 2, v21
	ds_load_b32 v21, v21
	s_waitcnt lgkmcnt(0)
	v_add_nc_u32_e32 v21, v21, v30
	global_store_b8 v21, v20, s[40:41]
	s_or_b32 exec_lo, exec_lo, s17
	v_cmp_lt_u32_e64 s20, v31, v2
	s_delay_alu instid0(VALU_DEP_1)
	s_and_saveexec_b32 s17, s20
	s_cbranch_execnz .LBB430_291
.LBB430_284:                            ;   in Loop: Header=BB430_240 Depth=2
	s_or_b32 exec_lo, exec_lo, s17
	v_cmp_lt_u32_e64 s19, v35, v2
	s_delay_alu instid0(VALU_DEP_1)
	s_and_saveexec_b32 s17, s19
	s_cbranch_execz .LBB430_292
.LBB430_285:                            ;   in Loop: Header=BB430_240 Depth=2
	ds_load_u8 v20, v35 offset:1024
	s_waitcnt lgkmcnt(0)
	v_and_b32_e32 v21, 0xff, v20
	v_xor_b32_e32 v20, 0x80, v20
	s_delay_alu instid0(VALU_DEP_2) | instskip(NEXT) | instid1(VALU_DEP_1)
	v_lshrrev_b32_e32 v21, s30, v21
	v_and_b32_e32 v21, s31, v21
	s_delay_alu instid0(VALU_DEP_1)
	v_lshlrev_b32_e32 v21, 2, v21
	ds_load_b32 v21, v21
	s_waitcnt lgkmcnt(0)
	v_add_nc_u32_e32 v21, v21, v35
	global_store_b8 v21, v20, s[40:41]
	s_or_b32 exec_lo, exec_lo, s17
	v_cmp_lt_u32_e64 s18, v36, v2
	s_delay_alu instid0(VALU_DEP_1)
	s_and_saveexec_b32 s17, s18
	s_cbranch_execnz .LBB430_293
.LBB430_286:                            ;   in Loop: Header=BB430_240 Depth=2
	s_or_b32 exec_lo, exec_lo, s17
	v_cmp_lt_u32_e64 s17, v37, v2
	s_delay_alu instid0(VALU_DEP_1)
	s_and_saveexec_b32 s43, s17
	s_cbranch_execz .LBB430_294
.LBB430_287:                            ;   in Loop: Header=BB430_240 Depth=2
	ds_load_u8 v20, v35 offset:1536
	s_waitcnt lgkmcnt(0)
	v_and_b32_e32 v21, 0xff, v20
	v_xor_b32_e32 v20, 0x80, v20
	s_delay_alu instid0(VALU_DEP_2) | instskip(NEXT) | instid1(VALU_DEP_1)
	v_lshrrev_b32_e32 v21, s30, v21
	v_and_b32_e32 v21, s31, v21
	s_delay_alu instid0(VALU_DEP_1)
	v_lshlrev_b32_e32 v21, 2, v21
	ds_load_b32 v21, v21
	s_waitcnt lgkmcnt(0)
	v_add_nc_u32_e32 v21, v21, v37
	global_store_b8 v21, v20, s[40:41]
	s_or_b32 exec_lo, exec_lo, s43
	v_cmp_lt_u32_e32 vcc_lo, v39, v2
	s_and_saveexec_b32 s43, vcc_lo
	s_cbranch_execnz .LBB430_295
	s_branch .LBB430_296
.LBB430_288:                            ;   in Loop: Header=BB430_240 Depth=2
	s_or_b32 exec_lo, exec_lo, s17
	v_cmp_lt_u32_e64 s23, v29, v2
	s_delay_alu instid0(VALU_DEP_1)
	s_and_saveexec_b32 s17, s23
	s_cbranch_execz .LBB430_282
.LBB430_289:                            ;   in Loop: Header=BB430_240 Depth=2
	ds_load_u8 v20, v35 offset:256
	s_waitcnt lgkmcnt(0)
	v_and_b32_e32 v21, 0xff, v20
	v_xor_b32_e32 v20, 0x80, v20
	s_delay_alu instid0(VALU_DEP_2) | instskip(NEXT) | instid1(VALU_DEP_1)
	v_lshrrev_b32_e32 v21, s30, v21
	v_and_b32_e32 v21, s31, v21
	s_delay_alu instid0(VALU_DEP_1)
	v_lshlrev_b32_e32 v21, 2, v21
	ds_load_b32 v21, v21
	s_waitcnt lgkmcnt(0)
	v_add_nc_u32_e32 v21, v21, v29
	global_store_b8 v21, v20, s[40:41]
	s_or_b32 exec_lo, exec_lo, s17
	v_cmp_lt_u32_e64 s21, v30, v2
	s_delay_alu instid0(VALU_DEP_1)
	s_and_saveexec_b32 s17, s21
	s_cbranch_execnz .LBB430_283
.LBB430_290:                            ;   in Loop: Header=BB430_240 Depth=2
	s_or_b32 exec_lo, exec_lo, s17
	v_cmp_lt_u32_e64 s20, v31, v2
	s_delay_alu instid0(VALU_DEP_1)
	s_and_saveexec_b32 s17, s20
	s_cbranch_execz .LBB430_284
.LBB430_291:                            ;   in Loop: Header=BB430_240 Depth=2
	ds_load_u8 v20, v35 offset:768
	s_waitcnt lgkmcnt(0)
	v_and_b32_e32 v21, 0xff, v20
	v_xor_b32_e32 v20, 0x80, v20
	s_delay_alu instid0(VALU_DEP_2) | instskip(NEXT) | instid1(VALU_DEP_1)
	v_lshrrev_b32_e32 v21, s30, v21
	v_and_b32_e32 v21, s31, v21
	s_delay_alu instid0(VALU_DEP_1)
	v_lshlrev_b32_e32 v21, 2, v21
	ds_load_b32 v21, v21
	s_waitcnt lgkmcnt(0)
	v_add_nc_u32_e32 v21, v21, v31
	global_store_b8 v21, v20, s[40:41]
	s_or_b32 exec_lo, exec_lo, s17
	v_cmp_lt_u32_e64 s19, v35, v2
	s_delay_alu instid0(VALU_DEP_1)
	s_and_saveexec_b32 s17, s19
	s_cbranch_execnz .LBB430_285
.LBB430_292:                            ;   in Loop: Header=BB430_240 Depth=2
	s_or_b32 exec_lo, exec_lo, s17
	v_cmp_lt_u32_e64 s18, v36, v2
	s_delay_alu instid0(VALU_DEP_1)
	s_and_saveexec_b32 s17, s18
	s_cbranch_execz .LBB430_286
.LBB430_293:                            ;   in Loop: Header=BB430_240 Depth=2
	ds_load_u8 v20, v35 offset:1280
	s_waitcnt lgkmcnt(0)
	v_and_b32_e32 v21, 0xff, v20
	v_xor_b32_e32 v20, 0x80, v20
	s_delay_alu instid0(VALU_DEP_2) | instskip(NEXT) | instid1(VALU_DEP_1)
	v_lshrrev_b32_e32 v21, s30, v21
	v_and_b32_e32 v21, s31, v21
	s_delay_alu instid0(VALU_DEP_1)
	v_lshlrev_b32_e32 v21, 2, v21
	ds_load_b32 v21, v21
	s_waitcnt lgkmcnt(0)
	v_add_nc_u32_e32 v21, v21, v36
	global_store_b8 v21, v20, s[40:41]
	s_or_b32 exec_lo, exec_lo, s17
	v_cmp_lt_u32_e64 s17, v37, v2
	s_delay_alu instid0(VALU_DEP_1)
	s_and_saveexec_b32 s43, s17
	s_cbranch_execnz .LBB430_287
.LBB430_294:                            ;   in Loop: Header=BB430_240 Depth=2
	s_or_b32 exec_lo, exec_lo, s43
	v_cmp_lt_u32_e32 vcc_lo, v39, v2
	s_and_saveexec_b32 s43, vcc_lo
	s_cbranch_execz .LBB430_296
.LBB430_295:                            ;   in Loop: Header=BB430_240 Depth=2
	ds_load_u8 v20, v35 offset:1792
	s_waitcnt lgkmcnt(0)
	v_and_b32_e32 v21, 0xff, v20
	v_xor_b32_e32 v20, 0x80, v20
	s_delay_alu instid0(VALU_DEP_2) | instskip(NEXT) | instid1(VALU_DEP_1)
	v_lshrrev_b32_e32 v21, s30, v21
	v_and_b32_e32 v21, s31, v21
	s_delay_alu instid0(VALU_DEP_1)
	v_lshlrev_b32_e32 v21, 2, v21
	ds_load_b32 v21, v21
	s_waitcnt lgkmcnt(0)
	v_add_nc_u32_e32 v21, v21, v39
	global_store_b8 v21, v20, s[40:41]
.LBB430_296:                            ;   in Loop: Header=BB430_240 Depth=2
	s_or_b32 exec_lo, exec_lo, s43
	s_lshl_b64 s[52:53], s[24:25], 3
	s_delay_alu instid0(SALU_CYCLE_1) | instskip(NEXT) | instid1(VALU_DEP_1)
	v_add_co_u32 v20, s24, v73, s52
	v_add_co_ci_u32_e64 v21, s24, s53, v74, s24
	v_cmp_lt_u32_e64 s24, v70, v2
	s_delay_alu instid0(VALU_DEP_1) | instskip(NEXT) | instid1(SALU_CYCLE_1)
	s_and_saveexec_b32 s43, s24
	s_xor_b32 s24, exec_lo, s43
	s_cbranch_execz .LBB430_312
; %bb.297:                              ;   in Loop: Header=BB430_240 Depth=2
	global_load_b64 v[18:19], v[20:21], off
	s_or_b32 exec_lo, exec_lo, s24
	s_delay_alu instid0(SALU_CYCLE_1)
	s_mov_b32 s43, exec_lo
	v_cmpx_lt_u32_e64 v75, v2
	s_cbranch_execnz .LBB430_313
.LBB430_298:                            ;   in Loop: Header=BB430_240 Depth=2
	s_or_b32 exec_lo, exec_lo, s43
	s_delay_alu instid0(SALU_CYCLE_1)
	s_mov_b32 s43, exec_lo
	v_cmpx_lt_u32_e64 v76, v2
	s_cbranch_execz .LBB430_314
.LBB430_299:                            ;   in Loop: Header=BB430_240 Depth=2
	global_load_b64 v[14:15], v[20:21], off offset:512
	s_or_b32 exec_lo, exec_lo, s43
	s_delay_alu instid0(SALU_CYCLE_1)
	s_mov_b32 s43, exec_lo
	v_cmpx_lt_u32_e64 v77, v2
	s_cbranch_execnz .LBB430_315
.LBB430_300:                            ;   in Loop: Header=BB430_240 Depth=2
	s_or_b32 exec_lo, exec_lo, s43
	s_delay_alu instid0(SALU_CYCLE_1)
	s_mov_b32 s43, exec_lo
	v_cmpx_lt_u32_e64 v78, v2
	s_cbranch_execz .LBB430_316
.LBB430_301:                            ;   in Loop: Header=BB430_240 Depth=2
	global_load_b64 v[10:11], v[20:21], off offset:1024
	s_or_b32 exec_lo, exec_lo, s43
	s_delay_alu instid0(SALU_CYCLE_1)
	s_mov_b32 s43, exec_lo
	v_cmpx_lt_u32_e64 v79, v2
	s_cbranch_execnz .LBB430_317
.LBB430_302:                            ;   in Loop: Header=BB430_240 Depth=2
	s_or_b32 exec_lo, exec_lo, s43
	s_delay_alu instid0(SALU_CYCLE_1)
	s_mov_b32 s43, exec_lo
	v_cmpx_lt_u32_e64 v80, v2
	s_cbranch_execz .LBB430_318
.LBB430_303:                            ;   in Loop: Header=BB430_240 Depth=2
	global_load_b64 v[6:7], v[20:21], off offset:1536
	s_or_b32 exec_lo, exec_lo, s43
	s_delay_alu instid0(SALU_CYCLE_1)
	s_mov_b32 s43, exec_lo
	v_cmpx_lt_u32_e64 v81, v2
	s_cbranch_execnz .LBB430_319
.LBB430_304:                            ;   in Loop: Header=BB430_240 Depth=2
	s_or_b32 exec_lo, exec_lo, s43
	s_and_saveexec_b32 s24, s22
	s_cbranch_execz .LBB430_320
.LBB430_305:                            ;   in Loop: Header=BB430_240 Depth=2
	ds_load_u8 v2, v1 offset:1024
	s_waitcnt lgkmcnt(0)
	v_lshrrev_b32_e32 v2, s30, v2
	s_delay_alu instid0(VALU_DEP_1)
	v_and_b32_e32 v92, s31, v2
	s_or_b32 exec_lo, exec_lo, s24
	s_and_saveexec_b32 s24, s23
	s_cbranch_execnz .LBB430_321
.LBB430_306:                            ;   in Loop: Header=BB430_240 Depth=2
	s_or_b32 exec_lo, exec_lo, s24
	s_and_saveexec_b32 s24, s21
	s_cbranch_execz .LBB430_322
.LBB430_307:                            ;   in Loop: Header=BB430_240 Depth=2
	ds_load_u8 v2, v35 offset:512
	s_waitcnt lgkmcnt(0)
	v_lshrrev_b32_e32 v2, s30, v2
	s_delay_alu instid0(VALU_DEP_1)
	v_and_b32_e32 v90, s31, v2
	s_or_b32 exec_lo, exec_lo, s24
	s_and_saveexec_b32 s24, s20
	s_cbranch_execnz .LBB430_323
.LBB430_308:                            ;   in Loop: Header=BB430_240 Depth=2
	s_or_b32 exec_lo, exec_lo, s24
	s_and_saveexec_b32 s24, s19
	s_cbranch_execz .LBB430_324
.LBB430_309:                            ;   in Loop: Header=BB430_240 Depth=2
	ds_load_u8 v2, v35 offset:1024
	s_waitcnt lgkmcnt(0)
	v_lshrrev_b32_e32 v2, s30, v2
	s_delay_alu instid0(VALU_DEP_1)
	v_and_b32_e32 v88, s31, v2
	s_or_b32 exec_lo, exec_lo, s24
	s_and_saveexec_b32 s24, s18
	s_cbranch_execnz .LBB430_325
.LBB430_310:                            ;   in Loop: Header=BB430_240 Depth=2
	s_or_b32 exec_lo, exec_lo, s24
	s_and_saveexec_b32 s24, s17
	s_cbranch_execz .LBB430_326
.LBB430_311:                            ;   in Loop: Header=BB430_240 Depth=2
	ds_load_u8 v2, v35 offset:1536
	s_waitcnt lgkmcnt(0)
	v_lshrrev_b32_e32 v2, s30, v2
	s_delay_alu instid0(VALU_DEP_1)
	v_and_b32_e32 v86, s31, v2
	s_or_b32 exec_lo, exec_lo, s24
	s_and_saveexec_b32 s24, vcc_lo
	s_cbranch_execnz .LBB430_327
	s_branch .LBB430_328
.LBB430_312:                            ;   in Loop: Header=BB430_240 Depth=2
	s_or_b32 exec_lo, exec_lo, s24
	s_delay_alu instid0(SALU_CYCLE_1)
	s_mov_b32 s43, exec_lo
	v_cmpx_lt_u32_e64 v75, v2
	s_cbranch_execz .LBB430_298
.LBB430_313:                            ;   in Loop: Header=BB430_240 Depth=2
	global_load_b64 v[16:17], v[20:21], off offset:256
	s_or_b32 exec_lo, exec_lo, s43
	s_delay_alu instid0(SALU_CYCLE_1)
	s_mov_b32 s43, exec_lo
	v_cmpx_lt_u32_e64 v76, v2
	s_cbranch_execnz .LBB430_299
.LBB430_314:                            ;   in Loop: Header=BB430_240 Depth=2
	s_or_b32 exec_lo, exec_lo, s43
	s_delay_alu instid0(SALU_CYCLE_1)
	s_mov_b32 s43, exec_lo
	v_cmpx_lt_u32_e64 v77, v2
	s_cbranch_execz .LBB430_300
.LBB430_315:                            ;   in Loop: Header=BB430_240 Depth=2
	global_load_b64 v[12:13], v[20:21], off offset:768
	s_or_b32 exec_lo, exec_lo, s43
	s_delay_alu instid0(SALU_CYCLE_1)
	s_mov_b32 s43, exec_lo
	v_cmpx_lt_u32_e64 v78, v2
	s_cbranch_execnz .LBB430_301
.LBB430_316:                            ;   in Loop: Header=BB430_240 Depth=2
	s_or_b32 exec_lo, exec_lo, s43
	s_delay_alu instid0(SALU_CYCLE_1)
	s_mov_b32 s43, exec_lo
	v_cmpx_lt_u32_e64 v79, v2
	s_cbranch_execz .LBB430_302
.LBB430_317:                            ;   in Loop: Header=BB430_240 Depth=2
	global_load_b64 v[8:9], v[20:21], off offset:1280
	s_or_b32 exec_lo, exec_lo, s43
	s_delay_alu instid0(SALU_CYCLE_1)
	s_mov_b32 s43, exec_lo
	v_cmpx_lt_u32_e64 v80, v2
	s_cbranch_execnz .LBB430_303
.LBB430_318:                            ;   in Loop: Header=BB430_240 Depth=2
	s_or_b32 exec_lo, exec_lo, s43
	s_delay_alu instid0(SALU_CYCLE_1)
	s_mov_b32 s43, exec_lo
	v_cmpx_lt_u32_e64 v81, v2
	s_cbranch_execz .LBB430_304
.LBB430_319:                            ;   in Loop: Header=BB430_240 Depth=2
	global_load_b64 v[4:5], v[20:21], off offset:1792
	s_or_b32 exec_lo, exec_lo, s43
	s_and_saveexec_b32 s24, s22
	s_cbranch_execnz .LBB430_305
.LBB430_320:                            ;   in Loop: Header=BB430_240 Depth=2
	s_or_b32 exec_lo, exec_lo, s24
	s_and_saveexec_b32 s24, s23
	s_cbranch_execz .LBB430_306
.LBB430_321:                            ;   in Loop: Header=BB430_240 Depth=2
	ds_load_u8 v2, v35 offset:256
	s_waitcnt lgkmcnt(0)
	v_lshrrev_b32_e32 v2, s30, v2
	s_delay_alu instid0(VALU_DEP_1)
	v_and_b32_e32 v91, s31, v2
	s_or_b32 exec_lo, exec_lo, s24
	s_and_saveexec_b32 s24, s21
	s_cbranch_execnz .LBB430_307
.LBB430_322:                            ;   in Loop: Header=BB430_240 Depth=2
	s_or_b32 exec_lo, exec_lo, s24
	s_and_saveexec_b32 s24, s20
	s_cbranch_execz .LBB430_308
.LBB430_323:                            ;   in Loop: Header=BB430_240 Depth=2
	ds_load_u8 v2, v35 offset:768
	s_waitcnt lgkmcnt(0)
	v_lshrrev_b32_e32 v2, s30, v2
	s_delay_alu instid0(VALU_DEP_1)
	v_and_b32_e32 v89, s31, v2
	s_or_b32 exec_lo, exec_lo, s24
	s_and_saveexec_b32 s24, s19
	s_cbranch_execnz .LBB430_309
.LBB430_324:                            ;   in Loop: Header=BB430_240 Depth=2
	s_or_b32 exec_lo, exec_lo, s24
	s_and_saveexec_b32 s24, s18
	s_cbranch_execz .LBB430_310
.LBB430_325:                            ;   in Loop: Header=BB430_240 Depth=2
	ds_load_u8 v2, v35 offset:1280
	s_waitcnt lgkmcnt(0)
	v_lshrrev_b32_e32 v2, s30, v2
	s_delay_alu instid0(VALU_DEP_1)
	v_and_b32_e32 v87, s31, v2
	s_or_b32 exec_lo, exec_lo, s24
	s_and_saveexec_b32 s24, s17
	s_cbranch_execnz .LBB430_311
.LBB430_326:                            ;   in Loop: Header=BB430_240 Depth=2
	s_or_b32 exec_lo, exec_lo, s24
	s_and_saveexec_b32 s24, vcc_lo
	s_cbranch_execz .LBB430_328
.LBB430_327:                            ;   in Loop: Header=BB430_240 Depth=2
	ds_load_u8 v2, v35 offset:1792
	s_waitcnt lgkmcnt(0)
	v_lshrrev_b32_e32 v2, s30, v2
	s_delay_alu instid0(VALU_DEP_1)
	v_and_b32_e32 v85, s31, v2
.LBB430_328:                            ;   in Loop: Header=BB430_240 Depth=2
	s_or_b32 exec_lo, exec_lo, s24
	v_lshlrev_b32_e32 v2, 3, v100
	v_lshlrev_b32_e32 v20, 3, v96
	;; [unrolled: 1-line block ×3, first 2 shown]
	s_waitcnt vmcnt(0)
	s_waitcnt_vscnt null, 0x0
	s_barrier
	buffer_gl0_inv
	ds_store_b64 v2, v[18:19] offset:1024
	ds_store_b64 v20, v[16:17] offset:1024
	;; [unrolled: 1-line block ×3, first 2 shown]
	v_lshlrev_b32_e32 v2, 3, v27
	v_lshlrev_b32_e32 v20, 3, v26
	;; [unrolled: 1-line block ×5, first 2 shown]
	ds_store_b64 v2, v[12:13] offset:1024
	ds_store_b64 v20, v[10:11] offset:1024
	;; [unrolled: 1-line block ×5, first 2 shown]
	s_waitcnt lgkmcnt(0)
	s_barrier
	buffer_gl0_inv
	s_and_saveexec_b32 s24, s22
	s_cbranch_execz .LBB430_336
; %bb.329:                              ;   in Loop: Header=BB430_240 Depth=2
	v_lshlrev_b32_e32 v2, 2, v92
	v_add_nc_u32_e32 v20, v1, v52
	ds_load_b32 v2, v2
	ds_load_b64 v[20:21], v20 offset:1024
	s_waitcnt lgkmcnt(1)
	v_add_nc_u32_e32 v2, v2, v1
	s_delay_alu instid0(VALU_DEP_1) | instskip(NEXT) | instid1(VALU_DEP_1)
	v_lshlrev_b64 v[23:24], 3, v[2:3]
	v_add_co_u32 v23, s22, s46, v23
	s_delay_alu instid0(VALU_DEP_1)
	v_add_co_ci_u32_e64 v24, s22, s47, v24, s22
	s_waitcnt lgkmcnt(0)
	global_store_b64 v[23:24], v[20:21], off
	s_or_b32 exec_lo, exec_lo, s24
	s_and_saveexec_b32 s24, s23
	s_cbranch_execnz .LBB430_337
.LBB430_330:                            ;   in Loop: Header=BB430_240 Depth=2
	s_or_b32 exec_lo, exec_lo, s24
	s_and_saveexec_b32 s22, s21
	s_cbranch_execz .LBB430_338
.LBB430_331:                            ;   in Loop: Header=BB430_240 Depth=2
	v_lshlrev_b32_e32 v2, 2, v90
	v_add_nc_u32_e32 v20, v35, v52
	ds_load_b32 v2, v2
	ds_load_b64 v[20:21], v20 offset:4096
	s_waitcnt lgkmcnt(1)
	v_add_nc_u32_e32 v2, v2, v30
	s_delay_alu instid0(VALU_DEP_1) | instskip(NEXT) | instid1(VALU_DEP_1)
	v_lshlrev_b64 v[23:24], 3, v[2:3]
	v_add_co_u32 v23, s21, s46, v23
	s_delay_alu instid0(VALU_DEP_1)
	v_add_co_ci_u32_e64 v24, s21, s47, v24, s21
	s_waitcnt lgkmcnt(0)
	global_store_b64 v[23:24], v[20:21], off
	s_or_b32 exec_lo, exec_lo, s22
	s_and_saveexec_b32 s21, s20
	s_cbranch_execnz .LBB430_339
.LBB430_332:                            ;   in Loop: Header=BB430_240 Depth=2
	s_or_b32 exec_lo, exec_lo, s21
	s_and_saveexec_b32 s20, s19
	s_cbranch_execz .LBB430_340
.LBB430_333:                            ;   in Loop: Header=BB430_240 Depth=2
	v_lshlrev_b32_e32 v2, 2, v88
	v_add_nc_u32_e32 v20, v35, v52
	ds_load_b32 v2, v2
	ds_load_b64 v[20:21], v20 offset:8192
	s_waitcnt lgkmcnt(1)
	v_add_nc_u32_e32 v2, v2, v35
	s_delay_alu instid0(VALU_DEP_1) | instskip(NEXT) | instid1(VALU_DEP_1)
	v_lshlrev_b64 v[23:24], 3, v[2:3]
	v_add_co_u32 v23, s19, s46, v23
	s_delay_alu instid0(VALU_DEP_1)
	v_add_co_ci_u32_e64 v24, s19, s47, v24, s19
	s_waitcnt lgkmcnt(0)
	global_store_b64 v[23:24], v[20:21], off
	s_or_b32 exec_lo, exec_lo, s20
	s_and_saveexec_b32 s19, s18
	s_cbranch_execnz .LBB430_341
.LBB430_334:                            ;   in Loop: Header=BB430_240 Depth=2
	s_or_b32 exec_lo, exec_lo, s19
	s_and_saveexec_b32 s18, s17
	s_cbranch_execz .LBB430_342
.LBB430_335:                            ;   in Loop: Header=BB430_240 Depth=2
	v_lshlrev_b32_e32 v2, 2, v86
	v_add_nc_u32_e32 v20, v35, v52
	ds_load_b32 v2, v2
	ds_load_b64 v[20:21], v20 offset:12288
	s_waitcnt lgkmcnt(1)
	v_add_nc_u32_e32 v2, v2, v37
	s_delay_alu instid0(VALU_DEP_1) | instskip(NEXT) | instid1(VALU_DEP_1)
	v_lshlrev_b64 v[23:24], 3, v[2:3]
	v_add_co_u32 v23, s17, s46, v23
	s_delay_alu instid0(VALU_DEP_1)
	v_add_co_ci_u32_e64 v24, s17, s47, v24, s17
	s_waitcnt lgkmcnt(0)
	global_store_b64 v[23:24], v[20:21], off
	s_or_b32 exec_lo, exec_lo, s18
	s_and_saveexec_b32 s17, vcc_lo
	s_cbranch_execnz .LBB430_343
	s_branch .LBB430_344
.LBB430_336:                            ;   in Loop: Header=BB430_240 Depth=2
	s_or_b32 exec_lo, exec_lo, s24
	s_and_saveexec_b32 s24, s23
	s_cbranch_execz .LBB430_330
.LBB430_337:                            ;   in Loop: Header=BB430_240 Depth=2
	v_lshlrev_b32_e32 v2, 2, v91
	v_add_nc_u32_e32 v20, v35, v52
	ds_load_b32 v2, v2
	ds_load_b64 v[20:21], v20 offset:2048
	s_waitcnt lgkmcnt(1)
	v_add_nc_u32_e32 v2, v2, v29
	s_delay_alu instid0(VALU_DEP_1) | instskip(NEXT) | instid1(VALU_DEP_1)
	v_lshlrev_b64 v[23:24], 3, v[2:3]
	v_add_co_u32 v23, s22, s46, v23
	s_delay_alu instid0(VALU_DEP_1)
	v_add_co_ci_u32_e64 v24, s22, s47, v24, s22
	s_waitcnt lgkmcnt(0)
	global_store_b64 v[23:24], v[20:21], off
	s_or_b32 exec_lo, exec_lo, s24
	s_and_saveexec_b32 s22, s21
	s_cbranch_execnz .LBB430_331
.LBB430_338:                            ;   in Loop: Header=BB430_240 Depth=2
	s_or_b32 exec_lo, exec_lo, s22
	s_and_saveexec_b32 s21, s20
	s_cbranch_execz .LBB430_332
.LBB430_339:                            ;   in Loop: Header=BB430_240 Depth=2
	v_lshlrev_b32_e32 v2, 2, v89
	v_add_nc_u32_e32 v20, v35, v52
	ds_load_b32 v2, v2
	ds_load_b64 v[20:21], v20 offset:6144
	s_waitcnt lgkmcnt(1)
	v_add_nc_u32_e32 v2, v2, v31
	s_delay_alu instid0(VALU_DEP_1) | instskip(NEXT) | instid1(VALU_DEP_1)
	v_lshlrev_b64 v[23:24], 3, v[2:3]
	v_add_co_u32 v23, s20, s46, v23
	s_delay_alu instid0(VALU_DEP_1)
	v_add_co_ci_u32_e64 v24, s20, s47, v24, s20
	s_waitcnt lgkmcnt(0)
	global_store_b64 v[23:24], v[20:21], off
	s_or_b32 exec_lo, exec_lo, s21
	s_and_saveexec_b32 s20, s19
	s_cbranch_execnz .LBB430_333
.LBB430_340:                            ;   in Loop: Header=BB430_240 Depth=2
	s_or_b32 exec_lo, exec_lo, s20
	s_and_saveexec_b32 s19, s18
	s_cbranch_execz .LBB430_334
.LBB430_341:                            ;   in Loop: Header=BB430_240 Depth=2
	v_lshlrev_b32_e32 v2, 2, v87
	v_add_nc_u32_e32 v20, v35, v52
	ds_load_b32 v2, v2
	ds_load_b64 v[20:21], v20 offset:10240
	s_waitcnt lgkmcnt(1)
	v_add_nc_u32_e32 v2, v2, v36
	s_delay_alu instid0(VALU_DEP_1) | instskip(NEXT) | instid1(VALU_DEP_1)
	v_lshlrev_b64 v[23:24], 3, v[2:3]
	v_add_co_u32 v23, s18, s46, v23
	s_delay_alu instid0(VALU_DEP_1)
	v_add_co_ci_u32_e64 v24, s18, s47, v24, s18
	s_waitcnt lgkmcnt(0)
	global_store_b64 v[23:24], v[20:21], off
	s_or_b32 exec_lo, exec_lo, s19
	s_and_saveexec_b32 s18, s17
	s_cbranch_execnz .LBB430_335
.LBB430_342:                            ;   in Loop: Header=BB430_240 Depth=2
	s_or_b32 exec_lo, exec_lo, s18
	s_and_saveexec_b32 s17, vcc_lo
	s_cbranch_execz .LBB430_344
.LBB430_343:                            ;   in Loop: Header=BB430_240 Depth=2
	v_lshlrev_b32_e32 v2, 2, v85
	v_add_nc_u32_e32 v20, v35, v52
	ds_load_b32 v2, v2
	ds_load_b64 v[20:21], v20 offset:14336
	s_waitcnt lgkmcnt(1)
	v_add_nc_u32_e32 v2, v2, v39
	s_delay_alu instid0(VALU_DEP_1) | instskip(NEXT) | instid1(VALU_DEP_1)
	v_lshlrev_b64 v[23:24], 3, v[2:3]
	v_add_co_u32 v23, vcc_lo, s46, v23
	s_delay_alu instid0(VALU_DEP_2)
	v_add_co_ci_u32_e32 v24, vcc_lo, s47, v24, vcc_lo
	s_waitcnt lgkmcnt(0)
	global_store_b64 v[23:24], v[20:21], off
.LBB430_344:                            ;   in Loop: Header=BB430_240 Depth=2
	s_or_b32 exec_lo, exec_lo, s17
	s_waitcnt_vscnt null, 0x0
	s_barrier
	buffer_gl0_inv
	s_and_saveexec_b32 s17, s2
	s_cbranch_execz .LBB430_239
; %bb.345:                              ;   in Loop: Header=BB430_240 Depth=2
	ds_load_b32 v2, v28
	s_waitcnt lgkmcnt(0)
	v_add_nc_u32_e32 v2, v2, v22
	ds_store_b32 v28, v2
	s_branch .LBB430_239
.LBB430_346:                            ;   in Loop: Header=BB430_240 Depth=2
	s_or_b32 exec_lo, exec_lo, s17
	s_delay_alu instid0(SALU_CYCLE_1)
	s_mov_b32 s17, exec_lo
	v_cmpx_gt_u32_e64 s35, v75
	s_cbranch_execz .LBB430_246
.LBB430_347:                            ;   in Loop: Header=BB430_240 Depth=2
	global_load_u8 v95, v[20:21], off offset:32
	s_or_b32 exec_lo, exec_lo, s17
	s_delay_alu instid0(SALU_CYCLE_1)
	s_mov_b32 s17, exec_lo
	v_cmpx_gt_u32_e64 s35, v76
	s_cbranch_execnz .LBB430_247
.LBB430_348:                            ;   in Loop: Header=BB430_240 Depth=2
	s_or_b32 exec_lo, exec_lo, s17
	s_delay_alu instid0(SALU_CYCLE_1)
	s_mov_b32 s17, exec_lo
	v_cmpx_gt_u32_e64 s35, v77
	s_cbranch_execz .LBB430_248
.LBB430_349:                            ;   in Loop: Header=BB430_240 Depth=2
	global_load_u8 v26, v[20:21], off offset:96
	s_or_b32 exec_lo, exec_lo, s17
	s_delay_alu instid0(SALU_CYCLE_1)
	s_mov_b32 s17, exec_lo
	v_cmpx_gt_u32_e64 s35, v78
	s_cbranch_execnz .LBB430_249
.LBB430_350:                            ;   in Loop: Header=BB430_240 Depth=2
	s_or_b32 exec_lo, exec_lo, s17
	s_delay_alu instid0(SALU_CYCLE_1)
	s_mov_b32 s17, exec_lo
	v_cmpx_gt_u32_e64 s35, v79
	s_cbranch_execz .LBB430_250
.LBB430_351:                            ;   in Loop: Header=BB430_240 Depth=2
	global_load_u8 v24, v[20:21], off offset:160
	s_or_b32 exec_lo, exec_lo, s17
	s_delay_alu instid0(SALU_CYCLE_1)
	s_mov_b32 s17, exec_lo
	v_cmpx_gt_u32_e64 s35, v80
	s_cbranch_execnz .LBB430_251
	s_branch .LBB430_252
.LBB430_352:                            ;   in Loop: Header=BB430_20 Depth=1
	s_waitcnt lgkmcnt(0)
	s_barrier
.LBB430_353:                            ;   in Loop: Header=BB430_20 Depth=1
	s_mov_b32 s0, 0
.LBB430_354:                            ;   in Loop: Header=BB430_20 Depth=1
	s_delay_alu instid0(SALU_CYCLE_1)
	s_and_not1_b32 vcc_lo, exec_lo, s0
	s_cbranch_vccnz .LBB430_19
; %bb.355:                              ;   in Loop: Header=BB430_20 Depth=1
	s_and_b32 vcc_lo, exec_lo, s33
	s_mov_b32 s0, -1
	s_cbranch_vccz .LBB430_521
; %bb.356:                              ;   in Loop: Header=BB430_20 Depth=1
	s_mov_b32 s0, s34
	s_mov_b32 s9, s28
	s_barrier
	buffer_gl0_inv
                                        ; implicit-def: $vgpr2
                                        ; implicit-def: $vgpr6
                                        ; implicit-def: $vgpr7
                                        ; implicit-def: $vgpr8
                                        ; implicit-def: $vgpr9
                                        ; implicit-def: $vgpr10
                                        ; implicit-def: $vgpr11
                                        ; implicit-def: $vgpr12
	s_branch .LBB430_358
.LBB430_357:                            ;   in Loop: Header=BB430_358 Depth=2
	s_or_b32 exec_lo, exec_lo, s8
	s_addk_i32 s0, 0xf800
	s_cmp_ge_u32 s1, s29
	s_mov_b32 s9, s1
	s_cbranch_scc1 .LBB430_396
.LBB430_358:                            ;   Parent Loop BB430_20 Depth=1
                                        ; =>  This Inner Loop Header: Depth=2
	s_add_i32 s1, s9, 0x800
	s_delay_alu instid0(SALU_CYCLE_1)
	s_cmp_gt_u32 s1, s29
	s_cbranch_scc1 .LBB430_361
; %bb.359:                              ;   in Loop: Header=BB430_358 Depth=2
	v_add_co_u32 v4, vcc_lo, v59, s9
	v_add_co_ci_u32_e32 v5, vcc_lo, 0, v60, vcc_lo
	s_mov_b32 s8, -1
	s_movk_i32 s12, 0x800
	s_clause 0x6
	global_load_u8 v20, v[4:5], off offset:1536
	global_load_u8 v19, v[4:5], off offset:1280
	;; [unrolled: 1-line block ×6, first 2 shown]
	global_load_u8 v14, v[4:5], off
	v_add_co_u32 v4, vcc_lo, 0x700, v4
	v_add_co_ci_u32_e32 v5, vcc_lo, 0, v5, vcc_lo
	s_cbranch_execz .LBB430_362
; %bb.360:                              ;   in Loop: Header=BB430_358 Depth=2
                                        ; implicit-def: $vgpr2
                                        ; implicit-def: $vgpr6
                                        ; implicit-def: $vgpr7
                                        ; implicit-def: $vgpr8
                                        ; implicit-def: $vgpr9
                                        ; implicit-def: $vgpr10
                                        ; implicit-def: $vgpr11
                                        ; implicit-def: $vgpr12
	v_mov_b32_e32 v13, s0
	s_and_saveexec_b32 s9, s8
	s_cbranch_execnz .LBB430_373
	s_branch .LBB430_374
.LBB430_361:                            ;   in Loop: Header=BB430_358 Depth=2
	s_mov_b32 s8, 0
                                        ; implicit-def: $sgpr12
                                        ; implicit-def: $vgpr14
                                        ; implicit-def: $vgpr15
                                        ; implicit-def: $vgpr16
                                        ; implicit-def: $vgpr17
                                        ; implicit-def: $vgpr18
                                        ; implicit-def: $vgpr19
                                        ; implicit-def: $vgpr20
                                        ; implicit-def: $vgpr4_vgpr5
.LBB430_362:                            ;   in Loop: Header=BB430_358 Depth=2
	s_add_u32 s10, s36, s9
	s_addc_u32 s11, s37, 0
	s_mov_b32 s12, exec_lo
	v_cmpx_gt_u32_e64 s0, v1
	s_cbranch_execz .LBB430_390
; %bb.363:                              ;   in Loop: Header=BB430_358 Depth=2
	v_add_co_u32 v4, s13, s10, v1
	s_delay_alu instid0(VALU_DEP_1) | instskip(SKIP_2) | instid1(SALU_CYCLE_1)
	v_add_co_ci_u32_e64 v5, null, s11, 0, s13
	global_load_u8 v2, v[4:5], off
	s_or_b32 exec_lo, exec_lo, s12
	s_mov_b32 s12, exec_lo
	v_cmpx_gt_u32_e64 s0, v29
	s_cbranch_execnz .LBB430_391
.LBB430_364:                            ;   in Loop: Header=BB430_358 Depth=2
	s_or_b32 exec_lo, exec_lo, s12
	s_delay_alu instid0(SALU_CYCLE_1)
	s_mov_b32 s12, exec_lo
	v_cmpx_gt_u32_e64 s0, v30
	s_cbranch_execz .LBB430_392
.LBB430_365:                            ;   in Loop: Header=BB430_358 Depth=2
	v_add_co_u32 v4, s13, s10, v1
	s_delay_alu instid0(VALU_DEP_1) | instskip(SKIP_2) | instid1(SALU_CYCLE_1)
	v_add_co_ci_u32_e64 v5, null, s11, 0, s13
	global_load_u8 v7, v[4:5], off offset:512
	s_or_b32 exec_lo, exec_lo, s12
	s_mov_b32 s12, exec_lo
	v_cmpx_gt_u32_e64 s0, v31
	s_cbranch_execnz .LBB430_393
.LBB430_366:                            ;   in Loop: Header=BB430_358 Depth=2
	s_or_b32 exec_lo, exec_lo, s12
	s_delay_alu instid0(SALU_CYCLE_1)
	s_mov_b32 s12, exec_lo
	v_cmpx_gt_u32_e64 s0, v35
	s_cbranch_execz .LBB430_394
.LBB430_367:                            ;   in Loop: Header=BB430_358 Depth=2
	v_add_co_u32 v4, s13, s10, v1
	s_delay_alu instid0(VALU_DEP_1) | instskip(SKIP_2) | instid1(SALU_CYCLE_1)
	v_add_co_ci_u32_e64 v5, null, s11, 0, s13
	global_load_u8 v9, v[4:5], off offset:1024
	s_or_b32 exec_lo, exec_lo, s12
	s_mov_b32 s12, exec_lo
	v_cmpx_gt_u32_e64 s0, v36
	s_cbranch_execnz .LBB430_395
.LBB430_368:                            ;   in Loop: Header=BB430_358 Depth=2
	s_or_b32 exec_lo, exec_lo, s12
	s_delay_alu instid0(SALU_CYCLE_1)
	s_mov_b32 s12, exec_lo
	v_cmpx_gt_u32_e64 s0, v37
	s_cbranch_execz .LBB430_370
.LBB430_369:                            ;   in Loop: Header=BB430_358 Depth=2
	v_add_co_u32 v4, s13, s10, v1
	s_delay_alu instid0(VALU_DEP_1)
	v_add_co_ci_u32_e64 v5, null, s11, 0, s13
	global_load_u8 v11, v[4:5], off offset:1536
.LBB430_370:                            ;   in Loop: Header=BB430_358 Depth=2
	s_or_b32 exec_lo, exec_lo, s12
	s_delay_alu instid0(SALU_CYCLE_1)
	s_mov_b32 s13, exec_lo
                                        ; implicit-def: $sgpr12
                                        ; implicit-def: $vgpr4_vgpr5
	v_cmpx_gt_u32_e64 s0, v39
; %bb.371:                              ;   in Loop: Header=BB430_358 Depth=2
	v_add_co_u32 v4, s10, s10, v1
	s_delay_alu instid0(VALU_DEP_1) | instskip(SKIP_1) | instid1(VALU_DEP_2)
	v_add_co_ci_u32_e64 v5, null, s11, 0, s10
	s_sub_i32 s12, s29, s9
	v_add_co_u32 v4, vcc_lo, 0x700, v4
	s_delay_alu instid0(VALU_DEP_2)
	v_add_co_ci_u32_e32 v5, vcc_lo, 0, v5, vcc_lo
	s_or_b32 s8, s8, exec_lo
                                        ; implicit-def: $vgpr12
; %bb.372:                              ;   in Loop: Header=BB430_358 Depth=2
	s_or_b32 exec_lo, exec_lo, s13
	s_waitcnt vmcnt(0)
	v_dual_mov_b32 v14, v2 :: v_dual_mov_b32 v17, v8
	v_dual_mov_b32 v15, v6 :: v_dual_mov_b32 v16, v7
	;; [unrolled: 1-line block ×4, first 2 shown]
	s_and_saveexec_b32 s9, s8
	s_cbranch_execz .LBB430_374
.LBB430_373:                            ;   in Loop: Header=BB430_358 Depth=2
	global_load_u8 v12, v[4:5], off
	s_waitcnt vmcnt(1)
	v_dual_mov_b32 v13, s12 :: v_dual_mov_b32 v2, v14
	v_dual_mov_b32 v6, v15 :: v_dual_mov_b32 v7, v16
	;; [unrolled: 1-line block ×4, first 2 shown]
.LBB430_374:                            ;   in Loop: Header=BB430_358 Depth=2
	s_or_b32 exec_lo, exec_lo, s9
	s_delay_alu instid0(SALU_CYCLE_1)
	s_mov_b32 s8, exec_lo
	v_cmpx_lt_u32_e64 v1, v13
	s_cbranch_execz .LBB430_382
; %bb.375:                              ;   in Loop: Header=BB430_358 Depth=2
	v_xor_b32_e32 v4, 0x80, v2
	v_lshlrev_b32_e32 v5, 2, v32
	s_delay_alu instid0(VALU_DEP_2) | instskip(NEXT) | instid1(VALU_DEP_1)
	v_and_b32_e32 v4, 0xff, v4
	v_lshrrev_b32_e32 v4, s49, v4
	s_delay_alu instid0(VALU_DEP_1) | instskip(NEXT) | instid1(VALU_DEP_1)
	v_and_b32_e32 v4, s31, v4
	v_lshl_or_b32 v4, v4, 4, v5
	ds_add_u32 v4, v66
	s_or_b32 exec_lo, exec_lo, s8
	s_delay_alu instid0(SALU_CYCLE_1)
	s_mov_b32 s8, exec_lo
	v_cmpx_lt_u32_e64 v29, v13
	s_cbranch_execnz .LBB430_383
.LBB430_376:                            ;   in Loop: Header=BB430_358 Depth=2
	s_or_b32 exec_lo, exec_lo, s8
	s_delay_alu instid0(SALU_CYCLE_1)
	s_mov_b32 s8, exec_lo
	v_cmpx_lt_u32_e64 v30, v13
	s_cbranch_execz .LBB430_384
.LBB430_377:                            ;   in Loop: Header=BB430_358 Depth=2
	v_xor_b32_e32 v4, 0x80, v7
	v_lshlrev_b32_e32 v5, 2, v32
	s_delay_alu instid0(VALU_DEP_2) | instskip(NEXT) | instid1(VALU_DEP_1)
	v_and_b32_e32 v4, 0xff, v4
	v_lshrrev_b32_e32 v4, s49, v4
	s_delay_alu instid0(VALU_DEP_1) | instskip(NEXT) | instid1(VALU_DEP_1)
	v_and_b32_e32 v4, s31, v4
	v_lshl_or_b32 v4, v4, 4, v5
	ds_add_u32 v4, v66
	s_or_b32 exec_lo, exec_lo, s8
	s_delay_alu instid0(SALU_CYCLE_1)
	s_mov_b32 s8, exec_lo
	v_cmpx_lt_u32_e64 v31, v13
	s_cbranch_execnz .LBB430_385
.LBB430_378:                            ;   in Loop: Header=BB430_358 Depth=2
	s_or_b32 exec_lo, exec_lo, s8
	s_delay_alu instid0(SALU_CYCLE_1)
	s_mov_b32 s8, exec_lo
	v_cmpx_lt_u32_e64 v35, v13
	s_cbranch_execz .LBB430_386
.LBB430_379:                            ;   in Loop: Header=BB430_358 Depth=2
	v_xor_b32_e32 v4, 0x80, v9
	v_lshlrev_b32_e32 v5, 2, v32
	s_delay_alu instid0(VALU_DEP_2) | instskip(NEXT) | instid1(VALU_DEP_1)
	v_and_b32_e32 v4, 0xff, v4
	v_lshrrev_b32_e32 v4, s49, v4
	s_delay_alu instid0(VALU_DEP_1) | instskip(NEXT) | instid1(VALU_DEP_1)
	v_and_b32_e32 v4, s31, v4
	v_lshl_or_b32 v4, v4, 4, v5
	ds_add_u32 v4, v66
	s_or_b32 exec_lo, exec_lo, s8
	s_delay_alu instid0(SALU_CYCLE_1)
	s_mov_b32 s8, exec_lo
	v_cmpx_lt_u32_e64 v36, v13
	s_cbranch_execnz .LBB430_387
.LBB430_380:                            ;   in Loop: Header=BB430_358 Depth=2
	s_or_b32 exec_lo, exec_lo, s8
	s_delay_alu instid0(SALU_CYCLE_1)
	s_mov_b32 s8, exec_lo
	v_cmpx_lt_u32_e64 v37, v13
	s_cbranch_execz .LBB430_388
.LBB430_381:                            ;   in Loop: Header=BB430_358 Depth=2
	v_xor_b32_e32 v4, 0x80, v11
	v_lshlrev_b32_e32 v5, 2, v32
	s_delay_alu instid0(VALU_DEP_2) | instskip(NEXT) | instid1(VALU_DEP_1)
	v_and_b32_e32 v4, 0xff, v4
	v_lshrrev_b32_e32 v4, s49, v4
	s_delay_alu instid0(VALU_DEP_1) | instskip(NEXT) | instid1(VALU_DEP_1)
	v_and_b32_e32 v4, s31, v4
	v_lshl_or_b32 v4, v4, 4, v5
	ds_add_u32 v4, v66
	s_or_b32 exec_lo, exec_lo, s8
	s_delay_alu instid0(SALU_CYCLE_1)
	s_mov_b32 s8, exec_lo
	v_cmpx_lt_u32_e64 v39, v13
	s_cbranch_execz .LBB430_357
	s_branch .LBB430_389
.LBB430_382:                            ;   in Loop: Header=BB430_358 Depth=2
	s_or_b32 exec_lo, exec_lo, s8
	s_delay_alu instid0(SALU_CYCLE_1)
	s_mov_b32 s8, exec_lo
	v_cmpx_lt_u32_e64 v29, v13
	s_cbranch_execz .LBB430_376
.LBB430_383:                            ;   in Loop: Header=BB430_358 Depth=2
	v_xor_b32_e32 v4, 0x80, v6
	v_lshlrev_b32_e32 v5, 2, v32
	s_delay_alu instid0(VALU_DEP_2) | instskip(NEXT) | instid1(VALU_DEP_1)
	v_and_b32_e32 v4, 0xff, v4
	v_lshrrev_b32_e32 v4, s49, v4
	s_delay_alu instid0(VALU_DEP_1) | instskip(NEXT) | instid1(VALU_DEP_1)
	v_and_b32_e32 v4, s31, v4
	v_lshl_or_b32 v4, v4, 4, v5
	ds_add_u32 v4, v66
	s_or_b32 exec_lo, exec_lo, s8
	s_delay_alu instid0(SALU_CYCLE_1)
	s_mov_b32 s8, exec_lo
	v_cmpx_lt_u32_e64 v30, v13
	s_cbranch_execnz .LBB430_377
.LBB430_384:                            ;   in Loop: Header=BB430_358 Depth=2
	s_or_b32 exec_lo, exec_lo, s8
	s_delay_alu instid0(SALU_CYCLE_1)
	s_mov_b32 s8, exec_lo
	v_cmpx_lt_u32_e64 v31, v13
	s_cbranch_execz .LBB430_378
.LBB430_385:                            ;   in Loop: Header=BB430_358 Depth=2
	v_xor_b32_e32 v4, 0x80, v8
	v_lshlrev_b32_e32 v5, 2, v32
	s_delay_alu instid0(VALU_DEP_2) | instskip(NEXT) | instid1(VALU_DEP_1)
	v_and_b32_e32 v4, 0xff, v4
	v_lshrrev_b32_e32 v4, s49, v4
	s_delay_alu instid0(VALU_DEP_1) | instskip(NEXT) | instid1(VALU_DEP_1)
	v_and_b32_e32 v4, s31, v4
	v_lshl_or_b32 v4, v4, 4, v5
	ds_add_u32 v4, v66
	s_or_b32 exec_lo, exec_lo, s8
	s_delay_alu instid0(SALU_CYCLE_1)
	s_mov_b32 s8, exec_lo
	v_cmpx_lt_u32_e64 v35, v13
	s_cbranch_execnz .LBB430_379
.LBB430_386:                            ;   in Loop: Header=BB430_358 Depth=2
	s_or_b32 exec_lo, exec_lo, s8
	s_delay_alu instid0(SALU_CYCLE_1)
	s_mov_b32 s8, exec_lo
	v_cmpx_lt_u32_e64 v36, v13
	s_cbranch_execz .LBB430_380
.LBB430_387:                            ;   in Loop: Header=BB430_358 Depth=2
	v_xor_b32_e32 v4, 0x80, v10
	v_lshlrev_b32_e32 v5, 2, v32
	s_delay_alu instid0(VALU_DEP_2) | instskip(NEXT) | instid1(VALU_DEP_1)
	v_and_b32_e32 v4, 0xff, v4
	v_lshrrev_b32_e32 v4, s49, v4
	s_delay_alu instid0(VALU_DEP_1) | instskip(NEXT) | instid1(VALU_DEP_1)
	v_and_b32_e32 v4, s31, v4
	v_lshl_or_b32 v4, v4, 4, v5
	ds_add_u32 v4, v66
	s_or_b32 exec_lo, exec_lo, s8
	s_delay_alu instid0(SALU_CYCLE_1)
	s_mov_b32 s8, exec_lo
	v_cmpx_lt_u32_e64 v37, v13
	s_cbranch_execnz .LBB430_381
.LBB430_388:                            ;   in Loop: Header=BB430_358 Depth=2
	s_or_b32 exec_lo, exec_lo, s8
	s_delay_alu instid0(SALU_CYCLE_1)
	s_mov_b32 s8, exec_lo
	v_cmpx_lt_u32_e64 v39, v13
	s_cbranch_execz .LBB430_357
.LBB430_389:                            ;   in Loop: Header=BB430_358 Depth=2
	s_waitcnt vmcnt(0)
	v_xor_b32_e32 v4, 0x80, v12
	v_lshlrev_b32_e32 v5, 2, v32
	s_delay_alu instid0(VALU_DEP_2) | instskip(NEXT) | instid1(VALU_DEP_1)
	v_and_b32_e32 v4, 0xff, v4
	v_lshrrev_b32_e32 v4, s49, v4
	s_delay_alu instid0(VALU_DEP_1) | instskip(NEXT) | instid1(VALU_DEP_1)
	v_and_b32_e32 v4, s31, v4
	v_lshl_or_b32 v4, v4, 4, v5
	ds_add_u32 v4, v66
	s_branch .LBB430_357
.LBB430_390:                            ;   in Loop: Header=BB430_358 Depth=2
	s_or_b32 exec_lo, exec_lo, s12
	s_delay_alu instid0(SALU_CYCLE_1)
	s_mov_b32 s12, exec_lo
	v_cmpx_gt_u32_e64 s0, v29
	s_cbranch_execz .LBB430_364
.LBB430_391:                            ;   in Loop: Header=BB430_358 Depth=2
	v_add_co_u32 v4, s13, s10, v1
	s_delay_alu instid0(VALU_DEP_1) | instskip(SKIP_2) | instid1(SALU_CYCLE_1)
	v_add_co_ci_u32_e64 v5, null, s11, 0, s13
	global_load_u8 v6, v[4:5], off offset:256
	s_or_b32 exec_lo, exec_lo, s12
	s_mov_b32 s12, exec_lo
	v_cmpx_gt_u32_e64 s0, v30
	s_cbranch_execnz .LBB430_365
.LBB430_392:                            ;   in Loop: Header=BB430_358 Depth=2
	s_or_b32 exec_lo, exec_lo, s12
	s_delay_alu instid0(SALU_CYCLE_1)
	s_mov_b32 s12, exec_lo
	v_cmpx_gt_u32_e64 s0, v31
	s_cbranch_execz .LBB430_366
.LBB430_393:                            ;   in Loop: Header=BB430_358 Depth=2
	v_add_co_u32 v4, s13, s10, v1
	s_delay_alu instid0(VALU_DEP_1) | instskip(SKIP_2) | instid1(SALU_CYCLE_1)
	v_add_co_ci_u32_e64 v5, null, s11, 0, s13
	global_load_u8 v8, v[4:5], off offset:768
	s_or_b32 exec_lo, exec_lo, s12
	s_mov_b32 s12, exec_lo
	v_cmpx_gt_u32_e64 s0, v35
	s_cbranch_execnz .LBB430_367
.LBB430_394:                            ;   in Loop: Header=BB430_358 Depth=2
	s_or_b32 exec_lo, exec_lo, s12
	s_delay_alu instid0(SALU_CYCLE_1)
	s_mov_b32 s12, exec_lo
	v_cmpx_gt_u32_e64 s0, v36
	s_cbranch_execz .LBB430_368
.LBB430_395:                            ;   in Loop: Header=BB430_358 Depth=2
	v_add_co_u32 v4, s13, s10, v1
	s_delay_alu instid0(VALU_DEP_1) | instskip(SKIP_2) | instid1(SALU_CYCLE_1)
	v_add_co_ci_u32_e64 v5, null, s11, 0, s13
	global_load_u8 v10, v[4:5], off offset:1280
	s_or_b32 exec_lo, exec_lo, s12
	s_mov_b32 s12, exec_lo
	v_cmpx_gt_u32_e64 s0, v37
	s_cbranch_execz .LBB430_370
	s_branch .LBB430_369
.LBB430_396:                            ;   in Loop: Header=BB430_20 Depth=1
	v_mov_b32_e32 v2, 0
	s_waitcnt vmcnt(0) lgkmcnt(0)
	s_barrier
	buffer_gl0_inv
	s_and_saveexec_b32 s0, s2
	s_cbranch_execz .LBB430_398
; %bb.397:                              ;   in Loop: Header=BB430_20 Depth=1
	ds_load_2addr_b64 v[4:7], v40 offset1:1
	s_waitcnt lgkmcnt(0)
	v_add_nc_u32_e32 v2, v5, v4
	s_delay_alu instid0(VALU_DEP_1)
	v_add3_u32 v2, v2, v6, v7
.LBB430_398:                            ;   in Loop: Header=BB430_20 Depth=1
	s_or_b32 exec_lo, exec_lo, s0
	v_and_b32_e32 v4, 15, v63
	s_delay_alu instid0(VALU_DEP_2) | instskip(SKIP_1) | instid1(VALU_DEP_3)
	v_mov_b32_dpp v5, v2 row_shr:1 row_mask:0xf bank_mask:0xf
	v_and_b32_e32 v6, 16, v63
	v_cmp_eq_u32_e64 s0, 0, v4
	v_cmp_lt_u32_e64 s1, 1, v4
	v_cmp_lt_u32_e64 s8, 3, v4
	;; [unrolled: 1-line block ×3, first 2 shown]
	v_cmp_eq_u32_e64 s10, 0, v6
	v_cndmask_b32_e64 v5, v5, 0, s0
	s_delay_alu instid0(VALU_DEP_1) | instskip(NEXT) | instid1(VALU_DEP_1)
	v_add_nc_u32_e32 v2, v5, v2
	v_mov_b32_dpp v5, v2 row_shr:2 row_mask:0xf bank_mask:0xf
	s_delay_alu instid0(VALU_DEP_1) | instskip(NEXT) | instid1(VALU_DEP_1)
	v_cndmask_b32_e64 v5, 0, v5, s1
	v_add_nc_u32_e32 v2, v2, v5
	s_delay_alu instid0(VALU_DEP_1) | instskip(NEXT) | instid1(VALU_DEP_1)
	v_mov_b32_dpp v5, v2 row_shr:4 row_mask:0xf bank_mask:0xf
	v_cndmask_b32_e64 v5, 0, v5, s8
	s_delay_alu instid0(VALU_DEP_1) | instskip(NEXT) | instid1(VALU_DEP_1)
	v_add_nc_u32_e32 v2, v2, v5
	v_mov_b32_dpp v5, v2 row_shr:8 row_mask:0xf bank_mask:0xf
	s_delay_alu instid0(VALU_DEP_1) | instskip(SKIP_1) | instid1(VALU_DEP_2)
	v_cndmask_b32_e64 v4, 0, v5, s9
	v_bfe_i32 v5, v63, 4, 1
	v_add_nc_u32_e32 v2, v2, v4
	ds_swizzle_b32 v4, v2 offset:swizzle(BROADCAST,32,15)
	s_waitcnt lgkmcnt(0)
	v_and_b32_e32 v4, v5, v4
	s_delay_alu instid0(VALU_DEP_1)
	v_add_nc_u32_e32 v4, v2, v4
	s_and_saveexec_b32 s11, s3
	s_cbranch_execz .LBB430_400
; %bb.399:                              ;   in Loop: Header=BB430_20 Depth=1
	ds_store_b32 v41, v4
.LBB430_400:                            ;   in Loop: Header=BB430_20 Depth=1
	s_or_b32 exec_lo, exec_lo, s11
	v_and_b32_e32 v2, 7, v63
	s_waitcnt lgkmcnt(0)
	s_barrier
	buffer_gl0_inv
	s_and_saveexec_b32 s11, s4
	s_cbranch_execz .LBB430_402
; %bb.401:                              ;   in Loop: Header=BB430_20 Depth=1
	ds_load_b32 v5, v42
	v_cmp_ne_u32_e32 vcc_lo, 0, v2
	s_waitcnt lgkmcnt(0)
	v_mov_b32_dpp v6, v5 row_shr:1 row_mask:0xf bank_mask:0xf
	s_delay_alu instid0(VALU_DEP_1) | instskip(SKIP_1) | instid1(VALU_DEP_2)
	v_cndmask_b32_e32 v6, 0, v6, vcc_lo
	v_cmp_lt_u32_e32 vcc_lo, 1, v2
	v_add_nc_u32_e32 v5, v6, v5
	s_delay_alu instid0(VALU_DEP_1) | instskip(NEXT) | instid1(VALU_DEP_1)
	v_mov_b32_dpp v6, v5 row_shr:2 row_mask:0xf bank_mask:0xf
	v_cndmask_b32_e32 v6, 0, v6, vcc_lo
	v_cmp_lt_u32_e32 vcc_lo, 3, v2
	s_delay_alu instid0(VALU_DEP_2) | instskip(NEXT) | instid1(VALU_DEP_1)
	v_add_nc_u32_e32 v5, v5, v6
	v_mov_b32_dpp v6, v5 row_shr:4 row_mask:0xf bank_mask:0xf
	s_delay_alu instid0(VALU_DEP_1) | instskip(NEXT) | instid1(VALU_DEP_1)
	v_cndmask_b32_e32 v6, 0, v6, vcc_lo
	v_add_nc_u32_e32 v5, v5, v6
	ds_store_b32 v42, v5
.LBB430_402:                            ;   in Loop: Header=BB430_20 Depth=1
	s_or_b32 exec_lo, exec_lo, s11
	v_mov_b32_e32 v5, 0
	s_waitcnt lgkmcnt(0)
	s_barrier
	buffer_gl0_inv
	s_and_saveexec_b32 s11, s5
	s_cbranch_execz .LBB430_404
; %bb.403:                              ;   in Loop: Header=BB430_20 Depth=1
	ds_load_b32 v5, v43
.LBB430_404:                            ;   in Loop: Header=BB430_20 Depth=1
	s_or_b32 exec_lo, exec_lo, s11
	v_add_nc_u32_e32 v6, -1, v63
	s_waitcnt lgkmcnt(0)
	v_add_nc_u32_e32 v4, v5, v4
	v_cmp_eq_u32_e64 s11, 0, v63
	s_barrier
	v_cmp_gt_i32_e32 vcc_lo, 0, v6
	buffer_gl0_inv
	v_cndmask_b32_e32 v6, v6, v63, vcc_lo
	s_delay_alu instid0(VALU_DEP_1)
	v_lshlrev_b32_e32 v69, 2, v6
	ds_bpermute_b32 v4, v69, v4
	s_and_saveexec_b32 s12, s2
	s_cbranch_execz .LBB430_406
; %bb.405:                              ;   in Loop: Header=BB430_20 Depth=1
	s_waitcnt lgkmcnt(0)
	v_cndmask_b32_e64 v4, v4, v5, s11
	s_delay_alu instid0(VALU_DEP_1)
	v_add_nc_u32_e32 v4, s28, v4
	ds_store_b32 v28, v4
.LBB430_406:                            ;   in Loop: Header=BB430_20 Depth=1
	s_or_b32 exec_lo, exec_lo, s12
	s_load_b64 s[12:13], s[26:27], 0x0
	v_add_co_u32 v71, vcc_lo, v64, v63
	v_add_co_ci_u32_e32 v72, vcc_lo, 0, v65, vcc_lo
	v_or_b32_e32 v70, v63, v44
	s_mov_b32 s35, s34
	s_mov_b32 s24, s28
                                        ; implicit-def: $vgpr8_vgpr9
                                        ; implicit-def: $vgpr10_vgpr11
                                        ; implicit-def: $vgpr12_vgpr13
                                        ; implicit-def: $vgpr14_vgpr15
                                        ; implicit-def: $vgpr16_vgpr17
                                        ; implicit-def: $vgpr18_vgpr19
                                        ; implicit-def: $vgpr85
                                        ; implicit-def: $vgpr86
                                        ; implicit-def: $vgpr87
                                        ; implicit-def: $vgpr88
                                        ; implicit-def: $vgpr89
                                        ; implicit-def: $vgpr90
                                        ; implicit-def: $vgpr91
                                        ; implicit-def: $vgpr92
	s_delay_alu instid0(VALU_DEP_1)
	v_or_b32_e32 v75, 32, v70
	v_or_b32_e32 v76, 64, v70
	;; [unrolled: 1-line block ×7, first 2 shown]
	s_waitcnt lgkmcnt(0)
	s_cmp_lt_u32 s15, s13
	s_cselect_b32 s13, 14, 20
	s_delay_alu instid0(SALU_CYCLE_1) | instskip(SKIP_4) | instid1(SALU_CYCLE_1)
	s_add_u32 s16, s26, s13
	s_addc_u32 s17, s27, 0
	s_cmp_lt_u32 s14, s12
	global_load_u16 v4, v3, s[16:17]
	s_cselect_b32 s12, 12, 18
	s_add_u32 s12, s26, s12
	s_addc_u32 s13, s27, 0
	global_load_u16 v6, v3, s[12:13]
	v_cmp_eq_u32_e64 s12, 0, v2
	v_cmp_lt_u32_e64 s13, 1, v2
	v_cmp_lt_u32_e64 s16, 3, v2
	v_lshlrev_b32_e32 v2, 3, v63
	s_delay_alu instid0(VALU_DEP_1)
	v_add_co_u32 v73, vcc_lo, v61, v2
	v_add_co_ci_u32_e32 v74, vcc_lo, 0, v62, vcc_lo
	v_add_co_u32 v83, vcc_lo, 0xe0, v71
	v_add_co_ci_u32_e32 v84, vcc_lo, 0, v72, vcc_lo
	s_waitcnt vmcnt(1)
	v_mad_u32_u24 v7, v45, v4, v0
	s_waitcnt vmcnt(0)
	s_delay_alu instid0(VALU_DEP_1) | instskip(NEXT) | instid1(VALU_DEP_1)
	v_mad_u64_u32 v[4:5], null, v7, v6, v[1:2]
                                        ; implicit-def: $vgpr6_vgpr7
	v_lshrrev_b32_e32 v82, 5, v4
                                        ; implicit-def: $vgpr4_vgpr5
	s_branch .LBB430_408
.LBB430_407:                            ;   in Loop: Header=BB430_408 Depth=2
	s_or_b32 exec_lo, exec_lo, s17
	s_addk_i32 s35, 0xf800
	s_cmp_lt_u32 s42, s29
	s_mov_b32 s24, s42
	s_cbranch_scc0 .LBB430_520
.LBB430_408:                            ;   Parent Loop BB430_20 Depth=1
                                        ; =>  This Inner Loop Header: Depth=2
	s_add_i32 s42, s24, 0x800
	s_delay_alu instid0(SALU_CYCLE_1)
	s_cmp_gt_u32 s42, s29
	s_cbranch_scc1 .LBB430_411
; %bb.409:                              ;   in Loop: Header=BB430_408 Depth=2
	v_add_co_u32 v20, vcc_lo, v71, s24
	v_add_co_ci_u32_e32 v21, vcc_lo, 0, v72, vcc_lo
	s_mov_b32 s19, 0
	s_mov_b32 s18, s24
	s_mov_b32 s20, -1
	s_clause 0x6
	global_load_u8 v23, v[20:21], off offset:192
	global_load_u8 v24, v[20:21], off offset:160
	;; [unrolled: 1-line block ×6, first 2 shown]
	global_load_u8 v93, v[20:21], off
	s_movk_i32 s17, 0x800
	s_cbranch_execz .LBB430_412
; %bb.410:                              ;   in Loop: Header=BB430_408 Depth=2
                                        ; implicit-def: $vgpr22
	v_mov_b32_e32 v2, s35
	s_and_saveexec_b32 s21, s20
	s_cbranch_execnz .LBB430_421
	s_branch .LBB430_422
.LBB430_411:                            ;   in Loop: Header=BB430_408 Depth=2
	s_mov_b32 s19, -1
	s_mov_b32 s20, 0
                                        ; implicit-def: $sgpr17
                                        ; implicit-def: $vgpr93
                                        ; implicit-def: $vgpr95
                                        ; implicit-def: $vgpr27
                                        ; implicit-def: $vgpr26
                                        ; implicit-def: $vgpr25
                                        ; implicit-def: $vgpr24
                                        ; implicit-def: $vgpr23
.LBB430_412:                            ;   in Loop: Header=BB430_408 Depth=2
	v_add_co_u32 v20, vcc_lo, v71, s24
	v_add_co_ci_u32_e32 v21, vcc_lo, 0, v72, vcc_lo
	s_waitcnt vmcnt(0)
	v_dual_mov_b32 v93, 0x7f :: v_dual_mov_b32 v22, 0x7f
	v_dual_mov_b32 v95, 0x7f :: v_dual_mov_b32 v26, 0x7f
	;; [unrolled: 1-line block ×3, first 2 shown]
	v_mov_b32_e32 v25, 0x7f
	v_mov_b32_e32 v23, 0x7f
	s_mov_b32 s17, exec_lo
	v_cmpx_gt_u32_e64 s35, v70
	s_cbranch_execz .LBB430_514
; %bb.413:                              ;   in Loop: Header=BB430_408 Depth=2
	global_load_u8 v93, v[20:21], off
	v_dual_mov_b32 v95, 0x7f :: v_dual_mov_b32 v26, 0x7f
	v_dual_mov_b32 v27, 0x7f :: v_dual_mov_b32 v24, 0x7f
	;; [unrolled: 1-line block ×3, first 2 shown]
	v_mov_b32_e32 v23, 0x7f
	s_or_b32 exec_lo, exec_lo, s17
	s_delay_alu instid0(SALU_CYCLE_1)
	s_mov_b32 s17, exec_lo
	v_cmpx_gt_u32_e64 s35, v75
	s_cbranch_execnz .LBB430_515
.LBB430_414:                            ;   in Loop: Header=BB430_408 Depth=2
	s_or_b32 exec_lo, exec_lo, s17
	s_delay_alu instid0(SALU_CYCLE_1)
	s_mov_b32 s17, exec_lo
	v_cmpx_gt_u32_e64 s35, v76
	s_cbranch_execz .LBB430_516
.LBB430_415:                            ;   in Loop: Header=BB430_408 Depth=2
	global_load_u8 v27, v[20:21], off offset:64
	s_or_b32 exec_lo, exec_lo, s17
	s_delay_alu instid0(SALU_CYCLE_1)
	s_mov_b32 s17, exec_lo
	v_cmpx_gt_u32_e64 s35, v77
	s_cbranch_execnz .LBB430_517
.LBB430_416:                            ;   in Loop: Header=BB430_408 Depth=2
	s_or_b32 exec_lo, exec_lo, s17
	s_delay_alu instid0(SALU_CYCLE_1)
	s_mov_b32 s17, exec_lo
	v_cmpx_gt_u32_e64 s35, v78
	s_cbranch_execz .LBB430_518
.LBB430_417:                            ;   in Loop: Header=BB430_408 Depth=2
	global_load_u8 v25, v[20:21], off offset:128
	s_or_b32 exec_lo, exec_lo, s17
	s_delay_alu instid0(SALU_CYCLE_1)
	s_mov_b32 s17, exec_lo
	v_cmpx_gt_u32_e64 s35, v79
	s_cbranch_execnz .LBB430_519
.LBB430_418:                            ;   in Loop: Header=BB430_408 Depth=2
	s_or_b32 exec_lo, exec_lo, s17
	s_delay_alu instid0(SALU_CYCLE_1)
	s_mov_b32 s17, exec_lo
	v_cmpx_gt_u32_e64 s35, v80
	s_cbranch_execz .LBB430_420
.LBB430_419:                            ;   in Loop: Header=BB430_408 Depth=2
	global_load_u8 v23, v[20:21], off offset:192
.LBB430_420:                            ;   in Loop: Header=BB430_408 Depth=2
	s_or_b32 exec_lo, exec_lo, s17
	v_cmp_gt_u32_e64 s20, s35, v81
	s_sub_i32 s17, s29, s24
	s_mov_b64 s[18:19], s[24:25]
	v_mov_b32_e32 v2, s35
	s_delay_alu instid0(VALU_DEP_2)
	s_and_saveexec_b32 s21, s20
	s_cbranch_execz .LBB430_422
.LBB430_421:                            ;   in Loop: Header=BB430_408 Depth=2
	v_add_co_u32 v20, vcc_lo, v83, s18
	v_add_co_ci_u32_e32 v21, vcc_lo, s19, v84, vcc_lo
	v_mov_b32_e32 v2, s17
	global_load_u8 v22, v[20:21], off
.LBB430_422:                            ;   in Loop: Header=BB430_408 Depth=2
	s_or_b32 exec_lo, exec_lo, s21
	s_waitcnt vmcnt(0)
	v_xor_b32_e32 v93, 0xffffff80, v93
	ds_store_b32 v46, v3 offset:1056
	ds_store_2addr_b32 v47, v3, v3 offset0:1 offset1:2
	ds_store_2addr_b32 v47, v3, v3 offset0:3 offset1:4
	;; [unrolled: 1-line block ×4, first 2 shown]
	s_waitcnt lgkmcnt(0)
	s_barrier
	v_and_b32_e32 v20, 0xff, v93
	buffer_gl0_inv
	; wave barrier
	v_lshrrev_b32_e32 v20, s49, v20
	s_delay_alu instid0(VALU_DEP_1) | instskip(NEXT) | instid1(VALU_DEP_1)
	v_and_b32_e32 v21, s31, v20
	v_and_b32_e32 v20, 1, v21
	v_lshlrev_b32_e32 v94, 30, v21
	v_lshlrev_b32_e32 v96, 29, v21
	;; [unrolled: 1-line block ×4, first 2 shown]
	v_add_co_u32 v20, s17, v20, -1
	s_delay_alu instid0(VALU_DEP_1)
	v_cndmask_b32_e64 v98, 0, 1, s17
	v_not_b32_e32 v102, v94
	v_cmp_gt_i32_e64 s17, 0, v94
	v_not_b32_e32 v94, v96
	v_lshlrev_b32_e32 v100, 26, v21
	v_cmp_ne_u32_e32 vcc_lo, 0, v98
	v_ashrrev_i32_e32 v102, 31, v102
	v_lshlrev_b32_e32 v101, 25, v21
	v_ashrrev_i32_e32 v94, 31, v94
	v_lshlrev_b32_e32 v98, 24, v21
	v_xor_b32_e32 v20, vcc_lo, v20
	v_cmp_gt_i32_e32 vcc_lo, 0, v96
	v_not_b32_e32 v96, v97
	v_xor_b32_e32 v102, s17, v102
	v_cmp_gt_i32_e64 s17, 0, v97
	v_and_b32_e32 v20, exec_lo, v20
	v_not_b32_e32 v97, v99
	v_ashrrev_i32_e32 v96, 31, v96
	v_xor_b32_e32 v94, vcc_lo, v94
	v_cmp_gt_i32_e32 vcc_lo, 0, v99
	v_and_b32_e32 v20, v20, v102
	v_not_b32_e32 v99, v100
	v_ashrrev_i32_e32 v97, 31, v97
	v_xor_b32_e32 v96, s17, v96
	v_cmp_gt_i32_e64 s17, 0, v100
	v_and_b32_e32 v20, v20, v94
	v_not_b32_e32 v94, v101
	v_ashrrev_i32_e32 v99, 31, v99
	v_xor_b32_e32 v97, vcc_lo, v97
	v_cmp_gt_i32_e32 vcc_lo, 0, v101
	v_and_b32_e32 v20, v20, v96
	v_not_b32_e32 v96, v98
	v_ashrrev_i32_e32 v94, 31, v94
	v_xor_b32_e32 v99, s17, v99
	v_cmp_gt_i32_e64 s17, 0, v98
	v_and_b32_e32 v20, v20, v97
	v_ashrrev_i32_e32 v96, 31, v96
	v_xor_b32_e32 v94, vcc_lo, v94
	v_mad_u32_u24 v21, v21, 9, v82
	s_delay_alu instid0(VALU_DEP_4) | instskip(NEXT) | instid1(VALU_DEP_4)
	v_and_b32_e32 v20, v20, v99
	v_xor_b32_e32 v96, s17, v96
	s_delay_alu instid0(VALU_DEP_2) | instskip(NEXT) | instid1(VALU_DEP_1)
	v_and_b32_e32 v20, v20, v94
	v_and_b32_e32 v20, v20, v96
	v_lshl_add_u32 v96, v21, 2, 0x420
	s_delay_alu instid0(VALU_DEP_2) | instskip(SKIP_1) | instid1(VALU_DEP_2)
	v_mbcnt_lo_u32_b32 v94, v20, 0
	v_cmp_ne_u32_e64 s17, 0, v20
	v_cmp_eq_u32_e32 vcc_lo, 0, v94
	s_delay_alu instid0(VALU_DEP_2) | instskip(NEXT) | instid1(SALU_CYCLE_1)
	s_and_b32 s18, s17, vcc_lo
	s_and_saveexec_b32 s17, s18
	s_cbranch_execz .LBB430_424
; %bb.423:                              ;   in Loop: Header=BB430_408 Depth=2
	v_bcnt_u32_b32 v20, v20, 0
	ds_store_b32 v96, v20
.LBB430_424:                            ;   in Loop: Header=BB430_408 Depth=2
	s_or_b32 exec_lo, exec_lo, s17
	v_xor_b32_e32 v95, 0xffffff80, v95
	; wave barrier
	s_delay_alu instid0(VALU_DEP_1) | instskip(NEXT) | instid1(VALU_DEP_1)
	v_and_b32_e32 v20, 0xff, v95
	v_lshrrev_b32_e32 v20, s49, v20
	s_delay_alu instid0(VALU_DEP_1) | instskip(NEXT) | instid1(VALU_DEP_1)
	v_and_b32_e32 v20, s31, v20
	v_and_b32_e32 v21, 1, v20
	v_lshlrev_b32_e32 v97, 30, v20
	v_lshlrev_b32_e32 v98, 29, v20
	;; [unrolled: 1-line block ×4, first 2 shown]
	v_add_co_u32 v21, s17, v21, -1
	s_delay_alu instid0(VALU_DEP_1)
	v_cndmask_b32_e64 v100, 0, 1, s17
	v_not_b32_e32 v104, v97
	v_cmp_gt_i32_e64 s17, 0, v97
	v_not_b32_e32 v97, v98
	v_lshlrev_b32_e32 v102, 26, v20
	v_cmp_ne_u32_e32 vcc_lo, 0, v100
	v_ashrrev_i32_e32 v104, 31, v104
	v_lshlrev_b32_e32 v103, 25, v20
	v_ashrrev_i32_e32 v97, 31, v97
	v_lshlrev_b32_e32 v100, 24, v20
	v_xor_b32_e32 v21, vcc_lo, v21
	v_cmp_gt_i32_e32 vcc_lo, 0, v98
	v_not_b32_e32 v98, v99
	v_xor_b32_e32 v104, s17, v104
	v_cmp_gt_i32_e64 s17, 0, v99
	v_and_b32_e32 v21, exec_lo, v21
	v_not_b32_e32 v99, v101
	v_ashrrev_i32_e32 v98, 31, v98
	v_xor_b32_e32 v97, vcc_lo, v97
	v_cmp_gt_i32_e32 vcc_lo, 0, v101
	v_and_b32_e32 v21, v21, v104
	v_not_b32_e32 v101, v102
	v_ashrrev_i32_e32 v99, 31, v99
	v_xor_b32_e32 v98, s17, v98
	v_cmp_gt_i32_e64 s17, 0, v102
	v_and_b32_e32 v21, v21, v97
	v_not_b32_e32 v97, v103
	v_ashrrev_i32_e32 v101, 31, v101
	v_xor_b32_e32 v99, vcc_lo, v99
	v_cmp_gt_i32_e32 vcc_lo, 0, v103
	v_and_b32_e32 v21, v21, v98
	v_not_b32_e32 v98, v100
	v_ashrrev_i32_e32 v97, 31, v97
	v_xor_b32_e32 v101, s17, v101
	v_mul_u32_u24_e32 v20, 9, v20
	v_and_b32_e32 v21, v21, v99
	v_cmp_gt_i32_e64 s17, 0, v100
	v_ashrrev_i32_e32 v98, 31, v98
	v_xor_b32_e32 v97, vcc_lo, v97
	v_add_lshl_u32 v99, v20, v82, 2
	v_and_b32_e32 v21, v21, v101
	s_delay_alu instid0(VALU_DEP_4) | instskip(NEXT) | instid1(VALU_DEP_3)
	v_xor_b32_e32 v20, s17, v98
	v_add_nc_u32_e32 v100, 0x420, v99
	s_delay_alu instid0(VALU_DEP_3) | instskip(SKIP_2) | instid1(VALU_DEP_1)
	v_and_b32_e32 v21, v21, v97
	ds_load_b32 v97, v99 offset:1056
	; wave barrier
	v_and_b32_e32 v20, v21, v20
	v_mbcnt_lo_u32_b32 v98, v20, 0
	v_cmp_ne_u32_e64 s17, 0, v20
	s_delay_alu instid0(VALU_DEP_2) | instskip(NEXT) | instid1(VALU_DEP_2)
	v_cmp_eq_u32_e32 vcc_lo, 0, v98
	s_and_b32 s18, s17, vcc_lo
	s_delay_alu instid0(SALU_CYCLE_1)
	s_and_saveexec_b32 s17, s18
	s_cbranch_execz .LBB430_426
; %bb.425:                              ;   in Loop: Header=BB430_408 Depth=2
	s_waitcnt lgkmcnt(0)
	v_bcnt_u32_b32 v20, v20, v97
	ds_store_b32 v100, v20
.LBB430_426:                            ;   in Loop: Header=BB430_408 Depth=2
	s_or_b32 exec_lo, exec_lo, s17
	v_xor_b32_e32 v99, 0xffffff80, v27
	; wave barrier
	s_delay_alu instid0(VALU_DEP_1) | instskip(NEXT) | instid1(VALU_DEP_1)
	v_and_b32_e32 v20, 0xff, v99
	v_lshrrev_b32_e32 v20, s49, v20
	s_delay_alu instid0(VALU_DEP_1) | instskip(NEXT) | instid1(VALU_DEP_1)
	v_and_b32_e32 v20, s31, v20
	v_and_b32_e32 v21, 1, v20
	v_lshlrev_b32_e32 v27, 30, v20
	v_lshlrev_b32_e32 v101, 29, v20
	;; [unrolled: 1-line block ×4, first 2 shown]
	v_add_co_u32 v21, s17, v21, -1
	s_delay_alu instid0(VALU_DEP_1)
	v_cndmask_b32_e64 v103, 0, 1, s17
	v_not_b32_e32 v107, v27
	v_cmp_gt_i32_e64 s17, 0, v27
	v_not_b32_e32 v27, v101
	v_lshlrev_b32_e32 v105, 26, v20
	v_cmp_ne_u32_e32 vcc_lo, 0, v103
	v_ashrrev_i32_e32 v107, 31, v107
	v_lshlrev_b32_e32 v106, 25, v20
	v_ashrrev_i32_e32 v27, 31, v27
	v_lshlrev_b32_e32 v103, 24, v20
	v_xor_b32_e32 v21, vcc_lo, v21
	v_cmp_gt_i32_e32 vcc_lo, 0, v101
	v_not_b32_e32 v101, v102
	v_xor_b32_e32 v107, s17, v107
	v_cmp_gt_i32_e64 s17, 0, v102
	v_and_b32_e32 v21, exec_lo, v21
	v_not_b32_e32 v102, v104
	v_ashrrev_i32_e32 v101, 31, v101
	v_xor_b32_e32 v27, vcc_lo, v27
	v_cmp_gt_i32_e32 vcc_lo, 0, v104
	v_and_b32_e32 v21, v21, v107
	v_not_b32_e32 v104, v105
	v_ashrrev_i32_e32 v102, 31, v102
	v_xor_b32_e32 v101, s17, v101
	v_cmp_gt_i32_e64 s17, 0, v105
	v_and_b32_e32 v21, v21, v27
	v_not_b32_e32 v27, v106
	v_ashrrev_i32_e32 v104, 31, v104
	v_xor_b32_e32 v102, vcc_lo, v102
	v_cmp_gt_i32_e32 vcc_lo, 0, v106
	v_and_b32_e32 v21, v21, v101
	v_not_b32_e32 v101, v103
	v_ashrrev_i32_e32 v27, 31, v27
	v_xor_b32_e32 v104, s17, v104
	v_mul_u32_u24_e32 v20, 9, v20
	v_and_b32_e32 v21, v21, v102
	v_cmp_gt_i32_e64 s17, 0, v103
	v_ashrrev_i32_e32 v101, 31, v101
	v_xor_b32_e32 v27, vcc_lo, v27
	v_add_lshl_u32 v103, v20, v82, 2
	v_and_b32_e32 v21, v21, v104
	s_delay_alu instid0(VALU_DEP_4) | instskip(SKIP_3) | instid1(VALU_DEP_2)
	v_xor_b32_e32 v20, s17, v101
	ds_load_b32 v101, v103 offset:1056
	v_and_b32_e32 v21, v21, v27
	v_add_nc_u32_e32 v104, 0x420, v103
	; wave barrier
	v_and_b32_e32 v20, v21, v20
	s_delay_alu instid0(VALU_DEP_1) | instskip(SKIP_1) | instid1(VALU_DEP_2)
	v_mbcnt_lo_u32_b32 v102, v20, 0
	v_cmp_ne_u32_e64 s17, 0, v20
	v_cmp_eq_u32_e32 vcc_lo, 0, v102
	s_delay_alu instid0(VALU_DEP_2) | instskip(NEXT) | instid1(SALU_CYCLE_1)
	s_and_b32 s18, s17, vcc_lo
	s_and_saveexec_b32 s17, s18
	s_cbranch_execz .LBB430_428
; %bb.427:                              ;   in Loop: Header=BB430_408 Depth=2
	s_waitcnt lgkmcnt(0)
	v_bcnt_u32_b32 v20, v20, v101
	ds_store_b32 v104, v20
.LBB430_428:                            ;   in Loop: Header=BB430_408 Depth=2
	s_or_b32 exec_lo, exec_lo, s17
	v_xor_b32_e32 v103, 0xffffff80, v26
	; wave barrier
	s_delay_alu instid0(VALU_DEP_1) | instskip(NEXT) | instid1(VALU_DEP_1)
	v_and_b32_e32 v20, 0xff, v103
	v_lshrrev_b32_e32 v20, s49, v20
	s_delay_alu instid0(VALU_DEP_1) | instskip(NEXT) | instid1(VALU_DEP_1)
	v_and_b32_e32 v20, s31, v20
	v_and_b32_e32 v21, 1, v20
	v_lshlrev_b32_e32 v26, 30, v20
	v_lshlrev_b32_e32 v27, 29, v20
	;; [unrolled: 1-line block ×4, first 2 shown]
	v_add_co_u32 v21, s17, v21, -1
	s_delay_alu instid0(VALU_DEP_1)
	v_cndmask_b32_e64 v106, 0, 1, s17
	v_not_b32_e32 v110, v26
	v_cmp_gt_i32_e64 s17, 0, v26
	v_not_b32_e32 v26, v27
	v_lshlrev_b32_e32 v108, 26, v20
	v_cmp_ne_u32_e32 vcc_lo, 0, v106
	v_ashrrev_i32_e32 v110, 31, v110
	v_lshlrev_b32_e32 v109, 25, v20
	v_ashrrev_i32_e32 v26, 31, v26
	v_lshlrev_b32_e32 v106, 24, v20
	v_xor_b32_e32 v21, vcc_lo, v21
	v_cmp_gt_i32_e32 vcc_lo, 0, v27
	v_not_b32_e32 v27, v105
	v_xor_b32_e32 v110, s17, v110
	v_cmp_gt_i32_e64 s17, 0, v105
	v_and_b32_e32 v21, exec_lo, v21
	v_not_b32_e32 v105, v107
	v_ashrrev_i32_e32 v27, 31, v27
	v_xor_b32_e32 v26, vcc_lo, v26
	v_cmp_gt_i32_e32 vcc_lo, 0, v107
	v_and_b32_e32 v21, v21, v110
	v_not_b32_e32 v107, v108
	v_ashrrev_i32_e32 v105, 31, v105
	v_xor_b32_e32 v27, s17, v27
	v_cmp_gt_i32_e64 s17, 0, v108
	v_and_b32_e32 v21, v21, v26
	v_not_b32_e32 v26, v109
	v_ashrrev_i32_e32 v107, 31, v107
	v_xor_b32_e32 v105, vcc_lo, v105
	v_cmp_gt_i32_e32 vcc_lo, 0, v109
	v_and_b32_e32 v21, v21, v27
	v_not_b32_e32 v27, v106
	v_ashrrev_i32_e32 v26, 31, v26
	v_xor_b32_e32 v107, s17, v107
	v_mul_u32_u24_e32 v20, 9, v20
	v_and_b32_e32 v21, v21, v105
	v_cmp_gt_i32_e64 s17, 0, v106
	v_ashrrev_i32_e32 v27, 31, v27
	v_xor_b32_e32 v26, vcc_lo, v26
	s_delay_alu instid0(VALU_DEP_4) | instskip(SKIP_1) | instid1(VALU_DEP_4)
	v_and_b32_e32 v21, v21, v107
	v_add_lshl_u32 v107, v20, v82, 2
	v_xor_b32_e32 v20, s17, v27
	s_delay_alu instid0(VALU_DEP_3) | instskip(SKIP_3) | instid1(VALU_DEP_1)
	v_and_b32_e32 v21, v21, v26
	ds_load_b32 v105, v107 offset:1056
	v_add_nc_u32_e32 v108, 0x420, v107
	; wave barrier
	v_and_b32_e32 v20, v21, v20
	v_mbcnt_lo_u32_b32 v106, v20, 0
	v_cmp_ne_u32_e64 s17, 0, v20
	s_delay_alu instid0(VALU_DEP_2) | instskip(NEXT) | instid1(VALU_DEP_2)
	v_cmp_eq_u32_e32 vcc_lo, 0, v106
	s_and_b32 s18, s17, vcc_lo
	s_delay_alu instid0(SALU_CYCLE_1)
	s_and_saveexec_b32 s17, s18
	s_cbranch_execz .LBB430_430
; %bb.429:                              ;   in Loop: Header=BB430_408 Depth=2
	s_waitcnt lgkmcnt(0)
	v_bcnt_u32_b32 v20, v20, v105
	ds_store_b32 v108, v20
.LBB430_430:                            ;   in Loop: Header=BB430_408 Depth=2
	s_or_b32 exec_lo, exec_lo, s17
	v_xor_b32_e32 v107, 0xffffff80, v25
	; wave barrier
	s_delay_alu instid0(VALU_DEP_1) | instskip(NEXT) | instid1(VALU_DEP_1)
	v_and_b32_e32 v20, 0xff, v107
	v_lshrrev_b32_e32 v20, s49, v20
	s_delay_alu instid0(VALU_DEP_1) | instskip(NEXT) | instid1(VALU_DEP_1)
	v_and_b32_e32 v20, s31, v20
	v_and_b32_e32 v21, 1, v20
	v_lshlrev_b32_e32 v25, 30, v20
	v_lshlrev_b32_e32 v26, 29, v20
	;; [unrolled: 1-line block ×4, first 2 shown]
	v_add_co_u32 v21, s17, v21, -1
	s_delay_alu instid0(VALU_DEP_1)
	v_cndmask_b32_e64 v109, 0, 1, s17
	v_not_b32_e32 v113, v25
	v_cmp_gt_i32_e64 s17, 0, v25
	v_not_b32_e32 v25, v26
	v_lshlrev_b32_e32 v111, 26, v20
	v_cmp_ne_u32_e32 vcc_lo, 0, v109
	v_ashrrev_i32_e32 v113, 31, v113
	v_lshlrev_b32_e32 v112, 25, v20
	v_ashrrev_i32_e32 v25, 31, v25
	v_lshlrev_b32_e32 v109, 24, v20
	v_xor_b32_e32 v21, vcc_lo, v21
	v_cmp_gt_i32_e32 vcc_lo, 0, v26
	v_not_b32_e32 v26, v27
	v_xor_b32_e32 v113, s17, v113
	v_cmp_gt_i32_e64 s17, 0, v27
	v_and_b32_e32 v21, exec_lo, v21
	v_not_b32_e32 v27, v110
	v_ashrrev_i32_e32 v26, 31, v26
	v_xor_b32_e32 v25, vcc_lo, v25
	v_cmp_gt_i32_e32 vcc_lo, 0, v110
	v_and_b32_e32 v21, v21, v113
	v_not_b32_e32 v110, v111
	v_ashrrev_i32_e32 v27, 31, v27
	v_xor_b32_e32 v26, s17, v26
	v_cmp_gt_i32_e64 s17, 0, v111
	v_and_b32_e32 v21, v21, v25
	v_not_b32_e32 v25, v112
	v_ashrrev_i32_e32 v110, 31, v110
	v_xor_b32_e32 v27, vcc_lo, v27
	v_cmp_gt_i32_e32 vcc_lo, 0, v112
	v_and_b32_e32 v21, v21, v26
	v_not_b32_e32 v26, v109
	v_ashrrev_i32_e32 v25, 31, v25
	v_xor_b32_e32 v110, s17, v110
	v_mul_u32_u24_e32 v20, 9, v20
	v_and_b32_e32 v21, v21, v27
	v_cmp_gt_i32_e64 s17, 0, v109
	v_ashrrev_i32_e32 v26, 31, v26
	v_xor_b32_e32 v25, vcc_lo, v25
	v_add_lshl_u32 v27, v20, v82, 2
	v_and_b32_e32 v21, v21, v110
	s_delay_alu instid0(VALU_DEP_4) | instskip(SKIP_3) | instid1(VALU_DEP_2)
	v_xor_b32_e32 v20, s17, v26
	ds_load_b32 v109, v27 offset:1056
	v_and_b32_e32 v21, v21, v25
	v_add_nc_u32_e32 v112, 0x420, v27
	; wave barrier
	v_and_b32_e32 v20, v21, v20
	s_delay_alu instid0(VALU_DEP_1) | instskip(SKIP_1) | instid1(VALU_DEP_2)
	v_mbcnt_lo_u32_b32 v110, v20, 0
	v_cmp_ne_u32_e64 s17, 0, v20
	v_cmp_eq_u32_e32 vcc_lo, 0, v110
	s_delay_alu instid0(VALU_DEP_2) | instskip(NEXT) | instid1(SALU_CYCLE_1)
	s_and_b32 s18, s17, vcc_lo
	s_and_saveexec_b32 s17, s18
	s_cbranch_execz .LBB430_432
; %bb.431:                              ;   in Loop: Header=BB430_408 Depth=2
	s_waitcnt lgkmcnt(0)
	v_bcnt_u32_b32 v20, v20, v109
	ds_store_b32 v112, v20
.LBB430_432:                            ;   in Loop: Header=BB430_408 Depth=2
	s_or_b32 exec_lo, exec_lo, s17
	v_xor_b32_e32 v111, 0xffffff80, v24
	; wave barrier
	s_delay_alu instid0(VALU_DEP_1) | instskip(NEXT) | instid1(VALU_DEP_1)
	v_and_b32_e32 v20, 0xff, v111
	v_lshrrev_b32_e32 v20, s49, v20
	s_delay_alu instid0(VALU_DEP_1) | instskip(NEXT) | instid1(VALU_DEP_1)
	v_and_b32_e32 v20, s31, v20
	v_and_b32_e32 v21, 1, v20
	v_lshlrev_b32_e32 v24, 30, v20
	v_lshlrev_b32_e32 v25, 29, v20
	;; [unrolled: 1-line block ×4, first 2 shown]
	v_add_co_u32 v21, s17, v21, -1
	s_delay_alu instid0(VALU_DEP_1)
	v_cndmask_b32_e64 v27, 0, 1, s17
	v_not_b32_e32 v116, v24
	v_cmp_gt_i32_e64 s17, 0, v24
	v_not_b32_e32 v24, v25
	v_lshlrev_b32_e32 v114, 26, v20
	v_cmp_ne_u32_e32 vcc_lo, 0, v27
	v_ashrrev_i32_e32 v116, 31, v116
	v_lshlrev_b32_e32 v115, 25, v20
	v_ashrrev_i32_e32 v24, 31, v24
	v_lshlrev_b32_e32 v27, 24, v20
	v_xor_b32_e32 v21, vcc_lo, v21
	v_cmp_gt_i32_e32 vcc_lo, 0, v25
	v_not_b32_e32 v25, v26
	v_xor_b32_e32 v116, s17, v116
	v_cmp_gt_i32_e64 s17, 0, v26
	v_and_b32_e32 v21, exec_lo, v21
	v_not_b32_e32 v26, v113
	v_ashrrev_i32_e32 v25, 31, v25
	v_xor_b32_e32 v24, vcc_lo, v24
	v_cmp_gt_i32_e32 vcc_lo, 0, v113
	v_and_b32_e32 v21, v21, v116
	v_not_b32_e32 v113, v114
	v_ashrrev_i32_e32 v26, 31, v26
	v_xor_b32_e32 v25, s17, v25
	v_cmp_gt_i32_e64 s17, 0, v114
	v_and_b32_e32 v21, v21, v24
	v_not_b32_e32 v24, v115
	v_ashrrev_i32_e32 v113, 31, v113
	v_xor_b32_e32 v26, vcc_lo, v26
	v_cmp_gt_i32_e32 vcc_lo, 0, v115
	v_and_b32_e32 v21, v21, v25
	v_not_b32_e32 v25, v27
	v_ashrrev_i32_e32 v24, 31, v24
	v_xor_b32_e32 v113, s17, v113
	v_mul_u32_u24_e32 v20, 9, v20
	v_and_b32_e32 v21, v21, v26
	v_cmp_gt_i32_e64 s17, 0, v27
	v_ashrrev_i32_e32 v25, 31, v25
	v_xor_b32_e32 v24, vcc_lo, v24
	v_add_lshl_u32 v26, v20, v82, 2
	v_and_b32_e32 v21, v21, v113
	s_delay_alu instid0(VALU_DEP_4) | instskip(SKIP_3) | instid1(VALU_DEP_2)
	v_xor_b32_e32 v20, s17, v25
	ds_load_b32 v113, v26 offset:1056
	v_and_b32_e32 v21, v21, v24
	v_add_nc_u32_e32 v116, 0x420, v26
	; wave barrier
	v_and_b32_e32 v20, v21, v20
	s_delay_alu instid0(VALU_DEP_1) | instskip(SKIP_1) | instid1(VALU_DEP_2)
	v_mbcnt_lo_u32_b32 v114, v20, 0
	v_cmp_ne_u32_e64 s17, 0, v20
	v_cmp_eq_u32_e32 vcc_lo, 0, v114
	s_delay_alu instid0(VALU_DEP_2) | instskip(NEXT) | instid1(SALU_CYCLE_1)
	s_and_b32 s18, s17, vcc_lo
	s_and_saveexec_b32 s17, s18
	s_cbranch_execz .LBB430_434
; %bb.433:                              ;   in Loop: Header=BB430_408 Depth=2
	s_waitcnt lgkmcnt(0)
	v_bcnt_u32_b32 v20, v20, v113
	ds_store_b32 v116, v20
.LBB430_434:                            ;   in Loop: Header=BB430_408 Depth=2
	s_or_b32 exec_lo, exec_lo, s17
	v_xor_b32_e32 v115, 0xffffff80, v23
	; wave barrier
	s_delay_alu instid0(VALU_DEP_1) | instskip(NEXT) | instid1(VALU_DEP_1)
	v_and_b32_e32 v20, 0xff, v115
	v_lshrrev_b32_e32 v20, s49, v20
	s_delay_alu instid0(VALU_DEP_1) | instskip(NEXT) | instid1(VALU_DEP_1)
	v_and_b32_e32 v20, s31, v20
	v_and_b32_e32 v21, 1, v20
	v_lshlrev_b32_e32 v23, 30, v20
	v_lshlrev_b32_e32 v24, 29, v20
	v_lshlrev_b32_e32 v25, 28, v20
	v_lshlrev_b32_e32 v27, 27, v20
	v_add_co_u32 v21, s17, v21, -1
	s_delay_alu instid0(VALU_DEP_1)
	v_cndmask_b32_e64 v26, 0, 1, s17
	v_not_b32_e32 v119, v23
	v_cmp_gt_i32_e64 s17, 0, v23
	v_not_b32_e32 v23, v24
	v_lshlrev_b32_e32 v117, 26, v20
	v_cmp_ne_u32_e32 vcc_lo, 0, v26
	v_ashrrev_i32_e32 v119, 31, v119
	v_lshlrev_b32_e32 v118, 25, v20
	v_ashrrev_i32_e32 v23, 31, v23
	v_lshlrev_b32_e32 v26, 24, v20
	v_xor_b32_e32 v21, vcc_lo, v21
	v_cmp_gt_i32_e32 vcc_lo, 0, v24
	v_not_b32_e32 v24, v25
	v_xor_b32_e32 v119, s17, v119
	v_cmp_gt_i32_e64 s17, 0, v25
	v_and_b32_e32 v21, exec_lo, v21
	v_not_b32_e32 v25, v27
	v_ashrrev_i32_e32 v24, 31, v24
	v_xor_b32_e32 v23, vcc_lo, v23
	v_cmp_gt_i32_e32 vcc_lo, 0, v27
	v_and_b32_e32 v21, v21, v119
	v_not_b32_e32 v27, v117
	v_ashrrev_i32_e32 v25, 31, v25
	v_xor_b32_e32 v24, s17, v24
	v_cmp_gt_i32_e64 s17, 0, v117
	v_and_b32_e32 v21, v21, v23
	v_not_b32_e32 v23, v118
	v_ashrrev_i32_e32 v27, 31, v27
	v_xor_b32_e32 v25, vcc_lo, v25
	v_cmp_gt_i32_e32 vcc_lo, 0, v118
	v_and_b32_e32 v21, v21, v24
	v_not_b32_e32 v24, v26
	v_ashrrev_i32_e32 v23, 31, v23
	v_xor_b32_e32 v27, s17, v27
	v_mul_u32_u24_e32 v20, 9, v20
	v_and_b32_e32 v21, v21, v25
	v_cmp_gt_i32_e64 s17, 0, v26
	v_ashrrev_i32_e32 v24, 31, v24
	v_xor_b32_e32 v23, vcc_lo, v23
	v_add_lshl_u32 v25, v20, v82, 2
	v_and_b32_e32 v21, v21, v27
	s_delay_alu instid0(VALU_DEP_4) | instskip(SKIP_3) | instid1(VALU_DEP_2)
	v_xor_b32_e32 v20, s17, v24
	ds_load_b32 v117, v25 offset:1056
	v_and_b32_e32 v21, v21, v23
	v_add_nc_u32_e32 v120, 0x420, v25
	; wave barrier
	v_and_b32_e32 v20, v21, v20
	s_delay_alu instid0(VALU_DEP_1) | instskip(SKIP_1) | instid1(VALU_DEP_2)
	v_mbcnt_lo_u32_b32 v118, v20, 0
	v_cmp_ne_u32_e64 s17, 0, v20
	v_cmp_eq_u32_e32 vcc_lo, 0, v118
	s_delay_alu instid0(VALU_DEP_2) | instskip(NEXT) | instid1(SALU_CYCLE_1)
	s_and_b32 s18, s17, vcc_lo
	s_and_saveexec_b32 s17, s18
	s_cbranch_execz .LBB430_436
; %bb.435:                              ;   in Loop: Header=BB430_408 Depth=2
	s_waitcnt lgkmcnt(0)
	v_bcnt_u32_b32 v20, v20, v117
	ds_store_b32 v120, v20
.LBB430_436:                            ;   in Loop: Header=BB430_408 Depth=2
	s_or_b32 exec_lo, exec_lo, s17
	v_xor_b32_e32 v119, 0xffffff80, v22
	; wave barrier
	s_delay_alu instid0(VALU_DEP_1) | instskip(NEXT) | instid1(VALU_DEP_1)
	v_and_b32_e32 v20, 0xff, v119
	v_lshrrev_b32_e32 v20, s49, v20
	s_delay_alu instid0(VALU_DEP_1) | instskip(NEXT) | instid1(VALU_DEP_1)
	v_and_b32_e32 v20, s31, v20
	v_and_b32_e32 v21, 1, v20
	v_lshlrev_b32_e32 v22, 30, v20
	v_lshlrev_b32_e32 v23, 29, v20
	v_lshlrev_b32_e32 v24, 28, v20
	v_lshlrev_b32_e32 v26, 27, v20
	v_add_co_u32 v21, s17, v21, -1
	s_delay_alu instid0(VALU_DEP_1)
	v_cndmask_b32_e64 v25, 0, 1, s17
	v_not_b32_e32 v122, v22
	v_cmp_gt_i32_e64 s17, 0, v22
	v_not_b32_e32 v22, v23
	v_lshlrev_b32_e32 v27, 26, v20
	v_cmp_ne_u32_e32 vcc_lo, 0, v25
	v_ashrrev_i32_e32 v122, 31, v122
	v_lshlrev_b32_e32 v121, 25, v20
	v_ashrrev_i32_e32 v22, 31, v22
	v_lshlrev_b32_e32 v25, 24, v20
	v_xor_b32_e32 v21, vcc_lo, v21
	v_cmp_gt_i32_e32 vcc_lo, 0, v23
	v_not_b32_e32 v23, v24
	v_xor_b32_e32 v122, s17, v122
	v_cmp_gt_i32_e64 s17, 0, v24
	v_and_b32_e32 v21, exec_lo, v21
	v_not_b32_e32 v24, v26
	v_ashrrev_i32_e32 v23, 31, v23
	v_xor_b32_e32 v22, vcc_lo, v22
	v_cmp_gt_i32_e32 vcc_lo, 0, v26
	v_and_b32_e32 v21, v21, v122
	v_not_b32_e32 v26, v27
	v_ashrrev_i32_e32 v24, 31, v24
	v_xor_b32_e32 v23, s17, v23
	v_cmp_gt_i32_e64 s17, 0, v27
	v_and_b32_e32 v21, v21, v22
	v_not_b32_e32 v22, v121
	v_ashrrev_i32_e32 v26, 31, v26
	v_xor_b32_e32 v24, vcc_lo, v24
	v_cmp_gt_i32_e32 vcc_lo, 0, v121
	v_and_b32_e32 v21, v21, v23
	v_not_b32_e32 v23, v25
	v_ashrrev_i32_e32 v22, 31, v22
	v_xor_b32_e32 v26, s17, v26
	v_mul_u32_u24_e32 v20, 9, v20
	v_and_b32_e32 v21, v21, v24
	v_cmp_gt_i32_e64 s17, 0, v25
	v_ashrrev_i32_e32 v23, 31, v23
	v_xor_b32_e32 v22, vcc_lo, v22
	v_add_lshl_u32 v24, v20, v82, 2
	v_and_b32_e32 v21, v21, v26
	s_delay_alu instid0(VALU_DEP_4) | instskip(SKIP_3) | instid1(VALU_DEP_2)
	v_xor_b32_e32 v20, s17, v23
	ds_load_b32 v121, v24 offset:1056
	v_and_b32_e32 v21, v21, v22
	v_add_nc_u32_e32 v123, 0x420, v24
	; wave barrier
	v_and_b32_e32 v20, v21, v20
	s_delay_alu instid0(VALU_DEP_1) | instskip(SKIP_1) | instid1(VALU_DEP_2)
	v_mbcnt_lo_u32_b32 v122, v20, 0
	v_cmp_ne_u32_e64 s17, 0, v20
	v_cmp_eq_u32_e32 vcc_lo, 0, v122
	s_delay_alu instid0(VALU_DEP_2) | instskip(NEXT) | instid1(SALU_CYCLE_1)
	s_and_b32 s18, s17, vcc_lo
	s_and_saveexec_b32 s17, s18
	s_cbranch_execz .LBB430_438
; %bb.437:                              ;   in Loop: Header=BB430_408 Depth=2
	s_waitcnt lgkmcnt(0)
	v_bcnt_u32_b32 v20, v20, v121
	ds_store_b32 v123, v20
.LBB430_438:                            ;   in Loop: Header=BB430_408 Depth=2
	s_or_b32 exec_lo, exec_lo, s17
	; wave barrier
	s_waitcnt lgkmcnt(0)
	s_barrier
	buffer_gl0_inv
	ds_load_b32 v124, v46 offset:1056
	ds_load_2addr_b32 v[26:27], v47 offset0:1 offset1:2
	ds_load_2addr_b32 v[24:25], v47 offset0:3 offset1:4
	;; [unrolled: 1-line block ×4, first 2 shown]
	s_waitcnt lgkmcnt(3)
	v_add3_u32 v125, v26, v124, v27
	s_waitcnt lgkmcnt(2)
	s_delay_alu instid0(VALU_DEP_1) | instskip(SKIP_1) | instid1(VALU_DEP_1)
	v_add3_u32 v125, v125, v24, v25
	s_waitcnt lgkmcnt(1)
	v_add3_u32 v125, v125, v20, v21
	s_waitcnt lgkmcnt(0)
	s_delay_alu instid0(VALU_DEP_1) | instskip(NEXT) | instid1(VALU_DEP_1)
	v_add3_u32 v23, v125, v22, v23
	v_mov_b32_dpp v125, v23 row_shr:1 row_mask:0xf bank_mask:0xf
	s_delay_alu instid0(VALU_DEP_1) | instskip(NEXT) | instid1(VALU_DEP_1)
	v_cndmask_b32_e64 v125, v125, 0, s0
	v_add_nc_u32_e32 v23, v125, v23
	s_delay_alu instid0(VALU_DEP_1) | instskip(NEXT) | instid1(VALU_DEP_1)
	v_mov_b32_dpp v125, v23 row_shr:2 row_mask:0xf bank_mask:0xf
	v_cndmask_b32_e64 v125, 0, v125, s1
	s_delay_alu instid0(VALU_DEP_1) | instskip(NEXT) | instid1(VALU_DEP_1)
	v_add_nc_u32_e32 v23, v23, v125
	v_mov_b32_dpp v125, v23 row_shr:4 row_mask:0xf bank_mask:0xf
	s_delay_alu instid0(VALU_DEP_1) | instskip(NEXT) | instid1(VALU_DEP_1)
	v_cndmask_b32_e64 v125, 0, v125, s8
	v_add_nc_u32_e32 v23, v23, v125
	s_delay_alu instid0(VALU_DEP_1) | instskip(NEXT) | instid1(VALU_DEP_1)
	v_mov_b32_dpp v125, v23 row_shr:8 row_mask:0xf bank_mask:0xf
	v_cndmask_b32_e64 v125, 0, v125, s9
	s_delay_alu instid0(VALU_DEP_1) | instskip(SKIP_3) | instid1(VALU_DEP_1)
	v_add_nc_u32_e32 v23, v23, v125
	ds_swizzle_b32 v125, v23 offset:swizzle(BROADCAST,32,15)
	s_waitcnt lgkmcnt(0)
	v_cndmask_b32_e64 v125, v125, 0, s10
	v_add_nc_u32_e32 v23, v23, v125
	s_and_saveexec_b32 s17, s3
	s_cbranch_execz .LBB430_440
; %bb.439:                              ;   in Loop: Header=BB430_408 Depth=2
	ds_store_b32 v38, v23 offset:1024
.LBB430_440:                            ;   in Loop: Header=BB430_408 Depth=2
	s_or_b32 exec_lo, exec_lo, s17
	s_waitcnt lgkmcnt(0)
	s_barrier
	buffer_gl0_inv
	s_and_saveexec_b32 s17, s4
	s_cbranch_execz .LBB430_442
; %bb.441:                              ;   in Loop: Header=BB430_408 Depth=2
	v_add_nc_u32_e32 v125, v46, v48
	ds_load_b32 v126, v125 offset:1024
	s_waitcnt lgkmcnt(0)
	v_mov_b32_dpp v127, v126 row_shr:1 row_mask:0xf bank_mask:0xf
	s_delay_alu instid0(VALU_DEP_1) | instskip(NEXT) | instid1(VALU_DEP_1)
	v_cndmask_b32_e64 v127, v127, 0, s12
	v_add_nc_u32_e32 v126, v127, v126
	s_delay_alu instid0(VALU_DEP_1) | instskip(NEXT) | instid1(VALU_DEP_1)
	v_mov_b32_dpp v127, v126 row_shr:2 row_mask:0xf bank_mask:0xf
	v_cndmask_b32_e64 v127, 0, v127, s13
	s_delay_alu instid0(VALU_DEP_1) | instskip(NEXT) | instid1(VALU_DEP_1)
	v_add_nc_u32_e32 v126, v126, v127
	v_mov_b32_dpp v127, v126 row_shr:4 row_mask:0xf bank_mask:0xf
	s_delay_alu instid0(VALU_DEP_1) | instskip(NEXT) | instid1(VALU_DEP_1)
	v_cndmask_b32_e64 v127, 0, v127, s16
	v_add_nc_u32_e32 v126, v126, v127
	ds_store_b32 v125, v126 offset:1024
.LBB430_442:                            ;   in Loop: Header=BB430_408 Depth=2
	s_or_b32 exec_lo, exec_lo, s17
	v_mov_b32_e32 v125, 0
	s_waitcnt lgkmcnt(0)
	s_barrier
	buffer_gl0_inv
	s_and_saveexec_b32 s17, s5
	s_cbranch_execz .LBB430_444
; %bb.443:                              ;   in Loop: Header=BB430_408 Depth=2
	ds_load_b32 v125, v38 offset:1020
.LBB430_444:                            ;   in Loop: Header=BB430_408 Depth=2
	s_or_b32 exec_lo, exec_lo, s17
	s_waitcnt lgkmcnt(0)
	v_add_nc_u32_e32 v23, v125, v23
	ds_bpermute_b32 v23, v69, v23
	s_waitcnt lgkmcnt(0)
	v_cndmask_b32_e64 v23, v23, v125, s11
	s_delay_alu instid0(VALU_DEP_1) | instskip(NEXT) | instid1(VALU_DEP_1)
	v_cndmask_b32_e64 v23, v23, 0, s6
	v_add_nc_u32_e32 v124, v23, v124
	s_delay_alu instid0(VALU_DEP_1) | instskip(NEXT) | instid1(VALU_DEP_1)
	v_add_nc_u32_e32 v26, v124, v26
	v_add_nc_u32_e32 v27, v26, v27
	s_delay_alu instid0(VALU_DEP_1) | instskip(NEXT) | instid1(VALU_DEP_1)
	v_add_nc_u32_e32 v24, v27, v24
	;; [unrolled: 3-line block ×3, first 2 shown]
	v_add_nc_u32_e32 v21, v20, v21
	s_delay_alu instid0(VALU_DEP_1)
	v_add_nc_u32_e32 v22, v21, v22
	ds_store_b32 v46, v23 offset:1056
	ds_store_2addr_b32 v47, v124, v26 offset0:1 offset1:2
	ds_store_2addr_b32 v47, v27, v24 offset0:3 offset1:4
	;; [unrolled: 1-line block ×4, first 2 shown]
	v_mov_b32_e32 v22, 0x800
	s_waitcnt lgkmcnt(0)
	s_barrier
	buffer_gl0_inv
	ds_load_b32 v20, v100
	ds_load_b32 v21, v104
	;; [unrolled: 1-line block ×8, first 2 shown]
	ds_load_b32 v27, v46 offset:1056
	s_and_saveexec_b32 s17, s7
	s_cbranch_execz .LBB430_446
; %bb.445:                              ;   in Loop: Header=BB430_408 Depth=2
	ds_load_b32 v22, v49 offset:1056
.LBB430_446:                            ;   in Loop: Header=BB430_408 Depth=2
	s_or_b32 exec_lo, exec_lo, s17
	s_waitcnt lgkmcnt(0)
	s_barrier
	buffer_gl0_inv
	s_and_saveexec_b32 s17, s2
	s_cbranch_execz .LBB430_448
; %bb.447:                              ;   in Loop: Header=BB430_408 Depth=2
	ds_load_b32 v96, v28
	s_waitcnt lgkmcnt(0)
	v_sub_nc_u32_e32 v27, v96, v27
	ds_store_b32 v28, v27
.LBB430_448:                            ;   in Loop: Header=BB430_408 Depth=2
	s_or_b32 exec_lo, exec_lo, s17
	v_add_nc_u32_e32 v100, v26, v94
	v_add3_u32 v96, v98, v97, v20
	v_add3_u32 v94, v102, v101, v21
	;; [unrolled: 1-line block ×7, first 2 shown]
	v_cmp_lt_u32_e64 s22, v1, v2
	ds_store_b8 v100, v93 offset:1024
	ds_store_b8 v96, v95 offset:1024
	;; [unrolled: 1-line block ×8, first 2 shown]
	s_waitcnt lgkmcnt(0)
	s_barrier
	buffer_gl0_inv
	s_and_saveexec_b32 s17, s22
	s_cbranch_execz .LBB430_456
; %bb.449:                              ;   in Loop: Header=BB430_408 Depth=2
	ds_load_u8 v20, v1 offset:1024
	s_waitcnt lgkmcnt(0)
	v_and_b32_e32 v21, 0xff, v20
	v_xor_b32_e32 v20, 0x80, v20
	s_delay_alu instid0(VALU_DEP_2) | instskip(NEXT) | instid1(VALU_DEP_1)
	v_lshrrev_b32_e32 v21, s49, v21
	v_and_b32_e32 v21, s31, v21
	s_delay_alu instid0(VALU_DEP_1)
	v_lshlrev_b32_e32 v21, 2, v21
	ds_load_b32 v21, v21
	s_waitcnt lgkmcnt(0)
	v_add_nc_u32_e32 v21, v21, v1
	global_store_b8 v21, v20, s[38:39]
	s_or_b32 exec_lo, exec_lo, s17
	v_cmp_lt_u32_e64 s23, v29, v2
	s_delay_alu instid0(VALU_DEP_1)
	s_and_saveexec_b32 s17, s23
	s_cbranch_execnz .LBB430_457
.LBB430_450:                            ;   in Loop: Header=BB430_408 Depth=2
	s_or_b32 exec_lo, exec_lo, s17
	v_cmp_lt_u32_e64 s21, v30, v2
	s_delay_alu instid0(VALU_DEP_1)
	s_and_saveexec_b32 s17, s21
	s_cbranch_execz .LBB430_458
.LBB430_451:                            ;   in Loop: Header=BB430_408 Depth=2
	ds_load_u8 v20, v35 offset:512
	s_waitcnt lgkmcnt(0)
	v_and_b32_e32 v21, 0xff, v20
	v_xor_b32_e32 v20, 0x80, v20
	s_delay_alu instid0(VALU_DEP_2) | instskip(NEXT) | instid1(VALU_DEP_1)
	v_lshrrev_b32_e32 v21, s49, v21
	v_and_b32_e32 v21, s31, v21
	s_delay_alu instid0(VALU_DEP_1)
	v_lshlrev_b32_e32 v21, 2, v21
	ds_load_b32 v21, v21
	s_waitcnt lgkmcnt(0)
	v_add_nc_u32_e32 v21, v21, v30
	global_store_b8 v21, v20, s[38:39]
	s_or_b32 exec_lo, exec_lo, s17
	v_cmp_lt_u32_e64 s20, v31, v2
	s_delay_alu instid0(VALU_DEP_1)
	s_and_saveexec_b32 s17, s20
	s_cbranch_execnz .LBB430_459
.LBB430_452:                            ;   in Loop: Header=BB430_408 Depth=2
	s_or_b32 exec_lo, exec_lo, s17
	v_cmp_lt_u32_e64 s19, v35, v2
	s_delay_alu instid0(VALU_DEP_1)
	s_and_saveexec_b32 s17, s19
	s_cbranch_execz .LBB430_460
.LBB430_453:                            ;   in Loop: Header=BB430_408 Depth=2
	ds_load_u8 v20, v35 offset:1024
	s_waitcnt lgkmcnt(0)
	v_and_b32_e32 v21, 0xff, v20
	v_xor_b32_e32 v20, 0x80, v20
	s_delay_alu instid0(VALU_DEP_2) | instskip(NEXT) | instid1(VALU_DEP_1)
	v_lshrrev_b32_e32 v21, s49, v21
	v_and_b32_e32 v21, s31, v21
	s_delay_alu instid0(VALU_DEP_1)
	v_lshlrev_b32_e32 v21, 2, v21
	ds_load_b32 v21, v21
	s_waitcnt lgkmcnt(0)
	v_add_nc_u32_e32 v21, v21, v35
	global_store_b8 v21, v20, s[38:39]
	s_or_b32 exec_lo, exec_lo, s17
	v_cmp_lt_u32_e64 s18, v36, v2
	s_delay_alu instid0(VALU_DEP_1)
	s_and_saveexec_b32 s17, s18
	s_cbranch_execnz .LBB430_461
.LBB430_454:                            ;   in Loop: Header=BB430_408 Depth=2
	s_or_b32 exec_lo, exec_lo, s17
	v_cmp_lt_u32_e64 s17, v37, v2
	s_delay_alu instid0(VALU_DEP_1)
	s_and_saveexec_b32 s43, s17
	s_cbranch_execz .LBB430_462
.LBB430_455:                            ;   in Loop: Header=BB430_408 Depth=2
	ds_load_u8 v20, v35 offset:1536
	s_waitcnt lgkmcnt(0)
	v_and_b32_e32 v21, 0xff, v20
	v_xor_b32_e32 v20, 0x80, v20
	s_delay_alu instid0(VALU_DEP_2) | instskip(NEXT) | instid1(VALU_DEP_1)
	v_lshrrev_b32_e32 v21, s49, v21
	v_and_b32_e32 v21, s31, v21
	s_delay_alu instid0(VALU_DEP_1)
	v_lshlrev_b32_e32 v21, 2, v21
	ds_load_b32 v21, v21
	s_waitcnt lgkmcnt(0)
	v_add_nc_u32_e32 v21, v21, v37
	global_store_b8 v21, v20, s[38:39]
	s_or_b32 exec_lo, exec_lo, s43
	v_cmp_lt_u32_e32 vcc_lo, v39, v2
	s_and_saveexec_b32 s43, vcc_lo
	s_cbranch_execnz .LBB430_463
	s_branch .LBB430_464
.LBB430_456:                            ;   in Loop: Header=BB430_408 Depth=2
	s_or_b32 exec_lo, exec_lo, s17
	v_cmp_lt_u32_e64 s23, v29, v2
	s_delay_alu instid0(VALU_DEP_1)
	s_and_saveexec_b32 s17, s23
	s_cbranch_execz .LBB430_450
.LBB430_457:                            ;   in Loop: Header=BB430_408 Depth=2
	ds_load_u8 v20, v35 offset:256
	s_waitcnt lgkmcnt(0)
	v_and_b32_e32 v21, 0xff, v20
	v_xor_b32_e32 v20, 0x80, v20
	s_delay_alu instid0(VALU_DEP_2) | instskip(NEXT) | instid1(VALU_DEP_1)
	v_lshrrev_b32_e32 v21, s49, v21
	v_and_b32_e32 v21, s31, v21
	s_delay_alu instid0(VALU_DEP_1)
	v_lshlrev_b32_e32 v21, 2, v21
	ds_load_b32 v21, v21
	s_waitcnt lgkmcnt(0)
	v_add_nc_u32_e32 v21, v21, v29
	global_store_b8 v21, v20, s[38:39]
	s_or_b32 exec_lo, exec_lo, s17
	v_cmp_lt_u32_e64 s21, v30, v2
	s_delay_alu instid0(VALU_DEP_1)
	s_and_saveexec_b32 s17, s21
	s_cbranch_execnz .LBB430_451
.LBB430_458:                            ;   in Loop: Header=BB430_408 Depth=2
	s_or_b32 exec_lo, exec_lo, s17
	v_cmp_lt_u32_e64 s20, v31, v2
	s_delay_alu instid0(VALU_DEP_1)
	s_and_saveexec_b32 s17, s20
	s_cbranch_execz .LBB430_452
.LBB430_459:                            ;   in Loop: Header=BB430_408 Depth=2
	ds_load_u8 v20, v35 offset:768
	s_waitcnt lgkmcnt(0)
	v_and_b32_e32 v21, 0xff, v20
	v_xor_b32_e32 v20, 0x80, v20
	s_delay_alu instid0(VALU_DEP_2) | instskip(NEXT) | instid1(VALU_DEP_1)
	v_lshrrev_b32_e32 v21, s49, v21
	v_and_b32_e32 v21, s31, v21
	s_delay_alu instid0(VALU_DEP_1)
	v_lshlrev_b32_e32 v21, 2, v21
	ds_load_b32 v21, v21
	s_waitcnt lgkmcnt(0)
	v_add_nc_u32_e32 v21, v21, v31
	global_store_b8 v21, v20, s[38:39]
	s_or_b32 exec_lo, exec_lo, s17
	v_cmp_lt_u32_e64 s19, v35, v2
	s_delay_alu instid0(VALU_DEP_1)
	s_and_saveexec_b32 s17, s19
	s_cbranch_execnz .LBB430_453
.LBB430_460:                            ;   in Loop: Header=BB430_408 Depth=2
	s_or_b32 exec_lo, exec_lo, s17
	v_cmp_lt_u32_e64 s18, v36, v2
	s_delay_alu instid0(VALU_DEP_1)
	s_and_saveexec_b32 s17, s18
	s_cbranch_execz .LBB430_454
.LBB430_461:                            ;   in Loop: Header=BB430_408 Depth=2
	ds_load_u8 v20, v35 offset:1280
	s_waitcnt lgkmcnt(0)
	v_and_b32_e32 v21, 0xff, v20
	v_xor_b32_e32 v20, 0x80, v20
	s_delay_alu instid0(VALU_DEP_2) | instskip(NEXT) | instid1(VALU_DEP_1)
	v_lshrrev_b32_e32 v21, s49, v21
	v_and_b32_e32 v21, s31, v21
	s_delay_alu instid0(VALU_DEP_1)
	v_lshlrev_b32_e32 v21, 2, v21
	ds_load_b32 v21, v21
	s_waitcnt lgkmcnt(0)
	v_add_nc_u32_e32 v21, v21, v36
	global_store_b8 v21, v20, s[38:39]
	s_or_b32 exec_lo, exec_lo, s17
	v_cmp_lt_u32_e64 s17, v37, v2
	s_delay_alu instid0(VALU_DEP_1)
	s_and_saveexec_b32 s43, s17
	s_cbranch_execnz .LBB430_455
.LBB430_462:                            ;   in Loop: Header=BB430_408 Depth=2
	s_or_b32 exec_lo, exec_lo, s43
	v_cmp_lt_u32_e32 vcc_lo, v39, v2
	s_and_saveexec_b32 s43, vcc_lo
	s_cbranch_execz .LBB430_464
.LBB430_463:                            ;   in Loop: Header=BB430_408 Depth=2
	ds_load_u8 v20, v35 offset:1792
	s_waitcnt lgkmcnt(0)
	v_and_b32_e32 v21, 0xff, v20
	v_xor_b32_e32 v20, 0x80, v20
	s_delay_alu instid0(VALU_DEP_2) | instskip(NEXT) | instid1(VALU_DEP_1)
	v_lshrrev_b32_e32 v21, s49, v21
	v_and_b32_e32 v21, s31, v21
	s_delay_alu instid0(VALU_DEP_1)
	v_lshlrev_b32_e32 v21, 2, v21
	ds_load_b32 v21, v21
	s_waitcnt lgkmcnt(0)
	v_add_nc_u32_e32 v21, v21, v39
	global_store_b8 v21, v20, s[38:39]
.LBB430_464:                            ;   in Loop: Header=BB430_408 Depth=2
	s_or_b32 exec_lo, exec_lo, s43
	s_lshl_b64 s[52:53], s[24:25], 3
	s_delay_alu instid0(SALU_CYCLE_1) | instskip(NEXT) | instid1(VALU_DEP_1)
	v_add_co_u32 v20, s24, v73, s52
	v_add_co_ci_u32_e64 v21, s24, s53, v74, s24
	v_cmp_lt_u32_e64 s24, v70, v2
	s_delay_alu instid0(VALU_DEP_1) | instskip(NEXT) | instid1(SALU_CYCLE_1)
	s_and_saveexec_b32 s43, s24
	s_xor_b32 s24, exec_lo, s43
	s_cbranch_execz .LBB430_480
; %bb.465:                              ;   in Loop: Header=BB430_408 Depth=2
	global_load_b64 v[18:19], v[20:21], off
	s_or_b32 exec_lo, exec_lo, s24
	s_delay_alu instid0(SALU_CYCLE_1)
	s_mov_b32 s43, exec_lo
	v_cmpx_lt_u32_e64 v75, v2
	s_cbranch_execnz .LBB430_481
.LBB430_466:                            ;   in Loop: Header=BB430_408 Depth=2
	s_or_b32 exec_lo, exec_lo, s43
	s_delay_alu instid0(SALU_CYCLE_1)
	s_mov_b32 s43, exec_lo
	v_cmpx_lt_u32_e64 v76, v2
	s_cbranch_execz .LBB430_482
.LBB430_467:                            ;   in Loop: Header=BB430_408 Depth=2
	global_load_b64 v[14:15], v[20:21], off offset:512
	s_or_b32 exec_lo, exec_lo, s43
	s_delay_alu instid0(SALU_CYCLE_1)
	s_mov_b32 s43, exec_lo
	v_cmpx_lt_u32_e64 v77, v2
	s_cbranch_execnz .LBB430_483
.LBB430_468:                            ;   in Loop: Header=BB430_408 Depth=2
	s_or_b32 exec_lo, exec_lo, s43
	s_delay_alu instid0(SALU_CYCLE_1)
	s_mov_b32 s43, exec_lo
	v_cmpx_lt_u32_e64 v78, v2
	s_cbranch_execz .LBB430_484
.LBB430_469:                            ;   in Loop: Header=BB430_408 Depth=2
	global_load_b64 v[10:11], v[20:21], off offset:1024
	s_or_b32 exec_lo, exec_lo, s43
	s_delay_alu instid0(SALU_CYCLE_1)
	s_mov_b32 s43, exec_lo
	v_cmpx_lt_u32_e64 v79, v2
	s_cbranch_execnz .LBB430_485
.LBB430_470:                            ;   in Loop: Header=BB430_408 Depth=2
	s_or_b32 exec_lo, exec_lo, s43
	s_delay_alu instid0(SALU_CYCLE_1)
	s_mov_b32 s43, exec_lo
	v_cmpx_lt_u32_e64 v80, v2
	s_cbranch_execz .LBB430_486
.LBB430_471:                            ;   in Loop: Header=BB430_408 Depth=2
	global_load_b64 v[6:7], v[20:21], off offset:1536
	s_or_b32 exec_lo, exec_lo, s43
	s_delay_alu instid0(SALU_CYCLE_1)
	s_mov_b32 s43, exec_lo
	v_cmpx_lt_u32_e64 v81, v2
	s_cbranch_execnz .LBB430_487
.LBB430_472:                            ;   in Loop: Header=BB430_408 Depth=2
	s_or_b32 exec_lo, exec_lo, s43
	s_and_saveexec_b32 s24, s22
	s_cbranch_execz .LBB430_488
.LBB430_473:                            ;   in Loop: Header=BB430_408 Depth=2
	ds_load_u8 v2, v1 offset:1024
	s_waitcnt lgkmcnt(0)
	v_lshrrev_b32_e32 v2, s49, v2
	s_delay_alu instid0(VALU_DEP_1)
	v_and_b32_e32 v92, s31, v2
	s_or_b32 exec_lo, exec_lo, s24
	s_and_saveexec_b32 s24, s23
	s_cbranch_execnz .LBB430_489
.LBB430_474:                            ;   in Loop: Header=BB430_408 Depth=2
	s_or_b32 exec_lo, exec_lo, s24
	s_and_saveexec_b32 s24, s21
	s_cbranch_execz .LBB430_490
.LBB430_475:                            ;   in Loop: Header=BB430_408 Depth=2
	ds_load_u8 v2, v35 offset:512
	s_waitcnt lgkmcnt(0)
	v_lshrrev_b32_e32 v2, s49, v2
	s_delay_alu instid0(VALU_DEP_1)
	v_and_b32_e32 v90, s31, v2
	s_or_b32 exec_lo, exec_lo, s24
	s_and_saveexec_b32 s24, s20
	s_cbranch_execnz .LBB430_491
.LBB430_476:                            ;   in Loop: Header=BB430_408 Depth=2
	s_or_b32 exec_lo, exec_lo, s24
	s_and_saveexec_b32 s24, s19
	s_cbranch_execz .LBB430_492
.LBB430_477:                            ;   in Loop: Header=BB430_408 Depth=2
	ds_load_u8 v2, v35 offset:1024
	s_waitcnt lgkmcnt(0)
	v_lshrrev_b32_e32 v2, s49, v2
	s_delay_alu instid0(VALU_DEP_1)
	v_and_b32_e32 v88, s31, v2
	s_or_b32 exec_lo, exec_lo, s24
	s_and_saveexec_b32 s24, s18
	s_cbranch_execnz .LBB430_493
.LBB430_478:                            ;   in Loop: Header=BB430_408 Depth=2
	s_or_b32 exec_lo, exec_lo, s24
	s_and_saveexec_b32 s24, s17
	s_cbranch_execz .LBB430_494
.LBB430_479:                            ;   in Loop: Header=BB430_408 Depth=2
	ds_load_u8 v2, v35 offset:1536
	s_waitcnt lgkmcnt(0)
	v_lshrrev_b32_e32 v2, s49, v2
	s_delay_alu instid0(VALU_DEP_1)
	v_and_b32_e32 v86, s31, v2
	s_or_b32 exec_lo, exec_lo, s24
	s_and_saveexec_b32 s24, vcc_lo
	s_cbranch_execnz .LBB430_495
	s_branch .LBB430_496
.LBB430_480:                            ;   in Loop: Header=BB430_408 Depth=2
	s_or_b32 exec_lo, exec_lo, s24
	s_delay_alu instid0(SALU_CYCLE_1)
	s_mov_b32 s43, exec_lo
	v_cmpx_lt_u32_e64 v75, v2
	s_cbranch_execz .LBB430_466
.LBB430_481:                            ;   in Loop: Header=BB430_408 Depth=2
	global_load_b64 v[16:17], v[20:21], off offset:256
	s_or_b32 exec_lo, exec_lo, s43
	s_delay_alu instid0(SALU_CYCLE_1)
	s_mov_b32 s43, exec_lo
	v_cmpx_lt_u32_e64 v76, v2
	s_cbranch_execnz .LBB430_467
.LBB430_482:                            ;   in Loop: Header=BB430_408 Depth=2
	s_or_b32 exec_lo, exec_lo, s43
	s_delay_alu instid0(SALU_CYCLE_1)
	s_mov_b32 s43, exec_lo
	v_cmpx_lt_u32_e64 v77, v2
	s_cbranch_execz .LBB430_468
.LBB430_483:                            ;   in Loop: Header=BB430_408 Depth=2
	global_load_b64 v[12:13], v[20:21], off offset:768
	s_or_b32 exec_lo, exec_lo, s43
	s_delay_alu instid0(SALU_CYCLE_1)
	s_mov_b32 s43, exec_lo
	v_cmpx_lt_u32_e64 v78, v2
	s_cbranch_execnz .LBB430_469
.LBB430_484:                            ;   in Loop: Header=BB430_408 Depth=2
	s_or_b32 exec_lo, exec_lo, s43
	s_delay_alu instid0(SALU_CYCLE_1)
	s_mov_b32 s43, exec_lo
	v_cmpx_lt_u32_e64 v79, v2
	s_cbranch_execz .LBB430_470
.LBB430_485:                            ;   in Loop: Header=BB430_408 Depth=2
	global_load_b64 v[8:9], v[20:21], off offset:1280
	s_or_b32 exec_lo, exec_lo, s43
	s_delay_alu instid0(SALU_CYCLE_1)
	s_mov_b32 s43, exec_lo
	v_cmpx_lt_u32_e64 v80, v2
	s_cbranch_execnz .LBB430_471
.LBB430_486:                            ;   in Loop: Header=BB430_408 Depth=2
	s_or_b32 exec_lo, exec_lo, s43
	s_delay_alu instid0(SALU_CYCLE_1)
	s_mov_b32 s43, exec_lo
	v_cmpx_lt_u32_e64 v81, v2
	s_cbranch_execz .LBB430_472
.LBB430_487:                            ;   in Loop: Header=BB430_408 Depth=2
	global_load_b64 v[4:5], v[20:21], off offset:1792
	s_or_b32 exec_lo, exec_lo, s43
	s_and_saveexec_b32 s24, s22
	s_cbranch_execnz .LBB430_473
.LBB430_488:                            ;   in Loop: Header=BB430_408 Depth=2
	s_or_b32 exec_lo, exec_lo, s24
	s_and_saveexec_b32 s24, s23
	s_cbranch_execz .LBB430_474
.LBB430_489:                            ;   in Loop: Header=BB430_408 Depth=2
	ds_load_u8 v2, v35 offset:256
	s_waitcnt lgkmcnt(0)
	v_lshrrev_b32_e32 v2, s49, v2
	s_delay_alu instid0(VALU_DEP_1)
	v_and_b32_e32 v91, s31, v2
	s_or_b32 exec_lo, exec_lo, s24
	s_and_saveexec_b32 s24, s21
	s_cbranch_execnz .LBB430_475
.LBB430_490:                            ;   in Loop: Header=BB430_408 Depth=2
	s_or_b32 exec_lo, exec_lo, s24
	s_and_saveexec_b32 s24, s20
	s_cbranch_execz .LBB430_476
.LBB430_491:                            ;   in Loop: Header=BB430_408 Depth=2
	ds_load_u8 v2, v35 offset:768
	s_waitcnt lgkmcnt(0)
	v_lshrrev_b32_e32 v2, s49, v2
	s_delay_alu instid0(VALU_DEP_1)
	v_and_b32_e32 v89, s31, v2
	s_or_b32 exec_lo, exec_lo, s24
	s_and_saveexec_b32 s24, s19
	s_cbranch_execnz .LBB430_477
.LBB430_492:                            ;   in Loop: Header=BB430_408 Depth=2
	s_or_b32 exec_lo, exec_lo, s24
	s_and_saveexec_b32 s24, s18
	s_cbranch_execz .LBB430_478
.LBB430_493:                            ;   in Loop: Header=BB430_408 Depth=2
	ds_load_u8 v2, v35 offset:1280
	s_waitcnt lgkmcnt(0)
	v_lshrrev_b32_e32 v2, s49, v2
	s_delay_alu instid0(VALU_DEP_1)
	v_and_b32_e32 v87, s31, v2
	s_or_b32 exec_lo, exec_lo, s24
	s_and_saveexec_b32 s24, s17
	s_cbranch_execnz .LBB430_479
.LBB430_494:                            ;   in Loop: Header=BB430_408 Depth=2
	s_or_b32 exec_lo, exec_lo, s24
	s_and_saveexec_b32 s24, vcc_lo
	s_cbranch_execz .LBB430_496
.LBB430_495:                            ;   in Loop: Header=BB430_408 Depth=2
	ds_load_u8 v2, v35 offset:1792
	s_waitcnt lgkmcnt(0)
	v_lshrrev_b32_e32 v2, s49, v2
	s_delay_alu instid0(VALU_DEP_1)
	v_and_b32_e32 v85, s31, v2
.LBB430_496:                            ;   in Loop: Header=BB430_408 Depth=2
	s_or_b32 exec_lo, exec_lo, s24
	v_lshlrev_b32_e32 v2, 3, v100
	v_lshlrev_b32_e32 v20, 3, v96
	;; [unrolled: 1-line block ×3, first 2 shown]
	s_waitcnt vmcnt(0)
	s_waitcnt_vscnt null, 0x0
	s_barrier
	buffer_gl0_inv
	ds_store_b64 v2, v[18:19] offset:1024
	ds_store_b64 v20, v[16:17] offset:1024
	;; [unrolled: 1-line block ×3, first 2 shown]
	v_lshlrev_b32_e32 v2, 3, v27
	v_lshlrev_b32_e32 v20, 3, v26
	;; [unrolled: 1-line block ×5, first 2 shown]
	ds_store_b64 v2, v[12:13] offset:1024
	ds_store_b64 v20, v[10:11] offset:1024
	;; [unrolled: 1-line block ×5, first 2 shown]
	s_waitcnt lgkmcnt(0)
	s_barrier
	buffer_gl0_inv
	s_and_saveexec_b32 s24, s22
	s_cbranch_execz .LBB430_504
; %bb.497:                              ;   in Loop: Header=BB430_408 Depth=2
	v_lshlrev_b32_e32 v2, 2, v92
	v_add_nc_u32_e32 v20, v1, v52
	ds_load_b32 v2, v2
	ds_load_b64 v[20:21], v20 offset:1024
	s_waitcnt lgkmcnt(1)
	v_add_nc_u32_e32 v2, v2, v1
	s_delay_alu instid0(VALU_DEP_1) | instskip(NEXT) | instid1(VALU_DEP_1)
	v_lshlrev_b64 v[23:24], 3, v[2:3]
	v_add_co_u32 v23, s22, s44, v23
	s_delay_alu instid0(VALU_DEP_1)
	v_add_co_ci_u32_e64 v24, s22, s45, v24, s22
	s_waitcnt lgkmcnt(0)
	global_store_b64 v[23:24], v[20:21], off
	s_or_b32 exec_lo, exec_lo, s24
	s_and_saveexec_b32 s24, s23
	s_cbranch_execnz .LBB430_505
.LBB430_498:                            ;   in Loop: Header=BB430_408 Depth=2
	s_or_b32 exec_lo, exec_lo, s24
	s_and_saveexec_b32 s22, s21
	s_cbranch_execz .LBB430_506
.LBB430_499:                            ;   in Loop: Header=BB430_408 Depth=2
	v_lshlrev_b32_e32 v2, 2, v90
	v_add_nc_u32_e32 v20, v35, v52
	ds_load_b32 v2, v2
	ds_load_b64 v[20:21], v20 offset:4096
	s_waitcnt lgkmcnt(1)
	v_add_nc_u32_e32 v2, v2, v30
	s_delay_alu instid0(VALU_DEP_1) | instskip(NEXT) | instid1(VALU_DEP_1)
	v_lshlrev_b64 v[23:24], 3, v[2:3]
	v_add_co_u32 v23, s21, s44, v23
	s_delay_alu instid0(VALU_DEP_1)
	v_add_co_ci_u32_e64 v24, s21, s45, v24, s21
	s_waitcnt lgkmcnt(0)
	global_store_b64 v[23:24], v[20:21], off
	s_or_b32 exec_lo, exec_lo, s22
	s_and_saveexec_b32 s21, s20
	s_cbranch_execnz .LBB430_507
.LBB430_500:                            ;   in Loop: Header=BB430_408 Depth=2
	s_or_b32 exec_lo, exec_lo, s21
	s_and_saveexec_b32 s20, s19
	s_cbranch_execz .LBB430_508
.LBB430_501:                            ;   in Loop: Header=BB430_408 Depth=2
	v_lshlrev_b32_e32 v2, 2, v88
	v_add_nc_u32_e32 v20, v35, v52
	ds_load_b32 v2, v2
	ds_load_b64 v[20:21], v20 offset:8192
	s_waitcnt lgkmcnt(1)
	v_add_nc_u32_e32 v2, v2, v35
	s_delay_alu instid0(VALU_DEP_1) | instskip(NEXT) | instid1(VALU_DEP_1)
	v_lshlrev_b64 v[23:24], 3, v[2:3]
	v_add_co_u32 v23, s19, s44, v23
	s_delay_alu instid0(VALU_DEP_1)
	v_add_co_ci_u32_e64 v24, s19, s45, v24, s19
	s_waitcnt lgkmcnt(0)
	global_store_b64 v[23:24], v[20:21], off
	s_or_b32 exec_lo, exec_lo, s20
	s_and_saveexec_b32 s19, s18
	s_cbranch_execnz .LBB430_509
.LBB430_502:                            ;   in Loop: Header=BB430_408 Depth=2
	s_or_b32 exec_lo, exec_lo, s19
	s_and_saveexec_b32 s18, s17
	s_cbranch_execz .LBB430_510
.LBB430_503:                            ;   in Loop: Header=BB430_408 Depth=2
	v_lshlrev_b32_e32 v2, 2, v86
	v_add_nc_u32_e32 v20, v35, v52
	ds_load_b32 v2, v2
	ds_load_b64 v[20:21], v20 offset:12288
	s_waitcnt lgkmcnt(1)
	v_add_nc_u32_e32 v2, v2, v37
	s_delay_alu instid0(VALU_DEP_1) | instskip(NEXT) | instid1(VALU_DEP_1)
	v_lshlrev_b64 v[23:24], 3, v[2:3]
	v_add_co_u32 v23, s17, s44, v23
	s_delay_alu instid0(VALU_DEP_1)
	v_add_co_ci_u32_e64 v24, s17, s45, v24, s17
	s_waitcnt lgkmcnt(0)
	global_store_b64 v[23:24], v[20:21], off
	s_or_b32 exec_lo, exec_lo, s18
	s_and_saveexec_b32 s17, vcc_lo
	s_cbranch_execnz .LBB430_511
	s_branch .LBB430_512
.LBB430_504:                            ;   in Loop: Header=BB430_408 Depth=2
	s_or_b32 exec_lo, exec_lo, s24
	s_and_saveexec_b32 s24, s23
	s_cbranch_execz .LBB430_498
.LBB430_505:                            ;   in Loop: Header=BB430_408 Depth=2
	v_lshlrev_b32_e32 v2, 2, v91
	v_add_nc_u32_e32 v20, v35, v52
	ds_load_b32 v2, v2
	ds_load_b64 v[20:21], v20 offset:2048
	s_waitcnt lgkmcnt(1)
	v_add_nc_u32_e32 v2, v2, v29
	s_delay_alu instid0(VALU_DEP_1) | instskip(NEXT) | instid1(VALU_DEP_1)
	v_lshlrev_b64 v[23:24], 3, v[2:3]
	v_add_co_u32 v23, s22, s44, v23
	s_delay_alu instid0(VALU_DEP_1)
	v_add_co_ci_u32_e64 v24, s22, s45, v24, s22
	s_waitcnt lgkmcnt(0)
	global_store_b64 v[23:24], v[20:21], off
	s_or_b32 exec_lo, exec_lo, s24
	s_and_saveexec_b32 s22, s21
	s_cbranch_execnz .LBB430_499
.LBB430_506:                            ;   in Loop: Header=BB430_408 Depth=2
	s_or_b32 exec_lo, exec_lo, s22
	s_and_saveexec_b32 s21, s20
	s_cbranch_execz .LBB430_500
.LBB430_507:                            ;   in Loop: Header=BB430_408 Depth=2
	v_lshlrev_b32_e32 v2, 2, v89
	v_add_nc_u32_e32 v20, v35, v52
	ds_load_b32 v2, v2
	ds_load_b64 v[20:21], v20 offset:6144
	s_waitcnt lgkmcnt(1)
	v_add_nc_u32_e32 v2, v2, v31
	s_delay_alu instid0(VALU_DEP_1) | instskip(NEXT) | instid1(VALU_DEP_1)
	v_lshlrev_b64 v[23:24], 3, v[2:3]
	v_add_co_u32 v23, s20, s44, v23
	s_delay_alu instid0(VALU_DEP_1)
	v_add_co_ci_u32_e64 v24, s20, s45, v24, s20
	s_waitcnt lgkmcnt(0)
	global_store_b64 v[23:24], v[20:21], off
	s_or_b32 exec_lo, exec_lo, s21
	s_and_saveexec_b32 s20, s19
	s_cbranch_execnz .LBB430_501
.LBB430_508:                            ;   in Loop: Header=BB430_408 Depth=2
	s_or_b32 exec_lo, exec_lo, s20
	s_and_saveexec_b32 s19, s18
	s_cbranch_execz .LBB430_502
.LBB430_509:                            ;   in Loop: Header=BB430_408 Depth=2
	v_lshlrev_b32_e32 v2, 2, v87
	v_add_nc_u32_e32 v20, v35, v52
	ds_load_b32 v2, v2
	ds_load_b64 v[20:21], v20 offset:10240
	s_waitcnt lgkmcnt(1)
	v_add_nc_u32_e32 v2, v2, v36
	s_delay_alu instid0(VALU_DEP_1) | instskip(NEXT) | instid1(VALU_DEP_1)
	v_lshlrev_b64 v[23:24], 3, v[2:3]
	v_add_co_u32 v23, s18, s44, v23
	s_delay_alu instid0(VALU_DEP_1)
	v_add_co_ci_u32_e64 v24, s18, s45, v24, s18
	s_waitcnt lgkmcnt(0)
	global_store_b64 v[23:24], v[20:21], off
	s_or_b32 exec_lo, exec_lo, s19
	s_and_saveexec_b32 s18, s17
	s_cbranch_execnz .LBB430_503
.LBB430_510:                            ;   in Loop: Header=BB430_408 Depth=2
	s_or_b32 exec_lo, exec_lo, s18
	s_and_saveexec_b32 s17, vcc_lo
	s_cbranch_execz .LBB430_512
.LBB430_511:                            ;   in Loop: Header=BB430_408 Depth=2
	v_lshlrev_b32_e32 v2, 2, v85
	v_add_nc_u32_e32 v20, v35, v52
	ds_load_b32 v2, v2
	ds_load_b64 v[20:21], v20 offset:14336
	s_waitcnt lgkmcnt(1)
	v_add_nc_u32_e32 v2, v2, v39
	s_delay_alu instid0(VALU_DEP_1) | instskip(NEXT) | instid1(VALU_DEP_1)
	v_lshlrev_b64 v[23:24], 3, v[2:3]
	v_add_co_u32 v23, vcc_lo, s44, v23
	s_delay_alu instid0(VALU_DEP_2)
	v_add_co_ci_u32_e32 v24, vcc_lo, s45, v24, vcc_lo
	s_waitcnt lgkmcnt(0)
	global_store_b64 v[23:24], v[20:21], off
.LBB430_512:                            ;   in Loop: Header=BB430_408 Depth=2
	s_or_b32 exec_lo, exec_lo, s17
	s_waitcnt_vscnt null, 0x0
	s_barrier
	buffer_gl0_inv
	s_and_saveexec_b32 s17, s2
	s_cbranch_execz .LBB430_407
; %bb.513:                              ;   in Loop: Header=BB430_408 Depth=2
	ds_load_b32 v2, v28
	s_waitcnt lgkmcnt(0)
	v_add_nc_u32_e32 v2, v2, v22
	ds_store_b32 v28, v2
	s_branch .LBB430_407
.LBB430_514:                            ;   in Loop: Header=BB430_408 Depth=2
	s_or_b32 exec_lo, exec_lo, s17
	s_delay_alu instid0(SALU_CYCLE_1)
	s_mov_b32 s17, exec_lo
	v_cmpx_gt_u32_e64 s35, v75
	s_cbranch_execz .LBB430_414
.LBB430_515:                            ;   in Loop: Header=BB430_408 Depth=2
	global_load_u8 v95, v[20:21], off offset:32
	s_or_b32 exec_lo, exec_lo, s17
	s_delay_alu instid0(SALU_CYCLE_1)
	s_mov_b32 s17, exec_lo
	v_cmpx_gt_u32_e64 s35, v76
	s_cbranch_execnz .LBB430_415
.LBB430_516:                            ;   in Loop: Header=BB430_408 Depth=2
	s_or_b32 exec_lo, exec_lo, s17
	s_delay_alu instid0(SALU_CYCLE_1)
	s_mov_b32 s17, exec_lo
	v_cmpx_gt_u32_e64 s35, v77
	s_cbranch_execz .LBB430_416
.LBB430_517:                            ;   in Loop: Header=BB430_408 Depth=2
	global_load_u8 v26, v[20:21], off offset:96
	s_or_b32 exec_lo, exec_lo, s17
	s_delay_alu instid0(SALU_CYCLE_1)
	s_mov_b32 s17, exec_lo
	v_cmpx_gt_u32_e64 s35, v78
	s_cbranch_execnz .LBB430_417
.LBB430_518:                            ;   in Loop: Header=BB430_408 Depth=2
	s_or_b32 exec_lo, exec_lo, s17
	s_delay_alu instid0(SALU_CYCLE_1)
	s_mov_b32 s17, exec_lo
	v_cmpx_gt_u32_e64 s35, v79
	s_cbranch_execz .LBB430_418
.LBB430_519:                            ;   in Loop: Header=BB430_408 Depth=2
	global_load_u8 v24, v[20:21], off offset:160
	s_or_b32 exec_lo, exec_lo, s17
	s_delay_alu instid0(SALU_CYCLE_1)
	s_mov_b32 s17, exec_lo
	v_cmpx_gt_u32_e64 s35, v80
	s_cbranch_execnz .LBB430_419
	s_branch .LBB430_420
.LBB430_520:                            ;   in Loop: Header=BB430_20 Depth=1
	s_waitcnt lgkmcnt(0)
	s_mov_b32 s0, 0
	s_barrier
.LBB430_521:                            ;   in Loop: Header=BB430_20 Depth=1
	s_and_b32 vcc_lo, exec_lo, s0
	s_cbranch_vccz .LBB430_19
; %bb.522:                              ;   in Loop: Header=BB430_20 Depth=1
	s_mov_b32 s0, s34
	s_mov_b32 s9, s28
	s_barrier
	buffer_gl0_inv
                                        ; implicit-def: $vgpr2
                                        ; implicit-def: $vgpr6
                                        ; implicit-def: $vgpr7
                                        ; implicit-def: $vgpr8
                                        ; implicit-def: $vgpr9
                                        ; implicit-def: $vgpr10
                                        ; implicit-def: $vgpr11
                                        ; implicit-def: $vgpr12
	s_branch .LBB430_524
.LBB430_523:                            ;   in Loop: Header=BB430_524 Depth=2
	s_or_b32 exec_lo, exec_lo, s8
	s_addk_i32 s0, 0xf800
	s_cmp_ge_u32 s1, s29
	s_mov_b32 s9, s1
	s_cbranch_scc1 .LBB430_562
.LBB430_524:                            ;   Parent Loop BB430_20 Depth=1
                                        ; =>  This Inner Loop Header: Depth=2
	s_add_i32 s1, s9, 0x800
	s_delay_alu instid0(SALU_CYCLE_1)
	s_cmp_gt_u32 s1, s29
	s_cbranch_scc1 .LBB430_527
; %bb.525:                              ;   in Loop: Header=BB430_524 Depth=2
	v_add_co_u32 v4, vcc_lo, v59, s9
	v_add_co_ci_u32_e32 v5, vcc_lo, 0, v60, vcc_lo
	s_mov_b32 s8, -1
	s_movk_i32 s12, 0x800
	s_clause 0x6
	global_load_u8 v20, v[4:5], off offset:1536
	global_load_u8 v19, v[4:5], off offset:1280
	global_load_u8 v18, v[4:5], off offset:1024
	global_load_u8 v17, v[4:5], off offset:768
	global_load_u8 v16, v[4:5], off offset:512
	global_load_u8 v15, v[4:5], off offset:256
	global_load_u8 v14, v[4:5], off
	v_add_co_u32 v4, vcc_lo, 0x700, v4
	v_add_co_ci_u32_e32 v5, vcc_lo, 0, v5, vcc_lo
	s_cbranch_execz .LBB430_528
; %bb.526:                              ;   in Loop: Header=BB430_524 Depth=2
                                        ; implicit-def: $vgpr2
                                        ; implicit-def: $vgpr6
                                        ; implicit-def: $vgpr7
                                        ; implicit-def: $vgpr8
                                        ; implicit-def: $vgpr9
                                        ; implicit-def: $vgpr10
                                        ; implicit-def: $vgpr11
                                        ; implicit-def: $vgpr12
	v_mov_b32_e32 v13, s0
	s_and_saveexec_b32 s9, s8
	s_cbranch_execnz .LBB430_539
	s_branch .LBB430_540
.LBB430_527:                            ;   in Loop: Header=BB430_524 Depth=2
	s_mov_b32 s8, 0
                                        ; implicit-def: $sgpr12
                                        ; implicit-def: $vgpr14
                                        ; implicit-def: $vgpr15
                                        ; implicit-def: $vgpr16
                                        ; implicit-def: $vgpr17
                                        ; implicit-def: $vgpr18
                                        ; implicit-def: $vgpr19
                                        ; implicit-def: $vgpr20
                                        ; implicit-def: $vgpr4_vgpr5
.LBB430_528:                            ;   in Loop: Header=BB430_524 Depth=2
	s_add_u32 s10, s36, s9
	s_addc_u32 s11, s37, 0
	s_mov_b32 s12, exec_lo
	v_cmpx_gt_u32_e64 s0, v1
	s_cbranch_execz .LBB430_556
; %bb.529:                              ;   in Loop: Header=BB430_524 Depth=2
	v_add_co_u32 v4, s13, s10, v1
	s_delay_alu instid0(VALU_DEP_1) | instskip(SKIP_2) | instid1(SALU_CYCLE_1)
	v_add_co_ci_u32_e64 v5, null, s11, 0, s13
	global_load_u8 v2, v[4:5], off
	s_or_b32 exec_lo, exec_lo, s12
	s_mov_b32 s12, exec_lo
	v_cmpx_gt_u32_e64 s0, v29
	s_cbranch_execnz .LBB430_557
.LBB430_530:                            ;   in Loop: Header=BB430_524 Depth=2
	s_or_b32 exec_lo, exec_lo, s12
	s_delay_alu instid0(SALU_CYCLE_1)
	s_mov_b32 s12, exec_lo
	v_cmpx_gt_u32_e64 s0, v30
	s_cbranch_execz .LBB430_558
.LBB430_531:                            ;   in Loop: Header=BB430_524 Depth=2
	v_add_co_u32 v4, s13, s10, v1
	s_delay_alu instid0(VALU_DEP_1) | instskip(SKIP_2) | instid1(SALU_CYCLE_1)
	v_add_co_ci_u32_e64 v5, null, s11, 0, s13
	global_load_u8 v7, v[4:5], off offset:512
	s_or_b32 exec_lo, exec_lo, s12
	s_mov_b32 s12, exec_lo
	v_cmpx_gt_u32_e64 s0, v31
	s_cbranch_execnz .LBB430_559
.LBB430_532:                            ;   in Loop: Header=BB430_524 Depth=2
	s_or_b32 exec_lo, exec_lo, s12
	s_delay_alu instid0(SALU_CYCLE_1)
	s_mov_b32 s12, exec_lo
	v_cmpx_gt_u32_e64 s0, v35
	s_cbranch_execz .LBB430_560
.LBB430_533:                            ;   in Loop: Header=BB430_524 Depth=2
	v_add_co_u32 v4, s13, s10, v1
	s_delay_alu instid0(VALU_DEP_1) | instskip(SKIP_2) | instid1(SALU_CYCLE_1)
	v_add_co_ci_u32_e64 v5, null, s11, 0, s13
	global_load_u8 v9, v[4:5], off offset:1024
	s_or_b32 exec_lo, exec_lo, s12
	s_mov_b32 s12, exec_lo
	v_cmpx_gt_u32_e64 s0, v36
	s_cbranch_execnz .LBB430_561
.LBB430_534:                            ;   in Loop: Header=BB430_524 Depth=2
	s_or_b32 exec_lo, exec_lo, s12
	s_delay_alu instid0(SALU_CYCLE_1)
	s_mov_b32 s12, exec_lo
	v_cmpx_gt_u32_e64 s0, v37
	s_cbranch_execz .LBB430_536
.LBB430_535:                            ;   in Loop: Header=BB430_524 Depth=2
	v_add_co_u32 v4, s13, s10, v1
	s_delay_alu instid0(VALU_DEP_1)
	v_add_co_ci_u32_e64 v5, null, s11, 0, s13
	global_load_u8 v11, v[4:5], off offset:1536
.LBB430_536:                            ;   in Loop: Header=BB430_524 Depth=2
	s_or_b32 exec_lo, exec_lo, s12
	s_delay_alu instid0(SALU_CYCLE_1)
	s_mov_b32 s13, exec_lo
                                        ; implicit-def: $sgpr12
                                        ; implicit-def: $vgpr4_vgpr5
	v_cmpx_gt_u32_e64 s0, v39
; %bb.537:                              ;   in Loop: Header=BB430_524 Depth=2
	v_add_co_u32 v4, s10, s10, v1
	s_delay_alu instid0(VALU_DEP_1) | instskip(SKIP_1) | instid1(VALU_DEP_2)
	v_add_co_ci_u32_e64 v5, null, s11, 0, s10
	s_sub_i32 s12, s29, s9
	v_add_co_u32 v4, vcc_lo, 0x700, v4
	s_delay_alu instid0(VALU_DEP_2)
	v_add_co_ci_u32_e32 v5, vcc_lo, 0, v5, vcc_lo
	s_or_b32 s8, s8, exec_lo
                                        ; implicit-def: $vgpr12
; %bb.538:                              ;   in Loop: Header=BB430_524 Depth=2
	s_or_b32 exec_lo, exec_lo, s13
	s_waitcnt vmcnt(0)
	v_dual_mov_b32 v14, v2 :: v_dual_mov_b32 v17, v8
	v_dual_mov_b32 v15, v6 :: v_dual_mov_b32 v16, v7
	;; [unrolled: 1-line block ×4, first 2 shown]
	s_and_saveexec_b32 s9, s8
	s_cbranch_execz .LBB430_540
.LBB430_539:                            ;   in Loop: Header=BB430_524 Depth=2
	global_load_u8 v12, v[4:5], off
	s_waitcnt vmcnt(1)
	v_dual_mov_b32 v13, s12 :: v_dual_mov_b32 v2, v14
	v_dual_mov_b32 v6, v15 :: v_dual_mov_b32 v7, v16
	;; [unrolled: 1-line block ×4, first 2 shown]
.LBB430_540:                            ;   in Loop: Header=BB430_524 Depth=2
	s_or_b32 exec_lo, exec_lo, s9
	v_lshlrev_b32_e32 v4, 2, v32
	s_mov_b32 s8, exec_lo
	v_cmpx_lt_u32_e64 v1, v13
	s_cbranch_execz .LBB430_548
; %bb.541:                              ;   in Loop: Header=BB430_524 Depth=2
	v_xor_b32_e32 v5, 0x80, v2
	s_delay_alu instid0(VALU_DEP_1) | instskip(NEXT) | instid1(VALU_DEP_1)
	v_and_b32_e32 v5, 0xff, v5
	v_lshrrev_b32_e32 v5, s49, v5
	s_delay_alu instid0(VALU_DEP_1) | instskip(NEXT) | instid1(VALU_DEP_1)
	v_and_b32_e32 v5, s31, v5
	v_lshl_or_b32 v5, v5, 4, v4
	ds_add_u32 v5, v66
	s_or_b32 exec_lo, exec_lo, s8
	s_delay_alu instid0(SALU_CYCLE_1)
	s_mov_b32 s8, exec_lo
	v_cmpx_lt_u32_e64 v29, v13
	s_cbranch_execnz .LBB430_549
.LBB430_542:                            ;   in Loop: Header=BB430_524 Depth=2
	s_or_b32 exec_lo, exec_lo, s8
	s_delay_alu instid0(SALU_CYCLE_1)
	s_mov_b32 s8, exec_lo
	v_cmpx_lt_u32_e64 v30, v13
	s_cbranch_execz .LBB430_550
.LBB430_543:                            ;   in Loop: Header=BB430_524 Depth=2
	v_xor_b32_e32 v5, 0x80, v7
	s_delay_alu instid0(VALU_DEP_1) | instskip(NEXT) | instid1(VALU_DEP_1)
	v_and_b32_e32 v5, 0xff, v5
	v_lshrrev_b32_e32 v5, s49, v5
	s_delay_alu instid0(VALU_DEP_1) | instskip(NEXT) | instid1(VALU_DEP_1)
	v_and_b32_e32 v5, s31, v5
	v_lshl_or_b32 v5, v5, 4, v4
	ds_add_u32 v5, v66
	s_or_b32 exec_lo, exec_lo, s8
	s_delay_alu instid0(SALU_CYCLE_1)
	s_mov_b32 s8, exec_lo
	v_cmpx_lt_u32_e64 v31, v13
	s_cbranch_execnz .LBB430_551
.LBB430_544:                            ;   in Loop: Header=BB430_524 Depth=2
	s_or_b32 exec_lo, exec_lo, s8
	s_delay_alu instid0(SALU_CYCLE_1)
	s_mov_b32 s8, exec_lo
	v_cmpx_lt_u32_e64 v35, v13
	s_cbranch_execz .LBB430_552
.LBB430_545:                            ;   in Loop: Header=BB430_524 Depth=2
	v_xor_b32_e32 v5, 0x80, v9
	s_delay_alu instid0(VALU_DEP_1) | instskip(NEXT) | instid1(VALU_DEP_1)
	v_and_b32_e32 v5, 0xff, v5
	v_lshrrev_b32_e32 v5, s49, v5
	s_delay_alu instid0(VALU_DEP_1) | instskip(NEXT) | instid1(VALU_DEP_1)
	v_and_b32_e32 v5, s31, v5
	v_lshl_or_b32 v5, v5, 4, v4
	ds_add_u32 v5, v66
	s_or_b32 exec_lo, exec_lo, s8
	s_delay_alu instid0(SALU_CYCLE_1)
	s_mov_b32 s8, exec_lo
	v_cmpx_lt_u32_e64 v36, v13
	s_cbranch_execnz .LBB430_553
.LBB430_546:                            ;   in Loop: Header=BB430_524 Depth=2
	s_or_b32 exec_lo, exec_lo, s8
	s_delay_alu instid0(SALU_CYCLE_1)
	s_mov_b32 s8, exec_lo
	v_cmpx_lt_u32_e64 v37, v13
	s_cbranch_execz .LBB430_554
.LBB430_547:                            ;   in Loop: Header=BB430_524 Depth=2
	v_xor_b32_e32 v5, 0x80, v11
	s_delay_alu instid0(VALU_DEP_1) | instskip(NEXT) | instid1(VALU_DEP_1)
	v_and_b32_e32 v5, 0xff, v5
	v_lshrrev_b32_e32 v5, s49, v5
	s_delay_alu instid0(VALU_DEP_1) | instskip(NEXT) | instid1(VALU_DEP_1)
	v_and_b32_e32 v5, s31, v5
	v_lshl_or_b32 v5, v5, 4, v4
	ds_add_u32 v5, v66
	s_or_b32 exec_lo, exec_lo, s8
	s_delay_alu instid0(SALU_CYCLE_1)
	s_mov_b32 s8, exec_lo
	v_cmpx_lt_u32_e64 v39, v13
	s_cbranch_execz .LBB430_523
	s_branch .LBB430_555
.LBB430_548:                            ;   in Loop: Header=BB430_524 Depth=2
	s_or_b32 exec_lo, exec_lo, s8
	s_delay_alu instid0(SALU_CYCLE_1)
	s_mov_b32 s8, exec_lo
	v_cmpx_lt_u32_e64 v29, v13
	s_cbranch_execz .LBB430_542
.LBB430_549:                            ;   in Loop: Header=BB430_524 Depth=2
	v_xor_b32_e32 v5, 0x80, v6
	s_delay_alu instid0(VALU_DEP_1) | instskip(NEXT) | instid1(VALU_DEP_1)
	v_and_b32_e32 v5, 0xff, v5
	v_lshrrev_b32_e32 v5, s49, v5
	s_delay_alu instid0(VALU_DEP_1) | instskip(NEXT) | instid1(VALU_DEP_1)
	v_and_b32_e32 v5, s31, v5
	v_lshl_or_b32 v5, v5, 4, v4
	ds_add_u32 v5, v66
	s_or_b32 exec_lo, exec_lo, s8
	s_delay_alu instid0(SALU_CYCLE_1)
	s_mov_b32 s8, exec_lo
	v_cmpx_lt_u32_e64 v30, v13
	s_cbranch_execnz .LBB430_543
.LBB430_550:                            ;   in Loop: Header=BB430_524 Depth=2
	s_or_b32 exec_lo, exec_lo, s8
	s_delay_alu instid0(SALU_CYCLE_1)
	s_mov_b32 s8, exec_lo
	v_cmpx_lt_u32_e64 v31, v13
	s_cbranch_execz .LBB430_544
.LBB430_551:                            ;   in Loop: Header=BB430_524 Depth=2
	v_xor_b32_e32 v5, 0x80, v8
	s_delay_alu instid0(VALU_DEP_1) | instskip(NEXT) | instid1(VALU_DEP_1)
	v_and_b32_e32 v5, 0xff, v5
	v_lshrrev_b32_e32 v5, s49, v5
	s_delay_alu instid0(VALU_DEP_1) | instskip(NEXT) | instid1(VALU_DEP_1)
	v_and_b32_e32 v5, s31, v5
	v_lshl_or_b32 v5, v5, 4, v4
	ds_add_u32 v5, v66
	s_or_b32 exec_lo, exec_lo, s8
	s_delay_alu instid0(SALU_CYCLE_1)
	s_mov_b32 s8, exec_lo
	v_cmpx_lt_u32_e64 v35, v13
	s_cbranch_execnz .LBB430_545
.LBB430_552:                            ;   in Loop: Header=BB430_524 Depth=2
	s_or_b32 exec_lo, exec_lo, s8
	s_delay_alu instid0(SALU_CYCLE_1)
	s_mov_b32 s8, exec_lo
	v_cmpx_lt_u32_e64 v36, v13
	s_cbranch_execz .LBB430_546
.LBB430_553:                            ;   in Loop: Header=BB430_524 Depth=2
	v_xor_b32_e32 v5, 0x80, v10
	s_delay_alu instid0(VALU_DEP_1) | instskip(NEXT) | instid1(VALU_DEP_1)
	v_and_b32_e32 v5, 0xff, v5
	v_lshrrev_b32_e32 v5, s49, v5
	s_delay_alu instid0(VALU_DEP_1) | instskip(NEXT) | instid1(VALU_DEP_1)
	v_and_b32_e32 v5, s31, v5
	v_lshl_or_b32 v5, v5, 4, v4
	ds_add_u32 v5, v66
	s_or_b32 exec_lo, exec_lo, s8
	s_delay_alu instid0(SALU_CYCLE_1)
	s_mov_b32 s8, exec_lo
	v_cmpx_lt_u32_e64 v37, v13
	s_cbranch_execnz .LBB430_547
.LBB430_554:                            ;   in Loop: Header=BB430_524 Depth=2
	s_or_b32 exec_lo, exec_lo, s8
	s_delay_alu instid0(SALU_CYCLE_1)
	s_mov_b32 s8, exec_lo
	v_cmpx_lt_u32_e64 v39, v13
	s_cbranch_execz .LBB430_523
.LBB430_555:                            ;   in Loop: Header=BB430_524 Depth=2
	s_waitcnt vmcnt(0)
	v_xor_b32_e32 v5, 0x80, v12
	s_delay_alu instid0(VALU_DEP_1) | instskip(NEXT) | instid1(VALU_DEP_1)
	v_and_b32_e32 v5, 0xff, v5
	v_lshrrev_b32_e32 v5, s49, v5
	s_delay_alu instid0(VALU_DEP_1) | instskip(NEXT) | instid1(VALU_DEP_1)
	v_and_b32_e32 v5, s31, v5
	v_lshl_or_b32 v4, v5, 4, v4
	ds_add_u32 v4, v66
	s_branch .LBB430_523
.LBB430_556:                            ;   in Loop: Header=BB430_524 Depth=2
	s_or_b32 exec_lo, exec_lo, s12
	s_delay_alu instid0(SALU_CYCLE_1)
	s_mov_b32 s12, exec_lo
	v_cmpx_gt_u32_e64 s0, v29
	s_cbranch_execz .LBB430_530
.LBB430_557:                            ;   in Loop: Header=BB430_524 Depth=2
	v_add_co_u32 v4, s13, s10, v1
	s_delay_alu instid0(VALU_DEP_1) | instskip(SKIP_2) | instid1(SALU_CYCLE_1)
	v_add_co_ci_u32_e64 v5, null, s11, 0, s13
	global_load_u8 v6, v[4:5], off offset:256
	s_or_b32 exec_lo, exec_lo, s12
	s_mov_b32 s12, exec_lo
	v_cmpx_gt_u32_e64 s0, v30
	s_cbranch_execnz .LBB430_531
.LBB430_558:                            ;   in Loop: Header=BB430_524 Depth=2
	s_or_b32 exec_lo, exec_lo, s12
	s_delay_alu instid0(SALU_CYCLE_1)
	s_mov_b32 s12, exec_lo
	v_cmpx_gt_u32_e64 s0, v31
	s_cbranch_execz .LBB430_532
.LBB430_559:                            ;   in Loop: Header=BB430_524 Depth=2
	v_add_co_u32 v4, s13, s10, v1
	s_delay_alu instid0(VALU_DEP_1) | instskip(SKIP_2) | instid1(SALU_CYCLE_1)
	v_add_co_ci_u32_e64 v5, null, s11, 0, s13
	global_load_u8 v8, v[4:5], off offset:768
	s_or_b32 exec_lo, exec_lo, s12
	s_mov_b32 s12, exec_lo
	v_cmpx_gt_u32_e64 s0, v35
	s_cbranch_execnz .LBB430_533
.LBB430_560:                            ;   in Loop: Header=BB430_524 Depth=2
	s_or_b32 exec_lo, exec_lo, s12
	s_delay_alu instid0(SALU_CYCLE_1)
	s_mov_b32 s12, exec_lo
	v_cmpx_gt_u32_e64 s0, v36
	s_cbranch_execz .LBB430_534
.LBB430_561:                            ;   in Loop: Header=BB430_524 Depth=2
	v_add_co_u32 v4, s13, s10, v1
	s_delay_alu instid0(VALU_DEP_1) | instskip(SKIP_2) | instid1(SALU_CYCLE_1)
	v_add_co_ci_u32_e64 v5, null, s11, 0, s13
	global_load_u8 v10, v[4:5], off offset:1280
	s_or_b32 exec_lo, exec_lo, s12
	s_mov_b32 s12, exec_lo
	v_cmpx_gt_u32_e64 s0, v37
	s_cbranch_execz .LBB430_536
	s_branch .LBB430_535
.LBB430_562:                            ;   in Loop: Header=BB430_20 Depth=1
	v_mov_b32_e32 v2, 0
	s_waitcnt vmcnt(0) lgkmcnt(0)
	s_barrier
	buffer_gl0_inv
	s_and_saveexec_b32 s0, s2
	s_cbranch_execz .LBB430_564
; %bb.563:                              ;   in Loop: Header=BB430_20 Depth=1
	ds_load_2addr_b64 v[4:7], v40 offset1:1
	s_waitcnt lgkmcnt(0)
	v_add_nc_u32_e32 v2, v5, v4
	s_delay_alu instid0(VALU_DEP_1)
	v_add3_u32 v2, v2, v6, v7
.LBB430_564:                            ;   in Loop: Header=BB430_20 Depth=1
	s_or_b32 exec_lo, exec_lo, s0
	v_and_b32_e32 v4, 15, v63
	s_delay_alu instid0(VALU_DEP_2) | instskip(SKIP_1) | instid1(VALU_DEP_3)
	v_mov_b32_dpp v5, v2 row_shr:1 row_mask:0xf bank_mask:0xf
	v_and_b32_e32 v6, 16, v63
	v_cmp_eq_u32_e64 s0, 0, v4
	v_cmp_lt_u32_e64 s1, 1, v4
	v_cmp_lt_u32_e64 s8, 3, v4
	;; [unrolled: 1-line block ×3, first 2 shown]
	v_cmp_eq_u32_e64 s10, 0, v6
	v_cndmask_b32_e64 v5, v5, 0, s0
	s_delay_alu instid0(VALU_DEP_1) | instskip(NEXT) | instid1(VALU_DEP_1)
	v_add_nc_u32_e32 v2, v5, v2
	v_mov_b32_dpp v5, v2 row_shr:2 row_mask:0xf bank_mask:0xf
	s_delay_alu instid0(VALU_DEP_1) | instskip(NEXT) | instid1(VALU_DEP_1)
	v_cndmask_b32_e64 v5, 0, v5, s1
	v_add_nc_u32_e32 v2, v2, v5
	s_delay_alu instid0(VALU_DEP_1) | instskip(NEXT) | instid1(VALU_DEP_1)
	v_mov_b32_dpp v5, v2 row_shr:4 row_mask:0xf bank_mask:0xf
	v_cndmask_b32_e64 v5, 0, v5, s8
	s_delay_alu instid0(VALU_DEP_1) | instskip(NEXT) | instid1(VALU_DEP_1)
	v_add_nc_u32_e32 v2, v2, v5
	v_mov_b32_dpp v5, v2 row_shr:8 row_mask:0xf bank_mask:0xf
	s_delay_alu instid0(VALU_DEP_1) | instskip(SKIP_1) | instid1(VALU_DEP_2)
	v_cndmask_b32_e64 v4, 0, v5, s9
	v_bfe_i32 v5, v63, 4, 1
	v_add_nc_u32_e32 v2, v2, v4
	ds_swizzle_b32 v4, v2 offset:swizzle(BROADCAST,32,15)
	s_waitcnt lgkmcnt(0)
	v_and_b32_e32 v4, v5, v4
	s_delay_alu instid0(VALU_DEP_1)
	v_add_nc_u32_e32 v4, v2, v4
	s_and_saveexec_b32 s11, s3
	s_cbranch_execz .LBB430_566
; %bb.565:                              ;   in Loop: Header=BB430_20 Depth=1
	ds_store_b32 v41, v4
.LBB430_566:                            ;   in Loop: Header=BB430_20 Depth=1
	s_or_b32 exec_lo, exec_lo, s11
	v_and_b32_e32 v2, 7, v63
	s_waitcnt lgkmcnt(0)
	s_barrier
	buffer_gl0_inv
	s_and_saveexec_b32 s11, s4
	s_cbranch_execz .LBB430_568
; %bb.567:                              ;   in Loop: Header=BB430_20 Depth=1
	ds_load_b32 v5, v42
	v_cmp_ne_u32_e32 vcc_lo, 0, v2
	s_waitcnt lgkmcnt(0)
	v_mov_b32_dpp v6, v5 row_shr:1 row_mask:0xf bank_mask:0xf
	s_delay_alu instid0(VALU_DEP_1) | instskip(SKIP_1) | instid1(VALU_DEP_2)
	v_cndmask_b32_e32 v6, 0, v6, vcc_lo
	v_cmp_lt_u32_e32 vcc_lo, 1, v2
	v_add_nc_u32_e32 v5, v6, v5
	s_delay_alu instid0(VALU_DEP_1) | instskip(NEXT) | instid1(VALU_DEP_1)
	v_mov_b32_dpp v6, v5 row_shr:2 row_mask:0xf bank_mask:0xf
	v_cndmask_b32_e32 v6, 0, v6, vcc_lo
	v_cmp_lt_u32_e32 vcc_lo, 3, v2
	s_delay_alu instid0(VALU_DEP_2) | instskip(NEXT) | instid1(VALU_DEP_1)
	v_add_nc_u32_e32 v5, v5, v6
	v_mov_b32_dpp v6, v5 row_shr:4 row_mask:0xf bank_mask:0xf
	s_delay_alu instid0(VALU_DEP_1) | instskip(NEXT) | instid1(VALU_DEP_1)
	v_cndmask_b32_e32 v6, 0, v6, vcc_lo
	v_add_nc_u32_e32 v5, v5, v6
	ds_store_b32 v42, v5
.LBB430_568:                            ;   in Loop: Header=BB430_20 Depth=1
	s_or_b32 exec_lo, exec_lo, s11
	v_mov_b32_e32 v5, 0
	s_waitcnt lgkmcnt(0)
	s_barrier
	buffer_gl0_inv
	s_and_saveexec_b32 s11, s5
	s_cbranch_execz .LBB430_570
; %bb.569:                              ;   in Loop: Header=BB430_20 Depth=1
	ds_load_b32 v5, v43
.LBB430_570:                            ;   in Loop: Header=BB430_20 Depth=1
	s_or_b32 exec_lo, exec_lo, s11
	v_add_nc_u32_e32 v6, -1, v63
	s_waitcnt lgkmcnt(0)
	v_add_nc_u32_e32 v4, v5, v4
	v_cmp_eq_u32_e64 s11, 0, v63
	s_barrier
	v_cmp_gt_i32_e32 vcc_lo, 0, v6
	buffer_gl0_inv
	v_cndmask_b32_e32 v6, v6, v63, vcc_lo
	s_delay_alu instid0(VALU_DEP_1)
	v_lshlrev_b32_e32 v69, 2, v6
	ds_bpermute_b32 v4, v69, v4
	s_and_saveexec_b32 s12, s2
	s_cbranch_execz .LBB430_572
; %bb.571:                              ;   in Loop: Header=BB430_20 Depth=1
	s_waitcnt lgkmcnt(0)
	v_cndmask_b32_e64 v4, v4, v5, s11
	s_delay_alu instid0(VALU_DEP_1)
	v_add_nc_u32_e32 v4, s28, v4
	ds_store_b32 v28, v4
.LBB430_572:                            ;   in Loop: Header=BB430_20 Depth=1
	s_or_b32 exec_lo, exec_lo, s12
	s_load_b64 s[12:13], s[26:27], 0x0
	v_add_co_u32 v71, vcc_lo, v64, v63
	v_add_co_ci_u32_e32 v72, vcc_lo, 0, v65, vcc_lo
	v_or_b32_e32 v70, v63, v44
	s_mov_b32 s35, s34
	s_mov_b32 s24, s28
                                        ; implicit-def: $vgpr8_vgpr9
                                        ; implicit-def: $vgpr10_vgpr11
                                        ; implicit-def: $vgpr12_vgpr13
                                        ; implicit-def: $vgpr14_vgpr15
                                        ; implicit-def: $vgpr16_vgpr17
                                        ; implicit-def: $vgpr18_vgpr19
                                        ; implicit-def: $vgpr85
                                        ; implicit-def: $vgpr86
                                        ; implicit-def: $vgpr87
                                        ; implicit-def: $vgpr88
                                        ; implicit-def: $vgpr89
                                        ; implicit-def: $vgpr90
                                        ; implicit-def: $vgpr91
                                        ; implicit-def: $vgpr92
	s_delay_alu instid0(VALU_DEP_1)
	v_or_b32_e32 v75, 32, v70
	v_or_b32_e32 v76, 64, v70
	;; [unrolled: 1-line block ×7, first 2 shown]
	s_waitcnt lgkmcnt(0)
	s_cmp_lt_u32 s15, s13
	s_cselect_b32 s13, 14, 20
	s_delay_alu instid0(SALU_CYCLE_1) | instskip(SKIP_4) | instid1(SALU_CYCLE_1)
	s_add_u32 s16, s26, s13
	s_addc_u32 s17, s27, 0
	s_cmp_lt_u32 s14, s12
	global_load_u16 v4, v3, s[16:17]
	s_cselect_b32 s12, 12, 18
	s_add_u32 s12, s26, s12
	s_addc_u32 s13, s27, 0
	global_load_u16 v6, v3, s[12:13]
	v_cmp_eq_u32_e64 s12, 0, v2
	v_cmp_lt_u32_e64 s13, 1, v2
	v_cmp_lt_u32_e64 s16, 3, v2
	v_lshlrev_b32_e32 v2, 3, v63
	s_delay_alu instid0(VALU_DEP_1)
	v_add_co_u32 v73, vcc_lo, v61, v2
	v_add_co_ci_u32_e32 v74, vcc_lo, 0, v62, vcc_lo
	v_add_co_u32 v83, vcc_lo, 0xe0, v71
	v_add_co_ci_u32_e32 v84, vcc_lo, 0, v72, vcc_lo
	s_waitcnt vmcnt(1)
	v_mad_u32_u24 v7, v45, v4, v0
	s_waitcnt vmcnt(0)
	s_delay_alu instid0(VALU_DEP_1) | instskip(NEXT) | instid1(VALU_DEP_1)
	v_mad_u64_u32 v[4:5], null, v7, v6, v[1:2]
                                        ; implicit-def: $vgpr6_vgpr7
	v_lshrrev_b32_e32 v82, 5, v4
                                        ; implicit-def: $vgpr4_vgpr5
	s_branch .LBB430_574
.LBB430_573:                            ;   in Loop: Header=BB430_574 Depth=2
	s_or_b32 exec_lo, exec_lo, s17
	s_addk_i32 s35, 0xf800
	s_cmp_lt_u32 s42, s29
	s_mov_b32 s24, s42
	s_cbranch_scc0 .LBB430_18
.LBB430_574:                            ;   Parent Loop BB430_20 Depth=1
                                        ; =>  This Inner Loop Header: Depth=2
	s_add_i32 s42, s24, 0x800
	s_delay_alu instid0(SALU_CYCLE_1)
	s_cmp_gt_u32 s42, s29
	s_cbranch_scc1 .LBB430_577
; %bb.575:                              ;   in Loop: Header=BB430_574 Depth=2
	v_add_co_u32 v20, vcc_lo, v71, s24
	v_add_co_ci_u32_e32 v21, vcc_lo, 0, v72, vcc_lo
	s_mov_b32 s19, 0
	s_mov_b32 s18, s24
	s_mov_b32 s20, -1
	s_clause 0x6
	global_load_u8 v23, v[20:21], off offset:192
	global_load_u8 v24, v[20:21], off offset:160
	;; [unrolled: 1-line block ×6, first 2 shown]
	global_load_u8 v93, v[20:21], off
	s_movk_i32 s17, 0x800
	s_cbranch_execz .LBB430_578
; %bb.576:                              ;   in Loop: Header=BB430_574 Depth=2
                                        ; implicit-def: $vgpr22
	v_mov_b32_e32 v2, s35
	s_and_saveexec_b32 s21, s20
	s_cbranch_execnz .LBB430_587
	s_branch .LBB430_588
.LBB430_577:                            ;   in Loop: Header=BB430_574 Depth=2
	s_mov_b32 s19, -1
	s_mov_b32 s20, 0
                                        ; implicit-def: $sgpr17
                                        ; implicit-def: $vgpr93
                                        ; implicit-def: $vgpr95
                                        ; implicit-def: $vgpr27
                                        ; implicit-def: $vgpr26
                                        ; implicit-def: $vgpr25
                                        ; implicit-def: $vgpr24
                                        ; implicit-def: $vgpr23
.LBB430_578:                            ;   in Loop: Header=BB430_574 Depth=2
	v_add_co_u32 v20, vcc_lo, v71, s24
	v_add_co_ci_u32_e32 v21, vcc_lo, 0, v72, vcc_lo
	s_waitcnt vmcnt(0)
	v_dual_mov_b32 v93, 0x7f :: v_dual_mov_b32 v22, 0x7f
	v_dual_mov_b32 v95, 0x7f :: v_dual_mov_b32 v26, 0x7f
	v_dual_mov_b32 v27, 0x7f :: v_dual_mov_b32 v24, 0x7f
	v_mov_b32_e32 v25, 0x7f
	v_mov_b32_e32 v23, 0x7f
	s_mov_b32 s17, exec_lo
	v_cmpx_gt_u32_e64 s35, v70
	s_cbranch_execz .LBB430_680
; %bb.579:                              ;   in Loop: Header=BB430_574 Depth=2
	global_load_u8 v93, v[20:21], off
	v_dual_mov_b32 v95, 0x7f :: v_dual_mov_b32 v26, 0x7f
	v_dual_mov_b32 v27, 0x7f :: v_dual_mov_b32 v24, 0x7f
	;; [unrolled: 1-line block ×3, first 2 shown]
	v_mov_b32_e32 v23, 0x7f
	s_or_b32 exec_lo, exec_lo, s17
	s_delay_alu instid0(SALU_CYCLE_1)
	s_mov_b32 s17, exec_lo
	v_cmpx_gt_u32_e64 s35, v75
	s_cbranch_execnz .LBB430_681
.LBB430_580:                            ;   in Loop: Header=BB430_574 Depth=2
	s_or_b32 exec_lo, exec_lo, s17
	s_delay_alu instid0(SALU_CYCLE_1)
	s_mov_b32 s17, exec_lo
	v_cmpx_gt_u32_e64 s35, v76
	s_cbranch_execz .LBB430_682
.LBB430_581:                            ;   in Loop: Header=BB430_574 Depth=2
	global_load_u8 v27, v[20:21], off offset:64
	s_or_b32 exec_lo, exec_lo, s17
	s_delay_alu instid0(SALU_CYCLE_1)
	s_mov_b32 s17, exec_lo
	v_cmpx_gt_u32_e64 s35, v77
	s_cbranch_execnz .LBB430_683
.LBB430_582:                            ;   in Loop: Header=BB430_574 Depth=2
	s_or_b32 exec_lo, exec_lo, s17
	s_delay_alu instid0(SALU_CYCLE_1)
	s_mov_b32 s17, exec_lo
	v_cmpx_gt_u32_e64 s35, v78
	s_cbranch_execz .LBB430_684
.LBB430_583:                            ;   in Loop: Header=BB430_574 Depth=2
	global_load_u8 v25, v[20:21], off offset:128
	s_or_b32 exec_lo, exec_lo, s17
	s_delay_alu instid0(SALU_CYCLE_1)
	s_mov_b32 s17, exec_lo
	v_cmpx_gt_u32_e64 s35, v79
	s_cbranch_execnz .LBB430_685
.LBB430_584:                            ;   in Loop: Header=BB430_574 Depth=2
	s_or_b32 exec_lo, exec_lo, s17
	s_delay_alu instid0(SALU_CYCLE_1)
	s_mov_b32 s17, exec_lo
	v_cmpx_gt_u32_e64 s35, v80
	s_cbranch_execz .LBB430_586
.LBB430_585:                            ;   in Loop: Header=BB430_574 Depth=2
	global_load_u8 v23, v[20:21], off offset:192
.LBB430_586:                            ;   in Loop: Header=BB430_574 Depth=2
	s_or_b32 exec_lo, exec_lo, s17
	v_cmp_gt_u32_e64 s20, s35, v81
	s_sub_i32 s17, s29, s24
	s_mov_b64 s[18:19], s[24:25]
	v_mov_b32_e32 v2, s35
	s_delay_alu instid0(VALU_DEP_2)
	s_and_saveexec_b32 s21, s20
	s_cbranch_execz .LBB430_588
.LBB430_587:                            ;   in Loop: Header=BB430_574 Depth=2
	v_add_co_u32 v20, vcc_lo, v83, s18
	v_add_co_ci_u32_e32 v21, vcc_lo, s19, v84, vcc_lo
	v_mov_b32_e32 v2, s17
	global_load_u8 v22, v[20:21], off
.LBB430_588:                            ;   in Loop: Header=BB430_574 Depth=2
	s_or_b32 exec_lo, exec_lo, s21
	s_waitcnt vmcnt(0)
	v_xor_b32_e32 v93, 0xffffff80, v93
	ds_store_b32 v46, v3 offset:1056
	ds_store_2addr_b32 v47, v3, v3 offset0:1 offset1:2
	ds_store_2addr_b32 v47, v3, v3 offset0:3 offset1:4
	;; [unrolled: 1-line block ×4, first 2 shown]
	s_waitcnt lgkmcnt(0)
	s_barrier
	v_and_b32_e32 v20, 0xff, v93
	buffer_gl0_inv
	; wave barrier
	v_lshrrev_b32_e32 v20, s49, v20
	s_delay_alu instid0(VALU_DEP_1) | instskip(NEXT) | instid1(VALU_DEP_1)
	v_and_b32_e32 v21, s31, v20
	v_and_b32_e32 v20, 1, v21
	v_lshlrev_b32_e32 v94, 30, v21
	v_lshlrev_b32_e32 v96, 29, v21
	;; [unrolled: 1-line block ×4, first 2 shown]
	v_add_co_u32 v20, s17, v20, -1
	s_delay_alu instid0(VALU_DEP_1)
	v_cndmask_b32_e64 v98, 0, 1, s17
	v_not_b32_e32 v102, v94
	v_cmp_gt_i32_e64 s17, 0, v94
	v_not_b32_e32 v94, v96
	v_lshlrev_b32_e32 v100, 26, v21
	v_cmp_ne_u32_e32 vcc_lo, 0, v98
	v_ashrrev_i32_e32 v102, 31, v102
	v_lshlrev_b32_e32 v101, 25, v21
	v_ashrrev_i32_e32 v94, 31, v94
	v_lshlrev_b32_e32 v98, 24, v21
	v_xor_b32_e32 v20, vcc_lo, v20
	v_cmp_gt_i32_e32 vcc_lo, 0, v96
	v_not_b32_e32 v96, v97
	v_xor_b32_e32 v102, s17, v102
	v_cmp_gt_i32_e64 s17, 0, v97
	v_and_b32_e32 v20, exec_lo, v20
	v_not_b32_e32 v97, v99
	v_ashrrev_i32_e32 v96, 31, v96
	v_xor_b32_e32 v94, vcc_lo, v94
	v_cmp_gt_i32_e32 vcc_lo, 0, v99
	v_and_b32_e32 v20, v20, v102
	v_not_b32_e32 v99, v100
	v_ashrrev_i32_e32 v97, 31, v97
	v_xor_b32_e32 v96, s17, v96
	v_cmp_gt_i32_e64 s17, 0, v100
	v_and_b32_e32 v20, v20, v94
	v_not_b32_e32 v94, v101
	v_ashrrev_i32_e32 v99, 31, v99
	v_xor_b32_e32 v97, vcc_lo, v97
	v_cmp_gt_i32_e32 vcc_lo, 0, v101
	v_and_b32_e32 v20, v20, v96
	v_not_b32_e32 v96, v98
	v_ashrrev_i32_e32 v94, 31, v94
	v_xor_b32_e32 v99, s17, v99
	v_cmp_gt_i32_e64 s17, 0, v98
	v_and_b32_e32 v20, v20, v97
	v_ashrrev_i32_e32 v96, 31, v96
	v_xor_b32_e32 v94, vcc_lo, v94
	v_mad_u32_u24 v21, v21, 9, v82
	s_delay_alu instid0(VALU_DEP_4) | instskip(NEXT) | instid1(VALU_DEP_4)
	v_and_b32_e32 v20, v20, v99
	v_xor_b32_e32 v96, s17, v96
	s_delay_alu instid0(VALU_DEP_2) | instskip(NEXT) | instid1(VALU_DEP_1)
	v_and_b32_e32 v20, v20, v94
	v_and_b32_e32 v20, v20, v96
	v_lshl_add_u32 v96, v21, 2, 0x420
	s_delay_alu instid0(VALU_DEP_2) | instskip(SKIP_1) | instid1(VALU_DEP_2)
	v_mbcnt_lo_u32_b32 v94, v20, 0
	v_cmp_ne_u32_e64 s17, 0, v20
	v_cmp_eq_u32_e32 vcc_lo, 0, v94
	s_delay_alu instid0(VALU_DEP_2) | instskip(NEXT) | instid1(SALU_CYCLE_1)
	s_and_b32 s18, s17, vcc_lo
	s_and_saveexec_b32 s17, s18
	s_cbranch_execz .LBB430_590
; %bb.589:                              ;   in Loop: Header=BB430_574 Depth=2
	v_bcnt_u32_b32 v20, v20, 0
	ds_store_b32 v96, v20
.LBB430_590:                            ;   in Loop: Header=BB430_574 Depth=2
	s_or_b32 exec_lo, exec_lo, s17
	v_xor_b32_e32 v95, 0xffffff80, v95
	; wave barrier
	s_delay_alu instid0(VALU_DEP_1) | instskip(NEXT) | instid1(VALU_DEP_1)
	v_and_b32_e32 v20, 0xff, v95
	v_lshrrev_b32_e32 v20, s49, v20
	s_delay_alu instid0(VALU_DEP_1) | instskip(NEXT) | instid1(VALU_DEP_1)
	v_and_b32_e32 v20, s31, v20
	v_and_b32_e32 v21, 1, v20
	v_lshlrev_b32_e32 v97, 30, v20
	v_lshlrev_b32_e32 v98, 29, v20
	;; [unrolled: 1-line block ×4, first 2 shown]
	v_add_co_u32 v21, s17, v21, -1
	s_delay_alu instid0(VALU_DEP_1)
	v_cndmask_b32_e64 v100, 0, 1, s17
	v_not_b32_e32 v104, v97
	v_cmp_gt_i32_e64 s17, 0, v97
	v_not_b32_e32 v97, v98
	v_lshlrev_b32_e32 v102, 26, v20
	v_cmp_ne_u32_e32 vcc_lo, 0, v100
	v_ashrrev_i32_e32 v104, 31, v104
	v_lshlrev_b32_e32 v103, 25, v20
	v_ashrrev_i32_e32 v97, 31, v97
	v_lshlrev_b32_e32 v100, 24, v20
	v_xor_b32_e32 v21, vcc_lo, v21
	v_cmp_gt_i32_e32 vcc_lo, 0, v98
	v_not_b32_e32 v98, v99
	v_xor_b32_e32 v104, s17, v104
	v_cmp_gt_i32_e64 s17, 0, v99
	v_and_b32_e32 v21, exec_lo, v21
	v_not_b32_e32 v99, v101
	v_ashrrev_i32_e32 v98, 31, v98
	v_xor_b32_e32 v97, vcc_lo, v97
	v_cmp_gt_i32_e32 vcc_lo, 0, v101
	v_and_b32_e32 v21, v21, v104
	v_not_b32_e32 v101, v102
	v_ashrrev_i32_e32 v99, 31, v99
	v_xor_b32_e32 v98, s17, v98
	v_cmp_gt_i32_e64 s17, 0, v102
	v_and_b32_e32 v21, v21, v97
	v_not_b32_e32 v97, v103
	v_ashrrev_i32_e32 v101, 31, v101
	v_xor_b32_e32 v99, vcc_lo, v99
	v_cmp_gt_i32_e32 vcc_lo, 0, v103
	v_and_b32_e32 v21, v21, v98
	v_not_b32_e32 v98, v100
	v_ashrrev_i32_e32 v97, 31, v97
	v_xor_b32_e32 v101, s17, v101
	v_mul_u32_u24_e32 v20, 9, v20
	v_and_b32_e32 v21, v21, v99
	v_cmp_gt_i32_e64 s17, 0, v100
	v_ashrrev_i32_e32 v98, 31, v98
	v_xor_b32_e32 v97, vcc_lo, v97
	v_add_lshl_u32 v99, v20, v82, 2
	v_and_b32_e32 v21, v21, v101
	s_delay_alu instid0(VALU_DEP_4) | instskip(NEXT) | instid1(VALU_DEP_3)
	v_xor_b32_e32 v20, s17, v98
	v_add_nc_u32_e32 v100, 0x420, v99
	s_delay_alu instid0(VALU_DEP_3) | instskip(SKIP_2) | instid1(VALU_DEP_1)
	v_and_b32_e32 v21, v21, v97
	ds_load_b32 v97, v99 offset:1056
	; wave barrier
	v_and_b32_e32 v20, v21, v20
	v_mbcnt_lo_u32_b32 v98, v20, 0
	v_cmp_ne_u32_e64 s17, 0, v20
	s_delay_alu instid0(VALU_DEP_2) | instskip(NEXT) | instid1(VALU_DEP_2)
	v_cmp_eq_u32_e32 vcc_lo, 0, v98
	s_and_b32 s18, s17, vcc_lo
	s_delay_alu instid0(SALU_CYCLE_1)
	s_and_saveexec_b32 s17, s18
	s_cbranch_execz .LBB430_592
; %bb.591:                              ;   in Loop: Header=BB430_574 Depth=2
	s_waitcnt lgkmcnt(0)
	v_bcnt_u32_b32 v20, v20, v97
	ds_store_b32 v100, v20
.LBB430_592:                            ;   in Loop: Header=BB430_574 Depth=2
	s_or_b32 exec_lo, exec_lo, s17
	v_xor_b32_e32 v99, 0xffffff80, v27
	; wave barrier
	s_delay_alu instid0(VALU_DEP_1) | instskip(NEXT) | instid1(VALU_DEP_1)
	v_and_b32_e32 v20, 0xff, v99
	v_lshrrev_b32_e32 v20, s49, v20
	s_delay_alu instid0(VALU_DEP_1) | instskip(NEXT) | instid1(VALU_DEP_1)
	v_and_b32_e32 v20, s31, v20
	v_and_b32_e32 v21, 1, v20
	v_lshlrev_b32_e32 v27, 30, v20
	v_lshlrev_b32_e32 v101, 29, v20
	;; [unrolled: 1-line block ×4, first 2 shown]
	v_add_co_u32 v21, s17, v21, -1
	s_delay_alu instid0(VALU_DEP_1)
	v_cndmask_b32_e64 v103, 0, 1, s17
	v_not_b32_e32 v107, v27
	v_cmp_gt_i32_e64 s17, 0, v27
	v_not_b32_e32 v27, v101
	v_lshlrev_b32_e32 v105, 26, v20
	v_cmp_ne_u32_e32 vcc_lo, 0, v103
	v_ashrrev_i32_e32 v107, 31, v107
	v_lshlrev_b32_e32 v106, 25, v20
	v_ashrrev_i32_e32 v27, 31, v27
	v_lshlrev_b32_e32 v103, 24, v20
	v_xor_b32_e32 v21, vcc_lo, v21
	v_cmp_gt_i32_e32 vcc_lo, 0, v101
	v_not_b32_e32 v101, v102
	v_xor_b32_e32 v107, s17, v107
	v_cmp_gt_i32_e64 s17, 0, v102
	v_and_b32_e32 v21, exec_lo, v21
	v_not_b32_e32 v102, v104
	v_ashrrev_i32_e32 v101, 31, v101
	v_xor_b32_e32 v27, vcc_lo, v27
	v_cmp_gt_i32_e32 vcc_lo, 0, v104
	v_and_b32_e32 v21, v21, v107
	v_not_b32_e32 v104, v105
	v_ashrrev_i32_e32 v102, 31, v102
	v_xor_b32_e32 v101, s17, v101
	v_cmp_gt_i32_e64 s17, 0, v105
	v_and_b32_e32 v21, v21, v27
	v_not_b32_e32 v27, v106
	v_ashrrev_i32_e32 v104, 31, v104
	v_xor_b32_e32 v102, vcc_lo, v102
	v_cmp_gt_i32_e32 vcc_lo, 0, v106
	v_and_b32_e32 v21, v21, v101
	v_not_b32_e32 v101, v103
	v_ashrrev_i32_e32 v27, 31, v27
	v_xor_b32_e32 v104, s17, v104
	v_mul_u32_u24_e32 v20, 9, v20
	v_and_b32_e32 v21, v21, v102
	v_cmp_gt_i32_e64 s17, 0, v103
	v_ashrrev_i32_e32 v101, 31, v101
	v_xor_b32_e32 v27, vcc_lo, v27
	v_add_lshl_u32 v103, v20, v82, 2
	v_and_b32_e32 v21, v21, v104
	s_delay_alu instid0(VALU_DEP_4) | instskip(SKIP_3) | instid1(VALU_DEP_2)
	v_xor_b32_e32 v20, s17, v101
	ds_load_b32 v101, v103 offset:1056
	v_and_b32_e32 v21, v21, v27
	v_add_nc_u32_e32 v104, 0x420, v103
	; wave barrier
	v_and_b32_e32 v20, v21, v20
	s_delay_alu instid0(VALU_DEP_1) | instskip(SKIP_1) | instid1(VALU_DEP_2)
	v_mbcnt_lo_u32_b32 v102, v20, 0
	v_cmp_ne_u32_e64 s17, 0, v20
	v_cmp_eq_u32_e32 vcc_lo, 0, v102
	s_delay_alu instid0(VALU_DEP_2) | instskip(NEXT) | instid1(SALU_CYCLE_1)
	s_and_b32 s18, s17, vcc_lo
	s_and_saveexec_b32 s17, s18
	s_cbranch_execz .LBB430_594
; %bb.593:                              ;   in Loop: Header=BB430_574 Depth=2
	s_waitcnt lgkmcnt(0)
	v_bcnt_u32_b32 v20, v20, v101
	ds_store_b32 v104, v20
.LBB430_594:                            ;   in Loop: Header=BB430_574 Depth=2
	s_or_b32 exec_lo, exec_lo, s17
	v_xor_b32_e32 v103, 0xffffff80, v26
	; wave barrier
	s_delay_alu instid0(VALU_DEP_1) | instskip(NEXT) | instid1(VALU_DEP_1)
	v_and_b32_e32 v20, 0xff, v103
	v_lshrrev_b32_e32 v20, s49, v20
	s_delay_alu instid0(VALU_DEP_1) | instskip(NEXT) | instid1(VALU_DEP_1)
	v_and_b32_e32 v20, s31, v20
	v_and_b32_e32 v21, 1, v20
	v_lshlrev_b32_e32 v26, 30, v20
	v_lshlrev_b32_e32 v27, 29, v20
	;; [unrolled: 1-line block ×4, first 2 shown]
	v_add_co_u32 v21, s17, v21, -1
	s_delay_alu instid0(VALU_DEP_1)
	v_cndmask_b32_e64 v106, 0, 1, s17
	v_not_b32_e32 v110, v26
	v_cmp_gt_i32_e64 s17, 0, v26
	v_not_b32_e32 v26, v27
	v_lshlrev_b32_e32 v108, 26, v20
	v_cmp_ne_u32_e32 vcc_lo, 0, v106
	v_ashrrev_i32_e32 v110, 31, v110
	v_lshlrev_b32_e32 v109, 25, v20
	v_ashrrev_i32_e32 v26, 31, v26
	v_lshlrev_b32_e32 v106, 24, v20
	v_xor_b32_e32 v21, vcc_lo, v21
	v_cmp_gt_i32_e32 vcc_lo, 0, v27
	v_not_b32_e32 v27, v105
	v_xor_b32_e32 v110, s17, v110
	v_cmp_gt_i32_e64 s17, 0, v105
	v_and_b32_e32 v21, exec_lo, v21
	v_not_b32_e32 v105, v107
	v_ashrrev_i32_e32 v27, 31, v27
	v_xor_b32_e32 v26, vcc_lo, v26
	v_cmp_gt_i32_e32 vcc_lo, 0, v107
	v_and_b32_e32 v21, v21, v110
	v_not_b32_e32 v107, v108
	v_ashrrev_i32_e32 v105, 31, v105
	v_xor_b32_e32 v27, s17, v27
	v_cmp_gt_i32_e64 s17, 0, v108
	v_and_b32_e32 v21, v21, v26
	v_not_b32_e32 v26, v109
	v_ashrrev_i32_e32 v107, 31, v107
	v_xor_b32_e32 v105, vcc_lo, v105
	v_cmp_gt_i32_e32 vcc_lo, 0, v109
	v_and_b32_e32 v21, v21, v27
	v_not_b32_e32 v27, v106
	v_ashrrev_i32_e32 v26, 31, v26
	v_xor_b32_e32 v107, s17, v107
	v_mul_u32_u24_e32 v20, 9, v20
	v_and_b32_e32 v21, v21, v105
	v_cmp_gt_i32_e64 s17, 0, v106
	v_ashrrev_i32_e32 v27, 31, v27
	v_xor_b32_e32 v26, vcc_lo, v26
	s_delay_alu instid0(VALU_DEP_4) | instskip(SKIP_1) | instid1(VALU_DEP_4)
	v_and_b32_e32 v21, v21, v107
	v_add_lshl_u32 v107, v20, v82, 2
	v_xor_b32_e32 v20, s17, v27
	s_delay_alu instid0(VALU_DEP_3) | instskip(SKIP_3) | instid1(VALU_DEP_1)
	v_and_b32_e32 v21, v21, v26
	ds_load_b32 v105, v107 offset:1056
	v_add_nc_u32_e32 v108, 0x420, v107
	; wave barrier
	v_and_b32_e32 v20, v21, v20
	v_mbcnt_lo_u32_b32 v106, v20, 0
	v_cmp_ne_u32_e64 s17, 0, v20
	s_delay_alu instid0(VALU_DEP_2) | instskip(NEXT) | instid1(VALU_DEP_2)
	v_cmp_eq_u32_e32 vcc_lo, 0, v106
	s_and_b32 s18, s17, vcc_lo
	s_delay_alu instid0(SALU_CYCLE_1)
	s_and_saveexec_b32 s17, s18
	s_cbranch_execz .LBB430_596
; %bb.595:                              ;   in Loop: Header=BB430_574 Depth=2
	s_waitcnt lgkmcnt(0)
	v_bcnt_u32_b32 v20, v20, v105
	ds_store_b32 v108, v20
.LBB430_596:                            ;   in Loop: Header=BB430_574 Depth=2
	s_or_b32 exec_lo, exec_lo, s17
	v_xor_b32_e32 v107, 0xffffff80, v25
	; wave barrier
	s_delay_alu instid0(VALU_DEP_1) | instskip(NEXT) | instid1(VALU_DEP_1)
	v_and_b32_e32 v20, 0xff, v107
	v_lshrrev_b32_e32 v20, s49, v20
	s_delay_alu instid0(VALU_DEP_1) | instskip(NEXT) | instid1(VALU_DEP_1)
	v_and_b32_e32 v20, s31, v20
	v_and_b32_e32 v21, 1, v20
	v_lshlrev_b32_e32 v25, 30, v20
	v_lshlrev_b32_e32 v26, 29, v20
	;; [unrolled: 1-line block ×4, first 2 shown]
	v_add_co_u32 v21, s17, v21, -1
	s_delay_alu instid0(VALU_DEP_1)
	v_cndmask_b32_e64 v109, 0, 1, s17
	v_not_b32_e32 v113, v25
	v_cmp_gt_i32_e64 s17, 0, v25
	v_not_b32_e32 v25, v26
	v_lshlrev_b32_e32 v111, 26, v20
	v_cmp_ne_u32_e32 vcc_lo, 0, v109
	v_ashrrev_i32_e32 v113, 31, v113
	v_lshlrev_b32_e32 v112, 25, v20
	v_ashrrev_i32_e32 v25, 31, v25
	v_lshlrev_b32_e32 v109, 24, v20
	v_xor_b32_e32 v21, vcc_lo, v21
	v_cmp_gt_i32_e32 vcc_lo, 0, v26
	v_not_b32_e32 v26, v27
	v_xor_b32_e32 v113, s17, v113
	v_cmp_gt_i32_e64 s17, 0, v27
	v_and_b32_e32 v21, exec_lo, v21
	v_not_b32_e32 v27, v110
	v_ashrrev_i32_e32 v26, 31, v26
	v_xor_b32_e32 v25, vcc_lo, v25
	v_cmp_gt_i32_e32 vcc_lo, 0, v110
	v_and_b32_e32 v21, v21, v113
	v_not_b32_e32 v110, v111
	v_ashrrev_i32_e32 v27, 31, v27
	v_xor_b32_e32 v26, s17, v26
	v_cmp_gt_i32_e64 s17, 0, v111
	v_and_b32_e32 v21, v21, v25
	v_not_b32_e32 v25, v112
	v_ashrrev_i32_e32 v110, 31, v110
	v_xor_b32_e32 v27, vcc_lo, v27
	v_cmp_gt_i32_e32 vcc_lo, 0, v112
	v_and_b32_e32 v21, v21, v26
	v_not_b32_e32 v26, v109
	v_ashrrev_i32_e32 v25, 31, v25
	v_xor_b32_e32 v110, s17, v110
	v_mul_u32_u24_e32 v20, 9, v20
	v_and_b32_e32 v21, v21, v27
	v_cmp_gt_i32_e64 s17, 0, v109
	v_ashrrev_i32_e32 v26, 31, v26
	v_xor_b32_e32 v25, vcc_lo, v25
	v_add_lshl_u32 v27, v20, v82, 2
	v_and_b32_e32 v21, v21, v110
	s_delay_alu instid0(VALU_DEP_4) | instskip(SKIP_3) | instid1(VALU_DEP_2)
	v_xor_b32_e32 v20, s17, v26
	ds_load_b32 v109, v27 offset:1056
	v_and_b32_e32 v21, v21, v25
	v_add_nc_u32_e32 v112, 0x420, v27
	; wave barrier
	v_and_b32_e32 v20, v21, v20
	s_delay_alu instid0(VALU_DEP_1) | instskip(SKIP_1) | instid1(VALU_DEP_2)
	v_mbcnt_lo_u32_b32 v110, v20, 0
	v_cmp_ne_u32_e64 s17, 0, v20
	v_cmp_eq_u32_e32 vcc_lo, 0, v110
	s_delay_alu instid0(VALU_DEP_2) | instskip(NEXT) | instid1(SALU_CYCLE_1)
	s_and_b32 s18, s17, vcc_lo
	s_and_saveexec_b32 s17, s18
	s_cbranch_execz .LBB430_598
; %bb.597:                              ;   in Loop: Header=BB430_574 Depth=2
	s_waitcnt lgkmcnt(0)
	v_bcnt_u32_b32 v20, v20, v109
	ds_store_b32 v112, v20
.LBB430_598:                            ;   in Loop: Header=BB430_574 Depth=2
	s_or_b32 exec_lo, exec_lo, s17
	v_xor_b32_e32 v111, 0xffffff80, v24
	; wave barrier
	s_delay_alu instid0(VALU_DEP_1) | instskip(NEXT) | instid1(VALU_DEP_1)
	v_and_b32_e32 v20, 0xff, v111
	v_lshrrev_b32_e32 v20, s49, v20
	s_delay_alu instid0(VALU_DEP_1) | instskip(NEXT) | instid1(VALU_DEP_1)
	v_and_b32_e32 v20, s31, v20
	v_and_b32_e32 v21, 1, v20
	v_lshlrev_b32_e32 v24, 30, v20
	v_lshlrev_b32_e32 v25, 29, v20
	;; [unrolled: 1-line block ×4, first 2 shown]
	v_add_co_u32 v21, s17, v21, -1
	s_delay_alu instid0(VALU_DEP_1)
	v_cndmask_b32_e64 v27, 0, 1, s17
	v_not_b32_e32 v116, v24
	v_cmp_gt_i32_e64 s17, 0, v24
	v_not_b32_e32 v24, v25
	v_lshlrev_b32_e32 v114, 26, v20
	v_cmp_ne_u32_e32 vcc_lo, 0, v27
	v_ashrrev_i32_e32 v116, 31, v116
	v_lshlrev_b32_e32 v115, 25, v20
	v_ashrrev_i32_e32 v24, 31, v24
	v_lshlrev_b32_e32 v27, 24, v20
	v_xor_b32_e32 v21, vcc_lo, v21
	v_cmp_gt_i32_e32 vcc_lo, 0, v25
	v_not_b32_e32 v25, v26
	v_xor_b32_e32 v116, s17, v116
	v_cmp_gt_i32_e64 s17, 0, v26
	v_and_b32_e32 v21, exec_lo, v21
	v_not_b32_e32 v26, v113
	v_ashrrev_i32_e32 v25, 31, v25
	v_xor_b32_e32 v24, vcc_lo, v24
	v_cmp_gt_i32_e32 vcc_lo, 0, v113
	v_and_b32_e32 v21, v21, v116
	v_not_b32_e32 v113, v114
	v_ashrrev_i32_e32 v26, 31, v26
	v_xor_b32_e32 v25, s17, v25
	v_cmp_gt_i32_e64 s17, 0, v114
	v_and_b32_e32 v21, v21, v24
	v_not_b32_e32 v24, v115
	v_ashrrev_i32_e32 v113, 31, v113
	v_xor_b32_e32 v26, vcc_lo, v26
	v_cmp_gt_i32_e32 vcc_lo, 0, v115
	v_and_b32_e32 v21, v21, v25
	v_not_b32_e32 v25, v27
	v_ashrrev_i32_e32 v24, 31, v24
	v_xor_b32_e32 v113, s17, v113
	v_mul_u32_u24_e32 v20, 9, v20
	v_and_b32_e32 v21, v21, v26
	v_cmp_gt_i32_e64 s17, 0, v27
	v_ashrrev_i32_e32 v25, 31, v25
	v_xor_b32_e32 v24, vcc_lo, v24
	v_add_lshl_u32 v26, v20, v82, 2
	v_and_b32_e32 v21, v21, v113
	s_delay_alu instid0(VALU_DEP_4) | instskip(SKIP_3) | instid1(VALU_DEP_2)
	v_xor_b32_e32 v20, s17, v25
	ds_load_b32 v113, v26 offset:1056
	v_and_b32_e32 v21, v21, v24
	v_add_nc_u32_e32 v116, 0x420, v26
	; wave barrier
	v_and_b32_e32 v20, v21, v20
	s_delay_alu instid0(VALU_DEP_1) | instskip(SKIP_1) | instid1(VALU_DEP_2)
	v_mbcnt_lo_u32_b32 v114, v20, 0
	v_cmp_ne_u32_e64 s17, 0, v20
	v_cmp_eq_u32_e32 vcc_lo, 0, v114
	s_delay_alu instid0(VALU_DEP_2) | instskip(NEXT) | instid1(SALU_CYCLE_1)
	s_and_b32 s18, s17, vcc_lo
	s_and_saveexec_b32 s17, s18
	s_cbranch_execz .LBB430_600
; %bb.599:                              ;   in Loop: Header=BB430_574 Depth=2
	s_waitcnt lgkmcnt(0)
	v_bcnt_u32_b32 v20, v20, v113
	ds_store_b32 v116, v20
.LBB430_600:                            ;   in Loop: Header=BB430_574 Depth=2
	s_or_b32 exec_lo, exec_lo, s17
	v_xor_b32_e32 v115, 0xffffff80, v23
	; wave barrier
	s_delay_alu instid0(VALU_DEP_1) | instskip(NEXT) | instid1(VALU_DEP_1)
	v_and_b32_e32 v20, 0xff, v115
	v_lshrrev_b32_e32 v20, s49, v20
	s_delay_alu instid0(VALU_DEP_1) | instskip(NEXT) | instid1(VALU_DEP_1)
	v_and_b32_e32 v20, s31, v20
	v_and_b32_e32 v21, 1, v20
	v_lshlrev_b32_e32 v23, 30, v20
	v_lshlrev_b32_e32 v24, 29, v20
	;; [unrolled: 1-line block ×4, first 2 shown]
	v_add_co_u32 v21, s17, v21, -1
	s_delay_alu instid0(VALU_DEP_1)
	v_cndmask_b32_e64 v26, 0, 1, s17
	v_not_b32_e32 v119, v23
	v_cmp_gt_i32_e64 s17, 0, v23
	v_not_b32_e32 v23, v24
	v_lshlrev_b32_e32 v117, 26, v20
	v_cmp_ne_u32_e32 vcc_lo, 0, v26
	v_ashrrev_i32_e32 v119, 31, v119
	v_lshlrev_b32_e32 v118, 25, v20
	v_ashrrev_i32_e32 v23, 31, v23
	v_lshlrev_b32_e32 v26, 24, v20
	v_xor_b32_e32 v21, vcc_lo, v21
	v_cmp_gt_i32_e32 vcc_lo, 0, v24
	v_not_b32_e32 v24, v25
	v_xor_b32_e32 v119, s17, v119
	v_cmp_gt_i32_e64 s17, 0, v25
	v_and_b32_e32 v21, exec_lo, v21
	v_not_b32_e32 v25, v27
	v_ashrrev_i32_e32 v24, 31, v24
	v_xor_b32_e32 v23, vcc_lo, v23
	v_cmp_gt_i32_e32 vcc_lo, 0, v27
	v_and_b32_e32 v21, v21, v119
	v_not_b32_e32 v27, v117
	v_ashrrev_i32_e32 v25, 31, v25
	v_xor_b32_e32 v24, s17, v24
	v_cmp_gt_i32_e64 s17, 0, v117
	v_and_b32_e32 v21, v21, v23
	v_not_b32_e32 v23, v118
	v_ashrrev_i32_e32 v27, 31, v27
	v_xor_b32_e32 v25, vcc_lo, v25
	v_cmp_gt_i32_e32 vcc_lo, 0, v118
	v_and_b32_e32 v21, v21, v24
	v_not_b32_e32 v24, v26
	v_ashrrev_i32_e32 v23, 31, v23
	v_xor_b32_e32 v27, s17, v27
	v_mul_u32_u24_e32 v20, 9, v20
	v_and_b32_e32 v21, v21, v25
	v_cmp_gt_i32_e64 s17, 0, v26
	v_ashrrev_i32_e32 v24, 31, v24
	v_xor_b32_e32 v23, vcc_lo, v23
	v_add_lshl_u32 v25, v20, v82, 2
	v_and_b32_e32 v21, v21, v27
	s_delay_alu instid0(VALU_DEP_4) | instskip(SKIP_3) | instid1(VALU_DEP_2)
	v_xor_b32_e32 v20, s17, v24
	ds_load_b32 v117, v25 offset:1056
	v_and_b32_e32 v21, v21, v23
	v_add_nc_u32_e32 v120, 0x420, v25
	; wave barrier
	v_and_b32_e32 v20, v21, v20
	s_delay_alu instid0(VALU_DEP_1) | instskip(SKIP_1) | instid1(VALU_DEP_2)
	v_mbcnt_lo_u32_b32 v118, v20, 0
	v_cmp_ne_u32_e64 s17, 0, v20
	v_cmp_eq_u32_e32 vcc_lo, 0, v118
	s_delay_alu instid0(VALU_DEP_2) | instskip(NEXT) | instid1(SALU_CYCLE_1)
	s_and_b32 s18, s17, vcc_lo
	s_and_saveexec_b32 s17, s18
	s_cbranch_execz .LBB430_602
; %bb.601:                              ;   in Loop: Header=BB430_574 Depth=2
	s_waitcnt lgkmcnt(0)
	v_bcnt_u32_b32 v20, v20, v117
	ds_store_b32 v120, v20
.LBB430_602:                            ;   in Loop: Header=BB430_574 Depth=2
	s_or_b32 exec_lo, exec_lo, s17
	v_xor_b32_e32 v119, 0xffffff80, v22
	; wave barrier
	s_delay_alu instid0(VALU_DEP_1) | instskip(NEXT) | instid1(VALU_DEP_1)
	v_and_b32_e32 v20, 0xff, v119
	v_lshrrev_b32_e32 v20, s49, v20
	s_delay_alu instid0(VALU_DEP_1) | instskip(NEXT) | instid1(VALU_DEP_1)
	v_and_b32_e32 v20, s31, v20
	v_and_b32_e32 v21, 1, v20
	v_lshlrev_b32_e32 v22, 30, v20
	v_lshlrev_b32_e32 v23, 29, v20
	;; [unrolled: 1-line block ×4, first 2 shown]
	v_add_co_u32 v21, s17, v21, -1
	s_delay_alu instid0(VALU_DEP_1)
	v_cndmask_b32_e64 v25, 0, 1, s17
	v_not_b32_e32 v122, v22
	v_cmp_gt_i32_e64 s17, 0, v22
	v_not_b32_e32 v22, v23
	v_lshlrev_b32_e32 v27, 26, v20
	v_cmp_ne_u32_e32 vcc_lo, 0, v25
	v_ashrrev_i32_e32 v122, 31, v122
	v_lshlrev_b32_e32 v121, 25, v20
	v_ashrrev_i32_e32 v22, 31, v22
	v_lshlrev_b32_e32 v25, 24, v20
	v_xor_b32_e32 v21, vcc_lo, v21
	v_cmp_gt_i32_e32 vcc_lo, 0, v23
	v_not_b32_e32 v23, v24
	v_xor_b32_e32 v122, s17, v122
	v_cmp_gt_i32_e64 s17, 0, v24
	v_and_b32_e32 v21, exec_lo, v21
	v_not_b32_e32 v24, v26
	v_ashrrev_i32_e32 v23, 31, v23
	v_xor_b32_e32 v22, vcc_lo, v22
	v_cmp_gt_i32_e32 vcc_lo, 0, v26
	v_and_b32_e32 v21, v21, v122
	v_not_b32_e32 v26, v27
	v_ashrrev_i32_e32 v24, 31, v24
	v_xor_b32_e32 v23, s17, v23
	v_cmp_gt_i32_e64 s17, 0, v27
	v_and_b32_e32 v21, v21, v22
	v_not_b32_e32 v22, v121
	v_ashrrev_i32_e32 v26, 31, v26
	v_xor_b32_e32 v24, vcc_lo, v24
	v_cmp_gt_i32_e32 vcc_lo, 0, v121
	v_and_b32_e32 v21, v21, v23
	v_not_b32_e32 v23, v25
	v_ashrrev_i32_e32 v22, 31, v22
	v_xor_b32_e32 v26, s17, v26
	v_mul_u32_u24_e32 v20, 9, v20
	v_and_b32_e32 v21, v21, v24
	v_cmp_gt_i32_e64 s17, 0, v25
	v_ashrrev_i32_e32 v23, 31, v23
	v_xor_b32_e32 v22, vcc_lo, v22
	v_add_lshl_u32 v24, v20, v82, 2
	v_and_b32_e32 v21, v21, v26
	s_delay_alu instid0(VALU_DEP_4) | instskip(SKIP_3) | instid1(VALU_DEP_2)
	v_xor_b32_e32 v20, s17, v23
	ds_load_b32 v121, v24 offset:1056
	v_and_b32_e32 v21, v21, v22
	v_add_nc_u32_e32 v123, 0x420, v24
	; wave barrier
	v_and_b32_e32 v20, v21, v20
	s_delay_alu instid0(VALU_DEP_1) | instskip(SKIP_1) | instid1(VALU_DEP_2)
	v_mbcnt_lo_u32_b32 v122, v20, 0
	v_cmp_ne_u32_e64 s17, 0, v20
	v_cmp_eq_u32_e32 vcc_lo, 0, v122
	s_delay_alu instid0(VALU_DEP_2) | instskip(NEXT) | instid1(SALU_CYCLE_1)
	s_and_b32 s18, s17, vcc_lo
	s_and_saveexec_b32 s17, s18
	s_cbranch_execz .LBB430_604
; %bb.603:                              ;   in Loop: Header=BB430_574 Depth=2
	s_waitcnt lgkmcnt(0)
	v_bcnt_u32_b32 v20, v20, v121
	ds_store_b32 v123, v20
.LBB430_604:                            ;   in Loop: Header=BB430_574 Depth=2
	s_or_b32 exec_lo, exec_lo, s17
	; wave barrier
	s_waitcnt lgkmcnt(0)
	s_barrier
	buffer_gl0_inv
	ds_load_b32 v124, v46 offset:1056
	ds_load_2addr_b32 v[26:27], v47 offset0:1 offset1:2
	ds_load_2addr_b32 v[24:25], v47 offset0:3 offset1:4
	;; [unrolled: 1-line block ×4, first 2 shown]
	s_waitcnt lgkmcnt(3)
	v_add3_u32 v125, v26, v124, v27
	s_waitcnt lgkmcnt(2)
	s_delay_alu instid0(VALU_DEP_1) | instskip(SKIP_1) | instid1(VALU_DEP_1)
	v_add3_u32 v125, v125, v24, v25
	s_waitcnt lgkmcnt(1)
	v_add3_u32 v125, v125, v20, v21
	s_waitcnt lgkmcnt(0)
	s_delay_alu instid0(VALU_DEP_1) | instskip(NEXT) | instid1(VALU_DEP_1)
	v_add3_u32 v23, v125, v22, v23
	v_mov_b32_dpp v125, v23 row_shr:1 row_mask:0xf bank_mask:0xf
	s_delay_alu instid0(VALU_DEP_1) | instskip(NEXT) | instid1(VALU_DEP_1)
	v_cndmask_b32_e64 v125, v125, 0, s0
	v_add_nc_u32_e32 v23, v125, v23
	s_delay_alu instid0(VALU_DEP_1) | instskip(NEXT) | instid1(VALU_DEP_1)
	v_mov_b32_dpp v125, v23 row_shr:2 row_mask:0xf bank_mask:0xf
	v_cndmask_b32_e64 v125, 0, v125, s1
	s_delay_alu instid0(VALU_DEP_1) | instskip(NEXT) | instid1(VALU_DEP_1)
	v_add_nc_u32_e32 v23, v23, v125
	v_mov_b32_dpp v125, v23 row_shr:4 row_mask:0xf bank_mask:0xf
	s_delay_alu instid0(VALU_DEP_1) | instskip(NEXT) | instid1(VALU_DEP_1)
	v_cndmask_b32_e64 v125, 0, v125, s8
	v_add_nc_u32_e32 v23, v23, v125
	s_delay_alu instid0(VALU_DEP_1) | instskip(NEXT) | instid1(VALU_DEP_1)
	v_mov_b32_dpp v125, v23 row_shr:8 row_mask:0xf bank_mask:0xf
	v_cndmask_b32_e64 v125, 0, v125, s9
	s_delay_alu instid0(VALU_DEP_1) | instskip(SKIP_3) | instid1(VALU_DEP_1)
	v_add_nc_u32_e32 v23, v23, v125
	ds_swizzle_b32 v125, v23 offset:swizzle(BROADCAST,32,15)
	s_waitcnt lgkmcnt(0)
	v_cndmask_b32_e64 v125, v125, 0, s10
	v_add_nc_u32_e32 v23, v23, v125
	s_and_saveexec_b32 s17, s3
	s_cbranch_execz .LBB430_606
; %bb.605:                              ;   in Loop: Header=BB430_574 Depth=2
	ds_store_b32 v38, v23 offset:1024
.LBB430_606:                            ;   in Loop: Header=BB430_574 Depth=2
	s_or_b32 exec_lo, exec_lo, s17
	s_waitcnt lgkmcnt(0)
	s_barrier
	buffer_gl0_inv
	s_and_saveexec_b32 s17, s4
	s_cbranch_execz .LBB430_608
; %bb.607:                              ;   in Loop: Header=BB430_574 Depth=2
	v_add_nc_u32_e32 v125, v46, v48
	ds_load_b32 v126, v125 offset:1024
	s_waitcnt lgkmcnt(0)
	v_mov_b32_dpp v127, v126 row_shr:1 row_mask:0xf bank_mask:0xf
	s_delay_alu instid0(VALU_DEP_1) | instskip(NEXT) | instid1(VALU_DEP_1)
	v_cndmask_b32_e64 v127, v127, 0, s12
	v_add_nc_u32_e32 v126, v127, v126
	s_delay_alu instid0(VALU_DEP_1) | instskip(NEXT) | instid1(VALU_DEP_1)
	v_mov_b32_dpp v127, v126 row_shr:2 row_mask:0xf bank_mask:0xf
	v_cndmask_b32_e64 v127, 0, v127, s13
	s_delay_alu instid0(VALU_DEP_1) | instskip(NEXT) | instid1(VALU_DEP_1)
	v_add_nc_u32_e32 v126, v126, v127
	v_mov_b32_dpp v127, v126 row_shr:4 row_mask:0xf bank_mask:0xf
	s_delay_alu instid0(VALU_DEP_1) | instskip(NEXT) | instid1(VALU_DEP_1)
	v_cndmask_b32_e64 v127, 0, v127, s16
	v_add_nc_u32_e32 v126, v126, v127
	ds_store_b32 v125, v126 offset:1024
.LBB430_608:                            ;   in Loop: Header=BB430_574 Depth=2
	s_or_b32 exec_lo, exec_lo, s17
	v_mov_b32_e32 v125, 0
	s_waitcnt lgkmcnt(0)
	s_barrier
	buffer_gl0_inv
	s_and_saveexec_b32 s17, s5
	s_cbranch_execz .LBB430_610
; %bb.609:                              ;   in Loop: Header=BB430_574 Depth=2
	ds_load_b32 v125, v38 offset:1020
.LBB430_610:                            ;   in Loop: Header=BB430_574 Depth=2
	s_or_b32 exec_lo, exec_lo, s17
	s_waitcnt lgkmcnt(0)
	v_add_nc_u32_e32 v23, v125, v23
	ds_bpermute_b32 v23, v69, v23
	s_waitcnt lgkmcnt(0)
	v_cndmask_b32_e64 v23, v23, v125, s11
	s_delay_alu instid0(VALU_DEP_1) | instskip(NEXT) | instid1(VALU_DEP_1)
	v_cndmask_b32_e64 v23, v23, 0, s6
	v_add_nc_u32_e32 v124, v23, v124
	s_delay_alu instid0(VALU_DEP_1) | instskip(NEXT) | instid1(VALU_DEP_1)
	v_add_nc_u32_e32 v26, v124, v26
	v_add_nc_u32_e32 v27, v26, v27
	s_delay_alu instid0(VALU_DEP_1) | instskip(NEXT) | instid1(VALU_DEP_1)
	v_add_nc_u32_e32 v24, v27, v24
	;; [unrolled: 3-line block ×3, first 2 shown]
	v_add_nc_u32_e32 v21, v20, v21
	s_delay_alu instid0(VALU_DEP_1)
	v_add_nc_u32_e32 v22, v21, v22
	ds_store_b32 v46, v23 offset:1056
	ds_store_2addr_b32 v47, v124, v26 offset0:1 offset1:2
	ds_store_2addr_b32 v47, v27, v24 offset0:3 offset1:4
	;; [unrolled: 1-line block ×4, first 2 shown]
	v_mov_b32_e32 v22, 0x800
	s_waitcnt lgkmcnt(0)
	s_barrier
	buffer_gl0_inv
	ds_load_b32 v20, v100
	ds_load_b32 v21, v104
	;; [unrolled: 1-line block ×8, first 2 shown]
	ds_load_b32 v27, v46 offset:1056
	s_and_saveexec_b32 s17, s7
	s_cbranch_execz .LBB430_612
; %bb.611:                              ;   in Loop: Header=BB430_574 Depth=2
	ds_load_b32 v22, v49 offset:1056
.LBB430_612:                            ;   in Loop: Header=BB430_574 Depth=2
	s_or_b32 exec_lo, exec_lo, s17
	s_waitcnt lgkmcnt(0)
	s_barrier
	buffer_gl0_inv
	s_and_saveexec_b32 s17, s2
	s_cbranch_execz .LBB430_614
; %bb.613:                              ;   in Loop: Header=BB430_574 Depth=2
	ds_load_b32 v96, v28
	s_waitcnt lgkmcnt(0)
	v_sub_nc_u32_e32 v27, v96, v27
	ds_store_b32 v28, v27
.LBB430_614:                            ;   in Loop: Header=BB430_574 Depth=2
	s_or_b32 exec_lo, exec_lo, s17
	v_add_nc_u32_e32 v100, v26, v94
	v_add3_u32 v96, v98, v97, v20
	v_add3_u32 v94, v102, v101, v21
	;; [unrolled: 1-line block ×7, first 2 shown]
	v_cmp_lt_u32_e64 s23, v1, v2
	ds_store_b8 v100, v93 offset:1024
	ds_store_b8 v96, v95 offset:1024
	;; [unrolled: 1-line block ×8, first 2 shown]
	s_waitcnt lgkmcnt(0)
	s_barrier
	buffer_gl0_inv
	s_and_saveexec_b32 s17, s23
	s_cbranch_execz .LBB430_622
; %bb.615:                              ;   in Loop: Header=BB430_574 Depth=2
	ds_load_u8 v20, v1 offset:1024
	s_waitcnt lgkmcnt(0)
	v_and_b32_e32 v21, 0xff, v20
	v_xor_b32_e32 v20, 0x80, v20
	s_delay_alu instid0(VALU_DEP_2) | instskip(NEXT) | instid1(VALU_DEP_1)
	v_lshrrev_b32_e32 v21, s49, v21
	v_and_b32_e32 v21, s31, v21
	s_delay_alu instid0(VALU_DEP_1)
	v_lshlrev_b32_e32 v21, 2, v21
	ds_load_b32 v21, v21
	s_waitcnt lgkmcnt(0)
	v_add_nc_u32_e32 v21, v21, v1
	global_store_b8 v21, v20, s[40:41]
	s_or_b32 exec_lo, exec_lo, s17
	v_cmp_lt_u32_e64 s22, v29, v2
	s_delay_alu instid0(VALU_DEP_1)
	s_and_saveexec_b32 s17, s22
	s_cbranch_execnz .LBB430_623
.LBB430_616:                            ;   in Loop: Header=BB430_574 Depth=2
	s_or_b32 exec_lo, exec_lo, s17
	v_cmp_lt_u32_e64 s21, v30, v2
	s_delay_alu instid0(VALU_DEP_1)
	s_and_saveexec_b32 s17, s21
	s_cbranch_execz .LBB430_624
.LBB430_617:                            ;   in Loop: Header=BB430_574 Depth=2
	ds_load_u8 v20, v35 offset:512
	s_waitcnt lgkmcnt(0)
	v_and_b32_e32 v21, 0xff, v20
	v_xor_b32_e32 v20, 0x80, v20
	s_delay_alu instid0(VALU_DEP_2) | instskip(NEXT) | instid1(VALU_DEP_1)
	v_lshrrev_b32_e32 v21, s49, v21
	v_and_b32_e32 v21, s31, v21
	s_delay_alu instid0(VALU_DEP_1)
	v_lshlrev_b32_e32 v21, 2, v21
	ds_load_b32 v21, v21
	s_waitcnt lgkmcnt(0)
	v_add_nc_u32_e32 v21, v21, v30
	global_store_b8 v21, v20, s[40:41]
	s_or_b32 exec_lo, exec_lo, s17
	v_cmp_lt_u32_e64 s20, v31, v2
	s_delay_alu instid0(VALU_DEP_1)
	s_and_saveexec_b32 s17, s20
	s_cbranch_execnz .LBB430_625
.LBB430_618:                            ;   in Loop: Header=BB430_574 Depth=2
	s_or_b32 exec_lo, exec_lo, s17
	v_cmp_lt_u32_e64 s19, v35, v2
	s_delay_alu instid0(VALU_DEP_1)
	s_and_saveexec_b32 s17, s19
	s_cbranch_execz .LBB430_626
.LBB430_619:                            ;   in Loop: Header=BB430_574 Depth=2
	ds_load_u8 v20, v35 offset:1024
	s_waitcnt lgkmcnt(0)
	v_and_b32_e32 v21, 0xff, v20
	v_xor_b32_e32 v20, 0x80, v20
	s_delay_alu instid0(VALU_DEP_2) | instskip(NEXT) | instid1(VALU_DEP_1)
	v_lshrrev_b32_e32 v21, s49, v21
	v_and_b32_e32 v21, s31, v21
	s_delay_alu instid0(VALU_DEP_1)
	v_lshlrev_b32_e32 v21, 2, v21
	ds_load_b32 v21, v21
	s_waitcnt lgkmcnt(0)
	v_add_nc_u32_e32 v21, v21, v35
	global_store_b8 v21, v20, s[40:41]
	s_or_b32 exec_lo, exec_lo, s17
	v_cmp_lt_u32_e64 s18, v36, v2
	s_delay_alu instid0(VALU_DEP_1)
	s_and_saveexec_b32 s17, s18
	s_cbranch_execnz .LBB430_627
.LBB430_620:                            ;   in Loop: Header=BB430_574 Depth=2
	s_or_b32 exec_lo, exec_lo, s17
	v_cmp_lt_u32_e64 s17, v37, v2
	s_delay_alu instid0(VALU_DEP_1)
	s_and_saveexec_b32 s43, s17
	s_cbranch_execz .LBB430_628
.LBB430_621:                            ;   in Loop: Header=BB430_574 Depth=2
	ds_load_u8 v20, v35 offset:1536
	s_waitcnt lgkmcnt(0)
	v_and_b32_e32 v21, 0xff, v20
	v_xor_b32_e32 v20, 0x80, v20
	s_delay_alu instid0(VALU_DEP_2) | instskip(NEXT) | instid1(VALU_DEP_1)
	v_lshrrev_b32_e32 v21, s49, v21
	v_and_b32_e32 v21, s31, v21
	s_delay_alu instid0(VALU_DEP_1)
	v_lshlrev_b32_e32 v21, 2, v21
	ds_load_b32 v21, v21
	s_waitcnt lgkmcnt(0)
	v_add_nc_u32_e32 v21, v21, v37
	global_store_b8 v21, v20, s[40:41]
	s_or_b32 exec_lo, exec_lo, s43
	v_cmp_lt_u32_e32 vcc_lo, v39, v2
	s_and_saveexec_b32 s43, vcc_lo
	s_cbranch_execnz .LBB430_629
	s_branch .LBB430_630
.LBB430_622:                            ;   in Loop: Header=BB430_574 Depth=2
	s_or_b32 exec_lo, exec_lo, s17
	v_cmp_lt_u32_e64 s22, v29, v2
	s_delay_alu instid0(VALU_DEP_1)
	s_and_saveexec_b32 s17, s22
	s_cbranch_execz .LBB430_616
.LBB430_623:                            ;   in Loop: Header=BB430_574 Depth=2
	ds_load_u8 v20, v35 offset:256
	s_waitcnt lgkmcnt(0)
	v_and_b32_e32 v21, 0xff, v20
	v_xor_b32_e32 v20, 0x80, v20
	s_delay_alu instid0(VALU_DEP_2) | instskip(NEXT) | instid1(VALU_DEP_1)
	v_lshrrev_b32_e32 v21, s49, v21
	v_and_b32_e32 v21, s31, v21
	s_delay_alu instid0(VALU_DEP_1)
	v_lshlrev_b32_e32 v21, 2, v21
	ds_load_b32 v21, v21
	s_waitcnt lgkmcnt(0)
	v_add_nc_u32_e32 v21, v21, v29
	global_store_b8 v21, v20, s[40:41]
	s_or_b32 exec_lo, exec_lo, s17
	v_cmp_lt_u32_e64 s21, v30, v2
	s_delay_alu instid0(VALU_DEP_1)
	s_and_saveexec_b32 s17, s21
	s_cbranch_execnz .LBB430_617
.LBB430_624:                            ;   in Loop: Header=BB430_574 Depth=2
	s_or_b32 exec_lo, exec_lo, s17
	v_cmp_lt_u32_e64 s20, v31, v2
	s_delay_alu instid0(VALU_DEP_1)
	s_and_saveexec_b32 s17, s20
	s_cbranch_execz .LBB430_618
.LBB430_625:                            ;   in Loop: Header=BB430_574 Depth=2
	ds_load_u8 v20, v35 offset:768
	s_waitcnt lgkmcnt(0)
	v_and_b32_e32 v21, 0xff, v20
	v_xor_b32_e32 v20, 0x80, v20
	s_delay_alu instid0(VALU_DEP_2) | instskip(NEXT) | instid1(VALU_DEP_1)
	v_lshrrev_b32_e32 v21, s49, v21
	v_and_b32_e32 v21, s31, v21
	s_delay_alu instid0(VALU_DEP_1)
	v_lshlrev_b32_e32 v21, 2, v21
	ds_load_b32 v21, v21
	s_waitcnt lgkmcnt(0)
	v_add_nc_u32_e32 v21, v21, v31
	global_store_b8 v21, v20, s[40:41]
	s_or_b32 exec_lo, exec_lo, s17
	v_cmp_lt_u32_e64 s19, v35, v2
	s_delay_alu instid0(VALU_DEP_1)
	s_and_saveexec_b32 s17, s19
	s_cbranch_execnz .LBB430_619
.LBB430_626:                            ;   in Loop: Header=BB430_574 Depth=2
	s_or_b32 exec_lo, exec_lo, s17
	v_cmp_lt_u32_e64 s18, v36, v2
	s_delay_alu instid0(VALU_DEP_1)
	s_and_saveexec_b32 s17, s18
	s_cbranch_execz .LBB430_620
.LBB430_627:                            ;   in Loop: Header=BB430_574 Depth=2
	ds_load_u8 v20, v35 offset:1280
	s_waitcnt lgkmcnt(0)
	v_and_b32_e32 v21, 0xff, v20
	v_xor_b32_e32 v20, 0x80, v20
	s_delay_alu instid0(VALU_DEP_2) | instskip(NEXT) | instid1(VALU_DEP_1)
	v_lshrrev_b32_e32 v21, s49, v21
	v_and_b32_e32 v21, s31, v21
	s_delay_alu instid0(VALU_DEP_1)
	v_lshlrev_b32_e32 v21, 2, v21
	ds_load_b32 v21, v21
	s_waitcnt lgkmcnt(0)
	v_add_nc_u32_e32 v21, v21, v36
	global_store_b8 v21, v20, s[40:41]
	s_or_b32 exec_lo, exec_lo, s17
	v_cmp_lt_u32_e64 s17, v37, v2
	s_delay_alu instid0(VALU_DEP_1)
	s_and_saveexec_b32 s43, s17
	s_cbranch_execnz .LBB430_621
.LBB430_628:                            ;   in Loop: Header=BB430_574 Depth=2
	s_or_b32 exec_lo, exec_lo, s43
	v_cmp_lt_u32_e32 vcc_lo, v39, v2
	s_and_saveexec_b32 s43, vcc_lo
	s_cbranch_execz .LBB430_630
.LBB430_629:                            ;   in Loop: Header=BB430_574 Depth=2
	ds_load_u8 v20, v35 offset:1792
	s_waitcnt lgkmcnt(0)
	v_and_b32_e32 v21, 0xff, v20
	v_xor_b32_e32 v20, 0x80, v20
	s_delay_alu instid0(VALU_DEP_2) | instskip(NEXT) | instid1(VALU_DEP_1)
	v_lshrrev_b32_e32 v21, s49, v21
	v_and_b32_e32 v21, s31, v21
	s_delay_alu instid0(VALU_DEP_1)
	v_lshlrev_b32_e32 v21, 2, v21
	ds_load_b32 v21, v21
	s_waitcnt lgkmcnt(0)
	v_add_nc_u32_e32 v21, v21, v39
	global_store_b8 v21, v20, s[40:41]
.LBB430_630:                            ;   in Loop: Header=BB430_574 Depth=2
	s_or_b32 exec_lo, exec_lo, s43
	s_lshl_b64 s[52:53], s[24:25], 3
	s_delay_alu instid0(SALU_CYCLE_1) | instskip(NEXT) | instid1(VALU_DEP_1)
	v_add_co_u32 v20, s24, v73, s52
	v_add_co_ci_u32_e64 v21, s24, s53, v74, s24
	v_cmp_lt_u32_e64 s24, v70, v2
	s_delay_alu instid0(VALU_DEP_1) | instskip(NEXT) | instid1(SALU_CYCLE_1)
	s_and_saveexec_b32 s43, s24
	s_xor_b32 s24, exec_lo, s43
	s_cbranch_execz .LBB430_646
; %bb.631:                              ;   in Loop: Header=BB430_574 Depth=2
	global_load_b64 v[18:19], v[20:21], off
	s_or_b32 exec_lo, exec_lo, s24
	s_delay_alu instid0(SALU_CYCLE_1)
	s_mov_b32 s43, exec_lo
	v_cmpx_lt_u32_e64 v75, v2
	s_cbranch_execnz .LBB430_647
.LBB430_632:                            ;   in Loop: Header=BB430_574 Depth=2
	s_or_b32 exec_lo, exec_lo, s43
	s_delay_alu instid0(SALU_CYCLE_1)
	s_mov_b32 s43, exec_lo
	v_cmpx_lt_u32_e64 v76, v2
	s_cbranch_execz .LBB430_648
.LBB430_633:                            ;   in Loop: Header=BB430_574 Depth=2
	global_load_b64 v[14:15], v[20:21], off offset:512
	s_or_b32 exec_lo, exec_lo, s43
	s_delay_alu instid0(SALU_CYCLE_1)
	s_mov_b32 s43, exec_lo
	v_cmpx_lt_u32_e64 v77, v2
	s_cbranch_execnz .LBB430_649
.LBB430_634:                            ;   in Loop: Header=BB430_574 Depth=2
	s_or_b32 exec_lo, exec_lo, s43
	s_delay_alu instid0(SALU_CYCLE_1)
	s_mov_b32 s43, exec_lo
	v_cmpx_lt_u32_e64 v78, v2
	s_cbranch_execz .LBB430_650
.LBB430_635:                            ;   in Loop: Header=BB430_574 Depth=2
	global_load_b64 v[10:11], v[20:21], off offset:1024
	s_or_b32 exec_lo, exec_lo, s43
	s_delay_alu instid0(SALU_CYCLE_1)
	s_mov_b32 s43, exec_lo
	v_cmpx_lt_u32_e64 v79, v2
	s_cbranch_execnz .LBB430_651
.LBB430_636:                            ;   in Loop: Header=BB430_574 Depth=2
	s_or_b32 exec_lo, exec_lo, s43
	s_delay_alu instid0(SALU_CYCLE_1)
	s_mov_b32 s43, exec_lo
	v_cmpx_lt_u32_e64 v80, v2
	s_cbranch_execz .LBB430_652
.LBB430_637:                            ;   in Loop: Header=BB430_574 Depth=2
	global_load_b64 v[6:7], v[20:21], off offset:1536
	s_or_b32 exec_lo, exec_lo, s43
	s_delay_alu instid0(SALU_CYCLE_1)
	s_mov_b32 s43, exec_lo
	v_cmpx_lt_u32_e64 v81, v2
	s_cbranch_execnz .LBB430_653
.LBB430_638:                            ;   in Loop: Header=BB430_574 Depth=2
	s_or_b32 exec_lo, exec_lo, s43
	s_and_saveexec_b32 s24, s23
	s_cbranch_execz .LBB430_654
.LBB430_639:                            ;   in Loop: Header=BB430_574 Depth=2
	ds_load_u8 v2, v1 offset:1024
	s_waitcnt lgkmcnt(0)
	v_lshrrev_b32_e32 v2, s49, v2
	s_delay_alu instid0(VALU_DEP_1)
	v_and_b32_e32 v92, s31, v2
	s_or_b32 exec_lo, exec_lo, s24
	s_and_saveexec_b32 s24, s22
	s_cbranch_execnz .LBB430_655
.LBB430_640:                            ;   in Loop: Header=BB430_574 Depth=2
	s_or_b32 exec_lo, exec_lo, s24
	s_and_saveexec_b32 s24, s21
	s_cbranch_execz .LBB430_656
.LBB430_641:                            ;   in Loop: Header=BB430_574 Depth=2
	ds_load_u8 v2, v35 offset:512
	s_waitcnt lgkmcnt(0)
	v_lshrrev_b32_e32 v2, s49, v2
	s_delay_alu instid0(VALU_DEP_1)
	v_and_b32_e32 v90, s31, v2
	s_or_b32 exec_lo, exec_lo, s24
	s_and_saveexec_b32 s24, s20
	s_cbranch_execnz .LBB430_657
.LBB430_642:                            ;   in Loop: Header=BB430_574 Depth=2
	s_or_b32 exec_lo, exec_lo, s24
	s_and_saveexec_b32 s24, s19
	s_cbranch_execz .LBB430_658
.LBB430_643:                            ;   in Loop: Header=BB430_574 Depth=2
	ds_load_u8 v2, v35 offset:1024
	s_waitcnt lgkmcnt(0)
	v_lshrrev_b32_e32 v2, s49, v2
	s_delay_alu instid0(VALU_DEP_1)
	v_and_b32_e32 v88, s31, v2
	s_or_b32 exec_lo, exec_lo, s24
	s_and_saveexec_b32 s24, s18
	s_cbranch_execnz .LBB430_659
.LBB430_644:                            ;   in Loop: Header=BB430_574 Depth=2
	s_or_b32 exec_lo, exec_lo, s24
	s_and_saveexec_b32 s24, s17
	s_cbranch_execz .LBB430_660
.LBB430_645:                            ;   in Loop: Header=BB430_574 Depth=2
	ds_load_u8 v2, v35 offset:1536
	s_waitcnt lgkmcnt(0)
	v_lshrrev_b32_e32 v2, s49, v2
	s_delay_alu instid0(VALU_DEP_1)
	v_and_b32_e32 v86, s31, v2
	s_or_b32 exec_lo, exec_lo, s24
	s_and_saveexec_b32 s24, vcc_lo
	s_cbranch_execnz .LBB430_661
	s_branch .LBB430_662
.LBB430_646:                            ;   in Loop: Header=BB430_574 Depth=2
	s_or_b32 exec_lo, exec_lo, s24
	s_delay_alu instid0(SALU_CYCLE_1)
	s_mov_b32 s43, exec_lo
	v_cmpx_lt_u32_e64 v75, v2
	s_cbranch_execz .LBB430_632
.LBB430_647:                            ;   in Loop: Header=BB430_574 Depth=2
	global_load_b64 v[16:17], v[20:21], off offset:256
	s_or_b32 exec_lo, exec_lo, s43
	s_delay_alu instid0(SALU_CYCLE_1)
	s_mov_b32 s43, exec_lo
	v_cmpx_lt_u32_e64 v76, v2
	s_cbranch_execnz .LBB430_633
.LBB430_648:                            ;   in Loop: Header=BB430_574 Depth=2
	s_or_b32 exec_lo, exec_lo, s43
	s_delay_alu instid0(SALU_CYCLE_1)
	s_mov_b32 s43, exec_lo
	v_cmpx_lt_u32_e64 v77, v2
	s_cbranch_execz .LBB430_634
.LBB430_649:                            ;   in Loop: Header=BB430_574 Depth=2
	global_load_b64 v[12:13], v[20:21], off offset:768
	s_or_b32 exec_lo, exec_lo, s43
	s_delay_alu instid0(SALU_CYCLE_1)
	s_mov_b32 s43, exec_lo
	v_cmpx_lt_u32_e64 v78, v2
	s_cbranch_execnz .LBB430_635
.LBB430_650:                            ;   in Loop: Header=BB430_574 Depth=2
	s_or_b32 exec_lo, exec_lo, s43
	s_delay_alu instid0(SALU_CYCLE_1)
	s_mov_b32 s43, exec_lo
	v_cmpx_lt_u32_e64 v79, v2
	s_cbranch_execz .LBB430_636
.LBB430_651:                            ;   in Loop: Header=BB430_574 Depth=2
	global_load_b64 v[8:9], v[20:21], off offset:1280
	s_or_b32 exec_lo, exec_lo, s43
	s_delay_alu instid0(SALU_CYCLE_1)
	s_mov_b32 s43, exec_lo
	v_cmpx_lt_u32_e64 v80, v2
	s_cbranch_execnz .LBB430_637
.LBB430_652:                            ;   in Loop: Header=BB430_574 Depth=2
	s_or_b32 exec_lo, exec_lo, s43
	s_delay_alu instid0(SALU_CYCLE_1)
	s_mov_b32 s43, exec_lo
	v_cmpx_lt_u32_e64 v81, v2
	s_cbranch_execz .LBB430_638
.LBB430_653:                            ;   in Loop: Header=BB430_574 Depth=2
	global_load_b64 v[4:5], v[20:21], off offset:1792
	s_or_b32 exec_lo, exec_lo, s43
	s_and_saveexec_b32 s24, s23
	s_cbranch_execnz .LBB430_639
.LBB430_654:                            ;   in Loop: Header=BB430_574 Depth=2
	s_or_b32 exec_lo, exec_lo, s24
	s_and_saveexec_b32 s24, s22
	s_cbranch_execz .LBB430_640
.LBB430_655:                            ;   in Loop: Header=BB430_574 Depth=2
	ds_load_u8 v2, v35 offset:256
	s_waitcnt lgkmcnt(0)
	v_lshrrev_b32_e32 v2, s49, v2
	s_delay_alu instid0(VALU_DEP_1)
	v_and_b32_e32 v91, s31, v2
	s_or_b32 exec_lo, exec_lo, s24
	s_and_saveexec_b32 s24, s21
	s_cbranch_execnz .LBB430_641
.LBB430_656:                            ;   in Loop: Header=BB430_574 Depth=2
	s_or_b32 exec_lo, exec_lo, s24
	s_and_saveexec_b32 s24, s20
	s_cbranch_execz .LBB430_642
.LBB430_657:                            ;   in Loop: Header=BB430_574 Depth=2
	ds_load_u8 v2, v35 offset:768
	s_waitcnt lgkmcnt(0)
	v_lshrrev_b32_e32 v2, s49, v2
	s_delay_alu instid0(VALU_DEP_1)
	v_and_b32_e32 v89, s31, v2
	s_or_b32 exec_lo, exec_lo, s24
	s_and_saveexec_b32 s24, s19
	s_cbranch_execnz .LBB430_643
.LBB430_658:                            ;   in Loop: Header=BB430_574 Depth=2
	s_or_b32 exec_lo, exec_lo, s24
	s_and_saveexec_b32 s24, s18
	s_cbranch_execz .LBB430_644
.LBB430_659:                            ;   in Loop: Header=BB430_574 Depth=2
	ds_load_u8 v2, v35 offset:1280
	s_waitcnt lgkmcnt(0)
	v_lshrrev_b32_e32 v2, s49, v2
	s_delay_alu instid0(VALU_DEP_1)
	v_and_b32_e32 v87, s31, v2
	s_or_b32 exec_lo, exec_lo, s24
	s_and_saveexec_b32 s24, s17
	s_cbranch_execnz .LBB430_645
.LBB430_660:                            ;   in Loop: Header=BB430_574 Depth=2
	s_or_b32 exec_lo, exec_lo, s24
	s_and_saveexec_b32 s24, vcc_lo
	s_cbranch_execz .LBB430_662
.LBB430_661:                            ;   in Loop: Header=BB430_574 Depth=2
	ds_load_u8 v2, v35 offset:1792
	s_waitcnt lgkmcnt(0)
	v_lshrrev_b32_e32 v2, s49, v2
	s_delay_alu instid0(VALU_DEP_1)
	v_and_b32_e32 v85, s31, v2
.LBB430_662:                            ;   in Loop: Header=BB430_574 Depth=2
	s_or_b32 exec_lo, exec_lo, s24
	v_lshlrev_b32_e32 v2, 3, v100
	v_lshlrev_b32_e32 v20, 3, v96
	;; [unrolled: 1-line block ×3, first 2 shown]
	s_waitcnt vmcnt(0)
	s_waitcnt_vscnt null, 0x0
	s_barrier
	buffer_gl0_inv
	ds_store_b64 v2, v[18:19] offset:1024
	ds_store_b64 v20, v[16:17] offset:1024
	;; [unrolled: 1-line block ×3, first 2 shown]
	v_lshlrev_b32_e32 v2, 3, v27
	v_lshlrev_b32_e32 v20, 3, v26
	;; [unrolled: 1-line block ×5, first 2 shown]
	ds_store_b64 v2, v[12:13] offset:1024
	ds_store_b64 v20, v[10:11] offset:1024
	ds_store_b64 v21, v[8:9] offset:1024
	ds_store_b64 v24, v[6:7] offset:1024
	ds_store_b64 v23, v[4:5] offset:1024
	s_waitcnt lgkmcnt(0)
	s_barrier
	buffer_gl0_inv
	s_and_saveexec_b32 s24, s23
	s_cbranch_execz .LBB430_670
; %bb.663:                              ;   in Loop: Header=BB430_574 Depth=2
	v_lshlrev_b32_e32 v2, 2, v92
	v_add_nc_u32_e32 v20, v1, v52
	ds_load_b32 v2, v2
	ds_load_b64 v[20:21], v20 offset:1024
	s_waitcnt lgkmcnt(1)
	v_add_nc_u32_e32 v2, v2, v1
	s_delay_alu instid0(VALU_DEP_1) | instskip(NEXT) | instid1(VALU_DEP_1)
	v_lshlrev_b64 v[23:24], 3, v[2:3]
	v_add_co_u32 v23, s23, s46, v23
	s_delay_alu instid0(VALU_DEP_1)
	v_add_co_ci_u32_e64 v24, s23, s47, v24, s23
	s_waitcnt lgkmcnt(0)
	global_store_b64 v[23:24], v[20:21], off
	s_or_b32 exec_lo, exec_lo, s24
	v_add_nc_u32_e32 v20, v35, v52
	s_and_saveexec_b32 s23, s22
	s_cbranch_execnz .LBB430_671
.LBB430_664:                            ;   in Loop: Header=BB430_574 Depth=2
	s_or_b32 exec_lo, exec_lo, s23
	s_and_saveexec_b32 s22, s21
	s_cbranch_execz .LBB430_672
.LBB430_665:                            ;   in Loop: Header=BB430_574 Depth=2
	v_lshlrev_b32_e32 v2, 2, v90
	ds_load_b32 v2, v2
	ds_load_b64 v[23:24], v20 offset:4096
	s_waitcnt lgkmcnt(1)
	v_add_nc_u32_e32 v2, v2, v30
	s_delay_alu instid0(VALU_DEP_1) | instskip(NEXT) | instid1(VALU_DEP_1)
	v_lshlrev_b64 v[25:26], 3, v[2:3]
	v_add_co_u32 v25, s21, s46, v25
	s_delay_alu instid0(VALU_DEP_1)
	v_add_co_ci_u32_e64 v26, s21, s47, v26, s21
	s_waitcnt lgkmcnt(0)
	global_store_b64 v[25:26], v[23:24], off
	s_or_b32 exec_lo, exec_lo, s22
	s_and_saveexec_b32 s21, s20
	s_cbranch_execnz .LBB430_673
.LBB430_666:                            ;   in Loop: Header=BB430_574 Depth=2
	s_or_b32 exec_lo, exec_lo, s21
	s_and_saveexec_b32 s20, s19
	s_cbranch_execz .LBB430_674
.LBB430_667:                            ;   in Loop: Header=BB430_574 Depth=2
	v_lshlrev_b32_e32 v2, 2, v88
	ds_load_b32 v2, v2
	ds_load_b64 v[23:24], v20 offset:8192
	s_waitcnt lgkmcnt(1)
	v_add_nc_u32_e32 v2, v2, v35
	s_delay_alu instid0(VALU_DEP_1) | instskip(NEXT) | instid1(VALU_DEP_1)
	v_lshlrev_b64 v[25:26], 3, v[2:3]
	v_add_co_u32 v25, s19, s46, v25
	s_delay_alu instid0(VALU_DEP_1)
	v_add_co_ci_u32_e64 v26, s19, s47, v26, s19
	s_waitcnt lgkmcnt(0)
	global_store_b64 v[25:26], v[23:24], off
	s_or_b32 exec_lo, exec_lo, s20
	s_and_saveexec_b32 s19, s18
	s_cbranch_execnz .LBB430_675
.LBB430_668:                            ;   in Loop: Header=BB430_574 Depth=2
	s_or_b32 exec_lo, exec_lo, s19
	s_and_saveexec_b32 s18, s17
	s_cbranch_execz .LBB430_676
.LBB430_669:                            ;   in Loop: Header=BB430_574 Depth=2
	v_lshlrev_b32_e32 v2, 2, v86
	ds_load_b32 v2, v2
	ds_load_b64 v[23:24], v20 offset:12288
	s_waitcnt lgkmcnt(1)
	v_add_nc_u32_e32 v2, v2, v37
	s_delay_alu instid0(VALU_DEP_1) | instskip(NEXT) | instid1(VALU_DEP_1)
	v_lshlrev_b64 v[25:26], 3, v[2:3]
	v_add_co_u32 v25, s17, s46, v25
	s_delay_alu instid0(VALU_DEP_1)
	v_add_co_ci_u32_e64 v26, s17, s47, v26, s17
	s_waitcnt lgkmcnt(0)
	global_store_b64 v[25:26], v[23:24], off
	s_or_b32 exec_lo, exec_lo, s18
	s_and_saveexec_b32 s17, vcc_lo
	s_cbranch_execnz .LBB430_677
	s_branch .LBB430_678
.LBB430_670:                            ;   in Loop: Header=BB430_574 Depth=2
	s_or_b32 exec_lo, exec_lo, s24
	v_add_nc_u32_e32 v20, v35, v52
	s_and_saveexec_b32 s23, s22
	s_cbranch_execz .LBB430_664
.LBB430_671:                            ;   in Loop: Header=BB430_574 Depth=2
	v_lshlrev_b32_e32 v2, 2, v91
	ds_load_b32 v2, v2
	ds_load_b64 v[23:24], v20 offset:2048
	s_waitcnt lgkmcnt(1)
	v_add_nc_u32_e32 v2, v2, v29
	s_delay_alu instid0(VALU_DEP_1) | instskip(NEXT) | instid1(VALU_DEP_1)
	v_lshlrev_b64 v[25:26], 3, v[2:3]
	v_add_co_u32 v25, s22, s46, v25
	s_delay_alu instid0(VALU_DEP_1)
	v_add_co_ci_u32_e64 v26, s22, s47, v26, s22
	s_waitcnt lgkmcnt(0)
	global_store_b64 v[25:26], v[23:24], off
	s_or_b32 exec_lo, exec_lo, s23
	s_and_saveexec_b32 s22, s21
	s_cbranch_execnz .LBB430_665
.LBB430_672:                            ;   in Loop: Header=BB430_574 Depth=2
	s_or_b32 exec_lo, exec_lo, s22
	s_and_saveexec_b32 s21, s20
	s_cbranch_execz .LBB430_666
.LBB430_673:                            ;   in Loop: Header=BB430_574 Depth=2
	v_lshlrev_b32_e32 v2, 2, v89
	ds_load_b32 v2, v2
	ds_load_b64 v[23:24], v20 offset:6144
	s_waitcnt lgkmcnt(1)
	v_add_nc_u32_e32 v2, v2, v31
	s_delay_alu instid0(VALU_DEP_1) | instskip(NEXT) | instid1(VALU_DEP_1)
	v_lshlrev_b64 v[25:26], 3, v[2:3]
	v_add_co_u32 v25, s20, s46, v25
	s_delay_alu instid0(VALU_DEP_1)
	v_add_co_ci_u32_e64 v26, s20, s47, v26, s20
	s_waitcnt lgkmcnt(0)
	global_store_b64 v[25:26], v[23:24], off
	s_or_b32 exec_lo, exec_lo, s21
	s_and_saveexec_b32 s20, s19
	s_cbranch_execnz .LBB430_667
.LBB430_674:                            ;   in Loop: Header=BB430_574 Depth=2
	s_or_b32 exec_lo, exec_lo, s20
	s_and_saveexec_b32 s19, s18
	s_cbranch_execz .LBB430_668
.LBB430_675:                            ;   in Loop: Header=BB430_574 Depth=2
	v_lshlrev_b32_e32 v2, 2, v87
	ds_load_b32 v2, v2
	ds_load_b64 v[23:24], v20 offset:10240
	s_waitcnt lgkmcnt(1)
	v_add_nc_u32_e32 v2, v2, v36
	s_delay_alu instid0(VALU_DEP_1) | instskip(NEXT) | instid1(VALU_DEP_1)
	v_lshlrev_b64 v[25:26], 3, v[2:3]
	v_add_co_u32 v25, s18, s46, v25
	s_delay_alu instid0(VALU_DEP_1)
	v_add_co_ci_u32_e64 v26, s18, s47, v26, s18
	s_waitcnt lgkmcnt(0)
	global_store_b64 v[25:26], v[23:24], off
	s_or_b32 exec_lo, exec_lo, s19
	s_and_saveexec_b32 s18, s17
	s_cbranch_execnz .LBB430_669
.LBB430_676:                            ;   in Loop: Header=BB430_574 Depth=2
	s_or_b32 exec_lo, exec_lo, s18
	s_and_saveexec_b32 s17, vcc_lo
	s_cbranch_execz .LBB430_678
.LBB430_677:                            ;   in Loop: Header=BB430_574 Depth=2
	v_lshlrev_b32_e32 v2, 2, v85
	ds_load_b32 v2, v2
	ds_load_b64 v[20:21], v20 offset:14336
	s_waitcnt lgkmcnt(1)
	v_add_nc_u32_e32 v2, v2, v39
	s_delay_alu instid0(VALU_DEP_1) | instskip(NEXT) | instid1(VALU_DEP_1)
	v_lshlrev_b64 v[23:24], 3, v[2:3]
	v_add_co_u32 v23, vcc_lo, s46, v23
	s_delay_alu instid0(VALU_DEP_2)
	v_add_co_ci_u32_e32 v24, vcc_lo, s47, v24, vcc_lo
	s_waitcnt lgkmcnt(0)
	global_store_b64 v[23:24], v[20:21], off
.LBB430_678:                            ;   in Loop: Header=BB430_574 Depth=2
	s_or_b32 exec_lo, exec_lo, s17
	s_waitcnt_vscnt null, 0x0
	s_barrier
	buffer_gl0_inv
	s_and_saveexec_b32 s17, s2
	s_cbranch_execz .LBB430_573
; %bb.679:                              ;   in Loop: Header=BB430_574 Depth=2
	ds_load_b32 v2, v28
	s_waitcnt lgkmcnt(0)
	v_add_nc_u32_e32 v2, v2, v22
	ds_store_b32 v28, v2
	s_branch .LBB430_573
.LBB430_680:                            ;   in Loop: Header=BB430_574 Depth=2
	s_or_b32 exec_lo, exec_lo, s17
	s_delay_alu instid0(SALU_CYCLE_1)
	s_mov_b32 s17, exec_lo
	v_cmpx_gt_u32_e64 s35, v75
	s_cbranch_execz .LBB430_580
.LBB430_681:                            ;   in Loop: Header=BB430_574 Depth=2
	global_load_u8 v95, v[20:21], off offset:32
	s_or_b32 exec_lo, exec_lo, s17
	s_delay_alu instid0(SALU_CYCLE_1)
	s_mov_b32 s17, exec_lo
	v_cmpx_gt_u32_e64 s35, v76
	s_cbranch_execnz .LBB430_581
.LBB430_682:                            ;   in Loop: Header=BB430_574 Depth=2
	s_or_b32 exec_lo, exec_lo, s17
	s_delay_alu instid0(SALU_CYCLE_1)
	s_mov_b32 s17, exec_lo
	v_cmpx_gt_u32_e64 s35, v77
	s_cbranch_execz .LBB430_582
.LBB430_683:                            ;   in Loop: Header=BB430_574 Depth=2
	global_load_u8 v26, v[20:21], off offset:96
	s_or_b32 exec_lo, exec_lo, s17
	s_delay_alu instid0(SALU_CYCLE_1)
	s_mov_b32 s17, exec_lo
	v_cmpx_gt_u32_e64 s35, v78
	s_cbranch_execnz .LBB430_583
.LBB430_684:                            ;   in Loop: Header=BB430_574 Depth=2
	s_or_b32 exec_lo, exec_lo, s17
	s_delay_alu instid0(SALU_CYCLE_1)
	s_mov_b32 s17, exec_lo
	v_cmpx_gt_u32_e64 s35, v79
	s_cbranch_execz .LBB430_584
.LBB430_685:                            ;   in Loop: Header=BB430_574 Depth=2
	global_load_u8 v24, v[20:21], off offset:160
	s_or_b32 exec_lo, exec_lo, s17
	s_delay_alu instid0(SALU_CYCLE_1)
	s_mov_b32 s17, exec_lo
	v_cmpx_gt_u32_e64 s35, v80
	s_cbranch_execnz .LBB430_585
	s_branch .LBB430_586
.LBB430_686:
	s_endpgm
	.section	.rodata,"a",@progbits
	.p2align	6, 0x0
	.amdhsa_kernel _ZN7rocprim17ROCPRIM_400000_NS6detail17trampoline_kernelINS0_14default_configENS1_36segmented_radix_sort_config_selectorIalEEZNS1_25segmented_radix_sort_implIS3_Lb0EPKaPaPKlPlN2at6native12_GLOBAL__N_18offset_tEEE10hipError_tPvRmT1_PNSt15iterator_traitsISK_E10value_typeET2_T3_PNSL_ISQ_E10value_typeET4_jRbjT5_SW_jjP12ihipStream_tbEUlT_E2_NS1_11comp_targetILNS1_3genE9ELNS1_11target_archE1100ELNS1_3gpuE3ELNS1_3repE0EEENS1_30default_config_static_selectorELNS0_4arch9wavefront6targetE0EEEvSK_
		.amdhsa_group_segment_fixed_size 17440
		.amdhsa_private_segment_fixed_size 0
		.amdhsa_kernarg_size 336
		.amdhsa_user_sgpr_count 14
		.amdhsa_user_sgpr_dispatch_ptr 0
		.amdhsa_user_sgpr_queue_ptr 0
		.amdhsa_user_sgpr_kernarg_segment_ptr 1
		.amdhsa_user_sgpr_dispatch_id 0
		.amdhsa_user_sgpr_private_segment_size 0
		.amdhsa_wavefront_size32 1
		.amdhsa_uses_dynamic_stack 0
		.amdhsa_enable_private_segment 0
		.amdhsa_system_sgpr_workgroup_id_x 1
		.amdhsa_system_sgpr_workgroup_id_y 1
		.amdhsa_system_sgpr_workgroup_id_z 0
		.amdhsa_system_sgpr_workgroup_info 0
		.amdhsa_system_vgpr_workitem_id 2
		.amdhsa_next_free_vgpr 183
		.amdhsa_next_free_sgpr 54
		.amdhsa_reserve_vcc 1
		.amdhsa_float_round_mode_32 0
		.amdhsa_float_round_mode_16_64 0
		.amdhsa_float_denorm_mode_32 3
		.amdhsa_float_denorm_mode_16_64 3
		.amdhsa_dx10_clamp 1
		.amdhsa_ieee_mode 1
		.amdhsa_fp16_overflow 0
		.amdhsa_workgroup_processor_mode 1
		.amdhsa_memory_ordered 1
		.amdhsa_forward_progress 0
		.amdhsa_shared_vgpr_count 0
		.amdhsa_exception_fp_ieee_invalid_op 0
		.amdhsa_exception_fp_denorm_src 0
		.amdhsa_exception_fp_ieee_div_zero 0
		.amdhsa_exception_fp_ieee_overflow 0
		.amdhsa_exception_fp_ieee_underflow 0
		.amdhsa_exception_fp_ieee_inexact 0
		.amdhsa_exception_int_div_zero 0
	.end_amdhsa_kernel
	.section	.text._ZN7rocprim17ROCPRIM_400000_NS6detail17trampoline_kernelINS0_14default_configENS1_36segmented_radix_sort_config_selectorIalEEZNS1_25segmented_radix_sort_implIS3_Lb0EPKaPaPKlPlN2at6native12_GLOBAL__N_18offset_tEEE10hipError_tPvRmT1_PNSt15iterator_traitsISK_E10value_typeET2_T3_PNSL_ISQ_E10value_typeET4_jRbjT5_SW_jjP12ihipStream_tbEUlT_E2_NS1_11comp_targetILNS1_3genE9ELNS1_11target_archE1100ELNS1_3gpuE3ELNS1_3repE0EEENS1_30default_config_static_selectorELNS0_4arch9wavefront6targetE0EEEvSK_,"axG",@progbits,_ZN7rocprim17ROCPRIM_400000_NS6detail17trampoline_kernelINS0_14default_configENS1_36segmented_radix_sort_config_selectorIalEEZNS1_25segmented_radix_sort_implIS3_Lb0EPKaPaPKlPlN2at6native12_GLOBAL__N_18offset_tEEE10hipError_tPvRmT1_PNSt15iterator_traitsISK_E10value_typeET2_T3_PNSL_ISQ_E10value_typeET4_jRbjT5_SW_jjP12ihipStream_tbEUlT_E2_NS1_11comp_targetILNS1_3genE9ELNS1_11target_archE1100ELNS1_3gpuE3ELNS1_3repE0EEENS1_30default_config_static_selectorELNS0_4arch9wavefront6targetE0EEEvSK_,comdat
.Lfunc_end430:
	.size	_ZN7rocprim17ROCPRIM_400000_NS6detail17trampoline_kernelINS0_14default_configENS1_36segmented_radix_sort_config_selectorIalEEZNS1_25segmented_radix_sort_implIS3_Lb0EPKaPaPKlPlN2at6native12_GLOBAL__N_18offset_tEEE10hipError_tPvRmT1_PNSt15iterator_traitsISK_E10value_typeET2_T3_PNSL_ISQ_E10value_typeET4_jRbjT5_SW_jjP12ihipStream_tbEUlT_E2_NS1_11comp_targetILNS1_3genE9ELNS1_11target_archE1100ELNS1_3gpuE3ELNS1_3repE0EEENS1_30default_config_static_selectorELNS0_4arch9wavefront6targetE0EEEvSK_, .Lfunc_end430-_ZN7rocprim17ROCPRIM_400000_NS6detail17trampoline_kernelINS0_14default_configENS1_36segmented_radix_sort_config_selectorIalEEZNS1_25segmented_radix_sort_implIS3_Lb0EPKaPaPKlPlN2at6native12_GLOBAL__N_18offset_tEEE10hipError_tPvRmT1_PNSt15iterator_traitsISK_E10value_typeET2_T3_PNSL_ISQ_E10value_typeET4_jRbjT5_SW_jjP12ihipStream_tbEUlT_E2_NS1_11comp_targetILNS1_3genE9ELNS1_11target_archE1100ELNS1_3gpuE3ELNS1_3repE0EEENS1_30default_config_static_selectorELNS0_4arch9wavefront6targetE0EEEvSK_
                                        ; -- End function
	.section	.AMDGPU.csdata,"",@progbits
; Kernel info:
; codeLenInByte = 39516
; NumSgprs: 56
; NumVgprs: 183
; ScratchSize: 0
; MemoryBound: 0
; FloatMode: 240
; IeeeMode: 1
; LDSByteSize: 17440 bytes/workgroup (compile time only)
; SGPRBlocks: 6
; VGPRBlocks: 22
; NumSGPRsForWavesPerEU: 56
; NumVGPRsForWavesPerEU: 183
; Occupancy: 8
; WaveLimiterHint : 1
; COMPUTE_PGM_RSRC2:SCRATCH_EN: 0
; COMPUTE_PGM_RSRC2:USER_SGPR: 14
; COMPUTE_PGM_RSRC2:TRAP_HANDLER: 0
; COMPUTE_PGM_RSRC2:TGID_X_EN: 1
; COMPUTE_PGM_RSRC2:TGID_Y_EN: 1
; COMPUTE_PGM_RSRC2:TGID_Z_EN: 0
; COMPUTE_PGM_RSRC2:TIDIG_COMP_CNT: 2
	.section	.text._ZN7rocprim17ROCPRIM_400000_NS6detail17trampoline_kernelINS0_14default_configENS1_36segmented_radix_sort_config_selectorIalEEZNS1_25segmented_radix_sort_implIS3_Lb0EPKaPaPKlPlN2at6native12_GLOBAL__N_18offset_tEEE10hipError_tPvRmT1_PNSt15iterator_traitsISK_E10value_typeET2_T3_PNSL_ISQ_E10value_typeET4_jRbjT5_SW_jjP12ihipStream_tbEUlT_E2_NS1_11comp_targetILNS1_3genE8ELNS1_11target_archE1030ELNS1_3gpuE2ELNS1_3repE0EEENS1_30default_config_static_selectorELNS0_4arch9wavefront6targetE0EEEvSK_,"axG",@progbits,_ZN7rocprim17ROCPRIM_400000_NS6detail17trampoline_kernelINS0_14default_configENS1_36segmented_radix_sort_config_selectorIalEEZNS1_25segmented_radix_sort_implIS3_Lb0EPKaPaPKlPlN2at6native12_GLOBAL__N_18offset_tEEE10hipError_tPvRmT1_PNSt15iterator_traitsISK_E10value_typeET2_T3_PNSL_ISQ_E10value_typeET4_jRbjT5_SW_jjP12ihipStream_tbEUlT_E2_NS1_11comp_targetILNS1_3genE8ELNS1_11target_archE1030ELNS1_3gpuE2ELNS1_3repE0EEENS1_30default_config_static_selectorELNS0_4arch9wavefront6targetE0EEEvSK_,comdat
	.globl	_ZN7rocprim17ROCPRIM_400000_NS6detail17trampoline_kernelINS0_14default_configENS1_36segmented_radix_sort_config_selectorIalEEZNS1_25segmented_radix_sort_implIS3_Lb0EPKaPaPKlPlN2at6native12_GLOBAL__N_18offset_tEEE10hipError_tPvRmT1_PNSt15iterator_traitsISK_E10value_typeET2_T3_PNSL_ISQ_E10value_typeET4_jRbjT5_SW_jjP12ihipStream_tbEUlT_E2_NS1_11comp_targetILNS1_3genE8ELNS1_11target_archE1030ELNS1_3gpuE2ELNS1_3repE0EEENS1_30default_config_static_selectorELNS0_4arch9wavefront6targetE0EEEvSK_ ; -- Begin function _ZN7rocprim17ROCPRIM_400000_NS6detail17trampoline_kernelINS0_14default_configENS1_36segmented_radix_sort_config_selectorIalEEZNS1_25segmented_radix_sort_implIS3_Lb0EPKaPaPKlPlN2at6native12_GLOBAL__N_18offset_tEEE10hipError_tPvRmT1_PNSt15iterator_traitsISK_E10value_typeET2_T3_PNSL_ISQ_E10value_typeET4_jRbjT5_SW_jjP12ihipStream_tbEUlT_E2_NS1_11comp_targetILNS1_3genE8ELNS1_11target_archE1030ELNS1_3gpuE2ELNS1_3repE0EEENS1_30default_config_static_selectorELNS0_4arch9wavefront6targetE0EEEvSK_
	.p2align	8
	.type	_ZN7rocprim17ROCPRIM_400000_NS6detail17trampoline_kernelINS0_14default_configENS1_36segmented_radix_sort_config_selectorIalEEZNS1_25segmented_radix_sort_implIS3_Lb0EPKaPaPKlPlN2at6native12_GLOBAL__N_18offset_tEEE10hipError_tPvRmT1_PNSt15iterator_traitsISK_E10value_typeET2_T3_PNSL_ISQ_E10value_typeET4_jRbjT5_SW_jjP12ihipStream_tbEUlT_E2_NS1_11comp_targetILNS1_3genE8ELNS1_11target_archE1030ELNS1_3gpuE2ELNS1_3repE0EEENS1_30default_config_static_selectorELNS0_4arch9wavefront6targetE0EEEvSK_,@function
_ZN7rocprim17ROCPRIM_400000_NS6detail17trampoline_kernelINS0_14default_configENS1_36segmented_radix_sort_config_selectorIalEEZNS1_25segmented_radix_sort_implIS3_Lb0EPKaPaPKlPlN2at6native12_GLOBAL__N_18offset_tEEE10hipError_tPvRmT1_PNSt15iterator_traitsISK_E10value_typeET2_T3_PNSL_ISQ_E10value_typeET4_jRbjT5_SW_jjP12ihipStream_tbEUlT_E2_NS1_11comp_targetILNS1_3genE8ELNS1_11target_archE1030ELNS1_3gpuE2ELNS1_3repE0EEENS1_30default_config_static_selectorELNS0_4arch9wavefront6targetE0EEEvSK_: ; @_ZN7rocprim17ROCPRIM_400000_NS6detail17trampoline_kernelINS0_14default_configENS1_36segmented_radix_sort_config_selectorIalEEZNS1_25segmented_radix_sort_implIS3_Lb0EPKaPaPKlPlN2at6native12_GLOBAL__N_18offset_tEEE10hipError_tPvRmT1_PNSt15iterator_traitsISK_E10value_typeET2_T3_PNSL_ISQ_E10value_typeET4_jRbjT5_SW_jjP12ihipStream_tbEUlT_E2_NS1_11comp_targetILNS1_3genE8ELNS1_11target_archE1030ELNS1_3gpuE2ELNS1_3repE0EEENS1_30default_config_static_selectorELNS0_4arch9wavefront6targetE0EEEvSK_
; %bb.0:
	.section	.rodata,"a",@progbits
	.p2align	6, 0x0
	.amdhsa_kernel _ZN7rocprim17ROCPRIM_400000_NS6detail17trampoline_kernelINS0_14default_configENS1_36segmented_radix_sort_config_selectorIalEEZNS1_25segmented_radix_sort_implIS3_Lb0EPKaPaPKlPlN2at6native12_GLOBAL__N_18offset_tEEE10hipError_tPvRmT1_PNSt15iterator_traitsISK_E10value_typeET2_T3_PNSL_ISQ_E10value_typeET4_jRbjT5_SW_jjP12ihipStream_tbEUlT_E2_NS1_11comp_targetILNS1_3genE8ELNS1_11target_archE1030ELNS1_3gpuE2ELNS1_3repE0EEENS1_30default_config_static_selectorELNS0_4arch9wavefront6targetE0EEEvSK_
		.amdhsa_group_segment_fixed_size 0
		.amdhsa_private_segment_fixed_size 0
		.amdhsa_kernarg_size 80
		.amdhsa_user_sgpr_count 15
		.amdhsa_user_sgpr_dispatch_ptr 0
		.amdhsa_user_sgpr_queue_ptr 0
		.amdhsa_user_sgpr_kernarg_segment_ptr 1
		.amdhsa_user_sgpr_dispatch_id 0
		.amdhsa_user_sgpr_private_segment_size 0
		.amdhsa_wavefront_size32 1
		.amdhsa_uses_dynamic_stack 0
		.amdhsa_enable_private_segment 0
		.amdhsa_system_sgpr_workgroup_id_x 1
		.amdhsa_system_sgpr_workgroup_id_y 0
		.amdhsa_system_sgpr_workgroup_id_z 0
		.amdhsa_system_sgpr_workgroup_info 0
		.amdhsa_system_vgpr_workitem_id 0
		.amdhsa_next_free_vgpr 1
		.amdhsa_next_free_sgpr 1
		.amdhsa_reserve_vcc 0
		.amdhsa_float_round_mode_32 0
		.amdhsa_float_round_mode_16_64 0
		.amdhsa_float_denorm_mode_32 3
		.amdhsa_float_denorm_mode_16_64 3
		.amdhsa_dx10_clamp 1
		.amdhsa_ieee_mode 1
		.amdhsa_fp16_overflow 0
		.amdhsa_workgroup_processor_mode 1
		.amdhsa_memory_ordered 1
		.amdhsa_forward_progress 0
		.amdhsa_shared_vgpr_count 0
		.amdhsa_exception_fp_ieee_invalid_op 0
		.amdhsa_exception_fp_denorm_src 0
		.amdhsa_exception_fp_ieee_div_zero 0
		.amdhsa_exception_fp_ieee_overflow 0
		.amdhsa_exception_fp_ieee_underflow 0
		.amdhsa_exception_fp_ieee_inexact 0
		.amdhsa_exception_int_div_zero 0
	.end_amdhsa_kernel
	.section	.text._ZN7rocprim17ROCPRIM_400000_NS6detail17trampoline_kernelINS0_14default_configENS1_36segmented_radix_sort_config_selectorIalEEZNS1_25segmented_radix_sort_implIS3_Lb0EPKaPaPKlPlN2at6native12_GLOBAL__N_18offset_tEEE10hipError_tPvRmT1_PNSt15iterator_traitsISK_E10value_typeET2_T3_PNSL_ISQ_E10value_typeET4_jRbjT5_SW_jjP12ihipStream_tbEUlT_E2_NS1_11comp_targetILNS1_3genE8ELNS1_11target_archE1030ELNS1_3gpuE2ELNS1_3repE0EEENS1_30default_config_static_selectorELNS0_4arch9wavefront6targetE0EEEvSK_,"axG",@progbits,_ZN7rocprim17ROCPRIM_400000_NS6detail17trampoline_kernelINS0_14default_configENS1_36segmented_radix_sort_config_selectorIalEEZNS1_25segmented_radix_sort_implIS3_Lb0EPKaPaPKlPlN2at6native12_GLOBAL__N_18offset_tEEE10hipError_tPvRmT1_PNSt15iterator_traitsISK_E10value_typeET2_T3_PNSL_ISQ_E10value_typeET4_jRbjT5_SW_jjP12ihipStream_tbEUlT_E2_NS1_11comp_targetILNS1_3genE8ELNS1_11target_archE1030ELNS1_3gpuE2ELNS1_3repE0EEENS1_30default_config_static_selectorELNS0_4arch9wavefront6targetE0EEEvSK_,comdat
.Lfunc_end431:
	.size	_ZN7rocprim17ROCPRIM_400000_NS6detail17trampoline_kernelINS0_14default_configENS1_36segmented_radix_sort_config_selectorIalEEZNS1_25segmented_radix_sort_implIS3_Lb0EPKaPaPKlPlN2at6native12_GLOBAL__N_18offset_tEEE10hipError_tPvRmT1_PNSt15iterator_traitsISK_E10value_typeET2_T3_PNSL_ISQ_E10value_typeET4_jRbjT5_SW_jjP12ihipStream_tbEUlT_E2_NS1_11comp_targetILNS1_3genE8ELNS1_11target_archE1030ELNS1_3gpuE2ELNS1_3repE0EEENS1_30default_config_static_selectorELNS0_4arch9wavefront6targetE0EEEvSK_, .Lfunc_end431-_ZN7rocprim17ROCPRIM_400000_NS6detail17trampoline_kernelINS0_14default_configENS1_36segmented_radix_sort_config_selectorIalEEZNS1_25segmented_radix_sort_implIS3_Lb0EPKaPaPKlPlN2at6native12_GLOBAL__N_18offset_tEEE10hipError_tPvRmT1_PNSt15iterator_traitsISK_E10value_typeET2_T3_PNSL_ISQ_E10value_typeET4_jRbjT5_SW_jjP12ihipStream_tbEUlT_E2_NS1_11comp_targetILNS1_3genE8ELNS1_11target_archE1030ELNS1_3gpuE2ELNS1_3repE0EEENS1_30default_config_static_selectorELNS0_4arch9wavefront6targetE0EEEvSK_
                                        ; -- End function
	.section	.AMDGPU.csdata,"",@progbits
; Kernel info:
; codeLenInByte = 0
; NumSgprs: 0
; NumVgprs: 0
; ScratchSize: 0
; MemoryBound: 0
; FloatMode: 240
; IeeeMode: 1
; LDSByteSize: 0 bytes/workgroup (compile time only)
; SGPRBlocks: 0
; VGPRBlocks: 0
; NumSGPRsForWavesPerEU: 1
; NumVGPRsForWavesPerEU: 1
; Occupancy: 16
; WaveLimiterHint : 0
; COMPUTE_PGM_RSRC2:SCRATCH_EN: 0
; COMPUTE_PGM_RSRC2:USER_SGPR: 15
; COMPUTE_PGM_RSRC2:TRAP_HANDLER: 0
; COMPUTE_PGM_RSRC2:TGID_X_EN: 1
; COMPUTE_PGM_RSRC2:TGID_Y_EN: 0
; COMPUTE_PGM_RSRC2:TGID_Z_EN: 0
; COMPUTE_PGM_RSRC2:TIDIG_COMP_CNT: 0
	.section	.text._ZN2at6native12_GLOBAL__N_123sort_postprocess_kernelIiEEvPKT_PS3_PlPK15HIP_vector_typeIiLj2EEii,"axG",@progbits,_ZN2at6native12_GLOBAL__N_123sort_postprocess_kernelIiEEvPKT_PS3_PlPK15HIP_vector_typeIiLj2EEii,comdat
	.globl	_ZN2at6native12_GLOBAL__N_123sort_postprocess_kernelIiEEvPKT_PS3_PlPK15HIP_vector_typeIiLj2EEii ; -- Begin function _ZN2at6native12_GLOBAL__N_123sort_postprocess_kernelIiEEvPKT_PS3_PlPK15HIP_vector_typeIiLj2EEii
	.p2align	8
	.type	_ZN2at6native12_GLOBAL__N_123sort_postprocess_kernelIiEEvPKT_PS3_PlPK15HIP_vector_typeIiLj2EEii,@function
_ZN2at6native12_GLOBAL__N_123sort_postprocess_kernelIiEEvPKT_PS3_PlPK15HIP_vector_typeIiLj2EEii: ; @_ZN2at6native12_GLOBAL__N_123sort_postprocess_kernelIiEEvPKT_PS3_PlPK15HIP_vector_typeIiLj2EEii
; %bb.0:
	s_clause 0x1
	s_load_b32 s2, s[0:1], 0x34
	s_load_b64 s[6:7], s[0:1], 0x20
	v_mov_b32_e32 v1, 0
	s_add_u32 s4, s0, 40
	s_addc_u32 s5, s1, 0
	s_waitcnt lgkmcnt(0)
	s_and_b32 s13, s2, 0xffff
	s_mul_i32 s2, s7, s6
	v_mad_u64_u32 v[2:3], null, s13, s15, v[0:1]
	s_ashr_i32 s3, s2, 31
	s_mov_b32 s6, exec_lo
	s_delay_alu instid0(VALU_DEP_1)
	v_cmpx_gt_i64_e64 s[2:3], v[2:3]
	s_cbranch_execz .LBB432_3
; %bb.1:
	s_abs_i32 s12, s7
	s_load_b32 s14, s[4:5], 0x0
	v_cvt_f32_u32_e32 v0, s12
	s_sub_i32 s4, 0, s12
	s_delay_alu instid0(VALU_DEP_1) | instskip(SKIP_2) | instid1(VALU_DEP_1)
	v_rcp_iflag_f32_e32 v0, v0
	s_waitcnt_depctr 0xfff
	v_mul_f32_e32 v0, 0x4f7ffffe, v0
	v_cvt_u32_f32_e32 v0, v0
	s_delay_alu instid0(VALU_DEP_1) | instskip(SKIP_4) | instid1(VALU_DEP_1)
	v_mul_lo_u32 v1, s4, v0
	s_load_b256 s[4:11], s[0:1], 0x0
	s_waitcnt lgkmcnt(0)
	s_mul_i32 s1, s14, s13
	s_mov_b32 s13, 0
	v_mul_hi_u32 v1, v0, v1
	s_delay_alu instid0(VALU_DEP_1)
	v_add_nc_u32_e32 v0, v0, v1
.LBB432_2:                              ; =>This Inner Loop Header: Depth=1
	v_sub_nc_u32_e32 v1, 0, v2
	v_ashrrev_i32_e32 v5, 31, v2
	s_delay_alu instid0(VALU_DEP_2) | instskip(NEXT) | instid1(VALU_DEP_1)
	v_max_i32_e32 v1, v2, v1
	v_mul_hi_u32 v4, v1, v0
	s_delay_alu instid0(VALU_DEP_1) | instskip(NEXT) | instid1(VALU_DEP_1)
	v_mul_lo_u32 v4, v4, s12
	v_sub_nc_u32_e32 v1, v1, v4
	s_delay_alu instid0(VALU_DEP_1) | instskip(SKIP_1) | instid1(VALU_DEP_2)
	v_subrev_nc_u32_e32 v4, s12, v1
	v_cmp_le_u32_e32 vcc_lo, s12, v1
	v_dual_cndmask_b32 v1, v1, v4 :: v_dual_add_nc_u32 v6, v2, v5
	s_delay_alu instid0(VALU_DEP_1) | instskip(SKIP_1) | instid1(VALU_DEP_2)
	v_subrev_nc_u32_e32 v4, s12, v1
	v_cmp_le_u32_e32 vcc_lo, s12, v1
	v_cndmask_b32_e32 v1, v1, v4, vcc_lo
	s_delay_alu instid0(VALU_DEP_1) | instskip(NEXT) | instid1(VALU_DEP_1)
	v_xor_b32_e32 v1, v1, v5
	v_sub_nc_u32_e32 v4, v6, v1
	v_sub_nc_u32_e32 v6, v1, v5
	s_delay_alu instid0(VALU_DEP_2) | instskip(NEXT) | instid1(VALU_DEP_2)
	v_ashrrev_i32_e32 v5, 31, v4
	v_ashrrev_i32_e32 v7, 31, v6
	s_delay_alu instid0(VALU_DEP_2) | instskip(NEXT) | instid1(VALU_DEP_2)
	v_lshlrev_b64 v[8:9], 3, v[4:5]
	v_lshlrev_b64 v[10:11], 3, v[6:7]
	;; [unrolled: 1-line block ×4, first 2 shown]
	s_delay_alu instid0(VALU_DEP_4) | instskip(SKIP_2) | instid1(VALU_DEP_3)
	v_add_co_u32 v1, vcc_lo, s10, v8
	v_add_co_ci_u32_e32 v13, vcc_lo, s11, v9, vcc_lo
	v_add_co_u32 v8, s0, s8, v8
	v_add_co_u32 v12, vcc_lo, v1, v10
	s_delay_alu instid0(VALU_DEP_3)
	v_add_co_ci_u32_e32 v13, vcc_lo, v13, v11, vcc_lo
	v_add_co_u32 v1, vcc_lo, s4, v4
	v_add_co_ci_u32_e32 v16, vcc_lo, s5, v5, vcc_lo
	global_load_b32 v12, v[12:13], off offset:4
	v_add_co_ci_u32_e64 v9, s0, s9, v9, s0
	s_waitcnt vmcnt(0)
	v_ashrrev_i32_e32 v13, 31, v12
	s_delay_alu instid0(VALU_DEP_1) | instskip(NEXT) | instid1(VALU_DEP_1)
	v_lshlrev_b64 v[14:15], 2, v[12:13]
	v_add_co_u32 v14, vcc_lo, v1, v14
	s_delay_alu instid0(VALU_DEP_2) | instskip(SKIP_4) | instid1(VALU_DEP_1)
	v_add_co_ci_u32_e32 v15, vcc_lo, v16, v15, vcc_lo
	v_add_co_u32 v2, vcc_lo, v2, s1
	v_add_co_ci_u32_e32 v3, vcc_lo, 0, v3, vcc_lo
	global_load_b32 v1, v[14:15], off
	v_add_co_u32 v14, s0, s6, v4
	v_add_co_ci_u32_e64 v15, s0, s7, v5, s0
	v_add_co_u32 v4, s0, v8, v10
	v_cmp_le_i64_e32 vcc_lo, s[2:3], v[2:3]
	v_add_co_ci_u32_e64 v5, s0, v9, v11, s0
	v_add_co_u32 v6, s0, v14, v6
	s_delay_alu instid0(VALU_DEP_1)
	v_add_co_ci_u32_e64 v7, s0, v15, v7, s0
	s_or_b32 s13, vcc_lo, s13
	global_store_b64 v[4:5], v[12:13], off
	s_waitcnt vmcnt(0)
	global_store_b32 v[6:7], v1, off
	s_and_not1_b32 exec_lo, exec_lo, s13
	s_cbranch_execnz .LBB432_2
.LBB432_3:
	s_nop 0
	s_sendmsg sendmsg(MSG_DEALLOC_VGPRS)
	s_endpgm
	.section	.rodata,"a",@progbits
	.p2align	6, 0x0
	.amdhsa_kernel _ZN2at6native12_GLOBAL__N_123sort_postprocess_kernelIiEEvPKT_PS3_PlPK15HIP_vector_typeIiLj2EEii
		.amdhsa_group_segment_fixed_size 0
		.amdhsa_private_segment_fixed_size 0
		.amdhsa_kernarg_size 296
		.amdhsa_user_sgpr_count 15
		.amdhsa_user_sgpr_dispatch_ptr 0
		.amdhsa_user_sgpr_queue_ptr 0
		.amdhsa_user_sgpr_kernarg_segment_ptr 1
		.amdhsa_user_sgpr_dispatch_id 0
		.amdhsa_user_sgpr_private_segment_size 0
		.amdhsa_wavefront_size32 1
		.amdhsa_uses_dynamic_stack 0
		.amdhsa_enable_private_segment 0
		.amdhsa_system_sgpr_workgroup_id_x 1
		.amdhsa_system_sgpr_workgroup_id_y 0
		.amdhsa_system_sgpr_workgroup_id_z 0
		.amdhsa_system_sgpr_workgroup_info 0
		.amdhsa_system_vgpr_workitem_id 0
		.amdhsa_next_free_vgpr 17
		.amdhsa_next_free_sgpr 16
		.amdhsa_reserve_vcc 1
		.amdhsa_float_round_mode_32 0
		.amdhsa_float_round_mode_16_64 0
		.amdhsa_float_denorm_mode_32 3
		.amdhsa_float_denorm_mode_16_64 3
		.amdhsa_dx10_clamp 1
		.amdhsa_ieee_mode 1
		.amdhsa_fp16_overflow 0
		.amdhsa_workgroup_processor_mode 1
		.amdhsa_memory_ordered 1
		.amdhsa_forward_progress 0
		.amdhsa_shared_vgpr_count 0
		.amdhsa_exception_fp_ieee_invalid_op 0
		.amdhsa_exception_fp_denorm_src 0
		.amdhsa_exception_fp_ieee_div_zero 0
		.amdhsa_exception_fp_ieee_overflow 0
		.amdhsa_exception_fp_ieee_underflow 0
		.amdhsa_exception_fp_ieee_inexact 0
		.amdhsa_exception_int_div_zero 0
	.end_amdhsa_kernel
	.section	.text._ZN2at6native12_GLOBAL__N_123sort_postprocess_kernelIiEEvPKT_PS3_PlPK15HIP_vector_typeIiLj2EEii,"axG",@progbits,_ZN2at6native12_GLOBAL__N_123sort_postprocess_kernelIiEEvPKT_PS3_PlPK15HIP_vector_typeIiLj2EEii,comdat
.Lfunc_end432:
	.size	_ZN2at6native12_GLOBAL__N_123sort_postprocess_kernelIiEEvPKT_PS3_PlPK15HIP_vector_typeIiLj2EEii, .Lfunc_end432-_ZN2at6native12_GLOBAL__N_123sort_postprocess_kernelIiEEvPKT_PS3_PlPK15HIP_vector_typeIiLj2EEii
                                        ; -- End function
	.section	.AMDGPU.csdata,"",@progbits
; Kernel info:
; codeLenInByte = 536
; NumSgprs: 18
; NumVgprs: 17
; ScratchSize: 0
; MemoryBound: 0
; FloatMode: 240
; IeeeMode: 1
; LDSByteSize: 0 bytes/workgroup (compile time only)
; SGPRBlocks: 2
; VGPRBlocks: 2
; NumSGPRsForWavesPerEU: 18
; NumVGPRsForWavesPerEU: 17
; Occupancy: 16
; WaveLimiterHint : 1
; COMPUTE_PGM_RSRC2:SCRATCH_EN: 0
; COMPUTE_PGM_RSRC2:USER_SGPR: 15
; COMPUTE_PGM_RSRC2:TRAP_HANDLER: 0
; COMPUTE_PGM_RSRC2:TGID_X_EN: 1
; COMPUTE_PGM_RSRC2:TGID_Y_EN: 0
; COMPUTE_PGM_RSRC2:TGID_Z_EN: 0
; COMPUTE_PGM_RSRC2:TIDIG_COMP_CNT: 0
	.section	.text._ZN7rocprim17ROCPRIM_400000_NS6detail17trampoline_kernelINS0_13select_configILj256ELj13ELNS0_17block_load_methodE3ELS4_3ELS4_3ELNS0_20block_scan_algorithmE0ELj4294967295EEENS1_25partition_config_selectorILNS1_17partition_subalgoE4EjNS0_10empty_typeEbEEZZNS1_14partition_implILS8_4ELb0ES6_15HIP_vector_typeIjLj2EENS0_17counting_iteratorIjlEEPS9_SG_NS0_5tupleIJPjSI_NS0_16reverse_iteratorISI_EEEEENSH_IJSG_SG_SG_EEES9_SI_JZNS1_25segmented_radix_sort_implINS0_14default_configELb1EPKiPiPKlPlN2at6native12_GLOBAL__N_18offset_tEEE10hipError_tPvRmT1_PNSt15iterator_traitsIS12_E10value_typeET2_T3_PNS13_IS18_E10value_typeET4_jRbjT5_S1E_jjP12ihipStream_tbEUljE_ZNSN_ISO_Lb1ESQ_SR_ST_SU_SY_EESZ_S10_S11_S12_S16_S17_S18_S1B_S1C_jS1D_jS1E_S1E_jjS1G_bEUljE0_EEESZ_S10_S11_S18_S1C_S1E_T6_T7_T9_mT8_S1G_bDpT10_ENKUlT_T0_E_clISt17integral_constantIbLb0EES1U_EEDaS1P_S1Q_EUlS1P_E_NS1_11comp_targetILNS1_3genE0ELNS1_11target_archE4294967295ELNS1_3gpuE0ELNS1_3repE0EEENS1_30default_config_static_selectorELNS0_4arch9wavefront6targetE0EEEvS12_,"axG",@progbits,_ZN7rocprim17ROCPRIM_400000_NS6detail17trampoline_kernelINS0_13select_configILj256ELj13ELNS0_17block_load_methodE3ELS4_3ELS4_3ELNS0_20block_scan_algorithmE0ELj4294967295EEENS1_25partition_config_selectorILNS1_17partition_subalgoE4EjNS0_10empty_typeEbEEZZNS1_14partition_implILS8_4ELb0ES6_15HIP_vector_typeIjLj2EENS0_17counting_iteratorIjlEEPS9_SG_NS0_5tupleIJPjSI_NS0_16reverse_iteratorISI_EEEEENSH_IJSG_SG_SG_EEES9_SI_JZNS1_25segmented_radix_sort_implINS0_14default_configELb1EPKiPiPKlPlN2at6native12_GLOBAL__N_18offset_tEEE10hipError_tPvRmT1_PNSt15iterator_traitsIS12_E10value_typeET2_T3_PNS13_IS18_E10value_typeET4_jRbjT5_S1E_jjP12ihipStream_tbEUljE_ZNSN_ISO_Lb1ESQ_SR_ST_SU_SY_EESZ_S10_S11_S12_S16_S17_S18_S1B_S1C_jS1D_jS1E_S1E_jjS1G_bEUljE0_EEESZ_S10_S11_S18_S1C_S1E_T6_T7_T9_mT8_S1G_bDpT10_ENKUlT_T0_E_clISt17integral_constantIbLb0EES1U_EEDaS1P_S1Q_EUlS1P_E_NS1_11comp_targetILNS1_3genE0ELNS1_11target_archE4294967295ELNS1_3gpuE0ELNS1_3repE0EEENS1_30default_config_static_selectorELNS0_4arch9wavefront6targetE0EEEvS12_,comdat
	.globl	_ZN7rocprim17ROCPRIM_400000_NS6detail17trampoline_kernelINS0_13select_configILj256ELj13ELNS0_17block_load_methodE3ELS4_3ELS4_3ELNS0_20block_scan_algorithmE0ELj4294967295EEENS1_25partition_config_selectorILNS1_17partition_subalgoE4EjNS0_10empty_typeEbEEZZNS1_14partition_implILS8_4ELb0ES6_15HIP_vector_typeIjLj2EENS0_17counting_iteratorIjlEEPS9_SG_NS0_5tupleIJPjSI_NS0_16reverse_iteratorISI_EEEEENSH_IJSG_SG_SG_EEES9_SI_JZNS1_25segmented_radix_sort_implINS0_14default_configELb1EPKiPiPKlPlN2at6native12_GLOBAL__N_18offset_tEEE10hipError_tPvRmT1_PNSt15iterator_traitsIS12_E10value_typeET2_T3_PNS13_IS18_E10value_typeET4_jRbjT5_S1E_jjP12ihipStream_tbEUljE_ZNSN_ISO_Lb1ESQ_SR_ST_SU_SY_EESZ_S10_S11_S12_S16_S17_S18_S1B_S1C_jS1D_jS1E_S1E_jjS1G_bEUljE0_EEESZ_S10_S11_S18_S1C_S1E_T6_T7_T9_mT8_S1G_bDpT10_ENKUlT_T0_E_clISt17integral_constantIbLb0EES1U_EEDaS1P_S1Q_EUlS1P_E_NS1_11comp_targetILNS1_3genE0ELNS1_11target_archE4294967295ELNS1_3gpuE0ELNS1_3repE0EEENS1_30default_config_static_selectorELNS0_4arch9wavefront6targetE0EEEvS12_ ; -- Begin function _ZN7rocprim17ROCPRIM_400000_NS6detail17trampoline_kernelINS0_13select_configILj256ELj13ELNS0_17block_load_methodE3ELS4_3ELS4_3ELNS0_20block_scan_algorithmE0ELj4294967295EEENS1_25partition_config_selectorILNS1_17partition_subalgoE4EjNS0_10empty_typeEbEEZZNS1_14partition_implILS8_4ELb0ES6_15HIP_vector_typeIjLj2EENS0_17counting_iteratorIjlEEPS9_SG_NS0_5tupleIJPjSI_NS0_16reverse_iteratorISI_EEEEENSH_IJSG_SG_SG_EEES9_SI_JZNS1_25segmented_radix_sort_implINS0_14default_configELb1EPKiPiPKlPlN2at6native12_GLOBAL__N_18offset_tEEE10hipError_tPvRmT1_PNSt15iterator_traitsIS12_E10value_typeET2_T3_PNS13_IS18_E10value_typeET4_jRbjT5_S1E_jjP12ihipStream_tbEUljE_ZNSN_ISO_Lb1ESQ_SR_ST_SU_SY_EESZ_S10_S11_S12_S16_S17_S18_S1B_S1C_jS1D_jS1E_S1E_jjS1G_bEUljE0_EEESZ_S10_S11_S18_S1C_S1E_T6_T7_T9_mT8_S1G_bDpT10_ENKUlT_T0_E_clISt17integral_constantIbLb0EES1U_EEDaS1P_S1Q_EUlS1P_E_NS1_11comp_targetILNS1_3genE0ELNS1_11target_archE4294967295ELNS1_3gpuE0ELNS1_3repE0EEENS1_30default_config_static_selectorELNS0_4arch9wavefront6targetE0EEEvS12_
	.p2align	8
	.type	_ZN7rocprim17ROCPRIM_400000_NS6detail17trampoline_kernelINS0_13select_configILj256ELj13ELNS0_17block_load_methodE3ELS4_3ELS4_3ELNS0_20block_scan_algorithmE0ELj4294967295EEENS1_25partition_config_selectorILNS1_17partition_subalgoE4EjNS0_10empty_typeEbEEZZNS1_14partition_implILS8_4ELb0ES6_15HIP_vector_typeIjLj2EENS0_17counting_iteratorIjlEEPS9_SG_NS0_5tupleIJPjSI_NS0_16reverse_iteratorISI_EEEEENSH_IJSG_SG_SG_EEES9_SI_JZNS1_25segmented_radix_sort_implINS0_14default_configELb1EPKiPiPKlPlN2at6native12_GLOBAL__N_18offset_tEEE10hipError_tPvRmT1_PNSt15iterator_traitsIS12_E10value_typeET2_T3_PNS13_IS18_E10value_typeET4_jRbjT5_S1E_jjP12ihipStream_tbEUljE_ZNSN_ISO_Lb1ESQ_SR_ST_SU_SY_EESZ_S10_S11_S12_S16_S17_S18_S1B_S1C_jS1D_jS1E_S1E_jjS1G_bEUljE0_EEESZ_S10_S11_S18_S1C_S1E_T6_T7_T9_mT8_S1G_bDpT10_ENKUlT_T0_E_clISt17integral_constantIbLb0EES1U_EEDaS1P_S1Q_EUlS1P_E_NS1_11comp_targetILNS1_3genE0ELNS1_11target_archE4294967295ELNS1_3gpuE0ELNS1_3repE0EEENS1_30default_config_static_selectorELNS0_4arch9wavefront6targetE0EEEvS12_,@function
_ZN7rocprim17ROCPRIM_400000_NS6detail17trampoline_kernelINS0_13select_configILj256ELj13ELNS0_17block_load_methodE3ELS4_3ELS4_3ELNS0_20block_scan_algorithmE0ELj4294967295EEENS1_25partition_config_selectorILNS1_17partition_subalgoE4EjNS0_10empty_typeEbEEZZNS1_14partition_implILS8_4ELb0ES6_15HIP_vector_typeIjLj2EENS0_17counting_iteratorIjlEEPS9_SG_NS0_5tupleIJPjSI_NS0_16reverse_iteratorISI_EEEEENSH_IJSG_SG_SG_EEES9_SI_JZNS1_25segmented_radix_sort_implINS0_14default_configELb1EPKiPiPKlPlN2at6native12_GLOBAL__N_18offset_tEEE10hipError_tPvRmT1_PNSt15iterator_traitsIS12_E10value_typeET2_T3_PNS13_IS18_E10value_typeET4_jRbjT5_S1E_jjP12ihipStream_tbEUljE_ZNSN_ISO_Lb1ESQ_SR_ST_SU_SY_EESZ_S10_S11_S12_S16_S17_S18_S1B_S1C_jS1D_jS1E_S1E_jjS1G_bEUljE0_EEESZ_S10_S11_S18_S1C_S1E_T6_T7_T9_mT8_S1G_bDpT10_ENKUlT_T0_E_clISt17integral_constantIbLb0EES1U_EEDaS1P_S1Q_EUlS1P_E_NS1_11comp_targetILNS1_3genE0ELNS1_11target_archE4294967295ELNS1_3gpuE0ELNS1_3repE0EEENS1_30default_config_static_selectorELNS0_4arch9wavefront6targetE0EEEvS12_: ; @_ZN7rocprim17ROCPRIM_400000_NS6detail17trampoline_kernelINS0_13select_configILj256ELj13ELNS0_17block_load_methodE3ELS4_3ELS4_3ELNS0_20block_scan_algorithmE0ELj4294967295EEENS1_25partition_config_selectorILNS1_17partition_subalgoE4EjNS0_10empty_typeEbEEZZNS1_14partition_implILS8_4ELb0ES6_15HIP_vector_typeIjLj2EENS0_17counting_iteratorIjlEEPS9_SG_NS0_5tupleIJPjSI_NS0_16reverse_iteratorISI_EEEEENSH_IJSG_SG_SG_EEES9_SI_JZNS1_25segmented_radix_sort_implINS0_14default_configELb1EPKiPiPKlPlN2at6native12_GLOBAL__N_18offset_tEEE10hipError_tPvRmT1_PNSt15iterator_traitsIS12_E10value_typeET2_T3_PNS13_IS18_E10value_typeET4_jRbjT5_S1E_jjP12ihipStream_tbEUljE_ZNSN_ISO_Lb1ESQ_SR_ST_SU_SY_EESZ_S10_S11_S12_S16_S17_S18_S1B_S1C_jS1D_jS1E_S1E_jjS1G_bEUljE0_EEESZ_S10_S11_S18_S1C_S1E_T6_T7_T9_mT8_S1G_bDpT10_ENKUlT_T0_E_clISt17integral_constantIbLb0EES1U_EEDaS1P_S1Q_EUlS1P_E_NS1_11comp_targetILNS1_3genE0ELNS1_11target_archE4294967295ELNS1_3gpuE0ELNS1_3repE0EEENS1_30default_config_static_selectorELNS0_4arch9wavefront6targetE0EEEvS12_
; %bb.0:
	.section	.rodata,"a",@progbits
	.p2align	6, 0x0
	.amdhsa_kernel _ZN7rocprim17ROCPRIM_400000_NS6detail17trampoline_kernelINS0_13select_configILj256ELj13ELNS0_17block_load_methodE3ELS4_3ELS4_3ELNS0_20block_scan_algorithmE0ELj4294967295EEENS1_25partition_config_selectorILNS1_17partition_subalgoE4EjNS0_10empty_typeEbEEZZNS1_14partition_implILS8_4ELb0ES6_15HIP_vector_typeIjLj2EENS0_17counting_iteratorIjlEEPS9_SG_NS0_5tupleIJPjSI_NS0_16reverse_iteratorISI_EEEEENSH_IJSG_SG_SG_EEES9_SI_JZNS1_25segmented_radix_sort_implINS0_14default_configELb1EPKiPiPKlPlN2at6native12_GLOBAL__N_18offset_tEEE10hipError_tPvRmT1_PNSt15iterator_traitsIS12_E10value_typeET2_T3_PNS13_IS18_E10value_typeET4_jRbjT5_S1E_jjP12ihipStream_tbEUljE_ZNSN_ISO_Lb1ESQ_SR_ST_SU_SY_EESZ_S10_S11_S12_S16_S17_S18_S1B_S1C_jS1D_jS1E_S1E_jjS1G_bEUljE0_EEESZ_S10_S11_S18_S1C_S1E_T6_T7_T9_mT8_S1G_bDpT10_ENKUlT_T0_E_clISt17integral_constantIbLb0EES1U_EEDaS1P_S1Q_EUlS1P_E_NS1_11comp_targetILNS1_3genE0ELNS1_11target_archE4294967295ELNS1_3gpuE0ELNS1_3repE0EEENS1_30default_config_static_selectorELNS0_4arch9wavefront6targetE0EEEvS12_
		.amdhsa_group_segment_fixed_size 0
		.amdhsa_private_segment_fixed_size 0
		.amdhsa_kernarg_size 176
		.amdhsa_user_sgpr_count 15
		.amdhsa_user_sgpr_dispatch_ptr 0
		.amdhsa_user_sgpr_queue_ptr 0
		.amdhsa_user_sgpr_kernarg_segment_ptr 1
		.amdhsa_user_sgpr_dispatch_id 0
		.amdhsa_user_sgpr_private_segment_size 0
		.amdhsa_wavefront_size32 1
		.amdhsa_uses_dynamic_stack 0
		.amdhsa_enable_private_segment 0
		.amdhsa_system_sgpr_workgroup_id_x 1
		.amdhsa_system_sgpr_workgroup_id_y 0
		.amdhsa_system_sgpr_workgroup_id_z 0
		.amdhsa_system_sgpr_workgroup_info 0
		.amdhsa_system_vgpr_workitem_id 0
		.amdhsa_next_free_vgpr 1
		.amdhsa_next_free_sgpr 1
		.amdhsa_reserve_vcc 0
		.amdhsa_float_round_mode_32 0
		.amdhsa_float_round_mode_16_64 0
		.amdhsa_float_denorm_mode_32 3
		.amdhsa_float_denorm_mode_16_64 3
		.amdhsa_dx10_clamp 1
		.amdhsa_ieee_mode 1
		.amdhsa_fp16_overflow 0
		.amdhsa_workgroup_processor_mode 1
		.amdhsa_memory_ordered 1
		.amdhsa_forward_progress 0
		.amdhsa_shared_vgpr_count 0
		.amdhsa_exception_fp_ieee_invalid_op 0
		.amdhsa_exception_fp_denorm_src 0
		.amdhsa_exception_fp_ieee_div_zero 0
		.amdhsa_exception_fp_ieee_overflow 0
		.amdhsa_exception_fp_ieee_underflow 0
		.amdhsa_exception_fp_ieee_inexact 0
		.amdhsa_exception_int_div_zero 0
	.end_amdhsa_kernel
	.section	.text._ZN7rocprim17ROCPRIM_400000_NS6detail17trampoline_kernelINS0_13select_configILj256ELj13ELNS0_17block_load_methodE3ELS4_3ELS4_3ELNS0_20block_scan_algorithmE0ELj4294967295EEENS1_25partition_config_selectorILNS1_17partition_subalgoE4EjNS0_10empty_typeEbEEZZNS1_14partition_implILS8_4ELb0ES6_15HIP_vector_typeIjLj2EENS0_17counting_iteratorIjlEEPS9_SG_NS0_5tupleIJPjSI_NS0_16reverse_iteratorISI_EEEEENSH_IJSG_SG_SG_EEES9_SI_JZNS1_25segmented_radix_sort_implINS0_14default_configELb1EPKiPiPKlPlN2at6native12_GLOBAL__N_18offset_tEEE10hipError_tPvRmT1_PNSt15iterator_traitsIS12_E10value_typeET2_T3_PNS13_IS18_E10value_typeET4_jRbjT5_S1E_jjP12ihipStream_tbEUljE_ZNSN_ISO_Lb1ESQ_SR_ST_SU_SY_EESZ_S10_S11_S12_S16_S17_S18_S1B_S1C_jS1D_jS1E_S1E_jjS1G_bEUljE0_EEESZ_S10_S11_S18_S1C_S1E_T6_T7_T9_mT8_S1G_bDpT10_ENKUlT_T0_E_clISt17integral_constantIbLb0EES1U_EEDaS1P_S1Q_EUlS1P_E_NS1_11comp_targetILNS1_3genE0ELNS1_11target_archE4294967295ELNS1_3gpuE0ELNS1_3repE0EEENS1_30default_config_static_selectorELNS0_4arch9wavefront6targetE0EEEvS12_,"axG",@progbits,_ZN7rocprim17ROCPRIM_400000_NS6detail17trampoline_kernelINS0_13select_configILj256ELj13ELNS0_17block_load_methodE3ELS4_3ELS4_3ELNS0_20block_scan_algorithmE0ELj4294967295EEENS1_25partition_config_selectorILNS1_17partition_subalgoE4EjNS0_10empty_typeEbEEZZNS1_14partition_implILS8_4ELb0ES6_15HIP_vector_typeIjLj2EENS0_17counting_iteratorIjlEEPS9_SG_NS0_5tupleIJPjSI_NS0_16reverse_iteratorISI_EEEEENSH_IJSG_SG_SG_EEES9_SI_JZNS1_25segmented_radix_sort_implINS0_14default_configELb1EPKiPiPKlPlN2at6native12_GLOBAL__N_18offset_tEEE10hipError_tPvRmT1_PNSt15iterator_traitsIS12_E10value_typeET2_T3_PNS13_IS18_E10value_typeET4_jRbjT5_S1E_jjP12ihipStream_tbEUljE_ZNSN_ISO_Lb1ESQ_SR_ST_SU_SY_EESZ_S10_S11_S12_S16_S17_S18_S1B_S1C_jS1D_jS1E_S1E_jjS1G_bEUljE0_EEESZ_S10_S11_S18_S1C_S1E_T6_T7_T9_mT8_S1G_bDpT10_ENKUlT_T0_E_clISt17integral_constantIbLb0EES1U_EEDaS1P_S1Q_EUlS1P_E_NS1_11comp_targetILNS1_3genE0ELNS1_11target_archE4294967295ELNS1_3gpuE0ELNS1_3repE0EEENS1_30default_config_static_selectorELNS0_4arch9wavefront6targetE0EEEvS12_,comdat
.Lfunc_end433:
	.size	_ZN7rocprim17ROCPRIM_400000_NS6detail17trampoline_kernelINS0_13select_configILj256ELj13ELNS0_17block_load_methodE3ELS4_3ELS4_3ELNS0_20block_scan_algorithmE0ELj4294967295EEENS1_25partition_config_selectorILNS1_17partition_subalgoE4EjNS0_10empty_typeEbEEZZNS1_14partition_implILS8_4ELb0ES6_15HIP_vector_typeIjLj2EENS0_17counting_iteratorIjlEEPS9_SG_NS0_5tupleIJPjSI_NS0_16reverse_iteratorISI_EEEEENSH_IJSG_SG_SG_EEES9_SI_JZNS1_25segmented_radix_sort_implINS0_14default_configELb1EPKiPiPKlPlN2at6native12_GLOBAL__N_18offset_tEEE10hipError_tPvRmT1_PNSt15iterator_traitsIS12_E10value_typeET2_T3_PNS13_IS18_E10value_typeET4_jRbjT5_S1E_jjP12ihipStream_tbEUljE_ZNSN_ISO_Lb1ESQ_SR_ST_SU_SY_EESZ_S10_S11_S12_S16_S17_S18_S1B_S1C_jS1D_jS1E_S1E_jjS1G_bEUljE0_EEESZ_S10_S11_S18_S1C_S1E_T6_T7_T9_mT8_S1G_bDpT10_ENKUlT_T0_E_clISt17integral_constantIbLb0EES1U_EEDaS1P_S1Q_EUlS1P_E_NS1_11comp_targetILNS1_3genE0ELNS1_11target_archE4294967295ELNS1_3gpuE0ELNS1_3repE0EEENS1_30default_config_static_selectorELNS0_4arch9wavefront6targetE0EEEvS12_, .Lfunc_end433-_ZN7rocprim17ROCPRIM_400000_NS6detail17trampoline_kernelINS0_13select_configILj256ELj13ELNS0_17block_load_methodE3ELS4_3ELS4_3ELNS0_20block_scan_algorithmE0ELj4294967295EEENS1_25partition_config_selectorILNS1_17partition_subalgoE4EjNS0_10empty_typeEbEEZZNS1_14partition_implILS8_4ELb0ES6_15HIP_vector_typeIjLj2EENS0_17counting_iteratorIjlEEPS9_SG_NS0_5tupleIJPjSI_NS0_16reverse_iteratorISI_EEEEENSH_IJSG_SG_SG_EEES9_SI_JZNS1_25segmented_radix_sort_implINS0_14default_configELb1EPKiPiPKlPlN2at6native12_GLOBAL__N_18offset_tEEE10hipError_tPvRmT1_PNSt15iterator_traitsIS12_E10value_typeET2_T3_PNS13_IS18_E10value_typeET4_jRbjT5_S1E_jjP12ihipStream_tbEUljE_ZNSN_ISO_Lb1ESQ_SR_ST_SU_SY_EESZ_S10_S11_S12_S16_S17_S18_S1B_S1C_jS1D_jS1E_S1E_jjS1G_bEUljE0_EEESZ_S10_S11_S18_S1C_S1E_T6_T7_T9_mT8_S1G_bDpT10_ENKUlT_T0_E_clISt17integral_constantIbLb0EES1U_EEDaS1P_S1Q_EUlS1P_E_NS1_11comp_targetILNS1_3genE0ELNS1_11target_archE4294967295ELNS1_3gpuE0ELNS1_3repE0EEENS1_30default_config_static_selectorELNS0_4arch9wavefront6targetE0EEEvS12_
                                        ; -- End function
	.section	.AMDGPU.csdata,"",@progbits
; Kernel info:
; codeLenInByte = 0
; NumSgprs: 0
; NumVgprs: 0
; ScratchSize: 0
; MemoryBound: 0
; FloatMode: 240
; IeeeMode: 1
; LDSByteSize: 0 bytes/workgroup (compile time only)
; SGPRBlocks: 0
; VGPRBlocks: 0
; NumSGPRsForWavesPerEU: 1
; NumVGPRsForWavesPerEU: 1
; Occupancy: 16
; WaveLimiterHint : 0
; COMPUTE_PGM_RSRC2:SCRATCH_EN: 0
; COMPUTE_PGM_RSRC2:USER_SGPR: 15
; COMPUTE_PGM_RSRC2:TRAP_HANDLER: 0
; COMPUTE_PGM_RSRC2:TGID_X_EN: 1
; COMPUTE_PGM_RSRC2:TGID_Y_EN: 0
; COMPUTE_PGM_RSRC2:TGID_Z_EN: 0
; COMPUTE_PGM_RSRC2:TIDIG_COMP_CNT: 0
	.section	.text._ZN7rocprim17ROCPRIM_400000_NS6detail17trampoline_kernelINS0_13select_configILj256ELj13ELNS0_17block_load_methodE3ELS4_3ELS4_3ELNS0_20block_scan_algorithmE0ELj4294967295EEENS1_25partition_config_selectorILNS1_17partition_subalgoE4EjNS0_10empty_typeEbEEZZNS1_14partition_implILS8_4ELb0ES6_15HIP_vector_typeIjLj2EENS0_17counting_iteratorIjlEEPS9_SG_NS0_5tupleIJPjSI_NS0_16reverse_iteratorISI_EEEEENSH_IJSG_SG_SG_EEES9_SI_JZNS1_25segmented_radix_sort_implINS0_14default_configELb1EPKiPiPKlPlN2at6native12_GLOBAL__N_18offset_tEEE10hipError_tPvRmT1_PNSt15iterator_traitsIS12_E10value_typeET2_T3_PNS13_IS18_E10value_typeET4_jRbjT5_S1E_jjP12ihipStream_tbEUljE_ZNSN_ISO_Lb1ESQ_SR_ST_SU_SY_EESZ_S10_S11_S12_S16_S17_S18_S1B_S1C_jS1D_jS1E_S1E_jjS1G_bEUljE0_EEESZ_S10_S11_S18_S1C_S1E_T6_T7_T9_mT8_S1G_bDpT10_ENKUlT_T0_E_clISt17integral_constantIbLb0EES1U_EEDaS1P_S1Q_EUlS1P_E_NS1_11comp_targetILNS1_3genE5ELNS1_11target_archE942ELNS1_3gpuE9ELNS1_3repE0EEENS1_30default_config_static_selectorELNS0_4arch9wavefront6targetE0EEEvS12_,"axG",@progbits,_ZN7rocprim17ROCPRIM_400000_NS6detail17trampoline_kernelINS0_13select_configILj256ELj13ELNS0_17block_load_methodE3ELS4_3ELS4_3ELNS0_20block_scan_algorithmE0ELj4294967295EEENS1_25partition_config_selectorILNS1_17partition_subalgoE4EjNS0_10empty_typeEbEEZZNS1_14partition_implILS8_4ELb0ES6_15HIP_vector_typeIjLj2EENS0_17counting_iteratorIjlEEPS9_SG_NS0_5tupleIJPjSI_NS0_16reverse_iteratorISI_EEEEENSH_IJSG_SG_SG_EEES9_SI_JZNS1_25segmented_radix_sort_implINS0_14default_configELb1EPKiPiPKlPlN2at6native12_GLOBAL__N_18offset_tEEE10hipError_tPvRmT1_PNSt15iterator_traitsIS12_E10value_typeET2_T3_PNS13_IS18_E10value_typeET4_jRbjT5_S1E_jjP12ihipStream_tbEUljE_ZNSN_ISO_Lb1ESQ_SR_ST_SU_SY_EESZ_S10_S11_S12_S16_S17_S18_S1B_S1C_jS1D_jS1E_S1E_jjS1G_bEUljE0_EEESZ_S10_S11_S18_S1C_S1E_T6_T7_T9_mT8_S1G_bDpT10_ENKUlT_T0_E_clISt17integral_constantIbLb0EES1U_EEDaS1P_S1Q_EUlS1P_E_NS1_11comp_targetILNS1_3genE5ELNS1_11target_archE942ELNS1_3gpuE9ELNS1_3repE0EEENS1_30default_config_static_selectorELNS0_4arch9wavefront6targetE0EEEvS12_,comdat
	.globl	_ZN7rocprim17ROCPRIM_400000_NS6detail17trampoline_kernelINS0_13select_configILj256ELj13ELNS0_17block_load_methodE3ELS4_3ELS4_3ELNS0_20block_scan_algorithmE0ELj4294967295EEENS1_25partition_config_selectorILNS1_17partition_subalgoE4EjNS0_10empty_typeEbEEZZNS1_14partition_implILS8_4ELb0ES6_15HIP_vector_typeIjLj2EENS0_17counting_iteratorIjlEEPS9_SG_NS0_5tupleIJPjSI_NS0_16reverse_iteratorISI_EEEEENSH_IJSG_SG_SG_EEES9_SI_JZNS1_25segmented_radix_sort_implINS0_14default_configELb1EPKiPiPKlPlN2at6native12_GLOBAL__N_18offset_tEEE10hipError_tPvRmT1_PNSt15iterator_traitsIS12_E10value_typeET2_T3_PNS13_IS18_E10value_typeET4_jRbjT5_S1E_jjP12ihipStream_tbEUljE_ZNSN_ISO_Lb1ESQ_SR_ST_SU_SY_EESZ_S10_S11_S12_S16_S17_S18_S1B_S1C_jS1D_jS1E_S1E_jjS1G_bEUljE0_EEESZ_S10_S11_S18_S1C_S1E_T6_T7_T9_mT8_S1G_bDpT10_ENKUlT_T0_E_clISt17integral_constantIbLb0EES1U_EEDaS1P_S1Q_EUlS1P_E_NS1_11comp_targetILNS1_3genE5ELNS1_11target_archE942ELNS1_3gpuE9ELNS1_3repE0EEENS1_30default_config_static_selectorELNS0_4arch9wavefront6targetE0EEEvS12_ ; -- Begin function _ZN7rocprim17ROCPRIM_400000_NS6detail17trampoline_kernelINS0_13select_configILj256ELj13ELNS0_17block_load_methodE3ELS4_3ELS4_3ELNS0_20block_scan_algorithmE0ELj4294967295EEENS1_25partition_config_selectorILNS1_17partition_subalgoE4EjNS0_10empty_typeEbEEZZNS1_14partition_implILS8_4ELb0ES6_15HIP_vector_typeIjLj2EENS0_17counting_iteratorIjlEEPS9_SG_NS0_5tupleIJPjSI_NS0_16reverse_iteratorISI_EEEEENSH_IJSG_SG_SG_EEES9_SI_JZNS1_25segmented_radix_sort_implINS0_14default_configELb1EPKiPiPKlPlN2at6native12_GLOBAL__N_18offset_tEEE10hipError_tPvRmT1_PNSt15iterator_traitsIS12_E10value_typeET2_T3_PNS13_IS18_E10value_typeET4_jRbjT5_S1E_jjP12ihipStream_tbEUljE_ZNSN_ISO_Lb1ESQ_SR_ST_SU_SY_EESZ_S10_S11_S12_S16_S17_S18_S1B_S1C_jS1D_jS1E_S1E_jjS1G_bEUljE0_EEESZ_S10_S11_S18_S1C_S1E_T6_T7_T9_mT8_S1G_bDpT10_ENKUlT_T0_E_clISt17integral_constantIbLb0EES1U_EEDaS1P_S1Q_EUlS1P_E_NS1_11comp_targetILNS1_3genE5ELNS1_11target_archE942ELNS1_3gpuE9ELNS1_3repE0EEENS1_30default_config_static_selectorELNS0_4arch9wavefront6targetE0EEEvS12_
	.p2align	8
	.type	_ZN7rocprim17ROCPRIM_400000_NS6detail17trampoline_kernelINS0_13select_configILj256ELj13ELNS0_17block_load_methodE3ELS4_3ELS4_3ELNS0_20block_scan_algorithmE0ELj4294967295EEENS1_25partition_config_selectorILNS1_17partition_subalgoE4EjNS0_10empty_typeEbEEZZNS1_14partition_implILS8_4ELb0ES6_15HIP_vector_typeIjLj2EENS0_17counting_iteratorIjlEEPS9_SG_NS0_5tupleIJPjSI_NS0_16reverse_iteratorISI_EEEEENSH_IJSG_SG_SG_EEES9_SI_JZNS1_25segmented_radix_sort_implINS0_14default_configELb1EPKiPiPKlPlN2at6native12_GLOBAL__N_18offset_tEEE10hipError_tPvRmT1_PNSt15iterator_traitsIS12_E10value_typeET2_T3_PNS13_IS18_E10value_typeET4_jRbjT5_S1E_jjP12ihipStream_tbEUljE_ZNSN_ISO_Lb1ESQ_SR_ST_SU_SY_EESZ_S10_S11_S12_S16_S17_S18_S1B_S1C_jS1D_jS1E_S1E_jjS1G_bEUljE0_EEESZ_S10_S11_S18_S1C_S1E_T6_T7_T9_mT8_S1G_bDpT10_ENKUlT_T0_E_clISt17integral_constantIbLb0EES1U_EEDaS1P_S1Q_EUlS1P_E_NS1_11comp_targetILNS1_3genE5ELNS1_11target_archE942ELNS1_3gpuE9ELNS1_3repE0EEENS1_30default_config_static_selectorELNS0_4arch9wavefront6targetE0EEEvS12_,@function
_ZN7rocprim17ROCPRIM_400000_NS6detail17trampoline_kernelINS0_13select_configILj256ELj13ELNS0_17block_load_methodE3ELS4_3ELS4_3ELNS0_20block_scan_algorithmE0ELj4294967295EEENS1_25partition_config_selectorILNS1_17partition_subalgoE4EjNS0_10empty_typeEbEEZZNS1_14partition_implILS8_4ELb0ES6_15HIP_vector_typeIjLj2EENS0_17counting_iteratorIjlEEPS9_SG_NS0_5tupleIJPjSI_NS0_16reverse_iteratorISI_EEEEENSH_IJSG_SG_SG_EEES9_SI_JZNS1_25segmented_radix_sort_implINS0_14default_configELb1EPKiPiPKlPlN2at6native12_GLOBAL__N_18offset_tEEE10hipError_tPvRmT1_PNSt15iterator_traitsIS12_E10value_typeET2_T3_PNS13_IS18_E10value_typeET4_jRbjT5_S1E_jjP12ihipStream_tbEUljE_ZNSN_ISO_Lb1ESQ_SR_ST_SU_SY_EESZ_S10_S11_S12_S16_S17_S18_S1B_S1C_jS1D_jS1E_S1E_jjS1G_bEUljE0_EEESZ_S10_S11_S18_S1C_S1E_T6_T7_T9_mT8_S1G_bDpT10_ENKUlT_T0_E_clISt17integral_constantIbLb0EES1U_EEDaS1P_S1Q_EUlS1P_E_NS1_11comp_targetILNS1_3genE5ELNS1_11target_archE942ELNS1_3gpuE9ELNS1_3repE0EEENS1_30default_config_static_selectorELNS0_4arch9wavefront6targetE0EEEvS12_: ; @_ZN7rocprim17ROCPRIM_400000_NS6detail17trampoline_kernelINS0_13select_configILj256ELj13ELNS0_17block_load_methodE3ELS4_3ELS4_3ELNS0_20block_scan_algorithmE0ELj4294967295EEENS1_25partition_config_selectorILNS1_17partition_subalgoE4EjNS0_10empty_typeEbEEZZNS1_14partition_implILS8_4ELb0ES6_15HIP_vector_typeIjLj2EENS0_17counting_iteratorIjlEEPS9_SG_NS0_5tupleIJPjSI_NS0_16reverse_iteratorISI_EEEEENSH_IJSG_SG_SG_EEES9_SI_JZNS1_25segmented_radix_sort_implINS0_14default_configELb1EPKiPiPKlPlN2at6native12_GLOBAL__N_18offset_tEEE10hipError_tPvRmT1_PNSt15iterator_traitsIS12_E10value_typeET2_T3_PNS13_IS18_E10value_typeET4_jRbjT5_S1E_jjP12ihipStream_tbEUljE_ZNSN_ISO_Lb1ESQ_SR_ST_SU_SY_EESZ_S10_S11_S12_S16_S17_S18_S1B_S1C_jS1D_jS1E_S1E_jjS1G_bEUljE0_EEESZ_S10_S11_S18_S1C_S1E_T6_T7_T9_mT8_S1G_bDpT10_ENKUlT_T0_E_clISt17integral_constantIbLb0EES1U_EEDaS1P_S1Q_EUlS1P_E_NS1_11comp_targetILNS1_3genE5ELNS1_11target_archE942ELNS1_3gpuE9ELNS1_3repE0EEENS1_30default_config_static_selectorELNS0_4arch9wavefront6targetE0EEEvS12_
; %bb.0:
	.section	.rodata,"a",@progbits
	.p2align	6, 0x0
	.amdhsa_kernel _ZN7rocprim17ROCPRIM_400000_NS6detail17trampoline_kernelINS0_13select_configILj256ELj13ELNS0_17block_load_methodE3ELS4_3ELS4_3ELNS0_20block_scan_algorithmE0ELj4294967295EEENS1_25partition_config_selectorILNS1_17partition_subalgoE4EjNS0_10empty_typeEbEEZZNS1_14partition_implILS8_4ELb0ES6_15HIP_vector_typeIjLj2EENS0_17counting_iteratorIjlEEPS9_SG_NS0_5tupleIJPjSI_NS0_16reverse_iteratorISI_EEEEENSH_IJSG_SG_SG_EEES9_SI_JZNS1_25segmented_radix_sort_implINS0_14default_configELb1EPKiPiPKlPlN2at6native12_GLOBAL__N_18offset_tEEE10hipError_tPvRmT1_PNSt15iterator_traitsIS12_E10value_typeET2_T3_PNS13_IS18_E10value_typeET4_jRbjT5_S1E_jjP12ihipStream_tbEUljE_ZNSN_ISO_Lb1ESQ_SR_ST_SU_SY_EESZ_S10_S11_S12_S16_S17_S18_S1B_S1C_jS1D_jS1E_S1E_jjS1G_bEUljE0_EEESZ_S10_S11_S18_S1C_S1E_T6_T7_T9_mT8_S1G_bDpT10_ENKUlT_T0_E_clISt17integral_constantIbLb0EES1U_EEDaS1P_S1Q_EUlS1P_E_NS1_11comp_targetILNS1_3genE5ELNS1_11target_archE942ELNS1_3gpuE9ELNS1_3repE0EEENS1_30default_config_static_selectorELNS0_4arch9wavefront6targetE0EEEvS12_
		.amdhsa_group_segment_fixed_size 0
		.amdhsa_private_segment_fixed_size 0
		.amdhsa_kernarg_size 176
		.amdhsa_user_sgpr_count 15
		.amdhsa_user_sgpr_dispatch_ptr 0
		.amdhsa_user_sgpr_queue_ptr 0
		.amdhsa_user_sgpr_kernarg_segment_ptr 1
		.amdhsa_user_sgpr_dispatch_id 0
		.amdhsa_user_sgpr_private_segment_size 0
		.amdhsa_wavefront_size32 1
		.amdhsa_uses_dynamic_stack 0
		.amdhsa_enable_private_segment 0
		.amdhsa_system_sgpr_workgroup_id_x 1
		.amdhsa_system_sgpr_workgroup_id_y 0
		.amdhsa_system_sgpr_workgroup_id_z 0
		.amdhsa_system_sgpr_workgroup_info 0
		.amdhsa_system_vgpr_workitem_id 0
		.amdhsa_next_free_vgpr 1
		.amdhsa_next_free_sgpr 1
		.amdhsa_reserve_vcc 0
		.amdhsa_float_round_mode_32 0
		.amdhsa_float_round_mode_16_64 0
		.amdhsa_float_denorm_mode_32 3
		.amdhsa_float_denorm_mode_16_64 3
		.amdhsa_dx10_clamp 1
		.amdhsa_ieee_mode 1
		.amdhsa_fp16_overflow 0
		.amdhsa_workgroup_processor_mode 1
		.amdhsa_memory_ordered 1
		.amdhsa_forward_progress 0
		.amdhsa_shared_vgpr_count 0
		.amdhsa_exception_fp_ieee_invalid_op 0
		.amdhsa_exception_fp_denorm_src 0
		.amdhsa_exception_fp_ieee_div_zero 0
		.amdhsa_exception_fp_ieee_overflow 0
		.amdhsa_exception_fp_ieee_underflow 0
		.amdhsa_exception_fp_ieee_inexact 0
		.amdhsa_exception_int_div_zero 0
	.end_amdhsa_kernel
	.section	.text._ZN7rocprim17ROCPRIM_400000_NS6detail17trampoline_kernelINS0_13select_configILj256ELj13ELNS0_17block_load_methodE3ELS4_3ELS4_3ELNS0_20block_scan_algorithmE0ELj4294967295EEENS1_25partition_config_selectorILNS1_17partition_subalgoE4EjNS0_10empty_typeEbEEZZNS1_14partition_implILS8_4ELb0ES6_15HIP_vector_typeIjLj2EENS0_17counting_iteratorIjlEEPS9_SG_NS0_5tupleIJPjSI_NS0_16reverse_iteratorISI_EEEEENSH_IJSG_SG_SG_EEES9_SI_JZNS1_25segmented_radix_sort_implINS0_14default_configELb1EPKiPiPKlPlN2at6native12_GLOBAL__N_18offset_tEEE10hipError_tPvRmT1_PNSt15iterator_traitsIS12_E10value_typeET2_T3_PNS13_IS18_E10value_typeET4_jRbjT5_S1E_jjP12ihipStream_tbEUljE_ZNSN_ISO_Lb1ESQ_SR_ST_SU_SY_EESZ_S10_S11_S12_S16_S17_S18_S1B_S1C_jS1D_jS1E_S1E_jjS1G_bEUljE0_EEESZ_S10_S11_S18_S1C_S1E_T6_T7_T9_mT8_S1G_bDpT10_ENKUlT_T0_E_clISt17integral_constantIbLb0EES1U_EEDaS1P_S1Q_EUlS1P_E_NS1_11comp_targetILNS1_3genE5ELNS1_11target_archE942ELNS1_3gpuE9ELNS1_3repE0EEENS1_30default_config_static_selectorELNS0_4arch9wavefront6targetE0EEEvS12_,"axG",@progbits,_ZN7rocprim17ROCPRIM_400000_NS6detail17trampoline_kernelINS0_13select_configILj256ELj13ELNS0_17block_load_methodE3ELS4_3ELS4_3ELNS0_20block_scan_algorithmE0ELj4294967295EEENS1_25partition_config_selectorILNS1_17partition_subalgoE4EjNS0_10empty_typeEbEEZZNS1_14partition_implILS8_4ELb0ES6_15HIP_vector_typeIjLj2EENS0_17counting_iteratorIjlEEPS9_SG_NS0_5tupleIJPjSI_NS0_16reverse_iteratorISI_EEEEENSH_IJSG_SG_SG_EEES9_SI_JZNS1_25segmented_radix_sort_implINS0_14default_configELb1EPKiPiPKlPlN2at6native12_GLOBAL__N_18offset_tEEE10hipError_tPvRmT1_PNSt15iterator_traitsIS12_E10value_typeET2_T3_PNS13_IS18_E10value_typeET4_jRbjT5_S1E_jjP12ihipStream_tbEUljE_ZNSN_ISO_Lb1ESQ_SR_ST_SU_SY_EESZ_S10_S11_S12_S16_S17_S18_S1B_S1C_jS1D_jS1E_S1E_jjS1G_bEUljE0_EEESZ_S10_S11_S18_S1C_S1E_T6_T7_T9_mT8_S1G_bDpT10_ENKUlT_T0_E_clISt17integral_constantIbLb0EES1U_EEDaS1P_S1Q_EUlS1P_E_NS1_11comp_targetILNS1_3genE5ELNS1_11target_archE942ELNS1_3gpuE9ELNS1_3repE0EEENS1_30default_config_static_selectorELNS0_4arch9wavefront6targetE0EEEvS12_,comdat
.Lfunc_end434:
	.size	_ZN7rocprim17ROCPRIM_400000_NS6detail17trampoline_kernelINS0_13select_configILj256ELj13ELNS0_17block_load_methodE3ELS4_3ELS4_3ELNS0_20block_scan_algorithmE0ELj4294967295EEENS1_25partition_config_selectorILNS1_17partition_subalgoE4EjNS0_10empty_typeEbEEZZNS1_14partition_implILS8_4ELb0ES6_15HIP_vector_typeIjLj2EENS0_17counting_iteratorIjlEEPS9_SG_NS0_5tupleIJPjSI_NS0_16reverse_iteratorISI_EEEEENSH_IJSG_SG_SG_EEES9_SI_JZNS1_25segmented_radix_sort_implINS0_14default_configELb1EPKiPiPKlPlN2at6native12_GLOBAL__N_18offset_tEEE10hipError_tPvRmT1_PNSt15iterator_traitsIS12_E10value_typeET2_T3_PNS13_IS18_E10value_typeET4_jRbjT5_S1E_jjP12ihipStream_tbEUljE_ZNSN_ISO_Lb1ESQ_SR_ST_SU_SY_EESZ_S10_S11_S12_S16_S17_S18_S1B_S1C_jS1D_jS1E_S1E_jjS1G_bEUljE0_EEESZ_S10_S11_S18_S1C_S1E_T6_T7_T9_mT8_S1G_bDpT10_ENKUlT_T0_E_clISt17integral_constantIbLb0EES1U_EEDaS1P_S1Q_EUlS1P_E_NS1_11comp_targetILNS1_3genE5ELNS1_11target_archE942ELNS1_3gpuE9ELNS1_3repE0EEENS1_30default_config_static_selectorELNS0_4arch9wavefront6targetE0EEEvS12_, .Lfunc_end434-_ZN7rocprim17ROCPRIM_400000_NS6detail17trampoline_kernelINS0_13select_configILj256ELj13ELNS0_17block_load_methodE3ELS4_3ELS4_3ELNS0_20block_scan_algorithmE0ELj4294967295EEENS1_25partition_config_selectorILNS1_17partition_subalgoE4EjNS0_10empty_typeEbEEZZNS1_14partition_implILS8_4ELb0ES6_15HIP_vector_typeIjLj2EENS0_17counting_iteratorIjlEEPS9_SG_NS0_5tupleIJPjSI_NS0_16reverse_iteratorISI_EEEEENSH_IJSG_SG_SG_EEES9_SI_JZNS1_25segmented_radix_sort_implINS0_14default_configELb1EPKiPiPKlPlN2at6native12_GLOBAL__N_18offset_tEEE10hipError_tPvRmT1_PNSt15iterator_traitsIS12_E10value_typeET2_T3_PNS13_IS18_E10value_typeET4_jRbjT5_S1E_jjP12ihipStream_tbEUljE_ZNSN_ISO_Lb1ESQ_SR_ST_SU_SY_EESZ_S10_S11_S12_S16_S17_S18_S1B_S1C_jS1D_jS1E_S1E_jjS1G_bEUljE0_EEESZ_S10_S11_S18_S1C_S1E_T6_T7_T9_mT8_S1G_bDpT10_ENKUlT_T0_E_clISt17integral_constantIbLb0EES1U_EEDaS1P_S1Q_EUlS1P_E_NS1_11comp_targetILNS1_3genE5ELNS1_11target_archE942ELNS1_3gpuE9ELNS1_3repE0EEENS1_30default_config_static_selectorELNS0_4arch9wavefront6targetE0EEEvS12_
                                        ; -- End function
	.section	.AMDGPU.csdata,"",@progbits
; Kernel info:
; codeLenInByte = 0
; NumSgprs: 0
; NumVgprs: 0
; ScratchSize: 0
; MemoryBound: 0
; FloatMode: 240
; IeeeMode: 1
; LDSByteSize: 0 bytes/workgroup (compile time only)
; SGPRBlocks: 0
; VGPRBlocks: 0
; NumSGPRsForWavesPerEU: 1
; NumVGPRsForWavesPerEU: 1
; Occupancy: 16
; WaveLimiterHint : 0
; COMPUTE_PGM_RSRC2:SCRATCH_EN: 0
; COMPUTE_PGM_RSRC2:USER_SGPR: 15
; COMPUTE_PGM_RSRC2:TRAP_HANDLER: 0
; COMPUTE_PGM_RSRC2:TGID_X_EN: 1
; COMPUTE_PGM_RSRC2:TGID_Y_EN: 0
; COMPUTE_PGM_RSRC2:TGID_Z_EN: 0
; COMPUTE_PGM_RSRC2:TIDIG_COMP_CNT: 0
	.section	.text._ZN7rocprim17ROCPRIM_400000_NS6detail17trampoline_kernelINS0_13select_configILj256ELj13ELNS0_17block_load_methodE3ELS4_3ELS4_3ELNS0_20block_scan_algorithmE0ELj4294967295EEENS1_25partition_config_selectorILNS1_17partition_subalgoE4EjNS0_10empty_typeEbEEZZNS1_14partition_implILS8_4ELb0ES6_15HIP_vector_typeIjLj2EENS0_17counting_iteratorIjlEEPS9_SG_NS0_5tupleIJPjSI_NS0_16reverse_iteratorISI_EEEEENSH_IJSG_SG_SG_EEES9_SI_JZNS1_25segmented_radix_sort_implINS0_14default_configELb1EPKiPiPKlPlN2at6native12_GLOBAL__N_18offset_tEEE10hipError_tPvRmT1_PNSt15iterator_traitsIS12_E10value_typeET2_T3_PNS13_IS18_E10value_typeET4_jRbjT5_S1E_jjP12ihipStream_tbEUljE_ZNSN_ISO_Lb1ESQ_SR_ST_SU_SY_EESZ_S10_S11_S12_S16_S17_S18_S1B_S1C_jS1D_jS1E_S1E_jjS1G_bEUljE0_EEESZ_S10_S11_S18_S1C_S1E_T6_T7_T9_mT8_S1G_bDpT10_ENKUlT_T0_E_clISt17integral_constantIbLb0EES1U_EEDaS1P_S1Q_EUlS1P_E_NS1_11comp_targetILNS1_3genE4ELNS1_11target_archE910ELNS1_3gpuE8ELNS1_3repE0EEENS1_30default_config_static_selectorELNS0_4arch9wavefront6targetE0EEEvS12_,"axG",@progbits,_ZN7rocprim17ROCPRIM_400000_NS6detail17trampoline_kernelINS0_13select_configILj256ELj13ELNS0_17block_load_methodE3ELS4_3ELS4_3ELNS0_20block_scan_algorithmE0ELj4294967295EEENS1_25partition_config_selectorILNS1_17partition_subalgoE4EjNS0_10empty_typeEbEEZZNS1_14partition_implILS8_4ELb0ES6_15HIP_vector_typeIjLj2EENS0_17counting_iteratorIjlEEPS9_SG_NS0_5tupleIJPjSI_NS0_16reverse_iteratorISI_EEEEENSH_IJSG_SG_SG_EEES9_SI_JZNS1_25segmented_radix_sort_implINS0_14default_configELb1EPKiPiPKlPlN2at6native12_GLOBAL__N_18offset_tEEE10hipError_tPvRmT1_PNSt15iterator_traitsIS12_E10value_typeET2_T3_PNS13_IS18_E10value_typeET4_jRbjT5_S1E_jjP12ihipStream_tbEUljE_ZNSN_ISO_Lb1ESQ_SR_ST_SU_SY_EESZ_S10_S11_S12_S16_S17_S18_S1B_S1C_jS1D_jS1E_S1E_jjS1G_bEUljE0_EEESZ_S10_S11_S18_S1C_S1E_T6_T7_T9_mT8_S1G_bDpT10_ENKUlT_T0_E_clISt17integral_constantIbLb0EES1U_EEDaS1P_S1Q_EUlS1P_E_NS1_11comp_targetILNS1_3genE4ELNS1_11target_archE910ELNS1_3gpuE8ELNS1_3repE0EEENS1_30default_config_static_selectorELNS0_4arch9wavefront6targetE0EEEvS12_,comdat
	.globl	_ZN7rocprim17ROCPRIM_400000_NS6detail17trampoline_kernelINS0_13select_configILj256ELj13ELNS0_17block_load_methodE3ELS4_3ELS4_3ELNS0_20block_scan_algorithmE0ELj4294967295EEENS1_25partition_config_selectorILNS1_17partition_subalgoE4EjNS0_10empty_typeEbEEZZNS1_14partition_implILS8_4ELb0ES6_15HIP_vector_typeIjLj2EENS0_17counting_iteratorIjlEEPS9_SG_NS0_5tupleIJPjSI_NS0_16reverse_iteratorISI_EEEEENSH_IJSG_SG_SG_EEES9_SI_JZNS1_25segmented_radix_sort_implINS0_14default_configELb1EPKiPiPKlPlN2at6native12_GLOBAL__N_18offset_tEEE10hipError_tPvRmT1_PNSt15iterator_traitsIS12_E10value_typeET2_T3_PNS13_IS18_E10value_typeET4_jRbjT5_S1E_jjP12ihipStream_tbEUljE_ZNSN_ISO_Lb1ESQ_SR_ST_SU_SY_EESZ_S10_S11_S12_S16_S17_S18_S1B_S1C_jS1D_jS1E_S1E_jjS1G_bEUljE0_EEESZ_S10_S11_S18_S1C_S1E_T6_T7_T9_mT8_S1G_bDpT10_ENKUlT_T0_E_clISt17integral_constantIbLb0EES1U_EEDaS1P_S1Q_EUlS1P_E_NS1_11comp_targetILNS1_3genE4ELNS1_11target_archE910ELNS1_3gpuE8ELNS1_3repE0EEENS1_30default_config_static_selectorELNS0_4arch9wavefront6targetE0EEEvS12_ ; -- Begin function _ZN7rocprim17ROCPRIM_400000_NS6detail17trampoline_kernelINS0_13select_configILj256ELj13ELNS0_17block_load_methodE3ELS4_3ELS4_3ELNS0_20block_scan_algorithmE0ELj4294967295EEENS1_25partition_config_selectorILNS1_17partition_subalgoE4EjNS0_10empty_typeEbEEZZNS1_14partition_implILS8_4ELb0ES6_15HIP_vector_typeIjLj2EENS0_17counting_iteratorIjlEEPS9_SG_NS0_5tupleIJPjSI_NS0_16reverse_iteratorISI_EEEEENSH_IJSG_SG_SG_EEES9_SI_JZNS1_25segmented_radix_sort_implINS0_14default_configELb1EPKiPiPKlPlN2at6native12_GLOBAL__N_18offset_tEEE10hipError_tPvRmT1_PNSt15iterator_traitsIS12_E10value_typeET2_T3_PNS13_IS18_E10value_typeET4_jRbjT5_S1E_jjP12ihipStream_tbEUljE_ZNSN_ISO_Lb1ESQ_SR_ST_SU_SY_EESZ_S10_S11_S12_S16_S17_S18_S1B_S1C_jS1D_jS1E_S1E_jjS1G_bEUljE0_EEESZ_S10_S11_S18_S1C_S1E_T6_T7_T9_mT8_S1G_bDpT10_ENKUlT_T0_E_clISt17integral_constantIbLb0EES1U_EEDaS1P_S1Q_EUlS1P_E_NS1_11comp_targetILNS1_3genE4ELNS1_11target_archE910ELNS1_3gpuE8ELNS1_3repE0EEENS1_30default_config_static_selectorELNS0_4arch9wavefront6targetE0EEEvS12_
	.p2align	8
	.type	_ZN7rocprim17ROCPRIM_400000_NS6detail17trampoline_kernelINS0_13select_configILj256ELj13ELNS0_17block_load_methodE3ELS4_3ELS4_3ELNS0_20block_scan_algorithmE0ELj4294967295EEENS1_25partition_config_selectorILNS1_17partition_subalgoE4EjNS0_10empty_typeEbEEZZNS1_14partition_implILS8_4ELb0ES6_15HIP_vector_typeIjLj2EENS0_17counting_iteratorIjlEEPS9_SG_NS0_5tupleIJPjSI_NS0_16reverse_iteratorISI_EEEEENSH_IJSG_SG_SG_EEES9_SI_JZNS1_25segmented_radix_sort_implINS0_14default_configELb1EPKiPiPKlPlN2at6native12_GLOBAL__N_18offset_tEEE10hipError_tPvRmT1_PNSt15iterator_traitsIS12_E10value_typeET2_T3_PNS13_IS18_E10value_typeET4_jRbjT5_S1E_jjP12ihipStream_tbEUljE_ZNSN_ISO_Lb1ESQ_SR_ST_SU_SY_EESZ_S10_S11_S12_S16_S17_S18_S1B_S1C_jS1D_jS1E_S1E_jjS1G_bEUljE0_EEESZ_S10_S11_S18_S1C_S1E_T6_T7_T9_mT8_S1G_bDpT10_ENKUlT_T0_E_clISt17integral_constantIbLb0EES1U_EEDaS1P_S1Q_EUlS1P_E_NS1_11comp_targetILNS1_3genE4ELNS1_11target_archE910ELNS1_3gpuE8ELNS1_3repE0EEENS1_30default_config_static_selectorELNS0_4arch9wavefront6targetE0EEEvS12_,@function
_ZN7rocprim17ROCPRIM_400000_NS6detail17trampoline_kernelINS0_13select_configILj256ELj13ELNS0_17block_load_methodE3ELS4_3ELS4_3ELNS0_20block_scan_algorithmE0ELj4294967295EEENS1_25partition_config_selectorILNS1_17partition_subalgoE4EjNS0_10empty_typeEbEEZZNS1_14partition_implILS8_4ELb0ES6_15HIP_vector_typeIjLj2EENS0_17counting_iteratorIjlEEPS9_SG_NS0_5tupleIJPjSI_NS0_16reverse_iteratorISI_EEEEENSH_IJSG_SG_SG_EEES9_SI_JZNS1_25segmented_radix_sort_implINS0_14default_configELb1EPKiPiPKlPlN2at6native12_GLOBAL__N_18offset_tEEE10hipError_tPvRmT1_PNSt15iterator_traitsIS12_E10value_typeET2_T3_PNS13_IS18_E10value_typeET4_jRbjT5_S1E_jjP12ihipStream_tbEUljE_ZNSN_ISO_Lb1ESQ_SR_ST_SU_SY_EESZ_S10_S11_S12_S16_S17_S18_S1B_S1C_jS1D_jS1E_S1E_jjS1G_bEUljE0_EEESZ_S10_S11_S18_S1C_S1E_T6_T7_T9_mT8_S1G_bDpT10_ENKUlT_T0_E_clISt17integral_constantIbLb0EES1U_EEDaS1P_S1Q_EUlS1P_E_NS1_11comp_targetILNS1_3genE4ELNS1_11target_archE910ELNS1_3gpuE8ELNS1_3repE0EEENS1_30default_config_static_selectorELNS0_4arch9wavefront6targetE0EEEvS12_: ; @_ZN7rocprim17ROCPRIM_400000_NS6detail17trampoline_kernelINS0_13select_configILj256ELj13ELNS0_17block_load_methodE3ELS4_3ELS4_3ELNS0_20block_scan_algorithmE0ELj4294967295EEENS1_25partition_config_selectorILNS1_17partition_subalgoE4EjNS0_10empty_typeEbEEZZNS1_14partition_implILS8_4ELb0ES6_15HIP_vector_typeIjLj2EENS0_17counting_iteratorIjlEEPS9_SG_NS0_5tupleIJPjSI_NS0_16reverse_iteratorISI_EEEEENSH_IJSG_SG_SG_EEES9_SI_JZNS1_25segmented_radix_sort_implINS0_14default_configELb1EPKiPiPKlPlN2at6native12_GLOBAL__N_18offset_tEEE10hipError_tPvRmT1_PNSt15iterator_traitsIS12_E10value_typeET2_T3_PNS13_IS18_E10value_typeET4_jRbjT5_S1E_jjP12ihipStream_tbEUljE_ZNSN_ISO_Lb1ESQ_SR_ST_SU_SY_EESZ_S10_S11_S12_S16_S17_S18_S1B_S1C_jS1D_jS1E_S1E_jjS1G_bEUljE0_EEESZ_S10_S11_S18_S1C_S1E_T6_T7_T9_mT8_S1G_bDpT10_ENKUlT_T0_E_clISt17integral_constantIbLb0EES1U_EEDaS1P_S1Q_EUlS1P_E_NS1_11comp_targetILNS1_3genE4ELNS1_11target_archE910ELNS1_3gpuE8ELNS1_3repE0EEENS1_30default_config_static_selectorELNS0_4arch9wavefront6targetE0EEEvS12_
; %bb.0:
	.section	.rodata,"a",@progbits
	.p2align	6, 0x0
	.amdhsa_kernel _ZN7rocprim17ROCPRIM_400000_NS6detail17trampoline_kernelINS0_13select_configILj256ELj13ELNS0_17block_load_methodE3ELS4_3ELS4_3ELNS0_20block_scan_algorithmE0ELj4294967295EEENS1_25partition_config_selectorILNS1_17partition_subalgoE4EjNS0_10empty_typeEbEEZZNS1_14partition_implILS8_4ELb0ES6_15HIP_vector_typeIjLj2EENS0_17counting_iteratorIjlEEPS9_SG_NS0_5tupleIJPjSI_NS0_16reverse_iteratorISI_EEEEENSH_IJSG_SG_SG_EEES9_SI_JZNS1_25segmented_radix_sort_implINS0_14default_configELb1EPKiPiPKlPlN2at6native12_GLOBAL__N_18offset_tEEE10hipError_tPvRmT1_PNSt15iterator_traitsIS12_E10value_typeET2_T3_PNS13_IS18_E10value_typeET4_jRbjT5_S1E_jjP12ihipStream_tbEUljE_ZNSN_ISO_Lb1ESQ_SR_ST_SU_SY_EESZ_S10_S11_S12_S16_S17_S18_S1B_S1C_jS1D_jS1E_S1E_jjS1G_bEUljE0_EEESZ_S10_S11_S18_S1C_S1E_T6_T7_T9_mT8_S1G_bDpT10_ENKUlT_T0_E_clISt17integral_constantIbLb0EES1U_EEDaS1P_S1Q_EUlS1P_E_NS1_11comp_targetILNS1_3genE4ELNS1_11target_archE910ELNS1_3gpuE8ELNS1_3repE0EEENS1_30default_config_static_selectorELNS0_4arch9wavefront6targetE0EEEvS12_
		.amdhsa_group_segment_fixed_size 0
		.amdhsa_private_segment_fixed_size 0
		.amdhsa_kernarg_size 176
		.amdhsa_user_sgpr_count 15
		.amdhsa_user_sgpr_dispatch_ptr 0
		.amdhsa_user_sgpr_queue_ptr 0
		.amdhsa_user_sgpr_kernarg_segment_ptr 1
		.amdhsa_user_sgpr_dispatch_id 0
		.amdhsa_user_sgpr_private_segment_size 0
		.amdhsa_wavefront_size32 1
		.amdhsa_uses_dynamic_stack 0
		.amdhsa_enable_private_segment 0
		.amdhsa_system_sgpr_workgroup_id_x 1
		.amdhsa_system_sgpr_workgroup_id_y 0
		.amdhsa_system_sgpr_workgroup_id_z 0
		.amdhsa_system_sgpr_workgroup_info 0
		.amdhsa_system_vgpr_workitem_id 0
		.amdhsa_next_free_vgpr 1
		.amdhsa_next_free_sgpr 1
		.amdhsa_reserve_vcc 0
		.amdhsa_float_round_mode_32 0
		.amdhsa_float_round_mode_16_64 0
		.amdhsa_float_denorm_mode_32 3
		.amdhsa_float_denorm_mode_16_64 3
		.amdhsa_dx10_clamp 1
		.amdhsa_ieee_mode 1
		.amdhsa_fp16_overflow 0
		.amdhsa_workgroup_processor_mode 1
		.amdhsa_memory_ordered 1
		.amdhsa_forward_progress 0
		.amdhsa_shared_vgpr_count 0
		.amdhsa_exception_fp_ieee_invalid_op 0
		.amdhsa_exception_fp_denorm_src 0
		.amdhsa_exception_fp_ieee_div_zero 0
		.amdhsa_exception_fp_ieee_overflow 0
		.amdhsa_exception_fp_ieee_underflow 0
		.amdhsa_exception_fp_ieee_inexact 0
		.amdhsa_exception_int_div_zero 0
	.end_amdhsa_kernel
	.section	.text._ZN7rocprim17ROCPRIM_400000_NS6detail17trampoline_kernelINS0_13select_configILj256ELj13ELNS0_17block_load_methodE3ELS4_3ELS4_3ELNS0_20block_scan_algorithmE0ELj4294967295EEENS1_25partition_config_selectorILNS1_17partition_subalgoE4EjNS0_10empty_typeEbEEZZNS1_14partition_implILS8_4ELb0ES6_15HIP_vector_typeIjLj2EENS0_17counting_iteratorIjlEEPS9_SG_NS0_5tupleIJPjSI_NS0_16reverse_iteratorISI_EEEEENSH_IJSG_SG_SG_EEES9_SI_JZNS1_25segmented_radix_sort_implINS0_14default_configELb1EPKiPiPKlPlN2at6native12_GLOBAL__N_18offset_tEEE10hipError_tPvRmT1_PNSt15iterator_traitsIS12_E10value_typeET2_T3_PNS13_IS18_E10value_typeET4_jRbjT5_S1E_jjP12ihipStream_tbEUljE_ZNSN_ISO_Lb1ESQ_SR_ST_SU_SY_EESZ_S10_S11_S12_S16_S17_S18_S1B_S1C_jS1D_jS1E_S1E_jjS1G_bEUljE0_EEESZ_S10_S11_S18_S1C_S1E_T6_T7_T9_mT8_S1G_bDpT10_ENKUlT_T0_E_clISt17integral_constantIbLb0EES1U_EEDaS1P_S1Q_EUlS1P_E_NS1_11comp_targetILNS1_3genE4ELNS1_11target_archE910ELNS1_3gpuE8ELNS1_3repE0EEENS1_30default_config_static_selectorELNS0_4arch9wavefront6targetE0EEEvS12_,"axG",@progbits,_ZN7rocprim17ROCPRIM_400000_NS6detail17trampoline_kernelINS0_13select_configILj256ELj13ELNS0_17block_load_methodE3ELS4_3ELS4_3ELNS0_20block_scan_algorithmE0ELj4294967295EEENS1_25partition_config_selectorILNS1_17partition_subalgoE4EjNS0_10empty_typeEbEEZZNS1_14partition_implILS8_4ELb0ES6_15HIP_vector_typeIjLj2EENS0_17counting_iteratorIjlEEPS9_SG_NS0_5tupleIJPjSI_NS0_16reverse_iteratorISI_EEEEENSH_IJSG_SG_SG_EEES9_SI_JZNS1_25segmented_radix_sort_implINS0_14default_configELb1EPKiPiPKlPlN2at6native12_GLOBAL__N_18offset_tEEE10hipError_tPvRmT1_PNSt15iterator_traitsIS12_E10value_typeET2_T3_PNS13_IS18_E10value_typeET4_jRbjT5_S1E_jjP12ihipStream_tbEUljE_ZNSN_ISO_Lb1ESQ_SR_ST_SU_SY_EESZ_S10_S11_S12_S16_S17_S18_S1B_S1C_jS1D_jS1E_S1E_jjS1G_bEUljE0_EEESZ_S10_S11_S18_S1C_S1E_T6_T7_T9_mT8_S1G_bDpT10_ENKUlT_T0_E_clISt17integral_constantIbLb0EES1U_EEDaS1P_S1Q_EUlS1P_E_NS1_11comp_targetILNS1_3genE4ELNS1_11target_archE910ELNS1_3gpuE8ELNS1_3repE0EEENS1_30default_config_static_selectorELNS0_4arch9wavefront6targetE0EEEvS12_,comdat
.Lfunc_end435:
	.size	_ZN7rocprim17ROCPRIM_400000_NS6detail17trampoline_kernelINS0_13select_configILj256ELj13ELNS0_17block_load_methodE3ELS4_3ELS4_3ELNS0_20block_scan_algorithmE0ELj4294967295EEENS1_25partition_config_selectorILNS1_17partition_subalgoE4EjNS0_10empty_typeEbEEZZNS1_14partition_implILS8_4ELb0ES6_15HIP_vector_typeIjLj2EENS0_17counting_iteratorIjlEEPS9_SG_NS0_5tupleIJPjSI_NS0_16reverse_iteratorISI_EEEEENSH_IJSG_SG_SG_EEES9_SI_JZNS1_25segmented_radix_sort_implINS0_14default_configELb1EPKiPiPKlPlN2at6native12_GLOBAL__N_18offset_tEEE10hipError_tPvRmT1_PNSt15iterator_traitsIS12_E10value_typeET2_T3_PNS13_IS18_E10value_typeET4_jRbjT5_S1E_jjP12ihipStream_tbEUljE_ZNSN_ISO_Lb1ESQ_SR_ST_SU_SY_EESZ_S10_S11_S12_S16_S17_S18_S1B_S1C_jS1D_jS1E_S1E_jjS1G_bEUljE0_EEESZ_S10_S11_S18_S1C_S1E_T6_T7_T9_mT8_S1G_bDpT10_ENKUlT_T0_E_clISt17integral_constantIbLb0EES1U_EEDaS1P_S1Q_EUlS1P_E_NS1_11comp_targetILNS1_3genE4ELNS1_11target_archE910ELNS1_3gpuE8ELNS1_3repE0EEENS1_30default_config_static_selectorELNS0_4arch9wavefront6targetE0EEEvS12_, .Lfunc_end435-_ZN7rocprim17ROCPRIM_400000_NS6detail17trampoline_kernelINS0_13select_configILj256ELj13ELNS0_17block_load_methodE3ELS4_3ELS4_3ELNS0_20block_scan_algorithmE0ELj4294967295EEENS1_25partition_config_selectorILNS1_17partition_subalgoE4EjNS0_10empty_typeEbEEZZNS1_14partition_implILS8_4ELb0ES6_15HIP_vector_typeIjLj2EENS0_17counting_iteratorIjlEEPS9_SG_NS0_5tupleIJPjSI_NS0_16reverse_iteratorISI_EEEEENSH_IJSG_SG_SG_EEES9_SI_JZNS1_25segmented_radix_sort_implINS0_14default_configELb1EPKiPiPKlPlN2at6native12_GLOBAL__N_18offset_tEEE10hipError_tPvRmT1_PNSt15iterator_traitsIS12_E10value_typeET2_T3_PNS13_IS18_E10value_typeET4_jRbjT5_S1E_jjP12ihipStream_tbEUljE_ZNSN_ISO_Lb1ESQ_SR_ST_SU_SY_EESZ_S10_S11_S12_S16_S17_S18_S1B_S1C_jS1D_jS1E_S1E_jjS1G_bEUljE0_EEESZ_S10_S11_S18_S1C_S1E_T6_T7_T9_mT8_S1G_bDpT10_ENKUlT_T0_E_clISt17integral_constantIbLb0EES1U_EEDaS1P_S1Q_EUlS1P_E_NS1_11comp_targetILNS1_3genE4ELNS1_11target_archE910ELNS1_3gpuE8ELNS1_3repE0EEENS1_30default_config_static_selectorELNS0_4arch9wavefront6targetE0EEEvS12_
                                        ; -- End function
	.section	.AMDGPU.csdata,"",@progbits
; Kernel info:
; codeLenInByte = 0
; NumSgprs: 0
; NumVgprs: 0
; ScratchSize: 0
; MemoryBound: 0
; FloatMode: 240
; IeeeMode: 1
; LDSByteSize: 0 bytes/workgroup (compile time only)
; SGPRBlocks: 0
; VGPRBlocks: 0
; NumSGPRsForWavesPerEU: 1
; NumVGPRsForWavesPerEU: 1
; Occupancy: 16
; WaveLimiterHint : 0
; COMPUTE_PGM_RSRC2:SCRATCH_EN: 0
; COMPUTE_PGM_RSRC2:USER_SGPR: 15
; COMPUTE_PGM_RSRC2:TRAP_HANDLER: 0
; COMPUTE_PGM_RSRC2:TGID_X_EN: 1
; COMPUTE_PGM_RSRC2:TGID_Y_EN: 0
; COMPUTE_PGM_RSRC2:TGID_Z_EN: 0
; COMPUTE_PGM_RSRC2:TIDIG_COMP_CNT: 0
	.section	.text._ZN7rocprim17ROCPRIM_400000_NS6detail17trampoline_kernelINS0_13select_configILj256ELj13ELNS0_17block_load_methodE3ELS4_3ELS4_3ELNS0_20block_scan_algorithmE0ELj4294967295EEENS1_25partition_config_selectorILNS1_17partition_subalgoE4EjNS0_10empty_typeEbEEZZNS1_14partition_implILS8_4ELb0ES6_15HIP_vector_typeIjLj2EENS0_17counting_iteratorIjlEEPS9_SG_NS0_5tupleIJPjSI_NS0_16reverse_iteratorISI_EEEEENSH_IJSG_SG_SG_EEES9_SI_JZNS1_25segmented_radix_sort_implINS0_14default_configELb1EPKiPiPKlPlN2at6native12_GLOBAL__N_18offset_tEEE10hipError_tPvRmT1_PNSt15iterator_traitsIS12_E10value_typeET2_T3_PNS13_IS18_E10value_typeET4_jRbjT5_S1E_jjP12ihipStream_tbEUljE_ZNSN_ISO_Lb1ESQ_SR_ST_SU_SY_EESZ_S10_S11_S12_S16_S17_S18_S1B_S1C_jS1D_jS1E_S1E_jjS1G_bEUljE0_EEESZ_S10_S11_S18_S1C_S1E_T6_T7_T9_mT8_S1G_bDpT10_ENKUlT_T0_E_clISt17integral_constantIbLb0EES1U_EEDaS1P_S1Q_EUlS1P_E_NS1_11comp_targetILNS1_3genE3ELNS1_11target_archE908ELNS1_3gpuE7ELNS1_3repE0EEENS1_30default_config_static_selectorELNS0_4arch9wavefront6targetE0EEEvS12_,"axG",@progbits,_ZN7rocprim17ROCPRIM_400000_NS6detail17trampoline_kernelINS0_13select_configILj256ELj13ELNS0_17block_load_methodE3ELS4_3ELS4_3ELNS0_20block_scan_algorithmE0ELj4294967295EEENS1_25partition_config_selectorILNS1_17partition_subalgoE4EjNS0_10empty_typeEbEEZZNS1_14partition_implILS8_4ELb0ES6_15HIP_vector_typeIjLj2EENS0_17counting_iteratorIjlEEPS9_SG_NS0_5tupleIJPjSI_NS0_16reverse_iteratorISI_EEEEENSH_IJSG_SG_SG_EEES9_SI_JZNS1_25segmented_radix_sort_implINS0_14default_configELb1EPKiPiPKlPlN2at6native12_GLOBAL__N_18offset_tEEE10hipError_tPvRmT1_PNSt15iterator_traitsIS12_E10value_typeET2_T3_PNS13_IS18_E10value_typeET4_jRbjT5_S1E_jjP12ihipStream_tbEUljE_ZNSN_ISO_Lb1ESQ_SR_ST_SU_SY_EESZ_S10_S11_S12_S16_S17_S18_S1B_S1C_jS1D_jS1E_S1E_jjS1G_bEUljE0_EEESZ_S10_S11_S18_S1C_S1E_T6_T7_T9_mT8_S1G_bDpT10_ENKUlT_T0_E_clISt17integral_constantIbLb0EES1U_EEDaS1P_S1Q_EUlS1P_E_NS1_11comp_targetILNS1_3genE3ELNS1_11target_archE908ELNS1_3gpuE7ELNS1_3repE0EEENS1_30default_config_static_selectorELNS0_4arch9wavefront6targetE0EEEvS12_,comdat
	.globl	_ZN7rocprim17ROCPRIM_400000_NS6detail17trampoline_kernelINS0_13select_configILj256ELj13ELNS0_17block_load_methodE3ELS4_3ELS4_3ELNS0_20block_scan_algorithmE0ELj4294967295EEENS1_25partition_config_selectorILNS1_17partition_subalgoE4EjNS0_10empty_typeEbEEZZNS1_14partition_implILS8_4ELb0ES6_15HIP_vector_typeIjLj2EENS0_17counting_iteratorIjlEEPS9_SG_NS0_5tupleIJPjSI_NS0_16reverse_iteratorISI_EEEEENSH_IJSG_SG_SG_EEES9_SI_JZNS1_25segmented_radix_sort_implINS0_14default_configELb1EPKiPiPKlPlN2at6native12_GLOBAL__N_18offset_tEEE10hipError_tPvRmT1_PNSt15iterator_traitsIS12_E10value_typeET2_T3_PNS13_IS18_E10value_typeET4_jRbjT5_S1E_jjP12ihipStream_tbEUljE_ZNSN_ISO_Lb1ESQ_SR_ST_SU_SY_EESZ_S10_S11_S12_S16_S17_S18_S1B_S1C_jS1D_jS1E_S1E_jjS1G_bEUljE0_EEESZ_S10_S11_S18_S1C_S1E_T6_T7_T9_mT8_S1G_bDpT10_ENKUlT_T0_E_clISt17integral_constantIbLb0EES1U_EEDaS1P_S1Q_EUlS1P_E_NS1_11comp_targetILNS1_3genE3ELNS1_11target_archE908ELNS1_3gpuE7ELNS1_3repE0EEENS1_30default_config_static_selectorELNS0_4arch9wavefront6targetE0EEEvS12_ ; -- Begin function _ZN7rocprim17ROCPRIM_400000_NS6detail17trampoline_kernelINS0_13select_configILj256ELj13ELNS0_17block_load_methodE3ELS4_3ELS4_3ELNS0_20block_scan_algorithmE0ELj4294967295EEENS1_25partition_config_selectorILNS1_17partition_subalgoE4EjNS0_10empty_typeEbEEZZNS1_14partition_implILS8_4ELb0ES6_15HIP_vector_typeIjLj2EENS0_17counting_iteratorIjlEEPS9_SG_NS0_5tupleIJPjSI_NS0_16reverse_iteratorISI_EEEEENSH_IJSG_SG_SG_EEES9_SI_JZNS1_25segmented_radix_sort_implINS0_14default_configELb1EPKiPiPKlPlN2at6native12_GLOBAL__N_18offset_tEEE10hipError_tPvRmT1_PNSt15iterator_traitsIS12_E10value_typeET2_T3_PNS13_IS18_E10value_typeET4_jRbjT5_S1E_jjP12ihipStream_tbEUljE_ZNSN_ISO_Lb1ESQ_SR_ST_SU_SY_EESZ_S10_S11_S12_S16_S17_S18_S1B_S1C_jS1D_jS1E_S1E_jjS1G_bEUljE0_EEESZ_S10_S11_S18_S1C_S1E_T6_T7_T9_mT8_S1G_bDpT10_ENKUlT_T0_E_clISt17integral_constantIbLb0EES1U_EEDaS1P_S1Q_EUlS1P_E_NS1_11comp_targetILNS1_3genE3ELNS1_11target_archE908ELNS1_3gpuE7ELNS1_3repE0EEENS1_30default_config_static_selectorELNS0_4arch9wavefront6targetE0EEEvS12_
	.p2align	8
	.type	_ZN7rocprim17ROCPRIM_400000_NS6detail17trampoline_kernelINS0_13select_configILj256ELj13ELNS0_17block_load_methodE3ELS4_3ELS4_3ELNS0_20block_scan_algorithmE0ELj4294967295EEENS1_25partition_config_selectorILNS1_17partition_subalgoE4EjNS0_10empty_typeEbEEZZNS1_14partition_implILS8_4ELb0ES6_15HIP_vector_typeIjLj2EENS0_17counting_iteratorIjlEEPS9_SG_NS0_5tupleIJPjSI_NS0_16reverse_iteratorISI_EEEEENSH_IJSG_SG_SG_EEES9_SI_JZNS1_25segmented_radix_sort_implINS0_14default_configELb1EPKiPiPKlPlN2at6native12_GLOBAL__N_18offset_tEEE10hipError_tPvRmT1_PNSt15iterator_traitsIS12_E10value_typeET2_T3_PNS13_IS18_E10value_typeET4_jRbjT5_S1E_jjP12ihipStream_tbEUljE_ZNSN_ISO_Lb1ESQ_SR_ST_SU_SY_EESZ_S10_S11_S12_S16_S17_S18_S1B_S1C_jS1D_jS1E_S1E_jjS1G_bEUljE0_EEESZ_S10_S11_S18_S1C_S1E_T6_T7_T9_mT8_S1G_bDpT10_ENKUlT_T0_E_clISt17integral_constantIbLb0EES1U_EEDaS1P_S1Q_EUlS1P_E_NS1_11comp_targetILNS1_3genE3ELNS1_11target_archE908ELNS1_3gpuE7ELNS1_3repE0EEENS1_30default_config_static_selectorELNS0_4arch9wavefront6targetE0EEEvS12_,@function
_ZN7rocprim17ROCPRIM_400000_NS6detail17trampoline_kernelINS0_13select_configILj256ELj13ELNS0_17block_load_methodE3ELS4_3ELS4_3ELNS0_20block_scan_algorithmE0ELj4294967295EEENS1_25partition_config_selectorILNS1_17partition_subalgoE4EjNS0_10empty_typeEbEEZZNS1_14partition_implILS8_4ELb0ES6_15HIP_vector_typeIjLj2EENS0_17counting_iteratorIjlEEPS9_SG_NS0_5tupleIJPjSI_NS0_16reverse_iteratorISI_EEEEENSH_IJSG_SG_SG_EEES9_SI_JZNS1_25segmented_radix_sort_implINS0_14default_configELb1EPKiPiPKlPlN2at6native12_GLOBAL__N_18offset_tEEE10hipError_tPvRmT1_PNSt15iterator_traitsIS12_E10value_typeET2_T3_PNS13_IS18_E10value_typeET4_jRbjT5_S1E_jjP12ihipStream_tbEUljE_ZNSN_ISO_Lb1ESQ_SR_ST_SU_SY_EESZ_S10_S11_S12_S16_S17_S18_S1B_S1C_jS1D_jS1E_S1E_jjS1G_bEUljE0_EEESZ_S10_S11_S18_S1C_S1E_T6_T7_T9_mT8_S1G_bDpT10_ENKUlT_T0_E_clISt17integral_constantIbLb0EES1U_EEDaS1P_S1Q_EUlS1P_E_NS1_11comp_targetILNS1_3genE3ELNS1_11target_archE908ELNS1_3gpuE7ELNS1_3repE0EEENS1_30default_config_static_selectorELNS0_4arch9wavefront6targetE0EEEvS12_: ; @_ZN7rocprim17ROCPRIM_400000_NS6detail17trampoline_kernelINS0_13select_configILj256ELj13ELNS0_17block_load_methodE3ELS4_3ELS4_3ELNS0_20block_scan_algorithmE0ELj4294967295EEENS1_25partition_config_selectorILNS1_17partition_subalgoE4EjNS0_10empty_typeEbEEZZNS1_14partition_implILS8_4ELb0ES6_15HIP_vector_typeIjLj2EENS0_17counting_iteratorIjlEEPS9_SG_NS0_5tupleIJPjSI_NS0_16reverse_iteratorISI_EEEEENSH_IJSG_SG_SG_EEES9_SI_JZNS1_25segmented_radix_sort_implINS0_14default_configELb1EPKiPiPKlPlN2at6native12_GLOBAL__N_18offset_tEEE10hipError_tPvRmT1_PNSt15iterator_traitsIS12_E10value_typeET2_T3_PNS13_IS18_E10value_typeET4_jRbjT5_S1E_jjP12ihipStream_tbEUljE_ZNSN_ISO_Lb1ESQ_SR_ST_SU_SY_EESZ_S10_S11_S12_S16_S17_S18_S1B_S1C_jS1D_jS1E_S1E_jjS1G_bEUljE0_EEESZ_S10_S11_S18_S1C_S1E_T6_T7_T9_mT8_S1G_bDpT10_ENKUlT_T0_E_clISt17integral_constantIbLb0EES1U_EEDaS1P_S1Q_EUlS1P_E_NS1_11comp_targetILNS1_3genE3ELNS1_11target_archE908ELNS1_3gpuE7ELNS1_3repE0EEENS1_30default_config_static_selectorELNS0_4arch9wavefront6targetE0EEEvS12_
; %bb.0:
	.section	.rodata,"a",@progbits
	.p2align	6, 0x0
	.amdhsa_kernel _ZN7rocprim17ROCPRIM_400000_NS6detail17trampoline_kernelINS0_13select_configILj256ELj13ELNS0_17block_load_methodE3ELS4_3ELS4_3ELNS0_20block_scan_algorithmE0ELj4294967295EEENS1_25partition_config_selectorILNS1_17partition_subalgoE4EjNS0_10empty_typeEbEEZZNS1_14partition_implILS8_4ELb0ES6_15HIP_vector_typeIjLj2EENS0_17counting_iteratorIjlEEPS9_SG_NS0_5tupleIJPjSI_NS0_16reverse_iteratorISI_EEEEENSH_IJSG_SG_SG_EEES9_SI_JZNS1_25segmented_radix_sort_implINS0_14default_configELb1EPKiPiPKlPlN2at6native12_GLOBAL__N_18offset_tEEE10hipError_tPvRmT1_PNSt15iterator_traitsIS12_E10value_typeET2_T3_PNS13_IS18_E10value_typeET4_jRbjT5_S1E_jjP12ihipStream_tbEUljE_ZNSN_ISO_Lb1ESQ_SR_ST_SU_SY_EESZ_S10_S11_S12_S16_S17_S18_S1B_S1C_jS1D_jS1E_S1E_jjS1G_bEUljE0_EEESZ_S10_S11_S18_S1C_S1E_T6_T7_T9_mT8_S1G_bDpT10_ENKUlT_T0_E_clISt17integral_constantIbLb0EES1U_EEDaS1P_S1Q_EUlS1P_E_NS1_11comp_targetILNS1_3genE3ELNS1_11target_archE908ELNS1_3gpuE7ELNS1_3repE0EEENS1_30default_config_static_selectorELNS0_4arch9wavefront6targetE0EEEvS12_
		.amdhsa_group_segment_fixed_size 0
		.amdhsa_private_segment_fixed_size 0
		.amdhsa_kernarg_size 176
		.amdhsa_user_sgpr_count 15
		.amdhsa_user_sgpr_dispatch_ptr 0
		.amdhsa_user_sgpr_queue_ptr 0
		.amdhsa_user_sgpr_kernarg_segment_ptr 1
		.amdhsa_user_sgpr_dispatch_id 0
		.amdhsa_user_sgpr_private_segment_size 0
		.amdhsa_wavefront_size32 1
		.amdhsa_uses_dynamic_stack 0
		.amdhsa_enable_private_segment 0
		.amdhsa_system_sgpr_workgroup_id_x 1
		.amdhsa_system_sgpr_workgroup_id_y 0
		.amdhsa_system_sgpr_workgroup_id_z 0
		.amdhsa_system_sgpr_workgroup_info 0
		.amdhsa_system_vgpr_workitem_id 0
		.amdhsa_next_free_vgpr 1
		.amdhsa_next_free_sgpr 1
		.amdhsa_reserve_vcc 0
		.amdhsa_float_round_mode_32 0
		.amdhsa_float_round_mode_16_64 0
		.amdhsa_float_denorm_mode_32 3
		.amdhsa_float_denorm_mode_16_64 3
		.amdhsa_dx10_clamp 1
		.amdhsa_ieee_mode 1
		.amdhsa_fp16_overflow 0
		.amdhsa_workgroup_processor_mode 1
		.amdhsa_memory_ordered 1
		.amdhsa_forward_progress 0
		.amdhsa_shared_vgpr_count 0
		.amdhsa_exception_fp_ieee_invalid_op 0
		.amdhsa_exception_fp_denorm_src 0
		.amdhsa_exception_fp_ieee_div_zero 0
		.amdhsa_exception_fp_ieee_overflow 0
		.amdhsa_exception_fp_ieee_underflow 0
		.amdhsa_exception_fp_ieee_inexact 0
		.amdhsa_exception_int_div_zero 0
	.end_amdhsa_kernel
	.section	.text._ZN7rocprim17ROCPRIM_400000_NS6detail17trampoline_kernelINS0_13select_configILj256ELj13ELNS0_17block_load_methodE3ELS4_3ELS4_3ELNS0_20block_scan_algorithmE0ELj4294967295EEENS1_25partition_config_selectorILNS1_17partition_subalgoE4EjNS0_10empty_typeEbEEZZNS1_14partition_implILS8_4ELb0ES6_15HIP_vector_typeIjLj2EENS0_17counting_iteratorIjlEEPS9_SG_NS0_5tupleIJPjSI_NS0_16reverse_iteratorISI_EEEEENSH_IJSG_SG_SG_EEES9_SI_JZNS1_25segmented_radix_sort_implINS0_14default_configELb1EPKiPiPKlPlN2at6native12_GLOBAL__N_18offset_tEEE10hipError_tPvRmT1_PNSt15iterator_traitsIS12_E10value_typeET2_T3_PNS13_IS18_E10value_typeET4_jRbjT5_S1E_jjP12ihipStream_tbEUljE_ZNSN_ISO_Lb1ESQ_SR_ST_SU_SY_EESZ_S10_S11_S12_S16_S17_S18_S1B_S1C_jS1D_jS1E_S1E_jjS1G_bEUljE0_EEESZ_S10_S11_S18_S1C_S1E_T6_T7_T9_mT8_S1G_bDpT10_ENKUlT_T0_E_clISt17integral_constantIbLb0EES1U_EEDaS1P_S1Q_EUlS1P_E_NS1_11comp_targetILNS1_3genE3ELNS1_11target_archE908ELNS1_3gpuE7ELNS1_3repE0EEENS1_30default_config_static_selectorELNS0_4arch9wavefront6targetE0EEEvS12_,"axG",@progbits,_ZN7rocprim17ROCPRIM_400000_NS6detail17trampoline_kernelINS0_13select_configILj256ELj13ELNS0_17block_load_methodE3ELS4_3ELS4_3ELNS0_20block_scan_algorithmE0ELj4294967295EEENS1_25partition_config_selectorILNS1_17partition_subalgoE4EjNS0_10empty_typeEbEEZZNS1_14partition_implILS8_4ELb0ES6_15HIP_vector_typeIjLj2EENS0_17counting_iteratorIjlEEPS9_SG_NS0_5tupleIJPjSI_NS0_16reverse_iteratorISI_EEEEENSH_IJSG_SG_SG_EEES9_SI_JZNS1_25segmented_radix_sort_implINS0_14default_configELb1EPKiPiPKlPlN2at6native12_GLOBAL__N_18offset_tEEE10hipError_tPvRmT1_PNSt15iterator_traitsIS12_E10value_typeET2_T3_PNS13_IS18_E10value_typeET4_jRbjT5_S1E_jjP12ihipStream_tbEUljE_ZNSN_ISO_Lb1ESQ_SR_ST_SU_SY_EESZ_S10_S11_S12_S16_S17_S18_S1B_S1C_jS1D_jS1E_S1E_jjS1G_bEUljE0_EEESZ_S10_S11_S18_S1C_S1E_T6_T7_T9_mT8_S1G_bDpT10_ENKUlT_T0_E_clISt17integral_constantIbLb0EES1U_EEDaS1P_S1Q_EUlS1P_E_NS1_11comp_targetILNS1_3genE3ELNS1_11target_archE908ELNS1_3gpuE7ELNS1_3repE0EEENS1_30default_config_static_selectorELNS0_4arch9wavefront6targetE0EEEvS12_,comdat
.Lfunc_end436:
	.size	_ZN7rocprim17ROCPRIM_400000_NS6detail17trampoline_kernelINS0_13select_configILj256ELj13ELNS0_17block_load_methodE3ELS4_3ELS4_3ELNS0_20block_scan_algorithmE0ELj4294967295EEENS1_25partition_config_selectorILNS1_17partition_subalgoE4EjNS0_10empty_typeEbEEZZNS1_14partition_implILS8_4ELb0ES6_15HIP_vector_typeIjLj2EENS0_17counting_iteratorIjlEEPS9_SG_NS0_5tupleIJPjSI_NS0_16reverse_iteratorISI_EEEEENSH_IJSG_SG_SG_EEES9_SI_JZNS1_25segmented_radix_sort_implINS0_14default_configELb1EPKiPiPKlPlN2at6native12_GLOBAL__N_18offset_tEEE10hipError_tPvRmT1_PNSt15iterator_traitsIS12_E10value_typeET2_T3_PNS13_IS18_E10value_typeET4_jRbjT5_S1E_jjP12ihipStream_tbEUljE_ZNSN_ISO_Lb1ESQ_SR_ST_SU_SY_EESZ_S10_S11_S12_S16_S17_S18_S1B_S1C_jS1D_jS1E_S1E_jjS1G_bEUljE0_EEESZ_S10_S11_S18_S1C_S1E_T6_T7_T9_mT8_S1G_bDpT10_ENKUlT_T0_E_clISt17integral_constantIbLb0EES1U_EEDaS1P_S1Q_EUlS1P_E_NS1_11comp_targetILNS1_3genE3ELNS1_11target_archE908ELNS1_3gpuE7ELNS1_3repE0EEENS1_30default_config_static_selectorELNS0_4arch9wavefront6targetE0EEEvS12_, .Lfunc_end436-_ZN7rocprim17ROCPRIM_400000_NS6detail17trampoline_kernelINS0_13select_configILj256ELj13ELNS0_17block_load_methodE3ELS4_3ELS4_3ELNS0_20block_scan_algorithmE0ELj4294967295EEENS1_25partition_config_selectorILNS1_17partition_subalgoE4EjNS0_10empty_typeEbEEZZNS1_14partition_implILS8_4ELb0ES6_15HIP_vector_typeIjLj2EENS0_17counting_iteratorIjlEEPS9_SG_NS0_5tupleIJPjSI_NS0_16reverse_iteratorISI_EEEEENSH_IJSG_SG_SG_EEES9_SI_JZNS1_25segmented_radix_sort_implINS0_14default_configELb1EPKiPiPKlPlN2at6native12_GLOBAL__N_18offset_tEEE10hipError_tPvRmT1_PNSt15iterator_traitsIS12_E10value_typeET2_T3_PNS13_IS18_E10value_typeET4_jRbjT5_S1E_jjP12ihipStream_tbEUljE_ZNSN_ISO_Lb1ESQ_SR_ST_SU_SY_EESZ_S10_S11_S12_S16_S17_S18_S1B_S1C_jS1D_jS1E_S1E_jjS1G_bEUljE0_EEESZ_S10_S11_S18_S1C_S1E_T6_T7_T9_mT8_S1G_bDpT10_ENKUlT_T0_E_clISt17integral_constantIbLb0EES1U_EEDaS1P_S1Q_EUlS1P_E_NS1_11comp_targetILNS1_3genE3ELNS1_11target_archE908ELNS1_3gpuE7ELNS1_3repE0EEENS1_30default_config_static_selectorELNS0_4arch9wavefront6targetE0EEEvS12_
                                        ; -- End function
	.section	.AMDGPU.csdata,"",@progbits
; Kernel info:
; codeLenInByte = 0
; NumSgprs: 0
; NumVgprs: 0
; ScratchSize: 0
; MemoryBound: 0
; FloatMode: 240
; IeeeMode: 1
; LDSByteSize: 0 bytes/workgroup (compile time only)
; SGPRBlocks: 0
; VGPRBlocks: 0
; NumSGPRsForWavesPerEU: 1
; NumVGPRsForWavesPerEU: 1
; Occupancy: 16
; WaveLimiterHint : 0
; COMPUTE_PGM_RSRC2:SCRATCH_EN: 0
; COMPUTE_PGM_RSRC2:USER_SGPR: 15
; COMPUTE_PGM_RSRC2:TRAP_HANDLER: 0
; COMPUTE_PGM_RSRC2:TGID_X_EN: 1
; COMPUTE_PGM_RSRC2:TGID_Y_EN: 0
; COMPUTE_PGM_RSRC2:TGID_Z_EN: 0
; COMPUTE_PGM_RSRC2:TIDIG_COMP_CNT: 0
	.section	.text._ZN7rocprim17ROCPRIM_400000_NS6detail17trampoline_kernelINS0_13select_configILj256ELj13ELNS0_17block_load_methodE3ELS4_3ELS4_3ELNS0_20block_scan_algorithmE0ELj4294967295EEENS1_25partition_config_selectorILNS1_17partition_subalgoE4EjNS0_10empty_typeEbEEZZNS1_14partition_implILS8_4ELb0ES6_15HIP_vector_typeIjLj2EENS0_17counting_iteratorIjlEEPS9_SG_NS0_5tupleIJPjSI_NS0_16reverse_iteratorISI_EEEEENSH_IJSG_SG_SG_EEES9_SI_JZNS1_25segmented_radix_sort_implINS0_14default_configELb1EPKiPiPKlPlN2at6native12_GLOBAL__N_18offset_tEEE10hipError_tPvRmT1_PNSt15iterator_traitsIS12_E10value_typeET2_T3_PNS13_IS18_E10value_typeET4_jRbjT5_S1E_jjP12ihipStream_tbEUljE_ZNSN_ISO_Lb1ESQ_SR_ST_SU_SY_EESZ_S10_S11_S12_S16_S17_S18_S1B_S1C_jS1D_jS1E_S1E_jjS1G_bEUljE0_EEESZ_S10_S11_S18_S1C_S1E_T6_T7_T9_mT8_S1G_bDpT10_ENKUlT_T0_E_clISt17integral_constantIbLb0EES1U_EEDaS1P_S1Q_EUlS1P_E_NS1_11comp_targetILNS1_3genE2ELNS1_11target_archE906ELNS1_3gpuE6ELNS1_3repE0EEENS1_30default_config_static_selectorELNS0_4arch9wavefront6targetE0EEEvS12_,"axG",@progbits,_ZN7rocprim17ROCPRIM_400000_NS6detail17trampoline_kernelINS0_13select_configILj256ELj13ELNS0_17block_load_methodE3ELS4_3ELS4_3ELNS0_20block_scan_algorithmE0ELj4294967295EEENS1_25partition_config_selectorILNS1_17partition_subalgoE4EjNS0_10empty_typeEbEEZZNS1_14partition_implILS8_4ELb0ES6_15HIP_vector_typeIjLj2EENS0_17counting_iteratorIjlEEPS9_SG_NS0_5tupleIJPjSI_NS0_16reverse_iteratorISI_EEEEENSH_IJSG_SG_SG_EEES9_SI_JZNS1_25segmented_radix_sort_implINS0_14default_configELb1EPKiPiPKlPlN2at6native12_GLOBAL__N_18offset_tEEE10hipError_tPvRmT1_PNSt15iterator_traitsIS12_E10value_typeET2_T3_PNS13_IS18_E10value_typeET4_jRbjT5_S1E_jjP12ihipStream_tbEUljE_ZNSN_ISO_Lb1ESQ_SR_ST_SU_SY_EESZ_S10_S11_S12_S16_S17_S18_S1B_S1C_jS1D_jS1E_S1E_jjS1G_bEUljE0_EEESZ_S10_S11_S18_S1C_S1E_T6_T7_T9_mT8_S1G_bDpT10_ENKUlT_T0_E_clISt17integral_constantIbLb0EES1U_EEDaS1P_S1Q_EUlS1P_E_NS1_11comp_targetILNS1_3genE2ELNS1_11target_archE906ELNS1_3gpuE6ELNS1_3repE0EEENS1_30default_config_static_selectorELNS0_4arch9wavefront6targetE0EEEvS12_,comdat
	.globl	_ZN7rocprim17ROCPRIM_400000_NS6detail17trampoline_kernelINS0_13select_configILj256ELj13ELNS0_17block_load_methodE3ELS4_3ELS4_3ELNS0_20block_scan_algorithmE0ELj4294967295EEENS1_25partition_config_selectorILNS1_17partition_subalgoE4EjNS0_10empty_typeEbEEZZNS1_14partition_implILS8_4ELb0ES6_15HIP_vector_typeIjLj2EENS0_17counting_iteratorIjlEEPS9_SG_NS0_5tupleIJPjSI_NS0_16reverse_iteratorISI_EEEEENSH_IJSG_SG_SG_EEES9_SI_JZNS1_25segmented_radix_sort_implINS0_14default_configELb1EPKiPiPKlPlN2at6native12_GLOBAL__N_18offset_tEEE10hipError_tPvRmT1_PNSt15iterator_traitsIS12_E10value_typeET2_T3_PNS13_IS18_E10value_typeET4_jRbjT5_S1E_jjP12ihipStream_tbEUljE_ZNSN_ISO_Lb1ESQ_SR_ST_SU_SY_EESZ_S10_S11_S12_S16_S17_S18_S1B_S1C_jS1D_jS1E_S1E_jjS1G_bEUljE0_EEESZ_S10_S11_S18_S1C_S1E_T6_T7_T9_mT8_S1G_bDpT10_ENKUlT_T0_E_clISt17integral_constantIbLb0EES1U_EEDaS1P_S1Q_EUlS1P_E_NS1_11comp_targetILNS1_3genE2ELNS1_11target_archE906ELNS1_3gpuE6ELNS1_3repE0EEENS1_30default_config_static_selectorELNS0_4arch9wavefront6targetE0EEEvS12_ ; -- Begin function _ZN7rocprim17ROCPRIM_400000_NS6detail17trampoline_kernelINS0_13select_configILj256ELj13ELNS0_17block_load_methodE3ELS4_3ELS4_3ELNS0_20block_scan_algorithmE0ELj4294967295EEENS1_25partition_config_selectorILNS1_17partition_subalgoE4EjNS0_10empty_typeEbEEZZNS1_14partition_implILS8_4ELb0ES6_15HIP_vector_typeIjLj2EENS0_17counting_iteratorIjlEEPS9_SG_NS0_5tupleIJPjSI_NS0_16reverse_iteratorISI_EEEEENSH_IJSG_SG_SG_EEES9_SI_JZNS1_25segmented_radix_sort_implINS0_14default_configELb1EPKiPiPKlPlN2at6native12_GLOBAL__N_18offset_tEEE10hipError_tPvRmT1_PNSt15iterator_traitsIS12_E10value_typeET2_T3_PNS13_IS18_E10value_typeET4_jRbjT5_S1E_jjP12ihipStream_tbEUljE_ZNSN_ISO_Lb1ESQ_SR_ST_SU_SY_EESZ_S10_S11_S12_S16_S17_S18_S1B_S1C_jS1D_jS1E_S1E_jjS1G_bEUljE0_EEESZ_S10_S11_S18_S1C_S1E_T6_T7_T9_mT8_S1G_bDpT10_ENKUlT_T0_E_clISt17integral_constantIbLb0EES1U_EEDaS1P_S1Q_EUlS1P_E_NS1_11comp_targetILNS1_3genE2ELNS1_11target_archE906ELNS1_3gpuE6ELNS1_3repE0EEENS1_30default_config_static_selectorELNS0_4arch9wavefront6targetE0EEEvS12_
	.p2align	8
	.type	_ZN7rocprim17ROCPRIM_400000_NS6detail17trampoline_kernelINS0_13select_configILj256ELj13ELNS0_17block_load_methodE3ELS4_3ELS4_3ELNS0_20block_scan_algorithmE0ELj4294967295EEENS1_25partition_config_selectorILNS1_17partition_subalgoE4EjNS0_10empty_typeEbEEZZNS1_14partition_implILS8_4ELb0ES6_15HIP_vector_typeIjLj2EENS0_17counting_iteratorIjlEEPS9_SG_NS0_5tupleIJPjSI_NS0_16reverse_iteratorISI_EEEEENSH_IJSG_SG_SG_EEES9_SI_JZNS1_25segmented_radix_sort_implINS0_14default_configELb1EPKiPiPKlPlN2at6native12_GLOBAL__N_18offset_tEEE10hipError_tPvRmT1_PNSt15iterator_traitsIS12_E10value_typeET2_T3_PNS13_IS18_E10value_typeET4_jRbjT5_S1E_jjP12ihipStream_tbEUljE_ZNSN_ISO_Lb1ESQ_SR_ST_SU_SY_EESZ_S10_S11_S12_S16_S17_S18_S1B_S1C_jS1D_jS1E_S1E_jjS1G_bEUljE0_EEESZ_S10_S11_S18_S1C_S1E_T6_T7_T9_mT8_S1G_bDpT10_ENKUlT_T0_E_clISt17integral_constantIbLb0EES1U_EEDaS1P_S1Q_EUlS1P_E_NS1_11comp_targetILNS1_3genE2ELNS1_11target_archE906ELNS1_3gpuE6ELNS1_3repE0EEENS1_30default_config_static_selectorELNS0_4arch9wavefront6targetE0EEEvS12_,@function
_ZN7rocprim17ROCPRIM_400000_NS6detail17trampoline_kernelINS0_13select_configILj256ELj13ELNS0_17block_load_methodE3ELS4_3ELS4_3ELNS0_20block_scan_algorithmE0ELj4294967295EEENS1_25partition_config_selectorILNS1_17partition_subalgoE4EjNS0_10empty_typeEbEEZZNS1_14partition_implILS8_4ELb0ES6_15HIP_vector_typeIjLj2EENS0_17counting_iteratorIjlEEPS9_SG_NS0_5tupleIJPjSI_NS0_16reverse_iteratorISI_EEEEENSH_IJSG_SG_SG_EEES9_SI_JZNS1_25segmented_radix_sort_implINS0_14default_configELb1EPKiPiPKlPlN2at6native12_GLOBAL__N_18offset_tEEE10hipError_tPvRmT1_PNSt15iterator_traitsIS12_E10value_typeET2_T3_PNS13_IS18_E10value_typeET4_jRbjT5_S1E_jjP12ihipStream_tbEUljE_ZNSN_ISO_Lb1ESQ_SR_ST_SU_SY_EESZ_S10_S11_S12_S16_S17_S18_S1B_S1C_jS1D_jS1E_S1E_jjS1G_bEUljE0_EEESZ_S10_S11_S18_S1C_S1E_T6_T7_T9_mT8_S1G_bDpT10_ENKUlT_T0_E_clISt17integral_constantIbLb0EES1U_EEDaS1P_S1Q_EUlS1P_E_NS1_11comp_targetILNS1_3genE2ELNS1_11target_archE906ELNS1_3gpuE6ELNS1_3repE0EEENS1_30default_config_static_selectorELNS0_4arch9wavefront6targetE0EEEvS12_: ; @_ZN7rocprim17ROCPRIM_400000_NS6detail17trampoline_kernelINS0_13select_configILj256ELj13ELNS0_17block_load_methodE3ELS4_3ELS4_3ELNS0_20block_scan_algorithmE0ELj4294967295EEENS1_25partition_config_selectorILNS1_17partition_subalgoE4EjNS0_10empty_typeEbEEZZNS1_14partition_implILS8_4ELb0ES6_15HIP_vector_typeIjLj2EENS0_17counting_iteratorIjlEEPS9_SG_NS0_5tupleIJPjSI_NS0_16reverse_iteratorISI_EEEEENSH_IJSG_SG_SG_EEES9_SI_JZNS1_25segmented_radix_sort_implINS0_14default_configELb1EPKiPiPKlPlN2at6native12_GLOBAL__N_18offset_tEEE10hipError_tPvRmT1_PNSt15iterator_traitsIS12_E10value_typeET2_T3_PNS13_IS18_E10value_typeET4_jRbjT5_S1E_jjP12ihipStream_tbEUljE_ZNSN_ISO_Lb1ESQ_SR_ST_SU_SY_EESZ_S10_S11_S12_S16_S17_S18_S1B_S1C_jS1D_jS1E_S1E_jjS1G_bEUljE0_EEESZ_S10_S11_S18_S1C_S1E_T6_T7_T9_mT8_S1G_bDpT10_ENKUlT_T0_E_clISt17integral_constantIbLb0EES1U_EEDaS1P_S1Q_EUlS1P_E_NS1_11comp_targetILNS1_3genE2ELNS1_11target_archE906ELNS1_3gpuE6ELNS1_3repE0EEENS1_30default_config_static_selectorELNS0_4arch9wavefront6targetE0EEEvS12_
; %bb.0:
	.section	.rodata,"a",@progbits
	.p2align	6, 0x0
	.amdhsa_kernel _ZN7rocprim17ROCPRIM_400000_NS6detail17trampoline_kernelINS0_13select_configILj256ELj13ELNS0_17block_load_methodE3ELS4_3ELS4_3ELNS0_20block_scan_algorithmE0ELj4294967295EEENS1_25partition_config_selectorILNS1_17partition_subalgoE4EjNS0_10empty_typeEbEEZZNS1_14partition_implILS8_4ELb0ES6_15HIP_vector_typeIjLj2EENS0_17counting_iteratorIjlEEPS9_SG_NS0_5tupleIJPjSI_NS0_16reverse_iteratorISI_EEEEENSH_IJSG_SG_SG_EEES9_SI_JZNS1_25segmented_radix_sort_implINS0_14default_configELb1EPKiPiPKlPlN2at6native12_GLOBAL__N_18offset_tEEE10hipError_tPvRmT1_PNSt15iterator_traitsIS12_E10value_typeET2_T3_PNS13_IS18_E10value_typeET4_jRbjT5_S1E_jjP12ihipStream_tbEUljE_ZNSN_ISO_Lb1ESQ_SR_ST_SU_SY_EESZ_S10_S11_S12_S16_S17_S18_S1B_S1C_jS1D_jS1E_S1E_jjS1G_bEUljE0_EEESZ_S10_S11_S18_S1C_S1E_T6_T7_T9_mT8_S1G_bDpT10_ENKUlT_T0_E_clISt17integral_constantIbLb0EES1U_EEDaS1P_S1Q_EUlS1P_E_NS1_11comp_targetILNS1_3genE2ELNS1_11target_archE906ELNS1_3gpuE6ELNS1_3repE0EEENS1_30default_config_static_selectorELNS0_4arch9wavefront6targetE0EEEvS12_
		.amdhsa_group_segment_fixed_size 0
		.amdhsa_private_segment_fixed_size 0
		.amdhsa_kernarg_size 176
		.amdhsa_user_sgpr_count 15
		.amdhsa_user_sgpr_dispatch_ptr 0
		.amdhsa_user_sgpr_queue_ptr 0
		.amdhsa_user_sgpr_kernarg_segment_ptr 1
		.amdhsa_user_sgpr_dispatch_id 0
		.amdhsa_user_sgpr_private_segment_size 0
		.amdhsa_wavefront_size32 1
		.amdhsa_uses_dynamic_stack 0
		.amdhsa_enable_private_segment 0
		.amdhsa_system_sgpr_workgroup_id_x 1
		.amdhsa_system_sgpr_workgroup_id_y 0
		.amdhsa_system_sgpr_workgroup_id_z 0
		.amdhsa_system_sgpr_workgroup_info 0
		.amdhsa_system_vgpr_workitem_id 0
		.amdhsa_next_free_vgpr 1
		.amdhsa_next_free_sgpr 1
		.amdhsa_reserve_vcc 0
		.amdhsa_float_round_mode_32 0
		.amdhsa_float_round_mode_16_64 0
		.amdhsa_float_denorm_mode_32 3
		.amdhsa_float_denorm_mode_16_64 3
		.amdhsa_dx10_clamp 1
		.amdhsa_ieee_mode 1
		.amdhsa_fp16_overflow 0
		.amdhsa_workgroup_processor_mode 1
		.amdhsa_memory_ordered 1
		.amdhsa_forward_progress 0
		.amdhsa_shared_vgpr_count 0
		.amdhsa_exception_fp_ieee_invalid_op 0
		.amdhsa_exception_fp_denorm_src 0
		.amdhsa_exception_fp_ieee_div_zero 0
		.amdhsa_exception_fp_ieee_overflow 0
		.amdhsa_exception_fp_ieee_underflow 0
		.amdhsa_exception_fp_ieee_inexact 0
		.amdhsa_exception_int_div_zero 0
	.end_amdhsa_kernel
	.section	.text._ZN7rocprim17ROCPRIM_400000_NS6detail17trampoline_kernelINS0_13select_configILj256ELj13ELNS0_17block_load_methodE3ELS4_3ELS4_3ELNS0_20block_scan_algorithmE0ELj4294967295EEENS1_25partition_config_selectorILNS1_17partition_subalgoE4EjNS0_10empty_typeEbEEZZNS1_14partition_implILS8_4ELb0ES6_15HIP_vector_typeIjLj2EENS0_17counting_iteratorIjlEEPS9_SG_NS0_5tupleIJPjSI_NS0_16reverse_iteratorISI_EEEEENSH_IJSG_SG_SG_EEES9_SI_JZNS1_25segmented_radix_sort_implINS0_14default_configELb1EPKiPiPKlPlN2at6native12_GLOBAL__N_18offset_tEEE10hipError_tPvRmT1_PNSt15iterator_traitsIS12_E10value_typeET2_T3_PNS13_IS18_E10value_typeET4_jRbjT5_S1E_jjP12ihipStream_tbEUljE_ZNSN_ISO_Lb1ESQ_SR_ST_SU_SY_EESZ_S10_S11_S12_S16_S17_S18_S1B_S1C_jS1D_jS1E_S1E_jjS1G_bEUljE0_EEESZ_S10_S11_S18_S1C_S1E_T6_T7_T9_mT8_S1G_bDpT10_ENKUlT_T0_E_clISt17integral_constantIbLb0EES1U_EEDaS1P_S1Q_EUlS1P_E_NS1_11comp_targetILNS1_3genE2ELNS1_11target_archE906ELNS1_3gpuE6ELNS1_3repE0EEENS1_30default_config_static_selectorELNS0_4arch9wavefront6targetE0EEEvS12_,"axG",@progbits,_ZN7rocprim17ROCPRIM_400000_NS6detail17trampoline_kernelINS0_13select_configILj256ELj13ELNS0_17block_load_methodE3ELS4_3ELS4_3ELNS0_20block_scan_algorithmE0ELj4294967295EEENS1_25partition_config_selectorILNS1_17partition_subalgoE4EjNS0_10empty_typeEbEEZZNS1_14partition_implILS8_4ELb0ES6_15HIP_vector_typeIjLj2EENS0_17counting_iteratorIjlEEPS9_SG_NS0_5tupleIJPjSI_NS0_16reverse_iteratorISI_EEEEENSH_IJSG_SG_SG_EEES9_SI_JZNS1_25segmented_radix_sort_implINS0_14default_configELb1EPKiPiPKlPlN2at6native12_GLOBAL__N_18offset_tEEE10hipError_tPvRmT1_PNSt15iterator_traitsIS12_E10value_typeET2_T3_PNS13_IS18_E10value_typeET4_jRbjT5_S1E_jjP12ihipStream_tbEUljE_ZNSN_ISO_Lb1ESQ_SR_ST_SU_SY_EESZ_S10_S11_S12_S16_S17_S18_S1B_S1C_jS1D_jS1E_S1E_jjS1G_bEUljE0_EEESZ_S10_S11_S18_S1C_S1E_T6_T7_T9_mT8_S1G_bDpT10_ENKUlT_T0_E_clISt17integral_constantIbLb0EES1U_EEDaS1P_S1Q_EUlS1P_E_NS1_11comp_targetILNS1_3genE2ELNS1_11target_archE906ELNS1_3gpuE6ELNS1_3repE0EEENS1_30default_config_static_selectorELNS0_4arch9wavefront6targetE0EEEvS12_,comdat
.Lfunc_end437:
	.size	_ZN7rocprim17ROCPRIM_400000_NS6detail17trampoline_kernelINS0_13select_configILj256ELj13ELNS0_17block_load_methodE3ELS4_3ELS4_3ELNS0_20block_scan_algorithmE0ELj4294967295EEENS1_25partition_config_selectorILNS1_17partition_subalgoE4EjNS0_10empty_typeEbEEZZNS1_14partition_implILS8_4ELb0ES6_15HIP_vector_typeIjLj2EENS0_17counting_iteratorIjlEEPS9_SG_NS0_5tupleIJPjSI_NS0_16reverse_iteratorISI_EEEEENSH_IJSG_SG_SG_EEES9_SI_JZNS1_25segmented_radix_sort_implINS0_14default_configELb1EPKiPiPKlPlN2at6native12_GLOBAL__N_18offset_tEEE10hipError_tPvRmT1_PNSt15iterator_traitsIS12_E10value_typeET2_T3_PNS13_IS18_E10value_typeET4_jRbjT5_S1E_jjP12ihipStream_tbEUljE_ZNSN_ISO_Lb1ESQ_SR_ST_SU_SY_EESZ_S10_S11_S12_S16_S17_S18_S1B_S1C_jS1D_jS1E_S1E_jjS1G_bEUljE0_EEESZ_S10_S11_S18_S1C_S1E_T6_T7_T9_mT8_S1G_bDpT10_ENKUlT_T0_E_clISt17integral_constantIbLb0EES1U_EEDaS1P_S1Q_EUlS1P_E_NS1_11comp_targetILNS1_3genE2ELNS1_11target_archE906ELNS1_3gpuE6ELNS1_3repE0EEENS1_30default_config_static_selectorELNS0_4arch9wavefront6targetE0EEEvS12_, .Lfunc_end437-_ZN7rocprim17ROCPRIM_400000_NS6detail17trampoline_kernelINS0_13select_configILj256ELj13ELNS0_17block_load_methodE3ELS4_3ELS4_3ELNS0_20block_scan_algorithmE0ELj4294967295EEENS1_25partition_config_selectorILNS1_17partition_subalgoE4EjNS0_10empty_typeEbEEZZNS1_14partition_implILS8_4ELb0ES6_15HIP_vector_typeIjLj2EENS0_17counting_iteratorIjlEEPS9_SG_NS0_5tupleIJPjSI_NS0_16reverse_iteratorISI_EEEEENSH_IJSG_SG_SG_EEES9_SI_JZNS1_25segmented_radix_sort_implINS0_14default_configELb1EPKiPiPKlPlN2at6native12_GLOBAL__N_18offset_tEEE10hipError_tPvRmT1_PNSt15iterator_traitsIS12_E10value_typeET2_T3_PNS13_IS18_E10value_typeET4_jRbjT5_S1E_jjP12ihipStream_tbEUljE_ZNSN_ISO_Lb1ESQ_SR_ST_SU_SY_EESZ_S10_S11_S12_S16_S17_S18_S1B_S1C_jS1D_jS1E_S1E_jjS1G_bEUljE0_EEESZ_S10_S11_S18_S1C_S1E_T6_T7_T9_mT8_S1G_bDpT10_ENKUlT_T0_E_clISt17integral_constantIbLb0EES1U_EEDaS1P_S1Q_EUlS1P_E_NS1_11comp_targetILNS1_3genE2ELNS1_11target_archE906ELNS1_3gpuE6ELNS1_3repE0EEENS1_30default_config_static_selectorELNS0_4arch9wavefront6targetE0EEEvS12_
                                        ; -- End function
	.section	.AMDGPU.csdata,"",@progbits
; Kernel info:
; codeLenInByte = 0
; NumSgprs: 0
; NumVgprs: 0
; ScratchSize: 0
; MemoryBound: 0
; FloatMode: 240
; IeeeMode: 1
; LDSByteSize: 0 bytes/workgroup (compile time only)
; SGPRBlocks: 0
; VGPRBlocks: 0
; NumSGPRsForWavesPerEU: 1
; NumVGPRsForWavesPerEU: 1
; Occupancy: 16
; WaveLimiterHint : 0
; COMPUTE_PGM_RSRC2:SCRATCH_EN: 0
; COMPUTE_PGM_RSRC2:USER_SGPR: 15
; COMPUTE_PGM_RSRC2:TRAP_HANDLER: 0
; COMPUTE_PGM_RSRC2:TGID_X_EN: 1
; COMPUTE_PGM_RSRC2:TGID_Y_EN: 0
; COMPUTE_PGM_RSRC2:TGID_Z_EN: 0
; COMPUTE_PGM_RSRC2:TIDIG_COMP_CNT: 0
	.section	.text._ZN7rocprim17ROCPRIM_400000_NS6detail17trampoline_kernelINS0_13select_configILj256ELj13ELNS0_17block_load_methodE3ELS4_3ELS4_3ELNS0_20block_scan_algorithmE0ELj4294967295EEENS1_25partition_config_selectorILNS1_17partition_subalgoE4EjNS0_10empty_typeEbEEZZNS1_14partition_implILS8_4ELb0ES6_15HIP_vector_typeIjLj2EENS0_17counting_iteratorIjlEEPS9_SG_NS0_5tupleIJPjSI_NS0_16reverse_iteratorISI_EEEEENSH_IJSG_SG_SG_EEES9_SI_JZNS1_25segmented_radix_sort_implINS0_14default_configELb1EPKiPiPKlPlN2at6native12_GLOBAL__N_18offset_tEEE10hipError_tPvRmT1_PNSt15iterator_traitsIS12_E10value_typeET2_T3_PNS13_IS18_E10value_typeET4_jRbjT5_S1E_jjP12ihipStream_tbEUljE_ZNSN_ISO_Lb1ESQ_SR_ST_SU_SY_EESZ_S10_S11_S12_S16_S17_S18_S1B_S1C_jS1D_jS1E_S1E_jjS1G_bEUljE0_EEESZ_S10_S11_S18_S1C_S1E_T6_T7_T9_mT8_S1G_bDpT10_ENKUlT_T0_E_clISt17integral_constantIbLb0EES1U_EEDaS1P_S1Q_EUlS1P_E_NS1_11comp_targetILNS1_3genE10ELNS1_11target_archE1200ELNS1_3gpuE4ELNS1_3repE0EEENS1_30default_config_static_selectorELNS0_4arch9wavefront6targetE0EEEvS12_,"axG",@progbits,_ZN7rocprim17ROCPRIM_400000_NS6detail17trampoline_kernelINS0_13select_configILj256ELj13ELNS0_17block_load_methodE3ELS4_3ELS4_3ELNS0_20block_scan_algorithmE0ELj4294967295EEENS1_25partition_config_selectorILNS1_17partition_subalgoE4EjNS0_10empty_typeEbEEZZNS1_14partition_implILS8_4ELb0ES6_15HIP_vector_typeIjLj2EENS0_17counting_iteratorIjlEEPS9_SG_NS0_5tupleIJPjSI_NS0_16reverse_iteratorISI_EEEEENSH_IJSG_SG_SG_EEES9_SI_JZNS1_25segmented_radix_sort_implINS0_14default_configELb1EPKiPiPKlPlN2at6native12_GLOBAL__N_18offset_tEEE10hipError_tPvRmT1_PNSt15iterator_traitsIS12_E10value_typeET2_T3_PNS13_IS18_E10value_typeET4_jRbjT5_S1E_jjP12ihipStream_tbEUljE_ZNSN_ISO_Lb1ESQ_SR_ST_SU_SY_EESZ_S10_S11_S12_S16_S17_S18_S1B_S1C_jS1D_jS1E_S1E_jjS1G_bEUljE0_EEESZ_S10_S11_S18_S1C_S1E_T6_T7_T9_mT8_S1G_bDpT10_ENKUlT_T0_E_clISt17integral_constantIbLb0EES1U_EEDaS1P_S1Q_EUlS1P_E_NS1_11comp_targetILNS1_3genE10ELNS1_11target_archE1200ELNS1_3gpuE4ELNS1_3repE0EEENS1_30default_config_static_selectorELNS0_4arch9wavefront6targetE0EEEvS12_,comdat
	.globl	_ZN7rocprim17ROCPRIM_400000_NS6detail17trampoline_kernelINS0_13select_configILj256ELj13ELNS0_17block_load_methodE3ELS4_3ELS4_3ELNS0_20block_scan_algorithmE0ELj4294967295EEENS1_25partition_config_selectorILNS1_17partition_subalgoE4EjNS0_10empty_typeEbEEZZNS1_14partition_implILS8_4ELb0ES6_15HIP_vector_typeIjLj2EENS0_17counting_iteratorIjlEEPS9_SG_NS0_5tupleIJPjSI_NS0_16reverse_iteratorISI_EEEEENSH_IJSG_SG_SG_EEES9_SI_JZNS1_25segmented_radix_sort_implINS0_14default_configELb1EPKiPiPKlPlN2at6native12_GLOBAL__N_18offset_tEEE10hipError_tPvRmT1_PNSt15iterator_traitsIS12_E10value_typeET2_T3_PNS13_IS18_E10value_typeET4_jRbjT5_S1E_jjP12ihipStream_tbEUljE_ZNSN_ISO_Lb1ESQ_SR_ST_SU_SY_EESZ_S10_S11_S12_S16_S17_S18_S1B_S1C_jS1D_jS1E_S1E_jjS1G_bEUljE0_EEESZ_S10_S11_S18_S1C_S1E_T6_T7_T9_mT8_S1G_bDpT10_ENKUlT_T0_E_clISt17integral_constantIbLb0EES1U_EEDaS1P_S1Q_EUlS1P_E_NS1_11comp_targetILNS1_3genE10ELNS1_11target_archE1200ELNS1_3gpuE4ELNS1_3repE0EEENS1_30default_config_static_selectorELNS0_4arch9wavefront6targetE0EEEvS12_ ; -- Begin function _ZN7rocprim17ROCPRIM_400000_NS6detail17trampoline_kernelINS0_13select_configILj256ELj13ELNS0_17block_load_methodE3ELS4_3ELS4_3ELNS0_20block_scan_algorithmE0ELj4294967295EEENS1_25partition_config_selectorILNS1_17partition_subalgoE4EjNS0_10empty_typeEbEEZZNS1_14partition_implILS8_4ELb0ES6_15HIP_vector_typeIjLj2EENS0_17counting_iteratorIjlEEPS9_SG_NS0_5tupleIJPjSI_NS0_16reverse_iteratorISI_EEEEENSH_IJSG_SG_SG_EEES9_SI_JZNS1_25segmented_radix_sort_implINS0_14default_configELb1EPKiPiPKlPlN2at6native12_GLOBAL__N_18offset_tEEE10hipError_tPvRmT1_PNSt15iterator_traitsIS12_E10value_typeET2_T3_PNS13_IS18_E10value_typeET4_jRbjT5_S1E_jjP12ihipStream_tbEUljE_ZNSN_ISO_Lb1ESQ_SR_ST_SU_SY_EESZ_S10_S11_S12_S16_S17_S18_S1B_S1C_jS1D_jS1E_S1E_jjS1G_bEUljE0_EEESZ_S10_S11_S18_S1C_S1E_T6_T7_T9_mT8_S1G_bDpT10_ENKUlT_T0_E_clISt17integral_constantIbLb0EES1U_EEDaS1P_S1Q_EUlS1P_E_NS1_11comp_targetILNS1_3genE10ELNS1_11target_archE1200ELNS1_3gpuE4ELNS1_3repE0EEENS1_30default_config_static_selectorELNS0_4arch9wavefront6targetE0EEEvS12_
	.p2align	8
	.type	_ZN7rocprim17ROCPRIM_400000_NS6detail17trampoline_kernelINS0_13select_configILj256ELj13ELNS0_17block_load_methodE3ELS4_3ELS4_3ELNS0_20block_scan_algorithmE0ELj4294967295EEENS1_25partition_config_selectorILNS1_17partition_subalgoE4EjNS0_10empty_typeEbEEZZNS1_14partition_implILS8_4ELb0ES6_15HIP_vector_typeIjLj2EENS0_17counting_iteratorIjlEEPS9_SG_NS0_5tupleIJPjSI_NS0_16reverse_iteratorISI_EEEEENSH_IJSG_SG_SG_EEES9_SI_JZNS1_25segmented_radix_sort_implINS0_14default_configELb1EPKiPiPKlPlN2at6native12_GLOBAL__N_18offset_tEEE10hipError_tPvRmT1_PNSt15iterator_traitsIS12_E10value_typeET2_T3_PNS13_IS18_E10value_typeET4_jRbjT5_S1E_jjP12ihipStream_tbEUljE_ZNSN_ISO_Lb1ESQ_SR_ST_SU_SY_EESZ_S10_S11_S12_S16_S17_S18_S1B_S1C_jS1D_jS1E_S1E_jjS1G_bEUljE0_EEESZ_S10_S11_S18_S1C_S1E_T6_T7_T9_mT8_S1G_bDpT10_ENKUlT_T0_E_clISt17integral_constantIbLb0EES1U_EEDaS1P_S1Q_EUlS1P_E_NS1_11comp_targetILNS1_3genE10ELNS1_11target_archE1200ELNS1_3gpuE4ELNS1_3repE0EEENS1_30default_config_static_selectorELNS0_4arch9wavefront6targetE0EEEvS12_,@function
_ZN7rocprim17ROCPRIM_400000_NS6detail17trampoline_kernelINS0_13select_configILj256ELj13ELNS0_17block_load_methodE3ELS4_3ELS4_3ELNS0_20block_scan_algorithmE0ELj4294967295EEENS1_25partition_config_selectorILNS1_17partition_subalgoE4EjNS0_10empty_typeEbEEZZNS1_14partition_implILS8_4ELb0ES6_15HIP_vector_typeIjLj2EENS0_17counting_iteratorIjlEEPS9_SG_NS0_5tupleIJPjSI_NS0_16reverse_iteratorISI_EEEEENSH_IJSG_SG_SG_EEES9_SI_JZNS1_25segmented_radix_sort_implINS0_14default_configELb1EPKiPiPKlPlN2at6native12_GLOBAL__N_18offset_tEEE10hipError_tPvRmT1_PNSt15iterator_traitsIS12_E10value_typeET2_T3_PNS13_IS18_E10value_typeET4_jRbjT5_S1E_jjP12ihipStream_tbEUljE_ZNSN_ISO_Lb1ESQ_SR_ST_SU_SY_EESZ_S10_S11_S12_S16_S17_S18_S1B_S1C_jS1D_jS1E_S1E_jjS1G_bEUljE0_EEESZ_S10_S11_S18_S1C_S1E_T6_T7_T9_mT8_S1G_bDpT10_ENKUlT_T0_E_clISt17integral_constantIbLb0EES1U_EEDaS1P_S1Q_EUlS1P_E_NS1_11comp_targetILNS1_3genE10ELNS1_11target_archE1200ELNS1_3gpuE4ELNS1_3repE0EEENS1_30default_config_static_selectorELNS0_4arch9wavefront6targetE0EEEvS12_: ; @_ZN7rocprim17ROCPRIM_400000_NS6detail17trampoline_kernelINS0_13select_configILj256ELj13ELNS0_17block_load_methodE3ELS4_3ELS4_3ELNS0_20block_scan_algorithmE0ELj4294967295EEENS1_25partition_config_selectorILNS1_17partition_subalgoE4EjNS0_10empty_typeEbEEZZNS1_14partition_implILS8_4ELb0ES6_15HIP_vector_typeIjLj2EENS0_17counting_iteratorIjlEEPS9_SG_NS0_5tupleIJPjSI_NS0_16reverse_iteratorISI_EEEEENSH_IJSG_SG_SG_EEES9_SI_JZNS1_25segmented_radix_sort_implINS0_14default_configELb1EPKiPiPKlPlN2at6native12_GLOBAL__N_18offset_tEEE10hipError_tPvRmT1_PNSt15iterator_traitsIS12_E10value_typeET2_T3_PNS13_IS18_E10value_typeET4_jRbjT5_S1E_jjP12ihipStream_tbEUljE_ZNSN_ISO_Lb1ESQ_SR_ST_SU_SY_EESZ_S10_S11_S12_S16_S17_S18_S1B_S1C_jS1D_jS1E_S1E_jjS1G_bEUljE0_EEESZ_S10_S11_S18_S1C_S1E_T6_T7_T9_mT8_S1G_bDpT10_ENKUlT_T0_E_clISt17integral_constantIbLb0EES1U_EEDaS1P_S1Q_EUlS1P_E_NS1_11comp_targetILNS1_3genE10ELNS1_11target_archE1200ELNS1_3gpuE4ELNS1_3repE0EEENS1_30default_config_static_selectorELNS0_4arch9wavefront6targetE0EEEvS12_
; %bb.0:
	.section	.rodata,"a",@progbits
	.p2align	6, 0x0
	.amdhsa_kernel _ZN7rocprim17ROCPRIM_400000_NS6detail17trampoline_kernelINS0_13select_configILj256ELj13ELNS0_17block_load_methodE3ELS4_3ELS4_3ELNS0_20block_scan_algorithmE0ELj4294967295EEENS1_25partition_config_selectorILNS1_17partition_subalgoE4EjNS0_10empty_typeEbEEZZNS1_14partition_implILS8_4ELb0ES6_15HIP_vector_typeIjLj2EENS0_17counting_iteratorIjlEEPS9_SG_NS0_5tupleIJPjSI_NS0_16reverse_iteratorISI_EEEEENSH_IJSG_SG_SG_EEES9_SI_JZNS1_25segmented_radix_sort_implINS0_14default_configELb1EPKiPiPKlPlN2at6native12_GLOBAL__N_18offset_tEEE10hipError_tPvRmT1_PNSt15iterator_traitsIS12_E10value_typeET2_T3_PNS13_IS18_E10value_typeET4_jRbjT5_S1E_jjP12ihipStream_tbEUljE_ZNSN_ISO_Lb1ESQ_SR_ST_SU_SY_EESZ_S10_S11_S12_S16_S17_S18_S1B_S1C_jS1D_jS1E_S1E_jjS1G_bEUljE0_EEESZ_S10_S11_S18_S1C_S1E_T6_T7_T9_mT8_S1G_bDpT10_ENKUlT_T0_E_clISt17integral_constantIbLb0EES1U_EEDaS1P_S1Q_EUlS1P_E_NS1_11comp_targetILNS1_3genE10ELNS1_11target_archE1200ELNS1_3gpuE4ELNS1_3repE0EEENS1_30default_config_static_selectorELNS0_4arch9wavefront6targetE0EEEvS12_
		.amdhsa_group_segment_fixed_size 0
		.amdhsa_private_segment_fixed_size 0
		.amdhsa_kernarg_size 176
		.amdhsa_user_sgpr_count 15
		.amdhsa_user_sgpr_dispatch_ptr 0
		.amdhsa_user_sgpr_queue_ptr 0
		.amdhsa_user_sgpr_kernarg_segment_ptr 1
		.amdhsa_user_sgpr_dispatch_id 0
		.amdhsa_user_sgpr_private_segment_size 0
		.amdhsa_wavefront_size32 1
		.amdhsa_uses_dynamic_stack 0
		.amdhsa_enable_private_segment 0
		.amdhsa_system_sgpr_workgroup_id_x 1
		.amdhsa_system_sgpr_workgroup_id_y 0
		.amdhsa_system_sgpr_workgroup_id_z 0
		.amdhsa_system_sgpr_workgroup_info 0
		.amdhsa_system_vgpr_workitem_id 0
		.amdhsa_next_free_vgpr 1
		.amdhsa_next_free_sgpr 1
		.amdhsa_reserve_vcc 0
		.amdhsa_float_round_mode_32 0
		.amdhsa_float_round_mode_16_64 0
		.amdhsa_float_denorm_mode_32 3
		.amdhsa_float_denorm_mode_16_64 3
		.amdhsa_dx10_clamp 1
		.amdhsa_ieee_mode 1
		.amdhsa_fp16_overflow 0
		.amdhsa_workgroup_processor_mode 1
		.amdhsa_memory_ordered 1
		.amdhsa_forward_progress 0
		.amdhsa_shared_vgpr_count 0
		.amdhsa_exception_fp_ieee_invalid_op 0
		.amdhsa_exception_fp_denorm_src 0
		.amdhsa_exception_fp_ieee_div_zero 0
		.amdhsa_exception_fp_ieee_overflow 0
		.amdhsa_exception_fp_ieee_underflow 0
		.amdhsa_exception_fp_ieee_inexact 0
		.amdhsa_exception_int_div_zero 0
	.end_amdhsa_kernel
	.section	.text._ZN7rocprim17ROCPRIM_400000_NS6detail17trampoline_kernelINS0_13select_configILj256ELj13ELNS0_17block_load_methodE3ELS4_3ELS4_3ELNS0_20block_scan_algorithmE0ELj4294967295EEENS1_25partition_config_selectorILNS1_17partition_subalgoE4EjNS0_10empty_typeEbEEZZNS1_14partition_implILS8_4ELb0ES6_15HIP_vector_typeIjLj2EENS0_17counting_iteratorIjlEEPS9_SG_NS0_5tupleIJPjSI_NS0_16reverse_iteratorISI_EEEEENSH_IJSG_SG_SG_EEES9_SI_JZNS1_25segmented_radix_sort_implINS0_14default_configELb1EPKiPiPKlPlN2at6native12_GLOBAL__N_18offset_tEEE10hipError_tPvRmT1_PNSt15iterator_traitsIS12_E10value_typeET2_T3_PNS13_IS18_E10value_typeET4_jRbjT5_S1E_jjP12ihipStream_tbEUljE_ZNSN_ISO_Lb1ESQ_SR_ST_SU_SY_EESZ_S10_S11_S12_S16_S17_S18_S1B_S1C_jS1D_jS1E_S1E_jjS1G_bEUljE0_EEESZ_S10_S11_S18_S1C_S1E_T6_T7_T9_mT8_S1G_bDpT10_ENKUlT_T0_E_clISt17integral_constantIbLb0EES1U_EEDaS1P_S1Q_EUlS1P_E_NS1_11comp_targetILNS1_3genE10ELNS1_11target_archE1200ELNS1_3gpuE4ELNS1_3repE0EEENS1_30default_config_static_selectorELNS0_4arch9wavefront6targetE0EEEvS12_,"axG",@progbits,_ZN7rocprim17ROCPRIM_400000_NS6detail17trampoline_kernelINS0_13select_configILj256ELj13ELNS0_17block_load_methodE3ELS4_3ELS4_3ELNS0_20block_scan_algorithmE0ELj4294967295EEENS1_25partition_config_selectorILNS1_17partition_subalgoE4EjNS0_10empty_typeEbEEZZNS1_14partition_implILS8_4ELb0ES6_15HIP_vector_typeIjLj2EENS0_17counting_iteratorIjlEEPS9_SG_NS0_5tupleIJPjSI_NS0_16reverse_iteratorISI_EEEEENSH_IJSG_SG_SG_EEES9_SI_JZNS1_25segmented_radix_sort_implINS0_14default_configELb1EPKiPiPKlPlN2at6native12_GLOBAL__N_18offset_tEEE10hipError_tPvRmT1_PNSt15iterator_traitsIS12_E10value_typeET2_T3_PNS13_IS18_E10value_typeET4_jRbjT5_S1E_jjP12ihipStream_tbEUljE_ZNSN_ISO_Lb1ESQ_SR_ST_SU_SY_EESZ_S10_S11_S12_S16_S17_S18_S1B_S1C_jS1D_jS1E_S1E_jjS1G_bEUljE0_EEESZ_S10_S11_S18_S1C_S1E_T6_T7_T9_mT8_S1G_bDpT10_ENKUlT_T0_E_clISt17integral_constantIbLb0EES1U_EEDaS1P_S1Q_EUlS1P_E_NS1_11comp_targetILNS1_3genE10ELNS1_11target_archE1200ELNS1_3gpuE4ELNS1_3repE0EEENS1_30default_config_static_selectorELNS0_4arch9wavefront6targetE0EEEvS12_,comdat
.Lfunc_end438:
	.size	_ZN7rocprim17ROCPRIM_400000_NS6detail17trampoline_kernelINS0_13select_configILj256ELj13ELNS0_17block_load_methodE3ELS4_3ELS4_3ELNS0_20block_scan_algorithmE0ELj4294967295EEENS1_25partition_config_selectorILNS1_17partition_subalgoE4EjNS0_10empty_typeEbEEZZNS1_14partition_implILS8_4ELb0ES6_15HIP_vector_typeIjLj2EENS0_17counting_iteratorIjlEEPS9_SG_NS0_5tupleIJPjSI_NS0_16reverse_iteratorISI_EEEEENSH_IJSG_SG_SG_EEES9_SI_JZNS1_25segmented_radix_sort_implINS0_14default_configELb1EPKiPiPKlPlN2at6native12_GLOBAL__N_18offset_tEEE10hipError_tPvRmT1_PNSt15iterator_traitsIS12_E10value_typeET2_T3_PNS13_IS18_E10value_typeET4_jRbjT5_S1E_jjP12ihipStream_tbEUljE_ZNSN_ISO_Lb1ESQ_SR_ST_SU_SY_EESZ_S10_S11_S12_S16_S17_S18_S1B_S1C_jS1D_jS1E_S1E_jjS1G_bEUljE0_EEESZ_S10_S11_S18_S1C_S1E_T6_T7_T9_mT8_S1G_bDpT10_ENKUlT_T0_E_clISt17integral_constantIbLb0EES1U_EEDaS1P_S1Q_EUlS1P_E_NS1_11comp_targetILNS1_3genE10ELNS1_11target_archE1200ELNS1_3gpuE4ELNS1_3repE0EEENS1_30default_config_static_selectorELNS0_4arch9wavefront6targetE0EEEvS12_, .Lfunc_end438-_ZN7rocprim17ROCPRIM_400000_NS6detail17trampoline_kernelINS0_13select_configILj256ELj13ELNS0_17block_load_methodE3ELS4_3ELS4_3ELNS0_20block_scan_algorithmE0ELj4294967295EEENS1_25partition_config_selectorILNS1_17partition_subalgoE4EjNS0_10empty_typeEbEEZZNS1_14partition_implILS8_4ELb0ES6_15HIP_vector_typeIjLj2EENS0_17counting_iteratorIjlEEPS9_SG_NS0_5tupleIJPjSI_NS0_16reverse_iteratorISI_EEEEENSH_IJSG_SG_SG_EEES9_SI_JZNS1_25segmented_radix_sort_implINS0_14default_configELb1EPKiPiPKlPlN2at6native12_GLOBAL__N_18offset_tEEE10hipError_tPvRmT1_PNSt15iterator_traitsIS12_E10value_typeET2_T3_PNS13_IS18_E10value_typeET4_jRbjT5_S1E_jjP12ihipStream_tbEUljE_ZNSN_ISO_Lb1ESQ_SR_ST_SU_SY_EESZ_S10_S11_S12_S16_S17_S18_S1B_S1C_jS1D_jS1E_S1E_jjS1G_bEUljE0_EEESZ_S10_S11_S18_S1C_S1E_T6_T7_T9_mT8_S1G_bDpT10_ENKUlT_T0_E_clISt17integral_constantIbLb0EES1U_EEDaS1P_S1Q_EUlS1P_E_NS1_11comp_targetILNS1_3genE10ELNS1_11target_archE1200ELNS1_3gpuE4ELNS1_3repE0EEENS1_30default_config_static_selectorELNS0_4arch9wavefront6targetE0EEEvS12_
                                        ; -- End function
	.section	.AMDGPU.csdata,"",@progbits
; Kernel info:
; codeLenInByte = 0
; NumSgprs: 0
; NumVgprs: 0
; ScratchSize: 0
; MemoryBound: 0
; FloatMode: 240
; IeeeMode: 1
; LDSByteSize: 0 bytes/workgroup (compile time only)
; SGPRBlocks: 0
; VGPRBlocks: 0
; NumSGPRsForWavesPerEU: 1
; NumVGPRsForWavesPerEU: 1
; Occupancy: 16
; WaveLimiterHint : 0
; COMPUTE_PGM_RSRC2:SCRATCH_EN: 0
; COMPUTE_PGM_RSRC2:USER_SGPR: 15
; COMPUTE_PGM_RSRC2:TRAP_HANDLER: 0
; COMPUTE_PGM_RSRC2:TGID_X_EN: 1
; COMPUTE_PGM_RSRC2:TGID_Y_EN: 0
; COMPUTE_PGM_RSRC2:TGID_Z_EN: 0
; COMPUTE_PGM_RSRC2:TIDIG_COMP_CNT: 0
	.section	.text._ZN7rocprim17ROCPRIM_400000_NS6detail17trampoline_kernelINS0_13select_configILj256ELj13ELNS0_17block_load_methodE3ELS4_3ELS4_3ELNS0_20block_scan_algorithmE0ELj4294967295EEENS1_25partition_config_selectorILNS1_17partition_subalgoE4EjNS0_10empty_typeEbEEZZNS1_14partition_implILS8_4ELb0ES6_15HIP_vector_typeIjLj2EENS0_17counting_iteratorIjlEEPS9_SG_NS0_5tupleIJPjSI_NS0_16reverse_iteratorISI_EEEEENSH_IJSG_SG_SG_EEES9_SI_JZNS1_25segmented_radix_sort_implINS0_14default_configELb1EPKiPiPKlPlN2at6native12_GLOBAL__N_18offset_tEEE10hipError_tPvRmT1_PNSt15iterator_traitsIS12_E10value_typeET2_T3_PNS13_IS18_E10value_typeET4_jRbjT5_S1E_jjP12ihipStream_tbEUljE_ZNSN_ISO_Lb1ESQ_SR_ST_SU_SY_EESZ_S10_S11_S12_S16_S17_S18_S1B_S1C_jS1D_jS1E_S1E_jjS1G_bEUljE0_EEESZ_S10_S11_S18_S1C_S1E_T6_T7_T9_mT8_S1G_bDpT10_ENKUlT_T0_E_clISt17integral_constantIbLb0EES1U_EEDaS1P_S1Q_EUlS1P_E_NS1_11comp_targetILNS1_3genE9ELNS1_11target_archE1100ELNS1_3gpuE3ELNS1_3repE0EEENS1_30default_config_static_selectorELNS0_4arch9wavefront6targetE0EEEvS12_,"axG",@progbits,_ZN7rocprim17ROCPRIM_400000_NS6detail17trampoline_kernelINS0_13select_configILj256ELj13ELNS0_17block_load_methodE3ELS4_3ELS4_3ELNS0_20block_scan_algorithmE0ELj4294967295EEENS1_25partition_config_selectorILNS1_17partition_subalgoE4EjNS0_10empty_typeEbEEZZNS1_14partition_implILS8_4ELb0ES6_15HIP_vector_typeIjLj2EENS0_17counting_iteratorIjlEEPS9_SG_NS0_5tupleIJPjSI_NS0_16reverse_iteratorISI_EEEEENSH_IJSG_SG_SG_EEES9_SI_JZNS1_25segmented_radix_sort_implINS0_14default_configELb1EPKiPiPKlPlN2at6native12_GLOBAL__N_18offset_tEEE10hipError_tPvRmT1_PNSt15iterator_traitsIS12_E10value_typeET2_T3_PNS13_IS18_E10value_typeET4_jRbjT5_S1E_jjP12ihipStream_tbEUljE_ZNSN_ISO_Lb1ESQ_SR_ST_SU_SY_EESZ_S10_S11_S12_S16_S17_S18_S1B_S1C_jS1D_jS1E_S1E_jjS1G_bEUljE0_EEESZ_S10_S11_S18_S1C_S1E_T6_T7_T9_mT8_S1G_bDpT10_ENKUlT_T0_E_clISt17integral_constantIbLb0EES1U_EEDaS1P_S1Q_EUlS1P_E_NS1_11comp_targetILNS1_3genE9ELNS1_11target_archE1100ELNS1_3gpuE3ELNS1_3repE0EEENS1_30default_config_static_selectorELNS0_4arch9wavefront6targetE0EEEvS12_,comdat
	.globl	_ZN7rocprim17ROCPRIM_400000_NS6detail17trampoline_kernelINS0_13select_configILj256ELj13ELNS0_17block_load_methodE3ELS4_3ELS4_3ELNS0_20block_scan_algorithmE0ELj4294967295EEENS1_25partition_config_selectorILNS1_17partition_subalgoE4EjNS0_10empty_typeEbEEZZNS1_14partition_implILS8_4ELb0ES6_15HIP_vector_typeIjLj2EENS0_17counting_iteratorIjlEEPS9_SG_NS0_5tupleIJPjSI_NS0_16reverse_iteratorISI_EEEEENSH_IJSG_SG_SG_EEES9_SI_JZNS1_25segmented_radix_sort_implINS0_14default_configELb1EPKiPiPKlPlN2at6native12_GLOBAL__N_18offset_tEEE10hipError_tPvRmT1_PNSt15iterator_traitsIS12_E10value_typeET2_T3_PNS13_IS18_E10value_typeET4_jRbjT5_S1E_jjP12ihipStream_tbEUljE_ZNSN_ISO_Lb1ESQ_SR_ST_SU_SY_EESZ_S10_S11_S12_S16_S17_S18_S1B_S1C_jS1D_jS1E_S1E_jjS1G_bEUljE0_EEESZ_S10_S11_S18_S1C_S1E_T6_T7_T9_mT8_S1G_bDpT10_ENKUlT_T0_E_clISt17integral_constantIbLb0EES1U_EEDaS1P_S1Q_EUlS1P_E_NS1_11comp_targetILNS1_3genE9ELNS1_11target_archE1100ELNS1_3gpuE3ELNS1_3repE0EEENS1_30default_config_static_selectorELNS0_4arch9wavefront6targetE0EEEvS12_ ; -- Begin function _ZN7rocprim17ROCPRIM_400000_NS6detail17trampoline_kernelINS0_13select_configILj256ELj13ELNS0_17block_load_methodE3ELS4_3ELS4_3ELNS0_20block_scan_algorithmE0ELj4294967295EEENS1_25partition_config_selectorILNS1_17partition_subalgoE4EjNS0_10empty_typeEbEEZZNS1_14partition_implILS8_4ELb0ES6_15HIP_vector_typeIjLj2EENS0_17counting_iteratorIjlEEPS9_SG_NS0_5tupleIJPjSI_NS0_16reverse_iteratorISI_EEEEENSH_IJSG_SG_SG_EEES9_SI_JZNS1_25segmented_radix_sort_implINS0_14default_configELb1EPKiPiPKlPlN2at6native12_GLOBAL__N_18offset_tEEE10hipError_tPvRmT1_PNSt15iterator_traitsIS12_E10value_typeET2_T3_PNS13_IS18_E10value_typeET4_jRbjT5_S1E_jjP12ihipStream_tbEUljE_ZNSN_ISO_Lb1ESQ_SR_ST_SU_SY_EESZ_S10_S11_S12_S16_S17_S18_S1B_S1C_jS1D_jS1E_S1E_jjS1G_bEUljE0_EEESZ_S10_S11_S18_S1C_S1E_T6_T7_T9_mT8_S1G_bDpT10_ENKUlT_T0_E_clISt17integral_constantIbLb0EES1U_EEDaS1P_S1Q_EUlS1P_E_NS1_11comp_targetILNS1_3genE9ELNS1_11target_archE1100ELNS1_3gpuE3ELNS1_3repE0EEENS1_30default_config_static_selectorELNS0_4arch9wavefront6targetE0EEEvS12_
	.p2align	8
	.type	_ZN7rocprim17ROCPRIM_400000_NS6detail17trampoline_kernelINS0_13select_configILj256ELj13ELNS0_17block_load_methodE3ELS4_3ELS4_3ELNS0_20block_scan_algorithmE0ELj4294967295EEENS1_25partition_config_selectorILNS1_17partition_subalgoE4EjNS0_10empty_typeEbEEZZNS1_14partition_implILS8_4ELb0ES6_15HIP_vector_typeIjLj2EENS0_17counting_iteratorIjlEEPS9_SG_NS0_5tupleIJPjSI_NS0_16reverse_iteratorISI_EEEEENSH_IJSG_SG_SG_EEES9_SI_JZNS1_25segmented_radix_sort_implINS0_14default_configELb1EPKiPiPKlPlN2at6native12_GLOBAL__N_18offset_tEEE10hipError_tPvRmT1_PNSt15iterator_traitsIS12_E10value_typeET2_T3_PNS13_IS18_E10value_typeET4_jRbjT5_S1E_jjP12ihipStream_tbEUljE_ZNSN_ISO_Lb1ESQ_SR_ST_SU_SY_EESZ_S10_S11_S12_S16_S17_S18_S1B_S1C_jS1D_jS1E_S1E_jjS1G_bEUljE0_EEESZ_S10_S11_S18_S1C_S1E_T6_T7_T9_mT8_S1G_bDpT10_ENKUlT_T0_E_clISt17integral_constantIbLb0EES1U_EEDaS1P_S1Q_EUlS1P_E_NS1_11comp_targetILNS1_3genE9ELNS1_11target_archE1100ELNS1_3gpuE3ELNS1_3repE0EEENS1_30default_config_static_selectorELNS0_4arch9wavefront6targetE0EEEvS12_,@function
_ZN7rocprim17ROCPRIM_400000_NS6detail17trampoline_kernelINS0_13select_configILj256ELj13ELNS0_17block_load_methodE3ELS4_3ELS4_3ELNS0_20block_scan_algorithmE0ELj4294967295EEENS1_25partition_config_selectorILNS1_17partition_subalgoE4EjNS0_10empty_typeEbEEZZNS1_14partition_implILS8_4ELb0ES6_15HIP_vector_typeIjLj2EENS0_17counting_iteratorIjlEEPS9_SG_NS0_5tupleIJPjSI_NS0_16reverse_iteratorISI_EEEEENSH_IJSG_SG_SG_EEES9_SI_JZNS1_25segmented_radix_sort_implINS0_14default_configELb1EPKiPiPKlPlN2at6native12_GLOBAL__N_18offset_tEEE10hipError_tPvRmT1_PNSt15iterator_traitsIS12_E10value_typeET2_T3_PNS13_IS18_E10value_typeET4_jRbjT5_S1E_jjP12ihipStream_tbEUljE_ZNSN_ISO_Lb1ESQ_SR_ST_SU_SY_EESZ_S10_S11_S12_S16_S17_S18_S1B_S1C_jS1D_jS1E_S1E_jjS1G_bEUljE0_EEESZ_S10_S11_S18_S1C_S1E_T6_T7_T9_mT8_S1G_bDpT10_ENKUlT_T0_E_clISt17integral_constantIbLb0EES1U_EEDaS1P_S1Q_EUlS1P_E_NS1_11comp_targetILNS1_3genE9ELNS1_11target_archE1100ELNS1_3gpuE3ELNS1_3repE0EEENS1_30default_config_static_selectorELNS0_4arch9wavefront6targetE0EEEvS12_: ; @_ZN7rocprim17ROCPRIM_400000_NS6detail17trampoline_kernelINS0_13select_configILj256ELj13ELNS0_17block_load_methodE3ELS4_3ELS4_3ELNS0_20block_scan_algorithmE0ELj4294967295EEENS1_25partition_config_selectorILNS1_17partition_subalgoE4EjNS0_10empty_typeEbEEZZNS1_14partition_implILS8_4ELb0ES6_15HIP_vector_typeIjLj2EENS0_17counting_iteratorIjlEEPS9_SG_NS0_5tupleIJPjSI_NS0_16reverse_iteratorISI_EEEEENSH_IJSG_SG_SG_EEES9_SI_JZNS1_25segmented_radix_sort_implINS0_14default_configELb1EPKiPiPKlPlN2at6native12_GLOBAL__N_18offset_tEEE10hipError_tPvRmT1_PNSt15iterator_traitsIS12_E10value_typeET2_T3_PNS13_IS18_E10value_typeET4_jRbjT5_S1E_jjP12ihipStream_tbEUljE_ZNSN_ISO_Lb1ESQ_SR_ST_SU_SY_EESZ_S10_S11_S12_S16_S17_S18_S1B_S1C_jS1D_jS1E_S1E_jjS1G_bEUljE0_EEESZ_S10_S11_S18_S1C_S1E_T6_T7_T9_mT8_S1G_bDpT10_ENKUlT_T0_E_clISt17integral_constantIbLb0EES1U_EEDaS1P_S1Q_EUlS1P_E_NS1_11comp_targetILNS1_3genE9ELNS1_11target_archE1100ELNS1_3gpuE3ELNS1_3repE0EEENS1_30default_config_static_selectorELNS0_4arch9wavefront6targetE0EEEvS12_
; %bb.0:
	s_clause 0x6
	s_load_b32 s5, s[0:1], 0x80
	s_load_b64 s[34:35], s[0:1], 0x10
	s_load_b64 s[2:3], s[0:1], 0x68
	s_load_b32 s8, s[0:1], 0x8
	s_load_b128 s[24:27], s[0:1], 0x58
	s_load_b64 s[40:41], s[0:1], 0xa8
	s_load_b256 s[16:23], s[0:1], 0x88
	s_mul_i32 s33, s15, 0xd00
	s_waitcnt lgkmcnt(0)
	s_mul_i32 s4, s5, 0xd00
	s_add_i32 s5, s5, -1
	s_add_u32 s6, s34, s4
	s_addc_u32 s7, s35, 0
	s_load_b128 s[28:31], s[26:27], 0x0
	s_cmp_eq_u32 s15, s5
	v_cmp_lt_u64_e64 s3, s[6:7], s[2:3]
	s_cselect_b32 s14, -1, 0
	s_cmp_lg_u32 s15, s5
	s_cselect_b32 s5, -1, 0
	s_add_i32 s6, s8, s33
	s_delay_alu instid0(VALU_DEP_1) | instskip(SKIP_4) | instid1(VALU_DEP_1)
	s_or_b32 s3, s5, s3
	s_add_i32 s6, s6, s34
	s_and_b32 vcc_lo, exec_lo, s3
	v_add_nc_u32_e32 v1, s6, v0
	s_mov_b32 s5, -1
	v_add_nc_u32_e32 v2, 0x100, v1
	v_add_nc_u32_e32 v3, 0x200, v1
	;; [unrolled: 1-line block ×12, first 2 shown]
	s_cbranch_vccz .LBB439_2
; %bb.1:
	v_lshlrev_b32_e32 v14, 2, v0
	s_mov_b32 s5, 0
	ds_store_2addr_stride64_b32 v14, v1, v2 offset1:4
	ds_store_2addr_stride64_b32 v14, v3, v4 offset0:8 offset1:12
	ds_store_2addr_stride64_b32 v14, v5, v6 offset0:16 offset1:20
	;; [unrolled: 1-line block ×5, first 2 shown]
	ds_store_b32 v14, v13 offset:12288
	s_waitcnt lgkmcnt(0)
	s_barrier
.LBB439_2:
	s_and_not1_b32 vcc_lo, exec_lo, s5
	s_add_i32 s4, s4, s34
	s_cbranch_vccnz .LBB439_4
; %bb.3:
	v_lshlrev_b32_e32 v14, 2, v0
	ds_store_2addr_stride64_b32 v14, v1, v2 offset1:4
	ds_store_2addr_stride64_b32 v14, v3, v4 offset0:8 offset1:12
	ds_store_2addr_stride64_b32 v14, v5, v6 offset0:16 offset1:20
	;; [unrolled: 1-line block ×5, first 2 shown]
	ds_store_b32 v14, v13 offset:12288
	s_waitcnt lgkmcnt(0)
	s_barrier
.LBB439_4:
	v_mul_u32_u24_e32 v28, 13, v0
	s_clause 0x1
	s_load_b128 s[36:39], s[0:1], 0x28
	s_load_b64 s[26:27], s[0:1], 0x38
	s_waitcnt lgkmcnt(0)
	buffer_gl0_inv
	v_cndmask_b32_e64 v26, 0, 1, s3
	s_sub_i32 s44, s2, s4
	v_lshlrev_b32_e32 v1, 2, v28
	s_and_not1_b32 vcc_lo, exec_lo, s3
	ds_load_2addr_b32 v[16:17], v1 offset1:1
	ds_load_2addr_b32 v[14:15], v1 offset0:2 offset1:3
	ds_load_2addr_b32 v[12:13], v1 offset0:4 offset1:5
	;; [unrolled: 1-line block ×5, first 2 shown]
	ds_load_b32 v27, v1 offset:48
	s_waitcnt lgkmcnt(0)
	s_barrier
	buffer_gl0_inv
	s_cbranch_vccnz .LBB439_32
; %bb.5:
	v_add_nc_u32_e32 v1, s17, v16
	v_add_nc_u32_e32 v2, s19, v16
	s_mov_b32 s46, 0
	s_mov_b32 s45, 0
	s_mov_b32 s3, exec_lo
	v_mul_lo_u32 v1, v1, s16
	v_mul_lo_u32 v2, v2, s18
	s_delay_alu instid0(VALU_DEP_1) | instskip(NEXT) | instid1(VALU_DEP_1)
	v_sub_nc_u32_e32 v1, v1, v2
	v_cmp_lt_u32_e32 vcc_lo, s20, v1
	v_cmpx_ge_u32_e64 s20, v1
; %bb.6:
	v_add_nc_u32_e32 v1, s22, v16
	v_add_nc_u32_e32 v2, s40, v16
	s_delay_alu instid0(VALU_DEP_2) | instskip(NEXT) | instid1(VALU_DEP_2)
	v_mul_lo_u32 v1, v1, s21
	v_mul_lo_u32 v2, v2, s23
	s_delay_alu instid0(VALU_DEP_1) | instskip(NEXT) | instid1(VALU_DEP_1)
	v_sub_nc_u32_e32 v1, v1, v2
	v_cmp_lt_u32_e64 s2, s41, v1
	s_delay_alu instid0(VALU_DEP_1)
	s_and_b32 s45, s2, exec_lo
; %bb.7:
	s_or_b32 exec_lo, exec_lo, s3
	v_add_nc_u32_e32 v1, s17, v17
	v_add_nc_u32_e32 v2, s19, v17
	s_mov_b32 s4, exec_lo
	s_delay_alu instid0(VALU_DEP_2) | instskip(NEXT) | instid1(VALU_DEP_2)
	v_mul_lo_u32 v1, v1, s16
	v_mul_lo_u32 v2, v2, s18
	s_delay_alu instid0(VALU_DEP_1) | instskip(NEXT) | instid1(VALU_DEP_1)
	v_sub_nc_u32_e32 v1, v1, v2
	v_cmp_lt_u32_e64 s2, s20, v1
	v_cmpx_ge_u32_e64 s20, v1
; %bb.8:
	v_add_nc_u32_e32 v1, s22, v17
	v_add_nc_u32_e32 v2, s40, v17
	s_delay_alu instid0(VALU_DEP_2) | instskip(NEXT) | instid1(VALU_DEP_2)
	v_mul_lo_u32 v1, v1, s21
	v_mul_lo_u32 v2, v2, s23
	s_delay_alu instid0(VALU_DEP_1) | instskip(NEXT) | instid1(VALU_DEP_1)
	v_sub_nc_u32_e32 v1, v1, v2
	v_cmp_lt_u32_e64 s3, s41, v1
	s_delay_alu instid0(VALU_DEP_1)
	s_and_b32 s46, s3, exec_lo
; %bb.9:
	s_or_b32 exec_lo, exec_lo, s4
	v_add_nc_u32_e32 v1, s17, v14
	v_add_nc_u32_e32 v2, s19, v14
	s_mov_b32 s48, 0
	s_mov_b32 s47, 0
	s_mov_b32 s5, exec_lo
	v_mul_lo_u32 v1, v1, s16
	v_mul_lo_u32 v2, v2, s18
	s_delay_alu instid0(VALU_DEP_1) | instskip(NEXT) | instid1(VALU_DEP_1)
	v_sub_nc_u32_e32 v1, v1, v2
	v_cmp_lt_u32_e64 s3, s20, v1
	v_cmpx_ge_u32_e64 s20, v1
; %bb.10:
	v_add_nc_u32_e32 v1, s22, v14
	v_add_nc_u32_e32 v2, s40, v14
	s_delay_alu instid0(VALU_DEP_2) | instskip(NEXT) | instid1(VALU_DEP_2)
	v_mul_lo_u32 v1, v1, s21
	v_mul_lo_u32 v2, v2, s23
	s_delay_alu instid0(VALU_DEP_1) | instskip(NEXT) | instid1(VALU_DEP_1)
	v_sub_nc_u32_e32 v1, v1, v2
	v_cmp_lt_u32_e64 s4, s41, v1
	s_delay_alu instid0(VALU_DEP_1)
	s_and_b32 s47, s4, exec_lo
; %bb.11:
	s_or_b32 exec_lo, exec_lo, s5
	v_add_nc_u32_e32 v1, s17, v15
	v_add_nc_u32_e32 v2, s19, v15
	s_mov_b32 s6, exec_lo
	s_delay_alu instid0(VALU_DEP_2) | instskip(NEXT) | instid1(VALU_DEP_2)
	v_mul_lo_u32 v1, v1, s16
	v_mul_lo_u32 v2, v2, s18
	s_delay_alu instid0(VALU_DEP_1) | instskip(NEXT) | instid1(VALU_DEP_1)
	v_sub_nc_u32_e32 v1, v1, v2
	v_cmp_lt_u32_e64 s4, s20, v1
	v_cmpx_ge_u32_e64 s20, v1
; %bb.12:
	v_add_nc_u32_e32 v1, s22, v15
	v_add_nc_u32_e32 v2, s40, v15
	s_delay_alu instid0(VALU_DEP_2) | instskip(NEXT) | instid1(VALU_DEP_2)
	v_mul_lo_u32 v1, v1, s21
	v_mul_lo_u32 v2, v2, s23
	s_delay_alu instid0(VALU_DEP_1) | instskip(NEXT) | instid1(VALU_DEP_1)
	v_sub_nc_u32_e32 v1, v1, v2
	v_cmp_lt_u32_e64 s5, s41, v1
	s_delay_alu instid0(VALU_DEP_1)
	s_and_b32 s48, s5, exec_lo
; %bb.13:
	s_or_b32 exec_lo, exec_lo, s6
	v_add_nc_u32_e32 v1, s17, v12
	v_add_nc_u32_e32 v2, s19, v12
	s_mov_b32 s50, 0
	s_mov_b32 s49, 0
	s_mov_b32 s7, exec_lo
	v_mul_lo_u32 v1, v1, s16
	v_mul_lo_u32 v2, v2, s18
	s_delay_alu instid0(VALU_DEP_1) | instskip(NEXT) | instid1(VALU_DEP_1)
	v_sub_nc_u32_e32 v1, v1, v2
	v_cmp_lt_u32_e64 s5, s20, v1
	;; [unrolled: 47-line block ×5, first 2 shown]
	v_cmpx_ge_u32_e64 s20, v1
; %bb.26:
	v_add_nc_u32_e32 v1, s22, v6
	v_add_nc_u32_e32 v2, s40, v6
	s_delay_alu instid0(VALU_DEP_2) | instskip(NEXT) | instid1(VALU_DEP_2)
	v_mul_lo_u32 v1, v1, s21
	v_mul_lo_u32 v2, v2, s23
	s_delay_alu instid0(VALU_DEP_1) | instskip(NEXT) | instid1(VALU_DEP_1)
	v_sub_nc_u32_e32 v1, v1, v2
	v_cmp_lt_u32_e64 s12, s41, v1
	s_delay_alu instid0(VALU_DEP_1)
	s_and_b32 s57, s12, exec_lo
; %bb.27:
	s_or_b32 exec_lo, exec_lo, s13
	v_add_nc_u32_e32 v1, s17, v7
	v_add_nc_u32_e32 v2, s19, v7
	s_mov_b32 s42, exec_lo
	s_delay_alu instid0(VALU_DEP_2) | instskip(NEXT) | instid1(VALU_DEP_2)
	v_mul_lo_u32 v1, v1, s16
	v_mul_lo_u32 v2, v2, s18
	s_delay_alu instid0(VALU_DEP_1) | instskip(NEXT) | instid1(VALU_DEP_1)
	v_sub_nc_u32_e32 v1, v1, v2
	v_cmp_lt_u32_e64 s12, s20, v1
	v_cmpx_ge_u32_e64 s20, v1
; %bb.28:
	v_add_nc_u32_e32 v1, s22, v7
	v_add_nc_u32_e32 v2, s40, v7
	s_delay_alu instid0(VALU_DEP_2) | instskip(NEXT) | instid1(VALU_DEP_2)
	v_mul_lo_u32 v1, v1, s21
	v_mul_lo_u32 v2, v2, s23
	s_delay_alu instid0(VALU_DEP_1) | instskip(NEXT) | instid1(VALU_DEP_1)
	v_sub_nc_u32_e32 v1, v1, v2
	v_cmp_lt_u32_e64 s13, s41, v1
	s_delay_alu instid0(VALU_DEP_1)
	s_and_b32 s56, s13, exec_lo
; %bb.29:
	s_or_b32 exec_lo, exec_lo, s42
	v_add_nc_u32_e32 v1, s17, v27
	v_add_nc_u32_e32 v2, s19, v27
	s_mov_b32 s42, -1
	s_mov_b32 s53, 0
	s_mov_b32 s43, 0
	v_mul_lo_u32 v1, v1, s16
	v_mul_lo_u32 v2, v2, s18
	s_mov_b32 s58, exec_lo
	s_delay_alu instid0(VALU_DEP_1) | instskip(NEXT) | instid1(VALU_DEP_1)
	v_sub_nc_u32_e32 v1, v1, v2
	v_cmpx_ge_u32_e64 s20, v1
; %bb.30:
	v_add_nc_u32_e32 v1, s22, v27
	v_add_nc_u32_e32 v2, s40, v27
	s_xor_b32 s42, exec_lo, -1
	s_delay_alu instid0(VALU_DEP_2) | instskip(NEXT) | instid1(VALU_DEP_2)
	v_mul_lo_u32 v1, v1, s21
	v_mul_lo_u32 v2, v2, s23
	s_delay_alu instid0(VALU_DEP_1) | instskip(NEXT) | instid1(VALU_DEP_1)
	v_sub_nc_u32_e32 v1, v1, v2
	v_cmp_lt_u32_e64 s13, s41, v1
	s_delay_alu instid0(VALU_DEP_1)
	s_and_b32 s43, s13, exec_lo
; %bb.31:
	s_or_b32 exec_lo, exec_lo, s58
	v_cndmask_b32_e64 v48, 0, 1, s57
	v_cndmask_b32_e64 v51, 0, 1, s12
	;; [unrolled: 1-line block ×22, first 2 shown]
	v_cndmask_b32_e64 v29, 0, 1, vcc_lo
	v_cndmask_b32_e64 v52, 0, 1, s56
	s_load_b64 s[4:5], s[0:1], 0x78
	s_and_b32 vcc_lo, exec_lo, s53
	s_add_i32 s3, s44, 0xd00
	s_cbranch_vccnz .LBB439_33
	s_branch .LBB439_86
.LBB439_32:
                                        ; implicit-def: $sgpr42
                                        ; implicit-def: $sgpr43
                                        ; implicit-def: $vgpr52
                                        ; implicit-def: $vgpr48
                                        ; implicit-def: $vgpr47
                                        ; implicit-def: $vgpr45
                                        ; implicit-def: $vgpr43
                                        ; implicit-def: $vgpr40
                                        ; implicit-def: $vgpr39
                                        ; implicit-def: $vgpr37
                                        ; implicit-def: $vgpr35
                                        ; implicit-def: $vgpr29
                                        ; implicit-def: $vgpr33
                                        ; implicit-def: $vgpr31
                                        ; implicit-def: $vgpr32
                                        ; implicit-def: $vgpr38
                                        ; implicit-def: $vgpr41
                                        ; implicit-def: $vgpr42
                                        ; implicit-def: $vgpr44
                                        ; implicit-def: $vgpr46
                                        ; implicit-def: $vgpr49
                                        ; implicit-def: $vgpr50
                                        ; implicit-def: $vgpr51
                                        ; implicit-def: $vgpr30
                                        ; implicit-def: $vgpr34
                                        ; implicit-def: $vgpr36
	s_load_b64 s[4:5], s[0:1], 0x78
	s_add_i32 s3, s44, 0xd00
	s_cbranch_execz .LBB439_86
.LBB439_33:
	v_dual_mov_b32 v30, 0 :: v_dual_mov_b32 v29, 0
	s_mov_b32 s2, 0
	s_mov_b32 s1, exec_lo
	v_cmpx_gt_u32_e64 s3, v28
	s_cbranch_execz .LBB439_37
; %bb.34:
	v_add_nc_u32_e32 v1, s17, v16
	v_add_nc_u32_e32 v2, s19, v16
	s_mov_b32 s6, exec_lo
	s_delay_alu instid0(VALU_DEP_2) | instskip(NEXT) | instid1(VALU_DEP_2)
	v_mul_lo_u32 v1, v1, s16
	v_mul_lo_u32 v2, v2, s18
	s_delay_alu instid0(VALU_DEP_1) | instskip(NEXT) | instid1(VALU_DEP_1)
	v_sub_nc_u32_e32 v1, v1, v2
	v_cmp_lt_u32_e32 vcc_lo, s20, v1
	v_cmpx_ge_u32_e64 s20, v1
; %bb.35:
	v_add_nc_u32_e32 v1, s22, v16
	v_add_nc_u32_e32 v2, s40, v16
	s_delay_alu instid0(VALU_DEP_2) | instskip(NEXT) | instid1(VALU_DEP_2)
	v_mul_lo_u32 v1, v1, s21
	v_mul_lo_u32 v2, v2, s23
	s_delay_alu instid0(VALU_DEP_1) | instskip(NEXT) | instid1(VALU_DEP_1)
	v_sub_nc_u32_e32 v1, v1, v2
	v_cmp_lt_u32_e64 s0, s41, v1
	s_delay_alu instid0(VALU_DEP_1)
	s_and_b32 s2, s0, exec_lo
; %bb.36:
	s_or_b32 exec_lo, exec_lo, s6
	v_cndmask_b32_e64 v29, 0, 1, vcc_lo
	v_cndmask_b32_e64 v30, 0, 1, s2
.LBB439_37:
	s_or_b32 exec_lo, exec_lo, s1
	v_dual_mov_b32 v34, 0 :: v_dual_add_nc_u32 v1, 1, v28
	v_mov_b32_e32 v33, 0
	s_mov_b32 s2, 0
	s_mov_b32 s1, exec_lo
	s_delay_alu instid0(VALU_DEP_2)
	v_cmpx_gt_u32_e64 s3, v1
	s_cbranch_execz .LBB439_41
; %bb.38:
	v_add_nc_u32_e32 v1, s17, v17
	v_add_nc_u32_e32 v2, s19, v17
	s_mov_b32 s6, exec_lo
	s_delay_alu instid0(VALU_DEP_2) | instskip(NEXT) | instid1(VALU_DEP_2)
	v_mul_lo_u32 v1, v1, s16
	v_mul_lo_u32 v2, v2, s18
	s_delay_alu instid0(VALU_DEP_1) | instskip(NEXT) | instid1(VALU_DEP_1)
	v_sub_nc_u32_e32 v1, v1, v2
	v_cmp_lt_u32_e32 vcc_lo, s20, v1
	v_cmpx_ge_u32_e64 s20, v1
; %bb.39:
	v_add_nc_u32_e32 v1, s22, v17
	v_add_nc_u32_e32 v2, s40, v17
	s_delay_alu instid0(VALU_DEP_2) | instskip(NEXT) | instid1(VALU_DEP_2)
	v_mul_lo_u32 v1, v1, s21
	v_mul_lo_u32 v2, v2, s23
	s_delay_alu instid0(VALU_DEP_1) | instskip(NEXT) | instid1(VALU_DEP_1)
	v_sub_nc_u32_e32 v1, v1, v2
	v_cmp_lt_u32_e64 s0, s41, v1
	s_delay_alu instid0(VALU_DEP_1)
	s_and_b32 s2, s0, exec_lo
; %bb.40:
	s_or_b32 exec_lo, exec_lo, s6
	v_cndmask_b32_e64 v33, 0, 1, vcc_lo
	v_cndmask_b32_e64 v34, 0, 1, s2
.LBB439_41:
	s_or_b32 exec_lo, exec_lo, s1
	v_dual_mov_b32 v36, 0 :: v_dual_add_nc_u32 v1, 2, v28
	v_mov_b32_e32 v31, 0
	s_mov_b32 s2, 0
	s_mov_b32 s1, exec_lo
	s_delay_alu instid0(VALU_DEP_2)
	;; [unrolled: 35-line block ×4, first 2 shown]
	v_cmpx_gt_u32_e64 s3, v1
	s_cbranch_execz .LBB439_53
; %bb.50:
	v_add_nc_u32_e32 v1, s17, v12
	v_add_nc_u32_e32 v2, s19, v12
	s_mov_b32 s6, exec_lo
	s_delay_alu instid0(VALU_DEP_2) | instskip(NEXT) | instid1(VALU_DEP_2)
	v_mul_lo_u32 v1, v1, s16
	v_mul_lo_u32 v2, v2, s18
	s_delay_alu instid0(VALU_DEP_1) | instskip(NEXT) | instid1(VALU_DEP_1)
	v_sub_nc_u32_e32 v1, v1, v2
	v_cmp_lt_u32_e32 vcc_lo, s20, v1
	v_cmpx_ge_u32_e64 s20, v1
; %bb.51:
	v_add_nc_u32_e32 v1, s22, v12
	v_add_nc_u32_e32 v2, s40, v12
	s_delay_alu instid0(VALU_DEP_2) | instskip(NEXT) | instid1(VALU_DEP_2)
	v_mul_lo_u32 v1, v1, s21
	v_mul_lo_u32 v2, v2, s23
	s_delay_alu instid0(VALU_DEP_1) | instskip(NEXT) | instid1(VALU_DEP_1)
	v_sub_nc_u32_e32 v1, v1, v2
	v_cmp_lt_u32_e64 s0, s41, v1
	s_delay_alu instid0(VALU_DEP_1)
	s_and_b32 s2, s0, exec_lo
; %bb.52:
	s_or_b32 exec_lo, exec_lo, s6
	v_cndmask_b32_e64 v38, 0, 1, vcc_lo
	v_cndmask_b32_e64 v37, 0, 1, s2
.LBB439_53:
	s_or_b32 exec_lo, exec_lo, s1
	v_add_nc_u32_e32 v1, 5, v28
	v_mov_b32_e32 v39, 0
	v_mov_b32_e32 v41, 0
	s_mov_b32 s2, 0
	s_mov_b32 s1, exec_lo
	v_cmpx_gt_u32_e64 s3, v1
	s_cbranch_execz .LBB439_57
; %bb.54:
	v_add_nc_u32_e32 v1, s17, v13
	v_add_nc_u32_e32 v2, s19, v13
	s_mov_b32 s6, exec_lo
	s_delay_alu instid0(VALU_DEP_2) | instskip(NEXT) | instid1(VALU_DEP_2)
	v_mul_lo_u32 v1, v1, s16
	v_mul_lo_u32 v2, v2, s18
	s_delay_alu instid0(VALU_DEP_1) | instskip(NEXT) | instid1(VALU_DEP_1)
	v_sub_nc_u32_e32 v1, v1, v2
	v_cmp_lt_u32_e32 vcc_lo, s20, v1
	v_cmpx_ge_u32_e64 s20, v1
; %bb.55:
	v_add_nc_u32_e32 v1, s22, v13
	v_add_nc_u32_e32 v2, s40, v13
	s_delay_alu instid0(VALU_DEP_2) | instskip(NEXT) | instid1(VALU_DEP_2)
	v_mul_lo_u32 v1, v1, s21
	v_mul_lo_u32 v2, v2, s23
	s_delay_alu instid0(VALU_DEP_1) | instskip(NEXT) | instid1(VALU_DEP_1)
	v_sub_nc_u32_e32 v1, v1, v2
	v_cmp_lt_u32_e64 s0, s41, v1
	s_delay_alu instid0(VALU_DEP_1)
	s_and_b32 s2, s0, exec_lo
; %bb.56:
	s_or_b32 exec_lo, exec_lo, s6
	v_cndmask_b32_e64 v41, 0, 1, vcc_lo
	v_cndmask_b32_e64 v39, 0, 1, s2
.LBB439_57:
	s_or_b32 exec_lo, exec_lo, s1
	v_dual_mov_b32 v40, 0 :: v_dual_add_nc_u32 v1, 6, v28
	v_mov_b32_e32 v42, 0
	s_mov_b32 s2, 0
	s_mov_b32 s1, exec_lo
	s_delay_alu instid0(VALU_DEP_2)
	v_cmpx_gt_u32_e64 s3, v1
	s_cbranch_execz .LBB439_61
; %bb.58:
	v_add_nc_u32_e32 v1, s17, v10
	v_add_nc_u32_e32 v2, s19, v10
	s_mov_b32 s6, exec_lo
	s_delay_alu instid0(VALU_DEP_2) | instskip(NEXT) | instid1(VALU_DEP_2)
	v_mul_lo_u32 v1, v1, s16
	v_mul_lo_u32 v2, v2, s18
	s_delay_alu instid0(VALU_DEP_1) | instskip(NEXT) | instid1(VALU_DEP_1)
	v_sub_nc_u32_e32 v1, v1, v2
	v_cmp_lt_u32_e32 vcc_lo, s20, v1
	v_cmpx_ge_u32_e64 s20, v1
; %bb.59:
	v_add_nc_u32_e32 v1, s22, v10
	v_add_nc_u32_e32 v2, s40, v10
	s_delay_alu instid0(VALU_DEP_2) | instskip(NEXT) | instid1(VALU_DEP_2)
	v_mul_lo_u32 v1, v1, s21
	v_mul_lo_u32 v2, v2, s23
	s_delay_alu instid0(VALU_DEP_1) | instskip(NEXT) | instid1(VALU_DEP_1)
	v_sub_nc_u32_e32 v1, v1, v2
	v_cmp_lt_u32_e64 s0, s41, v1
	s_delay_alu instid0(VALU_DEP_1)
	s_and_b32 s2, s0, exec_lo
; %bb.60:
	s_or_b32 exec_lo, exec_lo, s6
	v_cndmask_b32_e64 v42, 0, 1, vcc_lo
	v_cndmask_b32_e64 v40, 0, 1, s2
.LBB439_61:
	s_or_b32 exec_lo, exec_lo, s1
	v_dual_mov_b32 v44, 0 :: v_dual_add_nc_u32 v1, 7, v28
	v_mov_b32_e32 v43, 0
	s_mov_b32 s2, 0
	s_mov_b32 s1, exec_lo
	s_delay_alu instid0(VALU_DEP_2)
	;; [unrolled: 35-line block ×3, first 2 shown]
	v_cmpx_gt_u32_e64 s3, v1
	s_cbranch_execz .LBB439_69
; %bb.66:
	v_add_nc_u32_e32 v1, s17, v8
	v_add_nc_u32_e32 v2, s19, v8
	s_mov_b32 s6, exec_lo
	s_delay_alu instid0(VALU_DEP_2) | instskip(NEXT) | instid1(VALU_DEP_2)
	v_mul_lo_u32 v1, v1, s16
	v_mul_lo_u32 v2, v2, s18
	s_delay_alu instid0(VALU_DEP_1) | instskip(NEXT) | instid1(VALU_DEP_1)
	v_sub_nc_u32_e32 v1, v1, v2
	v_cmp_lt_u32_e32 vcc_lo, s20, v1
	v_cmpx_ge_u32_e64 s20, v1
; %bb.67:
	v_add_nc_u32_e32 v1, s22, v8
	v_add_nc_u32_e32 v2, s40, v8
	s_delay_alu instid0(VALU_DEP_2) | instskip(NEXT) | instid1(VALU_DEP_2)
	v_mul_lo_u32 v1, v1, s21
	v_mul_lo_u32 v2, v2, s23
	s_delay_alu instid0(VALU_DEP_1) | instskip(NEXT) | instid1(VALU_DEP_1)
	v_sub_nc_u32_e32 v1, v1, v2
	v_cmp_lt_u32_e64 s0, s41, v1
	s_delay_alu instid0(VALU_DEP_1)
	s_and_b32 s2, s0, exec_lo
; %bb.68:
	s_or_b32 exec_lo, exec_lo, s6
	v_cndmask_b32_e64 v46, 0, 1, vcc_lo
	v_cndmask_b32_e64 v45, 0, 1, s2
.LBB439_69:
	s_or_b32 exec_lo, exec_lo, s1
	v_add_nc_u32_e32 v1, 9, v28
	v_mov_b32_e32 v47, 0
	v_mov_b32_e32 v49, 0
	s_mov_b32 s2, 0
	s_mov_b32 s1, exec_lo
	v_cmpx_gt_u32_e64 s3, v1
	s_cbranch_execz .LBB439_73
; %bb.70:
	v_add_nc_u32_e32 v1, s17, v9
	v_add_nc_u32_e32 v2, s19, v9
	s_mov_b32 s6, exec_lo
	s_delay_alu instid0(VALU_DEP_2) | instskip(NEXT) | instid1(VALU_DEP_2)
	v_mul_lo_u32 v1, v1, s16
	v_mul_lo_u32 v2, v2, s18
	s_delay_alu instid0(VALU_DEP_1) | instskip(NEXT) | instid1(VALU_DEP_1)
	v_sub_nc_u32_e32 v1, v1, v2
	v_cmp_lt_u32_e32 vcc_lo, s20, v1
	v_cmpx_ge_u32_e64 s20, v1
; %bb.71:
	v_add_nc_u32_e32 v1, s22, v9
	v_add_nc_u32_e32 v2, s40, v9
	s_delay_alu instid0(VALU_DEP_2) | instskip(NEXT) | instid1(VALU_DEP_2)
	v_mul_lo_u32 v1, v1, s21
	v_mul_lo_u32 v2, v2, s23
	s_delay_alu instid0(VALU_DEP_1) | instskip(NEXT) | instid1(VALU_DEP_1)
	v_sub_nc_u32_e32 v1, v1, v2
	v_cmp_lt_u32_e64 s0, s41, v1
	s_delay_alu instid0(VALU_DEP_1)
	s_and_b32 s2, s0, exec_lo
; %bb.72:
	s_or_b32 exec_lo, exec_lo, s6
	v_cndmask_b32_e64 v49, 0, 1, vcc_lo
	v_cndmask_b32_e64 v47, 0, 1, s2
.LBB439_73:
	s_or_b32 exec_lo, exec_lo, s1
	v_dual_mov_b32 v48, 0 :: v_dual_add_nc_u32 v1, 10, v28
	v_mov_b32_e32 v50, 0
	s_mov_b32 s2, 0
	s_mov_b32 s1, exec_lo
	s_delay_alu instid0(VALU_DEP_2)
	v_cmpx_gt_u32_e64 s3, v1
	s_cbranch_execz .LBB439_77
; %bb.74:
	v_add_nc_u32_e32 v1, s17, v6
	v_add_nc_u32_e32 v2, s19, v6
	s_mov_b32 s6, exec_lo
	s_delay_alu instid0(VALU_DEP_2) | instskip(NEXT) | instid1(VALU_DEP_2)
	v_mul_lo_u32 v1, v1, s16
	v_mul_lo_u32 v2, v2, s18
	s_delay_alu instid0(VALU_DEP_1) | instskip(NEXT) | instid1(VALU_DEP_1)
	v_sub_nc_u32_e32 v1, v1, v2
	v_cmp_lt_u32_e32 vcc_lo, s20, v1
	v_cmpx_ge_u32_e64 s20, v1
; %bb.75:
	v_add_nc_u32_e32 v1, s22, v6
	v_add_nc_u32_e32 v2, s40, v6
	s_delay_alu instid0(VALU_DEP_2) | instskip(NEXT) | instid1(VALU_DEP_2)
	v_mul_lo_u32 v1, v1, s21
	v_mul_lo_u32 v2, v2, s23
	s_delay_alu instid0(VALU_DEP_1) | instskip(NEXT) | instid1(VALU_DEP_1)
	v_sub_nc_u32_e32 v1, v1, v2
	v_cmp_lt_u32_e64 s0, s41, v1
	s_delay_alu instid0(VALU_DEP_1)
	s_and_b32 s2, s0, exec_lo
; %bb.76:
	s_or_b32 exec_lo, exec_lo, s6
	v_cndmask_b32_e64 v50, 0, 1, vcc_lo
	v_cndmask_b32_e64 v48, 0, 1, s2
.LBB439_77:
	s_or_b32 exec_lo, exec_lo, s1
	v_dual_mov_b32 v52, 0 :: v_dual_add_nc_u32 v1, 11, v28
	v_mov_b32_e32 v51, 0
	s_mov_b32 s2, 0
	s_mov_b32 s1, exec_lo
	s_delay_alu instid0(VALU_DEP_2)
	v_cmpx_gt_u32_e64 s3, v1
	s_cbranch_execz .LBB439_81
; %bb.78:
	v_add_nc_u32_e32 v1, s17, v7
	v_add_nc_u32_e32 v2, s19, v7
	s_mov_b32 s6, exec_lo
	s_delay_alu instid0(VALU_DEP_2) | instskip(NEXT) | instid1(VALU_DEP_2)
	v_mul_lo_u32 v1, v1, s16
	v_mul_lo_u32 v2, v2, s18
	s_delay_alu instid0(VALU_DEP_1) | instskip(NEXT) | instid1(VALU_DEP_1)
	v_sub_nc_u32_e32 v1, v1, v2
	v_cmp_lt_u32_e32 vcc_lo, s20, v1
	v_cmpx_ge_u32_e64 s20, v1
; %bb.79:
	v_add_nc_u32_e32 v1, s22, v7
	v_add_nc_u32_e32 v2, s40, v7
	s_delay_alu instid0(VALU_DEP_2) | instskip(NEXT) | instid1(VALU_DEP_2)
	v_mul_lo_u32 v1, v1, s21
	v_mul_lo_u32 v2, v2, s23
	s_delay_alu instid0(VALU_DEP_1) | instskip(NEXT) | instid1(VALU_DEP_1)
	v_sub_nc_u32_e32 v1, v1, v2
	v_cmp_lt_u32_e64 s0, s41, v1
	s_delay_alu instid0(VALU_DEP_1)
	s_and_b32 s2, s0, exec_lo
; %bb.80:
	s_or_b32 exec_lo, exec_lo, s6
	v_cndmask_b32_e64 v51, 0, 1, vcc_lo
	v_cndmask_b32_e64 v52, 0, 1, s2
.LBB439_81:
	s_or_b32 exec_lo, exec_lo, s1
	v_add_nc_u32_e32 v1, 12, v28
	s_mov_b32 s42, 0
	s_mov_b32 s43, 0
	s_mov_b32 s0, exec_lo
	s_delay_alu instid0(VALU_DEP_1)
	v_cmpx_gt_u32_e64 s3, v1
	s_cbranch_execz .LBB439_85
; %bb.82:
	v_add_nc_u32_e32 v1, s17, v27
	v_add_nc_u32_e32 v2, s19, v27
	s_mov_b32 s2, -1
	s_mov_b32 s6, 0
	s_mov_b32 s1, exec_lo
	v_mul_lo_u32 v1, v1, s16
	v_mul_lo_u32 v2, v2, s18
	s_delay_alu instid0(VALU_DEP_1) | instskip(NEXT) | instid1(VALU_DEP_1)
	v_sub_nc_u32_e32 v1, v1, v2
	v_cmpx_ge_u32_e64 s20, v1
; %bb.83:
	v_add_nc_u32_e32 v1, s22, v27
	v_add_nc_u32_e32 v2, s40, v27
	s_xor_b32 s2, exec_lo, -1
	s_delay_alu instid0(VALU_DEP_2) | instskip(NEXT) | instid1(VALU_DEP_2)
	v_mul_lo_u32 v1, v1, s21
	v_mul_lo_u32 v2, v2, s23
	s_delay_alu instid0(VALU_DEP_1) | instskip(NEXT) | instid1(VALU_DEP_1)
	v_sub_nc_u32_e32 v1, v1, v2
	v_cmp_lt_u32_e32 vcc_lo, s41, v1
	s_and_b32 s6, vcc_lo, exec_lo
; %bb.84:
	s_or_b32 exec_lo, exec_lo, s1
	s_delay_alu instid0(SALU_CYCLE_1)
	s_and_b32 s43, s6, exec_lo
	s_and_b32 s42, s2, exec_lo
.LBB439_85:
	s_or_b32 exec_lo, exec_lo, s0
.LBB439_86:
	v_and_b32_e32 v75, 0xff, v29
	v_and_b32_e32 v76, 0xff, v30
	;; [unrolled: 1-line block ×10, first 2 shown]
	v_add3_u32 v1, v71, v73, v75
	v_add3_u32 v2, v72, v74, v76
	v_and_b32_e32 v65, 0xff, v41
	v_and_b32_e32 v66, 0xff, v39
	v_and_b32_e32 v61, 0xff, v42
	v_and_b32_e32 v62, 0xff, v40
	v_add3_u32 v1, v1, v69, v67
	v_add3_u32 v2, v2, v70, v68
	v_and_b32_e32 v63, 0xff, v44
	v_and_b32_e32 v64, 0xff, v43
	v_and_b32_e32 v59, 0xff, v46
	v_and_b32_e32 v60, 0xff, v45
	;; [unrolled: 6-line block ×3, first 2 shown]
	v_add3_u32 v1, v1, v63, v59
	v_add3_u32 v2, v2, v64, v60
	v_mbcnt_lo_u32_b32 v77, -1, 0
	v_and_b32_e32 v53, 0xff, v51
	v_and_b32_e32 v54, 0xff, v52
	v_cndmask_b32_e64 v3, 0, 1, s43
	v_add3_u32 v1, v1, v57, v55
	v_cndmask_b32_e64 v4, 0, 1, s42
	v_add3_u32 v2, v2, v58, v56
	v_and_b32_e32 v81, 15, v77
	v_and_b32_e32 v80, 16, v77
	v_lshrrev_b32_e32 v78, 5, v0
	v_add3_u32 v82, v1, v53, v4
	v_add3_u32 v83, v2, v54, v3
	v_cmp_eq_u32_e64 s1, 0, v81
	v_cmp_lt_u32_e64 s0, 1, v81
	v_cmp_lt_u32_e64 s2, 3, v81
	v_cmp_lt_u32_e32 vcc_lo, 7, v81
	v_or_b32_e32 v79, 31, v0
	s_cmp_lg_u32 s15, 0
	s_mov_b32 s6, -1
	s_cbranch_scc0 .LBB439_114
; %bb.87:
	v_mov_b32_dpp v1, v83 row_shr:1 row_mask:0xf bank_mask:0xf
	v_mov_b32_dpp v2, v82 row_shr:1 row_mask:0xf bank_mask:0xf
	s_delay_alu instid0(VALU_DEP_2) | instskip(NEXT) | instid1(VALU_DEP_1)
	v_add_nc_u32_e32 v1, v1, v83
	v_cndmask_b32_e64 v1, v1, v83, s1
	s_delay_alu instid0(VALU_DEP_1) | instskip(NEXT) | instid1(VALU_DEP_1)
	v_mov_b32_dpp v3, v1 row_shr:2 row_mask:0xf bank_mask:0xf
	v_add_nc_u32_e32 v3, v1, v3
	s_delay_alu instid0(VALU_DEP_1) | instskip(NEXT) | instid1(VALU_DEP_1)
	v_cndmask_b32_e64 v1, v1, v3, s0
	v_mov_b32_dpp v3, v1 row_shr:4 row_mask:0xf bank_mask:0xf
	s_delay_alu instid0(VALU_DEP_1) | instskip(NEXT) | instid1(VALU_DEP_1)
	v_add_nc_u32_e32 v3, v1, v3
	v_cndmask_b32_e64 v1, v1, v3, s2
	s_delay_alu instid0(VALU_DEP_1) | instskip(NEXT) | instid1(VALU_DEP_1)
	v_mov_b32_dpp v3, v1 row_shr:8 row_mask:0xf bank_mask:0xf
	v_add_nc_u32_e32 v3, v1, v3
	s_delay_alu instid0(VALU_DEP_1) | instskip(NEXT) | instid1(VALU_DEP_1)
	v_dual_cndmask_b32 v1, v1, v3 :: v_dual_add_nc_u32 v2, v2, v82
	v_cndmask_b32_e64 v2, v2, v82, s1
	s_delay_alu instid0(VALU_DEP_1) | instskip(NEXT) | instid1(VALU_DEP_1)
	v_mov_b32_dpp v4, v2 row_shr:2 row_mask:0xf bank_mask:0xf
	v_add_nc_u32_e32 v4, v2, v4
	s_delay_alu instid0(VALU_DEP_1) | instskip(NEXT) | instid1(VALU_DEP_1)
	v_cndmask_b32_e64 v2, v2, v4, s0
	v_mov_b32_dpp v4, v2 row_shr:4 row_mask:0xf bank_mask:0xf
	s_delay_alu instid0(VALU_DEP_1) | instskip(NEXT) | instid1(VALU_DEP_1)
	v_add_nc_u32_e32 v4, v2, v4
	v_cndmask_b32_e64 v2, v2, v4, s2
	s_mov_b32 s2, exec_lo
	s_delay_alu instid0(VALU_DEP_1) | instskip(NEXT) | instid1(VALU_DEP_1)
	v_mov_b32_dpp v4, v2 row_shr:8 row_mask:0xf bank_mask:0xf
	v_add_nc_u32_e32 v4, v2, v4
	s_delay_alu instid0(VALU_DEP_1)
	v_cndmask_b32_e32 v3, v2, v4, vcc_lo
	ds_swizzle_b32 v2, v1 offset:swizzle(BROADCAST,32,15)
	v_cmp_eq_u32_e32 vcc_lo, 0, v80
	s_waitcnt lgkmcnt(0)
	v_add_nc_u32_e32 v2, v1, v2
	ds_swizzle_b32 v4, v3 offset:swizzle(BROADCAST,32,15)
	v_cndmask_b32_e32 v2, v2, v1, vcc_lo
	s_waitcnt lgkmcnt(0)
	v_add_nc_u32_e32 v4, v3, v4
	s_delay_alu instid0(VALU_DEP_1)
	v_cndmask_b32_e32 v1, v4, v3, vcc_lo
	v_cmpx_eq_u32_e64 v79, v0
	s_cbranch_execz .LBB439_89
; %bb.88:
	v_lshlrev_b32_e32 v3, 3, v78
	ds_store_b64 v3, v[1:2]
.LBB439_89:
	s_or_b32 exec_lo, exec_lo, s2
	s_delay_alu instid0(SALU_CYCLE_1)
	s_mov_b32 s2, exec_lo
	s_waitcnt lgkmcnt(0)
	s_barrier
	buffer_gl0_inv
	v_cmpx_gt_u32_e32 8, v0
	s_cbranch_execz .LBB439_91
; %bb.90:
	v_lshlrev_b32_e32 v5, 3, v0
	ds_load_b64 v[3:4], v5
	s_waitcnt lgkmcnt(0)
	v_mov_b32_dpp v18, v3 row_shr:1 row_mask:0xf bank_mask:0xf
	v_mov_b32_dpp v19, v4 row_shr:1 row_mask:0xf bank_mask:0xf
	s_delay_alu instid0(VALU_DEP_2) | instskip(SKIP_1) | instid1(VALU_DEP_3)
	v_add_nc_u32_e32 v18, v18, v3
	v_and_b32_e32 v20, 7, v77
	v_add_nc_u32_e32 v19, v19, v4
	s_delay_alu instid0(VALU_DEP_2) | instskip(NEXT) | instid1(VALU_DEP_2)
	v_cmp_eq_u32_e32 vcc_lo, 0, v20
	v_dual_cndmask_b32 v4, v19, v4 :: v_dual_cndmask_b32 v3, v18, v3
	v_cmp_lt_u32_e32 vcc_lo, 1, v20
	s_delay_alu instid0(VALU_DEP_2) | instskip(NEXT) | instid1(VALU_DEP_3)
	v_mov_b32_dpp v19, v4 row_shr:2 row_mask:0xf bank_mask:0xf
	v_mov_b32_dpp v18, v3 row_shr:2 row_mask:0xf bank_mask:0xf
	s_delay_alu instid0(VALU_DEP_2) | instskip(NEXT) | instid1(VALU_DEP_2)
	v_add_nc_u32_e32 v19, v4, v19
	v_add_nc_u32_e32 v18, v3, v18
	s_delay_alu instid0(VALU_DEP_1) | instskip(SKIP_1) | instid1(VALU_DEP_2)
	v_dual_cndmask_b32 v4, v4, v19 :: v_dual_cndmask_b32 v3, v3, v18
	v_cmp_lt_u32_e32 vcc_lo, 3, v20
	v_mov_b32_dpp v19, v4 row_shr:4 row_mask:0xf bank_mask:0xf
	s_delay_alu instid0(VALU_DEP_3) | instskip(NEXT) | instid1(VALU_DEP_1)
	v_mov_b32_dpp v18, v3 row_shr:4 row_mask:0xf bank_mask:0xf
	v_dual_cndmask_b32 v19, 0, v19 :: v_dual_cndmask_b32 v18, 0, v18
	s_delay_alu instid0(VALU_DEP_1) | instskip(NEXT) | instid1(VALU_DEP_2)
	v_add_nc_u32_e32 v4, v19, v4
	v_add_nc_u32_e32 v3, v18, v3
	ds_store_b64 v5, v[3:4]
.LBB439_91:
	s_or_b32 exec_lo, exec_lo, s2
	v_cmp_gt_u32_e32 vcc_lo, 32, v0
	v_cmp_lt_u32_e64 s2, 31, v0
	s_waitcnt lgkmcnt(0)
	s_barrier
	buffer_gl0_inv
                                        ; implicit-def: $vgpr19
	s_and_saveexec_b32 s6, s2
	s_delay_alu instid0(SALU_CYCLE_1)
	s_xor_b32 s2, exec_lo, s6
	s_cbranch_execz .LBB439_93
; %bb.92:
	v_lshl_add_u32 v3, v78, 3, -8
	ds_load_b64 v[18:19], v3
	s_waitcnt lgkmcnt(0)
	v_add_nc_u32_e32 v2, v19, v2
	v_add_nc_u32_e32 v1, v18, v1
.LBB439_93:
	s_and_not1_saveexec_b32 s2, s2
; %bb.94:
                                        ; implicit-def: $vgpr18
; %bb.95:
	s_delay_alu instid0(SALU_CYCLE_1) | instskip(SKIP_1) | instid1(VALU_DEP_1)
	s_or_b32 exec_lo, exec_lo, s2
	v_add_nc_u32_e32 v3, -1, v77
	v_cmp_gt_i32_e64 s2, 0, v3
	s_delay_alu instid0(VALU_DEP_1) | instskip(SKIP_1) | instid1(VALU_DEP_2)
	v_cndmask_b32_e64 v3, v3, v77, s2
	v_cmp_eq_u32_e64 s2, 0, v77
	v_lshlrev_b32_e32 v3, 2, v3
	ds_bpermute_b32 v84, v3, v1
	ds_bpermute_b32 v85, v3, v2
	s_and_saveexec_b32 s6, vcc_lo
	s_cbranch_execz .LBB439_113
; %bb.96:
	v_mov_b32_e32 v4, 0
	ds_load_b64 v[1:2], v4 offset:56
	s_waitcnt lgkmcnt(0)
	v_readfirstlane_b32 s7, v2
	s_and_saveexec_b32 s8, s2
	s_cbranch_execz .LBB439_98
; %bb.97:
	s_add_i32 s10, s15, 32
	s_mov_b32 s11, 0
	v_mov_b32_e32 v3, 1
	s_lshl_b64 s[12:13], s[10:11], 4
	s_mov_b32 s16, s11
	s_add_u32 s12, s4, s12
	s_addc_u32 s13, s5, s13
	s_and_b32 s17, s7, 0xff000000
	s_and_b32 s19, s7, 0xff0000
	s_mov_b32 s18, s11
	v_dual_mov_b32 v21, s13 :: v_dual_mov_b32 v20, s12
	s_or_b64 s[16:17], s[18:19], s[16:17]
	s_and_b32 s19, s7, 0xff00
	s_delay_alu instid0(SALU_CYCLE_1) | instskip(SKIP_1) | instid1(SALU_CYCLE_1)
	s_or_b64 s[16:17], s[16:17], s[18:19]
	s_and_b32 s19, s7, 0xff
	s_or_b64 s[10:11], s[16:17], s[18:19]
	s_delay_alu instid0(SALU_CYCLE_1)
	v_mov_b32_e32 v2, s11
	;;#ASMSTART
	global_store_dwordx4 v[20:21], v[1:4] off	
s_waitcnt vmcnt(0)
	;;#ASMEND
.LBB439_98:
	s_or_b32 exec_lo, exec_lo, s8
	v_xad_u32 v20, v77, -1, s15
	s_mov_b32 s9, 0
	s_mov_b32 s8, exec_lo
	s_delay_alu instid0(VALU_DEP_1) | instskip(NEXT) | instid1(VALU_DEP_1)
	v_add_nc_u32_e32 v3, 32, v20
	v_lshlrev_b64 v[2:3], 4, v[3:4]
	s_delay_alu instid0(VALU_DEP_1) | instskip(NEXT) | instid1(VALU_DEP_2)
	v_add_co_u32 v21, vcc_lo, s4, v2
	v_add_co_ci_u32_e32 v22, vcc_lo, s5, v3, vcc_lo
	;;#ASMSTART
	global_load_dwordx4 v[2:5], v[21:22] off glc	
s_waitcnt vmcnt(0)
	;;#ASMEND
	v_and_b32_e32 v5, 0xff, v3
	v_and_b32_e32 v23, 0xff00, v3
	v_or3_b32 v2, v2, 0, 0
	v_and_b32_e32 v24, 0xff000000, v3
	v_and_b32_e32 v3, 0xff0000, v3
	s_delay_alu instid0(VALU_DEP_4) | instskip(SKIP_2) | instid1(VALU_DEP_3)
	v_or3_b32 v5, 0, v5, v23
	v_and_b32_e32 v23, 0xff, v4
	v_or3_b32 v2, v2, 0, 0
	v_or3_b32 v3, v5, v3, v24
	s_delay_alu instid0(VALU_DEP_3)
	v_cmpx_eq_u16_e32 0, v23
	s_cbranch_execz .LBB439_101
.LBB439_99:                             ; =>This Inner Loop Header: Depth=1
	;;#ASMSTART
	global_load_dwordx4 v[2:5], v[21:22] off glc	
s_waitcnt vmcnt(0)
	;;#ASMEND
	v_and_b32_e32 v5, 0xff, v4
	s_delay_alu instid0(VALU_DEP_1) | instskip(SKIP_1) | instid1(SALU_CYCLE_1)
	v_cmp_ne_u16_e32 vcc_lo, 0, v5
	s_or_b32 s9, vcc_lo, s9
	s_and_not1_b32 exec_lo, exec_lo, s9
	s_cbranch_execnz .LBB439_99
; %bb.100:
	s_or_b32 exec_lo, exec_lo, s9
.LBB439_101:
	s_delay_alu instid0(SALU_CYCLE_1)
	s_or_b32 exec_lo, exec_lo, s8
	v_cmp_ne_u32_e32 vcc_lo, 31, v77
	v_lshlrev_b32_e64 v87, v77, -1
	v_add_nc_u32_e32 v91, 4, v77
	v_add_nc_u32_e32 v93, 8, v77
	;; [unrolled: 1-line block ×3, first 2 shown]
	v_add_co_ci_u32_e32 v5, vcc_lo, 0, v77, vcc_lo
	s_delay_alu instid0(VALU_DEP_1)
	v_lshlrev_b32_e32 v86, 2, v5
	ds_bpermute_b32 v21, v86, v3
	ds_bpermute_b32 v5, v86, v2
	s_waitcnt lgkmcnt(1)
	v_add_nc_u32_e32 v21, v21, v3
	v_and_b32_e32 v22, 0xff, v4
	s_waitcnt lgkmcnt(0)
	v_add_nc_u32_e32 v5, v5, v2
	s_delay_alu instid0(VALU_DEP_2) | instskip(SKIP_2) | instid1(VALU_DEP_2)
	v_cmp_eq_u16_e32 vcc_lo, 2, v22
	v_and_or_b32 v22, vcc_lo, v87, 0x80000000
	v_cmp_gt_u32_e32 vcc_lo, 30, v77
	v_ctz_i32_b32_e32 v22, v22
	v_cndmask_b32_e64 v23, 0, 1, vcc_lo
	s_delay_alu instid0(VALU_DEP_2) | instskip(NEXT) | instid1(VALU_DEP_2)
	v_cmp_lt_u32_e32 vcc_lo, v77, v22
	v_dual_cndmask_b32 v2, v2, v5 :: v_dual_lshlrev_b32 v23, 1, v23
	s_delay_alu instid0(VALU_DEP_1)
	v_add_lshl_u32 v88, v23, v77, 2
	v_cndmask_b32_e32 v3, v3, v21, vcc_lo
	v_cmp_gt_u32_e32 vcc_lo, 28, v77
	ds_bpermute_b32 v5, v88, v2
	ds_bpermute_b32 v21, v88, v3
	v_cndmask_b32_e64 v23, 0, 1, vcc_lo
	s_waitcnt lgkmcnt(1)
	v_add_nc_u32_e32 v5, v2, v5
	v_add_nc_u32_e32 v89, 2, v77
	s_waitcnt lgkmcnt(0)
	v_add_nc_u32_e32 v21, v3, v21
	s_delay_alu instid0(VALU_DEP_2) | instskip(SKIP_1) | instid1(VALU_DEP_3)
	v_cmp_gt_u32_e32 vcc_lo, v89, v22
	v_dual_cndmask_b32 v2, v5, v2 :: v_dual_lshlrev_b32 v23, 2, v23
	v_cndmask_b32_e32 v3, v21, v3, vcc_lo
	v_cmp_gt_u32_e32 vcc_lo, 24, v77
	s_delay_alu instid0(VALU_DEP_3)
	v_add_lshl_u32 v90, v23, v77, 2
	v_cndmask_b32_e64 v23, 0, 1, vcc_lo
	v_cmp_gt_u32_e32 vcc_lo, v91, v22
	ds_bpermute_b32 v5, v90, v2
	ds_bpermute_b32 v21, v90, v3
	v_lshlrev_b32_e32 v23, 3, v23
	s_delay_alu instid0(VALU_DEP_1) | instskip(SKIP_3) | instid1(VALU_DEP_1)
	v_add_lshl_u32 v92, v23, v77, 2
	s_waitcnt lgkmcnt(1)
	v_add_nc_u32_e32 v5, v2, v5
	s_waitcnt lgkmcnt(0)
	v_dual_cndmask_b32 v2, v5, v2 :: v_dual_add_nc_u32 v21, v3, v21
	s_delay_alu instid0(VALU_DEP_1)
	v_cndmask_b32_e32 v3, v21, v3, vcc_lo
	v_cmp_gt_u32_e32 vcc_lo, 16, v77
	ds_bpermute_b32 v5, v92, v2
	ds_bpermute_b32 v21, v92, v3
	v_cndmask_b32_e64 v23, 0, 1, vcc_lo
	v_cmp_gt_u32_e32 vcc_lo, v93, v22
	s_delay_alu instid0(VALU_DEP_2) | instskip(NEXT) | instid1(VALU_DEP_1)
	v_lshlrev_b32_e32 v23, 4, v23
	v_add_lshl_u32 v94, v23, v77, 2
	s_waitcnt lgkmcnt(1)
	v_add_nc_u32_e32 v5, v2, v5
	s_waitcnt lgkmcnt(0)
	s_delay_alu instid0(VALU_DEP_1) | instskip(NEXT) | instid1(VALU_DEP_1)
	v_dual_cndmask_b32 v2, v5, v2 :: v_dual_add_nc_u32 v21, v3, v21
	v_cndmask_b32_e32 v3, v21, v3, vcc_lo
	v_cmp_le_u32_e32 vcc_lo, v95, v22
	ds_bpermute_b32 v5, v94, v2
	ds_bpermute_b32 v21, v94, v3
	s_waitcnt lgkmcnt(1)
	v_cndmask_b32_e32 v5, 0, v5, vcc_lo
	s_waitcnt lgkmcnt(0)
	s_delay_alu instid0(VALU_DEP_1) | instskip(NEXT) | instid1(VALU_DEP_1)
	v_dual_cndmask_b32 v21, 0, v21 :: v_dual_add_nc_u32 v2, v5, v2
	v_add_nc_u32_e32 v3, v21, v3
	v_mov_b32_e32 v21, 0
	s_branch .LBB439_103
.LBB439_102:                            ;   in Loop: Header=BB439_103 Depth=1
	s_or_b32 exec_lo, exec_lo, s8
	ds_bpermute_b32 v5, v86, v2
	ds_bpermute_b32 v24, v86, v3
	v_subrev_nc_u32_e32 v20, 32, v20
	s_waitcnt lgkmcnt(1)
	v_add_nc_u32_e32 v5, v5, v2
	v_and_b32_e32 v25, 0xff, v4
	s_waitcnt lgkmcnt(0)
	v_add_nc_u32_e32 v24, v24, v3
	s_delay_alu instid0(VALU_DEP_2) | instskip(SKIP_1) | instid1(VALU_DEP_1)
	v_cmp_eq_u16_e32 vcc_lo, 2, v25
	v_and_or_b32 v25, vcc_lo, v87, 0x80000000
	v_ctz_i32_b32_e32 v25, v25
	s_delay_alu instid0(VALU_DEP_1)
	v_cmp_lt_u32_e32 vcc_lo, v77, v25
	v_cndmask_b32_e32 v2, v2, v5, vcc_lo
	ds_bpermute_b32 v5, v88, v2
	s_waitcnt lgkmcnt(0)
	v_add_nc_u32_e32 v5, v2, v5
	v_cndmask_b32_e32 v3, v3, v24, vcc_lo
	v_cmp_gt_u32_e32 vcc_lo, v89, v25
	s_delay_alu instid0(VALU_DEP_3)
	v_cndmask_b32_e32 v2, v5, v2, vcc_lo
	ds_bpermute_b32 v24, v88, v3
	ds_bpermute_b32 v5, v90, v2
	s_waitcnt lgkmcnt(1)
	v_add_nc_u32_e32 v24, v3, v24
	s_waitcnt lgkmcnt(0)
	v_add_nc_u32_e32 v5, v2, v5
	s_delay_alu instid0(VALU_DEP_2) | instskip(SKIP_1) | instid1(VALU_DEP_3)
	v_cndmask_b32_e32 v3, v24, v3, vcc_lo
	v_cmp_gt_u32_e32 vcc_lo, v91, v25
	v_cndmask_b32_e32 v2, v5, v2, vcc_lo
	ds_bpermute_b32 v24, v90, v3
	ds_bpermute_b32 v5, v92, v2
	s_waitcnt lgkmcnt(1)
	v_add_nc_u32_e32 v24, v3, v24
	s_waitcnt lgkmcnt(0)
	v_add_nc_u32_e32 v5, v2, v5
	s_delay_alu instid0(VALU_DEP_2) | instskip(SKIP_1) | instid1(VALU_DEP_3)
	v_cndmask_b32_e32 v3, v24, v3, vcc_lo
	v_cmp_gt_u32_e32 vcc_lo, v93, v25
	v_cndmask_b32_e32 v2, v5, v2, vcc_lo
	ds_bpermute_b32 v24, v92, v3
	ds_bpermute_b32 v5, v94, v2
	s_waitcnt lgkmcnt(1)
	v_add_nc_u32_e32 v24, v3, v24
	s_delay_alu instid0(VALU_DEP_1) | instskip(SKIP_4) | instid1(VALU_DEP_1)
	v_cndmask_b32_e32 v3, v24, v3, vcc_lo
	v_cmp_le_u32_e32 vcc_lo, v95, v25
	ds_bpermute_b32 v24, v94, v3
	s_waitcnt lgkmcnt(1)
	v_cndmask_b32_e32 v5, 0, v5, vcc_lo
	v_add3_u32 v2, v2, v22, v5
	s_waitcnt lgkmcnt(0)
	v_cndmask_b32_e32 v24, 0, v24, vcc_lo
	s_delay_alu instid0(VALU_DEP_1)
	v_add3_u32 v3, v3, v23, v24
.LBB439_103:                            ; =>This Loop Header: Depth=1
                                        ;     Child Loop BB439_106 Depth 2
	s_delay_alu instid0(VALU_DEP_1) | instskip(SKIP_1) | instid1(VALU_DEP_2)
	v_dual_mov_b32 v23, v3 :: v_dual_and_b32 v4, 0xff, v4
	v_mov_b32_e32 v22, v2
	v_cmp_ne_u16_e32 vcc_lo, 2, v4
	v_cndmask_b32_e64 v4, 0, 1, vcc_lo
	;;#ASMSTART
	;;#ASMEND
	s_delay_alu instid0(VALU_DEP_1)
	v_cmp_ne_u32_e32 vcc_lo, 0, v4
	s_cmp_lg_u32 vcc_lo, exec_lo
	s_cbranch_scc1 .LBB439_108
; %bb.104:                              ;   in Loop: Header=BB439_103 Depth=1
	v_lshlrev_b64 v[2:3], 4, v[20:21]
	s_mov_b32 s8, exec_lo
	s_delay_alu instid0(VALU_DEP_1) | instskip(NEXT) | instid1(VALU_DEP_2)
	v_add_co_u32 v24, vcc_lo, s4, v2
	v_add_co_ci_u32_e32 v25, vcc_lo, s5, v3, vcc_lo
	;;#ASMSTART
	global_load_dwordx4 v[2:5], v[24:25] off glc	
s_waitcnt vmcnt(0)
	;;#ASMEND
	v_and_b32_e32 v5, 0xff, v3
	v_and_b32_e32 v96, 0xff00, v3
	v_or3_b32 v2, v2, 0, 0
	v_and_b32_e32 v97, 0xff000000, v3
	v_and_b32_e32 v3, 0xff0000, v3
	s_delay_alu instid0(VALU_DEP_4) | instskip(SKIP_2) | instid1(VALU_DEP_3)
	v_or3_b32 v5, 0, v5, v96
	v_and_b32_e32 v96, 0xff, v4
	v_or3_b32 v2, v2, 0, 0
	v_or3_b32 v3, v5, v3, v97
	s_delay_alu instid0(VALU_DEP_3)
	v_cmpx_eq_u16_e32 0, v96
	s_cbranch_execz .LBB439_102
; %bb.105:                              ;   in Loop: Header=BB439_103 Depth=1
	s_mov_b32 s9, 0
.LBB439_106:                            ;   Parent Loop BB439_103 Depth=1
                                        ; =>  This Inner Loop Header: Depth=2
	;;#ASMSTART
	global_load_dwordx4 v[2:5], v[24:25] off glc	
s_waitcnt vmcnt(0)
	;;#ASMEND
	v_and_b32_e32 v5, 0xff, v4
	s_delay_alu instid0(VALU_DEP_1) | instskip(SKIP_1) | instid1(SALU_CYCLE_1)
	v_cmp_ne_u16_e32 vcc_lo, 0, v5
	s_or_b32 s9, vcc_lo, s9
	s_and_not1_b32 exec_lo, exec_lo, s9
	s_cbranch_execnz .LBB439_106
; %bb.107:                              ;   in Loop: Header=BB439_103 Depth=1
	s_or_b32 exec_lo, exec_lo, s9
	s_branch .LBB439_102
.LBB439_108:                            ;   in Loop: Header=BB439_103 Depth=1
                                        ; implicit-def: $vgpr4
                                        ; implicit-def: $vgpr2_vgpr3
	s_cbranch_execz .LBB439_103
; %bb.109:
	s_and_saveexec_b32 s8, s2
	s_cbranch_execnz .LBB439_352
; %bb.110:
	s_or_b32 exec_lo, exec_lo, s8
	s_and_saveexec_b32 s8, s2
	s_cbranch_execnz .LBB439_353
.LBB439_111:
	s_or_b32 exec_lo, exec_lo, s8
	v_cmp_eq_u32_e32 vcc_lo, 0, v0
	s_and_b32 exec_lo, exec_lo, vcc_lo
	s_cbranch_execz .LBB439_113
.LBB439_112:
	v_mov_b32_e32 v1, 0
	ds_store_b64 v1, v[22:23] offset:56
.LBB439_113:
	s_or_b32 exec_lo, exec_lo, s6
	v_cmp_eq_u32_e32 vcc_lo, 0, v0
	v_mov_b32_e32 v1, 0
	s_waitcnt lgkmcnt(0)
	s_barrier
	buffer_gl0_inv
	v_add_nc_u32_e64 v3, 0x3400, 0
	ds_load_b64 v[20:21], v1 offset:56
	s_waitcnt lgkmcnt(0)
	s_barrier
	buffer_gl0_inv
	ds_load_2addr_b32 v[1:2], v3 offset1:2
	ds_load_2addr_b32 v[3:4], v3 offset0:4 offset1:6
	v_cndmask_b32_e64 v5, v84, v18, s2
	v_cndmask_b32_e64 v18, v85, v19, s2
	s_delay_alu instid0(VALU_DEP_2) | instskip(NEXT) | instid1(VALU_DEP_1)
	v_add_nc_u32_e32 v19, v20, v5
	v_dual_cndmask_b32 v20, v19, v20 :: v_dual_add_nc_u32 v5, v21, v18
	s_delay_alu instid0(VALU_DEP_1)
	v_cndmask_b32_e32 v5, v5, v21, vcc_lo
	s_branch .LBB439_124
.LBB439_114:
                                        ; implicit-def: $vgpr5
                                        ; implicit-def: $vgpr3
                                        ; implicit-def: $vgpr1
                                        ; implicit-def: $vgpr20_vgpr21
	s_and_b32 vcc_lo, exec_lo, s6
	s_cbranch_vccz .LBB439_124
; %bb.115:
	s_waitcnt lgkmcnt(0)
	v_mov_b32_dpp v2, v83 row_shr:1 row_mask:0xf bank_mask:0xf
	v_cmp_lt_u32_e32 vcc_lo, 3, v81
	v_mov_b32_dpp v1, v82 row_shr:1 row_mask:0xf bank_mask:0xf
	s_delay_alu instid0(VALU_DEP_3) | instskip(NEXT) | instid1(VALU_DEP_1)
	v_add_nc_u32_e32 v2, v2, v83
	v_cndmask_b32_e64 v2, v2, v83, s1
	s_delay_alu instid0(VALU_DEP_1) | instskip(NEXT) | instid1(VALU_DEP_1)
	v_mov_b32_dpp v4, v2 row_shr:2 row_mask:0xf bank_mask:0xf
	v_add_nc_u32_e32 v4, v2, v4
	s_delay_alu instid0(VALU_DEP_1) | instskip(NEXT) | instid1(VALU_DEP_1)
	v_cndmask_b32_e64 v2, v2, v4, s0
	v_mov_b32_dpp v4, v2 row_shr:4 row_mask:0xf bank_mask:0xf
	s_delay_alu instid0(VALU_DEP_1) | instskip(NEXT) | instid1(VALU_DEP_1)
	v_add_nc_u32_e32 v4, v2, v4
	v_dual_cndmask_b32 v2, v2, v4 :: v_dual_add_nc_u32 v1, v1, v82
	s_delay_alu instid0(VALU_DEP_1) | instskip(NEXT) | instid1(VALU_DEP_2)
	v_cndmask_b32_e64 v1, v1, v82, s1
	v_mov_b32_dpp v4, v2 row_shr:8 row_mask:0xf bank_mask:0xf
	s_delay_alu instid0(VALU_DEP_2) | instskip(NEXT) | instid1(VALU_DEP_2)
	v_mov_b32_dpp v3, v1 row_shr:2 row_mask:0xf bank_mask:0xf
	v_add_nc_u32_e32 v4, v2, v4
	s_delay_alu instid0(VALU_DEP_2) | instskip(NEXT) | instid1(VALU_DEP_1)
	v_add_nc_u32_e32 v3, v1, v3
	v_cndmask_b32_e64 v1, v1, v3, s0
	s_mov_b32 s0, exec_lo
	s_delay_alu instid0(VALU_DEP_1) | instskip(NEXT) | instid1(VALU_DEP_1)
	v_mov_b32_dpp v3, v1 row_shr:4 row_mask:0xf bank_mask:0xf
	v_add_nc_u32_e32 v3, v1, v3
	s_delay_alu instid0(VALU_DEP_1) | instskip(SKIP_1) | instid1(VALU_DEP_2)
	v_cndmask_b32_e32 v1, v1, v3, vcc_lo
	v_cmp_lt_u32_e32 vcc_lo, 7, v81
	v_mov_b32_dpp v3, v1 row_shr:8 row_mask:0xf bank_mask:0xf
	s_delay_alu instid0(VALU_DEP_1) | instskip(NEXT) | instid1(VALU_DEP_1)
	v_dual_cndmask_b32 v2, v2, v4 :: v_dual_add_nc_u32 v3, v1, v3
	v_cndmask_b32_e32 v1, v1, v3, vcc_lo
	ds_swizzle_b32 v3, v2 offset:swizzle(BROADCAST,32,15)
	v_cmp_eq_u32_e32 vcc_lo, 0, v80
	ds_swizzle_b32 v4, v1 offset:swizzle(BROADCAST,32,15)
	s_waitcnt lgkmcnt(1)
	v_add_nc_u32_e32 v3, v2, v3
	s_waitcnt lgkmcnt(0)
	v_add_nc_u32_e32 v4, v1, v4
	s_delay_alu instid0(VALU_DEP_1)
	v_dual_cndmask_b32 v2, v3, v2 :: v_dual_cndmask_b32 v1, v4, v1
	v_cmpx_eq_u32_e64 v79, v0
	s_cbranch_execz .LBB439_117
; %bb.116:
	v_lshlrev_b32_e32 v3, 3, v78
	ds_store_b64 v3, v[1:2]
.LBB439_117:
	s_or_b32 exec_lo, exec_lo, s0
	s_delay_alu instid0(SALU_CYCLE_1)
	s_mov_b32 s0, exec_lo
	s_waitcnt lgkmcnt(0)
	s_barrier
	buffer_gl0_inv
	v_cmpx_gt_u32_e32 8, v0
	s_cbranch_execz .LBB439_119
; %bb.118:
	v_lshlrev_b32_e32 v5, 3, v0
	ds_load_b64 v[3:4], v5
	s_waitcnt lgkmcnt(0)
	v_mov_b32_dpp v18, v3 row_shr:1 row_mask:0xf bank_mask:0xf
	v_mov_b32_dpp v19, v4 row_shr:1 row_mask:0xf bank_mask:0xf
	s_delay_alu instid0(VALU_DEP_2) | instskip(SKIP_1) | instid1(VALU_DEP_3)
	v_add_nc_u32_e32 v18, v18, v3
	v_and_b32_e32 v20, 7, v77
	v_add_nc_u32_e32 v19, v19, v4
	s_delay_alu instid0(VALU_DEP_2) | instskip(NEXT) | instid1(VALU_DEP_2)
	v_cmp_eq_u32_e32 vcc_lo, 0, v20
	v_dual_cndmask_b32 v4, v19, v4 :: v_dual_cndmask_b32 v3, v18, v3
	v_cmp_lt_u32_e32 vcc_lo, 1, v20
	s_delay_alu instid0(VALU_DEP_2) | instskip(NEXT) | instid1(VALU_DEP_3)
	v_mov_b32_dpp v19, v4 row_shr:2 row_mask:0xf bank_mask:0xf
	v_mov_b32_dpp v18, v3 row_shr:2 row_mask:0xf bank_mask:0xf
	s_delay_alu instid0(VALU_DEP_2) | instskip(NEXT) | instid1(VALU_DEP_2)
	v_add_nc_u32_e32 v19, v4, v19
	v_add_nc_u32_e32 v18, v3, v18
	s_delay_alu instid0(VALU_DEP_1) | instskip(SKIP_1) | instid1(VALU_DEP_2)
	v_dual_cndmask_b32 v4, v4, v19 :: v_dual_cndmask_b32 v3, v3, v18
	v_cmp_lt_u32_e32 vcc_lo, 3, v20
	v_mov_b32_dpp v19, v4 row_shr:4 row_mask:0xf bank_mask:0xf
	s_delay_alu instid0(VALU_DEP_3) | instskip(NEXT) | instid1(VALU_DEP_1)
	v_mov_b32_dpp v18, v3 row_shr:4 row_mask:0xf bank_mask:0xf
	v_dual_cndmask_b32 v19, 0, v19 :: v_dual_cndmask_b32 v18, 0, v18
	s_delay_alu instid0(VALU_DEP_1) | instskip(NEXT) | instid1(VALU_DEP_2)
	v_add_nc_u32_e32 v4, v19, v4
	v_add_nc_u32_e32 v3, v18, v3
	ds_store_b64 v5, v[3:4]
.LBB439_119:
	s_or_b32 exec_lo, exec_lo, s0
	v_dual_mov_b32 v3, 0 :: v_dual_mov_b32 v18, 0
	v_mov_b32_e32 v19, 0
	s_mov_b32 s0, exec_lo
	s_waitcnt lgkmcnt(0)
	s_barrier
	buffer_gl0_inv
	v_cmpx_lt_u32_e32 31, v0
	s_cbranch_execz .LBB439_121
; %bb.120:
	v_lshl_add_u32 v4, v78, 3, -8
	ds_load_b64 v[18:19], v4
.LBB439_121:
	s_or_b32 exec_lo, exec_lo, s0
	v_add_nc_u32_e32 v4, -1, v77
	s_waitcnt lgkmcnt(0)
	v_add_nc_u32_e32 v20, v19, v2
	v_add_nc_u32_e32 v5, v18, v1
	ds_load_b64 v[1:2], v3 offset:56
	v_cmp_gt_i32_e32 vcc_lo, 0, v4
	v_cndmask_b32_e32 v4, v4, v77, vcc_lo
	v_cmp_eq_u32_e32 vcc_lo, 0, v0
	s_delay_alu instid0(VALU_DEP_2)
	v_lshlrev_b32_e32 v4, 2, v4
	ds_bpermute_b32 v5, v4, v5
	ds_bpermute_b32 v20, v4, v20
	s_waitcnt lgkmcnt(2)
	v_readfirstlane_b32 s1, v2
	s_and_saveexec_b32 s0, vcc_lo
	s_cbranch_execz .LBB439_123
; %bb.122:
	s_mov_b32 s6, 0
	s_add_u32 s4, s4, 0x200
	s_addc_u32 s5, s5, 0
	s_and_b32 s7, s1, 0xff000000
	s_and_b32 s9, s1, 0xff0000
	s_mov_b32 s8, s6
	v_mov_b32_e32 v22, s5
	s_or_b64 s[8:9], s[8:9], s[6:7]
	s_and_b32 s7, s1, 0xff00
	v_dual_mov_b32 v4, 0 :: v_dual_mov_b32 v21, s4
	s_or_b64 s[8:9], s[8:9], s[6:7]
	s_and_b32 s7, s1, 0xff
	v_mov_b32_e32 v3, 2
	s_or_b64 s[6:7], s[8:9], s[6:7]
	s_delay_alu instid0(SALU_CYCLE_1)
	v_mov_b32_e32 v2, s7
	;;#ASMSTART
	global_store_dwordx4 v[21:22], v[1:4] off	
s_waitcnt vmcnt(0)
	;;#ASMEND
.LBB439_123:
	s_or_b32 exec_lo, exec_lo, s0
	v_cmp_eq_u32_e64 s0, 0, v77
	v_dual_mov_b32 v3, 0 :: v_dual_mov_b32 v2, s1
	s_waitcnt lgkmcnt(0)
	s_barrier
	s_delay_alu instid0(VALU_DEP_2)
	v_cndmask_b32_e64 v4, v5, v18, s0
	v_cndmask_b32_e64 v5, v20, v19, s0
	buffer_gl0_inv
	v_cndmask_b32_e64 v20, v4, 0, vcc_lo
	v_cndmask_b32_e64 v5, v5, 0, vcc_lo
	v_mov_b32_e32 v4, 0
.LBB439_124:
	v_and_b32_e32 v30, 1, v30
	v_and_b32_e32 v34, 1, v34
	;; [unrolled: 1-line block ×4, first 2 shown]
	s_waitcnt lgkmcnt(0)
	v_add_co_u32 v18, s0, s28, v3
	v_cmp_eq_u32_e32 vcc_lo, 1, v30
	v_add_nc_u32_e32 v22, v5, v76
	v_sub_nc_u32_e32 v5, v5, v4
	v_add_co_ci_u32_e64 v19, null, s29, 0, s0
	s_mov_b32 s2, -1
	s_delay_alu instid0(VALU_DEP_3) | instskip(SKIP_3) | instid1(VALU_DEP_3)
	v_add_nc_u32_e32 v24, v22, v72
	v_sub_nc_u32_e32 v22, v22, v4
	v_add_nc_u32_e32 v5, v5, v1
	v_sub_co_u32 v72, s0, s30, v1
	v_add_nc_u32_e32 v22, v22, v1
	v_add_nc_u32_e32 v21, v20, v75
	v_sub_nc_u32_e32 v20, v20, v3
	s_delay_alu instid0(VALU_DEP_2)
	v_add_nc_u32_e32 v23, v21, v71
	v_add_nc_u32_e32 v71, v24, v74
	v_lshlrev_b32_e32 v74, 1, v1
	v_sub_nc_u32_e32 v21, v21, v3
	v_add_nc_u32_e32 v75, v20, v5
	v_sub_nc_u32_e32 v24, v24, v4
	s_delay_alu instid0(VALU_DEP_4) | instskip(NEXT) | instid1(VALU_DEP_4)
	v_add3_u32 v28, v74, v2, v28
	v_add_nc_u32_e32 v76, v22, v21
	s_delay_alu instid0(VALU_DEP_3) | instskip(NEXT) | instid1(VALU_DEP_3)
	v_add_nc_u32_e32 v24, v24, v1
	v_sub_nc_u32_e32 v75, v28, v75
	s_delay_alu instid0(VALU_DEP_3) | instskip(NEXT) | instid1(VALU_DEP_1)
	v_sub_nc_u32_e32 v76, v28, v76
	v_dual_cndmask_b32 v5, v75, v5 :: v_dual_add_nc_u32 v30, 1, v76
	v_cmp_eq_u32_e32 vcc_lo, 1, v34
	s_delay_alu instid0(VALU_DEP_2) | instskip(SKIP_1) | instid1(VALU_DEP_4)
	v_cndmask_b32_e32 v22, v30, v22, vcc_lo
	v_cmp_eq_u32_e32 vcc_lo, 1, v29
	v_cndmask_b32_e32 v5, v5, v20, vcc_lo
	v_and_b32_e32 v20, 1, v36
	v_cmp_eq_u32_e32 vcc_lo, 1, v33
	s_delay_alu instid0(VALU_DEP_3) | instskip(SKIP_1) | instid1(VALU_DEP_4)
	v_lshlrev_b32_e32 v5, 2, v5
	v_cndmask_b32_e32 v21, v22, v21, vcc_lo
	v_cmp_eq_u32_e32 vcc_lo, 1, v20
	v_add_nc_u32_e32 v25, v23, v73
	v_sub_nc_u32_e32 v23, v23, v3
	v_and_b32_e32 v22, 1, v31
	v_sub_co_ci_u32_e64 v73, null, s31, 0, s0
	v_and_b32_e32 v31, 1, v32
	s_delay_alu instid0(VALU_DEP_4) | instskip(NEXT) | instid1(VALU_DEP_1)
	v_add_nc_u32_e32 v77, v24, v23
	v_sub_nc_u32_e32 v75, v28, v77
	s_delay_alu instid0(VALU_DEP_1) | instskip(NEXT) | instid1(VALU_DEP_1)
	v_add_nc_u32_e32 v29, 2, v75
	v_cndmask_b32_e32 v20, v29, v24, vcc_lo
	v_sub_nc_u32_e32 v24, v71, v4
	v_cmp_eq_u32_e32 vcc_lo, 1, v22
	v_add_nc_u32_e32 v69, v25, v69
	v_lshlrev_b32_e32 v29, 2, v21
	ds_store_b32 v5, v16
	ds_store_b32 v29, v17
	v_cndmask_b32_e32 v22, v20, v23, vcc_lo
	v_sub_nc_u32_e32 v23, v25, v3
	v_add_nc_u32_e32 v24, v24, v1
	v_add_co_u32 v20, vcc_lo, v72, v4
	s_delay_alu instid0(VALU_DEP_4) | instskip(SKIP_1) | instid1(VALU_DEP_4)
	v_lshlrev_b32_e32 v5, 2, v22
	v_and_b32_e32 v22, 1, v35
	v_add_nc_u32_e32 v25, v23, v24
	v_add_co_ci_u32_e32 v21, vcc_lo, 0, v73, vcc_lo
	ds_store_b32 v5, v14
	v_cmp_eq_u32_e32 vcc_lo, 1, v22
	v_sub_nc_u32_e32 v17, v28, v25
	v_sub_nc_u32_e32 v29, v69, v3
	v_add_nc_u32_e32 v67, v69, v67
	s_delay_alu instid0(VALU_DEP_3) | instskip(NEXT) | instid1(VALU_DEP_2)
	v_add_nc_u32_e32 v17, 3, v17
	v_sub_nc_u32_e32 v30, v67, v3
	s_delay_alu instid0(VALU_DEP_2) | instskip(SKIP_2) | instid1(VALU_DEP_3)
	v_cndmask_b32_e32 v17, v17, v24, vcc_lo
	v_cmp_eq_u32_e32 vcc_lo, 1, v31
	v_and_b32_e32 v24, 1, v39
	v_cndmask_b32_e32 v14, v17, v23, vcc_lo
	v_add_nc_u32_e32 v70, v71, v70
	v_and_b32_e32 v23, 1, v38
	s_delay_alu instid0(VALU_DEP_3) | instskip(NEXT) | instid1(VALU_DEP_3)
	v_lshlrev_b32_e32 v14, 2, v14
	v_add_nc_u32_e32 v68, v70, v68
	v_sub_nc_u32_e32 v16, v70, v4
	ds_store_b32 v14, v15
	v_sub_nc_u32_e32 v25, v68, v4
	v_add_nc_u32_e32 v16, v16, v1
	s_delay_alu instid0(VALU_DEP_2) | instskip(NEXT) | instid1(VALU_DEP_2)
	v_add_nc_u32_e32 v25, v25, v1
	v_add_nc_u32_e32 v32, v29, v16
	s_delay_alu instid0(VALU_DEP_2) | instskip(NEXT) | instid1(VALU_DEP_2)
	v_add_nc_u32_e32 v22, v30, v25
	v_sub_nc_u32_e32 v5, v28, v32
	s_delay_alu instid0(VALU_DEP_2) | instskip(SKIP_1) | instid1(VALU_DEP_3)
	v_sub_nc_u32_e32 v17, v28, v22
	v_and_b32_e32 v22, 1, v37
	v_add_nc_u32_e32 v5, 4, v5
	s_delay_alu instid0(VALU_DEP_3) | instskip(NEXT) | instid1(VALU_DEP_3)
	v_add_nc_u32_e32 v17, 5, v17
	v_cmp_eq_u32_e32 vcc_lo, 1, v22
	s_delay_alu instid0(VALU_DEP_3)
	v_cndmask_b32_e32 v5, v5, v16, vcc_lo
	v_cmp_eq_u32_e32 vcc_lo, 1, v24
	v_and_b32_e32 v16, 1, v41
	v_cndmask_b32_e32 v17, v17, v25, vcc_lo
	v_cmp_eq_u32_e32 vcc_lo, 1, v23
	v_cndmask_b32_e32 v5, v5, v29, vcc_lo
	s_delay_alu instid0(VALU_DEP_4) | instskip(SKIP_1) | instid1(VALU_DEP_3)
	v_cmp_eq_u32_e32 vcc_lo, 1, v16
	v_add_nc_u32_e32 v66, v68, v66
	v_dual_cndmask_b32 v16, v17, v30 :: v_dual_lshlrev_b32 v5, 2, v5
	s_delay_alu instid0(VALU_DEP_2) | instskip(SKIP_1) | instid1(VALU_DEP_3)
	v_sub_nc_u32_e32 v22, v66, v4
	v_add_nc_u32_e32 v62, v66, v62
	v_lshlrev_b32_e32 v16, 2, v16
	ds_store_b32 v5, v12
	ds_store_b32 v16, v13
	v_and_b32_e32 v12, 1, v40
	v_add_nc_u32_e32 v22, v22, v1
	v_add_nc_u32_e32 v64, v62, v64
	v_sub_nc_u32_e32 v17, v62, v4
	v_and_b32_e32 v16, 1, v43
	v_cmp_eq_u32_e32 vcc_lo, 1, v12
	v_add_nc_u32_e32 v65, v67, v65
	v_sub_nc_u32_e32 v15, v64, v4
	v_add_nc_u32_e32 v17, v17, v1
	s_delay_alu instid0(VALU_DEP_3) | instskip(NEXT) | instid1(VALU_DEP_3)
	v_sub_nc_u32_e32 v23, v65, v3
	v_add_nc_u32_e32 v15, v15, v1
	s_delay_alu instid0(VALU_DEP_2) | instskip(NEXT) | instid1(VALU_DEP_1)
	v_add_nc_u32_e32 v24, v23, v22
	v_sub_nc_u32_e32 v14, v28, v24
	v_and_b32_e32 v24, 1, v48
	s_delay_alu instid0(VALU_DEP_2) | instskip(SKIP_1) | instid1(VALU_DEP_2)
	v_add_nc_u32_e32 v13, 6, v14
	v_and_b32_e32 v14, 1, v42
	v_cndmask_b32_e32 v12, v13, v22, vcc_lo
	v_add_nc_u32_e32 v61, v65, v61
	s_delay_alu instid0(VALU_DEP_3) | instskip(SKIP_1) | instid1(VALU_DEP_3)
	v_cmp_eq_u32_e32 vcc_lo, 1, v14
	v_and_b32_e32 v22, 1, v44
	v_sub_nc_u32_e32 v25, v61, v3
	v_add_nc_u32_e32 v63, v61, v63
	v_cndmask_b32_e32 v12, v12, v23, vcc_lo
	v_cmp_eq_u32_e32 vcc_lo, 1, v16
	v_and_b32_e32 v23, 1, v46
	v_add_nc_u32_e32 v5, v25, v17
	v_sub_nc_u32_e32 v13, v63, v3
	v_lshlrev_b32_e32 v12, 2, v12
	v_add_nc_u32_e32 v59, v63, v59
	s_delay_alu instid0(VALU_DEP_4) | instskip(NEXT) | instid1(VALU_DEP_4)
	v_sub_nc_u32_e32 v5, v28, v5
	v_add_nc_u32_e32 v14, v13, v15
	s_delay_alu instid0(VALU_DEP_3) | instskip(NEXT) | instid1(VALU_DEP_3)
	v_add_nc_u32_e32 v57, v59, v57
	v_add_nc_u32_e32 v5, 7, v5
	s_delay_alu instid0(VALU_DEP_3) | instskip(NEXT) | instid1(VALU_DEP_3)
	v_sub_nc_u32_e32 v14, v28, v14
	v_add_nc_u32_e32 v55, v57, v55
	s_delay_alu instid0(VALU_DEP_3)
	v_cndmask_b32_e32 v5, v5, v17, vcc_lo
	v_cmp_eq_u32_e32 vcc_lo, 1, v22
	v_and_b32_e32 v17, 1, v45
	v_add_nc_u32_e32 v14, 8, v14
	v_sub_nc_u32_e32 v22, v59, v3
	v_add_nc_u32_e32 v53, v55, v53
	v_cndmask_b32_e32 v5, v5, v25, vcc_lo
	v_cmp_eq_u32_e32 vcc_lo, 1, v17
	v_sub_nc_u32_e32 v17, v55, v3
	v_and_b32_e32 v25, 1, v52
	s_delay_alu instid0(VALU_DEP_4)
	v_dual_cndmask_b32 v14, v14, v15 :: v_dual_lshlrev_b32 v5, 2, v5
	v_cmp_eq_u32_e32 vcc_lo, 1, v23
	v_add_nc_u32_e32 v60, v64, v60
	ds_store_b32 v12, v10
	ds_store_b32 v5, v11
	v_and_b32_e32 v11, 1, v49
	v_cndmask_b32_e32 v5, v14, v13, vcc_lo
	v_sub_nc_u32_e32 v16, v60, v4
	v_add_nc_u32_e32 v58, v60, v58
	v_and_b32_e32 v13, 1, v47
	s_delay_alu instid0(VALU_DEP_4) | instskip(NEXT) | instid1(VALU_DEP_4)
	v_lshlrev_b32_e32 v5, 2, v5
	v_add_nc_u32_e32 v16, v16, v1
	s_delay_alu instid0(VALU_DEP_4) | instskip(SKIP_2) | instid1(VALU_DEP_4)
	v_add_nc_u32_e32 v56, v58, v56
	v_sub_nc_u32_e32 v12, v58, v4
	v_cmp_eq_u32_e32 vcc_lo, 1, v13
	v_add_nc_u32_e32 v15, v22, v16
	s_delay_alu instid0(VALU_DEP_4) | instskip(NEXT) | instid1(VALU_DEP_4)
	v_sub_nc_u32_e32 v14, v56, v4
	v_add_nc_u32_e32 v12, v12, v1
	v_add_nc_u32_e32 v54, v56, v54
	s_delay_alu instid0(VALU_DEP_4) | instskip(SKIP_2) | instid1(VALU_DEP_4)
	v_sub_nc_u32_e32 v10, v28, v15
	v_sub_nc_u32_e32 v15, v57, v3
	v_add_nc_u32_e32 v14, v14, v1
	v_sub_nc_u32_e32 v23, v54, v4
	v_sub_nc_u32_e32 v3, v53, v3
	v_add_nc_u32_e32 v10, 9, v10
	v_add_nc_u32_e32 v13, v15, v12
	s_delay_alu instid0(VALU_DEP_2) | instskip(SKIP_2) | instid1(VALU_DEP_4)
	v_dual_cndmask_b32 v10, v10, v16 :: v_dual_add_nc_u32 v23, v23, v1
	v_add_nc_u32_e32 v16, v17, v14
	v_cmp_eq_u32_e32 vcc_lo, 1, v11
	v_sub_nc_u32_e32 v11, v28, v13
	v_and_b32_e32 v13, 1, v50
	s_delay_alu instid0(VALU_DEP_4) | instskip(NEXT) | instid1(VALU_DEP_3)
	v_sub_nc_u32_e32 v16, v28, v16
	v_dual_cndmask_b32 v10, v10, v22 :: v_dual_add_nc_u32 v11, 10, v11
	v_cmp_eq_u32_e32 vcc_lo, 1, v24
	v_add_nc_u32_e32 v22, v3, v23
	s_delay_alu instid0(VALU_DEP_4) | instskip(NEXT) | instid1(VALU_DEP_4)
	v_add_nc_u32_e32 v16, 11, v16
	v_dual_cndmask_b32 v11, v11, v12 :: v_dual_lshlrev_b32 v10, 2, v10
	v_cmp_eq_u32_e32 vcc_lo, 1, v25
	s_delay_alu instid0(VALU_DEP_4) | instskip(SKIP_3) | instid1(VALU_DEP_4)
	v_sub_nc_u32_e32 v22, v28, v22
	v_and_b32_e32 v12, 1, v51
	v_cndmask_b32_e32 v14, v16, v14, vcc_lo
	v_cmp_eq_u32_e32 vcc_lo, 1, v13
	v_dual_cndmask_b32 v11, v11, v15 :: v_dual_add_nc_u32 v16, 12, v22
	s_delay_alu instid0(VALU_DEP_4) | instskip(NEXT) | instid1(VALU_DEP_2)
	v_cmp_eq_u32_e32 vcc_lo, 1, v12
	v_cndmask_b32_e64 v13, v16, v23, s43
	s_delay_alu instid0(VALU_DEP_3) | instskip(NEXT) | instid1(VALU_DEP_2)
	v_dual_cndmask_b32 v12, v14, v17 :: v_dual_lshlrev_b32 v11, 2, v11
	v_cndmask_b32_e64 v3, v13, v3, s42
	s_delay_alu instid0(VALU_DEP_2)
	v_lshlrev_b32_e32 v12, 2, v12
	ds_store_b32 v5, v8
	ds_store_b32 v10, v9
	;; [unrolled: 1-line block ×4, first 2 shown]
	v_lshlrev_b32_e32 v3, 2, v3
	v_add_co_u32 v5, s0, v2, v74
	s_delay_alu instid0(VALU_DEP_1) | instskip(SKIP_4) | instid1(VALU_DEP_2)
	v_add_co_ci_u32_e64 v6, null, 0, 0, s0
	ds_store_b32 v3, v27
	v_add_co_u32 v3, vcc_lo, v5, v20
	v_add_co_ci_u32_e32 v5, vcc_lo, v6, v21, vcc_lo
	s_add_u32 s0, s34, s33
	v_add_co_u32 v3, vcc_lo, v3, v18
	s_delay_alu instid0(VALU_DEP_2) | instskip(SKIP_1) | instid1(VALU_DEP_2)
	v_add_co_ci_u32_e32 v5, vcc_lo, v5, v19, vcc_lo
	s_addc_u32 s1, s35, 0
	v_sub_co_u32 v3, vcc_lo, s0, v3
	s_delay_alu instid0(VALU_DEP_2)
	v_sub_co_ci_u32_e32 v9, vcc_lo, s1, v5, vcc_lo
	v_lshlrev_b64 v[5:6], 2, v[20:21]
	v_lshlrev_b64 v[7:8], 2, v[18:19]
	v_add_nc_u32_e32 v10, v1, v2
	s_add_u32 s1, s26, -4
	s_waitcnt lgkmcnt(0)
	s_barrier
	v_add_co_u32 v5, vcc_lo, s38, v5
	v_add_co_ci_u32_e32 v6, vcc_lo, s39, v6, vcc_lo
	v_cmp_ne_u32_e32 vcc_lo, 1, v26
	v_add_co_u32 v7, s0, s36, v7
	s_delay_alu instid0(VALU_DEP_1)
	v_add_co_ci_u32_e64 v8, s0, s37, v8, s0
	s_addc_u32 s0, s27, -1
	buffer_gl0_inv
	s_cbranch_vccz .LBB439_128
; %bb.125:
	s_and_b32 vcc_lo, exec_lo, s2
	s_cbranch_vccnz .LBB439_233
.LBB439_126:
	v_cmp_eq_u32_e32 vcc_lo, 0, v0
	s_and_b32 s0, vcc_lo, s14
	s_delay_alu instid0(SALU_CYCLE_1)
	s_and_saveexec_b32 s1, s0
	s_cbranch_execnz .LBB439_351
.LBB439_127:
	s_nop 0
	s_sendmsg sendmsg(MSG_DEALLOC_VGPRS)
	s_endpgm
.LBB439_128:
	s_mov_b32 s2, exec_lo
	v_cmpx_le_u32_e64 v1, v0
	s_xor_b32 s2, exec_lo, s2
	s_cbranch_execz .LBB439_134
; %bb.129:
	s_mov_b32 s4, exec_lo
	v_cmpx_le_u32_e64 v10, v0
	s_xor_b32 s4, exec_lo, s4
	s_cbranch_execz .LBB439_131
; %bb.130:
	v_lshlrev_b32_e32 v11, 2, v0
	ds_load_b32 v13, v11
	v_add_co_u32 v11, vcc_lo, v3, v0
	v_add_co_ci_u32_e32 v12, vcc_lo, 0, v9, vcc_lo
	s_delay_alu instid0(VALU_DEP_1) | instskip(NEXT) | instid1(VALU_DEP_1)
	v_lshlrev_b64 v[11:12], 2, v[11:12]
	v_sub_co_u32 v11, vcc_lo, s26, v11
	s_delay_alu instid0(VALU_DEP_2)
	v_sub_co_ci_u32_e32 v12, vcc_lo, s27, v12, vcc_lo
	s_waitcnt lgkmcnt(0)
	global_store_b32 v[11:12], v13, off offset:-4
.LBB439_131:
	s_and_not1_saveexec_b32 s4, s4
	s_cbranch_execz .LBB439_133
; %bb.132:
	v_lshlrev_b32_e32 v11, 2, v0
	v_readfirstlane_b32 s6, v5
	v_readfirstlane_b32 s7, v6
	ds_load_b32 v12, v11
	s_waitcnt lgkmcnt(0)
	global_store_b32 v11, v12, s[6:7]
.LBB439_133:
	s_or_b32 exec_lo, exec_lo, s4
.LBB439_134:
	s_and_not1_saveexec_b32 s2, s2
	s_cbranch_execz .LBB439_136
; %bb.135:
	v_lshlrev_b32_e32 v11, 2, v0
	v_readfirstlane_b32 s4, v7
	v_readfirstlane_b32 s5, v8
	ds_load_b32 v12, v11
	s_waitcnt lgkmcnt(0)
	global_store_b32 v11, v12, s[4:5]
.LBB439_136:
	s_or_b32 exec_lo, exec_lo, s2
	v_or_b32_e32 v11, 0x100, v0
	s_mov_b32 s2, exec_lo
	s_delay_alu instid0(VALU_DEP_1)
	v_cmpx_le_u32_e64 v1, v11
	s_xor_b32 s2, exec_lo, s2
	s_cbranch_execz .LBB439_142
; %bb.137:
	s_mov_b32 s4, exec_lo
	v_cmpx_le_u32_e64 v10, v11
	s_xor_b32 s4, exec_lo, s4
	s_cbranch_execz .LBB439_139
; %bb.138:
	v_lshlrev_b32_e32 v11, 2, v0
	ds_load_b32 v13, v11 offset:1024
	v_add_co_u32 v11, vcc_lo, v3, v0
	v_add_co_ci_u32_e32 v12, vcc_lo, 0, v9, vcc_lo
	s_delay_alu instid0(VALU_DEP_1) | instskip(NEXT) | instid1(VALU_DEP_1)
	v_lshlrev_b64 v[11:12], 2, v[11:12]
	v_sub_co_u32 v11, vcc_lo, s1, v11
	s_delay_alu instid0(VALU_DEP_2)
	v_sub_co_ci_u32_e32 v12, vcc_lo, s0, v12, vcc_lo
	s_waitcnt lgkmcnt(0)
	global_store_b32 v[11:12], v13, off offset:-1024
.LBB439_139:
	s_and_not1_saveexec_b32 s4, s4
	s_cbranch_execz .LBB439_141
; %bb.140:
	v_lshlrev_b32_e32 v11, 2, v0
	v_readfirstlane_b32 s6, v5
	v_readfirstlane_b32 s7, v6
	ds_load_b32 v12, v11 offset:1024
	s_waitcnt lgkmcnt(0)
	global_store_b32 v11, v12, s[6:7] offset:1024
.LBB439_141:
	s_or_b32 exec_lo, exec_lo, s4
.LBB439_142:
	s_and_not1_saveexec_b32 s2, s2
	s_cbranch_execz .LBB439_144
; %bb.143:
	v_lshlrev_b32_e32 v11, 2, v0
	v_readfirstlane_b32 s4, v7
	v_readfirstlane_b32 s5, v8
	ds_load_b32 v12, v11 offset:1024
	s_waitcnt lgkmcnt(0)
	global_store_b32 v11, v12, s[4:5] offset:1024
.LBB439_144:
	s_or_b32 exec_lo, exec_lo, s2
	v_or_b32_e32 v11, 0x200, v0
	s_mov_b32 s2, exec_lo
	s_delay_alu instid0(VALU_DEP_1)
	v_cmpx_le_u32_e64 v1, v11
	s_xor_b32 s2, exec_lo, s2
	s_cbranch_execz .LBB439_150
; %bb.145:
	s_mov_b32 s4, exec_lo
	v_cmpx_le_u32_e64 v10, v11
	s_xor_b32 s4, exec_lo, s4
	s_cbranch_execz .LBB439_147
; %bb.146:
	v_lshlrev_b32_e32 v11, 2, v0
	ds_load_b32 v13, v11 offset:2048
	v_add_co_u32 v11, vcc_lo, v3, v0
	v_add_co_ci_u32_e32 v12, vcc_lo, 0, v9, vcc_lo
	s_delay_alu instid0(VALU_DEP_1) | instskip(NEXT) | instid1(VALU_DEP_1)
	v_lshlrev_b64 v[11:12], 2, v[11:12]
	v_sub_co_u32 v11, vcc_lo, s1, v11
	s_delay_alu instid0(VALU_DEP_2)
	v_sub_co_ci_u32_e32 v12, vcc_lo, s0, v12, vcc_lo
	s_waitcnt lgkmcnt(0)
	global_store_b32 v[11:12], v13, off offset:-2048
.LBB439_147:
	s_and_not1_saveexec_b32 s4, s4
	s_cbranch_execz .LBB439_149
; %bb.148:
	v_lshlrev_b32_e32 v11, 2, v0
	v_readfirstlane_b32 s6, v5
	v_readfirstlane_b32 s7, v6
	ds_load_b32 v12, v11 offset:2048
	s_waitcnt lgkmcnt(0)
	global_store_b32 v11, v12, s[6:7] offset:2048
.LBB439_149:
	s_or_b32 exec_lo, exec_lo, s4
.LBB439_150:
	s_and_not1_saveexec_b32 s2, s2
	s_cbranch_execz .LBB439_152
; %bb.151:
	v_lshlrev_b32_e32 v11, 2, v0
	v_readfirstlane_b32 s4, v7
	v_readfirstlane_b32 s5, v8
	ds_load_b32 v12, v11 offset:2048
	s_waitcnt lgkmcnt(0)
	global_store_b32 v11, v12, s[4:5] offset:2048
.LBB439_152:
	;; [unrolled: 47-line block ×3, first 2 shown]
	s_or_b32 exec_lo, exec_lo, s2
	v_or_b32_e32 v11, 0x400, v0
	s_mov_b32 s2, exec_lo
	s_delay_alu instid0(VALU_DEP_1)
	v_cmpx_le_u32_e64 v1, v11
	s_xor_b32 s2, exec_lo, s2
	s_cbranch_execz .LBB439_166
; %bb.161:
	s_mov_b32 s4, exec_lo
	v_cmpx_le_u32_e64 v10, v11
	s_xor_b32 s4, exec_lo, s4
	s_cbranch_execz .LBB439_163
; %bb.162:
	v_lshlrev_b32_e32 v11, 2, v0
	ds_load_b32 v13, v11 offset:4096
	v_add_co_u32 v11, vcc_lo, v3, v0
	v_add_co_ci_u32_e32 v12, vcc_lo, 0, v9, vcc_lo
	s_delay_alu instid0(VALU_DEP_1) | instskip(NEXT) | instid1(VALU_DEP_1)
	v_lshlrev_b64 v[11:12], 2, v[11:12]
	v_sub_co_u32 v11, vcc_lo, s1, v11
	s_delay_alu instid0(VALU_DEP_2)
	v_sub_co_ci_u32_e32 v12, vcc_lo, s0, v12, vcc_lo
	s_waitcnt lgkmcnt(0)
	global_store_b32 v[11:12], v13, off offset:-4096
                                        ; implicit-def: $vgpr11
.LBB439_163:
	s_and_not1_saveexec_b32 s4, s4
	s_cbranch_execz .LBB439_165
; %bb.164:
	v_lshlrev_b32_e32 v12, 2, v0
	v_lshlrev_b32_e32 v11, 2, v11
	v_readfirstlane_b32 s6, v5
	v_readfirstlane_b32 s7, v6
	ds_load_b32 v12, v12 offset:4096
	s_waitcnt lgkmcnt(0)
	global_store_b32 v11, v12, s[6:7]
.LBB439_165:
	s_or_b32 exec_lo, exec_lo, s4
                                        ; implicit-def: $vgpr11
.LBB439_166:
	s_and_not1_saveexec_b32 s2, s2
	s_cbranch_execz .LBB439_168
; %bb.167:
	v_lshlrev_b32_e32 v12, 2, v0
	v_lshlrev_b32_e32 v11, 2, v11
	v_readfirstlane_b32 s4, v7
	v_readfirstlane_b32 s5, v8
	ds_load_b32 v12, v12 offset:4096
	s_waitcnt lgkmcnt(0)
	global_store_b32 v11, v12, s[4:5]
.LBB439_168:
	s_or_b32 exec_lo, exec_lo, s2
	v_or_b32_e32 v11, 0x500, v0
	s_mov_b32 s2, exec_lo
	s_delay_alu instid0(VALU_DEP_1)
	v_cmpx_le_u32_e64 v1, v11
	s_xor_b32 s2, exec_lo, s2
	s_cbranch_execz .LBB439_174
; %bb.169:
	s_mov_b32 s4, exec_lo
	v_cmpx_le_u32_e64 v10, v11
	s_xor_b32 s4, exec_lo, s4
	s_cbranch_execz .LBB439_171
; %bb.170:
	v_lshlrev_b32_e32 v12, 2, v0
	v_add_co_u32 v11, vcc_lo, v3, v11
	ds_load_b32 v13, v12 offset:5120
	v_add_co_ci_u32_e32 v12, vcc_lo, 0, v9, vcc_lo
	s_delay_alu instid0(VALU_DEP_1) | instskip(NEXT) | instid1(VALU_DEP_1)
	v_lshlrev_b64 v[11:12], 2, v[11:12]
	v_sub_co_u32 v11, vcc_lo, s1, v11
	s_delay_alu instid0(VALU_DEP_2)
	v_sub_co_ci_u32_e32 v12, vcc_lo, s0, v12, vcc_lo
	s_waitcnt lgkmcnt(0)
	global_store_b32 v[11:12], v13, off
                                        ; implicit-def: $vgpr11
.LBB439_171:
	s_and_not1_saveexec_b32 s4, s4
	s_cbranch_execz .LBB439_173
; %bb.172:
	v_lshlrev_b32_e32 v12, 2, v0
	v_lshlrev_b32_e32 v11, 2, v11
	v_readfirstlane_b32 s6, v5
	v_readfirstlane_b32 s7, v6
	ds_load_b32 v12, v12 offset:5120
	s_waitcnt lgkmcnt(0)
	global_store_b32 v11, v12, s[6:7]
.LBB439_173:
	s_or_b32 exec_lo, exec_lo, s4
                                        ; implicit-def: $vgpr11
.LBB439_174:
	s_and_not1_saveexec_b32 s2, s2
	s_cbranch_execz .LBB439_176
; %bb.175:
	v_lshlrev_b32_e32 v12, 2, v0
	v_lshlrev_b32_e32 v11, 2, v11
	v_readfirstlane_b32 s4, v7
	v_readfirstlane_b32 s5, v8
	ds_load_b32 v12, v12 offset:5120
	s_waitcnt lgkmcnt(0)
	global_store_b32 v11, v12, s[4:5]
.LBB439_176:
	s_or_b32 exec_lo, exec_lo, s2
	v_or_b32_e32 v11, 0x600, v0
	s_mov_b32 s2, exec_lo
	s_delay_alu instid0(VALU_DEP_1)
	v_cmpx_le_u32_e64 v1, v11
	s_xor_b32 s2, exec_lo, s2
	s_cbranch_execz .LBB439_182
; %bb.177:
	s_mov_b32 s4, exec_lo
	v_cmpx_le_u32_e64 v10, v11
	s_xor_b32 s4, exec_lo, s4
	s_cbranch_execz .LBB439_179
; %bb.178:
	v_lshlrev_b32_e32 v12, 2, v0
	v_add_co_u32 v11, vcc_lo, v3, v11
	ds_load_b32 v13, v12 offset:6144
	v_add_co_ci_u32_e32 v12, vcc_lo, 0, v9, vcc_lo
	s_delay_alu instid0(VALU_DEP_1) | instskip(NEXT) | instid1(VALU_DEP_1)
	v_lshlrev_b64 v[11:12], 2, v[11:12]
	v_sub_co_u32 v11, vcc_lo, s1, v11
	s_delay_alu instid0(VALU_DEP_2)
	v_sub_co_ci_u32_e32 v12, vcc_lo, s0, v12, vcc_lo
	s_waitcnt lgkmcnt(0)
	global_store_b32 v[11:12], v13, off
                                        ; implicit-def: $vgpr11
.LBB439_179:
	s_and_not1_saveexec_b32 s4, s4
	s_cbranch_execz .LBB439_181
; %bb.180:
	v_lshlrev_b32_e32 v12, 2, v0
	v_lshlrev_b32_e32 v11, 2, v11
	v_readfirstlane_b32 s6, v5
	v_readfirstlane_b32 s7, v6
	ds_load_b32 v12, v12 offset:6144
	s_waitcnt lgkmcnt(0)
	global_store_b32 v11, v12, s[6:7]
.LBB439_181:
	s_or_b32 exec_lo, exec_lo, s4
                                        ; implicit-def: $vgpr11
.LBB439_182:
	;; [unrolled: 51-line block ×8, first 2 shown]
	s_and_not1_saveexec_b32 s2, s2
	s_cbranch_execz .LBB439_232
; %bb.231:
	v_lshlrev_b32_e32 v12, 2, v0
	v_lshlrev_b32_e32 v11, 2, v11
	v_readfirstlane_b32 s4, v7
	v_readfirstlane_b32 s5, v8
	ds_load_b32 v12, v12 offset:12288
	s_waitcnt lgkmcnt(0)
	global_store_b32 v11, v12, s[4:5]
.LBB439_232:
	s_or_b32 exec_lo, exec_lo, s2
	s_branch .LBB439_126
.LBB439_233:
	s_mov_b32 s2, exec_lo
	v_cmpx_gt_u32_e64 s3, v0
	s_cbranch_execz .LBB439_242
; %bb.234:
	s_mov_b32 s4, exec_lo
	v_cmpx_le_u32_e64 v1, v0
	s_xor_b32 s4, exec_lo, s4
	s_cbranch_execz .LBB439_240
; %bb.235:
	s_mov_b32 s5, exec_lo
	v_cmpx_le_u32_e64 v10, v0
	s_xor_b32 s5, exec_lo, s5
	s_cbranch_execz .LBB439_237
; %bb.236:
	v_lshlrev_b32_e32 v11, 2, v0
	ds_load_b32 v13, v11
	v_add_co_u32 v11, vcc_lo, v3, v0
	v_add_co_ci_u32_e32 v12, vcc_lo, 0, v9, vcc_lo
	s_delay_alu instid0(VALU_DEP_1) | instskip(NEXT) | instid1(VALU_DEP_1)
	v_lshlrev_b64 v[11:12], 2, v[11:12]
	v_sub_co_u32 v11, vcc_lo, s26, v11
	s_delay_alu instid0(VALU_DEP_2)
	v_sub_co_ci_u32_e32 v12, vcc_lo, s27, v12, vcc_lo
	s_waitcnt lgkmcnt(0)
	global_store_b32 v[11:12], v13, off offset:-4
.LBB439_237:
	s_and_not1_saveexec_b32 s5, s5
	s_cbranch_execz .LBB439_239
; %bb.238:
	v_lshlrev_b32_e32 v11, 2, v0
	v_readfirstlane_b32 s6, v5
	v_readfirstlane_b32 s7, v6
	ds_load_b32 v12, v11
	s_waitcnt lgkmcnt(0)
	global_store_b32 v11, v12, s[6:7]
.LBB439_239:
	s_or_b32 exec_lo, exec_lo, s5
.LBB439_240:
	s_and_not1_saveexec_b32 s4, s4
	s_cbranch_execz .LBB439_242
; %bb.241:
	v_lshlrev_b32_e32 v11, 2, v0
	v_readfirstlane_b32 s4, v7
	v_readfirstlane_b32 s5, v8
	ds_load_b32 v12, v11
	s_waitcnt lgkmcnt(0)
	global_store_b32 v11, v12, s[4:5]
.LBB439_242:
	s_or_b32 exec_lo, exec_lo, s2
	v_or_b32_e32 v11, 0x100, v0
	s_mov_b32 s2, exec_lo
	s_delay_alu instid0(VALU_DEP_1)
	v_cmpx_gt_u32_e64 s3, v11
	s_cbranch_execz .LBB439_251
; %bb.243:
	s_mov_b32 s4, exec_lo
	v_cmpx_le_u32_e64 v1, v11
	s_xor_b32 s4, exec_lo, s4
	s_cbranch_execz .LBB439_249
; %bb.244:
	s_mov_b32 s5, exec_lo
	v_cmpx_le_u32_e64 v10, v11
	s_xor_b32 s5, exec_lo, s5
	s_cbranch_execz .LBB439_246
; %bb.245:
	v_lshlrev_b32_e32 v11, 2, v0
	ds_load_b32 v13, v11 offset:1024
	v_add_co_u32 v11, vcc_lo, v3, v0
	v_add_co_ci_u32_e32 v12, vcc_lo, 0, v9, vcc_lo
	s_delay_alu instid0(VALU_DEP_1) | instskip(NEXT) | instid1(VALU_DEP_1)
	v_lshlrev_b64 v[11:12], 2, v[11:12]
	v_sub_co_u32 v11, vcc_lo, s1, v11
	s_delay_alu instid0(VALU_DEP_2)
	v_sub_co_ci_u32_e32 v12, vcc_lo, s0, v12, vcc_lo
	s_waitcnt lgkmcnt(0)
	global_store_b32 v[11:12], v13, off offset:-1024
.LBB439_246:
	s_and_not1_saveexec_b32 s5, s5
	s_cbranch_execz .LBB439_248
; %bb.247:
	v_lshlrev_b32_e32 v11, 2, v0
	v_readfirstlane_b32 s6, v5
	v_readfirstlane_b32 s7, v6
	ds_load_b32 v12, v11 offset:1024
	s_waitcnt lgkmcnt(0)
	global_store_b32 v11, v12, s[6:7] offset:1024
.LBB439_248:
	s_or_b32 exec_lo, exec_lo, s5
.LBB439_249:
	s_and_not1_saveexec_b32 s4, s4
	s_cbranch_execz .LBB439_251
; %bb.250:
	v_lshlrev_b32_e32 v11, 2, v0
	v_readfirstlane_b32 s4, v7
	v_readfirstlane_b32 s5, v8
	ds_load_b32 v12, v11 offset:1024
	s_waitcnt lgkmcnt(0)
	global_store_b32 v11, v12, s[4:5] offset:1024
.LBB439_251:
	s_or_b32 exec_lo, exec_lo, s2
	v_or_b32_e32 v11, 0x200, v0
	s_mov_b32 s2, exec_lo
	s_delay_alu instid0(VALU_DEP_1)
	v_cmpx_gt_u32_e64 s3, v11
	s_cbranch_execz .LBB439_260
; %bb.252:
	s_mov_b32 s4, exec_lo
	v_cmpx_le_u32_e64 v1, v11
	s_xor_b32 s4, exec_lo, s4
	s_cbranch_execz .LBB439_258
; %bb.253:
	s_mov_b32 s5, exec_lo
	v_cmpx_le_u32_e64 v10, v11
	s_xor_b32 s5, exec_lo, s5
	s_cbranch_execz .LBB439_255
; %bb.254:
	v_lshlrev_b32_e32 v11, 2, v0
	ds_load_b32 v13, v11 offset:2048
	v_add_co_u32 v11, vcc_lo, v3, v0
	v_add_co_ci_u32_e32 v12, vcc_lo, 0, v9, vcc_lo
	s_delay_alu instid0(VALU_DEP_1) | instskip(NEXT) | instid1(VALU_DEP_1)
	v_lshlrev_b64 v[11:12], 2, v[11:12]
	v_sub_co_u32 v11, vcc_lo, s1, v11
	s_delay_alu instid0(VALU_DEP_2)
	v_sub_co_ci_u32_e32 v12, vcc_lo, s0, v12, vcc_lo
	s_waitcnt lgkmcnt(0)
	global_store_b32 v[11:12], v13, off offset:-2048
.LBB439_255:
	s_and_not1_saveexec_b32 s5, s5
	s_cbranch_execz .LBB439_257
; %bb.256:
	v_lshlrev_b32_e32 v11, 2, v0
	v_readfirstlane_b32 s6, v5
	v_readfirstlane_b32 s7, v6
	ds_load_b32 v12, v11 offset:2048
	s_waitcnt lgkmcnt(0)
	global_store_b32 v11, v12, s[6:7] offset:2048
.LBB439_257:
	s_or_b32 exec_lo, exec_lo, s5
.LBB439_258:
	s_and_not1_saveexec_b32 s4, s4
	s_cbranch_execz .LBB439_260
; %bb.259:
	v_lshlrev_b32_e32 v11, 2, v0
	v_readfirstlane_b32 s4, v7
	v_readfirstlane_b32 s5, v8
	ds_load_b32 v12, v11 offset:2048
	s_waitcnt lgkmcnt(0)
	global_store_b32 v11, v12, s[4:5] offset:2048
.LBB439_260:
	;; [unrolled: 51-line block ×3, first 2 shown]
	s_or_b32 exec_lo, exec_lo, s2
	v_or_b32_e32 v11, 0x400, v0
	s_mov_b32 s2, exec_lo
	s_delay_alu instid0(VALU_DEP_1)
	v_cmpx_gt_u32_e64 s3, v11
	s_cbranch_execz .LBB439_278
; %bb.270:
	s_mov_b32 s4, exec_lo
	v_cmpx_le_u32_e64 v1, v11
	s_xor_b32 s4, exec_lo, s4
	s_cbranch_execz .LBB439_276
; %bb.271:
	s_mov_b32 s5, exec_lo
	v_cmpx_le_u32_e64 v10, v11
	s_xor_b32 s5, exec_lo, s5
	s_cbranch_execz .LBB439_273
; %bb.272:
	v_lshlrev_b32_e32 v11, 2, v0
	ds_load_b32 v13, v11 offset:4096
	v_add_co_u32 v11, vcc_lo, v3, v0
	v_add_co_ci_u32_e32 v12, vcc_lo, 0, v9, vcc_lo
	s_delay_alu instid0(VALU_DEP_1) | instskip(NEXT) | instid1(VALU_DEP_1)
	v_lshlrev_b64 v[11:12], 2, v[11:12]
	v_sub_co_u32 v11, vcc_lo, s1, v11
	s_delay_alu instid0(VALU_DEP_2)
	v_sub_co_ci_u32_e32 v12, vcc_lo, s0, v12, vcc_lo
	s_waitcnt lgkmcnt(0)
	global_store_b32 v[11:12], v13, off offset:-4096
                                        ; implicit-def: $vgpr11
.LBB439_273:
	s_and_not1_saveexec_b32 s5, s5
	s_cbranch_execz .LBB439_275
; %bb.274:
	v_lshlrev_b32_e32 v12, 2, v0
	v_lshlrev_b32_e32 v11, 2, v11
	v_readfirstlane_b32 s6, v5
	v_readfirstlane_b32 s7, v6
	ds_load_b32 v12, v12 offset:4096
	s_waitcnt lgkmcnt(0)
	global_store_b32 v11, v12, s[6:7]
.LBB439_275:
	s_or_b32 exec_lo, exec_lo, s5
                                        ; implicit-def: $vgpr11
.LBB439_276:
	s_and_not1_saveexec_b32 s4, s4
	s_cbranch_execz .LBB439_278
; %bb.277:
	v_lshlrev_b32_e32 v12, 2, v0
	v_lshlrev_b32_e32 v11, 2, v11
	v_readfirstlane_b32 s4, v7
	v_readfirstlane_b32 s5, v8
	ds_load_b32 v12, v12 offset:4096
	s_waitcnt lgkmcnt(0)
	global_store_b32 v11, v12, s[4:5]
.LBB439_278:
	s_or_b32 exec_lo, exec_lo, s2
	v_or_b32_e32 v11, 0x500, v0
	s_mov_b32 s2, exec_lo
	s_delay_alu instid0(VALU_DEP_1)
	v_cmpx_gt_u32_e64 s3, v11
	s_cbranch_execz .LBB439_287
; %bb.279:
	s_mov_b32 s4, exec_lo
	v_cmpx_le_u32_e64 v1, v11
	s_xor_b32 s4, exec_lo, s4
	s_cbranch_execz .LBB439_285
; %bb.280:
	s_mov_b32 s5, exec_lo
	v_cmpx_le_u32_e64 v10, v11
	s_xor_b32 s5, exec_lo, s5
	s_cbranch_execz .LBB439_282
; %bb.281:
	v_lshlrev_b32_e32 v12, 2, v0
	v_add_co_u32 v11, vcc_lo, v3, v11
	ds_load_b32 v13, v12 offset:5120
	v_add_co_ci_u32_e32 v12, vcc_lo, 0, v9, vcc_lo
	s_delay_alu instid0(VALU_DEP_1) | instskip(NEXT) | instid1(VALU_DEP_1)
	v_lshlrev_b64 v[11:12], 2, v[11:12]
	v_sub_co_u32 v11, vcc_lo, s1, v11
	s_delay_alu instid0(VALU_DEP_2)
	v_sub_co_ci_u32_e32 v12, vcc_lo, s0, v12, vcc_lo
	s_waitcnt lgkmcnt(0)
	global_store_b32 v[11:12], v13, off
                                        ; implicit-def: $vgpr11
.LBB439_282:
	s_and_not1_saveexec_b32 s5, s5
	s_cbranch_execz .LBB439_284
; %bb.283:
	v_lshlrev_b32_e32 v12, 2, v0
	v_lshlrev_b32_e32 v11, 2, v11
	v_readfirstlane_b32 s6, v5
	v_readfirstlane_b32 s7, v6
	ds_load_b32 v12, v12 offset:5120
	s_waitcnt lgkmcnt(0)
	global_store_b32 v11, v12, s[6:7]
.LBB439_284:
	s_or_b32 exec_lo, exec_lo, s5
                                        ; implicit-def: $vgpr11
.LBB439_285:
	s_and_not1_saveexec_b32 s4, s4
	s_cbranch_execz .LBB439_287
; %bb.286:
	v_lshlrev_b32_e32 v12, 2, v0
	v_lshlrev_b32_e32 v11, 2, v11
	v_readfirstlane_b32 s4, v7
	v_readfirstlane_b32 s5, v8
	ds_load_b32 v12, v12 offset:5120
	s_waitcnt lgkmcnt(0)
	global_store_b32 v11, v12, s[4:5]
.LBB439_287:
	s_or_b32 exec_lo, exec_lo, s2
	v_or_b32_e32 v11, 0x600, v0
	s_mov_b32 s2, exec_lo
	s_delay_alu instid0(VALU_DEP_1)
	v_cmpx_gt_u32_e64 s3, v11
	s_cbranch_execz .LBB439_296
; %bb.288:
	s_mov_b32 s4, exec_lo
	v_cmpx_le_u32_e64 v1, v11
	s_xor_b32 s4, exec_lo, s4
	s_cbranch_execz .LBB439_294
; %bb.289:
	s_mov_b32 s5, exec_lo
	v_cmpx_le_u32_e64 v10, v11
	s_xor_b32 s5, exec_lo, s5
	s_cbranch_execz .LBB439_291
; %bb.290:
	v_lshlrev_b32_e32 v12, 2, v0
	v_add_co_u32 v11, vcc_lo, v3, v11
	ds_load_b32 v13, v12 offset:6144
	v_add_co_ci_u32_e32 v12, vcc_lo, 0, v9, vcc_lo
	s_delay_alu instid0(VALU_DEP_1) | instskip(NEXT) | instid1(VALU_DEP_1)
	v_lshlrev_b64 v[11:12], 2, v[11:12]
	v_sub_co_u32 v11, vcc_lo, s1, v11
	s_delay_alu instid0(VALU_DEP_2)
	v_sub_co_ci_u32_e32 v12, vcc_lo, s0, v12, vcc_lo
	s_waitcnt lgkmcnt(0)
	global_store_b32 v[11:12], v13, off
                                        ; implicit-def: $vgpr11
.LBB439_291:
	s_and_not1_saveexec_b32 s5, s5
	s_cbranch_execz .LBB439_293
; %bb.292:
	v_lshlrev_b32_e32 v12, 2, v0
	v_lshlrev_b32_e32 v11, 2, v11
	v_readfirstlane_b32 s6, v5
	v_readfirstlane_b32 s7, v6
	ds_load_b32 v12, v12 offset:6144
	s_waitcnt lgkmcnt(0)
	global_store_b32 v11, v12, s[6:7]
.LBB439_293:
	s_or_b32 exec_lo, exec_lo, s5
                                        ; implicit-def: $vgpr11
.LBB439_294:
	s_and_not1_saveexec_b32 s4, s4
	s_cbranch_execz .LBB439_296
; %bb.295:
	v_lshlrev_b32_e32 v12, 2, v0
	v_lshlrev_b32_e32 v11, 2, v11
	v_readfirstlane_b32 s4, v7
	v_readfirstlane_b32 s5, v8
	ds_load_b32 v12, v12 offset:6144
	s_waitcnt lgkmcnt(0)
	global_store_b32 v11, v12, s[4:5]
.LBB439_296:
	;; [unrolled: 55-line block ×7, first 2 shown]
	s_or_b32 exec_lo, exec_lo, s2
	v_or_b32_e32 v11, 0xc00, v0
	s_mov_b32 s2, exec_lo
	s_delay_alu instid0(VALU_DEP_1)
	v_cmpx_gt_u32_e64 s3, v11
	s_cbranch_execz .LBB439_350
; %bb.342:
	s_mov_b32 s3, exec_lo
	v_cmpx_le_u32_e64 v1, v11
	s_xor_b32 s3, exec_lo, s3
	s_cbranch_execz .LBB439_348
; %bb.343:
	s_mov_b32 s4, exec_lo
	v_cmpx_le_u32_e64 v10, v11
	s_xor_b32 s4, exec_lo, s4
	s_cbranch_execz .LBB439_345
; %bb.344:
	v_lshlrev_b32_e32 v5, 2, v0
	ds_load_b32 v7, v5 offset:12288
	v_add_co_u32 v5, vcc_lo, v3, v11
	v_add_co_ci_u32_e32 v6, vcc_lo, 0, v9, vcc_lo
                                        ; implicit-def: $vgpr11
	s_delay_alu instid0(VALU_DEP_1) | instskip(NEXT) | instid1(VALU_DEP_1)
	v_lshlrev_b64 v[5:6], 2, v[5:6]
	v_sub_co_u32 v5, vcc_lo, s1, v5
	s_delay_alu instid0(VALU_DEP_2)
	v_sub_co_ci_u32_e32 v6, vcc_lo, s0, v6, vcc_lo
	s_waitcnt lgkmcnt(0)
	global_store_b32 v[5:6], v7, off
                                        ; implicit-def: $vgpr5_vgpr6
.LBB439_345:
	s_and_not1_saveexec_b32 s0, s4
	s_cbranch_execz .LBB439_347
; %bb.346:
	v_lshlrev_b32_e32 v3, 2, v0
	v_lshlrev_b32_e32 v7, 2, v11
	v_readfirstlane_b32 s4, v5
	v_readfirstlane_b32 s5, v6
	ds_load_b32 v3, v3 offset:12288
	s_waitcnt lgkmcnt(0)
	global_store_b32 v7, v3, s[4:5]
.LBB439_347:
	s_or_b32 exec_lo, exec_lo, s0
                                        ; implicit-def: $vgpr11
                                        ; implicit-def: $vgpr7_vgpr8
.LBB439_348:
	s_and_not1_saveexec_b32 s0, s3
	s_cbranch_execz .LBB439_350
; %bb.349:
	v_lshlrev_b32_e32 v3, 2, v0
	v_lshlrev_b32_e32 v5, 2, v11
	v_readfirstlane_b32 s0, v7
	v_readfirstlane_b32 s1, v8
	ds_load_b32 v3, v3 offset:12288
	s_waitcnt lgkmcnt(0)
	global_store_b32 v5, v3, s[0:1]
.LBB439_350:
	s_or_b32 exec_lo, exec_lo, s2
	v_cmp_eq_u32_e32 vcc_lo, 0, v0
	s_and_b32 s0, vcc_lo, s14
	s_delay_alu instid0(SALU_CYCLE_1)
	s_and_saveexec_b32 s1, s0
	s_cbranch_execz .LBB439_127
.LBB439_351:
	v_add_co_u32 v2, s0, s30, v2
	s_delay_alu instid0(VALU_DEP_1) | instskip(SKIP_2) | instid1(VALU_DEP_4)
	v_add_co_ci_u32_e64 v3, null, s31, 0, s0
	v_add_co_u32 v0, vcc_lo, v18, v1
	v_add_co_ci_u32_e32 v1, vcc_lo, 0, v19, vcc_lo
	v_add_co_u32 v2, vcc_lo, v2, v4
	v_mov_b32_e32 v5, 0
	v_add_co_ci_u32_e32 v3, vcc_lo, 0, v3, vcc_lo
	global_store_b128 v5, v[0:3], s[24:25]
	s_nop 0
	s_sendmsg sendmsg(MSG_DEALLOC_VGPRS)
	s_endpgm
.LBB439_352:
	v_add_nc_u32_e32 v3, s7, v23
	s_add_i32 s10, s15, 32
	s_mov_b32 s11, 0
	v_dual_mov_b32 v5, 0 :: v_dual_add_nc_u32 v2, v22, v1
	s_lshl_b64 s[10:11], s[10:11], 4
	v_and_b32_e32 v20, 0xff0000, v3
	s_add_u32 s10, s4, s10
	s_addc_u32 s11, s5, s11
	v_and_b32_e32 v4, 0xff000000, v3
	s_delay_alu instid0(VALU_DEP_1) | instskip(SKIP_2) | instid1(VALU_DEP_1)
	v_or_b32_e32 v20, v20, v4
	v_dual_mov_b32 v4, 2 :: v_dual_and_b32 v21, 0xff00, v3
	v_and_b32_e32 v3, 0xff, v3
	v_or3_b32 v3, v20, v21, v3
	v_dual_mov_b32 v21, s11 :: v_dual_mov_b32 v20, s10
	;;#ASMSTART
	global_store_dwordx4 v[20:21], v[2:5] off	
s_waitcnt vmcnt(0)
	;;#ASMEND
	s_or_b32 exec_lo, exec_lo, s8
	s_and_saveexec_b32 s8, s2
	s_cbranch_execz .LBB439_111
.LBB439_353:
	v_mov_b32_e32 v2, s7
	v_add_nc_u32_e64 v3, 0x3400, 0
	ds_store_2addr_b32 v3, v1, v2 offset1:2
	ds_store_2addr_b32 v3, v22, v23 offset0:4 offset1:6
	s_or_b32 exec_lo, exec_lo, s8
	v_cmp_eq_u32_e32 vcc_lo, 0, v0
	s_and_b32 exec_lo, exec_lo, vcc_lo
	s_cbranch_execnz .LBB439_112
	s_branch .LBB439_113
	.section	.rodata,"a",@progbits
	.p2align	6, 0x0
	.amdhsa_kernel _ZN7rocprim17ROCPRIM_400000_NS6detail17trampoline_kernelINS0_13select_configILj256ELj13ELNS0_17block_load_methodE3ELS4_3ELS4_3ELNS0_20block_scan_algorithmE0ELj4294967295EEENS1_25partition_config_selectorILNS1_17partition_subalgoE4EjNS0_10empty_typeEbEEZZNS1_14partition_implILS8_4ELb0ES6_15HIP_vector_typeIjLj2EENS0_17counting_iteratorIjlEEPS9_SG_NS0_5tupleIJPjSI_NS0_16reverse_iteratorISI_EEEEENSH_IJSG_SG_SG_EEES9_SI_JZNS1_25segmented_radix_sort_implINS0_14default_configELb1EPKiPiPKlPlN2at6native12_GLOBAL__N_18offset_tEEE10hipError_tPvRmT1_PNSt15iterator_traitsIS12_E10value_typeET2_T3_PNS13_IS18_E10value_typeET4_jRbjT5_S1E_jjP12ihipStream_tbEUljE_ZNSN_ISO_Lb1ESQ_SR_ST_SU_SY_EESZ_S10_S11_S12_S16_S17_S18_S1B_S1C_jS1D_jS1E_S1E_jjS1G_bEUljE0_EEESZ_S10_S11_S18_S1C_S1E_T6_T7_T9_mT8_S1G_bDpT10_ENKUlT_T0_E_clISt17integral_constantIbLb0EES1U_EEDaS1P_S1Q_EUlS1P_E_NS1_11comp_targetILNS1_3genE9ELNS1_11target_archE1100ELNS1_3gpuE3ELNS1_3repE0EEENS1_30default_config_static_selectorELNS0_4arch9wavefront6targetE0EEEvS12_
		.amdhsa_group_segment_fixed_size 13340
		.amdhsa_private_segment_fixed_size 0
		.amdhsa_kernarg_size 176
		.amdhsa_user_sgpr_count 15
		.amdhsa_user_sgpr_dispatch_ptr 0
		.amdhsa_user_sgpr_queue_ptr 0
		.amdhsa_user_sgpr_kernarg_segment_ptr 1
		.amdhsa_user_sgpr_dispatch_id 0
		.amdhsa_user_sgpr_private_segment_size 0
		.amdhsa_wavefront_size32 1
		.amdhsa_uses_dynamic_stack 0
		.amdhsa_enable_private_segment 0
		.amdhsa_system_sgpr_workgroup_id_x 1
		.amdhsa_system_sgpr_workgroup_id_y 0
		.amdhsa_system_sgpr_workgroup_id_z 0
		.amdhsa_system_sgpr_workgroup_info 0
		.amdhsa_system_vgpr_workitem_id 0
		.amdhsa_next_free_vgpr 98
		.amdhsa_next_free_sgpr 59
		.amdhsa_reserve_vcc 1
		.amdhsa_float_round_mode_32 0
		.amdhsa_float_round_mode_16_64 0
		.amdhsa_float_denorm_mode_32 3
		.amdhsa_float_denorm_mode_16_64 3
		.amdhsa_dx10_clamp 1
		.amdhsa_ieee_mode 1
		.amdhsa_fp16_overflow 0
		.amdhsa_workgroup_processor_mode 1
		.amdhsa_memory_ordered 1
		.amdhsa_forward_progress 0
		.amdhsa_shared_vgpr_count 0
		.amdhsa_exception_fp_ieee_invalid_op 0
		.amdhsa_exception_fp_denorm_src 0
		.amdhsa_exception_fp_ieee_div_zero 0
		.amdhsa_exception_fp_ieee_overflow 0
		.amdhsa_exception_fp_ieee_underflow 0
		.amdhsa_exception_fp_ieee_inexact 0
		.amdhsa_exception_int_div_zero 0
	.end_amdhsa_kernel
	.section	.text._ZN7rocprim17ROCPRIM_400000_NS6detail17trampoline_kernelINS0_13select_configILj256ELj13ELNS0_17block_load_methodE3ELS4_3ELS4_3ELNS0_20block_scan_algorithmE0ELj4294967295EEENS1_25partition_config_selectorILNS1_17partition_subalgoE4EjNS0_10empty_typeEbEEZZNS1_14partition_implILS8_4ELb0ES6_15HIP_vector_typeIjLj2EENS0_17counting_iteratorIjlEEPS9_SG_NS0_5tupleIJPjSI_NS0_16reverse_iteratorISI_EEEEENSH_IJSG_SG_SG_EEES9_SI_JZNS1_25segmented_radix_sort_implINS0_14default_configELb1EPKiPiPKlPlN2at6native12_GLOBAL__N_18offset_tEEE10hipError_tPvRmT1_PNSt15iterator_traitsIS12_E10value_typeET2_T3_PNS13_IS18_E10value_typeET4_jRbjT5_S1E_jjP12ihipStream_tbEUljE_ZNSN_ISO_Lb1ESQ_SR_ST_SU_SY_EESZ_S10_S11_S12_S16_S17_S18_S1B_S1C_jS1D_jS1E_S1E_jjS1G_bEUljE0_EEESZ_S10_S11_S18_S1C_S1E_T6_T7_T9_mT8_S1G_bDpT10_ENKUlT_T0_E_clISt17integral_constantIbLb0EES1U_EEDaS1P_S1Q_EUlS1P_E_NS1_11comp_targetILNS1_3genE9ELNS1_11target_archE1100ELNS1_3gpuE3ELNS1_3repE0EEENS1_30default_config_static_selectorELNS0_4arch9wavefront6targetE0EEEvS12_,"axG",@progbits,_ZN7rocprim17ROCPRIM_400000_NS6detail17trampoline_kernelINS0_13select_configILj256ELj13ELNS0_17block_load_methodE3ELS4_3ELS4_3ELNS0_20block_scan_algorithmE0ELj4294967295EEENS1_25partition_config_selectorILNS1_17partition_subalgoE4EjNS0_10empty_typeEbEEZZNS1_14partition_implILS8_4ELb0ES6_15HIP_vector_typeIjLj2EENS0_17counting_iteratorIjlEEPS9_SG_NS0_5tupleIJPjSI_NS0_16reverse_iteratorISI_EEEEENSH_IJSG_SG_SG_EEES9_SI_JZNS1_25segmented_radix_sort_implINS0_14default_configELb1EPKiPiPKlPlN2at6native12_GLOBAL__N_18offset_tEEE10hipError_tPvRmT1_PNSt15iterator_traitsIS12_E10value_typeET2_T3_PNS13_IS18_E10value_typeET4_jRbjT5_S1E_jjP12ihipStream_tbEUljE_ZNSN_ISO_Lb1ESQ_SR_ST_SU_SY_EESZ_S10_S11_S12_S16_S17_S18_S1B_S1C_jS1D_jS1E_S1E_jjS1G_bEUljE0_EEESZ_S10_S11_S18_S1C_S1E_T6_T7_T9_mT8_S1G_bDpT10_ENKUlT_T0_E_clISt17integral_constantIbLb0EES1U_EEDaS1P_S1Q_EUlS1P_E_NS1_11comp_targetILNS1_3genE9ELNS1_11target_archE1100ELNS1_3gpuE3ELNS1_3repE0EEENS1_30default_config_static_selectorELNS0_4arch9wavefront6targetE0EEEvS12_,comdat
.Lfunc_end439:
	.size	_ZN7rocprim17ROCPRIM_400000_NS6detail17trampoline_kernelINS0_13select_configILj256ELj13ELNS0_17block_load_methodE3ELS4_3ELS4_3ELNS0_20block_scan_algorithmE0ELj4294967295EEENS1_25partition_config_selectorILNS1_17partition_subalgoE4EjNS0_10empty_typeEbEEZZNS1_14partition_implILS8_4ELb0ES6_15HIP_vector_typeIjLj2EENS0_17counting_iteratorIjlEEPS9_SG_NS0_5tupleIJPjSI_NS0_16reverse_iteratorISI_EEEEENSH_IJSG_SG_SG_EEES9_SI_JZNS1_25segmented_radix_sort_implINS0_14default_configELb1EPKiPiPKlPlN2at6native12_GLOBAL__N_18offset_tEEE10hipError_tPvRmT1_PNSt15iterator_traitsIS12_E10value_typeET2_T3_PNS13_IS18_E10value_typeET4_jRbjT5_S1E_jjP12ihipStream_tbEUljE_ZNSN_ISO_Lb1ESQ_SR_ST_SU_SY_EESZ_S10_S11_S12_S16_S17_S18_S1B_S1C_jS1D_jS1E_S1E_jjS1G_bEUljE0_EEESZ_S10_S11_S18_S1C_S1E_T6_T7_T9_mT8_S1G_bDpT10_ENKUlT_T0_E_clISt17integral_constantIbLb0EES1U_EEDaS1P_S1Q_EUlS1P_E_NS1_11comp_targetILNS1_3genE9ELNS1_11target_archE1100ELNS1_3gpuE3ELNS1_3repE0EEENS1_30default_config_static_selectorELNS0_4arch9wavefront6targetE0EEEvS12_, .Lfunc_end439-_ZN7rocprim17ROCPRIM_400000_NS6detail17trampoline_kernelINS0_13select_configILj256ELj13ELNS0_17block_load_methodE3ELS4_3ELS4_3ELNS0_20block_scan_algorithmE0ELj4294967295EEENS1_25partition_config_selectorILNS1_17partition_subalgoE4EjNS0_10empty_typeEbEEZZNS1_14partition_implILS8_4ELb0ES6_15HIP_vector_typeIjLj2EENS0_17counting_iteratorIjlEEPS9_SG_NS0_5tupleIJPjSI_NS0_16reverse_iteratorISI_EEEEENSH_IJSG_SG_SG_EEES9_SI_JZNS1_25segmented_radix_sort_implINS0_14default_configELb1EPKiPiPKlPlN2at6native12_GLOBAL__N_18offset_tEEE10hipError_tPvRmT1_PNSt15iterator_traitsIS12_E10value_typeET2_T3_PNS13_IS18_E10value_typeET4_jRbjT5_S1E_jjP12ihipStream_tbEUljE_ZNSN_ISO_Lb1ESQ_SR_ST_SU_SY_EESZ_S10_S11_S12_S16_S17_S18_S1B_S1C_jS1D_jS1E_S1E_jjS1G_bEUljE0_EEESZ_S10_S11_S18_S1C_S1E_T6_T7_T9_mT8_S1G_bDpT10_ENKUlT_T0_E_clISt17integral_constantIbLb0EES1U_EEDaS1P_S1Q_EUlS1P_E_NS1_11comp_targetILNS1_3genE9ELNS1_11target_archE1100ELNS1_3gpuE3ELNS1_3repE0EEENS1_30default_config_static_selectorELNS0_4arch9wavefront6targetE0EEEvS12_
                                        ; -- End function
	.section	.AMDGPU.csdata,"",@progbits
; Kernel info:
; codeLenInByte = 14984
; NumSgprs: 61
; NumVgprs: 98
; ScratchSize: 0
; MemoryBound: 0
; FloatMode: 240
; IeeeMode: 1
; LDSByteSize: 13340 bytes/workgroup (compile time only)
; SGPRBlocks: 7
; VGPRBlocks: 12
; NumSGPRsForWavesPerEU: 61
; NumVGPRsForWavesPerEU: 98
; Occupancy: 12
; WaveLimiterHint : 1
; COMPUTE_PGM_RSRC2:SCRATCH_EN: 0
; COMPUTE_PGM_RSRC2:USER_SGPR: 15
; COMPUTE_PGM_RSRC2:TRAP_HANDLER: 0
; COMPUTE_PGM_RSRC2:TGID_X_EN: 1
; COMPUTE_PGM_RSRC2:TGID_Y_EN: 0
; COMPUTE_PGM_RSRC2:TGID_Z_EN: 0
; COMPUTE_PGM_RSRC2:TIDIG_COMP_CNT: 0
	.section	.text._ZN7rocprim17ROCPRIM_400000_NS6detail17trampoline_kernelINS0_13select_configILj256ELj13ELNS0_17block_load_methodE3ELS4_3ELS4_3ELNS0_20block_scan_algorithmE0ELj4294967295EEENS1_25partition_config_selectorILNS1_17partition_subalgoE4EjNS0_10empty_typeEbEEZZNS1_14partition_implILS8_4ELb0ES6_15HIP_vector_typeIjLj2EENS0_17counting_iteratorIjlEEPS9_SG_NS0_5tupleIJPjSI_NS0_16reverse_iteratorISI_EEEEENSH_IJSG_SG_SG_EEES9_SI_JZNS1_25segmented_radix_sort_implINS0_14default_configELb1EPKiPiPKlPlN2at6native12_GLOBAL__N_18offset_tEEE10hipError_tPvRmT1_PNSt15iterator_traitsIS12_E10value_typeET2_T3_PNS13_IS18_E10value_typeET4_jRbjT5_S1E_jjP12ihipStream_tbEUljE_ZNSN_ISO_Lb1ESQ_SR_ST_SU_SY_EESZ_S10_S11_S12_S16_S17_S18_S1B_S1C_jS1D_jS1E_S1E_jjS1G_bEUljE0_EEESZ_S10_S11_S18_S1C_S1E_T6_T7_T9_mT8_S1G_bDpT10_ENKUlT_T0_E_clISt17integral_constantIbLb0EES1U_EEDaS1P_S1Q_EUlS1P_E_NS1_11comp_targetILNS1_3genE8ELNS1_11target_archE1030ELNS1_3gpuE2ELNS1_3repE0EEENS1_30default_config_static_selectorELNS0_4arch9wavefront6targetE0EEEvS12_,"axG",@progbits,_ZN7rocprim17ROCPRIM_400000_NS6detail17trampoline_kernelINS0_13select_configILj256ELj13ELNS0_17block_load_methodE3ELS4_3ELS4_3ELNS0_20block_scan_algorithmE0ELj4294967295EEENS1_25partition_config_selectorILNS1_17partition_subalgoE4EjNS0_10empty_typeEbEEZZNS1_14partition_implILS8_4ELb0ES6_15HIP_vector_typeIjLj2EENS0_17counting_iteratorIjlEEPS9_SG_NS0_5tupleIJPjSI_NS0_16reverse_iteratorISI_EEEEENSH_IJSG_SG_SG_EEES9_SI_JZNS1_25segmented_radix_sort_implINS0_14default_configELb1EPKiPiPKlPlN2at6native12_GLOBAL__N_18offset_tEEE10hipError_tPvRmT1_PNSt15iterator_traitsIS12_E10value_typeET2_T3_PNS13_IS18_E10value_typeET4_jRbjT5_S1E_jjP12ihipStream_tbEUljE_ZNSN_ISO_Lb1ESQ_SR_ST_SU_SY_EESZ_S10_S11_S12_S16_S17_S18_S1B_S1C_jS1D_jS1E_S1E_jjS1G_bEUljE0_EEESZ_S10_S11_S18_S1C_S1E_T6_T7_T9_mT8_S1G_bDpT10_ENKUlT_T0_E_clISt17integral_constantIbLb0EES1U_EEDaS1P_S1Q_EUlS1P_E_NS1_11comp_targetILNS1_3genE8ELNS1_11target_archE1030ELNS1_3gpuE2ELNS1_3repE0EEENS1_30default_config_static_selectorELNS0_4arch9wavefront6targetE0EEEvS12_,comdat
	.globl	_ZN7rocprim17ROCPRIM_400000_NS6detail17trampoline_kernelINS0_13select_configILj256ELj13ELNS0_17block_load_methodE3ELS4_3ELS4_3ELNS0_20block_scan_algorithmE0ELj4294967295EEENS1_25partition_config_selectorILNS1_17partition_subalgoE4EjNS0_10empty_typeEbEEZZNS1_14partition_implILS8_4ELb0ES6_15HIP_vector_typeIjLj2EENS0_17counting_iteratorIjlEEPS9_SG_NS0_5tupleIJPjSI_NS0_16reverse_iteratorISI_EEEEENSH_IJSG_SG_SG_EEES9_SI_JZNS1_25segmented_radix_sort_implINS0_14default_configELb1EPKiPiPKlPlN2at6native12_GLOBAL__N_18offset_tEEE10hipError_tPvRmT1_PNSt15iterator_traitsIS12_E10value_typeET2_T3_PNS13_IS18_E10value_typeET4_jRbjT5_S1E_jjP12ihipStream_tbEUljE_ZNSN_ISO_Lb1ESQ_SR_ST_SU_SY_EESZ_S10_S11_S12_S16_S17_S18_S1B_S1C_jS1D_jS1E_S1E_jjS1G_bEUljE0_EEESZ_S10_S11_S18_S1C_S1E_T6_T7_T9_mT8_S1G_bDpT10_ENKUlT_T0_E_clISt17integral_constantIbLb0EES1U_EEDaS1P_S1Q_EUlS1P_E_NS1_11comp_targetILNS1_3genE8ELNS1_11target_archE1030ELNS1_3gpuE2ELNS1_3repE0EEENS1_30default_config_static_selectorELNS0_4arch9wavefront6targetE0EEEvS12_ ; -- Begin function _ZN7rocprim17ROCPRIM_400000_NS6detail17trampoline_kernelINS0_13select_configILj256ELj13ELNS0_17block_load_methodE3ELS4_3ELS4_3ELNS0_20block_scan_algorithmE0ELj4294967295EEENS1_25partition_config_selectorILNS1_17partition_subalgoE4EjNS0_10empty_typeEbEEZZNS1_14partition_implILS8_4ELb0ES6_15HIP_vector_typeIjLj2EENS0_17counting_iteratorIjlEEPS9_SG_NS0_5tupleIJPjSI_NS0_16reverse_iteratorISI_EEEEENSH_IJSG_SG_SG_EEES9_SI_JZNS1_25segmented_radix_sort_implINS0_14default_configELb1EPKiPiPKlPlN2at6native12_GLOBAL__N_18offset_tEEE10hipError_tPvRmT1_PNSt15iterator_traitsIS12_E10value_typeET2_T3_PNS13_IS18_E10value_typeET4_jRbjT5_S1E_jjP12ihipStream_tbEUljE_ZNSN_ISO_Lb1ESQ_SR_ST_SU_SY_EESZ_S10_S11_S12_S16_S17_S18_S1B_S1C_jS1D_jS1E_S1E_jjS1G_bEUljE0_EEESZ_S10_S11_S18_S1C_S1E_T6_T7_T9_mT8_S1G_bDpT10_ENKUlT_T0_E_clISt17integral_constantIbLb0EES1U_EEDaS1P_S1Q_EUlS1P_E_NS1_11comp_targetILNS1_3genE8ELNS1_11target_archE1030ELNS1_3gpuE2ELNS1_3repE0EEENS1_30default_config_static_selectorELNS0_4arch9wavefront6targetE0EEEvS12_
	.p2align	8
	.type	_ZN7rocprim17ROCPRIM_400000_NS6detail17trampoline_kernelINS0_13select_configILj256ELj13ELNS0_17block_load_methodE3ELS4_3ELS4_3ELNS0_20block_scan_algorithmE0ELj4294967295EEENS1_25partition_config_selectorILNS1_17partition_subalgoE4EjNS0_10empty_typeEbEEZZNS1_14partition_implILS8_4ELb0ES6_15HIP_vector_typeIjLj2EENS0_17counting_iteratorIjlEEPS9_SG_NS0_5tupleIJPjSI_NS0_16reverse_iteratorISI_EEEEENSH_IJSG_SG_SG_EEES9_SI_JZNS1_25segmented_radix_sort_implINS0_14default_configELb1EPKiPiPKlPlN2at6native12_GLOBAL__N_18offset_tEEE10hipError_tPvRmT1_PNSt15iterator_traitsIS12_E10value_typeET2_T3_PNS13_IS18_E10value_typeET4_jRbjT5_S1E_jjP12ihipStream_tbEUljE_ZNSN_ISO_Lb1ESQ_SR_ST_SU_SY_EESZ_S10_S11_S12_S16_S17_S18_S1B_S1C_jS1D_jS1E_S1E_jjS1G_bEUljE0_EEESZ_S10_S11_S18_S1C_S1E_T6_T7_T9_mT8_S1G_bDpT10_ENKUlT_T0_E_clISt17integral_constantIbLb0EES1U_EEDaS1P_S1Q_EUlS1P_E_NS1_11comp_targetILNS1_3genE8ELNS1_11target_archE1030ELNS1_3gpuE2ELNS1_3repE0EEENS1_30default_config_static_selectorELNS0_4arch9wavefront6targetE0EEEvS12_,@function
_ZN7rocprim17ROCPRIM_400000_NS6detail17trampoline_kernelINS0_13select_configILj256ELj13ELNS0_17block_load_methodE3ELS4_3ELS4_3ELNS0_20block_scan_algorithmE0ELj4294967295EEENS1_25partition_config_selectorILNS1_17partition_subalgoE4EjNS0_10empty_typeEbEEZZNS1_14partition_implILS8_4ELb0ES6_15HIP_vector_typeIjLj2EENS0_17counting_iteratorIjlEEPS9_SG_NS0_5tupleIJPjSI_NS0_16reverse_iteratorISI_EEEEENSH_IJSG_SG_SG_EEES9_SI_JZNS1_25segmented_radix_sort_implINS0_14default_configELb1EPKiPiPKlPlN2at6native12_GLOBAL__N_18offset_tEEE10hipError_tPvRmT1_PNSt15iterator_traitsIS12_E10value_typeET2_T3_PNS13_IS18_E10value_typeET4_jRbjT5_S1E_jjP12ihipStream_tbEUljE_ZNSN_ISO_Lb1ESQ_SR_ST_SU_SY_EESZ_S10_S11_S12_S16_S17_S18_S1B_S1C_jS1D_jS1E_S1E_jjS1G_bEUljE0_EEESZ_S10_S11_S18_S1C_S1E_T6_T7_T9_mT8_S1G_bDpT10_ENKUlT_T0_E_clISt17integral_constantIbLb0EES1U_EEDaS1P_S1Q_EUlS1P_E_NS1_11comp_targetILNS1_3genE8ELNS1_11target_archE1030ELNS1_3gpuE2ELNS1_3repE0EEENS1_30default_config_static_selectorELNS0_4arch9wavefront6targetE0EEEvS12_: ; @_ZN7rocprim17ROCPRIM_400000_NS6detail17trampoline_kernelINS0_13select_configILj256ELj13ELNS0_17block_load_methodE3ELS4_3ELS4_3ELNS0_20block_scan_algorithmE0ELj4294967295EEENS1_25partition_config_selectorILNS1_17partition_subalgoE4EjNS0_10empty_typeEbEEZZNS1_14partition_implILS8_4ELb0ES6_15HIP_vector_typeIjLj2EENS0_17counting_iteratorIjlEEPS9_SG_NS0_5tupleIJPjSI_NS0_16reverse_iteratorISI_EEEEENSH_IJSG_SG_SG_EEES9_SI_JZNS1_25segmented_radix_sort_implINS0_14default_configELb1EPKiPiPKlPlN2at6native12_GLOBAL__N_18offset_tEEE10hipError_tPvRmT1_PNSt15iterator_traitsIS12_E10value_typeET2_T3_PNS13_IS18_E10value_typeET4_jRbjT5_S1E_jjP12ihipStream_tbEUljE_ZNSN_ISO_Lb1ESQ_SR_ST_SU_SY_EESZ_S10_S11_S12_S16_S17_S18_S1B_S1C_jS1D_jS1E_S1E_jjS1G_bEUljE0_EEESZ_S10_S11_S18_S1C_S1E_T6_T7_T9_mT8_S1G_bDpT10_ENKUlT_T0_E_clISt17integral_constantIbLb0EES1U_EEDaS1P_S1Q_EUlS1P_E_NS1_11comp_targetILNS1_3genE8ELNS1_11target_archE1030ELNS1_3gpuE2ELNS1_3repE0EEENS1_30default_config_static_selectorELNS0_4arch9wavefront6targetE0EEEvS12_
; %bb.0:
	.section	.rodata,"a",@progbits
	.p2align	6, 0x0
	.amdhsa_kernel _ZN7rocprim17ROCPRIM_400000_NS6detail17trampoline_kernelINS0_13select_configILj256ELj13ELNS0_17block_load_methodE3ELS4_3ELS4_3ELNS0_20block_scan_algorithmE0ELj4294967295EEENS1_25partition_config_selectorILNS1_17partition_subalgoE4EjNS0_10empty_typeEbEEZZNS1_14partition_implILS8_4ELb0ES6_15HIP_vector_typeIjLj2EENS0_17counting_iteratorIjlEEPS9_SG_NS0_5tupleIJPjSI_NS0_16reverse_iteratorISI_EEEEENSH_IJSG_SG_SG_EEES9_SI_JZNS1_25segmented_radix_sort_implINS0_14default_configELb1EPKiPiPKlPlN2at6native12_GLOBAL__N_18offset_tEEE10hipError_tPvRmT1_PNSt15iterator_traitsIS12_E10value_typeET2_T3_PNS13_IS18_E10value_typeET4_jRbjT5_S1E_jjP12ihipStream_tbEUljE_ZNSN_ISO_Lb1ESQ_SR_ST_SU_SY_EESZ_S10_S11_S12_S16_S17_S18_S1B_S1C_jS1D_jS1E_S1E_jjS1G_bEUljE0_EEESZ_S10_S11_S18_S1C_S1E_T6_T7_T9_mT8_S1G_bDpT10_ENKUlT_T0_E_clISt17integral_constantIbLb0EES1U_EEDaS1P_S1Q_EUlS1P_E_NS1_11comp_targetILNS1_3genE8ELNS1_11target_archE1030ELNS1_3gpuE2ELNS1_3repE0EEENS1_30default_config_static_selectorELNS0_4arch9wavefront6targetE0EEEvS12_
		.amdhsa_group_segment_fixed_size 0
		.amdhsa_private_segment_fixed_size 0
		.amdhsa_kernarg_size 176
		.amdhsa_user_sgpr_count 15
		.amdhsa_user_sgpr_dispatch_ptr 0
		.amdhsa_user_sgpr_queue_ptr 0
		.amdhsa_user_sgpr_kernarg_segment_ptr 1
		.amdhsa_user_sgpr_dispatch_id 0
		.amdhsa_user_sgpr_private_segment_size 0
		.amdhsa_wavefront_size32 1
		.amdhsa_uses_dynamic_stack 0
		.amdhsa_enable_private_segment 0
		.amdhsa_system_sgpr_workgroup_id_x 1
		.amdhsa_system_sgpr_workgroup_id_y 0
		.amdhsa_system_sgpr_workgroup_id_z 0
		.amdhsa_system_sgpr_workgroup_info 0
		.amdhsa_system_vgpr_workitem_id 0
		.amdhsa_next_free_vgpr 1
		.amdhsa_next_free_sgpr 1
		.amdhsa_reserve_vcc 0
		.amdhsa_float_round_mode_32 0
		.amdhsa_float_round_mode_16_64 0
		.amdhsa_float_denorm_mode_32 3
		.amdhsa_float_denorm_mode_16_64 3
		.amdhsa_dx10_clamp 1
		.amdhsa_ieee_mode 1
		.amdhsa_fp16_overflow 0
		.amdhsa_workgroup_processor_mode 1
		.amdhsa_memory_ordered 1
		.amdhsa_forward_progress 0
		.amdhsa_shared_vgpr_count 0
		.amdhsa_exception_fp_ieee_invalid_op 0
		.amdhsa_exception_fp_denorm_src 0
		.amdhsa_exception_fp_ieee_div_zero 0
		.amdhsa_exception_fp_ieee_overflow 0
		.amdhsa_exception_fp_ieee_underflow 0
		.amdhsa_exception_fp_ieee_inexact 0
		.amdhsa_exception_int_div_zero 0
	.end_amdhsa_kernel
	.section	.text._ZN7rocprim17ROCPRIM_400000_NS6detail17trampoline_kernelINS0_13select_configILj256ELj13ELNS0_17block_load_methodE3ELS4_3ELS4_3ELNS0_20block_scan_algorithmE0ELj4294967295EEENS1_25partition_config_selectorILNS1_17partition_subalgoE4EjNS0_10empty_typeEbEEZZNS1_14partition_implILS8_4ELb0ES6_15HIP_vector_typeIjLj2EENS0_17counting_iteratorIjlEEPS9_SG_NS0_5tupleIJPjSI_NS0_16reverse_iteratorISI_EEEEENSH_IJSG_SG_SG_EEES9_SI_JZNS1_25segmented_radix_sort_implINS0_14default_configELb1EPKiPiPKlPlN2at6native12_GLOBAL__N_18offset_tEEE10hipError_tPvRmT1_PNSt15iterator_traitsIS12_E10value_typeET2_T3_PNS13_IS18_E10value_typeET4_jRbjT5_S1E_jjP12ihipStream_tbEUljE_ZNSN_ISO_Lb1ESQ_SR_ST_SU_SY_EESZ_S10_S11_S12_S16_S17_S18_S1B_S1C_jS1D_jS1E_S1E_jjS1G_bEUljE0_EEESZ_S10_S11_S18_S1C_S1E_T6_T7_T9_mT8_S1G_bDpT10_ENKUlT_T0_E_clISt17integral_constantIbLb0EES1U_EEDaS1P_S1Q_EUlS1P_E_NS1_11comp_targetILNS1_3genE8ELNS1_11target_archE1030ELNS1_3gpuE2ELNS1_3repE0EEENS1_30default_config_static_selectorELNS0_4arch9wavefront6targetE0EEEvS12_,"axG",@progbits,_ZN7rocprim17ROCPRIM_400000_NS6detail17trampoline_kernelINS0_13select_configILj256ELj13ELNS0_17block_load_methodE3ELS4_3ELS4_3ELNS0_20block_scan_algorithmE0ELj4294967295EEENS1_25partition_config_selectorILNS1_17partition_subalgoE4EjNS0_10empty_typeEbEEZZNS1_14partition_implILS8_4ELb0ES6_15HIP_vector_typeIjLj2EENS0_17counting_iteratorIjlEEPS9_SG_NS0_5tupleIJPjSI_NS0_16reverse_iteratorISI_EEEEENSH_IJSG_SG_SG_EEES9_SI_JZNS1_25segmented_radix_sort_implINS0_14default_configELb1EPKiPiPKlPlN2at6native12_GLOBAL__N_18offset_tEEE10hipError_tPvRmT1_PNSt15iterator_traitsIS12_E10value_typeET2_T3_PNS13_IS18_E10value_typeET4_jRbjT5_S1E_jjP12ihipStream_tbEUljE_ZNSN_ISO_Lb1ESQ_SR_ST_SU_SY_EESZ_S10_S11_S12_S16_S17_S18_S1B_S1C_jS1D_jS1E_S1E_jjS1G_bEUljE0_EEESZ_S10_S11_S18_S1C_S1E_T6_T7_T9_mT8_S1G_bDpT10_ENKUlT_T0_E_clISt17integral_constantIbLb0EES1U_EEDaS1P_S1Q_EUlS1P_E_NS1_11comp_targetILNS1_3genE8ELNS1_11target_archE1030ELNS1_3gpuE2ELNS1_3repE0EEENS1_30default_config_static_selectorELNS0_4arch9wavefront6targetE0EEEvS12_,comdat
.Lfunc_end440:
	.size	_ZN7rocprim17ROCPRIM_400000_NS6detail17trampoline_kernelINS0_13select_configILj256ELj13ELNS0_17block_load_methodE3ELS4_3ELS4_3ELNS0_20block_scan_algorithmE0ELj4294967295EEENS1_25partition_config_selectorILNS1_17partition_subalgoE4EjNS0_10empty_typeEbEEZZNS1_14partition_implILS8_4ELb0ES6_15HIP_vector_typeIjLj2EENS0_17counting_iteratorIjlEEPS9_SG_NS0_5tupleIJPjSI_NS0_16reverse_iteratorISI_EEEEENSH_IJSG_SG_SG_EEES9_SI_JZNS1_25segmented_radix_sort_implINS0_14default_configELb1EPKiPiPKlPlN2at6native12_GLOBAL__N_18offset_tEEE10hipError_tPvRmT1_PNSt15iterator_traitsIS12_E10value_typeET2_T3_PNS13_IS18_E10value_typeET4_jRbjT5_S1E_jjP12ihipStream_tbEUljE_ZNSN_ISO_Lb1ESQ_SR_ST_SU_SY_EESZ_S10_S11_S12_S16_S17_S18_S1B_S1C_jS1D_jS1E_S1E_jjS1G_bEUljE0_EEESZ_S10_S11_S18_S1C_S1E_T6_T7_T9_mT8_S1G_bDpT10_ENKUlT_T0_E_clISt17integral_constantIbLb0EES1U_EEDaS1P_S1Q_EUlS1P_E_NS1_11comp_targetILNS1_3genE8ELNS1_11target_archE1030ELNS1_3gpuE2ELNS1_3repE0EEENS1_30default_config_static_selectorELNS0_4arch9wavefront6targetE0EEEvS12_, .Lfunc_end440-_ZN7rocprim17ROCPRIM_400000_NS6detail17trampoline_kernelINS0_13select_configILj256ELj13ELNS0_17block_load_methodE3ELS4_3ELS4_3ELNS0_20block_scan_algorithmE0ELj4294967295EEENS1_25partition_config_selectorILNS1_17partition_subalgoE4EjNS0_10empty_typeEbEEZZNS1_14partition_implILS8_4ELb0ES6_15HIP_vector_typeIjLj2EENS0_17counting_iteratorIjlEEPS9_SG_NS0_5tupleIJPjSI_NS0_16reverse_iteratorISI_EEEEENSH_IJSG_SG_SG_EEES9_SI_JZNS1_25segmented_radix_sort_implINS0_14default_configELb1EPKiPiPKlPlN2at6native12_GLOBAL__N_18offset_tEEE10hipError_tPvRmT1_PNSt15iterator_traitsIS12_E10value_typeET2_T3_PNS13_IS18_E10value_typeET4_jRbjT5_S1E_jjP12ihipStream_tbEUljE_ZNSN_ISO_Lb1ESQ_SR_ST_SU_SY_EESZ_S10_S11_S12_S16_S17_S18_S1B_S1C_jS1D_jS1E_S1E_jjS1G_bEUljE0_EEESZ_S10_S11_S18_S1C_S1E_T6_T7_T9_mT8_S1G_bDpT10_ENKUlT_T0_E_clISt17integral_constantIbLb0EES1U_EEDaS1P_S1Q_EUlS1P_E_NS1_11comp_targetILNS1_3genE8ELNS1_11target_archE1030ELNS1_3gpuE2ELNS1_3repE0EEENS1_30default_config_static_selectorELNS0_4arch9wavefront6targetE0EEEvS12_
                                        ; -- End function
	.section	.AMDGPU.csdata,"",@progbits
; Kernel info:
; codeLenInByte = 0
; NumSgprs: 0
; NumVgprs: 0
; ScratchSize: 0
; MemoryBound: 0
; FloatMode: 240
; IeeeMode: 1
; LDSByteSize: 0 bytes/workgroup (compile time only)
; SGPRBlocks: 0
; VGPRBlocks: 0
; NumSGPRsForWavesPerEU: 1
; NumVGPRsForWavesPerEU: 1
; Occupancy: 16
; WaveLimiterHint : 0
; COMPUTE_PGM_RSRC2:SCRATCH_EN: 0
; COMPUTE_PGM_RSRC2:USER_SGPR: 15
; COMPUTE_PGM_RSRC2:TRAP_HANDLER: 0
; COMPUTE_PGM_RSRC2:TGID_X_EN: 1
; COMPUTE_PGM_RSRC2:TGID_Y_EN: 0
; COMPUTE_PGM_RSRC2:TGID_Z_EN: 0
; COMPUTE_PGM_RSRC2:TIDIG_COMP_CNT: 0
	.section	.text._ZN7rocprim17ROCPRIM_400000_NS6detail17trampoline_kernelINS0_13select_configILj256ELj13ELNS0_17block_load_methodE3ELS4_3ELS4_3ELNS0_20block_scan_algorithmE0ELj4294967295EEENS1_25partition_config_selectorILNS1_17partition_subalgoE4EjNS0_10empty_typeEbEEZZNS1_14partition_implILS8_4ELb0ES6_15HIP_vector_typeIjLj2EENS0_17counting_iteratorIjlEEPS9_SG_NS0_5tupleIJPjSI_NS0_16reverse_iteratorISI_EEEEENSH_IJSG_SG_SG_EEES9_SI_JZNS1_25segmented_radix_sort_implINS0_14default_configELb1EPKiPiPKlPlN2at6native12_GLOBAL__N_18offset_tEEE10hipError_tPvRmT1_PNSt15iterator_traitsIS12_E10value_typeET2_T3_PNS13_IS18_E10value_typeET4_jRbjT5_S1E_jjP12ihipStream_tbEUljE_ZNSN_ISO_Lb1ESQ_SR_ST_SU_SY_EESZ_S10_S11_S12_S16_S17_S18_S1B_S1C_jS1D_jS1E_S1E_jjS1G_bEUljE0_EEESZ_S10_S11_S18_S1C_S1E_T6_T7_T9_mT8_S1G_bDpT10_ENKUlT_T0_E_clISt17integral_constantIbLb1EES1U_EEDaS1P_S1Q_EUlS1P_E_NS1_11comp_targetILNS1_3genE0ELNS1_11target_archE4294967295ELNS1_3gpuE0ELNS1_3repE0EEENS1_30default_config_static_selectorELNS0_4arch9wavefront6targetE0EEEvS12_,"axG",@progbits,_ZN7rocprim17ROCPRIM_400000_NS6detail17trampoline_kernelINS0_13select_configILj256ELj13ELNS0_17block_load_methodE3ELS4_3ELS4_3ELNS0_20block_scan_algorithmE0ELj4294967295EEENS1_25partition_config_selectorILNS1_17partition_subalgoE4EjNS0_10empty_typeEbEEZZNS1_14partition_implILS8_4ELb0ES6_15HIP_vector_typeIjLj2EENS0_17counting_iteratorIjlEEPS9_SG_NS0_5tupleIJPjSI_NS0_16reverse_iteratorISI_EEEEENSH_IJSG_SG_SG_EEES9_SI_JZNS1_25segmented_radix_sort_implINS0_14default_configELb1EPKiPiPKlPlN2at6native12_GLOBAL__N_18offset_tEEE10hipError_tPvRmT1_PNSt15iterator_traitsIS12_E10value_typeET2_T3_PNS13_IS18_E10value_typeET4_jRbjT5_S1E_jjP12ihipStream_tbEUljE_ZNSN_ISO_Lb1ESQ_SR_ST_SU_SY_EESZ_S10_S11_S12_S16_S17_S18_S1B_S1C_jS1D_jS1E_S1E_jjS1G_bEUljE0_EEESZ_S10_S11_S18_S1C_S1E_T6_T7_T9_mT8_S1G_bDpT10_ENKUlT_T0_E_clISt17integral_constantIbLb1EES1U_EEDaS1P_S1Q_EUlS1P_E_NS1_11comp_targetILNS1_3genE0ELNS1_11target_archE4294967295ELNS1_3gpuE0ELNS1_3repE0EEENS1_30default_config_static_selectorELNS0_4arch9wavefront6targetE0EEEvS12_,comdat
	.globl	_ZN7rocprim17ROCPRIM_400000_NS6detail17trampoline_kernelINS0_13select_configILj256ELj13ELNS0_17block_load_methodE3ELS4_3ELS4_3ELNS0_20block_scan_algorithmE0ELj4294967295EEENS1_25partition_config_selectorILNS1_17partition_subalgoE4EjNS0_10empty_typeEbEEZZNS1_14partition_implILS8_4ELb0ES6_15HIP_vector_typeIjLj2EENS0_17counting_iteratorIjlEEPS9_SG_NS0_5tupleIJPjSI_NS0_16reverse_iteratorISI_EEEEENSH_IJSG_SG_SG_EEES9_SI_JZNS1_25segmented_radix_sort_implINS0_14default_configELb1EPKiPiPKlPlN2at6native12_GLOBAL__N_18offset_tEEE10hipError_tPvRmT1_PNSt15iterator_traitsIS12_E10value_typeET2_T3_PNS13_IS18_E10value_typeET4_jRbjT5_S1E_jjP12ihipStream_tbEUljE_ZNSN_ISO_Lb1ESQ_SR_ST_SU_SY_EESZ_S10_S11_S12_S16_S17_S18_S1B_S1C_jS1D_jS1E_S1E_jjS1G_bEUljE0_EEESZ_S10_S11_S18_S1C_S1E_T6_T7_T9_mT8_S1G_bDpT10_ENKUlT_T0_E_clISt17integral_constantIbLb1EES1U_EEDaS1P_S1Q_EUlS1P_E_NS1_11comp_targetILNS1_3genE0ELNS1_11target_archE4294967295ELNS1_3gpuE0ELNS1_3repE0EEENS1_30default_config_static_selectorELNS0_4arch9wavefront6targetE0EEEvS12_ ; -- Begin function _ZN7rocprim17ROCPRIM_400000_NS6detail17trampoline_kernelINS0_13select_configILj256ELj13ELNS0_17block_load_methodE3ELS4_3ELS4_3ELNS0_20block_scan_algorithmE0ELj4294967295EEENS1_25partition_config_selectorILNS1_17partition_subalgoE4EjNS0_10empty_typeEbEEZZNS1_14partition_implILS8_4ELb0ES6_15HIP_vector_typeIjLj2EENS0_17counting_iteratorIjlEEPS9_SG_NS0_5tupleIJPjSI_NS0_16reverse_iteratorISI_EEEEENSH_IJSG_SG_SG_EEES9_SI_JZNS1_25segmented_radix_sort_implINS0_14default_configELb1EPKiPiPKlPlN2at6native12_GLOBAL__N_18offset_tEEE10hipError_tPvRmT1_PNSt15iterator_traitsIS12_E10value_typeET2_T3_PNS13_IS18_E10value_typeET4_jRbjT5_S1E_jjP12ihipStream_tbEUljE_ZNSN_ISO_Lb1ESQ_SR_ST_SU_SY_EESZ_S10_S11_S12_S16_S17_S18_S1B_S1C_jS1D_jS1E_S1E_jjS1G_bEUljE0_EEESZ_S10_S11_S18_S1C_S1E_T6_T7_T9_mT8_S1G_bDpT10_ENKUlT_T0_E_clISt17integral_constantIbLb1EES1U_EEDaS1P_S1Q_EUlS1P_E_NS1_11comp_targetILNS1_3genE0ELNS1_11target_archE4294967295ELNS1_3gpuE0ELNS1_3repE0EEENS1_30default_config_static_selectorELNS0_4arch9wavefront6targetE0EEEvS12_
	.p2align	8
	.type	_ZN7rocprim17ROCPRIM_400000_NS6detail17trampoline_kernelINS0_13select_configILj256ELj13ELNS0_17block_load_methodE3ELS4_3ELS4_3ELNS0_20block_scan_algorithmE0ELj4294967295EEENS1_25partition_config_selectorILNS1_17partition_subalgoE4EjNS0_10empty_typeEbEEZZNS1_14partition_implILS8_4ELb0ES6_15HIP_vector_typeIjLj2EENS0_17counting_iteratorIjlEEPS9_SG_NS0_5tupleIJPjSI_NS0_16reverse_iteratorISI_EEEEENSH_IJSG_SG_SG_EEES9_SI_JZNS1_25segmented_radix_sort_implINS0_14default_configELb1EPKiPiPKlPlN2at6native12_GLOBAL__N_18offset_tEEE10hipError_tPvRmT1_PNSt15iterator_traitsIS12_E10value_typeET2_T3_PNS13_IS18_E10value_typeET4_jRbjT5_S1E_jjP12ihipStream_tbEUljE_ZNSN_ISO_Lb1ESQ_SR_ST_SU_SY_EESZ_S10_S11_S12_S16_S17_S18_S1B_S1C_jS1D_jS1E_S1E_jjS1G_bEUljE0_EEESZ_S10_S11_S18_S1C_S1E_T6_T7_T9_mT8_S1G_bDpT10_ENKUlT_T0_E_clISt17integral_constantIbLb1EES1U_EEDaS1P_S1Q_EUlS1P_E_NS1_11comp_targetILNS1_3genE0ELNS1_11target_archE4294967295ELNS1_3gpuE0ELNS1_3repE0EEENS1_30default_config_static_selectorELNS0_4arch9wavefront6targetE0EEEvS12_,@function
_ZN7rocprim17ROCPRIM_400000_NS6detail17trampoline_kernelINS0_13select_configILj256ELj13ELNS0_17block_load_methodE3ELS4_3ELS4_3ELNS0_20block_scan_algorithmE0ELj4294967295EEENS1_25partition_config_selectorILNS1_17partition_subalgoE4EjNS0_10empty_typeEbEEZZNS1_14partition_implILS8_4ELb0ES6_15HIP_vector_typeIjLj2EENS0_17counting_iteratorIjlEEPS9_SG_NS0_5tupleIJPjSI_NS0_16reverse_iteratorISI_EEEEENSH_IJSG_SG_SG_EEES9_SI_JZNS1_25segmented_radix_sort_implINS0_14default_configELb1EPKiPiPKlPlN2at6native12_GLOBAL__N_18offset_tEEE10hipError_tPvRmT1_PNSt15iterator_traitsIS12_E10value_typeET2_T3_PNS13_IS18_E10value_typeET4_jRbjT5_S1E_jjP12ihipStream_tbEUljE_ZNSN_ISO_Lb1ESQ_SR_ST_SU_SY_EESZ_S10_S11_S12_S16_S17_S18_S1B_S1C_jS1D_jS1E_S1E_jjS1G_bEUljE0_EEESZ_S10_S11_S18_S1C_S1E_T6_T7_T9_mT8_S1G_bDpT10_ENKUlT_T0_E_clISt17integral_constantIbLb1EES1U_EEDaS1P_S1Q_EUlS1P_E_NS1_11comp_targetILNS1_3genE0ELNS1_11target_archE4294967295ELNS1_3gpuE0ELNS1_3repE0EEENS1_30default_config_static_selectorELNS0_4arch9wavefront6targetE0EEEvS12_: ; @_ZN7rocprim17ROCPRIM_400000_NS6detail17trampoline_kernelINS0_13select_configILj256ELj13ELNS0_17block_load_methodE3ELS4_3ELS4_3ELNS0_20block_scan_algorithmE0ELj4294967295EEENS1_25partition_config_selectorILNS1_17partition_subalgoE4EjNS0_10empty_typeEbEEZZNS1_14partition_implILS8_4ELb0ES6_15HIP_vector_typeIjLj2EENS0_17counting_iteratorIjlEEPS9_SG_NS0_5tupleIJPjSI_NS0_16reverse_iteratorISI_EEEEENSH_IJSG_SG_SG_EEES9_SI_JZNS1_25segmented_radix_sort_implINS0_14default_configELb1EPKiPiPKlPlN2at6native12_GLOBAL__N_18offset_tEEE10hipError_tPvRmT1_PNSt15iterator_traitsIS12_E10value_typeET2_T3_PNS13_IS18_E10value_typeET4_jRbjT5_S1E_jjP12ihipStream_tbEUljE_ZNSN_ISO_Lb1ESQ_SR_ST_SU_SY_EESZ_S10_S11_S12_S16_S17_S18_S1B_S1C_jS1D_jS1E_S1E_jjS1G_bEUljE0_EEESZ_S10_S11_S18_S1C_S1E_T6_T7_T9_mT8_S1G_bDpT10_ENKUlT_T0_E_clISt17integral_constantIbLb1EES1U_EEDaS1P_S1Q_EUlS1P_E_NS1_11comp_targetILNS1_3genE0ELNS1_11target_archE4294967295ELNS1_3gpuE0ELNS1_3repE0EEENS1_30default_config_static_selectorELNS0_4arch9wavefront6targetE0EEEvS12_
; %bb.0:
	.section	.rodata,"a",@progbits
	.p2align	6, 0x0
	.amdhsa_kernel _ZN7rocprim17ROCPRIM_400000_NS6detail17trampoline_kernelINS0_13select_configILj256ELj13ELNS0_17block_load_methodE3ELS4_3ELS4_3ELNS0_20block_scan_algorithmE0ELj4294967295EEENS1_25partition_config_selectorILNS1_17partition_subalgoE4EjNS0_10empty_typeEbEEZZNS1_14partition_implILS8_4ELb0ES6_15HIP_vector_typeIjLj2EENS0_17counting_iteratorIjlEEPS9_SG_NS0_5tupleIJPjSI_NS0_16reverse_iteratorISI_EEEEENSH_IJSG_SG_SG_EEES9_SI_JZNS1_25segmented_radix_sort_implINS0_14default_configELb1EPKiPiPKlPlN2at6native12_GLOBAL__N_18offset_tEEE10hipError_tPvRmT1_PNSt15iterator_traitsIS12_E10value_typeET2_T3_PNS13_IS18_E10value_typeET4_jRbjT5_S1E_jjP12ihipStream_tbEUljE_ZNSN_ISO_Lb1ESQ_SR_ST_SU_SY_EESZ_S10_S11_S12_S16_S17_S18_S1B_S1C_jS1D_jS1E_S1E_jjS1G_bEUljE0_EEESZ_S10_S11_S18_S1C_S1E_T6_T7_T9_mT8_S1G_bDpT10_ENKUlT_T0_E_clISt17integral_constantIbLb1EES1U_EEDaS1P_S1Q_EUlS1P_E_NS1_11comp_targetILNS1_3genE0ELNS1_11target_archE4294967295ELNS1_3gpuE0ELNS1_3repE0EEENS1_30default_config_static_selectorELNS0_4arch9wavefront6targetE0EEEvS12_
		.amdhsa_group_segment_fixed_size 0
		.amdhsa_private_segment_fixed_size 0
		.amdhsa_kernarg_size 184
		.amdhsa_user_sgpr_count 15
		.amdhsa_user_sgpr_dispatch_ptr 0
		.amdhsa_user_sgpr_queue_ptr 0
		.amdhsa_user_sgpr_kernarg_segment_ptr 1
		.amdhsa_user_sgpr_dispatch_id 0
		.amdhsa_user_sgpr_private_segment_size 0
		.amdhsa_wavefront_size32 1
		.amdhsa_uses_dynamic_stack 0
		.amdhsa_enable_private_segment 0
		.amdhsa_system_sgpr_workgroup_id_x 1
		.amdhsa_system_sgpr_workgroup_id_y 0
		.amdhsa_system_sgpr_workgroup_id_z 0
		.amdhsa_system_sgpr_workgroup_info 0
		.amdhsa_system_vgpr_workitem_id 0
		.amdhsa_next_free_vgpr 1
		.amdhsa_next_free_sgpr 1
		.amdhsa_reserve_vcc 0
		.amdhsa_float_round_mode_32 0
		.amdhsa_float_round_mode_16_64 0
		.amdhsa_float_denorm_mode_32 3
		.amdhsa_float_denorm_mode_16_64 3
		.amdhsa_dx10_clamp 1
		.amdhsa_ieee_mode 1
		.amdhsa_fp16_overflow 0
		.amdhsa_workgroup_processor_mode 1
		.amdhsa_memory_ordered 1
		.amdhsa_forward_progress 0
		.amdhsa_shared_vgpr_count 0
		.amdhsa_exception_fp_ieee_invalid_op 0
		.amdhsa_exception_fp_denorm_src 0
		.amdhsa_exception_fp_ieee_div_zero 0
		.amdhsa_exception_fp_ieee_overflow 0
		.amdhsa_exception_fp_ieee_underflow 0
		.amdhsa_exception_fp_ieee_inexact 0
		.amdhsa_exception_int_div_zero 0
	.end_amdhsa_kernel
	.section	.text._ZN7rocprim17ROCPRIM_400000_NS6detail17trampoline_kernelINS0_13select_configILj256ELj13ELNS0_17block_load_methodE3ELS4_3ELS4_3ELNS0_20block_scan_algorithmE0ELj4294967295EEENS1_25partition_config_selectorILNS1_17partition_subalgoE4EjNS0_10empty_typeEbEEZZNS1_14partition_implILS8_4ELb0ES6_15HIP_vector_typeIjLj2EENS0_17counting_iteratorIjlEEPS9_SG_NS0_5tupleIJPjSI_NS0_16reverse_iteratorISI_EEEEENSH_IJSG_SG_SG_EEES9_SI_JZNS1_25segmented_radix_sort_implINS0_14default_configELb1EPKiPiPKlPlN2at6native12_GLOBAL__N_18offset_tEEE10hipError_tPvRmT1_PNSt15iterator_traitsIS12_E10value_typeET2_T3_PNS13_IS18_E10value_typeET4_jRbjT5_S1E_jjP12ihipStream_tbEUljE_ZNSN_ISO_Lb1ESQ_SR_ST_SU_SY_EESZ_S10_S11_S12_S16_S17_S18_S1B_S1C_jS1D_jS1E_S1E_jjS1G_bEUljE0_EEESZ_S10_S11_S18_S1C_S1E_T6_T7_T9_mT8_S1G_bDpT10_ENKUlT_T0_E_clISt17integral_constantIbLb1EES1U_EEDaS1P_S1Q_EUlS1P_E_NS1_11comp_targetILNS1_3genE0ELNS1_11target_archE4294967295ELNS1_3gpuE0ELNS1_3repE0EEENS1_30default_config_static_selectorELNS0_4arch9wavefront6targetE0EEEvS12_,"axG",@progbits,_ZN7rocprim17ROCPRIM_400000_NS6detail17trampoline_kernelINS0_13select_configILj256ELj13ELNS0_17block_load_methodE3ELS4_3ELS4_3ELNS0_20block_scan_algorithmE0ELj4294967295EEENS1_25partition_config_selectorILNS1_17partition_subalgoE4EjNS0_10empty_typeEbEEZZNS1_14partition_implILS8_4ELb0ES6_15HIP_vector_typeIjLj2EENS0_17counting_iteratorIjlEEPS9_SG_NS0_5tupleIJPjSI_NS0_16reverse_iteratorISI_EEEEENSH_IJSG_SG_SG_EEES9_SI_JZNS1_25segmented_radix_sort_implINS0_14default_configELb1EPKiPiPKlPlN2at6native12_GLOBAL__N_18offset_tEEE10hipError_tPvRmT1_PNSt15iterator_traitsIS12_E10value_typeET2_T3_PNS13_IS18_E10value_typeET4_jRbjT5_S1E_jjP12ihipStream_tbEUljE_ZNSN_ISO_Lb1ESQ_SR_ST_SU_SY_EESZ_S10_S11_S12_S16_S17_S18_S1B_S1C_jS1D_jS1E_S1E_jjS1G_bEUljE0_EEESZ_S10_S11_S18_S1C_S1E_T6_T7_T9_mT8_S1G_bDpT10_ENKUlT_T0_E_clISt17integral_constantIbLb1EES1U_EEDaS1P_S1Q_EUlS1P_E_NS1_11comp_targetILNS1_3genE0ELNS1_11target_archE4294967295ELNS1_3gpuE0ELNS1_3repE0EEENS1_30default_config_static_selectorELNS0_4arch9wavefront6targetE0EEEvS12_,comdat
.Lfunc_end441:
	.size	_ZN7rocprim17ROCPRIM_400000_NS6detail17trampoline_kernelINS0_13select_configILj256ELj13ELNS0_17block_load_methodE3ELS4_3ELS4_3ELNS0_20block_scan_algorithmE0ELj4294967295EEENS1_25partition_config_selectorILNS1_17partition_subalgoE4EjNS0_10empty_typeEbEEZZNS1_14partition_implILS8_4ELb0ES6_15HIP_vector_typeIjLj2EENS0_17counting_iteratorIjlEEPS9_SG_NS0_5tupleIJPjSI_NS0_16reverse_iteratorISI_EEEEENSH_IJSG_SG_SG_EEES9_SI_JZNS1_25segmented_radix_sort_implINS0_14default_configELb1EPKiPiPKlPlN2at6native12_GLOBAL__N_18offset_tEEE10hipError_tPvRmT1_PNSt15iterator_traitsIS12_E10value_typeET2_T3_PNS13_IS18_E10value_typeET4_jRbjT5_S1E_jjP12ihipStream_tbEUljE_ZNSN_ISO_Lb1ESQ_SR_ST_SU_SY_EESZ_S10_S11_S12_S16_S17_S18_S1B_S1C_jS1D_jS1E_S1E_jjS1G_bEUljE0_EEESZ_S10_S11_S18_S1C_S1E_T6_T7_T9_mT8_S1G_bDpT10_ENKUlT_T0_E_clISt17integral_constantIbLb1EES1U_EEDaS1P_S1Q_EUlS1P_E_NS1_11comp_targetILNS1_3genE0ELNS1_11target_archE4294967295ELNS1_3gpuE0ELNS1_3repE0EEENS1_30default_config_static_selectorELNS0_4arch9wavefront6targetE0EEEvS12_, .Lfunc_end441-_ZN7rocprim17ROCPRIM_400000_NS6detail17trampoline_kernelINS0_13select_configILj256ELj13ELNS0_17block_load_methodE3ELS4_3ELS4_3ELNS0_20block_scan_algorithmE0ELj4294967295EEENS1_25partition_config_selectorILNS1_17partition_subalgoE4EjNS0_10empty_typeEbEEZZNS1_14partition_implILS8_4ELb0ES6_15HIP_vector_typeIjLj2EENS0_17counting_iteratorIjlEEPS9_SG_NS0_5tupleIJPjSI_NS0_16reverse_iteratorISI_EEEEENSH_IJSG_SG_SG_EEES9_SI_JZNS1_25segmented_radix_sort_implINS0_14default_configELb1EPKiPiPKlPlN2at6native12_GLOBAL__N_18offset_tEEE10hipError_tPvRmT1_PNSt15iterator_traitsIS12_E10value_typeET2_T3_PNS13_IS18_E10value_typeET4_jRbjT5_S1E_jjP12ihipStream_tbEUljE_ZNSN_ISO_Lb1ESQ_SR_ST_SU_SY_EESZ_S10_S11_S12_S16_S17_S18_S1B_S1C_jS1D_jS1E_S1E_jjS1G_bEUljE0_EEESZ_S10_S11_S18_S1C_S1E_T6_T7_T9_mT8_S1G_bDpT10_ENKUlT_T0_E_clISt17integral_constantIbLb1EES1U_EEDaS1P_S1Q_EUlS1P_E_NS1_11comp_targetILNS1_3genE0ELNS1_11target_archE4294967295ELNS1_3gpuE0ELNS1_3repE0EEENS1_30default_config_static_selectorELNS0_4arch9wavefront6targetE0EEEvS12_
                                        ; -- End function
	.section	.AMDGPU.csdata,"",@progbits
; Kernel info:
; codeLenInByte = 0
; NumSgprs: 0
; NumVgprs: 0
; ScratchSize: 0
; MemoryBound: 0
; FloatMode: 240
; IeeeMode: 1
; LDSByteSize: 0 bytes/workgroup (compile time only)
; SGPRBlocks: 0
; VGPRBlocks: 0
; NumSGPRsForWavesPerEU: 1
; NumVGPRsForWavesPerEU: 1
; Occupancy: 16
; WaveLimiterHint : 0
; COMPUTE_PGM_RSRC2:SCRATCH_EN: 0
; COMPUTE_PGM_RSRC2:USER_SGPR: 15
; COMPUTE_PGM_RSRC2:TRAP_HANDLER: 0
; COMPUTE_PGM_RSRC2:TGID_X_EN: 1
; COMPUTE_PGM_RSRC2:TGID_Y_EN: 0
; COMPUTE_PGM_RSRC2:TGID_Z_EN: 0
; COMPUTE_PGM_RSRC2:TIDIG_COMP_CNT: 0
	.section	.text._ZN7rocprim17ROCPRIM_400000_NS6detail17trampoline_kernelINS0_13select_configILj256ELj13ELNS0_17block_load_methodE3ELS4_3ELS4_3ELNS0_20block_scan_algorithmE0ELj4294967295EEENS1_25partition_config_selectorILNS1_17partition_subalgoE4EjNS0_10empty_typeEbEEZZNS1_14partition_implILS8_4ELb0ES6_15HIP_vector_typeIjLj2EENS0_17counting_iteratorIjlEEPS9_SG_NS0_5tupleIJPjSI_NS0_16reverse_iteratorISI_EEEEENSH_IJSG_SG_SG_EEES9_SI_JZNS1_25segmented_radix_sort_implINS0_14default_configELb1EPKiPiPKlPlN2at6native12_GLOBAL__N_18offset_tEEE10hipError_tPvRmT1_PNSt15iterator_traitsIS12_E10value_typeET2_T3_PNS13_IS18_E10value_typeET4_jRbjT5_S1E_jjP12ihipStream_tbEUljE_ZNSN_ISO_Lb1ESQ_SR_ST_SU_SY_EESZ_S10_S11_S12_S16_S17_S18_S1B_S1C_jS1D_jS1E_S1E_jjS1G_bEUljE0_EEESZ_S10_S11_S18_S1C_S1E_T6_T7_T9_mT8_S1G_bDpT10_ENKUlT_T0_E_clISt17integral_constantIbLb1EES1U_EEDaS1P_S1Q_EUlS1P_E_NS1_11comp_targetILNS1_3genE5ELNS1_11target_archE942ELNS1_3gpuE9ELNS1_3repE0EEENS1_30default_config_static_selectorELNS0_4arch9wavefront6targetE0EEEvS12_,"axG",@progbits,_ZN7rocprim17ROCPRIM_400000_NS6detail17trampoline_kernelINS0_13select_configILj256ELj13ELNS0_17block_load_methodE3ELS4_3ELS4_3ELNS0_20block_scan_algorithmE0ELj4294967295EEENS1_25partition_config_selectorILNS1_17partition_subalgoE4EjNS0_10empty_typeEbEEZZNS1_14partition_implILS8_4ELb0ES6_15HIP_vector_typeIjLj2EENS0_17counting_iteratorIjlEEPS9_SG_NS0_5tupleIJPjSI_NS0_16reverse_iteratorISI_EEEEENSH_IJSG_SG_SG_EEES9_SI_JZNS1_25segmented_radix_sort_implINS0_14default_configELb1EPKiPiPKlPlN2at6native12_GLOBAL__N_18offset_tEEE10hipError_tPvRmT1_PNSt15iterator_traitsIS12_E10value_typeET2_T3_PNS13_IS18_E10value_typeET4_jRbjT5_S1E_jjP12ihipStream_tbEUljE_ZNSN_ISO_Lb1ESQ_SR_ST_SU_SY_EESZ_S10_S11_S12_S16_S17_S18_S1B_S1C_jS1D_jS1E_S1E_jjS1G_bEUljE0_EEESZ_S10_S11_S18_S1C_S1E_T6_T7_T9_mT8_S1G_bDpT10_ENKUlT_T0_E_clISt17integral_constantIbLb1EES1U_EEDaS1P_S1Q_EUlS1P_E_NS1_11comp_targetILNS1_3genE5ELNS1_11target_archE942ELNS1_3gpuE9ELNS1_3repE0EEENS1_30default_config_static_selectorELNS0_4arch9wavefront6targetE0EEEvS12_,comdat
	.globl	_ZN7rocprim17ROCPRIM_400000_NS6detail17trampoline_kernelINS0_13select_configILj256ELj13ELNS0_17block_load_methodE3ELS4_3ELS4_3ELNS0_20block_scan_algorithmE0ELj4294967295EEENS1_25partition_config_selectorILNS1_17partition_subalgoE4EjNS0_10empty_typeEbEEZZNS1_14partition_implILS8_4ELb0ES6_15HIP_vector_typeIjLj2EENS0_17counting_iteratorIjlEEPS9_SG_NS0_5tupleIJPjSI_NS0_16reverse_iteratorISI_EEEEENSH_IJSG_SG_SG_EEES9_SI_JZNS1_25segmented_radix_sort_implINS0_14default_configELb1EPKiPiPKlPlN2at6native12_GLOBAL__N_18offset_tEEE10hipError_tPvRmT1_PNSt15iterator_traitsIS12_E10value_typeET2_T3_PNS13_IS18_E10value_typeET4_jRbjT5_S1E_jjP12ihipStream_tbEUljE_ZNSN_ISO_Lb1ESQ_SR_ST_SU_SY_EESZ_S10_S11_S12_S16_S17_S18_S1B_S1C_jS1D_jS1E_S1E_jjS1G_bEUljE0_EEESZ_S10_S11_S18_S1C_S1E_T6_T7_T9_mT8_S1G_bDpT10_ENKUlT_T0_E_clISt17integral_constantIbLb1EES1U_EEDaS1P_S1Q_EUlS1P_E_NS1_11comp_targetILNS1_3genE5ELNS1_11target_archE942ELNS1_3gpuE9ELNS1_3repE0EEENS1_30default_config_static_selectorELNS0_4arch9wavefront6targetE0EEEvS12_ ; -- Begin function _ZN7rocprim17ROCPRIM_400000_NS6detail17trampoline_kernelINS0_13select_configILj256ELj13ELNS0_17block_load_methodE3ELS4_3ELS4_3ELNS0_20block_scan_algorithmE0ELj4294967295EEENS1_25partition_config_selectorILNS1_17partition_subalgoE4EjNS0_10empty_typeEbEEZZNS1_14partition_implILS8_4ELb0ES6_15HIP_vector_typeIjLj2EENS0_17counting_iteratorIjlEEPS9_SG_NS0_5tupleIJPjSI_NS0_16reverse_iteratorISI_EEEEENSH_IJSG_SG_SG_EEES9_SI_JZNS1_25segmented_radix_sort_implINS0_14default_configELb1EPKiPiPKlPlN2at6native12_GLOBAL__N_18offset_tEEE10hipError_tPvRmT1_PNSt15iterator_traitsIS12_E10value_typeET2_T3_PNS13_IS18_E10value_typeET4_jRbjT5_S1E_jjP12ihipStream_tbEUljE_ZNSN_ISO_Lb1ESQ_SR_ST_SU_SY_EESZ_S10_S11_S12_S16_S17_S18_S1B_S1C_jS1D_jS1E_S1E_jjS1G_bEUljE0_EEESZ_S10_S11_S18_S1C_S1E_T6_T7_T9_mT8_S1G_bDpT10_ENKUlT_T0_E_clISt17integral_constantIbLb1EES1U_EEDaS1P_S1Q_EUlS1P_E_NS1_11comp_targetILNS1_3genE5ELNS1_11target_archE942ELNS1_3gpuE9ELNS1_3repE0EEENS1_30default_config_static_selectorELNS0_4arch9wavefront6targetE0EEEvS12_
	.p2align	8
	.type	_ZN7rocprim17ROCPRIM_400000_NS6detail17trampoline_kernelINS0_13select_configILj256ELj13ELNS0_17block_load_methodE3ELS4_3ELS4_3ELNS0_20block_scan_algorithmE0ELj4294967295EEENS1_25partition_config_selectorILNS1_17partition_subalgoE4EjNS0_10empty_typeEbEEZZNS1_14partition_implILS8_4ELb0ES6_15HIP_vector_typeIjLj2EENS0_17counting_iteratorIjlEEPS9_SG_NS0_5tupleIJPjSI_NS0_16reverse_iteratorISI_EEEEENSH_IJSG_SG_SG_EEES9_SI_JZNS1_25segmented_radix_sort_implINS0_14default_configELb1EPKiPiPKlPlN2at6native12_GLOBAL__N_18offset_tEEE10hipError_tPvRmT1_PNSt15iterator_traitsIS12_E10value_typeET2_T3_PNS13_IS18_E10value_typeET4_jRbjT5_S1E_jjP12ihipStream_tbEUljE_ZNSN_ISO_Lb1ESQ_SR_ST_SU_SY_EESZ_S10_S11_S12_S16_S17_S18_S1B_S1C_jS1D_jS1E_S1E_jjS1G_bEUljE0_EEESZ_S10_S11_S18_S1C_S1E_T6_T7_T9_mT8_S1G_bDpT10_ENKUlT_T0_E_clISt17integral_constantIbLb1EES1U_EEDaS1P_S1Q_EUlS1P_E_NS1_11comp_targetILNS1_3genE5ELNS1_11target_archE942ELNS1_3gpuE9ELNS1_3repE0EEENS1_30default_config_static_selectorELNS0_4arch9wavefront6targetE0EEEvS12_,@function
_ZN7rocprim17ROCPRIM_400000_NS6detail17trampoline_kernelINS0_13select_configILj256ELj13ELNS0_17block_load_methodE3ELS4_3ELS4_3ELNS0_20block_scan_algorithmE0ELj4294967295EEENS1_25partition_config_selectorILNS1_17partition_subalgoE4EjNS0_10empty_typeEbEEZZNS1_14partition_implILS8_4ELb0ES6_15HIP_vector_typeIjLj2EENS0_17counting_iteratorIjlEEPS9_SG_NS0_5tupleIJPjSI_NS0_16reverse_iteratorISI_EEEEENSH_IJSG_SG_SG_EEES9_SI_JZNS1_25segmented_radix_sort_implINS0_14default_configELb1EPKiPiPKlPlN2at6native12_GLOBAL__N_18offset_tEEE10hipError_tPvRmT1_PNSt15iterator_traitsIS12_E10value_typeET2_T3_PNS13_IS18_E10value_typeET4_jRbjT5_S1E_jjP12ihipStream_tbEUljE_ZNSN_ISO_Lb1ESQ_SR_ST_SU_SY_EESZ_S10_S11_S12_S16_S17_S18_S1B_S1C_jS1D_jS1E_S1E_jjS1G_bEUljE0_EEESZ_S10_S11_S18_S1C_S1E_T6_T7_T9_mT8_S1G_bDpT10_ENKUlT_T0_E_clISt17integral_constantIbLb1EES1U_EEDaS1P_S1Q_EUlS1P_E_NS1_11comp_targetILNS1_3genE5ELNS1_11target_archE942ELNS1_3gpuE9ELNS1_3repE0EEENS1_30default_config_static_selectorELNS0_4arch9wavefront6targetE0EEEvS12_: ; @_ZN7rocprim17ROCPRIM_400000_NS6detail17trampoline_kernelINS0_13select_configILj256ELj13ELNS0_17block_load_methodE3ELS4_3ELS4_3ELNS0_20block_scan_algorithmE0ELj4294967295EEENS1_25partition_config_selectorILNS1_17partition_subalgoE4EjNS0_10empty_typeEbEEZZNS1_14partition_implILS8_4ELb0ES6_15HIP_vector_typeIjLj2EENS0_17counting_iteratorIjlEEPS9_SG_NS0_5tupleIJPjSI_NS0_16reverse_iteratorISI_EEEEENSH_IJSG_SG_SG_EEES9_SI_JZNS1_25segmented_radix_sort_implINS0_14default_configELb1EPKiPiPKlPlN2at6native12_GLOBAL__N_18offset_tEEE10hipError_tPvRmT1_PNSt15iterator_traitsIS12_E10value_typeET2_T3_PNS13_IS18_E10value_typeET4_jRbjT5_S1E_jjP12ihipStream_tbEUljE_ZNSN_ISO_Lb1ESQ_SR_ST_SU_SY_EESZ_S10_S11_S12_S16_S17_S18_S1B_S1C_jS1D_jS1E_S1E_jjS1G_bEUljE0_EEESZ_S10_S11_S18_S1C_S1E_T6_T7_T9_mT8_S1G_bDpT10_ENKUlT_T0_E_clISt17integral_constantIbLb1EES1U_EEDaS1P_S1Q_EUlS1P_E_NS1_11comp_targetILNS1_3genE5ELNS1_11target_archE942ELNS1_3gpuE9ELNS1_3repE0EEENS1_30default_config_static_selectorELNS0_4arch9wavefront6targetE0EEEvS12_
; %bb.0:
	.section	.rodata,"a",@progbits
	.p2align	6, 0x0
	.amdhsa_kernel _ZN7rocprim17ROCPRIM_400000_NS6detail17trampoline_kernelINS0_13select_configILj256ELj13ELNS0_17block_load_methodE3ELS4_3ELS4_3ELNS0_20block_scan_algorithmE0ELj4294967295EEENS1_25partition_config_selectorILNS1_17partition_subalgoE4EjNS0_10empty_typeEbEEZZNS1_14partition_implILS8_4ELb0ES6_15HIP_vector_typeIjLj2EENS0_17counting_iteratorIjlEEPS9_SG_NS0_5tupleIJPjSI_NS0_16reverse_iteratorISI_EEEEENSH_IJSG_SG_SG_EEES9_SI_JZNS1_25segmented_radix_sort_implINS0_14default_configELb1EPKiPiPKlPlN2at6native12_GLOBAL__N_18offset_tEEE10hipError_tPvRmT1_PNSt15iterator_traitsIS12_E10value_typeET2_T3_PNS13_IS18_E10value_typeET4_jRbjT5_S1E_jjP12ihipStream_tbEUljE_ZNSN_ISO_Lb1ESQ_SR_ST_SU_SY_EESZ_S10_S11_S12_S16_S17_S18_S1B_S1C_jS1D_jS1E_S1E_jjS1G_bEUljE0_EEESZ_S10_S11_S18_S1C_S1E_T6_T7_T9_mT8_S1G_bDpT10_ENKUlT_T0_E_clISt17integral_constantIbLb1EES1U_EEDaS1P_S1Q_EUlS1P_E_NS1_11comp_targetILNS1_3genE5ELNS1_11target_archE942ELNS1_3gpuE9ELNS1_3repE0EEENS1_30default_config_static_selectorELNS0_4arch9wavefront6targetE0EEEvS12_
		.amdhsa_group_segment_fixed_size 0
		.amdhsa_private_segment_fixed_size 0
		.amdhsa_kernarg_size 184
		.amdhsa_user_sgpr_count 15
		.amdhsa_user_sgpr_dispatch_ptr 0
		.amdhsa_user_sgpr_queue_ptr 0
		.amdhsa_user_sgpr_kernarg_segment_ptr 1
		.amdhsa_user_sgpr_dispatch_id 0
		.amdhsa_user_sgpr_private_segment_size 0
		.amdhsa_wavefront_size32 1
		.amdhsa_uses_dynamic_stack 0
		.amdhsa_enable_private_segment 0
		.amdhsa_system_sgpr_workgroup_id_x 1
		.amdhsa_system_sgpr_workgroup_id_y 0
		.amdhsa_system_sgpr_workgroup_id_z 0
		.amdhsa_system_sgpr_workgroup_info 0
		.amdhsa_system_vgpr_workitem_id 0
		.amdhsa_next_free_vgpr 1
		.amdhsa_next_free_sgpr 1
		.amdhsa_reserve_vcc 0
		.amdhsa_float_round_mode_32 0
		.amdhsa_float_round_mode_16_64 0
		.amdhsa_float_denorm_mode_32 3
		.amdhsa_float_denorm_mode_16_64 3
		.amdhsa_dx10_clamp 1
		.amdhsa_ieee_mode 1
		.amdhsa_fp16_overflow 0
		.amdhsa_workgroup_processor_mode 1
		.amdhsa_memory_ordered 1
		.amdhsa_forward_progress 0
		.amdhsa_shared_vgpr_count 0
		.amdhsa_exception_fp_ieee_invalid_op 0
		.amdhsa_exception_fp_denorm_src 0
		.amdhsa_exception_fp_ieee_div_zero 0
		.amdhsa_exception_fp_ieee_overflow 0
		.amdhsa_exception_fp_ieee_underflow 0
		.amdhsa_exception_fp_ieee_inexact 0
		.amdhsa_exception_int_div_zero 0
	.end_amdhsa_kernel
	.section	.text._ZN7rocprim17ROCPRIM_400000_NS6detail17trampoline_kernelINS0_13select_configILj256ELj13ELNS0_17block_load_methodE3ELS4_3ELS4_3ELNS0_20block_scan_algorithmE0ELj4294967295EEENS1_25partition_config_selectorILNS1_17partition_subalgoE4EjNS0_10empty_typeEbEEZZNS1_14partition_implILS8_4ELb0ES6_15HIP_vector_typeIjLj2EENS0_17counting_iteratorIjlEEPS9_SG_NS0_5tupleIJPjSI_NS0_16reverse_iteratorISI_EEEEENSH_IJSG_SG_SG_EEES9_SI_JZNS1_25segmented_radix_sort_implINS0_14default_configELb1EPKiPiPKlPlN2at6native12_GLOBAL__N_18offset_tEEE10hipError_tPvRmT1_PNSt15iterator_traitsIS12_E10value_typeET2_T3_PNS13_IS18_E10value_typeET4_jRbjT5_S1E_jjP12ihipStream_tbEUljE_ZNSN_ISO_Lb1ESQ_SR_ST_SU_SY_EESZ_S10_S11_S12_S16_S17_S18_S1B_S1C_jS1D_jS1E_S1E_jjS1G_bEUljE0_EEESZ_S10_S11_S18_S1C_S1E_T6_T7_T9_mT8_S1G_bDpT10_ENKUlT_T0_E_clISt17integral_constantIbLb1EES1U_EEDaS1P_S1Q_EUlS1P_E_NS1_11comp_targetILNS1_3genE5ELNS1_11target_archE942ELNS1_3gpuE9ELNS1_3repE0EEENS1_30default_config_static_selectorELNS0_4arch9wavefront6targetE0EEEvS12_,"axG",@progbits,_ZN7rocprim17ROCPRIM_400000_NS6detail17trampoline_kernelINS0_13select_configILj256ELj13ELNS0_17block_load_methodE3ELS4_3ELS4_3ELNS0_20block_scan_algorithmE0ELj4294967295EEENS1_25partition_config_selectorILNS1_17partition_subalgoE4EjNS0_10empty_typeEbEEZZNS1_14partition_implILS8_4ELb0ES6_15HIP_vector_typeIjLj2EENS0_17counting_iteratorIjlEEPS9_SG_NS0_5tupleIJPjSI_NS0_16reverse_iteratorISI_EEEEENSH_IJSG_SG_SG_EEES9_SI_JZNS1_25segmented_radix_sort_implINS0_14default_configELb1EPKiPiPKlPlN2at6native12_GLOBAL__N_18offset_tEEE10hipError_tPvRmT1_PNSt15iterator_traitsIS12_E10value_typeET2_T3_PNS13_IS18_E10value_typeET4_jRbjT5_S1E_jjP12ihipStream_tbEUljE_ZNSN_ISO_Lb1ESQ_SR_ST_SU_SY_EESZ_S10_S11_S12_S16_S17_S18_S1B_S1C_jS1D_jS1E_S1E_jjS1G_bEUljE0_EEESZ_S10_S11_S18_S1C_S1E_T6_T7_T9_mT8_S1G_bDpT10_ENKUlT_T0_E_clISt17integral_constantIbLb1EES1U_EEDaS1P_S1Q_EUlS1P_E_NS1_11comp_targetILNS1_3genE5ELNS1_11target_archE942ELNS1_3gpuE9ELNS1_3repE0EEENS1_30default_config_static_selectorELNS0_4arch9wavefront6targetE0EEEvS12_,comdat
.Lfunc_end442:
	.size	_ZN7rocprim17ROCPRIM_400000_NS6detail17trampoline_kernelINS0_13select_configILj256ELj13ELNS0_17block_load_methodE3ELS4_3ELS4_3ELNS0_20block_scan_algorithmE0ELj4294967295EEENS1_25partition_config_selectorILNS1_17partition_subalgoE4EjNS0_10empty_typeEbEEZZNS1_14partition_implILS8_4ELb0ES6_15HIP_vector_typeIjLj2EENS0_17counting_iteratorIjlEEPS9_SG_NS0_5tupleIJPjSI_NS0_16reverse_iteratorISI_EEEEENSH_IJSG_SG_SG_EEES9_SI_JZNS1_25segmented_radix_sort_implINS0_14default_configELb1EPKiPiPKlPlN2at6native12_GLOBAL__N_18offset_tEEE10hipError_tPvRmT1_PNSt15iterator_traitsIS12_E10value_typeET2_T3_PNS13_IS18_E10value_typeET4_jRbjT5_S1E_jjP12ihipStream_tbEUljE_ZNSN_ISO_Lb1ESQ_SR_ST_SU_SY_EESZ_S10_S11_S12_S16_S17_S18_S1B_S1C_jS1D_jS1E_S1E_jjS1G_bEUljE0_EEESZ_S10_S11_S18_S1C_S1E_T6_T7_T9_mT8_S1G_bDpT10_ENKUlT_T0_E_clISt17integral_constantIbLb1EES1U_EEDaS1P_S1Q_EUlS1P_E_NS1_11comp_targetILNS1_3genE5ELNS1_11target_archE942ELNS1_3gpuE9ELNS1_3repE0EEENS1_30default_config_static_selectorELNS0_4arch9wavefront6targetE0EEEvS12_, .Lfunc_end442-_ZN7rocprim17ROCPRIM_400000_NS6detail17trampoline_kernelINS0_13select_configILj256ELj13ELNS0_17block_load_methodE3ELS4_3ELS4_3ELNS0_20block_scan_algorithmE0ELj4294967295EEENS1_25partition_config_selectorILNS1_17partition_subalgoE4EjNS0_10empty_typeEbEEZZNS1_14partition_implILS8_4ELb0ES6_15HIP_vector_typeIjLj2EENS0_17counting_iteratorIjlEEPS9_SG_NS0_5tupleIJPjSI_NS0_16reverse_iteratorISI_EEEEENSH_IJSG_SG_SG_EEES9_SI_JZNS1_25segmented_radix_sort_implINS0_14default_configELb1EPKiPiPKlPlN2at6native12_GLOBAL__N_18offset_tEEE10hipError_tPvRmT1_PNSt15iterator_traitsIS12_E10value_typeET2_T3_PNS13_IS18_E10value_typeET4_jRbjT5_S1E_jjP12ihipStream_tbEUljE_ZNSN_ISO_Lb1ESQ_SR_ST_SU_SY_EESZ_S10_S11_S12_S16_S17_S18_S1B_S1C_jS1D_jS1E_S1E_jjS1G_bEUljE0_EEESZ_S10_S11_S18_S1C_S1E_T6_T7_T9_mT8_S1G_bDpT10_ENKUlT_T0_E_clISt17integral_constantIbLb1EES1U_EEDaS1P_S1Q_EUlS1P_E_NS1_11comp_targetILNS1_3genE5ELNS1_11target_archE942ELNS1_3gpuE9ELNS1_3repE0EEENS1_30default_config_static_selectorELNS0_4arch9wavefront6targetE0EEEvS12_
                                        ; -- End function
	.section	.AMDGPU.csdata,"",@progbits
; Kernel info:
; codeLenInByte = 0
; NumSgprs: 0
; NumVgprs: 0
; ScratchSize: 0
; MemoryBound: 0
; FloatMode: 240
; IeeeMode: 1
; LDSByteSize: 0 bytes/workgroup (compile time only)
; SGPRBlocks: 0
; VGPRBlocks: 0
; NumSGPRsForWavesPerEU: 1
; NumVGPRsForWavesPerEU: 1
; Occupancy: 16
; WaveLimiterHint : 0
; COMPUTE_PGM_RSRC2:SCRATCH_EN: 0
; COMPUTE_PGM_RSRC2:USER_SGPR: 15
; COMPUTE_PGM_RSRC2:TRAP_HANDLER: 0
; COMPUTE_PGM_RSRC2:TGID_X_EN: 1
; COMPUTE_PGM_RSRC2:TGID_Y_EN: 0
; COMPUTE_PGM_RSRC2:TGID_Z_EN: 0
; COMPUTE_PGM_RSRC2:TIDIG_COMP_CNT: 0
	.section	.text._ZN7rocprim17ROCPRIM_400000_NS6detail17trampoline_kernelINS0_13select_configILj256ELj13ELNS0_17block_load_methodE3ELS4_3ELS4_3ELNS0_20block_scan_algorithmE0ELj4294967295EEENS1_25partition_config_selectorILNS1_17partition_subalgoE4EjNS0_10empty_typeEbEEZZNS1_14partition_implILS8_4ELb0ES6_15HIP_vector_typeIjLj2EENS0_17counting_iteratorIjlEEPS9_SG_NS0_5tupleIJPjSI_NS0_16reverse_iteratorISI_EEEEENSH_IJSG_SG_SG_EEES9_SI_JZNS1_25segmented_radix_sort_implINS0_14default_configELb1EPKiPiPKlPlN2at6native12_GLOBAL__N_18offset_tEEE10hipError_tPvRmT1_PNSt15iterator_traitsIS12_E10value_typeET2_T3_PNS13_IS18_E10value_typeET4_jRbjT5_S1E_jjP12ihipStream_tbEUljE_ZNSN_ISO_Lb1ESQ_SR_ST_SU_SY_EESZ_S10_S11_S12_S16_S17_S18_S1B_S1C_jS1D_jS1E_S1E_jjS1G_bEUljE0_EEESZ_S10_S11_S18_S1C_S1E_T6_T7_T9_mT8_S1G_bDpT10_ENKUlT_T0_E_clISt17integral_constantIbLb1EES1U_EEDaS1P_S1Q_EUlS1P_E_NS1_11comp_targetILNS1_3genE4ELNS1_11target_archE910ELNS1_3gpuE8ELNS1_3repE0EEENS1_30default_config_static_selectorELNS0_4arch9wavefront6targetE0EEEvS12_,"axG",@progbits,_ZN7rocprim17ROCPRIM_400000_NS6detail17trampoline_kernelINS0_13select_configILj256ELj13ELNS0_17block_load_methodE3ELS4_3ELS4_3ELNS0_20block_scan_algorithmE0ELj4294967295EEENS1_25partition_config_selectorILNS1_17partition_subalgoE4EjNS0_10empty_typeEbEEZZNS1_14partition_implILS8_4ELb0ES6_15HIP_vector_typeIjLj2EENS0_17counting_iteratorIjlEEPS9_SG_NS0_5tupleIJPjSI_NS0_16reverse_iteratorISI_EEEEENSH_IJSG_SG_SG_EEES9_SI_JZNS1_25segmented_radix_sort_implINS0_14default_configELb1EPKiPiPKlPlN2at6native12_GLOBAL__N_18offset_tEEE10hipError_tPvRmT1_PNSt15iterator_traitsIS12_E10value_typeET2_T3_PNS13_IS18_E10value_typeET4_jRbjT5_S1E_jjP12ihipStream_tbEUljE_ZNSN_ISO_Lb1ESQ_SR_ST_SU_SY_EESZ_S10_S11_S12_S16_S17_S18_S1B_S1C_jS1D_jS1E_S1E_jjS1G_bEUljE0_EEESZ_S10_S11_S18_S1C_S1E_T6_T7_T9_mT8_S1G_bDpT10_ENKUlT_T0_E_clISt17integral_constantIbLb1EES1U_EEDaS1P_S1Q_EUlS1P_E_NS1_11comp_targetILNS1_3genE4ELNS1_11target_archE910ELNS1_3gpuE8ELNS1_3repE0EEENS1_30default_config_static_selectorELNS0_4arch9wavefront6targetE0EEEvS12_,comdat
	.globl	_ZN7rocprim17ROCPRIM_400000_NS6detail17trampoline_kernelINS0_13select_configILj256ELj13ELNS0_17block_load_methodE3ELS4_3ELS4_3ELNS0_20block_scan_algorithmE0ELj4294967295EEENS1_25partition_config_selectorILNS1_17partition_subalgoE4EjNS0_10empty_typeEbEEZZNS1_14partition_implILS8_4ELb0ES6_15HIP_vector_typeIjLj2EENS0_17counting_iteratorIjlEEPS9_SG_NS0_5tupleIJPjSI_NS0_16reverse_iteratorISI_EEEEENSH_IJSG_SG_SG_EEES9_SI_JZNS1_25segmented_radix_sort_implINS0_14default_configELb1EPKiPiPKlPlN2at6native12_GLOBAL__N_18offset_tEEE10hipError_tPvRmT1_PNSt15iterator_traitsIS12_E10value_typeET2_T3_PNS13_IS18_E10value_typeET4_jRbjT5_S1E_jjP12ihipStream_tbEUljE_ZNSN_ISO_Lb1ESQ_SR_ST_SU_SY_EESZ_S10_S11_S12_S16_S17_S18_S1B_S1C_jS1D_jS1E_S1E_jjS1G_bEUljE0_EEESZ_S10_S11_S18_S1C_S1E_T6_T7_T9_mT8_S1G_bDpT10_ENKUlT_T0_E_clISt17integral_constantIbLb1EES1U_EEDaS1P_S1Q_EUlS1P_E_NS1_11comp_targetILNS1_3genE4ELNS1_11target_archE910ELNS1_3gpuE8ELNS1_3repE0EEENS1_30default_config_static_selectorELNS0_4arch9wavefront6targetE0EEEvS12_ ; -- Begin function _ZN7rocprim17ROCPRIM_400000_NS6detail17trampoline_kernelINS0_13select_configILj256ELj13ELNS0_17block_load_methodE3ELS4_3ELS4_3ELNS0_20block_scan_algorithmE0ELj4294967295EEENS1_25partition_config_selectorILNS1_17partition_subalgoE4EjNS0_10empty_typeEbEEZZNS1_14partition_implILS8_4ELb0ES6_15HIP_vector_typeIjLj2EENS0_17counting_iteratorIjlEEPS9_SG_NS0_5tupleIJPjSI_NS0_16reverse_iteratorISI_EEEEENSH_IJSG_SG_SG_EEES9_SI_JZNS1_25segmented_radix_sort_implINS0_14default_configELb1EPKiPiPKlPlN2at6native12_GLOBAL__N_18offset_tEEE10hipError_tPvRmT1_PNSt15iterator_traitsIS12_E10value_typeET2_T3_PNS13_IS18_E10value_typeET4_jRbjT5_S1E_jjP12ihipStream_tbEUljE_ZNSN_ISO_Lb1ESQ_SR_ST_SU_SY_EESZ_S10_S11_S12_S16_S17_S18_S1B_S1C_jS1D_jS1E_S1E_jjS1G_bEUljE0_EEESZ_S10_S11_S18_S1C_S1E_T6_T7_T9_mT8_S1G_bDpT10_ENKUlT_T0_E_clISt17integral_constantIbLb1EES1U_EEDaS1P_S1Q_EUlS1P_E_NS1_11comp_targetILNS1_3genE4ELNS1_11target_archE910ELNS1_3gpuE8ELNS1_3repE0EEENS1_30default_config_static_selectorELNS0_4arch9wavefront6targetE0EEEvS12_
	.p2align	8
	.type	_ZN7rocprim17ROCPRIM_400000_NS6detail17trampoline_kernelINS0_13select_configILj256ELj13ELNS0_17block_load_methodE3ELS4_3ELS4_3ELNS0_20block_scan_algorithmE0ELj4294967295EEENS1_25partition_config_selectorILNS1_17partition_subalgoE4EjNS0_10empty_typeEbEEZZNS1_14partition_implILS8_4ELb0ES6_15HIP_vector_typeIjLj2EENS0_17counting_iteratorIjlEEPS9_SG_NS0_5tupleIJPjSI_NS0_16reverse_iteratorISI_EEEEENSH_IJSG_SG_SG_EEES9_SI_JZNS1_25segmented_radix_sort_implINS0_14default_configELb1EPKiPiPKlPlN2at6native12_GLOBAL__N_18offset_tEEE10hipError_tPvRmT1_PNSt15iterator_traitsIS12_E10value_typeET2_T3_PNS13_IS18_E10value_typeET4_jRbjT5_S1E_jjP12ihipStream_tbEUljE_ZNSN_ISO_Lb1ESQ_SR_ST_SU_SY_EESZ_S10_S11_S12_S16_S17_S18_S1B_S1C_jS1D_jS1E_S1E_jjS1G_bEUljE0_EEESZ_S10_S11_S18_S1C_S1E_T6_T7_T9_mT8_S1G_bDpT10_ENKUlT_T0_E_clISt17integral_constantIbLb1EES1U_EEDaS1P_S1Q_EUlS1P_E_NS1_11comp_targetILNS1_3genE4ELNS1_11target_archE910ELNS1_3gpuE8ELNS1_3repE0EEENS1_30default_config_static_selectorELNS0_4arch9wavefront6targetE0EEEvS12_,@function
_ZN7rocprim17ROCPRIM_400000_NS6detail17trampoline_kernelINS0_13select_configILj256ELj13ELNS0_17block_load_methodE3ELS4_3ELS4_3ELNS0_20block_scan_algorithmE0ELj4294967295EEENS1_25partition_config_selectorILNS1_17partition_subalgoE4EjNS0_10empty_typeEbEEZZNS1_14partition_implILS8_4ELb0ES6_15HIP_vector_typeIjLj2EENS0_17counting_iteratorIjlEEPS9_SG_NS0_5tupleIJPjSI_NS0_16reverse_iteratorISI_EEEEENSH_IJSG_SG_SG_EEES9_SI_JZNS1_25segmented_radix_sort_implINS0_14default_configELb1EPKiPiPKlPlN2at6native12_GLOBAL__N_18offset_tEEE10hipError_tPvRmT1_PNSt15iterator_traitsIS12_E10value_typeET2_T3_PNS13_IS18_E10value_typeET4_jRbjT5_S1E_jjP12ihipStream_tbEUljE_ZNSN_ISO_Lb1ESQ_SR_ST_SU_SY_EESZ_S10_S11_S12_S16_S17_S18_S1B_S1C_jS1D_jS1E_S1E_jjS1G_bEUljE0_EEESZ_S10_S11_S18_S1C_S1E_T6_T7_T9_mT8_S1G_bDpT10_ENKUlT_T0_E_clISt17integral_constantIbLb1EES1U_EEDaS1P_S1Q_EUlS1P_E_NS1_11comp_targetILNS1_3genE4ELNS1_11target_archE910ELNS1_3gpuE8ELNS1_3repE0EEENS1_30default_config_static_selectorELNS0_4arch9wavefront6targetE0EEEvS12_: ; @_ZN7rocprim17ROCPRIM_400000_NS6detail17trampoline_kernelINS0_13select_configILj256ELj13ELNS0_17block_load_methodE3ELS4_3ELS4_3ELNS0_20block_scan_algorithmE0ELj4294967295EEENS1_25partition_config_selectorILNS1_17partition_subalgoE4EjNS0_10empty_typeEbEEZZNS1_14partition_implILS8_4ELb0ES6_15HIP_vector_typeIjLj2EENS0_17counting_iteratorIjlEEPS9_SG_NS0_5tupleIJPjSI_NS0_16reverse_iteratorISI_EEEEENSH_IJSG_SG_SG_EEES9_SI_JZNS1_25segmented_radix_sort_implINS0_14default_configELb1EPKiPiPKlPlN2at6native12_GLOBAL__N_18offset_tEEE10hipError_tPvRmT1_PNSt15iterator_traitsIS12_E10value_typeET2_T3_PNS13_IS18_E10value_typeET4_jRbjT5_S1E_jjP12ihipStream_tbEUljE_ZNSN_ISO_Lb1ESQ_SR_ST_SU_SY_EESZ_S10_S11_S12_S16_S17_S18_S1B_S1C_jS1D_jS1E_S1E_jjS1G_bEUljE0_EEESZ_S10_S11_S18_S1C_S1E_T6_T7_T9_mT8_S1G_bDpT10_ENKUlT_T0_E_clISt17integral_constantIbLb1EES1U_EEDaS1P_S1Q_EUlS1P_E_NS1_11comp_targetILNS1_3genE4ELNS1_11target_archE910ELNS1_3gpuE8ELNS1_3repE0EEENS1_30default_config_static_selectorELNS0_4arch9wavefront6targetE0EEEvS12_
; %bb.0:
	.section	.rodata,"a",@progbits
	.p2align	6, 0x0
	.amdhsa_kernel _ZN7rocprim17ROCPRIM_400000_NS6detail17trampoline_kernelINS0_13select_configILj256ELj13ELNS0_17block_load_methodE3ELS4_3ELS4_3ELNS0_20block_scan_algorithmE0ELj4294967295EEENS1_25partition_config_selectorILNS1_17partition_subalgoE4EjNS0_10empty_typeEbEEZZNS1_14partition_implILS8_4ELb0ES6_15HIP_vector_typeIjLj2EENS0_17counting_iteratorIjlEEPS9_SG_NS0_5tupleIJPjSI_NS0_16reverse_iteratorISI_EEEEENSH_IJSG_SG_SG_EEES9_SI_JZNS1_25segmented_radix_sort_implINS0_14default_configELb1EPKiPiPKlPlN2at6native12_GLOBAL__N_18offset_tEEE10hipError_tPvRmT1_PNSt15iterator_traitsIS12_E10value_typeET2_T3_PNS13_IS18_E10value_typeET4_jRbjT5_S1E_jjP12ihipStream_tbEUljE_ZNSN_ISO_Lb1ESQ_SR_ST_SU_SY_EESZ_S10_S11_S12_S16_S17_S18_S1B_S1C_jS1D_jS1E_S1E_jjS1G_bEUljE0_EEESZ_S10_S11_S18_S1C_S1E_T6_T7_T9_mT8_S1G_bDpT10_ENKUlT_T0_E_clISt17integral_constantIbLb1EES1U_EEDaS1P_S1Q_EUlS1P_E_NS1_11comp_targetILNS1_3genE4ELNS1_11target_archE910ELNS1_3gpuE8ELNS1_3repE0EEENS1_30default_config_static_selectorELNS0_4arch9wavefront6targetE0EEEvS12_
		.amdhsa_group_segment_fixed_size 0
		.amdhsa_private_segment_fixed_size 0
		.amdhsa_kernarg_size 184
		.amdhsa_user_sgpr_count 15
		.amdhsa_user_sgpr_dispatch_ptr 0
		.amdhsa_user_sgpr_queue_ptr 0
		.amdhsa_user_sgpr_kernarg_segment_ptr 1
		.amdhsa_user_sgpr_dispatch_id 0
		.amdhsa_user_sgpr_private_segment_size 0
		.amdhsa_wavefront_size32 1
		.amdhsa_uses_dynamic_stack 0
		.amdhsa_enable_private_segment 0
		.amdhsa_system_sgpr_workgroup_id_x 1
		.amdhsa_system_sgpr_workgroup_id_y 0
		.amdhsa_system_sgpr_workgroup_id_z 0
		.amdhsa_system_sgpr_workgroup_info 0
		.amdhsa_system_vgpr_workitem_id 0
		.amdhsa_next_free_vgpr 1
		.amdhsa_next_free_sgpr 1
		.amdhsa_reserve_vcc 0
		.amdhsa_float_round_mode_32 0
		.amdhsa_float_round_mode_16_64 0
		.amdhsa_float_denorm_mode_32 3
		.amdhsa_float_denorm_mode_16_64 3
		.amdhsa_dx10_clamp 1
		.amdhsa_ieee_mode 1
		.amdhsa_fp16_overflow 0
		.amdhsa_workgroup_processor_mode 1
		.amdhsa_memory_ordered 1
		.amdhsa_forward_progress 0
		.amdhsa_shared_vgpr_count 0
		.amdhsa_exception_fp_ieee_invalid_op 0
		.amdhsa_exception_fp_denorm_src 0
		.amdhsa_exception_fp_ieee_div_zero 0
		.amdhsa_exception_fp_ieee_overflow 0
		.amdhsa_exception_fp_ieee_underflow 0
		.amdhsa_exception_fp_ieee_inexact 0
		.amdhsa_exception_int_div_zero 0
	.end_amdhsa_kernel
	.section	.text._ZN7rocprim17ROCPRIM_400000_NS6detail17trampoline_kernelINS0_13select_configILj256ELj13ELNS0_17block_load_methodE3ELS4_3ELS4_3ELNS0_20block_scan_algorithmE0ELj4294967295EEENS1_25partition_config_selectorILNS1_17partition_subalgoE4EjNS0_10empty_typeEbEEZZNS1_14partition_implILS8_4ELb0ES6_15HIP_vector_typeIjLj2EENS0_17counting_iteratorIjlEEPS9_SG_NS0_5tupleIJPjSI_NS0_16reverse_iteratorISI_EEEEENSH_IJSG_SG_SG_EEES9_SI_JZNS1_25segmented_radix_sort_implINS0_14default_configELb1EPKiPiPKlPlN2at6native12_GLOBAL__N_18offset_tEEE10hipError_tPvRmT1_PNSt15iterator_traitsIS12_E10value_typeET2_T3_PNS13_IS18_E10value_typeET4_jRbjT5_S1E_jjP12ihipStream_tbEUljE_ZNSN_ISO_Lb1ESQ_SR_ST_SU_SY_EESZ_S10_S11_S12_S16_S17_S18_S1B_S1C_jS1D_jS1E_S1E_jjS1G_bEUljE0_EEESZ_S10_S11_S18_S1C_S1E_T6_T7_T9_mT8_S1G_bDpT10_ENKUlT_T0_E_clISt17integral_constantIbLb1EES1U_EEDaS1P_S1Q_EUlS1P_E_NS1_11comp_targetILNS1_3genE4ELNS1_11target_archE910ELNS1_3gpuE8ELNS1_3repE0EEENS1_30default_config_static_selectorELNS0_4arch9wavefront6targetE0EEEvS12_,"axG",@progbits,_ZN7rocprim17ROCPRIM_400000_NS6detail17trampoline_kernelINS0_13select_configILj256ELj13ELNS0_17block_load_methodE3ELS4_3ELS4_3ELNS0_20block_scan_algorithmE0ELj4294967295EEENS1_25partition_config_selectorILNS1_17partition_subalgoE4EjNS0_10empty_typeEbEEZZNS1_14partition_implILS8_4ELb0ES6_15HIP_vector_typeIjLj2EENS0_17counting_iteratorIjlEEPS9_SG_NS0_5tupleIJPjSI_NS0_16reverse_iteratorISI_EEEEENSH_IJSG_SG_SG_EEES9_SI_JZNS1_25segmented_radix_sort_implINS0_14default_configELb1EPKiPiPKlPlN2at6native12_GLOBAL__N_18offset_tEEE10hipError_tPvRmT1_PNSt15iterator_traitsIS12_E10value_typeET2_T3_PNS13_IS18_E10value_typeET4_jRbjT5_S1E_jjP12ihipStream_tbEUljE_ZNSN_ISO_Lb1ESQ_SR_ST_SU_SY_EESZ_S10_S11_S12_S16_S17_S18_S1B_S1C_jS1D_jS1E_S1E_jjS1G_bEUljE0_EEESZ_S10_S11_S18_S1C_S1E_T6_T7_T9_mT8_S1G_bDpT10_ENKUlT_T0_E_clISt17integral_constantIbLb1EES1U_EEDaS1P_S1Q_EUlS1P_E_NS1_11comp_targetILNS1_3genE4ELNS1_11target_archE910ELNS1_3gpuE8ELNS1_3repE0EEENS1_30default_config_static_selectorELNS0_4arch9wavefront6targetE0EEEvS12_,comdat
.Lfunc_end443:
	.size	_ZN7rocprim17ROCPRIM_400000_NS6detail17trampoline_kernelINS0_13select_configILj256ELj13ELNS0_17block_load_methodE3ELS4_3ELS4_3ELNS0_20block_scan_algorithmE0ELj4294967295EEENS1_25partition_config_selectorILNS1_17partition_subalgoE4EjNS0_10empty_typeEbEEZZNS1_14partition_implILS8_4ELb0ES6_15HIP_vector_typeIjLj2EENS0_17counting_iteratorIjlEEPS9_SG_NS0_5tupleIJPjSI_NS0_16reverse_iteratorISI_EEEEENSH_IJSG_SG_SG_EEES9_SI_JZNS1_25segmented_radix_sort_implINS0_14default_configELb1EPKiPiPKlPlN2at6native12_GLOBAL__N_18offset_tEEE10hipError_tPvRmT1_PNSt15iterator_traitsIS12_E10value_typeET2_T3_PNS13_IS18_E10value_typeET4_jRbjT5_S1E_jjP12ihipStream_tbEUljE_ZNSN_ISO_Lb1ESQ_SR_ST_SU_SY_EESZ_S10_S11_S12_S16_S17_S18_S1B_S1C_jS1D_jS1E_S1E_jjS1G_bEUljE0_EEESZ_S10_S11_S18_S1C_S1E_T6_T7_T9_mT8_S1G_bDpT10_ENKUlT_T0_E_clISt17integral_constantIbLb1EES1U_EEDaS1P_S1Q_EUlS1P_E_NS1_11comp_targetILNS1_3genE4ELNS1_11target_archE910ELNS1_3gpuE8ELNS1_3repE0EEENS1_30default_config_static_selectorELNS0_4arch9wavefront6targetE0EEEvS12_, .Lfunc_end443-_ZN7rocprim17ROCPRIM_400000_NS6detail17trampoline_kernelINS0_13select_configILj256ELj13ELNS0_17block_load_methodE3ELS4_3ELS4_3ELNS0_20block_scan_algorithmE0ELj4294967295EEENS1_25partition_config_selectorILNS1_17partition_subalgoE4EjNS0_10empty_typeEbEEZZNS1_14partition_implILS8_4ELb0ES6_15HIP_vector_typeIjLj2EENS0_17counting_iteratorIjlEEPS9_SG_NS0_5tupleIJPjSI_NS0_16reverse_iteratorISI_EEEEENSH_IJSG_SG_SG_EEES9_SI_JZNS1_25segmented_radix_sort_implINS0_14default_configELb1EPKiPiPKlPlN2at6native12_GLOBAL__N_18offset_tEEE10hipError_tPvRmT1_PNSt15iterator_traitsIS12_E10value_typeET2_T3_PNS13_IS18_E10value_typeET4_jRbjT5_S1E_jjP12ihipStream_tbEUljE_ZNSN_ISO_Lb1ESQ_SR_ST_SU_SY_EESZ_S10_S11_S12_S16_S17_S18_S1B_S1C_jS1D_jS1E_S1E_jjS1G_bEUljE0_EEESZ_S10_S11_S18_S1C_S1E_T6_T7_T9_mT8_S1G_bDpT10_ENKUlT_T0_E_clISt17integral_constantIbLb1EES1U_EEDaS1P_S1Q_EUlS1P_E_NS1_11comp_targetILNS1_3genE4ELNS1_11target_archE910ELNS1_3gpuE8ELNS1_3repE0EEENS1_30default_config_static_selectorELNS0_4arch9wavefront6targetE0EEEvS12_
                                        ; -- End function
	.section	.AMDGPU.csdata,"",@progbits
; Kernel info:
; codeLenInByte = 0
; NumSgprs: 0
; NumVgprs: 0
; ScratchSize: 0
; MemoryBound: 0
; FloatMode: 240
; IeeeMode: 1
; LDSByteSize: 0 bytes/workgroup (compile time only)
; SGPRBlocks: 0
; VGPRBlocks: 0
; NumSGPRsForWavesPerEU: 1
; NumVGPRsForWavesPerEU: 1
; Occupancy: 16
; WaveLimiterHint : 0
; COMPUTE_PGM_RSRC2:SCRATCH_EN: 0
; COMPUTE_PGM_RSRC2:USER_SGPR: 15
; COMPUTE_PGM_RSRC2:TRAP_HANDLER: 0
; COMPUTE_PGM_RSRC2:TGID_X_EN: 1
; COMPUTE_PGM_RSRC2:TGID_Y_EN: 0
; COMPUTE_PGM_RSRC2:TGID_Z_EN: 0
; COMPUTE_PGM_RSRC2:TIDIG_COMP_CNT: 0
	.section	.text._ZN7rocprim17ROCPRIM_400000_NS6detail17trampoline_kernelINS0_13select_configILj256ELj13ELNS0_17block_load_methodE3ELS4_3ELS4_3ELNS0_20block_scan_algorithmE0ELj4294967295EEENS1_25partition_config_selectorILNS1_17partition_subalgoE4EjNS0_10empty_typeEbEEZZNS1_14partition_implILS8_4ELb0ES6_15HIP_vector_typeIjLj2EENS0_17counting_iteratorIjlEEPS9_SG_NS0_5tupleIJPjSI_NS0_16reverse_iteratorISI_EEEEENSH_IJSG_SG_SG_EEES9_SI_JZNS1_25segmented_radix_sort_implINS0_14default_configELb1EPKiPiPKlPlN2at6native12_GLOBAL__N_18offset_tEEE10hipError_tPvRmT1_PNSt15iterator_traitsIS12_E10value_typeET2_T3_PNS13_IS18_E10value_typeET4_jRbjT5_S1E_jjP12ihipStream_tbEUljE_ZNSN_ISO_Lb1ESQ_SR_ST_SU_SY_EESZ_S10_S11_S12_S16_S17_S18_S1B_S1C_jS1D_jS1E_S1E_jjS1G_bEUljE0_EEESZ_S10_S11_S18_S1C_S1E_T6_T7_T9_mT8_S1G_bDpT10_ENKUlT_T0_E_clISt17integral_constantIbLb1EES1U_EEDaS1P_S1Q_EUlS1P_E_NS1_11comp_targetILNS1_3genE3ELNS1_11target_archE908ELNS1_3gpuE7ELNS1_3repE0EEENS1_30default_config_static_selectorELNS0_4arch9wavefront6targetE0EEEvS12_,"axG",@progbits,_ZN7rocprim17ROCPRIM_400000_NS6detail17trampoline_kernelINS0_13select_configILj256ELj13ELNS0_17block_load_methodE3ELS4_3ELS4_3ELNS0_20block_scan_algorithmE0ELj4294967295EEENS1_25partition_config_selectorILNS1_17partition_subalgoE4EjNS0_10empty_typeEbEEZZNS1_14partition_implILS8_4ELb0ES6_15HIP_vector_typeIjLj2EENS0_17counting_iteratorIjlEEPS9_SG_NS0_5tupleIJPjSI_NS0_16reverse_iteratorISI_EEEEENSH_IJSG_SG_SG_EEES9_SI_JZNS1_25segmented_radix_sort_implINS0_14default_configELb1EPKiPiPKlPlN2at6native12_GLOBAL__N_18offset_tEEE10hipError_tPvRmT1_PNSt15iterator_traitsIS12_E10value_typeET2_T3_PNS13_IS18_E10value_typeET4_jRbjT5_S1E_jjP12ihipStream_tbEUljE_ZNSN_ISO_Lb1ESQ_SR_ST_SU_SY_EESZ_S10_S11_S12_S16_S17_S18_S1B_S1C_jS1D_jS1E_S1E_jjS1G_bEUljE0_EEESZ_S10_S11_S18_S1C_S1E_T6_T7_T9_mT8_S1G_bDpT10_ENKUlT_T0_E_clISt17integral_constantIbLb1EES1U_EEDaS1P_S1Q_EUlS1P_E_NS1_11comp_targetILNS1_3genE3ELNS1_11target_archE908ELNS1_3gpuE7ELNS1_3repE0EEENS1_30default_config_static_selectorELNS0_4arch9wavefront6targetE0EEEvS12_,comdat
	.globl	_ZN7rocprim17ROCPRIM_400000_NS6detail17trampoline_kernelINS0_13select_configILj256ELj13ELNS0_17block_load_methodE3ELS4_3ELS4_3ELNS0_20block_scan_algorithmE0ELj4294967295EEENS1_25partition_config_selectorILNS1_17partition_subalgoE4EjNS0_10empty_typeEbEEZZNS1_14partition_implILS8_4ELb0ES6_15HIP_vector_typeIjLj2EENS0_17counting_iteratorIjlEEPS9_SG_NS0_5tupleIJPjSI_NS0_16reverse_iteratorISI_EEEEENSH_IJSG_SG_SG_EEES9_SI_JZNS1_25segmented_radix_sort_implINS0_14default_configELb1EPKiPiPKlPlN2at6native12_GLOBAL__N_18offset_tEEE10hipError_tPvRmT1_PNSt15iterator_traitsIS12_E10value_typeET2_T3_PNS13_IS18_E10value_typeET4_jRbjT5_S1E_jjP12ihipStream_tbEUljE_ZNSN_ISO_Lb1ESQ_SR_ST_SU_SY_EESZ_S10_S11_S12_S16_S17_S18_S1B_S1C_jS1D_jS1E_S1E_jjS1G_bEUljE0_EEESZ_S10_S11_S18_S1C_S1E_T6_T7_T9_mT8_S1G_bDpT10_ENKUlT_T0_E_clISt17integral_constantIbLb1EES1U_EEDaS1P_S1Q_EUlS1P_E_NS1_11comp_targetILNS1_3genE3ELNS1_11target_archE908ELNS1_3gpuE7ELNS1_3repE0EEENS1_30default_config_static_selectorELNS0_4arch9wavefront6targetE0EEEvS12_ ; -- Begin function _ZN7rocprim17ROCPRIM_400000_NS6detail17trampoline_kernelINS0_13select_configILj256ELj13ELNS0_17block_load_methodE3ELS4_3ELS4_3ELNS0_20block_scan_algorithmE0ELj4294967295EEENS1_25partition_config_selectorILNS1_17partition_subalgoE4EjNS0_10empty_typeEbEEZZNS1_14partition_implILS8_4ELb0ES6_15HIP_vector_typeIjLj2EENS0_17counting_iteratorIjlEEPS9_SG_NS0_5tupleIJPjSI_NS0_16reverse_iteratorISI_EEEEENSH_IJSG_SG_SG_EEES9_SI_JZNS1_25segmented_radix_sort_implINS0_14default_configELb1EPKiPiPKlPlN2at6native12_GLOBAL__N_18offset_tEEE10hipError_tPvRmT1_PNSt15iterator_traitsIS12_E10value_typeET2_T3_PNS13_IS18_E10value_typeET4_jRbjT5_S1E_jjP12ihipStream_tbEUljE_ZNSN_ISO_Lb1ESQ_SR_ST_SU_SY_EESZ_S10_S11_S12_S16_S17_S18_S1B_S1C_jS1D_jS1E_S1E_jjS1G_bEUljE0_EEESZ_S10_S11_S18_S1C_S1E_T6_T7_T9_mT8_S1G_bDpT10_ENKUlT_T0_E_clISt17integral_constantIbLb1EES1U_EEDaS1P_S1Q_EUlS1P_E_NS1_11comp_targetILNS1_3genE3ELNS1_11target_archE908ELNS1_3gpuE7ELNS1_3repE0EEENS1_30default_config_static_selectorELNS0_4arch9wavefront6targetE0EEEvS12_
	.p2align	8
	.type	_ZN7rocprim17ROCPRIM_400000_NS6detail17trampoline_kernelINS0_13select_configILj256ELj13ELNS0_17block_load_methodE3ELS4_3ELS4_3ELNS0_20block_scan_algorithmE0ELj4294967295EEENS1_25partition_config_selectorILNS1_17partition_subalgoE4EjNS0_10empty_typeEbEEZZNS1_14partition_implILS8_4ELb0ES6_15HIP_vector_typeIjLj2EENS0_17counting_iteratorIjlEEPS9_SG_NS0_5tupleIJPjSI_NS0_16reverse_iteratorISI_EEEEENSH_IJSG_SG_SG_EEES9_SI_JZNS1_25segmented_radix_sort_implINS0_14default_configELb1EPKiPiPKlPlN2at6native12_GLOBAL__N_18offset_tEEE10hipError_tPvRmT1_PNSt15iterator_traitsIS12_E10value_typeET2_T3_PNS13_IS18_E10value_typeET4_jRbjT5_S1E_jjP12ihipStream_tbEUljE_ZNSN_ISO_Lb1ESQ_SR_ST_SU_SY_EESZ_S10_S11_S12_S16_S17_S18_S1B_S1C_jS1D_jS1E_S1E_jjS1G_bEUljE0_EEESZ_S10_S11_S18_S1C_S1E_T6_T7_T9_mT8_S1G_bDpT10_ENKUlT_T0_E_clISt17integral_constantIbLb1EES1U_EEDaS1P_S1Q_EUlS1P_E_NS1_11comp_targetILNS1_3genE3ELNS1_11target_archE908ELNS1_3gpuE7ELNS1_3repE0EEENS1_30default_config_static_selectorELNS0_4arch9wavefront6targetE0EEEvS12_,@function
_ZN7rocprim17ROCPRIM_400000_NS6detail17trampoline_kernelINS0_13select_configILj256ELj13ELNS0_17block_load_methodE3ELS4_3ELS4_3ELNS0_20block_scan_algorithmE0ELj4294967295EEENS1_25partition_config_selectorILNS1_17partition_subalgoE4EjNS0_10empty_typeEbEEZZNS1_14partition_implILS8_4ELb0ES6_15HIP_vector_typeIjLj2EENS0_17counting_iteratorIjlEEPS9_SG_NS0_5tupleIJPjSI_NS0_16reverse_iteratorISI_EEEEENSH_IJSG_SG_SG_EEES9_SI_JZNS1_25segmented_radix_sort_implINS0_14default_configELb1EPKiPiPKlPlN2at6native12_GLOBAL__N_18offset_tEEE10hipError_tPvRmT1_PNSt15iterator_traitsIS12_E10value_typeET2_T3_PNS13_IS18_E10value_typeET4_jRbjT5_S1E_jjP12ihipStream_tbEUljE_ZNSN_ISO_Lb1ESQ_SR_ST_SU_SY_EESZ_S10_S11_S12_S16_S17_S18_S1B_S1C_jS1D_jS1E_S1E_jjS1G_bEUljE0_EEESZ_S10_S11_S18_S1C_S1E_T6_T7_T9_mT8_S1G_bDpT10_ENKUlT_T0_E_clISt17integral_constantIbLb1EES1U_EEDaS1P_S1Q_EUlS1P_E_NS1_11comp_targetILNS1_3genE3ELNS1_11target_archE908ELNS1_3gpuE7ELNS1_3repE0EEENS1_30default_config_static_selectorELNS0_4arch9wavefront6targetE0EEEvS12_: ; @_ZN7rocprim17ROCPRIM_400000_NS6detail17trampoline_kernelINS0_13select_configILj256ELj13ELNS0_17block_load_methodE3ELS4_3ELS4_3ELNS0_20block_scan_algorithmE0ELj4294967295EEENS1_25partition_config_selectorILNS1_17partition_subalgoE4EjNS0_10empty_typeEbEEZZNS1_14partition_implILS8_4ELb0ES6_15HIP_vector_typeIjLj2EENS0_17counting_iteratorIjlEEPS9_SG_NS0_5tupleIJPjSI_NS0_16reverse_iteratorISI_EEEEENSH_IJSG_SG_SG_EEES9_SI_JZNS1_25segmented_radix_sort_implINS0_14default_configELb1EPKiPiPKlPlN2at6native12_GLOBAL__N_18offset_tEEE10hipError_tPvRmT1_PNSt15iterator_traitsIS12_E10value_typeET2_T3_PNS13_IS18_E10value_typeET4_jRbjT5_S1E_jjP12ihipStream_tbEUljE_ZNSN_ISO_Lb1ESQ_SR_ST_SU_SY_EESZ_S10_S11_S12_S16_S17_S18_S1B_S1C_jS1D_jS1E_S1E_jjS1G_bEUljE0_EEESZ_S10_S11_S18_S1C_S1E_T6_T7_T9_mT8_S1G_bDpT10_ENKUlT_T0_E_clISt17integral_constantIbLb1EES1U_EEDaS1P_S1Q_EUlS1P_E_NS1_11comp_targetILNS1_3genE3ELNS1_11target_archE908ELNS1_3gpuE7ELNS1_3repE0EEENS1_30default_config_static_selectorELNS0_4arch9wavefront6targetE0EEEvS12_
; %bb.0:
	.section	.rodata,"a",@progbits
	.p2align	6, 0x0
	.amdhsa_kernel _ZN7rocprim17ROCPRIM_400000_NS6detail17trampoline_kernelINS0_13select_configILj256ELj13ELNS0_17block_load_methodE3ELS4_3ELS4_3ELNS0_20block_scan_algorithmE0ELj4294967295EEENS1_25partition_config_selectorILNS1_17partition_subalgoE4EjNS0_10empty_typeEbEEZZNS1_14partition_implILS8_4ELb0ES6_15HIP_vector_typeIjLj2EENS0_17counting_iteratorIjlEEPS9_SG_NS0_5tupleIJPjSI_NS0_16reverse_iteratorISI_EEEEENSH_IJSG_SG_SG_EEES9_SI_JZNS1_25segmented_radix_sort_implINS0_14default_configELb1EPKiPiPKlPlN2at6native12_GLOBAL__N_18offset_tEEE10hipError_tPvRmT1_PNSt15iterator_traitsIS12_E10value_typeET2_T3_PNS13_IS18_E10value_typeET4_jRbjT5_S1E_jjP12ihipStream_tbEUljE_ZNSN_ISO_Lb1ESQ_SR_ST_SU_SY_EESZ_S10_S11_S12_S16_S17_S18_S1B_S1C_jS1D_jS1E_S1E_jjS1G_bEUljE0_EEESZ_S10_S11_S18_S1C_S1E_T6_T7_T9_mT8_S1G_bDpT10_ENKUlT_T0_E_clISt17integral_constantIbLb1EES1U_EEDaS1P_S1Q_EUlS1P_E_NS1_11comp_targetILNS1_3genE3ELNS1_11target_archE908ELNS1_3gpuE7ELNS1_3repE0EEENS1_30default_config_static_selectorELNS0_4arch9wavefront6targetE0EEEvS12_
		.amdhsa_group_segment_fixed_size 0
		.amdhsa_private_segment_fixed_size 0
		.amdhsa_kernarg_size 184
		.amdhsa_user_sgpr_count 15
		.amdhsa_user_sgpr_dispatch_ptr 0
		.amdhsa_user_sgpr_queue_ptr 0
		.amdhsa_user_sgpr_kernarg_segment_ptr 1
		.amdhsa_user_sgpr_dispatch_id 0
		.amdhsa_user_sgpr_private_segment_size 0
		.amdhsa_wavefront_size32 1
		.amdhsa_uses_dynamic_stack 0
		.amdhsa_enable_private_segment 0
		.amdhsa_system_sgpr_workgroup_id_x 1
		.amdhsa_system_sgpr_workgroup_id_y 0
		.amdhsa_system_sgpr_workgroup_id_z 0
		.amdhsa_system_sgpr_workgroup_info 0
		.amdhsa_system_vgpr_workitem_id 0
		.amdhsa_next_free_vgpr 1
		.amdhsa_next_free_sgpr 1
		.amdhsa_reserve_vcc 0
		.amdhsa_float_round_mode_32 0
		.amdhsa_float_round_mode_16_64 0
		.amdhsa_float_denorm_mode_32 3
		.amdhsa_float_denorm_mode_16_64 3
		.amdhsa_dx10_clamp 1
		.amdhsa_ieee_mode 1
		.amdhsa_fp16_overflow 0
		.amdhsa_workgroup_processor_mode 1
		.amdhsa_memory_ordered 1
		.amdhsa_forward_progress 0
		.amdhsa_shared_vgpr_count 0
		.amdhsa_exception_fp_ieee_invalid_op 0
		.amdhsa_exception_fp_denorm_src 0
		.amdhsa_exception_fp_ieee_div_zero 0
		.amdhsa_exception_fp_ieee_overflow 0
		.amdhsa_exception_fp_ieee_underflow 0
		.amdhsa_exception_fp_ieee_inexact 0
		.amdhsa_exception_int_div_zero 0
	.end_amdhsa_kernel
	.section	.text._ZN7rocprim17ROCPRIM_400000_NS6detail17trampoline_kernelINS0_13select_configILj256ELj13ELNS0_17block_load_methodE3ELS4_3ELS4_3ELNS0_20block_scan_algorithmE0ELj4294967295EEENS1_25partition_config_selectorILNS1_17partition_subalgoE4EjNS0_10empty_typeEbEEZZNS1_14partition_implILS8_4ELb0ES6_15HIP_vector_typeIjLj2EENS0_17counting_iteratorIjlEEPS9_SG_NS0_5tupleIJPjSI_NS0_16reverse_iteratorISI_EEEEENSH_IJSG_SG_SG_EEES9_SI_JZNS1_25segmented_radix_sort_implINS0_14default_configELb1EPKiPiPKlPlN2at6native12_GLOBAL__N_18offset_tEEE10hipError_tPvRmT1_PNSt15iterator_traitsIS12_E10value_typeET2_T3_PNS13_IS18_E10value_typeET4_jRbjT5_S1E_jjP12ihipStream_tbEUljE_ZNSN_ISO_Lb1ESQ_SR_ST_SU_SY_EESZ_S10_S11_S12_S16_S17_S18_S1B_S1C_jS1D_jS1E_S1E_jjS1G_bEUljE0_EEESZ_S10_S11_S18_S1C_S1E_T6_T7_T9_mT8_S1G_bDpT10_ENKUlT_T0_E_clISt17integral_constantIbLb1EES1U_EEDaS1P_S1Q_EUlS1P_E_NS1_11comp_targetILNS1_3genE3ELNS1_11target_archE908ELNS1_3gpuE7ELNS1_3repE0EEENS1_30default_config_static_selectorELNS0_4arch9wavefront6targetE0EEEvS12_,"axG",@progbits,_ZN7rocprim17ROCPRIM_400000_NS6detail17trampoline_kernelINS0_13select_configILj256ELj13ELNS0_17block_load_methodE3ELS4_3ELS4_3ELNS0_20block_scan_algorithmE0ELj4294967295EEENS1_25partition_config_selectorILNS1_17partition_subalgoE4EjNS0_10empty_typeEbEEZZNS1_14partition_implILS8_4ELb0ES6_15HIP_vector_typeIjLj2EENS0_17counting_iteratorIjlEEPS9_SG_NS0_5tupleIJPjSI_NS0_16reverse_iteratorISI_EEEEENSH_IJSG_SG_SG_EEES9_SI_JZNS1_25segmented_radix_sort_implINS0_14default_configELb1EPKiPiPKlPlN2at6native12_GLOBAL__N_18offset_tEEE10hipError_tPvRmT1_PNSt15iterator_traitsIS12_E10value_typeET2_T3_PNS13_IS18_E10value_typeET4_jRbjT5_S1E_jjP12ihipStream_tbEUljE_ZNSN_ISO_Lb1ESQ_SR_ST_SU_SY_EESZ_S10_S11_S12_S16_S17_S18_S1B_S1C_jS1D_jS1E_S1E_jjS1G_bEUljE0_EEESZ_S10_S11_S18_S1C_S1E_T6_T7_T9_mT8_S1G_bDpT10_ENKUlT_T0_E_clISt17integral_constantIbLb1EES1U_EEDaS1P_S1Q_EUlS1P_E_NS1_11comp_targetILNS1_3genE3ELNS1_11target_archE908ELNS1_3gpuE7ELNS1_3repE0EEENS1_30default_config_static_selectorELNS0_4arch9wavefront6targetE0EEEvS12_,comdat
.Lfunc_end444:
	.size	_ZN7rocprim17ROCPRIM_400000_NS6detail17trampoline_kernelINS0_13select_configILj256ELj13ELNS0_17block_load_methodE3ELS4_3ELS4_3ELNS0_20block_scan_algorithmE0ELj4294967295EEENS1_25partition_config_selectorILNS1_17partition_subalgoE4EjNS0_10empty_typeEbEEZZNS1_14partition_implILS8_4ELb0ES6_15HIP_vector_typeIjLj2EENS0_17counting_iteratorIjlEEPS9_SG_NS0_5tupleIJPjSI_NS0_16reverse_iteratorISI_EEEEENSH_IJSG_SG_SG_EEES9_SI_JZNS1_25segmented_radix_sort_implINS0_14default_configELb1EPKiPiPKlPlN2at6native12_GLOBAL__N_18offset_tEEE10hipError_tPvRmT1_PNSt15iterator_traitsIS12_E10value_typeET2_T3_PNS13_IS18_E10value_typeET4_jRbjT5_S1E_jjP12ihipStream_tbEUljE_ZNSN_ISO_Lb1ESQ_SR_ST_SU_SY_EESZ_S10_S11_S12_S16_S17_S18_S1B_S1C_jS1D_jS1E_S1E_jjS1G_bEUljE0_EEESZ_S10_S11_S18_S1C_S1E_T6_T7_T9_mT8_S1G_bDpT10_ENKUlT_T0_E_clISt17integral_constantIbLb1EES1U_EEDaS1P_S1Q_EUlS1P_E_NS1_11comp_targetILNS1_3genE3ELNS1_11target_archE908ELNS1_3gpuE7ELNS1_3repE0EEENS1_30default_config_static_selectorELNS0_4arch9wavefront6targetE0EEEvS12_, .Lfunc_end444-_ZN7rocprim17ROCPRIM_400000_NS6detail17trampoline_kernelINS0_13select_configILj256ELj13ELNS0_17block_load_methodE3ELS4_3ELS4_3ELNS0_20block_scan_algorithmE0ELj4294967295EEENS1_25partition_config_selectorILNS1_17partition_subalgoE4EjNS0_10empty_typeEbEEZZNS1_14partition_implILS8_4ELb0ES6_15HIP_vector_typeIjLj2EENS0_17counting_iteratorIjlEEPS9_SG_NS0_5tupleIJPjSI_NS0_16reverse_iteratorISI_EEEEENSH_IJSG_SG_SG_EEES9_SI_JZNS1_25segmented_radix_sort_implINS0_14default_configELb1EPKiPiPKlPlN2at6native12_GLOBAL__N_18offset_tEEE10hipError_tPvRmT1_PNSt15iterator_traitsIS12_E10value_typeET2_T3_PNS13_IS18_E10value_typeET4_jRbjT5_S1E_jjP12ihipStream_tbEUljE_ZNSN_ISO_Lb1ESQ_SR_ST_SU_SY_EESZ_S10_S11_S12_S16_S17_S18_S1B_S1C_jS1D_jS1E_S1E_jjS1G_bEUljE0_EEESZ_S10_S11_S18_S1C_S1E_T6_T7_T9_mT8_S1G_bDpT10_ENKUlT_T0_E_clISt17integral_constantIbLb1EES1U_EEDaS1P_S1Q_EUlS1P_E_NS1_11comp_targetILNS1_3genE3ELNS1_11target_archE908ELNS1_3gpuE7ELNS1_3repE0EEENS1_30default_config_static_selectorELNS0_4arch9wavefront6targetE0EEEvS12_
                                        ; -- End function
	.section	.AMDGPU.csdata,"",@progbits
; Kernel info:
; codeLenInByte = 0
; NumSgprs: 0
; NumVgprs: 0
; ScratchSize: 0
; MemoryBound: 0
; FloatMode: 240
; IeeeMode: 1
; LDSByteSize: 0 bytes/workgroup (compile time only)
; SGPRBlocks: 0
; VGPRBlocks: 0
; NumSGPRsForWavesPerEU: 1
; NumVGPRsForWavesPerEU: 1
; Occupancy: 16
; WaveLimiterHint : 0
; COMPUTE_PGM_RSRC2:SCRATCH_EN: 0
; COMPUTE_PGM_RSRC2:USER_SGPR: 15
; COMPUTE_PGM_RSRC2:TRAP_HANDLER: 0
; COMPUTE_PGM_RSRC2:TGID_X_EN: 1
; COMPUTE_PGM_RSRC2:TGID_Y_EN: 0
; COMPUTE_PGM_RSRC2:TGID_Z_EN: 0
; COMPUTE_PGM_RSRC2:TIDIG_COMP_CNT: 0
	.section	.text._ZN7rocprim17ROCPRIM_400000_NS6detail17trampoline_kernelINS0_13select_configILj256ELj13ELNS0_17block_load_methodE3ELS4_3ELS4_3ELNS0_20block_scan_algorithmE0ELj4294967295EEENS1_25partition_config_selectorILNS1_17partition_subalgoE4EjNS0_10empty_typeEbEEZZNS1_14partition_implILS8_4ELb0ES6_15HIP_vector_typeIjLj2EENS0_17counting_iteratorIjlEEPS9_SG_NS0_5tupleIJPjSI_NS0_16reverse_iteratorISI_EEEEENSH_IJSG_SG_SG_EEES9_SI_JZNS1_25segmented_radix_sort_implINS0_14default_configELb1EPKiPiPKlPlN2at6native12_GLOBAL__N_18offset_tEEE10hipError_tPvRmT1_PNSt15iterator_traitsIS12_E10value_typeET2_T3_PNS13_IS18_E10value_typeET4_jRbjT5_S1E_jjP12ihipStream_tbEUljE_ZNSN_ISO_Lb1ESQ_SR_ST_SU_SY_EESZ_S10_S11_S12_S16_S17_S18_S1B_S1C_jS1D_jS1E_S1E_jjS1G_bEUljE0_EEESZ_S10_S11_S18_S1C_S1E_T6_T7_T9_mT8_S1G_bDpT10_ENKUlT_T0_E_clISt17integral_constantIbLb1EES1U_EEDaS1P_S1Q_EUlS1P_E_NS1_11comp_targetILNS1_3genE2ELNS1_11target_archE906ELNS1_3gpuE6ELNS1_3repE0EEENS1_30default_config_static_selectorELNS0_4arch9wavefront6targetE0EEEvS12_,"axG",@progbits,_ZN7rocprim17ROCPRIM_400000_NS6detail17trampoline_kernelINS0_13select_configILj256ELj13ELNS0_17block_load_methodE3ELS4_3ELS4_3ELNS0_20block_scan_algorithmE0ELj4294967295EEENS1_25partition_config_selectorILNS1_17partition_subalgoE4EjNS0_10empty_typeEbEEZZNS1_14partition_implILS8_4ELb0ES6_15HIP_vector_typeIjLj2EENS0_17counting_iteratorIjlEEPS9_SG_NS0_5tupleIJPjSI_NS0_16reverse_iteratorISI_EEEEENSH_IJSG_SG_SG_EEES9_SI_JZNS1_25segmented_radix_sort_implINS0_14default_configELb1EPKiPiPKlPlN2at6native12_GLOBAL__N_18offset_tEEE10hipError_tPvRmT1_PNSt15iterator_traitsIS12_E10value_typeET2_T3_PNS13_IS18_E10value_typeET4_jRbjT5_S1E_jjP12ihipStream_tbEUljE_ZNSN_ISO_Lb1ESQ_SR_ST_SU_SY_EESZ_S10_S11_S12_S16_S17_S18_S1B_S1C_jS1D_jS1E_S1E_jjS1G_bEUljE0_EEESZ_S10_S11_S18_S1C_S1E_T6_T7_T9_mT8_S1G_bDpT10_ENKUlT_T0_E_clISt17integral_constantIbLb1EES1U_EEDaS1P_S1Q_EUlS1P_E_NS1_11comp_targetILNS1_3genE2ELNS1_11target_archE906ELNS1_3gpuE6ELNS1_3repE0EEENS1_30default_config_static_selectorELNS0_4arch9wavefront6targetE0EEEvS12_,comdat
	.globl	_ZN7rocprim17ROCPRIM_400000_NS6detail17trampoline_kernelINS0_13select_configILj256ELj13ELNS0_17block_load_methodE3ELS4_3ELS4_3ELNS0_20block_scan_algorithmE0ELj4294967295EEENS1_25partition_config_selectorILNS1_17partition_subalgoE4EjNS0_10empty_typeEbEEZZNS1_14partition_implILS8_4ELb0ES6_15HIP_vector_typeIjLj2EENS0_17counting_iteratorIjlEEPS9_SG_NS0_5tupleIJPjSI_NS0_16reverse_iteratorISI_EEEEENSH_IJSG_SG_SG_EEES9_SI_JZNS1_25segmented_radix_sort_implINS0_14default_configELb1EPKiPiPKlPlN2at6native12_GLOBAL__N_18offset_tEEE10hipError_tPvRmT1_PNSt15iterator_traitsIS12_E10value_typeET2_T3_PNS13_IS18_E10value_typeET4_jRbjT5_S1E_jjP12ihipStream_tbEUljE_ZNSN_ISO_Lb1ESQ_SR_ST_SU_SY_EESZ_S10_S11_S12_S16_S17_S18_S1B_S1C_jS1D_jS1E_S1E_jjS1G_bEUljE0_EEESZ_S10_S11_S18_S1C_S1E_T6_T7_T9_mT8_S1G_bDpT10_ENKUlT_T0_E_clISt17integral_constantIbLb1EES1U_EEDaS1P_S1Q_EUlS1P_E_NS1_11comp_targetILNS1_3genE2ELNS1_11target_archE906ELNS1_3gpuE6ELNS1_3repE0EEENS1_30default_config_static_selectorELNS0_4arch9wavefront6targetE0EEEvS12_ ; -- Begin function _ZN7rocprim17ROCPRIM_400000_NS6detail17trampoline_kernelINS0_13select_configILj256ELj13ELNS0_17block_load_methodE3ELS4_3ELS4_3ELNS0_20block_scan_algorithmE0ELj4294967295EEENS1_25partition_config_selectorILNS1_17partition_subalgoE4EjNS0_10empty_typeEbEEZZNS1_14partition_implILS8_4ELb0ES6_15HIP_vector_typeIjLj2EENS0_17counting_iteratorIjlEEPS9_SG_NS0_5tupleIJPjSI_NS0_16reverse_iteratorISI_EEEEENSH_IJSG_SG_SG_EEES9_SI_JZNS1_25segmented_radix_sort_implINS0_14default_configELb1EPKiPiPKlPlN2at6native12_GLOBAL__N_18offset_tEEE10hipError_tPvRmT1_PNSt15iterator_traitsIS12_E10value_typeET2_T3_PNS13_IS18_E10value_typeET4_jRbjT5_S1E_jjP12ihipStream_tbEUljE_ZNSN_ISO_Lb1ESQ_SR_ST_SU_SY_EESZ_S10_S11_S12_S16_S17_S18_S1B_S1C_jS1D_jS1E_S1E_jjS1G_bEUljE0_EEESZ_S10_S11_S18_S1C_S1E_T6_T7_T9_mT8_S1G_bDpT10_ENKUlT_T0_E_clISt17integral_constantIbLb1EES1U_EEDaS1P_S1Q_EUlS1P_E_NS1_11comp_targetILNS1_3genE2ELNS1_11target_archE906ELNS1_3gpuE6ELNS1_3repE0EEENS1_30default_config_static_selectorELNS0_4arch9wavefront6targetE0EEEvS12_
	.p2align	8
	.type	_ZN7rocprim17ROCPRIM_400000_NS6detail17trampoline_kernelINS0_13select_configILj256ELj13ELNS0_17block_load_methodE3ELS4_3ELS4_3ELNS0_20block_scan_algorithmE0ELj4294967295EEENS1_25partition_config_selectorILNS1_17partition_subalgoE4EjNS0_10empty_typeEbEEZZNS1_14partition_implILS8_4ELb0ES6_15HIP_vector_typeIjLj2EENS0_17counting_iteratorIjlEEPS9_SG_NS0_5tupleIJPjSI_NS0_16reverse_iteratorISI_EEEEENSH_IJSG_SG_SG_EEES9_SI_JZNS1_25segmented_radix_sort_implINS0_14default_configELb1EPKiPiPKlPlN2at6native12_GLOBAL__N_18offset_tEEE10hipError_tPvRmT1_PNSt15iterator_traitsIS12_E10value_typeET2_T3_PNS13_IS18_E10value_typeET4_jRbjT5_S1E_jjP12ihipStream_tbEUljE_ZNSN_ISO_Lb1ESQ_SR_ST_SU_SY_EESZ_S10_S11_S12_S16_S17_S18_S1B_S1C_jS1D_jS1E_S1E_jjS1G_bEUljE0_EEESZ_S10_S11_S18_S1C_S1E_T6_T7_T9_mT8_S1G_bDpT10_ENKUlT_T0_E_clISt17integral_constantIbLb1EES1U_EEDaS1P_S1Q_EUlS1P_E_NS1_11comp_targetILNS1_3genE2ELNS1_11target_archE906ELNS1_3gpuE6ELNS1_3repE0EEENS1_30default_config_static_selectorELNS0_4arch9wavefront6targetE0EEEvS12_,@function
_ZN7rocprim17ROCPRIM_400000_NS6detail17trampoline_kernelINS0_13select_configILj256ELj13ELNS0_17block_load_methodE3ELS4_3ELS4_3ELNS0_20block_scan_algorithmE0ELj4294967295EEENS1_25partition_config_selectorILNS1_17partition_subalgoE4EjNS0_10empty_typeEbEEZZNS1_14partition_implILS8_4ELb0ES6_15HIP_vector_typeIjLj2EENS0_17counting_iteratorIjlEEPS9_SG_NS0_5tupleIJPjSI_NS0_16reverse_iteratorISI_EEEEENSH_IJSG_SG_SG_EEES9_SI_JZNS1_25segmented_radix_sort_implINS0_14default_configELb1EPKiPiPKlPlN2at6native12_GLOBAL__N_18offset_tEEE10hipError_tPvRmT1_PNSt15iterator_traitsIS12_E10value_typeET2_T3_PNS13_IS18_E10value_typeET4_jRbjT5_S1E_jjP12ihipStream_tbEUljE_ZNSN_ISO_Lb1ESQ_SR_ST_SU_SY_EESZ_S10_S11_S12_S16_S17_S18_S1B_S1C_jS1D_jS1E_S1E_jjS1G_bEUljE0_EEESZ_S10_S11_S18_S1C_S1E_T6_T7_T9_mT8_S1G_bDpT10_ENKUlT_T0_E_clISt17integral_constantIbLb1EES1U_EEDaS1P_S1Q_EUlS1P_E_NS1_11comp_targetILNS1_3genE2ELNS1_11target_archE906ELNS1_3gpuE6ELNS1_3repE0EEENS1_30default_config_static_selectorELNS0_4arch9wavefront6targetE0EEEvS12_: ; @_ZN7rocprim17ROCPRIM_400000_NS6detail17trampoline_kernelINS0_13select_configILj256ELj13ELNS0_17block_load_methodE3ELS4_3ELS4_3ELNS0_20block_scan_algorithmE0ELj4294967295EEENS1_25partition_config_selectorILNS1_17partition_subalgoE4EjNS0_10empty_typeEbEEZZNS1_14partition_implILS8_4ELb0ES6_15HIP_vector_typeIjLj2EENS0_17counting_iteratorIjlEEPS9_SG_NS0_5tupleIJPjSI_NS0_16reverse_iteratorISI_EEEEENSH_IJSG_SG_SG_EEES9_SI_JZNS1_25segmented_radix_sort_implINS0_14default_configELb1EPKiPiPKlPlN2at6native12_GLOBAL__N_18offset_tEEE10hipError_tPvRmT1_PNSt15iterator_traitsIS12_E10value_typeET2_T3_PNS13_IS18_E10value_typeET4_jRbjT5_S1E_jjP12ihipStream_tbEUljE_ZNSN_ISO_Lb1ESQ_SR_ST_SU_SY_EESZ_S10_S11_S12_S16_S17_S18_S1B_S1C_jS1D_jS1E_S1E_jjS1G_bEUljE0_EEESZ_S10_S11_S18_S1C_S1E_T6_T7_T9_mT8_S1G_bDpT10_ENKUlT_T0_E_clISt17integral_constantIbLb1EES1U_EEDaS1P_S1Q_EUlS1P_E_NS1_11comp_targetILNS1_3genE2ELNS1_11target_archE906ELNS1_3gpuE6ELNS1_3repE0EEENS1_30default_config_static_selectorELNS0_4arch9wavefront6targetE0EEEvS12_
; %bb.0:
	.section	.rodata,"a",@progbits
	.p2align	6, 0x0
	.amdhsa_kernel _ZN7rocprim17ROCPRIM_400000_NS6detail17trampoline_kernelINS0_13select_configILj256ELj13ELNS0_17block_load_methodE3ELS4_3ELS4_3ELNS0_20block_scan_algorithmE0ELj4294967295EEENS1_25partition_config_selectorILNS1_17partition_subalgoE4EjNS0_10empty_typeEbEEZZNS1_14partition_implILS8_4ELb0ES6_15HIP_vector_typeIjLj2EENS0_17counting_iteratorIjlEEPS9_SG_NS0_5tupleIJPjSI_NS0_16reverse_iteratorISI_EEEEENSH_IJSG_SG_SG_EEES9_SI_JZNS1_25segmented_radix_sort_implINS0_14default_configELb1EPKiPiPKlPlN2at6native12_GLOBAL__N_18offset_tEEE10hipError_tPvRmT1_PNSt15iterator_traitsIS12_E10value_typeET2_T3_PNS13_IS18_E10value_typeET4_jRbjT5_S1E_jjP12ihipStream_tbEUljE_ZNSN_ISO_Lb1ESQ_SR_ST_SU_SY_EESZ_S10_S11_S12_S16_S17_S18_S1B_S1C_jS1D_jS1E_S1E_jjS1G_bEUljE0_EEESZ_S10_S11_S18_S1C_S1E_T6_T7_T9_mT8_S1G_bDpT10_ENKUlT_T0_E_clISt17integral_constantIbLb1EES1U_EEDaS1P_S1Q_EUlS1P_E_NS1_11comp_targetILNS1_3genE2ELNS1_11target_archE906ELNS1_3gpuE6ELNS1_3repE0EEENS1_30default_config_static_selectorELNS0_4arch9wavefront6targetE0EEEvS12_
		.amdhsa_group_segment_fixed_size 0
		.amdhsa_private_segment_fixed_size 0
		.amdhsa_kernarg_size 184
		.amdhsa_user_sgpr_count 15
		.amdhsa_user_sgpr_dispatch_ptr 0
		.amdhsa_user_sgpr_queue_ptr 0
		.amdhsa_user_sgpr_kernarg_segment_ptr 1
		.amdhsa_user_sgpr_dispatch_id 0
		.amdhsa_user_sgpr_private_segment_size 0
		.amdhsa_wavefront_size32 1
		.amdhsa_uses_dynamic_stack 0
		.amdhsa_enable_private_segment 0
		.amdhsa_system_sgpr_workgroup_id_x 1
		.amdhsa_system_sgpr_workgroup_id_y 0
		.amdhsa_system_sgpr_workgroup_id_z 0
		.amdhsa_system_sgpr_workgroup_info 0
		.amdhsa_system_vgpr_workitem_id 0
		.amdhsa_next_free_vgpr 1
		.amdhsa_next_free_sgpr 1
		.amdhsa_reserve_vcc 0
		.amdhsa_float_round_mode_32 0
		.amdhsa_float_round_mode_16_64 0
		.amdhsa_float_denorm_mode_32 3
		.amdhsa_float_denorm_mode_16_64 3
		.amdhsa_dx10_clamp 1
		.amdhsa_ieee_mode 1
		.amdhsa_fp16_overflow 0
		.amdhsa_workgroup_processor_mode 1
		.amdhsa_memory_ordered 1
		.amdhsa_forward_progress 0
		.amdhsa_shared_vgpr_count 0
		.amdhsa_exception_fp_ieee_invalid_op 0
		.amdhsa_exception_fp_denorm_src 0
		.amdhsa_exception_fp_ieee_div_zero 0
		.amdhsa_exception_fp_ieee_overflow 0
		.amdhsa_exception_fp_ieee_underflow 0
		.amdhsa_exception_fp_ieee_inexact 0
		.amdhsa_exception_int_div_zero 0
	.end_amdhsa_kernel
	.section	.text._ZN7rocprim17ROCPRIM_400000_NS6detail17trampoline_kernelINS0_13select_configILj256ELj13ELNS0_17block_load_methodE3ELS4_3ELS4_3ELNS0_20block_scan_algorithmE0ELj4294967295EEENS1_25partition_config_selectorILNS1_17partition_subalgoE4EjNS0_10empty_typeEbEEZZNS1_14partition_implILS8_4ELb0ES6_15HIP_vector_typeIjLj2EENS0_17counting_iteratorIjlEEPS9_SG_NS0_5tupleIJPjSI_NS0_16reverse_iteratorISI_EEEEENSH_IJSG_SG_SG_EEES9_SI_JZNS1_25segmented_radix_sort_implINS0_14default_configELb1EPKiPiPKlPlN2at6native12_GLOBAL__N_18offset_tEEE10hipError_tPvRmT1_PNSt15iterator_traitsIS12_E10value_typeET2_T3_PNS13_IS18_E10value_typeET4_jRbjT5_S1E_jjP12ihipStream_tbEUljE_ZNSN_ISO_Lb1ESQ_SR_ST_SU_SY_EESZ_S10_S11_S12_S16_S17_S18_S1B_S1C_jS1D_jS1E_S1E_jjS1G_bEUljE0_EEESZ_S10_S11_S18_S1C_S1E_T6_T7_T9_mT8_S1G_bDpT10_ENKUlT_T0_E_clISt17integral_constantIbLb1EES1U_EEDaS1P_S1Q_EUlS1P_E_NS1_11comp_targetILNS1_3genE2ELNS1_11target_archE906ELNS1_3gpuE6ELNS1_3repE0EEENS1_30default_config_static_selectorELNS0_4arch9wavefront6targetE0EEEvS12_,"axG",@progbits,_ZN7rocprim17ROCPRIM_400000_NS6detail17trampoline_kernelINS0_13select_configILj256ELj13ELNS0_17block_load_methodE3ELS4_3ELS4_3ELNS0_20block_scan_algorithmE0ELj4294967295EEENS1_25partition_config_selectorILNS1_17partition_subalgoE4EjNS0_10empty_typeEbEEZZNS1_14partition_implILS8_4ELb0ES6_15HIP_vector_typeIjLj2EENS0_17counting_iteratorIjlEEPS9_SG_NS0_5tupleIJPjSI_NS0_16reverse_iteratorISI_EEEEENSH_IJSG_SG_SG_EEES9_SI_JZNS1_25segmented_radix_sort_implINS0_14default_configELb1EPKiPiPKlPlN2at6native12_GLOBAL__N_18offset_tEEE10hipError_tPvRmT1_PNSt15iterator_traitsIS12_E10value_typeET2_T3_PNS13_IS18_E10value_typeET4_jRbjT5_S1E_jjP12ihipStream_tbEUljE_ZNSN_ISO_Lb1ESQ_SR_ST_SU_SY_EESZ_S10_S11_S12_S16_S17_S18_S1B_S1C_jS1D_jS1E_S1E_jjS1G_bEUljE0_EEESZ_S10_S11_S18_S1C_S1E_T6_T7_T9_mT8_S1G_bDpT10_ENKUlT_T0_E_clISt17integral_constantIbLb1EES1U_EEDaS1P_S1Q_EUlS1P_E_NS1_11comp_targetILNS1_3genE2ELNS1_11target_archE906ELNS1_3gpuE6ELNS1_3repE0EEENS1_30default_config_static_selectorELNS0_4arch9wavefront6targetE0EEEvS12_,comdat
.Lfunc_end445:
	.size	_ZN7rocprim17ROCPRIM_400000_NS6detail17trampoline_kernelINS0_13select_configILj256ELj13ELNS0_17block_load_methodE3ELS4_3ELS4_3ELNS0_20block_scan_algorithmE0ELj4294967295EEENS1_25partition_config_selectorILNS1_17partition_subalgoE4EjNS0_10empty_typeEbEEZZNS1_14partition_implILS8_4ELb0ES6_15HIP_vector_typeIjLj2EENS0_17counting_iteratorIjlEEPS9_SG_NS0_5tupleIJPjSI_NS0_16reverse_iteratorISI_EEEEENSH_IJSG_SG_SG_EEES9_SI_JZNS1_25segmented_radix_sort_implINS0_14default_configELb1EPKiPiPKlPlN2at6native12_GLOBAL__N_18offset_tEEE10hipError_tPvRmT1_PNSt15iterator_traitsIS12_E10value_typeET2_T3_PNS13_IS18_E10value_typeET4_jRbjT5_S1E_jjP12ihipStream_tbEUljE_ZNSN_ISO_Lb1ESQ_SR_ST_SU_SY_EESZ_S10_S11_S12_S16_S17_S18_S1B_S1C_jS1D_jS1E_S1E_jjS1G_bEUljE0_EEESZ_S10_S11_S18_S1C_S1E_T6_T7_T9_mT8_S1G_bDpT10_ENKUlT_T0_E_clISt17integral_constantIbLb1EES1U_EEDaS1P_S1Q_EUlS1P_E_NS1_11comp_targetILNS1_3genE2ELNS1_11target_archE906ELNS1_3gpuE6ELNS1_3repE0EEENS1_30default_config_static_selectorELNS0_4arch9wavefront6targetE0EEEvS12_, .Lfunc_end445-_ZN7rocprim17ROCPRIM_400000_NS6detail17trampoline_kernelINS0_13select_configILj256ELj13ELNS0_17block_load_methodE3ELS4_3ELS4_3ELNS0_20block_scan_algorithmE0ELj4294967295EEENS1_25partition_config_selectorILNS1_17partition_subalgoE4EjNS0_10empty_typeEbEEZZNS1_14partition_implILS8_4ELb0ES6_15HIP_vector_typeIjLj2EENS0_17counting_iteratorIjlEEPS9_SG_NS0_5tupleIJPjSI_NS0_16reverse_iteratorISI_EEEEENSH_IJSG_SG_SG_EEES9_SI_JZNS1_25segmented_radix_sort_implINS0_14default_configELb1EPKiPiPKlPlN2at6native12_GLOBAL__N_18offset_tEEE10hipError_tPvRmT1_PNSt15iterator_traitsIS12_E10value_typeET2_T3_PNS13_IS18_E10value_typeET4_jRbjT5_S1E_jjP12ihipStream_tbEUljE_ZNSN_ISO_Lb1ESQ_SR_ST_SU_SY_EESZ_S10_S11_S12_S16_S17_S18_S1B_S1C_jS1D_jS1E_S1E_jjS1G_bEUljE0_EEESZ_S10_S11_S18_S1C_S1E_T6_T7_T9_mT8_S1G_bDpT10_ENKUlT_T0_E_clISt17integral_constantIbLb1EES1U_EEDaS1P_S1Q_EUlS1P_E_NS1_11comp_targetILNS1_3genE2ELNS1_11target_archE906ELNS1_3gpuE6ELNS1_3repE0EEENS1_30default_config_static_selectorELNS0_4arch9wavefront6targetE0EEEvS12_
                                        ; -- End function
	.section	.AMDGPU.csdata,"",@progbits
; Kernel info:
; codeLenInByte = 0
; NumSgprs: 0
; NumVgprs: 0
; ScratchSize: 0
; MemoryBound: 0
; FloatMode: 240
; IeeeMode: 1
; LDSByteSize: 0 bytes/workgroup (compile time only)
; SGPRBlocks: 0
; VGPRBlocks: 0
; NumSGPRsForWavesPerEU: 1
; NumVGPRsForWavesPerEU: 1
; Occupancy: 16
; WaveLimiterHint : 0
; COMPUTE_PGM_RSRC2:SCRATCH_EN: 0
; COMPUTE_PGM_RSRC2:USER_SGPR: 15
; COMPUTE_PGM_RSRC2:TRAP_HANDLER: 0
; COMPUTE_PGM_RSRC2:TGID_X_EN: 1
; COMPUTE_PGM_RSRC2:TGID_Y_EN: 0
; COMPUTE_PGM_RSRC2:TGID_Z_EN: 0
; COMPUTE_PGM_RSRC2:TIDIG_COMP_CNT: 0
	.section	.text._ZN7rocprim17ROCPRIM_400000_NS6detail17trampoline_kernelINS0_13select_configILj256ELj13ELNS0_17block_load_methodE3ELS4_3ELS4_3ELNS0_20block_scan_algorithmE0ELj4294967295EEENS1_25partition_config_selectorILNS1_17partition_subalgoE4EjNS0_10empty_typeEbEEZZNS1_14partition_implILS8_4ELb0ES6_15HIP_vector_typeIjLj2EENS0_17counting_iteratorIjlEEPS9_SG_NS0_5tupleIJPjSI_NS0_16reverse_iteratorISI_EEEEENSH_IJSG_SG_SG_EEES9_SI_JZNS1_25segmented_radix_sort_implINS0_14default_configELb1EPKiPiPKlPlN2at6native12_GLOBAL__N_18offset_tEEE10hipError_tPvRmT1_PNSt15iterator_traitsIS12_E10value_typeET2_T3_PNS13_IS18_E10value_typeET4_jRbjT5_S1E_jjP12ihipStream_tbEUljE_ZNSN_ISO_Lb1ESQ_SR_ST_SU_SY_EESZ_S10_S11_S12_S16_S17_S18_S1B_S1C_jS1D_jS1E_S1E_jjS1G_bEUljE0_EEESZ_S10_S11_S18_S1C_S1E_T6_T7_T9_mT8_S1G_bDpT10_ENKUlT_T0_E_clISt17integral_constantIbLb1EES1U_EEDaS1P_S1Q_EUlS1P_E_NS1_11comp_targetILNS1_3genE10ELNS1_11target_archE1200ELNS1_3gpuE4ELNS1_3repE0EEENS1_30default_config_static_selectorELNS0_4arch9wavefront6targetE0EEEvS12_,"axG",@progbits,_ZN7rocprim17ROCPRIM_400000_NS6detail17trampoline_kernelINS0_13select_configILj256ELj13ELNS0_17block_load_methodE3ELS4_3ELS4_3ELNS0_20block_scan_algorithmE0ELj4294967295EEENS1_25partition_config_selectorILNS1_17partition_subalgoE4EjNS0_10empty_typeEbEEZZNS1_14partition_implILS8_4ELb0ES6_15HIP_vector_typeIjLj2EENS0_17counting_iteratorIjlEEPS9_SG_NS0_5tupleIJPjSI_NS0_16reverse_iteratorISI_EEEEENSH_IJSG_SG_SG_EEES9_SI_JZNS1_25segmented_radix_sort_implINS0_14default_configELb1EPKiPiPKlPlN2at6native12_GLOBAL__N_18offset_tEEE10hipError_tPvRmT1_PNSt15iterator_traitsIS12_E10value_typeET2_T3_PNS13_IS18_E10value_typeET4_jRbjT5_S1E_jjP12ihipStream_tbEUljE_ZNSN_ISO_Lb1ESQ_SR_ST_SU_SY_EESZ_S10_S11_S12_S16_S17_S18_S1B_S1C_jS1D_jS1E_S1E_jjS1G_bEUljE0_EEESZ_S10_S11_S18_S1C_S1E_T6_T7_T9_mT8_S1G_bDpT10_ENKUlT_T0_E_clISt17integral_constantIbLb1EES1U_EEDaS1P_S1Q_EUlS1P_E_NS1_11comp_targetILNS1_3genE10ELNS1_11target_archE1200ELNS1_3gpuE4ELNS1_3repE0EEENS1_30default_config_static_selectorELNS0_4arch9wavefront6targetE0EEEvS12_,comdat
	.globl	_ZN7rocprim17ROCPRIM_400000_NS6detail17trampoline_kernelINS0_13select_configILj256ELj13ELNS0_17block_load_methodE3ELS4_3ELS4_3ELNS0_20block_scan_algorithmE0ELj4294967295EEENS1_25partition_config_selectorILNS1_17partition_subalgoE4EjNS0_10empty_typeEbEEZZNS1_14partition_implILS8_4ELb0ES6_15HIP_vector_typeIjLj2EENS0_17counting_iteratorIjlEEPS9_SG_NS0_5tupleIJPjSI_NS0_16reverse_iteratorISI_EEEEENSH_IJSG_SG_SG_EEES9_SI_JZNS1_25segmented_radix_sort_implINS0_14default_configELb1EPKiPiPKlPlN2at6native12_GLOBAL__N_18offset_tEEE10hipError_tPvRmT1_PNSt15iterator_traitsIS12_E10value_typeET2_T3_PNS13_IS18_E10value_typeET4_jRbjT5_S1E_jjP12ihipStream_tbEUljE_ZNSN_ISO_Lb1ESQ_SR_ST_SU_SY_EESZ_S10_S11_S12_S16_S17_S18_S1B_S1C_jS1D_jS1E_S1E_jjS1G_bEUljE0_EEESZ_S10_S11_S18_S1C_S1E_T6_T7_T9_mT8_S1G_bDpT10_ENKUlT_T0_E_clISt17integral_constantIbLb1EES1U_EEDaS1P_S1Q_EUlS1P_E_NS1_11comp_targetILNS1_3genE10ELNS1_11target_archE1200ELNS1_3gpuE4ELNS1_3repE0EEENS1_30default_config_static_selectorELNS0_4arch9wavefront6targetE0EEEvS12_ ; -- Begin function _ZN7rocprim17ROCPRIM_400000_NS6detail17trampoline_kernelINS0_13select_configILj256ELj13ELNS0_17block_load_methodE3ELS4_3ELS4_3ELNS0_20block_scan_algorithmE0ELj4294967295EEENS1_25partition_config_selectorILNS1_17partition_subalgoE4EjNS0_10empty_typeEbEEZZNS1_14partition_implILS8_4ELb0ES6_15HIP_vector_typeIjLj2EENS0_17counting_iteratorIjlEEPS9_SG_NS0_5tupleIJPjSI_NS0_16reverse_iteratorISI_EEEEENSH_IJSG_SG_SG_EEES9_SI_JZNS1_25segmented_radix_sort_implINS0_14default_configELb1EPKiPiPKlPlN2at6native12_GLOBAL__N_18offset_tEEE10hipError_tPvRmT1_PNSt15iterator_traitsIS12_E10value_typeET2_T3_PNS13_IS18_E10value_typeET4_jRbjT5_S1E_jjP12ihipStream_tbEUljE_ZNSN_ISO_Lb1ESQ_SR_ST_SU_SY_EESZ_S10_S11_S12_S16_S17_S18_S1B_S1C_jS1D_jS1E_S1E_jjS1G_bEUljE0_EEESZ_S10_S11_S18_S1C_S1E_T6_T7_T9_mT8_S1G_bDpT10_ENKUlT_T0_E_clISt17integral_constantIbLb1EES1U_EEDaS1P_S1Q_EUlS1P_E_NS1_11comp_targetILNS1_3genE10ELNS1_11target_archE1200ELNS1_3gpuE4ELNS1_3repE0EEENS1_30default_config_static_selectorELNS0_4arch9wavefront6targetE0EEEvS12_
	.p2align	8
	.type	_ZN7rocprim17ROCPRIM_400000_NS6detail17trampoline_kernelINS0_13select_configILj256ELj13ELNS0_17block_load_methodE3ELS4_3ELS4_3ELNS0_20block_scan_algorithmE0ELj4294967295EEENS1_25partition_config_selectorILNS1_17partition_subalgoE4EjNS0_10empty_typeEbEEZZNS1_14partition_implILS8_4ELb0ES6_15HIP_vector_typeIjLj2EENS0_17counting_iteratorIjlEEPS9_SG_NS0_5tupleIJPjSI_NS0_16reverse_iteratorISI_EEEEENSH_IJSG_SG_SG_EEES9_SI_JZNS1_25segmented_radix_sort_implINS0_14default_configELb1EPKiPiPKlPlN2at6native12_GLOBAL__N_18offset_tEEE10hipError_tPvRmT1_PNSt15iterator_traitsIS12_E10value_typeET2_T3_PNS13_IS18_E10value_typeET4_jRbjT5_S1E_jjP12ihipStream_tbEUljE_ZNSN_ISO_Lb1ESQ_SR_ST_SU_SY_EESZ_S10_S11_S12_S16_S17_S18_S1B_S1C_jS1D_jS1E_S1E_jjS1G_bEUljE0_EEESZ_S10_S11_S18_S1C_S1E_T6_T7_T9_mT8_S1G_bDpT10_ENKUlT_T0_E_clISt17integral_constantIbLb1EES1U_EEDaS1P_S1Q_EUlS1P_E_NS1_11comp_targetILNS1_3genE10ELNS1_11target_archE1200ELNS1_3gpuE4ELNS1_3repE0EEENS1_30default_config_static_selectorELNS0_4arch9wavefront6targetE0EEEvS12_,@function
_ZN7rocprim17ROCPRIM_400000_NS6detail17trampoline_kernelINS0_13select_configILj256ELj13ELNS0_17block_load_methodE3ELS4_3ELS4_3ELNS0_20block_scan_algorithmE0ELj4294967295EEENS1_25partition_config_selectorILNS1_17partition_subalgoE4EjNS0_10empty_typeEbEEZZNS1_14partition_implILS8_4ELb0ES6_15HIP_vector_typeIjLj2EENS0_17counting_iteratorIjlEEPS9_SG_NS0_5tupleIJPjSI_NS0_16reverse_iteratorISI_EEEEENSH_IJSG_SG_SG_EEES9_SI_JZNS1_25segmented_radix_sort_implINS0_14default_configELb1EPKiPiPKlPlN2at6native12_GLOBAL__N_18offset_tEEE10hipError_tPvRmT1_PNSt15iterator_traitsIS12_E10value_typeET2_T3_PNS13_IS18_E10value_typeET4_jRbjT5_S1E_jjP12ihipStream_tbEUljE_ZNSN_ISO_Lb1ESQ_SR_ST_SU_SY_EESZ_S10_S11_S12_S16_S17_S18_S1B_S1C_jS1D_jS1E_S1E_jjS1G_bEUljE0_EEESZ_S10_S11_S18_S1C_S1E_T6_T7_T9_mT8_S1G_bDpT10_ENKUlT_T0_E_clISt17integral_constantIbLb1EES1U_EEDaS1P_S1Q_EUlS1P_E_NS1_11comp_targetILNS1_3genE10ELNS1_11target_archE1200ELNS1_3gpuE4ELNS1_3repE0EEENS1_30default_config_static_selectorELNS0_4arch9wavefront6targetE0EEEvS12_: ; @_ZN7rocprim17ROCPRIM_400000_NS6detail17trampoline_kernelINS0_13select_configILj256ELj13ELNS0_17block_load_methodE3ELS4_3ELS4_3ELNS0_20block_scan_algorithmE0ELj4294967295EEENS1_25partition_config_selectorILNS1_17partition_subalgoE4EjNS0_10empty_typeEbEEZZNS1_14partition_implILS8_4ELb0ES6_15HIP_vector_typeIjLj2EENS0_17counting_iteratorIjlEEPS9_SG_NS0_5tupleIJPjSI_NS0_16reverse_iteratorISI_EEEEENSH_IJSG_SG_SG_EEES9_SI_JZNS1_25segmented_radix_sort_implINS0_14default_configELb1EPKiPiPKlPlN2at6native12_GLOBAL__N_18offset_tEEE10hipError_tPvRmT1_PNSt15iterator_traitsIS12_E10value_typeET2_T3_PNS13_IS18_E10value_typeET4_jRbjT5_S1E_jjP12ihipStream_tbEUljE_ZNSN_ISO_Lb1ESQ_SR_ST_SU_SY_EESZ_S10_S11_S12_S16_S17_S18_S1B_S1C_jS1D_jS1E_S1E_jjS1G_bEUljE0_EEESZ_S10_S11_S18_S1C_S1E_T6_T7_T9_mT8_S1G_bDpT10_ENKUlT_T0_E_clISt17integral_constantIbLb1EES1U_EEDaS1P_S1Q_EUlS1P_E_NS1_11comp_targetILNS1_3genE10ELNS1_11target_archE1200ELNS1_3gpuE4ELNS1_3repE0EEENS1_30default_config_static_selectorELNS0_4arch9wavefront6targetE0EEEvS12_
; %bb.0:
	.section	.rodata,"a",@progbits
	.p2align	6, 0x0
	.amdhsa_kernel _ZN7rocprim17ROCPRIM_400000_NS6detail17trampoline_kernelINS0_13select_configILj256ELj13ELNS0_17block_load_methodE3ELS4_3ELS4_3ELNS0_20block_scan_algorithmE0ELj4294967295EEENS1_25partition_config_selectorILNS1_17partition_subalgoE4EjNS0_10empty_typeEbEEZZNS1_14partition_implILS8_4ELb0ES6_15HIP_vector_typeIjLj2EENS0_17counting_iteratorIjlEEPS9_SG_NS0_5tupleIJPjSI_NS0_16reverse_iteratorISI_EEEEENSH_IJSG_SG_SG_EEES9_SI_JZNS1_25segmented_radix_sort_implINS0_14default_configELb1EPKiPiPKlPlN2at6native12_GLOBAL__N_18offset_tEEE10hipError_tPvRmT1_PNSt15iterator_traitsIS12_E10value_typeET2_T3_PNS13_IS18_E10value_typeET4_jRbjT5_S1E_jjP12ihipStream_tbEUljE_ZNSN_ISO_Lb1ESQ_SR_ST_SU_SY_EESZ_S10_S11_S12_S16_S17_S18_S1B_S1C_jS1D_jS1E_S1E_jjS1G_bEUljE0_EEESZ_S10_S11_S18_S1C_S1E_T6_T7_T9_mT8_S1G_bDpT10_ENKUlT_T0_E_clISt17integral_constantIbLb1EES1U_EEDaS1P_S1Q_EUlS1P_E_NS1_11comp_targetILNS1_3genE10ELNS1_11target_archE1200ELNS1_3gpuE4ELNS1_3repE0EEENS1_30default_config_static_selectorELNS0_4arch9wavefront6targetE0EEEvS12_
		.amdhsa_group_segment_fixed_size 0
		.amdhsa_private_segment_fixed_size 0
		.amdhsa_kernarg_size 184
		.amdhsa_user_sgpr_count 15
		.amdhsa_user_sgpr_dispatch_ptr 0
		.amdhsa_user_sgpr_queue_ptr 0
		.amdhsa_user_sgpr_kernarg_segment_ptr 1
		.amdhsa_user_sgpr_dispatch_id 0
		.amdhsa_user_sgpr_private_segment_size 0
		.amdhsa_wavefront_size32 1
		.amdhsa_uses_dynamic_stack 0
		.amdhsa_enable_private_segment 0
		.amdhsa_system_sgpr_workgroup_id_x 1
		.amdhsa_system_sgpr_workgroup_id_y 0
		.amdhsa_system_sgpr_workgroup_id_z 0
		.amdhsa_system_sgpr_workgroup_info 0
		.amdhsa_system_vgpr_workitem_id 0
		.amdhsa_next_free_vgpr 1
		.amdhsa_next_free_sgpr 1
		.amdhsa_reserve_vcc 0
		.amdhsa_float_round_mode_32 0
		.amdhsa_float_round_mode_16_64 0
		.amdhsa_float_denorm_mode_32 3
		.amdhsa_float_denorm_mode_16_64 3
		.amdhsa_dx10_clamp 1
		.amdhsa_ieee_mode 1
		.amdhsa_fp16_overflow 0
		.amdhsa_workgroup_processor_mode 1
		.amdhsa_memory_ordered 1
		.amdhsa_forward_progress 0
		.amdhsa_shared_vgpr_count 0
		.amdhsa_exception_fp_ieee_invalid_op 0
		.amdhsa_exception_fp_denorm_src 0
		.amdhsa_exception_fp_ieee_div_zero 0
		.amdhsa_exception_fp_ieee_overflow 0
		.amdhsa_exception_fp_ieee_underflow 0
		.amdhsa_exception_fp_ieee_inexact 0
		.amdhsa_exception_int_div_zero 0
	.end_amdhsa_kernel
	.section	.text._ZN7rocprim17ROCPRIM_400000_NS6detail17trampoline_kernelINS0_13select_configILj256ELj13ELNS0_17block_load_methodE3ELS4_3ELS4_3ELNS0_20block_scan_algorithmE0ELj4294967295EEENS1_25partition_config_selectorILNS1_17partition_subalgoE4EjNS0_10empty_typeEbEEZZNS1_14partition_implILS8_4ELb0ES6_15HIP_vector_typeIjLj2EENS0_17counting_iteratorIjlEEPS9_SG_NS0_5tupleIJPjSI_NS0_16reverse_iteratorISI_EEEEENSH_IJSG_SG_SG_EEES9_SI_JZNS1_25segmented_radix_sort_implINS0_14default_configELb1EPKiPiPKlPlN2at6native12_GLOBAL__N_18offset_tEEE10hipError_tPvRmT1_PNSt15iterator_traitsIS12_E10value_typeET2_T3_PNS13_IS18_E10value_typeET4_jRbjT5_S1E_jjP12ihipStream_tbEUljE_ZNSN_ISO_Lb1ESQ_SR_ST_SU_SY_EESZ_S10_S11_S12_S16_S17_S18_S1B_S1C_jS1D_jS1E_S1E_jjS1G_bEUljE0_EEESZ_S10_S11_S18_S1C_S1E_T6_T7_T9_mT8_S1G_bDpT10_ENKUlT_T0_E_clISt17integral_constantIbLb1EES1U_EEDaS1P_S1Q_EUlS1P_E_NS1_11comp_targetILNS1_3genE10ELNS1_11target_archE1200ELNS1_3gpuE4ELNS1_3repE0EEENS1_30default_config_static_selectorELNS0_4arch9wavefront6targetE0EEEvS12_,"axG",@progbits,_ZN7rocprim17ROCPRIM_400000_NS6detail17trampoline_kernelINS0_13select_configILj256ELj13ELNS0_17block_load_methodE3ELS4_3ELS4_3ELNS0_20block_scan_algorithmE0ELj4294967295EEENS1_25partition_config_selectorILNS1_17partition_subalgoE4EjNS0_10empty_typeEbEEZZNS1_14partition_implILS8_4ELb0ES6_15HIP_vector_typeIjLj2EENS0_17counting_iteratorIjlEEPS9_SG_NS0_5tupleIJPjSI_NS0_16reverse_iteratorISI_EEEEENSH_IJSG_SG_SG_EEES9_SI_JZNS1_25segmented_radix_sort_implINS0_14default_configELb1EPKiPiPKlPlN2at6native12_GLOBAL__N_18offset_tEEE10hipError_tPvRmT1_PNSt15iterator_traitsIS12_E10value_typeET2_T3_PNS13_IS18_E10value_typeET4_jRbjT5_S1E_jjP12ihipStream_tbEUljE_ZNSN_ISO_Lb1ESQ_SR_ST_SU_SY_EESZ_S10_S11_S12_S16_S17_S18_S1B_S1C_jS1D_jS1E_S1E_jjS1G_bEUljE0_EEESZ_S10_S11_S18_S1C_S1E_T6_T7_T9_mT8_S1G_bDpT10_ENKUlT_T0_E_clISt17integral_constantIbLb1EES1U_EEDaS1P_S1Q_EUlS1P_E_NS1_11comp_targetILNS1_3genE10ELNS1_11target_archE1200ELNS1_3gpuE4ELNS1_3repE0EEENS1_30default_config_static_selectorELNS0_4arch9wavefront6targetE0EEEvS12_,comdat
.Lfunc_end446:
	.size	_ZN7rocprim17ROCPRIM_400000_NS6detail17trampoline_kernelINS0_13select_configILj256ELj13ELNS0_17block_load_methodE3ELS4_3ELS4_3ELNS0_20block_scan_algorithmE0ELj4294967295EEENS1_25partition_config_selectorILNS1_17partition_subalgoE4EjNS0_10empty_typeEbEEZZNS1_14partition_implILS8_4ELb0ES6_15HIP_vector_typeIjLj2EENS0_17counting_iteratorIjlEEPS9_SG_NS0_5tupleIJPjSI_NS0_16reverse_iteratorISI_EEEEENSH_IJSG_SG_SG_EEES9_SI_JZNS1_25segmented_radix_sort_implINS0_14default_configELb1EPKiPiPKlPlN2at6native12_GLOBAL__N_18offset_tEEE10hipError_tPvRmT1_PNSt15iterator_traitsIS12_E10value_typeET2_T3_PNS13_IS18_E10value_typeET4_jRbjT5_S1E_jjP12ihipStream_tbEUljE_ZNSN_ISO_Lb1ESQ_SR_ST_SU_SY_EESZ_S10_S11_S12_S16_S17_S18_S1B_S1C_jS1D_jS1E_S1E_jjS1G_bEUljE0_EEESZ_S10_S11_S18_S1C_S1E_T6_T7_T9_mT8_S1G_bDpT10_ENKUlT_T0_E_clISt17integral_constantIbLb1EES1U_EEDaS1P_S1Q_EUlS1P_E_NS1_11comp_targetILNS1_3genE10ELNS1_11target_archE1200ELNS1_3gpuE4ELNS1_3repE0EEENS1_30default_config_static_selectorELNS0_4arch9wavefront6targetE0EEEvS12_, .Lfunc_end446-_ZN7rocprim17ROCPRIM_400000_NS6detail17trampoline_kernelINS0_13select_configILj256ELj13ELNS0_17block_load_methodE3ELS4_3ELS4_3ELNS0_20block_scan_algorithmE0ELj4294967295EEENS1_25partition_config_selectorILNS1_17partition_subalgoE4EjNS0_10empty_typeEbEEZZNS1_14partition_implILS8_4ELb0ES6_15HIP_vector_typeIjLj2EENS0_17counting_iteratorIjlEEPS9_SG_NS0_5tupleIJPjSI_NS0_16reverse_iteratorISI_EEEEENSH_IJSG_SG_SG_EEES9_SI_JZNS1_25segmented_radix_sort_implINS0_14default_configELb1EPKiPiPKlPlN2at6native12_GLOBAL__N_18offset_tEEE10hipError_tPvRmT1_PNSt15iterator_traitsIS12_E10value_typeET2_T3_PNS13_IS18_E10value_typeET4_jRbjT5_S1E_jjP12ihipStream_tbEUljE_ZNSN_ISO_Lb1ESQ_SR_ST_SU_SY_EESZ_S10_S11_S12_S16_S17_S18_S1B_S1C_jS1D_jS1E_S1E_jjS1G_bEUljE0_EEESZ_S10_S11_S18_S1C_S1E_T6_T7_T9_mT8_S1G_bDpT10_ENKUlT_T0_E_clISt17integral_constantIbLb1EES1U_EEDaS1P_S1Q_EUlS1P_E_NS1_11comp_targetILNS1_3genE10ELNS1_11target_archE1200ELNS1_3gpuE4ELNS1_3repE0EEENS1_30default_config_static_selectorELNS0_4arch9wavefront6targetE0EEEvS12_
                                        ; -- End function
	.section	.AMDGPU.csdata,"",@progbits
; Kernel info:
; codeLenInByte = 0
; NumSgprs: 0
; NumVgprs: 0
; ScratchSize: 0
; MemoryBound: 0
; FloatMode: 240
; IeeeMode: 1
; LDSByteSize: 0 bytes/workgroup (compile time only)
; SGPRBlocks: 0
; VGPRBlocks: 0
; NumSGPRsForWavesPerEU: 1
; NumVGPRsForWavesPerEU: 1
; Occupancy: 16
; WaveLimiterHint : 0
; COMPUTE_PGM_RSRC2:SCRATCH_EN: 0
; COMPUTE_PGM_RSRC2:USER_SGPR: 15
; COMPUTE_PGM_RSRC2:TRAP_HANDLER: 0
; COMPUTE_PGM_RSRC2:TGID_X_EN: 1
; COMPUTE_PGM_RSRC2:TGID_Y_EN: 0
; COMPUTE_PGM_RSRC2:TGID_Z_EN: 0
; COMPUTE_PGM_RSRC2:TIDIG_COMP_CNT: 0
	.section	.text._ZN7rocprim17ROCPRIM_400000_NS6detail17trampoline_kernelINS0_13select_configILj256ELj13ELNS0_17block_load_methodE3ELS4_3ELS4_3ELNS0_20block_scan_algorithmE0ELj4294967295EEENS1_25partition_config_selectorILNS1_17partition_subalgoE4EjNS0_10empty_typeEbEEZZNS1_14partition_implILS8_4ELb0ES6_15HIP_vector_typeIjLj2EENS0_17counting_iteratorIjlEEPS9_SG_NS0_5tupleIJPjSI_NS0_16reverse_iteratorISI_EEEEENSH_IJSG_SG_SG_EEES9_SI_JZNS1_25segmented_radix_sort_implINS0_14default_configELb1EPKiPiPKlPlN2at6native12_GLOBAL__N_18offset_tEEE10hipError_tPvRmT1_PNSt15iterator_traitsIS12_E10value_typeET2_T3_PNS13_IS18_E10value_typeET4_jRbjT5_S1E_jjP12ihipStream_tbEUljE_ZNSN_ISO_Lb1ESQ_SR_ST_SU_SY_EESZ_S10_S11_S12_S16_S17_S18_S1B_S1C_jS1D_jS1E_S1E_jjS1G_bEUljE0_EEESZ_S10_S11_S18_S1C_S1E_T6_T7_T9_mT8_S1G_bDpT10_ENKUlT_T0_E_clISt17integral_constantIbLb1EES1U_EEDaS1P_S1Q_EUlS1P_E_NS1_11comp_targetILNS1_3genE9ELNS1_11target_archE1100ELNS1_3gpuE3ELNS1_3repE0EEENS1_30default_config_static_selectorELNS0_4arch9wavefront6targetE0EEEvS12_,"axG",@progbits,_ZN7rocprim17ROCPRIM_400000_NS6detail17trampoline_kernelINS0_13select_configILj256ELj13ELNS0_17block_load_methodE3ELS4_3ELS4_3ELNS0_20block_scan_algorithmE0ELj4294967295EEENS1_25partition_config_selectorILNS1_17partition_subalgoE4EjNS0_10empty_typeEbEEZZNS1_14partition_implILS8_4ELb0ES6_15HIP_vector_typeIjLj2EENS0_17counting_iteratorIjlEEPS9_SG_NS0_5tupleIJPjSI_NS0_16reverse_iteratorISI_EEEEENSH_IJSG_SG_SG_EEES9_SI_JZNS1_25segmented_radix_sort_implINS0_14default_configELb1EPKiPiPKlPlN2at6native12_GLOBAL__N_18offset_tEEE10hipError_tPvRmT1_PNSt15iterator_traitsIS12_E10value_typeET2_T3_PNS13_IS18_E10value_typeET4_jRbjT5_S1E_jjP12ihipStream_tbEUljE_ZNSN_ISO_Lb1ESQ_SR_ST_SU_SY_EESZ_S10_S11_S12_S16_S17_S18_S1B_S1C_jS1D_jS1E_S1E_jjS1G_bEUljE0_EEESZ_S10_S11_S18_S1C_S1E_T6_T7_T9_mT8_S1G_bDpT10_ENKUlT_T0_E_clISt17integral_constantIbLb1EES1U_EEDaS1P_S1Q_EUlS1P_E_NS1_11comp_targetILNS1_3genE9ELNS1_11target_archE1100ELNS1_3gpuE3ELNS1_3repE0EEENS1_30default_config_static_selectorELNS0_4arch9wavefront6targetE0EEEvS12_,comdat
	.globl	_ZN7rocprim17ROCPRIM_400000_NS6detail17trampoline_kernelINS0_13select_configILj256ELj13ELNS0_17block_load_methodE3ELS4_3ELS4_3ELNS0_20block_scan_algorithmE0ELj4294967295EEENS1_25partition_config_selectorILNS1_17partition_subalgoE4EjNS0_10empty_typeEbEEZZNS1_14partition_implILS8_4ELb0ES6_15HIP_vector_typeIjLj2EENS0_17counting_iteratorIjlEEPS9_SG_NS0_5tupleIJPjSI_NS0_16reverse_iteratorISI_EEEEENSH_IJSG_SG_SG_EEES9_SI_JZNS1_25segmented_radix_sort_implINS0_14default_configELb1EPKiPiPKlPlN2at6native12_GLOBAL__N_18offset_tEEE10hipError_tPvRmT1_PNSt15iterator_traitsIS12_E10value_typeET2_T3_PNS13_IS18_E10value_typeET4_jRbjT5_S1E_jjP12ihipStream_tbEUljE_ZNSN_ISO_Lb1ESQ_SR_ST_SU_SY_EESZ_S10_S11_S12_S16_S17_S18_S1B_S1C_jS1D_jS1E_S1E_jjS1G_bEUljE0_EEESZ_S10_S11_S18_S1C_S1E_T6_T7_T9_mT8_S1G_bDpT10_ENKUlT_T0_E_clISt17integral_constantIbLb1EES1U_EEDaS1P_S1Q_EUlS1P_E_NS1_11comp_targetILNS1_3genE9ELNS1_11target_archE1100ELNS1_3gpuE3ELNS1_3repE0EEENS1_30default_config_static_selectorELNS0_4arch9wavefront6targetE0EEEvS12_ ; -- Begin function _ZN7rocprim17ROCPRIM_400000_NS6detail17trampoline_kernelINS0_13select_configILj256ELj13ELNS0_17block_load_methodE3ELS4_3ELS4_3ELNS0_20block_scan_algorithmE0ELj4294967295EEENS1_25partition_config_selectorILNS1_17partition_subalgoE4EjNS0_10empty_typeEbEEZZNS1_14partition_implILS8_4ELb0ES6_15HIP_vector_typeIjLj2EENS0_17counting_iteratorIjlEEPS9_SG_NS0_5tupleIJPjSI_NS0_16reverse_iteratorISI_EEEEENSH_IJSG_SG_SG_EEES9_SI_JZNS1_25segmented_radix_sort_implINS0_14default_configELb1EPKiPiPKlPlN2at6native12_GLOBAL__N_18offset_tEEE10hipError_tPvRmT1_PNSt15iterator_traitsIS12_E10value_typeET2_T3_PNS13_IS18_E10value_typeET4_jRbjT5_S1E_jjP12ihipStream_tbEUljE_ZNSN_ISO_Lb1ESQ_SR_ST_SU_SY_EESZ_S10_S11_S12_S16_S17_S18_S1B_S1C_jS1D_jS1E_S1E_jjS1G_bEUljE0_EEESZ_S10_S11_S18_S1C_S1E_T6_T7_T9_mT8_S1G_bDpT10_ENKUlT_T0_E_clISt17integral_constantIbLb1EES1U_EEDaS1P_S1Q_EUlS1P_E_NS1_11comp_targetILNS1_3genE9ELNS1_11target_archE1100ELNS1_3gpuE3ELNS1_3repE0EEENS1_30default_config_static_selectorELNS0_4arch9wavefront6targetE0EEEvS12_
	.p2align	8
	.type	_ZN7rocprim17ROCPRIM_400000_NS6detail17trampoline_kernelINS0_13select_configILj256ELj13ELNS0_17block_load_methodE3ELS4_3ELS4_3ELNS0_20block_scan_algorithmE0ELj4294967295EEENS1_25partition_config_selectorILNS1_17partition_subalgoE4EjNS0_10empty_typeEbEEZZNS1_14partition_implILS8_4ELb0ES6_15HIP_vector_typeIjLj2EENS0_17counting_iteratorIjlEEPS9_SG_NS0_5tupleIJPjSI_NS0_16reverse_iteratorISI_EEEEENSH_IJSG_SG_SG_EEES9_SI_JZNS1_25segmented_radix_sort_implINS0_14default_configELb1EPKiPiPKlPlN2at6native12_GLOBAL__N_18offset_tEEE10hipError_tPvRmT1_PNSt15iterator_traitsIS12_E10value_typeET2_T3_PNS13_IS18_E10value_typeET4_jRbjT5_S1E_jjP12ihipStream_tbEUljE_ZNSN_ISO_Lb1ESQ_SR_ST_SU_SY_EESZ_S10_S11_S12_S16_S17_S18_S1B_S1C_jS1D_jS1E_S1E_jjS1G_bEUljE0_EEESZ_S10_S11_S18_S1C_S1E_T6_T7_T9_mT8_S1G_bDpT10_ENKUlT_T0_E_clISt17integral_constantIbLb1EES1U_EEDaS1P_S1Q_EUlS1P_E_NS1_11comp_targetILNS1_3genE9ELNS1_11target_archE1100ELNS1_3gpuE3ELNS1_3repE0EEENS1_30default_config_static_selectorELNS0_4arch9wavefront6targetE0EEEvS12_,@function
_ZN7rocprim17ROCPRIM_400000_NS6detail17trampoline_kernelINS0_13select_configILj256ELj13ELNS0_17block_load_methodE3ELS4_3ELS4_3ELNS0_20block_scan_algorithmE0ELj4294967295EEENS1_25partition_config_selectorILNS1_17partition_subalgoE4EjNS0_10empty_typeEbEEZZNS1_14partition_implILS8_4ELb0ES6_15HIP_vector_typeIjLj2EENS0_17counting_iteratorIjlEEPS9_SG_NS0_5tupleIJPjSI_NS0_16reverse_iteratorISI_EEEEENSH_IJSG_SG_SG_EEES9_SI_JZNS1_25segmented_radix_sort_implINS0_14default_configELb1EPKiPiPKlPlN2at6native12_GLOBAL__N_18offset_tEEE10hipError_tPvRmT1_PNSt15iterator_traitsIS12_E10value_typeET2_T3_PNS13_IS18_E10value_typeET4_jRbjT5_S1E_jjP12ihipStream_tbEUljE_ZNSN_ISO_Lb1ESQ_SR_ST_SU_SY_EESZ_S10_S11_S12_S16_S17_S18_S1B_S1C_jS1D_jS1E_S1E_jjS1G_bEUljE0_EEESZ_S10_S11_S18_S1C_S1E_T6_T7_T9_mT8_S1G_bDpT10_ENKUlT_T0_E_clISt17integral_constantIbLb1EES1U_EEDaS1P_S1Q_EUlS1P_E_NS1_11comp_targetILNS1_3genE9ELNS1_11target_archE1100ELNS1_3gpuE3ELNS1_3repE0EEENS1_30default_config_static_selectorELNS0_4arch9wavefront6targetE0EEEvS12_: ; @_ZN7rocprim17ROCPRIM_400000_NS6detail17trampoline_kernelINS0_13select_configILj256ELj13ELNS0_17block_load_methodE3ELS4_3ELS4_3ELNS0_20block_scan_algorithmE0ELj4294967295EEENS1_25partition_config_selectorILNS1_17partition_subalgoE4EjNS0_10empty_typeEbEEZZNS1_14partition_implILS8_4ELb0ES6_15HIP_vector_typeIjLj2EENS0_17counting_iteratorIjlEEPS9_SG_NS0_5tupleIJPjSI_NS0_16reverse_iteratorISI_EEEEENSH_IJSG_SG_SG_EEES9_SI_JZNS1_25segmented_radix_sort_implINS0_14default_configELb1EPKiPiPKlPlN2at6native12_GLOBAL__N_18offset_tEEE10hipError_tPvRmT1_PNSt15iterator_traitsIS12_E10value_typeET2_T3_PNS13_IS18_E10value_typeET4_jRbjT5_S1E_jjP12ihipStream_tbEUljE_ZNSN_ISO_Lb1ESQ_SR_ST_SU_SY_EESZ_S10_S11_S12_S16_S17_S18_S1B_S1C_jS1D_jS1E_S1E_jjS1G_bEUljE0_EEESZ_S10_S11_S18_S1C_S1E_T6_T7_T9_mT8_S1G_bDpT10_ENKUlT_T0_E_clISt17integral_constantIbLb1EES1U_EEDaS1P_S1Q_EUlS1P_E_NS1_11comp_targetILNS1_3genE9ELNS1_11target_archE1100ELNS1_3gpuE3ELNS1_3repE0EEENS1_30default_config_static_selectorELNS0_4arch9wavefront6targetE0EEEvS12_
; %bb.0:
	s_clause 0x7
	s_load_b64 s[34:35], s[0:1], 0x10
	s_load_b128 s[28:31], s[0:1], 0x28
	s_load_b64 s[14:15], s[0:1], 0x38
	s_load_b128 s[24:27], s[0:1], 0x58
	s_load_b64 s[4:5], s[0:1], 0x68
	s_load_b64 s[36:37], s[0:1], 0x78
	;; [unrolled: 1-line block ×3, first 2 shown]
	s_load_b256 s[16:23], s[0:1], 0x90
	v_cmp_eq_u32_e64 s2, 0, v0
	s_delay_alu instid0(VALU_DEP_1)
	s_and_saveexec_b32 s3, s2
	s_cbranch_execz .LBB447_4
; %bb.1:
	s_mov_b32 s7, exec_lo
	s_mov_b32 s6, exec_lo
	v_mbcnt_lo_u32_b32 v1, s7, 0
                                        ; implicit-def: $vgpr2
	s_delay_alu instid0(VALU_DEP_1)
	v_cmpx_eq_u32_e32 0, v1
	s_cbranch_execz .LBB447_3
; %bb.2:
	s_load_b64 s[8:9], s[0:1], 0x88
	s_bcnt1_i32_b32 s7, s7
	s_delay_alu instid0(SALU_CYCLE_1)
	v_dual_mov_b32 v2, 0 :: v_dual_mov_b32 v3, s7
	s_waitcnt lgkmcnt(0)
	global_atomic_add_u32 v2, v2, v3, s[8:9] glc
.LBB447_3:
	s_or_b32 exec_lo, exec_lo, s6
	s_waitcnt vmcnt(0)
	v_readfirstlane_b32 s6, v2
	s_delay_alu instid0(VALU_DEP_1)
	v_dual_mov_b32 v2, 0 :: v_dual_add_nc_u32 v1, s6, v1
	ds_store_b32 v2, v1
.LBB447_4:
	s_or_b32 exec_lo, exec_lo, s3
	v_mov_b32_e32 v1, 0
	s_clause 0x1
	s_load_b32 s3, s[0:1], 0x8
	s_load_b32 s0, s[0:1], 0x80
	s_waitcnt lgkmcnt(0)
	s_barrier
	buffer_gl0_inv
	ds_load_b32 v5, v1
	s_waitcnt lgkmcnt(0)
	s_barrier
	buffer_gl0_inv
	global_load_b128 v[1:4], v1, s[26:27]
	s_add_i32 s3, s3, s34
	s_mul_i32 s1, s0, 0xd00
	s_add_i32 s0, s0, -1
	s_add_u32 s6, s34, s1
	s_addc_u32 s7, s35, 0
	v_mul_lo_u32 v30, 0xd00, v5
	v_readfirstlane_b32 s26, v5
	v_cmp_lt_u64_e64 s5, s[6:7], s[4:5]
	v_cmp_ne_u32_e32 vcc_lo, s0, v5
	s_delay_alu instid0(VALU_DEP_3) | instskip(SKIP_1) | instid1(VALU_DEP_4)
	s_cmp_eq_u32 s26, s0
	s_cselect_b32 s13, -1, 0
	v_add3_u32 v5, v30, s3, v0
	s_delay_alu instid0(VALU_DEP_3) | instskip(SKIP_2) | instid1(VALU_DEP_1)
	s_or_b32 s0, s5, vcc_lo
	s_mov_b32 s3, -1
	s_and_b32 vcc_lo, exec_lo, s0
	v_add_nc_u32_e32 v6, 0x100, v5
	v_add_nc_u32_e32 v7, 0x200, v5
	;; [unrolled: 1-line block ×12, first 2 shown]
	s_cbranch_vccz .LBB447_6
; %bb.5:
	v_lshlrev_b32_e32 v18, 2, v0
	s_mov_b32 s3, 0
	ds_store_2addr_stride64_b32 v18, v5, v6 offset1:4
	ds_store_2addr_stride64_b32 v18, v7, v8 offset0:8 offset1:12
	ds_store_2addr_stride64_b32 v18, v9, v10 offset0:16 offset1:20
	;; [unrolled: 1-line block ×5, first 2 shown]
	ds_store_b32 v18, v17 offset:12288
	s_waitcnt vmcnt(0) lgkmcnt(0)
	s_barrier
.LBB447_6:
	s_and_not1_b32 vcc_lo, exec_lo, s3
	s_add_i32 s1, s1, s34
	s_cbranch_vccnz .LBB447_8
; %bb.7:
	v_lshlrev_b32_e32 v18, 2, v0
	ds_store_2addr_stride64_b32 v18, v5, v6 offset1:4
	ds_store_2addr_stride64_b32 v18, v7, v8 offset0:8 offset1:12
	ds_store_2addr_stride64_b32 v18, v9, v10 offset0:16 offset1:20
	;; [unrolled: 1-line block ×5, first 2 shown]
	ds_store_b32 v18, v17 offset:12288
	s_waitcnt vmcnt(0) lgkmcnt(0)
	s_barrier
.LBB447_8:
	v_mul_u32_u24_e32 v33, 13, v0
	s_waitcnt vmcnt(0)
	buffer_gl0_inv
	v_cndmask_b32_e64 v31, 0, 1, s0
	s_sub_i32 s40, s4, s1
	s_and_not1_b32 vcc_lo, exec_lo, s0
	v_lshlrev_b32_e32 v5, 2, v33
	ds_load_2addr_b32 v[20:21], v5 offset1:1
	ds_load_2addr_b32 v[18:19], v5 offset0:2 offset1:3
	ds_load_2addr_b32 v[16:17], v5 offset0:4 offset1:5
	;; [unrolled: 1-line block ×5, first 2 shown]
	ds_load_b32 v32, v5 offset:48
	s_waitcnt lgkmcnt(0)
	s_barrier
	buffer_gl0_inv
	s_cbranch_vccnz .LBB447_36
; %bb.9:
	v_add_nc_u32_e32 v5, s17, v20
	v_add_nc_u32_e32 v6, s19, v20
	s_mov_b32 s42, 0
	s_mov_b32 s41, 0
	s_mov_b32 s1, exec_lo
	v_mul_lo_u32 v5, v5, s16
	v_mul_lo_u32 v6, v6, s18
	s_delay_alu instid0(VALU_DEP_1) | instskip(NEXT) | instid1(VALU_DEP_1)
	v_sub_nc_u32_e32 v5, v5, v6
	v_cmp_lt_u32_e32 vcc_lo, s20, v5
	v_cmpx_ge_u32_e64 s20, v5
; %bb.10:
	v_add_nc_u32_e32 v5, s22, v20
	v_add_nc_u32_e32 v6, s38, v20
	s_delay_alu instid0(VALU_DEP_2) | instskip(NEXT) | instid1(VALU_DEP_2)
	v_mul_lo_u32 v5, v5, s21
	v_mul_lo_u32 v6, v6, s23
	s_delay_alu instid0(VALU_DEP_1) | instskip(NEXT) | instid1(VALU_DEP_1)
	v_sub_nc_u32_e32 v5, v5, v6
	v_cmp_lt_u32_e64 s0, s39, v5
	s_delay_alu instid0(VALU_DEP_1)
	s_and_b32 s41, s0, exec_lo
; %bb.11:
	s_or_b32 exec_lo, exec_lo, s1
	v_add_nc_u32_e32 v5, s17, v21
	v_add_nc_u32_e32 v6, s19, v21
	s_mov_b32 s3, exec_lo
	s_delay_alu instid0(VALU_DEP_2) | instskip(NEXT) | instid1(VALU_DEP_2)
	v_mul_lo_u32 v5, v5, s16
	v_mul_lo_u32 v6, v6, s18
	s_delay_alu instid0(VALU_DEP_1) | instskip(NEXT) | instid1(VALU_DEP_1)
	v_sub_nc_u32_e32 v5, v5, v6
	v_cmp_lt_u32_e64 s0, s20, v5
	v_cmpx_ge_u32_e64 s20, v5
; %bb.12:
	v_add_nc_u32_e32 v5, s22, v21
	v_add_nc_u32_e32 v6, s38, v21
	s_delay_alu instid0(VALU_DEP_2) | instskip(NEXT) | instid1(VALU_DEP_2)
	v_mul_lo_u32 v5, v5, s21
	v_mul_lo_u32 v6, v6, s23
	s_delay_alu instid0(VALU_DEP_1) | instskip(NEXT) | instid1(VALU_DEP_1)
	v_sub_nc_u32_e32 v5, v5, v6
	v_cmp_lt_u32_e64 s1, s39, v5
	s_delay_alu instid0(VALU_DEP_1)
	s_and_b32 s42, s1, exec_lo
; %bb.13:
	s_or_b32 exec_lo, exec_lo, s3
	v_add_nc_u32_e32 v5, s17, v18
	v_add_nc_u32_e32 v6, s19, v18
	s_mov_b32 s44, 0
	s_mov_b32 s43, 0
	s_mov_b32 s4, exec_lo
	v_mul_lo_u32 v5, v5, s16
	v_mul_lo_u32 v6, v6, s18
	s_delay_alu instid0(VALU_DEP_1) | instskip(NEXT) | instid1(VALU_DEP_1)
	v_sub_nc_u32_e32 v5, v5, v6
	v_cmp_lt_u32_e64 s1, s20, v5
	v_cmpx_ge_u32_e64 s20, v5
; %bb.14:
	v_add_nc_u32_e32 v5, s22, v18
	v_add_nc_u32_e32 v6, s38, v18
	s_delay_alu instid0(VALU_DEP_2) | instskip(NEXT) | instid1(VALU_DEP_2)
	v_mul_lo_u32 v5, v5, s21
	v_mul_lo_u32 v6, v6, s23
	s_delay_alu instid0(VALU_DEP_1) | instskip(NEXT) | instid1(VALU_DEP_1)
	v_sub_nc_u32_e32 v5, v5, v6
	v_cmp_lt_u32_e64 s3, s39, v5
	s_delay_alu instid0(VALU_DEP_1)
	s_and_b32 s43, s3, exec_lo
; %bb.15:
	s_or_b32 exec_lo, exec_lo, s4
	v_add_nc_u32_e32 v5, s17, v19
	v_add_nc_u32_e32 v6, s19, v19
	s_mov_b32 s5, exec_lo
	s_delay_alu instid0(VALU_DEP_2) | instskip(NEXT) | instid1(VALU_DEP_2)
	v_mul_lo_u32 v5, v5, s16
	v_mul_lo_u32 v6, v6, s18
	s_delay_alu instid0(VALU_DEP_1) | instskip(NEXT) | instid1(VALU_DEP_1)
	v_sub_nc_u32_e32 v5, v5, v6
	v_cmp_lt_u32_e64 s3, s20, v5
	v_cmpx_ge_u32_e64 s20, v5
; %bb.16:
	v_add_nc_u32_e32 v5, s22, v19
	v_add_nc_u32_e32 v6, s38, v19
	s_delay_alu instid0(VALU_DEP_2) | instskip(NEXT) | instid1(VALU_DEP_2)
	v_mul_lo_u32 v5, v5, s21
	v_mul_lo_u32 v6, v6, s23
	s_delay_alu instid0(VALU_DEP_1) | instskip(NEXT) | instid1(VALU_DEP_1)
	v_sub_nc_u32_e32 v5, v5, v6
	v_cmp_lt_u32_e64 s4, s39, v5
	s_delay_alu instid0(VALU_DEP_1)
	s_and_b32 s44, s4, exec_lo
; %bb.17:
	s_or_b32 exec_lo, exec_lo, s5
	v_add_nc_u32_e32 v5, s17, v16
	v_add_nc_u32_e32 v6, s19, v16
	s_mov_b32 s46, 0
	s_mov_b32 s45, 0
	s_mov_b32 s6, exec_lo
	v_mul_lo_u32 v5, v5, s16
	v_mul_lo_u32 v6, v6, s18
	s_delay_alu instid0(VALU_DEP_1) | instskip(NEXT) | instid1(VALU_DEP_1)
	v_sub_nc_u32_e32 v5, v5, v6
	v_cmp_lt_u32_e64 s4, s20, v5
	;; [unrolled: 47-line block ×5, first 2 shown]
	v_cmpx_ge_u32_e64 s20, v5
; %bb.30:
	v_add_nc_u32_e32 v5, s22, v10
	v_add_nc_u32_e32 v6, s38, v10
	s_delay_alu instid0(VALU_DEP_2) | instskip(NEXT) | instid1(VALU_DEP_2)
	v_mul_lo_u32 v5, v5, s21
	v_mul_lo_u32 v6, v6, s23
	s_delay_alu instid0(VALU_DEP_1) | instskip(NEXT) | instid1(VALU_DEP_1)
	v_sub_nc_u32_e32 v5, v5, v6
	v_cmp_lt_u32_e64 s11, s39, v5
	s_delay_alu instid0(VALU_DEP_1)
	s_and_b32 s53, s11, exec_lo
; %bb.31:
	s_or_b32 exec_lo, exec_lo, s12
	v_add_nc_u32_e32 v5, s17, v11
	v_add_nc_u32_e32 v6, s19, v11
	s_mov_b32 s27, exec_lo
	s_delay_alu instid0(VALU_DEP_2) | instskip(NEXT) | instid1(VALU_DEP_2)
	v_mul_lo_u32 v5, v5, s16
	v_mul_lo_u32 v6, v6, s18
	s_delay_alu instid0(VALU_DEP_1) | instskip(NEXT) | instid1(VALU_DEP_1)
	v_sub_nc_u32_e32 v5, v5, v6
	v_cmp_lt_u32_e64 s11, s20, v5
	v_cmpx_ge_u32_e64 s20, v5
; %bb.32:
	v_add_nc_u32_e32 v5, s22, v11
	v_add_nc_u32_e32 v6, s38, v11
	s_delay_alu instid0(VALU_DEP_2) | instskip(NEXT) | instid1(VALU_DEP_2)
	v_mul_lo_u32 v5, v5, s21
	v_mul_lo_u32 v6, v6, s23
	s_delay_alu instid0(VALU_DEP_1) | instskip(NEXT) | instid1(VALU_DEP_1)
	v_sub_nc_u32_e32 v5, v5, v6
	v_cmp_lt_u32_e64 s12, s39, v5
	s_delay_alu instid0(VALU_DEP_1)
	s_and_b32 s52, s12, exec_lo
; %bb.33:
	s_or_b32 exec_lo, exec_lo, s27
	v_add_nc_u32_e32 v5, s17, v32
	v_add_nc_u32_e32 v6, s19, v32
	s_mov_b32 s27, -1
	s_mov_b32 s49, 0
	s_mov_b32 s33, 0
	v_mul_lo_u32 v5, v5, s16
	v_mul_lo_u32 v6, v6, s18
	s_mov_b32 s54, exec_lo
	s_delay_alu instid0(VALU_DEP_1) | instskip(NEXT) | instid1(VALU_DEP_1)
	v_sub_nc_u32_e32 v5, v5, v6
	v_cmpx_ge_u32_e64 s20, v5
; %bb.34:
	v_add_nc_u32_e32 v5, s22, v32
	v_add_nc_u32_e32 v6, s38, v32
	s_xor_b32 s27, exec_lo, -1
	s_delay_alu instid0(VALU_DEP_2) | instskip(NEXT) | instid1(VALU_DEP_2)
	v_mul_lo_u32 v5, v5, s21
	v_mul_lo_u32 v6, v6, s23
	s_delay_alu instid0(VALU_DEP_1) | instskip(NEXT) | instid1(VALU_DEP_1)
	v_sub_nc_u32_e32 v5, v5, v6
	v_cmp_lt_u32_e64 s12, s39, v5
	s_delay_alu instid0(VALU_DEP_1)
	s_and_b32 s33, s12, exec_lo
; %bb.35:
	s_or_b32 exec_lo, exec_lo, s54
	v_cndmask_b32_e64 v53, 0, 1, s53
	v_cndmask_b32_e64 v56, 0, 1, s11
	;; [unrolled: 1-line block ×22, first 2 shown]
	v_cndmask_b32_e64 v34, 0, 1, vcc_lo
	v_cndmask_b32_e64 v57, 0, 1, s52
	s_and_b32 vcc_lo, exec_lo, s49
	s_add_i32 s4, s40, 0xd00
	s_cbranch_vccnz .LBB447_37
	s_branch .LBB447_90
.LBB447_36:
                                        ; implicit-def: $sgpr27
                                        ; implicit-def: $sgpr33
                                        ; implicit-def: $vgpr57
                                        ; implicit-def: $vgpr53
                                        ; implicit-def: $vgpr52
                                        ; implicit-def: $vgpr50
                                        ; implicit-def: $vgpr48
                                        ; implicit-def: $vgpr46
                                        ; implicit-def: $vgpr44
                                        ; implicit-def: $vgpr42
                                        ; implicit-def: $vgpr39
                                        ; implicit-def: $vgpr34
                                        ; implicit-def: $vgpr37
                                        ; implicit-def: $vgpr36
                                        ; implicit-def: $vgpr41
                                        ; implicit-def: $vgpr43
                                        ; implicit-def: $vgpr45
                                        ; implicit-def: $vgpr47
                                        ; implicit-def: $vgpr49
                                        ; implicit-def: $vgpr51
                                        ; implicit-def: $vgpr54
                                        ; implicit-def: $vgpr55
                                        ; implicit-def: $vgpr56
                                        ; implicit-def: $vgpr35
                                        ; implicit-def: $vgpr40
                                        ; implicit-def: $vgpr38
	s_add_i32 s4, s40, 0xd00
	s_cbranch_execz .LBB447_90
.LBB447_37:
	v_dual_mov_b32 v35, 0 :: v_dual_mov_b32 v34, 0
	s_mov_b32 s3, 0
	s_mov_b32 s1, exec_lo
	v_cmpx_gt_u32_e64 s4, v33
	s_cbranch_execz .LBB447_41
; %bb.38:
	v_add_nc_u32_e32 v5, s17, v20
	v_add_nc_u32_e32 v6, s19, v20
	s_mov_b32 s5, exec_lo
	s_delay_alu instid0(VALU_DEP_2) | instskip(NEXT) | instid1(VALU_DEP_2)
	v_mul_lo_u32 v5, v5, s16
	v_mul_lo_u32 v6, v6, s18
	s_delay_alu instid0(VALU_DEP_1) | instskip(NEXT) | instid1(VALU_DEP_1)
	v_sub_nc_u32_e32 v5, v5, v6
	v_cmp_lt_u32_e32 vcc_lo, s20, v5
	v_cmpx_ge_u32_e64 s20, v5
; %bb.39:
	v_add_nc_u32_e32 v5, s22, v20
	v_add_nc_u32_e32 v6, s38, v20
	s_delay_alu instid0(VALU_DEP_2) | instskip(NEXT) | instid1(VALU_DEP_2)
	v_mul_lo_u32 v5, v5, s21
	v_mul_lo_u32 v6, v6, s23
	s_delay_alu instid0(VALU_DEP_1) | instskip(NEXT) | instid1(VALU_DEP_1)
	v_sub_nc_u32_e32 v5, v5, v6
	v_cmp_lt_u32_e64 s0, s39, v5
	s_delay_alu instid0(VALU_DEP_1)
	s_and_b32 s3, s0, exec_lo
; %bb.40:
	s_or_b32 exec_lo, exec_lo, s5
	v_cndmask_b32_e64 v34, 0, 1, vcc_lo
	v_cndmask_b32_e64 v35, 0, 1, s3
.LBB447_41:
	s_or_b32 exec_lo, exec_lo, s1
	v_dual_mov_b32 v40, 0 :: v_dual_add_nc_u32 v5, 1, v33
	v_mov_b32_e32 v37, 0
	s_mov_b32 s3, 0
	s_mov_b32 s1, exec_lo
	s_delay_alu instid0(VALU_DEP_2)
	v_cmpx_gt_u32_e64 s4, v5
	s_cbranch_execz .LBB447_45
; %bb.42:
	v_add_nc_u32_e32 v5, s17, v21
	v_add_nc_u32_e32 v6, s19, v21
	s_mov_b32 s5, exec_lo
	s_delay_alu instid0(VALU_DEP_2) | instskip(NEXT) | instid1(VALU_DEP_2)
	v_mul_lo_u32 v5, v5, s16
	v_mul_lo_u32 v6, v6, s18
	s_delay_alu instid0(VALU_DEP_1) | instskip(NEXT) | instid1(VALU_DEP_1)
	v_sub_nc_u32_e32 v5, v5, v6
	v_cmp_lt_u32_e32 vcc_lo, s20, v5
	v_cmpx_ge_u32_e64 s20, v5
; %bb.43:
	v_add_nc_u32_e32 v5, s22, v21
	v_add_nc_u32_e32 v6, s38, v21
	s_delay_alu instid0(VALU_DEP_2) | instskip(NEXT) | instid1(VALU_DEP_2)
	v_mul_lo_u32 v5, v5, s21
	v_mul_lo_u32 v6, v6, s23
	s_delay_alu instid0(VALU_DEP_1) | instskip(NEXT) | instid1(VALU_DEP_1)
	v_sub_nc_u32_e32 v5, v5, v6
	v_cmp_lt_u32_e64 s0, s39, v5
	s_delay_alu instid0(VALU_DEP_1)
	s_and_b32 s3, s0, exec_lo
; %bb.44:
	s_or_b32 exec_lo, exec_lo, s5
	v_cndmask_b32_e64 v37, 0, 1, vcc_lo
	v_cndmask_b32_e64 v40, 0, 1, s3
.LBB447_45:
	s_or_b32 exec_lo, exec_lo, s1
	v_dual_mov_b32 v36, 0 :: v_dual_add_nc_u32 v5, 2, v33
	v_mov_b32_e32 v38, 0
	s_mov_b32 s3, 0
	s_mov_b32 s1, exec_lo
	s_delay_alu instid0(VALU_DEP_2)
	v_cmpx_gt_u32_e64 s4, v5
	s_cbranch_execz .LBB447_49
; %bb.46:
	v_add_nc_u32_e32 v5, s17, v18
	v_add_nc_u32_e32 v6, s19, v18
	s_mov_b32 s5, exec_lo
	s_delay_alu instid0(VALU_DEP_2) | instskip(NEXT) | instid1(VALU_DEP_2)
	v_mul_lo_u32 v5, v5, s16
	v_mul_lo_u32 v6, v6, s18
	s_delay_alu instid0(VALU_DEP_1) | instskip(NEXT) | instid1(VALU_DEP_1)
	v_sub_nc_u32_e32 v5, v5, v6
	v_cmp_lt_u32_e32 vcc_lo, s20, v5
	v_cmpx_ge_u32_e64 s20, v5
; %bb.47:
	v_add_nc_u32_e32 v5, s22, v18
	v_add_nc_u32_e32 v6, s38, v18
	s_delay_alu instid0(VALU_DEP_2) | instskip(NEXT) | instid1(VALU_DEP_2)
	v_mul_lo_u32 v5, v5, s21
	v_mul_lo_u32 v6, v6, s23
	s_delay_alu instid0(VALU_DEP_1) | instskip(NEXT) | instid1(VALU_DEP_1)
	v_sub_nc_u32_e32 v5, v5, v6
	v_cmp_lt_u32_e64 s0, s39, v5
	s_delay_alu instid0(VALU_DEP_1)
	s_and_b32 s3, s0, exec_lo
; %bb.48:
	s_or_b32 exec_lo, exec_lo, s5
	v_cndmask_b32_e64 v36, 0, 1, vcc_lo
	v_cndmask_b32_e64 v38, 0, 1, s3
.LBB447_49:
	s_or_b32 exec_lo, exec_lo, s1
	v_add_nc_u32_e32 v5, 3, v33
	v_mov_b32_e32 v39, 0
	v_mov_b32_e32 v41, 0
	s_mov_b32 s3, 0
	s_mov_b32 s1, exec_lo
	v_cmpx_gt_u32_e64 s4, v5
	s_cbranch_execz .LBB447_53
; %bb.50:
	v_add_nc_u32_e32 v5, s17, v19
	v_add_nc_u32_e32 v6, s19, v19
	s_mov_b32 s5, exec_lo
	s_delay_alu instid0(VALU_DEP_2) | instskip(NEXT) | instid1(VALU_DEP_2)
	v_mul_lo_u32 v5, v5, s16
	v_mul_lo_u32 v6, v6, s18
	s_delay_alu instid0(VALU_DEP_1) | instskip(NEXT) | instid1(VALU_DEP_1)
	v_sub_nc_u32_e32 v5, v5, v6
	v_cmp_lt_u32_e32 vcc_lo, s20, v5
	v_cmpx_ge_u32_e64 s20, v5
; %bb.51:
	v_add_nc_u32_e32 v5, s22, v19
	v_add_nc_u32_e32 v6, s38, v19
	s_delay_alu instid0(VALU_DEP_2) | instskip(NEXT) | instid1(VALU_DEP_2)
	v_mul_lo_u32 v5, v5, s21
	v_mul_lo_u32 v6, v6, s23
	s_delay_alu instid0(VALU_DEP_1) | instskip(NEXT) | instid1(VALU_DEP_1)
	v_sub_nc_u32_e32 v5, v5, v6
	v_cmp_lt_u32_e64 s0, s39, v5
	s_delay_alu instid0(VALU_DEP_1)
	s_and_b32 s3, s0, exec_lo
; %bb.52:
	s_or_b32 exec_lo, exec_lo, s5
	v_cndmask_b32_e64 v41, 0, 1, vcc_lo
	v_cndmask_b32_e64 v39, 0, 1, s3
.LBB447_53:
	s_or_b32 exec_lo, exec_lo, s1
	v_dual_mov_b32 v42, 0 :: v_dual_add_nc_u32 v5, 4, v33
	v_mov_b32_e32 v43, 0
	s_mov_b32 s3, 0
	s_mov_b32 s1, exec_lo
	s_delay_alu instid0(VALU_DEP_2)
	v_cmpx_gt_u32_e64 s4, v5
	s_cbranch_execz .LBB447_57
; %bb.54:
	v_add_nc_u32_e32 v5, s17, v16
	v_add_nc_u32_e32 v6, s19, v16
	s_mov_b32 s5, exec_lo
	s_delay_alu instid0(VALU_DEP_2) | instskip(NEXT) | instid1(VALU_DEP_2)
	v_mul_lo_u32 v5, v5, s16
	v_mul_lo_u32 v6, v6, s18
	s_delay_alu instid0(VALU_DEP_1) | instskip(NEXT) | instid1(VALU_DEP_1)
	v_sub_nc_u32_e32 v5, v5, v6
	v_cmp_lt_u32_e32 vcc_lo, s20, v5
	v_cmpx_ge_u32_e64 s20, v5
; %bb.55:
	v_add_nc_u32_e32 v5, s22, v16
	v_add_nc_u32_e32 v6, s38, v16
	s_delay_alu instid0(VALU_DEP_2) | instskip(NEXT) | instid1(VALU_DEP_2)
	v_mul_lo_u32 v5, v5, s21
	v_mul_lo_u32 v6, v6, s23
	s_delay_alu instid0(VALU_DEP_1) | instskip(NEXT) | instid1(VALU_DEP_1)
	v_sub_nc_u32_e32 v5, v5, v6
	v_cmp_lt_u32_e64 s0, s39, v5
	s_delay_alu instid0(VALU_DEP_1)
	s_and_b32 s3, s0, exec_lo
; %bb.56:
	s_or_b32 exec_lo, exec_lo, s5
	v_cndmask_b32_e64 v43, 0, 1, vcc_lo
	v_cndmask_b32_e64 v42, 0, 1, s3
.LBB447_57:
	s_or_b32 exec_lo, exec_lo, s1
	v_dual_mov_b32 v44, 0 :: v_dual_add_nc_u32 v5, 5, v33
	v_mov_b32_e32 v45, 0
	s_mov_b32 s3, 0
	s_mov_b32 s1, exec_lo
	s_delay_alu instid0(VALU_DEP_2)
	;; [unrolled: 35-line block ×6, first 2 shown]
	v_cmpx_gt_u32_e64 s4, v5
	s_cbranch_execz .LBB447_77
; %bb.74:
	v_add_nc_u32_e32 v5, s17, v13
	v_add_nc_u32_e32 v6, s19, v13
	s_mov_b32 s5, exec_lo
	s_delay_alu instid0(VALU_DEP_2) | instskip(NEXT) | instid1(VALU_DEP_2)
	v_mul_lo_u32 v5, v5, s16
	v_mul_lo_u32 v6, v6, s18
	s_delay_alu instid0(VALU_DEP_1) | instskip(NEXT) | instid1(VALU_DEP_1)
	v_sub_nc_u32_e32 v5, v5, v6
	v_cmp_lt_u32_e32 vcc_lo, s20, v5
	v_cmpx_ge_u32_e64 s20, v5
; %bb.75:
	v_add_nc_u32_e32 v5, s22, v13
	v_add_nc_u32_e32 v6, s38, v13
	s_delay_alu instid0(VALU_DEP_2) | instskip(NEXT) | instid1(VALU_DEP_2)
	v_mul_lo_u32 v5, v5, s21
	v_mul_lo_u32 v6, v6, s23
	s_delay_alu instid0(VALU_DEP_1) | instskip(NEXT) | instid1(VALU_DEP_1)
	v_sub_nc_u32_e32 v5, v5, v6
	v_cmp_lt_u32_e64 s0, s39, v5
	s_delay_alu instid0(VALU_DEP_1)
	s_and_b32 s3, s0, exec_lo
; %bb.76:
	s_or_b32 exec_lo, exec_lo, s5
	v_cndmask_b32_e64 v54, 0, 1, vcc_lo
	v_cndmask_b32_e64 v52, 0, 1, s3
.LBB447_77:
	s_or_b32 exec_lo, exec_lo, s1
	v_add_nc_u32_e32 v5, 10, v33
	v_mov_b32_e32 v53, 0
	v_mov_b32_e32 v55, 0
	s_mov_b32 s3, 0
	s_mov_b32 s1, exec_lo
	v_cmpx_gt_u32_e64 s4, v5
	s_cbranch_execz .LBB447_81
; %bb.78:
	v_add_nc_u32_e32 v5, s17, v10
	v_add_nc_u32_e32 v6, s19, v10
	s_mov_b32 s5, exec_lo
	s_delay_alu instid0(VALU_DEP_2) | instskip(NEXT) | instid1(VALU_DEP_2)
	v_mul_lo_u32 v5, v5, s16
	v_mul_lo_u32 v6, v6, s18
	s_delay_alu instid0(VALU_DEP_1) | instskip(NEXT) | instid1(VALU_DEP_1)
	v_sub_nc_u32_e32 v5, v5, v6
	v_cmp_lt_u32_e32 vcc_lo, s20, v5
	v_cmpx_ge_u32_e64 s20, v5
; %bb.79:
	v_add_nc_u32_e32 v5, s22, v10
	v_add_nc_u32_e32 v6, s38, v10
	s_delay_alu instid0(VALU_DEP_2) | instskip(NEXT) | instid1(VALU_DEP_2)
	v_mul_lo_u32 v5, v5, s21
	v_mul_lo_u32 v6, v6, s23
	s_delay_alu instid0(VALU_DEP_1) | instskip(NEXT) | instid1(VALU_DEP_1)
	v_sub_nc_u32_e32 v5, v5, v6
	v_cmp_lt_u32_e64 s0, s39, v5
	s_delay_alu instid0(VALU_DEP_1)
	s_and_b32 s3, s0, exec_lo
; %bb.80:
	s_or_b32 exec_lo, exec_lo, s5
	v_cndmask_b32_e64 v55, 0, 1, vcc_lo
	v_cndmask_b32_e64 v53, 0, 1, s3
.LBB447_81:
	s_or_b32 exec_lo, exec_lo, s1
	v_dual_mov_b32 v56, 0 :: v_dual_add_nc_u32 v5, 11, v33
	v_mov_b32_e32 v57, 0
	s_mov_b32 s3, 0
	s_mov_b32 s1, exec_lo
	s_delay_alu instid0(VALU_DEP_2)
	v_cmpx_gt_u32_e64 s4, v5
	s_cbranch_execz .LBB447_85
; %bb.82:
	v_add_nc_u32_e32 v5, s17, v11
	v_add_nc_u32_e32 v6, s19, v11
	s_mov_b32 s5, exec_lo
	s_delay_alu instid0(VALU_DEP_2) | instskip(NEXT) | instid1(VALU_DEP_2)
	v_mul_lo_u32 v5, v5, s16
	v_mul_lo_u32 v6, v6, s18
	s_delay_alu instid0(VALU_DEP_1) | instskip(NEXT) | instid1(VALU_DEP_1)
	v_sub_nc_u32_e32 v5, v5, v6
	v_cmp_lt_u32_e32 vcc_lo, s20, v5
	v_cmpx_ge_u32_e64 s20, v5
; %bb.83:
	v_add_nc_u32_e32 v5, s22, v11
	v_add_nc_u32_e32 v6, s38, v11
	s_delay_alu instid0(VALU_DEP_2) | instskip(NEXT) | instid1(VALU_DEP_2)
	v_mul_lo_u32 v5, v5, s21
	v_mul_lo_u32 v6, v6, s23
	s_delay_alu instid0(VALU_DEP_1) | instskip(NEXT) | instid1(VALU_DEP_1)
	v_sub_nc_u32_e32 v5, v5, v6
	v_cmp_lt_u32_e64 s0, s39, v5
	s_delay_alu instid0(VALU_DEP_1)
	s_and_b32 s3, s0, exec_lo
; %bb.84:
	s_or_b32 exec_lo, exec_lo, s5
	v_cndmask_b32_e64 v56, 0, 1, vcc_lo
	v_cndmask_b32_e64 v57, 0, 1, s3
.LBB447_85:
	s_or_b32 exec_lo, exec_lo, s1
	v_add_nc_u32_e32 v5, 12, v33
	s_mov_b32 s27, 0
	s_mov_b32 s33, 0
	s_mov_b32 s0, exec_lo
	s_delay_alu instid0(VALU_DEP_1)
	v_cmpx_gt_u32_e64 s4, v5
	s_cbranch_execz .LBB447_89
; %bb.86:
	v_add_nc_u32_e32 v5, s17, v32
	v_add_nc_u32_e32 v6, s19, v32
	s_mov_b32 s3, -1
	s_mov_b32 s5, 0
	s_mov_b32 s1, exec_lo
	v_mul_lo_u32 v5, v5, s16
	v_mul_lo_u32 v6, v6, s18
	s_delay_alu instid0(VALU_DEP_1) | instskip(NEXT) | instid1(VALU_DEP_1)
	v_sub_nc_u32_e32 v5, v5, v6
	v_cmpx_ge_u32_e64 s20, v5
; %bb.87:
	v_add_nc_u32_e32 v5, s22, v32
	v_add_nc_u32_e32 v6, s38, v32
	s_xor_b32 s3, exec_lo, -1
	s_delay_alu instid0(VALU_DEP_2) | instskip(NEXT) | instid1(VALU_DEP_2)
	v_mul_lo_u32 v5, v5, s21
	v_mul_lo_u32 v6, v6, s23
	s_delay_alu instid0(VALU_DEP_1) | instskip(NEXT) | instid1(VALU_DEP_1)
	v_sub_nc_u32_e32 v5, v5, v6
	v_cmp_lt_u32_e32 vcc_lo, s39, v5
	s_and_b32 s5, vcc_lo, exec_lo
; %bb.88:
	s_or_b32 exec_lo, exec_lo, s1
	s_delay_alu instid0(SALU_CYCLE_1)
	s_and_b32 s33, s5, exec_lo
	s_and_b32 s27, s3, exec_lo
.LBB447_89:
	s_or_b32 exec_lo, exec_lo, s0
.LBB447_90:
	v_and_b32_e32 v80, 0xff, v34
	v_and_b32_e32 v81, 0xff, v35
	v_and_b32_e32 v76, 0xff, v37
	v_and_b32_e32 v77, 0xff, v40
	v_and_b32_e32 v78, 0xff, v36
	v_and_b32_e32 v79, 0xff, v38
	v_and_b32_e32 v74, 0xff, v41
	v_and_b32_e32 v75, 0xff, v39
	v_and_b32_e32 v72, 0xff, v43
	v_and_b32_e32 v73, 0xff, v42
	v_add3_u32 v5, v76, v78, v80
	v_add3_u32 v6, v77, v79, v81
	v_and_b32_e32 v70, 0xff, v45
	v_and_b32_e32 v71, 0xff, v44
	v_and_b32_e32 v64, 0xff, v47
	v_and_b32_e32 v65, 0xff, v46
	v_add3_u32 v5, v5, v74, v72
	v_add3_u32 v6, v6, v75, v73
	v_and_b32_e32 v68, 0xff, v49
	v_and_b32_e32 v69, 0xff, v48
	v_and_b32_e32 v66, 0xff, v51
	v_and_b32_e32 v67, 0xff, v50
	;; [unrolled: 6-line block ×3, first 2 shown]
	v_add3_u32 v5, v5, v68, v66
	v_add3_u32 v6, v6, v69, v67
	v_mbcnt_lo_u32_b32 v82, -1, 0
	v_and_b32_e32 v58, 0xff, v56
	v_and_b32_e32 v59, 0xff, v57
	v_cndmask_b32_e64 v7, 0, 1, s33
	v_add3_u32 v5, v5, v61, v60
	v_cndmask_b32_e64 v8, 0, 1, s27
	v_add3_u32 v6, v6, v62, v63
	v_and_b32_e32 v86, 15, v82
	v_and_b32_e32 v85, 16, v82
	v_lshrrev_b32_e32 v83, 5, v0
	v_add3_u32 v87, v5, v58, v8
	v_add3_u32 v88, v6, v59, v7
	v_cmp_eq_u32_e64 s1, 0, v86
	v_cmp_lt_u32_e64 s0, 1, v86
	v_cmp_lt_u32_e64 s3, 3, v86
	v_cmp_lt_u32_e32 vcc_lo, 7, v86
	v_or_b32_e32 v84, 31, v0
	s_cmp_lg_u32 s26, 0
	s_mov_b32 s5, -1
	s_cbranch_scc0 .LBB447_123
; %bb.91:
	v_mov_b32_dpp v5, v88 row_shr:1 row_mask:0xf bank_mask:0xf
	v_mov_b32_dpp v6, v87 row_shr:1 row_mask:0xf bank_mask:0xf
	s_delay_alu instid0(VALU_DEP_2) | instskip(NEXT) | instid1(VALU_DEP_2)
	v_add_nc_u32_e32 v5, v5, v88
	v_add_nc_u32_e32 v6, v6, v87
	s_delay_alu instid0(VALU_DEP_2) | instskip(NEXT) | instid1(VALU_DEP_2)
	v_cndmask_b32_e64 v5, v5, v88, s1
	v_cndmask_b32_e64 v6, v6, v87, s1
	s_delay_alu instid0(VALU_DEP_2) | instskip(NEXT) | instid1(VALU_DEP_2)
	v_mov_b32_dpp v7, v5 row_shr:2 row_mask:0xf bank_mask:0xf
	v_mov_b32_dpp v8, v6 row_shr:2 row_mask:0xf bank_mask:0xf
	s_delay_alu instid0(VALU_DEP_2) | instskip(NEXT) | instid1(VALU_DEP_1)
	v_add_nc_u32_e32 v7, v5, v7
	v_cndmask_b32_e64 v5, v5, v7, s0
	s_delay_alu instid0(VALU_DEP_1) | instskip(NEXT) | instid1(VALU_DEP_1)
	v_mov_b32_dpp v7, v5 row_shr:4 row_mask:0xf bank_mask:0xf
	v_add_nc_u32_e32 v7, v5, v7
	s_delay_alu instid0(VALU_DEP_1) | instskip(NEXT) | instid1(VALU_DEP_1)
	v_cndmask_b32_e64 v5, v5, v7, s3
	v_mov_b32_dpp v7, v5 row_shr:8 row_mask:0xf bank_mask:0xf
	s_delay_alu instid0(VALU_DEP_1) | instskip(NEXT) | instid1(VALU_DEP_1)
	v_add_nc_u32_e32 v7, v5, v7
	v_dual_cndmask_b32 v5, v5, v7 :: v_dual_add_nc_u32 v8, v6, v8
	s_delay_alu instid0(VALU_DEP_1) | instskip(NEXT) | instid1(VALU_DEP_1)
	v_cndmask_b32_e64 v6, v6, v8, s0
	v_mov_b32_dpp v8, v6 row_shr:4 row_mask:0xf bank_mask:0xf
	s_delay_alu instid0(VALU_DEP_1) | instskip(NEXT) | instid1(VALU_DEP_1)
	v_add_nc_u32_e32 v8, v6, v8
	v_cndmask_b32_e64 v6, v6, v8, s3
	s_mov_b32 s3, exec_lo
	s_delay_alu instid0(VALU_DEP_1) | instskip(NEXT) | instid1(VALU_DEP_1)
	v_mov_b32_dpp v8, v6 row_shr:8 row_mask:0xf bank_mask:0xf
	v_add_nc_u32_e32 v8, v6, v8
	s_delay_alu instid0(VALU_DEP_1)
	v_cndmask_b32_e32 v7, v6, v8, vcc_lo
	ds_swizzle_b32 v6, v5 offset:swizzle(BROADCAST,32,15)
	v_cmp_eq_u32_e32 vcc_lo, 0, v85
	s_waitcnt lgkmcnt(0)
	v_add_nc_u32_e32 v6, v5, v6
	ds_swizzle_b32 v8, v7 offset:swizzle(BROADCAST,32,15)
	v_cndmask_b32_e32 v6, v6, v5, vcc_lo
	s_waitcnt lgkmcnt(0)
	v_add_nc_u32_e32 v8, v7, v8
	s_delay_alu instid0(VALU_DEP_1)
	v_cndmask_b32_e32 v5, v8, v7, vcc_lo
	v_cmpx_eq_u32_e64 v84, v0
	s_cbranch_execz .LBB447_93
; %bb.92:
	v_lshlrev_b32_e32 v7, 3, v83
	ds_store_b64 v7, v[5:6]
.LBB447_93:
	s_or_b32 exec_lo, exec_lo, s3
	s_delay_alu instid0(SALU_CYCLE_1)
	s_mov_b32 s3, exec_lo
	s_waitcnt lgkmcnt(0)
	s_barrier
	buffer_gl0_inv
	v_cmpx_gt_u32_e32 8, v0
	s_cbranch_execz .LBB447_95
; %bb.94:
	v_lshlrev_b32_e32 v9, 3, v0
	ds_load_b64 v[7:8], v9
	s_waitcnt lgkmcnt(0)
	v_mov_b32_dpp v22, v7 row_shr:1 row_mask:0xf bank_mask:0xf
	v_mov_b32_dpp v23, v8 row_shr:1 row_mask:0xf bank_mask:0xf
	s_delay_alu instid0(VALU_DEP_2) | instskip(SKIP_1) | instid1(VALU_DEP_3)
	v_add_nc_u32_e32 v22, v22, v7
	v_and_b32_e32 v24, 7, v82
	v_add_nc_u32_e32 v23, v23, v8
	s_delay_alu instid0(VALU_DEP_2) | instskip(NEXT) | instid1(VALU_DEP_2)
	v_cmp_eq_u32_e32 vcc_lo, 0, v24
	v_dual_cndmask_b32 v8, v23, v8 :: v_dual_cndmask_b32 v7, v22, v7
	v_cmp_lt_u32_e32 vcc_lo, 1, v24
	s_delay_alu instid0(VALU_DEP_2) | instskip(NEXT) | instid1(VALU_DEP_3)
	v_mov_b32_dpp v23, v8 row_shr:2 row_mask:0xf bank_mask:0xf
	v_mov_b32_dpp v22, v7 row_shr:2 row_mask:0xf bank_mask:0xf
	s_delay_alu instid0(VALU_DEP_2) | instskip(NEXT) | instid1(VALU_DEP_2)
	v_add_nc_u32_e32 v23, v8, v23
	v_add_nc_u32_e32 v22, v7, v22
	s_delay_alu instid0(VALU_DEP_1) | instskip(SKIP_1) | instid1(VALU_DEP_2)
	v_dual_cndmask_b32 v8, v8, v23 :: v_dual_cndmask_b32 v7, v7, v22
	v_cmp_lt_u32_e32 vcc_lo, 3, v24
	v_mov_b32_dpp v23, v8 row_shr:4 row_mask:0xf bank_mask:0xf
	s_delay_alu instid0(VALU_DEP_3) | instskip(NEXT) | instid1(VALU_DEP_1)
	v_mov_b32_dpp v22, v7 row_shr:4 row_mask:0xf bank_mask:0xf
	v_dual_cndmask_b32 v23, 0, v23 :: v_dual_cndmask_b32 v22, 0, v22
	s_delay_alu instid0(VALU_DEP_1) | instskip(NEXT) | instid1(VALU_DEP_2)
	v_add_nc_u32_e32 v8, v23, v8
	v_add_nc_u32_e32 v7, v22, v7
	ds_store_b64 v9, v[7:8]
.LBB447_95:
	s_or_b32 exec_lo, exec_lo, s3
	v_cmp_gt_u32_e32 vcc_lo, 32, v0
	v_cmp_lt_u32_e64 s3, 31, v0
	s_waitcnt lgkmcnt(0)
	s_barrier
	buffer_gl0_inv
                                        ; implicit-def: $vgpr23
	s_and_saveexec_b32 s5, s3
	s_delay_alu instid0(SALU_CYCLE_1)
	s_xor_b32 s3, exec_lo, s5
	s_cbranch_execz .LBB447_97
; %bb.96:
	v_lshl_add_u32 v7, v83, 3, -8
	ds_load_b64 v[22:23], v7
	s_waitcnt lgkmcnt(0)
	v_add_nc_u32_e32 v6, v23, v6
	v_add_nc_u32_e32 v5, v22, v5
.LBB447_97:
	s_and_not1_saveexec_b32 s3, s3
; %bb.98:
                                        ; implicit-def: $vgpr22
; %bb.99:
	s_delay_alu instid0(SALU_CYCLE_1) | instskip(SKIP_1) | instid1(VALU_DEP_1)
	s_or_b32 exec_lo, exec_lo, s3
	v_add_nc_u32_e32 v7, -1, v82
	v_cmp_gt_i32_e64 s3, 0, v7
	s_delay_alu instid0(VALU_DEP_1) | instskip(SKIP_1) | instid1(VALU_DEP_2)
	v_cndmask_b32_e64 v7, v7, v82, s3
	v_cmp_eq_u32_e64 s3, 0, v82
	v_lshlrev_b32_e32 v7, 2, v7
	ds_bpermute_b32 v89, v7, v5
	ds_bpermute_b32 v90, v7, v6
	s_and_saveexec_b32 s5, vcc_lo
	s_cbranch_execz .LBB447_122
; %bb.100:
	v_mov_b32_e32 v8, 0
	ds_load_b64 v[5:6], v8 offset:56
	s_waitcnt lgkmcnt(0)
	v_readfirstlane_b32 s6, v6
	s_and_saveexec_b32 s7, s3
	s_cbranch_execz .LBB447_102
; %bb.101:
	s_add_i32 s8, s26, 32
	s_mov_b32 s9, 0
	v_mov_b32_e32 v7, 1
	s_lshl_b64 s[10:11], s[8:9], 4
	s_mov_b32 s16, s9
	s_add_u32 s10, s36, s10
	s_addc_u32 s11, s37, s11
	s_and_b32 s17, s6, 0xff000000
	s_and_b32 s19, s6, 0xff0000
	s_mov_b32 s18, s9
	v_dual_mov_b32 v25, s11 :: v_dual_mov_b32 v24, s10
	s_or_b64 s[16:17], s[18:19], s[16:17]
	s_and_b32 s19, s6, 0xff00
	s_delay_alu instid0(SALU_CYCLE_1) | instskip(SKIP_1) | instid1(SALU_CYCLE_1)
	s_or_b64 s[16:17], s[16:17], s[18:19]
	s_and_b32 s19, s6, 0xff
	s_or_b64 s[8:9], s[16:17], s[18:19]
	s_delay_alu instid0(SALU_CYCLE_1)
	v_mov_b32_e32 v6, s9
	;;#ASMSTART
	global_store_dwordx4 v[24:25], v[5:8] off	
s_waitcnt vmcnt(0)
	;;#ASMEND
.LBB447_102:
	s_or_b32 exec_lo, exec_lo, s7
	v_xad_u32 v24, v82, -1, s26
	s_mov_b32 s8, 0
	s_mov_b32 s7, exec_lo
	s_delay_alu instid0(VALU_DEP_1) | instskip(NEXT) | instid1(VALU_DEP_1)
	v_add_nc_u32_e32 v7, 32, v24
	v_lshlrev_b64 v[6:7], 4, v[7:8]
	s_delay_alu instid0(VALU_DEP_1) | instskip(NEXT) | instid1(VALU_DEP_2)
	v_add_co_u32 v25, vcc_lo, s36, v6
	v_add_co_ci_u32_e32 v26, vcc_lo, s37, v7, vcc_lo
	;;#ASMSTART
	global_load_dwordx4 v[6:9], v[25:26] off glc	
s_waitcnt vmcnt(0)
	;;#ASMEND
	v_and_b32_e32 v9, 0xff, v7
	v_and_b32_e32 v27, 0xff00, v7
	v_or3_b32 v6, v6, 0, 0
	v_and_b32_e32 v28, 0xff000000, v7
	v_and_b32_e32 v7, 0xff0000, v7
	s_delay_alu instid0(VALU_DEP_4) | instskip(SKIP_2) | instid1(VALU_DEP_3)
	v_or3_b32 v9, 0, v9, v27
	v_and_b32_e32 v27, 0xff, v8
	v_or3_b32 v6, v6, 0, 0
	v_or3_b32 v7, v9, v7, v28
	s_delay_alu instid0(VALU_DEP_3)
	v_cmpx_eq_u16_e32 0, v27
	s_cbranch_execz .LBB447_108
; %bb.103:
	s_mov_b32 s9, 1
	.p2align	6
.LBB447_104:                            ; =>This Loop Header: Depth=1
                                        ;     Child Loop BB447_105 Depth 2
	s_delay_alu instid0(SALU_CYCLE_1)
	s_max_u32 s10, s9, 1
.LBB447_105:                            ;   Parent Loop BB447_104 Depth=1
                                        ; =>  This Inner Loop Header: Depth=2
	s_delay_alu instid0(SALU_CYCLE_1)
	s_add_i32 s10, s10, -1
	s_sleep 1
	s_cmp_eq_u32 s10, 0
	s_cbranch_scc0 .LBB447_105
; %bb.106:                              ;   in Loop: Header=BB447_104 Depth=1
	;;#ASMSTART
	global_load_dwordx4 v[6:9], v[25:26] off glc	
s_waitcnt vmcnt(0)
	;;#ASMEND
	v_and_b32_e32 v9, 0xff, v8
	s_cmp_lt_u32 s9, 32
	s_cselect_b32 s10, -1, 0
	s_delay_alu instid0(SALU_CYCLE_1) | instskip(NEXT) | instid1(VALU_DEP_1)
	s_cmp_lg_u32 s10, 0
	v_cmp_ne_u16_e32 vcc_lo, 0, v9
	s_addc_u32 s9, s9, 0
	s_or_b32 s8, vcc_lo, s8
	s_delay_alu instid0(SALU_CYCLE_1)
	s_and_not1_b32 exec_lo, exec_lo, s8
	s_cbranch_execnz .LBB447_104
; %bb.107:
	s_or_b32 exec_lo, exec_lo, s8
.LBB447_108:
	s_delay_alu instid0(SALU_CYCLE_1) | instskip(SKIP_3) | instid1(VALU_DEP_1)
	s_or_b32 exec_lo, exec_lo, s7
	v_cmp_ne_u32_e32 vcc_lo, 31, v82
	v_lshlrev_b32_e64 v92, v82, -1
	v_add_co_ci_u32_e32 v9, vcc_lo, 0, v82, vcc_lo
	v_lshlrev_b32_e32 v91, 2, v9
	ds_bpermute_b32 v25, v91, v7
	ds_bpermute_b32 v9, v91, v6
	s_waitcnt lgkmcnt(1)
	v_add_nc_u32_e32 v25, v25, v7
	v_and_b32_e32 v26, 0xff, v8
	s_waitcnt lgkmcnt(0)
	v_add_nc_u32_e32 v9, v9, v6
	s_delay_alu instid0(VALU_DEP_2) | instskip(SKIP_2) | instid1(VALU_DEP_2)
	v_cmp_eq_u16_e32 vcc_lo, 2, v26
	v_and_or_b32 v26, vcc_lo, v92, 0x80000000
	v_cmp_gt_u32_e32 vcc_lo, 30, v82
	v_ctz_i32_b32_e32 v26, v26
	v_cndmask_b32_e64 v27, 0, 1, vcc_lo
	s_delay_alu instid0(VALU_DEP_2) | instskip(NEXT) | instid1(VALU_DEP_2)
	v_cmp_lt_u32_e32 vcc_lo, v82, v26
	v_dual_cndmask_b32 v6, v6, v9 :: v_dual_lshlrev_b32 v27, 1, v27
	s_delay_alu instid0(VALU_DEP_1)
	v_add_lshl_u32 v93, v27, v82, 2
	v_cndmask_b32_e32 v7, v7, v25, vcc_lo
	v_cmp_gt_u32_e32 vcc_lo, 28, v82
	ds_bpermute_b32 v9, v93, v6
	ds_bpermute_b32 v25, v93, v7
	v_cndmask_b32_e64 v27, 0, 1, vcc_lo
	s_waitcnt lgkmcnt(1)
	v_add_nc_u32_e32 v9, v6, v9
	s_waitcnt lgkmcnt(0)
	v_add_nc_u32_e32 v25, v7, v25
	v_add_nc_u32_e32 v94, 2, v82
	s_delay_alu instid0(VALU_DEP_1) | instskip(NEXT) | instid1(VALU_DEP_3)
	v_cmp_gt_u32_e32 vcc_lo, v94, v26
	v_cndmask_b32_e32 v7, v25, v7, vcc_lo
	v_dual_cndmask_b32 v6, v9, v6 :: v_dual_lshlrev_b32 v27, 2, v27
	v_cmp_gt_u32_e32 vcc_lo, 24, v82
	s_delay_alu instid0(VALU_DEP_2) | instskip(SKIP_4) | instid1(VALU_DEP_1)
	v_add_lshl_u32 v95, v27, v82, 2
	v_cndmask_b32_e64 v27, 0, 1, vcc_lo
	ds_bpermute_b32 v25, v95, v7
	ds_bpermute_b32 v9, v95, v6
	v_lshlrev_b32_e32 v27, 3, v27
	v_add_lshl_u32 v97, v27, v82, 2
	s_waitcnt lgkmcnt(1)
	v_add_nc_u32_e32 v25, v7, v25
	v_add_nc_u32_e32 v96, 4, v82
	s_waitcnt lgkmcnt(0)
	v_add_nc_u32_e32 v9, v6, v9
	s_delay_alu instid0(VALU_DEP_2) | instskip(SKIP_1) | instid1(VALU_DEP_3)
	v_cmp_gt_u32_e32 vcc_lo, v96, v26
	v_cndmask_b32_e32 v7, v25, v7, vcc_lo
	v_cndmask_b32_e32 v6, v9, v6, vcc_lo
	v_cmp_gt_u32_e32 vcc_lo, 16, v82
	ds_bpermute_b32 v25, v97, v7
	ds_bpermute_b32 v9, v97, v6
	v_cndmask_b32_e64 v27, 0, 1, vcc_lo
	s_delay_alu instid0(VALU_DEP_1) | instskip(NEXT) | instid1(VALU_DEP_1)
	v_lshlrev_b32_e32 v27, 4, v27
	v_add_lshl_u32 v99, v27, v82, 2
	s_waitcnt lgkmcnt(1)
	v_add_nc_u32_e32 v25, v7, v25
	v_add_nc_u32_e32 v98, 8, v82
	s_waitcnt lgkmcnt(0)
	v_add_nc_u32_e32 v9, v6, v9
	s_delay_alu instid0(VALU_DEP_2) | instskip(SKIP_1) | instid1(VALU_DEP_3)
	v_cmp_gt_u32_e32 vcc_lo, v98, v26
	v_cndmask_b32_e32 v7, v25, v7, vcc_lo
	v_cndmask_b32_e32 v6, v9, v6, vcc_lo
	ds_bpermute_b32 v25, v99, v7
	ds_bpermute_b32 v9, v99, v6
	v_add_nc_u32_e32 v100, 16, v82
	s_delay_alu instid0(VALU_DEP_1) | instskip(SKIP_2) | instid1(VALU_DEP_1)
	v_cmp_le_u32_e32 vcc_lo, v100, v26
	s_waitcnt lgkmcnt(0)
	v_cndmask_b32_e32 v9, 0, v9, vcc_lo
	v_dual_cndmask_b32 v25, 0, v25 :: v_dual_add_nc_u32 v6, v9, v6
	s_delay_alu instid0(VALU_DEP_1)
	v_add_nc_u32_e32 v7, v25, v7
	v_mov_b32_e32 v25, 0
	s_branch .LBB447_110
.LBB447_109:                            ;   in Loop: Header=BB447_110 Depth=1
	s_or_b32 exec_lo, exec_lo, s7
	ds_bpermute_b32 v9, v91, v6
	ds_bpermute_b32 v28, v91, v7
	v_subrev_nc_u32_e32 v24, 32, v24
	s_waitcnt lgkmcnt(1)
	v_add_nc_u32_e32 v9, v9, v6
	v_and_b32_e32 v29, 0xff, v8
	s_waitcnt lgkmcnt(0)
	v_add_nc_u32_e32 v28, v28, v7
	s_delay_alu instid0(VALU_DEP_2) | instskip(SKIP_1) | instid1(VALU_DEP_1)
	v_cmp_eq_u16_e32 vcc_lo, 2, v29
	v_and_or_b32 v29, vcc_lo, v92, 0x80000000
	v_ctz_i32_b32_e32 v29, v29
	s_delay_alu instid0(VALU_DEP_1)
	v_cmp_lt_u32_e32 vcc_lo, v82, v29
	v_cndmask_b32_e32 v6, v6, v9, vcc_lo
	ds_bpermute_b32 v9, v93, v6
	s_waitcnt lgkmcnt(0)
	v_add_nc_u32_e32 v9, v6, v9
	v_cndmask_b32_e32 v7, v7, v28, vcc_lo
	v_cmp_gt_u32_e32 vcc_lo, v94, v29
	s_delay_alu instid0(VALU_DEP_3)
	v_cndmask_b32_e32 v6, v9, v6, vcc_lo
	ds_bpermute_b32 v28, v93, v7
	ds_bpermute_b32 v9, v95, v6
	s_waitcnt lgkmcnt(1)
	v_add_nc_u32_e32 v28, v7, v28
	s_waitcnt lgkmcnt(0)
	v_add_nc_u32_e32 v9, v6, v9
	s_delay_alu instid0(VALU_DEP_2) | instskip(SKIP_1) | instid1(VALU_DEP_3)
	v_cndmask_b32_e32 v7, v28, v7, vcc_lo
	v_cmp_gt_u32_e32 vcc_lo, v96, v29
	v_cndmask_b32_e32 v6, v9, v6, vcc_lo
	ds_bpermute_b32 v28, v95, v7
	ds_bpermute_b32 v9, v97, v6
	s_waitcnt lgkmcnt(1)
	v_add_nc_u32_e32 v28, v7, v28
	s_waitcnt lgkmcnt(0)
	v_add_nc_u32_e32 v9, v6, v9
	s_delay_alu instid0(VALU_DEP_2) | instskip(SKIP_1) | instid1(VALU_DEP_3)
	v_cndmask_b32_e32 v7, v28, v7, vcc_lo
	v_cmp_gt_u32_e32 vcc_lo, v98, v29
	v_cndmask_b32_e32 v6, v9, v6, vcc_lo
	ds_bpermute_b32 v28, v97, v7
	ds_bpermute_b32 v9, v99, v6
	s_waitcnt lgkmcnt(1)
	v_add_nc_u32_e32 v28, v7, v28
	s_delay_alu instid0(VALU_DEP_1) | instskip(SKIP_4) | instid1(VALU_DEP_1)
	v_cndmask_b32_e32 v7, v28, v7, vcc_lo
	v_cmp_le_u32_e32 vcc_lo, v100, v29
	ds_bpermute_b32 v28, v99, v7
	s_waitcnt lgkmcnt(1)
	v_cndmask_b32_e32 v9, 0, v9, vcc_lo
	v_add3_u32 v6, v6, v26, v9
	s_waitcnt lgkmcnt(0)
	v_cndmask_b32_e32 v28, 0, v28, vcc_lo
	s_delay_alu instid0(VALU_DEP_1)
	v_add3_u32 v7, v7, v27, v28
.LBB447_110:                            ; =>This Loop Header: Depth=1
                                        ;     Child Loop BB447_113 Depth 2
                                        ;       Child Loop BB447_114 Depth 3
	s_delay_alu instid0(VALU_DEP_1) | instskip(SKIP_1) | instid1(VALU_DEP_2)
	v_dual_mov_b32 v27, v7 :: v_dual_and_b32 v8, 0xff, v8
	v_mov_b32_e32 v26, v6
	v_cmp_ne_u16_e32 vcc_lo, 2, v8
	v_cndmask_b32_e64 v8, 0, 1, vcc_lo
	;;#ASMSTART
	;;#ASMEND
	s_delay_alu instid0(VALU_DEP_1)
	v_cmp_ne_u32_e32 vcc_lo, 0, v8
	s_cmp_lg_u32 vcc_lo, exec_lo
	s_cbranch_scc1 .LBB447_117
; %bb.111:                              ;   in Loop: Header=BB447_110 Depth=1
	v_lshlrev_b64 v[6:7], 4, v[24:25]
	s_mov_b32 s7, exec_lo
	s_delay_alu instid0(VALU_DEP_1) | instskip(NEXT) | instid1(VALU_DEP_2)
	v_add_co_u32 v28, vcc_lo, s36, v6
	v_add_co_ci_u32_e32 v29, vcc_lo, s37, v7, vcc_lo
	;;#ASMSTART
	global_load_dwordx4 v[6:9], v[28:29] off glc	
s_waitcnt vmcnt(0)
	;;#ASMEND
	v_and_b32_e32 v9, 0xff, v7
	v_and_b32_e32 v101, 0xff00, v7
	v_or3_b32 v6, v6, 0, 0
	v_and_b32_e32 v102, 0xff000000, v7
	v_and_b32_e32 v7, 0xff0000, v7
	s_delay_alu instid0(VALU_DEP_4) | instskip(SKIP_2) | instid1(VALU_DEP_3)
	v_or3_b32 v9, 0, v9, v101
	v_and_b32_e32 v101, 0xff, v8
	v_or3_b32 v6, v6, 0, 0
	v_or3_b32 v7, v9, v7, v102
	s_delay_alu instid0(VALU_DEP_3)
	v_cmpx_eq_u16_e32 0, v101
	s_cbranch_execz .LBB447_109
; %bb.112:                              ;   in Loop: Header=BB447_110 Depth=1
	s_mov_b32 s9, 1
	s_mov_b32 s8, 0
	.p2align	6
.LBB447_113:                            ;   Parent Loop BB447_110 Depth=1
                                        ; =>  This Loop Header: Depth=2
                                        ;       Child Loop BB447_114 Depth 3
	s_max_u32 s10, s9, 1
.LBB447_114:                            ;   Parent Loop BB447_110 Depth=1
                                        ;     Parent Loop BB447_113 Depth=2
                                        ; =>    This Inner Loop Header: Depth=3
	s_delay_alu instid0(SALU_CYCLE_1)
	s_add_i32 s10, s10, -1
	s_sleep 1
	s_cmp_eq_u32 s10, 0
	s_cbranch_scc0 .LBB447_114
; %bb.115:                              ;   in Loop: Header=BB447_113 Depth=2
	;;#ASMSTART
	global_load_dwordx4 v[6:9], v[28:29] off glc	
s_waitcnt vmcnt(0)
	;;#ASMEND
	v_and_b32_e32 v9, 0xff, v8
	s_cmp_lt_u32 s9, 32
	s_cselect_b32 s10, -1, 0
	s_delay_alu instid0(SALU_CYCLE_1) | instskip(NEXT) | instid1(VALU_DEP_1)
	s_cmp_lg_u32 s10, 0
	v_cmp_ne_u16_e32 vcc_lo, 0, v9
	s_addc_u32 s9, s9, 0
	s_or_b32 s8, vcc_lo, s8
	s_delay_alu instid0(SALU_CYCLE_1)
	s_and_not1_b32 exec_lo, exec_lo, s8
	s_cbranch_execnz .LBB447_113
; %bb.116:                              ;   in Loop: Header=BB447_110 Depth=1
	s_or_b32 exec_lo, exec_lo, s8
	s_branch .LBB447_109
.LBB447_117:                            ;   in Loop: Header=BB447_110 Depth=1
                                        ; implicit-def: $vgpr8
                                        ; implicit-def: $vgpr6_vgpr7
	s_cbranch_execz .LBB447_110
; %bb.118:
	s_and_saveexec_b32 s7, s3
	s_cbranch_execnz .LBB447_361
; %bb.119:
	s_or_b32 exec_lo, exec_lo, s7
	s_and_saveexec_b32 s7, s3
	s_cbranch_execnz .LBB447_362
.LBB447_120:
	s_or_b32 exec_lo, exec_lo, s7
	s_delay_alu instid0(SALU_CYCLE_1)
	s_and_b32 exec_lo, exec_lo, s2
	s_cbranch_execz .LBB447_122
.LBB447_121:
	v_mov_b32_e32 v5, 0
	ds_store_b64 v5, v[26:27] offset:56
.LBB447_122:
	s_or_b32 exec_lo, exec_lo, s5
	s_waitcnt lgkmcnt(1)
	v_cndmask_b32_e64 v22, v89, v22, s3
	v_mov_b32_e32 v5, 0
	s_waitcnt lgkmcnt(0)
	s_barrier
	buffer_gl0_inv
	v_add_nc_u32_e64 v7, 0x3400, 0
	ds_load_b64 v[24:25], v5 offset:56
	s_waitcnt lgkmcnt(0)
	s_barrier
	buffer_gl0_inv
	ds_load_2addr_b32 v[5:6], v7 offset1:2
	ds_load_2addr_b32 v[7:8], v7 offset0:4 offset1:6
	v_cndmask_b32_e64 v9, v90, v23, s3
	v_add_nc_u32_e32 v22, v24, v22
	s_delay_alu instid0(VALU_DEP_2) | instskip(NEXT) | instid1(VALU_DEP_2)
	v_add_nc_u32_e32 v9, v25, v9
	v_cndmask_b32_e64 v22, v22, v24, s2
	s_delay_alu instid0(VALU_DEP_2)
	v_cndmask_b32_e64 v9, v9, v25, s2
	s_branch .LBB447_133
.LBB447_123:
                                        ; implicit-def: $vgpr9
                                        ; implicit-def: $vgpr7
                                        ; implicit-def: $vgpr5
                                        ; implicit-def: $vgpr22_vgpr23
	s_and_b32 vcc_lo, exec_lo, s5
	s_cbranch_vccz .LBB447_133
; %bb.124:
	s_waitcnt lgkmcnt(1)
	v_mov_b32_dpp v6, v88 row_shr:1 row_mask:0xf bank_mask:0xf
	v_cmp_lt_u32_e32 vcc_lo, 3, v86
	v_mov_b32_dpp v5, v87 row_shr:1 row_mask:0xf bank_mask:0xf
	s_delay_alu instid0(VALU_DEP_3) | instskip(NEXT) | instid1(VALU_DEP_1)
	v_add_nc_u32_e32 v6, v6, v88
	v_cndmask_b32_e64 v6, v6, v88, s1
	s_waitcnt lgkmcnt(0)
	s_delay_alu instid0(VALU_DEP_1) | instskip(NEXT) | instid1(VALU_DEP_1)
	v_mov_b32_dpp v8, v6 row_shr:2 row_mask:0xf bank_mask:0xf
	v_add_nc_u32_e32 v8, v6, v8
	s_delay_alu instid0(VALU_DEP_1) | instskip(NEXT) | instid1(VALU_DEP_1)
	v_cndmask_b32_e64 v6, v6, v8, s0
	v_mov_b32_dpp v8, v6 row_shr:4 row_mask:0xf bank_mask:0xf
	s_delay_alu instid0(VALU_DEP_1) | instskip(NEXT) | instid1(VALU_DEP_1)
	v_add_nc_u32_e32 v8, v6, v8
	v_dual_cndmask_b32 v6, v6, v8 :: v_dual_add_nc_u32 v5, v5, v87
	s_delay_alu instid0(VALU_DEP_1) | instskip(NEXT) | instid1(VALU_DEP_2)
	v_cndmask_b32_e64 v5, v5, v87, s1
	v_mov_b32_dpp v8, v6 row_shr:8 row_mask:0xf bank_mask:0xf
	s_delay_alu instid0(VALU_DEP_2) | instskip(NEXT) | instid1(VALU_DEP_2)
	v_mov_b32_dpp v7, v5 row_shr:2 row_mask:0xf bank_mask:0xf
	v_add_nc_u32_e32 v8, v6, v8
	s_delay_alu instid0(VALU_DEP_2) | instskip(NEXT) | instid1(VALU_DEP_1)
	v_add_nc_u32_e32 v7, v5, v7
	v_cndmask_b32_e64 v5, v5, v7, s0
	s_mov_b32 s0, exec_lo
	s_delay_alu instid0(VALU_DEP_1) | instskip(NEXT) | instid1(VALU_DEP_1)
	v_mov_b32_dpp v7, v5 row_shr:4 row_mask:0xf bank_mask:0xf
	v_add_nc_u32_e32 v7, v5, v7
	s_delay_alu instid0(VALU_DEP_1) | instskip(SKIP_1) | instid1(VALU_DEP_2)
	v_cndmask_b32_e32 v5, v5, v7, vcc_lo
	v_cmp_lt_u32_e32 vcc_lo, 7, v86
	v_mov_b32_dpp v7, v5 row_shr:8 row_mask:0xf bank_mask:0xf
	s_delay_alu instid0(VALU_DEP_1) | instskip(NEXT) | instid1(VALU_DEP_1)
	v_dual_cndmask_b32 v6, v6, v8 :: v_dual_add_nc_u32 v7, v5, v7
	v_cndmask_b32_e32 v5, v5, v7, vcc_lo
	ds_swizzle_b32 v7, v6 offset:swizzle(BROADCAST,32,15)
	v_cmp_eq_u32_e32 vcc_lo, 0, v85
	ds_swizzle_b32 v8, v5 offset:swizzle(BROADCAST,32,15)
	s_waitcnt lgkmcnt(1)
	v_add_nc_u32_e32 v7, v6, v7
	s_waitcnt lgkmcnt(0)
	v_add_nc_u32_e32 v8, v5, v8
	s_delay_alu instid0(VALU_DEP_1)
	v_dual_cndmask_b32 v6, v7, v6 :: v_dual_cndmask_b32 v5, v8, v5
	v_cmpx_eq_u32_e64 v84, v0
	s_cbranch_execz .LBB447_126
; %bb.125:
	v_lshlrev_b32_e32 v7, 3, v83
	ds_store_b64 v7, v[5:6]
.LBB447_126:
	s_or_b32 exec_lo, exec_lo, s0
	s_delay_alu instid0(SALU_CYCLE_1)
	s_mov_b32 s0, exec_lo
	s_waitcnt lgkmcnt(0)
	s_barrier
	buffer_gl0_inv
	v_cmpx_gt_u32_e32 8, v0
	s_cbranch_execz .LBB447_128
; %bb.127:
	v_lshlrev_b32_e32 v9, 3, v0
	ds_load_b64 v[7:8], v9
	s_waitcnt lgkmcnt(0)
	v_mov_b32_dpp v22, v7 row_shr:1 row_mask:0xf bank_mask:0xf
	v_mov_b32_dpp v23, v8 row_shr:1 row_mask:0xf bank_mask:0xf
	s_delay_alu instid0(VALU_DEP_2) | instskip(SKIP_1) | instid1(VALU_DEP_3)
	v_add_nc_u32_e32 v22, v22, v7
	v_and_b32_e32 v24, 7, v82
	v_add_nc_u32_e32 v23, v23, v8
	s_delay_alu instid0(VALU_DEP_2) | instskip(NEXT) | instid1(VALU_DEP_2)
	v_cmp_eq_u32_e32 vcc_lo, 0, v24
	v_dual_cndmask_b32 v8, v23, v8 :: v_dual_cndmask_b32 v7, v22, v7
	v_cmp_lt_u32_e32 vcc_lo, 1, v24
	s_delay_alu instid0(VALU_DEP_2) | instskip(NEXT) | instid1(VALU_DEP_3)
	v_mov_b32_dpp v23, v8 row_shr:2 row_mask:0xf bank_mask:0xf
	v_mov_b32_dpp v22, v7 row_shr:2 row_mask:0xf bank_mask:0xf
	s_delay_alu instid0(VALU_DEP_2) | instskip(NEXT) | instid1(VALU_DEP_2)
	v_add_nc_u32_e32 v23, v8, v23
	v_add_nc_u32_e32 v22, v7, v22
	s_delay_alu instid0(VALU_DEP_1) | instskip(SKIP_1) | instid1(VALU_DEP_2)
	v_dual_cndmask_b32 v8, v8, v23 :: v_dual_cndmask_b32 v7, v7, v22
	v_cmp_lt_u32_e32 vcc_lo, 3, v24
	v_mov_b32_dpp v23, v8 row_shr:4 row_mask:0xf bank_mask:0xf
	s_delay_alu instid0(VALU_DEP_3) | instskip(NEXT) | instid1(VALU_DEP_1)
	v_mov_b32_dpp v22, v7 row_shr:4 row_mask:0xf bank_mask:0xf
	v_dual_cndmask_b32 v23, 0, v23 :: v_dual_cndmask_b32 v22, 0, v22
	s_delay_alu instid0(VALU_DEP_1) | instskip(NEXT) | instid1(VALU_DEP_2)
	v_add_nc_u32_e32 v8, v23, v8
	v_add_nc_u32_e32 v7, v22, v7
	ds_store_b64 v9, v[7:8]
.LBB447_128:
	s_or_b32 exec_lo, exec_lo, s0
	v_dual_mov_b32 v7, 0 :: v_dual_mov_b32 v22, 0
	v_mov_b32_e32 v23, 0
	s_mov_b32 s0, exec_lo
	s_waitcnt lgkmcnt(0)
	s_barrier
	buffer_gl0_inv
	v_cmpx_lt_u32_e32 31, v0
	s_cbranch_execz .LBB447_130
; %bb.129:
	v_lshl_add_u32 v8, v83, 3, -8
	ds_load_b64 v[22:23], v8
.LBB447_130:
	s_or_b32 exec_lo, exec_lo, s0
	v_add_nc_u32_e32 v8, -1, v82
	s_waitcnt lgkmcnt(0)
	v_add_nc_u32_e32 v24, v23, v6
	v_add_nc_u32_e32 v9, v22, v5
	ds_load_b64 v[5:6], v7 offset:56
	v_cmp_gt_i32_e32 vcc_lo, 0, v8
	v_cndmask_b32_e32 v8, v8, v82, vcc_lo
	s_delay_alu instid0(VALU_DEP_1)
	v_lshlrev_b32_e32 v8, 2, v8
	ds_bpermute_b32 v9, v8, v9
	ds_bpermute_b32 v24, v8, v24
	s_waitcnt lgkmcnt(2)
	v_readfirstlane_b32 s0, v6
	s_and_saveexec_b32 s1, s2
	s_cbranch_execz .LBB447_132
; %bb.131:
	s_mov_b32 s8, 0
	s_add_u32 s6, s36, 0x200
	s_addc_u32 s7, s37, 0
	s_and_b32 s9, s0, 0xff000000
	s_and_b32 s11, s0, 0xff0000
	s_mov_b32 s10, s8
	v_mov_b32_e32 v26, s7
	s_or_b64 s[10:11], s[10:11], s[8:9]
	s_and_b32 s9, s0, 0xff00
	v_dual_mov_b32 v8, 0 :: v_dual_mov_b32 v25, s6
	s_or_b64 s[10:11], s[10:11], s[8:9]
	s_and_b32 s9, s0, 0xff
	v_mov_b32_e32 v7, 2
	s_or_b64 s[8:9], s[10:11], s[8:9]
	s_delay_alu instid0(SALU_CYCLE_1)
	v_mov_b32_e32 v6, s9
	;;#ASMSTART
	global_store_dwordx4 v[25:26], v[5:8] off	
s_waitcnt vmcnt(0)
	;;#ASMEND
.LBB447_132:
	s_or_b32 exec_lo, exec_lo, s1
	v_cmp_eq_u32_e32 vcc_lo, 0, v82
	v_dual_mov_b32 v7, 0 :: v_dual_mov_b32 v6, s0
	s_waitcnt lgkmcnt(0)
	s_barrier
	v_dual_cndmask_b32 v8, v9, v22 :: v_dual_cndmask_b32 v9, v24, v23
	buffer_gl0_inv
	v_cndmask_b32_e64 v22, v8, 0, s2
	v_cndmask_b32_e64 v9, v9, 0, s2
	v_mov_b32_e32 v8, 0
.LBB447_133:
	s_delay_alu instid0(VALU_DEP_1) | instskip(SKIP_1) | instid1(VALU_DEP_2)
	v_add_nc_u32_e32 v24, v9, v81
	s_waitcnt lgkmcnt(0)
	v_sub_nc_u32_e32 v9, v9, v8
	v_add_co_u32 v1, vcc_lo, v1, v7
	v_and_b32_e32 v35, 1, v35
	v_add_nc_u32_e32 v26, v24, v77
	v_sub_nc_u32_e32 v24, v24, v8
	v_lshlrev_b32_e32 v77, 1, v5
	v_add_nc_u32_e32 v9, v9, v5
	v_add_co_ci_u32_e32 v2, vcc_lo, 0, v2, vcc_lo
	v_add_nc_u32_e32 v28, v26, v79
	s_delay_alu instid0(VALU_DEP_4)
	v_add3_u32 v33, v77, v6, v33
	v_and_b32_e32 v40, 1, v40
	v_and_b32_e32 v37, 1, v37
	;; [unrolled: 1-line block ×3, first 2 shown]
	v_add_nc_u32_e32 v29, v28, v75
	v_sub_nc_u32_e32 v28, v28, v8
	v_sub_co_u32 v75, vcc_lo, v3, v5
	s_add_u32 s1, s14, -4
	s_delay_alu instid0(VALU_DEP_3) | instskip(SKIP_4) | instid1(VALU_DEP_3)
	v_add_nc_u32_e32 v73, v29, v73
	v_sub_nc_u32_e32 v29, v29, v8
	v_add_nc_u32_e32 v28, v28, v5
	v_add_nc_u32_e32 v24, v24, v5
	s_mov_b32 s3, -1
	v_add_nc_u32_e32 v29, v29, v5
	v_add_nc_u32_e32 v23, v22, v80
	v_sub_nc_u32_e32 v22, v22, v7
	s_delay_alu instid0(VALU_DEP_2) | instskip(SKIP_3) | instid1(VALU_DEP_3)
	v_add_nc_u32_e32 v25, v23, v76
	v_sub_nc_u32_e32 v23, v23, v7
	v_subrev_co_ci_u32_e32 v76, vcc_lo, 0, v4, vcc_lo
	v_cmp_eq_u32_e32 vcc_lo, 1, v35
	v_add_nc_u32_e32 v79, v24, v23
	s_delay_alu instid0(VALU_DEP_1) | instskip(NEXT) | instid1(VALU_DEP_1)
	v_sub_nc_u32_e32 v79, v33, v79
	v_add_nc_u32_e32 v79, 1, v79
	v_add_nc_u32_e32 v27, v25, v78
	;; [unrolled: 1-line block ×3, first 2 shown]
	s_delay_alu instid0(VALU_DEP_1) | instskip(NEXT) | instid1(VALU_DEP_1)
	v_sub_nc_u32_e32 v78, v33, v78
	v_dual_cndmask_b32 v9, v78, v9 :: v_dual_and_b32 v34, 1, v34
	v_cmp_eq_u32_e32 vcc_lo, 1, v40
	v_cndmask_b32_e32 v24, v79, v24, vcc_lo
	s_delay_alu instid0(VALU_DEP_3) | instskip(NEXT) | instid1(VALU_DEP_4)
	v_cmp_eq_u32_e32 vcc_lo, 1, v34
	v_cndmask_b32_e32 v9, v9, v22, vcc_lo
	v_sub_nc_u32_e32 v26, v26, v8
	v_cmp_eq_u32_e32 vcc_lo, 1, v37
	v_and_b32_e32 v37, 1, v38
	s_delay_alu instid0(VALU_DEP_4) | instskip(NEXT) | instid1(VALU_DEP_4)
	v_lshlrev_b32_e32 v9, 2, v9
	v_add_nc_u32_e32 v26, v26, v5
	v_cndmask_b32_e32 v24, v24, v23, vcc_lo
	v_sub_nc_u32_e32 v25, v25, v7
	v_add_co_u32 v22, vcc_lo, v75, v8
	v_add_co_ci_u32_e32 v23, vcc_lo, 0, v76, vcc_lo
	s_delay_alu instid0(VALU_DEP_3)
	v_add_nc_u32_e32 v34, v26, v25
	v_cmp_eq_u32_e32 vcc_lo, 1, v37
	v_lshlrev_b32_e32 v24, 2, v24
	ds_store_b32 v9, v20
	v_sub_nc_u32_e32 v34, v33, v34
	ds_store_b32 v24, v21
	v_and_b32_e32 v24, 1, v39
	v_add_nc_u32_e32 v34, 2, v34
	s_delay_alu instid0(VALU_DEP_1) | instskip(SKIP_3) | instid1(VALU_DEP_4)
	v_cndmask_b32_e32 v26, v34, v26, vcc_lo
	v_cmp_eq_u32_e32 vcc_lo, 1, v36
	v_add_nc_u32_e32 v74, v27, v74
	v_sub_nc_u32_e32 v27, v27, v7
	v_cndmask_b32_e32 v25, v26, v25, vcc_lo
	s_delay_alu instid0(VALU_DEP_3) | instskip(NEXT) | instid1(VALU_DEP_3)
	v_sub_nc_u32_e32 v37, v74, v7
	v_add_nc_u32_e32 v34, v27, v28
	v_cmp_eq_u32_e32 vcc_lo, 1, v24
	v_sub_nc_u32_e32 v26, v73, v8
	v_lshlrev_b32_e32 v21, 2, v25
	v_and_b32_e32 v25, 1, v41
	v_sub_nc_u32_e32 v9, v33, v34
	v_add_nc_u32_e32 v20, v37, v29
	v_and_b32_e32 v24, 1, v42
	v_add_nc_u32_e32 v26, v26, v5
	ds_store_b32 v21, v18
	v_add_nc_u32_e32 v9, 3, v9
	v_sub_nc_u32_e32 v20, v33, v20
	s_delay_alu instid0(VALU_DEP_2) | instskip(SKIP_2) | instid1(VALU_DEP_4)
	v_cndmask_b32_e32 v9, v9, v28, vcc_lo
	v_cmp_eq_u32_e32 vcc_lo, 1, v25
	v_add_nc_u32_e32 v72, v74, v72
	v_add_nc_u32_e32 v20, 4, v20
	v_and_b32_e32 v25, 1, v43
	v_cndmask_b32_e32 v9, v9, v27, vcc_lo
	s_delay_alu instid0(VALU_DEP_4)
	v_sub_nc_u32_e32 v28, v72, v7
	v_cmp_eq_u32_e32 vcc_lo, 1, v24
	v_and_b32_e32 v24, 1, v44
	v_add_nc_u32_e32 v70, v72, v70
	v_lshlrev_b32_e32 v9, 2, v9
	v_add_nc_u32_e32 v27, v28, v26
	v_cndmask_b32_e32 v20, v20, v29, vcc_lo
	v_cmp_eq_u32_e32 vcc_lo, 1, v25
	v_and_b32_e32 v25, 1, v45
	v_add_nc_u32_e32 v64, v70, v64
	v_sub_nc_u32_e32 v18, v33, v27
	v_sub_nc_u32_e32 v27, v70, v7
	v_cndmask_b32_e32 v20, v20, v37, vcc_lo
	v_cmp_eq_u32_e32 vcc_lo, 1, v24
	ds_store_b32 v9, v19
	v_add_nc_u32_e32 v18, 5, v18
	v_and_b32_e32 v19, 1, v46
	v_lshlrev_b32_e32 v20, 2, v20
	v_add_nc_u32_e32 v68, v64, v68
	s_delay_alu instid0(VALU_DEP_4)
	v_cndmask_b32_e32 v18, v18, v26, vcc_lo
	v_cmp_eq_u32_e32 vcc_lo, 1, v25
	v_sub_nc_u32_e32 v25, v64, v7
	ds_store_b32 v20, v16
	v_and_b32_e32 v20, 1, v49
	v_add_nc_u32_e32 v66, v68, v66
	v_dual_cndmask_b32 v18, v18, v28 :: v_dual_add_nc_u32 v71, v73, v71
	v_cmp_eq_u32_e32 vcc_lo, 1, v19
	v_and_b32_e32 v19, 1, v48
	s_delay_alu instid0(VALU_DEP_4) | instskip(NEXT) | instid1(VALU_DEP_4)
	v_add_nc_u32_e32 v61, v66, v61
	v_lshlrev_b32_e32 v18, 2, v18
	v_add_nc_u32_e32 v65, v71, v65
	v_sub_nc_u32_e32 v21, v71, v8
	s_delay_alu instid0(VALU_DEP_4)
	v_add_nc_u32_e32 v60, v61, v60
	ds_store_b32 v18, v17
	v_sub_nc_u32_e32 v24, v65, v8
	v_add_nc_u32_e32 v21, v21, v5
	v_add_nc_u32_e32 v69, v65, v69
	v_and_b32_e32 v17, 1, v47
	s_delay_alu instid0(VALU_DEP_4) | instskip(NEXT) | instid1(VALU_DEP_4)
	v_add_nc_u32_e32 v24, v24, v5
	v_add_nc_u32_e32 v26, v27, v21
	s_delay_alu instid0(VALU_DEP_4) | instskip(NEXT) | instid1(VALU_DEP_3)
	v_sub_nc_u32_e32 v18, v69, v8
	v_add_nc_u32_e32 v16, v25, v24
	s_delay_alu instid0(VALU_DEP_3) | instskip(NEXT) | instid1(VALU_DEP_3)
	v_sub_nc_u32_e32 v9, v33, v26
	v_add_nc_u32_e32 v18, v18, v5
	v_sub_nc_u32_e32 v26, v60, v7
	s_delay_alu instid0(VALU_DEP_4) | instskip(NEXT) | instid1(VALU_DEP_4)
	v_sub_nc_u32_e32 v16, v33, v16
	v_add_nc_u32_e32 v9, 6, v9
	s_delay_alu instid0(VALU_DEP_1) | instskip(SKIP_2) | instid1(VALU_DEP_3)
	v_dual_cndmask_b32 v9, v9, v21 :: v_dual_add_nc_u32 v16, 7, v16
	v_cmp_eq_u32_e32 vcc_lo, 1, v19
	v_sub_nc_u32_e32 v21, v68, v7
	v_cndmask_b32_e32 v16, v16, v24, vcc_lo
	v_cmp_eq_u32_e32 vcc_lo, 1, v17
	s_delay_alu instid0(VALU_DEP_3) | instskip(SKIP_3) | instid1(VALU_DEP_4)
	v_add_nc_u32_e32 v17, v21, v18
	v_cndmask_b32_e32 v9, v9, v27, vcc_lo
	v_cmp_eq_u32_e32 vcc_lo, 1, v20
	v_add_nc_u32_e32 v67, v69, v67
	v_sub_nc_u32_e32 v17, v33, v17
	v_sub_nc_u32_e32 v20, v66, v7
	v_lshlrev_b32_e32 v9, 2, v9
	v_cndmask_b32_e32 v16, v16, v25, vcc_lo
	v_sub_nc_u32_e32 v19, v67, v8
	v_add_nc_u32_e32 v62, v67, v62
	v_sub_nc_u32_e32 v25, v61, v7
	ds_store_b32 v9, v14
	v_and_b32_e32 v9, 1, v50
	v_add_nc_u32_e32 v19, v19, v5
	v_add_nc_u32_e32 v14, 8, v17
	v_lshlrev_b32_e32 v16, 2, v16
	v_add_nc_u32_e32 v63, v62, v63
	v_cmp_eq_u32_e32 vcc_lo, 1, v9
	v_add_nc_u32_e32 v17, v20, v19
	ds_store_b32 v16, v15
	v_and_b32_e32 v15, 1, v51
	v_cndmask_b32_e32 v9, v14, v18, vcc_lo
	v_sub_nc_u32_e32 v14, v33, v17
	v_and_b32_e32 v18, 1, v52
	v_sub_nc_u32_e32 v17, v62, v8
	v_and_b32_e32 v16, 1, v54
	v_sub_nc_u32_e32 v24, v63, v8
	v_add_nc_u32_e32 v14, 9, v14
	v_cmp_eq_u32_e32 vcc_lo, 1, v18
	v_add_nc_u32_e32 v17, v17, v5
	v_add_nc_u32_e32 v35, v63, v59
	;; [unrolled: 1-line block ×3, first 2 shown]
	v_cndmask_b32_e32 v14, v14, v19, vcc_lo
	v_cmp_eq_u32_e32 vcc_lo, 1, v15
	v_add_nc_u32_e32 v15, v25, v17
	s_delay_alu instid0(VALU_DEP_4)
	v_add_nc_u32_e32 v18, v26, v24
	v_and_b32_e32 v19, 1, v55
	v_cndmask_b32_e32 v9, v9, v21, vcc_lo
	v_cmp_eq_u32_e32 vcc_lo, 1, v16
	v_sub_nc_u32_e32 v15, v33, v15
	v_sub_nc_u32_e32 v18, v33, v18
	v_and_b32_e32 v21, 1, v57
	v_sub_nc_u32_e32 v16, v35, v8
	v_cndmask_b32_e32 v14, v14, v20, vcc_lo
	v_and_b32_e32 v20, 1, v53
	v_add_nc_u32_e32 v15, 10, v15
	v_add_nc_u32_e32 v18, 11, v18
	;; [unrolled: 1-line block ×3, first 2 shown]
	v_lshlrev_b32_e32 v9, 2, v9
	v_cmp_eq_u32_e32 vcc_lo, 1, v20
	v_dual_cndmask_b32 v15, v15, v17 :: v_dual_lshlrev_b32 v14, 2, v14
	v_cmp_eq_u32_e32 vcc_lo, 1, v21
	v_and_b32_e32 v17, 1, v56
	v_cndmask_b32_e32 v18, v18, v24, vcc_lo
	v_cmp_eq_u32_e32 vcc_lo, 1, v19
	v_cndmask_b32_e32 v15, v15, v25, vcc_lo
	s_delay_alu instid0(VALU_DEP_4) | instskip(NEXT) | instid1(VALU_DEP_2)
	v_cmp_eq_u32_e32 vcc_lo, 1, v17
	v_lshlrev_b32_e32 v15, 2, v15
	v_cndmask_b32_e32 v17, v18, v26, vcc_lo
	v_add_nc_u32_e32 v40, v60, v58
	s_delay_alu instid0(VALU_DEP_2) | instskip(NEXT) | instid1(VALU_DEP_2)
	v_lshlrev_b32_e32 v17, 2, v17
	v_sub_nc_u32_e32 v7, v40, v7
	ds_store_b32 v9, v12
	ds_store_b32 v14, v13
	;; [unrolled: 1-line block ×4, first 2 shown]
	v_add_co_u32 v9, s0, v6, v77
	s_delay_alu instid0(VALU_DEP_1) | instskip(SKIP_1) | instid1(VALU_DEP_3)
	v_add_co_ci_u32_e64 v10, null, 0, 0, s0
	v_add_nc_u32_e32 v27, v7, v16
	v_add_co_u32 v9, vcc_lo, v9, v22
	s_delay_alu instid0(VALU_DEP_3) | instskip(NEXT) | instid1(VALU_DEP_3)
	v_add_co_ci_u32_e32 v10, vcc_lo, v10, v23, vcc_lo
	v_sub_nc_u32_e32 v20, v33, v27
	v_add_co_u32 v11, s0, s34, v30
	s_delay_alu instid0(VALU_DEP_4) | instskip(NEXT) | instid1(VALU_DEP_3)
	v_add_co_u32 v9, vcc_lo, v9, v1
	v_add_nc_u32_e32 v18, 12, v20
	v_add_co_ci_u32_e64 v12, null, s35, 0, s0
	v_add_co_ci_u32_e32 v10, vcc_lo, v10, v2, vcc_lo
	s_delay_alu instid0(VALU_DEP_3) | instskip(SKIP_1) | instid1(VALU_DEP_2)
	v_cndmask_b32_e64 v16, v18, v16, s33
	v_add_nc_u32_e32 v14, v5, v6
	v_cndmask_b32_e64 v7, v16, v7, s27
	s_delay_alu instid0(VALU_DEP_1)
	v_lshlrev_b32_e32 v7, 2, v7
	ds_store_b32 v7, v32
	v_sub_co_u32 v7, vcc_lo, v11, v9
	v_sub_co_ci_u32_e32 v13, vcc_lo, v12, v10, vcc_lo
	v_lshlrev_b64 v[9:10], 2, v[22:23]
	v_lshlrev_b64 v[11:12], 2, v[1:2]
	s_waitcnt lgkmcnt(0)
	s_barrier
	buffer_gl0_inv
	v_add_co_u32 v9, vcc_lo, s30, v9
	v_add_co_ci_u32_e32 v10, vcc_lo, s31, v10, vcc_lo
	v_cmp_ne_u32_e32 vcc_lo, 1, v31
	v_add_co_u32 v11, s0, s28, v11
	s_delay_alu instid0(VALU_DEP_1)
	v_add_co_ci_u32_e64 v12, s0, s29, v12, s0
	s_addc_u32 s0, s15, -1
	s_cbranch_vccz .LBB447_137
; %bb.134:
	s_and_b32 vcc_lo, exec_lo, s3
	s_cbranch_vccnz .LBB447_242
.LBB447_135:
	s_and_b32 s0, s2, s13
	s_delay_alu instid0(SALU_CYCLE_1)
	s_and_saveexec_b32 s1, s0
	s_cbranch_execnz .LBB447_360
.LBB447_136:
	s_nop 0
	s_sendmsg sendmsg(MSG_DEALLOC_VGPRS)
	s_endpgm
.LBB447_137:
	s_mov_b32 s3, exec_lo
	v_cmpx_le_u32_e64 v5, v0
	s_xor_b32 s3, exec_lo, s3
	s_cbranch_execz .LBB447_143
; %bb.138:
	s_mov_b32 s5, exec_lo
	v_cmpx_le_u32_e64 v14, v0
	s_xor_b32 s5, exec_lo, s5
	s_cbranch_execz .LBB447_140
; %bb.139:
	v_lshlrev_b32_e32 v15, 2, v0
	ds_load_b32 v17, v15
	v_add_co_u32 v15, vcc_lo, v7, v0
	v_add_co_ci_u32_e32 v16, vcc_lo, 0, v13, vcc_lo
	s_delay_alu instid0(VALU_DEP_1) | instskip(NEXT) | instid1(VALU_DEP_1)
	v_lshlrev_b64 v[15:16], 2, v[15:16]
	v_sub_co_u32 v15, vcc_lo, s14, v15
	s_delay_alu instid0(VALU_DEP_2)
	v_sub_co_ci_u32_e32 v16, vcc_lo, s15, v16, vcc_lo
	s_waitcnt lgkmcnt(0)
	global_store_b32 v[15:16], v17, off offset:-4
.LBB447_140:
	s_and_not1_saveexec_b32 s5, s5
	s_cbranch_execz .LBB447_142
; %bb.141:
	v_lshlrev_b32_e32 v15, 2, v0
	v_readfirstlane_b32 s6, v9
	v_readfirstlane_b32 s7, v10
	ds_load_b32 v16, v15
	s_waitcnt lgkmcnt(0)
	global_store_b32 v15, v16, s[6:7]
.LBB447_142:
	s_or_b32 exec_lo, exec_lo, s5
.LBB447_143:
	s_and_not1_saveexec_b32 s3, s3
	s_cbranch_execz .LBB447_145
; %bb.144:
	v_lshlrev_b32_e32 v15, 2, v0
	v_readfirstlane_b32 s6, v11
	v_readfirstlane_b32 s7, v12
	ds_load_b32 v16, v15
	s_waitcnt lgkmcnt(0)
	global_store_b32 v15, v16, s[6:7]
.LBB447_145:
	s_or_b32 exec_lo, exec_lo, s3
	v_or_b32_e32 v15, 0x100, v0
	s_mov_b32 s3, exec_lo
	s_delay_alu instid0(VALU_DEP_1)
	v_cmpx_le_u32_e64 v5, v15
	s_xor_b32 s3, exec_lo, s3
	s_cbranch_execz .LBB447_151
; %bb.146:
	s_mov_b32 s5, exec_lo
	v_cmpx_le_u32_e64 v14, v15
	s_xor_b32 s5, exec_lo, s5
	s_cbranch_execz .LBB447_148
; %bb.147:
	v_lshlrev_b32_e32 v15, 2, v0
	ds_load_b32 v17, v15 offset:1024
	v_add_co_u32 v15, vcc_lo, v7, v0
	v_add_co_ci_u32_e32 v16, vcc_lo, 0, v13, vcc_lo
	s_delay_alu instid0(VALU_DEP_1) | instskip(NEXT) | instid1(VALU_DEP_1)
	v_lshlrev_b64 v[15:16], 2, v[15:16]
	v_sub_co_u32 v15, vcc_lo, s1, v15
	s_delay_alu instid0(VALU_DEP_2)
	v_sub_co_ci_u32_e32 v16, vcc_lo, s0, v16, vcc_lo
	s_waitcnt lgkmcnt(0)
	global_store_b32 v[15:16], v17, off offset:-1024
.LBB447_148:
	s_and_not1_saveexec_b32 s5, s5
	s_cbranch_execz .LBB447_150
; %bb.149:
	v_lshlrev_b32_e32 v15, 2, v0
	v_readfirstlane_b32 s6, v9
	v_readfirstlane_b32 s7, v10
	ds_load_b32 v16, v15 offset:1024
	s_waitcnt lgkmcnt(0)
	global_store_b32 v15, v16, s[6:7] offset:1024
.LBB447_150:
	s_or_b32 exec_lo, exec_lo, s5
.LBB447_151:
	s_and_not1_saveexec_b32 s3, s3
	s_cbranch_execz .LBB447_153
; %bb.152:
	v_lshlrev_b32_e32 v15, 2, v0
	v_readfirstlane_b32 s6, v11
	v_readfirstlane_b32 s7, v12
	ds_load_b32 v16, v15 offset:1024
	s_waitcnt lgkmcnt(0)
	global_store_b32 v15, v16, s[6:7] offset:1024
.LBB447_153:
	s_or_b32 exec_lo, exec_lo, s3
	v_or_b32_e32 v15, 0x200, v0
	s_mov_b32 s3, exec_lo
	s_delay_alu instid0(VALU_DEP_1)
	v_cmpx_le_u32_e64 v5, v15
	s_xor_b32 s3, exec_lo, s3
	s_cbranch_execz .LBB447_159
; %bb.154:
	s_mov_b32 s5, exec_lo
	v_cmpx_le_u32_e64 v14, v15
	s_xor_b32 s5, exec_lo, s5
	s_cbranch_execz .LBB447_156
; %bb.155:
	v_lshlrev_b32_e32 v15, 2, v0
	ds_load_b32 v17, v15 offset:2048
	v_add_co_u32 v15, vcc_lo, v7, v0
	v_add_co_ci_u32_e32 v16, vcc_lo, 0, v13, vcc_lo
	s_delay_alu instid0(VALU_DEP_1) | instskip(NEXT) | instid1(VALU_DEP_1)
	v_lshlrev_b64 v[15:16], 2, v[15:16]
	v_sub_co_u32 v15, vcc_lo, s1, v15
	s_delay_alu instid0(VALU_DEP_2)
	v_sub_co_ci_u32_e32 v16, vcc_lo, s0, v16, vcc_lo
	s_waitcnt lgkmcnt(0)
	global_store_b32 v[15:16], v17, off offset:-2048
.LBB447_156:
	s_and_not1_saveexec_b32 s5, s5
	s_cbranch_execz .LBB447_158
; %bb.157:
	v_lshlrev_b32_e32 v15, 2, v0
	v_readfirstlane_b32 s6, v9
	v_readfirstlane_b32 s7, v10
	ds_load_b32 v16, v15 offset:2048
	s_waitcnt lgkmcnt(0)
	global_store_b32 v15, v16, s[6:7] offset:2048
.LBB447_158:
	s_or_b32 exec_lo, exec_lo, s5
.LBB447_159:
	s_and_not1_saveexec_b32 s3, s3
	s_cbranch_execz .LBB447_161
; %bb.160:
	v_lshlrev_b32_e32 v15, 2, v0
	v_readfirstlane_b32 s6, v11
	v_readfirstlane_b32 s7, v12
	ds_load_b32 v16, v15 offset:2048
	s_waitcnt lgkmcnt(0)
	global_store_b32 v15, v16, s[6:7] offset:2048
.LBB447_161:
	;; [unrolled: 47-line block ×3, first 2 shown]
	s_or_b32 exec_lo, exec_lo, s3
	v_or_b32_e32 v15, 0x400, v0
	s_mov_b32 s3, exec_lo
	s_delay_alu instid0(VALU_DEP_1)
	v_cmpx_le_u32_e64 v5, v15
	s_xor_b32 s3, exec_lo, s3
	s_cbranch_execz .LBB447_175
; %bb.170:
	s_mov_b32 s5, exec_lo
	v_cmpx_le_u32_e64 v14, v15
	s_xor_b32 s5, exec_lo, s5
	s_cbranch_execz .LBB447_172
; %bb.171:
	v_lshlrev_b32_e32 v15, 2, v0
	ds_load_b32 v17, v15 offset:4096
	v_add_co_u32 v15, vcc_lo, v7, v0
	v_add_co_ci_u32_e32 v16, vcc_lo, 0, v13, vcc_lo
	s_delay_alu instid0(VALU_DEP_1) | instskip(NEXT) | instid1(VALU_DEP_1)
	v_lshlrev_b64 v[15:16], 2, v[15:16]
	v_sub_co_u32 v15, vcc_lo, s1, v15
	s_delay_alu instid0(VALU_DEP_2)
	v_sub_co_ci_u32_e32 v16, vcc_lo, s0, v16, vcc_lo
	s_waitcnt lgkmcnt(0)
	global_store_b32 v[15:16], v17, off offset:-4096
                                        ; implicit-def: $vgpr15
.LBB447_172:
	s_and_not1_saveexec_b32 s5, s5
	s_cbranch_execz .LBB447_174
; %bb.173:
	v_lshlrev_b32_e32 v16, 2, v0
	v_lshlrev_b32_e32 v15, 2, v15
	v_readfirstlane_b32 s6, v9
	v_readfirstlane_b32 s7, v10
	ds_load_b32 v16, v16 offset:4096
	s_waitcnt lgkmcnt(0)
	global_store_b32 v15, v16, s[6:7]
.LBB447_174:
	s_or_b32 exec_lo, exec_lo, s5
                                        ; implicit-def: $vgpr15
.LBB447_175:
	s_and_not1_saveexec_b32 s3, s3
	s_cbranch_execz .LBB447_177
; %bb.176:
	v_lshlrev_b32_e32 v16, 2, v0
	v_lshlrev_b32_e32 v15, 2, v15
	v_readfirstlane_b32 s6, v11
	v_readfirstlane_b32 s7, v12
	ds_load_b32 v16, v16 offset:4096
	s_waitcnt lgkmcnt(0)
	global_store_b32 v15, v16, s[6:7]
.LBB447_177:
	s_or_b32 exec_lo, exec_lo, s3
	v_or_b32_e32 v15, 0x500, v0
	s_mov_b32 s3, exec_lo
	s_delay_alu instid0(VALU_DEP_1)
	v_cmpx_le_u32_e64 v5, v15
	s_xor_b32 s3, exec_lo, s3
	s_cbranch_execz .LBB447_183
; %bb.178:
	s_mov_b32 s5, exec_lo
	v_cmpx_le_u32_e64 v14, v15
	s_xor_b32 s5, exec_lo, s5
	s_cbranch_execz .LBB447_180
; %bb.179:
	v_lshlrev_b32_e32 v16, 2, v0
	v_add_co_u32 v15, vcc_lo, v7, v15
	ds_load_b32 v17, v16 offset:5120
	v_add_co_ci_u32_e32 v16, vcc_lo, 0, v13, vcc_lo
	s_delay_alu instid0(VALU_DEP_1) | instskip(NEXT) | instid1(VALU_DEP_1)
	v_lshlrev_b64 v[15:16], 2, v[15:16]
	v_sub_co_u32 v15, vcc_lo, s1, v15
	s_delay_alu instid0(VALU_DEP_2)
	v_sub_co_ci_u32_e32 v16, vcc_lo, s0, v16, vcc_lo
	s_waitcnt lgkmcnt(0)
	global_store_b32 v[15:16], v17, off
                                        ; implicit-def: $vgpr15
.LBB447_180:
	s_and_not1_saveexec_b32 s5, s5
	s_cbranch_execz .LBB447_182
; %bb.181:
	v_lshlrev_b32_e32 v16, 2, v0
	v_lshlrev_b32_e32 v15, 2, v15
	v_readfirstlane_b32 s6, v9
	v_readfirstlane_b32 s7, v10
	ds_load_b32 v16, v16 offset:5120
	s_waitcnt lgkmcnt(0)
	global_store_b32 v15, v16, s[6:7]
.LBB447_182:
	s_or_b32 exec_lo, exec_lo, s5
                                        ; implicit-def: $vgpr15
.LBB447_183:
	s_and_not1_saveexec_b32 s3, s3
	s_cbranch_execz .LBB447_185
; %bb.184:
	v_lshlrev_b32_e32 v16, 2, v0
	v_lshlrev_b32_e32 v15, 2, v15
	v_readfirstlane_b32 s6, v11
	v_readfirstlane_b32 s7, v12
	ds_load_b32 v16, v16 offset:5120
	s_waitcnt lgkmcnt(0)
	global_store_b32 v15, v16, s[6:7]
.LBB447_185:
	s_or_b32 exec_lo, exec_lo, s3
	v_or_b32_e32 v15, 0x600, v0
	s_mov_b32 s3, exec_lo
	s_delay_alu instid0(VALU_DEP_1)
	v_cmpx_le_u32_e64 v5, v15
	s_xor_b32 s3, exec_lo, s3
	s_cbranch_execz .LBB447_191
; %bb.186:
	s_mov_b32 s5, exec_lo
	v_cmpx_le_u32_e64 v14, v15
	s_xor_b32 s5, exec_lo, s5
	s_cbranch_execz .LBB447_188
; %bb.187:
	v_lshlrev_b32_e32 v16, 2, v0
	v_add_co_u32 v15, vcc_lo, v7, v15
	ds_load_b32 v17, v16 offset:6144
	v_add_co_ci_u32_e32 v16, vcc_lo, 0, v13, vcc_lo
	s_delay_alu instid0(VALU_DEP_1) | instskip(NEXT) | instid1(VALU_DEP_1)
	v_lshlrev_b64 v[15:16], 2, v[15:16]
	v_sub_co_u32 v15, vcc_lo, s1, v15
	s_delay_alu instid0(VALU_DEP_2)
	v_sub_co_ci_u32_e32 v16, vcc_lo, s0, v16, vcc_lo
	s_waitcnt lgkmcnt(0)
	global_store_b32 v[15:16], v17, off
                                        ; implicit-def: $vgpr15
.LBB447_188:
	s_and_not1_saveexec_b32 s5, s5
	s_cbranch_execz .LBB447_190
; %bb.189:
	v_lshlrev_b32_e32 v16, 2, v0
	v_lshlrev_b32_e32 v15, 2, v15
	v_readfirstlane_b32 s6, v9
	v_readfirstlane_b32 s7, v10
	ds_load_b32 v16, v16 offset:6144
	s_waitcnt lgkmcnt(0)
	global_store_b32 v15, v16, s[6:7]
.LBB447_190:
	s_or_b32 exec_lo, exec_lo, s5
                                        ; implicit-def: $vgpr15
.LBB447_191:
	s_and_not1_saveexec_b32 s3, s3
	s_cbranch_execz .LBB447_193
; %bb.192:
	v_lshlrev_b32_e32 v16, 2, v0
	v_lshlrev_b32_e32 v15, 2, v15
	v_readfirstlane_b32 s6, v11
	v_readfirstlane_b32 s7, v12
	ds_load_b32 v16, v16 offset:6144
	s_waitcnt lgkmcnt(0)
	global_store_b32 v15, v16, s[6:7]
.LBB447_193:
	s_or_b32 exec_lo, exec_lo, s3
	v_or_b32_e32 v15, 0x700, v0
	s_mov_b32 s3, exec_lo
	s_delay_alu instid0(VALU_DEP_1)
	v_cmpx_le_u32_e64 v5, v15
	s_xor_b32 s3, exec_lo, s3
	s_cbranch_execz .LBB447_199
; %bb.194:
	s_mov_b32 s5, exec_lo
	v_cmpx_le_u32_e64 v14, v15
	s_xor_b32 s5, exec_lo, s5
	s_cbranch_execz .LBB447_196
; %bb.195:
	v_lshlrev_b32_e32 v16, 2, v0
	v_add_co_u32 v15, vcc_lo, v7, v15
	ds_load_b32 v17, v16 offset:7168
	v_add_co_ci_u32_e32 v16, vcc_lo, 0, v13, vcc_lo
	s_delay_alu instid0(VALU_DEP_1) | instskip(NEXT) | instid1(VALU_DEP_1)
	v_lshlrev_b64 v[15:16], 2, v[15:16]
	v_sub_co_u32 v15, vcc_lo, s1, v15
	s_delay_alu instid0(VALU_DEP_2)
	v_sub_co_ci_u32_e32 v16, vcc_lo, s0, v16, vcc_lo
	s_waitcnt lgkmcnt(0)
	global_store_b32 v[15:16], v17, off
                                        ; implicit-def: $vgpr15
.LBB447_196:
	s_and_not1_saveexec_b32 s5, s5
	s_cbranch_execz .LBB447_198
; %bb.197:
	v_lshlrev_b32_e32 v16, 2, v0
	v_lshlrev_b32_e32 v15, 2, v15
	v_readfirstlane_b32 s6, v9
	v_readfirstlane_b32 s7, v10
	ds_load_b32 v16, v16 offset:7168
	s_waitcnt lgkmcnt(0)
	global_store_b32 v15, v16, s[6:7]
.LBB447_198:
	s_or_b32 exec_lo, exec_lo, s5
                                        ; implicit-def: $vgpr15
.LBB447_199:
	s_and_not1_saveexec_b32 s3, s3
	s_cbranch_execz .LBB447_201
; %bb.200:
	v_lshlrev_b32_e32 v16, 2, v0
	v_lshlrev_b32_e32 v15, 2, v15
	v_readfirstlane_b32 s6, v11
	v_readfirstlane_b32 s7, v12
	ds_load_b32 v16, v16 offset:7168
	s_waitcnt lgkmcnt(0)
	global_store_b32 v15, v16, s[6:7]
.LBB447_201:
	s_or_b32 exec_lo, exec_lo, s3
	v_or_b32_e32 v15, 0x800, v0
	s_mov_b32 s3, exec_lo
	s_delay_alu instid0(VALU_DEP_1)
	v_cmpx_le_u32_e64 v5, v15
	s_xor_b32 s3, exec_lo, s3
	s_cbranch_execz .LBB447_207
; %bb.202:
	s_mov_b32 s5, exec_lo
	v_cmpx_le_u32_e64 v14, v15
	s_xor_b32 s5, exec_lo, s5
	s_cbranch_execz .LBB447_204
; %bb.203:
	v_lshlrev_b32_e32 v16, 2, v0
	v_add_co_u32 v15, vcc_lo, v7, v15
	ds_load_b32 v17, v16 offset:8192
	v_add_co_ci_u32_e32 v16, vcc_lo, 0, v13, vcc_lo
	s_delay_alu instid0(VALU_DEP_1) | instskip(NEXT) | instid1(VALU_DEP_1)
	v_lshlrev_b64 v[15:16], 2, v[15:16]
	v_sub_co_u32 v15, vcc_lo, s1, v15
	s_delay_alu instid0(VALU_DEP_2)
	v_sub_co_ci_u32_e32 v16, vcc_lo, s0, v16, vcc_lo
	s_waitcnt lgkmcnt(0)
	global_store_b32 v[15:16], v17, off
                                        ; implicit-def: $vgpr15
.LBB447_204:
	s_and_not1_saveexec_b32 s5, s5
	s_cbranch_execz .LBB447_206
; %bb.205:
	v_lshlrev_b32_e32 v16, 2, v0
	v_lshlrev_b32_e32 v15, 2, v15
	v_readfirstlane_b32 s6, v9
	v_readfirstlane_b32 s7, v10
	ds_load_b32 v16, v16 offset:8192
	s_waitcnt lgkmcnt(0)
	global_store_b32 v15, v16, s[6:7]
.LBB447_206:
	s_or_b32 exec_lo, exec_lo, s5
                                        ; implicit-def: $vgpr15
.LBB447_207:
	s_and_not1_saveexec_b32 s3, s3
	s_cbranch_execz .LBB447_209
; %bb.208:
	v_lshlrev_b32_e32 v16, 2, v0
	v_lshlrev_b32_e32 v15, 2, v15
	v_readfirstlane_b32 s6, v11
	v_readfirstlane_b32 s7, v12
	ds_load_b32 v16, v16 offset:8192
	s_waitcnt lgkmcnt(0)
	global_store_b32 v15, v16, s[6:7]
.LBB447_209:
	s_or_b32 exec_lo, exec_lo, s3
	v_or_b32_e32 v15, 0x900, v0
	s_mov_b32 s3, exec_lo
	s_delay_alu instid0(VALU_DEP_1)
	v_cmpx_le_u32_e64 v5, v15
	s_xor_b32 s3, exec_lo, s3
	s_cbranch_execz .LBB447_215
; %bb.210:
	s_mov_b32 s5, exec_lo
	v_cmpx_le_u32_e64 v14, v15
	s_xor_b32 s5, exec_lo, s5
	s_cbranch_execz .LBB447_212
; %bb.211:
	v_lshlrev_b32_e32 v16, 2, v0
	v_add_co_u32 v15, vcc_lo, v7, v15
	ds_load_b32 v17, v16 offset:9216
	v_add_co_ci_u32_e32 v16, vcc_lo, 0, v13, vcc_lo
	s_delay_alu instid0(VALU_DEP_1) | instskip(NEXT) | instid1(VALU_DEP_1)
	v_lshlrev_b64 v[15:16], 2, v[15:16]
	v_sub_co_u32 v15, vcc_lo, s1, v15
	s_delay_alu instid0(VALU_DEP_2)
	v_sub_co_ci_u32_e32 v16, vcc_lo, s0, v16, vcc_lo
	s_waitcnt lgkmcnt(0)
	global_store_b32 v[15:16], v17, off
                                        ; implicit-def: $vgpr15
.LBB447_212:
	s_and_not1_saveexec_b32 s5, s5
	s_cbranch_execz .LBB447_214
; %bb.213:
	v_lshlrev_b32_e32 v16, 2, v0
	v_lshlrev_b32_e32 v15, 2, v15
	v_readfirstlane_b32 s6, v9
	v_readfirstlane_b32 s7, v10
	ds_load_b32 v16, v16 offset:9216
	s_waitcnt lgkmcnt(0)
	global_store_b32 v15, v16, s[6:7]
.LBB447_214:
	s_or_b32 exec_lo, exec_lo, s5
                                        ; implicit-def: $vgpr15
.LBB447_215:
	s_and_not1_saveexec_b32 s3, s3
	s_cbranch_execz .LBB447_217
; %bb.216:
	v_lshlrev_b32_e32 v16, 2, v0
	v_lshlrev_b32_e32 v15, 2, v15
	v_readfirstlane_b32 s6, v11
	v_readfirstlane_b32 s7, v12
	ds_load_b32 v16, v16 offset:9216
	s_waitcnt lgkmcnt(0)
	global_store_b32 v15, v16, s[6:7]
.LBB447_217:
	s_or_b32 exec_lo, exec_lo, s3
	v_or_b32_e32 v15, 0xa00, v0
	s_mov_b32 s3, exec_lo
	s_delay_alu instid0(VALU_DEP_1)
	v_cmpx_le_u32_e64 v5, v15
	s_xor_b32 s3, exec_lo, s3
	s_cbranch_execz .LBB447_223
; %bb.218:
	s_mov_b32 s5, exec_lo
	v_cmpx_le_u32_e64 v14, v15
	s_xor_b32 s5, exec_lo, s5
	s_cbranch_execz .LBB447_220
; %bb.219:
	v_lshlrev_b32_e32 v16, 2, v0
	v_add_co_u32 v15, vcc_lo, v7, v15
	ds_load_b32 v17, v16 offset:10240
	v_add_co_ci_u32_e32 v16, vcc_lo, 0, v13, vcc_lo
	s_delay_alu instid0(VALU_DEP_1) | instskip(NEXT) | instid1(VALU_DEP_1)
	v_lshlrev_b64 v[15:16], 2, v[15:16]
	v_sub_co_u32 v15, vcc_lo, s1, v15
	s_delay_alu instid0(VALU_DEP_2)
	v_sub_co_ci_u32_e32 v16, vcc_lo, s0, v16, vcc_lo
	s_waitcnt lgkmcnt(0)
	global_store_b32 v[15:16], v17, off
                                        ; implicit-def: $vgpr15
.LBB447_220:
	s_and_not1_saveexec_b32 s5, s5
	s_cbranch_execz .LBB447_222
; %bb.221:
	v_lshlrev_b32_e32 v16, 2, v0
	v_lshlrev_b32_e32 v15, 2, v15
	v_readfirstlane_b32 s6, v9
	v_readfirstlane_b32 s7, v10
	ds_load_b32 v16, v16 offset:10240
	s_waitcnt lgkmcnt(0)
	global_store_b32 v15, v16, s[6:7]
.LBB447_222:
	s_or_b32 exec_lo, exec_lo, s5
                                        ; implicit-def: $vgpr15
.LBB447_223:
	s_and_not1_saveexec_b32 s3, s3
	s_cbranch_execz .LBB447_225
; %bb.224:
	v_lshlrev_b32_e32 v16, 2, v0
	v_lshlrev_b32_e32 v15, 2, v15
	v_readfirstlane_b32 s6, v11
	v_readfirstlane_b32 s7, v12
	ds_load_b32 v16, v16 offset:10240
	s_waitcnt lgkmcnt(0)
	global_store_b32 v15, v16, s[6:7]
.LBB447_225:
	s_or_b32 exec_lo, exec_lo, s3
	v_or_b32_e32 v15, 0xb00, v0
	s_mov_b32 s3, exec_lo
	s_delay_alu instid0(VALU_DEP_1)
	v_cmpx_le_u32_e64 v5, v15
	s_xor_b32 s3, exec_lo, s3
	s_cbranch_execz .LBB447_231
; %bb.226:
	s_mov_b32 s5, exec_lo
	v_cmpx_le_u32_e64 v14, v15
	s_xor_b32 s5, exec_lo, s5
	s_cbranch_execz .LBB447_228
; %bb.227:
	v_lshlrev_b32_e32 v16, 2, v0
	v_add_co_u32 v15, vcc_lo, v7, v15
	ds_load_b32 v17, v16 offset:11264
	v_add_co_ci_u32_e32 v16, vcc_lo, 0, v13, vcc_lo
	s_delay_alu instid0(VALU_DEP_1) | instskip(NEXT) | instid1(VALU_DEP_1)
	v_lshlrev_b64 v[15:16], 2, v[15:16]
	v_sub_co_u32 v15, vcc_lo, s1, v15
	s_delay_alu instid0(VALU_DEP_2)
	v_sub_co_ci_u32_e32 v16, vcc_lo, s0, v16, vcc_lo
	s_waitcnt lgkmcnt(0)
	global_store_b32 v[15:16], v17, off
                                        ; implicit-def: $vgpr15
.LBB447_228:
	s_and_not1_saveexec_b32 s5, s5
	s_cbranch_execz .LBB447_230
; %bb.229:
	v_lshlrev_b32_e32 v16, 2, v0
	v_lshlrev_b32_e32 v15, 2, v15
	v_readfirstlane_b32 s6, v9
	v_readfirstlane_b32 s7, v10
	ds_load_b32 v16, v16 offset:11264
	s_waitcnt lgkmcnt(0)
	global_store_b32 v15, v16, s[6:7]
.LBB447_230:
	s_or_b32 exec_lo, exec_lo, s5
                                        ; implicit-def: $vgpr15
.LBB447_231:
	s_and_not1_saveexec_b32 s3, s3
	s_cbranch_execz .LBB447_233
; %bb.232:
	v_lshlrev_b32_e32 v16, 2, v0
	v_lshlrev_b32_e32 v15, 2, v15
	v_readfirstlane_b32 s6, v11
	v_readfirstlane_b32 s7, v12
	ds_load_b32 v16, v16 offset:11264
	s_waitcnt lgkmcnt(0)
	global_store_b32 v15, v16, s[6:7]
.LBB447_233:
	s_or_b32 exec_lo, exec_lo, s3
	v_or_b32_e32 v15, 0xc00, v0
	s_mov_b32 s3, exec_lo
	s_delay_alu instid0(VALU_DEP_1)
	v_cmpx_le_u32_e64 v5, v15
	s_xor_b32 s3, exec_lo, s3
	s_cbranch_execz .LBB447_239
; %bb.234:
	s_mov_b32 s5, exec_lo
	v_cmpx_le_u32_e64 v14, v15
	s_xor_b32 s5, exec_lo, s5
	s_cbranch_execz .LBB447_236
; %bb.235:
	v_lshlrev_b32_e32 v16, 2, v0
	v_add_co_u32 v15, vcc_lo, v7, v15
	ds_load_b32 v17, v16 offset:12288
	v_add_co_ci_u32_e32 v16, vcc_lo, 0, v13, vcc_lo
	s_delay_alu instid0(VALU_DEP_1) | instskip(NEXT) | instid1(VALU_DEP_1)
	v_lshlrev_b64 v[15:16], 2, v[15:16]
	v_sub_co_u32 v15, vcc_lo, s1, v15
	s_delay_alu instid0(VALU_DEP_2)
	v_sub_co_ci_u32_e32 v16, vcc_lo, s0, v16, vcc_lo
	s_waitcnt lgkmcnt(0)
	global_store_b32 v[15:16], v17, off
                                        ; implicit-def: $vgpr15
.LBB447_236:
	s_and_not1_saveexec_b32 s5, s5
	s_cbranch_execz .LBB447_238
; %bb.237:
	v_lshlrev_b32_e32 v16, 2, v0
	v_lshlrev_b32_e32 v15, 2, v15
	v_readfirstlane_b32 s6, v9
	v_readfirstlane_b32 s7, v10
	ds_load_b32 v16, v16 offset:12288
	s_waitcnt lgkmcnt(0)
	global_store_b32 v15, v16, s[6:7]
.LBB447_238:
	s_or_b32 exec_lo, exec_lo, s5
                                        ; implicit-def: $vgpr15
.LBB447_239:
	s_and_not1_saveexec_b32 s3, s3
	s_cbranch_execz .LBB447_241
; %bb.240:
	v_lshlrev_b32_e32 v16, 2, v0
	v_lshlrev_b32_e32 v15, 2, v15
	v_readfirstlane_b32 s6, v11
	v_readfirstlane_b32 s7, v12
	ds_load_b32 v16, v16 offset:12288
	s_waitcnt lgkmcnt(0)
	global_store_b32 v15, v16, s[6:7]
.LBB447_241:
	s_or_b32 exec_lo, exec_lo, s3
	s_branch .LBB447_135
.LBB447_242:
	s_mov_b32 s3, exec_lo
	v_cmpx_gt_u32_e64 s4, v0
	s_cbranch_execz .LBB447_251
; %bb.243:
	s_mov_b32 s5, exec_lo
	v_cmpx_le_u32_e64 v5, v0
	s_xor_b32 s5, exec_lo, s5
	s_cbranch_execz .LBB447_249
; %bb.244:
	s_mov_b32 s6, exec_lo
	v_cmpx_le_u32_e64 v14, v0
	s_xor_b32 s6, exec_lo, s6
	s_cbranch_execz .LBB447_246
; %bb.245:
	v_lshlrev_b32_e32 v15, 2, v0
	ds_load_b32 v17, v15
	v_add_co_u32 v15, vcc_lo, v7, v0
	v_add_co_ci_u32_e32 v16, vcc_lo, 0, v13, vcc_lo
	s_delay_alu instid0(VALU_DEP_1) | instskip(NEXT) | instid1(VALU_DEP_1)
	v_lshlrev_b64 v[15:16], 2, v[15:16]
	v_sub_co_u32 v15, vcc_lo, s14, v15
	s_delay_alu instid0(VALU_DEP_2)
	v_sub_co_ci_u32_e32 v16, vcc_lo, s15, v16, vcc_lo
	s_waitcnt lgkmcnt(0)
	global_store_b32 v[15:16], v17, off offset:-4
.LBB447_246:
	s_and_not1_saveexec_b32 s6, s6
	s_cbranch_execz .LBB447_248
; %bb.247:
	v_lshlrev_b32_e32 v15, 2, v0
	v_readfirstlane_b32 s8, v9
	v_readfirstlane_b32 s9, v10
	ds_load_b32 v16, v15
	s_waitcnt lgkmcnt(0)
	global_store_b32 v15, v16, s[8:9]
.LBB447_248:
	s_or_b32 exec_lo, exec_lo, s6
.LBB447_249:
	s_and_not1_saveexec_b32 s5, s5
	s_cbranch_execz .LBB447_251
; %bb.250:
	v_lshlrev_b32_e32 v15, 2, v0
	v_readfirstlane_b32 s6, v11
	v_readfirstlane_b32 s7, v12
	ds_load_b32 v16, v15
	s_waitcnt lgkmcnt(0)
	global_store_b32 v15, v16, s[6:7]
.LBB447_251:
	s_or_b32 exec_lo, exec_lo, s3
	v_or_b32_e32 v15, 0x100, v0
	s_mov_b32 s3, exec_lo
	s_delay_alu instid0(VALU_DEP_1)
	v_cmpx_gt_u32_e64 s4, v15
	s_cbranch_execz .LBB447_260
; %bb.252:
	s_mov_b32 s5, exec_lo
	v_cmpx_le_u32_e64 v5, v15
	s_xor_b32 s5, exec_lo, s5
	s_cbranch_execz .LBB447_258
; %bb.253:
	s_mov_b32 s6, exec_lo
	v_cmpx_le_u32_e64 v14, v15
	s_xor_b32 s6, exec_lo, s6
	s_cbranch_execz .LBB447_255
; %bb.254:
	v_lshlrev_b32_e32 v15, 2, v0
	ds_load_b32 v17, v15 offset:1024
	v_add_co_u32 v15, vcc_lo, v7, v0
	v_add_co_ci_u32_e32 v16, vcc_lo, 0, v13, vcc_lo
	s_delay_alu instid0(VALU_DEP_1) | instskip(NEXT) | instid1(VALU_DEP_1)
	v_lshlrev_b64 v[15:16], 2, v[15:16]
	v_sub_co_u32 v15, vcc_lo, s1, v15
	s_delay_alu instid0(VALU_DEP_2)
	v_sub_co_ci_u32_e32 v16, vcc_lo, s0, v16, vcc_lo
	s_waitcnt lgkmcnt(0)
	global_store_b32 v[15:16], v17, off offset:-1024
.LBB447_255:
	s_and_not1_saveexec_b32 s6, s6
	s_cbranch_execz .LBB447_257
; %bb.256:
	v_lshlrev_b32_e32 v15, 2, v0
	v_readfirstlane_b32 s8, v9
	v_readfirstlane_b32 s9, v10
	ds_load_b32 v16, v15 offset:1024
	s_waitcnt lgkmcnt(0)
	global_store_b32 v15, v16, s[8:9] offset:1024
.LBB447_257:
	s_or_b32 exec_lo, exec_lo, s6
.LBB447_258:
	s_and_not1_saveexec_b32 s5, s5
	s_cbranch_execz .LBB447_260
; %bb.259:
	v_lshlrev_b32_e32 v15, 2, v0
	v_readfirstlane_b32 s6, v11
	v_readfirstlane_b32 s7, v12
	ds_load_b32 v16, v15 offset:1024
	s_waitcnt lgkmcnt(0)
	global_store_b32 v15, v16, s[6:7] offset:1024
.LBB447_260:
	s_or_b32 exec_lo, exec_lo, s3
	v_or_b32_e32 v15, 0x200, v0
	s_mov_b32 s3, exec_lo
	s_delay_alu instid0(VALU_DEP_1)
	v_cmpx_gt_u32_e64 s4, v15
	s_cbranch_execz .LBB447_269
; %bb.261:
	s_mov_b32 s5, exec_lo
	v_cmpx_le_u32_e64 v5, v15
	s_xor_b32 s5, exec_lo, s5
	s_cbranch_execz .LBB447_267
; %bb.262:
	s_mov_b32 s6, exec_lo
	v_cmpx_le_u32_e64 v14, v15
	s_xor_b32 s6, exec_lo, s6
	s_cbranch_execz .LBB447_264
; %bb.263:
	v_lshlrev_b32_e32 v15, 2, v0
	ds_load_b32 v17, v15 offset:2048
	v_add_co_u32 v15, vcc_lo, v7, v0
	v_add_co_ci_u32_e32 v16, vcc_lo, 0, v13, vcc_lo
	s_delay_alu instid0(VALU_DEP_1) | instskip(NEXT) | instid1(VALU_DEP_1)
	v_lshlrev_b64 v[15:16], 2, v[15:16]
	v_sub_co_u32 v15, vcc_lo, s1, v15
	s_delay_alu instid0(VALU_DEP_2)
	v_sub_co_ci_u32_e32 v16, vcc_lo, s0, v16, vcc_lo
	s_waitcnt lgkmcnt(0)
	global_store_b32 v[15:16], v17, off offset:-2048
.LBB447_264:
	s_and_not1_saveexec_b32 s6, s6
	s_cbranch_execz .LBB447_266
; %bb.265:
	v_lshlrev_b32_e32 v15, 2, v0
	v_readfirstlane_b32 s8, v9
	v_readfirstlane_b32 s9, v10
	ds_load_b32 v16, v15 offset:2048
	s_waitcnt lgkmcnt(0)
	global_store_b32 v15, v16, s[8:9] offset:2048
.LBB447_266:
	s_or_b32 exec_lo, exec_lo, s6
.LBB447_267:
	s_and_not1_saveexec_b32 s5, s5
	s_cbranch_execz .LBB447_269
; %bb.268:
	v_lshlrev_b32_e32 v15, 2, v0
	v_readfirstlane_b32 s6, v11
	v_readfirstlane_b32 s7, v12
	ds_load_b32 v16, v15 offset:2048
	s_waitcnt lgkmcnt(0)
	global_store_b32 v15, v16, s[6:7] offset:2048
.LBB447_269:
	;; [unrolled: 51-line block ×3, first 2 shown]
	s_or_b32 exec_lo, exec_lo, s3
	v_or_b32_e32 v15, 0x400, v0
	s_mov_b32 s3, exec_lo
	s_delay_alu instid0(VALU_DEP_1)
	v_cmpx_gt_u32_e64 s4, v15
	s_cbranch_execz .LBB447_287
; %bb.279:
	s_mov_b32 s5, exec_lo
	v_cmpx_le_u32_e64 v5, v15
	s_xor_b32 s5, exec_lo, s5
	s_cbranch_execz .LBB447_285
; %bb.280:
	s_mov_b32 s6, exec_lo
	v_cmpx_le_u32_e64 v14, v15
	s_xor_b32 s6, exec_lo, s6
	s_cbranch_execz .LBB447_282
; %bb.281:
	v_lshlrev_b32_e32 v15, 2, v0
	ds_load_b32 v17, v15 offset:4096
	v_add_co_u32 v15, vcc_lo, v7, v0
	v_add_co_ci_u32_e32 v16, vcc_lo, 0, v13, vcc_lo
	s_delay_alu instid0(VALU_DEP_1) | instskip(NEXT) | instid1(VALU_DEP_1)
	v_lshlrev_b64 v[15:16], 2, v[15:16]
	v_sub_co_u32 v15, vcc_lo, s1, v15
	s_delay_alu instid0(VALU_DEP_2)
	v_sub_co_ci_u32_e32 v16, vcc_lo, s0, v16, vcc_lo
	s_waitcnt lgkmcnt(0)
	global_store_b32 v[15:16], v17, off offset:-4096
                                        ; implicit-def: $vgpr15
.LBB447_282:
	s_and_not1_saveexec_b32 s6, s6
	s_cbranch_execz .LBB447_284
; %bb.283:
	v_lshlrev_b32_e32 v16, 2, v0
	v_lshlrev_b32_e32 v15, 2, v15
	v_readfirstlane_b32 s8, v9
	v_readfirstlane_b32 s9, v10
	ds_load_b32 v16, v16 offset:4096
	s_waitcnt lgkmcnt(0)
	global_store_b32 v15, v16, s[8:9]
.LBB447_284:
	s_or_b32 exec_lo, exec_lo, s6
                                        ; implicit-def: $vgpr15
.LBB447_285:
	s_and_not1_saveexec_b32 s5, s5
	s_cbranch_execz .LBB447_287
; %bb.286:
	v_lshlrev_b32_e32 v16, 2, v0
	v_lshlrev_b32_e32 v15, 2, v15
	v_readfirstlane_b32 s6, v11
	v_readfirstlane_b32 s7, v12
	ds_load_b32 v16, v16 offset:4096
	s_waitcnt lgkmcnt(0)
	global_store_b32 v15, v16, s[6:7]
.LBB447_287:
	s_or_b32 exec_lo, exec_lo, s3
	v_or_b32_e32 v15, 0x500, v0
	s_mov_b32 s3, exec_lo
	s_delay_alu instid0(VALU_DEP_1)
	v_cmpx_gt_u32_e64 s4, v15
	s_cbranch_execz .LBB447_296
; %bb.288:
	s_mov_b32 s5, exec_lo
	v_cmpx_le_u32_e64 v5, v15
	s_xor_b32 s5, exec_lo, s5
	s_cbranch_execz .LBB447_294
; %bb.289:
	s_mov_b32 s6, exec_lo
	v_cmpx_le_u32_e64 v14, v15
	s_xor_b32 s6, exec_lo, s6
	s_cbranch_execz .LBB447_291
; %bb.290:
	v_lshlrev_b32_e32 v16, 2, v0
	v_add_co_u32 v15, vcc_lo, v7, v15
	ds_load_b32 v17, v16 offset:5120
	v_add_co_ci_u32_e32 v16, vcc_lo, 0, v13, vcc_lo
	s_delay_alu instid0(VALU_DEP_1) | instskip(NEXT) | instid1(VALU_DEP_1)
	v_lshlrev_b64 v[15:16], 2, v[15:16]
	v_sub_co_u32 v15, vcc_lo, s1, v15
	s_delay_alu instid0(VALU_DEP_2)
	v_sub_co_ci_u32_e32 v16, vcc_lo, s0, v16, vcc_lo
	s_waitcnt lgkmcnt(0)
	global_store_b32 v[15:16], v17, off
                                        ; implicit-def: $vgpr15
.LBB447_291:
	s_and_not1_saveexec_b32 s6, s6
	s_cbranch_execz .LBB447_293
; %bb.292:
	v_lshlrev_b32_e32 v16, 2, v0
	v_lshlrev_b32_e32 v15, 2, v15
	v_readfirstlane_b32 s8, v9
	v_readfirstlane_b32 s9, v10
	ds_load_b32 v16, v16 offset:5120
	s_waitcnt lgkmcnt(0)
	global_store_b32 v15, v16, s[8:9]
.LBB447_293:
	s_or_b32 exec_lo, exec_lo, s6
                                        ; implicit-def: $vgpr15
.LBB447_294:
	s_and_not1_saveexec_b32 s5, s5
	s_cbranch_execz .LBB447_296
; %bb.295:
	v_lshlrev_b32_e32 v16, 2, v0
	v_lshlrev_b32_e32 v15, 2, v15
	v_readfirstlane_b32 s6, v11
	v_readfirstlane_b32 s7, v12
	ds_load_b32 v16, v16 offset:5120
	s_waitcnt lgkmcnt(0)
	global_store_b32 v15, v16, s[6:7]
.LBB447_296:
	s_or_b32 exec_lo, exec_lo, s3
	v_or_b32_e32 v15, 0x600, v0
	s_mov_b32 s3, exec_lo
	s_delay_alu instid0(VALU_DEP_1)
	v_cmpx_gt_u32_e64 s4, v15
	s_cbranch_execz .LBB447_305
; %bb.297:
	s_mov_b32 s5, exec_lo
	v_cmpx_le_u32_e64 v5, v15
	s_xor_b32 s5, exec_lo, s5
	s_cbranch_execz .LBB447_303
; %bb.298:
	s_mov_b32 s6, exec_lo
	v_cmpx_le_u32_e64 v14, v15
	s_xor_b32 s6, exec_lo, s6
	s_cbranch_execz .LBB447_300
; %bb.299:
	v_lshlrev_b32_e32 v16, 2, v0
	v_add_co_u32 v15, vcc_lo, v7, v15
	ds_load_b32 v17, v16 offset:6144
	v_add_co_ci_u32_e32 v16, vcc_lo, 0, v13, vcc_lo
	s_delay_alu instid0(VALU_DEP_1) | instskip(NEXT) | instid1(VALU_DEP_1)
	v_lshlrev_b64 v[15:16], 2, v[15:16]
	v_sub_co_u32 v15, vcc_lo, s1, v15
	s_delay_alu instid0(VALU_DEP_2)
	v_sub_co_ci_u32_e32 v16, vcc_lo, s0, v16, vcc_lo
	s_waitcnt lgkmcnt(0)
	global_store_b32 v[15:16], v17, off
                                        ; implicit-def: $vgpr15
.LBB447_300:
	s_and_not1_saveexec_b32 s6, s6
	s_cbranch_execz .LBB447_302
; %bb.301:
	v_lshlrev_b32_e32 v16, 2, v0
	v_lshlrev_b32_e32 v15, 2, v15
	v_readfirstlane_b32 s8, v9
	v_readfirstlane_b32 s9, v10
	ds_load_b32 v16, v16 offset:6144
	s_waitcnt lgkmcnt(0)
	global_store_b32 v15, v16, s[8:9]
.LBB447_302:
	s_or_b32 exec_lo, exec_lo, s6
                                        ; implicit-def: $vgpr15
.LBB447_303:
	s_and_not1_saveexec_b32 s5, s5
	s_cbranch_execz .LBB447_305
; %bb.304:
	v_lshlrev_b32_e32 v16, 2, v0
	v_lshlrev_b32_e32 v15, 2, v15
	v_readfirstlane_b32 s6, v11
	v_readfirstlane_b32 s7, v12
	ds_load_b32 v16, v16 offset:6144
	s_waitcnt lgkmcnt(0)
	global_store_b32 v15, v16, s[6:7]
.LBB447_305:
	;; [unrolled: 55-line block ×7, first 2 shown]
	s_or_b32 exec_lo, exec_lo, s3
	v_or_b32_e32 v15, 0xc00, v0
	s_mov_b32 s3, exec_lo
	s_delay_alu instid0(VALU_DEP_1)
	v_cmpx_gt_u32_e64 s4, v15
	s_cbranch_execz .LBB447_359
; %bb.351:
	s_mov_b32 s4, exec_lo
	v_cmpx_le_u32_e64 v5, v15
	s_xor_b32 s4, exec_lo, s4
	s_cbranch_execz .LBB447_357
; %bb.352:
	s_mov_b32 s5, exec_lo
	v_cmpx_le_u32_e64 v14, v15
	s_xor_b32 s5, exec_lo, s5
	s_cbranch_execz .LBB447_354
; %bb.353:
	v_lshlrev_b32_e32 v0, 2, v0
	v_add_co_u32 v9, vcc_lo, v7, v15
	v_add_co_ci_u32_e32 v10, vcc_lo, 0, v13, vcc_lo
	ds_load_b32 v0, v0 offset:12288
                                        ; implicit-def: $vgpr15
	v_lshlrev_b64 v[9:10], 2, v[9:10]
	s_delay_alu instid0(VALU_DEP_1) | instskip(NEXT) | instid1(VALU_DEP_2)
	v_sub_co_u32 v9, vcc_lo, s1, v9
	v_sub_co_ci_u32_e32 v10, vcc_lo, s0, v10, vcc_lo
	s_waitcnt lgkmcnt(0)
	global_store_b32 v[9:10], v0, off
                                        ; implicit-def: $vgpr0
                                        ; implicit-def: $vgpr9_vgpr10
.LBB447_354:
	s_and_not1_saveexec_b32 s0, s5
	s_cbranch_execz .LBB447_356
; %bb.355:
	v_lshlrev_b32_e32 v0, 2, v0
	v_lshlrev_b32_e32 v7, 2, v15
	v_readfirstlane_b32 s6, v9
	v_readfirstlane_b32 s7, v10
	ds_load_b32 v0, v0 offset:12288
	s_waitcnt lgkmcnt(0)
	global_store_b32 v7, v0, s[6:7]
.LBB447_356:
	s_or_b32 exec_lo, exec_lo, s0
                                        ; implicit-def: $vgpr0
                                        ; implicit-def: $vgpr15
                                        ; implicit-def: $vgpr11_vgpr12
.LBB447_357:
	s_and_not1_saveexec_b32 s0, s4
	s_cbranch_execz .LBB447_359
; %bb.358:
	v_lshlrev_b32_e32 v0, 2, v0
	v_lshlrev_b32_e32 v7, 2, v15
	v_readfirstlane_b32 s0, v11
	v_readfirstlane_b32 s1, v12
	ds_load_b32 v0, v0 offset:12288
	s_waitcnt lgkmcnt(0)
	global_store_b32 v7, v0, s[0:1]
.LBB447_359:
	s_or_b32 exec_lo, exec_lo, s3
	s_and_b32 s0, s2, s13
	s_delay_alu instid0(SALU_CYCLE_1)
	s_and_saveexec_b32 s1, s0
	s_cbranch_execz .LBB447_136
.LBB447_360:
	v_add_co_u32 v3, vcc_lo, v3, v6
	v_add_co_ci_u32_e32 v4, vcc_lo, 0, v4, vcc_lo
	v_add_co_u32 v0, vcc_lo, v1, v5
	v_add_co_ci_u32_e32 v1, vcc_lo, 0, v2, vcc_lo
	s_delay_alu instid0(VALU_DEP_4)
	v_add_co_u32 v2, vcc_lo, v3, v8
	v_mov_b32_e32 v7, 0
	v_add_co_ci_u32_e32 v3, vcc_lo, 0, v4, vcc_lo
	global_store_b128 v7, v[0:3], s[24:25]
	s_nop 0
	s_sendmsg sendmsg(MSG_DEALLOC_VGPRS)
	s_endpgm
.LBB447_361:
	v_add_nc_u32_e32 v7, s6, v27
	s_add_i32 s8, s26, 32
	s_mov_b32 s9, 0
	v_dual_mov_b32 v9, 0 :: v_dual_add_nc_u32 v6, v26, v5
	s_lshl_b64 s[8:9], s[8:9], 4
	v_and_b32_e32 v24, 0xff0000, v7
	s_add_u32 s8, s36, s8
	s_addc_u32 s9, s37, s9
	v_and_b32_e32 v8, 0xff000000, v7
	s_delay_alu instid0(VALU_DEP_1) | instskip(SKIP_2) | instid1(VALU_DEP_1)
	v_or_b32_e32 v24, v24, v8
	v_dual_mov_b32 v8, 2 :: v_dual_and_b32 v25, 0xff00, v7
	v_and_b32_e32 v7, 0xff, v7
	v_or3_b32 v7, v24, v25, v7
	v_dual_mov_b32 v25, s9 :: v_dual_mov_b32 v24, s8
	;;#ASMSTART
	global_store_dwordx4 v[24:25], v[6:9] off	
s_waitcnt vmcnt(0)
	;;#ASMEND
	s_or_b32 exec_lo, exec_lo, s7
	s_and_saveexec_b32 s7, s3
	s_cbranch_execz .LBB447_120
.LBB447_362:
	v_mov_b32_e32 v6, s6
	v_add_nc_u32_e64 v7, 0x3400, 0
	ds_store_2addr_b32 v7, v5, v6 offset1:2
	ds_store_2addr_b32 v7, v26, v27 offset0:4 offset1:6
	s_or_b32 exec_lo, exec_lo, s7
	s_delay_alu instid0(SALU_CYCLE_1)
	s_and_b32 exec_lo, exec_lo, s2
	s_cbranch_execnz .LBB447_121
	s_branch .LBB447_122
	.section	.rodata,"a",@progbits
	.p2align	6, 0x0
	.amdhsa_kernel _ZN7rocprim17ROCPRIM_400000_NS6detail17trampoline_kernelINS0_13select_configILj256ELj13ELNS0_17block_load_methodE3ELS4_3ELS4_3ELNS0_20block_scan_algorithmE0ELj4294967295EEENS1_25partition_config_selectorILNS1_17partition_subalgoE4EjNS0_10empty_typeEbEEZZNS1_14partition_implILS8_4ELb0ES6_15HIP_vector_typeIjLj2EENS0_17counting_iteratorIjlEEPS9_SG_NS0_5tupleIJPjSI_NS0_16reverse_iteratorISI_EEEEENSH_IJSG_SG_SG_EEES9_SI_JZNS1_25segmented_radix_sort_implINS0_14default_configELb1EPKiPiPKlPlN2at6native12_GLOBAL__N_18offset_tEEE10hipError_tPvRmT1_PNSt15iterator_traitsIS12_E10value_typeET2_T3_PNS13_IS18_E10value_typeET4_jRbjT5_S1E_jjP12ihipStream_tbEUljE_ZNSN_ISO_Lb1ESQ_SR_ST_SU_SY_EESZ_S10_S11_S12_S16_S17_S18_S1B_S1C_jS1D_jS1E_S1E_jjS1G_bEUljE0_EEESZ_S10_S11_S18_S1C_S1E_T6_T7_T9_mT8_S1G_bDpT10_ENKUlT_T0_E_clISt17integral_constantIbLb1EES1U_EEDaS1P_S1Q_EUlS1P_E_NS1_11comp_targetILNS1_3genE9ELNS1_11target_archE1100ELNS1_3gpuE3ELNS1_3repE0EEENS1_30default_config_static_selectorELNS0_4arch9wavefront6targetE0EEEvS12_
		.amdhsa_group_segment_fixed_size 13340
		.amdhsa_private_segment_fixed_size 0
		.amdhsa_kernarg_size 184
		.amdhsa_user_sgpr_count 15
		.amdhsa_user_sgpr_dispatch_ptr 0
		.amdhsa_user_sgpr_queue_ptr 0
		.amdhsa_user_sgpr_kernarg_segment_ptr 1
		.amdhsa_user_sgpr_dispatch_id 0
		.amdhsa_user_sgpr_private_segment_size 0
		.amdhsa_wavefront_size32 1
		.amdhsa_uses_dynamic_stack 0
		.amdhsa_enable_private_segment 0
		.amdhsa_system_sgpr_workgroup_id_x 1
		.amdhsa_system_sgpr_workgroup_id_y 0
		.amdhsa_system_sgpr_workgroup_id_z 0
		.amdhsa_system_sgpr_workgroup_info 0
		.amdhsa_system_vgpr_workitem_id 0
		.amdhsa_next_free_vgpr 103
		.amdhsa_next_free_sgpr 55
		.amdhsa_reserve_vcc 1
		.amdhsa_float_round_mode_32 0
		.amdhsa_float_round_mode_16_64 0
		.amdhsa_float_denorm_mode_32 3
		.amdhsa_float_denorm_mode_16_64 3
		.amdhsa_dx10_clamp 1
		.amdhsa_ieee_mode 1
		.amdhsa_fp16_overflow 0
		.amdhsa_workgroup_processor_mode 1
		.amdhsa_memory_ordered 1
		.amdhsa_forward_progress 0
		.amdhsa_shared_vgpr_count 0
		.amdhsa_exception_fp_ieee_invalid_op 0
		.amdhsa_exception_fp_denorm_src 0
		.amdhsa_exception_fp_ieee_div_zero 0
		.amdhsa_exception_fp_ieee_overflow 0
		.amdhsa_exception_fp_ieee_underflow 0
		.amdhsa_exception_fp_ieee_inexact 0
		.amdhsa_exception_int_div_zero 0
	.end_amdhsa_kernel
	.section	.text._ZN7rocprim17ROCPRIM_400000_NS6detail17trampoline_kernelINS0_13select_configILj256ELj13ELNS0_17block_load_methodE3ELS4_3ELS4_3ELNS0_20block_scan_algorithmE0ELj4294967295EEENS1_25partition_config_selectorILNS1_17partition_subalgoE4EjNS0_10empty_typeEbEEZZNS1_14partition_implILS8_4ELb0ES6_15HIP_vector_typeIjLj2EENS0_17counting_iteratorIjlEEPS9_SG_NS0_5tupleIJPjSI_NS0_16reverse_iteratorISI_EEEEENSH_IJSG_SG_SG_EEES9_SI_JZNS1_25segmented_radix_sort_implINS0_14default_configELb1EPKiPiPKlPlN2at6native12_GLOBAL__N_18offset_tEEE10hipError_tPvRmT1_PNSt15iterator_traitsIS12_E10value_typeET2_T3_PNS13_IS18_E10value_typeET4_jRbjT5_S1E_jjP12ihipStream_tbEUljE_ZNSN_ISO_Lb1ESQ_SR_ST_SU_SY_EESZ_S10_S11_S12_S16_S17_S18_S1B_S1C_jS1D_jS1E_S1E_jjS1G_bEUljE0_EEESZ_S10_S11_S18_S1C_S1E_T6_T7_T9_mT8_S1G_bDpT10_ENKUlT_T0_E_clISt17integral_constantIbLb1EES1U_EEDaS1P_S1Q_EUlS1P_E_NS1_11comp_targetILNS1_3genE9ELNS1_11target_archE1100ELNS1_3gpuE3ELNS1_3repE0EEENS1_30default_config_static_selectorELNS0_4arch9wavefront6targetE0EEEvS12_,"axG",@progbits,_ZN7rocprim17ROCPRIM_400000_NS6detail17trampoline_kernelINS0_13select_configILj256ELj13ELNS0_17block_load_methodE3ELS4_3ELS4_3ELNS0_20block_scan_algorithmE0ELj4294967295EEENS1_25partition_config_selectorILNS1_17partition_subalgoE4EjNS0_10empty_typeEbEEZZNS1_14partition_implILS8_4ELb0ES6_15HIP_vector_typeIjLj2EENS0_17counting_iteratorIjlEEPS9_SG_NS0_5tupleIJPjSI_NS0_16reverse_iteratorISI_EEEEENSH_IJSG_SG_SG_EEES9_SI_JZNS1_25segmented_radix_sort_implINS0_14default_configELb1EPKiPiPKlPlN2at6native12_GLOBAL__N_18offset_tEEE10hipError_tPvRmT1_PNSt15iterator_traitsIS12_E10value_typeET2_T3_PNS13_IS18_E10value_typeET4_jRbjT5_S1E_jjP12ihipStream_tbEUljE_ZNSN_ISO_Lb1ESQ_SR_ST_SU_SY_EESZ_S10_S11_S12_S16_S17_S18_S1B_S1C_jS1D_jS1E_S1E_jjS1G_bEUljE0_EEESZ_S10_S11_S18_S1C_S1E_T6_T7_T9_mT8_S1G_bDpT10_ENKUlT_T0_E_clISt17integral_constantIbLb1EES1U_EEDaS1P_S1Q_EUlS1P_E_NS1_11comp_targetILNS1_3genE9ELNS1_11target_archE1100ELNS1_3gpuE3ELNS1_3repE0EEENS1_30default_config_static_selectorELNS0_4arch9wavefront6targetE0EEEvS12_,comdat
.Lfunc_end447:
	.size	_ZN7rocprim17ROCPRIM_400000_NS6detail17trampoline_kernelINS0_13select_configILj256ELj13ELNS0_17block_load_methodE3ELS4_3ELS4_3ELNS0_20block_scan_algorithmE0ELj4294967295EEENS1_25partition_config_selectorILNS1_17partition_subalgoE4EjNS0_10empty_typeEbEEZZNS1_14partition_implILS8_4ELb0ES6_15HIP_vector_typeIjLj2EENS0_17counting_iteratorIjlEEPS9_SG_NS0_5tupleIJPjSI_NS0_16reverse_iteratorISI_EEEEENSH_IJSG_SG_SG_EEES9_SI_JZNS1_25segmented_radix_sort_implINS0_14default_configELb1EPKiPiPKlPlN2at6native12_GLOBAL__N_18offset_tEEE10hipError_tPvRmT1_PNSt15iterator_traitsIS12_E10value_typeET2_T3_PNS13_IS18_E10value_typeET4_jRbjT5_S1E_jjP12ihipStream_tbEUljE_ZNSN_ISO_Lb1ESQ_SR_ST_SU_SY_EESZ_S10_S11_S12_S16_S17_S18_S1B_S1C_jS1D_jS1E_S1E_jjS1G_bEUljE0_EEESZ_S10_S11_S18_S1C_S1E_T6_T7_T9_mT8_S1G_bDpT10_ENKUlT_T0_E_clISt17integral_constantIbLb1EES1U_EEDaS1P_S1Q_EUlS1P_E_NS1_11comp_targetILNS1_3genE9ELNS1_11target_archE1100ELNS1_3gpuE3ELNS1_3repE0EEENS1_30default_config_static_selectorELNS0_4arch9wavefront6targetE0EEEvS12_, .Lfunc_end447-_ZN7rocprim17ROCPRIM_400000_NS6detail17trampoline_kernelINS0_13select_configILj256ELj13ELNS0_17block_load_methodE3ELS4_3ELS4_3ELNS0_20block_scan_algorithmE0ELj4294967295EEENS1_25partition_config_selectorILNS1_17partition_subalgoE4EjNS0_10empty_typeEbEEZZNS1_14partition_implILS8_4ELb0ES6_15HIP_vector_typeIjLj2EENS0_17counting_iteratorIjlEEPS9_SG_NS0_5tupleIJPjSI_NS0_16reverse_iteratorISI_EEEEENSH_IJSG_SG_SG_EEES9_SI_JZNS1_25segmented_radix_sort_implINS0_14default_configELb1EPKiPiPKlPlN2at6native12_GLOBAL__N_18offset_tEEE10hipError_tPvRmT1_PNSt15iterator_traitsIS12_E10value_typeET2_T3_PNS13_IS18_E10value_typeET4_jRbjT5_S1E_jjP12ihipStream_tbEUljE_ZNSN_ISO_Lb1ESQ_SR_ST_SU_SY_EESZ_S10_S11_S12_S16_S17_S18_S1B_S1C_jS1D_jS1E_S1E_jjS1G_bEUljE0_EEESZ_S10_S11_S18_S1C_S1E_T6_T7_T9_mT8_S1G_bDpT10_ENKUlT_T0_E_clISt17integral_constantIbLb1EES1U_EEDaS1P_S1Q_EUlS1P_E_NS1_11comp_targetILNS1_3genE9ELNS1_11target_archE1100ELNS1_3gpuE3ELNS1_3repE0EEENS1_30default_config_static_selectorELNS0_4arch9wavefront6targetE0EEEvS12_
                                        ; -- End function
	.section	.AMDGPU.csdata,"",@progbits
; Kernel info:
; codeLenInByte = 15160
; NumSgprs: 57
; NumVgprs: 103
; ScratchSize: 0
; MemoryBound: 0
; FloatMode: 240
; IeeeMode: 1
; LDSByteSize: 13340 bytes/workgroup (compile time only)
; SGPRBlocks: 7
; VGPRBlocks: 12
; NumSGPRsForWavesPerEU: 57
; NumVGPRsForWavesPerEU: 103
; Occupancy: 12
; WaveLimiterHint : 1
; COMPUTE_PGM_RSRC2:SCRATCH_EN: 0
; COMPUTE_PGM_RSRC2:USER_SGPR: 15
; COMPUTE_PGM_RSRC2:TRAP_HANDLER: 0
; COMPUTE_PGM_RSRC2:TGID_X_EN: 1
; COMPUTE_PGM_RSRC2:TGID_Y_EN: 0
; COMPUTE_PGM_RSRC2:TGID_Z_EN: 0
; COMPUTE_PGM_RSRC2:TIDIG_COMP_CNT: 0
	.section	.text._ZN7rocprim17ROCPRIM_400000_NS6detail17trampoline_kernelINS0_13select_configILj256ELj13ELNS0_17block_load_methodE3ELS4_3ELS4_3ELNS0_20block_scan_algorithmE0ELj4294967295EEENS1_25partition_config_selectorILNS1_17partition_subalgoE4EjNS0_10empty_typeEbEEZZNS1_14partition_implILS8_4ELb0ES6_15HIP_vector_typeIjLj2EENS0_17counting_iteratorIjlEEPS9_SG_NS0_5tupleIJPjSI_NS0_16reverse_iteratorISI_EEEEENSH_IJSG_SG_SG_EEES9_SI_JZNS1_25segmented_radix_sort_implINS0_14default_configELb1EPKiPiPKlPlN2at6native12_GLOBAL__N_18offset_tEEE10hipError_tPvRmT1_PNSt15iterator_traitsIS12_E10value_typeET2_T3_PNS13_IS18_E10value_typeET4_jRbjT5_S1E_jjP12ihipStream_tbEUljE_ZNSN_ISO_Lb1ESQ_SR_ST_SU_SY_EESZ_S10_S11_S12_S16_S17_S18_S1B_S1C_jS1D_jS1E_S1E_jjS1G_bEUljE0_EEESZ_S10_S11_S18_S1C_S1E_T6_T7_T9_mT8_S1G_bDpT10_ENKUlT_T0_E_clISt17integral_constantIbLb1EES1U_EEDaS1P_S1Q_EUlS1P_E_NS1_11comp_targetILNS1_3genE8ELNS1_11target_archE1030ELNS1_3gpuE2ELNS1_3repE0EEENS1_30default_config_static_selectorELNS0_4arch9wavefront6targetE0EEEvS12_,"axG",@progbits,_ZN7rocprim17ROCPRIM_400000_NS6detail17trampoline_kernelINS0_13select_configILj256ELj13ELNS0_17block_load_methodE3ELS4_3ELS4_3ELNS0_20block_scan_algorithmE0ELj4294967295EEENS1_25partition_config_selectorILNS1_17partition_subalgoE4EjNS0_10empty_typeEbEEZZNS1_14partition_implILS8_4ELb0ES6_15HIP_vector_typeIjLj2EENS0_17counting_iteratorIjlEEPS9_SG_NS0_5tupleIJPjSI_NS0_16reverse_iteratorISI_EEEEENSH_IJSG_SG_SG_EEES9_SI_JZNS1_25segmented_radix_sort_implINS0_14default_configELb1EPKiPiPKlPlN2at6native12_GLOBAL__N_18offset_tEEE10hipError_tPvRmT1_PNSt15iterator_traitsIS12_E10value_typeET2_T3_PNS13_IS18_E10value_typeET4_jRbjT5_S1E_jjP12ihipStream_tbEUljE_ZNSN_ISO_Lb1ESQ_SR_ST_SU_SY_EESZ_S10_S11_S12_S16_S17_S18_S1B_S1C_jS1D_jS1E_S1E_jjS1G_bEUljE0_EEESZ_S10_S11_S18_S1C_S1E_T6_T7_T9_mT8_S1G_bDpT10_ENKUlT_T0_E_clISt17integral_constantIbLb1EES1U_EEDaS1P_S1Q_EUlS1P_E_NS1_11comp_targetILNS1_3genE8ELNS1_11target_archE1030ELNS1_3gpuE2ELNS1_3repE0EEENS1_30default_config_static_selectorELNS0_4arch9wavefront6targetE0EEEvS12_,comdat
	.globl	_ZN7rocprim17ROCPRIM_400000_NS6detail17trampoline_kernelINS0_13select_configILj256ELj13ELNS0_17block_load_methodE3ELS4_3ELS4_3ELNS0_20block_scan_algorithmE0ELj4294967295EEENS1_25partition_config_selectorILNS1_17partition_subalgoE4EjNS0_10empty_typeEbEEZZNS1_14partition_implILS8_4ELb0ES6_15HIP_vector_typeIjLj2EENS0_17counting_iteratorIjlEEPS9_SG_NS0_5tupleIJPjSI_NS0_16reverse_iteratorISI_EEEEENSH_IJSG_SG_SG_EEES9_SI_JZNS1_25segmented_radix_sort_implINS0_14default_configELb1EPKiPiPKlPlN2at6native12_GLOBAL__N_18offset_tEEE10hipError_tPvRmT1_PNSt15iterator_traitsIS12_E10value_typeET2_T3_PNS13_IS18_E10value_typeET4_jRbjT5_S1E_jjP12ihipStream_tbEUljE_ZNSN_ISO_Lb1ESQ_SR_ST_SU_SY_EESZ_S10_S11_S12_S16_S17_S18_S1B_S1C_jS1D_jS1E_S1E_jjS1G_bEUljE0_EEESZ_S10_S11_S18_S1C_S1E_T6_T7_T9_mT8_S1G_bDpT10_ENKUlT_T0_E_clISt17integral_constantIbLb1EES1U_EEDaS1P_S1Q_EUlS1P_E_NS1_11comp_targetILNS1_3genE8ELNS1_11target_archE1030ELNS1_3gpuE2ELNS1_3repE0EEENS1_30default_config_static_selectorELNS0_4arch9wavefront6targetE0EEEvS12_ ; -- Begin function _ZN7rocprim17ROCPRIM_400000_NS6detail17trampoline_kernelINS0_13select_configILj256ELj13ELNS0_17block_load_methodE3ELS4_3ELS4_3ELNS0_20block_scan_algorithmE0ELj4294967295EEENS1_25partition_config_selectorILNS1_17partition_subalgoE4EjNS0_10empty_typeEbEEZZNS1_14partition_implILS8_4ELb0ES6_15HIP_vector_typeIjLj2EENS0_17counting_iteratorIjlEEPS9_SG_NS0_5tupleIJPjSI_NS0_16reverse_iteratorISI_EEEEENSH_IJSG_SG_SG_EEES9_SI_JZNS1_25segmented_radix_sort_implINS0_14default_configELb1EPKiPiPKlPlN2at6native12_GLOBAL__N_18offset_tEEE10hipError_tPvRmT1_PNSt15iterator_traitsIS12_E10value_typeET2_T3_PNS13_IS18_E10value_typeET4_jRbjT5_S1E_jjP12ihipStream_tbEUljE_ZNSN_ISO_Lb1ESQ_SR_ST_SU_SY_EESZ_S10_S11_S12_S16_S17_S18_S1B_S1C_jS1D_jS1E_S1E_jjS1G_bEUljE0_EEESZ_S10_S11_S18_S1C_S1E_T6_T7_T9_mT8_S1G_bDpT10_ENKUlT_T0_E_clISt17integral_constantIbLb1EES1U_EEDaS1P_S1Q_EUlS1P_E_NS1_11comp_targetILNS1_3genE8ELNS1_11target_archE1030ELNS1_3gpuE2ELNS1_3repE0EEENS1_30default_config_static_selectorELNS0_4arch9wavefront6targetE0EEEvS12_
	.p2align	8
	.type	_ZN7rocprim17ROCPRIM_400000_NS6detail17trampoline_kernelINS0_13select_configILj256ELj13ELNS0_17block_load_methodE3ELS4_3ELS4_3ELNS0_20block_scan_algorithmE0ELj4294967295EEENS1_25partition_config_selectorILNS1_17partition_subalgoE4EjNS0_10empty_typeEbEEZZNS1_14partition_implILS8_4ELb0ES6_15HIP_vector_typeIjLj2EENS0_17counting_iteratorIjlEEPS9_SG_NS0_5tupleIJPjSI_NS0_16reverse_iteratorISI_EEEEENSH_IJSG_SG_SG_EEES9_SI_JZNS1_25segmented_radix_sort_implINS0_14default_configELb1EPKiPiPKlPlN2at6native12_GLOBAL__N_18offset_tEEE10hipError_tPvRmT1_PNSt15iterator_traitsIS12_E10value_typeET2_T3_PNS13_IS18_E10value_typeET4_jRbjT5_S1E_jjP12ihipStream_tbEUljE_ZNSN_ISO_Lb1ESQ_SR_ST_SU_SY_EESZ_S10_S11_S12_S16_S17_S18_S1B_S1C_jS1D_jS1E_S1E_jjS1G_bEUljE0_EEESZ_S10_S11_S18_S1C_S1E_T6_T7_T9_mT8_S1G_bDpT10_ENKUlT_T0_E_clISt17integral_constantIbLb1EES1U_EEDaS1P_S1Q_EUlS1P_E_NS1_11comp_targetILNS1_3genE8ELNS1_11target_archE1030ELNS1_3gpuE2ELNS1_3repE0EEENS1_30default_config_static_selectorELNS0_4arch9wavefront6targetE0EEEvS12_,@function
_ZN7rocprim17ROCPRIM_400000_NS6detail17trampoline_kernelINS0_13select_configILj256ELj13ELNS0_17block_load_methodE3ELS4_3ELS4_3ELNS0_20block_scan_algorithmE0ELj4294967295EEENS1_25partition_config_selectorILNS1_17partition_subalgoE4EjNS0_10empty_typeEbEEZZNS1_14partition_implILS8_4ELb0ES6_15HIP_vector_typeIjLj2EENS0_17counting_iteratorIjlEEPS9_SG_NS0_5tupleIJPjSI_NS0_16reverse_iteratorISI_EEEEENSH_IJSG_SG_SG_EEES9_SI_JZNS1_25segmented_radix_sort_implINS0_14default_configELb1EPKiPiPKlPlN2at6native12_GLOBAL__N_18offset_tEEE10hipError_tPvRmT1_PNSt15iterator_traitsIS12_E10value_typeET2_T3_PNS13_IS18_E10value_typeET4_jRbjT5_S1E_jjP12ihipStream_tbEUljE_ZNSN_ISO_Lb1ESQ_SR_ST_SU_SY_EESZ_S10_S11_S12_S16_S17_S18_S1B_S1C_jS1D_jS1E_S1E_jjS1G_bEUljE0_EEESZ_S10_S11_S18_S1C_S1E_T6_T7_T9_mT8_S1G_bDpT10_ENKUlT_T0_E_clISt17integral_constantIbLb1EES1U_EEDaS1P_S1Q_EUlS1P_E_NS1_11comp_targetILNS1_3genE8ELNS1_11target_archE1030ELNS1_3gpuE2ELNS1_3repE0EEENS1_30default_config_static_selectorELNS0_4arch9wavefront6targetE0EEEvS12_: ; @_ZN7rocprim17ROCPRIM_400000_NS6detail17trampoline_kernelINS0_13select_configILj256ELj13ELNS0_17block_load_methodE3ELS4_3ELS4_3ELNS0_20block_scan_algorithmE0ELj4294967295EEENS1_25partition_config_selectorILNS1_17partition_subalgoE4EjNS0_10empty_typeEbEEZZNS1_14partition_implILS8_4ELb0ES6_15HIP_vector_typeIjLj2EENS0_17counting_iteratorIjlEEPS9_SG_NS0_5tupleIJPjSI_NS0_16reverse_iteratorISI_EEEEENSH_IJSG_SG_SG_EEES9_SI_JZNS1_25segmented_radix_sort_implINS0_14default_configELb1EPKiPiPKlPlN2at6native12_GLOBAL__N_18offset_tEEE10hipError_tPvRmT1_PNSt15iterator_traitsIS12_E10value_typeET2_T3_PNS13_IS18_E10value_typeET4_jRbjT5_S1E_jjP12ihipStream_tbEUljE_ZNSN_ISO_Lb1ESQ_SR_ST_SU_SY_EESZ_S10_S11_S12_S16_S17_S18_S1B_S1C_jS1D_jS1E_S1E_jjS1G_bEUljE0_EEESZ_S10_S11_S18_S1C_S1E_T6_T7_T9_mT8_S1G_bDpT10_ENKUlT_T0_E_clISt17integral_constantIbLb1EES1U_EEDaS1P_S1Q_EUlS1P_E_NS1_11comp_targetILNS1_3genE8ELNS1_11target_archE1030ELNS1_3gpuE2ELNS1_3repE0EEENS1_30default_config_static_selectorELNS0_4arch9wavefront6targetE0EEEvS12_
; %bb.0:
	.section	.rodata,"a",@progbits
	.p2align	6, 0x0
	.amdhsa_kernel _ZN7rocprim17ROCPRIM_400000_NS6detail17trampoline_kernelINS0_13select_configILj256ELj13ELNS0_17block_load_methodE3ELS4_3ELS4_3ELNS0_20block_scan_algorithmE0ELj4294967295EEENS1_25partition_config_selectorILNS1_17partition_subalgoE4EjNS0_10empty_typeEbEEZZNS1_14partition_implILS8_4ELb0ES6_15HIP_vector_typeIjLj2EENS0_17counting_iteratorIjlEEPS9_SG_NS0_5tupleIJPjSI_NS0_16reverse_iteratorISI_EEEEENSH_IJSG_SG_SG_EEES9_SI_JZNS1_25segmented_radix_sort_implINS0_14default_configELb1EPKiPiPKlPlN2at6native12_GLOBAL__N_18offset_tEEE10hipError_tPvRmT1_PNSt15iterator_traitsIS12_E10value_typeET2_T3_PNS13_IS18_E10value_typeET4_jRbjT5_S1E_jjP12ihipStream_tbEUljE_ZNSN_ISO_Lb1ESQ_SR_ST_SU_SY_EESZ_S10_S11_S12_S16_S17_S18_S1B_S1C_jS1D_jS1E_S1E_jjS1G_bEUljE0_EEESZ_S10_S11_S18_S1C_S1E_T6_T7_T9_mT8_S1G_bDpT10_ENKUlT_T0_E_clISt17integral_constantIbLb1EES1U_EEDaS1P_S1Q_EUlS1P_E_NS1_11comp_targetILNS1_3genE8ELNS1_11target_archE1030ELNS1_3gpuE2ELNS1_3repE0EEENS1_30default_config_static_selectorELNS0_4arch9wavefront6targetE0EEEvS12_
		.amdhsa_group_segment_fixed_size 0
		.amdhsa_private_segment_fixed_size 0
		.amdhsa_kernarg_size 184
		.amdhsa_user_sgpr_count 15
		.amdhsa_user_sgpr_dispatch_ptr 0
		.amdhsa_user_sgpr_queue_ptr 0
		.amdhsa_user_sgpr_kernarg_segment_ptr 1
		.amdhsa_user_sgpr_dispatch_id 0
		.amdhsa_user_sgpr_private_segment_size 0
		.amdhsa_wavefront_size32 1
		.amdhsa_uses_dynamic_stack 0
		.amdhsa_enable_private_segment 0
		.amdhsa_system_sgpr_workgroup_id_x 1
		.amdhsa_system_sgpr_workgroup_id_y 0
		.amdhsa_system_sgpr_workgroup_id_z 0
		.amdhsa_system_sgpr_workgroup_info 0
		.amdhsa_system_vgpr_workitem_id 0
		.amdhsa_next_free_vgpr 1
		.amdhsa_next_free_sgpr 1
		.amdhsa_reserve_vcc 0
		.amdhsa_float_round_mode_32 0
		.amdhsa_float_round_mode_16_64 0
		.amdhsa_float_denorm_mode_32 3
		.amdhsa_float_denorm_mode_16_64 3
		.amdhsa_dx10_clamp 1
		.amdhsa_ieee_mode 1
		.amdhsa_fp16_overflow 0
		.amdhsa_workgroup_processor_mode 1
		.amdhsa_memory_ordered 1
		.amdhsa_forward_progress 0
		.amdhsa_shared_vgpr_count 0
		.amdhsa_exception_fp_ieee_invalid_op 0
		.amdhsa_exception_fp_denorm_src 0
		.amdhsa_exception_fp_ieee_div_zero 0
		.amdhsa_exception_fp_ieee_overflow 0
		.amdhsa_exception_fp_ieee_underflow 0
		.amdhsa_exception_fp_ieee_inexact 0
		.amdhsa_exception_int_div_zero 0
	.end_amdhsa_kernel
	.section	.text._ZN7rocprim17ROCPRIM_400000_NS6detail17trampoline_kernelINS0_13select_configILj256ELj13ELNS0_17block_load_methodE3ELS4_3ELS4_3ELNS0_20block_scan_algorithmE0ELj4294967295EEENS1_25partition_config_selectorILNS1_17partition_subalgoE4EjNS0_10empty_typeEbEEZZNS1_14partition_implILS8_4ELb0ES6_15HIP_vector_typeIjLj2EENS0_17counting_iteratorIjlEEPS9_SG_NS0_5tupleIJPjSI_NS0_16reverse_iteratorISI_EEEEENSH_IJSG_SG_SG_EEES9_SI_JZNS1_25segmented_radix_sort_implINS0_14default_configELb1EPKiPiPKlPlN2at6native12_GLOBAL__N_18offset_tEEE10hipError_tPvRmT1_PNSt15iterator_traitsIS12_E10value_typeET2_T3_PNS13_IS18_E10value_typeET4_jRbjT5_S1E_jjP12ihipStream_tbEUljE_ZNSN_ISO_Lb1ESQ_SR_ST_SU_SY_EESZ_S10_S11_S12_S16_S17_S18_S1B_S1C_jS1D_jS1E_S1E_jjS1G_bEUljE0_EEESZ_S10_S11_S18_S1C_S1E_T6_T7_T9_mT8_S1G_bDpT10_ENKUlT_T0_E_clISt17integral_constantIbLb1EES1U_EEDaS1P_S1Q_EUlS1P_E_NS1_11comp_targetILNS1_3genE8ELNS1_11target_archE1030ELNS1_3gpuE2ELNS1_3repE0EEENS1_30default_config_static_selectorELNS0_4arch9wavefront6targetE0EEEvS12_,"axG",@progbits,_ZN7rocprim17ROCPRIM_400000_NS6detail17trampoline_kernelINS0_13select_configILj256ELj13ELNS0_17block_load_methodE3ELS4_3ELS4_3ELNS0_20block_scan_algorithmE0ELj4294967295EEENS1_25partition_config_selectorILNS1_17partition_subalgoE4EjNS0_10empty_typeEbEEZZNS1_14partition_implILS8_4ELb0ES6_15HIP_vector_typeIjLj2EENS0_17counting_iteratorIjlEEPS9_SG_NS0_5tupleIJPjSI_NS0_16reverse_iteratorISI_EEEEENSH_IJSG_SG_SG_EEES9_SI_JZNS1_25segmented_radix_sort_implINS0_14default_configELb1EPKiPiPKlPlN2at6native12_GLOBAL__N_18offset_tEEE10hipError_tPvRmT1_PNSt15iterator_traitsIS12_E10value_typeET2_T3_PNS13_IS18_E10value_typeET4_jRbjT5_S1E_jjP12ihipStream_tbEUljE_ZNSN_ISO_Lb1ESQ_SR_ST_SU_SY_EESZ_S10_S11_S12_S16_S17_S18_S1B_S1C_jS1D_jS1E_S1E_jjS1G_bEUljE0_EEESZ_S10_S11_S18_S1C_S1E_T6_T7_T9_mT8_S1G_bDpT10_ENKUlT_T0_E_clISt17integral_constantIbLb1EES1U_EEDaS1P_S1Q_EUlS1P_E_NS1_11comp_targetILNS1_3genE8ELNS1_11target_archE1030ELNS1_3gpuE2ELNS1_3repE0EEENS1_30default_config_static_selectorELNS0_4arch9wavefront6targetE0EEEvS12_,comdat
.Lfunc_end448:
	.size	_ZN7rocprim17ROCPRIM_400000_NS6detail17trampoline_kernelINS0_13select_configILj256ELj13ELNS0_17block_load_methodE3ELS4_3ELS4_3ELNS0_20block_scan_algorithmE0ELj4294967295EEENS1_25partition_config_selectorILNS1_17partition_subalgoE4EjNS0_10empty_typeEbEEZZNS1_14partition_implILS8_4ELb0ES6_15HIP_vector_typeIjLj2EENS0_17counting_iteratorIjlEEPS9_SG_NS0_5tupleIJPjSI_NS0_16reverse_iteratorISI_EEEEENSH_IJSG_SG_SG_EEES9_SI_JZNS1_25segmented_radix_sort_implINS0_14default_configELb1EPKiPiPKlPlN2at6native12_GLOBAL__N_18offset_tEEE10hipError_tPvRmT1_PNSt15iterator_traitsIS12_E10value_typeET2_T3_PNS13_IS18_E10value_typeET4_jRbjT5_S1E_jjP12ihipStream_tbEUljE_ZNSN_ISO_Lb1ESQ_SR_ST_SU_SY_EESZ_S10_S11_S12_S16_S17_S18_S1B_S1C_jS1D_jS1E_S1E_jjS1G_bEUljE0_EEESZ_S10_S11_S18_S1C_S1E_T6_T7_T9_mT8_S1G_bDpT10_ENKUlT_T0_E_clISt17integral_constantIbLb1EES1U_EEDaS1P_S1Q_EUlS1P_E_NS1_11comp_targetILNS1_3genE8ELNS1_11target_archE1030ELNS1_3gpuE2ELNS1_3repE0EEENS1_30default_config_static_selectorELNS0_4arch9wavefront6targetE0EEEvS12_, .Lfunc_end448-_ZN7rocprim17ROCPRIM_400000_NS6detail17trampoline_kernelINS0_13select_configILj256ELj13ELNS0_17block_load_methodE3ELS4_3ELS4_3ELNS0_20block_scan_algorithmE0ELj4294967295EEENS1_25partition_config_selectorILNS1_17partition_subalgoE4EjNS0_10empty_typeEbEEZZNS1_14partition_implILS8_4ELb0ES6_15HIP_vector_typeIjLj2EENS0_17counting_iteratorIjlEEPS9_SG_NS0_5tupleIJPjSI_NS0_16reverse_iteratorISI_EEEEENSH_IJSG_SG_SG_EEES9_SI_JZNS1_25segmented_radix_sort_implINS0_14default_configELb1EPKiPiPKlPlN2at6native12_GLOBAL__N_18offset_tEEE10hipError_tPvRmT1_PNSt15iterator_traitsIS12_E10value_typeET2_T3_PNS13_IS18_E10value_typeET4_jRbjT5_S1E_jjP12ihipStream_tbEUljE_ZNSN_ISO_Lb1ESQ_SR_ST_SU_SY_EESZ_S10_S11_S12_S16_S17_S18_S1B_S1C_jS1D_jS1E_S1E_jjS1G_bEUljE0_EEESZ_S10_S11_S18_S1C_S1E_T6_T7_T9_mT8_S1G_bDpT10_ENKUlT_T0_E_clISt17integral_constantIbLb1EES1U_EEDaS1P_S1Q_EUlS1P_E_NS1_11comp_targetILNS1_3genE8ELNS1_11target_archE1030ELNS1_3gpuE2ELNS1_3repE0EEENS1_30default_config_static_selectorELNS0_4arch9wavefront6targetE0EEEvS12_
                                        ; -- End function
	.section	.AMDGPU.csdata,"",@progbits
; Kernel info:
; codeLenInByte = 0
; NumSgprs: 0
; NumVgprs: 0
; ScratchSize: 0
; MemoryBound: 0
; FloatMode: 240
; IeeeMode: 1
; LDSByteSize: 0 bytes/workgroup (compile time only)
; SGPRBlocks: 0
; VGPRBlocks: 0
; NumSGPRsForWavesPerEU: 1
; NumVGPRsForWavesPerEU: 1
; Occupancy: 16
; WaveLimiterHint : 0
; COMPUTE_PGM_RSRC2:SCRATCH_EN: 0
; COMPUTE_PGM_RSRC2:USER_SGPR: 15
; COMPUTE_PGM_RSRC2:TRAP_HANDLER: 0
; COMPUTE_PGM_RSRC2:TGID_X_EN: 1
; COMPUTE_PGM_RSRC2:TGID_Y_EN: 0
; COMPUTE_PGM_RSRC2:TGID_Z_EN: 0
; COMPUTE_PGM_RSRC2:TIDIG_COMP_CNT: 0
	.section	.text._ZN7rocprim17ROCPRIM_400000_NS6detail17trampoline_kernelINS0_13select_configILj256ELj13ELNS0_17block_load_methodE3ELS4_3ELS4_3ELNS0_20block_scan_algorithmE0ELj4294967295EEENS1_25partition_config_selectorILNS1_17partition_subalgoE4EjNS0_10empty_typeEbEEZZNS1_14partition_implILS8_4ELb0ES6_15HIP_vector_typeIjLj2EENS0_17counting_iteratorIjlEEPS9_SG_NS0_5tupleIJPjSI_NS0_16reverse_iteratorISI_EEEEENSH_IJSG_SG_SG_EEES9_SI_JZNS1_25segmented_radix_sort_implINS0_14default_configELb1EPKiPiPKlPlN2at6native12_GLOBAL__N_18offset_tEEE10hipError_tPvRmT1_PNSt15iterator_traitsIS12_E10value_typeET2_T3_PNS13_IS18_E10value_typeET4_jRbjT5_S1E_jjP12ihipStream_tbEUljE_ZNSN_ISO_Lb1ESQ_SR_ST_SU_SY_EESZ_S10_S11_S12_S16_S17_S18_S1B_S1C_jS1D_jS1E_S1E_jjS1G_bEUljE0_EEESZ_S10_S11_S18_S1C_S1E_T6_T7_T9_mT8_S1G_bDpT10_ENKUlT_T0_E_clISt17integral_constantIbLb1EES1T_IbLb0EEEEDaS1P_S1Q_EUlS1P_E_NS1_11comp_targetILNS1_3genE0ELNS1_11target_archE4294967295ELNS1_3gpuE0ELNS1_3repE0EEENS1_30default_config_static_selectorELNS0_4arch9wavefront6targetE0EEEvS12_,"axG",@progbits,_ZN7rocprim17ROCPRIM_400000_NS6detail17trampoline_kernelINS0_13select_configILj256ELj13ELNS0_17block_load_methodE3ELS4_3ELS4_3ELNS0_20block_scan_algorithmE0ELj4294967295EEENS1_25partition_config_selectorILNS1_17partition_subalgoE4EjNS0_10empty_typeEbEEZZNS1_14partition_implILS8_4ELb0ES6_15HIP_vector_typeIjLj2EENS0_17counting_iteratorIjlEEPS9_SG_NS0_5tupleIJPjSI_NS0_16reverse_iteratorISI_EEEEENSH_IJSG_SG_SG_EEES9_SI_JZNS1_25segmented_radix_sort_implINS0_14default_configELb1EPKiPiPKlPlN2at6native12_GLOBAL__N_18offset_tEEE10hipError_tPvRmT1_PNSt15iterator_traitsIS12_E10value_typeET2_T3_PNS13_IS18_E10value_typeET4_jRbjT5_S1E_jjP12ihipStream_tbEUljE_ZNSN_ISO_Lb1ESQ_SR_ST_SU_SY_EESZ_S10_S11_S12_S16_S17_S18_S1B_S1C_jS1D_jS1E_S1E_jjS1G_bEUljE0_EEESZ_S10_S11_S18_S1C_S1E_T6_T7_T9_mT8_S1G_bDpT10_ENKUlT_T0_E_clISt17integral_constantIbLb1EES1T_IbLb0EEEEDaS1P_S1Q_EUlS1P_E_NS1_11comp_targetILNS1_3genE0ELNS1_11target_archE4294967295ELNS1_3gpuE0ELNS1_3repE0EEENS1_30default_config_static_selectorELNS0_4arch9wavefront6targetE0EEEvS12_,comdat
	.globl	_ZN7rocprim17ROCPRIM_400000_NS6detail17trampoline_kernelINS0_13select_configILj256ELj13ELNS0_17block_load_methodE3ELS4_3ELS4_3ELNS0_20block_scan_algorithmE0ELj4294967295EEENS1_25partition_config_selectorILNS1_17partition_subalgoE4EjNS0_10empty_typeEbEEZZNS1_14partition_implILS8_4ELb0ES6_15HIP_vector_typeIjLj2EENS0_17counting_iteratorIjlEEPS9_SG_NS0_5tupleIJPjSI_NS0_16reverse_iteratorISI_EEEEENSH_IJSG_SG_SG_EEES9_SI_JZNS1_25segmented_radix_sort_implINS0_14default_configELb1EPKiPiPKlPlN2at6native12_GLOBAL__N_18offset_tEEE10hipError_tPvRmT1_PNSt15iterator_traitsIS12_E10value_typeET2_T3_PNS13_IS18_E10value_typeET4_jRbjT5_S1E_jjP12ihipStream_tbEUljE_ZNSN_ISO_Lb1ESQ_SR_ST_SU_SY_EESZ_S10_S11_S12_S16_S17_S18_S1B_S1C_jS1D_jS1E_S1E_jjS1G_bEUljE0_EEESZ_S10_S11_S18_S1C_S1E_T6_T7_T9_mT8_S1G_bDpT10_ENKUlT_T0_E_clISt17integral_constantIbLb1EES1T_IbLb0EEEEDaS1P_S1Q_EUlS1P_E_NS1_11comp_targetILNS1_3genE0ELNS1_11target_archE4294967295ELNS1_3gpuE0ELNS1_3repE0EEENS1_30default_config_static_selectorELNS0_4arch9wavefront6targetE0EEEvS12_ ; -- Begin function _ZN7rocprim17ROCPRIM_400000_NS6detail17trampoline_kernelINS0_13select_configILj256ELj13ELNS0_17block_load_methodE3ELS4_3ELS4_3ELNS0_20block_scan_algorithmE0ELj4294967295EEENS1_25partition_config_selectorILNS1_17partition_subalgoE4EjNS0_10empty_typeEbEEZZNS1_14partition_implILS8_4ELb0ES6_15HIP_vector_typeIjLj2EENS0_17counting_iteratorIjlEEPS9_SG_NS0_5tupleIJPjSI_NS0_16reverse_iteratorISI_EEEEENSH_IJSG_SG_SG_EEES9_SI_JZNS1_25segmented_radix_sort_implINS0_14default_configELb1EPKiPiPKlPlN2at6native12_GLOBAL__N_18offset_tEEE10hipError_tPvRmT1_PNSt15iterator_traitsIS12_E10value_typeET2_T3_PNS13_IS18_E10value_typeET4_jRbjT5_S1E_jjP12ihipStream_tbEUljE_ZNSN_ISO_Lb1ESQ_SR_ST_SU_SY_EESZ_S10_S11_S12_S16_S17_S18_S1B_S1C_jS1D_jS1E_S1E_jjS1G_bEUljE0_EEESZ_S10_S11_S18_S1C_S1E_T6_T7_T9_mT8_S1G_bDpT10_ENKUlT_T0_E_clISt17integral_constantIbLb1EES1T_IbLb0EEEEDaS1P_S1Q_EUlS1P_E_NS1_11comp_targetILNS1_3genE0ELNS1_11target_archE4294967295ELNS1_3gpuE0ELNS1_3repE0EEENS1_30default_config_static_selectorELNS0_4arch9wavefront6targetE0EEEvS12_
	.p2align	8
	.type	_ZN7rocprim17ROCPRIM_400000_NS6detail17trampoline_kernelINS0_13select_configILj256ELj13ELNS0_17block_load_methodE3ELS4_3ELS4_3ELNS0_20block_scan_algorithmE0ELj4294967295EEENS1_25partition_config_selectorILNS1_17partition_subalgoE4EjNS0_10empty_typeEbEEZZNS1_14partition_implILS8_4ELb0ES6_15HIP_vector_typeIjLj2EENS0_17counting_iteratorIjlEEPS9_SG_NS0_5tupleIJPjSI_NS0_16reverse_iteratorISI_EEEEENSH_IJSG_SG_SG_EEES9_SI_JZNS1_25segmented_radix_sort_implINS0_14default_configELb1EPKiPiPKlPlN2at6native12_GLOBAL__N_18offset_tEEE10hipError_tPvRmT1_PNSt15iterator_traitsIS12_E10value_typeET2_T3_PNS13_IS18_E10value_typeET4_jRbjT5_S1E_jjP12ihipStream_tbEUljE_ZNSN_ISO_Lb1ESQ_SR_ST_SU_SY_EESZ_S10_S11_S12_S16_S17_S18_S1B_S1C_jS1D_jS1E_S1E_jjS1G_bEUljE0_EEESZ_S10_S11_S18_S1C_S1E_T6_T7_T9_mT8_S1G_bDpT10_ENKUlT_T0_E_clISt17integral_constantIbLb1EES1T_IbLb0EEEEDaS1P_S1Q_EUlS1P_E_NS1_11comp_targetILNS1_3genE0ELNS1_11target_archE4294967295ELNS1_3gpuE0ELNS1_3repE0EEENS1_30default_config_static_selectorELNS0_4arch9wavefront6targetE0EEEvS12_,@function
_ZN7rocprim17ROCPRIM_400000_NS6detail17trampoline_kernelINS0_13select_configILj256ELj13ELNS0_17block_load_methodE3ELS4_3ELS4_3ELNS0_20block_scan_algorithmE0ELj4294967295EEENS1_25partition_config_selectorILNS1_17partition_subalgoE4EjNS0_10empty_typeEbEEZZNS1_14partition_implILS8_4ELb0ES6_15HIP_vector_typeIjLj2EENS0_17counting_iteratorIjlEEPS9_SG_NS0_5tupleIJPjSI_NS0_16reverse_iteratorISI_EEEEENSH_IJSG_SG_SG_EEES9_SI_JZNS1_25segmented_radix_sort_implINS0_14default_configELb1EPKiPiPKlPlN2at6native12_GLOBAL__N_18offset_tEEE10hipError_tPvRmT1_PNSt15iterator_traitsIS12_E10value_typeET2_T3_PNS13_IS18_E10value_typeET4_jRbjT5_S1E_jjP12ihipStream_tbEUljE_ZNSN_ISO_Lb1ESQ_SR_ST_SU_SY_EESZ_S10_S11_S12_S16_S17_S18_S1B_S1C_jS1D_jS1E_S1E_jjS1G_bEUljE0_EEESZ_S10_S11_S18_S1C_S1E_T6_T7_T9_mT8_S1G_bDpT10_ENKUlT_T0_E_clISt17integral_constantIbLb1EES1T_IbLb0EEEEDaS1P_S1Q_EUlS1P_E_NS1_11comp_targetILNS1_3genE0ELNS1_11target_archE4294967295ELNS1_3gpuE0ELNS1_3repE0EEENS1_30default_config_static_selectorELNS0_4arch9wavefront6targetE0EEEvS12_: ; @_ZN7rocprim17ROCPRIM_400000_NS6detail17trampoline_kernelINS0_13select_configILj256ELj13ELNS0_17block_load_methodE3ELS4_3ELS4_3ELNS0_20block_scan_algorithmE0ELj4294967295EEENS1_25partition_config_selectorILNS1_17partition_subalgoE4EjNS0_10empty_typeEbEEZZNS1_14partition_implILS8_4ELb0ES6_15HIP_vector_typeIjLj2EENS0_17counting_iteratorIjlEEPS9_SG_NS0_5tupleIJPjSI_NS0_16reverse_iteratorISI_EEEEENSH_IJSG_SG_SG_EEES9_SI_JZNS1_25segmented_radix_sort_implINS0_14default_configELb1EPKiPiPKlPlN2at6native12_GLOBAL__N_18offset_tEEE10hipError_tPvRmT1_PNSt15iterator_traitsIS12_E10value_typeET2_T3_PNS13_IS18_E10value_typeET4_jRbjT5_S1E_jjP12ihipStream_tbEUljE_ZNSN_ISO_Lb1ESQ_SR_ST_SU_SY_EESZ_S10_S11_S12_S16_S17_S18_S1B_S1C_jS1D_jS1E_S1E_jjS1G_bEUljE0_EEESZ_S10_S11_S18_S1C_S1E_T6_T7_T9_mT8_S1G_bDpT10_ENKUlT_T0_E_clISt17integral_constantIbLb1EES1T_IbLb0EEEEDaS1P_S1Q_EUlS1P_E_NS1_11comp_targetILNS1_3genE0ELNS1_11target_archE4294967295ELNS1_3gpuE0ELNS1_3repE0EEENS1_30default_config_static_selectorELNS0_4arch9wavefront6targetE0EEEvS12_
; %bb.0:
	.section	.rodata,"a",@progbits
	.p2align	6, 0x0
	.amdhsa_kernel _ZN7rocprim17ROCPRIM_400000_NS6detail17trampoline_kernelINS0_13select_configILj256ELj13ELNS0_17block_load_methodE3ELS4_3ELS4_3ELNS0_20block_scan_algorithmE0ELj4294967295EEENS1_25partition_config_selectorILNS1_17partition_subalgoE4EjNS0_10empty_typeEbEEZZNS1_14partition_implILS8_4ELb0ES6_15HIP_vector_typeIjLj2EENS0_17counting_iteratorIjlEEPS9_SG_NS0_5tupleIJPjSI_NS0_16reverse_iteratorISI_EEEEENSH_IJSG_SG_SG_EEES9_SI_JZNS1_25segmented_radix_sort_implINS0_14default_configELb1EPKiPiPKlPlN2at6native12_GLOBAL__N_18offset_tEEE10hipError_tPvRmT1_PNSt15iterator_traitsIS12_E10value_typeET2_T3_PNS13_IS18_E10value_typeET4_jRbjT5_S1E_jjP12ihipStream_tbEUljE_ZNSN_ISO_Lb1ESQ_SR_ST_SU_SY_EESZ_S10_S11_S12_S16_S17_S18_S1B_S1C_jS1D_jS1E_S1E_jjS1G_bEUljE0_EEESZ_S10_S11_S18_S1C_S1E_T6_T7_T9_mT8_S1G_bDpT10_ENKUlT_T0_E_clISt17integral_constantIbLb1EES1T_IbLb0EEEEDaS1P_S1Q_EUlS1P_E_NS1_11comp_targetILNS1_3genE0ELNS1_11target_archE4294967295ELNS1_3gpuE0ELNS1_3repE0EEENS1_30default_config_static_selectorELNS0_4arch9wavefront6targetE0EEEvS12_
		.amdhsa_group_segment_fixed_size 0
		.amdhsa_private_segment_fixed_size 0
		.amdhsa_kernarg_size 176
		.amdhsa_user_sgpr_count 15
		.amdhsa_user_sgpr_dispatch_ptr 0
		.amdhsa_user_sgpr_queue_ptr 0
		.amdhsa_user_sgpr_kernarg_segment_ptr 1
		.amdhsa_user_sgpr_dispatch_id 0
		.amdhsa_user_sgpr_private_segment_size 0
		.amdhsa_wavefront_size32 1
		.amdhsa_uses_dynamic_stack 0
		.amdhsa_enable_private_segment 0
		.amdhsa_system_sgpr_workgroup_id_x 1
		.amdhsa_system_sgpr_workgroup_id_y 0
		.amdhsa_system_sgpr_workgroup_id_z 0
		.amdhsa_system_sgpr_workgroup_info 0
		.amdhsa_system_vgpr_workitem_id 0
		.amdhsa_next_free_vgpr 1
		.amdhsa_next_free_sgpr 1
		.amdhsa_reserve_vcc 0
		.amdhsa_float_round_mode_32 0
		.amdhsa_float_round_mode_16_64 0
		.amdhsa_float_denorm_mode_32 3
		.amdhsa_float_denorm_mode_16_64 3
		.amdhsa_dx10_clamp 1
		.amdhsa_ieee_mode 1
		.amdhsa_fp16_overflow 0
		.amdhsa_workgroup_processor_mode 1
		.amdhsa_memory_ordered 1
		.amdhsa_forward_progress 0
		.amdhsa_shared_vgpr_count 0
		.amdhsa_exception_fp_ieee_invalid_op 0
		.amdhsa_exception_fp_denorm_src 0
		.amdhsa_exception_fp_ieee_div_zero 0
		.amdhsa_exception_fp_ieee_overflow 0
		.amdhsa_exception_fp_ieee_underflow 0
		.amdhsa_exception_fp_ieee_inexact 0
		.amdhsa_exception_int_div_zero 0
	.end_amdhsa_kernel
	.section	.text._ZN7rocprim17ROCPRIM_400000_NS6detail17trampoline_kernelINS0_13select_configILj256ELj13ELNS0_17block_load_methodE3ELS4_3ELS4_3ELNS0_20block_scan_algorithmE0ELj4294967295EEENS1_25partition_config_selectorILNS1_17partition_subalgoE4EjNS0_10empty_typeEbEEZZNS1_14partition_implILS8_4ELb0ES6_15HIP_vector_typeIjLj2EENS0_17counting_iteratorIjlEEPS9_SG_NS0_5tupleIJPjSI_NS0_16reverse_iteratorISI_EEEEENSH_IJSG_SG_SG_EEES9_SI_JZNS1_25segmented_radix_sort_implINS0_14default_configELb1EPKiPiPKlPlN2at6native12_GLOBAL__N_18offset_tEEE10hipError_tPvRmT1_PNSt15iterator_traitsIS12_E10value_typeET2_T3_PNS13_IS18_E10value_typeET4_jRbjT5_S1E_jjP12ihipStream_tbEUljE_ZNSN_ISO_Lb1ESQ_SR_ST_SU_SY_EESZ_S10_S11_S12_S16_S17_S18_S1B_S1C_jS1D_jS1E_S1E_jjS1G_bEUljE0_EEESZ_S10_S11_S18_S1C_S1E_T6_T7_T9_mT8_S1G_bDpT10_ENKUlT_T0_E_clISt17integral_constantIbLb1EES1T_IbLb0EEEEDaS1P_S1Q_EUlS1P_E_NS1_11comp_targetILNS1_3genE0ELNS1_11target_archE4294967295ELNS1_3gpuE0ELNS1_3repE0EEENS1_30default_config_static_selectorELNS0_4arch9wavefront6targetE0EEEvS12_,"axG",@progbits,_ZN7rocprim17ROCPRIM_400000_NS6detail17trampoline_kernelINS0_13select_configILj256ELj13ELNS0_17block_load_methodE3ELS4_3ELS4_3ELNS0_20block_scan_algorithmE0ELj4294967295EEENS1_25partition_config_selectorILNS1_17partition_subalgoE4EjNS0_10empty_typeEbEEZZNS1_14partition_implILS8_4ELb0ES6_15HIP_vector_typeIjLj2EENS0_17counting_iteratorIjlEEPS9_SG_NS0_5tupleIJPjSI_NS0_16reverse_iteratorISI_EEEEENSH_IJSG_SG_SG_EEES9_SI_JZNS1_25segmented_radix_sort_implINS0_14default_configELb1EPKiPiPKlPlN2at6native12_GLOBAL__N_18offset_tEEE10hipError_tPvRmT1_PNSt15iterator_traitsIS12_E10value_typeET2_T3_PNS13_IS18_E10value_typeET4_jRbjT5_S1E_jjP12ihipStream_tbEUljE_ZNSN_ISO_Lb1ESQ_SR_ST_SU_SY_EESZ_S10_S11_S12_S16_S17_S18_S1B_S1C_jS1D_jS1E_S1E_jjS1G_bEUljE0_EEESZ_S10_S11_S18_S1C_S1E_T6_T7_T9_mT8_S1G_bDpT10_ENKUlT_T0_E_clISt17integral_constantIbLb1EES1T_IbLb0EEEEDaS1P_S1Q_EUlS1P_E_NS1_11comp_targetILNS1_3genE0ELNS1_11target_archE4294967295ELNS1_3gpuE0ELNS1_3repE0EEENS1_30default_config_static_selectorELNS0_4arch9wavefront6targetE0EEEvS12_,comdat
.Lfunc_end449:
	.size	_ZN7rocprim17ROCPRIM_400000_NS6detail17trampoline_kernelINS0_13select_configILj256ELj13ELNS0_17block_load_methodE3ELS4_3ELS4_3ELNS0_20block_scan_algorithmE0ELj4294967295EEENS1_25partition_config_selectorILNS1_17partition_subalgoE4EjNS0_10empty_typeEbEEZZNS1_14partition_implILS8_4ELb0ES6_15HIP_vector_typeIjLj2EENS0_17counting_iteratorIjlEEPS9_SG_NS0_5tupleIJPjSI_NS0_16reverse_iteratorISI_EEEEENSH_IJSG_SG_SG_EEES9_SI_JZNS1_25segmented_radix_sort_implINS0_14default_configELb1EPKiPiPKlPlN2at6native12_GLOBAL__N_18offset_tEEE10hipError_tPvRmT1_PNSt15iterator_traitsIS12_E10value_typeET2_T3_PNS13_IS18_E10value_typeET4_jRbjT5_S1E_jjP12ihipStream_tbEUljE_ZNSN_ISO_Lb1ESQ_SR_ST_SU_SY_EESZ_S10_S11_S12_S16_S17_S18_S1B_S1C_jS1D_jS1E_S1E_jjS1G_bEUljE0_EEESZ_S10_S11_S18_S1C_S1E_T6_T7_T9_mT8_S1G_bDpT10_ENKUlT_T0_E_clISt17integral_constantIbLb1EES1T_IbLb0EEEEDaS1P_S1Q_EUlS1P_E_NS1_11comp_targetILNS1_3genE0ELNS1_11target_archE4294967295ELNS1_3gpuE0ELNS1_3repE0EEENS1_30default_config_static_selectorELNS0_4arch9wavefront6targetE0EEEvS12_, .Lfunc_end449-_ZN7rocprim17ROCPRIM_400000_NS6detail17trampoline_kernelINS0_13select_configILj256ELj13ELNS0_17block_load_methodE3ELS4_3ELS4_3ELNS0_20block_scan_algorithmE0ELj4294967295EEENS1_25partition_config_selectorILNS1_17partition_subalgoE4EjNS0_10empty_typeEbEEZZNS1_14partition_implILS8_4ELb0ES6_15HIP_vector_typeIjLj2EENS0_17counting_iteratorIjlEEPS9_SG_NS0_5tupleIJPjSI_NS0_16reverse_iteratorISI_EEEEENSH_IJSG_SG_SG_EEES9_SI_JZNS1_25segmented_radix_sort_implINS0_14default_configELb1EPKiPiPKlPlN2at6native12_GLOBAL__N_18offset_tEEE10hipError_tPvRmT1_PNSt15iterator_traitsIS12_E10value_typeET2_T3_PNS13_IS18_E10value_typeET4_jRbjT5_S1E_jjP12ihipStream_tbEUljE_ZNSN_ISO_Lb1ESQ_SR_ST_SU_SY_EESZ_S10_S11_S12_S16_S17_S18_S1B_S1C_jS1D_jS1E_S1E_jjS1G_bEUljE0_EEESZ_S10_S11_S18_S1C_S1E_T6_T7_T9_mT8_S1G_bDpT10_ENKUlT_T0_E_clISt17integral_constantIbLb1EES1T_IbLb0EEEEDaS1P_S1Q_EUlS1P_E_NS1_11comp_targetILNS1_3genE0ELNS1_11target_archE4294967295ELNS1_3gpuE0ELNS1_3repE0EEENS1_30default_config_static_selectorELNS0_4arch9wavefront6targetE0EEEvS12_
                                        ; -- End function
	.section	.AMDGPU.csdata,"",@progbits
; Kernel info:
; codeLenInByte = 0
; NumSgprs: 0
; NumVgprs: 0
; ScratchSize: 0
; MemoryBound: 0
; FloatMode: 240
; IeeeMode: 1
; LDSByteSize: 0 bytes/workgroup (compile time only)
; SGPRBlocks: 0
; VGPRBlocks: 0
; NumSGPRsForWavesPerEU: 1
; NumVGPRsForWavesPerEU: 1
; Occupancy: 16
; WaveLimiterHint : 0
; COMPUTE_PGM_RSRC2:SCRATCH_EN: 0
; COMPUTE_PGM_RSRC2:USER_SGPR: 15
; COMPUTE_PGM_RSRC2:TRAP_HANDLER: 0
; COMPUTE_PGM_RSRC2:TGID_X_EN: 1
; COMPUTE_PGM_RSRC2:TGID_Y_EN: 0
; COMPUTE_PGM_RSRC2:TGID_Z_EN: 0
; COMPUTE_PGM_RSRC2:TIDIG_COMP_CNT: 0
	.section	.text._ZN7rocprim17ROCPRIM_400000_NS6detail17trampoline_kernelINS0_13select_configILj256ELj13ELNS0_17block_load_methodE3ELS4_3ELS4_3ELNS0_20block_scan_algorithmE0ELj4294967295EEENS1_25partition_config_selectorILNS1_17partition_subalgoE4EjNS0_10empty_typeEbEEZZNS1_14partition_implILS8_4ELb0ES6_15HIP_vector_typeIjLj2EENS0_17counting_iteratorIjlEEPS9_SG_NS0_5tupleIJPjSI_NS0_16reverse_iteratorISI_EEEEENSH_IJSG_SG_SG_EEES9_SI_JZNS1_25segmented_radix_sort_implINS0_14default_configELb1EPKiPiPKlPlN2at6native12_GLOBAL__N_18offset_tEEE10hipError_tPvRmT1_PNSt15iterator_traitsIS12_E10value_typeET2_T3_PNS13_IS18_E10value_typeET4_jRbjT5_S1E_jjP12ihipStream_tbEUljE_ZNSN_ISO_Lb1ESQ_SR_ST_SU_SY_EESZ_S10_S11_S12_S16_S17_S18_S1B_S1C_jS1D_jS1E_S1E_jjS1G_bEUljE0_EEESZ_S10_S11_S18_S1C_S1E_T6_T7_T9_mT8_S1G_bDpT10_ENKUlT_T0_E_clISt17integral_constantIbLb1EES1T_IbLb0EEEEDaS1P_S1Q_EUlS1P_E_NS1_11comp_targetILNS1_3genE5ELNS1_11target_archE942ELNS1_3gpuE9ELNS1_3repE0EEENS1_30default_config_static_selectorELNS0_4arch9wavefront6targetE0EEEvS12_,"axG",@progbits,_ZN7rocprim17ROCPRIM_400000_NS6detail17trampoline_kernelINS0_13select_configILj256ELj13ELNS0_17block_load_methodE3ELS4_3ELS4_3ELNS0_20block_scan_algorithmE0ELj4294967295EEENS1_25partition_config_selectorILNS1_17partition_subalgoE4EjNS0_10empty_typeEbEEZZNS1_14partition_implILS8_4ELb0ES6_15HIP_vector_typeIjLj2EENS0_17counting_iteratorIjlEEPS9_SG_NS0_5tupleIJPjSI_NS0_16reverse_iteratorISI_EEEEENSH_IJSG_SG_SG_EEES9_SI_JZNS1_25segmented_radix_sort_implINS0_14default_configELb1EPKiPiPKlPlN2at6native12_GLOBAL__N_18offset_tEEE10hipError_tPvRmT1_PNSt15iterator_traitsIS12_E10value_typeET2_T3_PNS13_IS18_E10value_typeET4_jRbjT5_S1E_jjP12ihipStream_tbEUljE_ZNSN_ISO_Lb1ESQ_SR_ST_SU_SY_EESZ_S10_S11_S12_S16_S17_S18_S1B_S1C_jS1D_jS1E_S1E_jjS1G_bEUljE0_EEESZ_S10_S11_S18_S1C_S1E_T6_T7_T9_mT8_S1G_bDpT10_ENKUlT_T0_E_clISt17integral_constantIbLb1EES1T_IbLb0EEEEDaS1P_S1Q_EUlS1P_E_NS1_11comp_targetILNS1_3genE5ELNS1_11target_archE942ELNS1_3gpuE9ELNS1_3repE0EEENS1_30default_config_static_selectorELNS0_4arch9wavefront6targetE0EEEvS12_,comdat
	.globl	_ZN7rocprim17ROCPRIM_400000_NS6detail17trampoline_kernelINS0_13select_configILj256ELj13ELNS0_17block_load_methodE3ELS4_3ELS4_3ELNS0_20block_scan_algorithmE0ELj4294967295EEENS1_25partition_config_selectorILNS1_17partition_subalgoE4EjNS0_10empty_typeEbEEZZNS1_14partition_implILS8_4ELb0ES6_15HIP_vector_typeIjLj2EENS0_17counting_iteratorIjlEEPS9_SG_NS0_5tupleIJPjSI_NS0_16reverse_iteratorISI_EEEEENSH_IJSG_SG_SG_EEES9_SI_JZNS1_25segmented_radix_sort_implINS0_14default_configELb1EPKiPiPKlPlN2at6native12_GLOBAL__N_18offset_tEEE10hipError_tPvRmT1_PNSt15iterator_traitsIS12_E10value_typeET2_T3_PNS13_IS18_E10value_typeET4_jRbjT5_S1E_jjP12ihipStream_tbEUljE_ZNSN_ISO_Lb1ESQ_SR_ST_SU_SY_EESZ_S10_S11_S12_S16_S17_S18_S1B_S1C_jS1D_jS1E_S1E_jjS1G_bEUljE0_EEESZ_S10_S11_S18_S1C_S1E_T6_T7_T9_mT8_S1G_bDpT10_ENKUlT_T0_E_clISt17integral_constantIbLb1EES1T_IbLb0EEEEDaS1P_S1Q_EUlS1P_E_NS1_11comp_targetILNS1_3genE5ELNS1_11target_archE942ELNS1_3gpuE9ELNS1_3repE0EEENS1_30default_config_static_selectorELNS0_4arch9wavefront6targetE0EEEvS12_ ; -- Begin function _ZN7rocprim17ROCPRIM_400000_NS6detail17trampoline_kernelINS0_13select_configILj256ELj13ELNS0_17block_load_methodE3ELS4_3ELS4_3ELNS0_20block_scan_algorithmE0ELj4294967295EEENS1_25partition_config_selectorILNS1_17partition_subalgoE4EjNS0_10empty_typeEbEEZZNS1_14partition_implILS8_4ELb0ES6_15HIP_vector_typeIjLj2EENS0_17counting_iteratorIjlEEPS9_SG_NS0_5tupleIJPjSI_NS0_16reverse_iteratorISI_EEEEENSH_IJSG_SG_SG_EEES9_SI_JZNS1_25segmented_radix_sort_implINS0_14default_configELb1EPKiPiPKlPlN2at6native12_GLOBAL__N_18offset_tEEE10hipError_tPvRmT1_PNSt15iterator_traitsIS12_E10value_typeET2_T3_PNS13_IS18_E10value_typeET4_jRbjT5_S1E_jjP12ihipStream_tbEUljE_ZNSN_ISO_Lb1ESQ_SR_ST_SU_SY_EESZ_S10_S11_S12_S16_S17_S18_S1B_S1C_jS1D_jS1E_S1E_jjS1G_bEUljE0_EEESZ_S10_S11_S18_S1C_S1E_T6_T7_T9_mT8_S1G_bDpT10_ENKUlT_T0_E_clISt17integral_constantIbLb1EES1T_IbLb0EEEEDaS1P_S1Q_EUlS1P_E_NS1_11comp_targetILNS1_3genE5ELNS1_11target_archE942ELNS1_3gpuE9ELNS1_3repE0EEENS1_30default_config_static_selectorELNS0_4arch9wavefront6targetE0EEEvS12_
	.p2align	8
	.type	_ZN7rocprim17ROCPRIM_400000_NS6detail17trampoline_kernelINS0_13select_configILj256ELj13ELNS0_17block_load_methodE3ELS4_3ELS4_3ELNS0_20block_scan_algorithmE0ELj4294967295EEENS1_25partition_config_selectorILNS1_17partition_subalgoE4EjNS0_10empty_typeEbEEZZNS1_14partition_implILS8_4ELb0ES6_15HIP_vector_typeIjLj2EENS0_17counting_iteratorIjlEEPS9_SG_NS0_5tupleIJPjSI_NS0_16reverse_iteratorISI_EEEEENSH_IJSG_SG_SG_EEES9_SI_JZNS1_25segmented_radix_sort_implINS0_14default_configELb1EPKiPiPKlPlN2at6native12_GLOBAL__N_18offset_tEEE10hipError_tPvRmT1_PNSt15iterator_traitsIS12_E10value_typeET2_T3_PNS13_IS18_E10value_typeET4_jRbjT5_S1E_jjP12ihipStream_tbEUljE_ZNSN_ISO_Lb1ESQ_SR_ST_SU_SY_EESZ_S10_S11_S12_S16_S17_S18_S1B_S1C_jS1D_jS1E_S1E_jjS1G_bEUljE0_EEESZ_S10_S11_S18_S1C_S1E_T6_T7_T9_mT8_S1G_bDpT10_ENKUlT_T0_E_clISt17integral_constantIbLb1EES1T_IbLb0EEEEDaS1P_S1Q_EUlS1P_E_NS1_11comp_targetILNS1_3genE5ELNS1_11target_archE942ELNS1_3gpuE9ELNS1_3repE0EEENS1_30default_config_static_selectorELNS0_4arch9wavefront6targetE0EEEvS12_,@function
_ZN7rocprim17ROCPRIM_400000_NS6detail17trampoline_kernelINS0_13select_configILj256ELj13ELNS0_17block_load_methodE3ELS4_3ELS4_3ELNS0_20block_scan_algorithmE0ELj4294967295EEENS1_25partition_config_selectorILNS1_17partition_subalgoE4EjNS0_10empty_typeEbEEZZNS1_14partition_implILS8_4ELb0ES6_15HIP_vector_typeIjLj2EENS0_17counting_iteratorIjlEEPS9_SG_NS0_5tupleIJPjSI_NS0_16reverse_iteratorISI_EEEEENSH_IJSG_SG_SG_EEES9_SI_JZNS1_25segmented_radix_sort_implINS0_14default_configELb1EPKiPiPKlPlN2at6native12_GLOBAL__N_18offset_tEEE10hipError_tPvRmT1_PNSt15iterator_traitsIS12_E10value_typeET2_T3_PNS13_IS18_E10value_typeET4_jRbjT5_S1E_jjP12ihipStream_tbEUljE_ZNSN_ISO_Lb1ESQ_SR_ST_SU_SY_EESZ_S10_S11_S12_S16_S17_S18_S1B_S1C_jS1D_jS1E_S1E_jjS1G_bEUljE0_EEESZ_S10_S11_S18_S1C_S1E_T6_T7_T9_mT8_S1G_bDpT10_ENKUlT_T0_E_clISt17integral_constantIbLb1EES1T_IbLb0EEEEDaS1P_S1Q_EUlS1P_E_NS1_11comp_targetILNS1_3genE5ELNS1_11target_archE942ELNS1_3gpuE9ELNS1_3repE0EEENS1_30default_config_static_selectorELNS0_4arch9wavefront6targetE0EEEvS12_: ; @_ZN7rocprim17ROCPRIM_400000_NS6detail17trampoline_kernelINS0_13select_configILj256ELj13ELNS0_17block_load_methodE3ELS4_3ELS4_3ELNS0_20block_scan_algorithmE0ELj4294967295EEENS1_25partition_config_selectorILNS1_17partition_subalgoE4EjNS0_10empty_typeEbEEZZNS1_14partition_implILS8_4ELb0ES6_15HIP_vector_typeIjLj2EENS0_17counting_iteratorIjlEEPS9_SG_NS0_5tupleIJPjSI_NS0_16reverse_iteratorISI_EEEEENSH_IJSG_SG_SG_EEES9_SI_JZNS1_25segmented_radix_sort_implINS0_14default_configELb1EPKiPiPKlPlN2at6native12_GLOBAL__N_18offset_tEEE10hipError_tPvRmT1_PNSt15iterator_traitsIS12_E10value_typeET2_T3_PNS13_IS18_E10value_typeET4_jRbjT5_S1E_jjP12ihipStream_tbEUljE_ZNSN_ISO_Lb1ESQ_SR_ST_SU_SY_EESZ_S10_S11_S12_S16_S17_S18_S1B_S1C_jS1D_jS1E_S1E_jjS1G_bEUljE0_EEESZ_S10_S11_S18_S1C_S1E_T6_T7_T9_mT8_S1G_bDpT10_ENKUlT_T0_E_clISt17integral_constantIbLb1EES1T_IbLb0EEEEDaS1P_S1Q_EUlS1P_E_NS1_11comp_targetILNS1_3genE5ELNS1_11target_archE942ELNS1_3gpuE9ELNS1_3repE0EEENS1_30default_config_static_selectorELNS0_4arch9wavefront6targetE0EEEvS12_
; %bb.0:
	.section	.rodata,"a",@progbits
	.p2align	6, 0x0
	.amdhsa_kernel _ZN7rocprim17ROCPRIM_400000_NS6detail17trampoline_kernelINS0_13select_configILj256ELj13ELNS0_17block_load_methodE3ELS4_3ELS4_3ELNS0_20block_scan_algorithmE0ELj4294967295EEENS1_25partition_config_selectorILNS1_17partition_subalgoE4EjNS0_10empty_typeEbEEZZNS1_14partition_implILS8_4ELb0ES6_15HIP_vector_typeIjLj2EENS0_17counting_iteratorIjlEEPS9_SG_NS0_5tupleIJPjSI_NS0_16reverse_iteratorISI_EEEEENSH_IJSG_SG_SG_EEES9_SI_JZNS1_25segmented_radix_sort_implINS0_14default_configELb1EPKiPiPKlPlN2at6native12_GLOBAL__N_18offset_tEEE10hipError_tPvRmT1_PNSt15iterator_traitsIS12_E10value_typeET2_T3_PNS13_IS18_E10value_typeET4_jRbjT5_S1E_jjP12ihipStream_tbEUljE_ZNSN_ISO_Lb1ESQ_SR_ST_SU_SY_EESZ_S10_S11_S12_S16_S17_S18_S1B_S1C_jS1D_jS1E_S1E_jjS1G_bEUljE0_EEESZ_S10_S11_S18_S1C_S1E_T6_T7_T9_mT8_S1G_bDpT10_ENKUlT_T0_E_clISt17integral_constantIbLb1EES1T_IbLb0EEEEDaS1P_S1Q_EUlS1P_E_NS1_11comp_targetILNS1_3genE5ELNS1_11target_archE942ELNS1_3gpuE9ELNS1_3repE0EEENS1_30default_config_static_selectorELNS0_4arch9wavefront6targetE0EEEvS12_
		.amdhsa_group_segment_fixed_size 0
		.amdhsa_private_segment_fixed_size 0
		.amdhsa_kernarg_size 176
		.amdhsa_user_sgpr_count 15
		.amdhsa_user_sgpr_dispatch_ptr 0
		.amdhsa_user_sgpr_queue_ptr 0
		.amdhsa_user_sgpr_kernarg_segment_ptr 1
		.amdhsa_user_sgpr_dispatch_id 0
		.amdhsa_user_sgpr_private_segment_size 0
		.amdhsa_wavefront_size32 1
		.amdhsa_uses_dynamic_stack 0
		.amdhsa_enable_private_segment 0
		.amdhsa_system_sgpr_workgroup_id_x 1
		.amdhsa_system_sgpr_workgroup_id_y 0
		.amdhsa_system_sgpr_workgroup_id_z 0
		.amdhsa_system_sgpr_workgroup_info 0
		.amdhsa_system_vgpr_workitem_id 0
		.amdhsa_next_free_vgpr 1
		.amdhsa_next_free_sgpr 1
		.amdhsa_reserve_vcc 0
		.amdhsa_float_round_mode_32 0
		.amdhsa_float_round_mode_16_64 0
		.amdhsa_float_denorm_mode_32 3
		.amdhsa_float_denorm_mode_16_64 3
		.amdhsa_dx10_clamp 1
		.amdhsa_ieee_mode 1
		.amdhsa_fp16_overflow 0
		.amdhsa_workgroup_processor_mode 1
		.amdhsa_memory_ordered 1
		.amdhsa_forward_progress 0
		.amdhsa_shared_vgpr_count 0
		.amdhsa_exception_fp_ieee_invalid_op 0
		.amdhsa_exception_fp_denorm_src 0
		.amdhsa_exception_fp_ieee_div_zero 0
		.amdhsa_exception_fp_ieee_overflow 0
		.amdhsa_exception_fp_ieee_underflow 0
		.amdhsa_exception_fp_ieee_inexact 0
		.amdhsa_exception_int_div_zero 0
	.end_amdhsa_kernel
	.section	.text._ZN7rocprim17ROCPRIM_400000_NS6detail17trampoline_kernelINS0_13select_configILj256ELj13ELNS0_17block_load_methodE3ELS4_3ELS4_3ELNS0_20block_scan_algorithmE0ELj4294967295EEENS1_25partition_config_selectorILNS1_17partition_subalgoE4EjNS0_10empty_typeEbEEZZNS1_14partition_implILS8_4ELb0ES6_15HIP_vector_typeIjLj2EENS0_17counting_iteratorIjlEEPS9_SG_NS0_5tupleIJPjSI_NS0_16reverse_iteratorISI_EEEEENSH_IJSG_SG_SG_EEES9_SI_JZNS1_25segmented_radix_sort_implINS0_14default_configELb1EPKiPiPKlPlN2at6native12_GLOBAL__N_18offset_tEEE10hipError_tPvRmT1_PNSt15iterator_traitsIS12_E10value_typeET2_T3_PNS13_IS18_E10value_typeET4_jRbjT5_S1E_jjP12ihipStream_tbEUljE_ZNSN_ISO_Lb1ESQ_SR_ST_SU_SY_EESZ_S10_S11_S12_S16_S17_S18_S1B_S1C_jS1D_jS1E_S1E_jjS1G_bEUljE0_EEESZ_S10_S11_S18_S1C_S1E_T6_T7_T9_mT8_S1G_bDpT10_ENKUlT_T0_E_clISt17integral_constantIbLb1EES1T_IbLb0EEEEDaS1P_S1Q_EUlS1P_E_NS1_11comp_targetILNS1_3genE5ELNS1_11target_archE942ELNS1_3gpuE9ELNS1_3repE0EEENS1_30default_config_static_selectorELNS0_4arch9wavefront6targetE0EEEvS12_,"axG",@progbits,_ZN7rocprim17ROCPRIM_400000_NS6detail17trampoline_kernelINS0_13select_configILj256ELj13ELNS0_17block_load_methodE3ELS4_3ELS4_3ELNS0_20block_scan_algorithmE0ELj4294967295EEENS1_25partition_config_selectorILNS1_17partition_subalgoE4EjNS0_10empty_typeEbEEZZNS1_14partition_implILS8_4ELb0ES6_15HIP_vector_typeIjLj2EENS0_17counting_iteratorIjlEEPS9_SG_NS0_5tupleIJPjSI_NS0_16reverse_iteratorISI_EEEEENSH_IJSG_SG_SG_EEES9_SI_JZNS1_25segmented_radix_sort_implINS0_14default_configELb1EPKiPiPKlPlN2at6native12_GLOBAL__N_18offset_tEEE10hipError_tPvRmT1_PNSt15iterator_traitsIS12_E10value_typeET2_T3_PNS13_IS18_E10value_typeET4_jRbjT5_S1E_jjP12ihipStream_tbEUljE_ZNSN_ISO_Lb1ESQ_SR_ST_SU_SY_EESZ_S10_S11_S12_S16_S17_S18_S1B_S1C_jS1D_jS1E_S1E_jjS1G_bEUljE0_EEESZ_S10_S11_S18_S1C_S1E_T6_T7_T9_mT8_S1G_bDpT10_ENKUlT_T0_E_clISt17integral_constantIbLb1EES1T_IbLb0EEEEDaS1P_S1Q_EUlS1P_E_NS1_11comp_targetILNS1_3genE5ELNS1_11target_archE942ELNS1_3gpuE9ELNS1_3repE0EEENS1_30default_config_static_selectorELNS0_4arch9wavefront6targetE0EEEvS12_,comdat
.Lfunc_end450:
	.size	_ZN7rocprim17ROCPRIM_400000_NS6detail17trampoline_kernelINS0_13select_configILj256ELj13ELNS0_17block_load_methodE3ELS4_3ELS4_3ELNS0_20block_scan_algorithmE0ELj4294967295EEENS1_25partition_config_selectorILNS1_17partition_subalgoE4EjNS0_10empty_typeEbEEZZNS1_14partition_implILS8_4ELb0ES6_15HIP_vector_typeIjLj2EENS0_17counting_iteratorIjlEEPS9_SG_NS0_5tupleIJPjSI_NS0_16reverse_iteratorISI_EEEEENSH_IJSG_SG_SG_EEES9_SI_JZNS1_25segmented_radix_sort_implINS0_14default_configELb1EPKiPiPKlPlN2at6native12_GLOBAL__N_18offset_tEEE10hipError_tPvRmT1_PNSt15iterator_traitsIS12_E10value_typeET2_T3_PNS13_IS18_E10value_typeET4_jRbjT5_S1E_jjP12ihipStream_tbEUljE_ZNSN_ISO_Lb1ESQ_SR_ST_SU_SY_EESZ_S10_S11_S12_S16_S17_S18_S1B_S1C_jS1D_jS1E_S1E_jjS1G_bEUljE0_EEESZ_S10_S11_S18_S1C_S1E_T6_T7_T9_mT8_S1G_bDpT10_ENKUlT_T0_E_clISt17integral_constantIbLb1EES1T_IbLb0EEEEDaS1P_S1Q_EUlS1P_E_NS1_11comp_targetILNS1_3genE5ELNS1_11target_archE942ELNS1_3gpuE9ELNS1_3repE0EEENS1_30default_config_static_selectorELNS0_4arch9wavefront6targetE0EEEvS12_, .Lfunc_end450-_ZN7rocprim17ROCPRIM_400000_NS6detail17trampoline_kernelINS0_13select_configILj256ELj13ELNS0_17block_load_methodE3ELS4_3ELS4_3ELNS0_20block_scan_algorithmE0ELj4294967295EEENS1_25partition_config_selectorILNS1_17partition_subalgoE4EjNS0_10empty_typeEbEEZZNS1_14partition_implILS8_4ELb0ES6_15HIP_vector_typeIjLj2EENS0_17counting_iteratorIjlEEPS9_SG_NS0_5tupleIJPjSI_NS0_16reverse_iteratorISI_EEEEENSH_IJSG_SG_SG_EEES9_SI_JZNS1_25segmented_radix_sort_implINS0_14default_configELb1EPKiPiPKlPlN2at6native12_GLOBAL__N_18offset_tEEE10hipError_tPvRmT1_PNSt15iterator_traitsIS12_E10value_typeET2_T3_PNS13_IS18_E10value_typeET4_jRbjT5_S1E_jjP12ihipStream_tbEUljE_ZNSN_ISO_Lb1ESQ_SR_ST_SU_SY_EESZ_S10_S11_S12_S16_S17_S18_S1B_S1C_jS1D_jS1E_S1E_jjS1G_bEUljE0_EEESZ_S10_S11_S18_S1C_S1E_T6_T7_T9_mT8_S1G_bDpT10_ENKUlT_T0_E_clISt17integral_constantIbLb1EES1T_IbLb0EEEEDaS1P_S1Q_EUlS1P_E_NS1_11comp_targetILNS1_3genE5ELNS1_11target_archE942ELNS1_3gpuE9ELNS1_3repE0EEENS1_30default_config_static_selectorELNS0_4arch9wavefront6targetE0EEEvS12_
                                        ; -- End function
	.section	.AMDGPU.csdata,"",@progbits
; Kernel info:
; codeLenInByte = 0
; NumSgprs: 0
; NumVgprs: 0
; ScratchSize: 0
; MemoryBound: 0
; FloatMode: 240
; IeeeMode: 1
; LDSByteSize: 0 bytes/workgroup (compile time only)
; SGPRBlocks: 0
; VGPRBlocks: 0
; NumSGPRsForWavesPerEU: 1
; NumVGPRsForWavesPerEU: 1
; Occupancy: 16
; WaveLimiterHint : 0
; COMPUTE_PGM_RSRC2:SCRATCH_EN: 0
; COMPUTE_PGM_RSRC2:USER_SGPR: 15
; COMPUTE_PGM_RSRC2:TRAP_HANDLER: 0
; COMPUTE_PGM_RSRC2:TGID_X_EN: 1
; COMPUTE_PGM_RSRC2:TGID_Y_EN: 0
; COMPUTE_PGM_RSRC2:TGID_Z_EN: 0
; COMPUTE_PGM_RSRC2:TIDIG_COMP_CNT: 0
	.section	.text._ZN7rocprim17ROCPRIM_400000_NS6detail17trampoline_kernelINS0_13select_configILj256ELj13ELNS0_17block_load_methodE3ELS4_3ELS4_3ELNS0_20block_scan_algorithmE0ELj4294967295EEENS1_25partition_config_selectorILNS1_17partition_subalgoE4EjNS0_10empty_typeEbEEZZNS1_14partition_implILS8_4ELb0ES6_15HIP_vector_typeIjLj2EENS0_17counting_iteratorIjlEEPS9_SG_NS0_5tupleIJPjSI_NS0_16reverse_iteratorISI_EEEEENSH_IJSG_SG_SG_EEES9_SI_JZNS1_25segmented_radix_sort_implINS0_14default_configELb1EPKiPiPKlPlN2at6native12_GLOBAL__N_18offset_tEEE10hipError_tPvRmT1_PNSt15iterator_traitsIS12_E10value_typeET2_T3_PNS13_IS18_E10value_typeET4_jRbjT5_S1E_jjP12ihipStream_tbEUljE_ZNSN_ISO_Lb1ESQ_SR_ST_SU_SY_EESZ_S10_S11_S12_S16_S17_S18_S1B_S1C_jS1D_jS1E_S1E_jjS1G_bEUljE0_EEESZ_S10_S11_S18_S1C_S1E_T6_T7_T9_mT8_S1G_bDpT10_ENKUlT_T0_E_clISt17integral_constantIbLb1EES1T_IbLb0EEEEDaS1P_S1Q_EUlS1P_E_NS1_11comp_targetILNS1_3genE4ELNS1_11target_archE910ELNS1_3gpuE8ELNS1_3repE0EEENS1_30default_config_static_selectorELNS0_4arch9wavefront6targetE0EEEvS12_,"axG",@progbits,_ZN7rocprim17ROCPRIM_400000_NS6detail17trampoline_kernelINS0_13select_configILj256ELj13ELNS0_17block_load_methodE3ELS4_3ELS4_3ELNS0_20block_scan_algorithmE0ELj4294967295EEENS1_25partition_config_selectorILNS1_17partition_subalgoE4EjNS0_10empty_typeEbEEZZNS1_14partition_implILS8_4ELb0ES6_15HIP_vector_typeIjLj2EENS0_17counting_iteratorIjlEEPS9_SG_NS0_5tupleIJPjSI_NS0_16reverse_iteratorISI_EEEEENSH_IJSG_SG_SG_EEES9_SI_JZNS1_25segmented_radix_sort_implINS0_14default_configELb1EPKiPiPKlPlN2at6native12_GLOBAL__N_18offset_tEEE10hipError_tPvRmT1_PNSt15iterator_traitsIS12_E10value_typeET2_T3_PNS13_IS18_E10value_typeET4_jRbjT5_S1E_jjP12ihipStream_tbEUljE_ZNSN_ISO_Lb1ESQ_SR_ST_SU_SY_EESZ_S10_S11_S12_S16_S17_S18_S1B_S1C_jS1D_jS1E_S1E_jjS1G_bEUljE0_EEESZ_S10_S11_S18_S1C_S1E_T6_T7_T9_mT8_S1G_bDpT10_ENKUlT_T0_E_clISt17integral_constantIbLb1EES1T_IbLb0EEEEDaS1P_S1Q_EUlS1P_E_NS1_11comp_targetILNS1_3genE4ELNS1_11target_archE910ELNS1_3gpuE8ELNS1_3repE0EEENS1_30default_config_static_selectorELNS0_4arch9wavefront6targetE0EEEvS12_,comdat
	.globl	_ZN7rocprim17ROCPRIM_400000_NS6detail17trampoline_kernelINS0_13select_configILj256ELj13ELNS0_17block_load_methodE3ELS4_3ELS4_3ELNS0_20block_scan_algorithmE0ELj4294967295EEENS1_25partition_config_selectorILNS1_17partition_subalgoE4EjNS0_10empty_typeEbEEZZNS1_14partition_implILS8_4ELb0ES6_15HIP_vector_typeIjLj2EENS0_17counting_iteratorIjlEEPS9_SG_NS0_5tupleIJPjSI_NS0_16reverse_iteratorISI_EEEEENSH_IJSG_SG_SG_EEES9_SI_JZNS1_25segmented_radix_sort_implINS0_14default_configELb1EPKiPiPKlPlN2at6native12_GLOBAL__N_18offset_tEEE10hipError_tPvRmT1_PNSt15iterator_traitsIS12_E10value_typeET2_T3_PNS13_IS18_E10value_typeET4_jRbjT5_S1E_jjP12ihipStream_tbEUljE_ZNSN_ISO_Lb1ESQ_SR_ST_SU_SY_EESZ_S10_S11_S12_S16_S17_S18_S1B_S1C_jS1D_jS1E_S1E_jjS1G_bEUljE0_EEESZ_S10_S11_S18_S1C_S1E_T6_T7_T9_mT8_S1G_bDpT10_ENKUlT_T0_E_clISt17integral_constantIbLb1EES1T_IbLb0EEEEDaS1P_S1Q_EUlS1P_E_NS1_11comp_targetILNS1_3genE4ELNS1_11target_archE910ELNS1_3gpuE8ELNS1_3repE0EEENS1_30default_config_static_selectorELNS0_4arch9wavefront6targetE0EEEvS12_ ; -- Begin function _ZN7rocprim17ROCPRIM_400000_NS6detail17trampoline_kernelINS0_13select_configILj256ELj13ELNS0_17block_load_methodE3ELS4_3ELS4_3ELNS0_20block_scan_algorithmE0ELj4294967295EEENS1_25partition_config_selectorILNS1_17partition_subalgoE4EjNS0_10empty_typeEbEEZZNS1_14partition_implILS8_4ELb0ES6_15HIP_vector_typeIjLj2EENS0_17counting_iteratorIjlEEPS9_SG_NS0_5tupleIJPjSI_NS0_16reverse_iteratorISI_EEEEENSH_IJSG_SG_SG_EEES9_SI_JZNS1_25segmented_radix_sort_implINS0_14default_configELb1EPKiPiPKlPlN2at6native12_GLOBAL__N_18offset_tEEE10hipError_tPvRmT1_PNSt15iterator_traitsIS12_E10value_typeET2_T3_PNS13_IS18_E10value_typeET4_jRbjT5_S1E_jjP12ihipStream_tbEUljE_ZNSN_ISO_Lb1ESQ_SR_ST_SU_SY_EESZ_S10_S11_S12_S16_S17_S18_S1B_S1C_jS1D_jS1E_S1E_jjS1G_bEUljE0_EEESZ_S10_S11_S18_S1C_S1E_T6_T7_T9_mT8_S1G_bDpT10_ENKUlT_T0_E_clISt17integral_constantIbLb1EES1T_IbLb0EEEEDaS1P_S1Q_EUlS1P_E_NS1_11comp_targetILNS1_3genE4ELNS1_11target_archE910ELNS1_3gpuE8ELNS1_3repE0EEENS1_30default_config_static_selectorELNS0_4arch9wavefront6targetE0EEEvS12_
	.p2align	8
	.type	_ZN7rocprim17ROCPRIM_400000_NS6detail17trampoline_kernelINS0_13select_configILj256ELj13ELNS0_17block_load_methodE3ELS4_3ELS4_3ELNS0_20block_scan_algorithmE0ELj4294967295EEENS1_25partition_config_selectorILNS1_17partition_subalgoE4EjNS0_10empty_typeEbEEZZNS1_14partition_implILS8_4ELb0ES6_15HIP_vector_typeIjLj2EENS0_17counting_iteratorIjlEEPS9_SG_NS0_5tupleIJPjSI_NS0_16reverse_iteratorISI_EEEEENSH_IJSG_SG_SG_EEES9_SI_JZNS1_25segmented_radix_sort_implINS0_14default_configELb1EPKiPiPKlPlN2at6native12_GLOBAL__N_18offset_tEEE10hipError_tPvRmT1_PNSt15iterator_traitsIS12_E10value_typeET2_T3_PNS13_IS18_E10value_typeET4_jRbjT5_S1E_jjP12ihipStream_tbEUljE_ZNSN_ISO_Lb1ESQ_SR_ST_SU_SY_EESZ_S10_S11_S12_S16_S17_S18_S1B_S1C_jS1D_jS1E_S1E_jjS1G_bEUljE0_EEESZ_S10_S11_S18_S1C_S1E_T6_T7_T9_mT8_S1G_bDpT10_ENKUlT_T0_E_clISt17integral_constantIbLb1EES1T_IbLb0EEEEDaS1P_S1Q_EUlS1P_E_NS1_11comp_targetILNS1_3genE4ELNS1_11target_archE910ELNS1_3gpuE8ELNS1_3repE0EEENS1_30default_config_static_selectorELNS0_4arch9wavefront6targetE0EEEvS12_,@function
_ZN7rocprim17ROCPRIM_400000_NS6detail17trampoline_kernelINS0_13select_configILj256ELj13ELNS0_17block_load_methodE3ELS4_3ELS4_3ELNS0_20block_scan_algorithmE0ELj4294967295EEENS1_25partition_config_selectorILNS1_17partition_subalgoE4EjNS0_10empty_typeEbEEZZNS1_14partition_implILS8_4ELb0ES6_15HIP_vector_typeIjLj2EENS0_17counting_iteratorIjlEEPS9_SG_NS0_5tupleIJPjSI_NS0_16reverse_iteratorISI_EEEEENSH_IJSG_SG_SG_EEES9_SI_JZNS1_25segmented_radix_sort_implINS0_14default_configELb1EPKiPiPKlPlN2at6native12_GLOBAL__N_18offset_tEEE10hipError_tPvRmT1_PNSt15iterator_traitsIS12_E10value_typeET2_T3_PNS13_IS18_E10value_typeET4_jRbjT5_S1E_jjP12ihipStream_tbEUljE_ZNSN_ISO_Lb1ESQ_SR_ST_SU_SY_EESZ_S10_S11_S12_S16_S17_S18_S1B_S1C_jS1D_jS1E_S1E_jjS1G_bEUljE0_EEESZ_S10_S11_S18_S1C_S1E_T6_T7_T9_mT8_S1G_bDpT10_ENKUlT_T0_E_clISt17integral_constantIbLb1EES1T_IbLb0EEEEDaS1P_S1Q_EUlS1P_E_NS1_11comp_targetILNS1_3genE4ELNS1_11target_archE910ELNS1_3gpuE8ELNS1_3repE0EEENS1_30default_config_static_selectorELNS0_4arch9wavefront6targetE0EEEvS12_: ; @_ZN7rocprim17ROCPRIM_400000_NS6detail17trampoline_kernelINS0_13select_configILj256ELj13ELNS0_17block_load_methodE3ELS4_3ELS4_3ELNS0_20block_scan_algorithmE0ELj4294967295EEENS1_25partition_config_selectorILNS1_17partition_subalgoE4EjNS0_10empty_typeEbEEZZNS1_14partition_implILS8_4ELb0ES6_15HIP_vector_typeIjLj2EENS0_17counting_iteratorIjlEEPS9_SG_NS0_5tupleIJPjSI_NS0_16reverse_iteratorISI_EEEEENSH_IJSG_SG_SG_EEES9_SI_JZNS1_25segmented_radix_sort_implINS0_14default_configELb1EPKiPiPKlPlN2at6native12_GLOBAL__N_18offset_tEEE10hipError_tPvRmT1_PNSt15iterator_traitsIS12_E10value_typeET2_T3_PNS13_IS18_E10value_typeET4_jRbjT5_S1E_jjP12ihipStream_tbEUljE_ZNSN_ISO_Lb1ESQ_SR_ST_SU_SY_EESZ_S10_S11_S12_S16_S17_S18_S1B_S1C_jS1D_jS1E_S1E_jjS1G_bEUljE0_EEESZ_S10_S11_S18_S1C_S1E_T6_T7_T9_mT8_S1G_bDpT10_ENKUlT_T0_E_clISt17integral_constantIbLb1EES1T_IbLb0EEEEDaS1P_S1Q_EUlS1P_E_NS1_11comp_targetILNS1_3genE4ELNS1_11target_archE910ELNS1_3gpuE8ELNS1_3repE0EEENS1_30default_config_static_selectorELNS0_4arch9wavefront6targetE0EEEvS12_
; %bb.0:
	.section	.rodata,"a",@progbits
	.p2align	6, 0x0
	.amdhsa_kernel _ZN7rocprim17ROCPRIM_400000_NS6detail17trampoline_kernelINS0_13select_configILj256ELj13ELNS0_17block_load_methodE3ELS4_3ELS4_3ELNS0_20block_scan_algorithmE0ELj4294967295EEENS1_25partition_config_selectorILNS1_17partition_subalgoE4EjNS0_10empty_typeEbEEZZNS1_14partition_implILS8_4ELb0ES6_15HIP_vector_typeIjLj2EENS0_17counting_iteratorIjlEEPS9_SG_NS0_5tupleIJPjSI_NS0_16reverse_iteratorISI_EEEEENSH_IJSG_SG_SG_EEES9_SI_JZNS1_25segmented_radix_sort_implINS0_14default_configELb1EPKiPiPKlPlN2at6native12_GLOBAL__N_18offset_tEEE10hipError_tPvRmT1_PNSt15iterator_traitsIS12_E10value_typeET2_T3_PNS13_IS18_E10value_typeET4_jRbjT5_S1E_jjP12ihipStream_tbEUljE_ZNSN_ISO_Lb1ESQ_SR_ST_SU_SY_EESZ_S10_S11_S12_S16_S17_S18_S1B_S1C_jS1D_jS1E_S1E_jjS1G_bEUljE0_EEESZ_S10_S11_S18_S1C_S1E_T6_T7_T9_mT8_S1G_bDpT10_ENKUlT_T0_E_clISt17integral_constantIbLb1EES1T_IbLb0EEEEDaS1P_S1Q_EUlS1P_E_NS1_11comp_targetILNS1_3genE4ELNS1_11target_archE910ELNS1_3gpuE8ELNS1_3repE0EEENS1_30default_config_static_selectorELNS0_4arch9wavefront6targetE0EEEvS12_
		.amdhsa_group_segment_fixed_size 0
		.amdhsa_private_segment_fixed_size 0
		.amdhsa_kernarg_size 176
		.amdhsa_user_sgpr_count 15
		.amdhsa_user_sgpr_dispatch_ptr 0
		.amdhsa_user_sgpr_queue_ptr 0
		.amdhsa_user_sgpr_kernarg_segment_ptr 1
		.amdhsa_user_sgpr_dispatch_id 0
		.amdhsa_user_sgpr_private_segment_size 0
		.amdhsa_wavefront_size32 1
		.amdhsa_uses_dynamic_stack 0
		.amdhsa_enable_private_segment 0
		.amdhsa_system_sgpr_workgroup_id_x 1
		.amdhsa_system_sgpr_workgroup_id_y 0
		.amdhsa_system_sgpr_workgroup_id_z 0
		.amdhsa_system_sgpr_workgroup_info 0
		.amdhsa_system_vgpr_workitem_id 0
		.amdhsa_next_free_vgpr 1
		.amdhsa_next_free_sgpr 1
		.amdhsa_reserve_vcc 0
		.amdhsa_float_round_mode_32 0
		.amdhsa_float_round_mode_16_64 0
		.amdhsa_float_denorm_mode_32 3
		.amdhsa_float_denorm_mode_16_64 3
		.amdhsa_dx10_clamp 1
		.amdhsa_ieee_mode 1
		.amdhsa_fp16_overflow 0
		.amdhsa_workgroup_processor_mode 1
		.amdhsa_memory_ordered 1
		.amdhsa_forward_progress 0
		.amdhsa_shared_vgpr_count 0
		.amdhsa_exception_fp_ieee_invalid_op 0
		.amdhsa_exception_fp_denorm_src 0
		.amdhsa_exception_fp_ieee_div_zero 0
		.amdhsa_exception_fp_ieee_overflow 0
		.amdhsa_exception_fp_ieee_underflow 0
		.amdhsa_exception_fp_ieee_inexact 0
		.amdhsa_exception_int_div_zero 0
	.end_amdhsa_kernel
	.section	.text._ZN7rocprim17ROCPRIM_400000_NS6detail17trampoline_kernelINS0_13select_configILj256ELj13ELNS0_17block_load_methodE3ELS4_3ELS4_3ELNS0_20block_scan_algorithmE0ELj4294967295EEENS1_25partition_config_selectorILNS1_17partition_subalgoE4EjNS0_10empty_typeEbEEZZNS1_14partition_implILS8_4ELb0ES6_15HIP_vector_typeIjLj2EENS0_17counting_iteratorIjlEEPS9_SG_NS0_5tupleIJPjSI_NS0_16reverse_iteratorISI_EEEEENSH_IJSG_SG_SG_EEES9_SI_JZNS1_25segmented_radix_sort_implINS0_14default_configELb1EPKiPiPKlPlN2at6native12_GLOBAL__N_18offset_tEEE10hipError_tPvRmT1_PNSt15iterator_traitsIS12_E10value_typeET2_T3_PNS13_IS18_E10value_typeET4_jRbjT5_S1E_jjP12ihipStream_tbEUljE_ZNSN_ISO_Lb1ESQ_SR_ST_SU_SY_EESZ_S10_S11_S12_S16_S17_S18_S1B_S1C_jS1D_jS1E_S1E_jjS1G_bEUljE0_EEESZ_S10_S11_S18_S1C_S1E_T6_T7_T9_mT8_S1G_bDpT10_ENKUlT_T0_E_clISt17integral_constantIbLb1EES1T_IbLb0EEEEDaS1P_S1Q_EUlS1P_E_NS1_11comp_targetILNS1_3genE4ELNS1_11target_archE910ELNS1_3gpuE8ELNS1_3repE0EEENS1_30default_config_static_selectorELNS0_4arch9wavefront6targetE0EEEvS12_,"axG",@progbits,_ZN7rocprim17ROCPRIM_400000_NS6detail17trampoline_kernelINS0_13select_configILj256ELj13ELNS0_17block_load_methodE3ELS4_3ELS4_3ELNS0_20block_scan_algorithmE0ELj4294967295EEENS1_25partition_config_selectorILNS1_17partition_subalgoE4EjNS0_10empty_typeEbEEZZNS1_14partition_implILS8_4ELb0ES6_15HIP_vector_typeIjLj2EENS0_17counting_iteratorIjlEEPS9_SG_NS0_5tupleIJPjSI_NS0_16reverse_iteratorISI_EEEEENSH_IJSG_SG_SG_EEES9_SI_JZNS1_25segmented_radix_sort_implINS0_14default_configELb1EPKiPiPKlPlN2at6native12_GLOBAL__N_18offset_tEEE10hipError_tPvRmT1_PNSt15iterator_traitsIS12_E10value_typeET2_T3_PNS13_IS18_E10value_typeET4_jRbjT5_S1E_jjP12ihipStream_tbEUljE_ZNSN_ISO_Lb1ESQ_SR_ST_SU_SY_EESZ_S10_S11_S12_S16_S17_S18_S1B_S1C_jS1D_jS1E_S1E_jjS1G_bEUljE0_EEESZ_S10_S11_S18_S1C_S1E_T6_T7_T9_mT8_S1G_bDpT10_ENKUlT_T0_E_clISt17integral_constantIbLb1EES1T_IbLb0EEEEDaS1P_S1Q_EUlS1P_E_NS1_11comp_targetILNS1_3genE4ELNS1_11target_archE910ELNS1_3gpuE8ELNS1_3repE0EEENS1_30default_config_static_selectorELNS0_4arch9wavefront6targetE0EEEvS12_,comdat
.Lfunc_end451:
	.size	_ZN7rocprim17ROCPRIM_400000_NS6detail17trampoline_kernelINS0_13select_configILj256ELj13ELNS0_17block_load_methodE3ELS4_3ELS4_3ELNS0_20block_scan_algorithmE0ELj4294967295EEENS1_25partition_config_selectorILNS1_17partition_subalgoE4EjNS0_10empty_typeEbEEZZNS1_14partition_implILS8_4ELb0ES6_15HIP_vector_typeIjLj2EENS0_17counting_iteratorIjlEEPS9_SG_NS0_5tupleIJPjSI_NS0_16reverse_iteratorISI_EEEEENSH_IJSG_SG_SG_EEES9_SI_JZNS1_25segmented_radix_sort_implINS0_14default_configELb1EPKiPiPKlPlN2at6native12_GLOBAL__N_18offset_tEEE10hipError_tPvRmT1_PNSt15iterator_traitsIS12_E10value_typeET2_T3_PNS13_IS18_E10value_typeET4_jRbjT5_S1E_jjP12ihipStream_tbEUljE_ZNSN_ISO_Lb1ESQ_SR_ST_SU_SY_EESZ_S10_S11_S12_S16_S17_S18_S1B_S1C_jS1D_jS1E_S1E_jjS1G_bEUljE0_EEESZ_S10_S11_S18_S1C_S1E_T6_T7_T9_mT8_S1G_bDpT10_ENKUlT_T0_E_clISt17integral_constantIbLb1EES1T_IbLb0EEEEDaS1P_S1Q_EUlS1P_E_NS1_11comp_targetILNS1_3genE4ELNS1_11target_archE910ELNS1_3gpuE8ELNS1_3repE0EEENS1_30default_config_static_selectorELNS0_4arch9wavefront6targetE0EEEvS12_, .Lfunc_end451-_ZN7rocprim17ROCPRIM_400000_NS6detail17trampoline_kernelINS0_13select_configILj256ELj13ELNS0_17block_load_methodE3ELS4_3ELS4_3ELNS0_20block_scan_algorithmE0ELj4294967295EEENS1_25partition_config_selectorILNS1_17partition_subalgoE4EjNS0_10empty_typeEbEEZZNS1_14partition_implILS8_4ELb0ES6_15HIP_vector_typeIjLj2EENS0_17counting_iteratorIjlEEPS9_SG_NS0_5tupleIJPjSI_NS0_16reverse_iteratorISI_EEEEENSH_IJSG_SG_SG_EEES9_SI_JZNS1_25segmented_radix_sort_implINS0_14default_configELb1EPKiPiPKlPlN2at6native12_GLOBAL__N_18offset_tEEE10hipError_tPvRmT1_PNSt15iterator_traitsIS12_E10value_typeET2_T3_PNS13_IS18_E10value_typeET4_jRbjT5_S1E_jjP12ihipStream_tbEUljE_ZNSN_ISO_Lb1ESQ_SR_ST_SU_SY_EESZ_S10_S11_S12_S16_S17_S18_S1B_S1C_jS1D_jS1E_S1E_jjS1G_bEUljE0_EEESZ_S10_S11_S18_S1C_S1E_T6_T7_T9_mT8_S1G_bDpT10_ENKUlT_T0_E_clISt17integral_constantIbLb1EES1T_IbLb0EEEEDaS1P_S1Q_EUlS1P_E_NS1_11comp_targetILNS1_3genE4ELNS1_11target_archE910ELNS1_3gpuE8ELNS1_3repE0EEENS1_30default_config_static_selectorELNS0_4arch9wavefront6targetE0EEEvS12_
                                        ; -- End function
	.section	.AMDGPU.csdata,"",@progbits
; Kernel info:
; codeLenInByte = 0
; NumSgprs: 0
; NumVgprs: 0
; ScratchSize: 0
; MemoryBound: 0
; FloatMode: 240
; IeeeMode: 1
; LDSByteSize: 0 bytes/workgroup (compile time only)
; SGPRBlocks: 0
; VGPRBlocks: 0
; NumSGPRsForWavesPerEU: 1
; NumVGPRsForWavesPerEU: 1
; Occupancy: 16
; WaveLimiterHint : 0
; COMPUTE_PGM_RSRC2:SCRATCH_EN: 0
; COMPUTE_PGM_RSRC2:USER_SGPR: 15
; COMPUTE_PGM_RSRC2:TRAP_HANDLER: 0
; COMPUTE_PGM_RSRC2:TGID_X_EN: 1
; COMPUTE_PGM_RSRC2:TGID_Y_EN: 0
; COMPUTE_PGM_RSRC2:TGID_Z_EN: 0
; COMPUTE_PGM_RSRC2:TIDIG_COMP_CNT: 0
	.section	.text._ZN7rocprim17ROCPRIM_400000_NS6detail17trampoline_kernelINS0_13select_configILj256ELj13ELNS0_17block_load_methodE3ELS4_3ELS4_3ELNS0_20block_scan_algorithmE0ELj4294967295EEENS1_25partition_config_selectorILNS1_17partition_subalgoE4EjNS0_10empty_typeEbEEZZNS1_14partition_implILS8_4ELb0ES6_15HIP_vector_typeIjLj2EENS0_17counting_iteratorIjlEEPS9_SG_NS0_5tupleIJPjSI_NS0_16reverse_iteratorISI_EEEEENSH_IJSG_SG_SG_EEES9_SI_JZNS1_25segmented_radix_sort_implINS0_14default_configELb1EPKiPiPKlPlN2at6native12_GLOBAL__N_18offset_tEEE10hipError_tPvRmT1_PNSt15iterator_traitsIS12_E10value_typeET2_T3_PNS13_IS18_E10value_typeET4_jRbjT5_S1E_jjP12ihipStream_tbEUljE_ZNSN_ISO_Lb1ESQ_SR_ST_SU_SY_EESZ_S10_S11_S12_S16_S17_S18_S1B_S1C_jS1D_jS1E_S1E_jjS1G_bEUljE0_EEESZ_S10_S11_S18_S1C_S1E_T6_T7_T9_mT8_S1G_bDpT10_ENKUlT_T0_E_clISt17integral_constantIbLb1EES1T_IbLb0EEEEDaS1P_S1Q_EUlS1P_E_NS1_11comp_targetILNS1_3genE3ELNS1_11target_archE908ELNS1_3gpuE7ELNS1_3repE0EEENS1_30default_config_static_selectorELNS0_4arch9wavefront6targetE0EEEvS12_,"axG",@progbits,_ZN7rocprim17ROCPRIM_400000_NS6detail17trampoline_kernelINS0_13select_configILj256ELj13ELNS0_17block_load_methodE3ELS4_3ELS4_3ELNS0_20block_scan_algorithmE0ELj4294967295EEENS1_25partition_config_selectorILNS1_17partition_subalgoE4EjNS0_10empty_typeEbEEZZNS1_14partition_implILS8_4ELb0ES6_15HIP_vector_typeIjLj2EENS0_17counting_iteratorIjlEEPS9_SG_NS0_5tupleIJPjSI_NS0_16reverse_iteratorISI_EEEEENSH_IJSG_SG_SG_EEES9_SI_JZNS1_25segmented_radix_sort_implINS0_14default_configELb1EPKiPiPKlPlN2at6native12_GLOBAL__N_18offset_tEEE10hipError_tPvRmT1_PNSt15iterator_traitsIS12_E10value_typeET2_T3_PNS13_IS18_E10value_typeET4_jRbjT5_S1E_jjP12ihipStream_tbEUljE_ZNSN_ISO_Lb1ESQ_SR_ST_SU_SY_EESZ_S10_S11_S12_S16_S17_S18_S1B_S1C_jS1D_jS1E_S1E_jjS1G_bEUljE0_EEESZ_S10_S11_S18_S1C_S1E_T6_T7_T9_mT8_S1G_bDpT10_ENKUlT_T0_E_clISt17integral_constantIbLb1EES1T_IbLb0EEEEDaS1P_S1Q_EUlS1P_E_NS1_11comp_targetILNS1_3genE3ELNS1_11target_archE908ELNS1_3gpuE7ELNS1_3repE0EEENS1_30default_config_static_selectorELNS0_4arch9wavefront6targetE0EEEvS12_,comdat
	.globl	_ZN7rocprim17ROCPRIM_400000_NS6detail17trampoline_kernelINS0_13select_configILj256ELj13ELNS0_17block_load_methodE3ELS4_3ELS4_3ELNS0_20block_scan_algorithmE0ELj4294967295EEENS1_25partition_config_selectorILNS1_17partition_subalgoE4EjNS0_10empty_typeEbEEZZNS1_14partition_implILS8_4ELb0ES6_15HIP_vector_typeIjLj2EENS0_17counting_iteratorIjlEEPS9_SG_NS0_5tupleIJPjSI_NS0_16reverse_iteratorISI_EEEEENSH_IJSG_SG_SG_EEES9_SI_JZNS1_25segmented_radix_sort_implINS0_14default_configELb1EPKiPiPKlPlN2at6native12_GLOBAL__N_18offset_tEEE10hipError_tPvRmT1_PNSt15iterator_traitsIS12_E10value_typeET2_T3_PNS13_IS18_E10value_typeET4_jRbjT5_S1E_jjP12ihipStream_tbEUljE_ZNSN_ISO_Lb1ESQ_SR_ST_SU_SY_EESZ_S10_S11_S12_S16_S17_S18_S1B_S1C_jS1D_jS1E_S1E_jjS1G_bEUljE0_EEESZ_S10_S11_S18_S1C_S1E_T6_T7_T9_mT8_S1G_bDpT10_ENKUlT_T0_E_clISt17integral_constantIbLb1EES1T_IbLb0EEEEDaS1P_S1Q_EUlS1P_E_NS1_11comp_targetILNS1_3genE3ELNS1_11target_archE908ELNS1_3gpuE7ELNS1_3repE0EEENS1_30default_config_static_selectorELNS0_4arch9wavefront6targetE0EEEvS12_ ; -- Begin function _ZN7rocprim17ROCPRIM_400000_NS6detail17trampoline_kernelINS0_13select_configILj256ELj13ELNS0_17block_load_methodE3ELS4_3ELS4_3ELNS0_20block_scan_algorithmE0ELj4294967295EEENS1_25partition_config_selectorILNS1_17partition_subalgoE4EjNS0_10empty_typeEbEEZZNS1_14partition_implILS8_4ELb0ES6_15HIP_vector_typeIjLj2EENS0_17counting_iteratorIjlEEPS9_SG_NS0_5tupleIJPjSI_NS0_16reverse_iteratorISI_EEEEENSH_IJSG_SG_SG_EEES9_SI_JZNS1_25segmented_radix_sort_implINS0_14default_configELb1EPKiPiPKlPlN2at6native12_GLOBAL__N_18offset_tEEE10hipError_tPvRmT1_PNSt15iterator_traitsIS12_E10value_typeET2_T3_PNS13_IS18_E10value_typeET4_jRbjT5_S1E_jjP12ihipStream_tbEUljE_ZNSN_ISO_Lb1ESQ_SR_ST_SU_SY_EESZ_S10_S11_S12_S16_S17_S18_S1B_S1C_jS1D_jS1E_S1E_jjS1G_bEUljE0_EEESZ_S10_S11_S18_S1C_S1E_T6_T7_T9_mT8_S1G_bDpT10_ENKUlT_T0_E_clISt17integral_constantIbLb1EES1T_IbLb0EEEEDaS1P_S1Q_EUlS1P_E_NS1_11comp_targetILNS1_3genE3ELNS1_11target_archE908ELNS1_3gpuE7ELNS1_3repE0EEENS1_30default_config_static_selectorELNS0_4arch9wavefront6targetE0EEEvS12_
	.p2align	8
	.type	_ZN7rocprim17ROCPRIM_400000_NS6detail17trampoline_kernelINS0_13select_configILj256ELj13ELNS0_17block_load_methodE3ELS4_3ELS4_3ELNS0_20block_scan_algorithmE0ELj4294967295EEENS1_25partition_config_selectorILNS1_17partition_subalgoE4EjNS0_10empty_typeEbEEZZNS1_14partition_implILS8_4ELb0ES6_15HIP_vector_typeIjLj2EENS0_17counting_iteratorIjlEEPS9_SG_NS0_5tupleIJPjSI_NS0_16reverse_iteratorISI_EEEEENSH_IJSG_SG_SG_EEES9_SI_JZNS1_25segmented_radix_sort_implINS0_14default_configELb1EPKiPiPKlPlN2at6native12_GLOBAL__N_18offset_tEEE10hipError_tPvRmT1_PNSt15iterator_traitsIS12_E10value_typeET2_T3_PNS13_IS18_E10value_typeET4_jRbjT5_S1E_jjP12ihipStream_tbEUljE_ZNSN_ISO_Lb1ESQ_SR_ST_SU_SY_EESZ_S10_S11_S12_S16_S17_S18_S1B_S1C_jS1D_jS1E_S1E_jjS1G_bEUljE0_EEESZ_S10_S11_S18_S1C_S1E_T6_T7_T9_mT8_S1G_bDpT10_ENKUlT_T0_E_clISt17integral_constantIbLb1EES1T_IbLb0EEEEDaS1P_S1Q_EUlS1P_E_NS1_11comp_targetILNS1_3genE3ELNS1_11target_archE908ELNS1_3gpuE7ELNS1_3repE0EEENS1_30default_config_static_selectorELNS0_4arch9wavefront6targetE0EEEvS12_,@function
_ZN7rocprim17ROCPRIM_400000_NS6detail17trampoline_kernelINS0_13select_configILj256ELj13ELNS0_17block_load_methodE3ELS4_3ELS4_3ELNS0_20block_scan_algorithmE0ELj4294967295EEENS1_25partition_config_selectorILNS1_17partition_subalgoE4EjNS0_10empty_typeEbEEZZNS1_14partition_implILS8_4ELb0ES6_15HIP_vector_typeIjLj2EENS0_17counting_iteratorIjlEEPS9_SG_NS0_5tupleIJPjSI_NS0_16reverse_iteratorISI_EEEEENSH_IJSG_SG_SG_EEES9_SI_JZNS1_25segmented_radix_sort_implINS0_14default_configELb1EPKiPiPKlPlN2at6native12_GLOBAL__N_18offset_tEEE10hipError_tPvRmT1_PNSt15iterator_traitsIS12_E10value_typeET2_T3_PNS13_IS18_E10value_typeET4_jRbjT5_S1E_jjP12ihipStream_tbEUljE_ZNSN_ISO_Lb1ESQ_SR_ST_SU_SY_EESZ_S10_S11_S12_S16_S17_S18_S1B_S1C_jS1D_jS1E_S1E_jjS1G_bEUljE0_EEESZ_S10_S11_S18_S1C_S1E_T6_T7_T9_mT8_S1G_bDpT10_ENKUlT_T0_E_clISt17integral_constantIbLb1EES1T_IbLb0EEEEDaS1P_S1Q_EUlS1P_E_NS1_11comp_targetILNS1_3genE3ELNS1_11target_archE908ELNS1_3gpuE7ELNS1_3repE0EEENS1_30default_config_static_selectorELNS0_4arch9wavefront6targetE0EEEvS12_: ; @_ZN7rocprim17ROCPRIM_400000_NS6detail17trampoline_kernelINS0_13select_configILj256ELj13ELNS0_17block_load_methodE3ELS4_3ELS4_3ELNS0_20block_scan_algorithmE0ELj4294967295EEENS1_25partition_config_selectorILNS1_17partition_subalgoE4EjNS0_10empty_typeEbEEZZNS1_14partition_implILS8_4ELb0ES6_15HIP_vector_typeIjLj2EENS0_17counting_iteratorIjlEEPS9_SG_NS0_5tupleIJPjSI_NS0_16reverse_iteratorISI_EEEEENSH_IJSG_SG_SG_EEES9_SI_JZNS1_25segmented_radix_sort_implINS0_14default_configELb1EPKiPiPKlPlN2at6native12_GLOBAL__N_18offset_tEEE10hipError_tPvRmT1_PNSt15iterator_traitsIS12_E10value_typeET2_T3_PNS13_IS18_E10value_typeET4_jRbjT5_S1E_jjP12ihipStream_tbEUljE_ZNSN_ISO_Lb1ESQ_SR_ST_SU_SY_EESZ_S10_S11_S12_S16_S17_S18_S1B_S1C_jS1D_jS1E_S1E_jjS1G_bEUljE0_EEESZ_S10_S11_S18_S1C_S1E_T6_T7_T9_mT8_S1G_bDpT10_ENKUlT_T0_E_clISt17integral_constantIbLb1EES1T_IbLb0EEEEDaS1P_S1Q_EUlS1P_E_NS1_11comp_targetILNS1_3genE3ELNS1_11target_archE908ELNS1_3gpuE7ELNS1_3repE0EEENS1_30default_config_static_selectorELNS0_4arch9wavefront6targetE0EEEvS12_
; %bb.0:
	.section	.rodata,"a",@progbits
	.p2align	6, 0x0
	.amdhsa_kernel _ZN7rocprim17ROCPRIM_400000_NS6detail17trampoline_kernelINS0_13select_configILj256ELj13ELNS0_17block_load_methodE3ELS4_3ELS4_3ELNS0_20block_scan_algorithmE0ELj4294967295EEENS1_25partition_config_selectorILNS1_17partition_subalgoE4EjNS0_10empty_typeEbEEZZNS1_14partition_implILS8_4ELb0ES6_15HIP_vector_typeIjLj2EENS0_17counting_iteratorIjlEEPS9_SG_NS0_5tupleIJPjSI_NS0_16reverse_iteratorISI_EEEEENSH_IJSG_SG_SG_EEES9_SI_JZNS1_25segmented_radix_sort_implINS0_14default_configELb1EPKiPiPKlPlN2at6native12_GLOBAL__N_18offset_tEEE10hipError_tPvRmT1_PNSt15iterator_traitsIS12_E10value_typeET2_T3_PNS13_IS18_E10value_typeET4_jRbjT5_S1E_jjP12ihipStream_tbEUljE_ZNSN_ISO_Lb1ESQ_SR_ST_SU_SY_EESZ_S10_S11_S12_S16_S17_S18_S1B_S1C_jS1D_jS1E_S1E_jjS1G_bEUljE0_EEESZ_S10_S11_S18_S1C_S1E_T6_T7_T9_mT8_S1G_bDpT10_ENKUlT_T0_E_clISt17integral_constantIbLb1EES1T_IbLb0EEEEDaS1P_S1Q_EUlS1P_E_NS1_11comp_targetILNS1_3genE3ELNS1_11target_archE908ELNS1_3gpuE7ELNS1_3repE0EEENS1_30default_config_static_selectorELNS0_4arch9wavefront6targetE0EEEvS12_
		.amdhsa_group_segment_fixed_size 0
		.amdhsa_private_segment_fixed_size 0
		.amdhsa_kernarg_size 176
		.amdhsa_user_sgpr_count 15
		.amdhsa_user_sgpr_dispatch_ptr 0
		.amdhsa_user_sgpr_queue_ptr 0
		.amdhsa_user_sgpr_kernarg_segment_ptr 1
		.amdhsa_user_sgpr_dispatch_id 0
		.amdhsa_user_sgpr_private_segment_size 0
		.amdhsa_wavefront_size32 1
		.amdhsa_uses_dynamic_stack 0
		.amdhsa_enable_private_segment 0
		.amdhsa_system_sgpr_workgroup_id_x 1
		.amdhsa_system_sgpr_workgroup_id_y 0
		.amdhsa_system_sgpr_workgroup_id_z 0
		.amdhsa_system_sgpr_workgroup_info 0
		.amdhsa_system_vgpr_workitem_id 0
		.amdhsa_next_free_vgpr 1
		.amdhsa_next_free_sgpr 1
		.amdhsa_reserve_vcc 0
		.amdhsa_float_round_mode_32 0
		.amdhsa_float_round_mode_16_64 0
		.amdhsa_float_denorm_mode_32 3
		.amdhsa_float_denorm_mode_16_64 3
		.amdhsa_dx10_clamp 1
		.amdhsa_ieee_mode 1
		.amdhsa_fp16_overflow 0
		.amdhsa_workgroup_processor_mode 1
		.amdhsa_memory_ordered 1
		.amdhsa_forward_progress 0
		.amdhsa_shared_vgpr_count 0
		.amdhsa_exception_fp_ieee_invalid_op 0
		.amdhsa_exception_fp_denorm_src 0
		.amdhsa_exception_fp_ieee_div_zero 0
		.amdhsa_exception_fp_ieee_overflow 0
		.amdhsa_exception_fp_ieee_underflow 0
		.amdhsa_exception_fp_ieee_inexact 0
		.amdhsa_exception_int_div_zero 0
	.end_amdhsa_kernel
	.section	.text._ZN7rocprim17ROCPRIM_400000_NS6detail17trampoline_kernelINS0_13select_configILj256ELj13ELNS0_17block_load_methodE3ELS4_3ELS4_3ELNS0_20block_scan_algorithmE0ELj4294967295EEENS1_25partition_config_selectorILNS1_17partition_subalgoE4EjNS0_10empty_typeEbEEZZNS1_14partition_implILS8_4ELb0ES6_15HIP_vector_typeIjLj2EENS0_17counting_iteratorIjlEEPS9_SG_NS0_5tupleIJPjSI_NS0_16reverse_iteratorISI_EEEEENSH_IJSG_SG_SG_EEES9_SI_JZNS1_25segmented_radix_sort_implINS0_14default_configELb1EPKiPiPKlPlN2at6native12_GLOBAL__N_18offset_tEEE10hipError_tPvRmT1_PNSt15iterator_traitsIS12_E10value_typeET2_T3_PNS13_IS18_E10value_typeET4_jRbjT5_S1E_jjP12ihipStream_tbEUljE_ZNSN_ISO_Lb1ESQ_SR_ST_SU_SY_EESZ_S10_S11_S12_S16_S17_S18_S1B_S1C_jS1D_jS1E_S1E_jjS1G_bEUljE0_EEESZ_S10_S11_S18_S1C_S1E_T6_T7_T9_mT8_S1G_bDpT10_ENKUlT_T0_E_clISt17integral_constantIbLb1EES1T_IbLb0EEEEDaS1P_S1Q_EUlS1P_E_NS1_11comp_targetILNS1_3genE3ELNS1_11target_archE908ELNS1_3gpuE7ELNS1_3repE0EEENS1_30default_config_static_selectorELNS0_4arch9wavefront6targetE0EEEvS12_,"axG",@progbits,_ZN7rocprim17ROCPRIM_400000_NS6detail17trampoline_kernelINS0_13select_configILj256ELj13ELNS0_17block_load_methodE3ELS4_3ELS4_3ELNS0_20block_scan_algorithmE0ELj4294967295EEENS1_25partition_config_selectorILNS1_17partition_subalgoE4EjNS0_10empty_typeEbEEZZNS1_14partition_implILS8_4ELb0ES6_15HIP_vector_typeIjLj2EENS0_17counting_iteratorIjlEEPS9_SG_NS0_5tupleIJPjSI_NS0_16reverse_iteratorISI_EEEEENSH_IJSG_SG_SG_EEES9_SI_JZNS1_25segmented_radix_sort_implINS0_14default_configELb1EPKiPiPKlPlN2at6native12_GLOBAL__N_18offset_tEEE10hipError_tPvRmT1_PNSt15iterator_traitsIS12_E10value_typeET2_T3_PNS13_IS18_E10value_typeET4_jRbjT5_S1E_jjP12ihipStream_tbEUljE_ZNSN_ISO_Lb1ESQ_SR_ST_SU_SY_EESZ_S10_S11_S12_S16_S17_S18_S1B_S1C_jS1D_jS1E_S1E_jjS1G_bEUljE0_EEESZ_S10_S11_S18_S1C_S1E_T6_T7_T9_mT8_S1G_bDpT10_ENKUlT_T0_E_clISt17integral_constantIbLb1EES1T_IbLb0EEEEDaS1P_S1Q_EUlS1P_E_NS1_11comp_targetILNS1_3genE3ELNS1_11target_archE908ELNS1_3gpuE7ELNS1_3repE0EEENS1_30default_config_static_selectorELNS0_4arch9wavefront6targetE0EEEvS12_,comdat
.Lfunc_end452:
	.size	_ZN7rocprim17ROCPRIM_400000_NS6detail17trampoline_kernelINS0_13select_configILj256ELj13ELNS0_17block_load_methodE3ELS4_3ELS4_3ELNS0_20block_scan_algorithmE0ELj4294967295EEENS1_25partition_config_selectorILNS1_17partition_subalgoE4EjNS0_10empty_typeEbEEZZNS1_14partition_implILS8_4ELb0ES6_15HIP_vector_typeIjLj2EENS0_17counting_iteratorIjlEEPS9_SG_NS0_5tupleIJPjSI_NS0_16reverse_iteratorISI_EEEEENSH_IJSG_SG_SG_EEES9_SI_JZNS1_25segmented_radix_sort_implINS0_14default_configELb1EPKiPiPKlPlN2at6native12_GLOBAL__N_18offset_tEEE10hipError_tPvRmT1_PNSt15iterator_traitsIS12_E10value_typeET2_T3_PNS13_IS18_E10value_typeET4_jRbjT5_S1E_jjP12ihipStream_tbEUljE_ZNSN_ISO_Lb1ESQ_SR_ST_SU_SY_EESZ_S10_S11_S12_S16_S17_S18_S1B_S1C_jS1D_jS1E_S1E_jjS1G_bEUljE0_EEESZ_S10_S11_S18_S1C_S1E_T6_T7_T9_mT8_S1G_bDpT10_ENKUlT_T0_E_clISt17integral_constantIbLb1EES1T_IbLb0EEEEDaS1P_S1Q_EUlS1P_E_NS1_11comp_targetILNS1_3genE3ELNS1_11target_archE908ELNS1_3gpuE7ELNS1_3repE0EEENS1_30default_config_static_selectorELNS0_4arch9wavefront6targetE0EEEvS12_, .Lfunc_end452-_ZN7rocprim17ROCPRIM_400000_NS6detail17trampoline_kernelINS0_13select_configILj256ELj13ELNS0_17block_load_methodE3ELS4_3ELS4_3ELNS0_20block_scan_algorithmE0ELj4294967295EEENS1_25partition_config_selectorILNS1_17partition_subalgoE4EjNS0_10empty_typeEbEEZZNS1_14partition_implILS8_4ELb0ES6_15HIP_vector_typeIjLj2EENS0_17counting_iteratorIjlEEPS9_SG_NS0_5tupleIJPjSI_NS0_16reverse_iteratorISI_EEEEENSH_IJSG_SG_SG_EEES9_SI_JZNS1_25segmented_radix_sort_implINS0_14default_configELb1EPKiPiPKlPlN2at6native12_GLOBAL__N_18offset_tEEE10hipError_tPvRmT1_PNSt15iterator_traitsIS12_E10value_typeET2_T3_PNS13_IS18_E10value_typeET4_jRbjT5_S1E_jjP12ihipStream_tbEUljE_ZNSN_ISO_Lb1ESQ_SR_ST_SU_SY_EESZ_S10_S11_S12_S16_S17_S18_S1B_S1C_jS1D_jS1E_S1E_jjS1G_bEUljE0_EEESZ_S10_S11_S18_S1C_S1E_T6_T7_T9_mT8_S1G_bDpT10_ENKUlT_T0_E_clISt17integral_constantIbLb1EES1T_IbLb0EEEEDaS1P_S1Q_EUlS1P_E_NS1_11comp_targetILNS1_3genE3ELNS1_11target_archE908ELNS1_3gpuE7ELNS1_3repE0EEENS1_30default_config_static_selectorELNS0_4arch9wavefront6targetE0EEEvS12_
                                        ; -- End function
	.section	.AMDGPU.csdata,"",@progbits
; Kernel info:
; codeLenInByte = 0
; NumSgprs: 0
; NumVgprs: 0
; ScratchSize: 0
; MemoryBound: 0
; FloatMode: 240
; IeeeMode: 1
; LDSByteSize: 0 bytes/workgroup (compile time only)
; SGPRBlocks: 0
; VGPRBlocks: 0
; NumSGPRsForWavesPerEU: 1
; NumVGPRsForWavesPerEU: 1
; Occupancy: 16
; WaveLimiterHint : 0
; COMPUTE_PGM_RSRC2:SCRATCH_EN: 0
; COMPUTE_PGM_RSRC2:USER_SGPR: 15
; COMPUTE_PGM_RSRC2:TRAP_HANDLER: 0
; COMPUTE_PGM_RSRC2:TGID_X_EN: 1
; COMPUTE_PGM_RSRC2:TGID_Y_EN: 0
; COMPUTE_PGM_RSRC2:TGID_Z_EN: 0
; COMPUTE_PGM_RSRC2:TIDIG_COMP_CNT: 0
	.section	.text._ZN7rocprim17ROCPRIM_400000_NS6detail17trampoline_kernelINS0_13select_configILj256ELj13ELNS0_17block_load_methodE3ELS4_3ELS4_3ELNS0_20block_scan_algorithmE0ELj4294967295EEENS1_25partition_config_selectorILNS1_17partition_subalgoE4EjNS0_10empty_typeEbEEZZNS1_14partition_implILS8_4ELb0ES6_15HIP_vector_typeIjLj2EENS0_17counting_iteratorIjlEEPS9_SG_NS0_5tupleIJPjSI_NS0_16reverse_iteratorISI_EEEEENSH_IJSG_SG_SG_EEES9_SI_JZNS1_25segmented_radix_sort_implINS0_14default_configELb1EPKiPiPKlPlN2at6native12_GLOBAL__N_18offset_tEEE10hipError_tPvRmT1_PNSt15iterator_traitsIS12_E10value_typeET2_T3_PNS13_IS18_E10value_typeET4_jRbjT5_S1E_jjP12ihipStream_tbEUljE_ZNSN_ISO_Lb1ESQ_SR_ST_SU_SY_EESZ_S10_S11_S12_S16_S17_S18_S1B_S1C_jS1D_jS1E_S1E_jjS1G_bEUljE0_EEESZ_S10_S11_S18_S1C_S1E_T6_T7_T9_mT8_S1G_bDpT10_ENKUlT_T0_E_clISt17integral_constantIbLb1EES1T_IbLb0EEEEDaS1P_S1Q_EUlS1P_E_NS1_11comp_targetILNS1_3genE2ELNS1_11target_archE906ELNS1_3gpuE6ELNS1_3repE0EEENS1_30default_config_static_selectorELNS0_4arch9wavefront6targetE0EEEvS12_,"axG",@progbits,_ZN7rocprim17ROCPRIM_400000_NS6detail17trampoline_kernelINS0_13select_configILj256ELj13ELNS0_17block_load_methodE3ELS4_3ELS4_3ELNS0_20block_scan_algorithmE0ELj4294967295EEENS1_25partition_config_selectorILNS1_17partition_subalgoE4EjNS0_10empty_typeEbEEZZNS1_14partition_implILS8_4ELb0ES6_15HIP_vector_typeIjLj2EENS0_17counting_iteratorIjlEEPS9_SG_NS0_5tupleIJPjSI_NS0_16reverse_iteratorISI_EEEEENSH_IJSG_SG_SG_EEES9_SI_JZNS1_25segmented_radix_sort_implINS0_14default_configELb1EPKiPiPKlPlN2at6native12_GLOBAL__N_18offset_tEEE10hipError_tPvRmT1_PNSt15iterator_traitsIS12_E10value_typeET2_T3_PNS13_IS18_E10value_typeET4_jRbjT5_S1E_jjP12ihipStream_tbEUljE_ZNSN_ISO_Lb1ESQ_SR_ST_SU_SY_EESZ_S10_S11_S12_S16_S17_S18_S1B_S1C_jS1D_jS1E_S1E_jjS1G_bEUljE0_EEESZ_S10_S11_S18_S1C_S1E_T6_T7_T9_mT8_S1G_bDpT10_ENKUlT_T0_E_clISt17integral_constantIbLb1EES1T_IbLb0EEEEDaS1P_S1Q_EUlS1P_E_NS1_11comp_targetILNS1_3genE2ELNS1_11target_archE906ELNS1_3gpuE6ELNS1_3repE0EEENS1_30default_config_static_selectorELNS0_4arch9wavefront6targetE0EEEvS12_,comdat
	.globl	_ZN7rocprim17ROCPRIM_400000_NS6detail17trampoline_kernelINS0_13select_configILj256ELj13ELNS0_17block_load_methodE3ELS4_3ELS4_3ELNS0_20block_scan_algorithmE0ELj4294967295EEENS1_25partition_config_selectorILNS1_17partition_subalgoE4EjNS0_10empty_typeEbEEZZNS1_14partition_implILS8_4ELb0ES6_15HIP_vector_typeIjLj2EENS0_17counting_iteratorIjlEEPS9_SG_NS0_5tupleIJPjSI_NS0_16reverse_iteratorISI_EEEEENSH_IJSG_SG_SG_EEES9_SI_JZNS1_25segmented_radix_sort_implINS0_14default_configELb1EPKiPiPKlPlN2at6native12_GLOBAL__N_18offset_tEEE10hipError_tPvRmT1_PNSt15iterator_traitsIS12_E10value_typeET2_T3_PNS13_IS18_E10value_typeET4_jRbjT5_S1E_jjP12ihipStream_tbEUljE_ZNSN_ISO_Lb1ESQ_SR_ST_SU_SY_EESZ_S10_S11_S12_S16_S17_S18_S1B_S1C_jS1D_jS1E_S1E_jjS1G_bEUljE0_EEESZ_S10_S11_S18_S1C_S1E_T6_T7_T9_mT8_S1G_bDpT10_ENKUlT_T0_E_clISt17integral_constantIbLb1EES1T_IbLb0EEEEDaS1P_S1Q_EUlS1P_E_NS1_11comp_targetILNS1_3genE2ELNS1_11target_archE906ELNS1_3gpuE6ELNS1_3repE0EEENS1_30default_config_static_selectorELNS0_4arch9wavefront6targetE0EEEvS12_ ; -- Begin function _ZN7rocprim17ROCPRIM_400000_NS6detail17trampoline_kernelINS0_13select_configILj256ELj13ELNS0_17block_load_methodE3ELS4_3ELS4_3ELNS0_20block_scan_algorithmE0ELj4294967295EEENS1_25partition_config_selectorILNS1_17partition_subalgoE4EjNS0_10empty_typeEbEEZZNS1_14partition_implILS8_4ELb0ES6_15HIP_vector_typeIjLj2EENS0_17counting_iteratorIjlEEPS9_SG_NS0_5tupleIJPjSI_NS0_16reverse_iteratorISI_EEEEENSH_IJSG_SG_SG_EEES9_SI_JZNS1_25segmented_radix_sort_implINS0_14default_configELb1EPKiPiPKlPlN2at6native12_GLOBAL__N_18offset_tEEE10hipError_tPvRmT1_PNSt15iterator_traitsIS12_E10value_typeET2_T3_PNS13_IS18_E10value_typeET4_jRbjT5_S1E_jjP12ihipStream_tbEUljE_ZNSN_ISO_Lb1ESQ_SR_ST_SU_SY_EESZ_S10_S11_S12_S16_S17_S18_S1B_S1C_jS1D_jS1E_S1E_jjS1G_bEUljE0_EEESZ_S10_S11_S18_S1C_S1E_T6_T7_T9_mT8_S1G_bDpT10_ENKUlT_T0_E_clISt17integral_constantIbLb1EES1T_IbLb0EEEEDaS1P_S1Q_EUlS1P_E_NS1_11comp_targetILNS1_3genE2ELNS1_11target_archE906ELNS1_3gpuE6ELNS1_3repE0EEENS1_30default_config_static_selectorELNS0_4arch9wavefront6targetE0EEEvS12_
	.p2align	8
	.type	_ZN7rocprim17ROCPRIM_400000_NS6detail17trampoline_kernelINS0_13select_configILj256ELj13ELNS0_17block_load_methodE3ELS4_3ELS4_3ELNS0_20block_scan_algorithmE0ELj4294967295EEENS1_25partition_config_selectorILNS1_17partition_subalgoE4EjNS0_10empty_typeEbEEZZNS1_14partition_implILS8_4ELb0ES6_15HIP_vector_typeIjLj2EENS0_17counting_iteratorIjlEEPS9_SG_NS0_5tupleIJPjSI_NS0_16reverse_iteratorISI_EEEEENSH_IJSG_SG_SG_EEES9_SI_JZNS1_25segmented_radix_sort_implINS0_14default_configELb1EPKiPiPKlPlN2at6native12_GLOBAL__N_18offset_tEEE10hipError_tPvRmT1_PNSt15iterator_traitsIS12_E10value_typeET2_T3_PNS13_IS18_E10value_typeET4_jRbjT5_S1E_jjP12ihipStream_tbEUljE_ZNSN_ISO_Lb1ESQ_SR_ST_SU_SY_EESZ_S10_S11_S12_S16_S17_S18_S1B_S1C_jS1D_jS1E_S1E_jjS1G_bEUljE0_EEESZ_S10_S11_S18_S1C_S1E_T6_T7_T9_mT8_S1G_bDpT10_ENKUlT_T0_E_clISt17integral_constantIbLb1EES1T_IbLb0EEEEDaS1P_S1Q_EUlS1P_E_NS1_11comp_targetILNS1_3genE2ELNS1_11target_archE906ELNS1_3gpuE6ELNS1_3repE0EEENS1_30default_config_static_selectorELNS0_4arch9wavefront6targetE0EEEvS12_,@function
_ZN7rocprim17ROCPRIM_400000_NS6detail17trampoline_kernelINS0_13select_configILj256ELj13ELNS0_17block_load_methodE3ELS4_3ELS4_3ELNS0_20block_scan_algorithmE0ELj4294967295EEENS1_25partition_config_selectorILNS1_17partition_subalgoE4EjNS0_10empty_typeEbEEZZNS1_14partition_implILS8_4ELb0ES6_15HIP_vector_typeIjLj2EENS0_17counting_iteratorIjlEEPS9_SG_NS0_5tupleIJPjSI_NS0_16reverse_iteratorISI_EEEEENSH_IJSG_SG_SG_EEES9_SI_JZNS1_25segmented_radix_sort_implINS0_14default_configELb1EPKiPiPKlPlN2at6native12_GLOBAL__N_18offset_tEEE10hipError_tPvRmT1_PNSt15iterator_traitsIS12_E10value_typeET2_T3_PNS13_IS18_E10value_typeET4_jRbjT5_S1E_jjP12ihipStream_tbEUljE_ZNSN_ISO_Lb1ESQ_SR_ST_SU_SY_EESZ_S10_S11_S12_S16_S17_S18_S1B_S1C_jS1D_jS1E_S1E_jjS1G_bEUljE0_EEESZ_S10_S11_S18_S1C_S1E_T6_T7_T9_mT8_S1G_bDpT10_ENKUlT_T0_E_clISt17integral_constantIbLb1EES1T_IbLb0EEEEDaS1P_S1Q_EUlS1P_E_NS1_11comp_targetILNS1_3genE2ELNS1_11target_archE906ELNS1_3gpuE6ELNS1_3repE0EEENS1_30default_config_static_selectorELNS0_4arch9wavefront6targetE0EEEvS12_: ; @_ZN7rocprim17ROCPRIM_400000_NS6detail17trampoline_kernelINS0_13select_configILj256ELj13ELNS0_17block_load_methodE3ELS4_3ELS4_3ELNS0_20block_scan_algorithmE0ELj4294967295EEENS1_25partition_config_selectorILNS1_17partition_subalgoE4EjNS0_10empty_typeEbEEZZNS1_14partition_implILS8_4ELb0ES6_15HIP_vector_typeIjLj2EENS0_17counting_iteratorIjlEEPS9_SG_NS0_5tupleIJPjSI_NS0_16reverse_iteratorISI_EEEEENSH_IJSG_SG_SG_EEES9_SI_JZNS1_25segmented_radix_sort_implINS0_14default_configELb1EPKiPiPKlPlN2at6native12_GLOBAL__N_18offset_tEEE10hipError_tPvRmT1_PNSt15iterator_traitsIS12_E10value_typeET2_T3_PNS13_IS18_E10value_typeET4_jRbjT5_S1E_jjP12ihipStream_tbEUljE_ZNSN_ISO_Lb1ESQ_SR_ST_SU_SY_EESZ_S10_S11_S12_S16_S17_S18_S1B_S1C_jS1D_jS1E_S1E_jjS1G_bEUljE0_EEESZ_S10_S11_S18_S1C_S1E_T6_T7_T9_mT8_S1G_bDpT10_ENKUlT_T0_E_clISt17integral_constantIbLb1EES1T_IbLb0EEEEDaS1P_S1Q_EUlS1P_E_NS1_11comp_targetILNS1_3genE2ELNS1_11target_archE906ELNS1_3gpuE6ELNS1_3repE0EEENS1_30default_config_static_selectorELNS0_4arch9wavefront6targetE0EEEvS12_
; %bb.0:
	.section	.rodata,"a",@progbits
	.p2align	6, 0x0
	.amdhsa_kernel _ZN7rocprim17ROCPRIM_400000_NS6detail17trampoline_kernelINS0_13select_configILj256ELj13ELNS0_17block_load_methodE3ELS4_3ELS4_3ELNS0_20block_scan_algorithmE0ELj4294967295EEENS1_25partition_config_selectorILNS1_17partition_subalgoE4EjNS0_10empty_typeEbEEZZNS1_14partition_implILS8_4ELb0ES6_15HIP_vector_typeIjLj2EENS0_17counting_iteratorIjlEEPS9_SG_NS0_5tupleIJPjSI_NS0_16reverse_iteratorISI_EEEEENSH_IJSG_SG_SG_EEES9_SI_JZNS1_25segmented_radix_sort_implINS0_14default_configELb1EPKiPiPKlPlN2at6native12_GLOBAL__N_18offset_tEEE10hipError_tPvRmT1_PNSt15iterator_traitsIS12_E10value_typeET2_T3_PNS13_IS18_E10value_typeET4_jRbjT5_S1E_jjP12ihipStream_tbEUljE_ZNSN_ISO_Lb1ESQ_SR_ST_SU_SY_EESZ_S10_S11_S12_S16_S17_S18_S1B_S1C_jS1D_jS1E_S1E_jjS1G_bEUljE0_EEESZ_S10_S11_S18_S1C_S1E_T6_T7_T9_mT8_S1G_bDpT10_ENKUlT_T0_E_clISt17integral_constantIbLb1EES1T_IbLb0EEEEDaS1P_S1Q_EUlS1P_E_NS1_11comp_targetILNS1_3genE2ELNS1_11target_archE906ELNS1_3gpuE6ELNS1_3repE0EEENS1_30default_config_static_selectorELNS0_4arch9wavefront6targetE0EEEvS12_
		.amdhsa_group_segment_fixed_size 0
		.amdhsa_private_segment_fixed_size 0
		.amdhsa_kernarg_size 176
		.amdhsa_user_sgpr_count 15
		.amdhsa_user_sgpr_dispatch_ptr 0
		.amdhsa_user_sgpr_queue_ptr 0
		.amdhsa_user_sgpr_kernarg_segment_ptr 1
		.amdhsa_user_sgpr_dispatch_id 0
		.amdhsa_user_sgpr_private_segment_size 0
		.amdhsa_wavefront_size32 1
		.amdhsa_uses_dynamic_stack 0
		.amdhsa_enable_private_segment 0
		.amdhsa_system_sgpr_workgroup_id_x 1
		.amdhsa_system_sgpr_workgroup_id_y 0
		.amdhsa_system_sgpr_workgroup_id_z 0
		.amdhsa_system_sgpr_workgroup_info 0
		.amdhsa_system_vgpr_workitem_id 0
		.amdhsa_next_free_vgpr 1
		.amdhsa_next_free_sgpr 1
		.amdhsa_reserve_vcc 0
		.amdhsa_float_round_mode_32 0
		.amdhsa_float_round_mode_16_64 0
		.amdhsa_float_denorm_mode_32 3
		.amdhsa_float_denorm_mode_16_64 3
		.amdhsa_dx10_clamp 1
		.amdhsa_ieee_mode 1
		.amdhsa_fp16_overflow 0
		.amdhsa_workgroup_processor_mode 1
		.amdhsa_memory_ordered 1
		.amdhsa_forward_progress 0
		.amdhsa_shared_vgpr_count 0
		.amdhsa_exception_fp_ieee_invalid_op 0
		.amdhsa_exception_fp_denorm_src 0
		.amdhsa_exception_fp_ieee_div_zero 0
		.amdhsa_exception_fp_ieee_overflow 0
		.amdhsa_exception_fp_ieee_underflow 0
		.amdhsa_exception_fp_ieee_inexact 0
		.amdhsa_exception_int_div_zero 0
	.end_amdhsa_kernel
	.section	.text._ZN7rocprim17ROCPRIM_400000_NS6detail17trampoline_kernelINS0_13select_configILj256ELj13ELNS0_17block_load_methodE3ELS4_3ELS4_3ELNS0_20block_scan_algorithmE0ELj4294967295EEENS1_25partition_config_selectorILNS1_17partition_subalgoE4EjNS0_10empty_typeEbEEZZNS1_14partition_implILS8_4ELb0ES6_15HIP_vector_typeIjLj2EENS0_17counting_iteratorIjlEEPS9_SG_NS0_5tupleIJPjSI_NS0_16reverse_iteratorISI_EEEEENSH_IJSG_SG_SG_EEES9_SI_JZNS1_25segmented_radix_sort_implINS0_14default_configELb1EPKiPiPKlPlN2at6native12_GLOBAL__N_18offset_tEEE10hipError_tPvRmT1_PNSt15iterator_traitsIS12_E10value_typeET2_T3_PNS13_IS18_E10value_typeET4_jRbjT5_S1E_jjP12ihipStream_tbEUljE_ZNSN_ISO_Lb1ESQ_SR_ST_SU_SY_EESZ_S10_S11_S12_S16_S17_S18_S1B_S1C_jS1D_jS1E_S1E_jjS1G_bEUljE0_EEESZ_S10_S11_S18_S1C_S1E_T6_T7_T9_mT8_S1G_bDpT10_ENKUlT_T0_E_clISt17integral_constantIbLb1EES1T_IbLb0EEEEDaS1P_S1Q_EUlS1P_E_NS1_11comp_targetILNS1_3genE2ELNS1_11target_archE906ELNS1_3gpuE6ELNS1_3repE0EEENS1_30default_config_static_selectorELNS0_4arch9wavefront6targetE0EEEvS12_,"axG",@progbits,_ZN7rocprim17ROCPRIM_400000_NS6detail17trampoline_kernelINS0_13select_configILj256ELj13ELNS0_17block_load_methodE3ELS4_3ELS4_3ELNS0_20block_scan_algorithmE0ELj4294967295EEENS1_25partition_config_selectorILNS1_17partition_subalgoE4EjNS0_10empty_typeEbEEZZNS1_14partition_implILS8_4ELb0ES6_15HIP_vector_typeIjLj2EENS0_17counting_iteratorIjlEEPS9_SG_NS0_5tupleIJPjSI_NS0_16reverse_iteratorISI_EEEEENSH_IJSG_SG_SG_EEES9_SI_JZNS1_25segmented_radix_sort_implINS0_14default_configELb1EPKiPiPKlPlN2at6native12_GLOBAL__N_18offset_tEEE10hipError_tPvRmT1_PNSt15iterator_traitsIS12_E10value_typeET2_T3_PNS13_IS18_E10value_typeET4_jRbjT5_S1E_jjP12ihipStream_tbEUljE_ZNSN_ISO_Lb1ESQ_SR_ST_SU_SY_EESZ_S10_S11_S12_S16_S17_S18_S1B_S1C_jS1D_jS1E_S1E_jjS1G_bEUljE0_EEESZ_S10_S11_S18_S1C_S1E_T6_T7_T9_mT8_S1G_bDpT10_ENKUlT_T0_E_clISt17integral_constantIbLb1EES1T_IbLb0EEEEDaS1P_S1Q_EUlS1P_E_NS1_11comp_targetILNS1_3genE2ELNS1_11target_archE906ELNS1_3gpuE6ELNS1_3repE0EEENS1_30default_config_static_selectorELNS0_4arch9wavefront6targetE0EEEvS12_,comdat
.Lfunc_end453:
	.size	_ZN7rocprim17ROCPRIM_400000_NS6detail17trampoline_kernelINS0_13select_configILj256ELj13ELNS0_17block_load_methodE3ELS4_3ELS4_3ELNS0_20block_scan_algorithmE0ELj4294967295EEENS1_25partition_config_selectorILNS1_17partition_subalgoE4EjNS0_10empty_typeEbEEZZNS1_14partition_implILS8_4ELb0ES6_15HIP_vector_typeIjLj2EENS0_17counting_iteratorIjlEEPS9_SG_NS0_5tupleIJPjSI_NS0_16reverse_iteratorISI_EEEEENSH_IJSG_SG_SG_EEES9_SI_JZNS1_25segmented_radix_sort_implINS0_14default_configELb1EPKiPiPKlPlN2at6native12_GLOBAL__N_18offset_tEEE10hipError_tPvRmT1_PNSt15iterator_traitsIS12_E10value_typeET2_T3_PNS13_IS18_E10value_typeET4_jRbjT5_S1E_jjP12ihipStream_tbEUljE_ZNSN_ISO_Lb1ESQ_SR_ST_SU_SY_EESZ_S10_S11_S12_S16_S17_S18_S1B_S1C_jS1D_jS1E_S1E_jjS1G_bEUljE0_EEESZ_S10_S11_S18_S1C_S1E_T6_T7_T9_mT8_S1G_bDpT10_ENKUlT_T0_E_clISt17integral_constantIbLb1EES1T_IbLb0EEEEDaS1P_S1Q_EUlS1P_E_NS1_11comp_targetILNS1_3genE2ELNS1_11target_archE906ELNS1_3gpuE6ELNS1_3repE0EEENS1_30default_config_static_selectorELNS0_4arch9wavefront6targetE0EEEvS12_, .Lfunc_end453-_ZN7rocprim17ROCPRIM_400000_NS6detail17trampoline_kernelINS0_13select_configILj256ELj13ELNS0_17block_load_methodE3ELS4_3ELS4_3ELNS0_20block_scan_algorithmE0ELj4294967295EEENS1_25partition_config_selectorILNS1_17partition_subalgoE4EjNS0_10empty_typeEbEEZZNS1_14partition_implILS8_4ELb0ES6_15HIP_vector_typeIjLj2EENS0_17counting_iteratorIjlEEPS9_SG_NS0_5tupleIJPjSI_NS0_16reverse_iteratorISI_EEEEENSH_IJSG_SG_SG_EEES9_SI_JZNS1_25segmented_radix_sort_implINS0_14default_configELb1EPKiPiPKlPlN2at6native12_GLOBAL__N_18offset_tEEE10hipError_tPvRmT1_PNSt15iterator_traitsIS12_E10value_typeET2_T3_PNS13_IS18_E10value_typeET4_jRbjT5_S1E_jjP12ihipStream_tbEUljE_ZNSN_ISO_Lb1ESQ_SR_ST_SU_SY_EESZ_S10_S11_S12_S16_S17_S18_S1B_S1C_jS1D_jS1E_S1E_jjS1G_bEUljE0_EEESZ_S10_S11_S18_S1C_S1E_T6_T7_T9_mT8_S1G_bDpT10_ENKUlT_T0_E_clISt17integral_constantIbLb1EES1T_IbLb0EEEEDaS1P_S1Q_EUlS1P_E_NS1_11comp_targetILNS1_3genE2ELNS1_11target_archE906ELNS1_3gpuE6ELNS1_3repE0EEENS1_30default_config_static_selectorELNS0_4arch9wavefront6targetE0EEEvS12_
                                        ; -- End function
	.section	.AMDGPU.csdata,"",@progbits
; Kernel info:
; codeLenInByte = 0
; NumSgprs: 0
; NumVgprs: 0
; ScratchSize: 0
; MemoryBound: 0
; FloatMode: 240
; IeeeMode: 1
; LDSByteSize: 0 bytes/workgroup (compile time only)
; SGPRBlocks: 0
; VGPRBlocks: 0
; NumSGPRsForWavesPerEU: 1
; NumVGPRsForWavesPerEU: 1
; Occupancy: 16
; WaveLimiterHint : 0
; COMPUTE_PGM_RSRC2:SCRATCH_EN: 0
; COMPUTE_PGM_RSRC2:USER_SGPR: 15
; COMPUTE_PGM_RSRC2:TRAP_HANDLER: 0
; COMPUTE_PGM_RSRC2:TGID_X_EN: 1
; COMPUTE_PGM_RSRC2:TGID_Y_EN: 0
; COMPUTE_PGM_RSRC2:TGID_Z_EN: 0
; COMPUTE_PGM_RSRC2:TIDIG_COMP_CNT: 0
	.section	.text._ZN7rocprim17ROCPRIM_400000_NS6detail17trampoline_kernelINS0_13select_configILj256ELj13ELNS0_17block_load_methodE3ELS4_3ELS4_3ELNS0_20block_scan_algorithmE0ELj4294967295EEENS1_25partition_config_selectorILNS1_17partition_subalgoE4EjNS0_10empty_typeEbEEZZNS1_14partition_implILS8_4ELb0ES6_15HIP_vector_typeIjLj2EENS0_17counting_iteratorIjlEEPS9_SG_NS0_5tupleIJPjSI_NS0_16reverse_iteratorISI_EEEEENSH_IJSG_SG_SG_EEES9_SI_JZNS1_25segmented_radix_sort_implINS0_14default_configELb1EPKiPiPKlPlN2at6native12_GLOBAL__N_18offset_tEEE10hipError_tPvRmT1_PNSt15iterator_traitsIS12_E10value_typeET2_T3_PNS13_IS18_E10value_typeET4_jRbjT5_S1E_jjP12ihipStream_tbEUljE_ZNSN_ISO_Lb1ESQ_SR_ST_SU_SY_EESZ_S10_S11_S12_S16_S17_S18_S1B_S1C_jS1D_jS1E_S1E_jjS1G_bEUljE0_EEESZ_S10_S11_S18_S1C_S1E_T6_T7_T9_mT8_S1G_bDpT10_ENKUlT_T0_E_clISt17integral_constantIbLb1EES1T_IbLb0EEEEDaS1P_S1Q_EUlS1P_E_NS1_11comp_targetILNS1_3genE10ELNS1_11target_archE1200ELNS1_3gpuE4ELNS1_3repE0EEENS1_30default_config_static_selectorELNS0_4arch9wavefront6targetE0EEEvS12_,"axG",@progbits,_ZN7rocprim17ROCPRIM_400000_NS6detail17trampoline_kernelINS0_13select_configILj256ELj13ELNS0_17block_load_methodE3ELS4_3ELS4_3ELNS0_20block_scan_algorithmE0ELj4294967295EEENS1_25partition_config_selectorILNS1_17partition_subalgoE4EjNS0_10empty_typeEbEEZZNS1_14partition_implILS8_4ELb0ES6_15HIP_vector_typeIjLj2EENS0_17counting_iteratorIjlEEPS9_SG_NS0_5tupleIJPjSI_NS0_16reverse_iteratorISI_EEEEENSH_IJSG_SG_SG_EEES9_SI_JZNS1_25segmented_radix_sort_implINS0_14default_configELb1EPKiPiPKlPlN2at6native12_GLOBAL__N_18offset_tEEE10hipError_tPvRmT1_PNSt15iterator_traitsIS12_E10value_typeET2_T3_PNS13_IS18_E10value_typeET4_jRbjT5_S1E_jjP12ihipStream_tbEUljE_ZNSN_ISO_Lb1ESQ_SR_ST_SU_SY_EESZ_S10_S11_S12_S16_S17_S18_S1B_S1C_jS1D_jS1E_S1E_jjS1G_bEUljE0_EEESZ_S10_S11_S18_S1C_S1E_T6_T7_T9_mT8_S1G_bDpT10_ENKUlT_T0_E_clISt17integral_constantIbLb1EES1T_IbLb0EEEEDaS1P_S1Q_EUlS1P_E_NS1_11comp_targetILNS1_3genE10ELNS1_11target_archE1200ELNS1_3gpuE4ELNS1_3repE0EEENS1_30default_config_static_selectorELNS0_4arch9wavefront6targetE0EEEvS12_,comdat
	.globl	_ZN7rocprim17ROCPRIM_400000_NS6detail17trampoline_kernelINS0_13select_configILj256ELj13ELNS0_17block_load_methodE3ELS4_3ELS4_3ELNS0_20block_scan_algorithmE0ELj4294967295EEENS1_25partition_config_selectorILNS1_17partition_subalgoE4EjNS0_10empty_typeEbEEZZNS1_14partition_implILS8_4ELb0ES6_15HIP_vector_typeIjLj2EENS0_17counting_iteratorIjlEEPS9_SG_NS0_5tupleIJPjSI_NS0_16reverse_iteratorISI_EEEEENSH_IJSG_SG_SG_EEES9_SI_JZNS1_25segmented_radix_sort_implINS0_14default_configELb1EPKiPiPKlPlN2at6native12_GLOBAL__N_18offset_tEEE10hipError_tPvRmT1_PNSt15iterator_traitsIS12_E10value_typeET2_T3_PNS13_IS18_E10value_typeET4_jRbjT5_S1E_jjP12ihipStream_tbEUljE_ZNSN_ISO_Lb1ESQ_SR_ST_SU_SY_EESZ_S10_S11_S12_S16_S17_S18_S1B_S1C_jS1D_jS1E_S1E_jjS1G_bEUljE0_EEESZ_S10_S11_S18_S1C_S1E_T6_T7_T9_mT8_S1G_bDpT10_ENKUlT_T0_E_clISt17integral_constantIbLb1EES1T_IbLb0EEEEDaS1P_S1Q_EUlS1P_E_NS1_11comp_targetILNS1_3genE10ELNS1_11target_archE1200ELNS1_3gpuE4ELNS1_3repE0EEENS1_30default_config_static_selectorELNS0_4arch9wavefront6targetE0EEEvS12_ ; -- Begin function _ZN7rocprim17ROCPRIM_400000_NS6detail17trampoline_kernelINS0_13select_configILj256ELj13ELNS0_17block_load_methodE3ELS4_3ELS4_3ELNS0_20block_scan_algorithmE0ELj4294967295EEENS1_25partition_config_selectorILNS1_17partition_subalgoE4EjNS0_10empty_typeEbEEZZNS1_14partition_implILS8_4ELb0ES6_15HIP_vector_typeIjLj2EENS0_17counting_iteratorIjlEEPS9_SG_NS0_5tupleIJPjSI_NS0_16reverse_iteratorISI_EEEEENSH_IJSG_SG_SG_EEES9_SI_JZNS1_25segmented_radix_sort_implINS0_14default_configELb1EPKiPiPKlPlN2at6native12_GLOBAL__N_18offset_tEEE10hipError_tPvRmT1_PNSt15iterator_traitsIS12_E10value_typeET2_T3_PNS13_IS18_E10value_typeET4_jRbjT5_S1E_jjP12ihipStream_tbEUljE_ZNSN_ISO_Lb1ESQ_SR_ST_SU_SY_EESZ_S10_S11_S12_S16_S17_S18_S1B_S1C_jS1D_jS1E_S1E_jjS1G_bEUljE0_EEESZ_S10_S11_S18_S1C_S1E_T6_T7_T9_mT8_S1G_bDpT10_ENKUlT_T0_E_clISt17integral_constantIbLb1EES1T_IbLb0EEEEDaS1P_S1Q_EUlS1P_E_NS1_11comp_targetILNS1_3genE10ELNS1_11target_archE1200ELNS1_3gpuE4ELNS1_3repE0EEENS1_30default_config_static_selectorELNS0_4arch9wavefront6targetE0EEEvS12_
	.p2align	8
	.type	_ZN7rocprim17ROCPRIM_400000_NS6detail17trampoline_kernelINS0_13select_configILj256ELj13ELNS0_17block_load_methodE3ELS4_3ELS4_3ELNS0_20block_scan_algorithmE0ELj4294967295EEENS1_25partition_config_selectorILNS1_17partition_subalgoE4EjNS0_10empty_typeEbEEZZNS1_14partition_implILS8_4ELb0ES6_15HIP_vector_typeIjLj2EENS0_17counting_iteratorIjlEEPS9_SG_NS0_5tupleIJPjSI_NS0_16reverse_iteratorISI_EEEEENSH_IJSG_SG_SG_EEES9_SI_JZNS1_25segmented_radix_sort_implINS0_14default_configELb1EPKiPiPKlPlN2at6native12_GLOBAL__N_18offset_tEEE10hipError_tPvRmT1_PNSt15iterator_traitsIS12_E10value_typeET2_T3_PNS13_IS18_E10value_typeET4_jRbjT5_S1E_jjP12ihipStream_tbEUljE_ZNSN_ISO_Lb1ESQ_SR_ST_SU_SY_EESZ_S10_S11_S12_S16_S17_S18_S1B_S1C_jS1D_jS1E_S1E_jjS1G_bEUljE0_EEESZ_S10_S11_S18_S1C_S1E_T6_T7_T9_mT8_S1G_bDpT10_ENKUlT_T0_E_clISt17integral_constantIbLb1EES1T_IbLb0EEEEDaS1P_S1Q_EUlS1P_E_NS1_11comp_targetILNS1_3genE10ELNS1_11target_archE1200ELNS1_3gpuE4ELNS1_3repE0EEENS1_30default_config_static_selectorELNS0_4arch9wavefront6targetE0EEEvS12_,@function
_ZN7rocprim17ROCPRIM_400000_NS6detail17trampoline_kernelINS0_13select_configILj256ELj13ELNS0_17block_load_methodE3ELS4_3ELS4_3ELNS0_20block_scan_algorithmE0ELj4294967295EEENS1_25partition_config_selectorILNS1_17partition_subalgoE4EjNS0_10empty_typeEbEEZZNS1_14partition_implILS8_4ELb0ES6_15HIP_vector_typeIjLj2EENS0_17counting_iteratorIjlEEPS9_SG_NS0_5tupleIJPjSI_NS0_16reverse_iteratorISI_EEEEENSH_IJSG_SG_SG_EEES9_SI_JZNS1_25segmented_radix_sort_implINS0_14default_configELb1EPKiPiPKlPlN2at6native12_GLOBAL__N_18offset_tEEE10hipError_tPvRmT1_PNSt15iterator_traitsIS12_E10value_typeET2_T3_PNS13_IS18_E10value_typeET4_jRbjT5_S1E_jjP12ihipStream_tbEUljE_ZNSN_ISO_Lb1ESQ_SR_ST_SU_SY_EESZ_S10_S11_S12_S16_S17_S18_S1B_S1C_jS1D_jS1E_S1E_jjS1G_bEUljE0_EEESZ_S10_S11_S18_S1C_S1E_T6_T7_T9_mT8_S1G_bDpT10_ENKUlT_T0_E_clISt17integral_constantIbLb1EES1T_IbLb0EEEEDaS1P_S1Q_EUlS1P_E_NS1_11comp_targetILNS1_3genE10ELNS1_11target_archE1200ELNS1_3gpuE4ELNS1_3repE0EEENS1_30default_config_static_selectorELNS0_4arch9wavefront6targetE0EEEvS12_: ; @_ZN7rocprim17ROCPRIM_400000_NS6detail17trampoline_kernelINS0_13select_configILj256ELj13ELNS0_17block_load_methodE3ELS4_3ELS4_3ELNS0_20block_scan_algorithmE0ELj4294967295EEENS1_25partition_config_selectorILNS1_17partition_subalgoE4EjNS0_10empty_typeEbEEZZNS1_14partition_implILS8_4ELb0ES6_15HIP_vector_typeIjLj2EENS0_17counting_iteratorIjlEEPS9_SG_NS0_5tupleIJPjSI_NS0_16reverse_iteratorISI_EEEEENSH_IJSG_SG_SG_EEES9_SI_JZNS1_25segmented_radix_sort_implINS0_14default_configELb1EPKiPiPKlPlN2at6native12_GLOBAL__N_18offset_tEEE10hipError_tPvRmT1_PNSt15iterator_traitsIS12_E10value_typeET2_T3_PNS13_IS18_E10value_typeET4_jRbjT5_S1E_jjP12ihipStream_tbEUljE_ZNSN_ISO_Lb1ESQ_SR_ST_SU_SY_EESZ_S10_S11_S12_S16_S17_S18_S1B_S1C_jS1D_jS1E_S1E_jjS1G_bEUljE0_EEESZ_S10_S11_S18_S1C_S1E_T6_T7_T9_mT8_S1G_bDpT10_ENKUlT_T0_E_clISt17integral_constantIbLb1EES1T_IbLb0EEEEDaS1P_S1Q_EUlS1P_E_NS1_11comp_targetILNS1_3genE10ELNS1_11target_archE1200ELNS1_3gpuE4ELNS1_3repE0EEENS1_30default_config_static_selectorELNS0_4arch9wavefront6targetE0EEEvS12_
; %bb.0:
	.section	.rodata,"a",@progbits
	.p2align	6, 0x0
	.amdhsa_kernel _ZN7rocprim17ROCPRIM_400000_NS6detail17trampoline_kernelINS0_13select_configILj256ELj13ELNS0_17block_load_methodE3ELS4_3ELS4_3ELNS0_20block_scan_algorithmE0ELj4294967295EEENS1_25partition_config_selectorILNS1_17partition_subalgoE4EjNS0_10empty_typeEbEEZZNS1_14partition_implILS8_4ELb0ES6_15HIP_vector_typeIjLj2EENS0_17counting_iteratorIjlEEPS9_SG_NS0_5tupleIJPjSI_NS0_16reverse_iteratorISI_EEEEENSH_IJSG_SG_SG_EEES9_SI_JZNS1_25segmented_radix_sort_implINS0_14default_configELb1EPKiPiPKlPlN2at6native12_GLOBAL__N_18offset_tEEE10hipError_tPvRmT1_PNSt15iterator_traitsIS12_E10value_typeET2_T3_PNS13_IS18_E10value_typeET4_jRbjT5_S1E_jjP12ihipStream_tbEUljE_ZNSN_ISO_Lb1ESQ_SR_ST_SU_SY_EESZ_S10_S11_S12_S16_S17_S18_S1B_S1C_jS1D_jS1E_S1E_jjS1G_bEUljE0_EEESZ_S10_S11_S18_S1C_S1E_T6_T7_T9_mT8_S1G_bDpT10_ENKUlT_T0_E_clISt17integral_constantIbLb1EES1T_IbLb0EEEEDaS1P_S1Q_EUlS1P_E_NS1_11comp_targetILNS1_3genE10ELNS1_11target_archE1200ELNS1_3gpuE4ELNS1_3repE0EEENS1_30default_config_static_selectorELNS0_4arch9wavefront6targetE0EEEvS12_
		.amdhsa_group_segment_fixed_size 0
		.amdhsa_private_segment_fixed_size 0
		.amdhsa_kernarg_size 176
		.amdhsa_user_sgpr_count 15
		.amdhsa_user_sgpr_dispatch_ptr 0
		.amdhsa_user_sgpr_queue_ptr 0
		.amdhsa_user_sgpr_kernarg_segment_ptr 1
		.amdhsa_user_sgpr_dispatch_id 0
		.amdhsa_user_sgpr_private_segment_size 0
		.amdhsa_wavefront_size32 1
		.amdhsa_uses_dynamic_stack 0
		.amdhsa_enable_private_segment 0
		.amdhsa_system_sgpr_workgroup_id_x 1
		.amdhsa_system_sgpr_workgroup_id_y 0
		.amdhsa_system_sgpr_workgroup_id_z 0
		.amdhsa_system_sgpr_workgroup_info 0
		.amdhsa_system_vgpr_workitem_id 0
		.amdhsa_next_free_vgpr 1
		.amdhsa_next_free_sgpr 1
		.amdhsa_reserve_vcc 0
		.amdhsa_float_round_mode_32 0
		.amdhsa_float_round_mode_16_64 0
		.amdhsa_float_denorm_mode_32 3
		.amdhsa_float_denorm_mode_16_64 3
		.amdhsa_dx10_clamp 1
		.amdhsa_ieee_mode 1
		.amdhsa_fp16_overflow 0
		.amdhsa_workgroup_processor_mode 1
		.amdhsa_memory_ordered 1
		.amdhsa_forward_progress 0
		.amdhsa_shared_vgpr_count 0
		.amdhsa_exception_fp_ieee_invalid_op 0
		.amdhsa_exception_fp_denorm_src 0
		.amdhsa_exception_fp_ieee_div_zero 0
		.amdhsa_exception_fp_ieee_overflow 0
		.amdhsa_exception_fp_ieee_underflow 0
		.amdhsa_exception_fp_ieee_inexact 0
		.amdhsa_exception_int_div_zero 0
	.end_amdhsa_kernel
	.section	.text._ZN7rocprim17ROCPRIM_400000_NS6detail17trampoline_kernelINS0_13select_configILj256ELj13ELNS0_17block_load_methodE3ELS4_3ELS4_3ELNS0_20block_scan_algorithmE0ELj4294967295EEENS1_25partition_config_selectorILNS1_17partition_subalgoE4EjNS0_10empty_typeEbEEZZNS1_14partition_implILS8_4ELb0ES6_15HIP_vector_typeIjLj2EENS0_17counting_iteratorIjlEEPS9_SG_NS0_5tupleIJPjSI_NS0_16reverse_iteratorISI_EEEEENSH_IJSG_SG_SG_EEES9_SI_JZNS1_25segmented_radix_sort_implINS0_14default_configELb1EPKiPiPKlPlN2at6native12_GLOBAL__N_18offset_tEEE10hipError_tPvRmT1_PNSt15iterator_traitsIS12_E10value_typeET2_T3_PNS13_IS18_E10value_typeET4_jRbjT5_S1E_jjP12ihipStream_tbEUljE_ZNSN_ISO_Lb1ESQ_SR_ST_SU_SY_EESZ_S10_S11_S12_S16_S17_S18_S1B_S1C_jS1D_jS1E_S1E_jjS1G_bEUljE0_EEESZ_S10_S11_S18_S1C_S1E_T6_T7_T9_mT8_S1G_bDpT10_ENKUlT_T0_E_clISt17integral_constantIbLb1EES1T_IbLb0EEEEDaS1P_S1Q_EUlS1P_E_NS1_11comp_targetILNS1_3genE10ELNS1_11target_archE1200ELNS1_3gpuE4ELNS1_3repE0EEENS1_30default_config_static_selectorELNS0_4arch9wavefront6targetE0EEEvS12_,"axG",@progbits,_ZN7rocprim17ROCPRIM_400000_NS6detail17trampoline_kernelINS0_13select_configILj256ELj13ELNS0_17block_load_methodE3ELS4_3ELS4_3ELNS0_20block_scan_algorithmE0ELj4294967295EEENS1_25partition_config_selectorILNS1_17partition_subalgoE4EjNS0_10empty_typeEbEEZZNS1_14partition_implILS8_4ELb0ES6_15HIP_vector_typeIjLj2EENS0_17counting_iteratorIjlEEPS9_SG_NS0_5tupleIJPjSI_NS0_16reverse_iteratorISI_EEEEENSH_IJSG_SG_SG_EEES9_SI_JZNS1_25segmented_radix_sort_implINS0_14default_configELb1EPKiPiPKlPlN2at6native12_GLOBAL__N_18offset_tEEE10hipError_tPvRmT1_PNSt15iterator_traitsIS12_E10value_typeET2_T3_PNS13_IS18_E10value_typeET4_jRbjT5_S1E_jjP12ihipStream_tbEUljE_ZNSN_ISO_Lb1ESQ_SR_ST_SU_SY_EESZ_S10_S11_S12_S16_S17_S18_S1B_S1C_jS1D_jS1E_S1E_jjS1G_bEUljE0_EEESZ_S10_S11_S18_S1C_S1E_T6_T7_T9_mT8_S1G_bDpT10_ENKUlT_T0_E_clISt17integral_constantIbLb1EES1T_IbLb0EEEEDaS1P_S1Q_EUlS1P_E_NS1_11comp_targetILNS1_3genE10ELNS1_11target_archE1200ELNS1_3gpuE4ELNS1_3repE0EEENS1_30default_config_static_selectorELNS0_4arch9wavefront6targetE0EEEvS12_,comdat
.Lfunc_end454:
	.size	_ZN7rocprim17ROCPRIM_400000_NS6detail17trampoline_kernelINS0_13select_configILj256ELj13ELNS0_17block_load_methodE3ELS4_3ELS4_3ELNS0_20block_scan_algorithmE0ELj4294967295EEENS1_25partition_config_selectorILNS1_17partition_subalgoE4EjNS0_10empty_typeEbEEZZNS1_14partition_implILS8_4ELb0ES6_15HIP_vector_typeIjLj2EENS0_17counting_iteratorIjlEEPS9_SG_NS0_5tupleIJPjSI_NS0_16reverse_iteratorISI_EEEEENSH_IJSG_SG_SG_EEES9_SI_JZNS1_25segmented_radix_sort_implINS0_14default_configELb1EPKiPiPKlPlN2at6native12_GLOBAL__N_18offset_tEEE10hipError_tPvRmT1_PNSt15iterator_traitsIS12_E10value_typeET2_T3_PNS13_IS18_E10value_typeET4_jRbjT5_S1E_jjP12ihipStream_tbEUljE_ZNSN_ISO_Lb1ESQ_SR_ST_SU_SY_EESZ_S10_S11_S12_S16_S17_S18_S1B_S1C_jS1D_jS1E_S1E_jjS1G_bEUljE0_EEESZ_S10_S11_S18_S1C_S1E_T6_T7_T9_mT8_S1G_bDpT10_ENKUlT_T0_E_clISt17integral_constantIbLb1EES1T_IbLb0EEEEDaS1P_S1Q_EUlS1P_E_NS1_11comp_targetILNS1_3genE10ELNS1_11target_archE1200ELNS1_3gpuE4ELNS1_3repE0EEENS1_30default_config_static_selectorELNS0_4arch9wavefront6targetE0EEEvS12_, .Lfunc_end454-_ZN7rocprim17ROCPRIM_400000_NS6detail17trampoline_kernelINS0_13select_configILj256ELj13ELNS0_17block_load_methodE3ELS4_3ELS4_3ELNS0_20block_scan_algorithmE0ELj4294967295EEENS1_25partition_config_selectorILNS1_17partition_subalgoE4EjNS0_10empty_typeEbEEZZNS1_14partition_implILS8_4ELb0ES6_15HIP_vector_typeIjLj2EENS0_17counting_iteratorIjlEEPS9_SG_NS0_5tupleIJPjSI_NS0_16reverse_iteratorISI_EEEEENSH_IJSG_SG_SG_EEES9_SI_JZNS1_25segmented_radix_sort_implINS0_14default_configELb1EPKiPiPKlPlN2at6native12_GLOBAL__N_18offset_tEEE10hipError_tPvRmT1_PNSt15iterator_traitsIS12_E10value_typeET2_T3_PNS13_IS18_E10value_typeET4_jRbjT5_S1E_jjP12ihipStream_tbEUljE_ZNSN_ISO_Lb1ESQ_SR_ST_SU_SY_EESZ_S10_S11_S12_S16_S17_S18_S1B_S1C_jS1D_jS1E_S1E_jjS1G_bEUljE0_EEESZ_S10_S11_S18_S1C_S1E_T6_T7_T9_mT8_S1G_bDpT10_ENKUlT_T0_E_clISt17integral_constantIbLb1EES1T_IbLb0EEEEDaS1P_S1Q_EUlS1P_E_NS1_11comp_targetILNS1_3genE10ELNS1_11target_archE1200ELNS1_3gpuE4ELNS1_3repE0EEENS1_30default_config_static_selectorELNS0_4arch9wavefront6targetE0EEEvS12_
                                        ; -- End function
	.section	.AMDGPU.csdata,"",@progbits
; Kernel info:
; codeLenInByte = 0
; NumSgprs: 0
; NumVgprs: 0
; ScratchSize: 0
; MemoryBound: 0
; FloatMode: 240
; IeeeMode: 1
; LDSByteSize: 0 bytes/workgroup (compile time only)
; SGPRBlocks: 0
; VGPRBlocks: 0
; NumSGPRsForWavesPerEU: 1
; NumVGPRsForWavesPerEU: 1
; Occupancy: 16
; WaveLimiterHint : 0
; COMPUTE_PGM_RSRC2:SCRATCH_EN: 0
; COMPUTE_PGM_RSRC2:USER_SGPR: 15
; COMPUTE_PGM_RSRC2:TRAP_HANDLER: 0
; COMPUTE_PGM_RSRC2:TGID_X_EN: 1
; COMPUTE_PGM_RSRC2:TGID_Y_EN: 0
; COMPUTE_PGM_RSRC2:TGID_Z_EN: 0
; COMPUTE_PGM_RSRC2:TIDIG_COMP_CNT: 0
	.section	.text._ZN7rocprim17ROCPRIM_400000_NS6detail17trampoline_kernelINS0_13select_configILj256ELj13ELNS0_17block_load_methodE3ELS4_3ELS4_3ELNS0_20block_scan_algorithmE0ELj4294967295EEENS1_25partition_config_selectorILNS1_17partition_subalgoE4EjNS0_10empty_typeEbEEZZNS1_14partition_implILS8_4ELb0ES6_15HIP_vector_typeIjLj2EENS0_17counting_iteratorIjlEEPS9_SG_NS0_5tupleIJPjSI_NS0_16reverse_iteratorISI_EEEEENSH_IJSG_SG_SG_EEES9_SI_JZNS1_25segmented_radix_sort_implINS0_14default_configELb1EPKiPiPKlPlN2at6native12_GLOBAL__N_18offset_tEEE10hipError_tPvRmT1_PNSt15iterator_traitsIS12_E10value_typeET2_T3_PNS13_IS18_E10value_typeET4_jRbjT5_S1E_jjP12ihipStream_tbEUljE_ZNSN_ISO_Lb1ESQ_SR_ST_SU_SY_EESZ_S10_S11_S12_S16_S17_S18_S1B_S1C_jS1D_jS1E_S1E_jjS1G_bEUljE0_EEESZ_S10_S11_S18_S1C_S1E_T6_T7_T9_mT8_S1G_bDpT10_ENKUlT_T0_E_clISt17integral_constantIbLb1EES1T_IbLb0EEEEDaS1P_S1Q_EUlS1P_E_NS1_11comp_targetILNS1_3genE9ELNS1_11target_archE1100ELNS1_3gpuE3ELNS1_3repE0EEENS1_30default_config_static_selectorELNS0_4arch9wavefront6targetE0EEEvS12_,"axG",@progbits,_ZN7rocprim17ROCPRIM_400000_NS6detail17trampoline_kernelINS0_13select_configILj256ELj13ELNS0_17block_load_methodE3ELS4_3ELS4_3ELNS0_20block_scan_algorithmE0ELj4294967295EEENS1_25partition_config_selectorILNS1_17partition_subalgoE4EjNS0_10empty_typeEbEEZZNS1_14partition_implILS8_4ELb0ES6_15HIP_vector_typeIjLj2EENS0_17counting_iteratorIjlEEPS9_SG_NS0_5tupleIJPjSI_NS0_16reverse_iteratorISI_EEEEENSH_IJSG_SG_SG_EEES9_SI_JZNS1_25segmented_radix_sort_implINS0_14default_configELb1EPKiPiPKlPlN2at6native12_GLOBAL__N_18offset_tEEE10hipError_tPvRmT1_PNSt15iterator_traitsIS12_E10value_typeET2_T3_PNS13_IS18_E10value_typeET4_jRbjT5_S1E_jjP12ihipStream_tbEUljE_ZNSN_ISO_Lb1ESQ_SR_ST_SU_SY_EESZ_S10_S11_S12_S16_S17_S18_S1B_S1C_jS1D_jS1E_S1E_jjS1G_bEUljE0_EEESZ_S10_S11_S18_S1C_S1E_T6_T7_T9_mT8_S1G_bDpT10_ENKUlT_T0_E_clISt17integral_constantIbLb1EES1T_IbLb0EEEEDaS1P_S1Q_EUlS1P_E_NS1_11comp_targetILNS1_3genE9ELNS1_11target_archE1100ELNS1_3gpuE3ELNS1_3repE0EEENS1_30default_config_static_selectorELNS0_4arch9wavefront6targetE0EEEvS12_,comdat
	.globl	_ZN7rocprim17ROCPRIM_400000_NS6detail17trampoline_kernelINS0_13select_configILj256ELj13ELNS0_17block_load_methodE3ELS4_3ELS4_3ELNS0_20block_scan_algorithmE0ELj4294967295EEENS1_25partition_config_selectorILNS1_17partition_subalgoE4EjNS0_10empty_typeEbEEZZNS1_14partition_implILS8_4ELb0ES6_15HIP_vector_typeIjLj2EENS0_17counting_iteratorIjlEEPS9_SG_NS0_5tupleIJPjSI_NS0_16reverse_iteratorISI_EEEEENSH_IJSG_SG_SG_EEES9_SI_JZNS1_25segmented_radix_sort_implINS0_14default_configELb1EPKiPiPKlPlN2at6native12_GLOBAL__N_18offset_tEEE10hipError_tPvRmT1_PNSt15iterator_traitsIS12_E10value_typeET2_T3_PNS13_IS18_E10value_typeET4_jRbjT5_S1E_jjP12ihipStream_tbEUljE_ZNSN_ISO_Lb1ESQ_SR_ST_SU_SY_EESZ_S10_S11_S12_S16_S17_S18_S1B_S1C_jS1D_jS1E_S1E_jjS1G_bEUljE0_EEESZ_S10_S11_S18_S1C_S1E_T6_T7_T9_mT8_S1G_bDpT10_ENKUlT_T0_E_clISt17integral_constantIbLb1EES1T_IbLb0EEEEDaS1P_S1Q_EUlS1P_E_NS1_11comp_targetILNS1_3genE9ELNS1_11target_archE1100ELNS1_3gpuE3ELNS1_3repE0EEENS1_30default_config_static_selectorELNS0_4arch9wavefront6targetE0EEEvS12_ ; -- Begin function _ZN7rocprim17ROCPRIM_400000_NS6detail17trampoline_kernelINS0_13select_configILj256ELj13ELNS0_17block_load_methodE3ELS4_3ELS4_3ELNS0_20block_scan_algorithmE0ELj4294967295EEENS1_25partition_config_selectorILNS1_17partition_subalgoE4EjNS0_10empty_typeEbEEZZNS1_14partition_implILS8_4ELb0ES6_15HIP_vector_typeIjLj2EENS0_17counting_iteratorIjlEEPS9_SG_NS0_5tupleIJPjSI_NS0_16reverse_iteratorISI_EEEEENSH_IJSG_SG_SG_EEES9_SI_JZNS1_25segmented_radix_sort_implINS0_14default_configELb1EPKiPiPKlPlN2at6native12_GLOBAL__N_18offset_tEEE10hipError_tPvRmT1_PNSt15iterator_traitsIS12_E10value_typeET2_T3_PNS13_IS18_E10value_typeET4_jRbjT5_S1E_jjP12ihipStream_tbEUljE_ZNSN_ISO_Lb1ESQ_SR_ST_SU_SY_EESZ_S10_S11_S12_S16_S17_S18_S1B_S1C_jS1D_jS1E_S1E_jjS1G_bEUljE0_EEESZ_S10_S11_S18_S1C_S1E_T6_T7_T9_mT8_S1G_bDpT10_ENKUlT_T0_E_clISt17integral_constantIbLb1EES1T_IbLb0EEEEDaS1P_S1Q_EUlS1P_E_NS1_11comp_targetILNS1_3genE9ELNS1_11target_archE1100ELNS1_3gpuE3ELNS1_3repE0EEENS1_30default_config_static_selectorELNS0_4arch9wavefront6targetE0EEEvS12_
	.p2align	8
	.type	_ZN7rocprim17ROCPRIM_400000_NS6detail17trampoline_kernelINS0_13select_configILj256ELj13ELNS0_17block_load_methodE3ELS4_3ELS4_3ELNS0_20block_scan_algorithmE0ELj4294967295EEENS1_25partition_config_selectorILNS1_17partition_subalgoE4EjNS0_10empty_typeEbEEZZNS1_14partition_implILS8_4ELb0ES6_15HIP_vector_typeIjLj2EENS0_17counting_iteratorIjlEEPS9_SG_NS0_5tupleIJPjSI_NS0_16reverse_iteratorISI_EEEEENSH_IJSG_SG_SG_EEES9_SI_JZNS1_25segmented_radix_sort_implINS0_14default_configELb1EPKiPiPKlPlN2at6native12_GLOBAL__N_18offset_tEEE10hipError_tPvRmT1_PNSt15iterator_traitsIS12_E10value_typeET2_T3_PNS13_IS18_E10value_typeET4_jRbjT5_S1E_jjP12ihipStream_tbEUljE_ZNSN_ISO_Lb1ESQ_SR_ST_SU_SY_EESZ_S10_S11_S12_S16_S17_S18_S1B_S1C_jS1D_jS1E_S1E_jjS1G_bEUljE0_EEESZ_S10_S11_S18_S1C_S1E_T6_T7_T9_mT8_S1G_bDpT10_ENKUlT_T0_E_clISt17integral_constantIbLb1EES1T_IbLb0EEEEDaS1P_S1Q_EUlS1P_E_NS1_11comp_targetILNS1_3genE9ELNS1_11target_archE1100ELNS1_3gpuE3ELNS1_3repE0EEENS1_30default_config_static_selectorELNS0_4arch9wavefront6targetE0EEEvS12_,@function
_ZN7rocprim17ROCPRIM_400000_NS6detail17trampoline_kernelINS0_13select_configILj256ELj13ELNS0_17block_load_methodE3ELS4_3ELS4_3ELNS0_20block_scan_algorithmE0ELj4294967295EEENS1_25partition_config_selectorILNS1_17partition_subalgoE4EjNS0_10empty_typeEbEEZZNS1_14partition_implILS8_4ELb0ES6_15HIP_vector_typeIjLj2EENS0_17counting_iteratorIjlEEPS9_SG_NS0_5tupleIJPjSI_NS0_16reverse_iteratorISI_EEEEENSH_IJSG_SG_SG_EEES9_SI_JZNS1_25segmented_radix_sort_implINS0_14default_configELb1EPKiPiPKlPlN2at6native12_GLOBAL__N_18offset_tEEE10hipError_tPvRmT1_PNSt15iterator_traitsIS12_E10value_typeET2_T3_PNS13_IS18_E10value_typeET4_jRbjT5_S1E_jjP12ihipStream_tbEUljE_ZNSN_ISO_Lb1ESQ_SR_ST_SU_SY_EESZ_S10_S11_S12_S16_S17_S18_S1B_S1C_jS1D_jS1E_S1E_jjS1G_bEUljE0_EEESZ_S10_S11_S18_S1C_S1E_T6_T7_T9_mT8_S1G_bDpT10_ENKUlT_T0_E_clISt17integral_constantIbLb1EES1T_IbLb0EEEEDaS1P_S1Q_EUlS1P_E_NS1_11comp_targetILNS1_3genE9ELNS1_11target_archE1100ELNS1_3gpuE3ELNS1_3repE0EEENS1_30default_config_static_selectorELNS0_4arch9wavefront6targetE0EEEvS12_: ; @_ZN7rocprim17ROCPRIM_400000_NS6detail17trampoline_kernelINS0_13select_configILj256ELj13ELNS0_17block_load_methodE3ELS4_3ELS4_3ELNS0_20block_scan_algorithmE0ELj4294967295EEENS1_25partition_config_selectorILNS1_17partition_subalgoE4EjNS0_10empty_typeEbEEZZNS1_14partition_implILS8_4ELb0ES6_15HIP_vector_typeIjLj2EENS0_17counting_iteratorIjlEEPS9_SG_NS0_5tupleIJPjSI_NS0_16reverse_iteratorISI_EEEEENSH_IJSG_SG_SG_EEES9_SI_JZNS1_25segmented_radix_sort_implINS0_14default_configELb1EPKiPiPKlPlN2at6native12_GLOBAL__N_18offset_tEEE10hipError_tPvRmT1_PNSt15iterator_traitsIS12_E10value_typeET2_T3_PNS13_IS18_E10value_typeET4_jRbjT5_S1E_jjP12ihipStream_tbEUljE_ZNSN_ISO_Lb1ESQ_SR_ST_SU_SY_EESZ_S10_S11_S12_S16_S17_S18_S1B_S1C_jS1D_jS1E_S1E_jjS1G_bEUljE0_EEESZ_S10_S11_S18_S1C_S1E_T6_T7_T9_mT8_S1G_bDpT10_ENKUlT_T0_E_clISt17integral_constantIbLb1EES1T_IbLb0EEEEDaS1P_S1Q_EUlS1P_E_NS1_11comp_targetILNS1_3genE9ELNS1_11target_archE1100ELNS1_3gpuE3ELNS1_3repE0EEENS1_30default_config_static_selectorELNS0_4arch9wavefront6targetE0EEEvS12_
; %bb.0:
	s_clause 0x6
	s_load_b32 s5, s[0:1], 0x80
	s_load_b64 s[34:35], s[0:1], 0x10
	s_load_b64 s[2:3], s[0:1], 0x68
	s_load_b32 s8, s[0:1], 0x8
	s_load_b128 s[24:27], s[0:1], 0x58
	s_load_b64 s[40:41], s[0:1], 0xa8
	s_load_b256 s[16:23], s[0:1], 0x88
	s_mul_i32 s33, s15, 0xd00
	s_waitcnt lgkmcnt(0)
	s_mul_i32 s4, s5, 0xd00
	s_add_i32 s5, s5, -1
	s_add_u32 s6, s34, s4
	s_addc_u32 s7, s35, 0
	s_load_b128 s[28:31], s[26:27], 0x0
	s_cmp_eq_u32 s15, s5
	v_cmp_lt_u64_e64 s3, s[6:7], s[2:3]
	s_cselect_b32 s14, -1, 0
	s_cmp_lg_u32 s15, s5
	s_cselect_b32 s5, -1, 0
	s_add_i32 s6, s8, s33
	s_delay_alu instid0(VALU_DEP_1) | instskip(SKIP_4) | instid1(VALU_DEP_1)
	s_or_b32 s3, s5, s3
	s_add_i32 s6, s6, s34
	s_and_b32 vcc_lo, exec_lo, s3
	v_add_nc_u32_e32 v1, s6, v0
	s_mov_b32 s5, -1
	v_add_nc_u32_e32 v2, 0x100, v1
	v_add_nc_u32_e32 v3, 0x200, v1
	;; [unrolled: 1-line block ×12, first 2 shown]
	s_cbranch_vccz .LBB455_2
; %bb.1:
	v_lshlrev_b32_e32 v14, 2, v0
	s_mov_b32 s5, 0
	ds_store_2addr_stride64_b32 v14, v1, v2 offset1:4
	ds_store_2addr_stride64_b32 v14, v3, v4 offset0:8 offset1:12
	ds_store_2addr_stride64_b32 v14, v5, v6 offset0:16 offset1:20
	;; [unrolled: 1-line block ×5, first 2 shown]
	ds_store_b32 v14, v13 offset:12288
	s_waitcnt lgkmcnt(0)
	s_barrier
.LBB455_2:
	s_and_not1_b32 vcc_lo, exec_lo, s5
	s_add_i32 s4, s4, s34
	s_cbranch_vccnz .LBB455_4
; %bb.3:
	v_lshlrev_b32_e32 v14, 2, v0
	ds_store_2addr_stride64_b32 v14, v1, v2 offset1:4
	ds_store_2addr_stride64_b32 v14, v3, v4 offset0:8 offset1:12
	ds_store_2addr_stride64_b32 v14, v5, v6 offset0:16 offset1:20
	;; [unrolled: 1-line block ×5, first 2 shown]
	ds_store_b32 v14, v13 offset:12288
	s_waitcnt lgkmcnt(0)
	s_barrier
.LBB455_4:
	v_mul_u32_u24_e32 v28, 13, v0
	s_clause 0x1
	s_load_b128 s[36:39], s[0:1], 0x28
	s_load_b64 s[26:27], s[0:1], 0x38
	s_waitcnt lgkmcnt(0)
	buffer_gl0_inv
	v_cndmask_b32_e64 v26, 0, 1, s3
	s_sub_i32 s44, s2, s4
	v_lshlrev_b32_e32 v1, 2, v28
	s_and_not1_b32 vcc_lo, exec_lo, s3
	ds_load_2addr_b32 v[16:17], v1 offset1:1
	ds_load_2addr_b32 v[14:15], v1 offset0:2 offset1:3
	ds_load_2addr_b32 v[12:13], v1 offset0:4 offset1:5
	;; [unrolled: 1-line block ×5, first 2 shown]
	ds_load_b32 v27, v1 offset:48
	s_waitcnt lgkmcnt(0)
	s_barrier
	buffer_gl0_inv
	s_cbranch_vccnz .LBB455_32
; %bb.5:
	v_add_nc_u32_e32 v1, s17, v16
	v_add_nc_u32_e32 v2, s19, v16
	s_mov_b32 s46, 0
	s_mov_b32 s45, 0
	s_mov_b32 s3, exec_lo
	v_mul_lo_u32 v1, v1, s16
	v_mul_lo_u32 v2, v2, s18
	s_delay_alu instid0(VALU_DEP_1) | instskip(NEXT) | instid1(VALU_DEP_1)
	v_sub_nc_u32_e32 v1, v1, v2
	v_cmp_lt_u32_e32 vcc_lo, s20, v1
	v_cmpx_ge_u32_e64 s20, v1
; %bb.6:
	v_add_nc_u32_e32 v1, s22, v16
	v_add_nc_u32_e32 v2, s40, v16
	s_delay_alu instid0(VALU_DEP_2) | instskip(NEXT) | instid1(VALU_DEP_2)
	v_mul_lo_u32 v1, v1, s21
	v_mul_lo_u32 v2, v2, s23
	s_delay_alu instid0(VALU_DEP_1) | instskip(NEXT) | instid1(VALU_DEP_1)
	v_sub_nc_u32_e32 v1, v1, v2
	v_cmp_lt_u32_e64 s2, s41, v1
	s_delay_alu instid0(VALU_DEP_1)
	s_and_b32 s45, s2, exec_lo
; %bb.7:
	s_or_b32 exec_lo, exec_lo, s3
	v_add_nc_u32_e32 v1, s17, v17
	v_add_nc_u32_e32 v2, s19, v17
	s_mov_b32 s4, exec_lo
	s_delay_alu instid0(VALU_DEP_2) | instskip(NEXT) | instid1(VALU_DEP_2)
	v_mul_lo_u32 v1, v1, s16
	v_mul_lo_u32 v2, v2, s18
	s_delay_alu instid0(VALU_DEP_1) | instskip(NEXT) | instid1(VALU_DEP_1)
	v_sub_nc_u32_e32 v1, v1, v2
	v_cmp_lt_u32_e64 s2, s20, v1
	v_cmpx_ge_u32_e64 s20, v1
; %bb.8:
	v_add_nc_u32_e32 v1, s22, v17
	v_add_nc_u32_e32 v2, s40, v17
	s_delay_alu instid0(VALU_DEP_2) | instskip(NEXT) | instid1(VALU_DEP_2)
	v_mul_lo_u32 v1, v1, s21
	v_mul_lo_u32 v2, v2, s23
	s_delay_alu instid0(VALU_DEP_1) | instskip(NEXT) | instid1(VALU_DEP_1)
	v_sub_nc_u32_e32 v1, v1, v2
	v_cmp_lt_u32_e64 s3, s41, v1
	s_delay_alu instid0(VALU_DEP_1)
	s_and_b32 s46, s3, exec_lo
; %bb.9:
	s_or_b32 exec_lo, exec_lo, s4
	v_add_nc_u32_e32 v1, s17, v14
	v_add_nc_u32_e32 v2, s19, v14
	s_mov_b32 s48, 0
	s_mov_b32 s47, 0
	s_mov_b32 s5, exec_lo
	v_mul_lo_u32 v1, v1, s16
	v_mul_lo_u32 v2, v2, s18
	s_delay_alu instid0(VALU_DEP_1) | instskip(NEXT) | instid1(VALU_DEP_1)
	v_sub_nc_u32_e32 v1, v1, v2
	v_cmp_lt_u32_e64 s3, s20, v1
	v_cmpx_ge_u32_e64 s20, v1
; %bb.10:
	v_add_nc_u32_e32 v1, s22, v14
	v_add_nc_u32_e32 v2, s40, v14
	s_delay_alu instid0(VALU_DEP_2) | instskip(NEXT) | instid1(VALU_DEP_2)
	v_mul_lo_u32 v1, v1, s21
	v_mul_lo_u32 v2, v2, s23
	s_delay_alu instid0(VALU_DEP_1) | instskip(NEXT) | instid1(VALU_DEP_1)
	v_sub_nc_u32_e32 v1, v1, v2
	v_cmp_lt_u32_e64 s4, s41, v1
	s_delay_alu instid0(VALU_DEP_1)
	s_and_b32 s47, s4, exec_lo
; %bb.11:
	s_or_b32 exec_lo, exec_lo, s5
	v_add_nc_u32_e32 v1, s17, v15
	v_add_nc_u32_e32 v2, s19, v15
	s_mov_b32 s6, exec_lo
	s_delay_alu instid0(VALU_DEP_2) | instskip(NEXT) | instid1(VALU_DEP_2)
	v_mul_lo_u32 v1, v1, s16
	v_mul_lo_u32 v2, v2, s18
	s_delay_alu instid0(VALU_DEP_1) | instskip(NEXT) | instid1(VALU_DEP_1)
	v_sub_nc_u32_e32 v1, v1, v2
	v_cmp_lt_u32_e64 s4, s20, v1
	v_cmpx_ge_u32_e64 s20, v1
; %bb.12:
	v_add_nc_u32_e32 v1, s22, v15
	v_add_nc_u32_e32 v2, s40, v15
	s_delay_alu instid0(VALU_DEP_2) | instskip(NEXT) | instid1(VALU_DEP_2)
	v_mul_lo_u32 v1, v1, s21
	v_mul_lo_u32 v2, v2, s23
	s_delay_alu instid0(VALU_DEP_1) | instskip(NEXT) | instid1(VALU_DEP_1)
	v_sub_nc_u32_e32 v1, v1, v2
	v_cmp_lt_u32_e64 s5, s41, v1
	s_delay_alu instid0(VALU_DEP_1)
	s_and_b32 s48, s5, exec_lo
; %bb.13:
	s_or_b32 exec_lo, exec_lo, s6
	v_add_nc_u32_e32 v1, s17, v12
	v_add_nc_u32_e32 v2, s19, v12
	s_mov_b32 s50, 0
	s_mov_b32 s49, 0
	s_mov_b32 s7, exec_lo
	v_mul_lo_u32 v1, v1, s16
	v_mul_lo_u32 v2, v2, s18
	s_delay_alu instid0(VALU_DEP_1) | instskip(NEXT) | instid1(VALU_DEP_1)
	v_sub_nc_u32_e32 v1, v1, v2
	v_cmp_lt_u32_e64 s5, s20, v1
	;; [unrolled: 47-line block ×5, first 2 shown]
	v_cmpx_ge_u32_e64 s20, v1
; %bb.26:
	v_add_nc_u32_e32 v1, s22, v6
	v_add_nc_u32_e32 v2, s40, v6
	s_delay_alu instid0(VALU_DEP_2) | instskip(NEXT) | instid1(VALU_DEP_2)
	v_mul_lo_u32 v1, v1, s21
	v_mul_lo_u32 v2, v2, s23
	s_delay_alu instid0(VALU_DEP_1) | instskip(NEXT) | instid1(VALU_DEP_1)
	v_sub_nc_u32_e32 v1, v1, v2
	v_cmp_lt_u32_e64 s12, s41, v1
	s_delay_alu instid0(VALU_DEP_1)
	s_and_b32 s57, s12, exec_lo
; %bb.27:
	s_or_b32 exec_lo, exec_lo, s13
	v_add_nc_u32_e32 v1, s17, v7
	v_add_nc_u32_e32 v2, s19, v7
	s_mov_b32 s42, exec_lo
	s_delay_alu instid0(VALU_DEP_2) | instskip(NEXT) | instid1(VALU_DEP_2)
	v_mul_lo_u32 v1, v1, s16
	v_mul_lo_u32 v2, v2, s18
	s_delay_alu instid0(VALU_DEP_1) | instskip(NEXT) | instid1(VALU_DEP_1)
	v_sub_nc_u32_e32 v1, v1, v2
	v_cmp_lt_u32_e64 s12, s20, v1
	v_cmpx_ge_u32_e64 s20, v1
; %bb.28:
	v_add_nc_u32_e32 v1, s22, v7
	v_add_nc_u32_e32 v2, s40, v7
	s_delay_alu instid0(VALU_DEP_2) | instskip(NEXT) | instid1(VALU_DEP_2)
	v_mul_lo_u32 v1, v1, s21
	v_mul_lo_u32 v2, v2, s23
	s_delay_alu instid0(VALU_DEP_1) | instskip(NEXT) | instid1(VALU_DEP_1)
	v_sub_nc_u32_e32 v1, v1, v2
	v_cmp_lt_u32_e64 s13, s41, v1
	s_delay_alu instid0(VALU_DEP_1)
	s_and_b32 s56, s13, exec_lo
; %bb.29:
	s_or_b32 exec_lo, exec_lo, s42
	v_add_nc_u32_e32 v1, s17, v27
	v_add_nc_u32_e32 v2, s19, v27
	s_mov_b32 s42, -1
	s_mov_b32 s53, 0
	s_mov_b32 s43, 0
	v_mul_lo_u32 v1, v1, s16
	v_mul_lo_u32 v2, v2, s18
	s_mov_b32 s58, exec_lo
	s_delay_alu instid0(VALU_DEP_1) | instskip(NEXT) | instid1(VALU_DEP_1)
	v_sub_nc_u32_e32 v1, v1, v2
	v_cmpx_ge_u32_e64 s20, v1
; %bb.30:
	v_add_nc_u32_e32 v1, s22, v27
	v_add_nc_u32_e32 v2, s40, v27
	s_xor_b32 s42, exec_lo, -1
	s_delay_alu instid0(VALU_DEP_2) | instskip(NEXT) | instid1(VALU_DEP_2)
	v_mul_lo_u32 v1, v1, s21
	v_mul_lo_u32 v2, v2, s23
	s_delay_alu instid0(VALU_DEP_1) | instskip(NEXT) | instid1(VALU_DEP_1)
	v_sub_nc_u32_e32 v1, v1, v2
	v_cmp_lt_u32_e64 s13, s41, v1
	s_delay_alu instid0(VALU_DEP_1)
	s_and_b32 s43, s13, exec_lo
; %bb.31:
	s_or_b32 exec_lo, exec_lo, s58
	v_cndmask_b32_e64 v48, 0, 1, s57
	v_cndmask_b32_e64 v51, 0, 1, s12
	;; [unrolled: 1-line block ×22, first 2 shown]
	v_cndmask_b32_e64 v29, 0, 1, vcc_lo
	v_cndmask_b32_e64 v52, 0, 1, s56
	s_load_b64 s[4:5], s[0:1], 0x78
	s_and_b32 vcc_lo, exec_lo, s53
	s_add_i32 s3, s44, 0xd00
	s_cbranch_vccnz .LBB455_33
	s_branch .LBB455_86
.LBB455_32:
                                        ; implicit-def: $sgpr42
                                        ; implicit-def: $sgpr43
                                        ; implicit-def: $vgpr52
                                        ; implicit-def: $vgpr48
                                        ; implicit-def: $vgpr47
                                        ; implicit-def: $vgpr45
                                        ; implicit-def: $vgpr43
                                        ; implicit-def: $vgpr40
                                        ; implicit-def: $vgpr39
                                        ; implicit-def: $vgpr37
                                        ; implicit-def: $vgpr35
                                        ; implicit-def: $vgpr29
                                        ; implicit-def: $vgpr33
                                        ; implicit-def: $vgpr31
                                        ; implicit-def: $vgpr32
                                        ; implicit-def: $vgpr38
                                        ; implicit-def: $vgpr41
                                        ; implicit-def: $vgpr42
                                        ; implicit-def: $vgpr44
                                        ; implicit-def: $vgpr46
                                        ; implicit-def: $vgpr49
                                        ; implicit-def: $vgpr50
                                        ; implicit-def: $vgpr51
                                        ; implicit-def: $vgpr30
                                        ; implicit-def: $vgpr34
                                        ; implicit-def: $vgpr36
	s_load_b64 s[4:5], s[0:1], 0x78
	s_add_i32 s3, s44, 0xd00
	s_cbranch_execz .LBB455_86
.LBB455_33:
	v_dual_mov_b32 v30, 0 :: v_dual_mov_b32 v29, 0
	s_mov_b32 s2, 0
	s_mov_b32 s1, exec_lo
	v_cmpx_gt_u32_e64 s3, v28
	s_cbranch_execz .LBB455_37
; %bb.34:
	v_add_nc_u32_e32 v1, s17, v16
	v_add_nc_u32_e32 v2, s19, v16
	s_mov_b32 s6, exec_lo
	s_delay_alu instid0(VALU_DEP_2) | instskip(NEXT) | instid1(VALU_DEP_2)
	v_mul_lo_u32 v1, v1, s16
	v_mul_lo_u32 v2, v2, s18
	s_delay_alu instid0(VALU_DEP_1) | instskip(NEXT) | instid1(VALU_DEP_1)
	v_sub_nc_u32_e32 v1, v1, v2
	v_cmp_lt_u32_e32 vcc_lo, s20, v1
	v_cmpx_ge_u32_e64 s20, v1
; %bb.35:
	v_add_nc_u32_e32 v1, s22, v16
	v_add_nc_u32_e32 v2, s40, v16
	s_delay_alu instid0(VALU_DEP_2) | instskip(NEXT) | instid1(VALU_DEP_2)
	v_mul_lo_u32 v1, v1, s21
	v_mul_lo_u32 v2, v2, s23
	s_delay_alu instid0(VALU_DEP_1) | instskip(NEXT) | instid1(VALU_DEP_1)
	v_sub_nc_u32_e32 v1, v1, v2
	v_cmp_lt_u32_e64 s0, s41, v1
	s_delay_alu instid0(VALU_DEP_1)
	s_and_b32 s2, s0, exec_lo
; %bb.36:
	s_or_b32 exec_lo, exec_lo, s6
	v_cndmask_b32_e64 v29, 0, 1, vcc_lo
	v_cndmask_b32_e64 v30, 0, 1, s2
.LBB455_37:
	s_or_b32 exec_lo, exec_lo, s1
	v_dual_mov_b32 v34, 0 :: v_dual_add_nc_u32 v1, 1, v28
	v_mov_b32_e32 v33, 0
	s_mov_b32 s2, 0
	s_mov_b32 s1, exec_lo
	s_delay_alu instid0(VALU_DEP_2)
	v_cmpx_gt_u32_e64 s3, v1
	s_cbranch_execz .LBB455_41
; %bb.38:
	v_add_nc_u32_e32 v1, s17, v17
	v_add_nc_u32_e32 v2, s19, v17
	s_mov_b32 s6, exec_lo
	s_delay_alu instid0(VALU_DEP_2) | instskip(NEXT) | instid1(VALU_DEP_2)
	v_mul_lo_u32 v1, v1, s16
	v_mul_lo_u32 v2, v2, s18
	s_delay_alu instid0(VALU_DEP_1) | instskip(NEXT) | instid1(VALU_DEP_1)
	v_sub_nc_u32_e32 v1, v1, v2
	v_cmp_lt_u32_e32 vcc_lo, s20, v1
	v_cmpx_ge_u32_e64 s20, v1
; %bb.39:
	v_add_nc_u32_e32 v1, s22, v17
	v_add_nc_u32_e32 v2, s40, v17
	s_delay_alu instid0(VALU_DEP_2) | instskip(NEXT) | instid1(VALU_DEP_2)
	v_mul_lo_u32 v1, v1, s21
	v_mul_lo_u32 v2, v2, s23
	s_delay_alu instid0(VALU_DEP_1) | instskip(NEXT) | instid1(VALU_DEP_1)
	v_sub_nc_u32_e32 v1, v1, v2
	v_cmp_lt_u32_e64 s0, s41, v1
	s_delay_alu instid0(VALU_DEP_1)
	s_and_b32 s2, s0, exec_lo
; %bb.40:
	s_or_b32 exec_lo, exec_lo, s6
	v_cndmask_b32_e64 v33, 0, 1, vcc_lo
	v_cndmask_b32_e64 v34, 0, 1, s2
.LBB455_41:
	s_or_b32 exec_lo, exec_lo, s1
	v_dual_mov_b32 v36, 0 :: v_dual_add_nc_u32 v1, 2, v28
	v_mov_b32_e32 v31, 0
	s_mov_b32 s2, 0
	s_mov_b32 s1, exec_lo
	s_delay_alu instid0(VALU_DEP_2)
	;; [unrolled: 35-line block ×4, first 2 shown]
	v_cmpx_gt_u32_e64 s3, v1
	s_cbranch_execz .LBB455_53
; %bb.50:
	v_add_nc_u32_e32 v1, s17, v12
	v_add_nc_u32_e32 v2, s19, v12
	s_mov_b32 s6, exec_lo
	s_delay_alu instid0(VALU_DEP_2) | instskip(NEXT) | instid1(VALU_DEP_2)
	v_mul_lo_u32 v1, v1, s16
	v_mul_lo_u32 v2, v2, s18
	s_delay_alu instid0(VALU_DEP_1) | instskip(NEXT) | instid1(VALU_DEP_1)
	v_sub_nc_u32_e32 v1, v1, v2
	v_cmp_lt_u32_e32 vcc_lo, s20, v1
	v_cmpx_ge_u32_e64 s20, v1
; %bb.51:
	v_add_nc_u32_e32 v1, s22, v12
	v_add_nc_u32_e32 v2, s40, v12
	s_delay_alu instid0(VALU_DEP_2) | instskip(NEXT) | instid1(VALU_DEP_2)
	v_mul_lo_u32 v1, v1, s21
	v_mul_lo_u32 v2, v2, s23
	s_delay_alu instid0(VALU_DEP_1) | instskip(NEXT) | instid1(VALU_DEP_1)
	v_sub_nc_u32_e32 v1, v1, v2
	v_cmp_lt_u32_e64 s0, s41, v1
	s_delay_alu instid0(VALU_DEP_1)
	s_and_b32 s2, s0, exec_lo
; %bb.52:
	s_or_b32 exec_lo, exec_lo, s6
	v_cndmask_b32_e64 v38, 0, 1, vcc_lo
	v_cndmask_b32_e64 v37, 0, 1, s2
.LBB455_53:
	s_or_b32 exec_lo, exec_lo, s1
	v_add_nc_u32_e32 v1, 5, v28
	v_mov_b32_e32 v39, 0
	v_mov_b32_e32 v41, 0
	s_mov_b32 s2, 0
	s_mov_b32 s1, exec_lo
	v_cmpx_gt_u32_e64 s3, v1
	s_cbranch_execz .LBB455_57
; %bb.54:
	v_add_nc_u32_e32 v1, s17, v13
	v_add_nc_u32_e32 v2, s19, v13
	s_mov_b32 s6, exec_lo
	s_delay_alu instid0(VALU_DEP_2) | instskip(NEXT) | instid1(VALU_DEP_2)
	v_mul_lo_u32 v1, v1, s16
	v_mul_lo_u32 v2, v2, s18
	s_delay_alu instid0(VALU_DEP_1) | instskip(NEXT) | instid1(VALU_DEP_1)
	v_sub_nc_u32_e32 v1, v1, v2
	v_cmp_lt_u32_e32 vcc_lo, s20, v1
	v_cmpx_ge_u32_e64 s20, v1
; %bb.55:
	v_add_nc_u32_e32 v1, s22, v13
	v_add_nc_u32_e32 v2, s40, v13
	s_delay_alu instid0(VALU_DEP_2) | instskip(NEXT) | instid1(VALU_DEP_2)
	v_mul_lo_u32 v1, v1, s21
	v_mul_lo_u32 v2, v2, s23
	s_delay_alu instid0(VALU_DEP_1) | instskip(NEXT) | instid1(VALU_DEP_1)
	v_sub_nc_u32_e32 v1, v1, v2
	v_cmp_lt_u32_e64 s0, s41, v1
	s_delay_alu instid0(VALU_DEP_1)
	s_and_b32 s2, s0, exec_lo
; %bb.56:
	s_or_b32 exec_lo, exec_lo, s6
	v_cndmask_b32_e64 v41, 0, 1, vcc_lo
	v_cndmask_b32_e64 v39, 0, 1, s2
.LBB455_57:
	s_or_b32 exec_lo, exec_lo, s1
	v_dual_mov_b32 v40, 0 :: v_dual_add_nc_u32 v1, 6, v28
	v_mov_b32_e32 v42, 0
	s_mov_b32 s2, 0
	s_mov_b32 s1, exec_lo
	s_delay_alu instid0(VALU_DEP_2)
	v_cmpx_gt_u32_e64 s3, v1
	s_cbranch_execz .LBB455_61
; %bb.58:
	v_add_nc_u32_e32 v1, s17, v10
	v_add_nc_u32_e32 v2, s19, v10
	s_mov_b32 s6, exec_lo
	s_delay_alu instid0(VALU_DEP_2) | instskip(NEXT) | instid1(VALU_DEP_2)
	v_mul_lo_u32 v1, v1, s16
	v_mul_lo_u32 v2, v2, s18
	s_delay_alu instid0(VALU_DEP_1) | instskip(NEXT) | instid1(VALU_DEP_1)
	v_sub_nc_u32_e32 v1, v1, v2
	v_cmp_lt_u32_e32 vcc_lo, s20, v1
	v_cmpx_ge_u32_e64 s20, v1
; %bb.59:
	v_add_nc_u32_e32 v1, s22, v10
	v_add_nc_u32_e32 v2, s40, v10
	s_delay_alu instid0(VALU_DEP_2) | instskip(NEXT) | instid1(VALU_DEP_2)
	v_mul_lo_u32 v1, v1, s21
	v_mul_lo_u32 v2, v2, s23
	s_delay_alu instid0(VALU_DEP_1) | instskip(NEXT) | instid1(VALU_DEP_1)
	v_sub_nc_u32_e32 v1, v1, v2
	v_cmp_lt_u32_e64 s0, s41, v1
	s_delay_alu instid0(VALU_DEP_1)
	s_and_b32 s2, s0, exec_lo
; %bb.60:
	s_or_b32 exec_lo, exec_lo, s6
	v_cndmask_b32_e64 v42, 0, 1, vcc_lo
	v_cndmask_b32_e64 v40, 0, 1, s2
.LBB455_61:
	s_or_b32 exec_lo, exec_lo, s1
	v_dual_mov_b32 v44, 0 :: v_dual_add_nc_u32 v1, 7, v28
	v_mov_b32_e32 v43, 0
	s_mov_b32 s2, 0
	s_mov_b32 s1, exec_lo
	s_delay_alu instid0(VALU_DEP_2)
	;; [unrolled: 35-line block ×3, first 2 shown]
	v_cmpx_gt_u32_e64 s3, v1
	s_cbranch_execz .LBB455_69
; %bb.66:
	v_add_nc_u32_e32 v1, s17, v8
	v_add_nc_u32_e32 v2, s19, v8
	s_mov_b32 s6, exec_lo
	s_delay_alu instid0(VALU_DEP_2) | instskip(NEXT) | instid1(VALU_DEP_2)
	v_mul_lo_u32 v1, v1, s16
	v_mul_lo_u32 v2, v2, s18
	s_delay_alu instid0(VALU_DEP_1) | instskip(NEXT) | instid1(VALU_DEP_1)
	v_sub_nc_u32_e32 v1, v1, v2
	v_cmp_lt_u32_e32 vcc_lo, s20, v1
	v_cmpx_ge_u32_e64 s20, v1
; %bb.67:
	v_add_nc_u32_e32 v1, s22, v8
	v_add_nc_u32_e32 v2, s40, v8
	s_delay_alu instid0(VALU_DEP_2) | instskip(NEXT) | instid1(VALU_DEP_2)
	v_mul_lo_u32 v1, v1, s21
	v_mul_lo_u32 v2, v2, s23
	s_delay_alu instid0(VALU_DEP_1) | instskip(NEXT) | instid1(VALU_DEP_1)
	v_sub_nc_u32_e32 v1, v1, v2
	v_cmp_lt_u32_e64 s0, s41, v1
	s_delay_alu instid0(VALU_DEP_1)
	s_and_b32 s2, s0, exec_lo
; %bb.68:
	s_or_b32 exec_lo, exec_lo, s6
	v_cndmask_b32_e64 v46, 0, 1, vcc_lo
	v_cndmask_b32_e64 v45, 0, 1, s2
.LBB455_69:
	s_or_b32 exec_lo, exec_lo, s1
	v_add_nc_u32_e32 v1, 9, v28
	v_mov_b32_e32 v47, 0
	v_mov_b32_e32 v49, 0
	s_mov_b32 s2, 0
	s_mov_b32 s1, exec_lo
	v_cmpx_gt_u32_e64 s3, v1
	s_cbranch_execz .LBB455_73
; %bb.70:
	v_add_nc_u32_e32 v1, s17, v9
	v_add_nc_u32_e32 v2, s19, v9
	s_mov_b32 s6, exec_lo
	s_delay_alu instid0(VALU_DEP_2) | instskip(NEXT) | instid1(VALU_DEP_2)
	v_mul_lo_u32 v1, v1, s16
	v_mul_lo_u32 v2, v2, s18
	s_delay_alu instid0(VALU_DEP_1) | instskip(NEXT) | instid1(VALU_DEP_1)
	v_sub_nc_u32_e32 v1, v1, v2
	v_cmp_lt_u32_e32 vcc_lo, s20, v1
	v_cmpx_ge_u32_e64 s20, v1
; %bb.71:
	v_add_nc_u32_e32 v1, s22, v9
	v_add_nc_u32_e32 v2, s40, v9
	s_delay_alu instid0(VALU_DEP_2) | instskip(NEXT) | instid1(VALU_DEP_2)
	v_mul_lo_u32 v1, v1, s21
	v_mul_lo_u32 v2, v2, s23
	s_delay_alu instid0(VALU_DEP_1) | instskip(NEXT) | instid1(VALU_DEP_1)
	v_sub_nc_u32_e32 v1, v1, v2
	v_cmp_lt_u32_e64 s0, s41, v1
	s_delay_alu instid0(VALU_DEP_1)
	s_and_b32 s2, s0, exec_lo
; %bb.72:
	s_or_b32 exec_lo, exec_lo, s6
	v_cndmask_b32_e64 v49, 0, 1, vcc_lo
	v_cndmask_b32_e64 v47, 0, 1, s2
.LBB455_73:
	s_or_b32 exec_lo, exec_lo, s1
	v_dual_mov_b32 v48, 0 :: v_dual_add_nc_u32 v1, 10, v28
	v_mov_b32_e32 v50, 0
	s_mov_b32 s2, 0
	s_mov_b32 s1, exec_lo
	s_delay_alu instid0(VALU_DEP_2)
	v_cmpx_gt_u32_e64 s3, v1
	s_cbranch_execz .LBB455_77
; %bb.74:
	v_add_nc_u32_e32 v1, s17, v6
	v_add_nc_u32_e32 v2, s19, v6
	s_mov_b32 s6, exec_lo
	s_delay_alu instid0(VALU_DEP_2) | instskip(NEXT) | instid1(VALU_DEP_2)
	v_mul_lo_u32 v1, v1, s16
	v_mul_lo_u32 v2, v2, s18
	s_delay_alu instid0(VALU_DEP_1) | instskip(NEXT) | instid1(VALU_DEP_1)
	v_sub_nc_u32_e32 v1, v1, v2
	v_cmp_lt_u32_e32 vcc_lo, s20, v1
	v_cmpx_ge_u32_e64 s20, v1
; %bb.75:
	v_add_nc_u32_e32 v1, s22, v6
	v_add_nc_u32_e32 v2, s40, v6
	s_delay_alu instid0(VALU_DEP_2) | instskip(NEXT) | instid1(VALU_DEP_2)
	v_mul_lo_u32 v1, v1, s21
	v_mul_lo_u32 v2, v2, s23
	s_delay_alu instid0(VALU_DEP_1) | instskip(NEXT) | instid1(VALU_DEP_1)
	v_sub_nc_u32_e32 v1, v1, v2
	v_cmp_lt_u32_e64 s0, s41, v1
	s_delay_alu instid0(VALU_DEP_1)
	s_and_b32 s2, s0, exec_lo
; %bb.76:
	s_or_b32 exec_lo, exec_lo, s6
	v_cndmask_b32_e64 v50, 0, 1, vcc_lo
	v_cndmask_b32_e64 v48, 0, 1, s2
.LBB455_77:
	s_or_b32 exec_lo, exec_lo, s1
	v_dual_mov_b32 v52, 0 :: v_dual_add_nc_u32 v1, 11, v28
	v_mov_b32_e32 v51, 0
	s_mov_b32 s2, 0
	s_mov_b32 s1, exec_lo
	s_delay_alu instid0(VALU_DEP_2)
	v_cmpx_gt_u32_e64 s3, v1
	s_cbranch_execz .LBB455_81
; %bb.78:
	v_add_nc_u32_e32 v1, s17, v7
	v_add_nc_u32_e32 v2, s19, v7
	s_mov_b32 s6, exec_lo
	s_delay_alu instid0(VALU_DEP_2) | instskip(NEXT) | instid1(VALU_DEP_2)
	v_mul_lo_u32 v1, v1, s16
	v_mul_lo_u32 v2, v2, s18
	s_delay_alu instid0(VALU_DEP_1) | instskip(NEXT) | instid1(VALU_DEP_1)
	v_sub_nc_u32_e32 v1, v1, v2
	v_cmp_lt_u32_e32 vcc_lo, s20, v1
	v_cmpx_ge_u32_e64 s20, v1
; %bb.79:
	v_add_nc_u32_e32 v1, s22, v7
	v_add_nc_u32_e32 v2, s40, v7
	s_delay_alu instid0(VALU_DEP_2) | instskip(NEXT) | instid1(VALU_DEP_2)
	v_mul_lo_u32 v1, v1, s21
	v_mul_lo_u32 v2, v2, s23
	s_delay_alu instid0(VALU_DEP_1) | instskip(NEXT) | instid1(VALU_DEP_1)
	v_sub_nc_u32_e32 v1, v1, v2
	v_cmp_lt_u32_e64 s0, s41, v1
	s_delay_alu instid0(VALU_DEP_1)
	s_and_b32 s2, s0, exec_lo
; %bb.80:
	s_or_b32 exec_lo, exec_lo, s6
	v_cndmask_b32_e64 v51, 0, 1, vcc_lo
	v_cndmask_b32_e64 v52, 0, 1, s2
.LBB455_81:
	s_or_b32 exec_lo, exec_lo, s1
	v_add_nc_u32_e32 v1, 12, v28
	s_mov_b32 s42, 0
	s_mov_b32 s43, 0
	s_mov_b32 s0, exec_lo
	s_delay_alu instid0(VALU_DEP_1)
	v_cmpx_gt_u32_e64 s3, v1
	s_cbranch_execz .LBB455_85
; %bb.82:
	v_add_nc_u32_e32 v1, s17, v27
	v_add_nc_u32_e32 v2, s19, v27
	s_mov_b32 s2, -1
	s_mov_b32 s6, 0
	s_mov_b32 s1, exec_lo
	v_mul_lo_u32 v1, v1, s16
	v_mul_lo_u32 v2, v2, s18
	s_delay_alu instid0(VALU_DEP_1) | instskip(NEXT) | instid1(VALU_DEP_1)
	v_sub_nc_u32_e32 v1, v1, v2
	v_cmpx_ge_u32_e64 s20, v1
; %bb.83:
	v_add_nc_u32_e32 v1, s22, v27
	v_add_nc_u32_e32 v2, s40, v27
	s_xor_b32 s2, exec_lo, -1
	s_delay_alu instid0(VALU_DEP_2) | instskip(NEXT) | instid1(VALU_DEP_2)
	v_mul_lo_u32 v1, v1, s21
	v_mul_lo_u32 v2, v2, s23
	s_delay_alu instid0(VALU_DEP_1) | instskip(NEXT) | instid1(VALU_DEP_1)
	v_sub_nc_u32_e32 v1, v1, v2
	v_cmp_lt_u32_e32 vcc_lo, s41, v1
	s_and_b32 s6, vcc_lo, exec_lo
; %bb.84:
	s_or_b32 exec_lo, exec_lo, s1
	s_delay_alu instid0(SALU_CYCLE_1)
	s_and_b32 s43, s6, exec_lo
	s_and_b32 s42, s2, exec_lo
.LBB455_85:
	s_or_b32 exec_lo, exec_lo, s0
.LBB455_86:
	v_and_b32_e32 v75, 0xff, v29
	v_and_b32_e32 v76, 0xff, v30
	;; [unrolled: 1-line block ×10, first 2 shown]
	v_add3_u32 v1, v71, v73, v75
	v_add3_u32 v2, v72, v74, v76
	v_and_b32_e32 v65, 0xff, v41
	v_and_b32_e32 v66, 0xff, v39
	v_and_b32_e32 v61, 0xff, v42
	v_and_b32_e32 v62, 0xff, v40
	v_add3_u32 v1, v1, v69, v67
	v_add3_u32 v2, v2, v70, v68
	v_and_b32_e32 v63, 0xff, v44
	v_and_b32_e32 v64, 0xff, v43
	v_and_b32_e32 v59, 0xff, v46
	v_and_b32_e32 v60, 0xff, v45
	;; [unrolled: 6-line block ×3, first 2 shown]
	v_add3_u32 v1, v1, v63, v59
	v_add3_u32 v2, v2, v64, v60
	v_mbcnt_lo_u32_b32 v77, -1, 0
	v_and_b32_e32 v53, 0xff, v51
	v_and_b32_e32 v54, 0xff, v52
	v_cndmask_b32_e64 v3, 0, 1, s43
	v_add3_u32 v1, v1, v57, v55
	v_cndmask_b32_e64 v4, 0, 1, s42
	v_add3_u32 v2, v2, v58, v56
	v_and_b32_e32 v81, 15, v77
	v_and_b32_e32 v80, 16, v77
	v_lshrrev_b32_e32 v78, 5, v0
	v_add3_u32 v82, v1, v53, v4
	v_add3_u32 v83, v2, v54, v3
	v_cmp_eq_u32_e64 s1, 0, v81
	v_cmp_lt_u32_e64 s0, 1, v81
	v_cmp_lt_u32_e64 s2, 3, v81
	v_cmp_lt_u32_e32 vcc_lo, 7, v81
	v_or_b32_e32 v79, 31, v0
	s_cmp_lg_u32 s15, 0
	s_mov_b32 s6, -1
	s_cbranch_scc0 .LBB455_119
; %bb.87:
	v_mov_b32_dpp v1, v83 row_shr:1 row_mask:0xf bank_mask:0xf
	v_mov_b32_dpp v2, v82 row_shr:1 row_mask:0xf bank_mask:0xf
	s_delay_alu instid0(VALU_DEP_2) | instskip(NEXT) | instid1(VALU_DEP_1)
	v_add_nc_u32_e32 v1, v1, v83
	v_cndmask_b32_e64 v1, v1, v83, s1
	s_delay_alu instid0(VALU_DEP_1) | instskip(NEXT) | instid1(VALU_DEP_1)
	v_mov_b32_dpp v3, v1 row_shr:2 row_mask:0xf bank_mask:0xf
	v_add_nc_u32_e32 v3, v1, v3
	s_delay_alu instid0(VALU_DEP_1) | instskip(NEXT) | instid1(VALU_DEP_1)
	v_cndmask_b32_e64 v1, v1, v3, s0
	v_mov_b32_dpp v3, v1 row_shr:4 row_mask:0xf bank_mask:0xf
	s_delay_alu instid0(VALU_DEP_1) | instskip(NEXT) | instid1(VALU_DEP_1)
	v_add_nc_u32_e32 v3, v1, v3
	v_cndmask_b32_e64 v1, v1, v3, s2
	s_delay_alu instid0(VALU_DEP_1) | instskip(NEXT) | instid1(VALU_DEP_1)
	v_mov_b32_dpp v3, v1 row_shr:8 row_mask:0xf bank_mask:0xf
	v_add_nc_u32_e32 v3, v1, v3
	s_delay_alu instid0(VALU_DEP_1) | instskip(NEXT) | instid1(VALU_DEP_1)
	v_dual_cndmask_b32 v1, v1, v3 :: v_dual_add_nc_u32 v2, v2, v82
	v_cndmask_b32_e64 v2, v2, v82, s1
	s_delay_alu instid0(VALU_DEP_1) | instskip(NEXT) | instid1(VALU_DEP_1)
	v_mov_b32_dpp v4, v2 row_shr:2 row_mask:0xf bank_mask:0xf
	v_add_nc_u32_e32 v4, v2, v4
	s_delay_alu instid0(VALU_DEP_1) | instskip(NEXT) | instid1(VALU_DEP_1)
	v_cndmask_b32_e64 v2, v2, v4, s0
	v_mov_b32_dpp v4, v2 row_shr:4 row_mask:0xf bank_mask:0xf
	s_delay_alu instid0(VALU_DEP_1) | instskip(NEXT) | instid1(VALU_DEP_1)
	v_add_nc_u32_e32 v4, v2, v4
	v_cndmask_b32_e64 v2, v2, v4, s2
	s_mov_b32 s2, exec_lo
	s_delay_alu instid0(VALU_DEP_1) | instskip(NEXT) | instid1(VALU_DEP_1)
	v_mov_b32_dpp v4, v2 row_shr:8 row_mask:0xf bank_mask:0xf
	v_add_nc_u32_e32 v4, v2, v4
	s_delay_alu instid0(VALU_DEP_1)
	v_cndmask_b32_e32 v3, v2, v4, vcc_lo
	ds_swizzle_b32 v2, v1 offset:swizzle(BROADCAST,32,15)
	v_cmp_eq_u32_e32 vcc_lo, 0, v80
	s_waitcnt lgkmcnt(0)
	v_add_nc_u32_e32 v2, v1, v2
	ds_swizzle_b32 v4, v3 offset:swizzle(BROADCAST,32,15)
	v_cndmask_b32_e32 v2, v2, v1, vcc_lo
	s_waitcnt lgkmcnt(0)
	v_add_nc_u32_e32 v4, v3, v4
	s_delay_alu instid0(VALU_DEP_1)
	v_cndmask_b32_e32 v1, v4, v3, vcc_lo
	v_cmpx_eq_u32_e64 v79, v0
	s_cbranch_execz .LBB455_89
; %bb.88:
	v_lshlrev_b32_e32 v3, 3, v78
	ds_store_b64 v3, v[1:2]
.LBB455_89:
	s_or_b32 exec_lo, exec_lo, s2
	s_delay_alu instid0(SALU_CYCLE_1)
	s_mov_b32 s2, exec_lo
	s_waitcnt lgkmcnt(0)
	s_barrier
	buffer_gl0_inv
	v_cmpx_gt_u32_e32 8, v0
	s_cbranch_execz .LBB455_91
; %bb.90:
	v_lshlrev_b32_e32 v5, 3, v0
	ds_load_b64 v[3:4], v5
	s_waitcnt lgkmcnt(0)
	v_mov_b32_dpp v18, v3 row_shr:1 row_mask:0xf bank_mask:0xf
	v_mov_b32_dpp v19, v4 row_shr:1 row_mask:0xf bank_mask:0xf
	s_delay_alu instid0(VALU_DEP_2) | instskip(SKIP_1) | instid1(VALU_DEP_3)
	v_add_nc_u32_e32 v18, v18, v3
	v_and_b32_e32 v20, 7, v77
	v_add_nc_u32_e32 v19, v19, v4
	s_delay_alu instid0(VALU_DEP_2) | instskip(NEXT) | instid1(VALU_DEP_2)
	v_cmp_eq_u32_e32 vcc_lo, 0, v20
	v_dual_cndmask_b32 v4, v19, v4 :: v_dual_cndmask_b32 v3, v18, v3
	v_cmp_lt_u32_e32 vcc_lo, 1, v20
	s_delay_alu instid0(VALU_DEP_2) | instskip(NEXT) | instid1(VALU_DEP_3)
	v_mov_b32_dpp v19, v4 row_shr:2 row_mask:0xf bank_mask:0xf
	v_mov_b32_dpp v18, v3 row_shr:2 row_mask:0xf bank_mask:0xf
	s_delay_alu instid0(VALU_DEP_2) | instskip(NEXT) | instid1(VALU_DEP_2)
	v_add_nc_u32_e32 v19, v4, v19
	v_add_nc_u32_e32 v18, v3, v18
	s_delay_alu instid0(VALU_DEP_1) | instskip(SKIP_1) | instid1(VALU_DEP_2)
	v_dual_cndmask_b32 v4, v4, v19 :: v_dual_cndmask_b32 v3, v3, v18
	v_cmp_lt_u32_e32 vcc_lo, 3, v20
	v_mov_b32_dpp v19, v4 row_shr:4 row_mask:0xf bank_mask:0xf
	s_delay_alu instid0(VALU_DEP_3) | instskip(NEXT) | instid1(VALU_DEP_1)
	v_mov_b32_dpp v18, v3 row_shr:4 row_mask:0xf bank_mask:0xf
	v_dual_cndmask_b32 v19, 0, v19 :: v_dual_cndmask_b32 v18, 0, v18
	s_delay_alu instid0(VALU_DEP_1) | instskip(NEXT) | instid1(VALU_DEP_2)
	v_add_nc_u32_e32 v4, v19, v4
	v_add_nc_u32_e32 v3, v18, v3
	ds_store_b64 v5, v[3:4]
.LBB455_91:
	s_or_b32 exec_lo, exec_lo, s2
	v_cmp_gt_u32_e32 vcc_lo, 32, v0
	v_cmp_lt_u32_e64 s2, 31, v0
	s_waitcnt lgkmcnt(0)
	s_barrier
	buffer_gl0_inv
                                        ; implicit-def: $vgpr19
	s_and_saveexec_b32 s6, s2
	s_delay_alu instid0(SALU_CYCLE_1)
	s_xor_b32 s2, exec_lo, s6
	s_cbranch_execz .LBB455_93
; %bb.92:
	v_lshl_add_u32 v3, v78, 3, -8
	ds_load_b64 v[18:19], v3
	s_waitcnt lgkmcnt(0)
	v_add_nc_u32_e32 v2, v19, v2
	v_add_nc_u32_e32 v1, v18, v1
.LBB455_93:
	s_and_not1_saveexec_b32 s2, s2
; %bb.94:
                                        ; implicit-def: $vgpr18
; %bb.95:
	s_delay_alu instid0(SALU_CYCLE_1) | instskip(SKIP_1) | instid1(VALU_DEP_1)
	s_or_b32 exec_lo, exec_lo, s2
	v_add_nc_u32_e32 v3, -1, v77
	v_cmp_gt_i32_e64 s2, 0, v3
	s_delay_alu instid0(VALU_DEP_1) | instskip(SKIP_1) | instid1(VALU_DEP_2)
	v_cndmask_b32_e64 v3, v3, v77, s2
	v_cmp_eq_u32_e64 s2, 0, v77
	v_lshlrev_b32_e32 v3, 2, v3
	ds_bpermute_b32 v84, v3, v1
	ds_bpermute_b32 v85, v3, v2
	s_and_saveexec_b32 s6, vcc_lo
	s_cbranch_execz .LBB455_118
; %bb.96:
	v_mov_b32_e32 v4, 0
	ds_load_b64 v[1:2], v4 offset:56
	s_waitcnt lgkmcnt(0)
	v_readfirstlane_b32 s7, v2
	s_and_saveexec_b32 s8, s2
	s_cbranch_execz .LBB455_98
; %bb.97:
	s_add_i32 s10, s15, 32
	s_mov_b32 s11, 0
	v_mov_b32_e32 v3, 1
	s_lshl_b64 s[12:13], s[10:11], 4
	s_mov_b32 s16, s11
	s_add_u32 s12, s4, s12
	s_addc_u32 s13, s5, s13
	s_and_b32 s17, s7, 0xff000000
	s_and_b32 s19, s7, 0xff0000
	s_mov_b32 s18, s11
	v_dual_mov_b32 v21, s13 :: v_dual_mov_b32 v20, s12
	s_or_b64 s[16:17], s[18:19], s[16:17]
	s_and_b32 s19, s7, 0xff00
	s_delay_alu instid0(SALU_CYCLE_1) | instskip(SKIP_1) | instid1(SALU_CYCLE_1)
	s_or_b64 s[16:17], s[16:17], s[18:19]
	s_and_b32 s19, s7, 0xff
	s_or_b64 s[10:11], s[16:17], s[18:19]
	s_delay_alu instid0(SALU_CYCLE_1)
	v_mov_b32_e32 v2, s11
	;;#ASMSTART
	global_store_dwordx4 v[20:21], v[1:4] off	
s_waitcnt vmcnt(0)
	;;#ASMEND
.LBB455_98:
	s_or_b32 exec_lo, exec_lo, s8
	v_xad_u32 v20, v77, -1, s15
	s_mov_b32 s9, 0
	s_mov_b32 s8, exec_lo
	s_delay_alu instid0(VALU_DEP_1) | instskip(NEXT) | instid1(VALU_DEP_1)
	v_add_nc_u32_e32 v3, 32, v20
	v_lshlrev_b64 v[2:3], 4, v[3:4]
	s_delay_alu instid0(VALU_DEP_1) | instskip(NEXT) | instid1(VALU_DEP_2)
	v_add_co_u32 v21, vcc_lo, s4, v2
	v_add_co_ci_u32_e32 v22, vcc_lo, s5, v3, vcc_lo
	;;#ASMSTART
	global_load_dwordx4 v[2:5], v[21:22] off glc	
s_waitcnt vmcnt(0)
	;;#ASMEND
	v_and_b32_e32 v5, 0xff, v3
	v_and_b32_e32 v23, 0xff00, v3
	v_or3_b32 v2, v2, 0, 0
	v_and_b32_e32 v24, 0xff000000, v3
	v_and_b32_e32 v3, 0xff0000, v3
	s_delay_alu instid0(VALU_DEP_4) | instskip(SKIP_2) | instid1(VALU_DEP_3)
	v_or3_b32 v5, 0, v5, v23
	v_and_b32_e32 v23, 0xff, v4
	v_or3_b32 v2, v2, 0, 0
	v_or3_b32 v3, v5, v3, v24
	s_delay_alu instid0(VALU_DEP_3)
	v_cmpx_eq_u16_e32 0, v23
	s_cbranch_execz .LBB455_104
; %bb.99:
	s_mov_b32 s10, 1
	.p2align	6
.LBB455_100:                            ; =>This Loop Header: Depth=1
                                        ;     Child Loop BB455_101 Depth 2
	s_delay_alu instid0(SALU_CYCLE_1)
	s_max_u32 s11, s10, 1
.LBB455_101:                            ;   Parent Loop BB455_100 Depth=1
                                        ; =>  This Inner Loop Header: Depth=2
	s_delay_alu instid0(SALU_CYCLE_1)
	s_add_i32 s11, s11, -1
	s_sleep 1
	s_cmp_eq_u32 s11, 0
	s_cbranch_scc0 .LBB455_101
; %bb.102:                              ;   in Loop: Header=BB455_100 Depth=1
	;;#ASMSTART
	global_load_dwordx4 v[2:5], v[21:22] off glc	
s_waitcnt vmcnt(0)
	;;#ASMEND
	v_and_b32_e32 v5, 0xff, v4
	s_cmp_lt_u32 s10, 32
	s_cselect_b32 s11, -1, 0
	s_delay_alu instid0(SALU_CYCLE_1) | instskip(NEXT) | instid1(VALU_DEP_1)
	s_cmp_lg_u32 s11, 0
	v_cmp_ne_u16_e32 vcc_lo, 0, v5
	s_addc_u32 s10, s10, 0
	s_or_b32 s9, vcc_lo, s9
	s_delay_alu instid0(SALU_CYCLE_1)
	s_and_not1_b32 exec_lo, exec_lo, s9
	s_cbranch_execnz .LBB455_100
; %bb.103:
	s_or_b32 exec_lo, exec_lo, s9
.LBB455_104:
	s_delay_alu instid0(SALU_CYCLE_1)
	s_or_b32 exec_lo, exec_lo, s8
	v_cmp_ne_u32_e32 vcc_lo, 31, v77
	v_lshlrev_b32_e64 v87, v77, -1
	v_add_nc_u32_e32 v91, 4, v77
	v_add_nc_u32_e32 v93, 8, v77
	;; [unrolled: 1-line block ×3, first 2 shown]
	v_add_co_ci_u32_e32 v5, vcc_lo, 0, v77, vcc_lo
	s_delay_alu instid0(VALU_DEP_1)
	v_lshlrev_b32_e32 v86, 2, v5
	ds_bpermute_b32 v21, v86, v3
	ds_bpermute_b32 v5, v86, v2
	s_waitcnt lgkmcnt(1)
	v_add_nc_u32_e32 v21, v21, v3
	v_and_b32_e32 v22, 0xff, v4
	s_waitcnt lgkmcnt(0)
	v_add_nc_u32_e32 v5, v5, v2
	s_delay_alu instid0(VALU_DEP_2) | instskip(SKIP_2) | instid1(VALU_DEP_2)
	v_cmp_eq_u16_e32 vcc_lo, 2, v22
	v_and_or_b32 v22, vcc_lo, v87, 0x80000000
	v_cmp_gt_u32_e32 vcc_lo, 30, v77
	v_ctz_i32_b32_e32 v22, v22
	v_cndmask_b32_e64 v23, 0, 1, vcc_lo
	s_delay_alu instid0(VALU_DEP_2) | instskip(NEXT) | instid1(VALU_DEP_2)
	v_cmp_lt_u32_e32 vcc_lo, v77, v22
	v_dual_cndmask_b32 v2, v2, v5 :: v_dual_lshlrev_b32 v23, 1, v23
	s_delay_alu instid0(VALU_DEP_1)
	v_add_lshl_u32 v88, v23, v77, 2
	v_cndmask_b32_e32 v3, v3, v21, vcc_lo
	v_cmp_gt_u32_e32 vcc_lo, 28, v77
	ds_bpermute_b32 v5, v88, v2
	ds_bpermute_b32 v21, v88, v3
	v_cndmask_b32_e64 v23, 0, 1, vcc_lo
	s_waitcnt lgkmcnt(1)
	v_add_nc_u32_e32 v5, v2, v5
	v_add_nc_u32_e32 v89, 2, v77
	s_waitcnt lgkmcnt(0)
	v_add_nc_u32_e32 v21, v3, v21
	s_delay_alu instid0(VALU_DEP_2) | instskip(SKIP_1) | instid1(VALU_DEP_3)
	v_cmp_gt_u32_e32 vcc_lo, v89, v22
	v_dual_cndmask_b32 v2, v5, v2 :: v_dual_lshlrev_b32 v23, 2, v23
	v_cndmask_b32_e32 v3, v21, v3, vcc_lo
	v_cmp_gt_u32_e32 vcc_lo, 24, v77
	s_delay_alu instid0(VALU_DEP_3)
	v_add_lshl_u32 v90, v23, v77, 2
	v_cndmask_b32_e64 v23, 0, 1, vcc_lo
	v_cmp_gt_u32_e32 vcc_lo, v91, v22
	ds_bpermute_b32 v5, v90, v2
	ds_bpermute_b32 v21, v90, v3
	v_lshlrev_b32_e32 v23, 3, v23
	s_delay_alu instid0(VALU_DEP_1) | instskip(SKIP_3) | instid1(VALU_DEP_1)
	v_add_lshl_u32 v92, v23, v77, 2
	s_waitcnt lgkmcnt(1)
	v_add_nc_u32_e32 v5, v2, v5
	s_waitcnt lgkmcnt(0)
	v_dual_cndmask_b32 v2, v5, v2 :: v_dual_add_nc_u32 v21, v3, v21
	s_delay_alu instid0(VALU_DEP_1)
	v_cndmask_b32_e32 v3, v21, v3, vcc_lo
	v_cmp_gt_u32_e32 vcc_lo, 16, v77
	ds_bpermute_b32 v5, v92, v2
	ds_bpermute_b32 v21, v92, v3
	v_cndmask_b32_e64 v23, 0, 1, vcc_lo
	v_cmp_gt_u32_e32 vcc_lo, v93, v22
	s_delay_alu instid0(VALU_DEP_2) | instskip(NEXT) | instid1(VALU_DEP_1)
	v_lshlrev_b32_e32 v23, 4, v23
	v_add_lshl_u32 v94, v23, v77, 2
	s_waitcnt lgkmcnt(1)
	v_add_nc_u32_e32 v5, v2, v5
	s_waitcnt lgkmcnt(0)
	s_delay_alu instid0(VALU_DEP_1) | instskip(NEXT) | instid1(VALU_DEP_1)
	v_dual_cndmask_b32 v2, v5, v2 :: v_dual_add_nc_u32 v21, v3, v21
	v_cndmask_b32_e32 v3, v21, v3, vcc_lo
	v_cmp_le_u32_e32 vcc_lo, v95, v22
	ds_bpermute_b32 v5, v94, v2
	ds_bpermute_b32 v21, v94, v3
	s_waitcnt lgkmcnt(1)
	v_cndmask_b32_e32 v5, 0, v5, vcc_lo
	s_waitcnt lgkmcnt(0)
	s_delay_alu instid0(VALU_DEP_1) | instskip(NEXT) | instid1(VALU_DEP_1)
	v_dual_cndmask_b32 v21, 0, v21 :: v_dual_add_nc_u32 v2, v5, v2
	v_add_nc_u32_e32 v3, v21, v3
	v_mov_b32_e32 v21, 0
	s_branch .LBB455_106
.LBB455_105:                            ;   in Loop: Header=BB455_106 Depth=1
	s_or_b32 exec_lo, exec_lo, s8
	ds_bpermute_b32 v5, v86, v2
	ds_bpermute_b32 v24, v86, v3
	v_subrev_nc_u32_e32 v20, 32, v20
	s_waitcnt lgkmcnt(1)
	v_add_nc_u32_e32 v5, v5, v2
	v_and_b32_e32 v25, 0xff, v4
	s_waitcnt lgkmcnt(0)
	v_add_nc_u32_e32 v24, v24, v3
	s_delay_alu instid0(VALU_DEP_2) | instskip(SKIP_1) | instid1(VALU_DEP_1)
	v_cmp_eq_u16_e32 vcc_lo, 2, v25
	v_and_or_b32 v25, vcc_lo, v87, 0x80000000
	v_ctz_i32_b32_e32 v25, v25
	s_delay_alu instid0(VALU_DEP_1)
	v_cmp_lt_u32_e32 vcc_lo, v77, v25
	v_cndmask_b32_e32 v2, v2, v5, vcc_lo
	ds_bpermute_b32 v5, v88, v2
	s_waitcnt lgkmcnt(0)
	v_add_nc_u32_e32 v5, v2, v5
	v_cndmask_b32_e32 v3, v3, v24, vcc_lo
	v_cmp_gt_u32_e32 vcc_lo, v89, v25
	s_delay_alu instid0(VALU_DEP_3)
	v_cndmask_b32_e32 v2, v5, v2, vcc_lo
	ds_bpermute_b32 v24, v88, v3
	ds_bpermute_b32 v5, v90, v2
	s_waitcnt lgkmcnt(1)
	v_add_nc_u32_e32 v24, v3, v24
	s_waitcnt lgkmcnt(0)
	v_add_nc_u32_e32 v5, v2, v5
	s_delay_alu instid0(VALU_DEP_2) | instskip(SKIP_1) | instid1(VALU_DEP_3)
	v_cndmask_b32_e32 v3, v24, v3, vcc_lo
	v_cmp_gt_u32_e32 vcc_lo, v91, v25
	v_cndmask_b32_e32 v2, v5, v2, vcc_lo
	ds_bpermute_b32 v24, v90, v3
	ds_bpermute_b32 v5, v92, v2
	s_waitcnt lgkmcnt(1)
	v_add_nc_u32_e32 v24, v3, v24
	s_waitcnt lgkmcnt(0)
	v_add_nc_u32_e32 v5, v2, v5
	s_delay_alu instid0(VALU_DEP_2) | instskip(SKIP_1) | instid1(VALU_DEP_3)
	v_cndmask_b32_e32 v3, v24, v3, vcc_lo
	v_cmp_gt_u32_e32 vcc_lo, v93, v25
	v_cndmask_b32_e32 v2, v5, v2, vcc_lo
	ds_bpermute_b32 v24, v92, v3
	ds_bpermute_b32 v5, v94, v2
	s_waitcnt lgkmcnt(1)
	v_add_nc_u32_e32 v24, v3, v24
	s_delay_alu instid0(VALU_DEP_1) | instskip(SKIP_4) | instid1(VALU_DEP_1)
	v_cndmask_b32_e32 v3, v24, v3, vcc_lo
	v_cmp_le_u32_e32 vcc_lo, v95, v25
	ds_bpermute_b32 v24, v94, v3
	s_waitcnt lgkmcnt(1)
	v_cndmask_b32_e32 v5, 0, v5, vcc_lo
	v_add3_u32 v2, v2, v22, v5
	s_waitcnt lgkmcnt(0)
	v_cndmask_b32_e32 v24, 0, v24, vcc_lo
	s_delay_alu instid0(VALU_DEP_1)
	v_add3_u32 v3, v3, v23, v24
.LBB455_106:                            ; =>This Loop Header: Depth=1
                                        ;     Child Loop BB455_109 Depth 2
                                        ;       Child Loop BB455_110 Depth 3
	s_delay_alu instid0(VALU_DEP_1) | instskip(SKIP_1) | instid1(VALU_DEP_2)
	v_dual_mov_b32 v23, v3 :: v_dual_and_b32 v4, 0xff, v4
	v_mov_b32_e32 v22, v2
	v_cmp_ne_u16_e32 vcc_lo, 2, v4
	v_cndmask_b32_e64 v4, 0, 1, vcc_lo
	;;#ASMSTART
	;;#ASMEND
	s_delay_alu instid0(VALU_DEP_1)
	v_cmp_ne_u32_e32 vcc_lo, 0, v4
	s_cmp_lg_u32 vcc_lo, exec_lo
	s_cbranch_scc1 .LBB455_113
; %bb.107:                              ;   in Loop: Header=BB455_106 Depth=1
	v_lshlrev_b64 v[2:3], 4, v[20:21]
	s_mov_b32 s8, exec_lo
	s_delay_alu instid0(VALU_DEP_1) | instskip(NEXT) | instid1(VALU_DEP_2)
	v_add_co_u32 v24, vcc_lo, s4, v2
	v_add_co_ci_u32_e32 v25, vcc_lo, s5, v3, vcc_lo
	;;#ASMSTART
	global_load_dwordx4 v[2:5], v[24:25] off glc	
s_waitcnt vmcnt(0)
	;;#ASMEND
	v_and_b32_e32 v5, 0xff, v3
	v_and_b32_e32 v96, 0xff00, v3
	v_or3_b32 v2, v2, 0, 0
	v_and_b32_e32 v97, 0xff000000, v3
	v_and_b32_e32 v3, 0xff0000, v3
	s_delay_alu instid0(VALU_DEP_4) | instskip(SKIP_2) | instid1(VALU_DEP_3)
	v_or3_b32 v5, 0, v5, v96
	v_and_b32_e32 v96, 0xff, v4
	v_or3_b32 v2, v2, 0, 0
	v_or3_b32 v3, v5, v3, v97
	s_delay_alu instid0(VALU_DEP_3)
	v_cmpx_eq_u16_e32 0, v96
	s_cbranch_execz .LBB455_105
; %bb.108:                              ;   in Loop: Header=BB455_106 Depth=1
	s_mov_b32 s10, 1
	s_mov_b32 s9, 0
	.p2align	6
.LBB455_109:                            ;   Parent Loop BB455_106 Depth=1
                                        ; =>  This Loop Header: Depth=2
                                        ;       Child Loop BB455_110 Depth 3
	s_max_u32 s11, s10, 1
.LBB455_110:                            ;   Parent Loop BB455_106 Depth=1
                                        ;     Parent Loop BB455_109 Depth=2
                                        ; =>    This Inner Loop Header: Depth=3
	s_delay_alu instid0(SALU_CYCLE_1)
	s_add_i32 s11, s11, -1
	s_sleep 1
	s_cmp_eq_u32 s11, 0
	s_cbranch_scc0 .LBB455_110
; %bb.111:                              ;   in Loop: Header=BB455_109 Depth=2
	;;#ASMSTART
	global_load_dwordx4 v[2:5], v[24:25] off glc	
s_waitcnt vmcnt(0)
	;;#ASMEND
	v_and_b32_e32 v5, 0xff, v4
	s_cmp_lt_u32 s10, 32
	s_cselect_b32 s11, -1, 0
	s_delay_alu instid0(SALU_CYCLE_1) | instskip(NEXT) | instid1(VALU_DEP_1)
	s_cmp_lg_u32 s11, 0
	v_cmp_ne_u16_e32 vcc_lo, 0, v5
	s_addc_u32 s10, s10, 0
	s_or_b32 s9, vcc_lo, s9
	s_delay_alu instid0(SALU_CYCLE_1)
	s_and_not1_b32 exec_lo, exec_lo, s9
	s_cbranch_execnz .LBB455_109
; %bb.112:                              ;   in Loop: Header=BB455_106 Depth=1
	s_or_b32 exec_lo, exec_lo, s9
	s_branch .LBB455_105
.LBB455_113:                            ;   in Loop: Header=BB455_106 Depth=1
                                        ; implicit-def: $vgpr4
                                        ; implicit-def: $vgpr2_vgpr3
	s_cbranch_execz .LBB455_106
; %bb.114:
	s_and_saveexec_b32 s8, s2
	s_cbranch_execnz .LBB455_357
; %bb.115:
	s_or_b32 exec_lo, exec_lo, s8
	s_and_saveexec_b32 s8, s2
	s_cbranch_execnz .LBB455_358
.LBB455_116:
	s_or_b32 exec_lo, exec_lo, s8
	v_cmp_eq_u32_e32 vcc_lo, 0, v0
	s_and_b32 exec_lo, exec_lo, vcc_lo
	s_cbranch_execz .LBB455_118
.LBB455_117:
	v_mov_b32_e32 v1, 0
	ds_store_b64 v1, v[22:23] offset:56
.LBB455_118:
	s_or_b32 exec_lo, exec_lo, s6
	v_cmp_eq_u32_e32 vcc_lo, 0, v0
	v_mov_b32_e32 v1, 0
	s_waitcnt lgkmcnt(0)
	s_barrier
	buffer_gl0_inv
	v_add_nc_u32_e64 v3, 0x3400, 0
	ds_load_b64 v[20:21], v1 offset:56
	s_waitcnt lgkmcnt(0)
	s_barrier
	buffer_gl0_inv
	ds_load_2addr_b32 v[1:2], v3 offset1:2
	ds_load_2addr_b32 v[3:4], v3 offset0:4 offset1:6
	v_cndmask_b32_e64 v5, v84, v18, s2
	v_cndmask_b32_e64 v18, v85, v19, s2
	s_delay_alu instid0(VALU_DEP_2) | instskip(NEXT) | instid1(VALU_DEP_1)
	v_add_nc_u32_e32 v19, v20, v5
	v_dual_cndmask_b32 v20, v19, v20 :: v_dual_add_nc_u32 v5, v21, v18
	s_delay_alu instid0(VALU_DEP_1)
	v_cndmask_b32_e32 v5, v5, v21, vcc_lo
	s_branch .LBB455_129
.LBB455_119:
                                        ; implicit-def: $vgpr5
                                        ; implicit-def: $vgpr3
                                        ; implicit-def: $vgpr1
                                        ; implicit-def: $vgpr20_vgpr21
	s_and_b32 vcc_lo, exec_lo, s6
	s_cbranch_vccz .LBB455_129
; %bb.120:
	s_waitcnt lgkmcnt(0)
	v_mov_b32_dpp v2, v83 row_shr:1 row_mask:0xf bank_mask:0xf
	v_cmp_lt_u32_e32 vcc_lo, 3, v81
	v_mov_b32_dpp v1, v82 row_shr:1 row_mask:0xf bank_mask:0xf
	s_delay_alu instid0(VALU_DEP_3) | instskip(NEXT) | instid1(VALU_DEP_1)
	v_add_nc_u32_e32 v2, v2, v83
	v_cndmask_b32_e64 v2, v2, v83, s1
	s_delay_alu instid0(VALU_DEP_1) | instskip(NEXT) | instid1(VALU_DEP_1)
	v_mov_b32_dpp v4, v2 row_shr:2 row_mask:0xf bank_mask:0xf
	v_add_nc_u32_e32 v4, v2, v4
	s_delay_alu instid0(VALU_DEP_1) | instskip(NEXT) | instid1(VALU_DEP_1)
	v_cndmask_b32_e64 v2, v2, v4, s0
	v_mov_b32_dpp v4, v2 row_shr:4 row_mask:0xf bank_mask:0xf
	s_delay_alu instid0(VALU_DEP_1) | instskip(NEXT) | instid1(VALU_DEP_1)
	v_add_nc_u32_e32 v4, v2, v4
	v_dual_cndmask_b32 v2, v2, v4 :: v_dual_add_nc_u32 v1, v1, v82
	s_delay_alu instid0(VALU_DEP_1) | instskip(NEXT) | instid1(VALU_DEP_2)
	v_cndmask_b32_e64 v1, v1, v82, s1
	v_mov_b32_dpp v4, v2 row_shr:8 row_mask:0xf bank_mask:0xf
	s_delay_alu instid0(VALU_DEP_2) | instskip(NEXT) | instid1(VALU_DEP_2)
	v_mov_b32_dpp v3, v1 row_shr:2 row_mask:0xf bank_mask:0xf
	v_add_nc_u32_e32 v4, v2, v4
	s_delay_alu instid0(VALU_DEP_2) | instskip(NEXT) | instid1(VALU_DEP_1)
	v_add_nc_u32_e32 v3, v1, v3
	v_cndmask_b32_e64 v1, v1, v3, s0
	s_mov_b32 s0, exec_lo
	s_delay_alu instid0(VALU_DEP_1) | instskip(NEXT) | instid1(VALU_DEP_1)
	v_mov_b32_dpp v3, v1 row_shr:4 row_mask:0xf bank_mask:0xf
	v_add_nc_u32_e32 v3, v1, v3
	s_delay_alu instid0(VALU_DEP_1) | instskip(SKIP_1) | instid1(VALU_DEP_2)
	v_cndmask_b32_e32 v1, v1, v3, vcc_lo
	v_cmp_lt_u32_e32 vcc_lo, 7, v81
	v_mov_b32_dpp v3, v1 row_shr:8 row_mask:0xf bank_mask:0xf
	s_delay_alu instid0(VALU_DEP_1) | instskip(NEXT) | instid1(VALU_DEP_1)
	v_dual_cndmask_b32 v2, v2, v4 :: v_dual_add_nc_u32 v3, v1, v3
	v_cndmask_b32_e32 v1, v1, v3, vcc_lo
	ds_swizzle_b32 v3, v2 offset:swizzle(BROADCAST,32,15)
	v_cmp_eq_u32_e32 vcc_lo, 0, v80
	ds_swizzle_b32 v4, v1 offset:swizzle(BROADCAST,32,15)
	s_waitcnt lgkmcnt(1)
	v_add_nc_u32_e32 v3, v2, v3
	s_waitcnt lgkmcnt(0)
	v_add_nc_u32_e32 v4, v1, v4
	s_delay_alu instid0(VALU_DEP_1)
	v_dual_cndmask_b32 v2, v3, v2 :: v_dual_cndmask_b32 v1, v4, v1
	v_cmpx_eq_u32_e64 v79, v0
	s_cbranch_execz .LBB455_122
; %bb.121:
	v_lshlrev_b32_e32 v3, 3, v78
	ds_store_b64 v3, v[1:2]
.LBB455_122:
	s_or_b32 exec_lo, exec_lo, s0
	s_delay_alu instid0(SALU_CYCLE_1)
	s_mov_b32 s0, exec_lo
	s_waitcnt lgkmcnt(0)
	s_barrier
	buffer_gl0_inv
	v_cmpx_gt_u32_e32 8, v0
	s_cbranch_execz .LBB455_124
; %bb.123:
	v_lshlrev_b32_e32 v5, 3, v0
	ds_load_b64 v[3:4], v5
	s_waitcnt lgkmcnt(0)
	v_mov_b32_dpp v18, v3 row_shr:1 row_mask:0xf bank_mask:0xf
	v_mov_b32_dpp v19, v4 row_shr:1 row_mask:0xf bank_mask:0xf
	s_delay_alu instid0(VALU_DEP_2) | instskip(SKIP_1) | instid1(VALU_DEP_3)
	v_add_nc_u32_e32 v18, v18, v3
	v_and_b32_e32 v20, 7, v77
	v_add_nc_u32_e32 v19, v19, v4
	s_delay_alu instid0(VALU_DEP_2) | instskip(NEXT) | instid1(VALU_DEP_2)
	v_cmp_eq_u32_e32 vcc_lo, 0, v20
	v_dual_cndmask_b32 v4, v19, v4 :: v_dual_cndmask_b32 v3, v18, v3
	v_cmp_lt_u32_e32 vcc_lo, 1, v20
	s_delay_alu instid0(VALU_DEP_2) | instskip(NEXT) | instid1(VALU_DEP_3)
	v_mov_b32_dpp v19, v4 row_shr:2 row_mask:0xf bank_mask:0xf
	v_mov_b32_dpp v18, v3 row_shr:2 row_mask:0xf bank_mask:0xf
	s_delay_alu instid0(VALU_DEP_2) | instskip(NEXT) | instid1(VALU_DEP_2)
	v_add_nc_u32_e32 v19, v4, v19
	v_add_nc_u32_e32 v18, v3, v18
	s_delay_alu instid0(VALU_DEP_1) | instskip(SKIP_1) | instid1(VALU_DEP_2)
	v_dual_cndmask_b32 v4, v4, v19 :: v_dual_cndmask_b32 v3, v3, v18
	v_cmp_lt_u32_e32 vcc_lo, 3, v20
	v_mov_b32_dpp v19, v4 row_shr:4 row_mask:0xf bank_mask:0xf
	s_delay_alu instid0(VALU_DEP_3) | instskip(NEXT) | instid1(VALU_DEP_1)
	v_mov_b32_dpp v18, v3 row_shr:4 row_mask:0xf bank_mask:0xf
	v_dual_cndmask_b32 v19, 0, v19 :: v_dual_cndmask_b32 v18, 0, v18
	s_delay_alu instid0(VALU_DEP_1) | instskip(NEXT) | instid1(VALU_DEP_2)
	v_add_nc_u32_e32 v4, v19, v4
	v_add_nc_u32_e32 v3, v18, v3
	ds_store_b64 v5, v[3:4]
.LBB455_124:
	s_or_b32 exec_lo, exec_lo, s0
	v_dual_mov_b32 v3, 0 :: v_dual_mov_b32 v18, 0
	v_mov_b32_e32 v19, 0
	s_mov_b32 s0, exec_lo
	s_waitcnt lgkmcnt(0)
	s_barrier
	buffer_gl0_inv
	v_cmpx_lt_u32_e32 31, v0
	s_cbranch_execz .LBB455_126
; %bb.125:
	v_lshl_add_u32 v4, v78, 3, -8
	ds_load_b64 v[18:19], v4
.LBB455_126:
	s_or_b32 exec_lo, exec_lo, s0
	v_add_nc_u32_e32 v4, -1, v77
	s_waitcnt lgkmcnt(0)
	v_add_nc_u32_e32 v20, v19, v2
	v_add_nc_u32_e32 v5, v18, v1
	ds_load_b64 v[1:2], v3 offset:56
	v_cmp_gt_i32_e32 vcc_lo, 0, v4
	v_cndmask_b32_e32 v4, v4, v77, vcc_lo
	v_cmp_eq_u32_e32 vcc_lo, 0, v0
	s_delay_alu instid0(VALU_DEP_2)
	v_lshlrev_b32_e32 v4, 2, v4
	ds_bpermute_b32 v5, v4, v5
	ds_bpermute_b32 v20, v4, v20
	s_waitcnt lgkmcnt(2)
	v_readfirstlane_b32 s1, v2
	s_and_saveexec_b32 s0, vcc_lo
	s_cbranch_execz .LBB455_128
; %bb.127:
	s_mov_b32 s6, 0
	s_add_u32 s4, s4, 0x200
	s_addc_u32 s5, s5, 0
	s_and_b32 s7, s1, 0xff000000
	s_and_b32 s9, s1, 0xff0000
	s_mov_b32 s8, s6
	v_mov_b32_e32 v22, s5
	s_or_b64 s[8:9], s[8:9], s[6:7]
	s_and_b32 s7, s1, 0xff00
	v_dual_mov_b32 v4, 0 :: v_dual_mov_b32 v21, s4
	s_or_b64 s[8:9], s[8:9], s[6:7]
	s_and_b32 s7, s1, 0xff
	v_mov_b32_e32 v3, 2
	s_or_b64 s[6:7], s[8:9], s[6:7]
	s_delay_alu instid0(SALU_CYCLE_1)
	v_mov_b32_e32 v2, s7
	;;#ASMSTART
	global_store_dwordx4 v[21:22], v[1:4] off	
s_waitcnt vmcnt(0)
	;;#ASMEND
.LBB455_128:
	s_or_b32 exec_lo, exec_lo, s0
	v_cmp_eq_u32_e64 s0, 0, v77
	v_dual_mov_b32 v3, 0 :: v_dual_mov_b32 v2, s1
	s_waitcnt lgkmcnt(0)
	s_barrier
	s_delay_alu instid0(VALU_DEP_2)
	v_cndmask_b32_e64 v4, v5, v18, s0
	v_cndmask_b32_e64 v5, v20, v19, s0
	buffer_gl0_inv
	v_cndmask_b32_e64 v20, v4, 0, vcc_lo
	v_cndmask_b32_e64 v5, v5, 0, vcc_lo
	v_mov_b32_e32 v4, 0
.LBB455_129:
	v_and_b32_e32 v30, 1, v30
	v_and_b32_e32 v34, 1, v34
	;; [unrolled: 1-line block ×4, first 2 shown]
	s_waitcnt lgkmcnt(0)
	v_add_co_u32 v18, s0, s28, v3
	v_cmp_eq_u32_e32 vcc_lo, 1, v30
	v_add_nc_u32_e32 v22, v5, v76
	v_sub_nc_u32_e32 v5, v5, v4
	v_add_co_ci_u32_e64 v19, null, s29, 0, s0
	s_mov_b32 s2, -1
	s_delay_alu instid0(VALU_DEP_3) | instskip(SKIP_3) | instid1(VALU_DEP_3)
	v_add_nc_u32_e32 v24, v22, v72
	v_sub_nc_u32_e32 v22, v22, v4
	v_add_nc_u32_e32 v5, v5, v1
	v_sub_co_u32 v72, s0, s30, v1
	v_add_nc_u32_e32 v22, v22, v1
	v_add_nc_u32_e32 v21, v20, v75
	v_sub_nc_u32_e32 v20, v20, v3
	s_delay_alu instid0(VALU_DEP_2)
	v_add_nc_u32_e32 v23, v21, v71
	v_add_nc_u32_e32 v71, v24, v74
	v_lshlrev_b32_e32 v74, 1, v1
	v_sub_nc_u32_e32 v21, v21, v3
	v_add_nc_u32_e32 v75, v20, v5
	v_sub_nc_u32_e32 v24, v24, v4
	s_delay_alu instid0(VALU_DEP_4) | instskip(NEXT) | instid1(VALU_DEP_4)
	v_add3_u32 v28, v74, v2, v28
	v_add_nc_u32_e32 v76, v22, v21
	s_delay_alu instid0(VALU_DEP_3) | instskip(NEXT) | instid1(VALU_DEP_3)
	v_add_nc_u32_e32 v24, v24, v1
	v_sub_nc_u32_e32 v75, v28, v75
	s_delay_alu instid0(VALU_DEP_3) | instskip(NEXT) | instid1(VALU_DEP_1)
	v_sub_nc_u32_e32 v76, v28, v76
	v_dual_cndmask_b32 v5, v75, v5 :: v_dual_add_nc_u32 v30, 1, v76
	v_cmp_eq_u32_e32 vcc_lo, 1, v34
	s_delay_alu instid0(VALU_DEP_2) | instskip(SKIP_1) | instid1(VALU_DEP_4)
	v_cndmask_b32_e32 v22, v30, v22, vcc_lo
	v_cmp_eq_u32_e32 vcc_lo, 1, v29
	v_cndmask_b32_e32 v5, v5, v20, vcc_lo
	v_and_b32_e32 v20, 1, v36
	v_cmp_eq_u32_e32 vcc_lo, 1, v33
	s_delay_alu instid0(VALU_DEP_3) | instskip(SKIP_1) | instid1(VALU_DEP_4)
	v_lshlrev_b32_e32 v5, 2, v5
	v_cndmask_b32_e32 v21, v22, v21, vcc_lo
	v_cmp_eq_u32_e32 vcc_lo, 1, v20
	v_add_nc_u32_e32 v25, v23, v73
	v_sub_nc_u32_e32 v23, v23, v3
	v_and_b32_e32 v22, 1, v31
	v_sub_co_ci_u32_e64 v73, null, s31, 0, s0
	v_and_b32_e32 v31, 1, v32
	s_delay_alu instid0(VALU_DEP_4) | instskip(NEXT) | instid1(VALU_DEP_1)
	v_add_nc_u32_e32 v77, v24, v23
	v_sub_nc_u32_e32 v75, v28, v77
	s_delay_alu instid0(VALU_DEP_1) | instskip(NEXT) | instid1(VALU_DEP_1)
	v_add_nc_u32_e32 v29, 2, v75
	v_cndmask_b32_e32 v20, v29, v24, vcc_lo
	v_sub_nc_u32_e32 v24, v71, v4
	v_cmp_eq_u32_e32 vcc_lo, 1, v22
	v_add_nc_u32_e32 v69, v25, v69
	v_lshlrev_b32_e32 v29, 2, v21
	ds_store_b32 v5, v16
	ds_store_b32 v29, v17
	v_cndmask_b32_e32 v22, v20, v23, vcc_lo
	v_sub_nc_u32_e32 v23, v25, v3
	v_add_nc_u32_e32 v24, v24, v1
	v_add_co_u32 v20, vcc_lo, v72, v4
	s_delay_alu instid0(VALU_DEP_4) | instskip(SKIP_1) | instid1(VALU_DEP_4)
	v_lshlrev_b32_e32 v5, 2, v22
	v_and_b32_e32 v22, 1, v35
	v_add_nc_u32_e32 v25, v23, v24
	v_add_co_ci_u32_e32 v21, vcc_lo, 0, v73, vcc_lo
	ds_store_b32 v5, v14
	v_cmp_eq_u32_e32 vcc_lo, 1, v22
	v_sub_nc_u32_e32 v17, v28, v25
	v_sub_nc_u32_e32 v29, v69, v3
	v_add_nc_u32_e32 v67, v69, v67
	s_delay_alu instid0(VALU_DEP_3) | instskip(NEXT) | instid1(VALU_DEP_2)
	v_add_nc_u32_e32 v17, 3, v17
	v_sub_nc_u32_e32 v30, v67, v3
	s_delay_alu instid0(VALU_DEP_2) | instskip(SKIP_2) | instid1(VALU_DEP_3)
	v_cndmask_b32_e32 v17, v17, v24, vcc_lo
	v_cmp_eq_u32_e32 vcc_lo, 1, v31
	v_and_b32_e32 v24, 1, v39
	v_cndmask_b32_e32 v14, v17, v23, vcc_lo
	v_add_nc_u32_e32 v70, v71, v70
	v_and_b32_e32 v23, 1, v38
	s_delay_alu instid0(VALU_DEP_3) | instskip(NEXT) | instid1(VALU_DEP_3)
	v_lshlrev_b32_e32 v14, 2, v14
	v_add_nc_u32_e32 v68, v70, v68
	v_sub_nc_u32_e32 v16, v70, v4
	ds_store_b32 v14, v15
	v_sub_nc_u32_e32 v25, v68, v4
	v_add_nc_u32_e32 v16, v16, v1
	s_delay_alu instid0(VALU_DEP_2) | instskip(NEXT) | instid1(VALU_DEP_2)
	v_add_nc_u32_e32 v25, v25, v1
	v_add_nc_u32_e32 v32, v29, v16
	s_delay_alu instid0(VALU_DEP_2) | instskip(NEXT) | instid1(VALU_DEP_2)
	v_add_nc_u32_e32 v22, v30, v25
	v_sub_nc_u32_e32 v5, v28, v32
	s_delay_alu instid0(VALU_DEP_2) | instskip(SKIP_1) | instid1(VALU_DEP_3)
	v_sub_nc_u32_e32 v17, v28, v22
	v_and_b32_e32 v22, 1, v37
	v_add_nc_u32_e32 v5, 4, v5
	s_delay_alu instid0(VALU_DEP_3) | instskip(NEXT) | instid1(VALU_DEP_3)
	v_add_nc_u32_e32 v17, 5, v17
	v_cmp_eq_u32_e32 vcc_lo, 1, v22
	s_delay_alu instid0(VALU_DEP_3)
	v_cndmask_b32_e32 v5, v5, v16, vcc_lo
	v_cmp_eq_u32_e32 vcc_lo, 1, v24
	v_and_b32_e32 v16, 1, v41
	v_cndmask_b32_e32 v17, v17, v25, vcc_lo
	v_cmp_eq_u32_e32 vcc_lo, 1, v23
	v_cndmask_b32_e32 v5, v5, v29, vcc_lo
	s_delay_alu instid0(VALU_DEP_4) | instskip(SKIP_1) | instid1(VALU_DEP_3)
	v_cmp_eq_u32_e32 vcc_lo, 1, v16
	v_add_nc_u32_e32 v66, v68, v66
	v_dual_cndmask_b32 v16, v17, v30 :: v_dual_lshlrev_b32 v5, 2, v5
	s_delay_alu instid0(VALU_DEP_2) | instskip(SKIP_1) | instid1(VALU_DEP_3)
	v_sub_nc_u32_e32 v22, v66, v4
	v_add_nc_u32_e32 v62, v66, v62
	v_lshlrev_b32_e32 v16, 2, v16
	ds_store_b32 v5, v12
	ds_store_b32 v16, v13
	v_and_b32_e32 v12, 1, v40
	v_add_nc_u32_e32 v22, v22, v1
	v_add_nc_u32_e32 v64, v62, v64
	v_sub_nc_u32_e32 v17, v62, v4
	v_and_b32_e32 v16, 1, v43
	v_cmp_eq_u32_e32 vcc_lo, 1, v12
	v_add_nc_u32_e32 v65, v67, v65
	v_sub_nc_u32_e32 v15, v64, v4
	v_add_nc_u32_e32 v17, v17, v1
	s_delay_alu instid0(VALU_DEP_3) | instskip(NEXT) | instid1(VALU_DEP_3)
	v_sub_nc_u32_e32 v23, v65, v3
	v_add_nc_u32_e32 v15, v15, v1
	s_delay_alu instid0(VALU_DEP_2) | instskip(NEXT) | instid1(VALU_DEP_1)
	v_add_nc_u32_e32 v24, v23, v22
	v_sub_nc_u32_e32 v14, v28, v24
	v_and_b32_e32 v24, 1, v48
	s_delay_alu instid0(VALU_DEP_2) | instskip(SKIP_1) | instid1(VALU_DEP_2)
	v_add_nc_u32_e32 v13, 6, v14
	v_and_b32_e32 v14, 1, v42
	v_cndmask_b32_e32 v12, v13, v22, vcc_lo
	v_add_nc_u32_e32 v61, v65, v61
	s_delay_alu instid0(VALU_DEP_3) | instskip(SKIP_1) | instid1(VALU_DEP_3)
	v_cmp_eq_u32_e32 vcc_lo, 1, v14
	v_and_b32_e32 v22, 1, v44
	v_sub_nc_u32_e32 v25, v61, v3
	v_add_nc_u32_e32 v63, v61, v63
	v_cndmask_b32_e32 v12, v12, v23, vcc_lo
	v_cmp_eq_u32_e32 vcc_lo, 1, v16
	v_and_b32_e32 v23, 1, v46
	v_add_nc_u32_e32 v5, v25, v17
	v_sub_nc_u32_e32 v13, v63, v3
	v_lshlrev_b32_e32 v12, 2, v12
	v_add_nc_u32_e32 v59, v63, v59
	s_delay_alu instid0(VALU_DEP_4) | instskip(NEXT) | instid1(VALU_DEP_4)
	v_sub_nc_u32_e32 v5, v28, v5
	v_add_nc_u32_e32 v14, v13, v15
	s_delay_alu instid0(VALU_DEP_3) | instskip(NEXT) | instid1(VALU_DEP_3)
	v_add_nc_u32_e32 v57, v59, v57
	v_add_nc_u32_e32 v5, 7, v5
	s_delay_alu instid0(VALU_DEP_3) | instskip(NEXT) | instid1(VALU_DEP_3)
	v_sub_nc_u32_e32 v14, v28, v14
	v_add_nc_u32_e32 v55, v57, v55
	s_delay_alu instid0(VALU_DEP_3)
	v_cndmask_b32_e32 v5, v5, v17, vcc_lo
	v_cmp_eq_u32_e32 vcc_lo, 1, v22
	v_and_b32_e32 v17, 1, v45
	v_add_nc_u32_e32 v14, 8, v14
	v_sub_nc_u32_e32 v22, v59, v3
	v_add_nc_u32_e32 v53, v55, v53
	v_cndmask_b32_e32 v5, v5, v25, vcc_lo
	v_cmp_eq_u32_e32 vcc_lo, 1, v17
	v_sub_nc_u32_e32 v17, v55, v3
	v_and_b32_e32 v25, 1, v52
	s_delay_alu instid0(VALU_DEP_4)
	v_dual_cndmask_b32 v14, v14, v15 :: v_dual_lshlrev_b32 v5, 2, v5
	v_cmp_eq_u32_e32 vcc_lo, 1, v23
	v_add_nc_u32_e32 v60, v64, v60
	ds_store_b32 v12, v10
	ds_store_b32 v5, v11
	v_and_b32_e32 v11, 1, v49
	v_cndmask_b32_e32 v5, v14, v13, vcc_lo
	v_sub_nc_u32_e32 v16, v60, v4
	v_add_nc_u32_e32 v58, v60, v58
	v_and_b32_e32 v13, 1, v47
	s_delay_alu instid0(VALU_DEP_4) | instskip(NEXT) | instid1(VALU_DEP_4)
	v_lshlrev_b32_e32 v5, 2, v5
	v_add_nc_u32_e32 v16, v16, v1
	s_delay_alu instid0(VALU_DEP_4) | instskip(SKIP_2) | instid1(VALU_DEP_4)
	v_add_nc_u32_e32 v56, v58, v56
	v_sub_nc_u32_e32 v12, v58, v4
	v_cmp_eq_u32_e32 vcc_lo, 1, v13
	v_add_nc_u32_e32 v15, v22, v16
	s_delay_alu instid0(VALU_DEP_4) | instskip(NEXT) | instid1(VALU_DEP_4)
	v_sub_nc_u32_e32 v14, v56, v4
	v_add_nc_u32_e32 v12, v12, v1
	v_add_nc_u32_e32 v54, v56, v54
	s_delay_alu instid0(VALU_DEP_4) | instskip(SKIP_2) | instid1(VALU_DEP_4)
	v_sub_nc_u32_e32 v10, v28, v15
	v_sub_nc_u32_e32 v15, v57, v3
	v_add_nc_u32_e32 v14, v14, v1
	v_sub_nc_u32_e32 v23, v54, v4
	v_sub_nc_u32_e32 v3, v53, v3
	v_add_nc_u32_e32 v10, 9, v10
	v_add_nc_u32_e32 v13, v15, v12
	s_delay_alu instid0(VALU_DEP_2) | instskip(SKIP_2) | instid1(VALU_DEP_4)
	v_dual_cndmask_b32 v10, v10, v16 :: v_dual_add_nc_u32 v23, v23, v1
	v_add_nc_u32_e32 v16, v17, v14
	v_cmp_eq_u32_e32 vcc_lo, 1, v11
	v_sub_nc_u32_e32 v11, v28, v13
	v_and_b32_e32 v13, 1, v50
	s_delay_alu instid0(VALU_DEP_4) | instskip(NEXT) | instid1(VALU_DEP_3)
	v_sub_nc_u32_e32 v16, v28, v16
	v_dual_cndmask_b32 v10, v10, v22 :: v_dual_add_nc_u32 v11, 10, v11
	v_cmp_eq_u32_e32 vcc_lo, 1, v24
	v_add_nc_u32_e32 v22, v3, v23
	s_delay_alu instid0(VALU_DEP_4) | instskip(NEXT) | instid1(VALU_DEP_4)
	v_add_nc_u32_e32 v16, 11, v16
	v_dual_cndmask_b32 v11, v11, v12 :: v_dual_lshlrev_b32 v10, 2, v10
	v_cmp_eq_u32_e32 vcc_lo, 1, v25
	s_delay_alu instid0(VALU_DEP_4) | instskip(SKIP_3) | instid1(VALU_DEP_4)
	v_sub_nc_u32_e32 v22, v28, v22
	v_and_b32_e32 v12, 1, v51
	v_cndmask_b32_e32 v14, v16, v14, vcc_lo
	v_cmp_eq_u32_e32 vcc_lo, 1, v13
	v_dual_cndmask_b32 v11, v11, v15 :: v_dual_add_nc_u32 v16, 12, v22
	s_delay_alu instid0(VALU_DEP_4) | instskip(NEXT) | instid1(VALU_DEP_2)
	v_cmp_eq_u32_e32 vcc_lo, 1, v12
	v_cndmask_b32_e64 v13, v16, v23, s43
	s_delay_alu instid0(VALU_DEP_3) | instskip(NEXT) | instid1(VALU_DEP_2)
	v_dual_cndmask_b32 v12, v14, v17 :: v_dual_lshlrev_b32 v11, 2, v11
	v_cndmask_b32_e64 v3, v13, v3, s42
	s_delay_alu instid0(VALU_DEP_2)
	v_lshlrev_b32_e32 v12, 2, v12
	ds_store_b32 v5, v8
	ds_store_b32 v10, v9
	;; [unrolled: 1-line block ×4, first 2 shown]
	v_lshlrev_b32_e32 v3, 2, v3
	v_add_co_u32 v5, s0, v2, v74
	s_delay_alu instid0(VALU_DEP_1) | instskip(SKIP_4) | instid1(VALU_DEP_2)
	v_add_co_ci_u32_e64 v6, null, 0, 0, s0
	ds_store_b32 v3, v27
	v_add_co_u32 v3, vcc_lo, v5, v20
	v_add_co_ci_u32_e32 v5, vcc_lo, v6, v21, vcc_lo
	s_add_u32 s0, s34, s33
	v_add_co_u32 v3, vcc_lo, v3, v18
	s_delay_alu instid0(VALU_DEP_2) | instskip(SKIP_1) | instid1(VALU_DEP_2)
	v_add_co_ci_u32_e32 v5, vcc_lo, v5, v19, vcc_lo
	s_addc_u32 s1, s35, 0
	v_sub_co_u32 v3, vcc_lo, s0, v3
	s_delay_alu instid0(VALU_DEP_2)
	v_sub_co_ci_u32_e32 v9, vcc_lo, s1, v5, vcc_lo
	v_lshlrev_b64 v[5:6], 2, v[20:21]
	v_lshlrev_b64 v[7:8], 2, v[18:19]
	v_add_nc_u32_e32 v10, v1, v2
	s_add_u32 s1, s26, -4
	s_waitcnt lgkmcnt(0)
	s_barrier
	v_add_co_u32 v5, vcc_lo, s38, v5
	v_add_co_ci_u32_e32 v6, vcc_lo, s39, v6, vcc_lo
	v_cmp_ne_u32_e32 vcc_lo, 1, v26
	v_add_co_u32 v7, s0, s36, v7
	s_delay_alu instid0(VALU_DEP_1)
	v_add_co_ci_u32_e64 v8, s0, s37, v8, s0
	s_addc_u32 s0, s27, -1
	buffer_gl0_inv
	s_cbranch_vccz .LBB455_133
; %bb.130:
	s_and_b32 vcc_lo, exec_lo, s2
	s_cbranch_vccnz .LBB455_238
.LBB455_131:
	v_cmp_eq_u32_e32 vcc_lo, 0, v0
	s_and_b32 s0, vcc_lo, s14
	s_delay_alu instid0(SALU_CYCLE_1)
	s_and_saveexec_b32 s1, s0
	s_cbranch_execnz .LBB455_356
.LBB455_132:
	s_nop 0
	s_sendmsg sendmsg(MSG_DEALLOC_VGPRS)
	s_endpgm
.LBB455_133:
	s_mov_b32 s2, exec_lo
	v_cmpx_le_u32_e64 v1, v0
	s_xor_b32 s2, exec_lo, s2
	s_cbranch_execz .LBB455_139
; %bb.134:
	s_mov_b32 s4, exec_lo
	v_cmpx_le_u32_e64 v10, v0
	s_xor_b32 s4, exec_lo, s4
	s_cbranch_execz .LBB455_136
; %bb.135:
	v_lshlrev_b32_e32 v11, 2, v0
	ds_load_b32 v13, v11
	v_add_co_u32 v11, vcc_lo, v3, v0
	v_add_co_ci_u32_e32 v12, vcc_lo, 0, v9, vcc_lo
	s_delay_alu instid0(VALU_DEP_1) | instskip(NEXT) | instid1(VALU_DEP_1)
	v_lshlrev_b64 v[11:12], 2, v[11:12]
	v_sub_co_u32 v11, vcc_lo, s26, v11
	s_delay_alu instid0(VALU_DEP_2)
	v_sub_co_ci_u32_e32 v12, vcc_lo, s27, v12, vcc_lo
	s_waitcnt lgkmcnt(0)
	global_store_b32 v[11:12], v13, off offset:-4
.LBB455_136:
	s_and_not1_saveexec_b32 s4, s4
	s_cbranch_execz .LBB455_138
; %bb.137:
	v_lshlrev_b32_e32 v11, 2, v0
	v_readfirstlane_b32 s6, v5
	v_readfirstlane_b32 s7, v6
	ds_load_b32 v12, v11
	s_waitcnt lgkmcnt(0)
	global_store_b32 v11, v12, s[6:7]
.LBB455_138:
	s_or_b32 exec_lo, exec_lo, s4
.LBB455_139:
	s_and_not1_saveexec_b32 s2, s2
	s_cbranch_execz .LBB455_141
; %bb.140:
	v_lshlrev_b32_e32 v11, 2, v0
	v_readfirstlane_b32 s4, v7
	v_readfirstlane_b32 s5, v8
	ds_load_b32 v12, v11
	s_waitcnt lgkmcnt(0)
	global_store_b32 v11, v12, s[4:5]
.LBB455_141:
	s_or_b32 exec_lo, exec_lo, s2
	v_or_b32_e32 v11, 0x100, v0
	s_mov_b32 s2, exec_lo
	s_delay_alu instid0(VALU_DEP_1)
	v_cmpx_le_u32_e64 v1, v11
	s_xor_b32 s2, exec_lo, s2
	s_cbranch_execz .LBB455_147
; %bb.142:
	s_mov_b32 s4, exec_lo
	v_cmpx_le_u32_e64 v10, v11
	s_xor_b32 s4, exec_lo, s4
	s_cbranch_execz .LBB455_144
; %bb.143:
	v_lshlrev_b32_e32 v11, 2, v0
	ds_load_b32 v13, v11 offset:1024
	v_add_co_u32 v11, vcc_lo, v3, v0
	v_add_co_ci_u32_e32 v12, vcc_lo, 0, v9, vcc_lo
	s_delay_alu instid0(VALU_DEP_1) | instskip(NEXT) | instid1(VALU_DEP_1)
	v_lshlrev_b64 v[11:12], 2, v[11:12]
	v_sub_co_u32 v11, vcc_lo, s1, v11
	s_delay_alu instid0(VALU_DEP_2)
	v_sub_co_ci_u32_e32 v12, vcc_lo, s0, v12, vcc_lo
	s_waitcnt lgkmcnt(0)
	global_store_b32 v[11:12], v13, off offset:-1024
.LBB455_144:
	s_and_not1_saveexec_b32 s4, s4
	s_cbranch_execz .LBB455_146
; %bb.145:
	v_lshlrev_b32_e32 v11, 2, v0
	v_readfirstlane_b32 s6, v5
	v_readfirstlane_b32 s7, v6
	ds_load_b32 v12, v11 offset:1024
	s_waitcnt lgkmcnt(0)
	global_store_b32 v11, v12, s[6:7] offset:1024
.LBB455_146:
	s_or_b32 exec_lo, exec_lo, s4
.LBB455_147:
	s_and_not1_saveexec_b32 s2, s2
	s_cbranch_execz .LBB455_149
; %bb.148:
	v_lshlrev_b32_e32 v11, 2, v0
	v_readfirstlane_b32 s4, v7
	v_readfirstlane_b32 s5, v8
	ds_load_b32 v12, v11 offset:1024
	s_waitcnt lgkmcnt(0)
	global_store_b32 v11, v12, s[4:5] offset:1024
.LBB455_149:
	s_or_b32 exec_lo, exec_lo, s2
	v_or_b32_e32 v11, 0x200, v0
	s_mov_b32 s2, exec_lo
	s_delay_alu instid0(VALU_DEP_1)
	v_cmpx_le_u32_e64 v1, v11
	s_xor_b32 s2, exec_lo, s2
	s_cbranch_execz .LBB455_155
; %bb.150:
	s_mov_b32 s4, exec_lo
	v_cmpx_le_u32_e64 v10, v11
	s_xor_b32 s4, exec_lo, s4
	s_cbranch_execz .LBB455_152
; %bb.151:
	v_lshlrev_b32_e32 v11, 2, v0
	ds_load_b32 v13, v11 offset:2048
	v_add_co_u32 v11, vcc_lo, v3, v0
	v_add_co_ci_u32_e32 v12, vcc_lo, 0, v9, vcc_lo
	s_delay_alu instid0(VALU_DEP_1) | instskip(NEXT) | instid1(VALU_DEP_1)
	v_lshlrev_b64 v[11:12], 2, v[11:12]
	v_sub_co_u32 v11, vcc_lo, s1, v11
	s_delay_alu instid0(VALU_DEP_2)
	v_sub_co_ci_u32_e32 v12, vcc_lo, s0, v12, vcc_lo
	s_waitcnt lgkmcnt(0)
	global_store_b32 v[11:12], v13, off offset:-2048
.LBB455_152:
	s_and_not1_saveexec_b32 s4, s4
	s_cbranch_execz .LBB455_154
; %bb.153:
	v_lshlrev_b32_e32 v11, 2, v0
	v_readfirstlane_b32 s6, v5
	v_readfirstlane_b32 s7, v6
	ds_load_b32 v12, v11 offset:2048
	s_waitcnt lgkmcnt(0)
	global_store_b32 v11, v12, s[6:7] offset:2048
.LBB455_154:
	s_or_b32 exec_lo, exec_lo, s4
.LBB455_155:
	s_and_not1_saveexec_b32 s2, s2
	s_cbranch_execz .LBB455_157
; %bb.156:
	v_lshlrev_b32_e32 v11, 2, v0
	v_readfirstlane_b32 s4, v7
	v_readfirstlane_b32 s5, v8
	ds_load_b32 v12, v11 offset:2048
	s_waitcnt lgkmcnt(0)
	global_store_b32 v11, v12, s[4:5] offset:2048
.LBB455_157:
	;; [unrolled: 47-line block ×3, first 2 shown]
	s_or_b32 exec_lo, exec_lo, s2
	v_or_b32_e32 v11, 0x400, v0
	s_mov_b32 s2, exec_lo
	s_delay_alu instid0(VALU_DEP_1)
	v_cmpx_le_u32_e64 v1, v11
	s_xor_b32 s2, exec_lo, s2
	s_cbranch_execz .LBB455_171
; %bb.166:
	s_mov_b32 s4, exec_lo
	v_cmpx_le_u32_e64 v10, v11
	s_xor_b32 s4, exec_lo, s4
	s_cbranch_execz .LBB455_168
; %bb.167:
	v_lshlrev_b32_e32 v11, 2, v0
	ds_load_b32 v13, v11 offset:4096
	v_add_co_u32 v11, vcc_lo, v3, v0
	v_add_co_ci_u32_e32 v12, vcc_lo, 0, v9, vcc_lo
	s_delay_alu instid0(VALU_DEP_1) | instskip(NEXT) | instid1(VALU_DEP_1)
	v_lshlrev_b64 v[11:12], 2, v[11:12]
	v_sub_co_u32 v11, vcc_lo, s1, v11
	s_delay_alu instid0(VALU_DEP_2)
	v_sub_co_ci_u32_e32 v12, vcc_lo, s0, v12, vcc_lo
	s_waitcnt lgkmcnt(0)
	global_store_b32 v[11:12], v13, off offset:-4096
                                        ; implicit-def: $vgpr11
.LBB455_168:
	s_and_not1_saveexec_b32 s4, s4
	s_cbranch_execz .LBB455_170
; %bb.169:
	v_lshlrev_b32_e32 v12, 2, v0
	v_lshlrev_b32_e32 v11, 2, v11
	v_readfirstlane_b32 s6, v5
	v_readfirstlane_b32 s7, v6
	ds_load_b32 v12, v12 offset:4096
	s_waitcnt lgkmcnt(0)
	global_store_b32 v11, v12, s[6:7]
.LBB455_170:
	s_or_b32 exec_lo, exec_lo, s4
                                        ; implicit-def: $vgpr11
.LBB455_171:
	s_and_not1_saveexec_b32 s2, s2
	s_cbranch_execz .LBB455_173
; %bb.172:
	v_lshlrev_b32_e32 v12, 2, v0
	v_lshlrev_b32_e32 v11, 2, v11
	v_readfirstlane_b32 s4, v7
	v_readfirstlane_b32 s5, v8
	ds_load_b32 v12, v12 offset:4096
	s_waitcnt lgkmcnt(0)
	global_store_b32 v11, v12, s[4:5]
.LBB455_173:
	s_or_b32 exec_lo, exec_lo, s2
	v_or_b32_e32 v11, 0x500, v0
	s_mov_b32 s2, exec_lo
	s_delay_alu instid0(VALU_DEP_1)
	v_cmpx_le_u32_e64 v1, v11
	s_xor_b32 s2, exec_lo, s2
	s_cbranch_execz .LBB455_179
; %bb.174:
	s_mov_b32 s4, exec_lo
	v_cmpx_le_u32_e64 v10, v11
	s_xor_b32 s4, exec_lo, s4
	s_cbranch_execz .LBB455_176
; %bb.175:
	v_lshlrev_b32_e32 v12, 2, v0
	v_add_co_u32 v11, vcc_lo, v3, v11
	ds_load_b32 v13, v12 offset:5120
	v_add_co_ci_u32_e32 v12, vcc_lo, 0, v9, vcc_lo
	s_delay_alu instid0(VALU_DEP_1) | instskip(NEXT) | instid1(VALU_DEP_1)
	v_lshlrev_b64 v[11:12], 2, v[11:12]
	v_sub_co_u32 v11, vcc_lo, s1, v11
	s_delay_alu instid0(VALU_DEP_2)
	v_sub_co_ci_u32_e32 v12, vcc_lo, s0, v12, vcc_lo
	s_waitcnt lgkmcnt(0)
	global_store_b32 v[11:12], v13, off
                                        ; implicit-def: $vgpr11
.LBB455_176:
	s_and_not1_saveexec_b32 s4, s4
	s_cbranch_execz .LBB455_178
; %bb.177:
	v_lshlrev_b32_e32 v12, 2, v0
	v_lshlrev_b32_e32 v11, 2, v11
	v_readfirstlane_b32 s6, v5
	v_readfirstlane_b32 s7, v6
	ds_load_b32 v12, v12 offset:5120
	s_waitcnt lgkmcnt(0)
	global_store_b32 v11, v12, s[6:7]
.LBB455_178:
	s_or_b32 exec_lo, exec_lo, s4
                                        ; implicit-def: $vgpr11
.LBB455_179:
	s_and_not1_saveexec_b32 s2, s2
	s_cbranch_execz .LBB455_181
; %bb.180:
	v_lshlrev_b32_e32 v12, 2, v0
	v_lshlrev_b32_e32 v11, 2, v11
	v_readfirstlane_b32 s4, v7
	v_readfirstlane_b32 s5, v8
	ds_load_b32 v12, v12 offset:5120
	s_waitcnt lgkmcnt(0)
	global_store_b32 v11, v12, s[4:5]
.LBB455_181:
	s_or_b32 exec_lo, exec_lo, s2
	v_or_b32_e32 v11, 0x600, v0
	s_mov_b32 s2, exec_lo
	s_delay_alu instid0(VALU_DEP_1)
	v_cmpx_le_u32_e64 v1, v11
	s_xor_b32 s2, exec_lo, s2
	s_cbranch_execz .LBB455_187
; %bb.182:
	s_mov_b32 s4, exec_lo
	v_cmpx_le_u32_e64 v10, v11
	s_xor_b32 s4, exec_lo, s4
	s_cbranch_execz .LBB455_184
; %bb.183:
	v_lshlrev_b32_e32 v12, 2, v0
	v_add_co_u32 v11, vcc_lo, v3, v11
	ds_load_b32 v13, v12 offset:6144
	v_add_co_ci_u32_e32 v12, vcc_lo, 0, v9, vcc_lo
	s_delay_alu instid0(VALU_DEP_1) | instskip(NEXT) | instid1(VALU_DEP_1)
	v_lshlrev_b64 v[11:12], 2, v[11:12]
	v_sub_co_u32 v11, vcc_lo, s1, v11
	s_delay_alu instid0(VALU_DEP_2)
	v_sub_co_ci_u32_e32 v12, vcc_lo, s0, v12, vcc_lo
	s_waitcnt lgkmcnt(0)
	global_store_b32 v[11:12], v13, off
                                        ; implicit-def: $vgpr11
.LBB455_184:
	s_and_not1_saveexec_b32 s4, s4
	s_cbranch_execz .LBB455_186
; %bb.185:
	v_lshlrev_b32_e32 v12, 2, v0
	v_lshlrev_b32_e32 v11, 2, v11
	v_readfirstlane_b32 s6, v5
	v_readfirstlane_b32 s7, v6
	ds_load_b32 v12, v12 offset:6144
	s_waitcnt lgkmcnt(0)
	global_store_b32 v11, v12, s[6:7]
.LBB455_186:
	s_or_b32 exec_lo, exec_lo, s4
                                        ; implicit-def: $vgpr11
.LBB455_187:
	s_and_not1_saveexec_b32 s2, s2
	s_cbranch_execz .LBB455_189
; %bb.188:
	v_lshlrev_b32_e32 v12, 2, v0
	v_lshlrev_b32_e32 v11, 2, v11
	v_readfirstlane_b32 s4, v7
	v_readfirstlane_b32 s5, v8
	ds_load_b32 v12, v12 offset:6144
	s_waitcnt lgkmcnt(0)
	global_store_b32 v11, v12, s[4:5]
.LBB455_189:
	s_or_b32 exec_lo, exec_lo, s2
	v_or_b32_e32 v11, 0x700, v0
	s_mov_b32 s2, exec_lo
	s_delay_alu instid0(VALU_DEP_1)
	v_cmpx_le_u32_e64 v1, v11
	s_xor_b32 s2, exec_lo, s2
	s_cbranch_execz .LBB455_195
; %bb.190:
	s_mov_b32 s4, exec_lo
	v_cmpx_le_u32_e64 v10, v11
	s_xor_b32 s4, exec_lo, s4
	s_cbranch_execz .LBB455_192
; %bb.191:
	v_lshlrev_b32_e32 v12, 2, v0
	v_add_co_u32 v11, vcc_lo, v3, v11
	ds_load_b32 v13, v12 offset:7168
	v_add_co_ci_u32_e32 v12, vcc_lo, 0, v9, vcc_lo
	s_delay_alu instid0(VALU_DEP_1) | instskip(NEXT) | instid1(VALU_DEP_1)
	v_lshlrev_b64 v[11:12], 2, v[11:12]
	v_sub_co_u32 v11, vcc_lo, s1, v11
	s_delay_alu instid0(VALU_DEP_2)
	v_sub_co_ci_u32_e32 v12, vcc_lo, s0, v12, vcc_lo
	s_waitcnt lgkmcnt(0)
	global_store_b32 v[11:12], v13, off
                                        ; implicit-def: $vgpr11
.LBB455_192:
	s_and_not1_saveexec_b32 s4, s4
	s_cbranch_execz .LBB455_194
; %bb.193:
	v_lshlrev_b32_e32 v12, 2, v0
	v_lshlrev_b32_e32 v11, 2, v11
	v_readfirstlane_b32 s6, v5
	v_readfirstlane_b32 s7, v6
	ds_load_b32 v12, v12 offset:7168
	s_waitcnt lgkmcnt(0)
	global_store_b32 v11, v12, s[6:7]
.LBB455_194:
	s_or_b32 exec_lo, exec_lo, s4
                                        ; implicit-def: $vgpr11
.LBB455_195:
	s_and_not1_saveexec_b32 s2, s2
	s_cbranch_execz .LBB455_197
; %bb.196:
	v_lshlrev_b32_e32 v12, 2, v0
	v_lshlrev_b32_e32 v11, 2, v11
	v_readfirstlane_b32 s4, v7
	v_readfirstlane_b32 s5, v8
	ds_load_b32 v12, v12 offset:7168
	s_waitcnt lgkmcnt(0)
	global_store_b32 v11, v12, s[4:5]
.LBB455_197:
	s_or_b32 exec_lo, exec_lo, s2
	v_or_b32_e32 v11, 0x800, v0
	s_mov_b32 s2, exec_lo
	s_delay_alu instid0(VALU_DEP_1)
	v_cmpx_le_u32_e64 v1, v11
	s_xor_b32 s2, exec_lo, s2
	s_cbranch_execz .LBB455_203
; %bb.198:
	s_mov_b32 s4, exec_lo
	v_cmpx_le_u32_e64 v10, v11
	s_xor_b32 s4, exec_lo, s4
	s_cbranch_execz .LBB455_200
; %bb.199:
	v_lshlrev_b32_e32 v12, 2, v0
	v_add_co_u32 v11, vcc_lo, v3, v11
	ds_load_b32 v13, v12 offset:8192
	v_add_co_ci_u32_e32 v12, vcc_lo, 0, v9, vcc_lo
	s_delay_alu instid0(VALU_DEP_1) | instskip(NEXT) | instid1(VALU_DEP_1)
	v_lshlrev_b64 v[11:12], 2, v[11:12]
	v_sub_co_u32 v11, vcc_lo, s1, v11
	s_delay_alu instid0(VALU_DEP_2)
	v_sub_co_ci_u32_e32 v12, vcc_lo, s0, v12, vcc_lo
	s_waitcnt lgkmcnt(0)
	global_store_b32 v[11:12], v13, off
                                        ; implicit-def: $vgpr11
.LBB455_200:
	s_and_not1_saveexec_b32 s4, s4
	s_cbranch_execz .LBB455_202
; %bb.201:
	v_lshlrev_b32_e32 v12, 2, v0
	v_lshlrev_b32_e32 v11, 2, v11
	v_readfirstlane_b32 s6, v5
	v_readfirstlane_b32 s7, v6
	ds_load_b32 v12, v12 offset:8192
	s_waitcnt lgkmcnt(0)
	global_store_b32 v11, v12, s[6:7]
.LBB455_202:
	s_or_b32 exec_lo, exec_lo, s4
                                        ; implicit-def: $vgpr11
.LBB455_203:
	s_and_not1_saveexec_b32 s2, s2
	s_cbranch_execz .LBB455_205
; %bb.204:
	v_lshlrev_b32_e32 v12, 2, v0
	v_lshlrev_b32_e32 v11, 2, v11
	v_readfirstlane_b32 s4, v7
	v_readfirstlane_b32 s5, v8
	ds_load_b32 v12, v12 offset:8192
	s_waitcnt lgkmcnt(0)
	global_store_b32 v11, v12, s[4:5]
.LBB455_205:
	s_or_b32 exec_lo, exec_lo, s2
	v_or_b32_e32 v11, 0x900, v0
	s_mov_b32 s2, exec_lo
	s_delay_alu instid0(VALU_DEP_1)
	v_cmpx_le_u32_e64 v1, v11
	s_xor_b32 s2, exec_lo, s2
	s_cbranch_execz .LBB455_211
; %bb.206:
	s_mov_b32 s4, exec_lo
	v_cmpx_le_u32_e64 v10, v11
	s_xor_b32 s4, exec_lo, s4
	s_cbranch_execz .LBB455_208
; %bb.207:
	v_lshlrev_b32_e32 v12, 2, v0
	v_add_co_u32 v11, vcc_lo, v3, v11
	ds_load_b32 v13, v12 offset:9216
	v_add_co_ci_u32_e32 v12, vcc_lo, 0, v9, vcc_lo
	s_delay_alu instid0(VALU_DEP_1) | instskip(NEXT) | instid1(VALU_DEP_1)
	v_lshlrev_b64 v[11:12], 2, v[11:12]
	v_sub_co_u32 v11, vcc_lo, s1, v11
	s_delay_alu instid0(VALU_DEP_2)
	v_sub_co_ci_u32_e32 v12, vcc_lo, s0, v12, vcc_lo
	s_waitcnt lgkmcnt(0)
	global_store_b32 v[11:12], v13, off
                                        ; implicit-def: $vgpr11
.LBB455_208:
	s_and_not1_saveexec_b32 s4, s4
	s_cbranch_execz .LBB455_210
; %bb.209:
	v_lshlrev_b32_e32 v12, 2, v0
	v_lshlrev_b32_e32 v11, 2, v11
	v_readfirstlane_b32 s6, v5
	v_readfirstlane_b32 s7, v6
	ds_load_b32 v12, v12 offset:9216
	s_waitcnt lgkmcnt(0)
	global_store_b32 v11, v12, s[6:7]
.LBB455_210:
	s_or_b32 exec_lo, exec_lo, s4
                                        ; implicit-def: $vgpr11
.LBB455_211:
	s_and_not1_saveexec_b32 s2, s2
	s_cbranch_execz .LBB455_213
; %bb.212:
	v_lshlrev_b32_e32 v12, 2, v0
	v_lshlrev_b32_e32 v11, 2, v11
	v_readfirstlane_b32 s4, v7
	v_readfirstlane_b32 s5, v8
	ds_load_b32 v12, v12 offset:9216
	s_waitcnt lgkmcnt(0)
	global_store_b32 v11, v12, s[4:5]
.LBB455_213:
	s_or_b32 exec_lo, exec_lo, s2
	v_or_b32_e32 v11, 0xa00, v0
	s_mov_b32 s2, exec_lo
	s_delay_alu instid0(VALU_DEP_1)
	v_cmpx_le_u32_e64 v1, v11
	s_xor_b32 s2, exec_lo, s2
	s_cbranch_execz .LBB455_219
; %bb.214:
	s_mov_b32 s4, exec_lo
	v_cmpx_le_u32_e64 v10, v11
	s_xor_b32 s4, exec_lo, s4
	s_cbranch_execz .LBB455_216
; %bb.215:
	v_lshlrev_b32_e32 v12, 2, v0
	v_add_co_u32 v11, vcc_lo, v3, v11
	ds_load_b32 v13, v12 offset:10240
	v_add_co_ci_u32_e32 v12, vcc_lo, 0, v9, vcc_lo
	s_delay_alu instid0(VALU_DEP_1) | instskip(NEXT) | instid1(VALU_DEP_1)
	v_lshlrev_b64 v[11:12], 2, v[11:12]
	v_sub_co_u32 v11, vcc_lo, s1, v11
	s_delay_alu instid0(VALU_DEP_2)
	v_sub_co_ci_u32_e32 v12, vcc_lo, s0, v12, vcc_lo
	s_waitcnt lgkmcnt(0)
	global_store_b32 v[11:12], v13, off
                                        ; implicit-def: $vgpr11
.LBB455_216:
	s_and_not1_saveexec_b32 s4, s4
	s_cbranch_execz .LBB455_218
; %bb.217:
	v_lshlrev_b32_e32 v12, 2, v0
	v_lshlrev_b32_e32 v11, 2, v11
	v_readfirstlane_b32 s6, v5
	v_readfirstlane_b32 s7, v6
	ds_load_b32 v12, v12 offset:10240
	s_waitcnt lgkmcnt(0)
	global_store_b32 v11, v12, s[6:7]
.LBB455_218:
	s_or_b32 exec_lo, exec_lo, s4
                                        ; implicit-def: $vgpr11
.LBB455_219:
	s_and_not1_saveexec_b32 s2, s2
	s_cbranch_execz .LBB455_221
; %bb.220:
	v_lshlrev_b32_e32 v12, 2, v0
	v_lshlrev_b32_e32 v11, 2, v11
	v_readfirstlane_b32 s4, v7
	v_readfirstlane_b32 s5, v8
	ds_load_b32 v12, v12 offset:10240
	s_waitcnt lgkmcnt(0)
	global_store_b32 v11, v12, s[4:5]
.LBB455_221:
	s_or_b32 exec_lo, exec_lo, s2
	v_or_b32_e32 v11, 0xb00, v0
	s_mov_b32 s2, exec_lo
	s_delay_alu instid0(VALU_DEP_1)
	v_cmpx_le_u32_e64 v1, v11
	s_xor_b32 s2, exec_lo, s2
	s_cbranch_execz .LBB455_227
; %bb.222:
	s_mov_b32 s4, exec_lo
	v_cmpx_le_u32_e64 v10, v11
	s_xor_b32 s4, exec_lo, s4
	s_cbranch_execz .LBB455_224
; %bb.223:
	v_lshlrev_b32_e32 v12, 2, v0
	v_add_co_u32 v11, vcc_lo, v3, v11
	ds_load_b32 v13, v12 offset:11264
	v_add_co_ci_u32_e32 v12, vcc_lo, 0, v9, vcc_lo
	s_delay_alu instid0(VALU_DEP_1) | instskip(NEXT) | instid1(VALU_DEP_1)
	v_lshlrev_b64 v[11:12], 2, v[11:12]
	v_sub_co_u32 v11, vcc_lo, s1, v11
	s_delay_alu instid0(VALU_DEP_2)
	v_sub_co_ci_u32_e32 v12, vcc_lo, s0, v12, vcc_lo
	s_waitcnt lgkmcnt(0)
	global_store_b32 v[11:12], v13, off
                                        ; implicit-def: $vgpr11
.LBB455_224:
	s_and_not1_saveexec_b32 s4, s4
	s_cbranch_execz .LBB455_226
; %bb.225:
	v_lshlrev_b32_e32 v12, 2, v0
	v_lshlrev_b32_e32 v11, 2, v11
	v_readfirstlane_b32 s6, v5
	v_readfirstlane_b32 s7, v6
	ds_load_b32 v12, v12 offset:11264
	s_waitcnt lgkmcnt(0)
	global_store_b32 v11, v12, s[6:7]
.LBB455_226:
	s_or_b32 exec_lo, exec_lo, s4
                                        ; implicit-def: $vgpr11
.LBB455_227:
	s_and_not1_saveexec_b32 s2, s2
	s_cbranch_execz .LBB455_229
; %bb.228:
	v_lshlrev_b32_e32 v12, 2, v0
	v_lshlrev_b32_e32 v11, 2, v11
	v_readfirstlane_b32 s4, v7
	v_readfirstlane_b32 s5, v8
	ds_load_b32 v12, v12 offset:11264
	s_waitcnt lgkmcnt(0)
	global_store_b32 v11, v12, s[4:5]
.LBB455_229:
	s_or_b32 exec_lo, exec_lo, s2
	v_or_b32_e32 v11, 0xc00, v0
	s_mov_b32 s2, exec_lo
	s_delay_alu instid0(VALU_DEP_1)
	v_cmpx_le_u32_e64 v1, v11
	s_xor_b32 s2, exec_lo, s2
	s_cbranch_execz .LBB455_235
; %bb.230:
	s_mov_b32 s4, exec_lo
	v_cmpx_le_u32_e64 v10, v11
	s_xor_b32 s4, exec_lo, s4
	s_cbranch_execz .LBB455_232
; %bb.231:
	v_lshlrev_b32_e32 v12, 2, v0
	v_add_co_u32 v11, vcc_lo, v3, v11
	ds_load_b32 v13, v12 offset:12288
	v_add_co_ci_u32_e32 v12, vcc_lo, 0, v9, vcc_lo
	s_delay_alu instid0(VALU_DEP_1) | instskip(NEXT) | instid1(VALU_DEP_1)
	v_lshlrev_b64 v[11:12], 2, v[11:12]
	v_sub_co_u32 v11, vcc_lo, s1, v11
	s_delay_alu instid0(VALU_DEP_2)
	v_sub_co_ci_u32_e32 v12, vcc_lo, s0, v12, vcc_lo
	s_waitcnt lgkmcnt(0)
	global_store_b32 v[11:12], v13, off
                                        ; implicit-def: $vgpr11
.LBB455_232:
	s_and_not1_saveexec_b32 s4, s4
	s_cbranch_execz .LBB455_234
; %bb.233:
	v_lshlrev_b32_e32 v12, 2, v0
	v_lshlrev_b32_e32 v11, 2, v11
	v_readfirstlane_b32 s6, v5
	v_readfirstlane_b32 s7, v6
	ds_load_b32 v12, v12 offset:12288
	s_waitcnt lgkmcnt(0)
	global_store_b32 v11, v12, s[6:7]
.LBB455_234:
	s_or_b32 exec_lo, exec_lo, s4
                                        ; implicit-def: $vgpr11
.LBB455_235:
	s_and_not1_saveexec_b32 s2, s2
	s_cbranch_execz .LBB455_237
; %bb.236:
	v_lshlrev_b32_e32 v12, 2, v0
	v_lshlrev_b32_e32 v11, 2, v11
	v_readfirstlane_b32 s4, v7
	v_readfirstlane_b32 s5, v8
	ds_load_b32 v12, v12 offset:12288
	s_waitcnt lgkmcnt(0)
	global_store_b32 v11, v12, s[4:5]
.LBB455_237:
	s_or_b32 exec_lo, exec_lo, s2
	s_branch .LBB455_131
.LBB455_238:
	s_mov_b32 s2, exec_lo
	v_cmpx_gt_u32_e64 s3, v0
	s_cbranch_execz .LBB455_247
; %bb.239:
	s_mov_b32 s4, exec_lo
	v_cmpx_le_u32_e64 v1, v0
	s_xor_b32 s4, exec_lo, s4
	s_cbranch_execz .LBB455_245
; %bb.240:
	s_mov_b32 s5, exec_lo
	v_cmpx_le_u32_e64 v10, v0
	s_xor_b32 s5, exec_lo, s5
	s_cbranch_execz .LBB455_242
; %bb.241:
	v_lshlrev_b32_e32 v11, 2, v0
	ds_load_b32 v13, v11
	v_add_co_u32 v11, vcc_lo, v3, v0
	v_add_co_ci_u32_e32 v12, vcc_lo, 0, v9, vcc_lo
	s_delay_alu instid0(VALU_DEP_1) | instskip(NEXT) | instid1(VALU_DEP_1)
	v_lshlrev_b64 v[11:12], 2, v[11:12]
	v_sub_co_u32 v11, vcc_lo, s26, v11
	s_delay_alu instid0(VALU_DEP_2)
	v_sub_co_ci_u32_e32 v12, vcc_lo, s27, v12, vcc_lo
	s_waitcnt lgkmcnt(0)
	global_store_b32 v[11:12], v13, off offset:-4
.LBB455_242:
	s_and_not1_saveexec_b32 s5, s5
	s_cbranch_execz .LBB455_244
; %bb.243:
	v_lshlrev_b32_e32 v11, 2, v0
	v_readfirstlane_b32 s6, v5
	v_readfirstlane_b32 s7, v6
	ds_load_b32 v12, v11
	s_waitcnt lgkmcnt(0)
	global_store_b32 v11, v12, s[6:7]
.LBB455_244:
	s_or_b32 exec_lo, exec_lo, s5
.LBB455_245:
	s_and_not1_saveexec_b32 s4, s4
	s_cbranch_execz .LBB455_247
; %bb.246:
	v_lshlrev_b32_e32 v11, 2, v0
	v_readfirstlane_b32 s4, v7
	v_readfirstlane_b32 s5, v8
	ds_load_b32 v12, v11
	s_waitcnt lgkmcnt(0)
	global_store_b32 v11, v12, s[4:5]
.LBB455_247:
	s_or_b32 exec_lo, exec_lo, s2
	v_or_b32_e32 v11, 0x100, v0
	s_mov_b32 s2, exec_lo
	s_delay_alu instid0(VALU_DEP_1)
	v_cmpx_gt_u32_e64 s3, v11
	s_cbranch_execz .LBB455_256
; %bb.248:
	s_mov_b32 s4, exec_lo
	v_cmpx_le_u32_e64 v1, v11
	s_xor_b32 s4, exec_lo, s4
	s_cbranch_execz .LBB455_254
; %bb.249:
	s_mov_b32 s5, exec_lo
	v_cmpx_le_u32_e64 v10, v11
	s_xor_b32 s5, exec_lo, s5
	s_cbranch_execz .LBB455_251
; %bb.250:
	v_lshlrev_b32_e32 v11, 2, v0
	ds_load_b32 v13, v11 offset:1024
	v_add_co_u32 v11, vcc_lo, v3, v0
	v_add_co_ci_u32_e32 v12, vcc_lo, 0, v9, vcc_lo
	s_delay_alu instid0(VALU_DEP_1) | instskip(NEXT) | instid1(VALU_DEP_1)
	v_lshlrev_b64 v[11:12], 2, v[11:12]
	v_sub_co_u32 v11, vcc_lo, s1, v11
	s_delay_alu instid0(VALU_DEP_2)
	v_sub_co_ci_u32_e32 v12, vcc_lo, s0, v12, vcc_lo
	s_waitcnt lgkmcnt(0)
	global_store_b32 v[11:12], v13, off offset:-1024
.LBB455_251:
	s_and_not1_saveexec_b32 s5, s5
	s_cbranch_execz .LBB455_253
; %bb.252:
	v_lshlrev_b32_e32 v11, 2, v0
	v_readfirstlane_b32 s6, v5
	v_readfirstlane_b32 s7, v6
	ds_load_b32 v12, v11 offset:1024
	s_waitcnt lgkmcnt(0)
	global_store_b32 v11, v12, s[6:7] offset:1024
.LBB455_253:
	s_or_b32 exec_lo, exec_lo, s5
.LBB455_254:
	s_and_not1_saveexec_b32 s4, s4
	s_cbranch_execz .LBB455_256
; %bb.255:
	v_lshlrev_b32_e32 v11, 2, v0
	v_readfirstlane_b32 s4, v7
	v_readfirstlane_b32 s5, v8
	ds_load_b32 v12, v11 offset:1024
	s_waitcnt lgkmcnt(0)
	global_store_b32 v11, v12, s[4:5] offset:1024
.LBB455_256:
	s_or_b32 exec_lo, exec_lo, s2
	v_or_b32_e32 v11, 0x200, v0
	s_mov_b32 s2, exec_lo
	s_delay_alu instid0(VALU_DEP_1)
	v_cmpx_gt_u32_e64 s3, v11
	s_cbranch_execz .LBB455_265
; %bb.257:
	s_mov_b32 s4, exec_lo
	v_cmpx_le_u32_e64 v1, v11
	s_xor_b32 s4, exec_lo, s4
	s_cbranch_execz .LBB455_263
; %bb.258:
	s_mov_b32 s5, exec_lo
	v_cmpx_le_u32_e64 v10, v11
	s_xor_b32 s5, exec_lo, s5
	s_cbranch_execz .LBB455_260
; %bb.259:
	v_lshlrev_b32_e32 v11, 2, v0
	ds_load_b32 v13, v11 offset:2048
	v_add_co_u32 v11, vcc_lo, v3, v0
	v_add_co_ci_u32_e32 v12, vcc_lo, 0, v9, vcc_lo
	s_delay_alu instid0(VALU_DEP_1) | instskip(NEXT) | instid1(VALU_DEP_1)
	v_lshlrev_b64 v[11:12], 2, v[11:12]
	v_sub_co_u32 v11, vcc_lo, s1, v11
	s_delay_alu instid0(VALU_DEP_2)
	v_sub_co_ci_u32_e32 v12, vcc_lo, s0, v12, vcc_lo
	s_waitcnt lgkmcnt(0)
	global_store_b32 v[11:12], v13, off offset:-2048
.LBB455_260:
	s_and_not1_saveexec_b32 s5, s5
	s_cbranch_execz .LBB455_262
; %bb.261:
	v_lshlrev_b32_e32 v11, 2, v0
	v_readfirstlane_b32 s6, v5
	v_readfirstlane_b32 s7, v6
	ds_load_b32 v12, v11 offset:2048
	s_waitcnt lgkmcnt(0)
	global_store_b32 v11, v12, s[6:7] offset:2048
.LBB455_262:
	s_or_b32 exec_lo, exec_lo, s5
.LBB455_263:
	s_and_not1_saveexec_b32 s4, s4
	s_cbranch_execz .LBB455_265
; %bb.264:
	v_lshlrev_b32_e32 v11, 2, v0
	v_readfirstlane_b32 s4, v7
	v_readfirstlane_b32 s5, v8
	ds_load_b32 v12, v11 offset:2048
	s_waitcnt lgkmcnt(0)
	global_store_b32 v11, v12, s[4:5] offset:2048
.LBB455_265:
	;; [unrolled: 51-line block ×3, first 2 shown]
	s_or_b32 exec_lo, exec_lo, s2
	v_or_b32_e32 v11, 0x400, v0
	s_mov_b32 s2, exec_lo
	s_delay_alu instid0(VALU_DEP_1)
	v_cmpx_gt_u32_e64 s3, v11
	s_cbranch_execz .LBB455_283
; %bb.275:
	s_mov_b32 s4, exec_lo
	v_cmpx_le_u32_e64 v1, v11
	s_xor_b32 s4, exec_lo, s4
	s_cbranch_execz .LBB455_281
; %bb.276:
	s_mov_b32 s5, exec_lo
	v_cmpx_le_u32_e64 v10, v11
	s_xor_b32 s5, exec_lo, s5
	s_cbranch_execz .LBB455_278
; %bb.277:
	v_lshlrev_b32_e32 v11, 2, v0
	ds_load_b32 v13, v11 offset:4096
	v_add_co_u32 v11, vcc_lo, v3, v0
	v_add_co_ci_u32_e32 v12, vcc_lo, 0, v9, vcc_lo
	s_delay_alu instid0(VALU_DEP_1) | instskip(NEXT) | instid1(VALU_DEP_1)
	v_lshlrev_b64 v[11:12], 2, v[11:12]
	v_sub_co_u32 v11, vcc_lo, s1, v11
	s_delay_alu instid0(VALU_DEP_2)
	v_sub_co_ci_u32_e32 v12, vcc_lo, s0, v12, vcc_lo
	s_waitcnt lgkmcnt(0)
	global_store_b32 v[11:12], v13, off offset:-4096
                                        ; implicit-def: $vgpr11
.LBB455_278:
	s_and_not1_saveexec_b32 s5, s5
	s_cbranch_execz .LBB455_280
; %bb.279:
	v_lshlrev_b32_e32 v12, 2, v0
	v_lshlrev_b32_e32 v11, 2, v11
	v_readfirstlane_b32 s6, v5
	v_readfirstlane_b32 s7, v6
	ds_load_b32 v12, v12 offset:4096
	s_waitcnt lgkmcnt(0)
	global_store_b32 v11, v12, s[6:7]
.LBB455_280:
	s_or_b32 exec_lo, exec_lo, s5
                                        ; implicit-def: $vgpr11
.LBB455_281:
	s_and_not1_saveexec_b32 s4, s4
	s_cbranch_execz .LBB455_283
; %bb.282:
	v_lshlrev_b32_e32 v12, 2, v0
	v_lshlrev_b32_e32 v11, 2, v11
	v_readfirstlane_b32 s4, v7
	v_readfirstlane_b32 s5, v8
	ds_load_b32 v12, v12 offset:4096
	s_waitcnt lgkmcnt(0)
	global_store_b32 v11, v12, s[4:5]
.LBB455_283:
	s_or_b32 exec_lo, exec_lo, s2
	v_or_b32_e32 v11, 0x500, v0
	s_mov_b32 s2, exec_lo
	s_delay_alu instid0(VALU_DEP_1)
	v_cmpx_gt_u32_e64 s3, v11
	s_cbranch_execz .LBB455_292
; %bb.284:
	s_mov_b32 s4, exec_lo
	v_cmpx_le_u32_e64 v1, v11
	s_xor_b32 s4, exec_lo, s4
	s_cbranch_execz .LBB455_290
; %bb.285:
	s_mov_b32 s5, exec_lo
	v_cmpx_le_u32_e64 v10, v11
	s_xor_b32 s5, exec_lo, s5
	s_cbranch_execz .LBB455_287
; %bb.286:
	v_lshlrev_b32_e32 v12, 2, v0
	v_add_co_u32 v11, vcc_lo, v3, v11
	ds_load_b32 v13, v12 offset:5120
	v_add_co_ci_u32_e32 v12, vcc_lo, 0, v9, vcc_lo
	s_delay_alu instid0(VALU_DEP_1) | instskip(NEXT) | instid1(VALU_DEP_1)
	v_lshlrev_b64 v[11:12], 2, v[11:12]
	v_sub_co_u32 v11, vcc_lo, s1, v11
	s_delay_alu instid0(VALU_DEP_2)
	v_sub_co_ci_u32_e32 v12, vcc_lo, s0, v12, vcc_lo
	s_waitcnt lgkmcnt(0)
	global_store_b32 v[11:12], v13, off
                                        ; implicit-def: $vgpr11
.LBB455_287:
	s_and_not1_saveexec_b32 s5, s5
	s_cbranch_execz .LBB455_289
; %bb.288:
	v_lshlrev_b32_e32 v12, 2, v0
	v_lshlrev_b32_e32 v11, 2, v11
	v_readfirstlane_b32 s6, v5
	v_readfirstlane_b32 s7, v6
	ds_load_b32 v12, v12 offset:5120
	s_waitcnt lgkmcnt(0)
	global_store_b32 v11, v12, s[6:7]
.LBB455_289:
	s_or_b32 exec_lo, exec_lo, s5
                                        ; implicit-def: $vgpr11
.LBB455_290:
	s_and_not1_saveexec_b32 s4, s4
	s_cbranch_execz .LBB455_292
; %bb.291:
	v_lshlrev_b32_e32 v12, 2, v0
	v_lshlrev_b32_e32 v11, 2, v11
	v_readfirstlane_b32 s4, v7
	v_readfirstlane_b32 s5, v8
	ds_load_b32 v12, v12 offset:5120
	s_waitcnt lgkmcnt(0)
	global_store_b32 v11, v12, s[4:5]
.LBB455_292:
	s_or_b32 exec_lo, exec_lo, s2
	v_or_b32_e32 v11, 0x600, v0
	s_mov_b32 s2, exec_lo
	s_delay_alu instid0(VALU_DEP_1)
	v_cmpx_gt_u32_e64 s3, v11
	s_cbranch_execz .LBB455_301
; %bb.293:
	s_mov_b32 s4, exec_lo
	v_cmpx_le_u32_e64 v1, v11
	s_xor_b32 s4, exec_lo, s4
	s_cbranch_execz .LBB455_299
; %bb.294:
	s_mov_b32 s5, exec_lo
	v_cmpx_le_u32_e64 v10, v11
	s_xor_b32 s5, exec_lo, s5
	s_cbranch_execz .LBB455_296
; %bb.295:
	v_lshlrev_b32_e32 v12, 2, v0
	v_add_co_u32 v11, vcc_lo, v3, v11
	ds_load_b32 v13, v12 offset:6144
	v_add_co_ci_u32_e32 v12, vcc_lo, 0, v9, vcc_lo
	s_delay_alu instid0(VALU_DEP_1) | instskip(NEXT) | instid1(VALU_DEP_1)
	v_lshlrev_b64 v[11:12], 2, v[11:12]
	v_sub_co_u32 v11, vcc_lo, s1, v11
	s_delay_alu instid0(VALU_DEP_2)
	v_sub_co_ci_u32_e32 v12, vcc_lo, s0, v12, vcc_lo
	s_waitcnt lgkmcnt(0)
	global_store_b32 v[11:12], v13, off
                                        ; implicit-def: $vgpr11
.LBB455_296:
	s_and_not1_saveexec_b32 s5, s5
	s_cbranch_execz .LBB455_298
; %bb.297:
	v_lshlrev_b32_e32 v12, 2, v0
	v_lshlrev_b32_e32 v11, 2, v11
	v_readfirstlane_b32 s6, v5
	v_readfirstlane_b32 s7, v6
	ds_load_b32 v12, v12 offset:6144
	s_waitcnt lgkmcnt(0)
	global_store_b32 v11, v12, s[6:7]
.LBB455_298:
	s_or_b32 exec_lo, exec_lo, s5
                                        ; implicit-def: $vgpr11
.LBB455_299:
	s_and_not1_saveexec_b32 s4, s4
	s_cbranch_execz .LBB455_301
; %bb.300:
	v_lshlrev_b32_e32 v12, 2, v0
	v_lshlrev_b32_e32 v11, 2, v11
	v_readfirstlane_b32 s4, v7
	v_readfirstlane_b32 s5, v8
	ds_load_b32 v12, v12 offset:6144
	s_waitcnt lgkmcnt(0)
	global_store_b32 v11, v12, s[4:5]
.LBB455_301:
	;; [unrolled: 55-line block ×7, first 2 shown]
	s_or_b32 exec_lo, exec_lo, s2
	v_or_b32_e32 v11, 0xc00, v0
	s_mov_b32 s2, exec_lo
	s_delay_alu instid0(VALU_DEP_1)
	v_cmpx_gt_u32_e64 s3, v11
	s_cbranch_execz .LBB455_355
; %bb.347:
	s_mov_b32 s3, exec_lo
	v_cmpx_le_u32_e64 v1, v11
	s_xor_b32 s3, exec_lo, s3
	s_cbranch_execz .LBB455_353
; %bb.348:
	s_mov_b32 s4, exec_lo
	v_cmpx_le_u32_e64 v10, v11
	s_xor_b32 s4, exec_lo, s4
	s_cbranch_execz .LBB455_350
; %bb.349:
	v_lshlrev_b32_e32 v5, 2, v0
	ds_load_b32 v7, v5 offset:12288
	v_add_co_u32 v5, vcc_lo, v3, v11
	v_add_co_ci_u32_e32 v6, vcc_lo, 0, v9, vcc_lo
                                        ; implicit-def: $vgpr11
	s_delay_alu instid0(VALU_DEP_1) | instskip(NEXT) | instid1(VALU_DEP_1)
	v_lshlrev_b64 v[5:6], 2, v[5:6]
	v_sub_co_u32 v5, vcc_lo, s1, v5
	s_delay_alu instid0(VALU_DEP_2)
	v_sub_co_ci_u32_e32 v6, vcc_lo, s0, v6, vcc_lo
	s_waitcnt lgkmcnt(0)
	global_store_b32 v[5:6], v7, off
                                        ; implicit-def: $vgpr5_vgpr6
.LBB455_350:
	s_and_not1_saveexec_b32 s0, s4
	s_cbranch_execz .LBB455_352
; %bb.351:
	v_lshlrev_b32_e32 v3, 2, v0
	v_lshlrev_b32_e32 v7, 2, v11
	v_readfirstlane_b32 s4, v5
	v_readfirstlane_b32 s5, v6
	ds_load_b32 v3, v3 offset:12288
	s_waitcnt lgkmcnt(0)
	global_store_b32 v7, v3, s[4:5]
.LBB455_352:
	s_or_b32 exec_lo, exec_lo, s0
                                        ; implicit-def: $vgpr11
                                        ; implicit-def: $vgpr7_vgpr8
.LBB455_353:
	s_and_not1_saveexec_b32 s0, s3
	s_cbranch_execz .LBB455_355
; %bb.354:
	v_lshlrev_b32_e32 v3, 2, v0
	v_lshlrev_b32_e32 v5, 2, v11
	v_readfirstlane_b32 s0, v7
	v_readfirstlane_b32 s1, v8
	ds_load_b32 v3, v3 offset:12288
	s_waitcnt lgkmcnt(0)
	global_store_b32 v5, v3, s[0:1]
.LBB455_355:
	s_or_b32 exec_lo, exec_lo, s2
	v_cmp_eq_u32_e32 vcc_lo, 0, v0
	s_and_b32 s0, vcc_lo, s14
	s_delay_alu instid0(SALU_CYCLE_1)
	s_and_saveexec_b32 s1, s0
	s_cbranch_execz .LBB455_132
.LBB455_356:
	v_add_co_u32 v2, s0, s30, v2
	s_delay_alu instid0(VALU_DEP_1) | instskip(SKIP_2) | instid1(VALU_DEP_4)
	v_add_co_ci_u32_e64 v3, null, s31, 0, s0
	v_add_co_u32 v0, vcc_lo, v18, v1
	v_add_co_ci_u32_e32 v1, vcc_lo, 0, v19, vcc_lo
	v_add_co_u32 v2, vcc_lo, v2, v4
	v_mov_b32_e32 v5, 0
	v_add_co_ci_u32_e32 v3, vcc_lo, 0, v3, vcc_lo
	global_store_b128 v5, v[0:3], s[24:25]
	s_nop 0
	s_sendmsg sendmsg(MSG_DEALLOC_VGPRS)
	s_endpgm
.LBB455_357:
	v_add_nc_u32_e32 v3, s7, v23
	s_add_i32 s10, s15, 32
	s_mov_b32 s11, 0
	v_dual_mov_b32 v5, 0 :: v_dual_add_nc_u32 v2, v22, v1
	s_lshl_b64 s[10:11], s[10:11], 4
	v_and_b32_e32 v20, 0xff0000, v3
	s_add_u32 s10, s4, s10
	s_addc_u32 s11, s5, s11
	v_and_b32_e32 v4, 0xff000000, v3
	s_delay_alu instid0(VALU_DEP_1) | instskip(SKIP_2) | instid1(VALU_DEP_1)
	v_or_b32_e32 v20, v20, v4
	v_dual_mov_b32 v4, 2 :: v_dual_and_b32 v21, 0xff00, v3
	v_and_b32_e32 v3, 0xff, v3
	v_or3_b32 v3, v20, v21, v3
	v_dual_mov_b32 v21, s11 :: v_dual_mov_b32 v20, s10
	;;#ASMSTART
	global_store_dwordx4 v[20:21], v[2:5] off	
s_waitcnt vmcnt(0)
	;;#ASMEND
	s_or_b32 exec_lo, exec_lo, s8
	s_and_saveexec_b32 s8, s2
	s_cbranch_execz .LBB455_116
.LBB455_358:
	v_mov_b32_e32 v2, s7
	v_add_nc_u32_e64 v3, 0x3400, 0
	ds_store_2addr_b32 v3, v1, v2 offset1:2
	ds_store_2addr_b32 v3, v22, v23 offset0:4 offset1:6
	s_or_b32 exec_lo, exec_lo, s8
	v_cmp_eq_u32_e32 vcc_lo, 0, v0
	s_and_b32 exec_lo, exec_lo, vcc_lo
	s_cbranch_execnz .LBB455_117
	s_branch .LBB455_118
	.section	.rodata,"a",@progbits
	.p2align	6, 0x0
	.amdhsa_kernel _ZN7rocprim17ROCPRIM_400000_NS6detail17trampoline_kernelINS0_13select_configILj256ELj13ELNS0_17block_load_methodE3ELS4_3ELS4_3ELNS0_20block_scan_algorithmE0ELj4294967295EEENS1_25partition_config_selectorILNS1_17partition_subalgoE4EjNS0_10empty_typeEbEEZZNS1_14partition_implILS8_4ELb0ES6_15HIP_vector_typeIjLj2EENS0_17counting_iteratorIjlEEPS9_SG_NS0_5tupleIJPjSI_NS0_16reverse_iteratorISI_EEEEENSH_IJSG_SG_SG_EEES9_SI_JZNS1_25segmented_radix_sort_implINS0_14default_configELb1EPKiPiPKlPlN2at6native12_GLOBAL__N_18offset_tEEE10hipError_tPvRmT1_PNSt15iterator_traitsIS12_E10value_typeET2_T3_PNS13_IS18_E10value_typeET4_jRbjT5_S1E_jjP12ihipStream_tbEUljE_ZNSN_ISO_Lb1ESQ_SR_ST_SU_SY_EESZ_S10_S11_S12_S16_S17_S18_S1B_S1C_jS1D_jS1E_S1E_jjS1G_bEUljE0_EEESZ_S10_S11_S18_S1C_S1E_T6_T7_T9_mT8_S1G_bDpT10_ENKUlT_T0_E_clISt17integral_constantIbLb1EES1T_IbLb0EEEEDaS1P_S1Q_EUlS1P_E_NS1_11comp_targetILNS1_3genE9ELNS1_11target_archE1100ELNS1_3gpuE3ELNS1_3repE0EEENS1_30default_config_static_selectorELNS0_4arch9wavefront6targetE0EEEvS12_
		.amdhsa_group_segment_fixed_size 13340
		.amdhsa_private_segment_fixed_size 0
		.amdhsa_kernarg_size 176
		.amdhsa_user_sgpr_count 15
		.amdhsa_user_sgpr_dispatch_ptr 0
		.amdhsa_user_sgpr_queue_ptr 0
		.amdhsa_user_sgpr_kernarg_segment_ptr 1
		.amdhsa_user_sgpr_dispatch_id 0
		.amdhsa_user_sgpr_private_segment_size 0
		.amdhsa_wavefront_size32 1
		.amdhsa_uses_dynamic_stack 0
		.amdhsa_enable_private_segment 0
		.amdhsa_system_sgpr_workgroup_id_x 1
		.amdhsa_system_sgpr_workgroup_id_y 0
		.amdhsa_system_sgpr_workgroup_id_z 0
		.amdhsa_system_sgpr_workgroup_info 0
		.amdhsa_system_vgpr_workitem_id 0
		.amdhsa_next_free_vgpr 98
		.amdhsa_next_free_sgpr 59
		.amdhsa_reserve_vcc 1
		.amdhsa_float_round_mode_32 0
		.amdhsa_float_round_mode_16_64 0
		.amdhsa_float_denorm_mode_32 3
		.amdhsa_float_denorm_mode_16_64 3
		.amdhsa_dx10_clamp 1
		.amdhsa_ieee_mode 1
		.amdhsa_fp16_overflow 0
		.amdhsa_workgroup_processor_mode 1
		.amdhsa_memory_ordered 1
		.amdhsa_forward_progress 0
		.amdhsa_shared_vgpr_count 0
		.amdhsa_exception_fp_ieee_invalid_op 0
		.amdhsa_exception_fp_denorm_src 0
		.amdhsa_exception_fp_ieee_div_zero 0
		.amdhsa_exception_fp_ieee_overflow 0
		.amdhsa_exception_fp_ieee_underflow 0
		.amdhsa_exception_fp_ieee_inexact 0
		.amdhsa_exception_int_div_zero 0
	.end_amdhsa_kernel
	.section	.text._ZN7rocprim17ROCPRIM_400000_NS6detail17trampoline_kernelINS0_13select_configILj256ELj13ELNS0_17block_load_methodE3ELS4_3ELS4_3ELNS0_20block_scan_algorithmE0ELj4294967295EEENS1_25partition_config_selectorILNS1_17partition_subalgoE4EjNS0_10empty_typeEbEEZZNS1_14partition_implILS8_4ELb0ES6_15HIP_vector_typeIjLj2EENS0_17counting_iteratorIjlEEPS9_SG_NS0_5tupleIJPjSI_NS0_16reverse_iteratorISI_EEEEENSH_IJSG_SG_SG_EEES9_SI_JZNS1_25segmented_radix_sort_implINS0_14default_configELb1EPKiPiPKlPlN2at6native12_GLOBAL__N_18offset_tEEE10hipError_tPvRmT1_PNSt15iterator_traitsIS12_E10value_typeET2_T3_PNS13_IS18_E10value_typeET4_jRbjT5_S1E_jjP12ihipStream_tbEUljE_ZNSN_ISO_Lb1ESQ_SR_ST_SU_SY_EESZ_S10_S11_S12_S16_S17_S18_S1B_S1C_jS1D_jS1E_S1E_jjS1G_bEUljE0_EEESZ_S10_S11_S18_S1C_S1E_T6_T7_T9_mT8_S1G_bDpT10_ENKUlT_T0_E_clISt17integral_constantIbLb1EES1T_IbLb0EEEEDaS1P_S1Q_EUlS1P_E_NS1_11comp_targetILNS1_3genE9ELNS1_11target_archE1100ELNS1_3gpuE3ELNS1_3repE0EEENS1_30default_config_static_selectorELNS0_4arch9wavefront6targetE0EEEvS12_,"axG",@progbits,_ZN7rocprim17ROCPRIM_400000_NS6detail17trampoline_kernelINS0_13select_configILj256ELj13ELNS0_17block_load_methodE3ELS4_3ELS4_3ELNS0_20block_scan_algorithmE0ELj4294967295EEENS1_25partition_config_selectorILNS1_17partition_subalgoE4EjNS0_10empty_typeEbEEZZNS1_14partition_implILS8_4ELb0ES6_15HIP_vector_typeIjLj2EENS0_17counting_iteratorIjlEEPS9_SG_NS0_5tupleIJPjSI_NS0_16reverse_iteratorISI_EEEEENSH_IJSG_SG_SG_EEES9_SI_JZNS1_25segmented_radix_sort_implINS0_14default_configELb1EPKiPiPKlPlN2at6native12_GLOBAL__N_18offset_tEEE10hipError_tPvRmT1_PNSt15iterator_traitsIS12_E10value_typeET2_T3_PNS13_IS18_E10value_typeET4_jRbjT5_S1E_jjP12ihipStream_tbEUljE_ZNSN_ISO_Lb1ESQ_SR_ST_SU_SY_EESZ_S10_S11_S12_S16_S17_S18_S1B_S1C_jS1D_jS1E_S1E_jjS1G_bEUljE0_EEESZ_S10_S11_S18_S1C_S1E_T6_T7_T9_mT8_S1G_bDpT10_ENKUlT_T0_E_clISt17integral_constantIbLb1EES1T_IbLb0EEEEDaS1P_S1Q_EUlS1P_E_NS1_11comp_targetILNS1_3genE9ELNS1_11target_archE1100ELNS1_3gpuE3ELNS1_3repE0EEENS1_30default_config_static_selectorELNS0_4arch9wavefront6targetE0EEEvS12_,comdat
.Lfunc_end455:
	.size	_ZN7rocprim17ROCPRIM_400000_NS6detail17trampoline_kernelINS0_13select_configILj256ELj13ELNS0_17block_load_methodE3ELS4_3ELS4_3ELNS0_20block_scan_algorithmE0ELj4294967295EEENS1_25partition_config_selectorILNS1_17partition_subalgoE4EjNS0_10empty_typeEbEEZZNS1_14partition_implILS8_4ELb0ES6_15HIP_vector_typeIjLj2EENS0_17counting_iteratorIjlEEPS9_SG_NS0_5tupleIJPjSI_NS0_16reverse_iteratorISI_EEEEENSH_IJSG_SG_SG_EEES9_SI_JZNS1_25segmented_radix_sort_implINS0_14default_configELb1EPKiPiPKlPlN2at6native12_GLOBAL__N_18offset_tEEE10hipError_tPvRmT1_PNSt15iterator_traitsIS12_E10value_typeET2_T3_PNS13_IS18_E10value_typeET4_jRbjT5_S1E_jjP12ihipStream_tbEUljE_ZNSN_ISO_Lb1ESQ_SR_ST_SU_SY_EESZ_S10_S11_S12_S16_S17_S18_S1B_S1C_jS1D_jS1E_S1E_jjS1G_bEUljE0_EEESZ_S10_S11_S18_S1C_S1E_T6_T7_T9_mT8_S1G_bDpT10_ENKUlT_T0_E_clISt17integral_constantIbLb1EES1T_IbLb0EEEEDaS1P_S1Q_EUlS1P_E_NS1_11comp_targetILNS1_3genE9ELNS1_11target_archE1100ELNS1_3gpuE3ELNS1_3repE0EEENS1_30default_config_static_selectorELNS0_4arch9wavefront6targetE0EEEvS12_, .Lfunc_end455-_ZN7rocprim17ROCPRIM_400000_NS6detail17trampoline_kernelINS0_13select_configILj256ELj13ELNS0_17block_load_methodE3ELS4_3ELS4_3ELNS0_20block_scan_algorithmE0ELj4294967295EEENS1_25partition_config_selectorILNS1_17partition_subalgoE4EjNS0_10empty_typeEbEEZZNS1_14partition_implILS8_4ELb0ES6_15HIP_vector_typeIjLj2EENS0_17counting_iteratorIjlEEPS9_SG_NS0_5tupleIJPjSI_NS0_16reverse_iteratorISI_EEEEENSH_IJSG_SG_SG_EEES9_SI_JZNS1_25segmented_radix_sort_implINS0_14default_configELb1EPKiPiPKlPlN2at6native12_GLOBAL__N_18offset_tEEE10hipError_tPvRmT1_PNSt15iterator_traitsIS12_E10value_typeET2_T3_PNS13_IS18_E10value_typeET4_jRbjT5_S1E_jjP12ihipStream_tbEUljE_ZNSN_ISO_Lb1ESQ_SR_ST_SU_SY_EESZ_S10_S11_S12_S16_S17_S18_S1B_S1C_jS1D_jS1E_S1E_jjS1G_bEUljE0_EEESZ_S10_S11_S18_S1C_S1E_T6_T7_T9_mT8_S1G_bDpT10_ENKUlT_T0_E_clISt17integral_constantIbLb1EES1T_IbLb0EEEEDaS1P_S1Q_EUlS1P_E_NS1_11comp_targetILNS1_3genE9ELNS1_11target_archE1100ELNS1_3gpuE3ELNS1_3repE0EEENS1_30default_config_static_selectorELNS0_4arch9wavefront6targetE0EEEvS12_
                                        ; -- End function
	.section	.AMDGPU.csdata,"",@progbits
; Kernel info:
; codeLenInByte = 15084
; NumSgprs: 61
; NumVgprs: 98
; ScratchSize: 0
; MemoryBound: 0
; FloatMode: 240
; IeeeMode: 1
; LDSByteSize: 13340 bytes/workgroup (compile time only)
; SGPRBlocks: 7
; VGPRBlocks: 12
; NumSGPRsForWavesPerEU: 61
; NumVGPRsForWavesPerEU: 98
; Occupancy: 12
; WaveLimiterHint : 1
; COMPUTE_PGM_RSRC2:SCRATCH_EN: 0
; COMPUTE_PGM_RSRC2:USER_SGPR: 15
; COMPUTE_PGM_RSRC2:TRAP_HANDLER: 0
; COMPUTE_PGM_RSRC2:TGID_X_EN: 1
; COMPUTE_PGM_RSRC2:TGID_Y_EN: 0
; COMPUTE_PGM_RSRC2:TGID_Z_EN: 0
; COMPUTE_PGM_RSRC2:TIDIG_COMP_CNT: 0
	.section	.text._ZN7rocprim17ROCPRIM_400000_NS6detail17trampoline_kernelINS0_13select_configILj256ELj13ELNS0_17block_load_methodE3ELS4_3ELS4_3ELNS0_20block_scan_algorithmE0ELj4294967295EEENS1_25partition_config_selectorILNS1_17partition_subalgoE4EjNS0_10empty_typeEbEEZZNS1_14partition_implILS8_4ELb0ES6_15HIP_vector_typeIjLj2EENS0_17counting_iteratorIjlEEPS9_SG_NS0_5tupleIJPjSI_NS0_16reverse_iteratorISI_EEEEENSH_IJSG_SG_SG_EEES9_SI_JZNS1_25segmented_radix_sort_implINS0_14default_configELb1EPKiPiPKlPlN2at6native12_GLOBAL__N_18offset_tEEE10hipError_tPvRmT1_PNSt15iterator_traitsIS12_E10value_typeET2_T3_PNS13_IS18_E10value_typeET4_jRbjT5_S1E_jjP12ihipStream_tbEUljE_ZNSN_ISO_Lb1ESQ_SR_ST_SU_SY_EESZ_S10_S11_S12_S16_S17_S18_S1B_S1C_jS1D_jS1E_S1E_jjS1G_bEUljE0_EEESZ_S10_S11_S18_S1C_S1E_T6_T7_T9_mT8_S1G_bDpT10_ENKUlT_T0_E_clISt17integral_constantIbLb1EES1T_IbLb0EEEEDaS1P_S1Q_EUlS1P_E_NS1_11comp_targetILNS1_3genE8ELNS1_11target_archE1030ELNS1_3gpuE2ELNS1_3repE0EEENS1_30default_config_static_selectorELNS0_4arch9wavefront6targetE0EEEvS12_,"axG",@progbits,_ZN7rocprim17ROCPRIM_400000_NS6detail17trampoline_kernelINS0_13select_configILj256ELj13ELNS0_17block_load_methodE3ELS4_3ELS4_3ELNS0_20block_scan_algorithmE0ELj4294967295EEENS1_25partition_config_selectorILNS1_17partition_subalgoE4EjNS0_10empty_typeEbEEZZNS1_14partition_implILS8_4ELb0ES6_15HIP_vector_typeIjLj2EENS0_17counting_iteratorIjlEEPS9_SG_NS0_5tupleIJPjSI_NS0_16reverse_iteratorISI_EEEEENSH_IJSG_SG_SG_EEES9_SI_JZNS1_25segmented_radix_sort_implINS0_14default_configELb1EPKiPiPKlPlN2at6native12_GLOBAL__N_18offset_tEEE10hipError_tPvRmT1_PNSt15iterator_traitsIS12_E10value_typeET2_T3_PNS13_IS18_E10value_typeET4_jRbjT5_S1E_jjP12ihipStream_tbEUljE_ZNSN_ISO_Lb1ESQ_SR_ST_SU_SY_EESZ_S10_S11_S12_S16_S17_S18_S1B_S1C_jS1D_jS1E_S1E_jjS1G_bEUljE0_EEESZ_S10_S11_S18_S1C_S1E_T6_T7_T9_mT8_S1G_bDpT10_ENKUlT_T0_E_clISt17integral_constantIbLb1EES1T_IbLb0EEEEDaS1P_S1Q_EUlS1P_E_NS1_11comp_targetILNS1_3genE8ELNS1_11target_archE1030ELNS1_3gpuE2ELNS1_3repE0EEENS1_30default_config_static_selectorELNS0_4arch9wavefront6targetE0EEEvS12_,comdat
	.globl	_ZN7rocprim17ROCPRIM_400000_NS6detail17trampoline_kernelINS0_13select_configILj256ELj13ELNS0_17block_load_methodE3ELS4_3ELS4_3ELNS0_20block_scan_algorithmE0ELj4294967295EEENS1_25partition_config_selectorILNS1_17partition_subalgoE4EjNS0_10empty_typeEbEEZZNS1_14partition_implILS8_4ELb0ES6_15HIP_vector_typeIjLj2EENS0_17counting_iteratorIjlEEPS9_SG_NS0_5tupleIJPjSI_NS0_16reverse_iteratorISI_EEEEENSH_IJSG_SG_SG_EEES9_SI_JZNS1_25segmented_radix_sort_implINS0_14default_configELb1EPKiPiPKlPlN2at6native12_GLOBAL__N_18offset_tEEE10hipError_tPvRmT1_PNSt15iterator_traitsIS12_E10value_typeET2_T3_PNS13_IS18_E10value_typeET4_jRbjT5_S1E_jjP12ihipStream_tbEUljE_ZNSN_ISO_Lb1ESQ_SR_ST_SU_SY_EESZ_S10_S11_S12_S16_S17_S18_S1B_S1C_jS1D_jS1E_S1E_jjS1G_bEUljE0_EEESZ_S10_S11_S18_S1C_S1E_T6_T7_T9_mT8_S1G_bDpT10_ENKUlT_T0_E_clISt17integral_constantIbLb1EES1T_IbLb0EEEEDaS1P_S1Q_EUlS1P_E_NS1_11comp_targetILNS1_3genE8ELNS1_11target_archE1030ELNS1_3gpuE2ELNS1_3repE0EEENS1_30default_config_static_selectorELNS0_4arch9wavefront6targetE0EEEvS12_ ; -- Begin function _ZN7rocprim17ROCPRIM_400000_NS6detail17trampoline_kernelINS0_13select_configILj256ELj13ELNS0_17block_load_methodE3ELS4_3ELS4_3ELNS0_20block_scan_algorithmE0ELj4294967295EEENS1_25partition_config_selectorILNS1_17partition_subalgoE4EjNS0_10empty_typeEbEEZZNS1_14partition_implILS8_4ELb0ES6_15HIP_vector_typeIjLj2EENS0_17counting_iteratorIjlEEPS9_SG_NS0_5tupleIJPjSI_NS0_16reverse_iteratorISI_EEEEENSH_IJSG_SG_SG_EEES9_SI_JZNS1_25segmented_radix_sort_implINS0_14default_configELb1EPKiPiPKlPlN2at6native12_GLOBAL__N_18offset_tEEE10hipError_tPvRmT1_PNSt15iterator_traitsIS12_E10value_typeET2_T3_PNS13_IS18_E10value_typeET4_jRbjT5_S1E_jjP12ihipStream_tbEUljE_ZNSN_ISO_Lb1ESQ_SR_ST_SU_SY_EESZ_S10_S11_S12_S16_S17_S18_S1B_S1C_jS1D_jS1E_S1E_jjS1G_bEUljE0_EEESZ_S10_S11_S18_S1C_S1E_T6_T7_T9_mT8_S1G_bDpT10_ENKUlT_T0_E_clISt17integral_constantIbLb1EES1T_IbLb0EEEEDaS1P_S1Q_EUlS1P_E_NS1_11comp_targetILNS1_3genE8ELNS1_11target_archE1030ELNS1_3gpuE2ELNS1_3repE0EEENS1_30default_config_static_selectorELNS0_4arch9wavefront6targetE0EEEvS12_
	.p2align	8
	.type	_ZN7rocprim17ROCPRIM_400000_NS6detail17trampoline_kernelINS0_13select_configILj256ELj13ELNS0_17block_load_methodE3ELS4_3ELS4_3ELNS0_20block_scan_algorithmE0ELj4294967295EEENS1_25partition_config_selectorILNS1_17partition_subalgoE4EjNS0_10empty_typeEbEEZZNS1_14partition_implILS8_4ELb0ES6_15HIP_vector_typeIjLj2EENS0_17counting_iteratorIjlEEPS9_SG_NS0_5tupleIJPjSI_NS0_16reverse_iteratorISI_EEEEENSH_IJSG_SG_SG_EEES9_SI_JZNS1_25segmented_radix_sort_implINS0_14default_configELb1EPKiPiPKlPlN2at6native12_GLOBAL__N_18offset_tEEE10hipError_tPvRmT1_PNSt15iterator_traitsIS12_E10value_typeET2_T3_PNS13_IS18_E10value_typeET4_jRbjT5_S1E_jjP12ihipStream_tbEUljE_ZNSN_ISO_Lb1ESQ_SR_ST_SU_SY_EESZ_S10_S11_S12_S16_S17_S18_S1B_S1C_jS1D_jS1E_S1E_jjS1G_bEUljE0_EEESZ_S10_S11_S18_S1C_S1E_T6_T7_T9_mT8_S1G_bDpT10_ENKUlT_T0_E_clISt17integral_constantIbLb1EES1T_IbLb0EEEEDaS1P_S1Q_EUlS1P_E_NS1_11comp_targetILNS1_3genE8ELNS1_11target_archE1030ELNS1_3gpuE2ELNS1_3repE0EEENS1_30default_config_static_selectorELNS0_4arch9wavefront6targetE0EEEvS12_,@function
_ZN7rocprim17ROCPRIM_400000_NS6detail17trampoline_kernelINS0_13select_configILj256ELj13ELNS0_17block_load_methodE3ELS4_3ELS4_3ELNS0_20block_scan_algorithmE0ELj4294967295EEENS1_25partition_config_selectorILNS1_17partition_subalgoE4EjNS0_10empty_typeEbEEZZNS1_14partition_implILS8_4ELb0ES6_15HIP_vector_typeIjLj2EENS0_17counting_iteratorIjlEEPS9_SG_NS0_5tupleIJPjSI_NS0_16reverse_iteratorISI_EEEEENSH_IJSG_SG_SG_EEES9_SI_JZNS1_25segmented_radix_sort_implINS0_14default_configELb1EPKiPiPKlPlN2at6native12_GLOBAL__N_18offset_tEEE10hipError_tPvRmT1_PNSt15iterator_traitsIS12_E10value_typeET2_T3_PNS13_IS18_E10value_typeET4_jRbjT5_S1E_jjP12ihipStream_tbEUljE_ZNSN_ISO_Lb1ESQ_SR_ST_SU_SY_EESZ_S10_S11_S12_S16_S17_S18_S1B_S1C_jS1D_jS1E_S1E_jjS1G_bEUljE0_EEESZ_S10_S11_S18_S1C_S1E_T6_T7_T9_mT8_S1G_bDpT10_ENKUlT_T0_E_clISt17integral_constantIbLb1EES1T_IbLb0EEEEDaS1P_S1Q_EUlS1P_E_NS1_11comp_targetILNS1_3genE8ELNS1_11target_archE1030ELNS1_3gpuE2ELNS1_3repE0EEENS1_30default_config_static_selectorELNS0_4arch9wavefront6targetE0EEEvS12_: ; @_ZN7rocprim17ROCPRIM_400000_NS6detail17trampoline_kernelINS0_13select_configILj256ELj13ELNS0_17block_load_methodE3ELS4_3ELS4_3ELNS0_20block_scan_algorithmE0ELj4294967295EEENS1_25partition_config_selectorILNS1_17partition_subalgoE4EjNS0_10empty_typeEbEEZZNS1_14partition_implILS8_4ELb0ES6_15HIP_vector_typeIjLj2EENS0_17counting_iteratorIjlEEPS9_SG_NS0_5tupleIJPjSI_NS0_16reverse_iteratorISI_EEEEENSH_IJSG_SG_SG_EEES9_SI_JZNS1_25segmented_radix_sort_implINS0_14default_configELb1EPKiPiPKlPlN2at6native12_GLOBAL__N_18offset_tEEE10hipError_tPvRmT1_PNSt15iterator_traitsIS12_E10value_typeET2_T3_PNS13_IS18_E10value_typeET4_jRbjT5_S1E_jjP12ihipStream_tbEUljE_ZNSN_ISO_Lb1ESQ_SR_ST_SU_SY_EESZ_S10_S11_S12_S16_S17_S18_S1B_S1C_jS1D_jS1E_S1E_jjS1G_bEUljE0_EEESZ_S10_S11_S18_S1C_S1E_T6_T7_T9_mT8_S1G_bDpT10_ENKUlT_T0_E_clISt17integral_constantIbLb1EES1T_IbLb0EEEEDaS1P_S1Q_EUlS1P_E_NS1_11comp_targetILNS1_3genE8ELNS1_11target_archE1030ELNS1_3gpuE2ELNS1_3repE0EEENS1_30default_config_static_selectorELNS0_4arch9wavefront6targetE0EEEvS12_
; %bb.0:
	.section	.rodata,"a",@progbits
	.p2align	6, 0x0
	.amdhsa_kernel _ZN7rocprim17ROCPRIM_400000_NS6detail17trampoline_kernelINS0_13select_configILj256ELj13ELNS0_17block_load_methodE3ELS4_3ELS4_3ELNS0_20block_scan_algorithmE0ELj4294967295EEENS1_25partition_config_selectorILNS1_17partition_subalgoE4EjNS0_10empty_typeEbEEZZNS1_14partition_implILS8_4ELb0ES6_15HIP_vector_typeIjLj2EENS0_17counting_iteratorIjlEEPS9_SG_NS0_5tupleIJPjSI_NS0_16reverse_iteratorISI_EEEEENSH_IJSG_SG_SG_EEES9_SI_JZNS1_25segmented_radix_sort_implINS0_14default_configELb1EPKiPiPKlPlN2at6native12_GLOBAL__N_18offset_tEEE10hipError_tPvRmT1_PNSt15iterator_traitsIS12_E10value_typeET2_T3_PNS13_IS18_E10value_typeET4_jRbjT5_S1E_jjP12ihipStream_tbEUljE_ZNSN_ISO_Lb1ESQ_SR_ST_SU_SY_EESZ_S10_S11_S12_S16_S17_S18_S1B_S1C_jS1D_jS1E_S1E_jjS1G_bEUljE0_EEESZ_S10_S11_S18_S1C_S1E_T6_T7_T9_mT8_S1G_bDpT10_ENKUlT_T0_E_clISt17integral_constantIbLb1EES1T_IbLb0EEEEDaS1P_S1Q_EUlS1P_E_NS1_11comp_targetILNS1_3genE8ELNS1_11target_archE1030ELNS1_3gpuE2ELNS1_3repE0EEENS1_30default_config_static_selectorELNS0_4arch9wavefront6targetE0EEEvS12_
		.amdhsa_group_segment_fixed_size 0
		.amdhsa_private_segment_fixed_size 0
		.amdhsa_kernarg_size 176
		.amdhsa_user_sgpr_count 15
		.amdhsa_user_sgpr_dispatch_ptr 0
		.amdhsa_user_sgpr_queue_ptr 0
		.amdhsa_user_sgpr_kernarg_segment_ptr 1
		.amdhsa_user_sgpr_dispatch_id 0
		.amdhsa_user_sgpr_private_segment_size 0
		.amdhsa_wavefront_size32 1
		.amdhsa_uses_dynamic_stack 0
		.amdhsa_enable_private_segment 0
		.amdhsa_system_sgpr_workgroup_id_x 1
		.amdhsa_system_sgpr_workgroup_id_y 0
		.amdhsa_system_sgpr_workgroup_id_z 0
		.amdhsa_system_sgpr_workgroup_info 0
		.amdhsa_system_vgpr_workitem_id 0
		.amdhsa_next_free_vgpr 1
		.amdhsa_next_free_sgpr 1
		.amdhsa_reserve_vcc 0
		.amdhsa_float_round_mode_32 0
		.amdhsa_float_round_mode_16_64 0
		.amdhsa_float_denorm_mode_32 3
		.amdhsa_float_denorm_mode_16_64 3
		.amdhsa_dx10_clamp 1
		.amdhsa_ieee_mode 1
		.amdhsa_fp16_overflow 0
		.amdhsa_workgroup_processor_mode 1
		.amdhsa_memory_ordered 1
		.amdhsa_forward_progress 0
		.amdhsa_shared_vgpr_count 0
		.amdhsa_exception_fp_ieee_invalid_op 0
		.amdhsa_exception_fp_denorm_src 0
		.amdhsa_exception_fp_ieee_div_zero 0
		.amdhsa_exception_fp_ieee_overflow 0
		.amdhsa_exception_fp_ieee_underflow 0
		.amdhsa_exception_fp_ieee_inexact 0
		.amdhsa_exception_int_div_zero 0
	.end_amdhsa_kernel
	.section	.text._ZN7rocprim17ROCPRIM_400000_NS6detail17trampoline_kernelINS0_13select_configILj256ELj13ELNS0_17block_load_methodE3ELS4_3ELS4_3ELNS0_20block_scan_algorithmE0ELj4294967295EEENS1_25partition_config_selectorILNS1_17partition_subalgoE4EjNS0_10empty_typeEbEEZZNS1_14partition_implILS8_4ELb0ES6_15HIP_vector_typeIjLj2EENS0_17counting_iteratorIjlEEPS9_SG_NS0_5tupleIJPjSI_NS0_16reverse_iteratorISI_EEEEENSH_IJSG_SG_SG_EEES9_SI_JZNS1_25segmented_radix_sort_implINS0_14default_configELb1EPKiPiPKlPlN2at6native12_GLOBAL__N_18offset_tEEE10hipError_tPvRmT1_PNSt15iterator_traitsIS12_E10value_typeET2_T3_PNS13_IS18_E10value_typeET4_jRbjT5_S1E_jjP12ihipStream_tbEUljE_ZNSN_ISO_Lb1ESQ_SR_ST_SU_SY_EESZ_S10_S11_S12_S16_S17_S18_S1B_S1C_jS1D_jS1E_S1E_jjS1G_bEUljE0_EEESZ_S10_S11_S18_S1C_S1E_T6_T7_T9_mT8_S1G_bDpT10_ENKUlT_T0_E_clISt17integral_constantIbLb1EES1T_IbLb0EEEEDaS1P_S1Q_EUlS1P_E_NS1_11comp_targetILNS1_3genE8ELNS1_11target_archE1030ELNS1_3gpuE2ELNS1_3repE0EEENS1_30default_config_static_selectorELNS0_4arch9wavefront6targetE0EEEvS12_,"axG",@progbits,_ZN7rocprim17ROCPRIM_400000_NS6detail17trampoline_kernelINS0_13select_configILj256ELj13ELNS0_17block_load_methodE3ELS4_3ELS4_3ELNS0_20block_scan_algorithmE0ELj4294967295EEENS1_25partition_config_selectorILNS1_17partition_subalgoE4EjNS0_10empty_typeEbEEZZNS1_14partition_implILS8_4ELb0ES6_15HIP_vector_typeIjLj2EENS0_17counting_iteratorIjlEEPS9_SG_NS0_5tupleIJPjSI_NS0_16reverse_iteratorISI_EEEEENSH_IJSG_SG_SG_EEES9_SI_JZNS1_25segmented_radix_sort_implINS0_14default_configELb1EPKiPiPKlPlN2at6native12_GLOBAL__N_18offset_tEEE10hipError_tPvRmT1_PNSt15iterator_traitsIS12_E10value_typeET2_T3_PNS13_IS18_E10value_typeET4_jRbjT5_S1E_jjP12ihipStream_tbEUljE_ZNSN_ISO_Lb1ESQ_SR_ST_SU_SY_EESZ_S10_S11_S12_S16_S17_S18_S1B_S1C_jS1D_jS1E_S1E_jjS1G_bEUljE0_EEESZ_S10_S11_S18_S1C_S1E_T6_T7_T9_mT8_S1G_bDpT10_ENKUlT_T0_E_clISt17integral_constantIbLb1EES1T_IbLb0EEEEDaS1P_S1Q_EUlS1P_E_NS1_11comp_targetILNS1_3genE8ELNS1_11target_archE1030ELNS1_3gpuE2ELNS1_3repE0EEENS1_30default_config_static_selectorELNS0_4arch9wavefront6targetE0EEEvS12_,comdat
.Lfunc_end456:
	.size	_ZN7rocprim17ROCPRIM_400000_NS6detail17trampoline_kernelINS0_13select_configILj256ELj13ELNS0_17block_load_methodE3ELS4_3ELS4_3ELNS0_20block_scan_algorithmE0ELj4294967295EEENS1_25partition_config_selectorILNS1_17partition_subalgoE4EjNS0_10empty_typeEbEEZZNS1_14partition_implILS8_4ELb0ES6_15HIP_vector_typeIjLj2EENS0_17counting_iteratorIjlEEPS9_SG_NS0_5tupleIJPjSI_NS0_16reverse_iteratorISI_EEEEENSH_IJSG_SG_SG_EEES9_SI_JZNS1_25segmented_radix_sort_implINS0_14default_configELb1EPKiPiPKlPlN2at6native12_GLOBAL__N_18offset_tEEE10hipError_tPvRmT1_PNSt15iterator_traitsIS12_E10value_typeET2_T3_PNS13_IS18_E10value_typeET4_jRbjT5_S1E_jjP12ihipStream_tbEUljE_ZNSN_ISO_Lb1ESQ_SR_ST_SU_SY_EESZ_S10_S11_S12_S16_S17_S18_S1B_S1C_jS1D_jS1E_S1E_jjS1G_bEUljE0_EEESZ_S10_S11_S18_S1C_S1E_T6_T7_T9_mT8_S1G_bDpT10_ENKUlT_T0_E_clISt17integral_constantIbLb1EES1T_IbLb0EEEEDaS1P_S1Q_EUlS1P_E_NS1_11comp_targetILNS1_3genE8ELNS1_11target_archE1030ELNS1_3gpuE2ELNS1_3repE0EEENS1_30default_config_static_selectorELNS0_4arch9wavefront6targetE0EEEvS12_, .Lfunc_end456-_ZN7rocprim17ROCPRIM_400000_NS6detail17trampoline_kernelINS0_13select_configILj256ELj13ELNS0_17block_load_methodE3ELS4_3ELS4_3ELNS0_20block_scan_algorithmE0ELj4294967295EEENS1_25partition_config_selectorILNS1_17partition_subalgoE4EjNS0_10empty_typeEbEEZZNS1_14partition_implILS8_4ELb0ES6_15HIP_vector_typeIjLj2EENS0_17counting_iteratorIjlEEPS9_SG_NS0_5tupleIJPjSI_NS0_16reverse_iteratorISI_EEEEENSH_IJSG_SG_SG_EEES9_SI_JZNS1_25segmented_radix_sort_implINS0_14default_configELb1EPKiPiPKlPlN2at6native12_GLOBAL__N_18offset_tEEE10hipError_tPvRmT1_PNSt15iterator_traitsIS12_E10value_typeET2_T3_PNS13_IS18_E10value_typeET4_jRbjT5_S1E_jjP12ihipStream_tbEUljE_ZNSN_ISO_Lb1ESQ_SR_ST_SU_SY_EESZ_S10_S11_S12_S16_S17_S18_S1B_S1C_jS1D_jS1E_S1E_jjS1G_bEUljE0_EEESZ_S10_S11_S18_S1C_S1E_T6_T7_T9_mT8_S1G_bDpT10_ENKUlT_T0_E_clISt17integral_constantIbLb1EES1T_IbLb0EEEEDaS1P_S1Q_EUlS1P_E_NS1_11comp_targetILNS1_3genE8ELNS1_11target_archE1030ELNS1_3gpuE2ELNS1_3repE0EEENS1_30default_config_static_selectorELNS0_4arch9wavefront6targetE0EEEvS12_
                                        ; -- End function
	.section	.AMDGPU.csdata,"",@progbits
; Kernel info:
; codeLenInByte = 0
; NumSgprs: 0
; NumVgprs: 0
; ScratchSize: 0
; MemoryBound: 0
; FloatMode: 240
; IeeeMode: 1
; LDSByteSize: 0 bytes/workgroup (compile time only)
; SGPRBlocks: 0
; VGPRBlocks: 0
; NumSGPRsForWavesPerEU: 1
; NumVGPRsForWavesPerEU: 1
; Occupancy: 16
; WaveLimiterHint : 0
; COMPUTE_PGM_RSRC2:SCRATCH_EN: 0
; COMPUTE_PGM_RSRC2:USER_SGPR: 15
; COMPUTE_PGM_RSRC2:TRAP_HANDLER: 0
; COMPUTE_PGM_RSRC2:TGID_X_EN: 1
; COMPUTE_PGM_RSRC2:TGID_Y_EN: 0
; COMPUTE_PGM_RSRC2:TGID_Z_EN: 0
; COMPUTE_PGM_RSRC2:TIDIG_COMP_CNT: 0
	.section	.text._ZN7rocprim17ROCPRIM_400000_NS6detail17trampoline_kernelINS0_13select_configILj256ELj13ELNS0_17block_load_methodE3ELS4_3ELS4_3ELNS0_20block_scan_algorithmE0ELj4294967295EEENS1_25partition_config_selectorILNS1_17partition_subalgoE4EjNS0_10empty_typeEbEEZZNS1_14partition_implILS8_4ELb0ES6_15HIP_vector_typeIjLj2EENS0_17counting_iteratorIjlEEPS9_SG_NS0_5tupleIJPjSI_NS0_16reverse_iteratorISI_EEEEENSH_IJSG_SG_SG_EEES9_SI_JZNS1_25segmented_radix_sort_implINS0_14default_configELb1EPKiPiPKlPlN2at6native12_GLOBAL__N_18offset_tEEE10hipError_tPvRmT1_PNSt15iterator_traitsIS12_E10value_typeET2_T3_PNS13_IS18_E10value_typeET4_jRbjT5_S1E_jjP12ihipStream_tbEUljE_ZNSN_ISO_Lb1ESQ_SR_ST_SU_SY_EESZ_S10_S11_S12_S16_S17_S18_S1B_S1C_jS1D_jS1E_S1E_jjS1G_bEUljE0_EEESZ_S10_S11_S18_S1C_S1E_T6_T7_T9_mT8_S1G_bDpT10_ENKUlT_T0_E_clISt17integral_constantIbLb0EES1T_IbLb1EEEEDaS1P_S1Q_EUlS1P_E_NS1_11comp_targetILNS1_3genE0ELNS1_11target_archE4294967295ELNS1_3gpuE0ELNS1_3repE0EEENS1_30default_config_static_selectorELNS0_4arch9wavefront6targetE0EEEvS12_,"axG",@progbits,_ZN7rocprim17ROCPRIM_400000_NS6detail17trampoline_kernelINS0_13select_configILj256ELj13ELNS0_17block_load_methodE3ELS4_3ELS4_3ELNS0_20block_scan_algorithmE0ELj4294967295EEENS1_25partition_config_selectorILNS1_17partition_subalgoE4EjNS0_10empty_typeEbEEZZNS1_14partition_implILS8_4ELb0ES6_15HIP_vector_typeIjLj2EENS0_17counting_iteratorIjlEEPS9_SG_NS0_5tupleIJPjSI_NS0_16reverse_iteratorISI_EEEEENSH_IJSG_SG_SG_EEES9_SI_JZNS1_25segmented_radix_sort_implINS0_14default_configELb1EPKiPiPKlPlN2at6native12_GLOBAL__N_18offset_tEEE10hipError_tPvRmT1_PNSt15iterator_traitsIS12_E10value_typeET2_T3_PNS13_IS18_E10value_typeET4_jRbjT5_S1E_jjP12ihipStream_tbEUljE_ZNSN_ISO_Lb1ESQ_SR_ST_SU_SY_EESZ_S10_S11_S12_S16_S17_S18_S1B_S1C_jS1D_jS1E_S1E_jjS1G_bEUljE0_EEESZ_S10_S11_S18_S1C_S1E_T6_T7_T9_mT8_S1G_bDpT10_ENKUlT_T0_E_clISt17integral_constantIbLb0EES1T_IbLb1EEEEDaS1P_S1Q_EUlS1P_E_NS1_11comp_targetILNS1_3genE0ELNS1_11target_archE4294967295ELNS1_3gpuE0ELNS1_3repE0EEENS1_30default_config_static_selectorELNS0_4arch9wavefront6targetE0EEEvS12_,comdat
	.globl	_ZN7rocprim17ROCPRIM_400000_NS6detail17trampoline_kernelINS0_13select_configILj256ELj13ELNS0_17block_load_methodE3ELS4_3ELS4_3ELNS0_20block_scan_algorithmE0ELj4294967295EEENS1_25partition_config_selectorILNS1_17partition_subalgoE4EjNS0_10empty_typeEbEEZZNS1_14partition_implILS8_4ELb0ES6_15HIP_vector_typeIjLj2EENS0_17counting_iteratorIjlEEPS9_SG_NS0_5tupleIJPjSI_NS0_16reverse_iteratorISI_EEEEENSH_IJSG_SG_SG_EEES9_SI_JZNS1_25segmented_radix_sort_implINS0_14default_configELb1EPKiPiPKlPlN2at6native12_GLOBAL__N_18offset_tEEE10hipError_tPvRmT1_PNSt15iterator_traitsIS12_E10value_typeET2_T3_PNS13_IS18_E10value_typeET4_jRbjT5_S1E_jjP12ihipStream_tbEUljE_ZNSN_ISO_Lb1ESQ_SR_ST_SU_SY_EESZ_S10_S11_S12_S16_S17_S18_S1B_S1C_jS1D_jS1E_S1E_jjS1G_bEUljE0_EEESZ_S10_S11_S18_S1C_S1E_T6_T7_T9_mT8_S1G_bDpT10_ENKUlT_T0_E_clISt17integral_constantIbLb0EES1T_IbLb1EEEEDaS1P_S1Q_EUlS1P_E_NS1_11comp_targetILNS1_3genE0ELNS1_11target_archE4294967295ELNS1_3gpuE0ELNS1_3repE0EEENS1_30default_config_static_selectorELNS0_4arch9wavefront6targetE0EEEvS12_ ; -- Begin function _ZN7rocprim17ROCPRIM_400000_NS6detail17trampoline_kernelINS0_13select_configILj256ELj13ELNS0_17block_load_methodE3ELS4_3ELS4_3ELNS0_20block_scan_algorithmE0ELj4294967295EEENS1_25partition_config_selectorILNS1_17partition_subalgoE4EjNS0_10empty_typeEbEEZZNS1_14partition_implILS8_4ELb0ES6_15HIP_vector_typeIjLj2EENS0_17counting_iteratorIjlEEPS9_SG_NS0_5tupleIJPjSI_NS0_16reverse_iteratorISI_EEEEENSH_IJSG_SG_SG_EEES9_SI_JZNS1_25segmented_radix_sort_implINS0_14default_configELb1EPKiPiPKlPlN2at6native12_GLOBAL__N_18offset_tEEE10hipError_tPvRmT1_PNSt15iterator_traitsIS12_E10value_typeET2_T3_PNS13_IS18_E10value_typeET4_jRbjT5_S1E_jjP12ihipStream_tbEUljE_ZNSN_ISO_Lb1ESQ_SR_ST_SU_SY_EESZ_S10_S11_S12_S16_S17_S18_S1B_S1C_jS1D_jS1E_S1E_jjS1G_bEUljE0_EEESZ_S10_S11_S18_S1C_S1E_T6_T7_T9_mT8_S1G_bDpT10_ENKUlT_T0_E_clISt17integral_constantIbLb0EES1T_IbLb1EEEEDaS1P_S1Q_EUlS1P_E_NS1_11comp_targetILNS1_3genE0ELNS1_11target_archE4294967295ELNS1_3gpuE0ELNS1_3repE0EEENS1_30default_config_static_selectorELNS0_4arch9wavefront6targetE0EEEvS12_
	.p2align	8
	.type	_ZN7rocprim17ROCPRIM_400000_NS6detail17trampoline_kernelINS0_13select_configILj256ELj13ELNS0_17block_load_methodE3ELS4_3ELS4_3ELNS0_20block_scan_algorithmE0ELj4294967295EEENS1_25partition_config_selectorILNS1_17partition_subalgoE4EjNS0_10empty_typeEbEEZZNS1_14partition_implILS8_4ELb0ES6_15HIP_vector_typeIjLj2EENS0_17counting_iteratorIjlEEPS9_SG_NS0_5tupleIJPjSI_NS0_16reverse_iteratorISI_EEEEENSH_IJSG_SG_SG_EEES9_SI_JZNS1_25segmented_radix_sort_implINS0_14default_configELb1EPKiPiPKlPlN2at6native12_GLOBAL__N_18offset_tEEE10hipError_tPvRmT1_PNSt15iterator_traitsIS12_E10value_typeET2_T3_PNS13_IS18_E10value_typeET4_jRbjT5_S1E_jjP12ihipStream_tbEUljE_ZNSN_ISO_Lb1ESQ_SR_ST_SU_SY_EESZ_S10_S11_S12_S16_S17_S18_S1B_S1C_jS1D_jS1E_S1E_jjS1G_bEUljE0_EEESZ_S10_S11_S18_S1C_S1E_T6_T7_T9_mT8_S1G_bDpT10_ENKUlT_T0_E_clISt17integral_constantIbLb0EES1T_IbLb1EEEEDaS1P_S1Q_EUlS1P_E_NS1_11comp_targetILNS1_3genE0ELNS1_11target_archE4294967295ELNS1_3gpuE0ELNS1_3repE0EEENS1_30default_config_static_selectorELNS0_4arch9wavefront6targetE0EEEvS12_,@function
_ZN7rocprim17ROCPRIM_400000_NS6detail17trampoline_kernelINS0_13select_configILj256ELj13ELNS0_17block_load_methodE3ELS4_3ELS4_3ELNS0_20block_scan_algorithmE0ELj4294967295EEENS1_25partition_config_selectorILNS1_17partition_subalgoE4EjNS0_10empty_typeEbEEZZNS1_14partition_implILS8_4ELb0ES6_15HIP_vector_typeIjLj2EENS0_17counting_iteratorIjlEEPS9_SG_NS0_5tupleIJPjSI_NS0_16reverse_iteratorISI_EEEEENSH_IJSG_SG_SG_EEES9_SI_JZNS1_25segmented_radix_sort_implINS0_14default_configELb1EPKiPiPKlPlN2at6native12_GLOBAL__N_18offset_tEEE10hipError_tPvRmT1_PNSt15iterator_traitsIS12_E10value_typeET2_T3_PNS13_IS18_E10value_typeET4_jRbjT5_S1E_jjP12ihipStream_tbEUljE_ZNSN_ISO_Lb1ESQ_SR_ST_SU_SY_EESZ_S10_S11_S12_S16_S17_S18_S1B_S1C_jS1D_jS1E_S1E_jjS1G_bEUljE0_EEESZ_S10_S11_S18_S1C_S1E_T6_T7_T9_mT8_S1G_bDpT10_ENKUlT_T0_E_clISt17integral_constantIbLb0EES1T_IbLb1EEEEDaS1P_S1Q_EUlS1P_E_NS1_11comp_targetILNS1_3genE0ELNS1_11target_archE4294967295ELNS1_3gpuE0ELNS1_3repE0EEENS1_30default_config_static_selectorELNS0_4arch9wavefront6targetE0EEEvS12_: ; @_ZN7rocprim17ROCPRIM_400000_NS6detail17trampoline_kernelINS0_13select_configILj256ELj13ELNS0_17block_load_methodE3ELS4_3ELS4_3ELNS0_20block_scan_algorithmE0ELj4294967295EEENS1_25partition_config_selectorILNS1_17partition_subalgoE4EjNS0_10empty_typeEbEEZZNS1_14partition_implILS8_4ELb0ES6_15HIP_vector_typeIjLj2EENS0_17counting_iteratorIjlEEPS9_SG_NS0_5tupleIJPjSI_NS0_16reverse_iteratorISI_EEEEENSH_IJSG_SG_SG_EEES9_SI_JZNS1_25segmented_radix_sort_implINS0_14default_configELb1EPKiPiPKlPlN2at6native12_GLOBAL__N_18offset_tEEE10hipError_tPvRmT1_PNSt15iterator_traitsIS12_E10value_typeET2_T3_PNS13_IS18_E10value_typeET4_jRbjT5_S1E_jjP12ihipStream_tbEUljE_ZNSN_ISO_Lb1ESQ_SR_ST_SU_SY_EESZ_S10_S11_S12_S16_S17_S18_S1B_S1C_jS1D_jS1E_S1E_jjS1G_bEUljE0_EEESZ_S10_S11_S18_S1C_S1E_T6_T7_T9_mT8_S1G_bDpT10_ENKUlT_T0_E_clISt17integral_constantIbLb0EES1T_IbLb1EEEEDaS1P_S1Q_EUlS1P_E_NS1_11comp_targetILNS1_3genE0ELNS1_11target_archE4294967295ELNS1_3gpuE0ELNS1_3repE0EEENS1_30default_config_static_selectorELNS0_4arch9wavefront6targetE0EEEvS12_
; %bb.0:
	.section	.rodata,"a",@progbits
	.p2align	6, 0x0
	.amdhsa_kernel _ZN7rocprim17ROCPRIM_400000_NS6detail17trampoline_kernelINS0_13select_configILj256ELj13ELNS0_17block_load_methodE3ELS4_3ELS4_3ELNS0_20block_scan_algorithmE0ELj4294967295EEENS1_25partition_config_selectorILNS1_17partition_subalgoE4EjNS0_10empty_typeEbEEZZNS1_14partition_implILS8_4ELb0ES6_15HIP_vector_typeIjLj2EENS0_17counting_iteratorIjlEEPS9_SG_NS0_5tupleIJPjSI_NS0_16reverse_iteratorISI_EEEEENSH_IJSG_SG_SG_EEES9_SI_JZNS1_25segmented_radix_sort_implINS0_14default_configELb1EPKiPiPKlPlN2at6native12_GLOBAL__N_18offset_tEEE10hipError_tPvRmT1_PNSt15iterator_traitsIS12_E10value_typeET2_T3_PNS13_IS18_E10value_typeET4_jRbjT5_S1E_jjP12ihipStream_tbEUljE_ZNSN_ISO_Lb1ESQ_SR_ST_SU_SY_EESZ_S10_S11_S12_S16_S17_S18_S1B_S1C_jS1D_jS1E_S1E_jjS1G_bEUljE0_EEESZ_S10_S11_S18_S1C_S1E_T6_T7_T9_mT8_S1G_bDpT10_ENKUlT_T0_E_clISt17integral_constantIbLb0EES1T_IbLb1EEEEDaS1P_S1Q_EUlS1P_E_NS1_11comp_targetILNS1_3genE0ELNS1_11target_archE4294967295ELNS1_3gpuE0ELNS1_3repE0EEENS1_30default_config_static_selectorELNS0_4arch9wavefront6targetE0EEEvS12_
		.amdhsa_group_segment_fixed_size 0
		.amdhsa_private_segment_fixed_size 0
		.amdhsa_kernarg_size 184
		.amdhsa_user_sgpr_count 15
		.amdhsa_user_sgpr_dispatch_ptr 0
		.amdhsa_user_sgpr_queue_ptr 0
		.amdhsa_user_sgpr_kernarg_segment_ptr 1
		.amdhsa_user_sgpr_dispatch_id 0
		.amdhsa_user_sgpr_private_segment_size 0
		.amdhsa_wavefront_size32 1
		.amdhsa_uses_dynamic_stack 0
		.amdhsa_enable_private_segment 0
		.amdhsa_system_sgpr_workgroup_id_x 1
		.amdhsa_system_sgpr_workgroup_id_y 0
		.amdhsa_system_sgpr_workgroup_id_z 0
		.amdhsa_system_sgpr_workgroup_info 0
		.amdhsa_system_vgpr_workitem_id 0
		.amdhsa_next_free_vgpr 1
		.amdhsa_next_free_sgpr 1
		.amdhsa_reserve_vcc 0
		.amdhsa_float_round_mode_32 0
		.amdhsa_float_round_mode_16_64 0
		.amdhsa_float_denorm_mode_32 3
		.amdhsa_float_denorm_mode_16_64 3
		.amdhsa_dx10_clamp 1
		.amdhsa_ieee_mode 1
		.amdhsa_fp16_overflow 0
		.amdhsa_workgroup_processor_mode 1
		.amdhsa_memory_ordered 1
		.amdhsa_forward_progress 0
		.amdhsa_shared_vgpr_count 0
		.amdhsa_exception_fp_ieee_invalid_op 0
		.amdhsa_exception_fp_denorm_src 0
		.amdhsa_exception_fp_ieee_div_zero 0
		.amdhsa_exception_fp_ieee_overflow 0
		.amdhsa_exception_fp_ieee_underflow 0
		.amdhsa_exception_fp_ieee_inexact 0
		.amdhsa_exception_int_div_zero 0
	.end_amdhsa_kernel
	.section	.text._ZN7rocprim17ROCPRIM_400000_NS6detail17trampoline_kernelINS0_13select_configILj256ELj13ELNS0_17block_load_methodE3ELS4_3ELS4_3ELNS0_20block_scan_algorithmE0ELj4294967295EEENS1_25partition_config_selectorILNS1_17partition_subalgoE4EjNS0_10empty_typeEbEEZZNS1_14partition_implILS8_4ELb0ES6_15HIP_vector_typeIjLj2EENS0_17counting_iteratorIjlEEPS9_SG_NS0_5tupleIJPjSI_NS0_16reverse_iteratorISI_EEEEENSH_IJSG_SG_SG_EEES9_SI_JZNS1_25segmented_radix_sort_implINS0_14default_configELb1EPKiPiPKlPlN2at6native12_GLOBAL__N_18offset_tEEE10hipError_tPvRmT1_PNSt15iterator_traitsIS12_E10value_typeET2_T3_PNS13_IS18_E10value_typeET4_jRbjT5_S1E_jjP12ihipStream_tbEUljE_ZNSN_ISO_Lb1ESQ_SR_ST_SU_SY_EESZ_S10_S11_S12_S16_S17_S18_S1B_S1C_jS1D_jS1E_S1E_jjS1G_bEUljE0_EEESZ_S10_S11_S18_S1C_S1E_T6_T7_T9_mT8_S1G_bDpT10_ENKUlT_T0_E_clISt17integral_constantIbLb0EES1T_IbLb1EEEEDaS1P_S1Q_EUlS1P_E_NS1_11comp_targetILNS1_3genE0ELNS1_11target_archE4294967295ELNS1_3gpuE0ELNS1_3repE0EEENS1_30default_config_static_selectorELNS0_4arch9wavefront6targetE0EEEvS12_,"axG",@progbits,_ZN7rocprim17ROCPRIM_400000_NS6detail17trampoline_kernelINS0_13select_configILj256ELj13ELNS0_17block_load_methodE3ELS4_3ELS4_3ELNS0_20block_scan_algorithmE0ELj4294967295EEENS1_25partition_config_selectorILNS1_17partition_subalgoE4EjNS0_10empty_typeEbEEZZNS1_14partition_implILS8_4ELb0ES6_15HIP_vector_typeIjLj2EENS0_17counting_iteratorIjlEEPS9_SG_NS0_5tupleIJPjSI_NS0_16reverse_iteratorISI_EEEEENSH_IJSG_SG_SG_EEES9_SI_JZNS1_25segmented_radix_sort_implINS0_14default_configELb1EPKiPiPKlPlN2at6native12_GLOBAL__N_18offset_tEEE10hipError_tPvRmT1_PNSt15iterator_traitsIS12_E10value_typeET2_T3_PNS13_IS18_E10value_typeET4_jRbjT5_S1E_jjP12ihipStream_tbEUljE_ZNSN_ISO_Lb1ESQ_SR_ST_SU_SY_EESZ_S10_S11_S12_S16_S17_S18_S1B_S1C_jS1D_jS1E_S1E_jjS1G_bEUljE0_EEESZ_S10_S11_S18_S1C_S1E_T6_T7_T9_mT8_S1G_bDpT10_ENKUlT_T0_E_clISt17integral_constantIbLb0EES1T_IbLb1EEEEDaS1P_S1Q_EUlS1P_E_NS1_11comp_targetILNS1_3genE0ELNS1_11target_archE4294967295ELNS1_3gpuE0ELNS1_3repE0EEENS1_30default_config_static_selectorELNS0_4arch9wavefront6targetE0EEEvS12_,comdat
.Lfunc_end457:
	.size	_ZN7rocprim17ROCPRIM_400000_NS6detail17trampoline_kernelINS0_13select_configILj256ELj13ELNS0_17block_load_methodE3ELS4_3ELS4_3ELNS0_20block_scan_algorithmE0ELj4294967295EEENS1_25partition_config_selectorILNS1_17partition_subalgoE4EjNS0_10empty_typeEbEEZZNS1_14partition_implILS8_4ELb0ES6_15HIP_vector_typeIjLj2EENS0_17counting_iteratorIjlEEPS9_SG_NS0_5tupleIJPjSI_NS0_16reverse_iteratorISI_EEEEENSH_IJSG_SG_SG_EEES9_SI_JZNS1_25segmented_radix_sort_implINS0_14default_configELb1EPKiPiPKlPlN2at6native12_GLOBAL__N_18offset_tEEE10hipError_tPvRmT1_PNSt15iterator_traitsIS12_E10value_typeET2_T3_PNS13_IS18_E10value_typeET4_jRbjT5_S1E_jjP12ihipStream_tbEUljE_ZNSN_ISO_Lb1ESQ_SR_ST_SU_SY_EESZ_S10_S11_S12_S16_S17_S18_S1B_S1C_jS1D_jS1E_S1E_jjS1G_bEUljE0_EEESZ_S10_S11_S18_S1C_S1E_T6_T7_T9_mT8_S1G_bDpT10_ENKUlT_T0_E_clISt17integral_constantIbLb0EES1T_IbLb1EEEEDaS1P_S1Q_EUlS1P_E_NS1_11comp_targetILNS1_3genE0ELNS1_11target_archE4294967295ELNS1_3gpuE0ELNS1_3repE0EEENS1_30default_config_static_selectorELNS0_4arch9wavefront6targetE0EEEvS12_, .Lfunc_end457-_ZN7rocprim17ROCPRIM_400000_NS6detail17trampoline_kernelINS0_13select_configILj256ELj13ELNS0_17block_load_methodE3ELS4_3ELS4_3ELNS0_20block_scan_algorithmE0ELj4294967295EEENS1_25partition_config_selectorILNS1_17partition_subalgoE4EjNS0_10empty_typeEbEEZZNS1_14partition_implILS8_4ELb0ES6_15HIP_vector_typeIjLj2EENS0_17counting_iteratorIjlEEPS9_SG_NS0_5tupleIJPjSI_NS0_16reverse_iteratorISI_EEEEENSH_IJSG_SG_SG_EEES9_SI_JZNS1_25segmented_radix_sort_implINS0_14default_configELb1EPKiPiPKlPlN2at6native12_GLOBAL__N_18offset_tEEE10hipError_tPvRmT1_PNSt15iterator_traitsIS12_E10value_typeET2_T3_PNS13_IS18_E10value_typeET4_jRbjT5_S1E_jjP12ihipStream_tbEUljE_ZNSN_ISO_Lb1ESQ_SR_ST_SU_SY_EESZ_S10_S11_S12_S16_S17_S18_S1B_S1C_jS1D_jS1E_S1E_jjS1G_bEUljE0_EEESZ_S10_S11_S18_S1C_S1E_T6_T7_T9_mT8_S1G_bDpT10_ENKUlT_T0_E_clISt17integral_constantIbLb0EES1T_IbLb1EEEEDaS1P_S1Q_EUlS1P_E_NS1_11comp_targetILNS1_3genE0ELNS1_11target_archE4294967295ELNS1_3gpuE0ELNS1_3repE0EEENS1_30default_config_static_selectorELNS0_4arch9wavefront6targetE0EEEvS12_
                                        ; -- End function
	.section	.AMDGPU.csdata,"",@progbits
; Kernel info:
; codeLenInByte = 0
; NumSgprs: 0
; NumVgprs: 0
; ScratchSize: 0
; MemoryBound: 0
; FloatMode: 240
; IeeeMode: 1
; LDSByteSize: 0 bytes/workgroup (compile time only)
; SGPRBlocks: 0
; VGPRBlocks: 0
; NumSGPRsForWavesPerEU: 1
; NumVGPRsForWavesPerEU: 1
; Occupancy: 16
; WaveLimiterHint : 0
; COMPUTE_PGM_RSRC2:SCRATCH_EN: 0
; COMPUTE_PGM_RSRC2:USER_SGPR: 15
; COMPUTE_PGM_RSRC2:TRAP_HANDLER: 0
; COMPUTE_PGM_RSRC2:TGID_X_EN: 1
; COMPUTE_PGM_RSRC2:TGID_Y_EN: 0
; COMPUTE_PGM_RSRC2:TGID_Z_EN: 0
; COMPUTE_PGM_RSRC2:TIDIG_COMP_CNT: 0
	.section	.text._ZN7rocprim17ROCPRIM_400000_NS6detail17trampoline_kernelINS0_13select_configILj256ELj13ELNS0_17block_load_methodE3ELS4_3ELS4_3ELNS0_20block_scan_algorithmE0ELj4294967295EEENS1_25partition_config_selectorILNS1_17partition_subalgoE4EjNS0_10empty_typeEbEEZZNS1_14partition_implILS8_4ELb0ES6_15HIP_vector_typeIjLj2EENS0_17counting_iteratorIjlEEPS9_SG_NS0_5tupleIJPjSI_NS0_16reverse_iteratorISI_EEEEENSH_IJSG_SG_SG_EEES9_SI_JZNS1_25segmented_radix_sort_implINS0_14default_configELb1EPKiPiPKlPlN2at6native12_GLOBAL__N_18offset_tEEE10hipError_tPvRmT1_PNSt15iterator_traitsIS12_E10value_typeET2_T3_PNS13_IS18_E10value_typeET4_jRbjT5_S1E_jjP12ihipStream_tbEUljE_ZNSN_ISO_Lb1ESQ_SR_ST_SU_SY_EESZ_S10_S11_S12_S16_S17_S18_S1B_S1C_jS1D_jS1E_S1E_jjS1G_bEUljE0_EEESZ_S10_S11_S18_S1C_S1E_T6_T7_T9_mT8_S1G_bDpT10_ENKUlT_T0_E_clISt17integral_constantIbLb0EES1T_IbLb1EEEEDaS1P_S1Q_EUlS1P_E_NS1_11comp_targetILNS1_3genE5ELNS1_11target_archE942ELNS1_3gpuE9ELNS1_3repE0EEENS1_30default_config_static_selectorELNS0_4arch9wavefront6targetE0EEEvS12_,"axG",@progbits,_ZN7rocprim17ROCPRIM_400000_NS6detail17trampoline_kernelINS0_13select_configILj256ELj13ELNS0_17block_load_methodE3ELS4_3ELS4_3ELNS0_20block_scan_algorithmE0ELj4294967295EEENS1_25partition_config_selectorILNS1_17partition_subalgoE4EjNS0_10empty_typeEbEEZZNS1_14partition_implILS8_4ELb0ES6_15HIP_vector_typeIjLj2EENS0_17counting_iteratorIjlEEPS9_SG_NS0_5tupleIJPjSI_NS0_16reverse_iteratorISI_EEEEENSH_IJSG_SG_SG_EEES9_SI_JZNS1_25segmented_radix_sort_implINS0_14default_configELb1EPKiPiPKlPlN2at6native12_GLOBAL__N_18offset_tEEE10hipError_tPvRmT1_PNSt15iterator_traitsIS12_E10value_typeET2_T3_PNS13_IS18_E10value_typeET4_jRbjT5_S1E_jjP12ihipStream_tbEUljE_ZNSN_ISO_Lb1ESQ_SR_ST_SU_SY_EESZ_S10_S11_S12_S16_S17_S18_S1B_S1C_jS1D_jS1E_S1E_jjS1G_bEUljE0_EEESZ_S10_S11_S18_S1C_S1E_T6_T7_T9_mT8_S1G_bDpT10_ENKUlT_T0_E_clISt17integral_constantIbLb0EES1T_IbLb1EEEEDaS1P_S1Q_EUlS1P_E_NS1_11comp_targetILNS1_3genE5ELNS1_11target_archE942ELNS1_3gpuE9ELNS1_3repE0EEENS1_30default_config_static_selectorELNS0_4arch9wavefront6targetE0EEEvS12_,comdat
	.globl	_ZN7rocprim17ROCPRIM_400000_NS6detail17trampoline_kernelINS0_13select_configILj256ELj13ELNS0_17block_load_methodE3ELS4_3ELS4_3ELNS0_20block_scan_algorithmE0ELj4294967295EEENS1_25partition_config_selectorILNS1_17partition_subalgoE4EjNS0_10empty_typeEbEEZZNS1_14partition_implILS8_4ELb0ES6_15HIP_vector_typeIjLj2EENS0_17counting_iteratorIjlEEPS9_SG_NS0_5tupleIJPjSI_NS0_16reverse_iteratorISI_EEEEENSH_IJSG_SG_SG_EEES9_SI_JZNS1_25segmented_radix_sort_implINS0_14default_configELb1EPKiPiPKlPlN2at6native12_GLOBAL__N_18offset_tEEE10hipError_tPvRmT1_PNSt15iterator_traitsIS12_E10value_typeET2_T3_PNS13_IS18_E10value_typeET4_jRbjT5_S1E_jjP12ihipStream_tbEUljE_ZNSN_ISO_Lb1ESQ_SR_ST_SU_SY_EESZ_S10_S11_S12_S16_S17_S18_S1B_S1C_jS1D_jS1E_S1E_jjS1G_bEUljE0_EEESZ_S10_S11_S18_S1C_S1E_T6_T7_T9_mT8_S1G_bDpT10_ENKUlT_T0_E_clISt17integral_constantIbLb0EES1T_IbLb1EEEEDaS1P_S1Q_EUlS1P_E_NS1_11comp_targetILNS1_3genE5ELNS1_11target_archE942ELNS1_3gpuE9ELNS1_3repE0EEENS1_30default_config_static_selectorELNS0_4arch9wavefront6targetE0EEEvS12_ ; -- Begin function _ZN7rocprim17ROCPRIM_400000_NS6detail17trampoline_kernelINS0_13select_configILj256ELj13ELNS0_17block_load_methodE3ELS4_3ELS4_3ELNS0_20block_scan_algorithmE0ELj4294967295EEENS1_25partition_config_selectorILNS1_17partition_subalgoE4EjNS0_10empty_typeEbEEZZNS1_14partition_implILS8_4ELb0ES6_15HIP_vector_typeIjLj2EENS0_17counting_iteratorIjlEEPS9_SG_NS0_5tupleIJPjSI_NS0_16reverse_iteratorISI_EEEEENSH_IJSG_SG_SG_EEES9_SI_JZNS1_25segmented_radix_sort_implINS0_14default_configELb1EPKiPiPKlPlN2at6native12_GLOBAL__N_18offset_tEEE10hipError_tPvRmT1_PNSt15iterator_traitsIS12_E10value_typeET2_T3_PNS13_IS18_E10value_typeET4_jRbjT5_S1E_jjP12ihipStream_tbEUljE_ZNSN_ISO_Lb1ESQ_SR_ST_SU_SY_EESZ_S10_S11_S12_S16_S17_S18_S1B_S1C_jS1D_jS1E_S1E_jjS1G_bEUljE0_EEESZ_S10_S11_S18_S1C_S1E_T6_T7_T9_mT8_S1G_bDpT10_ENKUlT_T0_E_clISt17integral_constantIbLb0EES1T_IbLb1EEEEDaS1P_S1Q_EUlS1P_E_NS1_11comp_targetILNS1_3genE5ELNS1_11target_archE942ELNS1_3gpuE9ELNS1_3repE0EEENS1_30default_config_static_selectorELNS0_4arch9wavefront6targetE0EEEvS12_
	.p2align	8
	.type	_ZN7rocprim17ROCPRIM_400000_NS6detail17trampoline_kernelINS0_13select_configILj256ELj13ELNS0_17block_load_methodE3ELS4_3ELS4_3ELNS0_20block_scan_algorithmE0ELj4294967295EEENS1_25partition_config_selectorILNS1_17partition_subalgoE4EjNS0_10empty_typeEbEEZZNS1_14partition_implILS8_4ELb0ES6_15HIP_vector_typeIjLj2EENS0_17counting_iteratorIjlEEPS9_SG_NS0_5tupleIJPjSI_NS0_16reverse_iteratorISI_EEEEENSH_IJSG_SG_SG_EEES9_SI_JZNS1_25segmented_radix_sort_implINS0_14default_configELb1EPKiPiPKlPlN2at6native12_GLOBAL__N_18offset_tEEE10hipError_tPvRmT1_PNSt15iterator_traitsIS12_E10value_typeET2_T3_PNS13_IS18_E10value_typeET4_jRbjT5_S1E_jjP12ihipStream_tbEUljE_ZNSN_ISO_Lb1ESQ_SR_ST_SU_SY_EESZ_S10_S11_S12_S16_S17_S18_S1B_S1C_jS1D_jS1E_S1E_jjS1G_bEUljE0_EEESZ_S10_S11_S18_S1C_S1E_T6_T7_T9_mT8_S1G_bDpT10_ENKUlT_T0_E_clISt17integral_constantIbLb0EES1T_IbLb1EEEEDaS1P_S1Q_EUlS1P_E_NS1_11comp_targetILNS1_3genE5ELNS1_11target_archE942ELNS1_3gpuE9ELNS1_3repE0EEENS1_30default_config_static_selectorELNS0_4arch9wavefront6targetE0EEEvS12_,@function
_ZN7rocprim17ROCPRIM_400000_NS6detail17trampoline_kernelINS0_13select_configILj256ELj13ELNS0_17block_load_methodE3ELS4_3ELS4_3ELNS0_20block_scan_algorithmE0ELj4294967295EEENS1_25partition_config_selectorILNS1_17partition_subalgoE4EjNS0_10empty_typeEbEEZZNS1_14partition_implILS8_4ELb0ES6_15HIP_vector_typeIjLj2EENS0_17counting_iteratorIjlEEPS9_SG_NS0_5tupleIJPjSI_NS0_16reverse_iteratorISI_EEEEENSH_IJSG_SG_SG_EEES9_SI_JZNS1_25segmented_radix_sort_implINS0_14default_configELb1EPKiPiPKlPlN2at6native12_GLOBAL__N_18offset_tEEE10hipError_tPvRmT1_PNSt15iterator_traitsIS12_E10value_typeET2_T3_PNS13_IS18_E10value_typeET4_jRbjT5_S1E_jjP12ihipStream_tbEUljE_ZNSN_ISO_Lb1ESQ_SR_ST_SU_SY_EESZ_S10_S11_S12_S16_S17_S18_S1B_S1C_jS1D_jS1E_S1E_jjS1G_bEUljE0_EEESZ_S10_S11_S18_S1C_S1E_T6_T7_T9_mT8_S1G_bDpT10_ENKUlT_T0_E_clISt17integral_constantIbLb0EES1T_IbLb1EEEEDaS1P_S1Q_EUlS1P_E_NS1_11comp_targetILNS1_3genE5ELNS1_11target_archE942ELNS1_3gpuE9ELNS1_3repE0EEENS1_30default_config_static_selectorELNS0_4arch9wavefront6targetE0EEEvS12_: ; @_ZN7rocprim17ROCPRIM_400000_NS6detail17trampoline_kernelINS0_13select_configILj256ELj13ELNS0_17block_load_methodE3ELS4_3ELS4_3ELNS0_20block_scan_algorithmE0ELj4294967295EEENS1_25partition_config_selectorILNS1_17partition_subalgoE4EjNS0_10empty_typeEbEEZZNS1_14partition_implILS8_4ELb0ES6_15HIP_vector_typeIjLj2EENS0_17counting_iteratorIjlEEPS9_SG_NS0_5tupleIJPjSI_NS0_16reverse_iteratorISI_EEEEENSH_IJSG_SG_SG_EEES9_SI_JZNS1_25segmented_radix_sort_implINS0_14default_configELb1EPKiPiPKlPlN2at6native12_GLOBAL__N_18offset_tEEE10hipError_tPvRmT1_PNSt15iterator_traitsIS12_E10value_typeET2_T3_PNS13_IS18_E10value_typeET4_jRbjT5_S1E_jjP12ihipStream_tbEUljE_ZNSN_ISO_Lb1ESQ_SR_ST_SU_SY_EESZ_S10_S11_S12_S16_S17_S18_S1B_S1C_jS1D_jS1E_S1E_jjS1G_bEUljE0_EEESZ_S10_S11_S18_S1C_S1E_T6_T7_T9_mT8_S1G_bDpT10_ENKUlT_T0_E_clISt17integral_constantIbLb0EES1T_IbLb1EEEEDaS1P_S1Q_EUlS1P_E_NS1_11comp_targetILNS1_3genE5ELNS1_11target_archE942ELNS1_3gpuE9ELNS1_3repE0EEENS1_30default_config_static_selectorELNS0_4arch9wavefront6targetE0EEEvS12_
; %bb.0:
	.section	.rodata,"a",@progbits
	.p2align	6, 0x0
	.amdhsa_kernel _ZN7rocprim17ROCPRIM_400000_NS6detail17trampoline_kernelINS0_13select_configILj256ELj13ELNS0_17block_load_methodE3ELS4_3ELS4_3ELNS0_20block_scan_algorithmE0ELj4294967295EEENS1_25partition_config_selectorILNS1_17partition_subalgoE4EjNS0_10empty_typeEbEEZZNS1_14partition_implILS8_4ELb0ES6_15HIP_vector_typeIjLj2EENS0_17counting_iteratorIjlEEPS9_SG_NS0_5tupleIJPjSI_NS0_16reverse_iteratorISI_EEEEENSH_IJSG_SG_SG_EEES9_SI_JZNS1_25segmented_radix_sort_implINS0_14default_configELb1EPKiPiPKlPlN2at6native12_GLOBAL__N_18offset_tEEE10hipError_tPvRmT1_PNSt15iterator_traitsIS12_E10value_typeET2_T3_PNS13_IS18_E10value_typeET4_jRbjT5_S1E_jjP12ihipStream_tbEUljE_ZNSN_ISO_Lb1ESQ_SR_ST_SU_SY_EESZ_S10_S11_S12_S16_S17_S18_S1B_S1C_jS1D_jS1E_S1E_jjS1G_bEUljE0_EEESZ_S10_S11_S18_S1C_S1E_T6_T7_T9_mT8_S1G_bDpT10_ENKUlT_T0_E_clISt17integral_constantIbLb0EES1T_IbLb1EEEEDaS1P_S1Q_EUlS1P_E_NS1_11comp_targetILNS1_3genE5ELNS1_11target_archE942ELNS1_3gpuE9ELNS1_3repE0EEENS1_30default_config_static_selectorELNS0_4arch9wavefront6targetE0EEEvS12_
		.amdhsa_group_segment_fixed_size 0
		.amdhsa_private_segment_fixed_size 0
		.amdhsa_kernarg_size 184
		.amdhsa_user_sgpr_count 15
		.amdhsa_user_sgpr_dispatch_ptr 0
		.amdhsa_user_sgpr_queue_ptr 0
		.amdhsa_user_sgpr_kernarg_segment_ptr 1
		.amdhsa_user_sgpr_dispatch_id 0
		.amdhsa_user_sgpr_private_segment_size 0
		.amdhsa_wavefront_size32 1
		.amdhsa_uses_dynamic_stack 0
		.amdhsa_enable_private_segment 0
		.amdhsa_system_sgpr_workgroup_id_x 1
		.amdhsa_system_sgpr_workgroup_id_y 0
		.amdhsa_system_sgpr_workgroup_id_z 0
		.amdhsa_system_sgpr_workgroup_info 0
		.amdhsa_system_vgpr_workitem_id 0
		.amdhsa_next_free_vgpr 1
		.amdhsa_next_free_sgpr 1
		.amdhsa_reserve_vcc 0
		.amdhsa_float_round_mode_32 0
		.amdhsa_float_round_mode_16_64 0
		.amdhsa_float_denorm_mode_32 3
		.amdhsa_float_denorm_mode_16_64 3
		.amdhsa_dx10_clamp 1
		.amdhsa_ieee_mode 1
		.amdhsa_fp16_overflow 0
		.amdhsa_workgroup_processor_mode 1
		.amdhsa_memory_ordered 1
		.amdhsa_forward_progress 0
		.amdhsa_shared_vgpr_count 0
		.amdhsa_exception_fp_ieee_invalid_op 0
		.amdhsa_exception_fp_denorm_src 0
		.amdhsa_exception_fp_ieee_div_zero 0
		.amdhsa_exception_fp_ieee_overflow 0
		.amdhsa_exception_fp_ieee_underflow 0
		.amdhsa_exception_fp_ieee_inexact 0
		.amdhsa_exception_int_div_zero 0
	.end_amdhsa_kernel
	.section	.text._ZN7rocprim17ROCPRIM_400000_NS6detail17trampoline_kernelINS0_13select_configILj256ELj13ELNS0_17block_load_methodE3ELS4_3ELS4_3ELNS0_20block_scan_algorithmE0ELj4294967295EEENS1_25partition_config_selectorILNS1_17partition_subalgoE4EjNS0_10empty_typeEbEEZZNS1_14partition_implILS8_4ELb0ES6_15HIP_vector_typeIjLj2EENS0_17counting_iteratorIjlEEPS9_SG_NS0_5tupleIJPjSI_NS0_16reverse_iteratorISI_EEEEENSH_IJSG_SG_SG_EEES9_SI_JZNS1_25segmented_radix_sort_implINS0_14default_configELb1EPKiPiPKlPlN2at6native12_GLOBAL__N_18offset_tEEE10hipError_tPvRmT1_PNSt15iterator_traitsIS12_E10value_typeET2_T3_PNS13_IS18_E10value_typeET4_jRbjT5_S1E_jjP12ihipStream_tbEUljE_ZNSN_ISO_Lb1ESQ_SR_ST_SU_SY_EESZ_S10_S11_S12_S16_S17_S18_S1B_S1C_jS1D_jS1E_S1E_jjS1G_bEUljE0_EEESZ_S10_S11_S18_S1C_S1E_T6_T7_T9_mT8_S1G_bDpT10_ENKUlT_T0_E_clISt17integral_constantIbLb0EES1T_IbLb1EEEEDaS1P_S1Q_EUlS1P_E_NS1_11comp_targetILNS1_3genE5ELNS1_11target_archE942ELNS1_3gpuE9ELNS1_3repE0EEENS1_30default_config_static_selectorELNS0_4arch9wavefront6targetE0EEEvS12_,"axG",@progbits,_ZN7rocprim17ROCPRIM_400000_NS6detail17trampoline_kernelINS0_13select_configILj256ELj13ELNS0_17block_load_methodE3ELS4_3ELS4_3ELNS0_20block_scan_algorithmE0ELj4294967295EEENS1_25partition_config_selectorILNS1_17partition_subalgoE4EjNS0_10empty_typeEbEEZZNS1_14partition_implILS8_4ELb0ES6_15HIP_vector_typeIjLj2EENS0_17counting_iteratorIjlEEPS9_SG_NS0_5tupleIJPjSI_NS0_16reverse_iteratorISI_EEEEENSH_IJSG_SG_SG_EEES9_SI_JZNS1_25segmented_radix_sort_implINS0_14default_configELb1EPKiPiPKlPlN2at6native12_GLOBAL__N_18offset_tEEE10hipError_tPvRmT1_PNSt15iterator_traitsIS12_E10value_typeET2_T3_PNS13_IS18_E10value_typeET4_jRbjT5_S1E_jjP12ihipStream_tbEUljE_ZNSN_ISO_Lb1ESQ_SR_ST_SU_SY_EESZ_S10_S11_S12_S16_S17_S18_S1B_S1C_jS1D_jS1E_S1E_jjS1G_bEUljE0_EEESZ_S10_S11_S18_S1C_S1E_T6_T7_T9_mT8_S1G_bDpT10_ENKUlT_T0_E_clISt17integral_constantIbLb0EES1T_IbLb1EEEEDaS1P_S1Q_EUlS1P_E_NS1_11comp_targetILNS1_3genE5ELNS1_11target_archE942ELNS1_3gpuE9ELNS1_3repE0EEENS1_30default_config_static_selectorELNS0_4arch9wavefront6targetE0EEEvS12_,comdat
.Lfunc_end458:
	.size	_ZN7rocprim17ROCPRIM_400000_NS6detail17trampoline_kernelINS0_13select_configILj256ELj13ELNS0_17block_load_methodE3ELS4_3ELS4_3ELNS0_20block_scan_algorithmE0ELj4294967295EEENS1_25partition_config_selectorILNS1_17partition_subalgoE4EjNS0_10empty_typeEbEEZZNS1_14partition_implILS8_4ELb0ES6_15HIP_vector_typeIjLj2EENS0_17counting_iteratorIjlEEPS9_SG_NS0_5tupleIJPjSI_NS0_16reverse_iteratorISI_EEEEENSH_IJSG_SG_SG_EEES9_SI_JZNS1_25segmented_radix_sort_implINS0_14default_configELb1EPKiPiPKlPlN2at6native12_GLOBAL__N_18offset_tEEE10hipError_tPvRmT1_PNSt15iterator_traitsIS12_E10value_typeET2_T3_PNS13_IS18_E10value_typeET4_jRbjT5_S1E_jjP12ihipStream_tbEUljE_ZNSN_ISO_Lb1ESQ_SR_ST_SU_SY_EESZ_S10_S11_S12_S16_S17_S18_S1B_S1C_jS1D_jS1E_S1E_jjS1G_bEUljE0_EEESZ_S10_S11_S18_S1C_S1E_T6_T7_T9_mT8_S1G_bDpT10_ENKUlT_T0_E_clISt17integral_constantIbLb0EES1T_IbLb1EEEEDaS1P_S1Q_EUlS1P_E_NS1_11comp_targetILNS1_3genE5ELNS1_11target_archE942ELNS1_3gpuE9ELNS1_3repE0EEENS1_30default_config_static_selectorELNS0_4arch9wavefront6targetE0EEEvS12_, .Lfunc_end458-_ZN7rocprim17ROCPRIM_400000_NS6detail17trampoline_kernelINS0_13select_configILj256ELj13ELNS0_17block_load_methodE3ELS4_3ELS4_3ELNS0_20block_scan_algorithmE0ELj4294967295EEENS1_25partition_config_selectorILNS1_17partition_subalgoE4EjNS0_10empty_typeEbEEZZNS1_14partition_implILS8_4ELb0ES6_15HIP_vector_typeIjLj2EENS0_17counting_iteratorIjlEEPS9_SG_NS0_5tupleIJPjSI_NS0_16reverse_iteratorISI_EEEEENSH_IJSG_SG_SG_EEES9_SI_JZNS1_25segmented_radix_sort_implINS0_14default_configELb1EPKiPiPKlPlN2at6native12_GLOBAL__N_18offset_tEEE10hipError_tPvRmT1_PNSt15iterator_traitsIS12_E10value_typeET2_T3_PNS13_IS18_E10value_typeET4_jRbjT5_S1E_jjP12ihipStream_tbEUljE_ZNSN_ISO_Lb1ESQ_SR_ST_SU_SY_EESZ_S10_S11_S12_S16_S17_S18_S1B_S1C_jS1D_jS1E_S1E_jjS1G_bEUljE0_EEESZ_S10_S11_S18_S1C_S1E_T6_T7_T9_mT8_S1G_bDpT10_ENKUlT_T0_E_clISt17integral_constantIbLb0EES1T_IbLb1EEEEDaS1P_S1Q_EUlS1P_E_NS1_11comp_targetILNS1_3genE5ELNS1_11target_archE942ELNS1_3gpuE9ELNS1_3repE0EEENS1_30default_config_static_selectorELNS0_4arch9wavefront6targetE0EEEvS12_
                                        ; -- End function
	.section	.AMDGPU.csdata,"",@progbits
; Kernel info:
; codeLenInByte = 0
; NumSgprs: 0
; NumVgprs: 0
; ScratchSize: 0
; MemoryBound: 0
; FloatMode: 240
; IeeeMode: 1
; LDSByteSize: 0 bytes/workgroup (compile time only)
; SGPRBlocks: 0
; VGPRBlocks: 0
; NumSGPRsForWavesPerEU: 1
; NumVGPRsForWavesPerEU: 1
; Occupancy: 16
; WaveLimiterHint : 0
; COMPUTE_PGM_RSRC2:SCRATCH_EN: 0
; COMPUTE_PGM_RSRC2:USER_SGPR: 15
; COMPUTE_PGM_RSRC2:TRAP_HANDLER: 0
; COMPUTE_PGM_RSRC2:TGID_X_EN: 1
; COMPUTE_PGM_RSRC2:TGID_Y_EN: 0
; COMPUTE_PGM_RSRC2:TGID_Z_EN: 0
; COMPUTE_PGM_RSRC2:TIDIG_COMP_CNT: 0
	.section	.text._ZN7rocprim17ROCPRIM_400000_NS6detail17trampoline_kernelINS0_13select_configILj256ELj13ELNS0_17block_load_methodE3ELS4_3ELS4_3ELNS0_20block_scan_algorithmE0ELj4294967295EEENS1_25partition_config_selectorILNS1_17partition_subalgoE4EjNS0_10empty_typeEbEEZZNS1_14partition_implILS8_4ELb0ES6_15HIP_vector_typeIjLj2EENS0_17counting_iteratorIjlEEPS9_SG_NS0_5tupleIJPjSI_NS0_16reverse_iteratorISI_EEEEENSH_IJSG_SG_SG_EEES9_SI_JZNS1_25segmented_radix_sort_implINS0_14default_configELb1EPKiPiPKlPlN2at6native12_GLOBAL__N_18offset_tEEE10hipError_tPvRmT1_PNSt15iterator_traitsIS12_E10value_typeET2_T3_PNS13_IS18_E10value_typeET4_jRbjT5_S1E_jjP12ihipStream_tbEUljE_ZNSN_ISO_Lb1ESQ_SR_ST_SU_SY_EESZ_S10_S11_S12_S16_S17_S18_S1B_S1C_jS1D_jS1E_S1E_jjS1G_bEUljE0_EEESZ_S10_S11_S18_S1C_S1E_T6_T7_T9_mT8_S1G_bDpT10_ENKUlT_T0_E_clISt17integral_constantIbLb0EES1T_IbLb1EEEEDaS1P_S1Q_EUlS1P_E_NS1_11comp_targetILNS1_3genE4ELNS1_11target_archE910ELNS1_3gpuE8ELNS1_3repE0EEENS1_30default_config_static_selectorELNS0_4arch9wavefront6targetE0EEEvS12_,"axG",@progbits,_ZN7rocprim17ROCPRIM_400000_NS6detail17trampoline_kernelINS0_13select_configILj256ELj13ELNS0_17block_load_methodE3ELS4_3ELS4_3ELNS0_20block_scan_algorithmE0ELj4294967295EEENS1_25partition_config_selectorILNS1_17partition_subalgoE4EjNS0_10empty_typeEbEEZZNS1_14partition_implILS8_4ELb0ES6_15HIP_vector_typeIjLj2EENS0_17counting_iteratorIjlEEPS9_SG_NS0_5tupleIJPjSI_NS0_16reverse_iteratorISI_EEEEENSH_IJSG_SG_SG_EEES9_SI_JZNS1_25segmented_radix_sort_implINS0_14default_configELb1EPKiPiPKlPlN2at6native12_GLOBAL__N_18offset_tEEE10hipError_tPvRmT1_PNSt15iterator_traitsIS12_E10value_typeET2_T3_PNS13_IS18_E10value_typeET4_jRbjT5_S1E_jjP12ihipStream_tbEUljE_ZNSN_ISO_Lb1ESQ_SR_ST_SU_SY_EESZ_S10_S11_S12_S16_S17_S18_S1B_S1C_jS1D_jS1E_S1E_jjS1G_bEUljE0_EEESZ_S10_S11_S18_S1C_S1E_T6_T7_T9_mT8_S1G_bDpT10_ENKUlT_T0_E_clISt17integral_constantIbLb0EES1T_IbLb1EEEEDaS1P_S1Q_EUlS1P_E_NS1_11comp_targetILNS1_3genE4ELNS1_11target_archE910ELNS1_3gpuE8ELNS1_3repE0EEENS1_30default_config_static_selectorELNS0_4arch9wavefront6targetE0EEEvS12_,comdat
	.globl	_ZN7rocprim17ROCPRIM_400000_NS6detail17trampoline_kernelINS0_13select_configILj256ELj13ELNS0_17block_load_methodE3ELS4_3ELS4_3ELNS0_20block_scan_algorithmE0ELj4294967295EEENS1_25partition_config_selectorILNS1_17partition_subalgoE4EjNS0_10empty_typeEbEEZZNS1_14partition_implILS8_4ELb0ES6_15HIP_vector_typeIjLj2EENS0_17counting_iteratorIjlEEPS9_SG_NS0_5tupleIJPjSI_NS0_16reverse_iteratorISI_EEEEENSH_IJSG_SG_SG_EEES9_SI_JZNS1_25segmented_radix_sort_implINS0_14default_configELb1EPKiPiPKlPlN2at6native12_GLOBAL__N_18offset_tEEE10hipError_tPvRmT1_PNSt15iterator_traitsIS12_E10value_typeET2_T3_PNS13_IS18_E10value_typeET4_jRbjT5_S1E_jjP12ihipStream_tbEUljE_ZNSN_ISO_Lb1ESQ_SR_ST_SU_SY_EESZ_S10_S11_S12_S16_S17_S18_S1B_S1C_jS1D_jS1E_S1E_jjS1G_bEUljE0_EEESZ_S10_S11_S18_S1C_S1E_T6_T7_T9_mT8_S1G_bDpT10_ENKUlT_T0_E_clISt17integral_constantIbLb0EES1T_IbLb1EEEEDaS1P_S1Q_EUlS1P_E_NS1_11comp_targetILNS1_3genE4ELNS1_11target_archE910ELNS1_3gpuE8ELNS1_3repE0EEENS1_30default_config_static_selectorELNS0_4arch9wavefront6targetE0EEEvS12_ ; -- Begin function _ZN7rocprim17ROCPRIM_400000_NS6detail17trampoline_kernelINS0_13select_configILj256ELj13ELNS0_17block_load_methodE3ELS4_3ELS4_3ELNS0_20block_scan_algorithmE0ELj4294967295EEENS1_25partition_config_selectorILNS1_17partition_subalgoE4EjNS0_10empty_typeEbEEZZNS1_14partition_implILS8_4ELb0ES6_15HIP_vector_typeIjLj2EENS0_17counting_iteratorIjlEEPS9_SG_NS0_5tupleIJPjSI_NS0_16reverse_iteratorISI_EEEEENSH_IJSG_SG_SG_EEES9_SI_JZNS1_25segmented_radix_sort_implINS0_14default_configELb1EPKiPiPKlPlN2at6native12_GLOBAL__N_18offset_tEEE10hipError_tPvRmT1_PNSt15iterator_traitsIS12_E10value_typeET2_T3_PNS13_IS18_E10value_typeET4_jRbjT5_S1E_jjP12ihipStream_tbEUljE_ZNSN_ISO_Lb1ESQ_SR_ST_SU_SY_EESZ_S10_S11_S12_S16_S17_S18_S1B_S1C_jS1D_jS1E_S1E_jjS1G_bEUljE0_EEESZ_S10_S11_S18_S1C_S1E_T6_T7_T9_mT8_S1G_bDpT10_ENKUlT_T0_E_clISt17integral_constantIbLb0EES1T_IbLb1EEEEDaS1P_S1Q_EUlS1P_E_NS1_11comp_targetILNS1_3genE4ELNS1_11target_archE910ELNS1_3gpuE8ELNS1_3repE0EEENS1_30default_config_static_selectorELNS0_4arch9wavefront6targetE0EEEvS12_
	.p2align	8
	.type	_ZN7rocprim17ROCPRIM_400000_NS6detail17trampoline_kernelINS0_13select_configILj256ELj13ELNS0_17block_load_methodE3ELS4_3ELS4_3ELNS0_20block_scan_algorithmE0ELj4294967295EEENS1_25partition_config_selectorILNS1_17partition_subalgoE4EjNS0_10empty_typeEbEEZZNS1_14partition_implILS8_4ELb0ES6_15HIP_vector_typeIjLj2EENS0_17counting_iteratorIjlEEPS9_SG_NS0_5tupleIJPjSI_NS0_16reverse_iteratorISI_EEEEENSH_IJSG_SG_SG_EEES9_SI_JZNS1_25segmented_radix_sort_implINS0_14default_configELb1EPKiPiPKlPlN2at6native12_GLOBAL__N_18offset_tEEE10hipError_tPvRmT1_PNSt15iterator_traitsIS12_E10value_typeET2_T3_PNS13_IS18_E10value_typeET4_jRbjT5_S1E_jjP12ihipStream_tbEUljE_ZNSN_ISO_Lb1ESQ_SR_ST_SU_SY_EESZ_S10_S11_S12_S16_S17_S18_S1B_S1C_jS1D_jS1E_S1E_jjS1G_bEUljE0_EEESZ_S10_S11_S18_S1C_S1E_T6_T7_T9_mT8_S1G_bDpT10_ENKUlT_T0_E_clISt17integral_constantIbLb0EES1T_IbLb1EEEEDaS1P_S1Q_EUlS1P_E_NS1_11comp_targetILNS1_3genE4ELNS1_11target_archE910ELNS1_3gpuE8ELNS1_3repE0EEENS1_30default_config_static_selectorELNS0_4arch9wavefront6targetE0EEEvS12_,@function
_ZN7rocprim17ROCPRIM_400000_NS6detail17trampoline_kernelINS0_13select_configILj256ELj13ELNS0_17block_load_methodE3ELS4_3ELS4_3ELNS0_20block_scan_algorithmE0ELj4294967295EEENS1_25partition_config_selectorILNS1_17partition_subalgoE4EjNS0_10empty_typeEbEEZZNS1_14partition_implILS8_4ELb0ES6_15HIP_vector_typeIjLj2EENS0_17counting_iteratorIjlEEPS9_SG_NS0_5tupleIJPjSI_NS0_16reverse_iteratorISI_EEEEENSH_IJSG_SG_SG_EEES9_SI_JZNS1_25segmented_radix_sort_implINS0_14default_configELb1EPKiPiPKlPlN2at6native12_GLOBAL__N_18offset_tEEE10hipError_tPvRmT1_PNSt15iterator_traitsIS12_E10value_typeET2_T3_PNS13_IS18_E10value_typeET4_jRbjT5_S1E_jjP12ihipStream_tbEUljE_ZNSN_ISO_Lb1ESQ_SR_ST_SU_SY_EESZ_S10_S11_S12_S16_S17_S18_S1B_S1C_jS1D_jS1E_S1E_jjS1G_bEUljE0_EEESZ_S10_S11_S18_S1C_S1E_T6_T7_T9_mT8_S1G_bDpT10_ENKUlT_T0_E_clISt17integral_constantIbLb0EES1T_IbLb1EEEEDaS1P_S1Q_EUlS1P_E_NS1_11comp_targetILNS1_3genE4ELNS1_11target_archE910ELNS1_3gpuE8ELNS1_3repE0EEENS1_30default_config_static_selectorELNS0_4arch9wavefront6targetE0EEEvS12_: ; @_ZN7rocprim17ROCPRIM_400000_NS6detail17trampoline_kernelINS0_13select_configILj256ELj13ELNS0_17block_load_methodE3ELS4_3ELS4_3ELNS0_20block_scan_algorithmE0ELj4294967295EEENS1_25partition_config_selectorILNS1_17partition_subalgoE4EjNS0_10empty_typeEbEEZZNS1_14partition_implILS8_4ELb0ES6_15HIP_vector_typeIjLj2EENS0_17counting_iteratorIjlEEPS9_SG_NS0_5tupleIJPjSI_NS0_16reverse_iteratorISI_EEEEENSH_IJSG_SG_SG_EEES9_SI_JZNS1_25segmented_radix_sort_implINS0_14default_configELb1EPKiPiPKlPlN2at6native12_GLOBAL__N_18offset_tEEE10hipError_tPvRmT1_PNSt15iterator_traitsIS12_E10value_typeET2_T3_PNS13_IS18_E10value_typeET4_jRbjT5_S1E_jjP12ihipStream_tbEUljE_ZNSN_ISO_Lb1ESQ_SR_ST_SU_SY_EESZ_S10_S11_S12_S16_S17_S18_S1B_S1C_jS1D_jS1E_S1E_jjS1G_bEUljE0_EEESZ_S10_S11_S18_S1C_S1E_T6_T7_T9_mT8_S1G_bDpT10_ENKUlT_T0_E_clISt17integral_constantIbLb0EES1T_IbLb1EEEEDaS1P_S1Q_EUlS1P_E_NS1_11comp_targetILNS1_3genE4ELNS1_11target_archE910ELNS1_3gpuE8ELNS1_3repE0EEENS1_30default_config_static_selectorELNS0_4arch9wavefront6targetE0EEEvS12_
; %bb.0:
	.section	.rodata,"a",@progbits
	.p2align	6, 0x0
	.amdhsa_kernel _ZN7rocprim17ROCPRIM_400000_NS6detail17trampoline_kernelINS0_13select_configILj256ELj13ELNS0_17block_load_methodE3ELS4_3ELS4_3ELNS0_20block_scan_algorithmE0ELj4294967295EEENS1_25partition_config_selectorILNS1_17partition_subalgoE4EjNS0_10empty_typeEbEEZZNS1_14partition_implILS8_4ELb0ES6_15HIP_vector_typeIjLj2EENS0_17counting_iteratorIjlEEPS9_SG_NS0_5tupleIJPjSI_NS0_16reverse_iteratorISI_EEEEENSH_IJSG_SG_SG_EEES9_SI_JZNS1_25segmented_radix_sort_implINS0_14default_configELb1EPKiPiPKlPlN2at6native12_GLOBAL__N_18offset_tEEE10hipError_tPvRmT1_PNSt15iterator_traitsIS12_E10value_typeET2_T3_PNS13_IS18_E10value_typeET4_jRbjT5_S1E_jjP12ihipStream_tbEUljE_ZNSN_ISO_Lb1ESQ_SR_ST_SU_SY_EESZ_S10_S11_S12_S16_S17_S18_S1B_S1C_jS1D_jS1E_S1E_jjS1G_bEUljE0_EEESZ_S10_S11_S18_S1C_S1E_T6_T7_T9_mT8_S1G_bDpT10_ENKUlT_T0_E_clISt17integral_constantIbLb0EES1T_IbLb1EEEEDaS1P_S1Q_EUlS1P_E_NS1_11comp_targetILNS1_3genE4ELNS1_11target_archE910ELNS1_3gpuE8ELNS1_3repE0EEENS1_30default_config_static_selectorELNS0_4arch9wavefront6targetE0EEEvS12_
		.amdhsa_group_segment_fixed_size 0
		.amdhsa_private_segment_fixed_size 0
		.amdhsa_kernarg_size 184
		.amdhsa_user_sgpr_count 15
		.amdhsa_user_sgpr_dispatch_ptr 0
		.amdhsa_user_sgpr_queue_ptr 0
		.amdhsa_user_sgpr_kernarg_segment_ptr 1
		.amdhsa_user_sgpr_dispatch_id 0
		.amdhsa_user_sgpr_private_segment_size 0
		.amdhsa_wavefront_size32 1
		.amdhsa_uses_dynamic_stack 0
		.amdhsa_enable_private_segment 0
		.amdhsa_system_sgpr_workgroup_id_x 1
		.amdhsa_system_sgpr_workgroup_id_y 0
		.amdhsa_system_sgpr_workgroup_id_z 0
		.amdhsa_system_sgpr_workgroup_info 0
		.amdhsa_system_vgpr_workitem_id 0
		.amdhsa_next_free_vgpr 1
		.amdhsa_next_free_sgpr 1
		.amdhsa_reserve_vcc 0
		.amdhsa_float_round_mode_32 0
		.amdhsa_float_round_mode_16_64 0
		.amdhsa_float_denorm_mode_32 3
		.amdhsa_float_denorm_mode_16_64 3
		.amdhsa_dx10_clamp 1
		.amdhsa_ieee_mode 1
		.amdhsa_fp16_overflow 0
		.amdhsa_workgroup_processor_mode 1
		.amdhsa_memory_ordered 1
		.amdhsa_forward_progress 0
		.amdhsa_shared_vgpr_count 0
		.amdhsa_exception_fp_ieee_invalid_op 0
		.amdhsa_exception_fp_denorm_src 0
		.amdhsa_exception_fp_ieee_div_zero 0
		.amdhsa_exception_fp_ieee_overflow 0
		.amdhsa_exception_fp_ieee_underflow 0
		.amdhsa_exception_fp_ieee_inexact 0
		.amdhsa_exception_int_div_zero 0
	.end_amdhsa_kernel
	.section	.text._ZN7rocprim17ROCPRIM_400000_NS6detail17trampoline_kernelINS0_13select_configILj256ELj13ELNS0_17block_load_methodE3ELS4_3ELS4_3ELNS0_20block_scan_algorithmE0ELj4294967295EEENS1_25partition_config_selectorILNS1_17partition_subalgoE4EjNS0_10empty_typeEbEEZZNS1_14partition_implILS8_4ELb0ES6_15HIP_vector_typeIjLj2EENS0_17counting_iteratorIjlEEPS9_SG_NS0_5tupleIJPjSI_NS0_16reverse_iteratorISI_EEEEENSH_IJSG_SG_SG_EEES9_SI_JZNS1_25segmented_radix_sort_implINS0_14default_configELb1EPKiPiPKlPlN2at6native12_GLOBAL__N_18offset_tEEE10hipError_tPvRmT1_PNSt15iterator_traitsIS12_E10value_typeET2_T3_PNS13_IS18_E10value_typeET4_jRbjT5_S1E_jjP12ihipStream_tbEUljE_ZNSN_ISO_Lb1ESQ_SR_ST_SU_SY_EESZ_S10_S11_S12_S16_S17_S18_S1B_S1C_jS1D_jS1E_S1E_jjS1G_bEUljE0_EEESZ_S10_S11_S18_S1C_S1E_T6_T7_T9_mT8_S1G_bDpT10_ENKUlT_T0_E_clISt17integral_constantIbLb0EES1T_IbLb1EEEEDaS1P_S1Q_EUlS1P_E_NS1_11comp_targetILNS1_3genE4ELNS1_11target_archE910ELNS1_3gpuE8ELNS1_3repE0EEENS1_30default_config_static_selectorELNS0_4arch9wavefront6targetE0EEEvS12_,"axG",@progbits,_ZN7rocprim17ROCPRIM_400000_NS6detail17trampoline_kernelINS0_13select_configILj256ELj13ELNS0_17block_load_methodE3ELS4_3ELS4_3ELNS0_20block_scan_algorithmE0ELj4294967295EEENS1_25partition_config_selectorILNS1_17partition_subalgoE4EjNS0_10empty_typeEbEEZZNS1_14partition_implILS8_4ELb0ES6_15HIP_vector_typeIjLj2EENS0_17counting_iteratorIjlEEPS9_SG_NS0_5tupleIJPjSI_NS0_16reverse_iteratorISI_EEEEENSH_IJSG_SG_SG_EEES9_SI_JZNS1_25segmented_radix_sort_implINS0_14default_configELb1EPKiPiPKlPlN2at6native12_GLOBAL__N_18offset_tEEE10hipError_tPvRmT1_PNSt15iterator_traitsIS12_E10value_typeET2_T3_PNS13_IS18_E10value_typeET4_jRbjT5_S1E_jjP12ihipStream_tbEUljE_ZNSN_ISO_Lb1ESQ_SR_ST_SU_SY_EESZ_S10_S11_S12_S16_S17_S18_S1B_S1C_jS1D_jS1E_S1E_jjS1G_bEUljE0_EEESZ_S10_S11_S18_S1C_S1E_T6_T7_T9_mT8_S1G_bDpT10_ENKUlT_T0_E_clISt17integral_constantIbLb0EES1T_IbLb1EEEEDaS1P_S1Q_EUlS1P_E_NS1_11comp_targetILNS1_3genE4ELNS1_11target_archE910ELNS1_3gpuE8ELNS1_3repE0EEENS1_30default_config_static_selectorELNS0_4arch9wavefront6targetE0EEEvS12_,comdat
.Lfunc_end459:
	.size	_ZN7rocprim17ROCPRIM_400000_NS6detail17trampoline_kernelINS0_13select_configILj256ELj13ELNS0_17block_load_methodE3ELS4_3ELS4_3ELNS0_20block_scan_algorithmE0ELj4294967295EEENS1_25partition_config_selectorILNS1_17partition_subalgoE4EjNS0_10empty_typeEbEEZZNS1_14partition_implILS8_4ELb0ES6_15HIP_vector_typeIjLj2EENS0_17counting_iteratorIjlEEPS9_SG_NS0_5tupleIJPjSI_NS0_16reverse_iteratorISI_EEEEENSH_IJSG_SG_SG_EEES9_SI_JZNS1_25segmented_radix_sort_implINS0_14default_configELb1EPKiPiPKlPlN2at6native12_GLOBAL__N_18offset_tEEE10hipError_tPvRmT1_PNSt15iterator_traitsIS12_E10value_typeET2_T3_PNS13_IS18_E10value_typeET4_jRbjT5_S1E_jjP12ihipStream_tbEUljE_ZNSN_ISO_Lb1ESQ_SR_ST_SU_SY_EESZ_S10_S11_S12_S16_S17_S18_S1B_S1C_jS1D_jS1E_S1E_jjS1G_bEUljE0_EEESZ_S10_S11_S18_S1C_S1E_T6_T7_T9_mT8_S1G_bDpT10_ENKUlT_T0_E_clISt17integral_constantIbLb0EES1T_IbLb1EEEEDaS1P_S1Q_EUlS1P_E_NS1_11comp_targetILNS1_3genE4ELNS1_11target_archE910ELNS1_3gpuE8ELNS1_3repE0EEENS1_30default_config_static_selectorELNS0_4arch9wavefront6targetE0EEEvS12_, .Lfunc_end459-_ZN7rocprim17ROCPRIM_400000_NS6detail17trampoline_kernelINS0_13select_configILj256ELj13ELNS0_17block_load_methodE3ELS4_3ELS4_3ELNS0_20block_scan_algorithmE0ELj4294967295EEENS1_25partition_config_selectorILNS1_17partition_subalgoE4EjNS0_10empty_typeEbEEZZNS1_14partition_implILS8_4ELb0ES6_15HIP_vector_typeIjLj2EENS0_17counting_iteratorIjlEEPS9_SG_NS0_5tupleIJPjSI_NS0_16reverse_iteratorISI_EEEEENSH_IJSG_SG_SG_EEES9_SI_JZNS1_25segmented_radix_sort_implINS0_14default_configELb1EPKiPiPKlPlN2at6native12_GLOBAL__N_18offset_tEEE10hipError_tPvRmT1_PNSt15iterator_traitsIS12_E10value_typeET2_T3_PNS13_IS18_E10value_typeET4_jRbjT5_S1E_jjP12ihipStream_tbEUljE_ZNSN_ISO_Lb1ESQ_SR_ST_SU_SY_EESZ_S10_S11_S12_S16_S17_S18_S1B_S1C_jS1D_jS1E_S1E_jjS1G_bEUljE0_EEESZ_S10_S11_S18_S1C_S1E_T6_T7_T9_mT8_S1G_bDpT10_ENKUlT_T0_E_clISt17integral_constantIbLb0EES1T_IbLb1EEEEDaS1P_S1Q_EUlS1P_E_NS1_11comp_targetILNS1_3genE4ELNS1_11target_archE910ELNS1_3gpuE8ELNS1_3repE0EEENS1_30default_config_static_selectorELNS0_4arch9wavefront6targetE0EEEvS12_
                                        ; -- End function
	.section	.AMDGPU.csdata,"",@progbits
; Kernel info:
; codeLenInByte = 0
; NumSgprs: 0
; NumVgprs: 0
; ScratchSize: 0
; MemoryBound: 0
; FloatMode: 240
; IeeeMode: 1
; LDSByteSize: 0 bytes/workgroup (compile time only)
; SGPRBlocks: 0
; VGPRBlocks: 0
; NumSGPRsForWavesPerEU: 1
; NumVGPRsForWavesPerEU: 1
; Occupancy: 16
; WaveLimiterHint : 0
; COMPUTE_PGM_RSRC2:SCRATCH_EN: 0
; COMPUTE_PGM_RSRC2:USER_SGPR: 15
; COMPUTE_PGM_RSRC2:TRAP_HANDLER: 0
; COMPUTE_PGM_RSRC2:TGID_X_EN: 1
; COMPUTE_PGM_RSRC2:TGID_Y_EN: 0
; COMPUTE_PGM_RSRC2:TGID_Z_EN: 0
; COMPUTE_PGM_RSRC2:TIDIG_COMP_CNT: 0
	.section	.text._ZN7rocprim17ROCPRIM_400000_NS6detail17trampoline_kernelINS0_13select_configILj256ELj13ELNS0_17block_load_methodE3ELS4_3ELS4_3ELNS0_20block_scan_algorithmE0ELj4294967295EEENS1_25partition_config_selectorILNS1_17partition_subalgoE4EjNS0_10empty_typeEbEEZZNS1_14partition_implILS8_4ELb0ES6_15HIP_vector_typeIjLj2EENS0_17counting_iteratorIjlEEPS9_SG_NS0_5tupleIJPjSI_NS0_16reverse_iteratorISI_EEEEENSH_IJSG_SG_SG_EEES9_SI_JZNS1_25segmented_radix_sort_implINS0_14default_configELb1EPKiPiPKlPlN2at6native12_GLOBAL__N_18offset_tEEE10hipError_tPvRmT1_PNSt15iterator_traitsIS12_E10value_typeET2_T3_PNS13_IS18_E10value_typeET4_jRbjT5_S1E_jjP12ihipStream_tbEUljE_ZNSN_ISO_Lb1ESQ_SR_ST_SU_SY_EESZ_S10_S11_S12_S16_S17_S18_S1B_S1C_jS1D_jS1E_S1E_jjS1G_bEUljE0_EEESZ_S10_S11_S18_S1C_S1E_T6_T7_T9_mT8_S1G_bDpT10_ENKUlT_T0_E_clISt17integral_constantIbLb0EES1T_IbLb1EEEEDaS1P_S1Q_EUlS1P_E_NS1_11comp_targetILNS1_3genE3ELNS1_11target_archE908ELNS1_3gpuE7ELNS1_3repE0EEENS1_30default_config_static_selectorELNS0_4arch9wavefront6targetE0EEEvS12_,"axG",@progbits,_ZN7rocprim17ROCPRIM_400000_NS6detail17trampoline_kernelINS0_13select_configILj256ELj13ELNS0_17block_load_methodE3ELS4_3ELS4_3ELNS0_20block_scan_algorithmE0ELj4294967295EEENS1_25partition_config_selectorILNS1_17partition_subalgoE4EjNS0_10empty_typeEbEEZZNS1_14partition_implILS8_4ELb0ES6_15HIP_vector_typeIjLj2EENS0_17counting_iteratorIjlEEPS9_SG_NS0_5tupleIJPjSI_NS0_16reverse_iteratorISI_EEEEENSH_IJSG_SG_SG_EEES9_SI_JZNS1_25segmented_radix_sort_implINS0_14default_configELb1EPKiPiPKlPlN2at6native12_GLOBAL__N_18offset_tEEE10hipError_tPvRmT1_PNSt15iterator_traitsIS12_E10value_typeET2_T3_PNS13_IS18_E10value_typeET4_jRbjT5_S1E_jjP12ihipStream_tbEUljE_ZNSN_ISO_Lb1ESQ_SR_ST_SU_SY_EESZ_S10_S11_S12_S16_S17_S18_S1B_S1C_jS1D_jS1E_S1E_jjS1G_bEUljE0_EEESZ_S10_S11_S18_S1C_S1E_T6_T7_T9_mT8_S1G_bDpT10_ENKUlT_T0_E_clISt17integral_constantIbLb0EES1T_IbLb1EEEEDaS1P_S1Q_EUlS1P_E_NS1_11comp_targetILNS1_3genE3ELNS1_11target_archE908ELNS1_3gpuE7ELNS1_3repE0EEENS1_30default_config_static_selectorELNS0_4arch9wavefront6targetE0EEEvS12_,comdat
	.globl	_ZN7rocprim17ROCPRIM_400000_NS6detail17trampoline_kernelINS0_13select_configILj256ELj13ELNS0_17block_load_methodE3ELS4_3ELS4_3ELNS0_20block_scan_algorithmE0ELj4294967295EEENS1_25partition_config_selectorILNS1_17partition_subalgoE4EjNS0_10empty_typeEbEEZZNS1_14partition_implILS8_4ELb0ES6_15HIP_vector_typeIjLj2EENS0_17counting_iteratorIjlEEPS9_SG_NS0_5tupleIJPjSI_NS0_16reverse_iteratorISI_EEEEENSH_IJSG_SG_SG_EEES9_SI_JZNS1_25segmented_radix_sort_implINS0_14default_configELb1EPKiPiPKlPlN2at6native12_GLOBAL__N_18offset_tEEE10hipError_tPvRmT1_PNSt15iterator_traitsIS12_E10value_typeET2_T3_PNS13_IS18_E10value_typeET4_jRbjT5_S1E_jjP12ihipStream_tbEUljE_ZNSN_ISO_Lb1ESQ_SR_ST_SU_SY_EESZ_S10_S11_S12_S16_S17_S18_S1B_S1C_jS1D_jS1E_S1E_jjS1G_bEUljE0_EEESZ_S10_S11_S18_S1C_S1E_T6_T7_T9_mT8_S1G_bDpT10_ENKUlT_T0_E_clISt17integral_constantIbLb0EES1T_IbLb1EEEEDaS1P_S1Q_EUlS1P_E_NS1_11comp_targetILNS1_3genE3ELNS1_11target_archE908ELNS1_3gpuE7ELNS1_3repE0EEENS1_30default_config_static_selectorELNS0_4arch9wavefront6targetE0EEEvS12_ ; -- Begin function _ZN7rocprim17ROCPRIM_400000_NS6detail17trampoline_kernelINS0_13select_configILj256ELj13ELNS0_17block_load_methodE3ELS4_3ELS4_3ELNS0_20block_scan_algorithmE0ELj4294967295EEENS1_25partition_config_selectorILNS1_17partition_subalgoE4EjNS0_10empty_typeEbEEZZNS1_14partition_implILS8_4ELb0ES6_15HIP_vector_typeIjLj2EENS0_17counting_iteratorIjlEEPS9_SG_NS0_5tupleIJPjSI_NS0_16reverse_iteratorISI_EEEEENSH_IJSG_SG_SG_EEES9_SI_JZNS1_25segmented_radix_sort_implINS0_14default_configELb1EPKiPiPKlPlN2at6native12_GLOBAL__N_18offset_tEEE10hipError_tPvRmT1_PNSt15iterator_traitsIS12_E10value_typeET2_T3_PNS13_IS18_E10value_typeET4_jRbjT5_S1E_jjP12ihipStream_tbEUljE_ZNSN_ISO_Lb1ESQ_SR_ST_SU_SY_EESZ_S10_S11_S12_S16_S17_S18_S1B_S1C_jS1D_jS1E_S1E_jjS1G_bEUljE0_EEESZ_S10_S11_S18_S1C_S1E_T6_T7_T9_mT8_S1G_bDpT10_ENKUlT_T0_E_clISt17integral_constantIbLb0EES1T_IbLb1EEEEDaS1P_S1Q_EUlS1P_E_NS1_11comp_targetILNS1_3genE3ELNS1_11target_archE908ELNS1_3gpuE7ELNS1_3repE0EEENS1_30default_config_static_selectorELNS0_4arch9wavefront6targetE0EEEvS12_
	.p2align	8
	.type	_ZN7rocprim17ROCPRIM_400000_NS6detail17trampoline_kernelINS0_13select_configILj256ELj13ELNS0_17block_load_methodE3ELS4_3ELS4_3ELNS0_20block_scan_algorithmE0ELj4294967295EEENS1_25partition_config_selectorILNS1_17partition_subalgoE4EjNS0_10empty_typeEbEEZZNS1_14partition_implILS8_4ELb0ES6_15HIP_vector_typeIjLj2EENS0_17counting_iteratorIjlEEPS9_SG_NS0_5tupleIJPjSI_NS0_16reverse_iteratorISI_EEEEENSH_IJSG_SG_SG_EEES9_SI_JZNS1_25segmented_radix_sort_implINS0_14default_configELb1EPKiPiPKlPlN2at6native12_GLOBAL__N_18offset_tEEE10hipError_tPvRmT1_PNSt15iterator_traitsIS12_E10value_typeET2_T3_PNS13_IS18_E10value_typeET4_jRbjT5_S1E_jjP12ihipStream_tbEUljE_ZNSN_ISO_Lb1ESQ_SR_ST_SU_SY_EESZ_S10_S11_S12_S16_S17_S18_S1B_S1C_jS1D_jS1E_S1E_jjS1G_bEUljE0_EEESZ_S10_S11_S18_S1C_S1E_T6_T7_T9_mT8_S1G_bDpT10_ENKUlT_T0_E_clISt17integral_constantIbLb0EES1T_IbLb1EEEEDaS1P_S1Q_EUlS1P_E_NS1_11comp_targetILNS1_3genE3ELNS1_11target_archE908ELNS1_3gpuE7ELNS1_3repE0EEENS1_30default_config_static_selectorELNS0_4arch9wavefront6targetE0EEEvS12_,@function
_ZN7rocprim17ROCPRIM_400000_NS6detail17trampoline_kernelINS0_13select_configILj256ELj13ELNS0_17block_load_methodE3ELS4_3ELS4_3ELNS0_20block_scan_algorithmE0ELj4294967295EEENS1_25partition_config_selectorILNS1_17partition_subalgoE4EjNS0_10empty_typeEbEEZZNS1_14partition_implILS8_4ELb0ES6_15HIP_vector_typeIjLj2EENS0_17counting_iteratorIjlEEPS9_SG_NS0_5tupleIJPjSI_NS0_16reverse_iteratorISI_EEEEENSH_IJSG_SG_SG_EEES9_SI_JZNS1_25segmented_radix_sort_implINS0_14default_configELb1EPKiPiPKlPlN2at6native12_GLOBAL__N_18offset_tEEE10hipError_tPvRmT1_PNSt15iterator_traitsIS12_E10value_typeET2_T3_PNS13_IS18_E10value_typeET4_jRbjT5_S1E_jjP12ihipStream_tbEUljE_ZNSN_ISO_Lb1ESQ_SR_ST_SU_SY_EESZ_S10_S11_S12_S16_S17_S18_S1B_S1C_jS1D_jS1E_S1E_jjS1G_bEUljE0_EEESZ_S10_S11_S18_S1C_S1E_T6_T7_T9_mT8_S1G_bDpT10_ENKUlT_T0_E_clISt17integral_constantIbLb0EES1T_IbLb1EEEEDaS1P_S1Q_EUlS1P_E_NS1_11comp_targetILNS1_3genE3ELNS1_11target_archE908ELNS1_3gpuE7ELNS1_3repE0EEENS1_30default_config_static_selectorELNS0_4arch9wavefront6targetE0EEEvS12_: ; @_ZN7rocprim17ROCPRIM_400000_NS6detail17trampoline_kernelINS0_13select_configILj256ELj13ELNS0_17block_load_methodE3ELS4_3ELS4_3ELNS0_20block_scan_algorithmE0ELj4294967295EEENS1_25partition_config_selectorILNS1_17partition_subalgoE4EjNS0_10empty_typeEbEEZZNS1_14partition_implILS8_4ELb0ES6_15HIP_vector_typeIjLj2EENS0_17counting_iteratorIjlEEPS9_SG_NS0_5tupleIJPjSI_NS0_16reverse_iteratorISI_EEEEENSH_IJSG_SG_SG_EEES9_SI_JZNS1_25segmented_radix_sort_implINS0_14default_configELb1EPKiPiPKlPlN2at6native12_GLOBAL__N_18offset_tEEE10hipError_tPvRmT1_PNSt15iterator_traitsIS12_E10value_typeET2_T3_PNS13_IS18_E10value_typeET4_jRbjT5_S1E_jjP12ihipStream_tbEUljE_ZNSN_ISO_Lb1ESQ_SR_ST_SU_SY_EESZ_S10_S11_S12_S16_S17_S18_S1B_S1C_jS1D_jS1E_S1E_jjS1G_bEUljE0_EEESZ_S10_S11_S18_S1C_S1E_T6_T7_T9_mT8_S1G_bDpT10_ENKUlT_T0_E_clISt17integral_constantIbLb0EES1T_IbLb1EEEEDaS1P_S1Q_EUlS1P_E_NS1_11comp_targetILNS1_3genE3ELNS1_11target_archE908ELNS1_3gpuE7ELNS1_3repE0EEENS1_30default_config_static_selectorELNS0_4arch9wavefront6targetE0EEEvS12_
; %bb.0:
	.section	.rodata,"a",@progbits
	.p2align	6, 0x0
	.amdhsa_kernel _ZN7rocprim17ROCPRIM_400000_NS6detail17trampoline_kernelINS0_13select_configILj256ELj13ELNS0_17block_load_methodE3ELS4_3ELS4_3ELNS0_20block_scan_algorithmE0ELj4294967295EEENS1_25partition_config_selectorILNS1_17partition_subalgoE4EjNS0_10empty_typeEbEEZZNS1_14partition_implILS8_4ELb0ES6_15HIP_vector_typeIjLj2EENS0_17counting_iteratorIjlEEPS9_SG_NS0_5tupleIJPjSI_NS0_16reverse_iteratorISI_EEEEENSH_IJSG_SG_SG_EEES9_SI_JZNS1_25segmented_radix_sort_implINS0_14default_configELb1EPKiPiPKlPlN2at6native12_GLOBAL__N_18offset_tEEE10hipError_tPvRmT1_PNSt15iterator_traitsIS12_E10value_typeET2_T3_PNS13_IS18_E10value_typeET4_jRbjT5_S1E_jjP12ihipStream_tbEUljE_ZNSN_ISO_Lb1ESQ_SR_ST_SU_SY_EESZ_S10_S11_S12_S16_S17_S18_S1B_S1C_jS1D_jS1E_S1E_jjS1G_bEUljE0_EEESZ_S10_S11_S18_S1C_S1E_T6_T7_T9_mT8_S1G_bDpT10_ENKUlT_T0_E_clISt17integral_constantIbLb0EES1T_IbLb1EEEEDaS1P_S1Q_EUlS1P_E_NS1_11comp_targetILNS1_3genE3ELNS1_11target_archE908ELNS1_3gpuE7ELNS1_3repE0EEENS1_30default_config_static_selectorELNS0_4arch9wavefront6targetE0EEEvS12_
		.amdhsa_group_segment_fixed_size 0
		.amdhsa_private_segment_fixed_size 0
		.amdhsa_kernarg_size 184
		.amdhsa_user_sgpr_count 15
		.amdhsa_user_sgpr_dispatch_ptr 0
		.amdhsa_user_sgpr_queue_ptr 0
		.amdhsa_user_sgpr_kernarg_segment_ptr 1
		.amdhsa_user_sgpr_dispatch_id 0
		.amdhsa_user_sgpr_private_segment_size 0
		.amdhsa_wavefront_size32 1
		.amdhsa_uses_dynamic_stack 0
		.amdhsa_enable_private_segment 0
		.amdhsa_system_sgpr_workgroup_id_x 1
		.amdhsa_system_sgpr_workgroup_id_y 0
		.amdhsa_system_sgpr_workgroup_id_z 0
		.amdhsa_system_sgpr_workgroup_info 0
		.amdhsa_system_vgpr_workitem_id 0
		.amdhsa_next_free_vgpr 1
		.amdhsa_next_free_sgpr 1
		.amdhsa_reserve_vcc 0
		.amdhsa_float_round_mode_32 0
		.amdhsa_float_round_mode_16_64 0
		.amdhsa_float_denorm_mode_32 3
		.amdhsa_float_denorm_mode_16_64 3
		.amdhsa_dx10_clamp 1
		.amdhsa_ieee_mode 1
		.amdhsa_fp16_overflow 0
		.amdhsa_workgroup_processor_mode 1
		.amdhsa_memory_ordered 1
		.amdhsa_forward_progress 0
		.amdhsa_shared_vgpr_count 0
		.amdhsa_exception_fp_ieee_invalid_op 0
		.amdhsa_exception_fp_denorm_src 0
		.amdhsa_exception_fp_ieee_div_zero 0
		.amdhsa_exception_fp_ieee_overflow 0
		.amdhsa_exception_fp_ieee_underflow 0
		.amdhsa_exception_fp_ieee_inexact 0
		.amdhsa_exception_int_div_zero 0
	.end_amdhsa_kernel
	.section	.text._ZN7rocprim17ROCPRIM_400000_NS6detail17trampoline_kernelINS0_13select_configILj256ELj13ELNS0_17block_load_methodE3ELS4_3ELS4_3ELNS0_20block_scan_algorithmE0ELj4294967295EEENS1_25partition_config_selectorILNS1_17partition_subalgoE4EjNS0_10empty_typeEbEEZZNS1_14partition_implILS8_4ELb0ES6_15HIP_vector_typeIjLj2EENS0_17counting_iteratorIjlEEPS9_SG_NS0_5tupleIJPjSI_NS0_16reverse_iteratorISI_EEEEENSH_IJSG_SG_SG_EEES9_SI_JZNS1_25segmented_radix_sort_implINS0_14default_configELb1EPKiPiPKlPlN2at6native12_GLOBAL__N_18offset_tEEE10hipError_tPvRmT1_PNSt15iterator_traitsIS12_E10value_typeET2_T3_PNS13_IS18_E10value_typeET4_jRbjT5_S1E_jjP12ihipStream_tbEUljE_ZNSN_ISO_Lb1ESQ_SR_ST_SU_SY_EESZ_S10_S11_S12_S16_S17_S18_S1B_S1C_jS1D_jS1E_S1E_jjS1G_bEUljE0_EEESZ_S10_S11_S18_S1C_S1E_T6_T7_T9_mT8_S1G_bDpT10_ENKUlT_T0_E_clISt17integral_constantIbLb0EES1T_IbLb1EEEEDaS1P_S1Q_EUlS1P_E_NS1_11comp_targetILNS1_3genE3ELNS1_11target_archE908ELNS1_3gpuE7ELNS1_3repE0EEENS1_30default_config_static_selectorELNS0_4arch9wavefront6targetE0EEEvS12_,"axG",@progbits,_ZN7rocprim17ROCPRIM_400000_NS6detail17trampoline_kernelINS0_13select_configILj256ELj13ELNS0_17block_load_methodE3ELS4_3ELS4_3ELNS0_20block_scan_algorithmE0ELj4294967295EEENS1_25partition_config_selectorILNS1_17partition_subalgoE4EjNS0_10empty_typeEbEEZZNS1_14partition_implILS8_4ELb0ES6_15HIP_vector_typeIjLj2EENS0_17counting_iteratorIjlEEPS9_SG_NS0_5tupleIJPjSI_NS0_16reverse_iteratorISI_EEEEENSH_IJSG_SG_SG_EEES9_SI_JZNS1_25segmented_radix_sort_implINS0_14default_configELb1EPKiPiPKlPlN2at6native12_GLOBAL__N_18offset_tEEE10hipError_tPvRmT1_PNSt15iterator_traitsIS12_E10value_typeET2_T3_PNS13_IS18_E10value_typeET4_jRbjT5_S1E_jjP12ihipStream_tbEUljE_ZNSN_ISO_Lb1ESQ_SR_ST_SU_SY_EESZ_S10_S11_S12_S16_S17_S18_S1B_S1C_jS1D_jS1E_S1E_jjS1G_bEUljE0_EEESZ_S10_S11_S18_S1C_S1E_T6_T7_T9_mT8_S1G_bDpT10_ENKUlT_T0_E_clISt17integral_constantIbLb0EES1T_IbLb1EEEEDaS1P_S1Q_EUlS1P_E_NS1_11comp_targetILNS1_3genE3ELNS1_11target_archE908ELNS1_3gpuE7ELNS1_3repE0EEENS1_30default_config_static_selectorELNS0_4arch9wavefront6targetE0EEEvS12_,comdat
.Lfunc_end460:
	.size	_ZN7rocprim17ROCPRIM_400000_NS6detail17trampoline_kernelINS0_13select_configILj256ELj13ELNS0_17block_load_methodE3ELS4_3ELS4_3ELNS0_20block_scan_algorithmE0ELj4294967295EEENS1_25partition_config_selectorILNS1_17partition_subalgoE4EjNS0_10empty_typeEbEEZZNS1_14partition_implILS8_4ELb0ES6_15HIP_vector_typeIjLj2EENS0_17counting_iteratorIjlEEPS9_SG_NS0_5tupleIJPjSI_NS0_16reverse_iteratorISI_EEEEENSH_IJSG_SG_SG_EEES9_SI_JZNS1_25segmented_radix_sort_implINS0_14default_configELb1EPKiPiPKlPlN2at6native12_GLOBAL__N_18offset_tEEE10hipError_tPvRmT1_PNSt15iterator_traitsIS12_E10value_typeET2_T3_PNS13_IS18_E10value_typeET4_jRbjT5_S1E_jjP12ihipStream_tbEUljE_ZNSN_ISO_Lb1ESQ_SR_ST_SU_SY_EESZ_S10_S11_S12_S16_S17_S18_S1B_S1C_jS1D_jS1E_S1E_jjS1G_bEUljE0_EEESZ_S10_S11_S18_S1C_S1E_T6_T7_T9_mT8_S1G_bDpT10_ENKUlT_T0_E_clISt17integral_constantIbLb0EES1T_IbLb1EEEEDaS1P_S1Q_EUlS1P_E_NS1_11comp_targetILNS1_3genE3ELNS1_11target_archE908ELNS1_3gpuE7ELNS1_3repE0EEENS1_30default_config_static_selectorELNS0_4arch9wavefront6targetE0EEEvS12_, .Lfunc_end460-_ZN7rocprim17ROCPRIM_400000_NS6detail17trampoline_kernelINS0_13select_configILj256ELj13ELNS0_17block_load_methodE3ELS4_3ELS4_3ELNS0_20block_scan_algorithmE0ELj4294967295EEENS1_25partition_config_selectorILNS1_17partition_subalgoE4EjNS0_10empty_typeEbEEZZNS1_14partition_implILS8_4ELb0ES6_15HIP_vector_typeIjLj2EENS0_17counting_iteratorIjlEEPS9_SG_NS0_5tupleIJPjSI_NS0_16reverse_iteratorISI_EEEEENSH_IJSG_SG_SG_EEES9_SI_JZNS1_25segmented_radix_sort_implINS0_14default_configELb1EPKiPiPKlPlN2at6native12_GLOBAL__N_18offset_tEEE10hipError_tPvRmT1_PNSt15iterator_traitsIS12_E10value_typeET2_T3_PNS13_IS18_E10value_typeET4_jRbjT5_S1E_jjP12ihipStream_tbEUljE_ZNSN_ISO_Lb1ESQ_SR_ST_SU_SY_EESZ_S10_S11_S12_S16_S17_S18_S1B_S1C_jS1D_jS1E_S1E_jjS1G_bEUljE0_EEESZ_S10_S11_S18_S1C_S1E_T6_T7_T9_mT8_S1G_bDpT10_ENKUlT_T0_E_clISt17integral_constantIbLb0EES1T_IbLb1EEEEDaS1P_S1Q_EUlS1P_E_NS1_11comp_targetILNS1_3genE3ELNS1_11target_archE908ELNS1_3gpuE7ELNS1_3repE0EEENS1_30default_config_static_selectorELNS0_4arch9wavefront6targetE0EEEvS12_
                                        ; -- End function
	.section	.AMDGPU.csdata,"",@progbits
; Kernel info:
; codeLenInByte = 0
; NumSgprs: 0
; NumVgprs: 0
; ScratchSize: 0
; MemoryBound: 0
; FloatMode: 240
; IeeeMode: 1
; LDSByteSize: 0 bytes/workgroup (compile time only)
; SGPRBlocks: 0
; VGPRBlocks: 0
; NumSGPRsForWavesPerEU: 1
; NumVGPRsForWavesPerEU: 1
; Occupancy: 16
; WaveLimiterHint : 0
; COMPUTE_PGM_RSRC2:SCRATCH_EN: 0
; COMPUTE_PGM_RSRC2:USER_SGPR: 15
; COMPUTE_PGM_RSRC2:TRAP_HANDLER: 0
; COMPUTE_PGM_RSRC2:TGID_X_EN: 1
; COMPUTE_PGM_RSRC2:TGID_Y_EN: 0
; COMPUTE_PGM_RSRC2:TGID_Z_EN: 0
; COMPUTE_PGM_RSRC2:TIDIG_COMP_CNT: 0
	.section	.text._ZN7rocprim17ROCPRIM_400000_NS6detail17trampoline_kernelINS0_13select_configILj256ELj13ELNS0_17block_load_methodE3ELS4_3ELS4_3ELNS0_20block_scan_algorithmE0ELj4294967295EEENS1_25partition_config_selectorILNS1_17partition_subalgoE4EjNS0_10empty_typeEbEEZZNS1_14partition_implILS8_4ELb0ES6_15HIP_vector_typeIjLj2EENS0_17counting_iteratorIjlEEPS9_SG_NS0_5tupleIJPjSI_NS0_16reverse_iteratorISI_EEEEENSH_IJSG_SG_SG_EEES9_SI_JZNS1_25segmented_radix_sort_implINS0_14default_configELb1EPKiPiPKlPlN2at6native12_GLOBAL__N_18offset_tEEE10hipError_tPvRmT1_PNSt15iterator_traitsIS12_E10value_typeET2_T3_PNS13_IS18_E10value_typeET4_jRbjT5_S1E_jjP12ihipStream_tbEUljE_ZNSN_ISO_Lb1ESQ_SR_ST_SU_SY_EESZ_S10_S11_S12_S16_S17_S18_S1B_S1C_jS1D_jS1E_S1E_jjS1G_bEUljE0_EEESZ_S10_S11_S18_S1C_S1E_T6_T7_T9_mT8_S1G_bDpT10_ENKUlT_T0_E_clISt17integral_constantIbLb0EES1T_IbLb1EEEEDaS1P_S1Q_EUlS1P_E_NS1_11comp_targetILNS1_3genE2ELNS1_11target_archE906ELNS1_3gpuE6ELNS1_3repE0EEENS1_30default_config_static_selectorELNS0_4arch9wavefront6targetE0EEEvS12_,"axG",@progbits,_ZN7rocprim17ROCPRIM_400000_NS6detail17trampoline_kernelINS0_13select_configILj256ELj13ELNS0_17block_load_methodE3ELS4_3ELS4_3ELNS0_20block_scan_algorithmE0ELj4294967295EEENS1_25partition_config_selectorILNS1_17partition_subalgoE4EjNS0_10empty_typeEbEEZZNS1_14partition_implILS8_4ELb0ES6_15HIP_vector_typeIjLj2EENS0_17counting_iteratorIjlEEPS9_SG_NS0_5tupleIJPjSI_NS0_16reverse_iteratorISI_EEEEENSH_IJSG_SG_SG_EEES9_SI_JZNS1_25segmented_radix_sort_implINS0_14default_configELb1EPKiPiPKlPlN2at6native12_GLOBAL__N_18offset_tEEE10hipError_tPvRmT1_PNSt15iterator_traitsIS12_E10value_typeET2_T3_PNS13_IS18_E10value_typeET4_jRbjT5_S1E_jjP12ihipStream_tbEUljE_ZNSN_ISO_Lb1ESQ_SR_ST_SU_SY_EESZ_S10_S11_S12_S16_S17_S18_S1B_S1C_jS1D_jS1E_S1E_jjS1G_bEUljE0_EEESZ_S10_S11_S18_S1C_S1E_T6_T7_T9_mT8_S1G_bDpT10_ENKUlT_T0_E_clISt17integral_constantIbLb0EES1T_IbLb1EEEEDaS1P_S1Q_EUlS1P_E_NS1_11comp_targetILNS1_3genE2ELNS1_11target_archE906ELNS1_3gpuE6ELNS1_3repE0EEENS1_30default_config_static_selectorELNS0_4arch9wavefront6targetE0EEEvS12_,comdat
	.globl	_ZN7rocprim17ROCPRIM_400000_NS6detail17trampoline_kernelINS0_13select_configILj256ELj13ELNS0_17block_load_methodE3ELS4_3ELS4_3ELNS0_20block_scan_algorithmE0ELj4294967295EEENS1_25partition_config_selectorILNS1_17partition_subalgoE4EjNS0_10empty_typeEbEEZZNS1_14partition_implILS8_4ELb0ES6_15HIP_vector_typeIjLj2EENS0_17counting_iteratorIjlEEPS9_SG_NS0_5tupleIJPjSI_NS0_16reverse_iteratorISI_EEEEENSH_IJSG_SG_SG_EEES9_SI_JZNS1_25segmented_radix_sort_implINS0_14default_configELb1EPKiPiPKlPlN2at6native12_GLOBAL__N_18offset_tEEE10hipError_tPvRmT1_PNSt15iterator_traitsIS12_E10value_typeET2_T3_PNS13_IS18_E10value_typeET4_jRbjT5_S1E_jjP12ihipStream_tbEUljE_ZNSN_ISO_Lb1ESQ_SR_ST_SU_SY_EESZ_S10_S11_S12_S16_S17_S18_S1B_S1C_jS1D_jS1E_S1E_jjS1G_bEUljE0_EEESZ_S10_S11_S18_S1C_S1E_T6_T7_T9_mT8_S1G_bDpT10_ENKUlT_T0_E_clISt17integral_constantIbLb0EES1T_IbLb1EEEEDaS1P_S1Q_EUlS1P_E_NS1_11comp_targetILNS1_3genE2ELNS1_11target_archE906ELNS1_3gpuE6ELNS1_3repE0EEENS1_30default_config_static_selectorELNS0_4arch9wavefront6targetE0EEEvS12_ ; -- Begin function _ZN7rocprim17ROCPRIM_400000_NS6detail17trampoline_kernelINS0_13select_configILj256ELj13ELNS0_17block_load_methodE3ELS4_3ELS4_3ELNS0_20block_scan_algorithmE0ELj4294967295EEENS1_25partition_config_selectorILNS1_17partition_subalgoE4EjNS0_10empty_typeEbEEZZNS1_14partition_implILS8_4ELb0ES6_15HIP_vector_typeIjLj2EENS0_17counting_iteratorIjlEEPS9_SG_NS0_5tupleIJPjSI_NS0_16reverse_iteratorISI_EEEEENSH_IJSG_SG_SG_EEES9_SI_JZNS1_25segmented_radix_sort_implINS0_14default_configELb1EPKiPiPKlPlN2at6native12_GLOBAL__N_18offset_tEEE10hipError_tPvRmT1_PNSt15iterator_traitsIS12_E10value_typeET2_T3_PNS13_IS18_E10value_typeET4_jRbjT5_S1E_jjP12ihipStream_tbEUljE_ZNSN_ISO_Lb1ESQ_SR_ST_SU_SY_EESZ_S10_S11_S12_S16_S17_S18_S1B_S1C_jS1D_jS1E_S1E_jjS1G_bEUljE0_EEESZ_S10_S11_S18_S1C_S1E_T6_T7_T9_mT8_S1G_bDpT10_ENKUlT_T0_E_clISt17integral_constantIbLb0EES1T_IbLb1EEEEDaS1P_S1Q_EUlS1P_E_NS1_11comp_targetILNS1_3genE2ELNS1_11target_archE906ELNS1_3gpuE6ELNS1_3repE0EEENS1_30default_config_static_selectorELNS0_4arch9wavefront6targetE0EEEvS12_
	.p2align	8
	.type	_ZN7rocprim17ROCPRIM_400000_NS6detail17trampoline_kernelINS0_13select_configILj256ELj13ELNS0_17block_load_methodE3ELS4_3ELS4_3ELNS0_20block_scan_algorithmE0ELj4294967295EEENS1_25partition_config_selectorILNS1_17partition_subalgoE4EjNS0_10empty_typeEbEEZZNS1_14partition_implILS8_4ELb0ES6_15HIP_vector_typeIjLj2EENS0_17counting_iteratorIjlEEPS9_SG_NS0_5tupleIJPjSI_NS0_16reverse_iteratorISI_EEEEENSH_IJSG_SG_SG_EEES9_SI_JZNS1_25segmented_radix_sort_implINS0_14default_configELb1EPKiPiPKlPlN2at6native12_GLOBAL__N_18offset_tEEE10hipError_tPvRmT1_PNSt15iterator_traitsIS12_E10value_typeET2_T3_PNS13_IS18_E10value_typeET4_jRbjT5_S1E_jjP12ihipStream_tbEUljE_ZNSN_ISO_Lb1ESQ_SR_ST_SU_SY_EESZ_S10_S11_S12_S16_S17_S18_S1B_S1C_jS1D_jS1E_S1E_jjS1G_bEUljE0_EEESZ_S10_S11_S18_S1C_S1E_T6_T7_T9_mT8_S1G_bDpT10_ENKUlT_T0_E_clISt17integral_constantIbLb0EES1T_IbLb1EEEEDaS1P_S1Q_EUlS1P_E_NS1_11comp_targetILNS1_3genE2ELNS1_11target_archE906ELNS1_3gpuE6ELNS1_3repE0EEENS1_30default_config_static_selectorELNS0_4arch9wavefront6targetE0EEEvS12_,@function
_ZN7rocprim17ROCPRIM_400000_NS6detail17trampoline_kernelINS0_13select_configILj256ELj13ELNS0_17block_load_methodE3ELS4_3ELS4_3ELNS0_20block_scan_algorithmE0ELj4294967295EEENS1_25partition_config_selectorILNS1_17partition_subalgoE4EjNS0_10empty_typeEbEEZZNS1_14partition_implILS8_4ELb0ES6_15HIP_vector_typeIjLj2EENS0_17counting_iteratorIjlEEPS9_SG_NS0_5tupleIJPjSI_NS0_16reverse_iteratorISI_EEEEENSH_IJSG_SG_SG_EEES9_SI_JZNS1_25segmented_radix_sort_implINS0_14default_configELb1EPKiPiPKlPlN2at6native12_GLOBAL__N_18offset_tEEE10hipError_tPvRmT1_PNSt15iterator_traitsIS12_E10value_typeET2_T3_PNS13_IS18_E10value_typeET4_jRbjT5_S1E_jjP12ihipStream_tbEUljE_ZNSN_ISO_Lb1ESQ_SR_ST_SU_SY_EESZ_S10_S11_S12_S16_S17_S18_S1B_S1C_jS1D_jS1E_S1E_jjS1G_bEUljE0_EEESZ_S10_S11_S18_S1C_S1E_T6_T7_T9_mT8_S1G_bDpT10_ENKUlT_T0_E_clISt17integral_constantIbLb0EES1T_IbLb1EEEEDaS1P_S1Q_EUlS1P_E_NS1_11comp_targetILNS1_3genE2ELNS1_11target_archE906ELNS1_3gpuE6ELNS1_3repE0EEENS1_30default_config_static_selectorELNS0_4arch9wavefront6targetE0EEEvS12_: ; @_ZN7rocprim17ROCPRIM_400000_NS6detail17trampoline_kernelINS0_13select_configILj256ELj13ELNS0_17block_load_methodE3ELS4_3ELS4_3ELNS0_20block_scan_algorithmE0ELj4294967295EEENS1_25partition_config_selectorILNS1_17partition_subalgoE4EjNS0_10empty_typeEbEEZZNS1_14partition_implILS8_4ELb0ES6_15HIP_vector_typeIjLj2EENS0_17counting_iteratorIjlEEPS9_SG_NS0_5tupleIJPjSI_NS0_16reverse_iteratorISI_EEEEENSH_IJSG_SG_SG_EEES9_SI_JZNS1_25segmented_radix_sort_implINS0_14default_configELb1EPKiPiPKlPlN2at6native12_GLOBAL__N_18offset_tEEE10hipError_tPvRmT1_PNSt15iterator_traitsIS12_E10value_typeET2_T3_PNS13_IS18_E10value_typeET4_jRbjT5_S1E_jjP12ihipStream_tbEUljE_ZNSN_ISO_Lb1ESQ_SR_ST_SU_SY_EESZ_S10_S11_S12_S16_S17_S18_S1B_S1C_jS1D_jS1E_S1E_jjS1G_bEUljE0_EEESZ_S10_S11_S18_S1C_S1E_T6_T7_T9_mT8_S1G_bDpT10_ENKUlT_T0_E_clISt17integral_constantIbLb0EES1T_IbLb1EEEEDaS1P_S1Q_EUlS1P_E_NS1_11comp_targetILNS1_3genE2ELNS1_11target_archE906ELNS1_3gpuE6ELNS1_3repE0EEENS1_30default_config_static_selectorELNS0_4arch9wavefront6targetE0EEEvS12_
; %bb.0:
	.section	.rodata,"a",@progbits
	.p2align	6, 0x0
	.amdhsa_kernel _ZN7rocprim17ROCPRIM_400000_NS6detail17trampoline_kernelINS0_13select_configILj256ELj13ELNS0_17block_load_methodE3ELS4_3ELS4_3ELNS0_20block_scan_algorithmE0ELj4294967295EEENS1_25partition_config_selectorILNS1_17partition_subalgoE4EjNS0_10empty_typeEbEEZZNS1_14partition_implILS8_4ELb0ES6_15HIP_vector_typeIjLj2EENS0_17counting_iteratorIjlEEPS9_SG_NS0_5tupleIJPjSI_NS0_16reverse_iteratorISI_EEEEENSH_IJSG_SG_SG_EEES9_SI_JZNS1_25segmented_radix_sort_implINS0_14default_configELb1EPKiPiPKlPlN2at6native12_GLOBAL__N_18offset_tEEE10hipError_tPvRmT1_PNSt15iterator_traitsIS12_E10value_typeET2_T3_PNS13_IS18_E10value_typeET4_jRbjT5_S1E_jjP12ihipStream_tbEUljE_ZNSN_ISO_Lb1ESQ_SR_ST_SU_SY_EESZ_S10_S11_S12_S16_S17_S18_S1B_S1C_jS1D_jS1E_S1E_jjS1G_bEUljE0_EEESZ_S10_S11_S18_S1C_S1E_T6_T7_T9_mT8_S1G_bDpT10_ENKUlT_T0_E_clISt17integral_constantIbLb0EES1T_IbLb1EEEEDaS1P_S1Q_EUlS1P_E_NS1_11comp_targetILNS1_3genE2ELNS1_11target_archE906ELNS1_3gpuE6ELNS1_3repE0EEENS1_30default_config_static_selectorELNS0_4arch9wavefront6targetE0EEEvS12_
		.amdhsa_group_segment_fixed_size 0
		.amdhsa_private_segment_fixed_size 0
		.amdhsa_kernarg_size 184
		.amdhsa_user_sgpr_count 15
		.amdhsa_user_sgpr_dispatch_ptr 0
		.amdhsa_user_sgpr_queue_ptr 0
		.amdhsa_user_sgpr_kernarg_segment_ptr 1
		.amdhsa_user_sgpr_dispatch_id 0
		.amdhsa_user_sgpr_private_segment_size 0
		.amdhsa_wavefront_size32 1
		.amdhsa_uses_dynamic_stack 0
		.amdhsa_enable_private_segment 0
		.amdhsa_system_sgpr_workgroup_id_x 1
		.amdhsa_system_sgpr_workgroup_id_y 0
		.amdhsa_system_sgpr_workgroup_id_z 0
		.amdhsa_system_sgpr_workgroup_info 0
		.amdhsa_system_vgpr_workitem_id 0
		.amdhsa_next_free_vgpr 1
		.amdhsa_next_free_sgpr 1
		.amdhsa_reserve_vcc 0
		.amdhsa_float_round_mode_32 0
		.amdhsa_float_round_mode_16_64 0
		.amdhsa_float_denorm_mode_32 3
		.amdhsa_float_denorm_mode_16_64 3
		.amdhsa_dx10_clamp 1
		.amdhsa_ieee_mode 1
		.amdhsa_fp16_overflow 0
		.amdhsa_workgroup_processor_mode 1
		.amdhsa_memory_ordered 1
		.amdhsa_forward_progress 0
		.amdhsa_shared_vgpr_count 0
		.amdhsa_exception_fp_ieee_invalid_op 0
		.amdhsa_exception_fp_denorm_src 0
		.amdhsa_exception_fp_ieee_div_zero 0
		.amdhsa_exception_fp_ieee_overflow 0
		.amdhsa_exception_fp_ieee_underflow 0
		.amdhsa_exception_fp_ieee_inexact 0
		.amdhsa_exception_int_div_zero 0
	.end_amdhsa_kernel
	.section	.text._ZN7rocprim17ROCPRIM_400000_NS6detail17trampoline_kernelINS0_13select_configILj256ELj13ELNS0_17block_load_methodE3ELS4_3ELS4_3ELNS0_20block_scan_algorithmE0ELj4294967295EEENS1_25partition_config_selectorILNS1_17partition_subalgoE4EjNS0_10empty_typeEbEEZZNS1_14partition_implILS8_4ELb0ES6_15HIP_vector_typeIjLj2EENS0_17counting_iteratorIjlEEPS9_SG_NS0_5tupleIJPjSI_NS0_16reverse_iteratorISI_EEEEENSH_IJSG_SG_SG_EEES9_SI_JZNS1_25segmented_radix_sort_implINS0_14default_configELb1EPKiPiPKlPlN2at6native12_GLOBAL__N_18offset_tEEE10hipError_tPvRmT1_PNSt15iterator_traitsIS12_E10value_typeET2_T3_PNS13_IS18_E10value_typeET4_jRbjT5_S1E_jjP12ihipStream_tbEUljE_ZNSN_ISO_Lb1ESQ_SR_ST_SU_SY_EESZ_S10_S11_S12_S16_S17_S18_S1B_S1C_jS1D_jS1E_S1E_jjS1G_bEUljE0_EEESZ_S10_S11_S18_S1C_S1E_T6_T7_T9_mT8_S1G_bDpT10_ENKUlT_T0_E_clISt17integral_constantIbLb0EES1T_IbLb1EEEEDaS1P_S1Q_EUlS1P_E_NS1_11comp_targetILNS1_3genE2ELNS1_11target_archE906ELNS1_3gpuE6ELNS1_3repE0EEENS1_30default_config_static_selectorELNS0_4arch9wavefront6targetE0EEEvS12_,"axG",@progbits,_ZN7rocprim17ROCPRIM_400000_NS6detail17trampoline_kernelINS0_13select_configILj256ELj13ELNS0_17block_load_methodE3ELS4_3ELS4_3ELNS0_20block_scan_algorithmE0ELj4294967295EEENS1_25partition_config_selectorILNS1_17partition_subalgoE4EjNS0_10empty_typeEbEEZZNS1_14partition_implILS8_4ELb0ES6_15HIP_vector_typeIjLj2EENS0_17counting_iteratorIjlEEPS9_SG_NS0_5tupleIJPjSI_NS0_16reverse_iteratorISI_EEEEENSH_IJSG_SG_SG_EEES9_SI_JZNS1_25segmented_radix_sort_implINS0_14default_configELb1EPKiPiPKlPlN2at6native12_GLOBAL__N_18offset_tEEE10hipError_tPvRmT1_PNSt15iterator_traitsIS12_E10value_typeET2_T3_PNS13_IS18_E10value_typeET4_jRbjT5_S1E_jjP12ihipStream_tbEUljE_ZNSN_ISO_Lb1ESQ_SR_ST_SU_SY_EESZ_S10_S11_S12_S16_S17_S18_S1B_S1C_jS1D_jS1E_S1E_jjS1G_bEUljE0_EEESZ_S10_S11_S18_S1C_S1E_T6_T7_T9_mT8_S1G_bDpT10_ENKUlT_T0_E_clISt17integral_constantIbLb0EES1T_IbLb1EEEEDaS1P_S1Q_EUlS1P_E_NS1_11comp_targetILNS1_3genE2ELNS1_11target_archE906ELNS1_3gpuE6ELNS1_3repE0EEENS1_30default_config_static_selectorELNS0_4arch9wavefront6targetE0EEEvS12_,comdat
.Lfunc_end461:
	.size	_ZN7rocprim17ROCPRIM_400000_NS6detail17trampoline_kernelINS0_13select_configILj256ELj13ELNS0_17block_load_methodE3ELS4_3ELS4_3ELNS0_20block_scan_algorithmE0ELj4294967295EEENS1_25partition_config_selectorILNS1_17partition_subalgoE4EjNS0_10empty_typeEbEEZZNS1_14partition_implILS8_4ELb0ES6_15HIP_vector_typeIjLj2EENS0_17counting_iteratorIjlEEPS9_SG_NS0_5tupleIJPjSI_NS0_16reverse_iteratorISI_EEEEENSH_IJSG_SG_SG_EEES9_SI_JZNS1_25segmented_radix_sort_implINS0_14default_configELb1EPKiPiPKlPlN2at6native12_GLOBAL__N_18offset_tEEE10hipError_tPvRmT1_PNSt15iterator_traitsIS12_E10value_typeET2_T3_PNS13_IS18_E10value_typeET4_jRbjT5_S1E_jjP12ihipStream_tbEUljE_ZNSN_ISO_Lb1ESQ_SR_ST_SU_SY_EESZ_S10_S11_S12_S16_S17_S18_S1B_S1C_jS1D_jS1E_S1E_jjS1G_bEUljE0_EEESZ_S10_S11_S18_S1C_S1E_T6_T7_T9_mT8_S1G_bDpT10_ENKUlT_T0_E_clISt17integral_constantIbLb0EES1T_IbLb1EEEEDaS1P_S1Q_EUlS1P_E_NS1_11comp_targetILNS1_3genE2ELNS1_11target_archE906ELNS1_3gpuE6ELNS1_3repE0EEENS1_30default_config_static_selectorELNS0_4arch9wavefront6targetE0EEEvS12_, .Lfunc_end461-_ZN7rocprim17ROCPRIM_400000_NS6detail17trampoline_kernelINS0_13select_configILj256ELj13ELNS0_17block_load_methodE3ELS4_3ELS4_3ELNS0_20block_scan_algorithmE0ELj4294967295EEENS1_25partition_config_selectorILNS1_17partition_subalgoE4EjNS0_10empty_typeEbEEZZNS1_14partition_implILS8_4ELb0ES6_15HIP_vector_typeIjLj2EENS0_17counting_iteratorIjlEEPS9_SG_NS0_5tupleIJPjSI_NS0_16reverse_iteratorISI_EEEEENSH_IJSG_SG_SG_EEES9_SI_JZNS1_25segmented_radix_sort_implINS0_14default_configELb1EPKiPiPKlPlN2at6native12_GLOBAL__N_18offset_tEEE10hipError_tPvRmT1_PNSt15iterator_traitsIS12_E10value_typeET2_T3_PNS13_IS18_E10value_typeET4_jRbjT5_S1E_jjP12ihipStream_tbEUljE_ZNSN_ISO_Lb1ESQ_SR_ST_SU_SY_EESZ_S10_S11_S12_S16_S17_S18_S1B_S1C_jS1D_jS1E_S1E_jjS1G_bEUljE0_EEESZ_S10_S11_S18_S1C_S1E_T6_T7_T9_mT8_S1G_bDpT10_ENKUlT_T0_E_clISt17integral_constantIbLb0EES1T_IbLb1EEEEDaS1P_S1Q_EUlS1P_E_NS1_11comp_targetILNS1_3genE2ELNS1_11target_archE906ELNS1_3gpuE6ELNS1_3repE0EEENS1_30default_config_static_selectorELNS0_4arch9wavefront6targetE0EEEvS12_
                                        ; -- End function
	.section	.AMDGPU.csdata,"",@progbits
; Kernel info:
; codeLenInByte = 0
; NumSgprs: 0
; NumVgprs: 0
; ScratchSize: 0
; MemoryBound: 0
; FloatMode: 240
; IeeeMode: 1
; LDSByteSize: 0 bytes/workgroup (compile time only)
; SGPRBlocks: 0
; VGPRBlocks: 0
; NumSGPRsForWavesPerEU: 1
; NumVGPRsForWavesPerEU: 1
; Occupancy: 16
; WaveLimiterHint : 0
; COMPUTE_PGM_RSRC2:SCRATCH_EN: 0
; COMPUTE_PGM_RSRC2:USER_SGPR: 15
; COMPUTE_PGM_RSRC2:TRAP_HANDLER: 0
; COMPUTE_PGM_RSRC2:TGID_X_EN: 1
; COMPUTE_PGM_RSRC2:TGID_Y_EN: 0
; COMPUTE_PGM_RSRC2:TGID_Z_EN: 0
; COMPUTE_PGM_RSRC2:TIDIG_COMP_CNT: 0
	.section	.text._ZN7rocprim17ROCPRIM_400000_NS6detail17trampoline_kernelINS0_13select_configILj256ELj13ELNS0_17block_load_methodE3ELS4_3ELS4_3ELNS0_20block_scan_algorithmE0ELj4294967295EEENS1_25partition_config_selectorILNS1_17partition_subalgoE4EjNS0_10empty_typeEbEEZZNS1_14partition_implILS8_4ELb0ES6_15HIP_vector_typeIjLj2EENS0_17counting_iteratorIjlEEPS9_SG_NS0_5tupleIJPjSI_NS0_16reverse_iteratorISI_EEEEENSH_IJSG_SG_SG_EEES9_SI_JZNS1_25segmented_radix_sort_implINS0_14default_configELb1EPKiPiPKlPlN2at6native12_GLOBAL__N_18offset_tEEE10hipError_tPvRmT1_PNSt15iterator_traitsIS12_E10value_typeET2_T3_PNS13_IS18_E10value_typeET4_jRbjT5_S1E_jjP12ihipStream_tbEUljE_ZNSN_ISO_Lb1ESQ_SR_ST_SU_SY_EESZ_S10_S11_S12_S16_S17_S18_S1B_S1C_jS1D_jS1E_S1E_jjS1G_bEUljE0_EEESZ_S10_S11_S18_S1C_S1E_T6_T7_T9_mT8_S1G_bDpT10_ENKUlT_T0_E_clISt17integral_constantIbLb0EES1T_IbLb1EEEEDaS1P_S1Q_EUlS1P_E_NS1_11comp_targetILNS1_3genE10ELNS1_11target_archE1200ELNS1_3gpuE4ELNS1_3repE0EEENS1_30default_config_static_selectorELNS0_4arch9wavefront6targetE0EEEvS12_,"axG",@progbits,_ZN7rocprim17ROCPRIM_400000_NS6detail17trampoline_kernelINS0_13select_configILj256ELj13ELNS0_17block_load_methodE3ELS4_3ELS4_3ELNS0_20block_scan_algorithmE0ELj4294967295EEENS1_25partition_config_selectorILNS1_17partition_subalgoE4EjNS0_10empty_typeEbEEZZNS1_14partition_implILS8_4ELb0ES6_15HIP_vector_typeIjLj2EENS0_17counting_iteratorIjlEEPS9_SG_NS0_5tupleIJPjSI_NS0_16reverse_iteratorISI_EEEEENSH_IJSG_SG_SG_EEES9_SI_JZNS1_25segmented_radix_sort_implINS0_14default_configELb1EPKiPiPKlPlN2at6native12_GLOBAL__N_18offset_tEEE10hipError_tPvRmT1_PNSt15iterator_traitsIS12_E10value_typeET2_T3_PNS13_IS18_E10value_typeET4_jRbjT5_S1E_jjP12ihipStream_tbEUljE_ZNSN_ISO_Lb1ESQ_SR_ST_SU_SY_EESZ_S10_S11_S12_S16_S17_S18_S1B_S1C_jS1D_jS1E_S1E_jjS1G_bEUljE0_EEESZ_S10_S11_S18_S1C_S1E_T6_T7_T9_mT8_S1G_bDpT10_ENKUlT_T0_E_clISt17integral_constantIbLb0EES1T_IbLb1EEEEDaS1P_S1Q_EUlS1P_E_NS1_11comp_targetILNS1_3genE10ELNS1_11target_archE1200ELNS1_3gpuE4ELNS1_3repE0EEENS1_30default_config_static_selectorELNS0_4arch9wavefront6targetE0EEEvS12_,comdat
	.globl	_ZN7rocprim17ROCPRIM_400000_NS6detail17trampoline_kernelINS0_13select_configILj256ELj13ELNS0_17block_load_methodE3ELS4_3ELS4_3ELNS0_20block_scan_algorithmE0ELj4294967295EEENS1_25partition_config_selectorILNS1_17partition_subalgoE4EjNS0_10empty_typeEbEEZZNS1_14partition_implILS8_4ELb0ES6_15HIP_vector_typeIjLj2EENS0_17counting_iteratorIjlEEPS9_SG_NS0_5tupleIJPjSI_NS0_16reverse_iteratorISI_EEEEENSH_IJSG_SG_SG_EEES9_SI_JZNS1_25segmented_radix_sort_implINS0_14default_configELb1EPKiPiPKlPlN2at6native12_GLOBAL__N_18offset_tEEE10hipError_tPvRmT1_PNSt15iterator_traitsIS12_E10value_typeET2_T3_PNS13_IS18_E10value_typeET4_jRbjT5_S1E_jjP12ihipStream_tbEUljE_ZNSN_ISO_Lb1ESQ_SR_ST_SU_SY_EESZ_S10_S11_S12_S16_S17_S18_S1B_S1C_jS1D_jS1E_S1E_jjS1G_bEUljE0_EEESZ_S10_S11_S18_S1C_S1E_T6_T7_T9_mT8_S1G_bDpT10_ENKUlT_T0_E_clISt17integral_constantIbLb0EES1T_IbLb1EEEEDaS1P_S1Q_EUlS1P_E_NS1_11comp_targetILNS1_3genE10ELNS1_11target_archE1200ELNS1_3gpuE4ELNS1_3repE0EEENS1_30default_config_static_selectorELNS0_4arch9wavefront6targetE0EEEvS12_ ; -- Begin function _ZN7rocprim17ROCPRIM_400000_NS6detail17trampoline_kernelINS0_13select_configILj256ELj13ELNS0_17block_load_methodE3ELS4_3ELS4_3ELNS0_20block_scan_algorithmE0ELj4294967295EEENS1_25partition_config_selectorILNS1_17partition_subalgoE4EjNS0_10empty_typeEbEEZZNS1_14partition_implILS8_4ELb0ES6_15HIP_vector_typeIjLj2EENS0_17counting_iteratorIjlEEPS9_SG_NS0_5tupleIJPjSI_NS0_16reverse_iteratorISI_EEEEENSH_IJSG_SG_SG_EEES9_SI_JZNS1_25segmented_radix_sort_implINS0_14default_configELb1EPKiPiPKlPlN2at6native12_GLOBAL__N_18offset_tEEE10hipError_tPvRmT1_PNSt15iterator_traitsIS12_E10value_typeET2_T3_PNS13_IS18_E10value_typeET4_jRbjT5_S1E_jjP12ihipStream_tbEUljE_ZNSN_ISO_Lb1ESQ_SR_ST_SU_SY_EESZ_S10_S11_S12_S16_S17_S18_S1B_S1C_jS1D_jS1E_S1E_jjS1G_bEUljE0_EEESZ_S10_S11_S18_S1C_S1E_T6_T7_T9_mT8_S1G_bDpT10_ENKUlT_T0_E_clISt17integral_constantIbLb0EES1T_IbLb1EEEEDaS1P_S1Q_EUlS1P_E_NS1_11comp_targetILNS1_3genE10ELNS1_11target_archE1200ELNS1_3gpuE4ELNS1_3repE0EEENS1_30default_config_static_selectorELNS0_4arch9wavefront6targetE0EEEvS12_
	.p2align	8
	.type	_ZN7rocprim17ROCPRIM_400000_NS6detail17trampoline_kernelINS0_13select_configILj256ELj13ELNS0_17block_load_methodE3ELS4_3ELS4_3ELNS0_20block_scan_algorithmE0ELj4294967295EEENS1_25partition_config_selectorILNS1_17partition_subalgoE4EjNS0_10empty_typeEbEEZZNS1_14partition_implILS8_4ELb0ES6_15HIP_vector_typeIjLj2EENS0_17counting_iteratorIjlEEPS9_SG_NS0_5tupleIJPjSI_NS0_16reverse_iteratorISI_EEEEENSH_IJSG_SG_SG_EEES9_SI_JZNS1_25segmented_radix_sort_implINS0_14default_configELb1EPKiPiPKlPlN2at6native12_GLOBAL__N_18offset_tEEE10hipError_tPvRmT1_PNSt15iterator_traitsIS12_E10value_typeET2_T3_PNS13_IS18_E10value_typeET4_jRbjT5_S1E_jjP12ihipStream_tbEUljE_ZNSN_ISO_Lb1ESQ_SR_ST_SU_SY_EESZ_S10_S11_S12_S16_S17_S18_S1B_S1C_jS1D_jS1E_S1E_jjS1G_bEUljE0_EEESZ_S10_S11_S18_S1C_S1E_T6_T7_T9_mT8_S1G_bDpT10_ENKUlT_T0_E_clISt17integral_constantIbLb0EES1T_IbLb1EEEEDaS1P_S1Q_EUlS1P_E_NS1_11comp_targetILNS1_3genE10ELNS1_11target_archE1200ELNS1_3gpuE4ELNS1_3repE0EEENS1_30default_config_static_selectorELNS0_4arch9wavefront6targetE0EEEvS12_,@function
_ZN7rocprim17ROCPRIM_400000_NS6detail17trampoline_kernelINS0_13select_configILj256ELj13ELNS0_17block_load_methodE3ELS4_3ELS4_3ELNS0_20block_scan_algorithmE0ELj4294967295EEENS1_25partition_config_selectorILNS1_17partition_subalgoE4EjNS0_10empty_typeEbEEZZNS1_14partition_implILS8_4ELb0ES6_15HIP_vector_typeIjLj2EENS0_17counting_iteratorIjlEEPS9_SG_NS0_5tupleIJPjSI_NS0_16reverse_iteratorISI_EEEEENSH_IJSG_SG_SG_EEES9_SI_JZNS1_25segmented_radix_sort_implINS0_14default_configELb1EPKiPiPKlPlN2at6native12_GLOBAL__N_18offset_tEEE10hipError_tPvRmT1_PNSt15iterator_traitsIS12_E10value_typeET2_T3_PNS13_IS18_E10value_typeET4_jRbjT5_S1E_jjP12ihipStream_tbEUljE_ZNSN_ISO_Lb1ESQ_SR_ST_SU_SY_EESZ_S10_S11_S12_S16_S17_S18_S1B_S1C_jS1D_jS1E_S1E_jjS1G_bEUljE0_EEESZ_S10_S11_S18_S1C_S1E_T6_T7_T9_mT8_S1G_bDpT10_ENKUlT_T0_E_clISt17integral_constantIbLb0EES1T_IbLb1EEEEDaS1P_S1Q_EUlS1P_E_NS1_11comp_targetILNS1_3genE10ELNS1_11target_archE1200ELNS1_3gpuE4ELNS1_3repE0EEENS1_30default_config_static_selectorELNS0_4arch9wavefront6targetE0EEEvS12_: ; @_ZN7rocprim17ROCPRIM_400000_NS6detail17trampoline_kernelINS0_13select_configILj256ELj13ELNS0_17block_load_methodE3ELS4_3ELS4_3ELNS0_20block_scan_algorithmE0ELj4294967295EEENS1_25partition_config_selectorILNS1_17partition_subalgoE4EjNS0_10empty_typeEbEEZZNS1_14partition_implILS8_4ELb0ES6_15HIP_vector_typeIjLj2EENS0_17counting_iteratorIjlEEPS9_SG_NS0_5tupleIJPjSI_NS0_16reverse_iteratorISI_EEEEENSH_IJSG_SG_SG_EEES9_SI_JZNS1_25segmented_radix_sort_implINS0_14default_configELb1EPKiPiPKlPlN2at6native12_GLOBAL__N_18offset_tEEE10hipError_tPvRmT1_PNSt15iterator_traitsIS12_E10value_typeET2_T3_PNS13_IS18_E10value_typeET4_jRbjT5_S1E_jjP12ihipStream_tbEUljE_ZNSN_ISO_Lb1ESQ_SR_ST_SU_SY_EESZ_S10_S11_S12_S16_S17_S18_S1B_S1C_jS1D_jS1E_S1E_jjS1G_bEUljE0_EEESZ_S10_S11_S18_S1C_S1E_T6_T7_T9_mT8_S1G_bDpT10_ENKUlT_T0_E_clISt17integral_constantIbLb0EES1T_IbLb1EEEEDaS1P_S1Q_EUlS1P_E_NS1_11comp_targetILNS1_3genE10ELNS1_11target_archE1200ELNS1_3gpuE4ELNS1_3repE0EEENS1_30default_config_static_selectorELNS0_4arch9wavefront6targetE0EEEvS12_
; %bb.0:
	.section	.rodata,"a",@progbits
	.p2align	6, 0x0
	.amdhsa_kernel _ZN7rocprim17ROCPRIM_400000_NS6detail17trampoline_kernelINS0_13select_configILj256ELj13ELNS0_17block_load_methodE3ELS4_3ELS4_3ELNS0_20block_scan_algorithmE0ELj4294967295EEENS1_25partition_config_selectorILNS1_17partition_subalgoE4EjNS0_10empty_typeEbEEZZNS1_14partition_implILS8_4ELb0ES6_15HIP_vector_typeIjLj2EENS0_17counting_iteratorIjlEEPS9_SG_NS0_5tupleIJPjSI_NS0_16reverse_iteratorISI_EEEEENSH_IJSG_SG_SG_EEES9_SI_JZNS1_25segmented_radix_sort_implINS0_14default_configELb1EPKiPiPKlPlN2at6native12_GLOBAL__N_18offset_tEEE10hipError_tPvRmT1_PNSt15iterator_traitsIS12_E10value_typeET2_T3_PNS13_IS18_E10value_typeET4_jRbjT5_S1E_jjP12ihipStream_tbEUljE_ZNSN_ISO_Lb1ESQ_SR_ST_SU_SY_EESZ_S10_S11_S12_S16_S17_S18_S1B_S1C_jS1D_jS1E_S1E_jjS1G_bEUljE0_EEESZ_S10_S11_S18_S1C_S1E_T6_T7_T9_mT8_S1G_bDpT10_ENKUlT_T0_E_clISt17integral_constantIbLb0EES1T_IbLb1EEEEDaS1P_S1Q_EUlS1P_E_NS1_11comp_targetILNS1_3genE10ELNS1_11target_archE1200ELNS1_3gpuE4ELNS1_3repE0EEENS1_30default_config_static_selectorELNS0_4arch9wavefront6targetE0EEEvS12_
		.amdhsa_group_segment_fixed_size 0
		.amdhsa_private_segment_fixed_size 0
		.amdhsa_kernarg_size 184
		.amdhsa_user_sgpr_count 15
		.amdhsa_user_sgpr_dispatch_ptr 0
		.amdhsa_user_sgpr_queue_ptr 0
		.amdhsa_user_sgpr_kernarg_segment_ptr 1
		.amdhsa_user_sgpr_dispatch_id 0
		.amdhsa_user_sgpr_private_segment_size 0
		.amdhsa_wavefront_size32 1
		.amdhsa_uses_dynamic_stack 0
		.amdhsa_enable_private_segment 0
		.amdhsa_system_sgpr_workgroup_id_x 1
		.amdhsa_system_sgpr_workgroup_id_y 0
		.amdhsa_system_sgpr_workgroup_id_z 0
		.amdhsa_system_sgpr_workgroup_info 0
		.amdhsa_system_vgpr_workitem_id 0
		.amdhsa_next_free_vgpr 1
		.amdhsa_next_free_sgpr 1
		.amdhsa_reserve_vcc 0
		.amdhsa_float_round_mode_32 0
		.amdhsa_float_round_mode_16_64 0
		.amdhsa_float_denorm_mode_32 3
		.amdhsa_float_denorm_mode_16_64 3
		.amdhsa_dx10_clamp 1
		.amdhsa_ieee_mode 1
		.amdhsa_fp16_overflow 0
		.amdhsa_workgroup_processor_mode 1
		.amdhsa_memory_ordered 1
		.amdhsa_forward_progress 0
		.amdhsa_shared_vgpr_count 0
		.amdhsa_exception_fp_ieee_invalid_op 0
		.amdhsa_exception_fp_denorm_src 0
		.amdhsa_exception_fp_ieee_div_zero 0
		.amdhsa_exception_fp_ieee_overflow 0
		.amdhsa_exception_fp_ieee_underflow 0
		.amdhsa_exception_fp_ieee_inexact 0
		.amdhsa_exception_int_div_zero 0
	.end_amdhsa_kernel
	.section	.text._ZN7rocprim17ROCPRIM_400000_NS6detail17trampoline_kernelINS0_13select_configILj256ELj13ELNS0_17block_load_methodE3ELS4_3ELS4_3ELNS0_20block_scan_algorithmE0ELj4294967295EEENS1_25partition_config_selectorILNS1_17partition_subalgoE4EjNS0_10empty_typeEbEEZZNS1_14partition_implILS8_4ELb0ES6_15HIP_vector_typeIjLj2EENS0_17counting_iteratorIjlEEPS9_SG_NS0_5tupleIJPjSI_NS0_16reverse_iteratorISI_EEEEENSH_IJSG_SG_SG_EEES9_SI_JZNS1_25segmented_radix_sort_implINS0_14default_configELb1EPKiPiPKlPlN2at6native12_GLOBAL__N_18offset_tEEE10hipError_tPvRmT1_PNSt15iterator_traitsIS12_E10value_typeET2_T3_PNS13_IS18_E10value_typeET4_jRbjT5_S1E_jjP12ihipStream_tbEUljE_ZNSN_ISO_Lb1ESQ_SR_ST_SU_SY_EESZ_S10_S11_S12_S16_S17_S18_S1B_S1C_jS1D_jS1E_S1E_jjS1G_bEUljE0_EEESZ_S10_S11_S18_S1C_S1E_T6_T7_T9_mT8_S1G_bDpT10_ENKUlT_T0_E_clISt17integral_constantIbLb0EES1T_IbLb1EEEEDaS1P_S1Q_EUlS1P_E_NS1_11comp_targetILNS1_3genE10ELNS1_11target_archE1200ELNS1_3gpuE4ELNS1_3repE0EEENS1_30default_config_static_selectorELNS0_4arch9wavefront6targetE0EEEvS12_,"axG",@progbits,_ZN7rocprim17ROCPRIM_400000_NS6detail17trampoline_kernelINS0_13select_configILj256ELj13ELNS0_17block_load_methodE3ELS4_3ELS4_3ELNS0_20block_scan_algorithmE0ELj4294967295EEENS1_25partition_config_selectorILNS1_17partition_subalgoE4EjNS0_10empty_typeEbEEZZNS1_14partition_implILS8_4ELb0ES6_15HIP_vector_typeIjLj2EENS0_17counting_iteratorIjlEEPS9_SG_NS0_5tupleIJPjSI_NS0_16reverse_iteratorISI_EEEEENSH_IJSG_SG_SG_EEES9_SI_JZNS1_25segmented_radix_sort_implINS0_14default_configELb1EPKiPiPKlPlN2at6native12_GLOBAL__N_18offset_tEEE10hipError_tPvRmT1_PNSt15iterator_traitsIS12_E10value_typeET2_T3_PNS13_IS18_E10value_typeET4_jRbjT5_S1E_jjP12ihipStream_tbEUljE_ZNSN_ISO_Lb1ESQ_SR_ST_SU_SY_EESZ_S10_S11_S12_S16_S17_S18_S1B_S1C_jS1D_jS1E_S1E_jjS1G_bEUljE0_EEESZ_S10_S11_S18_S1C_S1E_T6_T7_T9_mT8_S1G_bDpT10_ENKUlT_T0_E_clISt17integral_constantIbLb0EES1T_IbLb1EEEEDaS1P_S1Q_EUlS1P_E_NS1_11comp_targetILNS1_3genE10ELNS1_11target_archE1200ELNS1_3gpuE4ELNS1_3repE0EEENS1_30default_config_static_selectorELNS0_4arch9wavefront6targetE0EEEvS12_,comdat
.Lfunc_end462:
	.size	_ZN7rocprim17ROCPRIM_400000_NS6detail17trampoline_kernelINS0_13select_configILj256ELj13ELNS0_17block_load_methodE3ELS4_3ELS4_3ELNS0_20block_scan_algorithmE0ELj4294967295EEENS1_25partition_config_selectorILNS1_17partition_subalgoE4EjNS0_10empty_typeEbEEZZNS1_14partition_implILS8_4ELb0ES6_15HIP_vector_typeIjLj2EENS0_17counting_iteratorIjlEEPS9_SG_NS0_5tupleIJPjSI_NS0_16reverse_iteratorISI_EEEEENSH_IJSG_SG_SG_EEES9_SI_JZNS1_25segmented_radix_sort_implINS0_14default_configELb1EPKiPiPKlPlN2at6native12_GLOBAL__N_18offset_tEEE10hipError_tPvRmT1_PNSt15iterator_traitsIS12_E10value_typeET2_T3_PNS13_IS18_E10value_typeET4_jRbjT5_S1E_jjP12ihipStream_tbEUljE_ZNSN_ISO_Lb1ESQ_SR_ST_SU_SY_EESZ_S10_S11_S12_S16_S17_S18_S1B_S1C_jS1D_jS1E_S1E_jjS1G_bEUljE0_EEESZ_S10_S11_S18_S1C_S1E_T6_T7_T9_mT8_S1G_bDpT10_ENKUlT_T0_E_clISt17integral_constantIbLb0EES1T_IbLb1EEEEDaS1P_S1Q_EUlS1P_E_NS1_11comp_targetILNS1_3genE10ELNS1_11target_archE1200ELNS1_3gpuE4ELNS1_3repE0EEENS1_30default_config_static_selectorELNS0_4arch9wavefront6targetE0EEEvS12_, .Lfunc_end462-_ZN7rocprim17ROCPRIM_400000_NS6detail17trampoline_kernelINS0_13select_configILj256ELj13ELNS0_17block_load_methodE3ELS4_3ELS4_3ELNS0_20block_scan_algorithmE0ELj4294967295EEENS1_25partition_config_selectorILNS1_17partition_subalgoE4EjNS0_10empty_typeEbEEZZNS1_14partition_implILS8_4ELb0ES6_15HIP_vector_typeIjLj2EENS0_17counting_iteratorIjlEEPS9_SG_NS0_5tupleIJPjSI_NS0_16reverse_iteratorISI_EEEEENSH_IJSG_SG_SG_EEES9_SI_JZNS1_25segmented_radix_sort_implINS0_14default_configELb1EPKiPiPKlPlN2at6native12_GLOBAL__N_18offset_tEEE10hipError_tPvRmT1_PNSt15iterator_traitsIS12_E10value_typeET2_T3_PNS13_IS18_E10value_typeET4_jRbjT5_S1E_jjP12ihipStream_tbEUljE_ZNSN_ISO_Lb1ESQ_SR_ST_SU_SY_EESZ_S10_S11_S12_S16_S17_S18_S1B_S1C_jS1D_jS1E_S1E_jjS1G_bEUljE0_EEESZ_S10_S11_S18_S1C_S1E_T6_T7_T9_mT8_S1G_bDpT10_ENKUlT_T0_E_clISt17integral_constantIbLb0EES1T_IbLb1EEEEDaS1P_S1Q_EUlS1P_E_NS1_11comp_targetILNS1_3genE10ELNS1_11target_archE1200ELNS1_3gpuE4ELNS1_3repE0EEENS1_30default_config_static_selectorELNS0_4arch9wavefront6targetE0EEEvS12_
                                        ; -- End function
	.section	.AMDGPU.csdata,"",@progbits
; Kernel info:
; codeLenInByte = 0
; NumSgprs: 0
; NumVgprs: 0
; ScratchSize: 0
; MemoryBound: 0
; FloatMode: 240
; IeeeMode: 1
; LDSByteSize: 0 bytes/workgroup (compile time only)
; SGPRBlocks: 0
; VGPRBlocks: 0
; NumSGPRsForWavesPerEU: 1
; NumVGPRsForWavesPerEU: 1
; Occupancy: 16
; WaveLimiterHint : 0
; COMPUTE_PGM_RSRC2:SCRATCH_EN: 0
; COMPUTE_PGM_RSRC2:USER_SGPR: 15
; COMPUTE_PGM_RSRC2:TRAP_HANDLER: 0
; COMPUTE_PGM_RSRC2:TGID_X_EN: 1
; COMPUTE_PGM_RSRC2:TGID_Y_EN: 0
; COMPUTE_PGM_RSRC2:TGID_Z_EN: 0
; COMPUTE_PGM_RSRC2:TIDIG_COMP_CNT: 0
	.section	.text._ZN7rocprim17ROCPRIM_400000_NS6detail17trampoline_kernelINS0_13select_configILj256ELj13ELNS0_17block_load_methodE3ELS4_3ELS4_3ELNS0_20block_scan_algorithmE0ELj4294967295EEENS1_25partition_config_selectorILNS1_17partition_subalgoE4EjNS0_10empty_typeEbEEZZNS1_14partition_implILS8_4ELb0ES6_15HIP_vector_typeIjLj2EENS0_17counting_iteratorIjlEEPS9_SG_NS0_5tupleIJPjSI_NS0_16reverse_iteratorISI_EEEEENSH_IJSG_SG_SG_EEES9_SI_JZNS1_25segmented_radix_sort_implINS0_14default_configELb1EPKiPiPKlPlN2at6native12_GLOBAL__N_18offset_tEEE10hipError_tPvRmT1_PNSt15iterator_traitsIS12_E10value_typeET2_T3_PNS13_IS18_E10value_typeET4_jRbjT5_S1E_jjP12ihipStream_tbEUljE_ZNSN_ISO_Lb1ESQ_SR_ST_SU_SY_EESZ_S10_S11_S12_S16_S17_S18_S1B_S1C_jS1D_jS1E_S1E_jjS1G_bEUljE0_EEESZ_S10_S11_S18_S1C_S1E_T6_T7_T9_mT8_S1G_bDpT10_ENKUlT_T0_E_clISt17integral_constantIbLb0EES1T_IbLb1EEEEDaS1P_S1Q_EUlS1P_E_NS1_11comp_targetILNS1_3genE9ELNS1_11target_archE1100ELNS1_3gpuE3ELNS1_3repE0EEENS1_30default_config_static_selectorELNS0_4arch9wavefront6targetE0EEEvS12_,"axG",@progbits,_ZN7rocprim17ROCPRIM_400000_NS6detail17trampoline_kernelINS0_13select_configILj256ELj13ELNS0_17block_load_methodE3ELS4_3ELS4_3ELNS0_20block_scan_algorithmE0ELj4294967295EEENS1_25partition_config_selectorILNS1_17partition_subalgoE4EjNS0_10empty_typeEbEEZZNS1_14partition_implILS8_4ELb0ES6_15HIP_vector_typeIjLj2EENS0_17counting_iteratorIjlEEPS9_SG_NS0_5tupleIJPjSI_NS0_16reverse_iteratorISI_EEEEENSH_IJSG_SG_SG_EEES9_SI_JZNS1_25segmented_radix_sort_implINS0_14default_configELb1EPKiPiPKlPlN2at6native12_GLOBAL__N_18offset_tEEE10hipError_tPvRmT1_PNSt15iterator_traitsIS12_E10value_typeET2_T3_PNS13_IS18_E10value_typeET4_jRbjT5_S1E_jjP12ihipStream_tbEUljE_ZNSN_ISO_Lb1ESQ_SR_ST_SU_SY_EESZ_S10_S11_S12_S16_S17_S18_S1B_S1C_jS1D_jS1E_S1E_jjS1G_bEUljE0_EEESZ_S10_S11_S18_S1C_S1E_T6_T7_T9_mT8_S1G_bDpT10_ENKUlT_T0_E_clISt17integral_constantIbLb0EES1T_IbLb1EEEEDaS1P_S1Q_EUlS1P_E_NS1_11comp_targetILNS1_3genE9ELNS1_11target_archE1100ELNS1_3gpuE3ELNS1_3repE0EEENS1_30default_config_static_selectorELNS0_4arch9wavefront6targetE0EEEvS12_,comdat
	.globl	_ZN7rocprim17ROCPRIM_400000_NS6detail17trampoline_kernelINS0_13select_configILj256ELj13ELNS0_17block_load_methodE3ELS4_3ELS4_3ELNS0_20block_scan_algorithmE0ELj4294967295EEENS1_25partition_config_selectorILNS1_17partition_subalgoE4EjNS0_10empty_typeEbEEZZNS1_14partition_implILS8_4ELb0ES6_15HIP_vector_typeIjLj2EENS0_17counting_iteratorIjlEEPS9_SG_NS0_5tupleIJPjSI_NS0_16reverse_iteratorISI_EEEEENSH_IJSG_SG_SG_EEES9_SI_JZNS1_25segmented_radix_sort_implINS0_14default_configELb1EPKiPiPKlPlN2at6native12_GLOBAL__N_18offset_tEEE10hipError_tPvRmT1_PNSt15iterator_traitsIS12_E10value_typeET2_T3_PNS13_IS18_E10value_typeET4_jRbjT5_S1E_jjP12ihipStream_tbEUljE_ZNSN_ISO_Lb1ESQ_SR_ST_SU_SY_EESZ_S10_S11_S12_S16_S17_S18_S1B_S1C_jS1D_jS1E_S1E_jjS1G_bEUljE0_EEESZ_S10_S11_S18_S1C_S1E_T6_T7_T9_mT8_S1G_bDpT10_ENKUlT_T0_E_clISt17integral_constantIbLb0EES1T_IbLb1EEEEDaS1P_S1Q_EUlS1P_E_NS1_11comp_targetILNS1_3genE9ELNS1_11target_archE1100ELNS1_3gpuE3ELNS1_3repE0EEENS1_30default_config_static_selectorELNS0_4arch9wavefront6targetE0EEEvS12_ ; -- Begin function _ZN7rocprim17ROCPRIM_400000_NS6detail17trampoline_kernelINS0_13select_configILj256ELj13ELNS0_17block_load_methodE3ELS4_3ELS4_3ELNS0_20block_scan_algorithmE0ELj4294967295EEENS1_25partition_config_selectorILNS1_17partition_subalgoE4EjNS0_10empty_typeEbEEZZNS1_14partition_implILS8_4ELb0ES6_15HIP_vector_typeIjLj2EENS0_17counting_iteratorIjlEEPS9_SG_NS0_5tupleIJPjSI_NS0_16reverse_iteratorISI_EEEEENSH_IJSG_SG_SG_EEES9_SI_JZNS1_25segmented_radix_sort_implINS0_14default_configELb1EPKiPiPKlPlN2at6native12_GLOBAL__N_18offset_tEEE10hipError_tPvRmT1_PNSt15iterator_traitsIS12_E10value_typeET2_T3_PNS13_IS18_E10value_typeET4_jRbjT5_S1E_jjP12ihipStream_tbEUljE_ZNSN_ISO_Lb1ESQ_SR_ST_SU_SY_EESZ_S10_S11_S12_S16_S17_S18_S1B_S1C_jS1D_jS1E_S1E_jjS1G_bEUljE0_EEESZ_S10_S11_S18_S1C_S1E_T6_T7_T9_mT8_S1G_bDpT10_ENKUlT_T0_E_clISt17integral_constantIbLb0EES1T_IbLb1EEEEDaS1P_S1Q_EUlS1P_E_NS1_11comp_targetILNS1_3genE9ELNS1_11target_archE1100ELNS1_3gpuE3ELNS1_3repE0EEENS1_30default_config_static_selectorELNS0_4arch9wavefront6targetE0EEEvS12_
	.p2align	8
	.type	_ZN7rocprim17ROCPRIM_400000_NS6detail17trampoline_kernelINS0_13select_configILj256ELj13ELNS0_17block_load_methodE3ELS4_3ELS4_3ELNS0_20block_scan_algorithmE0ELj4294967295EEENS1_25partition_config_selectorILNS1_17partition_subalgoE4EjNS0_10empty_typeEbEEZZNS1_14partition_implILS8_4ELb0ES6_15HIP_vector_typeIjLj2EENS0_17counting_iteratorIjlEEPS9_SG_NS0_5tupleIJPjSI_NS0_16reverse_iteratorISI_EEEEENSH_IJSG_SG_SG_EEES9_SI_JZNS1_25segmented_radix_sort_implINS0_14default_configELb1EPKiPiPKlPlN2at6native12_GLOBAL__N_18offset_tEEE10hipError_tPvRmT1_PNSt15iterator_traitsIS12_E10value_typeET2_T3_PNS13_IS18_E10value_typeET4_jRbjT5_S1E_jjP12ihipStream_tbEUljE_ZNSN_ISO_Lb1ESQ_SR_ST_SU_SY_EESZ_S10_S11_S12_S16_S17_S18_S1B_S1C_jS1D_jS1E_S1E_jjS1G_bEUljE0_EEESZ_S10_S11_S18_S1C_S1E_T6_T7_T9_mT8_S1G_bDpT10_ENKUlT_T0_E_clISt17integral_constantIbLb0EES1T_IbLb1EEEEDaS1P_S1Q_EUlS1P_E_NS1_11comp_targetILNS1_3genE9ELNS1_11target_archE1100ELNS1_3gpuE3ELNS1_3repE0EEENS1_30default_config_static_selectorELNS0_4arch9wavefront6targetE0EEEvS12_,@function
_ZN7rocprim17ROCPRIM_400000_NS6detail17trampoline_kernelINS0_13select_configILj256ELj13ELNS0_17block_load_methodE3ELS4_3ELS4_3ELNS0_20block_scan_algorithmE0ELj4294967295EEENS1_25partition_config_selectorILNS1_17partition_subalgoE4EjNS0_10empty_typeEbEEZZNS1_14partition_implILS8_4ELb0ES6_15HIP_vector_typeIjLj2EENS0_17counting_iteratorIjlEEPS9_SG_NS0_5tupleIJPjSI_NS0_16reverse_iteratorISI_EEEEENSH_IJSG_SG_SG_EEES9_SI_JZNS1_25segmented_radix_sort_implINS0_14default_configELb1EPKiPiPKlPlN2at6native12_GLOBAL__N_18offset_tEEE10hipError_tPvRmT1_PNSt15iterator_traitsIS12_E10value_typeET2_T3_PNS13_IS18_E10value_typeET4_jRbjT5_S1E_jjP12ihipStream_tbEUljE_ZNSN_ISO_Lb1ESQ_SR_ST_SU_SY_EESZ_S10_S11_S12_S16_S17_S18_S1B_S1C_jS1D_jS1E_S1E_jjS1G_bEUljE0_EEESZ_S10_S11_S18_S1C_S1E_T6_T7_T9_mT8_S1G_bDpT10_ENKUlT_T0_E_clISt17integral_constantIbLb0EES1T_IbLb1EEEEDaS1P_S1Q_EUlS1P_E_NS1_11comp_targetILNS1_3genE9ELNS1_11target_archE1100ELNS1_3gpuE3ELNS1_3repE0EEENS1_30default_config_static_selectorELNS0_4arch9wavefront6targetE0EEEvS12_: ; @_ZN7rocprim17ROCPRIM_400000_NS6detail17trampoline_kernelINS0_13select_configILj256ELj13ELNS0_17block_load_methodE3ELS4_3ELS4_3ELNS0_20block_scan_algorithmE0ELj4294967295EEENS1_25partition_config_selectorILNS1_17partition_subalgoE4EjNS0_10empty_typeEbEEZZNS1_14partition_implILS8_4ELb0ES6_15HIP_vector_typeIjLj2EENS0_17counting_iteratorIjlEEPS9_SG_NS0_5tupleIJPjSI_NS0_16reverse_iteratorISI_EEEEENSH_IJSG_SG_SG_EEES9_SI_JZNS1_25segmented_radix_sort_implINS0_14default_configELb1EPKiPiPKlPlN2at6native12_GLOBAL__N_18offset_tEEE10hipError_tPvRmT1_PNSt15iterator_traitsIS12_E10value_typeET2_T3_PNS13_IS18_E10value_typeET4_jRbjT5_S1E_jjP12ihipStream_tbEUljE_ZNSN_ISO_Lb1ESQ_SR_ST_SU_SY_EESZ_S10_S11_S12_S16_S17_S18_S1B_S1C_jS1D_jS1E_S1E_jjS1G_bEUljE0_EEESZ_S10_S11_S18_S1C_S1E_T6_T7_T9_mT8_S1G_bDpT10_ENKUlT_T0_E_clISt17integral_constantIbLb0EES1T_IbLb1EEEEDaS1P_S1Q_EUlS1P_E_NS1_11comp_targetILNS1_3genE9ELNS1_11target_archE1100ELNS1_3gpuE3ELNS1_3repE0EEENS1_30default_config_static_selectorELNS0_4arch9wavefront6targetE0EEEvS12_
; %bb.0:
	s_clause 0x7
	s_load_b64 s[34:35], s[0:1], 0x10
	s_load_b128 s[28:31], s[0:1], 0x28
	s_load_b64 s[14:15], s[0:1], 0x38
	s_load_b128 s[24:27], s[0:1], 0x58
	s_load_b64 s[4:5], s[0:1], 0x68
	s_load_b64 s[36:37], s[0:1], 0x78
	;; [unrolled: 1-line block ×3, first 2 shown]
	s_load_b256 s[16:23], s[0:1], 0x90
	v_cmp_eq_u32_e64 s2, 0, v0
	s_delay_alu instid0(VALU_DEP_1)
	s_and_saveexec_b32 s3, s2
	s_cbranch_execz .LBB463_4
; %bb.1:
	s_mov_b32 s7, exec_lo
	s_mov_b32 s6, exec_lo
	v_mbcnt_lo_u32_b32 v1, s7, 0
                                        ; implicit-def: $vgpr2
	s_delay_alu instid0(VALU_DEP_1)
	v_cmpx_eq_u32_e32 0, v1
	s_cbranch_execz .LBB463_3
; %bb.2:
	s_load_b64 s[8:9], s[0:1], 0x88
	s_bcnt1_i32_b32 s7, s7
	s_delay_alu instid0(SALU_CYCLE_1)
	v_dual_mov_b32 v2, 0 :: v_dual_mov_b32 v3, s7
	s_waitcnt lgkmcnt(0)
	global_atomic_add_u32 v2, v2, v3, s[8:9] glc
.LBB463_3:
	s_or_b32 exec_lo, exec_lo, s6
	s_waitcnt vmcnt(0)
	v_readfirstlane_b32 s6, v2
	s_delay_alu instid0(VALU_DEP_1)
	v_dual_mov_b32 v2, 0 :: v_dual_add_nc_u32 v1, s6, v1
	ds_store_b32 v2, v1
.LBB463_4:
	s_or_b32 exec_lo, exec_lo, s3
	v_mov_b32_e32 v1, 0
	s_clause 0x1
	s_load_b32 s3, s[0:1], 0x8
	s_load_b32 s0, s[0:1], 0x80
	s_waitcnt lgkmcnt(0)
	s_barrier
	buffer_gl0_inv
	ds_load_b32 v5, v1
	s_waitcnt lgkmcnt(0)
	s_barrier
	buffer_gl0_inv
	global_load_b128 v[1:4], v1, s[26:27]
	s_add_i32 s3, s3, s34
	s_mul_i32 s1, s0, 0xd00
	s_add_i32 s0, s0, -1
	s_add_u32 s6, s34, s1
	s_addc_u32 s7, s35, 0
	v_mul_lo_u32 v30, 0xd00, v5
	v_readfirstlane_b32 s26, v5
	v_cmp_lt_u64_e64 s5, s[6:7], s[4:5]
	v_cmp_ne_u32_e32 vcc_lo, s0, v5
	s_delay_alu instid0(VALU_DEP_3) | instskip(SKIP_1) | instid1(VALU_DEP_4)
	s_cmp_eq_u32 s26, s0
	s_cselect_b32 s13, -1, 0
	v_add3_u32 v5, v30, s3, v0
	s_delay_alu instid0(VALU_DEP_3) | instskip(SKIP_2) | instid1(VALU_DEP_1)
	s_or_b32 s0, s5, vcc_lo
	s_mov_b32 s3, -1
	s_and_b32 vcc_lo, exec_lo, s0
	v_add_nc_u32_e32 v6, 0x100, v5
	v_add_nc_u32_e32 v7, 0x200, v5
	;; [unrolled: 1-line block ×12, first 2 shown]
	s_cbranch_vccz .LBB463_6
; %bb.5:
	v_lshlrev_b32_e32 v18, 2, v0
	s_mov_b32 s3, 0
	ds_store_2addr_stride64_b32 v18, v5, v6 offset1:4
	ds_store_2addr_stride64_b32 v18, v7, v8 offset0:8 offset1:12
	ds_store_2addr_stride64_b32 v18, v9, v10 offset0:16 offset1:20
	;; [unrolled: 1-line block ×5, first 2 shown]
	ds_store_b32 v18, v17 offset:12288
	s_waitcnt vmcnt(0) lgkmcnt(0)
	s_barrier
.LBB463_6:
	s_and_not1_b32 vcc_lo, exec_lo, s3
	s_add_i32 s1, s1, s34
	s_cbranch_vccnz .LBB463_8
; %bb.7:
	v_lshlrev_b32_e32 v18, 2, v0
	ds_store_2addr_stride64_b32 v18, v5, v6 offset1:4
	ds_store_2addr_stride64_b32 v18, v7, v8 offset0:8 offset1:12
	ds_store_2addr_stride64_b32 v18, v9, v10 offset0:16 offset1:20
	ds_store_2addr_stride64_b32 v18, v11, v12 offset0:24 offset1:28
	ds_store_2addr_stride64_b32 v18, v13, v14 offset0:32 offset1:36
	ds_store_2addr_stride64_b32 v18, v15, v16 offset0:40 offset1:44
	ds_store_b32 v18, v17 offset:12288
	s_waitcnt vmcnt(0) lgkmcnt(0)
	s_barrier
.LBB463_8:
	v_mul_u32_u24_e32 v33, 13, v0
	s_waitcnt vmcnt(0)
	buffer_gl0_inv
	v_cndmask_b32_e64 v31, 0, 1, s0
	s_sub_i32 s40, s4, s1
	s_and_not1_b32 vcc_lo, exec_lo, s0
	v_lshlrev_b32_e32 v5, 2, v33
	ds_load_2addr_b32 v[20:21], v5 offset1:1
	ds_load_2addr_b32 v[18:19], v5 offset0:2 offset1:3
	ds_load_2addr_b32 v[16:17], v5 offset0:4 offset1:5
	;; [unrolled: 1-line block ×5, first 2 shown]
	ds_load_b32 v32, v5 offset:48
	s_waitcnt lgkmcnt(0)
	s_barrier
	buffer_gl0_inv
	s_cbranch_vccnz .LBB463_36
; %bb.9:
	v_add_nc_u32_e32 v5, s17, v20
	v_add_nc_u32_e32 v6, s19, v20
	s_mov_b32 s42, 0
	s_mov_b32 s41, 0
	s_mov_b32 s1, exec_lo
	v_mul_lo_u32 v5, v5, s16
	v_mul_lo_u32 v6, v6, s18
	s_delay_alu instid0(VALU_DEP_1) | instskip(NEXT) | instid1(VALU_DEP_1)
	v_sub_nc_u32_e32 v5, v5, v6
	v_cmp_lt_u32_e32 vcc_lo, s20, v5
	v_cmpx_ge_u32_e64 s20, v5
; %bb.10:
	v_add_nc_u32_e32 v5, s22, v20
	v_add_nc_u32_e32 v6, s38, v20
	s_delay_alu instid0(VALU_DEP_2) | instskip(NEXT) | instid1(VALU_DEP_2)
	v_mul_lo_u32 v5, v5, s21
	v_mul_lo_u32 v6, v6, s23
	s_delay_alu instid0(VALU_DEP_1) | instskip(NEXT) | instid1(VALU_DEP_1)
	v_sub_nc_u32_e32 v5, v5, v6
	v_cmp_lt_u32_e64 s0, s39, v5
	s_delay_alu instid0(VALU_DEP_1)
	s_and_b32 s41, s0, exec_lo
; %bb.11:
	s_or_b32 exec_lo, exec_lo, s1
	v_add_nc_u32_e32 v5, s17, v21
	v_add_nc_u32_e32 v6, s19, v21
	s_mov_b32 s3, exec_lo
	s_delay_alu instid0(VALU_DEP_2) | instskip(NEXT) | instid1(VALU_DEP_2)
	v_mul_lo_u32 v5, v5, s16
	v_mul_lo_u32 v6, v6, s18
	s_delay_alu instid0(VALU_DEP_1) | instskip(NEXT) | instid1(VALU_DEP_1)
	v_sub_nc_u32_e32 v5, v5, v6
	v_cmp_lt_u32_e64 s0, s20, v5
	v_cmpx_ge_u32_e64 s20, v5
; %bb.12:
	v_add_nc_u32_e32 v5, s22, v21
	v_add_nc_u32_e32 v6, s38, v21
	s_delay_alu instid0(VALU_DEP_2) | instskip(NEXT) | instid1(VALU_DEP_2)
	v_mul_lo_u32 v5, v5, s21
	v_mul_lo_u32 v6, v6, s23
	s_delay_alu instid0(VALU_DEP_1) | instskip(NEXT) | instid1(VALU_DEP_1)
	v_sub_nc_u32_e32 v5, v5, v6
	v_cmp_lt_u32_e64 s1, s39, v5
	s_delay_alu instid0(VALU_DEP_1)
	s_and_b32 s42, s1, exec_lo
; %bb.13:
	s_or_b32 exec_lo, exec_lo, s3
	v_add_nc_u32_e32 v5, s17, v18
	v_add_nc_u32_e32 v6, s19, v18
	s_mov_b32 s44, 0
	s_mov_b32 s43, 0
	s_mov_b32 s4, exec_lo
	v_mul_lo_u32 v5, v5, s16
	v_mul_lo_u32 v6, v6, s18
	s_delay_alu instid0(VALU_DEP_1) | instskip(NEXT) | instid1(VALU_DEP_1)
	v_sub_nc_u32_e32 v5, v5, v6
	v_cmp_lt_u32_e64 s1, s20, v5
	v_cmpx_ge_u32_e64 s20, v5
; %bb.14:
	v_add_nc_u32_e32 v5, s22, v18
	v_add_nc_u32_e32 v6, s38, v18
	s_delay_alu instid0(VALU_DEP_2) | instskip(NEXT) | instid1(VALU_DEP_2)
	v_mul_lo_u32 v5, v5, s21
	v_mul_lo_u32 v6, v6, s23
	s_delay_alu instid0(VALU_DEP_1) | instskip(NEXT) | instid1(VALU_DEP_1)
	v_sub_nc_u32_e32 v5, v5, v6
	v_cmp_lt_u32_e64 s3, s39, v5
	s_delay_alu instid0(VALU_DEP_1)
	s_and_b32 s43, s3, exec_lo
; %bb.15:
	s_or_b32 exec_lo, exec_lo, s4
	v_add_nc_u32_e32 v5, s17, v19
	v_add_nc_u32_e32 v6, s19, v19
	s_mov_b32 s5, exec_lo
	s_delay_alu instid0(VALU_DEP_2) | instskip(NEXT) | instid1(VALU_DEP_2)
	v_mul_lo_u32 v5, v5, s16
	v_mul_lo_u32 v6, v6, s18
	s_delay_alu instid0(VALU_DEP_1) | instskip(NEXT) | instid1(VALU_DEP_1)
	v_sub_nc_u32_e32 v5, v5, v6
	v_cmp_lt_u32_e64 s3, s20, v5
	v_cmpx_ge_u32_e64 s20, v5
; %bb.16:
	v_add_nc_u32_e32 v5, s22, v19
	v_add_nc_u32_e32 v6, s38, v19
	s_delay_alu instid0(VALU_DEP_2) | instskip(NEXT) | instid1(VALU_DEP_2)
	v_mul_lo_u32 v5, v5, s21
	v_mul_lo_u32 v6, v6, s23
	s_delay_alu instid0(VALU_DEP_1) | instskip(NEXT) | instid1(VALU_DEP_1)
	v_sub_nc_u32_e32 v5, v5, v6
	v_cmp_lt_u32_e64 s4, s39, v5
	s_delay_alu instid0(VALU_DEP_1)
	s_and_b32 s44, s4, exec_lo
; %bb.17:
	s_or_b32 exec_lo, exec_lo, s5
	v_add_nc_u32_e32 v5, s17, v16
	v_add_nc_u32_e32 v6, s19, v16
	s_mov_b32 s46, 0
	s_mov_b32 s45, 0
	s_mov_b32 s6, exec_lo
	v_mul_lo_u32 v5, v5, s16
	v_mul_lo_u32 v6, v6, s18
	s_delay_alu instid0(VALU_DEP_1) | instskip(NEXT) | instid1(VALU_DEP_1)
	v_sub_nc_u32_e32 v5, v5, v6
	v_cmp_lt_u32_e64 s4, s20, v5
	;; [unrolled: 47-line block ×5, first 2 shown]
	v_cmpx_ge_u32_e64 s20, v5
; %bb.30:
	v_add_nc_u32_e32 v5, s22, v10
	v_add_nc_u32_e32 v6, s38, v10
	s_delay_alu instid0(VALU_DEP_2) | instskip(NEXT) | instid1(VALU_DEP_2)
	v_mul_lo_u32 v5, v5, s21
	v_mul_lo_u32 v6, v6, s23
	s_delay_alu instid0(VALU_DEP_1) | instskip(NEXT) | instid1(VALU_DEP_1)
	v_sub_nc_u32_e32 v5, v5, v6
	v_cmp_lt_u32_e64 s11, s39, v5
	s_delay_alu instid0(VALU_DEP_1)
	s_and_b32 s53, s11, exec_lo
; %bb.31:
	s_or_b32 exec_lo, exec_lo, s12
	v_add_nc_u32_e32 v5, s17, v11
	v_add_nc_u32_e32 v6, s19, v11
	s_mov_b32 s27, exec_lo
	s_delay_alu instid0(VALU_DEP_2) | instskip(NEXT) | instid1(VALU_DEP_2)
	v_mul_lo_u32 v5, v5, s16
	v_mul_lo_u32 v6, v6, s18
	s_delay_alu instid0(VALU_DEP_1) | instskip(NEXT) | instid1(VALU_DEP_1)
	v_sub_nc_u32_e32 v5, v5, v6
	v_cmp_lt_u32_e64 s11, s20, v5
	v_cmpx_ge_u32_e64 s20, v5
; %bb.32:
	v_add_nc_u32_e32 v5, s22, v11
	v_add_nc_u32_e32 v6, s38, v11
	s_delay_alu instid0(VALU_DEP_2) | instskip(NEXT) | instid1(VALU_DEP_2)
	v_mul_lo_u32 v5, v5, s21
	v_mul_lo_u32 v6, v6, s23
	s_delay_alu instid0(VALU_DEP_1) | instskip(NEXT) | instid1(VALU_DEP_1)
	v_sub_nc_u32_e32 v5, v5, v6
	v_cmp_lt_u32_e64 s12, s39, v5
	s_delay_alu instid0(VALU_DEP_1)
	s_and_b32 s52, s12, exec_lo
; %bb.33:
	s_or_b32 exec_lo, exec_lo, s27
	v_add_nc_u32_e32 v5, s17, v32
	v_add_nc_u32_e32 v6, s19, v32
	s_mov_b32 s27, -1
	s_mov_b32 s49, 0
	s_mov_b32 s33, 0
	v_mul_lo_u32 v5, v5, s16
	v_mul_lo_u32 v6, v6, s18
	s_mov_b32 s54, exec_lo
	s_delay_alu instid0(VALU_DEP_1) | instskip(NEXT) | instid1(VALU_DEP_1)
	v_sub_nc_u32_e32 v5, v5, v6
	v_cmpx_ge_u32_e64 s20, v5
; %bb.34:
	v_add_nc_u32_e32 v5, s22, v32
	v_add_nc_u32_e32 v6, s38, v32
	s_xor_b32 s27, exec_lo, -1
	s_delay_alu instid0(VALU_DEP_2) | instskip(NEXT) | instid1(VALU_DEP_2)
	v_mul_lo_u32 v5, v5, s21
	v_mul_lo_u32 v6, v6, s23
	s_delay_alu instid0(VALU_DEP_1) | instskip(NEXT) | instid1(VALU_DEP_1)
	v_sub_nc_u32_e32 v5, v5, v6
	v_cmp_lt_u32_e64 s12, s39, v5
	s_delay_alu instid0(VALU_DEP_1)
	s_and_b32 s33, s12, exec_lo
; %bb.35:
	s_or_b32 exec_lo, exec_lo, s54
	v_cndmask_b32_e64 v53, 0, 1, s53
	v_cndmask_b32_e64 v56, 0, 1, s11
	;; [unrolled: 1-line block ×22, first 2 shown]
	v_cndmask_b32_e64 v34, 0, 1, vcc_lo
	v_cndmask_b32_e64 v57, 0, 1, s52
	s_and_b32 vcc_lo, exec_lo, s49
	s_add_i32 s4, s40, 0xd00
	s_cbranch_vccnz .LBB463_37
	s_branch .LBB463_90
.LBB463_36:
                                        ; implicit-def: $sgpr27
                                        ; implicit-def: $sgpr33
                                        ; implicit-def: $vgpr57
                                        ; implicit-def: $vgpr53
                                        ; implicit-def: $vgpr52
                                        ; implicit-def: $vgpr50
                                        ; implicit-def: $vgpr48
                                        ; implicit-def: $vgpr46
                                        ; implicit-def: $vgpr44
                                        ; implicit-def: $vgpr42
                                        ; implicit-def: $vgpr39
                                        ; implicit-def: $vgpr34
                                        ; implicit-def: $vgpr37
                                        ; implicit-def: $vgpr36
                                        ; implicit-def: $vgpr41
                                        ; implicit-def: $vgpr43
                                        ; implicit-def: $vgpr45
                                        ; implicit-def: $vgpr47
                                        ; implicit-def: $vgpr49
                                        ; implicit-def: $vgpr51
                                        ; implicit-def: $vgpr54
                                        ; implicit-def: $vgpr55
                                        ; implicit-def: $vgpr56
                                        ; implicit-def: $vgpr35
                                        ; implicit-def: $vgpr40
                                        ; implicit-def: $vgpr38
	s_add_i32 s4, s40, 0xd00
	s_cbranch_execz .LBB463_90
.LBB463_37:
	v_dual_mov_b32 v35, 0 :: v_dual_mov_b32 v34, 0
	s_mov_b32 s3, 0
	s_mov_b32 s1, exec_lo
	v_cmpx_gt_u32_e64 s4, v33
	s_cbranch_execz .LBB463_41
; %bb.38:
	v_add_nc_u32_e32 v5, s17, v20
	v_add_nc_u32_e32 v6, s19, v20
	s_mov_b32 s5, exec_lo
	s_delay_alu instid0(VALU_DEP_2) | instskip(NEXT) | instid1(VALU_DEP_2)
	v_mul_lo_u32 v5, v5, s16
	v_mul_lo_u32 v6, v6, s18
	s_delay_alu instid0(VALU_DEP_1) | instskip(NEXT) | instid1(VALU_DEP_1)
	v_sub_nc_u32_e32 v5, v5, v6
	v_cmp_lt_u32_e32 vcc_lo, s20, v5
	v_cmpx_ge_u32_e64 s20, v5
; %bb.39:
	v_add_nc_u32_e32 v5, s22, v20
	v_add_nc_u32_e32 v6, s38, v20
	s_delay_alu instid0(VALU_DEP_2) | instskip(NEXT) | instid1(VALU_DEP_2)
	v_mul_lo_u32 v5, v5, s21
	v_mul_lo_u32 v6, v6, s23
	s_delay_alu instid0(VALU_DEP_1) | instskip(NEXT) | instid1(VALU_DEP_1)
	v_sub_nc_u32_e32 v5, v5, v6
	v_cmp_lt_u32_e64 s0, s39, v5
	s_delay_alu instid0(VALU_DEP_1)
	s_and_b32 s3, s0, exec_lo
; %bb.40:
	s_or_b32 exec_lo, exec_lo, s5
	v_cndmask_b32_e64 v34, 0, 1, vcc_lo
	v_cndmask_b32_e64 v35, 0, 1, s3
.LBB463_41:
	s_or_b32 exec_lo, exec_lo, s1
	v_dual_mov_b32 v40, 0 :: v_dual_add_nc_u32 v5, 1, v33
	v_mov_b32_e32 v37, 0
	s_mov_b32 s3, 0
	s_mov_b32 s1, exec_lo
	s_delay_alu instid0(VALU_DEP_2)
	v_cmpx_gt_u32_e64 s4, v5
	s_cbranch_execz .LBB463_45
; %bb.42:
	v_add_nc_u32_e32 v5, s17, v21
	v_add_nc_u32_e32 v6, s19, v21
	s_mov_b32 s5, exec_lo
	s_delay_alu instid0(VALU_DEP_2) | instskip(NEXT) | instid1(VALU_DEP_2)
	v_mul_lo_u32 v5, v5, s16
	v_mul_lo_u32 v6, v6, s18
	s_delay_alu instid0(VALU_DEP_1) | instskip(NEXT) | instid1(VALU_DEP_1)
	v_sub_nc_u32_e32 v5, v5, v6
	v_cmp_lt_u32_e32 vcc_lo, s20, v5
	v_cmpx_ge_u32_e64 s20, v5
; %bb.43:
	v_add_nc_u32_e32 v5, s22, v21
	v_add_nc_u32_e32 v6, s38, v21
	s_delay_alu instid0(VALU_DEP_2) | instskip(NEXT) | instid1(VALU_DEP_2)
	v_mul_lo_u32 v5, v5, s21
	v_mul_lo_u32 v6, v6, s23
	s_delay_alu instid0(VALU_DEP_1) | instskip(NEXT) | instid1(VALU_DEP_1)
	v_sub_nc_u32_e32 v5, v5, v6
	v_cmp_lt_u32_e64 s0, s39, v5
	s_delay_alu instid0(VALU_DEP_1)
	s_and_b32 s3, s0, exec_lo
; %bb.44:
	s_or_b32 exec_lo, exec_lo, s5
	v_cndmask_b32_e64 v37, 0, 1, vcc_lo
	v_cndmask_b32_e64 v40, 0, 1, s3
.LBB463_45:
	s_or_b32 exec_lo, exec_lo, s1
	v_dual_mov_b32 v36, 0 :: v_dual_add_nc_u32 v5, 2, v33
	v_mov_b32_e32 v38, 0
	s_mov_b32 s3, 0
	s_mov_b32 s1, exec_lo
	s_delay_alu instid0(VALU_DEP_2)
	v_cmpx_gt_u32_e64 s4, v5
	s_cbranch_execz .LBB463_49
; %bb.46:
	v_add_nc_u32_e32 v5, s17, v18
	v_add_nc_u32_e32 v6, s19, v18
	s_mov_b32 s5, exec_lo
	s_delay_alu instid0(VALU_DEP_2) | instskip(NEXT) | instid1(VALU_DEP_2)
	v_mul_lo_u32 v5, v5, s16
	v_mul_lo_u32 v6, v6, s18
	s_delay_alu instid0(VALU_DEP_1) | instskip(NEXT) | instid1(VALU_DEP_1)
	v_sub_nc_u32_e32 v5, v5, v6
	v_cmp_lt_u32_e32 vcc_lo, s20, v5
	v_cmpx_ge_u32_e64 s20, v5
; %bb.47:
	v_add_nc_u32_e32 v5, s22, v18
	v_add_nc_u32_e32 v6, s38, v18
	s_delay_alu instid0(VALU_DEP_2) | instskip(NEXT) | instid1(VALU_DEP_2)
	v_mul_lo_u32 v5, v5, s21
	v_mul_lo_u32 v6, v6, s23
	s_delay_alu instid0(VALU_DEP_1) | instskip(NEXT) | instid1(VALU_DEP_1)
	v_sub_nc_u32_e32 v5, v5, v6
	v_cmp_lt_u32_e64 s0, s39, v5
	s_delay_alu instid0(VALU_DEP_1)
	s_and_b32 s3, s0, exec_lo
; %bb.48:
	s_or_b32 exec_lo, exec_lo, s5
	v_cndmask_b32_e64 v36, 0, 1, vcc_lo
	v_cndmask_b32_e64 v38, 0, 1, s3
.LBB463_49:
	s_or_b32 exec_lo, exec_lo, s1
	v_add_nc_u32_e32 v5, 3, v33
	v_mov_b32_e32 v39, 0
	v_mov_b32_e32 v41, 0
	s_mov_b32 s3, 0
	s_mov_b32 s1, exec_lo
	v_cmpx_gt_u32_e64 s4, v5
	s_cbranch_execz .LBB463_53
; %bb.50:
	v_add_nc_u32_e32 v5, s17, v19
	v_add_nc_u32_e32 v6, s19, v19
	s_mov_b32 s5, exec_lo
	s_delay_alu instid0(VALU_DEP_2) | instskip(NEXT) | instid1(VALU_DEP_2)
	v_mul_lo_u32 v5, v5, s16
	v_mul_lo_u32 v6, v6, s18
	s_delay_alu instid0(VALU_DEP_1) | instskip(NEXT) | instid1(VALU_DEP_1)
	v_sub_nc_u32_e32 v5, v5, v6
	v_cmp_lt_u32_e32 vcc_lo, s20, v5
	v_cmpx_ge_u32_e64 s20, v5
; %bb.51:
	v_add_nc_u32_e32 v5, s22, v19
	v_add_nc_u32_e32 v6, s38, v19
	s_delay_alu instid0(VALU_DEP_2) | instskip(NEXT) | instid1(VALU_DEP_2)
	v_mul_lo_u32 v5, v5, s21
	v_mul_lo_u32 v6, v6, s23
	s_delay_alu instid0(VALU_DEP_1) | instskip(NEXT) | instid1(VALU_DEP_1)
	v_sub_nc_u32_e32 v5, v5, v6
	v_cmp_lt_u32_e64 s0, s39, v5
	s_delay_alu instid0(VALU_DEP_1)
	s_and_b32 s3, s0, exec_lo
; %bb.52:
	s_or_b32 exec_lo, exec_lo, s5
	v_cndmask_b32_e64 v41, 0, 1, vcc_lo
	v_cndmask_b32_e64 v39, 0, 1, s3
.LBB463_53:
	s_or_b32 exec_lo, exec_lo, s1
	v_dual_mov_b32 v42, 0 :: v_dual_add_nc_u32 v5, 4, v33
	v_mov_b32_e32 v43, 0
	s_mov_b32 s3, 0
	s_mov_b32 s1, exec_lo
	s_delay_alu instid0(VALU_DEP_2)
	v_cmpx_gt_u32_e64 s4, v5
	s_cbranch_execz .LBB463_57
; %bb.54:
	v_add_nc_u32_e32 v5, s17, v16
	v_add_nc_u32_e32 v6, s19, v16
	s_mov_b32 s5, exec_lo
	s_delay_alu instid0(VALU_DEP_2) | instskip(NEXT) | instid1(VALU_DEP_2)
	v_mul_lo_u32 v5, v5, s16
	v_mul_lo_u32 v6, v6, s18
	s_delay_alu instid0(VALU_DEP_1) | instskip(NEXT) | instid1(VALU_DEP_1)
	v_sub_nc_u32_e32 v5, v5, v6
	v_cmp_lt_u32_e32 vcc_lo, s20, v5
	v_cmpx_ge_u32_e64 s20, v5
; %bb.55:
	v_add_nc_u32_e32 v5, s22, v16
	v_add_nc_u32_e32 v6, s38, v16
	s_delay_alu instid0(VALU_DEP_2) | instskip(NEXT) | instid1(VALU_DEP_2)
	v_mul_lo_u32 v5, v5, s21
	v_mul_lo_u32 v6, v6, s23
	s_delay_alu instid0(VALU_DEP_1) | instskip(NEXT) | instid1(VALU_DEP_1)
	v_sub_nc_u32_e32 v5, v5, v6
	v_cmp_lt_u32_e64 s0, s39, v5
	s_delay_alu instid0(VALU_DEP_1)
	s_and_b32 s3, s0, exec_lo
; %bb.56:
	s_or_b32 exec_lo, exec_lo, s5
	v_cndmask_b32_e64 v43, 0, 1, vcc_lo
	v_cndmask_b32_e64 v42, 0, 1, s3
.LBB463_57:
	s_or_b32 exec_lo, exec_lo, s1
	v_dual_mov_b32 v44, 0 :: v_dual_add_nc_u32 v5, 5, v33
	v_mov_b32_e32 v45, 0
	s_mov_b32 s3, 0
	s_mov_b32 s1, exec_lo
	s_delay_alu instid0(VALU_DEP_2)
	;; [unrolled: 35-line block ×6, first 2 shown]
	v_cmpx_gt_u32_e64 s4, v5
	s_cbranch_execz .LBB463_77
; %bb.74:
	v_add_nc_u32_e32 v5, s17, v13
	v_add_nc_u32_e32 v6, s19, v13
	s_mov_b32 s5, exec_lo
	s_delay_alu instid0(VALU_DEP_2) | instskip(NEXT) | instid1(VALU_DEP_2)
	v_mul_lo_u32 v5, v5, s16
	v_mul_lo_u32 v6, v6, s18
	s_delay_alu instid0(VALU_DEP_1) | instskip(NEXT) | instid1(VALU_DEP_1)
	v_sub_nc_u32_e32 v5, v5, v6
	v_cmp_lt_u32_e32 vcc_lo, s20, v5
	v_cmpx_ge_u32_e64 s20, v5
; %bb.75:
	v_add_nc_u32_e32 v5, s22, v13
	v_add_nc_u32_e32 v6, s38, v13
	s_delay_alu instid0(VALU_DEP_2) | instskip(NEXT) | instid1(VALU_DEP_2)
	v_mul_lo_u32 v5, v5, s21
	v_mul_lo_u32 v6, v6, s23
	s_delay_alu instid0(VALU_DEP_1) | instskip(NEXT) | instid1(VALU_DEP_1)
	v_sub_nc_u32_e32 v5, v5, v6
	v_cmp_lt_u32_e64 s0, s39, v5
	s_delay_alu instid0(VALU_DEP_1)
	s_and_b32 s3, s0, exec_lo
; %bb.76:
	s_or_b32 exec_lo, exec_lo, s5
	v_cndmask_b32_e64 v54, 0, 1, vcc_lo
	v_cndmask_b32_e64 v52, 0, 1, s3
.LBB463_77:
	s_or_b32 exec_lo, exec_lo, s1
	v_add_nc_u32_e32 v5, 10, v33
	v_mov_b32_e32 v53, 0
	v_mov_b32_e32 v55, 0
	s_mov_b32 s3, 0
	s_mov_b32 s1, exec_lo
	v_cmpx_gt_u32_e64 s4, v5
	s_cbranch_execz .LBB463_81
; %bb.78:
	v_add_nc_u32_e32 v5, s17, v10
	v_add_nc_u32_e32 v6, s19, v10
	s_mov_b32 s5, exec_lo
	s_delay_alu instid0(VALU_DEP_2) | instskip(NEXT) | instid1(VALU_DEP_2)
	v_mul_lo_u32 v5, v5, s16
	v_mul_lo_u32 v6, v6, s18
	s_delay_alu instid0(VALU_DEP_1) | instskip(NEXT) | instid1(VALU_DEP_1)
	v_sub_nc_u32_e32 v5, v5, v6
	v_cmp_lt_u32_e32 vcc_lo, s20, v5
	v_cmpx_ge_u32_e64 s20, v5
; %bb.79:
	v_add_nc_u32_e32 v5, s22, v10
	v_add_nc_u32_e32 v6, s38, v10
	s_delay_alu instid0(VALU_DEP_2) | instskip(NEXT) | instid1(VALU_DEP_2)
	v_mul_lo_u32 v5, v5, s21
	v_mul_lo_u32 v6, v6, s23
	s_delay_alu instid0(VALU_DEP_1) | instskip(NEXT) | instid1(VALU_DEP_1)
	v_sub_nc_u32_e32 v5, v5, v6
	v_cmp_lt_u32_e64 s0, s39, v5
	s_delay_alu instid0(VALU_DEP_1)
	s_and_b32 s3, s0, exec_lo
; %bb.80:
	s_or_b32 exec_lo, exec_lo, s5
	v_cndmask_b32_e64 v55, 0, 1, vcc_lo
	v_cndmask_b32_e64 v53, 0, 1, s3
.LBB463_81:
	s_or_b32 exec_lo, exec_lo, s1
	v_dual_mov_b32 v56, 0 :: v_dual_add_nc_u32 v5, 11, v33
	v_mov_b32_e32 v57, 0
	s_mov_b32 s3, 0
	s_mov_b32 s1, exec_lo
	s_delay_alu instid0(VALU_DEP_2)
	v_cmpx_gt_u32_e64 s4, v5
	s_cbranch_execz .LBB463_85
; %bb.82:
	v_add_nc_u32_e32 v5, s17, v11
	v_add_nc_u32_e32 v6, s19, v11
	s_mov_b32 s5, exec_lo
	s_delay_alu instid0(VALU_DEP_2) | instskip(NEXT) | instid1(VALU_DEP_2)
	v_mul_lo_u32 v5, v5, s16
	v_mul_lo_u32 v6, v6, s18
	s_delay_alu instid0(VALU_DEP_1) | instskip(NEXT) | instid1(VALU_DEP_1)
	v_sub_nc_u32_e32 v5, v5, v6
	v_cmp_lt_u32_e32 vcc_lo, s20, v5
	v_cmpx_ge_u32_e64 s20, v5
; %bb.83:
	v_add_nc_u32_e32 v5, s22, v11
	v_add_nc_u32_e32 v6, s38, v11
	s_delay_alu instid0(VALU_DEP_2) | instskip(NEXT) | instid1(VALU_DEP_2)
	v_mul_lo_u32 v5, v5, s21
	v_mul_lo_u32 v6, v6, s23
	s_delay_alu instid0(VALU_DEP_1) | instskip(NEXT) | instid1(VALU_DEP_1)
	v_sub_nc_u32_e32 v5, v5, v6
	v_cmp_lt_u32_e64 s0, s39, v5
	s_delay_alu instid0(VALU_DEP_1)
	s_and_b32 s3, s0, exec_lo
; %bb.84:
	s_or_b32 exec_lo, exec_lo, s5
	v_cndmask_b32_e64 v56, 0, 1, vcc_lo
	v_cndmask_b32_e64 v57, 0, 1, s3
.LBB463_85:
	s_or_b32 exec_lo, exec_lo, s1
	v_add_nc_u32_e32 v5, 12, v33
	s_mov_b32 s27, 0
	s_mov_b32 s33, 0
	s_mov_b32 s0, exec_lo
	s_delay_alu instid0(VALU_DEP_1)
	v_cmpx_gt_u32_e64 s4, v5
	s_cbranch_execz .LBB463_89
; %bb.86:
	v_add_nc_u32_e32 v5, s17, v32
	v_add_nc_u32_e32 v6, s19, v32
	s_mov_b32 s3, -1
	s_mov_b32 s5, 0
	s_mov_b32 s1, exec_lo
	v_mul_lo_u32 v5, v5, s16
	v_mul_lo_u32 v6, v6, s18
	s_delay_alu instid0(VALU_DEP_1) | instskip(NEXT) | instid1(VALU_DEP_1)
	v_sub_nc_u32_e32 v5, v5, v6
	v_cmpx_ge_u32_e64 s20, v5
; %bb.87:
	v_add_nc_u32_e32 v5, s22, v32
	v_add_nc_u32_e32 v6, s38, v32
	s_xor_b32 s3, exec_lo, -1
	s_delay_alu instid0(VALU_DEP_2) | instskip(NEXT) | instid1(VALU_DEP_2)
	v_mul_lo_u32 v5, v5, s21
	v_mul_lo_u32 v6, v6, s23
	s_delay_alu instid0(VALU_DEP_1) | instskip(NEXT) | instid1(VALU_DEP_1)
	v_sub_nc_u32_e32 v5, v5, v6
	v_cmp_lt_u32_e32 vcc_lo, s39, v5
	s_and_b32 s5, vcc_lo, exec_lo
; %bb.88:
	s_or_b32 exec_lo, exec_lo, s1
	s_delay_alu instid0(SALU_CYCLE_1)
	s_and_b32 s33, s5, exec_lo
	s_and_b32 s27, s3, exec_lo
.LBB463_89:
	s_or_b32 exec_lo, exec_lo, s0
.LBB463_90:
	v_and_b32_e32 v80, 0xff, v34
	v_and_b32_e32 v81, 0xff, v35
	;; [unrolled: 1-line block ×10, first 2 shown]
	v_add3_u32 v5, v76, v78, v80
	v_add3_u32 v6, v77, v79, v81
	v_and_b32_e32 v70, 0xff, v45
	v_and_b32_e32 v71, 0xff, v44
	v_and_b32_e32 v64, 0xff, v47
	v_and_b32_e32 v65, 0xff, v46
	v_add3_u32 v5, v5, v74, v72
	v_add3_u32 v6, v6, v75, v73
	v_and_b32_e32 v68, 0xff, v49
	v_and_b32_e32 v69, 0xff, v48
	v_and_b32_e32 v66, 0xff, v51
	v_and_b32_e32 v67, 0xff, v50
	;; [unrolled: 6-line block ×3, first 2 shown]
	v_add3_u32 v5, v5, v68, v66
	v_add3_u32 v6, v6, v69, v67
	v_mbcnt_lo_u32_b32 v82, -1, 0
	v_and_b32_e32 v58, 0xff, v56
	v_and_b32_e32 v59, 0xff, v57
	v_cndmask_b32_e64 v7, 0, 1, s33
	v_add3_u32 v5, v5, v61, v60
	v_cndmask_b32_e64 v8, 0, 1, s27
	v_add3_u32 v6, v6, v62, v63
	v_and_b32_e32 v86, 15, v82
	v_and_b32_e32 v85, 16, v82
	v_lshrrev_b32_e32 v83, 5, v0
	v_add3_u32 v87, v5, v58, v8
	v_add3_u32 v88, v6, v59, v7
	v_cmp_eq_u32_e64 s1, 0, v86
	v_cmp_lt_u32_e64 s0, 1, v86
	v_cmp_lt_u32_e64 s3, 3, v86
	v_cmp_lt_u32_e32 vcc_lo, 7, v86
	v_or_b32_e32 v84, 31, v0
	s_cmp_lg_u32 s26, 0
	s_mov_b32 s5, -1
	s_cbranch_scc0 .LBB463_118
; %bb.91:
	v_mov_b32_dpp v5, v88 row_shr:1 row_mask:0xf bank_mask:0xf
	v_mov_b32_dpp v6, v87 row_shr:1 row_mask:0xf bank_mask:0xf
	s_delay_alu instid0(VALU_DEP_2) | instskip(NEXT) | instid1(VALU_DEP_2)
	v_add_nc_u32_e32 v5, v5, v88
	v_add_nc_u32_e32 v6, v6, v87
	s_delay_alu instid0(VALU_DEP_2) | instskip(NEXT) | instid1(VALU_DEP_2)
	v_cndmask_b32_e64 v5, v5, v88, s1
	v_cndmask_b32_e64 v6, v6, v87, s1
	s_delay_alu instid0(VALU_DEP_2) | instskip(NEXT) | instid1(VALU_DEP_2)
	v_mov_b32_dpp v7, v5 row_shr:2 row_mask:0xf bank_mask:0xf
	v_mov_b32_dpp v8, v6 row_shr:2 row_mask:0xf bank_mask:0xf
	s_delay_alu instid0(VALU_DEP_2) | instskip(NEXT) | instid1(VALU_DEP_1)
	v_add_nc_u32_e32 v7, v5, v7
	v_cndmask_b32_e64 v5, v5, v7, s0
	s_delay_alu instid0(VALU_DEP_1) | instskip(NEXT) | instid1(VALU_DEP_1)
	v_mov_b32_dpp v7, v5 row_shr:4 row_mask:0xf bank_mask:0xf
	v_add_nc_u32_e32 v7, v5, v7
	s_delay_alu instid0(VALU_DEP_1) | instskip(NEXT) | instid1(VALU_DEP_1)
	v_cndmask_b32_e64 v5, v5, v7, s3
	v_mov_b32_dpp v7, v5 row_shr:8 row_mask:0xf bank_mask:0xf
	s_delay_alu instid0(VALU_DEP_1) | instskip(NEXT) | instid1(VALU_DEP_1)
	v_add_nc_u32_e32 v7, v5, v7
	v_dual_cndmask_b32 v5, v5, v7 :: v_dual_add_nc_u32 v8, v6, v8
	s_delay_alu instid0(VALU_DEP_1) | instskip(NEXT) | instid1(VALU_DEP_1)
	v_cndmask_b32_e64 v6, v6, v8, s0
	v_mov_b32_dpp v8, v6 row_shr:4 row_mask:0xf bank_mask:0xf
	s_delay_alu instid0(VALU_DEP_1) | instskip(NEXT) | instid1(VALU_DEP_1)
	v_add_nc_u32_e32 v8, v6, v8
	v_cndmask_b32_e64 v6, v6, v8, s3
	s_mov_b32 s3, exec_lo
	s_delay_alu instid0(VALU_DEP_1) | instskip(NEXT) | instid1(VALU_DEP_1)
	v_mov_b32_dpp v8, v6 row_shr:8 row_mask:0xf bank_mask:0xf
	v_add_nc_u32_e32 v8, v6, v8
	s_delay_alu instid0(VALU_DEP_1)
	v_cndmask_b32_e32 v7, v6, v8, vcc_lo
	ds_swizzle_b32 v6, v5 offset:swizzle(BROADCAST,32,15)
	v_cmp_eq_u32_e32 vcc_lo, 0, v85
	s_waitcnt lgkmcnt(0)
	v_add_nc_u32_e32 v6, v5, v6
	ds_swizzle_b32 v8, v7 offset:swizzle(BROADCAST,32,15)
	v_cndmask_b32_e32 v6, v6, v5, vcc_lo
	s_waitcnt lgkmcnt(0)
	v_add_nc_u32_e32 v8, v7, v8
	s_delay_alu instid0(VALU_DEP_1)
	v_cndmask_b32_e32 v5, v8, v7, vcc_lo
	v_cmpx_eq_u32_e64 v84, v0
	s_cbranch_execz .LBB463_93
; %bb.92:
	v_lshlrev_b32_e32 v7, 3, v83
	ds_store_b64 v7, v[5:6]
.LBB463_93:
	s_or_b32 exec_lo, exec_lo, s3
	s_delay_alu instid0(SALU_CYCLE_1)
	s_mov_b32 s3, exec_lo
	s_waitcnt lgkmcnt(0)
	s_barrier
	buffer_gl0_inv
	v_cmpx_gt_u32_e32 8, v0
	s_cbranch_execz .LBB463_95
; %bb.94:
	v_lshlrev_b32_e32 v9, 3, v0
	ds_load_b64 v[7:8], v9
	s_waitcnt lgkmcnt(0)
	v_mov_b32_dpp v22, v7 row_shr:1 row_mask:0xf bank_mask:0xf
	v_mov_b32_dpp v23, v8 row_shr:1 row_mask:0xf bank_mask:0xf
	s_delay_alu instid0(VALU_DEP_2) | instskip(SKIP_1) | instid1(VALU_DEP_3)
	v_add_nc_u32_e32 v22, v22, v7
	v_and_b32_e32 v24, 7, v82
	v_add_nc_u32_e32 v23, v23, v8
	s_delay_alu instid0(VALU_DEP_2) | instskip(NEXT) | instid1(VALU_DEP_2)
	v_cmp_eq_u32_e32 vcc_lo, 0, v24
	v_dual_cndmask_b32 v8, v23, v8 :: v_dual_cndmask_b32 v7, v22, v7
	v_cmp_lt_u32_e32 vcc_lo, 1, v24
	s_delay_alu instid0(VALU_DEP_2) | instskip(NEXT) | instid1(VALU_DEP_3)
	v_mov_b32_dpp v23, v8 row_shr:2 row_mask:0xf bank_mask:0xf
	v_mov_b32_dpp v22, v7 row_shr:2 row_mask:0xf bank_mask:0xf
	s_delay_alu instid0(VALU_DEP_2) | instskip(NEXT) | instid1(VALU_DEP_2)
	v_add_nc_u32_e32 v23, v8, v23
	v_add_nc_u32_e32 v22, v7, v22
	s_delay_alu instid0(VALU_DEP_1) | instskip(SKIP_1) | instid1(VALU_DEP_2)
	v_dual_cndmask_b32 v8, v8, v23 :: v_dual_cndmask_b32 v7, v7, v22
	v_cmp_lt_u32_e32 vcc_lo, 3, v24
	v_mov_b32_dpp v23, v8 row_shr:4 row_mask:0xf bank_mask:0xf
	s_delay_alu instid0(VALU_DEP_3) | instskip(NEXT) | instid1(VALU_DEP_1)
	v_mov_b32_dpp v22, v7 row_shr:4 row_mask:0xf bank_mask:0xf
	v_dual_cndmask_b32 v23, 0, v23 :: v_dual_cndmask_b32 v22, 0, v22
	s_delay_alu instid0(VALU_DEP_1) | instskip(NEXT) | instid1(VALU_DEP_2)
	v_add_nc_u32_e32 v8, v23, v8
	v_add_nc_u32_e32 v7, v22, v7
	ds_store_b64 v9, v[7:8]
.LBB463_95:
	s_or_b32 exec_lo, exec_lo, s3
	v_cmp_gt_u32_e32 vcc_lo, 32, v0
	v_cmp_lt_u32_e64 s3, 31, v0
	s_waitcnt lgkmcnt(0)
	s_barrier
	buffer_gl0_inv
                                        ; implicit-def: $vgpr23
	s_and_saveexec_b32 s5, s3
	s_delay_alu instid0(SALU_CYCLE_1)
	s_xor_b32 s3, exec_lo, s5
	s_cbranch_execz .LBB463_97
; %bb.96:
	v_lshl_add_u32 v7, v83, 3, -8
	ds_load_b64 v[22:23], v7
	s_waitcnt lgkmcnt(0)
	v_add_nc_u32_e32 v6, v23, v6
	v_add_nc_u32_e32 v5, v22, v5
.LBB463_97:
	s_and_not1_saveexec_b32 s3, s3
; %bb.98:
                                        ; implicit-def: $vgpr22
; %bb.99:
	s_delay_alu instid0(SALU_CYCLE_1) | instskip(SKIP_1) | instid1(VALU_DEP_1)
	s_or_b32 exec_lo, exec_lo, s3
	v_add_nc_u32_e32 v7, -1, v82
	v_cmp_gt_i32_e64 s3, 0, v7
	s_delay_alu instid0(VALU_DEP_1) | instskip(SKIP_1) | instid1(VALU_DEP_2)
	v_cndmask_b32_e64 v7, v7, v82, s3
	v_cmp_eq_u32_e64 s3, 0, v82
	v_lshlrev_b32_e32 v7, 2, v7
	ds_bpermute_b32 v89, v7, v5
	ds_bpermute_b32 v90, v7, v6
	s_and_saveexec_b32 s5, vcc_lo
	s_cbranch_execz .LBB463_117
; %bb.100:
	v_mov_b32_e32 v8, 0
	ds_load_b64 v[5:6], v8 offset:56
	s_waitcnt lgkmcnt(0)
	v_readfirstlane_b32 s6, v6
	s_and_saveexec_b32 s7, s3
	s_cbranch_execz .LBB463_102
; %bb.101:
	s_add_i32 s8, s26, 32
	s_mov_b32 s9, 0
	v_mov_b32_e32 v7, 1
	s_lshl_b64 s[10:11], s[8:9], 4
	s_mov_b32 s16, s9
	s_add_u32 s10, s36, s10
	s_addc_u32 s11, s37, s11
	s_and_b32 s17, s6, 0xff000000
	s_and_b32 s19, s6, 0xff0000
	s_mov_b32 s18, s9
	v_dual_mov_b32 v25, s11 :: v_dual_mov_b32 v24, s10
	s_or_b64 s[16:17], s[18:19], s[16:17]
	s_and_b32 s19, s6, 0xff00
	s_delay_alu instid0(SALU_CYCLE_1) | instskip(SKIP_1) | instid1(SALU_CYCLE_1)
	s_or_b64 s[16:17], s[16:17], s[18:19]
	s_and_b32 s19, s6, 0xff
	s_or_b64 s[8:9], s[16:17], s[18:19]
	s_delay_alu instid0(SALU_CYCLE_1)
	v_mov_b32_e32 v6, s9
	;;#ASMSTART
	global_store_dwordx4 v[24:25], v[5:8] off	
s_waitcnt vmcnt(0)
	;;#ASMEND
.LBB463_102:
	s_or_b32 exec_lo, exec_lo, s7
	v_xad_u32 v24, v82, -1, s26
	s_mov_b32 s8, 0
	s_mov_b32 s7, exec_lo
	s_delay_alu instid0(VALU_DEP_1) | instskip(NEXT) | instid1(VALU_DEP_1)
	v_add_nc_u32_e32 v7, 32, v24
	v_lshlrev_b64 v[6:7], 4, v[7:8]
	s_delay_alu instid0(VALU_DEP_1) | instskip(NEXT) | instid1(VALU_DEP_2)
	v_add_co_u32 v25, vcc_lo, s36, v6
	v_add_co_ci_u32_e32 v26, vcc_lo, s37, v7, vcc_lo
	;;#ASMSTART
	global_load_dwordx4 v[6:9], v[25:26] off glc	
s_waitcnt vmcnt(0)
	;;#ASMEND
	v_and_b32_e32 v9, 0xff, v7
	v_and_b32_e32 v27, 0xff00, v7
	v_or3_b32 v6, v6, 0, 0
	v_and_b32_e32 v28, 0xff000000, v7
	v_and_b32_e32 v7, 0xff0000, v7
	s_delay_alu instid0(VALU_DEP_4) | instskip(SKIP_2) | instid1(VALU_DEP_3)
	v_or3_b32 v9, 0, v9, v27
	v_and_b32_e32 v27, 0xff, v8
	v_or3_b32 v6, v6, 0, 0
	v_or3_b32 v7, v9, v7, v28
	s_delay_alu instid0(VALU_DEP_3)
	v_cmpx_eq_u16_e32 0, v27
	s_cbranch_execz .LBB463_105
.LBB463_103:                            ; =>This Inner Loop Header: Depth=1
	;;#ASMSTART
	global_load_dwordx4 v[6:9], v[25:26] off glc	
s_waitcnt vmcnt(0)
	;;#ASMEND
	v_and_b32_e32 v9, 0xff, v8
	s_delay_alu instid0(VALU_DEP_1) | instskip(SKIP_1) | instid1(SALU_CYCLE_1)
	v_cmp_ne_u16_e32 vcc_lo, 0, v9
	s_or_b32 s8, vcc_lo, s8
	s_and_not1_b32 exec_lo, exec_lo, s8
	s_cbranch_execnz .LBB463_103
; %bb.104:
	s_or_b32 exec_lo, exec_lo, s8
.LBB463_105:
	s_delay_alu instid0(SALU_CYCLE_1) | instskip(SKIP_3) | instid1(VALU_DEP_1)
	s_or_b32 exec_lo, exec_lo, s7
	v_cmp_ne_u32_e32 vcc_lo, 31, v82
	v_lshlrev_b32_e64 v92, v82, -1
	v_add_co_ci_u32_e32 v9, vcc_lo, 0, v82, vcc_lo
	v_lshlrev_b32_e32 v91, 2, v9
	ds_bpermute_b32 v25, v91, v7
	ds_bpermute_b32 v9, v91, v6
	s_waitcnt lgkmcnt(1)
	v_add_nc_u32_e32 v25, v25, v7
	v_and_b32_e32 v26, 0xff, v8
	s_waitcnt lgkmcnt(0)
	v_add_nc_u32_e32 v9, v9, v6
	s_delay_alu instid0(VALU_DEP_2) | instskip(SKIP_2) | instid1(VALU_DEP_2)
	v_cmp_eq_u16_e32 vcc_lo, 2, v26
	v_and_or_b32 v26, vcc_lo, v92, 0x80000000
	v_cmp_gt_u32_e32 vcc_lo, 30, v82
	v_ctz_i32_b32_e32 v26, v26
	v_cndmask_b32_e64 v27, 0, 1, vcc_lo
	s_delay_alu instid0(VALU_DEP_2) | instskip(NEXT) | instid1(VALU_DEP_2)
	v_cmp_lt_u32_e32 vcc_lo, v82, v26
	v_dual_cndmask_b32 v6, v6, v9 :: v_dual_lshlrev_b32 v27, 1, v27
	s_delay_alu instid0(VALU_DEP_1)
	v_add_lshl_u32 v93, v27, v82, 2
	v_cndmask_b32_e32 v7, v7, v25, vcc_lo
	v_cmp_gt_u32_e32 vcc_lo, 28, v82
	ds_bpermute_b32 v9, v93, v6
	ds_bpermute_b32 v25, v93, v7
	v_cndmask_b32_e64 v27, 0, 1, vcc_lo
	s_waitcnt lgkmcnt(1)
	v_add_nc_u32_e32 v9, v6, v9
	s_waitcnt lgkmcnt(0)
	v_add_nc_u32_e32 v25, v7, v25
	v_add_nc_u32_e32 v94, 2, v82
	s_delay_alu instid0(VALU_DEP_1) | instskip(NEXT) | instid1(VALU_DEP_3)
	v_cmp_gt_u32_e32 vcc_lo, v94, v26
	v_cndmask_b32_e32 v7, v25, v7, vcc_lo
	v_dual_cndmask_b32 v6, v9, v6 :: v_dual_lshlrev_b32 v27, 2, v27
	v_cmp_gt_u32_e32 vcc_lo, 24, v82
	s_delay_alu instid0(VALU_DEP_2) | instskip(SKIP_4) | instid1(VALU_DEP_1)
	v_add_lshl_u32 v95, v27, v82, 2
	v_cndmask_b32_e64 v27, 0, 1, vcc_lo
	ds_bpermute_b32 v25, v95, v7
	ds_bpermute_b32 v9, v95, v6
	v_lshlrev_b32_e32 v27, 3, v27
	v_add_lshl_u32 v97, v27, v82, 2
	s_waitcnt lgkmcnt(1)
	v_add_nc_u32_e32 v25, v7, v25
	v_add_nc_u32_e32 v96, 4, v82
	s_waitcnt lgkmcnt(0)
	v_add_nc_u32_e32 v9, v6, v9
	s_delay_alu instid0(VALU_DEP_2) | instskip(SKIP_1) | instid1(VALU_DEP_3)
	v_cmp_gt_u32_e32 vcc_lo, v96, v26
	v_cndmask_b32_e32 v7, v25, v7, vcc_lo
	v_cndmask_b32_e32 v6, v9, v6, vcc_lo
	v_cmp_gt_u32_e32 vcc_lo, 16, v82
	ds_bpermute_b32 v25, v97, v7
	ds_bpermute_b32 v9, v97, v6
	v_cndmask_b32_e64 v27, 0, 1, vcc_lo
	s_delay_alu instid0(VALU_DEP_1) | instskip(NEXT) | instid1(VALU_DEP_1)
	v_lshlrev_b32_e32 v27, 4, v27
	v_add_lshl_u32 v99, v27, v82, 2
	s_waitcnt lgkmcnt(1)
	v_add_nc_u32_e32 v25, v7, v25
	v_add_nc_u32_e32 v98, 8, v82
	s_waitcnt lgkmcnt(0)
	v_add_nc_u32_e32 v9, v6, v9
	s_delay_alu instid0(VALU_DEP_2) | instskip(SKIP_1) | instid1(VALU_DEP_3)
	v_cmp_gt_u32_e32 vcc_lo, v98, v26
	v_cndmask_b32_e32 v7, v25, v7, vcc_lo
	v_cndmask_b32_e32 v6, v9, v6, vcc_lo
	ds_bpermute_b32 v25, v99, v7
	ds_bpermute_b32 v9, v99, v6
	v_add_nc_u32_e32 v100, 16, v82
	s_delay_alu instid0(VALU_DEP_1) | instskip(SKIP_2) | instid1(VALU_DEP_1)
	v_cmp_le_u32_e32 vcc_lo, v100, v26
	s_waitcnt lgkmcnt(0)
	v_cndmask_b32_e32 v9, 0, v9, vcc_lo
	v_dual_cndmask_b32 v25, 0, v25 :: v_dual_add_nc_u32 v6, v9, v6
	s_delay_alu instid0(VALU_DEP_1)
	v_add_nc_u32_e32 v7, v25, v7
	v_mov_b32_e32 v25, 0
	s_branch .LBB463_107
.LBB463_106:                            ;   in Loop: Header=BB463_107 Depth=1
	s_or_b32 exec_lo, exec_lo, s7
	ds_bpermute_b32 v9, v91, v6
	ds_bpermute_b32 v28, v91, v7
	v_subrev_nc_u32_e32 v24, 32, v24
	s_waitcnt lgkmcnt(1)
	v_add_nc_u32_e32 v9, v9, v6
	v_and_b32_e32 v29, 0xff, v8
	s_waitcnt lgkmcnt(0)
	v_add_nc_u32_e32 v28, v28, v7
	s_delay_alu instid0(VALU_DEP_2) | instskip(SKIP_1) | instid1(VALU_DEP_1)
	v_cmp_eq_u16_e32 vcc_lo, 2, v29
	v_and_or_b32 v29, vcc_lo, v92, 0x80000000
	v_ctz_i32_b32_e32 v29, v29
	s_delay_alu instid0(VALU_DEP_1)
	v_cmp_lt_u32_e32 vcc_lo, v82, v29
	v_cndmask_b32_e32 v6, v6, v9, vcc_lo
	ds_bpermute_b32 v9, v93, v6
	s_waitcnt lgkmcnt(0)
	v_add_nc_u32_e32 v9, v6, v9
	v_cndmask_b32_e32 v7, v7, v28, vcc_lo
	v_cmp_gt_u32_e32 vcc_lo, v94, v29
	s_delay_alu instid0(VALU_DEP_3)
	v_cndmask_b32_e32 v6, v9, v6, vcc_lo
	ds_bpermute_b32 v28, v93, v7
	ds_bpermute_b32 v9, v95, v6
	s_waitcnt lgkmcnt(1)
	v_add_nc_u32_e32 v28, v7, v28
	s_waitcnt lgkmcnt(0)
	v_add_nc_u32_e32 v9, v6, v9
	s_delay_alu instid0(VALU_DEP_2) | instskip(SKIP_1) | instid1(VALU_DEP_3)
	v_cndmask_b32_e32 v7, v28, v7, vcc_lo
	v_cmp_gt_u32_e32 vcc_lo, v96, v29
	v_cndmask_b32_e32 v6, v9, v6, vcc_lo
	ds_bpermute_b32 v28, v95, v7
	ds_bpermute_b32 v9, v97, v6
	s_waitcnt lgkmcnt(1)
	v_add_nc_u32_e32 v28, v7, v28
	s_waitcnt lgkmcnt(0)
	v_add_nc_u32_e32 v9, v6, v9
	s_delay_alu instid0(VALU_DEP_2) | instskip(SKIP_1) | instid1(VALU_DEP_3)
	v_cndmask_b32_e32 v7, v28, v7, vcc_lo
	v_cmp_gt_u32_e32 vcc_lo, v98, v29
	v_cndmask_b32_e32 v6, v9, v6, vcc_lo
	ds_bpermute_b32 v28, v97, v7
	ds_bpermute_b32 v9, v99, v6
	s_waitcnt lgkmcnt(1)
	v_add_nc_u32_e32 v28, v7, v28
	s_delay_alu instid0(VALU_DEP_1) | instskip(SKIP_4) | instid1(VALU_DEP_1)
	v_cndmask_b32_e32 v7, v28, v7, vcc_lo
	v_cmp_le_u32_e32 vcc_lo, v100, v29
	ds_bpermute_b32 v28, v99, v7
	s_waitcnt lgkmcnt(1)
	v_cndmask_b32_e32 v9, 0, v9, vcc_lo
	v_add3_u32 v6, v6, v26, v9
	s_waitcnt lgkmcnt(0)
	v_cndmask_b32_e32 v28, 0, v28, vcc_lo
	s_delay_alu instid0(VALU_DEP_1)
	v_add3_u32 v7, v7, v27, v28
.LBB463_107:                            ; =>This Loop Header: Depth=1
                                        ;     Child Loop BB463_110 Depth 2
	s_delay_alu instid0(VALU_DEP_1) | instskip(SKIP_1) | instid1(VALU_DEP_2)
	v_dual_mov_b32 v27, v7 :: v_dual_and_b32 v8, 0xff, v8
	v_mov_b32_e32 v26, v6
	v_cmp_ne_u16_e32 vcc_lo, 2, v8
	v_cndmask_b32_e64 v8, 0, 1, vcc_lo
	;;#ASMSTART
	;;#ASMEND
	s_delay_alu instid0(VALU_DEP_1)
	v_cmp_ne_u32_e32 vcc_lo, 0, v8
	s_cmp_lg_u32 vcc_lo, exec_lo
	s_cbranch_scc1 .LBB463_112
; %bb.108:                              ;   in Loop: Header=BB463_107 Depth=1
	v_lshlrev_b64 v[6:7], 4, v[24:25]
	s_mov_b32 s7, exec_lo
	s_delay_alu instid0(VALU_DEP_1) | instskip(NEXT) | instid1(VALU_DEP_2)
	v_add_co_u32 v28, vcc_lo, s36, v6
	v_add_co_ci_u32_e32 v29, vcc_lo, s37, v7, vcc_lo
	;;#ASMSTART
	global_load_dwordx4 v[6:9], v[28:29] off glc	
s_waitcnt vmcnt(0)
	;;#ASMEND
	v_and_b32_e32 v9, 0xff, v7
	v_and_b32_e32 v101, 0xff00, v7
	v_or3_b32 v6, v6, 0, 0
	v_and_b32_e32 v102, 0xff000000, v7
	v_and_b32_e32 v7, 0xff0000, v7
	s_delay_alu instid0(VALU_DEP_4) | instskip(SKIP_2) | instid1(VALU_DEP_3)
	v_or3_b32 v9, 0, v9, v101
	v_and_b32_e32 v101, 0xff, v8
	v_or3_b32 v6, v6, 0, 0
	v_or3_b32 v7, v9, v7, v102
	s_delay_alu instid0(VALU_DEP_3)
	v_cmpx_eq_u16_e32 0, v101
	s_cbranch_execz .LBB463_106
; %bb.109:                              ;   in Loop: Header=BB463_107 Depth=1
	s_mov_b32 s8, 0
.LBB463_110:                            ;   Parent Loop BB463_107 Depth=1
                                        ; =>  This Inner Loop Header: Depth=2
	;;#ASMSTART
	global_load_dwordx4 v[6:9], v[28:29] off glc	
s_waitcnt vmcnt(0)
	;;#ASMEND
	v_and_b32_e32 v9, 0xff, v8
	s_delay_alu instid0(VALU_DEP_1) | instskip(SKIP_1) | instid1(SALU_CYCLE_1)
	v_cmp_ne_u16_e32 vcc_lo, 0, v9
	s_or_b32 s8, vcc_lo, s8
	s_and_not1_b32 exec_lo, exec_lo, s8
	s_cbranch_execnz .LBB463_110
; %bb.111:                              ;   in Loop: Header=BB463_107 Depth=1
	s_or_b32 exec_lo, exec_lo, s8
	s_branch .LBB463_106
.LBB463_112:                            ;   in Loop: Header=BB463_107 Depth=1
                                        ; implicit-def: $vgpr8
                                        ; implicit-def: $vgpr6_vgpr7
	s_cbranch_execz .LBB463_107
; %bb.113:
	s_and_saveexec_b32 s7, s3
	s_cbranch_execnz .LBB463_356
; %bb.114:
	s_or_b32 exec_lo, exec_lo, s7
	s_and_saveexec_b32 s7, s3
	s_cbranch_execnz .LBB463_357
.LBB463_115:
	s_or_b32 exec_lo, exec_lo, s7
	s_delay_alu instid0(SALU_CYCLE_1)
	s_and_b32 exec_lo, exec_lo, s2
	s_cbranch_execz .LBB463_117
.LBB463_116:
	v_mov_b32_e32 v5, 0
	ds_store_b64 v5, v[26:27] offset:56
.LBB463_117:
	s_or_b32 exec_lo, exec_lo, s5
	s_waitcnt lgkmcnt(1)
	v_cndmask_b32_e64 v22, v89, v22, s3
	v_mov_b32_e32 v5, 0
	s_waitcnt lgkmcnt(0)
	s_barrier
	buffer_gl0_inv
	v_add_nc_u32_e64 v7, 0x3400, 0
	ds_load_b64 v[24:25], v5 offset:56
	s_waitcnt lgkmcnt(0)
	s_barrier
	buffer_gl0_inv
	ds_load_2addr_b32 v[5:6], v7 offset1:2
	ds_load_2addr_b32 v[7:8], v7 offset0:4 offset1:6
	v_cndmask_b32_e64 v9, v90, v23, s3
	v_add_nc_u32_e32 v22, v24, v22
	s_delay_alu instid0(VALU_DEP_2) | instskip(NEXT) | instid1(VALU_DEP_2)
	v_add_nc_u32_e32 v9, v25, v9
	v_cndmask_b32_e64 v22, v22, v24, s2
	s_delay_alu instid0(VALU_DEP_2)
	v_cndmask_b32_e64 v9, v9, v25, s2
	s_branch .LBB463_128
.LBB463_118:
                                        ; implicit-def: $vgpr9
                                        ; implicit-def: $vgpr7
                                        ; implicit-def: $vgpr5
                                        ; implicit-def: $vgpr22_vgpr23
	s_and_b32 vcc_lo, exec_lo, s5
	s_cbranch_vccz .LBB463_128
; %bb.119:
	s_waitcnt lgkmcnt(1)
	v_mov_b32_dpp v6, v88 row_shr:1 row_mask:0xf bank_mask:0xf
	v_cmp_lt_u32_e32 vcc_lo, 3, v86
	v_mov_b32_dpp v5, v87 row_shr:1 row_mask:0xf bank_mask:0xf
	s_delay_alu instid0(VALU_DEP_3) | instskip(NEXT) | instid1(VALU_DEP_1)
	v_add_nc_u32_e32 v6, v6, v88
	v_cndmask_b32_e64 v6, v6, v88, s1
	s_waitcnt lgkmcnt(0)
	s_delay_alu instid0(VALU_DEP_1) | instskip(NEXT) | instid1(VALU_DEP_1)
	v_mov_b32_dpp v8, v6 row_shr:2 row_mask:0xf bank_mask:0xf
	v_add_nc_u32_e32 v8, v6, v8
	s_delay_alu instid0(VALU_DEP_1) | instskip(NEXT) | instid1(VALU_DEP_1)
	v_cndmask_b32_e64 v6, v6, v8, s0
	v_mov_b32_dpp v8, v6 row_shr:4 row_mask:0xf bank_mask:0xf
	s_delay_alu instid0(VALU_DEP_1) | instskip(NEXT) | instid1(VALU_DEP_1)
	v_add_nc_u32_e32 v8, v6, v8
	v_dual_cndmask_b32 v6, v6, v8 :: v_dual_add_nc_u32 v5, v5, v87
	s_delay_alu instid0(VALU_DEP_1) | instskip(NEXT) | instid1(VALU_DEP_2)
	v_cndmask_b32_e64 v5, v5, v87, s1
	v_mov_b32_dpp v8, v6 row_shr:8 row_mask:0xf bank_mask:0xf
	s_delay_alu instid0(VALU_DEP_2) | instskip(NEXT) | instid1(VALU_DEP_2)
	v_mov_b32_dpp v7, v5 row_shr:2 row_mask:0xf bank_mask:0xf
	v_add_nc_u32_e32 v8, v6, v8
	s_delay_alu instid0(VALU_DEP_2) | instskip(NEXT) | instid1(VALU_DEP_1)
	v_add_nc_u32_e32 v7, v5, v7
	v_cndmask_b32_e64 v5, v5, v7, s0
	s_mov_b32 s0, exec_lo
	s_delay_alu instid0(VALU_DEP_1) | instskip(NEXT) | instid1(VALU_DEP_1)
	v_mov_b32_dpp v7, v5 row_shr:4 row_mask:0xf bank_mask:0xf
	v_add_nc_u32_e32 v7, v5, v7
	s_delay_alu instid0(VALU_DEP_1) | instskip(SKIP_1) | instid1(VALU_DEP_2)
	v_cndmask_b32_e32 v5, v5, v7, vcc_lo
	v_cmp_lt_u32_e32 vcc_lo, 7, v86
	v_mov_b32_dpp v7, v5 row_shr:8 row_mask:0xf bank_mask:0xf
	s_delay_alu instid0(VALU_DEP_1) | instskip(NEXT) | instid1(VALU_DEP_1)
	v_dual_cndmask_b32 v6, v6, v8 :: v_dual_add_nc_u32 v7, v5, v7
	v_cndmask_b32_e32 v5, v5, v7, vcc_lo
	ds_swizzle_b32 v7, v6 offset:swizzle(BROADCAST,32,15)
	v_cmp_eq_u32_e32 vcc_lo, 0, v85
	ds_swizzle_b32 v8, v5 offset:swizzle(BROADCAST,32,15)
	s_waitcnt lgkmcnt(1)
	v_add_nc_u32_e32 v7, v6, v7
	s_waitcnt lgkmcnt(0)
	v_add_nc_u32_e32 v8, v5, v8
	s_delay_alu instid0(VALU_DEP_1)
	v_dual_cndmask_b32 v6, v7, v6 :: v_dual_cndmask_b32 v5, v8, v5
	v_cmpx_eq_u32_e64 v84, v0
	s_cbranch_execz .LBB463_121
; %bb.120:
	v_lshlrev_b32_e32 v7, 3, v83
	ds_store_b64 v7, v[5:6]
.LBB463_121:
	s_or_b32 exec_lo, exec_lo, s0
	s_delay_alu instid0(SALU_CYCLE_1)
	s_mov_b32 s0, exec_lo
	s_waitcnt lgkmcnt(0)
	s_barrier
	buffer_gl0_inv
	v_cmpx_gt_u32_e32 8, v0
	s_cbranch_execz .LBB463_123
; %bb.122:
	v_lshlrev_b32_e32 v9, 3, v0
	ds_load_b64 v[7:8], v9
	s_waitcnt lgkmcnt(0)
	v_mov_b32_dpp v22, v7 row_shr:1 row_mask:0xf bank_mask:0xf
	v_mov_b32_dpp v23, v8 row_shr:1 row_mask:0xf bank_mask:0xf
	s_delay_alu instid0(VALU_DEP_2) | instskip(SKIP_1) | instid1(VALU_DEP_3)
	v_add_nc_u32_e32 v22, v22, v7
	v_and_b32_e32 v24, 7, v82
	v_add_nc_u32_e32 v23, v23, v8
	s_delay_alu instid0(VALU_DEP_2) | instskip(NEXT) | instid1(VALU_DEP_2)
	v_cmp_eq_u32_e32 vcc_lo, 0, v24
	v_dual_cndmask_b32 v8, v23, v8 :: v_dual_cndmask_b32 v7, v22, v7
	v_cmp_lt_u32_e32 vcc_lo, 1, v24
	s_delay_alu instid0(VALU_DEP_2) | instskip(NEXT) | instid1(VALU_DEP_3)
	v_mov_b32_dpp v23, v8 row_shr:2 row_mask:0xf bank_mask:0xf
	v_mov_b32_dpp v22, v7 row_shr:2 row_mask:0xf bank_mask:0xf
	s_delay_alu instid0(VALU_DEP_2) | instskip(NEXT) | instid1(VALU_DEP_2)
	v_add_nc_u32_e32 v23, v8, v23
	v_add_nc_u32_e32 v22, v7, v22
	s_delay_alu instid0(VALU_DEP_1) | instskip(SKIP_1) | instid1(VALU_DEP_2)
	v_dual_cndmask_b32 v8, v8, v23 :: v_dual_cndmask_b32 v7, v7, v22
	v_cmp_lt_u32_e32 vcc_lo, 3, v24
	v_mov_b32_dpp v23, v8 row_shr:4 row_mask:0xf bank_mask:0xf
	s_delay_alu instid0(VALU_DEP_3) | instskip(NEXT) | instid1(VALU_DEP_1)
	v_mov_b32_dpp v22, v7 row_shr:4 row_mask:0xf bank_mask:0xf
	v_dual_cndmask_b32 v23, 0, v23 :: v_dual_cndmask_b32 v22, 0, v22
	s_delay_alu instid0(VALU_DEP_1) | instskip(NEXT) | instid1(VALU_DEP_2)
	v_add_nc_u32_e32 v8, v23, v8
	v_add_nc_u32_e32 v7, v22, v7
	ds_store_b64 v9, v[7:8]
.LBB463_123:
	s_or_b32 exec_lo, exec_lo, s0
	v_dual_mov_b32 v7, 0 :: v_dual_mov_b32 v22, 0
	v_mov_b32_e32 v23, 0
	s_mov_b32 s0, exec_lo
	s_waitcnt lgkmcnt(0)
	s_barrier
	buffer_gl0_inv
	v_cmpx_lt_u32_e32 31, v0
	s_cbranch_execz .LBB463_125
; %bb.124:
	v_lshl_add_u32 v8, v83, 3, -8
	ds_load_b64 v[22:23], v8
.LBB463_125:
	s_or_b32 exec_lo, exec_lo, s0
	v_add_nc_u32_e32 v8, -1, v82
	s_waitcnt lgkmcnt(0)
	v_add_nc_u32_e32 v24, v23, v6
	v_add_nc_u32_e32 v9, v22, v5
	ds_load_b64 v[5:6], v7 offset:56
	v_cmp_gt_i32_e32 vcc_lo, 0, v8
	v_cndmask_b32_e32 v8, v8, v82, vcc_lo
	s_delay_alu instid0(VALU_DEP_1)
	v_lshlrev_b32_e32 v8, 2, v8
	ds_bpermute_b32 v9, v8, v9
	ds_bpermute_b32 v24, v8, v24
	s_waitcnt lgkmcnt(2)
	v_readfirstlane_b32 s0, v6
	s_and_saveexec_b32 s1, s2
	s_cbranch_execz .LBB463_127
; %bb.126:
	s_mov_b32 s8, 0
	s_add_u32 s6, s36, 0x200
	s_addc_u32 s7, s37, 0
	s_and_b32 s9, s0, 0xff000000
	s_and_b32 s11, s0, 0xff0000
	s_mov_b32 s10, s8
	v_mov_b32_e32 v26, s7
	s_or_b64 s[10:11], s[10:11], s[8:9]
	s_and_b32 s9, s0, 0xff00
	v_dual_mov_b32 v8, 0 :: v_dual_mov_b32 v25, s6
	s_or_b64 s[10:11], s[10:11], s[8:9]
	s_and_b32 s9, s0, 0xff
	v_mov_b32_e32 v7, 2
	s_or_b64 s[8:9], s[10:11], s[8:9]
	s_delay_alu instid0(SALU_CYCLE_1)
	v_mov_b32_e32 v6, s9
	;;#ASMSTART
	global_store_dwordx4 v[25:26], v[5:8] off	
s_waitcnt vmcnt(0)
	;;#ASMEND
.LBB463_127:
	s_or_b32 exec_lo, exec_lo, s1
	v_cmp_eq_u32_e32 vcc_lo, 0, v82
	v_dual_mov_b32 v7, 0 :: v_dual_mov_b32 v6, s0
	s_waitcnt lgkmcnt(0)
	s_barrier
	v_dual_cndmask_b32 v8, v9, v22 :: v_dual_cndmask_b32 v9, v24, v23
	buffer_gl0_inv
	v_cndmask_b32_e64 v22, v8, 0, s2
	v_cndmask_b32_e64 v9, v9, 0, s2
	v_mov_b32_e32 v8, 0
.LBB463_128:
	s_delay_alu instid0(VALU_DEP_1) | instskip(SKIP_1) | instid1(VALU_DEP_2)
	v_add_nc_u32_e32 v24, v9, v81
	s_waitcnt lgkmcnt(0)
	v_sub_nc_u32_e32 v9, v9, v8
	v_add_co_u32 v1, vcc_lo, v1, v7
	v_and_b32_e32 v35, 1, v35
	v_add_nc_u32_e32 v26, v24, v77
	v_sub_nc_u32_e32 v24, v24, v8
	v_lshlrev_b32_e32 v77, 1, v5
	v_add_nc_u32_e32 v9, v9, v5
	v_add_co_ci_u32_e32 v2, vcc_lo, 0, v2, vcc_lo
	v_add_nc_u32_e32 v28, v26, v79
	s_delay_alu instid0(VALU_DEP_4)
	v_add3_u32 v33, v77, v6, v33
	v_and_b32_e32 v40, 1, v40
	v_and_b32_e32 v37, 1, v37
	v_and_b32_e32 v36, 1, v36
	v_add_nc_u32_e32 v29, v28, v75
	v_sub_nc_u32_e32 v28, v28, v8
	v_sub_co_u32 v75, vcc_lo, v3, v5
	s_add_u32 s1, s14, -4
	s_delay_alu instid0(VALU_DEP_3) | instskip(SKIP_4) | instid1(VALU_DEP_3)
	v_add_nc_u32_e32 v73, v29, v73
	v_sub_nc_u32_e32 v29, v29, v8
	v_add_nc_u32_e32 v28, v28, v5
	v_add_nc_u32_e32 v24, v24, v5
	s_mov_b32 s3, -1
	v_add_nc_u32_e32 v29, v29, v5
	v_add_nc_u32_e32 v23, v22, v80
	v_sub_nc_u32_e32 v22, v22, v7
	s_delay_alu instid0(VALU_DEP_2) | instskip(SKIP_3) | instid1(VALU_DEP_3)
	v_add_nc_u32_e32 v25, v23, v76
	v_sub_nc_u32_e32 v23, v23, v7
	v_subrev_co_ci_u32_e32 v76, vcc_lo, 0, v4, vcc_lo
	v_cmp_eq_u32_e32 vcc_lo, 1, v35
	v_add_nc_u32_e32 v79, v24, v23
	s_delay_alu instid0(VALU_DEP_1) | instskip(NEXT) | instid1(VALU_DEP_1)
	v_sub_nc_u32_e32 v79, v33, v79
	v_add_nc_u32_e32 v79, 1, v79
	v_add_nc_u32_e32 v27, v25, v78
	;; [unrolled: 1-line block ×3, first 2 shown]
	s_delay_alu instid0(VALU_DEP_1) | instskip(NEXT) | instid1(VALU_DEP_1)
	v_sub_nc_u32_e32 v78, v33, v78
	v_dual_cndmask_b32 v9, v78, v9 :: v_dual_and_b32 v34, 1, v34
	v_cmp_eq_u32_e32 vcc_lo, 1, v40
	v_cndmask_b32_e32 v24, v79, v24, vcc_lo
	s_delay_alu instid0(VALU_DEP_3) | instskip(NEXT) | instid1(VALU_DEP_4)
	v_cmp_eq_u32_e32 vcc_lo, 1, v34
	v_cndmask_b32_e32 v9, v9, v22, vcc_lo
	v_sub_nc_u32_e32 v26, v26, v8
	v_cmp_eq_u32_e32 vcc_lo, 1, v37
	v_and_b32_e32 v37, 1, v38
	s_delay_alu instid0(VALU_DEP_4) | instskip(NEXT) | instid1(VALU_DEP_4)
	v_lshlrev_b32_e32 v9, 2, v9
	v_add_nc_u32_e32 v26, v26, v5
	v_cndmask_b32_e32 v24, v24, v23, vcc_lo
	v_sub_nc_u32_e32 v25, v25, v7
	v_add_co_u32 v22, vcc_lo, v75, v8
	v_add_co_ci_u32_e32 v23, vcc_lo, 0, v76, vcc_lo
	s_delay_alu instid0(VALU_DEP_3)
	v_add_nc_u32_e32 v34, v26, v25
	v_cmp_eq_u32_e32 vcc_lo, 1, v37
	v_lshlrev_b32_e32 v24, 2, v24
	ds_store_b32 v9, v20
	v_sub_nc_u32_e32 v34, v33, v34
	ds_store_b32 v24, v21
	v_and_b32_e32 v24, 1, v39
	v_add_nc_u32_e32 v34, 2, v34
	s_delay_alu instid0(VALU_DEP_1) | instskip(SKIP_3) | instid1(VALU_DEP_4)
	v_cndmask_b32_e32 v26, v34, v26, vcc_lo
	v_cmp_eq_u32_e32 vcc_lo, 1, v36
	v_add_nc_u32_e32 v74, v27, v74
	v_sub_nc_u32_e32 v27, v27, v7
	v_cndmask_b32_e32 v25, v26, v25, vcc_lo
	s_delay_alu instid0(VALU_DEP_3) | instskip(NEXT) | instid1(VALU_DEP_3)
	v_sub_nc_u32_e32 v37, v74, v7
	v_add_nc_u32_e32 v34, v27, v28
	v_cmp_eq_u32_e32 vcc_lo, 1, v24
	v_sub_nc_u32_e32 v26, v73, v8
	v_lshlrev_b32_e32 v21, 2, v25
	v_and_b32_e32 v25, 1, v41
	v_sub_nc_u32_e32 v9, v33, v34
	v_add_nc_u32_e32 v20, v37, v29
	v_and_b32_e32 v24, 1, v42
	v_add_nc_u32_e32 v26, v26, v5
	ds_store_b32 v21, v18
	v_add_nc_u32_e32 v9, 3, v9
	v_sub_nc_u32_e32 v20, v33, v20
	s_delay_alu instid0(VALU_DEP_2) | instskip(SKIP_2) | instid1(VALU_DEP_4)
	v_cndmask_b32_e32 v9, v9, v28, vcc_lo
	v_cmp_eq_u32_e32 vcc_lo, 1, v25
	v_add_nc_u32_e32 v72, v74, v72
	v_add_nc_u32_e32 v20, 4, v20
	v_and_b32_e32 v25, 1, v43
	v_cndmask_b32_e32 v9, v9, v27, vcc_lo
	s_delay_alu instid0(VALU_DEP_4)
	v_sub_nc_u32_e32 v28, v72, v7
	v_cmp_eq_u32_e32 vcc_lo, 1, v24
	v_and_b32_e32 v24, 1, v44
	v_add_nc_u32_e32 v70, v72, v70
	v_lshlrev_b32_e32 v9, 2, v9
	v_add_nc_u32_e32 v27, v28, v26
	v_cndmask_b32_e32 v20, v20, v29, vcc_lo
	v_cmp_eq_u32_e32 vcc_lo, 1, v25
	v_and_b32_e32 v25, 1, v45
	v_add_nc_u32_e32 v64, v70, v64
	v_sub_nc_u32_e32 v18, v33, v27
	v_sub_nc_u32_e32 v27, v70, v7
	v_cndmask_b32_e32 v20, v20, v37, vcc_lo
	v_cmp_eq_u32_e32 vcc_lo, 1, v24
	ds_store_b32 v9, v19
	v_add_nc_u32_e32 v18, 5, v18
	v_and_b32_e32 v19, 1, v46
	v_lshlrev_b32_e32 v20, 2, v20
	v_add_nc_u32_e32 v68, v64, v68
	s_delay_alu instid0(VALU_DEP_4)
	v_cndmask_b32_e32 v18, v18, v26, vcc_lo
	v_cmp_eq_u32_e32 vcc_lo, 1, v25
	v_sub_nc_u32_e32 v25, v64, v7
	ds_store_b32 v20, v16
	v_and_b32_e32 v20, 1, v49
	v_add_nc_u32_e32 v66, v68, v66
	v_dual_cndmask_b32 v18, v18, v28 :: v_dual_add_nc_u32 v71, v73, v71
	v_cmp_eq_u32_e32 vcc_lo, 1, v19
	v_and_b32_e32 v19, 1, v48
	s_delay_alu instid0(VALU_DEP_4) | instskip(NEXT) | instid1(VALU_DEP_4)
	v_add_nc_u32_e32 v61, v66, v61
	v_lshlrev_b32_e32 v18, 2, v18
	v_add_nc_u32_e32 v65, v71, v65
	v_sub_nc_u32_e32 v21, v71, v8
	s_delay_alu instid0(VALU_DEP_4)
	v_add_nc_u32_e32 v60, v61, v60
	ds_store_b32 v18, v17
	v_sub_nc_u32_e32 v24, v65, v8
	v_add_nc_u32_e32 v21, v21, v5
	v_add_nc_u32_e32 v69, v65, v69
	v_and_b32_e32 v17, 1, v47
	s_delay_alu instid0(VALU_DEP_4) | instskip(NEXT) | instid1(VALU_DEP_4)
	v_add_nc_u32_e32 v24, v24, v5
	v_add_nc_u32_e32 v26, v27, v21
	s_delay_alu instid0(VALU_DEP_4) | instskip(NEXT) | instid1(VALU_DEP_3)
	v_sub_nc_u32_e32 v18, v69, v8
	v_add_nc_u32_e32 v16, v25, v24
	s_delay_alu instid0(VALU_DEP_3) | instskip(NEXT) | instid1(VALU_DEP_3)
	v_sub_nc_u32_e32 v9, v33, v26
	v_add_nc_u32_e32 v18, v18, v5
	v_sub_nc_u32_e32 v26, v60, v7
	s_delay_alu instid0(VALU_DEP_4) | instskip(NEXT) | instid1(VALU_DEP_4)
	v_sub_nc_u32_e32 v16, v33, v16
	v_add_nc_u32_e32 v9, 6, v9
	s_delay_alu instid0(VALU_DEP_1) | instskip(SKIP_2) | instid1(VALU_DEP_3)
	v_dual_cndmask_b32 v9, v9, v21 :: v_dual_add_nc_u32 v16, 7, v16
	v_cmp_eq_u32_e32 vcc_lo, 1, v19
	v_sub_nc_u32_e32 v21, v68, v7
	v_cndmask_b32_e32 v16, v16, v24, vcc_lo
	v_cmp_eq_u32_e32 vcc_lo, 1, v17
	s_delay_alu instid0(VALU_DEP_3) | instskip(SKIP_3) | instid1(VALU_DEP_4)
	v_add_nc_u32_e32 v17, v21, v18
	v_cndmask_b32_e32 v9, v9, v27, vcc_lo
	v_cmp_eq_u32_e32 vcc_lo, 1, v20
	v_add_nc_u32_e32 v67, v69, v67
	v_sub_nc_u32_e32 v17, v33, v17
	v_sub_nc_u32_e32 v20, v66, v7
	v_lshlrev_b32_e32 v9, 2, v9
	v_cndmask_b32_e32 v16, v16, v25, vcc_lo
	v_sub_nc_u32_e32 v19, v67, v8
	v_add_nc_u32_e32 v62, v67, v62
	v_sub_nc_u32_e32 v25, v61, v7
	ds_store_b32 v9, v14
	v_and_b32_e32 v9, 1, v50
	v_add_nc_u32_e32 v19, v19, v5
	v_add_nc_u32_e32 v14, 8, v17
	v_lshlrev_b32_e32 v16, 2, v16
	v_add_nc_u32_e32 v63, v62, v63
	v_cmp_eq_u32_e32 vcc_lo, 1, v9
	v_add_nc_u32_e32 v17, v20, v19
	ds_store_b32 v16, v15
	v_and_b32_e32 v15, 1, v51
	v_cndmask_b32_e32 v9, v14, v18, vcc_lo
	v_sub_nc_u32_e32 v14, v33, v17
	v_and_b32_e32 v18, 1, v52
	v_sub_nc_u32_e32 v17, v62, v8
	v_and_b32_e32 v16, 1, v54
	v_sub_nc_u32_e32 v24, v63, v8
	v_add_nc_u32_e32 v14, 9, v14
	v_cmp_eq_u32_e32 vcc_lo, 1, v18
	v_add_nc_u32_e32 v17, v17, v5
	v_add_nc_u32_e32 v35, v63, v59
	;; [unrolled: 1-line block ×3, first 2 shown]
	v_cndmask_b32_e32 v14, v14, v19, vcc_lo
	v_cmp_eq_u32_e32 vcc_lo, 1, v15
	v_add_nc_u32_e32 v15, v25, v17
	s_delay_alu instid0(VALU_DEP_4)
	v_add_nc_u32_e32 v18, v26, v24
	v_and_b32_e32 v19, 1, v55
	v_cndmask_b32_e32 v9, v9, v21, vcc_lo
	v_cmp_eq_u32_e32 vcc_lo, 1, v16
	v_sub_nc_u32_e32 v15, v33, v15
	v_sub_nc_u32_e32 v18, v33, v18
	v_and_b32_e32 v21, 1, v57
	v_sub_nc_u32_e32 v16, v35, v8
	v_cndmask_b32_e32 v14, v14, v20, vcc_lo
	v_and_b32_e32 v20, 1, v53
	v_add_nc_u32_e32 v15, 10, v15
	v_add_nc_u32_e32 v18, 11, v18
	;; [unrolled: 1-line block ×3, first 2 shown]
	v_lshlrev_b32_e32 v9, 2, v9
	v_cmp_eq_u32_e32 vcc_lo, 1, v20
	v_dual_cndmask_b32 v15, v15, v17 :: v_dual_lshlrev_b32 v14, 2, v14
	v_cmp_eq_u32_e32 vcc_lo, 1, v21
	v_and_b32_e32 v17, 1, v56
	v_cndmask_b32_e32 v18, v18, v24, vcc_lo
	v_cmp_eq_u32_e32 vcc_lo, 1, v19
	v_cndmask_b32_e32 v15, v15, v25, vcc_lo
	s_delay_alu instid0(VALU_DEP_4) | instskip(NEXT) | instid1(VALU_DEP_2)
	v_cmp_eq_u32_e32 vcc_lo, 1, v17
	v_lshlrev_b32_e32 v15, 2, v15
	v_cndmask_b32_e32 v17, v18, v26, vcc_lo
	v_add_nc_u32_e32 v40, v60, v58
	s_delay_alu instid0(VALU_DEP_2) | instskip(NEXT) | instid1(VALU_DEP_2)
	v_lshlrev_b32_e32 v17, 2, v17
	v_sub_nc_u32_e32 v7, v40, v7
	ds_store_b32 v9, v12
	ds_store_b32 v14, v13
	;; [unrolled: 1-line block ×4, first 2 shown]
	v_add_co_u32 v9, s0, v6, v77
	s_delay_alu instid0(VALU_DEP_1) | instskip(SKIP_1) | instid1(VALU_DEP_3)
	v_add_co_ci_u32_e64 v10, null, 0, 0, s0
	v_add_nc_u32_e32 v27, v7, v16
	v_add_co_u32 v9, vcc_lo, v9, v22
	s_delay_alu instid0(VALU_DEP_3) | instskip(NEXT) | instid1(VALU_DEP_3)
	v_add_co_ci_u32_e32 v10, vcc_lo, v10, v23, vcc_lo
	v_sub_nc_u32_e32 v20, v33, v27
	v_add_co_u32 v11, s0, s34, v30
	s_delay_alu instid0(VALU_DEP_4) | instskip(NEXT) | instid1(VALU_DEP_3)
	v_add_co_u32 v9, vcc_lo, v9, v1
	v_add_nc_u32_e32 v18, 12, v20
	v_add_co_ci_u32_e64 v12, null, s35, 0, s0
	v_add_co_ci_u32_e32 v10, vcc_lo, v10, v2, vcc_lo
	s_delay_alu instid0(VALU_DEP_3) | instskip(SKIP_1) | instid1(VALU_DEP_2)
	v_cndmask_b32_e64 v16, v18, v16, s33
	v_add_nc_u32_e32 v14, v5, v6
	v_cndmask_b32_e64 v7, v16, v7, s27
	s_delay_alu instid0(VALU_DEP_1)
	v_lshlrev_b32_e32 v7, 2, v7
	ds_store_b32 v7, v32
	v_sub_co_u32 v7, vcc_lo, v11, v9
	v_sub_co_ci_u32_e32 v13, vcc_lo, v12, v10, vcc_lo
	v_lshlrev_b64 v[9:10], 2, v[22:23]
	v_lshlrev_b64 v[11:12], 2, v[1:2]
	s_waitcnt lgkmcnt(0)
	s_barrier
	buffer_gl0_inv
	v_add_co_u32 v9, vcc_lo, s30, v9
	v_add_co_ci_u32_e32 v10, vcc_lo, s31, v10, vcc_lo
	v_cmp_ne_u32_e32 vcc_lo, 1, v31
	v_add_co_u32 v11, s0, s28, v11
	s_delay_alu instid0(VALU_DEP_1)
	v_add_co_ci_u32_e64 v12, s0, s29, v12, s0
	s_addc_u32 s0, s15, -1
	s_cbranch_vccz .LBB463_132
; %bb.129:
	s_and_b32 vcc_lo, exec_lo, s3
	s_cbranch_vccnz .LBB463_237
.LBB463_130:
	s_and_b32 s0, s2, s13
	s_delay_alu instid0(SALU_CYCLE_1)
	s_and_saveexec_b32 s1, s0
	s_cbranch_execnz .LBB463_355
.LBB463_131:
	s_nop 0
	s_sendmsg sendmsg(MSG_DEALLOC_VGPRS)
	s_endpgm
.LBB463_132:
	s_mov_b32 s3, exec_lo
	v_cmpx_le_u32_e64 v5, v0
	s_xor_b32 s3, exec_lo, s3
	s_cbranch_execz .LBB463_138
; %bb.133:
	s_mov_b32 s5, exec_lo
	v_cmpx_le_u32_e64 v14, v0
	s_xor_b32 s5, exec_lo, s5
	s_cbranch_execz .LBB463_135
; %bb.134:
	v_lshlrev_b32_e32 v15, 2, v0
	ds_load_b32 v17, v15
	v_add_co_u32 v15, vcc_lo, v7, v0
	v_add_co_ci_u32_e32 v16, vcc_lo, 0, v13, vcc_lo
	s_delay_alu instid0(VALU_DEP_1) | instskip(NEXT) | instid1(VALU_DEP_1)
	v_lshlrev_b64 v[15:16], 2, v[15:16]
	v_sub_co_u32 v15, vcc_lo, s14, v15
	s_delay_alu instid0(VALU_DEP_2)
	v_sub_co_ci_u32_e32 v16, vcc_lo, s15, v16, vcc_lo
	s_waitcnt lgkmcnt(0)
	global_store_b32 v[15:16], v17, off offset:-4
.LBB463_135:
	s_and_not1_saveexec_b32 s5, s5
	s_cbranch_execz .LBB463_137
; %bb.136:
	v_lshlrev_b32_e32 v15, 2, v0
	v_readfirstlane_b32 s6, v9
	v_readfirstlane_b32 s7, v10
	ds_load_b32 v16, v15
	s_waitcnt lgkmcnt(0)
	global_store_b32 v15, v16, s[6:7]
.LBB463_137:
	s_or_b32 exec_lo, exec_lo, s5
.LBB463_138:
	s_and_not1_saveexec_b32 s3, s3
	s_cbranch_execz .LBB463_140
; %bb.139:
	v_lshlrev_b32_e32 v15, 2, v0
	v_readfirstlane_b32 s6, v11
	v_readfirstlane_b32 s7, v12
	ds_load_b32 v16, v15
	s_waitcnt lgkmcnt(0)
	global_store_b32 v15, v16, s[6:7]
.LBB463_140:
	s_or_b32 exec_lo, exec_lo, s3
	v_or_b32_e32 v15, 0x100, v0
	s_mov_b32 s3, exec_lo
	s_delay_alu instid0(VALU_DEP_1)
	v_cmpx_le_u32_e64 v5, v15
	s_xor_b32 s3, exec_lo, s3
	s_cbranch_execz .LBB463_146
; %bb.141:
	s_mov_b32 s5, exec_lo
	v_cmpx_le_u32_e64 v14, v15
	s_xor_b32 s5, exec_lo, s5
	s_cbranch_execz .LBB463_143
; %bb.142:
	v_lshlrev_b32_e32 v15, 2, v0
	ds_load_b32 v17, v15 offset:1024
	v_add_co_u32 v15, vcc_lo, v7, v0
	v_add_co_ci_u32_e32 v16, vcc_lo, 0, v13, vcc_lo
	s_delay_alu instid0(VALU_DEP_1) | instskip(NEXT) | instid1(VALU_DEP_1)
	v_lshlrev_b64 v[15:16], 2, v[15:16]
	v_sub_co_u32 v15, vcc_lo, s1, v15
	s_delay_alu instid0(VALU_DEP_2)
	v_sub_co_ci_u32_e32 v16, vcc_lo, s0, v16, vcc_lo
	s_waitcnt lgkmcnt(0)
	global_store_b32 v[15:16], v17, off offset:-1024
.LBB463_143:
	s_and_not1_saveexec_b32 s5, s5
	s_cbranch_execz .LBB463_145
; %bb.144:
	v_lshlrev_b32_e32 v15, 2, v0
	v_readfirstlane_b32 s6, v9
	v_readfirstlane_b32 s7, v10
	ds_load_b32 v16, v15 offset:1024
	s_waitcnt lgkmcnt(0)
	global_store_b32 v15, v16, s[6:7] offset:1024
.LBB463_145:
	s_or_b32 exec_lo, exec_lo, s5
.LBB463_146:
	s_and_not1_saveexec_b32 s3, s3
	s_cbranch_execz .LBB463_148
; %bb.147:
	v_lshlrev_b32_e32 v15, 2, v0
	v_readfirstlane_b32 s6, v11
	v_readfirstlane_b32 s7, v12
	ds_load_b32 v16, v15 offset:1024
	s_waitcnt lgkmcnt(0)
	global_store_b32 v15, v16, s[6:7] offset:1024
.LBB463_148:
	s_or_b32 exec_lo, exec_lo, s3
	v_or_b32_e32 v15, 0x200, v0
	s_mov_b32 s3, exec_lo
	s_delay_alu instid0(VALU_DEP_1)
	v_cmpx_le_u32_e64 v5, v15
	s_xor_b32 s3, exec_lo, s3
	s_cbranch_execz .LBB463_154
; %bb.149:
	s_mov_b32 s5, exec_lo
	v_cmpx_le_u32_e64 v14, v15
	s_xor_b32 s5, exec_lo, s5
	s_cbranch_execz .LBB463_151
; %bb.150:
	v_lshlrev_b32_e32 v15, 2, v0
	ds_load_b32 v17, v15 offset:2048
	v_add_co_u32 v15, vcc_lo, v7, v0
	v_add_co_ci_u32_e32 v16, vcc_lo, 0, v13, vcc_lo
	s_delay_alu instid0(VALU_DEP_1) | instskip(NEXT) | instid1(VALU_DEP_1)
	v_lshlrev_b64 v[15:16], 2, v[15:16]
	v_sub_co_u32 v15, vcc_lo, s1, v15
	s_delay_alu instid0(VALU_DEP_2)
	v_sub_co_ci_u32_e32 v16, vcc_lo, s0, v16, vcc_lo
	s_waitcnt lgkmcnt(0)
	global_store_b32 v[15:16], v17, off offset:-2048
.LBB463_151:
	s_and_not1_saveexec_b32 s5, s5
	s_cbranch_execz .LBB463_153
; %bb.152:
	v_lshlrev_b32_e32 v15, 2, v0
	v_readfirstlane_b32 s6, v9
	v_readfirstlane_b32 s7, v10
	ds_load_b32 v16, v15 offset:2048
	s_waitcnt lgkmcnt(0)
	global_store_b32 v15, v16, s[6:7] offset:2048
.LBB463_153:
	s_or_b32 exec_lo, exec_lo, s5
.LBB463_154:
	s_and_not1_saveexec_b32 s3, s3
	s_cbranch_execz .LBB463_156
; %bb.155:
	v_lshlrev_b32_e32 v15, 2, v0
	v_readfirstlane_b32 s6, v11
	v_readfirstlane_b32 s7, v12
	ds_load_b32 v16, v15 offset:2048
	s_waitcnt lgkmcnt(0)
	global_store_b32 v15, v16, s[6:7] offset:2048
.LBB463_156:
	;; [unrolled: 47-line block ×3, first 2 shown]
	s_or_b32 exec_lo, exec_lo, s3
	v_or_b32_e32 v15, 0x400, v0
	s_mov_b32 s3, exec_lo
	s_delay_alu instid0(VALU_DEP_1)
	v_cmpx_le_u32_e64 v5, v15
	s_xor_b32 s3, exec_lo, s3
	s_cbranch_execz .LBB463_170
; %bb.165:
	s_mov_b32 s5, exec_lo
	v_cmpx_le_u32_e64 v14, v15
	s_xor_b32 s5, exec_lo, s5
	s_cbranch_execz .LBB463_167
; %bb.166:
	v_lshlrev_b32_e32 v15, 2, v0
	ds_load_b32 v17, v15 offset:4096
	v_add_co_u32 v15, vcc_lo, v7, v0
	v_add_co_ci_u32_e32 v16, vcc_lo, 0, v13, vcc_lo
	s_delay_alu instid0(VALU_DEP_1) | instskip(NEXT) | instid1(VALU_DEP_1)
	v_lshlrev_b64 v[15:16], 2, v[15:16]
	v_sub_co_u32 v15, vcc_lo, s1, v15
	s_delay_alu instid0(VALU_DEP_2)
	v_sub_co_ci_u32_e32 v16, vcc_lo, s0, v16, vcc_lo
	s_waitcnt lgkmcnt(0)
	global_store_b32 v[15:16], v17, off offset:-4096
                                        ; implicit-def: $vgpr15
.LBB463_167:
	s_and_not1_saveexec_b32 s5, s5
	s_cbranch_execz .LBB463_169
; %bb.168:
	v_lshlrev_b32_e32 v16, 2, v0
	v_lshlrev_b32_e32 v15, 2, v15
	v_readfirstlane_b32 s6, v9
	v_readfirstlane_b32 s7, v10
	ds_load_b32 v16, v16 offset:4096
	s_waitcnt lgkmcnt(0)
	global_store_b32 v15, v16, s[6:7]
.LBB463_169:
	s_or_b32 exec_lo, exec_lo, s5
                                        ; implicit-def: $vgpr15
.LBB463_170:
	s_and_not1_saveexec_b32 s3, s3
	s_cbranch_execz .LBB463_172
; %bb.171:
	v_lshlrev_b32_e32 v16, 2, v0
	v_lshlrev_b32_e32 v15, 2, v15
	v_readfirstlane_b32 s6, v11
	v_readfirstlane_b32 s7, v12
	ds_load_b32 v16, v16 offset:4096
	s_waitcnt lgkmcnt(0)
	global_store_b32 v15, v16, s[6:7]
.LBB463_172:
	s_or_b32 exec_lo, exec_lo, s3
	v_or_b32_e32 v15, 0x500, v0
	s_mov_b32 s3, exec_lo
	s_delay_alu instid0(VALU_DEP_1)
	v_cmpx_le_u32_e64 v5, v15
	s_xor_b32 s3, exec_lo, s3
	s_cbranch_execz .LBB463_178
; %bb.173:
	s_mov_b32 s5, exec_lo
	v_cmpx_le_u32_e64 v14, v15
	s_xor_b32 s5, exec_lo, s5
	s_cbranch_execz .LBB463_175
; %bb.174:
	v_lshlrev_b32_e32 v16, 2, v0
	v_add_co_u32 v15, vcc_lo, v7, v15
	ds_load_b32 v17, v16 offset:5120
	v_add_co_ci_u32_e32 v16, vcc_lo, 0, v13, vcc_lo
	s_delay_alu instid0(VALU_DEP_1) | instskip(NEXT) | instid1(VALU_DEP_1)
	v_lshlrev_b64 v[15:16], 2, v[15:16]
	v_sub_co_u32 v15, vcc_lo, s1, v15
	s_delay_alu instid0(VALU_DEP_2)
	v_sub_co_ci_u32_e32 v16, vcc_lo, s0, v16, vcc_lo
	s_waitcnt lgkmcnt(0)
	global_store_b32 v[15:16], v17, off
                                        ; implicit-def: $vgpr15
.LBB463_175:
	s_and_not1_saveexec_b32 s5, s5
	s_cbranch_execz .LBB463_177
; %bb.176:
	v_lshlrev_b32_e32 v16, 2, v0
	v_lshlrev_b32_e32 v15, 2, v15
	v_readfirstlane_b32 s6, v9
	v_readfirstlane_b32 s7, v10
	ds_load_b32 v16, v16 offset:5120
	s_waitcnt lgkmcnt(0)
	global_store_b32 v15, v16, s[6:7]
.LBB463_177:
	s_or_b32 exec_lo, exec_lo, s5
                                        ; implicit-def: $vgpr15
.LBB463_178:
	s_and_not1_saveexec_b32 s3, s3
	s_cbranch_execz .LBB463_180
; %bb.179:
	v_lshlrev_b32_e32 v16, 2, v0
	v_lshlrev_b32_e32 v15, 2, v15
	v_readfirstlane_b32 s6, v11
	v_readfirstlane_b32 s7, v12
	ds_load_b32 v16, v16 offset:5120
	s_waitcnt lgkmcnt(0)
	global_store_b32 v15, v16, s[6:7]
.LBB463_180:
	s_or_b32 exec_lo, exec_lo, s3
	v_or_b32_e32 v15, 0x600, v0
	s_mov_b32 s3, exec_lo
	s_delay_alu instid0(VALU_DEP_1)
	v_cmpx_le_u32_e64 v5, v15
	s_xor_b32 s3, exec_lo, s3
	s_cbranch_execz .LBB463_186
; %bb.181:
	s_mov_b32 s5, exec_lo
	v_cmpx_le_u32_e64 v14, v15
	s_xor_b32 s5, exec_lo, s5
	s_cbranch_execz .LBB463_183
; %bb.182:
	v_lshlrev_b32_e32 v16, 2, v0
	v_add_co_u32 v15, vcc_lo, v7, v15
	ds_load_b32 v17, v16 offset:6144
	v_add_co_ci_u32_e32 v16, vcc_lo, 0, v13, vcc_lo
	s_delay_alu instid0(VALU_DEP_1) | instskip(NEXT) | instid1(VALU_DEP_1)
	v_lshlrev_b64 v[15:16], 2, v[15:16]
	v_sub_co_u32 v15, vcc_lo, s1, v15
	s_delay_alu instid0(VALU_DEP_2)
	v_sub_co_ci_u32_e32 v16, vcc_lo, s0, v16, vcc_lo
	s_waitcnt lgkmcnt(0)
	global_store_b32 v[15:16], v17, off
                                        ; implicit-def: $vgpr15
.LBB463_183:
	s_and_not1_saveexec_b32 s5, s5
	s_cbranch_execz .LBB463_185
; %bb.184:
	v_lshlrev_b32_e32 v16, 2, v0
	v_lshlrev_b32_e32 v15, 2, v15
	v_readfirstlane_b32 s6, v9
	v_readfirstlane_b32 s7, v10
	ds_load_b32 v16, v16 offset:6144
	s_waitcnt lgkmcnt(0)
	global_store_b32 v15, v16, s[6:7]
.LBB463_185:
	s_or_b32 exec_lo, exec_lo, s5
                                        ; implicit-def: $vgpr15
.LBB463_186:
	;; [unrolled: 51-line block ×8, first 2 shown]
	s_and_not1_saveexec_b32 s3, s3
	s_cbranch_execz .LBB463_236
; %bb.235:
	v_lshlrev_b32_e32 v16, 2, v0
	v_lshlrev_b32_e32 v15, 2, v15
	v_readfirstlane_b32 s6, v11
	v_readfirstlane_b32 s7, v12
	ds_load_b32 v16, v16 offset:12288
	s_waitcnt lgkmcnt(0)
	global_store_b32 v15, v16, s[6:7]
.LBB463_236:
	s_or_b32 exec_lo, exec_lo, s3
	s_branch .LBB463_130
.LBB463_237:
	s_mov_b32 s3, exec_lo
	v_cmpx_gt_u32_e64 s4, v0
	s_cbranch_execz .LBB463_246
; %bb.238:
	s_mov_b32 s5, exec_lo
	v_cmpx_le_u32_e64 v5, v0
	s_xor_b32 s5, exec_lo, s5
	s_cbranch_execz .LBB463_244
; %bb.239:
	s_mov_b32 s6, exec_lo
	v_cmpx_le_u32_e64 v14, v0
	s_xor_b32 s6, exec_lo, s6
	s_cbranch_execz .LBB463_241
; %bb.240:
	v_lshlrev_b32_e32 v15, 2, v0
	ds_load_b32 v17, v15
	v_add_co_u32 v15, vcc_lo, v7, v0
	v_add_co_ci_u32_e32 v16, vcc_lo, 0, v13, vcc_lo
	s_delay_alu instid0(VALU_DEP_1) | instskip(NEXT) | instid1(VALU_DEP_1)
	v_lshlrev_b64 v[15:16], 2, v[15:16]
	v_sub_co_u32 v15, vcc_lo, s14, v15
	s_delay_alu instid0(VALU_DEP_2)
	v_sub_co_ci_u32_e32 v16, vcc_lo, s15, v16, vcc_lo
	s_waitcnt lgkmcnt(0)
	global_store_b32 v[15:16], v17, off offset:-4
.LBB463_241:
	s_and_not1_saveexec_b32 s6, s6
	s_cbranch_execz .LBB463_243
; %bb.242:
	v_lshlrev_b32_e32 v15, 2, v0
	v_readfirstlane_b32 s8, v9
	v_readfirstlane_b32 s9, v10
	ds_load_b32 v16, v15
	s_waitcnt lgkmcnt(0)
	global_store_b32 v15, v16, s[8:9]
.LBB463_243:
	s_or_b32 exec_lo, exec_lo, s6
.LBB463_244:
	s_and_not1_saveexec_b32 s5, s5
	s_cbranch_execz .LBB463_246
; %bb.245:
	v_lshlrev_b32_e32 v15, 2, v0
	v_readfirstlane_b32 s6, v11
	v_readfirstlane_b32 s7, v12
	ds_load_b32 v16, v15
	s_waitcnt lgkmcnt(0)
	global_store_b32 v15, v16, s[6:7]
.LBB463_246:
	s_or_b32 exec_lo, exec_lo, s3
	v_or_b32_e32 v15, 0x100, v0
	s_mov_b32 s3, exec_lo
	s_delay_alu instid0(VALU_DEP_1)
	v_cmpx_gt_u32_e64 s4, v15
	s_cbranch_execz .LBB463_255
; %bb.247:
	s_mov_b32 s5, exec_lo
	v_cmpx_le_u32_e64 v5, v15
	s_xor_b32 s5, exec_lo, s5
	s_cbranch_execz .LBB463_253
; %bb.248:
	s_mov_b32 s6, exec_lo
	v_cmpx_le_u32_e64 v14, v15
	s_xor_b32 s6, exec_lo, s6
	s_cbranch_execz .LBB463_250
; %bb.249:
	v_lshlrev_b32_e32 v15, 2, v0
	ds_load_b32 v17, v15 offset:1024
	v_add_co_u32 v15, vcc_lo, v7, v0
	v_add_co_ci_u32_e32 v16, vcc_lo, 0, v13, vcc_lo
	s_delay_alu instid0(VALU_DEP_1) | instskip(NEXT) | instid1(VALU_DEP_1)
	v_lshlrev_b64 v[15:16], 2, v[15:16]
	v_sub_co_u32 v15, vcc_lo, s1, v15
	s_delay_alu instid0(VALU_DEP_2)
	v_sub_co_ci_u32_e32 v16, vcc_lo, s0, v16, vcc_lo
	s_waitcnt lgkmcnt(0)
	global_store_b32 v[15:16], v17, off offset:-1024
.LBB463_250:
	s_and_not1_saveexec_b32 s6, s6
	s_cbranch_execz .LBB463_252
; %bb.251:
	v_lshlrev_b32_e32 v15, 2, v0
	v_readfirstlane_b32 s8, v9
	v_readfirstlane_b32 s9, v10
	ds_load_b32 v16, v15 offset:1024
	s_waitcnt lgkmcnt(0)
	global_store_b32 v15, v16, s[8:9] offset:1024
.LBB463_252:
	s_or_b32 exec_lo, exec_lo, s6
.LBB463_253:
	s_and_not1_saveexec_b32 s5, s5
	s_cbranch_execz .LBB463_255
; %bb.254:
	v_lshlrev_b32_e32 v15, 2, v0
	v_readfirstlane_b32 s6, v11
	v_readfirstlane_b32 s7, v12
	ds_load_b32 v16, v15 offset:1024
	s_waitcnt lgkmcnt(0)
	global_store_b32 v15, v16, s[6:7] offset:1024
.LBB463_255:
	s_or_b32 exec_lo, exec_lo, s3
	v_or_b32_e32 v15, 0x200, v0
	s_mov_b32 s3, exec_lo
	s_delay_alu instid0(VALU_DEP_1)
	v_cmpx_gt_u32_e64 s4, v15
	s_cbranch_execz .LBB463_264
; %bb.256:
	s_mov_b32 s5, exec_lo
	v_cmpx_le_u32_e64 v5, v15
	s_xor_b32 s5, exec_lo, s5
	s_cbranch_execz .LBB463_262
; %bb.257:
	s_mov_b32 s6, exec_lo
	v_cmpx_le_u32_e64 v14, v15
	s_xor_b32 s6, exec_lo, s6
	s_cbranch_execz .LBB463_259
; %bb.258:
	v_lshlrev_b32_e32 v15, 2, v0
	ds_load_b32 v17, v15 offset:2048
	v_add_co_u32 v15, vcc_lo, v7, v0
	v_add_co_ci_u32_e32 v16, vcc_lo, 0, v13, vcc_lo
	s_delay_alu instid0(VALU_DEP_1) | instskip(NEXT) | instid1(VALU_DEP_1)
	v_lshlrev_b64 v[15:16], 2, v[15:16]
	v_sub_co_u32 v15, vcc_lo, s1, v15
	s_delay_alu instid0(VALU_DEP_2)
	v_sub_co_ci_u32_e32 v16, vcc_lo, s0, v16, vcc_lo
	s_waitcnt lgkmcnt(0)
	global_store_b32 v[15:16], v17, off offset:-2048
.LBB463_259:
	s_and_not1_saveexec_b32 s6, s6
	s_cbranch_execz .LBB463_261
; %bb.260:
	v_lshlrev_b32_e32 v15, 2, v0
	v_readfirstlane_b32 s8, v9
	v_readfirstlane_b32 s9, v10
	ds_load_b32 v16, v15 offset:2048
	s_waitcnt lgkmcnt(0)
	global_store_b32 v15, v16, s[8:9] offset:2048
.LBB463_261:
	s_or_b32 exec_lo, exec_lo, s6
.LBB463_262:
	s_and_not1_saveexec_b32 s5, s5
	s_cbranch_execz .LBB463_264
; %bb.263:
	v_lshlrev_b32_e32 v15, 2, v0
	v_readfirstlane_b32 s6, v11
	v_readfirstlane_b32 s7, v12
	ds_load_b32 v16, v15 offset:2048
	s_waitcnt lgkmcnt(0)
	global_store_b32 v15, v16, s[6:7] offset:2048
.LBB463_264:
	;; [unrolled: 51-line block ×3, first 2 shown]
	s_or_b32 exec_lo, exec_lo, s3
	v_or_b32_e32 v15, 0x400, v0
	s_mov_b32 s3, exec_lo
	s_delay_alu instid0(VALU_DEP_1)
	v_cmpx_gt_u32_e64 s4, v15
	s_cbranch_execz .LBB463_282
; %bb.274:
	s_mov_b32 s5, exec_lo
	v_cmpx_le_u32_e64 v5, v15
	s_xor_b32 s5, exec_lo, s5
	s_cbranch_execz .LBB463_280
; %bb.275:
	s_mov_b32 s6, exec_lo
	v_cmpx_le_u32_e64 v14, v15
	s_xor_b32 s6, exec_lo, s6
	s_cbranch_execz .LBB463_277
; %bb.276:
	v_lshlrev_b32_e32 v15, 2, v0
	ds_load_b32 v17, v15 offset:4096
	v_add_co_u32 v15, vcc_lo, v7, v0
	v_add_co_ci_u32_e32 v16, vcc_lo, 0, v13, vcc_lo
	s_delay_alu instid0(VALU_DEP_1) | instskip(NEXT) | instid1(VALU_DEP_1)
	v_lshlrev_b64 v[15:16], 2, v[15:16]
	v_sub_co_u32 v15, vcc_lo, s1, v15
	s_delay_alu instid0(VALU_DEP_2)
	v_sub_co_ci_u32_e32 v16, vcc_lo, s0, v16, vcc_lo
	s_waitcnt lgkmcnt(0)
	global_store_b32 v[15:16], v17, off offset:-4096
                                        ; implicit-def: $vgpr15
.LBB463_277:
	s_and_not1_saveexec_b32 s6, s6
	s_cbranch_execz .LBB463_279
; %bb.278:
	v_lshlrev_b32_e32 v16, 2, v0
	v_lshlrev_b32_e32 v15, 2, v15
	v_readfirstlane_b32 s8, v9
	v_readfirstlane_b32 s9, v10
	ds_load_b32 v16, v16 offset:4096
	s_waitcnt lgkmcnt(0)
	global_store_b32 v15, v16, s[8:9]
.LBB463_279:
	s_or_b32 exec_lo, exec_lo, s6
                                        ; implicit-def: $vgpr15
.LBB463_280:
	s_and_not1_saveexec_b32 s5, s5
	s_cbranch_execz .LBB463_282
; %bb.281:
	v_lshlrev_b32_e32 v16, 2, v0
	v_lshlrev_b32_e32 v15, 2, v15
	v_readfirstlane_b32 s6, v11
	v_readfirstlane_b32 s7, v12
	ds_load_b32 v16, v16 offset:4096
	s_waitcnt lgkmcnt(0)
	global_store_b32 v15, v16, s[6:7]
.LBB463_282:
	s_or_b32 exec_lo, exec_lo, s3
	v_or_b32_e32 v15, 0x500, v0
	s_mov_b32 s3, exec_lo
	s_delay_alu instid0(VALU_DEP_1)
	v_cmpx_gt_u32_e64 s4, v15
	s_cbranch_execz .LBB463_291
; %bb.283:
	s_mov_b32 s5, exec_lo
	v_cmpx_le_u32_e64 v5, v15
	s_xor_b32 s5, exec_lo, s5
	s_cbranch_execz .LBB463_289
; %bb.284:
	s_mov_b32 s6, exec_lo
	v_cmpx_le_u32_e64 v14, v15
	s_xor_b32 s6, exec_lo, s6
	s_cbranch_execz .LBB463_286
; %bb.285:
	v_lshlrev_b32_e32 v16, 2, v0
	v_add_co_u32 v15, vcc_lo, v7, v15
	ds_load_b32 v17, v16 offset:5120
	v_add_co_ci_u32_e32 v16, vcc_lo, 0, v13, vcc_lo
	s_delay_alu instid0(VALU_DEP_1) | instskip(NEXT) | instid1(VALU_DEP_1)
	v_lshlrev_b64 v[15:16], 2, v[15:16]
	v_sub_co_u32 v15, vcc_lo, s1, v15
	s_delay_alu instid0(VALU_DEP_2)
	v_sub_co_ci_u32_e32 v16, vcc_lo, s0, v16, vcc_lo
	s_waitcnt lgkmcnt(0)
	global_store_b32 v[15:16], v17, off
                                        ; implicit-def: $vgpr15
.LBB463_286:
	s_and_not1_saveexec_b32 s6, s6
	s_cbranch_execz .LBB463_288
; %bb.287:
	v_lshlrev_b32_e32 v16, 2, v0
	v_lshlrev_b32_e32 v15, 2, v15
	v_readfirstlane_b32 s8, v9
	v_readfirstlane_b32 s9, v10
	ds_load_b32 v16, v16 offset:5120
	s_waitcnt lgkmcnt(0)
	global_store_b32 v15, v16, s[8:9]
.LBB463_288:
	s_or_b32 exec_lo, exec_lo, s6
                                        ; implicit-def: $vgpr15
.LBB463_289:
	s_and_not1_saveexec_b32 s5, s5
	s_cbranch_execz .LBB463_291
; %bb.290:
	v_lshlrev_b32_e32 v16, 2, v0
	v_lshlrev_b32_e32 v15, 2, v15
	v_readfirstlane_b32 s6, v11
	v_readfirstlane_b32 s7, v12
	ds_load_b32 v16, v16 offset:5120
	s_waitcnt lgkmcnt(0)
	global_store_b32 v15, v16, s[6:7]
.LBB463_291:
	s_or_b32 exec_lo, exec_lo, s3
	v_or_b32_e32 v15, 0x600, v0
	s_mov_b32 s3, exec_lo
	s_delay_alu instid0(VALU_DEP_1)
	v_cmpx_gt_u32_e64 s4, v15
	s_cbranch_execz .LBB463_300
; %bb.292:
	s_mov_b32 s5, exec_lo
	v_cmpx_le_u32_e64 v5, v15
	s_xor_b32 s5, exec_lo, s5
	s_cbranch_execz .LBB463_298
; %bb.293:
	s_mov_b32 s6, exec_lo
	v_cmpx_le_u32_e64 v14, v15
	s_xor_b32 s6, exec_lo, s6
	s_cbranch_execz .LBB463_295
; %bb.294:
	v_lshlrev_b32_e32 v16, 2, v0
	v_add_co_u32 v15, vcc_lo, v7, v15
	ds_load_b32 v17, v16 offset:6144
	v_add_co_ci_u32_e32 v16, vcc_lo, 0, v13, vcc_lo
	s_delay_alu instid0(VALU_DEP_1) | instskip(NEXT) | instid1(VALU_DEP_1)
	v_lshlrev_b64 v[15:16], 2, v[15:16]
	v_sub_co_u32 v15, vcc_lo, s1, v15
	s_delay_alu instid0(VALU_DEP_2)
	v_sub_co_ci_u32_e32 v16, vcc_lo, s0, v16, vcc_lo
	s_waitcnt lgkmcnt(0)
	global_store_b32 v[15:16], v17, off
                                        ; implicit-def: $vgpr15
.LBB463_295:
	s_and_not1_saveexec_b32 s6, s6
	s_cbranch_execz .LBB463_297
; %bb.296:
	v_lshlrev_b32_e32 v16, 2, v0
	v_lshlrev_b32_e32 v15, 2, v15
	v_readfirstlane_b32 s8, v9
	v_readfirstlane_b32 s9, v10
	ds_load_b32 v16, v16 offset:6144
	s_waitcnt lgkmcnt(0)
	global_store_b32 v15, v16, s[8:9]
.LBB463_297:
	s_or_b32 exec_lo, exec_lo, s6
                                        ; implicit-def: $vgpr15
.LBB463_298:
	s_and_not1_saveexec_b32 s5, s5
	s_cbranch_execz .LBB463_300
; %bb.299:
	v_lshlrev_b32_e32 v16, 2, v0
	v_lshlrev_b32_e32 v15, 2, v15
	v_readfirstlane_b32 s6, v11
	v_readfirstlane_b32 s7, v12
	ds_load_b32 v16, v16 offset:6144
	s_waitcnt lgkmcnt(0)
	global_store_b32 v15, v16, s[6:7]
.LBB463_300:
	s_or_b32 exec_lo, exec_lo, s3
	v_or_b32_e32 v15, 0x700, v0
	s_mov_b32 s3, exec_lo
	s_delay_alu instid0(VALU_DEP_1)
	v_cmpx_gt_u32_e64 s4, v15
	s_cbranch_execz .LBB463_309
; %bb.301:
	s_mov_b32 s5, exec_lo
	v_cmpx_le_u32_e64 v5, v15
	s_xor_b32 s5, exec_lo, s5
	s_cbranch_execz .LBB463_307
; %bb.302:
	s_mov_b32 s6, exec_lo
	v_cmpx_le_u32_e64 v14, v15
	s_xor_b32 s6, exec_lo, s6
	s_cbranch_execz .LBB463_304
; %bb.303:
	v_lshlrev_b32_e32 v16, 2, v0
	v_add_co_u32 v15, vcc_lo, v7, v15
	ds_load_b32 v17, v16 offset:7168
	v_add_co_ci_u32_e32 v16, vcc_lo, 0, v13, vcc_lo
	s_delay_alu instid0(VALU_DEP_1) | instskip(NEXT) | instid1(VALU_DEP_1)
	v_lshlrev_b64 v[15:16], 2, v[15:16]
	v_sub_co_u32 v15, vcc_lo, s1, v15
	s_delay_alu instid0(VALU_DEP_2)
	v_sub_co_ci_u32_e32 v16, vcc_lo, s0, v16, vcc_lo
	s_waitcnt lgkmcnt(0)
	global_store_b32 v[15:16], v17, off
                                        ; implicit-def: $vgpr15
.LBB463_304:
	s_and_not1_saveexec_b32 s6, s6
	s_cbranch_execz .LBB463_306
; %bb.305:
	v_lshlrev_b32_e32 v16, 2, v0
	v_lshlrev_b32_e32 v15, 2, v15
	v_readfirstlane_b32 s8, v9
	v_readfirstlane_b32 s9, v10
	ds_load_b32 v16, v16 offset:7168
	s_waitcnt lgkmcnt(0)
	global_store_b32 v15, v16, s[8:9]
.LBB463_306:
	s_or_b32 exec_lo, exec_lo, s6
                                        ; implicit-def: $vgpr15
.LBB463_307:
	s_and_not1_saveexec_b32 s5, s5
	s_cbranch_execz .LBB463_309
; %bb.308:
	v_lshlrev_b32_e32 v16, 2, v0
	v_lshlrev_b32_e32 v15, 2, v15
	v_readfirstlane_b32 s6, v11
	v_readfirstlane_b32 s7, v12
	ds_load_b32 v16, v16 offset:7168
	s_waitcnt lgkmcnt(0)
	global_store_b32 v15, v16, s[6:7]
.LBB463_309:
	s_or_b32 exec_lo, exec_lo, s3
	v_or_b32_e32 v15, 0x800, v0
	s_mov_b32 s3, exec_lo
	s_delay_alu instid0(VALU_DEP_1)
	v_cmpx_gt_u32_e64 s4, v15
	s_cbranch_execz .LBB463_318
; %bb.310:
	s_mov_b32 s5, exec_lo
	v_cmpx_le_u32_e64 v5, v15
	s_xor_b32 s5, exec_lo, s5
	s_cbranch_execz .LBB463_316
; %bb.311:
	s_mov_b32 s6, exec_lo
	v_cmpx_le_u32_e64 v14, v15
	s_xor_b32 s6, exec_lo, s6
	s_cbranch_execz .LBB463_313
; %bb.312:
	v_lshlrev_b32_e32 v16, 2, v0
	v_add_co_u32 v15, vcc_lo, v7, v15
	ds_load_b32 v17, v16 offset:8192
	v_add_co_ci_u32_e32 v16, vcc_lo, 0, v13, vcc_lo
	s_delay_alu instid0(VALU_DEP_1) | instskip(NEXT) | instid1(VALU_DEP_1)
	v_lshlrev_b64 v[15:16], 2, v[15:16]
	v_sub_co_u32 v15, vcc_lo, s1, v15
	s_delay_alu instid0(VALU_DEP_2)
	v_sub_co_ci_u32_e32 v16, vcc_lo, s0, v16, vcc_lo
	s_waitcnt lgkmcnt(0)
	global_store_b32 v[15:16], v17, off
                                        ; implicit-def: $vgpr15
.LBB463_313:
	s_and_not1_saveexec_b32 s6, s6
	s_cbranch_execz .LBB463_315
; %bb.314:
	v_lshlrev_b32_e32 v16, 2, v0
	v_lshlrev_b32_e32 v15, 2, v15
	v_readfirstlane_b32 s8, v9
	v_readfirstlane_b32 s9, v10
	ds_load_b32 v16, v16 offset:8192
	s_waitcnt lgkmcnt(0)
	global_store_b32 v15, v16, s[8:9]
.LBB463_315:
	s_or_b32 exec_lo, exec_lo, s6
                                        ; implicit-def: $vgpr15
.LBB463_316:
	s_and_not1_saveexec_b32 s5, s5
	s_cbranch_execz .LBB463_318
; %bb.317:
	v_lshlrev_b32_e32 v16, 2, v0
	v_lshlrev_b32_e32 v15, 2, v15
	v_readfirstlane_b32 s6, v11
	v_readfirstlane_b32 s7, v12
	ds_load_b32 v16, v16 offset:8192
	s_waitcnt lgkmcnt(0)
	global_store_b32 v15, v16, s[6:7]
.LBB463_318:
	s_or_b32 exec_lo, exec_lo, s3
	v_or_b32_e32 v15, 0x900, v0
	s_mov_b32 s3, exec_lo
	s_delay_alu instid0(VALU_DEP_1)
	v_cmpx_gt_u32_e64 s4, v15
	s_cbranch_execz .LBB463_327
; %bb.319:
	s_mov_b32 s5, exec_lo
	v_cmpx_le_u32_e64 v5, v15
	s_xor_b32 s5, exec_lo, s5
	s_cbranch_execz .LBB463_325
; %bb.320:
	s_mov_b32 s6, exec_lo
	v_cmpx_le_u32_e64 v14, v15
	s_xor_b32 s6, exec_lo, s6
	s_cbranch_execz .LBB463_322
; %bb.321:
	v_lshlrev_b32_e32 v16, 2, v0
	v_add_co_u32 v15, vcc_lo, v7, v15
	ds_load_b32 v17, v16 offset:9216
	v_add_co_ci_u32_e32 v16, vcc_lo, 0, v13, vcc_lo
	s_delay_alu instid0(VALU_DEP_1) | instskip(NEXT) | instid1(VALU_DEP_1)
	v_lshlrev_b64 v[15:16], 2, v[15:16]
	v_sub_co_u32 v15, vcc_lo, s1, v15
	s_delay_alu instid0(VALU_DEP_2)
	v_sub_co_ci_u32_e32 v16, vcc_lo, s0, v16, vcc_lo
	s_waitcnt lgkmcnt(0)
	global_store_b32 v[15:16], v17, off
                                        ; implicit-def: $vgpr15
.LBB463_322:
	s_and_not1_saveexec_b32 s6, s6
	s_cbranch_execz .LBB463_324
; %bb.323:
	v_lshlrev_b32_e32 v16, 2, v0
	v_lshlrev_b32_e32 v15, 2, v15
	v_readfirstlane_b32 s8, v9
	v_readfirstlane_b32 s9, v10
	ds_load_b32 v16, v16 offset:9216
	s_waitcnt lgkmcnt(0)
	global_store_b32 v15, v16, s[8:9]
.LBB463_324:
	s_or_b32 exec_lo, exec_lo, s6
                                        ; implicit-def: $vgpr15
.LBB463_325:
	s_and_not1_saveexec_b32 s5, s5
	s_cbranch_execz .LBB463_327
; %bb.326:
	v_lshlrev_b32_e32 v16, 2, v0
	v_lshlrev_b32_e32 v15, 2, v15
	v_readfirstlane_b32 s6, v11
	v_readfirstlane_b32 s7, v12
	ds_load_b32 v16, v16 offset:9216
	s_waitcnt lgkmcnt(0)
	global_store_b32 v15, v16, s[6:7]
.LBB463_327:
	s_or_b32 exec_lo, exec_lo, s3
	v_or_b32_e32 v15, 0xa00, v0
	s_mov_b32 s3, exec_lo
	s_delay_alu instid0(VALU_DEP_1)
	v_cmpx_gt_u32_e64 s4, v15
	s_cbranch_execz .LBB463_336
; %bb.328:
	s_mov_b32 s5, exec_lo
	v_cmpx_le_u32_e64 v5, v15
	s_xor_b32 s5, exec_lo, s5
	s_cbranch_execz .LBB463_334
; %bb.329:
	s_mov_b32 s6, exec_lo
	v_cmpx_le_u32_e64 v14, v15
	s_xor_b32 s6, exec_lo, s6
	s_cbranch_execz .LBB463_331
; %bb.330:
	v_lshlrev_b32_e32 v16, 2, v0
	v_add_co_u32 v15, vcc_lo, v7, v15
	ds_load_b32 v17, v16 offset:10240
	v_add_co_ci_u32_e32 v16, vcc_lo, 0, v13, vcc_lo
	s_delay_alu instid0(VALU_DEP_1) | instskip(NEXT) | instid1(VALU_DEP_1)
	v_lshlrev_b64 v[15:16], 2, v[15:16]
	v_sub_co_u32 v15, vcc_lo, s1, v15
	s_delay_alu instid0(VALU_DEP_2)
	v_sub_co_ci_u32_e32 v16, vcc_lo, s0, v16, vcc_lo
	s_waitcnt lgkmcnt(0)
	global_store_b32 v[15:16], v17, off
                                        ; implicit-def: $vgpr15
.LBB463_331:
	s_and_not1_saveexec_b32 s6, s6
	s_cbranch_execz .LBB463_333
; %bb.332:
	v_lshlrev_b32_e32 v16, 2, v0
	v_lshlrev_b32_e32 v15, 2, v15
	v_readfirstlane_b32 s8, v9
	v_readfirstlane_b32 s9, v10
	ds_load_b32 v16, v16 offset:10240
	s_waitcnt lgkmcnt(0)
	global_store_b32 v15, v16, s[8:9]
.LBB463_333:
	s_or_b32 exec_lo, exec_lo, s6
                                        ; implicit-def: $vgpr15
.LBB463_334:
	s_and_not1_saveexec_b32 s5, s5
	s_cbranch_execz .LBB463_336
; %bb.335:
	v_lshlrev_b32_e32 v16, 2, v0
	v_lshlrev_b32_e32 v15, 2, v15
	v_readfirstlane_b32 s6, v11
	v_readfirstlane_b32 s7, v12
	ds_load_b32 v16, v16 offset:10240
	s_waitcnt lgkmcnt(0)
	global_store_b32 v15, v16, s[6:7]
.LBB463_336:
	s_or_b32 exec_lo, exec_lo, s3
	v_or_b32_e32 v15, 0xb00, v0
	s_mov_b32 s3, exec_lo
	s_delay_alu instid0(VALU_DEP_1)
	v_cmpx_gt_u32_e64 s4, v15
	s_cbranch_execz .LBB463_345
; %bb.337:
	s_mov_b32 s5, exec_lo
	v_cmpx_le_u32_e64 v5, v15
	s_xor_b32 s5, exec_lo, s5
	s_cbranch_execz .LBB463_343
; %bb.338:
	s_mov_b32 s6, exec_lo
	v_cmpx_le_u32_e64 v14, v15
	s_xor_b32 s6, exec_lo, s6
	s_cbranch_execz .LBB463_340
; %bb.339:
	v_lshlrev_b32_e32 v16, 2, v0
	v_add_co_u32 v15, vcc_lo, v7, v15
	ds_load_b32 v17, v16 offset:11264
	v_add_co_ci_u32_e32 v16, vcc_lo, 0, v13, vcc_lo
	s_delay_alu instid0(VALU_DEP_1) | instskip(NEXT) | instid1(VALU_DEP_1)
	v_lshlrev_b64 v[15:16], 2, v[15:16]
	v_sub_co_u32 v15, vcc_lo, s1, v15
	s_delay_alu instid0(VALU_DEP_2)
	v_sub_co_ci_u32_e32 v16, vcc_lo, s0, v16, vcc_lo
	s_waitcnt lgkmcnt(0)
	global_store_b32 v[15:16], v17, off
                                        ; implicit-def: $vgpr15
.LBB463_340:
	s_and_not1_saveexec_b32 s6, s6
	s_cbranch_execz .LBB463_342
; %bb.341:
	v_lshlrev_b32_e32 v16, 2, v0
	v_lshlrev_b32_e32 v15, 2, v15
	v_readfirstlane_b32 s8, v9
	v_readfirstlane_b32 s9, v10
	ds_load_b32 v16, v16 offset:11264
	s_waitcnt lgkmcnt(0)
	global_store_b32 v15, v16, s[8:9]
.LBB463_342:
	s_or_b32 exec_lo, exec_lo, s6
                                        ; implicit-def: $vgpr15
.LBB463_343:
	s_and_not1_saveexec_b32 s5, s5
	s_cbranch_execz .LBB463_345
; %bb.344:
	v_lshlrev_b32_e32 v16, 2, v0
	v_lshlrev_b32_e32 v15, 2, v15
	v_readfirstlane_b32 s6, v11
	v_readfirstlane_b32 s7, v12
	ds_load_b32 v16, v16 offset:11264
	s_waitcnt lgkmcnt(0)
	global_store_b32 v15, v16, s[6:7]
.LBB463_345:
	s_or_b32 exec_lo, exec_lo, s3
	v_or_b32_e32 v15, 0xc00, v0
	s_mov_b32 s3, exec_lo
	s_delay_alu instid0(VALU_DEP_1)
	v_cmpx_gt_u32_e64 s4, v15
	s_cbranch_execz .LBB463_354
; %bb.346:
	s_mov_b32 s4, exec_lo
	v_cmpx_le_u32_e64 v5, v15
	s_xor_b32 s4, exec_lo, s4
	s_cbranch_execz .LBB463_352
; %bb.347:
	s_mov_b32 s5, exec_lo
	v_cmpx_le_u32_e64 v14, v15
	s_xor_b32 s5, exec_lo, s5
	s_cbranch_execz .LBB463_349
; %bb.348:
	v_lshlrev_b32_e32 v0, 2, v0
	v_add_co_u32 v9, vcc_lo, v7, v15
	v_add_co_ci_u32_e32 v10, vcc_lo, 0, v13, vcc_lo
	ds_load_b32 v0, v0 offset:12288
                                        ; implicit-def: $vgpr15
	v_lshlrev_b64 v[9:10], 2, v[9:10]
	s_delay_alu instid0(VALU_DEP_1) | instskip(NEXT) | instid1(VALU_DEP_2)
	v_sub_co_u32 v9, vcc_lo, s1, v9
	v_sub_co_ci_u32_e32 v10, vcc_lo, s0, v10, vcc_lo
	s_waitcnt lgkmcnt(0)
	global_store_b32 v[9:10], v0, off
                                        ; implicit-def: $vgpr0
                                        ; implicit-def: $vgpr9_vgpr10
.LBB463_349:
	s_and_not1_saveexec_b32 s0, s5
	s_cbranch_execz .LBB463_351
; %bb.350:
	v_lshlrev_b32_e32 v0, 2, v0
	v_lshlrev_b32_e32 v7, 2, v15
	v_readfirstlane_b32 s6, v9
	v_readfirstlane_b32 s7, v10
	ds_load_b32 v0, v0 offset:12288
	s_waitcnt lgkmcnt(0)
	global_store_b32 v7, v0, s[6:7]
.LBB463_351:
	s_or_b32 exec_lo, exec_lo, s0
                                        ; implicit-def: $vgpr0
                                        ; implicit-def: $vgpr15
                                        ; implicit-def: $vgpr11_vgpr12
.LBB463_352:
	s_and_not1_saveexec_b32 s0, s4
	s_cbranch_execz .LBB463_354
; %bb.353:
	v_lshlrev_b32_e32 v0, 2, v0
	v_lshlrev_b32_e32 v7, 2, v15
	v_readfirstlane_b32 s0, v11
	v_readfirstlane_b32 s1, v12
	ds_load_b32 v0, v0 offset:12288
	s_waitcnt lgkmcnt(0)
	global_store_b32 v7, v0, s[0:1]
.LBB463_354:
	s_or_b32 exec_lo, exec_lo, s3
	s_and_b32 s0, s2, s13
	s_delay_alu instid0(SALU_CYCLE_1)
	s_and_saveexec_b32 s1, s0
	s_cbranch_execz .LBB463_131
.LBB463_355:
	v_add_co_u32 v3, vcc_lo, v3, v6
	v_add_co_ci_u32_e32 v4, vcc_lo, 0, v4, vcc_lo
	v_add_co_u32 v0, vcc_lo, v1, v5
	v_add_co_ci_u32_e32 v1, vcc_lo, 0, v2, vcc_lo
	s_delay_alu instid0(VALU_DEP_4)
	v_add_co_u32 v2, vcc_lo, v3, v8
	v_mov_b32_e32 v7, 0
	v_add_co_ci_u32_e32 v3, vcc_lo, 0, v4, vcc_lo
	global_store_b128 v7, v[0:3], s[24:25]
	s_nop 0
	s_sendmsg sendmsg(MSG_DEALLOC_VGPRS)
	s_endpgm
.LBB463_356:
	v_add_nc_u32_e32 v7, s6, v27
	s_add_i32 s8, s26, 32
	s_mov_b32 s9, 0
	v_dual_mov_b32 v9, 0 :: v_dual_add_nc_u32 v6, v26, v5
	s_lshl_b64 s[8:9], s[8:9], 4
	v_and_b32_e32 v24, 0xff0000, v7
	s_add_u32 s8, s36, s8
	s_addc_u32 s9, s37, s9
	v_and_b32_e32 v8, 0xff000000, v7
	s_delay_alu instid0(VALU_DEP_1) | instskip(SKIP_2) | instid1(VALU_DEP_1)
	v_or_b32_e32 v24, v24, v8
	v_dual_mov_b32 v8, 2 :: v_dual_and_b32 v25, 0xff00, v7
	v_and_b32_e32 v7, 0xff, v7
	v_or3_b32 v7, v24, v25, v7
	v_dual_mov_b32 v25, s9 :: v_dual_mov_b32 v24, s8
	;;#ASMSTART
	global_store_dwordx4 v[24:25], v[6:9] off	
s_waitcnt vmcnt(0)
	;;#ASMEND
	s_or_b32 exec_lo, exec_lo, s7
	s_and_saveexec_b32 s7, s3
	s_cbranch_execz .LBB463_115
.LBB463_357:
	v_mov_b32_e32 v6, s6
	v_add_nc_u32_e64 v7, 0x3400, 0
	ds_store_2addr_b32 v7, v5, v6 offset1:2
	ds_store_2addr_b32 v7, v26, v27 offset0:4 offset1:6
	s_or_b32 exec_lo, exec_lo, s7
	s_delay_alu instid0(SALU_CYCLE_1)
	s_and_b32 exec_lo, exec_lo, s2
	s_cbranch_execnz .LBB463_116
	s_branch .LBB463_117
	.section	.rodata,"a",@progbits
	.p2align	6, 0x0
	.amdhsa_kernel _ZN7rocprim17ROCPRIM_400000_NS6detail17trampoline_kernelINS0_13select_configILj256ELj13ELNS0_17block_load_methodE3ELS4_3ELS4_3ELNS0_20block_scan_algorithmE0ELj4294967295EEENS1_25partition_config_selectorILNS1_17partition_subalgoE4EjNS0_10empty_typeEbEEZZNS1_14partition_implILS8_4ELb0ES6_15HIP_vector_typeIjLj2EENS0_17counting_iteratorIjlEEPS9_SG_NS0_5tupleIJPjSI_NS0_16reverse_iteratorISI_EEEEENSH_IJSG_SG_SG_EEES9_SI_JZNS1_25segmented_radix_sort_implINS0_14default_configELb1EPKiPiPKlPlN2at6native12_GLOBAL__N_18offset_tEEE10hipError_tPvRmT1_PNSt15iterator_traitsIS12_E10value_typeET2_T3_PNS13_IS18_E10value_typeET4_jRbjT5_S1E_jjP12ihipStream_tbEUljE_ZNSN_ISO_Lb1ESQ_SR_ST_SU_SY_EESZ_S10_S11_S12_S16_S17_S18_S1B_S1C_jS1D_jS1E_S1E_jjS1G_bEUljE0_EEESZ_S10_S11_S18_S1C_S1E_T6_T7_T9_mT8_S1G_bDpT10_ENKUlT_T0_E_clISt17integral_constantIbLb0EES1T_IbLb1EEEEDaS1P_S1Q_EUlS1P_E_NS1_11comp_targetILNS1_3genE9ELNS1_11target_archE1100ELNS1_3gpuE3ELNS1_3repE0EEENS1_30default_config_static_selectorELNS0_4arch9wavefront6targetE0EEEvS12_
		.amdhsa_group_segment_fixed_size 13340
		.amdhsa_private_segment_fixed_size 0
		.amdhsa_kernarg_size 184
		.amdhsa_user_sgpr_count 15
		.amdhsa_user_sgpr_dispatch_ptr 0
		.amdhsa_user_sgpr_queue_ptr 0
		.amdhsa_user_sgpr_kernarg_segment_ptr 1
		.amdhsa_user_sgpr_dispatch_id 0
		.amdhsa_user_sgpr_private_segment_size 0
		.amdhsa_wavefront_size32 1
		.amdhsa_uses_dynamic_stack 0
		.amdhsa_enable_private_segment 0
		.amdhsa_system_sgpr_workgroup_id_x 1
		.amdhsa_system_sgpr_workgroup_id_y 0
		.amdhsa_system_sgpr_workgroup_id_z 0
		.amdhsa_system_sgpr_workgroup_info 0
		.amdhsa_system_vgpr_workitem_id 0
		.amdhsa_next_free_vgpr 103
		.amdhsa_next_free_sgpr 55
		.amdhsa_reserve_vcc 1
		.amdhsa_float_round_mode_32 0
		.amdhsa_float_round_mode_16_64 0
		.amdhsa_float_denorm_mode_32 3
		.amdhsa_float_denorm_mode_16_64 3
		.amdhsa_dx10_clamp 1
		.amdhsa_ieee_mode 1
		.amdhsa_fp16_overflow 0
		.amdhsa_workgroup_processor_mode 1
		.amdhsa_memory_ordered 1
		.amdhsa_forward_progress 0
		.amdhsa_shared_vgpr_count 0
		.amdhsa_exception_fp_ieee_invalid_op 0
		.amdhsa_exception_fp_denorm_src 0
		.amdhsa_exception_fp_ieee_div_zero 0
		.amdhsa_exception_fp_ieee_overflow 0
		.amdhsa_exception_fp_ieee_underflow 0
		.amdhsa_exception_fp_ieee_inexact 0
		.amdhsa_exception_int_div_zero 0
	.end_amdhsa_kernel
	.section	.text._ZN7rocprim17ROCPRIM_400000_NS6detail17trampoline_kernelINS0_13select_configILj256ELj13ELNS0_17block_load_methodE3ELS4_3ELS4_3ELNS0_20block_scan_algorithmE0ELj4294967295EEENS1_25partition_config_selectorILNS1_17partition_subalgoE4EjNS0_10empty_typeEbEEZZNS1_14partition_implILS8_4ELb0ES6_15HIP_vector_typeIjLj2EENS0_17counting_iteratorIjlEEPS9_SG_NS0_5tupleIJPjSI_NS0_16reverse_iteratorISI_EEEEENSH_IJSG_SG_SG_EEES9_SI_JZNS1_25segmented_radix_sort_implINS0_14default_configELb1EPKiPiPKlPlN2at6native12_GLOBAL__N_18offset_tEEE10hipError_tPvRmT1_PNSt15iterator_traitsIS12_E10value_typeET2_T3_PNS13_IS18_E10value_typeET4_jRbjT5_S1E_jjP12ihipStream_tbEUljE_ZNSN_ISO_Lb1ESQ_SR_ST_SU_SY_EESZ_S10_S11_S12_S16_S17_S18_S1B_S1C_jS1D_jS1E_S1E_jjS1G_bEUljE0_EEESZ_S10_S11_S18_S1C_S1E_T6_T7_T9_mT8_S1G_bDpT10_ENKUlT_T0_E_clISt17integral_constantIbLb0EES1T_IbLb1EEEEDaS1P_S1Q_EUlS1P_E_NS1_11comp_targetILNS1_3genE9ELNS1_11target_archE1100ELNS1_3gpuE3ELNS1_3repE0EEENS1_30default_config_static_selectorELNS0_4arch9wavefront6targetE0EEEvS12_,"axG",@progbits,_ZN7rocprim17ROCPRIM_400000_NS6detail17trampoline_kernelINS0_13select_configILj256ELj13ELNS0_17block_load_methodE3ELS4_3ELS4_3ELNS0_20block_scan_algorithmE0ELj4294967295EEENS1_25partition_config_selectorILNS1_17partition_subalgoE4EjNS0_10empty_typeEbEEZZNS1_14partition_implILS8_4ELb0ES6_15HIP_vector_typeIjLj2EENS0_17counting_iteratorIjlEEPS9_SG_NS0_5tupleIJPjSI_NS0_16reverse_iteratorISI_EEEEENSH_IJSG_SG_SG_EEES9_SI_JZNS1_25segmented_radix_sort_implINS0_14default_configELb1EPKiPiPKlPlN2at6native12_GLOBAL__N_18offset_tEEE10hipError_tPvRmT1_PNSt15iterator_traitsIS12_E10value_typeET2_T3_PNS13_IS18_E10value_typeET4_jRbjT5_S1E_jjP12ihipStream_tbEUljE_ZNSN_ISO_Lb1ESQ_SR_ST_SU_SY_EESZ_S10_S11_S12_S16_S17_S18_S1B_S1C_jS1D_jS1E_S1E_jjS1G_bEUljE0_EEESZ_S10_S11_S18_S1C_S1E_T6_T7_T9_mT8_S1G_bDpT10_ENKUlT_T0_E_clISt17integral_constantIbLb0EES1T_IbLb1EEEEDaS1P_S1Q_EUlS1P_E_NS1_11comp_targetILNS1_3genE9ELNS1_11target_archE1100ELNS1_3gpuE3ELNS1_3repE0EEENS1_30default_config_static_selectorELNS0_4arch9wavefront6targetE0EEEvS12_,comdat
.Lfunc_end463:
	.size	_ZN7rocprim17ROCPRIM_400000_NS6detail17trampoline_kernelINS0_13select_configILj256ELj13ELNS0_17block_load_methodE3ELS4_3ELS4_3ELNS0_20block_scan_algorithmE0ELj4294967295EEENS1_25partition_config_selectorILNS1_17partition_subalgoE4EjNS0_10empty_typeEbEEZZNS1_14partition_implILS8_4ELb0ES6_15HIP_vector_typeIjLj2EENS0_17counting_iteratorIjlEEPS9_SG_NS0_5tupleIJPjSI_NS0_16reverse_iteratorISI_EEEEENSH_IJSG_SG_SG_EEES9_SI_JZNS1_25segmented_radix_sort_implINS0_14default_configELb1EPKiPiPKlPlN2at6native12_GLOBAL__N_18offset_tEEE10hipError_tPvRmT1_PNSt15iterator_traitsIS12_E10value_typeET2_T3_PNS13_IS18_E10value_typeET4_jRbjT5_S1E_jjP12ihipStream_tbEUljE_ZNSN_ISO_Lb1ESQ_SR_ST_SU_SY_EESZ_S10_S11_S12_S16_S17_S18_S1B_S1C_jS1D_jS1E_S1E_jjS1G_bEUljE0_EEESZ_S10_S11_S18_S1C_S1E_T6_T7_T9_mT8_S1G_bDpT10_ENKUlT_T0_E_clISt17integral_constantIbLb0EES1T_IbLb1EEEEDaS1P_S1Q_EUlS1P_E_NS1_11comp_targetILNS1_3genE9ELNS1_11target_archE1100ELNS1_3gpuE3ELNS1_3repE0EEENS1_30default_config_static_selectorELNS0_4arch9wavefront6targetE0EEEvS12_, .Lfunc_end463-_ZN7rocprim17ROCPRIM_400000_NS6detail17trampoline_kernelINS0_13select_configILj256ELj13ELNS0_17block_load_methodE3ELS4_3ELS4_3ELNS0_20block_scan_algorithmE0ELj4294967295EEENS1_25partition_config_selectorILNS1_17partition_subalgoE4EjNS0_10empty_typeEbEEZZNS1_14partition_implILS8_4ELb0ES6_15HIP_vector_typeIjLj2EENS0_17counting_iteratorIjlEEPS9_SG_NS0_5tupleIJPjSI_NS0_16reverse_iteratorISI_EEEEENSH_IJSG_SG_SG_EEES9_SI_JZNS1_25segmented_radix_sort_implINS0_14default_configELb1EPKiPiPKlPlN2at6native12_GLOBAL__N_18offset_tEEE10hipError_tPvRmT1_PNSt15iterator_traitsIS12_E10value_typeET2_T3_PNS13_IS18_E10value_typeET4_jRbjT5_S1E_jjP12ihipStream_tbEUljE_ZNSN_ISO_Lb1ESQ_SR_ST_SU_SY_EESZ_S10_S11_S12_S16_S17_S18_S1B_S1C_jS1D_jS1E_S1E_jjS1G_bEUljE0_EEESZ_S10_S11_S18_S1C_S1E_T6_T7_T9_mT8_S1G_bDpT10_ENKUlT_T0_E_clISt17integral_constantIbLb0EES1T_IbLb1EEEEDaS1P_S1Q_EUlS1P_E_NS1_11comp_targetILNS1_3genE9ELNS1_11target_archE1100ELNS1_3gpuE3ELNS1_3repE0EEENS1_30default_config_static_selectorELNS0_4arch9wavefront6targetE0EEEvS12_
                                        ; -- End function
	.section	.AMDGPU.csdata,"",@progbits
; Kernel info:
; codeLenInByte = 15060
; NumSgprs: 57
; NumVgprs: 103
; ScratchSize: 0
; MemoryBound: 0
; FloatMode: 240
; IeeeMode: 1
; LDSByteSize: 13340 bytes/workgroup (compile time only)
; SGPRBlocks: 7
; VGPRBlocks: 12
; NumSGPRsForWavesPerEU: 57
; NumVGPRsForWavesPerEU: 103
; Occupancy: 12
; WaveLimiterHint : 1
; COMPUTE_PGM_RSRC2:SCRATCH_EN: 0
; COMPUTE_PGM_RSRC2:USER_SGPR: 15
; COMPUTE_PGM_RSRC2:TRAP_HANDLER: 0
; COMPUTE_PGM_RSRC2:TGID_X_EN: 1
; COMPUTE_PGM_RSRC2:TGID_Y_EN: 0
; COMPUTE_PGM_RSRC2:TGID_Z_EN: 0
; COMPUTE_PGM_RSRC2:TIDIG_COMP_CNT: 0
	.section	.text._ZN7rocprim17ROCPRIM_400000_NS6detail17trampoline_kernelINS0_13select_configILj256ELj13ELNS0_17block_load_methodE3ELS4_3ELS4_3ELNS0_20block_scan_algorithmE0ELj4294967295EEENS1_25partition_config_selectorILNS1_17partition_subalgoE4EjNS0_10empty_typeEbEEZZNS1_14partition_implILS8_4ELb0ES6_15HIP_vector_typeIjLj2EENS0_17counting_iteratorIjlEEPS9_SG_NS0_5tupleIJPjSI_NS0_16reverse_iteratorISI_EEEEENSH_IJSG_SG_SG_EEES9_SI_JZNS1_25segmented_radix_sort_implINS0_14default_configELb1EPKiPiPKlPlN2at6native12_GLOBAL__N_18offset_tEEE10hipError_tPvRmT1_PNSt15iterator_traitsIS12_E10value_typeET2_T3_PNS13_IS18_E10value_typeET4_jRbjT5_S1E_jjP12ihipStream_tbEUljE_ZNSN_ISO_Lb1ESQ_SR_ST_SU_SY_EESZ_S10_S11_S12_S16_S17_S18_S1B_S1C_jS1D_jS1E_S1E_jjS1G_bEUljE0_EEESZ_S10_S11_S18_S1C_S1E_T6_T7_T9_mT8_S1G_bDpT10_ENKUlT_T0_E_clISt17integral_constantIbLb0EES1T_IbLb1EEEEDaS1P_S1Q_EUlS1P_E_NS1_11comp_targetILNS1_3genE8ELNS1_11target_archE1030ELNS1_3gpuE2ELNS1_3repE0EEENS1_30default_config_static_selectorELNS0_4arch9wavefront6targetE0EEEvS12_,"axG",@progbits,_ZN7rocprim17ROCPRIM_400000_NS6detail17trampoline_kernelINS0_13select_configILj256ELj13ELNS0_17block_load_methodE3ELS4_3ELS4_3ELNS0_20block_scan_algorithmE0ELj4294967295EEENS1_25partition_config_selectorILNS1_17partition_subalgoE4EjNS0_10empty_typeEbEEZZNS1_14partition_implILS8_4ELb0ES6_15HIP_vector_typeIjLj2EENS0_17counting_iteratorIjlEEPS9_SG_NS0_5tupleIJPjSI_NS0_16reverse_iteratorISI_EEEEENSH_IJSG_SG_SG_EEES9_SI_JZNS1_25segmented_radix_sort_implINS0_14default_configELb1EPKiPiPKlPlN2at6native12_GLOBAL__N_18offset_tEEE10hipError_tPvRmT1_PNSt15iterator_traitsIS12_E10value_typeET2_T3_PNS13_IS18_E10value_typeET4_jRbjT5_S1E_jjP12ihipStream_tbEUljE_ZNSN_ISO_Lb1ESQ_SR_ST_SU_SY_EESZ_S10_S11_S12_S16_S17_S18_S1B_S1C_jS1D_jS1E_S1E_jjS1G_bEUljE0_EEESZ_S10_S11_S18_S1C_S1E_T6_T7_T9_mT8_S1G_bDpT10_ENKUlT_T0_E_clISt17integral_constantIbLb0EES1T_IbLb1EEEEDaS1P_S1Q_EUlS1P_E_NS1_11comp_targetILNS1_3genE8ELNS1_11target_archE1030ELNS1_3gpuE2ELNS1_3repE0EEENS1_30default_config_static_selectorELNS0_4arch9wavefront6targetE0EEEvS12_,comdat
	.globl	_ZN7rocprim17ROCPRIM_400000_NS6detail17trampoline_kernelINS0_13select_configILj256ELj13ELNS0_17block_load_methodE3ELS4_3ELS4_3ELNS0_20block_scan_algorithmE0ELj4294967295EEENS1_25partition_config_selectorILNS1_17partition_subalgoE4EjNS0_10empty_typeEbEEZZNS1_14partition_implILS8_4ELb0ES6_15HIP_vector_typeIjLj2EENS0_17counting_iteratorIjlEEPS9_SG_NS0_5tupleIJPjSI_NS0_16reverse_iteratorISI_EEEEENSH_IJSG_SG_SG_EEES9_SI_JZNS1_25segmented_radix_sort_implINS0_14default_configELb1EPKiPiPKlPlN2at6native12_GLOBAL__N_18offset_tEEE10hipError_tPvRmT1_PNSt15iterator_traitsIS12_E10value_typeET2_T3_PNS13_IS18_E10value_typeET4_jRbjT5_S1E_jjP12ihipStream_tbEUljE_ZNSN_ISO_Lb1ESQ_SR_ST_SU_SY_EESZ_S10_S11_S12_S16_S17_S18_S1B_S1C_jS1D_jS1E_S1E_jjS1G_bEUljE0_EEESZ_S10_S11_S18_S1C_S1E_T6_T7_T9_mT8_S1G_bDpT10_ENKUlT_T0_E_clISt17integral_constantIbLb0EES1T_IbLb1EEEEDaS1P_S1Q_EUlS1P_E_NS1_11comp_targetILNS1_3genE8ELNS1_11target_archE1030ELNS1_3gpuE2ELNS1_3repE0EEENS1_30default_config_static_selectorELNS0_4arch9wavefront6targetE0EEEvS12_ ; -- Begin function _ZN7rocprim17ROCPRIM_400000_NS6detail17trampoline_kernelINS0_13select_configILj256ELj13ELNS0_17block_load_methodE3ELS4_3ELS4_3ELNS0_20block_scan_algorithmE0ELj4294967295EEENS1_25partition_config_selectorILNS1_17partition_subalgoE4EjNS0_10empty_typeEbEEZZNS1_14partition_implILS8_4ELb0ES6_15HIP_vector_typeIjLj2EENS0_17counting_iteratorIjlEEPS9_SG_NS0_5tupleIJPjSI_NS0_16reverse_iteratorISI_EEEEENSH_IJSG_SG_SG_EEES9_SI_JZNS1_25segmented_radix_sort_implINS0_14default_configELb1EPKiPiPKlPlN2at6native12_GLOBAL__N_18offset_tEEE10hipError_tPvRmT1_PNSt15iterator_traitsIS12_E10value_typeET2_T3_PNS13_IS18_E10value_typeET4_jRbjT5_S1E_jjP12ihipStream_tbEUljE_ZNSN_ISO_Lb1ESQ_SR_ST_SU_SY_EESZ_S10_S11_S12_S16_S17_S18_S1B_S1C_jS1D_jS1E_S1E_jjS1G_bEUljE0_EEESZ_S10_S11_S18_S1C_S1E_T6_T7_T9_mT8_S1G_bDpT10_ENKUlT_T0_E_clISt17integral_constantIbLb0EES1T_IbLb1EEEEDaS1P_S1Q_EUlS1P_E_NS1_11comp_targetILNS1_3genE8ELNS1_11target_archE1030ELNS1_3gpuE2ELNS1_3repE0EEENS1_30default_config_static_selectorELNS0_4arch9wavefront6targetE0EEEvS12_
	.p2align	8
	.type	_ZN7rocprim17ROCPRIM_400000_NS6detail17trampoline_kernelINS0_13select_configILj256ELj13ELNS0_17block_load_methodE3ELS4_3ELS4_3ELNS0_20block_scan_algorithmE0ELj4294967295EEENS1_25partition_config_selectorILNS1_17partition_subalgoE4EjNS0_10empty_typeEbEEZZNS1_14partition_implILS8_4ELb0ES6_15HIP_vector_typeIjLj2EENS0_17counting_iteratorIjlEEPS9_SG_NS0_5tupleIJPjSI_NS0_16reverse_iteratorISI_EEEEENSH_IJSG_SG_SG_EEES9_SI_JZNS1_25segmented_radix_sort_implINS0_14default_configELb1EPKiPiPKlPlN2at6native12_GLOBAL__N_18offset_tEEE10hipError_tPvRmT1_PNSt15iterator_traitsIS12_E10value_typeET2_T3_PNS13_IS18_E10value_typeET4_jRbjT5_S1E_jjP12ihipStream_tbEUljE_ZNSN_ISO_Lb1ESQ_SR_ST_SU_SY_EESZ_S10_S11_S12_S16_S17_S18_S1B_S1C_jS1D_jS1E_S1E_jjS1G_bEUljE0_EEESZ_S10_S11_S18_S1C_S1E_T6_T7_T9_mT8_S1G_bDpT10_ENKUlT_T0_E_clISt17integral_constantIbLb0EES1T_IbLb1EEEEDaS1P_S1Q_EUlS1P_E_NS1_11comp_targetILNS1_3genE8ELNS1_11target_archE1030ELNS1_3gpuE2ELNS1_3repE0EEENS1_30default_config_static_selectorELNS0_4arch9wavefront6targetE0EEEvS12_,@function
_ZN7rocprim17ROCPRIM_400000_NS6detail17trampoline_kernelINS0_13select_configILj256ELj13ELNS0_17block_load_methodE3ELS4_3ELS4_3ELNS0_20block_scan_algorithmE0ELj4294967295EEENS1_25partition_config_selectorILNS1_17partition_subalgoE4EjNS0_10empty_typeEbEEZZNS1_14partition_implILS8_4ELb0ES6_15HIP_vector_typeIjLj2EENS0_17counting_iteratorIjlEEPS9_SG_NS0_5tupleIJPjSI_NS0_16reverse_iteratorISI_EEEEENSH_IJSG_SG_SG_EEES9_SI_JZNS1_25segmented_radix_sort_implINS0_14default_configELb1EPKiPiPKlPlN2at6native12_GLOBAL__N_18offset_tEEE10hipError_tPvRmT1_PNSt15iterator_traitsIS12_E10value_typeET2_T3_PNS13_IS18_E10value_typeET4_jRbjT5_S1E_jjP12ihipStream_tbEUljE_ZNSN_ISO_Lb1ESQ_SR_ST_SU_SY_EESZ_S10_S11_S12_S16_S17_S18_S1B_S1C_jS1D_jS1E_S1E_jjS1G_bEUljE0_EEESZ_S10_S11_S18_S1C_S1E_T6_T7_T9_mT8_S1G_bDpT10_ENKUlT_T0_E_clISt17integral_constantIbLb0EES1T_IbLb1EEEEDaS1P_S1Q_EUlS1P_E_NS1_11comp_targetILNS1_3genE8ELNS1_11target_archE1030ELNS1_3gpuE2ELNS1_3repE0EEENS1_30default_config_static_selectorELNS0_4arch9wavefront6targetE0EEEvS12_: ; @_ZN7rocprim17ROCPRIM_400000_NS6detail17trampoline_kernelINS0_13select_configILj256ELj13ELNS0_17block_load_methodE3ELS4_3ELS4_3ELNS0_20block_scan_algorithmE0ELj4294967295EEENS1_25partition_config_selectorILNS1_17partition_subalgoE4EjNS0_10empty_typeEbEEZZNS1_14partition_implILS8_4ELb0ES6_15HIP_vector_typeIjLj2EENS0_17counting_iteratorIjlEEPS9_SG_NS0_5tupleIJPjSI_NS0_16reverse_iteratorISI_EEEEENSH_IJSG_SG_SG_EEES9_SI_JZNS1_25segmented_radix_sort_implINS0_14default_configELb1EPKiPiPKlPlN2at6native12_GLOBAL__N_18offset_tEEE10hipError_tPvRmT1_PNSt15iterator_traitsIS12_E10value_typeET2_T3_PNS13_IS18_E10value_typeET4_jRbjT5_S1E_jjP12ihipStream_tbEUljE_ZNSN_ISO_Lb1ESQ_SR_ST_SU_SY_EESZ_S10_S11_S12_S16_S17_S18_S1B_S1C_jS1D_jS1E_S1E_jjS1G_bEUljE0_EEESZ_S10_S11_S18_S1C_S1E_T6_T7_T9_mT8_S1G_bDpT10_ENKUlT_T0_E_clISt17integral_constantIbLb0EES1T_IbLb1EEEEDaS1P_S1Q_EUlS1P_E_NS1_11comp_targetILNS1_3genE8ELNS1_11target_archE1030ELNS1_3gpuE2ELNS1_3repE0EEENS1_30default_config_static_selectorELNS0_4arch9wavefront6targetE0EEEvS12_
; %bb.0:
	.section	.rodata,"a",@progbits
	.p2align	6, 0x0
	.amdhsa_kernel _ZN7rocprim17ROCPRIM_400000_NS6detail17trampoline_kernelINS0_13select_configILj256ELj13ELNS0_17block_load_methodE3ELS4_3ELS4_3ELNS0_20block_scan_algorithmE0ELj4294967295EEENS1_25partition_config_selectorILNS1_17partition_subalgoE4EjNS0_10empty_typeEbEEZZNS1_14partition_implILS8_4ELb0ES6_15HIP_vector_typeIjLj2EENS0_17counting_iteratorIjlEEPS9_SG_NS0_5tupleIJPjSI_NS0_16reverse_iteratorISI_EEEEENSH_IJSG_SG_SG_EEES9_SI_JZNS1_25segmented_radix_sort_implINS0_14default_configELb1EPKiPiPKlPlN2at6native12_GLOBAL__N_18offset_tEEE10hipError_tPvRmT1_PNSt15iterator_traitsIS12_E10value_typeET2_T3_PNS13_IS18_E10value_typeET4_jRbjT5_S1E_jjP12ihipStream_tbEUljE_ZNSN_ISO_Lb1ESQ_SR_ST_SU_SY_EESZ_S10_S11_S12_S16_S17_S18_S1B_S1C_jS1D_jS1E_S1E_jjS1G_bEUljE0_EEESZ_S10_S11_S18_S1C_S1E_T6_T7_T9_mT8_S1G_bDpT10_ENKUlT_T0_E_clISt17integral_constantIbLb0EES1T_IbLb1EEEEDaS1P_S1Q_EUlS1P_E_NS1_11comp_targetILNS1_3genE8ELNS1_11target_archE1030ELNS1_3gpuE2ELNS1_3repE0EEENS1_30default_config_static_selectorELNS0_4arch9wavefront6targetE0EEEvS12_
		.amdhsa_group_segment_fixed_size 0
		.amdhsa_private_segment_fixed_size 0
		.amdhsa_kernarg_size 184
		.amdhsa_user_sgpr_count 15
		.amdhsa_user_sgpr_dispatch_ptr 0
		.amdhsa_user_sgpr_queue_ptr 0
		.amdhsa_user_sgpr_kernarg_segment_ptr 1
		.amdhsa_user_sgpr_dispatch_id 0
		.amdhsa_user_sgpr_private_segment_size 0
		.amdhsa_wavefront_size32 1
		.amdhsa_uses_dynamic_stack 0
		.amdhsa_enable_private_segment 0
		.amdhsa_system_sgpr_workgroup_id_x 1
		.amdhsa_system_sgpr_workgroup_id_y 0
		.amdhsa_system_sgpr_workgroup_id_z 0
		.amdhsa_system_sgpr_workgroup_info 0
		.amdhsa_system_vgpr_workitem_id 0
		.amdhsa_next_free_vgpr 1
		.amdhsa_next_free_sgpr 1
		.amdhsa_reserve_vcc 0
		.amdhsa_float_round_mode_32 0
		.amdhsa_float_round_mode_16_64 0
		.amdhsa_float_denorm_mode_32 3
		.amdhsa_float_denorm_mode_16_64 3
		.amdhsa_dx10_clamp 1
		.amdhsa_ieee_mode 1
		.amdhsa_fp16_overflow 0
		.amdhsa_workgroup_processor_mode 1
		.amdhsa_memory_ordered 1
		.amdhsa_forward_progress 0
		.amdhsa_shared_vgpr_count 0
		.amdhsa_exception_fp_ieee_invalid_op 0
		.amdhsa_exception_fp_denorm_src 0
		.amdhsa_exception_fp_ieee_div_zero 0
		.amdhsa_exception_fp_ieee_overflow 0
		.amdhsa_exception_fp_ieee_underflow 0
		.amdhsa_exception_fp_ieee_inexact 0
		.amdhsa_exception_int_div_zero 0
	.end_amdhsa_kernel
	.section	.text._ZN7rocprim17ROCPRIM_400000_NS6detail17trampoline_kernelINS0_13select_configILj256ELj13ELNS0_17block_load_methodE3ELS4_3ELS4_3ELNS0_20block_scan_algorithmE0ELj4294967295EEENS1_25partition_config_selectorILNS1_17partition_subalgoE4EjNS0_10empty_typeEbEEZZNS1_14partition_implILS8_4ELb0ES6_15HIP_vector_typeIjLj2EENS0_17counting_iteratorIjlEEPS9_SG_NS0_5tupleIJPjSI_NS0_16reverse_iteratorISI_EEEEENSH_IJSG_SG_SG_EEES9_SI_JZNS1_25segmented_radix_sort_implINS0_14default_configELb1EPKiPiPKlPlN2at6native12_GLOBAL__N_18offset_tEEE10hipError_tPvRmT1_PNSt15iterator_traitsIS12_E10value_typeET2_T3_PNS13_IS18_E10value_typeET4_jRbjT5_S1E_jjP12ihipStream_tbEUljE_ZNSN_ISO_Lb1ESQ_SR_ST_SU_SY_EESZ_S10_S11_S12_S16_S17_S18_S1B_S1C_jS1D_jS1E_S1E_jjS1G_bEUljE0_EEESZ_S10_S11_S18_S1C_S1E_T6_T7_T9_mT8_S1G_bDpT10_ENKUlT_T0_E_clISt17integral_constantIbLb0EES1T_IbLb1EEEEDaS1P_S1Q_EUlS1P_E_NS1_11comp_targetILNS1_3genE8ELNS1_11target_archE1030ELNS1_3gpuE2ELNS1_3repE0EEENS1_30default_config_static_selectorELNS0_4arch9wavefront6targetE0EEEvS12_,"axG",@progbits,_ZN7rocprim17ROCPRIM_400000_NS6detail17trampoline_kernelINS0_13select_configILj256ELj13ELNS0_17block_load_methodE3ELS4_3ELS4_3ELNS0_20block_scan_algorithmE0ELj4294967295EEENS1_25partition_config_selectorILNS1_17partition_subalgoE4EjNS0_10empty_typeEbEEZZNS1_14partition_implILS8_4ELb0ES6_15HIP_vector_typeIjLj2EENS0_17counting_iteratorIjlEEPS9_SG_NS0_5tupleIJPjSI_NS0_16reverse_iteratorISI_EEEEENSH_IJSG_SG_SG_EEES9_SI_JZNS1_25segmented_radix_sort_implINS0_14default_configELb1EPKiPiPKlPlN2at6native12_GLOBAL__N_18offset_tEEE10hipError_tPvRmT1_PNSt15iterator_traitsIS12_E10value_typeET2_T3_PNS13_IS18_E10value_typeET4_jRbjT5_S1E_jjP12ihipStream_tbEUljE_ZNSN_ISO_Lb1ESQ_SR_ST_SU_SY_EESZ_S10_S11_S12_S16_S17_S18_S1B_S1C_jS1D_jS1E_S1E_jjS1G_bEUljE0_EEESZ_S10_S11_S18_S1C_S1E_T6_T7_T9_mT8_S1G_bDpT10_ENKUlT_T0_E_clISt17integral_constantIbLb0EES1T_IbLb1EEEEDaS1P_S1Q_EUlS1P_E_NS1_11comp_targetILNS1_3genE8ELNS1_11target_archE1030ELNS1_3gpuE2ELNS1_3repE0EEENS1_30default_config_static_selectorELNS0_4arch9wavefront6targetE0EEEvS12_,comdat
.Lfunc_end464:
	.size	_ZN7rocprim17ROCPRIM_400000_NS6detail17trampoline_kernelINS0_13select_configILj256ELj13ELNS0_17block_load_methodE3ELS4_3ELS4_3ELNS0_20block_scan_algorithmE0ELj4294967295EEENS1_25partition_config_selectorILNS1_17partition_subalgoE4EjNS0_10empty_typeEbEEZZNS1_14partition_implILS8_4ELb0ES6_15HIP_vector_typeIjLj2EENS0_17counting_iteratorIjlEEPS9_SG_NS0_5tupleIJPjSI_NS0_16reverse_iteratorISI_EEEEENSH_IJSG_SG_SG_EEES9_SI_JZNS1_25segmented_radix_sort_implINS0_14default_configELb1EPKiPiPKlPlN2at6native12_GLOBAL__N_18offset_tEEE10hipError_tPvRmT1_PNSt15iterator_traitsIS12_E10value_typeET2_T3_PNS13_IS18_E10value_typeET4_jRbjT5_S1E_jjP12ihipStream_tbEUljE_ZNSN_ISO_Lb1ESQ_SR_ST_SU_SY_EESZ_S10_S11_S12_S16_S17_S18_S1B_S1C_jS1D_jS1E_S1E_jjS1G_bEUljE0_EEESZ_S10_S11_S18_S1C_S1E_T6_T7_T9_mT8_S1G_bDpT10_ENKUlT_T0_E_clISt17integral_constantIbLb0EES1T_IbLb1EEEEDaS1P_S1Q_EUlS1P_E_NS1_11comp_targetILNS1_3genE8ELNS1_11target_archE1030ELNS1_3gpuE2ELNS1_3repE0EEENS1_30default_config_static_selectorELNS0_4arch9wavefront6targetE0EEEvS12_, .Lfunc_end464-_ZN7rocprim17ROCPRIM_400000_NS6detail17trampoline_kernelINS0_13select_configILj256ELj13ELNS0_17block_load_methodE3ELS4_3ELS4_3ELNS0_20block_scan_algorithmE0ELj4294967295EEENS1_25partition_config_selectorILNS1_17partition_subalgoE4EjNS0_10empty_typeEbEEZZNS1_14partition_implILS8_4ELb0ES6_15HIP_vector_typeIjLj2EENS0_17counting_iteratorIjlEEPS9_SG_NS0_5tupleIJPjSI_NS0_16reverse_iteratorISI_EEEEENSH_IJSG_SG_SG_EEES9_SI_JZNS1_25segmented_radix_sort_implINS0_14default_configELb1EPKiPiPKlPlN2at6native12_GLOBAL__N_18offset_tEEE10hipError_tPvRmT1_PNSt15iterator_traitsIS12_E10value_typeET2_T3_PNS13_IS18_E10value_typeET4_jRbjT5_S1E_jjP12ihipStream_tbEUljE_ZNSN_ISO_Lb1ESQ_SR_ST_SU_SY_EESZ_S10_S11_S12_S16_S17_S18_S1B_S1C_jS1D_jS1E_S1E_jjS1G_bEUljE0_EEESZ_S10_S11_S18_S1C_S1E_T6_T7_T9_mT8_S1G_bDpT10_ENKUlT_T0_E_clISt17integral_constantIbLb0EES1T_IbLb1EEEEDaS1P_S1Q_EUlS1P_E_NS1_11comp_targetILNS1_3genE8ELNS1_11target_archE1030ELNS1_3gpuE2ELNS1_3repE0EEENS1_30default_config_static_selectorELNS0_4arch9wavefront6targetE0EEEvS12_
                                        ; -- End function
	.section	.AMDGPU.csdata,"",@progbits
; Kernel info:
; codeLenInByte = 0
; NumSgprs: 0
; NumVgprs: 0
; ScratchSize: 0
; MemoryBound: 0
; FloatMode: 240
; IeeeMode: 1
; LDSByteSize: 0 bytes/workgroup (compile time only)
; SGPRBlocks: 0
; VGPRBlocks: 0
; NumSGPRsForWavesPerEU: 1
; NumVGPRsForWavesPerEU: 1
; Occupancy: 16
; WaveLimiterHint : 0
; COMPUTE_PGM_RSRC2:SCRATCH_EN: 0
; COMPUTE_PGM_RSRC2:USER_SGPR: 15
; COMPUTE_PGM_RSRC2:TRAP_HANDLER: 0
; COMPUTE_PGM_RSRC2:TGID_X_EN: 1
; COMPUTE_PGM_RSRC2:TGID_Y_EN: 0
; COMPUTE_PGM_RSRC2:TGID_Z_EN: 0
; COMPUTE_PGM_RSRC2:TIDIG_COMP_CNT: 0
	.section	.text._ZN7rocprim17ROCPRIM_400000_NS6detail17trampoline_kernelINS0_13select_configILj256ELj13ELNS0_17block_load_methodE3ELS4_3ELS4_3ELNS0_20block_scan_algorithmE0ELj4294967295EEENS1_25partition_config_selectorILNS1_17partition_subalgoE3EjNS0_10empty_typeEbEEZZNS1_14partition_implILS8_3ELb0ES6_jNS0_17counting_iteratorIjlEEPS9_SE_NS0_5tupleIJPjSE_EEENSF_IJSE_SE_EEES9_SG_JZNS1_25segmented_radix_sort_implINS0_14default_configELb1EPKiPiPKlPlN2at6native12_GLOBAL__N_18offset_tEEE10hipError_tPvRmT1_PNSt15iterator_traitsISY_E10value_typeET2_T3_PNSZ_IS14_E10value_typeET4_jRbjT5_S1A_jjP12ihipStream_tbEUljE_EEESV_SW_SX_S14_S18_S1A_T6_T7_T9_mT8_S1C_bDpT10_ENKUlT_T0_E_clISt17integral_constantIbLb0EES1P_EEDaS1K_S1L_EUlS1K_E_NS1_11comp_targetILNS1_3genE0ELNS1_11target_archE4294967295ELNS1_3gpuE0ELNS1_3repE0EEENS1_30default_config_static_selectorELNS0_4arch9wavefront6targetE0EEEvSY_,"axG",@progbits,_ZN7rocprim17ROCPRIM_400000_NS6detail17trampoline_kernelINS0_13select_configILj256ELj13ELNS0_17block_load_methodE3ELS4_3ELS4_3ELNS0_20block_scan_algorithmE0ELj4294967295EEENS1_25partition_config_selectorILNS1_17partition_subalgoE3EjNS0_10empty_typeEbEEZZNS1_14partition_implILS8_3ELb0ES6_jNS0_17counting_iteratorIjlEEPS9_SE_NS0_5tupleIJPjSE_EEENSF_IJSE_SE_EEES9_SG_JZNS1_25segmented_radix_sort_implINS0_14default_configELb1EPKiPiPKlPlN2at6native12_GLOBAL__N_18offset_tEEE10hipError_tPvRmT1_PNSt15iterator_traitsISY_E10value_typeET2_T3_PNSZ_IS14_E10value_typeET4_jRbjT5_S1A_jjP12ihipStream_tbEUljE_EEESV_SW_SX_S14_S18_S1A_T6_T7_T9_mT8_S1C_bDpT10_ENKUlT_T0_E_clISt17integral_constantIbLb0EES1P_EEDaS1K_S1L_EUlS1K_E_NS1_11comp_targetILNS1_3genE0ELNS1_11target_archE4294967295ELNS1_3gpuE0ELNS1_3repE0EEENS1_30default_config_static_selectorELNS0_4arch9wavefront6targetE0EEEvSY_,comdat
	.globl	_ZN7rocprim17ROCPRIM_400000_NS6detail17trampoline_kernelINS0_13select_configILj256ELj13ELNS0_17block_load_methodE3ELS4_3ELS4_3ELNS0_20block_scan_algorithmE0ELj4294967295EEENS1_25partition_config_selectorILNS1_17partition_subalgoE3EjNS0_10empty_typeEbEEZZNS1_14partition_implILS8_3ELb0ES6_jNS0_17counting_iteratorIjlEEPS9_SE_NS0_5tupleIJPjSE_EEENSF_IJSE_SE_EEES9_SG_JZNS1_25segmented_radix_sort_implINS0_14default_configELb1EPKiPiPKlPlN2at6native12_GLOBAL__N_18offset_tEEE10hipError_tPvRmT1_PNSt15iterator_traitsISY_E10value_typeET2_T3_PNSZ_IS14_E10value_typeET4_jRbjT5_S1A_jjP12ihipStream_tbEUljE_EEESV_SW_SX_S14_S18_S1A_T6_T7_T9_mT8_S1C_bDpT10_ENKUlT_T0_E_clISt17integral_constantIbLb0EES1P_EEDaS1K_S1L_EUlS1K_E_NS1_11comp_targetILNS1_3genE0ELNS1_11target_archE4294967295ELNS1_3gpuE0ELNS1_3repE0EEENS1_30default_config_static_selectorELNS0_4arch9wavefront6targetE0EEEvSY_ ; -- Begin function _ZN7rocprim17ROCPRIM_400000_NS6detail17trampoline_kernelINS0_13select_configILj256ELj13ELNS0_17block_load_methodE3ELS4_3ELS4_3ELNS0_20block_scan_algorithmE0ELj4294967295EEENS1_25partition_config_selectorILNS1_17partition_subalgoE3EjNS0_10empty_typeEbEEZZNS1_14partition_implILS8_3ELb0ES6_jNS0_17counting_iteratorIjlEEPS9_SE_NS0_5tupleIJPjSE_EEENSF_IJSE_SE_EEES9_SG_JZNS1_25segmented_radix_sort_implINS0_14default_configELb1EPKiPiPKlPlN2at6native12_GLOBAL__N_18offset_tEEE10hipError_tPvRmT1_PNSt15iterator_traitsISY_E10value_typeET2_T3_PNSZ_IS14_E10value_typeET4_jRbjT5_S1A_jjP12ihipStream_tbEUljE_EEESV_SW_SX_S14_S18_S1A_T6_T7_T9_mT8_S1C_bDpT10_ENKUlT_T0_E_clISt17integral_constantIbLb0EES1P_EEDaS1K_S1L_EUlS1K_E_NS1_11comp_targetILNS1_3genE0ELNS1_11target_archE4294967295ELNS1_3gpuE0ELNS1_3repE0EEENS1_30default_config_static_selectorELNS0_4arch9wavefront6targetE0EEEvSY_
	.p2align	8
	.type	_ZN7rocprim17ROCPRIM_400000_NS6detail17trampoline_kernelINS0_13select_configILj256ELj13ELNS0_17block_load_methodE3ELS4_3ELS4_3ELNS0_20block_scan_algorithmE0ELj4294967295EEENS1_25partition_config_selectorILNS1_17partition_subalgoE3EjNS0_10empty_typeEbEEZZNS1_14partition_implILS8_3ELb0ES6_jNS0_17counting_iteratorIjlEEPS9_SE_NS0_5tupleIJPjSE_EEENSF_IJSE_SE_EEES9_SG_JZNS1_25segmented_radix_sort_implINS0_14default_configELb1EPKiPiPKlPlN2at6native12_GLOBAL__N_18offset_tEEE10hipError_tPvRmT1_PNSt15iterator_traitsISY_E10value_typeET2_T3_PNSZ_IS14_E10value_typeET4_jRbjT5_S1A_jjP12ihipStream_tbEUljE_EEESV_SW_SX_S14_S18_S1A_T6_T7_T9_mT8_S1C_bDpT10_ENKUlT_T0_E_clISt17integral_constantIbLb0EES1P_EEDaS1K_S1L_EUlS1K_E_NS1_11comp_targetILNS1_3genE0ELNS1_11target_archE4294967295ELNS1_3gpuE0ELNS1_3repE0EEENS1_30default_config_static_selectorELNS0_4arch9wavefront6targetE0EEEvSY_,@function
_ZN7rocprim17ROCPRIM_400000_NS6detail17trampoline_kernelINS0_13select_configILj256ELj13ELNS0_17block_load_methodE3ELS4_3ELS4_3ELNS0_20block_scan_algorithmE0ELj4294967295EEENS1_25partition_config_selectorILNS1_17partition_subalgoE3EjNS0_10empty_typeEbEEZZNS1_14partition_implILS8_3ELb0ES6_jNS0_17counting_iteratorIjlEEPS9_SE_NS0_5tupleIJPjSE_EEENSF_IJSE_SE_EEES9_SG_JZNS1_25segmented_radix_sort_implINS0_14default_configELb1EPKiPiPKlPlN2at6native12_GLOBAL__N_18offset_tEEE10hipError_tPvRmT1_PNSt15iterator_traitsISY_E10value_typeET2_T3_PNSZ_IS14_E10value_typeET4_jRbjT5_S1A_jjP12ihipStream_tbEUljE_EEESV_SW_SX_S14_S18_S1A_T6_T7_T9_mT8_S1C_bDpT10_ENKUlT_T0_E_clISt17integral_constantIbLb0EES1P_EEDaS1K_S1L_EUlS1K_E_NS1_11comp_targetILNS1_3genE0ELNS1_11target_archE4294967295ELNS1_3gpuE0ELNS1_3repE0EEENS1_30default_config_static_selectorELNS0_4arch9wavefront6targetE0EEEvSY_: ; @_ZN7rocprim17ROCPRIM_400000_NS6detail17trampoline_kernelINS0_13select_configILj256ELj13ELNS0_17block_load_methodE3ELS4_3ELS4_3ELNS0_20block_scan_algorithmE0ELj4294967295EEENS1_25partition_config_selectorILNS1_17partition_subalgoE3EjNS0_10empty_typeEbEEZZNS1_14partition_implILS8_3ELb0ES6_jNS0_17counting_iteratorIjlEEPS9_SE_NS0_5tupleIJPjSE_EEENSF_IJSE_SE_EEES9_SG_JZNS1_25segmented_radix_sort_implINS0_14default_configELb1EPKiPiPKlPlN2at6native12_GLOBAL__N_18offset_tEEE10hipError_tPvRmT1_PNSt15iterator_traitsISY_E10value_typeET2_T3_PNSZ_IS14_E10value_typeET4_jRbjT5_S1A_jjP12ihipStream_tbEUljE_EEESV_SW_SX_S14_S18_S1A_T6_T7_T9_mT8_S1C_bDpT10_ENKUlT_T0_E_clISt17integral_constantIbLb0EES1P_EEDaS1K_S1L_EUlS1K_E_NS1_11comp_targetILNS1_3genE0ELNS1_11target_archE4294967295ELNS1_3gpuE0ELNS1_3repE0EEENS1_30default_config_static_selectorELNS0_4arch9wavefront6targetE0EEEvSY_
; %bb.0:
	.section	.rodata,"a",@progbits
	.p2align	6, 0x0
	.amdhsa_kernel _ZN7rocprim17ROCPRIM_400000_NS6detail17trampoline_kernelINS0_13select_configILj256ELj13ELNS0_17block_load_methodE3ELS4_3ELS4_3ELNS0_20block_scan_algorithmE0ELj4294967295EEENS1_25partition_config_selectorILNS1_17partition_subalgoE3EjNS0_10empty_typeEbEEZZNS1_14partition_implILS8_3ELb0ES6_jNS0_17counting_iteratorIjlEEPS9_SE_NS0_5tupleIJPjSE_EEENSF_IJSE_SE_EEES9_SG_JZNS1_25segmented_radix_sort_implINS0_14default_configELb1EPKiPiPKlPlN2at6native12_GLOBAL__N_18offset_tEEE10hipError_tPvRmT1_PNSt15iterator_traitsISY_E10value_typeET2_T3_PNSZ_IS14_E10value_typeET4_jRbjT5_S1A_jjP12ihipStream_tbEUljE_EEESV_SW_SX_S14_S18_S1A_T6_T7_T9_mT8_S1C_bDpT10_ENKUlT_T0_E_clISt17integral_constantIbLb0EES1P_EEDaS1K_S1L_EUlS1K_E_NS1_11comp_targetILNS1_3genE0ELNS1_11target_archE4294967295ELNS1_3gpuE0ELNS1_3repE0EEENS1_30default_config_static_selectorELNS0_4arch9wavefront6targetE0EEEvSY_
		.amdhsa_group_segment_fixed_size 0
		.amdhsa_private_segment_fixed_size 0
		.amdhsa_kernarg_size 144
		.amdhsa_user_sgpr_count 15
		.amdhsa_user_sgpr_dispatch_ptr 0
		.amdhsa_user_sgpr_queue_ptr 0
		.amdhsa_user_sgpr_kernarg_segment_ptr 1
		.amdhsa_user_sgpr_dispatch_id 0
		.amdhsa_user_sgpr_private_segment_size 0
		.amdhsa_wavefront_size32 1
		.amdhsa_uses_dynamic_stack 0
		.amdhsa_enable_private_segment 0
		.amdhsa_system_sgpr_workgroup_id_x 1
		.amdhsa_system_sgpr_workgroup_id_y 0
		.amdhsa_system_sgpr_workgroup_id_z 0
		.amdhsa_system_sgpr_workgroup_info 0
		.amdhsa_system_vgpr_workitem_id 0
		.amdhsa_next_free_vgpr 1
		.amdhsa_next_free_sgpr 1
		.amdhsa_reserve_vcc 0
		.amdhsa_float_round_mode_32 0
		.amdhsa_float_round_mode_16_64 0
		.amdhsa_float_denorm_mode_32 3
		.amdhsa_float_denorm_mode_16_64 3
		.amdhsa_dx10_clamp 1
		.amdhsa_ieee_mode 1
		.amdhsa_fp16_overflow 0
		.amdhsa_workgroup_processor_mode 1
		.amdhsa_memory_ordered 1
		.amdhsa_forward_progress 0
		.amdhsa_shared_vgpr_count 0
		.amdhsa_exception_fp_ieee_invalid_op 0
		.amdhsa_exception_fp_denorm_src 0
		.amdhsa_exception_fp_ieee_div_zero 0
		.amdhsa_exception_fp_ieee_overflow 0
		.amdhsa_exception_fp_ieee_underflow 0
		.amdhsa_exception_fp_ieee_inexact 0
		.amdhsa_exception_int_div_zero 0
	.end_amdhsa_kernel
	.section	.text._ZN7rocprim17ROCPRIM_400000_NS6detail17trampoline_kernelINS0_13select_configILj256ELj13ELNS0_17block_load_methodE3ELS4_3ELS4_3ELNS0_20block_scan_algorithmE0ELj4294967295EEENS1_25partition_config_selectorILNS1_17partition_subalgoE3EjNS0_10empty_typeEbEEZZNS1_14partition_implILS8_3ELb0ES6_jNS0_17counting_iteratorIjlEEPS9_SE_NS0_5tupleIJPjSE_EEENSF_IJSE_SE_EEES9_SG_JZNS1_25segmented_radix_sort_implINS0_14default_configELb1EPKiPiPKlPlN2at6native12_GLOBAL__N_18offset_tEEE10hipError_tPvRmT1_PNSt15iterator_traitsISY_E10value_typeET2_T3_PNSZ_IS14_E10value_typeET4_jRbjT5_S1A_jjP12ihipStream_tbEUljE_EEESV_SW_SX_S14_S18_S1A_T6_T7_T9_mT8_S1C_bDpT10_ENKUlT_T0_E_clISt17integral_constantIbLb0EES1P_EEDaS1K_S1L_EUlS1K_E_NS1_11comp_targetILNS1_3genE0ELNS1_11target_archE4294967295ELNS1_3gpuE0ELNS1_3repE0EEENS1_30default_config_static_selectorELNS0_4arch9wavefront6targetE0EEEvSY_,"axG",@progbits,_ZN7rocprim17ROCPRIM_400000_NS6detail17trampoline_kernelINS0_13select_configILj256ELj13ELNS0_17block_load_methodE3ELS4_3ELS4_3ELNS0_20block_scan_algorithmE0ELj4294967295EEENS1_25partition_config_selectorILNS1_17partition_subalgoE3EjNS0_10empty_typeEbEEZZNS1_14partition_implILS8_3ELb0ES6_jNS0_17counting_iteratorIjlEEPS9_SE_NS0_5tupleIJPjSE_EEENSF_IJSE_SE_EEES9_SG_JZNS1_25segmented_radix_sort_implINS0_14default_configELb1EPKiPiPKlPlN2at6native12_GLOBAL__N_18offset_tEEE10hipError_tPvRmT1_PNSt15iterator_traitsISY_E10value_typeET2_T3_PNSZ_IS14_E10value_typeET4_jRbjT5_S1A_jjP12ihipStream_tbEUljE_EEESV_SW_SX_S14_S18_S1A_T6_T7_T9_mT8_S1C_bDpT10_ENKUlT_T0_E_clISt17integral_constantIbLb0EES1P_EEDaS1K_S1L_EUlS1K_E_NS1_11comp_targetILNS1_3genE0ELNS1_11target_archE4294967295ELNS1_3gpuE0ELNS1_3repE0EEENS1_30default_config_static_selectorELNS0_4arch9wavefront6targetE0EEEvSY_,comdat
.Lfunc_end465:
	.size	_ZN7rocprim17ROCPRIM_400000_NS6detail17trampoline_kernelINS0_13select_configILj256ELj13ELNS0_17block_load_methodE3ELS4_3ELS4_3ELNS0_20block_scan_algorithmE0ELj4294967295EEENS1_25partition_config_selectorILNS1_17partition_subalgoE3EjNS0_10empty_typeEbEEZZNS1_14partition_implILS8_3ELb0ES6_jNS0_17counting_iteratorIjlEEPS9_SE_NS0_5tupleIJPjSE_EEENSF_IJSE_SE_EEES9_SG_JZNS1_25segmented_radix_sort_implINS0_14default_configELb1EPKiPiPKlPlN2at6native12_GLOBAL__N_18offset_tEEE10hipError_tPvRmT1_PNSt15iterator_traitsISY_E10value_typeET2_T3_PNSZ_IS14_E10value_typeET4_jRbjT5_S1A_jjP12ihipStream_tbEUljE_EEESV_SW_SX_S14_S18_S1A_T6_T7_T9_mT8_S1C_bDpT10_ENKUlT_T0_E_clISt17integral_constantIbLb0EES1P_EEDaS1K_S1L_EUlS1K_E_NS1_11comp_targetILNS1_3genE0ELNS1_11target_archE4294967295ELNS1_3gpuE0ELNS1_3repE0EEENS1_30default_config_static_selectorELNS0_4arch9wavefront6targetE0EEEvSY_, .Lfunc_end465-_ZN7rocprim17ROCPRIM_400000_NS6detail17trampoline_kernelINS0_13select_configILj256ELj13ELNS0_17block_load_methodE3ELS4_3ELS4_3ELNS0_20block_scan_algorithmE0ELj4294967295EEENS1_25partition_config_selectorILNS1_17partition_subalgoE3EjNS0_10empty_typeEbEEZZNS1_14partition_implILS8_3ELb0ES6_jNS0_17counting_iteratorIjlEEPS9_SE_NS0_5tupleIJPjSE_EEENSF_IJSE_SE_EEES9_SG_JZNS1_25segmented_radix_sort_implINS0_14default_configELb1EPKiPiPKlPlN2at6native12_GLOBAL__N_18offset_tEEE10hipError_tPvRmT1_PNSt15iterator_traitsISY_E10value_typeET2_T3_PNSZ_IS14_E10value_typeET4_jRbjT5_S1A_jjP12ihipStream_tbEUljE_EEESV_SW_SX_S14_S18_S1A_T6_T7_T9_mT8_S1C_bDpT10_ENKUlT_T0_E_clISt17integral_constantIbLb0EES1P_EEDaS1K_S1L_EUlS1K_E_NS1_11comp_targetILNS1_3genE0ELNS1_11target_archE4294967295ELNS1_3gpuE0ELNS1_3repE0EEENS1_30default_config_static_selectorELNS0_4arch9wavefront6targetE0EEEvSY_
                                        ; -- End function
	.section	.AMDGPU.csdata,"",@progbits
; Kernel info:
; codeLenInByte = 0
; NumSgprs: 0
; NumVgprs: 0
; ScratchSize: 0
; MemoryBound: 0
; FloatMode: 240
; IeeeMode: 1
; LDSByteSize: 0 bytes/workgroup (compile time only)
; SGPRBlocks: 0
; VGPRBlocks: 0
; NumSGPRsForWavesPerEU: 1
; NumVGPRsForWavesPerEU: 1
; Occupancy: 16
; WaveLimiterHint : 0
; COMPUTE_PGM_RSRC2:SCRATCH_EN: 0
; COMPUTE_PGM_RSRC2:USER_SGPR: 15
; COMPUTE_PGM_RSRC2:TRAP_HANDLER: 0
; COMPUTE_PGM_RSRC2:TGID_X_EN: 1
; COMPUTE_PGM_RSRC2:TGID_Y_EN: 0
; COMPUTE_PGM_RSRC2:TGID_Z_EN: 0
; COMPUTE_PGM_RSRC2:TIDIG_COMP_CNT: 0
	.section	.text._ZN7rocprim17ROCPRIM_400000_NS6detail17trampoline_kernelINS0_13select_configILj256ELj13ELNS0_17block_load_methodE3ELS4_3ELS4_3ELNS0_20block_scan_algorithmE0ELj4294967295EEENS1_25partition_config_selectorILNS1_17partition_subalgoE3EjNS0_10empty_typeEbEEZZNS1_14partition_implILS8_3ELb0ES6_jNS0_17counting_iteratorIjlEEPS9_SE_NS0_5tupleIJPjSE_EEENSF_IJSE_SE_EEES9_SG_JZNS1_25segmented_radix_sort_implINS0_14default_configELb1EPKiPiPKlPlN2at6native12_GLOBAL__N_18offset_tEEE10hipError_tPvRmT1_PNSt15iterator_traitsISY_E10value_typeET2_T3_PNSZ_IS14_E10value_typeET4_jRbjT5_S1A_jjP12ihipStream_tbEUljE_EEESV_SW_SX_S14_S18_S1A_T6_T7_T9_mT8_S1C_bDpT10_ENKUlT_T0_E_clISt17integral_constantIbLb0EES1P_EEDaS1K_S1L_EUlS1K_E_NS1_11comp_targetILNS1_3genE5ELNS1_11target_archE942ELNS1_3gpuE9ELNS1_3repE0EEENS1_30default_config_static_selectorELNS0_4arch9wavefront6targetE0EEEvSY_,"axG",@progbits,_ZN7rocprim17ROCPRIM_400000_NS6detail17trampoline_kernelINS0_13select_configILj256ELj13ELNS0_17block_load_methodE3ELS4_3ELS4_3ELNS0_20block_scan_algorithmE0ELj4294967295EEENS1_25partition_config_selectorILNS1_17partition_subalgoE3EjNS0_10empty_typeEbEEZZNS1_14partition_implILS8_3ELb0ES6_jNS0_17counting_iteratorIjlEEPS9_SE_NS0_5tupleIJPjSE_EEENSF_IJSE_SE_EEES9_SG_JZNS1_25segmented_radix_sort_implINS0_14default_configELb1EPKiPiPKlPlN2at6native12_GLOBAL__N_18offset_tEEE10hipError_tPvRmT1_PNSt15iterator_traitsISY_E10value_typeET2_T3_PNSZ_IS14_E10value_typeET4_jRbjT5_S1A_jjP12ihipStream_tbEUljE_EEESV_SW_SX_S14_S18_S1A_T6_T7_T9_mT8_S1C_bDpT10_ENKUlT_T0_E_clISt17integral_constantIbLb0EES1P_EEDaS1K_S1L_EUlS1K_E_NS1_11comp_targetILNS1_3genE5ELNS1_11target_archE942ELNS1_3gpuE9ELNS1_3repE0EEENS1_30default_config_static_selectorELNS0_4arch9wavefront6targetE0EEEvSY_,comdat
	.globl	_ZN7rocprim17ROCPRIM_400000_NS6detail17trampoline_kernelINS0_13select_configILj256ELj13ELNS0_17block_load_methodE3ELS4_3ELS4_3ELNS0_20block_scan_algorithmE0ELj4294967295EEENS1_25partition_config_selectorILNS1_17partition_subalgoE3EjNS0_10empty_typeEbEEZZNS1_14partition_implILS8_3ELb0ES6_jNS0_17counting_iteratorIjlEEPS9_SE_NS0_5tupleIJPjSE_EEENSF_IJSE_SE_EEES9_SG_JZNS1_25segmented_radix_sort_implINS0_14default_configELb1EPKiPiPKlPlN2at6native12_GLOBAL__N_18offset_tEEE10hipError_tPvRmT1_PNSt15iterator_traitsISY_E10value_typeET2_T3_PNSZ_IS14_E10value_typeET4_jRbjT5_S1A_jjP12ihipStream_tbEUljE_EEESV_SW_SX_S14_S18_S1A_T6_T7_T9_mT8_S1C_bDpT10_ENKUlT_T0_E_clISt17integral_constantIbLb0EES1P_EEDaS1K_S1L_EUlS1K_E_NS1_11comp_targetILNS1_3genE5ELNS1_11target_archE942ELNS1_3gpuE9ELNS1_3repE0EEENS1_30default_config_static_selectorELNS0_4arch9wavefront6targetE0EEEvSY_ ; -- Begin function _ZN7rocprim17ROCPRIM_400000_NS6detail17trampoline_kernelINS0_13select_configILj256ELj13ELNS0_17block_load_methodE3ELS4_3ELS4_3ELNS0_20block_scan_algorithmE0ELj4294967295EEENS1_25partition_config_selectorILNS1_17partition_subalgoE3EjNS0_10empty_typeEbEEZZNS1_14partition_implILS8_3ELb0ES6_jNS0_17counting_iteratorIjlEEPS9_SE_NS0_5tupleIJPjSE_EEENSF_IJSE_SE_EEES9_SG_JZNS1_25segmented_radix_sort_implINS0_14default_configELb1EPKiPiPKlPlN2at6native12_GLOBAL__N_18offset_tEEE10hipError_tPvRmT1_PNSt15iterator_traitsISY_E10value_typeET2_T3_PNSZ_IS14_E10value_typeET4_jRbjT5_S1A_jjP12ihipStream_tbEUljE_EEESV_SW_SX_S14_S18_S1A_T6_T7_T9_mT8_S1C_bDpT10_ENKUlT_T0_E_clISt17integral_constantIbLb0EES1P_EEDaS1K_S1L_EUlS1K_E_NS1_11comp_targetILNS1_3genE5ELNS1_11target_archE942ELNS1_3gpuE9ELNS1_3repE0EEENS1_30default_config_static_selectorELNS0_4arch9wavefront6targetE0EEEvSY_
	.p2align	8
	.type	_ZN7rocprim17ROCPRIM_400000_NS6detail17trampoline_kernelINS0_13select_configILj256ELj13ELNS0_17block_load_methodE3ELS4_3ELS4_3ELNS0_20block_scan_algorithmE0ELj4294967295EEENS1_25partition_config_selectorILNS1_17partition_subalgoE3EjNS0_10empty_typeEbEEZZNS1_14partition_implILS8_3ELb0ES6_jNS0_17counting_iteratorIjlEEPS9_SE_NS0_5tupleIJPjSE_EEENSF_IJSE_SE_EEES9_SG_JZNS1_25segmented_radix_sort_implINS0_14default_configELb1EPKiPiPKlPlN2at6native12_GLOBAL__N_18offset_tEEE10hipError_tPvRmT1_PNSt15iterator_traitsISY_E10value_typeET2_T3_PNSZ_IS14_E10value_typeET4_jRbjT5_S1A_jjP12ihipStream_tbEUljE_EEESV_SW_SX_S14_S18_S1A_T6_T7_T9_mT8_S1C_bDpT10_ENKUlT_T0_E_clISt17integral_constantIbLb0EES1P_EEDaS1K_S1L_EUlS1K_E_NS1_11comp_targetILNS1_3genE5ELNS1_11target_archE942ELNS1_3gpuE9ELNS1_3repE0EEENS1_30default_config_static_selectorELNS0_4arch9wavefront6targetE0EEEvSY_,@function
_ZN7rocprim17ROCPRIM_400000_NS6detail17trampoline_kernelINS0_13select_configILj256ELj13ELNS0_17block_load_methodE3ELS4_3ELS4_3ELNS0_20block_scan_algorithmE0ELj4294967295EEENS1_25partition_config_selectorILNS1_17partition_subalgoE3EjNS0_10empty_typeEbEEZZNS1_14partition_implILS8_3ELb0ES6_jNS0_17counting_iteratorIjlEEPS9_SE_NS0_5tupleIJPjSE_EEENSF_IJSE_SE_EEES9_SG_JZNS1_25segmented_radix_sort_implINS0_14default_configELb1EPKiPiPKlPlN2at6native12_GLOBAL__N_18offset_tEEE10hipError_tPvRmT1_PNSt15iterator_traitsISY_E10value_typeET2_T3_PNSZ_IS14_E10value_typeET4_jRbjT5_S1A_jjP12ihipStream_tbEUljE_EEESV_SW_SX_S14_S18_S1A_T6_T7_T9_mT8_S1C_bDpT10_ENKUlT_T0_E_clISt17integral_constantIbLb0EES1P_EEDaS1K_S1L_EUlS1K_E_NS1_11comp_targetILNS1_3genE5ELNS1_11target_archE942ELNS1_3gpuE9ELNS1_3repE0EEENS1_30default_config_static_selectorELNS0_4arch9wavefront6targetE0EEEvSY_: ; @_ZN7rocprim17ROCPRIM_400000_NS6detail17trampoline_kernelINS0_13select_configILj256ELj13ELNS0_17block_load_methodE3ELS4_3ELS4_3ELNS0_20block_scan_algorithmE0ELj4294967295EEENS1_25partition_config_selectorILNS1_17partition_subalgoE3EjNS0_10empty_typeEbEEZZNS1_14partition_implILS8_3ELb0ES6_jNS0_17counting_iteratorIjlEEPS9_SE_NS0_5tupleIJPjSE_EEENSF_IJSE_SE_EEES9_SG_JZNS1_25segmented_radix_sort_implINS0_14default_configELb1EPKiPiPKlPlN2at6native12_GLOBAL__N_18offset_tEEE10hipError_tPvRmT1_PNSt15iterator_traitsISY_E10value_typeET2_T3_PNSZ_IS14_E10value_typeET4_jRbjT5_S1A_jjP12ihipStream_tbEUljE_EEESV_SW_SX_S14_S18_S1A_T6_T7_T9_mT8_S1C_bDpT10_ENKUlT_T0_E_clISt17integral_constantIbLb0EES1P_EEDaS1K_S1L_EUlS1K_E_NS1_11comp_targetILNS1_3genE5ELNS1_11target_archE942ELNS1_3gpuE9ELNS1_3repE0EEENS1_30default_config_static_selectorELNS0_4arch9wavefront6targetE0EEEvSY_
; %bb.0:
	.section	.rodata,"a",@progbits
	.p2align	6, 0x0
	.amdhsa_kernel _ZN7rocprim17ROCPRIM_400000_NS6detail17trampoline_kernelINS0_13select_configILj256ELj13ELNS0_17block_load_methodE3ELS4_3ELS4_3ELNS0_20block_scan_algorithmE0ELj4294967295EEENS1_25partition_config_selectorILNS1_17partition_subalgoE3EjNS0_10empty_typeEbEEZZNS1_14partition_implILS8_3ELb0ES6_jNS0_17counting_iteratorIjlEEPS9_SE_NS0_5tupleIJPjSE_EEENSF_IJSE_SE_EEES9_SG_JZNS1_25segmented_radix_sort_implINS0_14default_configELb1EPKiPiPKlPlN2at6native12_GLOBAL__N_18offset_tEEE10hipError_tPvRmT1_PNSt15iterator_traitsISY_E10value_typeET2_T3_PNSZ_IS14_E10value_typeET4_jRbjT5_S1A_jjP12ihipStream_tbEUljE_EEESV_SW_SX_S14_S18_S1A_T6_T7_T9_mT8_S1C_bDpT10_ENKUlT_T0_E_clISt17integral_constantIbLb0EES1P_EEDaS1K_S1L_EUlS1K_E_NS1_11comp_targetILNS1_3genE5ELNS1_11target_archE942ELNS1_3gpuE9ELNS1_3repE0EEENS1_30default_config_static_selectorELNS0_4arch9wavefront6targetE0EEEvSY_
		.amdhsa_group_segment_fixed_size 0
		.amdhsa_private_segment_fixed_size 0
		.amdhsa_kernarg_size 144
		.amdhsa_user_sgpr_count 15
		.amdhsa_user_sgpr_dispatch_ptr 0
		.amdhsa_user_sgpr_queue_ptr 0
		.amdhsa_user_sgpr_kernarg_segment_ptr 1
		.amdhsa_user_sgpr_dispatch_id 0
		.amdhsa_user_sgpr_private_segment_size 0
		.amdhsa_wavefront_size32 1
		.amdhsa_uses_dynamic_stack 0
		.amdhsa_enable_private_segment 0
		.amdhsa_system_sgpr_workgroup_id_x 1
		.amdhsa_system_sgpr_workgroup_id_y 0
		.amdhsa_system_sgpr_workgroup_id_z 0
		.amdhsa_system_sgpr_workgroup_info 0
		.amdhsa_system_vgpr_workitem_id 0
		.amdhsa_next_free_vgpr 1
		.amdhsa_next_free_sgpr 1
		.amdhsa_reserve_vcc 0
		.amdhsa_float_round_mode_32 0
		.amdhsa_float_round_mode_16_64 0
		.amdhsa_float_denorm_mode_32 3
		.amdhsa_float_denorm_mode_16_64 3
		.amdhsa_dx10_clamp 1
		.amdhsa_ieee_mode 1
		.amdhsa_fp16_overflow 0
		.amdhsa_workgroup_processor_mode 1
		.amdhsa_memory_ordered 1
		.amdhsa_forward_progress 0
		.amdhsa_shared_vgpr_count 0
		.amdhsa_exception_fp_ieee_invalid_op 0
		.amdhsa_exception_fp_denorm_src 0
		.amdhsa_exception_fp_ieee_div_zero 0
		.amdhsa_exception_fp_ieee_overflow 0
		.amdhsa_exception_fp_ieee_underflow 0
		.amdhsa_exception_fp_ieee_inexact 0
		.amdhsa_exception_int_div_zero 0
	.end_amdhsa_kernel
	.section	.text._ZN7rocprim17ROCPRIM_400000_NS6detail17trampoline_kernelINS0_13select_configILj256ELj13ELNS0_17block_load_methodE3ELS4_3ELS4_3ELNS0_20block_scan_algorithmE0ELj4294967295EEENS1_25partition_config_selectorILNS1_17partition_subalgoE3EjNS0_10empty_typeEbEEZZNS1_14partition_implILS8_3ELb0ES6_jNS0_17counting_iteratorIjlEEPS9_SE_NS0_5tupleIJPjSE_EEENSF_IJSE_SE_EEES9_SG_JZNS1_25segmented_radix_sort_implINS0_14default_configELb1EPKiPiPKlPlN2at6native12_GLOBAL__N_18offset_tEEE10hipError_tPvRmT1_PNSt15iterator_traitsISY_E10value_typeET2_T3_PNSZ_IS14_E10value_typeET4_jRbjT5_S1A_jjP12ihipStream_tbEUljE_EEESV_SW_SX_S14_S18_S1A_T6_T7_T9_mT8_S1C_bDpT10_ENKUlT_T0_E_clISt17integral_constantIbLb0EES1P_EEDaS1K_S1L_EUlS1K_E_NS1_11comp_targetILNS1_3genE5ELNS1_11target_archE942ELNS1_3gpuE9ELNS1_3repE0EEENS1_30default_config_static_selectorELNS0_4arch9wavefront6targetE0EEEvSY_,"axG",@progbits,_ZN7rocprim17ROCPRIM_400000_NS6detail17trampoline_kernelINS0_13select_configILj256ELj13ELNS0_17block_load_methodE3ELS4_3ELS4_3ELNS0_20block_scan_algorithmE0ELj4294967295EEENS1_25partition_config_selectorILNS1_17partition_subalgoE3EjNS0_10empty_typeEbEEZZNS1_14partition_implILS8_3ELb0ES6_jNS0_17counting_iteratorIjlEEPS9_SE_NS0_5tupleIJPjSE_EEENSF_IJSE_SE_EEES9_SG_JZNS1_25segmented_radix_sort_implINS0_14default_configELb1EPKiPiPKlPlN2at6native12_GLOBAL__N_18offset_tEEE10hipError_tPvRmT1_PNSt15iterator_traitsISY_E10value_typeET2_T3_PNSZ_IS14_E10value_typeET4_jRbjT5_S1A_jjP12ihipStream_tbEUljE_EEESV_SW_SX_S14_S18_S1A_T6_T7_T9_mT8_S1C_bDpT10_ENKUlT_T0_E_clISt17integral_constantIbLb0EES1P_EEDaS1K_S1L_EUlS1K_E_NS1_11comp_targetILNS1_3genE5ELNS1_11target_archE942ELNS1_3gpuE9ELNS1_3repE0EEENS1_30default_config_static_selectorELNS0_4arch9wavefront6targetE0EEEvSY_,comdat
.Lfunc_end466:
	.size	_ZN7rocprim17ROCPRIM_400000_NS6detail17trampoline_kernelINS0_13select_configILj256ELj13ELNS0_17block_load_methodE3ELS4_3ELS4_3ELNS0_20block_scan_algorithmE0ELj4294967295EEENS1_25partition_config_selectorILNS1_17partition_subalgoE3EjNS0_10empty_typeEbEEZZNS1_14partition_implILS8_3ELb0ES6_jNS0_17counting_iteratorIjlEEPS9_SE_NS0_5tupleIJPjSE_EEENSF_IJSE_SE_EEES9_SG_JZNS1_25segmented_radix_sort_implINS0_14default_configELb1EPKiPiPKlPlN2at6native12_GLOBAL__N_18offset_tEEE10hipError_tPvRmT1_PNSt15iterator_traitsISY_E10value_typeET2_T3_PNSZ_IS14_E10value_typeET4_jRbjT5_S1A_jjP12ihipStream_tbEUljE_EEESV_SW_SX_S14_S18_S1A_T6_T7_T9_mT8_S1C_bDpT10_ENKUlT_T0_E_clISt17integral_constantIbLb0EES1P_EEDaS1K_S1L_EUlS1K_E_NS1_11comp_targetILNS1_3genE5ELNS1_11target_archE942ELNS1_3gpuE9ELNS1_3repE0EEENS1_30default_config_static_selectorELNS0_4arch9wavefront6targetE0EEEvSY_, .Lfunc_end466-_ZN7rocprim17ROCPRIM_400000_NS6detail17trampoline_kernelINS0_13select_configILj256ELj13ELNS0_17block_load_methodE3ELS4_3ELS4_3ELNS0_20block_scan_algorithmE0ELj4294967295EEENS1_25partition_config_selectorILNS1_17partition_subalgoE3EjNS0_10empty_typeEbEEZZNS1_14partition_implILS8_3ELb0ES6_jNS0_17counting_iteratorIjlEEPS9_SE_NS0_5tupleIJPjSE_EEENSF_IJSE_SE_EEES9_SG_JZNS1_25segmented_radix_sort_implINS0_14default_configELb1EPKiPiPKlPlN2at6native12_GLOBAL__N_18offset_tEEE10hipError_tPvRmT1_PNSt15iterator_traitsISY_E10value_typeET2_T3_PNSZ_IS14_E10value_typeET4_jRbjT5_S1A_jjP12ihipStream_tbEUljE_EEESV_SW_SX_S14_S18_S1A_T6_T7_T9_mT8_S1C_bDpT10_ENKUlT_T0_E_clISt17integral_constantIbLb0EES1P_EEDaS1K_S1L_EUlS1K_E_NS1_11comp_targetILNS1_3genE5ELNS1_11target_archE942ELNS1_3gpuE9ELNS1_3repE0EEENS1_30default_config_static_selectorELNS0_4arch9wavefront6targetE0EEEvSY_
                                        ; -- End function
	.section	.AMDGPU.csdata,"",@progbits
; Kernel info:
; codeLenInByte = 0
; NumSgprs: 0
; NumVgprs: 0
; ScratchSize: 0
; MemoryBound: 0
; FloatMode: 240
; IeeeMode: 1
; LDSByteSize: 0 bytes/workgroup (compile time only)
; SGPRBlocks: 0
; VGPRBlocks: 0
; NumSGPRsForWavesPerEU: 1
; NumVGPRsForWavesPerEU: 1
; Occupancy: 16
; WaveLimiterHint : 0
; COMPUTE_PGM_RSRC2:SCRATCH_EN: 0
; COMPUTE_PGM_RSRC2:USER_SGPR: 15
; COMPUTE_PGM_RSRC2:TRAP_HANDLER: 0
; COMPUTE_PGM_RSRC2:TGID_X_EN: 1
; COMPUTE_PGM_RSRC2:TGID_Y_EN: 0
; COMPUTE_PGM_RSRC2:TGID_Z_EN: 0
; COMPUTE_PGM_RSRC2:TIDIG_COMP_CNT: 0
	.section	.text._ZN7rocprim17ROCPRIM_400000_NS6detail17trampoline_kernelINS0_13select_configILj256ELj13ELNS0_17block_load_methodE3ELS4_3ELS4_3ELNS0_20block_scan_algorithmE0ELj4294967295EEENS1_25partition_config_selectorILNS1_17partition_subalgoE3EjNS0_10empty_typeEbEEZZNS1_14partition_implILS8_3ELb0ES6_jNS0_17counting_iteratorIjlEEPS9_SE_NS0_5tupleIJPjSE_EEENSF_IJSE_SE_EEES9_SG_JZNS1_25segmented_radix_sort_implINS0_14default_configELb1EPKiPiPKlPlN2at6native12_GLOBAL__N_18offset_tEEE10hipError_tPvRmT1_PNSt15iterator_traitsISY_E10value_typeET2_T3_PNSZ_IS14_E10value_typeET4_jRbjT5_S1A_jjP12ihipStream_tbEUljE_EEESV_SW_SX_S14_S18_S1A_T6_T7_T9_mT8_S1C_bDpT10_ENKUlT_T0_E_clISt17integral_constantIbLb0EES1P_EEDaS1K_S1L_EUlS1K_E_NS1_11comp_targetILNS1_3genE4ELNS1_11target_archE910ELNS1_3gpuE8ELNS1_3repE0EEENS1_30default_config_static_selectorELNS0_4arch9wavefront6targetE0EEEvSY_,"axG",@progbits,_ZN7rocprim17ROCPRIM_400000_NS6detail17trampoline_kernelINS0_13select_configILj256ELj13ELNS0_17block_load_methodE3ELS4_3ELS4_3ELNS0_20block_scan_algorithmE0ELj4294967295EEENS1_25partition_config_selectorILNS1_17partition_subalgoE3EjNS0_10empty_typeEbEEZZNS1_14partition_implILS8_3ELb0ES6_jNS0_17counting_iteratorIjlEEPS9_SE_NS0_5tupleIJPjSE_EEENSF_IJSE_SE_EEES9_SG_JZNS1_25segmented_radix_sort_implINS0_14default_configELb1EPKiPiPKlPlN2at6native12_GLOBAL__N_18offset_tEEE10hipError_tPvRmT1_PNSt15iterator_traitsISY_E10value_typeET2_T3_PNSZ_IS14_E10value_typeET4_jRbjT5_S1A_jjP12ihipStream_tbEUljE_EEESV_SW_SX_S14_S18_S1A_T6_T7_T9_mT8_S1C_bDpT10_ENKUlT_T0_E_clISt17integral_constantIbLb0EES1P_EEDaS1K_S1L_EUlS1K_E_NS1_11comp_targetILNS1_3genE4ELNS1_11target_archE910ELNS1_3gpuE8ELNS1_3repE0EEENS1_30default_config_static_selectorELNS0_4arch9wavefront6targetE0EEEvSY_,comdat
	.globl	_ZN7rocprim17ROCPRIM_400000_NS6detail17trampoline_kernelINS0_13select_configILj256ELj13ELNS0_17block_load_methodE3ELS4_3ELS4_3ELNS0_20block_scan_algorithmE0ELj4294967295EEENS1_25partition_config_selectorILNS1_17partition_subalgoE3EjNS0_10empty_typeEbEEZZNS1_14partition_implILS8_3ELb0ES6_jNS0_17counting_iteratorIjlEEPS9_SE_NS0_5tupleIJPjSE_EEENSF_IJSE_SE_EEES9_SG_JZNS1_25segmented_radix_sort_implINS0_14default_configELb1EPKiPiPKlPlN2at6native12_GLOBAL__N_18offset_tEEE10hipError_tPvRmT1_PNSt15iterator_traitsISY_E10value_typeET2_T3_PNSZ_IS14_E10value_typeET4_jRbjT5_S1A_jjP12ihipStream_tbEUljE_EEESV_SW_SX_S14_S18_S1A_T6_T7_T9_mT8_S1C_bDpT10_ENKUlT_T0_E_clISt17integral_constantIbLb0EES1P_EEDaS1K_S1L_EUlS1K_E_NS1_11comp_targetILNS1_3genE4ELNS1_11target_archE910ELNS1_3gpuE8ELNS1_3repE0EEENS1_30default_config_static_selectorELNS0_4arch9wavefront6targetE0EEEvSY_ ; -- Begin function _ZN7rocprim17ROCPRIM_400000_NS6detail17trampoline_kernelINS0_13select_configILj256ELj13ELNS0_17block_load_methodE3ELS4_3ELS4_3ELNS0_20block_scan_algorithmE0ELj4294967295EEENS1_25partition_config_selectorILNS1_17partition_subalgoE3EjNS0_10empty_typeEbEEZZNS1_14partition_implILS8_3ELb0ES6_jNS0_17counting_iteratorIjlEEPS9_SE_NS0_5tupleIJPjSE_EEENSF_IJSE_SE_EEES9_SG_JZNS1_25segmented_radix_sort_implINS0_14default_configELb1EPKiPiPKlPlN2at6native12_GLOBAL__N_18offset_tEEE10hipError_tPvRmT1_PNSt15iterator_traitsISY_E10value_typeET2_T3_PNSZ_IS14_E10value_typeET4_jRbjT5_S1A_jjP12ihipStream_tbEUljE_EEESV_SW_SX_S14_S18_S1A_T6_T7_T9_mT8_S1C_bDpT10_ENKUlT_T0_E_clISt17integral_constantIbLb0EES1P_EEDaS1K_S1L_EUlS1K_E_NS1_11comp_targetILNS1_3genE4ELNS1_11target_archE910ELNS1_3gpuE8ELNS1_3repE0EEENS1_30default_config_static_selectorELNS0_4arch9wavefront6targetE0EEEvSY_
	.p2align	8
	.type	_ZN7rocprim17ROCPRIM_400000_NS6detail17trampoline_kernelINS0_13select_configILj256ELj13ELNS0_17block_load_methodE3ELS4_3ELS4_3ELNS0_20block_scan_algorithmE0ELj4294967295EEENS1_25partition_config_selectorILNS1_17partition_subalgoE3EjNS0_10empty_typeEbEEZZNS1_14partition_implILS8_3ELb0ES6_jNS0_17counting_iteratorIjlEEPS9_SE_NS0_5tupleIJPjSE_EEENSF_IJSE_SE_EEES9_SG_JZNS1_25segmented_radix_sort_implINS0_14default_configELb1EPKiPiPKlPlN2at6native12_GLOBAL__N_18offset_tEEE10hipError_tPvRmT1_PNSt15iterator_traitsISY_E10value_typeET2_T3_PNSZ_IS14_E10value_typeET4_jRbjT5_S1A_jjP12ihipStream_tbEUljE_EEESV_SW_SX_S14_S18_S1A_T6_T7_T9_mT8_S1C_bDpT10_ENKUlT_T0_E_clISt17integral_constantIbLb0EES1P_EEDaS1K_S1L_EUlS1K_E_NS1_11comp_targetILNS1_3genE4ELNS1_11target_archE910ELNS1_3gpuE8ELNS1_3repE0EEENS1_30default_config_static_selectorELNS0_4arch9wavefront6targetE0EEEvSY_,@function
_ZN7rocprim17ROCPRIM_400000_NS6detail17trampoline_kernelINS0_13select_configILj256ELj13ELNS0_17block_load_methodE3ELS4_3ELS4_3ELNS0_20block_scan_algorithmE0ELj4294967295EEENS1_25partition_config_selectorILNS1_17partition_subalgoE3EjNS0_10empty_typeEbEEZZNS1_14partition_implILS8_3ELb0ES6_jNS0_17counting_iteratorIjlEEPS9_SE_NS0_5tupleIJPjSE_EEENSF_IJSE_SE_EEES9_SG_JZNS1_25segmented_radix_sort_implINS0_14default_configELb1EPKiPiPKlPlN2at6native12_GLOBAL__N_18offset_tEEE10hipError_tPvRmT1_PNSt15iterator_traitsISY_E10value_typeET2_T3_PNSZ_IS14_E10value_typeET4_jRbjT5_S1A_jjP12ihipStream_tbEUljE_EEESV_SW_SX_S14_S18_S1A_T6_T7_T9_mT8_S1C_bDpT10_ENKUlT_T0_E_clISt17integral_constantIbLb0EES1P_EEDaS1K_S1L_EUlS1K_E_NS1_11comp_targetILNS1_3genE4ELNS1_11target_archE910ELNS1_3gpuE8ELNS1_3repE0EEENS1_30default_config_static_selectorELNS0_4arch9wavefront6targetE0EEEvSY_: ; @_ZN7rocprim17ROCPRIM_400000_NS6detail17trampoline_kernelINS0_13select_configILj256ELj13ELNS0_17block_load_methodE3ELS4_3ELS4_3ELNS0_20block_scan_algorithmE0ELj4294967295EEENS1_25partition_config_selectorILNS1_17partition_subalgoE3EjNS0_10empty_typeEbEEZZNS1_14partition_implILS8_3ELb0ES6_jNS0_17counting_iteratorIjlEEPS9_SE_NS0_5tupleIJPjSE_EEENSF_IJSE_SE_EEES9_SG_JZNS1_25segmented_radix_sort_implINS0_14default_configELb1EPKiPiPKlPlN2at6native12_GLOBAL__N_18offset_tEEE10hipError_tPvRmT1_PNSt15iterator_traitsISY_E10value_typeET2_T3_PNSZ_IS14_E10value_typeET4_jRbjT5_S1A_jjP12ihipStream_tbEUljE_EEESV_SW_SX_S14_S18_S1A_T6_T7_T9_mT8_S1C_bDpT10_ENKUlT_T0_E_clISt17integral_constantIbLb0EES1P_EEDaS1K_S1L_EUlS1K_E_NS1_11comp_targetILNS1_3genE4ELNS1_11target_archE910ELNS1_3gpuE8ELNS1_3repE0EEENS1_30default_config_static_selectorELNS0_4arch9wavefront6targetE0EEEvSY_
; %bb.0:
	.section	.rodata,"a",@progbits
	.p2align	6, 0x0
	.amdhsa_kernel _ZN7rocprim17ROCPRIM_400000_NS6detail17trampoline_kernelINS0_13select_configILj256ELj13ELNS0_17block_load_methodE3ELS4_3ELS4_3ELNS0_20block_scan_algorithmE0ELj4294967295EEENS1_25partition_config_selectorILNS1_17partition_subalgoE3EjNS0_10empty_typeEbEEZZNS1_14partition_implILS8_3ELb0ES6_jNS0_17counting_iteratorIjlEEPS9_SE_NS0_5tupleIJPjSE_EEENSF_IJSE_SE_EEES9_SG_JZNS1_25segmented_radix_sort_implINS0_14default_configELb1EPKiPiPKlPlN2at6native12_GLOBAL__N_18offset_tEEE10hipError_tPvRmT1_PNSt15iterator_traitsISY_E10value_typeET2_T3_PNSZ_IS14_E10value_typeET4_jRbjT5_S1A_jjP12ihipStream_tbEUljE_EEESV_SW_SX_S14_S18_S1A_T6_T7_T9_mT8_S1C_bDpT10_ENKUlT_T0_E_clISt17integral_constantIbLb0EES1P_EEDaS1K_S1L_EUlS1K_E_NS1_11comp_targetILNS1_3genE4ELNS1_11target_archE910ELNS1_3gpuE8ELNS1_3repE0EEENS1_30default_config_static_selectorELNS0_4arch9wavefront6targetE0EEEvSY_
		.amdhsa_group_segment_fixed_size 0
		.amdhsa_private_segment_fixed_size 0
		.amdhsa_kernarg_size 144
		.amdhsa_user_sgpr_count 15
		.amdhsa_user_sgpr_dispatch_ptr 0
		.amdhsa_user_sgpr_queue_ptr 0
		.amdhsa_user_sgpr_kernarg_segment_ptr 1
		.amdhsa_user_sgpr_dispatch_id 0
		.amdhsa_user_sgpr_private_segment_size 0
		.amdhsa_wavefront_size32 1
		.amdhsa_uses_dynamic_stack 0
		.amdhsa_enable_private_segment 0
		.amdhsa_system_sgpr_workgroup_id_x 1
		.amdhsa_system_sgpr_workgroup_id_y 0
		.amdhsa_system_sgpr_workgroup_id_z 0
		.amdhsa_system_sgpr_workgroup_info 0
		.amdhsa_system_vgpr_workitem_id 0
		.amdhsa_next_free_vgpr 1
		.amdhsa_next_free_sgpr 1
		.amdhsa_reserve_vcc 0
		.amdhsa_float_round_mode_32 0
		.amdhsa_float_round_mode_16_64 0
		.amdhsa_float_denorm_mode_32 3
		.amdhsa_float_denorm_mode_16_64 3
		.amdhsa_dx10_clamp 1
		.amdhsa_ieee_mode 1
		.amdhsa_fp16_overflow 0
		.amdhsa_workgroup_processor_mode 1
		.amdhsa_memory_ordered 1
		.amdhsa_forward_progress 0
		.amdhsa_shared_vgpr_count 0
		.amdhsa_exception_fp_ieee_invalid_op 0
		.amdhsa_exception_fp_denorm_src 0
		.amdhsa_exception_fp_ieee_div_zero 0
		.amdhsa_exception_fp_ieee_overflow 0
		.amdhsa_exception_fp_ieee_underflow 0
		.amdhsa_exception_fp_ieee_inexact 0
		.amdhsa_exception_int_div_zero 0
	.end_amdhsa_kernel
	.section	.text._ZN7rocprim17ROCPRIM_400000_NS6detail17trampoline_kernelINS0_13select_configILj256ELj13ELNS0_17block_load_methodE3ELS4_3ELS4_3ELNS0_20block_scan_algorithmE0ELj4294967295EEENS1_25partition_config_selectorILNS1_17partition_subalgoE3EjNS0_10empty_typeEbEEZZNS1_14partition_implILS8_3ELb0ES6_jNS0_17counting_iteratorIjlEEPS9_SE_NS0_5tupleIJPjSE_EEENSF_IJSE_SE_EEES9_SG_JZNS1_25segmented_radix_sort_implINS0_14default_configELb1EPKiPiPKlPlN2at6native12_GLOBAL__N_18offset_tEEE10hipError_tPvRmT1_PNSt15iterator_traitsISY_E10value_typeET2_T3_PNSZ_IS14_E10value_typeET4_jRbjT5_S1A_jjP12ihipStream_tbEUljE_EEESV_SW_SX_S14_S18_S1A_T6_T7_T9_mT8_S1C_bDpT10_ENKUlT_T0_E_clISt17integral_constantIbLb0EES1P_EEDaS1K_S1L_EUlS1K_E_NS1_11comp_targetILNS1_3genE4ELNS1_11target_archE910ELNS1_3gpuE8ELNS1_3repE0EEENS1_30default_config_static_selectorELNS0_4arch9wavefront6targetE0EEEvSY_,"axG",@progbits,_ZN7rocprim17ROCPRIM_400000_NS6detail17trampoline_kernelINS0_13select_configILj256ELj13ELNS0_17block_load_methodE3ELS4_3ELS4_3ELNS0_20block_scan_algorithmE0ELj4294967295EEENS1_25partition_config_selectorILNS1_17partition_subalgoE3EjNS0_10empty_typeEbEEZZNS1_14partition_implILS8_3ELb0ES6_jNS0_17counting_iteratorIjlEEPS9_SE_NS0_5tupleIJPjSE_EEENSF_IJSE_SE_EEES9_SG_JZNS1_25segmented_radix_sort_implINS0_14default_configELb1EPKiPiPKlPlN2at6native12_GLOBAL__N_18offset_tEEE10hipError_tPvRmT1_PNSt15iterator_traitsISY_E10value_typeET2_T3_PNSZ_IS14_E10value_typeET4_jRbjT5_S1A_jjP12ihipStream_tbEUljE_EEESV_SW_SX_S14_S18_S1A_T6_T7_T9_mT8_S1C_bDpT10_ENKUlT_T0_E_clISt17integral_constantIbLb0EES1P_EEDaS1K_S1L_EUlS1K_E_NS1_11comp_targetILNS1_3genE4ELNS1_11target_archE910ELNS1_3gpuE8ELNS1_3repE0EEENS1_30default_config_static_selectorELNS0_4arch9wavefront6targetE0EEEvSY_,comdat
.Lfunc_end467:
	.size	_ZN7rocprim17ROCPRIM_400000_NS6detail17trampoline_kernelINS0_13select_configILj256ELj13ELNS0_17block_load_methodE3ELS4_3ELS4_3ELNS0_20block_scan_algorithmE0ELj4294967295EEENS1_25partition_config_selectorILNS1_17partition_subalgoE3EjNS0_10empty_typeEbEEZZNS1_14partition_implILS8_3ELb0ES6_jNS0_17counting_iteratorIjlEEPS9_SE_NS0_5tupleIJPjSE_EEENSF_IJSE_SE_EEES9_SG_JZNS1_25segmented_radix_sort_implINS0_14default_configELb1EPKiPiPKlPlN2at6native12_GLOBAL__N_18offset_tEEE10hipError_tPvRmT1_PNSt15iterator_traitsISY_E10value_typeET2_T3_PNSZ_IS14_E10value_typeET4_jRbjT5_S1A_jjP12ihipStream_tbEUljE_EEESV_SW_SX_S14_S18_S1A_T6_T7_T9_mT8_S1C_bDpT10_ENKUlT_T0_E_clISt17integral_constantIbLb0EES1P_EEDaS1K_S1L_EUlS1K_E_NS1_11comp_targetILNS1_3genE4ELNS1_11target_archE910ELNS1_3gpuE8ELNS1_3repE0EEENS1_30default_config_static_selectorELNS0_4arch9wavefront6targetE0EEEvSY_, .Lfunc_end467-_ZN7rocprim17ROCPRIM_400000_NS6detail17trampoline_kernelINS0_13select_configILj256ELj13ELNS0_17block_load_methodE3ELS4_3ELS4_3ELNS0_20block_scan_algorithmE0ELj4294967295EEENS1_25partition_config_selectorILNS1_17partition_subalgoE3EjNS0_10empty_typeEbEEZZNS1_14partition_implILS8_3ELb0ES6_jNS0_17counting_iteratorIjlEEPS9_SE_NS0_5tupleIJPjSE_EEENSF_IJSE_SE_EEES9_SG_JZNS1_25segmented_radix_sort_implINS0_14default_configELb1EPKiPiPKlPlN2at6native12_GLOBAL__N_18offset_tEEE10hipError_tPvRmT1_PNSt15iterator_traitsISY_E10value_typeET2_T3_PNSZ_IS14_E10value_typeET4_jRbjT5_S1A_jjP12ihipStream_tbEUljE_EEESV_SW_SX_S14_S18_S1A_T6_T7_T9_mT8_S1C_bDpT10_ENKUlT_T0_E_clISt17integral_constantIbLb0EES1P_EEDaS1K_S1L_EUlS1K_E_NS1_11comp_targetILNS1_3genE4ELNS1_11target_archE910ELNS1_3gpuE8ELNS1_3repE0EEENS1_30default_config_static_selectorELNS0_4arch9wavefront6targetE0EEEvSY_
                                        ; -- End function
	.section	.AMDGPU.csdata,"",@progbits
; Kernel info:
; codeLenInByte = 0
; NumSgprs: 0
; NumVgprs: 0
; ScratchSize: 0
; MemoryBound: 0
; FloatMode: 240
; IeeeMode: 1
; LDSByteSize: 0 bytes/workgroup (compile time only)
; SGPRBlocks: 0
; VGPRBlocks: 0
; NumSGPRsForWavesPerEU: 1
; NumVGPRsForWavesPerEU: 1
; Occupancy: 16
; WaveLimiterHint : 0
; COMPUTE_PGM_RSRC2:SCRATCH_EN: 0
; COMPUTE_PGM_RSRC2:USER_SGPR: 15
; COMPUTE_PGM_RSRC2:TRAP_HANDLER: 0
; COMPUTE_PGM_RSRC2:TGID_X_EN: 1
; COMPUTE_PGM_RSRC2:TGID_Y_EN: 0
; COMPUTE_PGM_RSRC2:TGID_Z_EN: 0
; COMPUTE_PGM_RSRC2:TIDIG_COMP_CNT: 0
	.section	.text._ZN7rocprim17ROCPRIM_400000_NS6detail17trampoline_kernelINS0_13select_configILj256ELj13ELNS0_17block_load_methodE3ELS4_3ELS4_3ELNS0_20block_scan_algorithmE0ELj4294967295EEENS1_25partition_config_selectorILNS1_17partition_subalgoE3EjNS0_10empty_typeEbEEZZNS1_14partition_implILS8_3ELb0ES6_jNS0_17counting_iteratorIjlEEPS9_SE_NS0_5tupleIJPjSE_EEENSF_IJSE_SE_EEES9_SG_JZNS1_25segmented_radix_sort_implINS0_14default_configELb1EPKiPiPKlPlN2at6native12_GLOBAL__N_18offset_tEEE10hipError_tPvRmT1_PNSt15iterator_traitsISY_E10value_typeET2_T3_PNSZ_IS14_E10value_typeET4_jRbjT5_S1A_jjP12ihipStream_tbEUljE_EEESV_SW_SX_S14_S18_S1A_T6_T7_T9_mT8_S1C_bDpT10_ENKUlT_T0_E_clISt17integral_constantIbLb0EES1P_EEDaS1K_S1L_EUlS1K_E_NS1_11comp_targetILNS1_3genE3ELNS1_11target_archE908ELNS1_3gpuE7ELNS1_3repE0EEENS1_30default_config_static_selectorELNS0_4arch9wavefront6targetE0EEEvSY_,"axG",@progbits,_ZN7rocprim17ROCPRIM_400000_NS6detail17trampoline_kernelINS0_13select_configILj256ELj13ELNS0_17block_load_methodE3ELS4_3ELS4_3ELNS0_20block_scan_algorithmE0ELj4294967295EEENS1_25partition_config_selectorILNS1_17partition_subalgoE3EjNS0_10empty_typeEbEEZZNS1_14partition_implILS8_3ELb0ES6_jNS0_17counting_iteratorIjlEEPS9_SE_NS0_5tupleIJPjSE_EEENSF_IJSE_SE_EEES9_SG_JZNS1_25segmented_radix_sort_implINS0_14default_configELb1EPKiPiPKlPlN2at6native12_GLOBAL__N_18offset_tEEE10hipError_tPvRmT1_PNSt15iterator_traitsISY_E10value_typeET2_T3_PNSZ_IS14_E10value_typeET4_jRbjT5_S1A_jjP12ihipStream_tbEUljE_EEESV_SW_SX_S14_S18_S1A_T6_T7_T9_mT8_S1C_bDpT10_ENKUlT_T0_E_clISt17integral_constantIbLb0EES1P_EEDaS1K_S1L_EUlS1K_E_NS1_11comp_targetILNS1_3genE3ELNS1_11target_archE908ELNS1_3gpuE7ELNS1_3repE0EEENS1_30default_config_static_selectorELNS0_4arch9wavefront6targetE0EEEvSY_,comdat
	.globl	_ZN7rocprim17ROCPRIM_400000_NS6detail17trampoline_kernelINS0_13select_configILj256ELj13ELNS0_17block_load_methodE3ELS4_3ELS4_3ELNS0_20block_scan_algorithmE0ELj4294967295EEENS1_25partition_config_selectorILNS1_17partition_subalgoE3EjNS0_10empty_typeEbEEZZNS1_14partition_implILS8_3ELb0ES6_jNS0_17counting_iteratorIjlEEPS9_SE_NS0_5tupleIJPjSE_EEENSF_IJSE_SE_EEES9_SG_JZNS1_25segmented_radix_sort_implINS0_14default_configELb1EPKiPiPKlPlN2at6native12_GLOBAL__N_18offset_tEEE10hipError_tPvRmT1_PNSt15iterator_traitsISY_E10value_typeET2_T3_PNSZ_IS14_E10value_typeET4_jRbjT5_S1A_jjP12ihipStream_tbEUljE_EEESV_SW_SX_S14_S18_S1A_T6_T7_T9_mT8_S1C_bDpT10_ENKUlT_T0_E_clISt17integral_constantIbLb0EES1P_EEDaS1K_S1L_EUlS1K_E_NS1_11comp_targetILNS1_3genE3ELNS1_11target_archE908ELNS1_3gpuE7ELNS1_3repE0EEENS1_30default_config_static_selectorELNS0_4arch9wavefront6targetE0EEEvSY_ ; -- Begin function _ZN7rocprim17ROCPRIM_400000_NS6detail17trampoline_kernelINS0_13select_configILj256ELj13ELNS0_17block_load_methodE3ELS4_3ELS4_3ELNS0_20block_scan_algorithmE0ELj4294967295EEENS1_25partition_config_selectorILNS1_17partition_subalgoE3EjNS0_10empty_typeEbEEZZNS1_14partition_implILS8_3ELb0ES6_jNS0_17counting_iteratorIjlEEPS9_SE_NS0_5tupleIJPjSE_EEENSF_IJSE_SE_EEES9_SG_JZNS1_25segmented_radix_sort_implINS0_14default_configELb1EPKiPiPKlPlN2at6native12_GLOBAL__N_18offset_tEEE10hipError_tPvRmT1_PNSt15iterator_traitsISY_E10value_typeET2_T3_PNSZ_IS14_E10value_typeET4_jRbjT5_S1A_jjP12ihipStream_tbEUljE_EEESV_SW_SX_S14_S18_S1A_T6_T7_T9_mT8_S1C_bDpT10_ENKUlT_T0_E_clISt17integral_constantIbLb0EES1P_EEDaS1K_S1L_EUlS1K_E_NS1_11comp_targetILNS1_3genE3ELNS1_11target_archE908ELNS1_3gpuE7ELNS1_3repE0EEENS1_30default_config_static_selectorELNS0_4arch9wavefront6targetE0EEEvSY_
	.p2align	8
	.type	_ZN7rocprim17ROCPRIM_400000_NS6detail17trampoline_kernelINS0_13select_configILj256ELj13ELNS0_17block_load_methodE3ELS4_3ELS4_3ELNS0_20block_scan_algorithmE0ELj4294967295EEENS1_25partition_config_selectorILNS1_17partition_subalgoE3EjNS0_10empty_typeEbEEZZNS1_14partition_implILS8_3ELb0ES6_jNS0_17counting_iteratorIjlEEPS9_SE_NS0_5tupleIJPjSE_EEENSF_IJSE_SE_EEES9_SG_JZNS1_25segmented_radix_sort_implINS0_14default_configELb1EPKiPiPKlPlN2at6native12_GLOBAL__N_18offset_tEEE10hipError_tPvRmT1_PNSt15iterator_traitsISY_E10value_typeET2_T3_PNSZ_IS14_E10value_typeET4_jRbjT5_S1A_jjP12ihipStream_tbEUljE_EEESV_SW_SX_S14_S18_S1A_T6_T7_T9_mT8_S1C_bDpT10_ENKUlT_T0_E_clISt17integral_constantIbLb0EES1P_EEDaS1K_S1L_EUlS1K_E_NS1_11comp_targetILNS1_3genE3ELNS1_11target_archE908ELNS1_3gpuE7ELNS1_3repE0EEENS1_30default_config_static_selectorELNS0_4arch9wavefront6targetE0EEEvSY_,@function
_ZN7rocprim17ROCPRIM_400000_NS6detail17trampoline_kernelINS0_13select_configILj256ELj13ELNS0_17block_load_methodE3ELS4_3ELS4_3ELNS0_20block_scan_algorithmE0ELj4294967295EEENS1_25partition_config_selectorILNS1_17partition_subalgoE3EjNS0_10empty_typeEbEEZZNS1_14partition_implILS8_3ELb0ES6_jNS0_17counting_iteratorIjlEEPS9_SE_NS0_5tupleIJPjSE_EEENSF_IJSE_SE_EEES9_SG_JZNS1_25segmented_radix_sort_implINS0_14default_configELb1EPKiPiPKlPlN2at6native12_GLOBAL__N_18offset_tEEE10hipError_tPvRmT1_PNSt15iterator_traitsISY_E10value_typeET2_T3_PNSZ_IS14_E10value_typeET4_jRbjT5_S1A_jjP12ihipStream_tbEUljE_EEESV_SW_SX_S14_S18_S1A_T6_T7_T9_mT8_S1C_bDpT10_ENKUlT_T0_E_clISt17integral_constantIbLb0EES1P_EEDaS1K_S1L_EUlS1K_E_NS1_11comp_targetILNS1_3genE3ELNS1_11target_archE908ELNS1_3gpuE7ELNS1_3repE0EEENS1_30default_config_static_selectorELNS0_4arch9wavefront6targetE0EEEvSY_: ; @_ZN7rocprim17ROCPRIM_400000_NS6detail17trampoline_kernelINS0_13select_configILj256ELj13ELNS0_17block_load_methodE3ELS4_3ELS4_3ELNS0_20block_scan_algorithmE0ELj4294967295EEENS1_25partition_config_selectorILNS1_17partition_subalgoE3EjNS0_10empty_typeEbEEZZNS1_14partition_implILS8_3ELb0ES6_jNS0_17counting_iteratorIjlEEPS9_SE_NS0_5tupleIJPjSE_EEENSF_IJSE_SE_EEES9_SG_JZNS1_25segmented_radix_sort_implINS0_14default_configELb1EPKiPiPKlPlN2at6native12_GLOBAL__N_18offset_tEEE10hipError_tPvRmT1_PNSt15iterator_traitsISY_E10value_typeET2_T3_PNSZ_IS14_E10value_typeET4_jRbjT5_S1A_jjP12ihipStream_tbEUljE_EEESV_SW_SX_S14_S18_S1A_T6_T7_T9_mT8_S1C_bDpT10_ENKUlT_T0_E_clISt17integral_constantIbLb0EES1P_EEDaS1K_S1L_EUlS1K_E_NS1_11comp_targetILNS1_3genE3ELNS1_11target_archE908ELNS1_3gpuE7ELNS1_3repE0EEENS1_30default_config_static_selectorELNS0_4arch9wavefront6targetE0EEEvSY_
; %bb.0:
	.section	.rodata,"a",@progbits
	.p2align	6, 0x0
	.amdhsa_kernel _ZN7rocprim17ROCPRIM_400000_NS6detail17trampoline_kernelINS0_13select_configILj256ELj13ELNS0_17block_load_methodE3ELS4_3ELS4_3ELNS0_20block_scan_algorithmE0ELj4294967295EEENS1_25partition_config_selectorILNS1_17partition_subalgoE3EjNS0_10empty_typeEbEEZZNS1_14partition_implILS8_3ELb0ES6_jNS0_17counting_iteratorIjlEEPS9_SE_NS0_5tupleIJPjSE_EEENSF_IJSE_SE_EEES9_SG_JZNS1_25segmented_radix_sort_implINS0_14default_configELb1EPKiPiPKlPlN2at6native12_GLOBAL__N_18offset_tEEE10hipError_tPvRmT1_PNSt15iterator_traitsISY_E10value_typeET2_T3_PNSZ_IS14_E10value_typeET4_jRbjT5_S1A_jjP12ihipStream_tbEUljE_EEESV_SW_SX_S14_S18_S1A_T6_T7_T9_mT8_S1C_bDpT10_ENKUlT_T0_E_clISt17integral_constantIbLb0EES1P_EEDaS1K_S1L_EUlS1K_E_NS1_11comp_targetILNS1_3genE3ELNS1_11target_archE908ELNS1_3gpuE7ELNS1_3repE0EEENS1_30default_config_static_selectorELNS0_4arch9wavefront6targetE0EEEvSY_
		.amdhsa_group_segment_fixed_size 0
		.amdhsa_private_segment_fixed_size 0
		.amdhsa_kernarg_size 144
		.amdhsa_user_sgpr_count 15
		.amdhsa_user_sgpr_dispatch_ptr 0
		.amdhsa_user_sgpr_queue_ptr 0
		.amdhsa_user_sgpr_kernarg_segment_ptr 1
		.amdhsa_user_sgpr_dispatch_id 0
		.amdhsa_user_sgpr_private_segment_size 0
		.amdhsa_wavefront_size32 1
		.amdhsa_uses_dynamic_stack 0
		.amdhsa_enable_private_segment 0
		.amdhsa_system_sgpr_workgroup_id_x 1
		.amdhsa_system_sgpr_workgroup_id_y 0
		.amdhsa_system_sgpr_workgroup_id_z 0
		.amdhsa_system_sgpr_workgroup_info 0
		.amdhsa_system_vgpr_workitem_id 0
		.amdhsa_next_free_vgpr 1
		.amdhsa_next_free_sgpr 1
		.amdhsa_reserve_vcc 0
		.amdhsa_float_round_mode_32 0
		.amdhsa_float_round_mode_16_64 0
		.amdhsa_float_denorm_mode_32 3
		.amdhsa_float_denorm_mode_16_64 3
		.amdhsa_dx10_clamp 1
		.amdhsa_ieee_mode 1
		.amdhsa_fp16_overflow 0
		.amdhsa_workgroup_processor_mode 1
		.amdhsa_memory_ordered 1
		.amdhsa_forward_progress 0
		.amdhsa_shared_vgpr_count 0
		.amdhsa_exception_fp_ieee_invalid_op 0
		.amdhsa_exception_fp_denorm_src 0
		.amdhsa_exception_fp_ieee_div_zero 0
		.amdhsa_exception_fp_ieee_overflow 0
		.amdhsa_exception_fp_ieee_underflow 0
		.amdhsa_exception_fp_ieee_inexact 0
		.amdhsa_exception_int_div_zero 0
	.end_amdhsa_kernel
	.section	.text._ZN7rocprim17ROCPRIM_400000_NS6detail17trampoline_kernelINS0_13select_configILj256ELj13ELNS0_17block_load_methodE3ELS4_3ELS4_3ELNS0_20block_scan_algorithmE0ELj4294967295EEENS1_25partition_config_selectorILNS1_17partition_subalgoE3EjNS0_10empty_typeEbEEZZNS1_14partition_implILS8_3ELb0ES6_jNS0_17counting_iteratorIjlEEPS9_SE_NS0_5tupleIJPjSE_EEENSF_IJSE_SE_EEES9_SG_JZNS1_25segmented_radix_sort_implINS0_14default_configELb1EPKiPiPKlPlN2at6native12_GLOBAL__N_18offset_tEEE10hipError_tPvRmT1_PNSt15iterator_traitsISY_E10value_typeET2_T3_PNSZ_IS14_E10value_typeET4_jRbjT5_S1A_jjP12ihipStream_tbEUljE_EEESV_SW_SX_S14_S18_S1A_T6_T7_T9_mT8_S1C_bDpT10_ENKUlT_T0_E_clISt17integral_constantIbLb0EES1P_EEDaS1K_S1L_EUlS1K_E_NS1_11comp_targetILNS1_3genE3ELNS1_11target_archE908ELNS1_3gpuE7ELNS1_3repE0EEENS1_30default_config_static_selectorELNS0_4arch9wavefront6targetE0EEEvSY_,"axG",@progbits,_ZN7rocprim17ROCPRIM_400000_NS6detail17trampoline_kernelINS0_13select_configILj256ELj13ELNS0_17block_load_methodE3ELS4_3ELS4_3ELNS0_20block_scan_algorithmE0ELj4294967295EEENS1_25partition_config_selectorILNS1_17partition_subalgoE3EjNS0_10empty_typeEbEEZZNS1_14partition_implILS8_3ELb0ES6_jNS0_17counting_iteratorIjlEEPS9_SE_NS0_5tupleIJPjSE_EEENSF_IJSE_SE_EEES9_SG_JZNS1_25segmented_radix_sort_implINS0_14default_configELb1EPKiPiPKlPlN2at6native12_GLOBAL__N_18offset_tEEE10hipError_tPvRmT1_PNSt15iterator_traitsISY_E10value_typeET2_T3_PNSZ_IS14_E10value_typeET4_jRbjT5_S1A_jjP12ihipStream_tbEUljE_EEESV_SW_SX_S14_S18_S1A_T6_T7_T9_mT8_S1C_bDpT10_ENKUlT_T0_E_clISt17integral_constantIbLb0EES1P_EEDaS1K_S1L_EUlS1K_E_NS1_11comp_targetILNS1_3genE3ELNS1_11target_archE908ELNS1_3gpuE7ELNS1_3repE0EEENS1_30default_config_static_selectorELNS0_4arch9wavefront6targetE0EEEvSY_,comdat
.Lfunc_end468:
	.size	_ZN7rocprim17ROCPRIM_400000_NS6detail17trampoline_kernelINS0_13select_configILj256ELj13ELNS0_17block_load_methodE3ELS4_3ELS4_3ELNS0_20block_scan_algorithmE0ELj4294967295EEENS1_25partition_config_selectorILNS1_17partition_subalgoE3EjNS0_10empty_typeEbEEZZNS1_14partition_implILS8_3ELb0ES6_jNS0_17counting_iteratorIjlEEPS9_SE_NS0_5tupleIJPjSE_EEENSF_IJSE_SE_EEES9_SG_JZNS1_25segmented_radix_sort_implINS0_14default_configELb1EPKiPiPKlPlN2at6native12_GLOBAL__N_18offset_tEEE10hipError_tPvRmT1_PNSt15iterator_traitsISY_E10value_typeET2_T3_PNSZ_IS14_E10value_typeET4_jRbjT5_S1A_jjP12ihipStream_tbEUljE_EEESV_SW_SX_S14_S18_S1A_T6_T7_T9_mT8_S1C_bDpT10_ENKUlT_T0_E_clISt17integral_constantIbLb0EES1P_EEDaS1K_S1L_EUlS1K_E_NS1_11comp_targetILNS1_3genE3ELNS1_11target_archE908ELNS1_3gpuE7ELNS1_3repE0EEENS1_30default_config_static_selectorELNS0_4arch9wavefront6targetE0EEEvSY_, .Lfunc_end468-_ZN7rocprim17ROCPRIM_400000_NS6detail17trampoline_kernelINS0_13select_configILj256ELj13ELNS0_17block_load_methodE3ELS4_3ELS4_3ELNS0_20block_scan_algorithmE0ELj4294967295EEENS1_25partition_config_selectorILNS1_17partition_subalgoE3EjNS0_10empty_typeEbEEZZNS1_14partition_implILS8_3ELb0ES6_jNS0_17counting_iteratorIjlEEPS9_SE_NS0_5tupleIJPjSE_EEENSF_IJSE_SE_EEES9_SG_JZNS1_25segmented_radix_sort_implINS0_14default_configELb1EPKiPiPKlPlN2at6native12_GLOBAL__N_18offset_tEEE10hipError_tPvRmT1_PNSt15iterator_traitsISY_E10value_typeET2_T3_PNSZ_IS14_E10value_typeET4_jRbjT5_S1A_jjP12ihipStream_tbEUljE_EEESV_SW_SX_S14_S18_S1A_T6_T7_T9_mT8_S1C_bDpT10_ENKUlT_T0_E_clISt17integral_constantIbLb0EES1P_EEDaS1K_S1L_EUlS1K_E_NS1_11comp_targetILNS1_3genE3ELNS1_11target_archE908ELNS1_3gpuE7ELNS1_3repE0EEENS1_30default_config_static_selectorELNS0_4arch9wavefront6targetE0EEEvSY_
                                        ; -- End function
	.section	.AMDGPU.csdata,"",@progbits
; Kernel info:
; codeLenInByte = 0
; NumSgprs: 0
; NumVgprs: 0
; ScratchSize: 0
; MemoryBound: 0
; FloatMode: 240
; IeeeMode: 1
; LDSByteSize: 0 bytes/workgroup (compile time only)
; SGPRBlocks: 0
; VGPRBlocks: 0
; NumSGPRsForWavesPerEU: 1
; NumVGPRsForWavesPerEU: 1
; Occupancy: 16
; WaveLimiterHint : 0
; COMPUTE_PGM_RSRC2:SCRATCH_EN: 0
; COMPUTE_PGM_RSRC2:USER_SGPR: 15
; COMPUTE_PGM_RSRC2:TRAP_HANDLER: 0
; COMPUTE_PGM_RSRC2:TGID_X_EN: 1
; COMPUTE_PGM_RSRC2:TGID_Y_EN: 0
; COMPUTE_PGM_RSRC2:TGID_Z_EN: 0
; COMPUTE_PGM_RSRC2:TIDIG_COMP_CNT: 0
	.section	.text._ZN7rocprim17ROCPRIM_400000_NS6detail17trampoline_kernelINS0_13select_configILj256ELj13ELNS0_17block_load_methodE3ELS4_3ELS4_3ELNS0_20block_scan_algorithmE0ELj4294967295EEENS1_25partition_config_selectorILNS1_17partition_subalgoE3EjNS0_10empty_typeEbEEZZNS1_14partition_implILS8_3ELb0ES6_jNS0_17counting_iteratorIjlEEPS9_SE_NS0_5tupleIJPjSE_EEENSF_IJSE_SE_EEES9_SG_JZNS1_25segmented_radix_sort_implINS0_14default_configELb1EPKiPiPKlPlN2at6native12_GLOBAL__N_18offset_tEEE10hipError_tPvRmT1_PNSt15iterator_traitsISY_E10value_typeET2_T3_PNSZ_IS14_E10value_typeET4_jRbjT5_S1A_jjP12ihipStream_tbEUljE_EEESV_SW_SX_S14_S18_S1A_T6_T7_T9_mT8_S1C_bDpT10_ENKUlT_T0_E_clISt17integral_constantIbLb0EES1P_EEDaS1K_S1L_EUlS1K_E_NS1_11comp_targetILNS1_3genE2ELNS1_11target_archE906ELNS1_3gpuE6ELNS1_3repE0EEENS1_30default_config_static_selectorELNS0_4arch9wavefront6targetE0EEEvSY_,"axG",@progbits,_ZN7rocprim17ROCPRIM_400000_NS6detail17trampoline_kernelINS0_13select_configILj256ELj13ELNS0_17block_load_methodE3ELS4_3ELS4_3ELNS0_20block_scan_algorithmE0ELj4294967295EEENS1_25partition_config_selectorILNS1_17partition_subalgoE3EjNS0_10empty_typeEbEEZZNS1_14partition_implILS8_3ELb0ES6_jNS0_17counting_iteratorIjlEEPS9_SE_NS0_5tupleIJPjSE_EEENSF_IJSE_SE_EEES9_SG_JZNS1_25segmented_radix_sort_implINS0_14default_configELb1EPKiPiPKlPlN2at6native12_GLOBAL__N_18offset_tEEE10hipError_tPvRmT1_PNSt15iterator_traitsISY_E10value_typeET2_T3_PNSZ_IS14_E10value_typeET4_jRbjT5_S1A_jjP12ihipStream_tbEUljE_EEESV_SW_SX_S14_S18_S1A_T6_T7_T9_mT8_S1C_bDpT10_ENKUlT_T0_E_clISt17integral_constantIbLb0EES1P_EEDaS1K_S1L_EUlS1K_E_NS1_11comp_targetILNS1_3genE2ELNS1_11target_archE906ELNS1_3gpuE6ELNS1_3repE0EEENS1_30default_config_static_selectorELNS0_4arch9wavefront6targetE0EEEvSY_,comdat
	.globl	_ZN7rocprim17ROCPRIM_400000_NS6detail17trampoline_kernelINS0_13select_configILj256ELj13ELNS0_17block_load_methodE3ELS4_3ELS4_3ELNS0_20block_scan_algorithmE0ELj4294967295EEENS1_25partition_config_selectorILNS1_17partition_subalgoE3EjNS0_10empty_typeEbEEZZNS1_14partition_implILS8_3ELb0ES6_jNS0_17counting_iteratorIjlEEPS9_SE_NS0_5tupleIJPjSE_EEENSF_IJSE_SE_EEES9_SG_JZNS1_25segmented_radix_sort_implINS0_14default_configELb1EPKiPiPKlPlN2at6native12_GLOBAL__N_18offset_tEEE10hipError_tPvRmT1_PNSt15iterator_traitsISY_E10value_typeET2_T3_PNSZ_IS14_E10value_typeET4_jRbjT5_S1A_jjP12ihipStream_tbEUljE_EEESV_SW_SX_S14_S18_S1A_T6_T7_T9_mT8_S1C_bDpT10_ENKUlT_T0_E_clISt17integral_constantIbLb0EES1P_EEDaS1K_S1L_EUlS1K_E_NS1_11comp_targetILNS1_3genE2ELNS1_11target_archE906ELNS1_3gpuE6ELNS1_3repE0EEENS1_30default_config_static_selectorELNS0_4arch9wavefront6targetE0EEEvSY_ ; -- Begin function _ZN7rocprim17ROCPRIM_400000_NS6detail17trampoline_kernelINS0_13select_configILj256ELj13ELNS0_17block_load_methodE3ELS4_3ELS4_3ELNS0_20block_scan_algorithmE0ELj4294967295EEENS1_25partition_config_selectorILNS1_17partition_subalgoE3EjNS0_10empty_typeEbEEZZNS1_14partition_implILS8_3ELb0ES6_jNS0_17counting_iteratorIjlEEPS9_SE_NS0_5tupleIJPjSE_EEENSF_IJSE_SE_EEES9_SG_JZNS1_25segmented_radix_sort_implINS0_14default_configELb1EPKiPiPKlPlN2at6native12_GLOBAL__N_18offset_tEEE10hipError_tPvRmT1_PNSt15iterator_traitsISY_E10value_typeET2_T3_PNSZ_IS14_E10value_typeET4_jRbjT5_S1A_jjP12ihipStream_tbEUljE_EEESV_SW_SX_S14_S18_S1A_T6_T7_T9_mT8_S1C_bDpT10_ENKUlT_T0_E_clISt17integral_constantIbLb0EES1P_EEDaS1K_S1L_EUlS1K_E_NS1_11comp_targetILNS1_3genE2ELNS1_11target_archE906ELNS1_3gpuE6ELNS1_3repE0EEENS1_30default_config_static_selectorELNS0_4arch9wavefront6targetE0EEEvSY_
	.p2align	8
	.type	_ZN7rocprim17ROCPRIM_400000_NS6detail17trampoline_kernelINS0_13select_configILj256ELj13ELNS0_17block_load_methodE3ELS4_3ELS4_3ELNS0_20block_scan_algorithmE0ELj4294967295EEENS1_25partition_config_selectorILNS1_17partition_subalgoE3EjNS0_10empty_typeEbEEZZNS1_14partition_implILS8_3ELb0ES6_jNS0_17counting_iteratorIjlEEPS9_SE_NS0_5tupleIJPjSE_EEENSF_IJSE_SE_EEES9_SG_JZNS1_25segmented_radix_sort_implINS0_14default_configELb1EPKiPiPKlPlN2at6native12_GLOBAL__N_18offset_tEEE10hipError_tPvRmT1_PNSt15iterator_traitsISY_E10value_typeET2_T3_PNSZ_IS14_E10value_typeET4_jRbjT5_S1A_jjP12ihipStream_tbEUljE_EEESV_SW_SX_S14_S18_S1A_T6_T7_T9_mT8_S1C_bDpT10_ENKUlT_T0_E_clISt17integral_constantIbLb0EES1P_EEDaS1K_S1L_EUlS1K_E_NS1_11comp_targetILNS1_3genE2ELNS1_11target_archE906ELNS1_3gpuE6ELNS1_3repE0EEENS1_30default_config_static_selectorELNS0_4arch9wavefront6targetE0EEEvSY_,@function
_ZN7rocprim17ROCPRIM_400000_NS6detail17trampoline_kernelINS0_13select_configILj256ELj13ELNS0_17block_load_methodE3ELS4_3ELS4_3ELNS0_20block_scan_algorithmE0ELj4294967295EEENS1_25partition_config_selectorILNS1_17partition_subalgoE3EjNS0_10empty_typeEbEEZZNS1_14partition_implILS8_3ELb0ES6_jNS0_17counting_iteratorIjlEEPS9_SE_NS0_5tupleIJPjSE_EEENSF_IJSE_SE_EEES9_SG_JZNS1_25segmented_radix_sort_implINS0_14default_configELb1EPKiPiPKlPlN2at6native12_GLOBAL__N_18offset_tEEE10hipError_tPvRmT1_PNSt15iterator_traitsISY_E10value_typeET2_T3_PNSZ_IS14_E10value_typeET4_jRbjT5_S1A_jjP12ihipStream_tbEUljE_EEESV_SW_SX_S14_S18_S1A_T6_T7_T9_mT8_S1C_bDpT10_ENKUlT_T0_E_clISt17integral_constantIbLb0EES1P_EEDaS1K_S1L_EUlS1K_E_NS1_11comp_targetILNS1_3genE2ELNS1_11target_archE906ELNS1_3gpuE6ELNS1_3repE0EEENS1_30default_config_static_selectorELNS0_4arch9wavefront6targetE0EEEvSY_: ; @_ZN7rocprim17ROCPRIM_400000_NS6detail17trampoline_kernelINS0_13select_configILj256ELj13ELNS0_17block_load_methodE3ELS4_3ELS4_3ELNS0_20block_scan_algorithmE0ELj4294967295EEENS1_25partition_config_selectorILNS1_17partition_subalgoE3EjNS0_10empty_typeEbEEZZNS1_14partition_implILS8_3ELb0ES6_jNS0_17counting_iteratorIjlEEPS9_SE_NS0_5tupleIJPjSE_EEENSF_IJSE_SE_EEES9_SG_JZNS1_25segmented_radix_sort_implINS0_14default_configELb1EPKiPiPKlPlN2at6native12_GLOBAL__N_18offset_tEEE10hipError_tPvRmT1_PNSt15iterator_traitsISY_E10value_typeET2_T3_PNSZ_IS14_E10value_typeET4_jRbjT5_S1A_jjP12ihipStream_tbEUljE_EEESV_SW_SX_S14_S18_S1A_T6_T7_T9_mT8_S1C_bDpT10_ENKUlT_T0_E_clISt17integral_constantIbLb0EES1P_EEDaS1K_S1L_EUlS1K_E_NS1_11comp_targetILNS1_3genE2ELNS1_11target_archE906ELNS1_3gpuE6ELNS1_3repE0EEENS1_30default_config_static_selectorELNS0_4arch9wavefront6targetE0EEEvSY_
; %bb.0:
	.section	.rodata,"a",@progbits
	.p2align	6, 0x0
	.amdhsa_kernel _ZN7rocprim17ROCPRIM_400000_NS6detail17trampoline_kernelINS0_13select_configILj256ELj13ELNS0_17block_load_methodE3ELS4_3ELS4_3ELNS0_20block_scan_algorithmE0ELj4294967295EEENS1_25partition_config_selectorILNS1_17partition_subalgoE3EjNS0_10empty_typeEbEEZZNS1_14partition_implILS8_3ELb0ES6_jNS0_17counting_iteratorIjlEEPS9_SE_NS0_5tupleIJPjSE_EEENSF_IJSE_SE_EEES9_SG_JZNS1_25segmented_radix_sort_implINS0_14default_configELb1EPKiPiPKlPlN2at6native12_GLOBAL__N_18offset_tEEE10hipError_tPvRmT1_PNSt15iterator_traitsISY_E10value_typeET2_T3_PNSZ_IS14_E10value_typeET4_jRbjT5_S1A_jjP12ihipStream_tbEUljE_EEESV_SW_SX_S14_S18_S1A_T6_T7_T9_mT8_S1C_bDpT10_ENKUlT_T0_E_clISt17integral_constantIbLb0EES1P_EEDaS1K_S1L_EUlS1K_E_NS1_11comp_targetILNS1_3genE2ELNS1_11target_archE906ELNS1_3gpuE6ELNS1_3repE0EEENS1_30default_config_static_selectorELNS0_4arch9wavefront6targetE0EEEvSY_
		.amdhsa_group_segment_fixed_size 0
		.amdhsa_private_segment_fixed_size 0
		.amdhsa_kernarg_size 144
		.amdhsa_user_sgpr_count 15
		.amdhsa_user_sgpr_dispatch_ptr 0
		.amdhsa_user_sgpr_queue_ptr 0
		.amdhsa_user_sgpr_kernarg_segment_ptr 1
		.amdhsa_user_sgpr_dispatch_id 0
		.amdhsa_user_sgpr_private_segment_size 0
		.amdhsa_wavefront_size32 1
		.amdhsa_uses_dynamic_stack 0
		.amdhsa_enable_private_segment 0
		.amdhsa_system_sgpr_workgroup_id_x 1
		.amdhsa_system_sgpr_workgroup_id_y 0
		.amdhsa_system_sgpr_workgroup_id_z 0
		.amdhsa_system_sgpr_workgroup_info 0
		.amdhsa_system_vgpr_workitem_id 0
		.amdhsa_next_free_vgpr 1
		.amdhsa_next_free_sgpr 1
		.amdhsa_reserve_vcc 0
		.amdhsa_float_round_mode_32 0
		.amdhsa_float_round_mode_16_64 0
		.amdhsa_float_denorm_mode_32 3
		.amdhsa_float_denorm_mode_16_64 3
		.amdhsa_dx10_clamp 1
		.amdhsa_ieee_mode 1
		.amdhsa_fp16_overflow 0
		.amdhsa_workgroup_processor_mode 1
		.amdhsa_memory_ordered 1
		.amdhsa_forward_progress 0
		.amdhsa_shared_vgpr_count 0
		.amdhsa_exception_fp_ieee_invalid_op 0
		.amdhsa_exception_fp_denorm_src 0
		.amdhsa_exception_fp_ieee_div_zero 0
		.amdhsa_exception_fp_ieee_overflow 0
		.amdhsa_exception_fp_ieee_underflow 0
		.amdhsa_exception_fp_ieee_inexact 0
		.amdhsa_exception_int_div_zero 0
	.end_amdhsa_kernel
	.section	.text._ZN7rocprim17ROCPRIM_400000_NS6detail17trampoline_kernelINS0_13select_configILj256ELj13ELNS0_17block_load_methodE3ELS4_3ELS4_3ELNS0_20block_scan_algorithmE0ELj4294967295EEENS1_25partition_config_selectorILNS1_17partition_subalgoE3EjNS0_10empty_typeEbEEZZNS1_14partition_implILS8_3ELb0ES6_jNS0_17counting_iteratorIjlEEPS9_SE_NS0_5tupleIJPjSE_EEENSF_IJSE_SE_EEES9_SG_JZNS1_25segmented_radix_sort_implINS0_14default_configELb1EPKiPiPKlPlN2at6native12_GLOBAL__N_18offset_tEEE10hipError_tPvRmT1_PNSt15iterator_traitsISY_E10value_typeET2_T3_PNSZ_IS14_E10value_typeET4_jRbjT5_S1A_jjP12ihipStream_tbEUljE_EEESV_SW_SX_S14_S18_S1A_T6_T7_T9_mT8_S1C_bDpT10_ENKUlT_T0_E_clISt17integral_constantIbLb0EES1P_EEDaS1K_S1L_EUlS1K_E_NS1_11comp_targetILNS1_3genE2ELNS1_11target_archE906ELNS1_3gpuE6ELNS1_3repE0EEENS1_30default_config_static_selectorELNS0_4arch9wavefront6targetE0EEEvSY_,"axG",@progbits,_ZN7rocprim17ROCPRIM_400000_NS6detail17trampoline_kernelINS0_13select_configILj256ELj13ELNS0_17block_load_methodE3ELS4_3ELS4_3ELNS0_20block_scan_algorithmE0ELj4294967295EEENS1_25partition_config_selectorILNS1_17partition_subalgoE3EjNS0_10empty_typeEbEEZZNS1_14partition_implILS8_3ELb0ES6_jNS0_17counting_iteratorIjlEEPS9_SE_NS0_5tupleIJPjSE_EEENSF_IJSE_SE_EEES9_SG_JZNS1_25segmented_radix_sort_implINS0_14default_configELb1EPKiPiPKlPlN2at6native12_GLOBAL__N_18offset_tEEE10hipError_tPvRmT1_PNSt15iterator_traitsISY_E10value_typeET2_T3_PNSZ_IS14_E10value_typeET4_jRbjT5_S1A_jjP12ihipStream_tbEUljE_EEESV_SW_SX_S14_S18_S1A_T6_T7_T9_mT8_S1C_bDpT10_ENKUlT_T0_E_clISt17integral_constantIbLb0EES1P_EEDaS1K_S1L_EUlS1K_E_NS1_11comp_targetILNS1_3genE2ELNS1_11target_archE906ELNS1_3gpuE6ELNS1_3repE0EEENS1_30default_config_static_selectorELNS0_4arch9wavefront6targetE0EEEvSY_,comdat
.Lfunc_end469:
	.size	_ZN7rocprim17ROCPRIM_400000_NS6detail17trampoline_kernelINS0_13select_configILj256ELj13ELNS0_17block_load_methodE3ELS4_3ELS4_3ELNS0_20block_scan_algorithmE0ELj4294967295EEENS1_25partition_config_selectorILNS1_17partition_subalgoE3EjNS0_10empty_typeEbEEZZNS1_14partition_implILS8_3ELb0ES6_jNS0_17counting_iteratorIjlEEPS9_SE_NS0_5tupleIJPjSE_EEENSF_IJSE_SE_EEES9_SG_JZNS1_25segmented_radix_sort_implINS0_14default_configELb1EPKiPiPKlPlN2at6native12_GLOBAL__N_18offset_tEEE10hipError_tPvRmT1_PNSt15iterator_traitsISY_E10value_typeET2_T3_PNSZ_IS14_E10value_typeET4_jRbjT5_S1A_jjP12ihipStream_tbEUljE_EEESV_SW_SX_S14_S18_S1A_T6_T7_T9_mT8_S1C_bDpT10_ENKUlT_T0_E_clISt17integral_constantIbLb0EES1P_EEDaS1K_S1L_EUlS1K_E_NS1_11comp_targetILNS1_3genE2ELNS1_11target_archE906ELNS1_3gpuE6ELNS1_3repE0EEENS1_30default_config_static_selectorELNS0_4arch9wavefront6targetE0EEEvSY_, .Lfunc_end469-_ZN7rocprim17ROCPRIM_400000_NS6detail17trampoline_kernelINS0_13select_configILj256ELj13ELNS0_17block_load_methodE3ELS4_3ELS4_3ELNS0_20block_scan_algorithmE0ELj4294967295EEENS1_25partition_config_selectorILNS1_17partition_subalgoE3EjNS0_10empty_typeEbEEZZNS1_14partition_implILS8_3ELb0ES6_jNS0_17counting_iteratorIjlEEPS9_SE_NS0_5tupleIJPjSE_EEENSF_IJSE_SE_EEES9_SG_JZNS1_25segmented_radix_sort_implINS0_14default_configELb1EPKiPiPKlPlN2at6native12_GLOBAL__N_18offset_tEEE10hipError_tPvRmT1_PNSt15iterator_traitsISY_E10value_typeET2_T3_PNSZ_IS14_E10value_typeET4_jRbjT5_S1A_jjP12ihipStream_tbEUljE_EEESV_SW_SX_S14_S18_S1A_T6_T7_T9_mT8_S1C_bDpT10_ENKUlT_T0_E_clISt17integral_constantIbLb0EES1P_EEDaS1K_S1L_EUlS1K_E_NS1_11comp_targetILNS1_3genE2ELNS1_11target_archE906ELNS1_3gpuE6ELNS1_3repE0EEENS1_30default_config_static_selectorELNS0_4arch9wavefront6targetE0EEEvSY_
                                        ; -- End function
	.section	.AMDGPU.csdata,"",@progbits
; Kernel info:
; codeLenInByte = 0
; NumSgprs: 0
; NumVgprs: 0
; ScratchSize: 0
; MemoryBound: 0
; FloatMode: 240
; IeeeMode: 1
; LDSByteSize: 0 bytes/workgroup (compile time only)
; SGPRBlocks: 0
; VGPRBlocks: 0
; NumSGPRsForWavesPerEU: 1
; NumVGPRsForWavesPerEU: 1
; Occupancy: 16
; WaveLimiterHint : 0
; COMPUTE_PGM_RSRC2:SCRATCH_EN: 0
; COMPUTE_PGM_RSRC2:USER_SGPR: 15
; COMPUTE_PGM_RSRC2:TRAP_HANDLER: 0
; COMPUTE_PGM_RSRC2:TGID_X_EN: 1
; COMPUTE_PGM_RSRC2:TGID_Y_EN: 0
; COMPUTE_PGM_RSRC2:TGID_Z_EN: 0
; COMPUTE_PGM_RSRC2:TIDIG_COMP_CNT: 0
	.section	.text._ZN7rocprim17ROCPRIM_400000_NS6detail17trampoline_kernelINS0_13select_configILj256ELj13ELNS0_17block_load_methodE3ELS4_3ELS4_3ELNS0_20block_scan_algorithmE0ELj4294967295EEENS1_25partition_config_selectorILNS1_17partition_subalgoE3EjNS0_10empty_typeEbEEZZNS1_14partition_implILS8_3ELb0ES6_jNS0_17counting_iteratorIjlEEPS9_SE_NS0_5tupleIJPjSE_EEENSF_IJSE_SE_EEES9_SG_JZNS1_25segmented_radix_sort_implINS0_14default_configELb1EPKiPiPKlPlN2at6native12_GLOBAL__N_18offset_tEEE10hipError_tPvRmT1_PNSt15iterator_traitsISY_E10value_typeET2_T3_PNSZ_IS14_E10value_typeET4_jRbjT5_S1A_jjP12ihipStream_tbEUljE_EEESV_SW_SX_S14_S18_S1A_T6_T7_T9_mT8_S1C_bDpT10_ENKUlT_T0_E_clISt17integral_constantIbLb0EES1P_EEDaS1K_S1L_EUlS1K_E_NS1_11comp_targetILNS1_3genE10ELNS1_11target_archE1200ELNS1_3gpuE4ELNS1_3repE0EEENS1_30default_config_static_selectorELNS0_4arch9wavefront6targetE0EEEvSY_,"axG",@progbits,_ZN7rocprim17ROCPRIM_400000_NS6detail17trampoline_kernelINS0_13select_configILj256ELj13ELNS0_17block_load_methodE3ELS4_3ELS4_3ELNS0_20block_scan_algorithmE0ELj4294967295EEENS1_25partition_config_selectorILNS1_17partition_subalgoE3EjNS0_10empty_typeEbEEZZNS1_14partition_implILS8_3ELb0ES6_jNS0_17counting_iteratorIjlEEPS9_SE_NS0_5tupleIJPjSE_EEENSF_IJSE_SE_EEES9_SG_JZNS1_25segmented_radix_sort_implINS0_14default_configELb1EPKiPiPKlPlN2at6native12_GLOBAL__N_18offset_tEEE10hipError_tPvRmT1_PNSt15iterator_traitsISY_E10value_typeET2_T3_PNSZ_IS14_E10value_typeET4_jRbjT5_S1A_jjP12ihipStream_tbEUljE_EEESV_SW_SX_S14_S18_S1A_T6_T7_T9_mT8_S1C_bDpT10_ENKUlT_T0_E_clISt17integral_constantIbLb0EES1P_EEDaS1K_S1L_EUlS1K_E_NS1_11comp_targetILNS1_3genE10ELNS1_11target_archE1200ELNS1_3gpuE4ELNS1_3repE0EEENS1_30default_config_static_selectorELNS0_4arch9wavefront6targetE0EEEvSY_,comdat
	.globl	_ZN7rocprim17ROCPRIM_400000_NS6detail17trampoline_kernelINS0_13select_configILj256ELj13ELNS0_17block_load_methodE3ELS4_3ELS4_3ELNS0_20block_scan_algorithmE0ELj4294967295EEENS1_25partition_config_selectorILNS1_17partition_subalgoE3EjNS0_10empty_typeEbEEZZNS1_14partition_implILS8_3ELb0ES6_jNS0_17counting_iteratorIjlEEPS9_SE_NS0_5tupleIJPjSE_EEENSF_IJSE_SE_EEES9_SG_JZNS1_25segmented_radix_sort_implINS0_14default_configELb1EPKiPiPKlPlN2at6native12_GLOBAL__N_18offset_tEEE10hipError_tPvRmT1_PNSt15iterator_traitsISY_E10value_typeET2_T3_PNSZ_IS14_E10value_typeET4_jRbjT5_S1A_jjP12ihipStream_tbEUljE_EEESV_SW_SX_S14_S18_S1A_T6_T7_T9_mT8_S1C_bDpT10_ENKUlT_T0_E_clISt17integral_constantIbLb0EES1P_EEDaS1K_S1L_EUlS1K_E_NS1_11comp_targetILNS1_3genE10ELNS1_11target_archE1200ELNS1_3gpuE4ELNS1_3repE0EEENS1_30default_config_static_selectorELNS0_4arch9wavefront6targetE0EEEvSY_ ; -- Begin function _ZN7rocprim17ROCPRIM_400000_NS6detail17trampoline_kernelINS0_13select_configILj256ELj13ELNS0_17block_load_methodE3ELS4_3ELS4_3ELNS0_20block_scan_algorithmE0ELj4294967295EEENS1_25partition_config_selectorILNS1_17partition_subalgoE3EjNS0_10empty_typeEbEEZZNS1_14partition_implILS8_3ELb0ES6_jNS0_17counting_iteratorIjlEEPS9_SE_NS0_5tupleIJPjSE_EEENSF_IJSE_SE_EEES9_SG_JZNS1_25segmented_radix_sort_implINS0_14default_configELb1EPKiPiPKlPlN2at6native12_GLOBAL__N_18offset_tEEE10hipError_tPvRmT1_PNSt15iterator_traitsISY_E10value_typeET2_T3_PNSZ_IS14_E10value_typeET4_jRbjT5_S1A_jjP12ihipStream_tbEUljE_EEESV_SW_SX_S14_S18_S1A_T6_T7_T9_mT8_S1C_bDpT10_ENKUlT_T0_E_clISt17integral_constantIbLb0EES1P_EEDaS1K_S1L_EUlS1K_E_NS1_11comp_targetILNS1_3genE10ELNS1_11target_archE1200ELNS1_3gpuE4ELNS1_3repE0EEENS1_30default_config_static_selectorELNS0_4arch9wavefront6targetE0EEEvSY_
	.p2align	8
	.type	_ZN7rocprim17ROCPRIM_400000_NS6detail17trampoline_kernelINS0_13select_configILj256ELj13ELNS0_17block_load_methodE3ELS4_3ELS4_3ELNS0_20block_scan_algorithmE0ELj4294967295EEENS1_25partition_config_selectorILNS1_17partition_subalgoE3EjNS0_10empty_typeEbEEZZNS1_14partition_implILS8_3ELb0ES6_jNS0_17counting_iteratorIjlEEPS9_SE_NS0_5tupleIJPjSE_EEENSF_IJSE_SE_EEES9_SG_JZNS1_25segmented_radix_sort_implINS0_14default_configELb1EPKiPiPKlPlN2at6native12_GLOBAL__N_18offset_tEEE10hipError_tPvRmT1_PNSt15iterator_traitsISY_E10value_typeET2_T3_PNSZ_IS14_E10value_typeET4_jRbjT5_S1A_jjP12ihipStream_tbEUljE_EEESV_SW_SX_S14_S18_S1A_T6_T7_T9_mT8_S1C_bDpT10_ENKUlT_T0_E_clISt17integral_constantIbLb0EES1P_EEDaS1K_S1L_EUlS1K_E_NS1_11comp_targetILNS1_3genE10ELNS1_11target_archE1200ELNS1_3gpuE4ELNS1_3repE0EEENS1_30default_config_static_selectorELNS0_4arch9wavefront6targetE0EEEvSY_,@function
_ZN7rocprim17ROCPRIM_400000_NS6detail17trampoline_kernelINS0_13select_configILj256ELj13ELNS0_17block_load_methodE3ELS4_3ELS4_3ELNS0_20block_scan_algorithmE0ELj4294967295EEENS1_25partition_config_selectorILNS1_17partition_subalgoE3EjNS0_10empty_typeEbEEZZNS1_14partition_implILS8_3ELb0ES6_jNS0_17counting_iteratorIjlEEPS9_SE_NS0_5tupleIJPjSE_EEENSF_IJSE_SE_EEES9_SG_JZNS1_25segmented_radix_sort_implINS0_14default_configELb1EPKiPiPKlPlN2at6native12_GLOBAL__N_18offset_tEEE10hipError_tPvRmT1_PNSt15iterator_traitsISY_E10value_typeET2_T3_PNSZ_IS14_E10value_typeET4_jRbjT5_S1A_jjP12ihipStream_tbEUljE_EEESV_SW_SX_S14_S18_S1A_T6_T7_T9_mT8_S1C_bDpT10_ENKUlT_T0_E_clISt17integral_constantIbLb0EES1P_EEDaS1K_S1L_EUlS1K_E_NS1_11comp_targetILNS1_3genE10ELNS1_11target_archE1200ELNS1_3gpuE4ELNS1_3repE0EEENS1_30default_config_static_selectorELNS0_4arch9wavefront6targetE0EEEvSY_: ; @_ZN7rocprim17ROCPRIM_400000_NS6detail17trampoline_kernelINS0_13select_configILj256ELj13ELNS0_17block_load_methodE3ELS4_3ELS4_3ELNS0_20block_scan_algorithmE0ELj4294967295EEENS1_25partition_config_selectorILNS1_17partition_subalgoE3EjNS0_10empty_typeEbEEZZNS1_14partition_implILS8_3ELb0ES6_jNS0_17counting_iteratorIjlEEPS9_SE_NS0_5tupleIJPjSE_EEENSF_IJSE_SE_EEES9_SG_JZNS1_25segmented_radix_sort_implINS0_14default_configELb1EPKiPiPKlPlN2at6native12_GLOBAL__N_18offset_tEEE10hipError_tPvRmT1_PNSt15iterator_traitsISY_E10value_typeET2_T3_PNSZ_IS14_E10value_typeET4_jRbjT5_S1A_jjP12ihipStream_tbEUljE_EEESV_SW_SX_S14_S18_S1A_T6_T7_T9_mT8_S1C_bDpT10_ENKUlT_T0_E_clISt17integral_constantIbLb0EES1P_EEDaS1K_S1L_EUlS1K_E_NS1_11comp_targetILNS1_3genE10ELNS1_11target_archE1200ELNS1_3gpuE4ELNS1_3repE0EEENS1_30default_config_static_selectorELNS0_4arch9wavefront6targetE0EEEvSY_
; %bb.0:
	.section	.rodata,"a",@progbits
	.p2align	6, 0x0
	.amdhsa_kernel _ZN7rocprim17ROCPRIM_400000_NS6detail17trampoline_kernelINS0_13select_configILj256ELj13ELNS0_17block_load_methodE3ELS4_3ELS4_3ELNS0_20block_scan_algorithmE0ELj4294967295EEENS1_25partition_config_selectorILNS1_17partition_subalgoE3EjNS0_10empty_typeEbEEZZNS1_14partition_implILS8_3ELb0ES6_jNS0_17counting_iteratorIjlEEPS9_SE_NS0_5tupleIJPjSE_EEENSF_IJSE_SE_EEES9_SG_JZNS1_25segmented_radix_sort_implINS0_14default_configELb1EPKiPiPKlPlN2at6native12_GLOBAL__N_18offset_tEEE10hipError_tPvRmT1_PNSt15iterator_traitsISY_E10value_typeET2_T3_PNSZ_IS14_E10value_typeET4_jRbjT5_S1A_jjP12ihipStream_tbEUljE_EEESV_SW_SX_S14_S18_S1A_T6_T7_T9_mT8_S1C_bDpT10_ENKUlT_T0_E_clISt17integral_constantIbLb0EES1P_EEDaS1K_S1L_EUlS1K_E_NS1_11comp_targetILNS1_3genE10ELNS1_11target_archE1200ELNS1_3gpuE4ELNS1_3repE0EEENS1_30default_config_static_selectorELNS0_4arch9wavefront6targetE0EEEvSY_
		.amdhsa_group_segment_fixed_size 0
		.amdhsa_private_segment_fixed_size 0
		.amdhsa_kernarg_size 144
		.amdhsa_user_sgpr_count 15
		.amdhsa_user_sgpr_dispatch_ptr 0
		.amdhsa_user_sgpr_queue_ptr 0
		.amdhsa_user_sgpr_kernarg_segment_ptr 1
		.amdhsa_user_sgpr_dispatch_id 0
		.amdhsa_user_sgpr_private_segment_size 0
		.amdhsa_wavefront_size32 1
		.amdhsa_uses_dynamic_stack 0
		.amdhsa_enable_private_segment 0
		.amdhsa_system_sgpr_workgroup_id_x 1
		.amdhsa_system_sgpr_workgroup_id_y 0
		.amdhsa_system_sgpr_workgroup_id_z 0
		.amdhsa_system_sgpr_workgroup_info 0
		.amdhsa_system_vgpr_workitem_id 0
		.amdhsa_next_free_vgpr 1
		.amdhsa_next_free_sgpr 1
		.amdhsa_reserve_vcc 0
		.amdhsa_float_round_mode_32 0
		.amdhsa_float_round_mode_16_64 0
		.amdhsa_float_denorm_mode_32 3
		.amdhsa_float_denorm_mode_16_64 3
		.amdhsa_dx10_clamp 1
		.amdhsa_ieee_mode 1
		.amdhsa_fp16_overflow 0
		.amdhsa_workgroup_processor_mode 1
		.amdhsa_memory_ordered 1
		.amdhsa_forward_progress 0
		.amdhsa_shared_vgpr_count 0
		.amdhsa_exception_fp_ieee_invalid_op 0
		.amdhsa_exception_fp_denorm_src 0
		.amdhsa_exception_fp_ieee_div_zero 0
		.amdhsa_exception_fp_ieee_overflow 0
		.amdhsa_exception_fp_ieee_underflow 0
		.amdhsa_exception_fp_ieee_inexact 0
		.amdhsa_exception_int_div_zero 0
	.end_amdhsa_kernel
	.section	.text._ZN7rocprim17ROCPRIM_400000_NS6detail17trampoline_kernelINS0_13select_configILj256ELj13ELNS0_17block_load_methodE3ELS4_3ELS4_3ELNS0_20block_scan_algorithmE0ELj4294967295EEENS1_25partition_config_selectorILNS1_17partition_subalgoE3EjNS0_10empty_typeEbEEZZNS1_14partition_implILS8_3ELb0ES6_jNS0_17counting_iteratorIjlEEPS9_SE_NS0_5tupleIJPjSE_EEENSF_IJSE_SE_EEES9_SG_JZNS1_25segmented_radix_sort_implINS0_14default_configELb1EPKiPiPKlPlN2at6native12_GLOBAL__N_18offset_tEEE10hipError_tPvRmT1_PNSt15iterator_traitsISY_E10value_typeET2_T3_PNSZ_IS14_E10value_typeET4_jRbjT5_S1A_jjP12ihipStream_tbEUljE_EEESV_SW_SX_S14_S18_S1A_T6_T7_T9_mT8_S1C_bDpT10_ENKUlT_T0_E_clISt17integral_constantIbLb0EES1P_EEDaS1K_S1L_EUlS1K_E_NS1_11comp_targetILNS1_3genE10ELNS1_11target_archE1200ELNS1_3gpuE4ELNS1_3repE0EEENS1_30default_config_static_selectorELNS0_4arch9wavefront6targetE0EEEvSY_,"axG",@progbits,_ZN7rocprim17ROCPRIM_400000_NS6detail17trampoline_kernelINS0_13select_configILj256ELj13ELNS0_17block_load_methodE3ELS4_3ELS4_3ELNS0_20block_scan_algorithmE0ELj4294967295EEENS1_25partition_config_selectorILNS1_17partition_subalgoE3EjNS0_10empty_typeEbEEZZNS1_14partition_implILS8_3ELb0ES6_jNS0_17counting_iteratorIjlEEPS9_SE_NS0_5tupleIJPjSE_EEENSF_IJSE_SE_EEES9_SG_JZNS1_25segmented_radix_sort_implINS0_14default_configELb1EPKiPiPKlPlN2at6native12_GLOBAL__N_18offset_tEEE10hipError_tPvRmT1_PNSt15iterator_traitsISY_E10value_typeET2_T3_PNSZ_IS14_E10value_typeET4_jRbjT5_S1A_jjP12ihipStream_tbEUljE_EEESV_SW_SX_S14_S18_S1A_T6_T7_T9_mT8_S1C_bDpT10_ENKUlT_T0_E_clISt17integral_constantIbLb0EES1P_EEDaS1K_S1L_EUlS1K_E_NS1_11comp_targetILNS1_3genE10ELNS1_11target_archE1200ELNS1_3gpuE4ELNS1_3repE0EEENS1_30default_config_static_selectorELNS0_4arch9wavefront6targetE0EEEvSY_,comdat
.Lfunc_end470:
	.size	_ZN7rocprim17ROCPRIM_400000_NS6detail17trampoline_kernelINS0_13select_configILj256ELj13ELNS0_17block_load_methodE3ELS4_3ELS4_3ELNS0_20block_scan_algorithmE0ELj4294967295EEENS1_25partition_config_selectorILNS1_17partition_subalgoE3EjNS0_10empty_typeEbEEZZNS1_14partition_implILS8_3ELb0ES6_jNS0_17counting_iteratorIjlEEPS9_SE_NS0_5tupleIJPjSE_EEENSF_IJSE_SE_EEES9_SG_JZNS1_25segmented_radix_sort_implINS0_14default_configELb1EPKiPiPKlPlN2at6native12_GLOBAL__N_18offset_tEEE10hipError_tPvRmT1_PNSt15iterator_traitsISY_E10value_typeET2_T3_PNSZ_IS14_E10value_typeET4_jRbjT5_S1A_jjP12ihipStream_tbEUljE_EEESV_SW_SX_S14_S18_S1A_T6_T7_T9_mT8_S1C_bDpT10_ENKUlT_T0_E_clISt17integral_constantIbLb0EES1P_EEDaS1K_S1L_EUlS1K_E_NS1_11comp_targetILNS1_3genE10ELNS1_11target_archE1200ELNS1_3gpuE4ELNS1_3repE0EEENS1_30default_config_static_selectorELNS0_4arch9wavefront6targetE0EEEvSY_, .Lfunc_end470-_ZN7rocprim17ROCPRIM_400000_NS6detail17trampoline_kernelINS0_13select_configILj256ELj13ELNS0_17block_load_methodE3ELS4_3ELS4_3ELNS0_20block_scan_algorithmE0ELj4294967295EEENS1_25partition_config_selectorILNS1_17partition_subalgoE3EjNS0_10empty_typeEbEEZZNS1_14partition_implILS8_3ELb0ES6_jNS0_17counting_iteratorIjlEEPS9_SE_NS0_5tupleIJPjSE_EEENSF_IJSE_SE_EEES9_SG_JZNS1_25segmented_radix_sort_implINS0_14default_configELb1EPKiPiPKlPlN2at6native12_GLOBAL__N_18offset_tEEE10hipError_tPvRmT1_PNSt15iterator_traitsISY_E10value_typeET2_T3_PNSZ_IS14_E10value_typeET4_jRbjT5_S1A_jjP12ihipStream_tbEUljE_EEESV_SW_SX_S14_S18_S1A_T6_T7_T9_mT8_S1C_bDpT10_ENKUlT_T0_E_clISt17integral_constantIbLb0EES1P_EEDaS1K_S1L_EUlS1K_E_NS1_11comp_targetILNS1_3genE10ELNS1_11target_archE1200ELNS1_3gpuE4ELNS1_3repE0EEENS1_30default_config_static_selectorELNS0_4arch9wavefront6targetE0EEEvSY_
                                        ; -- End function
	.section	.AMDGPU.csdata,"",@progbits
; Kernel info:
; codeLenInByte = 0
; NumSgprs: 0
; NumVgprs: 0
; ScratchSize: 0
; MemoryBound: 0
; FloatMode: 240
; IeeeMode: 1
; LDSByteSize: 0 bytes/workgroup (compile time only)
; SGPRBlocks: 0
; VGPRBlocks: 0
; NumSGPRsForWavesPerEU: 1
; NumVGPRsForWavesPerEU: 1
; Occupancy: 16
; WaveLimiterHint : 0
; COMPUTE_PGM_RSRC2:SCRATCH_EN: 0
; COMPUTE_PGM_RSRC2:USER_SGPR: 15
; COMPUTE_PGM_RSRC2:TRAP_HANDLER: 0
; COMPUTE_PGM_RSRC2:TGID_X_EN: 1
; COMPUTE_PGM_RSRC2:TGID_Y_EN: 0
; COMPUTE_PGM_RSRC2:TGID_Z_EN: 0
; COMPUTE_PGM_RSRC2:TIDIG_COMP_CNT: 0
	.section	.text._ZN7rocprim17ROCPRIM_400000_NS6detail17trampoline_kernelINS0_13select_configILj256ELj13ELNS0_17block_load_methodE3ELS4_3ELS4_3ELNS0_20block_scan_algorithmE0ELj4294967295EEENS1_25partition_config_selectorILNS1_17partition_subalgoE3EjNS0_10empty_typeEbEEZZNS1_14partition_implILS8_3ELb0ES6_jNS0_17counting_iteratorIjlEEPS9_SE_NS0_5tupleIJPjSE_EEENSF_IJSE_SE_EEES9_SG_JZNS1_25segmented_radix_sort_implINS0_14default_configELb1EPKiPiPKlPlN2at6native12_GLOBAL__N_18offset_tEEE10hipError_tPvRmT1_PNSt15iterator_traitsISY_E10value_typeET2_T3_PNSZ_IS14_E10value_typeET4_jRbjT5_S1A_jjP12ihipStream_tbEUljE_EEESV_SW_SX_S14_S18_S1A_T6_T7_T9_mT8_S1C_bDpT10_ENKUlT_T0_E_clISt17integral_constantIbLb0EES1P_EEDaS1K_S1L_EUlS1K_E_NS1_11comp_targetILNS1_3genE9ELNS1_11target_archE1100ELNS1_3gpuE3ELNS1_3repE0EEENS1_30default_config_static_selectorELNS0_4arch9wavefront6targetE0EEEvSY_,"axG",@progbits,_ZN7rocprim17ROCPRIM_400000_NS6detail17trampoline_kernelINS0_13select_configILj256ELj13ELNS0_17block_load_methodE3ELS4_3ELS4_3ELNS0_20block_scan_algorithmE0ELj4294967295EEENS1_25partition_config_selectorILNS1_17partition_subalgoE3EjNS0_10empty_typeEbEEZZNS1_14partition_implILS8_3ELb0ES6_jNS0_17counting_iteratorIjlEEPS9_SE_NS0_5tupleIJPjSE_EEENSF_IJSE_SE_EEES9_SG_JZNS1_25segmented_radix_sort_implINS0_14default_configELb1EPKiPiPKlPlN2at6native12_GLOBAL__N_18offset_tEEE10hipError_tPvRmT1_PNSt15iterator_traitsISY_E10value_typeET2_T3_PNSZ_IS14_E10value_typeET4_jRbjT5_S1A_jjP12ihipStream_tbEUljE_EEESV_SW_SX_S14_S18_S1A_T6_T7_T9_mT8_S1C_bDpT10_ENKUlT_T0_E_clISt17integral_constantIbLb0EES1P_EEDaS1K_S1L_EUlS1K_E_NS1_11comp_targetILNS1_3genE9ELNS1_11target_archE1100ELNS1_3gpuE3ELNS1_3repE0EEENS1_30default_config_static_selectorELNS0_4arch9wavefront6targetE0EEEvSY_,comdat
	.globl	_ZN7rocprim17ROCPRIM_400000_NS6detail17trampoline_kernelINS0_13select_configILj256ELj13ELNS0_17block_load_methodE3ELS4_3ELS4_3ELNS0_20block_scan_algorithmE0ELj4294967295EEENS1_25partition_config_selectorILNS1_17partition_subalgoE3EjNS0_10empty_typeEbEEZZNS1_14partition_implILS8_3ELb0ES6_jNS0_17counting_iteratorIjlEEPS9_SE_NS0_5tupleIJPjSE_EEENSF_IJSE_SE_EEES9_SG_JZNS1_25segmented_radix_sort_implINS0_14default_configELb1EPKiPiPKlPlN2at6native12_GLOBAL__N_18offset_tEEE10hipError_tPvRmT1_PNSt15iterator_traitsISY_E10value_typeET2_T3_PNSZ_IS14_E10value_typeET4_jRbjT5_S1A_jjP12ihipStream_tbEUljE_EEESV_SW_SX_S14_S18_S1A_T6_T7_T9_mT8_S1C_bDpT10_ENKUlT_T0_E_clISt17integral_constantIbLb0EES1P_EEDaS1K_S1L_EUlS1K_E_NS1_11comp_targetILNS1_3genE9ELNS1_11target_archE1100ELNS1_3gpuE3ELNS1_3repE0EEENS1_30default_config_static_selectorELNS0_4arch9wavefront6targetE0EEEvSY_ ; -- Begin function _ZN7rocprim17ROCPRIM_400000_NS6detail17trampoline_kernelINS0_13select_configILj256ELj13ELNS0_17block_load_methodE3ELS4_3ELS4_3ELNS0_20block_scan_algorithmE0ELj4294967295EEENS1_25partition_config_selectorILNS1_17partition_subalgoE3EjNS0_10empty_typeEbEEZZNS1_14partition_implILS8_3ELb0ES6_jNS0_17counting_iteratorIjlEEPS9_SE_NS0_5tupleIJPjSE_EEENSF_IJSE_SE_EEES9_SG_JZNS1_25segmented_radix_sort_implINS0_14default_configELb1EPKiPiPKlPlN2at6native12_GLOBAL__N_18offset_tEEE10hipError_tPvRmT1_PNSt15iterator_traitsISY_E10value_typeET2_T3_PNSZ_IS14_E10value_typeET4_jRbjT5_S1A_jjP12ihipStream_tbEUljE_EEESV_SW_SX_S14_S18_S1A_T6_T7_T9_mT8_S1C_bDpT10_ENKUlT_T0_E_clISt17integral_constantIbLb0EES1P_EEDaS1K_S1L_EUlS1K_E_NS1_11comp_targetILNS1_3genE9ELNS1_11target_archE1100ELNS1_3gpuE3ELNS1_3repE0EEENS1_30default_config_static_selectorELNS0_4arch9wavefront6targetE0EEEvSY_
	.p2align	8
	.type	_ZN7rocprim17ROCPRIM_400000_NS6detail17trampoline_kernelINS0_13select_configILj256ELj13ELNS0_17block_load_methodE3ELS4_3ELS4_3ELNS0_20block_scan_algorithmE0ELj4294967295EEENS1_25partition_config_selectorILNS1_17partition_subalgoE3EjNS0_10empty_typeEbEEZZNS1_14partition_implILS8_3ELb0ES6_jNS0_17counting_iteratorIjlEEPS9_SE_NS0_5tupleIJPjSE_EEENSF_IJSE_SE_EEES9_SG_JZNS1_25segmented_radix_sort_implINS0_14default_configELb1EPKiPiPKlPlN2at6native12_GLOBAL__N_18offset_tEEE10hipError_tPvRmT1_PNSt15iterator_traitsISY_E10value_typeET2_T3_PNSZ_IS14_E10value_typeET4_jRbjT5_S1A_jjP12ihipStream_tbEUljE_EEESV_SW_SX_S14_S18_S1A_T6_T7_T9_mT8_S1C_bDpT10_ENKUlT_T0_E_clISt17integral_constantIbLb0EES1P_EEDaS1K_S1L_EUlS1K_E_NS1_11comp_targetILNS1_3genE9ELNS1_11target_archE1100ELNS1_3gpuE3ELNS1_3repE0EEENS1_30default_config_static_selectorELNS0_4arch9wavefront6targetE0EEEvSY_,@function
_ZN7rocprim17ROCPRIM_400000_NS6detail17trampoline_kernelINS0_13select_configILj256ELj13ELNS0_17block_load_methodE3ELS4_3ELS4_3ELNS0_20block_scan_algorithmE0ELj4294967295EEENS1_25partition_config_selectorILNS1_17partition_subalgoE3EjNS0_10empty_typeEbEEZZNS1_14partition_implILS8_3ELb0ES6_jNS0_17counting_iteratorIjlEEPS9_SE_NS0_5tupleIJPjSE_EEENSF_IJSE_SE_EEES9_SG_JZNS1_25segmented_radix_sort_implINS0_14default_configELb1EPKiPiPKlPlN2at6native12_GLOBAL__N_18offset_tEEE10hipError_tPvRmT1_PNSt15iterator_traitsISY_E10value_typeET2_T3_PNSZ_IS14_E10value_typeET4_jRbjT5_S1A_jjP12ihipStream_tbEUljE_EEESV_SW_SX_S14_S18_S1A_T6_T7_T9_mT8_S1C_bDpT10_ENKUlT_T0_E_clISt17integral_constantIbLb0EES1P_EEDaS1K_S1L_EUlS1K_E_NS1_11comp_targetILNS1_3genE9ELNS1_11target_archE1100ELNS1_3gpuE3ELNS1_3repE0EEENS1_30default_config_static_selectorELNS0_4arch9wavefront6targetE0EEEvSY_: ; @_ZN7rocprim17ROCPRIM_400000_NS6detail17trampoline_kernelINS0_13select_configILj256ELj13ELNS0_17block_load_methodE3ELS4_3ELS4_3ELNS0_20block_scan_algorithmE0ELj4294967295EEENS1_25partition_config_selectorILNS1_17partition_subalgoE3EjNS0_10empty_typeEbEEZZNS1_14partition_implILS8_3ELb0ES6_jNS0_17counting_iteratorIjlEEPS9_SE_NS0_5tupleIJPjSE_EEENSF_IJSE_SE_EEES9_SG_JZNS1_25segmented_radix_sort_implINS0_14default_configELb1EPKiPiPKlPlN2at6native12_GLOBAL__N_18offset_tEEE10hipError_tPvRmT1_PNSt15iterator_traitsISY_E10value_typeET2_T3_PNSZ_IS14_E10value_typeET4_jRbjT5_S1A_jjP12ihipStream_tbEUljE_EEESV_SW_SX_S14_S18_S1A_T6_T7_T9_mT8_S1C_bDpT10_ENKUlT_T0_E_clISt17integral_constantIbLb0EES1P_EEDaS1K_S1L_EUlS1K_E_NS1_11comp_targetILNS1_3genE9ELNS1_11target_archE1100ELNS1_3gpuE3ELNS1_3repE0EEENS1_30default_config_static_selectorELNS0_4arch9wavefront6targetE0EEEvSY_
; %bb.0:
	s_clause 0x5
	s_load_b32 s2, s[0:1], 0x70
	s_load_b64 s[16:17], s[0:1], 0x10
	s_load_b64 s[12:13], s[0:1], 0x58
	s_load_b32 s18, s[0:1], 0x8
	s_load_b128 s[8:11], s[0:1], 0x48
	s_load_b128 s[4:7], s[0:1], 0x78
	s_mul_i32 s23, s15, 0xd00
	v_lshlrev_b32_e32 v30, 2, v0
	s_waitcnt lgkmcnt(0)
	s_mul_i32 s20, s2, 0xd00
	s_add_i32 s19, s2, -1
	s_add_u32 s2, s16, s20
	s_addc_u32 s3, s17, 0
	s_cmp_eq_u32 s15, s19
	v_cmp_lt_u64_e64 s3, s[2:3], s[12:13]
	s_cselect_b32 s14, -1, 0
	s_cmp_lg_u32 s15, s19
	s_cselect_b32 s21, -1, 0
	s_add_i32 s2, s18, s23
	s_delay_alu instid0(VALU_DEP_1)
	s_or_b32 s3, s21, s3
	s_add_i32 s18, s2, s16
	s_load_b32 s2, s[0:1], 0x88
	v_add_nc_u32_e32 v1, s18, v0
	s_load_b64 s[18:19], s[10:11], 0x0
	s_and_b32 vcc_lo, exec_lo, s3
	s_mov_b32 s10, -1
	s_delay_alu instid0(VALU_DEP_1)
	v_add_nc_u32_e32 v2, 0x100, v1
	v_add_nc_u32_e32 v3, 0x200, v1
	v_add_nc_u32_e32 v4, 0x300, v1
	v_add_nc_u32_e32 v5, 0x400, v1
	v_add_nc_u32_e32 v6, 0x500, v1
	v_add_nc_u32_e32 v7, 0x600, v1
	v_add_nc_u32_e32 v8, 0x700, v1
	v_add_nc_u32_e32 v9, 0x800, v1
	v_add_nc_u32_e32 v10, 0x900, v1
	v_add_nc_u32_e32 v11, 0xa00, v1
	v_add_nc_u32_e32 v12, 0xb00, v1
	v_add_nc_u32_e32 v13, 0xc00, v1
	s_cbranch_vccz .LBB471_2
; %bb.1:
	ds_store_2addr_stride64_b32 v30, v1, v2 offset1:4
	ds_store_2addr_stride64_b32 v30, v3, v4 offset0:8 offset1:12
	ds_store_2addr_stride64_b32 v30, v5, v6 offset0:16 offset1:20
	;; [unrolled: 1-line block ×5, first 2 shown]
	ds_store_b32 v30, v13 offset:12288
	s_waitcnt lgkmcnt(0)
	s_mov_b32 s10, 0
	s_barrier
.LBB471_2:
	s_and_not1_b32 vcc_lo, exec_lo, s10
	s_add_i32 s20, s20, s16
	s_cbranch_vccnz .LBB471_4
; %bb.3:
	ds_store_2addr_stride64_b32 v30, v1, v2 offset1:4
	ds_store_2addr_stride64_b32 v30, v3, v4 offset0:8 offset1:12
	ds_store_2addr_stride64_b32 v30, v5, v6 offset0:16 offset1:20
	;; [unrolled: 1-line block ×5, first 2 shown]
	ds_store_b32 v30, v13 offset:12288
	s_waitcnt lgkmcnt(0)
	s_barrier
.LBB471_4:
	v_mul_u32_u24_e32 v33, 13, v0
	s_waitcnt lgkmcnt(0)
	buffer_gl0_inv
	v_cndmask_b32_e64 v31, 0, 1, s3
	s_sub_i32 s22, s12, s20
	s_and_not1_b32 vcc_lo, exec_lo, s3
	v_lshlrev_b32_e32 v1, 2, v33
	ds_load_2addr_b32 v[28:29], v1 offset1:1
	ds_load_2addr_b32 v[26:27], v1 offset0:2 offset1:3
	ds_load_2addr_b32 v[24:25], v1 offset0:4 offset1:5
	;; [unrolled: 1-line block ×5, first 2 shown]
	ds_load_b32 v32, v1 offset:48
	s_waitcnt lgkmcnt(0)
	s_barrier
	buffer_gl0_inv
	s_cbranch_vccnz .LBB471_6
; %bb.5:
	v_add_nc_u32_e32 v1, s5, v28
	v_add_nc_u32_e32 v2, s7, v28
	;; [unrolled: 1-line block ×5, first 2 shown]
	v_mul_lo_u32 v1, v1, s4
	v_mul_lo_u32 v2, v2, s6
	;; [unrolled: 1-line block ×4, first 2 shown]
	v_add_nc_u32_e32 v6, s7, v26
	v_add_nc_u32_e32 v7, s5, v27
	;; [unrolled: 1-line block ×3, first 2 shown]
	v_mul_lo_u32 v5, v5, s4
	v_add_nc_u32_e32 v9, s5, v22
	v_sub_nc_u32_e32 v1, v1, v2
	v_mul_lo_u32 v2, v6, s6
	v_sub_nc_u32_e32 v3, v3, v4
	v_mul_lo_u32 v4, v7, s4
	v_mul_lo_u32 v6, v8, s6
	v_add_nc_u32_e32 v7, s5, v24
	v_cmp_lt_u32_e32 vcc_lo, s2, v1
	v_add_nc_u32_e32 v8, s5, v25
	v_add_nc_u32_e32 v10, s7, v22
	v_sub_nc_u32_e32 v2, v5, v2
	v_add_nc_u32_e32 v5, s7, v24
	v_cndmask_b32_e64 v1, 0, 1, vcc_lo
	v_sub_nc_u32_e32 v4, v4, v6
	v_mul_lo_u32 v6, v7, s4
	v_add_nc_u32_e32 v7, s7, v25
	v_cmp_lt_u32_e32 vcc_lo, s2, v3
	v_mul_lo_u32 v5, v5, s6
	v_mul_lo_u32 v8, v8, s4
	;; [unrolled: 1-line block ×4, first 2 shown]
	v_cndmask_b32_e64 v3, 0, 1, vcc_lo
	v_cmp_lt_u32_e32 vcc_lo, s2, v2
	v_mul_lo_u32 v10, v10, s6
	v_add_nc_u32_e32 v11, s5, v20
	v_sub_nc_u32_e32 v5, v6, v5
	v_add_nc_u32_e32 v12, s7, v20
	v_cndmask_b32_e64 v2, 0, 1, vcc_lo
	v_sub_nc_u32_e32 v6, v8, v7
	v_add_nc_u32_e32 v7, s5, v23
	v_add_nc_u32_e32 v8, s7, v23
	v_cmp_lt_u32_e32 vcc_lo, s2, v4
	v_sub_nc_u32_e32 v9, v9, v10
	v_mul_lo_u32 v10, v11, s4
	v_mul_lo_u32 v7, v7, s4
	v_mul_lo_u32 v8, v8, s6
	v_mul_lo_u32 v11, v12, s6
	v_cndmask_b32_e64 v4, 0, 1, vcc_lo
	v_cmp_lt_u32_e32 vcc_lo, s2, v5
	v_add_nc_u32_e32 v12, s5, v21
	v_add_nc_u32_e32 v13, s7, v18
	v_add_nc_u32_e32 v14, s5, v19
	v_add_nc_u32_e32 v15, s7, v19
	v_cndmask_b32_e64 v5, 0, 1, vcc_lo
	v_cmp_lt_u32_e32 vcc_lo, s2, v6
	v_sub_nc_u32_e32 v7, v7, v8
	v_sub_nc_u32_e32 v8, v10, v11
	v_add_nc_u32_e32 v11, s7, v21
	v_mul_lo_u32 v10, v12, s4
	v_cndmask_b32_e64 v6, 0, 1, vcc_lo
	v_cmp_lt_u32_e32 vcc_lo, s2, v9
	v_add_nc_u32_e32 v12, s5, v18
	v_mul_lo_u32 v11, v11, s6
	v_mul_lo_u32 v13, v13, s6
	;; [unrolled: 1-line block ×3, first 2 shown]
	v_cndmask_b32_e64 v9, 0, 1, vcc_lo
	v_cmp_lt_u32_e32 vcc_lo, s2, v7
	v_mul_lo_u32 v12, v12, s4
	v_mul_lo_u32 v15, v15, s6
	v_lshlrev_b16 v3, 8, v3
	v_sub_nc_u32_e32 v10, v10, v11
	v_cndmask_b32_e64 v7, 0, 1, vcc_lo
	v_cmp_lt_u32_e32 vcc_lo, s2, v8
	v_add_nc_u32_e32 v11, s5, v32
	v_or_b32_e32 v1, v1, v3
	v_sub_nc_u32_e32 v12, v12, v13
	v_sub_nc_u32_e32 v13, v14, v15
	v_cndmask_b32_e64 v8, 0, 1, vcc_lo
	v_cmp_lt_u32_e32 vcc_lo, s2, v10
	v_add_nc_u32_e32 v16, s7, v32
	v_mul_lo_u32 v11, v11, s4
	v_lshlrev_b16 v4, 8, v4
	v_lshlrev_b16 v6, 8, v6
	v_cndmask_b32_e64 v10, 0, 1, vcc_lo
	v_cmp_lt_u32_e32 vcc_lo, s2, v12
	v_mul_lo_u32 v14, v16, s6
	v_lshlrev_b16 v7, 8, v7
	v_or_b32_e32 v2, v2, v4
	v_lshlrev_b16 v10, 8, v10
	v_cndmask_b32_e64 v3, 0, 1, vcc_lo
	v_cmp_lt_u32_e32 vcc_lo, s2, v13
	v_or_b32_e32 v4, v5, v6
	v_or_b32_e32 v5, v9, v7
	v_sub_nc_u32_e32 v11, v11, v14
	v_or_b32_e32 v6, v8, v10
	v_cndmask_b32_e64 v12, 0, 1, vcc_lo
	v_and_b32_e32 v1, 0xffff, v1
	v_lshlrev_b32_e32 v2, 16, v2
	v_and_b32_e32 v4, 0xffff, v4
	v_lshlrev_b32_e32 v5, 16, v5
	v_lshlrev_b16 v12, 8, v12
	v_and_b32_e32 v6, 0xffff, v6
	v_cmp_lt_u32_e32 vcc_lo, s2, v11
	v_or_b32_e32 v39, v1, v2
	v_or_b32_e32 v37, v4, v5
	v_or_b32_e32 v3, v3, v12
	s_mov_b32 s3, 0
	v_cndmask_b32_e64 v34, 0, 1, vcc_lo
	s_delay_alu instid0(VALU_DEP_2) | instskip(NEXT) | instid1(VALU_DEP_1)
	v_lshlrev_b32_e32 v3, 16, v3
	v_or_b32_e32 v35, v6, v3
	s_branch .LBB471_7
.LBB471_6:
	s_mov_b32 s3, -1
                                        ; implicit-def: $vgpr34
                                        ; implicit-def: $vgpr35
                                        ; implicit-def: $vgpr37
                                        ; implicit-def: $vgpr39
.LBB471_7:
	s_clause 0x1
	s_load_b64 s[10:11], s[0:1], 0x28
	s_load_b64 s[20:21], s[0:1], 0x68
	s_and_not1_b32 vcc_lo, exec_lo, s3
	s_addk_i32 s22, 0xd00
	s_cbranch_vccnz .LBB471_35
; %bb.8:
	v_dual_mov_b32 v2, 0 :: v_dual_mov_b32 v1, 0
	s_mov_b32 s0, exec_lo
	v_cmpx_gt_u32_e64 s22, v33
; %bb.9:
	v_add_nc_u32_e32 v1, s5, v28
	v_add_nc_u32_e32 v3, s7, v28
	s_delay_alu instid0(VALU_DEP_2) | instskip(NEXT) | instid1(VALU_DEP_2)
	v_mul_lo_u32 v1, v1, s4
	v_mul_lo_u32 v3, v3, s6
	s_delay_alu instid0(VALU_DEP_1) | instskip(NEXT) | instid1(VALU_DEP_1)
	v_sub_nc_u32_e32 v1, v1, v3
	v_cmp_lt_u32_e32 vcc_lo, s2, v1
	v_cndmask_b32_e64 v1, 0, 1, vcc_lo
; %bb.10:
	s_or_b32 exec_lo, exec_lo, s0
	v_add_nc_u32_e32 v3, 1, v33
	s_mov_b32 s0, exec_lo
	s_delay_alu instid0(VALU_DEP_1)
	v_cmpx_gt_u32_e64 s22, v3
; %bb.11:
	v_add_nc_u32_e32 v2, s5, v29
	v_add_nc_u32_e32 v3, s7, v29
	s_delay_alu instid0(VALU_DEP_2) | instskip(NEXT) | instid1(VALU_DEP_2)
	v_mul_lo_u32 v2, v2, s4
	v_mul_lo_u32 v3, v3, s6
	s_delay_alu instid0(VALU_DEP_1) | instskip(NEXT) | instid1(VALU_DEP_1)
	v_sub_nc_u32_e32 v2, v2, v3
	v_cmp_lt_u32_e32 vcc_lo, s2, v2
	v_cndmask_b32_e64 v2, 0, 1, vcc_lo
; %bb.12:
	s_or_b32 exec_lo, exec_lo, s0
	v_dual_mov_b32 v4, 0 :: v_dual_add_nc_u32 v3, 2, v33
	s_delay_alu instid0(VALU_DEP_1)
	v_cmp_gt_u32_e32 vcc_lo, s22, v3
	v_mov_b32_e32 v3, 0
	s_and_saveexec_b32 s0, vcc_lo
; %bb.13:
	v_add_nc_u32_e32 v3, s5, v26
	v_add_nc_u32_e32 v5, s7, v26
	s_delay_alu instid0(VALU_DEP_2) | instskip(NEXT) | instid1(VALU_DEP_2)
	v_mul_lo_u32 v3, v3, s4
	v_mul_lo_u32 v5, v5, s6
	s_delay_alu instid0(VALU_DEP_1) | instskip(NEXT) | instid1(VALU_DEP_1)
	v_sub_nc_u32_e32 v3, v3, v5
	v_cmp_lt_u32_e32 vcc_lo, s2, v3
	v_cndmask_b32_e64 v3, 0, 1, vcc_lo
; %bb.14:
	s_or_b32 exec_lo, exec_lo, s0
	v_add_nc_u32_e32 v5, 3, v33
	s_mov_b32 s0, exec_lo
	s_delay_alu instid0(VALU_DEP_1)
	v_cmpx_gt_u32_e64 s22, v5
; %bb.15:
	v_add_nc_u32_e32 v4, s5, v27
	v_add_nc_u32_e32 v5, s7, v27
	s_delay_alu instid0(VALU_DEP_2) | instskip(NEXT) | instid1(VALU_DEP_2)
	v_mul_lo_u32 v4, v4, s4
	v_mul_lo_u32 v5, v5, s6
	s_delay_alu instid0(VALU_DEP_1) | instskip(NEXT) | instid1(VALU_DEP_1)
	v_sub_nc_u32_e32 v4, v4, v5
	v_cmp_lt_u32_e32 vcc_lo, s2, v4
	v_cndmask_b32_e64 v4, 0, 1, vcc_lo
; %bb.16:
	s_or_b32 exec_lo, exec_lo, s0
	v_dual_mov_b32 v6, 0 :: v_dual_add_nc_u32 v5, 4, v33
	s_delay_alu instid0(VALU_DEP_1)
	v_cmp_gt_u32_e32 vcc_lo, s22, v5
	v_mov_b32_e32 v5, 0
	s_and_saveexec_b32 s0, vcc_lo
; %bb.17:
	v_add_nc_u32_e32 v5, s5, v24
	v_add_nc_u32_e32 v7, s7, v24
	s_delay_alu instid0(VALU_DEP_2) | instskip(NEXT) | instid1(VALU_DEP_2)
	v_mul_lo_u32 v5, v5, s4
	v_mul_lo_u32 v7, v7, s6
	s_delay_alu instid0(VALU_DEP_1) | instskip(NEXT) | instid1(VALU_DEP_1)
	v_sub_nc_u32_e32 v5, v5, v7
	v_cmp_lt_u32_e32 vcc_lo, s2, v5
	v_cndmask_b32_e64 v5, 0, 1, vcc_lo
; %bb.18:
	s_or_b32 exec_lo, exec_lo, s0
	v_add_nc_u32_e32 v7, 5, v33
	s_mov_b32 s0, exec_lo
	s_delay_alu instid0(VALU_DEP_1)
	v_cmpx_gt_u32_e64 s22, v7
; %bb.19:
	v_add_nc_u32_e32 v6, s5, v25
	v_add_nc_u32_e32 v7, s7, v25
	s_delay_alu instid0(VALU_DEP_2) | instskip(NEXT) | instid1(VALU_DEP_2)
	v_mul_lo_u32 v6, v6, s4
	v_mul_lo_u32 v7, v7, s6
	s_delay_alu instid0(VALU_DEP_1) | instskip(NEXT) | instid1(VALU_DEP_1)
	v_sub_nc_u32_e32 v6, v6, v7
	v_cmp_lt_u32_e32 vcc_lo, s2, v6
	v_cndmask_b32_e64 v6, 0, 1, vcc_lo
; %bb.20:
	s_or_b32 exec_lo, exec_lo, s0
	v_dual_mov_b32 v8, 0 :: v_dual_add_nc_u32 v7, 6, v33
	s_delay_alu instid0(VALU_DEP_1)
	v_cmp_gt_u32_e32 vcc_lo, s22, v7
	v_mov_b32_e32 v7, 0
	s_and_saveexec_b32 s0, vcc_lo
; %bb.21:
	v_add_nc_u32_e32 v7, s5, v22
	v_add_nc_u32_e32 v9, s7, v22
	s_delay_alu instid0(VALU_DEP_2) | instskip(NEXT) | instid1(VALU_DEP_2)
	v_mul_lo_u32 v7, v7, s4
	v_mul_lo_u32 v9, v9, s6
	s_delay_alu instid0(VALU_DEP_1) | instskip(NEXT) | instid1(VALU_DEP_1)
	v_sub_nc_u32_e32 v7, v7, v9
	v_cmp_lt_u32_e32 vcc_lo, s2, v7
	v_cndmask_b32_e64 v7, 0, 1, vcc_lo
; %bb.22:
	s_or_b32 exec_lo, exec_lo, s0
	v_add_nc_u32_e32 v9, 7, v33
	s_mov_b32 s0, exec_lo
	s_delay_alu instid0(VALU_DEP_1)
	v_cmpx_gt_u32_e64 s22, v9
; %bb.23:
	v_add_nc_u32_e32 v8, s5, v23
	v_add_nc_u32_e32 v9, s7, v23
	s_delay_alu instid0(VALU_DEP_2) | instskip(NEXT) | instid1(VALU_DEP_2)
	v_mul_lo_u32 v8, v8, s4
	v_mul_lo_u32 v9, v9, s6
	s_delay_alu instid0(VALU_DEP_1) | instskip(NEXT) | instid1(VALU_DEP_1)
	v_sub_nc_u32_e32 v8, v8, v9
	v_cmp_lt_u32_e32 vcc_lo, s2, v8
	v_cndmask_b32_e64 v8, 0, 1, vcc_lo
; %bb.24:
	s_or_b32 exec_lo, exec_lo, s0
	v_dual_mov_b32 v10, 0 :: v_dual_add_nc_u32 v9, 8, v33
	s_delay_alu instid0(VALU_DEP_1)
	v_cmp_gt_u32_e32 vcc_lo, s22, v9
	v_mov_b32_e32 v9, 0
	s_and_saveexec_b32 s0, vcc_lo
; %bb.25:
	v_add_nc_u32_e32 v9, s5, v20
	v_add_nc_u32_e32 v11, s7, v20
	s_delay_alu instid0(VALU_DEP_2) | instskip(NEXT) | instid1(VALU_DEP_2)
	v_mul_lo_u32 v9, v9, s4
	v_mul_lo_u32 v11, v11, s6
	s_delay_alu instid0(VALU_DEP_1) | instskip(NEXT) | instid1(VALU_DEP_1)
	v_sub_nc_u32_e32 v9, v9, v11
	v_cmp_lt_u32_e32 vcc_lo, s2, v9
	v_cndmask_b32_e64 v9, 0, 1, vcc_lo
; %bb.26:
	s_or_b32 exec_lo, exec_lo, s0
	v_add_nc_u32_e32 v11, 9, v33
	s_mov_b32 s0, exec_lo
	s_delay_alu instid0(VALU_DEP_1)
	v_cmpx_gt_u32_e64 s22, v11
; %bb.27:
	v_add_nc_u32_e32 v10, s5, v21
	v_add_nc_u32_e32 v11, s7, v21
	s_delay_alu instid0(VALU_DEP_2) | instskip(NEXT) | instid1(VALU_DEP_2)
	v_mul_lo_u32 v10, v10, s4
	v_mul_lo_u32 v11, v11, s6
	s_delay_alu instid0(VALU_DEP_1) | instskip(NEXT) | instid1(VALU_DEP_1)
	v_sub_nc_u32_e32 v10, v10, v11
	v_cmp_lt_u32_e32 vcc_lo, s2, v10
	v_cndmask_b32_e64 v10, 0, 1, vcc_lo
; %bb.28:
	s_or_b32 exec_lo, exec_lo, s0
	v_dual_mov_b32 v12, 0 :: v_dual_add_nc_u32 v11, 10, v33
	s_delay_alu instid0(VALU_DEP_1)
	v_cmp_gt_u32_e32 vcc_lo, s22, v11
	v_mov_b32_e32 v11, 0
	s_and_saveexec_b32 s0, vcc_lo
; %bb.29:
	v_add_nc_u32_e32 v11, s5, v18
	v_add_nc_u32_e32 v13, s7, v18
	s_delay_alu instid0(VALU_DEP_2) | instskip(NEXT) | instid1(VALU_DEP_2)
	v_mul_lo_u32 v11, v11, s4
	v_mul_lo_u32 v13, v13, s6
	s_delay_alu instid0(VALU_DEP_1) | instskip(NEXT) | instid1(VALU_DEP_1)
	v_sub_nc_u32_e32 v11, v11, v13
	v_cmp_lt_u32_e32 vcc_lo, s2, v11
	v_cndmask_b32_e64 v11, 0, 1, vcc_lo
; %bb.30:
	s_or_b32 exec_lo, exec_lo, s0
	v_add_nc_u32_e32 v13, 11, v33
	s_mov_b32 s0, exec_lo
	s_delay_alu instid0(VALU_DEP_1)
	v_cmpx_gt_u32_e64 s22, v13
; %bb.31:
	v_add_nc_u32_e32 v12, s5, v19
	v_add_nc_u32_e32 v13, s7, v19
	s_delay_alu instid0(VALU_DEP_2) | instskip(NEXT) | instid1(VALU_DEP_2)
	v_mul_lo_u32 v12, v12, s4
	v_mul_lo_u32 v13, v13, s6
	s_delay_alu instid0(VALU_DEP_1) | instskip(NEXT) | instid1(VALU_DEP_1)
	v_sub_nc_u32_e32 v12, v12, v13
	v_cmp_lt_u32_e32 vcc_lo, s2, v12
	v_cndmask_b32_e64 v12, 0, 1, vcc_lo
; %bb.32:
	s_or_b32 exec_lo, exec_lo, s0
	v_dual_mov_b32 v34, 0 :: v_dual_add_nc_u32 v13, 12, v33
	s_mov_b32 s0, exec_lo
	s_delay_alu instid0(VALU_DEP_1)
	v_cmpx_gt_u32_e64 s22, v13
; %bb.33:
	v_add_nc_u32_e32 v13, s5, v32
	v_add_nc_u32_e32 v14, s7, v32
	s_delay_alu instid0(VALU_DEP_2) | instskip(NEXT) | instid1(VALU_DEP_2)
	v_mul_lo_u32 v13, v13, s4
	v_mul_lo_u32 v14, v14, s6
	s_delay_alu instid0(VALU_DEP_1) | instskip(NEXT) | instid1(VALU_DEP_1)
	v_sub_nc_u32_e32 v13, v13, v14
	v_cmp_lt_u32_e32 vcc_lo, s2, v13
	v_cndmask_b32_e64 v34, 0, 1, vcc_lo
; %bb.34:
	s_or_b32 exec_lo, exec_lo, s0
	v_lshlrev_b16 v2, 8, v2
	v_lshlrev_b16 v4, 8, v4
	;; [unrolled: 1-line block ×5, first 2 shown]
	v_or_b32_e32 v1, v1, v2
	v_lshlrev_b16 v2, 8, v12
	v_or_b32_e32 v3, v3, v4
	v_or_b32_e32 v4, v5, v6
	;; [unrolled: 1-line block ×5, first 2 shown]
	v_and_b32_e32 v1, 0xffff, v1
	v_lshlrev_b32_e32 v3, 16, v3
	v_and_b32_e32 v4, 0xffff, v4
	v_lshlrev_b32_e32 v5, 16, v5
	;; [unrolled: 2-line block ×3, first 2 shown]
	v_or_b32_e32 v39, v1, v3
	s_delay_alu instid0(VALU_DEP_4) | instskip(NEXT) | instid1(VALU_DEP_3)
	v_or_b32_e32 v37, v4, v5
	v_or_b32_e32 v35, v6, v2
.LBB471_35:
	s_delay_alu instid0(VALU_DEP_3)
	v_and_b32_e32 v41, 0xff, v39
	v_bfe_u32 v42, v39, 8, 8
	v_bfe_u32 v43, v39, 16, 8
	v_lshrrev_b32_e32 v40, 24, v39
	v_and_b32_e32 v44, 0xff, v37
	v_bfe_u32 v45, v37, 8, 8
	v_bfe_u32 v46, v37, 16, 8
	v_add3_u32 v1, v42, v41, v43
	v_lshrrev_b32_e32 v38, 24, v37
	v_and_b32_e32 v47, 0xff, v35
	v_bfe_u32 v48, v35, 8, 8
	v_mbcnt_lo_u32_b32 v50, -1, 0
	v_add3_u32 v1, v1, v40, v44
	v_bfe_u32 v49, v35, 16, 8
	v_lshrrev_b32_e32 v36, 24, v35
	v_and_b32_e32 v2, 0xff, v34
	v_and_b32_e32 v3, 15, v50
	v_add3_u32 v1, v1, v45, v46
	v_or_b32_e32 v4, 31, v0
	v_and_b32_e32 v5, 16, v50
	v_lshrrev_b32_e32 v51, 5, v0
	v_cmp_eq_u32_e64 s5, 0, v3
	v_add3_u32 v1, v1, v38, v47
	v_cmp_lt_u32_e64 s4, 1, v3
	v_cmp_lt_u32_e64 s3, 3, v3
	;; [unrolled: 1-line block ×3, first 2 shown]
	v_cmp_eq_u32_e64 s1, 0, v5
	v_add3_u32 v1, v1, v48, v49
	v_cmp_eq_u32_e64 s0, v4, v0
	s_cmp_lg_u32 s15, 0
	s_mov_b32 s6, -1
	s_delay_alu instid0(VALU_DEP_2)
	v_add3_u32 v52, v1, v36, v2
	s_cbranch_scc0 .LBB471_61
; %bb.36:
	s_delay_alu instid0(VALU_DEP_1) | instskip(NEXT) | instid1(VALU_DEP_1)
	v_mov_b32_dpp v1, v52 row_shr:1 row_mask:0xf bank_mask:0xf
	v_cndmask_b32_e64 v1, v1, 0, s5
	s_delay_alu instid0(VALU_DEP_1) | instskip(NEXT) | instid1(VALU_DEP_1)
	v_add_nc_u32_e32 v1, v1, v52
	v_mov_b32_dpp v2, v1 row_shr:2 row_mask:0xf bank_mask:0xf
	s_delay_alu instid0(VALU_DEP_1) | instskip(NEXT) | instid1(VALU_DEP_1)
	v_cndmask_b32_e64 v2, 0, v2, s4
	v_add_nc_u32_e32 v1, v1, v2
	s_delay_alu instid0(VALU_DEP_1) | instskip(NEXT) | instid1(VALU_DEP_1)
	v_mov_b32_dpp v2, v1 row_shr:4 row_mask:0xf bank_mask:0xf
	v_cndmask_b32_e64 v2, 0, v2, s3
	s_delay_alu instid0(VALU_DEP_1) | instskip(NEXT) | instid1(VALU_DEP_1)
	v_add_nc_u32_e32 v1, v1, v2
	v_mov_b32_dpp v2, v1 row_shr:8 row_mask:0xf bank_mask:0xf
	s_delay_alu instid0(VALU_DEP_1) | instskip(NEXT) | instid1(VALU_DEP_1)
	v_cndmask_b32_e64 v2, 0, v2, s2
	v_add_nc_u32_e32 v1, v1, v2
	ds_swizzle_b32 v2, v1 offset:swizzle(BROADCAST,32,15)
	s_waitcnt lgkmcnt(0)
	v_cndmask_b32_e64 v2, v2, 0, s1
	s_delay_alu instid0(VALU_DEP_1)
	v_add_nc_u32_e32 v1, v1, v2
	s_and_saveexec_b32 s6, s0
	s_cbranch_execz .LBB471_38
; %bb.37:
	v_lshlrev_b32_e32 v2, 2, v51
	ds_store_b32 v2, v1
.LBB471_38:
	s_or_b32 exec_lo, exec_lo, s6
	s_delay_alu instid0(SALU_CYCLE_1)
	s_mov_b32 s6, exec_lo
	s_waitcnt lgkmcnt(0)
	s_barrier
	buffer_gl0_inv
	v_cmpx_gt_u32_e32 8, v0
	s_cbranch_execz .LBB471_40
; %bb.39:
	ds_load_b32 v2, v30
	s_waitcnt lgkmcnt(0)
	v_mov_b32_dpp v4, v2 row_shr:1 row_mask:0xf bank_mask:0xf
	v_and_b32_e32 v3, 7, v50
	s_delay_alu instid0(VALU_DEP_1) | instskip(NEXT) | instid1(VALU_DEP_3)
	v_cmp_ne_u32_e32 vcc_lo, 0, v3
	v_cndmask_b32_e32 v4, 0, v4, vcc_lo
	v_cmp_lt_u32_e32 vcc_lo, 1, v3
	s_delay_alu instid0(VALU_DEP_2) | instskip(NEXT) | instid1(VALU_DEP_1)
	v_add_nc_u32_e32 v2, v4, v2
	v_mov_b32_dpp v4, v2 row_shr:2 row_mask:0xf bank_mask:0xf
	s_delay_alu instid0(VALU_DEP_1) | instskip(SKIP_1) | instid1(VALU_DEP_2)
	v_cndmask_b32_e32 v4, 0, v4, vcc_lo
	v_cmp_lt_u32_e32 vcc_lo, 3, v3
	v_add_nc_u32_e32 v2, v2, v4
	s_delay_alu instid0(VALU_DEP_1) | instskip(NEXT) | instid1(VALU_DEP_1)
	v_mov_b32_dpp v4, v2 row_shr:4 row_mask:0xf bank_mask:0xf
	v_cndmask_b32_e32 v3, 0, v4, vcc_lo
	s_delay_alu instid0(VALU_DEP_1)
	v_add_nc_u32_e32 v2, v2, v3
	ds_store_b32 v30, v2
.LBB471_40:
	s_or_b32 exec_lo, exec_lo, s6
	v_cmp_gt_u32_e32 vcc_lo, 32, v0
	s_mov_b32 s7, exec_lo
	s_waitcnt lgkmcnt(0)
	s_barrier
	buffer_gl0_inv
                                        ; implicit-def: $vgpr8
	v_cmpx_lt_u32_e32 31, v0
	s_cbranch_execz .LBB471_42
; %bb.41:
	v_lshl_add_u32 v2, v51, 2, -4
	ds_load_b32 v8, v2
	s_waitcnt lgkmcnt(0)
	v_add_nc_u32_e32 v1, v8, v1
.LBB471_42:
	s_or_b32 exec_lo, exec_lo, s7
	v_add_nc_u32_e32 v2, -1, v50
	s_delay_alu instid0(VALU_DEP_1) | instskip(NEXT) | instid1(VALU_DEP_1)
	v_cmp_gt_i32_e64 s6, 0, v2
	v_cndmask_b32_e64 v2, v2, v50, s6
	v_cmp_eq_u32_e64 s6, 0, v50
	s_delay_alu instid0(VALU_DEP_2)
	v_lshlrev_b32_e32 v2, 2, v2
	ds_bpermute_b32 v9, v2, v1
	s_and_saveexec_b32 s7, vcc_lo
	s_cbranch_execz .LBB471_60
; %bb.43:
	v_mov_b32_e32 v4, 0
	ds_load_b32 v1, v4 offset:28
	s_and_saveexec_b32 s24, s6
	s_cbranch_execz .LBB471_45
; %bb.44:
	s_add_i32 s26, s15, 32
	s_mov_b32 s27, 0
	v_mov_b32_e32 v2, 1
	s_lshl_b64 s[26:27], s[26:27], 3
	s_delay_alu instid0(SALU_CYCLE_1)
	s_add_u32 s26, s20, s26
	s_addc_u32 s27, s21, s27
	s_waitcnt lgkmcnt(0)
	global_store_b64 v4, v[1:2], s[26:27]
.LBB471_45:
	s_or_b32 exec_lo, exec_lo, s24
	v_xad_u32 v2, v50, -1, s15
	s_mov_b32 s25, 0
	s_mov_b32 s24, exec_lo
	s_delay_alu instid0(VALU_DEP_1) | instskip(NEXT) | instid1(VALU_DEP_1)
	v_add_nc_u32_e32 v3, 32, v2
	v_lshlrev_b64 v[3:4], 3, v[3:4]
	s_delay_alu instid0(VALU_DEP_1) | instskip(NEXT) | instid1(VALU_DEP_2)
	v_add_co_u32 v6, vcc_lo, s20, v3
	v_add_co_ci_u32_e32 v7, vcc_lo, s21, v4, vcc_lo
	global_load_b64 v[4:5], v[6:7], off glc
	s_waitcnt vmcnt(0)
	v_and_b32_e32 v3, 0xff, v5
	s_delay_alu instid0(VALU_DEP_1)
	v_cmpx_eq_u16_e32 0, v3
	s_cbranch_execz .LBB471_48
.LBB471_46:                             ; =>This Inner Loop Header: Depth=1
	global_load_b64 v[4:5], v[6:7], off glc
	s_waitcnt vmcnt(0)
	v_and_b32_e32 v3, 0xff, v5
	s_delay_alu instid0(VALU_DEP_1) | instskip(SKIP_1) | instid1(SALU_CYCLE_1)
	v_cmp_ne_u16_e32 vcc_lo, 0, v3
	s_or_b32 s25, vcc_lo, s25
	s_and_not1_b32 exec_lo, exec_lo, s25
	s_cbranch_execnz .LBB471_46
; %bb.47:
	s_or_b32 exec_lo, exec_lo, s25
.LBB471_48:
	s_delay_alu instid0(SALU_CYCLE_1)
	s_or_b32 exec_lo, exec_lo, s24
	v_cmp_ne_u32_e32 vcc_lo, 31, v50
	v_lshlrev_b32_e64 v11, v50, -1
	v_add_nc_u32_e32 v13, 2, v50
	v_add_nc_u32_e32 v16, 4, v50
	v_add_nc_u32_e32 v53, 8, v50
	v_add_co_ci_u32_e32 v3, vcc_lo, 0, v50, vcc_lo
	v_add_nc_u32_e32 v55, 16, v50
	s_delay_alu instid0(VALU_DEP_2) | instskip(SKIP_2) | instid1(VALU_DEP_1)
	v_lshlrev_b32_e32 v10, 2, v3
	ds_bpermute_b32 v6, v10, v4
	v_and_b32_e32 v3, 0xff, v5
	v_cmp_eq_u16_e32 vcc_lo, 2, v3
	v_and_or_b32 v3, vcc_lo, v11, 0x80000000
	v_cmp_gt_u32_e32 vcc_lo, 30, v50
	s_delay_alu instid0(VALU_DEP_2) | instskip(SKIP_1) | instid1(VALU_DEP_2)
	v_ctz_i32_b32_e32 v3, v3
	v_cndmask_b32_e64 v7, 0, 1, vcc_lo
	v_cmp_lt_u32_e32 vcc_lo, v50, v3
	s_waitcnt lgkmcnt(0)
	s_delay_alu instid0(VALU_DEP_2) | instskip(NEXT) | instid1(VALU_DEP_1)
	v_dual_cndmask_b32 v6, 0, v6 :: v_dual_lshlrev_b32 v7, 1, v7
	v_add_lshl_u32 v12, v7, v50, 2
	v_cmp_gt_u32_e32 vcc_lo, 28, v50
	s_delay_alu instid0(VALU_DEP_3) | instskip(SKIP_4) | instid1(VALU_DEP_1)
	v_add_nc_u32_e32 v4, v6, v4
	v_cndmask_b32_e64 v7, 0, 1, vcc_lo
	v_cmp_le_u32_e32 vcc_lo, v13, v3
	ds_bpermute_b32 v6, v12, v4
	v_lshlrev_b32_e32 v7, 2, v7
	v_add_lshl_u32 v14, v7, v50, 2
	s_waitcnt lgkmcnt(0)
	v_cndmask_b32_e32 v6, 0, v6, vcc_lo
	v_cmp_gt_u32_e32 vcc_lo, 24, v50
	s_delay_alu instid0(VALU_DEP_2) | instskip(SKIP_4) | instid1(VALU_DEP_1)
	v_add_nc_u32_e32 v4, v4, v6
	v_cndmask_b32_e64 v7, 0, 1, vcc_lo
	v_cmp_le_u32_e32 vcc_lo, v16, v3
	ds_bpermute_b32 v6, v14, v4
	v_lshlrev_b32_e32 v7, 3, v7
	v_add_lshl_u32 v17, v7, v50, 2
	s_waitcnt lgkmcnt(0)
	v_cndmask_b32_e32 v6, 0, v6, vcc_lo
	v_cmp_gt_u32_e32 vcc_lo, 16, v50
	s_delay_alu instid0(VALU_DEP_2) | instskip(SKIP_4) | instid1(VALU_DEP_1)
	v_add_nc_u32_e32 v4, v4, v6
	v_cndmask_b32_e64 v7, 0, 1, vcc_lo
	v_cmp_le_u32_e32 vcc_lo, v53, v3
	ds_bpermute_b32 v6, v17, v4
	v_lshlrev_b32_e32 v7, 4, v7
	v_add_lshl_u32 v54, v7, v50, 2
	s_waitcnt lgkmcnt(0)
	v_cndmask_b32_e32 v6, 0, v6, vcc_lo
	v_cmp_le_u32_e32 vcc_lo, v55, v3
	s_delay_alu instid0(VALU_DEP_2) | instskip(SKIP_3) | instid1(VALU_DEP_1)
	v_add_nc_u32_e32 v4, v4, v6
	ds_bpermute_b32 v6, v54, v4
	s_waitcnt lgkmcnt(0)
	v_cndmask_b32_e32 v3, 0, v6, vcc_lo
	v_dual_mov_b32 v3, 0 :: v_dual_add_nc_u32 v4, v4, v3
	s_branch .LBB471_50
.LBB471_49:                             ;   in Loop: Header=BB471_50 Depth=1
	s_or_b32 exec_lo, exec_lo, s24
	ds_bpermute_b32 v7, v10, v4
	v_and_b32_e32 v6, 0xff, v5
	v_subrev_nc_u32_e32 v2, 32, v2
	s_delay_alu instid0(VALU_DEP_2) | instskip(SKIP_1) | instid1(VALU_DEP_1)
	v_cmp_eq_u16_e32 vcc_lo, 2, v6
	v_and_or_b32 v6, vcc_lo, v11, 0x80000000
	v_ctz_i32_b32_e32 v6, v6
	s_delay_alu instid0(VALU_DEP_1) | instskip(SKIP_3) | instid1(VALU_DEP_2)
	v_cmp_lt_u32_e32 vcc_lo, v50, v6
	s_waitcnt lgkmcnt(0)
	v_cndmask_b32_e32 v7, 0, v7, vcc_lo
	v_cmp_le_u32_e32 vcc_lo, v13, v6
	v_add_nc_u32_e32 v4, v7, v4
	ds_bpermute_b32 v7, v12, v4
	s_waitcnt lgkmcnt(0)
	v_cndmask_b32_e32 v7, 0, v7, vcc_lo
	v_cmp_le_u32_e32 vcc_lo, v16, v6
	s_delay_alu instid0(VALU_DEP_2) | instskip(SKIP_4) | instid1(VALU_DEP_2)
	v_add_nc_u32_e32 v4, v4, v7
	ds_bpermute_b32 v7, v14, v4
	s_waitcnt lgkmcnt(0)
	v_cndmask_b32_e32 v7, 0, v7, vcc_lo
	v_cmp_le_u32_e32 vcc_lo, v53, v6
	v_add_nc_u32_e32 v4, v4, v7
	ds_bpermute_b32 v7, v17, v4
	s_waitcnt lgkmcnt(0)
	v_cndmask_b32_e32 v7, 0, v7, vcc_lo
	v_cmp_le_u32_e32 vcc_lo, v55, v6
	s_delay_alu instid0(VALU_DEP_2) | instskip(SKIP_3) | instid1(VALU_DEP_1)
	v_add_nc_u32_e32 v4, v4, v7
	ds_bpermute_b32 v7, v54, v4
	s_waitcnt lgkmcnt(0)
	v_cndmask_b32_e32 v6, 0, v7, vcc_lo
	v_add3_u32 v4, v6, v15, v4
.LBB471_50:                             ; =>This Loop Header: Depth=1
                                        ;     Child Loop BB471_53 Depth 2
	v_and_b32_e32 v5, 0xff, v5
	s_delay_alu instid0(VALU_DEP_2) | instskip(NEXT) | instid1(VALU_DEP_2)
	v_mov_b32_e32 v15, v4
	v_cmp_ne_u16_e32 vcc_lo, 2, v5
	v_cndmask_b32_e64 v5, 0, 1, vcc_lo
	;;#ASMSTART
	;;#ASMEND
	s_delay_alu instid0(VALU_DEP_1)
	v_cmp_ne_u32_e32 vcc_lo, 0, v5
	s_cmp_lg_u32 vcc_lo, exec_lo
	s_cbranch_scc1 .LBB471_55
; %bb.51:                               ;   in Loop: Header=BB471_50 Depth=1
	v_lshlrev_b64 v[4:5], 3, v[2:3]
	s_mov_b32 s24, exec_lo
	s_delay_alu instid0(VALU_DEP_1) | instskip(NEXT) | instid1(VALU_DEP_2)
	v_add_co_u32 v6, vcc_lo, s20, v4
	v_add_co_ci_u32_e32 v7, vcc_lo, s21, v5, vcc_lo
	global_load_b64 v[4:5], v[6:7], off glc
	s_waitcnt vmcnt(0)
	v_and_b32_e32 v56, 0xff, v5
	s_delay_alu instid0(VALU_DEP_1)
	v_cmpx_eq_u16_e32 0, v56
	s_cbranch_execz .LBB471_49
; %bb.52:                               ;   in Loop: Header=BB471_50 Depth=1
	s_mov_b32 s25, 0
.LBB471_53:                             ;   Parent Loop BB471_50 Depth=1
                                        ; =>  This Inner Loop Header: Depth=2
	global_load_b64 v[4:5], v[6:7], off glc
	s_waitcnt vmcnt(0)
	v_and_b32_e32 v56, 0xff, v5
	s_delay_alu instid0(VALU_DEP_1) | instskip(SKIP_1) | instid1(SALU_CYCLE_1)
	v_cmp_ne_u16_e32 vcc_lo, 0, v56
	s_or_b32 s25, vcc_lo, s25
	s_and_not1_b32 exec_lo, exec_lo, s25
	s_cbranch_execnz .LBB471_53
; %bb.54:                               ;   in Loop: Header=BB471_50 Depth=1
	s_or_b32 exec_lo, exec_lo, s25
	s_branch .LBB471_49
.LBB471_55:                             ;   in Loop: Header=BB471_50 Depth=1
                                        ; implicit-def: $vgpr4
                                        ; implicit-def: $vgpr5
	s_cbranch_execz .LBB471_50
; %bb.56:
	s_and_saveexec_b32 s24, s6
	s_cbranch_execz .LBB471_58
; %bb.57:
	s_add_i32 s26, s15, 32
	s_mov_b32 s27, 0
	v_dual_mov_b32 v3, 2 :: v_dual_add_nc_u32 v2, v15, v1
	s_lshl_b64 s[26:27], s[26:27], 3
	v_mov_b32_e32 v4, 0
	v_add_nc_u32_e64 v5, 0x3400, 0
	s_add_u32 s26, s20, s26
	s_addc_u32 s27, s21, s27
	global_store_b64 v4, v[2:3], s[26:27]
	ds_store_2addr_b32 v5, v1, v15 offset1:2
.LBB471_58:
	s_or_b32 exec_lo, exec_lo, s24
	v_cmp_eq_u32_e32 vcc_lo, 0, v0
	s_and_b32 exec_lo, exec_lo, vcc_lo
	s_cbranch_execz .LBB471_60
; %bb.59:
	v_mov_b32_e32 v1, 0
	ds_store_b32 v1, v15 offset:28
.LBB471_60:
	s_or_b32 exec_lo, exec_lo, s7
	s_waitcnt lgkmcnt(0)
	v_cndmask_b32_e64 v2, v9, v8, s6
	v_cmp_ne_u32_e32 vcc_lo, 0, v0
	v_mov_b32_e32 v1, 0
	s_waitcnt_vscnt null, 0x0
	s_barrier
	buffer_gl0_inv
	v_cndmask_b32_e32 v2, 0, v2, vcc_lo
	ds_load_b32 v1, v1 offset:28
	v_add_nc_u32_e64 v11, 0x3400, 0
	s_waitcnt lgkmcnt(0)
	s_barrier
	buffer_gl0_inv
	ds_load_2addr_b32 v[16:17], v11 offset1:2
	v_add_nc_u32_e32 v1, v1, v2
	s_delay_alu instid0(VALU_DEP_1) | instskip(NEXT) | instid1(VALU_DEP_1)
	v_add_nc_u32_e32 v2, v1, v41
	v_add_nc_u32_e32 v3, v2, v42
	s_delay_alu instid0(VALU_DEP_1) | instskip(NEXT) | instid1(VALU_DEP_1)
	v_add_nc_u32_e32 v4, v3, v43
	;; [unrolled: 3-line block ×6, first 2 shown]
	v_add_nc_u32_e32 v13, v12, v36
	s_branch .LBB471_71
.LBB471_61:
                                        ; implicit-def: $vgpr17
                                        ; implicit-def: $vgpr1_vgpr2_vgpr3_vgpr4_vgpr5_vgpr6_vgpr7_vgpr8_vgpr9_vgpr10_vgpr11_vgpr12_vgpr13_vgpr14_vgpr15_vgpr16
	s_and_b32 vcc_lo, exec_lo, s6
	s_cbranch_vccz .LBB471_71
; %bb.62:
	s_delay_alu instid0(VALU_DEP_1) | instskip(NEXT) | instid1(VALU_DEP_1)
	v_mov_b32_dpp v1, v52 row_shr:1 row_mask:0xf bank_mask:0xf
	v_cndmask_b32_e64 v1, v1, 0, s5
	s_delay_alu instid0(VALU_DEP_1) | instskip(NEXT) | instid1(VALU_DEP_1)
	v_add_nc_u32_e32 v1, v1, v52
	v_mov_b32_dpp v2, v1 row_shr:2 row_mask:0xf bank_mask:0xf
	s_delay_alu instid0(VALU_DEP_1) | instskip(NEXT) | instid1(VALU_DEP_1)
	v_cndmask_b32_e64 v2, 0, v2, s4
	v_add_nc_u32_e32 v1, v1, v2
	s_delay_alu instid0(VALU_DEP_1) | instskip(NEXT) | instid1(VALU_DEP_1)
	v_mov_b32_dpp v2, v1 row_shr:4 row_mask:0xf bank_mask:0xf
	v_cndmask_b32_e64 v2, 0, v2, s3
	s_delay_alu instid0(VALU_DEP_1) | instskip(NEXT) | instid1(VALU_DEP_1)
	v_add_nc_u32_e32 v1, v1, v2
	v_mov_b32_dpp v2, v1 row_shr:8 row_mask:0xf bank_mask:0xf
	s_delay_alu instid0(VALU_DEP_1) | instskip(NEXT) | instid1(VALU_DEP_1)
	v_cndmask_b32_e64 v2, 0, v2, s2
	v_add_nc_u32_e32 v1, v1, v2
	ds_swizzle_b32 v2, v1 offset:swizzle(BROADCAST,32,15)
	s_waitcnt lgkmcnt(0)
	v_cndmask_b32_e64 v2, v2, 0, s1
	s_delay_alu instid0(VALU_DEP_1)
	v_add_nc_u32_e32 v1, v1, v2
	s_and_saveexec_b32 s1, s0
	s_cbranch_execz .LBB471_64
; %bb.63:
	v_lshlrev_b32_e32 v2, 2, v51
	ds_store_b32 v2, v1
.LBB471_64:
	s_or_b32 exec_lo, exec_lo, s1
	s_delay_alu instid0(SALU_CYCLE_1)
	s_mov_b32 s0, exec_lo
	s_waitcnt lgkmcnt(0)
	s_barrier
	buffer_gl0_inv
	v_cmpx_gt_u32_e32 8, v0
	s_cbranch_execz .LBB471_66
; %bb.65:
	ds_load_b32 v2, v30
	s_waitcnt lgkmcnt(0)
	v_mov_b32_dpp v4, v2 row_shr:1 row_mask:0xf bank_mask:0xf
	v_and_b32_e32 v3, 7, v50
	s_delay_alu instid0(VALU_DEP_1) | instskip(NEXT) | instid1(VALU_DEP_3)
	v_cmp_ne_u32_e32 vcc_lo, 0, v3
	v_cndmask_b32_e32 v4, 0, v4, vcc_lo
	v_cmp_lt_u32_e32 vcc_lo, 1, v3
	s_delay_alu instid0(VALU_DEP_2) | instskip(NEXT) | instid1(VALU_DEP_1)
	v_add_nc_u32_e32 v2, v4, v2
	v_mov_b32_dpp v4, v2 row_shr:2 row_mask:0xf bank_mask:0xf
	s_delay_alu instid0(VALU_DEP_1) | instskip(SKIP_1) | instid1(VALU_DEP_2)
	v_cndmask_b32_e32 v4, 0, v4, vcc_lo
	v_cmp_lt_u32_e32 vcc_lo, 3, v3
	v_add_nc_u32_e32 v2, v2, v4
	s_delay_alu instid0(VALU_DEP_1) | instskip(NEXT) | instid1(VALU_DEP_1)
	v_mov_b32_dpp v4, v2 row_shr:4 row_mask:0xf bank_mask:0xf
	v_cndmask_b32_e32 v3, 0, v4, vcc_lo
	s_delay_alu instid0(VALU_DEP_1)
	v_add_nc_u32_e32 v2, v2, v3
	ds_store_b32 v30, v2
.LBB471_66:
	s_or_b32 exec_lo, exec_lo, s0
	v_dual_mov_b32 v3, 0 :: v_dual_mov_b32 v2, 0
	s_mov_b32 s0, exec_lo
	s_waitcnt lgkmcnt(0)
	s_barrier
	buffer_gl0_inv
	v_cmpx_lt_u32_e32 31, v0
	s_cbranch_execz .LBB471_68
; %bb.67:
	v_lshl_add_u32 v2, v51, 2, -4
	ds_load_b32 v2, v2
.LBB471_68:
	s_or_b32 exec_lo, exec_lo, s0
	v_add_nc_u32_e32 v4, -1, v50
	ds_load_b32 v16, v3 offset:28
	s_waitcnt lgkmcnt(1)
	v_add_nc_u32_e32 v1, v2, v1
	v_cmp_gt_i32_e32 vcc_lo, 0, v4
	v_cndmask_b32_e32 v4, v4, v50, vcc_lo
	v_cmp_eq_u32_e32 vcc_lo, 0, v0
	s_delay_alu instid0(VALU_DEP_2)
	v_lshlrev_b32_e32 v4, 2, v4
	ds_bpermute_b32 v1, v4, v1
	s_and_saveexec_b32 s0, vcc_lo
	s_cbranch_execz .LBB471_70
; %bb.69:
	v_mov_b32_e32 v3, 0
	v_mov_b32_e32 v17, 2
	s_waitcnt lgkmcnt(1)
	global_store_b64 v3, v[16:17], s[20:21] offset:256
.LBB471_70:
	s_or_b32 exec_lo, exec_lo, s0
	v_cmp_eq_u32_e64 s0, 0, v50
	s_waitcnt lgkmcnt(0)
	s_waitcnt_vscnt null, 0x0
	s_barrier
	buffer_gl0_inv
	v_mov_b32_e32 v17, 0
	v_cndmask_b32_e64 v1, v1, v2, s0
	s_delay_alu instid0(VALU_DEP_1) | instskip(NEXT) | instid1(VALU_DEP_1)
	v_cndmask_b32_e64 v1, v1, 0, vcc_lo
	v_add_nc_u32_e32 v2, v1, v41
	s_delay_alu instid0(VALU_DEP_1) | instskip(NEXT) | instid1(VALU_DEP_1)
	v_add_nc_u32_e32 v3, v2, v42
	v_add_nc_u32_e32 v4, v3, v43
	s_delay_alu instid0(VALU_DEP_1) | instskip(NEXT) | instid1(VALU_DEP_1)
	v_add_nc_u32_e32 v5, v4, v40
	;; [unrolled: 3-line block ×5, first 2 shown]
	v_add_nc_u32_e32 v12, v11, v49
	s_delay_alu instid0(VALU_DEP_1)
	v_add_nc_u32_e32 v13, v12, v36
.LBB471_71:
	v_lshrrev_b32_e32 v44, 8, v39
	v_lshrrev_b32_e32 v43, 16, v39
	s_waitcnt lgkmcnt(0)
	v_sub_nc_u32_e32 v1, v1, v17
	v_and_b32_e32 v39, 1, v39
	v_sub_nc_u32_e32 v3, v3, v17
	v_add_nc_u32_e32 v33, v16, v33
	v_sub_nc_u32_e32 v2, v2, v17
	v_sub_nc_u32_e32 v4, v4, v17
	v_cmp_eq_u32_e32 vcc_lo, 1, v39
	v_and_b32_e32 v39, 1, v43
	v_sub_nc_u32_e32 v45, v33, v1
	v_and_b32_e32 v44, 1, v44
	v_sub_nc_u32_e32 v43, v33, v2
	v_lshrrev_b32_e32 v42, 8, v37
	v_lshrrev_b32_e32 v41, 16, v37
	v_cndmask_b32_e32 v1, v45, v1, vcc_lo
	v_sub_nc_u32_e32 v45, v33, v3
	v_add_nc_u32_e32 v43, 1, v43
	v_cmp_eq_u32_e32 vcc_lo, 1, v44
	v_and_b32_e32 v40, 1, v40
	v_lshlrev_b32_e32 v1, 2, v1
	v_add_nc_u32_e32 v45, 2, v45
	v_lshrrev_b32_e32 v15, 8, v35
	v_lshrrev_b32_e32 v14, 16, v35
	ds_store_b32 v1, v28
	v_cndmask_b32_e32 v1, v43, v2, vcc_lo
	v_cmp_eq_u32_e32 vcc_lo, 1, v39
	v_or_b32_e32 v28, 0x500, v0
	s_delay_alu instid0(VALU_DEP_3)
	v_dual_cndmask_b32 v2, v45, v3 :: v_dual_lshlrev_b32 v1, 2, v1
	v_sub_nc_u32_e32 v46, v33, v4
	v_cmp_eq_u32_e32 vcc_lo, 1, v40
	ds_store_b32 v1, v29
	v_lshlrev_b32_e32 v2, 2, v2
	v_add_nc_u32_e32 v46, 3, v46
	v_or_b32_e32 v29, 0x400, v0
	s_delay_alu instid0(VALU_DEP_2) | instskip(SKIP_2) | instid1(VALU_DEP_3)
	v_cndmask_b32_e32 v3, v46, v4, vcc_lo
	v_sub_nc_u32_e32 v4, v5, v17
	v_sub_nc_u32_e32 v5, v6, v17
	v_lshlrev_b32_e32 v3, 2, v3
	s_delay_alu instid0(VALU_DEP_3) | instskip(NEXT) | instid1(VALU_DEP_3)
	v_sub_nc_u32_e32 v1, v33, v4
	v_sub_nc_u32_e32 v6, v33, v5
	ds_store_b32 v2, v26
	ds_store_b32 v3, v27
	v_and_b32_e32 v2, 1, v37
	v_add_nc_u32_e32 v1, 4, v1
	v_add_nc_u32_e32 v3, 5, v6
	v_sub_nc_u32_e32 v6, v7, v17
	v_and_b32_e32 v7, 1, v42
	v_cmp_eq_u32_e32 vcc_lo, 1, v2
	v_sub_nc_u32_e32 v2, v8, v17
	v_and_b32_e32 v8, 1, v38
	v_or_b32_e32 v27, 0x600, v0
	v_or_b32_e32 v26, 0x700, v0
	v_cndmask_b32_e32 v1, v1, v4, vcc_lo
	v_sub_nc_u32_e32 v4, v33, v6
	v_cmp_eq_u32_e32 vcc_lo, 1, v7
	v_and_b32_e32 v7, 1, v41
	s_delay_alu instid0(VALU_DEP_4) | instskip(NEXT) | instid1(VALU_DEP_4)
	v_lshlrev_b32_e32 v1, 2, v1
	v_dual_cndmask_b32 v3, v3, v5 :: v_dual_add_nc_u32 v4, 6, v4
	v_sub_nc_u32_e32 v5, v33, v2
	s_delay_alu instid0(VALU_DEP_4) | instskip(SKIP_1) | instid1(VALU_DEP_4)
	v_cmp_eq_u32_e32 vcc_lo, 1, v7
	v_sub_nc_u32_e32 v7, v13, v17
	v_lshlrev_b32_e32 v3, 2, v3
	s_delay_alu instid0(VALU_DEP_4)
	v_dual_cndmask_b32 v4, v4, v6 :: v_dual_add_nc_u32 v5, 7, v5
	v_cmp_eq_u32_e32 vcc_lo, 1, v8
	v_sub_nc_u32_e32 v6, v9, v17
	ds_store_b32 v1, v24
	ds_store_b32 v3, v25
	v_or_b32_e32 v25, 0x800, v0
	v_dual_cndmask_b32 v2, v5, v2 :: v_dual_lshlrev_b32 v3, 2, v4
	v_and_b32_e32 v5, 1, v35
	v_sub_nc_u32_e32 v1, v33, v6
	v_sub_nc_u32_e32 v4, v10, v17
	v_and_b32_e32 v10, 1, v36
	v_or_b32_e32 v24, 0x900, v0
	v_cmp_eq_u32_e32 vcc_lo, 1, v5
	v_sub_nc_u32_e32 v5, v12, v17
	v_add_nc_u32_e32 v1, 8, v1
	s_delay_alu instid0(VALU_DEP_2) | instskip(NEXT) | instid1(VALU_DEP_2)
	v_sub_nc_u32_e32 v9, v33, v5
	v_dual_cndmask_b32 v1, v1, v6 :: v_dual_and_b32 v6, 1, v15
	v_add_co_u32 v15, s0, s18, v17
	s_delay_alu instid0(VALU_DEP_3)
	v_add_nc_u32_e32 v9, 11, v9
	v_lshlrev_b32_e32 v2, 2, v2
	ds_store_b32 v3, v22
	ds_store_b32 v2, v23
	v_sub_nc_u32_e32 v3, v11, v17
	v_sub_nc_u32_e32 v2, v33, v4
	v_cmp_eq_u32_e32 vcc_lo, 1, v6
	v_and_b32_e32 v11, 1, v34
	v_lshlrev_b32_e32 v1, 2, v1
	v_sub_nc_u32_e32 v8, v33, v3
	v_add_nc_u32_e32 v2, 9, v2
	v_add_co_ci_u32_e64 v17, null, s19, 0, s0
	s_add_u32 s0, s16, s23
	s_delay_alu instid0(VALU_DEP_3)
	v_add_nc_u32_e32 v6, 10, v8
	v_and_b32_e32 v8, 1, v14
	v_cndmask_b32_e32 v2, v2, v4, vcc_lo
	v_sub_nc_u32_e32 v4, v33, v7
	s_addc_u32 s1, s17, 0
	s_sub_u32 s0, s12, s0
	v_cmp_eq_u32_e32 vcc_lo, 1, v8
	v_lshlrev_b32_e32 v2, 2, v2
	v_add_nc_u32_e32 v4, 12, v4
	s_subb_u32 s1, s13, s1
	v_add_co_u32 v13, s0, s0, v16
	v_cndmask_b32_e32 v3, v6, v3, vcc_lo
	v_cmp_eq_u32_e32 vcc_lo, 1, v10
	v_add_co_ci_u32_e64 v14, null, s1, 0, s0
	v_or_b32_e32 v34, 0x100, v0
	s_delay_alu instid0(VALU_DEP_4)
	v_lshlrev_b32_e32 v3, 2, v3
	v_cndmask_b32_e32 v5, v9, v5, vcc_lo
	v_cmp_eq_u32_e32 vcc_lo, 1, v11
	v_or_b32_e32 v33, 0x200, v0
	v_or_b32_e32 v23, 0xa00, v0
	;; [unrolled: 1-line block ×3, first 2 shown]
	v_dual_cndmask_b32 v4, v4, v7 :: v_dual_lshlrev_b32 v5, 2, v5
	v_cmp_ne_u32_e32 vcc_lo, 1, v31
	s_delay_alu instid0(VALU_DEP_2)
	v_lshlrev_b32_e32 v4, 2, v4
	ds_store_b32 v1, v20
	ds_store_b32 v2, v21
	;; [unrolled: 1-line block ×5, first 2 shown]
	s_waitcnt lgkmcnt(0)
	s_barrier
	buffer_gl0_inv
	ds_load_2addr_stride64_b32 v[11:12], v30 offset1:4
	ds_load_2addr_stride64_b32 v[9:10], v30 offset0:8 offset1:12
	ds_load_2addr_stride64_b32 v[7:8], v30 offset0:16 offset1:20
	;; [unrolled: 1-line block ×5, first 2 shown]
	ds_load_b32 v18, v30 offset:12288
	v_add_co_u32 v20, s0, v13, v15
	v_or_b32_e32 v32, 0x300, v0
	v_or_b32_e32 v19, 0xc00, v0
	v_add_co_ci_u32_e64 v21, s0, v14, v17, s0
	s_mov_b32 s0, 0
	s_cbranch_vccnz .LBB471_125
; %bb.72:
	s_mov_b32 s0, exec_lo
                                        ; implicit-def: $vgpr13_vgpr14
	v_cmpx_ge_u32_e64 v0, v16
	s_xor_b32 s0, exec_lo, s0
; %bb.73:
	v_not_b32_e32 v13, v0
	s_delay_alu instid0(VALU_DEP_1) | instskip(SKIP_1) | instid1(VALU_DEP_2)
	v_ashrrev_i32_e32 v14, 31, v13
	v_add_co_u32 v13, vcc_lo, v20, v13
	v_add_co_ci_u32_e32 v14, vcc_lo, v21, v14, vcc_lo
; %bb.74:
	s_and_not1_saveexec_b32 s0, s0
; %bb.75:
	v_add_co_u32 v13, vcc_lo, v15, v0
	v_add_co_ci_u32_e32 v14, vcc_lo, 0, v17, vcc_lo
; %bb.76:
	s_or_b32 exec_lo, exec_lo, s0
	s_delay_alu instid0(VALU_DEP_1) | instskip(SKIP_1) | instid1(VALU_DEP_1)
	v_lshlrev_b64 v[13:14], 2, v[13:14]
	s_mov_b32 s0, exec_lo
	v_add_co_u32 v13, vcc_lo, s10, v13
	s_delay_alu instid0(VALU_DEP_2)
	v_add_co_ci_u32_e32 v14, vcc_lo, s11, v14, vcc_lo
	s_waitcnt lgkmcnt(6)
	global_store_b32 v[13:14], v11, off
                                        ; implicit-def: $vgpr13_vgpr14
	v_cmpx_ge_u32_e64 v34, v16
	s_xor_b32 s0, exec_lo, s0
; %bb.77:
	v_xor_b32_e32 v13, 0xfffffeff, v0
	s_delay_alu instid0(VALU_DEP_1) | instskip(SKIP_1) | instid1(VALU_DEP_2)
	v_ashrrev_i32_e32 v14, 31, v13
	v_add_co_u32 v13, vcc_lo, v20, v13
	v_add_co_ci_u32_e32 v14, vcc_lo, v21, v14, vcc_lo
; %bb.78:
	s_and_not1_saveexec_b32 s0, s0
; %bb.79:
	v_add_co_u32 v13, vcc_lo, v15, v34
	v_add_co_ci_u32_e32 v14, vcc_lo, 0, v17, vcc_lo
; %bb.80:
	s_or_b32 exec_lo, exec_lo, s0
	s_delay_alu instid0(VALU_DEP_1) | instskip(SKIP_1) | instid1(VALU_DEP_1)
	v_lshlrev_b64 v[13:14], 2, v[13:14]
	s_mov_b32 s0, exec_lo
	v_add_co_u32 v13, vcc_lo, s10, v13
	s_delay_alu instid0(VALU_DEP_2)
	v_add_co_ci_u32_e32 v14, vcc_lo, s11, v14, vcc_lo
	global_store_b32 v[13:14], v12, off
                                        ; implicit-def: $vgpr13_vgpr14
	v_cmpx_ge_u32_e64 v33, v16
	s_xor_b32 s0, exec_lo, s0
; %bb.81:
	v_xor_b32_e32 v13, 0xfffffdff, v0
	s_delay_alu instid0(VALU_DEP_1) | instskip(SKIP_1) | instid1(VALU_DEP_2)
	v_ashrrev_i32_e32 v14, 31, v13
	v_add_co_u32 v13, vcc_lo, v20, v13
	v_add_co_ci_u32_e32 v14, vcc_lo, v21, v14, vcc_lo
; %bb.82:
	s_and_not1_saveexec_b32 s0, s0
; %bb.83:
	v_add_co_u32 v13, vcc_lo, v15, v33
	v_add_co_ci_u32_e32 v14, vcc_lo, 0, v17, vcc_lo
; %bb.84:
	s_or_b32 exec_lo, exec_lo, s0
	s_delay_alu instid0(VALU_DEP_1) | instskip(SKIP_1) | instid1(VALU_DEP_1)
	v_lshlrev_b64 v[13:14], 2, v[13:14]
	s_mov_b32 s0, exec_lo
	v_add_co_u32 v13, vcc_lo, s10, v13
	s_delay_alu instid0(VALU_DEP_2)
	v_add_co_ci_u32_e32 v14, vcc_lo, s11, v14, vcc_lo
	s_waitcnt lgkmcnt(5)
	global_store_b32 v[13:14], v9, off
                                        ; implicit-def: $vgpr13_vgpr14
	v_cmpx_ge_u32_e64 v32, v16
	s_xor_b32 s0, exec_lo, s0
; %bb.85:
	v_xor_b32_e32 v13, 0xfffffcff, v0
	s_delay_alu instid0(VALU_DEP_1) | instskip(SKIP_1) | instid1(VALU_DEP_2)
	v_ashrrev_i32_e32 v14, 31, v13
	v_add_co_u32 v13, vcc_lo, v20, v13
	v_add_co_ci_u32_e32 v14, vcc_lo, v21, v14, vcc_lo
; %bb.86:
	s_and_not1_saveexec_b32 s0, s0
; %bb.87:
	v_add_co_u32 v13, vcc_lo, v15, v32
	v_add_co_ci_u32_e32 v14, vcc_lo, 0, v17, vcc_lo
; %bb.88:
	s_or_b32 exec_lo, exec_lo, s0
	s_delay_alu instid0(VALU_DEP_1) | instskip(SKIP_1) | instid1(VALU_DEP_1)
	v_lshlrev_b64 v[13:14], 2, v[13:14]
	s_mov_b32 s0, exec_lo
	v_add_co_u32 v13, vcc_lo, s10, v13
	s_delay_alu instid0(VALU_DEP_2)
	v_add_co_ci_u32_e32 v14, vcc_lo, s11, v14, vcc_lo
	global_store_b32 v[13:14], v10, off
                                        ; implicit-def: $vgpr13_vgpr14
	v_cmpx_ge_u32_e64 v29, v16
	s_xor_b32 s0, exec_lo, s0
; %bb.89:
	v_xor_b32_e32 v13, 0xfffffbff, v0
	;; [unrolled: 47-line block ×6, first 2 shown]
	s_delay_alu instid0(VALU_DEP_1) | instskip(SKIP_1) | instid1(VALU_DEP_2)
	v_ashrrev_i32_e32 v14, 31, v13
	v_add_co_u32 v13, vcc_lo, v20, v13
	v_add_co_ci_u32_e32 v14, vcc_lo, v21, v14, vcc_lo
; %bb.122:
	s_and_not1_saveexec_b32 s0, s0
; %bb.123:
	v_add_co_u32 v13, vcc_lo, v15, v19
	v_add_co_ci_u32_e32 v14, vcc_lo, 0, v17, vcc_lo
; %bb.124:
	s_or_b32 exec_lo, exec_lo, s0
	s_mov_b32 s0, -1
	s_branch .LBB471_205
.LBB471_125:
                                        ; implicit-def: $vgpr13_vgpr14
	s_cbranch_execz .LBB471_205
; %bb.126:
	s_mov_b32 s1, exec_lo
	v_cmpx_gt_u32_e64 s22, v0
	s_cbranch_execz .LBB471_162
; %bb.127:
	s_mov_b32 s2, exec_lo
                                        ; implicit-def: $vgpr13_vgpr14
	v_cmpx_ge_u32_e64 v0, v16
	s_xor_b32 s2, exec_lo, s2
; %bb.128:
	v_not_b32_e32 v13, v0
	s_delay_alu instid0(VALU_DEP_1) | instskip(SKIP_1) | instid1(VALU_DEP_2)
	v_ashrrev_i32_e32 v14, 31, v13
	v_add_co_u32 v13, vcc_lo, v20, v13
	v_add_co_ci_u32_e32 v14, vcc_lo, v21, v14, vcc_lo
; %bb.129:
	s_and_not1_saveexec_b32 s2, s2
; %bb.130:
	v_add_co_u32 v13, vcc_lo, v15, v0
	v_add_co_ci_u32_e32 v14, vcc_lo, 0, v17, vcc_lo
; %bb.131:
	s_or_b32 exec_lo, exec_lo, s2
	s_delay_alu instid0(VALU_DEP_1) | instskip(NEXT) | instid1(VALU_DEP_1)
	v_lshlrev_b64 v[13:14], 2, v[13:14]
	v_add_co_u32 v13, vcc_lo, s10, v13
	s_delay_alu instid0(VALU_DEP_2) | instskip(SKIP_3) | instid1(SALU_CYCLE_1)
	v_add_co_ci_u32_e32 v14, vcc_lo, s11, v14, vcc_lo
	s_waitcnt lgkmcnt(6)
	global_store_b32 v[13:14], v11, off
	s_or_b32 exec_lo, exec_lo, s1
	s_mov_b32 s1, exec_lo
	v_cmpx_gt_u32_e64 s22, v34
	s_cbranch_execnz .LBB471_163
.LBB471_132:
	s_or_b32 exec_lo, exec_lo, s1
	s_delay_alu instid0(SALU_CYCLE_1)
	s_mov_b32 s1, exec_lo
	v_cmpx_gt_u32_e64 s22, v33
	s_cbranch_execz .LBB471_168
.LBB471_133:
	s_mov_b32 s2, exec_lo
                                        ; implicit-def: $vgpr11_vgpr12
	v_cmpx_ge_u32_e64 v33, v16
	s_xor_b32 s2, exec_lo, s2
	s_cbranch_execz .LBB471_135
; %bb.134:
	s_waitcnt lgkmcnt(6)
	v_xor_b32_e32 v11, 0xfffffdff, v0
                                        ; implicit-def: $vgpr33
	s_delay_alu instid0(VALU_DEP_1) | instskip(SKIP_1) | instid1(VALU_DEP_2)
	v_ashrrev_i32_e32 v12, 31, v11
	v_add_co_u32 v11, vcc_lo, v20, v11
	v_add_co_ci_u32_e32 v12, vcc_lo, v21, v12, vcc_lo
.LBB471_135:
	s_and_not1_saveexec_b32 s2, s2
	s_cbranch_execz .LBB471_137
; %bb.136:
	s_waitcnt lgkmcnt(6)
	v_add_co_u32 v11, vcc_lo, v15, v33
	v_add_co_ci_u32_e32 v12, vcc_lo, 0, v17, vcc_lo
.LBB471_137:
	s_or_b32 exec_lo, exec_lo, s2
	s_waitcnt lgkmcnt(6)
	s_delay_alu instid0(VALU_DEP_1) | instskip(NEXT) | instid1(VALU_DEP_1)
	v_lshlrev_b64 v[11:12], 2, v[11:12]
	v_add_co_u32 v11, vcc_lo, s10, v11
	s_delay_alu instid0(VALU_DEP_2) | instskip(SKIP_3) | instid1(SALU_CYCLE_1)
	v_add_co_ci_u32_e32 v12, vcc_lo, s11, v12, vcc_lo
	s_waitcnt lgkmcnt(5)
	global_store_b32 v[11:12], v9, off
	s_or_b32 exec_lo, exec_lo, s1
	s_mov_b32 s1, exec_lo
	v_cmpx_gt_u32_e64 s22, v32
	s_cbranch_execnz .LBB471_169
.LBB471_138:
	s_or_b32 exec_lo, exec_lo, s1
	s_delay_alu instid0(SALU_CYCLE_1)
	s_mov_b32 s1, exec_lo
	v_cmpx_gt_u32_e64 s22, v29
	s_cbranch_execz .LBB471_174
.LBB471_139:
	s_mov_b32 s2, exec_lo
                                        ; implicit-def: $vgpr9_vgpr10
	v_cmpx_ge_u32_e64 v29, v16
	s_xor_b32 s2, exec_lo, s2
	s_cbranch_execz .LBB471_141
; %bb.140:
	s_waitcnt lgkmcnt(5)
	v_xor_b32_e32 v9, 0xfffffbff, v0
                                        ; implicit-def: $vgpr29
	s_delay_alu instid0(VALU_DEP_1) | instskip(SKIP_1) | instid1(VALU_DEP_2)
	v_ashrrev_i32_e32 v10, 31, v9
	v_add_co_u32 v9, vcc_lo, v20, v9
	v_add_co_ci_u32_e32 v10, vcc_lo, v21, v10, vcc_lo
.LBB471_141:
	s_and_not1_saveexec_b32 s2, s2
	s_cbranch_execz .LBB471_143
; %bb.142:
	s_waitcnt lgkmcnt(5)
	v_add_co_u32 v9, vcc_lo, v15, v29
	v_add_co_ci_u32_e32 v10, vcc_lo, 0, v17, vcc_lo
.LBB471_143:
	s_or_b32 exec_lo, exec_lo, s2
	s_waitcnt lgkmcnt(5)
	s_delay_alu instid0(VALU_DEP_1) | instskip(NEXT) | instid1(VALU_DEP_1)
	v_lshlrev_b64 v[9:10], 2, v[9:10]
	v_add_co_u32 v9, vcc_lo, s10, v9
	s_delay_alu instid0(VALU_DEP_2) | instskip(SKIP_3) | instid1(SALU_CYCLE_1)
	v_add_co_ci_u32_e32 v10, vcc_lo, s11, v10, vcc_lo
	s_waitcnt lgkmcnt(4)
	global_store_b32 v[9:10], v7, off
	s_or_b32 exec_lo, exec_lo, s1
	s_mov_b32 s1, exec_lo
	v_cmpx_gt_u32_e64 s22, v28
	s_cbranch_execnz .LBB471_175
.LBB471_144:
	s_or_b32 exec_lo, exec_lo, s1
	s_delay_alu instid0(SALU_CYCLE_1)
	s_mov_b32 s1, exec_lo
	v_cmpx_gt_u32_e64 s22, v27
	s_cbranch_execz .LBB471_180
.LBB471_145:
	s_mov_b32 s2, exec_lo
                                        ; implicit-def: $vgpr7_vgpr8
	v_cmpx_ge_u32_e64 v27, v16
	s_xor_b32 s2, exec_lo, s2
	s_cbranch_execz .LBB471_147
; %bb.146:
	s_waitcnt lgkmcnt(4)
	v_xor_b32_e32 v7, 0xfffff9ff, v0
                                        ; implicit-def: $vgpr27
	s_delay_alu instid0(VALU_DEP_1) | instskip(SKIP_1) | instid1(VALU_DEP_2)
	v_ashrrev_i32_e32 v8, 31, v7
	v_add_co_u32 v7, vcc_lo, v20, v7
	v_add_co_ci_u32_e32 v8, vcc_lo, v21, v8, vcc_lo
.LBB471_147:
	s_and_not1_saveexec_b32 s2, s2
	s_cbranch_execz .LBB471_149
; %bb.148:
	s_waitcnt lgkmcnt(4)
	v_add_co_u32 v7, vcc_lo, v15, v27
	v_add_co_ci_u32_e32 v8, vcc_lo, 0, v17, vcc_lo
.LBB471_149:
	s_or_b32 exec_lo, exec_lo, s2
	s_waitcnt lgkmcnt(4)
	s_delay_alu instid0(VALU_DEP_1) | instskip(NEXT) | instid1(VALU_DEP_1)
	v_lshlrev_b64 v[7:8], 2, v[7:8]
	v_add_co_u32 v7, vcc_lo, s10, v7
	s_delay_alu instid0(VALU_DEP_2) | instskip(SKIP_3) | instid1(SALU_CYCLE_1)
	v_add_co_ci_u32_e32 v8, vcc_lo, s11, v8, vcc_lo
	s_waitcnt lgkmcnt(3)
	global_store_b32 v[7:8], v5, off
	s_or_b32 exec_lo, exec_lo, s1
	s_mov_b32 s1, exec_lo
	v_cmpx_gt_u32_e64 s22, v26
	s_cbranch_execnz .LBB471_181
.LBB471_150:
	s_or_b32 exec_lo, exec_lo, s1
	s_delay_alu instid0(SALU_CYCLE_1)
	s_mov_b32 s1, exec_lo
	v_cmpx_gt_u32_e64 s22, v25
	s_cbranch_execz .LBB471_186
.LBB471_151:
	s_mov_b32 s2, exec_lo
                                        ; implicit-def: $vgpr5_vgpr6
	v_cmpx_ge_u32_e64 v25, v16
	s_xor_b32 s2, exec_lo, s2
	s_cbranch_execz .LBB471_153
; %bb.152:
	s_waitcnt lgkmcnt(3)
	v_xor_b32_e32 v5, 0xfffff7ff, v0
                                        ; implicit-def: $vgpr25
	s_delay_alu instid0(VALU_DEP_1) | instskip(SKIP_1) | instid1(VALU_DEP_2)
	v_ashrrev_i32_e32 v6, 31, v5
	v_add_co_u32 v5, vcc_lo, v20, v5
	v_add_co_ci_u32_e32 v6, vcc_lo, v21, v6, vcc_lo
.LBB471_153:
	s_and_not1_saveexec_b32 s2, s2
	s_cbranch_execz .LBB471_155
; %bb.154:
	s_waitcnt lgkmcnt(3)
	v_add_co_u32 v5, vcc_lo, v15, v25
	v_add_co_ci_u32_e32 v6, vcc_lo, 0, v17, vcc_lo
.LBB471_155:
	s_or_b32 exec_lo, exec_lo, s2
	s_waitcnt lgkmcnt(3)
	s_delay_alu instid0(VALU_DEP_1) | instskip(NEXT) | instid1(VALU_DEP_1)
	v_lshlrev_b64 v[5:6], 2, v[5:6]
	v_add_co_u32 v5, vcc_lo, s10, v5
	s_delay_alu instid0(VALU_DEP_2) | instskip(SKIP_3) | instid1(SALU_CYCLE_1)
	v_add_co_ci_u32_e32 v6, vcc_lo, s11, v6, vcc_lo
	s_waitcnt lgkmcnt(2)
	global_store_b32 v[5:6], v3, off
	s_or_b32 exec_lo, exec_lo, s1
	s_mov_b32 s1, exec_lo
	v_cmpx_gt_u32_e64 s22, v24
	s_cbranch_execnz .LBB471_187
.LBB471_156:
	s_or_b32 exec_lo, exec_lo, s1
	s_delay_alu instid0(SALU_CYCLE_1)
	s_mov_b32 s1, exec_lo
	v_cmpx_gt_u32_e64 s22, v23
	s_cbranch_execz .LBB471_192
.LBB471_157:
	s_mov_b32 s2, exec_lo
                                        ; implicit-def: $vgpr3_vgpr4
	v_cmpx_ge_u32_e64 v23, v16
	s_xor_b32 s2, exec_lo, s2
	s_cbranch_execz .LBB471_159
; %bb.158:
	s_waitcnt lgkmcnt(2)
	v_xor_b32_e32 v3, 0xfffff5ff, v0
                                        ; implicit-def: $vgpr23
	s_delay_alu instid0(VALU_DEP_1) | instskip(SKIP_1) | instid1(VALU_DEP_2)
	v_ashrrev_i32_e32 v4, 31, v3
	v_add_co_u32 v3, vcc_lo, v20, v3
	v_add_co_ci_u32_e32 v4, vcc_lo, v21, v4, vcc_lo
.LBB471_159:
	s_and_not1_saveexec_b32 s2, s2
	s_cbranch_execz .LBB471_161
; %bb.160:
	s_waitcnt lgkmcnt(2)
	v_add_co_u32 v3, vcc_lo, v15, v23
	v_add_co_ci_u32_e32 v4, vcc_lo, 0, v17, vcc_lo
.LBB471_161:
	s_or_b32 exec_lo, exec_lo, s2
	s_waitcnt lgkmcnt(2)
	s_delay_alu instid0(VALU_DEP_1) | instskip(NEXT) | instid1(VALU_DEP_1)
	v_lshlrev_b64 v[3:4], 2, v[3:4]
	v_add_co_u32 v3, vcc_lo, s10, v3
	s_delay_alu instid0(VALU_DEP_2) | instskip(SKIP_3) | instid1(SALU_CYCLE_1)
	v_add_co_ci_u32_e32 v4, vcc_lo, s11, v4, vcc_lo
	s_waitcnt lgkmcnt(1)
	global_store_b32 v[3:4], v1, off
	s_or_b32 exec_lo, exec_lo, s1
	s_mov_b32 s1, exec_lo
	v_cmpx_gt_u32_e64 s22, v22
	s_cbranch_execz .LBB471_198
	s_branch .LBB471_193
.LBB471_162:
	s_or_b32 exec_lo, exec_lo, s1
	s_delay_alu instid0(SALU_CYCLE_1)
	s_mov_b32 s1, exec_lo
	v_cmpx_gt_u32_e64 s22, v34
	s_cbranch_execz .LBB471_132
.LBB471_163:
	s_mov_b32 s2, exec_lo
                                        ; implicit-def: $vgpr13_vgpr14
	v_cmpx_ge_u32_e64 v34, v16
	s_xor_b32 s2, exec_lo, s2
	s_cbranch_execz .LBB471_165
; %bb.164:
	s_waitcnt lgkmcnt(6)
	v_xor_b32_e32 v11, 0xfffffeff, v0
                                        ; implicit-def: $vgpr34
	s_delay_alu instid0(VALU_DEP_1) | instskip(SKIP_1) | instid1(VALU_DEP_2)
	v_ashrrev_i32_e32 v14, 31, v11
	v_add_co_u32 v13, vcc_lo, v20, v11
	v_add_co_ci_u32_e32 v14, vcc_lo, v21, v14, vcc_lo
.LBB471_165:
	s_and_not1_saveexec_b32 s2, s2
; %bb.166:
	v_add_co_u32 v13, vcc_lo, v15, v34
	v_add_co_ci_u32_e32 v14, vcc_lo, 0, v17, vcc_lo
; %bb.167:
	s_or_b32 exec_lo, exec_lo, s2
	s_delay_alu instid0(VALU_DEP_1) | instskip(NEXT) | instid1(VALU_DEP_1)
	v_lshlrev_b64 v[13:14], 2, v[13:14]
	v_add_co_u32 v13, vcc_lo, s10, v13
	s_delay_alu instid0(VALU_DEP_2) | instskip(SKIP_3) | instid1(SALU_CYCLE_1)
	v_add_co_ci_u32_e32 v14, vcc_lo, s11, v14, vcc_lo
	s_waitcnt lgkmcnt(6)
	global_store_b32 v[13:14], v12, off
	s_or_b32 exec_lo, exec_lo, s1
	s_mov_b32 s1, exec_lo
	v_cmpx_gt_u32_e64 s22, v33
	s_cbranch_execnz .LBB471_133
.LBB471_168:
	s_or_b32 exec_lo, exec_lo, s1
	s_delay_alu instid0(SALU_CYCLE_1)
	s_mov_b32 s1, exec_lo
	v_cmpx_gt_u32_e64 s22, v32
	s_cbranch_execz .LBB471_138
.LBB471_169:
	s_mov_b32 s2, exec_lo
                                        ; implicit-def: $vgpr11_vgpr12
	v_cmpx_ge_u32_e64 v32, v16
	s_xor_b32 s2, exec_lo, s2
	s_cbranch_execz .LBB471_171
; %bb.170:
	s_waitcnt lgkmcnt(5)
	v_xor_b32_e32 v9, 0xfffffcff, v0
                                        ; implicit-def: $vgpr32
	s_delay_alu instid0(VALU_DEP_1) | instskip(SKIP_1) | instid1(VALU_DEP_2)
	v_ashrrev_i32_e32 v12, 31, v9
	v_add_co_u32 v11, vcc_lo, v20, v9
	v_add_co_ci_u32_e32 v12, vcc_lo, v21, v12, vcc_lo
.LBB471_171:
	s_and_not1_saveexec_b32 s2, s2
	s_cbranch_execz .LBB471_173
; %bb.172:
	s_waitcnt lgkmcnt(6)
	v_add_co_u32 v11, vcc_lo, v15, v32
	v_add_co_ci_u32_e32 v12, vcc_lo, 0, v17, vcc_lo
.LBB471_173:
	s_or_b32 exec_lo, exec_lo, s2
	s_waitcnt lgkmcnt(6)
	s_delay_alu instid0(VALU_DEP_1) | instskip(NEXT) | instid1(VALU_DEP_1)
	v_lshlrev_b64 v[11:12], 2, v[11:12]
	v_add_co_u32 v11, vcc_lo, s10, v11
	s_delay_alu instid0(VALU_DEP_2) | instskip(SKIP_3) | instid1(SALU_CYCLE_1)
	v_add_co_ci_u32_e32 v12, vcc_lo, s11, v12, vcc_lo
	s_waitcnt lgkmcnt(5)
	global_store_b32 v[11:12], v10, off
	s_or_b32 exec_lo, exec_lo, s1
	s_mov_b32 s1, exec_lo
	v_cmpx_gt_u32_e64 s22, v29
	s_cbranch_execnz .LBB471_139
.LBB471_174:
	s_or_b32 exec_lo, exec_lo, s1
	s_delay_alu instid0(SALU_CYCLE_1)
	s_mov_b32 s1, exec_lo
	v_cmpx_gt_u32_e64 s22, v28
	s_cbranch_execz .LBB471_144
.LBB471_175:
	s_mov_b32 s2, exec_lo
                                        ; implicit-def: $vgpr9_vgpr10
	v_cmpx_ge_u32_e64 v28, v16
	s_xor_b32 s2, exec_lo, s2
	s_cbranch_execz .LBB471_177
; %bb.176:
	s_waitcnt lgkmcnt(4)
	v_xor_b32_e32 v7, 0xfffffaff, v0
                                        ; implicit-def: $vgpr28
	s_delay_alu instid0(VALU_DEP_1) | instskip(SKIP_1) | instid1(VALU_DEP_2)
	v_ashrrev_i32_e32 v10, 31, v7
	v_add_co_u32 v9, vcc_lo, v20, v7
	v_add_co_ci_u32_e32 v10, vcc_lo, v21, v10, vcc_lo
.LBB471_177:
	s_and_not1_saveexec_b32 s2, s2
	s_cbranch_execz .LBB471_179
; %bb.178:
	s_waitcnt lgkmcnt(5)
	v_add_co_u32 v9, vcc_lo, v15, v28
	v_add_co_ci_u32_e32 v10, vcc_lo, 0, v17, vcc_lo
.LBB471_179:
	s_or_b32 exec_lo, exec_lo, s2
	s_waitcnt lgkmcnt(5)
	s_delay_alu instid0(VALU_DEP_1) | instskip(NEXT) | instid1(VALU_DEP_1)
	v_lshlrev_b64 v[9:10], 2, v[9:10]
	v_add_co_u32 v9, vcc_lo, s10, v9
	s_delay_alu instid0(VALU_DEP_2) | instskip(SKIP_3) | instid1(SALU_CYCLE_1)
	v_add_co_ci_u32_e32 v10, vcc_lo, s11, v10, vcc_lo
	s_waitcnt lgkmcnt(4)
	global_store_b32 v[9:10], v8, off
	s_or_b32 exec_lo, exec_lo, s1
	s_mov_b32 s1, exec_lo
	v_cmpx_gt_u32_e64 s22, v27
	s_cbranch_execnz .LBB471_145
.LBB471_180:
	s_or_b32 exec_lo, exec_lo, s1
	s_delay_alu instid0(SALU_CYCLE_1)
	s_mov_b32 s1, exec_lo
	v_cmpx_gt_u32_e64 s22, v26
	s_cbranch_execz .LBB471_150
.LBB471_181:
	s_mov_b32 s2, exec_lo
                                        ; implicit-def: $vgpr7_vgpr8
	v_cmpx_ge_u32_e64 v26, v16
	s_xor_b32 s2, exec_lo, s2
	s_cbranch_execz .LBB471_183
; %bb.182:
	s_waitcnt lgkmcnt(3)
	v_xor_b32_e32 v5, 0xfffff8ff, v0
                                        ; implicit-def: $vgpr26
	s_delay_alu instid0(VALU_DEP_1) | instskip(SKIP_1) | instid1(VALU_DEP_2)
	v_ashrrev_i32_e32 v8, 31, v5
	v_add_co_u32 v7, vcc_lo, v20, v5
	v_add_co_ci_u32_e32 v8, vcc_lo, v21, v8, vcc_lo
.LBB471_183:
	s_and_not1_saveexec_b32 s2, s2
	s_cbranch_execz .LBB471_185
; %bb.184:
	s_waitcnt lgkmcnt(4)
	v_add_co_u32 v7, vcc_lo, v15, v26
	v_add_co_ci_u32_e32 v8, vcc_lo, 0, v17, vcc_lo
.LBB471_185:
	s_or_b32 exec_lo, exec_lo, s2
	s_waitcnt lgkmcnt(4)
	s_delay_alu instid0(VALU_DEP_1) | instskip(NEXT) | instid1(VALU_DEP_1)
	v_lshlrev_b64 v[7:8], 2, v[7:8]
	v_add_co_u32 v7, vcc_lo, s10, v7
	s_delay_alu instid0(VALU_DEP_2) | instskip(SKIP_3) | instid1(SALU_CYCLE_1)
	v_add_co_ci_u32_e32 v8, vcc_lo, s11, v8, vcc_lo
	s_waitcnt lgkmcnt(3)
	global_store_b32 v[7:8], v6, off
	s_or_b32 exec_lo, exec_lo, s1
	s_mov_b32 s1, exec_lo
	v_cmpx_gt_u32_e64 s22, v25
	s_cbranch_execnz .LBB471_151
.LBB471_186:
	s_or_b32 exec_lo, exec_lo, s1
	s_delay_alu instid0(SALU_CYCLE_1)
	s_mov_b32 s1, exec_lo
	v_cmpx_gt_u32_e64 s22, v24
	s_cbranch_execz .LBB471_156
.LBB471_187:
	s_mov_b32 s2, exec_lo
                                        ; implicit-def: $vgpr5_vgpr6
	v_cmpx_ge_u32_e64 v24, v16
	s_xor_b32 s2, exec_lo, s2
	s_cbranch_execz .LBB471_189
; %bb.188:
	s_waitcnt lgkmcnt(2)
	v_xor_b32_e32 v3, 0xfffff6ff, v0
                                        ; implicit-def: $vgpr24
	s_delay_alu instid0(VALU_DEP_1) | instskip(SKIP_1) | instid1(VALU_DEP_2)
	v_ashrrev_i32_e32 v6, 31, v3
	v_add_co_u32 v5, vcc_lo, v20, v3
	v_add_co_ci_u32_e32 v6, vcc_lo, v21, v6, vcc_lo
.LBB471_189:
	s_and_not1_saveexec_b32 s2, s2
	s_cbranch_execz .LBB471_191
; %bb.190:
	s_waitcnt lgkmcnt(3)
	v_add_co_u32 v5, vcc_lo, v15, v24
	v_add_co_ci_u32_e32 v6, vcc_lo, 0, v17, vcc_lo
.LBB471_191:
	s_or_b32 exec_lo, exec_lo, s2
	s_waitcnt lgkmcnt(3)
	s_delay_alu instid0(VALU_DEP_1) | instskip(NEXT) | instid1(VALU_DEP_1)
	v_lshlrev_b64 v[5:6], 2, v[5:6]
	v_add_co_u32 v5, vcc_lo, s10, v5
	s_delay_alu instid0(VALU_DEP_2) | instskip(SKIP_3) | instid1(SALU_CYCLE_1)
	v_add_co_ci_u32_e32 v6, vcc_lo, s11, v6, vcc_lo
	s_waitcnt lgkmcnt(2)
	global_store_b32 v[5:6], v4, off
	s_or_b32 exec_lo, exec_lo, s1
	s_mov_b32 s1, exec_lo
	v_cmpx_gt_u32_e64 s22, v23
	s_cbranch_execnz .LBB471_157
.LBB471_192:
	s_or_b32 exec_lo, exec_lo, s1
	s_delay_alu instid0(SALU_CYCLE_1)
	s_mov_b32 s1, exec_lo
	v_cmpx_gt_u32_e64 s22, v22
	s_cbranch_execz .LBB471_198
.LBB471_193:
	s_mov_b32 s2, exec_lo
                                        ; implicit-def: $vgpr3_vgpr4
	v_cmpx_ge_u32_e64 v22, v16
	s_xor_b32 s2, exec_lo, s2
	s_cbranch_execz .LBB471_195
; %bb.194:
	s_waitcnt lgkmcnt(1)
	v_xor_b32_e32 v1, 0xfffff4ff, v0
                                        ; implicit-def: $vgpr22
	s_delay_alu instid0(VALU_DEP_1) | instskip(SKIP_1) | instid1(VALU_DEP_2)
	v_ashrrev_i32_e32 v4, 31, v1
	v_add_co_u32 v3, vcc_lo, v20, v1
	v_add_co_ci_u32_e32 v4, vcc_lo, v21, v4, vcc_lo
.LBB471_195:
	s_and_not1_saveexec_b32 s2, s2
	s_cbranch_execz .LBB471_197
; %bb.196:
	s_waitcnt lgkmcnt(2)
	v_add_co_u32 v3, vcc_lo, v15, v22
	v_add_co_ci_u32_e32 v4, vcc_lo, 0, v17, vcc_lo
.LBB471_197:
	s_or_b32 exec_lo, exec_lo, s2
	s_waitcnt lgkmcnt(2)
	s_delay_alu instid0(VALU_DEP_1) | instskip(NEXT) | instid1(VALU_DEP_1)
	v_lshlrev_b64 v[3:4], 2, v[3:4]
	v_add_co_u32 v3, vcc_lo, s10, v3
	s_delay_alu instid0(VALU_DEP_2)
	v_add_co_ci_u32_e32 v4, vcc_lo, s11, v4, vcc_lo
	s_waitcnt lgkmcnt(1)
	global_store_b32 v[3:4], v2, off
.LBB471_198:
	s_or_b32 exec_lo, exec_lo, s1
	s_delay_alu instid0(SALU_CYCLE_1)
	s_mov_b32 s1, exec_lo
                                        ; implicit-def: $vgpr13_vgpr14
	v_cmpx_gt_u32_e64 s22, v19
	s_cbranch_execz .LBB471_204
; %bb.199:
	s_mov_b32 s2, exec_lo
                                        ; implicit-def: $vgpr13_vgpr14
	v_cmpx_ge_u32_e64 v19, v16
	s_xor_b32 s2, exec_lo, s2
	s_cbranch_execz .LBB471_201
; %bb.200:
	s_waitcnt lgkmcnt(1)
	v_xor_b32_e32 v1, 0xfffff3ff, v0
                                        ; implicit-def: $vgpr19
	s_delay_alu instid0(VALU_DEP_1) | instskip(SKIP_1) | instid1(VALU_DEP_2)
	v_ashrrev_i32_e32 v2, 31, v1
	v_add_co_u32 v13, vcc_lo, v20, v1
	v_add_co_ci_u32_e32 v14, vcc_lo, v21, v2, vcc_lo
.LBB471_201:
	s_and_not1_saveexec_b32 s2, s2
; %bb.202:
	v_add_co_u32 v13, vcc_lo, v15, v19
	v_add_co_ci_u32_e32 v14, vcc_lo, 0, v17, vcc_lo
; %bb.203:
	s_or_b32 exec_lo, exec_lo, s2
	s_delay_alu instid0(SALU_CYCLE_1)
	s_or_b32 s0, s0, exec_lo
.LBB471_204:
	s_or_b32 exec_lo, exec_lo, s1
.LBB471_205:
	s_and_saveexec_b32 s1, s0
	s_cbranch_execz .LBB471_207
; %bb.206:
	s_waitcnt lgkmcnt(1)
	v_lshlrev_b64 v[1:2], 2, v[13:14]
	s_delay_alu instid0(VALU_DEP_1) | instskip(NEXT) | instid1(VALU_DEP_2)
	v_add_co_u32 v1, vcc_lo, s10, v1
	v_add_co_ci_u32_e32 v2, vcc_lo, s11, v2, vcc_lo
	s_waitcnt lgkmcnt(0)
	global_store_b32 v[1:2], v18, off
.LBB471_207:
	s_or_b32 exec_lo, exec_lo, s1
	v_cmp_eq_u32_e32 vcc_lo, 0, v0
	s_and_b32 s0, vcc_lo, s14
	s_delay_alu instid0(SALU_CYCLE_1)
	s_and_saveexec_b32 s1, s0
	s_cbranch_execz .LBB471_209
; %bb.208:
	v_add_co_u32 v0, vcc_lo, v15, v16
	s_waitcnt lgkmcnt(1)
	v_mov_b32_e32 v2, 0
	v_add_co_ci_u32_e32 v1, vcc_lo, 0, v17, vcc_lo
	global_store_b64 v2, v[0:1], s[8:9]
.LBB471_209:
	s_nop 0
	s_sendmsg sendmsg(MSG_DEALLOC_VGPRS)
	s_endpgm
	.section	.rodata,"a",@progbits
	.p2align	6, 0x0
	.amdhsa_kernel _ZN7rocprim17ROCPRIM_400000_NS6detail17trampoline_kernelINS0_13select_configILj256ELj13ELNS0_17block_load_methodE3ELS4_3ELS4_3ELNS0_20block_scan_algorithmE0ELj4294967295EEENS1_25partition_config_selectorILNS1_17partition_subalgoE3EjNS0_10empty_typeEbEEZZNS1_14partition_implILS8_3ELb0ES6_jNS0_17counting_iteratorIjlEEPS9_SE_NS0_5tupleIJPjSE_EEENSF_IJSE_SE_EEES9_SG_JZNS1_25segmented_radix_sort_implINS0_14default_configELb1EPKiPiPKlPlN2at6native12_GLOBAL__N_18offset_tEEE10hipError_tPvRmT1_PNSt15iterator_traitsISY_E10value_typeET2_T3_PNSZ_IS14_E10value_typeET4_jRbjT5_S1A_jjP12ihipStream_tbEUljE_EEESV_SW_SX_S14_S18_S1A_T6_T7_T9_mT8_S1C_bDpT10_ENKUlT_T0_E_clISt17integral_constantIbLb0EES1P_EEDaS1K_S1L_EUlS1K_E_NS1_11comp_targetILNS1_3genE9ELNS1_11target_archE1100ELNS1_3gpuE3ELNS1_3repE0EEENS1_30default_config_static_selectorELNS0_4arch9wavefront6targetE0EEEvSY_
		.amdhsa_group_segment_fixed_size 13324
		.amdhsa_private_segment_fixed_size 0
		.amdhsa_kernarg_size 144
		.amdhsa_user_sgpr_count 15
		.amdhsa_user_sgpr_dispatch_ptr 0
		.amdhsa_user_sgpr_queue_ptr 0
		.amdhsa_user_sgpr_kernarg_segment_ptr 1
		.amdhsa_user_sgpr_dispatch_id 0
		.amdhsa_user_sgpr_private_segment_size 0
		.amdhsa_wavefront_size32 1
		.amdhsa_uses_dynamic_stack 0
		.amdhsa_enable_private_segment 0
		.amdhsa_system_sgpr_workgroup_id_x 1
		.amdhsa_system_sgpr_workgroup_id_y 0
		.amdhsa_system_sgpr_workgroup_id_z 0
		.amdhsa_system_sgpr_workgroup_info 0
		.amdhsa_system_vgpr_workitem_id 0
		.amdhsa_next_free_vgpr 57
		.amdhsa_next_free_sgpr 28
		.amdhsa_reserve_vcc 1
		.amdhsa_float_round_mode_32 0
		.amdhsa_float_round_mode_16_64 0
		.amdhsa_float_denorm_mode_32 3
		.amdhsa_float_denorm_mode_16_64 3
		.amdhsa_dx10_clamp 1
		.amdhsa_ieee_mode 1
		.amdhsa_fp16_overflow 0
		.amdhsa_workgroup_processor_mode 1
		.amdhsa_memory_ordered 1
		.amdhsa_forward_progress 0
		.amdhsa_shared_vgpr_count 0
		.amdhsa_exception_fp_ieee_invalid_op 0
		.amdhsa_exception_fp_denorm_src 0
		.amdhsa_exception_fp_ieee_div_zero 0
		.amdhsa_exception_fp_ieee_overflow 0
		.amdhsa_exception_fp_ieee_underflow 0
		.amdhsa_exception_fp_ieee_inexact 0
		.amdhsa_exception_int_div_zero 0
	.end_amdhsa_kernel
	.section	.text._ZN7rocprim17ROCPRIM_400000_NS6detail17trampoline_kernelINS0_13select_configILj256ELj13ELNS0_17block_load_methodE3ELS4_3ELS4_3ELNS0_20block_scan_algorithmE0ELj4294967295EEENS1_25partition_config_selectorILNS1_17partition_subalgoE3EjNS0_10empty_typeEbEEZZNS1_14partition_implILS8_3ELb0ES6_jNS0_17counting_iteratorIjlEEPS9_SE_NS0_5tupleIJPjSE_EEENSF_IJSE_SE_EEES9_SG_JZNS1_25segmented_radix_sort_implINS0_14default_configELb1EPKiPiPKlPlN2at6native12_GLOBAL__N_18offset_tEEE10hipError_tPvRmT1_PNSt15iterator_traitsISY_E10value_typeET2_T3_PNSZ_IS14_E10value_typeET4_jRbjT5_S1A_jjP12ihipStream_tbEUljE_EEESV_SW_SX_S14_S18_S1A_T6_T7_T9_mT8_S1C_bDpT10_ENKUlT_T0_E_clISt17integral_constantIbLb0EES1P_EEDaS1K_S1L_EUlS1K_E_NS1_11comp_targetILNS1_3genE9ELNS1_11target_archE1100ELNS1_3gpuE3ELNS1_3repE0EEENS1_30default_config_static_selectorELNS0_4arch9wavefront6targetE0EEEvSY_,"axG",@progbits,_ZN7rocprim17ROCPRIM_400000_NS6detail17trampoline_kernelINS0_13select_configILj256ELj13ELNS0_17block_load_methodE3ELS4_3ELS4_3ELNS0_20block_scan_algorithmE0ELj4294967295EEENS1_25partition_config_selectorILNS1_17partition_subalgoE3EjNS0_10empty_typeEbEEZZNS1_14partition_implILS8_3ELb0ES6_jNS0_17counting_iteratorIjlEEPS9_SE_NS0_5tupleIJPjSE_EEENSF_IJSE_SE_EEES9_SG_JZNS1_25segmented_radix_sort_implINS0_14default_configELb1EPKiPiPKlPlN2at6native12_GLOBAL__N_18offset_tEEE10hipError_tPvRmT1_PNSt15iterator_traitsISY_E10value_typeET2_T3_PNSZ_IS14_E10value_typeET4_jRbjT5_S1A_jjP12ihipStream_tbEUljE_EEESV_SW_SX_S14_S18_S1A_T6_T7_T9_mT8_S1C_bDpT10_ENKUlT_T0_E_clISt17integral_constantIbLb0EES1P_EEDaS1K_S1L_EUlS1K_E_NS1_11comp_targetILNS1_3genE9ELNS1_11target_archE1100ELNS1_3gpuE3ELNS1_3repE0EEENS1_30default_config_static_selectorELNS0_4arch9wavefront6targetE0EEEvSY_,comdat
.Lfunc_end471:
	.size	_ZN7rocprim17ROCPRIM_400000_NS6detail17trampoline_kernelINS0_13select_configILj256ELj13ELNS0_17block_load_methodE3ELS4_3ELS4_3ELNS0_20block_scan_algorithmE0ELj4294967295EEENS1_25partition_config_selectorILNS1_17partition_subalgoE3EjNS0_10empty_typeEbEEZZNS1_14partition_implILS8_3ELb0ES6_jNS0_17counting_iteratorIjlEEPS9_SE_NS0_5tupleIJPjSE_EEENSF_IJSE_SE_EEES9_SG_JZNS1_25segmented_radix_sort_implINS0_14default_configELb1EPKiPiPKlPlN2at6native12_GLOBAL__N_18offset_tEEE10hipError_tPvRmT1_PNSt15iterator_traitsISY_E10value_typeET2_T3_PNSZ_IS14_E10value_typeET4_jRbjT5_S1A_jjP12ihipStream_tbEUljE_EEESV_SW_SX_S14_S18_S1A_T6_T7_T9_mT8_S1C_bDpT10_ENKUlT_T0_E_clISt17integral_constantIbLb0EES1P_EEDaS1K_S1L_EUlS1K_E_NS1_11comp_targetILNS1_3genE9ELNS1_11target_archE1100ELNS1_3gpuE3ELNS1_3repE0EEENS1_30default_config_static_selectorELNS0_4arch9wavefront6targetE0EEEvSY_, .Lfunc_end471-_ZN7rocprim17ROCPRIM_400000_NS6detail17trampoline_kernelINS0_13select_configILj256ELj13ELNS0_17block_load_methodE3ELS4_3ELS4_3ELNS0_20block_scan_algorithmE0ELj4294967295EEENS1_25partition_config_selectorILNS1_17partition_subalgoE3EjNS0_10empty_typeEbEEZZNS1_14partition_implILS8_3ELb0ES6_jNS0_17counting_iteratorIjlEEPS9_SE_NS0_5tupleIJPjSE_EEENSF_IJSE_SE_EEES9_SG_JZNS1_25segmented_radix_sort_implINS0_14default_configELb1EPKiPiPKlPlN2at6native12_GLOBAL__N_18offset_tEEE10hipError_tPvRmT1_PNSt15iterator_traitsISY_E10value_typeET2_T3_PNSZ_IS14_E10value_typeET4_jRbjT5_S1A_jjP12ihipStream_tbEUljE_EEESV_SW_SX_S14_S18_S1A_T6_T7_T9_mT8_S1C_bDpT10_ENKUlT_T0_E_clISt17integral_constantIbLb0EES1P_EEDaS1K_S1L_EUlS1K_E_NS1_11comp_targetILNS1_3genE9ELNS1_11target_archE1100ELNS1_3gpuE3ELNS1_3repE0EEENS1_30default_config_static_selectorELNS0_4arch9wavefront6targetE0EEEvSY_
                                        ; -- End function
	.section	.AMDGPU.csdata,"",@progbits
; Kernel info:
; codeLenInByte = 8864
; NumSgprs: 30
; NumVgprs: 57
; ScratchSize: 0
; MemoryBound: 0
; FloatMode: 240
; IeeeMode: 1
; LDSByteSize: 13324 bytes/workgroup (compile time only)
; SGPRBlocks: 3
; VGPRBlocks: 7
; NumSGPRsForWavesPerEU: 30
; NumVGPRsForWavesPerEU: 57
; Occupancy: 16
; WaveLimiterHint : 0
; COMPUTE_PGM_RSRC2:SCRATCH_EN: 0
; COMPUTE_PGM_RSRC2:USER_SGPR: 15
; COMPUTE_PGM_RSRC2:TRAP_HANDLER: 0
; COMPUTE_PGM_RSRC2:TGID_X_EN: 1
; COMPUTE_PGM_RSRC2:TGID_Y_EN: 0
; COMPUTE_PGM_RSRC2:TGID_Z_EN: 0
; COMPUTE_PGM_RSRC2:TIDIG_COMP_CNT: 0
	.section	.text._ZN7rocprim17ROCPRIM_400000_NS6detail17trampoline_kernelINS0_13select_configILj256ELj13ELNS0_17block_load_methodE3ELS4_3ELS4_3ELNS0_20block_scan_algorithmE0ELj4294967295EEENS1_25partition_config_selectorILNS1_17partition_subalgoE3EjNS0_10empty_typeEbEEZZNS1_14partition_implILS8_3ELb0ES6_jNS0_17counting_iteratorIjlEEPS9_SE_NS0_5tupleIJPjSE_EEENSF_IJSE_SE_EEES9_SG_JZNS1_25segmented_radix_sort_implINS0_14default_configELb1EPKiPiPKlPlN2at6native12_GLOBAL__N_18offset_tEEE10hipError_tPvRmT1_PNSt15iterator_traitsISY_E10value_typeET2_T3_PNSZ_IS14_E10value_typeET4_jRbjT5_S1A_jjP12ihipStream_tbEUljE_EEESV_SW_SX_S14_S18_S1A_T6_T7_T9_mT8_S1C_bDpT10_ENKUlT_T0_E_clISt17integral_constantIbLb0EES1P_EEDaS1K_S1L_EUlS1K_E_NS1_11comp_targetILNS1_3genE8ELNS1_11target_archE1030ELNS1_3gpuE2ELNS1_3repE0EEENS1_30default_config_static_selectorELNS0_4arch9wavefront6targetE0EEEvSY_,"axG",@progbits,_ZN7rocprim17ROCPRIM_400000_NS6detail17trampoline_kernelINS0_13select_configILj256ELj13ELNS0_17block_load_methodE3ELS4_3ELS4_3ELNS0_20block_scan_algorithmE0ELj4294967295EEENS1_25partition_config_selectorILNS1_17partition_subalgoE3EjNS0_10empty_typeEbEEZZNS1_14partition_implILS8_3ELb0ES6_jNS0_17counting_iteratorIjlEEPS9_SE_NS0_5tupleIJPjSE_EEENSF_IJSE_SE_EEES9_SG_JZNS1_25segmented_radix_sort_implINS0_14default_configELb1EPKiPiPKlPlN2at6native12_GLOBAL__N_18offset_tEEE10hipError_tPvRmT1_PNSt15iterator_traitsISY_E10value_typeET2_T3_PNSZ_IS14_E10value_typeET4_jRbjT5_S1A_jjP12ihipStream_tbEUljE_EEESV_SW_SX_S14_S18_S1A_T6_T7_T9_mT8_S1C_bDpT10_ENKUlT_T0_E_clISt17integral_constantIbLb0EES1P_EEDaS1K_S1L_EUlS1K_E_NS1_11comp_targetILNS1_3genE8ELNS1_11target_archE1030ELNS1_3gpuE2ELNS1_3repE0EEENS1_30default_config_static_selectorELNS0_4arch9wavefront6targetE0EEEvSY_,comdat
	.globl	_ZN7rocprim17ROCPRIM_400000_NS6detail17trampoline_kernelINS0_13select_configILj256ELj13ELNS0_17block_load_methodE3ELS4_3ELS4_3ELNS0_20block_scan_algorithmE0ELj4294967295EEENS1_25partition_config_selectorILNS1_17partition_subalgoE3EjNS0_10empty_typeEbEEZZNS1_14partition_implILS8_3ELb0ES6_jNS0_17counting_iteratorIjlEEPS9_SE_NS0_5tupleIJPjSE_EEENSF_IJSE_SE_EEES9_SG_JZNS1_25segmented_radix_sort_implINS0_14default_configELb1EPKiPiPKlPlN2at6native12_GLOBAL__N_18offset_tEEE10hipError_tPvRmT1_PNSt15iterator_traitsISY_E10value_typeET2_T3_PNSZ_IS14_E10value_typeET4_jRbjT5_S1A_jjP12ihipStream_tbEUljE_EEESV_SW_SX_S14_S18_S1A_T6_T7_T9_mT8_S1C_bDpT10_ENKUlT_T0_E_clISt17integral_constantIbLb0EES1P_EEDaS1K_S1L_EUlS1K_E_NS1_11comp_targetILNS1_3genE8ELNS1_11target_archE1030ELNS1_3gpuE2ELNS1_3repE0EEENS1_30default_config_static_selectorELNS0_4arch9wavefront6targetE0EEEvSY_ ; -- Begin function _ZN7rocprim17ROCPRIM_400000_NS6detail17trampoline_kernelINS0_13select_configILj256ELj13ELNS0_17block_load_methodE3ELS4_3ELS4_3ELNS0_20block_scan_algorithmE0ELj4294967295EEENS1_25partition_config_selectorILNS1_17partition_subalgoE3EjNS0_10empty_typeEbEEZZNS1_14partition_implILS8_3ELb0ES6_jNS0_17counting_iteratorIjlEEPS9_SE_NS0_5tupleIJPjSE_EEENSF_IJSE_SE_EEES9_SG_JZNS1_25segmented_radix_sort_implINS0_14default_configELb1EPKiPiPKlPlN2at6native12_GLOBAL__N_18offset_tEEE10hipError_tPvRmT1_PNSt15iterator_traitsISY_E10value_typeET2_T3_PNSZ_IS14_E10value_typeET4_jRbjT5_S1A_jjP12ihipStream_tbEUljE_EEESV_SW_SX_S14_S18_S1A_T6_T7_T9_mT8_S1C_bDpT10_ENKUlT_T0_E_clISt17integral_constantIbLb0EES1P_EEDaS1K_S1L_EUlS1K_E_NS1_11comp_targetILNS1_3genE8ELNS1_11target_archE1030ELNS1_3gpuE2ELNS1_3repE0EEENS1_30default_config_static_selectorELNS0_4arch9wavefront6targetE0EEEvSY_
	.p2align	8
	.type	_ZN7rocprim17ROCPRIM_400000_NS6detail17trampoline_kernelINS0_13select_configILj256ELj13ELNS0_17block_load_methodE3ELS4_3ELS4_3ELNS0_20block_scan_algorithmE0ELj4294967295EEENS1_25partition_config_selectorILNS1_17partition_subalgoE3EjNS0_10empty_typeEbEEZZNS1_14partition_implILS8_3ELb0ES6_jNS0_17counting_iteratorIjlEEPS9_SE_NS0_5tupleIJPjSE_EEENSF_IJSE_SE_EEES9_SG_JZNS1_25segmented_radix_sort_implINS0_14default_configELb1EPKiPiPKlPlN2at6native12_GLOBAL__N_18offset_tEEE10hipError_tPvRmT1_PNSt15iterator_traitsISY_E10value_typeET2_T3_PNSZ_IS14_E10value_typeET4_jRbjT5_S1A_jjP12ihipStream_tbEUljE_EEESV_SW_SX_S14_S18_S1A_T6_T7_T9_mT8_S1C_bDpT10_ENKUlT_T0_E_clISt17integral_constantIbLb0EES1P_EEDaS1K_S1L_EUlS1K_E_NS1_11comp_targetILNS1_3genE8ELNS1_11target_archE1030ELNS1_3gpuE2ELNS1_3repE0EEENS1_30default_config_static_selectorELNS0_4arch9wavefront6targetE0EEEvSY_,@function
_ZN7rocprim17ROCPRIM_400000_NS6detail17trampoline_kernelINS0_13select_configILj256ELj13ELNS0_17block_load_methodE3ELS4_3ELS4_3ELNS0_20block_scan_algorithmE0ELj4294967295EEENS1_25partition_config_selectorILNS1_17partition_subalgoE3EjNS0_10empty_typeEbEEZZNS1_14partition_implILS8_3ELb0ES6_jNS0_17counting_iteratorIjlEEPS9_SE_NS0_5tupleIJPjSE_EEENSF_IJSE_SE_EEES9_SG_JZNS1_25segmented_radix_sort_implINS0_14default_configELb1EPKiPiPKlPlN2at6native12_GLOBAL__N_18offset_tEEE10hipError_tPvRmT1_PNSt15iterator_traitsISY_E10value_typeET2_T3_PNSZ_IS14_E10value_typeET4_jRbjT5_S1A_jjP12ihipStream_tbEUljE_EEESV_SW_SX_S14_S18_S1A_T6_T7_T9_mT8_S1C_bDpT10_ENKUlT_T0_E_clISt17integral_constantIbLb0EES1P_EEDaS1K_S1L_EUlS1K_E_NS1_11comp_targetILNS1_3genE8ELNS1_11target_archE1030ELNS1_3gpuE2ELNS1_3repE0EEENS1_30default_config_static_selectorELNS0_4arch9wavefront6targetE0EEEvSY_: ; @_ZN7rocprim17ROCPRIM_400000_NS6detail17trampoline_kernelINS0_13select_configILj256ELj13ELNS0_17block_load_methodE3ELS4_3ELS4_3ELNS0_20block_scan_algorithmE0ELj4294967295EEENS1_25partition_config_selectorILNS1_17partition_subalgoE3EjNS0_10empty_typeEbEEZZNS1_14partition_implILS8_3ELb0ES6_jNS0_17counting_iteratorIjlEEPS9_SE_NS0_5tupleIJPjSE_EEENSF_IJSE_SE_EEES9_SG_JZNS1_25segmented_radix_sort_implINS0_14default_configELb1EPKiPiPKlPlN2at6native12_GLOBAL__N_18offset_tEEE10hipError_tPvRmT1_PNSt15iterator_traitsISY_E10value_typeET2_T3_PNSZ_IS14_E10value_typeET4_jRbjT5_S1A_jjP12ihipStream_tbEUljE_EEESV_SW_SX_S14_S18_S1A_T6_T7_T9_mT8_S1C_bDpT10_ENKUlT_T0_E_clISt17integral_constantIbLb0EES1P_EEDaS1K_S1L_EUlS1K_E_NS1_11comp_targetILNS1_3genE8ELNS1_11target_archE1030ELNS1_3gpuE2ELNS1_3repE0EEENS1_30default_config_static_selectorELNS0_4arch9wavefront6targetE0EEEvSY_
; %bb.0:
	.section	.rodata,"a",@progbits
	.p2align	6, 0x0
	.amdhsa_kernel _ZN7rocprim17ROCPRIM_400000_NS6detail17trampoline_kernelINS0_13select_configILj256ELj13ELNS0_17block_load_methodE3ELS4_3ELS4_3ELNS0_20block_scan_algorithmE0ELj4294967295EEENS1_25partition_config_selectorILNS1_17partition_subalgoE3EjNS0_10empty_typeEbEEZZNS1_14partition_implILS8_3ELb0ES6_jNS0_17counting_iteratorIjlEEPS9_SE_NS0_5tupleIJPjSE_EEENSF_IJSE_SE_EEES9_SG_JZNS1_25segmented_radix_sort_implINS0_14default_configELb1EPKiPiPKlPlN2at6native12_GLOBAL__N_18offset_tEEE10hipError_tPvRmT1_PNSt15iterator_traitsISY_E10value_typeET2_T3_PNSZ_IS14_E10value_typeET4_jRbjT5_S1A_jjP12ihipStream_tbEUljE_EEESV_SW_SX_S14_S18_S1A_T6_T7_T9_mT8_S1C_bDpT10_ENKUlT_T0_E_clISt17integral_constantIbLb0EES1P_EEDaS1K_S1L_EUlS1K_E_NS1_11comp_targetILNS1_3genE8ELNS1_11target_archE1030ELNS1_3gpuE2ELNS1_3repE0EEENS1_30default_config_static_selectorELNS0_4arch9wavefront6targetE0EEEvSY_
		.amdhsa_group_segment_fixed_size 0
		.amdhsa_private_segment_fixed_size 0
		.amdhsa_kernarg_size 144
		.amdhsa_user_sgpr_count 15
		.amdhsa_user_sgpr_dispatch_ptr 0
		.amdhsa_user_sgpr_queue_ptr 0
		.amdhsa_user_sgpr_kernarg_segment_ptr 1
		.amdhsa_user_sgpr_dispatch_id 0
		.amdhsa_user_sgpr_private_segment_size 0
		.amdhsa_wavefront_size32 1
		.amdhsa_uses_dynamic_stack 0
		.amdhsa_enable_private_segment 0
		.amdhsa_system_sgpr_workgroup_id_x 1
		.amdhsa_system_sgpr_workgroup_id_y 0
		.amdhsa_system_sgpr_workgroup_id_z 0
		.amdhsa_system_sgpr_workgroup_info 0
		.amdhsa_system_vgpr_workitem_id 0
		.amdhsa_next_free_vgpr 1
		.amdhsa_next_free_sgpr 1
		.amdhsa_reserve_vcc 0
		.amdhsa_float_round_mode_32 0
		.amdhsa_float_round_mode_16_64 0
		.amdhsa_float_denorm_mode_32 3
		.amdhsa_float_denorm_mode_16_64 3
		.amdhsa_dx10_clamp 1
		.amdhsa_ieee_mode 1
		.amdhsa_fp16_overflow 0
		.amdhsa_workgroup_processor_mode 1
		.amdhsa_memory_ordered 1
		.amdhsa_forward_progress 0
		.amdhsa_shared_vgpr_count 0
		.amdhsa_exception_fp_ieee_invalid_op 0
		.amdhsa_exception_fp_denorm_src 0
		.amdhsa_exception_fp_ieee_div_zero 0
		.amdhsa_exception_fp_ieee_overflow 0
		.amdhsa_exception_fp_ieee_underflow 0
		.amdhsa_exception_fp_ieee_inexact 0
		.amdhsa_exception_int_div_zero 0
	.end_amdhsa_kernel
	.section	.text._ZN7rocprim17ROCPRIM_400000_NS6detail17trampoline_kernelINS0_13select_configILj256ELj13ELNS0_17block_load_methodE3ELS4_3ELS4_3ELNS0_20block_scan_algorithmE0ELj4294967295EEENS1_25partition_config_selectorILNS1_17partition_subalgoE3EjNS0_10empty_typeEbEEZZNS1_14partition_implILS8_3ELb0ES6_jNS0_17counting_iteratorIjlEEPS9_SE_NS0_5tupleIJPjSE_EEENSF_IJSE_SE_EEES9_SG_JZNS1_25segmented_radix_sort_implINS0_14default_configELb1EPKiPiPKlPlN2at6native12_GLOBAL__N_18offset_tEEE10hipError_tPvRmT1_PNSt15iterator_traitsISY_E10value_typeET2_T3_PNSZ_IS14_E10value_typeET4_jRbjT5_S1A_jjP12ihipStream_tbEUljE_EEESV_SW_SX_S14_S18_S1A_T6_T7_T9_mT8_S1C_bDpT10_ENKUlT_T0_E_clISt17integral_constantIbLb0EES1P_EEDaS1K_S1L_EUlS1K_E_NS1_11comp_targetILNS1_3genE8ELNS1_11target_archE1030ELNS1_3gpuE2ELNS1_3repE0EEENS1_30default_config_static_selectorELNS0_4arch9wavefront6targetE0EEEvSY_,"axG",@progbits,_ZN7rocprim17ROCPRIM_400000_NS6detail17trampoline_kernelINS0_13select_configILj256ELj13ELNS0_17block_load_methodE3ELS4_3ELS4_3ELNS0_20block_scan_algorithmE0ELj4294967295EEENS1_25partition_config_selectorILNS1_17partition_subalgoE3EjNS0_10empty_typeEbEEZZNS1_14partition_implILS8_3ELb0ES6_jNS0_17counting_iteratorIjlEEPS9_SE_NS0_5tupleIJPjSE_EEENSF_IJSE_SE_EEES9_SG_JZNS1_25segmented_radix_sort_implINS0_14default_configELb1EPKiPiPKlPlN2at6native12_GLOBAL__N_18offset_tEEE10hipError_tPvRmT1_PNSt15iterator_traitsISY_E10value_typeET2_T3_PNSZ_IS14_E10value_typeET4_jRbjT5_S1A_jjP12ihipStream_tbEUljE_EEESV_SW_SX_S14_S18_S1A_T6_T7_T9_mT8_S1C_bDpT10_ENKUlT_T0_E_clISt17integral_constantIbLb0EES1P_EEDaS1K_S1L_EUlS1K_E_NS1_11comp_targetILNS1_3genE8ELNS1_11target_archE1030ELNS1_3gpuE2ELNS1_3repE0EEENS1_30default_config_static_selectorELNS0_4arch9wavefront6targetE0EEEvSY_,comdat
.Lfunc_end472:
	.size	_ZN7rocprim17ROCPRIM_400000_NS6detail17trampoline_kernelINS0_13select_configILj256ELj13ELNS0_17block_load_methodE3ELS4_3ELS4_3ELNS0_20block_scan_algorithmE0ELj4294967295EEENS1_25partition_config_selectorILNS1_17partition_subalgoE3EjNS0_10empty_typeEbEEZZNS1_14partition_implILS8_3ELb0ES6_jNS0_17counting_iteratorIjlEEPS9_SE_NS0_5tupleIJPjSE_EEENSF_IJSE_SE_EEES9_SG_JZNS1_25segmented_radix_sort_implINS0_14default_configELb1EPKiPiPKlPlN2at6native12_GLOBAL__N_18offset_tEEE10hipError_tPvRmT1_PNSt15iterator_traitsISY_E10value_typeET2_T3_PNSZ_IS14_E10value_typeET4_jRbjT5_S1A_jjP12ihipStream_tbEUljE_EEESV_SW_SX_S14_S18_S1A_T6_T7_T9_mT8_S1C_bDpT10_ENKUlT_T0_E_clISt17integral_constantIbLb0EES1P_EEDaS1K_S1L_EUlS1K_E_NS1_11comp_targetILNS1_3genE8ELNS1_11target_archE1030ELNS1_3gpuE2ELNS1_3repE0EEENS1_30default_config_static_selectorELNS0_4arch9wavefront6targetE0EEEvSY_, .Lfunc_end472-_ZN7rocprim17ROCPRIM_400000_NS6detail17trampoline_kernelINS0_13select_configILj256ELj13ELNS0_17block_load_methodE3ELS4_3ELS4_3ELNS0_20block_scan_algorithmE0ELj4294967295EEENS1_25partition_config_selectorILNS1_17partition_subalgoE3EjNS0_10empty_typeEbEEZZNS1_14partition_implILS8_3ELb0ES6_jNS0_17counting_iteratorIjlEEPS9_SE_NS0_5tupleIJPjSE_EEENSF_IJSE_SE_EEES9_SG_JZNS1_25segmented_radix_sort_implINS0_14default_configELb1EPKiPiPKlPlN2at6native12_GLOBAL__N_18offset_tEEE10hipError_tPvRmT1_PNSt15iterator_traitsISY_E10value_typeET2_T3_PNSZ_IS14_E10value_typeET4_jRbjT5_S1A_jjP12ihipStream_tbEUljE_EEESV_SW_SX_S14_S18_S1A_T6_T7_T9_mT8_S1C_bDpT10_ENKUlT_T0_E_clISt17integral_constantIbLb0EES1P_EEDaS1K_S1L_EUlS1K_E_NS1_11comp_targetILNS1_3genE8ELNS1_11target_archE1030ELNS1_3gpuE2ELNS1_3repE0EEENS1_30default_config_static_selectorELNS0_4arch9wavefront6targetE0EEEvSY_
                                        ; -- End function
	.section	.AMDGPU.csdata,"",@progbits
; Kernel info:
; codeLenInByte = 0
; NumSgprs: 0
; NumVgprs: 0
; ScratchSize: 0
; MemoryBound: 0
; FloatMode: 240
; IeeeMode: 1
; LDSByteSize: 0 bytes/workgroup (compile time only)
; SGPRBlocks: 0
; VGPRBlocks: 0
; NumSGPRsForWavesPerEU: 1
; NumVGPRsForWavesPerEU: 1
; Occupancy: 16
; WaveLimiterHint : 0
; COMPUTE_PGM_RSRC2:SCRATCH_EN: 0
; COMPUTE_PGM_RSRC2:USER_SGPR: 15
; COMPUTE_PGM_RSRC2:TRAP_HANDLER: 0
; COMPUTE_PGM_RSRC2:TGID_X_EN: 1
; COMPUTE_PGM_RSRC2:TGID_Y_EN: 0
; COMPUTE_PGM_RSRC2:TGID_Z_EN: 0
; COMPUTE_PGM_RSRC2:TIDIG_COMP_CNT: 0
	.section	.text._ZN7rocprim17ROCPRIM_400000_NS6detail17trampoline_kernelINS0_13select_configILj256ELj13ELNS0_17block_load_methodE3ELS4_3ELS4_3ELNS0_20block_scan_algorithmE0ELj4294967295EEENS1_25partition_config_selectorILNS1_17partition_subalgoE3EjNS0_10empty_typeEbEEZZNS1_14partition_implILS8_3ELb0ES6_jNS0_17counting_iteratorIjlEEPS9_SE_NS0_5tupleIJPjSE_EEENSF_IJSE_SE_EEES9_SG_JZNS1_25segmented_radix_sort_implINS0_14default_configELb1EPKiPiPKlPlN2at6native12_GLOBAL__N_18offset_tEEE10hipError_tPvRmT1_PNSt15iterator_traitsISY_E10value_typeET2_T3_PNSZ_IS14_E10value_typeET4_jRbjT5_S1A_jjP12ihipStream_tbEUljE_EEESV_SW_SX_S14_S18_S1A_T6_T7_T9_mT8_S1C_bDpT10_ENKUlT_T0_E_clISt17integral_constantIbLb1EES1P_EEDaS1K_S1L_EUlS1K_E_NS1_11comp_targetILNS1_3genE0ELNS1_11target_archE4294967295ELNS1_3gpuE0ELNS1_3repE0EEENS1_30default_config_static_selectorELNS0_4arch9wavefront6targetE0EEEvSY_,"axG",@progbits,_ZN7rocprim17ROCPRIM_400000_NS6detail17trampoline_kernelINS0_13select_configILj256ELj13ELNS0_17block_load_methodE3ELS4_3ELS4_3ELNS0_20block_scan_algorithmE0ELj4294967295EEENS1_25partition_config_selectorILNS1_17partition_subalgoE3EjNS0_10empty_typeEbEEZZNS1_14partition_implILS8_3ELb0ES6_jNS0_17counting_iteratorIjlEEPS9_SE_NS0_5tupleIJPjSE_EEENSF_IJSE_SE_EEES9_SG_JZNS1_25segmented_radix_sort_implINS0_14default_configELb1EPKiPiPKlPlN2at6native12_GLOBAL__N_18offset_tEEE10hipError_tPvRmT1_PNSt15iterator_traitsISY_E10value_typeET2_T3_PNSZ_IS14_E10value_typeET4_jRbjT5_S1A_jjP12ihipStream_tbEUljE_EEESV_SW_SX_S14_S18_S1A_T6_T7_T9_mT8_S1C_bDpT10_ENKUlT_T0_E_clISt17integral_constantIbLb1EES1P_EEDaS1K_S1L_EUlS1K_E_NS1_11comp_targetILNS1_3genE0ELNS1_11target_archE4294967295ELNS1_3gpuE0ELNS1_3repE0EEENS1_30default_config_static_selectorELNS0_4arch9wavefront6targetE0EEEvSY_,comdat
	.globl	_ZN7rocprim17ROCPRIM_400000_NS6detail17trampoline_kernelINS0_13select_configILj256ELj13ELNS0_17block_load_methodE3ELS4_3ELS4_3ELNS0_20block_scan_algorithmE0ELj4294967295EEENS1_25partition_config_selectorILNS1_17partition_subalgoE3EjNS0_10empty_typeEbEEZZNS1_14partition_implILS8_3ELb0ES6_jNS0_17counting_iteratorIjlEEPS9_SE_NS0_5tupleIJPjSE_EEENSF_IJSE_SE_EEES9_SG_JZNS1_25segmented_radix_sort_implINS0_14default_configELb1EPKiPiPKlPlN2at6native12_GLOBAL__N_18offset_tEEE10hipError_tPvRmT1_PNSt15iterator_traitsISY_E10value_typeET2_T3_PNSZ_IS14_E10value_typeET4_jRbjT5_S1A_jjP12ihipStream_tbEUljE_EEESV_SW_SX_S14_S18_S1A_T6_T7_T9_mT8_S1C_bDpT10_ENKUlT_T0_E_clISt17integral_constantIbLb1EES1P_EEDaS1K_S1L_EUlS1K_E_NS1_11comp_targetILNS1_3genE0ELNS1_11target_archE4294967295ELNS1_3gpuE0ELNS1_3repE0EEENS1_30default_config_static_selectorELNS0_4arch9wavefront6targetE0EEEvSY_ ; -- Begin function _ZN7rocprim17ROCPRIM_400000_NS6detail17trampoline_kernelINS0_13select_configILj256ELj13ELNS0_17block_load_methodE3ELS4_3ELS4_3ELNS0_20block_scan_algorithmE0ELj4294967295EEENS1_25partition_config_selectorILNS1_17partition_subalgoE3EjNS0_10empty_typeEbEEZZNS1_14partition_implILS8_3ELb0ES6_jNS0_17counting_iteratorIjlEEPS9_SE_NS0_5tupleIJPjSE_EEENSF_IJSE_SE_EEES9_SG_JZNS1_25segmented_radix_sort_implINS0_14default_configELb1EPKiPiPKlPlN2at6native12_GLOBAL__N_18offset_tEEE10hipError_tPvRmT1_PNSt15iterator_traitsISY_E10value_typeET2_T3_PNSZ_IS14_E10value_typeET4_jRbjT5_S1A_jjP12ihipStream_tbEUljE_EEESV_SW_SX_S14_S18_S1A_T6_T7_T9_mT8_S1C_bDpT10_ENKUlT_T0_E_clISt17integral_constantIbLb1EES1P_EEDaS1K_S1L_EUlS1K_E_NS1_11comp_targetILNS1_3genE0ELNS1_11target_archE4294967295ELNS1_3gpuE0ELNS1_3repE0EEENS1_30default_config_static_selectorELNS0_4arch9wavefront6targetE0EEEvSY_
	.p2align	8
	.type	_ZN7rocprim17ROCPRIM_400000_NS6detail17trampoline_kernelINS0_13select_configILj256ELj13ELNS0_17block_load_methodE3ELS4_3ELS4_3ELNS0_20block_scan_algorithmE0ELj4294967295EEENS1_25partition_config_selectorILNS1_17partition_subalgoE3EjNS0_10empty_typeEbEEZZNS1_14partition_implILS8_3ELb0ES6_jNS0_17counting_iteratorIjlEEPS9_SE_NS0_5tupleIJPjSE_EEENSF_IJSE_SE_EEES9_SG_JZNS1_25segmented_radix_sort_implINS0_14default_configELb1EPKiPiPKlPlN2at6native12_GLOBAL__N_18offset_tEEE10hipError_tPvRmT1_PNSt15iterator_traitsISY_E10value_typeET2_T3_PNSZ_IS14_E10value_typeET4_jRbjT5_S1A_jjP12ihipStream_tbEUljE_EEESV_SW_SX_S14_S18_S1A_T6_T7_T9_mT8_S1C_bDpT10_ENKUlT_T0_E_clISt17integral_constantIbLb1EES1P_EEDaS1K_S1L_EUlS1K_E_NS1_11comp_targetILNS1_3genE0ELNS1_11target_archE4294967295ELNS1_3gpuE0ELNS1_3repE0EEENS1_30default_config_static_selectorELNS0_4arch9wavefront6targetE0EEEvSY_,@function
_ZN7rocprim17ROCPRIM_400000_NS6detail17trampoline_kernelINS0_13select_configILj256ELj13ELNS0_17block_load_methodE3ELS4_3ELS4_3ELNS0_20block_scan_algorithmE0ELj4294967295EEENS1_25partition_config_selectorILNS1_17partition_subalgoE3EjNS0_10empty_typeEbEEZZNS1_14partition_implILS8_3ELb0ES6_jNS0_17counting_iteratorIjlEEPS9_SE_NS0_5tupleIJPjSE_EEENSF_IJSE_SE_EEES9_SG_JZNS1_25segmented_radix_sort_implINS0_14default_configELb1EPKiPiPKlPlN2at6native12_GLOBAL__N_18offset_tEEE10hipError_tPvRmT1_PNSt15iterator_traitsISY_E10value_typeET2_T3_PNSZ_IS14_E10value_typeET4_jRbjT5_S1A_jjP12ihipStream_tbEUljE_EEESV_SW_SX_S14_S18_S1A_T6_T7_T9_mT8_S1C_bDpT10_ENKUlT_T0_E_clISt17integral_constantIbLb1EES1P_EEDaS1K_S1L_EUlS1K_E_NS1_11comp_targetILNS1_3genE0ELNS1_11target_archE4294967295ELNS1_3gpuE0ELNS1_3repE0EEENS1_30default_config_static_selectorELNS0_4arch9wavefront6targetE0EEEvSY_: ; @_ZN7rocprim17ROCPRIM_400000_NS6detail17trampoline_kernelINS0_13select_configILj256ELj13ELNS0_17block_load_methodE3ELS4_3ELS4_3ELNS0_20block_scan_algorithmE0ELj4294967295EEENS1_25partition_config_selectorILNS1_17partition_subalgoE3EjNS0_10empty_typeEbEEZZNS1_14partition_implILS8_3ELb0ES6_jNS0_17counting_iteratorIjlEEPS9_SE_NS0_5tupleIJPjSE_EEENSF_IJSE_SE_EEES9_SG_JZNS1_25segmented_radix_sort_implINS0_14default_configELb1EPKiPiPKlPlN2at6native12_GLOBAL__N_18offset_tEEE10hipError_tPvRmT1_PNSt15iterator_traitsISY_E10value_typeET2_T3_PNSZ_IS14_E10value_typeET4_jRbjT5_S1A_jjP12ihipStream_tbEUljE_EEESV_SW_SX_S14_S18_S1A_T6_T7_T9_mT8_S1C_bDpT10_ENKUlT_T0_E_clISt17integral_constantIbLb1EES1P_EEDaS1K_S1L_EUlS1K_E_NS1_11comp_targetILNS1_3genE0ELNS1_11target_archE4294967295ELNS1_3gpuE0ELNS1_3repE0EEENS1_30default_config_static_selectorELNS0_4arch9wavefront6targetE0EEEvSY_
; %bb.0:
	.section	.rodata,"a",@progbits
	.p2align	6, 0x0
	.amdhsa_kernel _ZN7rocprim17ROCPRIM_400000_NS6detail17trampoline_kernelINS0_13select_configILj256ELj13ELNS0_17block_load_methodE3ELS4_3ELS4_3ELNS0_20block_scan_algorithmE0ELj4294967295EEENS1_25partition_config_selectorILNS1_17partition_subalgoE3EjNS0_10empty_typeEbEEZZNS1_14partition_implILS8_3ELb0ES6_jNS0_17counting_iteratorIjlEEPS9_SE_NS0_5tupleIJPjSE_EEENSF_IJSE_SE_EEES9_SG_JZNS1_25segmented_radix_sort_implINS0_14default_configELb1EPKiPiPKlPlN2at6native12_GLOBAL__N_18offset_tEEE10hipError_tPvRmT1_PNSt15iterator_traitsISY_E10value_typeET2_T3_PNSZ_IS14_E10value_typeET4_jRbjT5_S1A_jjP12ihipStream_tbEUljE_EEESV_SW_SX_S14_S18_S1A_T6_T7_T9_mT8_S1C_bDpT10_ENKUlT_T0_E_clISt17integral_constantIbLb1EES1P_EEDaS1K_S1L_EUlS1K_E_NS1_11comp_targetILNS1_3genE0ELNS1_11target_archE4294967295ELNS1_3gpuE0ELNS1_3repE0EEENS1_30default_config_static_selectorELNS0_4arch9wavefront6targetE0EEEvSY_
		.amdhsa_group_segment_fixed_size 0
		.amdhsa_private_segment_fixed_size 0
		.amdhsa_kernarg_size 152
		.amdhsa_user_sgpr_count 15
		.amdhsa_user_sgpr_dispatch_ptr 0
		.amdhsa_user_sgpr_queue_ptr 0
		.amdhsa_user_sgpr_kernarg_segment_ptr 1
		.amdhsa_user_sgpr_dispatch_id 0
		.amdhsa_user_sgpr_private_segment_size 0
		.amdhsa_wavefront_size32 1
		.amdhsa_uses_dynamic_stack 0
		.amdhsa_enable_private_segment 0
		.amdhsa_system_sgpr_workgroup_id_x 1
		.amdhsa_system_sgpr_workgroup_id_y 0
		.amdhsa_system_sgpr_workgroup_id_z 0
		.amdhsa_system_sgpr_workgroup_info 0
		.amdhsa_system_vgpr_workitem_id 0
		.amdhsa_next_free_vgpr 1
		.amdhsa_next_free_sgpr 1
		.amdhsa_reserve_vcc 0
		.amdhsa_float_round_mode_32 0
		.amdhsa_float_round_mode_16_64 0
		.amdhsa_float_denorm_mode_32 3
		.amdhsa_float_denorm_mode_16_64 3
		.amdhsa_dx10_clamp 1
		.amdhsa_ieee_mode 1
		.amdhsa_fp16_overflow 0
		.amdhsa_workgroup_processor_mode 1
		.amdhsa_memory_ordered 1
		.amdhsa_forward_progress 0
		.amdhsa_shared_vgpr_count 0
		.amdhsa_exception_fp_ieee_invalid_op 0
		.amdhsa_exception_fp_denorm_src 0
		.amdhsa_exception_fp_ieee_div_zero 0
		.amdhsa_exception_fp_ieee_overflow 0
		.amdhsa_exception_fp_ieee_underflow 0
		.amdhsa_exception_fp_ieee_inexact 0
		.amdhsa_exception_int_div_zero 0
	.end_amdhsa_kernel
	.section	.text._ZN7rocprim17ROCPRIM_400000_NS6detail17trampoline_kernelINS0_13select_configILj256ELj13ELNS0_17block_load_methodE3ELS4_3ELS4_3ELNS0_20block_scan_algorithmE0ELj4294967295EEENS1_25partition_config_selectorILNS1_17partition_subalgoE3EjNS0_10empty_typeEbEEZZNS1_14partition_implILS8_3ELb0ES6_jNS0_17counting_iteratorIjlEEPS9_SE_NS0_5tupleIJPjSE_EEENSF_IJSE_SE_EEES9_SG_JZNS1_25segmented_radix_sort_implINS0_14default_configELb1EPKiPiPKlPlN2at6native12_GLOBAL__N_18offset_tEEE10hipError_tPvRmT1_PNSt15iterator_traitsISY_E10value_typeET2_T3_PNSZ_IS14_E10value_typeET4_jRbjT5_S1A_jjP12ihipStream_tbEUljE_EEESV_SW_SX_S14_S18_S1A_T6_T7_T9_mT8_S1C_bDpT10_ENKUlT_T0_E_clISt17integral_constantIbLb1EES1P_EEDaS1K_S1L_EUlS1K_E_NS1_11comp_targetILNS1_3genE0ELNS1_11target_archE4294967295ELNS1_3gpuE0ELNS1_3repE0EEENS1_30default_config_static_selectorELNS0_4arch9wavefront6targetE0EEEvSY_,"axG",@progbits,_ZN7rocprim17ROCPRIM_400000_NS6detail17trampoline_kernelINS0_13select_configILj256ELj13ELNS0_17block_load_methodE3ELS4_3ELS4_3ELNS0_20block_scan_algorithmE0ELj4294967295EEENS1_25partition_config_selectorILNS1_17partition_subalgoE3EjNS0_10empty_typeEbEEZZNS1_14partition_implILS8_3ELb0ES6_jNS0_17counting_iteratorIjlEEPS9_SE_NS0_5tupleIJPjSE_EEENSF_IJSE_SE_EEES9_SG_JZNS1_25segmented_radix_sort_implINS0_14default_configELb1EPKiPiPKlPlN2at6native12_GLOBAL__N_18offset_tEEE10hipError_tPvRmT1_PNSt15iterator_traitsISY_E10value_typeET2_T3_PNSZ_IS14_E10value_typeET4_jRbjT5_S1A_jjP12ihipStream_tbEUljE_EEESV_SW_SX_S14_S18_S1A_T6_T7_T9_mT8_S1C_bDpT10_ENKUlT_T0_E_clISt17integral_constantIbLb1EES1P_EEDaS1K_S1L_EUlS1K_E_NS1_11comp_targetILNS1_3genE0ELNS1_11target_archE4294967295ELNS1_3gpuE0ELNS1_3repE0EEENS1_30default_config_static_selectorELNS0_4arch9wavefront6targetE0EEEvSY_,comdat
.Lfunc_end473:
	.size	_ZN7rocprim17ROCPRIM_400000_NS6detail17trampoline_kernelINS0_13select_configILj256ELj13ELNS0_17block_load_methodE3ELS4_3ELS4_3ELNS0_20block_scan_algorithmE0ELj4294967295EEENS1_25partition_config_selectorILNS1_17partition_subalgoE3EjNS0_10empty_typeEbEEZZNS1_14partition_implILS8_3ELb0ES6_jNS0_17counting_iteratorIjlEEPS9_SE_NS0_5tupleIJPjSE_EEENSF_IJSE_SE_EEES9_SG_JZNS1_25segmented_radix_sort_implINS0_14default_configELb1EPKiPiPKlPlN2at6native12_GLOBAL__N_18offset_tEEE10hipError_tPvRmT1_PNSt15iterator_traitsISY_E10value_typeET2_T3_PNSZ_IS14_E10value_typeET4_jRbjT5_S1A_jjP12ihipStream_tbEUljE_EEESV_SW_SX_S14_S18_S1A_T6_T7_T9_mT8_S1C_bDpT10_ENKUlT_T0_E_clISt17integral_constantIbLb1EES1P_EEDaS1K_S1L_EUlS1K_E_NS1_11comp_targetILNS1_3genE0ELNS1_11target_archE4294967295ELNS1_3gpuE0ELNS1_3repE0EEENS1_30default_config_static_selectorELNS0_4arch9wavefront6targetE0EEEvSY_, .Lfunc_end473-_ZN7rocprim17ROCPRIM_400000_NS6detail17trampoline_kernelINS0_13select_configILj256ELj13ELNS0_17block_load_methodE3ELS4_3ELS4_3ELNS0_20block_scan_algorithmE0ELj4294967295EEENS1_25partition_config_selectorILNS1_17partition_subalgoE3EjNS0_10empty_typeEbEEZZNS1_14partition_implILS8_3ELb0ES6_jNS0_17counting_iteratorIjlEEPS9_SE_NS0_5tupleIJPjSE_EEENSF_IJSE_SE_EEES9_SG_JZNS1_25segmented_radix_sort_implINS0_14default_configELb1EPKiPiPKlPlN2at6native12_GLOBAL__N_18offset_tEEE10hipError_tPvRmT1_PNSt15iterator_traitsISY_E10value_typeET2_T3_PNSZ_IS14_E10value_typeET4_jRbjT5_S1A_jjP12ihipStream_tbEUljE_EEESV_SW_SX_S14_S18_S1A_T6_T7_T9_mT8_S1C_bDpT10_ENKUlT_T0_E_clISt17integral_constantIbLb1EES1P_EEDaS1K_S1L_EUlS1K_E_NS1_11comp_targetILNS1_3genE0ELNS1_11target_archE4294967295ELNS1_3gpuE0ELNS1_3repE0EEENS1_30default_config_static_selectorELNS0_4arch9wavefront6targetE0EEEvSY_
                                        ; -- End function
	.section	.AMDGPU.csdata,"",@progbits
; Kernel info:
; codeLenInByte = 0
; NumSgprs: 0
; NumVgprs: 0
; ScratchSize: 0
; MemoryBound: 0
; FloatMode: 240
; IeeeMode: 1
; LDSByteSize: 0 bytes/workgroup (compile time only)
; SGPRBlocks: 0
; VGPRBlocks: 0
; NumSGPRsForWavesPerEU: 1
; NumVGPRsForWavesPerEU: 1
; Occupancy: 16
; WaveLimiterHint : 0
; COMPUTE_PGM_RSRC2:SCRATCH_EN: 0
; COMPUTE_PGM_RSRC2:USER_SGPR: 15
; COMPUTE_PGM_RSRC2:TRAP_HANDLER: 0
; COMPUTE_PGM_RSRC2:TGID_X_EN: 1
; COMPUTE_PGM_RSRC2:TGID_Y_EN: 0
; COMPUTE_PGM_RSRC2:TGID_Z_EN: 0
; COMPUTE_PGM_RSRC2:TIDIG_COMP_CNT: 0
	.section	.text._ZN7rocprim17ROCPRIM_400000_NS6detail17trampoline_kernelINS0_13select_configILj256ELj13ELNS0_17block_load_methodE3ELS4_3ELS4_3ELNS0_20block_scan_algorithmE0ELj4294967295EEENS1_25partition_config_selectorILNS1_17partition_subalgoE3EjNS0_10empty_typeEbEEZZNS1_14partition_implILS8_3ELb0ES6_jNS0_17counting_iteratorIjlEEPS9_SE_NS0_5tupleIJPjSE_EEENSF_IJSE_SE_EEES9_SG_JZNS1_25segmented_radix_sort_implINS0_14default_configELb1EPKiPiPKlPlN2at6native12_GLOBAL__N_18offset_tEEE10hipError_tPvRmT1_PNSt15iterator_traitsISY_E10value_typeET2_T3_PNSZ_IS14_E10value_typeET4_jRbjT5_S1A_jjP12ihipStream_tbEUljE_EEESV_SW_SX_S14_S18_S1A_T6_T7_T9_mT8_S1C_bDpT10_ENKUlT_T0_E_clISt17integral_constantIbLb1EES1P_EEDaS1K_S1L_EUlS1K_E_NS1_11comp_targetILNS1_3genE5ELNS1_11target_archE942ELNS1_3gpuE9ELNS1_3repE0EEENS1_30default_config_static_selectorELNS0_4arch9wavefront6targetE0EEEvSY_,"axG",@progbits,_ZN7rocprim17ROCPRIM_400000_NS6detail17trampoline_kernelINS0_13select_configILj256ELj13ELNS0_17block_load_methodE3ELS4_3ELS4_3ELNS0_20block_scan_algorithmE0ELj4294967295EEENS1_25partition_config_selectorILNS1_17partition_subalgoE3EjNS0_10empty_typeEbEEZZNS1_14partition_implILS8_3ELb0ES6_jNS0_17counting_iteratorIjlEEPS9_SE_NS0_5tupleIJPjSE_EEENSF_IJSE_SE_EEES9_SG_JZNS1_25segmented_radix_sort_implINS0_14default_configELb1EPKiPiPKlPlN2at6native12_GLOBAL__N_18offset_tEEE10hipError_tPvRmT1_PNSt15iterator_traitsISY_E10value_typeET2_T3_PNSZ_IS14_E10value_typeET4_jRbjT5_S1A_jjP12ihipStream_tbEUljE_EEESV_SW_SX_S14_S18_S1A_T6_T7_T9_mT8_S1C_bDpT10_ENKUlT_T0_E_clISt17integral_constantIbLb1EES1P_EEDaS1K_S1L_EUlS1K_E_NS1_11comp_targetILNS1_3genE5ELNS1_11target_archE942ELNS1_3gpuE9ELNS1_3repE0EEENS1_30default_config_static_selectorELNS0_4arch9wavefront6targetE0EEEvSY_,comdat
	.globl	_ZN7rocprim17ROCPRIM_400000_NS6detail17trampoline_kernelINS0_13select_configILj256ELj13ELNS0_17block_load_methodE3ELS4_3ELS4_3ELNS0_20block_scan_algorithmE0ELj4294967295EEENS1_25partition_config_selectorILNS1_17partition_subalgoE3EjNS0_10empty_typeEbEEZZNS1_14partition_implILS8_3ELb0ES6_jNS0_17counting_iteratorIjlEEPS9_SE_NS0_5tupleIJPjSE_EEENSF_IJSE_SE_EEES9_SG_JZNS1_25segmented_radix_sort_implINS0_14default_configELb1EPKiPiPKlPlN2at6native12_GLOBAL__N_18offset_tEEE10hipError_tPvRmT1_PNSt15iterator_traitsISY_E10value_typeET2_T3_PNSZ_IS14_E10value_typeET4_jRbjT5_S1A_jjP12ihipStream_tbEUljE_EEESV_SW_SX_S14_S18_S1A_T6_T7_T9_mT8_S1C_bDpT10_ENKUlT_T0_E_clISt17integral_constantIbLb1EES1P_EEDaS1K_S1L_EUlS1K_E_NS1_11comp_targetILNS1_3genE5ELNS1_11target_archE942ELNS1_3gpuE9ELNS1_3repE0EEENS1_30default_config_static_selectorELNS0_4arch9wavefront6targetE0EEEvSY_ ; -- Begin function _ZN7rocprim17ROCPRIM_400000_NS6detail17trampoline_kernelINS0_13select_configILj256ELj13ELNS0_17block_load_methodE3ELS4_3ELS4_3ELNS0_20block_scan_algorithmE0ELj4294967295EEENS1_25partition_config_selectorILNS1_17partition_subalgoE3EjNS0_10empty_typeEbEEZZNS1_14partition_implILS8_3ELb0ES6_jNS0_17counting_iteratorIjlEEPS9_SE_NS0_5tupleIJPjSE_EEENSF_IJSE_SE_EEES9_SG_JZNS1_25segmented_radix_sort_implINS0_14default_configELb1EPKiPiPKlPlN2at6native12_GLOBAL__N_18offset_tEEE10hipError_tPvRmT1_PNSt15iterator_traitsISY_E10value_typeET2_T3_PNSZ_IS14_E10value_typeET4_jRbjT5_S1A_jjP12ihipStream_tbEUljE_EEESV_SW_SX_S14_S18_S1A_T6_T7_T9_mT8_S1C_bDpT10_ENKUlT_T0_E_clISt17integral_constantIbLb1EES1P_EEDaS1K_S1L_EUlS1K_E_NS1_11comp_targetILNS1_3genE5ELNS1_11target_archE942ELNS1_3gpuE9ELNS1_3repE0EEENS1_30default_config_static_selectorELNS0_4arch9wavefront6targetE0EEEvSY_
	.p2align	8
	.type	_ZN7rocprim17ROCPRIM_400000_NS6detail17trampoline_kernelINS0_13select_configILj256ELj13ELNS0_17block_load_methodE3ELS4_3ELS4_3ELNS0_20block_scan_algorithmE0ELj4294967295EEENS1_25partition_config_selectorILNS1_17partition_subalgoE3EjNS0_10empty_typeEbEEZZNS1_14partition_implILS8_3ELb0ES6_jNS0_17counting_iteratorIjlEEPS9_SE_NS0_5tupleIJPjSE_EEENSF_IJSE_SE_EEES9_SG_JZNS1_25segmented_radix_sort_implINS0_14default_configELb1EPKiPiPKlPlN2at6native12_GLOBAL__N_18offset_tEEE10hipError_tPvRmT1_PNSt15iterator_traitsISY_E10value_typeET2_T3_PNSZ_IS14_E10value_typeET4_jRbjT5_S1A_jjP12ihipStream_tbEUljE_EEESV_SW_SX_S14_S18_S1A_T6_T7_T9_mT8_S1C_bDpT10_ENKUlT_T0_E_clISt17integral_constantIbLb1EES1P_EEDaS1K_S1L_EUlS1K_E_NS1_11comp_targetILNS1_3genE5ELNS1_11target_archE942ELNS1_3gpuE9ELNS1_3repE0EEENS1_30default_config_static_selectorELNS0_4arch9wavefront6targetE0EEEvSY_,@function
_ZN7rocprim17ROCPRIM_400000_NS6detail17trampoline_kernelINS0_13select_configILj256ELj13ELNS0_17block_load_methodE3ELS4_3ELS4_3ELNS0_20block_scan_algorithmE0ELj4294967295EEENS1_25partition_config_selectorILNS1_17partition_subalgoE3EjNS0_10empty_typeEbEEZZNS1_14partition_implILS8_3ELb0ES6_jNS0_17counting_iteratorIjlEEPS9_SE_NS0_5tupleIJPjSE_EEENSF_IJSE_SE_EEES9_SG_JZNS1_25segmented_radix_sort_implINS0_14default_configELb1EPKiPiPKlPlN2at6native12_GLOBAL__N_18offset_tEEE10hipError_tPvRmT1_PNSt15iterator_traitsISY_E10value_typeET2_T3_PNSZ_IS14_E10value_typeET4_jRbjT5_S1A_jjP12ihipStream_tbEUljE_EEESV_SW_SX_S14_S18_S1A_T6_T7_T9_mT8_S1C_bDpT10_ENKUlT_T0_E_clISt17integral_constantIbLb1EES1P_EEDaS1K_S1L_EUlS1K_E_NS1_11comp_targetILNS1_3genE5ELNS1_11target_archE942ELNS1_3gpuE9ELNS1_3repE0EEENS1_30default_config_static_selectorELNS0_4arch9wavefront6targetE0EEEvSY_: ; @_ZN7rocprim17ROCPRIM_400000_NS6detail17trampoline_kernelINS0_13select_configILj256ELj13ELNS0_17block_load_methodE3ELS4_3ELS4_3ELNS0_20block_scan_algorithmE0ELj4294967295EEENS1_25partition_config_selectorILNS1_17partition_subalgoE3EjNS0_10empty_typeEbEEZZNS1_14partition_implILS8_3ELb0ES6_jNS0_17counting_iteratorIjlEEPS9_SE_NS0_5tupleIJPjSE_EEENSF_IJSE_SE_EEES9_SG_JZNS1_25segmented_radix_sort_implINS0_14default_configELb1EPKiPiPKlPlN2at6native12_GLOBAL__N_18offset_tEEE10hipError_tPvRmT1_PNSt15iterator_traitsISY_E10value_typeET2_T3_PNSZ_IS14_E10value_typeET4_jRbjT5_S1A_jjP12ihipStream_tbEUljE_EEESV_SW_SX_S14_S18_S1A_T6_T7_T9_mT8_S1C_bDpT10_ENKUlT_T0_E_clISt17integral_constantIbLb1EES1P_EEDaS1K_S1L_EUlS1K_E_NS1_11comp_targetILNS1_3genE5ELNS1_11target_archE942ELNS1_3gpuE9ELNS1_3repE0EEENS1_30default_config_static_selectorELNS0_4arch9wavefront6targetE0EEEvSY_
; %bb.0:
	.section	.rodata,"a",@progbits
	.p2align	6, 0x0
	.amdhsa_kernel _ZN7rocprim17ROCPRIM_400000_NS6detail17trampoline_kernelINS0_13select_configILj256ELj13ELNS0_17block_load_methodE3ELS4_3ELS4_3ELNS0_20block_scan_algorithmE0ELj4294967295EEENS1_25partition_config_selectorILNS1_17partition_subalgoE3EjNS0_10empty_typeEbEEZZNS1_14partition_implILS8_3ELb0ES6_jNS0_17counting_iteratorIjlEEPS9_SE_NS0_5tupleIJPjSE_EEENSF_IJSE_SE_EEES9_SG_JZNS1_25segmented_radix_sort_implINS0_14default_configELb1EPKiPiPKlPlN2at6native12_GLOBAL__N_18offset_tEEE10hipError_tPvRmT1_PNSt15iterator_traitsISY_E10value_typeET2_T3_PNSZ_IS14_E10value_typeET4_jRbjT5_S1A_jjP12ihipStream_tbEUljE_EEESV_SW_SX_S14_S18_S1A_T6_T7_T9_mT8_S1C_bDpT10_ENKUlT_T0_E_clISt17integral_constantIbLb1EES1P_EEDaS1K_S1L_EUlS1K_E_NS1_11comp_targetILNS1_3genE5ELNS1_11target_archE942ELNS1_3gpuE9ELNS1_3repE0EEENS1_30default_config_static_selectorELNS0_4arch9wavefront6targetE0EEEvSY_
		.amdhsa_group_segment_fixed_size 0
		.amdhsa_private_segment_fixed_size 0
		.amdhsa_kernarg_size 152
		.amdhsa_user_sgpr_count 15
		.amdhsa_user_sgpr_dispatch_ptr 0
		.amdhsa_user_sgpr_queue_ptr 0
		.amdhsa_user_sgpr_kernarg_segment_ptr 1
		.amdhsa_user_sgpr_dispatch_id 0
		.amdhsa_user_sgpr_private_segment_size 0
		.amdhsa_wavefront_size32 1
		.amdhsa_uses_dynamic_stack 0
		.amdhsa_enable_private_segment 0
		.amdhsa_system_sgpr_workgroup_id_x 1
		.amdhsa_system_sgpr_workgroup_id_y 0
		.amdhsa_system_sgpr_workgroup_id_z 0
		.amdhsa_system_sgpr_workgroup_info 0
		.amdhsa_system_vgpr_workitem_id 0
		.amdhsa_next_free_vgpr 1
		.amdhsa_next_free_sgpr 1
		.amdhsa_reserve_vcc 0
		.amdhsa_float_round_mode_32 0
		.amdhsa_float_round_mode_16_64 0
		.amdhsa_float_denorm_mode_32 3
		.amdhsa_float_denorm_mode_16_64 3
		.amdhsa_dx10_clamp 1
		.amdhsa_ieee_mode 1
		.amdhsa_fp16_overflow 0
		.amdhsa_workgroup_processor_mode 1
		.amdhsa_memory_ordered 1
		.amdhsa_forward_progress 0
		.amdhsa_shared_vgpr_count 0
		.amdhsa_exception_fp_ieee_invalid_op 0
		.amdhsa_exception_fp_denorm_src 0
		.amdhsa_exception_fp_ieee_div_zero 0
		.amdhsa_exception_fp_ieee_overflow 0
		.amdhsa_exception_fp_ieee_underflow 0
		.amdhsa_exception_fp_ieee_inexact 0
		.amdhsa_exception_int_div_zero 0
	.end_amdhsa_kernel
	.section	.text._ZN7rocprim17ROCPRIM_400000_NS6detail17trampoline_kernelINS0_13select_configILj256ELj13ELNS0_17block_load_methodE3ELS4_3ELS4_3ELNS0_20block_scan_algorithmE0ELj4294967295EEENS1_25partition_config_selectorILNS1_17partition_subalgoE3EjNS0_10empty_typeEbEEZZNS1_14partition_implILS8_3ELb0ES6_jNS0_17counting_iteratorIjlEEPS9_SE_NS0_5tupleIJPjSE_EEENSF_IJSE_SE_EEES9_SG_JZNS1_25segmented_radix_sort_implINS0_14default_configELb1EPKiPiPKlPlN2at6native12_GLOBAL__N_18offset_tEEE10hipError_tPvRmT1_PNSt15iterator_traitsISY_E10value_typeET2_T3_PNSZ_IS14_E10value_typeET4_jRbjT5_S1A_jjP12ihipStream_tbEUljE_EEESV_SW_SX_S14_S18_S1A_T6_T7_T9_mT8_S1C_bDpT10_ENKUlT_T0_E_clISt17integral_constantIbLb1EES1P_EEDaS1K_S1L_EUlS1K_E_NS1_11comp_targetILNS1_3genE5ELNS1_11target_archE942ELNS1_3gpuE9ELNS1_3repE0EEENS1_30default_config_static_selectorELNS0_4arch9wavefront6targetE0EEEvSY_,"axG",@progbits,_ZN7rocprim17ROCPRIM_400000_NS6detail17trampoline_kernelINS0_13select_configILj256ELj13ELNS0_17block_load_methodE3ELS4_3ELS4_3ELNS0_20block_scan_algorithmE0ELj4294967295EEENS1_25partition_config_selectorILNS1_17partition_subalgoE3EjNS0_10empty_typeEbEEZZNS1_14partition_implILS8_3ELb0ES6_jNS0_17counting_iteratorIjlEEPS9_SE_NS0_5tupleIJPjSE_EEENSF_IJSE_SE_EEES9_SG_JZNS1_25segmented_radix_sort_implINS0_14default_configELb1EPKiPiPKlPlN2at6native12_GLOBAL__N_18offset_tEEE10hipError_tPvRmT1_PNSt15iterator_traitsISY_E10value_typeET2_T3_PNSZ_IS14_E10value_typeET4_jRbjT5_S1A_jjP12ihipStream_tbEUljE_EEESV_SW_SX_S14_S18_S1A_T6_T7_T9_mT8_S1C_bDpT10_ENKUlT_T0_E_clISt17integral_constantIbLb1EES1P_EEDaS1K_S1L_EUlS1K_E_NS1_11comp_targetILNS1_3genE5ELNS1_11target_archE942ELNS1_3gpuE9ELNS1_3repE0EEENS1_30default_config_static_selectorELNS0_4arch9wavefront6targetE0EEEvSY_,comdat
.Lfunc_end474:
	.size	_ZN7rocprim17ROCPRIM_400000_NS6detail17trampoline_kernelINS0_13select_configILj256ELj13ELNS0_17block_load_methodE3ELS4_3ELS4_3ELNS0_20block_scan_algorithmE0ELj4294967295EEENS1_25partition_config_selectorILNS1_17partition_subalgoE3EjNS0_10empty_typeEbEEZZNS1_14partition_implILS8_3ELb0ES6_jNS0_17counting_iteratorIjlEEPS9_SE_NS0_5tupleIJPjSE_EEENSF_IJSE_SE_EEES9_SG_JZNS1_25segmented_radix_sort_implINS0_14default_configELb1EPKiPiPKlPlN2at6native12_GLOBAL__N_18offset_tEEE10hipError_tPvRmT1_PNSt15iterator_traitsISY_E10value_typeET2_T3_PNSZ_IS14_E10value_typeET4_jRbjT5_S1A_jjP12ihipStream_tbEUljE_EEESV_SW_SX_S14_S18_S1A_T6_T7_T9_mT8_S1C_bDpT10_ENKUlT_T0_E_clISt17integral_constantIbLb1EES1P_EEDaS1K_S1L_EUlS1K_E_NS1_11comp_targetILNS1_3genE5ELNS1_11target_archE942ELNS1_3gpuE9ELNS1_3repE0EEENS1_30default_config_static_selectorELNS0_4arch9wavefront6targetE0EEEvSY_, .Lfunc_end474-_ZN7rocprim17ROCPRIM_400000_NS6detail17trampoline_kernelINS0_13select_configILj256ELj13ELNS0_17block_load_methodE3ELS4_3ELS4_3ELNS0_20block_scan_algorithmE0ELj4294967295EEENS1_25partition_config_selectorILNS1_17partition_subalgoE3EjNS0_10empty_typeEbEEZZNS1_14partition_implILS8_3ELb0ES6_jNS0_17counting_iteratorIjlEEPS9_SE_NS0_5tupleIJPjSE_EEENSF_IJSE_SE_EEES9_SG_JZNS1_25segmented_radix_sort_implINS0_14default_configELb1EPKiPiPKlPlN2at6native12_GLOBAL__N_18offset_tEEE10hipError_tPvRmT1_PNSt15iterator_traitsISY_E10value_typeET2_T3_PNSZ_IS14_E10value_typeET4_jRbjT5_S1A_jjP12ihipStream_tbEUljE_EEESV_SW_SX_S14_S18_S1A_T6_T7_T9_mT8_S1C_bDpT10_ENKUlT_T0_E_clISt17integral_constantIbLb1EES1P_EEDaS1K_S1L_EUlS1K_E_NS1_11comp_targetILNS1_3genE5ELNS1_11target_archE942ELNS1_3gpuE9ELNS1_3repE0EEENS1_30default_config_static_selectorELNS0_4arch9wavefront6targetE0EEEvSY_
                                        ; -- End function
	.section	.AMDGPU.csdata,"",@progbits
; Kernel info:
; codeLenInByte = 0
; NumSgprs: 0
; NumVgprs: 0
; ScratchSize: 0
; MemoryBound: 0
; FloatMode: 240
; IeeeMode: 1
; LDSByteSize: 0 bytes/workgroup (compile time only)
; SGPRBlocks: 0
; VGPRBlocks: 0
; NumSGPRsForWavesPerEU: 1
; NumVGPRsForWavesPerEU: 1
; Occupancy: 16
; WaveLimiterHint : 0
; COMPUTE_PGM_RSRC2:SCRATCH_EN: 0
; COMPUTE_PGM_RSRC2:USER_SGPR: 15
; COMPUTE_PGM_RSRC2:TRAP_HANDLER: 0
; COMPUTE_PGM_RSRC2:TGID_X_EN: 1
; COMPUTE_PGM_RSRC2:TGID_Y_EN: 0
; COMPUTE_PGM_RSRC2:TGID_Z_EN: 0
; COMPUTE_PGM_RSRC2:TIDIG_COMP_CNT: 0
	.section	.text._ZN7rocprim17ROCPRIM_400000_NS6detail17trampoline_kernelINS0_13select_configILj256ELj13ELNS0_17block_load_methodE3ELS4_3ELS4_3ELNS0_20block_scan_algorithmE0ELj4294967295EEENS1_25partition_config_selectorILNS1_17partition_subalgoE3EjNS0_10empty_typeEbEEZZNS1_14partition_implILS8_3ELb0ES6_jNS0_17counting_iteratorIjlEEPS9_SE_NS0_5tupleIJPjSE_EEENSF_IJSE_SE_EEES9_SG_JZNS1_25segmented_radix_sort_implINS0_14default_configELb1EPKiPiPKlPlN2at6native12_GLOBAL__N_18offset_tEEE10hipError_tPvRmT1_PNSt15iterator_traitsISY_E10value_typeET2_T3_PNSZ_IS14_E10value_typeET4_jRbjT5_S1A_jjP12ihipStream_tbEUljE_EEESV_SW_SX_S14_S18_S1A_T6_T7_T9_mT8_S1C_bDpT10_ENKUlT_T0_E_clISt17integral_constantIbLb1EES1P_EEDaS1K_S1L_EUlS1K_E_NS1_11comp_targetILNS1_3genE4ELNS1_11target_archE910ELNS1_3gpuE8ELNS1_3repE0EEENS1_30default_config_static_selectorELNS0_4arch9wavefront6targetE0EEEvSY_,"axG",@progbits,_ZN7rocprim17ROCPRIM_400000_NS6detail17trampoline_kernelINS0_13select_configILj256ELj13ELNS0_17block_load_methodE3ELS4_3ELS4_3ELNS0_20block_scan_algorithmE0ELj4294967295EEENS1_25partition_config_selectorILNS1_17partition_subalgoE3EjNS0_10empty_typeEbEEZZNS1_14partition_implILS8_3ELb0ES6_jNS0_17counting_iteratorIjlEEPS9_SE_NS0_5tupleIJPjSE_EEENSF_IJSE_SE_EEES9_SG_JZNS1_25segmented_radix_sort_implINS0_14default_configELb1EPKiPiPKlPlN2at6native12_GLOBAL__N_18offset_tEEE10hipError_tPvRmT1_PNSt15iterator_traitsISY_E10value_typeET2_T3_PNSZ_IS14_E10value_typeET4_jRbjT5_S1A_jjP12ihipStream_tbEUljE_EEESV_SW_SX_S14_S18_S1A_T6_T7_T9_mT8_S1C_bDpT10_ENKUlT_T0_E_clISt17integral_constantIbLb1EES1P_EEDaS1K_S1L_EUlS1K_E_NS1_11comp_targetILNS1_3genE4ELNS1_11target_archE910ELNS1_3gpuE8ELNS1_3repE0EEENS1_30default_config_static_selectorELNS0_4arch9wavefront6targetE0EEEvSY_,comdat
	.globl	_ZN7rocprim17ROCPRIM_400000_NS6detail17trampoline_kernelINS0_13select_configILj256ELj13ELNS0_17block_load_methodE3ELS4_3ELS4_3ELNS0_20block_scan_algorithmE0ELj4294967295EEENS1_25partition_config_selectorILNS1_17partition_subalgoE3EjNS0_10empty_typeEbEEZZNS1_14partition_implILS8_3ELb0ES6_jNS0_17counting_iteratorIjlEEPS9_SE_NS0_5tupleIJPjSE_EEENSF_IJSE_SE_EEES9_SG_JZNS1_25segmented_radix_sort_implINS0_14default_configELb1EPKiPiPKlPlN2at6native12_GLOBAL__N_18offset_tEEE10hipError_tPvRmT1_PNSt15iterator_traitsISY_E10value_typeET2_T3_PNSZ_IS14_E10value_typeET4_jRbjT5_S1A_jjP12ihipStream_tbEUljE_EEESV_SW_SX_S14_S18_S1A_T6_T7_T9_mT8_S1C_bDpT10_ENKUlT_T0_E_clISt17integral_constantIbLb1EES1P_EEDaS1K_S1L_EUlS1K_E_NS1_11comp_targetILNS1_3genE4ELNS1_11target_archE910ELNS1_3gpuE8ELNS1_3repE0EEENS1_30default_config_static_selectorELNS0_4arch9wavefront6targetE0EEEvSY_ ; -- Begin function _ZN7rocprim17ROCPRIM_400000_NS6detail17trampoline_kernelINS0_13select_configILj256ELj13ELNS0_17block_load_methodE3ELS4_3ELS4_3ELNS0_20block_scan_algorithmE0ELj4294967295EEENS1_25partition_config_selectorILNS1_17partition_subalgoE3EjNS0_10empty_typeEbEEZZNS1_14partition_implILS8_3ELb0ES6_jNS0_17counting_iteratorIjlEEPS9_SE_NS0_5tupleIJPjSE_EEENSF_IJSE_SE_EEES9_SG_JZNS1_25segmented_radix_sort_implINS0_14default_configELb1EPKiPiPKlPlN2at6native12_GLOBAL__N_18offset_tEEE10hipError_tPvRmT1_PNSt15iterator_traitsISY_E10value_typeET2_T3_PNSZ_IS14_E10value_typeET4_jRbjT5_S1A_jjP12ihipStream_tbEUljE_EEESV_SW_SX_S14_S18_S1A_T6_T7_T9_mT8_S1C_bDpT10_ENKUlT_T0_E_clISt17integral_constantIbLb1EES1P_EEDaS1K_S1L_EUlS1K_E_NS1_11comp_targetILNS1_3genE4ELNS1_11target_archE910ELNS1_3gpuE8ELNS1_3repE0EEENS1_30default_config_static_selectorELNS0_4arch9wavefront6targetE0EEEvSY_
	.p2align	8
	.type	_ZN7rocprim17ROCPRIM_400000_NS6detail17trampoline_kernelINS0_13select_configILj256ELj13ELNS0_17block_load_methodE3ELS4_3ELS4_3ELNS0_20block_scan_algorithmE0ELj4294967295EEENS1_25partition_config_selectorILNS1_17partition_subalgoE3EjNS0_10empty_typeEbEEZZNS1_14partition_implILS8_3ELb0ES6_jNS0_17counting_iteratorIjlEEPS9_SE_NS0_5tupleIJPjSE_EEENSF_IJSE_SE_EEES9_SG_JZNS1_25segmented_radix_sort_implINS0_14default_configELb1EPKiPiPKlPlN2at6native12_GLOBAL__N_18offset_tEEE10hipError_tPvRmT1_PNSt15iterator_traitsISY_E10value_typeET2_T3_PNSZ_IS14_E10value_typeET4_jRbjT5_S1A_jjP12ihipStream_tbEUljE_EEESV_SW_SX_S14_S18_S1A_T6_T7_T9_mT8_S1C_bDpT10_ENKUlT_T0_E_clISt17integral_constantIbLb1EES1P_EEDaS1K_S1L_EUlS1K_E_NS1_11comp_targetILNS1_3genE4ELNS1_11target_archE910ELNS1_3gpuE8ELNS1_3repE0EEENS1_30default_config_static_selectorELNS0_4arch9wavefront6targetE0EEEvSY_,@function
_ZN7rocprim17ROCPRIM_400000_NS6detail17trampoline_kernelINS0_13select_configILj256ELj13ELNS0_17block_load_methodE3ELS4_3ELS4_3ELNS0_20block_scan_algorithmE0ELj4294967295EEENS1_25partition_config_selectorILNS1_17partition_subalgoE3EjNS0_10empty_typeEbEEZZNS1_14partition_implILS8_3ELb0ES6_jNS0_17counting_iteratorIjlEEPS9_SE_NS0_5tupleIJPjSE_EEENSF_IJSE_SE_EEES9_SG_JZNS1_25segmented_radix_sort_implINS0_14default_configELb1EPKiPiPKlPlN2at6native12_GLOBAL__N_18offset_tEEE10hipError_tPvRmT1_PNSt15iterator_traitsISY_E10value_typeET2_T3_PNSZ_IS14_E10value_typeET4_jRbjT5_S1A_jjP12ihipStream_tbEUljE_EEESV_SW_SX_S14_S18_S1A_T6_T7_T9_mT8_S1C_bDpT10_ENKUlT_T0_E_clISt17integral_constantIbLb1EES1P_EEDaS1K_S1L_EUlS1K_E_NS1_11comp_targetILNS1_3genE4ELNS1_11target_archE910ELNS1_3gpuE8ELNS1_3repE0EEENS1_30default_config_static_selectorELNS0_4arch9wavefront6targetE0EEEvSY_: ; @_ZN7rocprim17ROCPRIM_400000_NS6detail17trampoline_kernelINS0_13select_configILj256ELj13ELNS0_17block_load_methodE3ELS4_3ELS4_3ELNS0_20block_scan_algorithmE0ELj4294967295EEENS1_25partition_config_selectorILNS1_17partition_subalgoE3EjNS0_10empty_typeEbEEZZNS1_14partition_implILS8_3ELb0ES6_jNS0_17counting_iteratorIjlEEPS9_SE_NS0_5tupleIJPjSE_EEENSF_IJSE_SE_EEES9_SG_JZNS1_25segmented_radix_sort_implINS0_14default_configELb1EPKiPiPKlPlN2at6native12_GLOBAL__N_18offset_tEEE10hipError_tPvRmT1_PNSt15iterator_traitsISY_E10value_typeET2_T3_PNSZ_IS14_E10value_typeET4_jRbjT5_S1A_jjP12ihipStream_tbEUljE_EEESV_SW_SX_S14_S18_S1A_T6_T7_T9_mT8_S1C_bDpT10_ENKUlT_T0_E_clISt17integral_constantIbLb1EES1P_EEDaS1K_S1L_EUlS1K_E_NS1_11comp_targetILNS1_3genE4ELNS1_11target_archE910ELNS1_3gpuE8ELNS1_3repE0EEENS1_30default_config_static_selectorELNS0_4arch9wavefront6targetE0EEEvSY_
; %bb.0:
	.section	.rodata,"a",@progbits
	.p2align	6, 0x0
	.amdhsa_kernel _ZN7rocprim17ROCPRIM_400000_NS6detail17trampoline_kernelINS0_13select_configILj256ELj13ELNS0_17block_load_methodE3ELS4_3ELS4_3ELNS0_20block_scan_algorithmE0ELj4294967295EEENS1_25partition_config_selectorILNS1_17partition_subalgoE3EjNS0_10empty_typeEbEEZZNS1_14partition_implILS8_3ELb0ES6_jNS0_17counting_iteratorIjlEEPS9_SE_NS0_5tupleIJPjSE_EEENSF_IJSE_SE_EEES9_SG_JZNS1_25segmented_radix_sort_implINS0_14default_configELb1EPKiPiPKlPlN2at6native12_GLOBAL__N_18offset_tEEE10hipError_tPvRmT1_PNSt15iterator_traitsISY_E10value_typeET2_T3_PNSZ_IS14_E10value_typeET4_jRbjT5_S1A_jjP12ihipStream_tbEUljE_EEESV_SW_SX_S14_S18_S1A_T6_T7_T9_mT8_S1C_bDpT10_ENKUlT_T0_E_clISt17integral_constantIbLb1EES1P_EEDaS1K_S1L_EUlS1K_E_NS1_11comp_targetILNS1_3genE4ELNS1_11target_archE910ELNS1_3gpuE8ELNS1_3repE0EEENS1_30default_config_static_selectorELNS0_4arch9wavefront6targetE0EEEvSY_
		.amdhsa_group_segment_fixed_size 0
		.amdhsa_private_segment_fixed_size 0
		.amdhsa_kernarg_size 152
		.amdhsa_user_sgpr_count 15
		.amdhsa_user_sgpr_dispatch_ptr 0
		.amdhsa_user_sgpr_queue_ptr 0
		.amdhsa_user_sgpr_kernarg_segment_ptr 1
		.amdhsa_user_sgpr_dispatch_id 0
		.amdhsa_user_sgpr_private_segment_size 0
		.amdhsa_wavefront_size32 1
		.amdhsa_uses_dynamic_stack 0
		.amdhsa_enable_private_segment 0
		.amdhsa_system_sgpr_workgroup_id_x 1
		.amdhsa_system_sgpr_workgroup_id_y 0
		.amdhsa_system_sgpr_workgroup_id_z 0
		.amdhsa_system_sgpr_workgroup_info 0
		.amdhsa_system_vgpr_workitem_id 0
		.amdhsa_next_free_vgpr 1
		.amdhsa_next_free_sgpr 1
		.amdhsa_reserve_vcc 0
		.amdhsa_float_round_mode_32 0
		.amdhsa_float_round_mode_16_64 0
		.amdhsa_float_denorm_mode_32 3
		.amdhsa_float_denorm_mode_16_64 3
		.amdhsa_dx10_clamp 1
		.amdhsa_ieee_mode 1
		.amdhsa_fp16_overflow 0
		.amdhsa_workgroup_processor_mode 1
		.amdhsa_memory_ordered 1
		.amdhsa_forward_progress 0
		.amdhsa_shared_vgpr_count 0
		.amdhsa_exception_fp_ieee_invalid_op 0
		.amdhsa_exception_fp_denorm_src 0
		.amdhsa_exception_fp_ieee_div_zero 0
		.amdhsa_exception_fp_ieee_overflow 0
		.amdhsa_exception_fp_ieee_underflow 0
		.amdhsa_exception_fp_ieee_inexact 0
		.amdhsa_exception_int_div_zero 0
	.end_amdhsa_kernel
	.section	.text._ZN7rocprim17ROCPRIM_400000_NS6detail17trampoline_kernelINS0_13select_configILj256ELj13ELNS0_17block_load_methodE3ELS4_3ELS4_3ELNS0_20block_scan_algorithmE0ELj4294967295EEENS1_25partition_config_selectorILNS1_17partition_subalgoE3EjNS0_10empty_typeEbEEZZNS1_14partition_implILS8_3ELb0ES6_jNS0_17counting_iteratorIjlEEPS9_SE_NS0_5tupleIJPjSE_EEENSF_IJSE_SE_EEES9_SG_JZNS1_25segmented_radix_sort_implINS0_14default_configELb1EPKiPiPKlPlN2at6native12_GLOBAL__N_18offset_tEEE10hipError_tPvRmT1_PNSt15iterator_traitsISY_E10value_typeET2_T3_PNSZ_IS14_E10value_typeET4_jRbjT5_S1A_jjP12ihipStream_tbEUljE_EEESV_SW_SX_S14_S18_S1A_T6_T7_T9_mT8_S1C_bDpT10_ENKUlT_T0_E_clISt17integral_constantIbLb1EES1P_EEDaS1K_S1L_EUlS1K_E_NS1_11comp_targetILNS1_3genE4ELNS1_11target_archE910ELNS1_3gpuE8ELNS1_3repE0EEENS1_30default_config_static_selectorELNS0_4arch9wavefront6targetE0EEEvSY_,"axG",@progbits,_ZN7rocprim17ROCPRIM_400000_NS6detail17trampoline_kernelINS0_13select_configILj256ELj13ELNS0_17block_load_methodE3ELS4_3ELS4_3ELNS0_20block_scan_algorithmE0ELj4294967295EEENS1_25partition_config_selectorILNS1_17partition_subalgoE3EjNS0_10empty_typeEbEEZZNS1_14partition_implILS8_3ELb0ES6_jNS0_17counting_iteratorIjlEEPS9_SE_NS0_5tupleIJPjSE_EEENSF_IJSE_SE_EEES9_SG_JZNS1_25segmented_radix_sort_implINS0_14default_configELb1EPKiPiPKlPlN2at6native12_GLOBAL__N_18offset_tEEE10hipError_tPvRmT1_PNSt15iterator_traitsISY_E10value_typeET2_T3_PNSZ_IS14_E10value_typeET4_jRbjT5_S1A_jjP12ihipStream_tbEUljE_EEESV_SW_SX_S14_S18_S1A_T6_T7_T9_mT8_S1C_bDpT10_ENKUlT_T0_E_clISt17integral_constantIbLb1EES1P_EEDaS1K_S1L_EUlS1K_E_NS1_11comp_targetILNS1_3genE4ELNS1_11target_archE910ELNS1_3gpuE8ELNS1_3repE0EEENS1_30default_config_static_selectorELNS0_4arch9wavefront6targetE0EEEvSY_,comdat
.Lfunc_end475:
	.size	_ZN7rocprim17ROCPRIM_400000_NS6detail17trampoline_kernelINS0_13select_configILj256ELj13ELNS0_17block_load_methodE3ELS4_3ELS4_3ELNS0_20block_scan_algorithmE0ELj4294967295EEENS1_25partition_config_selectorILNS1_17partition_subalgoE3EjNS0_10empty_typeEbEEZZNS1_14partition_implILS8_3ELb0ES6_jNS0_17counting_iteratorIjlEEPS9_SE_NS0_5tupleIJPjSE_EEENSF_IJSE_SE_EEES9_SG_JZNS1_25segmented_radix_sort_implINS0_14default_configELb1EPKiPiPKlPlN2at6native12_GLOBAL__N_18offset_tEEE10hipError_tPvRmT1_PNSt15iterator_traitsISY_E10value_typeET2_T3_PNSZ_IS14_E10value_typeET4_jRbjT5_S1A_jjP12ihipStream_tbEUljE_EEESV_SW_SX_S14_S18_S1A_T6_T7_T9_mT8_S1C_bDpT10_ENKUlT_T0_E_clISt17integral_constantIbLb1EES1P_EEDaS1K_S1L_EUlS1K_E_NS1_11comp_targetILNS1_3genE4ELNS1_11target_archE910ELNS1_3gpuE8ELNS1_3repE0EEENS1_30default_config_static_selectorELNS0_4arch9wavefront6targetE0EEEvSY_, .Lfunc_end475-_ZN7rocprim17ROCPRIM_400000_NS6detail17trampoline_kernelINS0_13select_configILj256ELj13ELNS0_17block_load_methodE3ELS4_3ELS4_3ELNS0_20block_scan_algorithmE0ELj4294967295EEENS1_25partition_config_selectorILNS1_17partition_subalgoE3EjNS0_10empty_typeEbEEZZNS1_14partition_implILS8_3ELb0ES6_jNS0_17counting_iteratorIjlEEPS9_SE_NS0_5tupleIJPjSE_EEENSF_IJSE_SE_EEES9_SG_JZNS1_25segmented_radix_sort_implINS0_14default_configELb1EPKiPiPKlPlN2at6native12_GLOBAL__N_18offset_tEEE10hipError_tPvRmT1_PNSt15iterator_traitsISY_E10value_typeET2_T3_PNSZ_IS14_E10value_typeET4_jRbjT5_S1A_jjP12ihipStream_tbEUljE_EEESV_SW_SX_S14_S18_S1A_T6_T7_T9_mT8_S1C_bDpT10_ENKUlT_T0_E_clISt17integral_constantIbLb1EES1P_EEDaS1K_S1L_EUlS1K_E_NS1_11comp_targetILNS1_3genE4ELNS1_11target_archE910ELNS1_3gpuE8ELNS1_3repE0EEENS1_30default_config_static_selectorELNS0_4arch9wavefront6targetE0EEEvSY_
                                        ; -- End function
	.section	.AMDGPU.csdata,"",@progbits
; Kernel info:
; codeLenInByte = 0
; NumSgprs: 0
; NumVgprs: 0
; ScratchSize: 0
; MemoryBound: 0
; FloatMode: 240
; IeeeMode: 1
; LDSByteSize: 0 bytes/workgroup (compile time only)
; SGPRBlocks: 0
; VGPRBlocks: 0
; NumSGPRsForWavesPerEU: 1
; NumVGPRsForWavesPerEU: 1
; Occupancy: 16
; WaveLimiterHint : 0
; COMPUTE_PGM_RSRC2:SCRATCH_EN: 0
; COMPUTE_PGM_RSRC2:USER_SGPR: 15
; COMPUTE_PGM_RSRC2:TRAP_HANDLER: 0
; COMPUTE_PGM_RSRC2:TGID_X_EN: 1
; COMPUTE_PGM_RSRC2:TGID_Y_EN: 0
; COMPUTE_PGM_RSRC2:TGID_Z_EN: 0
; COMPUTE_PGM_RSRC2:TIDIG_COMP_CNT: 0
	.section	.text._ZN7rocprim17ROCPRIM_400000_NS6detail17trampoline_kernelINS0_13select_configILj256ELj13ELNS0_17block_load_methodE3ELS4_3ELS4_3ELNS0_20block_scan_algorithmE0ELj4294967295EEENS1_25partition_config_selectorILNS1_17partition_subalgoE3EjNS0_10empty_typeEbEEZZNS1_14partition_implILS8_3ELb0ES6_jNS0_17counting_iteratorIjlEEPS9_SE_NS0_5tupleIJPjSE_EEENSF_IJSE_SE_EEES9_SG_JZNS1_25segmented_radix_sort_implINS0_14default_configELb1EPKiPiPKlPlN2at6native12_GLOBAL__N_18offset_tEEE10hipError_tPvRmT1_PNSt15iterator_traitsISY_E10value_typeET2_T3_PNSZ_IS14_E10value_typeET4_jRbjT5_S1A_jjP12ihipStream_tbEUljE_EEESV_SW_SX_S14_S18_S1A_T6_T7_T9_mT8_S1C_bDpT10_ENKUlT_T0_E_clISt17integral_constantIbLb1EES1P_EEDaS1K_S1L_EUlS1K_E_NS1_11comp_targetILNS1_3genE3ELNS1_11target_archE908ELNS1_3gpuE7ELNS1_3repE0EEENS1_30default_config_static_selectorELNS0_4arch9wavefront6targetE0EEEvSY_,"axG",@progbits,_ZN7rocprim17ROCPRIM_400000_NS6detail17trampoline_kernelINS0_13select_configILj256ELj13ELNS0_17block_load_methodE3ELS4_3ELS4_3ELNS0_20block_scan_algorithmE0ELj4294967295EEENS1_25partition_config_selectorILNS1_17partition_subalgoE3EjNS0_10empty_typeEbEEZZNS1_14partition_implILS8_3ELb0ES6_jNS0_17counting_iteratorIjlEEPS9_SE_NS0_5tupleIJPjSE_EEENSF_IJSE_SE_EEES9_SG_JZNS1_25segmented_radix_sort_implINS0_14default_configELb1EPKiPiPKlPlN2at6native12_GLOBAL__N_18offset_tEEE10hipError_tPvRmT1_PNSt15iterator_traitsISY_E10value_typeET2_T3_PNSZ_IS14_E10value_typeET4_jRbjT5_S1A_jjP12ihipStream_tbEUljE_EEESV_SW_SX_S14_S18_S1A_T6_T7_T9_mT8_S1C_bDpT10_ENKUlT_T0_E_clISt17integral_constantIbLb1EES1P_EEDaS1K_S1L_EUlS1K_E_NS1_11comp_targetILNS1_3genE3ELNS1_11target_archE908ELNS1_3gpuE7ELNS1_3repE0EEENS1_30default_config_static_selectorELNS0_4arch9wavefront6targetE0EEEvSY_,comdat
	.globl	_ZN7rocprim17ROCPRIM_400000_NS6detail17trampoline_kernelINS0_13select_configILj256ELj13ELNS0_17block_load_methodE3ELS4_3ELS4_3ELNS0_20block_scan_algorithmE0ELj4294967295EEENS1_25partition_config_selectorILNS1_17partition_subalgoE3EjNS0_10empty_typeEbEEZZNS1_14partition_implILS8_3ELb0ES6_jNS0_17counting_iteratorIjlEEPS9_SE_NS0_5tupleIJPjSE_EEENSF_IJSE_SE_EEES9_SG_JZNS1_25segmented_radix_sort_implINS0_14default_configELb1EPKiPiPKlPlN2at6native12_GLOBAL__N_18offset_tEEE10hipError_tPvRmT1_PNSt15iterator_traitsISY_E10value_typeET2_T3_PNSZ_IS14_E10value_typeET4_jRbjT5_S1A_jjP12ihipStream_tbEUljE_EEESV_SW_SX_S14_S18_S1A_T6_T7_T9_mT8_S1C_bDpT10_ENKUlT_T0_E_clISt17integral_constantIbLb1EES1P_EEDaS1K_S1L_EUlS1K_E_NS1_11comp_targetILNS1_3genE3ELNS1_11target_archE908ELNS1_3gpuE7ELNS1_3repE0EEENS1_30default_config_static_selectorELNS0_4arch9wavefront6targetE0EEEvSY_ ; -- Begin function _ZN7rocprim17ROCPRIM_400000_NS6detail17trampoline_kernelINS0_13select_configILj256ELj13ELNS0_17block_load_methodE3ELS4_3ELS4_3ELNS0_20block_scan_algorithmE0ELj4294967295EEENS1_25partition_config_selectorILNS1_17partition_subalgoE3EjNS0_10empty_typeEbEEZZNS1_14partition_implILS8_3ELb0ES6_jNS0_17counting_iteratorIjlEEPS9_SE_NS0_5tupleIJPjSE_EEENSF_IJSE_SE_EEES9_SG_JZNS1_25segmented_radix_sort_implINS0_14default_configELb1EPKiPiPKlPlN2at6native12_GLOBAL__N_18offset_tEEE10hipError_tPvRmT1_PNSt15iterator_traitsISY_E10value_typeET2_T3_PNSZ_IS14_E10value_typeET4_jRbjT5_S1A_jjP12ihipStream_tbEUljE_EEESV_SW_SX_S14_S18_S1A_T6_T7_T9_mT8_S1C_bDpT10_ENKUlT_T0_E_clISt17integral_constantIbLb1EES1P_EEDaS1K_S1L_EUlS1K_E_NS1_11comp_targetILNS1_3genE3ELNS1_11target_archE908ELNS1_3gpuE7ELNS1_3repE0EEENS1_30default_config_static_selectorELNS0_4arch9wavefront6targetE0EEEvSY_
	.p2align	8
	.type	_ZN7rocprim17ROCPRIM_400000_NS6detail17trampoline_kernelINS0_13select_configILj256ELj13ELNS0_17block_load_methodE3ELS4_3ELS4_3ELNS0_20block_scan_algorithmE0ELj4294967295EEENS1_25partition_config_selectorILNS1_17partition_subalgoE3EjNS0_10empty_typeEbEEZZNS1_14partition_implILS8_3ELb0ES6_jNS0_17counting_iteratorIjlEEPS9_SE_NS0_5tupleIJPjSE_EEENSF_IJSE_SE_EEES9_SG_JZNS1_25segmented_radix_sort_implINS0_14default_configELb1EPKiPiPKlPlN2at6native12_GLOBAL__N_18offset_tEEE10hipError_tPvRmT1_PNSt15iterator_traitsISY_E10value_typeET2_T3_PNSZ_IS14_E10value_typeET4_jRbjT5_S1A_jjP12ihipStream_tbEUljE_EEESV_SW_SX_S14_S18_S1A_T6_T7_T9_mT8_S1C_bDpT10_ENKUlT_T0_E_clISt17integral_constantIbLb1EES1P_EEDaS1K_S1L_EUlS1K_E_NS1_11comp_targetILNS1_3genE3ELNS1_11target_archE908ELNS1_3gpuE7ELNS1_3repE0EEENS1_30default_config_static_selectorELNS0_4arch9wavefront6targetE0EEEvSY_,@function
_ZN7rocprim17ROCPRIM_400000_NS6detail17trampoline_kernelINS0_13select_configILj256ELj13ELNS0_17block_load_methodE3ELS4_3ELS4_3ELNS0_20block_scan_algorithmE0ELj4294967295EEENS1_25partition_config_selectorILNS1_17partition_subalgoE3EjNS0_10empty_typeEbEEZZNS1_14partition_implILS8_3ELb0ES6_jNS0_17counting_iteratorIjlEEPS9_SE_NS0_5tupleIJPjSE_EEENSF_IJSE_SE_EEES9_SG_JZNS1_25segmented_radix_sort_implINS0_14default_configELb1EPKiPiPKlPlN2at6native12_GLOBAL__N_18offset_tEEE10hipError_tPvRmT1_PNSt15iterator_traitsISY_E10value_typeET2_T3_PNSZ_IS14_E10value_typeET4_jRbjT5_S1A_jjP12ihipStream_tbEUljE_EEESV_SW_SX_S14_S18_S1A_T6_T7_T9_mT8_S1C_bDpT10_ENKUlT_T0_E_clISt17integral_constantIbLb1EES1P_EEDaS1K_S1L_EUlS1K_E_NS1_11comp_targetILNS1_3genE3ELNS1_11target_archE908ELNS1_3gpuE7ELNS1_3repE0EEENS1_30default_config_static_selectorELNS0_4arch9wavefront6targetE0EEEvSY_: ; @_ZN7rocprim17ROCPRIM_400000_NS6detail17trampoline_kernelINS0_13select_configILj256ELj13ELNS0_17block_load_methodE3ELS4_3ELS4_3ELNS0_20block_scan_algorithmE0ELj4294967295EEENS1_25partition_config_selectorILNS1_17partition_subalgoE3EjNS0_10empty_typeEbEEZZNS1_14partition_implILS8_3ELb0ES6_jNS0_17counting_iteratorIjlEEPS9_SE_NS0_5tupleIJPjSE_EEENSF_IJSE_SE_EEES9_SG_JZNS1_25segmented_radix_sort_implINS0_14default_configELb1EPKiPiPKlPlN2at6native12_GLOBAL__N_18offset_tEEE10hipError_tPvRmT1_PNSt15iterator_traitsISY_E10value_typeET2_T3_PNSZ_IS14_E10value_typeET4_jRbjT5_S1A_jjP12ihipStream_tbEUljE_EEESV_SW_SX_S14_S18_S1A_T6_T7_T9_mT8_S1C_bDpT10_ENKUlT_T0_E_clISt17integral_constantIbLb1EES1P_EEDaS1K_S1L_EUlS1K_E_NS1_11comp_targetILNS1_3genE3ELNS1_11target_archE908ELNS1_3gpuE7ELNS1_3repE0EEENS1_30default_config_static_selectorELNS0_4arch9wavefront6targetE0EEEvSY_
; %bb.0:
	.section	.rodata,"a",@progbits
	.p2align	6, 0x0
	.amdhsa_kernel _ZN7rocprim17ROCPRIM_400000_NS6detail17trampoline_kernelINS0_13select_configILj256ELj13ELNS0_17block_load_methodE3ELS4_3ELS4_3ELNS0_20block_scan_algorithmE0ELj4294967295EEENS1_25partition_config_selectorILNS1_17partition_subalgoE3EjNS0_10empty_typeEbEEZZNS1_14partition_implILS8_3ELb0ES6_jNS0_17counting_iteratorIjlEEPS9_SE_NS0_5tupleIJPjSE_EEENSF_IJSE_SE_EEES9_SG_JZNS1_25segmented_radix_sort_implINS0_14default_configELb1EPKiPiPKlPlN2at6native12_GLOBAL__N_18offset_tEEE10hipError_tPvRmT1_PNSt15iterator_traitsISY_E10value_typeET2_T3_PNSZ_IS14_E10value_typeET4_jRbjT5_S1A_jjP12ihipStream_tbEUljE_EEESV_SW_SX_S14_S18_S1A_T6_T7_T9_mT8_S1C_bDpT10_ENKUlT_T0_E_clISt17integral_constantIbLb1EES1P_EEDaS1K_S1L_EUlS1K_E_NS1_11comp_targetILNS1_3genE3ELNS1_11target_archE908ELNS1_3gpuE7ELNS1_3repE0EEENS1_30default_config_static_selectorELNS0_4arch9wavefront6targetE0EEEvSY_
		.amdhsa_group_segment_fixed_size 0
		.amdhsa_private_segment_fixed_size 0
		.amdhsa_kernarg_size 152
		.amdhsa_user_sgpr_count 15
		.amdhsa_user_sgpr_dispatch_ptr 0
		.amdhsa_user_sgpr_queue_ptr 0
		.amdhsa_user_sgpr_kernarg_segment_ptr 1
		.amdhsa_user_sgpr_dispatch_id 0
		.amdhsa_user_sgpr_private_segment_size 0
		.amdhsa_wavefront_size32 1
		.amdhsa_uses_dynamic_stack 0
		.amdhsa_enable_private_segment 0
		.amdhsa_system_sgpr_workgroup_id_x 1
		.amdhsa_system_sgpr_workgroup_id_y 0
		.amdhsa_system_sgpr_workgroup_id_z 0
		.amdhsa_system_sgpr_workgroup_info 0
		.amdhsa_system_vgpr_workitem_id 0
		.amdhsa_next_free_vgpr 1
		.amdhsa_next_free_sgpr 1
		.amdhsa_reserve_vcc 0
		.amdhsa_float_round_mode_32 0
		.amdhsa_float_round_mode_16_64 0
		.amdhsa_float_denorm_mode_32 3
		.amdhsa_float_denorm_mode_16_64 3
		.amdhsa_dx10_clamp 1
		.amdhsa_ieee_mode 1
		.amdhsa_fp16_overflow 0
		.amdhsa_workgroup_processor_mode 1
		.amdhsa_memory_ordered 1
		.amdhsa_forward_progress 0
		.amdhsa_shared_vgpr_count 0
		.amdhsa_exception_fp_ieee_invalid_op 0
		.amdhsa_exception_fp_denorm_src 0
		.amdhsa_exception_fp_ieee_div_zero 0
		.amdhsa_exception_fp_ieee_overflow 0
		.amdhsa_exception_fp_ieee_underflow 0
		.amdhsa_exception_fp_ieee_inexact 0
		.amdhsa_exception_int_div_zero 0
	.end_amdhsa_kernel
	.section	.text._ZN7rocprim17ROCPRIM_400000_NS6detail17trampoline_kernelINS0_13select_configILj256ELj13ELNS0_17block_load_methodE3ELS4_3ELS4_3ELNS0_20block_scan_algorithmE0ELj4294967295EEENS1_25partition_config_selectorILNS1_17partition_subalgoE3EjNS0_10empty_typeEbEEZZNS1_14partition_implILS8_3ELb0ES6_jNS0_17counting_iteratorIjlEEPS9_SE_NS0_5tupleIJPjSE_EEENSF_IJSE_SE_EEES9_SG_JZNS1_25segmented_radix_sort_implINS0_14default_configELb1EPKiPiPKlPlN2at6native12_GLOBAL__N_18offset_tEEE10hipError_tPvRmT1_PNSt15iterator_traitsISY_E10value_typeET2_T3_PNSZ_IS14_E10value_typeET4_jRbjT5_S1A_jjP12ihipStream_tbEUljE_EEESV_SW_SX_S14_S18_S1A_T6_T7_T9_mT8_S1C_bDpT10_ENKUlT_T0_E_clISt17integral_constantIbLb1EES1P_EEDaS1K_S1L_EUlS1K_E_NS1_11comp_targetILNS1_3genE3ELNS1_11target_archE908ELNS1_3gpuE7ELNS1_3repE0EEENS1_30default_config_static_selectorELNS0_4arch9wavefront6targetE0EEEvSY_,"axG",@progbits,_ZN7rocprim17ROCPRIM_400000_NS6detail17trampoline_kernelINS0_13select_configILj256ELj13ELNS0_17block_load_methodE3ELS4_3ELS4_3ELNS0_20block_scan_algorithmE0ELj4294967295EEENS1_25partition_config_selectorILNS1_17partition_subalgoE3EjNS0_10empty_typeEbEEZZNS1_14partition_implILS8_3ELb0ES6_jNS0_17counting_iteratorIjlEEPS9_SE_NS0_5tupleIJPjSE_EEENSF_IJSE_SE_EEES9_SG_JZNS1_25segmented_radix_sort_implINS0_14default_configELb1EPKiPiPKlPlN2at6native12_GLOBAL__N_18offset_tEEE10hipError_tPvRmT1_PNSt15iterator_traitsISY_E10value_typeET2_T3_PNSZ_IS14_E10value_typeET4_jRbjT5_S1A_jjP12ihipStream_tbEUljE_EEESV_SW_SX_S14_S18_S1A_T6_T7_T9_mT8_S1C_bDpT10_ENKUlT_T0_E_clISt17integral_constantIbLb1EES1P_EEDaS1K_S1L_EUlS1K_E_NS1_11comp_targetILNS1_3genE3ELNS1_11target_archE908ELNS1_3gpuE7ELNS1_3repE0EEENS1_30default_config_static_selectorELNS0_4arch9wavefront6targetE0EEEvSY_,comdat
.Lfunc_end476:
	.size	_ZN7rocprim17ROCPRIM_400000_NS6detail17trampoline_kernelINS0_13select_configILj256ELj13ELNS0_17block_load_methodE3ELS4_3ELS4_3ELNS0_20block_scan_algorithmE0ELj4294967295EEENS1_25partition_config_selectorILNS1_17partition_subalgoE3EjNS0_10empty_typeEbEEZZNS1_14partition_implILS8_3ELb0ES6_jNS0_17counting_iteratorIjlEEPS9_SE_NS0_5tupleIJPjSE_EEENSF_IJSE_SE_EEES9_SG_JZNS1_25segmented_radix_sort_implINS0_14default_configELb1EPKiPiPKlPlN2at6native12_GLOBAL__N_18offset_tEEE10hipError_tPvRmT1_PNSt15iterator_traitsISY_E10value_typeET2_T3_PNSZ_IS14_E10value_typeET4_jRbjT5_S1A_jjP12ihipStream_tbEUljE_EEESV_SW_SX_S14_S18_S1A_T6_T7_T9_mT8_S1C_bDpT10_ENKUlT_T0_E_clISt17integral_constantIbLb1EES1P_EEDaS1K_S1L_EUlS1K_E_NS1_11comp_targetILNS1_3genE3ELNS1_11target_archE908ELNS1_3gpuE7ELNS1_3repE0EEENS1_30default_config_static_selectorELNS0_4arch9wavefront6targetE0EEEvSY_, .Lfunc_end476-_ZN7rocprim17ROCPRIM_400000_NS6detail17trampoline_kernelINS0_13select_configILj256ELj13ELNS0_17block_load_methodE3ELS4_3ELS4_3ELNS0_20block_scan_algorithmE0ELj4294967295EEENS1_25partition_config_selectorILNS1_17partition_subalgoE3EjNS0_10empty_typeEbEEZZNS1_14partition_implILS8_3ELb0ES6_jNS0_17counting_iteratorIjlEEPS9_SE_NS0_5tupleIJPjSE_EEENSF_IJSE_SE_EEES9_SG_JZNS1_25segmented_radix_sort_implINS0_14default_configELb1EPKiPiPKlPlN2at6native12_GLOBAL__N_18offset_tEEE10hipError_tPvRmT1_PNSt15iterator_traitsISY_E10value_typeET2_T3_PNSZ_IS14_E10value_typeET4_jRbjT5_S1A_jjP12ihipStream_tbEUljE_EEESV_SW_SX_S14_S18_S1A_T6_T7_T9_mT8_S1C_bDpT10_ENKUlT_T0_E_clISt17integral_constantIbLb1EES1P_EEDaS1K_S1L_EUlS1K_E_NS1_11comp_targetILNS1_3genE3ELNS1_11target_archE908ELNS1_3gpuE7ELNS1_3repE0EEENS1_30default_config_static_selectorELNS0_4arch9wavefront6targetE0EEEvSY_
                                        ; -- End function
	.section	.AMDGPU.csdata,"",@progbits
; Kernel info:
; codeLenInByte = 0
; NumSgprs: 0
; NumVgprs: 0
; ScratchSize: 0
; MemoryBound: 0
; FloatMode: 240
; IeeeMode: 1
; LDSByteSize: 0 bytes/workgroup (compile time only)
; SGPRBlocks: 0
; VGPRBlocks: 0
; NumSGPRsForWavesPerEU: 1
; NumVGPRsForWavesPerEU: 1
; Occupancy: 16
; WaveLimiterHint : 0
; COMPUTE_PGM_RSRC2:SCRATCH_EN: 0
; COMPUTE_PGM_RSRC2:USER_SGPR: 15
; COMPUTE_PGM_RSRC2:TRAP_HANDLER: 0
; COMPUTE_PGM_RSRC2:TGID_X_EN: 1
; COMPUTE_PGM_RSRC2:TGID_Y_EN: 0
; COMPUTE_PGM_RSRC2:TGID_Z_EN: 0
; COMPUTE_PGM_RSRC2:TIDIG_COMP_CNT: 0
	.section	.text._ZN7rocprim17ROCPRIM_400000_NS6detail17trampoline_kernelINS0_13select_configILj256ELj13ELNS0_17block_load_methodE3ELS4_3ELS4_3ELNS0_20block_scan_algorithmE0ELj4294967295EEENS1_25partition_config_selectorILNS1_17partition_subalgoE3EjNS0_10empty_typeEbEEZZNS1_14partition_implILS8_3ELb0ES6_jNS0_17counting_iteratorIjlEEPS9_SE_NS0_5tupleIJPjSE_EEENSF_IJSE_SE_EEES9_SG_JZNS1_25segmented_radix_sort_implINS0_14default_configELb1EPKiPiPKlPlN2at6native12_GLOBAL__N_18offset_tEEE10hipError_tPvRmT1_PNSt15iterator_traitsISY_E10value_typeET2_T3_PNSZ_IS14_E10value_typeET4_jRbjT5_S1A_jjP12ihipStream_tbEUljE_EEESV_SW_SX_S14_S18_S1A_T6_T7_T9_mT8_S1C_bDpT10_ENKUlT_T0_E_clISt17integral_constantIbLb1EES1P_EEDaS1K_S1L_EUlS1K_E_NS1_11comp_targetILNS1_3genE2ELNS1_11target_archE906ELNS1_3gpuE6ELNS1_3repE0EEENS1_30default_config_static_selectorELNS0_4arch9wavefront6targetE0EEEvSY_,"axG",@progbits,_ZN7rocprim17ROCPRIM_400000_NS6detail17trampoline_kernelINS0_13select_configILj256ELj13ELNS0_17block_load_methodE3ELS4_3ELS4_3ELNS0_20block_scan_algorithmE0ELj4294967295EEENS1_25partition_config_selectorILNS1_17partition_subalgoE3EjNS0_10empty_typeEbEEZZNS1_14partition_implILS8_3ELb0ES6_jNS0_17counting_iteratorIjlEEPS9_SE_NS0_5tupleIJPjSE_EEENSF_IJSE_SE_EEES9_SG_JZNS1_25segmented_radix_sort_implINS0_14default_configELb1EPKiPiPKlPlN2at6native12_GLOBAL__N_18offset_tEEE10hipError_tPvRmT1_PNSt15iterator_traitsISY_E10value_typeET2_T3_PNSZ_IS14_E10value_typeET4_jRbjT5_S1A_jjP12ihipStream_tbEUljE_EEESV_SW_SX_S14_S18_S1A_T6_T7_T9_mT8_S1C_bDpT10_ENKUlT_T0_E_clISt17integral_constantIbLb1EES1P_EEDaS1K_S1L_EUlS1K_E_NS1_11comp_targetILNS1_3genE2ELNS1_11target_archE906ELNS1_3gpuE6ELNS1_3repE0EEENS1_30default_config_static_selectorELNS0_4arch9wavefront6targetE0EEEvSY_,comdat
	.globl	_ZN7rocprim17ROCPRIM_400000_NS6detail17trampoline_kernelINS0_13select_configILj256ELj13ELNS0_17block_load_methodE3ELS4_3ELS4_3ELNS0_20block_scan_algorithmE0ELj4294967295EEENS1_25partition_config_selectorILNS1_17partition_subalgoE3EjNS0_10empty_typeEbEEZZNS1_14partition_implILS8_3ELb0ES6_jNS0_17counting_iteratorIjlEEPS9_SE_NS0_5tupleIJPjSE_EEENSF_IJSE_SE_EEES9_SG_JZNS1_25segmented_radix_sort_implINS0_14default_configELb1EPKiPiPKlPlN2at6native12_GLOBAL__N_18offset_tEEE10hipError_tPvRmT1_PNSt15iterator_traitsISY_E10value_typeET2_T3_PNSZ_IS14_E10value_typeET4_jRbjT5_S1A_jjP12ihipStream_tbEUljE_EEESV_SW_SX_S14_S18_S1A_T6_T7_T9_mT8_S1C_bDpT10_ENKUlT_T0_E_clISt17integral_constantIbLb1EES1P_EEDaS1K_S1L_EUlS1K_E_NS1_11comp_targetILNS1_3genE2ELNS1_11target_archE906ELNS1_3gpuE6ELNS1_3repE0EEENS1_30default_config_static_selectorELNS0_4arch9wavefront6targetE0EEEvSY_ ; -- Begin function _ZN7rocprim17ROCPRIM_400000_NS6detail17trampoline_kernelINS0_13select_configILj256ELj13ELNS0_17block_load_methodE3ELS4_3ELS4_3ELNS0_20block_scan_algorithmE0ELj4294967295EEENS1_25partition_config_selectorILNS1_17partition_subalgoE3EjNS0_10empty_typeEbEEZZNS1_14partition_implILS8_3ELb0ES6_jNS0_17counting_iteratorIjlEEPS9_SE_NS0_5tupleIJPjSE_EEENSF_IJSE_SE_EEES9_SG_JZNS1_25segmented_radix_sort_implINS0_14default_configELb1EPKiPiPKlPlN2at6native12_GLOBAL__N_18offset_tEEE10hipError_tPvRmT1_PNSt15iterator_traitsISY_E10value_typeET2_T3_PNSZ_IS14_E10value_typeET4_jRbjT5_S1A_jjP12ihipStream_tbEUljE_EEESV_SW_SX_S14_S18_S1A_T6_T7_T9_mT8_S1C_bDpT10_ENKUlT_T0_E_clISt17integral_constantIbLb1EES1P_EEDaS1K_S1L_EUlS1K_E_NS1_11comp_targetILNS1_3genE2ELNS1_11target_archE906ELNS1_3gpuE6ELNS1_3repE0EEENS1_30default_config_static_selectorELNS0_4arch9wavefront6targetE0EEEvSY_
	.p2align	8
	.type	_ZN7rocprim17ROCPRIM_400000_NS6detail17trampoline_kernelINS0_13select_configILj256ELj13ELNS0_17block_load_methodE3ELS4_3ELS4_3ELNS0_20block_scan_algorithmE0ELj4294967295EEENS1_25partition_config_selectorILNS1_17partition_subalgoE3EjNS0_10empty_typeEbEEZZNS1_14partition_implILS8_3ELb0ES6_jNS0_17counting_iteratorIjlEEPS9_SE_NS0_5tupleIJPjSE_EEENSF_IJSE_SE_EEES9_SG_JZNS1_25segmented_radix_sort_implINS0_14default_configELb1EPKiPiPKlPlN2at6native12_GLOBAL__N_18offset_tEEE10hipError_tPvRmT1_PNSt15iterator_traitsISY_E10value_typeET2_T3_PNSZ_IS14_E10value_typeET4_jRbjT5_S1A_jjP12ihipStream_tbEUljE_EEESV_SW_SX_S14_S18_S1A_T6_T7_T9_mT8_S1C_bDpT10_ENKUlT_T0_E_clISt17integral_constantIbLb1EES1P_EEDaS1K_S1L_EUlS1K_E_NS1_11comp_targetILNS1_3genE2ELNS1_11target_archE906ELNS1_3gpuE6ELNS1_3repE0EEENS1_30default_config_static_selectorELNS0_4arch9wavefront6targetE0EEEvSY_,@function
_ZN7rocprim17ROCPRIM_400000_NS6detail17trampoline_kernelINS0_13select_configILj256ELj13ELNS0_17block_load_methodE3ELS4_3ELS4_3ELNS0_20block_scan_algorithmE0ELj4294967295EEENS1_25partition_config_selectorILNS1_17partition_subalgoE3EjNS0_10empty_typeEbEEZZNS1_14partition_implILS8_3ELb0ES6_jNS0_17counting_iteratorIjlEEPS9_SE_NS0_5tupleIJPjSE_EEENSF_IJSE_SE_EEES9_SG_JZNS1_25segmented_radix_sort_implINS0_14default_configELb1EPKiPiPKlPlN2at6native12_GLOBAL__N_18offset_tEEE10hipError_tPvRmT1_PNSt15iterator_traitsISY_E10value_typeET2_T3_PNSZ_IS14_E10value_typeET4_jRbjT5_S1A_jjP12ihipStream_tbEUljE_EEESV_SW_SX_S14_S18_S1A_T6_T7_T9_mT8_S1C_bDpT10_ENKUlT_T0_E_clISt17integral_constantIbLb1EES1P_EEDaS1K_S1L_EUlS1K_E_NS1_11comp_targetILNS1_3genE2ELNS1_11target_archE906ELNS1_3gpuE6ELNS1_3repE0EEENS1_30default_config_static_selectorELNS0_4arch9wavefront6targetE0EEEvSY_: ; @_ZN7rocprim17ROCPRIM_400000_NS6detail17trampoline_kernelINS0_13select_configILj256ELj13ELNS0_17block_load_methodE3ELS4_3ELS4_3ELNS0_20block_scan_algorithmE0ELj4294967295EEENS1_25partition_config_selectorILNS1_17partition_subalgoE3EjNS0_10empty_typeEbEEZZNS1_14partition_implILS8_3ELb0ES6_jNS0_17counting_iteratorIjlEEPS9_SE_NS0_5tupleIJPjSE_EEENSF_IJSE_SE_EEES9_SG_JZNS1_25segmented_radix_sort_implINS0_14default_configELb1EPKiPiPKlPlN2at6native12_GLOBAL__N_18offset_tEEE10hipError_tPvRmT1_PNSt15iterator_traitsISY_E10value_typeET2_T3_PNSZ_IS14_E10value_typeET4_jRbjT5_S1A_jjP12ihipStream_tbEUljE_EEESV_SW_SX_S14_S18_S1A_T6_T7_T9_mT8_S1C_bDpT10_ENKUlT_T0_E_clISt17integral_constantIbLb1EES1P_EEDaS1K_S1L_EUlS1K_E_NS1_11comp_targetILNS1_3genE2ELNS1_11target_archE906ELNS1_3gpuE6ELNS1_3repE0EEENS1_30default_config_static_selectorELNS0_4arch9wavefront6targetE0EEEvSY_
; %bb.0:
	.section	.rodata,"a",@progbits
	.p2align	6, 0x0
	.amdhsa_kernel _ZN7rocprim17ROCPRIM_400000_NS6detail17trampoline_kernelINS0_13select_configILj256ELj13ELNS0_17block_load_methodE3ELS4_3ELS4_3ELNS0_20block_scan_algorithmE0ELj4294967295EEENS1_25partition_config_selectorILNS1_17partition_subalgoE3EjNS0_10empty_typeEbEEZZNS1_14partition_implILS8_3ELb0ES6_jNS0_17counting_iteratorIjlEEPS9_SE_NS0_5tupleIJPjSE_EEENSF_IJSE_SE_EEES9_SG_JZNS1_25segmented_radix_sort_implINS0_14default_configELb1EPKiPiPKlPlN2at6native12_GLOBAL__N_18offset_tEEE10hipError_tPvRmT1_PNSt15iterator_traitsISY_E10value_typeET2_T3_PNSZ_IS14_E10value_typeET4_jRbjT5_S1A_jjP12ihipStream_tbEUljE_EEESV_SW_SX_S14_S18_S1A_T6_T7_T9_mT8_S1C_bDpT10_ENKUlT_T0_E_clISt17integral_constantIbLb1EES1P_EEDaS1K_S1L_EUlS1K_E_NS1_11comp_targetILNS1_3genE2ELNS1_11target_archE906ELNS1_3gpuE6ELNS1_3repE0EEENS1_30default_config_static_selectorELNS0_4arch9wavefront6targetE0EEEvSY_
		.amdhsa_group_segment_fixed_size 0
		.amdhsa_private_segment_fixed_size 0
		.amdhsa_kernarg_size 152
		.amdhsa_user_sgpr_count 15
		.amdhsa_user_sgpr_dispatch_ptr 0
		.amdhsa_user_sgpr_queue_ptr 0
		.amdhsa_user_sgpr_kernarg_segment_ptr 1
		.amdhsa_user_sgpr_dispatch_id 0
		.amdhsa_user_sgpr_private_segment_size 0
		.amdhsa_wavefront_size32 1
		.amdhsa_uses_dynamic_stack 0
		.amdhsa_enable_private_segment 0
		.amdhsa_system_sgpr_workgroup_id_x 1
		.amdhsa_system_sgpr_workgroup_id_y 0
		.amdhsa_system_sgpr_workgroup_id_z 0
		.amdhsa_system_sgpr_workgroup_info 0
		.amdhsa_system_vgpr_workitem_id 0
		.amdhsa_next_free_vgpr 1
		.amdhsa_next_free_sgpr 1
		.amdhsa_reserve_vcc 0
		.amdhsa_float_round_mode_32 0
		.amdhsa_float_round_mode_16_64 0
		.amdhsa_float_denorm_mode_32 3
		.amdhsa_float_denorm_mode_16_64 3
		.amdhsa_dx10_clamp 1
		.amdhsa_ieee_mode 1
		.amdhsa_fp16_overflow 0
		.amdhsa_workgroup_processor_mode 1
		.amdhsa_memory_ordered 1
		.amdhsa_forward_progress 0
		.amdhsa_shared_vgpr_count 0
		.amdhsa_exception_fp_ieee_invalid_op 0
		.amdhsa_exception_fp_denorm_src 0
		.amdhsa_exception_fp_ieee_div_zero 0
		.amdhsa_exception_fp_ieee_overflow 0
		.amdhsa_exception_fp_ieee_underflow 0
		.amdhsa_exception_fp_ieee_inexact 0
		.amdhsa_exception_int_div_zero 0
	.end_amdhsa_kernel
	.section	.text._ZN7rocprim17ROCPRIM_400000_NS6detail17trampoline_kernelINS0_13select_configILj256ELj13ELNS0_17block_load_methodE3ELS4_3ELS4_3ELNS0_20block_scan_algorithmE0ELj4294967295EEENS1_25partition_config_selectorILNS1_17partition_subalgoE3EjNS0_10empty_typeEbEEZZNS1_14partition_implILS8_3ELb0ES6_jNS0_17counting_iteratorIjlEEPS9_SE_NS0_5tupleIJPjSE_EEENSF_IJSE_SE_EEES9_SG_JZNS1_25segmented_radix_sort_implINS0_14default_configELb1EPKiPiPKlPlN2at6native12_GLOBAL__N_18offset_tEEE10hipError_tPvRmT1_PNSt15iterator_traitsISY_E10value_typeET2_T3_PNSZ_IS14_E10value_typeET4_jRbjT5_S1A_jjP12ihipStream_tbEUljE_EEESV_SW_SX_S14_S18_S1A_T6_T7_T9_mT8_S1C_bDpT10_ENKUlT_T0_E_clISt17integral_constantIbLb1EES1P_EEDaS1K_S1L_EUlS1K_E_NS1_11comp_targetILNS1_3genE2ELNS1_11target_archE906ELNS1_3gpuE6ELNS1_3repE0EEENS1_30default_config_static_selectorELNS0_4arch9wavefront6targetE0EEEvSY_,"axG",@progbits,_ZN7rocprim17ROCPRIM_400000_NS6detail17trampoline_kernelINS0_13select_configILj256ELj13ELNS0_17block_load_methodE3ELS4_3ELS4_3ELNS0_20block_scan_algorithmE0ELj4294967295EEENS1_25partition_config_selectorILNS1_17partition_subalgoE3EjNS0_10empty_typeEbEEZZNS1_14partition_implILS8_3ELb0ES6_jNS0_17counting_iteratorIjlEEPS9_SE_NS0_5tupleIJPjSE_EEENSF_IJSE_SE_EEES9_SG_JZNS1_25segmented_radix_sort_implINS0_14default_configELb1EPKiPiPKlPlN2at6native12_GLOBAL__N_18offset_tEEE10hipError_tPvRmT1_PNSt15iterator_traitsISY_E10value_typeET2_T3_PNSZ_IS14_E10value_typeET4_jRbjT5_S1A_jjP12ihipStream_tbEUljE_EEESV_SW_SX_S14_S18_S1A_T6_T7_T9_mT8_S1C_bDpT10_ENKUlT_T0_E_clISt17integral_constantIbLb1EES1P_EEDaS1K_S1L_EUlS1K_E_NS1_11comp_targetILNS1_3genE2ELNS1_11target_archE906ELNS1_3gpuE6ELNS1_3repE0EEENS1_30default_config_static_selectorELNS0_4arch9wavefront6targetE0EEEvSY_,comdat
.Lfunc_end477:
	.size	_ZN7rocprim17ROCPRIM_400000_NS6detail17trampoline_kernelINS0_13select_configILj256ELj13ELNS0_17block_load_methodE3ELS4_3ELS4_3ELNS0_20block_scan_algorithmE0ELj4294967295EEENS1_25partition_config_selectorILNS1_17partition_subalgoE3EjNS0_10empty_typeEbEEZZNS1_14partition_implILS8_3ELb0ES6_jNS0_17counting_iteratorIjlEEPS9_SE_NS0_5tupleIJPjSE_EEENSF_IJSE_SE_EEES9_SG_JZNS1_25segmented_radix_sort_implINS0_14default_configELb1EPKiPiPKlPlN2at6native12_GLOBAL__N_18offset_tEEE10hipError_tPvRmT1_PNSt15iterator_traitsISY_E10value_typeET2_T3_PNSZ_IS14_E10value_typeET4_jRbjT5_S1A_jjP12ihipStream_tbEUljE_EEESV_SW_SX_S14_S18_S1A_T6_T7_T9_mT8_S1C_bDpT10_ENKUlT_T0_E_clISt17integral_constantIbLb1EES1P_EEDaS1K_S1L_EUlS1K_E_NS1_11comp_targetILNS1_3genE2ELNS1_11target_archE906ELNS1_3gpuE6ELNS1_3repE0EEENS1_30default_config_static_selectorELNS0_4arch9wavefront6targetE0EEEvSY_, .Lfunc_end477-_ZN7rocprim17ROCPRIM_400000_NS6detail17trampoline_kernelINS0_13select_configILj256ELj13ELNS0_17block_load_methodE3ELS4_3ELS4_3ELNS0_20block_scan_algorithmE0ELj4294967295EEENS1_25partition_config_selectorILNS1_17partition_subalgoE3EjNS0_10empty_typeEbEEZZNS1_14partition_implILS8_3ELb0ES6_jNS0_17counting_iteratorIjlEEPS9_SE_NS0_5tupleIJPjSE_EEENSF_IJSE_SE_EEES9_SG_JZNS1_25segmented_radix_sort_implINS0_14default_configELb1EPKiPiPKlPlN2at6native12_GLOBAL__N_18offset_tEEE10hipError_tPvRmT1_PNSt15iterator_traitsISY_E10value_typeET2_T3_PNSZ_IS14_E10value_typeET4_jRbjT5_S1A_jjP12ihipStream_tbEUljE_EEESV_SW_SX_S14_S18_S1A_T6_T7_T9_mT8_S1C_bDpT10_ENKUlT_T0_E_clISt17integral_constantIbLb1EES1P_EEDaS1K_S1L_EUlS1K_E_NS1_11comp_targetILNS1_3genE2ELNS1_11target_archE906ELNS1_3gpuE6ELNS1_3repE0EEENS1_30default_config_static_selectorELNS0_4arch9wavefront6targetE0EEEvSY_
                                        ; -- End function
	.section	.AMDGPU.csdata,"",@progbits
; Kernel info:
; codeLenInByte = 0
; NumSgprs: 0
; NumVgprs: 0
; ScratchSize: 0
; MemoryBound: 0
; FloatMode: 240
; IeeeMode: 1
; LDSByteSize: 0 bytes/workgroup (compile time only)
; SGPRBlocks: 0
; VGPRBlocks: 0
; NumSGPRsForWavesPerEU: 1
; NumVGPRsForWavesPerEU: 1
; Occupancy: 16
; WaveLimiterHint : 0
; COMPUTE_PGM_RSRC2:SCRATCH_EN: 0
; COMPUTE_PGM_RSRC2:USER_SGPR: 15
; COMPUTE_PGM_RSRC2:TRAP_HANDLER: 0
; COMPUTE_PGM_RSRC2:TGID_X_EN: 1
; COMPUTE_PGM_RSRC2:TGID_Y_EN: 0
; COMPUTE_PGM_RSRC2:TGID_Z_EN: 0
; COMPUTE_PGM_RSRC2:TIDIG_COMP_CNT: 0
	.section	.text._ZN7rocprim17ROCPRIM_400000_NS6detail17trampoline_kernelINS0_13select_configILj256ELj13ELNS0_17block_load_methodE3ELS4_3ELS4_3ELNS0_20block_scan_algorithmE0ELj4294967295EEENS1_25partition_config_selectorILNS1_17partition_subalgoE3EjNS0_10empty_typeEbEEZZNS1_14partition_implILS8_3ELb0ES6_jNS0_17counting_iteratorIjlEEPS9_SE_NS0_5tupleIJPjSE_EEENSF_IJSE_SE_EEES9_SG_JZNS1_25segmented_radix_sort_implINS0_14default_configELb1EPKiPiPKlPlN2at6native12_GLOBAL__N_18offset_tEEE10hipError_tPvRmT1_PNSt15iterator_traitsISY_E10value_typeET2_T3_PNSZ_IS14_E10value_typeET4_jRbjT5_S1A_jjP12ihipStream_tbEUljE_EEESV_SW_SX_S14_S18_S1A_T6_T7_T9_mT8_S1C_bDpT10_ENKUlT_T0_E_clISt17integral_constantIbLb1EES1P_EEDaS1K_S1L_EUlS1K_E_NS1_11comp_targetILNS1_3genE10ELNS1_11target_archE1200ELNS1_3gpuE4ELNS1_3repE0EEENS1_30default_config_static_selectorELNS0_4arch9wavefront6targetE0EEEvSY_,"axG",@progbits,_ZN7rocprim17ROCPRIM_400000_NS6detail17trampoline_kernelINS0_13select_configILj256ELj13ELNS0_17block_load_methodE3ELS4_3ELS4_3ELNS0_20block_scan_algorithmE0ELj4294967295EEENS1_25partition_config_selectorILNS1_17partition_subalgoE3EjNS0_10empty_typeEbEEZZNS1_14partition_implILS8_3ELb0ES6_jNS0_17counting_iteratorIjlEEPS9_SE_NS0_5tupleIJPjSE_EEENSF_IJSE_SE_EEES9_SG_JZNS1_25segmented_radix_sort_implINS0_14default_configELb1EPKiPiPKlPlN2at6native12_GLOBAL__N_18offset_tEEE10hipError_tPvRmT1_PNSt15iterator_traitsISY_E10value_typeET2_T3_PNSZ_IS14_E10value_typeET4_jRbjT5_S1A_jjP12ihipStream_tbEUljE_EEESV_SW_SX_S14_S18_S1A_T6_T7_T9_mT8_S1C_bDpT10_ENKUlT_T0_E_clISt17integral_constantIbLb1EES1P_EEDaS1K_S1L_EUlS1K_E_NS1_11comp_targetILNS1_3genE10ELNS1_11target_archE1200ELNS1_3gpuE4ELNS1_3repE0EEENS1_30default_config_static_selectorELNS0_4arch9wavefront6targetE0EEEvSY_,comdat
	.globl	_ZN7rocprim17ROCPRIM_400000_NS6detail17trampoline_kernelINS0_13select_configILj256ELj13ELNS0_17block_load_methodE3ELS4_3ELS4_3ELNS0_20block_scan_algorithmE0ELj4294967295EEENS1_25partition_config_selectorILNS1_17partition_subalgoE3EjNS0_10empty_typeEbEEZZNS1_14partition_implILS8_3ELb0ES6_jNS0_17counting_iteratorIjlEEPS9_SE_NS0_5tupleIJPjSE_EEENSF_IJSE_SE_EEES9_SG_JZNS1_25segmented_radix_sort_implINS0_14default_configELb1EPKiPiPKlPlN2at6native12_GLOBAL__N_18offset_tEEE10hipError_tPvRmT1_PNSt15iterator_traitsISY_E10value_typeET2_T3_PNSZ_IS14_E10value_typeET4_jRbjT5_S1A_jjP12ihipStream_tbEUljE_EEESV_SW_SX_S14_S18_S1A_T6_T7_T9_mT8_S1C_bDpT10_ENKUlT_T0_E_clISt17integral_constantIbLb1EES1P_EEDaS1K_S1L_EUlS1K_E_NS1_11comp_targetILNS1_3genE10ELNS1_11target_archE1200ELNS1_3gpuE4ELNS1_3repE0EEENS1_30default_config_static_selectorELNS0_4arch9wavefront6targetE0EEEvSY_ ; -- Begin function _ZN7rocprim17ROCPRIM_400000_NS6detail17trampoline_kernelINS0_13select_configILj256ELj13ELNS0_17block_load_methodE3ELS4_3ELS4_3ELNS0_20block_scan_algorithmE0ELj4294967295EEENS1_25partition_config_selectorILNS1_17partition_subalgoE3EjNS0_10empty_typeEbEEZZNS1_14partition_implILS8_3ELb0ES6_jNS0_17counting_iteratorIjlEEPS9_SE_NS0_5tupleIJPjSE_EEENSF_IJSE_SE_EEES9_SG_JZNS1_25segmented_radix_sort_implINS0_14default_configELb1EPKiPiPKlPlN2at6native12_GLOBAL__N_18offset_tEEE10hipError_tPvRmT1_PNSt15iterator_traitsISY_E10value_typeET2_T3_PNSZ_IS14_E10value_typeET4_jRbjT5_S1A_jjP12ihipStream_tbEUljE_EEESV_SW_SX_S14_S18_S1A_T6_T7_T9_mT8_S1C_bDpT10_ENKUlT_T0_E_clISt17integral_constantIbLb1EES1P_EEDaS1K_S1L_EUlS1K_E_NS1_11comp_targetILNS1_3genE10ELNS1_11target_archE1200ELNS1_3gpuE4ELNS1_3repE0EEENS1_30default_config_static_selectorELNS0_4arch9wavefront6targetE0EEEvSY_
	.p2align	8
	.type	_ZN7rocprim17ROCPRIM_400000_NS6detail17trampoline_kernelINS0_13select_configILj256ELj13ELNS0_17block_load_methodE3ELS4_3ELS4_3ELNS0_20block_scan_algorithmE0ELj4294967295EEENS1_25partition_config_selectorILNS1_17partition_subalgoE3EjNS0_10empty_typeEbEEZZNS1_14partition_implILS8_3ELb0ES6_jNS0_17counting_iteratorIjlEEPS9_SE_NS0_5tupleIJPjSE_EEENSF_IJSE_SE_EEES9_SG_JZNS1_25segmented_radix_sort_implINS0_14default_configELb1EPKiPiPKlPlN2at6native12_GLOBAL__N_18offset_tEEE10hipError_tPvRmT1_PNSt15iterator_traitsISY_E10value_typeET2_T3_PNSZ_IS14_E10value_typeET4_jRbjT5_S1A_jjP12ihipStream_tbEUljE_EEESV_SW_SX_S14_S18_S1A_T6_T7_T9_mT8_S1C_bDpT10_ENKUlT_T0_E_clISt17integral_constantIbLb1EES1P_EEDaS1K_S1L_EUlS1K_E_NS1_11comp_targetILNS1_3genE10ELNS1_11target_archE1200ELNS1_3gpuE4ELNS1_3repE0EEENS1_30default_config_static_selectorELNS0_4arch9wavefront6targetE0EEEvSY_,@function
_ZN7rocprim17ROCPRIM_400000_NS6detail17trampoline_kernelINS0_13select_configILj256ELj13ELNS0_17block_load_methodE3ELS4_3ELS4_3ELNS0_20block_scan_algorithmE0ELj4294967295EEENS1_25partition_config_selectorILNS1_17partition_subalgoE3EjNS0_10empty_typeEbEEZZNS1_14partition_implILS8_3ELb0ES6_jNS0_17counting_iteratorIjlEEPS9_SE_NS0_5tupleIJPjSE_EEENSF_IJSE_SE_EEES9_SG_JZNS1_25segmented_radix_sort_implINS0_14default_configELb1EPKiPiPKlPlN2at6native12_GLOBAL__N_18offset_tEEE10hipError_tPvRmT1_PNSt15iterator_traitsISY_E10value_typeET2_T3_PNSZ_IS14_E10value_typeET4_jRbjT5_S1A_jjP12ihipStream_tbEUljE_EEESV_SW_SX_S14_S18_S1A_T6_T7_T9_mT8_S1C_bDpT10_ENKUlT_T0_E_clISt17integral_constantIbLb1EES1P_EEDaS1K_S1L_EUlS1K_E_NS1_11comp_targetILNS1_3genE10ELNS1_11target_archE1200ELNS1_3gpuE4ELNS1_3repE0EEENS1_30default_config_static_selectorELNS0_4arch9wavefront6targetE0EEEvSY_: ; @_ZN7rocprim17ROCPRIM_400000_NS6detail17trampoline_kernelINS0_13select_configILj256ELj13ELNS0_17block_load_methodE3ELS4_3ELS4_3ELNS0_20block_scan_algorithmE0ELj4294967295EEENS1_25partition_config_selectorILNS1_17partition_subalgoE3EjNS0_10empty_typeEbEEZZNS1_14partition_implILS8_3ELb0ES6_jNS0_17counting_iteratorIjlEEPS9_SE_NS0_5tupleIJPjSE_EEENSF_IJSE_SE_EEES9_SG_JZNS1_25segmented_radix_sort_implINS0_14default_configELb1EPKiPiPKlPlN2at6native12_GLOBAL__N_18offset_tEEE10hipError_tPvRmT1_PNSt15iterator_traitsISY_E10value_typeET2_T3_PNSZ_IS14_E10value_typeET4_jRbjT5_S1A_jjP12ihipStream_tbEUljE_EEESV_SW_SX_S14_S18_S1A_T6_T7_T9_mT8_S1C_bDpT10_ENKUlT_T0_E_clISt17integral_constantIbLb1EES1P_EEDaS1K_S1L_EUlS1K_E_NS1_11comp_targetILNS1_3genE10ELNS1_11target_archE1200ELNS1_3gpuE4ELNS1_3repE0EEENS1_30default_config_static_selectorELNS0_4arch9wavefront6targetE0EEEvSY_
; %bb.0:
	.section	.rodata,"a",@progbits
	.p2align	6, 0x0
	.amdhsa_kernel _ZN7rocprim17ROCPRIM_400000_NS6detail17trampoline_kernelINS0_13select_configILj256ELj13ELNS0_17block_load_methodE3ELS4_3ELS4_3ELNS0_20block_scan_algorithmE0ELj4294967295EEENS1_25partition_config_selectorILNS1_17partition_subalgoE3EjNS0_10empty_typeEbEEZZNS1_14partition_implILS8_3ELb0ES6_jNS0_17counting_iteratorIjlEEPS9_SE_NS0_5tupleIJPjSE_EEENSF_IJSE_SE_EEES9_SG_JZNS1_25segmented_radix_sort_implINS0_14default_configELb1EPKiPiPKlPlN2at6native12_GLOBAL__N_18offset_tEEE10hipError_tPvRmT1_PNSt15iterator_traitsISY_E10value_typeET2_T3_PNSZ_IS14_E10value_typeET4_jRbjT5_S1A_jjP12ihipStream_tbEUljE_EEESV_SW_SX_S14_S18_S1A_T6_T7_T9_mT8_S1C_bDpT10_ENKUlT_T0_E_clISt17integral_constantIbLb1EES1P_EEDaS1K_S1L_EUlS1K_E_NS1_11comp_targetILNS1_3genE10ELNS1_11target_archE1200ELNS1_3gpuE4ELNS1_3repE0EEENS1_30default_config_static_selectorELNS0_4arch9wavefront6targetE0EEEvSY_
		.amdhsa_group_segment_fixed_size 0
		.amdhsa_private_segment_fixed_size 0
		.amdhsa_kernarg_size 152
		.amdhsa_user_sgpr_count 15
		.amdhsa_user_sgpr_dispatch_ptr 0
		.amdhsa_user_sgpr_queue_ptr 0
		.amdhsa_user_sgpr_kernarg_segment_ptr 1
		.amdhsa_user_sgpr_dispatch_id 0
		.amdhsa_user_sgpr_private_segment_size 0
		.amdhsa_wavefront_size32 1
		.amdhsa_uses_dynamic_stack 0
		.amdhsa_enable_private_segment 0
		.amdhsa_system_sgpr_workgroup_id_x 1
		.amdhsa_system_sgpr_workgroup_id_y 0
		.amdhsa_system_sgpr_workgroup_id_z 0
		.amdhsa_system_sgpr_workgroup_info 0
		.amdhsa_system_vgpr_workitem_id 0
		.amdhsa_next_free_vgpr 1
		.amdhsa_next_free_sgpr 1
		.amdhsa_reserve_vcc 0
		.amdhsa_float_round_mode_32 0
		.amdhsa_float_round_mode_16_64 0
		.amdhsa_float_denorm_mode_32 3
		.amdhsa_float_denorm_mode_16_64 3
		.amdhsa_dx10_clamp 1
		.amdhsa_ieee_mode 1
		.amdhsa_fp16_overflow 0
		.amdhsa_workgroup_processor_mode 1
		.amdhsa_memory_ordered 1
		.amdhsa_forward_progress 0
		.amdhsa_shared_vgpr_count 0
		.amdhsa_exception_fp_ieee_invalid_op 0
		.amdhsa_exception_fp_denorm_src 0
		.amdhsa_exception_fp_ieee_div_zero 0
		.amdhsa_exception_fp_ieee_overflow 0
		.amdhsa_exception_fp_ieee_underflow 0
		.amdhsa_exception_fp_ieee_inexact 0
		.amdhsa_exception_int_div_zero 0
	.end_amdhsa_kernel
	.section	.text._ZN7rocprim17ROCPRIM_400000_NS6detail17trampoline_kernelINS0_13select_configILj256ELj13ELNS0_17block_load_methodE3ELS4_3ELS4_3ELNS0_20block_scan_algorithmE0ELj4294967295EEENS1_25partition_config_selectorILNS1_17partition_subalgoE3EjNS0_10empty_typeEbEEZZNS1_14partition_implILS8_3ELb0ES6_jNS0_17counting_iteratorIjlEEPS9_SE_NS0_5tupleIJPjSE_EEENSF_IJSE_SE_EEES9_SG_JZNS1_25segmented_radix_sort_implINS0_14default_configELb1EPKiPiPKlPlN2at6native12_GLOBAL__N_18offset_tEEE10hipError_tPvRmT1_PNSt15iterator_traitsISY_E10value_typeET2_T3_PNSZ_IS14_E10value_typeET4_jRbjT5_S1A_jjP12ihipStream_tbEUljE_EEESV_SW_SX_S14_S18_S1A_T6_T7_T9_mT8_S1C_bDpT10_ENKUlT_T0_E_clISt17integral_constantIbLb1EES1P_EEDaS1K_S1L_EUlS1K_E_NS1_11comp_targetILNS1_3genE10ELNS1_11target_archE1200ELNS1_3gpuE4ELNS1_3repE0EEENS1_30default_config_static_selectorELNS0_4arch9wavefront6targetE0EEEvSY_,"axG",@progbits,_ZN7rocprim17ROCPRIM_400000_NS6detail17trampoline_kernelINS0_13select_configILj256ELj13ELNS0_17block_load_methodE3ELS4_3ELS4_3ELNS0_20block_scan_algorithmE0ELj4294967295EEENS1_25partition_config_selectorILNS1_17partition_subalgoE3EjNS0_10empty_typeEbEEZZNS1_14partition_implILS8_3ELb0ES6_jNS0_17counting_iteratorIjlEEPS9_SE_NS0_5tupleIJPjSE_EEENSF_IJSE_SE_EEES9_SG_JZNS1_25segmented_radix_sort_implINS0_14default_configELb1EPKiPiPKlPlN2at6native12_GLOBAL__N_18offset_tEEE10hipError_tPvRmT1_PNSt15iterator_traitsISY_E10value_typeET2_T3_PNSZ_IS14_E10value_typeET4_jRbjT5_S1A_jjP12ihipStream_tbEUljE_EEESV_SW_SX_S14_S18_S1A_T6_T7_T9_mT8_S1C_bDpT10_ENKUlT_T0_E_clISt17integral_constantIbLb1EES1P_EEDaS1K_S1L_EUlS1K_E_NS1_11comp_targetILNS1_3genE10ELNS1_11target_archE1200ELNS1_3gpuE4ELNS1_3repE0EEENS1_30default_config_static_selectorELNS0_4arch9wavefront6targetE0EEEvSY_,comdat
.Lfunc_end478:
	.size	_ZN7rocprim17ROCPRIM_400000_NS6detail17trampoline_kernelINS0_13select_configILj256ELj13ELNS0_17block_load_methodE3ELS4_3ELS4_3ELNS0_20block_scan_algorithmE0ELj4294967295EEENS1_25partition_config_selectorILNS1_17partition_subalgoE3EjNS0_10empty_typeEbEEZZNS1_14partition_implILS8_3ELb0ES6_jNS0_17counting_iteratorIjlEEPS9_SE_NS0_5tupleIJPjSE_EEENSF_IJSE_SE_EEES9_SG_JZNS1_25segmented_radix_sort_implINS0_14default_configELb1EPKiPiPKlPlN2at6native12_GLOBAL__N_18offset_tEEE10hipError_tPvRmT1_PNSt15iterator_traitsISY_E10value_typeET2_T3_PNSZ_IS14_E10value_typeET4_jRbjT5_S1A_jjP12ihipStream_tbEUljE_EEESV_SW_SX_S14_S18_S1A_T6_T7_T9_mT8_S1C_bDpT10_ENKUlT_T0_E_clISt17integral_constantIbLb1EES1P_EEDaS1K_S1L_EUlS1K_E_NS1_11comp_targetILNS1_3genE10ELNS1_11target_archE1200ELNS1_3gpuE4ELNS1_3repE0EEENS1_30default_config_static_selectorELNS0_4arch9wavefront6targetE0EEEvSY_, .Lfunc_end478-_ZN7rocprim17ROCPRIM_400000_NS6detail17trampoline_kernelINS0_13select_configILj256ELj13ELNS0_17block_load_methodE3ELS4_3ELS4_3ELNS0_20block_scan_algorithmE0ELj4294967295EEENS1_25partition_config_selectorILNS1_17partition_subalgoE3EjNS0_10empty_typeEbEEZZNS1_14partition_implILS8_3ELb0ES6_jNS0_17counting_iteratorIjlEEPS9_SE_NS0_5tupleIJPjSE_EEENSF_IJSE_SE_EEES9_SG_JZNS1_25segmented_radix_sort_implINS0_14default_configELb1EPKiPiPKlPlN2at6native12_GLOBAL__N_18offset_tEEE10hipError_tPvRmT1_PNSt15iterator_traitsISY_E10value_typeET2_T3_PNSZ_IS14_E10value_typeET4_jRbjT5_S1A_jjP12ihipStream_tbEUljE_EEESV_SW_SX_S14_S18_S1A_T6_T7_T9_mT8_S1C_bDpT10_ENKUlT_T0_E_clISt17integral_constantIbLb1EES1P_EEDaS1K_S1L_EUlS1K_E_NS1_11comp_targetILNS1_3genE10ELNS1_11target_archE1200ELNS1_3gpuE4ELNS1_3repE0EEENS1_30default_config_static_selectorELNS0_4arch9wavefront6targetE0EEEvSY_
                                        ; -- End function
	.section	.AMDGPU.csdata,"",@progbits
; Kernel info:
; codeLenInByte = 0
; NumSgprs: 0
; NumVgprs: 0
; ScratchSize: 0
; MemoryBound: 0
; FloatMode: 240
; IeeeMode: 1
; LDSByteSize: 0 bytes/workgroup (compile time only)
; SGPRBlocks: 0
; VGPRBlocks: 0
; NumSGPRsForWavesPerEU: 1
; NumVGPRsForWavesPerEU: 1
; Occupancy: 16
; WaveLimiterHint : 0
; COMPUTE_PGM_RSRC2:SCRATCH_EN: 0
; COMPUTE_PGM_RSRC2:USER_SGPR: 15
; COMPUTE_PGM_RSRC2:TRAP_HANDLER: 0
; COMPUTE_PGM_RSRC2:TGID_X_EN: 1
; COMPUTE_PGM_RSRC2:TGID_Y_EN: 0
; COMPUTE_PGM_RSRC2:TGID_Z_EN: 0
; COMPUTE_PGM_RSRC2:TIDIG_COMP_CNT: 0
	.section	.text._ZN7rocprim17ROCPRIM_400000_NS6detail17trampoline_kernelINS0_13select_configILj256ELj13ELNS0_17block_load_methodE3ELS4_3ELS4_3ELNS0_20block_scan_algorithmE0ELj4294967295EEENS1_25partition_config_selectorILNS1_17partition_subalgoE3EjNS0_10empty_typeEbEEZZNS1_14partition_implILS8_3ELb0ES6_jNS0_17counting_iteratorIjlEEPS9_SE_NS0_5tupleIJPjSE_EEENSF_IJSE_SE_EEES9_SG_JZNS1_25segmented_radix_sort_implINS0_14default_configELb1EPKiPiPKlPlN2at6native12_GLOBAL__N_18offset_tEEE10hipError_tPvRmT1_PNSt15iterator_traitsISY_E10value_typeET2_T3_PNSZ_IS14_E10value_typeET4_jRbjT5_S1A_jjP12ihipStream_tbEUljE_EEESV_SW_SX_S14_S18_S1A_T6_T7_T9_mT8_S1C_bDpT10_ENKUlT_T0_E_clISt17integral_constantIbLb1EES1P_EEDaS1K_S1L_EUlS1K_E_NS1_11comp_targetILNS1_3genE9ELNS1_11target_archE1100ELNS1_3gpuE3ELNS1_3repE0EEENS1_30default_config_static_selectorELNS0_4arch9wavefront6targetE0EEEvSY_,"axG",@progbits,_ZN7rocprim17ROCPRIM_400000_NS6detail17trampoline_kernelINS0_13select_configILj256ELj13ELNS0_17block_load_methodE3ELS4_3ELS4_3ELNS0_20block_scan_algorithmE0ELj4294967295EEENS1_25partition_config_selectorILNS1_17partition_subalgoE3EjNS0_10empty_typeEbEEZZNS1_14partition_implILS8_3ELb0ES6_jNS0_17counting_iteratorIjlEEPS9_SE_NS0_5tupleIJPjSE_EEENSF_IJSE_SE_EEES9_SG_JZNS1_25segmented_radix_sort_implINS0_14default_configELb1EPKiPiPKlPlN2at6native12_GLOBAL__N_18offset_tEEE10hipError_tPvRmT1_PNSt15iterator_traitsISY_E10value_typeET2_T3_PNSZ_IS14_E10value_typeET4_jRbjT5_S1A_jjP12ihipStream_tbEUljE_EEESV_SW_SX_S14_S18_S1A_T6_T7_T9_mT8_S1C_bDpT10_ENKUlT_T0_E_clISt17integral_constantIbLb1EES1P_EEDaS1K_S1L_EUlS1K_E_NS1_11comp_targetILNS1_3genE9ELNS1_11target_archE1100ELNS1_3gpuE3ELNS1_3repE0EEENS1_30default_config_static_selectorELNS0_4arch9wavefront6targetE0EEEvSY_,comdat
	.globl	_ZN7rocprim17ROCPRIM_400000_NS6detail17trampoline_kernelINS0_13select_configILj256ELj13ELNS0_17block_load_methodE3ELS4_3ELS4_3ELNS0_20block_scan_algorithmE0ELj4294967295EEENS1_25partition_config_selectorILNS1_17partition_subalgoE3EjNS0_10empty_typeEbEEZZNS1_14partition_implILS8_3ELb0ES6_jNS0_17counting_iteratorIjlEEPS9_SE_NS0_5tupleIJPjSE_EEENSF_IJSE_SE_EEES9_SG_JZNS1_25segmented_radix_sort_implINS0_14default_configELb1EPKiPiPKlPlN2at6native12_GLOBAL__N_18offset_tEEE10hipError_tPvRmT1_PNSt15iterator_traitsISY_E10value_typeET2_T3_PNSZ_IS14_E10value_typeET4_jRbjT5_S1A_jjP12ihipStream_tbEUljE_EEESV_SW_SX_S14_S18_S1A_T6_T7_T9_mT8_S1C_bDpT10_ENKUlT_T0_E_clISt17integral_constantIbLb1EES1P_EEDaS1K_S1L_EUlS1K_E_NS1_11comp_targetILNS1_3genE9ELNS1_11target_archE1100ELNS1_3gpuE3ELNS1_3repE0EEENS1_30default_config_static_selectorELNS0_4arch9wavefront6targetE0EEEvSY_ ; -- Begin function _ZN7rocprim17ROCPRIM_400000_NS6detail17trampoline_kernelINS0_13select_configILj256ELj13ELNS0_17block_load_methodE3ELS4_3ELS4_3ELNS0_20block_scan_algorithmE0ELj4294967295EEENS1_25partition_config_selectorILNS1_17partition_subalgoE3EjNS0_10empty_typeEbEEZZNS1_14partition_implILS8_3ELb0ES6_jNS0_17counting_iteratorIjlEEPS9_SE_NS0_5tupleIJPjSE_EEENSF_IJSE_SE_EEES9_SG_JZNS1_25segmented_radix_sort_implINS0_14default_configELb1EPKiPiPKlPlN2at6native12_GLOBAL__N_18offset_tEEE10hipError_tPvRmT1_PNSt15iterator_traitsISY_E10value_typeET2_T3_PNSZ_IS14_E10value_typeET4_jRbjT5_S1A_jjP12ihipStream_tbEUljE_EEESV_SW_SX_S14_S18_S1A_T6_T7_T9_mT8_S1C_bDpT10_ENKUlT_T0_E_clISt17integral_constantIbLb1EES1P_EEDaS1K_S1L_EUlS1K_E_NS1_11comp_targetILNS1_3genE9ELNS1_11target_archE1100ELNS1_3gpuE3ELNS1_3repE0EEENS1_30default_config_static_selectorELNS0_4arch9wavefront6targetE0EEEvSY_
	.p2align	8
	.type	_ZN7rocprim17ROCPRIM_400000_NS6detail17trampoline_kernelINS0_13select_configILj256ELj13ELNS0_17block_load_methodE3ELS4_3ELS4_3ELNS0_20block_scan_algorithmE0ELj4294967295EEENS1_25partition_config_selectorILNS1_17partition_subalgoE3EjNS0_10empty_typeEbEEZZNS1_14partition_implILS8_3ELb0ES6_jNS0_17counting_iteratorIjlEEPS9_SE_NS0_5tupleIJPjSE_EEENSF_IJSE_SE_EEES9_SG_JZNS1_25segmented_radix_sort_implINS0_14default_configELb1EPKiPiPKlPlN2at6native12_GLOBAL__N_18offset_tEEE10hipError_tPvRmT1_PNSt15iterator_traitsISY_E10value_typeET2_T3_PNSZ_IS14_E10value_typeET4_jRbjT5_S1A_jjP12ihipStream_tbEUljE_EEESV_SW_SX_S14_S18_S1A_T6_T7_T9_mT8_S1C_bDpT10_ENKUlT_T0_E_clISt17integral_constantIbLb1EES1P_EEDaS1K_S1L_EUlS1K_E_NS1_11comp_targetILNS1_3genE9ELNS1_11target_archE1100ELNS1_3gpuE3ELNS1_3repE0EEENS1_30default_config_static_selectorELNS0_4arch9wavefront6targetE0EEEvSY_,@function
_ZN7rocprim17ROCPRIM_400000_NS6detail17trampoline_kernelINS0_13select_configILj256ELj13ELNS0_17block_load_methodE3ELS4_3ELS4_3ELNS0_20block_scan_algorithmE0ELj4294967295EEENS1_25partition_config_selectorILNS1_17partition_subalgoE3EjNS0_10empty_typeEbEEZZNS1_14partition_implILS8_3ELb0ES6_jNS0_17counting_iteratorIjlEEPS9_SE_NS0_5tupleIJPjSE_EEENSF_IJSE_SE_EEES9_SG_JZNS1_25segmented_radix_sort_implINS0_14default_configELb1EPKiPiPKlPlN2at6native12_GLOBAL__N_18offset_tEEE10hipError_tPvRmT1_PNSt15iterator_traitsISY_E10value_typeET2_T3_PNSZ_IS14_E10value_typeET4_jRbjT5_S1A_jjP12ihipStream_tbEUljE_EEESV_SW_SX_S14_S18_S1A_T6_T7_T9_mT8_S1C_bDpT10_ENKUlT_T0_E_clISt17integral_constantIbLb1EES1P_EEDaS1K_S1L_EUlS1K_E_NS1_11comp_targetILNS1_3genE9ELNS1_11target_archE1100ELNS1_3gpuE3ELNS1_3repE0EEENS1_30default_config_static_selectorELNS0_4arch9wavefront6targetE0EEEvSY_: ; @_ZN7rocprim17ROCPRIM_400000_NS6detail17trampoline_kernelINS0_13select_configILj256ELj13ELNS0_17block_load_methodE3ELS4_3ELS4_3ELNS0_20block_scan_algorithmE0ELj4294967295EEENS1_25partition_config_selectorILNS1_17partition_subalgoE3EjNS0_10empty_typeEbEEZZNS1_14partition_implILS8_3ELb0ES6_jNS0_17counting_iteratorIjlEEPS9_SE_NS0_5tupleIJPjSE_EEENSF_IJSE_SE_EEES9_SG_JZNS1_25segmented_radix_sort_implINS0_14default_configELb1EPKiPiPKlPlN2at6native12_GLOBAL__N_18offset_tEEE10hipError_tPvRmT1_PNSt15iterator_traitsISY_E10value_typeET2_T3_PNSZ_IS14_E10value_typeET4_jRbjT5_S1A_jjP12ihipStream_tbEUljE_EEESV_SW_SX_S14_S18_S1A_T6_T7_T9_mT8_S1C_bDpT10_ENKUlT_T0_E_clISt17integral_constantIbLb1EES1P_EEDaS1K_S1L_EUlS1K_E_NS1_11comp_targetILNS1_3genE9ELNS1_11target_archE1100ELNS1_3gpuE3ELNS1_3repE0EEENS1_30default_config_static_selectorELNS0_4arch9wavefront6targetE0EEEvSY_
; %bb.0:
	s_clause 0x6
	s_load_b64 s[16:17], s[0:1], 0x10
	s_load_b64 s[12:13], s[0:1], 0x28
	;; [unrolled: 1-line block ×3, first 2 shown]
	s_load_b128 s[8:11], s[0:1], 0x48
	s_load_b32 s3, s[0:1], 0x90
	s_load_b64 s[18:19], s[0:1], 0x68
	s_load_b128 s[4:7], s[0:1], 0x80
	v_cmp_eq_u32_e64 s2, 0, v0
	s_delay_alu instid0(VALU_DEP_1)
	s_and_saveexec_b32 s20, s2
	s_cbranch_execz .LBB479_4
; %bb.1:
	s_mov_b32 s22, exec_lo
	s_mov_b32 s21, exec_lo
	v_mbcnt_lo_u32_b32 v1, s22, 0
                                        ; implicit-def: $vgpr2
	s_delay_alu instid0(VALU_DEP_1)
	v_cmpx_eq_u32_e32 0, v1
	s_cbranch_execz .LBB479_3
; %bb.2:
	s_load_b64 s[24:25], s[0:1], 0x78
	s_bcnt1_i32_b32 s22, s22
	s_delay_alu instid0(SALU_CYCLE_1)
	v_dual_mov_b32 v2, 0 :: v_dual_mov_b32 v3, s22
	s_waitcnt lgkmcnt(0)
	global_atomic_add_u32 v2, v2, v3, s[24:25] glc
.LBB479_3:
	s_or_b32 exec_lo, exec_lo, s21
	s_waitcnt vmcnt(0)
	v_readfirstlane_b32 s21, v2
	s_delay_alu instid0(VALU_DEP_1)
	v_dual_mov_b32 v2, 0 :: v_dual_add_nc_u32 v1, s21, v1
	ds_store_b32 v2, v1
.LBB479_4:
	s_or_b32 exec_lo, exec_lo, s20
	v_mov_b32_e32 v1, 0
	s_clause 0x1
	s_load_b32 s20, s[0:1], 0x8
	s_load_b32 s0, s[0:1], 0x70
	s_waitcnt lgkmcnt(0)
	s_barrier
	buffer_gl0_inv
	ds_load_b32 v2, v1
	s_waitcnt lgkmcnt(0)
	s_barrier
	buffer_gl0_inv
	global_load_b64 v[18:19], v1, s[10:11]
	v_lshlrev_b32_e32 v33, 2, v0
	s_add_i32 s21, s20, s16
	s_mul_i32 s1, s0, 0xd00
	s_add_i32 s0, s0, -1
	s_add_u32 s10, s16, s1
	s_addc_u32 s11, s17, 0
	v_mul_lo_u32 v32, 0xd00, v2
	v_readfirstlane_b32 s20, v2
	v_cmp_lt_u64_e64 s11, s[10:11], s[14:15]
	v_cmp_ne_u32_e32 vcc_lo, s0, v2
	s_delay_alu instid0(VALU_DEP_3) | instskip(SKIP_1) | instid1(VALU_DEP_4)
	s_cmp_eq_u32 s20, s0
	s_cselect_b32 s10, -1, 0
	v_add3_u32 v1, v32, s21, v0
	s_delay_alu instid0(VALU_DEP_3) | instskip(SKIP_2) | instid1(VALU_DEP_1)
	s_or_b32 s0, s11, vcc_lo
	s_mov_b32 s11, -1
	s_and_b32 vcc_lo, exec_lo, s0
	v_add_nc_u32_e32 v2, 0x100, v1
	v_add_nc_u32_e32 v3, 0x200, v1
	;; [unrolled: 1-line block ×12, first 2 shown]
	s_cbranch_vccz .LBB479_6
; %bb.5:
	ds_store_2addr_stride64_b32 v33, v1, v2 offset1:4
	ds_store_2addr_stride64_b32 v33, v3, v4 offset0:8 offset1:12
	ds_store_2addr_stride64_b32 v33, v5, v6 offset0:16 offset1:20
	;; [unrolled: 1-line block ×5, first 2 shown]
	ds_store_b32 v33, v13 offset:12288
	s_waitcnt vmcnt(0) lgkmcnt(0)
	s_mov_b32 s11, 0
	s_barrier
.LBB479_6:
	s_and_not1_b32 vcc_lo, exec_lo, s11
	s_add_i32 s1, s1, s16
	s_cbranch_vccnz .LBB479_8
; %bb.7:
	ds_store_2addr_stride64_b32 v33, v1, v2 offset1:4
	ds_store_2addr_stride64_b32 v33, v3, v4 offset0:8 offset1:12
	ds_store_2addr_stride64_b32 v33, v5, v6 offset0:16 offset1:20
	;; [unrolled: 1-line block ×5, first 2 shown]
	ds_store_b32 v33, v13 offset:12288
	s_waitcnt vmcnt(0) lgkmcnt(0)
	s_barrier
.LBB479_8:
	v_mul_u32_u24_e32 v36, 13, v0
	s_waitcnt vmcnt(0)
	buffer_gl0_inv
	v_cndmask_b32_e64 v34, 0, 1, s0
	s_sub_i32 s11, s14, s1
	s_and_not1_b32 vcc_lo, exec_lo, s0
	v_lshlrev_b32_e32 v1, 2, v36
	ds_load_2addr_b32 v[30:31], v1 offset1:1
	ds_load_2addr_b32 v[28:29], v1 offset0:2 offset1:3
	ds_load_2addr_b32 v[26:27], v1 offset0:4 offset1:5
	;; [unrolled: 1-line block ×5, first 2 shown]
	ds_load_b32 v35, v1 offset:48
	s_waitcnt lgkmcnt(0)
	s_barrier
	buffer_gl0_inv
	s_cbranch_vccnz .LBB479_10
; %bb.9:
	v_add_nc_u32_e32 v1, s5, v30
	v_add_nc_u32_e32 v2, s7, v30
	;; [unrolled: 1-line block ×5, first 2 shown]
	v_mul_lo_u32 v1, v1, s4
	v_mul_lo_u32 v2, v2, s6
	;; [unrolled: 1-line block ×4, first 2 shown]
	v_add_nc_u32_e32 v6, s7, v28
	v_add_nc_u32_e32 v7, s5, v29
	;; [unrolled: 1-line block ×3, first 2 shown]
	v_mul_lo_u32 v5, v5, s4
	v_add_nc_u32_e32 v9, s5, v24
	v_sub_nc_u32_e32 v1, v1, v2
	v_mul_lo_u32 v2, v6, s6
	v_sub_nc_u32_e32 v3, v3, v4
	v_mul_lo_u32 v4, v7, s4
	v_mul_lo_u32 v6, v8, s6
	v_add_nc_u32_e32 v7, s5, v26
	v_cmp_lt_u32_e32 vcc_lo, s3, v1
	v_add_nc_u32_e32 v8, s5, v27
	v_add_nc_u32_e32 v10, s7, v24
	v_sub_nc_u32_e32 v2, v5, v2
	v_add_nc_u32_e32 v5, s7, v26
	v_cndmask_b32_e64 v1, 0, 1, vcc_lo
	v_sub_nc_u32_e32 v4, v4, v6
	v_mul_lo_u32 v6, v7, s4
	v_add_nc_u32_e32 v7, s7, v27
	v_cmp_lt_u32_e32 vcc_lo, s3, v3
	v_mul_lo_u32 v5, v5, s6
	v_mul_lo_u32 v8, v8, s4
	;; [unrolled: 1-line block ×4, first 2 shown]
	v_cndmask_b32_e64 v3, 0, 1, vcc_lo
	v_cmp_lt_u32_e32 vcc_lo, s3, v2
	v_mul_lo_u32 v10, v10, s6
	v_add_nc_u32_e32 v11, s5, v22
	v_sub_nc_u32_e32 v5, v6, v5
	v_add_nc_u32_e32 v12, s7, v22
	v_cndmask_b32_e64 v2, 0, 1, vcc_lo
	v_sub_nc_u32_e32 v6, v8, v7
	v_add_nc_u32_e32 v7, s5, v25
	v_add_nc_u32_e32 v8, s7, v25
	v_cmp_lt_u32_e32 vcc_lo, s3, v4
	v_sub_nc_u32_e32 v9, v9, v10
	v_mul_lo_u32 v10, v11, s4
	v_mul_lo_u32 v7, v7, s4
	;; [unrolled: 1-line block ×4, first 2 shown]
	v_cndmask_b32_e64 v4, 0, 1, vcc_lo
	v_cmp_lt_u32_e32 vcc_lo, s3, v5
	v_add_nc_u32_e32 v12, s5, v23
	v_add_nc_u32_e32 v13, s7, v20
	;; [unrolled: 1-line block ×4, first 2 shown]
	v_cndmask_b32_e64 v5, 0, 1, vcc_lo
	v_cmp_lt_u32_e32 vcc_lo, s3, v6
	v_sub_nc_u32_e32 v7, v7, v8
	v_sub_nc_u32_e32 v8, v10, v11
	v_add_nc_u32_e32 v11, s7, v23
	v_mul_lo_u32 v10, v12, s4
	v_cndmask_b32_e64 v6, 0, 1, vcc_lo
	v_cmp_lt_u32_e32 vcc_lo, s3, v9
	v_add_nc_u32_e32 v12, s5, v20
	v_mul_lo_u32 v11, v11, s6
	v_mul_lo_u32 v13, v13, s6
	;; [unrolled: 1-line block ×3, first 2 shown]
	v_cndmask_b32_e64 v9, 0, 1, vcc_lo
	v_cmp_lt_u32_e32 vcc_lo, s3, v7
	v_mul_lo_u32 v12, v12, s4
	v_mul_lo_u32 v15, v15, s6
	v_lshlrev_b16 v3, 8, v3
	v_sub_nc_u32_e32 v10, v10, v11
	v_cndmask_b32_e64 v7, 0, 1, vcc_lo
	v_cmp_lt_u32_e32 vcc_lo, s3, v8
	v_add_nc_u32_e32 v11, s5, v35
	v_or_b32_e32 v1, v1, v3
	v_sub_nc_u32_e32 v12, v12, v13
	v_sub_nc_u32_e32 v13, v14, v15
	v_cndmask_b32_e64 v8, 0, 1, vcc_lo
	v_cmp_lt_u32_e32 vcc_lo, s3, v10
	v_add_nc_u32_e32 v16, s7, v35
	v_mul_lo_u32 v11, v11, s4
	v_lshlrev_b16 v4, 8, v4
	v_lshlrev_b16 v6, 8, v6
	v_cndmask_b32_e64 v10, 0, 1, vcc_lo
	v_cmp_lt_u32_e32 vcc_lo, s3, v12
	v_mul_lo_u32 v14, v16, s6
	v_lshlrev_b16 v7, 8, v7
	v_or_b32_e32 v2, v2, v4
	v_lshlrev_b16 v10, 8, v10
	v_cndmask_b32_e64 v3, 0, 1, vcc_lo
	v_cmp_lt_u32_e32 vcc_lo, s3, v13
	v_or_b32_e32 v4, v5, v6
	v_or_b32_e32 v5, v9, v7
	v_sub_nc_u32_e32 v11, v11, v14
	v_or_b32_e32 v6, v8, v10
	v_cndmask_b32_e64 v12, 0, 1, vcc_lo
	v_and_b32_e32 v1, 0xffff, v1
	v_lshlrev_b32_e32 v2, 16, v2
	v_and_b32_e32 v4, 0xffff, v4
	v_lshlrev_b32_e32 v5, 16, v5
	v_lshlrev_b16 v12, 8, v12
	v_and_b32_e32 v6, 0xffff, v6
	v_cmp_lt_u32_e32 vcc_lo, s3, v11
	v_or_b32_e32 v42, v1, v2
	v_or_b32_e32 v40, v4, v5
	;; [unrolled: 1-line block ×3, first 2 shown]
	v_cndmask_b32_e64 v37, 0, 1, vcc_lo
	s_delay_alu instid0(VALU_DEP_2) | instskip(NEXT) | instid1(VALU_DEP_1)
	v_lshlrev_b32_e32 v3, 16, v3
	v_or_b32_e32 v38, v6, v3
	s_addk_i32 s11, 0xd00
	s_cbranch_execz .LBB479_11
	s_branch .LBB479_38
.LBB479_10:
                                        ; implicit-def: $vgpr37
                                        ; implicit-def: $vgpr38
                                        ; implicit-def: $vgpr40
                                        ; implicit-def: $vgpr42
	s_addk_i32 s11, 0xd00
.LBB479_11:
	v_dual_mov_b32 v2, 0 :: v_dual_mov_b32 v1, 0
	s_mov_b32 s0, exec_lo
	v_cmpx_gt_u32_e64 s11, v36
; %bb.12:
	v_add_nc_u32_e32 v1, s5, v30
	v_add_nc_u32_e32 v3, s7, v30
	s_delay_alu instid0(VALU_DEP_2) | instskip(NEXT) | instid1(VALU_DEP_2)
	v_mul_lo_u32 v1, v1, s4
	v_mul_lo_u32 v3, v3, s6
	s_delay_alu instid0(VALU_DEP_1) | instskip(NEXT) | instid1(VALU_DEP_1)
	v_sub_nc_u32_e32 v1, v1, v3
	v_cmp_lt_u32_e32 vcc_lo, s3, v1
	v_cndmask_b32_e64 v1, 0, 1, vcc_lo
; %bb.13:
	s_or_b32 exec_lo, exec_lo, s0
	v_add_nc_u32_e32 v3, 1, v36
	s_mov_b32 s0, exec_lo
	s_delay_alu instid0(VALU_DEP_1)
	v_cmpx_gt_u32_e64 s11, v3
; %bb.14:
	v_add_nc_u32_e32 v2, s5, v31
	v_add_nc_u32_e32 v3, s7, v31
	s_delay_alu instid0(VALU_DEP_2) | instskip(NEXT) | instid1(VALU_DEP_2)
	v_mul_lo_u32 v2, v2, s4
	v_mul_lo_u32 v3, v3, s6
	s_delay_alu instid0(VALU_DEP_1) | instskip(NEXT) | instid1(VALU_DEP_1)
	v_sub_nc_u32_e32 v2, v2, v3
	v_cmp_lt_u32_e32 vcc_lo, s3, v2
	v_cndmask_b32_e64 v2, 0, 1, vcc_lo
; %bb.15:
	s_or_b32 exec_lo, exec_lo, s0
	v_dual_mov_b32 v4, 0 :: v_dual_add_nc_u32 v3, 2, v36
	s_delay_alu instid0(VALU_DEP_1)
	v_cmp_gt_u32_e32 vcc_lo, s11, v3
	v_mov_b32_e32 v3, 0
	s_and_saveexec_b32 s0, vcc_lo
; %bb.16:
	v_add_nc_u32_e32 v3, s5, v28
	v_add_nc_u32_e32 v5, s7, v28
	s_delay_alu instid0(VALU_DEP_2) | instskip(NEXT) | instid1(VALU_DEP_2)
	v_mul_lo_u32 v3, v3, s4
	v_mul_lo_u32 v5, v5, s6
	s_delay_alu instid0(VALU_DEP_1) | instskip(NEXT) | instid1(VALU_DEP_1)
	v_sub_nc_u32_e32 v3, v3, v5
	v_cmp_lt_u32_e32 vcc_lo, s3, v3
	v_cndmask_b32_e64 v3, 0, 1, vcc_lo
; %bb.17:
	s_or_b32 exec_lo, exec_lo, s0
	v_add_nc_u32_e32 v5, 3, v36
	s_mov_b32 s0, exec_lo
	s_delay_alu instid0(VALU_DEP_1)
	v_cmpx_gt_u32_e64 s11, v5
; %bb.18:
	v_add_nc_u32_e32 v4, s5, v29
	v_add_nc_u32_e32 v5, s7, v29
	s_delay_alu instid0(VALU_DEP_2) | instskip(NEXT) | instid1(VALU_DEP_2)
	v_mul_lo_u32 v4, v4, s4
	v_mul_lo_u32 v5, v5, s6
	s_delay_alu instid0(VALU_DEP_1) | instskip(NEXT) | instid1(VALU_DEP_1)
	v_sub_nc_u32_e32 v4, v4, v5
	v_cmp_lt_u32_e32 vcc_lo, s3, v4
	v_cndmask_b32_e64 v4, 0, 1, vcc_lo
; %bb.19:
	s_or_b32 exec_lo, exec_lo, s0
	v_dual_mov_b32 v6, 0 :: v_dual_add_nc_u32 v5, 4, v36
	s_delay_alu instid0(VALU_DEP_1)
	v_cmp_gt_u32_e32 vcc_lo, s11, v5
	v_mov_b32_e32 v5, 0
	s_and_saveexec_b32 s0, vcc_lo
	;; [unrolled: 33-line block ×5, first 2 shown]
; %bb.32:
	v_add_nc_u32_e32 v11, s5, v20
	v_add_nc_u32_e32 v13, s7, v20
	s_delay_alu instid0(VALU_DEP_2) | instskip(NEXT) | instid1(VALU_DEP_2)
	v_mul_lo_u32 v11, v11, s4
	v_mul_lo_u32 v13, v13, s6
	s_delay_alu instid0(VALU_DEP_1) | instskip(NEXT) | instid1(VALU_DEP_1)
	v_sub_nc_u32_e32 v11, v11, v13
	v_cmp_lt_u32_e32 vcc_lo, s3, v11
	v_cndmask_b32_e64 v11, 0, 1, vcc_lo
; %bb.33:
	s_or_b32 exec_lo, exec_lo, s0
	v_add_nc_u32_e32 v13, 11, v36
	s_mov_b32 s0, exec_lo
	s_delay_alu instid0(VALU_DEP_1)
	v_cmpx_gt_u32_e64 s11, v13
; %bb.34:
	v_add_nc_u32_e32 v12, s5, v21
	v_add_nc_u32_e32 v13, s7, v21
	s_delay_alu instid0(VALU_DEP_2) | instskip(NEXT) | instid1(VALU_DEP_2)
	v_mul_lo_u32 v12, v12, s4
	v_mul_lo_u32 v13, v13, s6
	s_delay_alu instid0(VALU_DEP_1) | instskip(NEXT) | instid1(VALU_DEP_1)
	v_sub_nc_u32_e32 v12, v12, v13
	v_cmp_lt_u32_e32 vcc_lo, s3, v12
	v_cndmask_b32_e64 v12, 0, 1, vcc_lo
; %bb.35:
	s_or_b32 exec_lo, exec_lo, s0
	v_add_nc_u32_e32 v13, 12, v36
	v_mov_b32_e32 v37, 0
	s_mov_b32 s0, exec_lo
	s_delay_alu instid0(VALU_DEP_2)
	v_cmpx_gt_u32_e64 s11, v13
; %bb.36:
	v_add_nc_u32_e32 v13, s5, v35
	v_add_nc_u32_e32 v14, s7, v35
	s_delay_alu instid0(VALU_DEP_2) | instskip(NEXT) | instid1(VALU_DEP_2)
	v_mul_lo_u32 v13, v13, s4
	v_mul_lo_u32 v14, v14, s6
	s_delay_alu instid0(VALU_DEP_1) | instskip(NEXT) | instid1(VALU_DEP_1)
	v_sub_nc_u32_e32 v13, v13, v14
	v_cmp_lt_u32_e32 vcc_lo, s3, v13
	v_cndmask_b32_e64 v37, 0, 1, vcc_lo
; %bb.37:
	s_or_b32 exec_lo, exec_lo, s0
	v_lshlrev_b16 v2, 8, v2
	v_lshlrev_b16 v4, 8, v4
	;; [unrolled: 1-line block ×5, first 2 shown]
	v_or_b32_e32 v1, v1, v2
	v_lshlrev_b16 v2, 8, v12
	v_or_b32_e32 v3, v3, v4
	v_or_b32_e32 v4, v5, v6
	;; [unrolled: 1-line block ×5, first 2 shown]
	v_and_b32_e32 v1, 0xffff, v1
	v_lshlrev_b32_e32 v3, 16, v3
	v_and_b32_e32 v4, 0xffff, v4
	v_lshlrev_b32_e32 v5, 16, v5
	;; [unrolled: 2-line block ×3, first 2 shown]
	v_or_b32_e32 v42, v1, v3
	s_delay_alu instid0(VALU_DEP_4) | instskip(NEXT) | instid1(VALU_DEP_3)
	v_or_b32_e32 v40, v4, v5
	v_or_b32_e32 v38, v6, v2
.LBB479_38:
	s_delay_alu instid0(VALU_DEP_3)
	v_and_b32_e32 v44, 0xff, v42
	v_bfe_u32 v45, v42, 8, 8
	v_bfe_u32 v46, v42, 16, 8
	v_lshrrev_b32_e32 v43, 24, v42
	v_and_b32_e32 v47, 0xff, v40
	v_bfe_u32 v48, v40, 8, 8
	v_bfe_u32 v49, v40, 16, 8
	v_add3_u32 v1, v45, v44, v46
	v_lshrrev_b32_e32 v41, 24, v40
	v_and_b32_e32 v50, 0xff, v38
	v_bfe_u32 v51, v38, 8, 8
	v_mbcnt_lo_u32_b32 v53, -1, 0
	v_add3_u32 v1, v1, v43, v47
	v_bfe_u32 v52, v38, 16, 8
	v_lshrrev_b32_e32 v39, 24, v38
	v_and_b32_e32 v2, 0xff, v37
	v_and_b32_e32 v3, 15, v53
	v_add3_u32 v1, v1, v48, v49
	v_or_b32_e32 v4, 31, v0
	v_and_b32_e32 v5, 16, v53
	v_lshrrev_b32_e32 v54, 5, v0
	v_cmp_eq_u32_e64 s6, 0, v3
	v_add3_u32 v1, v1, v41, v50
	v_cmp_lt_u32_e64 s5, 1, v3
	v_cmp_lt_u32_e64 s4, 3, v3
	v_cmp_lt_u32_e64 s3, 7, v3
	v_cmp_eq_u32_e64 s1, 0, v5
	v_add3_u32 v1, v1, v51, v52
	v_cmp_eq_u32_e64 s0, v4, v0
	s_cmp_lg_u32 s20, 0
	s_mov_b32 s7, -1
	s_delay_alu instid0(VALU_DEP_2)
	v_add3_u32 v55, v1, v39, v2
	s_cbranch_scc0 .LBB479_69
; %bb.39:
	s_delay_alu instid0(VALU_DEP_1) | instskip(NEXT) | instid1(VALU_DEP_1)
	v_mov_b32_dpp v1, v55 row_shr:1 row_mask:0xf bank_mask:0xf
	v_cndmask_b32_e64 v1, v1, 0, s6
	s_delay_alu instid0(VALU_DEP_1) | instskip(NEXT) | instid1(VALU_DEP_1)
	v_add_nc_u32_e32 v1, v1, v55
	v_mov_b32_dpp v2, v1 row_shr:2 row_mask:0xf bank_mask:0xf
	s_delay_alu instid0(VALU_DEP_1) | instskip(NEXT) | instid1(VALU_DEP_1)
	v_cndmask_b32_e64 v2, 0, v2, s5
	v_add_nc_u32_e32 v1, v1, v2
	s_delay_alu instid0(VALU_DEP_1) | instskip(NEXT) | instid1(VALU_DEP_1)
	v_mov_b32_dpp v2, v1 row_shr:4 row_mask:0xf bank_mask:0xf
	v_cndmask_b32_e64 v2, 0, v2, s4
	s_delay_alu instid0(VALU_DEP_1) | instskip(NEXT) | instid1(VALU_DEP_1)
	v_add_nc_u32_e32 v1, v1, v2
	v_mov_b32_dpp v2, v1 row_shr:8 row_mask:0xf bank_mask:0xf
	s_delay_alu instid0(VALU_DEP_1) | instskip(NEXT) | instid1(VALU_DEP_1)
	v_cndmask_b32_e64 v2, 0, v2, s3
	v_add_nc_u32_e32 v1, v1, v2
	ds_swizzle_b32 v2, v1 offset:swizzle(BROADCAST,32,15)
	s_waitcnt lgkmcnt(0)
	v_cndmask_b32_e64 v2, v2, 0, s1
	s_delay_alu instid0(VALU_DEP_1)
	v_add_nc_u32_e32 v1, v1, v2
	s_and_saveexec_b32 s7, s0
	s_cbranch_execz .LBB479_41
; %bb.40:
	v_lshlrev_b32_e32 v2, 2, v54
	ds_store_b32 v2, v1
.LBB479_41:
	s_or_b32 exec_lo, exec_lo, s7
	s_delay_alu instid0(SALU_CYCLE_1)
	s_mov_b32 s7, exec_lo
	s_waitcnt lgkmcnt(0)
	s_barrier
	buffer_gl0_inv
	v_cmpx_gt_u32_e32 8, v0
	s_cbranch_execz .LBB479_43
; %bb.42:
	ds_load_b32 v2, v33
	s_waitcnt lgkmcnt(0)
	v_mov_b32_dpp v4, v2 row_shr:1 row_mask:0xf bank_mask:0xf
	v_and_b32_e32 v3, 7, v53
	s_delay_alu instid0(VALU_DEP_1) | instskip(NEXT) | instid1(VALU_DEP_3)
	v_cmp_ne_u32_e32 vcc_lo, 0, v3
	v_cndmask_b32_e32 v4, 0, v4, vcc_lo
	v_cmp_lt_u32_e32 vcc_lo, 1, v3
	s_delay_alu instid0(VALU_DEP_2) | instskip(NEXT) | instid1(VALU_DEP_1)
	v_add_nc_u32_e32 v2, v4, v2
	v_mov_b32_dpp v4, v2 row_shr:2 row_mask:0xf bank_mask:0xf
	s_delay_alu instid0(VALU_DEP_1) | instskip(SKIP_1) | instid1(VALU_DEP_2)
	v_cndmask_b32_e32 v4, 0, v4, vcc_lo
	v_cmp_lt_u32_e32 vcc_lo, 3, v3
	v_add_nc_u32_e32 v2, v2, v4
	s_delay_alu instid0(VALU_DEP_1) | instskip(NEXT) | instid1(VALU_DEP_1)
	v_mov_b32_dpp v4, v2 row_shr:4 row_mask:0xf bank_mask:0xf
	v_cndmask_b32_e32 v3, 0, v4, vcc_lo
	s_delay_alu instid0(VALU_DEP_1)
	v_add_nc_u32_e32 v2, v2, v3
	ds_store_b32 v33, v2
.LBB479_43:
	s_or_b32 exec_lo, exec_lo, s7
	v_cmp_gt_u32_e32 vcc_lo, 32, v0
	s_mov_b32 s21, exec_lo
	s_waitcnt lgkmcnt(0)
	s_barrier
	buffer_gl0_inv
                                        ; implicit-def: $vgpr8
	v_cmpx_lt_u32_e32 31, v0
	s_cbranch_execz .LBB479_45
; %bb.44:
	v_lshl_add_u32 v2, v54, 2, -4
	ds_load_b32 v8, v2
	s_waitcnt lgkmcnt(0)
	v_add_nc_u32_e32 v1, v8, v1
.LBB479_45:
	s_or_b32 exec_lo, exec_lo, s21
	v_add_nc_u32_e32 v2, -1, v53
	s_delay_alu instid0(VALU_DEP_1) | instskip(NEXT) | instid1(VALU_DEP_1)
	v_cmp_gt_i32_e64 s7, 0, v2
	v_cndmask_b32_e64 v2, v2, v53, s7
	v_cmp_eq_u32_e64 s7, 0, v53
	s_delay_alu instid0(VALU_DEP_2)
	v_lshlrev_b32_e32 v2, 2, v2
	ds_bpermute_b32 v9, v2, v1
	s_and_saveexec_b32 s21, vcc_lo
	s_cbranch_execz .LBB479_68
; %bb.46:
	v_mov_b32_e32 v4, 0
	ds_load_b32 v1, v4 offset:28
	s_and_saveexec_b32 s22, s7
	s_cbranch_execz .LBB479_48
; %bb.47:
	s_add_i32 s24, s20, 32
	s_mov_b32 s25, 0
	v_mov_b32_e32 v2, 1
	s_lshl_b64 s[24:25], s[24:25], 3
	s_delay_alu instid0(SALU_CYCLE_1)
	s_add_u32 s24, s18, s24
	s_addc_u32 s25, s19, s25
	s_waitcnt lgkmcnt(0)
	global_store_b64 v4, v[1:2], s[24:25]
.LBB479_48:
	s_or_b32 exec_lo, exec_lo, s22
	v_xad_u32 v2, v53, -1, s20
	s_mov_b32 s23, 0
	s_mov_b32 s22, exec_lo
	s_delay_alu instid0(VALU_DEP_1) | instskip(NEXT) | instid1(VALU_DEP_1)
	v_add_nc_u32_e32 v3, 32, v2
	v_lshlrev_b64 v[3:4], 3, v[3:4]
	s_delay_alu instid0(VALU_DEP_1) | instskip(NEXT) | instid1(VALU_DEP_2)
	v_add_co_u32 v6, vcc_lo, s18, v3
	v_add_co_ci_u32_e32 v7, vcc_lo, s19, v4, vcc_lo
	global_load_b64 v[4:5], v[6:7], off glc
	s_waitcnt vmcnt(0)
	v_and_b32_e32 v3, 0xff, v5
	s_delay_alu instid0(VALU_DEP_1)
	v_cmpx_eq_u16_e32 0, v3
	s_cbranch_execz .LBB479_54
; %bb.49:
	s_mov_b32 s24, 1
	.p2align	6
.LBB479_50:                             ; =>This Loop Header: Depth=1
                                        ;     Child Loop BB479_51 Depth 2
	s_delay_alu instid0(SALU_CYCLE_1)
	s_max_u32 s25, s24, 1
.LBB479_51:                             ;   Parent Loop BB479_50 Depth=1
                                        ; =>  This Inner Loop Header: Depth=2
	s_delay_alu instid0(SALU_CYCLE_1)
	s_add_i32 s25, s25, -1
	s_sleep 1
	s_cmp_eq_u32 s25, 0
	s_cbranch_scc0 .LBB479_51
; %bb.52:                               ;   in Loop: Header=BB479_50 Depth=1
	global_load_b64 v[4:5], v[6:7], off glc
	s_cmp_lt_u32 s24, 32
	s_cselect_b32 s25, -1, 0
	s_delay_alu instid0(SALU_CYCLE_1) | instskip(SKIP_3) | instid1(VALU_DEP_1)
	s_cmp_lg_u32 s25, 0
	s_addc_u32 s24, s24, 0
	s_waitcnt vmcnt(0)
	v_and_b32_e32 v3, 0xff, v5
	v_cmp_ne_u16_e32 vcc_lo, 0, v3
	s_or_b32 s23, vcc_lo, s23
	s_delay_alu instid0(SALU_CYCLE_1)
	s_and_not1_b32 exec_lo, exec_lo, s23
	s_cbranch_execnz .LBB479_50
; %bb.53:
	s_or_b32 exec_lo, exec_lo, s23
.LBB479_54:
	s_delay_alu instid0(SALU_CYCLE_1)
	s_or_b32 exec_lo, exec_lo, s22
	v_cmp_ne_u32_e32 vcc_lo, 31, v53
	v_lshlrev_b32_e64 v11, v53, -1
	v_add_nc_u32_e32 v13, 2, v53
	v_add_nc_u32_e32 v15, 4, v53
	;; [unrolled: 1-line block ×3, first 2 shown]
	v_add_co_ci_u32_e32 v3, vcc_lo, 0, v53, vcc_lo
	v_add_nc_u32_e32 v58, 16, v53
	s_delay_alu instid0(VALU_DEP_2) | instskip(SKIP_2) | instid1(VALU_DEP_1)
	v_lshlrev_b32_e32 v10, 2, v3
	ds_bpermute_b32 v6, v10, v4
	v_and_b32_e32 v3, 0xff, v5
	v_cmp_eq_u16_e32 vcc_lo, 2, v3
	v_and_or_b32 v3, vcc_lo, v11, 0x80000000
	v_cmp_gt_u32_e32 vcc_lo, 30, v53
	s_delay_alu instid0(VALU_DEP_2) | instskip(SKIP_1) | instid1(VALU_DEP_2)
	v_ctz_i32_b32_e32 v3, v3
	v_cndmask_b32_e64 v7, 0, 1, vcc_lo
	v_cmp_lt_u32_e32 vcc_lo, v53, v3
	s_waitcnt lgkmcnt(0)
	s_delay_alu instid0(VALU_DEP_2) | instskip(NEXT) | instid1(VALU_DEP_1)
	v_dual_cndmask_b32 v6, 0, v6 :: v_dual_lshlrev_b32 v7, 1, v7
	v_add_lshl_u32 v12, v7, v53, 2
	v_cmp_gt_u32_e32 vcc_lo, 28, v53
	s_delay_alu instid0(VALU_DEP_3) | instskip(SKIP_4) | instid1(VALU_DEP_1)
	v_add_nc_u32_e32 v4, v6, v4
	v_cndmask_b32_e64 v7, 0, 1, vcc_lo
	v_cmp_le_u32_e32 vcc_lo, v13, v3
	ds_bpermute_b32 v6, v12, v4
	v_lshlrev_b32_e32 v7, 2, v7
	v_add_lshl_u32 v14, v7, v53, 2
	s_waitcnt lgkmcnt(0)
	v_cndmask_b32_e32 v6, 0, v6, vcc_lo
	v_cmp_gt_u32_e32 vcc_lo, 24, v53
	s_delay_alu instid0(VALU_DEP_2) | instskip(SKIP_4) | instid1(VALU_DEP_1)
	v_add_nc_u32_e32 v4, v4, v6
	v_cndmask_b32_e64 v7, 0, 1, vcc_lo
	v_cmp_le_u32_e32 vcc_lo, v15, v3
	ds_bpermute_b32 v6, v14, v4
	v_lshlrev_b32_e32 v7, 3, v7
	v_add_lshl_u32 v17, v7, v53, 2
	s_waitcnt lgkmcnt(0)
	v_cndmask_b32_e32 v6, 0, v6, vcc_lo
	v_cmp_gt_u32_e32 vcc_lo, 16, v53
	s_delay_alu instid0(VALU_DEP_2) | instskip(SKIP_4) | instid1(VALU_DEP_1)
	v_add_nc_u32_e32 v4, v4, v6
	v_cndmask_b32_e64 v7, 0, 1, vcc_lo
	v_cmp_le_u32_e32 vcc_lo, v56, v3
	ds_bpermute_b32 v6, v17, v4
	v_lshlrev_b32_e32 v7, 4, v7
	v_add_lshl_u32 v57, v7, v53, 2
	s_waitcnt lgkmcnt(0)
	v_cndmask_b32_e32 v6, 0, v6, vcc_lo
	v_cmp_le_u32_e32 vcc_lo, v58, v3
	s_delay_alu instid0(VALU_DEP_2) | instskip(SKIP_3) | instid1(VALU_DEP_1)
	v_add_nc_u32_e32 v4, v4, v6
	ds_bpermute_b32 v6, v57, v4
	s_waitcnt lgkmcnt(0)
	v_cndmask_b32_e32 v3, 0, v6, vcc_lo
	v_dual_mov_b32 v3, 0 :: v_dual_add_nc_u32 v4, v4, v3
	s_branch .LBB479_56
.LBB479_55:                             ;   in Loop: Header=BB479_56 Depth=1
	s_or_b32 exec_lo, exec_lo, s22
	ds_bpermute_b32 v7, v10, v4
	v_and_b32_e32 v6, 0xff, v5
	v_subrev_nc_u32_e32 v2, 32, v2
	s_delay_alu instid0(VALU_DEP_2) | instskip(SKIP_1) | instid1(VALU_DEP_1)
	v_cmp_eq_u16_e32 vcc_lo, 2, v6
	v_and_or_b32 v6, vcc_lo, v11, 0x80000000
	v_ctz_i32_b32_e32 v6, v6
	s_delay_alu instid0(VALU_DEP_1) | instskip(SKIP_3) | instid1(VALU_DEP_2)
	v_cmp_lt_u32_e32 vcc_lo, v53, v6
	s_waitcnt lgkmcnt(0)
	v_cndmask_b32_e32 v7, 0, v7, vcc_lo
	v_cmp_le_u32_e32 vcc_lo, v13, v6
	v_add_nc_u32_e32 v4, v7, v4
	ds_bpermute_b32 v7, v12, v4
	s_waitcnt lgkmcnt(0)
	v_cndmask_b32_e32 v7, 0, v7, vcc_lo
	v_cmp_le_u32_e32 vcc_lo, v15, v6
	s_delay_alu instid0(VALU_DEP_2) | instskip(SKIP_4) | instid1(VALU_DEP_2)
	v_add_nc_u32_e32 v4, v4, v7
	ds_bpermute_b32 v7, v14, v4
	s_waitcnt lgkmcnt(0)
	v_cndmask_b32_e32 v7, 0, v7, vcc_lo
	v_cmp_le_u32_e32 vcc_lo, v56, v6
	v_add_nc_u32_e32 v4, v4, v7
	ds_bpermute_b32 v7, v17, v4
	s_waitcnt lgkmcnt(0)
	v_cndmask_b32_e32 v7, 0, v7, vcc_lo
	v_cmp_le_u32_e32 vcc_lo, v58, v6
	s_delay_alu instid0(VALU_DEP_2) | instskip(SKIP_3) | instid1(VALU_DEP_1)
	v_add_nc_u32_e32 v4, v4, v7
	ds_bpermute_b32 v7, v57, v4
	s_waitcnt lgkmcnt(0)
	v_cndmask_b32_e32 v6, 0, v7, vcc_lo
	v_add3_u32 v4, v6, v16, v4
.LBB479_56:                             ; =>This Loop Header: Depth=1
                                        ;     Child Loop BB479_59 Depth 2
                                        ;       Child Loop BB479_60 Depth 3
	s_delay_alu instid0(VALU_DEP_1) | instskip(NEXT) | instid1(VALU_DEP_1)
	v_dual_mov_b32 v16, v4 :: v_dual_and_b32 v5, 0xff, v5
	v_cmp_ne_u16_e32 vcc_lo, 2, v5
	v_cndmask_b32_e64 v5, 0, 1, vcc_lo
	;;#ASMSTART
	;;#ASMEND
	s_delay_alu instid0(VALU_DEP_1)
	v_cmp_ne_u32_e32 vcc_lo, 0, v5
	s_cmp_lg_u32 vcc_lo, exec_lo
	s_cbranch_scc1 .LBB479_63
; %bb.57:                               ;   in Loop: Header=BB479_56 Depth=1
	v_lshlrev_b64 v[4:5], 3, v[2:3]
	s_mov_b32 s22, exec_lo
	s_delay_alu instid0(VALU_DEP_1) | instskip(NEXT) | instid1(VALU_DEP_2)
	v_add_co_u32 v6, vcc_lo, s18, v4
	v_add_co_ci_u32_e32 v7, vcc_lo, s19, v5, vcc_lo
	global_load_b64 v[4:5], v[6:7], off glc
	s_waitcnt vmcnt(0)
	v_and_b32_e32 v59, 0xff, v5
	s_delay_alu instid0(VALU_DEP_1)
	v_cmpx_eq_u16_e32 0, v59
	s_cbranch_execz .LBB479_55
; %bb.58:                               ;   in Loop: Header=BB479_56 Depth=1
	s_mov_b32 s24, 1
	s_mov_b32 s23, 0
	.p2align	6
.LBB479_59:                             ;   Parent Loop BB479_56 Depth=1
                                        ; =>  This Loop Header: Depth=2
                                        ;       Child Loop BB479_60 Depth 3
	s_max_u32 s25, s24, 1
.LBB479_60:                             ;   Parent Loop BB479_56 Depth=1
                                        ;     Parent Loop BB479_59 Depth=2
                                        ; =>    This Inner Loop Header: Depth=3
	s_delay_alu instid0(SALU_CYCLE_1)
	s_add_i32 s25, s25, -1
	s_sleep 1
	s_cmp_eq_u32 s25, 0
	s_cbranch_scc0 .LBB479_60
; %bb.61:                               ;   in Loop: Header=BB479_59 Depth=2
	global_load_b64 v[4:5], v[6:7], off glc
	s_cmp_lt_u32 s24, 32
	s_cselect_b32 s25, -1, 0
	s_delay_alu instid0(SALU_CYCLE_1) | instskip(SKIP_3) | instid1(VALU_DEP_1)
	s_cmp_lg_u32 s25, 0
	s_addc_u32 s24, s24, 0
	s_waitcnt vmcnt(0)
	v_and_b32_e32 v59, 0xff, v5
	v_cmp_ne_u16_e32 vcc_lo, 0, v59
	s_or_b32 s23, vcc_lo, s23
	s_delay_alu instid0(SALU_CYCLE_1)
	s_and_not1_b32 exec_lo, exec_lo, s23
	s_cbranch_execnz .LBB479_59
; %bb.62:                               ;   in Loop: Header=BB479_56 Depth=1
	s_or_b32 exec_lo, exec_lo, s23
	s_branch .LBB479_55
.LBB479_63:                             ;   in Loop: Header=BB479_56 Depth=1
                                        ; implicit-def: $vgpr4
                                        ; implicit-def: $vgpr5
	s_cbranch_execz .LBB479_56
; %bb.64:
	s_and_saveexec_b32 s22, s7
	s_cbranch_execz .LBB479_66
; %bb.65:
	s_add_i32 s24, s20, 32
	s_mov_b32 s25, 0
	v_dual_mov_b32 v3, 2 :: v_dual_add_nc_u32 v2, v16, v1
	s_lshl_b64 s[24:25], s[24:25], 3
	v_mov_b32_e32 v4, 0
	v_add_nc_u32_e64 v5, 0x3400, 0
	s_add_u32 s24, s18, s24
	s_addc_u32 s25, s19, s25
	global_store_b64 v4, v[2:3], s[24:25]
	ds_store_2addr_b32 v5, v1, v16 offset1:2
.LBB479_66:
	s_or_b32 exec_lo, exec_lo, s22
	s_delay_alu instid0(SALU_CYCLE_1)
	s_and_b32 exec_lo, exec_lo, s2
	s_cbranch_execz .LBB479_68
; %bb.67:
	v_mov_b32_e32 v1, 0
	ds_store_b32 v1, v16 offset:28
.LBB479_68:
	s_or_b32 exec_lo, exec_lo, s21
	v_mov_b32_e32 v1, 0
	s_waitcnt lgkmcnt(0)
	s_waitcnt_vscnt null, 0x0
	s_barrier
	buffer_gl0_inv
	v_cndmask_b32_e64 v2, v9, v8, s7
	ds_load_b32 v1, v1 offset:28
	v_add_nc_u32_e64 v11, 0x3400, 0
	s_waitcnt lgkmcnt(0)
	s_barrier
	v_cndmask_b32_e64 v2, v2, 0, s2
	buffer_gl0_inv
	ds_load_2addr_b32 v[16:17], v11 offset1:2
	v_add_nc_u32_e32 v1, v1, v2
	s_delay_alu instid0(VALU_DEP_1) | instskip(NEXT) | instid1(VALU_DEP_1)
	v_add_nc_u32_e32 v2, v1, v44
	v_add_nc_u32_e32 v3, v2, v45
	s_delay_alu instid0(VALU_DEP_1) | instskip(NEXT) | instid1(VALU_DEP_1)
	v_add_nc_u32_e32 v4, v3, v46
	;; [unrolled: 3-line block ×6, first 2 shown]
	v_add_nc_u32_e32 v13, v12, v39
	s_branch .LBB479_79
.LBB479_69:
                                        ; implicit-def: $vgpr17
                                        ; implicit-def: $vgpr1_vgpr2_vgpr3_vgpr4_vgpr5_vgpr6_vgpr7_vgpr8_vgpr9_vgpr10_vgpr11_vgpr12_vgpr13_vgpr14_vgpr15_vgpr16
	s_and_b32 vcc_lo, exec_lo, s7
	s_cbranch_vccz .LBB479_79
; %bb.70:
	s_delay_alu instid0(VALU_DEP_1) | instskip(NEXT) | instid1(VALU_DEP_1)
	v_mov_b32_dpp v1, v55 row_shr:1 row_mask:0xf bank_mask:0xf
	v_cndmask_b32_e64 v1, v1, 0, s6
	s_delay_alu instid0(VALU_DEP_1) | instskip(NEXT) | instid1(VALU_DEP_1)
	v_add_nc_u32_e32 v1, v1, v55
	v_mov_b32_dpp v2, v1 row_shr:2 row_mask:0xf bank_mask:0xf
	s_delay_alu instid0(VALU_DEP_1) | instskip(NEXT) | instid1(VALU_DEP_1)
	v_cndmask_b32_e64 v2, 0, v2, s5
	v_add_nc_u32_e32 v1, v1, v2
	s_delay_alu instid0(VALU_DEP_1) | instskip(NEXT) | instid1(VALU_DEP_1)
	v_mov_b32_dpp v2, v1 row_shr:4 row_mask:0xf bank_mask:0xf
	v_cndmask_b32_e64 v2, 0, v2, s4
	s_delay_alu instid0(VALU_DEP_1) | instskip(NEXT) | instid1(VALU_DEP_1)
	v_add_nc_u32_e32 v1, v1, v2
	v_mov_b32_dpp v2, v1 row_shr:8 row_mask:0xf bank_mask:0xf
	s_delay_alu instid0(VALU_DEP_1) | instskip(NEXT) | instid1(VALU_DEP_1)
	v_cndmask_b32_e64 v2, 0, v2, s3
	v_add_nc_u32_e32 v1, v1, v2
	ds_swizzle_b32 v2, v1 offset:swizzle(BROADCAST,32,15)
	s_waitcnt lgkmcnt(0)
	v_cndmask_b32_e64 v2, v2, 0, s1
	s_delay_alu instid0(VALU_DEP_1)
	v_add_nc_u32_e32 v1, v1, v2
	s_and_saveexec_b32 s1, s0
	s_cbranch_execz .LBB479_72
; %bb.71:
	v_lshlrev_b32_e32 v2, 2, v54
	ds_store_b32 v2, v1
.LBB479_72:
	s_or_b32 exec_lo, exec_lo, s1
	s_delay_alu instid0(SALU_CYCLE_1)
	s_mov_b32 s0, exec_lo
	s_waitcnt lgkmcnt(0)
	s_barrier
	buffer_gl0_inv
	v_cmpx_gt_u32_e32 8, v0
	s_cbranch_execz .LBB479_74
; %bb.73:
	ds_load_b32 v2, v33
	s_waitcnt lgkmcnt(0)
	v_mov_b32_dpp v4, v2 row_shr:1 row_mask:0xf bank_mask:0xf
	v_and_b32_e32 v3, 7, v53
	s_delay_alu instid0(VALU_DEP_1) | instskip(NEXT) | instid1(VALU_DEP_3)
	v_cmp_ne_u32_e32 vcc_lo, 0, v3
	v_cndmask_b32_e32 v4, 0, v4, vcc_lo
	v_cmp_lt_u32_e32 vcc_lo, 1, v3
	s_delay_alu instid0(VALU_DEP_2) | instskip(NEXT) | instid1(VALU_DEP_1)
	v_add_nc_u32_e32 v2, v4, v2
	v_mov_b32_dpp v4, v2 row_shr:2 row_mask:0xf bank_mask:0xf
	s_delay_alu instid0(VALU_DEP_1) | instskip(SKIP_1) | instid1(VALU_DEP_2)
	v_cndmask_b32_e32 v4, 0, v4, vcc_lo
	v_cmp_lt_u32_e32 vcc_lo, 3, v3
	v_add_nc_u32_e32 v2, v2, v4
	s_delay_alu instid0(VALU_DEP_1) | instskip(NEXT) | instid1(VALU_DEP_1)
	v_mov_b32_dpp v4, v2 row_shr:4 row_mask:0xf bank_mask:0xf
	v_cndmask_b32_e32 v3, 0, v4, vcc_lo
	s_delay_alu instid0(VALU_DEP_1)
	v_add_nc_u32_e32 v2, v2, v3
	ds_store_b32 v33, v2
.LBB479_74:
	s_or_b32 exec_lo, exec_lo, s0
	v_dual_mov_b32 v3, 0 :: v_dual_mov_b32 v2, 0
	s_mov_b32 s0, exec_lo
	s_waitcnt lgkmcnt(0)
	s_barrier
	buffer_gl0_inv
	v_cmpx_lt_u32_e32 31, v0
	s_cbranch_execz .LBB479_76
; %bb.75:
	v_lshl_add_u32 v2, v54, 2, -4
	ds_load_b32 v2, v2
.LBB479_76:
	s_or_b32 exec_lo, exec_lo, s0
	v_add_nc_u32_e32 v4, -1, v53
	s_waitcnt lgkmcnt(0)
	v_add_nc_u32_e32 v1, v2, v1
	ds_load_b32 v16, v3 offset:28
	v_cmp_gt_i32_e32 vcc_lo, 0, v4
	v_cndmask_b32_e32 v4, v4, v53, vcc_lo
	s_delay_alu instid0(VALU_DEP_1)
	v_lshlrev_b32_e32 v4, 2, v4
	ds_bpermute_b32 v1, v4, v1
	s_and_saveexec_b32 s0, s2
	s_cbranch_execz .LBB479_78
; %bb.77:
	v_mov_b32_e32 v3, 0
	v_mov_b32_e32 v17, 2
	s_waitcnt lgkmcnt(1)
	global_store_b64 v3, v[16:17], s[18:19] offset:256
.LBB479_78:
	s_or_b32 exec_lo, exec_lo, s0
	v_cmp_eq_u32_e32 vcc_lo, 0, v53
	s_waitcnt lgkmcnt(0)
	s_waitcnt_vscnt null, 0x0
	s_barrier
	buffer_gl0_inv
	v_mov_b32_e32 v17, 0
	v_cndmask_b32_e32 v1, v1, v2, vcc_lo
	s_delay_alu instid0(VALU_DEP_1) | instskip(NEXT) | instid1(VALU_DEP_1)
	v_cndmask_b32_e64 v1, v1, 0, s2
	v_add_nc_u32_e32 v2, v1, v44
	s_delay_alu instid0(VALU_DEP_1) | instskip(NEXT) | instid1(VALU_DEP_1)
	v_add_nc_u32_e32 v3, v2, v45
	v_add_nc_u32_e32 v4, v3, v46
	s_delay_alu instid0(VALU_DEP_1) | instskip(NEXT) | instid1(VALU_DEP_1)
	v_add_nc_u32_e32 v5, v4, v43
	;; [unrolled: 3-line block ×5, first 2 shown]
	v_add_nc_u32_e32 v12, v11, v52
	s_delay_alu instid0(VALU_DEP_1)
	v_add_nc_u32_e32 v13, v12, v39
.LBB479_79:
	s_waitcnt lgkmcnt(0)
	v_sub_nc_u32_e32 v1, v1, v17
	v_sub_nc_u32_e32 v2, v2, v17
	v_add_nc_u32_e32 v36, v16, v36
	v_lshrrev_b32_e32 v47, 8, v42
	v_lshrrev_b32_e32 v46, 16, v42
	v_sub_nc_u32_e32 v4, v4, v17
	v_sub_nc_u32_e32 v3, v3, v17
	;; [unrolled: 1-line block ×3, first 2 shown]
	v_and_b32_e32 v42, 1, v42
	v_and_b32_e32 v47, 1, v47
	;; [unrolled: 1-line block ×3, first 2 shown]
	v_lshrrev_b32_e32 v45, 8, v40
	v_lshrrev_b32_e32 v44, 16, v40
	v_cmp_eq_u32_e32 vcc_lo, 1, v42
	v_and_b32_e32 v42, 1, v46
	v_sub_nc_u32_e32 v46, v36, v2
	v_lshrrev_b32_e32 v15, 8, v38
	v_lshrrev_b32_e32 v14, 16, v38
	v_cndmask_b32_e32 v1, v48, v1, vcc_lo
	v_cmp_eq_u32_e32 vcc_lo, 1, v47
	v_add_nc_u32_e32 v46, 1, v46
	s_delay_alu instid0(VALU_DEP_3)
	v_lshlrev_b32_e32 v1, 2, v1
	ds_store_b32 v1, v30
	v_cndmask_b32_e32 v1, v46, v2, vcc_lo
	v_sub_nc_u32_e32 v48, v36, v3
	v_sub_nc_u32_e32 v49, v36, v4
	v_cmp_eq_u32_e32 vcc_lo, 1, v42
	v_or_b32_e32 v30, 0x300, v0
	v_lshlrev_b32_e32 v1, 2, v1
	v_add_nc_u32_e32 v48, 2, v48
	v_add_nc_u32_e32 v49, 3, v49
	ds_store_b32 v1, v31
	v_cndmask_b32_e32 v2, v48, v3, vcc_lo
	v_cmp_eq_u32_e32 vcc_lo, 1, v43
	v_or_b32_e32 v31, 0x200, v0
	s_delay_alu instid0(VALU_DEP_3) | instskip(SKIP_2) | instid1(VALU_DEP_3)
	v_dual_cndmask_b32 v3, v49, v4 :: v_dual_lshlrev_b32 v2, 2, v2
	v_sub_nc_u32_e32 v4, v5, v17
	v_sub_nc_u32_e32 v5, v6, v17
	v_lshlrev_b32_e32 v3, 2, v3
	s_delay_alu instid0(VALU_DEP_3) | instskip(NEXT) | instid1(VALU_DEP_3)
	v_sub_nc_u32_e32 v1, v36, v4
	v_sub_nc_u32_e32 v6, v36, v5
	ds_store_b32 v2, v28
	ds_store_b32 v3, v29
	v_and_b32_e32 v2, 1, v40
	v_add_nc_u32_e32 v1, 4, v1
	v_add_nc_u32_e32 v3, 5, v6
	v_sub_nc_u32_e32 v6, v7, v17
	v_and_b32_e32 v7, 1, v45
	v_cmp_eq_u32_e32 vcc_lo, 1, v2
	v_sub_nc_u32_e32 v2, v8, v17
	v_and_b32_e32 v8, 1, v41
	v_or_b32_e32 v29, 0x400, v0
	v_or_b32_e32 v28, 0x500, v0
	v_cndmask_b32_e32 v1, v1, v4, vcc_lo
	v_sub_nc_u32_e32 v4, v36, v6
	v_cmp_eq_u32_e32 vcc_lo, 1, v7
	v_and_b32_e32 v7, 1, v44
	s_delay_alu instid0(VALU_DEP_4) | instskip(NEXT) | instid1(VALU_DEP_4)
	v_lshlrev_b32_e32 v1, 2, v1
	v_dual_cndmask_b32 v3, v3, v5 :: v_dual_add_nc_u32 v4, 6, v4
	v_sub_nc_u32_e32 v5, v36, v2
	s_delay_alu instid0(VALU_DEP_4) | instskip(SKIP_2) | instid1(VALU_DEP_4)
	v_cmp_eq_u32_e32 vcc_lo, 1, v7
	v_sub_nc_u32_e32 v7, v13, v17
	v_add_co_u32 v13, s0, s16, v32
	v_dual_cndmask_b32 v4, v4, v6 :: v_dual_add_nc_u32 v5, 7, v5
	v_cmp_eq_u32_e32 vcc_lo, 1, v8
	v_sub_nc_u32_e32 v6, v9, v17
	v_lshlrev_b32_e32 v3, 2, v3
	ds_store_b32 v1, v26
	ds_store_b32 v3, v27
	v_cndmask_b32_e32 v2, v5, v2, vcc_lo
	v_sub_nc_u32_e32 v1, v36, v6
	v_lshlrev_b32_e32 v3, 2, v4
	v_and_b32_e32 v5, 1, v38
	v_sub_nc_u32_e32 v4, v10, v17
	v_lshlrev_b32_e32 v2, 2, v2
	v_add_nc_u32_e32 v1, 8, v1
	ds_store_b32 v3, v24
	ds_store_b32 v2, v25
	v_cmp_eq_u32_e32 vcc_lo, 1, v5
	v_sub_nc_u32_e32 v3, v11, v17
	v_sub_nc_u32_e32 v2, v36, v4
	;; [unrolled: 1-line block ×3, first 2 shown]
	v_dual_cndmask_b32 v1, v1, v6 :: v_dual_and_b32 v10, 1, v39
	v_and_b32_e32 v6, 1, v15
	v_sub_nc_u32_e32 v8, v36, v3
	v_add_nc_u32_e32 v2, 9, v2
	v_sub_nc_u32_e32 v9, v36, v5
	v_and_b32_e32 v11, 1, v37
	v_cmp_eq_u32_e32 vcc_lo, 1, v6
	v_add_nc_u32_e32 v6, 10, v8
	v_and_b32_e32 v8, 1, v14
	v_add_nc_u32_e32 v9, 11, v9
	v_dual_cndmask_b32 v2, v2, v4 :: v_dual_lshlrev_b32 v1, 2, v1
	v_sub_nc_u32_e32 v4, v36, v7
	s_delay_alu instid0(VALU_DEP_4) | instskip(SKIP_1) | instid1(VALU_DEP_4)
	v_cmp_eq_u32_e32 vcc_lo, 1, v8
	v_add_co_ci_u32_e64 v14, null, s17, 0, s0
	v_lshlrev_b32_e32 v2, 2, v2
	s_delay_alu instid0(VALU_DEP_4)
	v_dual_cndmask_b32 v3, v6, v3 :: v_dual_add_nc_u32 v4, 12, v4
	v_cmp_eq_u32_e32 vcc_lo, 1, v10
	v_or_b32_e32 v27, 0x600, v0
	v_or_b32_e32 v26, 0x700, v0
	;; [unrolled: 1-line block ×3, first 2 shown]
	v_lshlrev_b32_e32 v3, 2, v3
	v_cndmask_b32_e32 v5, v9, v5, vcc_lo
	v_cmp_eq_u32_e32 vcc_lo, 1, v11
	v_or_b32_e32 v24, 0x900, v0
	s_delay_alu instid0(VALU_DEP_3) | instskip(SKIP_2) | instid1(VALU_DEP_3)
	v_dual_cndmask_b32 v4, v4, v7 :: v_dual_lshlrev_b32 v5, 2, v5
	v_sub_co_u32 v13, vcc_lo, s14, v13
	v_sub_co_ci_u32_e32 v14, vcc_lo, s15, v14, vcc_lo
	v_lshlrev_b32_e32 v4, 2, v4
	ds_store_b32 v1, v22
	ds_store_b32 v2, v23
	ds_store_b32 v3, v20
	ds_store_b32 v5, v21
	ds_store_b32 v4, v35
	s_waitcnt lgkmcnt(0)
	s_barrier
	buffer_gl0_inv
	ds_load_2addr_stride64_b32 v[11:12], v33 offset1:4
	ds_load_2addr_stride64_b32 v[9:10], v33 offset0:8 offset1:12
	ds_load_2addr_stride64_b32 v[7:8], v33 offset0:16 offset1:20
	;; [unrolled: 1-line block ×5, first 2 shown]
	ds_load_b32 v20, v33 offset:12288
	v_add_co_u32 v15, vcc_lo, v18, v17
	v_add_co_ci_u32_e32 v17, vcc_lo, 0, v19, vcc_lo
	v_add_co_u32 v13, vcc_lo, v13, v16
	v_add_co_ci_u32_e32 v14, vcc_lo, 0, v14, vcc_lo
	v_cmp_ne_u32_e32 vcc_lo, 1, v34
	s_delay_alu instid0(VALU_DEP_3)
	v_add_co_u32 v18, s0, v13, v15
	v_or_b32_e32 v35, 0x100, v0
	v_or_b32_e32 v23, 0xa00, v0
	;; [unrolled: 1-line block ×4, first 2 shown]
	v_add_co_ci_u32_e64 v19, s0, v14, v17, s0
	s_mov_b32 s0, 0
	s_cbranch_vccnz .LBB479_136
; %bb.80:
	s_mov_b32 s0, exec_lo
                                        ; implicit-def: $vgpr13_vgpr14
	v_cmpx_ge_u32_e64 v0, v16
	s_xor_b32 s0, exec_lo, s0
; %bb.81:
	v_not_b32_e32 v13, v0
	s_delay_alu instid0(VALU_DEP_1) | instskip(SKIP_1) | instid1(VALU_DEP_2)
	v_ashrrev_i32_e32 v14, 31, v13
	v_add_co_u32 v13, vcc_lo, v18, v13
	v_add_co_ci_u32_e32 v14, vcc_lo, v19, v14, vcc_lo
; %bb.82:
	s_and_not1_saveexec_b32 s0, s0
; %bb.83:
	v_add_co_u32 v13, vcc_lo, v15, v0
	v_add_co_ci_u32_e32 v14, vcc_lo, 0, v17, vcc_lo
; %bb.84:
	s_or_b32 exec_lo, exec_lo, s0
	s_delay_alu instid0(VALU_DEP_1) | instskip(SKIP_1) | instid1(VALU_DEP_1)
	v_lshlrev_b64 v[13:14], 2, v[13:14]
	s_mov_b32 s0, exec_lo
	v_add_co_u32 v13, vcc_lo, s12, v13
	s_delay_alu instid0(VALU_DEP_2)
	v_add_co_ci_u32_e32 v14, vcc_lo, s13, v14, vcc_lo
	s_waitcnt lgkmcnt(6)
	global_store_b32 v[13:14], v11, off
                                        ; implicit-def: $vgpr13_vgpr14
	v_cmpx_ge_u32_e64 v35, v16
	s_xor_b32 s0, exec_lo, s0
; %bb.85:
	v_xor_b32_e32 v13, 0xfffffeff, v0
	s_delay_alu instid0(VALU_DEP_1) | instskip(SKIP_1) | instid1(VALU_DEP_2)
	v_ashrrev_i32_e32 v14, 31, v13
	v_add_co_u32 v13, vcc_lo, v18, v13
	v_add_co_ci_u32_e32 v14, vcc_lo, v19, v14, vcc_lo
; %bb.86:
	s_and_not1_saveexec_b32 s0, s0
; %bb.87:
	v_add_co_u32 v13, vcc_lo, v15, v35
	v_add_co_ci_u32_e32 v14, vcc_lo, 0, v17, vcc_lo
; %bb.88:
	s_or_b32 exec_lo, exec_lo, s0
	s_delay_alu instid0(VALU_DEP_1) | instskip(SKIP_1) | instid1(VALU_DEP_1)
	v_lshlrev_b64 v[13:14], 2, v[13:14]
	s_mov_b32 s0, exec_lo
	v_add_co_u32 v13, vcc_lo, s12, v13
	s_delay_alu instid0(VALU_DEP_2)
	v_add_co_ci_u32_e32 v14, vcc_lo, s13, v14, vcc_lo
	global_store_b32 v[13:14], v12, off
                                        ; implicit-def: $vgpr13_vgpr14
	v_cmpx_ge_u32_e64 v31, v16
	s_xor_b32 s0, exec_lo, s0
; %bb.89:
	v_xor_b32_e32 v13, 0xfffffdff, v0
	s_delay_alu instid0(VALU_DEP_1) | instskip(SKIP_1) | instid1(VALU_DEP_2)
	v_ashrrev_i32_e32 v14, 31, v13
	v_add_co_u32 v13, vcc_lo, v18, v13
	v_add_co_ci_u32_e32 v14, vcc_lo, v19, v14, vcc_lo
; %bb.90:
	s_and_not1_saveexec_b32 s0, s0
; %bb.91:
	v_add_co_u32 v13, vcc_lo, v15, v31
	v_add_co_ci_u32_e32 v14, vcc_lo, 0, v17, vcc_lo
; %bb.92:
	s_or_b32 exec_lo, exec_lo, s0
	s_delay_alu instid0(VALU_DEP_1) | instskip(SKIP_1) | instid1(VALU_DEP_1)
	v_lshlrev_b64 v[13:14], 2, v[13:14]
	s_mov_b32 s0, exec_lo
	v_add_co_u32 v13, vcc_lo, s12, v13
	s_delay_alu instid0(VALU_DEP_2)
	v_add_co_ci_u32_e32 v14, vcc_lo, s13, v14, vcc_lo
	s_waitcnt lgkmcnt(5)
	global_store_b32 v[13:14], v9, off
                                        ; implicit-def: $vgpr13_vgpr14
	v_cmpx_ge_u32_e64 v30, v16
	s_xor_b32 s0, exec_lo, s0
; %bb.93:
	v_xor_b32_e32 v13, 0xfffffcff, v0
	s_delay_alu instid0(VALU_DEP_1) | instskip(SKIP_1) | instid1(VALU_DEP_2)
	v_ashrrev_i32_e32 v14, 31, v13
	v_add_co_u32 v13, vcc_lo, v18, v13
	v_add_co_ci_u32_e32 v14, vcc_lo, v19, v14, vcc_lo
; %bb.94:
	s_and_not1_saveexec_b32 s0, s0
; %bb.95:
	v_add_co_u32 v13, vcc_lo, v15, v30
	v_add_co_ci_u32_e32 v14, vcc_lo, 0, v17, vcc_lo
; %bb.96:
	s_or_b32 exec_lo, exec_lo, s0
	s_delay_alu instid0(VALU_DEP_1) | instskip(SKIP_1) | instid1(VALU_DEP_1)
	v_lshlrev_b64 v[13:14], 2, v[13:14]
	s_mov_b32 s0, exec_lo
	v_add_co_u32 v13, vcc_lo, s12, v13
	s_delay_alu instid0(VALU_DEP_2)
	v_add_co_ci_u32_e32 v14, vcc_lo, s13, v14, vcc_lo
	global_store_b32 v[13:14], v10, off
                                        ; implicit-def: $vgpr13_vgpr14
	v_cmpx_ge_u32_e64 v29, v16
	s_xor_b32 s0, exec_lo, s0
; %bb.97:
	v_xor_b32_e32 v13, 0xfffffbff, v0
	;; [unrolled: 47-line block ×6, first 2 shown]
	s_delay_alu instid0(VALU_DEP_1) | instskip(SKIP_1) | instid1(VALU_DEP_2)
	v_ashrrev_i32_e32 v14, 31, v13
	v_add_co_u32 v13, vcc_lo, v18, v13
	v_add_co_ci_u32_e32 v14, vcc_lo, v19, v14, vcc_lo
; %bb.130:
	s_and_not1_saveexec_b32 s0, s0
; %bb.131:
	v_add_co_u32 v13, vcc_lo, v15, v21
	v_add_co_ci_u32_e32 v14, vcc_lo, 0, v17, vcc_lo
; %bb.132:
	s_or_b32 exec_lo, exec_lo, s0
	s_mov_b32 s0, -1
.LBB479_133:
	s_delay_alu instid0(SALU_CYCLE_1)
	s_and_saveexec_b32 s1, s0
	s_cbranch_execz .LBB479_216
.LBB479_134:
	s_waitcnt lgkmcnt(1)
	v_lshlrev_b64 v[0:1], 2, v[13:14]
	s_delay_alu instid0(VALU_DEP_1) | instskip(NEXT) | instid1(VALU_DEP_2)
	v_add_co_u32 v0, vcc_lo, s12, v0
	v_add_co_ci_u32_e32 v1, vcc_lo, s13, v1, vcc_lo
	s_waitcnt lgkmcnt(0)
	global_store_b32 v[0:1], v20, off
	s_or_b32 exec_lo, exec_lo, s1
	s_and_b32 s0, s2, s10
	s_delay_alu instid0(SALU_CYCLE_1)
	s_and_saveexec_b32 s1, s0
	s_cbranch_execnz .LBB479_217
.LBB479_135:
	s_nop 0
	s_sendmsg sendmsg(MSG_DEALLOC_VGPRS)
	s_endpgm
.LBB479_136:
                                        ; implicit-def: $vgpr13_vgpr14
	s_cbranch_execz .LBB479_133
; %bb.137:
	s_mov_b32 s1, exec_lo
	v_cmpx_gt_u32_e64 s11, v0
	s_cbranch_execz .LBB479_173
; %bb.138:
	s_mov_b32 s3, exec_lo
                                        ; implicit-def: $vgpr13_vgpr14
	v_cmpx_ge_u32_e64 v0, v16
	s_xor_b32 s3, exec_lo, s3
; %bb.139:
	v_not_b32_e32 v13, v0
	s_delay_alu instid0(VALU_DEP_1) | instskip(SKIP_1) | instid1(VALU_DEP_2)
	v_ashrrev_i32_e32 v14, 31, v13
	v_add_co_u32 v13, vcc_lo, v18, v13
	v_add_co_ci_u32_e32 v14, vcc_lo, v19, v14, vcc_lo
; %bb.140:
	s_and_not1_saveexec_b32 s3, s3
; %bb.141:
	v_add_co_u32 v13, vcc_lo, v15, v0
	v_add_co_ci_u32_e32 v14, vcc_lo, 0, v17, vcc_lo
; %bb.142:
	s_or_b32 exec_lo, exec_lo, s3
	s_delay_alu instid0(VALU_DEP_1) | instskip(NEXT) | instid1(VALU_DEP_1)
	v_lshlrev_b64 v[13:14], 2, v[13:14]
	v_add_co_u32 v13, vcc_lo, s12, v13
	s_delay_alu instid0(VALU_DEP_2) | instskip(SKIP_3) | instid1(SALU_CYCLE_1)
	v_add_co_ci_u32_e32 v14, vcc_lo, s13, v14, vcc_lo
	s_waitcnt lgkmcnt(6)
	global_store_b32 v[13:14], v11, off
	s_or_b32 exec_lo, exec_lo, s1
	s_mov_b32 s1, exec_lo
	v_cmpx_gt_u32_e64 s11, v35
	s_cbranch_execnz .LBB479_174
.LBB479_143:
	s_or_b32 exec_lo, exec_lo, s1
	s_delay_alu instid0(SALU_CYCLE_1)
	s_mov_b32 s1, exec_lo
	v_cmpx_gt_u32_e64 s11, v31
	s_cbranch_execz .LBB479_179
.LBB479_144:
	s_mov_b32 s3, exec_lo
                                        ; implicit-def: $vgpr11_vgpr12
	v_cmpx_ge_u32_e64 v31, v16
	s_xor_b32 s3, exec_lo, s3
	s_cbranch_execz .LBB479_146
; %bb.145:
	s_waitcnt lgkmcnt(6)
	v_xor_b32_e32 v11, 0xfffffdff, v0
                                        ; implicit-def: $vgpr31
	s_delay_alu instid0(VALU_DEP_1) | instskip(SKIP_1) | instid1(VALU_DEP_2)
	v_ashrrev_i32_e32 v12, 31, v11
	v_add_co_u32 v11, vcc_lo, v18, v11
	v_add_co_ci_u32_e32 v12, vcc_lo, v19, v12, vcc_lo
.LBB479_146:
	s_and_not1_saveexec_b32 s3, s3
	s_cbranch_execz .LBB479_148
; %bb.147:
	s_waitcnt lgkmcnt(6)
	v_add_co_u32 v11, vcc_lo, v15, v31
	v_add_co_ci_u32_e32 v12, vcc_lo, 0, v17, vcc_lo
.LBB479_148:
	s_or_b32 exec_lo, exec_lo, s3
	s_waitcnt lgkmcnt(6)
	s_delay_alu instid0(VALU_DEP_1) | instskip(NEXT) | instid1(VALU_DEP_1)
	v_lshlrev_b64 v[11:12], 2, v[11:12]
	v_add_co_u32 v11, vcc_lo, s12, v11
	s_delay_alu instid0(VALU_DEP_2) | instskip(SKIP_3) | instid1(SALU_CYCLE_1)
	v_add_co_ci_u32_e32 v12, vcc_lo, s13, v12, vcc_lo
	s_waitcnt lgkmcnt(5)
	global_store_b32 v[11:12], v9, off
	s_or_b32 exec_lo, exec_lo, s1
	s_mov_b32 s1, exec_lo
	v_cmpx_gt_u32_e64 s11, v30
	s_cbranch_execnz .LBB479_180
.LBB479_149:
	s_or_b32 exec_lo, exec_lo, s1
	s_delay_alu instid0(SALU_CYCLE_1)
	s_mov_b32 s1, exec_lo
	v_cmpx_gt_u32_e64 s11, v29
	s_cbranch_execz .LBB479_185
.LBB479_150:
	s_mov_b32 s3, exec_lo
                                        ; implicit-def: $vgpr9_vgpr10
	v_cmpx_ge_u32_e64 v29, v16
	s_xor_b32 s3, exec_lo, s3
	s_cbranch_execz .LBB479_152
; %bb.151:
	s_waitcnt lgkmcnt(5)
	v_xor_b32_e32 v9, 0xfffffbff, v0
                                        ; implicit-def: $vgpr29
	s_delay_alu instid0(VALU_DEP_1) | instskip(SKIP_1) | instid1(VALU_DEP_2)
	v_ashrrev_i32_e32 v10, 31, v9
	v_add_co_u32 v9, vcc_lo, v18, v9
	v_add_co_ci_u32_e32 v10, vcc_lo, v19, v10, vcc_lo
.LBB479_152:
	s_and_not1_saveexec_b32 s3, s3
	s_cbranch_execz .LBB479_154
; %bb.153:
	s_waitcnt lgkmcnt(5)
	v_add_co_u32 v9, vcc_lo, v15, v29
	v_add_co_ci_u32_e32 v10, vcc_lo, 0, v17, vcc_lo
.LBB479_154:
	s_or_b32 exec_lo, exec_lo, s3
	s_waitcnt lgkmcnt(5)
	s_delay_alu instid0(VALU_DEP_1) | instskip(NEXT) | instid1(VALU_DEP_1)
	v_lshlrev_b64 v[9:10], 2, v[9:10]
	v_add_co_u32 v9, vcc_lo, s12, v9
	s_delay_alu instid0(VALU_DEP_2) | instskip(SKIP_3) | instid1(SALU_CYCLE_1)
	v_add_co_ci_u32_e32 v10, vcc_lo, s13, v10, vcc_lo
	s_waitcnt lgkmcnt(4)
	global_store_b32 v[9:10], v7, off
	s_or_b32 exec_lo, exec_lo, s1
	s_mov_b32 s1, exec_lo
	v_cmpx_gt_u32_e64 s11, v28
	s_cbranch_execnz .LBB479_186
.LBB479_155:
	s_or_b32 exec_lo, exec_lo, s1
	s_delay_alu instid0(SALU_CYCLE_1)
	s_mov_b32 s1, exec_lo
	v_cmpx_gt_u32_e64 s11, v27
	s_cbranch_execz .LBB479_191
.LBB479_156:
	s_mov_b32 s3, exec_lo
                                        ; implicit-def: $vgpr7_vgpr8
	v_cmpx_ge_u32_e64 v27, v16
	s_xor_b32 s3, exec_lo, s3
	s_cbranch_execz .LBB479_158
; %bb.157:
	s_waitcnt lgkmcnt(4)
	v_xor_b32_e32 v7, 0xfffff9ff, v0
                                        ; implicit-def: $vgpr27
	s_delay_alu instid0(VALU_DEP_1) | instskip(SKIP_1) | instid1(VALU_DEP_2)
	v_ashrrev_i32_e32 v8, 31, v7
	v_add_co_u32 v7, vcc_lo, v18, v7
	v_add_co_ci_u32_e32 v8, vcc_lo, v19, v8, vcc_lo
.LBB479_158:
	s_and_not1_saveexec_b32 s3, s3
	s_cbranch_execz .LBB479_160
; %bb.159:
	s_waitcnt lgkmcnt(4)
	v_add_co_u32 v7, vcc_lo, v15, v27
	v_add_co_ci_u32_e32 v8, vcc_lo, 0, v17, vcc_lo
.LBB479_160:
	s_or_b32 exec_lo, exec_lo, s3
	s_waitcnt lgkmcnt(4)
	s_delay_alu instid0(VALU_DEP_1) | instskip(NEXT) | instid1(VALU_DEP_1)
	v_lshlrev_b64 v[7:8], 2, v[7:8]
	v_add_co_u32 v7, vcc_lo, s12, v7
	s_delay_alu instid0(VALU_DEP_2) | instskip(SKIP_3) | instid1(SALU_CYCLE_1)
	v_add_co_ci_u32_e32 v8, vcc_lo, s13, v8, vcc_lo
	s_waitcnt lgkmcnt(3)
	global_store_b32 v[7:8], v5, off
	s_or_b32 exec_lo, exec_lo, s1
	s_mov_b32 s1, exec_lo
	v_cmpx_gt_u32_e64 s11, v26
	s_cbranch_execnz .LBB479_192
.LBB479_161:
	s_or_b32 exec_lo, exec_lo, s1
	s_delay_alu instid0(SALU_CYCLE_1)
	s_mov_b32 s1, exec_lo
	v_cmpx_gt_u32_e64 s11, v25
	s_cbranch_execz .LBB479_197
.LBB479_162:
	s_mov_b32 s3, exec_lo
                                        ; implicit-def: $vgpr5_vgpr6
	v_cmpx_ge_u32_e64 v25, v16
	s_xor_b32 s3, exec_lo, s3
	s_cbranch_execz .LBB479_164
; %bb.163:
	s_waitcnt lgkmcnt(3)
	v_xor_b32_e32 v5, 0xfffff7ff, v0
                                        ; implicit-def: $vgpr25
	s_delay_alu instid0(VALU_DEP_1) | instskip(SKIP_1) | instid1(VALU_DEP_2)
	v_ashrrev_i32_e32 v6, 31, v5
	v_add_co_u32 v5, vcc_lo, v18, v5
	v_add_co_ci_u32_e32 v6, vcc_lo, v19, v6, vcc_lo
.LBB479_164:
	s_and_not1_saveexec_b32 s3, s3
	s_cbranch_execz .LBB479_166
; %bb.165:
	s_waitcnt lgkmcnt(3)
	v_add_co_u32 v5, vcc_lo, v15, v25
	v_add_co_ci_u32_e32 v6, vcc_lo, 0, v17, vcc_lo
.LBB479_166:
	s_or_b32 exec_lo, exec_lo, s3
	s_waitcnt lgkmcnt(3)
	s_delay_alu instid0(VALU_DEP_1) | instskip(NEXT) | instid1(VALU_DEP_1)
	v_lshlrev_b64 v[5:6], 2, v[5:6]
	v_add_co_u32 v5, vcc_lo, s12, v5
	s_delay_alu instid0(VALU_DEP_2) | instskip(SKIP_3) | instid1(SALU_CYCLE_1)
	v_add_co_ci_u32_e32 v6, vcc_lo, s13, v6, vcc_lo
	s_waitcnt lgkmcnt(2)
	global_store_b32 v[5:6], v3, off
	s_or_b32 exec_lo, exec_lo, s1
	s_mov_b32 s1, exec_lo
	v_cmpx_gt_u32_e64 s11, v24
	s_cbranch_execnz .LBB479_198
.LBB479_167:
	s_or_b32 exec_lo, exec_lo, s1
	s_delay_alu instid0(SALU_CYCLE_1)
	s_mov_b32 s1, exec_lo
	v_cmpx_gt_u32_e64 s11, v23
	s_cbranch_execz .LBB479_203
.LBB479_168:
	s_mov_b32 s3, exec_lo
                                        ; implicit-def: $vgpr3_vgpr4
	v_cmpx_ge_u32_e64 v23, v16
	s_xor_b32 s3, exec_lo, s3
	s_cbranch_execz .LBB479_170
; %bb.169:
	s_waitcnt lgkmcnt(2)
	v_xor_b32_e32 v3, 0xfffff5ff, v0
                                        ; implicit-def: $vgpr23
	s_delay_alu instid0(VALU_DEP_1) | instskip(SKIP_1) | instid1(VALU_DEP_2)
	v_ashrrev_i32_e32 v4, 31, v3
	v_add_co_u32 v3, vcc_lo, v18, v3
	v_add_co_ci_u32_e32 v4, vcc_lo, v19, v4, vcc_lo
.LBB479_170:
	s_and_not1_saveexec_b32 s3, s3
	s_cbranch_execz .LBB479_172
; %bb.171:
	s_waitcnt lgkmcnt(2)
	v_add_co_u32 v3, vcc_lo, v15, v23
	v_add_co_ci_u32_e32 v4, vcc_lo, 0, v17, vcc_lo
.LBB479_172:
	s_or_b32 exec_lo, exec_lo, s3
	s_waitcnt lgkmcnt(2)
	s_delay_alu instid0(VALU_DEP_1) | instskip(NEXT) | instid1(VALU_DEP_1)
	v_lshlrev_b64 v[3:4], 2, v[3:4]
	v_add_co_u32 v3, vcc_lo, s12, v3
	s_delay_alu instid0(VALU_DEP_2) | instskip(SKIP_3) | instid1(SALU_CYCLE_1)
	v_add_co_ci_u32_e32 v4, vcc_lo, s13, v4, vcc_lo
	s_waitcnt lgkmcnt(1)
	global_store_b32 v[3:4], v1, off
	s_or_b32 exec_lo, exec_lo, s1
	s_mov_b32 s1, exec_lo
	v_cmpx_gt_u32_e64 s11, v22
	s_cbranch_execz .LBB479_209
	s_branch .LBB479_204
.LBB479_173:
	s_or_b32 exec_lo, exec_lo, s1
	s_delay_alu instid0(SALU_CYCLE_1)
	s_mov_b32 s1, exec_lo
	v_cmpx_gt_u32_e64 s11, v35
	s_cbranch_execz .LBB479_143
.LBB479_174:
	s_mov_b32 s3, exec_lo
                                        ; implicit-def: $vgpr13_vgpr14
	v_cmpx_ge_u32_e64 v35, v16
	s_xor_b32 s3, exec_lo, s3
	s_cbranch_execz .LBB479_176
; %bb.175:
	s_waitcnt lgkmcnt(6)
	v_xor_b32_e32 v11, 0xfffffeff, v0
                                        ; implicit-def: $vgpr35
	s_delay_alu instid0(VALU_DEP_1) | instskip(SKIP_1) | instid1(VALU_DEP_2)
	v_ashrrev_i32_e32 v14, 31, v11
	v_add_co_u32 v13, vcc_lo, v18, v11
	v_add_co_ci_u32_e32 v14, vcc_lo, v19, v14, vcc_lo
.LBB479_176:
	s_and_not1_saveexec_b32 s3, s3
; %bb.177:
	v_add_co_u32 v13, vcc_lo, v15, v35
	v_add_co_ci_u32_e32 v14, vcc_lo, 0, v17, vcc_lo
; %bb.178:
	s_or_b32 exec_lo, exec_lo, s3
	s_delay_alu instid0(VALU_DEP_1) | instskip(NEXT) | instid1(VALU_DEP_1)
	v_lshlrev_b64 v[13:14], 2, v[13:14]
	v_add_co_u32 v13, vcc_lo, s12, v13
	s_delay_alu instid0(VALU_DEP_2) | instskip(SKIP_3) | instid1(SALU_CYCLE_1)
	v_add_co_ci_u32_e32 v14, vcc_lo, s13, v14, vcc_lo
	s_waitcnt lgkmcnt(6)
	global_store_b32 v[13:14], v12, off
	s_or_b32 exec_lo, exec_lo, s1
	s_mov_b32 s1, exec_lo
	v_cmpx_gt_u32_e64 s11, v31
	s_cbranch_execnz .LBB479_144
.LBB479_179:
	s_or_b32 exec_lo, exec_lo, s1
	s_delay_alu instid0(SALU_CYCLE_1)
	s_mov_b32 s1, exec_lo
	v_cmpx_gt_u32_e64 s11, v30
	s_cbranch_execz .LBB479_149
.LBB479_180:
	s_mov_b32 s3, exec_lo
                                        ; implicit-def: $vgpr11_vgpr12
	v_cmpx_ge_u32_e64 v30, v16
	s_xor_b32 s3, exec_lo, s3
	s_cbranch_execz .LBB479_182
; %bb.181:
	s_waitcnt lgkmcnt(5)
	v_xor_b32_e32 v9, 0xfffffcff, v0
                                        ; implicit-def: $vgpr30
	s_delay_alu instid0(VALU_DEP_1) | instskip(SKIP_1) | instid1(VALU_DEP_2)
	v_ashrrev_i32_e32 v12, 31, v9
	v_add_co_u32 v11, vcc_lo, v18, v9
	v_add_co_ci_u32_e32 v12, vcc_lo, v19, v12, vcc_lo
.LBB479_182:
	s_and_not1_saveexec_b32 s3, s3
	s_cbranch_execz .LBB479_184
; %bb.183:
	s_waitcnt lgkmcnt(6)
	v_add_co_u32 v11, vcc_lo, v15, v30
	v_add_co_ci_u32_e32 v12, vcc_lo, 0, v17, vcc_lo
.LBB479_184:
	s_or_b32 exec_lo, exec_lo, s3
	s_waitcnt lgkmcnt(6)
	s_delay_alu instid0(VALU_DEP_1) | instskip(NEXT) | instid1(VALU_DEP_1)
	v_lshlrev_b64 v[11:12], 2, v[11:12]
	v_add_co_u32 v11, vcc_lo, s12, v11
	s_delay_alu instid0(VALU_DEP_2) | instskip(SKIP_3) | instid1(SALU_CYCLE_1)
	v_add_co_ci_u32_e32 v12, vcc_lo, s13, v12, vcc_lo
	s_waitcnt lgkmcnt(5)
	global_store_b32 v[11:12], v10, off
	s_or_b32 exec_lo, exec_lo, s1
	s_mov_b32 s1, exec_lo
	v_cmpx_gt_u32_e64 s11, v29
	s_cbranch_execnz .LBB479_150
.LBB479_185:
	s_or_b32 exec_lo, exec_lo, s1
	s_delay_alu instid0(SALU_CYCLE_1)
	s_mov_b32 s1, exec_lo
	v_cmpx_gt_u32_e64 s11, v28
	s_cbranch_execz .LBB479_155
.LBB479_186:
	s_mov_b32 s3, exec_lo
                                        ; implicit-def: $vgpr9_vgpr10
	v_cmpx_ge_u32_e64 v28, v16
	s_xor_b32 s3, exec_lo, s3
	s_cbranch_execz .LBB479_188
; %bb.187:
	s_waitcnt lgkmcnt(4)
	v_xor_b32_e32 v7, 0xfffffaff, v0
                                        ; implicit-def: $vgpr28
	s_delay_alu instid0(VALU_DEP_1) | instskip(SKIP_1) | instid1(VALU_DEP_2)
	v_ashrrev_i32_e32 v10, 31, v7
	v_add_co_u32 v9, vcc_lo, v18, v7
	v_add_co_ci_u32_e32 v10, vcc_lo, v19, v10, vcc_lo
.LBB479_188:
	s_and_not1_saveexec_b32 s3, s3
	s_cbranch_execz .LBB479_190
; %bb.189:
	s_waitcnt lgkmcnt(5)
	v_add_co_u32 v9, vcc_lo, v15, v28
	v_add_co_ci_u32_e32 v10, vcc_lo, 0, v17, vcc_lo
.LBB479_190:
	s_or_b32 exec_lo, exec_lo, s3
	s_waitcnt lgkmcnt(5)
	s_delay_alu instid0(VALU_DEP_1) | instskip(NEXT) | instid1(VALU_DEP_1)
	v_lshlrev_b64 v[9:10], 2, v[9:10]
	v_add_co_u32 v9, vcc_lo, s12, v9
	s_delay_alu instid0(VALU_DEP_2) | instskip(SKIP_3) | instid1(SALU_CYCLE_1)
	v_add_co_ci_u32_e32 v10, vcc_lo, s13, v10, vcc_lo
	s_waitcnt lgkmcnt(4)
	global_store_b32 v[9:10], v8, off
	s_or_b32 exec_lo, exec_lo, s1
	s_mov_b32 s1, exec_lo
	v_cmpx_gt_u32_e64 s11, v27
	s_cbranch_execnz .LBB479_156
.LBB479_191:
	s_or_b32 exec_lo, exec_lo, s1
	s_delay_alu instid0(SALU_CYCLE_1)
	s_mov_b32 s1, exec_lo
	v_cmpx_gt_u32_e64 s11, v26
	s_cbranch_execz .LBB479_161
.LBB479_192:
	s_mov_b32 s3, exec_lo
                                        ; implicit-def: $vgpr7_vgpr8
	v_cmpx_ge_u32_e64 v26, v16
	s_xor_b32 s3, exec_lo, s3
	s_cbranch_execz .LBB479_194
; %bb.193:
	s_waitcnt lgkmcnt(3)
	v_xor_b32_e32 v5, 0xfffff8ff, v0
                                        ; implicit-def: $vgpr26
	s_delay_alu instid0(VALU_DEP_1) | instskip(SKIP_1) | instid1(VALU_DEP_2)
	v_ashrrev_i32_e32 v8, 31, v5
	v_add_co_u32 v7, vcc_lo, v18, v5
	v_add_co_ci_u32_e32 v8, vcc_lo, v19, v8, vcc_lo
.LBB479_194:
	s_and_not1_saveexec_b32 s3, s3
	s_cbranch_execz .LBB479_196
; %bb.195:
	s_waitcnt lgkmcnt(4)
	v_add_co_u32 v7, vcc_lo, v15, v26
	v_add_co_ci_u32_e32 v8, vcc_lo, 0, v17, vcc_lo
.LBB479_196:
	s_or_b32 exec_lo, exec_lo, s3
	s_waitcnt lgkmcnt(4)
	s_delay_alu instid0(VALU_DEP_1) | instskip(NEXT) | instid1(VALU_DEP_1)
	v_lshlrev_b64 v[7:8], 2, v[7:8]
	v_add_co_u32 v7, vcc_lo, s12, v7
	s_delay_alu instid0(VALU_DEP_2) | instskip(SKIP_3) | instid1(SALU_CYCLE_1)
	v_add_co_ci_u32_e32 v8, vcc_lo, s13, v8, vcc_lo
	s_waitcnt lgkmcnt(3)
	global_store_b32 v[7:8], v6, off
	s_or_b32 exec_lo, exec_lo, s1
	s_mov_b32 s1, exec_lo
	v_cmpx_gt_u32_e64 s11, v25
	s_cbranch_execnz .LBB479_162
.LBB479_197:
	s_or_b32 exec_lo, exec_lo, s1
	s_delay_alu instid0(SALU_CYCLE_1)
	s_mov_b32 s1, exec_lo
	v_cmpx_gt_u32_e64 s11, v24
	s_cbranch_execz .LBB479_167
.LBB479_198:
	s_mov_b32 s3, exec_lo
                                        ; implicit-def: $vgpr5_vgpr6
	v_cmpx_ge_u32_e64 v24, v16
	s_xor_b32 s3, exec_lo, s3
	s_cbranch_execz .LBB479_200
; %bb.199:
	s_waitcnt lgkmcnt(2)
	v_xor_b32_e32 v3, 0xfffff6ff, v0
                                        ; implicit-def: $vgpr24
	s_delay_alu instid0(VALU_DEP_1) | instskip(SKIP_1) | instid1(VALU_DEP_2)
	v_ashrrev_i32_e32 v6, 31, v3
	v_add_co_u32 v5, vcc_lo, v18, v3
	v_add_co_ci_u32_e32 v6, vcc_lo, v19, v6, vcc_lo
.LBB479_200:
	s_and_not1_saveexec_b32 s3, s3
	s_cbranch_execz .LBB479_202
; %bb.201:
	s_waitcnt lgkmcnt(3)
	v_add_co_u32 v5, vcc_lo, v15, v24
	v_add_co_ci_u32_e32 v6, vcc_lo, 0, v17, vcc_lo
.LBB479_202:
	s_or_b32 exec_lo, exec_lo, s3
	s_waitcnt lgkmcnt(3)
	s_delay_alu instid0(VALU_DEP_1) | instskip(NEXT) | instid1(VALU_DEP_1)
	v_lshlrev_b64 v[5:6], 2, v[5:6]
	v_add_co_u32 v5, vcc_lo, s12, v5
	s_delay_alu instid0(VALU_DEP_2) | instskip(SKIP_3) | instid1(SALU_CYCLE_1)
	v_add_co_ci_u32_e32 v6, vcc_lo, s13, v6, vcc_lo
	s_waitcnt lgkmcnt(2)
	global_store_b32 v[5:6], v4, off
	s_or_b32 exec_lo, exec_lo, s1
	s_mov_b32 s1, exec_lo
	v_cmpx_gt_u32_e64 s11, v23
	s_cbranch_execnz .LBB479_168
.LBB479_203:
	s_or_b32 exec_lo, exec_lo, s1
	s_delay_alu instid0(SALU_CYCLE_1)
	s_mov_b32 s1, exec_lo
	v_cmpx_gt_u32_e64 s11, v22
	s_cbranch_execz .LBB479_209
.LBB479_204:
	s_mov_b32 s3, exec_lo
                                        ; implicit-def: $vgpr3_vgpr4
	v_cmpx_ge_u32_e64 v22, v16
	s_xor_b32 s3, exec_lo, s3
	s_cbranch_execz .LBB479_206
; %bb.205:
	s_waitcnt lgkmcnt(1)
	v_xor_b32_e32 v1, 0xfffff4ff, v0
                                        ; implicit-def: $vgpr22
	s_delay_alu instid0(VALU_DEP_1) | instskip(SKIP_1) | instid1(VALU_DEP_2)
	v_ashrrev_i32_e32 v4, 31, v1
	v_add_co_u32 v3, vcc_lo, v18, v1
	v_add_co_ci_u32_e32 v4, vcc_lo, v19, v4, vcc_lo
.LBB479_206:
	s_and_not1_saveexec_b32 s3, s3
	s_cbranch_execz .LBB479_208
; %bb.207:
	s_waitcnt lgkmcnt(2)
	v_add_co_u32 v3, vcc_lo, v15, v22
	v_add_co_ci_u32_e32 v4, vcc_lo, 0, v17, vcc_lo
.LBB479_208:
	s_or_b32 exec_lo, exec_lo, s3
	s_waitcnt lgkmcnt(2)
	s_delay_alu instid0(VALU_DEP_1) | instskip(NEXT) | instid1(VALU_DEP_1)
	v_lshlrev_b64 v[3:4], 2, v[3:4]
	v_add_co_u32 v3, vcc_lo, s12, v3
	s_delay_alu instid0(VALU_DEP_2)
	v_add_co_ci_u32_e32 v4, vcc_lo, s13, v4, vcc_lo
	s_waitcnt lgkmcnt(1)
	global_store_b32 v[3:4], v2, off
.LBB479_209:
	s_or_b32 exec_lo, exec_lo, s1
	s_delay_alu instid0(SALU_CYCLE_1)
	s_mov_b32 s1, exec_lo
                                        ; implicit-def: $vgpr13_vgpr14
	v_cmpx_gt_u32_e64 s11, v21
	s_cbranch_execz .LBB479_215
; %bb.210:
	s_mov_b32 s3, exec_lo
                                        ; implicit-def: $vgpr13_vgpr14
	v_cmpx_ge_u32_e64 v21, v16
	s_xor_b32 s3, exec_lo, s3
	s_cbranch_execz .LBB479_212
; %bb.211:
	v_xor_b32_e32 v0, 0xfffff3ff, v0
                                        ; implicit-def: $vgpr21
	s_waitcnt lgkmcnt(1)
	s_delay_alu instid0(VALU_DEP_1) | instskip(SKIP_1) | instid1(VALU_DEP_2)
	v_ashrrev_i32_e32 v1, 31, v0
	v_add_co_u32 v13, vcc_lo, v18, v0
	v_add_co_ci_u32_e32 v14, vcc_lo, v19, v1, vcc_lo
.LBB479_212:
	s_and_not1_saveexec_b32 s3, s3
; %bb.213:
	v_add_co_u32 v13, vcc_lo, v15, v21
	v_add_co_ci_u32_e32 v14, vcc_lo, 0, v17, vcc_lo
; %bb.214:
	s_or_b32 exec_lo, exec_lo, s3
	s_delay_alu instid0(SALU_CYCLE_1)
	s_or_b32 s0, s0, exec_lo
.LBB479_215:
	s_or_b32 exec_lo, exec_lo, s1
	s_and_saveexec_b32 s1, s0
	s_cbranch_execnz .LBB479_134
.LBB479_216:
	s_or_b32 exec_lo, exec_lo, s1
	s_and_b32 s0, s2, s10
	s_delay_alu instid0(SALU_CYCLE_1)
	s_and_saveexec_b32 s1, s0
	s_cbranch_execz .LBB479_135
.LBB479_217:
	v_add_co_u32 v0, vcc_lo, v15, v16
	s_waitcnt lgkmcnt(1)
	v_mov_b32_e32 v2, 0
	v_add_co_ci_u32_e32 v1, vcc_lo, 0, v17, vcc_lo
	global_store_b64 v2, v[0:1], s[8:9]
	s_nop 0
	s_sendmsg sendmsg(MSG_DEALLOC_VGPRS)
	s_endpgm
	.section	.rodata,"a",@progbits
	.p2align	6, 0x0
	.amdhsa_kernel _ZN7rocprim17ROCPRIM_400000_NS6detail17trampoline_kernelINS0_13select_configILj256ELj13ELNS0_17block_load_methodE3ELS4_3ELS4_3ELNS0_20block_scan_algorithmE0ELj4294967295EEENS1_25partition_config_selectorILNS1_17partition_subalgoE3EjNS0_10empty_typeEbEEZZNS1_14partition_implILS8_3ELb0ES6_jNS0_17counting_iteratorIjlEEPS9_SE_NS0_5tupleIJPjSE_EEENSF_IJSE_SE_EEES9_SG_JZNS1_25segmented_radix_sort_implINS0_14default_configELb1EPKiPiPKlPlN2at6native12_GLOBAL__N_18offset_tEEE10hipError_tPvRmT1_PNSt15iterator_traitsISY_E10value_typeET2_T3_PNSZ_IS14_E10value_typeET4_jRbjT5_S1A_jjP12ihipStream_tbEUljE_EEESV_SW_SX_S14_S18_S1A_T6_T7_T9_mT8_S1C_bDpT10_ENKUlT_T0_E_clISt17integral_constantIbLb1EES1P_EEDaS1K_S1L_EUlS1K_E_NS1_11comp_targetILNS1_3genE9ELNS1_11target_archE1100ELNS1_3gpuE3ELNS1_3repE0EEENS1_30default_config_static_selectorELNS0_4arch9wavefront6targetE0EEEvSY_
		.amdhsa_group_segment_fixed_size 13324
		.amdhsa_private_segment_fixed_size 0
		.amdhsa_kernarg_size 152
		.amdhsa_user_sgpr_count 15
		.amdhsa_user_sgpr_dispatch_ptr 0
		.amdhsa_user_sgpr_queue_ptr 0
		.amdhsa_user_sgpr_kernarg_segment_ptr 1
		.amdhsa_user_sgpr_dispatch_id 0
		.amdhsa_user_sgpr_private_segment_size 0
		.amdhsa_wavefront_size32 1
		.amdhsa_uses_dynamic_stack 0
		.amdhsa_enable_private_segment 0
		.amdhsa_system_sgpr_workgroup_id_x 1
		.amdhsa_system_sgpr_workgroup_id_y 0
		.amdhsa_system_sgpr_workgroup_id_z 0
		.amdhsa_system_sgpr_workgroup_info 0
		.amdhsa_system_vgpr_workitem_id 0
		.amdhsa_next_free_vgpr 60
		.amdhsa_next_free_sgpr 26
		.amdhsa_reserve_vcc 1
		.amdhsa_float_round_mode_32 0
		.amdhsa_float_round_mode_16_64 0
		.amdhsa_float_denorm_mode_32 3
		.amdhsa_float_denorm_mode_16_64 3
		.amdhsa_dx10_clamp 1
		.amdhsa_ieee_mode 1
		.amdhsa_fp16_overflow 0
		.amdhsa_workgroup_processor_mode 1
		.amdhsa_memory_ordered 1
		.amdhsa_forward_progress 0
		.amdhsa_shared_vgpr_count 0
		.amdhsa_exception_fp_ieee_invalid_op 0
		.amdhsa_exception_fp_denorm_src 0
		.amdhsa_exception_fp_ieee_div_zero 0
		.amdhsa_exception_fp_ieee_overflow 0
		.amdhsa_exception_fp_ieee_underflow 0
		.amdhsa_exception_fp_ieee_inexact 0
		.amdhsa_exception_int_div_zero 0
	.end_amdhsa_kernel
	.section	.text._ZN7rocprim17ROCPRIM_400000_NS6detail17trampoline_kernelINS0_13select_configILj256ELj13ELNS0_17block_load_methodE3ELS4_3ELS4_3ELNS0_20block_scan_algorithmE0ELj4294967295EEENS1_25partition_config_selectorILNS1_17partition_subalgoE3EjNS0_10empty_typeEbEEZZNS1_14partition_implILS8_3ELb0ES6_jNS0_17counting_iteratorIjlEEPS9_SE_NS0_5tupleIJPjSE_EEENSF_IJSE_SE_EEES9_SG_JZNS1_25segmented_radix_sort_implINS0_14default_configELb1EPKiPiPKlPlN2at6native12_GLOBAL__N_18offset_tEEE10hipError_tPvRmT1_PNSt15iterator_traitsISY_E10value_typeET2_T3_PNSZ_IS14_E10value_typeET4_jRbjT5_S1A_jjP12ihipStream_tbEUljE_EEESV_SW_SX_S14_S18_S1A_T6_T7_T9_mT8_S1C_bDpT10_ENKUlT_T0_E_clISt17integral_constantIbLb1EES1P_EEDaS1K_S1L_EUlS1K_E_NS1_11comp_targetILNS1_3genE9ELNS1_11target_archE1100ELNS1_3gpuE3ELNS1_3repE0EEENS1_30default_config_static_selectorELNS0_4arch9wavefront6targetE0EEEvSY_,"axG",@progbits,_ZN7rocprim17ROCPRIM_400000_NS6detail17trampoline_kernelINS0_13select_configILj256ELj13ELNS0_17block_load_methodE3ELS4_3ELS4_3ELNS0_20block_scan_algorithmE0ELj4294967295EEENS1_25partition_config_selectorILNS1_17partition_subalgoE3EjNS0_10empty_typeEbEEZZNS1_14partition_implILS8_3ELb0ES6_jNS0_17counting_iteratorIjlEEPS9_SE_NS0_5tupleIJPjSE_EEENSF_IJSE_SE_EEES9_SG_JZNS1_25segmented_radix_sort_implINS0_14default_configELb1EPKiPiPKlPlN2at6native12_GLOBAL__N_18offset_tEEE10hipError_tPvRmT1_PNSt15iterator_traitsISY_E10value_typeET2_T3_PNSZ_IS14_E10value_typeET4_jRbjT5_S1A_jjP12ihipStream_tbEUljE_EEESV_SW_SX_S14_S18_S1A_T6_T7_T9_mT8_S1C_bDpT10_ENKUlT_T0_E_clISt17integral_constantIbLb1EES1P_EEDaS1K_S1L_EUlS1K_E_NS1_11comp_targetILNS1_3genE9ELNS1_11target_archE1100ELNS1_3gpuE3ELNS1_3repE0EEENS1_30default_config_static_selectorELNS0_4arch9wavefront6targetE0EEEvSY_,comdat
.Lfunc_end479:
	.size	_ZN7rocprim17ROCPRIM_400000_NS6detail17trampoline_kernelINS0_13select_configILj256ELj13ELNS0_17block_load_methodE3ELS4_3ELS4_3ELNS0_20block_scan_algorithmE0ELj4294967295EEENS1_25partition_config_selectorILNS1_17partition_subalgoE3EjNS0_10empty_typeEbEEZZNS1_14partition_implILS8_3ELb0ES6_jNS0_17counting_iteratorIjlEEPS9_SE_NS0_5tupleIJPjSE_EEENSF_IJSE_SE_EEES9_SG_JZNS1_25segmented_radix_sort_implINS0_14default_configELb1EPKiPiPKlPlN2at6native12_GLOBAL__N_18offset_tEEE10hipError_tPvRmT1_PNSt15iterator_traitsISY_E10value_typeET2_T3_PNSZ_IS14_E10value_typeET4_jRbjT5_S1A_jjP12ihipStream_tbEUljE_EEESV_SW_SX_S14_S18_S1A_T6_T7_T9_mT8_S1C_bDpT10_ENKUlT_T0_E_clISt17integral_constantIbLb1EES1P_EEDaS1K_S1L_EUlS1K_E_NS1_11comp_targetILNS1_3genE9ELNS1_11target_archE1100ELNS1_3gpuE3ELNS1_3repE0EEENS1_30default_config_static_selectorELNS0_4arch9wavefront6targetE0EEEvSY_, .Lfunc_end479-_ZN7rocprim17ROCPRIM_400000_NS6detail17trampoline_kernelINS0_13select_configILj256ELj13ELNS0_17block_load_methodE3ELS4_3ELS4_3ELNS0_20block_scan_algorithmE0ELj4294967295EEENS1_25partition_config_selectorILNS1_17partition_subalgoE3EjNS0_10empty_typeEbEEZZNS1_14partition_implILS8_3ELb0ES6_jNS0_17counting_iteratorIjlEEPS9_SE_NS0_5tupleIJPjSE_EEENSF_IJSE_SE_EEES9_SG_JZNS1_25segmented_radix_sort_implINS0_14default_configELb1EPKiPiPKlPlN2at6native12_GLOBAL__N_18offset_tEEE10hipError_tPvRmT1_PNSt15iterator_traitsISY_E10value_typeET2_T3_PNSZ_IS14_E10value_typeET4_jRbjT5_S1A_jjP12ihipStream_tbEUljE_EEESV_SW_SX_S14_S18_S1A_T6_T7_T9_mT8_S1C_bDpT10_ENKUlT_T0_E_clISt17integral_constantIbLb1EES1P_EEDaS1K_S1L_EUlS1K_E_NS1_11comp_targetILNS1_3genE9ELNS1_11target_archE1100ELNS1_3gpuE3ELNS1_3repE0EEENS1_30default_config_static_selectorELNS0_4arch9wavefront6targetE0EEEvSY_
                                        ; -- End function
	.section	.AMDGPU.csdata,"",@progbits
; Kernel info:
; codeLenInByte = 9140
; NumSgprs: 28
; NumVgprs: 60
; ScratchSize: 0
; MemoryBound: 0
; FloatMode: 240
; IeeeMode: 1
; LDSByteSize: 13324 bytes/workgroup (compile time only)
; SGPRBlocks: 3
; VGPRBlocks: 7
; NumSGPRsForWavesPerEU: 28
; NumVGPRsForWavesPerEU: 60
; Occupancy: 16
; WaveLimiterHint : 0
; COMPUTE_PGM_RSRC2:SCRATCH_EN: 0
; COMPUTE_PGM_RSRC2:USER_SGPR: 15
; COMPUTE_PGM_RSRC2:TRAP_HANDLER: 0
; COMPUTE_PGM_RSRC2:TGID_X_EN: 1
; COMPUTE_PGM_RSRC2:TGID_Y_EN: 0
; COMPUTE_PGM_RSRC2:TGID_Z_EN: 0
; COMPUTE_PGM_RSRC2:TIDIG_COMP_CNT: 0
	.section	.text._ZN7rocprim17ROCPRIM_400000_NS6detail17trampoline_kernelINS0_13select_configILj256ELj13ELNS0_17block_load_methodE3ELS4_3ELS4_3ELNS0_20block_scan_algorithmE0ELj4294967295EEENS1_25partition_config_selectorILNS1_17partition_subalgoE3EjNS0_10empty_typeEbEEZZNS1_14partition_implILS8_3ELb0ES6_jNS0_17counting_iteratorIjlEEPS9_SE_NS0_5tupleIJPjSE_EEENSF_IJSE_SE_EEES9_SG_JZNS1_25segmented_radix_sort_implINS0_14default_configELb1EPKiPiPKlPlN2at6native12_GLOBAL__N_18offset_tEEE10hipError_tPvRmT1_PNSt15iterator_traitsISY_E10value_typeET2_T3_PNSZ_IS14_E10value_typeET4_jRbjT5_S1A_jjP12ihipStream_tbEUljE_EEESV_SW_SX_S14_S18_S1A_T6_T7_T9_mT8_S1C_bDpT10_ENKUlT_T0_E_clISt17integral_constantIbLb1EES1P_EEDaS1K_S1L_EUlS1K_E_NS1_11comp_targetILNS1_3genE8ELNS1_11target_archE1030ELNS1_3gpuE2ELNS1_3repE0EEENS1_30default_config_static_selectorELNS0_4arch9wavefront6targetE0EEEvSY_,"axG",@progbits,_ZN7rocprim17ROCPRIM_400000_NS6detail17trampoline_kernelINS0_13select_configILj256ELj13ELNS0_17block_load_methodE3ELS4_3ELS4_3ELNS0_20block_scan_algorithmE0ELj4294967295EEENS1_25partition_config_selectorILNS1_17partition_subalgoE3EjNS0_10empty_typeEbEEZZNS1_14partition_implILS8_3ELb0ES6_jNS0_17counting_iteratorIjlEEPS9_SE_NS0_5tupleIJPjSE_EEENSF_IJSE_SE_EEES9_SG_JZNS1_25segmented_radix_sort_implINS0_14default_configELb1EPKiPiPKlPlN2at6native12_GLOBAL__N_18offset_tEEE10hipError_tPvRmT1_PNSt15iterator_traitsISY_E10value_typeET2_T3_PNSZ_IS14_E10value_typeET4_jRbjT5_S1A_jjP12ihipStream_tbEUljE_EEESV_SW_SX_S14_S18_S1A_T6_T7_T9_mT8_S1C_bDpT10_ENKUlT_T0_E_clISt17integral_constantIbLb1EES1P_EEDaS1K_S1L_EUlS1K_E_NS1_11comp_targetILNS1_3genE8ELNS1_11target_archE1030ELNS1_3gpuE2ELNS1_3repE0EEENS1_30default_config_static_selectorELNS0_4arch9wavefront6targetE0EEEvSY_,comdat
	.globl	_ZN7rocprim17ROCPRIM_400000_NS6detail17trampoline_kernelINS0_13select_configILj256ELj13ELNS0_17block_load_methodE3ELS4_3ELS4_3ELNS0_20block_scan_algorithmE0ELj4294967295EEENS1_25partition_config_selectorILNS1_17partition_subalgoE3EjNS0_10empty_typeEbEEZZNS1_14partition_implILS8_3ELb0ES6_jNS0_17counting_iteratorIjlEEPS9_SE_NS0_5tupleIJPjSE_EEENSF_IJSE_SE_EEES9_SG_JZNS1_25segmented_radix_sort_implINS0_14default_configELb1EPKiPiPKlPlN2at6native12_GLOBAL__N_18offset_tEEE10hipError_tPvRmT1_PNSt15iterator_traitsISY_E10value_typeET2_T3_PNSZ_IS14_E10value_typeET4_jRbjT5_S1A_jjP12ihipStream_tbEUljE_EEESV_SW_SX_S14_S18_S1A_T6_T7_T9_mT8_S1C_bDpT10_ENKUlT_T0_E_clISt17integral_constantIbLb1EES1P_EEDaS1K_S1L_EUlS1K_E_NS1_11comp_targetILNS1_3genE8ELNS1_11target_archE1030ELNS1_3gpuE2ELNS1_3repE0EEENS1_30default_config_static_selectorELNS0_4arch9wavefront6targetE0EEEvSY_ ; -- Begin function _ZN7rocprim17ROCPRIM_400000_NS6detail17trampoline_kernelINS0_13select_configILj256ELj13ELNS0_17block_load_methodE3ELS4_3ELS4_3ELNS0_20block_scan_algorithmE0ELj4294967295EEENS1_25partition_config_selectorILNS1_17partition_subalgoE3EjNS0_10empty_typeEbEEZZNS1_14partition_implILS8_3ELb0ES6_jNS0_17counting_iteratorIjlEEPS9_SE_NS0_5tupleIJPjSE_EEENSF_IJSE_SE_EEES9_SG_JZNS1_25segmented_radix_sort_implINS0_14default_configELb1EPKiPiPKlPlN2at6native12_GLOBAL__N_18offset_tEEE10hipError_tPvRmT1_PNSt15iterator_traitsISY_E10value_typeET2_T3_PNSZ_IS14_E10value_typeET4_jRbjT5_S1A_jjP12ihipStream_tbEUljE_EEESV_SW_SX_S14_S18_S1A_T6_T7_T9_mT8_S1C_bDpT10_ENKUlT_T0_E_clISt17integral_constantIbLb1EES1P_EEDaS1K_S1L_EUlS1K_E_NS1_11comp_targetILNS1_3genE8ELNS1_11target_archE1030ELNS1_3gpuE2ELNS1_3repE0EEENS1_30default_config_static_selectorELNS0_4arch9wavefront6targetE0EEEvSY_
	.p2align	8
	.type	_ZN7rocprim17ROCPRIM_400000_NS6detail17trampoline_kernelINS0_13select_configILj256ELj13ELNS0_17block_load_methodE3ELS4_3ELS4_3ELNS0_20block_scan_algorithmE0ELj4294967295EEENS1_25partition_config_selectorILNS1_17partition_subalgoE3EjNS0_10empty_typeEbEEZZNS1_14partition_implILS8_3ELb0ES6_jNS0_17counting_iteratorIjlEEPS9_SE_NS0_5tupleIJPjSE_EEENSF_IJSE_SE_EEES9_SG_JZNS1_25segmented_radix_sort_implINS0_14default_configELb1EPKiPiPKlPlN2at6native12_GLOBAL__N_18offset_tEEE10hipError_tPvRmT1_PNSt15iterator_traitsISY_E10value_typeET2_T3_PNSZ_IS14_E10value_typeET4_jRbjT5_S1A_jjP12ihipStream_tbEUljE_EEESV_SW_SX_S14_S18_S1A_T6_T7_T9_mT8_S1C_bDpT10_ENKUlT_T0_E_clISt17integral_constantIbLb1EES1P_EEDaS1K_S1L_EUlS1K_E_NS1_11comp_targetILNS1_3genE8ELNS1_11target_archE1030ELNS1_3gpuE2ELNS1_3repE0EEENS1_30default_config_static_selectorELNS0_4arch9wavefront6targetE0EEEvSY_,@function
_ZN7rocprim17ROCPRIM_400000_NS6detail17trampoline_kernelINS0_13select_configILj256ELj13ELNS0_17block_load_methodE3ELS4_3ELS4_3ELNS0_20block_scan_algorithmE0ELj4294967295EEENS1_25partition_config_selectorILNS1_17partition_subalgoE3EjNS0_10empty_typeEbEEZZNS1_14partition_implILS8_3ELb0ES6_jNS0_17counting_iteratorIjlEEPS9_SE_NS0_5tupleIJPjSE_EEENSF_IJSE_SE_EEES9_SG_JZNS1_25segmented_radix_sort_implINS0_14default_configELb1EPKiPiPKlPlN2at6native12_GLOBAL__N_18offset_tEEE10hipError_tPvRmT1_PNSt15iterator_traitsISY_E10value_typeET2_T3_PNSZ_IS14_E10value_typeET4_jRbjT5_S1A_jjP12ihipStream_tbEUljE_EEESV_SW_SX_S14_S18_S1A_T6_T7_T9_mT8_S1C_bDpT10_ENKUlT_T0_E_clISt17integral_constantIbLb1EES1P_EEDaS1K_S1L_EUlS1K_E_NS1_11comp_targetILNS1_3genE8ELNS1_11target_archE1030ELNS1_3gpuE2ELNS1_3repE0EEENS1_30default_config_static_selectorELNS0_4arch9wavefront6targetE0EEEvSY_: ; @_ZN7rocprim17ROCPRIM_400000_NS6detail17trampoline_kernelINS0_13select_configILj256ELj13ELNS0_17block_load_methodE3ELS4_3ELS4_3ELNS0_20block_scan_algorithmE0ELj4294967295EEENS1_25partition_config_selectorILNS1_17partition_subalgoE3EjNS0_10empty_typeEbEEZZNS1_14partition_implILS8_3ELb0ES6_jNS0_17counting_iteratorIjlEEPS9_SE_NS0_5tupleIJPjSE_EEENSF_IJSE_SE_EEES9_SG_JZNS1_25segmented_radix_sort_implINS0_14default_configELb1EPKiPiPKlPlN2at6native12_GLOBAL__N_18offset_tEEE10hipError_tPvRmT1_PNSt15iterator_traitsISY_E10value_typeET2_T3_PNSZ_IS14_E10value_typeET4_jRbjT5_S1A_jjP12ihipStream_tbEUljE_EEESV_SW_SX_S14_S18_S1A_T6_T7_T9_mT8_S1C_bDpT10_ENKUlT_T0_E_clISt17integral_constantIbLb1EES1P_EEDaS1K_S1L_EUlS1K_E_NS1_11comp_targetILNS1_3genE8ELNS1_11target_archE1030ELNS1_3gpuE2ELNS1_3repE0EEENS1_30default_config_static_selectorELNS0_4arch9wavefront6targetE0EEEvSY_
; %bb.0:
	.section	.rodata,"a",@progbits
	.p2align	6, 0x0
	.amdhsa_kernel _ZN7rocprim17ROCPRIM_400000_NS6detail17trampoline_kernelINS0_13select_configILj256ELj13ELNS0_17block_load_methodE3ELS4_3ELS4_3ELNS0_20block_scan_algorithmE0ELj4294967295EEENS1_25partition_config_selectorILNS1_17partition_subalgoE3EjNS0_10empty_typeEbEEZZNS1_14partition_implILS8_3ELb0ES6_jNS0_17counting_iteratorIjlEEPS9_SE_NS0_5tupleIJPjSE_EEENSF_IJSE_SE_EEES9_SG_JZNS1_25segmented_radix_sort_implINS0_14default_configELb1EPKiPiPKlPlN2at6native12_GLOBAL__N_18offset_tEEE10hipError_tPvRmT1_PNSt15iterator_traitsISY_E10value_typeET2_T3_PNSZ_IS14_E10value_typeET4_jRbjT5_S1A_jjP12ihipStream_tbEUljE_EEESV_SW_SX_S14_S18_S1A_T6_T7_T9_mT8_S1C_bDpT10_ENKUlT_T0_E_clISt17integral_constantIbLb1EES1P_EEDaS1K_S1L_EUlS1K_E_NS1_11comp_targetILNS1_3genE8ELNS1_11target_archE1030ELNS1_3gpuE2ELNS1_3repE0EEENS1_30default_config_static_selectorELNS0_4arch9wavefront6targetE0EEEvSY_
		.amdhsa_group_segment_fixed_size 0
		.amdhsa_private_segment_fixed_size 0
		.amdhsa_kernarg_size 152
		.amdhsa_user_sgpr_count 15
		.amdhsa_user_sgpr_dispatch_ptr 0
		.amdhsa_user_sgpr_queue_ptr 0
		.amdhsa_user_sgpr_kernarg_segment_ptr 1
		.amdhsa_user_sgpr_dispatch_id 0
		.amdhsa_user_sgpr_private_segment_size 0
		.amdhsa_wavefront_size32 1
		.amdhsa_uses_dynamic_stack 0
		.amdhsa_enable_private_segment 0
		.amdhsa_system_sgpr_workgroup_id_x 1
		.amdhsa_system_sgpr_workgroup_id_y 0
		.amdhsa_system_sgpr_workgroup_id_z 0
		.amdhsa_system_sgpr_workgroup_info 0
		.amdhsa_system_vgpr_workitem_id 0
		.amdhsa_next_free_vgpr 1
		.amdhsa_next_free_sgpr 1
		.amdhsa_reserve_vcc 0
		.amdhsa_float_round_mode_32 0
		.amdhsa_float_round_mode_16_64 0
		.amdhsa_float_denorm_mode_32 3
		.amdhsa_float_denorm_mode_16_64 3
		.amdhsa_dx10_clamp 1
		.amdhsa_ieee_mode 1
		.amdhsa_fp16_overflow 0
		.amdhsa_workgroup_processor_mode 1
		.amdhsa_memory_ordered 1
		.amdhsa_forward_progress 0
		.amdhsa_shared_vgpr_count 0
		.amdhsa_exception_fp_ieee_invalid_op 0
		.amdhsa_exception_fp_denorm_src 0
		.amdhsa_exception_fp_ieee_div_zero 0
		.amdhsa_exception_fp_ieee_overflow 0
		.amdhsa_exception_fp_ieee_underflow 0
		.amdhsa_exception_fp_ieee_inexact 0
		.amdhsa_exception_int_div_zero 0
	.end_amdhsa_kernel
	.section	.text._ZN7rocprim17ROCPRIM_400000_NS6detail17trampoline_kernelINS0_13select_configILj256ELj13ELNS0_17block_load_methodE3ELS4_3ELS4_3ELNS0_20block_scan_algorithmE0ELj4294967295EEENS1_25partition_config_selectorILNS1_17partition_subalgoE3EjNS0_10empty_typeEbEEZZNS1_14partition_implILS8_3ELb0ES6_jNS0_17counting_iteratorIjlEEPS9_SE_NS0_5tupleIJPjSE_EEENSF_IJSE_SE_EEES9_SG_JZNS1_25segmented_radix_sort_implINS0_14default_configELb1EPKiPiPKlPlN2at6native12_GLOBAL__N_18offset_tEEE10hipError_tPvRmT1_PNSt15iterator_traitsISY_E10value_typeET2_T3_PNSZ_IS14_E10value_typeET4_jRbjT5_S1A_jjP12ihipStream_tbEUljE_EEESV_SW_SX_S14_S18_S1A_T6_T7_T9_mT8_S1C_bDpT10_ENKUlT_T0_E_clISt17integral_constantIbLb1EES1P_EEDaS1K_S1L_EUlS1K_E_NS1_11comp_targetILNS1_3genE8ELNS1_11target_archE1030ELNS1_3gpuE2ELNS1_3repE0EEENS1_30default_config_static_selectorELNS0_4arch9wavefront6targetE0EEEvSY_,"axG",@progbits,_ZN7rocprim17ROCPRIM_400000_NS6detail17trampoline_kernelINS0_13select_configILj256ELj13ELNS0_17block_load_methodE3ELS4_3ELS4_3ELNS0_20block_scan_algorithmE0ELj4294967295EEENS1_25partition_config_selectorILNS1_17partition_subalgoE3EjNS0_10empty_typeEbEEZZNS1_14partition_implILS8_3ELb0ES6_jNS0_17counting_iteratorIjlEEPS9_SE_NS0_5tupleIJPjSE_EEENSF_IJSE_SE_EEES9_SG_JZNS1_25segmented_radix_sort_implINS0_14default_configELb1EPKiPiPKlPlN2at6native12_GLOBAL__N_18offset_tEEE10hipError_tPvRmT1_PNSt15iterator_traitsISY_E10value_typeET2_T3_PNSZ_IS14_E10value_typeET4_jRbjT5_S1A_jjP12ihipStream_tbEUljE_EEESV_SW_SX_S14_S18_S1A_T6_T7_T9_mT8_S1C_bDpT10_ENKUlT_T0_E_clISt17integral_constantIbLb1EES1P_EEDaS1K_S1L_EUlS1K_E_NS1_11comp_targetILNS1_3genE8ELNS1_11target_archE1030ELNS1_3gpuE2ELNS1_3repE0EEENS1_30default_config_static_selectorELNS0_4arch9wavefront6targetE0EEEvSY_,comdat
.Lfunc_end480:
	.size	_ZN7rocprim17ROCPRIM_400000_NS6detail17trampoline_kernelINS0_13select_configILj256ELj13ELNS0_17block_load_methodE3ELS4_3ELS4_3ELNS0_20block_scan_algorithmE0ELj4294967295EEENS1_25partition_config_selectorILNS1_17partition_subalgoE3EjNS0_10empty_typeEbEEZZNS1_14partition_implILS8_3ELb0ES6_jNS0_17counting_iteratorIjlEEPS9_SE_NS0_5tupleIJPjSE_EEENSF_IJSE_SE_EEES9_SG_JZNS1_25segmented_radix_sort_implINS0_14default_configELb1EPKiPiPKlPlN2at6native12_GLOBAL__N_18offset_tEEE10hipError_tPvRmT1_PNSt15iterator_traitsISY_E10value_typeET2_T3_PNSZ_IS14_E10value_typeET4_jRbjT5_S1A_jjP12ihipStream_tbEUljE_EEESV_SW_SX_S14_S18_S1A_T6_T7_T9_mT8_S1C_bDpT10_ENKUlT_T0_E_clISt17integral_constantIbLb1EES1P_EEDaS1K_S1L_EUlS1K_E_NS1_11comp_targetILNS1_3genE8ELNS1_11target_archE1030ELNS1_3gpuE2ELNS1_3repE0EEENS1_30default_config_static_selectorELNS0_4arch9wavefront6targetE0EEEvSY_, .Lfunc_end480-_ZN7rocprim17ROCPRIM_400000_NS6detail17trampoline_kernelINS0_13select_configILj256ELj13ELNS0_17block_load_methodE3ELS4_3ELS4_3ELNS0_20block_scan_algorithmE0ELj4294967295EEENS1_25partition_config_selectorILNS1_17partition_subalgoE3EjNS0_10empty_typeEbEEZZNS1_14partition_implILS8_3ELb0ES6_jNS0_17counting_iteratorIjlEEPS9_SE_NS0_5tupleIJPjSE_EEENSF_IJSE_SE_EEES9_SG_JZNS1_25segmented_radix_sort_implINS0_14default_configELb1EPKiPiPKlPlN2at6native12_GLOBAL__N_18offset_tEEE10hipError_tPvRmT1_PNSt15iterator_traitsISY_E10value_typeET2_T3_PNSZ_IS14_E10value_typeET4_jRbjT5_S1A_jjP12ihipStream_tbEUljE_EEESV_SW_SX_S14_S18_S1A_T6_T7_T9_mT8_S1C_bDpT10_ENKUlT_T0_E_clISt17integral_constantIbLb1EES1P_EEDaS1K_S1L_EUlS1K_E_NS1_11comp_targetILNS1_3genE8ELNS1_11target_archE1030ELNS1_3gpuE2ELNS1_3repE0EEENS1_30default_config_static_selectorELNS0_4arch9wavefront6targetE0EEEvSY_
                                        ; -- End function
	.section	.AMDGPU.csdata,"",@progbits
; Kernel info:
; codeLenInByte = 0
; NumSgprs: 0
; NumVgprs: 0
; ScratchSize: 0
; MemoryBound: 0
; FloatMode: 240
; IeeeMode: 1
; LDSByteSize: 0 bytes/workgroup (compile time only)
; SGPRBlocks: 0
; VGPRBlocks: 0
; NumSGPRsForWavesPerEU: 1
; NumVGPRsForWavesPerEU: 1
; Occupancy: 16
; WaveLimiterHint : 0
; COMPUTE_PGM_RSRC2:SCRATCH_EN: 0
; COMPUTE_PGM_RSRC2:USER_SGPR: 15
; COMPUTE_PGM_RSRC2:TRAP_HANDLER: 0
; COMPUTE_PGM_RSRC2:TGID_X_EN: 1
; COMPUTE_PGM_RSRC2:TGID_Y_EN: 0
; COMPUTE_PGM_RSRC2:TGID_Z_EN: 0
; COMPUTE_PGM_RSRC2:TIDIG_COMP_CNT: 0
	.section	.text._ZN7rocprim17ROCPRIM_400000_NS6detail17trampoline_kernelINS0_13select_configILj256ELj13ELNS0_17block_load_methodE3ELS4_3ELS4_3ELNS0_20block_scan_algorithmE0ELj4294967295EEENS1_25partition_config_selectorILNS1_17partition_subalgoE3EjNS0_10empty_typeEbEEZZNS1_14partition_implILS8_3ELb0ES6_jNS0_17counting_iteratorIjlEEPS9_SE_NS0_5tupleIJPjSE_EEENSF_IJSE_SE_EEES9_SG_JZNS1_25segmented_radix_sort_implINS0_14default_configELb1EPKiPiPKlPlN2at6native12_GLOBAL__N_18offset_tEEE10hipError_tPvRmT1_PNSt15iterator_traitsISY_E10value_typeET2_T3_PNSZ_IS14_E10value_typeET4_jRbjT5_S1A_jjP12ihipStream_tbEUljE_EEESV_SW_SX_S14_S18_S1A_T6_T7_T9_mT8_S1C_bDpT10_ENKUlT_T0_E_clISt17integral_constantIbLb1EES1O_IbLb0EEEEDaS1K_S1L_EUlS1K_E_NS1_11comp_targetILNS1_3genE0ELNS1_11target_archE4294967295ELNS1_3gpuE0ELNS1_3repE0EEENS1_30default_config_static_selectorELNS0_4arch9wavefront6targetE0EEEvSY_,"axG",@progbits,_ZN7rocprim17ROCPRIM_400000_NS6detail17trampoline_kernelINS0_13select_configILj256ELj13ELNS0_17block_load_methodE3ELS4_3ELS4_3ELNS0_20block_scan_algorithmE0ELj4294967295EEENS1_25partition_config_selectorILNS1_17partition_subalgoE3EjNS0_10empty_typeEbEEZZNS1_14partition_implILS8_3ELb0ES6_jNS0_17counting_iteratorIjlEEPS9_SE_NS0_5tupleIJPjSE_EEENSF_IJSE_SE_EEES9_SG_JZNS1_25segmented_radix_sort_implINS0_14default_configELb1EPKiPiPKlPlN2at6native12_GLOBAL__N_18offset_tEEE10hipError_tPvRmT1_PNSt15iterator_traitsISY_E10value_typeET2_T3_PNSZ_IS14_E10value_typeET4_jRbjT5_S1A_jjP12ihipStream_tbEUljE_EEESV_SW_SX_S14_S18_S1A_T6_T7_T9_mT8_S1C_bDpT10_ENKUlT_T0_E_clISt17integral_constantIbLb1EES1O_IbLb0EEEEDaS1K_S1L_EUlS1K_E_NS1_11comp_targetILNS1_3genE0ELNS1_11target_archE4294967295ELNS1_3gpuE0ELNS1_3repE0EEENS1_30default_config_static_selectorELNS0_4arch9wavefront6targetE0EEEvSY_,comdat
	.globl	_ZN7rocprim17ROCPRIM_400000_NS6detail17trampoline_kernelINS0_13select_configILj256ELj13ELNS0_17block_load_methodE3ELS4_3ELS4_3ELNS0_20block_scan_algorithmE0ELj4294967295EEENS1_25partition_config_selectorILNS1_17partition_subalgoE3EjNS0_10empty_typeEbEEZZNS1_14partition_implILS8_3ELb0ES6_jNS0_17counting_iteratorIjlEEPS9_SE_NS0_5tupleIJPjSE_EEENSF_IJSE_SE_EEES9_SG_JZNS1_25segmented_radix_sort_implINS0_14default_configELb1EPKiPiPKlPlN2at6native12_GLOBAL__N_18offset_tEEE10hipError_tPvRmT1_PNSt15iterator_traitsISY_E10value_typeET2_T3_PNSZ_IS14_E10value_typeET4_jRbjT5_S1A_jjP12ihipStream_tbEUljE_EEESV_SW_SX_S14_S18_S1A_T6_T7_T9_mT8_S1C_bDpT10_ENKUlT_T0_E_clISt17integral_constantIbLb1EES1O_IbLb0EEEEDaS1K_S1L_EUlS1K_E_NS1_11comp_targetILNS1_3genE0ELNS1_11target_archE4294967295ELNS1_3gpuE0ELNS1_3repE0EEENS1_30default_config_static_selectorELNS0_4arch9wavefront6targetE0EEEvSY_ ; -- Begin function _ZN7rocprim17ROCPRIM_400000_NS6detail17trampoline_kernelINS0_13select_configILj256ELj13ELNS0_17block_load_methodE3ELS4_3ELS4_3ELNS0_20block_scan_algorithmE0ELj4294967295EEENS1_25partition_config_selectorILNS1_17partition_subalgoE3EjNS0_10empty_typeEbEEZZNS1_14partition_implILS8_3ELb0ES6_jNS0_17counting_iteratorIjlEEPS9_SE_NS0_5tupleIJPjSE_EEENSF_IJSE_SE_EEES9_SG_JZNS1_25segmented_radix_sort_implINS0_14default_configELb1EPKiPiPKlPlN2at6native12_GLOBAL__N_18offset_tEEE10hipError_tPvRmT1_PNSt15iterator_traitsISY_E10value_typeET2_T3_PNSZ_IS14_E10value_typeET4_jRbjT5_S1A_jjP12ihipStream_tbEUljE_EEESV_SW_SX_S14_S18_S1A_T6_T7_T9_mT8_S1C_bDpT10_ENKUlT_T0_E_clISt17integral_constantIbLb1EES1O_IbLb0EEEEDaS1K_S1L_EUlS1K_E_NS1_11comp_targetILNS1_3genE0ELNS1_11target_archE4294967295ELNS1_3gpuE0ELNS1_3repE0EEENS1_30default_config_static_selectorELNS0_4arch9wavefront6targetE0EEEvSY_
	.p2align	8
	.type	_ZN7rocprim17ROCPRIM_400000_NS6detail17trampoline_kernelINS0_13select_configILj256ELj13ELNS0_17block_load_methodE3ELS4_3ELS4_3ELNS0_20block_scan_algorithmE0ELj4294967295EEENS1_25partition_config_selectorILNS1_17partition_subalgoE3EjNS0_10empty_typeEbEEZZNS1_14partition_implILS8_3ELb0ES6_jNS0_17counting_iteratorIjlEEPS9_SE_NS0_5tupleIJPjSE_EEENSF_IJSE_SE_EEES9_SG_JZNS1_25segmented_radix_sort_implINS0_14default_configELb1EPKiPiPKlPlN2at6native12_GLOBAL__N_18offset_tEEE10hipError_tPvRmT1_PNSt15iterator_traitsISY_E10value_typeET2_T3_PNSZ_IS14_E10value_typeET4_jRbjT5_S1A_jjP12ihipStream_tbEUljE_EEESV_SW_SX_S14_S18_S1A_T6_T7_T9_mT8_S1C_bDpT10_ENKUlT_T0_E_clISt17integral_constantIbLb1EES1O_IbLb0EEEEDaS1K_S1L_EUlS1K_E_NS1_11comp_targetILNS1_3genE0ELNS1_11target_archE4294967295ELNS1_3gpuE0ELNS1_3repE0EEENS1_30default_config_static_selectorELNS0_4arch9wavefront6targetE0EEEvSY_,@function
_ZN7rocprim17ROCPRIM_400000_NS6detail17trampoline_kernelINS0_13select_configILj256ELj13ELNS0_17block_load_methodE3ELS4_3ELS4_3ELNS0_20block_scan_algorithmE0ELj4294967295EEENS1_25partition_config_selectorILNS1_17partition_subalgoE3EjNS0_10empty_typeEbEEZZNS1_14partition_implILS8_3ELb0ES6_jNS0_17counting_iteratorIjlEEPS9_SE_NS0_5tupleIJPjSE_EEENSF_IJSE_SE_EEES9_SG_JZNS1_25segmented_radix_sort_implINS0_14default_configELb1EPKiPiPKlPlN2at6native12_GLOBAL__N_18offset_tEEE10hipError_tPvRmT1_PNSt15iterator_traitsISY_E10value_typeET2_T3_PNSZ_IS14_E10value_typeET4_jRbjT5_S1A_jjP12ihipStream_tbEUljE_EEESV_SW_SX_S14_S18_S1A_T6_T7_T9_mT8_S1C_bDpT10_ENKUlT_T0_E_clISt17integral_constantIbLb1EES1O_IbLb0EEEEDaS1K_S1L_EUlS1K_E_NS1_11comp_targetILNS1_3genE0ELNS1_11target_archE4294967295ELNS1_3gpuE0ELNS1_3repE0EEENS1_30default_config_static_selectorELNS0_4arch9wavefront6targetE0EEEvSY_: ; @_ZN7rocprim17ROCPRIM_400000_NS6detail17trampoline_kernelINS0_13select_configILj256ELj13ELNS0_17block_load_methodE3ELS4_3ELS4_3ELNS0_20block_scan_algorithmE0ELj4294967295EEENS1_25partition_config_selectorILNS1_17partition_subalgoE3EjNS0_10empty_typeEbEEZZNS1_14partition_implILS8_3ELb0ES6_jNS0_17counting_iteratorIjlEEPS9_SE_NS0_5tupleIJPjSE_EEENSF_IJSE_SE_EEES9_SG_JZNS1_25segmented_radix_sort_implINS0_14default_configELb1EPKiPiPKlPlN2at6native12_GLOBAL__N_18offset_tEEE10hipError_tPvRmT1_PNSt15iterator_traitsISY_E10value_typeET2_T3_PNSZ_IS14_E10value_typeET4_jRbjT5_S1A_jjP12ihipStream_tbEUljE_EEESV_SW_SX_S14_S18_S1A_T6_T7_T9_mT8_S1C_bDpT10_ENKUlT_T0_E_clISt17integral_constantIbLb1EES1O_IbLb0EEEEDaS1K_S1L_EUlS1K_E_NS1_11comp_targetILNS1_3genE0ELNS1_11target_archE4294967295ELNS1_3gpuE0ELNS1_3repE0EEENS1_30default_config_static_selectorELNS0_4arch9wavefront6targetE0EEEvSY_
; %bb.0:
	.section	.rodata,"a",@progbits
	.p2align	6, 0x0
	.amdhsa_kernel _ZN7rocprim17ROCPRIM_400000_NS6detail17trampoline_kernelINS0_13select_configILj256ELj13ELNS0_17block_load_methodE3ELS4_3ELS4_3ELNS0_20block_scan_algorithmE0ELj4294967295EEENS1_25partition_config_selectorILNS1_17partition_subalgoE3EjNS0_10empty_typeEbEEZZNS1_14partition_implILS8_3ELb0ES6_jNS0_17counting_iteratorIjlEEPS9_SE_NS0_5tupleIJPjSE_EEENSF_IJSE_SE_EEES9_SG_JZNS1_25segmented_radix_sort_implINS0_14default_configELb1EPKiPiPKlPlN2at6native12_GLOBAL__N_18offset_tEEE10hipError_tPvRmT1_PNSt15iterator_traitsISY_E10value_typeET2_T3_PNSZ_IS14_E10value_typeET4_jRbjT5_S1A_jjP12ihipStream_tbEUljE_EEESV_SW_SX_S14_S18_S1A_T6_T7_T9_mT8_S1C_bDpT10_ENKUlT_T0_E_clISt17integral_constantIbLb1EES1O_IbLb0EEEEDaS1K_S1L_EUlS1K_E_NS1_11comp_targetILNS1_3genE0ELNS1_11target_archE4294967295ELNS1_3gpuE0ELNS1_3repE0EEENS1_30default_config_static_selectorELNS0_4arch9wavefront6targetE0EEEvSY_
		.amdhsa_group_segment_fixed_size 0
		.amdhsa_private_segment_fixed_size 0
		.amdhsa_kernarg_size 144
		.amdhsa_user_sgpr_count 15
		.amdhsa_user_sgpr_dispatch_ptr 0
		.amdhsa_user_sgpr_queue_ptr 0
		.amdhsa_user_sgpr_kernarg_segment_ptr 1
		.amdhsa_user_sgpr_dispatch_id 0
		.amdhsa_user_sgpr_private_segment_size 0
		.amdhsa_wavefront_size32 1
		.amdhsa_uses_dynamic_stack 0
		.amdhsa_enable_private_segment 0
		.amdhsa_system_sgpr_workgroup_id_x 1
		.amdhsa_system_sgpr_workgroup_id_y 0
		.amdhsa_system_sgpr_workgroup_id_z 0
		.amdhsa_system_sgpr_workgroup_info 0
		.amdhsa_system_vgpr_workitem_id 0
		.amdhsa_next_free_vgpr 1
		.amdhsa_next_free_sgpr 1
		.amdhsa_reserve_vcc 0
		.amdhsa_float_round_mode_32 0
		.amdhsa_float_round_mode_16_64 0
		.amdhsa_float_denorm_mode_32 3
		.amdhsa_float_denorm_mode_16_64 3
		.amdhsa_dx10_clamp 1
		.amdhsa_ieee_mode 1
		.amdhsa_fp16_overflow 0
		.amdhsa_workgroup_processor_mode 1
		.amdhsa_memory_ordered 1
		.amdhsa_forward_progress 0
		.amdhsa_shared_vgpr_count 0
		.amdhsa_exception_fp_ieee_invalid_op 0
		.amdhsa_exception_fp_denorm_src 0
		.amdhsa_exception_fp_ieee_div_zero 0
		.amdhsa_exception_fp_ieee_overflow 0
		.amdhsa_exception_fp_ieee_underflow 0
		.amdhsa_exception_fp_ieee_inexact 0
		.amdhsa_exception_int_div_zero 0
	.end_amdhsa_kernel
	.section	.text._ZN7rocprim17ROCPRIM_400000_NS6detail17trampoline_kernelINS0_13select_configILj256ELj13ELNS0_17block_load_methodE3ELS4_3ELS4_3ELNS0_20block_scan_algorithmE0ELj4294967295EEENS1_25partition_config_selectorILNS1_17partition_subalgoE3EjNS0_10empty_typeEbEEZZNS1_14partition_implILS8_3ELb0ES6_jNS0_17counting_iteratorIjlEEPS9_SE_NS0_5tupleIJPjSE_EEENSF_IJSE_SE_EEES9_SG_JZNS1_25segmented_radix_sort_implINS0_14default_configELb1EPKiPiPKlPlN2at6native12_GLOBAL__N_18offset_tEEE10hipError_tPvRmT1_PNSt15iterator_traitsISY_E10value_typeET2_T3_PNSZ_IS14_E10value_typeET4_jRbjT5_S1A_jjP12ihipStream_tbEUljE_EEESV_SW_SX_S14_S18_S1A_T6_T7_T9_mT8_S1C_bDpT10_ENKUlT_T0_E_clISt17integral_constantIbLb1EES1O_IbLb0EEEEDaS1K_S1L_EUlS1K_E_NS1_11comp_targetILNS1_3genE0ELNS1_11target_archE4294967295ELNS1_3gpuE0ELNS1_3repE0EEENS1_30default_config_static_selectorELNS0_4arch9wavefront6targetE0EEEvSY_,"axG",@progbits,_ZN7rocprim17ROCPRIM_400000_NS6detail17trampoline_kernelINS0_13select_configILj256ELj13ELNS0_17block_load_methodE3ELS4_3ELS4_3ELNS0_20block_scan_algorithmE0ELj4294967295EEENS1_25partition_config_selectorILNS1_17partition_subalgoE3EjNS0_10empty_typeEbEEZZNS1_14partition_implILS8_3ELb0ES6_jNS0_17counting_iteratorIjlEEPS9_SE_NS0_5tupleIJPjSE_EEENSF_IJSE_SE_EEES9_SG_JZNS1_25segmented_radix_sort_implINS0_14default_configELb1EPKiPiPKlPlN2at6native12_GLOBAL__N_18offset_tEEE10hipError_tPvRmT1_PNSt15iterator_traitsISY_E10value_typeET2_T3_PNSZ_IS14_E10value_typeET4_jRbjT5_S1A_jjP12ihipStream_tbEUljE_EEESV_SW_SX_S14_S18_S1A_T6_T7_T9_mT8_S1C_bDpT10_ENKUlT_T0_E_clISt17integral_constantIbLb1EES1O_IbLb0EEEEDaS1K_S1L_EUlS1K_E_NS1_11comp_targetILNS1_3genE0ELNS1_11target_archE4294967295ELNS1_3gpuE0ELNS1_3repE0EEENS1_30default_config_static_selectorELNS0_4arch9wavefront6targetE0EEEvSY_,comdat
.Lfunc_end481:
	.size	_ZN7rocprim17ROCPRIM_400000_NS6detail17trampoline_kernelINS0_13select_configILj256ELj13ELNS0_17block_load_methodE3ELS4_3ELS4_3ELNS0_20block_scan_algorithmE0ELj4294967295EEENS1_25partition_config_selectorILNS1_17partition_subalgoE3EjNS0_10empty_typeEbEEZZNS1_14partition_implILS8_3ELb0ES6_jNS0_17counting_iteratorIjlEEPS9_SE_NS0_5tupleIJPjSE_EEENSF_IJSE_SE_EEES9_SG_JZNS1_25segmented_radix_sort_implINS0_14default_configELb1EPKiPiPKlPlN2at6native12_GLOBAL__N_18offset_tEEE10hipError_tPvRmT1_PNSt15iterator_traitsISY_E10value_typeET2_T3_PNSZ_IS14_E10value_typeET4_jRbjT5_S1A_jjP12ihipStream_tbEUljE_EEESV_SW_SX_S14_S18_S1A_T6_T7_T9_mT8_S1C_bDpT10_ENKUlT_T0_E_clISt17integral_constantIbLb1EES1O_IbLb0EEEEDaS1K_S1L_EUlS1K_E_NS1_11comp_targetILNS1_3genE0ELNS1_11target_archE4294967295ELNS1_3gpuE0ELNS1_3repE0EEENS1_30default_config_static_selectorELNS0_4arch9wavefront6targetE0EEEvSY_, .Lfunc_end481-_ZN7rocprim17ROCPRIM_400000_NS6detail17trampoline_kernelINS0_13select_configILj256ELj13ELNS0_17block_load_methodE3ELS4_3ELS4_3ELNS0_20block_scan_algorithmE0ELj4294967295EEENS1_25partition_config_selectorILNS1_17partition_subalgoE3EjNS0_10empty_typeEbEEZZNS1_14partition_implILS8_3ELb0ES6_jNS0_17counting_iteratorIjlEEPS9_SE_NS0_5tupleIJPjSE_EEENSF_IJSE_SE_EEES9_SG_JZNS1_25segmented_radix_sort_implINS0_14default_configELb1EPKiPiPKlPlN2at6native12_GLOBAL__N_18offset_tEEE10hipError_tPvRmT1_PNSt15iterator_traitsISY_E10value_typeET2_T3_PNSZ_IS14_E10value_typeET4_jRbjT5_S1A_jjP12ihipStream_tbEUljE_EEESV_SW_SX_S14_S18_S1A_T6_T7_T9_mT8_S1C_bDpT10_ENKUlT_T0_E_clISt17integral_constantIbLb1EES1O_IbLb0EEEEDaS1K_S1L_EUlS1K_E_NS1_11comp_targetILNS1_3genE0ELNS1_11target_archE4294967295ELNS1_3gpuE0ELNS1_3repE0EEENS1_30default_config_static_selectorELNS0_4arch9wavefront6targetE0EEEvSY_
                                        ; -- End function
	.section	.AMDGPU.csdata,"",@progbits
; Kernel info:
; codeLenInByte = 0
; NumSgprs: 0
; NumVgprs: 0
; ScratchSize: 0
; MemoryBound: 0
; FloatMode: 240
; IeeeMode: 1
; LDSByteSize: 0 bytes/workgroup (compile time only)
; SGPRBlocks: 0
; VGPRBlocks: 0
; NumSGPRsForWavesPerEU: 1
; NumVGPRsForWavesPerEU: 1
; Occupancy: 16
; WaveLimiterHint : 0
; COMPUTE_PGM_RSRC2:SCRATCH_EN: 0
; COMPUTE_PGM_RSRC2:USER_SGPR: 15
; COMPUTE_PGM_RSRC2:TRAP_HANDLER: 0
; COMPUTE_PGM_RSRC2:TGID_X_EN: 1
; COMPUTE_PGM_RSRC2:TGID_Y_EN: 0
; COMPUTE_PGM_RSRC2:TGID_Z_EN: 0
; COMPUTE_PGM_RSRC2:TIDIG_COMP_CNT: 0
	.section	.text._ZN7rocprim17ROCPRIM_400000_NS6detail17trampoline_kernelINS0_13select_configILj256ELj13ELNS0_17block_load_methodE3ELS4_3ELS4_3ELNS0_20block_scan_algorithmE0ELj4294967295EEENS1_25partition_config_selectorILNS1_17partition_subalgoE3EjNS0_10empty_typeEbEEZZNS1_14partition_implILS8_3ELb0ES6_jNS0_17counting_iteratorIjlEEPS9_SE_NS0_5tupleIJPjSE_EEENSF_IJSE_SE_EEES9_SG_JZNS1_25segmented_radix_sort_implINS0_14default_configELb1EPKiPiPKlPlN2at6native12_GLOBAL__N_18offset_tEEE10hipError_tPvRmT1_PNSt15iterator_traitsISY_E10value_typeET2_T3_PNSZ_IS14_E10value_typeET4_jRbjT5_S1A_jjP12ihipStream_tbEUljE_EEESV_SW_SX_S14_S18_S1A_T6_T7_T9_mT8_S1C_bDpT10_ENKUlT_T0_E_clISt17integral_constantIbLb1EES1O_IbLb0EEEEDaS1K_S1L_EUlS1K_E_NS1_11comp_targetILNS1_3genE5ELNS1_11target_archE942ELNS1_3gpuE9ELNS1_3repE0EEENS1_30default_config_static_selectorELNS0_4arch9wavefront6targetE0EEEvSY_,"axG",@progbits,_ZN7rocprim17ROCPRIM_400000_NS6detail17trampoline_kernelINS0_13select_configILj256ELj13ELNS0_17block_load_methodE3ELS4_3ELS4_3ELNS0_20block_scan_algorithmE0ELj4294967295EEENS1_25partition_config_selectorILNS1_17partition_subalgoE3EjNS0_10empty_typeEbEEZZNS1_14partition_implILS8_3ELb0ES6_jNS0_17counting_iteratorIjlEEPS9_SE_NS0_5tupleIJPjSE_EEENSF_IJSE_SE_EEES9_SG_JZNS1_25segmented_radix_sort_implINS0_14default_configELb1EPKiPiPKlPlN2at6native12_GLOBAL__N_18offset_tEEE10hipError_tPvRmT1_PNSt15iterator_traitsISY_E10value_typeET2_T3_PNSZ_IS14_E10value_typeET4_jRbjT5_S1A_jjP12ihipStream_tbEUljE_EEESV_SW_SX_S14_S18_S1A_T6_T7_T9_mT8_S1C_bDpT10_ENKUlT_T0_E_clISt17integral_constantIbLb1EES1O_IbLb0EEEEDaS1K_S1L_EUlS1K_E_NS1_11comp_targetILNS1_3genE5ELNS1_11target_archE942ELNS1_3gpuE9ELNS1_3repE0EEENS1_30default_config_static_selectorELNS0_4arch9wavefront6targetE0EEEvSY_,comdat
	.globl	_ZN7rocprim17ROCPRIM_400000_NS6detail17trampoline_kernelINS0_13select_configILj256ELj13ELNS0_17block_load_methodE3ELS4_3ELS4_3ELNS0_20block_scan_algorithmE0ELj4294967295EEENS1_25partition_config_selectorILNS1_17partition_subalgoE3EjNS0_10empty_typeEbEEZZNS1_14partition_implILS8_3ELb0ES6_jNS0_17counting_iteratorIjlEEPS9_SE_NS0_5tupleIJPjSE_EEENSF_IJSE_SE_EEES9_SG_JZNS1_25segmented_radix_sort_implINS0_14default_configELb1EPKiPiPKlPlN2at6native12_GLOBAL__N_18offset_tEEE10hipError_tPvRmT1_PNSt15iterator_traitsISY_E10value_typeET2_T3_PNSZ_IS14_E10value_typeET4_jRbjT5_S1A_jjP12ihipStream_tbEUljE_EEESV_SW_SX_S14_S18_S1A_T6_T7_T9_mT8_S1C_bDpT10_ENKUlT_T0_E_clISt17integral_constantIbLb1EES1O_IbLb0EEEEDaS1K_S1L_EUlS1K_E_NS1_11comp_targetILNS1_3genE5ELNS1_11target_archE942ELNS1_3gpuE9ELNS1_3repE0EEENS1_30default_config_static_selectorELNS0_4arch9wavefront6targetE0EEEvSY_ ; -- Begin function _ZN7rocprim17ROCPRIM_400000_NS6detail17trampoline_kernelINS0_13select_configILj256ELj13ELNS0_17block_load_methodE3ELS4_3ELS4_3ELNS0_20block_scan_algorithmE0ELj4294967295EEENS1_25partition_config_selectorILNS1_17partition_subalgoE3EjNS0_10empty_typeEbEEZZNS1_14partition_implILS8_3ELb0ES6_jNS0_17counting_iteratorIjlEEPS9_SE_NS0_5tupleIJPjSE_EEENSF_IJSE_SE_EEES9_SG_JZNS1_25segmented_radix_sort_implINS0_14default_configELb1EPKiPiPKlPlN2at6native12_GLOBAL__N_18offset_tEEE10hipError_tPvRmT1_PNSt15iterator_traitsISY_E10value_typeET2_T3_PNSZ_IS14_E10value_typeET4_jRbjT5_S1A_jjP12ihipStream_tbEUljE_EEESV_SW_SX_S14_S18_S1A_T6_T7_T9_mT8_S1C_bDpT10_ENKUlT_T0_E_clISt17integral_constantIbLb1EES1O_IbLb0EEEEDaS1K_S1L_EUlS1K_E_NS1_11comp_targetILNS1_3genE5ELNS1_11target_archE942ELNS1_3gpuE9ELNS1_3repE0EEENS1_30default_config_static_selectorELNS0_4arch9wavefront6targetE0EEEvSY_
	.p2align	8
	.type	_ZN7rocprim17ROCPRIM_400000_NS6detail17trampoline_kernelINS0_13select_configILj256ELj13ELNS0_17block_load_methodE3ELS4_3ELS4_3ELNS0_20block_scan_algorithmE0ELj4294967295EEENS1_25partition_config_selectorILNS1_17partition_subalgoE3EjNS0_10empty_typeEbEEZZNS1_14partition_implILS8_3ELb0ES6_jNS0_17counting_iteratorIjlEEPS9_SE_NS0_5tupleIJPjSE_EEENSF_IJSE_SE_EEES9_SG_JZNS1_25segmented_radix_sort_implINS0_14default_configELb1EPKiPiPKlPlN2at6native12_GLOBAL__N_18offset_tEEE10hipError_tPvRmT1_PNSt15iterator_traitsISY_E10value_typeET2_T3_PNSZ_IS14_E10value_typeET4_jRbjT5_S1A_jjP12ihipStream_tbEUljE_EEESV_SW_SX_S14_S18_S1A_T6_T7_T9_mT8_S1C_bDpT10_ENKUlT_T0_E_clISt17integral_constantIbLb1EES1O_IbLb0EEEEDaS1K_S1L_EUlS1K_E_NS1_11comp_targetILNS1_3genE5ELNS1_11target_archE942ELNS1_3gpuE9ELNS1_3repE0EEENS1_30default_config_static_selectorELNS0_4arch9wavefront6targetE0EEEvSY_,@function
_ZN7rocprim17ROCPRIM_400000_NS6detail17trampoline_kernelINS0_13select_configILj256ELj13ELNS0_17block_load_methodE3ELS4_3ELS4_3ELNS0_20block_scan_algorithmE0ELj4294967295EEENS1_25partition_config_selectorILNS1_17partition_subalgoE3EjNS0_10empty_typeEbEEZZNS1_14partition_implILS8_3ELb0ES6_jNS0_17counting_iteratorIjlEEPS9_SE_NS0_5tupleIJPjSE_EEENSF_IJSE_SE_EEES9_SG_JZNS1_25segmented_radix_sort_implINS0_14default_configELb1EPKiPiPKlPlN2at6native12_GLOBAL__N_18offset_tEEE10hipError_tPvRmT1_PNSt15iterator_traitsISY_E10value_typeET2_T3_PNSZ_IS14_E10value_typeET4_jRbjT5_S1A_jjP12ihipStream_tbEUljE_EEESV_SW_SX_S14_S18_S1A_T6_T7_T9_mT8_S1C_bDpT10_ENKUlT_T0_E_clISt17integral_constantIbLb1EES1O_IbLb0EEEEDaS1K_S1L_EUlS1K_E_NS1_11comp_targetILNS1_3genE5ELNS1_11target_archE942ELNS1_3gpuE9ELNS1_3repE0EEENS1_30default_config_static_selectorELNS0_4arch9wavefront6targetE0EEEvSY_: ; @_ZN7rocprim17ROCPRIM_400000_NS6detail17trampoline_kernelINS0_13select_configILj256ELj13ELNS0_17block_load_methodE3ELS4_3ELS4_3ELNS0_20block_scan_algorithmE0ELj4294967295EEENS1_25partition_config_selectorILNS1_17partition_subalgoE3EjNS0_10empty_typeEbEEZZNS1_14partition_implILS8_3ELb0ES6_jNS0_17counting_iteratorIjlEEPS9_SE_NS0_5tupleIJPjSE_EEENSF_IJSE_SE_EEES9_SG_JZNS1_25segmented_radix_sort_implINS0_14default_configELb1EPKiPiPKlPlN2at6native12_GLOBAL__N_18offset_tEEE10hipError_tPvRmT1_PNSt15iterator_traitsISY_E10value_typeET2_T3_PNSZ_IS14_E10value_typeET4_jRbjT5_S1A_jjP12ihipStream_tbEUljE_EEESV_SW_SX_S14_S18_S1A_T6_T7_T9_mT8_S1C_bDpT10_ENKUlT_T0_E_clISt17integral_constantIbLb1EES1O_IbLb0EEEEDaS1K_S1L_EUlS1K_E_NS1_11comp_targetILNS1_3genE5ELNS1_11target_archE942ELNS1_3gpuE9ELNS1_3repE0EEENS1_30default_config_static_selectorELNS0_4arch9wavefront6targetE0EEEvSY_
; %bb.0:
	.section	.rodata,"a",@progbits
	.p2align	6, 0x0
	.amdhsa_kernel _ZN7rocprim17ROCPRIM_400000_NS6detail17trampoline_kernelINS0_13select_configILj256ELj13ELNS0_17block_load_methodE3ELS4_3ELS4_3ELNS0_20block_scan_algorithmE0ELj4294967295EEENS1_25partition_config_selectorILNS1_17partition_subalgoE3EjNS0_10empty_typeEbEEZZNS1_14partition_implILS8_3ELb0ES6_jNS0_17counting_iteratorIjlEEPS9_SE_NS0_5tupleIJPjSE_EEENSF_IJSE_SE_EEES9_SG_JZNS1_25segmented_radix_sort_implINS0_14default_configELb1EPKiPiPKlPlN2at6native12_GLOBAL__N_18offset_tEEE10hipError_tPvRmT1_PNSt15iterator_traitsISY_E10value_typeET2_T3_PNSZ_IS14_E10value_typeET4_jRbjT5_S1A_jjP12ihipStream_tbEUljE_EEESV_SW_SX_S14_S18_S1A_T6_T7_T9_mT8_S1C_bDpT10_ENKUlT_T0_E_clISt17integral_constantIbLb1EES1O_IbLb0EEEEDaS1K_S1L_EUlS1K_E_NS1_11comp_targetILNS1_3genE5ELNS1_11target_archE942ELNS1_3gpuE9ELNS1_3repE0EEENS1_30default_config_static_selectorELNS0_4arch9wavefront6targetE0EEEvSY_
		.amdhsa_group_segment_fixed_size 0
		.amdhsa_private_segment_fixed_size 0
		.amdhsa_kernarg_size 144
		.amdhsa_user_sgpr_count 15
		.amdhsa_user_sgpr_dispatch_ptr 0
		.amdhsa_user_sgpr_queue_ptr 0
		.amdhsa_user_sgpr_kernarg_segment_ptr 1
		.amdhsa_user_sgpr_dispatch_id 0
		.amdhsa_user_sgpr_private_segment_size 0
		.amdhsa_wavefront_size32 1
		.amdhsa_uses_dynamic_stack 0
		.amdhsa_enable_private_segment 0
		.amdhsa_system_sgpr_workgroup_id_x 1
		.amdhsa_system_sgpr_workgroup_id_y 0
		.amdhsa_system_sgpr_workgroup_id_z 0
		.amdhsa_system_sgpr_workgroup_info 0
		.amdhsa_system_vgpr_workitem_id 0
		.amdhsa_next_free_vgpr 1
		.amdhsa_next_free_sgpr 1
		.amdhsa_reserve_vcc 0
		.amdhsa_float_round_mode_32 0
		.amdhsa_float_round_mode_16_64 0
		.amdhsa_float_denorm_mode_32 3
		.amdhsa_float_denorm_mode_16_64 3
		.amdhsa_dx10_clamp 1
		.amdhsa_ieee_mode 1
		.amdhsa_fp16_overflow 0
		.amdhsa_workgroup_processor_mode 1
		.amdhsa_memory_ordered 1
		.amdhsa_forward_progress 0
		.amdhsa_shared_vgpr_count 0
		.amdhsa_exception_fp_ieee_invalid_op 0
		.amdhsa_exception_fp_denorm_src 0
		.amdhsa_exception_fp_ieee_div_zero 0
		.amdhsa_exception_fp_ieee_overflow 0
		.amdhsa_exception_fp_ieee_underflow 0
		.amdhsa_exception_fp_ieee_inexact 0
		.amdhsa_exception_int_div_zero 0
	.end_amdhsa_kernel
	.section	.text._ZN7rocprim17ROCPRIM_400000_NS6detail17trampoline_kernelINS0_13select_configILj256ELj13ELNS0_17block_load_methodE3ELS4_3ELS4_3ELNS0_20block_scan_algorithmE0ELj4294967295EEENS1_25partition_config_selectorILNS1_17partition_subalgoE3EjNS0_10empty_typeEbEEZZNS1_14partition_implILS8_3ELb0ES6_jNS0_17counting_iteratorIjlEEPS9_SE_NS0_5tupleIJPjSE_EEENSF_IJSE_SE_EEES9_SG_JZNS1_25segmented_radix_sort_implINS0_14default_configELb1EPKiPiPKlPlN2at6native12_GLOBAL__N_18offset_tEEE10hipError_tPvRmT1_PNSt15iterator_traitsISY_E10value_typeET2_T3_PNSZ_IS14_E10value_typeET4_jRbjT5_S1A_jjP12ihipStream_tbEUljE_EEESV_SW_SX_S14_S18_S1A_T6_T7_T9_mT8_S1C_bDpT10_ENKUlT_T0_E_clISt17integral_constantIbLb1EES1O_IbLb0EEEEDaS1K_S1L_EUlS1K_E_NS1_11comp_targetILNS1_3genE5ELNS1_11target_archE942ELNS1_3gpuE9ELNS1_3repE0EEENS1_30default_config_static_selectorELNS0_4arch9wavefront6targetE0EEEvSY_,"axG",@progbits,_ZN7rocprim17ROCPRIM_400000_NS6detail17trampoline_kernelINS0_13select_configILj256ELj13ELNS0_17block_load_methodE3ELS4_3ELS4_3ELNS0_20block_scan_algorithmE0ELj4294967295EEENS1_25partition_config_selectorILNS1_17partition_subalgoE3EjNS0_10empty_typeEbEEZZNS1_14partition_implILS8_3ELb0ES6_jNS0_17counting_iteratorIjlEEPS9_SE_NS0_5tupleIJPjSE_EEENSF_IJSE_SE_EEES9_SG_JZNS1_25segmented_radix_sort_implINS0_14default_configELb1EPKiPiPKlPlN2at6native12_GLOBAL__N_18offset_tEEE10hipError_tPvRmT1_PNSt15iterator_traitsISY_E10value_typeET2_T3_PNSZ_IS14_E10value_typeET4_jRbjT5_S1A_jjP12ihipStream_tbEUljE_EEESV_SW_SX_S14_S18_S1A_T6_T7_T9_mT8_S1C_bDpT10_ENKUlT_T0_E_clISt17integral_constantIbLb1EES1O_IbLb0EEEEDaS1K_S1L_EUlS1K_E_NS1_11comp_targetILNS1_3genE5ELNS1_11target_archE942ELNS1_3gpuE9ELNS1_3repE0EEENS1_30default_config_static_selectorELNS0_4arch9wavefront6targetE0EEEvSY_,comdat
.Lfunc_end482:
	.size	_ZN7rocprim17ROCPRIM_400000_NS6detail17trampoline_kernelINS0_13select_configILj256ELj13ELNS0_17block_load_methodE3ELS4_3ELS4_3ELNS0_20block_scan_algorithmE0ELj4294967295EEENS1_25partition_config_selectorILNS1_17partition_subalgoE3EjNS0_10empty_typeEbEEZZNS1_14partition_implILS8_3ELb0ES6_jNS0_17counting_iteratorIjlEEPS9_SE_NS0_5tupleIJPjSE_EEENSF_IJSE_SE_EEES9_SG_JZNS1_25segmented_radix_sort_implINS0_14default_configELb1EPKiPiPKlPlN2at6native12_GLOBAL__N_18offset_tEEE10hipError_tPvRmT1_PNSt15iterator_traitsISY_E10value_typeET2_T3_PNSZ_IS14_E10value_typeET4_jRbjT5_S1A_jjP12ihipStream_tbEUljE_EEESV_SW_SX_S14_S18_S1A_T6_T7_T9_mT8_S1C_bDpT10_ENKUlT_T0_E_clISt17integral_constantIbLb1EES1O_IbLb0EEEEDaS1K_S1L_EUlS1K_E_NS1_11comp_targetILNS1_3genE5ELNS1_11target_archE942ELNS1_3gpuE9ELNS1_3repE0EEENS1_30default_config_static_selectorELNS0_4arch9wavefront6targetE0EEEvSY_, .Lfunc_end482-_ZN7rocprim17ROCPRIM_400000_NS6detail17trampoline_kernelINS0_13select_configILj256ELj13ELNS0_17block_load_methodE3ELS4_3ELS4_3ELNS0_20block_scan_algorithmE0ELj4294967295EEENS1_25partition_config_selectorILNS1_17partition_subalgoE3EjNS0_10empty_typeEbEEZZNS1_14partition_implILS8_3ELb0ES6_jNS0_17counting_iteratorIjlEEPS9_SE_NS0_5tupleIJPjSE_EEENSF_IJSE_SE_EEES9_SG_JZNS1_25segmented_radix_sort_implINS0_14default_configELb1EPKiPiPKlPlN2at6native12_GLOBAL__N_18offset_tEEE10hipError_tPvRmT1_PNSt15iterator_traitsISY_E10value_typeET2_T3_PNSZ_IS14_E10value_typeET4_jRbjT5_S1A_jjP12ihipStream_tbEUljE_EEESV_SW_SX_S14_S18_S1A_T6_T7_T9_mT8_S1C_bDpT10_ENKUlT_T0_E_clISt17integral_constantIbLb1EES1O_IbLb0EEEEDaS1K_S1L_EUlS1K_E_NS1_11comp_targetILNS1_3genE5ELNS1_11target_archE942ELNS1_3gpuE9ELNS1_3repE0EEENS1_30default_config_static_selectorELNS0_4arch9wavefront6targetE0EEEvSY_
                                        ; -- End function
	.section	.AMDGPU.csdata,"",@progbits
; Kernel info:
; codeLenInByte = 0
; NumSgprs: 0
; NumVgprs: 0
; ScratchSize: 0
; MemoryBound: 0
; FloatMode: 240
; IeeeMode: 1
; LDSByteSize: 0 bytes/workgroup (compile time only)
; SGPRBlocks: 0
; VGPRBlocks: 0
; NumSGPRsForWavesPerEU: 1
; NumVGPRsForWavesPerEU: 1
; Occupancy: 16
; WaveLimiterHint : 0
; COMPUTE_PGM_RSRC2:SCRATCH_EN: 0
; COMPUTE_PGM_RSRC2:USER_SGPR: 15
; COMPUTE_PGM_RSRC2:TRAP_HANDLER: 0
; COMPUTE_PGM_RSRC2:TGID_X_EN: 1
; COMPUTE_PGM_RSRC2:TGID_Y_EN: 0
; COMPUTE_PGM_RSRC2:TGID_Z_EN: 0
; COMPUTE_PGM_RSRC2:TIDIG_COMP_CNT: 0
	.section	.text._ZN7rocprim17ROCPRIM_400000_NS6detail17trampoline_kernelINS0_13select_configILj256ELj13ELNS0_17block_load_methodE3ELS4_3ELS4_3ELNS0_20block_scan_algorithmE0ELj4294967295EEENS1_25partition_config_selectorILNS1_17partition_subalgoE3EjNS0_10empty_typeEbEEZZNS1_14partition_implILS8_3ELb0ES6_jNS0_17counting_iteratorIjlEEPS9_SE_NS0_5tupleIJPjSE_EEENSF_IJSE_SE_EEES9_SG_JZNS1_25segmented_radix_sort_implINS0_14default_configELb1EPKiPiPKlPlN2at6native12_GLOBAL__N_18offset_tEEE10hipError_tPvRmT1_PNSt15iterator_traitsISY_E10value_typeET2_T3_PNSZ_IS14_E10value_typeET4_jRbjT5_S1A_jjP12ihipStream_tbEUljE_EEESV_SW_SX_S14_S18_S1A_T6_T7_T9_mT8_S1C_bDpT10_ENKUlT_T0_E_clISt17integral_constantIbLb1EES1O_IbLb0EEEEDaS1K_S1L_EUlS1K_E_NS1_11comp_targetILNS1_3genE4ELNS1_11target_archE910ELNS1_3gpuE8ELNS1_3repE0EEENS1_30default_config_static_selectorELNS0_4arch9wavefront6targetE0EEEvSY_,"axG",@progbits,_ZN7rocprim17ROCPRIM_400000_NS6detail17trampoline_kernelINS0_13select_configILj256ELj13ELNS0_17block_load_methodE3ELS4_3ELS4_3ELNS0_20block_scan_algorithmE0ELj4294967295EEENS1_25partition_config_selectorILNS1_17partition_subalgoE3EjNS0_10empty_typeEbEEZZNS1_14partition_implILS8_3ELb0ES6_jNS0_17counting_iteratorIjlEEPS9_SE_NS0_5tupleIJPjSE_EEENSF_IJSE_SE_EEES9_SG_JZNS1_25segmented_radix_sort_implINS0_14default_configELb1EPKiPiPKlPlN2at6native12_GLOBAL__N_18offset_tEEE10hipError_tPvRmT1_PNSt15iterator_traitsISY_E10value_typeET2_T3_PNSZ_IS14_E10value_typeET4_jRbjT5_S1A_jjP12ihipStream_tbEUljE_EEESV_SW_SX_S14_S18_S1A_T6_T7_T9_mT8_S1C_bDpT10_ENKUlT_T0_E_clISt17integral_constantIbLb1EES1O_IbLb0EEEEDaS1K_S1L_EUlS1K_E_NS1_11comp_targetILNS1_3genE4ELNS1_11target_archE910ELNS1_3gpuE8ELNS1_3repE0EEENS1_30default_config_static_selectorELNS0_4arch9wavefront6targetE0EEEvSY_,comdat
	.globl	_ZN7rocprim17ROCPRIM_400000_NS6detail17trampoline_kernelINS0_13select_configILj256ELj13ELNS0_17block_load_methodE3ELS4_3ELS4_3ELNS0_20block_scan_algorithmE0ELj4294967295EEENS1_25partition_config_selectorILNS1_17partition_subalgoE3EjNS0_10empty_typeEbEEZZNS1_14partition_implILS8_3ELb0ES6_jNS0_17counting_iteratorIjlEEPS9_SE_NS0_5tupleIJPjSE_EEENSF_IJSE_SE_EEES9_SG_JZNS1_25segmented_radix_sort_implINS0_14default_configELb1EPKiPiPKlPlN2at6native12_GLOBAL__N_18offset_tEEE10hipError_tPvRmT1_PNSt15iterator_traitsISY_E10value_typeET2_T3_PNSZ_IS14_E10value_typeET4_jRbjT5_S1A_jjP12ihipStream_tbEUljE_EEESV_SW_SX_S14_S18_S1A_T6_T7_T9_mT8_S1C_bDpT10_ENKUlT_T0_E_clISt17integral_constantIbLb1EES1O_IbLb0EEEEDaS1K_S1L_EUlS1K_E_NS1_11comp_targetILNS1_3genE4ELNS1_11target_archE910ELNS1_3gpuE8ELNS1_3repE0EEENS1_30default_config_static_selectorELNS0_4arch9wavefront6targetE0EEEvSY_ ; -- Begin function _ZN7rocprim17ROCPRIM_400000_NS6detail17trampoline_kernelINS0_13select_configILj256ELj13ELNS0_17block_load_methodE3ELS4_3ELS4_3ELNS0_20block_scan_algorithmE0ELj4294967295EEENS1_25partition_config_selectorILNS1_17partition_subalgoE3EjNS0_10empty_typeEbEEZZNS1_14partition_implILS8_3ELb0ES6_jNS0_17counting_iteratorIjlEEPS9_SE_NS0_5tupleIJPjSE_EEENSF_IJSE_SE_EEES9_SG_JZNS1_25segmented_radix_sort_implINS0_14default_configELb1EPKiPiPKlPlN2at6native12_GLOBAL__N_18offset_tEEE10hipError_tPvRmT1_PNSt15iterator_traitsISY_E10value_typeET2_T3_PNSZ_IS14_E10value_typeET4_jRbjT5_S1A_jjP12ihipStream_tbEUljE_EEESV_SW_SX_S14_S18_S1A_T6_T7_T9_mT8_S1C_bDpT10_ENKUlT_T0_E_clISt17integral_constantIbLb1EES1O_IbLb0EEEEDaS1K_S1L_EUlS1K_E_NS1_11comp_targetILNS1_3genE4ELNS1_11target_archE910ELNS1_3gpuE8ELNS1_3repE0EEENS1_30default_config_static_selectorELNS0_4arch9wavefront6targetE0EEEvSY_
	.p2align	8
	.type	_ZN7rocprim17ROCPRIM_400000_NS6detail17trampoline_kernelINS0_13select_configILj256ELj13ELNS0_17block_load_methodE3ELS4_3ELS4_3ELNS0_20block_scan_algorithmE0ELj4294967295EEENS1_25partition_config_selectorILNS1_17partition_subalgoE3EjNS0_10empty_typeEbEEZZNS1_14partition_implILS8_3ELb0ES6_jNS0_17counting_iteratorIjlEEPS9_SE_NS0_5tupleIJPjSE_EEENSF_IJSE_SE_EEES9_SG_JZNS1_25segmented_radix_sort_implINS0_14default_configELb1EPKiPiPKlPlN2at6native12_GLOBAL__N_18offset_tEEE10hipError_tPvRmT1_PNSt15iterator_traitsISY_E10value_typeET2_T3_PNSZ_IS14_E10value_typeET4_jRbjT5_S1A_jjP12ihipStream_tbEUljE_EEESV_SW_SX_S14_S18_S1A_T6_T7_T9_mT8_S1C_bDpT10_ENKUlT_T0_E_clISt17integral_constantIbLb1EES1O_IbLb0EEEEDaS1K_S1L_EUlS1K_E_NS1_11comp_targetILNS1_3genE4ELNS1_11target_archE910ELNS1_3gpuE8ELNS1_3repE0EEENS1_30default_config_static_selectorELNS0_4arch9wavefront6targetE0EEEvSY_,@function
_ZN7rocprim17ROCPRIM_400000_NS6detail17trampoline_kernelINS0_13select_configILj256ELj13ELNS0_17block_load_methodE3ELS4_3ELS4_3ELNS0_20block_scan_algorithmE0ELj4294967295EEENS1_25partition_config_selectorILNS1_17partition_subalgoE3EjNS0_10empty_typeEbEEZZNS1_14partition_implILS8_3ELb0ES6_jNS0_17counting_iteratorIjlEEPS9_SE_NS0_5tupleIJPjSE_EEENSF_IJSE_SE_EEES9_SG_JZNS1_25segmented_radix_sort_implINS0_14default_configELb1EPKiPiPKlPlN2at6native12_GLOBAL__N_18offset_tEEE10hipError_tPvRmT1_PNSt15iterator_traitsISY_E10value_typeET2_T3_PNSZ_IS14_E10value_typeET4_jRbjT5_S1A_jjP12ihipStream_tbEUljE_EEESV_SW_SX_S14_S18_S1A_T6_T7_T9_mT8_S1C_bDpT10_ENKUlT_T0_E_clISt17integral_constantIbLb1EES1O_IbLb0EEEEDaS1K_S1L_EUlS1K_E_NS1_11comp_targetILNS1_3genE4ELNS1_11target_archE910ELNS1_3gpuE8ELNS1_3repE0EEENS1_30default_config_static_selectorELNS0_4arch9wavefront6targetE0EEEvSY_: ; @_ZN7rocprim17ROCPRIM_400000_NS6detail17trampoline_kernelINS0_13select_configILj256ELj13ELNS0_17block_load_methodE3ELS4_3ELS4_3ELNS0_20block_scan_algorithmE0ELj4294967295EEENS1_25partition_config_selectorILNS1_17partition_subalgoE3EjNS0_10empty_typeEbEEZZNS1_14partition_implILS8_3ELb0ES6_jNS0_17counting_iteratorIjlEEPS9_SE_NS0_5tupleIJPjSE_EEENSF_IJSE_SE_EEES9_SG_JZNS1_25segmented_radix_sort_implINS0_14default_configELb1EPKiPiPKlPlN2at6native12_GLOBAL__N_18offset_tEEE10hipError_tPvRmT1_PNSt15iterator_traitsISY_E10value_typeET2_T3_PNSZ_IS14_E10value_typeET4_jRbjT5_S1A_jjP12ihipStream_tbEUljE_EEESV_SW_SX_S14_S18_S1A_T6_T7_T9_mT8_S1C_bDpT10_ENKUlT_T0_E_clISt17integral_constantIbLb1EES1O_IbLb0EEEEDaS1K_S1L_EUlS1K_E_NS1_11comp_targetILNS1_3genE4ELNS1_11target_archE910ELNS1_3gpuE8ELNS1_3repE0EEENS1_30default_config_static_selectorELNS0_4arch9wavefront6targetE0EEEvSY_
; %bb.0:
	.section	.rodata,"a",@progbits
	.p2align	6, 0x0
	.amdhsa_kernel _ZN7rocprim17ROCPRIM_400000_NS6detail17trampoline_kernelINS0_13select_configILj256ELj13ELNS0_17block_load_methodE3ELS4_3ELS4_3ELNS0_20block_scan_algorithmE0ELj4294967295EEENS1_25partition_config_selectorILNS1_17partition_subalgoE3EjNS0_10empty_typeEbEEZZNS1_14partition_implILS8_3ELb0ES6_jNS0_17counting_iteratorIjlEEPS9_SE_NS0_5tupleIJPjSE_EEENSF_IJSE_SE_EEES9_SG_JZNS1_25segmented_radix_sort_implINS0_14default_configELb1EPKiPiPKlPlN2at6native12_GLOBAL__N_18offset_tEEE10hipError_tPvRmT1_PNSt15iterator_traitsISY_E10value_typeET2_T3_PNSZ_IS14_E10value_typeET4_jRbjT5_S1A_jjP12ihipStream_tbEUljE_EEESV_SW_SX_S14_S18_S1A_T6_T7_T9_mT8_S1C_bDpT10_ENKUlT_T0_E_clISt17integral_constantIbLb1EES1O_IbLb0EEEEDaS1K_S1L_EUlS1K_E_NS1_11comp_targetILNS1_3genE4ELNS1_11target_archE910ELNS1_3gpuE8ELNS1_3repE0EEENS1_30default_config_static_selectorELNS0_4arch9wavefront6targetE0EEEvSY_
		.amdhsa_group_segment_fixed_size 0
		.amdhsa_private_segment_fixed_size 0
		.amdhsa_kernarg_size 144
		.amdhsa_user_sgpr_count 15
		.amdhsa_user_sgpr_dispatch_ptr 0
		.amdhsa_user_sgpr_queue_ptr 0
		.amdhsa_user_sgpr_kernarg_segment_ptr 1
		.amdhsa_user_sgpr_dispatch_id 0
		.amdhsa_user_sgpr_private_segment_size 0
		.amdhsa_wavefront_size32 1
		.amdhsa_uses_dynamic_stack 0
		.amdhsa_enable_private_segment 0
		.amdhsa_system_sgpr_workgroup_id_x 1
		.amdhsa_system_sgpr_workgroup_id_y 0
		.amdhsa_system_sgpr_workgroup_id_z 0
		.amdhsa_system_sgpr_workgroup_info 0
		.amdhsa_system_vgpr_workitem_id 0
		.amdhsa_next_free_vgpr 1
		.amdhsa_next_free_sgpr 1
		.amdhsa_reserve_vcc 0
		.amdhsa_float_round_mode_32 0
		.amdhsa_float_round_mode_16_64 0
		.amdhsa_float_denorm_mode_32 3
		.amdhsa_float_denorm_mode_16_64 3
		.amdhsa_dx10_clamp 1
		.amdhsa_ieee_mode 1
		.amdhsa_fp16_overflow 0
		.amdhsa_workgroup_processor_mode 1
		.amdhsa_memory_ordered 1
		.amdhsa_forward_progress 0
		.amdhsa_shared_vgpr_count 0
		.amdhsa_exception_fp_ieee_invalid_op 0
		.amdhsa_exception_fp_denorm_src 0
		.amdhsa_exception_fp_ieee_div_zero 0
		.amdhsa_exception_fp_ieee_overflow 0
		.amdhsa_exception_fp_ieee_underflow 0
		.amdhsa_exception_fp_ieee_inexact 0
		.amdhsa_exception_int_div_zero 0
	.end_amdhsa_kernel
	.section	.text._ZN7rocprim17ROCPRIM_400000_NS6detail17trampoline_kernelINS0_13select_configILj256ELj13ELNS0_17block_load_methodE3ELS4_3ELS4_3ELNS0_20block_scan_algorithmE0ELj4294967295EEENS1_25partition_config_selectorILNS1_17partition_subalgoE3EjNS0_10empty_typeEbEEZZNS1_14partition_implILS8_3ELb0ES6_jNS0_17counting_iteratorIjlEEPS9_SE_NS0_5tupleIJPjSE_EEENSF_IJSE_SE_EEES9_SG_JZNS1_25segmented_radix_sort_implINS0_14default_configELb1EPKiPiPKlPlN2at6native12_GLOBAL__N_18offset_tEEE10hipError_tPvRmT1_PNSt15iterator_traitsISY_E10value_typeET2_T3_PNSZ_IS14_E10value_typeET4_jRbjT5_S1A_jjP12ihipStream_tbEUljE_EEESV_SW_SX_S14_S18_S1A_T6_T7_T9_mT8_S1C_bDpT10_ENKUlT_T0_E_clISt17integral_constantIbLb1EES1O_IbLb0EEEEDaS1K_S1L_EUlS1K_E_NS1_11comp_targetILNS1_3genE4ELNS1_11target_archE910ELNS1_3gpuE8ELNS1_3repE0EEENS1_30default_config_static_selectorELNS0_4arch9wavefront6targetE0EEEvSY_,"axG",@progbits,_ZN7rocprim17ROCPRIM_400000_NS6detail17trampoline_kernelINS0_13select_configILj256ELj13ELNS0_17block_load_methodE3ELS4_3ELS4_3ELNS0_20block_scan_algorithmE0ELj4294967295EEENS1_25partition_config_selectorILNS1_17partition_subalgoE3EjNS0_10empty_typeEbEEZZNS1_14partition_implILS8_3ELb0ES6_jNS0_17counting_iteratorIjlEEPS9_SE_NS0_5tupleIJPjSE_EEENSF_IJSE_SE_EEES9_SG_JZNS1_25segmented_radix_sort_implINS0_14default_configELb1EPKiPiPKlPlN2at6native12_GLOBAL__N_18offset_tEEE10hipError_tPvRmT1_PNSt15iterator_traitsISY_E10value_typeET2_T3_PNSZ_IS14_E10value_typeET4_jRbjT5_S1A_jjP12ihipStream_tbEUljE_EEESV_SW_SX_S14_S18_S1A_T6_T7_T9_mT8_S1C_bDpT10_ENKUlT_T0_E_clISt17integral_constantIbLb1EES1O_IbLb0EEEEDaS1K_S1L_EUlS1K_E_NS1_11comp_targetILNS1_3genE4ELNS1_11target_archE910ELNS1_3gpuE8ELNS1_3repE0EEENS1_30default_config_static_selectorELNS0_4arch9wavefront6targetE0EEEvSY_,comdat
.Lfunc_end483:
	.size	_ZN7rocprim17ROCPRIM_400000_NS6detail17trampoline_kernelINS0_13select_configILj256ELj13ELNS0_17block_load_methodE3ELS4_3ELS4_3ELNS0_20block_scan_algorithmE0ELj4294967295EEENS1_25partition_config_selectorILNS1_17partition_subalgoE3EjNS0_10empty_typeEbEEZZNS1_14partition_implILS8_3ELb0ES6_jNS0_17counting_iteratorIjlEEPS9_SE_NS0_5tupleIJPjSE_EEENSF_IJSE_SE_EEES9_SG_JZNS1_25segmented_radix_sort_implINS0_14default_configELb1EPKiPiPKlPlN2at6native12_GLOBAL__N_18offset_tEEE10hipError_tPvRmT1_PNSt15iterator_traitsISY_E10value_typeET2_T3_PNSZ_IS14_E10value_typeET4_jRbjT5_S1A_jjP12ihipStream_tbEUljE_EEESV_SW_SX_S14_S18_S1A_T6_T7_T9_mT8_S1C_bDpT10_ENKUlT_T0_E_clISt17integral_constantIbLb1EES1O_IbLb0EEEEDaS1K_S1L_EUlS1K_E_NS1_11comp_targetILNS1_3genE4ELNS1_11target_archE910ELNS1_3gpuE8ELNS1_3repE0EEENS1_30default_config_static_selectorELNS0_4arch9wavefront6targetE0EEEvSY_, .Lfunc_end483-_ZN7rocprim17ROCPRIM_400000_NS6detail17trampoline_kernelINS0_13select_configILj256ELj13ELNS0_17block_load_methodE3ELS4_3ELS4_3ELNS0_20block_scan_algorithmE0ELj4294967295EEENS1_25partition_config_selectorILNS1_17partition_subalgoE3EjNS0_10empty_typeEbEEZZNS1_14partition_implILS8_3ELb0ES6_jNS0_17counting_iteratorIjlEEPS9_SE_NS0_5tupleIJPjSE_EEENSF_IJSE_SE_EEES9_SG_JZNS1_25segmented_radix_sort_implINS0_14default_configELb1EPKiPiPKlPlN2at6native12_GLOBAL__N_18offset_tEEE10hipError_tPvRmT1_PNSt15iterator_traitsISY_E10value_typeET2_T3_PNSZ_IS14_E10value_typeET4_jRbjT5_S1A_jjP12ihipStream_tbEUljE_EEESV_SW_SX_S14_S18_S1A_T6_T7_T9_mT8_S1C_bDpT10_ENKUlT_T0_E_clISt17integral_constantIbLb1EES1O_IbLb0EEEEDaS1K_S1L_EUlS1K_E_NS1_11comp_targetILNS1_3genE4ELNS1_11target_archE910ELNS1_3gpuE8ELNS1_3repE0EEENS1_30default_config_static_selectorELNS0_4arch9wavefront6targetE0EEEvSY_
                                        ; -- End function
	.section	.AMDGPU.csdata,"",@progbits
; Kernel info:
; codeLenInByte = 0
; NumSgprs: 0
; NumVgprs: 0
; ScratchSize: 0
; MemoryBound: 0
; FloatMode: 240
; IeeeMode: 1
; LDSByteSize: 0 bytes/workgroup (compile time only)
; SGPRBlocks: 0
; VGPRBlocks: 0
; NumSGPRsForWavesPerEU: 1
; NumVGPRsForWavesPerEU: 1
; Occupancy: 16
; WaveLimiterHint : 0
; COMPUTE_PGM_RSRC2:SCRATCH_EN: 0
; COMPUTE_PGM_RSRC2:USER_SGPR: 15
; COMPUTE_PGM_RSRC2:TRAP_HANDLER: 0
; COMPUTE_PGM_RSRC2:TGID_X_EN: 1
; COMPUTE_PGM_RSRC2:TGID_Y_EN: 0
; COMPUTE_PGM_RSRC2:TGID_Z_EN: 0
; COMPUTE_PGM_RSRC2:TIDIG_COMP_CNT: 0
	.section	.text._ZN7rocprim17ROCPRIM_400000_NS6detail17trampoline_kernelINS0_13select_configILj256ELj13ELNS0_17block_load_methodE3ELS4_3ELS4_3ELNS0_20block_scan_algorithmE0ELj4294967295EEENS1_25partition_config_selectorILNS1_17partition_subalgoE3EjNS0_10empty_typeEbEEZZNS1_14partition_implILS8_3ELb0ES6_jNS0_17counting_iteratorIjlEEPS9_SE_NS0_5tupleIJPjSE_EEENSF_IJSE_SE_EEES9_SG_JZNS1_25segmented_radix_sort_implINS0_14default_configELb1EPKiPiPKlPlN2at6native12_GLOBAL__N_18offset_tEEE10hipError_tPvRmT1_PNSt15iterator_traitsISY_E10value_typeET2_T3_PNSZ_IS14_E10value_typeET4_jRbjT5_S1A_jjP12ihipStream_tbEUljE_EEESV_SW_SX_S14_S18_S1A_T6_T7_T9_mT8_S1C_bDpT10_ENKUlT_T0_E_clISt17integral_constantIbLb1EES1O_IbLb0EEEEDaS1K_S1L_EUlS1K_E_NS1_11comp_targetILNS1_3genE3ELNS1_11target_archE908ELNS1_3gpuE7ELNS1_3repE0EEENS1_30default_config_static_selectorELNS0_4arch9wavefront6targetE0EEEvSY_,"axG",@progbits,_ZN7rocprim17ROCPRIM_400000_NS6detail17trampoline_kernelINS0_13select_configILj256ELj13ELNS0_17block_load_methodE3ELS4_3ELS4_3ELNS0_20block_scan_algorithmE0ELj4294967295EEENS1_25partition_config_selectorILNS1_17partition_subalgoE3EjNS0_10empty_typeEbEEZZNS1_14partition_implILS8_3ELb0ES6_jNS0_17counting_iteratorIjlEEPS9_SE_NS0_5tupleIJPjSE_EEENSF_IJSE_SE_EEES9_SG_JZNS1_25segmented_radix_sort_implINS0_14default_configELb1EPKiPiPKlPlN2at6native12_GLOBAL__N_18offset_tEEE10hipError_tPvRmT1_PNSt15iterator_traitsISY_E10value_typeET2_T3_PNSZ_IS14_E10value_typeET4_jRbjT5_S1A_jjP12ihipStream_tbEUljE_EEESV_SW_SX_S14_S18_S1A_T6_T7_T9_mT8_S1C_bDpT10_ENKUlT_T0_E_clISt17integral_constantIbLb1EES1O_IbLb0EEEEDaS1K_S1L_EUlS1K_E_NS1_11comp_targetILNS1_3genE3ELNS1_11target_archE908ELNS1_3gpuE7ELNS1_3repE0EEENS1_30default_config_static_selectorELNS0_4arch9wavefront6targetE0EEEvSY_,comdat
	.globl	_ZN7rocprim17ROCPRIM_400000_NS6detail17trampoline_kernelINS0_13select_configILj256ELj13ELNS0_17block_load_methodE3ELS4_3ELS4_3ELNS0_20block_scan_algorithmE0ELj4294967295EEENS1_25partition_config_selectorILNS1_17partition_subalgoE3EjNS0_10empty_typeEbEEZZNS1_14partition_implILS8_3ELb0ES6_jNS0_17counting_iteratorIjlEEPS9_SE_NS0_5tupleIJPjSE_EEENSF_IJSE_SE_EEES9_SG_JZNS1_25segmented_radix_sort_implINS0_14default_configELb1EPKiPiPKlPlN2at6native12_GLOBAL__N_18offset_tEEE10hipError_tPvRmT1_PNSt15iterator_traitsISY_E10value_typeET2_T3_PNSZ_IS14_E10value_typeET4_jRbjT5_S1A_jjP12ihipStream_tbEUljE_EEESV_SW_SX_S14_S18_S1A_T6_T7_T9_mT8_S1C_bDpT10_ENKUlT_T0_E_clISt17integral_constantIbLb1EES1O_IbLb0EEEEDaS1K_S1L_EUlS1K_E_NS1_11comp_targetILNS1_3genE3ELNS1_11target_archE908ELNS1_3gpuE7ELNS1_3repE0EEENS1_30default_config_static_selectorELNS0_4arch9wavefront6targetE0EEEvSY_ ; -- Begin function _ZN7rocprim17ROCPRIM_400000_NS6detail17trampoline_kernelINS0_13select_configILj256ELj13ELNS0_17block_load_methodE3ELS4_3ELS4_3ELNS0_20block_scan_algorithmE0ELj4294967295EEENS1_25partition_config_selectorILNS1_17partition_subalgoE3EjNS0_10empty_typeEbEEZZNS1_14partition_implILS8_3ELb0ES6_jNS0_17counting_iteratorIjlEEPS9_SE_NS0_5tupleIJPjSE_EEENSF_IJSE_SE_EEES9_SG_JZNS1_25segmented_radix_sort_implINS0_14default_configELb1EPKiPiPKlPlN2at6native12_GLOBAL__N_18offset_tEEE10hipError_tPvRmT1_PNSt15iterator_traitsISY_E10value_typeET2_T3_PNSZ_IS14_E10value_typeET4_jRbjT5_S1A_jjP12ihipStream_tbEUljE_EEESV_SW_SX_S14_S18_S1A_T6_T7_T9_mT8_S1C_bDpT10_ENKUlT_T0_E_clISt17integral_constantIbLb1EES1O_IbLb0EEEEDaS1K_S1L_EUlS1K_E_NS1_11comp_targetILNS1_3genE3ELNS1_11target_archE908ELNS1_3gpuE7ELNS1_3repE0EEENS1_30default_config_static_selectorELNS0_4arch9wavefront6targetE0EEEvSY_
	.p2align	8
	.type	_ZN7rocprim17ROCPRIM_400000_NS6detail17trampoline_kernelINS0_13select_configILj256ELj13ELNS0_17block_load_methodE3ELS4_3ELS4_3ELNS0_20block_scan_algorithmE0ELj4294967295EEENS1_25partition_config_selectorILNS1_17partition_subalgoE3EjNS0_10empty_typeEbEEZZNS1_14partition_implILS8_3ELb0ES6_jNS0_17counting_iteratorIjlEEPS9_SE_NS0_5tupleIJPjSE_EEENSF_IJSE_SE_EEES9_SG_JZNS1_25segmented_radix_sort_implINS0_14default_configELb1EPKiPiPKlPlN2at6native12_GLOBAL__N_18offset_tEEE10hipError_tPvRmT1_PNSt15iterator_traitsISY_E10value_typeET2_T3_PNSZ_IS14_E10value_typeET4_jRbjT5_S1A_jjP12ihipStream_tbEUljE_EEESV_SW_SX_S14_S18_S1A_T6_T7_T9_mT8_S1C_bDpT10_ENKUlT_T0_E_clISt17integral_constantIbLb1EES1O_IbLb0EEEEDaS1K_S1L_EUlS1K_E_NS1_11comp_targetILNS1_3genE3ELNS1_11target_archE908ELNS1_3gpuE7ELNS1_3repE0EEENS1_30default_config_static_selectorELNS0_4arch9wavefront6targetE0EEEvSY_,@function
_ZN7rocprim17ROCPRIM_400000_NS6detail17trampoline_kernelINS0_13select_configILj256ELj13ELNS0_17block_load_methodE3ELS4_3ELS4_3ELNS0_20block_scan_algorithmE0ELj4294967295EEENS1_25partition_config_selectorILNS1_17partition_subalgoE3EjNS0_10empty_typeEbEEZZNS1_14partition_implILS8_3ELb0ES6_jNS0_17counting_iteratorIjlEEPS9_SE_NS0_5tupleIJPjSE_EEENSF_IJSE_SE_EEES9_SG_JZNS1_25segmented_radix_sort_implINS0_14default_configELb1EPKiPiPKlPlN2at6native12_GLOBAL__N_18offset_tEEE10hipError_tPvRmT1_PNSt15iterator_traitsISY_E10value_typeET2_T3_PNSZ_IS14_E10value_typeET4_jRbjT5_S1A_jjP12ihipStream_tbEUljE_EEESV_SW_SX_S14_S18_S1A_T6_T7_T9_mT8_S1C_bDpT10_ENKUlT_T0_E_clISt17integral_constantIbLb1EES1O_IbLb0EEEEDaS1K_S1L_EUlS1K_E_NS1_11comp_targetILNS1_3genE3ELNS1_11target_archE908ELNS1_3gpuE7ELNS1_3repE0EEENS1_30default_config_static_selectorELNS0_4arch9wavefront6targetE0EEEvSY_: ; @_ZN7rocprim17ROCPRIM_400000_NS6detail17trampoline_kernelINS0_13select_configILj256ELj13ELNS0_17block_load_methodE3ELS4_3ELS4_3ELNS0_20block_scan_algorithmE0ELj4294967295EEENS1_25partition_config_selectorILNS1_17partition_subalgoE3EjNS0_10empty_typeEbEEZZNS1_14partition_implILS8_3ELb0ES6_jNS0_17counting_iteratorIjlEEPS9_SE_NS0_5tupleIJPjSE_EEENSF_IJSE_SE_EEES9_SG_JZNS1_25segmented_radix_sort_implINS0_14default_configELb1EPKiPiPKlPlN2at6native12_GLOBAL__N_18offset_tEEE10hipError_tPvRmT1_PNSt15iterator_traitsISY_E10value_typeET2_T3_PNSZ_IS14_E10value_typeET4_jRbjT5_S1A_jjP12ihipStream_tbEUljE_EEESV_SW_SX_S14_S18_S1A_T6_T7_T9_mT8_S1C_bDpT10_ENKUlT_T0_E_clISt17integral_constantIbLb1EES1O_IbLb0EEEEDaS1K_S1L_EUlS1K_E_NS1_11comp_targetILNS1_3genE3ELNS1_11target_archE908ELNS1_3gpuE7ELNS1_3repE0EEENS1_30default_config_static_selectorELNS0_4arch9wavefront6targetE0EEEvSY_
; %bb.0:
	.section	.rodata,"a",@progbits
	.p2align	6, 0x0
	.amdhsa_kernel _ZN7rocprim17ROCPRIM_400000_NS6detail17trampoline_kernelINS0_13select_configILj256ELj13ELNS0_17block_load_methodE3ELS4_3ELS4_3ELNS0_20block_scan_algorithmE0ELj4294967295EEENS1_25partition_config_selectorILNS1_17partition_subalgoE3EjNS0_10empty_typeEbEEZZNS1_14partition_implILS8_3ELb0ES6_jNS0_17counting_iteratorIjlEEPS9_SE_NS0_5tupleIJPjSE_EEENSF_IJSE_SE_EEES9_SG_JZNS1_25segmented_radix_sort_implINS0_14default_configELb1EPKiPiPKlPlN2at6native12_GLOBAL__N_18offset_tEEE10hipError_tPvRmT1_PNSt15iterator_traitsISY_E10value_typeET2_T3_PNSZ_IS14_E10value_typeET4_jRbjT5_S1A_jjP12ihipStream_tbEUljE_EEESV_SW_SX_S14_S18_S1A_T6_T7_T9_mT8_S1C_bDpT10_ENKUlT_T0_E_clISt17integral_constantIbLb1EES1O_IbLb0EEEEDaS1K_S1L_EUlS1K_E_NS1_11comp_targetILNS1_3genE3ELNS1_11target_archE908ELNS1_3gpuE7ELNS1_3repE0EEENS1_30default_config_static_selectorELNS0_4arch9wavefront6targetE0EEEvSY_
		.amdhsa_group_segment_fixed_size 0
		.amdhsa_private_segment_fixed_size 0
		.amdhsa_kernarg_size 144
		.amdhsa_user_sgpr_count 15
		.amdhsa_user_sgpr_dispatch_ptr 0
		.amdhsa_user_sgpr_queue_ptr 0
		.amdhsa_user_sgpr_kernarg_segment_ptr 1
		.amdhsa_user_sgpr_dispatch_id 0
		.amdhsa_user_sgpr_private_segment_size 0
		.amdhsa_wavefront_size32 1
		.amdhsa_uses_dynamic_stack 0
		.amdhsa_enable_private_segment 0
		.amdhsa_system_sgpr_workgroup_id_x 1
		.amdhsa_system_sgpr_workgroup_id_y 0
		.amdhsa_system_sgpr_workgroup_id_z 0
		.amdhsa_system_sgpr_workgroup_info 0
		.amdhsa_system_vgpr_workitem_id 0
		.amdhsa_next_free_vgpr 1
		.amdhsa_next_free_sgpr 1
		.amdhsa_reserve_vcc 0
		.amdhsa_float_round_mode_32 0
		.amdhsa_float_round_mode_16_64 0
		.amdhsa_float_denorm_mode_32 3
		.amdhsa_float_denorm_mode_16_64 3
		.amdhsa_dx10_clamp 1
		.amdhsa_ieee_mode 1
		.amdhsa_fp16_overflow 0
		.amdhsa_workgroup_processor_mode 1
		.amdhsa_memory_ordered 1
		.amdhsa_forward_progress 0
		.amdhsa_shared_vgpr_count 0
		.amdhsa_exception_fp_ieee_invalid_op 0
		.amdhsa_exception_fp_denorm_src 0
		.amdhsa_exception_fp_ieee_div_zero 0
		.amdhsa_exception_fp_ieee_overflow 0
		.amdhsa_exception_fp_ieee_underflow 0
		.amdhsa_exception_fp_ieee_inexact 0
		.amdhsa_exception_int_div_zero 0
	.end_amdhsa_kernel
	.section	.text._ZN7rocprim17ROCPRIM_400000_NS6detail17trampoline_kernelINS0_13select_configILj256ELj13ELNS0_17block_load_methodE3ELS4_3ELS4_3ELNS0_20block_scan_algorithmE0ELj4294967295EEENS1_25partition_config_selectorILNS1_17partition_subalgoE3EjNS0_10empty_typeEbEEZZNS1_14partition_implILS8_3ELb0ES6_jNS0_17counting_iteratorIjlEEPS9_SE_NS0_5tupleIJPjSE_EEENSF_IJSE_SE_EEES9_SG_JZNS1_25segmented_radix_sort_implINS0_14default_configELb1EPKiPiPKlPlN2at6native12_GLOBAL__N_18offset_tEEE10hipError_tPvRmT1_PNSt15iterator_traitsISY_E10value_typeET2_T3_PNSZ_IS14_E10value_typeET4_jRbjT5_S1A_jjP12ihipStream_tbEUljE_EEESV_SW_SX_S14_S18_S1A_T6_T7_T9_mT8_S1C_bDpT10_ENKUlT_T0_E_clISt17integral_constantIbLb1EES1O_IbLb0EEEEDaS1K_S1L_EUlS1K_E_NS1_11comp_targetILNS1_3genE3ELNS1_11target_archE908ELNS1_3gpuE7ELNS1_3repE0EEENS1_30default_config_static_selectorELNS0_4arch9wavefront6targetE0EEEvSY_,"axG",@progbits,_ZN7rocprim17ROCPRIM_400000_NS6detail17trampoline_kernelINS0_13select_configILj256ELj13ELNS0_17block_load_methodE3ELS4_3ELS4_3ELNS0_20block_scan_algorithmE0ELj4294967295EEENS1_25partition_config_selectorILNS1_17partition_subalgoE3EjNS0_10empty_typeEbEEZZNS1_14partition_implILS8_3ELb0ES6_jNS0_17counting_iteratorIjlEEPS9_SE_NS0_5tupleIJPjSE_EEENSF_IJSE_SE_EEES9_SG_JZNS1_25segmented_radix_sort_implINS0_14default_configELb1EPKiPiPKlPlN2at6native12_GLOBAL__N_18offset_tEEE10hipError_tPvRmT1_PNSt15iterator_traitsISY_E10value_typeET2_T3_PNSZ_IS14_E10value_typeET4_jRbjT5_S1A_jjP12ihipStream_tbEUljE_EEESV_SW_SX_S14_S18_S1A_T6_T7_T9_mT8_S1C_bDpT10_ENKUlT_T0_E_clISt17integral_constantIbLb1EES1O_IbLb0EEEEDaS1K_S1L_EUlS1K_E_NS1_11comp_targetILNS1_3genE3ELNS1_11target_archE908ELNS1_3gpuE7ELNS1_3repE0EEENS1_30default_config_static_selectorELNS0_4arch9wavefront6targetE0EEEvSY_,comdat
.Lfunc_end484:
	.size	_ZN7rocprim17ROCPRIM_400000_NS6detail17trampoline_kernelINS0_13select_configILj256ELj13ELNS0_17block_load_methodE3ELS4_3ELS4_3ELNS0_20block_scan_algorithmE0ELj4294967295EEENS1_25partition_config_selectorILNS1_17partition_subalgoE3EjNS0_10empty_typeEbEEZZNS1_14partition_implILS8_3ELb0ES6_jNS0_17counting_iteratorIjlEEPS9_SE_NS0_5tupleIJPjSE_EEENSF_IJSE_SE_EEES9_SG_JZNS1_25segmented_radix_sort_implINS0_14default_configELb1EPKiPiPKlPlN2at6native12_GLOBAL__N_18offset_tEEE10hipError_tPvRmT1_PNSt15iterator_traitsISY_E10value_typeET2_T3_PNSZ_IS14_E10value_typeET4_jRbjT5_S1A_jjP12ihipStream_tbEUljE_EEESV_SW_SX_S14_S18_S1A_T6_T7_T9_mT8_S1C_bDpT10_ENKUlT_T0_E_clISt17integral_constantIbLb1EES1O_IbLb0EEEEDaS1K_S1L_EUlS1K_E_NS1_11comp_targetILNS1_3genE3ELNS1_11target_archE908ELNS1_3gpuE7ELNS1_3repE0EEENS1_30default_config_static_selectorELNS0_4arch9wavefront6targetE0EEEvSY_, .Lfunc_end484-_ZN7rocprim17ROCPRIM_400000_NS6detail17trampoline_kernelINS0_13select_configILj256ELj13ELNS0_17block_load_methodE3ELS4_3ELS4_3ELNS0_20block_scan_algorithmE0ELj4294967295EEENS1_25partition_config_selectorILNS1_17partition_subalgoE3EjNS0_10empty_typeEbEEZZNS1_14partition_implILS8_3ELb0ES6_jNS0_17counting_iteratorIjlEEPS9_SE_NS0_5tupleIJPjSE_EEENSF_IJSE_SE_EEES9_SG_JZNS1_25segmented_radix_sort_implINS0_14default_configELb1EPKiPiPKlPlN2at6native12_GLOBAL__N_18offset_tEEE10hipError_tPvRmT1_PNSt15iterator_traitsISY_E10value_typeET2_T3_PNSZ_IS14_E10value_typeET4_jRbjT5_S1A_jjP12ihipStream_tbEUljE_EEESV_SW_SX_S14_S18_S1A_T6_T7_T9_mT8_S1C_bDpT10_ENKUlT_T0_E_clISt17integral_constantIbLb1EES1O_IbLb0EEEEDaS1K_S1L_EUlS1K_E_NS1_11comp_targetILNS1_3genE3ELNS1_11target_archE908ELNS1_3gpuE7ELNS1_3repE0EEENS1_30default_config_static_selectorELNS0_4arch9wavefront6targetE0EEEvSY_
                                        ; -- End function
	.section	.AMDGPU.csdata,"",@progbits
; Kernel info:
; codeLenInByte = 0
; NumSgprs: 0
; NumVgprs: 0
; ScratchSize: 0
; MemoryBound: 0
; FloatMode: 240
; IeeeMode: 1
; LDSByteSize: 0 bytes/workgroup (compile time only)
; SGPRBlocks: 0
; VGPRBlocks: 0
; NumSGPRsForWavesPerEU: 1
; NumVGPRsForWavesPerEU: 1
; Occupancy: 16
; WaveLimiterHint : 0
; COMPUTE_PGM_RSRC2:SCRATCH_EN: 0
; COMPUTE_PGM_RSRC2:USER_SGPR: 15
; COMPUTE_PGM_RSRC2:TRAP_HANDLER: 0
; COMPUTE_PGM_RSRC2:TGID_X_EN: 1
; COMPUTE_PGM_RSRC2:TGID_Y_EN: 0
; COMPUTE_PGM_RSRC2:TGID_Z_EN: 0
; COMPUTE_PGM_RSRC2:TIDIG_COMP_CNT: 0
	.section	.text._ZN7rocprim17ROCPRIM_400000_NS6detail17trampoline_kernelINS0_13select_configILj256ELj13ELNS0_17block_load_methodE3ELS4_3ELS4_3ELNS0_20block_scan_algorithmE0ELj4294967295EEENS1_25partition_config_selectorILNS1_17partition_subalgoE3EjNS0_10empty_typeEbEEZZNS1_14partition_implILS8_3ELb0ES6_jNS0_17counting_iteratorIjlEEPS9_SE_NS0_5tupleIJPjSE_EEENSF_IJSE_SE_EEES9_SG_JZNS1_25segmented_radix_sort_implINS0_14default_configELb1EPKiPiPKlPlN2at6native12_GLOBAL__N_18offset_tEEE10hipError_tPvRmT1_PNSt15iterator_traitsISY_E10value_typeET2_T3_PNSZ_IS14_E10value_typeET4_jRbjT5_S1A_jjP12ihipStream_tbEUljE_EEESV_SW_SX_S14_S18_S1A_T6_T7_T9_mT8_S1C_bDpT10_ENKUlT_T0_E_clISt17integral_constantIbLb1EES1O_IbLb0EEEEDaS1K_S1L_EUlS1K_E_NS1_11comp_targetILNS1_3genE2ELNS1_11target_archE906ELNS1_3gpuE6ELNS1_3repE0EEENS1_30default_config_static_selectorELNS0_4arch9wavefront6targetE0EEEvSY_,"axG",@progbits,_ZN7rocprim17ROCPRIM_400000_NS6detail17trampoline_kernelINS0_13select_configILj256ELj13ELNS0_17block_load_methodE3ELS4_3ELS4_3ELNS0_20block_scan_algorithmE0ELj4294967295EEENS1_25partition_config_selectorILNS1_17partition_subalgoE3EjNS0_10empty_typeEbEEZZNS1_14partition_implILS8_3ELb0ES6_jNS0_17counting_iteratorIjlEEPS9_SE_NS0_5tupleIJPjSE_EEENSF_IJSE_SE_EEES9_SG_JZNS1_25segmented_radix_sort_implINS0_14default_configELb1EPKiPiPKlPlN2at6native12_GLOBAL__N_18offset_tEEE10hipError_tPvRmT1_PNSt15iterator_traitsISY_E10value_typeET2_T3_PNSZ_IS14_E10value_typeET4_jRbjT5_S1A_jjP12ihipStream_tbEUljE_EEESV_SW_SX_S14_S18_S1A_T6_T7_T9_mT8_S1C_bDpT10_ENKUlT_T0_E_clISt17integral_constantIbLb1EES1O_IbLb0EEEEDaS1K_S1L_EUlS1K_E_NS1_11comp_targetILNS1_3genE2ELNS1_11target_archE906ELNS1_3gpuE6ELNS1_3repE0EEENS1_30default_config_static_selectorELNS0_4arch9wavefront6targetE0EEEvSY_,comdat
	.globl	_ZN7rocprim17ROCPRIM_400000_NS6detail17trampoline_kernelINS0_13select_configILj256ELj13ELNS0_17block_load_methodE3ELS4_3ELS4_3ELNS0_20block_scan_algorithmE0ELj4294967295EEENS1_25partition_config_selectorILNS1_17partition_subalgoE3EjNS0_10empty_typeEbEEZZNS1_14partition_implILS8_3ELb0ES6_jNS0_17counting_iteratorIjlEEPS9_SE_NS0_5tupleIJPjSE_EEENSF_IJSE_SE_EEES9_SG_JZNS1_25segmented_radix_sort_implINS0_14default_configELb1EPKiPiPKlPlN2at6native12_GLOBAL__N_18offset_tEEE10hipError_tPvRmT1_PNSt15iterator_traitsISY_E10value_typeET2_T3_PNSZ_IS14_E10value_typeET4_jRbjT5_S1A_jjP12ihipStream_tbEUljE_EEESV_SW_SX_S14_S18_S1A_T6_T7_T9_mT8_S1C_bDpT10_ENKUlT_T0_E_clISt17integral_constantIbLb1EES1O_IbLb0EEEEDaS1K_S1L_EUlS1K_E_NS1_11comp_targetILNS1_3genE2ELNS1_11target_archE906ELNS1_3gpuE6ELNS1_3repE0EEENS1_30default_config_static_selectorELNS0_4arch9wavefront6targetE0EEEvSY_ ; -- Begin function _ZN7rocprim17ROCPRIM_400000_NS6detail17trampoline_kernelINS0_13select_configILj256ELj13ELNS0_17block_load_methodE3ELS4_3ELS4_3ELNS0_20block_scan_algorithmE0ELj4294967295EEENS1_25partition_config_selectorILNS1_17partition_subalgoE3EjNS0_10empty_typeEbEEZZNS1_14partition_implILS8_3ELb0ES6_jNS0_17counting_iteratorIjlEEPS9_SE_NS0_5tupleIJPjSE_EEENSF_IJSE_SE_EEES9_SG_JZNS1_25segmented_radix_sort_implINS0_14default_configELb1EPKiPiPKlPlN2at6native12_GLOBAL__N_18offset_tEEE10hipError_tPvRmT1_PNSt15iterator_traitsISY_E10value_typeET2_T3_PNSZ_IS14_E10value_typeET4_jRbjT5_S1A_jjP12ihipStream_tbEUljE_EEESV_SW_SX_S14_S18_S1A_T6_T7_T9_mT8_S1C_bDpT10_ENKUlT_T0_E_clISt17integral_constantIbLb1EES1O_IbLb0EEEEDaS1K_S1L_EUlS1K_E_NS1_11comp_targetILNS1_3genE2ELNS1_11target_archE906ELNS1_3gpuE6ELNS1_3repE0EEENS1_30default_config_static_selectorELNS0_4arch9wavefront6targetE0EEEvSY_
	.p2align	8
	.type	_ZN7rocprim17ROCPRIM_400000_NS6detail17trampoline_kernelINS0_13select_configILj256ELj13ELNS0_17block_load_methodE3ELS4_3ELS4_3ELNS0_20block_scan_algorithmE0ELj4294967295EEENS1_25partition_config_selectorILNS1_17partition_subalgoE3EjNS0_10empty_typeEbEEZZNS1_14partition_implILS8_3ELb0ES6_jNS0_17counting_iteratorIjlEEPS9_SE_NS0_5tupleIJPjSE_EEENSF_IJSE_SE_EEES9_SG_JZNS1_25segmented_radix_sort_implINS0_14default_configELb1EPKiPiPKlPlN2at6native12_GLOBAL__N_18offset_tEEE10hipError_tPvRmT1_PNSt15iterator_traitsISY_E10value_typeET2_T3_PNSZ_IS14_E10value_typeET4_jRbjT5_S1A_jjP12ihipStream_tbEUljE_EEESV_SW_SX_S14_S18_S1A_T6_T7_T9_mT8_S1C_bDpT10_ENKUlT_T0_E_clISt17integral_constantIbLb1EES1O_IbLb0EEEEDaS1K_S1L_EUlS1K_E_NS1_11comp_targetILNS1_3genE2ELNS1_11target_archE906ELNS1_3gpuE6ELNS1_3repE0EEENS1_30default_config_static_selectorELNS0_4arch9wavefront6targetE0EEEvSY_,@function
_ZN7rocprim17ROCPRIM_400000_NS6detail17trampoline_kernelINS0_13select_configILj256ELj13ELNS0_17block_load_methodE3ELS4_3ELS4_3ELNS0_20block_scan_algorithmE0ELj4294967295EEENS1_25partition_config_selectorILNS1_17partition_subalgoE3EjNS0_10empty_typeEbEEZZNS1_14partition_implILS8_3ELb0ES6_jNS0_17counting_iteratorIjlEEPS9_SE_NS0_5tupleIJPjSE_EEENSF_IJSE_SE_EEES9_SG_JZNS1_25segmented_radix_sort_implINS0_14default_configELb1EPKiPiPKlPlN2at6native12_GLOBAL__N_18offset_tEEE10hipError_tPvRmT1_PNSt15iterator_traitsISY_E10value_typeET2_T3_PNSZ_IS14_E10value_typeET4_jRbjT5_S1A_jjP12ihipStream_tbEUljE_EEESV_SW_SX_S14_S18_S1A_T6_T7_T9_mT8_S1C_bDpT10_ENKUlT_T0_E_clISt17integral_constantIbLb1EES1O_IbLb0EEEEDaS1K_S1L_EUlS1K_E_NS1_11comp_targetILNS1_3genE2ELNS1_11target_archE906ELNS1_3gpuE6ELNS1_3repE0EEENS1_30default_config_static_selectorELNS0_4arch9wavefront6targetE0EEEvSY_: ; @_ZN7rocprim17ROCPRIM_400000_NS6detail17trampoline_kernelINS0_13select_configILj256ELj13ELNS0_17block_load_methodE3ELS4_3ELS4_3ELNS0_20block_scan_algorithmE0ELj4294967295EEENS1_25partition_config_selectorILNS1_17partition_subalgoE3EjNS0_10empty_typeEbEEZZNS1_14partition_implILS8_3ELb0ES6_jNS0_17counting_iteratorIjlEEPS9_SE_NS0_5tupleIJPjSE_EEENSF_IJSE_SE_EEES9_SG_JZNS1_25segmented_radix_sort_implINS0_14default_configELb1EPKiPiPKlPlN2at6native12_GLOBAL__N_18offset_tEEE10hipError_tPvRmT1_PNSt15iterator_traitsISY_E10value_typeET2_T3_PNSZ_IS14_E10value_typeET4_jRbjT5_S1A_jjP12ihipStream_tbEUljE_EEESV_SW_SX_S14_S18_S1A_T6_T7_T9_mT8_S1C_bDpT10_ENKUlT_T0_E_clISt17integral_constantIbLb1EES1O_IbLb0EEEEDaS1K_S1L_EUlS1K_E_NS1_11comp_targetILNS1_3genE2ELNS1_11target_archE906ELNS1_3gpuE6ELNS1_3repE0EEENS1_30default_config_static_selectorELNS0_4arch9wavefront6targetE0EEEvSY_
; %bb.0:
	.section	.rodata,"a",@progbits
	.p2align	6, 0x0
	.amdhsa_kernel _ZN7rocprim17ROCPRIM_400000_NS6detail17trampoline_kernelINS0_13select_configILj256ELj13ELNS0_17block_load_methodE3ELS4_3ELS4_3ELNS0_20block_scan_algorithmE0ELj4294967295EEENS1_25partition_config_selectorILNS1_17partition_subalgoE3EjNS0_10empty_typeEbEEZZNS1_14partition_implILS8_3ELb0ES6_jNS0_17counting_iteratorIjlEEPS9_SE_NS0_5tupleIJPjSE_EEENSF_IJSE_SE_EEES9_SG_JZNS1_25segmented_radix_sort_implINS0_14default_configELb1EPKiPiPKlPlN2at6native12_GLOBAL__N_18offset_tEEE10hipError_tPvRmT1_PNSt15iterator_traitsISY_E10value_typeET2_T3_PNSZ_IS14_E10value_typeET4_jRbjT5_S1A_jjP12ihipStream_tbEUljE_EEESV_SW_SX_S14_S18_S1A_T6_T7_T9_mT8_S1C_bDpT10_ENKUlT_T0_E_clISt17integral_constantIbLb1EES1O_IbLb0EEEEDaS1K_S1L_EUlS1K_E_NS1_11comp_targetILNS1_3genE2ELNS1_11target_archE906ELNS1_3gpuE6ELNS1_3repE0EEENS1_30default_config_static_selectorELNS0_4arch9wavefront6targetE0EEEvSY_
		.amdhsa_group_segment_fixed_size 0
		.amdhsa_private_segment_fixed_size 0
		.amdhsa_kernarg_size 144
		.amdhsa_user_sgpr_count 15
		.amdhsa_user_sgpr_dispatch_ptr 0
		.amdhsa_user_sgpr_queue_ptr 0
		.amdhsa_user_sgpr_kernarg_segment_ptr 1
		.amdhsa_user_sgpr_dispatch_id 0
		.amdhsa_user_sgpr_private_segment_size 0
		.amdhsa_wavefront_size32 1
		.amdhsa_uses_dynamic_stack 0
		.amdhsa_enable_private_segment 0
		.amdhsa_system_sgpr_workgroup_id_x 1
		.amdhsa_system_sgpr_workgroup_id_y 0
		.amdhsa_system_sgpr_workgroup_id_z 0
		.amdhsa_system_sgpr_workgroup_info 0
		.amdhsa_system_vgpr_workitem_id 0
		.amdhsa_next_free_vgpr 1
		.amdhsa_next_free_sgpr 1
		.amdhsa_reserve_vcc 0
		.amdhsa_float_round_mode_32 0
		.amdhsa_float_round_mode_16_64 0
		.amdhsa_float_denorm_mode_32 3
		.amdhsa_float_denorm_mode_16_64 3
		.amdhsa_dx10_clamp 1
		.amdhsa_ieee_mode 1
		.amdhsa_fp16_overflow 0
		.amdhsa_workgroup_processor_mode 1
		.amdhsa_memory_ordered 1
		.amdhsa_forward_progress 0
		.amdhsa_shared_vgpr_count 0
		.amdhsa_exception_fp_ieee_invalid_op 0
		.amdhsa_exception_fp_denorm_src 0
		.amdhsa_exception_fp_ieee_div_zero 0
		.amdhsa_exception_fp_ieee_overflow 0
		.amdhsa_exception_fp_ieee_underflow 0
		.amdhsa_exception_fp_ieee_inexact 0
		.amdhsa_exception_int_div_zero 0
	.end_amdhsa_kernel
	.section	.text._ZN7rocprim17ROCPRIM_400000_NS6detail17trampoline_kernelINS0_13select_configILj256ELj13ELNS0_17block_load_methodE3ELS4_3ELS4_3ELNS0_20block_scan_algorithmE0ELj4294967295EEENS1_25partition_config_selectorILNS1_17partition_subalgoE3EjNS0_10empty_typeEbEEZZNS1_14partition_implILS8_3ELb0ES6_jNS0_17counting_iteratorIjlEEPS9_SE_NS0_5tupleIJPjSE_EEENSF_IJSE_SE_EEES9_SG_JZNS1_25segmented_radix_sort_implINS0_14default_configELb1EPKiPiPKlPlN2at6native12_GLOBAL__N_18offset_tEEE10hipError_tPvRmT1_PNSt15iterator_traitsISY_E10value_typeET2_T3_PNSZ_IS14_E10value_typeET4_jRbjT5_S1A_jjP12ihipStream_tbEUljE_EEESV_SW_SX_S14_S18_S1A_T6_T7_T9_mT8_S1C_bDpT10_ENKUlT_T0_E_clISt17integral_constantIbLb1EES1O_IbLb0EEEEDaS1K_S1L_EUlS1K_E_NS1_11comp_targetILNS1_3genE2ELNS1_11target_archE906ELNS1_3gpuE6ELNS1_3repE0EEENS1_30default_config_static_selectorELNS0_4arch9wavefront6targetE0EEEvSY_,"axG",@progbits,_ZN7rocprim17ROCPRIM_400000_NS6detail17trampoline_kernelINS0_13select_configILj256ELj13ELNS0_17block_load_methodE3ELS4_3ELS4_3ELNS0_20block_scan_algorithmE0ELj4294967295EEENS1_25partition_config_selectorILNS1_17partition_subalgoE3EjNS0_10empty_typeEbEEZZNS1_14partition_implILS8_3ELb0ES6_jNS0_17counting_iteratorIjlEEPS9_SE_NS0_5tupleIJPjSE_EEENSF_IJSE_SE_EEES9_SG_JZNS1_25segmented_radix_sort_implINS0_14default_configELb1EPKiPiPKlPlN2at6native12_GLOBAL__N_18offset_tEEE10hipError_tPvRmT1_PNSt15iterator_traitsISY_E10value_typeET2_T3_PNSZ_IS14_E10value_typeET4_jRbjT5_S1A_jjP12ihipStream_tbEUljE_EEESV_SW_SX_S14_S18_S1A_T6_T7_T9_mT8_S1C_bDpT10_ENKUlT_T0_E_clISt17integral_constantIbLb1EES1O_IbLb0EEEEDaS1K_S1L_EUlS1K_E_NS1_11comp_targetILNS1_3genE2ELNS1_11target_archE906ELNS1_3gpuE6ELNS1_3repE0EEENS1_30default_config_static_selectorELNS0_4arch9wavefront6targetE0EEEvSY_,comdat
.Lfunc_end485:
	.size	_ZN7rocprim17ROCPRIM_400000_NS6detail17trampoline_kernelINS0_13select_configILj256ELj13ELNS0_17block_load_methodE3ELS4_3ELS4_3ELNS0_20block_scan_algorithmE0ELj4294967295EEENS1_25partition_config_selectorILNS1_17partition_subalgoE3EjNS0_10empty_typeEbEEZZNS1_14partition_implILS8_3ELb0ES6_jNS0_17counting_iteratorIjlEEPS9_SE_NS0_5tupleIJPjSE_EEENSF_IJSE_SE_EEES9_SG_JZNS1_25segmented_radix_sort_implINS0_14default_configELb1EPKiPiPKlPlN2at6native12_GLOBAL__N_18offset_tEEE10hipError_tPvRmT1_PNSt15iterator_traitsISY_E10value_typeET2_T3_PNSZ_IS14_E10value_typeET4_jRbjT5_S1A_jjP12ihipStream_tbEUljE_EEESV_SW_SX_S14_S18_S1A_T6_T7_T9_mT8_S1C_bDpT10_ENKUlT_T0_E_clISt17integral_constantIbLb1EES1O_IbLb0EEEEDaS1K_S1L_EUlS1K_E_NS1_11comp_targetILNS1_3genE2ELNS1_11target_archE906ELNS1_3gpuE6ELNS1_3repE0EEENS1_30default_config_static_selectorELNS0_4arch9wavefront6targetE0EEEvSY_, .Lfunc_end485-_ZN7rocprim17ROCPRIM_400000_NS6detail17trampoline_kernelINS0_13select_configILj256ELj13ELNS0_17block_load_methodE3ELS4_3ELS4_3ELNS0_20block_scan_algorithmE0ELj4294967295EEENS1_25partition_config_selectorILNS1_17partition_subalgoE3EjNS0_10empty_typeEbEEZZNS1_14partition_implILS8_3ELb0ES6_jNS0_17counting_iteratorIjlEEPS9_SE_NS0_5tupleIJPjSE_EEENSF_IJSE_SE_EEES9_SG_JZNS1_25segmented_radix_sort_implINS0_14default_configELb1EPKiPiPKlPlN2at6native12_GLOBAL__N_18offset_tEEE10hipError_tPvRmT1_PNSt15iterator_traitsISY_E10value_typeET2_T3_PNSZ_IS14_E10value_typeET4_jRbjT5_S1A_jjP12ihipStream_tbEUljE_EEESV_SW_SX_S14_S18_S1A_T6_T7_T9_mT8_S1C_bDpT10_ENKUlT_T0_E_clISt17integral_constantIbLb1EES1O_IbLb0EEEEDaS1K_S1L_EUlS1K_E_NS1_11comp_targetILNS1_3genE2ELNS1_11target_archE906ELNS1_3gpuE6ELNS1_3repE0EEENS1_30default_config_static_selectorELNS0_4arch9wavefront6targetE0EEEvSY_
                                        ; -- End function
	.section	.AMDGPU.csdata,"",@progbits
; Kernel info:
; codeLenInByte = 0
; NumSgprs: 0
; NumVgprs: 0
; ScratchSize: 0
; MemoryBound: 0
; FloatMode: 240
; IeeeMode: 1
; LDSByteSize: 0 bytes/workgroup (compile time only)
; SGPRBlocks: 0
; VGPRBlocks: 0
; NumSGPRsForWavesPerEU: 1
; NumVGPRsForWavesPerEU: 1
; Occupancy: 16
; WaveLimiterHint : 0
; COMPUTE_PGM_RSRC2:SCRATCH_EN: 0
; COMPUTE_PGM_RSRC2:USER_SGPR: 15
; COMPUTE_PGM_RSRC2:TRAP_HANDLER: 0
; COMPUTE_PGM_RSRC2:TGID_X_EN: 1
; COMPUTE_PGM_RSRC2:TGID_Y_EN: 0
; COMPUTE_PGM_RSRC2:TGID_Z_EN: 0
; COMPUTE_PGM_RSRC2:TIDIG_COMP_CNT: 0
	.section	.text._ZN7rocprim17ROCPRIM_400000_NS6detail17trampoline_kernelINS0_13select_configILj256ELj13ELNS0_17block_load_methodE3ELS4_3ELS4_3ELNS0_20block_scan_algorithmE0ELj4294967295EEENS1_25partition_config_selectorILNS1_17partition_subalgoE3EjNS0_10empty_typeEbEEZZNS1_14partition_implILS8_3ELb0ES6_jNS0_17counting_iteratorIjlEEPS9_SE_NS0_5tupleIJPjSE_EEENSF_IJSE_SE_EEES9_SG_JZNS1_25segmented_radix_sort_implINS0_14default_configELb1EPKiPiPKlPlN2at6native12_GLOBAL__N_18offset_tEEE10hipError_tPvRmT1_PNSt15iterator_traitsISY_E10value_typeET2_T3_PNSZ_IS14_E10value_typeET4_jRbjT5_S1A_jjP12ihipStream_tbEUljE_EEESV_SW_SX_S14_S18_S1A_T6_T7_T9_mT8_S1C_bDpT10_ENKUlT_T0_E_clISt17integral_constantIbLb1EES1O_IbLb0EEEEDaS1K_S1L_EUlS1K_E_NS1_11comp_targetILNS1_3genE10ELNS1_11target_archE1200ELNS1_3gpuE4ELNS1_3repE0EEENS1_30default_config_static_selectorELNS0_4arch9wavefront6targetE0EEEvSY_,"axG",@progbits,_ZN7rocprim17ROCPRIM_400000_NS6detail17trampoline_kernelINS0_13select_configILj256ELj13ELNS0_17block_load_methodE3ELS4_3ELS4_3ELNS0_20block_scan_algorithmE0ELj4294967295EEENS1_25partition_config_selectorILNS1_17partition_subalgoE3EjNS0_10empty_typeEbEEZZNS1_14partition_implILS8_3ELb0ES6_jNS0_17counting_iteratorIjlEEPS9_SE_NS0_5tupleIJPjSE_EEENSF_IJSE_SE_EEES9_SG_JZNS1_25segmented_radix_sort_implINS0_14default_configELb1EPKiPiPKlPlN2at6native12_GLOBAL__N_18offset_tEEE10hipError_tPvRmT1_PNSt15iterator_traitsISY_E10value_typeET2_T3_PNSZ_IS14_E10value_typeET4_jRbjT5_S1A_jjP12ihipStream_tbEUljE_EEESV_SW_SX_S14_S18_S1A_T6_T7_T9_mT8_S1C_bDpT10_ENKUlT_T0_E_clISt17integral_constantIbLb1EES1O_IbLb0EEEEDaS1K_S1L_EUlS1K_E_NS1_11comp_targetILNS1_3genE10ELNS1_11target_archE1200ELNS1_3gpuE4ELNS1_3repE0EEENS1_30default_config_static_selectorELNS0_4arch9wavefront6targetE0EEEvSY_,comdat
	.globl	_ZN7rocprim17ROCPRIM_400000_NS6detail17trampoline_kernelINS0_13select_configILj256ELj13ELNS0_17block_load_methodE3ELS4_3ELS4_3ELNS0_20block_scan_algorithmE0ELj4294967295EEENS1_25partition_config_selectorILNS1_17partition_subalgoE3EjNS0_10empty_typeEbEEZZNS1_14partition_implILS8_3ELb0ES6_jNS0_17counting_iteratorIjlEEPS9_SE_NS0_5tupleIJPjSE_EEENSF_IJSE_SE_EEES9_SG_JZNS1_25segmented_radix_sort_implINS0_14default_configELb1EPKiPiPKlPlN2at6native12_GLOBAL__N_18offset_tEEE10hipError_tPvRmT1_PNSt15iterator_traitsISY_E10value_typeET2_T3_PNSZ_IS14_E10value_typeET4_jRbjT5_S1A_jjP12ihipStream_tbEUljE_EEESV_SW_SX_S14_S18_S1A_T6_T7_T9_mT8_S1C_bDpT10_ENKUlT_T0_E_clISt17integral_constantIbLb1EES1O_IbLb0EEEEDaS1K_S1L_EUlS1K_E_NS1_11comp_targetILNS1_3genE10ELNS1_11target_archE1200ELNS1_3gpuE4ELNS1_3repE0EEENS1_30default_config_static_selectorELNS0_4arch9wavefront6targetE0EEEvSY_ ; -- Begin function _ZN7rocprim17ROCPRIM_400000_NS6detail17trampoline_kernelINS0_13select_configILj256ELj13ELNS0_17block_load_methodE3ELS4_3ELS4_3ELNS0_20block_scan_algorithmE0ELj4294967295EEENS1_25partition_config_selectorILNS1_17partition_subalgoE3EjNS0_10empty_typeEbEEZZNS1_14partition_implILS8_3ELb0ES6_jNS0_17counting_iteratorIjlEEPS9_SE_NS0_5tupleIJPjSE_EEENSF_IJSE_SE_EEES9_SG_JZNS1_25segmented_radix_sort_implINS0_14default_configELb1EPKiPiPKlPlN2at6native12_GLOBAL__N_18offset_tEEE10hipError_tPvRmT1_PNSt15iterator_traitsISY_E10value_typeET2_T3_PNSZ_IS14_E10value_typeET4_jRbjT5_S1A_jjP12ihipStream_tbEUljE_EEESV_SW_SX_S14_S18_S1A_T6_T7_T9_mT8_S1C_bDpT10_ENKUlT_T0_E_clISt17integral_constantIbLb1EES1O_IbLb0EEEEDaS1K_S1L_EUlS1K_E_NS1_11comp_targetILNS1_3genE10ELNS1_11target_archE1200ELNS1_3gpuE4ELNS1_3repE0EEENS1_30default_config_static_selectorELNS0_4arch9wavefront6targetE0EEEvSY_
	.p2align	8
	.type	_ZN7rocprim17ROCPRIM_400000_NS6detail17trampoline_kernelINS0_13select_configILj256ELj13ELNS0_17block_load_methodE3ELS4_3ELS4_3ELNS0_20block_scan_algorithmE0ELj4294967295EEENS1_25partition_config_selectorILNS1_17partition_subalgoE3EjNS0_10empty_typeEbEEZZNS1_14partition_implILS8_3ELb0ES6_jNS0_17counting_iteratorIjlEEPS9_SE_NS0_5tupleIJPjSE_EEENSF_IJSE_SE_EEES9_SG_JZNS1_25segmented_radix_sort_implINS0_14default_configELb1EPKiPiPKlPlN2at6native12_GLOBAL__N_18offset_tEEE10hipError_tPvRmT1_PNSt15iterator_traitsISY_E10value_typeET2_T3_PNSZ_IS14_E10value_typeET4_jRbjT5_S1A_jjP12ihipStream_tbEUljE_EEESV_SW_SX_S14_S18_S1A_T6_T7_T9_mT8_S1C_bDpT10_ENKUlT_T0_E_clISt17integral_constantIbLb1EES1O_IbLb0EEEEDaS1K_S1L_EUlS1K_E_NS1_11comp_targetILNS1_3genE10ELNS1_11target_archE1200ELNS1_3gpuE4ELNS1_3repE0EEENS1_30default_config_static_selectorELNS0_4arch9wavefront6targetE0EEEvSY_,@function
_ZN7rocprim17ROCPRIM_400000_NS6detail17trampoline_kernelINS0_13select_configILj256ELj13ELNS0_17block_load_methodE3ELS4_3ELS4_3ELNS0_20block_scan_algorithmE0ELj4294967295EEENS1_25partition_config_selectorILNS1_17partition_subalgoE3EjNS0_10empty_typeEbEEZZNS1_14partition_implILS8_3ELb0ES6_jNS0_17counting_iteratorIjlEEPS9_SE_NS0_5tupleIJPjSE_EEENSF_IJSE_SE_EEES9_SG_JZNS1_25segmented_radix_sort_implINS0_14default_configELb1EPKiPiPKlPlN2at6native12_GLOBAL__N_18offset_tEEE10hipError_tPvRmT1_PNSt15iterator_traitsISY_E10value_typeET2_T3_PNSZ_IS14_E10value_typeET4_jRbjT5_S1A_jjP12ihipStream_tbEUljE_EEESV_SW_SX_S14_S18_S1A_T6_T7_T9_mT8_S1C_bDpT10_ENKUlT_T0_E_clISt17integral_constantIbLb1EES1O_IbLb0EEEEDaS1K_S1L_EUlS1K_E_NS1_11comp_targetILNS1_3genE10ELNS1_11target_archE1200ELNS1_3gpuE4ELNS1_3repE0EEENS1_30default_config_static_selectorELNS0_4arch9wavefront6targetE0EEEvSY_: ; @_ZN7rocprim17ROCPRIM_400000_NS6detail17trampoline_kernelINS0_13select_configILj256ELj13ELNS0_17block_load_methodE3ELS4_3ELS4_3ELNS0_20block_scan_algorithmE0ELj4294967295EEENS1_25partition_config_selectorILNS1_17partition_subalgoE3EjNS0_10empty_typeEbEEZZNS1_14partition_implILS8_3ELb0ES6_jNS0_17counting_iteratorIjlEEPS9_SE_NS0_5tupleIJPjSE_EEENSF_IJSE_SE_EEES9_SG_JZNS1_25segmented_radix_sort_implINS0_14default_configELb1EPKiPiPKlPlN2at6native12_GLOBAL__N_18offset_tEEE10hipError_tPvRmT1_PNSt15iterator_traitsISY_E10value_typeET2_T3_PNSZ_IS14_E10value_typeET4_jRbjT5_S1A_jjP12ihipStream_tbEUljE_EEESV_SW_SX_S14_S18_S1A_T6_T7_T9_mT8_S1C_bDpT10_ENKUlT_T0_E_clISt17integral_constantIbLb1EES1O_IbLb0EEEEDaS1K_S1L_EUlS1K_E_NS1_11comp_targetILNS1_3genE10ELNS1_11target_archE1200ELNS1_3gpuE4ELNS1_3repE0EEENS1_30default_config_static_selectorELNS0_4arch9wavefront6targetE0EEEvSY_
; %bb.0:
	.section	.rodata,"a",@progbits
	.p2align	6, 0x0
	.amdhsa_kernel _ZN7rocprim17ROCPRIM_400000_NS6detail17trampoline_kernelINS0_13select_configILj256ELj13ELNS0_17block_load_methodE3ELS4_3ELS4_3ELNS0_20block_scan_algorithmE0ELj4294967295EEENS1_25partition_config_selectorILNS1_17partition_subalgoE3EjNS0_10empty_typeEbEEZZNS1_14partition_implILS8_3ELb0ES6_jNS0_17counting_iteratorIjlEEPS9_SE_NS0_5tupleIJPjSE_EEENSF_IJSE_SE_EEES9_SG_JZNS1_25segmented_radix_sort_implINS0_14default_configELb1EPKiPiPKlPlN2at6native12_GLOBAL__N_18offset_tEEE10hipError_tPvRmT1_PNSt15iterator_traitsISY_E10value_typeET2_T3_PNSZ_IS14_E10value_typeET4_jRbjT5_S1A_jjP12ihipStream_tbEUljE_EEESV_SW_SX_S14_S18_S1A_T6_T7_T9_mT8_S1C_bDpT10_ENKUlT_T0_E_clISt17integral_constantIbLb1EES1O_IbLb0EEEEDaS1K_S1L_EUlS1K_E_NS1_11comp_targetILNS1_3genE10ELNS1_11target_archE1200ELNS1_3gpuE4ELNS1_3repE0EEENS1_30default_config_static_selectorELNS0_4arch9wavefront6targetE0EEEvSY_
		.amdhsa_group_segment_fixed_size 0
		.amdhsa_private_segment_fixed_size 0
		.amdhsa_kernarg_size 144
		.amdhsa_user_sgpr_count 15
		.amdhsa_user_sgpr_dispatch_ptr 0
		.amdhsa_user_sgpr_queue_ptr 0
		.amdhsa_user_sgpr_kernarg_segment_ptr 1
		.amdhsa_user_sgpr_dispatch_id 0
		.amdhsa_user_sgpr_private_segment_size 0
		.amdhsa_wavefront_size32 1
		.amdhsa_uses_dynamic_stack 0
		.amdhsa_enable_private_segment 0
		.amdhsa_system_sgpr_workgroup_id_x 1
		.amdhsa_system_sgpr_workgroup_id_y 0
		.amdhsa_system_sgpr_workgroup_id_z 0
		.amdhsa_system_sgpr_workgroup_info 0
		.amdhsa_system_vgpr_workitem_id 0
		.amdhsa_next_free_vgpr 1
		.amdhsa_next_free_sgpr 1
		.amdhsa_reserve_vcc 0
		.amdhsa_float_round_mode_32 0
		.amdhsa_float_round_mode_16_64 0
		.amdhsa_float_denorm_mode_32 3
		.amdhsa_float_denorm_mode_16_64 3
		.amdhsa_dx10_clamp 1
		.amdhsa_ieee_mode 1
		.amdhsa_fp16_overflow 0
		.amdhsa_workgroup_processor_mode 1
		.amdhsa_memory_ordered 1
		.amdhsa_forward_progress 0
		.amdhsa_shared_vgpr_count 0
		.amdhsa_exception_fp_ieee_invalid_op 0
		.amdhsa_exception_fp_denorm_src 0
		.amdhsa_exception_fp_ieee_div_zero 0
		.amdhsa_exception_fp_ieee_overflow 0
		.amdhsa_exception_fp_ieee_underflow 0
		.amdhsa_exception_fp_ieee_inexact 0
		.amdhsa_exception_int_div_zero 0
	.end_amdhsa_kernel
	.section	.text._ZN7rocprim17ROCPRIM_400000_NS6detail17trampoline_kernelINS0_13select_configILj256ELj13ELNS0_17block_load_methodE3ELS4_3ELS4_3ELNS0_20block_scan_algorithmE0ELj4294967295EEENS1_25partition_config_selectorILNS1_17partition_subalgoE3EjNS0_10empty_typeEbEEZZNS1_14partition_implILS8_3ELb0ES6_jNS0_17counting_iteratorIjlEEPS9_SE_NS0_5tupleIJPjSE_EEENSF_IJSE_SE_EEES9_SG_JZNS1_25segmented_radix_sort_implINS0_14default_configELb1EPKiPiPKlPlN2at6native12_GLOBAL__N_18offset_tEEE10hipError_tPvRmT1_PNSt15iterator_traitsISY_E10value_typeET2_T3_PNSZ_IS14_E10value_typeET4_jRbjT5_S1A_jjP12ihipStream_tbEUljE_EEESV_SW_SX_S14_S18_S1A_T6_T7_T9_mT8_S1C_bDpT10_ENKUlT_T0_E_clISt17integral_constantIbLb1EES1O_IbLb0EEEEDaS1K_S1L_EUlS1K_E_NS1_11comp_targetILNS1_3genE10ELNS1_11target_archE1200ELNS1_3gpuE4ELNS1_3repE0EEENS1_30default_config_static_selectorELNS0_4arch9wavefront6targetE0EEEvSY_,"axG",@progbits,_ZN7rocprim17ROCPRIM_400000_NS6detail17trampoline_kernelINS0_13select_configILj256ELj13ELNS0_17block_load_methodE3ELS4_3ELS4_3ELNS0_20block_scan_algorithmE0ELj4294967295EEENS1_25partition_config_selectorILNS1_17partition_subalgoE3EjNS0_10empty_typeEbEEZZNS1_14partition_implILS8_3ELb0ES6_jNS0_17counting_iteratorIjlEEPS9_SE_NS0_5tupleIJPjSE_EEENSF_IJSE_SE_EEES9_SG_JZNS1_25segmented_radix_sort_implINS0_14default_configELb1EPKiPiPKlPlN2at6native12_GLOBAL__N_18offset_tEEE10hipError_tPvRmT1_PNSt15iterator_traitsISY_E10value_typeET2_T3_PNSZ_IS14_E10value_typeET4_jRbjT5_S1A_jjP12ihipStream_tbEUljE_EEESV_SW_SX_S14_S18_S1A_T6_T7_T9_mT8_S1C_bDpT10_ENKUlT_T0_E_clISt17integral_constantIbLb1EES1O_IbLb0EEEEDaS1K_S1L_EUlS1K_E_NS1_11comp_targetILNS1_3genE10ELNS1_11target_archE1200ELNS1_3gpuE4ELNS1_3repE0EEENS1_30default_config_static_selectorELNS0_4arch9wavefront6targetE0EEEvSY_,comdat
.Lfunc_end486:
	.size	_ZN7rocprim17ROCPRIM_400000_NS6detail17trampoline_kernelINS0_13select_configILj256ELj13ELNS0_17block_load_methodE3ELS4_3ELS4_3ELNS0_20block_scan_algorithmE0ELj4294967295EEENS1_25partition_config_selectorILNS1_17partition_subalgoE3EjNS0_10empty_typeEbEEZZNS1_14partition_implILS8_3ELb0ES6_jNS0_17counting_iteratorIjlEEPS9_SE_NS0_5tupleIJPjSE_EEENSF_IJSE_SE_EEES9_SG_JZNS1_25segmented_radix_sort_implINS0_14default_configELb1EPKiPiPKlPlN2at6native12_GLOBAL__N_18offset_tEEE10hipError_tPvRmT1_PNSt15iterator_traitsISY_E10value_typeET2_T3_PNSZ_IS14_E10value_typeET4_jRbjT5_S1A_jjP12ihipStream_tbEUljE_EEESV_SW_SX_S14_S18_S1A_T6_T7_T9_mT8_S1C_bDpT10_ENKUlT_T0_E_clISt17integral_constantIbLb1EES1O_IbLb0EEEEDaS1K_S1L_EUlS1K_E_NS1_11comp_targetILNS1_3genE10ELNS1_11target_archE1200ELNS1_3gpuE4ELNS1_3repE0EEENS1_30default_config_static_selectorELNS0_4arch9wavefront6targetE0EEEvSY_, .Lfunc_end486-_ZN7rocprim17ROCPRIM_400000_NS6detail17trampoline_kernelINS0_13select_configILj256ELj13ELNS0_17block_load_methodE3ELS4_3ELS4_3ELNS0_20block_scan_algorithmE0ELj4294967295EEENS1_25partition_config_selectorILNS1_17partition_subalgoE3EjNS0_10empty_typeEbEEZZNS1_14partition_implILS8_3ELb0ES6_jNS0_17counting_iteratorIjlEEPS9_SE_NS0_5tupleIJPjSE_EEENSF_IJSE_SE_EEES9_SG_JZNS1_25segmented_radix_sort_implINS0_14default_configELb1EPKiPiPKlPlN2at6native12_GLOBAL__N_18offset_tEEE10hipError_tPvRmT1_PNSt15iterator_traitsISY_E10value_typeET2_T3_PNSZ_IS14_E10value_typeET4_jRbjT5_S1A_jjP12ihipStream_tbEUljE_EEESV_SW_SX_S14_S18_S1A_T6_T7_T9_mT8_S1C_bDpT10_ENKUlT_T0_E_clISt17integral_constantIbLb1EES1O_IbLb0EEEEDaS1K_S1L_EUlS1K_E_NS1_11comp_targetILNS1_3genE10ELNS1_11target_archE1200ELNS1_3gpuE4ELNS1_3repE0EEENS1_30default_config_static_selectorELNS0_4arch9wavefront6targetE0EEEvSY_
                                        ; -- End function
	.section	.AMDGPU.csdata,"",@progbits
; Kernel info:
; codeLenInByte = 0
; NumSgprs: 0
; NumVgprs: 0
; ScratchSize: 0
; MemoryBound: 0
; FloatMode: 240
; IeeeMode: 1
; LDSByteSize: 0 bytes/workgroup (compile time only)
; SGPRBlocks: 0
; VGPRBlocks: 0
; NumSGPRsForWavesPerEU: 1
; NumVGPRsForWavesPerEU: 1
; Occupancy: 16
; WaveLimiterHint : 0
; COMPUTE_PGM_RSRC2:SCRATCH_EN: 0
; COMPUTE_PGM_RSRC2:USER_SGPR: 15
; COMPUTE_PGM_RSRC2:TRAP_HANDLER: 0
; COMPUTE_PGM_RSRC2:TGID_X_EN: 1
; COMPUTE_PGM_RSRC2:TGID_Y_EN: 0
; COMPUTE_PGM_RSRC2:TGID_Z_EN: 0
; COMPUTE_PGM_RSRC2:TIDIG_COMP_CNT: 0
	.section	.text._ZN7rocprim17ROCPRIM_400000_NS6detail17trampoline_kernelINS0_13select_configILj256ELj13ELNS0_17block_load_methodE3ELS4_3ELS4_3ELNS0_20block_scan_algorithmE0ELj4294967295EEENS1_25partition_config_selectorILNS1_17partition_subalgoE3EjNS0_10empty_typeEbEEZZNS1_14partition_implILS8_3ELb0ES6_jNS0_17counting_iteratorIjlEEPS9_SE_NS0_5tupleIJPjSE_EEENSF_IJSE_SE_EEES9_SG_JZNS1_25segmented_radix_sort_implINS0_14default_configELb1EPKiPiPKlPlN2at6native12_GLOBAL__N_18offset_tEEE10hipError_tPvRmT1_PNSt15iterator_traitsISY_E10value_typeET2_T3_PNSZ_IS14_E10value_typeET4_jRbjT5_S1A_jjP12ihipStream_tbEUljE_EEESV_SW_SX_S14_S18_S1A_T6_T7_T9_mT8_S1C_bDpT10_ENKUlT_T0_E_clISt17integral_constantIbLb1EES1O_IbLb0EEEEDaS1K_S1L_EUlS1K_E_NS1_11comp_targetILNS1_3genE9ELNS1_11target_archE1100ELNS1_3gpuE3ELNS1_3repE0EEENS1_30default_config_static_selectorELNS0_4arch9wavefront6targetE0EEEvSY_,"axG",@progbits,_ZN7rocprim17ROCPRIM_400000_NS6detail17trampoline_kernelINS0_13select_configILj256ELj13ELNS0_17block_load_methodE3ELS4_3ELS4_3ELNS0_20block_scan_algorithmE0ELj4294967295EEENS1_25partition_config_selectorILNS1_17partition_subalgoE3EjNS0_10empty_typeEbEEZZNS1_14partition_implILS8_3ELb0ES6_jNS0_17counting_iteratorIjlEEPS9_SE_NS0_5tupleIJPjSE_EEENSF_IJSE_SE_EEES9_SG_JZNS1_25segmented_radix_sort_implINS0_14default_configELb1EPKiPiPKlPlN2at6native12_GLOBAL__N_18offset_tEEE10hipError_tPvRmT1_PNSt15iterator_traitsISY_E10value_typeET2_T3_PNSZ_IS14_E10value_typeET4_jRbjT5_S1A_jjP12ihipStream_tbEUljE_EEESV_SW_SX_S14_S18_S1A_T6_T7_T9_mT8_S1C_bDpT10_ENKUlT_T0_E_clISt17integral_constantIbLb1EES1O_IbLb0EEEEDaS1K_S1L_EUlS1K_E_NS1_11comp_targetILNS1_3genE9ELNS1_11target_archE1100ELNS1_3gpuE3ELNS1_3repE0EEENS1_30default_config_static_selectorELNS0_4arch9wavefront6targetE0EEEvSY_,comdat
	.globl	_ZN7rocprim17ROCPRIM_400000_NS6detail17trampoline_kernelINS0_13select_configILj256ELj13ELNS0_17block_load_methodE3ELS4_3ELS4_3ELNS0_20block_scan_algorithmE0ELj4294967295EEENS1_25partition_config_selectorILNS1_17partition_subalgoE3EjNS0_10empty_typeEbEEZZNS1_14partition_implILS8_3ELb0ES6_jNS0_17counting_iteratorIjlEEPS9_SE_NS0_5tupleIJPjSE_EEENSF_IJSE_SE_EEES9_SG_JZNS1_25segmented_radix_sort_implINS0_14default_configELb1EPKiPiPKlPlN2at6native12_GLOBAL__N_18offset_tEEE10hipError_tPvRmT1_PNSt15iterator_traitsISY_E10value_typeET2_T3_PNSZ_IS14_E10value_typeET4_jRbjT5_S1A_jjP12ihipStream_tbEUljE_EEESV_SW_SX_S14_S18_S1A_T6_T7_T9_mT8_S1C_bDpT10_ENKUlT_T0_E_clISt17integral_constantIbLb1EES1O_IbLb0EEEEDaS1K_S1L_EUlS1K_E_NS1_11comp_targetILNS1_3genE9ELNS1_11target_archE1100ELNS1_3gpuE3ELNS1_3repE0EEENS1_30default_config_static_selectorELNS0_4arch9wavefront6targetE0EEEvSY_ ; -- Begin function _ZN7rocprim17ROCPRIM_400000_NS6detail17trampoline_kernelINS0_13select_configILj256ELj13ELNS0_17block_load_methodE3ELS4_3ELS4_3ELNS0_20block_scan_algorithmE0ELj4294967295EEENS1_25partition_config_selectorILNS1_17partition_subalgoE3EjNS0_10empty_typeEbEEZZNS1_14partition_implILS8_3ELb0ES6_jNS0_17counting_iteratorIjlEEPS9_SE_NS0_5tupleIJPjSE_EEENSF_IJSE_SE_EEES9_SG_JZNS1_25segmented_radix_sort_implINS0_14default_configELb1EPKiPiPKlPlN2at6native12_GLOBAL__N_18offset_tEEE10hipError_tPvRmT1_PNSt15iterator_traitsISY_E10value_typeET2_T3_PNSZ_IS14_E10value_typeET4_jRbjT5_S1A_jjP12ihipStream_tbEUljE_EEESV_SW_SX_S14_S18_S1A_T6_T7_T9_mT8_S1C_bDpT10_ENKUlT_T0_E_clISt17integral_constantIbLb1EES1O_IbLb0EEEEDaS1K_S1L_EUlS1K_E_NS1_11comp_targetILNS1_3genE9ELNS1_11target_archE1100ELNS1_3gpuE3ELNS1_3repE0EEENS1_30default_config_static_selectorELNS0_4arch9wavefront6targetE0EEEvSY_
	.p2align	8
	.type	_ZN7rocprim17ROCPRIM_400000_NS6detail17trampoline_kernelINS0_13select_configILj256ELj13ELNS0_17block_load_methodE3ELS4_3ELS4_3ELNS0_20block_scan_algorithmE0ELj4294967295EEENS1_25partition_config_selectorILNS1_17partition_subalgoE3EjNS0_10empty_typeEbEEZZNS1_14partition_implILS8_3ELb0ES6_jNS0_17counting_iteratorIjlEEPS9_SE_NS0_5tupleIJPjSE_EEENSF_IJSE_SE_EEES9_SG_JZNS1_25segmented_radix_sort_implINS0_14default_configELb1EPKiPiPKlPlN2at6native12_GLOBAL__N_18offset_tEEE10hipError_tPvRmT1_PNSt15iterator_traitsISY_E10value_typeET2_T3_PNSZ_IS14_E10value_typeET4_jRbjT5_S1A_jjP12ihipStream_tbEUljE_EEESV_SW_SX_S14_S18_S1A_T6_T7_T9_mT8_S1C_bDpT10_ENKUlT_T0_E_clISt17integral_constantIbLb1EES1O_IbLb0EEEEDaS1K_S1L_EUlS1K_E_NS1_11comp_targetILNS1_3genE9ELNS1_11target_archE1100ELNS1_3gpuE3ELNS1_3repE0EEENS1_30default_config_static_selectorELNS0_4arch9wavefront6targetE0EEEvSY_,@function
_ZN7rocprim17ROCPRIM_400000_NS6detail17trampoline_kernelINS0_13select_configILj256ELj13ELNS0_17block_load_methodE3ELS4_3ELS4_3ELNS0_20block_scan_algorithmE0ELj4294967295EEENS1_25partition_config_selectorILNS1_17partition_subalgoE3EjNS0_10empty_typeEbEEZZNS1_14partition_implILS8_3ELb0ES6_jNS0_17counting_iteratorIjlEEPS9_SE_NS0_5tupleIJPjSE_EEENSF_IJSE_SE_EEES9_SG_JZNS1_25segmented_radix_sort_implINS0_14default_configELb1EPKiPiPKlPlN2at6native12_GLOBAL__N_18offset_tEEE10hipError_tPvRmT1_PNSt15iterator_traitsISY_E10value_typeET2_T3_PNSZ_IS14_E10value_typeET4_jRbjT5_S1A_jjP12ihipStream_tbEUljE_EEESV_SW_SX_S14_S18_S1A_T6_T7_T9_mT8_S1C_bDpT10_ENKUlT_T0_E_clISt17integral_constantIbLb1EES1O_IbLb0EEEEDaS1K_S1L_EUlS1K_E_NS1_11comp_targetILNS1_3genE9ELNS1_11target_archE1100ELNS1_3gpuE3ELNS1_3repE0EEENS1_30default_config_static_selectorELNS0_4arch9wavefront6targetE0EEEvSY_: ; @_ZN7rocprim17ROCPRIM_400000_NS6detail17trampoline_kernelINS0_13select_configILj256ELj13ELNS0_17block_load_methodE3ELS4_3ELS4_3ELNS0_20block_scan_algorithmE0ELj4294967295EEENS1_25partition_config_selectorILNS1_17partition_subalgoE3EjNS0_10empty_typeEbEEZZNS1_14partition_implILS8_3ELb0ES6_jNS0_17counting_iteratorIjlEEPS9_SE_NS0_5tupleIJPjSE_EEENSF_IJSE_SE_EEES9_SG_JZNS1_25segmented_radix_sort_implINS0_14default_configELb1EPKiPiPKlPlN2at6native12_GLOBAL__N_18offset_tEEE10hipError_tPvRmT1_PNSt15iterator_traitsISY_E10value_typeET2_T3_PNSZ_IS14_E10value_typeET4_jRbjT5_S1A_jjP12ihipStream_tbEUljE_EEESV_SW_SX_S14_S18_S1A_T6_T7_T9_mT8_S1C_bDpT10_ENKUlT_T0_E_clISt17integral_constantIbLb1EES1O_IbLb0EEEEDaS1K_S1L_EUlS1K_E_NS1_11comp_targetILNS1_3genE9ELNS1_11target_archE1100ELNS1_3gpuE3ELNS1_3repE0EEENS1_30default_config_static_selectorELNS0_4arch9wavefront6targetE0EEEvSY_
; %bb.0:
	s_clause 0x5
	s_load_b32 s2, s[0:1], 0x70
	s_load_b64 s[16:17], s[0:1], 0x10
	s_load_b64 s[12:13], s[0:1], 0x58
	s_load_b32 s18, s[0:1], 0x8
	s_load_b128 s[8:11], s[0:1], 0x48
	s_load_b128 s[4:7], s[0:1], 0x78
	s_mul_i32 s23, s15, 0xd00
	v_lshlrev_b32_e32 v30, 2, v0
	s_waitcnt lgkmcnt(0)
	s_mul_i32 s20, s2, 0xd00
	s_add_i32 s19, s2, -1
	s_add_u32 s2, s16, s20
	s_addc_u32 s3, s17, 0
	s_cmp_eq_u32 s15, s19
	v_cmp_lt_u64_e64 s3, s[2:3], s[12:13]
	s_cselect_b32 s14, -1, 0
	s_cmp_lg_u32 s15, s19
	s_cselect_b32 s21, -1, 0
	s_add_i32 s2, s18, s23
	s_delay_alu instid0(VALU_DEP_1)
	s_or_b32 s3, s21, s3
	s_add_i32 s18, s2, s16
	s_load_b32 s2, s[0:1], 0x88
	v_add_nc_u32_e32 v1, s18, v0
	s_load_b64 s[18:19], s[10:11], 0x0
	s_and_b32 vcc_lo, exec_lo, s3
	s_mov_b32 s10, -1
	s_delay_alu instid0(VALU_DEP_1)
	v_add_nc_u32_e32 v2, 0x100, v1
	v_add_nc_u32_e32 v3, 0x200, v1
	v_add_nc_u32_e32 v4, 0x300, v1
	v_add_nc_u32_e32 v5, 0x400, v1
	v_add_nc_u32_e32 v6, 0x500, v1
	v_add_nc_u32_e32 v7, 0x600, v1
	v_add_nc_u32_e32 v8, 0x700, v1
	v_add_nc_u32_e32 v9, 0x800, v1
	v_add_nc_u32_e32 v10, 0x900, v1
	v_add_nc_u32_e32 v11, 0xa00, v1
	v_add_nc_u32_e32 v12, 0xb00, v1
	v_add_nc_u32_e32 v13, 0xc00, v1
	s_cbranch_vccz .LBB487_2
; %bb.1:
	ds_store_2addr_stride64_b32 v30, v1, v2 offset1:4
	ds_store_2addr_stride64_b32 v30, v3, v4 offset0:8 offset1:12
	ds_store_2addr_stride64_b32 v30, v5, v6 offset0:16 offset1:20
	;; [unrolled: 1-line block ×5, first 2 shown]
	ds_store_b32 v30, v13 offset:12288
	s_waitcnt lgkmcnt(0)
	s_mov_b32 s10, 0
	s_barrier
.LBB487_2:
	s_and_not1_b32 vcc_lo, exec_lo, s10
	s_add_i32 s20, s20, s16
	s_cbranch_vccnz .LBB487_4
; %bb.3:
	ds_store_2addr_stride64_b32 v30, v1, v2 offset1:4
	ds_store_2addr_stride64_b32 v30, v3, v4 offset0:8 offset1:12
	ds_store_2addr_stride64_b32 v30, v5, v6 offset0:16 offset1:20
	;; [unrolled: 1-line block ×5, first 2 shown]
	ds_store_b32 v30, v13 offset:12288
	s_waitcnt lgkmcnt(0)
	s_barrier
.LBB487_4:
	v_mul_u32_u24_e32 v33, 13, v0
	s_waitcnt lgkmcnt(0)
	buffer_gl0_inv
	v_cndmask_b32_e64 v31, 0, 1, s3
	s_sub_i32 s22, s12, s20
	s_and_not1_b32 vcc_lo, exec_lo, s3
	v_lshlrev_b32_e32 v1, 2, v33
	ds_load_2addr_b32 v[28:29], v1 offset1:1
	ds_load_2addr_b32 v[26:27], v1 offset0:2 offset1:3
	ds_load_2addr_b32 v[24:25], v1 offset0:4 offset1:5
	;; [unrolled: 1-line block ×5, first 2 shown]
	ds_load_b32 v32, v1 offset:48
	s_waitcnt lgkmcnt(0)
	s_barrier
	buffer_gl0_inv
	s_cbranch_vccnz .LBB487_6
; %bb.5:
	v_add_nc_u32_e32 v1, s5, v28
	v_add_nc_u32_e32 v2, s7, v28
	;; [unrolled: 1-line block ×5, first 2 shown]
	v_mul_lo_u32 v1, v1, s4
	v_mul_lo_u32 v2, v2, s6
	v_mul_lo_u32 v3, v3, s4
	v_mul_lo_u32 v4, v4, s6
	v_add_nc_u32_e32 v6, s7, v26
	v_add_nc_u32_e32 v7, s5, v27
	;; [unrolled: 1-line block ×3, first 2 shown]
	v_mul_lo_u32 v5, v5, s4
	v_add_nc_u32_e32 v9, s5, v22
	v_sub_nc_u32_e32 v1, v1, v2
	v_mul_lo_u32 v2, v6, s6
	v_sub_nc_u32_e32 v3, v3, v4
	v_mul_lo_u32 v4, v7, s4
	v_mul_lo_u32 v6, v8, s6
	v_add_nc_u32_e32 v7, s5, v24
	v_cmp_lt_u32_e32 vcc_lo, s2, v1
	v_add_nc_u32_e32 v8, s5, v25
	v_add_nc_u32_e32 v10, s7, v22
	v_sub_nc_u32_e32 v2, v5, v2
	v_add_nc_u32_e32 v5, s7, v24
	v_cndmask_b32_e64 v1, 0, 1, vcc_lo
	v_sub_nc_u32_e32 v4, v4, v6
	v_mul_lo_u32 v6, v7, s4
	v_add_nc_u32_e32 v7, s7, v25
	v_cmp_lt_u32_e32 vcc_lo, s2, v3
	v_mul_lo_u32 v5, v5, s6
	v_mul_lo_u32 v8, v8, s4
	;; [unrolled: 1-line block ×4, first 2 shown]
	v_cndmask_b32_e64 v3, 0, 1, vcc_lo
	v_cmp_lt_u32_e32 vcc_lo, s2, v2
	v_mul_lo_u32 v10, v10, s6
	v_add_nc_u32_e32 v11, s5, v20
	v_sub_nc_u32_e32 v5, v6, v5
	v_add_nc_u32_e32 v12, s7, v20
	v_cndmask_b32_e64 v2, 0, 1, vcc_lo
	v_sub_nc_u32_e32 v6, v8, v7
	v_add_nc_u32_e32 v7, s5, v23
	v_add_nc_u32_e32 v8, s7, v23
	v_cmp_lt_u32_e32 vcc_lo, s2, v4
	v_sub_nc_u32_e32 v9, v9, v10
	v_mul_lo_u32 v10, v11, s4
	v_mul_lo_u32 v7, v7, s4
	;; [unrolled: 1-line block ×4, first 2 shown]
	v_cndmask_b32_e64 v4, 0, 1, vcc_lo
	v_cmp_lt_u32_e32 vcc_lo, s2, v5
	v_add_nc_u32_e32 v12, s5, v21
	v_add_nc_u32_e32 v13, s7, v18
	;; [unrolled: 1-line block ×4, first 2 shown]
	v_cndmask_b32_e64 v5, 0, 1, vcc_lo
	v_cmp_lt_u32_e32 vcc_lo, s2, v6
	v_sub_nc_u32_e32 v7, v7, v8
	v_sub_nc_u32_e32 v8, v10, v11
	v_add_nc_u32_e32 v11, s7, v21
	v_mul_lo_u32 v10, v12, s4
	v_cndmask_b32_e64 v6, 0, 1, vcc_lo
	v_cmp_lt_u32_e32 vcc_lo, s2, v9
	v_add_nc_u32_e32 v12, s5, v18
	v_mul_lo_u32 v11, v11, s6
	v_mul_lo_u32 v13, v13, s6
	v_mul_lo_u32 v14, v14, s4
	v_cndmask_b32_e64 v9, 0, 1, vcc_lo
	v_cmp_lt_u32_e32 vcc_lo, s2, v7
	v_mul_lo_u32 v12, v12, s4
	v_mul_lo_u32 v15, v15, s6
	v_lshlrev_b16 v3, 8, v3
	v_sub_nc_u32_e32 v10, v10, v11
	v_cndmask_b32_e64 v7, 0, 1, vcc_lo
	v_cmp_lt_u32_e32 vcc_lo, s2, v8
	v_add_nc_u32_e32 v11, s5, v32
	v_or_b32_e32 v1, v1, v3
	v_sub_nc_u32_e32 v12, v12, v13
	v_sub_nc_u32_e32 v13, v14, v15
	v_cndmask_b32_e64 v8, 0, 1, vcc_lo
	v_cmp_lt_u32_e32 vcc_lo, s2, v10
	v_add_nc_u32_e32 v16, s7, v32
	v_mul_lo_u32 v11, v11, s4
	v_lshlrev_b16 v4, 8, v4
	v_lshlrev_b16 v6, 8, v6
	v_cndmask_b32_e64 v10, 0, 1, vcc_lo
	v_cmp_lt_u32_e32 vcc_lo, s2, v12
	v_mul_lo_u32 v14, v16, s6
	v_lshlrev_b16 v7, 8, v7
	v_or_b32_e32 v2, v2, v4
	v_lshlrev_b16 v10, 8, v10
	v_cndmask_b32_e64 v3, 0, 1, vcc_lo
	v_cmp_lt_u32_e32 vcc_lo, s2, v13
	v_or_b32_e32 v4, v5, v6
	v_or_b32_e32 v5, v9, v7
	v_sub_nc_u32_e32 v11, v11, v14
	v_or_b32_e32 v6, v8, v10
	v_cndmask_b32_e64 v12, 0, 1, vcc_lo
	v_and_b32_e32 v1, 0xffff, v1
	v_lshlrev_b32_e32 v2, 16, v2
	v_and_b32_e32 v4, 0xffff, v4
	v_lshlrev_b32_e32 v5, 16, v5
	v_lshlrev_b16 v12, 8, v12
	v_and_b32_e32 v6, 0xffff, v6
	v_cmp_lt_u32_e32 vcc_lo, s2, v11
	v_or_b32_e32 v39, v1, v2
	v_or_b32_e32 v37, v4, v5
	;; [unrolled: 1-line block ×3, first 2 shown]
	s_mov_b32 s3, 0
	v_cndmask_b32_e64 v34, 0, 1, vcc_lo
	s_delay_alu instid0(VALU_DEP_2) | instskip(NEXT) | instid1(VALU_DEP_1)
	v_lshlrev_b32_e32 v3, 16, v3
	v_or_b32_e32 v35, v6, v3
	s_branch .LBB487_7
.LBB487_6:
	s_mov_b32 s3, -1
                                        ; implicit-def: $vgpr34
                                        ; implicit-def: $vgpr35
                                        ; implicit-def: $vgpr37
                                        ; implicit-def: $vgpr39
.LBB487_7:
	s_clause 0x1
	s_load_b64 s[10:11], s[0:1], 0x28
	s_load_b64 s[20:21], s[0:1], 0x68
	s_and_not1_b32 vcc_lo, exec_lo, s3
	s_addk_i32 s22, 0xd00
	s_cbranch_vccnz .LBB487_35
; %bb.8:
	v_dual_mov_b32 v2, 0 :: v_dual_mov_b32 v1, 0
	s_mov_b32 s0, exec_lo
	v_cmpx_gt_u32_e64 s22, v33
; %bb.9:
	v_add_nc_u32_e32 v1, s5, v28
	v_add_nc_u32_e32 v3, s7, v28
	s_delay_alu instid0(VALU_DEP_2) | instskip(NEXT) | instid1(VALU_DEP_2)
	v_mul_lo_u32 v1, v1, s4
	v_mul_lo_u32 v3, v3, s6
	s_delay_alu instid0(VALU_DEP_1) | instskip(NEXT) | instid1(VALU_DEP_1)
	v_sub_nc_u32_e32 v1, v1, v3
	v_cmp_lt_u32_e32 vcc_lo, s2, v1
	v_cndmask_b32_e64 v1, 0, 1, vcc_lo
; %bb.10:
	s_or_b32 exec_lo, exec_lo, s0
	v_add_nc_u32_e32 v3, 1, v33
	s_mov_b32 s0, exec_lo
	s_delay_alu instid0(VALU_DEP_1)
	v_cmpx_gt_u32_e64 s22, v3
; %bb.11:
	v_add_nc_u32_e32 v2, s5, v29
	v_add_nc_u32_e32 v3, s7, v29
	s_delay_alu instid0(VALU_DEP_2) | instskip(NEXT) | instid1(VALU_DEP_2)
	v_mul_lo_u32 v2, v2, s4
	v_mul_lo_u32 v3, v3, s6
	s_delay_alu instid0(VALU_DEP_1) | instskip(NEXT) | instid1(VALU_DEP_1)
	v_sub_nc_u32_e32 v2, v2, v3
	v_cmp_lt_u32_e32 vcc_lo, s2, v2
	v_cndmask_b32_e64 v2, 0, 1, vcc_lo
; %bb.12:
	s_or_b32 exec_lo, exec_lo, s0
	v_dual_mov_b32 v4, 0 :: v_dual_add_nc_u32 v3, 2, v33
	s_delay_alu instid0(VALU_DEP_1)
	v_cmp_gt_u32_e32 vcc_lo, s22, v3
	v_mov_b32_e32 v3, 0
	s_and_saveexec_b32 s0, vcc_lo
; %bb.13:
	v_add_nc_u32_e32 v3, s5, v26
	v_add_nc_u32_e32 v5, s7, v26
	s_delay_alu instid0(VALU_DEP_2) | instskip(NEXT) | instid1(VALU_DEP_2)
	v_mul_lo_u32 v3, v3, s4
	v_mul_lo_u32 v5, v5, s6
	s_delay_alu instid0(VALU_DEP_1) | instskip(NEXT) | instid1(VALU_DEP_1)
	v_sub_nc_u32_e32 v3, v3, v5
	v_cmp_lt_u32_e32 vcc_lo, s2, v3
	v_cndmask_b32_e64 v3, 0, 1, vcc_lo
; %bb.14:
	s_or_b32 exec_lo, exec_lo, s0
	v_add_nc_u32_e32 v5, 3, v33
	s_mov_b32 s0, exec_lo
	s_delay_alu instid0(VALU_DEP_1)
	v_cmpx_gt_u32_e64 s22, v5
; %bb.15:
	v_add_nc_u32_e32 v4, s5, v27
	v_add_nc_u32_e32 v5, s7, v27
	s_delay_alu instid0(VALU_DEP_2) | instskip(NEXT) | instid1(VALU_DEP_2)
	v_mul_lo_u32 v4, v4, s4
	v_mul_lo_u32 v5, v5, s6
	s_delay_alu instid0(VALU_DEP_1) | instskip(NEXT) | instid1(VALU_DEP_1)
	v_sub_nc_u32_e32 v4, v4, v5
	v_cmp_lt_u32_e32 vcc_lo, s2, v4
	v_cndmask_b32_e64 v4, 0, 1, vcc_lo
; %bb.16:
	s_or_b32 exec_lo, exec_lo, s0
	v_dual_mov_b32 v6, 0 :: v_dual_add_nc_u32 v5, 4, v33
	s_delay_alu instid0(VALU_DEP_1)
	v_cmp_gt_u32_e32 vcc_lo, s22, v5
	v_mov_b32_e32 v5, 0
	s_and_saveexec_b32 s0, vcc_lo
	;; [unrolled: 33-line block ×5, first 2 shown]
; %bb.29:
	v_add_nc_u32_e32 v11, s5, v18
	v_add_nc_u32_e32 v13, s7, v18
	s_delay_alu instid0(VALU_DEP_2) | instskip(NEXT) | instid1(VALU_DEP_2)
	v_mul_lo_u32 v11, v11, s4
	v_mul_lo_u32 v13, v13, s6
	s_delay_alu instid0(VALU_DEP_1) | instskip(NEXT) | instid1(VALU_DEP_1)
	v_sub_nc_u32_e32 v11, v11, v13
	v_cmp_lt_u32_e32 vcc_lo, s2, v11
	v_cndmask_b32_e64 v11, 0, 1, vcc_lo
; %bb.30:
	s_or_b32 exec_lo, exec_lo, s0
	v_add_nc_u32_e32 v13, 11, v33
	s_mov_b32 s0, exec_lo
	s_delay_alu instid0(VALU_DEP_1)
	v_cmpx_gt_u32_e64 s22, v13
; %bb.31:
	v_add_nc_u32_e32 v12, s5, v19
	v_add_nc_u32_e32 v13, s7, v19
	s_delay_alu instid0(VALU_DEP_2) | instskip(NEXT) | instid1(VALU_DEP_2)
	v_mul_lo_u32 v12, v12, s4
	v_mul_lo_u32 v13, v13, s6
	s_delay_alu instid0(VALU_DEP_1) | instskip(NEXT) | instid1(VALU_DEP_1)
	v_sub_nc_u32_e32 v12, v12, v13
	v_cmp_lt_u32_e32 vcc_lo, s2, v12
	v_cndmask_b32_e64 v12, 0, 1, vcc_lo
; %bb.32:
	s_or_b32 exec_lo, exec_lo, s0
	v_dual_mov_b32 v34, 0 :: v_dual_add_nc_u32 v13, 12, v33
	s_mov_b32 s0, exec_lo
	s_delay_alu instid0(VALU_DEP_1)
	v_cmpx_gt_u32_e64 s22, v13
; %bb.33:
	v_add_nc_u32_e32 v13, s5, v32
	v_add_nc_u32_e32 v14, s7, v32
	s_delay_alu instid0(VALU_DEP_2) | instskip(NEXT) | instid1(VALU_DEP_2)
	v_mul_lo_u32 v13, v13, s4
	v_mul_lo_u32 v14, v14, s6
	s_delay_alu instid0(VALU_DEP_1) | instskip(NEXT) | instid1(VALU_DEP_1)
	v_sub_nc_u32_e32 v13, v13, v14
	v_cmp_lt_u32_e32 vcc_lo, s2, v13
	v_cndmask_b32_e64 v34, 0, 1, vcc_lo
; %bb.34:
	s_or_b32 exec_lo, exec_lo, s0
	v_lshlrev_b16 v2, 8, v2
	v_lshlrev_b16 v4, 8, v4
	;; [unrolled: 1-line block ×5, first 2 shown]
	v_or_b32_e32 v1, v1, v2
	v_lshlrev_b16 v2, 8, v12
	v_or_b32_e32 v3, v3, v4
	v_or_b32_e32 v4, v5, v6
	;; [unrolled: 1-line block ×5, first 2 shown]
	v_and_b32_e32 v1, 0xffff, v1
	v_lshlrev_b32_e32 v3, 16, v3
	v_and_b32_e32 v4, 0xffff, v4
	v_lshlrev_b32_e32 v5, 16, v5
	;; [unrolled: 2-line block ×3, first 2 shown]
	v_or_b32_e32 v39, v1, v3
	s_delay_alu instid0(VALU_DEP_4) | instskip(NEXT) | instid1(VALU_DEP_3)
	v_or_b32_e32 v37, v4, v5
	v_or_b32_e32 v35, v6, v2
.LBB487_35:
	s_delay_alu instid0(VALU_DEP_3)
	v_and_b32_e32 v41, 0xff, v39
	v_bfe_u32 v42, v39, 8, 8
	v_bfe_u32 v43, v39, 16, 8
	v_lshrrev_b32_e32 v40, 24, v39
	v_and_b32_e32 v44, 0xff, v37
	v_bfe_u32 v45, v37, 8, 8
	v_bfe_u32 v46, v37, 16, 8
	v_add3_u32 v1, v42, v41, v43
	v_lshrrev_b32_e32 v38, 24, v37
	v_and_b32_e32 v47, 0xff, v35
	v_bfe_u32 v48, v35, 8, 8
	v_mbcnt_lo_u32_b32 v50, -1, 0
	v_add3_u32 v1, v1, v40, v44
	v_bfe_u32 v49, v35, 16, 8
	v_lshrrev_b32_e32 v36, 24, v35
	v_and_b32_e32 v2, 0xff, v34
	v_and_b32_e32 v3, 15, v50
	v_add3_u32 v1, v1, v45, v46
	v_or_b32_e32 v4, 31, v0
	v_and_b32_e32 v5, 16, v50
	v_lshrrev_b32_e32 v51, 5, v0
	v_cmp_eq_u32_e64 s5, 0, v3
	v_add3_u32 v1, v1, v38, v47
	v_cmp_lt_u32_e64 s4, 1, v3
	v_cmp_lt_u32_e64 s3, 3, v3
	v_cmp_lt_u32_e64 s2, 7, v3
	v_cmp_eq_u32_e64 s1, 0, v5
	v_add3_u32 v1, v1, v48, v49
	v_cmp_eq_u32_e64 s0, v4, v0
	s_cmp_lg_u32 s15, 0
	s_mov_b32 s6, -1
	s_delay_alu instid0(VALU_DEP_2)
	v_add3_u32 v52, v1, v36, v2
	s_cbranch_scc0 .LBB487_66
; %bb.36:
	s_delay_alu instid0(VALU_DEP_1) | instskip(NEXT) | instid1(VALU_DEP_1)
	v_mov_b32_dpp v1, v52 row_shr:1 row_mask:0xf bank_mask:0xf
	v_cndmask_b32_e64 v1, v1, 0, s5
	s_delay_alu instid0(VALU_DEP_1) | instskip(NEXT) | instid1(VALU_DEP_1)
	v_add_nc_u32_e32 v1, v1, v52
	v_mov_b32_dpp v2, v1 row_shr:2 row_mask:0xf bank_mask:0xf
	s_delay_alu instid0(VALU_DEP_1) | instskip(NEXT) | instid1(VALU_DEP_1)
	v_cndmask_b32_e64 v2, 0, v2, s4
	v_add_nc_u32_e32 v1, v1, v2
	s_delay_alu instid0(VALU_DEP_1) | instskip(NEXT) | instid1(VALU_DEP_1)
	v_mov_b32_dpp v2, v1 row_shr:4 row_mask:0xf bank_mask:0xf
	v_cndmask_b32_e64 v2, 0, v2, s3
	s_delay_alu instid0(VALU_DEP_1) | instskip(NEXT) | instid1(VALU_DEP_1)
	v_add_nc_u32_e32 v1, v1, v2
	v_mov_b32_dpp v2, v1 row_shr:8 row_mask:0xf bank_mask:0xf
	s_delay_alu instid0(VALU_DEP_1) | instskip(NEXT) | instid1(VALU_DEP_1)
	v_cndmask_b32_e64 v2, 0, v2, s2
	v_add_nc_u32_e32 v1, v1, v2
	ds_swizzle_b32 v2, v1 offset:swizzle(BROADCAST,32,15)
	s_waitcnt lgkmcnt(0)
	v_cndmask_b32_e64 v2, v2, 0, s1
	s_delay_alu instid0(VALU_DEP_1)
	v_add_nc_u32_e32 v1, v1, v2
	s_and_saveexec_b32 s6, s0
	s_cbranch_execz .LBB487_38
; %bb.37:
	v_lshlrev_b32_e32 v2, 2, v51
	ds_store_b32 v2, v1
.LBB487_38:
	s_or_b32 exec_lo, exec_lo, s6
	s_delay_alu instid0(SALU_CYCLE_1)
	s_mov_b32 s6, exec_lo
	s_waitcnt lgkmcnt(0)
	s_barrier
	buffer_gl0_inv
	v_cmpx_gt_u32_e32 8, v0
	s_cbranch_execz .LBB487_40
; %bb.39:
	ds_load_b32 v2, v30
	s_waitcnt lgkmcnt(0)
	v_mov_b32_dpp v4, v2 row_shr:1 row_mask:0xf bank_mask:0xf
	v_and_b32_e32 v3, 7, v50
	s_delay_alu instid0(VALU_DEP_1) | instskip(NEXT) | instid1(VALU_DEP_3)
	v_cmp_ne_u32_e32 vcc_lo, 0, v3
	v_cndmask_b32_e32 v4, 0, v4, vcc_lo
	v_cmp_lt_u32_e32 vcc_lo, 1, v3
	s_delay_alu instid0(VALU_DEP_2) | instskip(NEXT) | instid1(VALU_DEP_1)
	v_add_nc_u32_e32 v2, v4, v2
	v_mov_b32_dpp v4, v2 row_shr:2 row_mask:0xf bank_mask:0xf
	s_delay_alu instid0(VALU_DEP_1) | instskip(SKIP_1) | instid1(VALU_DEP_2)
	v_cndmask_b32_e32 v4, 0, v4, vcc_lo
	v_cmp_lt_u32_e32 vcc_lo, 3, v3
	v_add_nc_u32_e32 v2, v2, v4
	s_delay_alu instid0(VALU_DEP_1) | instskip(NEXT) | instid1(VALU_DEP_1)
	v_mov_b32_dpp v4, v2 row_shr:4 row_mask:0xf bank_mask:0xf
	v_cndmask_b32_e32 v3, 0, v4, vcc_lo
	s_delay_alu instid0(VALU_DEP_1)
	v_add_nc_u32_e32 v2, v2, v3
	ds_store_b32 v30, v2
.LBB487_40:
	s_or_b32 exec_lo, exec_lo, s6
	v_cmp_gt_u32_e32 vcc_lo, 32, v0
	s_mov_b32 s7, exec_lo
	s_waitcnt lgkmcnt(0)
	s_barrier
	buffer_gl0_inv
                                        ; implicit-def: $vgpr8
	v_cmpx_lt_u32_e32 31, v0
	s_cbranch_execz .LBB487_42
; %bb.41:
	v_lshl_add_u32 v2, v51, 2, -4
	ds_load_b32 v8, v2
	s_waitcnt lgkmcnt(0)
	v_add_nc_u32_e32 v1, v8, v1
.LBB487_42:
	s_or_b32 exec_lo, exec_lo, s7
	v_add_nc_u32_e32 v2, -1, v50
	s_delay_alu instid0(VALU_DEP_1) | instskip(NEXT) | instid1(VALU_DEP_1)
	v_cmp_gt_i32_e64 s6, 0, v2
	v_cndmask_b32_e64 v2, v2, v50, s6
	v_cmp_eq_u32_e64 s6, 0, v50
	s_delay_alu instid0(VALU_DEP_2)
	v_lshlrev_b32_e32 v2, 2, v2
	ds_bpermute_b32 v9, v2, v1
	s_and_saveexec_b32 s7, vcc_lo
	s_cbranch_execz .LBB487_65
; %bb.43:
	v_mov_b32_e32 v4, 0
	ds_load_b32 v1, v4 offset:28
	s_and_saveexec_b32 s24, s6
	s_cbranch_execz .LBB487_45
; %bb.44:
	s_add_i32 s26, s15, 32
	s_mov_b32 s27, 0
	v_mov_b32_e32 v2, 1
	s_lshl_b64 s[26:27], s[26:27], 3
	s_delay_alu instid0(SALU_CYCLE_1)
	s_add_u32 s26, s20, s26
	s_addc_u32 s27, s21, s27
	s_waitcnt lgkmcnt(0)
	global_store_b64 v4, v[1:2], s[26:27]
.LBB487_45:
	s_or_b32 exec_lo, exec_lo, s24
	v_xad_u32 v2, v50, -1, s15
	s_mov_b32 s25, 0
	s_mov_b32 s24, exec_lo
	s_delay_alu instid0(VALU_DEP_1) | instskip(NEXT) | instid1(VALU_DEP_1)
	v_add_nc_u32_e32 v3, 32, v2
	v_lshlrev_b64 v[3:4], 3, v[3:4]
	s_delay_alu instid0(VALU_DEP_1) | instskip(NEXT) | instid1(VALU_DEP_2)
	v_add_co_u32 v6, vcc_lo, s20, v3
	v_add_co_ci_u32_e32 v7, vcc_lo, s21, v4, vcc_lo
	global_load_b64 v[4:5], v[6:7], off glc
	s_waitcnt vmcnt(0)
	v_and_b32_e32 v3, 0xff, v5
	s_delay_alu instid0(VALU_DEP_1)
	v_cmpx_eq_u16_e32 0, v3
	s_cbranch_execz .LBB487_51
; %bb.46:
	s_mov_b32 s26, 1
	.p2align	6
.LBB487_47:                             ; =>This Loop Header: Depth=1
                                        ;     Child Loop BB487_48 Depth 2
	s_delay_alu instid0(SALU_CYCLE_1)
	s_max_u32 s27, s26, 1
.LBB487_48:                             ;   Parent Loop BB487_47 Depth=1
                                        ; =>  This Inner Loop Header: Depth=2
	s_delay_alu instid0(SALU_CYCLE_1)
	s_add_i32 s27, s27, -1
	s_sleep 1
	s_cmp_eq_u32 s27, 0
	s_cbranch_scc0 .LBB487_48
; %bb.49:                               ;   in Loop: Header=BB487_47 Depth=1
	global_load_b64 v[4:5], v[6:7], off glc
	s_cmp_lt_u32 s26, 32
	s_cselect_b32 s27, -1, 0
	s_delay_alu instid0(SALU_CYCLE_1) | instskip(SKIP_3) | instid1(VALU_DEP_1)
	s_cmp_lg_u32 s27, 0
	s_addc_u32 s26, s26, 0
	s_waitcnt vmcnt(0)
	v_and_b32_e32 v3, 0xff, v5
	v_cmp_ne_u16_e32 vcc_lo, 0, v3
	s_or_b32 s25, vcc_lo, s25
	s_delay_alu instid0(SALU_CYCLE_1)
	s_and_not1_b32 exec_lo, exec_lo, s25
	s_cbranch_execnz .LBB487_47
; %bb.50:
	s_or_b32 exec_lo, exec_lo, s25
.LBB487_51:
	s_delay_alu instid0(SALU_CYCLE_1)
	s_or_b32 exec_lo, exec_lo, s24
	v_cmp_ne_u32_e32 vcc_lo, 31, v50
	v_lshlrev_b32_e64 v11, v50, -1
	v_add_nc_u32_e32 v13, 2, v50
	v_add_nc_u32_e32 v16, 4, v50
	;; [unrolled: 1-line block ×3, first 2 shown]
	v_add_co_ci_u32_e32 v3, vcc_lo, 0, v50, vcc_lo
	v_add_nc_u32_e32 v55, 16, v50
	s_delay_alu instid0(VALU_DEP_2) | instskip(SKIP_2) | instid1(VALU_DEP_1)
	v_lshlrev_b32_e32 v10, 2, v3
	ds_bpermute_b32 v6, v10, v4
	v_and_b32_e32 v3, 0xff, v5
	v_cmp_eq_u16_e32 vcc_lo, 2, v3
	v_and_or_b32 v3, vcc_lo, v11, 0x80000000
	v_cmp_gt_u32_e32 vcc_lo, 30, v50
	s_delay_alu instid0(VALU_DEP_2) | instskip(SKIP_1) | instid1(VALU_DEP_2)
	v_ctz_i32_b32_e32 v3, v3
	v_cndmask_b32_e64 v7, 0, 1, vcc_lo
	v_cmp_lt_u32_e32 vcc_lo, v50, v3
	s_waitcnt lgkmcnt(0)
	s_delay_alu instid0(VALU_DEP_2) | instskip(NEXT) | instid1(VALU_DEP_1)
	v_dual_cndmask_b32 v6, 0, v6 :: v_dual_lshlrev_b32 v7, 1, v7
	v_add_lshl_u32 v12, v7, v50, 2
	v_cmp_gt_u32_e32 vcc_lo, 28, v50
	s_delay_alu instid0(VALU_DEP_3) | instskip(SKIP_4) | instid1(VALU_DEP_1)
	v_add_nc_u32_e32 v4, v6, v4
	v_cndmask_b32_e64 v7, 0, 1, vcc_lo
	v_cmp_le_u32_e32 vcc_lo, v13, v3
	ds_bpermute_b32 v6, v12, v4
	v_lshlrev_b32_e32 v7, 2, v7
	v_add_lshl_u32 v14, v7, v50, 2
	s_waitcnt lgkmcnt(0)
	v_cndmask_b32_e32 v6, 0, v6, vcc_lo
	v_cmp_gt_u32_e32 vcc_lo, 24, v50
	s_delay_alu instid0(VALU_DEP_2) | instskip(SKIP_4) | instid1(VALU_DEP_1)
	v_add_nc_u32_e32 v4, v4, v6
	v_cndmask_b32_e64 v7, 0, 1, vcc_lo
	v_cmp_le_u32_e32 vcc_lo, v16, v3
	ds_bpermute_b32 v6, v14, v4
	v_lshlrev_b32_e32 v7, 3, v7
	v_add_lshl_u32 v17, v7, v50, 2
	s_waitcnt lgkmcnt(0)
	v_cndmask_b32_e32 v6, 0, v6, vcc_lo
	v_cmp_gt_u32_e32 vcc_lo, 16, v50
	s_delay_alu instid0(VALU_DEP_2) | instskip(SKIP_4) | instid1(VALU_DEP_1)
	v_add_nc_u32_e32 v4, v4, v6
	v_cndmask_b32_e64 v7, 0, 1, vcc_lo
	v_cmp_le_u32_e32 vcc_lo, v53, v3
	ds_bpermute_b32 v6, v17, v4
	v_lshlrev_b32_e32 v7, 4, v7
	v_add_lshl_u32 v54, v7, v50, 2
	s_waitcnt lgkmcnt(0)
	v_cndmask_b32_e32 v6, 0, v6, vcc_lo
	v_cmp_le_u32_e32 vcc_lo, v55, v3
	s_delay_alu instid0(VALU_DEP_2) | instskip(SKIP_3) | instid1(VALU_DEP_1)
	v_add_nc_u32_e32 v4, v4, v6
	ds_bpermute_b32 v6, v54, v4
	s_waitcnt lgkmcnt(0)
	v_cndmask_b32_e32 v3, 0, v6, vcc_lo
	v_dual_mov_b32 v3, 0 :: v_dual_add_nc_u32 v4, v4, v3
	s_branch .LBB487_53
.LBB487_52:                             ;   in Loop: Header=BB487_53 Depth=1
	s_or_b32 exec_lo, exec_lo, s24
	ds_bpermute_b32 v7, v10, v4
	v_and_b32_e32 v6, 0xff, v5
	v_subrev_nc_u32_e32 v2, 32, v2
	s_delay_alu instid0(VALU_DEP_2) | instskip(SKIP_1) | instid1(VALU_DEP_1)
	v_cmp_eq_u16_e32 vcc_lo, 2, v6
	v_and_or_b32 v6, vcc_lo, v11, 0x80000000
	v_ctz_i32_b32_e32 v6, v6
	s_delay_alu instid0(VALU_DEP_1) | instskip(SKIP_3) | instid1(VALU_DEP_2)
	v_cmp_lt_u32_e32 vcc_lo, v50, v6
	s_waitcnt lgkmcnt(0)
	v_cndmask_b32_e32 v7, 0, v7, vcc_lo
	v_cmp_le_u32_e32 vcc_lo, v13, v6
	v_add_nc_u32_e32 v4, v7, v4
	ds_bpermute_b32 v7, v12, v4
	s_waitcnt lgkmcnt(0)
	v_cndmask_b32_e32 v7, 0, v7, vcc_lo
	v_cmp_le_u32_e32 vcc_lo, v16, v6
	s_delay_alu instid0(VALU_DEP_2) | instskip(SKIP_4) | instid1(VALU_DEP_2)
	v_add_nc_u32_e32 v4, v4, v7
	ds_bpermute_b32 v7, v14, v4
	s_waitcnt lgkmcnt(0)
	v_cndmask_b32_e32 v7, 0, v7, vcc_lo
	v_cmp_le_u32_e32 vcc_lo, v53, v6
	v_add_nc_u32_e32 v4, v4, v7
	ds_bpermute_b32 v7, v17, v4
	s_waitcnt lgkmcnt(0)
	v_cndmask_b32_e32 v7, 0, v7, vcc_lo
	v_cmp_le_u32_e32 vcc_lo, v55, v6
	s_delay_alu instid0(VALU_DEP_2) | instskip(SKIP_3) | instid1(VALU_DEP_1)
	v_add_nc_u32_e32 v4, v4, v7
	ds_bpermute_b32 v7, v54, v4
	s_waitcnt lgkmcnt(0)
	v_cndmask_b32_e32 v6, 0, v7, vcc_lo
	v_add3_u32 v4, v6, v15, v4
.LBB487_53:                             ; =>This Loop Header: Depth=1
                                        ;     Child Loop BB487_56 Depth 2
                                        ;       Child Loop BB487_57 Depth 3
	v_and_b32_e32 v5, 0xff, v5
	s_delay_alu instid0(VALU_DEP_2) | instskip(NEXT) | instid1(VALU_DEP_2)
	v_mov_b32_e32 v15, v4
	v_cmp_ne_u16_e32 vcc_lo, 2, v5
	v_cndmask_b32_e64 v5, 0, 1, vcc_lo
	;;#ASMSTART
	;;#ASMEND
	s_delay_alu instid0(VALU_DEP_1)
	v_cmp_ne_u32_e32 vcc_lo, 0, v5
	s_cmp_lg_u32 vcc_lo, exec_lo
	s_cbranch_scc1 .LBB487_60
; %bb.54:                               ;   in Loop: Header=BB487_53 Depth=1
	v_lshlrev_b64 v[4:5], 3, v[2:3]
	s_mov_b32 s24, exec_lo
	s_delay_alu instid0(VALU_DEP_1) | instskip(NEXT) | instid1(VALU_DEP_2)
	v_add_co_u32 v6, vcc_lo, s20, v4
	v_add_co_ci_u32_e32 v7, vcc_lo, s21, v5, vcc_lo
	global_load_b64 v[4:5], v[6:7], off glc
	s_waitcnt vmcnt(0)
	v_and_b32_e32 v56, 0xff, v5
	s_delay_alu instid0(VALU_DEP_1)
	v_cmpx_eq_u16_e32 0, v56
	s_cbranch_execz .LBB487_52
; %bb.55:                               ;   in Loop: Header=BB487_53 Depth=1
	s_mov_b32 s26, 1
	s_mov_b32 s25, 0
	.p2align	6
.LBB487_56:                             ;   Parent Loop BB487_53 Depth=1
                                        ; =>  This Loop Header: Depth=2
                                        ;       Child Loop BB487_57 Depth 3
	s_max_u32 s27, s26, 1
.LBB487_57:                             ;   Parent Loop BB487_53 Depth=1
                                        ;     Parent Loop BB487_56 Depth=2
                                        ; =>    This Inner Loop Header: Depth=3
	s_delay_alu instid0(SALU_CYCLE_1)
	s_add_i32 s27, s27, -1
	s_sleep 1
	s_cmp_eq_u32 s27, 0
	s_cbranch_scc0 .LBB487_57
; %bb.58:                               ;   in Loop: Header=BB487_56 Depth=2
	global_load_b64 v[4:5], v[6:7], off glc
	s_cmp_lt_u32 s26, 32
	s_cselect_b32 s27, -1, 0
	s_delay_alu instid0(SALU_CYCLE_1) | instskip(SKIP_3) | instid1(VALU_DEP_1)
	s_cmp_lg_u32 s27, 0
	s_addc_u32 s26, s26, 0
	s_waitcnt vmcnt(0)
	v_and_b32_e32 v56, 0xff, v5
	v_cmp_ne_u16_e32 vcc_lo, 0, v56
	s_or_b32 s25, vcc_lo, s25
	s_delay_alu instid0(SALU_CYCLE_1)
	s_and_not1_b32 exec_lo, exec_lo, s25
	s_cbranch_execnz .LBB487_56
; %bb.59:                               ;   in Loop: Header=BB487_53 Depth=1
	s_or_b32 exec_lo, exec_lo, s25
	s_branch .LBB487_52
.LBB487_60:                             ;   in Loop: Header=BB487_53 Depth=1
                                        ; implicit-def: $vgpr4
                                        ; implicit-def: $vgpr5
	s_cbranch_execz .LBB487_53
; %bb.61:
	s_and_saveexec_b32 s24, s6
	s_cbranch_execz .LBB487_63
; %bb.62:
	s_add_i32 s26, s15, 32
	s_mov_b32 s27, 0
	v_dual_mov_b32 v3, 2 :: v_dual_add_nc_u32 v2, v15, v1
	s_lshl_b64 s[26:27], s[26:27], 3
	v_mov_b32_e32 v4, 0
	v_add_nc_u32_e64 v5, 0x3400, 0
	s_add_u32 s26, s20, s26
	s_addc_u32 s27, s21, s27
	global_store_b64 v4, v[2:3], s[26:27]
	ds_store_2addr_b32 v5, v1, v15 offset1:2
.LBB487_63:
	s_or_b32 exec_lo, exec_lo, s24
	v_cmp_eq_u32_e32 vcc_lo, 0, v0
	s_and_b32 exec_lo, exec_lo, vcc_lo
	s_cbranch_execz .LBB487_65
; %bb.64:
	v_mov_b32_e32 v1, 0
	ds_store_b32 v1, v15 offset:28
.LBB487_65:
	s_or_b32 exec_lo, exec_lo, s7
	s_waitcnt lgkmcnt(0)
	v_cndmask_b32_e64 v2, v9, v8, s6
	v_cmp_ne_u32_e32 vcc_lo, 0, v0
	v_mov_b32_e32 v1, 0
	s_waitcnt_vscnt null, 0x0
	s_barrier
	buffer_gl0_inv
	v_cndmask_b32_e32 v2, 0, v2, vcc_lo
	ds_load_b32 v1, v1 offset:28
	v_add_nc_u32_e64 v11, 0x3400, 0
	s_waitcnt lgkmcnt(0)
	s_barrier
	buffer_gl0_inv
	ds_load_2addr_b32 v[16:17], v11 offset1:2
	v_add_nc_u32_e32 v1, v1, v2
	s_delay_alu instid0(VALU_DEP_1) | instskip(NEXT) | instid1(VALU_DEP_1)
	v_add_nc_u32_e32 v2, v1, v41
	v_add_nc_u32_e32 v3, v2, v42
	s_delay_alu instid0(VALU_DEP_1) | instskip(NEXT) | instid1(VALU_DEP_1)
	v_add_nc_u32_e32 v4, v3, v43
	;; [unrolled: 3-line block ×6, first 2 shown]
	v_add_nc_u32_e32 v13, v12, v36
	s_branch .LBB487_76
.LBB487_66:
                                        ; implicit-def: $vgpr17
                                        ; implicit-def: $vgpr1_vgpr2_vgpr3_vgpr4_vgpr5_vgpr6_vgpr7_vgpr8_vgpr9_vgpr10_vgpr11_vgpr12_vgpr13_vgpr14_vgpr15_vgpr16
	s_and_b32 vcc_lo, exec_lo, s6
	s_cbranch_vccz .LBB487_76
; %bb.67:
	s_delay_alu instid0(VALU_DEP_1) | instskip(NEXT) | instid1(VALU_DEP_1)
	v_mov_b32_dpp v1, v52 row_shr:1 row_mask:0xf bank_mask:0xf
	v_cndmask_b32_e64 v1, v1, 0, s5
	s_delay_alu instid0(VALU_DEP_1) | instskip(NEXT) | instid1(VALU_DEP_1)
	v_add_nc_u32_e32 v1, v1, v52
	v_mov_b32_dpp v2, v1 row_shr:2 row_mask:0xf bank_mask:0xf
	s_delay_alu instid0(VALU_DEP_1) | instskip(NEXT) | instid1(VALU_DEP_1)
	v_cndmask_b32_e64 v2, 0, v2, s4
	v_add_nc_u32_e32 v1, v1, v2
	s_delay_alu instid0(VALU_DEP_1) | instskip(NEXT) | instid1(VALU_DEP_1)
	v_mov_b32_dpp v2, v1 row_shr:4 row_mask:0xf bank_mask:0xf
	v_cndmask_b32_e64 v2, 0, v2, s3
	s_delay_alu instid0(VALU_DEP_1) | instskip(NEXT) | instid1(VALU_DEP_1)
	v_add_nc_u32_e32 v1, v1, v2
	v_mov_b32_dpp v2, v1 row_shr:8 row_mask:0xf bank_mask:0xf
	s_delay_alu instid0(VALU_DEP_1) | instskip(NEXT) | instid1(VALU_DEP_1)
	v_cndmask_b32_e64 v2, 0, v2, s2
	v_add_nc_u32_e32 v1, v1, v2
	ds_swizzle_b32 v2, v1 offset:swizzle(BROADCAST,32,15)
	s_waitcnt lgkmcnt(0)
	v_cndmask_b32_e64 v2, v2, 0, s1
	s_delay_alu instid0(VALU_DEP_1)
	v_add_nc_u32_e32 v1, v1, v2
	s_and_saveexec_b32 s1, s0
	s_cbranch_execz .LBB487_69
; %bb.68:
	v_lshlrev_b32_e32 v2, 2, v51
	ds_store_b32 v2, v1
.LBB487_69:
	s_or_b32 exec_lo, exec_lo, s1
	s_delay_alu instid0(SALU_CYCLE_1)
	s_mov_b32 s0, exec_lo
	s_waitcnt lgkmcnt(0)
	s_barrier
	buffer_gl0_inv
	v_cmpx_gt_u32_e32 8, v0
	s_cbranch_execz .LBB487_71
; %bb.70:
	ds_load_b32 v2, v30
	s_waitcnt lgkmcnt(0)
	v_mov_b32_dpp v4, v2 row_shr:1 row_mask:0xf bank_mask:0xf
	v_and_b32_e32 v3, 7, v50
	s_delay_alu instid0(VALU_DEP_1) | instskip(NEXT) | instid1(VALU_DEP_3)
	v_cmp_ne_u32_e32 vcc_lo, 0, v3
	v_cndmask_b32_e32 v4, 0, v4, vcc_lo
	v_cmp_lt_u32_e32 vcc_lo, 1, v3
	s_delay_alu instid0(VALU_DEP_2) | instskip(NEXT) | instid1(VALU_DEP_1)
	v_add_nc_u32_e32 v2, v4, v2
	v_mov_b32_dpp v4, v2 row_shr:2 row_mask:0xf bank_mask:0xf
	s_delay_alu instid0(VALU_DEP_1) | instskip(SKIP_1) | instid1(VALU_DEP_2)
	v_cndmask_b32_e32 v4, 0, v4, vcc_lo
	v_cmp_lt_u32_e32 vcc_lo, 3, v3
	v_add_nc_u32_e32 v2, v2, v4
	s_delay_alu instid0(VALU_DEP_1) | instskip(NEXT) | instid1(VALU_DEP_1)
	v_mov_b32_dpp v4, v2 row_shr:4 row_mask:0xf bank_mask:0xf
	v_cndmask_b32_e32 v3, 0, v4, vcc_lo
	s_delay_alu instid0(VALU_DEP_1)
	v_add_nc_u32_e32 v2, v2, v3
	ds_store_b32 v30, v2
.LBB487_71:
	s_or_b32 exec_lo, exec_lo, s0
	v_dual_mov_b32 v3, 0 :: v_dual_mov_b32 v2, 0
	s_mov_b32 s0, exec_lo
	s_waitcnt lgkmcnt(0)
	s_barrier
	buffer_gl0_inv
	v_cmpx_lt_u32_e32 31, v0
	s_cbranch_execz .LBB487_73
; %bb.72:
	v_lshl_add_u32 v2, v51, 2, -4
	ds_load_b32 v2, v2
.LBB487_73:
	s_or_b32 exec_lo, exec_lo, s0
	v_add_nc_u32_e32 v4, -1, v50
	ds_load_b32 v16, v3 offset:28
	s_waitcnt lgkmcnt(1)
	v_add_nc_u32_e32 v1, v2, v1
	v_cmp_gt_i32_e32 vcc_lo, 0, v4
	v_cndmask_b32_e32 v4, v4, v50, vcc_lo
	v_cmp_eq_u32_e32 vcc_lo, 0, v0
	s_delay_alu instid0(VALU_DEP_2)
	v_lshlrev_b32_e32 v4, 2, v4
	ds_bpermute_b32 v1, v4, v1
	s_and_saveexec_b32 s0, vcc_lo
	s_cbranch_execz .LBB487_75
; %bb.74:
	v_mov_b32_e32 v3, 0
	v_mov_b32_e32 v17, 2
	s_waitcnt lgkmcnt(1)
	global_store_b64 v3, v[16:17], s[20:21] offset:256
.LBB487_75:
	s_or_b32 exec_lo, exec_lo, s0
	v_cmp_eq_u32_e64 s0, 0, v50
	s_waitcnt lgkmcnt(0)
	s_waitcnt_vscnt null, 0x0
	s_barrier
	buffer_gl0_inv
	v_mov_b32_e32 v17, 0
	v_cndmask_b32_e64 v1, v1, v2, s0
	s_delay_alu instid0(VALU_DEP_1) | instskip(NEXT) | instid1(VALU_DEP_1)
	v_cndmask_b32_e64 v1, v1, 0, vcc_lo
	v_add_nc_u32_e32 v2, v1, v41
	s_delay_alu instid0(VALU_DEP_1) | instskip(NEXT) | instid1(VALU_DEP_1)
	v_add_nc_u32_e32 v3, v2, v42
	v_add_nc_u32_e32 v4, v3, v43
	s_delay_alu instid0(VALU_DEP_1) | instskip(NEXT) | instid1(VALU_DEP_1)
	v_add_nc_u32_e32 v5, v4, v40
	;; [unrolled: 3-line block ×5, first 2 shown]
	v_add_nc_u32_e32 v12, v11, v49
	s_delay_alu instid0(VALU_DEP_1)
	v_add_nc_u32_e32 v13, v12, v36
.LBB487_76:
	v_lshrrev_b32_e32 v44, 8, v39
	v_lshrrev_b32_e32 v43, 16, v39
	s_waitcnt lgkmcnt(0)
	v_sub_nc_u32_e32 v1, v1, v17
	v_and_b32_e32 v39, 1, v39
	v_sub_nc_u32_e32 v3, v3, v17
	v_add_nc_u32_e32 v33, v16, v33
	v_sub_nc_u32_e32 v2, v2, v17
	v_sub_nc_u32_e32 v4, v4, v17
	v_cmp_eq_u32_e32 vcc_lo, 1, v39
	v_and_b32_e32 v39, 1, v43
	v_sub_nc_u32_e32 v45, v33, v1
	v_and_b32_e32 v44, 1, v44
	v_sub_nc_u32_e32 v43, v33, v2
	v_lshrrev_b32_e32 v42, 8, v37
	v_lshrrev_b32_e32 v41, 16, v37
	v_cndmask_b32_e32 v1, v45, v1, vcc_lo
	v_sub_nc_u32_e32 v45, v33, v3
	v_add_nc_u32_e32 v43, 1, v43
	v_cmp_eq_u32_e32 vcc_lo, 1, v44
	v_and_b32_e32 v40, 1, v40
	v_lshlrev_b32_e32 v1, 2, v1
	v_add_nc_u32_e32 v45, 2, v45
	v_lshrrev_b32_e32 v15, 8, v35
	v_lshrrev_b32_e32 v14, 16, v35
	ds_store_b32 v1, v28
	v_cndmask_b32_e32 v1, v43, v2, vcc_lo
	v_cmp_eq_u32_e32 vcc_lo, 1, v39
	v_or_b32_e32 v28, 0x500, v0
	s_delay_alu instid0(VALU_DEP_3)
	v_dual_cndmask_b32 v2, v45, v3 :: v_dual_lshlrev_b32 v1, 2, v1
	v_sub_nc_u32_e32 v46, v33, v4
	v_cmp_eq_u32_e32 vcc_lo, 1, v40
	ds_store_b32 v1, v29
	v_lshlrev_b32_e32 v2, 2, v2
	v_add_nc_u32_e32 v46, 3, v46
	v_or_b32_e32 v29, 0x400, v0
	s_delay_alu instid0(VALU_DEP_2) | instskip(SKIP_2) | instid1(VALU_DEP_3)
	v_cndmask_b32_e32 v3, v46, v4, vcc_lo
	v_sub_nc_u32_e32 v4, v5, v17
	v_sub_nc_u32_e32 v5, v6, v17
	v_lshlrev_b32_e32 v3, 2, v3
	s_delay_alu instid0(VALU_DEP_3) | instskip(NEXT) | instid1(VALU_DEP_3)
	v_sub_nc_u32_e32 v1, v33, v4
	v_sub_nc_u32_e32 v6, v33, v5
	ds_store_b32 v2, v26
	ds_store_b32 v3, v27
	v_and_b32_e32 v2, 1, v37
	v_add_nc_u32_e32 v1, 4, v1
	v_add_nc_u32_e32 v3, 5, v6
	v_sub_nc_u32_e32 v6, v7, v17
	v_and_b32_e32 v7, 1, v42
	v_cmp_eq_u32_e32 vcc_lo, 1, v2
	v_sub_nc_u32_e32 v2, v8, v17
	v_and_b32_e32 v8, 1, v38
	v_or_b32_e32 v27, 0x600, v0
	v_or_b32_e32 v26, 0x700, v0
	v_cndmask_b32_e32 v1, v1, v4, vcc_lo
	v_sub_nc_u32_e32 v4, v33, v6
	v_cmp_eq_u32_e32 vcc_lo, 1, v7
	v_and_b32_e32 v7, 1, v41
	s_delay_alu instid0(VALU_DEP_4) | instskip(NEXT) | instid1(VALU_DEP_4)
	v_lshlrev_b32_e32 v1, 2, v1
	v_dual_cndmask_b32 v3, v3, v5 :: v_dual_add_nc_u32 v4, 6, v4
	v_sub_nc_u32_e32 v5, v33, v2
	s_delay_alu instid0(VALU_DEP_4) | instskip(SKIP_1) | instid1(VALU_DEP_4)
	v_cmp_eq_u32_e32 vcc_lo, 1, v7
	v_sub_nc_u32_e32 v7, v13, v17
	v_lshlrev_b32_e32 v3, 2, v3
	s_delay_alu instid0(VALU_DEP_4)
	v_dual_cndmask_b32 v4, v4, v6 :: v_dual_add_nc_u32 v5, 7, v5
	v_cmp_eq_u32_e32 vcc_lo, 1, v8
	v_sub_nc_u32_e32 v6, v9, v17
	ds_store_b32 v1, v24
	ds_store_b32 v3, v25
	v_or_b32_e32 v25, 0x800, v0
	v_dual_cndmask_b32 v2, v5, v2 :: v_dual_lshlrev_b32 v3, 2, v4
	v_and_b32_e32 v5, 1, v35
	v_sub_nc_u32_e32 v1, v33, v6
	v_sub_nc_u32_e32 v4, v10, v17
	v_and_b32_e32 v10, 1, v36
	v_or_b32_e32 v24, 0x900, v0
	v_cmp_eq_u32_e32 vcc_lo, 1, v5
	v_sub_nc_u32_e32 v5, v12, v17
	v_add_nc_u32_e32 v1, 8, v1
	s_delay_alu instid0(VALU_DEP_2) | instskip(NEXT) | instid1(VALU_DEP_2)
	v_sub_nc_u32_e32 v9, v33, v5
	v_dual_cndmask_b32 v1, v1, v6 :: v_dual_and_b32 v6, 1, v15
	v_add_co_u32 v15, s0, s18, v17
	s_delay_alu instid0(VALU_DEP_3)
	v_add_nc_u32_e32 v9, 11, v9
	v_lshlrev_b32_e32 v2, 2, v2
	ds_store_b32 v3, v22
	ds_store_b32 v2, v23
	v_sub_nc_u32_e32 v3, v11, v17
	v_sub_nc_u32_e32 v2, v33, v4
	v_cmp_eq_u32_e32 vcc_lo, 1, v6
	v_and_b32_e32 v11, 1, v34
	v_lshlrev_b32_e32 v1, 2, v1
	v_sub_nc_u32_e32 v8, v33, v3
	v_add_nc_u32_e32 v2, 9, v2
	v_add_co_ci_u32_e64 v17, null, s19, 0, s0
	s_add_u32 s0, s16, s23
	s_delay_alu instid0(VALU_DEP_3)
	v_add_nc_u32_e32 v6, 10, v8
	v_and_b32_e32 v8, 1, v14
	v_cndmask_b32_e32 v2, v2, v4, vcc_lo
	v_sub_nc_u32_e32 v4, v33, v7
	s_addc_u32 s1, s17, 0
	s_sub_u32 s0, s12, s0
	v_cmp_eq_u32_e32 vcc_lo, 1, v8
	v_lshlrev_b32_e32 v2, 2, v2
	v_add_nc_u32_e32 v4, 12, v4
	s_subb_u32 s1, s13, s1
	v_add_co_u32 v13, s0, s0, v16
	v_cndmask_b32_e32 v3, v6, v3, vcc_lo
	v_cmp_eq_u32_e32 vcc_lo, 1, v10
	v_add_co_ci_u32_e64 v14, null, s1, 0, s0
	v_or_b32_e32 v34, 0x100, v0
	s_delay_alu instid0(VALU_DEP_4)
	v_lshlrev_b32_e32 v3, 2, v3
	v_cndmask_b32_e32 v5, v9, v5, vcc_lo
	v_cmp_eq_u32_e32 vcc_lo, 1, v11
	v_or_b32_e32 v33, 0x200, v0
	v_or_b32_e32 v23, 0xa00, v0
	;; [unrolled: 1-line block ×3, first 2 shown]
	v_dual_cndmask_b32 v4, v4, v7 :: v_dual_lshlrev_b32 v5, 2, v5
	v_cmp_ne_u32_e32 vcc_lo, 1, v31
	s_delay_alu instid0(VALU_DEP_2)
	v_lshlrev_b32_e32 v4, 2, v4
	ds_store_b32 v1, v20
	ds_store_b32 v2, v21
	;; [unrolled: 1-line block ×5, first 2 shown]
	s_waitcnt lgkmcnt(0)
	s_barrier
	buffer_gl0_inv
	ds_load_2addr_stride64_b32 v[11:12], v30 offset1:4
	ds_load_2addr_stride64_b32 v[9:10], v30 offset0:8 offset1:12
	ds_load_2addr_stride64_b32 v[7:8], v30 offset0:16 offset1:20
	ds_load_2addr_stride64_b32 v[5:6], v30 offset0:24 offset1:28
	ds_load_2addr_stride64_b32 v[3:4], v30 offset0:32 offset1:36
	ds_load_2addr_stride64_b32 v[1:2], v30 offset0:40 offset1:44
	ds_load_b32 v18, v30 offset:12288
	v_add_co_u32 v20, s0, v13, v15
	v_or_b32_e32 v32, 0x300, v0
	v_or_b32_e32 v19, 0xc00, v0
	v_add_co_ci_u32_e64 v21, s0, v14, v17, s0
	s_mov_b32 s0, 0
	s_cbranch_vccnz .LBB487_130
; %bb.77:
	s_mov_b32 s0, exec_lo
                                        ; implicit-def: $vgpr13_vgpr14
	v_cmpx_ge_u32_e64 v0, v16
	s_xor_b32 s0, exec_lo, s0
; %bb.78:
	v_not_b32_e32 v13, v0
	s_delay_alu instid0(VALU_DEP_1) | instskip(SKIP_1) | instid1(VALU_DEP_2)
	v_ashrrev_i32_e32 v14, 31, v13
	v_add_co_u32 v13, vcc_lo, v20, v13
	v_add_co_ci_u32_e32 v14, vcc_lo, v21, v14, vcc_lo
; %bb.79:
	s_and_not1_saveexec_b32 s0, s0
; %bb.80:
	v_add_co_u32 v13, vcc_lo, v15, v0
	v_add_co_ci_u32_e32 v14, vcc_lo, 0, v17, vcc_lo
; %bb.81:
	s_or_b32 exec_lo, exec_lo, s0
	s_delay_alu instid0(VALU_DEP_1) | instskip(SKIP_1) | instid1(VALU_DEP_1)
	v_lshlrev_b64 v[13:14], 2, v[13:14]
	s_mov_b32 s0, exec_lo
	v_add_co_u32 v13, vcc_lo, s10, v13
	s_delay_alu instid0(VALU_DEP_2)
	v_add_co_ci_u32_e32 v14, vcc_lo, s11, v14, vcc_lo
	s_waitcnt lgkmcnt(6)
	global_store_b32 v[13:14], v11, off
                                        ; implicit-def: $vgpr13_vgpr14
	v_cmpx_ge_u32_e64 v34, v16
	s_xor_b32 s0, exec_lo, s0
; %bb.82:
	v_xor_b32_e32 v13, 0xfffffeff, v0
	s_delay_alu instid0(VALU_DEP_1) | instskip(SKIP_1) | instid1(VALU_DEP_2)
	v_ashrrev_i32_e32 v14, 31, v13
	v_add_co_u32 v13, vcc_lo, v20, v13
	v_add_co_ci_u32_e32 v14, vcc_lo, v21, v14, vcc_lo
; %bb.83:
	s_and_not1_saveexec_b32 s0, s0
; %bb.84:
	v_add_co_u32 v13, vcc_lo, v15, v34
	v_add_co_ci_u32_e32 v14, vcc_lo, 0, v17, vcc_lo
; %bb.85:
	s_or_b32 exec_lo, exec_lo, s0
	s_delay_alu instid0(VALU_DEP_1) | instskip(SKIP_1) | instid1(VALU_DEP_1)
	v_lshlrev_b64 v[13:14], 2, v[13:14]
	s_mov_b32 s0, exec_lo
	v_add_co_u32 v13, vcc_lo, s10, v13
	s_delay_alu instid0(VALU_DEP_2)
	v_add_co_ci_u32_e32 v14, vcc_lo, s11, v14, vcc_lo
	global_store_b32 v[13:14], v12, off
                                        ; implicit-def: $vgpr13_vgpr14
	v_cmpx_ge_u32_e64 v33, v16
	s_xor_b32 s0, exec_lo, s0
; %bb.86:
	v_xor_b32_e32 v13, 0xfffffdff, v0
	s_delay_alu instid0(VALU_DEP_1) | instskip(SKIP_1) | instid1(VALU_DEP_2)
	v_ashrrev_i32_e32 v14, 31, v13
	v_add_co_u32 v13, vcc_lo, v20, v13
	v_add_co_ci_u32_e32 v14, vcc_lo, v21, v14, vcc_lo
; %bb.87:
	s_and_not1_saveexec_b32 s0, s0
; %bb.88:
	v_add_co_u32 v13, vcc_lo, v15, v33
	v_add_co_ci_u32_e32 v14, vcc_lo, 0, v17, vcc_lo
; %bb.89:
	s_or_b32 exec_lo, exec_lo, s0
	s_delay_alu instid0(VALU_DEP_1) | instskip(SKIP_1) | instid1(VALU_DEP_1)
	v_lshlrev_b64 v[13:14], 2, v[13:14]
	s_mov_b32 s0, exec_lo
	v_add_co_u32 v13, vcc_lo, s10, v13
	s_delay_alu instid0(VALU_DEP_2)
	v_add_co_ci_u32_e32 v14, vcc_lo, s11, v14, vcc_lo
	s_waitcnt lgkmcnt(5)
	global_store_b32 v[13:14], v9, off
                                        ; implicit-def: $vgpr13_vgpr14
	v_cmpx_ge_u32_e64 v32, v16
	s_xor_b32 s0, exec_lo, s0
; %bb.90:
	v_xor_b32_e32 v13, 0xfffffcff, v0
	s_delay_alu instid0(VALU_DEP_1) | instskip(SKIP_1) | instid1(VALU_DEP_2)
	v_ashrrev_i32_e32 v14, 31, v13
	v_add_co_u32 v13, vcc_lo, v20, v13
	v_add_co_ci_u32_e32 v14, vcc_lo, v21, v14, vcc_lo
; %bb.91:
	s_and_not1_saveexec_b32 s0, s0
; %bb.92:
	v_add_co_u32 v13, vcc_lo, v15, v32
	v_add_co_ci_u32_e32 v14, vcc_lo, 0, v17, vcc_lo
; %bb.93:
	s_or_b32 exec_lo, exec_lo, s0
	s_delay_alu instid0(VALU_DEP_1) | instskip(SKIP_1) | instid1(VALU_DEP_1)
	v_lshlrev_b64 v[13:14], 2, v[13:14]
	s_mov_b32 s0, exec_lo
	v_add_co_u32 v13, vcc_lo, s10, v13
	s_delay_alu instid0(VALU_DEP_2)
	v_add_co_ci_u32_e32 v14, vcc_lo, s11, v14, vcc_lo
	global_store_b32 v[13:14], v10, off
                                        ; implicit-def: $vgpr13_vgpr14
	v_cmpx_ge_u32_e64 v29, v16
	s_xor_b32 s0, exec_lo, s0
; %bb.94:
	v_xor_b32_e32 v13, 0xfffffbff, v0
	;; [unrolled: 47-line block ×6, first 2 shown]
	s_delay_alu instid0(VALU_DEP_1) | instskip(SKIP_1) | instid1(VALU_DEP_2)
	v_ashrrev_i32_e32 v14, 31, v13
	v_add_co_u32 v13, vcc_lo, v20, v13
	v_add_co_ci_u32_e32 v14, vcc_lo, v21, v14, vcc_lo
; %bb.127:
	s_and_not1_saveexec_b32 s0, s0
; %bb.128:
	v_add_co_u32 v13, vcc_lo, v15, v19
	v_add_co_ci_u32_e32 v14, vcc_lo, 0, v17, vcc_lo
; %bb.129:
	s_or_b32 exec_lo, exec_lo, s0
	s_mov_b32 s0, -1
	s_branch .LBB487_210
.LBB487_130:
                                        ; implicit-def: $vgpr13_vgpr14
	s_cbranch_execz .LBB487_210
; %bb.131:
	s_mov_b32 s1, exec_lo
	v_cmpx_gt_u32_e64 s22, v0
	s_cbranch_execz .LBB487_167
; %bb.132:
	s_mov_b32 s2, exec_lo
                                        ; implicit-def: $vgpr13_vgpr14
	v_cmpx_ge_u32_e64 v0, v16
	s_xor_b32 s2, exec_lo, s2
; %bb.133:
	v_not_b32_e32 v13, v0
	s_delay_alu instid0(VALU_DEP_1) | instskip(SKIP_1) | instid1(VALU_DEP_2)
	v_ashrrev_i32_e32 v14, 31, v13
	v_add_co_u32 v13, vcc_lo, v20, v13
	v_add_co_ci_u32_e32 v14, vcc_lo, v21, v14, vcc_lo
; %bb.134:
	s_and_not1_saveexec_b32 s2, s2
; %bb.135:
	v_add_co_u32 v13, vcc_lo, v15, v0
	v_add_co_ci_u32_e32 v14, vcc_lo, 0, v17, vcc_lo
; %bb.136:
	s_or_b32 exec_lo, exec_lo, s2
	s_delay_alu instid0(VALU_DEP_1) | instskip(NEXT) | instid1(VALU_DEP_1)
	v_lshlrev_b64 v[13:14], 2, v[13:14]
	v_add_co_u32 v13, vcc_lo, s10, v13
	s_delay_alu instid0(VALU_DEP_2) | instskip(SKIP_3) | instid1(SALU_CYCLE_1)
	v_add_co_ci_u32_e32 v14, vcc_lo, s11, v14, vcc_lo
	s_waitcnt lgkmcnt(6)
	global_store_b32 v[13:14], v11, off
	s_or_b32 exec_lo, exec_lo, s1
	s_mov_b32 s1, exec_lo
	v_cmpx_gt_u32_e64 s22, v34
	s_cbranch_execnz .LBB487_168
.LBB487_137:
	s_or_b32 exec_lo, exec_lo, s1
	s_delay_alu instid0(SALU_CYCLE_1)
	s_mov_b32 s1, exec_lo
	v_cmpx_gt_u32_e64 s22, v33
	s_cbranch_execz .LBB487_173
.LBB487_138:
	s_mov_b32 s2, exec_lo
                                        ; implicit-def: $vgpr11_vgpr12
	v_cmpx_ge_u32_e64 v33, v16
	s_xor_b32 s2, exec_lo, s2
	s_cbranch_execz .LBB487_140
; %bb.139:
	s_waitcnt lgkmcnt(6)
	v_xor_b32_e32 v11, 0xfffffdff, v0
                                        ; implicit-def: $vgpr33
	s_delay_alu instid0(VALU_DEP_1) | instskip(SKIP_1) | instid1(VALU_DEP_2)
	v_ashrrev_i32_e32 v12, 31, v11
	v_add_co_u32 v11, vcc_lo, v20, v11
	v_add_co_ci_u32_e32 v12, vcc_lo, v21, v12, vcc_lo
.LBB487_140:
	s_and_not1_saveexec_b32 s2, s2
	s_cbranch_execz .LBB487_142
; %bb.141:
	s_waitcnt lgkmcnt(6)
	v_add_co_u32 v11, vcc_lo, v15, v33
	v_add_co_ci_u32_e32 v12, vcc_lo, 0, v17, vcc_lo
.LBB487_142:
	s_or_b32 exec_lo, exec_lo, s2
	s_waitcnt lgkmcnt(6)
	s_delay_alu instid0(VALU_DEP_1) | instskip(NEXT) | instid1(VALU_DEP_1)
	v_lshlrev_b64 v[11:12], 2, v[11:12]
	v_add_co_u32 v11, vcc_lo, s10, v11
	s_delay_alu instid0(VALU_DEP_2) | instskip(SKIP_3) | instid1(SALU_CYCLE_1)
	v_add_co_ci_u32_e32 v12, vcc_lo, s11, v12, vcc_lo
	s_waitcnt lgkmcnt(5)
	global_store_b32 v[11:12], v9, off
	s_or_b32 exec_lo, exec_lo, s1
	s_mov_b32 s1, exec_lo
	v_cmpx_gt_u32_e64 s22, v32
	s_cbranch_execnz .LBB487_174
.LBB487_143:
	s_or_b32 exec_lo, exec_lo, s1
	s_delay_alu instid0(SALU_CYCLE_1)
	s_mov_b32 s1, exec_lo
	v_cmpx_gt_u32_e64 s22, v29
	s_cbranch_execz .LBB487_179
.LBB487_144:
	s_mov_b32 s2, exec_lo
                                        ; implicit-def: $vgpr9_vgpr10
	v_cmpx_ge_u32_e64 v29, v16
	s_xor_b32 s2, exec_lo, s2
	s_cbranch_execz .LBB487_146
; %bb.145:
	s_waitcnt lgkmcnt(5)
	v_xor_b32_e32 v9, 0xfffffbff, v0
                                        ; implicit-def: $vgpr29
	s_delay_alu instid0(VALU_DEP_1) | instskip(SKIP_1) | instid1(VALU_DEP_2)
	v_ashrrev_i32_e32 v10, 31, v9
	v_add_co_u32 v9, vcc_lo, v20, v9
	v_add_co_ci_u32_e32 v10, vcc_lo, v21, v10, vcc_lo
.LBB487_146:
	s_and_not1_saveexec_b32 s2, s2
	s_cbranch_execz .LBB487_148
; %bb.147:
	s_waitcnt lgkmcnt(5)
	v_add_co_u32 v9, vcc_lo, v15, v29
	v_add_co_ci_u32_e32 v10, vcc_lo, 0, v17, vcc_lo
.LBB487_148:
	s_or_b32 exec_lo, exec_lo, s2
	s_waitcnt lgkmcnt(5)
	s_delay_alu instid0(VALU_DEP_1) | instskip(NEXT) | instid1(VALU_DEP_1)
	v_lshlrev_b64 v[9:10], 2, v[9:10]
	v_add_co_u32 v9, vcc_lo, s10, v9
	s_delay_alu instid0(VALU_DEP_2) | instskip(SKIP_3) | instid1(SALU_CYCLE_1)
	v_add_co_ci_u32_e32 v10, vcc_lo, s11, v10, vcc_lo
	s_waitcnt lgkmcnt(4)
	global_store_b32 v[9:10], v7, off
	s_or_b32 exec_lo, exec_lo, s1
	s_mov_b32 s1, exec_lo
	v_cmpx_gt_u32_e64 s22, v28
	s_cbranch_execnz .LBB487_180
.LBB487_149:
	s_or_b32 exec_lo, exec_lo, s1
	s_delay_alu instid0(SALU_CYCLE_1)
	s_mov_b32 s1, exec_lo
	v_cmpx_gt_u32_e64 s22, v27
	s_cbranch_execz .LBB487_185
.LBB487_150:
	s_mov_b32 s2, exec_lo
                                        ; implicit-def: $vgpr7_vgpr8
	v_cmpx_ge_u32_e64 v27, v16
	s_xor_b32 s2, exec_lo, s2
	s_cbranch_execz .LBB487_152
; %bb.151:
	s_waitcnt lgkmcnt(4)
	v_xor_b32_e32 v7, 0xfffff9ff, v0
                                        ; implicit-def: $vgpr27
	s_delay_alu instid0(VALU_DEP_1) | instskip(SKIP_1) | instid1(VALU_DEP_2)
	v_ashrrev_i32_e32 v8, 31, v7
	v_add_co_u32 v7, vcc_lo, v20, v7
	v_add_co_ci_u32_e32 v8, vcc_lo, v21, v8, vcc_lo
.LBB487_152:
	s_and_not1_saveexec_b32 s2, s2
	s_cbranch_execz .LBB487_154
; %bb.153:
	s_waitcnt lgkmcnt(4)
	v_add_co_u32 v7, vcc_lo, v15, v27
	v_add_co_ci_u32_e32 v8, vcc_lo, 0, v17, vcc_lo
.LBB487_154:
	s_or_b32 exec_lo, exec_lo, s2
	s_waitcnt lgkmcnt(4)
	s_delay_alu instid0(VALU_DEP_1) | instskip(NEXT) | instid1(VALU_DEP_1)
	v_lshlrev_b64 v[7:8], 2, v[7:8]
	v_add_co_u32 v7, vcc_lo, s10, v7
	s_delay_alu instid0(VALU_DEP_2) | instskip(SKIP_3) | instid1(SALU_CYCLE_1)
	v_add_co_ci_u32_e32 v8, vcc_lo, s11, v8, vcc_lo
	s_waitcnt lgkmcnt(3)
	global_store_b32 v[7:8], v5, off
	s_or_b32 exec_lo, exec_lo, s1
	s_mov_b32 s1, exec_lo
	v_cmpx_gt_u32_e64 s22, v26
	s_cbranch_execnz .LBB487_186
.LBB487_155:
	s_or_b32 exec_lo, exec_lo, s1
	s_delay_alu instid0(SALU_CYCLE_1)
	s_mov_b32 s1, exec_lo
	v_cmpx_gt_u32_e64 s22, v25
	s_cbranch_execz .LBB487_191
.LBB487_156:
	s_mov_b32 s2, exec_lo
                                        ; implicit-def: $vgpr5_vgpr6
	v_cmpx_ge_u32_e64 v25, v16
	s_xor_b32 s2, exec_lo, s2
	s_cbranch_execz .LBB487_158
; %bb.157:
	s_waitcnt lgkmcnt(3)
	v_xor_b32_e32 v5, 0xfffff7ff, v0
                                        ; implicit-def: $vgpr25
	s_delay_alu instid0(VALU_DEP_1) | instskip(SKIP_1) | instid1(VALU_DEP_2)
	v_ashrrev_i32_e32 v6, 31, v5
	v_add_co_u32 v5, vcc_lo, v20, v5
	v_add_co_ci_u32_e32 v6, vcc_lo, v21, v6, vcc_lo
.LBB487_158:
	s_and_not1_saveexec_b32 s2, s2
	s_cbranch_execz .LBB487_160
; %bb.159:
	s_waitcnt lgkmcnt(3)
	v_add_co_u32 v5, vcc_lo, v15, v25
	v_add_co_ci_u32_e32 v6, vcc_lo, 0, v17, vcc_lo
.LBB487_160:
	s_or_b32 exec_lo, exec_lo, s2
	s_waitcnt lgkmcnt(3)
	s_delay_alu instid0(VALU_DEP_1) | instskip(NEXT) | instid1(VALU_DEP_1)
	v_lshlrev_b64 v[5:6], 2, v[5:6]
	v_add_co_u32 v5, vcc_lo, s10, v5
	s_delay_alu instid0(VALU_DEP_2) | instskip(SKIP_3) | instid1(SALU_CYCLE_1)
	v_add_co_ci_u32_e32 v6, vcc_lo, s11, v6, vcc_lo
	s_waitcnt lgkmcnt(2)
	global_store_b32 v[5:6], v3, off
	s_or_b32 exec_lo, exec_lo, s1
	s_mov_b32 s1, exec_lo
	v_cmpx_gt_u32_e64 s22, v24
	s_cbranch_execnz .LBB487_192
.LBB487_161:
	s_or_b32 exec_lo, exec_lo, s1
	s_delay_alu instid0(SALU_CYCLE_1)
	s_mov_b32 s1, exec_lo
	v_cmpx_gt_u32_e64 s22, v23
	s_cbranch_execz .LBB487_197
.LBB487_162:
	s_mov_b32 s2, exec_lo
                                        ; implicit-def: $vgpr3_vgpr4
	v_cmpx_ge_u32_e64 v23, v16
	s_xor_b32 s2, exec_lo, s2
	s_cbranch_execz .LBB487_164
; %bb.163:
	s_waitcnt lgkmcnt(2)
	v_xor_b32_e32 v3, 0xfffff5ff, v0
                                        ; implicit-def: $vgpr23
	s_delay_alu instid0(VALU_DEP_1) | instskip(SKIP_1) | instid1(VALU_DEP_2)
	v_ashrrev_i32_e32 v4, 31, v3
	v_add_co_u32 v3, vcc_lo, v20, v3
	v_add_co_ci_u32_e32 v4, vcc_lo, v21, v4, vcc_lo
.LBB487_164:
	s_and_not1_saveexec_b32 s2, s2
	s_cbranch_execz .LBB487_166
; %bb.165:
	s_waitcnt lgkmcnt(2)
	v_add_co_u32 v3, vcc_lo, v15, v23
	v_add_co_ci_u32_e32 v4, vcc_lo, 0, v17, vcc_lo
.LBB487_166:
	s_or_b32 exec_lo, exec_lo, s2
	s_waitcnt lgkmcnt(2)
	s_delay_alu instid0(VALU_DEP_1) | instskip(NEXT) | instid1(VALU_DEP_1)
	v_lshlrev_b64 v[3:4], 2, v[3:4]
	v_add_co_u32 v3, vcc_lo, s10, v3
	s_delay_alu instid0(VALU_DEP_2) | instskip(SKIP_3) | instid1(SALU_CYCLE_1)
	v_add_co_ci_u32_e32 v4, vcc_lo, s11, v4, vcc_lo
	s_waitcnt lgkmcnt(1)
	global_store_b32 v[3:4], v1, off
	s_or_b32 exec_lo, exec_lo, s1
	s_mov_b32 s1, exec_lo
	v_cmpx_gt_u32_e64 s22, v22
	s_cbranch_execz .LBB487_203
	s_branch .LBB487_198
.LBB487_167:
	s_or_b32 exec_lo, exec_lo, s1
	s_delay_alu instid0(SALU_CYCLE_1)
	s_mov_b32 s1, exec_lo
	v_cmpx_gt_u32_e64 s22, v34
	s_cbranch_execz .LBB487_137
.LBB487_168:
	s_mov_b32 s2, exec_lo
                                        ; implicit-def: $vgpr13_vgpr14
	v_cmpx_ge_u32_e64 v34, v16
	s_xor_b32 s2, exec_lo, s2
	s_cbranch_execz .LBB487_170
; %bb.169:
	s_waitcnt lgkmcnt(6)
	v_xor_b32_e32 v11, 0xfffffeff, v0
                                        ; implicit-def: $vgpr34
	s_delay_alu instid0(VALU_DEP_1) | instskip(SKIP_1) | instid1(VALU_DEP_2)
	v_ashrrev_i32_e32 v14, 31, v11
	v_add_co_u32 v13, vcc_lo, v20, v11
	v_add_co_ci_u32_e32 v14, vcc_lo, v21, v14, vcc_lo
.LBB487_170:
	s_and_not1_saveexec_b32 s2, s2
; %bb.171:
	v_add_co_u32 v13, vcc_lo, v15, v34
	v_add_co_ci_u32_e32 v14, vcc_lo, 0, v17, vcc_lo
; %bb.172:
	s_or_b32 exec_lo, exec_lo, s2
	s_delay_alu instid0(VALU_DEP_1) | instskip(NEXT) | instid1(VALU_DEP_1)
	v_lshlrev_b64 v[13:14], 2, v[13:14]
	v_add_co_u32 v13, vcc_lo, s10, v13
	s_delay_alu instid0(VALU_DEP_2) | instskip(SKIP_3) | instid1(SALU_CYCLE_1)
	v_add_co_ci_u32_e32 v14, vcc_lo, s11, v14, vcc_lo
	s_waitcnt lgkmcnt(6)
	global_store_b32 v[13:14], v12, off
	s_or_b32 exec_lo, exec_lo, s1
	s_mov_b32 s1, exec_lo
	v_cmpx_gt_u32_e64 s22, v33
	s_cbranch_execnz .LBB487_138
.LBB487_173:
	s_or_b32 exec_lo, exec_lo, s1
	s_delay_alu instid0(SALU_CYCLE_1)
	s_mov_b32 s1, exec_lo
	v_cmpx_gt_u32_e64 s22, v32
	s_cbranch_execz .LBB487_143
.LBB487_174:
	s_mov_b32 s2, exec_lo
                                        ; implicit-def: $vgpr11_vgpr12
	v_cmpx_ge_u32_e64 v32, v16
	s_xor_b32 s2, exec_lo, s2
	s_cbranch_execz .LBB487_176
; %bb.175:
	s_waitcnt lgkmcnt(5)
	v_xor_b32_e32 v9, 0xfffffcff, v0
                                        ; implicit-def: $vgpr32
	s_delay_alu instid0(VALU_DEP_1) | instskip(SKIP_1) | instid1(VALU_DEP_2)
	v_ashrrev_i32_e32 v12, 31, v9
	v_add_co_u32 v11, vcc_lo, v20, v9
	v_add_co_ci_u32_e32 v12, vcc_lo, v21, v12, vcc_lo
.LBB487_176:
	s_and_not1_saveexec_b32 s2, s2
	s_cbranch_execz .LBB487_178
; %bb.177:
	s_waitcnt lgkmcnt(6)
	v_add_co_u32 v11, vcc_lo, v15, v32
	v_add_co_ci_u32_e32 v12, vcc_lo, 0, v17, vcc_lo
.LBB487_178:
	s_or_b32 exec_lo, exec_lo, s2
	s_waitcnt lgkmcnt(6)
	s_delay_alu instid0(VALU_DEP_1) | instskip(NEXT) | instid1(VALU_DEP_1)
	v_lshlrev_b64 v[11:12], 2, v[11:12]
	v_add_co_u32 v11, vcc_lo, s10, v11
	s_delay_alu instid0(VALU_DEP_2) | instskip(SKIP_3) | instid1(SALU_CYCLE_1)
	v_add_co_ci_u32_e32 v12, vcc_lo, s11, v12, vcc_lo
	s_waitcnt lgkmcnt(5)
	global_store_b32 v[11:12], v10, off
	s_or_b32 exec_lo, exec_lo, s1
	s_mov_b32 s1, exec_lo
	v_cmpx_gt_u32_e64 s22, v29
	s_cbranch_execnz .LBB487_144
.LBB487_179:
	s_or_b32 exec_lo, exec_lo, s1
	s_delay_alu instid0(SALU_CYCLE_1)
	s_mov_b32 s1, exec_lo
	v_cmpx_gt_u32_e64 s22, v28
	s_cbranch_execz .LBB487_149
.LBB487_180:
	s_mov_b32 s2, exec_lo
                                        ; implicit-def: $vgpr9_vgpr10
	v_cmpx_ge_u32_e64 v28, v16
	s_xor_b32 s2, exec_lo, s2
	s_cbranch_execz .LBB487_182
; %bb.181:
	s_waitcnt lgkmcnt(4)
	v_xor_b32_e32 v7, 0xfffffaff, v0
                                        ; implicit-def: $vgpr28
	s_delay_alu instid0(VALU_DEP_1) | instskip(SKIP_1) | instid1(VALU_DEP_2)
	v_ashrrev_i32_e32 v10, 31, v7
	v_add_co_u32 v9, vcc_lo, v20, v7
	v_add_co_ci_u32_e32 v10, vcc_lo, v21, v10, vcc_lo
.LBB487_182:
	s_and_not1_saveexec_b32 s2, s2
	s_cbranch_execz .LBB487_184
; %bb.183:
	s_waitcnt lgkmcnt(5)
	v_add_co_u32 v9, vcc_lo, v15, v28
	v_add_co_ci_u32_e32 v10, vcc_lo, 0, v17, vcc_lo
.LBB487_184:
	s_or_b32 exec_lo, exec_lo, s2
	s_waitcnt lgkmcnt(5)
	s_delay_alu instid0(VALU_DEP_1) | instskip(NEXT) | instid1(VALU_DEP_1)
	v_lshlrev_b64 v[9:10], 2, v[9:10]
	v_add_co_u32 v9, vcc_lo, s10, v9
	s_delay_alu instid0(VALU_DEP_2) | instskip(SKIP_3) | instid1(SALU_CYCLE_1)
	v_add_co_ci_u32_e32 v10, vcc_lo, s11, v10, vcc_lo
	s_waitcnt lgkmcnt(4)
	global_store_b32 v[9:10], v8, off
	s_or_b32 exec_lo, exec_lo, s1
	s_mov_b32 s1, exec_lo
	v_cmpx_gt_u32_e64 s22, v27
	s_cbranch_execnz .LBB487_150
.LBB487_185:
	s_or_b32 exec_lo, exec_lo, s1
	s_delay_alu instid0(SALU_CYCLE_1)
	s_mov_b32 s1, exec_lo
	v_cmpx_gt_u32_e64 s22, v26
	s_cbranch_execz .LBB487_155
.LBB487_186:
	s_mov_b32 s2, exec_lo
                                        ; implicit-def: $vgpr7_vgpr8
	v_cmpx_ge_u32_e64 v26, v16
	s_xor_b32 s2, exec_lo, s2
	s_cbranch_execz .LBB487_188
; %bb.187:
	s_waitcnt lgkmcnt(3)
	v_xor_b32_e32 v5, 0xfffff8ff, v0
                                        ; implicit-def: $vgpr26
	s_delay_alu instid0(VALU_DEP_1) | instskip(SKIP_1) | instid1(VALU_DEP_2)
	v_ashrrev_i32_e32 v8, 31, v5
	v_add_co_u32 v7, vcc_lo, v20, v5
	v_add_co_ci_u32_e32 v8, vcc_lo, v21, v8, vcc_lo
.LBB487_188:
	s_and_not1_saveexec_b32 s2, s2
	s_cbranch_execz .LBB487_190
; %bb.189:
	s_waitcnt lgkmcnt(4)
	v_add_co_u32 v7, vcc_lo, v15, v26
	v_add_co_ci_u32_e32 v8, vcc_lo, 0, v17, vcc_lo
.LBB487_190:
	s_or_b32 exec_lo, exec_lo, s2
	s_waitcnt lgkmcnt(4)
	s_delay_alu instid0(VALU_DEP_1) | instskip(NEXT) | instid1(VALU_DEP_1)
	v_lshlrev_b64 v[7:8], 2, v[7:8]
	v_add_co_u32 v7, vcc_lo, s10, v7
	s_delay_alu instid0(VALU_DEP_2) | instskip(SKIP_3) | instid1(SALU_CYCLE_1)
	v_add_co_ci_u32_e32 v8, vcc_lo, s11, v8, vcc_lo
	s_waitcnt lgkmcnt(3)
	global_store_b32 v[7:8], v6, off
	s_or_b32 exec_lo, exec_lo, s1
	s_mov_b32 s1, exec_lo
	v_cmpx_gt_u32_e64 s22, v25
	s_cbranch_execnz .LBB487_156
.LBB487_191:
	s_or_b32 exec_lo, exec_lo, s1
	s_delay_alu instid0(SALU_CYCLE_1)
	s_mov_b32 s1, exec_lo
	v_cmpx_gt_u32_e64 s22, v24
	s_cbranch_execz .LBB487_161
.LBB487_192:
	s_mov_b32 s2, exec_lo
                                        ; implicit-def: $vgpr5_vgpr6
	v_cmpx_ge_u32_e64 v24, v16
	s_xor_b32 s2, exec_lo, s2
	s_cbranch_execz .LBB487_194
; %bb.193:
	s_waitcnt lgkmcnt(2)
	v_xor_b32_e32 v3, 0xfffff6ff, v0
                                        ; implicit-def: $vgpr24
	s_delay_alu instid0(VALU_DEP_1) | instskip(SKIP_1) | instid1(VALU_DEP_2)
	v_ashrrev_i32_e32 v6, 31, v3
	v_add_co_u32 v5, vcc_lo, v20, v3
	v_add_co_ci_u32_e32 v6, vcc_lo, v21, v6, vcc_lo
.LBB487_194:
	s_and_not1_saveexec_b32 s2, s2
	s_cbranch_execz .LBB487_196
; %bb.195:
	s_waitcnt lgkmcnt(3)
	v_add_co_u32 v5, vcc_lo, v15, v24
	v_add_co_ci_u32_e32 v6, vcc_lo, 0, v17, vcc_lo
.LBB487_196:
	s_or_b32 exec_lo, exec_lo, s2
	s_waitcnt lgkmcnt(3)
	s_delay_alu instid0(VALU_DEP_1) | instskip(NEXT) | instid1(VALU_DEP_1)
	v_lshlrev_b64 v[5:6], 2, v[5:6]
	v_add_co_u32 v5, vcc_lo, s10, v5
	s_delay_alu instid0(VALU_DEP_2) | instskip(SKIP_3) | instid1(SALU_CYCLE_1)
	v_add_co_ci_u32_e32 v6, vcc_lo, s11, v6, vcc_lo
	s_waitcnt lgkmcnt(2)
	global_store_b32 v[5:6], v4, off
	s_or_b32 exec_lo, exec_lo, s1
	s_mov_b32 s1, exec_lo
	v_cmpx_gt_u32_e64 s22, v23
	s_cbranch_execnz .LBB487_162
.LBB487_197:
	s_or_b32 exec_lo, exec_lo, s1
	s_delay_alu instid0(SALU_CYCLE_1)
	s_mov_b32 s1, exec_lo
	v_cmpx_gt_u32_e64 s22, v22
	s_cbranch_execz .LBB487_203
.LBB487_198:
	s_mov_b32 s2, exec_lo
                                        ; implicit-def: $vgpr3_vgpr4
	v_cmpx_ge_u32_e64 v22, v16
	s_xor_b32 s2, exec_lo, s2
	s_cbranch_execz .LBB487_200
; %bb.199:
	s_waitcnt lgkmcnt(1)
	v_xor_b32_e32 v1, 0xfffff4ff, v0
                                        ; implicit-def: $vgpr22
	s_delay_alu instid0(VALU_DEP_1) | instskip(SKIP_1) | instid1(VALU_DEP_2)
	v_ashrrev_i32_e32 v4, 31, v1
	v_add_co_u32 v3, vcc_lo, v20, v1
	v_add_co_ci_u32_e32 v4, vcc_lo, v21, v4, vcc_lo
.LBB487_200:
	s_and_not1_saveexec_b32 s2, s2
	s_cbranch_execz .LBB487_202
; %bb.201:
	s_waitcnt lgkmcnt(2)
	v_add_co_u32 v3, vcc_lo, v15, v22
	v_add_co_ci_u32_e32 v4, vcc_lo, 0, v17, vcc_lo
.LBB487_202:
	s_or_b32 exec_lo, exec_lo, s2
	s_waitcnt lgkmcnt(2)
	s_delay_alu instid0(VALU_DEP_1) | instskip(NEXT) | instid1(VALU_DEP_1)
	v_lshlrev_b64 v[3:4], 2, v[3:4]
	v_add_co_u32 v3, vcc_lo, s10, v3
	s_delay_alu instid0(VALU_DEP_2)
	v_add_co_ci_u32_e32 v4, vcc_lo, s11, v4, vcc_lo
	s_waitcnt lgkmcnt(1)
	global_store_b32 v[3:4], v2, off
.LBB487_203:
	s_or_b32 exec_lo, exec_lo, s1
	s_delay_alu instid0(SALU_CYCLE_1)
	s_mov_b32 s1, exec_lo
                                        ; implicit-def: $vgpr13_vgpr14
	v_cmpx_gt_u32_e64 s22, v19
	s_cbranch_execz .LBB487_209
; %bb.204:
	s_mov_b32 s2, exec_lo
                                        ; implicit-def: $vgpr13_vgpr14
	v_cmpx_ge_u32_e64 v19, v16
	s_xor_b32 s2, exec_lo, s2
	s_cbranch_execz .LBB487_206
; %bb.205:
	s_waitcnt lgkmcnt(1)
	v_xor_b32_e32 v1, 0xfffff3ff, v0
                                        ; implicit-def: $vgpr19
	s_delay_alu instid0(VALU_DEP_1) | instskip(SKIP_1) | instid1(VALU_DEP_2)
	v_ashrrev_i32_e32 v2, 31, v1
	v_add_co_u32 v13, vcc_lo, v20, v1
	v_add_co_ci_u32_e32 v14, vcc_lo, v21, v2, vcc_lo
.LBB487_206:
	s_and_not1_saveexec_b32 s2, s2
; %bb.207:
	v_add_co_u32 v13, vcc_lo, v15, v19
	v_add_co_ci_u32_e32 v14, vcc_lo, 0, v17, vcc_lo
; %bb.208:
	s_or_b32 exec_lo, exec_lo, s2
	s_delay_alu instid0(SALU_CYCLE_1)
	s_or_b32 s0, s0, exec_lo
.LBB487_209:
	s_or_b32 exec_lo, exec_lo, s1
.LBB487_210:
	s_and_saveexec_b32 s1, s0
	s_cbranch_execz .LBB487_212
; %bb.211:
	s_waitcnt lgkmcnt(1)
	v_lshlrev_b64 v[1:2], 2, v[13:14]
	s_delay_alu instid0(VALU_DEP_1) | instskip(NEXT) | instid1(VALU_DEP_2)
	v_add_co_u32 v1, vcc_lo, s10, v1
	v_add_co_ci_u32_e32 v2, vcc_lo, s11, v2, vcc_lo
	s_waitcnt lgkmcnt(0)
	global_store_b32 v[1:2], v18, off
.LBB487_212:
	s_or_b32 exec_lo, exec_lo, s1
	v_cmp_eq_u32_e32 vcc_lo, 0, v0
	s_and_b32 s0, vcc_lo, s14
	s_delay_alu instid0(SALU_CYCLE_1)
	s_and_saveexec_b32 s1, s0
	s_cbranch_execz .LBB487_214
; %bb.213:
	v_add_co_u32 v0, vcc_lo, v15, v16
	s_waitcnt lgkmcnt(1)
	v_mov_b32_e32 v2, 0
	v_add_co_ci_u32_e32 v1, vcc_lo, 0, v17, vcc_lo
	global_store_b64 v2, v[0:1], s[8:9]
.LBB487_214:
	s_nop 0
	s_sendmsg sendmsg(MSG_DEALLOC_VGPRS)
	s_endpgm
	.section	.rodata,"a",@progbits
	.p2align	6, 0x0
	.amdhsa_kernel _ZN7rocprim17ROCPRIM_400000_NS6detail17trampoline_kernelINS0_13select_configILj256ELj13ELNS0_17block_load_methodE3ELS4_3ELS4_3ELNS0_20block_scan_algorithmE0ELj4294967295EEENS1_25partition_config_selectorILNS1_17partition_subalgoE3EjNS0_10empty_typeEbEEZZNS1_14partition_implILS8_3ELb0ES6_jNS0_17counting_iteratorIjlEEPS9_SE_NS0_5tupleIJPjSE_EEENSF_IJSE_SE_EEES9_SG_JZNS1_25segmented_radix_sort_implINS0_14default_configELb1EPKiPiPKlPlN2at6native12_GLOBAL__N_18offset_tEEE10hipError_tPvRmT1_PNSt15iterator_traitsISY_E10value_typeET2_T3_PNSZ_IS14_E10value_typeET4_jRbjT5_S1A_jjP12ihipStream_tbEUljE_EEESV_SW_SX_S14_S18_S1A_T6_T7_T9_mT8_S1C_bDpT10_ENKUlT_T0_E_clISt17integral_constantIbLb1EES1O_IbLb0EEEEDaS1K_S1L_EUlS1K_E_NS1_11comp_targetILNS1_3genE9ELNS1_11target_archE1100ELNS1_3gpuE3ELNS1_3repE0EEENS1_30default_config_static_selectorELNS0_4arch9wavefront6targetE0EEEvSY_
		.amdhsa_group_segment_fixed_size 13324
		.amdhsa_private_segment_fixed_size 0
		.amdhsa_kernarg_size 144
		.amdhsa_user_sgpr_count 15
		.amdhsa_user_sgpr_dispatch_ptr 0
		.amdhsa_user_sgpr_queue_ptr 0
		.amdhsa_user_sgpr_kernarg_segment_ptr 1
		.amdhsa_user_sgpr_dispatch_id 0
		.amdhsa_user_sgpr_private_segment_size 0
		.amdhsa_wavefront_size32 1
		.amdhsa_uses_dynamic_stack 0
		.amdhsa_enable_private_segment 0
		.amdhsa_system_sgpr_workgroup_id_x 1
		.amdhsa_system_sgpr_workgroup_id_y 0
		.amdhsa_system_sgpr_workgroup_id_z 0
		.amdhsa_system_sgpr_workgroup_info 0
		.amdhsa_system_vgpr_workitem_id 0
		.amdhsa_next_free_vgpr 57
		.amdhsa_next_free_sgpr 28
		.amdhsa_reserve_vcc 1
		.amdhsa_float_round_mode_32 0
		.amdhsa_float_round_mode_16_64 0
		.amdhsa_float_denorm_mode_32 3
		.amdhsa_float_denorm_mode_16_64 3
		.amdhsa_dx10_clamp 1
		.amdhsa_ieee_mode 1
		.amdhsa_fp16_overflow 0
		.amdhsa_workgroup_processor_mode 1
		.amdhsa_memory_ordered 1
		.amdhsa_forward_progress 0
		.amdhsa_shared_vgpr_count 0
		.amdhsa_exception_fp_ieee_invalid_op 0
		.amdhsa_exception_fp_denorm_src 0
		.amdhsa_exception_fp_ieee_div_zero 0
		.amdhsa_exception_fp_ieee_overflow 0
		.amdhsa_exception_fp_ieee_underflow 0
		.amdhsa_exception_fp_ieee_inexact 0
		.amdhsa_exception_int_div_zero 0
	.end_amdhsa_kernel
	.section	.text._ZN7rocprim17ROCPRIM_400000_NS6detail17trampoline_kernelINS0_13select_configILj256ELj13ELNS0_17block_load_methodE3ELS4_3ELS4_3ELNS0_20block_scan_algorithmE0ELj4294967295EEENS1_25partition_config_selectorILNS1_17partition_subalgoE3EjNS0_10empty_typeEbEEZZNS1_14partition_implILS8_3ELb0ES6_jNS0_17counting_iteratorIjlEEPS9_SE_NS0_5tupleIJPjSE_EEENSF_IJSE_SE_EEES9_SG_JZNS1_25segmented_radix_sort_implINS0_14default_configELb1EPKiPiPKlPlN2at6native12_GLOBAL__N_18offset_tEEE10hipError_tPvRmT1_PNSt15iterator_traitsISY_E10value_typeET2_T3_PNSZ_IS14_E10value_typeET4_jRbjT5_S1A_jjP12ihipStream_tbEUljE_EEESV_SW_SX_S14_S18_S1A_T6_T7_T9_mT8_S1C_bDpT10_ENKUlT_T0_E_clISt17integral_constantIbLb1EES1O_IbLb0EEEEDaS1K_S1L_EUlS1K_E_NS1_11comp_targetILNS1_3genE9ELNS1_11target_archE1100ELNS1_3gpuE3ELNS1_3repE0EEENS1_30default_config_static_selectorELNS0_4arch9wavefront6targetE0EEEvSY_,"axG",@progbits,_ZN7rocprim17ROCPRIM_400000_NS6detail17trampoline_kernelINS0_13select_configILj256ELj13ELNS0_17block_load_methodE3ELS4_3ELS4_3ELNS0_20block_scan_algorithmE0ELj4294967295EEENS1_25partition_config_selectorILNS1_17partition_subalgoE3EjNS0_10empty_typeEbEEZZNS1_14partition_implILS8_3ELb0ES6_jNS0_17counting_iteratorIjlEEPS9_SE_NS0_5tupleIJPjSE_EEENSF_IJSE_SE_EEES9_SG_JZNS1_25segmented_radix_sort_implINS0_14default_configELb1EPKiPiPKlPlN2at6native12_GLOBAL__N_18offset_tEEE10hipError_tPvRmT1_PNSt15iterator_traitsISY_E10value_typeET2_T3_PNSZ_IS14_E10value_typeET4_jRbjT5_S1A_jjP12ihipStream_tbEUljE_EEESV_SW_SX_S14_S18_S1A_T6_T7_T9_mT8_S1C_bDpT10_ENKUlT_T0_E_clISt17integral_constantIbLb1EES1O_IbLb0EEEEDaS1K_S1L_EUlS1K_E_NS1_11comp_targetILNS1_3genE9ELNS1_11target_archE1100ELNS1_3gpuE3ELNS1_3repE0EEENS1_30default_config_static_selectorELNS0_4arch9wavefront6targetE0EEEvSY_,comdat
.Lfunc_end487:
	.size	_ZN7rocprim17ROCPRIM_400000_NS6detail17trampoline_kernelINS0_13select_configILj256ELj13ELNS0_17block_load_methodE3ELS4_3ELS4_3ELNS0_20block_scan_algorithmE0ELj4294967295EEENS1_25partition_config_selectorILNS1_17partition_subalgoE3EjNS0_10empty_typeEbEEZZNS1_14partition_implILS8_3ELb0ES6_jNS0_17counting_iteratorIjlEEPS9_SE_NS0_5tupleIJPjSE_EEENSF_IJSE_SE_EEES9_SG_JZNS1_25segmented_radix_sort_implINS0_14default_configELb1EPKiPiPKlPlN2at6native12_GLOBAL__N_18offset_tEEE10hipError_tPvRmT1_PNSt15iterator_traitsISY_E10value_typeET2_T3_PNSZ_IS14_E10value_typeET4_jRbjT5_S1A_jjP12ihipStream_tbEUljE_EEESV_SW_SX_S14_S18_S1A_T6_T7_T9_mT8_S1C_bDpT10_ENKUlT_T0_E_clISt17integral_constantIbLb1EES1O_IbLb0EEEEDaS1K_S1L_EUlS1K_E_NS1_11comp_targetILNS1_3genE9ELNS1_11target_archE1100ELNS1_3gpuE3ELNS1_3repE0EEENS1_30default_config_static_selectorELNS0_4arch9wavefront6targetE0EEEvSY_, .Lfunc_end487-_ZN7rocprim17ROCPRIM_400000_NS6detail17trampoline_kernelINS0_13select_configILj256ELj13ELNS0_17block_load_methodE3ELS4_3ELS4_3ELNS0_20block_scan_algorithmE0ELj4294967295EEENS1_25partition_config_selectorILNS1_17partition_subalgoE3EjNS0_10empty_typeEbEEZZNS1_14partition_implILS8_3ELb0ES6_jNS0_17counting_iteratorIjlEEPS9_SE_NS0_5tupleIJPjSE_EEENSF_IJSE_SE_EEES9_SG_JZNS1_25segmented_radix_sort_implINS0_14default_configELb1EPKiPiPKlPlN2at6native12_GLOBAL__N_18offset_tEEE10hipError_tPvRmT1_PNSt15iterator_traitsISY_E10value_typeET2_T3_PNSZ_IS14_E10value_typeET4_jRbjT5_S1A_jjP12ihipStream_tbEUljE_EEESV_SW_SX_S14_S18_S1A_T6_T7_T9_mT8_S1C_bDpT10_ENKUlT_T0_E_clISt17integral_constantIbLb1EES1O_IbLb0EEEEDaS1K_S1L_EUlS1K_E_NS1_11comp_targetILNS1_3genE9ELNS1_11target_archE1100ELNS1_3gpuE3ELNS1_3repE0EEENS1_30default_config_static_selectorELNS0_4arch9wavefront6targetE0EEEvSY_
                                        ; -- End function
	.section	.AMDGPU.csdata,"",@progbits
; Kernel info:
; codeLenInByte = 8964
; NumSgprs: 30
; NumVgprs: 57
; ScratchSize: 0
; MemoryBound: 0
; FloatMode: 240
; IeeeMode: 1
; LDSByteSize: 13324 bytes/workgroup (compile time only)
; SGPRBlocks: 3
; VGPRBlocks: 7
; NumSGPRsForWavesPerEU: 30
; NumVGPRsForWavesPerEU: 57
; Occupancy: 16
; WaveLimiterHint : 0
; COMPUTE_PGM_RSRC2:SCRATCH_EN: 0
; COMPUTE_PGM_RSRC2:USER_SGPR: 15
; COMPUTE_PGM_RSRC2:TRAP_HANDLER: 0
; COMPUTE_PGM_RSRC2:TGID_X_EN: 1
; COMPUTE_PGM_RSRC2:TGID_Y_EN: 0
; COMPUTE_PGM_RSRC2:TGID_Z_EN: 0
; COMPUTE_PGM_RSRC2:TIDIG_COMP_CNT: 0
	.section	.text._ZN7rocprim17ROCPRIM_400000_NS6detail17trampoline_kernelINS0_13select_configILj256ELj13ELNS0_17block_load_methodE3ELS4_3ELS4_3ELNS0_20block_scan_algorithmE0ELj4294967295EEENS1_25partition_config_selectorILNS1_17partition_subalgoE3EjNS0_10empty_typeEbEEZZNS1_14partition_implILS8_3ELb0ES6_jNS0_17counting_iteratorIjlEEPS9_SE_NS0_5tupleIJPjSE_EEENSF_IJSE_SE_EEES9_SG_JZNS1_25segmented_radix_sort_implINS0_14default_configELb1EPKiPiPKlPlN2at6native12_GLOBAL__N_18offset_tEEE10hipError_tPvRmT1_PNSt15iterator_traitsISY_E10value_typeET2_T3_PNSZ_IS14_E10value_typeET4_jRbjT5_S1A_jjP12ihipStream_tbEUljE_EEESV_SW_SX_S14_S18_S1A_T6_T7_T9_mT8_S1C_bDpT10_ENKUlT_T0_E_clISt17integral_constantIbLb1EES1O_IbLb0EEEEDaS1K_S1L_EUlS1K_E_NS1_11comp_targetILNS1_3genE8ELNS1_11target_archE1030ELNS1_3gpuE2ELNS1_3repE0EEENS1_30default_config_static_selectorELNS0_4arch9wavefront6targetE0EEEvSY_,"axG",@progbits,_ZN7rocprim17ROCPRIM_400000_NS6detail17trampoline_kernelINS0_13select_configILj256ELj13ELNS0_17block_load_methodE3ELS4_3ELS4_3ELNS0_20block_scan_algorithmE0ELj4294967295EEENS1_25partition_config_selectorILNS1_17partition_subalgoE3EjNS0_10empty_typeEbEEZZNS1_14partition_implILS8_3ELb0ES6_jNS0_17counting_iteratorIjlEEPS9_SE_NS0_5tupleIJPjSE_EEENSF_IJSE_SE_EEES9_SG_JZNS1_25segmented_radix_sort_implINS0_14default_configELb1EPKiPiPKlPlN2at6native12_GLOBAL__N_18offset_tEEE10hipError_tPvRmT1_PNSt15iterator_traitsISY_E10value_typeET2_T3_PNSZ_IS14_E10value_typeET4_jRbjT5_S1A_jjP12ihipStream_tbEUljE_EEESV_SW_SX_S14_S18_S1A_T6_T7_T9_mT8_S1C_bDpT10_ENKUlT_T0_E_clISt17integral_constantIbLb1EES1O_IbLb0EEEEDaS1K_S1L_EUlS1K_E_NS1_11comp_targetILNS1_3genE8ELNS1_11target_archE1030ELNS1_3gpuE2ELNS1_3repE0EEENS1_30default_config_static_selectorELNS0_4arch9wavefront6targetE0EEEvSY_,comdat
	.globl	_ZN7rocprim17ROCPRIM_400000_NS6detail17trampoline_kernelINS0_13select_configILj256ELj13ELNS0_17block_load_methodE3ELS4_3ELS4_3ELNS0_20block_scan_algorithmE0ELj4294967295EEENS1_25partition_config_selectorILNS1_17partition_subalgoE3EjNS0_10empty_typeEbEEZZNS1_14partition_implILS8_3ELb0ES6_jNS0_17counting_iteratorIjlEEPS9_SE_NS0_5tupleIJPjSE_EEENSF_IJSE_SE_EEES9_SG_JZNS1_25segmented_radix_sort_implINS0_14default_configELb1EPKiPiPKlPlN2at6native12_GLOBAL__N_18offset_tEEE10hipError_tPvRmT1_PNSt15iterator_traitsISY_E10value_typeET2_T3_PNSZ_IS14_E10value_typeET4_jRbjT5_S1A_jjP12ihipStream_tbEUljE_EEESV_SW_SX_S14_S18_S1A_T6_T7_T9_mT8_S1C_bDpT10_ENKUlT_T0_E_clISt17integral_constantIbLb1EES1O_IbLb0EEEEDaS1K_S1L_EUlS1K_E_NS1_11comp_targetILNS1_3genE8ELNS1_11target_archE1030ELNS1_3gpuE2ELNS1_3repE0EEENS1_30default_config_static_selectorELNS0_4arch9wavefront6targetE0EEEvSY_ ; -- Begin function _ZN7rocprim17ROCPRIM_400000_NS6detail17trampoline_kernelINS0_13select_configILj256ELj13ELNS0_17block_load_methodE3ELS4_3ELS4_3ELNS0_20block_scan_algorithmE0ELj4294967295EEENS1_25partition_config_selectorILNS1_17partition_subalgoE3EjNS0_10empty_typeEbEEZZNS1_14partition_implILS8_3ELb0ES6_jNS0_17counting_iteratorIjlEEPS9_SE_NS0_5tupleIJPjSE_EEENSF_IJSE_SE_EEES9_SG_JZNS1_25segmented_radix_sort_implINS0_14default_configELb1EPKiPiPKlPlN2at6native12_GLOBAL__N_18offset_tEEE10hipError_tPvRmT1_PNSt15iterator_traitsISY_E10value_typeET2_T3_PNSZ_IS14_E10value_typeET4_jRbjT5_S1A_jjP12ihipStream_tbEUljE_EEESV_SW_SX_S14_S18_S1A_T6_T7_T9_mT8_S1C_bDpT10_ENKUlT_T0_E_clISt17integral_constantIbLb1EES1O_IbLb0EEEEDaS1K_S1L_EUlS1K_E_NS1_11comp_targetILNS1_3genE8ELNS1_11target_archE1030ELNS1_3gpuE2ELNS1_3repE0EEENS1_30default_config_static_selectorELNS0_4arch9wavefront6targetE0EEEvSY_
	.p2align	8
	.type	_ZN7rocprim17ROCPRIM_400000_NS6detail17trampoline_kernelINS0_13select_configILj256ELj13ELNS0_17block_load_methodE3ELS4_3ELS4_3ELNS0_20block_scan_algorithmE0ELj4294967295EEENS1_25partition_config_selectorILNS1_17partition_subalgoE3EjNS0_10empty_typeEbEEZZNS1_14partition_implILS8_3ELb0ES6_jNS0_17counting_iteratorIjlEEPS9_SE_NS0_5tupleIJPjSE_EEENSF_IJSE_SE_EEES9_SG_JZNS1_25segmented_radix_sort_implINS0_14default_configELb1EPKiPiPKlPlN2at6native12_GLOBAL__N_18offset_tEEE10hipError_tPvRmT1_PNSt15iterator_traitsISY_E10value_typeET2_T3_PNSZ_IS14_E10value_typeET4_jRbjT5_S1A_jjP12ihipStream_tbEUljE_EEESV_SW_SX_S14_S18_S1A_T6_T7_T9_mT8_S1C_bDpT10_ENKUlT_T0_E_clISt17integral_constantIbLb1EES1O_IbLb0EEEEDaS1K_S1L_EUlS1K_E_NS1_11comp_targetILNS1_3genE8ELNS1_11target_archE1030ELNS1_3gpuE2ELNS1_3repE0EEENS1_30default_config_static_selectorELNS0_4arch9wavefront6targetE0EEEvSY_,@function
_ZN7rocprim17ROCPRIM_400000_NS6detail17trampoline_kernelINS0_13select_configILj256ELj13ELNS0_17block_load_methodE3ELS4_3ELS4_3ELNS0_20block_scan_algorithmE0ELj4294967295EEENS1_25partition_config_selectorILNS1_17partition_subalgoE3EjNS0_10empty_typeEbEEZZNS1_14partition_implILS8_3ELb0ES6_jNS0_17counting_iteratorIjlEEPS9_SE_NS0_5tupleIJPjSE_EEENSF_IJSE_SE_EEES9_SG_JZNS1_25segmented_radix_sort_implINS0_14default_configELb1EPKiPiPKlPlN2at6native12_GLOBAL__N_18offset_tEEE10hipError_tPvRmT1_PNSt15iterator_traitsISY_E10value_typeET2_T3_PNSZ_IS14_E10value_typeET4_jRbjT5_S1A_jjP12ihipStream_tbEUljE_EEESV_SW_SX_S14_S18_S1A_T6_T7_T9_mT8_S1C_bDpT10_ENKUlT_T0_E_clISt17integral_constantIbLb1EES1O_IbLb0EEEEDaS1K_S1L_EUlS1K_E_NS1_11comp_targetILNS1_3genE8ELNS1_11target_archE1030ELNS1_3gpuE2ELNS1_3repE0EEENS1_30default_config_static_selectorELNS0_4arch9wavefront6targetE0EEEvSY_: ; @_ZN7rocprim17ROCPRIM_400000_NS6detail17trampoline_kernelINS0_13select_configILj256ELj13ELNS0_17block_load_methodE3ELS4_3ELS4_3ELNS0_20block_scan_algorithmE0ELj4294967295EEENS1_25partition_config_selectorILNS1_17partition_subalgoE3EjNS0_10empty_typeEbEEZZNS1_14partition_implILS8_3ELb0ES6_jNS0_17counting_iteratorIjlEEPS9_SE_NS0_5tupleIJPjSE_EEENSF_IJSE_SE_EEES9_SG_JZNS1_25segmented_radix_sort_implINS0_14default_configELb1EPKiPiPKlPlN2at6native12_GLOBAL__N_18offset_tEEE10hipError_tPvRmT1_PNSt15iterator_traitsISY_E10value_typeET2_T3_PNSZ_IS14_E10value_typeET4_jRbjT5_S1A_jjP12ihipStream_tbEUljE_EEESV_SW_SX_S14_S18_S1A_T6_T7_T9_mT8_S1C_bDpT10_ENKUlT_T0_E_clISt17integral_constantIbLb1EES1O_IbLb0EEEEDaS1K_S1L_EUlS1K_E_NS1_11comp_targetILNS1_3genE8ELNS1_11target_archE1030ELNS1_3gpuE2ELNS1_3repE0EEENS1_30default_config_static_selectorELNS0_4arch9wavefront6targetE0EEEvSY_
; %bb.0:
	.section	.rodata,"a",@progbits
	.p2align	6, 0x0
	.amdhsa_kernel _ZN7rocprim17ROCPRIM_400000_NS6detail17trampoline_kernelINS0_13select_configILj256ELj13ELNS0_17block_load_methodE3ELS4_3ELS4_3ELNS0_20block_scan_algorithmE0ELj4294967295EEENS1_25partition_config_selectorILNS1_17partition_subalgoE3EjNS0_10empty_typeEbEEZZNS1_14partition_implILS8_3ELb0ES6_jNS0_17counting_iteratorIjlEEPS9_SE_NS0_5tupleIJPjSE_EEENSF_IJSE_SE_EEES9_SG_JZNS1_25segmented_radix_sort_implINS0_14default_configELb1EPKiPiPKlPlN2at6native12_GLOBAL__N_18offset_tEEE10hipError_tPvRmT1_PNSt15iterator_traitsISY_E10value_typeET2_T3_PNSZ_IS14_E10value_typeET4_jRbjT5_S1A_jjP12ihipStream_tbEUljE_EEESV_SW_SX_S14_S18_S1A_T6_T7_T9_mT8_S1C_bDpT10_ENKUlT_T0_E_clISt17integral_constantIbLb1EES1O_IbLb0EEEEDaS1K_S1L_EUlS1K_E_NS1_11comp_targetILNS1_3genE8ELNS1_11target_archE1030ELNS1_3gpuE2ELNS1_3repE0EEENS1_30default_config_static_selectorELNS0_4arch9wavefront6targetE0EEEvSY_
		.amdhsa_group_segment_fixed_size 0
		.amdhsa_private_segment_fixed_size 0
		.amdhsa_kernarg_size 144
		.amdhsa_user_sgpr_count 15
		.amdhsa_user_sgpr_dispatch_ptr 0
		.amdhsa_user_sgpr_queue_ptr 0
		.amdhsa_user_sgpr_kernarg_segment_ptr 1
		.amdhsa_user_sgpr_dispatch_id 0
		.amdhsa_user_sgpr_private_segment_size 0
		.amdhsa_wavefront_size32 1
		.amdhsa_uses_dynamic_stack 0
		.amdhsa_enable_private_segment 0
		.amdhsa_system_sgpr_workgroup_id_x 1
		.amdhsa_system_sgpr_workgroup_id_y 0
		.amdhsa_system_sgpr_workgroup_id_z 0
		.amdhsa_system_sgpr_workgroup_info 0
		.amdhsa_system_vgpr_workitem_id 0
		.amdhsa_next_free_vgpr 1
		.amdhsa_next_free_sgpr 1
		.amdhsa_reserve_vcc 0
		.amdhsa_float_round_mode_32 0
		.amdhsa_float_round_mode_16_64 0
		.amdhsa_float_denorm_mode_32 3
		.amdhsa_float_denorm_mode_16_64 3
		.amdhsa_dx10_clamp 1
		.amdhsa_ieee_mode 1
		.amdhsa_fp16_overflow 0
		.amdhsa_workgroup_processor_mode 1
		.amdhsa_memory_ordered 1
		.amdhsa_forward_progress 0
		.amdhsa_shared_vgpr_count 0
		.amdhsa_exception_fp_ieee_invalid_op 0
		.amdhsa_exception_fp_denorm_src 0
		.amdhsa_exception_fp_ieee_div_zero 0
		.amdhsa_exception_fp_ieee_overflow 0
		.amdhsa_exception_fp_ieee_underflow 0
		.amdhsa_exception_fp_ieee_inexact 0
		.amdhsa_exception_int_div_zero 0
	.end_amdhsa_kernel
	.section	.text._ZN7rocprim17ROCPRIM_400000_NS6detail17trampoline_kernelINS0_13select_configILj256ELj13ELNS0_17block_load_methodE3ELS4_3ELS4_3ELNS0_20block_scan_algorithmE0ELj4294967295EEENS1_25partition_config_selectorILNS1_17partition_subalgoE3EjNS0_10empty_typeEbEEZZNS1_14partition_implILS8_3ELb0ES6_jNS0_17counting_iteratorIjlEEPS9_SE_NS0_5tupleIJPjSE_EEENSF_IJSE_SE_EEES9_SG_JZNS1_25segmented_radix_sort_implINS0_14default_configELb1EPKiPiPKlPlN2at6native12_GLOBAL__N_18offset_tEEE10hipError_tPvRmT1_PNSt15iterator_traitsISY_E10value_typeET2_T3_PNSZ_IS14_E10value_typeET4_jRbjT5_S1A_jjP12ihipStream_tbEUljE_EEESV_SW_SX_S14_S18_S1A_T6_T7_T9_mT8_S1C_bDpT10_ENKUlT_T0_E_clISt17integral_constantIbLb1EES1O_IbLb0EEEEDaS1K_S1L_EUlS1K_E_NS1_11comp_targetILNS1_3genE8ELNS1_11target_archE1030ELNS1_3gpuE2ELNS1_3repE0EEENS1_30default_config_static_selectorELNS0_4arch9wavefront6targetE0EEEvSY_,"axG",@progbits,_ZN7rocprim17ROCPRIM_400000_NS6detail17trampoline_kernelINS0_13select_configILj256ELj13ELNS0_17block_load_methodE3ELS4_3ELS4_3ELNS0_20block_scan_algorithmE0ELj4294967295EEENS1_25partition_config_selectorILNS1_17partition_subalgoE3EjNS0_10empty_typeEbEEZZNS1_14partition_implILS8_3ELb0ES6_jNS0_17counting_iteratorIjlEEPS9_SE_NS0_5tupleIJPjSE_EEENSF_IJSE_SE_EEES9_SG_JZNS1_25segmented_radix_sort_implINS0_14default_configELb1EPKiPiPKlPlN2at6native12_GLOBAL__N_18offset_tEEE10hipError_tPvRmT1_PNSt15iterator_traitsISY_E10value_typeET2_T3_PNSZ_IS14_E10value_typeET4_jRbjT5_S1A_jjP12ihipStream_tbEUljE_EEESV_SW_SX_S14_S18_S1A_T6_T7_T9_mT8_S1C_bDpT10_ENKUlT_T0_E_clISt17integral_constantIbLb1EES1O_IbLb0EEEEDaS1K_S1L_EUlS1K_E_NS1_11comp_targetILNS1_3genE8ELNS1_11target_archE1030ELNS1_3gpuE2ELNS1_3repE0EEENS1_30default_config_static_selectorELNS0_4arch9wavefront6targetE0EEEvSY_,comdat
.Lfunc_end488:
	.size	_ZN7rocprim17ROCPRIM_400000_NS6detail17trampoline_kernelINS0_13select_configILj256ELj13ELNS0_17block_load_methodE3ELS4_3ELS4_3ELNS0_20block_scan_algorithmE0ELj4294967295EEENS1_25partition_config_selectorILNS1_17partition_subalgoE3EjNS0_10empty_typeEbEEZZNS1_14partition_implILS8_3ELb0ES6_jNS0_17counting_iteratorIjlEEPS9_SE_NS0_5tupleIJPjSE_EEENSF_IJSE_SE_EEES9_SG_JZNS1_25segmented_radix_sort_implINS0_14default_configELb1EPKiPiPKlPlN2at6native12_GLOBAL__N_18offset_tEEE10hipError_tPvRmT1_PNSt15iterator_traitsISY_E10value_typeET2_T3_PNSZ_IS14_E10value_typeET4_jRbjT5_S1A_jjP12ihipStream_tbEUljE_EEESV_SW_SX_S14_S18_S1A_T6_T7_T9_mT8_S1C_bDpT10_ENKUlT_T0_E_clISt17integral_constantIbLb1EES1O_IbLb0EEEEDaS1K_S1L_EUlS1K_E_NS1_11comp_targetILNS1_3genE8ELNS1_11target_archE1030ELNS1_3gpuE2ELNS1_3repE0EEENS1_30default_config_static_selectorELNS0_4arch9wavefront6targetE0EEEvSY_, .Lfunc_end488-_ZN7rocprim17ROCPRIM_400000_NS6detail17trampoline_kernelINS0_13select_configILj256ELj13ELNS0_17block_load_methodE3ELS4_3ELS4_3ELNS0_20block_scan_algorithmE0ELj4294967295EEENS1_25partition_config_selectorILNS1_17partition_subalgoE3EjNS0_10empty_typeEbEEZZNS1_14partition_implILS8_3ELb0ES6_jNS0_17counting_iteratorIjlEEPS9_SE_NS0_5tupleIJPjSE_EEENSF_IJSE_SE_EEES9_SG_JZNS1_25segmented_radix_sort_implINS0_14default_configELb1EPKiPiPKlPlN2at6native12_GLOBAL__N_18offset_tEEE10hipError_tPvRmT1_PNSt15iterator_traitsISY_E10value_typeET2_T3_PNSZ_IS14_E10value_typeET4_jRbjT5_S1A_jjP12ihipStream_tbEUljE_EEESV_SW_SX_S14_S18_S1A_T6_T7_T9_mT8_S1C_bDpT10_ENKUlT_T0_E_clISt17integral_constantIbLb1EES1O_IbLb0EEEEDaS1K_S1L_EUlS1K_E_NS1_11comp_targetILNS1_3genE8ELNS1_11target_archE1030ELNS1_3gpuE2ELNS1_3repE0EEENS1_30default_config_static_selectorELNS0_4arch9wavefront6targetE0EEEvSY_
                                        ; -- End function
	.section	.AMDGPU.csdata,"",@progbits
; Kernel info:
; codeLenInByte = 0
; NumSgprs: 0
; NumVgprs: 0
; ScratchSize: 0
; MemoryBound: 0
; FloatMode: 240
; IeeeMode: 1
; LDSByteSize: 0 bytes/workgroup (compile time only)
; SGPRBlocks: 0
; VGPRBlocks: 0
; NumSGPRsForWavesPerEU: 1
; NumVGPRsForWavesPerEU: 1
; Occupancy: 16
; WaveLimiterHint : 0
; COMPUTE_PGM_RSRC2:SCRATCH_EN: 0
; COMPUTE_PGM_RSRC2:USER_SGPR: 15
; COMPUTE_PGM_RSRC2:TRAP_HANDLER: 0
; COMPUTE_PGM_RSRC2:TGID_X_EN: 1
; COMPUTE_PGM_RSRC2:TGID_Y_EN: 0
; COMPUTE_PGM_RSRC2:TGID_Z_EN: 0
; COMPUTE_PGM_RSRC2:TIDIG_COMP_CNT: 0
	.section	.text._ZN7rocprim17ROCPRIM_400000_NS6detail17trampoline_kernelINS0_13select_configILj256ELj13ELNS0_17block_load_methodE3ELS4_3ELS4_3ELNS0_20block_scan_algorithmE0ELj4294967295EEENS1_25partition_config_selectorILNS1_17partition_subalgoE3EjNS0_10empty_typeEbEEZZNS1_14partition_implILS8_3ELb0ES6_jNS0_17counting_iteratorIjlEEPS9_SE_NS0_5tupleIJPjSE_EEENSF_IJSE_SE_EEES9_SG_JZNS1_25segmented_radix_sort_implINS0_14default_configELb1EPKiPiPKlPlN2at6native12_GLOBAL__N_18offset_tEEE10hipError_tPvRmT1_PNSt15iterator_traitsISY_E10value_typeET2_T3_PNSZ_IS14_E10value_typeET4_jRbjT5_S1A_jjP12ihipStream_tbEUljE_EEESV_SW_SX_S14_S18_S1A_T6_T7_T9_mT8_S1C_bDpT10_ENKUlT_T0_E_clISt17integral_constantIbLb0EES1O_IbLb1EEEEDaS1K_S1L_EUlS1K_E_NS1_11comp_targetILNS1_3genE0ELNS1_11target_archE4294967295ELNS1_3gpuE0ELNS1_3repE0EEENS1_30default_config_static_selectorELNS0_4arch9wavefront6targetE0EEEvSY_,"axG",@progbits,_ZN7rocprim17ROCPRIM_400000_NS6detail17trampoline_kernelINS0_13select_configILj256ELj13ELNS0_17block_load_methodE3ELS4_3ELS4_3ELNS0_20block_scan_algorithmE0ELj4294967295EEENS1_25partition_config_selectorILNS1_17partition_subalgoE3EjNS0_10empty_typeEbEEZZNS1_14partition_implILS8_3ELb0ES6_jNS0_17counting_iteratorIjlEEPS9_SE_NS0_5tupleIJPjSE_EEENSF_IJSE_SE_EEES9_SG_JZNS1_25segmented_radix_sort_implINS0_14default_configELb1EPKiPiPKlPlN2at6native12_GLOBAL__N_18offset_tEEE10hipError_tPvRmT1_PNSt15iterator_traitsISY_E10value_typeET2_T3_PNSZ_IS14_E10value_typeET4_jRbjT5_S1A_jjP12ihipStream_tbEUljE_EEESV_SW_SX_S14_S18_S1A_T6_T7_T9_mT8_S1C_bDpT10_ENKUlT_T0_E_clISt17integral_constantIbLb0EES1O_IbLb1EEEEDaS1K_S1L_EUlS1K_E_NS1_11comp_targetILNS1_3genE0ELNS1_11target_archE4294967295ELNS1_3gpuE0ELNS1_3repE0EEENS1_30default_config_static_selectorELNS0_4arch9wavefront6targetE0EEEvSY_,comdat
	.globl	_ZN7rocprim17ROCPRIM_400000_NS6detail17trampoline_kernelINS0_13select_configILj256ELj13ELNS0_17block_load_methodE3ELS4_3ELS4_3ELNS0_20block_scan_algorithmE0ELj4294967295EEENS1_25partition_config_selectorILNS1_17partition_subalgoE3EjNS0_10empty_typeEbEEZZNS1_14partition_implILS8_3ELb0ES6_jNS0_17counting_iteratorIjlEEPS9_SE_NS0_5tupleIJPjSE_EEENSF_IJSE_SE_EEES9_SG_JZNS1_25segmented_radix_sort_implINS0_14default_configELb1EPKiPiPKlPlN2at6native12_GLOBAL__N_18offset_tEEE10hipError_tPvRmT1_PNSt15iterator_traitsISY_E10value_typeET2_T3_PNSZ_IS14_E10value_typeET4_jRbjT5_S1A_jjP12ihipStream_tbEUljE_EEESV_SW_SX_S14_S18_S1A_T6_T7_T9_mT8_S1C_bDpT10_ENKUlT_T0_E_clISt17integral_constantIbLb0EES1O_IbLb1EEEEDaS1K_S1L_EUlS1K_E_NS1_11comp_targetILNS1_3genE0ELNS1_11target_archE4294967295ELNS1_3gpuE0ELNS1_3repE0EEENS1_30default_config_static_selectorELNS0_4arch9wavefront6targetE0EEEvSY_ ; -- Begin function _ZN7rocprim17ROCPRIM_400000_NS6detail17trampoline_kernelINS0_13select_configILj256ELj13ELNS0_17block_load_methodE3ELS4_3ELS4_3ELNS0_20block_scan_algorithmE0ELj4294967295EEENS1_25partition_config_selectorILNS1_17partition_subalgoE3EjNS0_10empty_typeEbEEZZNS1_14partition_implILS8_3ELb0ES6_jNS0_17counting_iteratorIjlEEPS9_SE_NS0_5tupleIJPjSE_EEENSF_IJSE_SE_EEES9_SG_JZNS1_25segmented_radix_sort_implINS0_14default_configELb1EPKiPiPKlPlN2at6native12_GLOBAL__N_18offset_tEEE10hipError_tPvRmT1_PNSt15iterator_traitsISY_E10value_typeET2_T3_PNSZ_IS14_E10value_typeET4_jRbjT5_S1A_jjP12ihipStream_tbEUljE_EEESV_SW_SX_S14_S18_S1A_T6_T7_T9_mT8_S1C_bDpT10_ENKUlT_T0_E_clISt17integral_constantIbLb0EES1O_IbLb1EEEEDaS1K_S1L_EUlS1K_E_NS1_11comp_targetILNS1_3genE0ELNS1_11target_archE4294967295ELNS1_3gpuE0ELNS1_3repE0EEENS1_30default_config_static_selectorELNS0_4arch9wavefront6targetE0EEEvSY_
	.p2align	8
	.type	_ZN7rocprim17ROCPRIM_400000_NS6detail17trampoline_kernelINS0_13select_configILj256ELj13ELNS0_17block_load_methodE3ELS4_3ELS4_3ELNS0_20block_scan_algorithmE0ELj4294967295EEENS1_25partition_config_selectorILNS1_17partition_subalgoE3EjNS0_10empty_typeEbEEZZNS1_14partition_implILS8_3ELb0ES6_jNS0_17counting_iteratorIjlEEPS9_SE_NS0_5tupleIJPjSE_EEENSF_IJSE_SE_EEES9_SG_JZNS1_25segmented_radix_sort_implINS0_14default_configELb1EPKiPiPKlPlN2at6native12_GLOBAL__N_18offset_tEEE10hipError_tPvRmT1_PNSt15iterator_traitsISY_E10value_typeET2_T3_PNSZ_IS14_E10value_typeET4_jRbjT5_S1A_jjP12ihipStream_tbEUljE_EEESV_SW_SX_S14_S18_S1A_T6_T7_T9_mT8_S1C_bDpT10_ENKUlT_T0_E_clISt17integral_constantIbLb0EES1O_IbLb1EEEEDaS1K_S1L_EUlS1K_E_NS1_11comp_targetILNS1_3genE0ELNS1_11target_archE4294967295ELNS1_3gpuE0ELNS1_3repE0EEENS1_30default_config_static_selectorELNS0_4arch9wavefront6targetE0EEEvSY_,@function
_ZN7rocprim17ROCPRIM_400000_NS6detail17trampoline_kernelINS0_13select_configILj256ELj13ELNS0_17block_load_methodE3ELS4_3ELS4_3ELNS0_20block_scan_algorithmE0ELj4294967295EEENS1_25partition_config_selectorILNS1_17partition_subalgoE3EjNS0_10empty_typeEbEEZZNS1_14partition_implILS8_3ELb0ES6_jNS0_17counting_iteratorIjlEEPS9_SE_NS0_5tupleIJPjSE_EEENSF_IJSE_SE_EEES9_SG_JZNS1_25segmented_radix_sort_implINS0_14default_configELb1EPKiPiPKlPlN2at6native12_GLOBAL__N_18offset_tEEE10hipError_tPvRmT1_PNSt15iterator_traitsISY_E10value_typeET2_T3_PNSZ_IS14_E10value_typeET4_jRbjT5_S1A_jjP12ihipStream_tbEUljE_EEESV_SW_SX_S14_S18_S1A_T6_T7_T9_mT8_S1C_bDpT10_ENKUlT_T0_E_clISt17integral_constantIbLb0EES1O_IbLb1EEEEDaS1K_S1L_EUlS1K_E_NS1_11comp_targetILNS1_3genE0ELNS1_11target_archE4294967295ELNS1_3gpuE0ELNS1_3repE0EEENS1_30default_config_static_selectorELNS0_4arch9wavefront6targetE0EEEvSY_: ; @_ZN7rocprim17ROCPRIM_400000_NS6detail17trampoline_kernelINS0_13select_configILj256ELj13ELNS0_17block_load_methodE3ELS4_3ELS4_3ELNS0_20block_scan_algorithmE0ELj4294967295EEENS1_25partition_config_selectorILNS1_17partition_subalgoE3EjNS0_10empty_typeEbEEZZNS1_14partition_implILS8_3ELb0ES6_jNS0_17counting_iteratorIjlEEPS9_SE_NS0_5tupleIJPjSE_EEENSF_IJSE_SE_EEES9_SG_JZNS1_25segmented_radix_sort_implINS0_14default_configELb1EPKiPiPKlPlN2at6native12_GLOBAL__N_18offset_tEEE10hipError_tPvRmT1_PNSt15iterator_traitsISY_E10value_typeET2_T3_PNSZ_IS14_E10value_typeET4_jRbjT5_S1A_jjP12ihipStream_tbEUljE_EEESV_SW_SX_S14_S18_S1A_T6_T7_T9_mT8_S1C_bDpT10_ENKUlT_T0_E_clISt17integral_constantIbLb0EES1O_IbLb1EEEEDaS1K_S1L_EUlS1K_E_NS1_11comp_targetILNS1_3genE0ELNS1_11target_archE4294967295ELNS1_3gpuE0ELNS1_3repE0EEENS1_30default_config_static_selectorELNS0_4arch9wavefront6targetE0EEEvSY_
; %bb.0:
	.section	.rodata,"a",@progbits
	.p2align	6, 0x0
	.amdhsa_kernel _ZN7rocprim17ROCPRIM_400000_NS6detail17trampoline_kernelINS0_13select_configILj256ELj13ELNS0_17block_load_methodE3ELS4_3ELS4_3ELNS0_20block_scan_algorithmE0ELj4294967295EEENS1_25partition_config_selectorILNS1_17partition_subalgoE3EjNS0_10empty_typeEbEEZZNS1_14partition_implILS8_3ELb0ES6_jNS0_17counting_iteratorIjlEEPS9_SE_NS0_5tupleIJPjSE_EEENSF_IJSE_SE_EEES9_SG_JZNS1_25segmented_radix_sort_implINS0_14default_configELb1EPKiPiPKlPlN2at6native12_GLOBAL__N_18offset_tEEE10hipError_tPvRmT1_PNSt15iterator_traitsISY_E10value_typeET2_T3_PNSZ_IS14_E10value_typeET4_jRbjT5_S1A_jjP12ihipStream_tbEUljE_EEESV_SW_SX_S14_S18_S1A_T6_T7_T9_mT8_S1C_bDpT10_ENKUlT_T0_E_clISt17integral_constantIbLb0EES1O_IbLb1EEEEDaS1K_S1L_EUlS1K_E_NS1_11comp_targetILNS1_3genE0ELNS1_11target_archE4294967295ELNS1_3gpuE0ELNS1_3repE0EEENS1_30default_config_static_selectorELNS0_4arch9wavefront6targetE0EEEvSY_
		.amdhsa_group_segment_fixed_size 0
		.amdhsa_private_segment_fixed_size 0
		.amdhsa_kernarg_size 152
		.amdhsa_user_sgpr_count 15
		.amdhsa_user_sgpr_dispatch_ptr 0
		.amdhsa_user_sgpr_queue_ptr 0
		.amdhsa_user_sgpr_kernarg_segment_ptr 1
		.amdhsa_user_sgpr_dispatch_id 0
		.amdhsa_user_sgpr_private_segment_size 0
		.amdhsa_wavefront_size32 1
		.amdhsa_uses_dynamic_stack 0
		.amdhsa_enable_private_segment 0
		.amdhsa_system_sgpr_workgroup_id_x 1
		.amdhsa_system_sgpr_workgroup_id_y 0
		.amdhsa_system_sgpr_workgroup_id_z 0
		.amdhsa_system_sgpr_workgroup_info 0
		.amdhsa_system_vgpr_workitem_id 0
		.amdhsa_next_free_vgpr 1
		.amdhsa_next_free_sgpr 1
		.amdhsa_reserve_vcc 0
		.amdhsa_float_round_mode_32 0
		.amdhsa_float_round_mode_16_64 0
		.amdhsa_float_denorm_mode_32 3
		.amdhsa_float_denorm_mode_16_64 3
		.amdhsa_dx10_clamp 1
		.amdhsa_ieee_mode 1
		.amdhsa_fp16_overflow 0
		.amdhsa_workgroup_processor_mode 1
		.amdhsa_memory_ordered 1
		.amdhsa_forward_progress 0
		.amdhsa_shared_vgpr_count 0
		.amdhsa_exception_fp_ieee_invalid_op 0
		.amdhsa_exception_fp_denorm_src 0
		.amdhsa_exception_fp_ieee_div_zero 0
		.amdhsa_exception_fp_ieee_overflow 0
		.amdhsa_exception_fp_ieee_underflow 0
		.amdhsa_exception_fp_ieee_inexact 0
		.amdhsa_exception_int_div_zero 0
	.end_amdhsa_kernel
	.section	.text._ZN7rocprim17ROCPRIM_400000_NS6detail17trampoline_kernelINS0_13select_configILj256ELj13ELNS0_17block_load_methodE3ELS4_3ELS4_3ELNS0_20block_scan_algorithmE0ELj4294967295EEENS1_25partition_config_selectorILNS1_17partition_subalgoE3EjNS0_10empty_typeEbEEZZNS1_14partition_implILS8_3ELb0ES6_jNS0_17counting_iteratorIjlEEPS9_SE_NS0_5tupleIJPjSE_EEENSF_IJSE_SE_EEES9_SG_JZNS1_25segmented_radix_sort_implINS0_14default_configELb1EPKiPiPKlPlN2at6native12_GLOBAL__N_18offset_tEEE10hipError_tPvRmT1_PNSt15iterator_traitsISY_E10value_typeET2_T3_PNSZ_IS14_E10value_typeET4_jRbjT5_S1A_jjP12ihipStream_tbEUljE_EEESV_SW_SX_S14_S18_S1A_T6_T7_T9_mT8_S1C_bDpT10_ENKUlT_T0_E_clISt17integral_constantIbLb0EES1O_IbLb1EEEEDaS1K_S1L_EUlS1K_E_NS1_11comp_targetILNS1_3genE0ELNS1_11target_archE4294967295ELNS1_3gpuE0ELNS1_3repE0EEENS1_30default_config_static_selectorELNS0_4arch9wavefront6targetE0EEEvSY_,"axG",@progbits,_ZN7rocprim17ROCPRIM_400000_NS6detail17trampoline_kernelINS0_13select_configILj256ELj13ELNS0_17block_load_methodE3ELS4_3ELS4_3ELNS0_20block_scan_algorithmE0ELj4294967295EEENS1_25partition_config_selectorILNS1_17partition_subalgoE3EjNS0_10empty_typeEbEEZZNS1_14partition_implILS8_3ELb0ES6_jNS0_17counting_iteratorIjlEEPS9_SE_NS0_5tupleIJPjSE_EEENSF_IJSE_SE_EEES9_SG_JZNS1_25segmented_radix_sort_implINS0_14default_configELb1EPKiPiPKlPlN2at6native12_GLOBAL__N_18offset_tEEE10hipError_tPvRmT1_PNSt15iterator_traitsISY_E10value_typeET2_T3_PNSZ_IS14_E10value_typeET4_jRbjT5_S1A_jjP12ihipStream_tbEUljE_EEESV_SW_SX_S14_S18_S1A_T6_T7_T9_mT8_S1C_bDpT10_ENKUlT_T0_E_clISt17integral_constantIbLb0EES1O_IbLb1EEEEDaS1K_S1L_EUlS1K_E_NS1_11comp_targetILNS1_3genE0ELNS1_11target_archE4294967295ELNS1_3gpuE0ELNS1_3repE0EEENS1_30default_config_static_selectorELNS0_4arch9wavefront6targetE0EEEvSY_,comdat
.Lfunc_end489:
	.size	_ZN7rocprim17ROCPRIM_400000_NS6detail17trampoline_kernelINS0_13select_configILj256ELj13ELNS0_17block_load_methodE3ELS4_3ELS4_3ELNS0_20block_scan_algorithmE0ELj4294967295EEENS1_25partition_config_selectorILNS1_17partition_subalgoE3EjNS0_10empty_typeEbEEZZNS1_14partition_implILS8_3ELb0ES6_jNS0_17counting_iteratorIjlEEPS9_SE_NS0_5tupleIJPjSE_EEENSF_IJSE_SE_EEES9_SG_JZNS1_25segmented_radix_sort_implINS0_14default_configELb1EPKiPiPKlPlN2at6native12_GLOBAL__N_18offset_tEEE10hipError_tPvRmT1_PNSt15iterator_traitsISY_E10value_typeET2_T3_PNSZ_IS14_E10value_typeET4_jRbjT5_S1A_jjP12ihipStream_tbEUljE_EEESV_SW_SX_S14_S18_S1A_T6_T7_T9_mT8_S1C_bDpT10_ENKUlT_T0_E_clISt17integral_constantIbLb0EES1O_IbLb1EEEEDaS1K_S1L_EUlS1K_E_NS1_11comp_targetILNS1_3genE0ELNS1_11target_archE4294967295ELNS1_3gpuE0ELNS1_3repE0EEENS1_30default_config_static_selectorELNS0_4arch9wavefront6targetE0EEEvSY_, .Lfunc_end489-_ZN7rocprim17ROCPRIM_400000_NS6detail17trampoline_kernelINS0_13select_configILj256ELj13ELNS0_17block_load_methodE3ELS4_3ELS4_3ELNS0_20block_scan_algorithmE0ELj4294967295EEENS1_25partition_config_selectorILNS1_17partition_subalgoE3EjNS0_10empty_typeEbEEZZNS1_14partition_implILS8_3ELb0ES6_jNS0_17counting_iteratorIjlEEPS9_SE_NS0_5tupleIJPjSE_EEENSF_IJSE_SE_EEES9_SG_JZNS1_25segmented_radix_sort_implINS0_14default_configELb1EPKiPiPKlPlN2at6native12_GLOBAL__N_18offset_tEEE10hipError_tPvRmT1_PNSt15iterator_traitsISY_E10value_typeET2_T3_PNSZ_IS14_E10value_typeET4_jRbjT5_S1A_jjP12ihipStream_tbEUljE_EEESV_SW_SX_S14_S18_S1A_T6_T7_T9_mT8_S1C_bDpT10_ENKUlT_T0_E_clISt17integral_constantIbLb0EES1O_IbLb1EEEEDaS1K_S1L_EUlS1K_E_NS1_11comp_targetILNS1_3genE0ELNS1_11target_archE4294967295ELNS1_3gpuE0ELNS1_3repE0EEENS1_30default_config_static_selectorELNS0_4arch9wavefront6targetE0EEEvSY_
                                        ; -- End function
	.section	.AMDGPU.csdata,"",@progbits
; Kernel info:
; codeLenInByte = 0
; NumSgprs: 0
; NumVgprs: 0
; ScratchSize: 0
; MemoryBound: 0
; FloatMode: 240
; IeeeMode: 1
; LDSByteSize: 0 bytes/workgroup (compile time only)
; SGPRBlocks: 0
; VGPRBlocks: 0
; NumSGPRsForWavesPerEU: 1
; NumVGPRsForWavesPerEU: 1
; Occupancy: 16
; WaveLimiterHint : 0
; COMPUTE_PGM_RSRC2:SCRATCH_EN: 0
; COMPUTE_PGM_RSRC2:USER_SGPR: 15
; COMPUTE_PGM_RSRC2:TRAP_HANDLER: 0
; COMPUTE_PGM_RSRC2:TGID_X_EN: 1
; COMPUTE_PGM_RSRC2:TGID_Y_EN: 0
; COMPUTE_PGM_RSRC2:TGID_Z_EN: 0
; COMPUTE_PGM_RSRC2:TIDIG_COMP_CNT: 0
	.section	.text._ZN7rocprim17ROCPRIM_400000_NS6detail17trampoline_kernelINS0_13select_configILj256ELj13ELNS0_17block_load_methodE3ELS4_3ELS4_3ELNS0_20block_scan_algorithmE0ELj4294967295EEENS1_25partition_config_selectorILNS1_17partition_subalgoE3EjNS0_10empty_typeEbEEZZNS1_14partition_implILS8_3ELb0ES6_jNS0_17counting_iteratorIjlEEPS9_SE_NS0_5tupleIJPjSE_EEENSF_IJSE_SE_EEES9_SG_JZNS1_25segmented_radix_sort_implINS0_14default_configELb1EPKiPiPKlPlN2at6native12_GLOBAL__N_18offset_tEEE10hipError_tPvRmT1_PNSt15iterator_traitsISY_E10value_typeET2_T3_PNSZ_IS14_E10value_typeET4_jRbjT5_S1A_jjP12ihipStream_tbEUljE_EEESV_SW_SX_S14_S18_S1A_T6_T7_T9_mT8_S1C_bDpT10_ENKUlT_T0_E_clISt17integral_constantIbLb0EES1O_IbLb1EEEEDaS1K_S1L_EUlS1K_E_NS1_11comp_targetILNS1_3genE5ELNS1_11target_archE942ELNS1_3gpuE9ELNS1_3repE0EEENS1_30default_config_static_selectorELNS0_4arch9wavefront6targetE0EEEvSY_,"axG",@progbits,_ZN7rocprim17ROCPRIM_400000_NS6detail17trampoline_kernelINS0_13select_configILj256ELj13ELNS0_17block_load_methodE3ELS4_3ELS4_3ELNS0_20block_scan_algorithmE0ELj4294967295EEENS1_25partition_config_selectorILNS1_17partition_subalgoE3EjNS0_10empty_typeEbEEZZNS1_14partition_implILS8_3ELb0ES6_jNS0_17counting_iteratorIjlEEPS9_SE_NS0_5tupleIJPjSE_EEENSF_IJSE_SE_EEES9_SG_JZNS1_25segmented_radix_sort_implINS0_14default_configELb1EPKiPiPKlPlN2at6native12_GLOBAL__N_18offset_tEEE10hipError_tPvRmT1_PNSt15iterator_traitsISY_E10value_typeET2_T3_PNSZ_IS14_E10value_typeET4_jRbjT5_S1A_jjP12ihipStream_tbEUljE_EEESV_SW_SX_S14_S18_S1A_T6_T7_T9_mT8_S1C_bDpT10_ENKUlT_T0_E_clISt17integral_constantIbLb0EES1O_IbLb1EEEEDaS1K_S1L_EUlS1K_E_NS1_11comp_targetILNS1_3genE5ELNS1_11target_archE942ELNS1_3gpuE9ELNS1_3repE0EEENS1_30default_config_static_selectorELNS0_4arch9wavefront6targetE0EEEvSY_,comdat
	.globl	_ZN7rocprim17ROCPRIM_400000_NS6detail17trampoline_kernelINS0_13select_configILj256ELj13ELNS0_17block_load_methodE3ELS4_3ELS4_3ELNS0_20block_scan_algorithmE0ELj4294967295EEENS1_25partition_config_selectorILNS1_17partition_subalgoE3EjNS0_10empty_typeEbEEZZNS1_14partition_implILS8_3ELb0ES6_jNS0_17counting_iteratorIjlEEPS9_SE_NS0_5tupleIJPjSE_EEENSF_IJSE_SE_EEES9_SG_JZNS1_25segmented_radix_sort_implINS0_14default_configELb1EPKiPiPKlPlN2at6native12_GLOBAL__N_18offset_tEEE10hipError_tPvRmT1_PNSt15iterator_traitsISY_E10value_typeET2_T3_PNSZ_IS14_E10value_typeET4_jRbjT5_S1A_jjP12ihipStream_tbEUljE_EEESV_SW_SX_S14_S18_S1A_T6_T7_T9_mT8_S1C_bDpT10_ENKUlT_T0_E_clISt17integral_constantIbLb0EES1O_IbLb1EEEEDaS1K_S1L_EUlS1K_E_NS1_11comp_targetILNS1_3genE5ELNS1_11target_archE942ELNS1_3gpuE9ELNS1_3repE0EEENS1_30default_config_static_selectorELNS0_4arch9wavefront6targetE0EEEvSY_ ; -- Begin function _ZN7rocprim17ROCPRIM_400000_NS6detail17trampoline_kernelINS0_13select_configILj256ELj13ELNS0_17block_load_methodE3ELS4_3ELS4_3ELNS0_20block_scan_algorithmE0ELj4294967295EEENS1_25partition_config_selectorILNS1_17partition_subalgoE3EjNS0_10empty_typeEbEEZZNS1_14partition_implILS8_3ELb0ES6_jNS0_17counting_iteratorIjlEEPS9_SE_NS0_5tupleIJPjSE_EEENSF_IJSE_SE_EEES9_SG_JZNS1_25segmented_radix_sort_implINS0_14default_configELb1EPKiPiPKlPlN2at6native12_GLOBAL__N_18offset_tEEE10hipError_tPvRmT1_PNSt15iterator_traitsISY_E10value_typeET2_T3_PNSZ_IS14_E10value_typeET4_jRbjT5_S1A_jjP12ihipStream_tbEUljE_EEESV_SW_SX_S14_S18_S1A_T6_T7_T9_mT8_S1C_bDpT10_ENKUlT_T0_E_clISt17integral_constantIbLb0EES1O_IbLb1EEEEDaS1K_S1L_EUlS1K_E_NS1_11comp_targetILNS1_3genE5ELNS1_11target_archE942ELNS1_3gpuE9ELNS1_3repE0EEENS1_30default_config_static_selectorELNS0_4arch9wavefront6targetE0EEEvSY_
	.p2align	8
	.type	_ZN7rocprim17ROCPRIM_400000_NS6detail17trampoline_kernelINS0_13select_configILj256ELj13ELNS0_17block_load_methodE3ELS4_3ELS4_3ELNS0_20block_scan_algorithmE0ELj4294967295EEENS1_25partition_config_selectorILNS1_17partition_subalgoE3EjNS0_10empty_typeEbEEZZNS1_14partition_implILS8_3ELb0ES6_jNS0_17counting_iteratorIjlEEPS9_SE_NS0_5tupleIJPjSE_EEENSF_IJSE_SE_EEES9_SG_JZNS1_25segmented_radix_sort_implINS0_14default_configELb1EPKiPiPKlPlN2at6native12_GLOBAL__N_18offset_tEEE10hipError_tPvRmT1_PNSt15iterator_traitsISY_E10value_typeET2_T3_PNSZ_IS14_E10value_typeET4_jRbjT5_S1A_jjP12ihipStream_tbEUljE_EEESV_SW_SX_S14_S18_S1A_T6_T7_T9_mT8_S1C_bDpT10_ENKUlT_T0_E_clISt17integral_constantIbLb0EES1O_IbLb1EEEEDaS1K_S1L_EUlS1K_E_NS1_11comp_targetILNS1_3genE5ELNS1_11target_archE942ELNS1_3gpuE9ELNS1_3repE0EEENS1_30default_config_static_selectorELNS0_4arch9wavefront6targetE0EEEvSY_,@function
_ZN7rocprim17ROCPRIM_400000_NS6detail17trampoline_kernelINS0_13select_configILj256ELj13ELNS0_17block_load_methodE3ELS4_3ELS4_3ELNS0_20block_scan_algorithmE0ELj4294967295EEENS1_25partition_config_selectorILNS1_17partition_subalgoE3EjNS0_10empty_typeEbEEZZNS1_14partition_implILS8_3ELb0ES6_jNS0_17counting_iteratorIjlEEPS9_SE_NS0_5tupleIJPjSE_EEENSF_IJSE_SE_EEES9_SG_JZNS1_25segmented_radix_sort_implINS0_14default_configELb1EPKiPiPKlPlN2at6native12_GLOBAL__N_18offset_tEEE10hipError_tPvRmT1_PNSt15iterator_traitsISY_E10value_typeET2_T3_PNSZ_IS14_E10value_typeET4_jRbjT5_S1A_jjP12ihipStream_tbEUljE_EEESV_SW_SX_S14_S18_S1A_T6_T7_T9_mT8_S1C_bDpT10_ENKUlT_T0_E_clISt17integral_constantIbLb0EES1O_IbLb1EEEEDaS1K_S1L_EUlS1K_E_NS1_11comp_targetILNS1_3genE5ELNS1_11target_archE942ELNS1_3gpuE9ELNS1_3repE0EEENS1_30default_config_static_selectorELNS0_4arch9wavefront6targetE0EEEvSY_: ; @_ZN7rocprim17ROCPRIM_400000_NS6detail17trampoline_kernelINS0_13select_configILj256ELj13ELNS0_17block_load_methodE3ELS4_3ELS4_3ELNS0_20block_scan_algorithmE0ELj4294967295EEENS1_25partition_config_selectorILNS1_17partition_subalgoE3EjNS0_10empty_typeEbEEZZNS1_14partition_implILS8_3ELb0ES6_jNS0_17counting_iteratorIjlEEPS9_SE_NS0_5tupleIJPjSE_EEENSF_IJSE_SE_EEES9_SG_JZNS1_25segmented_radix_sort_implINS0_14default_configELb1EPKiPiPKlPlN2at6native12_GLOBAL__N_18offset_tEEE10hipError_tPvRmT1_PNSt15iterator_traitsISY_E10value_typeET2_T3_PNSZ_IS14_E10value_typeET4_jRbjT5_S1A_jjP12ihipStream_tbEUljE_EEESV_SW_SX_S14_S18_S1A_T6_T7_T9_mT8_S1C_bDpT10_ENKUlT_T0_E_clISt17integral_constantIbLb0EES1O_IbLb1EEEEDaS1K_S1L_EUlS1K_E_NS1_11comp_targetILNS1_3genE5ELNS1_11target_archE942ELNS1_3gpuE9ELNS1_3repE0EEENS1_30default_config_static_selectorELNS0_4arch9wavefront6targetE0EEEvSY_
; %bb.0:
	.section	.rodata,"a",@progbits
	.p2align	6, 0x0
	.amdhsa_kernel _ZN7rocprim17ROCPRIM_400000_NS6detail17trampoline_kernelINS0_13select_configILj256ELj13ELNS0_17block_load_methodE3ELS4_3ELS4_3ELNS0_20block_scan_algorithmE0ELj4294967295EEENS1_25partition_config_selectorILNS1_17partition_subalgoE3EjNS0_10empty_typeEbEEZZNS1_14partition_implILS8_3ELb0ES6_jNS0_17counting_iteratorIjlEEPS9_SE_NS0_5tupleIJPjSE_EEENSF_IJSE_SE_EEES9_SG_JZNS1_25segmented_radix_sort_implINS0_14default_configELb1EPKiPiPKlPlN2at6native12_GLOBAL__N_18offset_tEEE10hipError_tPvRmT1_PNSt15iterator_traitsISY_E10value_typeET2_T3_PNSZ_IS14_E10value_typeET4_jRbjT5_S1A_jjP12ihipStream_tbEUljE_EEESV_SW_SX_S14_S18_S1A_T6_T7_T9_mT8_S1C_bDpT10_ENKUlT_T0_E_clISt17integral_constantIbLb0EES1O_IbLb1EEEEDaS1K_S1L_EUlS1K_E_NS1_11comp_targetILNS1_3genE5ELNS1_11target_archE942ELNS1_3gpuE9ELNS1_3repE0EEENS1_30default_config_static_selectorELNS0_4arch9wavefront6targetE0EEEvSY_
		.amdhsa_group_segment_fixed_size 0
		.amdhsa_private_segment_fixed_size 0
		.amdhsa_kernarg_size 152
		.amdhsa_user_sgpr_count 15
		.amdhsa_user_sgpr_dispatch_ptr 0
		.amdhsa_user_sgpr_queue_ptr 0
		.amdhsa_user_sgpr_kernarg_segment_ptr 1
		.amdhsa_user_sgpr_dispatch_id 0
		.amdhsa_user_sgpr_private_segment_size 0
		.amdhsa_wavefront_size32 1
		.amdhsa_uses_dynamic_stack 0
		.amdhsa_enable_private_segment 0
		.amdhsa_system_sgpr_workgroup_id_x 1
		.amdhsa_system_sgpr_workgroup_id_y 0
		.amdhsa_system_sgpr_workgroup_id_z 0
		.amdhsa_system_sgpr_workgroup_info 0
		.amdhsa_system_vgpr_workitem_id 0
		.amdhsa_next_free_vgpr 1
		.amdhsa_next_free_sgpr 1
		.amdhsa_reserve_vcc 0
		.amdhsa_float_round_mode_32 0
		.amdhsa_float_round_mode_16_64 0
		.amdhsa_float_denorm_mode_32 3
		.amdhsa_float_denorm_mode_16_64 3
		.amdhsa_dx10_clamp 1
		.amdhsa_ieee_mode 1
		.amdhsa_fp16_overflow 0
		.amdhsa_workgroup_processor_mode 1
		.amdhsa_memory_ordered 1
		.amdhsa_forward_progress 0
		.amdhsa_shared_vgpr_count 0
		.amdhsa_exception_fp_ieee_invalid_op 0
		.amdhsa_exception_fp_denorm_src 0
		.amdhsa_exception_fp_ieee_div_zero 0
		.amdhsa_exception_fp_ieee_overflow 0
		.amdhsa_exception_fp_ieee_underflow 0
		.amdhsa_exception_fp_ieee_inexact 0
		.amdhsa_exception_int_div_zero 0
	.end_amdhsa_kernel
	.section	.text._ZN7rocprim17ROCPRIM_400000_NS6detail17trampoline_kernelINS0_13select_configILj256ELj13ELNS0_17block_load_methodE3ELS4_3ELS4_3ELNS0_20block_scan_algorithmE0ELj4294967295EEENS1_25partition_config_selectorILNS1_17partition_subalgoE3EjNS0_10empty_typeEbEEZZNS1_14partition_implILS8_3ELb0ES6_jNS0_17counting_iteratorIjlEEPS9_SE_NS0_5tupleIJPjSE_EEENSF_IJSE_SE_EEES9_SG_JZNS1_25segmented_radix_sort_implINS0_14default_configELb1EPKiPiPKlPlN2at6native12_GLOBAL__N_18offset_tEEE10hipError_tPvRmT1_PNSt15iterator_traitsISY_E10value_typeET2_T3_PNSZ_IS14_E10value_typeET4_jRbjT5_S1A_jjP12ihipStream_tbEUljE_EEESV_SW_SX_S14_S18_S1A_T6_T7_T9_mT8_S1C_bDpT10_ENKUlT_T0_E_clISt17integral_constantIbLb0EES1O_IbLb1EEEEDaS1K_S1L_EUlS1K_E_NS1_11comp_targetILNS1_3genE5ELNS1_11target_archE942ELNS1_3gpuE9ELNS1_3repE0EEENS1_30default_config_static_selectorELNS0_4arch9wavefront6targetE0EEEvSY_,"axG",@progbits,_ZN7rocprim17ROCPRIM_400000_NS6detail17trampoline_kernelINS0_13select_configILj256ELj13ELNS0_17block_load_methodE3ELS4_3ELS4_3ELNS0_20block_scan_algorithmE0ELj4294967295EEENS1_25partition_config_selectorILNS1_17partition_subalgoE3EjNS0_10empty_typeEbEEZZNS1_14partition_implILS8_3ELb0ES6_jNS0_17counting_iteratorIjlEEPS9_SE_NS0_5tupleIJPjSE_EEENSF_IJSE_SE_EEES9_SG_JZNS1_25segmented_radix_sort_implINS0_14default_configELb1EPKiPiPKlPlN2at6native12_GLOBAL__N_18offset_tEEE10hipError_tPvRmT1_PNSt15iterator_traitsISY_E10value_typeET2_T3_PNSZ_IS14_E10value_typeET4_jRbjT5_S1A_jjP12ihipStream_tbEUljE_EEESV_SW_SX_S14_S18_S1A_T6_T7_T9_mT8_S1C_bDpT10_ENKUlT_T0_E_clISt17integral_constantIbLb0EES1O_IbLb1EEEEDaS1K_S1L_EUlS1K_E_NS1_11comp_targetILNS1_3genE5ELNS1_11target_archE942ELNS1_3gpuE9ELNS1_3repE0EEENS1_30default_config_static_selectorELNS0_4arch9wavefront6targetE0EEEvSY_,comdat
.Lfunc_end490:
	.size	_ZN7rocprim17ROCPRIM_400000_NS6detail17trampoline_kernelINS0_13select_configILj256ELj13ELNS0_17block_load_methodE3ELS4_3ELS4_3ELNS0_20block_scan_algorithmE0ELj4294967295EEENS1_25partition_config_selectorILNS1_17partition_subalgoE3EjNS0_10empty_typeEbEEZZNS1_14partition_implILS8_3ELb0ES6_jNS0_17counting_iteratorIjlEEPS9_SE_NS0_5tupleIJPjSE_EEENSF_IJSE_SE_EEES9_SG_JZNS1_25segmented_radix_sort_implINS0_14default_configELb1EPKiPiPKlPlN2at6native12_GLOBAL__N_18offset_tEEE10hipError_tPvRmT1_PNSt15iterator_traitsISY_E10value_typeET2_T3_PNSZ_IS14_E10value_typeET4_jRbjT5_S1A_jjP12ihipStream_tbEUljE_EEESV_SW_SX_S14_S18_S1A_T6_T7_T9_mT8_S1C_bDpT10_ENKUlT_T0_E_clISt17integral_constantIbLb0EES1O_IbLb1EEEEDaS1K_S1L_EUlS1K_E_NS1_11comp_targetILNS1_3genE5ELNS1_11target_archE942ELNS1_3gpuE9ELNS1_3repE0EEENS1_30default_config_static_selectorELNS0_4arch9wavefront6targetE0EEEvSY_, .Lfunc_end490-_ZN7rocprim17ROCPRIM_400000_NS6detail17trampoline_kernelINS0_13select_configILj256ELj13ELNS0_17block_load_methodE3ELS4_3ELS4_3ELNS0_20block_scan_algorithmE0ELj4294967295EEENS1_25partition_config_selectorILNS1_17partition_subalgoE3EjNS0_10empty_typeEbEEZZNS1_14partition_implILS8_3ELb0ES6_jNS0_17counting_iteratorIjlEEPS9_SE_NS0_5tupleIJPjSE_EEENSF_IJSE_SE_EEES9_SG_JZNS1_25segmented_radix_sort_implINS0_14default_configELb1EPKiPiPKlPlN2at6native12_GLOBAL__N_18offset_tEEE10hipError_tPvRmT1_PNSt15iterator_traitsISY_E10value_typeET2_T3_PNSZ_IS14_E10value_typeET4_jRbjT5_S1A_jjP12ihipStream_tbEUljE_EEESV_SW_SX_S14_S18_S1A_T6_T7_T9_mT8_S1C_bDpT10_ENKUlT_T0_E_clISt17integral_constantIbLb0EES1O_IbLb1EEEEDaS1K_S1L_EUlS1K_E_NS1_11comp_targetILNS1_3genE5ELNS1_11target_archE942ELNS1_3gpuE9ELNS1_3repE0EEENS1_30default_config_static_selectorELNS0_4arch9wavefront6targetE0EEEvSY_
                                        ; -- End function
	.section	.AMDGPU.csdata,"",@progbits
; Kernel info:
; codeLenInByte = 0
; NumSgprs: 0
; NumVgprs: 0
; ScratchSize: 0
; MemoryBound: 0
; FloatMode: 240
; IeeeMode: 1
; LDSByteSize: 0 bytes/workgroup (compile time only)
; SGPRBlocks: 0
; VGPRBlocks: 0
; NumSGPRsForWavesPerEU: 1
; NumVGPRsForWavesPerEU: 1
; Occupancy: 16
; WaveLimiterHint : 0
; COMPUTE_PGM_RSRC2:SCRATCH_EN: 0
; COMPUTE_PGM_RSRC2:USER_SGPR: 15
; COMPUTE_PGM_RSRC2:TRAP_HANDLER: 0
; COMPUTE_PGM_RSRC2:TGID_X_EN: 1
; COMPUTE_PGM_RSRC2:TGID_Y_EN: 0
; COMPUTE_PGM_RSRC2:TGID_Z_EN: 0
; COMPUTE_PGM_RSRC2:TIDIG_COMP_CNT: 0
	.section	.text._ZN7rocprim17ROCPRIM_400000_NS6detail17trampoline_kernelINS0_13select_configILj256ELj13ELNS0_17block_load_methodE3ELS4_3ELS4_3ELNS0_20block_scan_algorithmE0ELj4294967295EEENS1_25partition_config_selectorILNS1_17partition_subalgoE3EjNS0_10empty_typeEbEEZZNS1_14partition_implILS8_3ELb0ES6_jNS0_17counting_iteratorIjlEEPS9_SE_NS0_5tupleIJPjSE_EEENSF_IJSE_SE_EEES9_SG_JZNS1_25segmented_radix_sort_implINS0_14default_configELb1EPKiPiPKlPlN2at6native12_GLOBAL__N_18offset_tEEE10hipError_tPvRmT1_PNSt15iterator_traitsISY_E10value_typeET2_T3_PNSZ_IS14_E10value_typeET4_jRbjT5_S1A_jjP12ihipStream_tbEUljE_EEESV_SW_SX_S14_S18_S1A_T6_T7_T9_mT8_S1C_bDpT10_ENKUlT_T0_E_clISt17integral_constantIbLb0EES1O_IbLb1EEEEDaS1K_S1L_EUlS1K_E_NS1_11comp_targetILNS1_3genE4ELNS1_11target_archE910ELNS1_3gpuE8ELNS1_3repE0EEENS1_30default_config_static_selectorELNS0_4arch9wavefront6targetE0EEEvSY_,"axG",@progbits,_ZN7rocprim17ROCPRIM_400000_NS6detail17trampoline_kernelINS0_13select_configILj256ELj13ELNS0_17block_load_methodE3ELS4_3ELS4_3ELNS0_20block_scan_algorithmE0ELj4294967295EEENS1_25partition_config_selectorILNS1_17partition_subalgoE3EjNS0_10empty_typeEbEEZZNS1_14partition_implILS8_3ELb0ES6_jNS0_17counting_iteratorIjlEEPS9_SE_NS0_5tupleIJPjSE_EEENSF_IJSE_SE_EEES9_SG_JZNS1_25segmented_radix_sort_implINS0_14default_configELb1EPKiPiPKlPlN2at6native12_GLOBAL__N_18offset_tEEE10hipError_tPvRmT1_PNSt15iterator_traitsISY_E10value_typeET2_T3_PNSZ_IS14_E10value_typeET4_jRbjT5_S1A_jjP12ihipStream_tbEUljE_EEESV_SW_SX_S14_S18_S1A_T6_T7_T9_mT8_S1C_bDpT10_ENKUlT_T0_E_clISt17integral_constantIbLb0EES1O_IbLb1EEEEDaS1K_S1L_EUlS1K_E_NS1_11comp_targetILNS1_3genE4ELNS1_11target_archE910ELNS1_3gpuE8ELNS1_3repE0EEENS1_30default_config_static_selectorELNS0_4arch9wavefront6targetE0EEEvSY_,comdat
	.globl	_ZN7rocprim17ROCPRIM_400000_NS6detail17trampoline_kernelINS0_13select_configILj256ELj13ELNS0_17block_load_methodE3ELS4_3ELS4_3ELNS0_20block_scan_algorithmE0ELj4294967295EEENS1_25partition_config_selectorILNS1_17partition_subalgoE3EjNS0_10empty_typeEbEEZZNS1_14partition_implILS8_3ELb0ES6_jNS0_17counting_iteratorIjlEEPS9_SE_NS0_5tupleIJPjSE_EEENSF_IJSE_SE_EEES9_SG_JZNS1_25segmented_radix_sort_implINS0_14default_configELb1EPKiPiPKlPlN2at6native12_GLOBAL__N_18offset_tEEE10hipError_tPvRmT1_PNSt15iterator_traitsISY_E10value_typeET2_T3_PNSZ_IS14_E10value_typeET4_jRbjT5_S1A_jjP12ihipStream_tbEUljE_EEESV_SW_SX_S14_S18_S1A_T6_T7_T9_mT8_S1C_bDpT10_ENKUlT_T0_E_clISt17integral_constantIbLb0EES1O_IbLb1EEEEDaS1K_S1L_EUlS1K_E_NS1_11comp_targetILNS1_3genE4ELNS1_11target_archE910ELNS1_3gpuE8ELNS1_3repE0EEENS1_30default_config_static_selectorELNS0_4arch9wavefront6targetE0EEEvSY_ ; -- Begin function _ZN7rocprim17ROCPRIM_400000_NS6detail17trampoline_kernelINS0_13select_configILj256ELj13ELNS0_17block_load_methodE3ELS4_3ELS4_3ELNS0_20block_scan_algorithmE0ELj4294967295EEENS1_25partition_config_selectorILNS1_17partition_subalgoE3EjNS0_10empty_typeEbEEZZNS1_14partition_implILS8_3ELb0ES6_jNS0_17counting_iteratorIjlEEPS9_SE_NS0_5tupleIJPjSE_EEENSF_IJSE_SE_EEES9_SG_JZNS1_25segmented_radix_sort_implINS0_14default_configELb1EPKiPiPKlPlN2at6native12_GLOBAL__N_18offset_tEEE10hipError_tPvRmT1_PNSt15iterator_traitsISY_E10value_typeET2_T3_PNSZ_IS14_E10value_typeET4_jRbjT5_S1A_jjP12ihipStream_tbEUljE_EEESV_SW_SX_S14_S18_S1A_T6_T7_T9_mT8_S1C_bDpT10_ENKUlT_T0_E_clISt17integral_constantIbLb0EES1O_IbLb1EEEEDaS1K_S1L_EUlS1K_E_NS1_11comp_targetILNS1_3genE4ELNS1_11target_archE910ELNS1_3gpuE8ELNS1_3repE0EEENS1_30default_config_static_selectorELNS0_4arch9wavefront6targetE0EEEvSY_
	.p2align	8
	.type	_ZN7rocprim17ROCPRIM_400000_NS6detail17trampoline_kernelINS0_13select_configILj256ELj13ELNS0_17block_load_methodE3ELS4_3ELS4_3ELNS0_20block_scan_algorithmE0ELj4294967295EEENS1_25partition_config_selectorILNS1_17partition_subalgoE3EjNS0_10empty_typeEbEEZZNS1_14partition_implILS8_3ELb0ES6_jNS0_17counting_iteratorIjlEEPS9_SE_NS0_5tupleIJPjSE_EEENSF_IJSE_SE_EEES9_SG_JZNS1_25segmented_radix_sort_implINS0_14default_configELb1EPKiPiPKlPlN2at6native12_GLOBAL__N_18offset_tEEE10hipError_tPvRmT1_PNSt15iterator_traitsISY_E10value_typeET2_T3_PNSZ_IS14_E10value_typeET4_jRbjT5_S1A_jjP12ihipStream_tbEUljE_EEESV_SW_SX_S14_S18_S1A_T6_T7_T9_mT8_S1C_bDpT10_ENKUlT_T0_E_clISt17integral_constantIbLb0EES1O_IbLb1EEEEDaS1K_S1L_EUlS1K_E_NS1_11comp_targetILNS1_3genE4ELNS1_11target_archE910ELNS1_3gpuE8ELNS1_3repE0EEENS1_30default_config_static_selectorELNS0_4arch9wavefront6targetE0EEEvSY_,@function
_ZN7rocprim17ROCPRIM_400000_NS6detail17trampoline_kernelINS0_13select_configILj256ELj13ELNS0_17block_load_methodE3ELS4_3ELS4_3ELNS0_20block_scan_algorithmE0ELj4294967295EEENS1_25partition_config_selectorILNS1_17partition_subalgoE3EjNS0_10empty_typeEbEEZZNS1_14partition_implILS8_3ELb0ES6_jNS0_17counting_iteratorIjlEEPS9_SE_NS0_5tupleIJPjSE_EEENSF_IJSE_SE_EEES9_SG_JZNS1_25segmented_radix_sort_implINS0_14default_configELb1EPKiPiPKlPlN2at6native12_GLOBAL__N_18offset_tEEE10hipError_tPvRmT1_PNSt15iterator_traitsISY_E10value_typeET2_T3_PNSZ_IS14_E10value_typeET4_jRbjT5_S1A_jjP12ihipStream_tbEUljE_EEESV_SW_SX_S14_S18_S1A_T6_T7_T9_mT8_S1C_bDpT10_ENKUlT_T0_E_clISt17integral_constantIbLb0EES1O_IbLb1EEEEDaS1K_S1L_EUlS1K_E_NS1_11comp_targetILNS1_3genE4ELNS1_11target_archE910ELNS1_3gpuE8ELNS1_3repE0EEENS1_30default_config_static_selectorELNS0_4arch9wavefront6targetE0EEEvSY_: ; @_ZN7rocprim17ROCPRIM_400000_NS6detail17trampoline_kernelINS0_13select_configILj256ELj13ELNS0_17block_load_methodE3ELS4_3ELS4_3ELNS0_20block_scan_algorithmE0ELj4294967295EEENS1_25partition_config_selectorILNS1_17partition_subalgoE3EjNS0_10empty_typeEbEEZZNS1_14partition_implILS8_3ELb0ES6_jNS0_17counting_iteratorIjlEEPS9_SE_NS0_5tupleIJPjSE_EEENSF_IJSE_SE_EEES9_SG_JZNS1_25segmented_radix_sort_implINS0_14default_configELb1EPKiPiPKlPlN2at6native12_GLOBAL__N_18offset_tEEE10hipError_tPvRmT1_PNSt15iterator_traitsISY_E10value_typeET2_T3_PNSZ_IS14_E10value_typeET4_jRbjT5_S1A_jjP12ihipStream_tbEUljE_EEESV_SW_SX_S14_S18_S1A_T6_T7_T9_mT8_S1C_bDpT10_ENKUlT_T0_E_clISt17integral_constantIbLb0EES1O_IbLb1EEEEDaS1K_S1L_EUlS1K_E_NS1_11comp_targetILNS1_3genE4ELNS1_11target_archE910ELNS1_3gpuE8ELNS1_3repE0EEENS1_30default_config_static_selectorELNS0_4arch9wavefront6targetE0EEEvSY_
; %bb.0:
	.section	.rodata,"a",@progbits
	.p2align	6, 0x0
	.amdhsa_kernel _ZN7rocprim17ROCPRIM_400000_NS6detail17trampoline_kernelINS0_13select_configILj256ELj13ELNS0_17block_load_methodE3ELS4_3ELS4_3ELNS0_20block_scan_algorithmE0ELj4294967295EEENS1_25partition_config_selectorILNS1_17partition_subalgoE3EjNS0_10empty_typeEbEEZZNS1_14partition_implILS8_3ELb0ES6_jNS0_17counting_iteratorIjlEEPS9_SE_NS0_5tupleIJPjSE_EEENSF_IJSE_SE_EEES9_SG_JZNS1_25segmented_radix_sort_implINS0_14default_configELb1EPKiPiPKlPlN2at6native12_GLOBAL__N_18offset_tEEE10hipError_tPvRmT1_PNSt15iterator_traitsISY_E10value_typeET2_T3_PNSZ_IS14_E10value_typeET4_jRbjT5_S1A_jjP12ihipStream_tbEUljE_EEESV_SW_SX_S14_S18_S1A_T6_T7_T9_mT8_S1C_bDpT10_ENKUlT_T0_E_clISt17integral_constantIbLb0EES1O_IbLb1EEEEDaS1K_S1L_EUlS1K_E_NS1_11comp_targetILNS1_3genE4ELNS1_11target_archE910ELNS1_3gpuE8ELNS1_3repE0EEENS1_30default_config_static_selectorELNS0_4arch9wavefront6targetE0EEEvSY_
		.amdhsa_group_segment_fixed_size 0
		.amdhsa_private_segment_fixed_size 0
		.amdhsa_kernarg_size 152
		.amdhsa_user_sgpr_count 15
		.amdhsa_user_sgpr_dispatch_ptr 0
		.amdhsa_user_sgpr_queue_ptr 0
		.amdhsa_user_sgpr_kernarg_segment_ptr 1
		.amdhsa_user_sgpr_dispatch_id 0
		.amdhsa_user_sgpr_private_segment_size 0
		.amdhsa_wavefront_size32 1
		.amdhsa_uses_dynamic_stack 0
		.amdhsa_enable_private_segment 0
		.amdhsa_system_sgpr_workgroup_id_x 1
		.amdhsa_system_sgpr_workgroup_id_y 0
		.amdhsa_system_sgpr_workgroup_id_z 0
		.amdhsa_system_sgpr_workgroup_info 0
		.amdhsa_system_vgpr_workitem_id 0
		.amdhsa_next_free_vgpr 1
		.amdhsa_next_free_sgpr 1
		.amdhsa_reserve_vcc 0
		.amdhsa_float_round_mode_32 0
		.amdhsa_float_round_mode_16_64 0
		.amdhsa_float_denorm_mode_32 3
		.amdhsa_float_denorm_mode_16_64 3
		.amdhsa_dx10_clamp 1
		.amdhsa_ieee_mode 1
		.amdhsa_fp16_overflow 0
		.amdhsa_workgroup_processor_mode 1
		.amdhsa_memory_ordered 1
		.amdhsa_forward_progress 0
		.amdhsa_shared_vgpr_count 0
		.amdhsa_exception_fp_ieee_invalid_op 0
		.amdhsa_exception_fp_denorm_src 0
		.amdhsa_exception_fp_ieee_div_zero 0
		.amdhsa_exception_fp_ieee_overflow 0
		.amdhsa_exception_fp_ieee_underflow 0
		.amdhsa_exception_fp_ieee_inexact 0
		.amdhsa_exception_int_div_zero 0
	.end_amdhsa_kernel
	.section	.text._ZN7rocprim17ROCPRIM_400000_NS6detail17trampoline_kernelINS0_13select_configILj256ELj13ELNS0_17block_load_methodE3ELS4_3ELS4_3ELNS0_20block_scan_algorithmE0ELj4294967295EEENS1_25partition_config_selectorILNS1_17partition_subalgoE3EjNS0_10empty_typeEbEEZZNS1_14partition_implILS8_3ELb0ES6_jNS0_17counting_iteratorIjlEEPS9_SE_NS0_5tupleIJPjSE_EEENSF_IJSE_SE_EEES9_SG_JZNS1_25segmented_radix_sort_implINS0_14default_configELb1EPKiPiPKlPlN2at6native12_GLOBAL__N_18offset_tEEE10hipError_tPvRmT1_PNSt15iterator_traitsISY_E10value_typeET2_T3_PNSZ_IS14_E10value_typeET4_jRbjT5_S1A_jjP12ihipStream_tbEUljE_EEESV_SW_SX_S14_S18_S1A_T6_T7_T9_mT8_S1C_bDpT10_ENKUlT_T0_E_clISt17integral_constantIbLb0EES1O_IbLb1EEEEDaS1K_S1L_EUlS1K_E_NS1_11comp_targetILNS1_3genE4ELNS1_11target_archE910ELNS1_3gpuE8ELNS1_3repE0EEENS1_30default_config_static_selectorELNS0_4arch9wavefront6targetE0EEEvSY_,"axG",@progbits,_ZN7rocprim17ROCPRIM_400000_NS6detail17trampoline_kernelINS0_13select_configILj256ELj13ELNS0_17block_load_methodE3ELS4_3ELS4_3ELNS0_20block_scan_algorithmE0ELj4294967295EEENS1_25partition_config_selectorILNS1_17partition_subalgoE3EjNS0_10empty_typeEbEEZZNS1_14partition_implILS8_3ELb0ES6_jNS0_17counting_iteratorIjlEEPS9_SE_NS0_5tupleIJPjSE_EEENSF_IJSE_SE_EEES9_SG_JZNS1_25segmented_radix_sort_implINS0_14default_configELb1EPKiPiPKlPlN2at6native12_GLOBAL__N_18offset_tEEE10hipError_tPvRmT1_PNSt15iterator_traitsISY_E10value_typeET2_T3_PNSZ_IS14_E10value_typeET4_jRbjT5_S1A_jjP12ihipStream_tbEUljE_EEESV_SW_SX_S14_S18_S1A_T6_T7_T9_mT8_S1C_bDpT10_ENKUlT_T0_E_clISt17integral_constantIbLb0EES1O_IbLb1EEEEDaS1K_S1L_EUlS1K_E_NS1_11comp_targetILNS1_3genE4ELNS1_11target_archE910ELNS1_3gpuE8ELNS1_3repE0EEENS1_30default_config_static_selectorELNS0_4arch9wavefront6targetE0EEEvSY_,comdat
.Lfunc_end491:
	.size	_ZN7rocprim17ROCPRIM_400000_NS6detail17trampoline_kernelINS0_13select_configILj256ELj13ELNS0_17block_load_methodE3ELS4_3ELS4_3ELNS0_20block_scan_algorithmE0ELj4294967295EEENS1_25partition_config_selectorILNS1_17partition_subalgoE3EjNS0_10empty_typeEbEEZZNS1_14partition_implILS8_3ELb0ES6_jNS0_17counting_iteratorIjlEEPS9_SE_NS0_5tupleIJPjSE_EEENSF_IJSE_SE_EEES9_SG_JZNS1_25segmented_radix_sort_implINS0_14default_configELb1EPKiPiPKlPlN2at6native12_GLOBAL__N_18offset_tEEE10hipError_tPvRmT1_PNSt15iterator_traitsISY_E10value_typeET2_T3_PNSZ_IS14_E10value_typeET4_jRbjT5_S1A_jjP12ihipStream_tbEUljE_EEESV_SW_SX_S14_S18_S1A_T6_T7_T9_mT8_S1C_bDpT10_ENKUlT_T0_E_clISt17integral_constantIbLb0EES1O_IbLb1EEEEDaS1K_S1L_EUlS1K_E_NS1_11comp_targetILNS1_3genE4ELNS1_11target_archE910ELNS1_3gpuE8ELNS1_3repE0EEENS1_30default_config_static_selectorELNS0_4arch9wavefront6targetE0EEEvSY_, .Lfunc_end491-_ZN7rocprim17ROCPRIM_400000_NS6detail17trampoline_kernelINS0_13select_configILj256ELj13ELNS0_17block_load_methodE3ELS4_3ELS4_3ELNS0_20block_scan_algorithmE0ELj4294967295EEENS1_25partition_config_selectorILNS1_17partition_subalgoE3EjNS0_10empty_typeEbEEZZNS1_14partition_implILS8_3ELb0ES6_jNS0_17counting_iteratorIjlEEPS9_SE_NS0_5tupleIJPjSE_EEENSF_IJSE_SE_EEES9_SG_JZNS1_25segmented_radix_sort_implINS0_14default_configELb1EPKiPiPKlPlN2at6native12_GLOBAL__N_18offset_tEEE10hipError_tPvRmT1_PNSt15iterator_traitsISY_E10value_typeET2_T3_PNSZ_IS14_E10value_typeET4_jRbjT5_S1A_jjP12ihipStream_tbEUljE_EEESV_SW_SX_S14_S18_S1A_T6_T7_T9_mT8_S1C_bDpT10_ENKUlT_T0_E_clISt17integral_constantIbLb0EES1O_IbLb1EEEEDaS1K_S1L_EUlS1K_E_NS1_11comp_targetILNS1_3genE4ELNS1_11target_archE910ELNS1_3gpuE8ELNS1_3repE0EEENS1_30default_config_static_selectorELNS0_4arch9wavefront6targetE0EEEvSY_
                                        ; -- End function
	.section	.AMDGPU.csdata,"",@progbits
; Kernel info:
; codeLenInByte = 0
; NumSgprs: 0
; NumVgprs: 0
; ScratchSize: 0
; MemoryBound: 0
; FloatMode: 240
; IeeeMode: 1
; LDSByteSize: 0 bytes/workgroup (compile time only)
; SGPRBlocks: 0
; VGPRBlocks: 0
; NumSGPRsForWavesPerEU: 1
; NumVGPRsForWavesPerEU: 1
; Occupancy: 16
; WaveLimiterHint : 0
; COMPUTE_PGM_RSRC2:SCRATCH_EN: 0
; COMPUTE_PGM_RSRC2:USER_SGPR: 15
; COMPUTE_PGM_RSRC2:TRAP_HANDLER: 0
; COMPUTE_PGM_RSRC2:TGID_X_EN: 1
; COMPUTE_PGM_RSRC2:TGID_Y_EN: 0
; COMPUTE_PGM_RSRC2:TGID_Z_EN: 0
; COMPUTE_PGM_RSRC2:TIDIG_COMP_CNT: 0
	.section	.text._ZN7rocprim17ROCPRIM_400000_NS6detail17trampoline_kernelINS0_13select_configILj256ELj13ELNS0_17block_load_methodE3ELS4_3ELS4_3ELNS0_20block_scan_algorithmE0ELj4294967295EEENS1_25partition_config_selectorILNS1_17partition_subalgoE3EjNS0_10empty_typeEbEEZZNS1_14partition_implILS8_3ELb0ES6_jNS0_17counting_iteratorIjlEEPS9_SE_NS0_5tupleIJPjSE_EEENSF_IJSE_SE_EEES9_SG_JZNS1_25segmented_radix_sort_implINS0_14default_configELb1EPKiPiPKlPlN2at6native12_GLOBAL__N_18offset_tEEE10hipError_tPvRmT1_PNSt15iterator_traitsISY_E10value_typeET2_T3_PNSZ_IS14_E10value_typeET4_jRbjT5_S1A_jjP12ihipStream_tbEUljE_EEESV_SW_SX_S14_S18_S1A_T6_T7_T9_mT8_S1C_bDpT10_ENKUlT_T0_E_clISt17integral_constantIbLb0EES1O_IbLb1EEEEDaS1K_S1L_EUlS1K_E_NS1_11comp_targetILNS1_3genE3ELNS1_11target_archE908ELNS1_3gpuE7ELNS1_3repE0EEENS1_30default_config_static_selectorELNS0_4arch9wavefront6targetE0EEEvSY_,"axG",@progbits,_ZN7rocprim17ROCPRIM_400000_NS6detail17trampoline_kernelINS0_13select_configILj256ELj13ELNS0_17block_load_methodE3ELS4_3ELS4_3ELNS0_20block_scan_algorithmE0ELj4294967295EEENS1_25partition_config_selectorILNS1_17partition_subalgoE3EjNS0_10empty_typeEbEEZZNS1_14partition_implILS8_3ELb0ES6_jNS0_17counting_iteratorIjlEEPS9_SE_NS0_5tupleIJPjSE_EEENSF_IJSE_SE_EEES9_SG_JZNS1_25segmented_radix_sort_implINS0_14default_configELb1EPKiPiPKlPlN2at6native12_GLOBAL__N_18offset_tEEE10hipError_tPvRmT1_PNSt15iterator_traitsISY_E10value_typeET2_T3_PNSZ_IS14_E10value_typeET4_jRbjT5_S1A_jjP12ihipStream_tbEUljE_EEESV_SW_SX_S14_S18_S1A_T6_T7_T9_mT8_S1C_bDpT10_ENKUlT_T0_E_clISt17integral_constantIbLb0EES1O_IbLb1EEEEDaS1K_S1L_EUlS1K_E_NS1_11comp_targetILNS1_3genE3ELNS1_11target_archE908ELNS1_3gpuE7ELNS1_3repE0EEENS1_30default_config_static_selectorELNS0_4arch9wavefront6targetE0EEEvSY_,comdat
	.globl	_ZN7rocprim17ROCPRIM_400000_NS6detail17trampoline_kernelINS0_13select_configILj256ELj13ELNS0_17block_load_methodE3ELS4_3ELS4_3ELNS0_20block_scan_algorithmE0ELj4294967295EEENS1_25partition_config_selectorILNS1_17partition_subalgoE3EjNS0_10empty_typeEbEEZZNS1_14partition_implILS8_3ELb0ES6_jNS0_17counting_iteratorIjlEEPS9_SE_NS0_5tupleIJPjSE_EEENSF_IJSE_SE_EEES9_SG_JZNS1_25segmented_radix_sort_implINS0_14default_configELb1EPKiPiPKlPlN2at6native12_GLOBAL__N_18offset_tEEE10hipError_tPvRmT1_PNSt15iterator_traitsISY_E10value_typeET2_T3_PNSZ_IS14_E10value_typeET4_jRbjT5_S1A_jjP12ihipStream_tbEUljE_EEESV_SW_SX_S14_S18_S1A_T6_T7_T9_mT8_S1C_bDpT10_ENKUlT_T0_E_clISt17integral_constantIbLb0EES1O_IbLb1EEEEDaS1K_S1L_EUlS1K_E_NS1_11comp_targetILNS1_3genE3ELNS1_11target_archE908ELNS1_3gpuE7ELNS1_3repE0EEENS1_30default_config_static_selectorELNS0_4arch9wavefront6targetE0EEEvSY_ ; -- Begin function _ZN7rocprim17ROCPRIM_400000_NS6detail17trampoline_kernelINS0_13select_configILj256ELj13ELNS0_17block_load_methodE3ELS4_3ELS4_3ELNS0_20block_scan_algorithmE0ELj4294967295EEENS1_25partition_config_selectorILNS1_17partition_subalgoE3EjNS0_10empty_typeEbEEZZNS1_14partition_implILS8_3ELb0ES6_jNS0_17counting_iteratorIjlEEPS9_SE_NS0_5tupleIJPjSE_EEENSF_IJSE_SE_EEES9_SG_JZNS1_25segmented_radix_sort_implINS0_14default_configELb1EPKiPiPKlPlN2at6native12_GLOBAL__N_18offset_tEEE10hipError_tPvRmT1_PNSt15iterator_traitsISY_E10value_typeET2_T3_PNSZ_IS14_E10value_typeET4_jRbjT5_S1A_jjP12ihipStream_tbEUljE_EEESV_SW_SX_S14_S18_S1A_T6_T7_T9_mT8_S1C_bDpT10_ENKUlT_T0_E_clISt17integral_constantIbLb0EES1O_IbLb1EEEEDaS1K_S1L_EUlS1K_E_NS1_11comp_targetILNS1_3genE3ELNS1_11target_archE908ELNS1_3gpuE7ELNS1_3repE0EEENS1_30default_config_static_selectorELNS0_4arch9wavefront6targetE0EEEvSY_
	.p2align	8
	.type	_ZN7rocprim17ROCPRIM_400000_NS6detail17trampoline_kernelINS0_13select_configILj256ELj13ELNS0_17block_load_methodE3ELS4_3ELS4_3ELNS0_20block_scan_algorithmE0ELj4294967295EEENS1_25partition_config_selectorILNS1_17partition_subalgoE3EjNS0_10empty_typeEbEEZZNS1_14partition_implILS8_3ELb0ES6_jNS0_17counting_iteratorIjlEEPS9_SE_NS0_5tupleIJPjSE_EEENSF_IJSE_SE_EEES9_SG_JZNS1_25segmented_radix_sort_implINS0_14default_configELb1EPKiPiPKlPlN2at6native12_GLOBAL__N_18offset_tEEE10hipError_tPvRmT1_PNSt15iterator_traitsISY_E10value_typeET2_T3_PNSZ_IS14_E10value_typeET4_jRbjT5_S1A_jjP12ihipStream_tbEUljE_EEESV_SW_SX_S14_S18_S1A_T6_T7_T9_mT8_S1C_bDpT10_ENKUlT_T0_E_clISt17integral_constantIbLb0EES1O_IbLb1EEEEDaS1K_S1L_EUlS1K_E_NS1_11comp_targetILNS1_3genE3ELNS1_11target_archE908ELNS1_3gpuE7ELNS1_3repE0EEENS1_30default_config_static_selectorELNS0_4arch9wavefront6targetE0EEEvSY_,@function
_ZN7rocprim17ROCPRIM_400000_NS6detail17trampoline_kernelINS0_13select_configILj256ELj13ELNS0_17block_load_methodE3ELS4_3ELS4_3ELNS0_20block_scan_algorithmE0ELj4294967295EEENS1_25partition_config_selectorILNS1_17partition_subalgoE3EjNS0_10empty_typeEbEEZZNS1_14partition_implILS8_3ELb0ES6_jNS0_17counting_iteratorIjlEEPS9_SE_NS0_5tupleIJPjSE_EEENSF_IJSE_SE_EEES9_SG_JZNS1_25segmented_radix_sort_implINS0_14default_configELb1EPKiPiPKlPlN2at6native12_GLOBAL__N_18offset_tEEE10hipError_tPvRmT1_PNSt15iterator_traitsISY_E10value_typeET2_T3_PNSZ_IS14_E10value_typeET4_jRbjT5_S1A_jjP12ihipStream_tbEUljE_EEESV_SW_SX_S14_S18_S1A_T6_T7_T9_mT8_S1C_bDpT10_ENKUlT_T0_E_clISt17integral_constantIbLb0EES1O_IbLb1EEEEDaS1K_S1L_EUlS1K_E_NS1_11comp_targetILNS1_3genE3ELNS1_11target_archE908ELNS1_3gpuE7ELNS1_3repE0EEENS1_30default_config_static_selectorELNS0_4arch9wavefront6targetE0EEEvSY_: ; @_ZN7rocprim17ROCPRIM_400000_NS6detail17trampoline_kernelINS0_13select_configILj256ELj13ELNS0_17block_load_methodE3ELS4_3ELS4_3ELNS0_20block_scan_algorithmE0ELj4294967295EEENS1_25partition_config_selectorILNS1_17partition_subalgoE3EjNS0_10empty_typeEbEEZZNS1_14partition_implILS8_3ELb0ES6_jNS0_17counting_iteratorIjlEEPS9_SE_NS0_5tupleIJPjSE_EEENSF_IJSE_SE_EEES9_SG_JZNS1_25segmented_radix_sort_implINS0_14default_configELb1EPKiPiPKlPlN2at6native12_GLOBAL__N_18offset_tEEE10hipError_tPvRmT1_PNSt15iterator_traitsISY_E10value_typeET2_T3_PNSZ_IS14_E10value_typeET4_jRbjT5_S1A_jjP12ihipStream_tbEUljE_EEESV_SW_SX_S14_S18_S1A_T6_T7_T9_mT8_S1C_bDpT10_ENKUlT_T0_E_clISt17integral_constantIbLb0EES1O_IbLb1EEEEDaS1K_S1L_EUlS1K_E_NS1_11comp_targetILNS1_3genE3ELNS1_11target_archE908ELNS1_3gpuE7ELNS1_3repE0EEENS1_30default_config_static_selectorELNS0_4arch9wavefront6targetE0EEEvSY_
; %bb.0:
	.section	.rodata,"a",@progbits
	.p2align	6, 0x0
	.amdhsa_kernel _ZN7rocprim17ROCPRIM_400000_NS6detail17trampoline_kernelINS0_13select_configILj256ELj13ELNS0_17block_load_methodE3ELS4_3ELS4_3ELNS0_20block_scan_algorithmE0ELj4294967295EEENS1_25partition_config_selectorILNS1_17partition_subalgoE3EjNS0_10empty_typeEbEEZZNS1_14partition_implILS8_3ELb0ES6_jNS0_17counting_iteratorIjlEEPS9_SE_NS0_5tupleIJPjSE_EEENSF_IJSE_SE_EEES9_SG_JZNS1_25segmented_radix_sort_implINS0_14default_configELb1EPKiPiPKlPlN2at6native12_GLOBAL__N_18offset_tEEE10hipError_tPvRmT1_PNSt15iterator_traitsISY_E10value_typeET2_T3_PNSZ_IS14_E10value_typeET4_jRbjT5_S1A_jjP12ihipStream_tbEUljE_EEESV_SW_SX_S14_S18_S1A_T6_T7_T9_mT8_S1C_bDpT10_ENKUlT_T0_E_clISt17integral_constantIbLb0EES1O_IbLb1EEEEDaS1K_S1L_EUlS1K_E_NS1_11comp_targetILNS1_3genE3ELNS1_11target_archE908ELNS1_3gpuE7ELNS1_3repE0EEENS1_30default_config_static_selectorELNS0_4arch9wavefront6targetE0EEEvSY_
		.amdhsa_group_segment_fixed_size 0
		.amdhsa_private_segment_fixed_size 0
		.amdhsa_kernarg_size 152
		.amdhsa_user_sgpr_count 15
		.amdhsa_user_sgpr_dispatch_ptr 0
		.amdhsa_user_sgpr_queue_ptr 0
		.amdhsa_user_sgpr_kernarg_segment_ptr 1
		.amdhsa_user_sgpr_dispatch_id 0
		.amdhsa_user_sgpr_private_segment_size 0
		.amdhsa_wavefront_size32 1
		.amdhsa_uses_dynamic_stack 0
		.amdhsa_enable_private_segment 0
		.amdhsa_system_sgpr_workgroup_id_x 1
		.amdhsa_system_sgpr_workgroup_id_y 0
		.amdhsa_system_sgpr_workgroup_id_z 0
		.amdhsa_system_sgpr_workgroup_info 0
		.amdhsa_system_vgpr_workitem_id 0
		.amdhsa_next_free_vgpr 1
		.amdhsa_next_free_sgpr 1
		.amdhsa_reserve_vcc 0
		.amdhsa_float_round_mode_32 0
		.amdhsa_float_round_mode_16_64 0
		.amdhsa_float_denorm_mode_32 3
		.amdhsa_float_denorm_mode_16_64 3
		.amdhsa_dx10_clamp 1
		.amdhsa_ieee_mode 1
		.amdhsa_fp16_overflow 0
		.amdhsa_workgroup_processor_mode 1
		.amdhsa_memory_ordered 1
		.amdhsa_forward_progress 0
		.amdhsa_shared_vgpr_count 0
		.amdhsa_exception_fp_ieee_invalid_op 0
		.amdhsa_exception_fp_denorm_src 0
		.amdhsa_exception_fp_ieee_div_zero 0
		.amdhsa_exception_fp_ieee_overflow 0
		.amdhsa_exception_fp_ieee_underflow 0
		.amdhsa_exception_fp_ieee_inexact 0
		.amdhsa_exception_int_div_zero 0
	.end_amdhsa_kernel
	.section	.text._ZN7rocprim17ROCPRIM_400000_NS6detail17trampoline_kernelINS0_13select_configILj256ELj13ELNS0_17block_load_methodE3ELS4_3ELS4_3ELNS0_20block_scan_algorithmE0ELj4294967295EEENS1_25partition_config_selectorILNS1_17partition_subalgoE3EjNS0_10empty_typeEbEEZZNS1_14partition_implILS8_3ELb0ES6_jNS0_17counting_iteratorIjlEEPS9_SE_NS0_5tupleIJPjSE_EEENSF_IJSE_SE_EEES9_SG_JZNS1_25segmented_radix_sort_implINS0_14default_configELb1EPKiPiPKlPlN2at6native12_GLOBAL__N_18offset_tEEE10hipError_tPvRmT1_PNSt15iterator_traitsISY_E10value_typeET2_T3_PNSZ_IS14_E10value_typeET4_jRbjT5_S1A_jjP12ihipStream_tbEUljE_EEESV_SW_SX_S14_S18_S1A_T6_T7_T9_mT8_S1C_bDpT10_ENKUlT_T0_E_clISt17integral_constantIbLb0EES1O_IbLb1EEEEDaS1K_S1L_EUlS1K_E_NS1_11comp_targetILNS1_3genE3ELNS1_11target_archE908ELNS1_3gpuE7ELNS1_3repE0EEENS1_30default_config_static_selectorELNS0_4arch9wavefront6targetE0EEEvSY_,"axG",@progbits,_ZN7rocprim17ROCPRIM_400000_NS6detail17trampoline_kernelINS0_13select_configILj256ELj13ELNS0_17block_load_methodE3ELS4_3ELS4_3ELNS0_20block_scan_algorithmE0ELj4294967295EEENS1_25partition_config_selectorILNS1_17partition_subalgoE3EjNS0_10empty_typeEbEEZZNS1_14partition_implILS8_3ELb0ES6_jNS0_17counting_iteratorIjlEEPS9_SE_NS0_5tupleIJPjSE_EEENSF_IJSE_SE_EEES9_SG_JZNS1_25segmented_radix_sort_implINS0_14default_configELb1EPKiPiPKlPlN2at6native12_GLOBAL__N_18offset_tEEE10hipError_tPvRmT1_PNSt15iterator_traitsISY_E10value_typeET2_T3_PNSZ_IS14_E10value_typeET4_jRbjT5_S1A_jjP12ihipStream_tbEUljE_EEESV_SW_SX_S14_S18_S1A_T6_T7_T9_mT8_S1C_bDpT10_ENKUlT_T0_E_clISt17integral_constantIbLb0EES1O_IbLb1EEEEDaS1K_S1L_EUlS1K_E_NS1_11comp_targetILNS1_3genE3ELNS1_11target_archE908ELNS1_3gpuE7ELNS1_3repE0EEENS1_30default_config_static_selectorELNS0_4arch9wavefront6targetE0EEEvSY_,comdat
.Lfunc_end492:
	.size	_ZN7rocprim17ROCPRIM_400000_NS6detail17trampoline_kernelINS0_13select_configILj256ELj13ELNS0_17block_load_methodE3ELS4_3ELS4_3ELNS0_20block_scan_algorithmE0ELj4294967295EEENS1_25partition_config_selectorILNS1_17partition_subalgoE3EjNS0_10empty_typeEbEEZZNS1_14partition_implILS8_3ELb0ES6_jNS0_17counting_iteratorIjlEEPS9_SE_NS0_5tupleIJPjSE_EEENSF_IJSE_SE_EEES9_SG_JZNS1_25segmented_radix_sort_implINS0_14default_configELb1EPKiPiPKlPlN2at6native12_GLOBAL__N_18offset_tEEE10hipError_tPvRmT1_PNSt15iterator_traitsISY_E10value_typeET2_T3_PNSZ_IS14_E10value_typeET4_jRbjT5_S1A_jjP12ihipStream_tbEUljE_EEESV_SW_SX_S14_S18_S1A_T6_T7_T9_mT8_S1C_bDpT10_ENKUlT_T0_E_clISt17integral_constantIbLb0EES1O_IbLb1EEEEDaS1K_S1L_EUlS1K_E_NS1_11comp_targetILNS1_3genE3ELNS1_11target_archE908ELNS1_3gpuE7ELNS1_3repE0EEENS1_30default_config_static_selectorELNS0_4arch9wavefront6targetE0EEEvSY_, .Lfunc_end492-_ZN7rocprim17ROCPRIM_400000_NS6detail17trampoline_kernelINS0_13select_configILj256ELj13ELNS0_17block_load_methodE3ELS4_3ELS4_3ELNS0_20block_scan_algorithmE0ELj4294967295EEENS1_25partition_config_selectorILNS1_17partition_subalgoE3EjNS0_10empty_typeEbEEZZNS1_14partition_implILS8_3ELb0ES6_jNS0_17counting_iteratorIjlEEPS9_SE_NS0_5tupleIJPjSE_EEENSF_IJSE_SE_EEES9_SG_JZNS1_25segmented_radix_sort_implINS0_14default_configELb1EPKiPiPKlPlN2at6native12_GLOBAL__N_18offset_tEEE10hipError_tPvRmT1_PNSt15iterator_traitsISY_E10value_typeET2_T3_PNSZ_IS14_E10value_typeET4_jRbjT5_S1A_jjP12ihipStream_tbEUljE_EEESV_SW_SX_S14_S18_S1A_T6_T7_T9_mT8_S1C_bDpT10_ENKUlT_T0_E_clISt17integral_constantIbLb0EES1O_IbLb1EEEEDaS1K_S1L_EUlS1K_E_NS1_11comp_targetILNS1_3genE3ELNS1_11target_archE908ELNS1_3gpuE7ELNS1_3repE0EEENS1_30default_config_static_selectorELNS0_4arch9wavefront6targetE0EEEvSY_
                                        ; -- End function
	.section	.AMDGPU.csdata,"",@progbits
; Kernel info:
; codeLenInByte = 0
; NumSgprs: 0
; NumVgprs: 0
; ScratchSize: 0
; MemoryBound: 0
; FloatMode: 240
; IeeeMode: 1
; LDSByteSize: 0 bytes/workgroup (compile time only)
; SGPRBlocks: 0
; VGPRBlocks: 0
; NumSGPRsForWavesPerEU: 1
; NumVGPRsForWavesPerEU: 1
; Occupancy: 16
; WaveLimiterHint : 0
; COMPUTE_PGM_RSRC2:SCRATCH_EN: 0
; COMPUTE_PGM_RSRC2:USER_SGPR: 15
; COMPUTE_PGM_RSRC2:TRAP_HANDLER: 0
; COMPUTE_PGM_RSRC2:TGID_X_EN: 1
; COMPUTE_PGM_RSRC2:TGID_Y_EN: 0
; COMPUTE_PGM_RSRC2:TGID_Z_EN: 0
; COMPUTE_PGM_RSRC2:TIDIG_COMP_CNT: 0
	.section	.text._ZN7rocprim17ROCPRIM_400000_NS6detail17trampoline_kernelINS0_13select_configILj256ELj13ELNS0_17block_load_methodE3ELS4_3ELS4_3ELNS0_20block_scan_algorithmE0ELj4294967295EEENS1_25partition_config_selectorILNS1_17partition_subalgoE3EjNS0_10empty_typeEbEEZZNS1_14partition_implILS8_3ELb0ES6_jNS0_17counting_iteratorIjlEEPS9_SE_NS0_5tupleIJPjSE_EEENSF_IJSE_SE_EEES9_SG_JZNS1_25segmented_radix_sort_implINS0_14default_configELb1EPKiPiPKlPlN2at6native12_GLOBAL__N_18offset_tEEE10hipError_tPvRmT1_PNSt15iterator_traitsISY_E10value_typeET2_T3_PNSZ_IS14_E10value_typeET4_jRbjT5_S1A_jjP12ihipStream_tbEUljE_EEESV_SW_SX_S14_S18_S1A_T6_T7_T9_mT8_S1C_bDpT10_ENKUlT_T0_E_clISt17integral_constantIbLb0EES1O_IbLb1EEEEDaS1K_S1L_EUlS1K_E_NS1_11comp_targetILNS1_3genE2ELNS1_11target_archE906ELNS1_3gpuE6ELNS1_3repE0EEENS1_30default_config_static_selectorELNS0_4arch9wavefront6targetE0EEEvSY_,"axG",@progbits,_ZN7rocprim17ROCPRIM_400000_NS6detail17trampoline_kernelINS0_13select_configILj256ELj13ELNS0_17block_load_methodE3ELS4_3ELS4_3ELNS0_20block_scan_algorithmE0ELj4294967295EEENS1_25partition_config_selectorILNS1_17partition_subalgoE3EjNS0_10empty_typeEbEEZZNS1_14partition_implILS8_3ELb0ES6_jNS0_17counting_iteratorIjlEEPS9_SE_NS0_5tupleIJPjSE_EEENSF_IJSE_SE_EEES9_SG_JZNS1_25segmented_radix_sort_implINS0_14default_configELb1EPKiPiPKlPlN2at6native12_GLOBAL__N_18offset_tEEE10hipError_tPvRmT1_PNSt15iterator_traitsISY_E10value_typeET2_T3_PNSZ_IS14_E10value_typeET4_jRbjT5_S1A_jjP12ihipStream_tbEUljE_EEESV_SW_SX_S14_S18_S1A_T6_T7_T9_mT8_S1C_bDpT10_ENKUlT_T0_E_clISt17integral_constantIbLb0EES1O_IbLb1EEEEDaS1K_S1L_EUlS1K_E_NS1_11comp_targetILNS1_3genE2ELNS1_11target_archE906ELNS1_3gpuE6ELNS1_3repE0EEENS1_30default_config_static_selectorELNS0_4arch9wavefront6targetE0EEEvSY_,comdat
	.globl	_ZN7rocprim17ROCPRIM_400000_NS6detail17trampoline_kernelINS0_13select_configILj256ELj13ELNS0_17block_load_methodE3ELS4_3ELS4_3ELNS0_20block_scan_algorithmE0ELj4294967295EEENS1_25partition_config_selectorILNS1_17partition_subalgoE3EjNS0_10empty_typeEbEEZZNS1_14partition_implILS8_3ELb0ES6_jNS0_17counting_iteratorIjlEEPS9_SE_NS0_5tupleIJPjSE_EEENSF_IJSE_SE_EEES9_SG_JZNS1_25segmented_radix_sort_implINS0_14default_configELb1EPKiPiPKlPlN2at6native12_GLOBAL__N_18offset_tEEE10hipError_tPvRmT1_PNSt15iterator_traitsISY_E10value_typeET2_T3_PNSZ_IS14_E10value_typeET4_jRbjT5_S1A_jjP12ihipStream_tbEUljE_EEESV_SW_SX_S14_S18_S1A_T6_T7_T9_mT8_S1C_bDpT10_ENKUlT_T0_E_clISt17integral_constantIbLb0EES1O_IbLb1EEEEDaS1K_S1L_EUlS1K_E_NS1_11comp_targetILNS1_3genE2ELNS1_11target_archE906ELNS1_3gpuE6ELNS1_3repE0EEENS1_30default_config_static_selectorELNS0_4arch9wavefront6targetE0EEEvSY_ ; -- Begin function _ZN7rocprim17ROCPRIM_400000_NS6detail17trampoline_kernelINS0_13select_configILj256ELj13ELNS0_17block_load_methodE3ELS4_3ELS4_3ELNS0_20block_scan_algorithmE0ELj4294967295EEENS1_25partition_config_selectorILNS1_17partition_subalgoE3EjNS0_10empty_typeEbEEZZNS1_14partition_implILS8_3ELb0ES6_jNS0_17counting_iteratorIjlEEPS9_SE_NS0_5tupleIJPjSE_EEENSF_IJSE_SE_EEES9_SG_JZNS1_25segmented_radix_sort_implINS0_14default_configELb1EPKiPiPKlPlN2at6native12_GLOBAL__N_18offset_tEEE10hipError_tPvRmT1_PNSt15iterator_traitsISY_E10value_typeET2_T3_PNSZ_IS14_E10value_typeET4_jRbjT5_S1A_jjP12ihipStream_tbEUljE_EEESV_SW_SX_S14_S18_S1A_T6_T7_T9_mT8_S1C_bDpT10_ENKUlT_T0_E_clISt17integral_constantIbLb0EES1O_IbLb1EEEEDaS1K_S1L_EUlS1K_E_NS1_11comp_targetILNS1_3genE2ELNS1_11target_archE906ELNS1_3gpuE6ELNS1_3repE0EEENS1_30default_config_static_selectorELNS0_4arch9wavefront6targetE0EEEvSY_
	.p2align	8
	.type	_ZN7rocprim17ROCPRIM_400000_NS6detail17trampoline_kernelINS0_13select_configILj256ELj13ELNS0_17block_load_methodE3ELS4_3ELS4_3ELNS0_20block_scan_algorithmE0ELj4294967295EEENS1_25partition_config_selectorILNS1_17partition_subalgoE3EjNS0_10empty_typeEbEEZZNS1_14partition_implILS8_3ELb0ES6_jNS0_17counting_iteratorIjlEEPS9_SE_NS0_5tupleIJPjSE_EEENSF_IJSE_SE_EEES9_SG_JZNS1_25segmented_radix_sort_implINS0_14default_configELb1EPKiPiPKlPlN2at6native12_GLOBAL__N_18offset_tEEE10hipError_tPvRmT1_PNSt15iterator_traitsISY_E10value_typeET2_T3_PNSZ_IS14_E10value_typeET4_jRbjT5_S1A_jjP12ihipStream_tbEUljE_EEESV_SW_SX_S14_S18_S1A_T6_T7_T9_mT8_S1C_bDpT10_ENKUlT_T0_E_clISt17integral_constantIbLb0EES1O_IbLb1EEEEDaS1K_S1L_EUlS1K_E_NS1_11comp_targetILNS1_3genE2ELNS1_11target_archE906ELNS1_3gpuE6ELNS1_3repE0EEENS1_30default_config_static_selectorELNS0_4arch9wavefront6targetE0EEEvSY_,@function
_ZN7rocprim17ROCPRIM_400000_NS6detail17trampoline_kernelINS0_13select_configILj256ELj13ELNS0_17block_load_methodE3ELS4_3ELS4_3ELNS0_20block_scan_algorithmE0ELj4294967295EEENS1_25partition_config_selectorILNS1_17partition_subalgoE3EjNS0_10empty_typeEbEEZZNS1_14partition_implILS8_3ELb0ES6_jNS0_17counting_iteratorIjlEEPS9_SE_NS0_5tupleIJPjSE_EEENSF_IJSE_SE_EEES9_SG_JZNS1_25segmented_radix_sort_implINS0_14default_configELb1EPKiPiPKlPlN2at6native12_GLOBAL__N_18offset_tEEE10hipError_tPvRmT1_PNSt15iterator_traitsISY_E10value_typeET2_T3_PNSZ_IS14_E10value_typeET4_jRbjT5_S1A_jjP12ihipStream_tbEUljE_EEESV_SW_SX_S14_S18_S1A_T6_T7_T9_mT8_S1C_bDpT10_ENKUlT_T0_E_clISt17integral_constantIbLb0EES1O_IbLb1EEEEDaS1K_S1L_EUlS1K_E_NS1_11comp_targetILNS1_3genE2ELNS1_11target_archE906ELNS1_3gpuE6ELNS1_3repE0EEENS1_30default_config_static_selectorELNS0_4arch9wavefront6targetE0EEEvSY_: ; @_ZN7rocprim17ROCPRIM_400000_NS6detail17trampoline_kernelINS0_13select_configILj256ELj13ELNS0_17block_load_methodE3ELS4_3ELS4_3ELNS0_20block_scan_algorithmE0ELj4294967295EEENS1_25partition_config_selectorILNS1_17partition_subalgoE3EjNS0_10empty_typeEbEEZZNS1_14partition_implILS8_3ELb0ES6_jNS0_17counting_iteratorIjlEEPS9_SE_NS0_5tupleIJPjSE_EEENSF_IJSE_SE_EEES9_SG_JZNS1_25segmented_radix_sort_implINS0_14default_configELb1EPKiPiPKlPlN2at6native12_GLOBAL__N_18offset_tEEE10hipError_tPvRmT1_PNSt15iterator_traitsISY_E10value_typeET2_T3_PNSZ_IS14_E10value_typeET4_jRbjT5_S1A_jjP12ihipStream_tbEUljE_EEESV_SW_SX_S14_S18_S1A_T6_T7_T9_mT8_S1C_bDpT10_ENKUlT_T0_E_clISt17integral_constantIbLb0EES1O_IbLb1EEEEDaS1K_S1L_EUlS1K_E_NS1_11comp_targetILNS1_3genE2ELNS1_11target_archE906ELNS1_3gpuE6ELNS1_3repE0EEENS1_30default_config_static_selectorELNS0_4arch9wavefront6targetE0EEEvSY_
; %bb.0:
	.section	.rodata,"a",@progbits
	.p2align	6, 0x0
	.amdhsa_kernel _ZN7rocprim17ROCPRIM_400000_NS6detail17trampoline_kernelINS0_13select_configILj256ELj13ELNS0_17block_load_methodE3ELS4_3ELS4_3ELNS0_20block_scan_algorithmE0ELj4294967295EEENS1_25partition_config_selectorILNS1_17partition_subalgoE3EjNS0_10empty_typeEbEEZZNS1_14partition_implILS8_3ELb0ES6_jNS0_17counting_iteratorIjlEEPS9_SE_NS0_5tupleIJPjSE_EEENSF_IJSE_SE_EEES9_SG_JZNS1_25segmented_radix_sort_implINS0_14default_configELb1EPKiPiPKlPlN2at6native12_GLOBAL__N_18offset_tEEE10hipError_tPvRmT1_PNSt15iterator_traitsISY_E10value_typeET2_T3_PNSZ_IS14_E10value_typeET4_jRbjT5_S1A_jjP12ihipStream_tbEUljE_EEESV_SW_SX_S14_S18_S1A_T6_T7_T9_mT8_S1C_bDpT10_ENKUlT_T0_E_clISt17integral_constantIbLb0EES1O_IbLb1EEEEDaS1K_S1L_EUlS1K_E_NS1_11comp_targetILNS1_3genE2ELNS1_11target_archE906ELNS1_3gpuE6ELNS1_3repE0EEENS1_30default_config_static_selectorELNS0_4arch9wavefront6targetE0EEEvSY_
		.amdhsa_group_segment_fixed_size 0
		.amdhsa_private_segment_fixed_size 0
		.amdhsa_kernarg_size 152
		.amdhsa_user_sgpr_count 15
		.amdhsa_user_sgpr_dispatch_ptr 0
		.amdhsa_user_sgpr_queue_ptr 0
		.amdhsa_user_sgpr_kernarg_segment_ptr 1
		.amdhsa_user_sgpr_dispatch_id 0
		.amdhsa_user_sgpr_private_segment_size 0
		.amdhsa_wavefront_size32 1
		.amdhsa_uses_dynamic_stack 0
		.amdhsa_enable_private_segment 0
		.amdhsa_system_sgpr_workgroup_id_x 1
		.amdhsa_system_sgpr_workgroup_id_y 0
		.amdhsa_system_sgpr_workgroup_id_z 0
		.amdhsa_system_sgpr_workgroup_info 0
		.amdhsa_system_vgpr_workitem_id 0
		.amdhsa_next_free_vgpr 1
		.amdhsa_next_free_sgpr 1
		.amdhsa_reserve_vcc 0
		.amdhsa_float_round_mode_32 0
		.amdhsa_float_round_mode_16_64 0
		.amdhsa_float_denorm_mode_32 3
		.amdhsa_float_denorm_mode_16_64 3
		.amdhsa_dx10_clamp 1
		.amdhsa_ieee_mode 1
		.amdhsa_fp16_overflow 0
		.amdhsa_workgroup_processor_mode 1
		.amdhsa_memory_ordered 1
		.amdhsa_forward_progress 0
		.amdhsa_shared_vgpr_count 0
		.amdhsa_exception_fp_ieee_invalid_op 0
		.amdhsa_exception_fp_denorm_src 0
		.amdhsa_exception_fp_ieee_div_zero 0
		.amdhsa_exception_fp_ieee_overflow 0
		.amdhsa_exception_fp_ieee_underflow 0
		.amdhsa_exception_fp_ieee_inexact 0
		.amdhsa_exception_int_div_zero 0
	.end_amdhsa_kernel
	.section	.text._ZN7rocprim17ROCPRIM_400000_NS6detail17trampoline_kernelINS0_13select_configILj256ELj13ELNS0_17block_load_methodE3ELS4_3ELS4_3ELNS0_20block_scan_algorithmE0ELj4294967295EEENS1_25partition_config_selectorILNS1_17partition_subalgoE3EjNS0_10empty_typeEbEEZZNS1_14partition_implILS8_3ELb0ES6_jNS0_17counting_iteratorIjlEEPS9_SE_NS0_5tupleIJPjSE_EEENSF_IJSE_SE_EEES9_SG_JZNS1_25segmented_radix_sort_implINS0_14default_configELb1EPKiPiPKlPlN2at6native12_GLOBAL__N_18offset_tEEE10hipError_tPvRmT1_PNSt15iterator_traitsISY_E10value_typeET2_T3_PNSZ_IS14_E10value_typeET4_jRbjT5_S1A_jjP12ihipStream_tbEUljE_EEESV_SW_SX_S14_S18_S1A_T6_T7_T9_mT8_S1C_bDpT10_ENKUlT_T0_E_clISt17integral_constantIbLb0EES1O_IbLb1EEEEDaS1K_S1L_EUlS1K_E_NS1_11comp_targetILNS1_3genE2ELNS1_11target_archE906ELNS1_3gpuE6ELNS1_3repE0EEENS1_30default_config_static_selectorELNS0_4arch9wavefront6targetE0EEEvSY_,"axG",@progbits,_ZN7rocprim17ROCPRIM_400000_NS6detail17trampoline_kernelINS0_13select_configILj256ELj13ELNS0_17block_load_methodE3ELS4_3ELS4_3ELNS0_20block_scan_algorithmE0ELj4294967295EEENS1_25partition_config_selectorILNS1_17partition_subalgoE3EjNS0_10empty_typeEbEEZZNS1_14partition_implILS8_3ELb0ES6_jNS0_17counting_iteratorIjlEEPS9_SE_NS0_5tupleIJPjSE_EEENSF_IJSE_SE_EEES9_SG_JZNS1_25segmented_radix_sort_implINS0_14default_configELb1EPKiPiPKlPlN2at6native12_GLOBAL__N_18offset_tEEE10hipError_tPvRmT1_PNSt15iterator_traitsISY_E10value_typeET2_T3_PNSZ_IS14_E10value_typeET4_jRbjT5_S1A_jjP12ihipStream_tbEUljE_EEESV_SW_SX_S14_S18_S1A_T6_T7_T9_mT8_S1C_bDpT10_ENKUlT_T0_E_clISt17integral_constantIbLb0EES1O_IbLb1EEEEDaS1K_S1L_EUlS1K_E_NS1_11comp_targetILNS1_3genE2ELNS1_11target_archE906ELNS1_3gpuE6ELNS1_3repE0EEENS1_30default_config_static_selectorELNS0_4arch9wavefront6targetE0EEEvSY_,comdat
.Lfunc_end493:
	.size	_ZN7rocprim17ROCPRIM_400000_NS6detail17trampoline_kernelINS0_13select_configILj256ELj13ELNS0_17block_load_methodE3ELS4_3ELS4_3ELNS0_20block_scan_algorithmE0ELj4294967295EEENS1_25partition_config_selectorILNS1_17partition_subalgoE3EjNS0_10empty_typeEbEEZZNS1_14partition_implILS8_3ELb0ES6_jNS0_17counting_iteratorIjlEEPS9_SE_NS0_5tupleIJPjSE_EEENSF_IJSE_SE_EEES9_SG_JZNS1_25segmented_radix_sort_implINS0_14default_configELb1EPKiPiPKlPlN2at6native12_GLOBAL__N_18offset_tEEE10hipError_tPvRmT1_PNSt15iterator_traitsISY_E10value_typeET2_T3_PNSZ_IS14_E10value_typeET4_jRbjT5_S1A_jjP12ihipStream_tbEUljE_EEESV_SW_SX_S14_S18_S1A_T6_T7_T9_mT8_S1C_bDpT10_ENKUlT_T0_E_clISt17integral_constantIbLb0EES1O_IbLb1EEEEDaS1K_S1L_EUlS1K_E_NS1_11comp_targetILNS1_3genE2ELNS1_11target_archE906ELNS1_3gpuE6ELNS1_3repE0EEENS1_30default_config_static_selectorELNS0_4arch9wavefront6targetE0EEEvSY_, .Lfunc_end493-_ZN7rocprim17ROCPRIM_400000_NS6detail17trampoline_kernelINS0_13select_configILj256ELj13ELNS0_17block_load_methodE3ELS4_3ELS4_3ELNS0_20block_scan_algorithmE0ELj4294967295EEENS1_25partition_config_selectorILNS1_17partition_subalgoE3EjNS0_10empty_typeEbEEZZNS1_14partition_implILS8_3ELb0ES6_jNS0_17counting_iteratorIjlEEPS9_SE_NS0_5tupleIJPjSE_EEENSF_IJSE_SE_EEES9_SG_JZNS1_25segmented_radix_sort_implINS0_14default_configELb1EPKiPiPKlPlN2at6native12_GLOBAL__N_18offset_tEEE10hipError_tPvRmT1_PNSt15iterator_traitsISY_E10value_typeET2_T3_PNSZ_IS14_E10value_typeET4_jRbjT5_S1A_jjP12ihipStream_tbEUljE_EEESV_SW_SX_S14_S18_S1A_T6_T7_T9_mT8_S1C_bDpT10_ENKUlT_T0_E_clISt17integral_constantIbLb0EES1O_IbLb1EEEEDaS1K_S1L_EUlS1K_E_NS1_11comp_targetILNS1_3genE2ELNS1_11target_archE906ELNS1_3gpuE6ELNS1_3repE0EEENS1_30default_config_static_selectorELNS0_4arch9wavefront6targetE0EEEvSY_
                                        ; -- End function
	.section	.AMDGPU.csdata,"",@progbits
; Kernel info:
; codeLenInByte = 0
; NumSgprs: 0
; NumVgprs: 0
; ScratchSize: 0
; MemoryBound: 0
; FloatMode: 240
; IeeeMode: 1
; LDSByteSize: 0 bytes/workgroup (compile time only)
; SGPRBlocks: 0
; VGPRBlocks: 0
; NumSGPRsForWavesPerEU: 1
; NumVGPRsForWavesPerEU: 1
; Occupancy: 16
; WaveLimiterHint : 0
; COMPUTE_PGM_RSRC2:SCRATCH_EN: 0
; COMPUTE_PGM_RSRC2:USER_SGPR: 15
; COMPUTE_PGM_RSRC2:TRAP_HANDLER: 0
; COMPUTE_PGM_RSRC2:TGID_X_EN: 1
; COMPUTE_PGM_RSRC2:TGID_Y_EN: 0
; COMPUTE_PGM_RSRC2:TGID_Z_EN: 0
; COMPUTE_PGM_RSRC2:TIDIG_COMP_CNT: 0
	.section	.text._ZN7rocprim17ROCPRIM_400000_NS6detail17trampoline_kernelINS0_13select_configILj256ELj13ELNS0_17block_load_methodE3ELS4_3ELS4_3ELNS0_20block_scan_algorithmE0ELj4294967295EEENS1_25partition_config_selectorILNS1_17partition_subalgoE3EjNS0_10empty_typeEbEEZZNS1_14partition_implILS8_3ELb0ES6_jNS0_17counting_iteratorIjlEEPS9_SE_NS0_5tupleIJPjSE_EEENSF_IJSE_SE_EEES9_SG_JZNS1_25segmented_radix_sort_implINS0_14default_configELb1EPKiPiPKlPlN2at6native12_GLOBAL__N_18offset_tEEE10hipError_tPvRmT1_PNSt15iterator_traitsISY_E10value_typeET2_T3_PNSZ_IS14_E10value_typeET4_jRbjT5_S1A_jjP12ihipStream_tbEUljE_EEESV_SW_SX_S14_S18_S1A_T6_T7_T9_mT8_S1C_bDpT10_ENKUlT_T0_E_clISt17integral_constantIbLb0EES1O_IbLb1EEEEDaS1K_S1L_EUlS1K_E_NS1_11comp_targetILNS1_3genE10ELNS1_11target_archE1200ELNS1_3gpuE4ELNS1_3repE0EEENS1_30default_config_static_selectorELNS0_4arch9wavefront6targetE0EEEvSY_,"axG",@progbits,_ZN7rocprim17ROCPRIM_400000_NS6detail17trampoline_kernelINS0_13select_configILj256ELj13ELNS0_17block_load_methodE3ELS4_3ELS4_3ELNS0_20block_scan_algorithmE0ELj4294967295EEENS1_25partition_config_selectorILNS1_17partition_subalgoE3EjNS0_10empty_typeEbEEZZNS1_14partition_implILS8_3ELb0ES6_jNS0_17counting_iteratorIjlEEPS9_SE_NS0_5tupleIJPjSE_EEENSF_IJSE_SE_EEES9_SG_JZNS1_25segmented_radix_sort_implINS0_14default_configELb1EPKiPiPKlPlN2at6native12_GLOBAL__N_18offset_tEEE10hipError_tPvRmT1_PNSt15iterator_traitsISY_E10value_typeET2_T3_PNSZ_IS14_E10value_typeET4_jRbjT5_S1A_jjP12ihipStream_tbEUljE_EEESV_SW_SX_S14_S18_S1A_T6_T7_T9_mT8_S1C_bDpT10_ENKUlT_T0_E_clISt17integral_constantIbLb0EES1O_IbLb1EEEEDaS1K_S1L_EUlS1K_E_NS1_11comp_targetILNS1_3genE10ELNS1_11target_archE1200ELNS1_3gpuE4ELNS1_3repE0EEENS1_30default_config_static_selectorELNS0_4arch9wavefront6targetE0EEEvSY_,comdat
	.globl	_ZN7rocprim17ROCPRIM_400000_NS6detail17trampoline_kernelINS0_13select_configILj256ELj13ELNS0_17block_load_methodE3ELS4_3ELS4_3ELNS0_20block_scan_algorithmE0ELj4294967295EEENS1_25partition_config_selectorILNS1_17partition_subalgoE3EjNS0_10empty_typeEbEEZZNS1_14partition_implILS8_3ELb0ES6_jNS0_17counting_iteratorIjlEEPS9_SE_NS0_5tupleIJPjSE_EEENSF_IJSE_SE_EEES9_SG_JZNS1_25segmented_radix_sort_implINS0_14default_configELb1EPKiPiPKlPlN2at6native12_GLOBAL__N_18offset_tEEE10hipError_tPvRmT1_PNSt15iterator_traitsISY_E10value_typeET2_T3_PNSZ_IS14_E10value_typeET4_jRbjT5_S1A_jjP12ihipStream_tbEUljE_EEESV_SW_SX_S14_S18_S1A_T6_T7_T9_mT8_S1C_bDpT10_ENKUlT_T0_E_clISt17integral_constantIbLb0EES1O_IbLb1EEEEDaS1K_S1L_EUlS1K_E_NS1_11comp_targetILNS1_3genE10ELNS1_11target_archE1200ELNS1_3gpuE4ELNS1_3repE0EEENS1_30default_config_static_selectorELNS0_4arch9wavefront6targetE0EEEvSY_ ; -- Begin function _ZN7rocprim17ROCPRIM_400000_NS6detail17trampoline_kernelINS0_13select_configILj256ELj13ELNS0_17block_load_methodE3ELS4_3ELS4_3ELNS0_20block_scan_algorithmE0ELj4294967295EEENS1_25partition_config_selectorILNS1_17partition_subalgoE3EjNS0_10empty_typeEbEEZZNS1_14partition_implILS8_3ELb0ES6_jNS0_17counting_iteratorIjlEEPS9_SE_NS0_5tupleIJPjSE_EEENSF_IJSE_SE_EEES9_SG_JZNS1_25segmented_radix_sort_implINS0_14default_configELb1EPKiPiPKlPlN2at6native12_GLOBAL__N_18offset_tEEE10hipError_tPvRmT1_PNSt15iterator_traitsISY_E10value_typeET2_T3_PNSZ_IS14_E10value_typeET4_jRbjT5_S1A_jjP12ihipStream_tbEUljE_EEESV_SW_SX_S14_S18_S1A_T6_T7_T9_mT8_S1C_bDpT10_ENKUlT_T0_E_clISt17integral_constantIbLb0EES1O_IbLb1EEEEDaS1K_S1L_EUlS1K_E_NS1_11comp_targetILNS1_3genE10ELNS1_11target_archE1200ELNS1_3gpuE4ELNS1_3repE0EEENS1_30default_config_static_selectorELNS0_4arch9wavefront6targetE0EEEvSY_
	.p2align	8
	.type	_ZN7rocprim17ROCPRIM_400000_NS6detail17trampoline_kernelINS0_13select_configILj256ELj13ELNS0_17block_load_methodE3ELS4_3ELS4_3ELNS0_20block_scan_algorithmE0ELj4294967295EEENS1_25partition_config_selectorILNS1_17partition_subalgoE3EjNS0_10empty_typeEbEEZZNS1_14partition_implILS8_3ELb0ES6_jNS0_17counting_iteratorIjlEEPS9_SE_NS0_5tupleIJPjSE_EEENSF_IJSE_SE_EEES9_SG_JZNS1_25segmented_radix_sort_implINS0_14default_configELb1EPKiPiPKlPlN2at6native12_GLOBAL__N_18offset_tEEE10hipError_tPvRmT1_PNSt15iterator_traitsISY_E10value_typeET2_T3_PNSZ_IS14_E10value_typeET4_jRbjT5_S1A_jjP12ihipStream_tbEUljE_EEESV_SW_SX_S14_S18_S1A_T6_T7_T9_mT8_S1C_bDpT10_ENKUlT_T0_E_clISt17integral_constantIbLb0EES1O_IbLb1EEEEDaS1K_S1L_EUlS1K_E_NS1_11comp_targetILNS1_3genE10ELNS1_11target_archE1200ELNS1_3gpuE4ELNS1_3repE0EEENS1_30default_config_static_selectorELNS0_4arch9wavefront6targetE0EEEvSY_,@function
_ZN7rocprim17ROCPRIM_400000_NS6detail17trampoline_kernelINS0_13select_configILj256ELj13ELNS0_17block_load_methodE3ELS4_3ELS4_3ELNS0_20block_scan_algorithmE0ELj4294967295EEENS1_25partition_config_selectorILNS1_17partition_subalgoE3EjNS0_10empty_typeEbEEZZNS1_14partition_implILS8_3ELb0ES6_jNS0_17counting_iteratorIjlEEPS9_SE_NS0_5tupleIJPjSE_EEENSF_IJSE_SE_EEES9_SG_JZNS1_25segmented_radix_sort_implINS0_14default_configELb1EPKiPiPKlPlN2at6native12_GLOBAL__N_18offset_tEEE10hipError_tPvRmT1_PNSt15iterator_traitsISY_E10value_typeET2_T3_PNSZ_IS14_E10value_typeET4_jRbjT5_S1A_jjP12ihipStream_tbEUljE_EEESV_SW_SX_S14_S18_S1A_T6_T7_T9_mT8_S1C_bDpT10_ENKUlT_T0_E_clISt17integral_constantIbLb0EES1O_IbLb1EEEEDaS1K_S1L_EUlS1K_E_NS1_11comp_targetILNS1_3genE10ELNS1_11target_archE1200ELNS1_3gpuE4ELNS1_3repE0EEENS1_30default_config_static_selectorELNS0_4arch9wavefront6targetE0EEEvSY_: ; @_ZN7rocprim17ROCPRIM_400000_NS6detail17trampoline_kernelINS0_13select_configILj256ELj13ELNS0_17block_load_methodE3ELS4_3ELS4_3ELNS0_20block_scan_algorithmE0ELj4294967295EEENS1_25partition_config_selectorILNS1_17partition_subalgoE3EjNS0_10empty_typeEbEEZZNS1_14partition_implILS8_3ELb0ES6_jNS0_17counting_iteratorIjlEEPS9_SE_NS0_5tupleIJPjSE_EEENSF_IJSE_SE_EEES9_SG_JZNS1_25segmented_radix_sort_implINS0_14default_configELb1EPKiPiPKlPlN2at6native12_GLOBAL__N_18offset_tEEE10hipError_tPvRmT1_PNSt15iterator_traitsISY_E10value_typeET2_T3_PNSZ_IS14_E10value_typeET4_jRbjT5_S1A_jjP12ihipStream_tbEUljE_EEESV_SW_SX_S14_S18_S1A_T6_T7_T9_mT8_S1C_bDpT10_ENKUlT_T0_E_clISt17integral_constantIbLb0EES1O_IbLb1EEEEDaS1K_S1L_EUlS1K_E_NS1_11comp_targetILNS1_3genE10ELNS1_11target_archE1200ELNS1_3gpuE4ELNS1_3repE0EEENS1_30default_config_static_selectorELNS0_4arch9wavefront6targetE0EEEvSY_
; %bb.0:
	.section	.rodata,"a",@progbits
	.p2align	6, 0x0
	.amdhsa_kernel _ZN7rocprim17ROCPRIM_400000_NS6detail17trampoline_kernelINS0_13select_configILj256ELj13ELNS0_17block_load_methodE3ELS4_3ELS4_3ELNS0_20block_scan_algorithmE0ELj4294967295EEENS1_25partition_config_selectorILNS1_17partition_subalgoE3EjNS0_10empty_typeEbEEZZNS1_14partition_implILS8_3ELb0ES6_jNS0_17counting_iteratorIjlEEPS9_SE_NS0_5tupleIJPjSE_EEENSF_IJSE_SE_EEES9_SG_JZNS1_25segmented_radix_sort_implINS0_14default_configELb1EPKiPiPKlPlN2at6native12_GLOBAL__N_18offset_tEEE10hipError_tPvRmT1_PNSt15iterator_traitsISY_E10value_typeET2_T3_PNSZ_IS14_E10value_typeET4_jRbjT5_S1A_jjP12ihipStream_tbEUljE_EEESV_SW_SX_S14_S18_S1A_T6_T7_T9_mT8_S1C_bDpT10_ENKUlT_T0_E_clISt17integral_constantIbLb0EES1O_IbLb1EEEEDaS1K_S1L_EUlS1K_E_NS1_11comp_targetILNS1_3genE10ELNS1_11target_archE1200ELNS1_3gpuE4ELNS1_3repE0EEENS1_30default_config_static_selectorELNS0_4arch9wavefront6targetE0EEEvSY_
		.amdhsa_group_segment_fixed_size 0
		.amdhsa_private_segment_fixed_size 0
		.amdhsa_kernarg_size 152
		.amdhsa_user_sgpr_count 15
		.amdhsa_user_sgpr_dispatch_ptr 0
		.amdhsa_user_sgpr_queue_ptr 0
		.amdhsa_user_sgpr_kernarg_segment_ptr 1
		.amdhsa_user_sgpr_dispatch_id 0
		.amdhsa_user_sgpr_private_segment_size 0
		.amdhsa_wavefront_size32 1
		.amdhsa_uses_dynamic_stack 0
		.amdhsa_enable_private_segment 0
		.amdhsa_system_sgpr_workgroup_id_x 1
		.amdhsa_system_sgpr_workgroup_id_y 0
		.amdhsa_system_sgpr_workgroup_id_z 0
		.amdhsa_system_sgpr_workgroup_info 0
		.amdhsa_system_vgpr_workitem_id 0
		.amdhsa_next_free_vgpr 1
		.amdhsa_next_free_sgpr 1
		.amdhsa_reserve_vcc 0
		.amdhsa_float_round_mode_32 0
		.amdhsa_float_round_mode_16_64 0
		.amdhsa_float_denorm_mode_32 3
		.amdhsa_float_denorm_mode_16_64 3
		.amdhsa_dx10_clamp 1
		.amdhsa_ieee_mode 1
		.amdhsa_fp16_overflow 0
		.amdhsa_workgroup_processor_mode 1
		.amdhsa_memory_ordered 1
		.amdhsa_forward_progress 0
		.amdhsa_shared_vgpr_count 0
		.amdhsa_exception_fp_ieee_invalid_op 0
		.amdhsa_exception_fp_denorm_src 0
		.amdhsa_exception_fp_ieee_div_zero 0
		.amdhsa_exception_fp_ieee_overflow 0
		.amdhsa_exception_fp_ieee_underflow 0
		.amdhsa_exception_fp_ieee_inexact 0
		.amdhsa_exception_int_div_zero 0
	.end_amdhsa_kernel
	.section	.text._ZN7rocprim17ROCPRIM_400000_NS6detail17trampoline_kernelINS0_13select_configILj256ELj13ELNS0_17block_load_methodE3ELS4_3ELS4_3ELNS0_20block_scan_algorithmE0ELj4294967295EEENS1_25partition_config_selectorILNS1_17partition_subalgoE3EjNS0_10empty_typeEbEEZZNS1_14partition_implILS8_3ELb0ES6_jNS0_17counting_iteratorIjlEEPS9_SE_NS0_5tupleIJPjSE_EEENSF_IJSE_SE_EEES9_SG_JZNS1_25segmented_radix_sort_implINS0_14default_configELb1EPKiPiPKlPlN2at6native12_GLOBAL__N_18offset_tEEE10hipError_tPvRmT1_PNSt15iterator_traitsISY_E10value_typeET2_T3_PNSZ_IS14_E10value_typeET4_jRbjT5_S1A_jjP12ihipStream_tbEUljE_EEESV_SW_SX_S14_S18_S1A_T6_T7_T9_mT8_S1C_bDpT10_ENKUlT_T0_E_clISt17integral_constantIbLb0EES1O_IbLb1EEEEDaS1K_S1L_EUlS1K_E_NS1_11comp_targetILNS1_3genE10ELNS1_11target_archE1200ELNS1_3gpuE4ELNS1_3repE0EEENS1_30default_config_static_selectorELNS0_4arch9wavefront6targetE0EEEvSY_,"axG",@progbits,_ZN7rocprim17ROCPRIM_400000_NS6detail17trampoline_kernelINS0_13select_configILj256ELj13ELNS0_17block_load_methodE3ELS4_3ELS4_3ELNS0_20block_scan_algorithmE0ELj4294967295EEENS1_25partition_config_selectorILNS1_17partition_subalgoE3EjNS0_10empty_typeEbEEZZNS1_14partition_implILS8_3ELb0ES6_jNS0_17counting_iteratorIjlEEPS9_SE_NS0_5tupleIJPjSE_EEENSF_IJSE_SE_EEES9_SG_JZNS1_25segmented_radix_sort_implINS0_14default_configELb1EPKiPiPKlPlN2at6native12_GLOBAL__N_18offset_tEEE10hipError_tPvRmT1_PNSt15iterator_traitsISY_E10value_typeET2_T3_PNSZ_IS14_E10value_typeET4_jRbjT5_S1A_jjP12ihipStream_tbEUljE_EEESV_SW_SX_S14_S18_S1A_T6_T7_T9_mT8_S1C_bDpT10_ENKUlT_T0_E_clISt17integral_constantIbLb0EES1O_IbLb1EEEEDaS1K_S1L_EUlS1K_E_NS1_11comp_targetILNS1_3genE10ELNS1_11target_archE1200ELNS1_3gpuE4ELNS1_3repE0EEENS1_30default_config_static_selectorELNS0_4arch9wavefront6targetE0EEEvSY_,comdat
.Lfunc_end494:
	.size	_ZN7rocprim17ROCPRIM_400000_NS6detail17trampoline_kernelINS0_13select_configILj256ELj13ELNS0_17block_load_methodE3ELS4_3ELS4_3ELNS0_20block_scan_algorithmE0ELj4294967295EEENS1_25partition_config_selectorILNS1_17partition_subalgoE3EjNS0_10empty_typeEbEEZZNS1_14partition_implILS8_3ELb0ES6_jNS0_17counting_iteratorIjlEEPS9_SE_NS0_5tupleIJPjSE_EEENSF_IJSE_SE_EEES9_SG_JZNS1_25segmented_radix_sort_implINS0_14default_configELb1EPKiPiPKlPlN2at6native12_GLOBAL__N_18offset_tEEE10hipError_tPvRmT1_PNSt15iterator_traitsISY_E10value_typeET2_T3_PNSZ_IS14_E10value_typeET4_jRbjT5_S1A_jjP12ihipStream_tbEUljE_EEESV_SW_SX_S14_S18_S1A_T6_T7_T9_mT8_S1C_bDpT10_ENKUlT_T0_E_clISt17integral_constantIbLb0EES1O_IbLb1EEEEDaS1K_S1L_EUlS1K_E_NS1_11comp_targetILNS1_3genE10ELNS1_11target_archE1200ELNS1_3gpuE4ELNS1_3repE0EEENS1_30default_config_static_selectorELNS0_4arch9wavefront6targetE0EEEvSY_, .Lfunc_end494-_ZN7rocprim17ROCPRIM_400000_NS6detail17trampoline_kernelINS0_13select_configILj256ELj13ELNS0_17block_load_methodE3ELS4_3ELS4_3ELNS0_20block_scan_algorithmE0ELj4294967295EEENS1_25partition_config_selectorILNS1_17partition_subalgoE3EjNS0_10empty_typeEbEEZZNS1_14partition_implILS8_3ELb0ES6_jNS0_17counting_iteratorIjlEEPS9_SE_NS0_5tupleIJPjSE_EEENSF_IJSE_SE_EEES9_SG_JZNS1_25segmented_radix_sort_implINS0_14default_configELb1EPKiPiPKlPlN2at6native12_GLOBAL__N_18offset_tEEE10hipError_tPvRmT1_PNSt15iterator_traitsISY_E10value_typeET2_T3_PNSZ_IS14_E10value_typeET4_jRbjT5_S1A_jjP12ihipStream_tbEUljE_EEESV_SW_SX_S14_S18_S1A_T6_T7_T9_mT8_S1C_bDpT10_ENKUlT_T0_E_clISt17integral_constantIbLb0EES1O_IbLb1EEEEDaS1K_S1L_EUlS1K_E_NS1_11comp_targetILNS1_3genE10ELNS1_11target_archE1200ELNS1_3gpuE4ELNS1_3repE0EEENS1_30default_config_static_selectorELNS0_4arch9wavefront6targetE0EEEvSY_
                                        ; -- End function
	.section	.AMDGPU.csdata,"",@progbits
; Kernel info:
; codeLenInByte = 0
; NumSgprs: 0
; NumVgprs: 0
; ScratchSize: 0
; MemoryBound: 0
; FloatMode: 240
; IeeeMode: 1
; LDSByteSize: 0 bytes/workgroup (compile time only)
; SGPRBlocks: 0
; VGPRBlocks: 0
; NumSGPRsForWavesPerEU: 1
; NumVGPRsForWavesPerEU: 1
; Occupancy: 16
; WaveLimiterHint : 0
; COMPUTE_PGM_RSRC2:SCRATCH_EN: 0
; COMPUTE_PGM_RSRC2:USER_SGPR: 15
; COMPUTE_PGM_RSRC2:TRAP_HANDLER: 0
; COMPUTE_PGM_RSRC2:TGID_X_EN: 1
; COMPUTE_PGM_RSRC2:TGID_Y_EN: 0
; COMPUTE_PGM_RSRC2:TGID_Z_EN: 0
; COMPUTE_PGM_RSRC2:TIDIG_COMP_CNT: 0
	.section	.text._ZN7rocprim17ROCPRIM_400000_NS6detail17trampoline_kernelINS0_13select_configILj256ELj13ELNS0_17block_load_methodE3ELS4_3ELS4_3ELNS0_20block_scan_algorithmE0ELj4294967295EEENS1_25partition_config_selectorILNS1_17partition_subalgoE3EjNS0_10empty_typeEbEEZZNS1_14partition_implILS8_3ELb0ES6_jNS0_17counting_iteratorIjlEEPS9_SE_NS0_5tupleIJPjSE_EEENSF_IJSE_SE_EEES9_SG_JZNS1_25segmented_radix_sort_implINS0_14default_configELb1EPKiPiPKlPlN2at6native12_GLOBAL__N_18offset_tEEE10hipError_tPvRmT1_PNSt15iterator_traitsISY_E10value_typeET2_T3_PNSZ_IS14_E10value_typeET4_jRbjT5_S1A_jjP12ihipStream_tbEUljE_EEESV_SW_SX_S14_S18_S1A_T6_T7_T9_mT8_S1C_bDpT10_ENKUlT_T0_E_clISt17integral_constantIbLb0EES1O_IbLb1EEEEDaS1K_S1L_EUlS1K_E_NS1_11comp_targetILNS1_3genE9ELNS1_11target_archE1100ELNS1_3gpuE3ELNS1_3repE0EEENS1_30default_config_static_selectorELNS0_4arch9wavefront6targetE0EEEvSY_,"axG",@progbits,_ZN7rocprim17ROCPRIM_400000_NS6detail17trampoline_kernelINS0_13select_configILj256ELj13ELNS0_17block_load_methodE3ELS4_3ELS4_3ELNS0_20block_scan_algorithmE0ELj4294967295EEENS1_25partition_config_selectorILNS1_17partition_subalgoE3EjNS0_10empty_typeEbEEZZNS1_14partition_implILS8_3ELb0ES6_jNS0_17counting_iteratorIjlEEPS9_SE_NS0_5tupleIJPjSE_EEENSF_IJSE_SE_EEES9_SG_JZNS1_25segmented_radix_sort_implINS0_14default_configELb1EPKiPiPKlPlN2at6native12_GLOBAL__N_18offset_tEEE10hipError_tPvRmT1_PNSt15iterator_traitsISY_E10value_typeET2_T3_PNSZ_IS14_E10value_typeET4_jRbjT5_S1A_jjP12ihipStream_tbEUljE_EEESV_SW_SX_S14_S18_S1A_T6_T7_T9_mT8_S1C_bDpT10_ENKUlT_T0_E_clISt17integral_constantIbLb0EES1O_IbLb1EEEEDaS1K_S1L_EUlS1K_E_NS1_11comp_targetILNS1_3genE9ELNS1_11target_archE1100ELNS1_3gpuE3ELNS1_3repE0EEENS1_30default_config_static_selectorELNS0_4arch9wavefront6targetE0EEEvSY_,comdat
	.globl	_ZN7rocprim17ROCPRIM_400000_NS6detail17trampoline_kernelINS0_13select_configILj256ELj13ELNS0_17block_load_methodE3ELS4_3ELS4_3ELNS0_20block_scan_algorithmE0ELj4294967295EEENS1_25partition_config_selectorILNS1_17partition_subalgoE3EjNS0_10empty_typeEbEEZZNS1_14partition_implILS8_3ELb0ES6_jNS0_17counting_iteratorIjlEEPS9_SE_NS0_5tupleIJPjSE_EEENSF_IJSE_SE_EEES9_SG_JZNS1_25segmented_radix_sort_implINS0_14default_configELb1EPKiPiPKlPlN2at6native12_GLOBAL__N_18offset_tEEE10hipError_tPvRmT1_PNSt15iterator_traitsISY_E10value_typeET2_T3_PNSZ_IS14_E10value_typeET4_jRbjT5_S1A_jjP12ihipStream_tbEUljE_EEESV_SW_SX_S14_S18_S1A_T6_T7_T9_mT8_S1C_bDpT10_ENKUlT_T0_E_clISt17integral_constantIbLb0EES1O_IbLb1EEEEDaS1K_S1L_EUlS1K_E_NS1_11comp_targetILNS1_3genE9ELNS1_11target_archE1100ELNS1_3gpuE3ELNS1_3repE0EEENS1_30default_config_static_selectorELNS0_4arch9wavefront6targetE0EEEvSY_ ; -- Begin function _ZN7rocprim17ROCPRIM_400000_NS6detail17trampoline_kernelINS0_13select_configILj256ELj13ELNS0_17block_load_methodE3ELS4_3ELS4_3ELNS0_20block_scan_algorithmE0ELj4294967295EEENS1_25partition_config_selectorILNS1_17partition_subalgoE3EjNS0_10empty_typeEbEEZZNS1_14partition_implILS8_3ELb0ES6_jNS0_17counting_iteratorIjlEEPS9_SE_NS0_5tupleIJPjSE_EEENSF_IJSE_SE_EEES9_SG_JZNS1_25segmented_radix_sort_implINS0_14default_configELb1EPKiPiPKlPlN2at6native12_GLOBAL__N_18offset_tEEE10hipError_tPvRmT1_PNSt15iterator_traitsISY_E10value_typeET2_T3_PNSZ_IS14_E10value_typeET4_jRbjT5_S1A_jjP12ihipStream_tbEUljE_EEESV_SW_SX_S14_S18_S1A_T6_T7_T9_mT8_S1C_bDpT10_ENKUlT_T0_E_clISt17integral_constantIbLb0EES1O_IbLb1EEEEDaS1K_S1L_EUlS1K_E_NS1_11comp_targetILNS1_3genE9ELNS1_11target_archE1100ELNS1_3gpuE3ELNS1_3repE0EEENS1_30default_config_static_selectorELNS0_4arch9wavefront6targetE0EEEvSY_
	.p2align	8
	.type	_ZN7rocprim17ROCPRIM_400000_NS6detail17trampoline_kernelINS0_13select_configILj256ELj13ELNS0_17block_load_methodE3ELS4_3ELS4_3ELNS0_20block_scan_algorithmE0ELj4294967295EEENS1_25partition_config_selectorILNS1_17partition_subalgoE3EjNS0_10empty_typeEbEEZZNS1_14partition_implILS8_3ELb0ES6_jNS0_17counting_iteratorIjlEEPS9_SE_NS0_5tupleIJPjSE_EEENSF_IJSE_SE_EEES9_SG_JZNS1_25segmented_radix_sort_implINS0_14default_configELb1EPKiPiPKlPlN2at6native12_GLOBAL__N_18offset_tEEE10hipError_tPvRmT1_PNSt15iterator_traitsISY_E10value_typeET2_T3_PNSZ_IS14_E10value_typeET4_jRbjT5_S1A_jjP12ihipStream_tbEUljE_EEESV_SW_SX_S14_S18_S1A_T6_T7_T9_mT8_S1C_bDpT10_ENKUlT_T0_E_clISt17integral_constantIbLb0EES1O_IbLb1EEEEDaS1K_S1L_EUlS1K_E_NS1_11comp_targetILNS1_3genE9ELNS1_11target_archE1100ELNS1_3gpuE3ELNS1_3repE0EEENS1_30default_config_static_selectorELNS0_4arch9wavefront6targetE0EEEvSY_,@function
_ZN7rocprim17ROCPRIM_400000_NS6detail17trampoline_kernelINS0_13select_configILj256ELj13ELNS0_17block_load_methodE3ELS4_3ELS4_3ELNS0_20block_scan_algorithmE0ELj4294967295EEENS1_25partition_config_selectorILNS1_17partition_subalgoE3EjNS0_10empty_typeEbEEZZNS1_14partition_implILS8_3ELb0ES6_jNS0_17counting_iteratorIjlEEPS9_SE_NS0_5tupleIJPjSE_EEENSF_IJSE_SE_EEES9_SG_JZNS1_25segmented_radix_sort_implINS0_14default_configELb1EPKiPiPKlPlN2at6native12_GLOBAL__N_18offset_tEEE10hipError_tPvRmT1_PNSt15iterator_traitsISY_E10value_typeET2_T3_PNSZ_IS14_E10value_typeET4_jRbjT5_S1A_jjP12ihipStream_tbEUljE_EEESV_SW_SX_S14_S18_S1A_T6_T7_T9_mT8_S1C_bDpT10_ENKUlT_T0_E_clISt17integral_constantIbLb0EES1O_IbLb1EEEEDaS1K_S1L_EUlS1K_E_NS1_11comp_targetILNS1_3genE9ELNS1_11target_archE1100ELNS1_3gpuE3ELNS1_3repE0EEENS1_30default_config_static_selectorELNS0_4arch9wavefront6targetE0EEEvSY_: ; @_ZN7rocprim17ROCPRIM_400000_NS6detail17trampoline_kernelINS0_13select_configILj256ELj13ELNS0_17block_load_methodE3ELS4_3ELS4_3ELNS0_20block_scan_algorithmE0ELj4294967295EEENS1_25partition_config_selectorILNS1_17partition_subalgoE3EjNS0_10empty_typeEbEEZZNS1_14partition_implILS8_3ELb0ES6_jNS0_17counting_iteratorIjlEEPS9_SE_NS0_5tupleIJPjSE_EEENSF_IJSE_SE_EEES9_SG_JZNS1_25segmented_radix_sort_implINS0_14default_configELb1EPKiPiPKlPlN2at6native12_GLOBAL__N_18offset_tEEE10hipError_tPvRmT1_PNSt15iterator_traitsISY_E10value_typeET2_T3_PNSZ_IS14_E10value_typeET4_jRbjT5_S1A_jjP12ihipStream_tbEUljE_EEESV_SW_SX_S14_S18_S1A_T6_T7_T9_mT8_S1C_bDpT10_ENKUlT_T0_E_clISt17integral_constantIbLb0EES1O_IbLb1EEEEDaS1K_S1L_EUlS1K_E_NS1_11comp_targetILNS1_3genE9ELNS1_11target_archE1100ELNS1_3gpuE3ELNS1_3repE0EEENS1_30default_config_static_selectorELNS0_4arch9wavefront6targetE0EEEvSY_
; %bb.0:
	s_clause 0x6
	s_load_b64 s[16:17], s[0:1], 0x10
	s_load_b64 s[12:13], s[0:1], 0x28
	;; [unrolled: 1-line block ×3, first 2 shown]
	s_load_b128 s[8:11], s[0:1], 0x48
	s_load_b32 s3, s[0:1], 0x90
	s_load_b64 s[18:19], s[0:1], 0x68
	s_load_b128 s[4:7], s[0:1], 0x80
	v_cmp_eq_u32_e64 s2, 0, v0
	s_delay_alu instid0(VALU_DEP_1)
	s_and_saveexec_b32 s20, s2
	s_cbranch_execz .LBB495_4
; %bb.1:
	s_mov_b32 s22, exec_lo
	s_mov_b32 s21, exec_lo
	v_mbcnt_lo_u32_b32 v1, s22, 0
                                        ; implicit-def: $vgpr2
	s_delay_alu instid0(VALU_DEP_1)
	v_cmpx_eq_u32_e32 0, v1
	s_cbranch_execz .LBB495_3
; %bb.2:
	s_load_b64 s[24:25], s[0:1], 0x78
	s_bcnt1_i32_b32 s22, s22
	s_delay_alu instid0(SALU_CYCLE_1)
	v_dual_mov_b32 v2, 0 :: v_dual_mov_b32 v3, s22
	s_waitcnt lgkmcnt(0)
	global_atomic_add_u32 v2, v2, v3, s[24:25] glc
.LBB495_3:
	s_or_b32 exec_lo, exec_lo, s21
	s_waitcnt vmcnt(0)
	v_readfirstlane_b32 s21, v2
	s_delay_alu instid0(VALU_DEP_1)
	v_dual_mov_b32 v2, 0 :: v_dual_add_nc_u32 v1, s21, v1
	ds_store_b32 v2, v1
.LBB495_4:
	s_or_b32 exec_lo, exec_lo, s20
	v_mov_b32_e32 v1, 0
	s_clause 0x1
	s_load_b32 s20, s[0:1], 0x8
	s_load_b32 s0, s[0:1], 0x70
	s_waitcnt lgkmcnt(0)
	s_barrier
	buffer_gl0_inv
	ds_load_b32 v2, v1
	s_waitcnt lgkmcnt(0)
	s_barrier
	buffer_gl0_inv
	global_load_b64 v[18:19], v1, s[10:11]
	v_lshlrev_b32_e32 v33, 2, v0
	s_add_i32 s21, s20, s16
	s_mul_i32 s1, s0, 0xd00
	s_add_i32 s0, s0, -1
	s_add_u32 s10, s16, s1
	s_addc_u32 s11, s17, 0
	v_mul_lo_u32 v32, 0xd00, v2
	v_readfirstlane_b32 s20, v2
	v_cmp_lt_u64_e64 s11, s[10:11], s[14:15]
	v_cmp_ne_u32_e32 vcc_lo, s0, v2
	s_delay_alu instid0(VALU_DEP_3) | instskip(SKIP_1) | instid1(VALU_DEP_4)
	s_cmp_eq_u32 s20, s0
	s_cselect_b32 s10, -1, 0
	v_add3_u32 v1, v32, s21, v0
	s_delay_alu instid0(VALU_DEP_3) | instskip(SKIP_2) | instid1(VALU_DEP_1)
	s_or_b32 s0, s11, vcc_lo
	s_mov_b32 s11, -1
	s_and_b32 vcc_lo, exec_lo, s0
	v_add_nc_u32_e32 v2, 0x100, v1
	v_add_nc_u32_e32 v3, 0x200, v1
	;; [unrolled: 1-line block ×12, first 2 shown]
	s_cbranch_vccz .LBB495_6
; %bb.5:
	ds_store_2addr_stride64_b32 v33, v1, v2 offset1:4
	ds_store_2addr_stride64_b32 v33, v3, v4 offset0:8 offset1:12
	ds_store_2addr_stride64_b32 v33, v5, v6 offset0:16 offset1:20
	;; [unrolled: 1-line block ×5, first 2 shown]
	ds_store_b32 v33, v13 offset:12288
	s_waitcnt vmcnt(0) lgkmcnt(0)
	s_mov_b32 s11, 0
	s_barrier
.LBB495_6:
	s_and_not1_b32 vcc_lo, exec_lo, s11
	s_add_i32 s1, s1, s16
	s_cbranch_vccnz .LBB495_8
; %bb.7:
	ds_store_2addr_stride64_b32 v33, v1, v2 offset1:4
	ds_store_2addr_stride64_b32 v33, v3, v4 offset0:8 offset1:12
	ds_store_2addr_stride64_b32 v33, v5, v6 offset0:16 offset1:20
	;; [unrolled: 1-line block ×5, first 2 shown]
	ds_store_b32 v33, v13 offset:12288
	s_waitcnt vmcnt(0) lgkmcnt(0)
	s_barrier
.LBB495_8:
	v_mul_u32_u24_e32 v36, 13, v0
	s_waitcnt vmcnt(0)
	buffer_gl0_inv
	v_cndmask_b32_e64 v34, 0, 1, s0
	s_sub_i32 s11, s14, s1
	s_and_not1_b32 vcc_lo, exec_lo, s0
	v_lshlrev_b32_e32 v1, 2, v36
	ds_load_2addr_b32 v[30:31], v1 offset1:1
	ds_load_2addr_b32 v[28:29], v1 offset0:2 offset1:3
	ds_load_2addr_b32 v[26:27], v1 offset0:4 offset1:5
	;; [unrolled: 1-line block ×5, first 2 shown]
	ds_load_b32 v35, v1 offset:48
	s_waitcnt lgkmcnt(0)
	s_barrier
	buffer_gl0_inv
	s_cbranch_vccnz .LBB495_10
; %bb.9:
	v_add_nc_u32_e32 v1, s5, v30
	v_add_nc_u32_e32 v2, s7, v30
	;; [unrolled: 1-line block ×5, first 2 shown]
	v_mul_lo_u32 v1, v1, s4
	v_mul_lo_u32 v2, v2, s6
	;; [unrolled: 1-line block ×4, first 2 shown]
	v_add_nc_u32_e32 v6, s7, v28
	v_add_nc_u32_e32 v7, s5, v29
	;; [unrolled: 1-line block ×3, first 2 shown]
	v_mul_lo_u32 v5, v5, s4
	v_add_nc_u32_e32 v9, s5, v24
	v_sub_nc_u32_e32 v1, v1, v2
	v_mul_lo_u32 v2, v6, s6
	v_sub_nc_u32_e32 v3, v3, v4
	v_mul_lo_u32 v4, v7, s4
	v_mul_lo_u32 v6, v8, s6
	v_add_nc_u32_e32 v7, s5, v26
	v_cmp_lt_u32_e32 vcc_lo, s3, v1
	v_add_nc_u32_e32 v8, s5, v27
	v_add_nc_u32_e32 v10, s7, v24
	v_sub_nc_u32_e32 v2, v5, v2
	v_add_nc_u32_e32 v5, s7, v26
	v_cndmask_b32_e64 v1, 0, 1, vcc_lo
	v_sub_nc_u32_e32 v4, v4, v6
	v_mul_lo_u32 v6, v7, s4
	v_add_nc_u32_e32 v7, s7, v27
	v_cmp_lt_u32_e32 vcc_lo, s3, v3
	v_mul_lo_u32 v5, v5, s6
	v_mul_lo_u32 v8, v8, s4
	;; [unrolled: 1-line block ×4, first 2 shown]
	v_cndmask_b32_e64 v3, 0, 1, vcc_lo
	v_cmp_lt_u32_e32 vcc_lo, s3, v2
	v_mul_lo_u32 v10, v10, s6
	v_add_nc_u32_e32 v11, s5, v22
	v_sub_nc_u32_e32 v5, v6, v5
	v_add_nc_u32_e32 v12, s7, v22
	v_cndmask_b32_e64 v2, 0, 1, vcc_lo
	v_sub_nc_u32_e32 v6, v8, v7
	v_add_nc_u32_e32 v7, s5, v25
	v_add_nc_u32_e32 v8, s7, v25
	v_cmp_lt_u32_e32 vcc_lo, s3, v4
	v_sub_nc_u32_e32 v9, v9, v10
	v_mul_lo_u32 v10, v11, s4
	v_mul_lo_u32 v7, v7, s4
	;; [unrolled: 1-line block ×4, first 2 shown]
	v_cndmask_b32_e64 v4, 0, 1, vcc_lo
	v_cmp_lt_u32_e32 vcc_lo, s3, v5
	v_add_nc_u32_e32 v12, s5, v23
	v_add_nc_u32_e32 v13, s7, v20
	v_add_nc_u32_e32 v14, s5, v21
	v_add_nc_u32_e32 v15, s7, v21
	v_cndmask_b32_e64 v5, 0, 1, vcc_lo
	v_cmp_lt_u32_e32 vcc_lo, s3, v6
	v_sub_nc_u32_e32 v7, v7, v8
	v_sub_nc_u32_e32 v8, v10, v11
	v_add_nc_u32_e32 v11, s7, v23
	v_mul_lo_u32 v10, v12, s4
	v_cndmask_b32_e64 v6, 0, 1, vcc_lo
	v_cmp_lt_u32_e32 vcc_lo, s3, v9
	v_add_nc_u32_e32 v12, s5, v20
	v_mul_lo_u32 v11, v11, s6
	v_mul_lo_u32 v13, v13, s6
	v_mul_lo_u32 v14, v14, s4
	v_cndmask_b32_e64 v9, 0, 1, vcc_lo
	v_cmp_lt_u32_e32 vcc_lo, s3, v7
	v_mul_lo_u32 v12, v12, s4
	v_mul_lo_u32 v15, v15, s6
	v_lshlrev_b16 v3, 8, v3
	v_sub_nc_u32_e32 v10, v10, v11
	v_cndmask_b32_e64 v7, 0, 1, vcc_lo
	v_cmp_lt_u32_e32 vcc_lo, s3, v8
	v_add_nc_u32_e32 v11, s5, v35
	v_or_b32_e32 v1, v1, v3
	v_sub_nc_u32_e32 v12, v12, v13
	v_sub_nc_u32_e32 v13, v14, v15
	v_cndmask_b32_e64 v8, 0, 1, vcc_lo
	v_cmp_lt_u32_e32 vcc_lo, s3, v10
	v_add_nc_u32_e32 v16, s7, v35
	v_mul_lo_u32 v11, v11, s4
	v_lshlrev_b16 v4, 8, v4
	v_lshlrev_b16 v6, 8, v6
	v_cndmask_b32_e64 v10, 0, 1, vcc_lo
	v_cmp_lt_u32_e32 vcc_lo, s3, v12
	v_mul_lo_u32 v14, v16, s6
	v_lshlrev_b16 v7, 8, v7
	v_or_b32_e32 v2, v2, v4
	v_lshlrev_b16 v10, 8, v10
	v_cndmask_b32_e64 v3, 0, 1, vcc_lo
	v_cmp_lt_u32_e32 vcc_lo, s3, v13
	v_or_b32_e32 v4, v5, v6
	v_or_b32_e32 v5, v9, v7
	v_sub_nc_u32_e32 v11, v11, v14
	v_or_b32_e32 v6, v8, v10
	v_cndmask_b32_e64 v12, 0, 1, vcc_lo
	v_and_b32_e32 v1, 0xffff, v1
	v_lshlrev_b32_e32 v2, 16, v2
	v_and_b32_e32 v4, 0xffff, v4
	v_lshlrev_b32_e32 v5, 16, v5
	v_lshlrev_b16 v12, 8, v12
	v_and_b32_e32 v6, 0xffff, v6
	v_cmp_lt_u32_e32 vcc_lo, s3, v11
	v_or_b32_e32 v42, v1, v2
	v_or_b32_e32 v40, v4, v5
	v_or_b32_e32 v3, v3, v12
	v_cndmask_b32_e64 v37, 0, 1, vcc_lo
	s_delay_alu instid0(VALU_DEP_2) | instskip(NEXT) | instid1(VALU_DEP_1)
	v_lshlrev_b32_e32 v3, 16, v3
	v_or_b32_e32 v38, v6, v3
	s_addk_i32 s11, 0xd00
	s_cbranch_execz .LBB495_11
	s_branch .LBB495_38
.LBB495_10:
                                        ; implicit-def: $vgpr37
                                        ; implicit-def: $vgpr38
                                        ; implicit-def: $vgpr40
                                        ; implicit-def: $vgpr42
	s_addk_i32 s11, 0xd00
.LBB495_11:
	v_dual_mov_b32 v2, 0 :: v_dual_mov_b32 v1, 0
	s_mov_b32 s0, exec_lo
	v_cmpx_gt_u32_e64 s11, v36
; %bb.12:
	v_add_nc_u32_e32 v1, s5, v30
	v_add_nc_u32_e32 v3, s7, v30
	s_delay_alu instid0(VALU_DEP_2) | instskip(NEXT) | instid1(VALU_DEP_2)
	v_mul_lo_u32 v1, v1, s4
	v_mul_lo_u32 v3, v3, s6
	s_delay_alu instid0(VALU_DEP_1) | instskip(NEXT) | instid1(VALU_DEP_1)
	v_sub_nc_u32_e32 v1, v1, v3
	v_cmp_lt_u32_e32 vcc_lo, s3, v1
	v_cndmask_b32_e64 v1, 0, 1, vcc_lo
; %bb.13:
	s_or_b32 exec_lo, exec_lo, s0
	v_add_nc_u32_e32 v3, 1, v36
	s_mov_b32 s0, exec_lo
	s_delay_alu instid0(VALU_DEP_1)
	v_cmpx_gt_u32_e64 s11, v3
; %bb.14:
	v_add_nc_u32_e32 v2, s5, v31
	v_add_nc_u32_e32 v3, s7, v31
	s_delay_alu instid0(VALU_DEP_2) | instskip(NEXT) | instid1(VALU_DEP_2)
	v_mul_lo_u32 v2, v2, s4
	v_mul_lo_u32 v3, v3, s6
	s_delay_alu instid0(VALU_DEP_1) | instskip(NEXT) | instid1(VALU_DEP_1)
	v_sub_nc_u32_e32 v2, v2, v3
	v_cmp_lt_u32_e32 vcc_lo, s3, v2
	v_cndmask_b32_e64 v2, 0, 1, vcc_lo
; %bb.15:
	s_or_b32 exec_lo, exec_lo, s0
	v_dual_mov_b32 v4, 0 :: v_dual_add_nc_u32 v3, 2, v36
	s_delay_alu instid0(VALU_DEP_1)
	v_cmp_gt_u32_e32 vcc_lo, s11, v3
	v_mov_b32_e32 v3, 0
	s_and_saveexec_b32 s0, vcc_lo
; %bb.16:
	v_add_nc_u32_e32 v3, s5, v28
	v_add_nc_u32_e32 v5, s7, v28
	s_delay_alu instid0(VALU_DEP_2) | instskip(NEXT) | instid1(VALU_DEP_2)
	v_mul_lo_u32 v3, v3, s4
	v_mul_lo_u32 v5, v5, s6
	s_delay_alu instid0(VALU_DEP_1) | instskip(NEXT) | instid1(VALU_DEP_1)
	v_sub_nc_u32_e32 v3, v3, v5
	v_cmp_lt_u32_e32 vcc_lo, s3, v3
	v_cndmask_b32_e64 v3, 0, 1, vcc_lo
; %bb.17:
	s_or_b32 exec_lo, exec_lo, s0
	v_add_nc_u32_e32 v5, 3, v36
	s_mov_b32 s0, exec_lo
	s_delay_alu instid0(VALU_DEP_1)
	v_cmpx_gt_u32_e64 s11, v5
; %bb.18:
	v_add_nc_u32_e32 v4, s5, v29
	v_add_nc_u32_e32 v5, s7, v29
	s_delay_alu instid0(VALU_DEP_2) | instskip(NEXT) | instid1(VALU_DEP_2)
	v_mul_lo_u32 v4, v4, s4
	v_mul_lo_u32 v5, v5, s6
	s_delay_alu instid0(VALU_DEP_1) | instskip(NEXT) | instid1(VALU_DEP_1)
	v_sub_nc_u32_e32 v4, v4, v5
	v_cmp_lt_u32_e32 vcc_lo, s3, v4
	v_cndmask_b32_e64 v4, 0, 1, vcc_lo
; %bb.19:
	s_or_b32 exec_lo, exec_lo, s0
	v_dual_mov_b32 v6, 0 :: v_dual_add_nc_u32 v5, 4, v36
	s_delay_alu instid0(VALU_DEP_1)
	v_cmp_gt_u32_e32 vcc_lo, s11, v5
	v_mov_b32_e32 v5, 0
	s_and_saveexec_b32 s0, vcc_lo
	;; [unrolled: 33-line block ×5, first 2 shown]
; %bb.32:
	v_add_nc_u32_e32 v11, s5, v20
	v_add_nc_u32_e32 v13, s7, v20
	s_delay_alu instid0(VALU_DEP_2) | instskip(NEXT) | instid1(VALU_DEP_2)
	v_mul_lo_u32 v11, v11, s4
	v_mul_lo_u32 v13, v13, s6
	s_delay_alu instid0(VALU_DEP_1) | instskip(NEXT) | instid1(VALU_DEP_1)
	v_sub_nc_u32_e32 v11, v11, v13
	v_cmp_lt_u32_e32 vcc_lo, s3, v11
	v_cndmask_b32_e64 v11, 0, 1, vcc_lo
; %bb.33:
	s_or_b32 exec_lo, exec_lo, s0
	v_add_nc_u32_e32 v13, 11, v36
	s_mov_b32 s0, exec_lo
	s_delay_alu instid0(VALU_DEP_1)
	v_cmpx_gt_u32_e64 s11, v13
; %bb.34:
	v_add_nc_u32_e32 v12, s5, v21
	v_add_nc_u32_e32 v13, s7, v21
	s_delay_alu instid0(VALU_DEP_2) | instskip(NEXT) | instid1(VALU_DEP_2)
	v_mul_lo_u32 v12, v12, s4
	v_mul_lo_u32 v13, v13, s6
	s_delay_alu instid0(VALU_DEP_1) | instskip(NEXT) | instid1(VALU_DEP_1)
	v_sub_nc_u32_e32 v12, v12, v13
	v_cmp_lt_u32_e32 vcc_lo, s3, v12
	v_cndmask_b32_e64 v12, 0, 1, vcc_lo
; %bb.35:
	s_or_b32 exec_lo, exec_lo, s0
	v_add_nc_u32_e32 v13, 12, v36
	v_mov_b32_e32 v37, 0
	s_mov_b32 s0, exec_lo
	s_delay_alu instid0(VALU_DEP_2)
	v_cmpx_gt_u32_e64 s11, v13
; %bb.36:
	v_add_nc_u32_e32 v13, s5, v35
	v_add_nc_u32_e32 v14, s7, v35
	s_delay_alu instid0(VALU_DEP_2) | instskip(NEXT) | instid1(VALU_DEP_2)
	v_mul_lo_u32 v13, v13, s4
	v_mul_lo_u32 v14, v14, s6
	s_delay_alu instid0(VALU_DEP_1) | instskip(NEXT) | instid1(VALU_DEP_1)
	v_sub_nc_u32_e32 v13, v13, v14
	v_cmp_lt_u32_e32 vcc_lo, s3, v13
	v_cndmask_b32_e64 v37, 0, 1, vcc_lo
; %bb.37:
	s_or_b32 exec_lo, exec_lo, s0
	v_lshlrev_b16 v2, 8, v2
	v_lshlrev_b16 v4, 8, v4
	;; [unrolled: 1-line block ×5, first 2 shown]
	v_or_b32_e32 v1, v1, v2
	v_lshlrev_b16 v2, 8, v12
	v_or_b32_e32 v3, v3, v4
	v_or_b32_e32 v4, v5, v6
	;; [unrolled: 1-line block ×5, first 2 shown]
	v_and_b32_e32 v1, 0xffff, v1
	v_lshlrev_b32_e32 v3, 16, v3
	v_and_b32_e32 v4, 0xffff, v4
	v_lshlrev_b32_e32 v5, 16, v5
	v_and_b32_e32 v6, 0xffff, v6
	v_lshlrev_b32_e32 v2, 16, v2
	v_or_b32_e32 v42, v1, v3
	s_delay_alu instid0(VALU_DEP_4) | instskip(NEXT) | instid1(VALU_DEP_3)
	v_or_b32_e32 v40, v4, v5
	v_or_b32_e32 v38, v6, v2
.LBB495_38:
	s_delay_alu instid0(VALU_DEP_3)
	v_and_b32_e32 v44, 0xff, v42
	v_bfe_u32 v45, v42, 8, 8
	v_bfe_u32 v46, v42, 16, 8
	v_lshrrev_b32_e32 v43, 24, v42
	v_and_b32_e32 v47, 0xff, v40
	v_bfe_u32 v48, v40, 8, 8
	v_bfe_u32 v49, v40, 16, 8
	v_add3_u32 v1, v45, v44, v46
	v_lshrrev_b32_e32 v41, 24, v40
	v_and_b32_e32 v50, 0xff, v38
	v_bfe_u32 v51, v38, 8, 8
	v_mbcnt_lo_u32_b32 v53, -1, 0
	v_add3_u32 v1, v1, v43, v47
	v_bfe_u32 v52, v38, 16, 8
	v_lshrrev_b32_e32 v39, 24, v38
	v_and_b32_e32 v2, 0xff, v37
	v_and_b32_e32 v3, 15, v53
	v_add3_u32 v1, v1, v48, v49
	v_or_b32_e32 v4, 31, v0
	v_and_b32_e32 v5, 16, v53
	v_lshrrev_b32_e32 v54, 5, v0
	v_cmp_eq_u32_e64 s6, 0, v3
	v_add3_u32 v1, v1, v41, v50
	v_cmp_lt_u32_e64 s5, 1, v3
	v_cmp_lt_u32_e64 s4, 3, v3
	;; [unrolled: 1-line block ×3, first 2 shown]
	v_cmp_eq_u32_e64 s1, 0, v5
	v_add3_u32 v1, v1, v51, v52
	v_cmp_eq_u32_e64 s0, v4, v0
	s_cmp_lg_u32 s20, 0
	s_mov_b32 s7, -1
	s_delay_alu instid0(VALU_DEP_2)
	v_add3_u32 v55, v1, v39, v2
	s_cbranch_scc0 .LBB495_64
; %bb.39:
	s_delay_alu instid0(VALU_DEP_1) | instskip(NEXT) | instid1(VALU_DEP_1)
	v_mov_b32_dpp v1, v55 row_shr:1 row_mask:0xf bank_mask:0xf
	v_cndmask_b32_e64 v1, v1, 0, s6
	s_delay_alu instid0(VALU_DEP_1) | instskip(NEXT) | instid1(VALU_DEP_1)
	v_add_nc_u32_e32 v1, v1, v55
	v_mov_b32_dpp v2, v1 row_shr:2 row_mask:0xf bank_mask:0xf
	s_delay_alu instid0(VALU_DEP_1) | instskip(NEXT) | instid1(VALU_DEP_1)
	v_cndmask_b32_e64 v2, 0, v2, s5
	v_add_nc_u32_e32 v1, v1, v2
	s_delay_alu instid0(VALU_DEP_1) | instskip(NEXT) | instid1(VALU_DEP_1)
	v_mov_b32_dpp v2, v1 row_shr:4 row_mask:0xf bank_mask:0xf
	v_cndmask_b32_e64 v2, 0, v2, s4
	s_delay_alu instid0(VALU_DEP_1) | instskip(NEXT) | instid1(VALU_DEP_1)
	v_add_nc_u32_e32 v1, v1, v2
	v_mov_b32_dpp v2, v1 row_shr:8 row_mask:0xf bank_mask:0xf
	s_delay_alu instid0(VALU_DEP_1) | instskip(NEXT) | instid1(VALU_DEP_1)
	v_cndmask_b32_e64 v2, 0, v2, s3
	v_add_nc_u32_e32 v1, v1, v2
	ds_swizzle_b32 v2, v1 offset:swizzle(BROADCAST,32,15)
	s_waitcnt lgkmcnt(0)
	v_cndmask_b32_e64 v2, v2, 0, s1
	s_delay_alu instid0(VALU_DEP_1)
	v_add_nc_u32_e32 v1, v1, v2
	s_and_saveexec_b32 s7, s0
	s_cbranch_execz .LBB495_41
; %bb.40:
	v_lshlrev_b32_e32 v2, 2, v54
	ds_store_b32 v2, v1
.LBB495_41:
	s_or_b32 exec_lo, exec_lo, s7
	s_delay_alu instid0(SALU_CYCLE_1)
	s_mov_b32 s7, exec_lo
	s_waitcnt lgkmcnt(0)
	s_barrier
	buffer_gl0_inv
	v_cmpx_gt_u32_e32 8, v0
	s_cbranch_execz .LBB495_43
; %bb.42:
	ds_load_b32 v2, v33
	s_waitcnt lgkmcnt(0)
	v_mov_b32_dpp v4, v2 row_shr:1 row_mask:0xf bank_mask:0xf
	v_and_b32_e32 v3, 7, v53
	s_delay_alu instid0(VALU_DEP_1) | instskip(NEXT) | instid1(VALU_DEP_3)
	v_cmp_ne_u32_e32 vcc_lo, 0, v3
	v_cndmask_b32_e32 v4, 0, v4, vcc_lo
	v_cmp_lt_u32_e32 vcc_lo, 1, v3
	s_delay_alu instid0(VALU_DEP_2) | instskip(NEXT) | instid1(VALU_DEP_1)
	v_add_nc_u32_e32 v2, v4, v2
	v_mov_b32_dpp v4, v2 row_shr:2 row_mask:0xf bank_mask:0xf
	s_delay_alu instid0(VALU_DEP_1) | instskip(SKIP_1) | instid1(VALU_DEP_2)
	v_cndmask_b32_e32 v4, 0, v4, vcc_lo
	v_cmp_lt_u32_e32 vcc_lo, 3, v3
	v_add_nc_u32_e32 v2, v2, v4
	s_delay_alu instid0(VALU_DEP_1) | instskip(NEXT) | instid1(VALU_DEP_1)
	v_mov_b32_dpp v4, v2 row_shr:4 row_mask:0xf bank_mask:0xf
	v_cndmask_b32_e32 v3, 0, v4, vcc_lo
	s_delay_alu instid0(VALU_DEP_1)
	v_add_nc_u32_e32 v2, v2, v3
	ds_store_b32 v33, v2
.LBB495_43:
	s_or_b32 exec_lo, exec_lo, s7
	v_cmp_gt_u32_e32 vcc_lo, 32, v0
	s_mov_b32 s21, exec_lo
	s_waitcnt lgkmcnt(0)
	s_barrier
	buffer_gl0_inv
                                        ; implicit-def: $vgpr8
	v_cmpx_lt_u32_e32 31, v0
	s_cbranch_execz .LBB495_45
; %bb.44:
	v_lshl_add_u32 v2, v54, 2, -4
	ds_load_b32 v8, v2
	s_waitcnt lgkmcnt(0)
	v_add_nc_u32_e32 v1, v8, v1
.LBB495_45:
	s_or_b32 exec_lo, exec_lo, s21
	v_add_nc_u32_e32 v2, -1, v53
	s_delay_alu instid0(VALU_DEP_1) | instskip(NEXT) | instid1(VALU_DEP_1)
	v_cmp_gt_i32_e64 s7, 0, v2
	v_cndmask_b32_e64 v2, v2, v53, s7
	v_cmp_eq_u32_e64 s7, 0, v53
	s_delay_alu instid0(VALU_DEP_2)
	v_lshlrev_b32_e32 v2, 2, v2
	ds_bpermute_b32 v9, v2, v1
	s_and_saveexec_b32 s21, vcc_lo
	s_cbranch_execz .LBB495_63
; %bb.46:
	v_mov_b32_e32 v4, 0
	ds_load_b32 v1, v4 offset:28
	s_and_saveexec_b32 s22, s7
	s_cbranch_execz .LBB495_48
; %bb.47:
	s_add_i32 s24, s20, 32
	s_mov_b32 s25, 0
	v_mov_b32_e32 v2, 1
	s_lshl_b64 s[24:25], s[24:25], 3
	s_delay_alu instid0(SALU_CYCLE_1)
	s_add_u32 s24, s18, s24
	s_addc_u32 s25, s19, s25
	s_waitcnt lgkmcnt(0)
	global_store_b64 v4, v[1:2], s[24:25]
.LBB495_48:
	s_or_b32 exec_lo, exec_lo, s22
	v_xad_u32 v2, v53, -1, s20
	s_mov_b32 s23, 0
	s_mov_b32 s22, exec_lo
	s_delay_alu instid0(VALU_DEP_1) | instskip(NEXT) | instid1(VALU_DEP_1)
	v_add_nc_u32_e32 v3, 32, v2
	v_lshlrev_b64 v[3:4], 3, v[3:4]
	s_delay_alu instid0(VALU_DEP_1) | instskip(NEXT) | instid1(VALU_DEP_2)
	v_add_co_u32 v6, vcc_lo, s18, v3
	v_add_co_ci_u32_e32 v7, vcc_lo, s19, v4, vcc_lo
	global_load_b64 v[4:5], v[6:7], off glc
	s_waitcnt vmcnt(0)
	v_and_b32_e32 v3, 0xff, v5
	s_delay_alu instid0(VALU_DEP_1)
	v_cmpx_eq_u16_e32 0, v3
	s_cbranch_execz .LBB495_51
.LBB495_49:                             ; =>This Inner Loop Header: Depth=1
	global_load_b64 v[4:5], v[6:7], off glc
	s_waitcnt vmcnt(0)
	v_and_b32_e32 v3, 0xff, v5
	s_delay_alu instid0(VALU_DEP_1) | instskip(SKIP_1) | instid1(SALU_CYCLE_1)
	v_cmp_ne_u16_e32 vcc_lo, 0, v3
	s_or_b32 s23, vcc_lo, s23
	s_and_not1_b32 exec_lo, exec_lo, s23
	s_cbranch_execnz .LBB495_49
; %bb.50:
	s_or_b32 exec_lo, exec_lo, s23
.LBB495_51:
	s_delay_alu instid0(SALU_CYCLE_1)
	s_or_b32 exec_lo, exec_lo, s22
	v_cmp_ne_u32_e32 vcc_lo, 31, v53
	v_lshlrev_b32_e64 v11, v53, -1
	v_add_nc_u32_e32 v13, 2, v53
	v_add_nc_u32_e32 v15, 4, v53
	;; [unrolled: 1-line block ×3, first 2 shown]
	v_add_co_ci_u32_e32 v3, vcc_lo, 0, v53, vcc_lo
	v_add_nc_u32_e32 v58, 16, v53
	s_delay_alu instid0(VALU_DEP_2) | instskip(SKIP_2) | instid1(VALU_DEP_1)
	v_lshlrev_b32_e32 v10, 2, v3
	ds_bpermute_b32 v6, v10, v4
	v_and_b32_e32 v3, 0xff, v5
	v_cmp_eq_u16_e32 vcc_lo, 2, v3
	v_and_or_b32 v3, vcc_lo, v11, 0x80000000
	v_cmp_gt_u32_e32 vcc_lo, 30, v53
	s_delay_alu instid0(VALU_DEP_2) | instskip(SKIP_1) | instid1(VALU_DEP_2)
	v_ctz_i32_b32_e32 v3, v3
	v_cndmask_b32_e64 v7, 0, 1, vcc_lo
	v_cmp_lt_u32_e32 vcc_lo, v53, v3
	s_waitcnt lgkmcnt(0)
	s_delay_alu instid0(VALU_DEP_2) | instskip(NEXT) | instid1(VALU_DEP_1)
	v_dual_cndmask_b32 v6, 0, v6 :: v_dual_lshlrev_b32 v7, 1, v7
	v_add_lshl_u32 v12, v7, v53, 2
	v_cmp_gt_u32_e32 vcc_lo, 28, v53
	s_delay_alu instid0(VALU_DEP_3) | instskip(SKIP_4) | instid1(VALU_DEP_1)
	v_add_nc_u32_e32 v4, v6, v4
	v_cndmask_b32_e64 v7, 0, 1, vcc_lo
	v_cmp_le_u32_e32 vcc_lo, v13, v3
	ds_bpermute_b32 v6, v12, v4
	v_lshlrev_b32_e32 v7, 2, v7
	v_add_lshl_u32 v14, v7, v53, 2
	s_waitcnt lgkmcnt(0)
	v_cndmask_b32_e32 v6, 0, v6, vcc_lo
	v_cmp_gt_u32_e32 vcc_lo, 24, v53
	s_delay_alu instid0(VALU_DEP_2) | instskip(SKIP_4) | instid1(VALU_DEP_1)
	v_add_nc_u32_e32 v4, v4, v6
	v_cndmask_b32_e64 v7, 0, 1, vcc_lo
	v_cmp_le_u32_e32 vcc_lo, v15, v3
	ds_bpermute_b32 v6, v14, v4
	v_lshlrev_b32_e32 v7, 3, v7
	v_add_lshl_u32 v17, v7, v53, 2
	s_waitcnt lgkmcnt(0)
	v_cndmask_b32_e32 v6, 0, v6, vcc_lo
	v_cmp_gt_u32_e32 vcc_lo, 16, v53
	s_delay_alu instid0(VALU_DEP_2) | instskip(SKIP_4) | instid1(VALU_DEP_1)
	v_add_nc_u32_e32 v4, v4, v6
	v_cndmask_b32_e64 v7, 0, 1, vcc_lo
	v_cmp_le_u32_e32 vcc_lo, v56, v3
	ds_bpermute_b32 v6, v17, v4
	v_lshlrev_b32_e32 v7, 4, v7
	v_add_lshl_u32 v57, v7, v53, 2
	s_waitcnt lgkmcnt(0)
	v_cndmask_b32_e32 v6, 0, v6, vcc_lo
	v_cmp_le_u32_e32 vcc_lo, v58, v3
	s_delay_alu instid0(VALU_DEP_2) | instskip(SKIP_3) | instid1(VALU_DEP_1)
	v_add_nc_u32_e32 v4, v4, v6
	ds_bpermute_b32 v6, v57, v4
	s_waitcnt lgkmcnt(0)
	v_cndmask_b32_e32 v3, 0, v6, vcc_lo
	v_dual_mov_b32 v3, 0 :: v_dual_add_nc_u32 v4, v4, v3
	s_branch .LBB495_53
.LBB495_52:                             ;   in Loop: Header=BB495_53 Depth=1
	s_or_b32 exec_lo, exec_lo, s22
	ds_bpermute_b32 v7, v10, v4
	v_and_b32_e32 v6, 0xff, v5
	v_subrev_nc_u32_e32 v2, 32, v2
	s_delay_alu instid0(VALU_DEP_2) | instskip(SKIP_1) | instid1(VALU_DEP_1)
	v_cmp_eq_u16_e32 vcc_lo, 2, v6
	v_and_or_b32 v6, vcc_lo, v11, 0x80000000
	v_ctz_i32_b32_e32 v6, v6
	s_delay_alu instid0(VALU_DEP_1) | instskip(SKIP_3) | instid1(VALU_DEP_2)
	v_cmp_lt_u32_e32 vcc_lo, v53, v6
	s_waitcnt lgkmcnt(0)
	v_cndmask_b32_e32 v7, 0, v7, vcc_lo
	v_cmp_le_u32_e32 vcc_lo, v13, v6
	v_add_nc_u32_e32 v4, v7, v4
	ds_bpermute_b32 v7, v12, v4
	s_waitcnt lgkmcnt(0)
	v_cndmask_b32_e32 v7, 0, v7, vcc_lo
	v_cmp_le_u32_e32 vcc_lo, v15, v6
	s_delay_alu instid0(VALU_DEP_2) | instskip(SKIP_4) | instid1(VALU_DEP_2)
	v_add_nc_u32_e32 v4, v4, v7
	ds_bpermute_b32 v7, v14, v4
	s_waitcnt lgkmcnt(0)
	v_cndmask_b32_e32 v7, 0, v7, vcc_lo
	v_cmp_le_u32_e32 vcc_lo, v56, v6
	v_add_nc_u32_e32 v4, v4, v7
	ds_bpermute_b32 v7, v17, v4
	s_waitcnt lgkmcnt(0)
	v_cndmask_b32_e32 v7, 0, v7, vcc_lo
	v_cmp_le_u32_e32 vcc_lo, v58, v6
	s_delay_alu instid0(VALU_DEP_2) | instskip(SKIP_3) | instid1(VALU_DEP_1)
	v_add_nc_u32_e32 v4, v4, v7
	ds_bpermute_b32 v7, v57, v4
	s_waitcnt lgkmcnt(0)
	v_cndmask_b32_e32 v6, 0, v7, vcc_lo
	v_add3_u32 v4, v6, v16, v4
.LBB495_53:                             ; =>This Loop Header: Depth=1
                                        ;     Child Loop BB495_56 Depth 2
	s_delay_alu instid0(VALU_DEP_1) | instskip(NEXT) | instid1(VALU_DEP_1)
	v_dual_mov_b32 v16, v4 :: v_dual_and_b32 v5, 0xff, v5
	v_cmp_ne_u16_e32 vcc_lo, 2, v5
	v_cndmask_b32_e64 v5, 0, 1, vcc_lo
	;;#ASMSTART
	;;#ASMEND
	s_delay_alu instid0(VALU_DEP_1)
	v_cmp_ne_u32_e32 vcc_lo, 0, v5
	s_cmp_lg_u32 vcc_lo, exec_lo
	s_cbranch_scc1 .LBB495_58
; %bb.54:                               ;   in Loop: Header=BB495_53 Depth=1
	v_lshlrev_b64 v[4:5], 3, v[2:3]
	s_mov_b32 s22, exec_lo
	s_delay_alu instid0(VALU_DEP_1) | instskip(NEXT) | instid1(VALU_DEP_2)
	v_add_co_u32 v6, vcc_lo, s18, v4
	v_add_co_ci_u32_e32 v7, vcc_lo, s19, v5, vcc_lo
	global_load_b64 v[4:5], v[6:7], off glc
	s_waitcnt vmcnt(0)
	v_and_b32_e32 v59, 0xff, v5
	s_delay_alu instid0(VALU_DEP_1)
	v_cmpx_eq_u16_e32 0, v59
	s_cbranch_execz .LBB495_52
; %bb.55:                               ;   in Loop: Header=BB495_53 Depth=1
	s_mov_b32 s23, 0
.LBB495_56:                             ;   Parent Loop BB495_53 Depth=1
                                        ; =>  This Inner Loop Header: Depth=2
	global_load_b64 v[4:5], v[6:7], off glc
	s_waitcnt vmcnt(0)
	v_and_b32_e32 v59, 0xff, v5
	s_delay_alu instid0(VALU_DEP_1) | instskip(SKIP_1) | instid1(SALU_CYCLE_1)
	v_cmp_ne_u16_e32 vcc_lo, 0, v59
	s_or_b32 s23, vcc_lo, s23
	s_and_not1_b32 exec_lo, exec_lo, s23
	s_cbranch_execnz .LBB495_56
; %bb.57:                               ;   in Loop: Header=BB495_53 Depth=1
	s_or_b32 exec_lo, exec_lo, s23
	s_branch .LBB495_52
.LBB495_58:                             ;   in Loop: Header=BB495_53 Depth=1
                                        ; implicit-def: $vgpr4
                                        ; implicit-def: $vgpr5
	s_cbranch_execz .LBB495_53
; %bb.59:
	s_and_saveexec_b32 s22, s7
	s_cbranch_execz .LBB495_61
; %bb.60:
	s_add_i32 s24, s20, 32
	s_mov_b32 s25, 0
	v_dual_mov_b32 v3, 2 :: v_dual_add_nc_u32 v2, v16, v1
	s_lshl_b64 s[24:25], s[24:25], 3
	v_mov_b32_e32 v4, 0
	v_add_nc_u32_e64 v5, 0x3400, 0
	s_add_u32 s24, s18, s24
	s_addc_u32 s25, s19, s25
	global_store_b64 v4, v[2:3], s[24:25]
	ds_store_2addr_b32 v5, v1, v16 offset1:2
.LBB495_61:
	s_or_b32 exec_lo, exec_lo, s22
	s_delay_alu instid0(SALU_CYCLE_1)
	s_and_b32 exec_lo, exec_lo, s2
	s_cbranch_execz .LBB495_63
; %bb.62:
	v_mov_b32_e32 v1, 0
	ds_store_b32 v1, v16 offset:28
.LBB495_63:
	s_or_b32 exec_lo, exec_lo, s21
	v_mov_b32_e32 v1, 0
	s_waitcnt lgkmcnt(0)
	s_waitcnt_vscnt null, 0x0
	s_barrier
	buffer_gl0_inv
	v_cndmask_b32_e64 v2, v9, v8, s7
	ds_load_b32 v1, v1 offset:28
	v_add_nc_u32_e64 v11, 0x3400, 0
	s_waitcnt lgkmcnt(0)
	s_barrier
	v_cndmask_b32_e64 v2, v2, 0, s2
	buffer_gl0_inv
	ds_load_2addr_b32 v[16:17], v11 offset1:2
	v_add_nc_u32_e32 v1, v1, v2
	s_delay_alu instid0(VALU_DEP_1) | instskip(NEXT) | instid1(VALU_DEP_1)
	v_add_nc_u32_e32 v2, v1, v44
	v_add_nc_u32_e32 v3, v2, v45
	s_delay_alu instid0(VALU_DEP_1) | instskip(NEXT) | instid1(VALU_DEP_1)
	v_add_nc_u32_e32 v4, v3, v46
	;; [unrolled: 3-line block ×6, first 2 shown]
	v_add_nc_u32_e32 v13, v12, v39
	s_branch .LBB495_74
.LBB495_64:
                                        ; implicit-def: $vgpr17
                                        ; implicit-def: $vgpr1_vgpr2_vgpr3_vgpr4_vgpr5_vgpr6_vgpr7_vgpr8_vgpr9_vgpr10_vgpr11_vgpr12_vgpr13_vgpr14_vgpr15_vgpr16
	s_and_b32 vcc_lo, exec_lo, s7
	s_cbranch_vccz .LBB495_74
; %bb.65:
	s_delay_alu instid0(VALU_DEP_1) | instskip(NEXT) | instid1(VALU_DEP_1)
	v_mov_b32_dpp v1, v55 row_shr:1 row_mask:0xf bank_mask:0xf
	v_cndmask_b32_e64 v1, v1, 0, s6
	s_delay_alu instid0(VALU_DEP_1) | instskip(NEXT) | instid1(VALU_DEP_1)
	v_add_nc_u32_e32 v1, v1, v55
	v_mov_b32_dpp v2, v1 row_shr:2 row_mask:0xf bank_mask:0xf
	s_delay_alu instid0(VALU_DEP_1) | instskip(NEXT) | instid1(VALU_DEP_1)
	v_cndmask_b32_e64 v2, 0, v2, s5
	v_add_nc_u32_e32 v1, v1, v2
	s_delay_alu instid0(VALU_DEP_1) | instskip(NEXT) | instid1(VALU_DEP_1)
	v_mov_b32_dpp v2, v1 row_shr:4 row_mask:0xf bank_mask:0xf
	v_cndmask_b32_e64 v2, 0, v2, s4
	s_delay_alu instid0(VALU_DEP_1) | instskip(NEXT) | instid1(VALU_DEP_1)
	v_add_nc_u32_e32 v1, v1, v2
	v_mov_b32_dpp v2, v1 row_shr:8 row_mask:0xf bank_mask:0xf
	s_delay_alu instid0(VALU_DEP_1) | instskip(NEXT) | instid1(VALU_DEP_1)
	v_cndmask_b32_e64 v2, 0, v2, s3
	v_add_nc_u32_e32 v1, v1, v2
	ds_swizzle_b32 v2, v1 offset:swizzle(BROADCAST,32,15)
	s_waitcnt lgkmcnt(0)
	v_cndmask_b32_e64 v2, v2, 0, s1
	s_delay_alu instid0(VALU_DEP_1)
	v_add_nc_u32_e32 v1, v1, v2
	s_and_saveexec_b32 s1, s0
	s_cbranch_execz .LBB495_67
; %bb.66:
	v_lshlrev_b32_e32 v2, 2, v54
	ds_store_b32 v2, v1
.LBB495_67:
	s_or_b32 exec_lo, exec_lo, s1
	s_delay_alu instid0(SALU_CYCLE_1)
	s_mov_b32 s0, exec_lo
	s_waitcnt lgkmcnt(0)
	s_barrier
	buffer_gl0_inv
	v_cmpx_gt_u32_e32 8, v0
	s_cbranch_execz .LBB495_69
; %bb.68:
	ds_load_b32 v2, v33
	s_waitcnt lgkmcnt(0)
	v_mov_b32_dpp v4, v2 row_shr:1 row_mask:0xf bank_mask:0xf
	v_and_b32_e32 v3, 7, v53
	s_delay_alu instid0(VALU_DEP_1) | instskip(NEXT) | instid1(VALU_DEP_3)
	v_cmp_ne_u32_e32 vcc_lo, 0, v3
	v_cndmask_b32_e32 v4, 0, v4, vcc_lo
	v_cmp_lt_u32_e32 vcc_lo, 1, v3
	s_delay_alu instid0(VALU_DEP_2) | instskip(NEXT) | instid1(VALU_DEP_1)
	v_add_nc_u32_e32 v2, v4, v2
	v_mov_b32_dpp v4, v2 row_shr:2 row_mask:0xf bank_mask:0xf
	s_delay_alu instid0(VALU_DEP_1) | instskip(SKIP_1) | instid1(VALU_DEP_2)
	v_cndmask_b32_e32 v4, 0, v4, vcc_lo
	v_cmp_lt_u32_e32 vcc_lo, 3, v3
	v_add_nc_u32_e32 v2, v2, v4
	s_delay_alu instid0(VALU_DEP_1) | instskip(NEXT) | instid1(VALU_DEP_1)
	v_mov_b32_dpp v4, v2 row_shr:4 row_mask:0xf bank_mask:0xf
	v_cndmask_b32_e32 v3, 0, v4, vcc_lo
	s_delay_alu instid0(VALU_DEP_1)
	v_add_nc_u32_e32 v2, v2, v3
	ds_store_b32 v33, v2
.LBB495_69:
	s_or_b32 exec_lo, exec_lo, s0
	v_dual_mov_b32 v3, 0 :: v_dual_mov_b32 v2, 0
	s_mov_b32 s0, exec_lo
	s_waitcnt lgkmcnt(0)
	s_barrier
	buffer_gl0_inv
	v_cmpx_lt_u32_e32 31, v0
	s_cbranch_execz .LBB495_71
; %bb.70:
	v_lshl_add_u32 v2, v54, 2, -4
	ds_load_b32 v2, v2
.LBB495_71:
	s_or_b32 exec_lo, exec_lo, s0
	v_add_nc_u32_e32 v4, -1, v53
	s_waitcnt lgkmcnt(0)
	v_add_nc_u32_e32 v1, v2, v1
	ds_load_b32 v16, v3 offset:28
	v_cmp_gt_i32_e32 vcc_lo, 0, v4
	v_cndmask_b32_e32 v4, v4, v53, vcc_lo
	s_delay_alu instid0(VALU_DEP_1)
	v_lshlrev_b32_e32 v4, 2, v4
	ds_bpermute_b32 v1, v4, v1
	s_and_saveexec_b32 s0, s2
	s_cbranch_execz .LBB495_73
; %bb.72:
	v_mov_b32_e32 v3, 0
	v_mov_b32_e32 v17, 2
	s_waitcnt lgkmcnt(1)
	global_store_b64 v3, v[16:17], s[18:19] offset:256
.LBB495_73:
	s_or_b32 exec_lo, exec_lo, s0
	v_cmp_eq_u32_e32 vcc_lo, 0, v53
	s_waitcnt lgkmcnt(0)
	s_waitcnt_vscnt null, 0x0
	s_barrier
	buffer_gl0_inv
	v_mov_b32_e32 v17, 0
	v_cndmask_b32_e32 v1, v1, v2, vcc_lo
	s_delay_alu instid0(VALU_DEP_1) | instskip(NEXT) | instid1(VALU_DEP_1)
	v_cndmask_b32_e64 v1, v1, 0, s2
	v_add_nc_u32_e32 v2, v1, v44
	s_delay_alu instid0(VALU_DEP_1) | instskip(NEXT) | instid1(VALU_DEP_1)
	v_add_nc_u32_e32 v3, v2, v45
	v_add_nc_u32_e32 v4, v3, v46
	s_delay_alu instid0(VALU_DEP_1) | instskip(NEXT) | instid1(VALU_DEP_1)
	v_add_nc_u32_e32 v5, v4, v43
	;; [unrolled: 3-line block ×5, first 2 shown]
	v_add_nc_u32_e32 v12, v11, v52
	s_delay_alu instid0(VALU_DEP_1)
	v_add_nc_u32_e32 v13, v12, v39
.LBB495_74:
	s_waitcnt lgkmcnt(0)
	v_sub_nc_u32_e32 v1, v1, v17
	v_sub_nc_u32_e32 v2, v2, v17
	v_add_nc_u32_e32 v36, v16, v36
	v_lshrrev_b32_e32 v47, 8, v42
	v_lshrrev_b32_e32 v46, 16, v42
	v_sub_nc_u32_e32 v4, v4, v17
	v_sub_nc_u32_e32 v3, v3, v17
	;; [unrolled: 1-line block ×3, first 2 shown]
	v_and_b32_e32 v42, 1, v42
	v_and_b32_e32 v47, 1, v47
	;; [unrolled: 1-line block ×3, first 2 shown]
	v_lshrrev_b32_e32 v45, 8, v40
	v_lshrrev_b32_e32 v44, 16, v40
	v_cmp_eq_u32_e32 vcc_lo, 1, v42
	v_and_b32_e32 v42, 1, v46
	v_sub_nc_u32_e32 v46, v36, v2
	v_lshrrev_b32_e32 v15, 8, v38
	v_lshrrev_b32_e32 v14, 16, v38
	v_cndmask_b32_e32 v1, v48, v1, vcc_lo
	v_cmp_eq_u32_e32 vcc_lo, 1, v47
	v_add_nc_u32_e32 v46, 1, v46
	s_delay_alu instid0(VALU_DEP_3)
	v_lshlrev_b32_e32 v1, 2, v1
	ds_store_b32 v1, v30
	v_cndmask_b32_e32 v1, v46, v2, vcc_lo
	v_sub_nc_u32_e32 v48, v36, v3
	v_sub_nc_u32_e32 v49, v36, v4
	v_cmp_eq_u32_e32 vcc_lo, 1, v42
	v_or_b32_e32 v30, 0x300, v0
	v_lshlrev_b32_e32 v1, 2, v1
	v_add_nc_u32_e32 v48, 2, v48
	v_add_nc_u32_e32 v49, 3, v49
	ds_store_b32 v1, v31
	v_cndmask_b32_e32 v2, v48, v3, vcc_lo
	v_cmp_eq_u32_e32 vcc_lo, 1, v43
	v_or_b32_e32 v31, 0x200, v0
	s_delay_alu instid0(VALU_DEP_3) | instskip(SKIP_2) | instid1(VALU_DEP_3)
	v_dual_cndmask_b32 v3, v49, v4 :: v_dual_lshlrev_b32 v2, 2, v2
	v_sub_nc_u32_e32 v4, v5, v17
	v_sub_nc_u32_e32 v5, v6, v17
	v_lshlrev_b32_e32 v3, 2, v3
	s_delay_alu instid0(VALU_DEP_3) | instskip(NEXT) | instid1(VALU_DEP_3)
	v_sub_nc_u32_e32 v1, v36, v4
	v_sub_nc_u32_e32 v6, v36, v5
	ds_store_b32 v2, v28
	ds_store_b32 v3, v29
	v_and_b32_e32 v2, 1, v40
	v_add_nc_u32_e32 v1, 4, v1
	v_add_nc_u32_e32 v3, 5, v6
	v_sub_nc_u32_e32 v6, v7, v17
	v_and_b32_e32 v7, 1, v45
	v_cmp_eq_u32_e32 vcc_lo, 1, v2
	v_sub_nc_u32_e32 v2, v8, v17
	v_and_b32_e32 v8, 1, v41
	v_or_b32_e32 v29, 0x400, v0
	v_or_b32_e32 v28, 0x500, v0
	v_cndmask_b32_e32 v1, v1, v4, vcc_lo
	v_sub_nc_u32_e32 v4, v36, v6
	v_cmp_eq_u32_e32 vcc_lo, 1, v7
	v_and_b32_e32 v7, 1, v44
	s_delay_alu instid0(VALU_DEP_4) | instskip(NEXT) | instid1(VALU_DEP_4)
	v_lshlrev_b32_e32 v1, 2, v1
	v_dual_cndmask_b32 v3, v3, v5 :: v_dual_add_nc_u32 v4, 6, v4
	v_sub_nc_u32_e32 v5, v36, v2
	s_delay_alu instid0(VALU_DEP_4) | instskip(SKIP_2) | instid1(VALU_DEP_4)
	v_cmp_eq_u32_e32 vcc_lo, 1, v7
	v_sub_nc_u32_e32 v7, v13, v17
	v_add_co_u32 v13, s0, s16, v32
	v_dual_cndmask_b32 v4, v4, v6 :: v_dual_add_nc_u32 v5, 7, v5
	v_cmp_eq_u32_e32 vcc_lo, 1, v8
	v_sub_nc_u32_e32 v6, v9, v17
	v_lshlrev_b32_e32 v3, 2, v3
	ds_store_b32 v1, v26
	ds_store_b32 v3, v27
	v_cndmask_b32_e32 v2, v5, v2, vcc_lo
	v_sub_nc_u32_e32 v1, v36, v6
	v_lshlrev_b32_e32 v3, 2, v4
	v_and_b32_e32 v5, 1, v38
	v_sub_nc_u32_e32 v4, v10, v17
	v_lshlrev_b32_e32 v2, 2, v2
	v_add_nc_u32_e32 v1, 8, v1
	ds_store_b32 v3, v24
	ds_store_b32 v2, v25
	v_cmp_eq_u32_e32 vcc_lo, 1, v5
	v_sub_nc_u32_e32 v3, v11, v17
	v_sub_nc_u32_e32 v2, v36, v4
	;; [unrolled: 1-line block ×3, first 2 shown]
	v_dual_cndmask_b32 v1, v1, v6 :: v_dual_and_b32 v10, 1, v39
	v_and_b32_e32 v6, 1, v15
	v_sub_nc_u32_e32 v8, v36, v3
	v_add_nc_u32_e32 v2, 9, v2
	v_sub_nc_u32_e32 v9, v36, v5
	v_and_b32_e32 v11, 1, v37
	v_cmp_eq_u32_e32 vcc_lo, 1, v6
	v_add_nc_u32_e32 v6, 10, v8
	v_and_b32_e32 v8, 1, v14
	v_add_nc_u32_e32 v9, 11, v9
	v_dual_cndmask_b32 v2, v2, v4 :: v_dual_lshlrev_b32 v1, 2, v1
	v_sub_nc_u32_e32 v4, v36, v7
	s_delay_alu instid0(VALU_DEP_4) | instskip(SKIP_1) | instid1(VALU_DEP_4)
	v_cmp_eq_u32_e32 vcc_lo, 1, v8
	v_add_co_ci_u32_e64 v14, null, s17, 0, s0
	v_lshlrev_b32_e32 v2, 2, v2
	s_delay_alu instid0(VALU_DEP_4)
	v_dual_cndmask_b32 v3, v6, v3 :: v_dual_add_nc_u32 v4, 12, v4
	v_cmp_eq_u32_e32 vcc_lo, 1, v10
	v_or_b32_e32 v27, 0x600, v0
	v_or_b32_e32 v26, 0x700, v0
	v_or_b32_e32 v25, 0x800, v0
	v_lshlrev_b32_e32 v3, 2, v3
	v_cndmask_b32_e32 v5, v9, v5, vcc_lo
	v_cmp_eq_u32_e32 vcc_lo, 1, v11
	v_or_b32_e32 v24, 0x900, v0
	s_delay_alu instid0(VALU_DEP_3) | instskip(SKIP_2) | instid1(VALU_DEP_3)
	v_dual_cndmask_b32 v4, v4, v7 :: v_dual_lshlrev_b32 v5, 2, v5
	v_sub_co_u32 v13, vcc_lo, s14, v13
	v_sub_co_ci_u32_e32 v14, vcc_lo, s15, v14, vcc_lo
	v_lshlrev_b32_e32 v4, 2, v4
	ds_store_b32 v1, v22
	ds_store_b32 v2, v23
	;; [unrolled: 1-line block ×5, first 2 shown]
	s_waitcnt lgkmcnt(0)
	s_barrier
	buffer_gl0_inv
	ds_load_2addr_stride64_b32 v[11:12], v33 offset1:4
	ds_load_2addr_stride64_b32 v[9:10], v33 offset0:8 offset1:12
	ds_load_2addr_stride64_b32 v[7:8], v33 offset0:16 offset1:20
	;; [unrolled: 1-line block ×5, first 2 shown]
	ds_load_b32 v20, v33 offset:12288
	v_add_co_u32 v15, vcc_lo, v18, v17
	v_add_co_ci_u32_e32 v17, vcc_lo, 0, v19, vcc_lo
	v_add_co_u32 v13, vcc_lo, v13, v16
	v_add_co_ci_u32_e32 v14, vcc_lo, 0, v14, vcc_lo
	v_cmp_ne_u32_e32 vcc_lo, 1, v34
	s_delay_alu instid0(VALU_DEP_3)
	v_add_co_u32 v18, s0, v13, v15
	v_or_b32_e32 v35, 0x100, v0
	v_or_b32_e32 v23, 0xa00, v0
	;; [unrolled: 1-line block ×4, first 2 shown]
	v_add_co_ci_u32_e64 v19, s0, v14, v17, s0
	s_mov_b32 s0, 0
	s_cbranch_vccnz .LBB495_131
; %bb.75:
	s_mov_b32 s0, exec_lo
                                        ; implicit-def: $vgpr13_vgpr14
	v_cmpx_ge_u32_e64 v0, v16
	s_xor_b32 s0, exec_lo, s0
; %bb.76:
	v_not_b32_e32 v13, v0
	s_delay_alu instid0(VALU_DEP_1) | instskip(SKIP_1) | instid1(VALU_DEP_2)
	v_ashrrev_i32_e32 v14, 31, v13
	v_add_co_u32 v13, vcc_lo, v18, v13
	v_add_co_ci_u32_e32 v14, vcc_lo, v19, v14, vcc_lo
; %bb.77:
	s_and_not1_saveexec_b32 s0, s0
; %bb.78:
	v_add_co_u32 v13, vcc_lo, v15, v0
	v_add_co_ci_u32_e32 v14, vcc_lo, 0, v17, vcc_lo
; %bb.79:
	s_or_b32 exec_lo, exec_lo, s0
	s_delay_alu instid0(VALU_DEP_1) | instskip(SKIP_1) | instid1(VALU_DEP_1)
	v_lshlrev_b64 v[13:14], 2, v[13:14]
	s_mov_b32 s0, exec_lo
	v_add_co_u32 v13, vcc_lo, s12, v13
	s_delay_alu instid0(VALU_DEP_2)
	v_add_co_ci_u32_e32 v14, vcc_lo, s13, v14, vcc_lo
	s_waitcnt lgkmcnt(6)
	global_store_b32 v[13:14], v11, off
                                        ; implicit-def: $vgpr13_vgpr14
	v_cmpx_ge_u32_e64 v35, v16
	s_xor_b32 s0, exec_lo, s0
; %bb.80:
	v_xor_b32_e32 v13, 0xfffffeff, v0
	s_delay_alu instid0(VALU_DEP_1) | instskip(SKIP_1) | instid1(VALU_DEP_2)
	v_ashrrev_i32_e32 v14, 31, v13
	v_add_co_u32 v13, vcc_lo, v18, v13
	v_add_co_ci_u32_e32 v14, vcc_lo, v19, v14, vcc_lo
; %bb.81:
	s_and_not1_saveexec_b32 s0, s0
; %bb.82:
	v_add_co_u32 v13, vcc_lo, v15, v35
	v_add_co_ci_u32_e32 v14, vcc_lo, 0, v17, vcc_lo
; %bb.83:
	s_or_b32 exec_lo, exec_lo, s0
	s_delay_alu instid0(VALU_DEP_1) | instskip(SKIP_1) | instid1(VALU_DEP_1)
	v_lshlrev_b64 v[13:14], 2, v[13:14]
	s_mov_b32 s0, exec_lo
	v_add_co_u32 v13, vcc_lo, s12, v13
	s_delay_alu instid0(VALU_DEP_2)
	v_add_co_ci_u32_e32 v14, vcc_lo, s13, v14, vcc_lo
	global_store_b32 v[13:14], v12, off
                                        ; implicit-def: $vgpr13_vgpr14
	v_cmpx_ge_u32_e64 v31, v16
	s_xor_b32 s0, exec_lo, s0
; %bb.84:
	v_xor_b32_e32 v13, 0xfffffdff, v0
	s_delay_alu instid0(VALU_DEP_1) | instskip(SKIP_1) | instid1(VALU_DEP_2)
	v_ashrrev_i32_e32 v14, 31, v13
	v_add_co_u32 v13, vcc_lo, v18, v13
	v_add_co_ci_u32_e32 v14, vcc_lo, v19, v14, vcc_lo
; %bb.85:
	s_and_not1_saveexec_b32 s0, s0
; %bb.86:
	v_add_co_u32 v13, vcc_lo, v15, v31
	v_add_co_ci_u32_e32 v14, vcc_lo, 0, v17, vcc_lo
; %bb.87:
	s_or_b32 exec_lo, exec_lo, s0
	s_delay_alu instid0(VALU_DEP_1) | instskip(SKIP_1) | instid1(VALU_DEP_1)
	v_lshlrev_b64 v[13:14], 2, v[13:14]
	s_mov_b32 s0, exec_lo
	v_add_co_u32 v13, vcc_lo, s12, v13
	s_delay_alu instid0(VALU_DEP_2)
	v_add_co_ci_u32_e32 v14, vcc_lo, s13, v14, vcc_lo
	s_waitcnt lgkmcnt(5)
	global_store_b32 v[13:14], v9, off
                                        ; implicit-def: $vgpr13_vgpr14
	v_cmpx_ge_u32_e64 v30, v16
	s_xor_b32 s0, exec_lo, s0
; %bb.88:
	v_xor_b32_e32 v13, 0xfffffcff, v0
	s_delay_alu instid0(VALU_DEP_1) | instskip(SKIP_1) | instid1(VALU_DEP_2)
	v_ashrrev_i32_e32 v14, 31, v13
	v_add_co_u32 v13, vcc_lo, v18, v13
	v_add_co_ci_u32_e32 v14, vcc_lo, v19, v14, vcc_lo
; %bb.89:
	s_and_not1_saveexec_b32 s0, s0
; %bb.90:
	v_add_co_u32 v13, vcc_lo, v15, v30
	v_add_co_ci_u32_e32 v14, vcc_lo, 0, v17, vcc_lo
; %bb.91:
	s_or_b32 exec_lo, exec_lo, s0
	s_delay_alu instid0(VALU_DEP_1) | instskip(SKIP_1) | instid1(VALU_DEP_1)
	v_lshlrev_b64 v[13:14], 2, v[13:14]
	s_mov_b32 s0, exec_lo
	v_add_co_u32 v13, vcc_lo, s12, v13
	s_delay_alu instid0(VALU_DEP_2)
	v_add_co_ci_u32_e32 v14, vcc_lo, s13, v14, vcc_lo
	global_store_b32 v[13:14], v10, off
                                        ; implicit-def: $vgpr13_vgpr14
	v_cmpx_ge_u32_e64 v29, v16
	s_xor_b32 s0, exec_lo, s0
; %bb.92:
	v_xor_b32_e32 v13, 0xfffffbff, v0
	s_delay_alu instid0(VALU_DEP_1) | instskip(SKIP_1) | instid1(VALU_DEP_2)
	v_ashrrev_i32_e32 v14, 31, v13
	v_add_co_u32 v13, vcc_lo, v18, v13
	v_add_co_ci_u32_e32 v14, vcc_lo, v19, v14, vcc_lo
; %bb.93:
	s_and_not1_saveexec_b32 s0, s0
; %bb.94:
	v_add_co_u32 v13, vcc_lo, v15, v29
	v_add_co_ci_u32_e32 v14, vcc_lo, 0, v17, vcc_lo
; %bb.95:
	s_or_b32 exec_lo, exec_lo, s0
	s_delay_alu instid0(VALU_DEP_1) | instskip(SKIP_1) | instid1(VALU_DEP_1)
	v_lshlrev_b64 v[13:14], 2, v[13:14]
	s_mov_b32 s0, exec_lo
	v_add_co_u32 v13, vcc_lo, s12, v13
	s_delay_alu instid0(VALU_DEP_2)
	v_add_co_ci_u32_e32 v14, vcc_lo, s13, v14, vcc_lo
	s_waitcnt lgkmcnt(4)
	global_store_b32 v[13:14], v7, off
                                        ; implicit-def: $vgpr13_vgpr14
	v_cmpx_ge_u32_e64 v28, v16
	s_xor_b32 s0, exec_lo, s0
; %bb.96:
	v_xor_b32_e32 v13, 0xfffffaff, v0
	s_delay_alu instid0(VALU_DEP_1) | instskip(SKIP_1) | instid1(VALU_DEP_2)
	v_ashrrev_i32_e32 v14, 31, v13
	v_add_co_u32 v13, vcc_lo, v18, v13
	v_add_co_ci_u32_e32 v14, vcc_lo, v19, v14, vcc_lo
; %bb.97:
	s_and_not1_saveexec_b32 s0, s0
; %bb.98:
	v_add_co_u32 v13, vcc_lo, v15, v28
	v_add_co_ci_u32_e32 v14, vcc_lo, 0, v17, vcc_lo
; %bb.99:
	s_or_b32 exec_lo, exec_lo, s0
	s_delay_alu instid0(VALU_DEP_1) | instskip(SKIP_1) | instid1(VALU_DEP_1)
	v_lshlrev_b64 v[13:14], 2, v[13:14]
	s_mov_b32 s0, exec_lo
	v_add_co_u32 v13, vcc_lo, s12, v13
	s_delay_alu instid0(VALU_DEP_2)
	v_add_co_ci_u32_e32 v14, vcc_lo, s13, v14, vcc_lo
	global_store_b32 v[13:14], v8, off
                                        ; implicit-def: $vgpr13_vgpr14
	v_cmpx_ge_u32_e64 v27, v16
	s_xor_b32 s0, exec_lo, s0
; %bb.100:
	v_xor_b32_e32 v13, 0xfffff9ff, v0
	s_delay_alu instid0(VALU_DEP_1) | instskip(SKIP_1) | instid1(VALU_DEP_2)
	v_ashrrev_i32_e32 v14, 31, v13
	v_add_co_u32 v13, vcc_lo, v18, v13
	v_add_co_ci_u32_e32 v14, vcc_lo, v19, v14, vcc_lo
; %bb.101:
	s_and_not1_saveexec_b32 s0, s0
; %bb.102:
	v_add_co_u32 v13, vcc_lo, v15, v27
	v_add_co_ci_u32_e32 v14, vcc_lo, 0, v17, vcc_lo
; %bb.103:
	s_or_b32 exec_lo, exec_lo, s0
	s_delay_alu instid0(VALU_DEP_1) | instskip(SKIP_1) | instid1(VALU_DEP_1)
	v_lshlrev_b64 v[13:14], 2, v[13:14]
	s_mov_b32 s0, exec_lo
	v_add_co_u32 v13, vcc_lo, s12, v13
	s_delay_alu instid0(VALU_DEP_2)
	v_add_co_ci_u32_e32 v14, vcc_lo, s13, v14, vcc_lo
	s_waitcnt lgkmcnt(3)
	global_store_b32 v[13:14], v5, off
                                        ; implicit-def: $vgpr13_vgpr14
	v_cmpx_ge_u32_e64 v26, v16
	s_xor_b32 s0, exec_lo, s0
; %bb.104:
	v_xor_b32_e32 v13, 0xfffff8ff, v0
	s_delay_alu instid0(VALU_DEP_1) | instskip(SKIP_1) | instid1(VALU_DEP_2)
	v_ashrrev_i32_e32 v14, 31, v13
	v_add_co_u32 v13, vcc_lo, v18, v13
	v_add_co_ci_u32_e32 v14, vcc_lo, v19, v14, vcc_lo
; %bb.105:
	s_and_not1_saveexec_b32 s0, s0
; %bb.106:
	v_add_co_u32 v13, vcc_lo, v15, v26
	v_add_co_ci_u32_e32 v14, vcc_lo, 0, v17, vcc_lo
; %bb.107:
	s_or_b32 exec_lo, exec_lo, s0
	s_delay_alu instid0(VALU_DEP_1) | instskip(SKIP_1) | instid1(VALU_DEP_1)
	v_lshlrev_b64 v[13:14], 2, v[13:14]
	s_mov_b32 s0, exec_lo
	v_add_co_u32 v13, vcc_lo, s12, v13
	s_delay_alu instid0(VALU_DEP_2)
	v_add_co_ci_u32_e32 v14, vcc_lo, s13, v14, vcc_lo
	global_store_b32 v[13:14], v6, off
                                        ; implicit-def: $vgpr13_vgpr14
	v_cmpx_ge_u32_e64 v25, v16
	s_xor_b32 s0, exec_lo, s0
; %bb.108:
	v_xor_b32_e32 v13, 0xfffff7ff, v0
	s_delay_alu instid0(VALU_DEP_1) | instskip(SKIP_1) | instid1(VALU_DEP_2)
	v_ashrrev_i32_e32 v14, 31, v13
	v_add_co_u32 v13, vcc_lo, v18, v13
	v_add_co_ci_u32_e32 v14, vcc_lo, v19, v14, vcc_lo
; %bb.109:
	s_and_not1_saveexec_b32 s0, s0
; %bb.110:
	v_add_co_u32 v13, vcc_lo, v15, v25
	v_add_co_ci_u32_e32 v14, vcc_lo, 0, v17, vcc_lo
; %bb.111:
	s_or_b32 exec_lo, exec_lo, s0
	s_delay_alu instid0(VALU_DEP_1) | instskip(SKIP_1) | instid1(VALU_DEP_1)
	v_lshlrev_b64 v[13:14], 2, v[13:14]
	s_mov_b32 s0, exec_lo
	v_add_co_u32 v13, vcc_lo, s12, v13
	s_delay_alu instid0(VALU_DEP_2)
	v_add_co_ci_u32_e32 v14, vcc_lo, s13, v14, vcc_lo
	s_waitcnt lgkmcnt(2)
	global_store_b32 v[13:14], v3, off
                                        ; implicit-def: $vgpr13_vgpr14
	v_cmpx_ge_u32_e64 v24, v16
	s_xor_b32 s0, exec_lo, s0
; %bb.112:
	v_xor_b32_e32 v13, 0xfffff6ff, v0
	s_delay_alu instid0(VALU_DEP_1) | instskip(SKIP_1) | instid1(VALU_DEP_2)
	v_ashrrev_i32_e32 v14, 31, v13
	v_add_co_u32 v13, vcc_lo, v18, v13
	v_add_co_ci_u32_e32 v14, vcc_lo, v19, v14, vcc_lo
; %bb.113:
	s_and_not1_saveexec_b32 s0, s0
; %bb.114:
	v_add_co_u32 v13, vcc_lo, v15, v24
	v_add_co_ci_u32_e32 v14, vcc_lo, 0, v17, vcc_lo
; %bb.115:
	s_or_b32 exec_lo, exec_lo, s0
	s_delay_alu instid0(VALU_DEP_1) | instskip(SKIP_1) | instid1(VALU_DEP_1)
	v_lshlrev_b64 v[13:14], 2, v[13:14]
	s_mov_b32 s0, exec_lo
	v_add_co_u32 v13, vcc_lo, s12, v13
	s_delay_alu instid0(VALU_DEP_2)
	v_add_co_ci_u32_e32 v14, vcc_lo, s13, v14, vcc_lo
	global_store_b32 v[13:14], v4, off
                                        ; implicit-def: $vgpr13_vgpr14
	v_cmpx_ge_u32_e64 v23, v16
	s_xor_b32 s0, exec_lo, s0
; %bb.116:
	v_xor_b32_e32 v13, 0xfffff5ff, v0
	s_delay_alu instid0(VALU_DEP_1) | instskip(SKIP_1) | instid1(VALU_DEP_2)
	v_ashrrev_i32_e32 v14, 31, v13
	v_add_co_u32 v13, vcc_lo, v18, v13
	v_add_co_ci_u32_e32 v14, vcc_lo, v19, v14, vcc_lo
; %bb.117:
	s_and_not1_saveexec_b32 s0, s0
; %bb.118:
	v_add_co_u32 v13, vcc_lo, v15, v23
	v_add_co_ci_u32_e32 v14, vcc_lo, 0, v17, vcc_lo
; %bb.119:
	s_or_b32 exec_lo, exec_lo, s0
	s_delay_alu instid0(VALU_DEP_1) | instskip(SKIP_1) | instid1(VALU_DEP_1)
	v_lshlrev_b64 v[13:14], 2, v[13:14]
	s_mov_b32 s0, exec_lo
	v_add_co_u32 v13, vcc_lo, s12, v13
	s_delay_alu instid0(VALU_DEP_2)
	v_add_co_ci_u32_e32 v14, vcc_lo, s13, v14, vcc_lo
	s_waitcnt lgkmcnt(1)
	global_store_b32 v[13:14], v1, off
                                        ; implicit-def: $vgpr13_vgpr14
	v_cmpx_ge_u32_e64 v22, v16
	s_xor_b32 s0, exec_lo, s0
; %bb.120:
	v_xor_b32_e32 v13, 0xfffff4ff, v0
	s_delay_alu instid0(VALU_DEP_1) | instskip(SKIP_1) | instid1(VALU_DEP_2)
	v_ashrrev_i32_e32 v14, 31, v13
	v_add_co_u32 v13, vcc_lo, v18, v13
	v_add_co_ci_u32_e32 v14, vcc_lo, v19, v14, vcc_lo
; %bb.121:
	s_and_not1_saveexec_b32 s0, s0
; %bb.122:
	v_add_co_u32 v13, vcc_lo, v15, v22
	v_add_co_ci_u32_e32 v14, vcc_lo, 0, v17, vcc_lo
; %bb.123:
	s_or_b32 exec_lo, exec_lo, s0
	s_delay_alu instid0(VALU_DEP_1) | instskip(SKIP_1) | instid1(VALU_DEP_1)
	v_lshlrev_b64 v[13:14], 2, v[13:14]
	s_mov_b32 s0, exec_lo
	v_add_co_u32 v13, vcc_lo, s12, v13
	s_delay_alu instid0(VALU_DEP_2)
	v_add_co_ci_u32_e32 v14, vcc_lo, s13, v14, vcc_lo
	global_store_b32 v[13:14], v2, off
                                        ; implicit-def: $vgpr13_vgpr14
	v_cmpx_ge_u32_e64 v21, v16
	s_xor_b32 s0, exec_lo, s0
; %bb.124:
	v_xor_b32_e32 v13, 0xfffff3ff, v0
	s_delay_alu instid0(VALU_DEP_1) | instskip(SKIP_1) | instid1(VALU_DEP_2)
	v_ashrrev_i32_e32 v14, 31, v13
	v_add_co_u32 v13, vcc_lo, v18, v13
	v_add_co_ci_u32_e32 v14, vcc_lo, v19, v14, vcc_lo
; %bb.125:
	s_and_not1_saveexec_b32 s0, s0
; %bb.126:
	v_add_co_u32 v13, vcc_lo, v15, v21
	v_add_co_ci_u32_e32 v14, vcc_lo, 0, v17, vcc_lo
; %bb.127:
	s_or_b32 exec_lo, exec_lo, s0
	s_mov_b32 s0, -1
.LBB495_128:
	s_delay_alu instid0(SALU_CYCLE_1)
	s_and_saveexec_b32 s1, s0
	s_cbranch_execz .LBB495_211
.LBB495_129:
	s_waitcnt lgkmcnt(1)
	v_lshlrev_b64 v[0:1], 2, v[13:14]
	s_delay_alu instid0(VALU_DEP_1) | instskip(NEXT) | instid1(VALU_DEP_2)
	v_add_co_u32 v0, vcc_lo, s12, v0
	v_add_co_ci_u32_e32 v1, vcc_lo, s13, v1, vcc_lo
	s_waitcnt lgkmcnt(0)
	global_store_b32 v[0:1], v20, off
	s_or_b32 exec_lo, exec_lo, s1
	s_and_b32 s0, s2, s10
	s_delay_alu instid0(SALU_CYCLE_1)
	s_and_saveexec_b32 s1, s0
	s_cbranch_execnz .LBB495_212
.LBB495_130:
	s_nop 0
	s_sendmsg sendmsg(MSG_DEALLOC_VGPRS)
	s_endpgm
.LBB495_131:
                                        ; implicit-def: $vgpr13_vgpr14
	s_cbranch_execz .LBB495_128
; %bb.132:
	s_mov_b32 s1, exec_lo
	v_cmpx_gt_u32_e64 s11, v0
	s_cbranch_execz .LBB495_168
; %bb.133:
	s_mov_b32 s3, exec_lo
                                        ; implicit-def: $vgpr13_vgpr14
	v_cmpx_ge_u32_e64 v0, v16
	s_xor_b32 s3, exec_lo, s3
; %bb.134:
	v_not_b32_e32 v13, v0
	s_delay_alu instid0(VALU_DEP_1) | instskip(SKIP_1) | instid1(VALU_DEP_2)
	v_ashrrev_i32_e32 v14, 31, v13
	v_add_co_u32 v13, vcc_lo, v18, v13
	v_add_co_ci_u32_e32 v14, vcc_lo, v19, v14, vcc_lo
; %bb.135:
	s_and_not1_saveexec_b32 s3, s3
; %bb.136:
	v_add_co_u32 v13, vcc_lo, v15, v0
	v_add_co_ci_u32_e32 v14, vcc_lo, 0, v17, vcc_lo
; %bb.137:
	s_or_b32 exec_lo, exec_lo, s3
	s_delay_alu instid0(VALU_DEP_1) | instskip(NEXT) | instid1(VALU_DEP_1)
	v_lshlrev_b64 v[13:14], 2, v[13:14]
	v_add_co_u32 v13, vcc_lo, s12, v13
	s_delay_alu instid0(VALU_DEP_2) | instskip(SKIP_3) | instid1(SALU_CYCLE_1)
	v_add_co_ci_u32_e32 v14, vcc_lo, s13, v14, vcc_lo
	s_waitcnt lgkmcnt(6)
	global_store_b32 v[13:14], v11, off
	s_or_b32 exec_lo, exec_lo, s1
	s_mov_b32 s1, exec_lo
	v_cmpx_gt_u32_e64 s11, v35
	s_cbranch_execnz .LBB495_169
.LBB495_138:
	s_or_b32 exec_lo, exec_lo, s1
	s_delay_alu instid0(SALU_CYCLE_1)
	s_mov_b32 s1, exec_lo
	v_cmpx_gt_u32_e64 s11, v31
	s_cbranch_execz .LBB495_174
.LBB495_139:
	s_mov_b32 s3, exec_lo
                                        ; implicit-def: $vgpr11_vgpr12
	v_cmpx_ge_u32_e64 v31, v16
	s_xor_b32 s3, exec_lo, s3
	s_cbranch_execz .LBB495_141
; %bb.140:
	s_waitcnt lgkmcnt(6)
	v_xor_b32_e32 v11, 0xfffffdff, v0
                                        ; implicit-def: $vgpr31
	s_delay_alu instid0(VALU_DEP_1) | instskip(SKIP_1) | instid1(VALU_DEP_2)
	v_ashrrev_i32_e32 v12, 31, v11
	v_add_co_u32 v11, vcc_lo, v18, v11
	v_add_co_ci_u32_e32 v12, vcc_lo, v19, v12, vcc_lo
.LBB495_141:
	s_and_not1_saveexec_b32 s3, s3
	s_cbranch_execz .LBB495_143
; %bb.142:
	s_waitcnt lgkmcnt(6)
	v_add_co_u32 v11, vcc_lo, v15, v31
	v_add_co_ci_u32_e32 v12, vcc_lo, 0, v17, vcc_lo
.LBB495_143:
	s_or_b32 exec_lo, exec_lo, s3
	s_waitcnt lgkmcnt(6)
	s_delay_alu instid0(VALU_DEP_1) | instskip(NEXT) | instid1(VALU_DEP_1)
	v_lshlrev_b64 v[11:12], 2, v[11:12]
	v_add_co_u32 v11, vcc_lo, s12, v11
	s_delay_alu instid0(VALU_DEP_2) | instskip(SKIP_3) | instid1(SALU_CYCLE_1)
	v_add_co_ci_u32_e32 v12, vcc_lo, s13, v12, vcc_lo
	s_waitcnt lgkmcnt(5)
	global_store_b32 v[11:12], v9, off
	s_or_b32 exec_lo, exec_lo, s1
	s_mov_b32 s1, exec_lo
	v_cmpx_gt_u32_e64 s11, v30
	s_cbranch_execnz .LBB495_175
.LBB495_144:
	s_or_b32 exec_lo, exec_lo, s1
	s_delay_alu instid0(SALU_CYCLE_1)
	s_mov_b32 s1, exec_lo
	v_cmpx_gt_u32_e64 s11, v29
	s_cbranch_execz .LBB495_180
.LBB495_145:
	s_mov_b32 s3, exec_lo
                                        ; implicit-def: $vgpr9_vgpr10
	v_cmpx_ge_u32_e64 v29, v16
	s_xor_b32 s3, exec_lo, s3
	s_cbranch_execz .LBB495_147
; %bb.146:
	s_waitcnt lgkmcnt(5)
	v_xor_b32_e32 v9, 0xfffffbff, v0
                                        ; implicit-def: $vgpr29
	s_delay_alu instid0(VALU_DEP_1) | instskip(SKIP_1) | instid1(VALU_DEP_2)
	v_ashrrev_i32_e32 v10, 31, v9
	v_add_co_u32 v9, vcc_lo, v18, v9
	v_add_co_ci_u32_e32 v10, vcc_lo, v19, v10, vcc_lo
.LBB495_147:
	s_and_not1_saveexec_b32 s3, s3
	s_cbranch_execz .LBB495_149
; %bb.148:
	s_waitcnt lgkmcnt(5)
	v_add_co_u32 v9, vcc_lo, v15, v29
	v_add_co_ci_u32_e32 v10, vcc_lo, 0, v17, vcc_lo
.LBB495_149:
	s_or_b32 exec_lo, exec_lo, s3
	s_waitcnt lgkmcnt(5)
	s_delay_alu instid0(VALU_DEP_1) | instskip(NEXT) | instid1(VALU_DEP_1)
	v_lshlrev_b64 v[9:10], 2, v[9:10]
	v_add_co_u32 v9, vcc_lo, s12, v9
	s_delay_alu instid0(VALU_DEP_2) | instskip(SKIP_3) | instid1(SALU_CYCLE_1)
	v_add_co_ci_u32_e32 v10, vcc_lo, s13, v10, vcc_lo
	s_waitcnt lgkmcnt(4)
	global_store_b32 v[9:10], v7, off
	s_or_b32 exec_lo, exec_lo, s1
	s_mov_b32 s1, exec_lo
	v_cmpx_gt_u32_e64 s11, v28
	s_cbranch_execnz .LBB495_181
.LBB495_150:
	s_or_b32 exec_lo, exec_lo, s1
	s_delay_alu instid0(SALU_CYCLE_1)
	s_mov_b32 s1, exec_lo
	v_cmpx_gt_u32_e64 s11, v27
	s_cbranch_execz .LBB495_186
.LBB495_151:
	s_mov_b32 s3, exec_lo
                                        ; implicit-def: $vgpr7_vgpr8
	v_cmpx_ge_u32_e64 v27, v16
	s_xor_b32 s3, exec_lo, s3
	s_cbranch_execz .LBB495_153
; %bb.152:
	s_waitcnt lgkmcnt(4)
	v_xor_b32_e32 v7, 0xfffff9ff, v0
                                        ; implicit-def: $vgpr27
	s_delay_alu instid0(VALU_DEP_1) | instskip(SKIP_1) | instid1(VALU_DEP_2)
	v_ashrrev_i32_e32 v8, 31, v7
	v_add_co_u32 v7, vcc_lo, v18, v7
	v_add_co_ci_u32_e32 v8, vcc_lo, v19, v8, vcc_lo
.LBB495_153:
	s_and_not1_saveexec_b32 s3, s3
	s_cbranch_execz .LBB495_155
; %bb.154:
	s_waitcnt lgkmcnt(4)
	v_add_co_u32 v7, vcc_lo, v15, v27
	v_add_co_ci_u32_e32 v8, vcc_lo, 0, v17, vcc_lo
.LBB495_155:
	s_or_b32 exec_lo, exec_lo, s3
	s_waitcnt lgkmcnt(4)
	s_delay_alu instid0(VALU_DEP_1) | instskip(NEXT) | instid1(VALU_DEP_1)
	v_lshlrev_b64 v[7:8], 2, v[7:8]
	v_add_co_u32 v7, vcc_lo, s12, v7
	s_delay_alu instid0(VALU_DEP_2) | instskip(SKIP_3) | instid1(SALU_CYCLE_1)
	v_add_co_ci_u32_e32 v8, vcc_lo, s13, v8, vcc_lo
	s_waitcnt lgkmcnt(3)
	global_store_b32 v[7:8], v5, off
	s_or_b32 exec_lo, exec_lo, s1
	s_mov_b32 s1, exec_lo
	v_cmpx_gt_u32_e64 s11, v26
	s_cbranch_execnz .LBB495_187
.LBB495_156:
	s_or_b32 exec_lo, exec_lo, s1
	s_delay_alu instid0(SALU_CYCLE_1)
	s_mov_b32 s1, exec_lo
	v_cmpx_gt_u32_e64 s11, v25
	s_cbranch_execz .LBB495_192
.LBB495_157:
	s_mov_b32 s3, exec_lo
                                        ; implicit-def: $vgpr5_vgpr6
	v_cmpx_ge_u32_e64 v25, v16
	s_xor_b32 s3, exec_lo, s3
	s_cbranch_execz .LBB495_159
; %bb.158:
	s_waitcnt lgkmcnt(3)
	v_xor_b32_e32 v5, 0xfffff7ff, v0
                                        ; implicit-def: $vgpr25
	s_delay_alu instid0(VALU_DEP_1) | instskip(SKIP_1) | instid1(VALU_DEP_2)
	v_ashrrev_i32_e32 v6, 31, v5
	v_add_co_u32 v5, vcc_lo, v18, v5
	v_add_co_ci_u32_e32 v6, vcc_lo, v19, v6, vcc_lo
.LBB495_159:
	s_and_not1_saveexec_b32 s3, s3
	s_cbranch_execz .LBB495_161
; %bb.160:
	s_waitcnt lgkmcnt(3)
	v_add_co_u32 v5, vcc_lo, v15, v25
	v_add_co_ci_u32_e32 v6, vcc_lo, 0, v17, vcc_lo
.LBB495_161:
	s_or_b32 exec_lo, exec_lo, s3
	s_waitcnt lgkmcnt(3)
	s_delay_alu instid0(VALU_DEP_1) | instskip(NEXT) | instid1(VALU_DEP_1)
	v_lshlrev_b64 v[5:6], 2, v[5:6]
	v_add_co_u32 v5, vcc_lo, s12, v5
	s_delay_alu instid0(VALU_DEP_2) | instskip(SKIP_3) | instid1(SALU_CYCLE_1)
	v_add_co_ci_u32_e32 v6, vcc_lo, s13, v6, vcc_lo
	s_waitcnt lgkmcnt(2)
	global_store_b32 v[5:6], v3, off
	s_or_b32 exec_lo, exec_lo, s1
	s_mov_b32 s1, exec_lo
	v_cmpx_gt_u32_e64 s11, v24
	s_cbranch_execnz .LBB495_193
.LBB495_162:
	s_or_b32 exec_lo, exec_lo, s1
	s_delay_alu instid0(SALU_CYCLE_1)
	s_mov_b32 s1, exec_lo
	v_cmpx_gt_u32_e64 s11, v23
	s_cbranch_execz .LBB495_198
.LBB495_163:
	s_mov_b32 s3, exec_lo
                                        ; implicit-def: $vgpr3_vgpr4
	v_cmpx_ge_u32_e64 v23, v16
	s_xor_b32 s3, exec_lo, s3
	s_cbranch_execz .LBB495_165
; %bb.164:
	s_waitcnt lgkmcnt(2)
	v_xor_b32_e32 v3, 0xfffff5ff, v0
                                        ; implicit-def: $vgpr23
	s_delay_alu instid0(VALU_DEP_1) | instskip(SKIP_1) | instid1(VALU_DEP_2)
	v_ashrrev_i32_e32 v4, 31, v3
	v_add_co_u32 v3, vcc_lo, v18, v3
	v_add_co_ci_u32_e32 v4, vcc_lo, v19, v4, vcc_lo
.LBB495_165:
	s_and_not1_saveexec_b32 s3, s3
	s_cbranch_execz .LBB495_167
; %bb.166:
	s_waitcnt lgkmcnt(2)
	v_add_co_u32 v3, vcc_lo, v15, v23
	v_add_co_ci_u32_e32 v4, vcc_lo, 0, v17, vcc_lo
.LBB495_167:
	s_or_b32 exec_lo, exec_lo, s3
	s_waitcnt lgkmcnt(2)
	s_delay_alu instid0(VALU_DEP_1) | instskip(NEXT) | instid1(VALU_DEP_1)
	v_lshlrev_b64 v[3:4], 2, v[3:4]
	v_add_co_u32 v3, vcc_lo, s12, v3
	s_delay_alu instid0(VALU_DEP_2) | instskip(SKIP_3) | instid1(SALU_CYCLE_1)
	v_add_co_ci_u32_e32 v4, vcc_lo, s13, v4, vcc_lo
	s_waitcnt lgkmcnt(1)
	global_store_b32 v[3:4], v1, off
	s_or_b32 exec_lo, exec_lo, s1
	s_mov_b32 s1, exec_lo
	v_cmpx_gt_u32_e64 s11, v22
	s_cbranch_execz .LBB495_204
	s_branch .LBB495_199
.LBB495_168:
	s_or_b32 exec_lo, exec_lo, s1
	s_delay_alu instid0(SALU_CYCLE_1)
	s_mov_b32 s1, exec_lo
	v_cmpx_gt_u32_e64 s11, v35
	s_cbranch_execz .LBB495_138
.LBB495_169:
	s_mov_b32 s3, exec_lo
                                        ; implicit-def: $vgpr13_vgpr14
	v_cmpx_ge_u32_e64 v35, v16
	s_xor_b32 s3, exec_lo, s3
	s_cbranch_execz .LBB495_171
; %bb.170:
	s_waitcnt lgkmcnt(6)
	v_xor_b32_e32 v11, 0xfffffeff, v0
                                        ; implicit-def: $vgpr35
	s_delay_alu instid0(VALU_DEP_1) | instskip(SKIP_1) | instid1(VALU_DEP_2)
	v_ashrrev_i32_e32 v14, 31, v11
	v_add_co_u32 v13, vcc_lo, v18, v11
	v_add_co_ci_u32_e32 v14, vcc_lo, v19, v14, vcc_lo
.LBB495_171:
	s_and_not1_saveexec_b32 s3, s3
; %bb.172:
	v_add_co_u32 v13, vcc_lo, v15, v35
	v_add_co_ci_u32_e32 v14, vcc_lo, 0, v17, vcc_lo
; %bb.173:
	s_or_b32 exec_lo, exec_lo, s3
	s_delay_alu instid0(VALU_DEP_1) | instskip(NEXT) | instid1(VALU_DEP_1)
	v_lshlrev_b64 v[13:14], 2, v[13:14]
	v_add_co_u32 v13, vcc_lo, s12, v13
	s_delay_alu instid0(VALU_DEP_2) | instskip(SKIP_3) | instid1(SALU_CYCLE_1)
	v_add_co_ci_u32_e32 v14, vcc_lo, s13, v14, vcc_lo
	s_waitcnt lgkmcnt(6)
	global_store_b32 v[13:14], v12, off
	s_or_b32 exec_lo, exec_lo, s1
	s_mov_b32 s1, exec_lo
	v_cmpx_gt_u32_e64 s11, v31
	s_cbranch_execnz .LBB495_139
.LBB495_174:
	s_or_b32 exec_lo, exec_lo, s1
	s_delay_alu instid0(SALU_CYCLE_1)
	s_mov_b32 s1, exec_lo
	v_cmpx_gt_u32_e64 s11, v30
	s_cbranch_execz .LBB495_144
.LBB495_175:
	s_mov_b32 s3, exec_lo
                                        ; implicit-def: $vgpr11_vgpr12
	v_cmpx_ge_u32_e64 v30, v16
	s_xor_b32 s3, exec_lo, s3
	s_cbranch_execz .LBB495_177
; %bb.176:
	s_waitcnt lgkmcnt(5)
	v_xor_b32_e32 v9, 0xfffffcff, v0
                                        ; implicit-def: $vgpr30
	s_delay_alu instid0(VALU_DEP_1) | instskip(SKIP_1) | instid1(VALU_DEP_2)
	v_ashrrev_i32_e32 v12, 31, v9
	v_add_co_u32 v11, vcc_lo, v18, v9
	v_add_co_ci_u32_e32 v12, vcc_lo, v19, v12, vcc_lo
.LBB495_177:
	s_and_not1_saveexec_b32 s3, s3
	s_cbranch_execz .LBB495_179
; %bb.178:
	s_waitcnt lgkmcnt(6)
	v_add_co_u32 v11, vcc_lo, v15, v30
	v_add_co_ci_u32_e32 v12, vcc_lo, 0, v17, vcc_lo
.LBB495_179:
	s_or_b32 exec_lo, exec_lo, s3
	s_waitcnt lgkmcnt(6)
	s_delay_alu instid0(VALU_DEP_1) | instskip(NEXT) | instid1(VALU_DEP_1)
	v_lshlrev_b64 v[11:12], 2, v[11:12]
	v_add_co_u32 v11, vcc_lo, s12, v11
	s_delay_alu instid0(VALU_DEP_2) | instskip(SKIP_3) | instid1(SALU_CYCLE_1)
	v_add_co_ci_u32_e32 v12, vcc_lo, s13, v12, vcc_lo
	s_waitcnt lgkmcnt(5)
	global_store_b32 v[11:12], v10, off
	s_or_b32 exec_lo, exec_lo, s1
	s_mov_b32 s1, exec_lo
	v_cmpx_gt_u32_e64 s11, v29
	s_cbranch_execnz .LBB495_145
.LBB495_180:
	s_or_b32 exec_lo, exec_lo, s1
	s_delay_alu instid0(SALU_CYCLE_1)
	s_mov_b32 s1, exec_lo
	v_cmpx_gt_u32_e64 s11, v28
	s_cbranch_execz .LBB495_150
.LBB495_181:
	s_mov_b32 s3, exec_lo
                                        ; implicit-def: $vgpr9_vgpr10
	v_cmpx_ge_u32_e64 v28, v16
	s_xor_b32 s3, exec_lo, s3
	s_cbranch_execz .LBB495_183
; %bb.182:
	s_waitcnt lgkmcnt(4)
	v_xor_b32_e32 v7, 0xfffffaff, v0
                                        ; implicit-def: $vgpr28
	s_delay_alu instid0(VALU_DEP_1) | instskip(SKIP_1) | instid1(VALU_DEP_2)
	v_ashrrev_i32_e32 v10, 31, v7
	v_add_co_u32 v9, vcc_lo, v18, v7
	v_add_co_ci_u32_e32 v10, vcc_lo, v19, v10, vcc_lo
.LBB495_183:
	s_and_not1_saveexec_b32 s3, s3
	s_cbranch_execz .LBB495_185
; %bb.184:
	s_waitcnt lgkmcnt(5)
	v_add_co_u32 v9, vcc_lo, v15, v28
	v_add_co_ci_u32_e32 v10, vcc_lo, 0, v17, vcc_lo
.LBB495_185:
	s_or_b32 exec_lo, exec_lo, s3
	s_waitcnt lgkmcnt(5)
	s_delay_alu instid0(VALU_DEP_1) | instskip(NEXT) | instid1(VALU_DEP_1)
	v_lshlrev_b64 v[9:10], 2, v[9:10]
	v_add_co_u32 v9, vcc_lo, s12, v9
	s_delay_alu instid0(VALU_DEP_2) | instskip(SKIP_3) | instid1(SALU_CYCLE_1)
	v_add_co_ci_u32_e32 v10, vcc_lo, s13, v10, vcc_lo
	s_waitcnt lgkmcnt(4)
	global_store_b32 v[9:10], v8, off
	s_or_b32 exec_lo, exec_lo, s1
	s_mov_b32 s1, exec_lo
	v_cmpx_gt_u32_e64 s11, v27
	s_cbranch_execnz .LBB495_151
.LBB495_186:
	s_or_b32 exec_lo, exec_lo, s1
	s_delay_alu instid0(SALU_CYCLE_1)
	s_mov_b32 s1, exec_lo
	v_cmpx_gt_u32_e64 s11, v26
	s_cbranch_execz .LBB495_156
.LBB495_187:
	s_mov_b32 s3, exec_lo
                                        ; implicit-def: $vgpr7_vgpr8
	v_cmpx_ge_u32_e64 v26, v16
	s_xor_b32 s3, exec_lo, s3
	s_cbranch_execz .LBB495_189
; %bb.188:
	s_waitcnt lgkmcnt(3)
	v_xor_b32_e32 v5, 0xfffff8ff, v0
                                        ; implicit-def: $vgpr26
	s_delay_alu instid0(VALU_DEP_1) | instskip(SKIP_1) | instid1(VALU_DEP_2)
	v_ashrrev_i32_e32 v8, 31, v5
	v_add_co_u32 v7, vcc_lo, v18, v5
	v_add_co_ci_u32_e32 v8, vcc_lo, v19, v8, vcc_lo
.LBB495_189:
	s_and_not1_saveexec_b32 s3, s3
	s_cbranch_execz .LBB495_191
; %bb.190:
	s_waitcnt lgkmcnt(4)
	v_add_co_u32 v7, vcc_lo, v15, v26
	v_add_co_ci_u32_e32 v8, vcc_lo, 0, v17, vcc_lo
.LBB495_191:
	s_or_b32 exec_lo, exec_lo, s3
	s_waitcnt lgkmcnt(4)
	s_delay_alu instid0(VALU_DEP_1) | instskip(NEXT) | instid1(VALU_DEP_1)
	v_lshlrev_b64 v[7:8], 2, v[7:8]
	v_add_co_u32 v7, vcc_lo, s12, v7
	s_delay_alu instid0(VALU_DEP_2) | instskip(SKIP_3) | instid1(SALU_CYCLE_1)
	v_add_co_ci_u32_e32 v8, vcc_lo, s13, v8, vcc_lo
	s_waitcnt lgkmcnt(3)
	global_store_b32 v[7:8], v6, off
	s_or_b32 exec_lo, exec_lo, s1
	s_mov_b32 s1, exec_lo
	v_cmpx_gt_u32_e64 s11, v25
	s_cbranch_execnz .LBB495_157
.LBB495_192:
	s_or_b32 exec_lo, exec_lo, s1
	s_delay_alu instid0(SALU_CYCLE_1)
	s_mov_b32 s1, exec_lo
	v_cmpx_gt_u32_e64 s11, v24
	s_cbranch_execz .LBB495_162
.LBB495_193:
	s_mov_b32 s3, exec_lo
                                        ; implicit-def: $vgpr5_vgpr6
	v_cmpx_ge_u32_e64 v24, v16
	s_xor_b32 s3, exec_lo, s3
	s_cbranch_execz .LBB495_195
; %bb.194:
	s_waitcnt lgkmcnt(2)
	v_xor_b32_e32 v3, 0xfffff6ff, v0
                                        ; implicit-def: $vgpr24
	s_delay_alu instid0(VALU_DEP_1) | instskip(SKIP_1) | instid1(VALU_DEP_2)
	v_ashrrev_i32_e32 v6, 31, v3
	v_add_co_u32 v5, vcc_lo, v18, v3
	v_add_co_ci_u32_e32 v6, vcc_lo, v19, v6, vcc_lo
.LBB495_195:
	s_and_not1_saveexec_b32 s3, s3
	s_cbranch_execz .LBB495_197
; %bb.196:
	s_waitcnt lgkmcnt(3)
	v_add_co_u32 v5, vcc_lo, v15, v24
	v_add_co_ci_u32_e32 v6, vcc_lo, 0, v17, vcc_lo
.LBB495_197:
	s_or_b32 exec_lo, exec_lo, s3
	s_waitcnt lgkmcnt(3)
	s_delay_alu instid0(VALU_DEP_1) | instskip(NEXT) | instid1(VALU_DEP_1)
	v_lshlrev_b64 v[5:6], 2, v[5:6]
	v_add_co_u32 v5, vcc_lo, s12, v5
	s_delay_alu instid0(VALU_DEP_2) | instskip(SKIP_3) | instid1(SALU_CYCLE_1)
	v_add_co_ci_u32_e32 v6, vcc_lo, s13, v6, vcc_lo
	s_waitcnt lgkmcnt(2)
	global_store_b32 v[5:6], v4, off
	s_or_b32 exec_lo, exec_lo, s1
	s_mov_b32 s1, exec_lo
	v_cmpx_gt_u32_e64 s11, v23
	s_cbranch_execnz .LBB495_163
.LBB495_198:
	s_or_b32 exec_lo, exec_lo, s1
	s_delay_alu instid0(SALU_CYCLE_1)
	s_mov_b32 s1, exec_lo
	v_cmpx_gt_u32_e64 s11, v22
	s_cbranch_execz .LBB495_204
.LBB495_199:
	s_mov_b32 s3, exec_lo
                                        ; implicit-def: $vgpr3_vgpr4
	v_cmpx_ge_u32_e64 v22, v16
	s_xor_b32 s3, exec_lo, s3
	s_cbranch_execz .LBB495_201
; %bb.200:
	s_waitcnt lgkmcnt(1)
	v_xor_b32_e32 v1, 0xfffff4ff, v0
                                        ; implicit-def: $vgpr22
	s_delay_alu instid0(VALU_DEP_1) | instskip(SKIP_1) | instid1(VALU_DEP_2)
	v_ashrrev_i32_e32 v4, 31, v1
	v_add_co_u32 v3, vcc_lo, v18, v1
	v_add_co_ci_u32_e32 v4, vcc_lo, v19, v4, vcc_lo
.LBB495_201:
	s_and_not1_saveexec_b32 s3, s3
	s_cbranch_execz .LBB495_203
; %bb.202:
	s_waitcnt lgkmcnt(2)
	v_add_co_u32 v3, vcc_lo, v15, v22
	v_add_co_ci_u32_e32 v4, vcc_lo, 0, v17, vcc_lo
.LBB495_203:
	s_or_b32 exec_lo, exec_lo, s3
	s_waitcnt lgkmcnt(2)
	s_delay_alu instid0(VALU_DEP_1) | instskip(NEXT) | instid1(VALU_DEP_1)
	v_lshlrev_b64 v[3:4], 2, v[3:4]
	v_add_co_u32 v3, vcc_lo, s12, v3
	s_delay_alu instid0(VALU_DEP_2)
	v_add_co_ci_u32_e32 v4, vcc_lo, s13, v4, vcc_lo
	s_waitcnt lgkmcnt(1)
	global_store_b32 v[3:4], v2, off
.LBB495_204:
	s_or_b32 exec_lo, exec_lo, s1
	s_delay_alu instid0(SALU_CYCLE_1)
	s_mov_b32 s1, exec_lo
                                        ; implicit-def: $vgpr13_vgpr14
	v_cmpx_gt_u32_e64 s11, v21
	s_cbranch_execz .LBB495_210
; %bb.205:
	s_mov_b32 s3, exec_lo
                                        ; implicit-def: $vgpr13_vgpr14
	v_cmpx_ge_u32_e64 v21, v16
	s_xor_b32 s3, exec_lo, s3
	s_cbranch_execz .LBB495_207
; %bb.206:
	v_xor_b32_e32 v0, 0xfffff3ff, v0
                                        ; implicit-def: $vgpr21
	s_waitcnt lgkmcnt(1)
	s_delay_alu instid0(VALU_DEP_1) | instskip(SKIP_1) | instid1(VALU_DEP_2)
	v_ashrrev_i32_e32 v1, 31, v0
	v_add_co_u32 v13, vcc_lo, v18, v0
	v_add_co_ci_u32_e32 v14, vcc_lo, v19, v1, vcc_lo
.LBB495_207:
	s_and_not1_saveexec_b32 s3, s3
; %bb.208:
	v_add_co_u32 v13, vcc_lo, v15, v21
	v_add_co_ci_u32_e32 v14, vcc_lo, 0, v17, vcc_lo
; %bb.209:
	s_or_b32 exec_lo, exec_lo, s3
	s_delay_alu instid0(SALU_CYCLE_1)
	s_or_b32 s0, s0, exec_lo
.LBB495_210:
	s_or_b32 exec_lo, exec_lo, s1
	s_and_saveexec_b32 s1, s0
	s_cbranch_execnz .LBB495_129
.LBB495_211:
	s_or_b32 exec_lo, exec_lo, s1
	s_and_b32 s0, s2, s10
	s_delay_alu instid0(SALU_CYCLE_1)
	s_and_saveexec_b32 s1, s0
	s_cbranch_execz .LBB495_130
.LBB495_212:
	v_add_co_u32 v0, vcc_lo, v15, v16
	s_waitcnt lgkmcnt(1)
	v_mov_b32_e32 v2, 0
	v_add_co_ci_u32_e32 v1, vcc_lo, 0, v17, vcc_lo
	global_store_b64 v2, v[0:1], s[8:9]
	s_nop 0
	s_sendmsg sendmsg(MSG_DEALLOC_VGPRS)
	s_endpgm
	.section	.rodata,"a",@progbits
	.p2align	6, 0x0
	.amdhsa_kernel _ZN7rocprim17ROCPRIM_400000_NS6detail17trampoline_kernelINS0_13select_configILj256ELj13ELNS0_17block_load_methodE3ELS4_3ELS4_3ELNS0_20block_scan_algorithmE0ELj4294967295EEENS1_25partition_config_selectorILNS1_17partition_subalgoE3EjNS0_10empty_typeEbEEZZNS1_14partition_implILS8_3ELb0ES6_jNS0_17counting_iteratorIjlEEPS9_SE_NS0_5tupleIJPjSE_EEENSF_IJSE_SE_EEES9_SG_JZNS1_25segmented_radix_sort_implINS0_14default_configELb1EPKiPiPKlPlN2at6native12_GLOBAL__N_18offset_tEEE10hipError_tPvRmT1_PNSt15iterator_traitsISY_E10value_typeET2_T3_PNSZ_IS14_E10value_typeET4_jRbjT5_S1A_jjP12ihipStream_tbEUljE_EEESV_SW_SX_S14_S18_S1A_T6_T7_T9_mT8_S1C_bDpT10_ENKUlT_T0_E_clISt17integral_constantIbLb0EES1O_IbLb1EEEEDaS1K_S1L_EUlS1K_E_NS1_11comp_targetILNS1_3genE9ELNS1_11target_archE1100ELNS1_3gpuE3ELNS1_3repE0EEENS1_30default_config_static_selectorELNS0_4arch9wavefront6targetE0EEEvSY_
		.amdhsa_group_segment_fixed_size 13324
		.amdhsa_private_segment_fixed_size 0
		.amdhsa_kernarg_size 152
		.amdhsa_user_sgpr_count 15
		.amdhsa_user_sgpr_dispatch_ptr 0
		.amdhsa_user_sgpr_queue_ptr 0
		.amdhsa_user_sgpr_kernarg_segment_ptr 1
		.amdhsa_user_sgpr_dispatch_id 0
		.amdhsa_user_sgpr_private_segment_size 0
		.amdhsa_wavefront_size32 1
		.amdhsa_uses_dynamic_stack 0
		.amdhsa_enable_private_segment 0
		.amdhsa_system_sgpr_workgroup_id_x 1
		.amdhsa_system_sgpr_workgroup_id_y 0
		.amdhsa_system_sgpr_workgroup_id_z 0
		.amdhsa_system_sgpr_workgroup_info 0
		.amdhsa_system_vgpr_workitem_id 0
		.amdhsa_next_free_vgpr 60
		.amdhsa_next_free_sgpr 26
		.amdhsa_reserve_vcc 1
		.amdhsa_float_round_mode_32 0
		.amdhsa_float_round_mode_16_64 0
		.amdhsa_float_denorm_mode_32 3
		.amdhsa_float_denorm_mode_16_64 3
		.amdhsa_dx10_clamp 1
		.amdhsa_ieee_mode 1
		.amdhsa_fp16_overflow 0
		.amdhsa_workgroup_processor_mode 1
		.amdhsa_memory_ordered 1
		.amdhsa_forward_progress 0
		.amdhsa_shared_vgpr_count 0
		.amdhsa_exception_fp_ieee_invalid_op 0
		.amdhsa_exception_fp_denorm_src 0
		.amdhsa_exception_fp_ieee_div_zero 0
		.amdhsa_exception_fp_ieee_overflow 0
		.amdhsa_exception_fp_ieee_underflow 0
		.amdhsa_exception_fp_ieee_inexact 0
		.amdhsa_exception_int_div_zero 0
	.end_amdhsa_kernel
	.section	.text._ZN7rocprim17ROCPRIM_400000_NS6detail17trampoline_kernelINS0_13select_configILj256ELj13ELNS0_17block_load_methodE3ELS4_3ELS4_3ELNS0_20block_scan_algorithmE0ELj4294967295EEENS1_25partition_config_selectorILNS1_17partition_subalgoE3EjNS0_10empty_typeEbEEZZNS1_14partition_implILS8_3ELb0ES6_jNS0_17counting_iteratorIjlEEPS9_SE_NS0_5tupleIJPjSE_EEENSF_IJSE_SE_EEES9_SG_JZNS1_25segmented_radix_sort_implINS0_14default_configELb1EPKiPiPKlPlN2at6native12_GLOBAL__N_18offset_tEEE10hipError_tPvRmT1_PNSt15iterator_traitsISY_E10value_typeET2_T3_PNSZ_IS14_E10value_typeET4_jRbjT5_S1A_jjP12ihipStream_tbEUljE_EEESV_SW_SX_S14_S18_S1A_T6_T7_T9_mT8_S1C_bDpT10_ENKUlT_T0_E_clISt17integral_constantIbLb0EES1O_IbLb1EEEEDaS1K_S1L_EUlS1K_E_NS1_11comp_targetILNS1_3genE9ELNS1_11target_archE1100ELNS1_3gpuE3ELNS1_3repE0EEENS1_30default_config_static_selectorELNS0_4arch9wavefront6targetE0EEEvSY_,"axG",@progbits,_ZN7rocprim17ROCPRIM_400000_NS6detail17trampoline_kernelINS0_13select_configILj256ELj13ELNS0_17block_load_methodE3ELS4_3ELS4_3ELNS0_20block_scan_algorithmE0ELj4294967295EEENS1_25partition_config_selectorILNS1_17partition_subalgoE3EjNS0_10empty_typeEbEEZZNS1_14partition_implILS8_3ELb0ES6_jNS0_17counting_iteratorIjlEEPS9_SE_NS0_5tupleIJPjSE_EEENSF_IJSE_SE_EEES9_SG_JZNS1_25segmented_radix_sort_implINS0_14default_configELb1EPKiPiPKlPlN2at6native12_GLOBAL__N_18offset_tEEE10hipError_tPvRmT1_PNSt15iterator_traitsISY_E10value_typeET2_T3_PNSZ_IS14_E10value_typeET4_jRbjT5_S1A_jjP12ihipStream_tbEUljE_EEESV_SW_SX_S14_S18_S1A_T6_T7_T9_mT8_S1C_bDpT10_ENKUlT_T0_E_clISt17integral_constantIbLb0EES1O_IbLb1EEEEDaS1K_S1L_EUlS1K_E_NS1_11comp_targetILNS1_3genE9ELNS1_11target_archE1100ELNS1_3gpuE3ELNS1_3repE0EEENS1_30default_config_static_selectorELNS0_4arch9wavefront6targetE0EEEvSY_,comdat
.Lfunc_end495:
	.size	_ZN7rocprim17ROCPRIM_400000_NS6detail17trampoline_kernelINS0_13select_configILj256ELj13ELNS0_17block_load_methodE3ELS4_3ELS4_3ELNS0_20block_scan_algorithmE0ELj4294967295EEENS1_25partition_config_selectorILNS1_17partition_subalgoE3EjNS0_10empty_typeEbEEZZNS1_14partition_implILS8_3ELb0ES6_jNS0_17counting_iteratorIjlEEPS9_SE_NS0_5tupleIJPjSE_EEENSF_IJSE_SE_EEES9_SG_JZNS1_25segmented_radix_sort_implINS0_14default_configELb1EPKiPiPKlPlN2at6native12_GLOBAL__N_18offset_tEEE10hipError_tPvRmT1_PNSt15iterator_traitsISY_E10value_typeET2_T3_PNSZ_IS14_E10value_typeET4_jRbjT5_S1A_jjP12ihipStream_tbEUljE_EEESV_SW_SX_S14_S18_S1A_T6_T7_T9_mT8_S1C_bDpT10_ENKUlT_T0_E_clISt17integral_constantIbLb0EES1O_IbLb1EEEEDaS1K_S1L_EUlS1K_E_NS1_11comp_targetILNS1_3genE9ELNS1_11target_archE1100ELNS1_3gpuE3ELNS1_3repE0EEENS1_30default_config_static_selectorELNS0_4arch9wavefront6targetE0EEEvSY_, .Lfunc_end495-_ZN7rocprim17ROCPRIM_400000_NS6detail17trampoline_kernelINS0_13select_configILj256ELj13ELNS0_17block_load_methodE3ELS4_3ELS4_3ELNS0_20block_scan_algorithmE0ELj4294967295EEENS1_25partition_config_selectorILNS1_17partition_subalgoE3EjNS0_10empty_typeEbEEZZNS1_14partition_implILS8_3ELb0ES6_jNS0_17counting_iteratorIjlEEPS9_SE_NS0_5tupleIJPjSE_EEENSF_IJSE_SE_EEES9_SG_JZNS1_25segmented_radix_sort_implINS0_14default_configELb1EPKiPiPKlPlN2at6native12_GLOBAL__N_18offset_tEEE10hipError_tPvRmT1_PNSt15iterator_traitsISY_E10value_typeET2_T3_PNSZ_IS14_E10value_typeET4_jRbjT5_S1A_jjP12ihipStream_tbEUljE_EEESV_SW_SX_S14_S18_S1A_T6_T7_T9_mT8_S1C_bDpT10_ENKUlT_T0_E_clISt17integral_constantIbLb0EES1O_IbLb1EEEEDaS1K_S1L_EUlS1K_E_NS1_11comp_targetILNS1_3genE9ELNS1_11target_archE1100ELNS1_3gpuE3ELNS1_3repE0EEENS1_30default_config_static_selectorELNS0_4arch9wavefront6targetE0EEEvSY_
                                        ; -- End function
	.section	.AMDGPU.csdata,"",@progbits
; Kernel info:
; codeLenInByte = 9040
; NumSgprs: 28
; NumVgprs: 60
; ScratchSize: 0
; MemoryBound: 0
; FloatMode: 240
; IeeeMode: 1
; LDSByteSize: 13324 bytes/workgroup (compile time only)
; SGPRBlocks: 3
; VGPRBlocks: 7
; NumSGPRsForWavesPerEU: 28
; NumVGPRsForWavesPerEU: 60
; Occupancy: 16
; WaveLimiterHint : 0
; COMPUTE_PGM_RSRC2:SCRATCH_EN: 0
; COMPUTE_PGM_RSRC2:USER_SGPR: 15
; COMPUTE_PGM_RSRC2:TRAP_HANDLER: 0
; COMPUTE_PGM_RSRC2:TGID_X_EN: 1
; COMPUTE_PGM_RSRC2:TGID_Y_EN: 0
; COMPUTE_PGM_RSRC2:TGID_Z_EN: 0
; COMPUTE_PGM_RSRC2:TIDIG_COMP_CNT: 0
	.section	.text._ZN7rocprim17ROCPRIM_400000_NS6detail17trampoline_kernelINS0_13select_configILj256ELj13ELNS0_17block_load_methodE3ELS4_3ELS4_3ELNS0_20block_scan_algorithmE0ELj4294967295EEENS1_25partition_config_selectorILNS1_17partition_subalgoE3EjNS0_10empty_typeEbEEZZNS1_14partition_implILS8_3ELb0ES6_jNS0_17counting_iteratorIjlEEPS9_SE_NS0_5tupleIJPjSE_EEENSF_IJSE_SE_EEES9_SG_JZNS1_25segmented_radix_sort_implINS0_14default_configELb1EPKiPiPKlPlN2at6native12_GLOBAL__N_18offset_tEEE10hipError_tPvRmT1_PNSt15iterator_traitsISY_E10value_typeET2_T3_PNSZ_IS14_E10value_typeET4_jRbjT5_S1A_jjP12ihipStream_tbEUljE_EEESV_SW_SX_S14_S18_S1A_T6_T7_T9_mT8_S1C_bDpT10_ENKUlT_T0_E_clISt17integral_constantIbLb0EES1O_IbLb1EEEEDaS1K_S1L_EUlS1K_E_NS1_11comp_targetILNS1_3genE8ELNS1_11target_archE1030ELNS1_3gpuE2ELNS1_3repE0EEENS1_30default_config_static_selectorELNS0_4arch9wavefront6targetE0EEEvSY_,"axG",@progbits,_ZN7rocprim17ROCPRIM_400000_NS6detail17trampoline_kernelINS0_13select_configILj256ELj13ELNS0_17block_load_methodE3ELS4_3ELS4_3ELNS0_20block_scan_algorithmE0ELj4294967295EEENS1_25partition_config_selectorILNS1_17partition_subalgoE3EjNS0_10empty_typeEbEEZZNS1_14partition_implILS8_3ELb0ES6_jNS0_17counting_iteratorIjlEEPS9_SE_NS0_5tupleIJPjSE_EEENSF_IJSE_SE_EEES9_SG_JZNS1_25segmented_radix_sort_implINS0_14default_configELb1EPKiPiPKlPlN2at6native12_GLOBAL__N_18offset_tEEE10hipError_tPvRmT1_PNSt15iterator_traitsISY_E10value_typeET2_T3_PNSZ_IS14_E10value_typeET4_jRbjT5_S1A_jjP12ihipStream_tbEUljE_EEESV_SW_SX_S14_S18_S1A_T6_T7_T9_mT8_S1C_bDpT10_ENKUlT_T0_E_clISt17integral_constantIbLb0EES1O_IbLb1EEEEDaS1K_S1L_EUlS1K_E_NS1_11comp_targetILNS1_3genE8ELNS1_11target_archE1030ELNS1_3gpuE2ELNS1_3repE0EEENS1_30default_config_static_selectorELNS0_4arch9wavefront6targetE0EEEvSY_,comdat
	.globl	_ZN7rocprim17ROCPRIM_400000_NS6detail17trampoline_kernelINS0_13select_configILj256ELj13ELNS0_17block_load_methodE3ELS4_3ELS4_3ELNS0_20block_scan_algorithmE0ELj4294967295EEENS1_25partition_config_selectorILNS1_17partition_subalgoE3EjNS0_10empty_typeEbEEZZNS1_14partition_implILS8_3ELb0ES6_jNS0_17counting_iteratorIjlEEPS9_SE_NS0_5tupleIJPjSE_EEENSF_IJSE_SE_EEES9_SG_JZNS1_25segmented_radix_sort_implINS0_14default_configELb1EPKiPiPKlPlN2at6native12_GLOBAL__N_18offset_tEEE10hipError_tPvRmT1_PNSt15iterator_traitsISY_E10value_typeET2_T3_PNSZ_IS14_E10value_typeET4_jRbjT5_S1A_jjP12ihipStream_tbEUljE_EEESV_SW_SX_S14_S18_S1A_T6_T7_T9_mT8_S1C_bDpT10_ENKUlT_T0_E_clISt17integral_constantIbLb0EES1O_IbLb1EEEEDaS1K_S1L_EUlS1K_E_NS1_11comp_targetILNS1_3genE8ELNS1_11target_archE1030ELNS1_3gpuE2ELNS1_3repE0EEENS1_30default_config_static_selectorELNS0_4arch9wavefront6targetE0EEEvSY_ ; -- Begin function _ZN7rocprim17ROCPRIM_400000_NS6detail17trampoline_kernelINS0_13select_configILj256ELj13ELNS0_17block_load_methodE3ELS4_3ELS4_3ELNS0_20block_scan_algorithmE0ELj4294967295EEENS1_25partition_config_selectorILNS1_17partition_subalgoE3EjNS0_10empty_typeEbEEZZNS1_14partition_implILS8_3ELb0ES6_jNS0_17counting_iteratorIjlEEPS9_SE_NS0_5tupleIJPjSE_EEENSF_IJSE_SE_EEES9_SG_JZNS1_25segmented_radix_sort_implINS0_14default_configELb1EPKiPiPKlPlN2at6native12_GLOBAL__N_18offset_tEEE10hipError_tPvRmT1_PNSt15iterator_traitsISY_E10value_typeET2_T3_PNSZ_IS14_E10value_typeET4_jRbjT5_S1A_jjP12ihipStream_tbEUljE_EEESV_SW_SX_S14_S18_S1A_T6_T7_T9_mT8_S1C_bDpT10_ENKUlT_T0_E_clISt17integral_constantIbLb0EES1O_IbLb1EEEEDaS1K_S1L_EUlS1K_E_NS1_11comp_targetILNS1_3genE8ELNS1_11target_archE1030ELNS1_3gpuE2ELNS1_3repE0EEENS1_30default_config_static_selectorELNS0_4arch9wavefront6targetE0EEEvSY_
	.p2align	8
	.type	_ZN7rocprim17ROCPRIM_400000_NS6detail17trampoline_kernelINS0_13select_configILj256ELj13ELNS0_17block_load_methodE3ELS4_3ELS4_3ELNS0_20block_scan_algorithmE0ELj4294967295EEENS1_25partition_config_selectorILNS1_17partition_subalgoE3EjNS0_10empty_typeEbEEZZNS1_14partition_implILS8_3ELb0ES6_jNS0_17counting_iteratorIjlEEPS9_SE_NS0_5tupleIJPjSE_EEENSF_IJSE_SE_EEES9_SG_JZNS1_25segmented_radix_sort_implINS0_14default_configELb1EPKiPiPKlPlN2at6native12_GLOBAL__N_18offset_tEEE10hipError_tPvRmT1_PNSt15iterator_traitsISY_E10value_typeET2_T3_PNSZ_IS14_E10value_typeET4_jRbjT5_S1A_jjP12ihipStream_tbEUljE_EEESV_SW_SX_S14_S18_S1A_T6_T7_T9_mT8_S1C_bDpT10_ENKUlT_T0_E_clISt17integral_constantIbLb0EES1O_IbLb1EEEEDaS1K_S1L_EUlS1K_E_NS1_11comp_targetILNS1_3genE8ELNS1_11target_archE1030ELNS1_3gpuE2ELNS1_3repE0EEENS1_30default_config_static_selectorELNS0_4arch9wavefront6targetE0EEEvSY_,@function
_ZN7rocprim17ROCPRIM_400000_NS6detail17trampoline_kernelINS0_13select_configILj256ELj13ELNS0_17block_load_methodE3ELS4_3ELS4_3ELNS0_20block_scan_algorithmE0ELj4294967295EEENS1_25partition_config_selectorILNS1_17partition_subalgoE3EjNS0_10empty_typeEbEEZZNS1_14partition_implILS8_3ELb0ES6_jNS0_17counting_iteratorIjlEEPS9_SE_NS0_5tupleIJPjSE_EEENSF_IJSE_SE_EEES9_SG_JZNS1_25segmented_radix_sort_implINS0_14default_configELb1EPKiPiPKlPlN2at6native12_GLOBAL__N_18offset_tEEE10hipError_tPvRmT1_PNSt15iterator_traitsISY_E10value_typeET2_T3_PNSZ_IS14_E10value_typeET4_jRbjT5_S1A_jjP12ihipStream_tbEUljE_EEESV_SW_SX_S14_S18_S1A_T6_T7_T9_mT8_S1C_bDpT10_ENKUlT_T0_E_clISt17integral_constantIbLb0EES1O_IbLb1EEEEDaS1K_S1L_EUlS1K_E_NS1_11comp_targetILNS1_3genE8ELNS1_11target_archE1030ELNS1_3gpuE2ELNS1_3repE0EEENS1_30default_config_static_selectorELNS0_4arch9wavefront6targetE0EEEvSY_: ; @_ZN7rocprim17ROCPRIM_400000_NS6detail17trampoline_kernelINS0_13select_configILj256ELj13ELNS0_17block_load_methodE3ELS4_3ELS4_3ELNS0_20block_scan_algorithmE0ELj4294967295EEENS1_25partition_config_selectorILNS1_17partition_subalgoE3EjNS0_10empty_typeEbEEZZNS1_14partition_implILS8_3ELb0ES6_jNS0_17counting_iteratorIjlEEPS9_SE_NS0_5tupleIJPjSE_EEENSF_IJSE_SE_EEES9_SG_JZNS1_25segmented_radix_sort_implINS0_14default_configELb1EPKiPiPKlPlN2at6native12_GLOBAL__N_18offset_tEEE10hipError_tPvRmT1_PNSt15iterator_traitsISY_E10value_typeET2_T3_PNSZ_IS14_E10value_typeET4_jRbjT5_S1A_jjP12ihipStream_tbEUljE_EEESV_SW_SX_S14_S18_S1A_T6_T7_T9_mT8_S1C_bDpT10_ENKUlT_T0_E_clISt17integral_constantIbLb0EES1O_IbLb1EEEEDaS1K_S1L_EUlS1K_E_NS1_11comp_targetILNS1_3genE8ELNS1_11target_archE1030ELNS1_3gpuE2ELNS1_3repE0EEENS1_30default_config_static_selectorELNS0_4arch9wavefront6targetE0EEEvSY_
; %bb.0:
	.section	.rodata,"a",@progbits
	.p2align	6, 0x0
	.amdhsa_kernel _ZN7rocprim17ROCPRIM_400000_NS6detail17trampoline_kernelINS0_13select_configILj256ELj13ELNS0_17block_load_methodE3ELS4_3ELS4_3ELNS0_20block_scan_algorithmE0ELj4294967295EEENS1_25partition_config_selectorILNS1_17partition_subalgoE3EjNS0_10empty_typeEbEEZZNS1_14partition_implILS8_3ELb0ES6_jNS0_17counting_iteratorIjlEEPS9_SE_NS0_5tupleIJPjSE_EEENSF_IJSE_SE_EEES9_SG_JZNS1_25segmented_radix_sort_implINS0_14default_configELb1EPKiPiPKlPlN2at6native12_GLOBAL__N_18offset_tEEE10hipError_tPvRmT1_PNSt15iterator_traitsISY_E10value_typeET2_T3_PNSZ_IS14_E10value_typeET4_jRbjT5_S1A_jjP12ihipStream_tbEUljE_EEESV_SW_SX_S14_S18_S1A_T6_T7_T9_mT8_S1C_bDpT10_ENKUlT_T0_E_clISt17integral_constantIbLb0EES1O_IbLb1EEEEDaS1K_S1L_EUlS1K_E_NS1_11comp_targetILNS1_3genE8ELNS1_11target_archE1030ELNS1_3gpuE2ELNS1_3repE0EEENS1_30default_config_static_selectorELNS0_4arch9wavefront6targetE0EEEvSY_
		.amdhsa_group_segment_fixed_size 0
		.amdhsa_private_segment_fixed_size 0
		.amdhsa_kernarg_size 152
		.amdhsa_user_sgpr_count 15
		.amdhsa_user_sgpr_dispatch_ptr 0
		.amdhsa_user_sgpr_queue_ptr 0
		.amdhsa_user_sgpr_kernarg_segment_ptr 1
		.amdhsa_user_sgpr_dispatch_id 0
		.amdhsa_user_sgpr_private_segment_size 0
		.amdhsa_wavefront_size32 1
		.amdhsa_uses_dynamic_stack 0
		.amdhsa_enable_private_segment 0
		.amdhsa_system_sgpr_workgroup_id_x 1
		.amdhsa_system_sgpr_workgroup_id_y 0
		.amdhsa_system_sgpr_workgroup_id_z 0
		.amdhsa_system_sgpr_workgroup_info 0
		.amdhsa_system_vgpr_workitem_id 0
		.amdhsa_next_free_vgpr 1
		.amdhsa_next_free_sgpr 1
		.amdhsa_reserve_vcc 0
		.amdhsa_float_round_mode_32 0
		.amdhsa_float_round_mode_16_64 0
		.amdhsa_float_denorm_mode_32 3
		.amdhsa_float_denorm_mode_16_64 3
		.amdhsa_dx10_clamp 1
		.amdhsa_ieee_mode 1
		.amdhsa_fp16_overflow 0
		.amdhsa_workgroup_processor_mode 1
		.amdhsa_memory_ordered 1
		.amdhsa_forward_progress 0
		.amdhsa_shared_vgpr_count 0
		.amdhsa_exception_fp_ieee_invalid_op 0
		.amdhsa_exception_fp_denorm_src 0
		.amdhsa_exception_fp_ieee_div_zero 0
		.amdhsa_exception_fp_ieee_overflow 0
		.amdhsa_exception_fp_ieee_underflow 0
		.amdhsa_exception_fp_ieee_inexact 0
		.amdhsa_exception_int_div_zero 0
	.end_amdhsa_kernel
	.section	.text._ZN7rocprim17ROCPRIM_400000_NS6detail17trampoline_kernelINS0_13select_configILj256ELj13ELNS0_17block_load_methodE3ELS4_3ELS4_3ELNS0_20block_scan_algorithmE0ELj4294967295EEENS1_25partition_config_selectorILNS1_17partition_subalgoE3EjNS0_10empty_typeEbEEZZNS1_14partition_implILS8_3ELb0ES6_jNS0_17counting_iteratorIjlEEPS9_SE_NS0_5tupleIJPjSE_EEENSF_IJSE_SE_EEES9_SG_JZNS1_25segmented_radix_sort_implINS0_14default_configELb1EPKiPiPKlPlN2at6native12_GLOBAL__N_18offset_tEEE10hipError_tPvRmT1_PNSt15iterator_traitsISY_E10value_typeET2_T3_PNSZ_IS14_E10value_typeET4_jRbjT5_S1A_jjP12ihipStream_tbEUljE_EEESV_SW_SX_S14_S18_S1A_T6_T7_T9_mT8_S1C_bDpT10_ENKUlT_T0_E_clISt17integral_constantIbLb0EES1O_IbLb1EEEEDaS1K_S1L_EUlS1K_E_NS1_11comp_targetILNS1_3genE8ELNS1_11target_archE1030ELNS1_3gpuE2ELNS1_3repE0EEENS1_30default_config_static_selectorELNS0_4arch9wavefront6targetE0EEEvSY_,"axG",@progbits,_ZN7rocprim17ROCPRIM_400000_NS6detail17trampoline_kernelINS0_13select_configILj256ELj13ELNS0_17block_load_methodE3ELS4_3ELS4_3ELNS0_20block_scan_algorithmE0ELj4294967295EEENS1_25partition_config_selectorILNS1_17partition_subalgoE3EjNS0_10empty_typeEbEEZZNS1_14partition_implILS8_3ELb0ES6_jNS0_17counting_iteratorIjlEEPS9_SE_NS0_5tupleIJPjSE_EEENSF_IJSE_SE_EEES9_SG_JZNS1_25segmented_radix_sort_implINS0_14default_configELb1EPKiPiPKlPlN2at6native12_GLOBAL__N_18offset_tEEE10hipError_tPvRmT1_PNSt15iterator_traitsISY_E10value_typeET2_T3_PNSZ_IS14_E10value_typeET4_jRbjT5_S1A_jjP12ihipStream_tbEUljE_EEESV_SW_SX_S14_S18_S1A_T6_T7_T9_mT8_S1C_bDpT10_ENKUlT_T0_E_clISt17integral_constantIbLb0EES1O_IbLb1EEEEDaS1K_S1L_EUlS1K_E_NS1_11comp_targetILNS1_3genE8ELNS1_11target_archE1030ELNS1_3gpuE2ELNS1_3repE0EEENS1_30default_config_static_selectorELNS0_4arch9wavefront6targetE0EEEvSY_,comdat
.Lfunc_end496:
	.size	_ZN7rocprim17ROCPRIM_400000_NS6detail17trampoline_kernelINS0_13select_configILj256ELj13ELNS0_17block_load_methodE3ELS4_3ELS4_3ELNS0_20block_scan_algorithmE0ELj4294967295EEENS1_25partition_config_selectorILNS1_17partition_subalgoE3EjNS0_10empty_typeEbEEZZNS1_14partition_implILS8_3ELb0ES6_jNS0_17counting_iteratorIjlEEPS9_SE_NS0_5tupleIJPjSE_EEENSF_IJSE_SE_EEES9_SG_JZNS1_25segmented_radix_sort_implINS0_14default_configELb1EPKiPiPKlPlN2at6native12_GLOBAL__N_18offset_tEEE10hipError_tPvRmT1_PNSt15iterator_traitsISY_E10value_typeET2_T3_PNSZ_IS14_E10value_typeET4_jRbjT5_S1A_jjP12ihipStream_tbEUljE_EEESV_SW_SX_S14_S18_S1A_T6_T7_T9_mT8_S1C_bDpT10_ENKUlT_T0_E_clISt17integral_constantIbLb0EES1O_IbLb1EEEEDaS1K_S1L_EUlS1K_E_NS1_11comp_targetILNS1_3genE8ELNS1_11target_archE1030ELNS1_3gpuE2ELNS1_3repE0EEENS1_30default_config_static_selectorELNS0_4arch9wavefront6targetE0EEEvSY_, .Lfunc_end496-_ZN7rocprim17ROCPRIM_400000_NS6detail17trampoline_kernelINS0_13select_configILj256ELj13ELNS0_17block_load_methodE3ELS4_3ELS4_3ELNS0_20block_scan_algorithmE0ELj4294967295EEENS1_25partition_config_selectorILNS1_17partition_subalgoE3EjNS0_10empty_typeEbEEZZNS1_14partition_implILS8_3ELb0ES6_jNS0_17counting_iteratorIjlEEPS9_SE_NS0_5tupleIJPjSE_EEENSF_IJSE_SE_EEES9_SG_JZNS1_25segmented_radix_sort_implINS0_14default_configELb1EPKiPiPKlPlN2at6native12_GLOBAL__N_18offset_tEEE10hipError_tPvRmT1_PNSt15iterator_traitsISY_E10value_typeET2_T3_PNSZ_IS14_E10value_typeET4_jRbjT5_S1A_jjP12ihipStream_tbEUljE_EEESV_SW_SX_S14_S18_S1A_T6_T7_T9_mT8_S1C_bDpT10_ENKUlT_T0_E_clISt17integral_constantIbLb0EES1O_IbLb1EEEEDaS1K_S1L_EUlS1K_E_NS1_11comp_targetILNS1_3genE8ELNS1_11target_archE1030ELNS1_3gpuE2ELNS1_3repE0EEENS1_30default_config_static_selectorELNS0_4arch9wavefront6targetE0EEEvSY_
                                        ; -- End function
	.section	.AMDGPU.csdata,"",@progbits
; Kernel info:
; codeLenInByte = 0
; NumSgprs: 0
; NumVgprs: 0
; ScratchSize: 0
; MemoryBound: 0
; FloatMode: 240
; IeeeMode: 1
; LDSByteSize: 0 bytes/workgroup (compile time only)
; SGPRBlocks: 0
; VGPRBlocks: 0
; NumSGPRsForWavesPerEU: 1
; NumVGPRsForWavesPerEU: 1
; Occupancy: 16
; WaveLimiterHint : 0
; COMPUTE_PGM_RSRC2:SCRATCH_EN: 0
; COMPUTE_PGM_RSRC2:USER_SGPR: 15
; COMPUTE_PGM_RSRC2:TRAP_HANDLER: 0
; COMPUTE_PGM_RSRC2:TGID_X_EN: 1
; COMPUTE_PGM_RSRC2:TGID_Y_EN: 0
; COMPUTE_PGM_RSRC2:TGID_Z_EN: 0
; COMPUTE_PGM_RSRC2:TIDIG_COMP_CNT: 0
	.section	.text._ZN7rocprim17ROCPRIM_400000_NS6detail17trampoline_kernelINS0_14default_configENS1_36segmented_radix_sort_config_selectorIilEEZNS1_25segmented_radix_sort_implIS3_Lb1EPKiPiPKlPlN2at6native12_GLOBAL__N_18offset_tEEE10hipError_tPvRmT1_PNSt15iterator_traitsISK_E10value_typeET2_T3_PNSL_ISQ_E10value_typeET4_jRbjT5_SW_jjP12ihipStream_tbEUlT_E_NS1_11comp_targetILNS1_3genE0ELNS1_11target_archE4294967295ELNS1_3gpuE0ELNS1_3repE0EEENS1_30default_config_static_selectorELNS0_4arch9wavefront6targetE0EEEvSK_,"axG",@progbits,_ZN7rocprim17ROCPRIM_400000_NS6detail17trampoline_kernelINS0_14default_configENS1_36segmented_radix_sort_config_selectorIilEEZNS1_25segmented_radix_sort_implIS3_Lb1EPKiPiPKlPlN2at6native12_GLOBAL__N_18offset_tEEE10hipError_tPvRmT1_PNSt15iterator_traitsISK_E10value_typeET2_T3_PNSL_ISQ_E10value_typeET4_jRbjT5_SW_jjP12ihipStream_tbEUlT_E_NS1_11comp_targetILNS1_3genE0ELNS1_11target_archE4294967295ELNS1_3gpuE0ELNS1_3repE0EEENS1_30default_config_static_selectorELNS0_4arch9wavefront6targetE0EEEvSK_,comdat
	.globl	_ZN7rocprim17ROCPRIM_400000_NS6detail17trampoline_kernelINS0_14default_configENS1_36segmented_radix_sort_config_selectorIilEEZNS1_25segmented_radix_sort_implIS3_Lb1EPKiPiPKlPlN2at6native12_GLOBAL__N_18offset_tEEE10hipError_tPvRmT1_PNSt15iterator_traitsISK_E10value_typeET2_T3_PNSL_ISQ_E10value_typeET4_jRbjT5_SW_jjP12ihipStream_tbEUlT_E_NS1_11comp_targetILNS1_3genE0ELNS1_11target_archE4294967295ELNS1_3gpuE0ELNS1_3repE0EEENS1_30default_config_static_selectorELNS0_4arch9wavefront6targetE0EEEvSK_ ; -- Begin function _ZN7rocprim17ROCPRIM_400000_NS6detail17trampoline_kernelINS0_14default_configENS1_36segmented_radix_sort_config_selectorIilEEZNS1_25segmented_radix_sort_implIS3_Lb1EPKiPiPKlPlN2at6native12_GLOBAL__N_18offset_tEEE10hipError_tPvRmT1_PNSt15iterator_traitsISK_E10value_typeET2_T3_PNSL_ISQ_E10value_typeET4_jRbjT5_SW_jjP12ihipStream_tbEUlT_E_NS1_11comp_targetILNS1_3genE0ELNS1_11target_archE4294967295ELNS1_3gpuE0ELNS1_3repE0EEENS1_30default_config_static_selectorELNS0_4arch9wavefront6targetE0EEEvSK_
	.p2align	8
	.type	_ZN7rocprim17ROCPRIM_400000_NS6detail17trampoline_kernelINS0_14default_configENS1_36segmented_radix_sort_config_selectorIilEEZNS1_25segmented_radix_sort_implIS3_Lb1EPKiPiPKlPlN2at6native12_GLOBAL__N_18offset_tEEE10hipError_tPvRmT1_PNSt15iterator_traitsISK_E10value_typeET2_T3_PNSL_ISQ_E10value_typeET4_jRbjT5_SW_jjP12ihipStream_tbEUlT_E_NS1_11comp_targetILNS1_3genE0ELNS1_11target_archE4294967295ELNS1_3gpuE0ELNS1_3repE0EEENS1_30default_config_static_selectorELNS0_4arch9wavefront6targetE0EEEvSK_,@function
_ZN7rocprim17ROCPRIM_400000_NS6detail17trampoline_kernelINS0_14default_configENS1_36segmented_radix_sort_config_selectorIilEEZNS1_25segmented_radix_sort_implIS3_Lb1EPKiPiPKlPlN2at6native12_GLOBAL__N_18offset_tEEE10hipError_tPvRmT1_PNSt15iterator_traitsISK_E10value_typeET2_T3_PNSL_ISQ_E10value_typeET4_jRbjT5_SW_jjP12ihipStream_tbEUlT_E_NS1_11comp_targetILNS1_3genE0ELNS1_11target_archE4294967295ELNS1_3gpuE0ELNS1_3repE0EEENS1_30default_config_static_selectorELNS0_4arch9wavefront6targetE0EEEvSK_: ; @_ZN7rocprim17ROCPRIM_400000_NS6detail17trampoline_kernelINS0_14default_configENS1_36segmented_radix_sort_config_selectorIilEEZNS1_25segmented_radix_sort_implIS3_Lb1EPKiPiPKlPlN2at6native12_GLOBAL__N_18offset_tEEE10hipError_tPvRmT1_PNSt15iterator_traitsISK_E10value_typeET2_T3_PNSL_ISQ_E10value_typeET4_jRbjT5_SW_jjP12ihipStream_tbEUlT_E_NS1_11comp_targetILNS1_3genE0ELNS1_11target_archE4294967295ELNS1_3gpuE0ELNS1_3repE0EEENS1_30default_config_static_selectorELNS0_4arch9wavefront6targetE0EEEvSK_
; %bb.0:
	.section	.rodata,"a",@progbits
	.p2align	6, 0x0
	.amdhsa_kernel _ZN7rocprim17ROCPRIM_400000_NS6detail17trampoline_kernelINS0_14default_configENS1_36segmented_radix_sort_config_selectorIilEEZNS1_25segmented_radix_sort_implIS3_Lb1EPKiPiPKlPlN2at6native12_GLOBAL__N_18offset_tEEE10hipError_tPvRmT1_PNSt15iterator_traitsISK_E10value_typeET2_T3_PNSL_ISQ_E10value_typeET4_jRbjT5_SW_jjP12ihipStream_tbEUlT_E_NS1_11comp_targetILNS1_3genE0ELNS1_11target_archE4294967295ELNS1_3gpuE0ELNS1_3repE0EEENS1_30default_config_static_selectorELNS0_4arch9wavefront6targetE0EEEvSK_
		.amdhsa_group_segment_fixed_size 0
		.amdhsa_private_segment_fixed_size 0
		.amdhsa_kernarg_size 96
		.amdhsa_user_sgpr_count 15
		.amdhsa_user_sgpr_dispatch_ptr 0
		.amdhsa_user_sgpr_queue_ptr 0
		.amdhsa_user_sgpr_kernarg_segment_ptr 1
		.amdhsa_user_sgpr_dispatch_id 0
		.amdhsa_user_sgpr_private_segment_size 0
		.amdhsa_wavefront_size32 1
		.amdhsa_uses_dynamic_stack 0
		.amdhsa_enable_private_segment 0
		.amdhsa_system_sgpr_workgroup_id_x 1
		.amdhsa_system_sgpr_workgroup_id_y 0
		.amdhsa_system_sgpr_workgroup_id_z 0
		.amdhsa_system_sgpr_workgroup_info 0
		.amdhsa_system_vgpr_workitem_id 0
		.amdhsa_next_free_vgpr 1
		.amdhsa_next_free_sgpr 1
		.amdhsa_reserve_vcc 0
		.amdhsa_float_round_mode_32 0
		.amdhsa_float_round_mode_16_64 0
		.amdhsa_float_denorm_mode_32 3
		.amdhsa_float_denorm_mode_16_64 3
		.amdhsa_dx10_clamp 1
		.amdhsa_ieee_mode 1
		.amdhsa_fp16_overflow 0
		.amdhsa_workgroup_processor_mode 1
		.amdhsa_memory_ordered 1
		.amdhsa_forward_progress 0
		.amdhsa_shared_vgpr_count 0
		.amdhsa_exception_fp_ieee_invalid_op 0
		.amdhsa_exception_fp_denorm_src 0
		.amdhsa_exception_fp_ieee_div_zero 0
		.amdhsa_exception_fp_ieee_overflow 0
		.amdhsa_exception_fp_ieee_underflow 0
		.amdhsa_exception_fp_ieee_inexact 0
		.amdhsa_exception_int_div_zero 0
	.end_amdhsa_kernel
	.section	.text._ZN7rocprim17ROCPRIM_400000_NS6detail17trampoline_kernelINS0_14default_configENS1_36segmented_radix_sort_config_selectorIilEEZNS1_25segmented_radix_sort_implIS3_Lb1EPKiPiPKlPlN2at6native12_GLOBAL__N_18offset_tEEE10hipError_tPvRmT1_PNSt15iterator_traitsISK_E10value_typeET2_T3_PNSL_ISQ_E10value_typeET4_jRbjT5_SW_jjP12ihipStream_tbEUlT_E_NS1_11comp_targetILNS1_3genE0ELNS1_11target_archE4294967295ELNS1_3gpuE0ELNS1_3repE0EEENS1_30default_config_static_selectorELNS0_4arch9wavefront6targetE0EEEvSK_,"axG",@progbits,_ZN7rocprim17ROCPRIM_400000_NS6detail17trampoline_kernelINS0_14default_configENS1_36segmented_radix_sort_config_selectorIilEEZNS1_25segmented_radix_sort_implIS3_Lb1EPKiPiPKlPlN2at6native12_GLOBAL__N_18offset_tEEE10hipError_tPvRmT1_PNSt15iterator_traitsISK_E10value_typeET2_T3_PNSL_ISQ_E10value_typeET4_jRbjT5_SW_jjP12ihipStream_tbEUlT_E_NS1_11comp_targetILNS1_3genE0ELNS1_11target_archE4294967295ELNS1_3gpuE0ELNS1_3repE0EEENS1_30default_config_static_selectorELNS0_4arch9wavefront6targetE0EEEvSK_,comdat
.Lfunc_end497:
	.size	_ZN7rocprim17ROCPRIM_400000_NS6detail17trampoline_kernelINS0_14default_configENS1_36segmented_radix_sort_config_selectorIilEEZNS1_25segmented_radix_sort_implIS3_Lb1EPKiPiPKlPlN2at6native12_GLOBAL__N_18offset_tEEE10hipError_tPvRmT1_PNSt15iterator_traitsISK_E10value_typeET2_T3_PNSL_ISQ_E10value_typeET4_jRbjT5_SW_jjP12ihipStream_tbEUlT_E_NS1_11comp_targetILNS1_3genE0ELNS1_11target_archE4294967295ELNS1_3gpuE0ELNS1_3repE0EEENS1_30default_config_static_selectorELNS0_4arch9wavefront6targetE0EEEvSK_, .Lfunc_end497-_ZN7rocprim17ROCPRIM_400000_NS6detail17trampoline_kernelINS0_14default_configENS1_36segmented_radix_sort_config_selectorIilEEZNS1_25segmented_radix_sort_implIS3_Lb1EPKiPiPKlPlN2at6native12_GLOBAL__N_18offset_tEEE10hipError_tPvRmT1_PNSt15iterator_traitsISK_E10value_typeET2_T3_PNSL_ISQ_E10value_typeET4_jRbjT5_SW_jjP12ihipStream_tbEUlT_E_NS1_11comp_targetILNS1_3genE0ELNS1_11target_archE4294967295ELNS1_3gpuE0ELNS1_3repE0EEENS1_30default_config_static_selectorELNS0_4arch9wavefront6targetE0EEEvSK_
                                        ; -- End function
	.section	.AMDGPU.csdata,"",@progbits
; Kernel info:
; codeLenInByte = 0
; NumSgprs: 0
; NumVgprs: 0
; ScratchSize: 0
; MemoryBound: 0
; FloatMode: 240
; IeeeMode: 1
; LDSByteSize: 0 bytes/workgroup (compile time only)
; SGPRBlocks: 0
; VGPRBlocks: 0
; NumSGPRsForWavesPerEU: 1
; NumVGPRsForWavesPerEU: 1
; Occupancy: 16
; WaveLimiterHint : 0
; COMPUTE_PGM_RSRC2:SCRATCH_EN: 0
; COMPUTE_PGM_RSRC2:USER_SGPR: 15
; COMPUTE_PGM_RSRC2:TRAP_HANDLER: 0
; COMPUTE_PGM_RSRC2:TGID_X_EN: 1
; COMPUTE_PGM_RSRC2:TGID_Y_EN: 0
; COMPUTE_PGM_RSRC2:TGID_Z_EN: 0
; COMPUTE_PGM_RSRC2:TIDIG_COMP_CNT: 0
	.section	.text._ZN7rocprim17ROCPRIM_400000_NS6detail17trampoline_kernelINS0_14default_configENS1_36segmented_radix_sort_config_selectorIilEEZNS1_25segmented_radix_sort_implIS3_Lb1EPKiPiPKlPlN2at6native12_GLOBAL__N_18offset_tEEE10hipError_tPvRmT1_PNSt15iterator_traitsISK_E10value_typeET2_T3_PNSL_ISQ_E10value_typeET4_jRbjT5_SW_jjP12ihipStream_tbEUlT_E_NS1_11comp_targetILNS1_3genE5ELNS1_11target_archE942ELNS1_3gpuE9ELNS1_3repE0EEENS1_30default_config_static_selectorELNS0_4arch9wavefront6targetE0EEEvSK_,"axG",@progbits,_ZN7rocprim17ROCPRIM_400000_NS6detail17trampoline_kernelINS0_14default_configENS1_36segmented_radix_sort_config_selectorIilEEZNS1_25segmented_radix_sort_implIS3_Lb1EPKiPiPKlPlN2at6native12_GLOBAL__N_18offset_tEEE10hipError_tPvRmT1_PNSt15iterator_traitsISK_E10value_typeET2_T3_PNSL_ISQ_E10value_typeET4_jRbjT5_SW_jjP12ihipStream_tbEUlT_E_NS1_11comp_targetILNS1_3genE5ELNS1_11target_archE942ELNS1_3gpuE9ELNS1_3repE0EEENS1_30default_config_static_selectorELNS0_4arch9wavefront6targetE0EEEvSK_,comdat
	.globl	_ZN7rocprim17ROCPRIM_400000_NS6detail17trampoline_kernelINS0_14default_configENS1_36segmented_radix_sort_config_selectorIilEEZNS1_25segmented_radix_sort_implIS3_Lb1EPKiPiPKlPlN2at6native12_GLOBAL__N_18offset_tEEE10hipError_tPvRmT1_PNSt15iterator_traitsISK_E10value_typeET2_T3_PNSL_ISQ_E10value_typeET4_jRbjT5_SW_jjP12ihipStream_tbEUlT_E_NS1_11comp_targetILNS1_3genE5ELNS1_11target_archE942ELNS1_3gpuE9ELNS1_3repE0EEENS1_30default_config_static_selectorELNS0_4arch9wavefront6targetE0EEEvSK_ ; -- Begin function _ZN7rocprim17ROCPRIM_400000_NS6detail17trampoline_kernelINS0_14default_configENS1_36segmented_radix_sort_config_selectorIilEEZNS1_25segmented_radix_sort_implIS3_Lb1EPKiPiPKlPlN2at6native12_GLOBAL__N_18offset_tEEE10hipError_tPvRmT1_PNSt15iterator_traitsISK_E10value_typeET2_T3_PNSL_ISQ_E10value_typeET4_jRbjT5_SW_jjP12ihipStream_tbEUlT_E_NS1_11comp_targetILNS1_3genE5ELNS1_11target_archE942ELNS1_3gpuE9ELNS1_3repE0EEENS1_30default_config_static_selectorELNS0_4arch9wavefront6targetE0EEEvSK_
	.p2align	8
	.type	_ZN7rocprim17ROCPRIM_400000_NS6detail17trampoline_kernelINS0_14default_configENS1_36segmented_radix_sort_config_selectorIilEEZNS1_25segmented_radix_sort_implIS3_Lb1EPKiPiPKlPlN2at6native12_GLOBAL__N_18offset_tEEE10hipError_tPvRmT1_PNSt15iterator_traitsISK_E10value_typeET2_T3_PNSL_ISQ_E10value_typeET4_jRbjT5_SW_jjP12ihipStream_tbEUlT_E_NS1_11comp_targetILNS1_3genE5ELNS1_11target_archE942ELNS1_3gpuE9ELNS1_3repE0EEENS1_30default_config_static_selectorELNS0_4arch9wavefront6targetE0EEEvSK_,@function
_ZN7rocprim17ROCPRIM_400000_NS6detail17trampoline_kernelINS0_14default_configENS1_36segmented_radix_sort_config_selectorIilEEZNS1_25segmented_radix_sort_implIS3_Lb1EPKiPiPKlPlN2at6native12_GLOBAL__N_18offset_tEEE10hipError_tPvRmT1_PNSt15iterator_traitsISK_E10value_typeET2_T3_PNSL_ISQ_E10value_typeET4_jRbjT5_SW_jjP12ihipStream_tbEUlT_E_NS1_11comp_targetILNS1_3genE5ELNS1_11target_archE942ELNS1_3gpuE9ELNS1_3repE0EEENS1_30default_config_static_selectorELNS0_4arch9wavefront6targetE0EEEvSK_: ; @_ZN7rocprim17ROCPRIM_400000_NS6detail17trampoline_kernelINS0_14default_configENS1_36segmented_radix_sort_config_selectorIilEEZNS1_25segmented_radix_sort_implIS3_Lb1EPKiPiPKlPlN2at6native12_GLOBAL__N_18offset_tEEE10hipError_tPvRmT1_PNSt15iterator_traitsISK_E10value_typeET2_T3_PNSL_ISQ_E10value_typeET4_jRbjT5_SW_jjP12ihipStream_tbEUlT_E_NS1_11comp_targetILNS1_3genE5ELNS1_11target_archE942ELNS1_3gpuE9ELNS1_3repE0EEENS1_30default_config_static_selectorELNS0_4arch9wavefront6targetE0EEEvSK_
; %bb.0:
	.section	.rodata,"a",@progbits
	.p2align	6, 0x0
	.amdhsa_kernel _ZN7rocprim17ROCPRIM_400000_NS6detail17trampoline_kernelINS0_14default_configENS1_36segmented_radix_sort_config_selectorIilEEZNS1_25segmented_radix_sort_implIS3_Lb1EPKiPiPKlPlN2at6native12_GLOBAL__N_18offset_tEEE10hipError_tPvRmT1_PNSt15iterator_traitsISK_E10value_typeET2_T3_PNSL_ISQ_E10value_typeET4_jRbjT5_SW_jjP12ihipStream_tbEUlT_E_NS1_11comp_targetILNS1_3genE5ELNS1_11target_archE942ELNS1_3gpuE9ELNS1_3repE0EEENS1_30default_config_static_selectorELNS0_4arch9wavefront6targetE0EEEvSK_
		.amdhsa_group_segment_fixed_size 0
		.amdhsa_private_segment_fixed_size 0
		.amdhsa_kernarg_size 96
		.amdhsa_user_sgpr_count 15
		.amdhsa_user_sgpr_dispatch_ptr 0
		.amdhsa_user_sgpr_queue_ptr 0
		.amdhsa_user_sgpr_kernarg_segment_ptr 1
		.amdhsa_user_sgpr_dispatch_id 0
		.amdhsa_user_sgpr_private_segment_size 0
		.amdhsa_wavefront_size32 1
		.amdhsa_uses_dynamic_stack 0
		.amdhsa_enable_private_segment 0
		.amdhsa_system_sgpr_workgroup_id_x 1
		.amdhsa_system_sgpr_workgroup_id_y 0
		.amdhsa_system_sgpr_workgroup_id_z 0
		.amdhsa_system_sgpr_workgroup_info 0
		.amdhsa_system_vgpr_workitem_id 0
		.amdhsa_next_free_vgpr 1
		.amdhsa_next_free_sgpr 1
		.amdhsa_reserve_vcc 0
		.amdhsa_float_round_mode_32 0
		.amdhsa_float_round_mode_16_64 0
		.amdhsa_float_denorm_mode_32 3
		.amdhsa_float_denorm_mode_16_64 3
		.amdhsa_dx10_clamp 1
		.amdhsa_ieee_mode 1
		.amdhsa_fp16_overflow 0
		.amdhsa_workgroup_processor_mode 1
		.amdhsa_memory_ordered 1
		.amdhsa_forward_progress 0
		.amdhsa_shared_vgpr_count 0
		.amdhsa_exception_fp_ieee_invalid_op 0
		.amdhsa_exception_fp_denorm_src 0
		.amdhsa_exception_fp_ieee_div_zero 0
		.amdhsa_exception_fp_ieee_overflow 0
		.amdhsa_exception_fp_ieee_underflow 0
		.amdhsa_exception_fp_ieee_inexact 0
		.amdhsa_exception_int_div_zero 0
	.end_amdhsa_kernel
	.section	.text._ZN7rocprim17ROCPRIM_400000_NS6detail17trampoline_kernelINS0_14default_configENS1_36segmented_radix_sort_config_selectorIilEEZNS1_25segmented_radix_sort_implIS3_Lb1EPKiPiPKlPlN2at6native12_GLOBAL__N_18offset_tEEE10hipError_tPvRmT1_PNSt15iterator_traitsISK_E10value_typeET2_T3_PNSL_ISQ_E10value_typeET4_jRbjT5_SW_jjP12ihipStream_tbEUlT_E_NS1_11comp_targetILNS1_3genE5ELNS1_11target_archE942ELNS1_3gpuE9ELNS1_3repE0EEENS1_30default_config_static_selectorELNS0_4arch9wavefront6targetE0EEEvSK_,"axG",@progbits,_ZN7rocprim17ROCPRIM_400000_NS6detail17trampoline_kernelINS0_14default_configENS1_36segmented_radix_sort_config_selectorIilEEZNS1_25segmented_radix_sort_implIS3_Lb1EPKiPiPKlPlN2at6native12_GLOBAL__N_18offset_tEEE10hipError_tPvRmT1_PNSt15iterator_traitsISK_E10value_typeET2_T3_PNSL_ISQ_E10value_typeET4_jRbjT5_SW_jjP12ihipStream_tbEUlT_E_NS1_11comp_targetILNS1_3genE5ELNS1_11target_archE942ELNS1_3gpuE9ELNS1_3repE0EEENS1_30default_config_static_selectorELNS0_4arch9wavefront6targetE0EEEvSK_,comdat
.Lfunc_end498:
	.size	_ZN7rocprim17ROCPRIM_400000_NS6detail17trampoline_kernelINS0_14default_configENS1_36segmented_radix_sort_config_selectorIilEEZNS1_25segmented_radix_sort_implIS3_Lb1EPKiPiPKlPlN2at6native12_GLOBAL__N_18offset_tEEE10hipError_tPvRmT1_PNSt15iterator_traitsISK_E10value_typeET2_T3_PNSL_ISQ_E10value_typeET4_jRbjT5_SW_jjP12ihipStream_tbEUlT_E_NS1_11comp_targetILNS1_3genE5ELNS1_11target_archE942ELNS1_3gpuE9ELNS1_3repE0EEENS1_30default_config_static_selectorELNS0_4arch9wavefront6targetE0EEEvSK_, .Lfunc_end498-_ZN7rocprim17ROCPRIM_400000_NS6detail17trampoline_kernelINS0_14default_configENS1_36segmented_radix_sort_config_selectorIilEEZNS1_25segmented_radix_sort_implIS3_Lb1EPKiPiPKlPlN2at6native12_GLOBAL__N_18offset_tEEE10hipError_tPvRmT1_PNSt15iterator_traitsISK_E10value_typeET2_T3_PNSL_ISQ_E10value_typeET4_jRbjT5_SW_jjP12ihipStream_tbEUlT_E_NS1_11comp_targetILNS1_3genE5ELNS1_11target_archE942ELNS1_3gpuE9ELNS1_3repE0EEENS1_30default_config_static_selectorELNS0_4arch9wavefront6targetE0EEEvSK_
                                        ; -- End function
	.section	.AMDGPU.csdata,"",@progbits
; Kernel info:
; codeLenInByte = 0
; NumSgprs: 0
; NumVgprs: 0
; ScratchSize: 0
; MemoryBound: 0
; FloatMode: 240
; IeeeMode: 1
; LDSByteSize: 0 bytes/workgroup (compile time only)
; SGPRBlocks: 0
; VGPRBlocks: 0
; NumSGPRsForWavesPerEU: 1
; NumVGPRsForWavesPerEU: 1
; Occupancy: 16
; WaveLimiterHint : 0
; COMPUTE_PGM_RSRC2:SCRATCH_EN: 0
; COMPUTE_PGM_RSRC2:USER_SGPR: 15
; COMPUTE_PGM_RSRC2:TRAP_HANDLER: 0
; COMPUTE_PGM_RSRC2:TGID_X_EN: 1
; COMPUTE_PGM_RSRC2:TGID_Y_EN: 0
; COMPUTE_PGM_RSRC2:TGID_Z_EN: 0
; COMPUTE_PGM_RSRC2:TIDIG_COMP_CNT: 0
	.section	.text._ZN7rocprim17ROCPRIM_400000_NS6detail17trampoline_kernelINS0_14default_configENS1_36segmented_radix_sort_config_selectorIilEEZNS1_25segmented_radix_sort_implIS3_Lb1EPKiPiPKlPlN2at6native12_GLOBAL__N_18offset_tEEE10hipError_tPvRmT1_PNSt15iterator_traitsISK_E10value_typeET2_T3_PNSL_ISQ_E10value_typeET4_jRbjT5_SW_jjP12ihipStream_tbEUlT_E_NS1_11comp_targetILNS1_3genE4ELNS1_11target_archE910ELNS1_3gpuE8ELNS1_3repE0EEENS1_30default_config_static_selectorELNS0_4arch9wavefront6targetE0EEEvSK_,"axG",@progbits,_ZN7rocprim17ROCPRIM_400000_NS6detail17trampoline_kernelINS0_14default_configENS1_36segmented_radix_sort_config_selectorIilEEZNS1_25segmented_radix_sort_implIS3_Lb1EPKiPiPKlPlN2at6native12_GLOBAL__N_18offset_tEEE10hipError_tPvRmT1_PNSt15iterator_traitsISK_E10value_typeET2_T3_PNSL_ISQ_E10value_typeET4_jRbjT5_SW_jjP12ihipStream_tbEUlT_E_NS1_11comp_targetILNS1_3genE4ELNS1_11target_archE910ELNS1_3gpuE8ELNS1_3repE0EEENS1_30default_config_static_selectorELNS0_4arch9wavefront6targetE0EEEvSK_,comdat
	.globl	_ZN7rocprim17ROCPRIM_400000_NS6detail17trampoline_kernelINS0_14default_configENS1_36segmented_radix_sort_config_selectorIilEEZNS1_25segmented_radix_sort_implIS3_Lb1EPKiPiPKlPlN2at6native12_GLOBAL__N_18offset_tEEE10hipError_tPvRmT1_PNSt15iterator_traitsISK_E10value_typeET2_T3_PNSL_ISQ_E10value_typeET4_jRbjT5_SW_jjP12ihipStream_tbEUlT_E_NS1_11comp_targetILNS1_3genE4ELNS1_11target_archE910ELNS1_3gpuE8ELNS1_3repE0EEENS1_30default_config_static_selectorELNS0_4arch9wavefront6targetE0EEEvSK_ ; -- Begin function _ZN7rocprim17ROCPRIM_400000_NS6detail17trampoline_kernelINS0_14default_configENS1_36segmented_radix_sort_config_selectorIilEEZNS1_25segmented_radix_sort_implIS3_Lb1EPKiPiPKlPlN2at6native12_GLOBAL__N_18offset_tEEE10hipError_tPvRmT1_PNSt15iterator_traitsISK_E10value_typeET2_T3_PNSL_ISQ_E10value_typeET4_jRbjT5_SW_jjP12ihipStream_tbEUlT_E_NS1_11comp_targetILNS1_3genE4ELNS1_11target_archE910ELNS1_3gpuE8ELNS1_3repE0EEENS1_30default_config_static_selectorELNS0_4arch9wavefront6targetE0EEEvSK_
	.p2align	8
	.type	_ZN7rocprim17ROCPRIM_400000_NS6detail17trampoline_kernelINS0_14default_configENS1_36segmented_radix_sort_config_selectorIilEEZNS1_25segmented_radix_sort_implIS3_Lb1EPKiPiPKlPlN2at6native12_GLOBAL__N_18offset_tEEE10hipError_tPvRmT1_PNSt15iterator_traitsISK_E10value_typeET2_T3_PNSL_ISQ_E10value_typeET4_jRbjT5_SW_jjP12ihipStream_tbEUlT_E_NS1_11comp_targetILNS1_3genE4ELNS1_11target_archE910ELNS1_3gpuE8ELNS1_3repE0EEENS1_30default_config_static_selectorELNS0_4arch9wavefront6targetE0EEEvSK_,@function
_ZN7rocprim17ROCPRIM_400000_NS6detail17trampoline_kernelINS0_14default_configENS1_36segmented_radix_sort_config_selectorIilEEZNS1_25segmented_radix_sort_implIS3_Lb1EPKiPiPKlPlN2at6native12_GLOBAL__N_18offset_tEEE10hipError_tPvRmT1_PNSt15iterator_traitsISK_E10value_typeET2_T3_PNSL_ISQ_E10value_typeET4_jRbjT5_SW_jjP12ihipStream_tbEUlT_E_NS1_11comp_targetILNS1_3genE4ELNS1_11target_archE910ELNS1_3gpuE8ELNS1_3repE0EEENS1_30default_config_static_selectorELNS0_4arch9wavefront6targetE0EEEvSK_: ; @_ZN7rocprim17ROCPRIM_400000_NS6detail17trampoline_kernelINS0_14default_configENS1_36segmented_radix_sort_config_selectorIilEEZNS1_25segmented_radix_sort_implIS3_Lb1EPKiPiPKlPlN2at6native12_GLOBAL__N_18offset_tEEE10hipError_tPvRmT1_PNSt15iterator_traitsISK_E10value_typeET2_T3_PNSL_ISQ_E10value_typeET4_jRbjT5_SW_jjP12ihipStream_tbEUlT_E_NS1_11comp_targetILNS1_3genE4ELNS1_11target_archE910ELNS1_3gpuE8ELNS1_3repE0EEENS1_30default_config_static_selectorELNS0_4arch9wavefront6targetE0EEEvSK_
; %bb.0:
	.section	.rodata,"a",@progbits
	.p2align	6, 0x0
	.amdhsa_kernel _ZN7rocprim17ROCPRIM_400000_NS6detail17trampoline_kernelINS0_14default_configENS1_36segmented_radix_sort_config_selectorIilEEZNS1_25segmented_radix_sort_implIS3_Lb1EPKiPiPKlPlN2at6native12_GLOBAL__N_18offset_tEEE10hipError_tPvRmT1_PNSt15iterator_traitsISK_E10value_typeET2_T3_PNSL_ISQ_E10value_typeET4_jRbjT5_SW_jjP12ihipStream_tbEUlT_E_NS1_11comp_targetILNS1_3genE4ELNS1_11target_archE910ELNS1_3gpuE8ELNS1_3repE0EEENS1_30default_config_static_selectorELNS0_4arch9wavefront6targetE0EEEvSK_
		.amdhsa_group_segment_fixed_size 0
		.amdhsa_private_segment_fixed_size 0
		.amdhsa_kernarg_size 96
		.amdhsa_user_sgpr_count 15
		.amdhsa_user_sgpr_dispatch_ptr 0
		.amdhsa_user_sgpr_queue_ptr 0
		.amdhsa_user_sgpr_kernarg_segment_ptr 1
		.amdhsa_user_sgpr_dispatch_id 0
		.amdhsa_user_sgpr_private_segment_size 0
		.amdhsa_wavefront_size32 1
		.amdhsa_uses_dynamic_stack 0
		.amdhsa_enable_private_segment 0
		.amdhsa_system_sgpr_workgroup_id_x 1
		.amdhsa_system_sgpr_workgroup_id_y 0
		.amdhsa_system_sgpr_workgroup_id_z 0
		.amdhsa_system_sgpr_workgroup_info 0
		.amdhsa_system_vgpr_workitem_id 0
		.amdhsa_next_free_vgpr 1
		.amdhsa_next_free_sgpr 1
		.amdhsa_reserve_vcc 0
		.amdhsa_float_round_mode_32 0
		.amdhsa_float_round_mode_16_64 0
		.amdhsa_float_denorm_mode_32 3
		.amdhsa_float_denorm_mode_16_64 3
		.amdhsa_dx10_clamp 1
		.amdhsa_ieee_mode 1
		.amdhsa_fp16_overflow 0
		.amdhsa_workgroup_processor_mode 1
		.amdhsa_memory_ordered 1
		.amdhsa_forward_progress 0
		.amdhsa_shared_vgpr_count 0
		.amdhsa_exception_fp_ieee_invalid_op 0
		.amdhsa_exception_fp_denorm_src 0
		.amdhsa_exception_fp_ieee_div_zero 0
		.amdhsa_exception_fp_ieee_overflow 0
		.amdhsa_exception_fp_ieee_underflow 0
		.amdhsa_exception_fp_ieee_inexact 0
		.amdhsa_exception_int_div_zero 0
	.end_amdhsa_kernel
	.section	.text._ZN7rocprim17ROCPRIM_400000_NS6detail17trampoline_kernelINS0_14default_configENS1_36segmented_radix_sort_config_selectorIilEEZNS1_25segmented_radix_sort_implIS3_Lb1EPKiPiPKlPlN2at6native12_GLOBAL__N_18offset_tEEE10hipError_tPvRmT1_PNSt15iterator_traitsISK_E10value_typeET2_T3_PNSL_ISQ_E10value_typeET4_jRbjT5_SW_jjP12ihipStream_tbEUlT_E_NS1_11comp_targetILNS1_3genE4ELNS1_11target_archE910ELNS1_3gpuE8ELNS1_3repE0EEENS1_30default_config_static_selectorELNS0_4arch9wavefront6targetE0EEEvSK_,"axG",@progbits,_ZN7rocprim17ROCPRIM_400000_NS6detail17trampoline_kernelINS0_14default_configENS1_36segmented_radix_sort_config_selectorIilEEZNS1_25segmented_radix_sort_implIS3_Lb1EPKiPiPKlPlN2at6native12_GLOBAL__N_18offset_tEEE10hipError_tPvRmT1_PNSt15iterator_traitsISK_E10value_typeET2_T3_PNSL_ISQ_E10value_typeET4_jRbjT5_SW_jjP12ihipStream_tbEUlT_E_NS1_11comp_targetILNS1_3genE4ELNS1_11target_archE910ELNS1_3gpuE8ELNS1_3repE0EEENS1_30default_config_static_selectorELNS0_4arch9wavefront6targetE0EEEvSK_,comdat
.Lfunc_end499:
	.size	_ZN7rocprim17ROCPRIM_400000_NS6detail17trampoline_kernelINS0_14default_configENS1_36segmented_radix_sort_config_selectorIilEEZNS1_25segmented_radix_sort_implIS3_Lb1EPKiPiPKlPlN2at6native12_GLOBAL__N_18offset_tEEE10hipError_tPvRmT1_PNSt15iterator_traitsISK_E10value_typeET2_T3_PNSL_ISQ_E10value_typeET4_jRbjT5_SW_jjP12ihipStream_tbEUlT_E_NS1_11comp_targetILNS1_3genE4ELNS1_11target_archE910ELNS1_3gpuE8ELNS1_3repE0EEENS1_30default_config_static_selectorELNS0_4arch9wavefront6targetE0EEEvSK_, .Lfunc_end499-_ZN7rocprim17ROCPRIM_400000_NS6detail17trampoline_kernelINS0_14default_configENS1_36segmented_radix_sort_config_selectorIilEEZNS1_25segmented_radix_sort_implIS3_Lb1EPKiPiPKlPlN2at6native12_GLOBAL__N_18offset_tEEE10hipError_tPvRmT1_PNSt15iterator_traitsISK_E10value_typeET2_T3_PNSL_ISQ_E10value_typeET4_jRbjT5_SW_jjP12ihipStream_tbEUlT_E_NS1_11comp_targetILNS1_3genE4ELNS1_11target_archE910ELNS1_3gpuE8ELNS1_3repE0EEENS1_30default_config_static_selectorELNS0_4arch9wavefront6targetE0EEEvSK_
                                        ; -- End function
	.section	.AMDGPU.csdata,"",@progbits
; Kernel info:
; codeLenInByte = 0
; NumSgprs: 0
; NumVgprs: 0
; ScratchSize: 0
; MemoryBound: 0
; FloatMode: 240
; IeeeMode: 1
; LDSByteSize: 0 bytes/workgroup (compile time only)
; SGPRBlocks: 0
; VGPRBlocks: 0
; NumSGPRsForWavesPerEU: 1
; NumVGPRsForWavesPerEU: 1
; Occupancy: 16
; WaveLimiterHint : 0
; COMPUTE_PGM_RSRC2:SCRATCH_EN: 0
; COMPUTE_PGM_RSRC2:USER_SGPR: 15
; COMPUTE_PGM_RSRC2:TRAP_HANDLER: 0
; COMPUTE_PGM_RSRC2:TGID_X_EN: 1
; COMPUTE_PGM_RSRC2:TGID_Y_EN: 0
; COMPUTE_PGM_RSRC2:TGID_Z_EN: 0
; COMPUTE_PGM_RSRC2:TIDIG_COMP_CNT: 0
	.section	.text._ZN7rocprim17ROCPRIM_400000_NS6detail17trampoline_kernelINS0_14default_configENS1_36segmented_radix_sort_config_selectorIilEEZNS1_25segmented_radix_sort_implIS3_Lb1EPKiPiPKlPlN2at6native12_GLOBAL__N_18offset_tEEE10hipError_tPvRmT1_PNSt15iterator_traitsISK_E10value_typeET2_T3_PNSL_ISQ_E10value_typeET4_jRbjT5_SW_jjP12ihipStream_tbEUlT_E_NS1_11comp_targetILNS1_3genE3ELNS1_11target_archE908ELNS1_3gpuE7ELNS1_3repE0EEENS1_30default_config_static_selectorELNS0_4arch9wavefront6targetE0EEEvSK_,"axG",@progbits,_ZN7rocprim17ROCPRIM_400000_NS6detail17trampoline_kernelINS0_14default_configENS1_36segmented_radix_sort_config_selectorIilEEZNS1_25segmented_radix_sort_implIS3_Lb1EPKiPiPKlPlN2at6native12_GLOBAL__N_18offset_tEEE10hipError_tPvRmT1_PNSt15iterator_traitsISK_E10value_typeET2_T3_PNSL_ISQ_E10value_typeET4_jRbjT5_SW_jjP12ihipStream_tbEUlT_E_NS1_11comp_targetILNS1_3genE3ELNS1_11target_archE908ELNS1_3gpuE7ELNS1_3repE0EEENS1_30default_config_static_selectorELNS0_4arch9wavefront6targetE0EEEvSK_,comdat
	.globl	_ZN7rocprim17ROCPRIM_400000_NS6detail17trampoline_kernelINS0_14default_configENS1_36segmented_radix_sort_config_selectorIilEEZNS1_25segmented_radix_sort_implIS3_Lb1EPKiPiPKlPlN2at6native12_GLOBAL__N_18offset_tEEE10hipError_tPvRmT1_PNSt15iterator_traitsISK_E10value_typeET2_T3_PNSL_ISQ_E10value_typeET4_jRbjT5_SW_jjP12ihipStream_tbEUlT_E_NS1_11comp_targetILNS1_3genE3ELNS1_11target_archE908ELNS1_3gpuE7ELNS1_3repE0EEENS1_30default_config_static_selectorELNS0_4arch9wavefront6targetE0EEEvSK_ ; -- Begin function _ZN7rocprim17ROCPRIM_400000_NS6detail17trampoline_kernelINS0_14default_configENS1_36segmented_radix_sort_config_selectorIilEEZNS1_25segmented_radix_sort_implIS3_Lb1EPKiPiPKlPlN2at6native12_GLOBAL__N_18offset_tEEE10hipError_tPvRmT1_PNSt15iterator_traitsISK_E10value_typeET2_T3_PNSL_ISQ_E10value_typeET4_jRbjT5_SW_jjP12ihipStream_tbEUlT_E_NS1_11comp_targetILNS1_3genE3ELNS1_11target_archE908ELNS1_3gpuE7ELNS1_3repE0EEENS1_30default_config_static_selectorELNS0_4arch9wavefront6targetE0EEEvSK_
	.p2align	8
	.type	_ZN7rocprim17ROCPRIM_400000_NS6detail17trampoline_kernelINS0_14default_configENS1_36segmented_radix_sort_config_selectorIilEEZNS1_25segmented_radix_sort_implIS3_Lb1EPKiPiPKlPlN2at6native12_GLOBAL__N_18offset_tEEE10hipError_tPvRmT1_PNSt15iterator_traitsISK_E10value_typeET2_T3_PNSL_ISQ_E10value_typeET4_jRbjT5_SW_jjP12ihipStream_tbEUlT_E_NS1_11comp_targetILNS1_3genE3ELNS1_11target_archE908ELNS1_3gpuE7ELNS1_3repE0EEENS1_30default_config_static_selectorELNS0_4arch9wavefront6targetE0EEEvSK_,@function
_ZN7rocprim17ROCPRIM_400000_NS6detail17trampoline_kernelINS0_14default_configENS1_36segmented_radix_sort_config_selectorIilEEZNS1_25segmented_radix_sort_implIS3_Lb1EPKiPiPKlPlN2at6native12_GLOBAL__N_18offset_tEEE10hipError_tPvRmT1_PNSt15iterator_traitsISK_E10value_typeET2_T3_PNSL_ISQ_E10value_typeET4_jRbjT5_SW_jjP12ihipStream_tbEUlT_E_NS1_11comp_targetILNS1_3genE3ELNS1_11target_archE908ELNS1_3gpuE7ELNS1_3repE0EEENS1_30default_config_static_selectorELNS0_4arch9wavefront6targetE0EEEvSK_: ; @_ZN7rocprim17ROCPRIM_400000_NS6detail17trampoline_kernelINS0_14default_configENS1_36segmented_radix_sort_config_selectorIilEEZNS1_25segmented_radix_sort_implIS3_Lb1EPKiPiPKlPlN2at6native12_GLOBAL__N_18offset_tEEE10hipError_tPvRmT1_PNSt15iterator_traitsISK_E10value_typeET2_T3_PNSL_ISQ_E10value_typeET4_jRbjT5_SW_jjP12ihipStream_tbEUlT_E_NS1_11comp_targetILNS1_3genE3ELNS1_11target_archE908ELNS1_3gpuE7ELNS1_3repE0EEENS1_30default_config_static_selectorELNS0_4arch9wavefront6targetE0EEEvSK_
; %bb.0:
	.section	.rodata,"a",@progbits
	.p2align	6, 0x0
	.amdhsa_kernel _ZN7rocprim17ROCPRIM_400000_NS6detail17trampoline_kernelINS0_14default_configENS1_36segmented_radix_sort_config_selectorIilEEZNS1_25segmented_radix_sort_implIS3_Lb1EPKiPiPKlPlN2at6native12_GLOBAL__N_18offset_tEEE10hipError_tPvRmT1_PNSt15iterator_traitsISK_E10value_typeET2_T3_PNSL_ISQ_E10value_typeET4_jRbjT5_SW_jjP12ihipStream_tbEUlT_E_NS1_11comp_targetILNS1_3genE3ELNS1_11target_archE908ELNS1_3gpuE7ELNS1_3repE0EEENS1_30default_config_static_selectorELNS0_4arch9wavefront6targetE0EEEvSK_
		.amdhsa_group_segment_fixed_size 0
		.amdhsa_private_segment_fixed_size 0
		.amdhsa_kernarg_size 96
		.amdhsa_user_sgpr_count 15
		.amdhsa_user_sgpr_dispatch_ptr 0
		.amdhsa_user_sgpr_queue_ptr 0
		.amdhsa_user_sgpr_kernarg_segment_ptr 1
		.amdhsa_user_sgpr_dispatch_id 0
		.amdhsa_user_sgpr_private_segment_size 0
		.amdhsa_wavefront_size32 1
		.amdhsa_uses_dynamic_stack 0
		.amdhsa_enable_private_segment 0
		.amdhsa_system_sgpr_workgroup_id_x 1
		.amdhsa_system_sgpr_workgroup_id_y 0
		.amdhsa_system_sgpr_workgroup_id_z 0
		.amdhsa_system_sgpr_workgroup_info 0
		.amdhsa_system_vgpr_workitem_id 0
		.amdhsa_next_free_vgpr 1
		.amdhsa_next_free_sgpr 1
		.amdhsa_reserve_vcc 0
		.amdhsa_float_round_mode_32 0
		.amdhsa_float_round_mode_16_64 0
		.amdhsa_float_denorm_mode_32 3
		.amdhsa_float_denorm_mode_16_64 3
		.amdhsa_dx10_clamp 1
		.amdhsa_ieee_mode 1
		.amdhsa_fp16_overflow 0
		.amdhsa_workgroup_processor_mode 1
		.amdhsa_memory_ordered 1
		.amdhsa_forward_progress 0
		.amdhsa_shared_vgpr_count 0
		.amdhsa_exception_fp_ieee_invalid_op 0
		.amdhsa_exception_fp_denorm_src 0
		.amdhsa_exception_fp_ieee_div_zero 0
		.amdhsa_exception_fp_ieee_overflow 0
		.amdhsa_exception_fp_ieee_underflow 0
		.amdhsa_exception_fp_ieee_inexact 0
		.amdhsa_exception_int_div_zero 0
	.end_amdhsa_kernel
	.section	.text._ZN7rocprim17ROCPRIM_400000_NS6detail17trampoline_kernelINS0_14default_configENS1_36segmented_radix_sort_config_selectorIilEEZNS1_25segmented_radix_sort_implIS3_Lb1EPKiPiPKlPlN2at6native12_GLOBAL__N_18offset_tEEE10hipError_tPvRmT1_PNSt15iterator_traitsISK_E10value_typeET2_T3_PNSL_ISQ_E10value_typeET4_jRbjT5_SW_jjP12ihipStream_tbEUlT_E_NS1_11comp_targetILNS1_3genE3ELNS1_11target_archE908ELNS1_3gpuE7ELNS1_3repE0EEENS1_30default_config_static_selectorELNS0_4arch9wavefront6targetE0EEEvSK_,"axG",@progbits,_ZN7rocprim17ROCPRIM_400000_NS6detail17trampoline_kernelINS0_14default_configENS1_36segmented_radix_sort_config_selectorIilEEZNS1_25segmented_radix_sort_implIS3_Lb1EPKiPiPKlPlN2at6native12_GLOBAL__N_18offset_tEEE10hipError_tPvRmT1_PNSt15iterator_traitsISK_E10value_typeET2_T3_PNSL_ISQ_E10value_typeET4_jRbjT5_SW_jjP12ihipStream_tbEUlT_E_NS1_11comp_targetILNS1_3genE3ELNS1_11target_archE908ELNS1_3gpuE7ELNS1_3repE0EEENS1_30default_config_static_selectorELNS0_4arch9wavefront6targetE0EEEvSK_,comdat
.Lfunc_end500:
	.size	_ZN7rocprim17ROCPRIM_400000_NS6detail17trampoline_kernelINS0_14default_configENS1_36segmented_radix_sort_config_selectorIilEEZNS1_25segmented_radix_sort_implIS3_Lb1EPKiPiPKlPlN2at6native12_GLOBAL__N_18offset_tEEE10hipError_tPvRmT1_PNSt15iterator_traitsISK_E10value_typeET2_T3_PNSL_ISQ_E10value_typeET4_jRbjT5_SW_jjP12ihipStream_tbEUlT_E_NS1_11comp_targetILNS1_3genE3ELNS1_11target_archE908ELNS1_3gpuE7ELNS1_3repE0EEENS1_30default_config_static_selectorELNS0_4arch9wavefront6targetE0EEEvSK_, .Lfunc_end500-_ZN7rocprim17ROCPRIM_400000_NS6detail17trampoline_kernelINS0_14default_configENS1_36segmented_radix_sort_config_selectorIilEEZNS1_25segmented_radix_sort_implIS3_Lb1EPKiPiPKlPlN2at6native12_GLOBAL__N_18offset_tEEE10hipError_tPvRmT1_PNSt15iterator_traitsISK_E10value_typeET2_T3_PNSL_ISQ_E10value_typeET4_jRbjT5_SW_jjP12ihipStream_tbEUlT_E_NS1_11comp_targetILNS1_3genE3ELNS1_11target_archE908ELNS1_3gpuE7ELNS1_3repE0EEENS1_30default_config_static_selectorELNS0_4arch9wavefront6targetE0EEEvSK_
                                        ; -- End function
	.section	.AMDGPU.csdata,"",@progbits
; Kernel info:
; codeLenInByte = 0
; NumSgprs: 0
; NumVgprs: 0
; ScratchSize: 0
; MemoryBound: 0
; FloatMode: 240
; IeeeMode: 1
; LDSByteSize: 0 bytes/workgroup (compile time only)
; SGPRBlocks: 0
; VGPRBlocks: 0
; NumSGPRsForWavesPerEU: 1
; NumVGPRsForWavesPerEU: 1
; Occupancy: 16
; WaveLimiterHint : 0
; COMPUTE_PGM_RSRC2:SCRATCH_EN: 0
; COMPUTE_PGM_RSRC2:USER_SGPR: 15
; COMPUTE_PGM_RSRC2:TRAP_HANDLER: 0
; COMPUTE_PGM_RSRC2:TGID_X_EN: 1
; COMPUTE_PGM_RSRC2:TGID_Y_EN: 0
; COMPUTE_PGM_RSRC2:TGID_Z_EN: 0
; COMPUTE_PGM_RSRC2:TIDIG_COMP_CNT: 0
	.section	.text._ZN7rocprim17ROCPRIM_400000_NS6detail17trampoline_kernelINS0_14default_configENS1_36segmented_radix_sort_config_selectorIilEEZNS1_25segmented_radix_sort_implIS3_Lb1EPKiPiPKlPlN2at6native12_GLOBAL__N_18offset_tEEE10hipError_tPvRmT1_PNSt15iterator_traitsISK_E10value_typeET2_T3_PNSL_ISQ_E10value_typeET4_jRbjT5_SW_jjP12ihipStream_tbEUlT_E_NS1_11comp_targetILNS1_3genE2ELNS1_11target_archE906ELNS1_3gpuE6ELNS1_3repE0EEENS1_30default_config_static_selectorELNS0_4arch9wavefront6targetE0EEEvSK_,"axG",@progbits,_ZN7rocprim17ROCPRIM_400000_NS6detail17trampoline_kernelINS0_14default_configENS1_36segmented_radix_sort_config_selectorIilEEZNS1_25segmented_radix_sort_implIS3_Lb1EPKiPiPKlPlN2at6native12_GLOBAL__N_18offset_tEEE10hipError_tPvRmT1_PNSt15iterator_traitsISK_E10value_typeET2_T3_PNSL_ISQ_E10value_typeET4_jRbjT5_SW_jjP12ihipStream_tbEUlT_E_NS1_11comp_targetILNS1_3genE2ELNS1_11target_archE906ELNS1_3gpuE6ELNS1_3repE0EEENS1_30default_config_static_selectorELNS0_4arch9wavefront6targetE0EEEvSK_,comdat
	.globl	_ZN7rocprim17ROCPRIM_400000_NS6detail17trampoline_kernelINS0_14default_configENS1_36segmented_radix_sort_config_selectorIilEEZNS1_25segmented_radix_sort_implIS3_Lb1EPKiPiPKlPlN2at6native12_GLOBAL__N_18offset_tEEE10hipError_tPvRmT1_PNSt15iterator_traitsISK_E10value_typeET2_T3_PNSL_ISQ_E10value_typeET4_jRbjT5_SW_jjP12ihipStream_tbEUlT_E_NS1_11comp_targetILNS1_3genE2ELNS1_11target_archE906ELNS1_3gpuE6ELNS1_3repE0EEENS1_30default_config_static_selectorELNS0_4arch9wavefront6targetE0EEEvSK_ ; -- Begin function _ZN7rocprim17ROCPRIM_400000_NS6detail17trampoline_kernelINS0_14default_configENS1_36segmented_radix_sort_config_selectorIilEEZNS1_25segmented_radix_sort_implIS3_Lb1EPKiPiPKlPlN2at6native12_GLOBAL__N_18offset_tEEE10hipError_tPvRmT1_PNSt15iterator_traitsISK_E10value_typeET2_T3_PNSL_ISQ_E10value_typeET4_jRbjT5_SW_jjP12ihipStream_tbEUlT_E_NS1_11comp_targetILNS1_3genE2ELNS1_11target_archE906ELNS1_3gpuE6ELNS1_3repE0EEENS1_30default_config_static_selectorELNS0_4arch9wavefront6targetE0EEEvSK_
	.p2align	8
	.type	_ZN7rocprim17ROCPRIM_400000_NS6detail17trampoline_kernelINS0_14default_configENS1_36segmented_radix_sort_config_selectorIilEEZNS1_25segmented_radix_sort_implIS3_Lb1EPKiPiPKlPlN2at6native12_GLOBAL__N_18offset_tEEE10hipError_tPvRmT1_PNSt15iterator_traitsISK_E10value_typeET2_T3_PNSL_ISQ_E10value_typeET4_jRbjT5_SW_jjP12ihipStream_tbEUlT_E_NS1_11comp_targetILNS1_3genE2ELNS1_11target_archE906ELNS1_3gpuE6ELNS1_3repE0EEENS1_30default_config_static_selectorELNS0_4arch9wavefront6targetE0EEEvSK_,@function
_ZN7rocprim17ROCPRIM_400000_NS6detail17trampoline_kernelINS0_14default_configENS1_36segmented_radix_sort_config_selectorIilEEZNS1_25segmented_radix_sort_implIS3_Lb1EPKiPiPKlPlN2at6native12_GLOBAL__N_18offset_tEEE10hipError_tPvRmT1_PNSt15iterator_traitsISK_E10value_typeET2_T3_PNSL_ISQ_E10value_typeET4_jRbjT5_SW_jjP12ihipStream_tbEUlT_E_NS1_11comp_targetILNS1_3genE2ELNS1_11target_archE906ELNS1_3gpuE6ELNS1_3repE0EEENS1_30default_config_static_selectorELNS0_4arch9wavefront6targetE0EEEvSK_: ; @_ZN7rocprim17ROCPRIM_400000_NS6detail17trampoline_kernelINS0_14default_configENS1_36segmented_radix_sort_config_selectorIilEEZNS1_25segmented_radix_sort_implIS3_Lb1EPKiPiPKlPlN2at6native12_GLOBAL__N_18offset_tEEE10hipError_tPvRmT1_PNSt15iterator_traitsISK_E10value_typeET2_T3_PNSL_ISQ_E10value_typeET4_jRbjT5_SW_jjP12ihipStream_tbEUlT_E_NS1_11comp_targetILNS1_3genE2ELNS1_11target_archE906ELNS1_3gpuE6ELNS1_3repE0EEENS1_30default_config_static_selectorELNS0_4arch9wavefront6targetE0EEEvSK_
; %bb.0:
	.section	.rodata,"a",@progbits
	.p2align	6, 0x0
	.amdhsa_kernel _ZN7rocprim17ROCPRIM_400000_NS6detail17trampoline_kernelINS0_14default_configENS1_36segmented_radix_sort_config_selectorIilEEZNS1_25segmented_radix_sort_implIS3_Lb1EPKiPiPKlPlN2at6native12_GLOBAL__N_18offset_tEEE10hipError_tPvRmT1_PNSt15iterator_traitsISK_E10value_typeET2_T3_PNSL_ISQ_E10value_typeET4_jRbjT5_SW_jjP12ihipStream_tbEUlT_E_NS1_11comp_targetILNS1_3genE2ELNS1_11target_archE906ELNS1_3gpuE6ELNS1_3repE0EEENS1_30default_config_static_selectorELNS0_4arch9wavefront6targetE0EEEvSK_
		.amdhsa_group_segment_fixed_size 0
		.amdhsa_private_segment_fixed_size 0
		.amdhsa_kernarg_size 96
		.amdhsa_user_sgpr_count 15
		.amdhsa_user_sgpr_dispatch_ptr 0
		.amdhsa_user_sgpr_queue_ptr 0
		.amdhsa_user_sgpr_kernarg_segment_ptr 1
		.amdhsa_user_sgpr_dispatch_id 0
		.amdhsa_user_sgpr_private_segment_size 0
		.amdhsa_wavefront_size32 1
		.amdhsa_uses_dynamic_stack 0
		.amdhsa_enable_private_segment 0
		.amdhsa_system_sgpr_workgroup_id_x 1
		.amdhsa_system_sgpr_workgroup_id_y 0
		.amdhsa_system_sgpr_workgroup_id_z 0
		.amdhsa_system_sgpr_workgroup_info 0
		.amdhsa_system_vgpr_workitem_id 0
		.amdhsa_next_free_vgpr 1
		.amdhsa_next_free_sgpr 1
		.amdhsa_reserve_vcc 0
		.amdhsa_float_round_mode_32 0
		.amdhsa_float_round_mode_16_64 0
		.amdhsa_float_denorm_mode_32 3
		.amdhsa_float_denorm_mode_16_64 3
		.amdhsa_dx10_clamp 1
		.amdhsa_ieee_mode 1
		.amdhsa_fp16_overflow 0
		.amdhsa_workgroup_processor_mode 1
		.amdhsa_memory_ordered 1
		.amdhsa_forward_progress 0
		.amdhsa_shared_vgpr_count 0
		.amdhsa_exception_fp_ieee_invalid_op 0
		.amdhsa_exception_fp_denorm_src 0
		.amdhsa_exception_fp_ieee_div_zero 0
		.amdhsa_exception_fp_ieee_overflow 0
		.amdhsa_exception_fp_ieee_underflow 0
		.amdhsa_exception_fp_ieee_inexact 0
		.amdhsa_exception_int_div_zero 0
	.end_amdhsa_kernel
	.section	.text._ZN7rocprim17ROCPRIM_400000_NS6detail17trampoline_kernelINS0_14default_configENS1_36segmented_radix_sort_config_selectorIilEEZNS1_25segmented_radix_sort_implIS3_Lb1EPKiPiPKlPlN2at6native12_GLOBAL__N_18offset_tEEE10hipError_tPvRmT1_PNSt15iterator_traitsISK_E10value_typeET2_T3_PNSL_ISQ_E10value_typeET4_jRbjT5_SW_jjP12ihipStream_tbEUlT_E_NS1_11comp_targetILNS1_3genE2ELNS1_11target_archE906ELNS1_3gpuE6ELNS1_3repE0EEENS1_30default_config_static_selectorELNS0_4arch9wavefront6targetE0EEEvSK_,"axG",@progbits,_ZN7rocprim17ROCPRIM_400000_NS6detail17trampoline_kernelINS0_14default_configENS1_36segmented_radix_sort_config_selectorIilEEZNS1_25segmented_radix_sort_implIS3_Lb1EPKiPiPKlPlN2at6native12_GLOBAL__N_18offset_tEEE10hipError_tPvRmT1_PNSt15iterator_traitsISK_E10value_typeET2_T3_PNSL_ISQ_E10value_typeET4_jRbjT5_SW_jjP12ihipStream_tbEUlT_E_NS1_11comp_targetILNS1_3genE2ELNS1_11target_archE906ELNS1_3gpuE6ELNS1_3repE0EEENS1_30default_config_static_selectorELNS0_4arch9wavefront6targetE0EEEvSK_,comdat
.Lfunc_end501:
	.size	_ZN7rocprim17ROCPRIM_400000_NS6detail17trampoline_kernelINS0_14default_configENS1_36segmented_radix_sort_config_selectorIilEEZNS1_25segmented_radix_sort_implIS3_Lb1EPKiPiPKlPlN2at6native12_GLOBAL__N_18offset_tEEE10hipError_tPvRmT1_PNSt15iterator_traitsISK_E10value_typeET2_T3_PNSL_ISQ_E10value_typeET4_jRbjT5_SW_jjP12ihipStream_tbEUlT_E_NS1_11comp_targetILNS1_3genE2ELNS1_11target_archE906ELNS1_3gpuE6ELNS1_3repE0EEENS1_30default_config_static_selectorELNS0_4arch9wavefront6targetE0EEEvSK_, .Lfunc_end501-_ZN7rocprim17ROCPRIM_400000_NS6detail17trampoline_kernelINS0_14default_configENS1_36segmented_radix_sort_config_selectorIilEEZNS1_25segmented_radix_sort_implIS3_Lb1EPKiPiPKlPlN2at6native12_GLOBAL__N_18offset_tEEE10hipError_tPvRmT1_PNSt15iterator_traitsISK_E10value_typeET2_T3_PNSL_ISQ_E10value_typeET4_jRbjT5_SW_jjP12ihipStream_tbEUlT_E_NS1_11comp_targetILNS1_3genE2ELNS1_11target_archE906ELNS1_3gpuE6ELNS1_3repE0EEENS1_30default_config_static_selectorELNS0_4arch9wavefront6targetE0EEEvSK_
                                        ; -- End function
	.section	.AMDGPU.csdata,"",@progbits
; Kernel info:
; codeLenInByte = 0
; NumSgprs: 0
; NumVgprs: 0
; ScratchSize: 0
; MemoryBound: 0
; FloatMode: 240
; IeeeMode: 1
; LDSByteSize: 0 bytes/workgroup (compile time only)
; SGPRBlocks: 0
; VGPRBlocks: 0
; NumSGPRsForWavesPerEU: 1
; NumVGPRsForWavesPerEU: 1
; Occupancy: 16
; WaveLimiterHint : 0
; COMPUTE_PGM_RSRC2:SCRATCH_EN: 0
; COMPUTE_PGM_RSRC2:USER_SGPR: 15
; COMPUTE_PGM_RSRC2:TRAP_HANDLER: 0
; COMPUTE_PGM_RSRC2:TGID_X_EN: 1
; COMPUTE_PGM_RSRC2:TGID_Y_EN: 0
; COMPUTE_PGM_RSRC2:TGID_Z_EN: 0
; COMPUTE_PGM_RSRC2:TIDIG_COMP_CNT: 0
	.section	.text._ZN7rocprim17ROCPRIM_400000_NS6detail17trampoline_kernelINS0_14default_configENS1_36segmented_radix_sort_config_selectorIilEEZNS1_25segmented_radix_sort_implIS3_Lb1EPKiPiPKlPlN2at6native12_GLOBAL__N_18offset_tEEE10hipError_tPvRmT1_PNSt15iterator_traitsISK_E10value_typeET2_T3_PNSL_ISQ_E10value_typeET4_jRbjT5_SW_jjP12ihipStream_tbEUlT_E_NS1_11comp_targetILNS1_3genE10ELNS1_11target_archE1201ELNS1_3gpuE5ELNS1_3repE0EEENS1_30default_config_static_selectorELNS0_4arch9wavefront6targetE0EEEvSK_,"axG",@progbits,_ZN7rocprim17ROCPRIM_400000_NS6detail17trampoline_kernelINS0_14default_configENS1_36segmented_radix_sort_config_selectorIilEEZNS1_25segmented_radix_sort_implIS3_Lb1EPKiPiPKlPlN2at6native12_GLOBAL__N_18offset_tEEE10hipError_tPvRmT1_PNSt15iterator_traitsISK_E10value_typeET2_T3_PNSL_ISQ_E10value_typeET4_jRbjT5_SW_jjP12ihipStream_tbEUlT_E_NS1_11comp_targetILNS1_3genE10ELNS1_11target_archE1201ELNS1_3gpuE5ELNS1_3repE0EEENS1_30default_config_static_selectorELNS0_4arch9wavefront6targetE0EEEvSK_,comdat
	.globl	_ZN7rocprim17ROCPRIM_400000_NS6detail17trampoline_kernelINS0_14default_configENS1_36segmented_radix_sort_config_selectorIilEEZNS1_25segmented_radix_sort_implIS3_Lb1EPKiPiPKlPlN2at6native12_GLOBAL__N_18offset_tEEE10hipError_tPvRmT1_PNSt15iterator_traitsISK_E10value_typeET2_T3_PNSL_ISQ_E10value_typeET4_jRbjT5_SW_jjP12ihipStream_tbEUlT_E_NS1_11comp_targetILNS1_3genE10ELNS1_11target_archE1201ELNS1_3gpuE5ELNS1_3repE0EEENS1_30default_config_static_selectorELNS0_4arch9wavefront6targetE0EEEvSK_ ; -- Begin function _ZN7rocprim17ROCPRIM_400000_NS6detail17trampoline_kernelINS0_14default_configENS1_36segmented_radix_sort_config_selectorIilEEZNS1_25segmented_radix_sort_implIS3_Lb1EPKiPiPKlPlN2at6native12_GLOBAL__N_18offset_tEEE10hipError_tPvRmT1_PNSt15iterator_traitsISK_E10value_typeET2_T3_PNSL_ISQ_E10value_typeET4_jRbjT5_SW_jjP12ihipStream_tbEUlT_E_NS1_11comp_targetILNS1_3genE10ELNS1_11target_archE1201ELNS1_3gpuE5ELNS1_3repE0EEENS1_30default_config_static_selectorELNS0_4arch9wavefront6targetE0EEEvSK_
	.p2align	8
	.type	_ZN7rocprim17ROCPRIM_400000_NS6detail17trampoline_kernelINS0_14default_configENS1_36segmented_radix_sort_config_selectorIilEEZNS1_25segmented_radix_sort_implIS3_Lb1EPKiPiPKlPlN2at6native12_GLOBAL__N_18offset_tEEE10hipError_tPvRmT1_PNSt15iterator_traitsISK_E10value_typeET2_T3_PNSL_ISQ_E10value_typeET4_jRbjT5_SW_jjP12ihipStream_tbEUlT_E_NS1_11comp_targetILNS1_3genE10ELNS1_11target_archE1201ELNS1_3gpuE5ELNS1_3repE0EEENS1_30default_config_static_selectorELNS0_4arch9wavefront6targetE0EEEvSK_,@function
_ZN7rocprim17ROCPRIM_400000_NS6detail17trampoline_kernelINS0_14default_configENS1_36segmented_radix_sort_config_selectorIilEEZNS1_25segmented_radix_sort_implIS3_Lb1EPKiPiPKlPlN2at6native12_GLOBAL__N_18offset_tEEE10hipError_tPvRmT1_PNSt15iterator_traitsISK_E10value_typeET2_T3_PNSL_ISQ_E10value_typeET4_jRbjT5_SW_jjP12ihipStream_tbEUlT_E_NS1_11comp_targetILNS1_3genE10ELNS1_11target_archE1201ELNS1_3gpuE5ELNS1_3repE0EEENS1_30default_config_static_selectorELNS0_4arch9wavefront6targetE0EEEvSK_: ; @_ZN7rocprim17ROCPRIM_400000_NS6detail17trampoline_kernelINS0_14default_configENS1_36segmented_radix_sort_config_selectorIilEEZNS1_25segmented_radix_sort_implIS3_Lb1EPKiPiPKlPlN2at6native12_GLOBAL__N_18offset_tEEE10hipError_tPvRmT1_PNSt15iterator_traitsISK_E10value_typeET2_T3_PNSL_ISQ_E10value_typeET4_jRbjT5_SW_jjP12ihipStream_tbEUlT_E_NS1_11comp_targetILNS1_3genE10ELNS1_11target_archE1201ELNS1_3gpuE5ELNS1_3repE0EEENS1_30default_config_static_selectorELNS0_4arch9wavefront6targetE0EEEvSK_
; %bb.0:
	.section	.rodata,"a",@progbits
	.p2align	6, 0x0
	.amdhsa_kernel _ZN7rocprim17ROCPRIM_400000_NS6detail17trampoline_kernelINS0_14default_configENS1_36segmented_radix_sort_config_selectorIilEEZNS1_25segmented_radix_sort_implIS3_Lb1EPKiPiPKlPlN2at6native12_GLOBAL__N_18offset_tEEE10hipError_tPvRmT1_PNSt15iterator_traitsISK_E10value_typeET2_T3_PNSL_ISQ_E10value_typeET4_jRbjT5_SW_jjP12ihipStream_tbEUlT_E_NS1_11comp_targetILNS1_3genE10ELNS1_11target_archE1201ELNS1_3gpuE5ELNS1_3repE0EEENS1_30default_config_static_selectorELNS0_4arch9wavefront6targetE0EEEvSK_
		.amdhsa_group_segment_fixed_size 0
		.amdhsa_private_segment_fixed_size 0
		.amdhsa_kernarg_size 96
		.amdhsa_user_sgpr_count 15
		.amdhsa_user_sgpr_dispatch_ptr 0
		.amdhsa_user_sgpr_queue_ptr 0
		.amdhsa_user_sgpr_kernarg_segment_ptr 1
		.amdhsa_user_sgpr_dispatch_id 0
		.amdhsa_user_sgpr_private_segment_size 0
		.amdhsa_wavefront_size32 1
		.amdhsa_uses_dynamic_stack 0
		.amdhsa_enable_private_segment 0
		.amdhsa_system_sgpr_workgroup_id_x 1
		.amdhsa_system_sgpr_workgroup_id_y 0
		.amdhsa_system_sgpr_workgroup_id_z 0
		.amdhsa_system_sgpr_workgroup_info 0
		.amdhsa_system_vgpr_workitem_id 0
		.amdhsa_next_free_vgpr 1
		.amdhsa_next_free_sgpr 1
		.amdhsa_reserve_vcc 0
		.amdhsa_float_round_mode_32 0
		.amdhsa_float_round_mode_16_64 0
		.amdhsa_float_denorm_mode_32 3
		.amdhsa_float_denorm_mode_16_64 3
		.amdhsa_dx10_clamp 1
		.amdhsa_ieee_mode 1
		.amdhsa_fp16_overflow 0
		.amdhsa_workgroup_processor_mode 1
		.amdhsa_memory_ordered 1
		.amdhsa_forward_progress 0
		.amdhsa_shared_vgpr_count 0
		.amdhsa_exception_fp_ieee_invalid_op 0
		.amdhsa_exception_fp_denorm_src 0
		.amdhsa_exception_fp_ieee_div_zero 0
		.amdhsa_exception_fp_ieee_overflow 0
		.amdhsa_exception_fp_ieee_underflow 0
		.amdhsa_exception_fp_ieee_inexact 0
		.amdhsa_exception_int_div_zero 0
	.end_amdhsa_kernel
	.section	.text._ZN7rocprim17ROCPRIM_400000_NS6detail17trampoline_kernelINS0_14default_configENS1_36segmented_radix_sort_config_selectorIilEEZNS1_25segmented_radix_sort_implIS3_Lb1EPKiPiPKlPlN2at6native12_GLOBAL__N_18offset_tEEE10hipError_tPvRmT1_PNSt15iterator_traitsISK_E10value_typeET2_T3_PNSL_ISQ_E10value_typeET4_jRbjT5_SW_jjP12ihipStream_tbEUlT_E_NS1_11comp_targetILNS1_3genE10ELNS1_11target_archE1201ELNS1_3gpuE5ELNS1_3repE0EEENS1_30default_config_static_selectorELNS0_4arch9wavefront6targetE0EEEvSK_,"axG",@progbits,_ZN7rocprim17ROCPRIM_400000_NS6detail17trampoline_kernelINS0_14default_configENS1_36segmented_radix_sort_config_selectorIilEEZNS1_25segmented_radix_sort_implIS3_Lb1EPKiPiPKlPlN2at6native12_GLOBAL__N_18offset_tEEE10hipError_tPvRmT1_PNSt15iterator_traitsISK_E10value_typeET2_T3_PNSL_ISQ_E10value_typeET4_jRbjT5_SW_jjP12ihipStream_tbEUlT_E_NS1_11comp_targetILNS1_3genE10ELNS1_11target_archE1201ELNS1_3gpuE5ELNS1_3repE0EEENS1_30default_config_static_selectorELNS0_4arch9wavefront6targetE0EEEvSK_,comdat
.Lfunc_end502:
	.size	_ZN7rocprim17ROCPRIM_400000_NS6detail17trampoline_kernelINS0_14default_configENS1_36segmented_radix_sort_config_selectorIilEEZNS1_25segmented_radix_sort_implIS3_Lb1EPKiPiPKlPlN2at6native12_GLOBAL__N_18offset_tEEE10hipError_tPvRmT1_PNSt15iterator_traitsISK_E10value_typeET2_T3_PNSL_ISQ_E10value_typeET4_jRbjT5_SW_jjP12ihipStream_tbEUlT_E_NS1_11comp_targetILNS1_3genE10ELNS1_11target_archE1201ELNS1_3gpuE5ELNS1_3repE0EEENS1_30default_config_static_selectorELNS0_4arch9wavefront6targetE0EEEvSK_, .Lfunc_end502-_ZN7rocprim17ROCPRIM_400000_NS6detail17trampoline_kernelINS0_14default_configENS1_36segmented_radix_sort_config_selectorIilEEZNS1_25segmented_radix_sort_implIS3_Lb1EPKiPiPKlPlN2at6native12_GLOBAL__N_18offset_tEEE10hipError_tPvRmT1_PNSt15iterator_traitsISK_E10value_typeET2_T3_PNSL_ISQ_E10value_typeET4_jRbjT5_SW_jjP12ihipStream_tbEUlT_E_NS1_11comp_targetILNS1_3genE10ELNS1_11target_archE1201ELNS1_3gpuE5ELNS1_3repE0EEENS1_30default_config_static_selectorELNS0_4arch9wavefront6targetE0EEEvSK_
                                        ; -- End function
	.section	.AMDGPU.csdata,"",@progbits
; Kernel info:
; codeLenInByte = 0
; NumSgprs: 0
; NumVgprs: 0
; ScratchSize: 0
; MemoryBound: 0
; FloatMode: 240
; IeeeMode: 1
; LDSByteSize: 0 bytes/workgroup (compile time only)
; SGPRBlocks: 0
; VGPRBlocks: 0
; NumSGPRsForWavesPerEU: 1
; NumVGPRsForWavesPerEU: 1
; Occupancy: 16
; WaveLimiterHint : 0
; COMPUTE_PGM_RSRC2:SCRATCH_EN: 0
; COMPUTE_PGM_RSRC2:USER_SGPR: 15
; COMPUTE_PGM_RSRC2:TRAP_HANDLER: 0
; COMPUTE_PGM_RSRC2:TGID_X_EN: 1
; COMPUTE_PGM_RSRC2:TGID_Y_EN: 0
; COMPUTE_PGM_RSRC2:TGID_Z_EN: 0
; COMPUTE_PGM_RSRC2:TIDIG_COMP_CNT: 0
	.section	.text._ZN7rocprim17ROCPRIM_400000_NS6detail17trampoline_kernelINS0_14default_configENS1_36segmented_radix_sort_config_selectorIilEEZNS1_25segmented_radix_sort_implIS3_Lb1EPKiPiPKlPlN2at6native12_GLOBAL__N_18offset_tEEE10hipError_tPvRmT1_PNSt15iterator_traitsISK_E10value_typeET2_T3_PNSL_ISQ_E10value_typeET4_jRbjT5_SW_jjP12ihipStream_tbEUlT_E_NS1_11comp_targetILNS1_3genE10ELNS1_11target_archE1200ELNS1_3gpuE4ELNS1_3repE0EEENS1_30default_config_static_selectorELNS0_4arch9wavefront6targetE0EEEvSK_,"axG",@progbits,_ZN7rocprim17ROCPRIM_400000_NS6detail17trampoline_kernelINS0_14default_configENS1_36segmented_radix_sort_config_selectorIilEEZNS1_25segmented_radix_sort_implIS3_Lb1EPKiPiPKlPlN2at6native12_GLOBAL__N_18offset_tEEE10hipError_tPvRmT1_PNSt15iterator_traitsISK_E10value_typeET2_T3_PNSL_ISQ_E10value_typeET4_jRbjT5_SW_jjP12ihipStream_tbEUlT_E_NS1_11comp_targetILNS1_3genE10ELNS1_11target_archE1200ELNS1_3gpuE4ELNS1_3repE0EEENS1_30default_config_static_selectorELNS0_4arch9wavefront6targetE0EEEvSK_,comdat
	.globl	_ZN7rocprim17ROCPRIM_400000_NS6detail17trampoline_kernelINS0_14default_configENS1_36segmented_radix_sort_config_selectorIilEEZNS1_25segmented_radix_sort_implIS3_Lb1EPKiPiPKlPlN2at6native12_GLOBAL__N_18offset_tEEE10hipError_tPvRmT1_PNSt15iterator_traitsISK_E10value_typeET2_T3_PNSL_ISQ_E10value_typeET4_jRbjT5_SW_jjP12ihipStream_tbEUlT_E_NS1_11comp_targetILNS1_3genE10ELNS1_11target_archE1200ELNS1_3gpuE4ELNS1_3repE0EEENS1_30default_config_static_selectorELNS0_4arch9wavefront6targetE0EEEvSK_ ; -- Begin function _ZN7rocprim17ROCPRIM_400000_NS6detail17trampoline_kernelINS0_14default_configENS1_36segmented_radix_sort_config_selectorIilEEZNS1_25segmented_radix_sort_implIS3_Lb1EPKiPiPKlPlN2at6native12_GLOBAL__N_18offset_tEEE10hipError_tPvRmT1_PNSt15iterator_traitsISK_E10value_typeET2_T3_PNSL_ISQ_E10value_typeET4_jRbjT5_SW_jjP12ihipStream_tbEUlT_E_NS1_11comp_targetILNS1_3genE10ELNS1_11target_archE1200ELNS1_3gpuE4ELNS1_3repE0EEENS1_30default_config_static_selectorELNS0_4arch9wavefront6targetE0EEEvSK_
	.p2align	8
	.type	_ZN7rocprim17ROCPRIM_400000_NS6detail17trampoline_kernelINS0_14default_configENS1_36segmented_radix_sort_config_selectorIilEEZNS1_25segmented_radix_sort_implIS3_Lb1EPKiPiPKlPlN2at6native12_GLOBAL__N_18offset_tEEE10hipError_tPvRmT1_PNSt15iterator_traitsISK_E10value_typeET2_T3_PNSL_ISQ_E10value_typeET4_jRbjT5_SW_jjP12ihipStream_tbEUlT_E_NS1_11comp_targetILNS1_3genE10ELNS1_11target_archE1200ELNS1_3gpuE4ELNS1_3repE0EEENS1_30default_config_static_selectorELNS0_4arch9wavefront6targetE0EEEvSK_,@function
_ZN7rocprim17ROCPRIM_400000_NS6detail17trampoline_kernelINS0_14default_configENS1_36segmented_radix_sort_config_selectorIilEEZNS1_25segmented_radix_sort_implIS3_Lb1EPKiPiPKlPlN2at6native12_GLOBAL__N_18offset_tEEE10hipError_tPvRmT1_PNSt15iterator_traitsISK_E10value_typeET2_T3_PNSL_ISQ_E10value_typeET4_jRbjT5_SW_jjP12ihipStream_tbEUlT_E_NS1_11comp_targetILNS1_3genE10ELNS1_11target_archE1200ELNS1_3gpuE4ELNS1_3repE0EEENS1_30default_config_static_selectorELNS0_4arch9wavefront6targetE0EEEvSK_: ; @_ZN7rocprim17ROCPRIM_400000_NS6detail17trampoline_kernelINS0_14default_configENS1_36segmented_radix_sort_config_selectorIilEEZNS1_25segmented_radix_sort_implIS3_Lb1EPKiPiPKlPlN2at6native12_GLOBAL__N_18offset_tEEE10hipError_tPvRmT1_PNSt15iterator_traitsISK_E10value_typeET2_T3_PNSL_ISQ_E10value_typeET4_jRbjT5_SW_jjP12ihipStream_tbEUlT_E_NS1_11comp_targetILNS1_3genE10ELNS1_11target_archE1200ELNS1_3gpuE4ELNS1_3repE0EEENS1_30default_config_static_selectorELNS0_4arch9wavefront6targetE0EEEvSK_
; %bb.0:
	.section	.rodata,"a",@progbits
	.p2align	6, 0x0
	.amdhsa_kernel _ZN7rocprim17ROCPRIM_400000_NS6detail17trampoline_kernelINS0_14default_configENS1_36segmented_radix_sort_config_selectorIilEEZNS1_25segmented_radix_sort_implIS3_Lb1EPKiPiPKlPlN2at6native12_GLOBAL__N_18offset_tEEE10hipError_tPvRmT1_PNSt15iterator_traitsISK_E10value_typeET2_T3_PNSL_ISQ_E10value_typeET4_jRbjT5_SW_jjP12ihipStream_tbEUlT_E_NS1_11comp_targetILNS1_3genE10ELNS1_11target_archE1200ELNS1_3gpuE4ELNS1_3repE0EEENS1_30default_config_static_selectorELNS0_4arch9wavefront6targetE0EEEvSK_
		.amdhsa_group_segment_fixed_size 0
		.amdhsa_private_segment_fixed_size 0
		.amdhsa_kernarg_size 96
		.amdhsa_user_sgpr_count 15
		.amdhsa_user_sgpr_dispatch_ptr 0
		.amdhsa_user_sgpr_queue_ptr 0
		.amdhsa_user_sgpr_kernarg_segment_ptr 1
		.amdhsa_user_sgpr_dispatch_id 0
		.amdhsa_user_sgpr_private_segment_size 0
		.amdhsa_wavefront_size32 1
		.amdhsa_uses_dynamic_stack 0
		.amdhsa_enable_private_segment 0
		.amdhsa_system_sgpr_workgroup_id_x 1
		.amdhsa_system_sgpr_workgroup_id_y 0
		.amdhsa_system_sgpr_workgroup_id_z 0
		.amdhsa_system_sgpr_workgroup_info 0
		.amdhsa_system_vgpr_workitem_id 0
		.amdhsa_next_free_vgpr 1
		.amdhsa_next_free_sgpr 1
		.amdhsa_reserve_vcc 0
		.amdhsa_float_round_mode_32 0
		.amdhsa_float_round_mode_16_64 0
		.amdhsa_float_denorm_mode_32 3
		.amdhsa_float_denorm_mode_16_64 3
		.amdhsa_dx10_clamp 1
		.amdhsa_ieee_mode 1
		.amdhsa_fp16_overflow 0
		.amdhsa_workgroup_processor_mode 1
		.amdhsa_memory_ordered 1
		.amdhsa_forward_progress 0
		.amdhsa_shared_vgpr_count 0
		.amdhsa_exception_fp_ieee_invalid_op 0
		.amdhsa_exception_fp_denorm_src 0
		.amdhsa_exception_fp_ieee_div_zero 0
		.amdhsa_exception_fp_ieee_overflow 0
		.amdhsa_exception_fp_ieee_underflow 0
		.amdhsa_exception_fp_ieee_inexact 0
		.amdhsa_exception_int_div_zero 0
	.end_amdhsa_kernel
	.section	.text._ZN7rocprim17ROCPRIM_400000_NS6detail17trampoline_kernelINS0_14default_configENS1_36segmented_radix_sort_config_selectorIilEEZNS1_25segmented_radix_sort_implIS3_Lb1EPKiPiPKlPlN2at6native12_GLOBAL__N_18offset_tEEE10hipError_tPvRmT1_PNSt15iterator_traitsISK_E10value_typeET2_T3_PNSL_ISQ_E10value_typeET4_jRbjT5_SW_jjP12ihipStream_tbEUlT_E_NS1_11comp_targetILNS1_3genE10ELNS1_11target_archE1200ELNS1_3gpuE4ELNS1_3repE0EEENS1_30default_config_static_selectorELNS0_4arch9wavefront6targetE0EEEvSK_,"axG",@progbits,_ZN7rocprim17ROCPRIM_400000_NS6detail17trampoline_kernelINS0_14default_configENS1_36segmented_radix_sort_config_selectorIilEEZNS1_25segmented_radix_sort_implIS3_Lb1EPKiPiPKlPlN2at6native12_GLOBAL__N_18offset_tEEE10hipError_tPvRmT1_PNSt15iterator_traitsISK_E10value_typeET2_T3_PNSL_ISQ_E10value_typeET4_jRbjT5_SW_jjP12ihipStream_tbEUlT_E_NS1_11comp_targetILNS1_3genE10ELNS1_11target_archE1200ELNS1_3gpuE4ELNS1_3repE0EEENS1_30default_config_static_selectorELNS0_4arch9wavefront6targetE0EEEvSK_,comdat
.Lfunc_end503:
	.size	_ZN7rocprim17ROCPRIM_400000_NS6detail17trampoline_kernelINS0_14default_configENS1_36segmented_radix_sort_config_selectorIilEEZNS1_25segmented_radix_sort_implIS3_Lb1EPKiPiPKlPlN2at6native12_GLOBAL__N_18offset_tEEE10hipError_tPvRmT1_PNSt15iterator_traitsISK_E10value_typeET2_T3_PNSL_ISQ_E10value_typeET4_jRbjT5_SW_jjP12ihipStream_tbEUlT_E_NS1_11comp_targetILNS1_3genE10ELNS1_11target_archE1200ELNS1_3gpuE4ELNS1_3repE0EEENS1_30default_config_static_selectorELNS0_4arch9wavefront6targetE0EEEvSK_, .Lfunc_end503-_ZN7rocprim17ROCPRIM_400000_NS6detail17trampoline_kernelINS0_14default_configENS1_36segmented_radix_sort_config_selectorIilEEZNS1_25segmented_radix_sort_implIS3_Lb1EPKiPiPKlPlN2at6native12_GLOBAL__N_18offset_tEEE10hipError_tPvRmT1_PNSt15iterator_traitsISK_E10value_typeET2_T3_PNSL_ISQ_E10value_typeET4_jRbjT5_SW_jjP12ihipStream_tbEUlT_E_NS1_11comp_targetILNS1_3genE10ELNS1_11target_archE1200ELNS1_3gpuE4ELNS1_3repE0EEENS1_30default_config_static_selectorELNS0_4arch9wavefront6targetE0EEEvSK_
                                        ; -- End function
	.section	.AMDGPU.csdata,"",@progbits
; Kernel info:
; codeLenInByte = 0
; NumSgprs: 0
; NumVgprs: 0
; ScratchSize: 0
; MemoryBound: 0
; FloatMode: 240
; IeeeMode: 1
; LDSByteSize: 0 bytes/workgroup (compile time only)
; SGPRBlocks: 0
; VGPRBlocks: 0
; NumSGPRsForWavesPerEU: 1
; NumVGPRsForWavesPerEU: 1
; Occupancy: 16
; WaveLimiterHint : 0
; COMPUTE_PGM_RSRC2:SCRATCH_EN: 0
; COMPUTE_PGM_RSRC2:USER_SGPR: 15
; COMPUTE_PGM_RSRC2:TRAP_HANDLER: 0
; COMPUTE_PGM_RSRC2:TGID_X_EN: 1
; COMPUTE_PGM_RSRC2:TGID_Y_EN: 0
; COMPUTE_PGM_RSRC2:TGID_Z_EN: 0
; COMPUTE_PGM_RSRC2:TIDIG_COMP_CNT: 0
	.text
	.p2align	2                               ; -- Begin function _ZN7rocprim17ROCPRIM_400000_NS6detail40segmented_radix_sort_single_block_helperIilLj256ELj16ELb1EE4sortIPKiPiPKlPlEEbT_T0_T1_T2_jjjjRNS3_12storage_typeE
	.type	_ZN7rocprim17ROCPRIM_400000_NS6detail40segmented_radix_sort_single_block_helperIilLj256ELj16ELb1EE4sortIPKiPiPKlPlEEbT_T0_T1_T2_jjjjRNS3_12storage_typeE,@function
_ZN7rocprim17ROCPRIM_400000_NS6detail40segmented_radix_sort_single_block_helperIilLj256ELj16ELb1EE4sortIPKiPiPKlPlEEbT_T0_T1_T2_jjjjRNS3_12storage_typeE: ; @_ZN7rocprim17ROCPRIM_400000_NS6detail40segmented_radix_sort_single_block_helperIilLj256ELj16ELb1EE4sortIPKiPiPKlPlEEbT_T0_T1_T2_jjjjRNS3_12storage_typeE
; %bb.0:
	s_waitcnt vmcnt(0) expcnt(0) lgkmcnt(0)
	s_or_saveexec_b32 s0, -1
	scratch_store_b32 off, v206, s32 offset:344 ; 4-byte Folded Spill
	s_mov_b32 exec_lo, s0
	s_clause 0x1f
	scratch_store_b32 off, v40, s32 offset:340
	; meta instruction
	scratch_store_b32 off, v41, s32 offset:336
	; meta instruction
	;; [unrolled: 2-line block ×31, first 2 shown]
	scratch_store_b32 off, v95, s32 offset:216
	s_clause 0x1f
	scratch_store_b32 off, v104, s32 offset:212
	; meta instruction
	scratch_store_b32 off, v105, s32 offset:208
	; meta instruction
	;; [unrolled: 2-line block ×31, first 2 shown]
	scratch_store_b32 off, v159, s32 offset:88
	s_clause 0x15
	scratch_store_b32 off, v168, s32 offset:84
	; meta instruction
	scratch_store_b32 off, v169, s32 offset:80
	; meta instruction
	;; [unrolled: 2-line block ×21, first 2 shown]
	scratch_store_b32 off, v205, s32
	v_writelane_b32 v206, s36, 0
	v_writelane_b32 v206, s37, 1
	;; [unrolled: 1-line block ×8, first 2 shown]
	v_sub_nc_u32_e32 v47, v9, v8
	s_mov_b32 s24, exec_lo
	s_delay_alu instid0(VALU_DEP_1)
	v_cmpx_gt_u32_e32 0x1001, v47
	s_cbranch_execz .LBB504_372
; %bb.1:
	v_bfe_u32 v14, v31, 10, 10
	v_bfe_u32 v15, v31, 20, 10
	v_and_b32_e32 v26, 0x3ff, v31
	v_mbcnt_lo_u32_b32 v37, -1, 0
	s_mov_b32 s0, exec_lo
	v_cmpx_lt_u32_e32 0x800, v47
	s_xor_b32 s25, exec_lo, s0
	s_cbranch_execz .LBB504_143
; %bb.2:
	s_load_b64 s[0:1], s[8:9], 0x0
	v_mov_b32_e32 v9, 0
	s_waitcnt lgkmcnt(0)
	s_cmp_lt_u32 s13, s1
	s_cselect_b32 s1, 14, 20
	s_delay_alu instid0(SALU_CYCLE_1) | instskip(SKIP_4) | instid1(SALU_CYCLE_1)
	s_add_u32 s2, s8, s1
	s_addc_u32 s3, s9, 0
	s_cmp_lt_u32 s12, s0
	global_load_u16 v16, v9, s[2:3]
	s_cselect_b32 s0, 12, 18
	s_add_u32 s0, s8, s0
	s_addc_u32 s1, s9, 0
	global_load_u16 v17, v9, s[0:1]
	s_waitcnt vmcnt(1)
	v_mad_u32_u24 v14, v15, v16, v14
	v_bfrev_b32_e32 v16, 1
	s_waitcnt vmcnt(0)
	s_delay_alu instid0(VALU_DEP_2) | instskip(SKIP_1) | instid1(VALU_DEP_2)
	v_mad_u64_u32 v[27:28], null, v14, v17, v[26:27]
	v_lshlrev_b32_e32 v17, 2, v37
	v_lshlrev_b32_e32 v14, 4, v27
	v_lshlrev_b64 v[29:30], 2, v[8:9]
	s_delay_alu instid0(VALU_DEP_2) | instskip(NEXT) | instid1(VALU_DEP_2)
	v_dual_mov_b32 v15, v9 :: v_dual_and_b32 v14, 0xfffffe00, v14
	v_add_co_u32 v18, vcc_lo, v0, v29
	s_delay_alu instid0(VALU_DEP_3) | instskip(NEXT) | instid1(VALU_DEP_3)
	v_add_co_ci_u32_e32 v19, vcc_lo, v1, v30, vcc_lo
	v_lshlrev_b64 v[0:1], 2, v[14:15]
	s_delay_alu instid0(VALU_DEP_3) | instskip(SKIP_1) | instid1(VALU_DEP_4)
	v_add_co_u32 v17, vcc_lo, v18, v17
	v_or_b32_e32 v36, v14, v37
	v_add_co_ci_u32_e32 v18, vcc_lo, 0, v19, vcc_lo
	s_delay_alu instid0(VALU_DEP_3) | instskip(NEXT) | instid1(VALU_DEP_3)
	v_add_co_u32 v0, s0, v17, v0
	v_cmp_lt_u32_e32 vcc_lo, v36, v47
	s_delay_alu instid0(VALU_DEP_3)
	v_add_co_ci_u32_e64 v1, s0, v18, v1, s0
	v_bfrev_b32_e32 v17, 1
	s_and_saveexec_b32 s0, vcc_lo
	s_cbranch_execz .LBB504_4
; %bb.3:
	flat_load_b32 v17, v[0:1]
.LBB504_4:
	s_or_b32 exec_lo, exec_lo, s0
	v_or_b32_e32 v18, 32, v36
	s_delay_alu instid0(VALU_DEP_1) | instskip(NEXT) | instid1(VALU_DEP_1)
	v_cmp_lt_u32_e64 s0, v18, v47
	s_and_saveexec_b32 s1, s0
	s_cbranch_execz .LBB504_6
; %bb.5:
	flat_load_b32 v16, v[0:1] offset:128
.LBB504_6:
	s_or_b32 exec_lo, exec_lo, s1
	v_or_b32_e32 v19, 64, v36
	v_bfrev_b32_e32 v18, 1
	s_delay_alu instid0(VALU_DEP_2) | instskip(SKIP_1) | instid1(VALU_DEP_2)
	v_cmp_lt_u32_e64 s1, v19, v47
	v_bfrev_b32_e32 v19, 1
	s_and_saveexec_b32 s2, s1
	s_cbranch_execz .LBB504_8
; %bb.7:
	flat_load_b32 v19, v[0:1] offset:256
.LBB504_8:
	s_or_b32 exec_lo, exec_lo, s2
	v_or_b32_e32 v20, 0x60, v36
	s_delay_alu instid0(VALU_DEP_1) | instskip(NEXT) | instid1(VALU_DEP_1)
	v_cmp_lt_u32_e64 s2, v20, v47
	s_and_saveexec_b32 s3, s2
	s_cbranch_execz .LBB504_10
; %bb.9:
	flat_load_b32 v18, v[0:1] offset:384
.LBB504_10:
	s_or_b32 exec_lo, exec_lo, s3
	v_or_b32_e32 v21, 0x80, v36
	v_bfrev_b32_e32 v20, 1
	s_delay_alu instid0(VALU_DEP_2) | instskip(SKIP_1) | instid1(VALU_DEP_2)
	v_cmp_lt_u32_e64 s3, v21, v47
	v_bfrev_b32_e32 v21, 1
	s_and_saveexec_b32 s4, s3
	s_cbranch_execz .LBB504_12
; %bb.11:
	flat_load_b32 v21, v[0:1] offset:512
.LBB504_12:
	;; [unrolled: 20-line block ×7, first 2 shown]
	s_or_b32 exec_lo, exec_lo, s18
	v_or_b32_e32 v36, 0x1e0, v36
	s_delay_alu instid0(VALU_DEP_1) | instskip(NEXT) | instid1(VALU_DEP_1)
	v_cmp_lt_u32_e64 s18, v36, v47
	s_and_saveexec_b32 s19, s18
	s_cbranch_execz .LBB504_34
; %bb.33:
	flat_load_b32 v34, v[0:1] offset:1920
.LBB504_34:
	s_or_b32 exec_lo, exec_lo, s19
	v_lshlrev_b64 v[0:1], 3, v[8:9]
	v_lshlrev_b32_e32 v8, 3, v37
                                        ; implicit-def: $vgpr162_vgpr163
	s_delay_alu instid0(VALU_DEP_2) | instskip(NEXT) | instid1(VALU_DEP_1)
	v_add_co_u32 v9, s19, v4, v0
	v_add_co_ci_u32_e64 v36, s19, v5, v1, s19
	v_lshlrev_b64 v[4:5], 3, v[14:15]
	s_delay_alu instid0(VALU_DEP_3) | instskip(NEXT) | instid1(VALU_DEP_1)
	v_add_co_u32 v8, s19, v9, v8
	v_add_co_ci_u32_e64 v9, s19, 0, v36, s19
	s_delay_alu instid0(VALU_DEP_2) | instskip(NEXT) | instid1(VALU_DEP_1)
	v_add_co_u32 v4, s19, v8, v4
	v_add_co_ci_u32_e64 v5, s19, v9, v5, s19
	s_and_saveexec_b32 s19, vcc_lo
	s_cbranch_execnz .LBB504_196
; %bb.35:
	s_or_b32 exec_lo, exec_lo, s19
                                        ; implicit-def: $vgpr164_vgpr165
	s_and_saveexec_b32 s19, s0
	s_cbranch_execnz .LBB504_197
.LBB504_36:
	s_or_b32 exec_lo, exec_lo, s19
                                        ; implicit-def: $vgpr166_vgpr167
	s_and_saveexec_b32 s0, s1
	s_cbranch_execnz .LBB504_198
.LBB504_37:
	s_or_b32 exec_lo, exec_lo, s0
                                        ; implicit-def: $vgpr176_vgpr177
	s_and_saveexec_b32 s0, s2
	s_cbranch_execnz .LBB504_199
.LBB504_38:
	s_or_b32 exec_lo, exec_lo, s0
                                        ; implicit-def: $vgpr178_vgpr179
	s_and_saveexec_b32 s0, s3
	s_cbranch_execnz .LBB504_200
.LBB504_39:
	s_or_b32 exec_lo, exec_lo, s0
                                        ; implicit-def: $vgpr180_vgpr181
	s_and_saveexec_b32 s0, s4
	s_cbranch_execnz .LBB504_201
.LBB504_40:
	s_or_b32 exec_lo, exec_lo, s0
                                        ; implicit-def: $vgpr182_vgpr183
	s_and_saveexec_b32 s0, s5
	s_cbranch_execnz .LBB504_202
.LBB504_41:
	s_or_b32 exec_lo, exec_lo, s0
                                        ; implicit-def: $vgpr192_vgpr193
	s_and_saveexec_b32 s0, s6
	s_cbranch_execnz .LBB504_203
.LBB504_42:
	s_or_b32 exec_lo, exec_lo, s0
                                        ; implicit-def: $vgpr194_vgpr195
	s_and_saveexec_b32 s0, s7
	s_cbranch_execnz .LBB504_204
.LBB504_43:
	s_or_b32 exec_lo, exec_lo, s0
                                        ; implicit-def: $vgpr196_vgpr197
	s_and_saveexec_b32 s0, s10
	s_cbranch_execnz .LBB504_205
.LBB504_44:
	s_or_b32 exec_lo, exec_lo, s0
                                        ; implicit-def: $vgpr198_vgpr199
	s_and_saveexec_b32 s0, s11
	s_cbranch_execnz .LBB504_206
.LBB504_45:
	s_or_b32 exec_lo, exec_lo, s0
                                        ; implicit-def: $vgpr208_vgpr209
	s_and_saveexec_b32 s0, s14
	s_cbranch_execnz .LBB504_207
.LBB504_46:
	s_or_b32 exec_lo, exec_lo, s0
                                        ; implicit-def: $vgpr210_vgpr211
	s_and_saveexec_b32 s0, s15
	s_cbranch_execnz .LBB504_208
.LBB504_47:
	s_or_b32 exec_lo, exec_lo, s0
                                        ; implicit-def: $vgpr212_vgpr213
	s_and_saveexec_b32 s0, s16
	s_cbranch_execnz .LBB504_209
.LBB504_48:
	s_or_b32 exec_lo, exec_lo, s0
                                        ; implicit-def: $vgpr214_vgpr215
	s_and_saveexec_b32 s0, s17
	s_cbranch_execnz .LBB504_210
.LBB504_49:
	s_or_b32 exec_lo, exec_lo, s0
                                        ; implicit-def: $vgpr224_vgpr225
	s_and_saveexec_b32 s0, s18
	s_cbranch_execz .LBB504_51
.LBB504_50:
	flat_load_b64 v[224:225], v[4:5] offset:3840
.LBB504_51:
	s_or_b32 exec_lo, exec_lo, s0
	v_dual_mov_b32 v5, 0 :: v_dual_lshlrev_b32 v4, 5, v26
	s_mov_b32 s20, 0
	s_waitcnt vmcnt(0) lgkmcnt(0)
	v_xor_b32_e32 v191, 0x7fffffff, v28
	v_add_co_u32 v28, vcc_lo, v12, 32
	s_mov_b32 s21, s20
	s_mov_b32 s22, s20
	;; [unrolled: 1-line block ×3, first 2 shown]
	v_and_b32_e32 v9, 0x3e0, v26
	v_add_co_ci_u32_e32 v138, vcc_lo, 0, v13, vcc_lo
	v_add_co_u32 v66, vcc_lo, v12, v4
	v_add_nc_u32_e32 v14, -1, v37
	v_add_co_ci_u32_e32 v67, vcc_lo, 0, v13, vcc_lo
	v_add_co_u32 v70, vcc_lo, v28, v4
	v_min_u32_e32 v4, 0xe0, v9
	v_and_b32_e32 v9, 16, v37
	v_and_b32_e32 v8, 15, v37
	v_cmp_gt_i32_e64 s4, 0, v14
	s_getpc_b64 s[0:1]
	s_add_u32 s0, s0, _ZN7rocprim17ROCPRIM_400000_NS16block_radix_sortIiLj256ELj16ElLj1ELj1ELj8ELNS0_26block_radix_rank_algorithmE2ELNS0_18block_padding_hintE2ELNS0_4arch9wavefront6targetE0EE19radix_bits_per_passE@rel32@lo+4
	s_addc_u32 s1, s1, _ZN7rocprim17ROCPRIM_400000_NS16block_radix_sortIiLj256ELj16ElLj1ELj1ELj8ELNS0_26block_radix_rank_algorithmE2ELNS0_18block_padding_hintE2ELNS0_4arch9wavefront6targetE0EE19radix_bits_per_passE@rel32@hi+12
	v_or_b32_e32 v4, 31, v4
	v_cmp_eq_u32_e64 s3, 0, v9
	v_lshrrev_b32_e32 v9, 5, v26
	v_add_co_ci_u32_e32 v71, vcc_lo, 0, v138, vcc_lo
	s_load_b32 s19, s[0:1], 0x0
	v_cmp_eq_u32_e32 vcc_lo, 0, v8
	v_cmp_lt_u32_e64 s0, 1, v8
	v_cmp_lt_u32_e64 s1, 3, v8
	;; [unrolled: 1-line block ×3, first 2 shown]
	v_cndmask_b32_e64 v8, v14, v37, s4
	v_lshlrev_b32_e32 v14, 4, v26
	v_cmp_eq_u32_e64 s4, v4, v26
	v_lshlrev_b32_e32 v4, 2, v9
	v_and_b32_e32 v15, 7, v37
	v_lshlrev_b32_e32 v140, 2, v8
	v_and_or_b32 v14, 0x3e00, v14, v37
	v_lshlrev_b32_e32 v8, 2, v26
	v_add_co_u32 v100, s11, v12, v4
	v_add_nc_u32_e32 v4, -1, v9
	s_delay_alu instid0(VALU_DEP_4) | instskip(SKIP_2) | instid1(VALU_DEP_4)
	v_lshlrev_b32_e32 v14, 2, v14
	v_add_co_ci_u32_e64 v101, s11, 0, v13, s11
	v_add_co_u32 v48, s11, v12, v8
	v_lshlrev_b64 v[8:9], 2, v[4:5]
	s_delay_alu instid0(VALU_DEP_4) | instskip(NEXT) | instid1(VALU_DEP_1)
	v_add_co_u32 v102, s16, v12, v14
	v_add_co_ci_u32_e64 v103, s16, 0, v13, s16
	v_add_co_ci_u32_e64 v49, s11, 0, v13, s11
	s_delay_alu instid0(VALU_DEP_4) | instskip(NEXT) | instid1(VALU_DEP_1)
	v_add_co_u32 v112, s16, v12, v8
	v_add_co_ci_u32_e64 v113, s16, v13, v9, s16
	v_add_co_u32 v114, s16, v102, v14
	v_xor_b32_e32 v205, 0x7fffffff, v17
	v_xor_b32_e32 v204, 0x7fffffff, v16
	v_cmp_eq_u32_e64 s11, 0, v15
	v_cmp_lt_u32_e64 s14, 1, v15
	v_cmp_lt_u32_e64 s15, 3, v15
	v_dual_mov_b32 v14, s20 :: v_dual_mov_b32 v15, s21
	v_xor_b32_e32 v189, 0x7fffffff, v19
	v_xor_b32_e32 v186, 0x7fffffff, v18
	;; [unrolled: 1-line block ×13, first 2 shown]
	v_lshrrev_b32_e32 v139, 5, v27
	v_cmp_gt_u32_e64 s5, 8, v26
	v_cmp_lt_u32_e64 s6, 31, v26
	v_cmp_eq_u32_e64 s7, 0, v37
	v_cmp_eq_u32_e64 s10, 0, v26
	v_add_co_ci_u32_e64 v115, s16, 0, v103, s16
	v_sub_nc_u32_e32 v141, v11, v10
	v_dual_mov_b32 v16, s22 :: v_dual_mov_b32 v17, s23
	s_waitcnt lgkmcnt(0)
	s_waitcnt_vscnt null, 0x0
	s_barrier
	buffer_gl0_inv
	s_branch .LBB504_53
.LBB504_52:                             ;   in Loop: Header=BB504_53 Depth=1
	s_or_b32 exec_lo, exec_lo, s17
	s_delay_alu instid0(SALU_CYCLE_1) | instskip(NEXT) | instid1(SALU_CYCLE_1)
	s_and_b32 s16, exec_lo, s18
	s_or_b32 s20, s16, s20
	s_delay_alu instid0(SALU_CYCLE_1)
	s_and_not1_b32 exec_lo, exec_lo, s20
	s_cbranch_execz .LBB504_93
.LBB504_53:                             ; =>This Inner Loop Header: Depth=1
	v_min_u32_e32 v4, s19, v141
	v_mov_b32_e32 v142, v205
	v_dual_mov_b32 v98, v166 :: v_dual_mov_b32 v99, v167
	v_dual_mov_b32 v52, v198 :: v_dual_mov_b32 v31, v208
	s_delay_alu instid0(VALU_DEP_4) | instskip(NEXT) | instid1(VALU_DEP_4)
	v_lshlrev_b32_e64 v4, v4, -1
	v_lshrrev_b32_e32 v8, v10, v142
	v_mov_b32_e32 v84, v176
	v_mov_b32_e32 v68, v178
	;; [unrolled: 1-line block ×3, first 2 shown]
	v_not_b32_e32 v18, v4
	v_mov_b32_e32 v80, v182
	v_mov_b32_e32 v64, v192
	v_dual_mov_b32 v50, v194 :: v_dual_mov_b32 v53, v199
	s_delay_alu instid0(VALU_DEP_4) | instskip(SKIP_3) | instid1(VALU_DEP_4)
	v_and_b32_e32 v4, v8, v18
	v_mov_b32_e32 v32, v209
	v_dual_mov_b32 v8, v210 :: v_dual_mov_b32 v35, v212
	v_mov_b32_e32 v143, v204
	v_and_b32_e32 v19, 1, v4
	v_lshlrev_b32_e32 v20, 30, v4
	v_dual_mov_b32 v153, v186 :: v_dual_lshlrev_b32 v22, 29, v4
	v_dual_mov_b32 v36, v213 :: v_dual_mov_b32 v33, v214
	s_delay_alu instid0(VALU_DEP_4) | instskip(NEXT) | instid1(VALU_DEP_1)
	v_add_co_u32 v19, s16, v19, -1
	v_cndmask_b32_e64 v21, 0, 1, s16
	v_not_b32_e32 v23, v20
	v_dual_mov_b32 v34, v215 :: v_dual_mov_b32 v37, v224
	v_mov_b32_e32 v38, v225
	s_delay_alu instid0(VALU_DEP_4)
	v_cmp_ne_u32_e64 s16, 0, v21
	v_lshlrev_b32_e32 v21, 28, v4
	v_cmp_gt_i32_e64 s17, 0, v20
	v_not_b32_e32 v20, v22
	v_ashrrev_i32_e32 v23, 31, v23
	v_xor_b32_e32 v19, s16, v19
	v_cmp_gt_i32_e64 s16, 0, v22
	v_not_b32_e32 v22, v21
	v_ashrrev_i32_e32 v20, 31, v20
	v_xor_b32_e32 v23, s17, v23
	v_dual_mov_b32 v152, v189 :: v_dual_and_b32 v19, exec_lo, v19
	v_dual_mov_b32 v159, v184 :: v_dual_lshlrev_b32 v24, 27, v4
	v_cmp_gt_i32_e64 s17, 0, v21
	v_ashrrev_i32_e32 v21, 31, v22
	v_xor_b32_e32 v20, s16, v20
	v_dual_mov_b32 v158, v185 :: v_dual_and_b32 v19, v19, v23
	v_not_b32_e32 v22, v24
	v_dual_mov_b32 v170, v174 :: v_dual_lshlrev_b32 v23, 26, v4
	v_cmp_gt_i32_e64 s16, 0, v24
	v_xor_b32_e32 v21, s17, v21
	v_dual_mov_b32 v168, v188 :: v_dual_and_b32 v19, v19, v20
	v_ashrrev_i32_e32 v20, 31, v22
	v_not_b32_e32 v22, v23
	v_dual_mov_b32 v169, v175 :: v_dual_lshlrev_b32 v24, 25, v4
	s_delay_alu instid0(VALU_DEP_4) | instskip(NEXT) | instid1(VALU_DEP_4)
	v_dual_mov_b32 v172, v190 :: v_dual_and_b32 v19, v19, v21
	v_xor_b32_e32 v20, s16, v20
	v_cmp_gt_i32_e64 s16, 0, v23
	v_ashrrev_i32_e32 v21, 31, v22
	v_not_b32_e32 v22, v24
	v_mov_b32_e32 v173, v187
	v_dual_mov_b32 v154, v200 :: v_dual_and_b32 v19, v19, v20
	v_lshlrev_b32_e32 v20, 24, v4
	v_xor_b32_e32 v21, s16, v21
	v_cmp_gt_i32_e64 s16, 0, v24
	v_ashrrev_i32_e32 v22, 31, v22
	v_mov_b32_e32 v156, v201
	v_not_b32_e32 v23, v20
	v_and_b32_e32 v19, v19, v21
	v_lshl_add_u32 v4, v4, 3, v139
	v_xor_b32_e32 v21, s16, v22
	v_cmp_gt_i32_e64 s16, 0, v20
	v_ashrrev_i32_e32 v20, 31, v23
	v_dual_mov_b32 v54, v196 :: v_dual_mov_b32 v9, v211
	s_delay_alu instid0(VALU_DEP_4) | instskip(SKIP_1) | instid1(VALU_DEP_4)
	v_dual_mov_b32 v96, v162 :: v_dual_and_b32 v19, v19, v21
	v_mov_b32_e32 v97, v163
	v_xor_b32_e32 v20, s16, v20
	v_dual_mov_b32 v86, v164 :: v_dual_mov_b32 v87, v165
	v_mov_b32_e32 v85, v177
	v_mov_b32_e32 v69, v179
	s_delay_alu instid0(VALU_DEP_4)
	v_and_b32_e32 v19, v19, v20
	v_lshlrev_b64 v[20:21], 2, v[4:5]
	v_mov_b32_e32 v83, v181
	v_mov_b32_e32 v81, v183
	;; [unrolled: 1-line block ×3, first 2 shown]
	v_mbcnt_lo_u32_b32 v39, v19, 0
	v_cmp_ne_u32_e64 s17, 0, v19
	v_add_co_u32 v116, s18, v28, v20
	v_mov_b32_e32 v51, v195
	s_delay_alu instid0(VALU_DEP_4)
	v_cmp_eq_u32_e64 s16, 0, v39
	v_mov_b32_e32 v55, v197
	v_mov_b32_e32 v171, v191
	;; [unrolled: 1-line block ×4, first 2 shown]
	v_add_co_ci_u32_e64 v117, s18, v138, v21, s18
	s_and_b32 s17, s17, s16
	s_clause 0x1
	flat_store_b128 v[66:67], v[14:17] offset:32
	flat_store_b128 v[70:71], v[14:17] offset:16
	s_waitcnt lgkmcnt(0)
	s_waitcnt_vscnt null, 0x0
	s_barrier
	buffer_gl0_inv
	; wave barrier
	s_and_saveexec_b32 s16, s17
	s_cbranch_execz .LBB504_55
; %bb.54:                               ;   in Loop: Header=BB504_53 Depth=1
	v_bcnt_u32_b32 v4, v19, 0
	flat_store_b32 v[116:117], v4
.LBB504_55:                             ;   in Loop: Header=BB504_53 Depth=1
	s_or_b32 exec_lo, exec_lo, s16
	v_lshrrev_b32_e32 v4, v10, v143
	; wave barrier
	s_delay_alu instid0(VALU_DEP_1) | instskip(NEXT) | instid1(VALU_DEP_1)
	v_and_b32_e32 v21, v4, v18
	v_lshl_add_u32 v4, v21, 3, v139
	v_lshlrev_b32_e32 v22, 29, v21
	v_lshlrev_b32_e32 v23, 28, v21
	s_delay_alu instid0(VALU_DEP_3) | instskip(SKIP_1) | instid1(VALU_DEP_2)
	v_lshlrev_b64 v[19:20], 2, v[4:5]
	v_and_b32_e32 v4, 1, v21
	v_add_co_u32 v118, s16, v28, v19
	s_delay_alu instid0(VALU_DEP_1) | instskip(NEXT) | instid1(VALU_DEP_3)
	v_add_co_ci_u32_e64 v119, s16, v138, v20, s16
	v_add_co_u32 v4, s16, v4, -1
	s_delay_alu instid0(VALU_DEP_1) | instskip(SKIP_3) | instid1(VALU_DEP_2)
	v_cndmask_b32_e64 v19, 0, 1, s16
	flat_load_b32 v180, v[118:119]
	v_lshlrev_b32_e32 v20, 30, v21
	; wave barrier
	v_cmp_ne_u32_e64 s16, 0, v19
	v_not_b32_e32 v19, v20
	s_delay_alu instid0(VALU_DEP_2) | instskip(SKIP_1) | instid1(VALU_DEP_3)
	v_xor_b32_e32 v4, s16, v4
	v_cmp_gt_i32_e64 s16, 0, v20
	v_ashrrev_i32_e32 v19, 31, v19
	v_not_b32_e32 v20, v22
	s_delay_alu instid0(VALU_DEP_4) | instskip(NEXT) | instid1(VALU_DEP_3)
	v_and_b32_e32 v4, exec_lo, v4
	v_xor_b32_e32 v19, s16, v19
	v_cmp_gt_i32_e64 s16, 0, v22
	s_delay_alu instid0(VALU_DEP_4) | instskip(SKIP_1) | instid1(VALU_DEP_4)
	v_ashrrev_i32_e32 v20, 31, v20
	v_not_b32_e32 v22, v23
	v_and_b32_e32 v4, v4, v19
	v_lshlrev_b32_e32 v19, 27, v21
	s_delay_alu instid0(VALU_DEP_4) | instskip(SKIP_2) | instid1(VALU_DEP_4)
	v_xor_b32_e32 v20, s16, v20
	v_cmp_gt_i32_e64 s16, 0, v23
	v_ashrrev_i32_e32 v22, 31, v22
	v_not_b32_e32 v23, v19
	s_delay_alu instid0(VALU_DEP_4) | instskip(SKIP_1) | instid1(VALU_DEP_4)
	v_and_b32_e32 v4, v4, v20
	v_lshlrev_b32_e32 v20, 26, v21
	v_xor_b32_e32 v22, s16, v22
	v_cmp_gt_i32_e64 s16, 0, v19
	v_ashrrev_i32_e32 v19, 31, v23
	s_delay_alu instid0(VALU_DEP_4) | instskip(NEXT) | instid1(VALU_DEP_4)
	v_not_b32_e32 v23, v20
	v_and_b32_e32 v4, v4, v22
	v_lshlrev_b32_e32 v22, 25, v21
	s_delay_alu instid0(VALU_DEP_4) | instskip(SKIP_2) | instid1(VALU_DEP_4)
	v_xor_b32_e32 v19, s16, v19
	v_cmp_gt_i32_e64 s16, 0, v20
	v_ashrrev_i32_e32 v20, 31, v23
	v_not_b32_e32 v23, v22
	s_delay_alu instid0(VALU_DEP_4) | instskip(SKIP_1) | instid1(VALU_DEP_4)
	v_and_b32_e32 v4, v4, v19
	v_lshlrev_b32_e32 v19, 24, v21
	v_xor_b32_e32 v20, s16, v20
	v_cmp_gt_i32_e64 s16, 0, v22
	v_ashrrev_i32_e32 v21, 31, v23
	s_delay_alu instid0(VALU_DEP_4) | instskip(NEXT) | instid1(VALU_DEP_4)
	v_not_b32_e32 v22, v19
	v_and_b32_e32 v4, v4, v20
	s_delay_alu instid0(VALU_DEP_3) | instskip(SKIP_1) | instid1(VALU_DEP_4)
	v_xor_b32_e32 v20, s16, v21
	v_cmp_gt_i32_e64 s16, 0, v19
	v_ashrrev_i32_e32 v19, 31, v22
	s_delay_alu instid0(VALU_DEP_3) | instskip(NEXT) | instid1(VALU_DEP_2)
	v_and_b32_e32 v4, v4, v20
	v_xor_b32_e32 v19, s16, v19
	s_delay_alu instid0(VALU_DEP_1) | instskip(NEXT) | instid1(VALU_DEP_1)
	v_and_b32_e32 v4, v4, v19
	v_mbcnt_lo_u32_b32 v181, v4, 0
	v_cmp_ne_u32_e64 s17, 0, v4
	s_delay_alu instid0(VALU_DEP_2) | instskip(NEXT) | instid1(VALU_DEP_1)
	v_cmp_eq_u32_e64 s16, 0, v181
	s_and_b32 s17, s17, s16
	s_delay_alu instid0(SALU_CYCLE_1)
	s_and_saveexec_b32 s16, s17
	s_cbranch_execz .LBB504_57
; %bb.56:                               ;   in Loop: Header=BB504_53 Depth=1
	s_waitcnt vmcnt(0) lgkmcnt(0)
	v_bcnt_u32_b32 v4, v4, v180
	flat_store_b32 v[118:119], v4
.LBB504_57:                             ;   in Loop: Header=BB504_53 Depth=1
	s_or_b32 exec_lo, exec_lo, s16
	v_lshrrev_b32_e32 v4, v10, v152
	; wave barrier
	s_delay_alu instid0(VALU_DEP_1) | instskip(NEXT) | instid1(VALU_DEP_1)
	v_and_b32_e32 v21, v4, v18
	v_lshl_add_u32 v4, v21, 3, v139
	v_lshlrev_b32_e32 v22, 29, v21
	v_lshlrev_b32_e32 v23, 28, v21
	s_delay_alu instid0(VALU_DEP_3) | instskip(SKIP_1) | instid1(VALU_DEP_2)
	v_lshlrev_b64 v[19:20], 2, v[4:5]
	v_and_b32_e32 v4, 1, v21
	v_add_co_u32 v128, s16, v28, v19
	s_delay_alu instid0(VALU_DEP_1) | instskip(NEXT) | instid1(VALU_DEP_3)
	v_add_co_ci_u32_e64 v129, s16, v138, v20, s16
	v_add_co_u32 v4, s16, v4, -1
	s_delay_alu instid0(VALU_DEP_1) | instskip(SKIP_3) | instid1(VALU_DEP_2)
	v_cndmask_b32_e64 v19, 0, 1, s16
	flat_load_b32 v182, v[128:129]
	v_lshlrev_b32_e32 v20, 30, v21
	; wave barrier
	v_cmp_ne_u32_e64 s16, 0, v19
	v_not_b32_e32 v19, v20
	s_delay_alu instid0(VALU_DEP_2) | instskip(SKIP_1) | instid1(VALU_DEP_3)
	v_xor_b32_e32 v4, s16, v4
	v_cmp_gt_i32_e64 s16, 0, v20
	v_ashrrev_i32_e32 v19, 31, v19
	v_not_b32_e32 v20, v22
	s_delay_alu instid0(VALU_DEP_4) | instskip(NEXT) | instid1(VALU_DEP_3)
	v_and_b32_e32 v4, exec_lo, v4
	v_xor_b32_e32 v19, s16, v19
	v_cmp_gt_i32_e64 s16, 0, v22
	s_delay_alu instid0(VALU_DEP_4) | instskip(SKIP_1) | instid1(VALU_DEP_4)
	v_ashrrev_i32_e32 v20, 31, v20
	v_not_b32_e32 v22, v23
	v_and_b32_e32 v4, v4, v19
	v_lshlrev_b32_e32 v19, 27, v21
	s_delay_alu instid0(VALU_DEP_4) | instskip(SKIP_2) | instid1(VALU_DEP_4)
	v_xor_b32_e32 v20, s16, v20
	v_cmp_gt_i32_e64 s16, 0, v23
	v_ashrrev_i32_e32 v22, 31, v22
	v_not_b32_e32 v23, v19
	s_delay_alu instid0(VALU_DEP_4) | instskip(SKIP_1) | instid1(VALU_DEP_4)
	v_and_b32_e32 v4, v4, v20
	v_lshlrev_b32_e32 v20, 26, v21
	v_xor_b32_e32 v22, s16, v22
	v_cmp_gt_i32_e64 s16, 0, v19
	v_ashrrev_i32_e32 v19, 31, v23
	s_delay_alu instid0(VALU_DEP_4) | instskip(NEXT) | instid1(VALU_DEP_4)
	v_not_b32_e32 v23, v20
	v_and_b32_e32 v4, v4, v22
	v_lshlrev_b32_e32 v22, 25, v21
	s_delay_alu instid0(VALU_DEP_4) | instskip(SKIP_2) | instid1(VALU_DEP_4)
	v_xor_b32_e32 v19, s16, v19
	v_cmp_gt_i32_e64 s16, 0, v20
	v_ashrrev_i32_e32 v20, 31, v23
	v_not_b32_e32 v23, v22
	s_delay_alu instid0(VALU_DEP_4) | instskip(SKIP_1) | instid1(VALU_DEP_4)
	v_and_b32_e32 v4, v4, v19
	v_lshlrev_b32_e32 v19, 24, v21
	v_xor_b32_e32 v20, s16, v20
	v_cmp_gt_i32_e64 s16, 0, v22
	v_ashrrev_i32_e32 v21, 31, v23
	s_delay_alu instid0(VALU_DEP_4) | instskip(NEXT) | instid1(VALU_DEP_4)
	v_not_b32_e32 v22, v19
	v_and_b32_e32 v4, v4, v20
	s_delay_alu instid0(VALU_DEP_3) | instskip(SKIP_1) | instid1(VALU_DEP_4)
	v_xor_b32_e32 v20, s16, v21
	v_cmp_gt_i32_e64 s16, 0, v19
	v_ashrrev_i32_e32 v19, 31, v22
	s_delay_alu instid0(VALU_DEP_3) | instskip(NEXT) | instid1(VALU_DEP_2)
	v_and_b32_e32 v4, v4, v20
	v_xor_b32_e32 v19, s16, v19
	s_delay_alu instid0(VALU_DEP_1) | instskip(NEXT) | instid1(VALU_DEP_1)
	v_and_b32_e32 v4, v4, v19
	v_mbcnt_lo_u32_b32 v183, v4, 0
	v_cmp_ne_u32_e64 s17, 0, v4
	s_delay_alu instid0(VALU_DEP_2) | instskip(NEXT) | instid1(VALU_DEP_1)
	v_cmp_eq_u32_e64 s16, 0, v183
	s_and_b32 s17, s17, s16
	s_delay_alu instid0(SALU_CYCLE_1)
	s_and_saveexec_b32 s16, s17
	s_cbranch_execz .LBB504_59
; %bb.58:                               ;   in Loop: Header=BB504_53 Depth=1
	s_waitcnt vmcnt(0) lgkmcnt(0)
	v_bcnt_u32_b32 v4, v4, v182
	flat_store_b32 v[128:129], v4
.LBB504_59:                             ;   in Loop: Header=BB504_53 Depth=1
	s_or_b32 exec_lo, exec_lo, s16
	v_lshrrev_b32_e32 v4, v10, v153
	; wave barrier
	s_delay_alu instid0(VALU_DEP_1) | instskip(NEXT) | instid1(VALU_DEP_1)
	v_and_b32_e32 v21, v4, v18
	v_lshl_add_u32 v4, v21, 3, v139
	v_lshlrev_b32_e32 v22, 29, v21
	v_lshlrev_b32_e32 v23, 28, v21
	s_delay_alu instid0(VALU_DEP_3) | instskip(SKIP_1) | instid1(VALU_DEP_2)
	v_lshlrev_b64 v[19:20], 2, v[4:5]
	v_and_b32_e32 v4, 1, v21
	v_add_co_u32 v130, s16, v28, v19
	s_delay_alu instid0(VALU_DEP_1) | instskip(NEXT) | instid1(VALU_DEP_3)
	v_add_co_ci_u32_e64 v131, s16, v138, v20, s16
	v_add_co_u32 v4, s16, v4, -1
	s_delay_alu instid0(VALU_DEP_1) | instskip(SKIP_3) | instid1(VALU_DEP_2)
	v_cndmask_b32_e64 v19, 0, 1, s16
	flat_load_b32 v192, v[130:131]
	v_lshlrev_b32_e32 v20, 30, v21
	; wave barrier
	v_cmp_ne_u32_e64 s16, 0, v19
	v_not_b32_e32 v19, v20
	s_delay_alu instid0(VALU_DEP_2) | instskip(SKIP_1) | instid1(VALU_DEP_3)
	v_xor_b32_e32 v4, s16, v4
	v_cmp_gt_i32_e64 s16, 0, v20
	v_ashrrev_i32_e32 v19, 31, v19
	v_not_b32_e32 v20, v22
	s_delay_alu instid0(VALU_DEP_4) | instskip(NEXT) | instid1(VALU_DEP_3)
	v_and_b32_e32 v4, exec_lo, v4
	v_xor_b32_e32 v19, s16, v19
	v_cmp_gt_i32_e64 s16, 0, v22
	s_delay_alu instid0(VALU_DEP_4) | instskip(SKIP_1) | instid1(VALU_DEP_4)
	v_ashrrev_i32_e32 v20, 31, v20
	v_not_b32_e32 v22, v23
	v_and_b32_e32 v4, v4, v19
	v_lshlrev_b32_e32 v19, 27, v21
	s_delay_alu instid0(VALU_DEP_4) | instskip(SKIP_2) | instid1(VALU_DEP_4)
	v_xor_b32_e32 v20, s16, v20
	v_cmp_gt_i32_e64 s16, 0, v23
	v_ashrrev_i32_e32 v22, 31, v22
	v_not_b32_e32 v23, v19
	s_delay_alu instid0(VALU_DEP_4) | instskip(SKIP_1) | instid1(VALU_DEP_4)
	v_and_b32_e32 v4, v4, v20
	v_lshlrev_b32_e32 v20, 26, v21
	v_xor_b32_e32 v22, s16, v22
	v_cmp_gt_i32_e64 s16, 0, v19
	v_ashrrev_i32_e32 v19, 31, v23
	s_delay_alu instid0(VALU_DEP_4) | instskip(NEXT) | instid1(VALU_DEP_4)
	v_not_b32_e32 v23, v20
	v_and_b32_e32 v4, v4, v22
	v_lshlrev_b32_e32 v22, 25, v21
	s_delay_alu instid0(VALU_DEP_4) | instskip(SKIP_2) | instid1(VALU_DEP_4)
	v_xor_b32_e32 v19, s16, v19
	v_cmp_gt_i32_e64 s16, 0, v20
	v_ashrrev_i32_e32 v20, 31, v23
	v_not_b32_e32 v23, v22
	s_delay_alu instid0(VALU_DEP_4) | instskip(SKIP_1) | instid1(VALU_DEP_4)
	v_and_b32_e32 v4, v4, v19
	v_lshlrev_b32_e32 v19, 24, v21
	v_xor_b32_e32 v20, s16, v20
	v_cmp_gt_i32_e64 s16, 0, v22
	v_ashrrev_i32_e32 v21, 31, v23
	s_delay_alu instid0(VALU_DEP_4) | instskip(NEXT) | instid1(VALU_DEP_4)
	v_not_b32_e32 v22, v19
	v_and_b32_e32 v4, v4, v20
	s_delay_alu instid0(VALU_DEP_3) | instskip(SKIP_1) | instid1(VALU_DEP_4)
	v_xor_b32_e32 v20, s16, v21
	v_cmp_gt_i32_e64 s16, 0, v19
	v_ashrrev_i32_e32 v19, 31, v22
	s_delay_alu instid0(VALU_DEP_3) | instskip(NEXT) | instid1(VALU_DEP_2)
	v_and_b32_e32 v4, v4, v20
	v_xor_b32_e32 v19, s16, v19
	s_delay_alu instid0(VALU_DEP_1) | instskip(NEXT) | instid1(VALU_DEP_1)
	v_and_b32_e32 v4, v4, v19
	v_mbcnt_lo_u32_b32 v193, v4, 0
	v_cmp_ne_u32_e64 s17, 0, v4
	s_delay_alu instid0(VALU_DEP_2) | instskip(NEXT) | instid1(VALU_DEP_1)
	v_cmp_eq_u32_e64 s16, 0, v193
	s_and_b32 s17, s17, s16
	s_delay_alu instid0(SALU_CYCLE_1)
	s_and_saveexec_b32 s16, s17
	s_cbranch_execz .LBB504_61
; %bb.60:                               ;   in Loop: Header=BB504_53 Depth=1
	s_waitcnt vmcnt(0) lgkmcnt(0)
	v_bcnt_u32_b32 v4, v4, v192
	flat_store_b32 v[130:131], v4
.LBB504_61:                             ;   in Loop: Header=BB504_53 Depth=1
	s_or_b32 exec_lo, exec_lo, s16
	v_lshrrev_b32_e32 v4, v10, v158
	; wave barrier
	s_delay_alu instid0(VALU_DEP_1) | instskip(NEXT) | instid1(VALU_DEP_1)
	v_and_b32_e32 v21, v4, v18
	v_lshl_add_u32 v4, v21, 3, v139
	v_lshlrev_b32_e32 v22, 29, v21
	v_lshlrev_b32_e32 v23, 28, v21
	s_delay_alu instid0(VALU_DEP_3) | instskip(SKIP_1) | instid1(VALU_DEP_2)
	v_lshlrev_b64 v[19:20], 2, v[4:5]
	v_and_b32_e32 v4, 1, v21
	v_add_co_u32 v132, s16, v28, v19
	s_delay_alu instid0(VALU_DEP_1) | instskip(NEXT) | instid1(VALU_DEP_3)
	v_add_co_ci_u32_e64 v133, s16, v138, v20, s16
	v_add_co_u32 v4, s16, v4, -1
	s_delay_alu instid0(VALU_DEP_1) | instskip(SKIP_3) | instid1(VALU_DEP_2)
	v_cndmask_b32_e64 v19, 0, 1, s16
	flat_load_b32 v194, v[132:133]
	v_lshlrev_b32_e32 v20, 30, v21
	; wave barrier
	v_cmp_ne_u32_e64 s16, 0, v19
	v_not_b32_e32 v19, v20
	s_delay_alu instid0(VALU_DEP_2) | instskip(SKIP_1) | instid1(VALU_DEP_3)
	v_xor_b32_e32 v4, s16, v4
	v_cmp_gt_i32_e64 s16, 0, v20
	v_ashrrev_i32_e32 v19, 31, v19
	v_not_b32_e32 v20, v22
	s_delay_alu instid0(VALU_DEP_4) | instskip(NEXT) | instid1(VALU_DEP_3)
	v_and_b32_e32 v4, exec_lo, v4
	v_xor_b32_e32 v19, s16, v19
	v_cmp_gt_i32_e64 s16, 0, v22
	s_delay_alu instid0(VALU_DEP_4) | instskip(SKIP_1) | instid1(VALU_DEP_4)
	v_ashrrev_i32_e32 v20, 31, v20
	v_not_b32_e32 v22, v23
	v_and_b32_e32 v4, v4, v19
	v_lshlrev_b32_e32 v19, 27, v21
	s_delay_alu instid0(VALU_DEP_4) | instskip(SKIP_2) | instid1(VALU_DEP_4)
	v_xor_b32_e32 v20, s16, v20
	v_cmp_gt_i32_e64 s16, 0, v23
	v_ashrrev_i32_e32 v22, 31, v22
	v_not_b32_e32 v23, v19
	s_delay_alu instid0(VALU_DEP_4) | instskip(SKIP_1) | instid1(VALU_DEP_4)
	v_and_b32_e32 v4, v4, v20
	v_lshlrev_b32_e32 v20, 26, v21
	v_xor_b32_e32 v22, s16, v22
	v_cmp_gt_i32_e64 s16, 0, v19
	v_ashrrev_i32_e32 v19, 31, v23
	s_delay_alu instid0(VALU_DEP_4) | instskip(NEXT) | instid1(VALU_DEP_4)
	v_not_b32_e32 v23, v20
	v_and_b32_e32 v4, v4, v22
	v_lshlrev_b32_e32 v22, 25, v21
	s_delay_alu instid0(VALU_DEP_4) | instskip(SKIP_2) | instid1(VALU_DEP_4)
	v_xor_b32_e32 v19, s16, v19
	v_cmp_gt_i32_e64 s16, 0, v20
	v_ashrrev_i32_e32 v20, 31, v23
	v_not_b32_e32 v23, v22
	s_delay_alu instid0(VALU_DEP_4) | instskip(SKIP_1) | instid1(VALU_DEP_4)
	v_and_b32_e32 v4, v4, v19
	v_lshlrev_b32_e32 v19, 24, v21
	v_xor_b32_e32 v20, s16, v20
	v_cmp_gt_i32_e64 s16, 0, v22
	v_ashrrev_i32_e32 v21, 31, v23
	s_delay_alu instid0(VALU_DEP_4) | instskip(NEXT) | instid1(VALU_DEP_4)
	v_not_b32_e32 v22, v19
	v_and_b32_e32 v4, v4, v20
	s_delay_alu instid0(VALU_DEP_3) | instskip(SKIP_1) | instid1(VALU_DEP_4)
	v_xor_b32_e32 v20, s16, v21
	v_cmp_gt_i32_e64 s16, 0, v19
	v_ashrrev_i32_e32 v19, 31, v22
	s_delay_alu instid0(VALU_DEP_3) | instskip(NEXT) | instid1(VALU_DEP_2)
	v_and_b32_e32 v4, v4, v20
	v_xor_b32_e32 v19, s16, v19
	s_delay_alu instid0(VALU_DEP_1) | instskip(NEXT) | instid1(VALU_DEP_1)
	v_and_b32_e32 v4, v4, v19
	v_mbcnt_lo_u32_b32 v195, v4, 0
	v_cmp_ne_u32_e64 s17, 0, v4
	s_delay_alu instid0(VALU_DEP_2) | instskip(NEXT) | instid1(VALU_DEP_1)
	v_cmp_eq_u32_e64 s16, 0, v195
	s_and_b32 s17, s17, s16
	s_delay_alu instid0(SALU_CYCLE_1)
	s_and_saveexec_b32 s16, s17
	s_cbranch_execz .LBB504_63
; %bb.62:                               ;   in Loop: Header=BB504_53 Depth=1
	s_waitcnt vmcnt(0) lgkmcnt(0)
	v_bcnt_u32_b32 v4, v4, v194
	flat_store_b32 v[132:133], v4
.LBB504_63:                             ;   in Loop: Header=BB504_53 Depth=1
	s_or_b32 exec_lo, exec_lo, s16
	v_lshrrev_b32_e32 v4, v10, v159
	; wave barrier
	s_delay_alu instid0(VALU_DEP_1) | instskip(NEXT) | instid1(VALU_DEP_1)
	v_and_b32_e32 v21, v4, v18
	v_lshl_add_u32 v4, v21, 3, v139
	v_lshlrev_b32_e32 v22, 29, v21
	v_lshlrev_b32_e32 v23, 28, v21
	s_delay_alu instid0(VALU_DEP_3) | instskip(SKIP_1) | instid1(VALU_DEP_2)
	v_lshlrev_b64 v[19:20], 2, v[4:5]
	v_and_b32_e32 v4, 1, v21
	v_add_co_u32 v134, s16, v28, v19
	s_delay_alu instid0(VALU_DEP_1) | instskip(NEXT) | instid1(VALU_DEP_3)
	v_add_co_ci_u32_e64 v135, s16, v138, v20, s16
	v_add_co_u32 v4, s16, v4, -1
	s_delay_alu instid0(VALU_DEP_1) | instskip(SKIP_3) | instid1(VALU_DEP_2)
	v_cndmask_b32_e64 v19, 0, 1, s16
	flat_load_b32 v196, v[134:135]
	v_lshlrev_b32_e32 v20, 30, v21
	; wave barrier
	v_cmp_ne_u32_e64 s16, 0, v19
	v_not_b32_e32 v19, v20
	s_delay_alu instid0(VALU_DEP_2) | instskip(SKIP_1) | instid1(VALU_DEP_3)
	v_xor_b32_e32 v4, s16, v4
	v_cmp_gt_i32_e64 s16, 0, v20
	v_ashrrev_i32_e32 v19, 31, v19
	v_not_b32_e32 v20, v22
	s_delay_alu instid0(VALU_DEP_4) | instskip(NEXT) | instid1(VALU_DEP_3)
	v_and_b32_e32 v4, exec_lo, v4
	v_xor_b32_e32 v19, s16, v19
	v_cmp_gt_i32_e64 s16, 0, v22
	s_delay_alu instid0(VALU_DEP_4) | instskip(SKIP_1) | instid1(VALU_DEP_4)
	v_ashrrev_i32_e32 v20, 31, v20
	v_not_b32_e32 v22, v23
	v_and_b32_e32 v4, v4, v19
	v_lshlrev_b32_e32 v19, 27, v21
	s_delay_alu instid0(VALU_DEP_4) | instskip(SKIP_2) | instid1(VALU_DEP_4)
	v_xor_b32_e32 v20, s16, v20
	v_cmp_gt_i32_e64 s16, 0, v23
	v_ashrrev_i32_e32 v22, 31, v22
	v_not_b32_e32 v23, v19
	s_delay_alu instid0(VALU_DEP_4) | instskip(SKIP_1) | instid1(VALU_DEP_4)
	v_and_b32_e32 v4, v4, v20
	v_lshlrev_b32_e32 v20, 26, v21
	v_xor_b32_e32 v22, s16, v22
	v_cmp_gt_i32_e64 s16, 0, v19
	v_ashrrev_i32_e32 v19, 31, v23
	s_delay_alu instid0(VALU_DEP_4) | instskip(NEXT) | instid1(VALU_DEP_4)
	v_not_b32_e32 v23, v20
	v_and_b32_e32 v4, v4, v22
	v_lshlrev_b32_e32 v22, 25, v21
	s_delay_alu instid0(VALU_DEP_4) | instskip(SKIP_2) | instid1(VALU_DEP_4)
	v_xor_b32_e32 v19, s16, v19
	v_cmp_gt_i32_e64 s16, 0, v20
	v_ashrrev_i32_e32 v20, 31, v23
	v_not_b32_e32 v23, v22
	s_delay_alu instid0(VALU_DEP_4) | instskip(SKIP_1) | instid1(VALU_DEP_4)
	v_and_b32_e32 v4, v4, v19
	v_lshlrev_b32_e32 v19, 24, v21
	v_xor_b32_e32 v20, s16, v20
	v_cmp_gt_i32_e64 s16, 0, v22
	v_ashrrev_i32_e32 v21, 31, v23
	s_delay_alu instid0(VALU_DEP_4) | instskip(NEXT) | instid1(VALU_DEP_4)
	v_not_b32_e32 v22, v19
	v_and_b32_e32 v4, v4, v20
	s_delay_alu instid0(VALU_DEP_3) | instskip(SKIP_1) | instid1(VALU_DEP_4)
	v_xor_b32_e32 v20, s16, v21
	v_cmp_gt_i32_e64 s16, 0, v19
	v_ashrrev_i32_e32 v19, 31, v22
	s_delay_alu instid0(VALU_DEP_3) | instskip(NEXT) | instid1(VALU_DEP_2)
	v_and_b32_e32 v4, v4, v20
	v_xor_b32_e32 v19, s16, v19
	s_delay_alu instid0(VALU_DEP_1) | instskip(NEXT) | instid1(VALU_DEP_1)
	v_and_b32_e32 v4, v4, v19
	v_mbcnt_lo_u32_b32 v197, v4, 0
	v_cmp_ne_u32_e64 s17, 0, v4
	s_delay_alu instid0(VALU_DEP_2) | instskip(NEXT) | instid1(VALU_DEP_1)
	v_cmp_eq_u32_e64 s16, 0, v197
	s_and_b32 s17, s17, s16
	s_delay_alu instid0(SALU_CYCLE_1)
	s_and_saveexec_b32 s16, s17
	s_cbranch_execz .LBB504_65
; %bb.64:                               ;   in Loop: Header=BB504_53 Depth=1
	s_waitcnt vmcnt(0) lgkmcnt(0)
	v_bcnt_u32_b32 v4, v4, v196
	flat_store_b32 v[134:135], v4
.LBB504_65:                             ;   in Loop: Header=BB504_53 Depth=1
	s_or_b32 exec_lo, exec_lo, s16
	v_lshrrev_b32_e32 v4, v10, v170
	; wave barrier
	s_delay_alu instid0(VALU_DEP_1) | instskip(NEXT) | instid1(VALU_DEP_1)
	v_and_b32_e32 v21, v4, v18
	v_lshl_add_u32 v4, v21, 3, v139
	v_lshlrev_b32_e32 v22, 29, v21
	v_lshlrev_b32_e32 v23, 28, v21
	s_delay_alu instid0(VALU_DEP_3) | instskip(SKIP_1) | instid1(VALU_DEP_2)
	v_lshlrev_b64 v[19:20], 2, v[4:5]
	v_and_b32_e32 v4, 1, v21
	v_add_co_u32 v144, s16, v28, v19
	s_delay_alu instid0(VALU_DEP_1) | instskip(NEXT) | instid1(VALU_DEP_3)
	v_add_co_ci_u32_e64 v145, s16, v138, v20, s16
	v_add_co_u32 v4, s16, v4, -1
	s_delay_alu instid0(VALU_DEP_1) | instskip(SKIP_3) | instid1(VALU_DEP_2)
	v_cndmask_b32_e64 v19, 0, 1, s16
	flat_load_b32 v198, v[144:145]
	v_lshlrev_b32_e32 v20, 30, v21
	; wave barrier
	v_cmp_ne_u32_e64 s16, 0, v19
	v_not_b32_e32 v19, v20
	s_delay_alu instid0(VALU_DEP_2) | instskip(SKIP_1) | instid1(VALU_DEP_3)
	v_xor_b32_e32 v4, s16, v4
	v_cmp_gt_i32_e64 s16, 0, v20
	v_ashrrev_i32_e32 v19, 31, v19
	v_not_b32_e32 v20, v22
	s_delay_alu instid0(VALU_DEP_4) | instskip(NEXT) | instid1(VALU_DEP_3)
	v_and_b32_e32 v4, exec_lo, v4
	v_xor_b32_e32 v19, s16, v19
	v_cmp_gt_i32_e64 s16, 0, v22
	s_delay_alu instid0(VALU_DEP_4) | instskip(SKIP_1) | instid1(VALU_DEP_4)
	v_ashrrev_i32_e32 v20, 31, v20
	v_not_b32_e32 v22, v23
	v_and_b32_e32 v4, v4, v19
	v_lshlrev_b32_e32 v19, 27, v21
	s_delay_alu instid0(VALU_DEP_4) | instskip(SKIP_2) | instid1(VALU_DEP_4)
	v_xor_b32_e32 v20, s16, v20
	v_cmp_gt_i32_e64 s16, 0, v23
	v_ashrrev_i32_e32 v22, 31, v22
	v_not_b32_e32 v23, v19
	s_delay_alu instid0(VALU_DEP_4) | instskip(SKIP_1) | instid1(VALU_DEP_4)
	v_and_b32_e32 v4, v4, v20
	v_lshlrev_b32_e32 v20, 26, v21
	v_xor_b32_e32 v22, s16, v22
	v_cmp_gt_i32_e64 s16, 0, v19
	v_ashrrev_i32_e32 v19, 31, v23
	s_delay_alu instid0(VALU_DEP_4) | instskip(NEXT) | instid1(VALU_DEP_4)
	v_not_b32_e32 v23, v20
	v_and_b32_e32 v4, v4, v22
	v_lshlrev_b32_e32 v22, 25, v21
	s_delay_alu instid0(VALU_DEP_4) | instskip(SKIP_2) | instid1(VALU_DEP_4)
	v_xor_b32_e32 v19, s16, v19
	v_cmp_gt_i32_e64 s16, 0, v20
	v_ashrrev_i32_e32 v20, 31, v23
	v_not_b32_e32 v23, v22
	s_delay_alu instid0(VALU_DEP_4) | instskip(SKIP_1) | instid1(VALU_DEP_4)
	v_and_b32_e32 v4, v4, v19
	v_lshlrev_b32_e32 v19, 24, v21
	v_xor_b32_e32 v20, s16, v20
	v_cmp_gt_i32_e64 s16, 0, v22
	v_ashrrev_i32_e32 v21, 31, v23
	s_delay_alu instid0(VALU_DEP_4) | instskip(NEXT) | instid1(VALU_DEP_4)
	v_not_b32_e32 v22, v19
	v_and_b32_e32 v4, v4, v20
	s_delay_alu instid0(VALU_DEP_3) | instskip(SKIP_1) | instid1(VALU_DEP_4)
	v_xor_b32_e32 v20, s16, v21
	v_cmp_gt_i32_e64 s16, 0, v19
	v_ashrrev_i32_e32 v19, 31, v22
	s_delay_alu instid0(VALU_DEP_3) | instskip(NEXT) | instid1(VALU_DEP_2)
	v_and_b32_e32 v4, v4, v20
	v_xor_b32_e32 v19, s16, v19
	s_delay_alu instid0(VALU_DEP_1) | instskip(NEXT) | instid1(VALU_DEP_1)
	v_and_b32_e32 v4, v4, v19
	v_mbcnt_lo_u32_b32 v199, v4, 0
	v_cmp_ne_u32_e64 s17, 0, v4
	s_delay_alu instid0(VALU_DEP_2) | instskip(NEXT) | instid1(VALU_DEP_1)
	v_cmp_eq_u32_e64 s16, 0, v199
	s_and_b32 s17, s17, s16
	s_delay_alu instid0(SALU_CYCLE_1)
	s_and_saveexec_b32 s16, s17
	s_cbranch_execz .LBB504_67
; %bb.66:                               ;   in Loop: Header=BB504_53 Depth=1
	s_waitcnt vmcnt(0) lgkmcnt(0)
	v_bcnt_u32_b32 v4, v4, v198
	flat_store_b32 v[144:145], v4
.LBB504_67:                             ;   in Loop: Header=BB504_53 Depth=1
	s_or_b32 exec_lo, exec_lo, s16
	v_lshrrev_b32_e32 v4, v10, v169
	; wave barrier
	s_delay_alu instid0(VALU_DEP_1) | instskip(NEXT) | instid1(VALU_DEP_1)
	v_and_b32_e32 v21, v4, v18
	v_lshl_add_u32 v4, v21, 3, v139
	v_lshlrev_b32_e32 v22, 29, v21
	v_lshlrev_b32_e32 v23, 28, v21
	s_delay_alu instid0(VALU_DEP_3) | instskip(SKIP_1) | instid1(VALU_DEP_2)
	v_lshlrev_b64 v[19:20], 2, v[4:5]
	v_and_b32_e32 v4, 1, v21
	v_add_co_u32 v146, s16, v28, v19
	s_delay_alu instid0(VALU_DEP_1) | instskip(NEXT) | instid1(VALU_DEP_3)
	v_add_co_ci_u32_e64 v147, s16, v138, v20, s16
	v_add_co_u32 v4, s16, v4, -1
	s_delay_alu instid0(VALU_DEP_1) | instskip(SKIP_3) | instid1(VALU_DEP_2)
	v_cndmask_b32_e64 v19, 0, 1, s16
	flat_load_b32 v208, v[146:147]
	v_lshlrev_b32_e32 v20, 30, v21
	; wave barrier
	v_cmp_ne_u32_e64 s16, 0, v19
	v_not_b32_e32 v19, v20
	s_delay_alu instid0(VALU_DEP_2) | instskip(SKIP_1) | instid1(VALU_DEP_3)
	v_xor_b32_e32 v4, s16, v4
	v_cmp_gt_i32_e64 s16, 0, v20
	v_ashrrev_i32_e32 v19, 31, v19
	v_not_b32_e32 v20, v22
	s_delay_alu instid0(VALU_DEP_4) | instskip(NEXT) | instid1(VALU_DEP_3)
	v_and_b32_e32 v4, exec_lo, v4
	v_xor_b32_e32 v19, s16, v19
	v_cmp_gt_i32_e64 s16, 0, v22
	s_delay_alu instid0(VALU_DEP_4) | instskip(SKIP_1) | instid1(VALU_DEP_4)
	v_ashrrev_i32_e32 v20, 31, v20
	v_not_b32_e32 v22, v23
	v_and_b32_e32 v4, v4, v19
	v_lshlrev_b32_e32 v19, 27, v21
	s_delay_alu instid0(VALU_DEP_4) | instskip(SKIP_2) | instid1(VALU_DEP_4)
	v_xor_b32_e32 v20, s16, v20
	v_cmp_gt_i32_e64 s16, 0, v23
	v_ashrrev_i32_e32 v22, 31, v22
	v_not_b32_e32 v23, v19
	s_delay_alu instid0(VALU_DEP_4) | instskip(SKIP_1) | instid1(VALU_DEP_4)
	v_and_b32_e32 v4, v4, v20
	v_lshlrev_b32_e32 v20, 26, v21
	v_xor_b32_e32 v22, s16, v22
	v_cmp_gt_i32_e64 s16, 0, v19
	v_ashrrev_i32_e32 v19, 31, v23
	s_delay_alu instid0(VALU_DEP_4) | instskip(NEXT) | instid1(VALU_DEP_4)
	v_not_b32_e32 v23, v20
	v_and_b32_e32 v4, v4, v22
	v_lshlrev_b32_e32 v22, 25, v21
	s_delay_alu instid0(VALU_DEP_4) | instskip(SKIP_2) | instid1(VALU_DEP_4)
	v_xor_b32_e32 v19, s16, v19
	v_cmp_gt_i32_e64 s16, 0, v20
	v_ashrrev_i32_e32 v20, 31, v23
	v_not_b32_e32 v23, v22
	s_delay_alu instid0(VALU_DEP_4) | instskip(SKIP_1) | instid1(VALU_DEP_4)
	v_and_b32_e32 v4, v4, v19
	v_lshlrev_b32_e32 v19, 24, v21
	v_xor_b32_e32 v20, s16, v20
	v_cmp_gt_i32_e64 s16, 0, v22
	v_ashrrev_i32_e32 v21, 31, v23
	s_delay_alu instid0(VALU_DEP_4) | instskip(NEXT) | instid1(VALU_DEP_4)
	v_not_b32_e32 v22, v19
	v_and_b32_e32 v4, v4, v20
	s_delay_alu instid0(VALU_DEP_3) | instskip(SKIP_1) | instid1(VALU_DEP_4)
	v_xor_b32_e32 v20, s16, v21
	v_cmp_gt_i32_e64 s16, 0, v19
	v_ashrrev_i32_e32 v19, 31, v22
	s_delay_alu instid0(VALU_DEP_3) | instskip(NEXT) | instid1(VALU_DEP_2)
	v_and_b32_e32 v4, v4, v20
	v_xor_b32_e32 v19, s16, v19
	s_delay_alu instid0(VALU_DEP_1) | instskip(NEXT) | instid1(VALU_DEP_1)
	v_and_b32_e32 v4, v4, v19
	v_mbcnt_lo_u32_b32 v209, v4, 0
	v_cmp_ne_u32_e64 s17, 0, v4
	s_delay_alu instid0(VALU_DEP_2) | instskip(NEXT) | instid1(VALU_DEP_1)
	v_cmp_eq_u32_e64 s16, 0, v209
	s_and_b32 s17, s17, s16
	s_delay_alu instid0(SALU_CYCLE_1)
	s_and_saveexec_b32 s16, s17
	s_cbranch_execz .LBB504_69
; %bb.68:                               ;   in Loop: Header=BB504_53 Depth=1
	s_waitcnt vmcnt(0) lgkmcnt(0)
	v_bcnt_u32_b32 v4, v4, v208
	flat_store_b32 v[146:147], v4
.LBB504_69:                             ;   in Loop: Header=BB504_53 Depth=1
	s_or_b32 exec_lo, exec_lo, s16
	v_lshrrev_b32_e32 v4, v10, v168
	; wave barrier
	s_delay_alu instid0(VALU_DEP_1) | instskip(NEXT) | instid1(VALU_DEP_1)
	v_and_b32_e32 v21, v4, v18
	v_lshl_add_u32 v4, v21, 3, v139
	v_lshlrev_b32_e32 v22, 29, v21
	v_lshlrev_b32_e32 v23, 28, v21
	s_delay_alu instid0(VALU_DEP_3) | instskip(SKIP_1) | instid1(VALU_DEP_2)
	v_lshlrev_b64 v[19:20], 2, v[4:5]
	v_and_b32_e32 v4, 1, v21
	v_add_co_u32 v148, s16, v28, v19
	s_delay_alu instid0(VALU_DEP_1) | instskip(NEXT) | instid1(VALU_DEP_3)
	v_add_co_ci_u32_e64 v149, s16, v138, v20, s16
	v_add_co_u32 v4, s16, v4, -1
	s_delay_alu instid0(VALU_DEP_1) | instskip(SKIP_3) | instid1(VALU_DEP_2)
	v_cndmask_b32_e64 v19, 0, 1, s16
	flat_load_b32 v210, v[148:149]
	v_lshlrev_b32_e32 v20, 30, v21
	; wave barrier
	v_cmp_ne_u32_e64 s16, 0, v19
	v_not_b32_e32 v19, v20
	s_delay_alu instid0(VALU_DEP_2) | instskip(SKIP_1) | instid1(VALU_DEP_3)
	v_xor_b32_e32 v4, s16, v4
	v_cmp_gt_i32_e64 s16, 0, v20
	v_ashrrev_i32_e32 v19, 31, v19
	v_not_b32_e32 v20, v22
	s_delay_alu instid0(VALU_DEP_4) | instskip(NEXT) | instid1(VALU_DEP_3)
	v_and_b32_e32 v4, exec_lo, v4
	v_xor_b32_e32 v19, s16, v19
	v_cmp_gt_i32_e64 s16, 0, v22
	s_delay_alu instid0(VALU_DEP_4) | instskip(SKIP_1) | instid1(VALU_DEP_4)
	v_ashrrev_i32_e32 v20, 31, v20
	v_not_b32_e32 v22, v23
	v_and_b32_e32 v4, v4, v19
	v_lshlrev_b32_e32 v19, 27, v21
	s_delay_alu instid0(VALU_DEP_4) | instskip(SKIP_2) | instid1(VALU_DEP_4)
	v_xor_b32_e32 v20, s16, v20
	v_cmp_gt_i32_e64 s16, 0, v23
	v_ashrrev_i32_e32 v22, 31, v22
	v_not_b32_e32 v23, v19
	s_delay_alu instid0(VALU_DEP_4) | instskip(SKIP_1) | instid1(VALU_DEP_4)
	v_and_b32_e32 v4, v4, v20
	v_lshlrev_b32_e32 v20, 26, v21
	v_xor_b32_e32 v22, s16, v22
	v_cmp_gt_i32_e64 s16, 0, v19
	v_ashrrev_i32_e32 v19, 31, v23
	s_delay_alu instid0(VALU_DEP_4) | instskip(NEXT) | instid1(VALU_DEP_4)
	v_not_b32_e32 v23, v20
	v_and_b32_e32 v4, v4, v22
	v_lshlrev_b32_e32 v22, 25, v21
	s_delay_alu instid0(VALU_DEP_4) | instskip(SKIP_2) | instid1(VALU_DEP_4)
	v_xor_b32_e32 v19, s16, v19
	v_cmp_gt_i32_e64 s16, 0, v20
	v_ashrrev_i32_e32 v20, 31, v23
	v_not_b32_e32 v23, v22
	s_delay_alu instid0(VALU_DEP_4) | instskip(SKIP_1) | instid1(VALU_DEP_4)
	v_and_b32_e32 v4, v4, v19
	v_lshlrev_b32_e32 v19, 24, v21
	v_xor_b32_e32 v20, s16, v20
	v_cmp_gt_i32_e64 s16, 0, v22
	v_ashrrev_i32_e32 v21, 31, v23
	s_delay_alu instid0(VALU_DEP_4) | instskip(NEXT) | instid1(VALU_DEP_4)
	v_not_b32_e32 v22, v19
	v_and_b32_e32 v4, v4, v20
	s_delay_alu instid0(VALU_DEP_3) | instskip(SKIP_1) | instid1(VALU_DEP_4)
	v_xor_b32_e32 v20, s16, v21
	v_cmp_gt_i32_e64 s16, 0, v19
	v_ashrrev_i32_e32 v19, 31, v22
	s_delay_alu instid0(VALU_DEP_3) | instskip(NEXT) | instid1(VALU_DEP_2)
	v_and_b32_e32 v4, v4, v20
	v_xor_b32_e32 v19, s16, v19
	s_delay_alu instid0(VALU_DEP_1) | instskip(NEXT) | instid1(VALU_DEP_1)
	v_and_b32_e32 v4, v4, v19
	v_mbcnt_lo_u32_b32 v211, v4, 0
	v_cmp_ne_u32_e64 s17, 0, v4
	s_delay_alu instid0(VALU_DEP_2) | instskip(NEXT) | instid1(VALU_DEP_1)
	v_cmp_eq_u32_e64 s16, 0, v211
	s_and_b32 s17, s17, s16
	s_delay_alu instid0(SALU_CYCLE_1)
	s_and_saveexec_b32 s16, s17
	s_cbranch_execz .LBB504_71
; %bb.70:                               ;   in Loop: Header=BB504_53 Depth=1
	s_waitcnt vmcnt(0) lgkmcnt(0)
	v_bcnt_u32_b32 v4, v4, v210
	flat_store_b32 v[148:149], v4
.LBB504_71:                             ;   in Loop: Header=BB504_53 Depth=1
	s_or_b32 exec_lo, exec_lo, s16
	v_lshrrev_b32_e32 v4, v10, v173
	; wave barrier
	s_delay_alu instid0(VALU_DEP_1) | instskip(NEXT) | instid1(VALU_DEP_1)
	v_and_b32_e32 v21, v4, v18
	v_lshl_add_u32 v4, v21, 3, v139
	v_lshlrev_b32_e32 v22, 29, v21
	v_lshlrev_b32_e32 v23, 28, v21
	s_delay_alu instid0(VALU_DEP_3) | instskip(SKIP_1) | instid1(VALU_DEP_2)
	v_lshlrev_b64 v[19:20], 2, v[4:5]
	v_and_b32_e32 v4, 1, v21
	v_add_co_u32 v150, s16, v28, v19
	s_delay_alu instid0(VALU_DEP_1) | instskip(NEXT) | instid1(VALU_DEP_3)
	v_add_co_ci_u32_e64 v151, s16, v138, v20, s16
	v_add_co_u32 v4, s16, v4, -1
	s_delay_alu instid0(VALU_DEP_1) | instskip(SKIP_3) | instid1(VALU_DEP_2)
	v_cndmask_b32_e64 v19, 0, 1, s16
	flat_load_b32 v212, v[150:151]
	v_lshlrev_b32_e32 v20, 30, v21
	; wave barrier
	v_cmp_ne_u32_e64 s16, 0, v19
	v_not_b32_e32 v19, v20
	s_delay_alu instid0(VALU_DEP_2) | instskip(SKIP_1) | instid1(VALU_DEP_3)
	v_xor_b32_e32 v4, s16, v4
	v_cmp_gt_i32_e64 s16, 0, v20
	v_ashrrev_i32_e32 v19, 31, v19
	v_not_b32_e32 v20, v22
	s_delay_alu instid0(VALU_DEP_4) | instskip(NEXT) | instid1(VALU_DEP_3)
	v_and_b32_e32 v4, exec_lo, v4
	v_xor_b32_e32 v19, s16, v19
	v_cmp_gt_i32_e64 s16, 0, v22
	s_delay_alu instid0(VALU_DEP_4) | instskip(SKIP_1) | instid1(VALU_DEP_4)
	v_ashrrev_i32_e32 v20, 31, v20
	v_not_b32_e32 v22, v23
	v_and_b32_e32 v4, v4, v19
	v_lshlrev_b32_e32 v19, 27, v21
	s_delay_alu instid0(VALU_DEP_4) | instskip(SKIP_2) | instid1(VALU_DEP_4)
	v_xor_b32_e32 v20, s16, v20
	v_cmp_gt_i32_e64 s16, 0, v23
	v_ashrrev_i32_e32 v22, 31, v22
	v_not_b32_e32 v23, v19
	s_delay_alu instid0(VALU_DEP_4) | instskip(SKIP_1) | instid1(VALU_DEP_4)
	v_and_b32_e32 v4, v4, v20
	v_lshlrev_b32_e32 v20, 26, v21
	v_xor_b32_e32 v22, s16, v22
	v_cmp_gt_i32_e64 s16, 0, v19
	v_ashrrev_i32_e32 v19, 31, v23
	s_delay_alu instid0(VALU_DEP_4) | instskip(NEXT) | instid1(VALU_DEP_4)
	v_not_b32_e32 v23, v20
	v_and_b32_e32 v4, v4, v22
	v_lshlrev_b32_e32 v22, 25, v21
	s_delay_alu instid0(VALU_DEP_4) | instskip(SKIP_2) | instid1(VALU_DEP_4)
	v_xor_b32_e32 v19, s16, v19
	v_cmp_gt_i32_e64 s16, 0, v20
	v_ashrrev_i32_e32 v20, 31, v23
	v_not_b32_e32 v23, v22
	s_delay_alu instid0(VALU_DEP_4) | instskip(SKIP_1) | instid1(VALU_DEP_4)
	v_and_b32_e32 v4, v4, v19
	v_lshlrev_b32_e32 v19, 24, v21
	v_xor_b32_e32 v20, s16, v20
	v_cmp_gt_i32_e64 s16, 0, v22
	v_ashrrev_i32_e32 v21, 31, v23
	s_delay_alu instid0(VALU_DEP_4) | instskip(NEXT) | instid1(VALU_DEP_4)
	v_not_b32_e32 v22, v19
	v_and_b32_e32 v4, v4, v20
	s_delay_alu instid0(VALU_DEP_3) | instskip(SKIP_1) | instid1(VALU_DEP_4)
	v_xor_b32_e32 v20, s16, v21
	v_cmp_gt_i32_e64 s16, 0, v19
	v_ashrrev_i32_e32 v19, 31, v22
	s_delay_alu instid0(VALU_DEP_3) | instskip(NEXT) | instid1(VALU_DEP_2)
	v_and_b32_e32 v4, v4, v20
	v_xor_b32_e32 v19, s16, v19
	s_delay_alu instid0(VALU_DEP_1) | instskip(NEXT) | instid1(VALU_DEP_1)
	v_and_b32_e32 v4, v4, v19
	v_mbcnt_lo_u32_b32 v213, v4, 0
	v_cmp_ne_u32_e64 s17, 0, v4
	s_delay_alu instid0(VALU_DEP_2) | instskip(NEXT) | instid1(VALU_DEP_1)
	v_cmp_eq_u32_e64 s16, 0, v213
	s_and_b32 s17, s17, s16
	s_delay_alu instid0(SALU_CYCLE_1)
	s_and_saveexec_b32 s16, s17
	s_cbranch_execz .LBB504_73
; %bb.72:                               ;   in Loop: Header=BB504_53 Depth=1
	s_waitcnt vmcnt(0) lgkmcnt(0)
	v_bcnt_u32_b32 v4, v4, v212
	flat_store_b32 v[150:151], v4
.LBB504_73:                             ;   in Loop: Header=BB504_53 Depth=1
	s_or_b32 exec_lo, exec_lo, s16
	v_lshrrev_b32_e32 v4, v10, v172
	; wave barrier
	s_delay_alu instid0(VALU_DEP_1) | instskip(NEXT) | instid1(VALU_DEP_1)
	v_and_b32_e32 v21, v4, v18
	v_lshl_add_u32 v4, v21, 3, v139
	v_lshlrev_b32_e32 v22, 29, v21
	v_lshlrev_b32_e32 v23, 28, v21
	s_delay_alu instid0(VALU_DEP_3) | instskip(SKIP_1) | instid1(VALU_DEP_2)
	v_lshlrev_b64 v[19:20], 2, v[4:5]
	v_and_b32_e32 v4, 1, v21
	v_add_co_u32 v160, s16, v28, v19
	s_delay_alu instid0(VALU_DEP_1) | instskip(NEXT) | instid1(VALU_DEP_3)
	v_add_co_ci_u32_e64 v161, s16, v138, v20, s16
	v_add_co_u32 v4, s16, v4, -1
	s_delay_alu instid0(VALU_DEP_1) | instskip(SKIP_3) | instid1(VALU_DEP_2)
	v_cndmask_b32_e64 v19, 0, 1, s16
	flat_load_b32 v214, v[160:161]
	v_lshlrev_b32_e32 v20, 30, v21
	; wave barrier
	v_cmp_ne_u32_e64 s16, 0, v19
	v_not_b32_e32 v19, v20
	s_delay_alu instid0(VALU_DEP_2) | instskip(SKIP_1) | instid1(VALU_DEP_3)
	v_xor_b32_e32 v4, s16, v4
	v_cmp_gt_i32_e64 s16, 0, v20
	v_ashrrev_i32_e32 v19, 31, v19
	v_not_b32_e32 v20, v22
	s_delay_alu instid0(VALU_DEP_4) | instskip(NEXT) | instid1(VALU_DEP_3)
	v_and_b32_e32 v4, exec_lo, v4
	v_xor_b32_e32 v19, s16, v19
	v_cmp_gt_i32_e64 s16, 0, v22
	s_delay_alu instid0(VALU_DEP_4) | instskip(SKIP_1) | instid1(VALU_DEP_4)
	v_ashrrev_i32_e32 v20, 31, v20
	v_not_b32_e32 v22, v23
	v_and_b32_e32 v4, v4, v19
	v_lshlrev_b32_e32 v19, 27, v21
	s_delay_alu instid0(VALU_DEP_4) | instskip(SKIP_2) | instid1(VALU_DEP_4)
	v_xor_b32_e32 v20, s16, v20
	v_cmp_gt_i32_e64 s16, 0, v23
	v_ashrrev_i32_e32 v22, 31, v22
	v_not_b32_e32 v23, v19
	s_delay_alu instid0(VALU_DEP_4) | instskip(SKIP_1) | instid1(VALU_DEP_4)
	v_and_b32_e32 v4, v4, v20
	v_lshlrev_b32_e32 v20, 26, v21
	v_xor_b32_e32 v22, s16, v22
	v_cmp_gt_i32_e64 s16, 0, v19
	v_ashrrev_i32_e32 v19, 31, v23
	s_delay_alu instid0(VALU_DEP_4) | instskip(NEXT) | instid1(VALU_DEP_4)
	v_not_b32_e32 v23, v20
	v_and_b32_e32 v4, v4, v22
	v_lshlrev_b32_e32 v22, 25, v21
	s_delay_alu instid0(VALU_DEP_4) | instskip(SKIP_2) | instid1(VALU_DEP_4)
	v_xor_b32_e32 v19, s16, v19
	v_cmp_gt_i32_e64 s16, 0, v20
	v_ashrrev_i32_e32 v20, 31, v23
	v_not_b32_e32 v23, v22
	s_delay_alu instid0(VALU_DEP_4) | instskip(SKIP_1) | instid1(VALU_DEP_4)
	v_and_b32_e32 v4, v4, v19
	v_lshlrev_b32_e32 v19, 24, v21
	v_xor_b32_e32 v20, s16, v20
	v_cmp_gt_i32_e64 s16, 0, v22
	v_ashrrev_i32_e32 v21, 31, v23
	s_delay_alu instid0(VALU_DEP_4) | instskip(NEXT) | instid1(VALU_DEP_4)
	v_not_b32_e32 v22, v19
	v_and_b32_e32 v4, v4, v20
	s_delay_alu instid0(VALU_DEP_3) | instskip(SKIP_1) | instid1(VALU_DEP_4)
	v_xor_b32_e32 v20, s16, v21
	v_cmp_gt_i32_e64 s16, 0, v19
	v_ashrrev_i32_e32 v19, 31, v22
	s_delay_alu instid0(VALU_DEP_3) | instskip(NEXT) | instid1(VALU_DEP_2)
	v_and_b32_e32 v4, v4, v20
	v_xor_b32_e32 v19, s16, v19
	s_delay_alu instid0(VALU_DEP_1) | instskip(NEXT) | instid1(VALU_DEP_1)
	v_and_b32_e32 v4, v4, v19
	v_mbcnt_lo_u32_b32 v215, v4, 0
	v_cmp_ne_u32_e64 s17, 0, v4
	s_delay_alu instid0(VALU_DEP_2) | instskip(NEXT) | instid1(VALU_DEP_1)
	v_cmp_eq_u32_e64 s16, 0, v215
	s_and_b32 s17, s17, s16
	s_delay_alu instid0(SALU_CYCLE_1)
	s_and_saveexec_b32 s16, s17
	s_cbranch_execz .LBB504_75
; %bb.74:                               ;   in Loop: Header=BB504_53 Depth=1
	s_waitcnt vmcnt(0) lgkmcnt(0)
	v_bcnt_u32_b32 v4, v4, v214
	flat_store_b32 v[160:161], v4
.LBB504_75:                             ;   in Loop: Header=BB504_53 Depth=1
	s_or_b32 exec_lo, exec_lo, s16
	v_lshrrev_b32_e32 v4, v10, v171
	; wave barrier
	s_delay_alu instid0(VALU_DEP_1) | instskip(NEXT) | instid1(VALU_DEP_1)
	v_and_b32_e32 v21, v4, v18
	v_lshl_add_u32 v4, v21, 3, v139
	v_lshlrev_b32_e32 v22, 29, v21
	v_lshlrev_b32_e32 v23, 28, v21
	s_delay_alu instid0(VALU_DEP_3) | instskip(SKIP_1) | instid1(VALU_DEP_2)
	v_lshlrev_b64 v[19:20], 2, v[4:5]
	v_and_b32_e32 v4, 1, v21
	v_add_co_u32 v162, s16, v28, v19
	s_delay_alu instid0(VALU_DEP_1) | instskip(NEXT) | instid1(VALU_DEP_3)
	v_add_co_ci_u32_e64 v163, s16, v138, v20, s16
	v_add_co_u32 v4, s16, v4, -1
	s_delay_alu instid0(VALU_DEP_1) | instskip(SKIP_3) | instid1(VALU_DEP_2)
	v_cndmask_b32_e64 v19, 0, 1, s16
	flat_load_b32 v224, v[162:163]
	v_lshlrev_b32_e32 v20, 30, v21
	; wave barrier
	v_cmp_ne_u32_e64 s16, 0, v19
	v_not_b32_e32 v19, v20
	s_delay_alu instid0(VALU_DEP_2) | instskip(SKIP_1) | instid1(VALU_DEP_3)
	v_xor_b32_e32 v4, s16, v4
	v_cmp_gt_i32_e64 s16, 0, v20
	v_ashrrev_i32_e32 v19, 31, v19
	v_not_b32_e32 v20, v22
	s_delay_alu instid0(VALU_DEP_4) | instskip(NEXT) | instid1(VALU_DEP_3)
	v_and_b32_e32 v4, exec_lo, v4
	v_xor_b32_e32 v19, s16, v19
	v_cmp_gt_i32_e64 s16, 0, v22
	s_delay_alu instid0(VALU_DEP_4) | instskip(SKIP_1) | instid1(VALU_DEP_4)
	v_ashrrev_i32_e32 v20, 31, v20
	v_not_b32_e32 v22, v23
	v_and_b32_e32 v4, v4, v19
	v_lshlrev_b32_e32 v19, 27, v21
	s_delay_alu instid0(VALU_DEP_4) | instskip(SKIP_2) | instid1(VALU_DEP_4)
	v_xor_b32_e32 v20, s16, v20
	v_cmp_gt_i32_e64 s16, 0, v23
	v_ashrrev_i32_e32 v22, 31, v22
	v_not_b32_e32 v23, v19
	s_delay_alu instid0(VALU_DEP_4) | instskip(SKIP_1) | instid1(VALU_DEP_4)
	v_and_b32_e32 v4, v4, v20
	v_lshlrev_b32_e32 v20, 26, v21
	v_xor_b32_e32 v22, s16, v22
	v_cmp_gt_i32_e64 s16, 0, v19
	v_ashrrev_i32_e32 v19, 31, v23
	s_delay_alu instid0(VALU_DEP_4) | instskip(NEXT) | instid1(VALU_DEP_4)
	v_not_b32_e32 v23, v20
	v_and_b32_e32 v4, v4, v22
	v_lshlrev_b32_e32 v22, 25, v21
	s_delay_alu instid0(VALU_DEP_4) | instskip(SKIP_2) | instid1(VALU_DEP_4)
	v_xor_b32_e32 v19, s16, v19
	v_cmp_gt_i32_e64 s16, 0, v20
	v_ashrrev_i32_e32 v20, 31, v23
	v_not_b32_e32 v23, v22
	s_delay_alu instid0(VALU_DEP_4) | instskip(SKIP_1) | instid1(VALU_DEP_4)
	v_and_b32_e32 v4, v4, v19
	v_lshlrev_b32_e32 v19, 24, v21
	v_xor_b32_e32 v20, s16, v20
	v_cmp_gt_i32_e64 s16, 0, v22
	v_ashrrev_i32_e32 v21, 31, v23
	s_delay_alu instid0(VALU_DEP_4) | instskip(NEXT) | instid1(VALU_DEP_4)
	v_not_b32_e32 v22, v19
	v_and_b32_e32 v4, v4, v20
	s_delay_alu instid0(VALU_DEP_3) | instskip(SKIP_1) | instid1(VALU_DEP_4)
	v_xor_b32_e32 v20, s16, v21
	v_cmp_gt_i32_e64 s16, 0, v19
	v_ashrrev_i32_e32 v19, 31, v22
	s_delay_alu instid0(VALU_DEP_3) | instskip(NEXT) | instid1(VALU_DEP_2)
	v_and_b32_e32 v4, v4, v20
	v_xor_b32_e32 v19, s16, v19
	s_delay_alu instid0(VALU_DEP_1) | instskip(NEXT) | instid1(VALU_DEP_1)
	v_and_b32_e32 v4, v4, v19
	v_mbcnt_lo_u32_b32 v225, v4, 0
	v_cmp_ne_u32_e64 s17, 0, v4
	s_delay_alu instid0(VALU_DEP_2) | instskip(NEXT) | instid1(VALU_DEP_1)
	v_cmp_eq_u32_e64 s16, 0, v225
	s_and_b32 s17, s17, s16
	s_delay_alu instid0(SALU_CYCLE_1)
	s_and_saveexec_b32 s16, s17
	s_cbranch_execz .LBB504_77
; %bb.76:                               ;   in Loop: Header=BB504_53 Depth=1
	s_waitcnt vmcnt(0) lgkmcnt(0)
	v_bcnt_u32_b32 v4, v4, v224
	flat_store_b32 v[162:163], v4
.LBB504_77:                             ;   in Loop: Header=BB504_53 Depth=1
	s_or_b32 exec_lo, exec_lo, s16
	v_lshrrev_b32_e32 v4, v10, v154
	; wave barrier
	s_delay_alu instid0(VALU_DEP_1) | instskip(NEXT) | instid1(VALU_DEP_1)
	v_and_b32_e32 v21, v4, v18
	v_lshl_add_u32 v4, v21, 3, v139
	v_lshlrev_b32_e32 v22, 29, v21
	v_lshlrev_b32_e32 v23, 28, v21
	s_delay_alu instid0(VALU_DEP_3) | instskip(SKIP_1) | instid1(VALU_DEP_2)
	v_lshlrev_b64 v[19:20], 2, v[4:5]
	v_and_b32_e32 v4, 1, v21
	v_add_co_u32 v164, s16, v28, v19
	s_delay_alu instid0(VALU_DEP_1) | instskip(NEXT) | instid1(VALU_DEP_3)
	v_add_co_ci_u32_e64 v165, s16, v138, v20, s16
	v_add_co_u32 v4, s16, v4, -1
	s_delay_alu instid0(VALU_DEP_1) | instskip(SKIP_3) | instid1(VALU_DEP_2)
	v_cndmask_b32_e64 v19, 0, 1, s16
	flat_load_b32 v226, v[164:165]
	v_lshlrev_b32_e32 v20, 30, v21
	; wave barrier
	v_cmp_ne_u32_e64 s16, 0, v19
	v_not_b32_e32 v19, v20
	s_delay_alu instid0(VALU_DEP_2) | instskip(SKIP_1) | instid1(VALU_DEP_3)
	v_xor_b32_e32 v4, s16, v4
	v_cmp_gt_i32_e64 s16, 0, v20
	v_ashrrev_i32_e32 v19, 31, v19
	v_not_b32_e32 v20, v22
	s_delay_alu instid0(VALU_DEP_4) | instskip(NEXT) | instid1(VALU_DEP_3)
	v_and_b32_e32 v4, exec_lo, v4
	v_xor_b32_e32 v19, s16, v19
	v_cmp_gt_i32_e64 s16, 0, v22
	s_delay_alu instid0(VALU_DEP_4) | instskip(SKIP_1) | instid1(VALU_DEP_4)
	v_ashrrev_i32_e32 v20, 31, v20
	v_not_b32_e32 v22, v23
	v_and_b32_e32 v4, v4, v19
	v_lshlrev_b32_e32 v19, 27, v21
	s_delay_alu instid0(VALU_DEP_4) | instskip(SKIP_2) | instid1(VALU_DEP_4)
	v_xor_b32_e32 v20, s16, v20
	v_cmp_gt_i32_e64 s16, 0, v23
	v_ashrrev_i32_e32 v22, 31, v22
	v_not_b32_e32 v23, v19
	s_delay_alu instid0(VALU_DEP_4) | instskip(SKIP_1) | instid1(VALU_DEP_4)
	v_and_b32_e32 v4, v4, v20
	v_lshlrev_b32_e32 v20, 26, v21
	v_xor_b32_e32 v22, s16, v22
	v_cmp_gt_i32_e64 s16, 0, v19
	v_ashrrev_i32_e32 v19, 31, v23
	s_delay_alu instid0(VALU_DEP_4) | instskip(NEXT) | instid1(VALU_DEP_4)
	v_not_b32_e32 v23, v20
	v_and_b32_e32 v4, v4, v22
	v_lshlrev_b32_e32 v22, 25, v21
	s_delay_alu instid0(VALU_DEP_4) | instskip(SKIP_2) | instid1(VALU_DEP_4)
	v_xor_b32_e32 v19, s16, v19
	v_cmp_gt_i32_e64 s16, 0, v20
	v_ashrrev_i32_e32 v20, 31, v23
	v_not_b32_e32 v23, v22
	s_delay_alu instid0(VALU_DEP_4) | instskip(SKIP_1) | instid1(VALU_DEP_4)
	v_and_b32_e32 v4, v4, v19
	v_lshlrev_b32_e32 v19, 24, v21
	v_xor_b32_e32 v20, s16, v20
	v_cmp_gt_i32_e64 s16, 0, v22
	v_ashrrev_i32_e32 v21, 31, v23
	s_delay_alu instid0(VALU_DEP_4) | instskip(NEXT) | instid1(VALU_DEP_4)
	v_not_b32_e32 v22, v19
	v_and_b32_e32 v4, v4, v20
	s_delay_alu instid0(VALU_DEP_3) | instskip(SKIP_1) | instid1(VALU_DEP_4)
	v_xor_b32_e32 v20, s16, v21
	v_cmp_gt_i32_e64 s16, 0, v19
	v_ashrrev_i32_e32 v19, 31, v22
	s_delay_alu instid0(VALU_DEP_3) | instskip(NEXT) | instid1(VALU_DEP_2)
	v_and_b32_e32 v4, v4, v20
	v_xor_b32_e32 v19, s16, v19
	s_delay_alu instid0(VALU_DEP_1) | instskip(NEXT) | instid1(VALU_DEP_1)
	v_and_b32_e32 v4, v4, v19
	v_mbcnt_lo_u32_b32 v227, v4, 0
	v_cmp_ne_u32_e64 s17, 0, v4
	s_delay_alu instid0(VALU_DEP_2) | instskip(NEXT) | instid1(VALU_DEP_1)
	v_cmp_eq_u32_e64 s16, 0, v227
	s_and_b32 s17, s17, s16
	s_delay_alu instid0(SALU_CYCLE_1)
	s_and_saveexec_b32 s16, s17
	s_cbranch_execz .LBB504_79
; %bb.78:                               ;   in Loop: Header=BB504_53 Depth=1
	s_waitcnt vmcnt(0) lgkmcnt(0)
	v_bcnt_u32_b32 v4, v4, v226
	flat_store_b32 v[164:165], v4
.LBB504_79:                             ;   in Loop: Header=BB504_53 Depth=1
	s_or_b32 exec_lo, exec_lo, s16
	v_lshrrev_b32_e32 v4, v10, v156
	; wave barrier
	s_delay_alu instid0(VALU_DEP_1) | instskip(NEXT) | instid1(VALU_DEP_1)
	v_and_b32_e32 v21, v4, v18
	v_lshl_add_u32 v4, v21, 3, v139
	v_lshlrev_b32_e32 v22, 29, v21
	v_lshlrev_b32_e32 v23, 28, v21
	s_delay_alu instid0(VALU_DEP_3) | instskip(SKIP_1) | instid1(VALU_DEP_2)
	v_lshlrev_b64 v[19:20], 2, v[4:5]
	v_and_b32_e32 v4, 1, v21
	v_add_co_u32 v166, s16, v28, v19
	s_delay_alu instid0(VALU_DEP_1) | instskip(NEXT) | instid1(VALU_DEP_3)
	v_add_co_ci_u32_e64 v167, s16, v138, v20, s16
	v_add_co_u32 v4, s16, v4, -1
	s_delay_alu instid0(VALU_DEP_1) | instskip(SKIP_3) | instid1(VALU_DEP_2)
	v_cndmask_b32_e64 v19, 0, 1, s16
	flat_load_b32 v228, v[166:167]
	v_lshlrev_b32_e32 v20, 30, v21
	; wave barrier
	v_cmp_ne_u32_e64 s16, 0, v19
	v_not_b32_e32 v19, v20
	s_delay_alu instid0(VALU_DEP_2) | instskip(SKIP_1) | instid1(VALU_DEP_3)
	v_xor_b32_e32 v4, s16, v4
	v_cmp_gt_i32_e64 s16, 0, v20
	v_ashrrev_i32_e32 v19, 31, v19
	v_not_b32_e32 v20, v22
	s_delay_alu instid0(VALU_DEP_4) | instskip(NEXT) | instid1(VALU_DEP_3)
	v_and_b32_e32 v4, exec_lo, v4
	v_xor_b32_e32 v19, s16, v19
	v_cmp_gt_i32_e64 s16, 0, v22
	s_delay_alu instid0(VALU_DEP_4) | instskip(SKIP_1) | instid1(VALU_DEP_4)
	v_ashrrev_i32_e32 v20, 31, v20
	v_not_b32_e32 v22, v23
	v_and_b32_e32 v4, v4, v19
	v_lshlrev_b32_e32 v19, 27, v21
	s_delay_alu instid0(VALU_DEP_4) | instskip(SKIP_2) | instid1(VALU_DEP_4)
	v_xor_b32_e32 v20, s16, v20
	v_cmp_gt_i32_e64 s16, 0, v23
	v_ashrrev_i32_e32 v22, 31, v22
	v_not_b32_e32 v23, v19
	s_delay_alu instid0(VALU_DEP_4) | instskip(SKIP_1) | instid1(VALU_DEP_4)
	v_and_b32_e32 v4, v4, v20
	v_lshlrev_b32_e32 v20, 26, v21
	v_xor_b32_e32 v22, s16, v22
	v_cmp_gt_i32_e64 s16, 0, v19
	v_ashrrev_i32_e32 v19, 31, v23
	s_delay_alu instid0(VALU_DEP_4) | instskip(NEXT) | instid1(VALU_DEP_4)
	v_not_b32_e32 v23, v20
	v_and_b32_e32 v4, v4, v22
	v_lshlrev_b32_e32 v22, 25, v21
	s_delay_alu instid0(VALU_DEP_4) | instskip(SKIP_2) | instid1(VALU_DEP_4)
	v_xor_b32_e32 v19, s16, v19
	v_cmp_gt_i32_e64 s16, 0, v20
	v_ashrrev_i32_e32 v20, 31, v23
	v_not_b32_e32 v23, v22
	s_delay_alu instid0(VALU_DEP_4) | instskip(SKIP_1) | instid1(VALU_DEP_4)
	v_and_b32_e32 v4, v4, v19
	v_lshlrev_b32_e32 v19, 24, v21
	v_xor_b32_e32 v20, s16, v20
	v_cmp_gt_i32_e64 s16, 0, v22
	v_ashrrev_i32_e32 v21, 31, v23
	s_delay_alu instid0(VALU_DEP_4) | instskip(NEXT) | instid1(VALU_DEP_4)
	v_not_b32_e32 v22, v19
	v_and_b32_e32 v4, v4, v20
	s_delay_alu instid0(VALU_DEP_3) | instskip(SKIP_1) | instid1(VALU_DEP_4)
	v_xor_b32_e32 v20, s16, v21
	v_cmp_gt_i32_e64 s16, 0, v19
	v_ashrrev_i32_e32 v19, 31, v22
	s_delay_alu instid0(VALU_DEP_3) | instskip(NEXT) | instid1(VALU_DEP_2)
	v_and_b32_e32 v4, v4, v20
	v_xor_b32_e32 v19, s16, v19
	s_delay_alu instid0(VALU_DEP_1) | instskip(NEXT) | instid1(VALU_DEP_1)
	v_and_b32_e32 v4, v4, v19
	v_mbcnt_lo_u32_b32 v229, v4, 0
	v_cmp_ne_u32_e64 s17, 0, v4
	s_delay_alu instid0(VALU_DEP_2) | instskip(NEXT) | instid1(VALU_DEP_1)
	v_cmp_eq_u32_e64 s16, 0, v229
	s_and_b32 s17, s17, s16
	s_delay_alu instid0(SALU_CYCLE_1)
	s_and_saveexec_b32 s16, s17
	s_cbranch_execz .LBB504_81
; %bb.80:                               ;   in Loop: Header=BB504_53 Depth=1
	s_waitcnt vmcnt(0) lgkmcnt(0)
	v_bcnt_u32_b32 v4, v4, v228
	flat_store_b32 v[166:167], v4
.LBB504_81:                             ;   in Loop: Header=BB504_53 Depth=1
	s_or_b32 exec_lo, exec_lo, s16
	v_lshrrev_b32_e32 v4, v10, v155
	; wave barrier
	s_delay_alu instid0(VALU_DEP_1) | instskip(NEXT) | instid1(VALU_DEP_1)
	v_and_b32_e32 v21, v4, v18
	v_lshl_add_u32 v4, v21, 3, v139
	v_lshlrev_b32_e32 v22, 29, v21
	v_lshlrev_b32_e32 v23, 28, v21
	s_delay_alu instid0(VALU_DEP_3) | instskip(SKIP_1) | instid1(VALU_DEP_2)
	v_lshlrev_b64 v[19:20], 2, v[4:5]
	v_and_b32_e32 v4, 1, v21
	v_add_co_u32 v176, s16, v28, v19
	s_delay_alu instid0(VALU_DEP_1) | instskip(NEXT) | instid1(VALU_DEP_3)
	v_add_co_ci_u32_e64 v177, s16, v138, v20, s16
	v_add_co_u32 v4, s16, v4, -1
	s_delay_alu instid0(VALU_DEP_1) | instskip(SKIP_3) | instid1(VALU_DEP_2)
	v_cndmask_b32_e64 v19, 0, 1, s16
	flat_load_b32 v230, v[176:177]
	v_lshlrev_b32_e32 v20, 30, v21
	; wave barrier
	v_cmp_ne_u32_e64 s16, 0, v19
	v_not_b32_e32 v19, v20
	s_delay_alu instid0(VALU_DEP_2) | instskip(SKIP_1) | instid1(VALU_DEP_3)
	v_xor_b32_e32 v4, s16, v4
	v_cmp_gt_i32_e64 s16, 0, v20
	v_ashrrev_i32_e32 v19, 31, v19
	v_not_b32_e32 v20, v22
	s_delay_alu instid0(VALU_DEP_4) | instskip(NEXT) | instid1(VALU_DEP_3)
	v_and_b32_e32 v4, exec_lo, v4
	v_xor_b32_e32 v19, s16, v19
	v_cmp_gt_i32_e64 s16, 0, v22
	s_delay_alu instid0(VALU_DEP_4) | instskip(SKIP_1) | instid1(VALU_DEP_4)
	v_ashrrev_i32_e32 v20, 31, v20
	v_not_b32_e32 v22, v23
	v_and_b32_e32 v4, v4, v19
	v_lshlrev_b32_e32 v19, 27, v21
	s_delay_alu instid0(VALU_DEP_4) | instskip(SKIP_2) | instid1(VALU_DEP_4)
	v_xor_b32_e32 v20, s16, v20
	v_cmp_gt_i32_e64 s16, 0, v23
	v_ashrrev_i32_e32 v22, 31, v22
	v_not_b32_e32 v23, v19
	s_delay_alu instid0(VALU_DEP_4) | instskip(SKIP_1) | instid1(VALU_DEP_4)
	v_and_b32_e32 v4, v4, v20
	v_lshlrev_b32_e32 v20, 26, v21
	v_xor_b32_e32 v22, s16, v22
	v_cmp_gt_i32_e64 s16, 0, v19
	v_ashrrev_i32_e32 v19, 31, v23
	s_delay_alu instid0(VALU_DEP_4) | instskip(NEXT) | instid1(VALU_DEP_4)
	v_not_b32_e32 v23, v20
	v_and_b32_e32 v4, v4, v22
	v_lshlrev_b32_e32 v22, 25, v21
	s_delay_alu instid0(VALU_DEP_4) | instskip(SKIP_2) | instid1(VALU_DEP_4)
	v_xor_b32_e32 v19, s16, v19
	v_cmp_gt_i32_e64 s16, 0, v20
	v_ashrrev_i32_e32 v20, 31, v23
	v_not_b32_e32 v23, v22
	s_delay_alu instid0(VALU_DEP_4) | instskip(SKIP_1) | instid1(VALU_DEP_4)
	v_and_b32_e32 v4, v4, v19
	v_lshlrev_b32_e32 v19, 24, v21
	v_xor_b32_e32 v20, s16, v20
	v_cmp_gt_i32_e64 s16, 0, v22
	v_ashrrev_i32_e32 v21, 31, v23
	s_delay_alu instid0(VALU_DEP_4) | instskip(NEXT) | instid1(VALU_DEP_4)
	v_not_b32_e32 v22, v19
	v_and_b32_e32 v4, v4, v20
	s_delay_alu instid0(VALU_DEP_3) | instskip(SKIP_1) | instid1(VALU_DEP_4)
	v_xor_b32_e32 v20, s16, v21
	v_cmp_gt_i32_e64 s16, 0, v19
	v_ashrrev_i32_e32 v19, 31, v22
	s_delay_alu instid0(VALU_DEP_3) | instskip(NEXT) | instid1(VALU_DEP_2)
	v_and_b32_e32 v4, v4, v20
	v_xor_b32_e32 v19, s16, v19
	s_delay_alu instid0(VALU_DEP_1) | instskip(NEXT) | instid1(VALU_DEP_1)
	v_and_b32_e32 v4, v4, v19
	v_mbcnt_lo_u32_b32 v231, v4, 0
	v_cmp_ne_u32_e64 s17, 0, v4
	s_delay_alu instid0(VALU_DEP_2) | instskip(NEXT) | instid1(VALU_DEP_1)
	v_cmp_eq_u32_e64 s16, 0, v231
	s_and_b32 s17, s17, s16
	s_delay_alu instid0(SALU_CYCLE_1)
	s_and_saveexec_b32 s16, s17
	s_cbranch_execz .LBB504_83
; %bb.82:                               ;   in Loop: Header=BB504_53 Depth=1
	s_waitcnt vmcnt(0) lgkmcnt(0)
	v_bcnt_u32_b32 v4, v4, v230
	flat_store_b32 v[176:177], v4
.LBB504_83:                             ;   in Loop: Header=BB504_53 Depth=1
	s_or_b32 exec_lo, exec_lo, s16
	v_lshrrev_b32_e32 v4, v10, v157
	; wave barrier
	s_delay_alu instid0(VALU_DEP_1) | instskip(NEXT) | instid1(VALU_DEP_1)
	v_and_b32_e32 v20, v4, v18
	v_lshl_add_u32 v4, v20, 3, v139
	v_lshlrev_b32_e32 v21, 29, v20
	v_lshlrev_b32_e32 v22, 28, v20
	s_delay_alu instid0(VALU_DEP_3) | instskip(SKIP_1) | instid1(VALU_DEP_2)
	v_lshlrev_b64 v[18:19], 2, v[4:5]
	v_and_b32_e32 v4, 1, v20
	v_add_co_u32 v178, s16, v28, v18
	s_delay_alu instid0(VALU_DEP_1) | instskip(NEXT) | instid1(VALU_DEP_3)
	v_add_co_ci_u32_e64 v179, s16, v138, v19, s16
	v_add_co_u32 v4, s16, v4, -1
	s_delay_alu instid0(VALU_DEP_1) | instskip(SKIP_3) | instid1(VALU_DEP_2)
	v_cndmask_b32_e64 v18, 0, 1, s16
	flat_load_b32 v240, v[178:179]
	v_lshlrev_b32_e32 v19, 30, v20
	; wave barrier
	v_cmp_ne_u32_e64 s16, 0, v18
	v_not_b32_e32 v18, v19
	s_delay_alu instid0(VALU_DEP_2) | instskip(SKIP_1) | instid1(VALU_DEP_3)
	v_xor_b32_e32 v4, s16, v4
	v_cmp_gt_i32_e64 s16, 0, v19
	v_ashrrev_i32_e32 v18, 31, v18
	v_not_b32_e32 v19, v21
	s_delay_alu instid0(VALU_DEP_4) | instskip(NEXT) | instid1(VALU_DEP_3)
	v_and_b32_e32 v4, exec_lo, v4
	v_xor_b32_e32 v18, s16, v18
	v_cmp_gt_i32_e64 s16, 0, v21
	s_delay_alu instid0(VALU_DEP_4) | instskip(SKIP_1) | instid1(VALU_DEP_4)
	v_ashrrev_i32_e32 v19, 31, v19
	v_not_b32_e32 v21, v22
	v_and_b32_e32 v4, v4, v18
	v_lshlrev_b32_e32 v18, 27, v20
	s_delay_alu instid0(VALU_DEP_4) | instskip(SKIP_2) | instid1(VALU_DEP_4)
	v_xor_b32_e32 v19, s16, v19
	v_cmp_gt_i32_e64 s16, 0, v22
	v_ashrrev_i32_e32 v21, 31, v21
	v_not_b32_e32 v22, v18
	s_delay_alu instid0(VALU_DEP_4) | instskip(SKIP_1) | instid1(VALU_DEP_4)
	v_and_b32_e32 v4, v4, v19
	v_lshlrev_b32_e32 v19, 26, v20
	v_xor_b32_e32 v21, s16, v21
	v_cmp_gt_i32_e64 s16, 0, v18
	v_ashrrev_i32_e32 v18, 31, v22
	s_delay_alu instid0(VALU_DEP_4) | instskip(NEXT) | instid1(VALU_DEP_4)
	v_not_b32_e32 v22, v19
	v_and_b32_e32 v4, v4, v21
	v_lshlrev_b32_e32 v21, 25, v20
	s_delay_alu instid0(VALU_DEP_4) | instskip(SKIP_2) | instid1(VALU_DEP_4)
	v_xor_b32_e32 v18, s16, v18
	v_cmp_gt_i32_e64 s16, 0, v19
	v_ashrrev_i32_e32 v19, 31, v22
	v_not_b32_e32 v22, v21
	s_delay_alu instid0(VALU_DEP_4) | instskip(SKIP_1) | instid1(VALU_DEP_4)
	v_and_b32_e32 v4, v4, v18
	v_lshlrev_b32_e32 v18, 24, v20
	v_xor_b32_e32 v19, s16, v19
	v_cmp_gt_i32_e64 s16, 0, v21
	v_ashrrev_i32_e32 v20, 31, v22
	s_delay_alu instid0(VALU_DEP_4) | instskip(NEXT) | instid1(VALU_DEP_4)
	v_not_b32_e32 v21, v18
	v_and_b32_e32 v4, v4, v19
	s_delay_alu instid0(VALU_DEP_3) | instskip(SKIP_1) | instid1(VALU_DEP_4)
	v_xor_b32_e32 v19, s16, v20
	v_cmp_gt_i32_e64 s16, 0, v18
	v_ashrrev_i32_e32 v18, 31, v21
	s_delay_alu instid0(VALU_DEP_3) | instskip(NEXT) | instid1(VALU_DEP_2)
	v_and_b32_e32 v4, v4, v19
	v_xor_b32_e32 v18, s16, v18
	s_delay_alu instid0(VALU_DEP_1) | instskip(NEXT) | instid1(VALU_DEP_1)
	v_and_b32_e32 v4, v4, v18
	v_mbcnt_lo_u32_b32 v241, v4, 0
	v_cmp_ne_u32_e64 s17, 0, v4
	s_delay_alu instid0(VALU_DEP_2) | instskip(NEXT) | instid1(VALU_DEP_1)
	v_cmp_eq_u32_e64 s16, 0, v241
	s_and_b32 s17, s17, s16
	s_delay_alu instid0(SALU_CYCLE_1)
	s_and_saveexec_b32 s16, s17
	s_cbranch_execz .LBB504_85
; %bb.84:                               ;   in Loop: Header=BB504_53 Depth=1
	s_waitcnt vmcnt(0) lgkmcnt(0)
	v_bcnt_u32_b32 v4, v4, v240
	flat_store_b32 v[178:179], v4
.LBB504_85:                             ;   in Loop: Header=BB504_53 Depth=1
	s_or_b32 exec_lo, exec_lo, s16
	; wave barrier
	s_waitcnt vmcnt(0) lgkmcnt(0)
	s_waitcnt_vscnt null, 0x0
	s_barrier
	buffer_gl0_inv
	s_clause 0x1
	flat_load_b128 v[22:25], v[66:67] offset:32
	flat_load_b128 v[18:21], v[70:71] offset:16
	s_waitcnt vmcnt(1) lgkmcnt(1)
	v_add_nc_u32_e32 v4, v23, v22
	s_delay_alu instid0(VALU_DEP_1) | instskip(SKIP_1) | instid1(VALU_DEP_1)
	v_add3_u32 v4, v4, v24, v25
	s_waitcnt vmcnt(0) lgkmcnt(0)
	v_add3_u32 v4, v4, v18, v19
	s_delay_alu instid0(VALU_DEP_1) | instskip(NEXT) | instid1(VALU_DEP_1)
	v_add3_u32 v4, v4, v20, v21
	v_mov_b32_dpp v21, v4 row_shr:1 row_mask:0xf bank_mask:0xf
	s_delay_alu instid0(VALU_DEP_1) | instskip(NEXT) | instid1(VALU_DEP_1)
	v_cndmask_b32_e64 v21, v21, 0, vcc_lo
	v_add_nc_u32_e32 v4, v21, v4
	s_delay_alu instid0(VALU_DEP_1) | instskip(NEXT) | instid1(VALU_DEP_1)
	v_mov_b32_dpp v21, v4 row_shr:2 row_mask:0xf bank_mask:0xf
	v_cndmask_b32_e64 v21, 0, v21, s0
	s_delay_alu instid0(VALU_DEP_1) | instskip(NEXT) | instid1(VALU_DEP_1)
	v_add_nc_u32_e32 v4, v4, v21
	v_mov_b32_dpp v21, v4 row_shr:4 row_mask:0xf bank_mask:0xf
	s_delay_alu instid0(VALU_DEP_1) | instskip(NEXT) | instid1(VALU_DEP_1)
	v_cndmask_b32_e64 v21, 0, v21, s1
	v_add_nc_u32_e32 v4, v4, v21
	s_delay_alu instid0(VALU_DEP_1) | instskip(NEXT) | instid1(VALU_DEP_1)
	v_mov_b32_dpp v21, v4 row_shr:8 row_mask:0xf bank_mask:0xf
	v_cndmask_b32_e64 v21, 0, v21, s2
	s_delay_alu instid0(VALU_DEP_1) | instskip(SKIP_3) | instid1(VALU_DEP_1)
	v_add_nc_u32_e32 v4, v4, v21
	ds_swizzle_b32 v21, v4 offset:swizzle(BROADCAST,32,15)
	s_waitcnt lgkmcnt(0)
	v_cndmask_b32_e64 v21, v21, 0, s3
	v_add_nc_u32_e32 v4, v4, v21
	s_and_saveexec_b32 s16, s4
	s_cbranch_execz .LBB504_87
; %bb.86:                               ;   in Loop: Header=BB504_53 Depth=1
	flat_store_b32 v[100:101], v4
.LBB504_87:                             ;   in Loop: Header=BB504_53 Depth=1
	s_or_b32 exec_lo, exec_lo, s16
	s_waitcnt lgkmcnt(0)
	s_waitcnt_vscnt null, 0x0
	s_barrier
	buffer_gl0_inv
	s_and_saveexec_b32 s16, s5
	s_cbranch_execz .LBB504_89
; %bb.88:                               ;   in Loop: Header=BB504_53 Depth=1
	flat_load_b32 v21, v[48:49]
	s_waitcnt vmcnt(0) lgkmcnt(0)
	v_mov_b32_dpp v242, v21 row_shr:1 row_mask:0xf bank_mask:0xf
	s_delay_alu instid0(VALU_DEP_1) | instskip(NEXT) | instid1(VALU_DEP_1)
	v_cndmask_b32_e64 v242, v242, 0, s11
	v_add_nc_u32_e32 v21, v242, v21
	s_delay_alu instid0(VALU_DEP_1) | instskip(NEXT) | instid1(VALU_DEP_1)
	v_mov_b32_dpp v242, v21 row_shr:2 row_mask:0xf bank_mask:0xf
	v_cndmask_b32_e64 v242, 0, v242, s14
	s_delay_alu instid0(VALU_DEP_1) | instskip(NEXT) | instid1(VALU_DEP_1)
	v_add_nc_u32_e32 v21, v21, v242
	v_mov_b32_dpp v242, v21 row_shr:4 row_mask:0xf bank_mask:0xf
	s_delay_alu instid0(VALU_DEP_1) | instskip(NEXT) | instid1(VALU_DEP_1)
	v_cndmask_b32_e64 v242, 0, v242, s15
	v_add_nc_u32_e32 v21, v21, v242
	flat_store_b32 v[48:49], v21
.LBB504_89:                             ;   in Loop: Header=BB504_53 Depth=1
	s_or_b32 exec_lo, exec_lo, s16
	v_mov_b32_e32 v21, 0
	s_waitcnt lgkmcnt(0)
	s_waitcnt_vscnt null, 0x0
	s_barrier
	buffer_gl0_inv
	s_and_saveexec_b32 s16, s6
	s_cbranch_execz .LBB504_91
; %bb.90:                               ;   in Loop: Header=BB504_53 Depth=1
	flat_load_b32 v21, v[112:113]
.LBB504_91:                             ;   in Loop: Header=BB504_53 Depth=1
	s_or_b32 exec_lo, exec_lo, s16
	s_waitcnt vmcnt(0) lgkmcnt(0)
	v_add_nc_u32_e32 v4, v21, v4
	v_add_nc_u32_e32 v10, 8, v10
	s_mov_b32 s18, -1
                                        ; implicit-def: $vgpr205
                                        ; implicit-def: $vgpr204
                                        ; implicit-def: $vgpr189
                                        ; implicit-def: $vgpr186
                                        ; implicit-def: $vgpr185
                                        ; implicit-def: $vgpr184
                                        ; implicit-def: $vgpr174
                                        ; implicit-def: $vgpr175
                                        ; implicit-def: $vgpr188
                                        ; implicit-def: $vgpr187
                                        ; implicit-def: $vgpr190
                                        ; implicit-def: $vgpr191
                                        ; implicit-def: $vgpr200
                                        ; implicit-def: $vgpr201
                                        ; implicit-def: $vgpr202
                                        ; implicit-def: $vgpr203
	ds_bpermute_b32 v4, v140, v4
	s_waitcnt lgkmcnt(0)
	v_cndmask_b32_e64 v4, v4, v21, s7
	s_delay_alu instid0(VALU_DEP_1) | instskip(NEXT) | instid1(VALU_DEP_1)
	v_cndmask_b32_e64 v21, v4, 0, s10
	v_add_nc_u32_e32 v22, v21, v22
	s_delay_alu instid0(VALU_DEP_1) | instskip(NEXT) | instid1(VALU_DEP_1)
	v_add_nc_u32_e32 v23, v22, v23
	v_add_nc_u32_e32 v24, v23, v24
	s_delay_alu instid0(VALU_DEP_1) | instskip(NEXT) | instid1(VALU_DEP_1)
	v_dual_mov_b32 v25, v5 :: v_dual_add_nc_u32 v242, v24, v25
	v_add_nc_u32_e32 v243, v242, v18
	s_delay_alu instid0(VALU_DEP_1) | instskip(NEXT) | instid1(VALU_DEP_1)
	v_dual_mov_b32 v19, v5 :: v_dual_add_nc_u32 v244, v243, v19
	v_add_nc_u32_e32 v245, v244, v20
	s_clause 0x1
	flat_store_b128 v[66:67], v[21:24] offset:32
	flat_store_b128 v[70:71], v[242:245] offset:16
	s_waitcnt lgkmcnt(0)
	s_waitcnt_vscnt null, 0x0
	s_barrier
	buffer_gl0_inv
	s_clause 0xf
	flat_load_b32 v4, v[116:117]
	flat_load_b32 v18, v[118:119]
	;; [unrolled: 1-line block ×16, first 2 shown]
	v_mov_b32_e32 v149, v5
	v_mov_b32_e32 v145, v5
	;; [unrolled: 1-line block ×13, first 2 shown]
	v_cmp_lt_u32_e64 s16, v10, v11
	s_waitcnt vmcnt(0) lgkmcnt(0)
	s_waitcnt_vscnt null, 0x0
                                        ; implicit-def: $vgpr176_vgpr177
                                        ; implicit-def: $vgpr178_vgpr179
	s_waitcnt vmcnt(15) lgkmcnt(15)
	v_add_nc_u32_e32 v4, v4, v39
	s_waitcnt vmcnt(14) lgkmcnt(14)
	v_add3_u32 v160, v181, v180, v18
	s_waitcnt vmcnt(13) lgkmcnt(13)
	v_add3_u32 v150, v183, v182, v20
	;; [unrolled: 2-line block ×4, first 2 shown]
	v_lshlrev_b64 v[136:137], 2, v[4:5]
	v_lshlrev_b64 v[126:127], 2, v[160:161]
	;; [unrolled: 1-line block ×4, first 2 shown]
	s_waitcnt vmcnt(10) lgkmcnt(10)
	v_add3_u32 v144, v197, v196, v116
	s_waitcnt vmcnt(8) lgkmcnt(8)
	v_add3_u32 v132, v209, v208, v128
	;; [unrolled: 2-line block ×4, first 2 shown]
	v_add_co_u32 v226, s17, v12, v136
	s_delay_alu instid0(VALU_DEP_1) | instskip(SKIP_3) | instid1(VALU_DEP_1)
	v_add_co_ci_u32_e64 v227, s17, v13, v137, s17
	s_waitcnt vmcnt(1) lgkmcnt(1)
	v_add3_u32 v20, v231, v230, v165
	v_add_co_u32 v230, s17, v12, v126
	v_add_co_ci_u32_e64 v231, s17, v13, v127, s17
	v_lshlrev_b64 v[120:121], 2, v[146:147]
	v_add_co_u32 v242, s17, v12, v124
	v_add3_u32 v134, v199, v198, v118
	v_add3_u32 v118, v215, v214, v243
	v_add_co_ci_u32_e64 v243, s17, v13, v125, s17
	v_lshlrev_b64 v[110:111], 2, v[144:145]
	v_add_co_u32 v246, s17, v12, v122
	s_delay_alu instid0(VALU_DEP_1)
	v_add_co_ci_u32_e64 v247, s17, v13, v123, s17
	v_lshlrev_b64 v[108:109], 2, v[134:135]
	v_add_co_u32 v41, s17, v12, v120
	v_add3_u32 v130, v211, v210, v130
	v_add_co_ci_u32_e64 v42, s17, v13, v121, s17
	v_lshlrev_b64 v[106:107], 2, v[132:133]
	v_add_co_u32 v43, s17, v12, v110
	s_delay_alu instid0(VALU_DEP_1) | instskip(SKIP_2) | instid1(VALU_DEP_1)
	v_add_co_ci_u32_e64 v44, s17, v13, v111, s17
	v_lshlrev_b64 v[104:105], 2, v[130:131]
	v_add_co_u32 v45, s17, v12, v108
	v_add_co_ci_u32_e64 v46, s17, v13, v109, s17
	v_lshlrev_b64 v[94:95], 2, v[128:129]
	v_add_co_u32 v56, s17, v12, v106
	v_add3_u32 v116, v225, v224, v162
	v_add_co_ci_u32_e64 v57, s17, v13, v107, s17
	v_lshlrev_b64 v[92:93], 2, v[118:119]
	v_add_co_u32 v58, s17, v12, v104
	s_delay_alu instid0(VALU_DEP_1)
	v_add_co_ci_u32_e64 v59, s17, v13, v105, s17
	v_lshlrev_b64 v[90:91], 2, v[116:117]
	v_add_co_u32 v60, s17, v12, v94
	v_add3_u32 v22, v229, v228, v164
	v_add_co_ci_u32_e64 v61, s17, v13, v95, s17
	v_lshlrev_b64 v[88:89], 2, v[24:25]
	v_add_co_u32 v62, s17, v12, v92
	s_delay_alu instid0(VALU_DEP_1)
	v_add_co_ci_u32_e64 v63, s17, v13, v93, s17
	v_lshlrev_b64 v[78:79], 2, v[22:23]
	v_add_co_u32 v72, s17, v12, v90
	s_waitcnt vmcnt(0) lgkmcnt(0)
	v_add3_u32 v18, v241, v240, v166
	v_add_co_ci_u32_e64 v73, s17, v13, v91, s17
	v_lshlrev_b64 v[76:77], 2, v[20:21]
	v_add_co_u32 v228, s17, v12, v88
	s_delay_alu instid0(VALU_DEP_1) | instskip(SKIP_2) | instid1(VALU_DEP_1)
	v_add_co_ci_u32_e64 v229, s17, v13, v89, s17
	v_lshlrev_b64 v[74:75], 2, v[18:19]
	v_add_co_u32 v240, s17, v12, v78
	v_add_co_ci_u32_e64 v241, s17, v13, v79, s17
	v_add_co_u32 v244, s17, v12, v76
	s_delay_alu instid0(VALU_DEP_1) | instskip(SKIP_1) | instid1(VALU_DEP_1)
	v_add_co_ci_u32_e64 v245, s17, v13, v77, s17
	v_add_co_u32 v39, s17, v12, v74
	v_add_co_ci_u32_e64 v40, s17, v13, v75, s17
                                        ; implicit-def: $vgpr162_vgpr163
                                        ; implicit-def: $vgpr164_vgpr165
                                        ; implicit-def: $vgpr166_vgpr167
                                        ; implicit-def: $vgpr180_vgpr181
                                        ; implicit-def: $vgpr182_vgpr183
                                        ; implicit-def: $vgpr192_vgpr193
                                        ; implicit-def: $vgpr194_vgpr195
                                        ; implicit-def: $vgpr196_vgpr197
                                        ; implicit-def: $vgpr198_vgpr199
                                        ; implicit-def: $vgpr208_vgpr209
                                        ; implicit-def: $vgpr210_vgpr211
                                        ; implicit-def: $vgpr212_vgpr213
                                        ; implicit-def: $vgpr214_vgpr215
                                        ; implicit-def: $vgpr224_vgpr225
	s_and_saveexec_b32 s17, s16
	s_cbranch_execz .LBB504_52
; %bb.92:                               ;   in Loop: Header=BB504_53 Depth=1
	v_add_co_u32 v162, s16, v226, v136
	s_delay_alu instid0(VALU_DEP_1)
	v_add_co_ci_u32_e64 v163, s16, v227, v137, s16
	s_barrier
	buffer_gl0_inv
	s_clause 0xf
	flat_store_b32 v[226:227], v142
	flat_store_b32 v[230:231], v143
	;; [unrolled: 1-line block ×16, first 2 shown]
	s_waitcnt lgkmcnt(0)
	s_waitcnt_vscnt null, 0x0
	s_barrier
	buffer_gl0_inv
	s_clause 0xf
	flat_load_b32 v205, v[102:103]
	flat_load_b32 v204, v[102:103] offset:128
	flat_load_b32 v189, v[102:103] offset:256
	;; [unrolled: 1-line block ×15, first 2 shown]
	s_waitcnt vmcnt(0) lgkmcnt(0)
	s_barrier
	buffer_gl0_inv
	flat_store_b64 v[162:163], v[96:97]
	v_add_co_u32 v162, s16, v230, v126
	s_delay_alu instid0(VALU_DEP_1) | instskip(SKIP_1) | instid1(VALU_DEP_1)
	v_add_co_ci_u32_e64 v163, s16, v231, v127, s16
	v_add_co_u32 v164, s16, v242, v124
	v_add_co_ci_u32_e64 v165, s16, v243, v125, s16
	v_add_co_u32 v166, s16, v246, v122
	s_delay_alu instid0(VALU_DEP_1) | instskip(SKIP_1) | instid1(VALU_DEP_1)
	v_add_co_ci_u32_e64 v167, s16, v247, v123, s16
	v_add_co_u32 v176, s16, v41, v120
	v_add_co_ci_u32_e64 v177, s16, v42, v121, s16
	v_add_co_u32 v178, s16, v43, v110
	s_delay_alu instid0(VALU_DEP_1)
	v_add_co_ci_u32_e64 v179, s16, v44, v111, s16
	s_clause 0x4
	flat_store_b64 v[162:163], v[86:87]
	flat_store_b64 v[164:165], v[98:99]
	flat_store_b64 v[166:167], v[84:85]
	flat_store_b64 v[176:177], v[68:69]
	flat_store_b64 v[178:179], v[82:83]
	v_add_co_u32 v162, s16, v45, v108
	s_delay_alu instid0(VALU_DEP_1) | instskip(SKIP_1) | instid1(VALU_DEP_1)
	v_add_co_ci_u32_e64 v163, s16, v46, v109, s16
	v_add_co_u32 v164, s16, v56, v106
	v_add_co_ci_u32_e64 v165, s16, v57, v107, s16
	v_add_co_u32 v166, s16, v58, v104
	s_delay_alu instid0(VALU_DEP_1) | instskip(SKIP_1) | instid1(VALU_DEP_1)
	v_add_co_ci_u32_e64 v167, s16, v59, v105, s16
	v_add_co_u32 v176, s16, v60, v94
	v_add_co_ci_u32_e64 v177, s16, v61, v95, s16
	v_add_co_u32 v178, s16, v62, v92
	s_delay_alu instid0(VALU_DEP_1)
	v_add_co_ci_u32_e64 v179, s16, v63, v93, s16
	s_clause 0x4
	flat_store_b64 v[162:163], v[80:81]
	flat_store_b64 v[164:165], v[64:65]
	flat_store_b64 v[166:167], v[50:51]
	flat_store_b64 v[176:177], v[54:55]
	;; [unrolled: 19-line block ×3, first 2 shown]
	flat_store_b64 v[178:179], v[37:38]
	s_waitcnt lgkmcnt(0)
	s_waitcnt_vscnt null, 0x0
	s_barrier
	buffer_gl0_inv
	s_clause 0xf
	flat_load_b64 v[162:163], v[114:115]
	flat_load_b64 v[164:165], v[114:115] offset:256
	flat_load_b64 v[166:167], v[114:115] offset:512
	;; [unrolled: 1-line block ×15, first 2 shown]
	v_add_nc_u32_e32 v141, -8, v141
	s_xor_b32 s18, exec_lo, -1
	s_waitcnt vmcnt(0) lgkmcnt(0)
	s_barrier
	buffer_gl0_inv
	s_branch .LBB504_52
.LBB504_93:
	s_or_b32 exec_lo, exec_lo, s20
	v_or_b32_e32 v28, 0x400, v26
	v_or_b32_e32 v167, 0x800, v26
	;; [unrolled: 1-line block ×3, first 2 shown]
	s_barrier
	buffer_gl0_inv
	v_lshlrev_b32_e32 v10, 2, v28
	v_lshlrev_b32_e32 v16, 2, v167
	s_clause 0xf
	flat_store_b32 v[226:227], v142
	flat_store_b32 v[230:231], v143
	;; [unrolled: 1-line block ×16, first 2 shown]
	s_waitcnt lgkmcnt(0)
	s_waitcnt_vscnt null, 0x0
	v_add_co_u32 v10, vcc_lo, v12, v10
	v_add_co_ci_u32_e32 v11, vcc_lo, 0, v13, vcc_lo
	v_add_co_u32 v14, vcc_lo, 0x1000, v48
	v_add_co_ci_u32_e32 v15, vcc_lo, 0, v49, vcc_lo
	s_barrier
	buffer_gl0_inv
	s_clause 0x7
	flat_load_b32 v164, v[48:49]
	flat_load_b32 v163, v[48:49] offset:1024
	flat_load_b32 v162, v[48:49] offset:2048
	;; [unrolled: 1-line block ×3, first 2 shown]
	flat_load_b32 v114, v[10:11]
	flat_load_b32 v113, v[14:15] offset:1024
	flat_load_b32 v103, v[14:15] offset:2048
	;; [unrolled: 1-line block ×3, first 2 shown]
	v_add_co_u32 v10, vcc_lo, v12, v16
	v_lshlrev_b32_e32 v16, 2, v176
	v_add_co_ci_u32_e32 v11, vcc_lo, 0, v13, vcc_lo
	v_add_co_u32 v14, vcc_lo, 0x2000, v48
	v_add_co_ci_u32_e32 v15, vcc_lo, 0, v49, vcc_lo
	s_delay_alu instid0(VALU_DEP_4)
	v_add_co_u32 v16, vcc_lo, v12, v16
	v_add_co_ci_u32_e32 v17, vcc_lo, 0, v13, vcc_lo
	v_add_co_u32 v165, vcc_lo, 0x3000, v48
	v_lshlrev_b64 v[4:5], 3, v[4:5]
	v_add_co_ci_u32_e32 v166, vcc_lo, 0, v49, vcc_lo
	v_add_co_u32 v177, vcc_lo, 0x3c00, v48
	s_clause 0x7
	flat_load_b32 v112, v[10:11]
	flat_load_b32 v102, v[14:15] offset:1024
	flat_load_b32 v100, v[14:15] offset:2048
	;; [unrolled: 1-line block ×3, first 2 shown]
	flat_load_b32 v70, v[16:17]
	flat_load_b32 v67, v[165:166] offset:1024
	flat_load_b32 v66, v[165:166] offset:2048
	;; [unrolled: 1-line block ×3, first 2 shown]
	v_lshlrev_b64 v[10:11], 3, v[160:161]
	v_add_co_ci_u32_e32 v178, vcc_lo, 0, v49, vcc_lo
	v_add_co_u32 v4, vcc_lo, v12, v4
	v_lshlrev_b64 v[14:15], 3, v[150:151]
	v_add_co_ci_u32_e32 v5, vcc_lo, v13, v5, vcc_lo
	v_add_co_u32 v10, vcc_lo, v12, v10
	v_add_co_ci_u32_e32 v11, vcc_lo, v13, v11, vcc_lo
	s_delay_alu instid0(VALU_DEP_4)
	v_add_co_u32 v14, vcc_lo, v12, v14
	v_add_co_ci_u32_e32 v15, vcc_lo, v13, v15, vcc_lo
	v_lshlrev_b64 v[16:17], 3, v[148:149]
	s_waitcnt vmcnt(0) lgkmcnt(0)
	s_barrier
	buffer_gl0_inv
	s_clause 0x2
	flat_store_b64 v[4:5], v[96:97]
	flat_store_b64 v[10:11], v[86:87]
	;; [unrolled: 1-line block ×3, first 2 shown]
	v_lshlrev_b64 v[4:5], 3, v[146:147]
	v_add_co_u32 v10, vcc_lo, v12, v16
	v_lshlrev_b64 v[14:15], 3, v[144:145]
	v_add_co_ci_u32_e32 v11, vcc_lo, v13, v17, vcc_lo
	s_delay_alu instid0(VALU_DEP_4) | instskip(SKIP_4) | instid1(VALU_DEP_4)
	v_add_co_u32 v4, vcc_lo, v12, v4
	v_lshlrev_b64 v[16:17], 3, v[134:135]
	v_add_co_ci_u32_e32 v5, vcc_lo, v13, v5, vcc_lo
	v_add_co_u32 v14, vcc_lo, v12, v14
	v_add_co_ci_u32_e32 v15, vcc_lo, v13, v15, vcc_lo
	v_add_co_u32 v16, vcc_lo, v12, v16
	v_add_co_ci_u32_e32 v17, vcc_lo, v13, v17, vcc_lo
	flat_store_b64 v[10:11], v[84:85]
	v_lshlrev_b64 v[10:11], 3, v[132:133]
	s_clause 0x2
	flat_store_b64 v[4:5], v[68:69]
	flat_store_b64 v[14:15], v[82:83]
	;; [unrolled: 1-line block ×3, first 2 shown]
	v_lshlrev_b64 v[4:5], 3, v[130:131]
	v_lshlrev_b64 v[14:15], 3, v[128:129]
	;; [unrolled: 1-line block ×4, first 2 shown]
	v_add_co_u32 v10, vcc_lo, v12, v10
	v_add_co_ci_u32_e32 v11, vcc_lo, v13, v11, vcc_lo
	v_add_co_u32 v4, vcc_lo, v12, v4
	v_add_co_ci_u32_e32 v5, vcc_lo, v13, v5, vcc_lo
	v_add_co_u32 v14, vcc_lo, v12, v14
	v_add_co_ci_u32_e32 v15, vcc_lo, v13, v15, vcc_lo
	v_add_co_u32 v16, vcc_lo, v12, v16
	v_add_co_ci_u32_e32 v17, vcc_lo, v13, v17, vcc_lo
	flat_store_b64 v[10:11], v[64:65]
	v_lshlrev_b64 v[10:11], 3, v[116:117]
	s_clause 0x2
	flat_store_b64 v[4:5], v[50:51]
	flat_store_b64 v[14:15], v[54:55]
	;; [unrolled: 1-line block ×3, first 2 shown]
	v_lshlrev_b64 v[4:5], 3, v[24:25]
	v_lshlrev_b64 v[14:15], 3, v[22:23]
	v_lshlrev_b64 v[16:17], 3, v[20:21]
	v_add_co_u32 v10, vcc_lo, v12, v10
	v_add_co_ci_u32_e32 v11, vcc_lo, v13, v11, vcc_lo
	v_add_co_u32 v4, vcc_lo, v12, v4
	v_add_co_ci_u32_e32 v5, vcc_lo, v13, v5, vcc_lo
	v_add_co_u32 v14, vcc_lo, v12, v14
	v_add_co_ci_u32_e32 v15, vcc_lo, v13, v15, vcc_lo
	v_add_co_u32 v16, vcc_lo, v12, v16
	v_add_co_ci_u32_e32 v17, vcc_lo, v13, v17, vcc_lo
	v_add_co_u32 v18, vcc_lo, v12, v18
	v_add_co_ci_u32_e32 v19, vcc_lo, v13, v19, vcc_lo
	s_clause 0x4
	flat_store_b64 v[10:11], v[31:32]
	flat_store_b64 v[4:5], v[8:9]
	;; [unrolled: 1-line block ×5, first 2 shown]
	v_lshlrev_b32_e32 v4, 3, v26
	v_lshlrev_b32_e32 v10, 3, v28
	s_waitcnt lgkmcnt(0)
	s_waitcnt_vscnt null, 0x0
	s_barrier
	buffer_gl0_inv
	v_add_co_u32 v4, vcc_lo, v12, v4
	v_add_co_ci_u32_e32 v5, vcc_lo, 0, v13, vcc_lo
	v_lshlrev_b32_e32 v18, 3, v176
	s_delay_alu instid0(VALU_DEP_3) | instskip(NEXT) | instid1(VALU_DEP_3)
	v_add_co_u32 v8, vcc_lo, 0x1000, v4
	v_add_co_ci_u32_e32 v9, vcc_lo, 0, v5, vcc_lo
	v_add_co_u32 v10, vcc_lo, v12, v10
	v_add_co_ci_u32_e32 v11, vcc_lo, 0, v13, vcc_lo
	v_add_co_u32 v14, vcc_lo, 0x2000, v4
	s_clause 0x3
	flat_load_b64 v[50:51], v[4:5]
	flat_load_b64 v[48:49], v[4:5] offset:2048
	flat_load_b64 v[37:38], v[8:9]
	flat_load_b64 v[35:36], v[8:9] offset:2048
	v_lshlrev_b32_e32 v8, 3, v167
	v_add_co_ci_u32_e32 v15, vcc_lo, 0, v5, vcc_lo
	v_add_co_u32 v16, vcc_lo, 0x3000, v4
	v_add_co_ci_u32_e32 v17, vcc_lo, 0, v5, vcc_lo
	s_delay_alu instid0(VALU_DEP_4)
	v_add_co_u32 v8, vcc_lo, v12, v8
	v_add_co_ci_u32_e32 v9, vcc_lo, 0, v13, vcc_lo
	s_clause 0x3
	flat_load_b64 v[33:34], v[10:11]
	flat_load_b64 v[24:25], v[14:15] offset:2048
	flat_load_b64 v[20:21], v[16:17]
	flat_load_b64 v[16:17], v[16:17] offset:2048
	v_add_co_u32 v10, vcc_lo, 0x4000, v4
	v_add_co_ci_u32_e32 v11, vcc_lo, 0, v5, vcc_lo
	v_add_co_u32 v14, vcc_lo, 0x5000, v4
	v_add_co_ci_u32_e32 v15, vcc_lo, 0, v5, vcc_lo
	;; [unrolled: 2-line block ×3, first 2 shown]
	v_add_co_u32 v52, vcc_lo, 0x6000, v4
	v_lshl_add_u32 v18, v26, 2, 0x3c00
	v_add_co_ci_u32_e32 v53, vcc_lo, 0, v5, vcc_lo
	v_add_co_u32 v4, vcc_lo, 0x7000, v4
	v_add_co_ci_u32_e32 v5, vcc_lo, 0, v5, vcc_lo
	s_delay_alu instid0(VALU_DEP_4)
	v_add_co_u32 v54, vcc_lo, v177, v18
	v_add_co_ci_u32_e32 v55, vcc_lo, 0, v178, vcc_lo
	s_clause 0x7
	flat_load_b64 v[31:32], v[8:9]
	flat_load_b64 v[22:23], v[10:11] offset:2048
	flat_load_b64 v[18:19], v[14:15]
	flat_load_b64 v[14:15], v[14:15] offset:2048
	flat_load_b64 v[12:13], v[12:13]
	flat_load_b64 v[10:11], v[52:53] offset:2048
	flat_load_b64 v[8:9], v[4:5]
	flat_load_b64 v[4:5], v[54:55]
	v_mov_b32_e32 v28, 0
	v_add_co_u32 v2, vcc_lo, v2, v29
	v_add_co_ci_u32_e32 v3, vcc_lo, v3, v30, vcc_lo
	s_delay_alu instid0(VALU_DEP_3)
	v_lshlrev_b64 v[52:53], 2, v[27:28]
	s_waitcnt vmcnt(0) lgkmcnt(0)
	s_barrier
	buffer_gl0_inv
	v_add_co_u32 v2, vcc_lo, v2, v52
	v_add_co_ci_u32_e32 v3, vcc_lo, v3, v53, vcc_lo
	v_cmp_lt_u32_e32 vcc_lo, v27, v47
	s_and_saveexec_b32 s0, vcc_lo
	s_cbranch_execz .LBB504_95
; %bb.94:
	v_xor_b32_e32 v26, 0x7fffffff, v164
	flat_store_b32 v[2:3], v26
.LBB504_95:
	s_or_b32 exec_lo, exec_lo, s0
	v_add_nc_u32_e32 v26, 0x100, v27
	s_delay_alu instid0(VALU_DEP_1) | instskip(NEXT) | instid1(VALU_DEP_1)
	v_cmp_lt_u32_e64 s0, v26, v47
	s_and_saveexec_b32 s1, s0
	s_cbranch_execz .LBB504_97
; %bb.96:
	v_xor_b32_e32 v26, 0x7fffffff, v163
	flat_store_b32 v[2:3], v26 offset:1024
.LBB504_97:
	s_or_b32 exec_lo, exec_lo, s1
	v_add_nc_u32_e32 v26, 0x200, v27
	s_delay_alu instid0(VALU_DEP_1) | instskip(NEXT) | instid1(VALU_DEP_1)
	v_cmp_lt_u32_e64 s3, v26, v47
	s_and_saveexec_b32 s1, s3
	s_cbranch_execz .LBB504_99
; %bb.98:
	v_xor_b32_e32 v26, 0x7fffffff, v162
	flat_store_b32 v[2:3], v26 offset:2048
.LBB504_99:
	;; [unrolled: 10-line block ×3, first 2 shown]
	s_or_b32 exec_lo, exec_lo, s1
	v_add_nc_u32_e32 v26, 0x400, v27
	s_delay_alu instid0(VALU_DEP_1) | instskip(NEXT) | instid1(VALU_DEP_1)
	v_cmp_lt_u32_e64 s1, v26, v47
	s_and_saveexec_b32 s5, s1
	s_cbranch_execz .LBB504_103
; %bb.102:
	v_add_co_u32 v29, s4, 0x1000, v2
	v_xor_b32_e32 v26, 0x7fffffff, v114
	v_add_co_ci_u32_e64 v30, s4, 0, v3, s4
	flat_store_b32 v[29:30], v26
.LBB504_103:
	s_or_b32 exec_lo, exec_lo, s5
	v_add_nc_u32_e32 v26, 0x500, v27
	s_delay_alu instid0(VALU_DEP_1) | instskip(NEXT) | instid1(VALU_DEP_1)
	v_cmp_lt_u32_e64 s4, v26, v47
	s_and_saveexec_b32 s6, s4
	s_cbranch_execz .LBB504_105
; %bb.104:
	v_add_co_u32 v29, s5, 0x1000, v2
	v_xor_b32_e32 v26, 0x7fffffff, v113
	v_add_co_ci_u32_e64 v30, s5, 0, v3, s5
	flat_store_b32 v[29:30], v26 offset:1024
.LBB504_105:
	s_or_b32 exec_lo, exec_lo, s6
	v_add_nc_u32_e32 v26, 0x600, v27
	s_delay_alu instid0(VALU_DEP_1) | instskip(NEXT) | instid1(VALU_DEP_1)
	v_cmp_lt_u32_e64 s5, v26, v47
	s_and_saveexec_b32 s7, s5
	s_cbranch_execz .LBB504_107
; %bb.106:
	v_add_co_u32 v29, s6, 0x1000, v2
	v_xor_b32_e32 v26, 0x7fffffff, v103
	v_add_co_ci_u32_e64 v30, s6, 0, v3, s6
	flat_store_b32 v[29:30], v26 offset:2048
.LBB504_107:
	s_or_b32 exec_lo, exec_lo, s7
	v_add_nc_u32_e32 v26, 0x700, v27
	s_delay_alu instid0(VALU_DEP_1) | instskip(NEXT) | instid1(VALU_DEP_1)
	v_cmp_lt_u32_e64 s6, v26, v47
	s_and_saveexec_b32 s10, s6
	s_cbranch_execz .LBB504_109
; %bb.108:
	v_add_co_u32 v29, s7, 0x1000, v2
	v_xor_b32_e32 v26, 0x7fffffff, v101
	v_add_co_ci_u32_e64 v30, s7, 0, v3, s7
	flat_store_b32 v[29:30], v26 offset:3072
.LBB504_109:
	s_or_b32 exec_lo, exec_lo, s10
	v_add_nc_u32_e32 v26, 0x800, v27
	s_delay_alu instid0(VALU_DEP_1) | instskip(NEXT) | instid1(VALU_DEP_1)
	v_cmp_lt_u32_e64 s7, v26, v47
	s_and_saveexec_b32 s11, s7
	s_cbranch_execz .LBB504_111
; %bb.110:
	v_add_co_u32 v29, s10, 0x2000, v2
	v_xor_b32_e32 v26, 0x7fffffff, v112
	v_add_co_ci_u32_e64 v30, s10, 0, v3, s10
	flat_store_b32 v[29:30], v26
.LBB504_111:
	s_or_b32 exec_lo, exec_lo, s11
	v_add_nc_u32_e32 v26, 0x900, v27
	s_delay_alu instid0(VALU_DEP_1) | instskip(NEXT) | instid1(VALU_DEP_1)
	v_cmp_lt_u32_e64 s10, v26, v47
	s_and_saveexec_b32 s14, s10
	s_cbranch_execz .LBB504_113
; %bb.112:
	v_add_co_u32 v29, s11, 0x2000, v2
	v_xor_b32_e32 v26, 0x7fffffff, v102
	v_add_co_ci_u32_e64 v30, s11, 0, v3, s11
	flat_store_b32 v[29:30], v26 offset:1024
.LBB504_113:
	s_or_b32 exec_lo, exec_lo, s14
	v_add_nc_u32_e32 v26, 0xa00, v27
	s_delay_alu instid0(VALU_DEP_1) | instskip(NEXT) | instid1(VALU_DEP_1)
	v_cmp_lt_u32_e64 s11, v26, v47
	s_and_saveexec_b32 s15, s11
	s_cbranch_execz .LBB504_115
; %bb.114:
	v_add_co_u32 v29, s14, 0x2000, v2
	v_xor_b32_e32 v26, 0x7fffffff, v100
	v_add_co_ci_u32_e64 v30, s14, 0, v3, s14
	flat_store_b32 v[29:30], v26 offset:2048
.LBB504_115:
	s_or_b32 exec_lo, exec_lo, s15
	v_add_nc_u32_e32 v26, 0xb00, v27
	s_delay_alu instid0(VALU_DEP_1) | instskip(NEXT) | instid1(VALU_DEP_1)
	v_cmp_lt_u32_e64 s14, v26, v47
	s_and_saveexec_b32 s16, s14
	s_cbranch_execz .LBB504_117
; %bb.116:
	v_add_co_u32 v29, s15, 0x2000, v2
	v_xor_b32_e32 v26, 0x7fffffff, v71
	v_add_co_ci_u32_e64 v30, s15, 0, v3, s15
	flat_store_b32 v[29:30], v26 offset:3072
.LBB504_117:
	;; [unrolled: 48-line block ×3, first 2 shown]
	s_or_b32 exec_lo, exec_lo, s20
	v_lshlrev_b64 v[2:3], 3, v[27:28]
	v_add_co_u32 v0, s19, v6, v0
	s_delay_alu instid0(VALU_DEP_1) | instskip(NEXT) | instid1(VALU_DEP_2)
	v_add_co_ci_u32_e64 v1, s19, v7, v1, s19
	v_add_co_u32 v0, s19, v0, v2
	s_delay_alu instid0(VALU_DEP_1)
	v_add_co_ci_u32_e64 v1, s19, v1, v3, s19
	s_and_saveexec_b32 s19, vcc_lo
	s_cbranch_execnz .LBB504_211
; %bb.126:
	s_or_b32 exec_lo, exec_lo, s19
	s_and_saveexec_b32 s19, s0
	s_cbranch_execnz .LBB504_212
.LBB504_127:
	s_or_b32 exec_lo, exec_lo, s19
	s_and_saveexec_b32 s0, s3
	s_cbranch_execnz .LBB504_213
.LBB504_128:
	s_or_b32 exec_lo, exec_lo, s0
	s_and_saveexec_b32 s0, s2
	s_cbranch_execnz .LBB504_214
.LBB504_129:
	s_or_b32 exec_lo, exec_lo, s0
	s_and_saveexec_b32 s0, s1
	s_cbranch_execnz .LBB504_215
.LBB504_130:
	s_or_b32 exec_lo, exec_lo, s0
	s_and_saveexec_b32 s0, s4
	s_cbranch_execnz .LBB504_216
.LBB504_131:
	s_or_b32 exec_lo, exec_lo, s0
	s_and_saveexec_b32 s0, s5
	s_cbranch_execnz .LBB504_217
.LBB504_132:
	s_or_b32 exec_lo, exec_lo, s0
	s_and_saveexec_b32 s0, s6
	s_cbranch_execnz .LBB504_218
.LBB504_133:
	s_or_b32 exec_lo, exec_lo, s0
	s_and_saveexec_b32 s0, s7
	s_cbranch_execnz .LBB504_219
.LBB504_134:
	s_or_b32 exec_lo, exec_lo, s0
	s_and_saveexec_b32 s0, s10
	s_cbranch_execnz .LBB504_220
.LBB504_135:
	s_or_b32 exec_lo, exec_lo, s0
	s_and_saveexec_b32 s0, s11
	s_cbranch_execnz .LBB504_221
.LBB504_136:
	s_or_b32 exec_lo, exec_lo, s0
	s_and_saveexec_b32 s0, s14
	s_cbranch_execnz .LBB504_222
.LBB504_137:
	s_or_b32 exec_lo, exec_lo, s0
	s_and_saveexec_b32 s0, s15
	s_cbranch_execnz .LBB504_223
.LBB504_138:
	s_or_b32 exec_lo, exec_lo, s0
	s_and_saveexec_b32 s0, s16
	s_cbranch_execnz .LBB504_224
.LBB504_139:
	s_or_b32 exec_lo, exec_lo, s0
	s_and_saveexec_b32 s0, s17
	s_cbranch_execnz .LBB504_225
.LBB504_140:
	s_or_b32 exec_lo, exec_lo, s0
	s_and_saveexec_b32 s0, s18
	s_cbranch_execz .LBB504_142
.LBB504_141:
	v_add_co_u32 v0, vcc_lo, 0x7000, v0
	v_add_co_ci_u32_e32 v1, vcc_lo, 0, v1, vcc_lo
	flat_store_b64 v[0:1], v[4:5] offset:2048
.LBB504_142:
	s_or_b32 exec_lo, exec_lo, s0
                                        ; implicit-def: $vgpr47
                                        ; implicit-def: $vgpr0
                                        ; implicit-def: $vgpr1
                                        ; implicit-def: $vgpr2
                                        ; implicit-def: $vgpr3
                                        ; implicit-def: $vgpr4
                                        ; implicit-def: $vgpr5
                                        ; implicit-def: $vgpr6
                                        ; implicit-def: $vgpr7
                                        ; implicit-def: $vgpr8
                                        ; implicit-def: $vgpr10
                                        ; implicit-def: $vgpr11
                                        ; implicit-def: $vgpr12
                                        ; implicit-def: $vgpr13
                                        ; implicit-def: $vgpr14
                                        ; implicit-def: $vgpr15
                                        ; implicit-def: $vgpr26
                                        ; implicit-def: $vgpr37
.LBB504_143:
	s_and_not1_saveexec_b32 s0, s25
	s_cbranch_execz .LBB504_372
; %bb.144:
	s_mov_b32 s0, exec_lo
	v_cmpx_lt_u32_e32 0x400, v47
	s_xor_b32 s19, exec_lo, s0
	s_cbranch_execz .LBB504_252
; %bb.145:
	s_load_b64 s[0:1], s[8:9], 0x0
	v_mov_b32_e32 v9, 0
	s_brev_b32 s36, 1
	s_delay_alu instid0(SALU_CYCLE_1)
	s_mov_b32 s37, s36
	s_mov_b32 s38, s36
	;; [unrolled: 1-line block ×7, first 2 shown]
	s_waitcnt lgkmcnt(0)
	s_cmp_lt_u32 s13, s1
	s_cselect_b32 s1, 14, 20
	s_delay_alu instid0(SALU_CYCLE_1) | instskip(SKIP_4) | instid1(SALU_CYCLE_1)
	s_add_u32 s2, s8, s1
	s_addc_u32 s3, s9, 0
	s_cmp_lt_u32 s12, s0
	global_load_u16 v16, v9, s[2:3]
	s_cselect_b32 s0, 12, 18
	s_add_u32 s0, s8, s0
	s_addc_u32 s1, s9, 0
	global_load_u16 v17, v9, s[0:1]
	s_waitcnt vmcnt(1)
	v_mad_u32_u24 v14, v15, v16, v14
	s_waitcnt vmcnt(0)
	s_delay_alu instid0(VALU_DEP_1) | instskip(SKIP_2) | instid1(VALU_DEP_3)
	v_mad_u64_u32 v[27:28], null, v14, v17, v[26:27]
	v_lshlrev_b32_e32 v14, 2, v37
	v_lshlrev_b64 v[29:30], 2, v[8:9]
	v_lshlrev_b32_e32 v15, 3, v27
	s_delay_alu instid0(VALU_DEP_1) | instskip(NEXT) | instid1(VALU_DEP_3)
	v_dual_mov_b32 v23, v9 :: v_dual_and_b32 v22, 0xffffff00, v15
	v_add_co_u32 v15, vcc_lo, v0, v29
	s_delay_alu instid0(VALU_DEP_4) | instskip(NEXT) | instid1(VALU_DEP_3)
	v_add_co_ci_u32_e32 v16, vcc_lo, v1, v30, vcc_lo
	v_lshlrev_b64 v[0:1], 2, v[22:23]
	s_delay_alu instid0(VALU_DEP_3) | instskip(NEXT) | instid1(VALU_DEP_3)
	v_add_co_u32 v14, vcc_lo, v15, v14
	v_add_co_ci_u32_e32 v15, vcc_lo, 0, v16, vcc_lo
	v_or_b32_e32 v24, v22, v37
	s_delay_alu instid0(VALU_DEP_3) | instskip(NEXT) | instid1(VALU_DEP_1)
	v_add_co_u32 v0, s0, v14, v0
	v_add_co_ci_u32_e64 v1, s0, v15, v1, s0
	v_dual_mov_b32 v14, s36 :: v_dual_mov_b32 v15, s37
	s_delay_alu instid0(VALU_DEP_4)
	v_cmp_lt_u32_e32 vcc_lo, v24, v47
	v_dual_mov_b32 v16, s38 :: v_dual_mov_b32 v17, s39
	v_dual_mov_b32 v18, s40 :: v_dual_mov_b32 v19, s41
	v_dual_mov_b32 v20, s42 :: v_dual_mov_b32 v21, s43
	s_and_saveexec_b32 s0, vcc_lo
	s_cbranch_execz .LBB504_147
; %bb.146:
	flat_load_b32 v14, v[0:1]
	v_bfrev_b32_e32 v15, 1
	s_delay_alu instid0(VALU_DEP_1)
	v_mov_b32_e32 v16, v15
	v_mov_b32_e32 v17, v15
	;; [unrolled: 1-line block ×6, first 2 shown]
.LBB504_147:
	s_or_b32 exec_lo, exec_lo, s0
	v_or_b32_e32 v25, 32, v24
	s_delay_alu instid0(VALU_DEP_1) | instskip(NEXT) | instid1(VALU_DEP_1)
	v_cmp_lt_u32_e64 s0, v25, v47
	s_and_saveexec_b32 s1, s0
	s_cbranch_execz .LBB504_149
; %bb.148:
	flat_load_b32 v15, v[0:1] offset:128
.LBB504_149:
	s_or_b32 exec_lo, exec_lo, s1
	v_or_b32_e32 v25, 64, v24
	s_delay_alu instid0(VALU_DEP_1) | instskip(NEXT) | instid1(VALU_DEP_1)
	v_cmp_lt_u32_e64 s1, v25, v47
	s_and_saveexec_b32 s2, s1
	s_cbranch_execz .LBB504_151
; %bb.150:
	flat_load_b32 v16, v[0:1] offset:256
.LBB504_151:
	;; [unrolled: 9-line block ×7, first 2 shown]
	s_or_b32 exec_lo, exec_lo, s7
	v_lshlrev_b64 v[0:1], 3, v[8:9]
	v_lshlrev_b32_e32 v8, 3, v37
	s_delay_alu instid0(VALU_DEP_2) | instskip(NEXT) | instid1(VALU_DEP_1)
	v_add_co_u32 v9, s7, v4, v0
	v_add_co_ci_u32_e64 v24, s7, v5, v1, s7
	v_lshlrev_b64 v[4:5], 3, v[22:23]
	s_delay_alu instid0(VALU_DEP_3) | instskip(NEXT) | instid1(VALU_DEP_1)
	v_add_co_u32 v8, s7, v9, v8
	v_add_co_ci_u32_e64 v9, s7, 0, v24, s7
                                        ; implicit-def: $vgpr22_vgpr23
	s_delay_alu instid0(VALU_DEP_2) | instskip(NEXT) | instid1(VALU_DEP_1)
	v_add_co_u32 v4, s7, v8, v4
	v_add_co_ci_u32_e64 v5, s7, v9, v5, s7
	s_and_saveexec_b32 s7, vcc_lo
	s_cbranch_execnz .LBB504_285
; %bb.162:
	s_or_b32 exec_lo, exec_lo, s7
                                        ; implicit-def: $vgpr24_vgpr25
	s_and_saveexec_b32 s7, s0
	s_cbranch_execnz .LBB504_286
.LBB504_163:
	s_or_b32 exec_lo, exec_lo, s7
                                        ; implicit-def: $vgpr84_vgpr85
	s_and_saveexec_b32 s0, s1
	s_cbranch_execnz .LBB504_287
.LBB504_164:
	s_or_b32 exec_lo, exec_lo, s0
                                        ; implicit-def: $vgpr86_vgpr87
	s_and_saveexec_b32 s0, s2
	s_cbranch_execnz .LBB504_288
.LBB504_165:
	s_or_b32 exec_lo, exec_lo, s0
                                        ; implicit-def: $vgpr96_vgpr97
	s_and_saveexec_b32 s0, s3
	s_cbranch_execnz .LBB504_289
.LBB504_166:
	s_or_b32 exec_lo, exec_lo, s0
                                        ; implicit-def: $vgpr98_vgpr99
	s_and_saveexec_b32 s0, s4
	s_cbranch_execnz .LBB504_290
.LBB504_167:
	s_or_b32 exec_lo, exec_lo, s0
                                        ; implicit-def: $vgpr100_vgpr101
	s_and_saveexec_b32 s0, s5
	s_cbranch_execnz .LBB504_291
.LBB504_168:
	s_or_b32 exec_lo, exec_lo, s0
                                        ; implicit-def: $vgpr102_vgpr103
	s_and_saveexec_b32 s0, s6
	s_cbranch_execz .LBB504_170
.LBB504_169:
	flat_load_b64 v[102:103], v[4:5] offset:1792
.LBB504_170:
	s_or_b32 exec_lo, exec_lo, s0
	v_dual_mov_b32 v5, 0 :: v_dual_lshlrev_b32 v4, 5, v26
	s_mov_b32 s20, 0
	v_add_co_u32 v39, vcc_lo, v12, 32
	s_waitcnt vmcnt(0) lgkmcnt(0)
	v_xor_b32_e32 v193, 0x7fffffff, v16
	s_mov_b32 s21, s20
	s_mov_b32 s22, s20
	;; [unrolled: 1-line block ×3, first 2 shown]
	v_and_b32_e32 v16, 0x3e0, v26
	v_add_co_ci_u32_e32 v164, vcc_lo, 0, v13, vcc_lo
	v_add_co_u32 v8, vcc_lo, v12, v4
	v_add_co_ci_u32_e32 v9, vcc_lo, 0, v13, vcc_lo
	v_xor_b32_e32 v194, 0x7fffffff, v17
	v_add_co_u32 v31, vcc_lo, v39, v4
	v_min_u32_e32 v4, 0xe0, v16
	v_and_b32_e32 v16, 16, v37
	v_add_nc_u32_e32 v17, -1, v37
	v_xor_b32_e32 v192, 0x7fffffff, v15
	v_and_b32_e32 v15, 15, v37
	v_or_b32_e32 v4, 31, v4
	v_cmp_eq_u32_e64 s3, 0, v16
	v_cmp_gt_i32_e64 s4, 0, v17
	v_lshrrev_b32_e32 v16, 5, v26
	s_getpc_b64 s[0:1]
	s_add_u32 s0, s0, _ZN7rocprim17ROCPRIM_400000_NS16block_radix_sortIiLj256ELj8ElLj1ELj1ELj8ELNS0_26block_radix_rank_algorithmE2ELNS0_18block_padding_hintE2ELNS0_4arch9wavefront6targetE0EE19radix_bits_per_passE@rel32@lo+4
	s_addc_u32 s1, s1, _ZN7rocprim17ROCPRIM_400000_NS16block_radix_sortIiLj256ELj8ElLj1ELj1ELj8ELNS0_26block_radix_rank_algorithmE2ELNS0_18block_padding_hintE2ELNS0_4arch9wavefront6targetE0EE19radix_bits_per_passE@rel32@hi+12
	v_xor_b32_e32 v197, 0x7fffffff, v14
	v_lshlrev_b32_e32 v14, 3, v26
	v_add_co_ci_u32_e32 v32, vcc_lo, 0, v164, vcc_lo
	s_load_b32 s25, s[0:1], 0x0
	v_cmp_eq_u32_e32 vcc_lo, 0, v15
	v_cmp_lt_u32_e64 s0, 1, v15
	v_cmp_lt_u32_e64 s1, 3, v15
	v_cmp_lt_u32_e64 s2, 7, v15
	v_cndmask_b32_e64 v15, v17, v37, s4
	v_cmp_eq_u32_e64 s4, v4, v26
	v_lshlrev_b32_e32 v4, 2, v16
	v_lshlrev_b32_e32 v28, 2, v26
	v_and_or_b32 v14, 0x1f00, v14, v37
	v_lshlrev_b32_e32 v166, 2, v15
	v_and_b32_e32 v15, 7, v37
	v_add_co_u32 v35, s11, v12, v4
	v_add_nc_u32_e32 v4, -1, v16
	v_add_co_ci_u32_e64 v36, s11, 0, v13, s11
	v_add_co_u32 v33, s11, v12, v28
	v_lshlrev_b32_e32 v16, 2, v14
	v_add_co_ci_u32_e64 v34, s11, 0, v13, s11
	v_cmp_eq_u32_e64 s11, 0, v15
	v_cmp_lt_u32_e64 s14, 1, v15
	v_cmp_lt_u32_e64 s15, 3, v15
	v_lshlrev_b64 v[14:15], 2, v[4:5]
	v_cmp_eq_u32_e64 s7, 0, v37
	v_add_co_u32 v37, s16, v12, v16
	s_delay_alu instid0(VALU_DEP_1) | instskip(NEXT) | instid1(VALU_DEP_4)
	v_add_co_ci_u32_e64 v38, s16, 0, v13, s16
	v_add_co_u32 v48, s16, v12, v14
	s_delay_alu instid0(VALU_DEP_1) | instskip(NEXT) | instid1(VALU_DEP_4)
	v_add_co_ci_u32_e64 v49, s16, v13, v15, s16
	v_add_co_u32 v50, s16, v37, v16
	v_dual_mov_b32 v14, s20 :: v_dual_mov_b32 v15, s21
	v_xor_b32_e32 v195, 0x7fffffff, v18
	v_xor_b32_e32 v196, 0x7fffffff, v19
	;; [unrolled: 1-line block ×4, first 2 shown]
	v_lshrrev_b32_e32 v165, 5, v27
	v_cmp_gt_u32_e64 s5, 8, v26
	v_cmp_lt_u32_e64 s6, 31, v26
	v_cmp_eq_u32_e64 s10, 0, v26
	v_add_co_ci_u32_e64 v51, s16, 0, v38, s16
	v_sub_nc_u32_e32 v167, v11, v10
	v_dual_mov_b32 v16, s22 :: v_dual_mov_b32 v17, s23
	s_waitcnt lgkmcnt(0)
	s_waitcnt_vscnt null, 0x0
	s_barrier
	buffer_gl0_inv
	s_branch .LBB504_172
.LBB504_171:                            ;   in Loop: Header=BB504_172 Depth=1
	s_or_b32 exec_lo, exec_lo, s17
	s_delay_alu instid0(SALU_CYCLE_1) | instskip(NEXT) | instid1(SALU_CYCLE_1)
	s_and_b32 s16, exec_lo, s18
	s_or_b32 s20, s16, s20
	s_delay_alu instid0(SALU_CYCLE_1)
	s_and_not1_b32 exec_lo, exec_lo, s20
	s_cbranch_execz .LBB504_226
.LBB504_172:                            ; =>This Inner Loop Header: Depth=1
	v_min_u32_e32 v4, s25, v167
	v_dual_mov_b32 v176, v197 :: v_dual_mov_b32 v177, v199
	v_dual_mov_b32 v178, v198 :: v_dual_mov_b32 v179, v196
	s_delay_alu instid0(VALU_DEP_3) | instskip(NEXT) | instid1(VALU_DEP_3)
	v_lshlrev_b32_e64 v4, v4, -1
	v_lshrrev_b32_e32 v19, v10, v176
	s_clause 0x1
	flat_store_b128 v[8:9], v[14:17] offset:32
	flat_store_b128 v[31:32], v[14:17] offset:16
	s_waitcnt lgkmcnt(0)
	s_waitcnt_vscnt null, 0x0
	s_barrier
	v_not_b32_e32 v18, v4
	buffer_gl0_inv
	; wave barrier
	v_dual_mov_b32 v181, v194 :: v_dual_and_b32 v4, v19, v18
	v_mov_b32_e32 v180, v195
	v_dual_mov_b32 v182, v193 :: v_dual_mov_b32 v183, v192
	v_mov_b32_e32 v83, v23
	s_delay_alu instid0(VALU_DEP_4) | instskip(SKIP_4) | instid1(VALU_DEP_4)
	v_lshlrev_b32_e32 v21, 29, v4
	v_and_b32_e32 v19, 1, v4
	v_lshlrev_b32_e32 v20, 30, v4
	v_lshlrev_b32_e32 v52, 28, v4
	v_dual_mov_b32 v81, v25 :: v_dual_lshlrev_b32 v54, 27, v4
	v_add_co_u32 v19, s16, v19, -1
	s_delay_alu instid0(VALU_DEP_1)
	v_cndmask_b32_e64 v53, 0, 1, s16
	v_not_b32_e32 v65, v20
	v_cmp_gt_i32_e64 s17, 0, v20
	v_not_b32_e32 v20, v21
	v_dual_mov_b32 v82, v22 :: v_dual_lshlrev_b32 v55, 26, v4
	v_cmp_ne_u32_e64 s16, 0, v53
	v_ashrrev_i32_e32 v65, 31, v65
	s_delay_alu instid0(VALU_DEP_4)
	v_ashrrev_i32_e32 v20, 31, v20
	v_lshlrev_b32_e32 v64, 25, v4
	v_dual_mov_b32 v80, v24 :: v_dual_lshlrev_b32 v53, 24, v4
	v_xor_b32_e32 v19, s16, v19
	v_cmp_gt_i32_e64 s16, 0, v21
	v_not_b32_e32 v21, v52
	v_xor_b32_e32 v65, s17, v65
	v_cmp_gt_i32_e64 s17, 0, v52
	v_dual_mov_b32 v70, v84 :: v_dual_and_b32 v19, exec_lo, v19
	v_not_b32_e32 v52, v54
	v_ashrrev_i32_e32 v21, 31, v21
	v_xor_b32_e32 v20, s16, v20
	s_delay_alu instid0(VALU_DEP_4)
	v_dual_mov_b32 v68, v86 :: v_dual_and_b32 v19, v19, v65
	v_cmp_gt_i32_e64 s16, 0, v54
	v_not_b32_e32 v54, v55
	v_ashrrev_i32_e32 v52, 31, v52
	v_xor_b32_e32 v21, s17, v21
	v_dual_mov_b32 v66, v96 :: v_dual_and_b32 v19, v19, v20
	v_cmp_gt_i32_e64 s17, 0, v55
	v_ashrrev_i32_e32 v54, 31, v54
	v_xor_b32_e32 v52, s16, v52
	s_delay_alu instid0(VALU_DEP_4)
	v_and_b32_e32 v19, v19, v21
	v_mov_b32_e32 v71, v85
	v_not_b32_e32 v20, v64
	v_cmp_gt_i32_e64 s16, 0, v64
	v_mov_b32_e32 v64, v98
	v_not_b32_e32 v21, v53
	v_xor_b32_e32 v54, s17, v54
	v_ashrrev_i32_e32 v20, 31, v20
	v_and_b32_e32 v19, v19, v52
	v_cmp_gt_i32_e64 s17, 0, v53
	v_ashrrev_i32_e32 v21, 31, v21
	v_mov_b32_e32 v52, v102
	v_xor_b32_e32 v20, s16, v20
	v_and_b32_e32 v19, v19, v54
	v_lshl_add_u32 v4, v4, 3, v165
	v_xor_b32_e32 v21, s17, v21
	v_dual_mov_b32 v54, v100 :: v_dual_mov_b32 v69, v87
	s_delay_alu instid0(VALU_DEP_4)
	v_and_b32_e32 v19, v19, v20
	v_mov_b32_e32 v67, v97
	v_mov_b32_e32 v65, v99
	;; [unrolled: 1-line block ×4, first 2 shown]
	v_and_b32_e32 v19, v19, v21
	v_lshlrev_b64 v[20:21], 2, v[4:5]
	s_delay_alu instid0(VALU_DEP_2) | instskip(SKIP_1) | instid1(VALU_DEP_3)
	v_mbcnt_lo_u32_b32 v116, v19, 0
	v_cmp_ne_u32_e64 s16, 0, v19
	v_add_co_u32 v84, s18, v39, v20
	s_delay_alu instid0(VALU_DEP_1) | instskip(NEXT) | instid1(VALU_DEP_4)
	v_add_co_ci_u32_e64 v85, s18, v164, v21, s18
	v_cmp_eq_u32_e64 s17, 0, v116
	s_delay_alu instid0(VALU_DEP_1) | instskip(NEXT) | instid1(SALU_CYCLE_1)
	s_and_b32 s17, s16, s17
	s_and_saveexec_b32 s16, s17
	s_cbranch_execz .LBB504_174
; %bb.173:                              ;   in Loop: Header=BB504_172 Depth=1
	v_bcnt_u32_b32 v4, v19, 0
	flat_store_b32 v[84:85], v4
.LBB504_174:                            ;   in Loop: Header=BB504_172 Depth=1
	s_or_b32 exec_lo, exec_lo, s16
	v_lshrrev_b32_e32 v4, v10, v183
	; wave barrier
	s_delay_alu instid0(VALU_DEP_1) | instskip(NEXT) | instid1(VALU_DEP_1)
	v_and_b32_e32 v21, v4, v18
	v_lshl_add_u32 v4, v21, 3, v165
	v_lshlrev_b32_e32 v22, 29, v21
	v_lshlrev_b32_e32 v23, 28, v21
	s_delay_alu instid0(VALU_DEP_3) | instskip(SKIP_1) | instid1(VALU_DEP_2)
	v_lshlrev_b64 v[19:20], 2, v[4:5]
	v_and_b32_e32 v4, 1, v21
	v_add_co_u32 v86, s16, v39, v19
	s_delay_alu instid0(VALU_DEP_1) | instskip(NEXT) | instid1(VALU_DEP_3)
	v_add_co_ci_u32_e64 v87, s16, v164, v20, s16
	v_add_co_u32 v4, s16, v4, -1
	s_delay_alu instid0(VALU_DEP_1) | instskip(SKIP_3) | instid1(VALU_DEP_2)
	v_cndmask_b32_e64 v19, 0, 1, s16
	flat_load_b32 v117, v[86:87]
	v_lshlrev_b32_e32 v20, 30, v21
	; wave barrier
	v_cmp_ne_u32_e64 s16, 0, v19
	v_not_b32_e32 v19, v20
	s_delay_alu instid0(VALU_DEP_2) | instskip(SKIP_1) | instid1(VALU_DEP_3)
	v_xor_b32_e32 v4, s16, v4
	v_cmp_gt_i32_e64 s16, 0, v20
	v_ashrrev_i32_e32 v19, 31, v19
	v_not_b32_e32 v20, v22
	s_delay_alu instid0(VALU_DEP_4) | instskip(NEXT) | instid1(VALU_DEP_3)
	v_and_b32_e32 v4, exec_lo, v4
	v_xor_b32_e32 v19, s16, v19
	v_cmp_gt_i32_e64 s16, 0, v22
	s_delay_alu instid0(VALU_DEP_4) | instskip(SKIP_1) | instid1(VALU_DEP_4)
	v_ashrrev_i32_e32 v20, 31, v20
	v_not_b32_e32 v22, v23
	v_and_b32_e32 v4, v4, v19
	v_lshlrev_b32_e32 v19, 27, v21
	s_delay_alu instid0(VALU_DEP_4) | instskip(SKIP_2) | instid1(VALU_DEP_4)
	v_xor_b32_e32 v20, s16, v20
	v_cmp_gt_i32_e64 s16, 0, v23
	v_ashrrev_i32_e32 v22, 31, v22
	v_not_b32_e32 v23, v19
	s_delay_alu instid0(VALU_DEP_4) | instskip(SKIP_1) | instid1(VALU_DEP_4)
	v_and_b32_e32 v4, v4, v20
	v_lshlrev_b32_e32 v20, 26, v21
	v_xor_b32_e32 v22, s16, v22
	v_cmp_gt_i32_e64 s16, 0, v19
	v_ashrrev_i32_e32 v19, 31, v23
	s_delay_alu instid0(VALU_DEP_4) | instskip(NEXT) | instid1(VALU_DEP_4)
	v_not_b32_e32 v23, v20
	v_and_b32_e32 v4, v4, v22
	v_lshlrev_b32_e32 v22, 25, v21
	s_delay_alu instid0(VALU_DEP_4) | instskip(SKIP_2) | instid1(VALU_DEP_4)
	v_xor_b32_e32 v19, s16, v19
	v_cmp_gt_i32_e64 s16, 0, v20
	v_ashrrev_i32_e32 v20, 31, v23
	v_not_b32_e32 v23, v22
	s_delay_alu instid0(VALU_DEP_4) | instskip(SKIP_1) | instid1(VALU_DEP_4)
	v_and_b32_e32 v4, v4, v19
	v_lshlrev_b32_e32 v19, 24, v21
	v_xor_b32_e32 v20, s16, v20
	v_cmp_gt_i32_e64 s16, 0, v22
	v_ashrrev_i32_e32 v21, 31, v23
	s_delay_alu instid0(VALU_DEP_4) | instskip(NEXT) | instid1(VALU_DEP_4)
	v_not_b32_e32 v22, v19
	v_and_b32_e32 v4, v4, v20
	s_delay_alu instid0(VALU_DEP_3) | instskip(SKIP_1) | instid1(VALU_DEP_4)
	v_xor_b32_e32 v20, s16, v21
	v_cmp_gt_i32_e64 s16, 0, v19
	v_ashrrev_i32_e32 v19, 31, v22
	s_delay_alu instid0(VALU_DEP_3) | instskip(NEXT) | instid1(VALU_DEP_2)
	v_and_b32_e32 v4, v4, v20
	v_xor_b32_e32 v19, s16, v19
	s_delay_alu instid0(VALU_DEP_1) | instskip(NEXT) | instid1(VALU_DEP_1)
	v_and_b32_e32 v4, v4, v19
	v_mbcnt_lo_u32_b32 v118, v4, 0
	v_cmp_ne_u32_e64 s17, 0, v4
	s_delay_alu instid0(VALU_DEP_2) | instskip(NEXT) | instid1(VALU_DEP_1)
	v_cmp_eq_u32_e64 s16, 0, v118
	s_and_b32 s17, s17, s16
	s_delay_alu instid0(SALU_CYCLE_1)
	s_and_saveexec_b32 s16, s17
	s_cbranch_execz .LBB504_176
; %bb.175:                              ;   in Loop: Header=BB504_172 Depth=1
	s_waitcnt vmcnt(0) lgkmcnt(0)
	v_bcnt_u32_b32 v4, v4, v117
	flat_store_b32 v[86:87], v4
.LBB504_176:                            ;   in Loop: Header=BB504_172 Depth=1
	s_or_b32 exec_lo, exec_lo, s16
	v_lshrrev_b32_e32 v4, v10, v182
	; wave barrier
	s_delay_alu instid0(VALU_DEP_1) | instskip(NEXT) | instid1(VALU_DEP_1)
	v_and_b32_e32 v21, v4, v18
	v_lshl_add_u32 v4, v21, 3, v165
	v_lshlrev_b32_e32 v22, 29, v21
	v_lshlrev_b32_e32 v23, 28, v21
	s_delay_alu instid0(VALU_DEP_3) | instskip(SKIP_1) | instid1(VALU_DEP_2)
	v_lshlrev_b64 v[19:20], 2, v[4:5]
	v_and_b32_e32 v4, 1, v21
	v_add_co_u32 v96, s16, v39, v19
	s_delay_alu instid0(VALU_DEP_1) | instskip(NEXT) | instid1(VALU_DEP_3)
	v_add_co_ci_u32_e64 v97, s16, v164, v20, s16
	v_add_co_u32 v4, s16, v4, -1
	s_delay_alu instid0(VALU_DEP_1) | instskip(SKIP_3) | instid1(VALU_DEP_2)
	v_cndmask_b32_e64 v19, 0, 1, s16
	flat_load_b32 v119, v[96:97]
	v_lshlrev_b32_e32 v20, 30, v21
	; wave barrier
	v_cmp_ne_u32_e64 s16, 0, v19
	v_not_b32_e32 v19, v20
	s_delay_alu instid0(VALU_DEP_2) | instskip(SKIP_1) | instid1(VALU_DEP_3)
	v_xor_b32_e32 v4, s16, v4
	v_cmp_gt_i32_e64 s16, 0, v20
	v_ashrrev_i32_e32 v19, 31, v19
	v_not_b32_e32 v20, v22
	s_delay_alu instid0(VALU_DEP_4) | instskip(NEXT) | instid1(VALU_DEP_3)
	v_and_b32_e32 v4, exec_lo, v4
	v_xor_b32_e32 v19, s16, v19
	v_cmp_gt_i32_e64 s16, 0, v22
	s_delay_alu instid0(VALU_DEP_4) | instskip(SKIP_1) | instid1(VALU_DEP_4)
	v_ashrrev_i32_e32 v20, 31, v20
	v_not_b32_e32 v22, v23
	v_and_b32_e32 v4, v4, v19
	v_lshlrev_b32_e32 v19, 27, v21
	s_delay_alu instid0(VALU_DEP_4) | instskip(SKIP_2) | instid1(VALU_DEP_4)
	v_xor_b32_e32 v20, s16, v20
	v_cmp_gt_i32_e64 s16, 0, v23
	v_ashrrev_i32_e32 v22, 31, v22
	v_not_b32_e32 v23, v19
	s_delay_alu instid0(VALU_DEP_4) | instskip(SKIP_1) | instid1(VALU_DEP_4)
	v_and_b32_e32 v4, v4, v20
	v_lshlrev_b32_e32 v20, 26, v21
	v_xor_b32_e32 v22, s16, v22
	v_cmp_gt_i32_e64 s16, 0, v19
	v_ashrrev_i32_e32 v19, 31, v23
	s_delay_alu instid0(VALU_DEP_4) | instskip(NEXT) | instid1(VALU_DEP_4)
	v_not_b32_e32 v23, v20
	v_and_b32_e32 v4, v4, v22
	v_lshlrev_b32_e32 v22, 25, v21
	s_delay_alu instid0(VALU_DEP_4) | instskip(SKIP_2) | instid1(VALU_DEP_4)
	v_xor_b32_e32 v19, s16, v19
	v_cmp_gt_i32_e64 s16, 0, v20
	v_ashrrev_i32_e32 v20, 31, v23
	v_not_b32_e32 v23, v22
	s_delay_alu instid0(VALU_DEP_4) | instskip(SKIP_1) | instid1(VALU_DEP_4)
	v_and_b32_e32 v4, v4, v19
	v_lshlrev_b32_e32 v19, 24, v21
	v_xor_b32_e32 v20, s16, v20
	v_cmp_gt_i32_e64 s16, 0, v22
	v_ashrrev_i32_e32 v21, 31, v23
	s_delay_alu instid0(VALU_DEP_4) | instskip(NEXT) | instid1(VALU_DEP_4)
	v_not_b32_e32 v22, v19
	v_and_b32_e32 v4, v4, v20
	s_delay_alu instid0(VALU_DEP_3) | instskip(SKIP_1) | instid1(VALU_DEP_4)
	v_xor_b32_e32 v20, s16, v21
	v_cmp_gt_i32_e64 s16, 0, v19
	v_ashrrev_i32_e32 v19, 31, v22
	s_delay_alu instid0(VALU_DEP_3) | instskip(NEXT) | instid1(VALU_DEP_2)
	v_and_b32_e32 v4, v4, v20
	v_xor_b32_e32 v19, s16, v19
	s_delay_alu instid0(VALU_DEP_1) | instskip(NEXT) | instid1(VALU_DEP_1)
	v_and_b32_e32 v4, v4, v19
	v_mbcnt_lo_u32_b32 v128, v4, 0
	v_cmp_ne_u32_e64 s17, 0, v4
	s_delay_alu instid0(VALU_DEP_2) | instskip(NEXT) | instid1(VALU_DEP_1)
	v_cmp_eq_u32_e64 s16, 0, v128
	s_and_b32 s17, s17, s16
	s_delay_alu instid0(SALU_CYCLE_1)
	s_and_saveexec_b32 s16, s17
	s_cbranch_execz .LBB504_178
; %bb.177:                              ;   in Loop: Header=BB504_172 Depth=1
	s_waitcnt vmcnt(0) lgkmcnt(0)
	v_bcnt_u32_b32 v4, v4, v119
	flat_store_b32 v[96:97], v4
.LBB504_178:                            ;   in Loop: Header=BB504_172 Depth=1
	s_or_b32 exec_lo, exec_lo, s16
	v_lshrrev_b32_e32 v4, v10, v181
	; wave barrier
	s_delay_alu instid0(VALU_DEP_1) | instskip(NEXT) | instid1(VALU_DEP_1)
	v_and_b32_e32 v21, v4, v18
	v_lshl_add_u32 v4, v21, 3, v165
	v_lshlrev_b32_e32 v22, 29, v21
	v_lshlrev_b32_e32 v23, 28, v21
	s_delay_alu instid0(VALU_DEP_3) | instskip(SKIP_1) | instid1(VALU_DEP_2)
	v_lshlrev_b64 v[19:20], 2, v[4:5]
	v_and_b32_e32 v4, 1, v21
	v_add_co_u32 v98, s16, v39, v19
	s_delay_alu instid0(VALU_DEP_1) | instskip(NEXT) | instid1(VALU_DEP_3)
	v_add_co_ci_u32_e64 v99, s16, v164, v20, s16
	v_add_co_u32 v4, s16, v4, -1
	s_delay_alu instid0(VALU_DEP_1) | instskip(SKIP_3) | instid1(VALU_DEP_2)
	v_cndmask_b32_e64 v19, 0, 1, s16
	flat_load_b32 v129, v[98:99]
	v_lshlrev_b32_e32 v20, 30, v21
	; wave barrier
	v_cmp_ne_u32_e64 s16, 0, v19
	v_not_b32_e32 v19, v20
	s_delay_alu instid0(VALU_DEP_2) | instskip(SKIP_1) | instid1(VALU_DEP_3)
	v_xor_b32_e32 v4, s16, v4
	v_cmp_gt_i32_e64 s16, 0, v20
	v_ashrrev_i32_e32 v19, 31, v19
	v_not_b32_e32 v20, v22
	s_delay_alu instid0(VALU_DEP_4) | instskip(NEXT) | instid1(VALU_DEP_3)
	v_and_b32_e32 v4, exec_lo, v4
	v_xor_b32_e32 v19, s16, v19
	v_cmp_gt_i32_e64 s16, 0, v22
	s_delay_alu instid0(VALU_DEP_4) | instskip(SKIP_1) | instid1(VALU_DEP_4)
	v_ashrrev_i32_e32 v20, 31, v20
	v_not_b32_e32 v22, v23
	v_and_b32_e32 v4, v4, v19
	v_lshlrev_b32_e32 v19, 27, v21
	s_delay_alu instid0(VALU_DEP_4) | instskip(SKIP_2) | instid1(VALU_DEP_4)
	v_xor_b32_e32 v20, s16, v20
	v_cmp_gt_i32_e64 s16, 0, v23
	v_ashrrev_i32_e32 v22, 31, v22
	v_not_b32_e32 v23, v19
	s_delay_alu instid0(VALU_DEP_4) | instskip(SKIP_1) | instid1(VALU_DEP_4)
	v_and_b32_e32 v4, v4, v20
	v_lshlrev_b32_e32 v20, 26, v21
	v_xor_b32_e32 v22, s16, v22
	v_cmp_gt_i32_e64 s16, 0, v19
	v_ashrrev_i32_e32 v19, 31, v23
	s_delay_alu instid0(VALU_DEP_4) | instskip(NEXT) | instid1(VALU_DEP_4)
	v_not_b32_e32 v23, v20
	v_and_b32_e32 v4, v4, v22
	v_lshlrev_b32_e32 v22, 25, v21
	s_delay_alu instid0(VALU_DEP_4) | instskip(SKIP_2) | instid1(VALU_DEP_4)
	v_xor_b32_e32 v19, s16, v19
	v_cmp_gt_i32_e64 s16, 0, v20
	v_ashrrev_i32_e32 v20, 31, v23
	v_not_b32_e32 v23, v22
	s_delay_alu instid0(VALU_DEP_4) | instskip(SKIP_1) | instid1(VALU_DEP_4)
	v_and_b32_e32 v4, v4, v19
	v_lshlrev_b32_e32 v19, 24, v21
	v_xor_b32_e32 v20, s16, v20
	v_cmp_gt_i32_e64 s16, 0, v22
	v_ashrrev_i32_e32 v21, 31, v23
	s_delay_alu instid0(VALU_DEP_4) | instskip(NEXT) | instid1(VALU_DEP_4)
	v_not_b32_e32 v22, v19
	v_and_b32_e32 v4, v4, v20
	s_delay_alu instid0(VALU_DEP_3) | instskip(SKIP_1) | instid1(VALU_DEP_4)
	v_xor_b32_e32 v20, s16, v21
	v_cmp_gt_i32_e64 s16, 0, v19
	v_ashrrev_i32_e32 v19, 31, v22
	s_delay_alu instid0(VALU_DEP_3) | instskip(NEXT) | instid1(VALU_DEP_2)
	v_and_b32_e32 v4, v4, v20
	v_xor_b32_e32 v19, s16, v19
	s_delay_alu instid0(VALU_DEP_1) | instskip(NEXT) | instid1(VALU_DEP_1)
	v_and_b32_e32 v4, v4, v19
	v_mbcnt_lo_u32_b32 v130, v4, 0
	v_cmp_ne_u32_e64 s17, 0, v4
	s_delay_alu instid0(VALU_DEP_2) | instskip(NEXT) | instid1(VALU_DEP_1)
	v_cmp_eq_u32_e64 s16, 0, v130
	s_and_b32 s17, s17, s16
	s_delay_alu instid0(SALU_CYCLE_1)
	s_and_saveexec_b32 s16, s17
	s_cbranch_execz .LBB504_180
; %bb.179:                              ;   in Loop: Header=BB504_172 Depth=1
	s_waitcnt vmcnt(0) lgkmcnt(0)
	v_bcnt_u32_b32 v4, v4, v129
	flat_store_b32 v[98:99], v4
.LBB504_180:                            ;   in Loop: Header=BB504_172 Depth=1
	s_or_b32 exec_lo, exec_lo, s16
	v_lshrrev_b32_e32 v4, v10, v180
	; wave barrier
	s_delay_alu instid0(VALU_DEP_1) | instskip(NEXT) | instid1(VALU_DEP_1)
	v_and_b32_e32 v21, v4, v18
	v_lshl_add_u32 v4, v21, 3, v165
	v_lshlrev_b32_e32 v22, 29, v21
	v_lshlrev_b32_e32 v23, 28, v21
	s_delay_alu instid0(VALU_DEP_3) | instskip(SKIP_1) | instid1(VALU_DEP_2)
	v_lshlrev_b64 v[19:20], 2, v[4:5]
	v_and_b32_e32 v4, 1, v21
	v_add_co_u32 v100, s16, v39, v19
	s_delay_alu instid0(VALU_DEP_1) | instskip(NEXT) | instid1(VALU_DEP_3)
	v_add_co_ci_u32_e64 v101, s16, v164, v20, s16
	v_add_co_u32 v4, s16, v4, -1
	s_delay_alu instid0(VALU_DEP_1) | instskip(SKIP_3) | instid1(VALU_DEP_2)
	v_cndmask_b32_e64 v19, 0, 1, s16
	flat_load_b32 v131, v[100:101]
	v_lshlrev_b32_e32 v20, 30, v21
	; wave barrier
	v_cmp_ne_u32_e64 s16, 0, v19
	v_not_b32_e32 v19, v20
	s_delay_alu instid0(VALU_DEP_2) | instskip(SKIP_1) | instid1(VALU_DEP_3)
	v_xor_b32_e32 v4, s16, v4
	v_cmp_gt_i32_e64 s16, 0, v20
	v_ashrrev_i32_e32 v19, 31, v19
	v_not_b32_e32 v20, v22
	s_delay_alu instid0(VALU_DEP_4) | instskip(NEXT) | instid1(VALU_DEP_3)
	v_and_b32_e32 v4, exec_lo, v4
	v_xor_b32_e32 v19, s16, v19
	v_cmp_gt_i32_e64 s16, 0, v22
	s_delay_alu instid0(VALU_DEP_4) | instskip(SKIP_1) | instid1(VALU_DEP_4)
	v_ashrrev_i32_e32 v20, 31, v20
	v_not_b32_e32 v22, v23
	v_and_b32_e32 v4, v4, v19
	v_lshlrev_b32_e32 v19, 27, v21
	s_delay_alu instid0(VALU_DEP_4) | instskip(SKIP_2) | instid1(VALU_DEP_4)
	v_xor_b32_e32 v20, s16, v20
	v_cmp_gt_i32_e64 s16, 0, v23
	v_ashrrev_i32_e32 v22, 31, v22
	v_not_b32_e32 v23, v19
	s_delay_alu instid0(VALU_DEP_4) | instskip(SKIP_1) | instid1(VALU_DEP_4)
	v_and_b32_e32 v4, v4, v20
	v_lshlrev_b32_e32 v20, 26, v21
	v_xor_b32_e32 v22, s16, v22
	v_cmp_gt_i32_e64 s16, 0, v19
	v_ashrrev_i32_e32 v19, 31, v23
	s_delay_alu instid0(VALU_DEP_4) | instskip(NEXT) | instid1(VALU_DEP_4)
	v_not_b32_e32 v23, v20
	v_and_b32_e32 v4, v4, v22
	v_lshlrev_b32_e32 v22, 25, v21
	s_delay_alu instid0(VALU_DEP_4) | instskip(SKIP_2) | instid1(VALU_DEP_4)
	v_xor_b32_e32 v19, s16, v19
	v_cmp_gt_i32_e64 s16, 0, v20
	v_ashrrev_i32_e32 v20, 31, v23
	v_not_b32_e32 v23, v22
	s_delay_alu instid0(VALU_DEP_4) | instskip(SKIP_1) | instid1(VALU_DEP_4)
	v_and_b32_e32 v4, v4, v19
	v_lshlrev_b32_e32 v19, 24, v21
	v_xor_b32_e32 v20, s16, v20
	v_cmp_gt_i32_e64 s16, 0, v22
	v_ashrrev_i32_e32 v21, 31, v23
	s_delay_alu instid0(VALU_DEP_4) | instskip(NEXT) | instid1(VALU_DEP_4)
	v_not_b32_e32 v22, v19
	v_and_b32_e32 v4, v4, v20
	s_delay_alu instid0(VALU_DEP_3) | instskip(SKIP_1) | instid1(VALU_DEP_4)
	v_xor_b32_e32 v20, s16, v21
	v_cmp_gt_i32_e64 s16, 0, v19
	v_ashrrev_i32_e32 v19, 31, v22
	s_delay_alu instid0(VALU_DEP_3) | instskip(NEXT) | instid1(VALU_DEP_2)
	v_and_b32_e32 v4, v4, v20
	v_xor_b32_e32 v19, s16, v19
	s_delay_alu instid0(VALU_DEP_1) | instskip(NEXT) | instid1(VALU_DEP_1)
	v_and_b32_e32 v4, v4, v19
	v_mbcnt_lo_u32_b32 v132, v4, 0
	v_cmp_ne_u32_e64 s17, 0, v4
	s_delay_alu instid0(VALU_DEP_2) | instskip(NEXT) | instid1(VALU_DEP_1)
	v_cmp_eq_u32_e64 s16, 0, v132
	s_and_b32 s17, s17, s16
	s_delay_alu instid0(SALU_CYCLE_1)
	s_and_saveexec_b32 s16, s17
	s_cbranch_execz .LBB504_182
; %bb.181:                              ;   in Loop: Header=BB504_172 Depth=1
	s_waitcnt vmcnt(0) lgkmcnt(0)
	v_bcnt_u32_b32 v4, v4, v131
	flat_store_b32 v[100:101], v4
.LBB504_182:                            ;   in Loop: Header=BB504_172 Depth=1
	s_or_b32 exec_lo, exec_lo, s16
	v_lshrrev_b32_e32 v4, v10, v179
	; wave barrier
	s_delay_alu instid0(VALU_DEP_1) | instskip(NEXT) | instid1(VALU_DEP_1)
	v_and_b32_e32 v21, v4, v18
	v_lshl_add_u32 v4, v21, 3, v165
	v_lshlrev_b32_e32 v22, 29, v21
	v_lshlrev_b32_e32 v23, 28, v21
	s_delay_alu instid0(VALU_DEP_3) | instskip(SKIP_1) | instid1(VALU_DEP_2)
	v_lshlrev_b64 v[19:20], 2, v[4:5]
	v_and_b32_e32 v4, 1, v21
	v_add_co_u32 v102, s16, v39, v19
	s_delay_alu instid0(VALU_DEP_1) | instskip(NEXT) | instid1(VALU_DEP_3)
	v_add_co_ci_u32_e64 v103, s16, v164, v20, s16
	v_add_co_u32 v4, s16, v4, -1
	s_delay_alu instid0(VALU_DEP_1) | instskip(SKIP_3) | instid1(VALU_DEP_2)
	v_cndmask_b32_e64 v19, 0, 1, s16
	flat_load_b32 v133, v[102:103]
	v_lshlrev_b32_e32 v20, 30, v21
	; wave barrier
	v_cmp_ne_u32_e64 s16, 0, v19
	v_not_b32_e32 v19, v20
	s_delay_alu instid0(VALU_DEP_2) | instskip(SKIP_1) | instid1(VALU_DEP_3)
	v_xor_b32_e32 v4, s16, v4
	v_cmp_gt_i32_e64 s16, 0, v20
	v_ashrrev_i32_e32 v19, 31, v19
	v_not_b32_e32 v20, v22
	s_delay_alu instid0(VALU_DEP_4) | instskip(NEXT) | instid1(VALU_DEP_3)
	v_and_b32_e32 v4, exec_lo, v4
	v_xor_b32_e32 v19, s16, v19
	v_cmp_gt_i32_e64 s16, 0, v22
	s_delay_alu instid0(VALU_DEP_4) | instskip(SKIP_1) | instid1(VALU_DEP_4)
	v_ashrrev_i32_e32 v20, 31, v20
	v_not_b32_e32 v22, v23
	v_and_b32_e32 v4, v4, v19
	v_lshlrev_b32_e32 v19, 27, v21
	s_delay_alu instid0(VALU_DEP_4) | instskip(SKIP_2) | instid1(VALU_DEP_4)
	v_xor_b32_e32 v20, s16, v20
	v_cmp_gt_i32_e64 s16, 0, v23
	v_ashrrev_i32_e32 v22, 31, v22
	v_not_b32_e32 v23, v19
	s_delay_alu instid0(VALU_DEP_4) | instskip(SKIP_1) | instid1(VALU_DEP_4)
	v_and_b32_e32 v4, v4, v20
	v_lshlrev_b32_e32 v20, 26, v21
	v_xor_b32_e32 v22, s16, v22
	v_cmp_gt_i32_e64 s16, 0, v19
	v_ashrrev_i32_e32 v19, 31, v23
	s_delay_alu instid0(VALU_DEP_4) | instskip(NEXT) | instid1(VALU_DEP_4)
	v_not_b32_e32 v23, v20
	v_and_b32_e32 v4, v4, v22
	v_lshlrev_b32_e32 v22, 25, v21
	s_delay_alu instid0(VALU_DEP_4) | instskip(SKIP_2) | instid1(VALU_DEP_4)
	v_xor_b32_e32 v19, s16, v19
	v_cmp_gt_i32_e64 s16, 0, v20
	v_ashrrev_i32_e32 v20, 31, v23
	v_not_b32_e32 v23, v22
	s_delay_alu instid0(VALU_DEP_4) | instskip(SKIP_1) | instid1(VALU_DEP_4)
	v_and_b32_e32 v4, v4, v19
	v_lshlrev_b32_e32 v19, 24, v21
	v_xor_b32_e32 v20, s16, v20
	v_cmp_gt_i32_e64 s16, 0, v22
	v_ashrrev_i32_e32 v21, 31, v23
	s_delay_alu instid0(VALU_DEP_4) | instskip(NEXT) | instid1(VALU_DEP_4)
	v_not_b32_e32 v22, v19
	v_and_b32_e32 v4, v4, v20
	s_delay_alu instid0(VALU_DEP_3) | instskip(SKIP_1) | instid1(VALU_DEP_4)
	v_xor_b32_e32 v20, s16, v21
	v_cmp_gt_i32_e64 s16, 0, v19
	v_ashrrev_i32_e32 v19, 31, v22
	s_delay_alu instid0(VALU_DEP_3) | instskip(NEXT) | instid1(VALU_DEP_2)
	v_and_b32_e32 v4, v4, v20
	v_xor_b32_e32 v19, s16, v19
	s_delay_alu instid0(VALU_DEP_1) | instskip(NEXT) | instid1(VALU_DEP_1)
	v_and_b32_e32 v4, v4, v19
	v_mbcnt_lo_u32_b32 v134, v4, 0
	v_cmp_ne_u32_e64 s17, 0, v4
	s_delay_alu instid0(VALU_DEP_2) | instskip(NEXT) | instid1(VALU_DEP_1)
	v_cmp_eq_u32_e64 s16, 0, v134
	s_and_b32 s17, s17, s16
	s_delay_alu instid0(SALU_CYCLE_1)
	s_and_saveexec_b32 s16, s17
	s_cbranch_execz .LBB504_184
; %bb.183:                              ;   in Loop: Header=BB504_172 Depth=1
	s_waitcnt vmcnt(0) lgkmcnt(0)
	v_bcnt_u32_b32 v4, v4, v133
	flat_store_b32 v[102:103], v4
.LBB504_184:                            ;   in Loop: Header=BB504_172 Depth=1
	s_or_b32 exec_lo, exec_lo, s16
	v_lshrrev_b32_e32 v4, v10, v178
	; wave barrier
	s_delay_alu instid0(VALU_DEP_1) | instskip(NEXT) | instid1(VALU_DEP_1)
	v_and_b32_e32 v21, v4, v18
	v_lshl_add_u32 v4, v21, 3, v165
	v_lshlrev_b32_e32 v22, 29, v21
	v_lshlrev_b32_e32 v23, 28, v21
	s_delay_alu instid0(VALU_DEP_3) | instskip(SKIP_1) | instid1(VALU_DEP_2)
	v_lshlrev_b64 v[19:20], 2, v[4:5]
	v_and_b32_e32 v4, 1, v21
	v_add_co_u32 v112, s16, v39, v19
	s_delay_alu instid0(VALU_DEP_1) | instskip(NEXT) | instid1(VALU_DEP_3)
	v_add_co_ci_u32_e64 v113, s16, v164, v20, s16
	v_add_co_u32 v4, s16, v4, -1
	s_delay_alu instid0(VALU_DEP_1) | instskip(SKIP_3) | instid1(VALU_DEP_2)
	v_cndmask_b32_e64 v19, 0, 1, s16
	flat_load_b32 v135, v[112:113]
	v_lshlrev_b32_e32 v20, 30, v21
	; wave barrier
	v_cmp_ne_u32_e64 s16, 0, v19
	v_not_b32_e32 v19, v20
	s_delay_alu instid0(VALU_DEP_2) | instskip(SKIP_1) | instid1(VALU_DEP_3)
	v_xor_b32_e32 v4, s16, v4
	v_cmp_gt_i32_e64 s16, 0, v20
	v_ashrrev_i32_e32 v19, 31, v19
	v_not_b32_e32 v20, v22
	s_delay_alu instid0(VALU_DEP_4) | instskip(NEXT) | instid1(VALU_DEP_3)
	v_and_b32_e32 v4, exec_lo, v4
	v_xor_b32_e32 v19, s16, v19
	v_cmp_gt_i32_e64 s16, 0, v22
	s_delay_alu instid0(VALU_DEP_4) | instskip(SKIP_1) | instid1(VALU_DEP_4)
	v_ashrrev_i32_e32 v20, 31, v20
	v_not_b32_e32 v22, v23
	v_and_b32_e32 v4, v4, v19
	v_lshlrev_b32_e32 v19, 27, v21
	s_delay_alu instid0(VALU_DEP_4) | instskip(SKIP_2) | instid1(VALU_DEP_4)
	v_xor_b32_e32 v20, s16, v20
	v_cmp_gt_i32_e64 s16, 0, v23
	v_ashrrev_i32_e32 v22, 31, v22
	v_not_b32_e32 v23, v19
	s_delay_alu instid0(VALU_DEP_4) | instskip(SKIP_1) | instid1(VALU_DEP_4)
	v_and_b32_e32 v4, v4, v20
	v_lshlrev_b32_e32 v20, 26, v21
	v_xor_b32_e32 v22, s16, v22
	v_cmp_gt_i32_e64 s16, 0, v19
	v_ashrrev_i32_e32 v19, 31, v23
	s_delay_alu instid0(VALU_DEP_4) | instskip(NEXT) | instid1(VALU_DEP_4)
	v_not_b32_e32 v23, v20
	v_and_b32_e32 v4, v4, v22
	v_lshlrev_b32_e32 v22, 25, v21
	s_delay_alu instid0(VALU_DEP_4) | instskip(SKIP_2) | instid1(VALU_DEP_4)
	v_xor_b32_e32 v19, s16, v19
	v_cmp_gt_i32_e64 s16, 0, v20
	v_ashrrev_i32_e32 v20, 31, v23
	v_not_b32_e32 v23, v22
	s_delay_alu instid0(VALU_DEP_4) | instskip(SKIP_1) | instid1(VALU_DEP_4)
	v_and_b32_e32 v4, v4, v19
	v_lshlrev_b32_e32 v19, 24, v21
	v_xor_b32_e32 v20, s16, v20
	v_cmp_gt_i32_e64 s16, 0, v22
	v_ashrrev_i32_e32 v21, 31, v23
	s_delay_alu instid0(VALU_DEP_4) | instskip(NEXT) | instid1(VALU_DEP_4)
	v_not_b32_e32 v22, v19
	v_and_b32_e32 v4, v4, v20
	s_delay_alu instid0(VALU_DEP_3) | instskip(SKIP_1) | instid1(VALU_DEP_4)
	v_xor_b32_e32 v20, s16, v21
	v_cmp_gt_i32_e64 s16, 0, v19
	v_ashrrev_i32_e32 v19, 31, v22
	s_delay_alu instid0(VALU_DEP_3) | instskip(NEXT) | instid1(VALU_DEP_2)
	v_and_b32_e32 v4, v4, v20
	v_xor_b32_e32 v19, s16, v19
	s_delay_alu instid0(VALU_DEP_1) | instskip(NEXT) | instid1(VALU_DEP_1)
	v_and_b32_e32 v4, v4, v19
	v_mbcnt_lo_u32_b32 v144, v4, 0
	v_cmp_ne_u32_e64 s17, 0, v4
	s_delay_alu instid0(VALU_DEP_2) | instskip(NEXT) | instid1(VALU_DEP_1)
	v_cmp_eq_u32_e64 s16, 0, v144
	s_and_b32 s17, s17, s16
	s_delay_alu instid0(SALU_CYCLE_1)
	s_and_saveexec_b32 s16, s17
	s_cbranch_execz .LBB504_186
; %bb.185:                              ;   in Loop: Header=BB504_172 Depth=1
	s_waitcnt vmcnt(0) lgkmcnt(0)
	v_bcnt_u32_b32 v4, v4, v135
	flat_store_b32 v[112:113], v4
.LBB504_186:                            ;   in Loop: Header=BB504_172 Depth=1
	s_or_b32 exec_lo, exec_lo, s16
	v_lshrrev_b32_e32 v4, v10, v177
	; wave barrier
	s_delay_alu instid0(VALU_DEP_1) | instskip(NEXT) | instid1(VALU_DEP_1)
	v_and_b32_e32 v20, v4, v18
	v_lshl_add_u32 v4, v20, 3, v165
	v_lshlrev_b32_e32 v21, 29, v20
	v_lshlrev_b32_e32 v22, 28, v20
	s_delay_alu instid0(VALU_DEP_3) | instskip(SKIP_1) | instid1(VALU_DEP_2)
	v_lshlrev_b64 v[18:19], 2, v[4:5]
	v_and_b32_e32 v4, 1, v20
	v_add_co_u32 v114, s16, v39, v18
	s_delay_alu instid0(VALU_DEP_1) | instskip(NEXT) | instid1(VALU_DEP_3)
	v_add_co_ci_u32_e64 v115, s16, v164, v19, s16
	v_add_co_u32 v4, s16, v4, -1
	s_delay_alu instid0(VALU_DEP_1) | instskip(SKIP_3) | instid1(VALU_DEP_2)
	v_cndmask_b32_e64 v18, 0, 1, s16
	flat_load_b32 v145, v[114:115]
	v_lshlrev_b32_e32 v19, 30, v20
	; wave barrier
	v_cmp_ne_u32_e64 s16, 0, v18
	v_not_b32_e32 v18, v19
	s_delay_alu instid0(VALU_DEP_2) | instskip(SKIP_1) | instid1(VALU_DEP_3)
	v_xor_b32_e32 v4, s16, v4
	v_cmp_gt_i32_e64 s16, 0, v19
	v_ashrrev_i32_e32 v18, 31, v18
	v_not_b32_e32 v19, v21
	s_delay_alu instid0(VALU_DEP_4) | instskip(NEXT) | instid1(VALU_DEP_3)
	v_and_b32_e32 v4, exec_lo, v4
	v_xor_b32_e32 v18, s16, v18
	v_cmp_gt_i32_e64 s16, 0, v21
	s_delay_alu instid0(VALU_DEP_4) | instskip(SKIP_1) | instid1(VALU_DEP_4)
	v_ashrrev_i32_e32 v19, 31, v19
	v_not_b32_e32 v21, v22
	v_and_b32_e32 v4, v4, v18
	v_lshlrev_b32_e32 v18, 27, v20
	s_delay_alu instid0(VALU_DEP_4) | instskip(SKIP_2) | instid1(VALU_DEP_4)
	v_xor_b32_e32 v19, s16, v19
	v_cmp_gt_i32_e64 s16, 0, v22
	v_ashrrev_i32_e32 v21, 31, v21
	v_not_b32_e32 v22, v18
	s_delay_alu instid0(VALU_DEP_4) | instskip(SKIP_1) | instid1(VALU_DEP_4)
	v_and_b32_e32 v4, v4, v19
	v_lshlrev_b32_e32 v19, 26, v20
	v_xor_b32_e32 v21, s16, v21
	v_cmp_gt_i32_e64 s16, 0, v18
	v_ashrrev_i32_e32 v18, 31, v22
	s_delay_alu instid0(VALU_DEP_4) | instskip(NEXT) | instid1(VALU_DEP_4)
	v_not_b32_e32 v22, v19
	v_and_b32_e32 v4, v4, v21
	v_lshlrev_b32_e32 v21, 25, v20
	s_delay_alu instid0(VALU_DEP_4) | instskip(SKIP_2) | instid1(VALU_DEP_4)
	v_xor_b32_e32 v18, s16, v18
	v_cmp_gt_i32_e64 s16, 0, v19
	v_ashrrev_i32_e32 v19, 31, v22
	v_not_b32_e32 v22, v21
	s_delay_alu instid0(VALU_DEP_4) | instskip(SKIP_1) | instid1(VALU_DEP_4)
	v_and_b32_e32 v4, v4, v18
	v_lshlrev_b32_e32 v18, 24, v20
	v_xor_b32_e32 v19, s16, v19
	v_cmp_gt_i32_e64 s16, 0, v21
	v_ashrrev_i32_e32 v20, 31, v22
	s_delay_alu instid0(VALU_DEP_4) | instskip(NEXT) | instid1(VALU_DEP_4)
	v_not_b32_e32 v21, v18
	v_and_b32_e32 v4, v4, v19
	s_delay_alu instid0(VALU_DEP_3) | instskip(SKIP_1) | instid1(VALU_DEP_4)
	v_xor_b32_e32 v19, s16, v20
	v_cmp_gt_i32_e64 s16, 0, v18
	v_ashrrev_i32_e32 v18, 31, v21
	s_delay_alu instid0(VALU_DEP_3) | instskip(NEXT) | instid1(VALU_DEP_2)
	v_and_b32_e32 v4, v4, v19
	v_xor_b32_e32 v18, s16, v18
	s_delay_alu instid0(VALU_DEP_1) | instskip(NEXT) | instid1(VALU_DEP_1)
	v_and_b32_e32 v4, v4, v18
	v_mbcnt_lo_u32_b32 v146, v4, 0
	v_cmp_ne_u32_e64 s17, 0, v4
	s_delay_alu instid0(VALU_DEP_2) | instskip(NEXT) | instid1(VALU_DEP_1)
	v_cmp_eq_u32_e64 s16, 0, v146
	s_and_b32 s17, s17, s16
	s_delay_alu instid0(SALU_CYCLE_1)
	s_and_saveexec_b32 s16, s17
	s_cbranch_execz .LBB504_188
; %bb.187:                              ;   in Loop: Header=BB504_172 Depth=1
	s_waitcnt vmcnt(0) lgkmcnt(0)
	v_bcnt_u32_b32 v4, v4, v145
	flat_store_b32 v[114:115], v4
.LBB504_188:                            ;   in Loop: Header=BB504_172 Depth=1
	s_or_b32 exec_lo, exec_lo, s16
	; wave barrier
	s_waitcnt vmcnt(0) lgkmcnt(0)
	s_waitcnt_vscnt null, 0x0
	s_barrier
	buffer_gl0_inv
	s_clause 0x1
	flat_load_b128 v[22:25], v[8:9] offset:32
	flat_load_b128 v[18:21], v[31:32] offset:16
	s_waitcnt vmcnt(1) lgkmcnt(1)
	v_add_nc_u32_e32 v4, v23, v22
	s_delay_alu instid0(VALU_DEP_1) | instskip(SKIP_1) | instid1(VALU_DEP_1)
	v_add3_u32 v4, v4, v24, v25
	s_waitcnt vmcnt(0) lgkmcnt(0)
	v_add3_u32 v4, v4, v18, v19
	s_delay_alu instid0(VALU_DEP_1) | instskip(NEXT) | instid1(VALU_DEP_1)
	v_add3_u32 v4, v4, v20, v21
	v_mov_b32_dpp v21, v4 row_shr:1 row_mask:0xf bank_mask:0xf
	s_delay_alu instid0(VALU_DEP_1) | instskip(NEXT) | instid1(VALU_DEP_1)
	v_cndmask_b32_e64 v21, v21, 0, vcc_lo
	v_add_nc_u32_e32 v4, v21, v4
	s_delay_alu instid0(VALU_DEP_1) | instskip(NEXT) | instid1(VALU_DEP_1)
	v_mov_b32_dpp v21, v4 row_shr:2 row_mask:0xf bank_mask:0xf
	v_cndmask_b32_e64 v21, 0, v21, s0
	s_delay_alu instid0(VALU_DEP_1) | instskip(NEXT) | instid1(VALU_DEP_1)
	v_add_nc_u32_e32 v4, v4, v21
	v_mov_b32_dpp v21, v4 row_shr:4 row_mask:0xf bank_mask:0xf
	s_delay_alu instid0(VALU_DEP_1) | instskip(NEXT) | instid1(VALU_DEP_1)
	v_cndmask_b32_e64 v21, 0, v21, s1
	v_add_nc_u32_e32 v4, v4, v21
	s_delay_alu instid0(VALU_DEP_1) | instskip(NEXT) | instid1(VALU_DEP_1)
	v_mov_b32_dpp v21, v4 row_shr:8 row_mask:0xf bank_mask:0xf
	v_cndmask_b32_e64 v21, 0, v21, s2
	s_delay_alu instid0(VALU_DEP_1) | instskip(SKIP_3) | instid1(VALU_DEP_1)
	v_add_nc_u32_e32 v4, v4, v21
	ds_swizzle_b32 v21, v4 offset:swizzle(BROADCAST,32,15)
	s_waitcnt lgkmcnt(0)
	v_cndmask_b32_e64 v21, v21, 0, s3
	v_add_nc_u32_e32 v4, v4, v21
	s_and_saveexec_b32 s16, s4
	s_cbranch_execz .LBB504_190
; %bb.189:                              ;   in Loop: Header=BB504_172 Depth=1
	flat_store_b32 v[35:36], v4
.LBB504_190:                            ;   in Loop: Header=BB504_172 Depth=1
	s_or_b32 exec_lo, exec_lo, s16
	s_waitcnt lgkmcnt(0)
	s_waitcnt_vscnt null, 0x0
	s_barrier
	buffer_gl0_inv
	s_and_saveexec_b32 s16, s5
	s_cbranch_execz .LBB504_192
; %bb.191:                              ;   in Loop: Header=BB504_172 Depth=1
	flat_load_b32 v21, v[33:34]
	s_waitcnt vmcnt(0) lgkmcnt(0)
	v_mov_b32_dpp v147, v21 row_shr:1 row_mask:0xf bank_mask:0xf
	s_delay_alu instid0(VALU_DEP_1) | instskip(NEXT) | instid1(VALU_DEP_1)
	v_cndmask_b32_e64 v147, v147, 0, s11
	v_add_nc_u32_e32 v21, v147, v21
	s_delay_alu instid0(VALU_DEP_1) | instskip(NEXT) | instid1(VALU_DEP_1)
	v_mov_b32_dpp v147, v21 row_shr:2 row_mask:0xf bank_mask:0xf
	v_cndmask_b32_e64 v147, 0, v147, s14
	s_delay_alu instid0(VALU_DEP_1) | instskip(NEXT) | instid1(VALU_DEP_1)
	v_add_nc_u32_e32 v21, v21, v147
	v_mov_b32_dpp v147, v21 row_shr:4 row_mask:0xf bank_mask:0xf
	s_delay_alu instid0(VALU_DEP_1) | instskip(NEXT) | instid1(VALU_DEP_1)
	v_cndmask_b32_e64 v147, 0, v147, s15
	v_add_nc_u32_e32 v21, v21, v147
	flat_store_b32 v[33:34], v21
.LBB504_192:                            ;   in Loop: Header=BB504_172 Depth=1
	s_or_b32 exec_lo, exec_lo, s16
	v_mov_b32_e32 v21, 0
	s_waitcnt lgkmcnt(0)
	s_waitcnt_vscnt null, 0x0
	s_barrier
	buffer_gl0_inv
	s_and_saveexec_b32 s16, s6
	s_cbranch_execz .LBB504_194
; %bb.193:                              ;   in Loop: Header=BB504_172 Depth=1
	flat_load_b32 v21, v[48:49]
.LBB504_194:                            ;   in Loop: Header=BB504_172 Depth=1
	s_or_b32 exec_lo, exec_lo, s16
	s_waitcnt vmcnt(0) lgkmcnt(0)
	v_add_nc_u32_e32 v4, v21, v4
	v_add_nc_u32_e32 v10, 8, v10
	s_mov_b32 s18, -1
                                        ; implicit-def: $vgpr199
                                        ; implicit-def: $vgpr198
                                        ; implicit-def: $vgpr196
                                        ; implicit-def: $vgpr195
                                        ; implicit-def: $vgpr194
                                        ; implicit-def: $vgpr193
                                        ; implicit-def: $vgpr192
                                        ; implicit-def: $vgpr197
	ds_bpermute_b32 v4, v166, v4
	s_waitcnt lgkmcnt(0)
	v_cndmask_b32_e64 v4, v4, v21, s7
	s_delay_alu instid0(VALU_DEP_1) | instskip(NEXT) | instid1(VALU_DEP_1)
	v_cndmask_b32_e64 v21, v4, 0, s10
	v_add_nc_u32_e32 v22, v21, v22
	s_delay_alu instid0(VALU_DEP_1) | instskip(NEXT) | instid1(VALU_DEP_1)
	v_add_nc_u32_e32 v23, v22, v23
	v_add_nc_u32_e32 v24, v23, v24
	s_delay_alu instid0(VALU_DEP_1) | instskip(NEXT) | instid1(VALU_DEP_1)
	v_add_nc_u32_e32 v147, v24, v25
	v_add_nc_u32_e32 v148, v147, v18
	s_delay_alu instid0(VALU_DEP_1) | instskip(SKIP_1) | instid1(VALU_DEP_2)
	v_add_nc_u32_e32 v149, v148, v19
	v_mov_b32_e32 v19, v5
	v_add_nc_u32_e32 v150, v149, v20
	s_clause 0x1
	flat_store_b128 v[8:9], v[21:24] offset:32
	flat_store_b128 v[31:32], v[147:150] offset:16
	v_mov_b32_e32 v21, v5
	s_waitcnt lgkmcnt(0)
	s_waitcnt_vscnt null, 0x0
	s_barrier
	buffer_gl0_inv
	s_clause 0x7
	flat_load_b32 v4, v[84:85]
	flat_load_b32 v18, v[86:87]
	;; [unrolled: 1-line block ×8, first 2 shown]
	v_mov_b32_e32 v25, v5
	v_mov_b32_e32 v23, v5
	;; [unrolled: 1-line block ×5, first 2 shown]
	v_cmp_lt_u32_e64 s16, v10, v11
	s_waitcnt vmcnt(0) lgkmcnt(0)
	s_waitcnt_vscnt null, 0x0
                                        ; implicit-def: $vgpr98_vgpr99
                                        ; implicit-def: $vgpr100_vgpr101
                                        ; implicit-def: $vgpr102_vgpr103
	s_waitcnt vmcnt(7) lgkmcnt(7)
	v_add_nc_u32_e32 v4, v4, v116
	s_waitcnt vmcnt(6) lgkmcnt(6)
	v_add3_u32 v18, v118, v117, v18
	s_waitcnt vmcnt(5) lgkmcnt(5)
	v_add3_u32 v20, v128, v119, v20
	;; [unrolled: 2-line block ×4, first 2 shown]
	v_lshlrev_b64 v[148:149], 2, v[4:5]
	s_waitcnt vmcnt(1) lgkmcnt(1)
	v_add3_u32 v86, v144, v135, v86
	s_waitcnt vmcnt(0) lgkmcnt(0)
	v_add3_u32 v96, v146, v145, v96
	v_lshlrev_b64 v[144:145], 2, v[18:19]
	v_add3_u32 v84, v134, v133, v84
	v_lshlrev_b64 v[134:135], 2, v[20:21]
	v_add_co_u32 v162, s17, v12, v148
	s_delay_alu instid0(VALU_DEP_1) | instskip(SKIP_2) | instid1(VALU_DEP_1)
	v_add_co_ci_u32_e64 v163, s17, v13, v149, s17
	v_lshlrev_b64 v[128:129], 2, v[22:23]
	v_add_co_u32 v160, s17, v12, v144
	v_add_co_ci_u32_e64 v161, s17, v13, v145, s17
	v_lshlrev_b64 v[114:115], 2, v[24:25]
	v_add_co_u32 v150, s17, v12, v134
	s_delay_alu instid0(VALU_DEP_1) | instskip(SKIP_2) | instid1(VALU_DEP_1)
	v_add_co_ci_u32_e64 v151, s17, v13, v135, s17
	v_lshlrev_b64 v[112:113], 2, v[84:85]
	v_add_co_u32 v146, s17, v12, v128
	v_add_co_ci_u32_e64 v147, s17, v13, v129, s17
	;; [unrolled: 7-line block ×3, first 2 shown]
	v_add_co_u32 v118, s17, v12, v20
	s_delay_alu instid0(VALU_DEP_1) | instskip(SKIP_1) | instid1(VALU_DEP_1)
	v_add_co_ci_u32_e64 v119, s17, v13, v21, s17
	v_add_co_u32 v116, s17, v12, v18
	v_add_co_ci_u32_e64 v117, s17, v13, v19, s17
                                        ; implicit-def: $vgpr22_vgpr23
                                        ; implicit-def: $vgpr24_vgpr25
                                        ; implicit-def: $vgpr84_vgpr85
                                        ; implicit-def: $vgpr86_vgpr87
                                        ; implicit-def: $vgpr96_vgpr97
	s_and_saveexec_b32 s17, s16
	s_cbranch_execz .LBB504_171
; %bb.195:                              ;   in Loop: Header=BB504_172 Depth=1
	v_add_co_u32 v22, s16, v162, v148
	s_delay_alu instid0(VALU_DEP_1) | instskip(SKIP_1) | instid1(VALU_DEP_1)
	v_add_co_ci_u32_e64 v23, s16, v163, v149, s16
	v_add_co_u32 v24, s16, v160, v144
	v_add_co_ci_u32_e64 v25, s16, v161, v145, s16
	v_add_co_u32 v84, s16, v150, v134
	s_delay_alu instid0(VALU_DEP_1)
	v_add_co_ci_u32_e64 v85, s16, v151, v135, s16
	s_barrier
	buffer_gl0_inv
	s_clause 0x7
	flat_store_b32 v[162:163], v176
	flat_store_b32 v[160:161], v183
	;; [unrolled: 1-line block ×8, first 2 shown]
	s_waitcnt lgkmcnt(0)
	s_waitcnt_vscnt null, 0x0
	s_barrier
	buffer_gl0_inv
	s_clause 0x7
	flat_load_b32 v197, v[37:38]
	flat_load_b32 v192, v[37:38] offset:128
	flat_load_b32 v193, v[37:38] offset:256
	;; [unrolled: 1-line block ×7, first 2 shown]
	s_waitcnt vmcnt(0) lgkmcnt(0)
	s_barrier
	buffer_gl0_inv
	s_clause 0x2
	flat_store_b64 v[22:23], v[82:83]
	flat_store_b64 v[24:25], v[80:81]
	;; [unrolled: 1-line block ×3, first 2 shown]
	v_add_co_u32 v22, s16, v146, v128
	s_delay_alu instid0(VALU_DEP_1) | instskip(SKIP_1) | instid1(VALU_DEP_1)
	v_add_co_ci_u32_e64 v23, s16, v147, v129, s16
	v_add_co_u32 v24, s16, v132, v114
	v_add_co_ci_u32_e64 v25, s16, v133, v115, s16
	v_add_co_u32 v84, s16, v130, v112
	s_delay_alu instid0(VALU_DEP_1) | instskip(SKIP_1) | instid1(VALU_DEP_1)
	v_add_co_ci_u32_e64 v85, s16, v131, v113, s16
	v_add_co_u32 v86, s16, v118, v20
	v_add_co_ci_u32_e64 v87, s16, v119, v21, s16
	v_add_co_u32 v96, s16, v116, v18
	s_delay_alu instid0(VALU_DEP_1)
	v_add_co_ci_u32_e64 v97, s16, v117, v19, s16
	s_clause 0x4
	flat_store_b64 v[22:23], v[68:69]
	flat_store_b64 v[24:25], v[66:67]
	;; [unrolled: 1-line block ×5, first 2 shown]
	s_waitcnt lgkmcnt(0)
	s_waitcnt_vscnt null, 0x0
	s_barrier
	buffer_gl0_inv
	s_clause 0x7
	flat_load_b64 v[22:23], v[50:51]
	flat_load_b64 v[24:25], v[50:51] offset:256
	flat_load_b64 v[84:85], v[50:51] offset:512
	flat_load_b64 v[86:87], v[50:51] offset:768
	flat_load_b64 v[96:97], v[50:51] offset:1024
	flat_load_b64 v[98:99], v[50:51] offset:1280
	flat_load_b64 v[100:101], v[50:51] offset:1536
	flat_load_b64 v[102:103], v[50:51] offset:1792
	v_add_nc_u32_e32 v167, -8, v167
	s_xor_b32 s18, exec_lo, -1
	s_waitcnt vmcnt(0) lgkmcnt(0)
	s_barrier
	buffer_gl0_inv
	s_branch .LBB504_171
.LBB504_196:
	flat_load_b64 v[162:163], v[4:5]
	s_or_b32 exec_lo, exec_lo, s19
                                        ; implicit-def: $vgpr164_vgpr165
	s_and_saveexec_b32 s19, s0
	s_cbranch_execz .LBB504_36
.LBB504_197:
	flat_load_b64 v[164:165], v[4:5] offset:256
	s_or_b32 exec_lo, exec_lo, s19
                                        ; implicit-def: $vgpr166_vgpr167
	s_and_saveexec_b32 s0, s1
	s_cbranch_execz .LBB504_37
.LBB504_198:
	flat_load_b64 v[166:167], v[4:5] offset:512
	s_or_b32 exec_lo, exec_lo, s0
                                        ; implicit-def: $vgpr176_vgpr177
	s_and_saveexec_b32 s0, s2
	s_cbranch_execz .LBB504_38
.LBB504_199:
	flat_load_b64 v[176:177], v[4:5] offset:768
	s_or_b32 exec_lo, exec_lo, s0
                                        ; implicit-def: $vgpr178_vgpr179
	s_and_saveexec_b32 s0, s3
	s_cbranch_execz .LBB504_39
.LBB504_200:
	flat_load_b64 v[178:179], v[4:5] offset:1024
	s_or_b32 exec_lo, exec_lo, s0
                                        ; implicit-def: $vgpr180_vgpr181
	s_and_saveexec_b32 s0, s4
	s_cbranch_execz .LBB504_40
.LBB504_201:
	flat_load_b64 v[180:181], v[4:5] offset:1280
	s_or_b32 exec_lo, exec_lo, s0
                                        ; implicit-def: $vgpr182_vgpr183
	s_and_saveexec_b32 s0, s5
	s_cbranch_execz .LBB504_41
.LBB504_202:
	flat_load_b64 v[182:183], v[4:5] offset:1536
	s_or_b32 exec_lo, exec_lo, s0
                                        ; implicit-def: $vgpr192_vgpr193
	s_and_saveexec_b32 s0, s6
	s_cbranch_execz .LBB504_42
.LBB504_203:
	flat_load_b64 v[192:193], v[4:5] offset:1792
	s_or_b32 exec_lo, exec_lo, s0
                                        ; implicit-def: $vgpr194_vgpr195
	s_and_saveexec_b32 s0, s7
	s_cbranch_execz .LBB504_43
.LBB504_204:
	flat_load_b64 v[194:195], v[4:5] offset:2048
	s_or_b32 exec_lo, exec_lo, s0
                                        ; implicit-def: $vgpr196_vgpr197
	s_and_saveexec_b32 s0, s10
	s_cbranch_execz .LBB504_44
.LBB504_205:
	flat_load_b64 v[196:197], v[4:5] offset:2304
	s_or_b32 exec_lo, exec_lo, s0
                                        ; implicit-def: $vgpr198_vgpr199
	s_and_saveexec_b32 s0, s11
	s_cbranch_execz .LBB504_45
.LBB504_206:
	flat_load_b64 v[198:199], v[4:5] offset:2560
	s_or_b32 exec_lo, exec_lo, s0
                                        ; implicit-def: $vgpr208_vgpr209
	s_and_saveexec_b32 s0, s14
	s_cbranch_execz .LBB504_46
.LBB504_207:
	flat_load_b64 v[208:209], v[4:5] offset:2816
	s_or_b32 exec_lo, exec_lo, s0
                                        ; implicit-def: $vgpr210_vgpr211
	s_and_saveexec_b32 s0, s15
	s_cbranch_execz .LBB504_47
.LBB504_208:
	flat_load_b64 v[210:211], v[4:5] offset:3072
	s_or_b32 exec_lo, exec_lo, s0
                                        ; implicit-def: $vgpr212_vgpr213
	s_and_saveexec_b32 s0, s16
	s_cbranch_execz .LBB504_48
.LBB504_209:
	flat_load_b64 v[212:213], v[4:5] offset:3328
	s_or_b32 exec_lo, exec_lo, s0
                                        ; implicit-def: $vgpr214_vgpr215
	s_and_saveexec_b32 s0, s17
	s_cbranch_execz .LBB504_49
.LBB504_210:
	flat_load_b64 v[214:215], v[4:5] offset:3584
	s_or_b32 exec_lo, exec_lo, s0
                                        ; implicit-def: $vgpr224_vgpr225
	s_and_saveexec_b32 s0, s18
	s_cbranch_execnz .LBB504_50
	s_branch .LBB504_51
.LBB504_211:
	flat_store_b64 v[0:1], v[50:51]
	s_or_b32 exec_lo, exec_lo, s19
	s_and_saveexec_b32 s19, s0
	s_cbranch_execz .LBB504_127
.LBB504_212:
	flat_store_b64 v[0:1], v[48:49] offset:2048
	s_or_b32 exec_lo, exec_lo, s19
	s_and_saveexec_b32 s0, s3
	s_cbranch_execz .LBB504_128
.LBB504_213:
	v_add_co_u32 v2, vcc_lo, 0x1000, v0
	v_add_co_ci_u32_e32 v3, vcc_lo, 0, v1, vcc_lo
	flat_store_b64 v[2:3], v[37:38]
	s_or_b32 exec_lo, exec_lo, s0
	s_and_saveexec_b32 s0, s2
	s_cbranch_execz .LBB504_129
.LBB504_214:
	v_add_co_u32 v2, vcc_lo, 0x1000, v0
	v_add_co_ci_u32_e32 v3, vcc_lo, 0, v1, vcc_lo
	flat_store_b64 v[2:3], v[35:36] offset:2048
	s_or_b32 exec_lo, exec_lo, s0
	s_and_saveexec_b32 s0, s1
	s_cbranch_execz .LBB504_130
.LBB504_215:
	v_add_co_u32 v2, vcc_lo, 0x2000, v0
	v_add_co_ci_u32_e32 v3, vcc_lo, 0, v1, vcc_lo
	flat_store_b64 v[2:3], v[33:34]
	s_or_b32 exec_lo, exec_lo, s0
	s_and_saveexec_b32 s0, s4
	s_cbranch_execz .LBB504_131
.LBB504_216:
	v_add_co_u32 v2, vcc_lo, 0x2000, v0
	v_add_co_ci_u32_e32 v3, vcc_lo, 0, v1, vcc_lo
	flat_store_b64 v[2:3], v[24:25] offset:2048
	s_or_b32 exec_lo, exec_lo, s0
	s_and_saveexec_b32 s0, s5
	s_cbranch_execz .LBB504_132
.LBB504_217:
	v_add_co_u32 v2, vcc_lo, 0x3000, v0
	v_add_co_ci_u32_e32 v3, vcc_lo, 0, v1, vcc_lo
	flat_store_b64 v[2:3], v[20:21]
	s_or_b32 exec_lo, exec_lo, s0
	s_and_saveexec_b32 s0, s6
	s_cbranch_execz .LBB504_133
.LBB504_218:
	v_add_co_u32 v2, vcc_lo, 0x3000, v0
	v_add_co_ci_u32_e32 v3, vcc_lo, 0, v1, vcc_lo
	flat_store_b64 v[2:3], v[16:17] offset:2048
	s_or_b32 exec_lo, exec_lo, s0
	s_and_saveexec_b32 s0, s7
	s_cbranch_execz .LBB504_134
.LBB504_219:
	v_add_co_u32 v2, vcc_lo, 0x4000, v0
	v_add_co_ci_u32_e32 v3, vcc_lo, 0, v1, vcc_lo
	flat_store_b64 v[2:3], v[31:32]
	s_or_b32 exec_lo, exec_lo, s0
	s_and_saveexec_b32 s0, s10
	s_cbranch_execz .LBB504_135
.LBB504_220:
	v_add_co_u32 v2, vcc_lo, 0x4000, v0
	v_add_co_ci_u32_e32 v3, vcc_lo, 0, v1, vcc_lo
	flat_store_b64 v[2:3], v[22:23] offset:2048
	s_or_b32 exec_lo, exec_lo, s0
	s_and_saveexec_b32 s0, s11
	s_cbranch_execz .LBB504_136
.LBB504_221:
	v_add_co_u32 v2, vcc_lo, 0x5000, v0
	v_add_co_ci_u32_e32 v3, vcc_lo, 0, v1, vcc_lo
	flat_store_b64 v[2:3], v[18:19]
	s_or_b32 exec_lo, exec_lo, s0
	s_and_saveexec_b32 s0, s14
	s_cbranch_execz .LBB504_137
.LBB504_222:
	v_add_co_u32 v2, vcc_lo, 0x5000, v0
	v_add_co_ci_u32_e32 v3, vcc_lo, 0, v1, vcc_lo
	flat_store_b64 v[2:3], v[14:15] offset:2048
	s_or_b32 exec_lo, exec_lo, s0
	s_and_saveexec_b32 s0, s15
	s_cbranch_execz .LBB504_138
.LBB504_223:
	v_add_co_u32 v2, vcc_lo, 0x6000, v0
	v_add_co_ci_u32_e32 v3, vcc_lo, 0, v1, vcc_lo
	flat_store_b64 v[2:3], v[12:13]
	s_or_b32 exec_lo, exec_lo, s0
	s_and_saveexec_b32 s0, s16
	s_cbranch_execz .LBB504_139
.LBB504_224:
	v_add_co_u32 v2, vcc_lo, 0x6000, v0
	v_add_co_ci_u32_e32 v3, vcc_lo, 0, v1, vcc_lo
	flat_store_b64 v[2:3], v[10:11] offset:2048
	s_or_b32 exec_lo, exec_lo, s0
	s_and_saveexec_b32 s0, s17
	s_cbranch_execz .LBB504_140
.LBB504_225:
	v_add_co_u32 v2, vcc_lo, 0x7000, v0
	v_add_co_ci_u32_e32 v3, vcc_lo, 0, v1, vcc_lo
	flat_store_b64 v[2:3], v[8:9]
	s_or_b32 exec_lo, exec_lo, s0
	s_and_saveexec_b32 s0, s18
	s_cbranch_execnz .LBB504_141
	s_branch .LBB504_142
.LBB504_226:
	s_or_b32 exec_lo, exec_lo, s20
	v_or_b32_e32 v37, 0x1000, v28
	s_barrier
	buffer_gl0_inv
	s_clause 0x7
	flat_store_b32 v[162:163], v176
	flat_store_b32 v[160:161], v183
	;; [unrolled: 1-line block ×8, first 2 shown]
	s_waitcnt lgkmcnt(0)
	s_waitcnt_vscnt null, 0x0
	v_add_co_u32 v4, vcc_lo, v12, v37
	v_add_co_ci_u32_e32 v5, vcc_lo, 0, v13, vcc_lo
	v_add_co_u32 v38, vcc_lo, 0x1400, v33
	v_add_co_ci_u32_e32 v39, vcc_lo, 0, v34, vcc_lo
	;; [unrolled: 2-line block ×5, first 2 shown]
	s_barrier
	buffer_gl0_inv
	s_clause 0x7
	flat_load_b32 v36, v[33:34]
	flat_load_b32 v35, v[33:34] offset:1024
	flat_load_b32 v32, v[33:34] offset:2048
	;; [unrolled: 1-line block ×3, first 2 shown]
	flat_load_b32 v25, v[4:5]
	flat_load_b32 v24, v[8:9] offset:1024
	flat_load_b32 v23, v[8:9] offset:2048
	;; [unrolled: 1-line block ×3, first 2 shown]
	v_add_co_u32 v8, vcc_lo, v162, v148
	v_add_co_ci_u32_e32 v9, vcc_lo, v163, v149, vcc_lo
	v_add_co_u32 v10, vcc_lo, v160, v144
	v_add_co_ci_u32_e32 v11, vcc_lo, v161, v145, vcc_lo
	;; [unrolled: 2-line block ×4, first 2 shown]
	s_waitcnt vmcnt(0) lgkmcnt(0)
	s_barrier
	buffer_gl0_inv
	s_clause 0x3
	flat_store_b64 v[8:9], v[82:83]
	flat_store_b64 v[10:11], v[80:81]
	;; [unrolled: 1-line block ×4, first 2 shown]
	v_add_co_u32 v8, vcc_lo, v132, v114
	v_add_co_ci_u32_e32 v9, vcc_lo, v133, v115, vcc_lo
	v_add_co_u32 v10, vcc_lo, v130, v112
	v_add_co_ci_u32_e32 v11, vcc_lo, v131, v113, vcc_lo
	;; [unrolled: 2-line block ×3, first 2 shown]
	s_clause 0x2
	flat_store_b64 v[8:9], v[66:67]
	flat_store_b64 v[10:11], v[64:65]
	flat_store_b64 v[14:15], v[54:55]
	v_lshlrev_b32_e32 v8, 3, v26
	v_add_co_u32 v16, vcc_lo, v116, v18
	v_add_co_ci_u32_e32 v17, vcc_lo, v117, v19, vcc_lo
	s_delay_alu instid0(VALU_DEP_3) | instskip(SKIP_2) | instid1(VALU_DEP_3)
	v_add_co_u32 v8, vcc_lo, v12, v8
	v_add_co_ci_u32_e32 v9, vcc_lo, 0, v13, vcc_lo
	v_add_nc_u32_e32 v12, 0x1400, v28
	v_add_co_u32 v10, vcc_lo, 0x1000, v8
	s_delay_alu instid0(VALU_DEP_3)
	v_add_co_ci_u32_e32 v11, vcc_lo, 0, v9, vcc_lo
	v_add_co_u32 v4, vcc_lo, v4, v37
	v_add_nc_u32_e32 v13, 0x1800, v28
	v_add_co_ci_u32_e32 v5, vcc_lo, 0, v5, vcc_lo
	v_add_co_u32 v33, vcc_lo, v38, v12
	v_add_nc_u32_e32 v12, 0x1c00, v28
	v_mov_b32_e32 v28, 0
	v_add_co_ci_u32_e32 v34, vcc_lo, 0, v39, vcc_lo
	v_add_co_u32 v37, vcc_lo, v48, v13
	v_add_co_ci_u32_e32 v38, vcc_lo, 0, v49, vcc_lo
	v_add_co_u32 v48, vcc_lo, v50, v12
	flat_store_b64 v[16:17], v[52:53]
	s_waitcnt lgkmcnt(0)
	s_waitcnt_vscnt null, 0x0
	s_barrier
	buffer_gl0_inv
	v_add_co_ci_u32_e32 v49, vcc_lo, 0, v51, vcc_lo
	s_clause 0x7
	flat_load_b64 v[20:21], v[8:9]
	flat_load_b64 v[18:19], v[8:9] offset:2048
	flat_load_b64 v[16:17], v[10:11]
	flat_load_b64 v[14:15], v[10:11] offset:2048
	flat_load_b64 v[12:13], v[4:5]
	flat_load_b64 v[10:11], v[33:34]
	;; [unrolled: 1-line block ×4, first 2 shown]
	v_lshlrev_b64 v[33:34], 2, v[27:28]
	v_add_co_u32 v2, vcc_lo, v2, v29
	v_add_co_ci_u32_e32 v3, vcc_lo, v3, v30, vcc_lo
	s_waitcnt vmcnt(0) lgkmcnt(0)
	s_delay_alu instid0(VALU_DEP_2) | instskip(NEXT) | instid1(VALU_DEP_2)
	v_add_co_u32 v2, vcc_lo, v2, v33
	v_add_co_ci_u32_e32 v3, vcc_lo, v3, v34, vcc_lo
	v_cmp_lt_u32_e32 vcc_lo, v27, v47
	s_barrier
	buffer_gl0_inv
	s_and_saveexec_b32 s0, vcc_lo
	s_cbranch_execz .LBB504_228
; %bb.227:
	v_xor_b32_e32 v26, 0x7fffffff, v36
	flat_store_b32 v[2:3], v26
.LBB504_228:
	s_or_b32 exec_lo, exec_lo, s0
	v_add_nc_u32_e32 v26, 0x100, v27
	s_delay_alu instid0(VALU_DEP_1) | instskip(NEXT) | instid1(VALU_DEP_1)
	v_cmp_lt_u32_e64 s0, v26, v47
	s_and_saveexec_b32 s1, s0
	s_cbranch_execz .LBB504_230
; %bb.229:
	v_xor_b32_e32 v26, 0x7fffffff, v35
	flat_store_b32 v[2:3], v26 offset:1024
.LBB504_230:
	s_or_b32 exec_lo, exec_lo, s1
	v_add_nc_u32_e32 v26, 0x200, v27
	s_delay_alu instid0(VALU_DEP_1) | instskip(NEXT) | instid1(VALU_DEP_1)
	v_cmp_lt_u32_e64 s3, v26, v47
	s_and_saveexec_b32 s1, s3
	s_cbranch_execz .LBB504_232
; %bb.231:
	v_xor_b32_e32 v26, 0x7fffffff, v32
	flat_store_b32 v[2:3], v26 offset:2048
.LBB504_232:
	;; [unrolled: 10-line block ×3, first 2 shown]
	s_or_b32 exec_lo, exec_lo, s1
	v_add_nc_u32_e32 v26, 0x400, v27
	s_delay_alu instid0(VALU_DEP_1) | instskip(NEXT) | instid1(VALU_DEP_1)
	v_cmp_lt_u32_e64 s1, v26, v47
	s_and_saveexec_b32 s5, s1
	s_cbranch_execz .LBB504_236
; %bb.235:
	v_xor_b32_e32 v29, 0x7fffffff, v25
	v_add_co_u32 v25, s4, 0x1000, v2
	s_delay_alu instid0(VALU_DEP_1)
	v_add_co_ci_u32_e64 v26, s4, 0, v3, s4
	flat_store_b32 v[25:26], v29
.LBB504_236:
	s_or_b32 exec_lo, exec_lo, s5
	v_add_nc_u32_e32 v25, 0x500, v27
	s_delay_alu instid0(VALU_DEP_1) | instskip(NEXT) | instid1(VALU_DEP_1)
	v_cmp_lt_u32_e64 s4, v25, v47
	s_and_saveexec_b32 s6, s4
	s_cbranch_execz .LBB504_238
; %bb.237:
	v_xor_b32_e32 v26, 0x7fffffff, v24
	v_add_co_u32 v24, s5, 0x1000, v2
	s_delay_alu instid0(VALU_DEP_1)
	v_add_co_ci_u32_e64 v25, s5, 0, v3, s5
	flat_store_b32 v[24:25], v26 offset:1024
.LBB504_238:
	s_or_b32 exec_lo, exec_lo, s6
	v_add_nc_u32_e32 v24, 0x600, v27
	s_delay_alu instid0(VALU_DEP_1) | instskip(NEXT) | instid1(VALU_DEP_1)
	v_cmp_lt_u32_e64 s5, v24, v47
	s_and_saveexec_b32 s7, s5
	s_cbranch_execz .LBB504_240
; %bb.239:
	v_xor_b32_e32 v25, 0x7fffffff, v23
	v_add_co_u32 v23, s6, 0x1000, v2
	s_delay_alu instid0(VALU_DEP_1)
	v_add_co_ci_u32_e64 v24, s6, 0, v3, s6
	flat_store_b32 v[23:24], v25 offset:2048
.LBB504_240:
	s_or_b32 exec_lo, exec_lo, s7
	v_add_nc_u32_e32 v23, 0x700, v27
	s_delay_alu instid0(VALU_DEP_1) | instskip(NEXT) | instid1(VALU_DEP_1)
	v_cmp_lt_u32_e64 s6, v23, v47
	s_and_saveexec_b32 s10, s6
	s_cbranch_execz .LBB504_242
; %bb.241:
	v_add_co_u32 v2, s7, 0x1000, v2
	v_xor_b32_e32 v22, 0x7fffffff, v22
	v_add_co_ci_u32_e64 v3, s7, 0, v3, s7
	flat_store_b32 v[2:3], v22 offset:3072
.LBB504_242:
	s_or_b32 exec_lo, exec_lo, s10
	v_lshlrev_b64 v[2:3], 3, v[27:28]
	v_add_co_u32 v0, s7, v6, v0
	s_delay_alu instid0(VALU_DEP_1) | instskip(NEXT) | instid1(VALU_DEP_2)
	v_add_co_ci_u32_e64 v1, s7, v7, v1, s7
	v_add_co_u32 v0, s7, v0, v2
	s_delay_alu instid0(VALU_DEP_1)
	v_add_co_ci_u32_e64 v1, s7, v1, v3, s7
	s_and_saveexec_b32 s7, vcc_lo
	s_cbranch_execnz .LBB504_292
; %bb.243:
	s_or_b32 exec_lo, exec_lo, s7
	s_and_saveexec_b32 s7, s0
	s_cbranch_execnz .LBB504_293
.LBB504_244:
	s_or_b32 exec_lo, exec_lo, s7
	s_and_saveexec_b32 s0, s3
	s_cbranch_execnz .LBB504_294
.LBB504_245:
	s_or_b32 exec_lo, exec_lo, s0
	s_and_saveexec_b32 s0, s2
	s_cbranch_execnz .LBB504_295
.LBB504_246:
	s_or_b32 exec_lo, exec_lo, s0
	s_and_saveexec_b32 s0, s1
	s_cbranch_execnz .LBB504_296
.LBB504_247:
	s_or_b32 exec_lo, exec_lo, s0
	s_and_saveexec_b32 s0, s4
	s_cbranch_execnz .LBB504_297
.LBB504_248:
	s_or_b32 exec_lo, exec_lo, s0
	s_and_saveexec_b32 s0, s5
	s_cbranch_execnz .LBB504_298
.LBB504_249:
	s_or_b32 exec_lo, exec_lo, s0
	s_and_saveexec_b32 s0, s6
	s_cbranch_execz .LBB504_251
.LBB504_250:
	v_add_co_u32 v0, vcc_lo, 0x3000, v0
	v_add_co_ci_u32_e32 v1, vcc_lo, 0, v1, vcc_lo
	flat_store_b64 v[0:1], v[4:5] offset:2048
.LBB504_251:
	s_or_b32 exec_lo, exec_lo, s0
                                        ; implicit-def: $vgpr47
                                        ; implicit-def: $vgpr0
                                        ; implicit-def: $vgpr1
                                        ; implicit-def: $vgpr2
                                        ; implicit-def: $vgpr3
                                        ; implicit-def: $vgpr4
                                        ; implicit-def: $vgpr5
                                        ; implicit-def: $vgpr6
                                        ; implicit-def: $vgpr7
                                        ; implicit-def: $vgpr8
                                        ; implicit-def: $vgpr10
                                        ; implicit-def: $vgpr11
                                        ; implicit-def: $vgpr12
                                        ; implicit-def: $vgpr13
                                        ; implicit-def: $vgpr14
                                        ; implicit-def: $vgpr15
                                        ; implicit-def: $vgpr26
                                        ; implicit-def: $vgpr37
.LBB504_252:
	s_and_not1_saveexec_b32 s0, s19
	s_cbranch_execz .LBB504_372
; %bb.253:
	s_mov_b32 s0, exec_lo
	v_cmpx_lt_u32_e32 0x200, v47
	s_xor_b32 s19, exec_lo, s0
	s_cbranch_execz .LBB504_313
; %bb.254:
	s_load_b64 s[0:1], s[8:9], 0x0
	v_mov_b32_e32 v9, 0
	s_brev_b32 s4, 1
	s_delay_alu instid0(SALU_CYCLE_1)
	s_mov_b32 s5, s4
	s_mov_b32 s6, s4
	;; [unrolled: 1-line block ×3, first 2 shown]
	s_waitcnt lgkmcnt(0)
	s_cmp_lt_u32 s13, s1
	s_cselect_b32 s1, 14, 20
	s_delay_alu instid0(SALU_CYCLE_1) | instskip(SKIP_4) | instid1(SALU_CYCLE_1)
	s_add_u32 s2, s8, s1
	s_addc_u32 s3, s9, 0
	s_cmp_lt_u32 s12, s0
	global_load_u16 v16, v9, s[2:3]
	s_cselect_b32 s0, 12, 18
	s_add_u32 s0, s8, s0
	s_addc_u32 s1, s9, 0
	global_load_u16 v17, v9, s[0:1]
	s_waitcnt vmcnt(1)
	v_mad_u32_u24 v14, v15, v16, v14
	s_waitcnt vmcnt(0)
	s_delay_alu instid0(VALU_DEP_1) | instskip(SKIP_2) | instid1(VALU_DEP_3)
	v_mad_u64_u32 v[27:28], null, v14, v17, v[26:27]
	v_lshlrev_b32_e32 v14, 2, v37
	v_lshlrev_b64 v[29:30], 2, v[8:9]
	v_lshlrev_b32_e32 v15, 2, v27
	s_delay_alu instid0(VALU_DEP_1) | instskip(NEXT) | instid1(VALU_DEP_3)
	v_dual_mov_b32 v19, v9 :: v_dual_and_b32 v18, 0xffffff80, v15
	v_add_co_u32 v15, vcc_lo, v0, v29
	s_delay_alu instid0(VALU_DEP_4) | instskip(NEXT) | instid1(VALU_DEP_3)
	v_add_co_ci_u32_e32 v16, vcc_lo, v1, v30, vcc_lo
	v_lshlrev_b64 v[0:1], 2, v[18:19]
	s_delay_alu instid0(VALU_DEP_3) | instskip(NEXT) | instid1(VALU_DEP_3)
	v_add_co_u32 v14, vcc_lo, v15, v14
	v_add_co_ci_u32_e32 v15, vcc_lo, 0, v16, vcc_lo
	v_or_b32_e32 v20, v18, v37
	s_delay_alu instid0(VALU_DEP_3) | instskip(NEXT) | instid1(VALU_DEP_1)
	v_add_co_u32 v0, s0, v14, v0
	v_add_co_ci_u32_e64 v1, s0, v15, v1, s0
	v_dual_mov_b32 v17, s7 :: v_dual_mov_b32 v14, s4
	s_delay_alu instid0(VALU_DEP_4)
	v_cmp_lt_u32_e32 vcc_lo, v20, v47
	v_dual_mov_b32 v16, s6 :: v_dual_mov_b32 v15, s5
	s_and_saveexec_b32 s0, vcc_lo
	s_cbranch_execz .LBB504_256
; %bb.255:
	flat_load_b32 v14, v[0:1]
	v_bfrev_b32_e32 v15, 1
	s_delay_alu instid0(VALU_DEP_1)
	v_mov_b32_e32 v16, v15
	v_mov_b32_e32 v17, v15
.LBB504_256:
	s_or_b32 exec_lo, exec_lo, s0
	v_or_b32_e32 v21, 32, v20
	s_delay_alu instid0(VALU_DEP_1) | instskip(NEXT) | instid1(VALU_DEP_1)
	v_cmp_lt_u32_e64 s0, v21, v47
	s_and_saveexec_b32 s1, s0
	s_cbranch_execz .LBB504_258
; %bb.257:
	flat_load_b32 v15, v[0:1] offset:128
.LBB504_258:
	s_or_b32 exec_lo, exec_lo, s1
	v_or_b32_e32 v21, 64, v20
	s_delay_alu instid0(VALU_DEP_1) | instskip(NEXT) | instid1(VALU_DEP_1)
	v_cmp_lt_u32_e64 s1, v21, v47
	s_and_saveexec_b32 s2, s1
	s_cbranch_execz .LBB504_260
; %bb.259:
	flat_load_b32 v16, v[0:1] offset:256
.LBB504_260:
	;; [unrolled: 9-line block ×3, first 2 shown]
	s_or_b32 exec_lo, exec_lo, s3
	v_lshlrev_b64 v[0:1], 3, v[8:9]
	v_lshlrev_b32_e32 v8, 3, v37
	s_delay_alu instid0(VALU_DEP_2) | instskip(NEXT) | instid1(VALU_DEP_1)
	v_add_co_u32 v9, s3, v4, v0
	v_add_co_ci_u32_e64 v20, s3, v5, v1, s3
	v_lshlrev_b64 v[4:5], 3, v[18:19]
	s_delay_alu instid0(VALU_DEP_3) | instskip(NEXT) | instid1(VALU_DEP_1)
	v_add_co_u32 v8, s3, v9, v8
	v_add_co_ci_u32_e64 v9, s3, 0, v20, s3
                                        ; implicit-def: $vgpr18_vgpr19
	s_delay_alu instid0(VALU_DEP_2) | instskip(NEXT) | instid1(VALU_DEP_1)
	v_add_co_u32 v4, s3, v8, v4
	v_add_co_ci_u32_e64 v5, s3, v9, v5, s3
	s_and_saveexec_b32 s3, vcc_lo
	s_cbranch_execnz .LBB504_337
; %bb.263:
	s_or_b32 exec_lo, exec_lo, s3
                                        ; implicit-def: $vgpr20_vgpr21
	s_and_saveexec_b32 s3, s0
	s_cbranch_execnz .LBB504_338
.LBB504_264:
	s_or_b32 exec_lo, exec_lo, s3
                                        ; implicit-def: $vgpr22_vgpr23
	s_and_saveexec_b32 s0, s1
	s_cbranch_execnz .LBB504_339
.LBB504_265:
	s_or_b32 exec_lo, exec_lo, s0
                                        ; implicit-def: $vgpr24_vgpr25
	s_and_saveexec_b32 s0, s2
	s_cbranch_execz .LBB504_267
.LBB504_266:
	flat_load_b64 v[24:25], v[4:5] offset:768
.LBB504_267:
	s_or_b32 exec_lo, exec_lo, s0
	s_mov_b32 s20, 0
	v_dual_mov_b32 v5, 0 :: v_dual_lshlrev_b32 v4, 5, v26
	s_waitcnt vmcnt(0) lgkmcnt(0)
	v_xor_b32_e32 v116, 0x7fffffff, v16
	s_mov_b32 s21, s20
	s_mov_b32 s22, s20
	;; [unrolled: 1-line block ×3, first 2 shown]
	v_add_nc_u32_e32 v16, -1, v37
	v_add_co_u32 v28, vcc_lo, v12, 32
	v_xor_b32_e32 v115, 0x7fffffff, v15
	v_and_b32_e32 v15, 0x3e0, v26
	v_add_co_ci_u32_e32 v39, vcc_lo, 0, v13, vcc_lo
	v_add_co_u32 v8, vcc_lo, v12, v4
	v_xor_b32_e32 v118, 0x7fffffff, v14
	v_and_b32_e32 v14, 15, v37
	v_cmp_gt_i32_e64 s4, 0, v16
	v_add_co_ci_u32_e32 v9, vcc_lo, 0, v13, vcc_lo
	v_add_co_u32 v31, vcc_lo, v28, v4
	v_min_u32_e32 v4, 0xe0, v15
	v_and_b32_e32 v15, 16, v37
	s_getpc_b64 s[0:1]
	s_add_u32 s0, s0, _ZN7rocprim17ROCPRIM_400000_NS16block_radix_sortIiLj256ELj4ElLj1ELj1ELj8ELNS0_26block_radix_rank_algorithmE2ELNS0_18block_padding_hintE2ELNS0_4arch9wavefront6targetE0EE19radix_bits_per_passE@rel32@lo+4
	s_addc_u32 s1, s1, _ZN7rocprim17ROCPRIM_400000_NS16block_radix_sortIiLj256ELj4ElLj1ELj1ELj8ELNS0_26block_radix_rank_algorithmE2ELNS0_18block_padding_hintE2ELNS0_4arch9wavefront6targetE0EE19radix_bits_per_passE@rel32@hi+12
	v_add_co_ci_u32_e32 v32, vcc_lo, 0, v39, vcc_lo
	s_load_b32 s25, s[0:1], 0x0
	v_cmp_eq_u32_e32 vcc_lo, 0, v14
	v_cmp_lt_u32_e64 s0, 1, v14
	v_cmp_lt_u32_e64 s1, 3, v14
	;; [unrolled: 1-line block ×3, first 2 shown]
	v_cndmask_b32_e64 v14, v16, v37, s4
	v_or_b32_e32 v4, 31, v4
	v_cmp_eq_u32_e64 s3, 0, v15
	v_lshrrev_b32_e32 v15, 5, v26
	v_xor_b32_e32 v117, 0x7fffffff, v17
	v_lshlrev_b32_e32 v101, 2, v14
	v_lshlrev_b32_e32 v14, 2, v26
	v_cmp_eq_u32_e64 s4, v4, v26
	v_lshlrev_b32_e32 v4, 2, v15
	v_cmp_eq_u32_e64 s7, 0, v37
	v_and_b32_e32 v16, 7, v37
	v_and_or_b32 v17, 0xf80, v14, v37
	v_lshrrev_b32_e32 v100, 5, v27
	v_add_co_u32 v33, s11, v12, v4
	v_add_nc_u32_e32 v4, -1, v15
	s_delay_alu instid0(VALU_DEP_4) | instskip(SKIP_2) | instid1(VALU_DEP_4)
	v_lshlrev_b32_e32 v17, 2, v17
	v_add_co_ci_u32_e64 v34, s11, 0, v13, s11
	v_add_co_u32 v35, s11, v12, v14
	v_lshlrev_b64 v[14:15], 2, v[4:5]
	s_delay_alu instid0(VALU_DEP_4) | instskip(NEXT) | instid1(VALU_DEP_1)
	v_add_co_u32 v37, s16, v12, v17
	v_add_co_ci_u32_e64 v38, s16, 0, v13, s16
	v_add_co_ci_u32_e64 v36, s11, 0, v13, s11
	s_delay_alu instid0(VALU_DEP_4) | instskip(NEXT) | instid1(VALU_DEP_1)
	v_add_co_u32 v48, s16, v12, v14
	v_add_co_ci_u32_e64 v49, s16, v13, v15, s16
	v_add_co_u32 v50, s16, v37, v17
	v_cmp_eq_u32_e64 s11, 0, v16
	v_cmp_lt_u32_e64 s14, 1, v16
	v_cmp_lt_u32_e64 s15, 3, v16
	v_mov_b32_e32 v14, s20
	v_cmp_gt_u32_e64 s5, 8, v26
	v_cmp_lt_u32_e64 s6, 31, v26
	v_cmp_eq_u32_e64 s10, 0, v26
	v_add_co_ci_u32_e64 v51, s16, 0, v38, s16
	v_sub_nc_u32_e32 v102, v11, v10
	v_dual_mov_b32 v15, s21 :: v_dual_mov_b32 v16, s22
	v_mov_b32_e32 v17, s23
	s_waitcnt lgkmcnt(0)
	s_waitcnt_vscnt null, 0x0
	s_barrier
	buffer_gl0_inv
	s_branch .LBB504_269
.LBB504_268:                            ;   in Loop: Header=BB504_269 Depth=1
	s_or_b32 exec_lo, exec_lo, s17
	s_delay_alu instid0(SALU_CYCLE_1) | instskip(NEXT) | instid1(SALU_CYCLE_1)
	s_and_b32 s16, exec_lo, s18
	s_or_b32 s20, s16, s20
	s_delay_alu instid0(SALU_CYCLE_1)
	s_and_not1_b32 exec_lo, exec_lo, s20
	s_cbranch_execz .LBB504_299
.LBB504_269:                            ; =>This Inner Loop Header: Depth=1
	v_min_u32_e32 v4, s25, v102
	s_clause 0x1
	flat_store_b128 v[8:9], v[14:17] offset:32
	flat_store_b128 v[31:32], v[14:17] offset:16
	s_waitcnt lgkmcnt(0)
	s_waitcnt_vscnt null, 0x0
	s_barrier
	buffer_gl0_inv
	v_lshlrev_b32_e64 v4, v4, -1
	; wave barrier
	v_dual_mov_b32 v113, v116 :: v_dual_mov_b32 v112, v117
	s_delay_alu instid0(VALU_DEP_2) | instskip(SKIP_1) | instid1(VALU_DEP_1)
	v_not_b32_e32 v82, v4
	v_dual_mov_b32 v103, v118 :: v_dual_mov_b32 v114, v115
	v_lshrrev_b32_e32 v52, v10, v103
	s_delay_alu instid0(VALU_DEP_1) | instskip(NEXT) | instid1(VALU_DEP_1)
	v_and_b32_e32 v4, v52, v82
	v_and_b32_e32 v52, 1, v4
	v_lshlrev_b32_e32 v53, 30, v4
	v_lshlrev_b32_e32 v54, 29, v4
	;; [unrolled: 1-line block ×4, first 2 shown]
	v_add_co_u32 v52, s16, v52, -1
	s_delay_alu instid0(VALU_DEP_1)
	v_cndmask_b32_e64 v64, 0, 1, s16
	v_not_b32_e32 v68, v53
	v_cmp_gt_i32_e64 s17, 0, v53
	v_not_b32_e32 v53, v54
	v_lshlrev_b32_e32 v66, 26, v4
	v_cmp_ne_u32_e64 s16, 0, v64
	v_ashrrev_i32_e32 v68, 31, v68
	v_lshlrev_b32_e32 v64, 24, v4
	v_ashrrev_i32_e32 v53, 31, v53
	v_lshlrev_b32_e32 v67, 25, v4
	v_xor_b32_e32 v52, s16, v52
	v_cmp_gt_i32_e64 s16, 0, v54
	v_not_b32_e32 v54, v55
	v_xor_b32_e32 v68, s17, v68
	v_cmp_gt_i32_e64 s17, 0, v55
	v_and_b32_e32 v52, exec_lo, v52
	v_xor_b32_e32 v53, s16, v53
	v_ashrrev_i32_e32 v54, 31, v54
	v_not_b32_e32 v55, v65
	v_cmp_gt_i32_e64 s16, 0, v65
	v_and_b32_e32 v52, v52, v68
	v_not_b32_e32 v65, v66
	v_xor_b32_e32 v54, s17, v54
	v_ashrrev_i32_e32 v55, 31, v55
	v_cmp_gt_i32_e64 s17, 0, v66
	v_and_b32_e32 v52, v52, v53
	v_ashrrev_i32_e32 v65, 31, v65
	v_lshl_add_u32 v4, v4, 3, v100
	v_xor_b32_e32 v55, s16, v55
	s_delay_alu instid0(VALU_DEP_4) | instskip(SKIP_3) | instid1(VALU_DEP_4)
	v_and_b32_e32 v52, v52, v54
	v_not_b32_e32 v54, v64
	v_xor_b32_e32 v65, s17, v65
	v_cmp_gt_i32_e64 s17, 0, v64
	v_and_b32_e32 v52, v52, v55
	s_delay_alu instid0(VALU_DEP_4) | instskip(NEXT) | instid1(VALU_DEP_2)
	v_ashrrev_i32_e32 v54, 31, v54
	v_and_b32_e32 v52, v52, v65
	s_delay_alu instid0(VALU_DEP_2)
	v_xor_b32_e32 v64, s17, v54
	v_dual_mov_b32 v55, v21 :: v_dual_mov_b32 v54, v20
	v_not_b32_e32 v53, v67
	v_cmp_gt_i32_e64 s16, 0, v67
	v_dual_mov_b32 v67, v19 :: v_dual_mov_b32 v66, v18
	v_lshlrev_b64 v[19:20], 2, v[4:5]
	s_delay_alu instid0(VALU_DEP_4) | instskip(NEXT) | instid1(VALU_DEP_1)
	v_ashrrev_i32_e32 v53, 31, v53
	v_xor_b32_e32 v53, s16, v53
	s_delay_alu instid0(VALU_DEP_3) | instskip(NEXT) | instid1(VALU_DEP_1)
	v_add_co_u32 v68, s18, v28, v19
	v_add_co_ci_u32_e64 v69, s18, v39, v20, s18
	s_delay_alu instid0(VALU_DEP_3) | instskip(SKIP_1) | instid1(VALU_DEP_2)
	v_and_b32_e32 v65, v52, v53
	v_dual_mov_b32 v53, v23 :: v_dual_mov_b32 v52, v22
	v_and_b32_e32 v18, v65, v64
	v_dual_mov_b32 v65, v25 :: v_dual_mov_b32 v64, v24
	s_delay_alu instid0(VALU_DEP_2) | instskip(SKIP_1) | instid1(VALU_DEP_2)
	v_mbcnt_lo_u32_b32 v84, v18, 0
	v_cmp_ne_u32_e64 s16, 0, v18
	v_cmp_eq_u32_e64 s17, 0, v84
	s_delay_alu instid0(VALU_DEP_1) | instskip(NEXT) | instid1(SALU_CYCLE_1)
	s_and_b32 s17, s16, s17
	s_and_saveexec_b32 s16, s17
	s_cbranch_execz .LBB504_271
; %bb.270:                              ;   in Loop: Header=BB504_269 Depth=1
	v_bcnt_u32_b32 v4, v18, 0
	flat_store_b32 v[68:69], v4
.LBB504_271:                            ;   in Loop: Header=BB504_269 Depth=1
	s_or_b32 exec_lo, exec_lo, s16
	v_lshrrev_b32_e32 v4, v10, v114
	; wave barrier
	s_delay_alu instid0(VALU_DEP_1) | instskip(NEXT) | instid1(VALU_DEP_1)
	v_and_b32_e32 v20, v4, v82
	v_lshl_add_u32 v4, v20, 3, v100
	v_lshlrev_b32_e32 v21, 29, v20
	v_lshlrev_b32_e32 v22, 28, v20
	s_delay_alu instid0(VALU_DEP_3) | instskip(SKIP_1) | instid1(VALU_DEP_2)
	v_lshlrev_b64 v[18:19], 2, v[4:5]
	v_and_b32_e32 v4, 1, v20
	v_add_co_u32 v70, s16, v28, v18
	s_delay_alu instid0(VALU_DEP_1) | instskip(NEXT) | instid1(VALU_DEP_3)
	v_add_co_ci_u32_e64 v71, s16, v39, v19, s16
	v_add_co_u32 v4, s16, v4, -1
	s_delay_alu instid0(VALU_DEP_1) | instskip(SKIP_3) | instid1(VALU_DEP_2)
	v_cndmask_b32_e64 v18, 0, 1, s16
	flat_load_b32 v85, v[70:71]
	v_lshlrev_b32_e32 v19, 30, v20
	; wave barrier
	v_cmp_ne_u32_e64 s16, 0, v18
	v_not_b32_e32 v18, v19
	s_delay_alu instid0(VALU_DEP_2) | instskip(SKIP_1) | instid1(VALU_DEP_3)
	v_xor_b32_e32 v4, s16, v4
	v_cmp_gt_i32_e64 s16, 0, v19
	v_ashrrev_i32_e32 v18, 31, v18
	v_not_b32_e32 v19, v21
	s_delay_alu instid0(VALU_DEP_4) | instskip(NEXT) | instid1(VALU_DEP_3)
	v_and_b32_e32 v4, exec_lo, v4
	v_xor_b32_e32 v18, s16, v18
	v_cmp_gt_i32_e64 s16, 0, v21
	s_delay_alu instid0(VALU_DEP_4) | instskip(SKIP_1) | instid1(VALU_DEP_4)
	v_ashrrev_i32_e32 v19, 31, v19
	v_not_b32_e32 v21, v22
	v_and_b32_e32 v4, v4, v18
	v_lshlrev_b32_e32 v18, 27, v20
	s_delay_alu instid0(VALU_DEP_4) | instskip(SKIP_2) | instid1(VALU_DEP_4)
	v_xor_b32_e32 v19, s16, v19
	v_cmp_gt_i32_e64 s16, 0, v22
	v_ashrrev_i32_e32 v21, 31, v21
	v_not_b32_e32 v22, v18
	s_delay_alu instid0(VALU_DEP_4) | instskip(SKIP_1) | instid1(VALU_DEP_4)
	v_and_b32_e32 v4, v4, v19
	v_lshlrev_b32_e32 v19, 26, v20
	v_xor_b32_e32 v21, s16, v21
	v_cmp_gt_i32_e64 s16, 0, v18
	v_ashrrev_i32_e32 v18, 31, v22
	s_delay_alu instid0(VALU_DEP_4) | instskip(NEXT) | instid1(VALU_DEP_4)
	v_not_b32_e32 v22, v19
	v_and_b32_e32 v4, v4, v21
	v_lshlrev_b32_e32 v21, 25, v20
	s_delay_alu instid0(VALU_DEP_4) | instskip(SKIP_2) | instid1(VALU_DEP_4)
	v_xor_b32_e32 v18, s16, v18
	v_cmp_gt_i32_e64 s16, 0, v19
	v_ashrrev_i32_e32 v19, 31, v22
	v_not_b32_e32 v22, v21
	s_delay_alu instid0(VALU_DEP_4) | instskip(SKIP_1) | instid1(VALU_DEP_4)
	v_and_b32_e32 v4, v4, v18
	v_lshlrev_b32_e32 v18, 24, v20
	v_xor_b32_e32 v19, s16, v19
	v_cmp_gt_i32_e64 s16, 0, v21
	v_ashrrev_i32_e32 v20, 31, v22
	s_delay_alu instid0(VALU_DEP_4) | instskip(NEXT) | instid1(VALU_DEP_4)
	v_not_b32_e32 v21, v18
	v_and_b32_e32 v4, v4, v19
	s_delay_alu instid0(VALU_DEP_3) | instskip(SKIP_1) | instid1(VALU_DEP_4)
	v_xor_b32_e32 v19, s16, v20
	v_cmp_gt_i32_e64 s16, 0, v18
	v_ashrrev_i32_e32 v18, 31, v21
	s_delay_alu instid0(VALU_DEP_3) | instskip(NEXT) | instid1(VALU_DEP_2)
	v_and_b32_e32 v4, v4, v19
	v_xor_b32_e32 v18, s16, v18
	s_delay_alu instid0(VALU_DEP_1) | instskip(NEXT) | instid1(VALU_DEP_1)
	v_and_b32_e32 v4, v4, v18
	v_mbcnt_lo_u32_b32 v86, v4, 0
	v_cmp_ne_u32_e64 s17, 0, v4
	s_delay_alu instid0(VALU_DEP_2) | instskip(NEXT) | instid1(VALU_DEP_1)
	v_cmp_eq_u32_e64 s16, 0, v86
	s_and_b32 s17, s17, s16
	s_delay_alu instid0(SALU_CYCLE_1)
	s_and_saveexec_b32 s16, s17
	s_cbranch_execz .LBB504_273
; %bb.272:                              ;   in Loop: Header=BB504_269 Depth=1
	s_waitcnt vmcnt(0) lgkmcnt(0)
	v_bcnt_u32_b32 v4, v4, v85
	flat_store_b32 v[70:71], v4
.LBB504_273:                            ;   in Loop: Header=BB504_269 Depth=1
	s_or_b32 exec_lo, exec_lo, s16
	v_lshrrev_b32_e32 v4, v10, v113
	; wave barrier
	s_delay_alu instid0(VALU_DEP_1) | instskip(NEXT) | instid1(VALU_DEP_1)
	v_and_b32_e32 v20, v4, v82
	v_lshl_add_u32 v4, v20, 3, v100
	v_lshlrev_b32_e32 v21, 29, v20
	v_lshlrev_b32_e32 v22, 28, v20
	s_delay_alu instid0(VALU_DEP_3) | instskip(SKIP_1) | instid1(VALU_DEP_2)
	v_lshlrev_b64 v[18:19], 2, v[4:5]
	v_and_b32_e32 v4, 1, v20
	v_add_co_u32 v80, s16, v28, v18
	s_delay_alu instid0(VALU_DEP_1) | instskip(NEXT) | instid1(VALU_DEP_3)
	v_add_co_ci_u32_e64 v81, s16, v39, v19, s16
	v_add_co_u32 v4, s16, v4, -1
	s_delay_alu instid0(VALU_DEP_1) | instskip(SKIP_3) | instid1(VALU_DEP_2)
	v_cndmask_b32_e64 v18, 0, 1, s16
	flat_load_b32 v87, v[80:81]
	v_lshlrev_b32_e32 v19, 30, v20
	; wave barrier
	v_cmp_ne_u32_e64 s16, 0, v18
	v_not_b32_e32 v18, v19
	s_delay_alu instid0(VALU_DEP_2) | instskip(SKIP_1) | instid1(VALU_DEP_3)
	v_xor_b32_e32 v4, s16, v4
	v_cmp_gt_i32_e64 s16, 0, v19
	v_ashrrev_i32_e32 v18, 31, v18
	v_not_b32_e32 v19, v21
	s_delay_alu instid0(VALU_DEP_4) | instskip(NEXT) | instid1(VALU_DEP_3)
	v_and_b32_e32 v4, exec_lo, v4
	v_xor_b32_e32 v18, s16, v18
	v_cmp_gt_i32_e64 s16, 0, v21
	s_delay_alu instid0(VALU_DEP_4) | instskip(SKIP_1) | instid1(VALU_DEP_4)
	v_ashrrev_i32_e32 v19, 31, v19
	v_not_b32_e32 v21, v22
	v_and_b32_e32 v4, v4, v18
	v_lshlrev_b32_e32 v18, 27, v20
	s_delay_alu instid0(VALU_DEP_4) | instskip(SKIP_2) | instid1(VALU_DEP_4)
	v_xor_b32_e32 v19, s16, v19
	v_cmp_gt_i32_e64 s16, 0, v22
	v_ashrrev_i32_e32 v21, 31, v21
	v_not_b32_e32 v22, v18
	s_delay_alu instid0(VALU_DEP_4) | instskip(SKIP_1) | instid1(VALU_DEP_4)
	v_and_b32_e32 v4, v4, v19
	v_lshlrev_b32_e32 v19, 26, v20
	v_xor_b32_e32 v21, s16, v21
	v_cmp_gt_i32_e64 s16, 0, v18
	v_ashrrev_i32_e32 v18, 31, v22
	s_delay_alu instid0(VALU_DEP_4) | instskip(NEXT) | instid1(VALU_DEP_4)
	v_not_b32_e32 v22, v19
	v_and_b32_e32 v4, v4, v21
	v_lshlrev_b32_e32 v21, 25, v20
	s_delay_alu instid0(VALU_DEP_4) | instskip(SKIP_2) | instid1(VALU_DEP_4)
	v_xor_b32_e32 v18, s16, v18
	v_cmp_gt_i32_e64 s16, 0, v19
	v_ashrrev_i32_e32 v19, 31, v22
	v_not_b32_e32 v22, v21
	s_delay_alu instid0(VALU_DEP_4) | instskip(SKIP_1) | instid1(VALU_DEP_4)
	v_and_b32_e32 v4, v4, v18
	v_lshlrev_b32_e32 v18, 24, v20
	v_xor_b32_e32 v19, s16, v19
	v_cmp_gt_i32_e64 s16, 0, v21
	v_ashrrev_i32_e32 v20, 31, v22
	s_delay_alu instid0(VALU_DEP_4) | instskip(NEXT) | instid1(VALU_DEP_4)
	v_not_b32_e32 v21, v18
	v_and_b32_e32 v4, v4, v19
	s_delay_alu instid0(VALU_DEP_3) | instskip(SKIP_1) | instid1(VALU_DEP_4)
	v_xor_b32_e32 v19, s16, v20
	v_cmp_gt_i32_e64 s16, 0, v18
	v_ashrrev_i32_e32 v18, 31, v21
	s_delay_alu instid0(VALU_DEP_3) | instskip(NEXT) | instid1(VALU_DEP_2)
	v_and_b32_e32 v4, v4, v19
	v_xor_b32_e32 v18, s16, v18
	s_delay_alu instid0(VALU_DEP_1) | instskip(NEXT) | instid1(VALU_DEP_1)
	v_and_b32_e32 v4, v4, v18
	v_mbcnt_lo_u32_b32 v96, v4, 0
	v_cmp_ne_u32_e64 s17, 0, v4
	s_delay_alu instid0(VALU_DEP_2) | instskip(NEXT) | instid1(VALU_DEP_1)
	v_cmp_eq_u32_e64 s16, 0, v96
	s_and_b32 s17, s17, s16
	s_delay_alu instid0(SALU_CYCLE_1)
	s_and_saveexec_b32 s16, s17
	s_cbranch_execz .LBB504_275
; %bb.274:                              ;   in Loop: Header=BB504_269 Depth=1
	s_waitcnt vmcnt(0) lgkmcnt(0)
	v_bcnt_u32_b32 v4, v4, v87
	flat_store_b32 v[80:81], v4
.LBB504_275:                            ;   in Loop: Header=BB504_269 Depth=1
	s_or_b32 exec_lo, exec_lo, s16
	v_lshrrev_b32_e32 v4, v10, v112
	; wave barrier
	s_delay_alu instid0(VALU_DEP_1) | instskip(NEXT) | instid1(VALU_DEP_1)
	v_and_b32_e32 v20, v4, v82
	v_lshl_add_u32 v4, v20, 3, v100
	v_lshlrev_b32_e32 v21, 29, v20
	v_lshlrev_b32_e32 v22, 28, v20
	s_delay_alu instid0(VALU_DEP_3) | instskip(SKIP_1) | instid1(VALU_DEP_2)
	v_lshlrev_b64 v[18:19], 2, v[4:5]
	v_and_b32_e32 v4, 1, v20
	v_add_co_u32 v82, s16, v28, v18
	s_delay_alu instid0(VALU_DEP_1) | instskip(NEXT) | instid1(VALU_DEP_3)
	v_add_co_ci_u32_e64 v83, s16, v39, v19, s16
	v_add_co_u32 v4, s16, v4, -1
	s_delay_alu instid0(VALU_DEP_1) | instskip(SKIP_3) | instid1(VALU_DEP_2)
	v_cndmask_b32_e64 v18, 0, 1, s16
	flat_load_b32 v97, v[82:83]
	v_lshlrev_b32_e32 v19, 30, v20
	; wave barrier
	v_cmp_ne_u32_e64 s16, 0, v18
	v_not_b32_e32 v18, v19
	s_delay_alu instid0(VALU_DEP_2) | instskip(SKIP_1) | instid1(VALU_DEP_3)
	v_xor_b32_e32 v4, s16, v4
	v_cmp_gt_i32_e64 s16, 0, v19
	v_ashrrev_i32_e32 v18, 31, v18
	v_not_b32_e32 v19, v21
	s_delay_alu instid0(VALU_DEP_4) | instskip(NEXT) | instid1(VALU_DEP_3)
	v_and_b32_e32 v4, exec_lo, v4
	v_xor_b32_e32 v18, s16, v18
	v_cmp_gt_i32_e64 s16, 0, v21
	s_delay_alu instid0(VALU_DEP_4) | instskip(SKIP_1) | instid1(VALU_DEP_4)
	v_ashrrev_i32_e32 v19, 31, v19
	v_not_b32_e32 v21, v22
	v_and_b32_e32 v4, v4, v18
	v_lshlrev_b32_e32 v18, 27, v20
	s_delay_alu instid0(VALU_DEP_4) | instskip(SKIP_2) | instid1(VALU_DEP_4)
	v_xor_b32_e32 v19, s16, v19
	v_cmp_gt_i32_e64 s16, 0, v22
	v_ashrrev_i32_e32 v21, 31, v21
	v_not_b32_e32 v22, v18
	s_delay_alu instid0(VALU_DEP_4) | instskip(SKIP_1) | instid1(VALU_DEP_4)
	v_and_b32_e32 v4, v4, v19
	v_lshlrev_b32_e32 v19, 26, v20
	v_xor_b32_e32 v21, s16, v21
	v_cmp_gt_i32_e64 s16, 0, v18
	v_ashrrev_i32_e32 v18, 31, v22
	s_delay_alu instid0(VALU_DEP_4) | instskip(NEXT) | instid1(VALU_DEP_4)
	v_not_b32_e32 v22, v19
	v_and_b32_e32 v4, v4, v21
	v_lshlrev_b32_e32 v21, 25, v20
	s_delay_alu instid0(VALU_DEP_4) | instskip(SKIP_2) | instid1(VALU_DEP_4)
	v_xor_b32_e32 v18, s16, v18
	v_cmp_gt_i32_e64 s16, 0, v19
	v_ashrrev_i32_e32 v19, 31, v22
	v_not_b32_e32 v22, v21
	s_delay_alu instid0(VALU_DEP_4) | instskip(SKIP_1) | instid1(VALU_DEP_4)
	v_and_b32_e32 v4, v4, v18
	v_lshlrev_b32_e32 v18, 24, v20
	v_xor_b32_e32 v19, s16, v19
	v_cmp_gt_i32_e64 s16, 0, v21
	v_ashrrev_i32_e32 v20, 31, v22
	s_delay_alu instid0(VALU_DEP_4) | instskip(NEXT) | instid1(VALU_DEP_4)
	v_not_b32_e32 v21, v18
	v_and_b32_e32 v4, v4, v19
	s_delay_alu instid0(VALU_DEP_3) | instskip(SKIP_1) | instid1(VALU_DEP_4)
	v_xor_b32_e32 v19, s16, v20
	v_cmp_gt_i32_e64 s16, 0, v18
	v_ashrrev_i32_e32 v18, 31, v21
	s_delay_alu instid0(VALU_DEP_3) | instskip(NEXT) | instid1(VALU_DEP_2)
	v_and_b32_e32 v4, v4, v19
	v_xor_b32_e32 v18, s16, v18
	s_delay_alu instid0(VALU_DEP_1) | instskip(NEXT) | instid1(VALU_DEP_1)
	v_and_b32_e32 v4, v4, v18
	v_mbcnt_lo_u32_b32 v98, v4, 0
	v_cmp_ne_u32_e64 s17, 0, v4
	s_delay_alu instid0(VALU_DEP_2) | instskip(NEXT) | instid1(VALU_DEP_1)
	v_cmp_eq_u32_e64 s16, 0, v98
	s_and_b32 s17, s17, s16
	s_delay_alu instid0(SALU_CYCLE_1)
	s_and_saveexec_b32 s16, s17
	s_cbranch_execz .LBB504_277
; %bb.276:                              ;   in Loop: Header=BB504_269 Depth=1
	s_waitcnt vmcnt(0) lgkmcnt(0)
	v_bcnt_u32_b32 v4, v4, v97
	flat_store_b32 v[82:83], v4
.LBB504_277:                            ;   in Loop: Header=BB504_269 Depth=1
	s_or_b32 exec_lo, exec_lo, s16
	; wave barrier
	s_waitcnt vmcnt(0) lgkmcnt(0)
	s_waitcnt_vscnt null, 0x0
	s_barrier
	buffer_gl0_inv
	s_clause 0x1
	flat_load_b128 v[22:25], v[8:9] offset:32
	flat_load_b128 v[18:21], v[31:32] offset:16
	s_waitcnt vmcnt(1) lgkmcnt(1)
	v_add_nc_u32_e32 v4, v23, v22
	s_delay_alu instid0(VALU_DEP_1) | instskip(SKIP_1) | instid1(VALU_DEP_1)
	v_add3_u32 v4, v4, v24, v25
	s_waitcnt vmcnt(0) lgkmcnt(0)
	v_add3_u32 v4, v4, v18, v19
	s_delay_alu instid0(VALU_DEP_1) | instskip(NEXT) | instid1(VALU_DEP_1)
	v_add3_u32 v4, v4, v20, v21
	v_mov_b32_dpp v21, v4 row_shr:1 row_mask:0xf bank_mask:0xf
	s_delay_alu instid0(VALU_DEP_1) | instskip(NEXT) | instid1(VALU_DEP_1)
	v_cndmask_b32_e64 v21, v21, 0, vcc_lo
	v_add_nc_u32_e32 v4, v21, v4
	s_delay_alu instid0(VALU_DEP_1) | instskip(NEXT) | instid1(VALU_DEP_1)
	v_mov_b32_dpp v21, v4 row_shr:2 row_mask:0xf bank_mask:0xf
	v_cndmask_b32_e64 v21, 0, v21, s0
	s_delay_alu instid0(VALU_DEP_1) | instskip(NEXT) | instid1(VALU_DEP_1)
	v_add_nc_u32_e32 v4, v4, v21
	v_mov_b32_dpp v21, v4 row_shr:4 row_mask:0xf bank_mask:0xf
	s_delay_alu instid0(VALU_DEP_1) | instskip(NEXT) | instid1(VALU_DEP_1)
	v_cndmask_b32_e64 v21, 0, v21, s1
	v_add_nc_u32_e32 v4, v4, v21
	s_delay_alu instid0(VALU_DEP_1) | instskip(NEXT) | instid1(VALU_DEP_1)
	v_mov_b32_dpp v21, v4 row_shr:8 row_mask:0xf bank_mask:0xf
	v_cndmask_b32_e64 v21, 0, v21, s2
	s_delay_alu instid0(VALU_DEP_1) | instskip(SKIP_3) | instid1(VALU_DEP_1)
	v_add_nc_u32_e32 v4, v4, v21
	ds_swizzle_b32 v21, v4 offset:swizzle(BROADCAST,32,15)
	s_waitcnt lgkmcnt(0)
	v_cndmask_b32_e64 v21, v21, 0, s3
	v_add_nc_u32_e32 v4, v4, v21
	s_and_saveexec_b32 s16, s4
	s_cbranch_execz .LBB504_279
; %bb.278:                              ;   in Loop: Header=BB504_269 Depth=1
	flat_store_b32 v[33:34], v4
.LBB504_279:                            ;   in Loop: Header=BB504_269 Depth=1
	s_or_b32 exec_lo, exec_lo, s16
	s_waitcnt lgkmcnt(0)
	s_waitcnt_vscnt null, 0x0
	s_barrier
	buffer_gl0_inv
	s_and_saveexec_b32 s16, s5
	s_cbranch_execz .LBB504_281
; %bb.280:                              ;   in Loop: Header=BB504_269 Depth=1
	flat_load_b32 v21, v[35:36]
	s_waitcnt vmcnt(0) lgkmcnt(0)
	v_mov_b32_dpp v99, v21 row_shr:1 row_mask:0xf bank_mask:0xf
	s_delay_alu instid0(VALU_DEP_1) | instskip(NEXT) | instid1(VALU_DEP_1)
	v_cndmask_b32_e64 v99, v99, 0, s11
	v_add_nc_u32_e32 v21, v99, v21
	s_delay_alu instid0(VALU_DEP_1) | instskip(NEXT) | instid1(VALU_DEP_1)
	v_mov_b32_dpp v99, v21 row_shr:2 row_mask:0xf bank_mask:0xf
	v_cndmask_b32_e64 v99, 0, v99, s14
	s_delay_alu instid0(VALU_DEP_1) | instskip(NEXT) | instid1(VALU_DEP_1)
	v_add_nc_u32_e32 v21, v21, v99
	v_mov_b32_dpp v99, v21 row_shr:4 row_mask:0xf bank_mask:0xf
	s_delay_alu instid0(VALU_DEP_1) | instskip(NEXT) | instid1(VALU_DEP_1)
	v_cndmask_b32_e64 v99, 0, v99, s15
	v_add_nc_u32_e32 v21, v21, v99
	flat_store_b32 v[35:36], v21
.LBB504_281:                            ;   in Loop: Header=BB504_269 Depth=1
	s_or_b32 exec_lo, exec_lo, s16
	v_mov_b32_e32 v21, 0
	s_waitcnt lgkmcnt(0)
	s_waitcnt_vscnt null, 0x0
	s_barrier
	buffer_gl0_inv
	s_and_saveexec_b32 s16, s6
	s_cbranch_execz .LBB504_283
; %bb.282:                              ;   in Loop: Header=BB504_269 Depth=1
	flat_load_b32 v21, v[48:49]
.LBB504_283:                            ;   in Loop: Header=BB504_269 Depth=1
	s_or_b32 exec_lo, exec_lo, s16
	s_waitcnt vmcnt(0) lgkmcnt(0)
	v_add_nc_u32_e32 v4, v21, v4
	v_add_nc_u32_e32 v10, 8, v10
	s_mov_b32 s18, -1
	ds_bpermute_b32 v4, v101, v4
	s_waitcnt lgkmcnt(0)
	v_cndmask_b32_e64 v4, v4, v21, s7
	s_delay_alu instid0(VALU_DEP_1) | instskip(NEXT) | instid1(VALU_DEP_1)
	v_cndmask_b32_e64 v21, v4, 0, s10
	v_add_nc_u32_e32 v22, v21, v22
	s_delay_alu instid0(VALU_DEP_1) | instskip(NEXT) | instid1(VALU_DEP_1)
	v_add_nc_u32_e32 v23, v22, v23
	v_add_nc_u32_e32 v24, v23, v24
	s_delay_alu instid0(VALU_DEP_1) | instskip(NEXT) | instid1(VALU_DEP_1)
	v_add_nc_u32_e32 v115, v24, v25
	v_add_nc_u32_e32 v116, v115, v18
	s_delay_alu instid0(VALU_DEP_1) | instskip(SKIP_1) | instid1(VALU_DEP_2)
	v_add_nc_u32_e32 v117, v116, v19
	v_mov_b32_e32 v19, v5
	v_add_nc_u32_e32 v118, v117, v20
	s_clause 0x1
	flat_store_b128 v[8:9], v[21:24] offset:32
	flat_store_b128 v[31:32], v[115:118] offset:16
	v_mov_b32_e32 v21, v5
	s_waitcnt lgkmcnt(0)
	s_waitcnt_vscnt null, 0x0
	s_barrier
	buffer_gl0_inv
	s_clause 0x3
	flat_load_b32 v4, v[68:69]
	flat_load_b32 v18, v[70:71]
	;; [unrolled: 1-line block ×4, first 2 shown]
	v_mov_b32_e32 v23, v5
	v_cmp_lt_u32_e64 s16, v10, v11
	s_waitcnt vmcnt(0) lgkmcnt(0)
	s_waitcnt_vscnt null, 0x0
                                        ; implicit-def: $vgpr117
                                        ; implicit-def: $vgpr116
                                        ; implicit-def: $vgpr115
                                        ; implicit-def: $vgpr118
                                        ; implicit-def: $vgpr24_vgpr25
	s_waitcnt vmcnt(3) lgkmcnt(3)
	v_add_nc_u32_e32 v4, v4, v84
	s_waitcnt vmcnt(2) lgkmcnt(2)
	v_add3_u32 v18, v86, v85, v18
	s_waitcnt vmcnt(1) lgkmcnt(1)
	v_add3_u32 v20, v96, v87, v20
	;; [unrolled: 2-line block ×3, first 2 shown]
	v_lshlrev_b64 v[86:87], 2, v[4:5]
	v_lshlrev_b64 v[82:83], 2, v[18:19]
	v_lshlrev_b64 v[70:71], 2, v[20:21]
	s_delay_alu instid0(VALU_DEP_4) | instskip(NEXT) | instid1(VALU_DEP_4)
	v_lshlrev_b64 v[68:69], 2, v[22:23]
                                        ; implicit-def: $vgpr18_vgpr19
                                        ; implicit-def: $vgpr20_vgpr21
                                        ; implicit-def: $vgpr22_vgpr23
	v_add_co_u32 v98, s17, v12, v86
	s_delay_alu instid0(VALU_DEP_1) | instskip(SKIP_1) | instid1(VALU_DEP_1)
	v_add_co_ci_u32_e64 v99, s17, v13, v87, s17
	v_add_co_u32 v96, s17, v12, v82
	v_add_co_ci_u32_e64 v97, s17, v13, v83, s17
	v_add_co_u32 v84, s17, v12, v70
	s_delay_alu instid0(VALU_DEP_1) | instskip(SKIP_1) | instid1(VALU_DEP_1)
	v_add_co_ci_u32_e64 v85, s17, v13, v71, s17
	v_add_co_u32 v80, s17, v12, v68
	v_add_co_ci_u32_e64 v81, s17, v13, v69, s17
	s_and_saveexec_b32 s17, s16
	s_cbranch_execz .LBB504_268
; %bb.284:                              ;   in Loop: Header=BB504_269 Depth=1
	v_add_co_u32 v18, s16, v98, v86
	s_delay_alu instid0(VALU_DEP_1) | instskip(SKIP_1) | instid1(VALU_DEP_1)
	v_add_co_ci_u32_e64 v19, s16, v99, v87, s16
	v_add_co_u32 v20, s16, v96, v82
	v_add_co_ci_u32_e64 v21, s16, v97, v83, s16
	v_add_co_u32 v22, s16, v84, v70
	s_delay_alu instid0(VALU_DEP_1) | instskip(SKIP_1) | instid1(VALU_DEP_1)
	v_add_co_ci_u32_e64 v23, s16, v85, v71, s16
	v_add_co_u32 v24, s16, v80, v68
	v_add_co_ci_u32_e64 v25, s16, v81, v69, s16
	s_barrier
	buffer_gl0_inv
	s_clause 0x3
	flat_store_b32 v[98:99], v103
	flat_store_b32 v[96:97], v114
	;; [unrolled: 1-line block ×4, first 2 shown]
	s_waitcnt lgkmcnt(0)
	s_waitcnt_vscnt null, 0x0
	s_barrier
	buffer_gl0_inv
	s_clause 0x3
	flat_load_b32 v118, v[37:38]
	flat_load_b32 v115, v[37:38] offset:128
	flat_load_b32 v116, v[37:38] offset:256
	;; [unrolled: 1-line block ×3, first 2 shown]
	s_waitcnt vmcnt(0) lgkmcnt(0)
	s_barrier
	buffer_gl0_inv
	s_clause 0x3
	flat_store_b64 v[18:19], v[66:67]
	flat_store_b64 v[20:21], v[54:55]
	flat_store_b64 v[22:23], v[52:53]
	flat_store_b64 v[24:25], v[64:65]
	s_waitcnt lgkmcnt(0)
	s_waitcnt_vscnt null, 0x0
	s_barrier
	buffer_gl0_inv
	s_clause 0x3
	flat_load_b64 v[18:19], v[50:51]
	flat_load_b64 v[20:21], v[50:51] offset:256
	flat_load_b64 v[22:23], v[50:51] offset:512
	;; [unrolled: 1-line block ×3, first 2 shown]
	v_add_nc_u32_e32 v102, -8, v102
	s_xor_b32 s18, exec_lo, -1
	s_waitcnt vmcnt(0) lgkmcnt(0)
	s_barrier
	buffer_gl0_inv
	s_branch .LBB504_268
.LBB504_285:
	flat_load_b64 v[22:23], v[4:5]
	s_or_b32 exec_lo, exec_lo, s7
                                        ; implicit-def: $vgpr24_vgpr25
	s_and_saveexec_b32 s7, s0
	s_cbranch_execz .LBB504_163
.LBB504_286:
	flat_load_b64 v[24:25], v[4:5] offset:256
	s_or_b32 exec_lo, exec_lo, s7
                                        ; implicit-def: $vgpr84_vgpr85
	s_and_saveexec_b32 s0, s1
	s_cbranch_execz .LBB504_164
.LBB504_287:
	flat_load_b64 v[84:85], v[4:5] offset:512
	s_or_b32 exec_lo, exec_lo, s0
                                        ; implicit-def: $vgpr86_vgpr87
	s_and_saveexec_b32 s0, s2
	s_cbranch_execz .LBB504_165
.LBB504_288:
	flat_load_b64 v[86:87], v[4:5] offset:768
	s_or_b32 exec_lo, exec_lo, s0
                                        ; implicit-def: $vgpr96_vgpr97
	s_and_saveexec_b32 s0, s3
	s_cbranch_execz .LBB504_166
.LBB504_289:
	flat_load_b64 v[96:97], v[4:5] offset:1024
	s_or_b32 exec_lo, exec_lo, s0
                                        ; implicit-def: $vgpr98_vgpr99
	s_and_saveexec_b32 s0, s4
	s_cbranch_execz .LBB504_167
.LBB504_290:
	flat_load_b64 v[98:99], v[4:5] offset:1280
	s_or_b32 exec_lo, exec_lo, s0
                                        ; implicit-def: $vgpr100_vgpr101
	s_and_saveexec_b32 s0, s5
	s_cbranch_execz .LBB504_168
.LBB504_291:
	flat_load_b64 v[100:101], v[4:5] offset:1536
	s_or_b32 exec_lo, exec_lo, s0
                                        ; implicit-def: $vgpr102_vgpr103
	s_and_saveexec_b32 s0, s6
	s_cbranch_execnz .LBB504_169
	s_branch .LBB504_170
.LBB504_292:
	flat_store_b64 v[0:1], v[20:21]
	s_or_b32 exec_lo, exec_lo, s7
	s_and_saveexec_b32 s7, s0
	s_cbranch_execz .LBB504_244
.LBB504_293:
	flat_store_b64 v[0:1], v[18:19] offset:2048
	s_or_b32 exec_lo, exec_lo, s7
	s_and_saveexec_b32 s0, s3
	s_cbranch_execz .LBB504_245
.LBB504_294:
	v_add_co_u32 v2, vcc_lo, 0x1000, v0
	v_add_co_ci_u32_e32 v3, vcc_lo, 0, v1, vcc_lo
	flat_store_b64 v[2:3], v[16:17]
	s_or_b32 exec_lo, exec_lo, s0
	s_and_saveexec_b32 s0, s2
	s_cbranch_execz .LBB504_246
.LBB504_295:
	v_add_co_u32 v2, vcc_lo, 0x1000, v0
	v_add_co_ci_u32_e32 v3, vcc_lo, 0, v1, vcc_lo
	flat_store_b64 v[2:3], v[14:15] offset:2048
	s_or_b32 exec_lo, exec_lo, s0
	s_and_saveexec_b32 s0, s1
	s_cbranch_execz .LBB504_247
.LBB504_296:
	v_add_co_u32 v2, vcc_lo, 0x2000, v0
	v_add_co_ci_u32_e32 v3, vcc_lo, 0, v1, vcc_lo
	flat_store_b64 v[2:3], v[12:13]
	s_or_b32 exec_lo, exec_lo, s0
	s_and_saveexec_b32 s0, s4
	s_cbranch_execz .LBB504_248
.LBB504_297:
	v_add_co_u32 v2, vcc_lo, 0x2000, v0
	v_add_co_ci_u32_e32 v3, vcc_lo, 0, v1, vcc_lo
	flat_store_b64 v[2:3], v[10:11] offset:2048
	s_or_b32 exec_lo, exec_lo, s0
	s_and_saveexec_b32 s0, s5
	s_cbranch_execz .LBB504_249
.LBB504_298:
	v_add_co_u32 v2, vcc_lo, 0x3000, v0
	v_add_co_ci_u32_e32 v3, vcc_lo, 0, v1, vcc_lo
	flat_store_b64 v[2:3], v[8:9]
	s_or_b32 exec_lo, exec_lo, s0
	s_and_saveexec_b32 s0, s6
	s_cbranch_execnz .LBB504_250
	s_branch .LBB504_251
.LBB504_299:
	s_or_b32 exec_lo, exec_lo, s20
	v_add_co_u32 v4, vcc_lo, v98, v86
	v_add_co_ci_u32_e32 v5, vcc_lo, v99, v87, vcc_lo
	v_add_co_u32 v8, vcc_lo, v96, v82
	v_add_co_ci_u32_e32 v9, vcc_lo, v97, v83, vcc_lo
	v_add_co_u32 v10, vcc_lo, v84, v70
	s_barrier
	buffer_gl0_inv
	s_clause 0x3
	flat_store_b32 v[98:99], v103
	flat_store_b32 v[96:97], v114
	flat_store_b32 v[84:85], v113
	flat_store_b32 v[80:81], v112
	s_waitcnt lgkmcnt(0)
	s_waitcnt_vscnt null, 0x0
	s_barrier
	buffer_gl0_inv
	s_clause 0x3
	flat_load_b32 v17, v[35:36]
	flat_load_b32 v16, v[35:36] offset:1024
	flat_load_b32 v15, v[35:36] offset:2048
	;; [unrolled: 1-line block ×3, first 2 shown]
	s_waitcnt vmcnt(0) lgkmcnt(0)
	s_barrier
	buffer_gl0_inv
	flat_store_b64 v[4:5], v[66:67]
	v_lshlrev_b32_e32 v4, 3, v26
	v_add_co_ci_u32_e32 v11, vcc_lo, v85, v71, vcc_lo
	v_add_co_u32 v18, vcc_lo, v80, v68
	v_add_co_ci_u32_e32 v19, vcc_lo, v81, v69, vcc_lo
	s_delay_alu instid0(VALU_DEP_4)
	v_add_co_u32 v4, vcc_lo, v12, v4
	v_add_co_ci_u32_e32 v5, vcc_lo, 0, v13, vcc_lo
	s_clause 0x2
	flat_store_b64 v[8:9], v[54:55]
	flat_store_b64 v[10:11], v[52:53]
	flat_store_b64 v[18:19], v[64:65]
	v_add_co_u32 v18, vcc_lo, 0x1000, v4
	v_add_co_ci_u32_e32 v19, vcc_lo, 0, v5, vcc_lo
	s_waitcnt lgkmcnt(0)
	s_waitcnt_vscnt null, 0x0
	s_barrier
	buffer_gl0_inv
	s_clause 0x3
	flat_load_b64 v[12:13], v[4:5]
	flat_load_b64 v[10:11], v[4:5] offset:2048
	flat_load_b64 v[8:9], v[18:19]
	flat_load_b64 v[4:5], v[18:19] offset:2048
	v_mov_b32_e32 v28, 0
	v_add_co_u32 v2, vcc_lo, v2, v29
	v_add_co_ci_u32_e32 v3, vcc_lo, v3, v30, vcc_lo
	s_delay_alu instid0(VALU_DEP_3)
	v_lshlrev_b64 v[18:19], 2, v[27:28]
	s_waitcnt vmcnt(0) lgkmcnt(0)
	s_barrier
	buffer_gl0_inv
	v_add_co_u32 v2, vcc_lo, v2, v18
	v_add_co_ci_u32_e32 v3, vcc_lo, v3, v19, vcc_lo
	v_cmp_lt_u32_e32 vcc_lo, v27, v47
	s_and_saveexec_b32 s0, vcc_lo
	s_cbranch_execz .LBB504_301
; %bb.300:
	v_xor_b32_e32 v17, 0x7fffffff, v17
	flat_store_b32 v[2:3], v17
.LBB504_301:
	s_or_b32 exec_lo, exec_lo, s0
	v_add_nc_u32_e32 v17, 0x100, v27
	s_delay_alu instid0(VALU_DEP_1) | instskip(NEXT) | instid1(VALU_DEP_1)
	v_cmp_lt_u32_e64 s0, v17, v47
	s_and_saveexec_b32 s1, s0
	s_cbranch_execz .LBB504_303
; %bb.302:
	v_xor_b32_e32 v16, 0x7fffffff, v16
	flat_store_b32 v[2:3], v16 offset:1024
.LBB504_303:
	s_or_b32 exec_lo, exec_lo, s1
	v_add_nc_u32_e32 v16, 0x200, v27
	s_delay_alu instid0(VALU_DEP_1) | instskip(NEXT) | instid1(VALU_DEP_1)
	v_cmp_lt_u32_e64 s2, v16, v47
	s_and_saveexec_b32 s1, s2
	s_cbranch_execz .LBB504_305
; %bb.304:
	v_xor_b32_e32 v15, 0x7fffffff, v15
	flat_store_b32 v[2:3], v15 offset:2048
.LBB504_305:
	;; [unrolled: 10-line block ×3, first 2 shown]
	s_or_b32 exec_lo, exec_lo, s3
	v_lshlrev_b64 v[2:3], 3, v[27:28]
	v_add_co_u32 v0, s3, v6, v0
	s_delay_alu instid0(VALU_DEP_1) | instskip(NEXT) | instid1(VALU_DEP_2)
	v_add_co_ci_u32_e64 v1, s3, v7, v1, s3
	v_add_co_u32 v0, s3, v0, v2
	s_delay_alu instid0(VALU_DEP_1)
	v_add_co_ci_u32_e64 v1, s3, v1, v3, s3
	s_and_saveexec_b32 s3, vcc_lo
	s_cbranch_execnz .LBB504_340
; %bb.308:
	s_or_b32 exec_lo, exec_lo, s3
	s_and_saveexec_b32 s3, s0
	s_cbranch_execnz .LBB504_341
.LBB504_309:
	s_or_b32 exec_lo, exec_lo, s3
	s_and_saveexec_b32 s0, s2
	s_cbranch_execnz .LBB504_342
.LBB504_310:
	s_or_b32 exec_lo, exec_lo, s0
	s_and_saveexec_b32 s0, s1
	s_cbranch_execz .LBB504_312
.LBB504_311:
	v_add_co_u32 v0, vcc_lo, 0x1000, v0
	v_add_co_ci_u32_e32 v1, vcc_lo, 0, v1, vcc_lo
	flat_store_b64 v[0:1], v[4:5] offset:2048
.LBB504_312:
	s_or_b32 exec_lo, exec_lo, s0
                                        ; implicit-def: $vgpr47
                                        ; implicit-def: $vgpr0
                                        ; implicit-def: $vgpr1
                                        ; implicit-def: $vgpr2
                                        ; implicit-def: $vgpr3
                                        ; implicit-def: $vgpr4
                                        ; implicit-def: $vgpr5
                                        ; implicit-def: $vgpr6
                                        ; implicit-def: $vgpr7
                                        ; implicit-def: $vgpr8
                                        ; implicit-def: $vgpr10
                                        ; implicit-def: $vgpr11
                                        ; implicit-def: $vgpr12
                                        ; implicit-def: $vgpr13
                                        ; implicit-def: $vgpr14
                                        ; implicit-def: $vgpr15
                                        ; implicit-def: $vgpr26
                                        ; implicit-def: $vgpr37
.LBB504_313:
	s_and_not1_saveexec_b32 s0, s19
	s_cbranch_execz .LBB504_372
; %bb.314:
	s_load_b64 s[0:1], s[8:9], 0x0
	v_mov_b32_e32 v9, 0
	s_delay_alu instid0(VALU_DEP_1) | instskip(SKIP_3) | instid1(SALU_CYCLE_1)
	v_lshlrev_b64 v[29:30], 2, v[8:9]
	s_waitcnt lgkmcnt(0)
	s_cmp_lt_u32 s13, s1
	s_cselect_b32 s1, 14, 20
	s_add_u32 s2, s8, s1
	s_addc_u32 s3, s9, 0
	s_cmp_lt_u32 s12, s0
	global_load_u16 v16, v9, s[2:3]
	s_cselect_b32 s0, 12, 18
	s_delay_alu instid0(SALU_CYCLE_1)
	s_add_u32 s0, s8, s0
	s_addc_u32 s1, s9, 0
	global_load_u16 v17, v9, s[0:1]
	s_mov_b32 s0, exec_lo
	s_waitcnt vmcnt(1)
	v_mad_u32_u24 v14, v15, v16, v14
	s_waitcnt vmcnt(0)
	s_delay_alu instid0(VALU_DEP_1)
	v_mad_u64_u32 v[27:28], null, v14, v17, v[26:27]
	v_cmpx_lt_u32_e32 0x100, v47
	s_xor_b32 s15, exec_lo, s0
	s_cbranch_execz .LBB504_352
; %bb.315:
	s_delay_alu instid0(VALU_DEP_2) | instskip(SKIP_1) | instid1(SALU_CYCLE_1)
	v_dual_mov_b32 v17, v9 :: v_dual_lshlrev_b32 v14, 1, v27
	s_brev_b32 s0, 1
	s_mov_b32 s1, s0
	s_delay_alu instid0(VALU_DEP_1) | instskip(SKIP_3) | instid1(VALU_DEP_4)
	v_and_b32_e32 v16, 0xffffffc0, v14
	v_lshlrev_b32_e32 v15, 2, v37
	v_add_co_u32 v14, vcc_lo, v0, v29
	v_add_co_ci_u32_e32 v18, vcc_lo, v1, v30, vcc_lo
	v_lshlrev_b64 v[0:1], 2, v[16:17]
	s_delay_alu instid0(VALU_DEP_3) | instskip(NEXT) | instid1(VALU_DEP_3)
	v_add_co_u32 v14, vcc_lo, v14, v15
	v_add_co_ci_u32_e32 v15, vcc_lo, 0, v18, vcc_lo
	s_delay_alu instid0(VALU_DEP_2) | instskip(NEXT) | instid1(VALU_DEP_2)
	v_add_co_u32 v0, vcc_lo, v14, v0
	v_add_co_ci_u32_e32 v1, vcc_lo, v15, v1, vcc_lo
	v_dual_mov_b32 v15, s1 :: v_dual_mov_b32 v14, s0
	v_or_b32_e32 v18, v37, v16
	s_delay_alu instid0(VALU_DEP_1)
	v_cmp_lt_u32_e32 vcc_lo, v18, v47
	s_and_saveexec_b32 s0, vcc_lo
	s_cbranch_execz .LBB504_317
; %bb.316:
	flat_load_b32 v14, v[0:1]
	v_bfrev_b32_e32 v15, 1
.LBB504_317:
	s_or_b32 exec_lo, exec_lo, s0
	v_or_b32_e32 v18, 32, v18
	s_delay_alu instid0(VALU_DEP_1) | instskip(NEXT) | instid1(VALU_DEP_1)
	v_cmp_lt_u32_e64 s0, v18, v47
	s_and_saveexec_b32 s1, s0
	s_cbranch_execz .LBB504_319
; %bb.318:
	flat_load_b32 v15, v[0:1] offset:128
.LBB504_319:
	s_or_b32 exec_lo, exec_lo, s1
	v_lshlrev_b64 v[0:1], 3, v[8:9]
	v_lshlrev_b32_e32 v8, 3, v37
	s_delay_alu instid0(VALU_DEP_2) | instskip(NEXT) | instid1(VALU_DEP_1)
	v_add_co_u32 v9, s1, v4, v0
	v_add_co_ci_u32_e64 v18, s1, v5, v1, s1
	v_lshlrev_b64 v[4:5], 3, v[16:17]
	s_delay_alu instid0(VALU_DEP_3) | instskip(NEXT) | instid1(VALU_DEP_1)
	v_add_co_u32 v8, s1, v9, v8
	v_add_co_ci_u32_e64 v9, s1, 0, v18, s1
                                        ; implicit-def: $vgpr18_vgpr19
	s_delay_alu instid0(VALU_DEP_2) | instskip(NEXT) | instid1(VALU_DEP_1)
	v_add_co_u32 v4, s1, v8, v4
	v_add_co_ci_u32_e64 v5, s1, v9, v5, s1
	s_and_saveexec_b32 s1, vcc_lo
	s_cbranch_execz .LBB504_321
; %bb.320:
	flat_load_b64 v[18:19], v[4:5]
.LBB504_321:
	s_or_b32 exec_lo, exec_lo, s1
                                        ; implicit-def: $vgpr20_vgpr21
	s_and_saveexec_b32 s1, s0
	s_cbranch_execz .LBB504_323
; %bb.322:
	flat_load_b64 v[20:21], v[4:5] offset:256
.LBB504_323:
	s_or_b32 exec_lo, exec_lo, s1
	v_dual_mov_b32 v5, 0 :: v_dual_lshlrev_b32 v4, 5, v26
	s_mov_b32 s16, 0
	v_add_co_u32 v28, vcc_lo, v12, 32
	s_waitcnt vmcnt(0) lgkmcnt(0)
	v_xor_b32_e32 v81, 0x7fffffff, v15
	s_mov_b32 s17, s16
	s_mov_b32 s18, s16
	;; [unrolled: 1-line block ×3, first 2 shown]
	v_and_b32_e32 v15, 0x3e0, v26
	v_add_co_ci_u32_e32 v39, vcc_lo, 0, v13, vcc_lo
	v_add_co_u32 v8, vcc_lo, v12, v4
	v_add_nc_u32_e32 v16, -1, v37
	v_add_co_ci_u32_e32 v9, vcc_lo, 0, v13, vcc_lo
	v_add_co_u32 v31, vcc_lo, v28, v4
	v_min_u32_e32 v4, 0xe0, v15
	v_and_b32_e32 v15, 16, v37
	v_xor_b32_e32 v82, 0x7fffffff, v14
	v_and_b32_e32 v14, 15, v37
	v_cmp_gt_i32_e64 s4, 0, v16
	v_or_b32_e32 v4, 31, v4
	v_cmp_eq_u32_e64 s3, 0, v15
	v_lshrrev_b32_e32 v15, 5, v26
	s_getpc_b64 s[0:1]
	s_add_u32 s0, s0, _ZN7rocprim17ROCPRIM_400000_NS16block_radix_sortIiLj256ELj2ElLj1ELj1ELj8ELNS0_26block_radix_rank_algorithmE2ELNS0_18block_padding_hintE2ELNS0_4arch9wavefront6targetE0EE19radix_bits_per_passE@rel32@lo+4
	s_addc_u32 s1, s1, _ZN7rocprim17ROCPRIM_400000_NS16block_radix_sortIiLj256ELj2ElLj1ELj1ELj8ELNS0_26block_radix_rank_algorithmE2ELNS0_18block_padding_hintE2ELNS0_4arch9wavefront6targetE0EE19radix_bits_per_passE@rel32@hi+12
	v_add_co_ci_u32_e32 v32, vcc_lo, 0, v39, vcc_lo
	s_load_b32 s20, s[0:1], 0x0
	v_cmp_eq_u32_e32 vcc_lo, 0, v14
	v_cmp_lt_u32_e64 s0, 1, v14
	v_cmp_lt_u32_e64 s1, 3, v14
	;; [unrolled: 1-line block ×3, first 2 shown]
	v_cndmask_b32_e64 v14, v16, v37, s4
	v_lshlrev_b32_e32 v16, 1, v26
	v_cmp_eq_u32_e64 s4, v4, v26
	v_lshlrev_b32_e32 v4, 2, v15
	v_cmp_eq_u32_e64 s7, 0, v37
	v_lshlrev_b32_e32 v69, 2, v14
	v_and_or_b32 v16, 0x7c0, v16, v37
	v_lshlrev_b32_e32 v14, 2, v26
	v_add_co_u32 v35, s9, v12, v4
	v_add_nc_u32_e32 v4, -1, v15
	s_delay_alu instid0(VALU_DEP_4) | instskip(SKIP_2) | instid1(VALU_DEP_4)
	v_lshlrev_b32_e32 v16, 2, v16
	v_add_co_ci_u32_e64 v36, s9, 0, v13, s9
	v_add_co_u32 v33, s9, v12, v14
	v_lshlrev_b64 v[14:15], 2, v[4:5]
	v_and_b32_e32 v17, 7, v37
	v_add_co_u32 v37, s12, v12, v16
	s_delay_alu instid0(VALU_DEP_1) | instskip(NEXT) | instid1(VALU_DEP_4)
	v_add_co_ci_u32_e64 v38, s12, 0, v13, s12
	v_add_co_u32 v48, s12, v12, v14
	s_delay_alu instid0(VALU_DEP_1)
	v_add_co_ci_u32_e64 v49, s12, v13, v15, s12
	v_add_co_ci_u32_e64 v34, s9, 0, v13, s9
	v_add_co_u32 v50, s12, v37, v16
	v_cmp_eq_u32_e64 s9, 0, v17
	v_cmp_lt_u32_e64 s10, 1, v17
	v_cmp_lt_u32_e64 s11, 3, v17
	v_mov_b32_e32 v14, s16
	v_lshrrev_b32_e32 v68, 5, v27
	v_cmp_gt_u32_e64 s5, 8, v26
	v_cmp_lt_u32_e64 s6, 31, v26
	v_cmp_eq_u32_e64 s8, 0, v26
	v_add_co_ci_u32_e64 v51, s12, 0, v38, s12
	v_sub_nc_u32_e32 v70, v11, v10
	v_dual_mov_b32 v15, s17 :: v_dual_mov_b32 v16, s18
	v_mov_b32_e32 v17, s19
	s_waitcnt lgkmcnt(0)
	s_waitcnt_vscnt null, 0x0
	s_barrier
	buffer_gl0_inv
	s_branch .LBB504_325
.LBB504_324:                            ;   in Loop: Header=BB504_325 Depth=1
	s_or_b32 exec_lo, exec_lo, s13
	s_delay_alu instid0(SALU_CYCLE_1) | instskip(NEXT) | instid1(SALU_CYCLE_1)
	s_and_b32 s12, exec_lo, s14
	s_or_b32 s16, s12, s16
	s_delay_alu instid0(SALU_CYCLE_1)
	s_and_not1_b32 exec_lo, exec_lo, s16
	s_cbranch_execz .LBB504_343
.LBB504_325:                            ; =>This Inner Loop Header: Depth=1
	v_min_u32_e32 v4, s20, v70
	s_clause 0x1
	flat_store_b128 v[8:9], v[14:17] offset:32
	flat_store_b128 v[31:32], v[14:17] offset:16
	s_waitcnt lgkmcnt(0)
	s_waitcnt_vscnt null, 0x0
	s_barrier
	buffer_gl0_inv
	v_lshlrev_b32_e64 v4, v4, -1
	; wave barrier
	v_mov_b32_e32 v80, v81
	s_delay_alu instid0(VALU_DEP_2) | instskip(SKIP_1) | instid1(VALU_DEP_1)
	v_not_b32_e32 v22, v4
	v_mov_b32_e32 v71, v82
	v_lshrrev_b32_e32 v23, v10, v71
	s_delay_alu instid0(VALU_DEP_1) | instskip(NEXT) | instid1(VALU_DEP_1)
	v_and_b32_e32 v4, v23, v22
	v_and_b32_e32 v23, 1, v4
	v_lshlrev_b32_e32 v24, 30, v4
	v_lshlrev_b32_e32 v25, 29, v4
	;; [unrolled: 1-line block ×4, first 2 shown]
	v_add_co_u32 v23, s12, v23, -1
	s_delay_alu instid0(VALU_DEP_1)
	v_cndmask_b32_e64 v53, 0, 1, s12
	v_not_b32_e32 v65, v24
	v_cmp_gt_i32_e64 s13, 0, v24
	v_not_b32_e32 v24, v25
	v_lshlrev_b32_e32 v55, 26, v4
	v_cmp_ne_u32_e64 s12, 0, v53
	v_ashrrev_i32_e32 v65, 31, v65
	v_lshlrev_b32_e32 v64, 25, v4
	v_ashrrev_i32_e32 v24, 31, v24
	v_lshlrev_b32_e32 v53, 24, v4
	v_xor_b32_e32 v23, s12, v23
	v_cmp_gt_i32_e64 s12, 0, v25
	v_not_b32_e32 v25, v52
	v_xor_b32_e32 v65, s13, v65
	v_cmp_gt_i32_e64 s13, 0, v52
	v_and_b32_e32 v23, exec_lo, v23
	v_not_b32_e32 v52, v54
	v_ashrrev_i32_e32 v25, 31, v25
	v_xor_b32_e32 v24, s12, v24
	v_cmp_gt_i32_e64 s12, 0, v54
	v_and_b32_e32 v23, v23, v65
	v_not_b32_e32 v54, v55
	v_ashrrev_i32_e32 v52, 31, v52
	v_xor_b32_e32 v25, s13, v25
	v_cmp_gt_i32_e64 s13, 0, v55
	v_and_b32_e32 v23, v23, v24
	;; [unrolled: 5-line block ×4, first 2 shown]
	v_ashrrev_i32_e32 v25, 31, v25
	v_xor_b32_e32 v24, s12, v24
	v_mov_b32_e32 v53, v21
	v_lshl_add_u32 v4, v4, 3, v68
	v_and_b32_e32 v23, v23, v54
	v_xor_b32_e32 v25, s13, v25
	v_dual_mov_b32 v52, v20 :: v_dual_mov_b32 v55, v19
	s_delay_alu instid0(VALU_DEP_3) | instskip(SKIP_1) | instid1(VALU_DEP_2)
	v_dual_mov_b32 v54, v18 :: v_dual_and_b32 v23, v23, v24
	v_lshlrev_b64 v[18:19], 2, v[4:5]
	v_and_b32_e32 v20, v23, v25
	s_delay_alu instid0(VALU_DEP_2) | instskip(NEXT) | instid1(VALU_DEP_1)
	v_add_co_u32 v64, s14, v28, v18
	v_add_co_ci_u32_e64 v65, s14, v39, v19, s14
	s_delay_alu instid0(VALU_DEP_3) | instskip(SKIP_1) | instid1(VALU_DEP_2)
	v_mbcnt_lo_u32_b32 v81, v20, 0
	v_cmp_ne_u32_e64 s12, 0, v20
	v_cmp_eq_u32_e64 s13, 0, v81
	s_delay_alu instid0(VALU_DEP_1) | instskip(NEXT) | instid1(SALU_CYCLE_1)
	s_and_b32 s13, s12, s13
	s_and_saveexec_b32 s12, s13
	s_cbranch_execz .LBB504_327
; %bb.326:                              ;   in Loop: Header=BB504_325 Depth=1
	v_bcnt_u32_b32 v4, v20, 0
	flat_store_b32 v[64:65], v4
.LBB504_327:                            ;   in Loop: Header=BB504_325 Depth=1
	s_or_b32 exec_lo, exec_lo, s12
	v_lshrrev_b32_e32 v4, v10, v80
	; wave barrier
	s_delay_alu instid0(VALU_DEP_1) | instskip(NEXT) | instid1(VALU_DEP_1)
	v_and_b32_e32 v20, v4, v22
	v_lshl_add_u32 v4, v20, 3, v68
	v_lshlrev_b32_e32 v21, 29, v20
	v_lshlrev_b32_e32 v22, 28, v20
	s_delay_alu instid0(VALU_DEP_3) | instskip(SKIP_1) | instid1(VALU_DEP_2)
	v_lshlrev_b64 v[18:19], 2, v[4:5]
	v_and_b32_e32 v4, 1, v20
	v_add_co_u32 v66, s12, v28, v18
	s_delay_alu instid0(VALU_DEP_1) | instskip(NEXT) | instid1(VALU_DEP_3)
	v_add_co_ci_u32_e64 v67, s12, v39, v19, s12
	v_add_co_u32 v4, s12, v4, -1
	s_delay_alu instid0(VALU_DEP_1) | instskip(SKIP_3) | instid1(VALU_DEP_2)
	v_cndmask_b32_e64 v18, 0, 1, s12
	flat_load_b32 v82, v[66:67]
	v_lshlrev_b32_e32 v19, 30, v20
	; wave barrier
	v_cmp_ne_u32_e64 s12, 0, v18
	v_not_b32_e32 v18, v19
	s_delay_alu instid0(VALU_DEP_2) | instskip(SKIP_1) | instid1(VALU_DEP_3)
	v_xor_b32_e32 v4, s12, v4
	v_cmp_gt_i32_e64 s12, 0, v19
	v_ashrrev_i32_e32 v18, 31, v18
	v_not_b32_e32 v19, v21
	s_delay_alu instid0(VALU_DEP_4) | instskip(NEXT) | instid1(VALU_DEP_3)
	v_and_b32_e32 v4, exec_lo, v4
	v_xor_b32_e32 v18, s12, v18
	v_cmp_gt_i32_e64 s12, 0, v21
	s_delay_alu instid0(VALU_DEP_4) | instskip(SKIP_1) | instid1(VALU_DEP_4)
	v_ashrrev_i32_e32 v19, 31, v19
	v_not_b32_e32 v21, v22
	v_and_b32_e32 v4, v4, v18
	v_lshlrev_b32_e32 v18, 27, v20
	s_delay_alu instid0(VALU_DEP_4) | instskip(SKIP_2) | instid1(VALU_DEP_4)
	v_xor_b32_e32 v19, s12, v19
	v_cmp_gt_i32_e64 s12, 0, v22
	v_ashrrev_i32_e32 v21, 31, v21
	v_not_b32_e32 v22, v18
	s_delay_alu instid0(VALU_DEP_4) | instskip(SKIP_1) | instid1(VALU_DEP_4)
	v_and_b32_e32 v4, v4, v19
	v_lshlrev_b32_e32 v19, 26, v20
	v_xor_b32_e32 v21, s12, v21
	v_cmp_gt_i32_e64 s12, 0, v18
	v_ashrrev_i32_e32 v18, 31, v22
	s_delay_alu instid0(VALU_DEP_4) | instskip(NEXT) | instid1(VALU_DEP_4)
	v_not_b32_e32 v22, v19
	v_and_b32_e32 v4, v4, v21
	v_lshlrev_b32_e32 v21, 25, v20
	s_delay_alu instid0(VALU_DEP_4) | instskip(SKIP_2) | instid1(VALU_DEP_4)
	v_xor_b32_e32 v18, s12, v18
	v_cmp_gt_i32_e64 s12, 0, v19
	v_ashrrev_i32_e32 v19, 31, v22
	v_not_b32_e32 v22, v21
	s_delay_alu instid0(VALU_DEP_4) | instskip(SKIP_1) | instid1(VALU_DEP_4)
	v_and_b32_e32 v4, v4, v18
	v_lshlrev_b32_e32 v18, 24, v20
	v_xor_b32_e32 v19, s12, v19
	v_cmp_gt_i32_e64 s12, 0, v21
	v_ashrrev_i32_e32 v20, 31, v22
	s_delay_alu instid0(VALU_DEP_4) | instskip(NEXT) | instid1(VALU_DEP_4)
	v_not_b32_e32 v21, v18
	v_and_b32_e32 v4, v4, v19
	s_delay_alu instid0(VALU_DEP_3) | instskip(SKIP_1) | instid1(VALU_DEP_4)
	v_xor_b32_e32 v19, s12, v20
	v_cmp_gt_i32_e64 s12, 0, v18
	v_ashrrev_i32_e32 v18, 31, v21
	s_delay_alu instid0(VALU_DEP_3) | instskip(NEXT) | instid1(VALU_DEP_2)
	v_and_b32_e32 v4, v4, v19
	v_xor_b32_e32 v18, s12, v18
	s_delay_alu instid0(VALU_DEP_1) | instskip(NEXT) | instid1(VALU_DEP_1)
	v_and_b32_e32 v4, v4, v18
	v_mbcnt_lo_u32_b32 v83, v4, 0
	v_cmp_ne_u32_e64 s13, 0, v4
	s_delay_alu instid0(VALU_DEP_2) | instskip(NEXT) | instid1(VALU_DEP_1)
	v_cmp_eq_u32_e64 s12, 0, v83
	s_and_b32 s13, s13, s12
	s_delay_alu instid0(SALU_CYCLE_1)
	s_and_saveexec_b32 s12, s13
	s_cbranch_execz .LBB504_329
; %bb.328:                              ;   in Loop: Header=BB504_325 Depth=1
	s_waitcnt vmcnt(0) lgkmcnt(0)
	v_bcnt_u32_b32 v4, v4, v82
	flat_store_b32 v[66:67], v4
.LBB504_329:                            ;   in Loop: Header=BB504_325 Depth=1
	s_or_b32 exec_lo, exec_lo, s12
	; wave barrier
	s_waitcnt vmcnt(0) lgkmcnt(0)
	s_waitcnt_vscnt null, 0x0
	s_barrier
	buffer_gl0_inv
	s_clause 0x1
	flat_load_b128 v[22:25], v[8:9] offset:32
	flat_load_b128 v[18:21], v[31:32] offset:16
	s_waitcnt vmcnt(1) lgkmcnt(1)
	v_add_nc_u32_e32 v4, v23, v22
	s_delay_alu instid0(VALU_DEP_1) | instskip(SKIP_1) | instid1(VALU_DEP_1)
	v_add3_u32 v4, v4, v24, v25
	s_waitcnt vmcnt(0) lgkmcnt(0)
	v_add3_u32 v4, v4, v18, v19
	s_delay_alu instid0(VALU_DEP_1) | instskip(NEXT) | instid1(VALU_DEP_1)
	v_add3_u32 v4, v4, v20, v21
	v_mov_b32_dpp v21, v4 row_shr:1 row_mask:0xf bank_mask:0xf
	s_delay_alu instid0(VALU_DEP_1) | instskip(NEXT) | instid1(VALU_DEP_1)
	v_cndmask_b32_e64 v21, v21, 0, vcc_lo
	v_add_nc_u32_e32 v4, v21, v4
	s_delay_alu instid0(VALU_DEP_1) | instskip(NEXT) | instid1(VALU_DEP_1)
	v_mov_b32_dpp v21, v4 row_shr:2 row_mask:0xf bank_mask:0xf
	v_cndmask_b32_e64 v21, 0, v21, s0
	s_delay_alu instid0(VALU_DEP_1) | instskip(NEXT) | instid1(VALU_DEP_1)
	v_add_nc_u32_e32 v4, v4, v21
	v_mov_b32_dpp v21, v4 row_shr:4 row_mask:0xf bank_mask:0xf
	s_delay_alu instid0(VALU_DEP_1) | instskip(NEXT) | instid1(VALU_DEP_1)
	v_cndmask_b32_e64 v21, 0, v21, s1
	v_add_nc_u32_e32 v4, v4, v21
	s_delay_alu instid0(VALU_DEP_1) | instskip(NEXT) | instid1(VALU_DEP_1)
	v_mov_b32_dpp v21, v4 row_shr:8 row_mask:0xf bank_mask:0xf
	v_cndmask_b32_e64 v21, 0, v21, s2
	s_delay_alu instid0(VALU_DEP_1) | instskip(SKIP_3) | instid1(VALU_DEP_1)
	v_add_nc_u32_e32 v4, v4, v21
	ds_swizzle_b32 v21, v4 offset:swizzle(BROADCAST,32,15)
	s_waitcnt lgkmcnt(0)
	v_cndmask_b32_e64 v21, v21, 0, s3
	v_add_nc_u32_e32 v4, v4, v21
	s_and_saveexec_b32 s12, s4
	s_cbranch_execz .LBB504_331
; %bb.330:                              ;   in Loop: Header=BB504_325 Depth=1
	flat_store_b32 v[35:36], v4
.LBB504_331:                            ;   in Loop: Header=BB504_325 Depth=1
	s_or_b32 exec_lo, exec_lo, s12
	s_waitcnt lgkmcnt(0)
	s_waitcnt_vscnt null, 0x0
	s_barrier
	buffer_gl0_inv
	s_and_saveexec_b32 s12, s5
	s_cbranch_execz .LBB504_333
; %bb.332:                              ;   in Loop: Header=BB504_325 Depth=1
	flat_load_b32 v21, v[33:34]
	s_waitcnt vmcnt(0) lgkmcnt(0)
	v_mov_b32_dpp v84, v21 row_shr:1 row_mask:0xf bank_mask:0xf
	s_delay_alu instid0(VALU_DEP_1) | instskip(NEXT) | instid1(VALU_DEP_1)
	v_cndmask_b32_e64 v84, v84, 0, s9
	v_add_nc_u32_e32 v21, v84, v21
	s_delay_alu instid0(VALU_DEP_1) | instskip(NEXT) | instid1(VALU_DEP_1)
	v_mov_b32_dpp v84, v21 row_shr:2 row_mask:0xf bank_mask:0xf
	v_cndmask_b32_e64 v84, 0, v84, s10
	s_delay_alu instid0(VALU_DEP_1) | instskip(NEXT) | instid1(VALU_DEP_1)
	v_add_nc_u32_e32 v21, v21, v84
	v_mov_b32_dpp v84, v21 row_shr:4 row_mask:0xf bank_mask:0xf
	s_delay_alu instid0(VALU_DEP_1) | instskip(NEXT) | instid1(VALU_DEP_1)
	v_cndmask_b32_e64 v84, 0, v84, s11
	v_add_nc_u32_e32 v21, v21, v84
	flat_store_b32 v[33:34], v21
.LBB504_333:                            ;   in Loop: Header=BB504_325 Depth=1
	s_or_b32 exec_lo, exec_lo, s12
	v_mov_b32_e32 v21, 0
	s_waitcnt lgkmcnt(0)
	s_waitcnt_vscnt null, 0x0
	s_barrier
	buffer_gl0_inv
	s_and_saveexec_b32 s12, s6
	s_cbranch_execz .LBB504_335
; %bb.334:                              ;   in Loop: Header=BB504_325 Depth=1
	flat_load_b32 v21, v[48:49]
.LBB504_335:                            ;   in Loop: Header=BB504_325 Depth=1
	s_or_b32 exec_lo, exec_lo, s12
	s_waitcnt vmcnt(0) lgkmcnt(0)
	v_add_nc_u32_e32 v4, v21, v4
	v_add_nc_u32_e32 v10, 8, v10
	s_mov_b32 s14, -1
	ds_bpermute_b32 v4, v69, v4
	s_waitcnt lgkmcnt(0)
	v_cndmask_b32_e64 v4, v4, v21, s7
	s_delay_alu instid0(VALU_DEP_1) | instskip(NEXT) | instid1(VALU_DEP_1)
	v_cndmask_b32_e64 v21, v4, 0, s8
	v_add_nc_u32_e32 v22, v21, v22
	s_delay_alu instid0(VALU_DEP_1) | instskip(NEXT) | instid1(VALU_DEP_1)
	v_add_nc_u32_e32 v23, v22, v23
	v_add_nc_u32_e32 v24, v23, v24
	s_delay_alu instid0(VALU_DEP_1) | instskip(NEXT) | instid1(VALU_DEP_1)
	v_add_nc_u32_e32 v84, v24, v25
	v_add_nc_u32_e32 v85, v84, v18
	s_delay_alu instid0(VALU_DEP_1) | instskip(SKIP_1) | instid1(VALU_DEP_2)
	v_add_nc_u32_e32 v86, v85, v19
	v_mov_b32_e32 v19, v5
	v_add_nc_u32_e32 v87, v86, v20
	s_clause 0x1
	flat_store_b128 v[8:9], v[21:24] offset:32
	flat_store_b128 v[31:32], v[84:87] offset:16
	s_waitcnt lgkmcnt(0)
	s_waitcnt_vscnt null, 0x0
	s_barrier
	buffer_gl0_inv
	s_clause 0x1
	flat_load_b32 v4, v[64:65]
	flat_load_b32 v18, v[66:67]
	s_waitcnt vmcnt(0) lgkmcnt(0)
	s_waitcnt_vscnt null, 0x0
                                        ; implicit-def: $vgpr20_vgpr21
	s_waitcnt vmcnt(1) lgkmcnt(1)
	v_add_nc_u32_e32 v4, v4, v81
	s_waitcnt vmcnt(0) lgkmcnt(0)
	v_add3_u32 v18, v83, v82, v18
                                        ; implicit-def: $vgpr81
                                        ; implicit-def: $vgpr82
	s_delay_alu instid0(VALU_DEP_2) | instskip(NEXT) | instid1(VALU_DEP_2)
	v_lshlrev_b64 v[64:65], 2, v[4:5]
	v_lshlrev_b64 v[22:23], 2, v[18:19]
                                        ; implicit-def: $vgpr18_vgpr19
	s_delay_alu instid0(VALU_DEP_2) | instskip(NEXT) | instid1(VALU_DEP_1)
	v_add_co_u32 v66, s13, v12, v64
	v_add_co_ci_u32_e64 v67, s13, v13, v65, s13
	s_delay_alu instid0(VALU_DEP_3) | instskip(NEXT) | instid1(VALU_DEP_1)
	v_add_co_u32 v24, s13, v12, v22
	v_add_co_ci_u32_e64 v25, s13, v13, v23, s13
	s_mov_b32 s13, exec_lo
	v_cmpx_lt_u32_e64 v10, v11
	s_cbranch_execz .LBB504_324
; %bb.336:                              ;   in Loop: Header=BB504_325 Depth=1
	v_add_co_u32 v18, s12, v66, v64
	s_delay_alu instid0(VALU_DEP_1) | instskip(SKIP_1) | instid1(VALU_DEP_1)
	v_add_co_ci_u32_e64 v19, s12, v67, v65, s12
	v_add_co_u32 v20, s12, v24, v22
	v_add_co_ci_u32_e64 v21, s12, v25, v23, s12
	s_barrier
	buffer_gl0_inv
	s_clause 0x1
	flat_store_b32 v[66:67], v71
	flat_store_b32 v[24:25], v80
	s_waitcnt lgkmcnt(0)
	s_waitcnt_vscnt null, 0x0
	s_barrier
	buffer_gl0_inv
	s_clause 0x1
	flat_load_b32 v82, v[37:38]
	flat_load_b32 v81, v[37:38] offset:128
	s_waitcnt vmcnt(0) lgkmcnt(0)
	s_barrier
	buffer_gl0_inv
	s_clause 0x1
	flat_store_b64 v[18:19], v[54:55]
	flat_store_b64 v[20:21], v[52:53]
	s_waitcnt lgkmcnt(0)
	s_waitcnt_vscnt null, 0x0
	s_barrier
	buffer_gl0_inv
	s_clause 0x1
	flat_load_b64 v[18:19], v[50:51]
	flat_load_b64 v[20:21], v[50:51] offset:256
	v_add_nc_u32_e32 v70, -8, v70
	s_xor_b32 s14, exec_lo, -1
	s_waitcnt vmcnt(0) lgkmcnt(0)
	s_barrier
	buffer_gl0_inv
	s_branch .LBB504_324
.LBB504_337:
	flat_load_b64 v[18:19], v[4:5]
	s_or_b32 exec_lo, exec_lo, s3
                                        ; implicit-def: $vgpr20_vgpr21
	s_and_saveexec_b32 s3, s0
	s_cbranch_execz .LBB504_264
.LBB504_338:
	flat_load_b64 v[20:21], v[4:5] offset:256
	s_or_b32 exec_lo, exec_lo, s3
                                        ; implicit-def: $vgpr22_vgpr23
	s_and_saveexec_b32 s0, s1
	s_cbranch_execz .LBB504_265
.LBB504_339:
	flat_load_b64 v[22:23], v[4:5] offset:512
	s_or_b32 exec_lo, exec_lo, s0
                                        ; implicit-def: $vgpr24_vgpr25
	s_and_saveexec_b32 s0, s2
	s_cbranch_execnz .LBB504_266
	s_branch .LBB504_267
.LBB504_340:
	flat_store_b64 v[0:1], v[12:13]
	s_or_b32 exec_lo, exec_lo, s3
	s_and_saveexec_b32 s3, s0
	s_cbranch_execz .LBB504_309
.LBB504_341:
	flat_store_b64 v[0:1], v[10:11] offset:2048
	s_or_b32 exec_lo, exec_lo, s3
	s_and_saveexec_b32 s0, s2
	s_cbranch_execz .LBB504_310
.LBB504_342:
	v_add_co_u32 v2, vcc_lo, 0x1000, v0
	v_add_co_ci_u32_e32 v3, vcc_lo, 0, v1, vcc_lo
	flat_store_b64 v[2:3], v[8:9]
	s_or_b32 exec_lo, exec_lo, s0
	s_and_saveexec_b32 s0, s1
	s_cbranch_execnz .LBB504_311
	s_branch .LBB504_312
.LBB504_343:
	s_or_b32 exec_lo, exec_lo, s16
	v_add_co_u32 v4, vcc_lo, v66, v64
	v_add_co_ci_u32_e32 v5, vcc_lo, v67, v65, vcc_lo
	v_lshlrev_b32_e32 v8, 3, v26
	s_barrier
	buffer_gl0_inv
	s_clause 0x1
	flat_store_b32 v[66:67], v71
	flat_store_b32 v[24:25], v80
	s_waitcnt lgkmcnt(0)
	s_waitcnt_vscnt null, 0x0
	s_barrier
	buffer_gl0_inv
	s_clause 0x1
	flat_load_b32 v11, v[33:34]
	flat_load_b32 v10, v[33:34] offset:1024
	s_waitcnt vmcnt(0) lgkmcnt(0)
	s_barrier
	buffer_gl0_inv
	flat_store_b64 v[4:5], v[54:55]
	v_add_co_u32 v4, vcc_lo, v24, v22
	v_add_co_ci_u32_e32 v5, vcc_lo, v25, v23, vcc_lo
	v_add_co_u32 v12, vcc_lo, v12, v8
	v_add_co_ci_u32_e32 v13, vcc_lo, 0, v13, vcc_lo
	flat_store_b64 v[4:5], v[52:53]
	s_waitcnt lgkmcnt(0)
	s_waitcnt_vscnt null, 0x0
	s_barrier
	buffer_gl0_inv
	s_clause 0x1
	flat_load_b64 v[8:9], v[12:13]
	flat_load_b64 v[4:5], v[12:13] offset:2048
	v_mov_b32_e32 v28, 0
	v_add_co_u32 v2, vcc_lo, v2, v29
	v_add_co_ci_u32_e32 v3, vcc_lo, v3, v30, vcc_lo
	s_delay_alu instid0(VALU_DEP_3)
	v_lshlrev_b64 v[12:13], 2, v[27:28]
	s_waitcnt vmcnt(0) lgkmcnt(0)
	s_barrier
	buffer_gl0_inv
	v_add_co_u32 v2, vcc_lo, v2, v12
	v_add_co_ci_u32_e32 v3, vcc_lo, v3, v13, vcc_lo
	v_cmp_lt_u32_e32 vcc_lo, v27, v47
	s_and_saveexec_b32 s0, vcc_lo
	s_cbranch_execz .LBB504_345
; %bb.344:
	v_xor_b32_e32 v11, 0x7fffffff, v11
	flat_store_b32 v[2:3], v11
.LBB504_345:
	s_or_b32 exec_lo, exec_lo, s0
	v_add_nc_u32_e32 v11, 0x100, v27
	s_delay_alu instid0(VALU_DEP_1) | instskip(NEXT) | instid1(VALU_DEP_1)
	v_cmp_lt_u32_e64 s0, v11, v47
	s_and_saveexec_b32 s1, s0
	s_cbranch_execz .LBB504_347
; %bb.346:
	v_xor_b32_e32 v10, 0x7fffffff, v10
	flat_store_b32 v[2:3], v10 offset:1024
.LBB504_347:
	s_or_b32 exec_lo, exec_lo, s1
	v_lshlrev_b64 v[2:3], 3, v[27:28]
	v_add_co_u32 v0, s1, v6, v0
	s_delay_alu instid0(VALU_DEP_1) | instskip(NEXT) | instid1(VALU_DEP_2)
	v_add_co_ci_u32_e64 v1, s1, v7, v1, s1
	v_add_co_u32 v0, s1, v0, v2
	s_delay_alu instid0(VALU_DEP_1)
	v_add_co_ci_u32_e64 v1, s1, v1, v3, s1
	s_and_saveexec_b32 s1, vcc_lo
	s_cbranch_execz .LBB504_349
; %bb.348:
	flat_store_b64 v[0:1], v[8:9]
.LBB504_349:
	s_or_b32 exec_lo, exec_lo, s1
	s_and_saveexec_b32 s1, s0
	s_cbranch_execz .LBB504_351
; %bb.350:
	flat_store_b64 v[0:1], v[4:5] offset:2048
.LBB504_351:
	s_or_b32 exec_lo, exec_lo, s1
                                        ; implicit-def: $vgpr27_vgpr28
                                        ; implicit-def: $vgpr8_vgpr9
                                        ; implicit-def: $vgpr29_vgpr30
                                        ; implicit-def: $vgpr47
                                        ; implicit-def: $vgpr0
                                        ; implicit-def: $vgpr1
                                        ; implicit-def: $vgpr2
                                        ; implicit-def: $vgpr3
                                        ; implicit-def: $vgpr4
                                        ; implicit-def: $vgpr5
                                        ; implicit-def: $vgpr6
                                        ; implicit-def: $vgpr7
                                        ; implicit-def: $vgpr10
                                        ; implicit-def: $vgpr11
                                        ; implicit-def: $vgpr12
                                        ; implicit-def: $vgpr13
                                        ; implicit-def: $vgpr26
                                        ; implicit-def: $vgpr37
.LBB504_352:
	s_and_not1_saveexec_b32 s0, s15
	s_cbranch_execz .LBB504_372
; %bb.353:
	s_delay_alu instid0(VALU_DEP_2) | instskip(SKIP_1) | instid1(VALU_DEP_2)
	v_and_b32_e32 v14, 0xffffffe0, v27
	v_mov_b32_e32 v24, -1
	v_or_b32_e32 v15, v37, v14
	s_delay_alu instid0(VALU_DEP_1)
	v_cmp_lt_u32_e32 vcc_lo, v15, v47
	s_and_saveexec_b32 s1, vcc_lo
	s_cbranch_execz .LBB504_355
; %bb.354:
	v_dual_mov_b32 v15, 0 :: v_dual_lshlrev_b32 v16, 2, v37
	v_add_co_u32 v17, s0, v0, v29
	s_delay_alu instid0(VALU_DEP_1) | instskip(NEXT) | instid1(VALU_DEP_3)
	v_add_co_ci_u32_e64 v18, s0, v1, v30, s0
	v_lshlrev_b64 v[0:1], 2, v[14:15]
	s_delay_alu instid0(VALU_DEP_3) | instskip(NEXT) | instid1(VALU_DEP_1)
	v_add_co_u32 v15, s0, v17, v16
	v_add_co_ci_u32_e64 v16, s0, 0, v18, s0
	s_delay_alu instid0(VALU_DEP_2) | instskip(NEXT) | instid1(VALU_DEP_1)
	v_add_co_u32 v0, s0, v15, v0
	v_add_co_ci_u32_e64 v1, s0, v16, v1, s0
	flat_load_b32 v0, v[0:1]
	s_waitcnt vmcnt(0) lgkmcnt(0)
	v_xor_b32_e32 v24, 0x7fffffff, v0
.LBB504_355:
	s_or_b32 exec_lo, exec_lo, s1
	v_lshlrev_b64 v[0:1], 3, v[8:9]
                                        ; implicit-def: $vgpr18_vgpr19
	s_and_saveexec_b32 s0, vcc_lo
	s_cbranch_execz .LBB504_357
; %bb.356:
	v_dual_mov_b32 v15, 0 :: v_dual_lshlrev_b32 v8, 3, v37
	s_delay_alu instid0(VALU_DEP_2) | instskip(NEXT) | instid1(VALU_DEP_3)
	v_add_co_u32 v9, vcc_lo, v4, v0
	v_add_co_ci_u32_e32 v16, vcc_lo, v5, v1, vcc_lo
	s_delay_alu instid0(VALU_DEP_3) | instskip(NEXT) | instid1(VALU_DEP_3)
	v_lshlrev_b64 v[4:5], 3, v[14:15]
	v_add_co_u32 v8, vcc_lo, v9, v8
	s_delay_alu instid0(VALU_DEP_3) | instskip(NEXT) | instid1(VALU_DEP_2)
	v_add_co_ci_u32_e32 v9, vcc_lo, 0, v16, vcc_lo
	v_add_co_u32 v4, vcc_lo, v8, v4
	s_delay_alu instid0(VALU_DEP_2)
	v_add_co_ci_u32_e32 v5, vcc_lo, v9, v5, vcc_lo
	flat_load_b64 v[18:19], v[4:5]
.LBB504_357:
	s_or_b32 exec_lo, exec_lo, s0
	v_dual_mov_b32 v5, 0 :: v_dual_lshlrev_b32 v4, 5, v26
	s_mov_b32 s16, 0
	v_add_co_u32 v28, vcc_lo, v12, 32
	s_mov_b32 s17, s16
	s_mov_b32 s18, s16
	;; [unrolled: 1-line block ×3, first 2 shown]
	v_and_b32_e32 v15, 0x3e0, v26
	v_add_co_ci_u32_e32 v39, vcc_lo, 0, v13, vcc_lo
	v_add_co_u32 v8, vcc_lo, v12, v4
	v_add_co_ci_u32_e32 v9, vcc_lo, 0, v13, vcc_lo
	v_add_co_u32 v31, vcc_lo, v28, v4
	v_min_u32_e32 v4, 0xe0, v15
	v_and_b32_e32 v16, 16, v37
	v_add_nc_u32_e32 v17, -1, v37
	v_and_b32_e32 v14, 15, v37
	s_getpc_b64 s[0:1]
	s_add_u32 s0, s0, _ZN7rocprim17ROCPRIM_400000_NS16block_radix_sortIiLj256ELj1ElLj1ELj1ELj8ELNS0_26block_radix_rank_algorithmE2ELNS0_18block_padding_hintE2ELNS0_4arch9wavefront6targetE0EE19radix_bits_per_passE@rel32@lo+4
	s_addc_u32 s1, s1, _ZN7rocprim17ROCPRIM_400000_NS16block_radix_sortIiLj256ELj1ElLj1ELj1ELj8ELNS0_26block_radix_rank_algorithmE2ELNS0_18block_padding_hintE2ELNS0_4arch9wavefront6targetE0EE19radix_bits_per_passE@rel32@hi+12
	v_or_b32_e32 v4, 31, v4
	v_cmp_eq_u32_e64 s3, 0, v16
	v_cmp_gt_i32_e64 s4, 0, v17
	v_lshrrev_b32_e32 v16, 5, v26
	v_add_co_ci_u32_e32 v32, vcc_lo, 0, v39, vcc_lo
	s_load_b32 s15, s[0:1], 0x0
	v_cmp_eq_u32_e32 vcc_lo, 0, v14
	v_cmp_lt_u32_e64 s0, 1, v14
	v_cmp_lt_u32_e64 s1, 3, v14
	;; [unrolled: 1-line block ×3, first 2 shown]
	v_cndmask_b32_e64 v14, v17, v37, s4
	v_cmp_eq_u32_e64 s4, v4, v26
	v_lshlrev_b32_e32 v4, 2, v16
	v_or_b32_e32 v15, v37, v15
	v_cmp_eq_u32_e64 s7, 0, v37
	v_lshlrev_b32_e32 v65, 2, v14
	v_lshlrev_b32_e32 v14, 2, v26
	v_add_co_u32 v33, s9, v12, v4
	v_add_nc_u32_e32 v4, -1, v16
	v_lshlrev_b32_e32 v16, 2, v15
	v_add_co_ci_u32_e64 v34, s9, 0, v13, s9
	v_add_co_u32 v35, s9, v12, v14
	s_delay_alu instid0(VALU_DEP_4) | instskip(SKIP_2) | instid1(VALU_DEP_1)
	v_lshlrev_b64 v[14:15], 2, v[4:5]
	v_and_b32_e32 v17, 7, v37
	v_add_co_u32 v37, s12, v12, v16
	v_add_co_ci_u32_e64 v38, s12, 0, v13, s12
	s_delay_alu instid0(VALU_DEP_4) | instskip(NEXT) | instid1(VALU_DEP_1)
	v_add_co_u32 v48, s12, v12, v14
	v_add_co_ci_u32_e64 v49, s12, v13, v15, s12
	v_add_co_ci_u32_e64 v36, s9, 0, v13, s9
	v_add_co_u32 v50, s12, v37, v16
	v_cmp_eq_u32_e64 s9, 0, v17
	v_cmp_lt_u32_e64 s10, 1, v17
	v_cmp_lt_u32_e64 s11, 3, v17
	v_mov_b32_e32 v14, s16
	v_lshrrev_b32_e32 v64, 5, v27
	v_cmp_gt_u32_e64 s5, 8, v26
	v_cmp_lt_u32_e64 s6, 31, v26
	v_cmp_eq_u32_e64 s8, 0, v26
	v_add_co_ci_u32_e64 v51, s12, 0, v38, s12
	v_sub_nc_u32_e32 v66, v11, v10
	v_dual_mov_b32 v15, s17 :: v_dual_mov_b32 v16, s18
	v_mov_b32_e32 v17, s19
	s_waitcnt vmcnt(0) lgkmcnt(0)
	s_waitcnt_vscnt null, 0x0
	s_barrier
	buffer_gl0_inv
	s_branch .LBB504_359
.LBB504_358:                            ;   in Loop: Header=BB504_359 Depth=1
	s_or_b32 exec_lo, exec_lo, s13
	s_delay_alu instid0(SALU_CYCLE_1) | instskip(NEXT) | instid1(SALU_CYCLE_1)
	s_and_b32 s12, exec_lo, s14
	s_or_b32 s16, s12, s16
	s_delay_alu instid0(SALU_CYCLE_1)
	s_and_not1_b32 exec_lo, exec_lo, s16
	s_cbranch_execz .LBB504_369
.LBB504_359:                            ; =>This Inner Loop Header: Depth=1
	v_mov_b32_e32 v67, v24
	v_min_u32_e32 v4, s15, v66
	s_clause 0x1
	flat_store_b128 v[8:9], v[14:17] offset:32
	flat_store_b128 v[31:32], v[14:17] offset:16
	s_waitcnt lgkmcnt(0)
	s_waitcnt_vscnt null, 0x0
	s_barrier
	v_lshrrev_b32_e32 v20, v10, v67
	buffer_gl0_inv
	; wave barrier
	v_bfe_u32 v4, v20, 0, v4
	s_delay_alu instid0(VALU_DEP_1)
	v_and_b32_e32 v20, 1, v4
	v_lshlrev_b32_e32 v21, 30, v4
	v_lshlrev_b32_e32 v22, 29, v4
	;; [unrolled: 1-line block ×4, first 2 shown]
	v_add_co_u32 v20, s12, v20, -1
	s_delay_alu instid0(VALU_DEP_1)
	v_cndmask_b32_e64 v24, 0, 1, s12
	v_not_b32_e32 v54, v21
	v_cmp_gt_i32_e64 s13, 0, v21
	v_not_b32_e32 v21, v22
	v_lshlrev_b32_e32 v52, 26, v4
	v_cmp_ne_u32_e64 s12, 0, v24
	v_ashrrev_i32_e32 v54, 31, v54
	v_lshlrev_b32_e32 v53, 25, v4
	v_ashrrev_i32_e32 v21, 31, v21
	v_lshlrev_b32_e32 v24, 24, v4
	v_xor_b32_e32 v20, s12, v20
	v_cmp_gt_i32_e64 s12, 0, v22
	v_not_b32_e32 v22, v23
	v_xor_b32_e32 v54, s13, v54
	v_cmp_gt_i32_e64 s13, 0, v23
	v_and_b32_e32 v20, exec_lo, v20
	v_not_b32_e32 v23, v25
	v_ashrrev_i32_e32 v22, 31, v22
	v_xor_b32_e32 v21, s12, v21
	v_cmp_gt_i32_e64 s12, 0, v25
	v_and_b32_e32 v20, v20, v54
	v_not_b32_e32 v25, v52
	v_ashrrev_i32_e32 v23, 31, v23
	v_xor_b32_e32 v22, s13, v22
	v_cmp_gt_i32_e64 s13, 0, v52
	v_and_b32_e32 v20, v20, v21
	v_not_b32_e32 v21, v53
	v_ashrrev_i32_e32 v25, 31, v25
	v_xor_b32_e32 v23, s12, v23
	v_cmp_gt_i32_e64 s12, 0, v53
	v_dual_mov_b32 v53, v19 :: v_dual_and_b32 v20, v20, v22
	v_not_b32_e32 v22, v24
	v_ashrrev_i32_e32 v21, 31, v21
	v_xor_b32_e32 v25, s13, v25
	v_cmp_gt_i32_e64 s13, 0, v24
	v_and_b32_e32 v20, v20, v23
	v_ashrrev_i32_e32 v22, 31, v22
	v_xor_b32_e32 v21, s12, v21
	v_lshl_add_u32 v4, v4, 3, v64
	v_mov_b32_e32 v52, v18
	v_and_b32_e32 v20, v20, v25
	v_xor_b32_e32 v22, s13, v22
	s_delay_alu instid0(VALU_DEP_4) | instskip(NEXT) | instid1(VALU_DEP_3)
	v_lshlrev_b64 v[18:19], 2, v[4:5]
	v_and_b32_e32 v20, v20, v21
	s_delay_alu instid0(VALU_DEP_2) | instskip(NEXT) | instid1(VALU_DEP_2)
	v_add_co_u32 v54, s14, v28, v18
	v_and_b32_e32 v20, v20, v22
	s_delay_alu instid0(VALU_DEP_4) | instskip(NEXT) | instid1(VALU_DEP_2)
	v_add_co_ci_u32_e64 v55, s14, v39, v19, s14
	v_mbcnt_lo_u32_b32 v68, v20, 0
	v_cmp_ne_u32_e64 s12, 0, v20
	s_delay_alu instid0(VALU_DEP_2) | instskip(NEXT) | instid1(VALU_DEP_1)
	v_cmp_eq_u32_e64 s13, 0, v68
	s_and_b32 s13, s12, s13
	s_delay_alu instid0(SALU_CYCLE_1)
	s_and_saveexec_b32 s12, s13
	s_cbranch_execz .LBB504_361
; %bb.360:                              ;   in Loop: Header=BB504_359 Depth=1
	v_bcnt_u32_b32 v4, v20, 0
	flat_store_b32 v[54:55], v4
.LBB504_361:                            ;   in Loop: Header=BB504_359 Depth=1
	s_or_b32 exec_lo, exec_lo, s12
	; wave barrier
	s_waitcnt lgkmcnt(0)
	s_waitcnt_vscnt null, 0x0
	s_barrier
	buffer_gl0_inv
	s_clause 0x1
	flat_load_b128 v[22:25], v[8:9] offset:32
	flat_load_b128 v[18:21], v[31:32] offset:16
	s_waitcnt vmcnt(1) lgkmcnt(1)
	v_add_nc_u32_e32 v4, v23, v22
	s_delay_alu instid0(VALU_DEP_1) | instskip(SKIP_1) | instid1(VALU_DEP_1)
	v_add3_u32 v4, v4, v24, v25
	s_waitcnt vmcnt(0) lgkmcnt(0)
	v_add3_u32 v4, v4, v18, v19
	s_delay_alu instid0(VALU_DEP_1) | instskip(NEXT) | instid1(VALU_DEP_1)
	v_add3_u32 v4, v4, v20, v21
	v_mov_b32_dpp v21, v4 row_shr:1 row_mask:0xf bank_mask:0xf
	s_delay_alu instid0(VALU_DEP_1) | instskip(NEXT) | instid1(VALU_DEP_1)
	v_cndmask_b32_e64 v21, v21, 0, vcc_lo
	v_add_nc_u32_e32 v4, v21, v4
	s_delay_alu instid0(VALU_DEP_1) | instskip(NEXT) | instid1(VALU_DEP_1)
	v_mov_b32_dpp v21, v4 row_shr:2 row_mask:0xf bank_mask:0xf
	v_cndmask_b32_e64 v21, 0, v21, s0
	s_delay_alu instid0(VALU_DEP_1) | instskip(NEXT) | instid1(VALU_DEP_1)
	v_add_nc_u32_e32 v4, v4, v21
	v_mov_b32_dpp v21, v4 row_shr:4 row_mask:0xf bank_mask:0xf
	s_delay_alu instid0(VALU_DEP_1) | instskip(NEXT) | instid1(VALU_DEP_1)
	v_cndmask_b32_e64 v21, 0, v21, s1
	v_add_nc_u32_e32 v4, v4, v21
	s_delay_alu instid0(VALU_DEP_1) | instskip(NEXT) | instid1(VALU_DEP_1)
	v_mov_b32_dpp v21, v4 row_shr:8 row_mask:0xf bank_mask:0xf
	v_cndmask_b32_e64 v21, 0, v21, s2
	s_delay_alu instid0(VALU_DEP_1) | instskip(SKIP_3) | instid1(VALU_DEP_1)
	v_add_nc_u32_e32 v4, v4, v21
	ds_swizzle_b32 v21, v4 offset:swizzle(BROADCAST,32,15)
	s_waitcnt lgkmcnt(0)
	v_cndmask_b32_e64 v21, v21, 0, s3
	v_add_nc_u32_e32 v4, v4, v21
	s_and_saveexec_b32 s12, s4
	s_cbranch_execz .LBB504_363
; %bb.362:                              ;   in Loop: Header=BB504_359 Depth=1
	flat_store_b32 v[33:34], v4
.LBB504_363:                            ;   in Loop: Header=BB504_359 Depth=1
	s_or_b32 exec_lo, exec_lo, s12
	s_waitcnt lgkmcnt(0)
	s_waitcnt_vscnt null, 0x0
	s_barrier
	buffer_gl0_inv
	s_and_saveexec_b32 s12, s5
	s_cbranch_execz .LBB504_365
; %bb.364:                              ;   in Loop: Header=BB504_359 Depth=1
	flat_load_b32 v21, v[35:36]
	s_waitcnt vmcnt(0) lgkmcnt(0)
	v_mov_b32_dpp v69, v21 row_shr:1 row_mask:0xf bank_mask:0xf
	s_delay_alu instid0(VALU_DEP_1) | instskip(NEXT) | instid1(VALU_DEP_1)
	v_cndmask_b32_e64 v69, v69, 0, s9
	v_add_nc_u32_e32 v21, v69, v21
	s_delay_alu instid0(VALU_DEP_1) | instskip(NEXT) | instid1(VALU_DEP_1)
	v_mov_b32_dpp v69, v21 row_shr:2 row_mask:0xf bank_mask:0xf
	v_cndmask_b32_e64 v69, 0, v69, s10
	s_delay_alu instid0(VALU_DEP_1) | instskip(NEXT) | instid1(VALU_DEP_1)
	v_add_nc_u32_e32 v21, v21, v69
	v_mov_b32_dpp v69, v21 row_shr:4 row_mask:0xf bank_mask:0xf
	s_delay_alu instid0(VALU_DEP_1) | instskip(NEXT) | instid1(VALU_DEP_1)
	v_cndmask_b32_e64 v69, 0, v69, s11
	v_add_nc_u32_e32 v21, v21, v69
	flat_store_b32 v[35:36], v21
.LBB504_365:                            ;   in Loop: Header=BB504_359 Depth=1
	s_or_b32 exec_lo, exec_lo, s12
	v_mov_b32_e32 v21, 0
	s_waitcnt lgkmcnt(0)
	s_waitcnt_vscnt null, 0x0
	s_barrier
	buffer_gl0_inv
	s_and_saveexec_b32 s12, s6
	s_cbranch_execz .LBB504_367
; %bb.366:                              ;   in Loop: Header=BB504_359 Depth=1
	flat_load_b32 v21, v[48:49]
.LBB504_367:                            ;   in Loop: Header=BB504_359 Depth=1
	s_or_b32 exec_lo, exec_lo, s12
	s_waitcnt vmcnt(0) lgkmcnt(0)
	v_add_nc_u32_e32 v4, v21, v4
	v_add_nc_u32_e32 v10, 8, v10
	s_mov_b32 s14, -1
	ds_bpermute_b32 v4, v65, v4
	s_waitcnt lgkmcnt(0)
	v_cndmask_b32_e64 v4, v4, v21, s7
	s_delay_alu instid0(VALU_DEP_1) | instskip(NEXT) | instid1(VALU_DEP_1)
	v_cndmask_b32_e64 v21, v4, 0, s8
	v_add_nc_u32_e32 v22, v21, v22
	s_delay_alu instid0(VALU_DEP_1) | instskip(NEXT) | instid1(VALU_DEP_1)
	v_add_nc_u32_e32 v23, v22, v23
	v_add_nc_u32_e32 v24, v23, v24
	s_delay_alu instid0(VALU_DEP_1) | instskip(NEXT) | instid1(VALU_DEP_1)
	v_add_nc_u32_e32 v80, v24, v25
	v_add_nc_u32_e32 v81, v80, v18
	s_delay_alu instid0(VALU_DEP_1) | instskip(NEXT) | instid1(VALU_DEP_1)
	v_add_nc_u32_e32 v82, v81, v19
	v_add_nc_u32_e32 v83, v82, v20
	s_clause 0x1
	flat_store_b128 v[8:9], v[21:24] offset:32
	flat_store_b128 v[31:32], v[80:83] offset:16
	s_waitcnt lgkmcnt(0)
	s_waitcnt_vscnt null, 0x0
	s_barrier
	buffer_gl0_inv
	flat_load_b32 v4, v[54:55]
	s_waitcnt vmcnt(0) lgkmcnt(0)
	s_waitcnt_vscnt null, 0x0
                                        ; implicit-def: $vgpr24
	s_waitcnt vmcnt(0) lgkmcnt(0)
	v_add_nc_u32_e32 v4, v4, v68
	s_delay_alu instid0(VALU_DEP_1) | instskip(NEXT) | instid1(VALU_DEP_1)
	v_lshlrev_b64 v[18:19], 2, v[4:5]
	v_add_co_u32 v22, s12, v12, v18
	s_delay_alu instid0(VALU_DEP_1) | instskip(NEXT) | instid1(VALU_DEP_2)
	v_add_co_ci_u32_e64 v23, s12, v13, v19, s12
	v_add_co_u32 v20, s13, v22, v18
	s_delay_alu instid0(VALU_DEP_1)
	v_add_co_ci_u32_e64 v21, s13, v23, v19, s13
	s_mov_b32 s13, exec_lo
                                        ; implicit-def: $vgpr18_vgpr19
	v_cmpx_lt_u32_e64 v10, v11
	s_cbranch_execz .LBB504_358
; %bb.368:                              ;   in Loop: Header=BB504_359 Depth=1
	s_barrier
	buffer_gl0_inv
	flat_store_b32 v[22:23], v67
	s_waitcnt lgkmcnt(0)
	s_waitcnt_vscnt null, 0x0
	s_barrier
	buffer_gl0_inv
	flat_load_b32 v24, v[37:38]
	s_waitcnt vmcnt(0) lgkmcnt(0)
	s_barrier
	buffer_gl0_inv
	flat_store_b64 v[20:21], v[52:53]
	s_waitcnt lgkmcnt(0)
	s_waitcnt_vscnt null, 0x0
	s_barrier
	buffer_gl0_inv
	flat_load_b64 v[18:19], v[50:51]
	v_add_nc_u32_e32 v66, -8, v66
	s_xor_b32 s14, exec_lo, -1
	s_waitcnt vmcnt(0) lgkmcnt(0)
	s_barrier
	buffer_gl0_inv
	s_branch .LBB504_358
.LBB504_369:
	s_or_b32 exec_lo, exec_lo, s16
	v_lshlrev_b32_e32 v4, 3, v26
	s_barrier
	buffer_gl0_inv
	flat_store_b32 v[22:23], v67
	s_waitcnt lgkmcnt(0)
	s_waitcnt_vscnt null, 0x0
	v_add_co_u32 v4, vcc_lo, v12, v4
	v_add_co_ci_u32_e32 v5, vcc_lo, 0, v13, vcc_lo
	s_barrier
	buffer_gl0_inv
	flat_load_b32 v8, v[35:36]
	s_waitcnt vmcnt(0) lgkmcnt(0)
	s_barrier
	buffer_gl0_inv
	flat_store_b64 v[20:21], v[52:53]
	s_waitcnt lgkmcnt(0)
	s_waitcnt_vscnt null, 0x0
	s_barrier
	buffer_gl0_inv
	flat_load_b64 v[4:5], v[4:5]
	v_mov_b32_e32 v28, 0
	s_mov_b32 s0, exec_lo
	s_waitcnt vmcnt(0) lgkmcnt(0)
	s_barrier
	buffer_gl0_inv
	v_cmpx_lt_u32_e64 v27, v47
	s_cbranch_execz .LBB504_371
; %bb.370:
	v_lshlrev_b64 v[9:10], 2, v[27:28]
	v_add_co_u32 v2, vcc_lo, v2, v29
	v_add_co_ci_u32_e32 v3, vcc_lo, v3, v30, vcc_lo
	s_delay_alu instid0(VALU_DEP_2) | instskip(NEXT) | instid1(VALU_DEP_2)
	v_add_co_u32 v2, vcc_lo, v2, v9
	v_add_co_ci_u32_e32 v3, vcc_lo, v3, v10, vcc_lo
	v_lshlrev_b64 v[9:10], 3, v[27:28]
	v_add_co_u32 v0, vcc_lo, v6, v0
	v_add_co_ci_u32_e32 v1, vcc_lo, v7, v1, vcc_lo
	v_xor_b32_e32 v6, 0x7fffffff, v8
	s_delay_alu instid0(VALU_DEP_3) | instskip(NEXT) | instid1(VALU_DEP_3)
	v_add_co_u32 v0, vcc_lo, v0, v9
	v_add_co_ci_u32_e32 v1, vcc_lo, v1, v10, vcc_lo
	flat_store_b32 v[2:3], v6
	flat_store_b64 v[0:1], v[4:5]
.LBB504_371:
	s_or_b32 exec_lo, exec_lo, s0
.LBB504_372:
	s_delay_alu instid0(SALU_CYCLE_1)
	s_or_b32 exec_lo, exec_lo, s24
	s_clause 0x1f
	scratch_load_b32 v205, off, s32
	scratch_load_b32 v204, off, s32 offset:4
	scratch_load_b32 v203, off, s32 offset:8
	;; [unrolled: 1-line block ×31, first 2 shown]
	s_clause 0x1f
	scratch_load_b32 v141, off, s32 offset:128
	scratch_load_b32 v140, off, s32 offset:132
	;; [unrolled: 1-line block ×32, first 2 shown]
	s_clause 0x15
	scratch_load_b32 v77, off, s32 offset:256
	scratch_load_b32 v76, off, s32 offset:260
	;; [unrolled: 1-line block ×22, first 2 shown]
	v_readlane_b32 s43, v206, 7
	v_readlane_b32 s42, v206, 6
	;; [unrolled: 1-line block ×8, first 2 shown]
	s_or_saveexec_b32 s0, -1
	scratch_load_b32 v206, off, s32 offset:344 ; 4-byte Folded Reload
	s_mov_b32 exec_lo, s0
	s_waitcnt vmcnt(0) lgkmcnt(0)
	s_setpc_b64 s[30:31]
.Lfunc_end504:
	.size	_ZN7rocprim17ROCPRIM_400000_NS6detail40segmented_radix_sort_single_block_helperIilLj256ELj16ELb1EE4sortIPKiPiPKlPlEEbT_T0_T1_T2_jjjjRNS3_12storage_typeE, .Lfunc_end504-_ZN7rocprim17ROCPRIM_400000_NS6detail40segmented_radix_sort_single_block_helperIilLj256ELj16ELb1EE4sortIPKiPiPKlPlEEbT_T0_T1_T2_jjjjRNS3_12storage_typeE
                                        ; -- End function
	.section	.AMDGPU.csdata,"",@progbits
; Function info:
; codeLenInByte = 33512
; NumSgprs: 46
; NumVgprs: 248
; ScratchSize: 352
; MemoryBound: 1
	.section	.text._ZN7rocprim17ROCPRIM_400000_NS6detail17trampoline_kernelINS0_14default_configENS1_36segmented_radix_sort_config_selectorIilEEZNS1_25segmented_radix_sort_implIS3_Lb1EPKiPiPKlPlN2at6native12_GLOBAL__N_18offset_tEEE10hipError_tPvRmT1_PNSt15iterator_traitsISK_E10value_typeET2_T3_PNSL_ISQ_E10value_typeET4_jRbjT5_SW_jjP12ihipStream_tbEUlT_E_NS1_11comp_targetILNS1_3genE9ELNS1_11target_archE1100ELNS1_3gpuE3ELNS1_3repE0EEENS1_30default_config_static_selectorELNS0_4arch9wavefront6targetE0EEEvSK_,"axG",@progbits,_ZN7rocprim17ROCPRIM_400000_NS6detail17trampoline_kernelINS0_14default_configENS1_36segmented_radix_sort_config_selectorIilEEZNS1_25segmented_radix_sort_implIS3_Lb1EPKiPiPKlPlN2at6native12_GLOBAL__N_18offset_tEEE10hipError_tPvRmT1_PNSt15iterator_traitsISK_E10value_typeET2_T3_PNSL_ISQ_E10value_typeET4_jRbjT5_SW_jjP12ihipStream_tbEUlT_E_NS1_11comp_targetILNS1_3genE9ELNS1_11target_archE1100ELNS1_3gpuE3ELNS1_3repE0EEENS1_30default_config_static_selectorELNS0_4arch9wavefront6targetE0EEEvSK_,comdat
	.globl	_ZN7rocprim17ROCPRIM_400000_NS6detail17trampoline_kernelINS0_14default_configENS1_36segmented_radix_sort_config_selectorIilEEZNS1_25segmented_radix_sort_implIS3_Lb1EPKiPiPKlPlN2at6native12_GLOBAL__N_18offset_tEEE10hipError_tPvRmT1_PNSt15iterator_traitsISK_E10value_typeET2_T3_PNSL_ISQ_E10value_typeET4_jRbjT5_SW_jjP12ihipStream_tbEUlT_E_NS1_11comp_targetILNS1_3genE9ELNS1_11target_archE1100ELNS1_3gpuE3ELNS1_3repE0EEENS1_30default_config_static_selectorELNS0_4arch9wavefront6targetE0EEEvSK_ ; -- Begin function _ZN7rocprim17ROCPRIM_400000_NS6detail17trampoline_kernelINS0_14default_configENS1_36segmented_radix_sort_config_selectorIilEEZNS1_25segmented_radix_sort_implIS3_Lb1EPKiPiPKlPlN2at6native12_GLOBAL__N_18offset_tEEE10hipError_tPvRmT1_PNSt15iterator_traitsISK_E10value_typeET2_T3_PNSL_ISQ_E10value_typeET4_jRbjT5_SW_jjP12ihipStream_tbEUlT_E_NS1_11comp_targetILNS1_3genE9ELNS1_11target_archE1100ELNS1_3gpuE3ELNS1_3repE0EEENS1_30default_config_static_selectorELNS0_4arch9wavefront6targetE0EEEvSK_
	.p2align	8
	.type	_ZN7rocprim17ROCPRIM_400000_NS6detail17trampoline_kernelINS0_14default_configENS1_36segmented_radix_sort_config_selectorIilEEZNS1_25segmented_radix_sort_implIS3_Lb1EPKiPiPKlPlN2at6native12_GLOBAL__N_18offset_tEEE10hipError_tPvRmT1_PNSt15iterator_traitsISK_E10value_typeET2_T3_PNSL_ISQ_E10value_typeET4_jRbjT5_SW_jjP12ihipStream_tbEUlT_E_NS1_11comp_targetILNS1_3genE9ELNS1_11target_archE1100ELNS1_3gpuE3ELNS1_3repE0EEENS1_30default_config_static_selectorELNS0_4arch9wavefront6targetE0EEEvSK_,@function
_ZN7rocprim17ROCPRIM_400000_NS6detail17trampoline_kernelINS0_14default_configENS1_36segmented_radix_sort_config_selectorIilEEZNS1_25segmented_radix_sort_implIS3_Lb1EPKiPiPKlPlN2at6native12_GLOBAL__N_18offset_tEEE10hipError_tPvRmT1_PNSt15iterator_traitsISK_E10value_typeET2_T3_PNSL_ISQ_E10value_typeET4_jRbjT5_SW_jjP12ihipStream_tbEUlT_E_NS1_11comp_targetILNS1_3genE9ELNS1_11target_archE1100ELNS1_3gpuE3ELNS1_3repE0EEENS1_30default_config_static_selectorELNS0_4arch9wavefront6targetE0EEEvSK_: ; @_ZN7rocprim17ROCPRIM_400000_NS6detail17trampoline_kernelINS0_14default_configENS1_36segmented_radix_sort_config_selectorIilEEZNS1_25segmented_radix_sort_implIS3_Lb1EPKiPiPKlPlN2at6native12_GLOBAL__N_18offset_tEEE10hipError_tPvRmT1_PNSt15iterator_traitsISK_E10value_typeET2_T3_PNSL_ISQ_E10value_typeET4_jRbjT5_SW_jjP12ihipStream_tbEUlT_E_NS1_11comp_targetILNS1_3genE9ELNS1_11target_archE1100ELNS1_3gpuE3ELNS1_3repE0EEENS1_30default_config_static_selectorELNS0_4arch9wavefront6targetE0EEEvSK_
; %bb.0:
	s_clause 0x1
	s_load_b64 s[2:3], s[0:1], 0x38
	s_load_b128 s[4:7], s[0:1], 0x40
	s_mov_b32 s26, s14
	s_mov_b32 s27, 0
	;; [unrolled: 1-line block ×3, first 2 shown]
	s_lshl_b64 s[8:9], s[26:27], 2
	s_waitcnt lgkmcnt(0)
	s_add_u32 s2, s2, s8
	s_addc_u32 s3, s3, s9
	s_load_b32 s2, s[2:3], 0x0
	s_waitcnt lgkmcnt(0)
	s_add_i32 s60, s2, s5
	s_add_i32 s61, s2, s7
	s_mul_i32 s60, s60, s4
	s_mul_i32 s61, s61, s6
	s_delay_alu instid0(SALU_CYCLE_1)
	s_cmp_le_u32 s61, s60
	s_cbranch_scc1 .LBB505_1190
; %bb.1:
	s_clause 0x3
	s_load_b32 s2, s[0:1], 0x30
	s_load_b128 s[52:55], s[0:1], 0x20
	s_load_b128 s[56:59], s[0:1], 0x50
	s_load_b256 s[44:51], s[0:1], 0x0
	s_waitcnt lgkmcnt(0)
	s_bitcmp1_b32 s2, 0
	s_mov_b32 s2, -1
	s_cselect_b32 s59, -1, 0
	s_sub_i32 s62, s61, s60
	s_delay_alu instid0(SALU_CYCLE_1)
	s_cmpk_lt_u32 s62, 0x1001
	s_cbranch_scc0 .LBB505_7
; %bb.2:
	v_cndmask_b32_e64 v1, 0, 1, s59
	s_and_b32 s2, s56, 1
	s_delay_alu instid0(VALU_DEP_1) | instid1(SALU_CYCLE_1)
	v_cmp_ne_u32_e32 vcc_lo, s2, v1
	s_mov_b32 s2, -1
	s_cbranch_vccnz .LBB505_4
; %bb.3:
	s_mov_b64 s[2:3], src_shared_base
	v_mov_b32_e32 v31, v0
	v_dual_mov_b32 v40, v0 :: v_dual_mov_b32 v1, s45
	v_mov_b32_e32 v0, s44
	v_dual_mov_b32 v2, s48 :: v_dual_mov_b32 v3, s49
	v_dual_mov_b32 v4, s50 :: v_dual_mov_b32 v5, s51
	;; [unrolled: 1-line block ×6, first 2 shown]
	s_add_u32 s8, s0, 0x60
	s_addc_u32 s9, s1, 0
	s_mov_b32 s12, s26
	s_mov_b32 s13, s15
	s_getpc_b64 s[4:5]
	s_add_u32 s4, s4, _ZN7rocprim17ROCPRIM_400000_NS6detail40segmented_radix_sort_single_block_helperIilLj256ELj16ELb1EE4sortIPKiPiPKlPlEEbT_T0_T1_T2_jjjjRNS3_12storage_typeE@rel32@lo+4
	s_addc_u32 s5, s5, _ZN7rocprim17ROCPRIM_400000_NS6detail40segmented_radix_sort_single_block_helperIilLj256ELj16ELb1EE4sortIPKiPiPKlPlEEbT_T0_T1_T2_jjjjRNS3_12storage_typeE@rel32@hi+12
	s_mov_b64 s[28:29], s[0:1]
	s_mov_b32 s27, s15
	s_swappc_b64 s[30:31], s[4:5]
	v_mov_b32_e32 v0, v40
	s_mov_b32 s15, s27
	s_mov_b64 s[0:1], s[28:29]
	s_mov_b32 s2, 0
.LBB505_4:
	s_delay_alu instid0(SALU_CYCLE_1)
	s_and_not1_b32 vcc_lo, exec_lo, s2
	s_cbranch_vccnz .LBB505_6
; %bb.5:
	s_mov_b64 s[2:3], src_shared_base
	v_mov_b32_e32 v31, v0
	v_dual_mov_b32 v40, v0 :: v_dual_mov_b32 v1, s45
	v_mov_b32_e32 v0, s44
	v_dual_mov_b32 v2, s46 :: v_dual_mov_b32 v3, s47
	v_dual_mov_b32 v4, s50 :: v_dual_mov_b32 v5, s51
	;; [unrolled: 1-line block ×6, first 2 shown]
	s_add_u32 s8, s0, 0x60
	s_addc_u32 s9, s1, 0
	s_mov_b32 s12, s26
	s_mov_b32 s13, s15
	s_getpc_b64 s[4:5]
	s_add_u32 s4, s4, _ZN7rocprim17ROCPRIM_400000_NS6detail40segmented_radix_sort_single_block_helperIilLj256ELj16ELb1EE4sortIPKiPiPKlPlEEbT_T0_T1_T2_jjjjRNS3_12storage_typeE@rel32@lo+4
	s_addc_u32 s5, s5, _ZN7rocprim17ROCPRIM_400000_NS6detail40segmented_radix_sort_single_block_helperIilLj256ELj16ELb1EE4sortIPKiPiPKlPlEEbT_T0_T1_T2_jjjjRNS3_12storage_typeE@rel32@hi+12
	s_mov_b64 s[28:29], s[0:1]
	s_mov_b32 s27, s15
	s_swappc_b64 s[30:31], s[4:5]
	v_mov_b32_e32 v0, v40
	s_mov_b32 s15, s27
	s_mov_b64 s[0:1], s[28:29]
.LBB505_6:
	s_mov_b32 s2, 0
.LBB505_7:
	s_delay_alu instid0(SALU_CYCLE_1)
	s_and_not1_b32 vcc_lo, exec_lo, s2
	s_cbranch_vccnz .LBB505_1190
; %bb.8:
	s_cmp_ge_u32 s57, s58
	s_cbranch_scc1 .LBB505_1190
; %bb.9:
	v_dual_mov_b32 v92, 1 :: v_dual_and_b32 v1, 0x3ff, v0
	v_mov_b32_e32 v3, 0
	v_bfe_u32 v69, v0, 20, 10
	v_bfe_u32 v0, v0, 10, 10
	s_delay_alu instid0(VALU_DEP_4)
	v_lshlrev_b32_e32 v44, 2, v1
	v_lshrrev_b32_e32 v2, 3, v1
	v_or_b32_e32 v4, 31, v1
	v_lshlrev_b32_e32 v5, 5, v1
	v_or_b32_e32 v51, 0x400, v1
	v_or_b32_e32 v52, 0x500, v1
	v_and_b32_e32 v62, 28, v2
	v_lshlrev_b32_e32 v2, 4, v1
	v_cmp_eq_u32_e64 s3, v4, v1
	v_add_nc_u32_e32 v4, 1, v1
	v_sub_nc_u32_e32 v72, 0, v5
	v_or_b32_e32 v53, 0x600, v1
	v_and_b32_e32 v68, 0xe00, v2
	v_mul_u32_u24_e32 v2, 9, v1
	v_or_b32_e32 v54, 0x700, v1
	v_or_b32_e32 v55, 0x800, v1
	;; [unrolled: 1-line block ×3, first 2 shown]
	v_lshlrev_b32_e32 v5, 3, v68
	v_lshl_add_u32 v71, v2, 2, 0x420
	v_mul_u32_u24_e32 v2, 9, v4
	v_or_b32_e32 v57, 0xa00, v1
	v_or_b32_e32 v58, 0xb00, v1
	v_add_co_u32 v74, s8, s54, v5
	s_delay_alu instid0(VALU_DEP_4) | instskip(SKIP_4) | instid1(VALU_DEP_4)
	v_lshlrev_b32_e32 v73, 2, v2
	v_lshlrev_b32_e32 v2, 2, v68
	v_add_co_ci_u32_e64 v75, null, s55, 0, s8
	v_or_b32_e32 v59, 0xc00, v1
	v_or_b32_e32 v60, 0xd00, v1
	v_add_co_u32 v76, s8, s48, v2
	s_delay_alu instid0(VALU_DEP_1) | instskip(SKIP_1) | instid1(VALU_DEP_1)
	v_add_co_ci_u32_e64 v77, null, s49, 0, s8
	v_add_co_u32 v80, s8, s46, v44
	v_add_co_ci_u32_e64 v81, null, s47, 0, s8
	v_add_co_u32 v82, s8, s52, v5
	s_delay_alu instid0(VALU_DEP_1) | instskip(SKIP_1) | instid1(VALU_DEP_1)
	v_add_co_ci_u32_e64 v83, null, s53, 0, s8
	v_add_co_u32 v84, s8, s46, v2
	v_add_co_ci_u32_e64 v85, null, s47, 0, s8
	v_add_co_u32 v86, s8, s44, v44
	v_or_b32_e32 v61, 0xe00, v1
	v_or_b32_e32 v63, 0xf00, v1
	v_mad_u32_u24 v64, v1, 12, v44
	v_add_co_ci_u32_e64 v87, null, s45, 0, s8
	v_add_co_u32 v88, s8, s50, v5
	v_add_co_u32 v49, s2, s48, v44
	v_add_co_ci_u32_e64 v89, null, s51, 0, s8
	v_add_co_u32 v90, s8, s44, v2
	v_or_b32_e32 v45, 0x100, v1
	v_or_b32_e32 v46, 0x200, v1
	;; [unrolled: 1-line block ×3, first 2 shown]
	v_and_b32_e32 v48, 3, v1
	v_add_co_ci_u32_e64 v50, null, s49, 0, s2
	v_cmp_gt_u32_e64 s2, 0x100, v1
	v_or_b32_e32 v65, 0x8400, v62
	v_cmp_gt_u32_e64 s4, 8, v1
	v_add_nc_u32_e32 v66, 0x8400, v44
	v_cmp_lt_u32_e64 s5, 31, v1
	v_add_nc_u32_e32 v67, 0x83fc, v62
	v_mad_u32_u24 v70, v1, 20, v64
	v_cmp_eq_u32_e64 s6, 0, v1
	v_cmp_ne_u32_e64 s7, 0x100, v4
	v_add_nc_u32_e32 v78, 0x400, v44
	v_lshlrev_b32_e32 v79, 3, v1
	v_add_co_ci_u32_e64 v91, null, s45, 0, s8
	v_lshlrev_b32_e32 v93, 2, v1
	v_lshlrev_b32_e32 v94, 2, v51
	;; [unrolled: 1-line block ×13, first 2 shown]
	v_mbcnt_lo_u32_b32 v106, -1, 0
	s_add_u32 s36, s0, 0x60
	s_mov_b32 s35, 0
	s_addc_u32 s37, s1, 0
	s_mov_b32 s38, s57
	s_branch .LBB505_12
.LBB505_10:                             ;   in Loop: Header=BB505_12 Depth=1
	s_waitcnt lgkmcnt(0)
	s_barrier
.LBB505_11:                             ;   in Loop: Header=BB505_12 Depth=1
	s_add_i32 s38, s38, 8
	buffer_gl0_inv
	s_cmp_ge_u32 s38, s58
	s_cbranch_scc1 .LBB505_1190
.LBB505_12:                             ; =>This Loop Header: Depth=1
                                        ;     Child Loop BB505_16 Depth 2
                                        ;     Child Loop BB505_98 Depth 2
	;; [unrolled: 1-line block ×8, first 2 shown]
	s_sub_i32 s0, s58, s38
	s_xor_b32 s59, s59, -1
	s_min_u32 s0, s0, 8
	ds_store_2addr_stride64_b32 v44, v3, v3 offset1:4
	s_lshl_b32 s0, -1, s0
	ds_store_2addr_stride64_b32 v44, v3, v3 offset0:8 offset1:12
	s_not_b32 s39, s0
	s_cmp_lg_u32 s38, s57
	s_mov_b32 s0, -1
	s_waitcnt lgkmcnt(0)
	s_waitcnt_vscnt null, 0x0
	s_cbranch_scc0 .LBB505_602
; %bb.13:                               ;   in Loop: Header=BB505_12 Depth=1
	s_and_b32 vcc_lo, exec_lo, s59
	s_cbranch_vccz .LBB505_307
; %bb.14:                               ;   in Loop: Header=BB505_12 Depth=1
	s_mov_b32 s8, s62
	s_mov_b32 s34, s60
	s_barrier
	buffer_gl0_inv
                                        ; implicit-def: $vgpr20
                                        ; implicit-def: $vgpr2
                                        ; implicit-def: $vgpr6
                                        ; implicit-def: $vgpr7
                                        ; implicit-def: $vgpr8
                                        ; implicit-def: $vgpr9
                                        ; implicit-def: $vgpr10
                                        ; implicit-def: $vgpr11
                                        ; implicit-def: $vgpr12
                                        ; implicit-def: $vgpr13
                                        ; implicit-def: $vgpr14
                                        ; implicit-def: $vgpr15
                                        ; implicit-def: $vgpr16
                                        ; implicit-def: $vgpr17
                                        ; implicit-def: $vgpr18
                                        ; implicit-def: $vgpr19
	s_branch .LBB505_16
.LBB505_15:                             ;   in Loop: Header=BB505_16 Depth=2
	s_or_b32 exec_lo, exec_lo, s0
	s_addk_i32 s8, 0xf000
	s_cmp_ge_u32 s9, s61
	s_mov_b32 s34, s9
	s_cbranch_scc1 .LBB505_86
.LBB505_16:                             ;   Parent Loop BB505_12 Depth=1
                                        ; =>  This Inner Loop Header: Depth=2
	s_add_i32 s9, s34, 0x1000
	s_delay_alu instid0(SALU_CYCLE_1)
	s_cmp_gt_u32 s9, s61
	s_cbranch_scc1 .LBB505_19
; %bb.17:                               ;   in Loop: Header=BB505_16 Depth=2
	s_mov_b32 s1, 0
	s_mov_b32 s0, s34
	s_delay_alu instid0(SALU_CYCLE_1) | instskip(NEXT) | instid1(SALU_CYCLE_1)
	s_lshl_b64 s[10:11], s[0:1], 2
	v_add_co_u32 v4, vcc_lo, v49, s10
	v_add_co_ci_u32_e32 v5, vcc_lo, s11, v50, vcc_lo
	s_movk_i32 s11, 0x1000
	s_waitcnt vmcnt(1)
	s_delay_alu instid0(VALU_DEP_2) | instskip(NEXT) | instid1(VALU_DEP_2)
	v_add_co_u32 v29, vcc_lo, 0x1000, v4
	v_add_co_ci_u32_e32 v30, vcc_lo, 0, v5, vcc_lo
	s_waitcnt vmcnt(0)
	v_add_co_u32 v36, vcc_lo, v4, 0x2000
	v_add_co_ci_u32_e32 v37, vcc_lo, 0, v5, vcc_lo
	v_add_co_u32 v33, vcc_lo, 0x2000, v4
	v_add_co_ci_u32_e32 v34, vcc_lo, 0, v5, vcc_lo
	v_add_co_u32 v38, vcc_lo, 0x3000, v4
	global_load_b32 v26, v[36:37], off
	v_add_co_ci_u32_e32 v39, vcc_lo, 0, v5, vcc_lo
	s_clause 0xd
	global_load_b32 v22, v[4:5], off
	global_load_b32 v23, v[4:5], off offset:1024
	global_load_b32 v24, v[4:5], off offset:2048
	;; [unrolled: 1-line block ×9, first 2 shown]
	global_load_b32 v34, v[38:39], off
	global_load_b32 v35, v[38:39], off offset:1024
	global_load_b32 v29, v[36:37], off offset:-4096
	global_load_b32 v36, v[38:39], off offset:2048
	v_add_co_u32 v4, vcc_lo, 0x3c00, v4
	v_add_co_ci_u32_e32 v5, vcc_lo, 0, v5, vcc_lo
	s_mov_b32 s10, -1
	s_cbranch_execz .LBB505_20
; %bb.18:                               ;   in Loop: Header=BB505_16 Depth=2
                                        ; implicit-def: $vgpr19
                                        ; implicit-def: $vgpr18
                                        ; implicit-def: $vgpr17
                                        ; implicit-def: $vgpr16
                                        ; implicit-def: $vgpr15
                                        ; implicit-def: $vgpr14
                                        ; implicit-def: $vgpr13
                                        ; implicit-def: $vgpr12
                                        ; implicit-def: $vgpr11
                                        ; implicit-def: $vgpr10
                                        ; implicit-def: $vgpr9
                                        ; implicit-def: $vgpr8
                                        ; implicit-def: $vgpr7
                                        ; implicit-def: $vgpr6
                                        ; implicit-def: $vgpr2
                                        ; implicit-def: $vgpr20
	v_mov_b32_e32 v21, s8
	s_and_saveexec_b32 s0, s10
	s_cbranch_execnz .LBB505_39
	s_branch .LBB505_40
.LBB505_19:                             ;   in Loop: Header=BB505_16 Depth=2
	s_mov_b32 s10, 0
                                        ; implicit-def: $sgpr11
                                        ; implicit-def: $vgpr22
                                        ; implicit-def: $vgpr23
                                        ; implicit-def: $vgpr24
                                        ; implicit-def: $vgpr25
                                        ; implicit-def: $vgpr29
                                        ; implicit-def: $vgpr27
                                        ; implicit-def: $vgpr28
                                        ; implicit-def: $vgpr30
                                        ; implicit-def: $vgpr26
                                        ; implicit-def: $vgpr31
                                        ; implicit-def: $vgpr32
                                        ; implicit-def: $vgpr33
                                        ; implicit-def: $vgpr34
                                        ; implicit-def: $vgpr35
                                        ; implicit-def: $vgpr36
                                        ; implicit-def: $vgpr4_vgpr5
.LBB505_20:                             ;   in Loop: Header=BB505_16 Depth=2
	s_lshl_b64 s[0:1], s[34:35], 2
	s_mov_b32 s11, exec_lo
	s_add_u32 s0, s48, s0
	s_addc_u32 s1, s49, s1
	v_cmpx_gt_u32_e64 s8, v1
	s_cbranch_execz .LBB505_72
; %bb.21:                               ;   in Loop: Header=BB505_16 Depth=2
	global_load_b32 v19, v93, s[0:1]
	s_or_b32 exec_lo, exec_lo, s11
	s_delay_alu instid0(SALU_CYCLE_1)
	s_mov_b32 s11, exec_lo
	v_cmpx_gt_u32_e64 s8, v45
	s_cbranch_execnz .LBB505_73
.LBB505_22:                             ;   in Loop: Header=BB505_16 Depth=2
	s_or_b32 exec_lo, exec_lo, s11
	s_delay_alu instid0(SALU_CYCLE_1)
	s_mov_b32 s11, exec_lo
	v_cmpx_gt_u32_e64 s8, v46
	s_cbranch_execz .LBB505_74
.LBB505_23:                             ;   in Loop: Header=BB505_16 Depth=2
	global_load_b32 v17, v93, s[0:1] offset:2048
	s_or_b32 exec_lo, exec_lo, s11
	s_delay_alu instid0(SALU_CYCLE_1)
	s_mov_b32 s11, exec_lo
	v_cmpx_gt_u32_e64 s8, v47
	s_cbranch_execnz .LBB505_75
.LBB505_24:                             ;   in Loop: Header=BB505_16 Depth=2
	s_or_b32 exec_lo, exec_lo, s11
	s_delay_alu instid0(SALU_CYCLE_1)
	s_mov_b32 s11, exec_lo
	v_cmpx_gt_u32_e64 s8, v51
	s_cbranch_execz .LBB505_76
.LBB505_25:                             ;   in Loop: Header=BB505_16 Depth=2
	global_load_b32 v15, v94, s[0:1]
	s_or_b32 exec_lo, exec_lo, s11
	s_delay_alu instid0(SALU_CYCLE_1)
	s_mov_b32 s11, exec_lo
	v_cmpx_gt_u32_e64 s8, v52
	s_cbranch_execnz .LBB505_77
.LBB505_26:                             ;   in Loop: Header=BB505_16 Depth=2
	s_or_b32 exec_lo, exec_lo, s11
	s_delay_alu instid0(SALU_CYCLE_1)
	s_mov_b32 s11, exec_lo
	v_cmpx_gt_u32_e64 s8, v53
	s_cbranch_execz .LBB505_78
.LBB505_27:                             ;   in Loop: Header=BB505_16 Depth=2
	global_load_b32 v13, v96, s[0:1]
	s_or_b32 exec_lo, exec_lo, s11
	s_delay_alu instid0(SALU_CYCLE_1)
	s_mov_b32 s11, exec_lo
	v_cmpx_gt_u32_e64 s8, v54
	s_cbranch_execnz .LBB505_79
.LBB505_28:                             ;   in Loop: Header=BB505_16 Depth=2
	s_or_b32 exec_lo, exec_lo, s11
	s_delay_alu instid0(SALU_CYCLE_1)
	s_mov_b32 s11, exec_lo
	v_cmpx_gt_u32_e64 s8, v55
	s_cbranch_execz .LBB505_80
.LBB505_29:                             ;   in Loop: Header=BB505_16 Depth=2
	global_load_b32 v11, v98, s[0:1]
	s_or_b32 exec_lo, exec_lo, s11
	s_delay_alu instid0(SALU_CYCLE_1)
	s_mov_b32 s11, exec_lo
	v_cmpx_gt_u32_e64 s8, v56
	s_cbranch_execnz .LBB505_81
.LBB505_30:                             ;   in Loop: Header=BB505_16 Depth=2
	s_or_b32 exec_lo, exec_lo, s11
	s_delay_alu instid0(SALU_CYCLE_1)
	s_mov_b32 s11, exec_lo
	v_cmpx_gt_u32_e64 s8, v57
	s_cbranch_execz .LBB505_82
.LBB505_31:                             ;   in Loop: Header=BB505_16 Depth=2
	global_load_b32 v9, v100, s[0:1]
	s_or_b32 exec_lo, exec_lo, s11
	s_delay_alu instid0(SALU_CYCLE_1)
	s_mov_b32 s11, exec_lo
	v_cmpx_gt_u32_e64 s8, v58
	s_cbranch_execnz .LBB505_83
.LBB505_32:                             ;   in Loop: Header=BB505_16 Depth=2
	s_or_b32 exec_lo, exec_lo, s11
	s_delay_alu instid0(SALU_CYCLE_1)
	s_mov_b32 s11, exec_lo
	v_cmpx_gt_u32_e64 s8, v59
	s_cbranch_execz .LBB505_84
.LBB505_33:                             ;   in Loop: Header=BB505_16 Depth=2
	global_load_b32 v7, v102, s[0:1]
	s_or_b32 exec_lo, exec_lo, s11
	s_delay_alu instid0(SALU_CYCLE_1)
	s_mov_b32 s11, exec_lo
	v_cmpx_gt_u32_e64 s8, v60
	s_cbranch_execnz .LBB505_85
.LBB505_34:                             ;   in Loop: Header=BB505_16 Depth=2
	s_or_b32 exec_lo, exec_lo, s11
	s_delay_alu instid0(SALU_CYCLE_1)
	s_mov_b32 s11, exec_lo
	v_cmpx_gt_u32_e64 s8, v61
	s_cbranch_execz .LBB505_36
.LBB505_35:                             ;   in Loop: Header=BB505_16 Depth=2
	global_load_b32 v2, v104, s[0:1]
.LBB505_36:                             ;   in Loop: Header=BB505_16 Depth=2
	s_or_b32 exec_lo, exec_lo, s11
	s_delay_alu instid0(SALU_CYCLE_1)
	s_mov_b32 s12, exec_lo
                                        ; implicit-def: $sgpr11
                                        ; implicit-def: $vgpr4_vgpr5
	v_cmpx_gt_u32_e64 s8, v63
; %bb.37:                               ;   in Loop: Header=BB505_16 Depth=2
	v_add_co_u32 v4, s0, s0, v105
	s_delay_alu instid0(VALU_DEP_1)
	v_add_co_ci_u32_e64 v5, null, s1, 0, s0
	s_sub_i32 s11, s61, s34
	s_or_b32 s10, s10, exec_lo
                                        ; implicit-def: $vgpr20
; %bb.38:                               ;   in Loop: Header=BB505_16 Depth=2
	s_or_b32 exec_lo, exec_lo, s12
	s_waitcnt vmcnt(0)
	v_dual_mov_b32 v22, v19 :: v_dual_mov_b32 v23, v18
	v_dual_mov_b32 v24, v17 :: v_dual_mov_b32 v25, v16
	;; [unrolled: 1-line block ×8, first 2 shown]
	s_and_saveexec_b32 s0, s10
	s_cbranch_execz .LBB505_40
.LBB505_39:                             ;   in Loop: Header=BB505_16 Depth=2
	global_load_b32 v20, v[4:5], off
	s_waitcnt vmcnt(1)
	v_dual_mov_b32 v21, s11 :: v_dual_mov_b32 v2, v36
	v_dual_mov_b32 v6, v35 :: v_dual_mov_b32 v7, v34
	;; [unrolled: 1-line block ×8, first 2 shown]
.LBB505_40:                             ;   in Loop: Header=BB505_16 Depth=2
	s_or_b32 exec_lo, exec_lo, s0
	s_delay_alu instid0(SALU_CYCLE_1)
	s_mov_b32 s0, exec_lo
	v_cmpx_lt_u32_e64 v1, v21
	s_cbranch_execz .LBB505_56
; %bb.41:                               ;   in Loop: Header=BB505_16 Depth=2
	v_xor_b32_e32 v4, 0x7fffffff, v19
	v_lshlrev_b32_e32 v5, 2, v48
	s_delay_alu instid0(VALU_DEP_2) | instskip(NEXT) | instid1(VALU_DEP_1)
	v_lshrrev_b32_e32 v4, s38, v4
	v_and_b32_e32 v4, s39, v4
	s_delay_alu instid0(VALU_DEP_1) | instskip(SKIP_2) | instid1(SALU_CYCLE_1)
	v_lshl_or_b32 v4, v4, 4, v5
	ds_add_u32 v4, v92
	s_or_b32 exec_lo, exec_lo, s0
	s_mov_b32 s0, exec_lo
	v_cmpx_lt_u32_e64 v45, v21
	s_cbranch_execnz .LBB505_57
.LBB505_42:                             ;   in Loop: Header=BB505_16 Depth=2
	s_or_b32 exec_lo, exec_lo, s0
	s_delay_alu instid0(SALU_CYCLE_1)
	s_mov_b32 s0, exec_lo
	v_cmpx_lt_u32_e64 v46, v21
	s_cbranch_execz .LBB505_58
.LBB505_43:                             ;   in Loop: Header=BB505_16 Depth=2
	v_xor_b32_e32 v4, 0x7fffffff, v17
	v_lshlrev_b32_e32 v5, 2, v48
	s_delay_alu instid0(VALU_DEP_2) | instskip(NEXT) | instid1(VALU_DEP_1)
	v_lshrrev_b32_e32 v4, s38, v4
	v_and_b32_e32 v4, s39, v4
	s_delay_alu instid0(VALU_DEP_1) | instskip(SKIP_2) | instid1(SALU_CYCLE_1)
	v_lshl_or_b32 v4, v4, 4, v5
	ds_add_u32 v4, v92
	s_or_b32 exec_lo, exec_lo, s0
	s_mov_b32 s0, exec_lo
	v_cmpx_lt_u32_e64 v47, v21
	s_cbranch_execnz .LBB505_59
.LBB505_44:                             ;   in Loop: Header=BB505_16 Depth=2
	s_or_b32 exec_lo, exec_lo, s0
	s_delay_alu instid0(SALU_CYCLE_1)
	s_mov_b32 s0, exec_lo
	v_cmpx_lt_u32_e64 v51, v21
	s_cbranch_execz .LBB505_60
.LBB505_45:                             ;   in Loop: Header=BB505_16 Depth=2
	v_xor_b32_e32 v4, 0x7fffffff, v15
	v_lshlrev_b32_e32 v5, 2, v48
	s_delay_alu instid0(VALU_DEP_2) | instskip(NEXT) | instid1(VALU_DEP_1)
	v_lshrrev_b32_e32 v4, s38, v4
	v_and_b32_e32 v4, s39, v4
	s_delay_alu instid0(VALU_DEP_1) | instskip(SKIP_2) | instid1(SALU_CYCLE_1)
	v_lshl_or_b32 v4, v4, 4, v5
	ds_add_u32 v4, v92
	s_or_b32 exec_lo, exec_lo, s0
	s_mov_b32 s0, exec_lo
	v_cmpx_lt_u32_e64 v52, v21
	s_cbranch_execnz .LBB505_61
.LBB505_46:                             ;   in Loop: Header=BB505_16 Depth=2
	s_or_b32 exec_lo, exec_lo, s0
	s_delay_alu instid0(SALU_CYCLE_1)
	s_mov_b32 s0, exec_lo
	v_cmpx_lt_u32_e64 v53, v21
	s_cbranch_execz .LBB505_62
.LBB505_47:                             ;   in Loop: Header=BB505_16 Depth=2
	v_xor_b32_e32 v4, 0x7fffffff, v13
	v_lshlrev_b32_e32 v5, 2, v48
	s_delay_alu instid0(VALU_DEP_2) | instskip(NEXT) | instid1(VALU_DEP_1)
	v_lshrrev_b32_e32 v4, s38, v4
	v_and_b32_e32 v4, s39, v4
	s_delay_alu instid0(VALU_DEP_1) | instskip(SKIP_2) | instid1(SALU_CYCLE_1)
	v_lshl_or_b32 v4, v4, 4, v5
	ds_add_u32 v4, v92
	s_or_b32 exec_lo, exec_lo, s0
	s_mov_b32 s0, exec_lo
	v_cmpx_lt_u32_e64 v54, v21
	s_cbranch_execnz .LBB505_63
.LBB505_48:                             ;   in Loop: Header=BB505_16 Depth=2
	s_or_b32 exec_lo, exec_lo, s0
	s_delay_alu instid0(SALU_CYCLE_1)
	s_mov_b32 s0, exec_lo
	v_cmpx_lt_u32_e64 v55, v21
	s_cbranch_execz .LBB505_64
.LBB505_49:                             ;   in Loop: Header=BB505_16 Depth=2
	v_xor_b32_e32 v4, 0x7fffffff, v11
	v_lshlrev_b32_e32 v5, 2, v48
	s_delay_alu instid0(VALU_DEP_2) | instskip(NEXT) | instid1(VALU_DEP_1)
	v_lshrrev_b32_e32 v4, s38, v4
	v_and_b32_e32 v4, s39, v4
	s_delay_alu instid0(VALU_DEP_1) | instskip(SKIP_2) | instid1(SALU_CYCLE_1)
	v_lshl_or_b32 v4, v4, 4, v5
	ds_add_u32 v4, v92
	s_or_b32 exec_lo, exec_lo, s0
	s_mov_b32 s0, exec_lo
	v_cmpx_lt_u32_e64 v56, v21
	s_cbranch_execnz .LBB505_65
.LBB505_50:                             ;   in Loop: Header=BB505_16 Depth=2
	s_or_b32 exec_lo, exec_lo, s0
	s_delay_alu instid0(SALU_CYCLE_1)
	s_mov_b32 s0, exec_lo
	v_cmpx_lt_u32_e64 v57, v21
	s_cbranch_execz .LBB505_66
.LBB505_51:                             ;   in Loop: Header=BB505_16 Depth=2
	v_xor_b32_e32 v4, 0x7fffffff, v9
	v_lshlrev_b32_e32 v5, 2, v48
	s_delay_alu instid0(VALU_DEP_2) | instskip(NEXT) | instid1(VALU_DEP_1)
	v_lshrrev_b32_e32 v4, s38, v4
	v_and_b32_e32 v4, s39, v4
	s_delay_alu instid0(VALU_DEP_1) | instskip(SKIP_2) | instid1(SALU_CYCLE_1)
	v_lshl_or_b32 v4, v4, 4, v5
	ds_add_u32 v4, v92
	s_or_b32 exec_lo, exec_lo, s0
	s_mov_b32 s0, exec_lo
	v_cmpx_lt_u32_e64 v58, v21
	s_cbranch_execnz .LBB505_67
.LBB505_52:                             ;   in Loop: Header=BB505_16 Depth=2
	s_or_b32 exec_lo, exec_lo, s0
	s_delay_alu instid0(SALU_CYCLE_1)
	s_mov_b32 s0, exec_lo
	v_cmpx_lt_u32_e64 v59, v21
	s_cbranch_execz .LBB505_68
.LBB505_53:                             ;   in Loop: Header=BB505_16 Depth=2
	v_xor_b32_e32 v4, 0x7fffffff, v7
	v_lshlrev_b32_e32 v5, 2, v48
	s_delay_alu instid0(VALU_DEP_2) | instskip(NEXT) | instid1(VALU_DEP_1)
	v_lshrrev_b32_e32 v4, s38, v4
	v_and_b32_e32 v4, s39, v4
	s_delay_alu instid0(VALU_DEP_1) | instskip(SKIP_2) | instid1(SALU_CYCLE_1)
	v_lshl_or_b32 v4, v4, 4, v5
	ds_add_u32 v4, v92
	s_or_b32 exec_lo, exec_lo, s0
	s_mov_b32 s0, exec_lo
	v_cmpx_lt_u32_e64 v60, v21
	s_cbranch_execnz .LBB505_69
.LBB505_54:                             ;   in Loop: Header=BB505_16 Depth=2
	s_or_b32 exec_lo, exec_lo, s0
	s_delay_alu instid0(SALU_CYCLE_1)
	s_mov_b32 s0, exec_lo
	v_cmpx_lt_u32_e64 v61, v21
	s_cbranch_execz .LBB505_70
.LBB505_55:                             ;   in Loop: Header=BB505_16 Depth=2
	v_xor_b32_e32 v4, 0x7fffffff, v2
	v_lshlrev_b32_e32 v5, 2, v48
	s_delay_alu instid0(VALU_DEP_2) | instskip(NEXT) | instid1(VALU_DEP_1)
	v_lshrrev_b32_e32 v4, s38, v4
	v_and_b32_e32 v4, s39, v4
	s_delay_alu instid0(VALU_DEP_1) | instskip(SKIP_2) | instid1(SALU_CYCLE_1)
	v_lshl_or_b32 v4, v4, 4, v5
	ds_add_u32 v4, v92
	s_or_b32 exec_lo, exec_lo, s0
	s_mov_b32 s0, exec_lo
	v_cmpx_lt_u32_e64 v63, v21
	s_cbranch_execz .LBB505_15
	s_branch .LBB505_71
.LBB505_56:                             ;   in Loop: Header=BB505_16 Depth=2
	s_or_b32 exec_lo, exec_lo, s0
	s_delay_alu instid0(SALU_CYCLE_1)
	s_mov_b32 s0, exec_lo
	v_cmpx_lt_u32_e64 v45, v21
	s_cbranch_execz .LBB505_42
.LBB505_57:                             ;   in Loop: Header=BB505_16 Depth=2
	v_xor_b32_e32 v4, 0x7fffffff, v18
	v_lshlrev_b32_e32 v5, 2, v48
	s_delay_alu instid0(VALU_DEP_2) | instskip(NEXT) | instid1(VALU_DEP_1)
	v_lshrrev_b32_e32 v4, s38, v4
	v_and_b32_e32 v4, s39, v4
	s_delay_alu instid0(VALU_DEP_1) | instskip(SKIP_2) | instid1(SALU_CYCLE_1)
	v_lshl_or_b32 v4, v4, 4, v5
	ds_add_u32 v4, v92
	s_or_b32 exec_lo, exec_lo, s0
	s_mov_b32 s0, exec_lo
	v_cmpx_lt_u32_e64 v46, v21
	s_cbranch_execnz .LBB505_43
.LBB505_58:                             ;   in Loop: Header=BB505_16 Depth=2
	s_or_b32 exec_lo, exec_lo, s0
	s_delay_alu instid0(SALU_CYCLE_1)
	s_mov_b32 s0, exec_lo
	v_cmpx_lt_u32_e64 v47, v21
	s_cbranch_execz .LBB505_44
.LBB505_59:                             ;   in Loop: Header=BB505_16 Depth=2
	v_xor_b32_e32 v4, 0x7fffffff, v16
	v_lshlrev_b32_e32 v5, 2, v48
	s_delay_alu instid0(VALU_DEP_2) | instskip(NEXT) | instid1(VALU_DEP_1)
	v_lshrrev_b32_e32 v4, s38, v4
	v_and_b32_e32 v4, s39, v4
	s_delay_alu instid0(VALU_DEP_1) | instskip(SKIP_2) | instid1(SALU_CYCLE_1)
	v_lshl_or_b32 v4, v4, 4, v5
	ds_add_u32 v4, v92
	s_or_b32 exec_lo, exec_lo, s0
	s_mov_b32 s0, exec_lo
	v_cmpx_lt_u32_e64 v51, v21
	s_cbranch_execnz .LBB505_45
.LBB505_60:                             ;   in Loop: Header=BB505_16 Depth=2
	s_or_b32 exec_lo, exec_lo, s0
	s_delay_alu instid0(SALU_CYCLE_1)
	s_mov_b32 s0, exec_lo
	v_cmpx_lt_u32_e64 v52, v21
	s_cbranch_execz .LBB505_46
.LBB505_61:                             ;   in Loop: Header=BB505_16 Depth=2
	v_xor_b32_e32 v4, 0x7fffffff, v14
	v_lshlrev_b32_e32 v5, 2, v48
	s_delay_alu instid0(VALU_DEP_2) | instskip(NEXT) | instid1(VALU_DEP_1)
	v_lshrrev_b32_e32 v4, s38, v4
	v_and_b32_e32 v4, s39, v4
	s_delay_alu instid0(VALU_DEP_1) | instskip(SKIP_2) | instid1(SALU_CYCLE_1)
	v_lshl_or_b32 v4, v4, 4, v5
	ds_add_u32 v4, v92
	s_or_b32 exec_lo, exec_lo, s0
	s_mov_b32 s0, exec_lo
	v_cmpx_lt_u32_e64 v53, v21
	s_cbranch_execnz .LBB505_47
.LBB505_62:                             ;   in Loop: Header=BB505_16 Depth=2
	s_or_b32 exec_lo, exec_lo, s0
	s_delay_alu instid0(SALU_CYCLE_1)
	s_mov_b32 s0, exec_lo
	v_cmpx_lt_u32_e64 v54, v21
	s_cbranch_execz .LBB505_48
.LBB505_63:                             ;   in Loop: Header=BB505_16 Depth=2
	v_xor_b32_e32 v4, 0x7fffffff, v12
	v_lshlrev_b32_e32 v5, 2, v48
	s_delay_alu instid0(VALU_DEP_2) | instskip(NEXT) | instid1(VALU_DEP_1)
	v_lshrrev_b32_e32 v4, s38, v4
	v_and_b32_e32 v4, s39, v4
	s_delay_alu instid0(VALU_DEP_1) | instskip(SKIP_2) | instid1(SALU_CYCLE_1)
	v_lshl_or_b32 v4, v4, 4, v5
	ds_add_u32 v4, v92
	s_or_b32 exec_lo, exec_lo, s0
	s_mov_b32 s0, exec_lo
	v_cmpx_lt_u32_e64 v55, v21
	s_cbranch_execnz .LBB505_49
.LBB505_64:                             ;   in Loop: Header=BB505_16 Depth=2
	s_or_b32 exec_lo, exec_lo, s0
	s_delay_alu instid0(SALU_CYCLE_1)
	s_mov_b32 s0, exec_lo
	v_cmpx_lt_u32_e64 v56, v21
	s_cbranch_execz .LBB505_50
.LBB505_65:                             ;   in Loop: Header=BB505_16 Depth=2
	v_xor_b32_e32 v4, 0x7fffffff, v10
	v_lshlrev_b32_e32 v5, 2, v48
	s_delay_alu instid0(VALU_DEP_2) | instskip(NEXT) | instid1(VALU_DEP_1)
	v_lshrrev_b32_e32 v4, s38, v4
	v_and_b32_e32 v4, s39, v4
	s_delay_alu instid0(VALU_DEP_1) | instskip(SKIP_2) | instid1(SALU_CYCLE_1)
	v_lshl_or_b32 v4, v4, 4, v5
	ds_add_u32 v4, v92
	s_or_b32 exec_lo, exec_lo, s0
	s_mov_b32 s0, exec_lo
	v_cmpx_lt_u32_e64 v57, v21
	s_cbranch_execnz .LBB505_51
.LBB505_66:                             ;   in Loop: Header=BB505_16 Depth=2
	s_or_b32 exec_lo, exec_lo, s0
	s_delay_alu instid0(SALU_CYCLE_1)
	s_mov_b32 s0, exec_lo
	v_cmpx_lt_u32_e64 v58, v21
	s_cbranch_execz .LBB505_52
.LBB505_67:                             ;   in Loop: Header=BB505_16 Depth=2
	v_xor_b32_e32 v4, 0x7fffffff, v8
	v_lshlrev_b32_e32 v5, 2, v48
	s_delay_alu instid0(VALU_DEP_2) | instskip(NEXT) | instid1(VALU_DEP_1)
	v_lshrrev_b32_e32 v4, s38, v4
	v_and_b32_e32 v4, s39, v4
	s_delay_alu instid0(VALU_DEP_1) | instskip(SKIP_2) | instid1(SALU_CYCLE_1)
	v_lshl_or_b32 v4, v4, 4, v5
	ds_add_u32 v4, v92
	s_or_b32 exec_lo, exec_lo, s0
	s_mov_b32 s0, exec_lo
	v_cmpx_lt_u32_e64 v59, v21
	s_cbranch_execnz .LBB505_53
.LBB505_68:                             ;   in Loop: Header=BB505_16 Depth=2
	s_or_b32 exec_lo, exec_lo, s0
	s_delay_alu instid0(SALU_CYCLE_1)
	s_mov_b32 s0, exec_lo
	v_cmpx_lt_u32_e64 v60, v21
	s_cbranch_execz .LBB505_54
.LBB505_69:                             ;   in Loop: Header=BB505_16 Depth=2
	v_xor_b32_e32 v4, 0x7fffffff, v6
	v_lshlrev_b32_e32 v5, 2, v48
	s_delay_alu instid0(VALU_DEP_2) | instskip(NEXT) | instid1(VALU_DEP_1)
	v_lshrrev_b32_e32 v4, s38, v4
	v_and_b32_e32 v4, s39, v4
	s_delay_alu instid0(VALU_DEP_1) | instskip(SKIP_2) | instid1(SALU_CYCLE_1)
	v_lshl_or_b32 v4, v4, 4, v5
	ds_add_u32 v4, v92
	s_or_b32 exec_lo, exec_lo, s0
	s_mov_b32 s0, exec_lo
	v_cmpx_lt_u32_e64 v61, v21
	s_cbranch_execnz .LBB505_55
.LBB505_70:                             ;   in Loop: Header=BB505_16 Depth=2
	s_or_b32 exec_lo, exec_lo, s0
	s_delay_alu instid0(SALU_CYCLE_1)
	s_mov_b32 s0, exec_lo
	v_cmpx_lt_u32_e64 v63, v21
	s_cbranch_execz .LBB505_15
.LBB505_71:                             ;   in Loop: Header=BB505_16 Depth=2
	s_waitcnt vmcnt(0)
	v_xor_b32_e32 v4, 0x7fffffff, v20
	v_lshlrev_b32_e32 v5, 2, v48
	s_delay_alu instid0(VALU_DEP_2) | instskip(NEXT) | instid1(VALU_DEP_1)
	v_lshrrev_b32_e32 v4, s38, v4
	v_and_b32_e32 v4, s39, v4
	s_delay_alu instid0(VALU_DEP_1)
	v_lshl_or_b32 v4, v4, 4, v5
	ds_add_u32 v4, v92
	s_branch .LBB505_15
.LBB505_72:                             ;   in Loop: Header=BB505_16 Depth=2
	s_or_b32 exec_lo, exec_lo, s11
	s_delay_alu instid0(SALU_CYCLE_1)
	s_mov_b32 s11, exec_lo
	v_cmpx_gt_u32_e64 s8, v45
	s_cbranch_execz .LBB505_22
.LBB505_73:                             ;   in Loop: Header=BB505_16 Depth=2
	global_load_b32 v18, v93, s[0:1] offset:1024
	s_or_b32 exec_lo, exec_lo, s11
	s_delay_alu instid0(SALU_CYCLE_1)
	s_mov_b32 s11, exec_lo
	v_cmpx_gt_u32_e64 s8, v46
	s_cbranch_execnz .LBB505_23
.LBB505_74:                             ;   in Loop: Header=BB505_16 Depth=2
	s_or_b32 exec_lo, exec_lo, s11
	s_delay_alu instid0(SALU_CYCLE_1)
	s_mov_b32 s11, exec_lo
	v_cmpx_gt_u32_e64 s8, v47
	s_cbranch_execz .LBB505_24
.LBB505_75:                             ;   in Loop: Header=BB505_16 Depth=2
	global_load_b32 v16, v93, s[0:1] offset:3072
	s_or_b32 exec_lo, exec_lo, s11
	s_delay_alu instid0(SALU_CYCLE_1)
	s_mov_b32 s11, exec_lo
	v_cmpx_gt_u32_e64 s8, v51
	s_cbranch_execnz .LBB505_25
.LBB505_76:                             ;   in Loop: Header=BB505_16 Depth=2
	s_or_b32 exec_lo, exec_lo, s11
	s_delay_alu instid0(SALU_CYCLE_1)
	s_mov_b32 s11, exec_lo
	v_cmpx_gt_u32_e64 s8, v52
	s_cbranch_execz .LBB505_26
.LBB505_77:                             ;   in Loop: Header=BB505_16 Depth=2
	global_load_b32 v14, v95, s[0:1]
	s_or_b32 exec_lo, exec_lo, s11
	s_delay_alu instid0(SALU_CYCLE_1)
	s_mov_b32 s11, exec_lo
	v_cmpx_gt_u32_e64 s8, v53
	s_cbranch_execnz .LBB505_27
.LBB505_78:                             ;   in Loop: Header=BB505_16 Depth=2
	s_or_b32 exec_lo, exec_lo, s11
	s_delay_alu instid0(SALU_CYCLE_1)
	s_mov_b32 s11, exec_lo
	v_cmpx_gt_u32_e64 s8, v54
	s_cbranch_execz .LBB505_28
.LBB505_79:                             ;   in Loop: Header=BB505_16 Depth=2
	global_load_b32 v12, v97, s[0:1]
	s_or_b32 exec_lo, exec_lo, s11
	s_delay_alu instid0(SALU_CYCLE_1)
	s_mov_b32 s11, exec_lo
	v_cmpx_gt_u32_e64 s8, v55
	s_cbranch_execnz .LBB505_29
.LBB505_80:                             ;   in Loop: Header=BB505_16 Depth=2
	s_or_b32 exec_lo, exec_lo, s11
	s_delay_alu instid0(SALU_CYCLE_1)
	s_mov_b32 s11, exec_lo
	v_cmpx_gt_u32_e64 s8, v56
	s_cbranch_execz .LBB505_30
.LBB505_81:                             ;   in Loop: Header=BB505_16 Depth=2
	global_load_b32 v10, v99, s[0:1]
	s_or_b32 exec_lo, exec_lo, s11
	s_delay_alu instid0(SALU_CYCLE_1)
	s_mov_b32 s11, exec_lo
	v_cmpx_gt_u32_e64 s8, v57
	s_cbranch_execnz .LBB505_31
.LBB505_82:                             ;   in Loop: Header=BB505_16 Depth=2
	s_or_b32 exec_lo, exec_lo, s11
	s_delay_alu instid0(SALU_CYCLE_1)
	s_mov_b32 s11, exec_lo
	v_cmpx_gt_u32_e64 s8, v58
	s_cbranch_execz .LBB505_32
.LBB505_83:                             ;   in Loop: Header=BB505_16 Depth=2
	global_load_b32 v8, v101, s[0:1]
	s_or_b32 exec_lo, exec_lo, s11
	s_delay_alu instid0(SALU_CYCLE_1)
	s_mov_b32 s11, exec_lo
	v_cmpx_gt_u32_e64 s8, v59
	s_cbranch_execnz .LBB505_33
.LBB505_84:                             ;   in Loop: Header=BB505_16 Depth=2
	s_or_b32 exec_lo, exec_lo, s11
	s_delay_alu instid0(SALU_CYCLE_1)
	s_mov_b32 s11, exec_lo
	v_cmpx_gt_u32_e64 s8, v60
	s_cbranch_execz .LBB505_34
.LBB505_85:                             ;   in Loop: Header=BB505_16 Depth=2
	global_load_b32 v6, v103, s[0:1]
	s_or_b32 exec_lo, exec_lo, s11
	s_delay_alu instid0(SALU_CYCLE_1)
	s_mov_b32 s11, exec_lo
	v_cmpx_gt_u32_e64 s8, v61
	s_cbranch_execz .LBB505_36
	s_branch .LBB505_35
.LBB505_86:                             ;   in Loop: Header=BB505_12 Depth=1
	v_mov_b32_e32 v2, 0
	s_waitcnt vmcnt(0) lgkmcnt(0)
	s_barrier
	buffer_gl0_inv
	s_and_saveexec_b32 s0, s2
	s_cbranch_execz .LBB505_88
; %bb.87:                               ;   in Loop: Header=BB505_12 Depth=1
	ds_load_2addr_b64 v[4:7], v64 offset1:1
	s_waitcnt lgkmcnt(0)
	v_add_nc_u32_e32 v2, v5, v4
	s_delay_alu instid0(VALU_DEP_1)
	v_add3_u32 v2, v2, v6, v7
.LBB505_88:                             ;   in Loop: Header=BB505_12 Depth=1
	s_or_b32 exec_lo, exec_lo, s0
	v_and_b32_e32 v4, 15, v106
	s_delay_alu instid0(VALU_DEP_2) | instskip(SKIP_1) | instid1(VALU_DEP_3)
	v_mov_b32_dpp v5, v2 row_shr:1 row_mask:0xf bank_mask:0xf
	v_and_b32_e32 v6, 16, v106
	v_cmp_eq_u32_e64 s0, 0, v4
	v_cmp_lt_u32_e64 s1, 1, v4
	v_cmp_lt_u32_e64 s8, 3, v4
	;; [unrolled: 1-line block ×3, first 2 shown]
	v_cmp_eq_u32_e64 s10, 0, v6
	v_cndmask_b32_e64 v5, v5, 0, s0
	s_delay_alu instid0(VALU_DEP_1) | instskip(NEXT) | instid1(VALU_DEP_1)
	v_add_nc_u32_e32 v2, v5, v2
	v_mov_b32_dpp v5, v2 row_shr:2 row_mask:0xf bank_mask:0xf
	s_delay_alu instid0(VALU_DEP_1) | instskip(NEXT) | instid1(VALU_DEP_1)
	v_cndmask_b32_e64 v5, 0, v5, s1
	v_add_nc_u32_e32 v2, v2, v5
	s_delay_alu instid0(VALU_DEP_1) | instskip(NEXT) | instid1(VALU_DEP_1)
	v_mov_b32_dpp v5, v2 row_shr:4 row_mask:0xf bank_mask:0xf
	v_cndmask_b32_e64 v5, 0, v5, s8
	s_delay_alu instid0(VALU_DEP_1) | instskip(NEXT) | instid1(VALU_DEP_1)
	v_add_nc_u32_e32 v2, v2, v5
	v_mov_b32_dpp v5, v2 row_shr:8 row_mask:0xf bank_mask:0xf
	s_delay_alu instid0(VALU_DEP_1) | instskip(SKIP_1) | instid1(VALU_DEP_2)
	v_cndmask_b32_e64 v4, 0, v5, s9
	v_bfe_i32 v5, v106, 4, 1
	v_add_nc_u32_e32 v2, v2, v4
	ds_swizzle_b32 v4, v2 offset:swizzle(BROADCAST,32,15)
	s_waitcnt lgkmcnt(0)
	v_and_b32_e32 v4, v5, v4
	s_delay_alu instid0(VALU_DEP_1)
	v_add_nc_u32_e32 v4, v2, v4
	s_and_saveexec_b32 s11, s3
	s_cbranch_execz .LBB505_90
; %bb.89:                               ;   in Loop: Header=BB505_12 Depth=1
	ds_store_b32 v65, v4
.LBB505_90:                             ;   in Loop: Header=BB505_12 Depth=1
	s_or_b32 exec_lo, exec_lo, s11
	v_and_b32_e32 v2, 7, v106
	s_waitcnt lgkmcnt(0)
	s_barrier
	buffer_gl0_inv
	s_and_saveexec_b32 s11, s4
	s_cbranch_execz .LBB505_92
; %bb.91:                               ;   in Loop: Header=BB505_12 Depth=1
	ds_load_b32 v5, v66
	v_cmp_ne_u32_e32 vcc_lo, 0, v2
	s_waitcnt lgkmcnt(0)
	v_mov_b32_dpp v6, v5 row_shr:1 row_mask:0xf bank_mask:0xf
	s_delay_alu instid0(VALU_DEP_1) | instskip(SKIP_1) | instid1(VALU_DEP_2)
	v_cndmask_b32_e32 v6, 0, v6, vcc_lo
	v_cmp_lt_u32_e32 vcc_lo, 1, v2
	v_add_nc_u32_e32 v5, v6, v5
	s_delay_alu instid0(VALU_DEP_1) | instskip(NEXT) | instid1(VALU_DEP_1)
	v_mov_b32_dpp v6, v5 row_shr:2 row_mask:0xf bank_mask:0xf
	v_cndmask_b32_e32 v6, 0, v6, vcc_lo
	v_cmp_lt_u32_e32 vcc_lo, 3, v2
	s_delay_alu instid0(VALU_DEP_2) | instskip(NEXT) | instid1(VALU_DEP_1)
	v_add_nc_u32_e32 v5, v5, v6
	v_mov_b32_dpp v6, v5 row_shr:4 row_mask:0xf bank_mask:0xf
	s_delay_alu instid0(VALU_DEP_1) | instskip(NEXT) | instid1(VALU_DEP_1)
	v_cndmask_b32_e32 v6, 0, v6, vcc_lo
	v_add_nc_u32_e32 v5, v5, v6
	ds_store_b32 v66, v5
.LBB505_92:                             ;   in Loop: Header=BB505_12 Depth=1
	s_or_b32 exec_lo, exec_lo, s11
	v_mov_b32_e32 v5, 0
	s_waitcnt lgkmcnt(0)
	s_barrier
	buffer_gl0_inv
	s_and_saveexec_b32 s11, s5
	s_cbranch_execz .LBB505_94
; %bb.93:                               ;   in Loop: Header=BB505_12 Depth=1
	ds_load_b32 v5, v67
.LBB505_94:                             ;   in Loop: Header=BB505_12 Depth=1
	s_or_b32 exec_lo, exec_lo, s11
	v_add_nc_u32_e32 v6, -1, v106
	s_waitcnt lgkmcnt(0)
	v_add_nc_u32_e32 v4, v5, v4
	v_cmp_eq_u32_e64 s11, 0, v106
	s_barrier
	v_cmp_gt_i32_e32 vcc_lo, 0, v6
	buffer_gl0_inv
	v_cndmask_b32_e32 v6, v6, v106, vcc_lo
	s_delay_alu instid0(VALU_DEP_1)
	v_lshlrev_b32_e32 v107, 2, v6
	ds_bpermute_b32 v4, v107, v4
	s_and_saveexec_b32 s12, s2
	s_cbranch_execz .LBB505_96
; %bb.95:                               ;   in Loop: Header=BB505_12 Depth=1
	s_waitcnt lgkmcnt(0)
	v_cndmask_b32_e64 v4, v4, v5, s11
	s_delay_alu instid0(VALU_DEP_1)
	v_add_nc_u32_e32 v4, s60, v4
	ds_store_b32 v44, v4
.LBB505_96:                             ;   in Loop: Header=BB505_12 Depth=1
	s_or_b32 exec_lo, exec_lo, s12
	s_clause 0x1
	s_load_b32 s12, s[36:37], 0x4
	s_load_b32 s16, s[36:37], 0xc
	v_lshlrev_b32_e32 v5, 3, v106
	v_cmp_lt_u32_e64 s14, 3, v2
	v_or_b32_e32 v108, v106, v68
	s_mov_b32 s40, s62
	s_mov_b32 s34, s60
	v_add_co_u32 v109, vcc_lo, v74, v5
	v_add_co_ci_u32_e32 v110, vcc_lo, 0, v75, vcc_lo
	v_or_b32_e32 v111, 32, v108
	v_or_b32_e32 v112, 64, v108
	;; [unrolled: 1-line block ×9, first 2 shown]
	s_waitcnt lgkmcnt(0)
	s_cmp_lt_u32 s15, s12
	v_or_b32_e32 v120, 0x140, v108
	s_cselect_b32 s12, 14, 20
	v_or_b32_e32 v121, 0x160, v108
	s_add_u32 s12, s36, s12
	s_addc_u32 s13, s37, 0
	s_and_b32 s16, s16, 0xffff
	global_load_u16 v4, v3, s[12:13]
	v_cmp_eq_u32_e64 s12, 0, v2
	v_cmp_lt_u32_e64 s13, 1, v2
	v_lshlrev_b32_e32 v2, 2, v106
	v_or_b32_e32 v122, 0x180, v108
	v_or_b32_e32 v123, 0x1a0, v108
	;; [unrolled: 1-line block ×4, first 2 shown]
	v_add_co_u32 v126, vcc_lo, v76, v2
	v_add_co_ci_u32_e32 v127, vcc_lo, 0, v77, vcc_lo
                                        ; implicit-def: $vgpr8_vgpr9
                                        ; implicit-def: $vgpr10_vgpr11
                                        ; implicit-def: $vgpr12_vgpr13
                                        ; implicit-def: $vgpr14_vgpr15
                                        ; implicit-def: $vgpr16_vgpr17
                                        ; implicit-def: $vgpr18_vgpr19
                                        ; implicit-def: $vgpr20_vgpr21
                                        ; implicit-def: $vgpr22_vgpr23
                                        ; implicit-def: $vgpr24_vgpr25
                                        ; implicit-def: $vgpr26_vgpr27
                                        ; implicit-def: $vgpr28_vgpr29
                                        ; implicit-def: $vgpr30_vgpr31
                                        ; implicit-def: $vgpr32_vgpr33
                                        ; implicit-def: $vgpr34_vgpr35
                                        ; implicit-def: $vgpr131
                                        ; implicit-def: $vgpr132
                                        ; implicit-def: $vgpr133
                                        ; implicit-def: $vgpr134
                                        ; implicit-def: $vgpr135
                                        ; implicit-def: $vgpr136
                                        ; implicit-def: $vgpr137
                                        ; implicit-def: $vgpr138
                                        ; implicit-def: $vgpr139
                                        ; implicit-def: $vgpr140
                                        ; implicit-def: $vgpr141
                                        ; implicit-def: $vgpr142
                                        ; implicit-def: $vgpr143
                                        ; implicit-def: $vgpr144
                                        ; implicit-def: $vgpr145
                                        ; implicit-def: $vgpr146
	s_delay_alu instid0(VALU_DEP_2) | instskip(NEXT) | instid1(VALU_DEP_2)
	v_add_co_u32 v129, vcc_lo, 0x780, v126
	v_add_co_ci_u32_e32 v130, vcc_lo, 0, v127, vcc_lo
	s_waitcnt vmcnt(0)
	v_mad_u32_u24 v6, v69, v4, v0
	s_delay_alu instid0(VALU_DEP_1) | instskip(NEXT) | instid1(VALU_DEP_1)
	v_mad_u64_u32 v[4:5], null, v6, s16, v[1:2]
                                        ; implicit-def: $vgpr6_vgpr7
	v_lshrrev_b32_e32 v128, 5, v4
                                        ; implicit-def: $vgpr4_vgpr5
	s_branch .LBB505_98
.LBB505_97:                             ;   in Loop: Header=BB505_98 Depth=2
	s_or_b32 exec_lo, exec_lo, s16
	s_addk_i32 s40, 0xf000
	s_cmp_lt_u32 s41, s61
	s_mov_b32 s34, s41
	s_cbranch_scc0 .LBB505_306
.LBB505_98:                             ;   Parent Loop BB505_12 Depth=1
                                        ; =>  This Inner Loop Header: Depth=2
	s_add_i32 s41, s34, 0x1000
	s_delay_alu instid0(SALU_CYCLE_1)
	s_cmp_gt_u32 s41, s61
	s_cbranch_scc1 .LBB505_101
; %bb.99:                               ;   in Loop: Header=BB505_98 Depth=2
	s_mov_b32 s17, 0
	s_mov_b32 s16, s34
	s_delay_alu instid0(SALU_CYCLE_1) | instskip(NEXT) | instid1(SALU_CYCLE_1)
	s_lshl_b64 s[18:19], s[16:17], 2
	v_add_co_u32 v36, vcc_lo, v126, s18
	v_add_co_ci_u32_e32 v37, vcc_lo, s19, v127, vcc_lo
	s_mov_b32 s19, -1
	s_movk_i32 s18, 0x1000
	s_clause 0xe
	global_load_b32 v2, v[36:37], off
	global_load_b32 v148, v[36:37], off offset:128
	global_load_b32 v151, v[36:37], off offset:256
	global_load_b32 v155, v[36:37], off offset:384
	global_load_b32 v159, v[36:37], off offset:512
	global_load_b32 v163, v[36:37], off offset:640
	global_load_b32 v167, v[36:37], off offset:768
	global_load_b32 v172, v[36:37], off offset:896
	global_load_b32 v171, v[36:37], off offset:1024
	global_load_b32 v43, v[36:37], off offset:1152
	global_load_b32 v42, v[36:37], off offset:1280
	global_load_b32 v41, v[36:37], off offset:1408
	global_load_b32 v40, v[36:37], off offset:1536
	global_load_b32 v39, v[36:37], off offset:1664
	global_load_b32 v38, v[36:37], off offset:1792
	s_cbranch_execz .LBB505_102
; %bb.100:                              ;   in Loop: Header=BB505_98 Depth=2
                                        ; implicit-def: $sgpr20
	v_dual_mov_b32 v36, s20 :: v_dual_mov_b32 v147, s40
	s_and_saveexec_b32 s20, s19
	s_cbranch_execnz .LBB505_133
	s_branch .LBB505_134
.LBB505_101:                            ;   in Loop: Header=BB505_98 Depth=2
	s_mov_b32 s17, -1
	s_mov_b32 s19, 0
                                        ; implicit-def: $sgpr18
                                        ; implicit-def: $vgpr2
                                        ; implicit-def: $vgpr148
                                        ; implicit-def: $vgpr151
                                        ; implicit-def: $vgpr155
                                        ; implicit-def: $vgpr159
                                        ; implicit-def: $vgpr163
                                        ; implicit-def: $vgpr167
                                        ; implicit-def: $vgpr172
                                        ; implicit-def: $vgpr171
                                        ; implicit-def: $vgpr43
                                        ; implicit-def: $vgpr42
                                        ; implicit-def: $vgpr41
                                        ; implicit-def: $vgpr40
                                        ; implicit-def: $vgpr39
                                        ; implicit-def: $vgpr38
.LBB505_102:                            ;   in Loop: Header=BB505_98 Depth=2
	s_lshl_b64 s[16:17], s[34:35], 2
	s_waitcnt vmcnt(13)
	v_bfrev_b32_e32 v148, 1
	v_add_co_u32 v36, vcc_lo, v126, s16
	v_add_co_ci_u32_e32 v37, vcc_lo, s17, v127, vcc_lo
	v_bfrev_b32_e32 v2, 1
	s_mov_b32 s16, exec_lo
	v_cmpx_gt_u32_e64 s40, v108
	s_cbranch_execz .LBB505_104
; %bb.103:                              ;   in Loop: Header=BB505_98 Depth=2
	global_load_b32 v2, v[36:37], off
.LBB505_104:                            ;   in Loop: Header=BB505_98 Depth=2
	s_or_b32 exec_lo, exec_lo, s16
	s_delay_alu instid0(SALU_CYCLE_1)
	s_mov_b32 s16, exec_lo
	v_cmpx_gt_u32_e64 s40, v111
	s_cbranch_execz .LBB505_106
; %bb.105:                              ;   in Loop: Header=BB505_98 Depth=2
	global_load_b32 v148, v[36:37], off offset:128
.LBB505_106:                            ;   in Loop: Header=BB505_98 Depth=2
	s_or_b32 exec_lo, exec_lo, s16
	s_waitcnt vmcnt(11)
	v_bfrev_b32_e32 v155, 1
	v_bfrev_b32_e32 v151, 1
	s_mov_b32 s16, exec_lo
	v_cmpx_gt_u32_e64 s40, v112
	s_cbranch_execz .LBB505_108
; %bb.107:                              ;   in Loop: Header=BB505_98 Depth=2
	global_load_b32 v151, v[36:37], off offset:256
.LBB505_108:                            ;   in Loop: Header=BB505_98 Depth=2
	s_or_b32 exec_lo, exec_lo, s16
	s_delay_alu instid0(SALU_CYCLE_1)
	s_mov_b32 s16, exec_lo
	v_cmpx_gt_u32_e64 s40, v113
	s_cbranch_execz .LBB505_110
; %bb.109:                              ;   in Loop: Header=BB505_98 Depth=2
	global_load_b32 v155, v[36:37], off offset:384
.LBB505_110:                            ;   in Loop: Header=BB505_98 Depth=2
	s_or_b32 exec_lo, exec_lo, s16
	s_waitcnt vmcnt(9)
	v_bfrev_b32_e32 v163, 1
	v_bfrev_b32_e32 v159, 1
	s_mov_b32 s16, exec_lo
	v_cmpx_gt_u32_e64 s40, v114
	s_cbranch_execz .LBB505_112
; %bb.111:                              ;   in Loop: Header=BB505_98 Depth=2
	global_load_b32 v159, v[36:37], off offset:512
.LBB505_112:                            ;   in Loop: Header=BB505_98 Depth=2
	;; [unrolled: 18-line block ×6, first 2 shown]
	s_or_b32 exec_lo, exec_lo, s16
	s_delay_alu instid0(SALU_CYCLE_1)
	s_mov_b32 s16, exec_lo
	v_cmpx_gt_u32_e64 s40, v123
	s_cbranch_execz .LBB505_130
; %bb.129:                              ;   in Loop: Header=BB505_98 Depth=2
	global_load_b32 v39, v[36:37], off offset:1664
.LBB505_130:                            ;   in Loop: Header=BB505_98 Depth=2
	s_or_b32 exec_lo, exec_lo, s16
	s_waitcnt vmcnt(0)
	v_bfrev_b32_e32 v38, 1
	s_mov_b32 s16, exec_lo
	v_cmpx_gt_u32_e64 s40, v124
	s_cbranch_execz .LBB505_132
; %bb.131:                              ;   in Loop: Header=BB505_98 Depth=2
	global_load_b32 v38, v[36:37], off offset:1792
.LBB505_132:                            ;   in Loop: Header=BB505_98 Depth=2
	s_or_b32 exec_lo, exec_lo, s16
	v_cmp_gt_u32_e64 s19, s40, v125
	s_sub_i32 s18, s61, s34
	s_brev_b32 s20, 1
	s_mov_b64 s[16:17], s[34:35]
	v_dual_mov_b32 v36, s20 :: v_dual_mov_b32 v147, s40
	s_and_saveexec_b32 s20, s19
	s_cbranch_execz .LBB505_134
.LBB505_133:                            ;   in Loop: Header=BB505_98 Depth=2
	s_lshl_b64 s[16:17], s[16:17], 2
	v_mov_b32_e32 v147, s18
	v_add_co_u32 v36, vcc_lo, v129, s16
	v_add_co_ci_u32_e32 v37, vcc_lo, s17, v130, vcc_lo
	global_load_b32 v36, v[36:37], off
.LBB505_134:                            ;   in Loop: Header=BB505_98 Depth=2
	s_or_b32 exec_lo, exec_lo, s20
	s_waitcnt vmcnt(14)
	v_xor_b32_e32 v2, 0x7fffffff, v2
	ds_store_b32 v70, v3 offset:1056
	ds_store_2addr_b32 v71, v3, v3 offset0:1 offset1:2
	ds_store_2addr_b32 v71, v3, v3 offset0:3 offset1:4
	ds_store_2addr_b32 v71, v3, v3 offset0:5 offset1:6
	ds_store_2addr_b32 v71, v3, v3 offset0:7 offset1:8
	s_waitcnt vmcnt(0) lgkmcnt(0)
	s_barrier
	v_lshrrev_b32_e32 v37, s38, v2
	buffer_gl0_inv
	; wave barrier
	v_and_b32_e32 v150, s39, v37
	s_delay_alu instid0(VALU_DEP_1)
	v_and_b32_e32 v37, 1, v150
	v_lshlrev_b32_e32 v149, 30, v150
	v_lshlrev_b32_e32 v152, 29, v150
	;; [unrolled: 1-line block ×4, first 2 shown]
	v_add_co_u32 v37, s16, v37, -1
	s_delay_alu instid0(VALU_DEP_1)
	v_cndmask_b32_e64 v154, 0, 1, s16
	v_not_b32_e32 v160, v149
	v_cmp_gt_i32_e64 s16, 0, v149
	v_not_b32_e32 v149, v152
	v_lshlrev_b32_e32 v157, 26, v150
	v_cmp_ne_u32_e32 vcc_lo, 0, v154
	v_ashrrev_i32_e32 v160, 31, v160
	v_lshlrev_b32_e32 v158, 25, v150
	v_ashrrev_i32_e32 v149, 31, v149
	v_lshlrev_b32_e32 v154, 24, v150
	v_xor_b32_e32 v37, vcc_lo, v37
	v_cmp_gt_i32_e32 vcc_lo, 0, v152
	v_not_b32_e32 v152, v153
	v_xor_b32_e32 v160, s16, v160
	v_cmp_gt_i32_e64 s16, 0, v153
	v_and_b32_e32 v37, exec_lo, v37
	v_not_b32_e32 v153, v156
	v_ashrrev_i32_e32 v152, 31, v152
	v_xor_b32_e32 v149, vcc_lo, v149
	v_cmp_gt_i32_e32 vcc_lo, 0, v156
	v_and_b32_e32 v37, v37, v160
	v_not_b32_e32 v156, v157
	v_ashrrev_i32_e32 v153, 31, v153
	v_xor_b32_e32 v152, s16, v152
	v_cmp_gt_i32_e64 s16, 0, v157
	v_and_b32_e32 v37, v37, v149
	v_not_b32_e32 v149, v158
	v_ashrrev_i32_e32 v156, 31, v156
	v_xor_b32_e32 v153, vcc_lo, v153
	v_cmp_gt_i32_e32 vcc_lo, 0, v158
	v_and_b32_e32 v37, v37, v152
	v_not_b32_e32 v152, v154
	v_ashrrev_i32_e32 v149, 31, v149
	v_xor_b32_e32 v156, s16, v156
	v_cmp_gt_i32_e64 s16, 0, v154
	v_and_b32_e32 v37, v37, v153
	v_ashrrev_i32_e32 v152, 31, v152
	v_xor_b32_e32 v149, vcc_lo, v149
	v_mad_u32_u24 v150, v150, 9, v128
	s_delay_alu instid0(VALU_DEP_4) | instskip(NEXT) | instid1(VALU_DEP_4)
	v_and_b32_e32 v37, v37, v156
	v_xor_b32_e32 v152, s16, v152
	s_delay_alu instid0(VALU_DEP_3) | instskip(NEXT) | instid1(VALU_DEP_3)
	v_lshl_add_u32 v150, v150, 2, 0x420
	v_and_b32_e32 v37, v37, v149
	s_delay_alu instid0(VALU_DEP_1) | instskip(NEXT) | instid1(VALU_DEP_1)
	v_and_b32_e32 v37, v37, v152
	v_mbcnt_lo_u32_b32 v149, v37, 0
	v_cmp_ne_u32_e64 s16, 0, v37
	s_delay_alu instid0(VALU_DEP_2) | instskip(NEXT) | instid1(VALU_DEP_2)
	v_cmp_eq_u32_e32 vcc_lo, 0, v149
	s_and_b32 s17, s16, vcc_lo
	s_delay_alu instid0(SALU_CYCLE_1)
	s_and_saveexec_b32 s16, s17
	s_cbranch_execz .LBB505_136
; %bb.135:                              ;   in Loop: Header=BB505_98 Depth=2
	v_bcnt_u32_b32 v37, v37, 0
	ds_store_b32 v150, v37
.LBB505_136:                            ;   in Loop: Header=BB505_98 Depth=2
	s_or_b32 exec_lo, exec_lo, s16
	v_xor_b32_e32 v148, 0x7fffffff, v148
	; wave barrier
	s_delay_alu instid0(VALU_DEP_1) | instskip(NEXT) | instid1(VALU_DEP_1)
	v_lshrrev_b32_e32 v37, s38, v148
	v_and_b32_e32 v37, s39, v37
	s_delay_alu instid0(VALU_DEP_1)
	v_and_b32_e32 v152, 1, v37
	v_lshlrev_b32_e32 v153, 30, v37
	v_lshlrev_b32_e32 v154, 29, v37
	v_lshlrev_b32_e32 v156, 28, v37
	v_lshlrev_b32_e32 v158, 27, v37
	v_add_co_u32 v152, s16, v152, -1
	s_delay_alu instid0(VALU_DEP_1)
	v_cndmask_b32_e64 v157, 0, 1, s16
	v_not_b32_e32 v162, v153
	v_cmp_gt_i32_e64 s16, 0, v153
	v_not_b32_e32 v153, v154
	v_lshlrev_b32_e32 v160, 26, v37
	v_cmp_ne_u32_e32 vcc_lo, 0, v157
	v_ashrrev_i32_e32 v162, 31, v162
	v_lshlrev_b32_e32 v161, 25, v37
	v_ashrrev_i32_e32 v153, 31, v153
	v_lshlrev_b32_e32 v157, 24, v37
	v_xor_b32_e32 v152, vcc_lo, v152
	v_cmp_gt_i32_e32 vcc_lo, 0, v154
	v_not_b32_e32 v154, v156
	v_xor_b32_e32 v162, s16, v162
	v_cmp_gt_i32_e64 s16, 0, v156
	v_and_b32_e32 v152, exec_lo, v152
	v_not_b32_e32 v156, v158
	v_ashrrev_i32_e32 v154, 31, v154
	v_xor_b32_e32 v153, vcc_lo, v153
	v_cmp_gt_i32_e32 vcc_lo, 0, v158
	v_and_b32_e32 v152, v152, v162
	v_not_b32_e32 v158, v160
	v_ashrrev_i32_e32 v156, 31, v156
	v_xor_b32_e32 v154, s16, v154
	v_cmp_gt_i32_e64 s16, 0, v160
	v_and_b32_e32 v152, v152, v153
	v_not_b32_e32 v153, v161
	v_ashrrev_i32_e32 v158, 31, v158
	v_xor_b32_e32 v156, vcc_lo, v156
	v_cmp_gt_i32_e32 vcc_lo, 0, v161
	v_and_b32_e32 v152, v152, v154
	v_not_b32_e32 v154, v157
	v_ashrrev_i32_e32 v153, 31, v153
	v_xor_b32_e32 v158, s16, v158
	v_mul_u32_u24_e32 v37, 9, v37
	v_and_b32_e32 v152, v152, v156
	v_cmp_gt_i32_e64 s16, 0, v157
	v_ashrrev_i32_e32 v154, 31, v154
	v_xor_b32_e32 v153, vcc_lo, v153
	v_add_lshl_u32 v156, v37, v128, 2
	v_and_b32_e32 v152, v152, v158
	s_delay_alu instid0(VALU_DEP_4) | instskip(NEXT) | instid1(VALU_DEP_3)
	v_xor_b32_e32 v37, s16, v154
	v_add_nc_u32_e32 v154, 0x420, v156
	s_delay_alu instid0(VALU_DEP_3) | instskip(SKIP_2) | instid1(VALU_DEP_1)
	v_and_b32_e32 v153, v152, v153
	ds_load_b32 v152, v156 offset:1056
	; wave barrier
	v_and_b32_e32 v37, v153, v37
	v_mbcnt_lo_u32_b32 v153, v37, 0
	v_cmp_ne_u32_e64 s16, 0, v37
	s_delay_alu instid0(VALU_DEP_2) | instskip(NEXT) | instid1(VALU_DEP_2)
	v_cmp_eq_u32_e32 vcc_lo, 0, v153
	s_and_b32 s17, s16, vcc_lo
	s_delay_alu instid0(SALU_CYCLE_1)
	s_and_saveexec_b32 s16, s17
	s_cbranch_execz .LBB505_138
; %bb.137:                              ;   in Loop: Header=BB505_98 Depth=2
	s_waitcnt lgkmcnt(0)
	v_bcnt_u32_b32 v37, v37, v152
	ds_store_b32 v154, v37
.LBB505_138:                            ;   in Loop: Header=BB505_98 Depth=2
	s_or_b32 exec_lo, exec_lo, s16
	v_xor_b32_e32 v151, 0x7fffffff, v151
	; wave barrier
	s_delay_alu instid0(VALU_DEP_1) | instskip(NEXT) | instid1(VALU_DEP_1)
	v_lshrrev_b32_e32 v37, s38, v151
	v_and_b32_e32 v37, s39, v37
	s_delay_alu instid0(VALU_DEP_1)
	v_and_b32_e32 v156, 1, v37
	v_lshlrev_b32_e32 v157, 30, v37
	v_lshlrev_b32_e32 v158, 29, v37
	;; [unrolled: 1-line block ×4, first 2 shown]
	v_add_co_u32 v156, s16, v156, -1
	s_delay_alu instid0(VALU_DEP_1)
	v_cndmask_b32_e64 v161, 0, 1, s16
	v_not_b32_e32 v166, v157
	v_cmp_gt_i32_e64 s16, 0, v157
	v_not_b32_e32 v157, v158
	v_lshlrev_b32_e32 v164, 26, v37
	v_cmp_ne_u32_e32 vcc_lo, 0, v161
	v_ashrrev_i32_e32 v166, 31, v166
	v_lshlrev_b32_e32 v165, 25, v37
	v_ashrrev_i32_e32 v157, 31, v157
	v_lshlrev_b32_e32 v161, 24, v37
	v_xor_b32_e32 v156, vcc_lo, v156
	v_cmp_gt_i32_e32 vcc_lo, 0, v158
	v_not_b32_e32 v158, v160
	v_xor_b32_e32 v166, s16, v166
	v_cmp_gt_i32_e64 s16, 0, v160
	v_and_b32_e32 v156, exec_lo, v156
	v_not_b32_e32 v160, v162
	v_ashrrev_i32_e32 v158, 31, v158
	v_xor_b32_e32 v157, vcc_lo, v157
	v_cmp_gt_i32_e32 vcc_lo, 0, v162
	v_and_b32_e32 v156, v156, v166
	v_not_b32_e32 v162, v164
	v_ashrrev_i32_e32 v160, 31, v160
	v_xor_b32_e32 v158, s16, v158
	v_cmp_gt_i32_e64 s16, 0, v164
	v_and_b32_e32 v156, v156, v157
	v_not_b32_e32 v157, v165
	v_ashrrev_i32_e32 v162, 31, v162
	v_xor_b32_e32 v160, vcc_lo, v160
	v_cmp_gt_i32_e32 vcc_lo, 0, v165
	v_and_b32_e32 v156, v156, v158
	v_not_b32_e32 v158, v161
	v_ashrrev_i32_e32 v157, 31, v157
	v_xor_b32_e32 v162, s16, v162
	v_mul_u32_u24_e32 v37, 9, v37
	v_and_b32_e32 v156, v156, v160
	v_cmp_gt_i32_e64 s16, 0, v161
	v_ashrrev_i32_e32 v158, 31, v158
	v_xor_b32_e32 v157, vcc_lo, v157
	v_add_lshl_u32 v160, v37, v128, 2
	v_and_b32_e32 v156, v156, v162
	s_delay_alu instid0(VALU_DEP_4) | instskip(NEXT) | instid1(VALU_DEP_3)
	v_xor_b32_e32 v37, s16, v158
	v_add_nc_u32_e32 v158, 0x420, v160
	s_delay_alu instid0(VALU_DEP_3) | instskip(SKIP_2) | instid1(VALU_DEP_1)
	v_and_b32_e32 v157, v156, v157
	ds_load_b32 v156, v160 offset:1056
	; wave barrier
	v_and_b32_e32 v37, v157, v37
	v_mbcnt_lo_u32_b32 v157, v37, 0
	v_cmp_ne_u32_e64 s16, 0, v37
	s_delay_alu instid0(VALU_DEP_2) | instskip(NEXT) | instid1(VALU_DEP_2)
	v_cmp_eq_u32_e32 vcc_lo, 0, v157
	s_and_b32 s17, s16, vcc_lo
	s_delay_alu instid0(SALU_CYCLE_1)
	s_and_saveexec_b32 s16, s17
	s_cbranch_execz .LBB505_140
; %bb.139:                              ;   in Loop: Header=BB505_98 Depth=2
	s_waitcnt lgkmcnt(0)
	v_bcnt_u32_b32 v37, v37, v156
	ds_store_b32 v158, v37
.LBB505_140:                            ;   in Loop: Header=BB505_98 Depth=2
	s_or_b32 exec_lo, exec_lo, s16
	v_xor_b32_e32 v155, 0x7fffffff, v155
	; wave barrier
	s_delay_alu instid0(VALU_DEP_1) | instskip(NEXT) | instid1(VALU_DEP_1)
	v_lshrrev_b32_e32 v37, s38, v155
	v_and_b32_e32 v37, s39, v37
	s_delay_alu instid0(VALU_DEP_1)
	v_and_b32_e32 v160, 1, v37
	v_lshlrev_b32_e32 v161, 30, v37
	v_lshlrev_b32_e32 v162, 29, v37
	v_lshlrev_b32_e32 v164, 28, v37
	v_lshlrev_b32_e32 v166, 27, v37
	v_add_co_u32 v160, s16, v160, -1
	s_delay_alu instid0(VALU_DEP_1)
	v_cndmask_b32_e64 v165, 0, 1, s16
	v_not_b32_e32 v170, v161
	v_cmp_gt_i32_e64 s16, 0, v161
	v_not_b32_e32 v161, v162
	v_lshlrev_b32_e32 v168, 26, v37
	v_cmp_ne_u32_e32 vcc_lo, 0, v165
	v_ashrrev_i32_e32 v170, 31, v170
	v_lshlrev_b32_e32 v169, 25, v37
	v_ashrrev_i32_e32 v161, 31, v161
	v_lshlrev_b32_e32 v165, 24, v37
	v_xor_b32_e32 v160, vcc_lo, v160
	v_cmp_gt_i32_e32 vcc_lo, 0, v162
	v_not_b32_e32 v162, v164
	v_xor_b32_e32 v170, s16, v170
	v_cmp_gt_i32_e64 s16, 0, v164
	v_and_b32_e32 v160, exec_lo, v160
	v_not_b32_e32 v164, v166
	v_ashrrev_i32_e32 v162, 31, v162
	v_xor_b32_e32 v161, vcc_lo, v161
	v_cmp_gt_i32_e32 vcc_lo, 0, v166
	v_and_b32_e32 v160, v160, v170
	v_not_b32_e32 v166, v168
	v_ashrrev_i32_e32 v164, 31, v164
	v_xor_b32_e32 v162, s16, v162
	v_cmp_gt_i32_e64 s16, 0, v168
	v_and_b32_e32 v160, v160, v161
	v_not_b32_e32 v161, v169
	v_ashrrev_i32_e32 v166, 31, v166
	v_xor_b32_e32 v164, vcc_lo, v164
	v_cmp_gt_i32_e32 vcc_lo, 0, v169
	v_and_b32_e32 v160, v160, v162
	v_not_b32_e32 v162, v165
	v_ashrrev_i32_e32 v161, 31, v161
	v_xor_b32_e32 v166, s16, v166
	v_mul_u32_u24_e32 v37, 9, v37
	v_and_b32_e32 v160, v160, v164
	v_cmp_gt_i32_e64 s16, 0, v165
	v_ashrrev_i32_e32 v162, 31, v162
	v_xor_b32_e32 v161, vcc_lo, v161
	v_add_lshl_u32 v164, v37, v128, 2
	v_and_b32_e32 v160, v160, v166
	s_delay_alu instid0(VALU_DEP_4) | instskip(NEXT) | instid1(VALU_DEP_3)
	v_xor_b32_e32 v37, s16, v162
	v_add_nc_u32_e32 v162, 0x420, v164
	s_delay_alu instid0(VALU_DEP_3) | instskip(SKIP_2) | instid1(VALU_DEP_1)
	v_and_b32_e32 v161, v160, v161
	ds_load_b32 v160, v164 offset:1056
	; wave barrier
	v_and_b32_e32 v37, v161, v37
	v_mbcnt_lo_u32_b32 v161, v37, 0
	v_cmp_ne_u32_e64 s16, 0, v37
	s_delay_alu instid0(VALU_DEP_2) | instskip(NEXT) | instid1(VALU_DEP_2)
	v_cmp_eq_u32_e32 vcc_lo, 0, v161
	s_and_b32 s17, s16, vcc_lo
	s_delay_alu instid0(SALU_CYCLE_1)
	s_and_saveexec_b32 s16, s17
	s_cbranch_execz .LBB505_142
; %bb.141:                              ;   in Loop: Header=BB505_98 Depth=2
	s_waitcnt lgkmcnt(0)
	v_bcnt_u32_b32 v37, v37, v160
	ds_store_b32 v162, v37
.LBB505_142:                            ;   in Loop: Header=BB505_98 Depth=2
	s_or_b32 exec_lo, exec_lo, s16
	v_xor_b32_e32 v159, 0x7fffffff, v159
	; wave barrier
	s_delay_alu instid0(VALU_DEP_1) | instskip(NEXT) | instid1(VALU_DEP_1)
	v_lshrrev_b32_e32 v37, s38, v159
	v_and_b32_e32 v37, s39, v37
	s_delay_alu instid0(VALU_DEP_1)
	v_and_b32_e32 v164, 1, v37
	v_lshlrev_b32_e32 v165, 30, v37
	v_lshlrev_b32_e32 v166, 29, v37
	;; [unrolled: 1-line block ×4, first 2 shown]
	v_add_co_u32 v164, s16, v164, -1
	s_delay_alu instid0(VALU_DEP_1)
	v_cndmask_b32_e64 v169, 0, 1, s16
	v_not_b32_e32 v175, v165
	v_cmp_gt_i32_e64 s16, 0, v165
	v_not_b32_e32 v165, v166
	v_lshlrev_b32_e32 v173, 26, v37
	v_cmp_ne_u32_e32 vcc_lo, 0, v169
	v_ashrrev_i32_e32 v175, 31, v175
	v_lshlrev_b32_e32 v174, 25, v37
	v_ashrrev_i32_e32 v165, 31, v165
	v_lshlrev_b32_e32 v169, 24, v37
	v_xor_b32_e32 v164, vcc_lo, v164
	v_cmp_gt_i32_e32 vcc_lo, 0, v166
	v_not_b32_e32 v166, v168
	v_xor_b32_e32 v175, s16, v175
	v_cmp_gt_i32_e64 s16, 0, v168
	v_and_b32_e32 v164, exec_lo, v164
	v_not_b32_e32 v168, v170
	v_ashrrev_i32_e32 v166, 31, v166
	v_xor_b32_e32 v165, vcc_lo, v165
	v_cmp_gt_i32_e32 vcc_lo, 0, v170
	v_and_b32_e32 v164, v164, v175
	v_not_b32_e32 v170, v173
	v_ashrrev_i32_e32 v168, 31, v168
	v_xor_b32_e32 v166, s16, v166
	v_cmp_gt_i32_e64 s16, 0, v173
	v_and_b32_e32 v164, v164, v165
	v_not_b32_e32 v165, v174
	v_ashrrev_i32_e32 v170, 31, v170
	v_xor_b32_e32 v168, vcc_lo, v168
	v_cmp_gt_i32_e32 vcc_lo, 0, v174
	v_and_b32_e32 v164, v164, v166
	v_not_b32_e32 v166, v169
	v_ashrrev_i32_e32 v165, 31, v165
	v_xor_b32_e32 v170, s16, v170
	v_mul_u32_u24_e32 v37, 9, v37
	v_and_b32_e32 v164, v164, v168
	v_cmp_gt_i32_e64 s16, 0, v169
	v_ashrrev_i32_e32 v166, 31, v166
	v_xor_b32_e32 v165, vcc_lo, v165
	v_add_lshl_u32 v168, v37, v128, 2
	v_and_b32_e32 v164, v164, v170
	s_delay_alu instid0(VALU_DEP_4) | instskip(NEXT) | instid1(VALU_DEP_3)
	v_xor_b32_e32 v37, s16, v166
	v_add_nc_u32_e32 v166, 0x420, v168
	s_delay_alu instid0(VALU_DEP_3) | instskip(SKIP_2) | instid1(VALU_DEP_1)
	v_and_b32_e32 v165, v164, v165
	ds_load_b32 v164, v168 offset:1056
	; wave barrier
	v_and_b32_e32 v37, v165, v37
	v_mbcnt_lo_u32_b32 v165, v37, 0
	v_cmp_ne_u32_e64 s16, 0, v37
	s_delay_alu instid0(VALU_DEP_2) | instskip(NEXT) | instid1(VALU_DEP_2)
	v_cmp_eq_u32_e32 vcc_lo, 0, v165
	s_and_b32 s17, s16, vcc_lo
	s_delay_alu instid0(SALU_CYCLE_1)
	s_and_saveexec_b32 s16, s17
	s_cbranch_execz .LBB505_144
; %bb.143:                              ;   in Loop: Header=BB505_98 Depth=2
	s_waitcnt lgkmcnt(0)
	v_bcnt_u32_b32 v37, v37, v164
	ds_store_b32 v166, v37
.LBB505_144:                            ;   in Loop: Header=BB505_98 Depth=2
	s_or_b32 exec_lo, exec_lo, s16
	v_xor_b32_e32 v163, 0x7fffffff, v163
	; wave barrier
	s_delay_alu instid0(VALU_DEP_1) | instskip(NEXT) | instid1(VALU_DEP_1)
	v_lshrrev_b32_e32 v37, s38, v163
	v_and_b32_e32 v37, s39, v37
	s_delay_alu instid0(VALU_DEP_1)
	v_and_b32_e32 v168, 1, v37
	v_lshlrev_b32_e32 v169, 30, v37
	v_lshlrev_b32_e32 v170, 29, v37
	;; [unrolled: 1-line block ×4, first 2 shown]
	v_add_co_u32 v168, s16, v168, -1
	s_delay_alu instid0(VALU_DEP_1)
	v_cndmask_b32_e64 v174, 0, 1, s16
	v_not_b32_e32 v178, v169
	v_cmp_gt_i32_e64 s16, 0, v169
	v_not_b32_e32 v169, v170
	v_lshlrev_b32_e32 v176, 26, v37
	v_cmp_ne_u32_e32 vcc_lo, 0, v174
	v_ashrrev_i32_e32 v178, 31, v178
	v_lshlrev_b32_e32 v177, 25, v37
	v_ashrrev_i32_e32 v169, 31, v169
	v_lshlrev_b32_e32 v174, 24, v37
	v_xor_b32_e32 v168, vcc_lo, v168
	v_cmp_gt_i32_e32 vcc_lo, 0, v170
	v_not_b32_e32 v170, v173
	v_xor_b32_e32 v178, s16, v178
	v_cmp_gt_i32_e64 s16, 0, v173
	v_and_b32_e32 v168, exec_lo, v168
	v_not_b32_e32 v173, v175
	v_ashrrev_i32_e32 v170, 31, v170
	v_xor_b32_e32 v169, vcc_lo, v169
	v_cmp_gt_i32_e32 vcc_lo, 0, v175
	v_and_b32_e32 v168, v168, v178
	v_not_b32_e32 v175, v176
	v_ashrrev_i32_e32 v173, 31, v173
	v_xor_b32_e32 v170, s16, v170
	v_cmp_gt_i32_e64 s16, 0, v176
	v_and_b32_e32 v168, v168, v169
	v_not_b32_e32 v169, v177
	v_ashrrev_i32_e32 v175, 31, v175
	v_xor_b32_e32 v173, vcc_lo, v173
	v_cmp_gt_i32_e32 vcc_lo, 0, v177
	v_and_b32_e32 v168, v168, v170
	v_not_b32_e32 v170, v174
	v_ashrrev_i32_e32 v169, 31, v169
	v_xor_b32_e32 v175, s16, v175
	v_mul_u32_u24_e32 v37, 9, v37
	v_and_b32_e32 v168, v168, v173
	v_cmp_gt_i32_e64 s16, 0, v174
	v_ashrrev_i32_e32 v170, 31, v170
	v_xor_b32_e32 v169, vcc_lo, v169
	v_add_lshl_u32 v173, v37, v128, 2
	v_and_b32_e32 v168, v168, v175
	s_delay_alu instid0(VALU_DEP_4) | instskip(NEXT) | instid1(VALU_DEP_3)
	v_xor_b32_e32 v37, s16, v170
	v_add_nc_u32_e32 v170, 0x420, v173
	s_delay_alu instid0(VALU_DEP_3) | instskip(SKIP_2) | instid1(VALU_DEP_1)
	v_and_b32_e32 v169, v168, v169
	ds_load_b32 v168, v173 offset:1056
	; wave barrier
	v_and_b32_e32 v37, v169, v37
	v_mbcnt_lo_u32_b32 v169, v37, 0
	v_cmp_ne_u32_e64 s16, 0, v37
	s_delay_alu instid0(VALU_DEP_2) | instskip(NEXT) | instid1(VALU_DEP_2)
	v_cmp_eq_u32_e32 vcc_lo, 0, v169
	s_and_b32 s17, s16, vcc_lo
	s_delay_alu instid0(SALU_CYCLE_1)
	s_and_saveexec_b32 s16, s17
	s_cbranch_execz .LBB505_146
; %bb.145:                              ;   in Loop: Header=BB505_98 Depth=2
	s_waitcnt lgkmcnt(0)
	v_bcnt_u32_b32 v37, v37, v168
	ds_store_b32 v170, v37
.LBB505_146:                            ;   in Loop: Header=BB505_98 Depth=2
	s_or_b32 exec_lo, exec_lo, s16
	v_xor_b32_e32 v167, 0x7fffffff, v167
	; wave barrier
	s_delay_alu instid0(VALU_DEP_1) | instskip(NEXT) | instid1(VALU_DEP_1)
	v_lshrrev_b32_e32 v37, s38, v167
	v_and_b32_e32 v37, s39, v37
	s_delay_alu instid0(VALU_DEP_1)
	v_and_b32_e32 v173, 1, v37
	v_lshlrev_b32_e32 v174, 30, v37
	v_lshlrev_b32_e32 v175, 29, v37
	;; [unrolled: 1-line block ×4, first 2 shown]
	v_add_co_u32 v173, s16, v173, -1
	s_delay_alu instid0(VALU_DEP_1)
	v_cndmask_b32_e64 v177, 0, 1, s16
	v_not_b32_e32 v181, v174
	v_cmp_gt_i32_e64 s16, 0, v174
	v_not_b32_e32 v174, v175
	v_lshlrev_b32_e32 v179, 26, v37
	v_cmp_ne_u32_e32 vcc_lo, 0, v177
	v_ashrrev_i32_e32 v181, 31, v181
	v_lshlrev_b32_e32 v180, 25, v37
	v_ashrrev_i32_e32 v174, 31, v174
	v_lshlrev_b32_e32 v177, 24, v37
	v_xor_b32_e32 v173, vcc_lo, v173
	v_cmp_gt_i32_e32 vcc_lo, 0, v175
	v_not_b32_e32 v175, v176
	v_xor_b32_e32 v181, s16, v181
	v_cmp_gt_i32_e64 s16, 0, v176
	v_and_b32_e32 v173, exec_lo, v173
	v_not_b32_e32 v176, v178
	v_ashrrev_i32_e32 v175, 31, v175
	v_xor_b32_e32 v174, vcc_lo, v174
	v_cmp_gt_i32_e32 vcc_lo, 0, v178
	v_and_b32_e32 v173, v173, v181
	v_not_b32_e32 v178, v179
	v_ashrrev_i32_e32 v176, 31, v176
	v_xor_b32_e32 v175, s16, v175
	v_cmp_gt_i32_e64 s16, 0, v179
	v_and_b32_e32 v173, v173, v174
	v_not_b32_e32 v174, v180
	v_ashrrev_i32_e32 v178, 31, v178
	v_xor_b32_e32 v176, vcc_lo, v176
	v_cmp_gt_i32_e32 vcc_lo, 0, v180
	v_and_b32_e32 v173, v173, v175
	v_not_b32_e32 v175, v177
	v_ashrrev_i32_e32 v174, 31, v174
	v_xor_b32_e32 v178, s16, v178
	v_mul_u32_u24_e32 v37, 9, v37
	v_and_b32_e32 v173, v173, v176
	v_cmp_gt_i32_e64 s16, 0, v177
	v_ashrrev_i32_e32 v175, 31, v175
	v_xor_b32_e32 v174, vcc_lo, v174
	v_add_lshl_u32 v176, v37, v128, 2
	v_and_b32_e32 v173, v173, v178
	s_delay_alu instid0(VALU_DEP_4) | instskip(NEXT) | instid1(VALU_DEP_3)
	v_xor_b32_e32 v37, s16, v175
	v_add_nc_u32_e32 v175, 0x420, v176
	s_delay_alu instid0(VALU_DEP_3) | instskip(SKIP_2) | instid1(VALU_DEP_1)
	v_and_b32_e32 v174, v173, v174
	ds_load_b32 v173, v176 offset:1056
	; wave barrier
	v_and_b32_e32 v37, v174, v37
	v_mbcnt_lo_u32_b32 v174, v37, 0
	v_cmp_ne_u32_e64 s16, 0, v37
	s_delay_alu instid0(VALU_DEP_2) | instskip(NEXT) | instid1(VALU_DEP_2)
	v_cmp_eq_u32_e32 vcc_lo, 0, v174
	s_and_b32 s17, s16, vcc_lo
	s_delay_alu instid0(SALU_CYCLE_1)
	s_and_saveexec_b32 s16, s17
	s_cbranch_execz .LBB505_148
; %bb.147:                              ;   in Loop: Header=BB505_98 Depth=2
	s_waitcnt lgkmcnt(0)
	v_bcnt_u32_b32 v37, v37, v173
	ds_store_b32 v175, v37
.LBB505_148:                            ;   in Loop: Header=BB505_98 Depth=2
	s_or_b32 exec_lo, exec_lo, s16
	v_xor_b32_e32 v172, 0x7fffffff, v172
	; wave barrier
	s_delay_alu instid0(VALU_DEP_1) | instskip(NEXT) | instid1(VALU_DEP_1)
	v_lshrrev_b32_e32 v37, s38, v172
	v_and_b32_e32 v37, s39, v37
	s_delay_alu instid0(VALU_DEP_1)
	v_and_b32_e32 v176, 1, v37
	v_lshlrev_b32_e32 v177, 30, v37
	v_lshlrev_b32_e32 v178, 29, v37
	;; [unrolled: 1-line block ×4, first 2 shown]
	v_add_co_u32 v176, s16, v176, -1
	s_delay_alu instid0(VALU_DEP_1)
	v_cndmask_b32_e64 v180, 0, 1, s16
	v_not_b32_e32 v184, v177
	v_cmp_gt_i32_e64 s16, 0, v177
	v_not_b32_e32 v177, v178
	v_lshlrev_b32_e32 v182, 26, v37
	v_cmp_ne_u32_e32 vcc_lo, 0, v180
	v_ashrrev_i32_e32 v184, 31, v184
	v_lshlrev_b32_e32 v183, 25, v37
	v_ashrrev_i32_e32 v177, 31, v177
	v_lshlrev_b32_e32 v180, 24, v37
	v_xor_b32_e32 v176, vcc_lo, v176
	v_cmp_gt_i32_e32 vcc_lo, 0, v178
	v_not_b32_e32 v178, v179
	v_xor_b32_e32 v184, s16, v184
	v_cmp_gt_i32_e64 s16, 0, v179
	v_and_b32_e32 v176, exec_lo, v176
	v_not_b32_e32 v179, v181
	v_ashrrev_i32_e32 v178, 31, v178
	v_xor_b32_e32 v177, vcc_lo, v177
	v_cmp_gt_i32_e32 vcc_lo, 0, v181
	v_and_b32_e32 v176, v176, v184
	v_not_b32_e32 v181, v182
	v_ashrrev_i32_e32 v179, 31, v179
	v_xor_b32_e32 v178, s16, v178
	v_cmp_gt_i32_e64 s16, 0, v182
	v_and_b32_e32 v176, v176, v177
	v_not_b32_e32 v177, v183
	v_ashrrev_i32_e32 v181, 31, v181
	v_xor_b32_e32 v179, vcc_lo, v179
	v_cmp_gt_i32_e32 vcc_lo, 0, v183
	v_and_b32_e32 v176, v176, v178
	v_not_b32_e32 v178, v180
	v_ashrrev_i32_e32 v177, 31, v177
	v_xor_b32_e32 v181, s16, v181
	v_mul_u32_u24_e32 v37, 9, v37
	v_and_b32_e32 v176, v176, v179
	v_cmp_gt_i32_e64 s16, 0, v180
	v_ashrrev_i32_e32 v178, 31, v178
	v_xor_b32_e32 v177, vcc_lo, v177
	v_add_lshl_u32 v179, v37, v128, 2
	v_and_b32_e32 v176, v176, v181
	s_delay_alu instid0(VALU_DEP_4) | instskip(NEXT) | instid1(VALU_DEP_3)
	v_xor_b32_e32 v37, s16, v178
	v_add_nc_u32_e32 v178, 0x420, v179
	s_delay_alu instid0(VALU_DEP_3) | instskip(SKIP_2) | instid1(VALU_DEP_1)
	v_and_b32_e32 v177, v176, v177
	ds_load_b32 v176, v179 offset:1056
	; wave barrier
	v_and_b32_e32 v37, v177, v37
	v_mbcnt_lo_u32_b32 v177, v37, 0
	v_cmp_ne_u32_e64 s16, 0, v37
	s_delay_alu instid0(VALU_DEP_2) | instskip(NEXT) | instid1(VALU_DEP_2)
	v_cmp_eq_u32_e32 vcc_lo, 0, v177
	s_and_b32 s17, s16, vcc_lo
	s_delay_alu instid0(SALU_CYCLE_1)
	s_and_saveexec_b32 s16, s17
	s_cbranch_execz .LBB505_150
; %bb.149:                              ;   in Loop: Header=BB505_98 Depth=2
	s_waitcnt lgkmcnt(0)
	v_bcnt_u32_b32 v37, v37, v176
	ds_store_b32 v178, v37
.LBB505_150:                            ;   in Loop: Header=BB505_98 Depth=2
	s_or_b32 exec_lo, exec_lo, s16
	v_xor_b32_e32 v171, 0x7fffffff, v171
	; wave barrier
	s_delay_alu instid0(VALU_DEP_1) | instskip(NEXT) | instid1(VALU_DEP_1)
	v_lshrrev_b32_e32 v37, s38, v171
	v_and_b32_e32 v37, s39, v37
	s_delay_alu instid0(VALU_DEP_1)
	v_and_b32_e32 v179, 1, v37
	v_lshlrev_b32_e32 v180, 30, v37
	v_lshlrev_b32_e32 v181, 29, v37
	;; [unrolled: 1-line block ×4, first 2 shown]
	v_add_co_u32 v179, s16, v179, -1
	s_delay_alu instid0(VALU_DEP_1)
	v_cndmask_b32_e64 v183, 0, 1, s16
	v_not_b32_e32 v187, v180
	v_cmp_gt_i32_e64 s16, 0, v180
	v_not_b32_e32 v180, v181
	v_lshlrev_b32_e32 v185, 26, v37
	v_cmp_ne_u32_e32 vcc_lo, 0, v183
	v_ashrrev_i32_e32 v187, 31, v187
	v_lshlrev_b32_e32 v186, 25, v37
	v_ashrrev_i32_e32 v180, 31, v180
	v_lshlrev_b32_e32 v183, 24, v37
	v_xor_b32_e32 v179, vcc_lo, v179
	v_cmp_gt_i32_e32 vcc_lo, 0, v181
	v_not_b32_e32 v181, v182
	v_xor_b32_e32 v187, s16, v187
	v_cmp_gt_i32_e64 s16, 0, v182
	v_and_b32_e32 v179, exec_lo, v179
	v_not_b32_e32 v182, v184
	v_ashrrev_i32_e32 v181, 31, v181
	v_xor_b32_e32 v180, vcc_lo, v180
	v_cmp_gt_i32_e32 vcc_lo, 0, v184
	v_and_b32_e32 v179, v179, v187
	v_not_b32_e32 v184, v185
	v_ashrrev_i32_e32 v182, 31, v182
	v_xor_b32_e32 v181, s16, v181
	v_cmp_gt_i32_e64 s16, 0, v185
	v_and_b32_e32 v179, v179, v180
	v_not_b32_e32 v180, v186
	v_ashrrev_i32_e32 v184, 31, v184
	v_xor_b32_e32 v182, vcc_lo, v182
	v_cmp_gt_i32_e32 vcc_lo, 0, v186
	v_and_b32_e32 v179, v179, v181
	v_not_b32_e32 v181, v183
	v_ashrrev_i32_e32 v180, 31, v180
	v_xor_b32_e32 v184, s16, v184
	v_mul_u32_u24_e32 v37, 9, v37
	v_and_b32_e32 v179, v179, v182
	v_cmp_gt_i32_e64 s16, 0, v183
	v_ashrrev_i32_e32 v181, 31, v181
	v_xor_b32_e32 v180, vcc_lo, v180
	v_add_lshl_u32 v182, v37, v128, 2
	v_and_b32_e32 v179, v179, v184
	s_delay_alu instid0(VALU_DEP_4) | instskip(NEXT) | instid1(VALU_DEP_2)
	v_xor_b32_e32 v37, s16, v181
	v_and_b32_e32 v179, v179, v180
	ds_load_b32 v180, v182 offset:1056
	v_add_nc_u32_e32 v182, 0x420, v182
	; wave barrier
	v_and_b32_e32 v37, v179, v37
	s_delay_alu instid0(VALU_DEP_1) | instskip(SKIP_1) | instid1(VALU_DEP_2)
	v_mbcnt_lo_u32_b32 v181, v37, 0
	v_cmp_ne_u32_e64 s16, 0, v37
	v_cmp_eq_u32_e32 vcc_lo, 0, v181
	s_delay_alu instid0(VALU_DEP_2) | instskip(NEXT) | instid1(SALU_CYCLE_1)
	s_and_b32 s17, s16, vcc_lo
	s_and_saveexec_b32 s16, s17
	s_cbranch_execz .LBB505_152
; %bb.151:                              ;   in Loop: Header=BB505_98 Depth=2
	s_waitcnt lgkmcnt(0)
	v_bcnt_u32_b32 v37, v37, v180
	ds_store_b32 v182, v37
.LBB505_152:                            ;   in Loop: Header=BB505_98 Depth=2
	s_or_b32 exec_lo, exec_lo, s16
	v_xor_b32_e32 v179, 0x7fffffff, v43
	; wave barrier
	s_delay_alu instid0(VALU_DEP_1) | instskip(NEXT) | instid1(VALU_DEP_1)
	v_lshrrev_b32_e32 v37, s38, v179
	v_and_b32_e32 v37, s39, v37
	s_delay_alu instid0(VALU_DEP_1)
	v_and_b32_e32 v43, 1, v37
	v_lshlrev_b32_e32 v183, 30, v37
	v_lshlrev_b32_e32 v184, 29, v37
	;; [unrolled: 1-line block ×4, first 2 shown]
	v_add_co_u32 v43, s16, v43, -1
	s_delay_alu instid0(VALU_DEP_1)
	v_cndmask_b32_e64 v186, 0, 1, s16
	v_not_b32_e32 v190, v183
	v_cmp_gt_i32_e64 s16, 0, v183
	v_not_b32_e32 v183, v184
	v_lshlrev_b32_e32 v188, 26, v37
	v_cmp_ne_u32_e32 vcc_lo, 0, v186
	v_ashrrev_i32_e32 v190, 31, v190
	v_lshlrev_b32_e32 v189, 25, v37
	v_ashrrev_i32_e32 v183, 31, v183
	v_lshlrev_b32_e32 v186, 24, v37
	v_xor_b32_e32 v43, vcc_lo, v43
	v_cmp_gt_i32_e32 vcc_lo, 0, v184
	v_not_b32_e32 v184, v185
	v_xor_b32_e32 v190, s16, v190
	v_cmp_gt_i32_e64 s16, 0, v185
	v_and_b32_e32 v43, exec_lo, v43
	v_not_b32_e32 v185, v187
	v_ashrrev_i32_e32 v184, 31, v184
	v_xor_b32_e32 v183, vcc_lo, v183
	v_cmp_gt_i32_e32 vcc_lo, 0, v187
	v_and_b32_e32 v43, v43, v190
	v_not_b32_e32 v187, v188
	v_ashrrev_i32_e32 v185, 31, v185
	v_xor_b32_e32 v184, s16, v184
	v_cmp_gt_i32_e64 s16, 0, v188
	v_and_b32_e32 v43, v43, v183
	v_not_b32_e32 v183, v189
	v_ashrrev_i32_e32 v187, 31, v187
	v_xor_b32_e32 v185, vcc_lo, v185
	v_cmp_gt_i32_e32 vcc_lo, 0, v189
	v_and_b32_e32 v43, v43, v184
	v_not_b32_e32 v184, v186
	v_ashrrev_i32_e32 v183, 31, v183
	v_xor_b32_e32 v187, s16, v187
	v_mul_u32_u24_e32 v37, 9, v37
	v_and_b32_e32 v43, v43, v185
	v_cmp_gt_i32_e64 s16, 0, v186
	v_ashrrev_i32_e32 v184, 31, v184
	v_xor_b32_e32 v183, vcc_lo, v183
	v_add_lshl_u32 v186, v37, v128, 2
	v_and_b32_e32 v43, v43, v187
	s_delay_alu instid0(VALU_DEP_4) | instskip(SKIP_3) | instid1(VALU_DEP_2)
	v_xor_b32_e32 v37, s16, v184
	ds_load_b32 v184, v186 offset:1056
	v_and_b32_e32 v43, v43, v183
	v_add_nc_u32_e32 v186, 0x420, v186
	; wave barrier
	v_and_b32_e32 v37, v43, v37
	s_delay_alu instid0(VALU_DEP_1) | instskip(SKIP_1) | instid1(VALU_DEP_2)
	v_mbcnt_lo_u32_b32 v185, v37, 0
	v_cmp_ne_u32_e64 s16, 0, v37
	v_cmp_eq_u32_e32 vcc_lo, 0, v185
	s_delay_alu instid0(VALU_DEP_2) | instskip(NEXT) | instid1(SALU_CYCLE_1)
	s_and_b32 s17, s16, vcc_lo
	s_and_saveexec_b32 s16, s17
	s_cbranch_execz .LBB505_154
; %bb.153:                              ;   in Loop: Header=BB505_98 Depth=2
	s_waitcnt lgkmcnt(0)
	v_bcnt_u32_b32 v37, v37, v184
	ds_store_b32 v186, v37
.LBB505_154:                            ;   in Loop: Header=BB505_98 Depth=2
	s_or_b32 exec_lo, exec_lo, s16
	v_xor_b32_e32 v183, 0x7fffffff, v42
	; wave barrier
	s_delay_alu instid0(VALU_DEP_1) | instskip(NEXT) | instid1(VALU_DEP_1)
	v_lshrrev_b32_e32 v37, s38, v183
	v_and_b32_e32 v37, s39, v37
	s_delay_alu instid0(VALU_DEP_1)
	v_and_b32_e32 v42, 1, v37
	v_lshlrev_b32_e32 v43, 30, v37
	v_lshlrev_b32_e32 v187, 29, v37
	;; [unrolled: 1-line block ×4, first 2 shown]
	v_add_co_u32 v42, s16, v42, -1
	s_delay_alu instid0(VALU_DEP_1)
	v_cndmask_b32_e64 v189, 0, 1, s16
	v_not_b32_e32 v193, v43
	v_cmp_gt_i32_e64 s16, 0, v43
	v_not_b32_e32 v43, v187
	v_lshlrev_b32_e32 v191, 26, v37
	v_cmp_ne_u32_e32 vcc_lo, 0, v189
	v_ashrrev_i32_e32 v193, 31, v193
	v_lshlrev_b32_e32 v192, 25, v37
	v_ashrrev_i32_e32 v43, 31, v43
	v_lshlrev_b32_e32 v189, 24, v37
	v_xor_b32_e32 v42, vcc_lo, v42
	v_cmp_gt_i32_e32 vcc_lo, 0, v187
	v_not_b32_e32 v187, v188
	v_xor_b32_e32 v193, s16, v193
	v_cmp_gt_i32_e64 s16, 0, v188
	v_and_b32_e32 v42, exec_lo, v42
	v_not_b32_e32 v188, v190
	v_ashrrev_i32_e32 v187, 31, v187
	v_xor_b32_e32 v43, vcc_lo, v43
	v_cmp_gt_i32_e32 vcc_lo, 0, v190
	v_and_b32_e32 v42, v42, v193
	v_not_b32_e32 v190, v191
	v_ashrrev_i32_e32 v188, 31, v188
	v_xor_b32_e32 v187, s16, v187
	v_cmp_gt_i32_e64 s16, 0, v191
	v_and_b32_e32 v42, v42, v43
	v_not_b32_e32 v43, v192
	v_ashrrev_i32_e32 v190, 31, v190
	v_xor_b32_e32 v188, vcc_lo, v188
	v_cmp_gt_i32_e32 vcc_lo, 0, v192
	v_and_b32_e32 v42, v42, v187
	v_not_b32_e32 v187, v189
	v_ashrrev_i32_e32 v43, 31, v43
	v_xor_b32_e32 v190, s16, v190
	v_mul_u32_u24_e32 v37, 9, v37
	v_and_b32_e32 v42, v42, v188
	v_cmp_gt_i32_e64 s16, 0, v189
	v_ashrrev_i32_e32 v187, 31, v187
	v_xor_b32_e32 v43, vcc_lo, v43
	s_delay_alu instid0(VALU_DEP_4) | instskip(SKIP_1) | instid1(VALU_DEP_4)
	v_and_b32_e32 v42, v42, v190
	v_add_lshl_u32 v190, v37, v128, 2
	v_xor_b32_e32 v37, s16, v187
	s_delay_alu instid0(VALU_DEP_3) | instskip(SKIP_3) | instid1(VALU_DEP_1)
	v_and_b32_e32 v42, v42, v43
	ds_load_b32 v188, v190 offset:1056
	v_add_nc_u32_e32 v190, 0x420, v190
	; wave barrier
	v_and_b32_e32 v37, v42, v37
	v_mbcnt_lo_u32_b32 v189, v37, 0
	v_cmp_ne_u32_e64 s16, 0, v37
	s_delay_alu instid0(VALU_DEP_2) | instskip(NEXT) | instid1(VALU_DEP_2)
	v_cmp_eq_u32_e32 vcc_lo, 0, v189
	s_and_b32 s17, s16, vcc_lo
	s_delay_alu instid0(SALU_CYCLE_1)
	s_and_saveexec_b32 s16, s17
	s_cbranch_execz .LBB505_156
; %bb.155:                              ;   in Loop: Header=BB505_98 Depth=2
	s_waitcnt lgkmcnt(0)
	v_bcnt_u32_b32 v37, v37, v188
	ds_store_b32 v190, v37
.LBB505_156:                            ;   in Loop: Header=BB505_98 Depth=2
	s_or_b32 exec_lo, exec_lo, s16
	v_xor_b32_e32 v187, 0x7fffffff, v41
	; wave barrier
	s_delay_alu instid0(VALU_DEP_1) | instskip(NEXT) | instid1(VALU_DEP_1)
	v_lshrrev_b32_e32 v37, s38, v187
	v_and_b32_e32 v37, s39, v37
	s_delay_alu instid0(VALU_DEP_1)
	v_and_b32_e32 v41, 1, v37
	v_lshlrev_b32_e32 v42, 30, v37
	v_lshlrev_b32_e32 v43, 29, v37
	;; [unrolled: 1-line block ×4, first 2 shown]
	v_add_co_u32 v41, s16, v41, -1
	s_delay_alu instid0(VALU_DEP_1)
	v_cndmask_b32_e64 v192, 0, 1, s16
	v_not_b32_e32 v196, v42
	v_cmp_gt_i32_e64 s16, 0, v42
	v_not_b32_e32 v42, v43
	v_lshlrev_b32_e32 v194, 26, v37
	v_cmp_ne_u32_e32 vcc_lo, 0, v192
	v_ashrrev_i32_e32 v196, 31, v196
	v_lshlrev_b32_e32 v195, 25, v37
	v_ashrrev_i32_e32 v42, 31, v42
	v_lshlrev_b32_e32 v192, 24, v37
	v_xor_b32_e32 v41, vcc_lo, v41
	v_cmp_gt_i32_e32 vcc_lo, 0, v43
	v_not_b32_e32 v43, v191
	v_xor_b32_e32 v196, s16, v196
	v_cmp_gt_i32_e64 s16, 0, v191
	v_and_b32_e32 v41, exec_lo, v41
	v_not_b32_e32 v191, v193
	v_ashrrev_i32_e32 v43, 31, v43
	v_xor_b32_e32 v42, vcc_lo, v42
	v_cmp_gt_i32_e32 vcc_lo, 0, v193
	v_and_b32_e32 v41, v41, v196
	v_not_b32_e32 v193, v194
	v_ashrrev_i32_e32 v191, 31, v191
	v_xor_b32_e32 v43, s16, v43
	v_cmp_gt_i32_e64 s16, 0, v194
	v_and_b32_e32 v41, v41, v42
	v_not_b32_e32 v42, v195
	v_ashrrev_i32_e32 v193, 31, v193
	v_xor_b32_e32 v191, vcc_lo, v191
	v_cmp_gt_i32_e32 vcc_lo, 0, v195
	v_and_b32_e32 v41, v41, v43
	v_not_b32_e32 v43, v192
	v_ashrrev_i32_e32 v42, 31, v42
	v_xor_b32_e32 v193, s16, v193
	v_mul_u32_u24_e32 v37, 9, v37
	v_and_b32_e32 v41, v41, v191
	v_cmp_gt_i32_e64 s16, 0, v192
	v_ashrrev_i32_e32 v43, 31, v43
	v_xor_b32_e32 v42, vcc_lo, v42
	v_add_lshl_u32 v191, v37, v128, 2
	v_and_b32_e32 v41, v41, v193
	s_delay_alu instid0(VALU_DEP_4) | instskip(SKIP_3) | instid1(VALU_DEP_2)
	v_xor_b32_e32 v37, s16, v43
	ds_load_b32 v192, v191 offset:1056
	v_and_b32_e32 v41, v41, v42
	v_add_nc_u32_e32 v194, 0x420, v191
	; wave barrier
	v_and_b32_e32 v37, v41, v37
	s_delay_alu instid0(VALU_DEP_1) | instskip(SKIP_1) | instid1(VALU_DEP_2)
	v_mbcnt_lo_u32_b32 v193, v37, 0
	v_cmp_ne_u32_e64 s16, 0, v37
	v_cmp_eq_u32_e32 vcc_lo, 0, v193
	s_delay_alu instid0(VALU_DEP_2) | instskip(NEXT) | instid1(SALU_CYCLE_1)
	s_and_b32 s17, s16, vcc_lo
	s_and_saveexec_b32 s16, s17
	s_cbranch_execz .LBB505_158
; %bb.157:                              ;   in Loop: Header=BB505_98 Depth=2
	s_waitcnt lgkmcnt(0)
	v_bcnt_u32_b32 v37, v37, v192
	ds_store_b32 v194, v37
.LBB505_158:                            ;   in Loop: Header=BB505_98 Depth=2
	s_or_b32 exec_lo, exec_lo, s16
	v_xor_b32_e32 v191, 0x7fffffff, v40
	; wave barrier
	s_delay_alu instid0(VALU_DEP_1) | instskip(NEXT) | instid1(VALU_DEP_1)
	v_lshrrev_b32_e32 v37, s38, v191
	v_and_b32_e32 v37, s39, v37
	s_delay_alu instid0(VALU_DEP_1)
	v_and_b32_e32 v40, 1, v37
	v_lshlrev_b32_e32 v41, 30, v37
	v_lshlrev_b32_e32 v42, 29, v37
	;; [unrolled: 1-line block ×4, first 2 shown]
	v_add_co_u32 v40, s16, v40, -1
	s_delay_alu instid0(VALU_DEP_1)
	v_cndmask_b32_e64 v195, 0, 1, s16
	v_not_b32_e32 v199, v41
	v_cmp_gt_i32_e64 s16, 0, v41
	v_not_b32_e32 v41, v42
	v_lshlrev_b32_e32 v197, 26, v37
	v_cmp_ne_u32_e32 vcc_lo, 0, v195
	v_ashrrev_i32_e32 v199, 31, v199
	v_lshlrev_b32_e32 v198, 25, v37
	v_ashrrev_i32_e32 v41, 31, v41
	v_lshlrev_b32_e32 v195, 24, v37
	v_xor_b32_e32 v40, vcc_lo, v40
	v_cmp_gt_i32_e32 vcc_lo, 0, v42
	v_not_b32_e32 v42, v43
	v_xor_b32_e32 v199, s16, v199
	v_cmp_gt_i32_e64 s16, 0, v43
	v_and_b32_e32 v40, exec_lo, v40
	v_not_b32_e32 v43, v196
	v_ashrrev_i32_e32 v42, 31, v42
	v_xor_b32_e32 v41, vcc_lo, v41
	v_cmp_gt_i32_e32 vcc_lo, 0, v196
	v_and_b32_e32 v40, v40, v199
	v_not_b32_e32 v196, v197
	v_ashrrev_i32_e32 v43, 31, v43
	v_xor_b32_e32 v42, s16, v42
	v_cmp_gt_i32_e64 s16, 0, v197
	v_and_b32_e32 v40, v40, v41
	v_not_b32_e32 v41, v198
	v_ashrrev_i32_e32 v196, 31, v196
	v_xor_b32_e32 v43, vcc_lo, v43
	v_cmp_gt_i32_e32 vcc_lo, 0, v198
	v_and_b32_e32 v40, v40, v42
	v_not_b32_e32 v42, v195
	v_ashrrev_i32_e32 v41, 31, v41
	v_xor_b32_e32 v196, s16, v196
	v_mul_u32_u24_e32 v37, 9, v37
	v_and_b32_e32 v40, v40, v43
	v_cmp_gt_i32_e64 s16, 0, v195
	v_ashrrev_i32_e32 v42, 31, v42
	v_xor_b32_e32 v41, vcc_lo, v41
	v_add_lshl_u32 v43, v37, v128, 2
	v_and_b32_e32 v40, v40, v196
	s_delay_alu instid0(VALU_DEP_4) | instskip(SKIP_3) | instid1(VALU_DEP_2)
	v_xor_b32_e32 v37, s16, v42
	ds_load_b32 v196, v43 offset:1056
	v_and_b32_e32 v40, v40, v41
	v_add_nc_u32_e32 v198, 0x420, v43
	; wave barrier
	v_and_b32_e32 v37, v40, v37
	s_delay_alu instid0(VALU_DEP_1) | instskip(SKIP_1) | instid1(VALU_DEP_2)
	v_mbcnt_lo_u32_b32 v197, v37, 0
	v_cmp_ne_u32_e64 s16, 0, v37
	v_cmp_eq_u32_e32 vcc_lo, 0, v197
	s_delay_alu instid0(VALU_DEP_2) | instskip(NEXT) | instid1(SALU_CYCLE_1)
	s_and_b32 s17, s16, vcc_lo
	s_and_saveexec_b32 s16, s17
	s_cbranch_execz .LBB505_160
; %bb.159:                              ;   in Loop: Header=BB505_98 Depth=2
	s_waitcnt lgkmcnt(0)
	v_bcnt_u32_b32 v37, v37, v196
	ds_store_b32 v198, v37
.LBB505_160:                            ;   in Loop: Header=BB505_98 Depth=2
	s_or_b32 exec_lo, exec_lo, s16
	v_xor_b32_e32 v195, 0x7fffffff, v39
	; wave barrier
	s_delay_alu instid0(VALU_DEP_1) | instskip(NEXT) | instid1(VALU_DEP_1)
	v_lshrrev_b32_e32 v37, s38, v195
	v_and_b32_e32 v37, s39, v37
	s_delay_alu instid0(VALU_DEP_1)
	v_and_b32_e32 v39, 1, v37
	v_lshlrev_b32_e32 v40, 30, v37
	v_lshlrev_b32_e32 v41, 29, v37
	;; [unrolled: 1-line block ×4, first 2 shown]
	v_add_co_u32 v39, s16, v39, -1
	s_delay_alu instid0(VALU_DEP_1)
	v_cndmask_b32_e64 v43, 0, 1, s16
	v_not_b32_e32 v202, v40
	v_cmp_gt_i32_e64 s16, 0, v40
	v_not_b32_e32 v40, v41
	v_lshlrev_b32_e32 v200, 26, v37
	v_cmp_ne_u32_e32 vcc_lo, 0, v43
	v_ashrrev_i32_e32 v202, 31, v202
	v_lshlrev_b32_e32 v201, 25, v37
	v_ashrrev_i32_e32 v40, 31, v40
	v_lshlrev_b32_e32 v43, 24, v37
	v_xor_b32_e32 v39, vcc_lo, v39
	v_cmp_gt_i32_e32 vcc_lo, 0, v41
	v_not_b32_e32 v41, v42
	v_xor_b32_e32 v202, s16, v202
	v_cmp_gt_i32_e64 s16, 0, v42
	v_and_b32_e32 v39, exec_lo, v39
	v_not_b32_e32 v42, v199
	v_ashrrev_i32_e32 v41, 31, v41
	v_xor_b32_e32 v40, vcc_lo, v40
	v_cmp_gt_i32_e32 vcc_lo, 0, v199
	v_and_b32_e32 v39, v39, v202
	v_not_b32_e32 v199, v200
	v_ashrrev_i32_e32 v42, 31, v42
	v_xor_b32_e32 v41, s16, v41
	v_cmp_gt_i32_e64 s16, 0, v200
	v_and_b32_e32 v39, v39, v40
	v_not_b32_e32 v40, v201
	v_ashrrev_i32_e32 v199, 31, v199
	v_xor_b32_e32 v42, vcc_lo, v42
	v_cmp_gt_i32_e32 vcc_lo, 0, v201
	v_and_b32_e32 v39, v39, v41
	v_not_b32_e32 v41, v43
	v_ashrrev_i32_e32 v40, 31, v40
	v_xor_b32_e32 v199, s16, v199
	v_mul_u32_u24_e32 v37, 9, v37
	v_and_b32_e32 v39, v39, v42
	v_cmp_gt_i32_e64 s16, 0, v43
	v_ashrrev_i32_e32 v41, 31, v41
	v_xor_b32_e32 v40, vcc_lo, v40
	v_add_lshl_u32 v42, v37, v128, 2
	v_and_b32_e32 v39, v39, v199
	s_delay_alu instid0(VALU_DEP_4) | instskip(SKIP_3) | instid1(VALU_DEP_2)
	v_xor_b32_e32 v37, s16, v41
	ds_load_b32 v200, v42 offset:1056
	v_and_b32_e32 v39, v39, v40
	v_add_nc_u32_e32 v202, 0x420, v42
	; wave barrier
	v_and_b32_e32 v37, v39, v37
	s_delay_alu instid0(VALU_DEP_1) | instskip(SKIP_1) | instid1(VALU_DEP_2)
	v_mbcnt_lo_u32_b32 v201, v37, 0
	v_cmp_ne_u32_e64 s16, 0, v37
	v_cmp_eq_u32_e32 vcc_lo, 0, v201
	s_delay_alu instid0(VALU_DEP_2) | instskip(NEXT) | instid1(SALU_CYCLE_1)
	s_and_b32 s17, s16, vcc_lo
	s_and_saveexec_b32 s16, s17
	s_cbranch_execz .LBB505_162
; %bb.161:                              ;   in Loop: Header=BB505_98 Depth=2
	s_waitcnt lgkmcnt(0)
	v_bcnt_u32_b32 v37, v37, v200
	ds_store_b32 v202, v37
.LBB505_162:                            ;   in Loop: Header=BB505_98 Depth=2
	s_or_b32 exec_lo, exec_lo, s16
	v_xor_b32_e32 v199, 0x7fffffff, v38
	; wave barrier
	s_delay_alu instid0(VALU_DEP_1) | instskip(NEXT) | instid1(VALU_DEP_1)
	v_lshrrev_b32_e32 v37, s38, v199
	v_and_b32_e32 v37, s39, v37
	s_delay_alu instid0(VALU_DEP_1)
	v_and_b32_e32 v38, 1, v37
	v_lshlrev_b32_e32 v39, 30, v37
	v_lshlrev_b32_e32 v40, 29, v37
	v_lshlrev_b32_e32 v41, 28, v37
	v_lshlrev_b32_e32 v43, 27, v37
	v_add_co_u32 v38, s16, v38, -1
	s_delay_alu instid0(VALU_DEP_1)
	v_cndmask_b32_e64 v42, 0, 1, s16
	v_not_b32_e32 v205, v39
	v_cmp_gt_i32_e64 s16, 0, v39
	v_not_b32_e32 v39, v40
	v_lshlrev_b32_e32 v203, 26, v37
	v_cmp_ne_u32_e32 vcc_lo, 0, v42
	v_ashrrev_i32_e32 v205, 31, v205
	v_lshlrev_b32_e32 v204, 25, v37
	v_ashrrev_i32_e32 v39, 31, v39
	v_lshlrev_b32_e32 v42, 24, v37
	v_xor_b32_e32 v38, vcc_lo, v38
	v_cmp_gt_i32_e32 vcc_lo, 0, v40
	v_not_b32_e32 v40, v41
	v_xor_b32_e32 v205, s16, v205
	v_cmp_gt_i32_e64 s16, 0, v41
	v_and_b32_e32 v38, exec_lo, v38
	v_not_b32_e32 v41, v43
	v_ashrrev_i32_e32 v40, 31, v40
	v_xor_b32_e32 v39, vcc_lo, v39
	v_cmp_gt_i32_e32 vcc_lo, 0, v43
	v_and_b32_e32 v38, v38, v205
	v_not_b32_e32 v43, v203
	v_ashrrev_i32_e32 v41, 31, v41
	v_xor_b32_e32 v40, s16, v40
	v_cmp_gt_i32_e64 s16, 0, v203
	v_and_b32_e32 v38, v38, v39
	v_not_b32_e32 v39, v204
	v_ashrrev_i32_e32 v43, 31, v43
	v_xor_b32_e32 v41, vcc_lo, v41
	v_cmp_gt_i32_e32 vcc_lo, 0, v204
	v_and_b32_e32 v38, v38, v40
	v_not_b32_e32 v40, v42
	v_ashrrev_i32_e32 v39, 31, v39
	v_xor_b32_e32 v43, s16, v43
	v_mul_u32_u24_e32 v37, 9, v37
	v_and_b32_e32 v38, v38, v41
	v_cmp_gt_i32_e64 s16, 0, v42
	v_ashrrev_i32_e32 v40, 31, v40
	v_xor_b32_e32 v39, vcc_lo, v39
	v_add_lshl_u32 v41, v37, v128, 2
	v_and_b32_e32 v38, v38, v43
	s_delay_alu instid0(VALU_DEP_4) | instskip(SKIP_3) | instid1(VALU_DEP_2)
	v_xor_b32_e32 v37, s16, v40
	ds_load_b32 v204, v41 offset:1056
	v_and_b32_e32 v38, v38, v39
	v_add_nc_u32_e32 v206, 0x420, v41
	; wave barrier
	v_and_b32_e32 v37, v38, v37
	s_delay_alu instid0(VALU_DEP_1) | instskip(SKIP_1) | instid1(VALU_DEP_2)
	v_mbcnt_lo_u32_b32 v205, v37, 0
	v_cmp_ne_u32_e64 s16, 0, v37
	v_cmp_eq_u32_e32 vcc_lo, 0, v205
	s_delay_alu instid0(VALU_DEP_2) | instskip(NEXT) | instid1(SALU_CYCLE_1)
	s_and_b32 s17, s16, vcc_lo
	s_and_saveexec_b32 s16, s17
	s_cbranch_execz .LBB505_164
; %bb.163:                              ;   in Loop: Header=BB505_98 Depth=2
	s_waitcnt lgkmcnt(0)
	v_bcnt_u32_b32 v37, v37, v204
	ds_store_b32 v206, v37
.LBB505_164:                            ;   in Loop: Header=BB505_98 Depth=2
	s_or_b32 exec_lo, exec_lo, s16
	v_xor_b32_e32 v203, 0x7fffffff, v36
	; wave barrier
	s_delay_alu instid0(VALU_DEP_1) | instskip(NEXT) | instid1(VALU_DEP_1)
	v_lshrrev_b32_e32 v36, s38, v203
	v_and_b32_e32 v36, s39, v36
	s_delay_alu instid0(VALU_DEP_1)
	v_and_b32_e32 v37, 1, v36
	v_lshlrev_b32_e32 v38, 30, v36
	v_lshlrev_b32_e32 v39, 29, v36
	;; [unrolled: 1-line block ×4, first 2 shown]
	v_add_co_u32 v37, s16, v37, -1
	s_delay_alu instid0(VALU_DEP_1)
	v_cndmask_b32_e64 v41, 0, 1, s16
	v_not_b32_e32 v208, v38
	v_cmp_gt_i32_e64 s16, 0, v38
	v_not_b32_e32 v38, v39
	v_lshlrev_b32_e32 v43, 26, v36
	v_cmp_ne_u32_e32 vcc_lo, 0, v41
	v_ashrrev_i32_e32 v208, 31, v208
	v_lshlrev_b32_e32 v207, 25, v36
	v_ashrrev_i32_e32 v38, 31, v38
	v_lshlrev_b32_e32 v41, 24, v36
	v_xor_b32_e32 v37, vcc_lo, v37
	v_cmp_gt_i32_e32 vcc_lo, 0, v39
	v_not_b32_e32 v39, v40
	v_xor_b32_e32 v208, s16, v208
	v_cmp_gt_i32_e64 s16, 0, v40
	v_and_b32_e32 v37, exec_lo, v37
	v_not_b32_e32 v40, v42
	v_ashrrev_i32_e32 v39, 31, v39
	v_xor_b32_e32 v38, vcc_lo, v38
	v_cmp_gt_i32_e32 vcc_lo, 0, v42
	v_and_b32_e32 v37, v37, v208
	v_not_b32_e32 v42, v43
	v_ashrrev_i32_e32 v40, 31, v40
	v_xor_b32_e32 v39, s16, v39
	v_cmp_gt_i32_e64 s16, 0, v43
	v_and_b32_e32 v37, v37, v38
	v_not_b32_e32 v38, v207
	v_ashrrev_i32_e32 v42, 31, v42
	v_xor_b32_e32 v40, vcc_lo, v40
	v_cmp_gt_i32_e32 vcc_lo, 0, v207
	v_and_b32_e32 v37, v37, v39
	v_not_b32_e32 v39, v41
	v_ashrrev_i32_e32 v38, 31, v38
	v_xor_b32_e32 v42, s16, v42
	v_mul_u32_u24_e32 v36, 9, v36
	v_and_b32_e32 v37, v37, v40
	v_cmp_gt_i32_e64 s16, 0, v41
	v_ashrrev_i32_e32 v39, 31, v39
	v_xor_b32_e32 v38, vcc_lo, v38
	v_add_lshl_u32 v40, v36, v128, 2
	v_and_b32_e32 v37, v37, v42
	s_delay_alu instid0(VALU_DEP_4) | instskip(SKIP_3) | instid1(VALU_DEP_2)
	v_xor_b32_e32 v36, s16, v39
	ds_load_b32 v207, v40 offset:1056
	v_and_b32_e32 v37, v37, v38
	v_add_nc_u32_e32 v209, 0x420, v40
	; wave barrier
	v_and_b32_e32 v36, v37, v36
	s_delay_alu instid0(VALU_DEP_1) | instskip(SKIP_1) | instid1(VALU_DEP_2)
	v_mbcnt_lo_u32_b32 v208, v36, 0
	v_cmp_ne_u32_e64 s16, 0, v36
	v_cmp_eq_u32_e32 vcc_lo, 0, v208
	s_delay_alu instid0(VALU_DEP_2) | instskip(NEXT) | instid1(SALU_CYCLE_1)
	s_and_b32 s17, s16, vcc_lo
	s_and_saveexec_b32 s16, s17
	s_cbranch_execz .LBB505_166
; %bb.165:                              ;   in Loop: Header=BB505_98 Depth=2
	s_waitcnt lgkmcnt(0)
	v_bcnt_u32_b32 v36, v36, v207
	ds_store_b32 v209, v36
.LBB505_166:                            ;   in Loop: Header=BB505_98 Depth=2
	s_or_b32 exec_lo, exec_lo, s16
	; wave barrier
	s_waitcnt lgkmcnt(0)
	s_barrier
	buffer_gl0_inv
	ds_load_b32 v210, v70 offset:1056
	ds_load_2addr_b32 v[42:43], v71 offset0:1 offset1:2
	ds_load_2addr_b32 v[40:41], v71 offset0:3 offset1:4
	;; [unrolled: 1-line block ×4, first 2 shown]
	s_waitcnt lgkmcnt(3)
	v_add3_u32 v211, v42, v210, v43
	s_waitcnt lgkmcnt(2)
	s_delay_alu instid0(VALU_DEP_1) | instskip(SKIP_1) | instid1(VALU_DEP_1)
	v_add3_u32 v211, v211, v40, v41
	s_waitcnt lgkmcnt(1)
	v_add3_u32 v211, v211, v36, v37
	s_waitcnt lgkmcnt(0)
	s_delay_alu instid0(VALU_DEP_1) | instskip(NEXT) | instid1(VALU_DEP_1)
	v_add3_u32 v39, v211, v38, v39
	v_mov_b32_dpp v211, v39 row_shr:1 row_mask:0xf bank_mask:0xf
	s_delay_alu instid0(VALU_DEP_1) | instskip(NEXT) | instid1(VALU_DEP_1)
	v_cndmask_b32_e64 v211, v211, 0, s0
	v_add_nc_u32_e32 v39, v211, v39
	s_delay_alu instid0(VALU_DEP_1) | instskip(NEXT) | instid1(VALU_DEP_1)
	v_mov_b32_dpp v211, v39 row_shr:2 row_mask:0xf bank_mask:0xf
	v_cndmask_b32_e64 v211, 0, v211, s1
	s_delay_alu instid0(VALU_DEP_1) | instskip(NEXT) | instid1(VALU_DEP_1)
	v_add_nc_u32_e32 v39, v39, v211
	v_mov_b32_dpp v211, v39 row_shr:4 row_mask:0xf bank_mask:0xf
	s_delay_alu instid0(VALU_DEP_1) | instskip(NEXT) | instid1(VALU_DEP_1)
	v_cndmask_b32_e64 v211, 0, v211, s8
	v_add_nc_u32_e32 v39, v39, v211
	s_delay_alu instid0(VALU_DEP_1) | instskip(NEXT) | instid1(VALU_DEP_1)
	v_mov_b32_dpp v211, v39 row_shr:8 row_mask:0xf bank_mask:0xf
	v_cndmask_b32_e64 v211, 0, v211, s9
	s_delay_alu instid0(VALU_DEP_1) | instskip(SKIP_3) | instid1(VALU_DEP_1)
	v_add_nc_u32_e32 v39, v39, v211
	ds_swizzle_b32 v211, v39 offset:swizzle(BROADCAST,32,15)
	s_waitcnt lgkmcnt(0)
	v_cndmask_b32_e64 v211, v211, 0, s10
	v_add_nc_u32_e32 v39, v39, v211
	s_and_saveexec_b32 s16, s3
	s_cbranch_execz .LBB505_168
; %bb.167:                              ;   in Loop: Header=BB505_98 Depth=2
	ds_store_b32 v62, v39 offset:1024
.LBB505_168:                            ;   in Loop: Header=BB505_98 Depth=2
	s_or_b32 exec_lo, exec_lo, s16
	s_waitcnt lgkmcnt(0)
	s_barrier
	buffer_gl0_inv
	s_and_saveexec_b32 s16, s4
	s_cbranch_execz .LBB505_170
; %bb.169:                              ;   in Loop: Header=BB505_98 Depth=2
	v_add_nc_u32_e32 v211, v70, v72
	ds_load_b32 v212, v211 offset:1024
	s_waitcnt lgkmcnt(0)
	v_mov_b32_dpp v213, v212 row_shr:1 row_mask:0xf bank_mask:0xf
	s_delay_alu instid0(VALU_DEP_1) | instskip(NEXT) | instid1(VALU_DEP_1)
	v_cndmask_b32_e64 v213, v213, 0, s12
	v_add_nc_u32_e32 v212, v213, v212
	s_delay_alu instid0(VALU_DEP_1) | instskip(NEXT) | instid1(VALU_DEP_1)
	v_mov_b32_dpp v213, v212 row_shr:2 row_mask:0xf bank_mask:0xf
	v_cndmask_b32_e64 v213, 0, v213, s13
	s_delay_alu instid0(VALU_DEP_1) | instskip(NEXT) | instid1(VALU_DEP_1)
	v_add_nc_u32_e32 v212, v212, v213
	v_mov_b32_dpp v213, v212 row_shr:4 row_mask:0xf bank_mask:0xf
	s_delay_alu instid0(VALU_DEP_1) | instskip(NEXT) | instid1(VALU_DEP_1)
	v_cndmask_b32_e64 v213, 0, v213, s14
	v_add_nc_u32_e32 v212, v212, v213
	ds_store_b32 v211, v212 offset:1024
.LBB505_170:                            ;   in Loop: Header=BB505_98 Depth=2
	s_or_b32 exec_lo, exec_lo, s16
	v_mov_b32_e32 v211, 0
	s_waitcnt lgkmcnt(0)
	s_barrier
	buffer_gl0_inv
	s_and_saveexec_b32 s16, s5
	s_cbranch_execz .LBB505_172
; %bb.171:                              ;   in Loop: Header=BB505_98 Depth=2
	ds_load_b32 v211, v62 offset:1020
.LBB505_172:                            ;   in Loop: Header=BB505_98 Depth=2
	s_or_b32 exec_lo, exec_lo, s16
	s_waitcnt lgkmcnt(0)
	v_add_nc_u32_e32 v39, v211, v39
	ds_bpermute_b32 v39, v107, v39
	s_waitcnt lgkmcnt(0)
	v_cndmask_b32_e64 v39, v39, v211, s11
	s_delay_alu instid0(VALU_DEP_1) | instskip(NEXT) | instid1(VALU_DEP_1)
	v_cndmask_b32_e64 v39, v39, 0, s6
	v_add_nc_u32_e32 v210, v39, v210
	s_delay_alu instid0(VALU_DEP_1) | instskip(NEXT) | instid1(VALU_DEP_1)
	v_add_nc_u32_e32 v42, v210, v42
	v_add_nc_u32_e32 v43, v42, v43
	s_delay_alu instid0(VALU_DEP_1) | instskip(NEXT) | instid1(VALU_DEP_1)
	v_add_nc_u32_e32 v40, v43, v40
	;; [unrolled: 3-line block ×3, first 2 shown]
	v_add_nc_u32_e32 v37, v36, v37
	s_delay_alu instid0(VALU_DEP_1)
	v_add_nc_u32_e32 v38, v37, v38
	ds_store_b32 v70, v39 offset:1056
	ds_store_2addr_b32 v71, v210, v42 offset0:1 offset1:2
	ds_store_2addr_b32 v71, v43, v40 offset0:3 offset1:4
	;; [unrolled: 1-line block ×4, first 2 shown]
	v_mov_b32_e32 v38, 0x1000
	s_waitcnt lgkmcnt(0)
	s_barrier
	buffer_gl0_inv
	ds_load_b32 v39, v154
	ds_load_b32 v40, v158
	;; [unrolled: 1-line block ×16, first 2 shown]
	ds_load_b32 v158, v70 offset:1056
	s_and_saveexec_b32 s16, s7
	s_cbranch_execz .LBB505_174
; %bb.173:                              ;   in Loop: Header=BB505_98 Depth=2
	ds_load_b32 v38, v73 offset:1056
.LBB505_174:                            ;   in Loop: Header=BB505_98 Depth=2
	s_or_b32 exec_lo, exec_lo, s16
	s_waitcnt lgkmcnt(0)
	s_barrier
	buffer_gl0_inv
	s_and_saveexec_b32 s16, s2
	s_cbranch_execz .LBB505_176
; %bb.175:                              ;   in Loop: Header=BB505_98 Depth=2
	ds_load_b32 v162, v44
	s_waitcnt lgkmcnt(0)
	v_sub_nc_u32_e32 v158, v162, v158
	ds_store_b32 v44, v158
.LBB505_176:                            ;   in Loop: Header=BB505_98 Depth=2
	s_or_b32 exec_lo, exec_lo, s16
	v_add_nc_u32_e32 v170, v150, v149
	v_add3_u32 v166, v153, v152, v39
	v_add3_u32 v162, v157, v156, v40
	;; [unrolled: 1-line block ×5, first 2 shown]
	v_lshlrev_b32_e32 v160, 2, v170
	v_add3_u32 v43, v201, v200, v36
	v_lshlrev_b32_e32 v36, 2, v166
	v_add3_u32 v154, v174, v173, v175
	v_add3_u32 v153, v177, v176, v178
	ds_store_b32 v160, v2 offset:1024
	v_lshlrev_b32_e32 v2, 2, v162
	ds_store_b32 v36, v148 offset:1024
	v_lshlrev_b32_e32 v36, 2, v156
	v_add3_u32 v152, v181, v180, v182
	v_add3_u32 v42, v205, v204, v37
	v_lshlrev_b32_e32 v37, 2, v158
	v_add3_u32 v150, v185, v184, v186
	v_lshlrev_b32_e32 v160, 2, v157
	v_add3_u32 v149, v189, v188, v190
	v_add3_u32 v40, v193, v192, v194
	ds_store_b32 v2, v151 offset:1024
	ds_store_b32 v37, v155 offset:1024
	ds_store_b32 v160, v159 offset:1024
	v_lshlrev_b32_e32 v2, 2, v154
	ds_store_b32 v36, v163 offset:1024
	v_lshlrev_b32_e32 v36, 2, v153
	v_lshlrev_b32_e32 v37, 2, v152
	;; [unrolled: 1-line block ×3, first 2 shown]
	v_add3_u32 v39, v197, v196, v198
	v_add3_u32 v41, v208, v207, v41
	ds_store_b32 v2, v167 offset:1024
	v_lshlrev_b32_e32 v2, 2, v149
	ds_store_b32 v36, v172 offset:1024
	ds_store_b32 v37, v171 offset:1024
	;; [unrolled: 1-line block ×3, first 2 shown]
	v_lshlrev_b32_e32 v36, 2, v40
	v_cmp_lt_u32_e32 vcc_lo, v1, v147
	v_lshlrev_b32_e32 v37, 2, v43
	ds_store_b32 v2, v183 offset:1024
	v_lshlrev_b32_e32 v2, 2, v39
	ds_store_b32 v36, v187 offset:1024
	v_lshlrev_b32_e32 v36, 2, v41
	v_lshlrev_b32_e32 v148, 2, v42
	ds_store_b32 v2, v191 offset:1024
	ds_store_b32 v37, v195 offset:1024
	ds_store_b32 v148, v199 offset:1024
	ds_store_b32 v36, v203 offset:1024
	s_waitcnt lgkmcnt(0)
	s_barrier
	buffer_gl0_inv
	s_and_saveexec_b32 s17, vcc_lo
	s_cbranch_execz .LBB505_192
; %bb.177:                              ;   in Loop: Header=BB505_98 Depth=2
	v_add_nc_u32_e32 v2, v70, v72
	ds_load_b32 v148, v2 offset:1024
	s_waitcnt lgkmcnt(0)
	v_lshrrev_b32_e32 v2, s38, v148
	s_delay_alu instid0(VALU_DEP_1) | instskip(NEXT) | instid1(VALU_DEP_1)
	v_and_b32_e32 v2, s39, v2
	v_lshlrev_b32_e32 v2, 2, v2
	ds_load_b32 v2, v2
	s_waitcnt lgkmcnt(0)
	v_add_nc_u32_e32 v2, v2, v1
	s_delay_alu instid0(VALU_DEP_1) | instskip(SKIP_1) | instid1(VALU_DEP_2)
	v_lshlrev_b64 v[36:37], 2, v[2:3]
	v_xor_b32_e32 v2, 0x7fffffff, v148
	v_add_co_u32 v36, s16, s46, v36
	s_delay_alu instid0(VALU_DEP_1) | instskip(SKIP_3) | instid1(VALU_DEP_1)
	v_add_co_ci_u32_e64 v37, s16, s47, v37, s16
	global_store_b32 v[36:37], v2, off
	s_or_b32 exec_lo, exec_lo, s17
	v_cmp_lt_u32_e64 s16, v45, v147
	s_and_saveexec_b32 s18, s16
	s_cbranch_execnz .LBB505_193
.LBB505_178:                            ;   in Loop: Header=BB505_98 Depth=2
	s_or_b32 exec_lo, exec_lo, s18
	v_cmp_lt_u32_e64 s17, v46, v147
	s_delay_alu instid0(VALU_DEP_1)
	s_and_saveexec_b32 s19, s17
	s_cbranch_execz .LBB505_194
.LBB505_179:                            ;   in Loop: Header=BB505_98 Depth=2
	ds_load_b32 v148, v78 offset:2048
	s_waitcnt lgkmcnt(0)
	v_lshrrev_b32_e32 v2, s38, v148
	s_delay_alu instid0(VALU_DEP_1) | instskip(NEXT) | instid1(VALU_DEP_1)
	v_and_b32_e32 v2, s39, v2
	v_lshlrev_b32_e32 v2, 2, v2
	ds_load_b32 v2, v2
	s_waitcnt lgkmcnt(0)
	v_add_nc_u32_e32 v2, v2, v46
	s_delay_alu instid0(VALU_DEP_1) | instskip(SKIP_1) | instid1(VALU_DEP_2)
	v_lshlrev_b64 v[36:37], 2, v[2:3]
	v_xor_b32_e32 v2, 0x7fffffff, v148
	v_add_co_u32 v36, s18, s46, v36
	s_delay_alu instid0(VALU_DEP_1) | instskip(SKIP_3) | instid1(VALU_DEP_1)
	v_add_co_ci_u32_e64 v37, s18, s47, v37, s18
	global_store_b32 v[36:37], v2, off
	s_or_b32 exec_lo, exec_lo, s19
	v_cmp_lt_u32_e64 s18, v47, v147
	s_and_saveexec_b32 s20, s18
	s_cbranch_execnz .LBB505_195
.LBB505_180:                            ;   in Loop: Header=BB505_98 Depth=2
	s_or_b32 exec_lo, exec_lo, s20
	v_cmp_lt_u32_e64 s19, v51, v147
	s_delay_alu instid0(VALU_DEP_1)
	s_and_saveexec_b32 s21, s19
	s_cbranch_execz .LBB505_196
.LBB505_181:                            ;   in Loop: Header=BB505_98 Depth=2
	ds_load_b32 v148, v78 offset:4096
	s_waitcnt lgkmcnt(0)
	v_lshrrev_b32_e32 v2, s38, v148
	s_delay_alu instid0(VALU_DEP_1) | instskip(NEXT) | instid1(VALU_DEP_1)
	v_and_b32_e32 v2, s39, v2
	v_lshlrev_b32_e32 v2, 2, v2
	ds_load_b32 v2, v2
	s_waitcnt lgkmcnt(0)
	v_add_nc_u32_e32 v2, v2, v51
	s_delay_alu instid0(VALU_DEP_1) | instskip(SKIP_1) | instid1(VALU_DEP_2)
	v_lshlrev_b64 v[36:37], 2, v[2:3]
	v_xor_b32_e32 v2, 0x7fffffff, v148
	v_add_co_u32 v36, s20, s46, v36
	s_delay_alu instid0(VALU_DEP_1) | instskip(SKIP_3) | instid1(VALU_DEP_1)
	v_add_co_ci_u32_e64 v37, s20, s47, v37, s20
	global_store_b32 v[36:37], v2, off
	s_or_b32 exec_lo, exec_lo, s21
	v_cmp_lt_u32_e64 s20, v52, v147
	s_and_saveexec_b32 s22, s20
	s_cbranch_execnz .LBB505_197
.LBB505_182:                            ;   in Loop: Header=BB505_98 Depth=2
	s_or_b32 exec_lo, exec_lo, s22
	v_cmp_lt_u32_e64 s21, v53, v147
	s_delay_alu instid0(VALU_DEP_1)
	s_and_saveexec_b32 s23, s21
	s_cbranch_execz .LBB505_198
.LBB505_183:                            ;   in Loop: Header=BB505_98 Depth=2
	ds_load_b32 v148, v78 offset:6144
	s_waitcnt lgkmcnt(0)
	v_lshrrev_b32_e32 v2, s38, v148
	s_delay_alu instid0(VALU_DEP_1) | instskip(NEXT) | instid1(VALU_DEP_1)
	v_and_b32_e32 v2, s39, v2
	v_lshlrev_b32_e32 v2, 2, v2
	ds_load_b32 v2, v2
	s_waitcnt lgkmcnt(0)
	v_add_nc_u32_e32 v2, v2, v53
	s_delay_alu instid0(VALU_DEP_1) | instskip(SKIP_1) | instid1(VALU_DEP_2)
	v_lshlrev_b64 v[36:37], 2, v[2:3]
	v_xor_b32_e32 v2, 0x7fffffff, v148
	v_add_co_u32 v36, s22, s46, v36
	s_delay_alu instid0(VALU_DEP_1) | instskip(SKIP_3) | instid1(VALU_DEP_1)
	v_add_co_ci_u32_e64 v37, s22, s47, v37, s22
	global_store_b32 v[36:37], v2, off
	s_or_b32 exec_lo, exec_lo, s23
	v_cmp_lt_u32_e64 s22, v54, v147
	s_and_saveexec_b32 s24, s22
	s_cbranch_execnz .LBB505_199
.LBB505_184:                            ;   in Loop: Header=BB505_98 Depth=2
	s_or_b32 exec_lo, exec_lo, s24
	v_cmp_lt_u32_e64 s23, v55, v147
	s_delay_alu instid0(VALU_DEP_1)
	s_and_saveexec_b32 s25, s23
	s_cbranch_execz .LBB505_200
.LBB505_185:                            ;   in Loop: Header=BB505_98 Depth=2
	ds_load_b32 v148, v78 offset:8192
	s_waitcnt lgkmcnt(0)
	v_lshrrev_b32_e32 v2, s38, v148
	s_delay_alu instid0(VALU_DEP_1) | instskip(NEXT) | instid1(VALU_DEP_1)
	v_and_b32_e32 v2, s39, v2
	v_lshlrev_b32_e32 v2, 2, v2
	ds_load_b32 v2, v2
	s_waitcnt lgkmcnt(0)
	v_add_nc_u32_e32 v2, v2, v55
	s_delay_alu instid0(VALU_DEP_1) | instskip(SKIP_1) | instid1(VALU_DEP_2)
	v_lshlrev_b64 v[36:37], 2, v[2:3]
	v_xor_b32_e32 v2, 0x7fffffff, v148
	v_add_co_u32 v36, s24, s46, v36
	s_delay_alu instid0(VALU_DEP_1) | instskip(SKIP_3) | instid1(VALU_DEP_1)
	v_add_co_ci_u32_e64 v37, s24, s47, v37, s24
	global_store_b32 v[36:37], v2, off
	s_or_b32 exec_lo, exec_lo, s25
	v_cmp_lt_u32_e64 s24, v56, v147
	s_and_saveexec_b32 s27, s24
	s_cbranch_execnz .LBB505_201
.LBB505_186:                            ;   in Loop: Header=BB505_98 Depth=2
	s_or_b32 exec_lo, exec_lo, s27
	v_cmp_lt_u32_e64 s25, v57, v147
	s_delay_alu instid0(VALU_DEP_1)
	s_and_saveexec_b32 s28, s25
	s_cbranch_execz .LBB505_202
.LBB505_187:                            ;   in Loop: Header=BB505_98 Depth=2
	ds_load_b32 v148, v78 offset:10240
	s_waitcnt lgkmcnt(0)
	v_lshrrev_b32_e32 v2, s38, v148
	s_delay_alu instid0(VALU_DEP_1) | instskip(NEXT) | instid1(VALU_DEP_1)
	v_and_b32_e32 v2, s39, v2
	v_lshlrev_b32_e32 v2, 2, v2
	ds_load_b32 v2, v2
	s_waitcnt lgkmcnt(0)
	v_add_nc_u32_e32 v2, v2, v57
	s_delay_alu instid0(VALU_DEP_1) | instskip(SKIP_1) | instid1(VALU_DEP_2)
	v_lshlrev_b64 v[36:37], 2, v[2:3]
	v_xor_b32_e32 v2, 0x7fffffff, v148
	v_add_co_u32 v36, s27, s46, v36
	s_delay_alu instid0(VALU_DEP_1) | instskip(SKIP_3) | instid1(VALU_DEP_1)
	v_add_co_ci_u32_e64 v37, s27, s47, v37, s27
	global_store_b32 v[36:37], v2, off
	s_or_b32 exec_lo, exec_lo, s28
	v_cmp_lt_u32_e64 s27, v58, v147
	s_and_saveexec_b32 s29, s27
	s_cbranch_execnz .LBB505_203
.LBB505_188:                            ;   in Loop: Header=BB505_98 Depth=2
	s_or_b32 exec_lo, exec_lo, s29
	v_cmp_lt_u32_e64 s28, v59, v147
	s_delay_alu instid0(VALU_DEP_1)
	s_and_saveexec_b32 s30, s28
	s_cbranch_execz .LBB505_204
.LBB505_189:                            ;   in Loop: Header=BB505_98 Depth=2
	ds_load_b32 v148, v78 offset:12288
	s_waitcnt lgkmcnt(0)
	v_lshrrev_b32_e32 v2, s38, v148
	s_delay_alu instid0(VALU_DEP_1) | instskip(NEXT) | instid1(VALU_DEP_1)
	v_and_b32_e32 v2, s39, v2
	v_lshlrev_b32_e32 v2, 2, v2
	ds_load_b32 v2, v2
	s_waitcnt lgkmcnt(0)
	v_add_nc_u32_e32 v2, v2, v59
	s_delay_alu instid0(VALU_DEP_1) | instskip(SKIP_1) | instid1(VALU_DEP_2)
	v_lshlrev_b64 v[36:37], 2, v[2:3]
	v_xor_b32_e32 v2, 0x7fffffff, v148
	v_add_co_u32 v36, s29, s46, v36
	s_delay_alu instid0(VALU_DEP_1) | instskip(SKIP_3) | instid1(VALU_DEP_1)
	v_add_co_ci_u32_e64 v37, s29, s47, v37, s29
	global_store_b32 v[36:37], v2, off
	s_or_b32 exec_lo, exec_lo, s30
	v_cmp_lt_u32_e64 s29, v60, v147
	s_and_saveexec_b32 s31, s29
	s_cbranch_execnz .LBB505_205
.LBB505_190:                            ;   in Loop: Header=BB505_98 Depth=2
	s_or_b32 exec_lo, exec_lo, s31
	v_cmp_lt_u32_e64 s30, v61, v147
	s_delay_alu instid0(VALU_DEP_1)
	s_and_saveexec_b32 s33, s30
	s_cbranch_execz .LBB505_206
.LBB505_191:                            ;   in Loop: Header=BB505_98 Depth=2
	ds_load_b32 v148, v78 offset:14336
	s_waitcnt lgkmcnt(0)
	v_lshrrev_b32_e32 v2, s38, v148
	s_delay_alu instid0(VALU_DEP_1) | instskip(NEXT) | instid1(VALU_DEP_1)
	v_and_b32_e32 v2, s39, v2
	v_lshlrev_b32_e32 v2, 2, v2
	ds_load_b32 v2, v2
	s_waitcnt lgkmcnt(0)
	v_add_nc_u32_e32 v2, v2, v61
	s_delay_alu instid0(VALU_DEP_1) | instskip(SKIP_1) | instid1(VALU_DEP_2)
	v_lshlrev_b64 v[36:37], 2, v[2:3]
	v_xor_b32_e32 v2, 0x7fffffff, v148
	v_add_co_u32 v36, s31, s46, v36
	s_delay_alu instid0(VALU_DEP_1) | instskip(SKIP_3) | instid1(VALU_DEP_1)
	v_add_co_ci_u32_e64 v37, s31, s47, v37, s31
	global_store_b32 v[36:37], v2, off
	s_or_b32 exec_lo, exec_lo, s33
	v_cmp_lt_u32_e64 s31, v63, v147
	s_and_saveexec_b32 s42, s31
	s_cbranch_execnz .LBB505_207
	s_branch .LBB505_208
.LBB505_192:                            ;   in Loop: Header=BB505_98 Depth=2
	s_or_b32 exec_lo, exec_lo, s17
	v_cmp_lt_u32_e64 s16, v45, v147
	s_delay_alu instid0(VALU_DEP_1)
	s_and_saveexec_b32 s18, s16
	s_cbranch_execz .LBB505_178
.LBB505_193:                            ;   in Loop: Header=BB505_98 Depth=2
	ds_load_b32 v148, v78 offset:1024
	s_waitcnt lgkmcnt(0)
	v_lshrrev_b32_e32 v2, s38, v148
	s_delay_alu instid0(VALU_DEP_1) | instskip(NEXT) | instid1(VALU_DEP_1)
	v_and_b32_e32 v2, s39, v2
	v_lshlrev_b32_e32 v2, 2, v2
	ds_load_b32 v2, v2
	s_waitcnt lgkmcnt(0)
	v_add_nc_u32_e32 v2, v2, v45
	s_delay_alu instid0(VALU_DEP_1) | instskip(SKIP_1) | instid1(VALU_DEP_2)
	v_lshlrev_b64 v[36:37], 2, v[2:3]
	v_xor_b32_e32 v2, 0x7fffffff, v148
	v_add_co_u32 v36, s17, s46, v36
	s_delay_alu instid0(VALU_DEP_1) | instskip(SKIP_3) | instid1(VALU_DEP_1)
	v_add_co_ci_u32_e64 v37, s17, s47, v37, s17
	global_store_b32 v[36:37], v2, off
	s_or_b32 exec_lo, exec_lo, s18
	v_cmp_lt_u32_e64 s17, v46, v147
	s_and_saveexec_b32 s19, s17
	s_cbranch_execnz .LBB505_179
.LBB505_194:                            ;   in Loop: Header=BB505_98 Depth=2
	s_or_b32 exec_lo, exec_lo, s19
	v_cmp_lt_u32_e64 s18, v47, v147
	s_delay_alu instid0(VALU_DEP_1)
	s_and_saveexec_b32 s20, s18
	s_cbranch_execz .LBB505_180
.LBB505_195:                            ;   in Loop: Header=BB505_98 Depth=2
	ds_load_b32 v148, v78 offset:3072
	s_waitcnt lgkmcnt(0)
	v_lshrrev_b32_e32 v2, s38, v148
	s_delay_alu instid0(VALU_DEP_1) | instskip(NEXT) | instid1(VALU_DEP_1)
	v_and_b32_e32 v2, s39, v2
	v_lshlrev_b32_e32 v2, 2, v2
	ds_load_b32 v2, v2
	s_waitcnt lgkmcnt(0)
	v_add_nc_u32_e32 v2, v2, v47
	s_delay_alu instid0(VALU_DEP_1) | instskip(SKIP_1) | instid1(VALU_DEP_2)
	v_lshlrev_b64 v[36:37], 2, v[2:3]
	v_xor_b32_e32 v2, 0x7fffffff, v148
	v_add_co_u32 v36, s19, s46, v36
	s_delay_alu instid0(VALU_DEP_1) | instskip(SKIP_3) | instid1(VALU_DEP_1)
	v_add_co_ci_u32_e64 v37, s19, s47, v37, s19
	global_store_b32 v[36:37], v2, off
	s_or_b32 exec_lo, exec_lo, s20
	v_cmp_lt_u32_e64 s19, v51, v147
	s_and_saveexec_b32 s21, s19
	s_cbranch_execnz .LBB505_181
.LBB505_196:                            ;   in Loop: Header=BB505_98 Depth=2
	s_or_b32 exec_lo, exec_lo, s21
	v_cmp_lt_u32_e64 s20, v52, v147
	s_delay_alu instid0(VALU_DEP_1)
	s_and_saveexec_b32 s22, s20
	s_cbranch_execz .LBB505_182
.LBB505_197:                            ;   in Loop: Header=BB505_98 Depth=2
	ds_load_b32 v148, v78 offset:5120
	s_waitcnt lgkmcnt(0)
	v_lshrrev_b32_e32 v2, s38, v148
	s_delay_alu instid0(VALU_DEP_1) | instskip(NEXT) | instid1(VALU_DEP_1)
	v_and_b32_e32 v2, s39, v2
	v_lshlrev_b32_e32 v2, 2, v2
	ds_load_b32 v2, v2
	s_waitcnt lgkmcnt(0)
	v_add_nc_u32_e32 v2, v2, v52
	s_delay_alu instid0(VALU_DEP_1) | instskip(SKIP_1) | instid1(VALU_DEP_2)
	v_lshlrev_b64 v[36:37], 2, v[2:3]
	v_xor_b32_e32 v2, 0x7fffffff, v148
	v_add_co_u32 v36, s21, s46, v36
	s_delay_alu instid0(VALU_DEP_1) | instskip(SKIP_3) | instid1(VALU_DEP_1)
	v_add_co_ci_u32_e64 v37, s21, s47, v37, s21
	global_store_b32 v[36:37], v2, off
	s_or_b32 exec_lo, exec_lo, s22
	v_cmp_lt_u32_e64 s21, v53, v147
	s_and_saveexec_b32 s23, s21
	s_cbranch_execnz .LBB505_183
.LBB505_198:                            ;   in Loop: Header=BB505_98 Depth=2
	s_or_b32 exec_lo, exec_lo, s23
	v_cmp_lt_u32_e64 s22, v54, v147
	s_delay_alu instid0(VALU_DEP_1)
	s_and_saveexec_b32 s24, s22
	s_cbranch_execz .LBB505_184
.LBB505_199:                            ;   in Loop: Header=BB505_98 Depth=2
	ds_load_b32 v148, v78 offset:7168
	s_waitcnt lgkmcnt(0)
	v_lshrrev_b32_e32 v2, s38, v148
	s_delay_alu instid0(VALU_DEP_1) | instskip(NEXT) | instid1(VALU_DEP_1)
	v_and_b32_e32 v2, s39, v2
	v_lshlrev_b32_e32 v2, 2, v2
	ds_load_b32 v2, v2
	s_waitcnt lgkmcnt(0)
	v_add_nc_u32_e32 v2, v2, v54
	s_delay_alu instid0(VALU_DEP_1) | instskip(SKIP_1) | instid1(VALU_DEP_2)
	v_lshlrev_b64 v[36:37], 2, v[2:3]
	v_xor_b32_e32 v2, 0x7fffffff, v148
	v_add_co_u32 v36, s23, s46, v36
	s_delay_alu instid0(VALU_DEP_1) | instskip(SKIP_3) | instid1(VALU_DEP_1)
	v_add_co_ci_u32_e64 v37, s23, s47, v37, s23
	global_store_b32 v[36:37], v2, off
	s_or_b32 exec_lo, exec_lo, s24
	v_cmp_lt_u32_e64 s23, v55, v147
	s_and_saveexec_b32 s25, s23
	s_cbranch_execnz .LBB505_185
.LBB505_200:                            ;   in Loop: Header=BB505_98 Depth=2
	s_or_b32 exec_lo, exec_lo, s25
	v_cmp_lt_u32_e64 s24, v56, v147
	s_delay_alu instid0(VALU_DEP_1)
	s_and_saveexec_b32 s27, s24
	s_cbranch_execz .LBB505_186
.LBB505_201:                            ;   in Loop: Header=BB505_98 Depth=2
	ds_load_b32 v148, v78 offset:9216
	s_waitcnt lgkmcnt(0)
	v_lshrrev_b32_e32 v2, s38, v148
	s_delay_alu instid0(VALU_DEP_1) | instskip(NEXT) | instid1(VALU_DEP_1)
	v_and_b32_e32 v2, s39, v2
	v_lshlrev_b32_e32 v2, 2, v2
	ds_load_b32 v2, v2
	s_waitcnt lgkmcnt(0)
	v_add_nc_u32_e32 v2, v2, v56
	s_delay_alu instid0(VALU_DEP_1) | instskip(SKIP_1) | instid1(VALU_DEP_2)
	v_lshlrev_b64 v[36:37], 2, v[2:3]
	v_xor_b32_e32 v2, 0x7fffffff, v148
	v_add_co_u32 v36, s25, s46, v36
	s_delay_alu instid0(VALU_DEP_1) | instskip(SKIP_3) | instid1(VALU_DEP_1)
	v_add_co_ci_u32_e64 v37, s25, s47, v37, s25
	global_store_b32 v[36:37], v2, off
	s_or_b32 exec_lo, exec_lo, s27
	v_cmp_lt_u32_e64 s25, v57, v147
	s_and_saveexec_b32 s28, s25
	s_cbranch_execnz .LBB505_187
.LBB505_202:                            ;   in Loop: Header=BB505_98 Depth=2
	s_or_b32 exec_lo, exec_lo, s28
	v_cmp_lt_u32_e64 s27, v58, v147
	s_delay_alu instid0(VALU_DEP_1)
	s_and_saveexec_b32 s29, s27
	s_cbranch_execz .LBB505_188
.LBB505_203:                            ;   in Loop: Header=BB505_98 Depth=2
	ds_load_b32 v148, v78 offset:11264
	s_waitcnt lgkmcnt(0)
	v_lshrrev_b32_e32 v2, s38, v148
	s_delay_alu instid0(VALU_DEP_1) | instskip(NEXT) | instid1(VALU_DEP_1)
	v_and_b32_e32 v2, s39, v2
	v_lshlrev_b32_e32 v2, 2, v2
	ds_load_b32 v2, v2
	s_waitcnt lgkmcnt(0)
	v_add_nc_u32_e32 v2, v2, v58
	s_delay_alu instid0(VALU_DEP_1) | instskip(SKIP_1) | instid1(VALU_DEP_2)
	v_lshlrev_b64 v[36:37], 2, v[2:3]
	v_xor_b32_e32 v2, 0x7fffffff, v148
	v_add_co_u32 v36, s28, s46, v36
	s_delay_alu instid0(VALU_DEP_1) | instskip(SKIP_3) | instid1(VALU_DEP_1)
	v_add_co_ci_u32_e64 v37, s28, s47, v37, s28
	global_store_b32 v[36:37], v2, off
	s_or_b32 exec_lo, exec_lo, s29
	v_cmp_lt_u32_e64 s28, v59, v147
	s_and_saveexec_b32 s30, s28
	s_cbranch_execnz .LBB505_189
.LBB505_204:                            ;   in Loop: Header=BB505_98 Depth=2
	s_or_b32 exec_lo, exec_lo, s30
	v_cmp_lt_u32_e64 s29, v60, v147
	s_delay_alu instid0(VALU_DEP_1)
	s_and_saveexec_b32 s31, s29
	s_cbranch_execz .LBB505_190
.LBB505_205:                            ;   in Loop: Header=BB505_98 Depth=2
	ds_load_b32 v148, v78 offset:13312
	s_waitcnt lgkmcnt(0)
	v_lshrrev_b32_e32 v2, s38, v148
	s_delay_alu instid0(VALU_DEP_1) | instskip(NEXT) | instid1(VALU_DEP_1)
	v_and_b32_e32 v2, s39, v2
	v_lshlrev_b32_e32 v2, 2, v2
	ds_load_b32 v2, v2
	s_waitcnt lgkmcnt(0)
	v_add_nc_u32_e32 v2, v2, v60
	s_delay_alu instid0(VALU_DEP_1) | instskip(SKIP_1) | instid1(VALU_DEP_2)
	v_lshlrev_b64 v[36:37], 2, v[2:3]
	v_xor_b32_e32 v2, 0x7fffffff, v148
	v_add_co_u32 v36, s30, s46, v36
	s_delay_alu instid0(VALU_DEP_1) | instskip(SKIP_3) | instid1(VALU_DEP_1)
	v_add_co_ci_u32_e64 v37, s30, s47, v37, s30
	global_store_b32 v[36:37], v2, off
	s_or_b32 exec_lo, exec_lo, s31
	v_cmp_lt_u32_e64 s30, v61, v147
	s_and_saveexec_b32 s33, s30
	s_cbranch_execnz .LBB505_191
.LBB505_206:                            ;   in Loop: Header=BB505_98 Depth=2
	s_or_b32 exec_lo, exec_lo, s33
	v_cmp_lt_u32_e64 s31, v63, v147
	s_delay_alu instid0(VALU_DEP_1)
	s_and_saveexec_b32 s42, s31
	s_cbranch_execz .LBB505_208
.LBB505_207:                            ;   in Loop: Header=BB505_98 Depth=2
	ds_load_b32 v148, v78 offset:15360
	s_waitcnt lgkmcnt(0)
	v_lshrrev_b32_e32 v2, s38, v148
	s_delay_alu instid0(VALU_DEP_1) | instskip(NEXT) | instid1(VALU_DEP_1)
	v_and_b32_e32 v2, s39, v2
	v_lshlrev_b32_e32 v2, 2, v2
	ds_load_b32 v2, v2
	s_waitcnt lgkmcnt(0)
	v_add_nc_u32_e32 v2, v2, v63
	s_delay_alu instid0(VALU_DEP_1) | instskip(SKIP_1) | instid1(VALU_DEP_2)
	v_lshlrev_b64 v[36:37], 2, v[2:3]
	v_xor_b32_e32 v2, 0x7fffffff, v148
	v_add_co_u32 v36, s33, s46, v36
	s_delay_alu instid0(VALU_DEP_1)
	v_add_co_ci_u32_e64 v37, s33, s47, v37, s33
	global_store_b32 v[36:37], v2, off
.LBB505_208:                            ;   in Loop: Header=BB505_98 Depth=2
	s_or_b32 exec_lo, exec_lo, s42
	s_lshl_b64 s[42:43], s[34:35], 3
	s_delay_alu instid0(SALU_CYCLE_1) | instskip(NEXT) | instid1(VALU_DEP_1)
	v_add_co_u32 v36, s33, v109, s42
	v_add_co_ci_u32_e64 v37, s33, s43, v110, s33
	v_cmp_lt_u32_e64 s33, v108, v147
	s_delay_alu instid0(VALU_DEP_1) | instskip(NEXT) | instid1(SALU_CYCLE_1)
	s_and_saveexec_b32 s34, s33
	s_xor_b32 s33, exec_lo, s34
	s_cbranch_execz .LBB505_240
; %bb.209:                              ;   in Loop: Header=BB505_98 Depth=2
	global_load_b64 v[34:35], v[36:37], off
	s_or_b32 exec_lo, exec_lo, s33
	s_delay_alu instid0(SALU_CYCLE_1)
	s_mov_b32 s34, exec_lo
	v_cmpx_lt_u32_e64 v111, v147
	s_cbranch_execnz .LBB505_241
.LBB505_210:                            ;   in Loop: Header=BB505_98 Depth=2
	s_or_b32 exec_lo, exec_lo, s34
	s_delay_alu instid0(SALU_CYCLE_1)
	s_mov_b32 s34, exec_lo
	v_cmpx_lt_u32_e64 v112, v147
	s_cbranch_execz .LBB505_242
.LBB505_211:                            ;   in Loop: Header=BB505_98 Depth=2
	global_load_b64 v[30:31], v[36:37], off offset:512
	s_or_b32 exec_lo, exec_lo, s34
	s_delay_alu instid0(SALU_CYCLE_1)
	s_mov_b32 s34, exec_lo
	v_cmpx_lt_u32_e64 v113, v147
	s_cbranch_execnz .LBB505_243
.LBB505_212:                            ;   in Loop: Header=BB505_98 Depth=2
	s_or_b32 exec_lo, exec_lo, s34
	s_delay_alu instid0(SALU_CYCLE_1)
	s_mov_b32 s34, exec_lo
	v_cmpx_lt_u32_e64 v114, v147
	s_cbranch_execz .LBB505_244
.LBB505_213:                            ;   in Loop: Header=BB505_98 Depth=2
	global_load_b64 v[26:27], v[36:37], off offset:1024
	s_or_b32 exec_lo, exec_lo, s34
	s_delay_alu instid0(SALU_CYCLE_1)
	s_mov_b32 s34, exec_lo
	v_cmpx_lt_u32_e64 v115, v147
	s_cbranch_execnz .LBB505_245
.LBB505_214:                            ;   in Loop: Header=BB505_98 Depth=2
	s_or_b32 exec_lo, exec_lo, s34
	s_delay_alu instid0(SALU_CYCLE_1)
	s_mov_b32 s34, exec_lo
	v_cmpx_lt_u32_e64 v116, v147
	s_cbranch_execz .LBB505_246
.LBB505_215:                            ;   in Loop: Header=BB505_98 Depth=2
	global_load_b64 v[22:23], v[36:37], off offset:1536
	s_or_b32 exec_lo, exec_lo, s34
	s_delay_alu instid0(SALU_CYCLE_1)
	s_mov_b32 s34, exec_lo
	v_cmpx_lt_u32_e64 v117, v147
	s_cbranch_execnz .LBB505_247
.LBB505_216:                            ;   in Loop: Header=BB505_98 Depth=2
	s_or_b32 exec_lo, exec_lo, s34
	s_delay_alu instid0(SALU_CYCLE_1)
	s_mov_b32 s34, exec_lo
	v_cmpx_lt_u32_e64 v118, v147
	s_cbranch_execz .LBB505_248
.LBB505_217:                            ;   in Loop: Header=BB505_98 Depth=2
	global_load_b64 v[18:19], v[36:37], off offset:2048
	s_or_b32 exec_lo, exec_lo, s34
	s_delay_alu instid0(SALU_CYCLE_1)
	s_mov_b32 s34, exec_lo
	v_cmpx_lt_u32_e64 v119, v147
	s_cbranch_execnz .LBB505_249
.LBB505_218:                            ;   in Loop: Header=BB505_98 Depth=2
	s_or_b32 exec_lo, exec_lo, s34
	s_delay_alu instid0(SALU_CYCLE_1)
	s_mov_b32 s34, exec_lo
	v_cmpx_lt_u32_e64 v120, v147
	s_cbranch_execz .LBB505_250
.LBB505_219:                            ;   in Loop: Header=BB505_98 Depth=2
	global_load_b64 v[14:15], v[36:37], off offset:2560
	s_or_b32 exec_lo, exec_lo, s34
	s_delay_alu instid0(SALU_CYCLE_1)
	s_mov_b32 s34, exec_lo
	v_cmpx_lt_u32_e64 v121, v147
	s_cbranch_execnz .LBB505_251
.LBB505_220:                            ;   in Loop: Header=BB505_98 Depth=2
	s_or_b32 exec_lo, exec_lo, s34
	s_delay_alu instid0(SALU_CYCLE_1)
	s_mov_b32 s34, exec_lo
	v_cmpx_lt_u32_e64 v122, v147
	s_cbranch_execz .LBB505_252
.LBB505_221:                            ;   in Loop: Header=BB505_98 Depth=2
	global_load_b64 v[10:11], v[36:37], off offset:3072
	s_or_b32 exec_lo, exec_lo, s34
	s_delay_alu instid0(SALU_CYCLE_1)
	s_mov_b32 s34, exec_lo
	v_cmpx_lt_u32_e64 v123, v147
	s_cbranch_execnz .LBB505_253
.LBB505_222:                            ;   in Loop: Header=BB505_98 Depth=2
	s_or_b32 exec_lo, exec_lo, s34
	s_delay_alu instid0(SALU_CYCLE_1)
	s_mov_b32 s34, exec_lo
	v_cmpx_lt_u32_e64 v124, v147
	s_cbranch_execz .LBB505_254
.LBB505_223:                            ;   in Loop: Header=BB505_98 Depth=2
	global_load_b64 v[6:7], v[36:37], off offset:3584
	s_or_b32 exec_lo, exec_lo, s34
	s_delay_alu instid0(SALU_CYCLE_1)
	s_mov_b32 s34, exec_lo
	v_cmpx_lt_u32_e64 v125, v147
	s_cbranch_execnz .LBB505_255
.LBB505_224:                            ;   in Loop: Header=BB505_98 Depth=2
	s_or_b32 exec_lo, exec_lo, s34
	s_and_saveexec_b32 s33, vcc_lo
	s_cbranch_execz .LBB505_256
.LBB505_225:                            ;   in Loop: Header=BB505_98 Depth=2
	v_add_nc_u32_e32 v2, v70, v72
	ds_load_b32 v2, v2 offset:1024
	s_waitcnt lgkmcnt(0)
	v_lshrrev_b32_e32 v2, s38, v2
	s_delay_alu instid0(VALU_DEP_1)
	v_and_b32_e32 v146, s39, v2
	s_or_b32 exec_lo, exec_lo, s33
	s_and_saveexec_b32 s33, s16
	s_cbranch_execnz .LBB505_257
.LBB505_226:                            ;   in Loop: Header=BB505_98 Depth=2
	s_or_b32 exec_lo, exec_lo, s33
	s_and_saveexec_b32 s33, s17
	s_cbranch_execz .LBB505_258
.LBB505_227:                            ;   in Loop: Header=BB505_98 Depth=2
	ds_load_b32 v2, v78 offset:2048
	s_waitcnt lgkmcnt(0)
	v_lshrrev_b32_e32 v2, s38, v2
	s_delay_alu instid0(VALU_DEP_1)
	v_and_b32_e32 v144, s39, v2
	s_or_b32 exec_lo, exec_lo, s33
	s_and_saveexec_b32 s33, s18
	s_cbranch_execnz .LBB505_259
.LBB505_228:                            ;   in Loop: Header=BB505_98 Depth=2
	s_or_b32 exec_lo, exec_lo, s33
	s_and_saveexec_b32 s33, s19
	s_cbranch_execz .LBB505_260
.LBB505_229:                            ;   in Loop: Header=BB505_98 Depth=2
	ds_load_b32 v2, v78 offset:4096
	s_waitcnt lgkmcnt(0)
	v_lshrrev_b32_e32 v2, s38, v2
	s_delay_alu instid0(VALU_DEP_1)
	v_and_b32_e32 v142, s39, v2
	s_or_b32 exec_lo, exec_lo, s33
	s_and_saveexec_b32 s33, s20
	s_cbranch_execnz .LBB505_261
.LBB505_230:                            ;   in Loop: Header=BB505_98 Depth=2
	s_or_b32 exec_lo, exec_lo, s33
	s_and_saveexec_b32 s33, s21
	s_cbranch_execz .LBB505_262
.LBB505_231:                            ;   in Loop: Header=BB505_98 Depth=2
	ds_load_b32 v2, v78 offset:6144
	s_waitcnt lgkmcnt(0)
	v_lshrrev_b32_e32 v2, s38, v2
	s_delay_alu instid0(VALU_DEP_1)
	v_and_b32_e32 v140, s39, v2
	s_or_b32 exec_lo, exec_lo, s33
	s_and_saveexec_b32 s33, s22
	s_cbranch_execnz .LBB505_263
.LBB505_232:                            ;   in Loop: Header=BB505_98 Depth=2
	s_or_b32 exec_lo, exec_lo, s33
	s_and_saveexec_b32 s33, s23
	s_cbranch_execz .LBB505_264
.LBB505_233:                            ;   in Loop: Header=BB505_98 Depth=2
	ds_load_b32 v2, v78 offset:8192
	s_waitcnt lgkmcnt(0)
	v_lshrrev_b32_e32 v2, s38, v2
	s_delay_alu instid0(VALU_DEP_1)
	v_and_b32_e32 v138, s39, v2
	s_or_b32 exec_lo, exec_lo, s33
	s_and_saveexec_b32 s33, s24
	s_cbranch_execnz .LBB505_265
.LBB505_234:                            ;   in Loop: Header=BB505_98 Depth=2
	s_or_b32 exec_lo, exec_lo, s33
	s_and_saveexec_b32 s33, s25
	s_cbranch_execz .LBB505_266
.LBB505_235:                            ;   in Loop: Header=BB505_98 Depth=2
	ds_load_b32 v2, v78 offset:10240
	s_waitcnt lgkmcnt(0)
	v_lshrrev_b32_e32 v2, s38, v2
	s_delay_alu instid0(VALU_DEP_1)
	v_and_b32_e32 v136, s39, v2
	s_or_b32 exec_lo, exec_lo, s33
	s_and_saveexec_b32 s33, s27
	s_cbranch_execnz .LBB505_267
.LBB505_236:                            ;   in Loop: Header=BB505_98 Depth=2
	s_or_b32 exec_lo, exec_lo, s33
	s_and_saveexec_b32 s33, s28
	s_cbranch_execz .LBB505_268
.LBB505_237:                            ;   in Loop: Header=BB505_98 Depth=2
	ds_load_b32 v2, v78 offset:12288
	s_waitcnt lgkmcnt(0)
	v_lshrrev_b32_e32 v2, s38, v2
	s_delay_alu instid0(VALU_DEP_1)
	v_and_b32_e32 v134, s39, v2
	s_or_b32 exec_lo, exec_lo, s33
	s_and_saveexec_b32 s33, s29
	s_cbranch_execnz .LBB505_269
.LBB505_238:                            ;   in Loop: Header=BB505_98 Depth=2
	s_or_b32 exec_lo, exec_lo, s33
	s_and_saveexec_b32 s33, s30
	s_cbranch_execz .LBB505_270
.LBB505_239:                            ;   in Loop: Header=BB505_98 Depth=2
	ds_load_b32 v2, v78 offset:14336
	s_waitcnt lgkmcnt(0)
	v_lshrrev_b32_e32 v2, s38, v2
	s_delay_alu instid0(VALU_DEP_1)
	v_and_b32_e32 v132, s39, v2
	s_or_b32 exec_lo, exec_lo, s33
	s_and_saveexec_b32 s33, s31
	s_cbranch_execnz .LBB505_271
	s_branch .LBB505_272
.LBB505_240:                            ;   in Loop: Header=BB505_98 Depth=2
	s_or_b32 exec_lo, exec_lo, s33
	s_delay_alu instid0(SALU_CYCLE_1)
	s_mov_b32 s34, exec_lo
	v_cmpx_lt_u32_e64 v111, v147
	s_cbranch_execz .LBB505_210
.LBB505_241:                            ;   in Loop: Header=BB505_98 Depth=2
	global_load_b64 v[32:33], v[36:37], off offset:256
	s_or_b32 exec_lo, exec_lo, s34
	s_delay_alu instid0(SALU_CYCLE_1)
	s_mov_b32 s34, exec_lo
	v_cmpx_lt_u32_e64 v112, v147
	s_cbranch_execnz .LBB505_211
.LBB505_242:                            ;   in Loop: Header=BB505_98 Depth=2
	s_or_b32 exec_lo, exec_lo, s34
	s_delay_alu instid0(SALU_CYCLE_1)
	s_mov_b32 s34, exec_lo
	v_cmpx_lt_u32_e64 v113, v147
	s_cbranch_execz .LBB505_212
.LBB505_243:                            ;   in Loop: Header=BB505_98 Depth=2
	global_load_b64 v[28:29], v[36:37], off offset:768
	s_or_b32 exec_lo, exec_lo, s34
	s_delay_alu instid0(SALU_CYCLE_1)
	s_mov_b32 s34, exec_lo
	v_cmpx_lt_u32_e64 v114, v147
	s_cbranch_execnz .LBB505_213
.LBB505_244:                            ;   in Loop: Header=BB505_98 Depth=2
	s_or_b32 exec_lo, exec_lo, s34
	s_delay_alu instid0(SALU_CYCLE_1)
	s_mov_b32 s34, exec_lo
	v_cmpx_lt_u32_e64 v115, v147
	s_cbranch_execz .LBB505_214
.LBB505_245:                            ;   in Loop: Header=BB505_98 Depth=2
	global_load_b64 v[24:25], v[36:37], off offset:1280
	s_or_b32 exec_lo, exec_lo, s34
	s_delay_alu instid0(SALU_CYCLE_1)
	s_mov_b32 s34, exec_lo
	v_cmpx_lt_u32_e64 v116, v147
	s_cbranch_execnz .LBB505_215
.LBB505_246:                            ;   in Loop: Header=BB505_98 Depth=2
	s_or_b32 exec_lo, exec_lo, s34
	s_delay_alu instid0(SALU_CYCLE_1)
	s_mov_b32 s34, exec_lo
	v_cmpx_lt_u32_e64 v117, v147
	s_cbranch_execz .LBB505_216
.LBB505_247:                            ;   in Loop: Header=BB505_98 Depth=2
	global_load_b64 v[20:21], v[36:37], off offset:1792
	s_or_b32 exec_lo, exec_lo, s34
	s_delay_alu instid0(SALU_CYCLE_1)
	s_mov_b32 s34, exec_lo
	v_cmpx_lt_u32_e64 v118, v147
	s_cbranch_execnz .LBB505_217
.LBB505_248:                            ;   in Loop: Header=BB505_98 Depth=2
	s_or_b32 exec_lo, exec_lo, s34
	s_delay_alu instid0(SALU_CYCLE_1)
	s_mov_b32 s34, exec_lo
	v_cmpx_lt_u32_e64 v119, v147
	s_cbranch_execz .LBB505_218
.LBB505_249:                            ;   in Loop: Header=BB505_98 Depth=2
	global_load_b64 v[16:17], v[36:37], off offset:2304
	s_or_b32 exec_lo, exec_lo, s34
	s_delay_alu instid0(SALU_CYCLE_1)
	s_mov_b32 s34, exec_lo
	v_cmpx_lt_u32_e64 v120, v147
	s_cbranch_execnz .LBB505_219
.LBB505_250:                            ;   in Loop: Header=BB505_98 Depth=2
	s_or_b32 exec_lo, exec_lo, s34
	s_delay_alu instid0(SALU_CYCLE_1)
	s_mov_b32 s34, exec_lo
	v_cmpx_lt_u32_e64 v121, v147
	s_cbranch_execz .LBB505_220
.LBB505_251:                            ;   in Loop: Header=BB505_98 Depth=2
	global_load_b64 v[12:13], v[36:37], off offset:2816
	s_or_b32 exec_lo, exec_lo, s34
	s_delay_alu instid0(SALU_CYCLE_1)
	s_mov_b32 s34, exec_lo
	v_cmpx_lt_u32_e64 v122, v147
	s_cbranch_execnz .LBB505_221
.LBB505_252:                            ;   in Loop: Header=BB505_98 Depth=2
	s_or_b32 exec_lo, exec_lo, s34
	s_delay_alu instid0(SALU_CYCLE_1)
	s_mov_b32 s34, exec_lo
	v_cmpx_lt_u32_e64 v123, v147
	s_cbranch_execz .LBB505_222
.LBB505_253:                            ;   in Loop: Header=BB505_98 Depth=2
	global_load_b64 v[8:9], v[36:37], off offset:3328
	s_or_b32 exec_lo, exec_lo, s34
	s_delay_alu instid0(SALU_CYCLE_1)
	s_mov_b32 s34, exec_lo
	v_cmpx_lt_u32_e64 v124, v147
	s_cbranch_execnz .LBB505_223
.LBB505_254:                            ;   in Loop: Header=BB505_98 Depth=2
	s_or_b32 exec_lo, exec_lo, s34
	s_delay_alu instid0(SALU_CYCLE_1)
	s_mov_b32 s34, exec_lo
	v_cmpx_lt_u32_e64 v125, v147
	s_cbranch_execz .LBB505_224
.LBB505_255:                            ;   in Loop: Header=BB505_98 Depth=2
	global_load_b64 v[4:5], v[36:37], off offset:3840
	s_or_b32 exec_lo, exec_lo, s34
	s_and_saveexec_b32 s33, vcc_lo
	s_cbranch_execnz .LBB505_225
.LBB505_256:                            ;   in Loop: Header=BB505_98 Depth=2
	s_or_b32 exec_lo, exec_lo, s33
	s_and_saveexec_b32 s33, s16
	s_cbranch_execz .LBB505_226
.LBB505_257:                            ;   in Loop: Header=BB505_98 Depth=2
	ds_load_b32 v2, v78 offset:1024
	s_waitcnt lgkmcnt(0)
	v_lshrrev_b32_e32 v2, s38, v2
	s_delay_alu instid0(VALU_DEP_1)
	v_and_b32_e32 v145, s39, v2
	s_or_b32 exec_lo, exec_lo, s33
	s_and_saveexec_b32 s33, s17
	s_cbranch_execnz .LBB505_227
.LBB505_258:                            ;   in Loop: Header=BB505_98 Depth=2
	s_or_b32 exec_lo, exec_lo, s33
	s_and_saveexec_b32 s33, s18
	s_cbranch_execz .LBB505_228
.LBB505_259:                            ;   in Loop: Header=BB505_98 Depth=2
	ds_load_b32 v2, v78 offset:3072
	s_waitcnt lgkmcnt(0)
	v_lshrrev_b32_e32 v2, s38, v2
	s_delay_alu instid0(VALU_DEP_1)
	v_and_b32_e32 v143, s39, v2
	s_or_b32 exec_lo, exec_lo, s33
	s_and_saveexec_b32 s33, s19
	s_cbranch_execnz .LBB505_229
.LBB505_260:                            ;   in Loop: Header=BB505_98 Depth=2
	s_or_b32 exec_lo, exec_lo, s33
	s_and_saveexec_b32 s33, s20
	s_cbranch_execz .LBB505_230
.LBB505_261:                            ;   in Loop: Header=BB505_98 Depth=2
	ds_load_b32 v2, v78 offset:5120
	s_waitcnt lgkmcnt(0)
	v_lshrrev_b32_e32 v2, s38, v2
	s_delay_alu instid0(VALU_DEP_1)
	v_and_b32_e32 v141, s39, v2
	s_or_b32 exec_lo, exec_lo, s33
	s_and_saveexec_b32 s33, s21
	s_cbranch_execnz .LBB505_231
.LBB505_262:                            ;   in Loop: Header=BB505_98 Depth=2
	s_or_b32 exec_lo, exec_lo, s33
	s_and_saveexec_b32 s33, s22
	s_cbranch_execz .LBB505_232
.LBB505_263:                            ;   in Loop: Header=BB505_98 Depth=2
	ds_load_b32 v2, v78 offset:7168
	s_waitcnt lgkmcnt(0)
	v_lshrrev_b32_e32 v2, s38, v2
	s_delay_alu instid0(VALU_DEP_1)
	v_and_b32_e32 v139, s39, v2
	s_or_b32 exec_lo, exec_lo, s33
	s_and_saveexec_b32 s33, s23
	s_cbranch_execnz .LBB505_233
.LBB505_264:                            ;   in Loop: Header=BB505_98 Depth=2
	s_or_b32 exec_lo, exec_lo, s33
	s_and_saveexec_b32 s33, s24
	s_cbranch_execz .LBB505_234
.LBB505_265:                            ;   in Loop: Header=BB505_98 Depth=2
	ds_load_b32 v2, v78 offset:9216
	s_waitcnt lgkmcnt(0)
	v_lshrrev_b32_e32 v2, s38, v2
	s_delay_alu instid0(VALU_DEP_1)
	v_and_b32_e32 v137, s39, v2
	s_or_b32 exec_lo, exec_lo, s33
	s_and_saveexec_b32 s33, s25
	s_cbranch_execnz .LBB505_235
.LBB505_266:                            ;   in Loop: Header=BB505_98 Depth=2
	s_or_b32 exec_lo, exec_lo, s33
	s_and_saveexec_b32 s33, s27
	s_cbranch_execz .LBB505_236
.LBB505_267:                            ;   in Loop: Header=BB505_98 Depth=2
	ds_load_b32 v2, v78 offset:11264
	s_waitcnt lgkmcnt(0)
	v_lshrrev_b32_e32 v2, s38, v2
	s_delay_alu instid0(VALU_DEP_1)
	v_and_b32_e32 v135, s39, v2
	s_or_b32 exec_lo, exec_lo, s33
	s_and_saveexec_b32 s33, s28
	s_cbranch_execnz .LBB505_237
.LBB505_268:                            ;   in Loop: Header=BB505_98 Depth=2
	s_or_b32 exec_lo, exec_lo, s33
	s_and_saveexec_b32 s33, s29
	s_cbranch_execz .LBB505_238
.LBB505_269:                            ;   in Loop: Header=BB505_98 Depth=2
	ds_load_b32 v2, v78 offset:13312
	s_waitcnt lgkmcnt(0)
	v_lshrrev_b32_e32 v2, s38, v2
	s_delay_alu instid0(VALU_DEP_1)
	v_and_b32_e32 v133, s39, v2
	s_or_b32 exec_lo, exec_lo, s33
	s_and_saveexec_b32 s33, s30
	s_cbranch_execnz .LBB505_239
.LBB505_270:                            ;   in Loop: Header=BB505_98 Depth=2
	s_or_b32 exec_lo, exec_lo, s33
	s_and_saveexec_b32 s33, s31
	s_cbranch_execz .LBB505_272
.LBB505_271:                            ;   in Loop: Header=BB505_98 Depth=2
	ds_load_b32 v2, v78 offset:15360
	s_waitcnt lgkmcnt(0)
	v_lshrrev_b32_e32 v2, s38, v2
	s_delay_alu instid0(VALU_DEP_1)
	v_and_b32_e32 v131, s39, v2
.LBB505_272:                            ;   in Loop: Header=BB505_98 Depth=2
	s_or_b32 exec_lo, exec_lo, s33
	v_lshlrev_b32_e32 v2, 3, v170
	v_lshlrev_b32_e32 v36, 3, v166
	s_waitcnt vmcnt(0)
	s_waitcnt_vscnt null, 0x0
	s_barrier
	buffer_gl0_inv
	ds_store_b64 v2, v[34:35] offset:1024
	v_lshlrev_b32_e32 v2, 3, v162
	v_lshlrev_b32_e32 v37, 3, v158
	;; [unrolled: 1-line block ×4, first 2 shown]
	ds_store_b64 v36, v[32:33] offset:1024
	ds_store_b64 v2, v[30:31] offset:1024
	;; [unrolled: 1-line block ×5, first 2 shown]
	v_lshlrev_b32_e32 v2, 3, v154
	v_lshlrev_b32_e32 v36, 3, v153
	;; [unrolled: 1-line block ×5, first 2 shown]
	ds_store_b64 v2, v[22:23] offset:1024
	ds_store_b64 v36, v[20:21] offset:1024
	;; [unrolled: 1-line block ×5, first 2 shown]
	v_lshlrev_b32_e32 v2, 3, v40
	v_lshlrev_b32_e32 v36, 3, v39
	;; [unrolled: 1-line block ×5, first 2 shown]
	ds_store_b64 v2, v[12:13] offset:1024
	ds_store_b64 v36, v[10:11] offset:1024
	;; [unrolled: 1-line block ×5, first 2 shown]
	s_waitcnt lgkmcnt(0)
	s_barrier
	buffer_gl0_inv
	s_and_saveexec_b32 s33, vcc_lo
	s_cbranch_execz .LBB505_288
; %bb.273:                              ;   in Loop: Header=BB505_98 Depth=2
	v_lshlrev_b32_e32 v2, 2, v146
	ds_load_b32 v2, v2
	ds_load_b64 v[36:37], v79 offset:1024
	s_waitcnt lgkmcnt(1)
	v_add_nc_u32_e32 v2, v2, v1
	s_delay_alu instid0(VALU_DEP_1) | instskip(NEXT) | instid1(VALU_DEP_1)
	v_lshlrev_b64 v[39:40], 3, v[2:3]
	v_add_co_u32 v39, vcc_lo, s52, v39
	s_delay_alu instid0(VALU_DEP_2)
	v_add_co_ci_u32_e32 v40, vcc_lo, s53, v40, vcc_lo
	s_waitcnt lgkmcnt(0)
	global_store_b64 v[39:40], v[36:37], off
	s_or_b32 exec_lo, exec_lo, s33
	s_and_saveexec_b32 s33, s16
	s_cbranch_execnz .LBB505_289
.LBB505_274:                            ;   in Loop: Header=BB505_98 Depth=2
	s_or_b32 exec_lo, exec_lo, s33
	s_and_saveexec_b32 s16, s17
	s_cbranch_execz .LBB505_290
.LBB505_275:                            ;   in Loop: Header=BB505_98 Depth=2
	v_lshlrev_b32_e32 v2, 2, v144
	v_add_nc_u32_e32 v36, v78, v44
	ds_load_b32 v2, v2
	ds_load_b64 v[36:37], v36 offset:4096
	s_waitcnt lgkmcnt(1)
	v_add_nc_u32_e32 v2, v2, v46
	s_delay_alu instid0(VALU_DEP_1) | instskip(NEXT) | instid1(VALU_DEP_1)
	v_lshlrev_b64 v[39:40], 3, v[2:3]
	v_add_co_u32 v39, vcc_lo, s52, v39
	s_delay_alu instid0(VALU_DEP_2)
	v_add_co_ci_u32_e32 v40, vcc_lo, s53, v40, vcc_lo
	s_waitcnt lgkmcnt(0)
	global_store_b64 v[39:40], v[36:37], off
	s_or_b32 exec_lo, exec_lo, s16
	s_and_saveexec_b32 s16, s18
	s_cbranch_execnz .LBB505_291
.LBB505_276:                            ;   in Loop: Header=BB505_98 Depth=2
	s_or_b32 exec_lo, exec_lo, s16
	s_and_saveexec_b32 s16, s19
	s_cbranch_execz .LBB505_292
.LBB505_277:                            ;   in Loop: Header=BB505_98 Depth=2
	v_lshlrev_b32_e32 v2, 2, v142
	v_add_nc_u32_e32 v36, v78, v44
	ds_load_b32 v2, v2
	ds_load_b64 v[36:37], v36 offset:8192
	s_waitcnt lgkmcnt(1)
	v_add_nc_u32_e32 v2, v2, v51
	s_delay_alu instid0(VALU_DEP_1) | instskip(NEXT) | instid1(VALU_DEP_1)
	v_lshlrev_b64 v[39:40], 3, v[2:3]
	v_add_co_u32 v39, vcc_lo, s52, v39
	s_delay_alu instid0(VALU_DEP_2)
	v_add_co_ci_u32_e32 v40, vcc_lo, s53, v40, vcc_lo
	s_waitcnt lgkmcnt(0)
	global_store_b64 v[39:40], v[36:37], off
	s_or_b32 exec_lo, exec_lo, s16
	s_and_saveexec_b32 s16, s20
	s_cbranch_execnz .LBB505_293
.LBB505_278:                            ;   in Loop: Header=BB505_98 Depth=2
	s_or_b32 exec_lo, exec_lo, s16
	s_and_saveexec_b32 s16, s21
	s_cbranch_execz .LBB505_294
.LBB505_279:                            ;   in Loop: Header=BB505_98 Depth=2
	v_lshlrev_b32_e32 v2, 2, v140
	v_add_nc_u32_e32 v36, v78, v44
	ds_load_b32 v2, v2
	ds_load_b64 v[36:37], v36 offset:12288
	s_waitcnt lgkmcnt(1)
	v_add_nc_u32_e32 v2, v2, v53
	s_delay_alu instid0(VALU_DEP_1) | instskip(NEXT) | instid1(VALU_DEP_1)
	v_lshlrev_b64 v[39:40], 3, v[2:3]
	v_add_co_u32 v39, vcc_lo, s52, v39
	s_delay_alu instid0(VALU_DEP_2)
	v_add_co_ci_u32_e32 v40, vcc_lo, s53, v40, vcc_lo
	s_waitcnt lgkmcnt(0)
	global_store_b64 v[39:40], v[36:37], off
	s_or_b32 exec_lo, exec_lo, s16
	s_and_saveexec_b32 s16, s22
	s_cbranch_execnz .LBB505_295
.LBB505_280:                            ;   in Loop: Header=BB505_98 Depth=2
	s_or_b32 exec_lo, exec_lo, s16
	s_and_saveexec_b32 s16, s23
	s_cbranch_execz .LBB505_296
.LBB505_281:                            ;   in Loop: Header=BB505_98 Depth=2
	v_lshlrev_b32_e32 v2, 2, v138
	v_add_nc_u32_e32 v36, v78, v44
	ds_load_b32 v2, v2
	ds_load_b64 v[36:37], v36 offset:16384
	s_waitcnt lgkmcnt(1)
	v_add_nc_u32_e32 v2, v2, v55
	s_delay_alu instid0(VALU_DEP_1) | instskip(NEXT) | instid1(VALU_DEP_1)
	v_lshlrev_b64 v[39:40], 3, v[2:3]
	v_add_co_u32 v39, vcc_lo, s52, v39
	s_delay_alu instid0(VALU_DEP_2)
	v_add_co_ci_u32_e32 v40, vcc_lo, s53, v40, vcc_lo
	s_waitcnt lgkmcnt(0)
	global_store_b64 v[39:40], v[36:37], off
	s_or_b32 exec_lo, exec_lo, s16
	s_and_saveexec_b32 s16, s24
	s_cbranch_execnz .LBB505_297
.LBB505_282:                            ;   in Loop: Header=BB505_98 Depth=2
	s_or_b32 exec_lo, exec_lo, s16
	s_and_saveexec_b32 s16, s25
	s_cbranch_execz .LBB505_298
.LBB505_283:                            ;   in Loop: Header=BB505_98 Depth=2
	v_lshlrev_b32_e32 v2, 2, v136
	v_add_nc_u32_e32 v36, v78, v44
	ds_load_b32 v2, v2
	ds_load_b64 v[36:37], v36 offset:20480
	s_waitcnt lgkmcnt(1)
	v_add_nc_u32_e32 v2, v2, v57
	s_delay_alu instid0(VALU_DEP_1) | instskip(NEXT) | instid1(VALU_DEP_1)
	v_lshlrev_b64 v[39:40], 3, v[2:3]
	v_add_co_u32 v39, vcc_lo, s52, v39
	s_delay_alu instid0(VALU_DEP_2)
	v_add_co_ci_u32_e32 v40, vcc_lo, s53, v40, vcc_lo
	s_waitcnt lgkmcnt(0)
	global_store_b64 v[39:40], v[36:37], off
	s_or_b32 exec_lo, exec_lo, s16
	s_and_saveexec_b32 s16, s27
	s_cbranch_execnz .LBB505_299
.LBB505_284:                            ;   in Loop: Header=BB505_98 Depth=2
	s_or_b32 exec_lo, exec_lo, s16
	s_and_saveexec_b32 s16, s28
	s_cbranch_execz .LBB505_300
.LBB505_285:                            ;   in Loop: Header=BB505_98 Depth=2
	v_lshlrev_b32_e32 v2, 2, v134
	v_add_nc_u32_e32 v36, v78, v44
	ds_load_b32 v2, v2
	ds_load_b64 v[36:37], v36 offset:24576
	s_waitcnt lgkmcnt(1)
	v_add_nc_u32_e32 v2, v2, v59
	s_delay_alu instid0(VALU_DEP_1) | instskip(NEXT) | instid1(VALU_DEP_1)
	v_lshlrev_b64 v[39:40], 3, v[2:3]
	v_add_co_u32 v39, vcc_lo, s52, v39
	s_delay_alu instid0(VALU_DEP_2)
	v_add_co_ci_u32_e32 v40, vcc_lo, s53, v40, vcc_lo
	s_waitcnt lgkmcnt(0)
	global_store_b64 v[39:40], v[36:37], off
	s_or_b32 exec_lo, exec_lo, s16
	s_and_saveexec_b32 s16, s29
	s_cbranch_execnz .LBB505_301
.LBB505_286:                            ;   in Loop: Header=BB505_98 Depth=2
	s_or_b32 exec_lo, exec_lo, s16
	s_and_saveexec_b32 s16, s30
	s_cbranch_execz .LBB505_302
.LBB505_287:                            ;   in Loop: Header=BB505_98 Depth=2
	v_lshlrev_b32_e32 v2, 2, v132
	v_add_nc_u32_e32 v36, v78, v44
	ds_load_b32 v2, v2
	ds_load_b64 v[36:37], v36 offset:28672
	s_waitcnt lgkmcnt(1)
	v_add_nc_u32_e32 v2, v2, v61
	s_delay_alu instid0(VALU_DEP_1) | instskip(NEXT) | instid1(VALU_DEP_1)
	v_lshlrev_b64 v[39:40], 3, v[2:3]
	v_add_co_u32 v39, vcc_lo, s52, v39
	s_delay_alu instid0(VALU_DEP_2)
	v_add_co_ci_u32_e32 v40, vcc_lo, s53, v40, vcc_lo
	s_waitcnt lgkmcnt(0)
	global_store_b64 v[39:40], v[36:37], off
	s_or_b32 exec_lo, exec_lo, s16
	s_and_saveexec_b32 s16, s31
	s_cbranch_execnz .LBB505_303
	s_branch .LBB505_304
.LBB505_288:                            ;   in Loop: Header=BB505_98 Depth=2
	s_or_b32 exec_lo, exec_lo, s33
	s_and_saveexec_b32 s33, s16
	s_cbranch_execz .LBB505_274
.LBB505_289:                            ;   in Loop: Header=BB505_98 Depth=2
	v_lshlrev_b32_e32 v2, 2, v145
	v_add_nc_u32_e32 v36, v78, v44
	ds_load_b32 v2, v2
	ds_load_b64 v[36:37], v36 offset:2048
	s_waitcnt lgkmcnt(1)
	v_add_nc_u32_e32 v2, v2, v45
	s_delay_alu instid0(VALU_DEP_1) | instskip(NEXT) | instid1(VALU_DEP_1)
	v_lshlrev_b64 v[39:40], 3, v[2:3]
	v_add_co_u32 v39, vcc_lo, s52, v39
	s_delay_alu instid0(VALU_DEP_2)
	v_add_co_ci_u32_e32 v40, vcc_lo, s53, v40, vcc_lo
	s_waitcnt lgkmcnt(0)
	global_store_b64 v[39:40], v[36:37], off
	s_or_b32 exec_lo, exec_lo, s33
	s_and_saveexec_b32 s16, s17
	s_cbranch_execnz .LBB505_275
.LBB505_290:                            ;   in Loop: Header=BB505_98 Depth=2
	s_or_b32 exec_lo, exec_lo, s16
	s_and_saveexec_b32 s16, s18
	s_cbranch_execz .LBB505_276
.LBB505_291:                            ;   in Loop: Header=BB505_98 Depth=2
	v_lshlrev_b32_e32 v2, 2, v143
	v_add_nc_u32_e32 v36, v78, v44
	ds_load_b32 v2, v2
	ds_load_b64 v[36:37], v36 offset:6144
	s_waitcnt lgkmcnt(1)
	v_add_nc_u32_e32 v2, v2, v47
	s_delay_alu instid0(VALU_DEP_1) | instskip(NEXT) | instid1(VALU_DEP_1)
	v_lshlrev_b64 v[39:40], 3, v[2:3]
	v_add_co_u32 v39, vcc_lo, s52, v39
	s_delay_alu instid0(VALU_DEP_2)
	v_add_co_ci_u32_e32 v40, vcc_lo, s53, v40, vcc_lo
	s_waitcnt lgkmcnt(0)
	global_store_b64 v[39:40], v[36:37], off
	s_or_b32 exec_lo, exec_lo, s16
	s_and_saveexec_b32 s16, s19
	s_cbranch_execnz .LBB505_277
.LBB505_292:                            ;   in Loop: Header=BB505_98 Depth=2
	s_or_b32 exec_lo, exec_lo, s16
	s_and_saveexec_b32 s16, s20
	s_cbranch_execz .LBB505_278
.LBB505_293:                            ;   in Loop: Header=BB505_98 Depth=2
	v_lshlrev_b32_e32 v2, 2, v141
	v_add_nc_u32_e32 v36, v78, v44
	ds_load_b32 v2, v2
	ds_load_b64 v[36:37], v36 offset:10240
	s_waitcnt lgkmcnt(1)
	v_add_nc_u32_e32 v2, v2, v52
	s_delay_alu instid0(VALU_DEP_1) | instskip(NEXT) | instid1(VALU_DEP_1)
	v_lshlrev_b64 v[39:40], 3, v[2:3]
	v_add_co_u32 v39, vcc_lo, s52, v39
	s_delay_alu instid0(VALU_DEP_2)
	v_add_co_ci_u32_e32 v40, vcc_lo, s53, v40, vcc_lo
	s_waitcnt lgkmcnt(0)
	global_store_b64 v[39:40], v[36:37], off
	s_or_b32 exec_lo, exec_lo, s16
	s_and_saveexec_b32 s16, s21
	s_cbranch_execnz .LBB505_279
.LBB505_294:                            ;   in Loop: Header=BB505_98 Depth=2
	s_or_b32 exec_lo, exec_lo, s16
	s_and_saveexec_b32 s16, s22
	s_cbranch_execz .LBB505_280
.LBB505_295:                            ;   in Loop: Header=BB505_98 Depth=2
	v_lshlrev_b32_e32 v2, 2, v139
	v_add_nc_u32_e32 v36, v78, v44
	ds_load_b32 v2, v2
	ds_load_b64 v[36:37], v36 offset:14336
	s_waitcnt lgkmcnt(1)
	v_add_nc_u32_e32 v2, v2, v54
	s_delay_alu instid0(VALU_DEP_1) | instskip(NEXT) | instid1(VALU_DEP_1)
	v_lshlrev_b64 v[39:40], 3, v[2:3]
	v_add_co_u32 v39, vcc_lo, s52, v39
	s_delay_alu instid0(VALU_DEP_2)
	v_add_co_ci_u32_e32 v40, vcc_lo, s53, v40, vcc_lo
	s_waitcnt lgkmcnt(0)
	global_store_b64 v[39:40], v[36:37], off
	s_or_b32 exec_lo, exec_lo, s16
	s_and_saveexec_b32 s16, s23
	s_cbranch_execnz .LBB505_281
.LBB505_296:                            ;   in Loop: Header=BB505_98 Depth=2
	s_or_b32 exec_lo, exec_lo, s16
	s_and_saveexec_b32 s16, s24
	s_cbranch_execz .LBB505_282
.LBB505_297:                            ;   in Loop: Header=BB505_98 Depth=2
	v_lshlrev_b32_e32 v2, 2, v137
	v_add_nc_u32_e32 v36, v78, v44
	ds_load_b32 v2, v2
	ds_load_b64 v[36:37], v36 offset:18432
	s_waitcnt lgkmcnt(1)
	v_add_nc_u32_e32 v2, v2, v56
	s_delay_alu instid0(VALU_DEP_1) | instskip(NEXT) | instid1(VALU_DEP_1)
	v_lshlrev_b64 v[39:40], 3, v[2:3]
	v_add_co_u32 v39, vcc_lo, s52, v39
	s_delay_alu instid0(VALU_DEP_2)
	v_add_co_ci_u32_e32 v40, vcc_lo, s53, v40, vcc_lo
	s_waitcnt lgkmcnt(0)
	global_store_b64 v[39:40], v[36:37], off
	s_or_b32 exec_lo, exec_lo, s16
	s_and_saveexec_b32 s16, s25
	s_cbranch_execnz .LBB505_283
.LBB505_298:                            ;   in Loop: Header=BB505_98 Depth=2
	s_or_b32 exec_lo, exec_lo, s16
	s_and_saveexec_b32 s16, s27
	s_cbranch_execz .LBB505_284
.LBB505_299:                            ;   in Loop: Header=BB505_98 Depth=2
	v_lshlrev_b32_e32 v2, 2, v135
	v_add_nc_u32_e32 v36, v78, v44
	ds_load_b32 v2, v2
	ds_load_b64 v[36:37], v36 offset:22528
	s_waitcnt lgkmcnt(1)
	v_add_nc_u32_e32 v2, v2, v58
	s_delay_alu instid0(VALU_DEP_1) | instskip(NEXT) | instid1(VALU_DEP_1)
	v_lshlrev_b64 v[39:40], 3, v[2:3]
	v_add_co_u32 v39, vcc_lo, s52, v39
	s_delay_alu instid0(VALU_DEP_2)
	v_add_co_ci_u32_e32 v40, vcc_lo, s53, v40, vcc_lo
	s_waitcnt lgkmcnt(0)
	global_store_b64 v[39:40], v[36:37], off
	s_or_b32 exec_lo, exec_lo, s16
	s_and_saveexec_b32 s16, s28
	s_cbranch_execnz .LBB505_285
.LBB505_300:                            ;   in Loop: Header=BB505_98 Depth=2
	s_or_b32 exec_lo, exec_lo, s16
	s_and_saveexec_b32 s16, s29
	s_cbranch_execz .LBB505_286
.LBB505_301:                            ;   in Loop: Header=BB505_98 Depth=2
	v_lshlrev_b32_e32 v2, 2, v133
	v_add_nc_u32_e32 v36, v78, v44
	ds_load_b32 v2, v2
	ds_load_b64 v[36:37], v36 offset:26624
	s_waitcnt lgkmcnt(1)
	v_add_nc_u32_e32 v2, v2, v60
	s_delay_alu instid0(VALU_DEP_1) | instskip(NEXT) | instid1(VALU_DEP_1)
	v_lshlrev_b64 v[39:40], 3, v[2:3]
	v_add_co_u32 v39, vcc_lo, s52, v39
	s_delay_alu instid0(VALU_DEP_2)
	v_add_co_ci_u32_e32 v40, vcc_lo, s53, v40, vcc_lo
	s_waitcnt lgkmcnt(0)
	global_store_b64 v[39:40], v[36:37], off
	s_or_b32 exec_lo, exec_lo, s16
	s_and_saveexec_b32 s16, s30
	s_cbranch_execnz .LBB505_287
.LBB505_302:                            ;   in Loop: Header=BB505_98 Depth=2
	s_or_b32 exec_lo, exec_lo, s16
	s_and_saveexec_b32 s16, s31
	s_cbranch_execz .LBB505_304
.LBB505_303:                            ;   in Loop: Header=BB505_98 Depth=2
	v_lshlrev_b32_e32 v2, 2, v131
	v_add_nc_u32_e32 v36, v78, v44
	ds_load_b32 v2, v2
	ds_load_b64 v[36:37], v36 offset:30720
	s_waitcnt lgkmcnt(1)
	v_add_nc_u32_e32 v2, v2, v63
	s_delay_alu instid0(VALU_DEP_1) | instskip(NEXT) | instid1(VALU_DEP_1)
	v_lshlrev_b64 v[39:40], 3, v[2:3]
	v_add_co_u32 v39, vcc_lo, s52, v39
	s_delay_alu instid0(VALU_DEP_2)
	v_add_co_ci_u32_e32 v40, vcc_lo, s53, v40, vcc_lo
	s_waitcnt lgkmcnt(0)
	global_store_b64 v[39:40], v[36:37], off
.LBB505_304:                            ;   in Loop: Header=BB505_98 Depth=2
	s_or_b32 exec_lo, exec_lo, s16
	s_waitcnt_vscnt null, 0x0
	s_barrier
	buffer_gl0_inv
	s_and_saveexec_b32 s16, s2
	s_cbranch_execz .LBB505_97
; %bb.305:                              ;   in Loop: Header=BB505_98 Depth=2
	ds_load_b32 v2, v44
	s_waitcnt lgkmcnt(0)
	v_add_nc_u32_e32 v2, v2, v38
	ds_store_b32 v44, v2
	s_branch .LBB505_97
.LBB505_306:                            ;   in Loop: Header=BB505_12 Depth=1
	s_waitcnt lgkmcnt(0)
	s_mov_b32 s0, 0
	s_barrier
.LBB505_307:                            ;   in Loop: Header=BB505_12 Depth=1
	s_and_b32 vcc_lo, exec_lo, s0
	s_cbranch_vccz .LBB505_601
; %bb.308:                              ;   in Loop: Header=BB505_12 Depth=1
	s_mov_b32 s8, s62
	s_mov_b32 s34, s60
	s_barrier
	buffer_gl0_inv
                                        ; implicit-def: $vgpr20
                                        ; implicit-def: $vgpr2
                                        ; implicit-def: $vgpr6
                                        ; implicit-def: $vgpr7
                                        ; implicit-def: $vgpr8
                                        ; implicit-def: $vgpr9
                                        ; implicit-def: $vgpr10
                                        ; implicit-def: $vgpr11
                                        ; implicit-def: $vgpr12
                                        ; implicit-def: $vgpr13
                                        ; implicit-def: $vgpr14
                                        ; implicit-def: $vgpr15
                                        ; implicit-def: $vgpr16
                                        ; implicit-def: $vgpr17
                                        ; implicit-def: $vgpr18
                                        ; implicit-def: $vgpr19
	s_branch .LBB505_310
.LBB505_309:                            ;   in Loop: Header=BB505_310 Depth=2
	s_or_b32 exec_lo, exec_lo, s0
	s_addk_i32 s8, 0xf000
	s_cmp_ge_u32 s9, s61
	s_mov_b32 s34, s9
	s_cbranch_scc1 .LBB505_380
.LBB505_310:                            ;   Parent Loop BB505_12 Depth=1
                                        ; =>  This Inner Loop Header: Depth=2
	s_add_i32 s9, s34, 0x1000
	s_delay_alu instid0(SALU_CYCLE_1)
	s_cmp_gt_u32 s9, s61
	s_cbranch_scc1 .LBB505_313
; %bb.311:                              ;   in Loop: Header=BB505_310 Depth=2
	s_mov_b32 s1, 0
	s_mov_b32 s0, s34
	s_delay_alu instid0(SALU_CYCLE_1) | instskip(NEXT) | instid1(SALU_CYCLE_1)
	s_lshl_b64 s[10:11], s[0:1], 2
	v_add_co_u32 v4, vcc_lo, v80, s10
	v_add_co_ci_u32_e32 v5, vcc_lo, s11, v81, vcc_lo
	s_movk_i32 s11, 0x1000
	s_waitcnt vmcnt(1)
	s_delay_alu instid0(VALU_DEP_2) | instskip(NEXT) | instid1(VALU_DEP_2)
	v_add_co_u32 v29, vcc_lo, 0x1000, v4
	v_add_co_ci_u32_e32 v30, vcc_lo, 0, v5, vcc_lo
	s_waitcnt vmcnt(0)
	v_add_co_u32 v36, vcc_lo, v4, 0x2000
	v_add_co_ci_u32_e32 v37, vcc_lo, 0, v5, vcc_lo
	v_add_co_u32 v33, vcc_lo, 0x2000, v4
	v_add_co_ci_u32_e32 v34, vcc_lo, 0, v5, vcc_lo
	v_add_co_u32 v38, vcc_lo, 0x3000, v4
	global_load_b32 v26, v[36:37], off
	v_add_co_ci_u32_e32 v39, vcc_lo, 0, v5, vcc_lo
	s_clause 0xd
	global_load_b32 v22, v[4:5], off
	global_load_b32 v23, v[4:5], off offset:1024
	global_load_b32 v24, v[4:5], off offset:2048
	global_load_b32 v25, v[4:5], off offset:3072
	global_load_b32 v27, v[29:30], off offset:1024
	global_load_b32 v28, v[29:30], off offset:2048
	global_load_b32 v30, v[29:30], off offset:3072
	global_load_b32 v31, v[33:34], off offset:1024
	global_load_b32 v32, v[33:34], off offset:2048
	global_load_b32 v33, v[33:34], off offset:3072
	global_load_b32 v34, v[38:39], off
	global_load_b32 v35, v[38:39], off offset:1024
	global_load_b32 v29, v[36:37], off offset:-4096
	global_load_b32 v36, v[38:39], off offset:2048
	v_add_co_u32 v4, vcc_lo, 0x3c00, v4
	v_add_co_ci_u32_e32 v5, vcc_lo, 0, v5, vcc_lo
	s_mov_b32 s10, -1
	s_cbranch_execz .LBB505_314
; %bb.312:                              ;   in Loop: Header=BB505_310 Depth=2
                                        ; implicit-def: $vgpr19
                                        ; implicit-def: $vgpr18
                                        ; implicit-def: $vgpr17
                                        ; implicit-def: $vgpr16
                                        ; implicit-def: $vgpr15
                                        ; implicit-def: $vgpr14
                                        ; implicit-def: $vgpr13
                                        ; implicit-def: $vgpr12
                                        ; implicit-def: $vgpr11
                                        ; implicit-def: $vgpr10
                                        ; implicit-def: $vgpr9
                                        ; implicit-def: $vgpr8
                                        ; implicit-def: $vgpr7
                                        ; implicit-def: $vgpr6
                                        ; implicit-def: $vgpr2
                                        ; implicit-def: $vgpr20
	v_mov_b32_e32 v21, s8
	s_and_saveexec_b32 s0, s10
	s_cbranch_execnz .LBB505_333
	s_branch .LBB505_334
.LBB505_313:                            ;   in Loop: Header=BB505_310 Depth=2
	s_mov_b32 s10, 0
                                        ; implicit-def: $sgpr11
                                        ; implicit-def: $vgpr22
                                        ; implicit-def: $vgpr23
                                        ; implicit-def: $vgpr24
                                        ; implicit-def: $vgpr25
                                        ; implicit-def: $vgpr29
                                        ; implicit-def: $vgpr27
                                        ; implicit-def: $vgpr28
                                        ; implicit-def: $vgpr30
                                        ; implicit-def: $vgpr26
                                        ; implicit-def: $vgpr31
                                        ; implicit-def: $vgpr32
                                        ; implicit-def: $vgpr33
                                        ; implicit-def: $vgpr34
                                        ; implicit-def: $vgpr35
                                        ; implicit-def: $vgpr36
                                        ; implicit-def: $vgpr4_vgpr5
.LBB505_314:                            ;   in Loop: Header=BB505_310 Depth=2
	s_lshl_b64 s[0:1], s[34:35], 2
	s_mov_b32 s11, exec_lo
	s_add_u32 s0, s46, s0
	s_addc_u32 s1, s47, s1
	v_cmpx_gt_u32_e64 s8, v1
	s_cbranch_execz .LBB505_366
; %bb.315:                              ;   in Loop: Header=BB505_310 Depth=2
	global_load_b32 v19, v93, s[0:1]
	s_or_b32 exec_lo, exec_lo, s11
	s_delay_alu instid0(SALU_CYCLE_1)
	s_mov_b32 s11, exec_lo
	v_cmpx_gt_u32_e64 s8, v45
	s_cbranch_execnz .LBB505_367
.LBB505_316:                            ;   in Loop: Header=BB505_310 Depth=2
	s_or_b32 exec_lo, exec_lo, s11
	s_delay_alu instid0(SALU_CYCLE_1)
	s_mov_b32 s11, exec_lo
	v_cmpx_gt_u32_e64 s8, v46
	s_cbranch_execz .LBB505_368
.LBB505_317:                            ;   in Loop: Header=BB505_310 Depth=2
	global_load_b32 v17, v93, s[0:1] offset:2048
	s_or_b32 exec_lo, exec_lo, s11
	s_delay_alu instid0(SALU_CYCLE_1)
	s_mov_b32 s11, exec_lo
	v_cmpx_gt_u32_e64 s8, v47
	s_cbranch_execnz .LBB505_369
.LBB505_318:                            ;   in Loop: Header=BB505_310 Depth=2
	s_or_b32 exec_lo, exec_lo, s11
	s_delay_alu instid0(SALU_CYCLE_1)
	s_mov_b32 s11, exec_lo
	v_cmpx_gt_u32_e64 s8, v51
	s_cbranch_execz .LBB505_370
.LBB505_319:                            ;   in Loop: Header=BB505_310 Depth=2
	global_load_b32 v15, v94, s[0:1]
	s_or_b32 exec_lo, exec_lo, s11
	s_delay_alu instid0(SALU_CYCLE_1)
	s_mov_b32 s11, exec_lo
	v_cmpx_gt_u32_e64 s8, v52
	s_cbranch_execnz .LBB505_371
.LBB505_320:                            ;   in Loop: Header=BB505_310 Depth=2
	s_or_b32 exec_lo, exec_lo, s11
	s_delay_alu instid0(SALU_CYCLE_1)
	s_mov_b32 s11, exec_lo
	v_cmpx_gt_u32_e64 s8, v53
	s_cbranch_execz .LBB505_372
.LBB505_321:                            ;   in Loop: Header=BB505_310 Depth=2
	global_load_b32 v13, v96, s[0:1]
	s_or_b32 exec_lo, exec_lo, s11
	s_delay_alu instid0(SALU_CYCLE_1)
	s_mov_b32 s11, exec_lo
	v_cmpx_gt_u32_e64 s8, v54
	s_cbranch_execnz .LBB505_373
.LBB505_322:                            ;   in Loop: Header=BB505_310 Depth=2
	s_or_b32 exec_lo, exec_lo, s11
	s_delay_alu instid0(SALU_CYCLE_1)
	s_mov_b32 s11, exec_lo
	v_cmpx_gt_u32_e64 s8, v55
	s_cbranch_execz .LBB505_374
.LBB505_323:                            ;   in Loop: Header=BB505_310 Depth=2
	global_load_b32 v11, v98, s[0:1]
	s_or_b32 exec_lo, exec_lo, s11
	s_delay_alu instid0(SALU_CYCLE_1)
	s_mov_b32 s11, exec_lo
	v_cmpx_gt_u32_e64 s8, v56
	s_cbranch_execnz .LBB505_375
.LBB505_324:                            ;   in Loop: Header=BB505_310 Depth=2
	s_or_b32 exec_lo, exec_lo, s11
	s_delay_alu instid0(SALU_CYCLE_1)
	s_mov_b32 s11, exec_lo
	v_cmpx_gt_u32_e64 s8, v57
	s_cbranch_execz .LBB505_376
.LBB505_325:                            ;   in Loop: Header=BB505_310 Depth=2
	global_load_b32 v9, v100, s[0:1]
	s_or_b32 exec_lo, exec_lo, s11
	s_delay_alu instid0(SALU_CYCLE_1)
	s_mov_b32 s11, exec_lo
	v_cmpx_gt_u32_e64 s8, v58
	s_cbranch_execnz .LBB505_377
.LBB505_326:                            ;   in Loop: Header=BB505_310 Depth=2
	s_or_b32 exec_lo, exec_lo, s11
	s_delay_alu instid0(SALU_CYCLE_1)
	s_mov_b32 s11, exec_lo
	v_cmpx_gt_u32_e64 s8, v59
	s_cbranch_execz .LBB505_378
.LBB505_327:                            ;   in Loop: Header=BB505_310 Depth=2
	global_load_b32 v7, v102, s[0:1]
	s_or_b32 exec_lo, exec_lo, s11
	s_delay_alu instid0(SALU_CYCLE_1)
	s_mov_b32 s11, exec_lo
	v_cmpx_gt_u32_e64 s8, v60
	s_cbranch_execnz .LBB505_379
.LBB505_328:                            ;   in Loop: Header=BB505_310 Depth=2
	s_or_b32 exec_lo, exec_lo, s11
	s_delay_alu instid0(SALU_CYCLE_1)
	s_mov_b32 s11, exec_lo
	v_cmpx_gt_u32_e64 s8, v61
	s_cbranch_execz .LBB505_330
.LBB505_329:                            ;   in Loop: Header=BB505_310 Depth=2
	global_load_b32 v2, v104, s[0:1]
.LBB505_330:                            ;   in Loop: Header=BB505_310 Depth=2
	s_or_b32 exec_lo, exec_lo, s11
	s_delay_alu instid0(SALU_CYCLE_1)
	s_mov_b32 s12, exec_lo
                                        ; implicit-def: $sgpr11
                                        ; implicit-def: $vgpr4_vgpr5
	v_cmpx_gt_u32_e64 s8, v63
; %bb.331:                              ;   in Loop: Header=BB505_310 Depth=2
	v_add_co_u32 v4, s0, s0, v105
	s_delay_alu instid0(VALU_DEP_1)
	v_add_co_ci_u32_e64 v5, null, s1, 0, s0
	s_sub_i32 s11, s61, s34
	s_or_b32 s10, s10, exec_lo
                                        ; implicit-def: $vgpr20
; %bb.332:                              ;   in Loop: Header=BB505_310 Depth=2
	s_or_b32 exec_lo, exec_lo, s12
	s_waitcnt vmcnt(0)
	v_dual_mov_b32 v22, v19 :: v_dual_mov_b32 v23, v18
	v_dual_mov_b32 v24, v17 :: v_dual_mov_b32 v25, v16
	;; [unrolled: 1-line block ×8, first 2 shown]
	s_and_saveexec_b32 s0, s10
	s_cbranch_execz .LBB505_334
.LBB505_333:                            ;   in Loop: Header=BB505_310 Depth=2
	global_load_b32 v20, v[4:5], off
	s_waitcnt vmcnt(1)
	v_dual_mov_b32 v21, s11 :: v_dual_mov_b32 v2, v36
	v_dual_mov_b32 v6, v35 :: v_dual_mov_b32 v7, v34
	;; [unrolled: 1-line block ×8, first 2 shown]
.LBB505_334:                            ;   in Loop: Header=BB505_310 Depth=2
	s_or_b32 exec_lo, exec_lo, s0
	s_delay_alu instid0(SALU_CYCLE_1)
	s_mov_b32 s0, exec_lo
	v_cmpx_lt_u32_e64 v1, v21
	s_cbranch_execz .LBB505_350
; %bb.335:                              ;   in Loop: Header=BB505_310 Depth=2
	v_xor_b32_e32 v4, 0x7fffffff, v19
	v_lshlrev_b32_e32 v5, 2, v48
	s_delay_alu instid0(VALU_DEP_2) | instskip(NEXT) | instid1(VALU_DEP_1)
	v_lshrrev_b32_e32 v4, s38, v4
	v_and_b32_e32 v4, s39, v4
	s_delay_alu instid0(VALU_DEP_1) | instskip(SKIP_2) | instid1(SALU_CYCLE_1)
	v_lshl_or_b32 v4, v4, 4, v5
	ds_add_u32 v4, v92
	s_or_b32 exec_lo, exec_lo, s0
	s_mov_b32 s0, exec_lo
	v_cmpx_lt_u32_e64 v45, v21
	s_cbranch_execnz .LBB505_351
.LBB505_336:                            ;   in Loop: Header=BB505_310 Depth=2
	s_or_b32 exec_lo, exec_lo, s0
	s_delay_alu instid0(SALU_CYCLE_1)
	s_mov_b32 s0, exec_lo
	v_cmpx_lt_u32_e64 v46, v21
	s_cbranch_execz .LBB505_352
.LBB505_337:                            ;   in Loop: Header=BB505_310 Depth=2
	v_xor_b32_e32 v4, 0x7fffffff, v17
	v_lshlrev_b32_e32 v5, 2, v48
	s_delay_alu instid0(VALU_DEP_2) | instskip(NEXT) | instid1(VALU_DEP_1)
	v_lshrrev_b32_e32 v4, s38, v4
	v_and_b32_e32 v4, s39, v4
	s_delay_alu instid0(VALU_DEP_1) | instskip(SKIP_2) | instid1(SALU_CYCLE_1)
	v_lshl_or_b32 v4, v4, 4, v5
	ds_add_u32 v4, v92
	s_or_b32 exec_lo, exec_lo, s0
	s_mov_b32 s0, exec_lo
	v_cmpx_lt_u32_e64 v47, v21
	s_cbranch_execnz .LBB505_353
.LBB505_338:                            ;   in Loop: Header=BB505_310 Depth=2
	s_or_b32 exec_lo, exec_lo, s0
	s_delay_alu instid0(SALU_CYCLE_1)
	s_mov_b32 s0, exec_lo
	v_cmpx_lt_u32_e64 v51, v21
	s_cbranch_execz .LBB505_354
.LBB505_339:                            ;   in Loop: Header=BB505_310 Depth=2
	v_xor_b32_e32 v4, 0x7fffffff, v15
	v_lshlrev_b32_e32 v5, 2, v48
	s_delay_alu instid0(VALU_DEP_2) | instskip(NEXT) | instid1(VALU_DEP_1)
	v_lshrrev_b32_e32 v4, s38, v4
	v_and_b32_e32 v4, s39, v4
	s_delay_alu instid0(VALU_DEP_1) | instskip(SKIP_2) | instid1(SALU_CYCLE_1)
	v_lshl_or_b32 v4, v4, 4, v5
	ds_add_u32 v4, v92
	s_or_b32 exec_lo, exec_lo, s0
	s_mov_b32 s0, exec_lo
	v_cmpx_lt_u32_e64 v52, v21
	s_cbranch_execnz .LBB505_355
.LBB505_340:                            ;   in Loop: Header=BB505_310 Depth=2
	s_or_b32 exec_lo, exec_lo, s0
	s_delay_alu instid0(SALU_CYCLE_1)
	s_mov_b32 s0, exec_lo
	v_cmpx_lt_u32_e64 v53, v21
	s_cbranch_execz .LBB505_356
.LBB505_341:                            ;   in Loop: Header=BB505_310 Depth=2
	v_xor_b32_e32 v4, 0x7fffffff, v13
	v_lshlrev_b32_e32 v5, 2, v48
	s_delay_alu instid0(VALU_DEP_2) | instskip(NEXT) | instid1(VALU_DEP_1)
	v_lshrrev_b32_e32 v4, s38, v4
	v_and_b32_e32 v4, s39, v4
	s_delay_alu instid0(VALU_DEP_1) | instskip(SKIP_2) | instid1(SALU_CYCLE_1)
	v_lshl_or_b32 v4, v4, 4, v5
	ds_add_u32 v4, v92
	s_or_b32 exec_lo, exec_lo, s0
	s_mov_b32 s0, exec_lo
	v_cmpx_lt_u32_e64 v54, v21
	s_cbranch_execnz .LBB505_357
.LBB505_342:                            ;   in Loop: Header=BB505_310 Depth=2
	s_or_b32 exec_lo, exec_lo, s0
	s_delay_alu instid0(SALU_CYCLE_1)
	s_mov_b32 s0, exec_lo
	v_cmpx_lt_u32_e64 v55, v21
	s_cbranch_execz .LBB505_358
.LBB505_343:                            ;   in Loop: Header=BB505_310 Depth=2
	v_xor_b32_e32 v4, 0x7fffffff, v11
	v_lshlrev_b32_e32 v5, 2, v48
	s_delay_alu instid0(VALU_DEP_2) | instskip(NEXT) | instid1(VALU_DEP_1)
	v_lshrrev_b32_e32 v4, s38, v4
	v_and_b32_e32 v4, s39, v4
	s_delay_alu instid0(VALU_DEP_1) | instskip(SKIP_2) | instid1(SALU_CYCLE_1)
	v_lshl_or_b32 v4, v4, 4, v5
	ds_add_u32 v4, v92
	s_or_b32 exec_lo, exec_lo, s0
	s_mov_b32 s0, exec_lo
	v_cmpx_lt_u32_e64 v56, v21
	s_cbranch_execnz .LBB505_359
.LBB505_344:                            ;   in Loop: Header=BB505_310 Depth=2
	s_or_b32 exec_lo, exec_lo, s0
	s_delay_alu instid0(SALU_CYCLE_1)
	s_mov_b32 s0, exec_lo
	v_cmpx_lt_u32_e64 v57, v21
	s_cbranch_execz .LBB505_360
.LBB505_345:                            ;   in Loop: Header=BB505_310 Depth=2
	v_xor_b32_e32 v4, 0x7fffffff, v9
	v_lshlrev_b32_e32 v5, 2, v48
	s_delay_alu instid0(VALU_DEP_2) | instskip(NEXT) | instid1(VALU_DEP_1)
	v_lshrrev_b32_e32 v4, s38, v4
	v_and_b32_e32 v4, s39, v4
	s_delay_alu instid0(VALU_DEP_1) | instskip(SKIP_2) | instid1(SALU_CYCLE_1)
	v_lshl_or_b32 v4, v4, 4, v5
	ds_add_u32 v4, v92
	s_or_b32 exec_lo, exec_lo, s0
	s_mov_b32 s0, exec_lo
	v_cmpx_lt_u32_e64 v58, v21
	s_cbranch_execnz .LBB505_361
.LBB505_346:                            ;   in Loop: Header=BB505_310 Depth=2
	s_or_b32 exec_lo, exec_lo, s0
	s_delay_alu instid0(SALU_CYCLE_1)
	s_mov_b32 s0, exec_lo
	v_cmpx_lt_u32_e64 v59, v21
	s_cbranch_execz .LBB505_362
.LBB505_347:                            ;   in Loop: Header=BB505_310 Depth=2
	v_xor_b32_e32 v4, 0x7fffffff, v7
	v_lshlrev_b32_e32 v5, 2, v48
	s_delay_alu instid0(VALU_DEP_2) | instskip(NEXT) | instid1(VALU_DEP_1)
	v_lshrrev_b32_e32 v4, s38, v4
	v_and_b32_e32 v4, s39, v4
	s_delay_alu instid0(VALU_DEP_1) | instskip(SKIP_2) | instid1(SALU_CYCLE_1)
	v_lshl_or_b32 v4, v4, 4, v5
	ds_add_u32 v4, v92
	s_or_b32 exec_lo, exec_lo, s0
	s_mov_b32 s0, exec_lo
	v_cmpx_lt_u32_e64 v60, v21
	s_cbranch_execnz .LBB505_363
.LBB505_348:                            ;   in Loop: Header=BB505_310 Depth=2
	s_or_b32 exec_lo, exec_lo, s0
	s_delay_alu instid0(SALU_CYCLE_1)
	s_mov_b32 s0, exec_lo
	v_cmpx_lt_u32_e64 v61, v21
	s_cbranch_execz .LBB505_364
.LBB505_349:                            ;   in Loop: Header=BB505_310 Depth=2
	v_xor_b32_e32 v4, 0x7fffffff, v2
	v_lshlrev_b32_e32 v5, 2, v48
	s_delay_alu instid0(VALU_DEP_2) | instskip(NEXT) | instid1(VALU_DEP_1)
	v_lshrrev_b32_e32 v4, s38, v4
	v_and_b32_e32 v4, s39, v4
	s_delay_alu instid0(VALU_DEP_1) | instskip(SKIP_2) | instid1(SALU_CYCLE_1)
	v_lshl_or_b32 v4, v4, 4, v5
	ds_add_u32 v4, v92
	s_or_b32 exec_lo, exec_lo, s0
	s_mov_b32 s0, exec_lo
	v_cmpx_lt_u32_e64 v63, v21
	s_cbranch_execz .LBB505_309
	s_branch .LBB505_365
.LBB505_350:                            ;   in Loop: Header=BB505_310 Depth=2
	s_or_b32 exec_lo, exec_lo, s0
	s_delay_alu instid0(SALU_CYCLE_1)
	s_mov_b32 s0, exec_lo
	v_cmpx_lt_u32_e64 v45, v21
	s_cbranch_execz .LBB505_336
.LBB505_351:                            ;   in Loop: Header=BB505_310 Depth=2
	v_xor_b32_e32 v4, 0x7fffffff, v18
	v_lshlrev_b32_e32 v5, 2, v48
	s_delay_alu instid0(VALU_DEP_2) | instskip(NEXT) | instid1(VALU_DEP_1)
	v_lshrrev_b32_e32 v4, s38, v4
	v_and_b32_e32 v4, s39, v4
	s_delay_alu instid0(VALU_DEP_1) | instskip(SKIP_2) | instid1(SALU_CYCLE_1)
	v_lshl_or_b32 v4, v4, 4, v5
	ds_add_u32 v4, v92
	s_or_b32 exec_lo, exec_lo, s0
	s_mov_b32 s0, exec_lo
	v_cmpx_lt_u32_e64 v46, v21
	s_cbranch_execnz .LBB505_337
.LBB505_352:                            ;   in Loop: Header=BB505_310 Depth=2
	s_or_b32 exec_lo, exec_lo, s0
	s_delay_alu instid0(SALU_CYCLE_1)
	s_mov_b32 s0, exec_lo
	v_cmpx_lt_u32_e64 v47, v21
	s_cbranch_execz .LBB505_338
.LBB505_353:                            ;   in Loop: Header=BB505_310 Depth=2
	v_xor_b32_e32 v4, 0x7fffffff, v16
	v_lshlrev_b32_e32 v5, 2, v48
	s_delay_alu instid0(VALU_DEP_2) | instskip(NEXT) | instid1(VALU_DEP_1)
	v_lshrrev_b32_e32 v4, s38, v4
	v_and_b32_e32 v4, s39, v4
	s_delay_alu instid0(VALU_DEP_1) | instskip(SKIP_2) | instid1(SALU_CYCLE_1)
	v_lshl_or_b32 v4, v4, 4, v5
	ds_add_u32 v4, v92
	s_or_b32 exec_lo, exec_lo, s0
	s_mov_b32 s0, exec_lo
	v_cmpx_lt_u32_e64 v51, v21
	s_cbranch_execnz .LBB505_339
.LBB505_354:                            ;   in Loop: Header=BB505_310 Depth=2
	s_or_b32 exec_lo, exec_lo, s0
	s_delay_alu instid0(SALU_CYCLE_1)
	s_mov_b32 s0, exec_lo
	v_cmpx_lt_u32_e64 v52, v21
	s_cbranch_execz .LBB505_340
.LBB505_355:                            ;   in Loop: Header=BB505_310 Depth=2
	v_xor_b32_e32 v4, 0x7fffffff, v14
	v_lshlrev_b32_e32 v5, 2, v48
	s_delay_alu instid0(VALU_DEP_2) | instskip(NEXT) | instid1(VALU_DEP_1)
	v_lshrrev_b32_e32 v4, s38, v4
	v_and_b32_e32 v4, s39, v4
	s_delay_alu instid0(VALU_DEP_1) | instskip(SKIP_2) | instid1(SALU_CYCLE_1)
	v_lshl_or_b32 v4, v4, 4, v5
	ds_add_u32 v4, v92
	s_or_b32 exec_lo, exec_lo, s0
	s_mov_b32 s0, exec_lo
	v_cmpx_lt_u32_e64 v53, v21
	s_cbranch_execnz .LBB505_341
.LBB505_356:                            ;   in Loop: Header=BB505_310 Depth=2
	s_or_b32 exec_lo, exec_lo, s0
	s_delay_alu instid0(SALU_CYCLE_1)
	s_mov_b32 s0, exec_lo
	v_cmpx_lt_u32_e64 v54, v21
	s_cbranch_execz .LBB505_342
.LBB505_357:                            ;   in Loop: Header=BB505_310 Depth=2
	v_xor_b32_e32 v4, 0x7fffffff, v12
	v_lshlrev_b32_e32 v5, 2, v48
	s_delay_alu instid0(VALU_DEP_2) | instskip(NEXT) | instid1(VALU_DEP_1)
	v_lshrrev_b32_e32 v4, s38, v4
	v_and_b32_e32 v4, s39, v4
	s_delay_alu instid0(VALU_DEP_1) | instskip(SKIP_2) | instid1(SALU_CYCLE_1)
	v_lshl_or_b32 v4, v4, 4, v5
	ds_add_u32 v4, v92
	s_or_b32 exec_lo, exec_lo, s0
	s_mov_b32 s0, exec_lo
	v_cmpx_lt_u32_e64 v55, v21
	s_cbranch_execnz .LBB505_343
.LBB505_358:                            ;   in Loop: Header=BB505_310 Depth=2
	s_or_b32 exec_lo, exec_lo, s0
	s_delay_alu instid0(SALU_CYCLE_1)
	s_mov_b32 s0, exec_lo
	v_cmpx_lt_u32_e64 v56, v21
	s_cbranch_execz .LBB505_344
.LBB505_359:                            ;   in Loop: Header=BB505_310 Depth=2
	v_xor_b32_e32 v4, 0x7fffffff, v10
	v_lshlrev_b32_e32 v5, 2, v48
	s_delay_alu instid0(VALU_DEP_2) | instskip(NEXT) | instid1(VALU_DEP_1)
	v_lshrrev_b32_e32 v4, s38, v4
	v_and_b32_e32 v4, s39, v4
	s_delay_alu instid0(VALU_DEP_1) | instskip(SKIP_2) | instid1(SALU_CYCLE_1)
	v_lshl_or_b32 v4, v4, 4, v5
	ds_add_u32 v4, v92
	s_or_b32 exec_lo, exec_lo, s0
	s_mov_b32 s0, exec_lo
	v_cmpx_lt_u32_e64 v57, v21
	s_cbranch_execnz .LBB505_345
.LBB505_360:                            ;   in Loop: Header=BB505_310 Depth=2
	s_or_b32 exec_lo, exec_lo, s0
	s_delay_alu instid0(SALU_CYCLE_1)
	s_mov_b32 s0, exec_lo
	v_cmpx_lt_u32_e64 v58, v21
	s_cbranch_execz .LBB505_346
.LBB505_361:                            ;   in Loop: Header=BB505_310 Depth=2
	v_xor_b32_e32 v4, 0x7fffffff, v8
	v_lshlrev_b32_e32 v5, 2, v48
	s_delay_alu instid0(VALU_DEP_2) | instskip(NEXT) | instid1(VALU_DEP_1)
	v_lshrrev_b32_e32 v4, s38, v4
	v_and_b32_e32 v4, s39, v4
	s_delay_alu instid0(VALU_DEP_1) | instskip(SKIP_2) | instid1(SALU_CYCLE_1)
	v_lshl_or_b32 v4, v4, 4, v5
	ds_add_u32 v4, v92
	s_or_b32 exec_lo, exec_lo, s0
	s_mov_b32 s0, exec_lo
	v_cmpx_lt_u32_e64 v59, v21
	s_cbranch_execnz .LBB505_347
.LBB505_362:                            ;   in Loop: Header=BB505_310 Depth=2
	s_or_b32 exec_lo, exec_lo, s0
	s_delay_alu instid0(SALU_CYCLE_1)
	s_mov_b32 s0, exec_lo
	v_cmpx_lt_u32_e64 v60, v21
	s_cbranch_execz .LBB505_348
.LBB505_363:                            ;   in Loop: Header=BB505_310 Depth=2
	v_xor_b32_e32 v4, 0x7fffffff, v6
	v_lshlrev_b32_e32 v5, 2, v48
	s_delay_alu instid0(VALU_DEP_2) | instskip(NEXT) | instid1(VALU_DEP_1)
	v_lshrrev_b32_e32 v4, s38, v4
	v_and_b32_e32 v4, s39, v4
	s_delay_alu instid0(VALU_DEP_1) | instskip(SKIP_2) | instid1(SALU_CYCLE_1)
	v_lshl_or_b32 v4, v4, 4, v5
	ds_add_u32 v4, v92
	s_or_b32 exec_lo, exec_lo, s0
	s_mov_b32 s0, exec_lo
	v_cmpx_lt_u32_e64 v61, v21
	s_cbranch_execnz .LBB505_349
.LBB505_364:                            ;   in Loop: Header=BB505_310 Depth=2
	s_or_b32 exec_lo, exec_lo, s0
	s_delay_alu instid0(SALU_CYCLE_1)
	s_mov_b32 s0, exec_lo
	v_cmpx_lt_u32_e64 v63, v21
	s_cbranch_execz .LBB505_309
.LBB505_365:                            ;   in Loop: Header=BB505_310 Depth=2
	s_waitcnt vmcnt(0)
	v_xor_b32_e32 v4, 0x7fffffff, v20
	v_lshlrev_b32_e32 v5, 2, v48
	s_delay_alu instid0(VALU_DEP_2) | instskip(NEXT) | instid1(VALU_DEP_1)
	v_lshrrev_b32_e32 v4, s38, v4
	v_and_b32_e32 v4, s39, v4
	s_delay_alu instid0(VALU_DEP_1)
	v_lshl_or_b32 v4, v4, 4, v5
	ds_add_u32 v4, v92
	s_branch .LBB505_309
.LBB505_366:                            ;   in Loop: Header=BB505_310 Depth=2
	s_or_b32 exec_lo, exec_lo, s11
	s_delay_alu instid0(SALU_CYCLE_1)
	s_mov_b32 s11, exec_lo
	v_cmpx_gt_u32_e64 s8, v45
	s_cbranch_execz .LBB505_316
.LBB505_367:                            ;   in Loop: Header=BB505_310 Depth=2
	global_load_b32 v18, v93, s[0:1] offset:1024
	s_or_b32 exec_lo, exec_lo, s11
	s_delay_alu instid0(SALU_CYCLE_1)
	s_mov_b32 s11, exec_lo
	v_cmpx_gt_u32_e64 s8, v46
	s_cbranch_execnz .LBB505_317
.LBB505_368:                            ;   in Loop: Header=BB505_310 Depth=2
	s_or_b32 exec_lo, exec_lo, s11
	s_delay_alu instid0(SALU_CYCLE_1)
	s_mov_b32 s11, exec_lo
	v_cmpx_gt_u32_e64 s8, v47
	s_cbranch_execz .LBB505_318
.LBB505_369:                            ;   in Loop: Header=BB505_310 Depth=2
	global_load_b32 v16, v93, s[0:1] offset:3072
	s_or_b32 exec_lo, exec_lo, s11
	s_delay_alu instid0(SALU_CYCLE_1)
	s_mov_b32 s11, exec_lo
	v_cmpx_gt_u32_e64 s8, v51
	s_cbranch_execnz .LBB505_319
.LBB505_370:                            ;   in Loop: Header=BB505_310 Depth=2
	s_or_b32 exec_lo, exec_lo, s11
	s_delay_alu instid0(SALU_CYCLE_1)
	s_mov_b32 s11, exec_lo
	v_cmpx_gt_u32_e64 s8, v52
	s_cbranch_execz .LBB505_320
.LBB505_371:                            ;   in Loop: Header=BB505_310 Depth=2
	global_load_b32 v14, v95, s[0:1]
	s_or_b32 exec_lo, exec_lo, s11
	s_delay_alu instid0(SALU_CYCLE_1)
	s_mov_b32 s11, exec_lo
	v_cmpx_gt_u32_e64 s8, v53
	s_cbranch_execnz .LBB505_321
.LBB505_372:                            ;   in Loop: Header=BB505_310 Depth=2
	s_or_b32 exec_lo, exec_lo, s11
	s_delay_alu instid0(SALU_CYCLE_1)
	s_mov_b32 s11, exec_lo
	v_cmpx_gt_u32_e64 s8, v54
	s_cbranch_execz .LBB505_322
.LBB505_373:                            ;   in Loop: Header=BB505_310 Depth=2
	global_load_b32 v12, v97, s[0:1]
	s_or_b32 exec_lo, exec_lo, s11
	s_delay_alu instid0(SALU_CYCLE_1)
	s_mov_b32 s11, exec_lo
	v_cmpx_gt_u32_e64 s8, v55
	s_cbranch_execnz .LBB505_323
.LBB505_374:                            ;   in Loop: Header=BB505_310 Depth=2
	s_or_b32 exec_lo, exec_lo, s11
	s_delay_alu instid0(SALU_CYCLE_1)
	s_mov_b32 s11, exec_lo
	v_cmpx_gt_u32_e64 s8, v56
	s_cbranch_execz .LBB505_324
.LBB505_375:                            ;   in Loop: Header=BB505_310 Depth=2
	global_load_b32 v10, v99, s[0:1]
	s_or_b32 exec_lo, exec_lo, s11
	s_delay_alu instid0(SALU_CYCLE_1)
	s_mov_b32 s11, exec_lo
	v_cmpx_gt_u32_e64 s8, v57
	s_cbranch_execnz .LBB505_325
.LBB505_376:                            ;   in Loop: Header=BB505_310 Depth=2
	s_or_b32 exec_lo, exec_lo, s11
	s_delay_alu instid0(SALU_CYCLE_1)
	s_mov_b32 s11, exec_lo
	v_cmpx_gt_u32_e64 s8, v58
	s_cbranch_execz .LBB505_326
.LBB505_377:                            ;   in Loop: Header=BB505_310 Depth=2
	global_load_b32 v8, v101, s[0:1]
	s_or_b32 exec_lo, exec_lo, s11
	s_delay_alu instid0(SALU_CYCLE_1)
	s_mov_b32 s11, exec_lo
	v_cmpx_gt_u32_e64 s8, v59
	s_cbranch_execnz .LBB505_327
.LBB505_378:                            ;   in Loop: Header=BB505_310 Depth=2
	s_or_b32 exec_lo, exec_lo, s11
	s_delay_alu instid0(SALU_CYCLE_1)
	s_mov_b32 s11, exec_lo
	v_cmpx_gt_u32_e64 s8, v60
	s_cbranch_execz .LBB505_328
.LBB505_379:                            ;   in Loop: Header=BB505_310 Depth=2
	global_load_b32 v6, v103, s[0:1]
	s_or_b32 exec_lo, exec_lo, s11
	s_delay_alu instid0(SALU_CYCLE_1)
	s_mov_b32 s11, exec_lo
	v_cmpx_gt_u32_e64 s8, v61
	s_cbranch_execz .LBB505_330
	s_branch .LBB505_329
.LBB505_380:                            ;   in Loop: Header=BB505_12 Depth=1
	v_mov_b32_e32 v2, 0
	s_waitcnt vmcnt(0) lgkmcnt(0)
	s_barrier
	buffer_gl0_inv
	s_and_saveexec_b32 s0, s2
	s_cbranch_execz .LBB505_382
; %bb.381:                              ;   in Loop: Header=BB505_12 Depth=1
	ds_load_2addr_b64 v[4:7], v64 offset1:1
	s_waitcnt lgkmcnt(0)
	v_add_nc_u32_e32 v2, v5, v4
	s_delay_alu instid0(VALU_DEP_1)
	v_add3_u32 v2, v2, v6, v7
.LBB505_382:                            ;   in Loop: Header=BB505_12 Depth=1
	s_or_b32 exec_lo, exec_lo, s0
	v_and_b32_e32 v4, 15, v106
	s_delay_alu instid0(VALU_DEP_2) | instskip(SKIP_1) | instid1(VALU_DEP_3)
	v_mov_b32_dpp v5, v2 row_shr:1 row_mask:0xf bank_mask:0xf
	v_and_b32_e32 v6, 16, v106
	v_cmp_eq_u32_e64 s0, 0, v4
	v_cmp_lt_u32_e64 s1, 1, v4
	v_cmp_lt_u32_e64 s8, 3, v4
	;; [unrolled: 1-line block ×3, first 2 shown]
	v_cmp_eq_u32_e64 s10, 0, v6
	v_cndmask_b32_e64 v5, v5, 0, s0
	s_delay_alu instid0(VALU_DEP_1) | instskip(NEXT) | instid1(VALU_DEP_1)
	v_add_nc_u32_e32 v2, v5, v2
	v_mov_b32_dpp v5, v2 row_shr:2 row_mask:0xf bank_mask:0xf
	s_delay_alu instid0(VALU_DEP_1) | instskip(NEXT) | instid1(VALU_DEP_1)
	v_cndmask_b32_e64 v5, 0, v5, s1
	v_add_nc_u32_e32 v2, v2, v5
	s_delay_alu instid0(VALU_DEP_1) | instskip(NEXT) | instid1(VALU_DEP_1)
	v_mov_b32_dpp v5, v2 row_shr:4 row_mask:0xf bank_mask:0xf
	v_cndmask_b32_e64 v5, 0, v5, s8
	s_delay_alu instid0(VALU_DEP_1) | instskip(NEXT) | instid1(VALU_DEP_1)
	v_add_nc_u32_e32 v2, v2, v5
	v_mov_b32_dpp v5, v2 row_shr:8 row_mask:0xf bank_mask:0xf
	s_delay_alu instid0(VALU_DEP_1) | instskip(SKIP_1) | instid1(VALU_DEP_2)
	v_cndmask_b32_e64 v4, 0, v5, s9
	v_bfe_i32 v5, v106, 4, 1
	v_add_nc_u32_e32 v2, v2, v4
	ds_swizzle_b32 v4, v2 offset:swizzle(BROADCAST,32,15)
	s_waitcnt lgkmcnt(0)
	v_and_b32_e32 v4, v5, v4
	s_delay_alu instid0(VALU_DEP_1)
	v_add_nc_u32_e32 v4, v2, v4
	s_and_saveexec_b32 s11, s3
	s_cbranch_execz .LBB505_384
; %bb.383:                              ;   in Loop: Header=BB505_12 Depth=1
	ds_store_b32 v65, v4
.LBB505_384:                            ;   in Loop: Header=BB505_12 Depth=1
	s_or_b32 exec_lo, exec_lo, s11
	v_and_b32_e32 v2, 7, v106
	s_waitcnt lgkmcnt(0)
	s_barrier
	buffer_gl0_inv
	s_and_saveexec_b32 s11, s4
	s_cbranch_execz .LBB505_386
; %bb.385:                              ;   in Loop: Header=BB505_12 Depth=1
	ds_load_b32 v5, v66
	v_cmp_ne_u32_e32 vcc_lo, 0, v2
	s_waitcnt lgkmcnt(0)
	v_mov_b32_dpp v6, v5 row_shr:1 row_mask:0xf bank_mask:0xf
	s_delay_alu instid0(VALU_DEP_1) | instskip(SKIP_1) | instid1(VALU_DEP_2)
	v_cndmask_b32_e32 v6, 0, v6, vcc_lo
	v_cmp_lt_u32_e32 vcc_lo, 1, v2
	v_add_nc_u32_e32 v5, v6, v5
	s_delay_alu instid0(VALU_DEP_1) | instskip(NEXT) | instid1(VALU_DEP_1)
	v_mov_b32_dpp v6, v5 row_shr:2 row_mask:0xf bank_mask:0xf
	v_cndmask_b32_e32 v6, 0, v6, vcc_lo
	v_cmp_lt_u32_e32 vcc_lo, 3, v2
	s_delay_alu instid0(VALU_DEP_2) | instskip(NEXT) | instid1(VALU_DEP_1)
	v_add_nc_u32_e32 v5, v5, v6
	v_mov_b32_dpp v6, v5 row_shr:4 row_mask:0xf bank_mask:0xf
	s_delay_alu instid0(VALU_DEP_1) | instskip(NEXT) | instid1(VALU_DEP_1)
	v_cndmask_b32_e32 v6, 0, v6, vcc_lo
	v_add_nc_u32_e32 v5, v5, v6
	ds_store_b32 v66, v5
.LBB505_386:                            ;   in Loop: Header=BB505_12 Depth=1
	s_or_b32 exec_lo, exec_lo, s11
	v_mov_b32_e32 v5, 0
	s_waitcnt lgkmcnt(0)
	s_barrier
	buffer_gl0_inv
	s_and_saveexec_b32 s11, s5
	s_cbranch_execz .LBB505_388
; %bb.387:                              ;   in Loop: Header=BB505_12 Depth=1
	ds_load_b32 v5, v67
.LBB505_388:                            ;   in Loop: Header=BB505_12 Depth=1
	s_or_b32 exec_lo, exec_lo, s11
	v_add_nc_u32_e32 v6, -1, v106
	s_waitcnt lgkmcnt(0)
	v_add_nc_u32_e32 v4, v5, v4
	v_cmp_eq_u32_e64 s11, 0, v106
	s_barrier
	v_cmp_gt_i32_e32 vcc_lo, 0, v6
	buffer_gl0_inv
	v_cndmask_b32_e32 v6, v6, v106, vcc_lo
	s_delay_alu instid0(VALU_DEP_1)
	v_lshlrev_b32_e32 v107, 2, v6
	ds_bpermute_b32 v4, v107, v4
	s_and_saveexec_b32 s12, s2
	s_cbranch_execz .LBB505_390
; %bb.389:                              ;   in Loop: Header=BB505_12 Depth=1
	s_waitcnt lgkmcnt(0)
	v_cndmask_b32_e64 v4, v4, v5, s11
	s_delay_alu instid0(VALU_DEP_1)
	v_add_nc_u32_e32 v4, s60, v4
	ds_store_b32 v44, v4
.LBB505_390:                            ;   in Loop: Header=BB505_12 Depth=1
	s_or_b32 exec_lo, exec_lo, s12
	s_load_b64 s[12:13], s[36:37], 0x0
	v_lshlrev_b32_e32 v5, 3, v106
	v_cmp_lt_u32_e64 s14, 3, v2
	v_or_b32_e32 v108, v106, v68
	s_mov_b32 s40, s62
	s_mov_b32 s34, s60
	v_add_co_u32 v109, vcc_lo, v82, v5
	v_add_co_ci_u32_e32 v110, vcc_lo, 0, v83, vcc_lo
	v_or_b32_e32 v111, 32, v108
	v_or_b32_e32 v112, 64, v108
	;; [unrolled: 1-line block ×10, first 2 shown]
	s_waitcnt lgkmcnt(0)
	s_cmp_lt_u32 s15, s13
	v_or_b32_e32 v121, 0x160, v108
	s_cselect_b32 s13, 14, 20
	v_or_b32_e32 v122, 0x180, v108
	s_add_u32 s16, s36, s13
	s_addc_u32 s17, s37, 0
	s_cmp_lt_u32 s26, s12
	global_load_u16 v4, v3, s[16:17]
	s_cselect_b32 s12, 12, 18
	v_or_b32_e32 v123, 0x1a0, v108
	s_add_u32 s12, s36, s12
	s_addc_u32 s13, s37, 0
	v_or_b32_e32 v124, 0x1c0, v108
	global_load_u16 v6, v3, s[12:13]
	v_cmp_eq_u32_e64 s12, 0, v2
	v_cmp_lt_u32_e64 s13, 1, v2
	v_lshlrev_b32_e32 v2, 2, v106
	v_or_b32_e32 v125, 0x1e0, v108
                                        ; implicit-def: $vgpr8_vgpr9
                                        ; implicit-def: $vgpr10_vgpr11
                                        ; implicit-def: $vgpr12_vgpr13
                                        ; implicit-def: $vgpr14_vgpr15
                                        ; implicit-def: $vgpr16_vgpr17
                                        ; implicit-def: $vgpr18_vgpr19
                                        ; implicit-def: $vgpr20_vgpr21
                                        ; implicit-def: $vgpr22_vgpr23
                                        ; implicit-def: $vgpr24_vgpr25
                                        ; implicit-def: $vgpr26_vgpr27
                                        ; implicit-def: $vgpr28_vgpr29
                                        ; implicit-def: $vgpr30_vgpr31
                                        ; implicit-def: $vgpr32_vgpr33
                                        ; implicit-def: $vgpr34_vgpr35
                                        ; implicit-def: $vgpr131
                                        ; implicit-def: $vgpr132
                                        ; implicit-def: $vgpr133
                                        ; implicit-def: $vgpr134
                                        ; implicit-def: $vgpr135
                                        ; implicit-def: $vgpr136
                                        ; implicit-def: $vgpr137
                                        ; implicit-def: $vgpr138
                                        ; implicit-def: $vgpr139
                                        ; implicit-def: $vgpr140
                                        ; implicit-def: $vgpr141
                                        ; implicit-def: $vgpr142
                                        ; implicit-def: $vgpr143
                                        ; implicit-def: $vgpr144
                                        ; implicit-def: $vgpr145
                                        ; implicit-def: $vgpr146
	s_delay_alu instid0(VALU_DEP_2) | instskip(SKIP_1) | instid1(VALU_DEP_2)
	v_add_co_u32 v126, vcc_lo, v84, v2
	v_add_co_ci_u32_e32 v127, vcc_lo, 0, v85, vcc_lo
	v_add_co_u32 v129, vcc_lo, 0x780, v126
	s_delay_alu instid0(VALU_DEP_2) | instskip(SKIP_3) | instid1(VALU_DEP_1)
	v_add_co_ci_u32_e32 v130, vcc_lo, 0, v127, vcc_lo
	s_waitcnt vmcnt(1)
	v_mad_u32_u24 v7, v69, v4, v0
	s_waitcnt vmcnt(0)
	v_mad_u64_u32 v[4:5], null, v7, v6, v[1:2]
                                        ; implicit-def: $vgpr6_vgpr7
	s_delay_alu instid0(VALU_DEP_1)
	v_lshrrev_b32_e32 v128, 5, v4
                                        ; implicit-def: $vgpr4_vgpr5
	s_branch .LBB505_392
.LBB505_391:                            ;   in Loop: Header=BB505_392 Depth=2
	s_or_b32 exec_lo, exec_lo, s16
	s_addk_i32 s40, 0xf000
	s_cmp_lt_u32 s41, s61
	s_mov_b32 s34, s41
	s_cbranch_scc0 .LBB505_600
.LBB505_392:                            ;   Parent Loop BB505_12 Depth=1
                                        ; =>  This Inner Loop Header: Depth=2
	s_add_i32 s41, s34, 0x1000
	s_delay_alu instid0(SALU_CYCLE_1)
	s_cmp_gt_u32 s41, s61
	s_cbranch_scc1 .LBB505_395
; %bb.393:                              ;   in Loop: Header=BB505_392 Depth=2
	s_mov_b32 s17, 0
	s_mov_b32 s16, s34
	s_delay_alu instid0(SALU_CYCLE_1) | instskip(NEXT) | instid1(SALU_CYCLE_1)
	s_lshl_b64 s[18:19], s[16:17], 2
	v_add_co_u32 v36, vcc_lo, v126, s18
	v_add_co_ci_u32_e32 v37, vcc_lo, s19, v127, vcc_lo
	s_mov_b32 s19, -1
	s_movk_i32 s18, 0x1000
	s_clause 0xe
	global_load_b32 v2, v[36:37], off
	global_load_b32 v148, v[36:37], off offset:128
	global_load_b32 v151, v[36:37], off offset:256
	global_load_b32 v155, v[36:37], off offset:384
	global_load_b32 v159, v[36:37], off offset:512
	global_load_b32 v163, v[36:37], off offset:640
	global_load_b32 v167, v[36:37], off offset:768
	global_load_b32 v172, v[36:37], off offset:896
	global_load_b32 v171, v[36:37], off offset:1024
	global_load_b32 v43, v[36:37], off offset:1152
	global_load_b32 v42, v[36:37], off offset:1280
	global_load_b32 v41, v[36:37], off offset:1408
	global_load_b32 v40, v[36:37], off offset:1536
	global_load_b32 v39, v[36:37], off offset:1664
	global_load_b32 v38, v[36:37], off offset:1792
	s_cbranch_execz .LBB505_396
; %bb.394:                              ;   in Loop: Header=BB505_392 Depth=2
                                        ; implicit-def: $sgpr20
	v_dual_mov_b32 v36, s20 :: v_dual_mov_b32 v147, s40
	s_and_saveexec_b32 s20, s19
	s_cbranch_execnz .LBB505_427
	s_branch .LBB505_428
.LBB505_395:                            ;   in Loop: Header=BB505_392 Depth=2
	s_mov_b32 s17, -1
	s_mov_b32 s19, 0
                                        ; implicit-def: $sgpr18
                                        ; implicit-def: $vgpr2
                                        ; implicit-def: $vgpr148
                                        ; implicit-def: $vgpr151
                                        ; implicit-def: $vgpr155
                                        ; implicit-def: $vgpr159
                                        ; implicit-def: $vgpr163
                                        ; implicit-def: $vgpr167
                                        ; implicit-def: $vgpr172
                                        ; implicit-def: $vgpr171
                                        ; implicit-def: $vgpr43
                                        ; implicit-def: $vgpr42
                                        ; implicit-def: $vgpr41
                                        ; implicit-def: $vgpr40
                                        ; implicit-def: $vgpr39
                                        ; implicit-def: $vgpr38
.LBB505_396:                            ;   in Loop: Header=BB505_392 Depth=2
	s_lshl_b64 s[16:17], s[34:35], 2
	s_waitcnt vmcnt(13)
	v_bfrev_b32_e32 v148, 1
	v_add_co_u32 v36, vcc_lo, v126, s16
	v_add_co_ci_u32_e32 v37, vcc_lo, s17, v127, vcc_lo
	v_bfrev_b32_e32 v2, 1
	s_mov_b32 s16, exec_lo
	v_cmpx_gt_u32_e64 s40, v108
	s_cbranch_execz .LBB505_398
; %bb.397:                              ;   in Loop: Header=BB505_392 Depth=2
	global_load_b32 v2, v[36:37], off
.LBB505_398:                            ;   in Loop: Header=BB505_392 Depth=2
	s_or_b32 exec_lo, exec_lo, s16
	s_delay_alu instid0(SALU_CYCLE_1)
	s_mov_b32 s16, exec_lo
	v_cmpx_gt_u32_e64 s40, v111
	s_cbranch_execz .LBB505_400
; %bb.399:                              ;   in Loop: Header=BB505_392 Depth=2
	global_load_b32 v148, v[36:37], off offset:128
.LBB505_400:                            ;   in Loop: Header=BB505_392 Depth=2
	s_or_b32 exec_lo, exec_lo, s16
	s_waitcnt vmcnt(11)
	v_bfrev_b32_e32 v155, 1
	v_bfrev_b32_e32 v151, 1
	s_mov_b32 s16, exec_lo
	v_cmpx_gt_u32_e64 s40, v112
	s_cbranch_execz .LBB505_402
; %bb.401:                              ;   in Loop: Header=BB505_392 Depth=2
	global_load_b32 v151, v[36:37], off offset:256
.LBB505_402:                            ;   in Loop: Header=BB505_392 Depth=2
	s_or_b32 exec_lo, exec_lo, s16
	s_delay_alu instid0(SALU_CYCLE_1)
	s_mov_b32 s16, exec_lo
	v_cmpx_gt_u32_e64 s40, v113
	s_cbranch_execz .LBB505_404
; %bb.403:                              ;   in Loop: Header=BB505_392 Depth=2
	global_load_b32 v155, v[36:37], off offset:384
.LBB505_404:                            ;   in Loop: Header=BB505_392 Depth=2
	s_or_b32 exec_lo, exec_lo, s16
	s_waitcnt vmcnt(9)
	v_bfrev_b32_e32 v163, 1
	v_bfrev_b32_e32 v159, 1
	s_mov_b32 s16, exec_lo
	v_cmpx_gt_u32_e64 s40, v114
	s_cbranch_execz .LBB505_406
; %bb.405:                              ;   in Loop: Header=BB505_392 Depth=2
	global_load_b32 v159, v[36:37], off offset:512
.LBB505_406:                            ;   in Loop: Header=BB505_392 Depth=2
	;; [unrolled: 18-line block ×6, first 2 shown]
	s_or_b32 exec_lo, exec_lo, s16
	s_delay_alu instid0(SALU_CYCLE_1)
	s_mov_b32 s16, exec_lo
	v_cmpx_gt_u32_e64 s40, v123
	s_cbranch_execz .LBB505_424
; %bb.423:                              ;   in Loop: Header=BB505_392 Depth=2
	global_load_b32 v39, v[36:37], off offset:1664
.LBB505_424:                            ;   in Loop: Header=BB505_392 Depth=2
	s_or_b32 exec_lo, exec_lo, s16
	s_waitcnt vmcnt(0)
	v_bfrev_b32_e32 v38, 1
	s_mov_b32 s16, exec_lo
	v_cmpx_gt_u32_e64 s40, v124
	s_cbranch_execz .LBB505_426
; %bb.425:                              ;   in Loop: Header=BB505_392 Depth=2
	global_load_b32 v38, v[36:37], off offset:1792
.LBB505_426:                            ;   in Loop: Header=BB505_392 Depth=2
	s_or_b32 exec_lo, exec_lo, s16
	v_cmp_gt_u32_e64 s19, s40, v125
	s_sub_i32 s18, s61, s34
	s_brev_b32 s20, 1
	s_mov_b64 s[16:17], s[34:35]
	v_dual_mov_b32 v36, s20 :: v_dual_mov_b32 v147, s40
	s_and_saveexec_b32 s20, s19
	s_cbranch_execz .LBB505_428
.LBB505_427:                            ;   in Loop: Header=BB505_392 Depth=2
	s_lshl_b64 s[16:17], s[16:17], 2
	v_mov_b32_e32 v147, s18
	v_add_co_u32 v36, vcc_lo, v129, s16
	v_add_co_ci_u32_e32 v37, vcc_lo, s17, v130, vcc_lo
	global_load_b32 v36, v[36:37], off
.LBB505_428:                            ;   in Loop: Header=BB505_392 Depth=2
	s_or_b32 exec_lo, exec_lo, s20
	s_waitcnt vmcnt(14)
	v_xor_b32_e32 v2, 0x7fffffff, v2
	ds_store_b32 v70, v3 offset:1056
	ds_store_2addr_b32 v71, v3, v3 offset0:1 offset1:2
	ds_store_2addr_b32 v71, v3, v3 offset0:3 offset1:4
	;; [unrolled: 1-line block ×4, first 2 shown]
	s_waitcnt vmcnt(0) lgkmcnt(0)
	s_barrier
	v_lshrrev_b32_e32 v37, s38, v2
	buffer_gl0_inv
	; wave barrier
	v_and_b32_e32 v150, s39, v37
	s_delay_alu instid0(VALU_DEP_1)
	v_and_b32_e32 v37, 1, v150
	v_lshlrev_b32_e32 v149, 30, v150
	v_lshlrev_b32_e32 v152, 29, v150
	;; [unrolled: 1-line block ×4, first 2 shown]
	v_add_co_u32 v37, s16, v37, -1
	s_delay_alu instid0(VALU_DEP_1)
	v_cndmask_b32_e64 v154, 0, 1, s16
	v_not_b32_e32 v160, v149
	v_cmp_gt_i32_e64 s16, 0, v149
	v_not_b32_e32 v149, v152
	v_lshlrev_b32_e32 v157, 26, v150
	v_cmp_ne_u32_e32 vcc_lo, 0, v154
	v_ashrrev_i32_e32 v160, 31, v160
	v_lshlrev_b32_e32 v158, 25, v150
	v_ashrrev_i32_e32 v149, 31, v149
	v_lshlrev_b32_e32 v154, 24, v150
	v_xor_b32_e32 v37, vcc_lo, v37
	v_cmp_gt_i32_e32 vcc_lo, 0, v152
	v_not_b32_e32 v152, v153
	v_xor_b32_e32 v160, s16, v160
	v_cmp_gt_i32_e64 s16, 0, v153
	v_and_b32_e32 v37, exec_lo, v37
	v_not_b32_e32 v153, v156
	v_ashrrev_i32_e32 v152, 31, v152
	v_xor_b32_e32 v149, vcc_lo, v149
	v_cmp_gt_i32_e32 vcc_lo, 0, v156
	v_and_b32_e32 v37, v37, v160
	v_not_b32_e32 v156, v157
	v_ashrrev_i32_e32 v153, 31, v153
	v_xor_b32_e32 v152, s16, v152
	v_cmp_gt_i32_e64 s16, 0, v157
	v_and_b32_e32 v37, v37, v149
	v_not_b32_e32 v149, v158
	v_ashrrev_i32_e32 v156, 31, v156
	v_xor_b32_e32 v153, vcc_lo, v153
	v_cmp_gt_i32_e32 vcc_lo, 0, v158
	v_and_b32_e32 v37, v37, v152
	v_not_b32_e32 v152, v154
	v_ashrrev_i32_e32 v149, 31, v149
	v_xor_b32_e32 v156, s16, v156
	v_cmp_gt_i32_e64 s16, 0, v154
	v_and_b32_e32 v37, v37, v153
	v_ashrrev_i32_e32 v152, 31, v152
	v_xor_b32_e32 v149, vcc_lo, v149
	v_mad_u32_u24 v150, v150, 9, v128
	s_delay_alu instid0(VALU_DEP_4) | instskip(NEXT) | instid1(VALU_DEP_4)
	v_and_b32_e32 v37, v37, v156
	v_xor_b32_e32 v152, s16, v152
	s_delay_alu instid0(VALU_DEP_3) | instskip(NEXT) | instid1(VALU_DEP_3)
	v_lshl_add_u32 v150, v150, 2, 0x420
	v_and_b32_e32 v37, v37, v149
	s_delay_alu instid0(VALU_DEP_1) | instskip(NEXT) | instid1(VALU_DEP_1)
	v_and_b32_e32 v37, v37, v152
	v_mbcnt_lo_u32_b32 v149, v37, 0
	v_cmp_ne_u32_e64 s16, 0, v37
	s_delay_alu instid0(VALU_DEP_2) | instskip(NEXT) | instid1(VALU_DEP_2)
	v_cmp_eq_u32_e32 vcc_lo, 0, v149
	s_and_b32 s17, s16, vcc_lo
	s_delay_alu instid0(SALU_CYCLE_1)
	s_and_saveexec_b32 s16, s17
	s_cbranch_execz .LBB505_430
; %bb.429:                              ;   in Loop: Header=BB505_392 Depth=2
	v_bcnt_u32_b32 v37, v37, 0
	ds_store_b32 v150, v37
.LBB505_430:                            ;   in Loop: Header=BB505_392 Depth=2
	s_or_b32 exec_lo, exec_lo, s16
	v_xor_b32_e32 v148, 0x7fffffff, v148
	; wave barrier
	s_delay_alu instid0(VALU_DEP_1) | instskip(NEXT) | instid1(VALU_DEP_1)
	v_lshrrev_b32_e32 v37, s38, v148
	v_and_b32_e32 v37, s39, v37
	s_delay_alu instid0(VALU_DEP_1)
	v_and_b32_e32 v152, 1, v37
	v_lshlrev_b32_e32 v153, 30, v37
	v_lshlrev_b32_e32 v154, 29, v37
	;; [unrolled: 1-line block ×4, first 2 shown]
	v_add_co_u32 v152, s16, v152, -1
	s_delay_alu instid0(VALU_DEP_1)
	v_cndmask_b32_e64 v157, 0, 1, s16
	v_not_b32_e32 v162, v153
	v_cmp_gt_i32_e64 s16, 0, v153
	v_not_b32_e32 v153, v154
	v_lshlrev_b32_e32 v160, 26, v37
	v_cmp_ne_u32_e32 vcc_lo, 0, v157
	v_ashrrev_i32_e32 v162, 31, v162
	v_lshlrev_b32_e32 v161, 25, v37
	v_ashrrev_i32_e32 v153, 31, v153
	v_lshlrev_b32_e32 v157, 24, v37
	v_xor_b32_e32 v152, vcc_lo, v152
	v_cmp_gt_i32_e32 vcc_lo, 0, v154
	v_not_b32_e32 v154, v156
	v_xor_b32_e32 v162, s16, v162
	v_cmp_gt_i32_e64 s16, 0, v156
	v_and_b32_e32 v152, exec_lo, v152
	v_not_b32_e32 v156, v158
	v_ashrrev_i32_e32 v154, 31, v154
	v_xor_b32_e32 v153, vcc_lo, v153
	v_cmp_gt_i32_e32 vcc_lo, 0, v158
	v_and_b32_e32 v152, v152, v162
	v_not_b32_e32 v158, v160
	v_ashrrev_i32_e32 v156, 31, v156
	v_xor_b32_e32 v154, s16, v154
	v_cmp_gt_i32_e64 s16, 0, v160
	v_and_b32_e32 v152, v152, v153
	v_not_b32_e32 v153, v161
	v_ashrrev_i32_e32 v158, 31, v158
	v_xor_b32_e32 v156, vcc_lo, v156
	v_cmp_gt_i32_e32 vcc_lo, 0, v161
	v_and_b32_e32 v152, v152, v154
	v_not_b32_e32 v154, v157
	v_ashrrev_i32_e32 v153, 31, v153
	v_xor_b32_e32 v158, s16, v158
	v_mul_u32_u24_e32 v37, 9, v37
	v_and_b32_e32 v152, v152, v156
	v_cmp_gt_i32_e64 s16, 0, v157
	v_ashrrev_i32_e32 v154, 31, v154
	v_xor_b32_e32 v153, vcc_lo, v153
	v_add_lshl_u32 v156, v37, v128, 2
	v_and_b32_e32 v152, v152, v158
	s_delay_alu instid0(VALU_DEP_4) | instskip(NEXT) | instid1(VALU_DEP_3)
	v_xor_b32_e32 v37, s16, v154
	v_add_nc_u32_e32 v154, 0x420, v156
	s_delay_alu instid0(VALU_DEP_3) | instskip(SKIP_2) | instid1(VALU_DEP_1)
	v_and_b32_e32 v153, v152, v153
	ds_load_b32 v152, v156 offset:1056
	; wave barrier
	v_and_b32_e32 v37, v153, v37
	v_mbcnt_lo_u32_b32 v153, v37, 0
	v_cmp_ne_u32_e64 s16, 0, v37
	s_delay_alu instid0(VALU_DEP_2) | instskip(NEXT) | instid1(VALU_DEP_2)
	v_cmp_eq_u32_e32 vcc_lo, 0, v153
	s_and_b32 s17, s16, vcc_lo
	s_delay_alu instid0(SALU_CYCLE_1)
	s_and_saveexec_b32 s16, s17
	s_cbranch_execz .LBB505_432
; %bb.431:                              ;   in Loop: Header=BB505_392 Depth=2
	s_waitcnt lgkmcnt(0)
	v_bcnt_u32_b32 v37, v37, v152
	ds_store_b32 v154, v37
.LBB505_432:                            ;   in Loop: Header=BB505_392 Depth=2
	s_or_b32 exec_lo, exec_lo, s16
	v_xor_b32_e32 v151, 0x7fffffff, v151
	; wave barrier
	s_delay_alu instid0(VALU_DEP_1) | instskip(NEXT) | instid1(VALU_DEP_1)
	v_lshrrev_b32_e32 v37, s38, v151
	v_and_b32_e32 v37, s39, v37
	s_delay_alu instid0(VALU_DEP_1)
	v_and_b32_e32 v156, 1, v37
	v_lshlrev_b32_e32 v157, 30, v37
	v_lshlrev_b32_e32 v158, 29, v37
	;; [unrolled: 1-line block ×4, first 2 shown]
	v_add_co_u32 v156, s16, v156, -1
	s_delay_alu instid0(VALU_DEP_1)
	v_cndmask_b32_e64 v161, 0, 1, s16
	v_not_b32_e32 v166, v157
	v_cmp_gt_i32_e64 s16, 0, v157
	v_not_b32_e32 v157, v158
	v_lshlrev_b32_e32 v164, 26, v37
	v_cmp_ne_u32_e32 vcc_lo, 0, v161
	v_ashrrev_i32_e32 v166, 31, v166
	v_lshlrev_b32_e32 v165, 25, v37
	v_ashrrev_i32_e32 v157, 31, v157
	v_lshlrev_b32_e32 v161, 24, v37
	v_xor_b32_e32 v156, vcc_lo, v156
	v_cmp_gt_i32_e32 vcc_lo, 0, v158
	v_not_b32_e32 v158, v160
	v_xor_b32_e32 v166, s16, v166
	v_cmp_gt_i32_e64 s16, 0, v160
	v_and_b32_e32 v156, exec_lo, v156
	v_not_b32_e32 v160, v162
	v_ashrrev_i32_e32 v158, 31, v158
	v_xor_b32_e32 v157, vcc_lo, v157
	v_cmp_gt_i32_e32 vcc_lo, 0, v162
	v_and_b32_e32 v156, v156, v166
	v_not_b32_e32 v162, v164
	v_ashrrev_i32_e32 v160, 31, v160
	v_xor_b32_e32 v158, s16, v158
	v_cmp_gt_i32_e64 s16, 0, v164
	v_and_b32_e32 v156, v156, v157
	v_not_b32_e32 v157, v165
	v_ashrrev_i32_e32 v162, 31, v162
	v_xor_b32_e32 v160, vcc_lo, v160
	v_cmp_gt_i32_e32 vcc_lo, 0, v165
	v_and_b32_e32 v156, v156, v158
	v_not_b32_e32 v158, v161
	v_ashrrev_i32_e32 v157, 31, v157
	v_xor_b32_e32 v162, s16, v162
	v_mul_u32_u24_e32 v37, 9, v37
	v_and_b32_e32 v156, v156, v160
	v_cmp_gt_i32_e64 s16, 0, v161
	v_ashrrev_i32_e32 v158, 31, v158
	v_xor_b32_e32 v157, vcc_lo, v157
	v_add_lshl_u32 v160, v37, v128, 2
	v_and_b32_e32 v156, v156, v162
	s_delay_alu instid0(VALU_DEP_4) | instskip(NEXT) | instid1(VALU_DEP_3)
	v_xor_b32_e32 v37, s16, v158
	v_add_nc_u32_e32 v158, 0x420, v160
	s_delay_alu instid0(VALU_DEP_3) | instskip(SKIP_2) | instid1(VALU_DEP_1)
	v_and_b32_e32 v157, v156, v157
	ds_load_b32 v156, v160 offset:1056
	; wave barrier
	v_and_b32_e32 v37, v157, v37
	v_mbcnt_lo_u32_b32 v157, v37, 0
	v_cmp_ne_u32_e64 s16, 0, v37
	s_delay_alu instid0(VALU_DEP_2) | instskip(NEXT) | instid1(VALU_DEP_2)
	v_cmp_eq_u32_e32 vcc_lo, 0, v157
	s_and_b32 s17, s16, vcc_lo
	s_delay_alu instid0(SALU_CYCLE_1)
	s_and_saveexec_b32 s16, s17
	s_cbranch_execz .LBB505_434
; %bb.433:                              ;   in Loop: Header=BB505_392 Depth=2
	s_waitcnt lgkmcnt(0)
	v_bcnt_u32_b32 v37, v37, v156
	ds_store_b32 v158, v37
.LBB505_434:                            ;   in Loop: Header=BB505_392 Depth=2
	s_or_b32 exec_lo, exec_lo, s16
	v_xor_b32_e32 v155, 0x7fffffff, v155
	; wave barrier
	s_delay_alu instid0(VALU_DEP_1) | instskip(NEXT) | instid1(VALU_DEP_1)
	v_lshrrev_b32_e32 v37, s38, v155
	v_and_b32_e32 v37, s39, v37
	s_delay_alu instid0(VALU_DEP_1)
	v_and_b32_e32 v160, 1, v37
	v_lshlrev_b32_e32 v161, 30, v37
	v_lshlrev_b32_e32 v162, 29, v37
	;; [unrolled: 1-line block ×4, first 2 shown]
	v_add_co_u32 v160, s16, v160, -1
	s_delay_alu instid0(VALU_DEP_1)
	v_cndmask_b32_e64 v165, 0, 1, s16
	v_not_b32_e32 v170, v161
	v_cmp_gt_i32_e64 s16, 0, v161
	v_not_b32_e32 v161, v162
	v_lshlrev_b32_e32 v168, 26, v37
	v_cmp_ne_u32_e32 vcc_lo, 0, v165
	v_ashrrev_i32_e32 v170, 31, v170
	v_lshlrev_b32_e32 v169, 25, v37
	v_ashrrev_i32_e32 v161, 31, v161
	v_lshlrev_b32_e32 v165, 24, v37
	v_xor_b32_e32 v160, vcc_lo, v160
	v_cmp_gt_i32_e32 vcc_lo, 0, v162
	v_not_b32_e32 v162, v164
	v_xor_b32_e32 v170, s16, v170
	v_cmp_gt_i32_e64 s16, 0, v164
	v_and_b32_e32 v160, exec_lo, v160
	v_not_b32_e32 v164, v166
	v_ashrrev_i32_e32 v162, 31, v162
	v_xor_b32_e32 v161, vcc_lo, v161
	v_cmp_gt_i32_e32 vcc_lo, 0, v166
	v_and_b32_e32 v160, v160, v170
	v_not_b32_e32 v166, v168
	v_ashrrev_i32_e32 v164, 31, v164
	v_xor_b32_e32 v162, s16, v162
	v_cmp_gt_i32_e64 s16, 0, v168
	v_and_b32_e32 v160, v160, v161
	v_not_b32_e32 v161, v169
	v_ashrrev_i32_e32 v166, 31, v166
	v_xor_b32_e32 v164, vcc_lo, v164
	v_cmp_gt_i32_e32 vcc_lo, 0, v169
	v_and_b32_e32 v160, v160, v162
	v_not_b32_e32 v162, v165
	v_ashrrev_i32_e32 v161, 31, v161
	v_xor_b32_e32 v166, s16, v166
	v_mul_u32_u24_e32 v37, 9, v37
	v_and_b32_e32 v160, v160, v164
	v_cmp_gt_i32_e64 s16, 0, v165
	v_ashrrev_i32_e32 v162, 31, v162
	v_xor_b32_e32 v161, vcc_lo, v161
	v_add_lshl_u32 v164, v37, v128, 2
	v_and_b32_e32 v160, v160, v166
	s_delay_alu instid0(VALU_DEP_4) | instskip(NEXT) | instid1(VALU_DEP_3)
	v_xor_b32_e32 v37, s16, v162
	v_add_nc_u32_e32 v162, 0x420, v164
	s_delay_alu instid0(VALU_DEP_3) | instskip(SKIP_2) | instid1(VALU_DEP_1)
	v_and_b32_e32 v161, v160, v161
	ds_load_b32 v160, v164 offset:1056
	; wave barrier
	v_and_b32_e32 v37, v161, v37
	v_mbcnt_lo_u32_b32 v161, v37, 0
	v_cmp_ne_u32_e64 s16, 0, v37
	s_delay_alu instid0(VALU_DEP_2) | instskip(NEXT) | instid1(VALU_DEP_2)
	v_cmp_eq_u32_e32 vcc_lo, 0, v161
	s_and_b32 s17, s16, vcc_lo
	s_delay_alu instid0(SALU_CYCLE_1)
	s_and_saveexec_b32 s16, s17
	s_cbranch_execz .LBB505_436
; %bb.435:                              ;   in Loop: Header=BB505_392 Depth=2
	s_waitcnt lgkmcnt(0)
	v_bcnt_u32_b32 v37, v37, v160
	ds_store_b32 v162, v37
.LBB505_436:                            ;   in Loop: Header=BB505_392 Depth=2
	s_or_b32 exec_lo, exec_lo, s16
	v_xor_b32_e32 v159, 0x7fffffff, v159
	; wave barrier
	s_delay_alu instid0(VALU_DEP_1) | instskip(NEXT) | instid1(VALU_DEP_1)
	v_lshrrev_b32_e32 v37, s38, v159
	v_and_b32_e32 v37, s39, v37
	s_delay_alu instid0(VALU_DEP_1)
	v_and_b32_e32 v164, 1, v37
	v_lshlrev_b32_e32 v165, 30, v37
	v_lshlrev_b32_e32 v166, 29, v37
	;; [unrolled: 1-line block ×4, first 2 shown]
	v_add_co_u32 v164, s16, v164, -1
	s_delay_alu instid0(VALU_DEP_1)
	v_cndmask_b32_e64 v169, 0, 1, s16
	v_not_b32_e32 v175, v165
	v_cmp_gt_i32_e64 s16, 0, v165
	v_not_b32_e32 v165, v166
	v_lshlrev_b32_e32 v173, 26, v37
	v_cmp_ne_u32_e32 vcc_lo, 0, v169
	v_ashrrev_i32_e32 v175, 31, v175
	v_lshlrev_b32_e32 v174, 25, v37
	v_ashrrev_i32_e32 v165, 31, v165
	v_lshlrev_b32_e32 v169, 24, v37
	v_xor_b32_e32 v164, vcc_lo, v164
	v_cmp_gt_i32_e32 vcc_lo, 0, v166
	v_not_b32_e32 v166, v168
	v_xor_b32_e32 v175, s16, v175
	v_cmp_gt_i32_e64 s16, 0, v168
	v_and_b32_e32 v164, exec_lo, v164
	v_not_b32_e32 v168, v170
	v_ashrrev_i32_e32 v166, 31, v166
	v_xor_b32_e32 v165, vcc_lo, v165
	v_cmp_gt_i32_e32 vcc_lo, 0, v170
	v_and_b32_e32 v164, v164, v175
	v_not_b32_e32 v170, v173
	v_ashrrev_i32_e32 v168, 31, v168
	v_xor_b32_e32 v166, s16, v166
	v_cmp_gt_i32_e64 s16, 0, v173
	v_and_b32_e32 v164, v164, v165
	v_not_b32_e32 v165, v174
	v_ashrrev_i32_e32 v170, 31, v170
	v_xor_b32_e32 v168, vcc_lo, v168
	v_cmp_gt_i32_e32 vcc_lo, 0, v174
	v_and_b32_e32 v164, v164, v166
	v_not_b32_e32 v166, v169
	v_ashrrev_i32_e32 v165, 31, v165
	v_xor_b32_e32 v170, s16, v170
	v_mul_u32_u24_e32 v37, 9, v37
	v_and_b32_e32 v164, v164, v168
	v_cmp_gt_i32_e64 s16, 0, v169
	v_ashrrev_i32_e32 v166, 31, v166
	v_xor_b32_e32 v165, vcc_lo, v165
	v_add_lshl_u32 v168, v37, v128, 2
	v_and_b32_e32 v164, v164, v170
	s_delay_alu instid0(VALU_DEP_4) | instskip(NEXT) | instid1(VALU_DEP_3)
	v_xor_b32_e32 v37, s16, v166
	v_add_nc_u32_e32 v166, 0x420, v168
	s_delay_alu instid0(VALU_DEP_3) | instskip(SKIP_2) | instid1(VALU_DEP_1)
	v_and_b32_e32 v165, v164, v165
	ds_load_b32 v164, v168 offset:1056
	; wave barrier
	v_and_b32_e32 v37, v165, v37
	v_mbcnt_lo_u32_b32 v165, v37, 0
	v_cmp_ne_u32_e64 s16, 0, v37
	s_delay_alu instid0(VALU_DEP_2) | instskip(NEXT) | instid1(VALU_DEP_2)
	v_cmp_eq_u32_e32 vcc_lo, 0, v165
	s_and_b32 s17, s16, vcc_lo
	s_delay_alu instid0(SALU_CYCLE_1)
	s_and_saveexec_b32 s16, s17
	s_cbranch_execz .LBB505_438
; %bb.437:                              ;   in Loop: Header=BB505_392 Depth=2
	s_waitcnt lgkmcnt(0)
	v_bcnt_u32_b32 v37, v37, v164
	ds_store_b32 v166, v37
.LBB505_438:                            ;   in Loop: Header=BB505_392 Depth=2
	s_or_b32 exec_lo, exec_lo, s16
	v_xor_b32_e32 v163, 0x7fffffff, v163
	; wave barrier
	s_delay_alu instid0(VALU_DEP_1) | instskip(NEXT) | instid1(VALU_DEP_1)
	v_lshrrev_b32_e32 v37, s38, v163
	v_and_b32_e32 v37, s39, v37
	s_delay_alu instid0(VALU_DEP_1)
	v_and_b32_e32 v168, 1, v37
	v_lshlrev_b32_e32 v169, 30, v37
	v_lshlrev_b32_e32 v170, 29, v37
	;; [unrolled: 1-line block ×4, first 2 shown]
	v_add_co_u32 v168, s16, v168, -1
	s_delay_alu instid0(VALU_DEP_1)
	v_cndmask_b32_e64 v174, 0, 1, s16
	v_not_b32_e32 v178, v169
	v_cmp_gt_i32_e64 s16, 0, v169
	v_not_b32_e32 v169, v170
	v_lshlrev_b32_e32 v176, 26, v37
	v_cmp_ne_u32_e32 vcc_lo, 0, v174
	v_ashrrev_i32_e32 v178, 31, v178
	v_lshlrev_b32_e32 v177, 25, v37
	v_ashrrev_i32_e32 v169, 31, v169
	v_lshlrev_b32_e32 v174, 24, v37
	v_xor_b32_e32 v168, vcc_lo, v168
	v_cmp_gt_i32_e32 vcc_lo, 0, v170
	v_not_b32_e32 v170, v173
	v_xor_b32_e32 v178, s16, v178
	v_cmp_gt_i32_e64 s16, 0, v173
	v_and_b32_e32 v168, exec_lo, v168
	v_not_b32_e32 v173, v175
	v_ashrrev_i32_e32 v170, 31, v170
	v_xor_b32_e32 v169, vcc_lo, v169
	v_cmp_gt_i32_e32 vcc_lo, 0, v175
	v_and_b32_e32 v168, v168, v178
	v_not_b32_e32 v175, v176
	v_ashrrev_i32_e32 v173, 31, v173
	v_xor_b32_e32 v170, s16, v170
	v_cmp_gt_i32_e64 s16, 0, v176
	v_and_b32_e32 v168, v168, v169
	v_not_b32_e32 v169, v177
	v_ashrrev_i32_e32 v175, 31, v175
	v_xor_b32_e32 v173, vcc_lo, v173
	v_cmp_gt_i32_e32 vcc_lo, 0, v177
	v_and_b32_e32 v168, v168, v170
	v_not_b32_e32 v170, v174
	v_ashrrev_i32_e32 v169, 31, v169
	v_xor_b32_e32 v175, s16, v175
	v_mul_u32_u24_e32 v37, 9, v37
	v_and_b32_e32 v168, v168, v173
	v_cmp_gt_i32_e64 s16, 0, v174
	v_ashrrev_i32_e32 v170, 31, v170
	v_xor_b32_e32 v169, vcc_lo, v169
	v_add_lshl_u32 v173, v37, v128, 2
	v_and_b32_e32 v168, v168, v175
	s_delay_alu instid0(VALU_DEP_4) | instskip(NEXT) | instid1(VALU_DEP_3)
	v_xor_b32_e32 v37, s16, v170
	v_add_nc_u32_e32 v170, 0x420, v173
	s_delay_alu instid0(VALU_DEP_3) | instskip(SKIP_2) | instid1(VALU_DEP_1)
	v_and_b32_e32 v169, v168, v169
	ds_load_b32 v168, v173 offset:1056
	; wave barrier
	v_and_b32_e32 v37, v169, v37
	v_mbcnt_lo_u32_b32 v169, v37, 0
	v_cmp_ne_u32_e64 s16, 0, v37
	s_delay_alu instid0(VALU_DEP_2) | instskip(NEXT) | instid1(VALU_DEP_2)
	v_cmp_eq_u32_e32 vcc_lo, 0, v169
	s_and_b32 s17, s16, vcc_lo
	s_delay_alu instid0(SALU_CYCLE_1)
	s_and_saveexec_b32 s16, s17
	s_cbranch_execz .LBB505_440
; %bb.439:                              ;   in Loop: Header=BB505_392 Depth=2
	s_waitcnt lgkmcnt(0)
	v_bcnt_u32_b32 v37, v37, v168
	ds_store_b32 v170, v37
.LBB505_440:                            ;   in Loop: Header=BB505_392 Depth=2
	s_or_b32 exec_lo, exec_lo, s16
	v_xor_b32_e32 v167, 0x7fffffff, v167
	; wave barrier
	s_delay_alu instid0(VALU_DEP_1) | instskip(NEXT) | instid1(VALU_DEP_1)
	v_lshrrev_b32_e32 v37, s38, v167
	v_and_b32_e32 v37, s39, v37
	s_delay_alu instid0(VALU_DEP_1)
	v_and_b32_e32 v173, 1, v37
	v_lshlrev_b32_e32 v174, 30, v37
	v_lshlrev_b32_e32 v175, 29, v37
	;; [unrolled: 1-line block ×4, first 2 shown]
	v_add_co_u32 v173, s16, v173, -1
	s_delay_alu instid0(VALU_DEP_1)
	v_cndmask_b32_e64 v177, 0, 1, s16
	v_not_b32_e32 v181, v174
	v_cmp_gt_i32_e64 s16, 0, v174
	v_not_b32_e32 v174, v175
	v_lshlrev_b32_e32 v179, 26, v37
	v_cmp_ne_u32_e32 vcc_lo, 0, v177
	v_ashrrev_i32_e32 v181, 31, v181
	v_lshlrev_b32_e32 v180, 25, v37
	v_ashrrev_i32_e32 v174, 31, v174
	v_lshlrev_b32_e32 v177, 24, v37
	v_xor_b32_e32 v173, vcc_lo, v173
	v_cmp_gt_i32_e32 vcc_lo, 0, v175
	v_not_b32_e32 v175, v176
	v_xor_b32_e32 v181, s16, v181
	v_cmp_gt_i32_e64 s16, 0, v176
	v_and_b32_e32 v173, exec_lo, v173
	v_not_b32_e32 v176, v178
	v_ashrrev_i32_e32 v175, 31, v175
	v_xor_b32_e32 v174, vcc_lo, v174
	v_cmp_gt_i32_e32 vcc_lo, 0, v178
	v_and_b32_e32 v173, v173, v181
	v_not_b32_e32 v178, v179
	v_ashrrev_i32_e32 v176, 31, v176
	v_xor_b32_e32 v175, s16, v175
	v_cmp_gt_i32_e64 s16, 0, v179
	v_and_b32_e32 v173, v173, v174
	v_not_b32_e32 v174, v180
	v_ashrrev_i32_e32 v178, 31, v178
	v_xor_b32_e32 v176, vcc_lo, v176
	v_cmp_gt_i32_e32 vcc_lo, 0, v180
	v_and_b32_e32 v173, v173, v175
	v_not_b32_e32 v175, v177
	v_ashrrev_i32_e32 v174, 31, v174
	v_xor_b32_e32 v178, s16, v178
	v_mul_u32_u24_e32 v37, 9, v37
	v_and_b32_e32 v173, v173, v176
	v_cmp_gt_i32_e64 s16, 0, v177
	v_ashrrev_i32_e32 v175, 31, v175
	v_xor_b32_e32 v174, vcc_lo, v174
	v_add_lshl_u32 v176, v37, v128, 2
	v_and_b32_e32 v173, v173, v178
	s_delay_alu instid0(VALU_DEP_4) | instskip(NEXT) | instid1(VALU_DEP_3)
	v_xor_b32_e32 v37, s16, v175
	v_add_nc_u32_e32 v175, 0x420, v176
	s_delay_alu instid0(VALU_DEP_3) | instskip(SKIP_2) | instid1(VALU_DEP_1)
	v_and_b32_e32 v174, v173, v174
	ds_load_b32 v173, v176 offset:1056
	; wave barrier
	v_and_b32_e32 v37, v174, v37
	v_mbcnt_lo_u32_b32 v174, v37, 0
	v_cmp_ne_u32_e64 s16, 0, v37
	s_delay_alu instid0(VALU_DEP_2) | instskip(NEXT) | instid1(VALU_DEP_2)
	v_cmp_eq_u32_e32 vcc_lo, 0, v174
	s_and_b32 s17, s16, vcc_lo
	s_delay_alu instid0(SALU_CYCLE_1)
	s_and_saveexec_b32 s16, s17
	s_cbranch_execz .LBB505_442
; %bb.441:                              ;   in Loop: Header=BB505_392 Depth=2
	s_waitcnt lgkmcnt(0)
	v_bcnt_u32_b32 v37, v37, v173
	ds_store_b32 v175, v37
.LBB505_442:                            ;   in Loop: Header=BB505_392 Depth=2
	s_or_b32 exec_lo, exec_lo, s16
	v_xor_b32_e32 v172, 0x7fffffff, v172
	; wave barrier
	s_delay_alu instid0(VALU_DEP_1) | instskip(NEXT) | instid1(VALU_DEP_1)
	v_lshrrev_b32_e32 v37, s38, v172
	v_and_b32_e32 v37, s39, v37
	s_delay_alu instid0(VALU_DEP_1)
	v_and_b32_e32 v176, 1, v37
	v_lshlrev_b32_e32 v177, 30, v37
	v_lshlrev_b32_e32 v178, 29, v37
	;; [unrolled: 1-line block ×4, first 2 shown]
	v_add_co_u32 v176, s16, v176, -1
	s_delay_alu instid0(VALU_DEP_1)
	v_cndmask_b32_e64 v180, 0, 1, s16
	v_not_b32_e32 v184, v177
	v_cmp_gt_i32_e64 s16, 0, v177
	v_not_b32_e32 v177, v178
	v_lshlrev_b32_e32 v182, 26, v37
	v_cmp_ne_u32_e32 vcc_lo, 0, v180
	v_ashrrev_i32_e32 v184, 31, v184
	v_lshlrev_b32_e32 v183, 25, v37
	v_ashrrev_i32_e32 v177, 31, v177
	v_lshlrev_b32_e32 v180, 24, v37
	v_xor_b32_e32 v176, vcc_lo, v176
	v_cmp_gt_i32_e32 vcc_lo, 0, v178
	v_not_b32_e32 v178, v179
	v_xor_b32_e32 v184, s16, v184
	v_cmp_gt_i32_e64 s16, 0, v179
	v_and_b32_e32 v176, exec_lo, v176
	v_not_b32_e32 v179, v181
	v_ashrrev_i32_e32 v178, 31, v178
	v_xor_b32_e32 v177, vcc_lo, v177
	v_cmp_gt_i32_e32 vcc_lo, 0, v181
	v_and_b32_e32 v176, v176, v184
	v_not_b32_e32 v181, v182
	v_ashrrev_i32_e32 v179, 31, v179
	v_xor_b32_e32 v178, s16, v178
	v_cmp_gt_i32_e64 s16, 0, v182
	v_and_b32_e32 v176, v176, v177
	v_not_b32_e32 v177, v183
	v_ashrrev_i32_e32 v181, 31, v181
	v_xor_b32_e32 v179, vcc_lo, v179
	v_cmp_gt_i32_e32 vcc_lo, 0, v183
	v_and_b32_e32 v176, v176, v178
	v_not_b32_e32 v178, v180
	v_ashrrev_i32_e32 v177, 31, v177
	v_xor_b32_e32 v181, s16, v181
	v_mul_u32_u24_e32 v37, 9, v37
	v_and_b32_e32 v176, v176, v179
	v_cmp_gt_i32_e64 s16, 0, v180
	v_ashrrev_i32_e32 v178, 31, v178
	v_xor_b32_e32 v177, vcc_lo, v177
	v_add_lshl_u32 v179, v37, v128, 2
	v_and_b32_e32 v176, v176, v181
	s_delay_alu instid0(VALU_DEP_4) | instskip(NEXT) | instid1(VALU_DEP_3)
	v_xor_b32_e32 v37, s16, v178
	v_add_nc_u32_e32 v178, 0x420, v179
	s_delay_alu instid0(VALU_DEP_3) | instskip(SKIP_2) | instid1(VALU_DEP_1)
	v_and_b32_e32 v177, v176, v177
	ds_load_b32 v176, v179 offset:1056
	; wave barrier
	v_and_b32_e32 v37, v177, v37
	v_mbcnt_lo_u32_b32 v177, v37, 0
	v_cmp_ne_u32_e64 s16, 0, v37
	s_delay_alu instid0(VALU_DEP_2) | instskip(NEXT) | instid1(VALU_DEP_2)
	v_cmp_eq_u32_e32 vcc_lo, 0, v177
	s_and_b32 s17, s16, vcc_lo
	s_delay_alu instid0(SALU_CYCLE_1)
	s_and_saveexec_b32 s16, s17
	s_cbranch_execz .LBB505_444
; %bb.443:                              ;   in Loop: Header=BB505_392 Depth=2
	s_waitcnt lgkmcnt(0)
	v_bcnt_u32_b32 v37, v37, v176
	ds_store_b32 v178, v37
.LBB505_444:                            ;   in Loop: Header=BB505_392 Depth=2
	s_or_b32 exec_lo, exec_lo, s16
	v_xor_b32_e32 v171, 0x7fffffff, v171
	; wave barrier
	s_delay_alu instid0(VALU_DEP_1) | instskip(NEXT) | instid1(VALU_DEP_1)
	v_lshrrev_b32_e32 v37, s38, v171
	v_and_b32_e32 v37, s39, v37
	s_delay_alu instid0(VALU_DEP_1)
	v_and_b32_e32 v179, 1, v37
	v_lshlrev_b32_e32 v180, 30, v37
	v_lshlrev_b32_e32 v181, 29, v37
	;; [unrolled: 1-line block ×4, first 2 shown]
	v_add_co_u32 v179, s16, v179, -1
	s_delay_alu instid0(VALU_DEP_1)
	v_cndmask_b32_e64 v183, 0, 1, s16
	v_not_b32_e32 v187, v180
	v_cmp_gt_i32_e64 s16, 0, v180
	v_not_b32_e32 v180, v181
	v_lshlrev_b32_e32 v185, 26, v37
	v_cmp_ne_u32_e32 vcc_lo, 0, v183
	v_ashrrev_i32_e32 v187, 31, v187
	v_lshlrev_b32_e32 v186, 25, v37
	v_ashrrev_i32_e32 v180, 31, v180
	v_lshlrev_b32_e32 v183, 24, v37
	v_xor_b32_e32 v179, vcc_lo, v179
	v_cmp_gt_i32_e32 vcc_lo, 0, v181
	v_not_b32_e32 v181, v182
	v_xor_b32_e32 v187, s16, v187
	v_cmp_gt_i32_e64 s16, 0, v182
	v_and_b32_e32 v179, exec_lo, v179
	v_not_b32_e32 v182, v184
	v_ashrrev_i32_e32 v181, 31, v181
	v_xor_b32_e32 v180, vcc_lo, v180
	v_cmp_gt_i32_e32 vcc_lo, 0, v184
	v_and_b32_e32 v179, v179, v187
	v_not_b32_e32 v184, v185
	v_ashrrev_i32_e32 v182, 31, v182
	v_xor_b32_e32 v181, s16, v181
	v_cmp_gt_i32_e64 s16, 0, v185
	v_and_b32_e32 v179, v179, v180
	v_not_b32_e32 v180, v186
	v_ashrrev_i32_e32 v184, 31, v184
	v_xor_b32_e32 v182, vcc_lo, v182
	v_cmp_gt_i32_e32 vcc_lo, 0, v186
	v_and_b32_e32 v179, v179, v181
	v_not_b32_e32 v181, v183
	v_ashrrev_i32_e32 v180, 31, v180
	v_xor_b32_e32 v184, s16, v184
	v_mul_u32_u24_e32 v37, 9, v37
	v_and_b32_e32 v179, v179, v182
	v_cmp_gt_i32_e64 s16, 0, v183
	v_ashrrev_i32_e32 v181, 31, v181
	v_xor_b32_e32 v180, vcc_lo, v180
	v_add_lshl_u32 v182, v37, v128, 2
	v_and_b32_e32 v179, v179, v184
	s_delay_alu instid0(VALU_DEP_4) | instskip(NEXT) | instid1(VALU_DEP_2)
	v_xor_b32_e32 v37, s16, v181
	v_and_b32_e32 v179, v179, v180
	ds_load_b32 v180, v182 offset:1056
	v_add_nc_u32_e32 v182, 0x420, v182
	; wave barrier
	v_and_b32_e32 v37, v179, v37
	s_delay_alu instid0(VALU_DEP_1) | instskip(SKIP_1) | instid1(VALU_DEP_2)
	v_mbcnt_lo_u32_b32 v181, v37, 0
	v_cmp_ne_u32_e64 s16, 0, v37
	v_cmp_eq_u32_e32 vcc_lo, 0, v181
	s_delay_alu instid0(VALU_DEP_2) | instskip(NEXT) | instid1(SALU_CYCLE_1)
	s_and_b32 s17, s16, vcc_lo
	s_and_saveexec_b32 s16, s17
	s_cbranch_execz .LBB505_446
; %bb.445:                              ;   in Loop: Header=BB505_392 Depth=2
	s_waitcnt lgkmcnt(0)
	v_bcnt_u32_b32 v37, v37, v180
	ds_store_b32 v182, v37
.LBB505_446:                            ;   in Loop: Header=BB505_392 Depth=2
	s_or_b32 exec_lo, exec_lo, s16
	v_xor_b32_e32 v179, 0x7fffffff, v43
	; wave barrier
	s_delay_alu instid0(VALU_DEP_1) | instskip(NEXT) | instid1(VALU_DEP_1)
	v_lshrrev_b32_e32 v37, s38, v179
	v_and_b32_e32 v37, s39, v37
	s_delay_alu instid0(VALU_DEP_1)
	v_and_b32_e32 v43, 1, v37
	v_lshlrev_b32_e32 v183, 30, v37
	v_lshlrev_b32_e32 v184, 29, v37
	;; [unrolled: 1-line block ×4, first 2 shown]
	v_add_co_u32 v43, s16, v43, -1
	s_delay_alu instid0(VALU_DEP_1)
	v_cndmask_b32_e64 v186, 0, 1, s16
	v_not_b32_e32 v190, v183
	v_cmp_gt_i32_e64 s16, 0, v183
	v_not_b32_e32 v183, v184
	v_lshlrev_b32_e32 v188, 26, v37
	v_cmp_ne_u32_e32 vcc_lo, 0, v186
	v_ashrrev_i32_e32 v190, 31, v190
	v_lshlrev_b32_e32 v189, 25, v37
	v_ashrrev_i32_e32 v183, 31, v183
	v_lshlrev_b32_e32 v186, 24, v37
	v_xor_b32_e32 v43, vcc_lo, v43
	v_cmp_gt_i32_e32 vcc_lo, 0, v184
	v_not_b32_e32 v184, v185
	v_xor_b32_e32 v190, s16, v190
	v_cmp_gt_i32_e64 s16, 0, v185
	v_and_b32_e32 v43, exec_lo, v43
	v_not_b32_e32 v185, v187
	v_ashrrev_i32_e32 v184, 31, v184
	v_xor_b32_e32 v183, vcc_lo, v183
	v_cmp_gt_i32_e32 vcc_lo, 0, v187
	v_and_b32_e32 v43, v43, v190
	v_not_b32_e32 v187, v188
	v_ashrrev_i32_e32 v185, 31, v185
	v_xor_b32_e32 v184, s16, v184
	v_cmp_gt_i32_e64 s16, 0, v188
	v_and_b32_e32 v43, v43, v183
	v_not_b32_e32 v183, v189
	v_ashrrev_i32_e32 v187, 31, v187
	v_xor_b32_e32 v185, vcc_lo, v185
	v_cmp_gt_i32_e32 vcc_lo, 0, v189
	v_and_b32_e32 v43, v43, v184
	v_not_b32_e32 v184, v186
	v_ashrrev_i32_e32 v183, 31, v183
	v_xor_b32_e32 v187, s16, v187
	v_mul_u32_u24_e32 v37, 9, v37
	v_and_b32_e32 v43, v43, v185
	v_cmp_gt_i32_e64 s16, 0, v186
	v_ashrrev_i32_e32 v184, 31, v184
	v_xor_b32_e32 v183, vcc_lo, v183
	v_add_lshl_u32 v186, v37, v128, 2
	v_and_b32_e32 v43, v43, v187
	s_delay_alu instid0(VALU_DEP_4) | instskip(SKIP_3) | instid1(VALU_DEP_2)
	v_xor_b32_e32 v37, s16, v184
	ds_load_b32 v184, v186 offset:1056
	v_and_b32_e32 v43, v43, v183
	v_add_nc_u32_e32 v186, 0x420, v186
	; wave barrier
	v_and_b32_e32 v37, v43, v37
	s_delay_alu instid0(VALU_DEP_1) | instskip(SKIP_1) | instid1(VALU_DEP_2)
	v_mbcnt_lo_u32_b32 v185, v37, 0
	v_cmp_ne_u32_e64 s16, 0, v37
	v_cmp_eq_u32_e32 vcc_lo, 0, v185
	s_delay_alu instid0(VALU_DEP_2) | instskip(NEXT) | instid1(SALU_CYCLE_1)
	s_and_b32 s17, s16, vcc_lo
	s_and_saveexec_b32 s16, s17
	s_cbranch_execz .LBB505_448
; %bb.447:                              ;   in Loop: Header=BB505_392 Depth=2
	s_waitcnt lgkmcnt(0)
	v_bcnt_u32_b32 v37, v37, v184
	ds_store_b32 v186, v37
.LBB505_448:                            ;   in Loop: Header=BB505_392 Depth=2
	s_or_b32 exec_lo, exec_lo, s16
	v_xor_b32_e32 v183, 0x7fffffff, v42
	; wave barrier
	s_delay_alu instid0(VALU_DEP_1) | instskip(NEXT) | instid1(VALU_DEP_1)
	v_lshrrev_b32_e32 v37, s38, v183
	v_and_b32_e32 v37, s39, v37
	s_delay_alu instid0(VALU_DEP_1)
	v_and_b32_e32 v42, 1, v37
	v_lshlrev_b32_e32 v43, 30, v37
	v_lshlrev_b32_e32 v187, 29, v37
	;; [unrolled: 1-line block ×4, first 2 shown]
	v_add_co_u32 v42, s16, v42, -1
	s_delay_alu instid0(VALU_DEP_1)
	v_cndmask_b32_e64 v189, 0, 1, s16
	v_not_b32_e32 v193, v43
	v_cmp_gt_i32_e64 s16, 0, v43
	v_not_b32_e32 v43, v187
	v_lshlrev_b32_e32 v191, 26, v37
	v_cmp_ne_u32_e32 vcc_lo, 0, v189
	v_ashrrev_i32_e32 v193, 31, v193
	v_lshlrev_b32_e32 v192, 25, v37
	v_ashrrev_i32_e32 v43, 31, v43
	v_lshlrev_b32_e32 v189, 24, v37
	v_xor_b32_e32 v42, vcc_lo, v42
	v_cmp_gt_i32_e32 vcc_lo, 0, v187
	v_not_b32_e32 v187, v188
	v_xor_b32_e32 v193, s16, v193
	v_cmp_gt_i32_e64 s16, 0, v188
	v_and_b32_e32 v42, exec_lo, v42
	v_not_b32_e32 v188, v190
	v_ashrrev_i32_e32 v187, 31, v187
	v_xor_b32_e32 v43, vcc_lo, v43
	v_cmp_gt_i32_e32 vcc_lo, 0, v190
	v_and_b32_e32 v42, v42, v193
	v_not_b32_e32 v190, v191
	v_ashrrev_i32_e32 v188, 31, v188
	v_xor_b32_e32 v187, s16, v187
	v_cmp_gt_i32_e64 s16, 0, v191
	v_and_b32_e32 v42, v42, v43
	v_not_b32_e32 v43, v192
	v_ashrrev_i32_e32 v190, 31, v190
	v_xor_b32_e32 v188, vcc_lo, v188
	v_cmp_gt_i32_e32 vcc_lo, 0, v192
	v_and_b32_e32 v42, v42, v187
	v_not_b32_e32 v187, v189
	v_ashrrev_i32_e32 v43, 31, v43
	v_xor_b32_e32 v190, s16, v190
	v_mul_u32_u24_e32 v37, 9, v37
	v_and_b32_e32 v42, v42, v188
	v_cmp_gt_i32_e64 s16, 0, v189
	v_ashrrev_i32_e32 v187, 31, v187
	v_xor_b32_e32 v43, vcc_lo, v43
	s_delay_alu instid0(VALU_DEP_4) | instskip(SKIP_1) | instid1(VALU_DEP_4)
	v_and_b32_e32 v42, v42, v190
	v_add_lshl_u32 v190, v37, v128, 2
	v_xor_b32_e32 v37, s16, v187
	s_delay_alu instid0(VALU_DEP_3) | instskip(SKIP_3) | instid1(VALU_DEP_1)
	v_and_b32_e32 v42, v42, v43
	ds_load_b32 v188, v190 offset:1056
	v_add_nc_u32_e32 v190, 0x420, v190
	; wave barrier
	v_and_b32_e32 v37, v42, v37
	v_mbcnt_lo_u32_b32 v189, v37, 0
	v_cmp_ne_u32_e64 s16, 0, v37
	s_delay_alu instid0(VALU_DEP_2) | instskip(NEXT) | instid1(VALU_DEP_2)
	v_cmp_eq_u32_e32 vcc_lo, 0, v189
	s_and_b32 s17, s16, vcc_lo
	s_delay_alu instid0(SALU_CYCLE_1)
	s_and_saveexec_b32 s16, s17
	s_cbranch_execz .LBB505_450
; %bb.449:                              ;   in Loop: Header=BB505_392 Depth=2
	s_waitcnt lgkmcnt(0)
	v_bcnt_u32_b32 v37, v37, v188
	ds_store_b32 v190, v37
.LBB505_450:                            ;   in Loop: Header=BB505_392 Depth=2
	s_or_b32 exec_lo, exec_lo, s16
	v_xor_b32_e32 v187, 0x7fffffff, v41
	; wave barrier
	s_delay_alu instid0(VALU_DEP_1) | instskip(NEXT) | instid1(VALU_DEP_1)
	v_lshrrev_b32_e32 v37, s38, v187
	v_and_b32_e32 v37, s39, v37
	s_delay_alu instid0(VALU_DEP_1)
	v_and_b32_e32 v41, 1, v37
	v_lshlrev_b32_e32 v42, 30, v37
	v_lshlrev_b32_e32 v43, 29, v37
	;; [unrolled: 1-line block ×4, first 2 shown]
	v_add_co_u32 v41, s16, v41, -1
	s_delay_alu instid0(VALU_DEP_1)
	v_cndmask_b32_e64 v192, 0, 1, s16
	v_not_b32_e32 v196, v42
	v_cmp_gt_i32_e64 s16, 0, v42
	v_not_b32_e32 v42, v43
	v_lshlrev_b32_e32 v194, 26, v37
	v_cmp_ne_u32_e32 vcc_lo, 0, v192
	v_ashrrev_i32_e32 v196, 31, v196
	v_lshlrev_b32_e32 v195, 25, v37
	v_ashrrev_i32_e32 v42, 31, v42
	v_lshlrev_b32_e32 v192, 24, v37
	v_xor_b32_e32 v41, vcc_lo, v41
	v_cmp_gt_i32_e32 vcc_lo, 0, v43
	v_not_b32_e32 v43, v191
	v_xor_b32_e32 v196, s16, v196
	v_cmp_gt_i32_e64 s16, 0, v191
	v_and_b32_e32 v41, exec_lo, v41
	v_not_b32_e32 v191, v193
	v_ashrrev_i32_e32 v43, 31, v43
	v_xor_b32_e32 v42, vcc_lo, v42
	v_cmp_gt_i32_e32 vcc_lo, 0, v193
	v_and_b32_e32 v41, v41, v196
	v_not_b32_e32 v193, v194
	v_ashrrev_i32_e32 v191, 31, v191
	v_xor_b32_e32 v43, s16, v43
	v_cmp_gt_i32_e64 s16, 0, v194
	v_and_b32_e32 v41, v41, v42
	v_not_b32_e32 v42, v195
	v_ashrrev_i32_e32 v193, 31, v193
	v_xor_b32_e32 v191, vcc_lo, v191
	v_cmp_gt_i32_e32 vcc_lo, 0, v195
	v_and_b32_e32 v41, v41, v43
	v_not_b32_e32 v43, v192
	v_ashrrev_i32_e32 v42, 31, v42
	v_xor_b32_e32 v193, s16, v193
	v_mul_u32_u24_e32 v37, 9, v37
	v_and_b32_e32 v41, v41, v191
	v_cmp_gt_i32_e64 s16, 0, v192
	v_ashrrev_i32_e32 v43, 31, v43
	v_xor_b32_e32 v42, vcc_lo, v42
	v_add_lshl_u32 v191, v37, v128, 2
	v_and_b32_e32 v41, v41, v193
	s_delay_alu instid0(VALU_DEP_4) | instskip(SKIP_3) | instid1(VALU_DEP_2)
	v_xor_b32_e32 v37, s16, v43
	ds_load_b32 v192, v191 offset:1056
	v_and_b32_e32 v41, v41, v42
	v_add_nc_u32_e32 v194, 0x420, v191
	; wave barrier
	v_and_b32_e32 v37, v41, v37
	s_delay_alu instid0(VALU_DEP_1) | instskip(SKIP_1) | instid1(VALU_DEP_2)
	v_mbcnt_lo_u32_b32 v193, v37, 0
	v_cmp_ne_u32_e64 s16, 0, v37
	v_cmp_eq_u32_e32 vcc_lo, 0, v193
	s_delay_alu instid0(VALU_DEP_2) | instskip(NEXT) | instid1(SALU_CYCLE_1)
	s_and_b32 s17, s16, vcc_lo
	s_and_saveexec_b32 s16, s17
	s_cbranch_execz .LBB505_452
; %bb.451:                              ;   in Loop: Header=BB505_392 Depth=2
	s_waitcnt lgkmcnt(0)
	v_bcnt_u32_b32 v37, v37, v192
	ds_store_b32 v194, v37
.LBB505_452:                            ;   in Loop: Header=BB505_392 Depth=2
	s_or_b32 exec_lo, exec_lo, s16
	v_xor_b32_e32 v191, 0x7fffffff, v40
	; wave barrier
	s_delay_alu instid0(VALU_DEP_1) | instskip(NEXT) | instid1(VALU_DEP_1)
	v_lshrrev_b32_e32 v37, s38, v191
	v_and_b32_e32 v37, s39, v37
	s_delay_alu instid0(VALU_DEP_1)
	v_and_b32_e32 v40, 1, v37
	v_lshlrev_b32_e32 v41, 30, v37
	v_lshlrev_b32_e32 v42, 29, v37
	;; [unrolled: 1-line block ×4, first 2 shown]
	v_add_co_u32 v40, s16, v40, -1
	s_delay_alu instid0(VALU_DEP_1)
	v_cndmask_b32_e64 v195, 0, 1, s16
	v_not_b32_e32 v199, v41
	v_cmp_gt_i32_e64 s16, 0, v41
	v_not_b32_e32 v41, v42
	v_lshlrev_b32_e32 v197, 26, v37
	v_cmp_ne_u32_e32 vcc_lo, 0, v195
	v_ashrrev_i32_e32 v199, 31, v199
	v_lshlrev_b32_e32 v198, 25, v37
	v_ashrrev_i32_e32 v41, 31, v41
	v_lshlrev_b32_e32 v195, 24, v37
	v_xor_b32_e32 v40, vcc_lo, v40
	v_cmp_gt_i32_e32 vcc_lo, 0, v42
	v_not_b32_e32 v42, v43
	v_xor_b32_e32 v199, s16, v199
	v_cmp_gt_i32_e64 s16, 0, v43
	v_and_b32_e32 v40, exec_lo, v40
	v_not_b32_e32 v43, v196
	v_ashrrev_i32_e32 v42, 31, v42
	v_xor_b32_e32 v41, vcc_lo, v41
	v_cmp_gt_i32_e32 vcc_lo, 0, v196
	v_and_b32_e32 v40, v40, v199
	v_not_b32_e32 v196, v197
	v_ashrrev_i32_e32 v43, 31, v43
	v_xor_b32_e32 v42, s16, v42
	v_cmp_gt_i32_e64 s16, 0, v197
	v_and_b32_e32 v40, v40, v41
	v_not_b32_e32 v41, v198
	v_ashrrev_i32_e32 v196, 31, v196
	v_xor_b32_e32 v43, vcc_lo, v43
	v_cmp_gt_i32_e32 vcc_lo, 0, v198
	v_and_b32_e32 v40, v40, v42
	v_not_b32_e32 v42, v195
	v_ashrrev_i32_e32 v41, 31, v41
	v_xor_b32_e32 v196, s16, v196
	v_mul_u32_u24_e32 v37, 9, v37
	v_and_b32_e32 v40, v40, v43
	v_cmp_gt_i32_e64 s16, 0, v195
	v_ashrrev_i32_e32 v42, 31, v42
	v_xor_b32_e32 v41, vcc_lo, v41
	v_add_lshl_u32 v43, v37, v128, 2
	v_and_b32_e32 v40, v40, v196
	s_delay_alu instid0(VALU_DEP_4) | instskip(SKIP_3) | instid1(VALU_DEP_2)
	v_xor_b32_e32 v37, s16, v42
	ds_load_b32 v196, v43 offset:1056
	v_and_b32_e32 v40, v40, v41
	v_add_nc_u32_e32 v198, 0x420, v43
	; wave barrier
	v_and_b32_e32 v37, v40, v37
	s_delay_alu instid0(VALU_DEP_1) | instskip(SKIP_1) | instid1(VALU_DEP_2)
	v_mbcnt_lo_u32_b32 v197, v37, 0
	v_cmp_ne_u32_e64 s16, 0, v37
	v_cmp_eq_u32_e32 vcc_lo, 0, v197
	s_delay_alu instid0(VALU_DEP_2) | instskip(NEXT) | instid1(SALU_CYCLE_1)
	s_and_b32 s17, s16, vcc_lo
	s_and_saveexec_b32 s16, s17
	s_cbranch_execz .LBB505_454
; %bb.453:                              ;   in Loop: Header=BB505_392 Depth=2
	s_waitcnt lgkmcnt(0)
	v_bcnt_u32_b32 v37, v37, v196
	ds_store_b32 v198, v37
.LBB505_454:                            ;   in Loop: Header=BB505_392 Depth=2
	s_or_b32 exec_lo, exec_lo, s16
	v_xor_b32_e32 v195, 0x7fffffff, v39
	; wave barrier
	s_delay_alu instid0(VALU_DEP_1) | instskip(NEXT) | instid1(VALU_DEP_1)
	v_lshrrev_b32_e32 v37, s38, v195
	v_and_b32_e32 v37, s39, v37
	s_delay_alu instid0(VALU_DEP_1)
	v_and_b32_e32 v39, 1, v37
	v_lshlrev_b32_e32 v40, 30, v37
	v_lshlrev_b32_e32 v41, 29, v37
	;; [unrolled: 1-line block ×4, first 2 shown]
	v_add_co_u32 v39, s16, v39, -1
	s_delay_alu instid0(VALU_DEP_1)
	v_cndmask_b32_e64 v43, 0, 1, s16
	v_not_b32_e32 v202, v40
	v_cmp_gt_i32_e64 s16, 0, v40
	v_not_b32_e32 v40, v41
	v_lshlrev_b32_e32 v200, 26, v37
	v_cmp_ne_u32_e32 vcc_lo, 0, v43
	v_ashrrev_i32_e32 v202, 31, v202
	v_lshlrev_b32_e32 v201, 25, v37
	v_ashrrev_i32_e32 v40, 31, v40
	v_lshlrev_b32_e32 v43, 24, v37
	v_xor_b32_e32 v39, vcc_lo, v39
	v_cmp_gt_i32_e32 vcc_lo, 0, v41
	v_not_b32_e32 v41, v42
	v_xor_b32_e32 v202, s16, v202
	v_cmp_gt_i32_e64 s16, 0, v42
	v_and_b32_e32 v39, exec_lo, v39
	v_not_b32_e32 v42, v199
	v_ashrrev_i32_e32 v41, 31, v41
	v_xor_b32_e32 v40, vcc_lo, v40
	v_cmp_gt_i32_e32 vcc_lo, 0, v199
	v_and_b32_e32 v39, v39, v202
	v_not_b32_e32 v199, v200
	v_ashrrev_i32_e32 v42, 31, v42
	v_xor_b32_e32 v41, s16, v41
	v_cmp_gt_i32_e64 s16, 0, v200
	v_and_b32_e32 v39, v39, v40
	v_not_b32_e32 v40, v201
	v_ashrrev_i32_e32 v199, 31, v199
	v_xor_b32_e32 v42, vcc_lo, v42
	v_cmp_gt_i32_e32 vcc_lo, 0, v201
	v_and_b32_e32 v39, v39, v41
	v_not_b32_e32 v41, v43
	v_ashrrev_i32_e32 v40, 31, v40
	v_xor_b32_e32 v199, s16, v199
	v_mul_u32_u24_e32 v37, 9, v37
	v_and_b32_e32 v39, v39, v42
	v_cmp_gt_i32_e64 s16, 0, v43
	v_ashrrev_i32_e32 v41, 31, v41
	v_xor_b32_e32 v40, vcc_lo, v40
	v_add_lshl_u32 v42, v37, v128, 2
	v_and_b32_e32 v39, v39, v199
	s_delay_alu instid0(VALU_DEP_4) | instskip(SKIP_3) | instid1(VALU_DEP_2)
	v_xor_b32_e32 v37, s16, v41
	ds_load_b32 v200, v42 offset:1056
	v_and_b32_e32 v39, v39, v40
	v_add_nc_u32_e32 v202, 0x420, v42
	; wave barrier
	v_and_b32_e32 v37, v39, v37
	s_delay_alu instid0(VALU_DEP_1) | instskip(SKIP_1) | instid1(VALU_DEP_2)
	v_mbcnt_lo_u32_b32 v201, v37, 0
	v_cmp_ne_u32_e64 s16, 0, v37
	v_cmp_eq_u32_e32 vcc_lo, 0, v201
	s_delay_alu instid0(VALU_DEP_2) | instskip(NEXT) | instid1(SALU_CYCLE_1)
	s_and_b32 s17, s16, vcc_lo
	s_and_saveexec_b32 s16, s17
	s_cbranch_execz .LBB505_456
; %bb.455:                              ;   in Loop: Header=BB505_392 Depth=2
	s_waitcnt lgkmcnt(0)
	v_bcnt_u32_b32 v37, v37, v200
	ds_store_b32 v202, v37
.LBB505_456:                            ;   in Loop: Header=BB505_392 Depth=2
	s_or_b32 exec_lo, exec_lo, s16
	v_xor_b32_e32 v199, 0x7fffffff, v38
	; wave barrier
	s_delay_alu instid0(VALU_DEP_1) | instskip(NEXT) | instid1(VALU_DEP_1)
	v_lshrrev_b32_e32 v37, s38, v199
	v_and_b32_e32 v37, s39, v37
	s_delay_alu instid0(VALU_DEP_1)
	v_and_b32_e32 v38, 1, v37
	v_lshlrev_b32_e32 v39, 30, v37
	v_lshlrev_b32_e32 v40, 29, v37
	;; [unrolled: 1-line block ×4, first 2 shown]
	v_add_co_u32 v38, s16, v38, -1
	s_delay_alu instid0(VALU_DEP_1)
	v_cndmask_b32_e64 v42, 0, 1, s16
	v_not_b32_e32 v205, v39
	v_cmp_gt_i32_e64 s16, 0, v39
	v_not_b32_e32 v39, v40
	v_lshlrev_b32_e32 v203, 26, v37
	v_cmp_ne_u32_e32 vcc_lo, 0, v42
	v_ashrrev_i32_e32 v205, 31, v205
	v_lshlrev_b32_e32 v204, 25, v37
	v_ashrrev_i32_e32 v39, 31, v39
	v_lshlrev_b32_e32 v42, 24, v37
	v_xor_b32_e32 v38, vcc_lo, v38
	v_cmp_gt_i32_e32 vcc_lo, 0, v40
	v_not_b32_e32 v40, v41
	v_xor_b32_e32 v205, s16, v205
	v_cmp_gt_i32_e64 s16, 0, v41
	v_and_b32_e32 v38, exec_lo, v38
	v_not_b32_e32 v41, v43
	v_ashrrev_i32_e32 v40, 31, v40
	v_xor_b32_e32 v39, vcc_lo, v39
	v_cmp_gt_i32_e32 vcc_lo, 0, v43
	v_and_b32_e32 v38, v38, v205
	v_not_b32_e32 v43, v203
	v_ashrrev_i32_e32 v41, 31, v41
	v_xor_b32_e32 v40, s16, v40
	v_cmp_gt_i32_e64 s16, 0, v203
	v_and_b32_e32 v38, v38, v39
	v_not_b32_e32 v39, v204
	v_ashrrev_i32_e32 v43, 31, v43
	v_xor_b32_e32 v41, vcc_lo, v41
	v_cmp_gt_i32_e32 vcc_lo, 0, v204
	v_and_b32_e32 v38, v38, v40
	v_not_b32_e32 v40, v42
	v_ashrrev_i32_e32 v39, 31, v39
	v_xor_b32_e32 v43, s16, v43
	v_mul_u32_u24_e32 v37, 9, v37
	v_and_b32_e32 v38, v38, v41
	v_cmp_gt_i32_e64 s16, 0, v42
	v_ashrrev_i32_e32 v40, 31, v40
	v_xor_b32_e32 v39, vcc_lo, v39
	v_add_lshl_u32 v41, v37, v128, 2
	v_and_b32_e32 v38, v38, v43
	s_delay_alu instid0(VALU_DEP_4) | instskip(SKIP_3) | instid1(VALU_DEP_2)
	v_xor_b32_e32 v37, s16, v40
	ds_load_b32 v204, v41 offset:1056
	v_and_b32_e32 v38, v38, v39
	v_add_nc_u32_e32 v206, 0x420, v41
	; wave barrier
	v_and_b32_e32 v37, v38, v37
	s_delay_alu instid0(VALU_DEP_1) | instskip(SKIP_1) | instid1(VALU_DEP_2)
	v_mbcnt_lo_u32_b32 v205, v37, 0
	v_cmp_ne_u32_e64 s16, 0, v37
	v_cmp_eq_u32_e32 vcc_lo, 0, v205
	s_delay_alu instid0(VALU_DEP_2) | instskip(NEXT) | instid1(SALU_CYCLE_1)
	s_and_b32 s17, s16, vcc_lo
	s_and_saveexec_b32 s16, s17
	s_cbranch_execz .LBB505_458
; %bb.457:                              ;   in Loop: Header=BB505_392 Depth=2
	s_waitcnt lgkmcnt(0)
	v_bcnt_u32_b32 v37, v37, v204
	ds_store_b32 v206, v37
.LBB505_458:                            ;   in Loop: Header=BB505_392 Depth=2
	s_or_b32 exec_lo, exec_lo, s16
	v_xor_b32_e32 v203, 0x7fffffff, v36
	; wave barrier
	s_delay_alu instid0(VALU_DEP_1) | instskip(NEXT) | instid1(VALU_DEP_1)
	v_lshrrev_b32_e32 v36, s38, v203
	v_and_b32_e32 v36, s39, v36
	s_delay_alu instid0(VALU_DEP_1)
	v_and_b32_e32 v37, 1, v36
	v_lshlrev_b32_e32 v38, 30, v36
	v_lshlrev_b32_e32 v39, 29, v36
	;; [unrolled: 1-line block ×4, first 2 shown]
	v_add_co_u32 v37, s16, v37, -1
	s_delay_alu instid0(VALU_DEP_1)
	v_cndmask_b32_e64 v41, 0, 1, s16
	v_not_b32_e32 v208, v38
	v_cmp_gt_i32_e64 s16, 0, v38
	v_not_b32_e32 v38, v39
	v_lshlrev_b32_e32 v43, 26, v36
	v_cmp_ne_u32_e32 vcc_lo, 0, v41
	v_ashrrev_i32_e32 v208, 31, v208
	v_lshlrev_b32_e32 v207, 25, v36
	v_ashrrev_i32_e32 v38, 31, v38
	v_lshlrev_b32_e32 v41, 24, v36
	v_xor_b32_e32 v37, vcc_lo, v37
	v_cmp_gt_i32_e32 vcc_lo, 0, v39
	v_not_b32_e32 v39, v40
	v_xor_b32_e32 v208, s16, v208
	v_cmp_gt_i32_e64 s16, 0, v40
	v_and_b32_e32 v37, exec_lo, v37
	v_not_b32_e32 v40, v42
	v_ashrrev_i32_e32 v39, 31, v39
	v_xor_b32_e32 v38, vcc_lo, v38
	v_cmp_gt_i32_e32 vcc_lo, 0, v42
	v_and_b32_e32 v37, v37, v208
	v_not_b32_e32 v42, v43
	v_ashrrev_i32_e32 v40, 31, v40
	v_xor_b32_e32 v39, s16, v39
	v_cmp_gt_i32_e64 s16, 0, v43
	v_and_b32_e32 v37, v37, v38
	v_not_b32_e32 v38, v207
	v_ashrrev_i32_e32 v42, 31, v42
	v_xor_b32_e32 v40, vcc_lo, v40
	v_cmp_gt_i32_e32 vcc_lo, 0, v207
	v_and_b32_e32 v37, v37, v39
	v_not_b32_e32 v39, v41
	v_ashrrev_i32_e32 v38, 31, v38
	v_xor_b32_e32 v42, s16, v42
	v_mul_u32_u24_e32 v36, 9, v36
	v_and_b32_e32 v37, v37, v40
	v_cmp_gt_i32_e64 s16, 0, v41
	v_ashrrev_i32_e32 v39, 31, v39
	v_xor_b32_e32 v38, vcc_lo, v38
	v_add_lshl_u32 v40, v36, v128, 2
	v_and_b32_e32 v37, v37, v42
	s_delay_alu instid0(VALU_DEP_4) | instskip(SKIP_3) | instid1(VALU_DEP_2)
	v_xor_b32_e32 v36, s16, v39
	ds_load_b32 v207, v40 offset:1056
	v_and_b32_e32 v37, v37, v38
	v_add_nc_u32_e32 v209, 0x420, v40
	; wave barrier
	v_and_b32_e32 v36, v37, v36
	s_delay_alu instid0(VALU_DEP_1) | instskip(SKIP_1) | instid1(VALU_DEP_2)
	v_mbcnt_lo_u32_b32 v208, v36, 0
	v_cmp_ne_u32_e64 s16, 0, v36
	v_cmp_eq_u32_e32 vcc_lo, 0, v208
	s_delay_alu instid0(VALU_DEP_2) | instskip(NEXT) | instid1(SALU_CYCLE_1)
	s_and_b32 s17, s16, vcc_lo
	s_and_saveexec_b32 s16, s17
	s_cbranch_execz .LBB505_460
; %bb.459:                              ;   in Loop: Header=BB505_392 Depth=2
	s_waitcnt lgkmcnt(0)
	v_bcnt_u32_b32 v36, v36, v207
	ds_store_b32 v209, v36
.LBB505_460:                            ;   in Loop: Header=BB505_392 Depth=2
	s_or_b32 exec_lo, exec_lo, s16
	; wave barrier
	s_waitcnt lgkmcnt(0)
	s_barrier
	buffer_gl0_inv
	ds_load_b32 v210, v70 offset:1056
	ds_load_2addr_b32 v[42:43], v71 offset0:1 offset1:2
	ds_load_2addr_b32 v[40:41], v71 offset0:3 offset1:4
	;; [unrolled: 1-line block ×4, first 2 shown]
	s_waitcnt lgkmcnt(3)
	v_add3_u32 v211, v42, v210, v43
	s_waitcnt lgkmcnt(2)
	s_delay_alu instid0(VALU_DEP_1) | instskip(SKIP_1) | instid1(VALU_DEP_1)
	v_add3_u32 v211, v211, v40, v41
	s_waitcnt lgkmcnt(1)
	v_add3_u32 v211, v211, v36, v37
	s_waitcnt lgkmcnt(0)
	s_delay_alu instid0(VALU_DEP_1) | instskip(NEXT) | instid1(VALU_DEP_1)
	v_add3_u32 v39, v211, v38, v39
	v_mov_b32_dpp v211, v39 row_shr:1 row_mask:0xf bank_mask:0xf
	s_delay_alu instid0(VALU_DEP_1) | instskip(NEXT) | instid1(VALU_DEP_1)
	v_cndmask_b32_e64 v211, v211, 0, s0
	v_add_nc_u32_e32 v39, v211, v39
	s_delay_alu instid0(VALU_DEP_1) | instskip(NEXT) | instid1(VALU_DEP_1)
	v_mov_b32_dpp v211, v39 row_shr:2 row_mask:0xf bank_mask:0xf
	v_cndmask_b32_e64 v211, 0, v211, s1
	s_delay_alu instid0(VALU_DEP_1) | instskip(NEXT) | instid1(VALU_DEP_1)
	v_add_nc_u32_e32 v39, v39, v211
	v_mov_b32_dpp v211, v39 row_shr:4 row_mask:0xf bank_mask:0xf
	s_delay_alu instid0(VALU_DEP_1) | instskip(NEXT) | instid1(VALU_DEP_1)
	v_cndmask_b32_e64 v211, 0, v211, s8
	v_add_nc_u32_e32 v39, v39, v211
	s_delay_alu instid0(VALU_DEP_1) | instskip(NEXT) | instid1(VALU_DEP_1)
	v_mov_b32_dpp v211, v39 row_shr:8 row_mask:0xf bank_mask:0xf
	v_cndmask_b32_e64 v211, 0, v211, s9
	s_delay_alu instid0(VALU_DEP_1) | instskip(SKIP_3) | instid1(VALU_DEP_1)
	v_add_nc_u32_e32 v39, v39, v211
	ds_swizzle_b32 v211, v39 offset:swizzle(BROADCAST,32,15)
	s_waitcnt lgkmcnt(0)
	v_cndmask_b32_e64 v211, v211, 0, s10
	v_add_nc_u32_e32 v39, v39, v211
	s_and_saveexec_b32 s16, s3
	s_cbranch_execz .LBB505_462
; %bb.461:                              ;   in Loop: Header=BB505_392 Depth=2
	ds_store_b32 v62, v39 offset:1024
.LBB505_462:                            ;   in Loop: Header=BB505_392 Depth=2
	s_or_b32 exec_lo, exec_lo, s16
	s_waitcnt lgkmcnt(0)
	s_barrier
	buffer_gl0_inv
	s_and_saveexec_b32 s16, s4
	s_cbranch_execz .LBB505_464
; %bb.463:                              ;   in Loop: Header=BB505_392 Depth=2
	v_add_nc_u32_e32 v211, v70, v72
	ds_load_b32 v212, v211 offset:1024
	s_waitcnt lgkmcnt(0)
	v_mov_b32_dpp v213, v212 row_shr:1 row_mask:0xf bank_mask:0xf
	s_delay_alu instid0(VALU_DEP_1) | instskip(NEXT) | instid1(VALU_DEP_1)
	v_cndmask_b32_e64 v213, v213, 0, s12
	v_add_nc_u32_e32 v212, v213, v212
	s_delay_alu instid0(VALU_DEP_1) | instskip(NEXT) | instid1(VALU_DEP_1)
	v_mov_b32_dpp v213, v212 row_shr:2 row_mask:0xf bank_mask:0xf
	v_cndmask_b32_e64 v213, 0, v213, s13
	s_delay_alu instid0(VALU_DEP_1) | instskip(NEXT) | instid1(VALU_DEP_1)
	v_add_nc_u32_e32 v212, v212, v213
	v_mov_b32_dpp v213, v212 row_shr:4 row_mask:0xf bank_mask:0xf
	s_delay_alu instid0(VALU_DEP_1) | instskip(NEXT) | instid1(VALU_DEP_1)
	v_cndmask_b32_e64 v213, 0, v213, s14
	v_add_nc_u32_e32 v212, v212, v213
	ds_store_b32 v211, v212 offset:1024
.LBB505_464:                            ;   in Loop: Header=BB505_392 Depth=2
	s_or_b32 exec_lo, exec_lo, s16
	v_mov_b32_e32 v211, 0
	s_waitcnt lgkmcnt(0)
	s_barrier
	buffer_gl0_inv
	s_and_saveexec_b32 s16, s5
	s_cbranch_execz .LBB505_466
; %bb.465:                              ;   in Loop: Header=BB505_392 Depth=2
	ds_load_b32 v211, v62 offset:1020
.LBB505_466:                            ;   in Loop: Header=BB505_392 Depth=2
	s_or_b32 exec_lo, exec_lo, s16
	s_waitcnt lgkmcnt(0)
	v_add_nc_u32_e32 v39, v211, v39
	ds_bpermute_b32 v39, v107, v39
	s_waitcnt lgkmcnt(0)
	v_cndmask_b32_e64 v39, v39, v211, s11
	s_delay_alu instid0(VALU_DEP_1) | instskip(NEXT) | instid1(VALU_DEP_1)
	v_cndmask_b32_e64 v39, v39, 0, s6
	v_add_nc_u32_e32 v210, v39, v210
	s_delay_alu instid0(VALU_DEP_1) | instskip(NEXT) | instid1(VALU_DEP_1)
	v_add_nc_u32_e32 v42, v210, v42
	v_add_nc_u32_e32 v43, v42, v43
	s_delay_alu instid0(VALU_DEP_1) | instskip(NEXT) | instid1(VALU_DEP_1)
	v_add_nc_u32_e32 v40, v43, v40
	;; [unrolled: 3-line block ×3, first 2 shown]
	v_add_nc_u32_e32 v37, v36, v37
	s_delay_alu instid0(VALU_DEP_1)
	v_add_nc_u32_e32 v38, v37, v38
	ds_store_b32 v70, v39 offset:1056
	ds_store_2addr_b32 v71, v210, v42 offset0:1 offset1:2
	ds_store_2addr_b32 v71, v43, v40 offset0:3 offset1:4
	;; [unrolled: 1-line block ×4, first 2 shown]
	v_mov_b32_e32 v38, 0x1000
	s_waitcnt lgkmcnt(0)
	s_barrier
	buffer_gl0_inv
	ds_load_b32 v39, v154
	ds_load_b32 v40, v158
	;; [unrolled: 1-line block ×16, first 2 shown]
	ds_load_b32 v158, v70 offset:1056
	s_and_saveexec_b32 s16, s7
	s_cbranch_execz .LBB505_468
; %bb.467:                              ;   in Loop: Header=BB505_392 Depth=2
	ds_load_b32 v38, v73 offset:1056
.LBB505_468:                            ;   in Loop: Header=BB505_392 Depth=2
	s_or_b32 exec_lo, exec_lo, s16
	s_waitcnt lgkmcnt(0)
	s_barrier
	buffer_gl0_inv
	s_and_saveexec_b32 s16, s2
	s_cbranch_execz .LBB505_470
; %bb.469:                              ;   in Loop: Header=BB505_392 Depth=2
	ds_load_b32 v162, v44
	s_waitcnt lgkmcnt(0)
	v_sub_nc_u32_e32 v158, v162, v158
	ds_store_b32 v44, v158
.LBB505_470:                            ;   in Loop: Header=BB505_392 Depth=2
	s_or_b32 exec_lo, exec_lo, s16
	v_add_nc_u32_e32 v170, v150, v149
	v_add3_u32 v166, v153, v152, v39
	v_add3_u32 v162, v157, v156, v40
	;; [unrolled: 1-line block ×5, first 2 shown]
	v_lshlrev_b32_e32 v160, 2, v170
	v_add3_u32 v43, v201, v200, v36
	v_lshlrev_b32_e32 v36, 2, v166
	v_add3_u32 v154, v174, v173, v175
	v_add3_u32 v153, v177, v176, v178
	ds_store_b32 v160, v2 offset:1024
	v_lshlrev_b32_e32 v2, 2, v162
	ds_store_b32 v36, v148 offset:1024
	v_lshlrev_b32_e32 v36, 2, v156
	v_add3_u32 v152, v181, v180, v182
	v_add3_u32 v42, v205, v204, v37
	v_lshlrev_b32_e32 v37, 2, v158
	v_add3_u32 v150, v185, v184, v186
	v_lshlrev_b32_e32 v160, 2, v157
	v_add3_u32 v149, v189, v188, v190
	v_add3_u32 v40, v193, v192, v194
	ds_store_b32 v2, v151 offset:1024
	ds_store_b32 v37, v155 offset:1024
	;; [unrolled: 1-line block ×3, first 2 shown]
	v_lshlrev_b32_e32 v2, 2, v154
	ds_store_b32 v36, v163 offset:1024
	v_lshlrev_b32_e32 v36, 2, v153
	v_lshlrev_b32_e32 v37, 2, v152
	v_lshlrev_b32_e32 v148, 2, v150
	v_add3_u32 v39, v197, v196, v198
	v_add3_u32 v41, v208, v207, v41
	ds_store_b32 v2, v167 offset:1024
	v_lshlrev_b32_e32 v2, 2, v149
	ds_store_b32 v36, v172 offset:1024
	ds_store_b32 v37, v171 offset:1024
	;; [unrolled: 1-line block ×3, first 2 shown]
	v_lshlrev_b32_e32 v36, 2, v40
	v_cmp_lt_u32_e32 vcc_lo, v1, v147
	v_lshlrev_b32_e32 v37, 2, v43
	ds_store_b32 v2, v183 offset:1024
	v_lshlrev_b32_e32 v2, 2, v39
	ds_store_b32 v36, v187 offset:1024
	v_lshlrev_b32_e32 v36, 2, v41
	v_lshlrev_b32_e32 v148, 2, v42
	ds_store_b32 v2, v191 offset:1024
	ds_store_b32 v37, v195 offset:1024
	;; [unrolled: 1-line block ×4, first 2 shown]
	s_waitcnt lgkmcnt(0)
	s_barrier
	buffer_gl0_inv
	s_and_saveexec_b32 s17, vcc_lo
	s_cbranch_execz .LBB505_486
; %bb.471:                              ;   in Loop: Header=BB505_392 Depth=2
	v_add_nc_u32_e32 v2, v70, v72
	ds_load_b32 v148, v2 offset:1024
	s_waitcnt lgkmcnt(0)
	v_lshrrev_b32_e32 v2, s38, v148
	s_delay_alu instid0(VALU_DEP_1) | instskip(NEXT) | instid1(VALU_DEP_1)
	v_and_b32_e32 v2, s39, v2
	v_lshlrev_b32_e32 v2, 2, v2
	ds_load_b32 v2, v2
	s_waitcnt lgkmcnt(0)
	v_add_nc_u32_e32 v2, v2, v1
	s_delay_alu instid0(VALU_DEP_1) | instskip(SKIP_1) | instid1(VALU_DEP_2)
	v_lshlrev_b64 v[36:37], 2, v[2:3]
	v_xor_b32_e32 v2, 0x7fffffff, v148
	v_add_co_u32 v36, s16, s48, v36
	s_delay_alu instid0(VALU_DEP_1) | instskip(SKIP_3) | instid1(VALU_DEP_1)
	v_add_co_ci_u32_e64 v37, s16, s49, v37, s16
	global_store_b32 v[36:37], v2, off
	s_or_b32 exec_lo, exec_lo, s17
	v_cmp_lt_u32_e64 s16, v45, v147
	s_and_saveexec_b32 s18, s16
	s_cbranch_execnz .LBB505_487
.LBB505_472:                            ;   in Loop: Header=BB505_392 Depth=2
	s_or_b32 exec_lo, exec_lo, s18
	v_cmp_lt_u32_e64 s17, v46, v147
	s_delay_alu instid0(VALU_DEP_1)
	s_and_saveexec_b32 s19, s17
	s_cbranch_execz .LBB505_488
.LBB505_473:                            ;   in Loop: Header=BB505_392 Depth=2
	ds_load_b32 v148, v78 offset:2048
	s_waitcnt lgkmcnt(0)
	v_lshrrev_b32_e32 v2, s38, v148
	s_delay_alu instid0(VALU_DEP_1) | instskip(NEXT) | instid1(VALU_DEP_1)
	v_and_b32_e32 v2, s39, v2
	v_lshlrev_b32_e32 v2, 2, v2
	ds_load_b32 v2, v2
	s_waitcnt lgkmcnt(0)
	v_add_nc_u32_e32 v2, v2, v46
	s_delay_alu instid0(VALU_DEP_1) | instskip(SKIP_1) | instid1(VALU_DEP_2)
	v_lshlrev_b64 v[36:37], 2, v[2:3]
	v_xor_b32_e32 v2, 0x7fffffff, v148
	v_add_co_u32 v36, s18, s48, v36
	s_delay_alu instid0(VALU_DEP_1) | instskip(SKIP_3) | instid1(VALU_DEP_1)
	v_add_co_ci_u32_e64 v37, s18, s49, v37, s18
	global_store_b32 v[36:37], v2, off
	s_or_b32 exec_lo, exec_lo, s19
	v_cmp_lt_u32_e64 s18, v47, v147
	s_and_saveexec_b32 s20, s18
	s_cbranch_execnz .LBB505_489
.LBB505_474:                            ;   in Loop: Header=BB505_392 Depth=2
	s_or_b32 exec_lo, exec_lo, s20
	v_cmp_lt_u32_e64 s19, v51, v147
	s_delay_alu instid0(VALU_DEP_1)
	s_and_saveexec_b32 s21, s19
	s_cbranch_execz .LBB505_490
.LBB505_475:                            ;   in Loop: Header=BB505_392 Depth=2
	ds_load_b32 v148, v78 offset:4096
	s_waitcnt lgkmcnt(0)
	v_lshrrev_b32_e32 v2, s38, v148
	s_delay_alu instid0(VALU_DEP_1) | instskip(NEXT) | instid1(VALU_DEP_1)
	v_and_b32_e32 v2, s39, v2
	v_lshlrev_b32_e32 v2, 2, v2
	ds_load_b32 v2, v2
	s_waitcnt lgkmcnt(0)
	v_add_nc_u32_e32 v2, v2, v51
	s_delay_alu instid0(VALU_DEP_1) | instskip(SKIP_1) | instid1(VALU_DEP_2)
	v_lshlrev_b64 v[36:37], 2, v[2:3]
	v_xor_b32_e32 v2, 0x7fffffff, v148
	v_add_co_u32 v36, s20, s48, v36
	s_delay_alu instid0(VALU_DEP_1) | instskip(SKIP_3) | instid1(VALU_DEP_1)
	v_add_co_ci_u32_e64 v37, s20, s49, v37, s20
	global_store_b32 v[36:37], v2, off
	s_or_b32 exec_lo, exec_lo, s21
	v_cmp_lt_u32_e64 s20, v52, v147
	s_and_saveexec_b32 s22, s20
	s_cbranch_execnz .LBB505_491
.LBB505_476:                            ;   in Loop: Header=BB505_392 Depth=2
	s_or_b32 exec_lo, exec_lo, s22
	v_cmp_lt_u32_e64 s21, v53, v147
	s_delay_alu instid0(VALU_DEP_1)
	s_and_saveexec_b32 s23, s21
	s_cbranch_execz .LBB505_492
.LBB505_477:                            ;   in Loop: Header=BB505_392 Depth=2
	ds_load_b32 v148, v78 offset:6144
	s_waitcnt lgkmcnt(0)
	v_lshrrev_b32_e32 v2, s38, v148
	s_delay_alu instid0(VALU_DEP_1) | instskip(NEXT) | instid1(VALU_DEP_1)
	v_and_b32_e32 v2, s39, v2
	v_lshlrev_b32_e32 v2, 2, v2
	ds_load_b32 v2, v2
	s_waitcnt lgkmcnt(0)
	v_add_nc_u32_e32 v2, v2, v53
	s_delay_alu instid0(VALU_DEP_1) | instskip(SKIP_1) | instid1(VALU_DEP_2)
	v_lshlrev_b64 v[36:37], 2, v[2:3]
	v_xor_b32_e32 v2, 0x7fffffff, v148
	v_add_co_u32 v36, s22, s48, v36
	s_delay_alu instid0(VALU_DEP_1) | instskip(SKIP_3) | instid1(VALU_DEP_1)
	v_add_co_ci_u32_e64 v37, s22, s49, v37, s22
	global_store_b32 v[36:37], v2, off
	s_or_b32 exec_lo, exec_lo, s23
	v_cmp_lt_u32_e64 s22, v54, v147
	s_and_saveexec_b32 s24, s22
	s_cbranch_execnz .LBB505_493
.LBB505_478:                            ;   in Loop: Header=BB505_392 Depth=2
	s_or_b32 exec_lo, exec_lo, s24
	v_cmp_lt_u32_e64 s23, v55, v147
	s_delay_alu instid0(VALU_DEP_1)
	s_and_saveexec_b32 s25, s23
	s_cbranch_execz .LBB505_494
.LBB505_479:                            ;   in Loop: Header=BB505_392 Depth=2
	ds_load_b32 v148, v78 offset:8192
	s_waitcnt lgkmcnt(0)
	v_lshrrev_b32_e32 v2, s38, v148
	s_delay_alu instid0(VALU_DEP_1) | instskip(NEXT) | instid1(VALU_DEP_1)
	v_and_b32_e32 v2, s39, v2
	v_lshlrev_b32_e32 v2, 2, v2
	ds_load_b32 v2, v2
	s_waitcnt lgkmcnt(0)
	v_add_nc_u32_e32 v2, v2, v55
	s_delay_alu instid0(VALU_DEP_1) | instskip(SKIP_1) | instid1(VALU_DEP_2)
	v_lshlrev_b64 v[36:37], 2, v[2:3]
	v_xor_b32_e32 v2, 0x7fffffff, v148
	v_add_co_u32 v36, s24, s48, v36
	s_delay_alu instid0(VALU_DEP_1) | instskip(SKIP_3) | instid1(VALU_DEP_1)
	v_add_co_ci_u32_e64 v37, s24, s49, v37, s24
	global_store_b32 v[36:37], v2, off
	s_or_b32 exec_lo, exec_lo, s25
	v_cmp_lt_u32_e64 s24, v56, v147
	s_and_saveexec_b32 s27, s24
	s_cbranch_execnz .LBB505_495
.LBB505_480:                            ;   in Loop: Header=BB505_392 Depth=2
	s_or_b32 exec_lo, exec_lo, s27
	v_cmp_lt_u32_e64 s25, v57, v147
	s_delay_alu instid0(VALU_DEP_1)
	s_and_saveexec_b32 s28, s25
	s_cbranch_execz .LBB505_496
.LBB505_481:                            ;   in Loop: Header=BB505_392 Depth=2
	ds_load_b32 v148, v78 offset:10240
	s_waitcnt lgkmcnt(0)
	v_lshrrev_b32_e32 v2, s38, v148
	s_delay_alu instid0(VALU_DEP_1) | instskip(NEXT) | instid1(VALU_DEP_1)
	v_and_b32_e32 v2, s39, v2
	v_lshlrev_b32_e32 v2, 2, v2
	ds_load_b32 v2, v2
	s_waitcnt lgkmcnt(0)
	v_add_nc_u32_e32 v2, v2, v57
	s_delay_alu instid0(VALU_DEP_1) | instskip(SKIP_1) | instid1(VALU_DEP_2)
	v_lshlrev_b64 v[36:37], 2, v[2:3]
	v_xor_b32_e32 v2, 0x7fffffff, v148
	v_add_co_u32 v36, s27, s48, v36
	s_delay_alu instid0(VALU_DEP_1) | instskip(SKIP_3) | instid1(VALU_DEP_1)
	v_add_co_ci_u32_e64 v37, s27, s49, v37, s27
	global_store_b32 v[36:37], v2, off
	s_or_b32 exec_lo, exec_lo, s28
	v_cmp_lt_u32_e64 s27, v58, v147
	s_and_saveexec_b32 s29, s27
	s_cbranch_execnz .LBB505_497
.LBB505_482:                            ;   in Loop: Header=BB505_392 Depth=2
	s_or_b32 exec_lo, exec_lo, s29
	v_cmp_lt_u32_e64 s28, v59, v147
	s_delay_alu instid0(VALU_DEP_1)
	s_and_saveexec_b32 s30, s28
	s_cbranch_execz .LBB505_498
.LBB505_483:                            ;   in Loop: Header=BB505_392 Depth=2
	ds_load_b32 v148, v78 offset:12288
	s_waitcnt lgkmcnt(0)
	v_lshrrev_b32_e32 v2, s38, v148
	s_delay_alu instid0(VALU_DEP_1) | instskip(NEXT) | instid1(VALU_DEP_1)
	v_and_b32_e32 v2, s39, v2
	v_lshlrev_b32_e32 v2, 2, v2
	ds_load_b32 v2, v2
	s_waitcnt lgkmcnt(0)
	v_add_nc_u32_e32 v2, v2, v59
	s_delay_alu instid0(VALU_DEP_1) | instskip(SKIP_1) | instid1(VALU_DEP_2)
	v_lshlrev_b64 v[36:37], 2, v[2:3]
	v_xor_b32_e32 v2, 0x7fffffff, v148
	v_add_co_u32 v36, s29, s48, v36
	s_delay_alu instid0(VALU_DEP_1) | instskip(SKIP_3) | instid1(VALU_DEP_1)
	v_add_co_ci_u32_e64 v37, s29, s49, v37, s29
	global_store_b32 v[36:37], v2, off
	s_or_b32 exec_lo, exec_lo, s30
	v_cmp_lt_u32_e64 s29, v60, v147
	s_and_saveexec_b32 s31, s29
	s_cbranch_execnz .LBB505_499
.LBB505_484:                            ;   in Loop: Header=BB505_392 Depth=2
	s_or_b32 exec_lo, exec_lo, s31
	v_cmp_lt_u32_e64 s30, v61, v147
	s_delay_alu instid0(VALU_DEP_1)
	s_and_saveexec_b32 s33, s30
	s_cbranch_execz .LBB505_500
.LBB505_485:                            ;   in Loop: Header=BB505_392 Depth=2
	ds_load_b32 v148, v78 offset:14336
	s_waitcnt lgkmcnt(0)
	v_lshrrev_b32_e32 v2, s38, v148
	s_delay_alu instid0(VALU_DEP_1) | instskip(NEXT) | instid1(VALU_DEP_1)
	v_and_b32_e32 v2, s39, v2
	v_lshlrev_b32_e32 v2, 2, v2
	ds_load_b32 v2, v2
	s_waitcnt lgkmcnt(0)
	v_add_nc_u32_e32 v2, v2, v61
	s_delay_alu instid0(VALU_DEP_1) | instskip(SKIP_1) | instid1(VALU_DEP_2)
	v_lshlrev_b64 v[36:37], 2, v[2:3]
	v_xor_b32_e32 v2, 0x7fffffff, v148
	v_add_co_u32 v36, s31, s48, v36
	s_delay_alu instid0(VALU_DEP_1) | instskip(SKIP_3) | instid1(VALU_DEP_1)
	v_add_co_ci_u32_e64 v37, s31, s49, v37, s31
	global_store_b32 v[36:37], v2, off
	s_or_b32 exec_lo, exec_lo, s33
	v_cmp_lt_u32_e64 s31, v63, v147
	s_and_saveexec_b32 s42, s31
	s_cbranch_execnz .LBB505_501
	s_branch .LBB505_502
.LBB505_486:                            ;   in Loop: Header=BB505_392 Depth=2
	s_or_b32 exec_lo, exec_lo, s17
	v_cmp_lt_u32_e64 s16, v45, v147
	s_delay_alu instid0(VALU_DEP_1)
	s_and_saveexec_b32 s18, s16
	s_cbranch_execz .LBB505_472
.LBB505_487:                            ;   in Loop: Header=BB505_392 Depth=2
	ds_load_b32 v148, v78 offset:1024
	s_waitcnt lgkmcnt(0)
	v_lshrrev_b32_e32 v2, s38, v148
	s_delay_alu instid0(VALU_DEP_1) | instskip(NEXT) | instid1(VALU_DEP_1)
	v_and_b32_e32 v2, s39, v2
	v_lshlrev_b32_e32 v2, 2, v2
	ds_load_b32 v2, v2
	s_waitcnt lgkmcnt(0)
	v_add_nc_u32_e32 v2, v2, v45
	s_delay_alu instid0(VALU_DEP_1) | instskip(SKIP_1) | instid1(VALU_DEP_2)
	v_lshlrev_b64 v[36:37], 2, v[2:3]
	v_xor_b32_e32 v2, 0x7fffffff, v148
	v_add_co_u32 v36, s17, s48, v36
	s_delay_alu instid0(VALU_DEP_1) | instskip(SKIP_3) | instid1(VALU_DEP_1)
	v_add_co_ci_u32_e64 v37, s17, s49, v37, s17
	global_store_b32 v[36:37], v2, off
	s_or_b32 exec_lo, exec_lo, s18
	v_cmp_lt_u32_e64 s17, v46, v147
	s_and_saveexec_b32 s19, s17
	s_cbranch_execnz .LBB505_473
.LBB505_488:                            ;   in Loop: Header=BB505_392 Depth=2
	s_or_b32 exec_lo, exec_lo, s19
	v_cmp_lt_u32_e64 s18, v47, v147
	s_delay_alu instid0(VALU_DEP_1)
	s_and_saveexec_b32 s20, s18
	s_cbranch_execz .LBB505_474
.LBB505_489:                            ;   in Loop: Header=BB505_392 Depth=2
	ds_load_b32 v148, v78 offset:3072
	s_waitcnt lgkmcnt(0)
	v_lshrrev_b32_e32 v2, s38, v148
	s_delay_alu instid0(VALU_DEP_1) | instskip(NEXT) | instid1(VALU_DEP_1)
	v_and_b32_e32 v2, s39, v2
	v_lshlrev_b32_e32 v2, 2, v2
	ds_load_b32 v2, v2
	s_waitcnt lgkmcnt(0)
	v_add_nc_u32_e32 v2, v2, v47
	s_delay_alu instid0(VALU_DEP_1) | instskip(SKIP_1) | instid1(VALU_DEP_2)
	v_lshlrev_b64 v[36:37], 2, v[2:3]
	v_xor_b32_e32 v2, 0x7fffffff, v148
	v_add_co_u32 v36, s19, s48, v36
	s_delay_alu instid0(VALU_DEP_1) | instskip(SKIP_3) | instid1(VALU_DEP_1)
	v_add_co_ci_u32_e64 v37, s19, s49, v37, s19
	global_store_b32 v[36:37], v2, off
	s_or_b32 exec_lo, exec_lo, s20
	v_cmp_lt_u32_e64 s19, v51, v147
	s_and_saveexec_b32 s21, s19
	s_cbranch_execnz .LBB505_475
.LBB505_490:                            ;   in Loop: Header=BB505_392 Depth=2
	s_or_b32 exec_lo, exec_lo, s21
	v_cmp_lt_u32_e64 s20, v52, v147
	s_delay_alu instid0(VALU_DEP_1)
	s_and_saveexec_b32 s22, s20
	s_cbranch_execz .LBB505_476
.LBB505_491:                            ;   in Loop: Header=BB505_392 Depth=2
	ds_load_b32 v148, v78 offset:5120
	s_waitcnt lgkmcnt(0)
	v_lshrrev_b32_e32 v2, s38, v148
	s_delay_alu instid0(VALU_DEP_1) | instskip(NEXT) | instid1(VALU_DEP_1)
	v_and_b32_e32 v2, s39, v2
	v_lshlrev_b32_e32 v2, 2, v2
	ds_load_b32 v2, v2
	s_waitcnt lgkmcnt(0)
	v_add_nc_u32_e32 v2, v2, v52
	s_delay_alu instid0(VALU_DEP_1) | instskip(SKIP_1) | instid1(VALU_DEP_2)
	v_lshlrev_b64 v[36:37], 2, v[2:3]
	v_xor_b32_e32 v2, 0x7fffffff, v148
	v_add_co_u32 v36, s21, s48, v36
	s_delay_alu instid0(VALU_DEP_1) | instskip(SKIP_3) | instid1(VALU_DEP_1)
	v_add_co_ci_u32_e64 v37, s21, s49, v37, s21
	global_store_b32 v[36:37], v2, off
	s_or_b32 exec_lo, exec_lo, s22
	v_cmp_lt_u32_e64 s21, v53, v147
	s_and_saveexec_b32 s23, s21
	s_cbranch_execnz .LBB505_477
.LBB505_492:                            ;   in Loop: Header=BB505_392 Depth=2
	s_or_b32 exec_lo, exec_lo, s23
	v_cmp_lt_u32_e64 s22, v54, v147
	s_delay_alu instid0(VALU_DEP_1)
	s_and_saveexec_b32 s24, s22
	s_cbranch_execz .LBB505_478
.LBB505_493:                            ;   in Loop: Header=BB505_392 Depth=2
	ds_load_b32 v148, v78 offset:7168
	s_waitcnt lgkmcnt(0)
	v_lshrrev_b32_e32 v2, s38, v148
	s_delay_alu instid0(VALU_DEP_1) | instskip(NEXT) | instid1(VALU_DEP_1)
	v_and_b32_e32 v2, s39, v2
	v_lshlrev_b32_e32 v2, 2, v2
	ds_load_b32 v2, v2
	s_waitcnt lgkmcnt(0)
	v_add_nc_u32_e32 v2, v2, v54
	s_delay_alu instid0(VALU_DEP_1) | instskip(SKIP_1) | instid1(VALU_DEP_2)
	v_lshlrev_b64 v[36:37], 2, v[2:3]
	v_xor_b32_e32 v2, 0x7fffffff, v148
	v_add_co_u32 v36, s23, s48, v36
	s_delay_alu instid0(VALU_DEP_1) | instskip(SKIP_3) | instid1(VALU_DEP_1)
	v_add_co_ci_u32_e64 v37, s23, s49, v37, s23
	global_store_b32 v[36:37], v2, off
	s_or_b32 exec_lo, exec_lo, s24
	v_cmp_lt_u32_e64 s23, v55, v147
	s_and_saveexec_b32 s25, s23
	s_cbranch_execnz .LBB505_479
.LBB505_494:                            ;   in Loop: Header=BB505_392 Depth=2
	s_or_b32 exec_lo, exec_lo, s25
	v_cmp_lt_u32_e64 s24, v56, v147
	s_delay_alu instid0(VALU_DEP_1)
	s_and_saveexec_b32 s27, s24
	s_cbranch_execz .LBB505_480
.LBB505_495:                            ;   in Loop: Header=BB505_392 Depth=2
	ds_load_b32 v148, v78 offset:9216
	s_waitcnt lgkmcnt(0)
	v_lshrrev_b32_e32 v2, s38, v148
	s_delay_alu instid0(VALU_DEP_1) | instskip(NEXT) | instid1(VALU_DEP_1)
	v_and_b32_e32 v2, s39, v2
	v_lshlrev_b32_e32 v2, 2, v2
	ds_load_b32 v2, v2
	s_waitcnt lgkmcnt(0)
	v_add_nc_u32_e32 v2, v2, v56
	s_delay_alu instid0(VALU_DEP_1) | instskip(SKIP_1) | instid1(VALU_DEP_2)
	v_lshlrev_b64 v[36:37], 2, v[2:3]
	v_xor_b32_e32 v2, 0x7fffffff, v148
	v_add_co_u32 v36, s25, s48, v36
	s_delay_alu instid0(VALU_DEP_1) | instskip(SKIP_3) | instid1(VALU_DEP_1)
	v_add_co_ci_u32_e64 v37, s25, s49, v37, s25
	global_store_b32 v[36:37], v2, off
	s_or_b32 exec_lo, exec_lo, s27
	v_cmp_lt_u32_e64 s25, v57, v147
	s_and_saveexec_b32 s28, s25
	s_cbranch_execnz .LBB505_481
.LBB505_496:                            ;   in Loop: Header=BB505_392 Depth=2
	s_or_b32 exec_lo, exec_lo, s28
	v_cmp_lt_u32_e64 s27, v58, v147
	s_delay_alu instid0(VALU_DEP_1)
	s_and_saveexec_b32 s29, s27
	s_cbranch_execz .LBB505_482
.LBB505_497:                            ;   in Loop: Header=BB505_392 Depth=2
	ds_load_b32 v148, v78 offset:11264
	s_waitcnt lgkmcnt(0)
	v_lshrrev_b32_e32 v2, s38, v148
	s_delay_alu instid0(VALU_DEP_1) | instskip(NEXT) | instid1(VALU_DEP_1)
	v_and_b32_e32 v2, s39, v2
	v_lshlrev_b32_e32 v2, 2, v2
	ds_load_b32 v2, v2
	s_waitcnt lgkmcnt(0)
	v_add_nc_u32_e32 v2, v2, v58
	s_delay_alu instid0(VALU_DEP_1) | instskip(SKIP_1) | instid1(VALU_DEP_2)
	v_lshlrev_b64 v[36:37], 2, v[2:3]
	v_xor_b32_e32 v2, 0x7fffffff, v148
	v_add_co_u32 v36, s28, s48, v36
	s_delay_alu instid0(VALU_DEP_1) | instskip(SKIP_3) | instid1(VALU_DEP_1)
	v_add_co_ci_u32_e64 v37, s28, s49, v37, s28
	global_store_b32 v[36:37], v2, off
	s_or_b32 exec_lo, exec_lo, s29
	v_cmp_lt_u32_e64 s28, v59, v147
	s_and_saveexec_b32 s30, s28
	s_cbranch_execnz .LBB505_483
.LBB505_498:                            ;   in Loop: Header=BB505_392 Depth=2
	s_or_b32 exec_lo, exec_lo, s30
	v_cmp_lt_u32_e64 s29, v60, v147
	s_delay_alu instid0(VALU_DEP_1)
	s_and_saveexec_b32 s31, s29
	s_cbranch_execz .LBB505_484
.LBB505_499:                            ;   in Loop: Header=BB505_392 Depth=2
	ds_load_b32 v148, v78 offset:13312
	s_waitcnt lgkmcnt(0)
	v_lshrrev_b32_e32 v2, s38, v148
	s_delay_alu instid0(VALU_DEP_1) | instskip(NEXT) | instid1(VALU_DEP_1)
	v_and_b32_e32 v2, s39, v2
	v_lshlrev_b32_e32 v2, 2, v2
	ds_load_b32 v2, v2
	s_waitcnt lgkmcnt(0)
	v_add_nc_u32_e32 v2, v2, v60
	s_delay_alu instid0(VALU_DEP_1) | instskip(SKIP_1) | instid1(VALU_DEP_2)
	v_lshlrev_b64 v[36:37], 2, v[2:3]
	v_xor_b32_e32 v2, 0x7fffffff, v148
	v_add_co_u32 v36, s30, s48, v36
	s_delay_alu instid0(VALU_DEP_1) | instskip(SKIP_3) | instid1(VALU_DEP_1)
	v_add_co_ci_u32_e64 v37, s30, s49, v37, s30
	global_store_b32 v[36:37], v2, off
	s_or_b32 exec_lo, exec_lo, s31
	v_cmp_lt_u32_e64 s30, v61, v147
	s_and_saveexec_b32 s33, s30
	s_cbranch_execnz .LBB505_485
.LBB505_500:                            ;   in Loop: Header=BB505_392 Depth=2
	s_or_b32 exec_lo, exec_lo, s33
	v_cmp_lt_u32_e64 s31, v63, v147
	s_delay_alu instid0(VALU_DEP_1)
	s_and_saveexec_b32 s42, s31
	s_cbranch_execz .LBB505_502
.LBB505_501:                            ;   in Loop: Header=BB505_392 Depth=2
	ds_load_b32 v148, v78 offset:15360
	s_waitcnt lgkmcnt(0)
	v_lshrrev_b32_e32 v2, s38, v148
	s_delay_alu instid0(VALU_DEP_1) | instskip(NEXT) | instid1(VALU_DEP_1)
	v_and_b32_e32 v2, s39, v2
	v_lshlrev_b32_e32 v2, 2, v2
	ds_load_b32 v2, v2
	s_waitcnt lgkmcnt(0)
	v_add_nc_u32_e32 v2, v2, v63
	s_delay_alu instid0(VALU_DEP_1) | instskip(SKIP_1) | instid1(VALU_DEP_2)
	v_lshlrev_b64 v[36:37], 2, v[2:3]
	v_xor_b32_e32 v2, 0x7fffffff, v148
	v_add_co_u32 v36, s33, s48, v36
	s_delay_alu instid0(VALU_DEP_1)
	v_add_co_ci_u32_e64 v37, s33, s49, v37, s33
	global_store_b32 v[36:37], v2, off
.LBB505_502:                            ;   in Loop: Header=BB505_392 Depth=2
	s_or_b32 exec_lo, exec_lo, s42
	s_lshl_b64 s[42:43], s[34:35], 3
	s_delay_alu instid0(SALU_CYCLE_1) | instskip(NEXT) | instid1(VALU_DEP_1)
	v_add_co_u32 v36, s33, v109, s42
	v_add_co_ci_u32_e64 v37, s33, s43, v110, s33
	v_cmp_lt_u32_e64 s33, v108, v147
	s_delay_alu instid0(VALU_DEP_1) | instskip(NEXT) | instid1(SALU_CYCLE_1)
	s_and_saveexec_b32 s34, s33
	s_xor_b32 s33, exec_lo, s34
	s_cbranch_execz .LBB505_534
; %bb.503:                              ;   in Loop: Header=BB505_392 Depth=2
	global_load_b64 v[34:35], v[36:37], off
	s_or_b32 exec_lo, exec_lo, s33
	s_delay_alu instid0(SALU_CYCLE_1)
	s_mov_b32 s34, exec_lo
	v_cmpx_lt_u32_e64 v111, v147
	s_cbranch_execnz .LBB505_535
.LBB505_504:                            ;   in Loop: Header=BB505_392 Depth=2
	s_or_b32 exec_lo, exec_lo, s34
	s_delay_alu instid0(SALU_CYCLE_1)
	s_mov_b32 s34, exec_lo
	v_cmpx_lt_u32_e64 v112, v147
	s_cbranch_execz .LBB505_536
.LBB505_505:                            ;   in Loop: Header=BB505_392 Depth=2
	global_load_b64 v[30:31], v[36:37], off offset:512
	s_or_b32 exec_lo, exec_lo, s34
	s_delay_alu instid0(SALU_CYCLE_1)
	s_mov_b32 s34, exec_lo
	v_cmpx_lt_u32_e64 v113, v147
	s_cbranch_execnz .LBB505_537
.LBB505_506:                            ;   in Loop: Header=BB505_392 Depth=2
	s_or_b32 exec_lo, exec_lo, s34
	s_delay_alu instid0(SALU_CYCLE_1)
	s_mov_b32 s34, exec_lo
	v_cmpx_lt_u32_e64 v114, v147
	s_cbranch_execz .LBB505_538
.LBB505_507:                            ;   in Loop: Header=BB505_392 Depth=2
	global_load_b64 v[26:27], v[36:37], off offset:1024
	s_or_b32 exec_lo, exec_lo, s34
	s_delay_alu instid0(SALU_CYCLE_1)
	s_mov_b32 s34, exec_lo
	v_cmpx_lt_u32_e64 v115, v147
	s_cbranch_execnz .LBB505_539
.LBB505_508:                            ;   in Loop: Header=BB505_392 Depth=2
	s_or_b32 exec_lo, exec_lo, s34
	s_delay_alu instid0(SALU_CYCLE_1)
	s_mov_b32 s34, exec_lo
	v_cmpx_lt_u32_e64 v116, v147
	s_cbranch_execz .LBB505_540
.LBB505_509:                            ;   in Loop: Header=BB505_392 Depth=2
	global_load_b64 v[22:23], v[36:37], off offset:1536
	s_or_b32 exec_lo, exec_lo, s34
	s_delay_alu instid0(SALU_CYCLE_1)
	s_mov_b32 s34, exec_lo
	v_cmpx_lt_u32_e64 v117, v147
	s_cbranch_execnz .LBB505_541
.LBB505_510:                            ;   in Loop: Header=BB505_392 Depth=2
	s_or_b32 exec_lo, exec_lo, s34
	s_delay_alu instid0(SALU_CYCLE_1)
	s_mov_b32 s34, exec_lo
	v_cmpx_lt_u32_e64 v118, v147
	s_cbranch_execz .LBB505_542
.LBB505_511:                            ;   in Loop: Header=BB505_392 Depth=2
	global_load_b64 v[18:19], v[36:37], off offset:2048
	s_or_b32 exec_lo, exec_lo, s34
	s_delay_alu instid0(SALU_CYCLE_1)
	s_mov_b32 s34, exec_lo
	v_cmpx_lt_u32_e64 v119, v147
	s_cbranch_execnz .LBB505_543
.LBB505_512:                            ;   in Loop: Header=BB505_392 Depth=2
	s_or_b32 exec_lo, exec_lo, s34
	s_delay_alu instid0(SALU_CYCLE_1)
	s_mov_b32 s34, exec_lo
	v_cmpx_lt_u32_e64 v120, v147
	s_cbranch_execz .LBB505_544
.LBB505_513:                            ;   in Loop: Header=BB505_392 Depth=2
	global_load_b64 v[14:15], v[36:37], off offset:2560
	s_or_b32 exec_lo, exec_lo, s34
	s_delay_alu instid0(SALU_CYCLE_1)
	s_mov_b32 s34, exec_lo
	v_cmpx_lt_u32_e64 v121, v147
	s_cbranch_execnz .LBB505_545
.LBB505_514:                            ;   in Loop: Header=BB505_392 Depth=2
	s_or_b32 exec_lo, exec_lo, s34
	s_delay_alu instid0(SALU_CYCLE_1)
	s_mov_b32 s34, exec_lo
	v_cmpx_lt_u32_e64 v122, v147
	s_cbranch_execz .LBB505_546
.LBB505_515:                            ;   in Loop: Header=BB505_392 Depth=2
	global_load_b64 v[10:11], v[36:37], off offset:3072
	s_or_b32 exec_lo, exec_lo, s34
	s_delay_alu instid0(SALU_CYCLE_1)
	s_mov_b32 s34, exec_lo
	v_cmpx_lt_u32_e64 v123, v147
	s_cbranch_execnz .LBB505_547
.LBB505_516:                            ;   in Loop: Header=BB505_392 Depth=2
	s_or_b32 exec_lo, exec_lo, s34
	s_delay_alu instid0(SALU_CYCLE_1)
	s_mov_b32 s34, exec_lo
	v_cmpx_lt_u32_e64 v124, v147
	s_cbranch_execz .LBB505_548
.LBB505_517:                            ;   in Loop: Header=BB505_392 Depth=2
	global_load_b64 v[6:7], v[36:37], off offset:3584
	s_or_b32 exec_lo, exec_lo, s34
	s_delay_alu instid0(SALU_CYCLE_1)
	s_mov_b32 s34, exec_lo
	v_cmpx_lt_u32_e64 v125, v147
	s_cbranch_execnz .LBB505_549
.LBB505_518:                            ;   in Loop: Header=BB505_392 Depth=2
	s_or_b32 exec_lo, exec_lo, s34
	s_and_saveexec_b32 s33, vcc_lo
	s_cbranch_execz .LBB505_550
.LBB505_519:                            ;   in Loop: Header=BB505_392 Depth=2
	v_add_nc_u32_e32 v2, v70, v72
	ds_load_b32 v2, v2 offset:1024
	s_waitcnt lgkmcnt(0)
	v_lshrrev_b32_e32 v2, s38, v2
	s_delay_alu instid0(VALU_DEP_1)
	v_and_b32_e32 v146, s39, v2
	s_or_b32 exec_lo, exec_lo, s33
	s_and_saveexec_b32 s33, s16
	s_cbranch_execnz .LBB505_551
.LBB505_520:                            ;   in Loop: Header=BB505_392 Depth=2
	s_or_b32 exec_lo, exec_lo, s33
	s_and_saveexec_b32 s33, s17
	s_cbranch_execz .LBB505_552
.LBB505_521:                            ;   in Loop: Header=BB505_392 Depth=2
	ds_load_b32 v2, v78 offset:2048
	s_waitcnt lgkmcnt(0)
	v_lshrrev_b32_e32 v2, s38, v2
	s_delay_alu instid0(VALU_DEP_1)
	v_and_b32_e32 v144, s39, v2
	s_or_b32 exec_lo, exec_lo, s33
	s_and_saveexec_b32 s33, s18
	s_cbranch_execnz .LBB505_553
.LBB505_522:                            ;   in Loop: Header=BB505_392 Depth=2
	s_or_b32 exec_lo, exec_lo, s33
	s_and_saveexec_b32 s33, s19
	s_cbranch_execz .LBB505_554
.LBB505_523:                            ;   in Loop: Header=BB505_392 Depth=2
	ds_load_b32 v2, v78 offset:4096
	s_waitcnt lgkmcnt(0)
	v_lshrrev_b32_e32 v2, s38, v2
	s_delay_alu instid0(VALU_DEP_1)
	v_and_b32_e32 v142, s39, v2
	s_or_b32 exec_lo, exec_lo, s33
	s_and_saveexec_b32 s33, s20
	s_cbranch_execnz .LBB505_555
.LBB505_524:                            ;   in Loop: Header=BB505_392 Depth=2
	s_or_b32 exec_lo, exec_lo, s33
	s_and_saveexec_b32 s33, s21
	s_cbranch_execz .LBB505_556
.LBB505_525:                            ;   in Loop: Header=BB505_392 Depth=2
	ds_load_b32 v2, v78 offset:6144
	s_waitcnt lgkmcnt(0)
	v_lshrrev_b32_e32 v2, s38, v2
	s_delay_alu instid0(VALU_DEP_1)
	v_and_b32_e32 v140, s39, v2
	s_or_b32 exec_lo, exec_lo, s33
	s_and_saveexec_b32 s33, s22
	s_cbranch_execnz .LBB505_557
.LBB505_526:                            ;   in Loop: Header=BB505_392 Depth=2
	s_or_b32 exec_lo, exec_lo, s33
	s_and_saveexec_b32 s33, s23
	s_cbranch_execz .LBB505_558
.LBB505_527:                            ;   in Loop: Header=BB505_392 Depth=2
	ds_load_b32 v2, v78 offset:8192
	s_waitcnt lgkmcnt(0)
	v_lshrrev_b32_e32 v2, s38, v2
	s_delay_alu instid0(VALU_DEP_1)
	v_and_b32_e32 v138, s39, v2
	s_or_b32 exec_lo, exec_lo, s33
	s_and_saveexec_b32 s33, s24
	s_cbranch_execnz .LBB505_559
.LBB505_528:                            ;   in Loop: Header=BB505_392 Depth=2
	s_or_b32 exec_lo, exec_lo, s33
	s_and_saveexec_b32 s33, s25
	s_cbranch_execz .LBB505_560
.LBB505_529:                            ;   in Loop: Header=BB505_392 Depth=2
	ds_load_b32 v2, v78 offset:10240
	s_waitcnt lgkmcnt(0)
	v_lshrrev_b32_e32 v2, s38, v2
	s_delay_alu instid0(VALU_DEP_1)
	v_and_b32_e32 v136, s39, v2
	s_or_b32 exec_lo, exec_lo, s33
	s_and_saveexec_b32 s33, s27
	s_cbranch_execnz .LBB505_561
.LBB505_530:                            ;   in Loop: Header=BB505_392 Depth=2
	s_or_b32 exec_lo, exec_lo, s33
	s_and_saveexec_b32 s33, s28
	s_cbranch_execz .LBB505_562
.LBB505_531:                            ;   in Loop: Header=BB505_392 Depth=2
	ds_load_b32 v2, v78 offset:12288
	s_waitcnt lgkmcnt(0)
	v_lshrrev_b32_e32 v2, s38, v2
	s_delay_alu instid0(VALU_DEP_1)
	v_and_b32_e32 v134, s39, v2
	s_or_b32 exec_lo, exec_lo, s33
	s_and_saveexec_b32 s33, s29
	s_cbranch_execnz .LBB505_563
.LBB505_532:                            ;   in Loop: Header=BB505_392 Depth=2
	s_or_b32 exec_lo, exec_lo, s33
	s_and_saveexec_b32 s33, s30
	s_cbranch_execz .LBB505_564
.LBB505_533:                            ;   in Loop: Header=BB505_392 Depth=2
	ds_load_b32 v2, v78 offset:14336
	s_waitcnt lgkmcnt(0)
	v_lshrrev_b32_e32 v2, s38, v2
	s_delay_alu instid0(VALU_DEP_1)
	v_and_b32_e32 v132, s39, v2
	s_or_b32 exec_lo, exec_lo, s33
	s_and_saveexec_b32 s33, s31
	s_cbranch_execnz .LBB505_565
	s_branch .LBB505_566
.LBB505_534:                            ;   in Loop: Header=BB505_392 Depth=2
	s_or_b32 exec_lo, exec_lo, s33
	s_delay_alu instid0(SALU_CYCLE_1)
	s_mov_b32 s34, exec_lo
	v_cmpx_lt_u32_e64 v111, v147
	s_cbranch_execz .LBB505_504
.LBB505_535:                            ;   in Loop: Header=BB505_392 Depth=2
	global_load_b64 v[32:33], v[36:37], off offset:256
	s_or_b32 exec_lo, exec_lo, s34
	s_delay_alu instid0(SALU_CYCLE_1)
	s_mov_b32 s34, exec_lo
	v_cmpx_lt_u32_e64 v112, v147
	s_cbranch_execnz .LBB505_505
.LBB505_536:                            ;   in Loop: Header=BB505_392 Depth=2
	s_or_b32 exec_lo, exec_lo, s34
	s_delay_alu instid0(SALU_CYCLE_1)
	s_mov_b32 s34, exec_lo
	v_cmpx_lt_u32_e64 v113, v147
	s_cbranch_execz .LBB505_506
.LBB505_537:                            ;   in Loop: Header=BB505_392 Depth=2
	global_load_b64 v[28:29], v[36:37], off offset:768
	s_or_b32 exec_lo, exec_lo, s34
	s_delay_alu instid0(SALU_CYCLE_1)
	s_mov_b32 s34, exec_lo
	v_cmpx_lt_u32_e64 v114, v147
	s_cbranch_execnz .LBB505_507
.LBB505_538:                            ;   in Loop: Header=BB505_392 Depth=2
	s_or_b32 exec_lo, exec_lo, s34
	s_delay_alu instid0(SALU_CYCLE_1)
	s_mov_b32 s34, exec_lo
	v_cmpx_lt_u32_e64 v115, v147
	s_cbranch_execz .LBB505_508
.LBB505_539:                            ;   in Loop: Header=BB505_392 Depth=2
	global_load_b64 v[24:25], v[36:37], off offset:1280
	s_or_b32 exec_lo, exec_lo, s34
	s_delay_alu instid0(SALU_CYCLE_1)
	s_mov_b32 s34, exec_lo
	v_cmpx_lt_u32_e64 v116, v147
	s_cbranch_execnz .LBB505_509
.LBB505_540:                            ;   in Loop: Header=BB505_392 Depth=2
	s_or_b32 exec_lo, exec_lo, s34
	s_delay_alu instid0(SALU_CYCLE_1)
	s_mov_b32 s34, exec_lo
	v_cmpx_lt_u32_e64 v117, v147
	s_cbranch_execz .LBB505_510
.LBB505_541:                            ;   in Loop: Header=BB505_392 Depth=2
	global_load_b64 v[20:21], v[36:37], off offset:1792
	s_or_b32 exec_lo, exec_lo, s34
	s_delay_alu instid0(SALU_CYCLE_1)
	s_mov_b32 s34, exec_lo
	v_cmpx_lt_u32_e64 v118, v147
	s_cbranch_execnz .LBB505_511
.LBB505_542:                            ;   in Loop: Header=BB505_392 Depth=2
	s_or_b32 exec_lo, exec_lo, s34
	s_delay_alu instid0(SALU_CYCLE_1)
	s_mov_b32 s34, exec_lo
	v_cmpx_lt_u32_e64 v119, v147
	s_cbranch_execz .LBB505_512
.LBB505_543:                            ;   in Loop: Header=BB505_392 Depth=2
	global_load_b64 v[16:17], v[36:37], off offset:2304
	s_or_b32 exec_lo, exec_lo, s34
	s_delay_alu instid0(SALU_CYCLE_1)
	s_mov_b32 s34, exec_lo
	v_cmpx_lt_u32_e64 v120, v147
	s_cbranch_execnz .LBB505_513
.LBB505_544:                            ;   in Loop: Header=BB505_392 Depth=2
	s_or_b32 exec_lo, exec_lo, s34
	s_delay_alu instid0(SALU_CYCLE_1)
	s_mov_b32 s34, exec_lo
	v_cmpx_lt_u32_e64 v121, v147
	s_cbranch_execz .LBB505_514
.LBB505_545:                            ;   in Loop: Header=BB505_392 Depth=2
	global_load_b64 v[12:13], v[36:37], off offset:2816
	s_or_b32 exec_lo, exec_lo, s34
	s_delay_alu instid0(SALU_CYCLE_1)
	s_mov_b32 s34, exec_lo
	v_cmpx_lt_u32_e64 v122, v147
	s_cbranch_execnz .LBB505_515
.LBB505_546:                            ;   in Loop: Header=BB505_392 Depth=2
	s_or_b32 exec_lo, exec_lo, s34
	s_delay_alu instid0(SALU_CYCLE_1)
	s_mov_b32 s34, exec_lo
	v_cmpx_lt_u32_e64 v123, v147
	s_cbranch_execz .LBB505_516
.LBB505_547:                            ;   in Loop: Header=BB505_392 Depth=2
	global_load_b64 v[8:9], v[36:37], off offset:3328
	s_or_b32 exec_lo, exec_lo, s34
	s_delay_alu instid0(SALU_CYCLE_1)
	s_mov_b32 s34, exec_lo
	v_cmpx_lt_u32_e64 v124, v147
	s_cbranch_execnz .LBB505_517
.LBB505_548:                            ;   in Loop: Header=BB505_392 Depth=2
	s_or_b32 exec_lo, exec_lo, s34
	s_delay_alu instid0(SALU_CYCLE_1)
	s_mov_b32 s34, exec_lo
	v_cmpx_lt_u32_e64 v125, v147
	s_cbranch_execz .LBB505_518
.LBB505_549:                            ;   in Loop: Header=BB505_392 Depth=2
	global_load_b64 v[4:5], v[36:37], off offset:3840
	s_or_b32 exec_lo, exec_lo, s34
	s_and_saveexec_b32 s33, vcc_lo
	s_cbranch_execnz .LBB505_519
.LBB505_550:                            ;   in Loop: Header=BB505_392 Depth=2
	s_or_b32 exec_lo, exec_lo, s33
	s_and_saveexec_b32 s33, s16
	s_cbranch_execz .LBB505_520
.LBB505_551:                            ;   in Loop: Header=BB505_392 Depth=2
	ds_load_b32 v2, v78 offset:1024
	s_waitcnt lgkmcnt(0)
	v_lshrrev_b32_e32 v2, s38, v2
	s_delay_alu instid0(VALU_DEP_1)
	v_and_b32_e32 v145, s39, v2
	s_or_b32 exec_lo, exec_lo, s33
	s_and_saveexec_b32 s33, s17
	s_cbranch_execnz .LBB505_521
.LBB505_552:                            ;   in Loop: Header=BB505_392 Depth=2
	s_or_b32 exec_lo, exec_lo, s33
	s_and_saveexec_b32 s33, s18
	s_cbranch_execz .LBB505_522
.LBB505_553:                            ;   in Loop: Header=BB505_392 Depth=2
	ds_load_b32 v2, v78 offset:3072
	s_waitcnt lgkmcnt(0)
	v_lshrrev_b32_e32 v2, s38, v2
	s_delay_alu instid0(VALU_DEP_1)
	v_and_b32_e32 v143, s39, v2
	s_or_b32 exec_lo, exec_lo, s33
	s_and_saveexec_b32 s33, s19
	s_cbranch_execnz .LBB505_523
.LBB505_554:                            ;   in Loop: Header=BB505_392 Depth=2
	s_or_b32 exec_lo, exec_lo, s33
	s_and_saveexec_b32 s33, s20
	s_cbranch_execz .LBB505_524
.LBB505_555:                            ;   in Loop: Header=BB505_392 Depth=2
	ds_load_b32 v2, v78 offset:5120
	s_waitcnt lgkmcnt(0)
	v_lshrrev_b32_e32 v2, s38, v2
	s_delay_alu instid0(VALU_DEP_1)
	v_and_b32_e32 v141, s39, v2
	s_or_b32 exec_lo, exec_lo, s33
	s_and_saveexec_b32 s33, s21
	s_cbranch_execnz .LBB505_525
.LBB505_556:                            ;   in Loop: Header=BB505_392 Depth=2
	s_or_b32 exec_lo, exec_lo, s33
	s_and_saveexec_b32 s33, s22
	s_cbranch_execz .LBB505_526
.LBB505_557:                            ;   in Loop: Header=BB505_392 Depth=2
	ds_load_b32 v2, v78 offset:7168
	s_waitcnt lgkmcnt(0)
	v_lshrrev_b32_e32 v2, s38, v2
	s_delay_alu instid0(VALU_DEP_1)
	v_and_b32_e32 v139, s39, v2
	s_or_b32 exec_lo, exec_lo, s33
	s_and_saveexec_b32 s33, s23
	s_cbranch_execnz .LBB505_527
.LBB505_558:                            ;   in Loop: Header=BB505_392 Depth=2
	s_or_b32 exec_lo, exec_lo, s33
	s_and_saveexec_b32 s33, s24
	s_cbranch_execz .LBB505_528
.LBB505_559:                            ;   in Loop: Header=BB505_392 Depth=2
	ds_load_b32 v2, v78 offset:9216
	s_waitcnt lgkmcnt(0)
	v_lshrrev_b32_e32 v2, s38, v2
	s_delay_alu instid0(VALU_DEP_1)
	v_and_b32_e32 v137, s39, v2
	s_or_b32 exec_lo, exec_lo, s33
	s_and_saveexec_b32 s33, s25
	s_cbranch_execnz .LBB505_529
.LBB505_560:                            ;   in Loop: Header=BB505_392 Depth=2
	s_or_b32 exec_lo, exec_lo, s33
	s_and_saveexec_b32 s33, s27
	s_cbranch_execz .LBB505_530
.LBB505_561:                            ;   in Loop: Header=BB505_392 Depth=2
	ds_load_b32 v2, v78 offset:11264
	s_waitcnt lgkmcnt(0)
	v_lshrrev_b32_e32 v2, s38, v2
	s_delay_alu instid0(VALU_DEP_1)
	v_and_b32_e32 v135, s39, v2
	s_or_b32 exec_lo, exec_lo, s33
	s_and_saveexec_b32 s33, s28
	s_cbranch_execnz .LBB505_531
.LBB505_562:                            ;   in Loop: Header=BB505_392 Depth=2
	s_or_b32 exec_lo, exec_lo, s33
	s_and_saveexec_b32 s33, s29
	s_cbranch_execz .LBB505_532
.LBB505_563:                            ;   in Loop: Header=BB505_392 Depth=2
	ds_load_b32 v2, v78 offset:13312
	s_waitcnt lgkmcnt(0)
	v_lshrrev_b32_e32 v2, s38, v2
	s_delay_alu instid0(VALU_DEP_1)
	v_and_b32_e32 v133, s39, v2
	s_or_b32 exec_lo, exec_lo, s33
	s_and_saveexec_b32 s33, s30
	s_cbranch_execnz .LBB505_533
.LBB505_564:                            ;   in Loop: Header=BB505_392 Depth=2
	s_or_b32 exec_lo, exec_lo, s33
	s_and_saveexec_b32 s33, s31
	s_cbranch_execz .LBB505_566
.LBB505_565:                            ;   in Loop: Header=BB505_392 Depth=2
	ds_load_b32 v2, v78 offset:15360
	s_waitcnt lgkmcnt(0)
	v_lshrrev_b32_e32 v2, s38, v2
	s_delay_alu instid0(VALU_DEP_1)
	v_and_b32_e32 v131, s39, v2
.LBB505_566:                            ;   in Loop: Header=BB505_392 Depth=2
	s_or_b32 exec_lo, exec_lo, s33
	v_lshlrev_b32_e32 v2, 3, v170
	v_lshlrev_b32_e32 v36, 3, v166
	s_waitcnt vmcnt(0)
	s_waitcnt_vscnt null, 0x0
	s_barrier
	buffer_gl0_inv
	ds_store_b64 v2, v[34:35] offset:1024
	v_lshlrev_b32_e32 v2, 3, v162
	v_lshlrev_b32_e32 v37, 3, v158
	;; [unrolled: 1-line block ×4, first 2 shown]
	ds_store_b64 v36, v[32:33] offset:1024
	ds_store_b64 v2, v[30:31] offset:1024
	;; [unrolled: 1-line block ×5, first 2 shown]
	v_lshlrev_b32_e32 v2, 3, v154
	v_lshlrev_b32_e32 v36, 3, v153
	;; [unrolled: 1-line block ×5, first 2 shown]
	ds_store_b64 v2, v[22:23] offset:1024
	ds_store_b64 v36, v[20:21] offset:1024
	;; [unrolled: 1-line block ×5, first 2 shown]
	v_lshlrev_b32_e32 v2, 3, v40
	v_lshlrev_b32_e32 v36, 3, v39
	;; [unrolled: 1-line block ×5, first 2 shown]
	ds_store_b64 v2, v[12:13] offset:1024
	ds_store_b64 v36, v[10:11] offset:1024
	;; [unrolled: 1-line block ×5, first 2 shown]
	s_waitcnt lgkmcnt(0)
	s_barrier
	buffer_gl0_inv
	s_and_saveexec_b32 s33, vcc_lo
	s_cbranch_execz .LBB505_582
; %bb.567:                              ;   in Loop: Header=BB505_392 Depth=2
	v_lshlrev_b32_e32 v2, 2, v146
	ds_load_b32 v2, v2
	ds_load_b64 v[36:37], v79 offset:1024
	s_waitcnt lgkmcnt(1)
	v_add_nc_u32_e32 v2, v2, v1
	s_delay_alu instid0(VALU_DEP_1) | instskip(NEXT) | instid1(VALU_DEP_1)
	v_lshlrev_b64 v[39:40], 3, v[2:3]
	v_add_co_u32 v39, vcc_lo, s54, v39
	s_delay_alu instid0(VALU_DEP_2)
	v_add_co_ci_u32_e32 v40, vcc_lo, s55, v40, vcc_lo
	s_waitcnt lgkmcnt(0)
	global_store_b64 v[39:40], v[36:37], off
	s_or_b32 exec_lo, exec_lo, s33
	s_and_saveexec_b32 s33, s16
	s_cbranch_execnz .LBB505_583
.LBB505_568:                            ;   in Loop: Header=BB505_392 Depth=2
	s_or_b32 exec_lo, exec_lo, s33
	s_and_saveexec_b32 s16, s17
	s_cbranch_execz .LBB505_584
.LBB505_569:                            ;   in Loop: Header=BB505_392 Depth=2
	v_lshlrev_b32_e32 v2, 2, v144
	v_add_nc_u32_e32 v36, v78, v44
	ds_load_b32 v2, v2
	ds_load_b64 v[36:37], v36 offset:4096
	s_waitcnt lgkmcnt(1)
	v_add_nc_u32_e32 v2, v2, v46
	s_delay_alu instid0(VALU_DEP_1) | instskip(NEXT) | instid1(VALU_DEP_1)
	v_lshlrev_b64 v[39:40], 3, v[2:3]
	v_add_co_u32 v39, vcc_lo, s54, v39
	s_delay_alu instid0(VALU_DEP_2)
	v_add_co_ci_u32_e32 v40, vcc_lo, s55, v40, vcc_lo
	s_waitcnt lgkmcnt(0)
	global_store_b64 v[39:40], v[36:37], off
	s_or_b32 exec_lo, exec_lo, s16
	s_and_saveexec_b32 s16, s18
	s_cbranch_execnz .LBB505_585
.LBB505_570:                            ;   in Loop: Header=BB505_392 Depth=2
	s_or_b32 exec_lo, exec_lo, s16
	s_and_saveexec_b32 s16, s19
	s_cbranch_execz .LBB505_586
.LBB505_571:                            ;   in Loop: Header=BB505_392 Depth=2
	v_lshlrev_b32_e32 v2, 2, v142
	v_add_nc_u32_e32 v36, v78, v44
	ds_load_b32 v2, v2
	ds_load_b64 v[36:37], v36 offset:8192
	s_waitcnt lgkmcnt(1)
	v_add_nc_u32_e32 v2, v2, v51
	s_delay_alu instid0(VALU_DEP_1) | instskip(NEXT) | instid1(VALU_DEP_1)
	v_lshlrev_b64 v[39:40], 3, v[2:3]
	v_add_co_u32 v39, vcc_lo, s54, v39
	s_delay_alu instid0(VALU_DEP_2)
	v_add_co_ci_u32_e32 v40, vcc_lo, s55, v40, vcc_lo
	s_waitcnt lgkmcnt(0)
	global_store_b64 v[39:40], v[36:37], off
	s_or_b32 exec_lo, exec_lo, s16
	s_and_saveexec_b32 s16, s20
	s_cbranch_execnz .LBB505_587
.LBB505_572:                            ;   in Loop: Header=BB505_392 Depth=2
	s_or_b32 exec_lo, exec_lo, s16
	s_and_saveexec_b32 s16, s21
	s_cbranch_execz .LBB505_588
.LBB505_573:                            ;   in Loop: Header=BB505_392 Depth=2
	v_lshlrev_b32_e32 v2, 2, v140
	v_add_nc_u32_e32 v36, v78, v44
	ds_load_b32 v2, v2
	ds_load_b64 v[36:37], v36 offset:12288
	s_waitcnt lgkmcnt(1)
	v_add_nc_u32_e32 v2, v2, v53
	s_delay_alu instid0(VALU_DEP_1) | instskip(NEXT) | instid1(VALU_DEP_1)
	v_lshlrev_b64 v[39:40], 3, v[2:3]
	v_add_co_u32 v39, vcc_lo, s54, v39
	s_delay_alu instid0(VALU_DEP_2)
	v_add_co_ci_u32_e32 v40, vcc_lo, s55, v40, vcc_lo
	s_waitcnt lgkmcnt(0)
	global_store_b64 v[39:40], v[36:37], off
	s_or_b32 exec_lo, exec_lo, s16
	s_and_saveexec_b32 s16, s22
	s_cbranch_execnz .LBB505_589
.LBB505_574:                            ;   in Loop: Header=BB505_392 Depth=2
	s_or_b32 exec_lo, exec_lo, s16
	s_and_saveexec_b32 s16, s23
	s_cbranch_execz .LBB505_590
.LBB505_575:                            ;   in Loop: Header=BB505_392 Depth=2
	v_lshlrev_b32_e32 v2, 2, v138
	v_add_nc_u32_e32 v36, v78, v44
	ds_load_b32 v2, v2
	ds_load_b64 v[36:37], v36 offset:16384
	s_waitcnt lgkmcnt(1)
	v_add_nc_u32_e32 v2, v2, v55
	s_delay_alu instid0(VALU_DEP_1) | instskip(NEXT) | instid1(VALU_DEP_1)
	v_lshlrev_b64 v[39:40], 3, v[2:3]
	v_add_co_u32 v39, vcc_lo, s54, v39
	s_delay_alu instid0(VALU_DEP_2)
	v_add_co_ci_u32_e32 v40, vcc_lo, s55, v40, vcc_lo
	s_waitcnt lgkmcnt(0)
	global_store_b64 v[39:40], v[36:37], off
	s_or_b32 exec_lo, exec_lo, s16
	s_and_saveexec_b32 s16, s24
	s_cbranch_execnz .LBB505_591
.LBB505_576:                            ;   in Loop: Header=BB505_392 Depth=2
	s_or_b32 exec_lo, exec_lo, s16
	s_and_saveexec_b32 s16, s25
	s_cbranch_execz .LBB505_592
.LBB505_577:                            ;   in Loop: Header=BB505_392 Depth=2
	v_lshlrev_b32_e32 v2, 2, v136
	v_add_nc_u32_e32 v36, v78, v44
	ds_load_b32 v2, v2
	ds_load_b64 v[36:37], v36 offset:20480
	s_waitcnt lgkmcnt(1)
	v_add_nc_u32_e32 v2, v2, v57
	s_delay_alu instid0(VALU_DEP_1) | instskip(NEXT) | instid1(VALU_DEP_1)
	v_lshlrev_b64 v[39:40], 3, v[2:3]
	v_add_co_u32 v39, vcc_lo, s54, v39
	s_delay_alu instid0(VALU_DEP_2)
	v_add_co_ci_u32_e32 v40, vcc_lo, s55, v40, vcc_lo
	s_waitcnt lgkmcnt(0)
	global_store_b64 v[39:40], v[36:37], off
	s_or_b32 exec_lo, exec_lo, s16
	s_and_saveexec_b32 s16, s27
	s_cbranch_execnz .LBB505_593
.LBB505_578:                            ;   in Loop: Header=BB505_392 Depth=2
	s_or_b32 exec_lo, exec_lo, s16
	s_and_saveexec_b32 s16, s28
	s_cbranch_execz .LBB505_594
.LBB505_579:                            ;   in Loop: Header=BB505_392 Depth=2
	v_lshlrev_b32_e32 v2, 2, v134
	v_add_nc_u32_e32 v36, v78, v44
	ds_load_b32 v2, v2
	ds_load_b64 v[36:37], v36 offset:24576
	s_waitcnt lgkmcnt(1)
	v_add_nc_u32_e32 v2, v2, v59
	s_delay_alu instid0(VALU_DEP_1) | instskip(NEXT) | instid1(VALU_DEP_1)
	v_lshlrev_b64 v[39:40], 3, v[2:3]
	v_add_co_u32 v39, vcc_lo, s54, v39
	s_delay_alu instid0(VALU_DEP_2)
	v_add_co_ci_u32_e32 v40, vcc_lo, s55, v40, vcc_lo
	s_waitcnt lgkmcnt(0)
	global_store_b64 v[39:40], v[36:37], off
	s_or_b32 exec_lo, exec_lo, s16
	s_and_saveexec_b32 s16, s29
	s_cbranch_execnz .LBB505_595
.LBB505_580:                            ;   in Loop: Header=BB505_392 Depth=2
	s_or_b32 exec_lo, exec_lo, s16
	s_and_saveexec_b32 s16, s30
	s_cbranch_execz .LBB505_596
.LBB505_581:                            ;   in Loop: Header=BB505_392 Depth=2
	v_lshlrev_b32_e32 v2, 2, v132
	v_add_nc_u32_e32 v36, v78, v44
	ds_load_b32 v2, v2
	ds_load_b64 v[36:37], v36 offset:28672
	s_waitcnt lgkmcnt(1)
	v_add_nc_u32_e32 v2, v2, v61
	s_delay_alu instid0(VALU_DEP_1) | instskip(NEXT) | instid1(VALU_DEP_1)
	v_lshlrev_b64 v[39:40], 3, v[2:3]
	v_add_co_u32 v39, vcc_lo, s54, v39
	s_delay_alu instid0(VALU_DEP_2)
	v_add_co_ci_u32_e32 v40, vcc_lo, s55, v40, vcc_lo
	s_waitcnt lgkmcnt(0)
	global_store_b64 v[39:40], v[36:37], off
	s_or_b32 exec_lo, exec_lo, s16
	s_and_saveexec_b32 s16, s31
	s_cbranch_execnz .LBB505_597
	s_branch .LBB505_598
.LBB505_582:                            ;   in Loop: Header=BB505_392 Depth=2
	s_or_b32 exec_lo, exec_lo, s33
	s_and_saveexec_b32 s33, s16
	s_cbranch_execz .LBB505_568
.LBB505_583:                            ;   in Loop: Header=BB505_392 Depth=2
	v_lshlrev_b32_e32 v2, 2, v145
	v_add_nc_u32_e32 v36, v78, v44
	ds_load_b32 v2, v2
	ds_load_b64 v[36:37], v36 offset:2048
	s_waitcnt lgkmcnt(1)
	v_add_nc_u32_e32 v2, v2, v45
	s_delay_alu instid0(VALU_DEP_1) | instskip(NEXT) | instid1(VALU_DEP_1)
	v_lshlrev_b64 v[39:40], 3, v[2:3]
	v_add_co_u32 v39, vcc_lo, s54, v39
	s_delay_alu instid0(VALU_DEP_2)
	v_add_co_ci_u32_e32 v40, vcc_lo, s55, v40, vcc_lo
	s_waitcnt lgkmcnt(0)
	global_store_b64 v[39:40], v[36:37], off
	s_or_b32 exec_lo, exec_lo, s33
	s_and_saveexec_b32 s16, s17
	s_cbranch_execnz .LBB505_569
.LBB505_584:                            ;   in Loop: Header=BB505_392 Depth=2
	s_or_b32 exec_lo, exec_lo, s16
	s_and_saveexec_b32 s16, s18
	s_cbranch_execz .LBB505_570
.LBB505_585:                            ;   in Loop: Header=BB505_392 Depth=2
	v_lshlrev_b32_e32 v2, 2, v143
	v_add_nc_u32_e32 v36, v78, v44
	ds_load_b32 v2, v2
	ds_load_b64 v[36:37], v36 offset:6144
	s_waitcnt lgkmcnt(1)
	v_add_nc_u32_e32 v2, v2, v47
	s_delay_alu instid0(VALU_DEP_1) | instskip(NEXT) | instid1(VALU_DEP_1)
	v_lshlrev_b64 v[39:40], 3, v[2:3]
	v_add_co_u32 v39, vcc_lo, s54, v39
	s_delay_alu instid0(VALU_DEP_2)
	v_add_co_ci_u32_e32 v40, vcc_lo, s55, v40, vcc_lo
	s_waitcnt lgkmcnt(0)
	global_store_b64 v[39:40], v[36:37], off
	s_or_b32 exec_lo, exec_lo, s16
	s_and_saveexec_b32 s16, s19
	s_cbranch_execnz .LBB505_571
.LBB505_586:                            ;   in Loop: Header=BB505_392 Depth=2
	s_or_b32 exec_lo, exec_lo, s16
	s_and_saveexec_b32 s16, s20
	s_cbranch_execz .LBB505_572
.LBB505_587:                            ;   in Loop: Header=BB505_392 Depth=2
	v_lshlrev_b32_e32 v2, 2, v141
	v_add_nc_u32_e32 v36, v78, v44
	ds_load_b32 v2, v2
	ds_load_b64 v[36:37], v36 offset:10240
	s_waitcnt lgkmcnt(1)
	v_add_nc_u32_e32 v2, v2, v52
	s_delay_alu instid0(VALU_DEP_1) | instskip(NEXT) | instid1(VALU_DEP_1)
	v_lshlrev_b64 v[39:40], 3, v[2:3]
	v_add_co_u32 v39, vcc_lo, s54, v39
	s_delay_alu instid0(VALU_DEP_2)
	v_add_co_ci_u32_e32 v40, vcc_lo, s55, v40, vcc_lo
	s_waitcnt lgkmcnt(0)
	global_store_b64 v[39:40], v[36:37], off
	s_or_b32 exec_lo, exec_lo, s16
	s_and_saveexec_b32 s16, s21
	s_cbranch_execnz .LBB505_573
.LBB505_588:                            ;   in Loop: Header=BB505_392 Depth=2
	s_or_b32 exec_lo, exec_lo, s16
	s_and_saveexec_b32 s16, s22
	s_cbranch_execz .LBB505_574
.LBB505_589:                            ;   in Loop: Header=BB505_392 Depth=2
	v_lshlrev_b32_e32 v2, 2, v139
	v_add_nc_u32_e32 v36, v78, v44
	ds_load_b32 v2, v2
	ds_load_b64 v[36:37], v36 offset:14336
	s_waitcnt lgkmcnt(1)
	v_add_nc_u32_e32 v2, v2, v54
	s_delay_alu instid0(VALU_DEP_1) | instskip(NEXT) | instid1(VALU_DEP_1)
	v_lshlrev_b64 v[39:40], 3, v[2:3]
	v_add_co_u32 v39, vcc_lo, s54, v39
	s_delay_alu instid0(VALU_DEP_2)
	v_add_co_ci_u32_e32 v40, vcc_lo, s55, v40, vcc_lo
	s_waitcnt lgkmcnt(0)
	global_store_b64 v[39:40], v[36:37], off
	s_or_b32 exec_lo, exec_lo, s16
	s_and_saveexec_b32 s16, s23
	s_cbranch_execnz .LBB505_575
.LBB505_590:                            ;   in Loop: Header=BB505_392 Depth=2
	s_or_b32 exec_lo, exec_lo, s16
	s_and_saveexec_b32 s16, s24
	s_cbranch_execz .LBB505_576
.LBB505_591:                            ;   in Loop: Header=BB505_392 Depth=2
	v_lshlrev_b32_e32 v2, 2, v137
	v_add_nc_u32_e32 v36, v78, v44
	ds_load_b32 v2, v2
	ds_load_b64 v[36:37], v36 offset:18432
	s_waitcnt lgkmcnt(1)
	v_add_nc_u32_e32 v2, v2, v56
	s_delay_alu instid0(VALU_DEP_1) | instskip(NEXT) | instid1(VALU_DEP_1)
	v_lshlrev_b64 v[39:40], 3, v[2:3]
	v_add_co_u32 v39, vcc_lo, s54, v39
	s_delay_alu instid0(VALU_DEP_2)
	v_add_co_ci_u32_e32 v40, vcc_lo, s55, v40, vcc_lo
	s_waitcnt lgkmcnt(0)
	global_store_b64 v[39:40], v[36:37], off
	s_or_b32 exec_lo, exec_lo, s16
	s_and_saveexec_b32 s16, s25
	s_cbranch_execnz .LBB505_577
.LBB505_592:                            ;   in Loop: Header=BB505_392 Depth=2
	s_or_b32 exec_lo, exec_lo, s16
	s_and_saveexec_b32 s16, s27
	s_cbranch_execz .LBB505_578
.LBB505_593:                            ;   in Loop: Header=BB505_392 Depth=2
	v_lshlrev_b32_e32 v2, 2, v135
	v_add_nc_u32_e32 v36, v78, v44
	ds_load_b32 v2, v2
	ds_load_b64 v[36:37], v36 offset:22528
	s_waitcnt lgkmcnt(1)
	v_add_nc_u32_e32 v2, v2, v58
	s_delay_alu instid0(VALU_DEP_1) | instskip(NEXT) | instid1(VALU_DEP_1)
	v_lshlrev_b64 v[39:40], 3, v[2:3]
	v_add_co_u32 v39, vcc_lo, s54, v39
	s_delay_alu instid0(VALU_DEP_2)
	v_add_co_ci_u32_e32 v40, vcc_lo, s55, v40, vcc_lo
	s_waitcnt lgkmcnt(0)
	global_store_b64 v[39:40], v[36:37], off
	s_or_b32 exec_lo, exec_lo, s16
	s_and_saveexec_b32 s16, s28
	s_cbranch_execnz .LBB505_579
.LBB505_594:                            ;   in Loop: Header=BB505_392 Depth=2
	s_or_b32 exec_lo, exec_lo, s16
	s_and_saveexec_b32 s16, s29
	s_cbranch_execz .LBB505_580
.LBB505_595:                            ;   in Loop: Header=BB505_392 Depth=2
	v_lshlrev_b32_e32 v2, 2, v133
	v_add_nc_u32_e32 v36, v78, v44
	ds_load_b32 v2, v2
	ds_load_b64 v[36:37], v36 offset:26624
	s_waitcnt lgkmcnt(1)
	v_add_nc_u32_e32 v2, v2, v60
	s_delay_alu instid0(VALU_DEP_1) | instskip(NEXT) | instid1(VALU_DEP_1)
	v_lshlrev_b64 v[39:40], 3, v[2:3]
	v_add_co_u32 v39, vcc_lo, s54, v39
	s_delay_alu instid0(VALU_DEP_2)
	v_add_co_ci_u32_e32 v40, vcc_lo, s55, v40, vcc_lo
	s_waitcnt lgkmcnt(0)
	global_store_b64 v[39:40], v[36:37], off
	s_or_b32 exec_lo, exec_lo, s16
	s_and_saveexec_b32 s16, s30
	s_cbranch_execnz .LBB505_581
.LBB505_596:                            ;   in Loop: Header=BB505_392 Depth=2
	s_or_b32 exec_lo, exec_lo, s16
	s_and_saveexec_b32 s16, s31
	s_cbranch_execz .LBB505_598
.LBB505_597:                            ;   in Loop: Header=BB505_392 Depth=2
	v_lshlrev_b32_e32 v2, 2, v131
	v_add_nc_u32_e32 v36, v78, v44
	ds_load_b32 v2, v2
	ds_load_b64 v[36:37], v36 offset:30720
	s_waitcnt lgkmcnt(1)
	v_add_nc_u32_e32 v2, v2, v63
	s_delay_alu instid0(VALU_DEP_1) | instskip(NEXT) | instid1(VALU_DEP_1)
	v_lshlrev_b64 v[39:40], 3, v[2:3]
	v_add_co_u32 v39, vcc_lo, s54, v39
	s_delay_alu instid0(VALU_DEP_2)
	v_add_co_ci_u32_e32 v40, vcc_lo, s55, v40, vcc_lo
	s_waitcnt lgkmcnt(0)
	global_store_b64 v[39:40], v[36:37], off
.LBB505_598:                            ;   in Loop: Header=BB505_392 Depth=2
	s_or_b32 exec_lo, exec_lo, s16
	s_waitcnt_vscnt null, 0x0
	s_barrier
	buffer_gl0_inv
	s_and_saveexec_b32 s16, s2
	s_cbranch_execz .LBB505_391
; %bb.599:                              ;   in Loop: Header=BB505_392 Depth=2
	ds_load_b32 v2, v44
	s_waitcnt lgkmcnt(0)
	v_add_nc_u32_e32 v2, v2, v38
	ds_store_b32 v44, v2
	s_branch .LBB505_391
.LBB505_600:                            ;   in Loop: Header=BB505_12 Depth=1
	s_waitcnt lgkmcnt(0)
	s_barrier
.LBB505_601:                            ;   in Loop: Header=BB505_12 Depth=1
	s_mov_b32 s0, 0
.LBB505_602:                            ;   in Loop: Header=BB505_12 Depth=1
	s_delay_alu instid0(SALU_CYCLE_1)
	s_and_not1_b32 vcc_lo, exec_lo, s0
	s_cbranch_vccnz .LBB505_11
; %bb.603:                              ;   in Loop: Header=BB505_12 Depth=1
	s_and_b32 vcc_lo, exec_lo, s59
	s_mov_b32 s0, -1
	s_cbranch_vccz .LBB505_897
; %bb.604:                              ;   in Loop: Header=BB505_12 Depth=1
	s_mov_b32 s8, s62
	s_mov_b32 s34, s60
	s_barrier
	buffer_gl0_inv
                                        ; implicit-def: $vgpr20
                                        ; implicit-def: $vgpr2
                                        ; implicit-def: $vgpr6
                                        ; implicit-def: $vgpr7
                                        ; implicit-def: $vgpr8
                                        ; implicit-def: $vgpr9
                                        ; implicit-def: $vgpr10
                                        ; implicit-def: $vgpr11
                                        ; implicit-def: $vgpr12
                                        ; implicit-def: $vgpr13
                                        ; implicit-def: $vgpr14
                                        ; implicit-def: $vgpr15
                                        ; implicit-def: $vgpr16
                                        ; implicit-def: $vgpr17
                                        ; implicit-def: $vgpr18
                                        ; implicit-def: $vgpr19
	s_branch .LBB505_606
.LBB505_605:                            ;   in Loop: Header=BB505_606 Depth=2
	s_or_b32 exec_lo, exec_lo, s0
	s_addk_i32 s8, 0xf000
	s_cmp_ge_u32 s9, s61
	s_mov_b32 s34, s9
	s_cbranch_scc1 .LBB505_676
.LBB505_606:                            ;   Parent Loop BB505_12 Depth=1
                                        ; =>  This Inner Loop Header: Depth=2
	s_add_i32 s9, s34, 0x1000
	s_delay_alu instid0(SALU_CYCLE_1)
	s_cmp_gt_u32 s9, s61
	s_cbranch_scc1 .LBB505_609
; %bb.607:                              ;   in Loop: Header=BB505_606 Depth=2
	s_mov_b32 s1, 0
	s_mov_b32 s0, s34
	s_delay_alu instid0(SALU_CYCLE_1) | instskip(NEXT) | instid1(SALU_CYCLE_1)
	s_lshl_b64 s[10:11], s[0:1], 2
	v_add_co_u32 v4, vcc_lo, v86, s10
	v_add_co_ci_u32_e32 v5, vcc_lo, s11, v87, vcc_lo
	s_movk_i32 s11, 0x1000
	s_waitcnt vmcnt(1)
	s_delay_alu instid0(VALU_DEP_2) | instskip(NEXT) | instid1(VALU_DEP_2)
	v_add_co_u32 v29, vcc_lo, 0x1000, v4
	v_add_co_ci_u32_e32 v30, vcc_lo, 0, v5, vcc_lo
	s_waitcnt vmcnt(0)
	v_add_co_u32 v36, vcc_lo, v4, 0x2000
	v_add_co_ci_u32_e32 v37, vcc_lo, 0, v5, vcc_lo
	v_add_co_u32 v33, vcc_lo, 0x2000, v4
	v_add_co_ci_u32_e32 v34, vcc_lo, 0, v5, vcc_lo
	v_add_co_u32 v38, vcc_lo, 0x3000, v4
	global_load_b32 v26, v[36:37], off
	v_add_co_ci_u32_e32 v39, vcc_lo, 0, v5, vcc_lo
	s_clause 0xd
	global_load_b32 v22, v[4:5], off
	global_load_b32 v23, v[4:5], off offset:1024
	global_load_b32 v24, v[4:5], off offset:2048
	;; [unrolled: 1-line block ×9, first 2 shown]
	global_load_b32 v34, v[38:39], off
	global_load_b32 v35, v[38:39], off offset:1024
	global_load_b32 v29, v[36:37], off offset:-4096
	global_load_b32 v36, v[38:39], off offset:2048
	v_add_co_u32 v4, vcc_lo, 0x3c00, v4
	v_add_co_ci_u32_e32 v5, vcc_lo, 0, v5, vcc_lo
	s_mov_b32 s10, -1
	s_cbranch_execz .LBB505_610
; %bb.608:                              ;   in Loop: Header=BB505_606 Depth=2
                                        ; implicit-def: $vgpr19
                                        ; implicit-def: $vgpr18
                                        ; implicit-def: $vgpr17
                                        ; implicit-def: $vgpr16
                                        ; implicit-def: $vgpr15
                                        ; implicit-def: $vgpr14
                                        ; implicit-def: $vgpr13
                                        ; implicit-def: $vgpr12
                                        ; implicit-def: $vgpr11
                                        ; implicit-def: $vgpr10
                                        ; implicit-def: $vgpr9
                                        ; implicit-def: $vgpr8
                                        ; implicit-def: $vgpr7
                                        ; implicit-def: $vgpr6
                                        ; implicit-def: $vgpr2
                                        ; implicit-def: $vgpr20
	v_mov_b32_e32 v21, s8
	s_and_saveexec_b32 s0, s10
	s_cbranch_execnz .LBB505_629
	s_branch .LBB505_630
.LBB505_609:                            ;   in Loop: Header=BB505_606 Depth=2
	s_mov_b32 s10, 0
                                        ; implicit-def: $sgpr11
                                        ; implicit-def: $vgpr22
                                        ; implicit-def: $vgpr23
                                        ; implicit-def: $vgpr24
                                        ; implicit-def: $vgpr25
                                        ; implicit-def: $vgpr29
                                        ; implicit-def: $vgpr27
                                        ; implicit-def: $vgpr28
                                        ; implicit-def: $vgpr30
                                        ; implicit-def: $vgpr26
                                        ; implicit-def: $vgpr31
                                        ; implicit-def: $vgpr32
                                        ; implicit-def: $vgpr33
                                        ; implicit-def: $vgpr34
                                        ; implicit-def: $vgpr35
                                        ; implicit-def: $vgpr36
                                        ; implicit-def: $vgpr4_vgpr5
.LBB505_610:                            ;   in Loop: Header=BB505_606 Depth=2
	s_lshl_b64 s[0:1], s[34:35], 2
	s_mov_b32 s11, exec_lo
	s_add_u32 s0, s44, s0
	s_addc_u32 s1, s45, s1
	v_cmpx_gt_u32_e64 s8, v1
	s_cbranch_execz .LBB505_662
; %bb.611:                              ;   in Loop: Header=BB505_606 Depth=2
	global_load_b32 v19, v93, s[0:1]
	s_or_b32 exec_lo, exec_lo, s11
	s_delay_alu instid0(SALU_CYCLE_1)
	s_mov_b32 s11, exec_lo
	v_cmpx_gt_u32_e64 s8, v45
	s_cbranch_execnz .LBB505_663
.LBB505_612:                            ;   in Loop: Header=BB505_606 Depth=2
	s_or_b32 exec_lo, exec_lo, s11
	s_delay_alu instid0(SALU_CYCLE_1)
	s_mov_b32 s11, exec_lo
	v_cmpx_gt_u32_e64 s8, v46
	s_cbranch_execz .LBB505_664
.LBB505_613:                            ;   in Loop: Header=BB505_606 Depth=2
	global_load_b32 v17, v93, s[0:1] offset:2048
	s_or_b32 exec_lo, exec_lo, s11
	s_delay_alu instid0(SALU_CYCLE_1)
	s_mov_b32 s11, exec_lo
	v_cmpx_gt_u32_e64 s8, v47
	s_cbranch_execnz .LBB505_665
.LBB505_614:                            ;   in Loop: Header=BB505_606 Depth=2
	s_or_b32 exec_lo, exec_lo, s11
	s_delay_alu instid0(SALU_CYCLE_1)
	s_mov_b32 s11, exec_lo
	v_cmpx_gt_u32_e64 s8, v51
	s_cbranch_execz .LBB505_666
.LBB505_615:                            ;   in Loop: Header=BB505_606 Depth=2
	global_load_b32 v15, v94, s[0:1]
	s_or_b32 exec_lo, exec_lo, s11
	s_delay_alu instid0(SALU_CYCLE_1)
	s_mov_b32 s11, exec_lo
	v_cmpx_gt_u32_e64 s8, v52
	s_cbranch_execnz .LBB505_667
.LBB505_616:                            ;   in Loop: Header=BB505_606 Depth=2
	s_or_b32 exec_lo, exec_lo, s11
	s_delay_alu instid0(SALU_CYCLE_1)
	s_mov_b32 s11, exec_lo
	v_cmpx_gt_u32_e64 s8, v53
	s_cbranch_execz .LBB505_668
.LBB505_617:                            ;   in Loop: Header=BB505_606 Depth=2
	global_load_b32 v13, v96, s[0:1]
	s_or_b32 exec_lo, exec_lo, s11
	s_delay_alu instid0(SALU_CYCLE_1)
	s_mov_b32 s11, exec_lo
	v_cmpx_gt_u32_e64 s8, v54
	s_cbranch_execnz .LBB505_669
.LBB505_618:                            ;   in Loop: Header=BB505_606 Depth=2
	s_or_b32 exec_lo, exec_lo, s11
	s_delay_alu instid0(SALU_CYCLE_1)
	s_mov_b32 s11, exec_lo
	v_cmpx_gt_u32_e64 s8, v55
	s_cbranch_execz .LBB505_670
.LBB505_619:                            ;   in Loop: Header=BB505_606 Depth=2
	global_load_b32 v11, v98, s[0:1]
	s_or_b32 exec_lo, exec_lo, s11
	s_delay_alu instid0(SALU_CYCLE_1)
	s_mov_b32 s11, exec_lo
	v_cmpx_gt_u32_e64 s8, v56
	s_cbranch_execnz .LBB505_671
.LBB505_620:                            ;   in Loop: Header=BB505_606 Depth=2
	s_or_b32 exec_lo, exec_lo, s11
	s_delay_alu instid0(SALU_CYCLE_1)
	s_mov_b32 s11, exec_lo
	v_cmpx_gt_u32_e64 s8, v57
	s_cbranch_execz .LBB505_672
.LBB505_621:                            ;   in Loop: Header=BB505_606 Depth=2
	global_load_b32 v9, v100, s[0:1]
	s_or_b32 exec_lo, exec_lo, s11
	s_delay_alu instid0(SALU_CYCLE_1)
	s_mov_b32 s11, exec_lo
	v_cmpx_gt_u32_e64 s8, v58
	s_cbranch_execnz .LBB505_673
.LBB505_622:                            ;   in Loop: Header=BB505_606 Depth=2
	s_or_b32 exec_lo, exec_lo, s11
	s_delay_alu instid0(SALU_CYCLE_1)
	s_mov_b32 s11, exec_lo
	v_cmpx_gt_u32_e64 s8, v59
	s_cbranch_execz .LBB505_674
.LBB505_623:                            ;   in Loop: Header=BB505_606 Depth=2
	global_load_b32 v7, v102, s[0:1]
	s_or_b32 exec_lo, exec_lo, s11
	s_delay_alu instid0(SALU_CYCLE_1)
	s_mov_b32 s11, exec_lo
	v_cmpx_gt_u32_e64 s8, v60
	s_cbranch_execnz .LBB505_675
.LBB505_624:                            ;   in Loop: Header=BB505_606 Depth=2
	s_or_b32 exec_lo, exec_lo, s11
	s_delay_alu instid0(SALU_CYCLE_1)
	s_mov_b32 s11, exec_lo
	v_cmpx_gt_u32_e64 s8, v61
	s_cbranch_execz .LBB505_626
.LBB505_625:                            ;   in Loop: Header=BB505_606 Depth=2
	global_load_b32 v2, v104, s[0:1]
.LBB505_626:                            ;   in Loop: Header=BB505_606 Depth=2
	s_or_b32 exec_lo, exec_lo, s11
	s_delay_alu instid0(SALU_CYCLE_1)
	s_mov_b32 s12, exec_lo
                                        ; implicit-def: $sgpr11
                                        ; implicit-def: $vgpr4_vgpr5
	v_cmpx_gt_u32_e64 s8, v63
; %bb.627:                              ;   in Loop: Header=BB505_606 Depth=2
	v_add_co_u32 v4, s0, s0, v105
	s_delay_alu instid0(VALU_DEP_1)
	v_add_co_ci_u32_e64 v5, null, s1, 0, s0
	s_sub_i32 s11, s61, s34
	s_or_b32 s10, s10, exec_lo
                                        ; implicit-def: $vgpr20
; %bb.628:                              ;   in Loop: Header=BB505_606 Depth=2
	s_or_b32 exec_lo, exec_lo, s12
	s_waitcnt vmcnt(0)
	v_dual_mov_b32 v22, v19 :: v_dual_mov_b32 v23, v18
	v_dual_mov_b32 v24, v17 :: v_dual_mov_b32 v25, v16
	;; [unrolled: 1-line block ×8, first 2 shown]
	s_and_saveexec_b32 s0, s10
	s_cbranch_execz .LBB505_630
.LBB505_629:                            ;   in Loop: Header=BB505_606 Depth=2
	global_load_b32 v20, v[4:5], off
	s_waitcnt vmcnt(1)
	v_dual_mov_b32 v21, s11 :: v_dual_mov_b32 v2, v36
	v_dual_mov_b32 v6, v35 :: v_dual_mov_b32 v7, v34
	;; [unrolled: 1-line block ×8, first 2 shown]
.LBB505_630:                            ;   in Loop: Header=BB505_606 Depth=2
	s_or_b32 exec_lo, exec_lo, s0
	s_delay_alu instid0(SALU_CYCLE_1)
	s_mov_b32 s0, exec_lo
	v_cmpx_lt_u32_e64 v1, v21
	s_cbranch_execz .LBB505_646
; %bb.631:                              ;   in Loop: Header=BB505_606 Depth=2
	v_xor_b32_e32 v4, 0x7fffffff, v19
	v_lshlrev_b32_e32 v5, 2, v48
	s_delay_alu instid0(VALU_DEP_2) | instskip(NEXT) | instid1(VALU_DEP_1)
	v_lshrrev_b32_e32 v4, s57, v4
	v_and_b32_e32 v4, s39, v4
	s_delay_alu instid0(VALU_DEP_1) | instskip(SKIP_2) | instid1(SALU_CYCLE_1)
	v_lshl_or_b32 v4, v4, 4, v5
	ds_add_u32 v4, v92
	s_or_b32 exec_lo, exec_lo, s0
	s_mov_b32 s0, exec_lo
	v_cmpx_lt_u32_e64 v45, v21
	s_cbranch_execnz .LBB505_647
.LBB505_632:                            ;   in Loop: Header=BB505_606 Depth=2
	s_or_b32 exec_lo, exec_lo, s0
	s_delay_alu instid0(SALU_CYCLE_1)
	s_mov_b32 s0, exec_lo
	v_cmpx_lt_u32_e64 v46, v21
	s_cbranch_execz .LBB505_648
.LBB505_633:                            ;   in Loop: Header=BB505_606 Depth=2
	v_xor_b32_e32 v4, 0x7fffffff, v17
	v_lshlrev_b32_e32 v5, 2, v48
	s_delay_alu instid0(VALU_DEP_2) | instskip(NEXT) | instid1(VALU_DEP_1)
	v_lshrrev_b32_e32 v4, s57, v4
	v_and_b32_e32 v4, s39, v4
	s_delay_alu instid0(VALU_DEP_1) | instskip(SKIP_2) | instid1(SALU_CYCLE_1)
	v_lshl_or_b32 v4, v4, 4, v5
	ds_add_u32 v4, v92
	s_or_b32 exec_lo, exec_lo, s0
	s_mov_b32 s0, exec_lo
	v_cmpx_lt_u32_e64 v47, v21
	s_cbranch_execnz .LBB505_649
.LBB505_634:                            ;   in Loop: Header=BB505_606 Depth=2
	s_or_b32 exec_lo, exec_lo, s0
	s_delay_alu instid0(SALU_CYCLE_1)
	s_mov_b32 s0, exec_lo
	v_cmpx_lt_u32_e64 v51, v21
	s_cbranch_execz .LBB505_650
.LBB505_635:                            ;   in Loop: Header=BB505_606 Depth=2
	v_xor_b32_e32 v4, 0x7fffffff, v15
	v_lshlrev_b32_e32 v5, 2, v48
	s_delay_alu instid0(VALU_DEP_2) | instskip(NEXT) | instid1(VALU_DEP_1)
	v_lshrrev_b32_e32 v4, s57, v4
	v_and_b32_e32 v4, s39, v4
	s_delay_alu instid0(VALU_DEP_1) | instskip(SKIP_2) | instid1(SALU_CYCLE_1)
	v_lshl_or_b32 v4, v4, 4, v5
	ds_add_u32 v4, v92
	s_or_b32 exec_lo, exec_lo, s0
	s_mov_b32 s0, exec_lo
	v_cmpx_lt_u32_e64 v52, v21
	s_cbranch_execnz .LBB505_651
.LBB505_636:                            ;   in Loop: Header=BB505_606 Depth=2
	s_or_b32 exec_lo, exec_lo, s0
	s_delay_alu instid0(SALU_CYCLE_1)
	s_mov_b32 s0, exec_lo
	v_cmpx_lt_u32_e64 v53, v21
	s_cbranch_execz .LBB505_652
.LBB505_637:                            ;   in Loop: Header=BB505_606 Depth=2
	v_xor_b32_e32 v4, 0x7fffffff, v13
	v_lshlrev_b32_e32 v5, 2, v48
	s_delay_alu instid0(VALU_DEP_2) | instskip(NEXT) | instid1(VALU_DEP_1)
	v_lshrrev_b32_e32 v4, s57, v4
	v_and_b32_e32 v4, s39, v4
	s_delay_alu instid0(VALU_DEP_1) | instskip(SKIP_2) | instid1(SALU_CYCLE_1)
	v_lshl_or_b32 v4, v4, 4, v5
	ds_add_u32 v4, v92
	s_or_b32 exec_lo, exec_lo, s0
	s_mov_b32 s0, exec_lo
	v_cmpx_lt_u32_e64 v54, v21
	s_cbranch_execnz .LBB505_653
.LBB505_638:                            ;   in Loop: Header=BB505_606 Depth=2
	s_or_b32 exec_lo, exec_lo, s0
	s_delay_alu instid0(SALU_CYCLE_1)
	s_mov_b32 s0, exec_lo
	v_cmpx_lt_u32_e64 v55, v21
	s_cbranch_execz .LBB505_654
.LBB505_639:                            ;   in Loop: Header=BB505_606 Depth=2
	v_xor_b32_e32 v4, 0x7fffffff, v11
	v_lshlrev_b32_e32 v5, 2, v48
	s_delay_alu instid0(VALU_DEP_2) | instskip(NEXT) | instid1(VALU_DEP_1)
	v_lshrrev_b32_e32 v4, s57, v4
	v_and_b32_e32 v4, s39, v4
	s_delay_alu instid0(VALU_DEP_1) | instskip(SKIP_2) | instid1(SALU_CYCLE_1)
	v_lshl_or_b32 v4, v4, 4, v5
	ds_add_u32 v4, v92
	s_or_b32 exec_lo, exec_lo, s0
	s_mov_b32 s0, exec_lo
	v_cmpx_lt_u32_e64 v56, v21
	s_cbranch_execnz .LBB505_655
.LBB505_640:                            ;   in Loop: Header=BB505_606 Depth=2
	s_or_b32 exec_lo, exec_lo, s0
	s_delay_alu instid0(SALU_CYCLE_1)
	s_mov_b32 s0, exec_lo
	v_cmpx_lt_u32_e64 v57, v21
	s_cbranch_execz .LBB505_656
.LBB505_641:                            ;   in Loop: Header=BB505_606 Depth=2
	v_xor_b32_e32 v4, 0x7fffffff, v9
	v_lshlrev_b32_e32 v5, 2, v48
	s_delay_alu instid0(VALU_DEP_2) | instskip(NEXT) | instid1(VALU_DEP_1)
	v_lshrrev_b32_e32 v4, s57, v4
	v_and_b32_e32 v4, s39, v4
	s_delay_alu instid0(VALU_DEP_1) | instskip(SKIP_2) | instid1(SALU_CYCLE_1)
	v_lshl_or_b32 v4, v4, 4, v5
	ds_add_u32 v4, v92
	s_or_b32 exec_lo, exec_lo, s0
	s_mov_b32 s0, exec_lo
	v_cmpx_lt_u32_e64 v58, v21
	s_cbranch_execnz .LBB505_657
.LBB505_642:                            ;   in Loop: Header=BB505_606 Depth=2
	s_or_b32 exec_lo, exec_lo, s0
	s_delay_alu instid0(SALU_CYCLE_1)
	s_mov_b32 s0, exec_lo
	v_cmpx_lt_u32_e64 v59, v21
	s_cbranch_execz .LBB505_658
.LBB505_643:                            ;   in Loop: Header=BB505_606 Depth=2
	v_xor_b32_e32 v4, 0x7fffffff, v7
	v_lshlrev_b32_e32 v5, 2, v48
	s_delay_alu instid0(VALU_DEP_2) | instskip(NEXT) | instid1(VALU_DEP_1)
	v_lshrrev_b32_e32 v4, s57, v4
	v_and_b32_e32 v4, s39, v4
	s_delay_alu instid0(VALU_DEP_1) | instskip(SKIP_2) | instid1(SALU_CYCLE_1)
	v_lshl_or_b32 v4, v4, 4, v5
	ds_add_u32 v4, v92
	s_or_b32 exec_lo, exec_lo, s0
	s_mov_b32 s0, exec_lo
	v_cmpx_lt_u32_e64 v60, v21
	s_cbranch_execnz .LBB505_659
.LBB505_644:                            ;   in Loop: Header=BB505_606 Depth=2
	s_or_b32 exec_lo, exec_lo, s0
	s_delay_alu instid0(SALU_CYCLE_1)
	s_mov_b32 s0, exec_lo
	v_cmpx_lt_u32_e64 v61, v21
	s_cbranch_execz .LBB505_660
.LBB505_645:                            ;   in Loop: Header=BB505_606 Depth=2
	v_xor_b32_e32 v4, 0x7fffffff, v2
	v_lshlrev_b32_e32 v5, 2, v48
	s_delay_alu instid0(VALU_DEP_2) | instskip(NEXT) | instid1(VALU_DEP_1)
	v_lshrrev_b32_e32 v4, s57, v4
	v_and_b32_e32 v4, s39, v4
	s_delay_alu instid0(VALU_DEP_1) | instskip(SKIP_2) | instid1(SALU_CYCLE_1)
	v_lshl_or_b32 v4, v4, 4, v5
	ds_add_u32 v4, v92
	s_or_b32 exec_lo, exec_lo, s0
	s_mov_b32 s0, exec_lo
	v_cmpx_lt_u32_e64 v63, v21
	s_cbranch_execz .LBB505_605
	s_branch .LBB505_661
.LBB505_646:                            ;   in Loop: Header=BB505_606 Depth=2
	s_or_b32 exec_lo, exec_lo, s0
	s_delay_alu instid0(SALU_CYCLE_1)
	s_mov_b32 s0, exec_lo
	v_cmpx_lt_u32_e64 v45, v21
	s_cbranch_execz .LBB505_632
.LBB505_647:                            ;   in Loop: Header=BB505_606 Depth=2
	v_xor_b32_e32 v4, 0x7fffffff, v18
	v_lshlrev_b32_e32 v5, 2, v48
	s_delay_alu instid0(VALU_DEP_2) | instskip(NEXT) | instid1(VALU_DEP_1)
	v_lshrrev_b32_e32 v4, s57, v4
	v_and_b32_e32 v4, s39, v4
	s_delay_alu instid0(VALU_DEP_1) | instskip(SKIP_2) | instid1(SALU_CYCLE_1)
	v_lshl_or_b32 v4, v4, 4, v5
	ds_add_u32 v4, v92
	s_or_b32 exec_lo, exec_lo, s0
	s_mov_b32 s0, exec_lo
	v_cmpx_lt_u32_e64 v46, v21
	s_cbranch_execnz .LBB505_633
.LBB505_648:                            ;   in Loop: Header=BB505_606 Depth=2
	s_or_b32 exec_lo, exec_lo, s0
	s_delay_alu instid0(SALU_CYCLE_1)
	s_mov_b32 s0, exec_lo
	v_cmpx_lt_u32_e64 v47, v21
	s_cbranch_execz .LBB505_634
.LBB505_649:                            ;   in Loop: Header=BB505_606 Depth=2
	v_xor_b32_e32 v4, 0x7fffffff, v16
	v_lshlrev_b32_e32 v5, 2, v48
	s_delay_alu instid0(VALU_DEP_2) | instskip(NEXT) | instid1(VALU_DEP_1)
	v_lshrrev_b32_e32 v4, s57, v4
	v_and_b32_e32 v4, s39, v4
	s_delay_alu instid0(VALU_DEP_1) | instskip(SKIP_2) | instid1(SALU_CYCLE_1)
	v_lshl_or_b32 v4, v4, 4, v5
	ds_add_u32 v4, v92
	s_or_b32 exec_lo, exec_lo, s0
	s_mov_b32 s0, exec_lo
	v_cmpx_lt_u32_e64 v51, v21
	s_cbranch_execnz .LBB505_635
.LBB505_650:                            ;   in Loop: Header=BB505_606 Depth=2
	s_or_b32 exec_lo, exec_lo, s0
	s_delay_alu instid0(SALU_CYCLE_1)
	s_mov_b32 s0, exec_lo
	v_cmpx_lt_u32_e64 v52, v21
	s_cbranch_execz .LBB505_636
.LBB505_651:                            ;   in Loop: Header=BB505_606 Depth=2
	v_xor_b32_e32 v4, 0x7fffffff, v14
	v_lshlrev_b32_e32 v5, 2, v48
	s_delay_alu instid0(VALU_DEP_2) | instskip(NEXT) | instid1(VALU_DEP_1)
	v_lshrrev_b32_e32 v4, s57, v4
	v_and_b32_e32 v4, s39, v4
	s_delay_alu instid0(VALU_DEP_1) | instskip(SKIP_2) | instid1(SALU_CYCLE_1)
	v_lshl_or_b32 v4, v4, 4, v5
	ds_add_u32 v4, v92
	s_or_b32 exec_lo, exec_lo, s0
	s_mov_b32 s0, exec_lo
	v_cmpx_lt_u32_e64 v53, v21
	s_cbranch_execnz .LBB505_637
.LBB505_652:                            ;   in Loop: Header=BB505_606 Depth=2
	s_or_b32 exec_lo, exec_lo, s0
	s_delay_alu instid0(SALU_CYCLE_1)
	s_mov_b32 s0, exec_lo
	v_cmpx_lt_u32_e64 v54, v21
	s_cbranch_execz .LBB505_638
.LBB505_653:                            ;   in Loop: Header=BB505_606 Depth=2
	v_xor_b32_e32 v4, 0x7fffffff, v12
	v_lshlrev_b32_e32 v5, 2, v48
	s_delay_alu instid0(VALU_DEP_2) | instskip(NEXT) | instid1(VALU_DEP_1)
	v_lshrrev_b32_e32 v4, s57, v4
	v_and_b32_e32 v4, s39, v4
	s_delay_alu instid0(VALU_DEP_1) | instskip(SKIP_2) | instid1(SALU_CYCLE_1)
	v_lshl_or_b32 v4, v4, 4, v5
	ds_add_u32 v4, v92
	s_or_b32 exec_lo, exec_lo, s0
	s_mov_b32 s0, exec_lo
	v_cmpx_lt_u32_e64 v55, v21
	s_cbranch_execnz .LBB505_639
.LBB505_654:                            ;   in Loop: Header=BB505_606 Depth=2
	s_or_b32 exec_lo, exec_lo, s0
	s_delay_alu instid0(SALU_CYCLE_1)
	s_mov_b32 s0, exec_lo
	v_cmpx_lt_u32_e64 v56, v21
	s_cbranch_execz .LBB505_640
.LBB505_655:                            ;   in Loop: Header=BB505_606 Depth=2
	v_xor_b32_e32 v4, 0x7fffffff, v10
	v_lshlrev_b32_e32 v5, 2, v48
	s_delay_alu instid0(VALU_DEP_2) | instskip(NEXT) | instid1(VALU_DEP_1)
	v_lshrrev_b32_e32 v4, s57, v4
	v_and_b32_e32 v4, s39, v4
	s_delay_alu instid0(VALU_DEP_1) | instskip(SKIP_2) | instid1(SALU_CYCLE_1)
	v_lshl_or_b32 v4, v4, 4, v5
	ds_add_u32 v4, v92
	s_or_b32 exec_lo, exec_lo, s0
	s_mov_b32 s0, exec_lo
	v_cmpx_lt_u32_e64 v57, v21
	s_cbranch_execnz .LBB505_641
.LBB505_656:                            ;   in Loop: Header=BB505_606 Depth=2
	s_or_b32 exec_lo, exec_lo, s0
	s_delay_alu instid0(SALU_CYCLE_1)
	s_mov_b32 s0, exec_lo
	v_cmpx_lt_u32_e64 v58, v21
	s_cbranch_execz .LBB505_642
.LBB505_657:                            ;   in Loop: Header=BB505_606 Depth=2
	v_xor_b32_e32 v4, 0x7fffffff, v8
	v_lshlrev_b32_e32 v5, 2, v48
	s_delay_alu instid0(VALU_DEP_2) | instskip(NEXT) | instid1(VALU_DEP_1)
	v_lshrrev_b32_e32 v4, s57, v4
	v_and_b32_e32 v4, s39, v4
	s_delay_alu instid0(VALU_DEP_1) | instskip(SKIP_2) | instid1(SALU_CYCLE_1)
	v_lshl_or_b32 v4, v4, 4, v5
	ds_add_u32 v4, v92
	s_or_b32 exec_lo, exec_lo, s0
	s_mov_b32 s0, exec_lo
	v_cmpx_lt_u32_e64 v59, v21
	s_cbranch_execnz .LBB505_643
.LBB505_658:                            ;   in Loop: Header=BB505_606 Depth=2
	s_or_b32 exec_lo, exec_lo, s0
	s_delay_alu instid0(SALU_CYCLE_1)
	s_mov_b32 s0, exec_lo
	v_cmpx_lt_u32_e64 v60, v21
	s_cbranch_execz .LBB505_644
.LBB505_659:                            ;   in Loop: Header=BB505_606 Depth=2
	v_xor_b32_e32 v4, 0x7fffffff, v6
	v_lshlrev_b32_e32 v5, 2, v48
	s_delay_alu instid0(VALU_DEP_2) | instskip(NEXT) | instid1(VALU_DEP_1)
	v_lshrrev_b32_e32 v4, s57, v4
	v_and_b32_e32 v4, s39, v4
	s_delay_alu instid0(VALU_DEP_1) | instskip(SKIP_2) | instid1(SALU_CYCLE_1)
	v_lshl_or_b32 v4, v4, 4, v5
	ds_add_u32 v4, v92
	s_or_b32 exec_lo, exec_lo, s0
	s_mov_b32 s0, exec_lo
	v_cmpx_lt_u32_e64 v61, v21
	s_cbranch_execnz .LBB505_645
.LBB505_660:                            ;   in Loop: Header=BB505_606 Depth=2
	s_or_b32 exec_lo, exec_lo, s0
	s_delay_alu instid0(SALU_CYCLE_1)
	s_mov_b32 s0, exec_lo
	v_cmpx_lt_u32_e64 v63, v21
	s_cbranch_execz .LBB505_605
.LBB505_661:                            ;   in Loop: Header=BB505_606 Depth=2
	s_waitcnt vmcnt(0)
	v_xor_b32_e32 v4, 0x7fffffff, v20
	v_lshlrev_b32_e32 v5, 2, v48
	s_delay_alu instid0(VALU_DEP_2) | instskip(NEXT) | instid1(VALU_DEP_1)
	v_lshrrev_b32_e32 v4, s57, v4
	v_and_b32_e32 v4, s39, v4
	s_delay_alu instid0(VALU_DEP_1)
	v_lshl_or_b32 v4, v4, 4, v5
	ds_add_u32 v4, v92
	s_branch .LBB505_605
.LBB505_662:                            ;   in Loop: Header=BB505_606 Depth=2
	s_or_b32 exec_lo, exec_lo, s11
	s_delay_alu instid0(SALU_CYCLE_1)
	s_mov_b32 s11, exec_lo
	v_cmpx_gt_u32_e64 s8, v45
	s_cbranch_execz .LBB505_612
.LBB505_663:                            ;   in Loop: Header=BB505_606 Depth=2
	global_load_b32 v18, v93, s[0:1] offset:1024
	s_or_b32 exec_lo, exec_lo, s11
	s_delay_alu instid0(SALU_CYCLE_1)
	s_mov_b32 s11, exec_lo
	v_cmpx_gt_u32_e64 s8, v46
	s_cbranch_execnz .LBB505_613
.LBB505_664:                            ;   in Loop: Header=BB505_606 Depth=2
	s_or_b32 exec_lo, exec_lo, s11
	s_delay_alu instid0(SALU_CYCLE_1)
	s_mov_b32 s11, exec_lo
	v_cmpx_gt_u32_e64 s8, v47
	s_cbranch_execz .LBB505_614
.LBB505_665:                            ;   in Loop: Header=BB505_606 Depth=2
	global_load_b32 v16, v93, s[0:1] offset:3072
	s_or_b32 exec_lo, exec_lo, s11
	s_delay_alu instid0(SALU_CYCLE_1)
	s_mov_b32 s11, exec_lo
	v_cmpx_gt_u32_e64 s8, v51
	s_cbranch_execnz .LBB505_615
.LBB505_666:                            ;   in Loop: Header=BB505_606 Depth=2
	s_or_b32 exec_lo, exec_lo, s11
	s_delay_alu instid0(SALU_CYCLE_1)
	s_mov_b32 s11, exec_lo
	v_cmpx_gt_u32_e64 s8, v52
	s_cbranch_execz .LBB505_616
.LBB505_667:                            ;   in Loop: Header=BB505_606 Depth=2
	global_load_b32 v14, v95, s[0:1]
	s_or_b32 exec_lo, exec_lo, s11
	s_delay_alu instid0(SALU_CYCLE_1)
	s_mov_b32 s11, exec_lo
	v_cmpx_gt_u32_e64 s8, v53
	s_cbranch_execnz .LBB505_617
.LBB505_668:                            ;   in Loop: Header=BB505_606 Depth=2
	s_or_b32 exec_lo, exec_lo, s11
	s_delay_alu instid0(SALU_CYCLE_1)
	s_mov_b32 s11, exec_lo
	v_cmpx_gt_u32_e64 s8, v54
	s_cbranch_execz .LBB505_618
.LBB505_669:                            ;   in Loop: Header=BB505_606 Depth=2
	global_load_b32 v12, v97, s[0:1]
	s_or_b32 exec_lo, exec_lo, s11
	s_delay_alu instid0(SALU_CYCLE_1)
	s_mov_b32 s11, exec_lo
	v_cmpx_gt_u32_e64 s8, v55
	s_cbranch_execnz .LBB505_619
.LBB505_670:                            ;   in Loop: Header=BB505_606 Depth=2
	s_or_b32 exec_lo, exec_lo, s11
	s_delay_alu instid0(SALU_CYCLE_1)
	s_mov_b32 s11, exec_lo
	v_cmpx_gt_u32_e64 s8, v56
	s_cbranch_execz .LBB505_620
.LBB505_671:                            ;   in Loop: Header=BB505_606 Depth=2
	global_load_b32 v10, v99, s[0:1]
	s_or_b32 exec_lo, exec_lo, s11
	s_delay_alu instid0(SALU_CYCLE_1)
	s_mov_b32 s11, exec_lo
	v_cmpx_gt_u32_e64 s8, v57
	s_cbranch_execnz .LBB505_621
.LBB505_672:                            ;   in Loop: Header=BB505_606 Depth=2
	s_or_b32 exec_lo, exec_lo, s11
	s_delay_alu instid0(SALU_CYCLE_1)
	s_mov_b32 s11, exec_lo
	v_cmpx_gt_u32_e64 s8, v58
	s_cbranch_execz .LBB505_622
.LBB505_673:                            ;   in Loop: Header=BB505_606 Depth=2
	global_load_b32 v8, v101, s[0:1]
	s_or_b32 exec_lo, exec_lo, s11
	s_delay_alu instid0(SALU_CYCLE_1)
	s_mov_b32 s11, exec_lo
	v_cmpx_gt_u32_e64 s8, v59
	s_cbranch_execnz .LBB505_623
.LBB505_674:                            ;   in Loop: Header=BB505_606 Depth=2
	s_or_b32 exec_lo, exec_lo, s11
	s_delay_alu instid0(SALU_CYCLE_1)
	s_mov_b32 s11, exec_lo
	v_cmpx_gt_u32_e64 s8, v60
	s_cbranch_execz .LBB505_624
.LBB505_675:                            ;   in Loop: Header=BB505_606 Depth=2
	global_load_b32 v6, v103, s[0:1]
	s_or_b32 exec_lo, exec_lo, s11
	s_delay_alu instid0(SALU_CYCLE_1)
	s_mov_b32 s11, exec_lo
	v_cmpx_gt_u32_e64 s8, v61
	s_cbranch_execz .LBB505_626
	s_branch .LBB505_625
.LBB505_676:                            ;   in Loop: Header=BB505_12 Depth=1
	v_mov_b32_e32 v2, 0
	s_waitcnt vmcnt(0) lgkmcnt(0)
	s_barrier
	buffer_gl0_inv
	s_and_saveexec_b32 s0, s2
	s_cbranch_execz .LBB505_678
; %bb.677:                              ;   in Loop: Header=BB505_12 Depth=1
	ds_load_2addr_b64 v[4:7], v64 offset1:1
	s_waitcnt lgkmcnt(0)
	v_add_nc_u32_e32 v2, v5, v4
	s_delay_alu instid0(VALU_DEP_1)
	v_add3_u32 v2, v2, v6, v7
.LBB505_678:                            ;   in Loop: Header=BB505_12 Depth=1
	s_or_b32 exec_lo, exec_lo, s0
	v_and_b32_e32 v4, 15, v106
	s_delay_alu instid0(VALU_DEP_2) | instskip(SKIP_1) | instid1(VALU_DEP_3)
	v_mov_b32_dpp v5, v2 row_shr:1 row_mask:0xf bank_mask:0xf
	v_and_b32_e32 v6, 16, v106
	v_cmp_eq_u32_e64 s0, 0, v4
	v_cmp_lt_u32_e64 s1, 1, v4
	v_cmp_lt_u32_e64 s8, 3, v4
	;; [unrolled: 1-line block ×3, first 2 shown]
	v_cmp_eq_u32_e64 s10, 0, v6
	v_cndmask_b32_e64 v5, v5, 0, s0
	s_delay_alu instid0(VALU_DEP_1) | instskip(NEXT) | instid1(VALU_DEP_1)
	v_add_nc_u32_e32 v2, v5, v2
	v_mov_b32_dpp v5, v2 row_shr:2 row_mask:0xf bank_mask:0xf
	s_delay_alu instid0(VALU_DEP_1) | instskip(NEXT) | instid1(VALU_DEP_1)
	v_cndmask_b32_e64 v5, 0, v5, s1
	v_add_nc_u32_e32 v2, v2, v5
	s_delay_alu instid0(VALU_DEP_1) | instskip(NEXT) | instid1(VALU_DEP_1)
	v_mov_b32_dpp v5, v2 row_shr:4 row_mask:0xf bank_mask:0xf
	v_cndmask_b32_e64 v5, 0, v5, s8
	s_delay_alu instid0(VALU_DEP_1) | instskip(NEXT) | instid1(VALU_DEP_1)
	v_add_nc_u32_e32 v2, v2, v5
	v_mov_b32_dpp v5, v2 row_shr:8 row_mask:0xf bank_mask:0xf
	s_delay_alu instid0(VALU_DEP_1) | instskip(SKIP_1) | instid1(VALU_DEP_2)
	v_cndmask_b32_e64 v4, 0, v5, s9
	v_bfe_i32 v5, v106, 4, 1
	v_add_nc_u32_e32 v2, v2, v4
	ds_swizzle_b32 v4, v2 offset:swizzle(BROADCAST,32,15)
	s_waitcnt lgkmcnt(0)
	v_and_b32_e32 v4, v5, v4
	s_delay_alu instid0(VALU_DEP_1)
	v_add_nc_u32_e32 v4, v2, v4
	s_and_saveexec_b32 s11, s3
	s_cbranch_execz .LBB505_680
; %bb.679:                              ;   in Loop: Header=BB505_12 Depth=1
	ds_store_b32 v65, v4
.LBB505_680:                            ;   in Loop: Header=BB505_12 Depth=1
	s_or_b32 exec_lo, exec_lo, s11
	v_and_b32_e32 v2, 7, v106
	s_waitcnt lgkmcnt(0)
	s_barrier
	buffer_gl0_inv
	s_and_saveexec_b32 s11, s4
	s_cbranch_execz .LBB505_682
; %bb.681:                              ;   in Loop: Header=BB505_12 Depth=1
	ds_load_b32 v5, v66
	v_cmp_ne_u32_e32 vcc_lo, 0, v2
	s_waitcnt lgkmcnt(0)
	v_mov_b32_dpp v6, v5 row_shr:1 row_mask:0xf bank_mask:0xf
	s_delay_alu instid0(VALU_DEP_1) | instskip(SKIP_1) | instid1(VALU_DEP_2)
	v_cndmask_b32_e32 v6, 0, v6, vcc_lo
	v_cmp_lt_u32_e32 vcc_lo, 1, v2
	v_add_nc_u32_e32 v5, v6, v5
	s_delay_alu instid0(VALU_DEP_1) | instskip(NEXT) | instid1(VALU_DEP_1)
	v_mov_b32_dpp v6, v5 row_shr:2 row_mask:0xf bank_mask:0xf
	v_cndmask_b32_e32 v6, 0, v6, vcc_lo
	v_cmp_lt_u32_e32 vcc_lo, 3, v2
	s_delay_alu instid0(VALU_DEP_2) | instskip(NEXT) | instid1(VALU_DEP_1)
	v_add_nc_u32_e32 v5, v5, v6
	v_mov_b32_dpp v6, v5 row_shr:4 row_mask:0xf bank_mask:0xf
	s_delay_alu instid0(VALU_DEP_1) | instskip(NEXT) | instid1(VALU_DEP_1)
	v_cndmask_b32_e32 v6, 0, v6, vcc_lo
	v_add_nc_u32_e32 v5, v5, v6
	ds_store_b32 v66, v5
.LBB505_682:                            ;   in Loop: Header=BB505_12 Depth=1
	s_or_b32 exec_lo, exec_lo, s11
	v_mov_b32_e32 v5, 0
	s_waitcnt lgkmcnt(0)
	s_barrier
	buffer_gl0_inv
	s_and_saveexec_b32 s11, s5
	s_cbranch_execz .LBB505_684
; %bb.683:                              ;   in Loop: Header=BB505_12 Depth=1
	ds_load_b32 v5, v67
.LBB505_684:                            ;   in Loop: Header=BB505_12 Depth=1
	s_or_b32 exec_lo, exec_lo, s11
	v_add_nc_u32_e32 v6, -1, v106
	s_waitcnt lgkmcnt(0)
	v_add_nc_u32_e32 v4, v5, v4
	v_cmp_eq_u32_e64 s11, 0, v106
	s_barrier
	v_cmp_gt_i32_e32 vcc_lo, 0, v6
	buffer_gl0_inv
	v_cndmask_b32_e32 v6, v6, v106, vcc_lo
	s_delay_alu instid0(VALU_DEP_1)
	v_lshlrev_b32_e32 v107, 2, v6
	ds_bpermute_b32 v4, v107, v4
	s_and_saveexec_b32 s12, s2
	s_cbranch_execz .LBB505_686
; %bb.685:                              ;   in Loop: Header=BB505_12 Depth=1
	s_waitcnt lgkmcnt(0)
	v_cndmask_b32_e64 v4, v4, v5, s11
	s_delay_alu instid0(VALU_DEP_1)
	v_add_nc_u32_e32 v4, s60, v4
	ds_store_b32 v44, v4
.LBB505_686:                            ;   in Loop: Header=BB505_12 Depth=1
	s_or_b32 exec_lo, exec_lo, s12
	s_load_b64 s[12:13], s[36:37], 0x0
	v_lshlrev_b32_e32 v5, 3, v106
	v_cmp_lt_u32_e64 s14, 3, v2
	v_or_b32_e32 v108, v106, v68
	s_mov_b32 s40, s62
	s_mov_b32 s34, s60
	v_add_co_u32 v109, vcc_lo, v88, v5
	v_add_co_ci_u32_e32 v110, vcc_lo, 0, v89, vcc_lo
	v_or_b32_e32 v111, 32, v108
	v_or_b32_e32 v112, 64, v108
	;; [unrolled: 1-line block ×10, first 2 shown]
	s_waitcnt lgkmcnt(0)
	s_cmp_lt_u32 s15, s13
	v_or_b32_e32 v121, 0x160, v108
	s_cselect_b32 s13, 14, 20
	v_or_b32_e32 v122, 0x180, v108
	s_add_u32 s16, s36, s13
	s_addc_u32 s17, s37, 0
	s_cmp_lt_u32 s26, s12
	global_load_u16 v4, v3, s[16:17]
	s_cselect_b32 s12, 12, 18
	v_or_b32_e32 v123, 0x1a0, v108
	s_add_u32 s12, s36, s12
	s_addc_u32 s13, s37, 0
	v_or_b32_e32 v124, 0x1c0, v108
	global_load_u16 v6, v3, s[12:13]
	v_cmp_eq_u32_e64 s12, 0, v2
	v_cmp_lt_u32_e64 s13, 1, v2
	v_lshlrev_b32_e32 v2, 2, v106
	v_or_b32_e32 v125, 0x1e0, v108
                                        ; implicit-def: $vgpr8_vgpr9
                                        ; implicit-def: $vgpr10_vgpr11
                                        ; implicit-def: $vgpr12_vgpr13
                                        ; implicit-def: $vgpr14_vgpr15
                                        ; implicit-def: $vgpr16_vgpr17
                                        ; implicit-def: $vgpr18_vgpr19
                                        ; implicit-def: $vgpr20_vgpr21
                                        ; implicit-def: $vgpr22_vgpr23
                                        ; implicit-def: $vgpr24_vgpr25
                                        ; implicit-def: $vgpr26_vgpr27
                                        ; implicit-def: $vgpr28_vgpr29
                                        ; implicit-def: $vgpr30_vgpr31
                                        ; implicit-def: $vgpr32_vgpr33
                                        ; implicit-def: $vgpr34_vgpr35
                                        ; implicit-def: $vgpr131
                                        ; implicit-def: $vgpr132
                                        ; implicit-def: $vgpr133
                                        ; implicit-def: $vgpr134
                                        ; implicit-def: $vgpr135
                                        ; implicit-def: $vgpr136
                                        ; implicit-def: $vgpr137
                                        ; implicit-def: $vgpr138
                                        ; implicit-def: $vgpr139
                                        ; implicit-def: $vgpr140
                                        ; implicit-def: $vgpr141
                                        ; implicit-def: $vgpr142
                                        ; implicit-def: $vgpr143
                                        ; implicit-def: $vgpr144
                                        ; implicit-def: $vgpr145
                                        ; implicit-def: $vgpr146
	s_delay_alu instid0(VALU_DEP_2) | instskip(SKIP_1) | instid1(VALU_DEP_2)
	v_add_co_u32 v126, vcc_lo, v90, v2
	v_add_co_ci_u32_e32 v127, vcc_lo, 0, v91, vcc_lo
	v_add_co_u32 v129, vcc_lo, 0x780, v126
	s_delay_alu instid0(VALU_DEP_2) | instskip(SKIP_3) | instid1(VALU_DEP_1)
	v_add_co_ci_u32_e32 v130, vcc_lo, 0, v127, vcc_lo
	s_waitcnt vmcnt(1)
	v_mad_u32_u24 v7, v69, v4, v0
	s_waitcnt vmcnt(0)
	v_mad_u64_u32 v[4:5], null, v7, v6, v[1:2]
                                        ; implicit-def: $vgpr6_vgpr7
	s_delay_alu instid0(VALU_DEP_1)
	v_lshrrev_b32_e32 v128, 5, v4
                                        ; implicit-def: $vgpr4_vgpr5
	s_branch .LBB505_688
.LBB505_687:                            ;   in Loop: Header=BB505_688 Depth=2
	s_or_b32 exec_lo, exec_lo, s16
	s_addk_i32 s40, 0xf000
	s_cmp_lt_u32 s41, s61
	s_mov_b32 s34, s41
	s_cbranch_scc0 .LBB505_896
.LBB505_688:                            ;   Parent Loop BB505_12 Depth=1
                                        ; =>  This Inner Loop Header: Depth=2
	s_add_i32 s41, s34, 0x1000
	s_delay_alu instid0(SALU_CYCLE_1)
	s_cmp_gt_u32 s41, s61
	s_cbranch_scc1 .LBB505_691
; %bb.689:                              ;   in Loop: Header=BB505_688 Depth=2
	s_mov_b32 s17, 0
	s_mov_b32 s16, s34
	s_delay_alu instid0(SALU_CYCLE_1) | instskip(NEXT) | instid1(SALU_CYCLE_1)
	s_lshl_b64 s[18:19], s[16:17], 2
	v_add_co_u32 v36, vcc_lo, v126, s18
	v_add_co_ci_u32_e32 v37, vcc_lo, s19, v127, vcc_lo
	s_mov_b32 s19, -1
	s_movk_i32 s18, 0x1000
	s_clause 0xe
	global_load_b32 v2, v[36:37], off
	global_load_b32 v148, v[36:37], off offset:128
	global_load_b32 v151, v[36:37], off offset:256
	;; [unrolled: 1-line block ×14, first 2 shown]
	s_cbranch_execz .LBB505_692
; %bb.690:                              ;   in Loop: Header=BB505_688 Depth=2
                                        ; implicit-def: $sgpr20
	v_dual_mov_b32 v36, s20 :: v_dual_mov_b32 v147, s40
	s_and_saveexec_b32 s20, s19
	s_cbranch_execnz .LBB505_723
	s_branch .LBB505_724
.LBB505_691:                            ;   in Loop: Header=BB505_688 Depth=2
	s_mov_b32 s17, -1
	s_mov_b32 s19, 0
                                        ; implicit-def: $sgpr18
                                        ; implicit-def: $vgpr2
                                        ; implicit-def: $vgpr148
                                        ; implicit-def: $vgpr151
                                        ; implicit-def: $vgpr155
                                        ; implicit-def: $vgpr159
                                        ; implicit-def: $vgpr163
                                        ; implicit-def: $vgpr167
                                        ; implicit-def: $vgpr172
                                        ; implicit-def: $vgpr171
                                        ; implicit-def: $vgpr43
                                        ; implicit-def: $vgpr42
                                        ; implicit-def: $vgpr41
                                        ; implicit-def: $vgpr40
                                        ; implicit-def: $vgpr39
                                        ; implicit-def: $vgpr38
.LBB505_692:                            ;   in Loop: Header=BB505_688 Depth=2
	s_lshl_b64 s[16:17], s[34:35], 2
	s_waitcnt vmcnt(13)
	v_bfrev_b32_e32 v148, 1
	v_add_co_u32 v36, vcc_lo, v126, s16
	v_add_co_ci_u32_e32 v37, vcc_lo, s17, v127, vcc_lo
	v_bfrev_b32_e32 v2, 1
	s_mov_b32 s16, exec_lo
	v_cmpx_gt_u32_e64 s40, v108
	s_cbranch_execz .LBB505_694
; %bb.693:                              ;   in Loop: Header=BB505_688 Depth=2
	global_load_b32 v2, v[36:37], off
.LBB505_694:                            ;   in Loop: Header=BB505_688 Depth=2
	s_or_b32 exec_lo, exec_lo, s16
	s_delay_alu instid0(SALU_CYCLE_1)
	s_mov_b32 s16, exec_lo
	v_cmpx_gt_u32_e64 s40, v111
	s_cbranch_execz .LBB505_696
; %bb.695:                              ;   in Loop: Header=BB505_688 Depth=2
	global_load_b32 v148, v[36:37], off offset:128
.LBB505_696:                            ;   in Loop: Header=BB505_688 Depth=2
	s_or_b32 exec_lo, exec_lo, s16
	s_waitcnt vmcnt(11)
	v_bfrev_b32_e32 v155, 1
	v_bfrev_b32_e32 v151, 1
	s_mov_b32 s16, exec_lo
	v_cmpx_gt_u32_e64 s40, v112
	s_cbranch_execz .LBB505_698
; %bb.697:                              ;   in Loop: Header=BB505_688 Depth=2
	global_load_b32 v151, v[36:37], off offset:256
.LBB505_698:                            ;   in Loop: Header=BB505_688 Depth=2
	s_or_b32 exec_lo, exec_lo, s16
	s_delay_alu instid0(SALU_CYCLE_1)
	s_mov_b32 s16, exec_lo
	v_cmpx_gt_u32_e64 s40, v113
	s_cbranch_execz .LBB505_700
; %bb.699:                              ;   in Loop: Header=BB505_688 Depth=2
	global_load_b32 v155, v[36:37], off offset:384
.LBB505_700:                            ;   in Loop: Header=BB505_688 Depth=2
	s_or_b32 exec_lo, exec_lo, s16
	s_waitcnt vmcnt(9)
	v_bfrev_b32_e32 v163, 1
	v_bfrev_b32_e32 v159, 1
	s_mov_b32 s16, exec_lo
	v_cmpx_gt_u32_e64 s40, v114
	s_cbranch_execz .LBB505_702
; %bb.701:                              ;   in Loop: Header=BB505_688 Depth=2
	global_load_b32 v159, v[36:37], off offset:512
.LBB505_702:                            ;   in Loop: Header=BB505_688 Depth=2
	s_or_b32 exec_lo, exec_lo, s16
	s_delay_alu instid0(SALU_CYCLE_1)
	s_mov_b32 s16, exec_lo
	v_cmpx_gt_u32_e64 s40, v115
	s_cbranch_execz .LBB505_704
; %bb.703:                              ;   in Loop: Header=BB505_688 Depth=2
	global_load_b32 v163, v[36:37], off offset:640
.LBB505_704:                            ;   in Loop: Header=BB505_688 Depth=2
	s_or_b32 exec_lo, exec_lo, s16
	s_waitcnt vmcnt(7)
	v_bfrev_b32_e32 v172, 1
	v_bfrev_b32_e32 v167, 1
	s_mov_b32 s16, exec_lo
	v_cmpx_gt_u32_e64 s40, v116
	s_cbranch_execz .LBB505_706
; %bb.705:                              ;   in Loop: Header=BB505_688 Depth=2
	global_load_b32 v167, v[36:37], off offset:768
.LBB505_706:                            ;   in Loop: Header=BB505_688 Depth=2
	s_or_b32 exec_lo, exec_lo, s16
	s_delay_alu instid0(SALU_CYCLE_1)
	s_mov_b32 s16, exec_lo
	v_cmpx_gt_u32_e64 s40, v117
	s_cbranch_execz .LBB505_708
; %bb.707:                              ;   in Loop: Header=BB505_688 Depth=2
	global_load_b32 v172, v[36:37], off offset:896
.LBB505_708:                            ;   in Loop: Header=BB505_688 Depth=2
	s_or_b32 exec_lo, exec_lo, s16
	s_waitcnt vmcnt(5)
	v_bfrev_b32_e32 v43, 1
	v_bfrev_b32_e32 v171, 1
	s_mov_b32 s16, exec_lo
	v_cmpx_gt_u32_e64 s40, v118
	s_cbranch_execz .LBB505_710
; %bb.709:                              ;   in Loop: Header=BB505_688 Depth=2
	global_load_b32 v171, v[36:37], off offset:1024
.LBB505_710:                            ;   in Loop: Header=BB505_688 Depth=2
	s_or_b32 exec_lo, exec_lo, s16
	s_delay_alu instid0(SALU_CYCLE_1)
	s_mov_b32 s16, exec_lo
	v_cmpx_gt_u32_e64 s40, v119
	s_cbranch_execz .LBB505_712
; %bb.711:                              ;   in Loop: Header=BB505_688 Depth=2
	global_load_b32 v43, v[36:37], off offset:1152
.LBB505_712:                            ;   in Loop: Header=BB505_688 Depth=2
	s_or_b32 exec_lo, exec_lo, s16
	s_waitcnt vmcnt(3)
	v_bfrev_b32_e32 v41, 1
	v_bfrev_b32_e32 v42, 1
	s_mov_b32 s16, exec_lo
	v_cmpx_gt_u32_e64 s40, v120
	s_cbranch_execz .LBB505_714
; %bb.713:                              ;   in Loop: Header=BB505_688 Depth=2
	global_load_b32 v42, v[36:37], off offset:1280
.LBB505_714:                            ;   in Loop: Header=BB505_688 Depth=2
	s_or_b32 exec_lo, exec_lo, s16
	s_delay_alu instid0(SALU_CYCLE_1)
	s_mov_b32 s16, exec_lo
	v_cmpx_gt_u32_e64 s40, v121
	s_cbranch_execz .LBB505_716
; %bb.715:                              ;   in Loop: Header=BB505_688 Depth=2
	global_load_b32 v41, v[36:37], off offset:1408
.LBB505_716:                            ;   in Loop: Header=BB505_688 Depth=2
	s_or_b32 exec_lo, exec_lo, s16
	s_waitcnt vmcnt(1)
	v_bfrev_b32_e32 v39, 1
	v_bfrev_b32_e32 v40, 1
	s_mov_b32 s16, exec_lo
	v_cmpx_gt_u32_e64 s40, v122
	s_cbranch_execz .LBB505_718
; %bb.717:                              ;   in Loop: Header=BB505_688 Depth=2
	global_load_b32 v40, v[36:37], off offset:1536
.LBB505_718:                            ;   in Loop: Header=BB505_688 Depth=2
	s_or_b32 exec_lo, exec_lo, s16
	s_delay_alu instid0(SALU_CYCLE_1)
	s_mov_b32 s16, exec_lo
	v_cmpx_gt_u32_e64 s40, v123
	s_cbranch_execz .LBB505_720
; %bb.719:                              ;   in Loop: Header=BB505_688 Depth=2
	global_load_b32 v39, v[36:37], off offset:1664
.LBB505_720:                            ;   in Loop: Header=BB505_688 Depth=2
	s_or_b32 exec_lo, exec_lo, s16
	s_waitcnt vmcnt(0)
	v_bfrev_b32_e32 v38, 1
	s_mov_b32 s16, exec_lo
	v_cmpx_gt_u32_e64 s40, v124
	s_cbranch_execz .LBB505_722
; %bb.721:                              ;   in Loop: Header=BB505_688 Depth=2
	global_load_b32 v38, v[36:37], off offset:1792
.LBB505_722:                            ;   in Loop: Header=BB505_688 Depth=2
	s_or_b32 exec_lo, exec_lo, s16
	v_cmp_gt_u32_e64 s19, s40, v125
	s_sub_i32 s18, s61, s34
	s_brev_b32 s20, 1
	s_mov_b64 s[16:17], s[34:35]
	v_dual_mov_b32 v36, s20 :: v_dual_mov_b32 v147, s40
	s_and_saveexec_b32 s20, s19
	s_cbranch_execz .LBB505_724
.LBB505_723:                            ;   in Loop: Header=BB505_688 Depth=2
	s_lshl_b64 s[16:17], s[16:17], 2
	v_mov_b32_e32 v147, s18
	v_add_co_u32 v36, vcc_lo, v129, s16
	v_add_co_ci_u32_e32 v37, vcc_lo, s17, v130, vcc_lo
	global_load_b32 v36, v[36:37], off
.LBB505_724:                            ;   in Loop: Header=BB505_688 Depth=2
	s_or_b32 exec_lo, exec_lo, s20
	s_waitcnt vmcnt(14)
	v_xor_b32_e32 v2, 0x7fffffff, v2
	ds_store_b32 v70, v3 offset:1056
	ds_store_2addr_b32 v71, v3, v3 offset0:1 offset1:2
	ds_store_2addr_b32 v71, v3, v3 offset0:3 offset1:4
	;; [unrolled: 1-line block ×4, first 2 shown]
	s_waitcnt vmcnt(0) lgkmcnt(0)
	s_barrier
	v_lshrrev_b32_e32 v37, s57, v2
	buffer_gl0_inv
	; wave barrier
	v_and_b32_e32 v150, s39, v37
	s_delay_alu instid0(VALU_DEP_1)
	v_and_b32_e32 v37, 1, v150
	v_lshlrev_b32_e32 v149, 30, v150
	v_lshlrev_b32_e32 v152, 29, v150
	;; [unrolled: 1-line block ×4, first 2 shown]
	v_add_co_u32 v37, s16, v37, -1
	s_delay_alu instid0(VALU_DEP_1)
	v_cndmask_b32_e64 v154, 0, 1, s16
	v_not_b32_e32 v160, v149
	v_cmp_gt_i32_e64 s16, 0, v149
	v_not_b32_e32 v149, v152
	v_lshlrev_b32_e32 v157, 26, v150
	v_cmp_ne_u32_e32 vcc_lo, 0, v154
	v_ashrrev_i32_e32 v160, 31, v160
	v_lshlrev_b32_e32 v158, 25, v150
	v_ashrrev_i32_e32 v149, 31, v149
	v_lshlrev_b32_e32 v154, 24, v150
	v_xor_b32_e32 v37, vcc_lo, v37
	v_cmp_gt_i32_e32 vcc_lo, 0, v152
	v_not_b32_e32 v152, v153
	v_xor_b32_e32 v160, s16, v160
	v_cmp_gt_i32_e64 s16, 0, v153
	v_and_b32_e32 v37, exec_lo, v37
	v_not_b32_e32 v153, v156
	v_ashrrev_i32_e32 v152, 31, v152
	v_xor_b32_e32 v149, vcc_lo, v149
	v_cmp_gt_i32_e32 vcc_lo, 0, v156
	v_and_b32_e32 v37, v37, v160
	v_not_b32_e32 v156, v157
	v_ashrrev_i32_e32 v153, 31, v153
	v_xor_b32_e32 v152, s16, v152
	v_cmp_gt_i32_e64 s16, 0, v157
	v_and_b32_e32 v37, v37, v149
	v_not_b32_e32 v149, v158
	v_ashrrev_i32_e32 v156, 31, v156
	v_xor_b32_e32 v153, vcc_lo, v153
	v_cmp_gt_i32_e32 vcc_lo, 0, v158
	v_and_b32_e32 v37, v37, v152
	v_not_b32_e32 v152, v154
	v_ashrrev_i32_e32 v149, 31, v149
	v_xor_b32_e32 v156, s16, v156
	v_cmp_gt_i32_e64 s16, 0, v154
	v_and_b32_e32 v37, v37, v153
	v_ashrrev_i32_e32 v152, 31, v152
	v_xor_b32_e32 v149, vcc_lo, v149
	v_mad_u32_u24 v150, v150, 9, v128
	s_delay_alu instid0(VALU_DEP_4) | instskip(NEXT) | instid1(VALU_DEP_4)
	v_and_b32_e32 v37, v37, v156
	v_xor_b32_e32 v152, s16, v152
	s_delay_alu instid0(VALU_DEP_3) | instskip(NEXT) | instid1(VALU_DEP_3)
	v_lshl_add_u32 v150, v150, 2, 0x420
	v_and_b32_e32 v37, v37, v149
	s_delay_alu instid0(VALU_DEP_1) | instskip(NEXT) | instid1(VALU_DEP_1)
	v_and_b32_e32 v37, v37, v152
	v_mbcnt_lo_u32_b32 v149, v37, 0
	v_cmp_ne_u32_e64 s16, 0, v37
	s_delay_alu instid0(VALU_DEP_2) | instskip(NEXT) | instid1(VALU_DEP_2)
	v_cmp_eq_u32_e32 vcc_lo, 0, v149
	s_and_b32 s17, s16, vcc_lo
	s_delay_alu instid0(SALU_CYCLE_1)
	s_and_saveexec_b32 s16, s17
	s_cbranch_execz .LBB505_726
; %bb.725:                              ;   in Loop: Header=BB505_688 Depth=2
	v_bcnt_u32_b32 v37, v37, 0
	ds_store_b32 v150, v37
.LBB505_726:                            ;   in Loop: Header=BB505_688 Depth=2
	s_or_b32 exec_lo, exec_lo, s16
	v_xor_b32_e32 v148, 0x7fffffff, v148
	; wave barrier
	s_delay_alu instid0(VALU_DEP_1) | instskip(NEXT) | instid1(VALU_DEP_1)
	v_lshrrev_b32_e32 v37, s57, v148
	v_and_b32_e32 v37, s39, v37
	s_delay_alu instid0(VALU_DEP_1)
	v_and_b32_e32 v152, 1, v37
	v_lshlrev_b32_e32 v153, 30, v37
	v_lshlrev_b32_e32 v154, 29, v37
	;; [unrolled: 1-line block ×4, first 2 shown]
	v_add_co_u32 v152, s16, v152, -1
	s_delay_alu instid0(VALU_DEP_1)
	v_cndmask_b32_e64 v157, 0, 1, s16
	v_not_b32_e32 v162, v153
	v_cmp_gt_i32_e64 s16, 0, v153
	v_not_b32_e32 v153, v154
	v_lshlrev_b32_e32 v160, 26, v37
	v_cmp_ne_u32_e32 vcc_lo, 0, v157
	v_ashrrev_i32_e32 v162, 31, v162
	v_lshlrev_b32_e32 v161, 25, v37
	v_ashrrev_i32_e32 v153, 31, v153
	v_lshlrev_b32_e32 v157, 24, v37
	v_xor_b32_e32 v152, vcc_lo, v152
	v_cmp_gt_i32_e32 vcc_lo, 0, v154
	v_not_b32_e32 v154, v156
	v_xor_b32_e32 v162, s16, v162
	v_cmp_gt_i32_e64 s16, 0, v156
	v_and_b32_e32 v152, exec_lo, v152
	v_not_b32_e32 v156, v158
	v_ashrrev_i32_e32 v154, 31, v154
	v_xor_b32_e32 v153, vcc_lo, v153
	v_cmp_gt_i32_e32 vcc_lo, 0, v158
	v_and_b32_e32 v152, v152, v162
	v_not_b32_e32 v158, v160
	v_ashrrev_i32_e32 v156, 31, v156
	v_xor_b32_e32 v154, s16, v154
	v_cmp_gt_i32_e64 s16, 0, v160
	v_and_b32_e32 v152, v152, v153
	v_not_b32_e32 v153, v161
	v_ashrrev_i32_e32 v158, 31, v158
	v_xor_b32_e32 v156, vcc_lo, v156
	v_cmp_gt_i32_e32 vcc_lo, 0, v161
	v_and_b32_e32 v152, v152, v154
	v_not_b32_e32 v154, v157
	v_ashrrev_i32_e32 v153, 31, v153
	v_xor_b32_e32 v158, s16, v158
	v_mul_u32_u24_e32 v37, 9, v37
	v_and_b32_e32 v152, v152, v156
	v_cmp_gt_i32_e64 s16, 0, v157
	v_ashrrev_i32_e32 v154, 31, v154
	v_xor_b32_e32 v153, vcc_lo, v153
	v_add_lshl_u32 v156, v37, v128, 2
	v_and_b32_e32 v152, v152, v158
	s_delay_alu instid0(VALU_DEP_4) | instskip(NEXT) | instid1(VALU_DEP_3)
	v_xor_b32_e32 v37, s16, v154
	v_add_nc_u32_e32 v154, 0x420, v156
	s_delay_alu instid0(VALU_DEP_3) | instskip(SKIP_2) | instid1(VALU_DEP_1)
	v_and_b32_e32 v153, v152, v153
	ds_load_b32 v152, v156 offset:1056
	; wave barrier
	v_and_b32_e32 v37, v153, v37
	v_mbcnt_lo_u32_b32 v153, v37, 0
	v_cmp_ne_u32_e64 s16, 0, v37
	s_delay_alu instid0(VALU_DEP_2) | instskip(NEXT) | instid1(VALU_DEP_2)
	v_cmp_eq_u32_e32 vcc_lo, 0, v153
	s_and_b32 s17, s16, vcc_lo
	s_delay_alu instid0(SALU_CYCLE_1)
	s_and_saveexec_b32 s16, s17
	s_cbranch_execz .LBB505_728
; %bb.727:                              ;   in Loop: Header=BB505_688 Depth=2
	s_waitcnt lgkmcnt(0)
	v_bcnt_u32_b32 v37, v37, v152
	ds_store_b32 v154, v37
.LBB505_728:                            ;   in Loop: Header=BB505_688 Depth=2
	s_or_b32 exec_lo, exec_lo, s16
	v_xor_b32_e32 v151, 0x7fffffff, v151
	; wave barrier
	s_delay_alu instid0(VALU_DEP_1) | instskip(NEXT) | instid1(VALU_DEP_1)
	v_lshrrev_b32_e32 v37, s57, v151
	v_and_b32_e32 v37, s39, v37
	s_delay_alu instid0(VALU_DEP_1)
	v_and_b32_e32 v156, 1, v37
	v_lshlrev_b32_e32 v157, 30, v37
	v_lshlrev_b32_e32 v158, 29, v37
	;; [unrolled: 1-line block ×4, first 2 shown]
	v_add_co_u32 v156, s16, v156, -1
	s_delay_alu instid0(VALU_DEP_1)
	v_cndmask_b32_e64 v161, 0, 1, s16
	v_not_b32_e32 v166, v157
	v_cmp_gt_i32_e64 s16, 0, v157
	v_not_b32_e32 v157, v158
	v_lshlrev_b32_e32 v164, 26, v37
	v_cmp_ne_u32_e32 vcc_lo, 0, v161
	v_ashrrev_i32_e32 v166, 31, v166
	v_lshlrev_b32_e32 v165, 25, v37
	v_ashrrev_i32_e32 v157, 31, v157
	v_lshlrev_b32_e32 v161, 24, v37
	v_xor_b32_e32 v156, vcc_lo, v156
	v_cmp_gt_i32_e32 vcc_lo, 0, v158
	v_not_b32_e32 v158, v160
	v_xor_b32_e32 v166, s16, v166
	v_cmp_gt_i32_e64 s16, 0, v160
	v_and_b32_e32 v156, exec_lo, v156
	v_not_b32_e32 v160, v162
	v_ashrrev_i32_e32 v158, 31, v158
	v_xor_b32_e32 v157, vcc_lo, v157
	v_cmp_gt_i32_e32 vcc_lo, 0, v162
	v_and_b32_e32 v156, v156, v166
	v_not_b32_e32 v162, v164
	v_ashrrev_i32_e32 v160, 31, v160
	v_xor_b32_e32 v158, s16, v158
	v_cmp_gt_i32_e64 s16, 0, v164
	v_and_b32_e32 v156, v156, v157
	v_not_b32_e32 v157, v165
	v_ashrrev_i32_e32 v162, 31, v162
	v_xor_b32_e32 v160, vcc_lo, v160
	v_cmp_gt_i32_e32 vcc_lo, 0, v165
	v_and_b32_e32 v156, v156, v158
	v_not_b32_e32 v158, v161
	v_ashrrev_i32_e32 v157, 31, v157
	v_xor_b32_e32 v162, s16, v162
	v_mul_u32_u24_e32 v37, 9, v37
	v_and_b32_e32 v156, v156, v160
	v_cmp_gt_i32_e64 s16, 0, v161
	v_ashrrev_i32_e32 v158, 31, v158
	v_xor_b32_e32 v157, vcc_lo, v157
	v_add_lshl_u32 v160, v37, v128, 2
	v_and_b32_e32 v156, v156, v162
	s_delay_alu instid0(VALU_DEP_4) | instskip(NEXT) | instid1(VALU_DEP_3)
	v_xor_b32_e32 v37, s16, v158
	v_add_nc_u32_e32 v158, 0x420, v160
	s_delay_alu instid0(VALU_DEP_3) | instskip(SKIP_2) | instid1(VALU_DEP_1)
	v_and_b32_e32 v157, v156, v157
	ds_load_b32 v156, v160 offset:1056
	; wave barrier
	v_and_b32_e32 v37, v157, v37
	v_mbcnt_lo_u32_b32 v157, v37, 0
	v_cmp_ne_u32_e64 s16, 0, v37
	s_delay_alu instid0(VALU_DEP_2) | instskip(NEXT) | instid1(VALU_DEP_2)
	v_cmp_eq_u32_e32 vcc_lo, 0, v157
	s_and_b32 s17, s16, vcc_lo
	s_delay_alu instid0(SALU_CYCLE_1)
	s_and_saveexec_b32 s16, s17
	s_cbranch_execz .LBB505_730
; %bb.729:                              ;   in Loop: Header=BB505_688 Depth=2
	s_waitcnt lgkmcnt(0)
	v_bcnt_u32_b32 v37, v37, v156
	ds_store_b32 v158, v37
.LBB505_730:                            ;   in Loop: Header=BB505_688 Depth=2
	s_or_b32 exec_lo, exec_lo, s16
	v_xor_b32_e32 v155, 0x7fffffff, v155
	; wave barrier
	s_delay_alu instid0(VALU_DEP_1) | instskip(NEXT) | instid1(VALU_DEP_1)
	v_lshrrev_b32_e32 v37, s57, v155
	v_and_b32_e32 v37, s39, v37
	s_delay_alu instid0(VALU_DEP_1)
	v_and_b32_e32 v160, 1, v37
	v_lshlrev_b32_e32 v161, 30, v37
	v_lshlrev_b32_e32 v162, 29, v37
	;; [unrolled: 1-line block ×4, first 2 shown]
	v_add_co_u32 v160, s16, v160, -1
	s_delay_alu instid0(VALU_DEP_1)
	v_cndmask_b32_e64 v165, 0, 1, s16
	v_not_b32_e32 v170, v161
	v_cmp_gt_i32_e64 s16, 0, v161
	v_not_b32_e32 v161, v162
	v_lshlrev_b32_e32 v168, 26, v37
	v_cmp_ne_u32_e32 vcc_lo, 0, v165
	v_ashrrev_i32_e32 v170, 31, v170
	v_lshlrev_b32_e32 v169, 25, v37
	v_ashrrev_i32_e32 v161, 31, v161
	v_lshlrev_b32_e32 v165, 24, v37
	v_xor_b32_e32 v160, vcc_lo, v160
	v_cmp_gt_i32_e32 vcc_lo, 0, v162
	v_not_b32_e32 v162, v164
	v_xor_b32_e32 v170, s16, v170
	v_cmp_gt_i32_e64 s16, 0, v164
	v_and_b32_e32 v160, exec_lo, v160
	v_not_b32_e32 v164, v166
	v_ashrrev_i32_e32 v162, 31, v162
	v_xor_b32_e32 v161, vcc_lo, v161
	v_cmp_gt_i32_e32 vcc_lo, 0, v166
	v_and_b32_e32 v160, v160, v170
	v_not_b32_e32 v166, v168
	v_ashrrev_i32_e32 v164, 31, v164
	v_xor_b32_e32 v162, s16, v162
	v_cmp_gt_i32_e64 s16, 0, v168
	v_and_b32_e32 v160, v160, v161
	v_not_b32_e32 v161, v169
	v_ashrrev_i32_e32 v166, 31, v166
	v_xor_b32_e32 v164, vcc_lo, v164
	v_cmp_gt_i32_e32 vcc_lo, 0, v169
	v_and_b32_e32 v160, v160, v162
	v_not_b32_e32 v162, v165
	v_ashrrev_i32_e32 v161, 31, v161
	v_xor_b32_e32 v166, s16, v166
	v_mul_u32_u24_e32 v37, 9, v37
	v_and_b32_e32 v160, v160, v164
	v_cmp_gt_i32_e64 s16, 0, v165
	v_ashrrev_i32_e32 v162, 31, v162
	v_xor_b32_e32 v161, vcc_lo, v161
	v_add_lshl_u32 v164, v37, v128, 2
	v_and_b32_e32 v160, v160, v166
	s_delay_alu instid0(VALU_DEP_4) | instskip(NEXT) | instid1(VALU_DEP_3)
	v_xor_b32_e32 v37, s16, v162
	v_add_nc_u32_e32 v162, 0x420, v164
	s_delay_alu instid0(VALU_DEP_3) | instskip(SKIP_2) | instid1(VALU_DEP_1)
	v_and_b32_e32 v161, v160, v161
	ds_load_b32 v160, v164 offset:1056
	; wave barrier
	v_and_b32_e32 v37, v161, v37
	v_mbcnt_lo_u32_b32 v161, v37, 0
	v_cmp_ne_u32_e64 s16, 0, v37
	s_delay_alu instid0(VALU_DEP_2) | instskip(NEXT) | instid1(VALU_DEP_2)
	v_cmp_eq_u32_e32 vcc_lo, 0, v161
	s_and_b32 s17, s16, vcc_lo
	s_delay_alu instid0(SALU_CYCLE_1)
	s_and_saveexec_b32 s16, s17
	s_cbranch_execz .LBB505_732
; %bb.731:                              ;   in Loop: Header=BB505_688 Depth=2
	s_waitcnt lgkmcnt(0)
	v_bcnt_u32_b32 v37, v37, v160
	ds_store_b32 v162, v37
.LBB505_732:                            ;   in Loop: Header=BB505_688 Depth=2
	s_or_b32 exec_lo, exec_lo, s16
	v_xor_b32_e32 v159, 0x7fffffff, v159
	; wave barrier
	s_delay_alu instid0(VALU_DEP_1) | instskip(NEXT) | instid1(VALU_DEP_1)
	v_lshrrev_b32_e32 v37, s57, v159
	v_and_b32_e32 v37, s39, v37
	s_delay_alu instid0(VALU_DEP_1)
	v_and_b32_e32 v164, 1, v37
	v_lshlrev_b32_e32 v165, 30, v37
	v_lshlrev_b32_e32 v166, 29, v37
	;; [unrolled: 1-line block ×4, first 2 shown]
	v_add_co_u32 v164, s16, v164, -1
	s_delay_alu instid0(VALU_DEP_1)
	v_cndmask_b32_e64 v169, 0, 1, s16
	v_not_b32_e32 v175, v165
	v_cmp_gt_i32_e64 s16, 0, v165
	v_not_b32_e32 v165, v166
	v_lshlrev_b32_e32 v173, 26, v37
	v_cmp_ne_u32_e32 vcc_lo, 0, v169
	v_ashrrev_i32_e32 v175, 31, v175
	v_lshlrev_b32_e32 v174, 25, v37
	v_ashrrev_i32_e32 v165, 31, v165
	v_lshlrev_b32_e32 v169, 24, v37
	v_xor_b32_e32 v164, vcc_lo, v164
	v_cmp_gt_i32_e32 vcc_lo, 0, v166
	v_not_b32_e32 v166, v168
	v_xor_b32_e32 v175, s16, v175
	v_cmp_gt_i32_e64 s16, 0, v168
	v_and_b32_e32 v164, exec_lo, v164
	v_not_b32_e32 v168, v170
	v_ashrrev_i32_e32 v166, 31, v166
	v_xor_b32_e32 v165, vcc_lo, v165
	v_cmp_gt_i32_e32 vcc_lo, 0, v170
	v_and_b32_e32 v164, v164, v175
	v_not_b32_e32 v170, v173
	v_ashrrev_i32_e32 v168, 31, v168
	v_xor_b32_e32 v166, s16, v166
	v_cmp_gt_i32_e64 s16, 0, v173
	v_and_b32_e32 v164, v164, v165
	v_not_b32_e32 v165, v174
	v_ashrrev_i32_e32 v170, 31, v170
	v_xor_b32_e32 v168, vcc_lo, v168
	v_cmp_gt_i32_e32 vcc_lo, 0, v174
	v_and_b32_e32 v164, v164, v166
	v_not_b32_e32 v166, v169
	v_ashrrev_i32_e32 v165, 31, v165
	v_xor_b32_e32 v170, s16, v170
	v_mul_u32_u24_e32 v37, 9, v37
	v_and_b32_e32 v164, v164, v168
	v_cmp_gt_i32_e64 s16, 0, v169
	v_ashrrev_i32_e32 v166, 31, v166
	v_xor_b32_e32 v165, vcc_lo, v165
	v_add_lshl_u32 v168, v37, v128, 2
	v_and_b32_e32 v164, v164, v170
	s_delay_alu instid0(VALU_DEP_4) | instskip(NEXT) | instid1(VALU_DEP_3)
	v_xor_b32_e32 v37, s16, v166
	v_add_nc_u32_e32 v166, 0x420, v168
	s_delay_alu instid0(VALU_DEP_3) | instskip(SKIP_2) | instid1(VALU_DEP_1)
	v_and_b32_e32 v165, v164, v165
	ds_load_b32 v164, v168 offset:1056
	; wave barrier
	v_and_b32_e32 v37, v165, v37
	v_mbcnt_lo_u32_b32 v165, v37, 0
	v_cmp_ne_u32_e64 s16, 0, v37
	s_delay_alu instid0(VALU_DEP_2) | instskip(NEXT) | instid1(VALU_DEP_2)
	v_cmp_eq_u32_e32 vcc_lo, 0, v165
	s_and_b32 s17, s16, vcc_lo
	s_delay_alu instid0(SALU_CYCLE_1)
	s_and_saveexec_b32 s16, s17
	s_cbranch_execz .LBB505_734
; %bb.733:                              ;   in Loop: Header=BB505_688 Depth=2
	s_waitcnt lgkmcnt(0)
	v_bcnt_u32_b32 v37, v37, v164
	ds_store_b32 v166, v37
.LBB505_734:                            ;   in Loop: Header=BB505_688 Depth=2
	s_or_b32 exec_lo, exec_lo, s16
	v_xor_b32_e32 v163, 0x7fffffff, v163
	; wave barrier
	s_delay_alu instid0(VALU_DEP_1) | instskip(NEXT) | instid1(VALU_DEP_1)
	v_lshrrev_b32_e32 v37, s57, v163
	v_and_b32_e32 v37, s39, v37
	s_delay_alu instid0(VALU_DEP_1)
	v_and_b32_e32 v168, 1, v37
	v_lshlrev_b32_e32 v169, 30, v37
	v_lshlrev_b32_e32 v170, 29, v37
	;; [unrolled: 1-line block ×4, first 2 shown]
	v_add_co_u32 v168, s16, v168, -1
	s_delay_alu instid0(VALU_DEP_1)
	v_cndmask_b32_e64 v174, 0, 1, s16
	v_not_b32_e32 v178, v169
	v_cmp_gt_i32_e64 s16, 0, v169
	v_not_b32_e32 v169, v170
	v_lshlrev_b32_e32 v176, 26, v37
	v_cmp_ne_u32_e32 vcc_lo, 0, v174
	v_ashrrev_i32_e32 v178, 31, v178
	v_lshlrev_b32_e32 v177, 25, v37
	v_ashrrev_i32_e32 v169, 31, v169
	v_lshlrev_b32_e32 v174, 24, v37
	v_xor_b32_e32 v168, vcc_lo, v168
	v_cmp_gt_i32_e32 vcc_lo, 0, v170
	v_not_b32_e32 v170, v173
	v_xor_b32_e32 v178, s16, v178
	v_cmp_gt_i32_e64 s16, 0, v173
	v_and_b32_e32 v168, exec_lo, v168
	v_not_b32_e32 v173, v175
	v_ashrrev_i32_e32 v170, 31, v170
	v_xor_b32_e32 v169, vcc_lo, v169
	v_cmp_gt_i32_e32 vcc_lo, 0, v175
	v_and_b32_e32 v168, v168, v178
	v_not_b32_e32 v175, v176
	v_ashrrev_i32_e32 v173, 31, v173
	v_xor_b32_e32 v170, s16, v170
	v_cmp_gt_i32_e64 s16, 0, v176
	v_and_b32_e32 v168, v168, v169
	v_not_b32_e32 v169, v177
	v_ashrrev_i32_e32 v175, 31, v175
	v_xor_b32_e32 v173, vcc_lo, v173
	v_cmp_gt_i32_e32 vcc_lo, 0, v177
	v_and_b32_e32 v168, v168, v170
	v_not_b32_e32 v170, v174
	v_ashrrev_i32_e32 v169, 31, v169
	v_xor_b32_e32 v175, s16, v175
	v_mul_u32_u24_e32 v37, 9, v37
	v_and_b32_e32 v168, v168, v173
	v_cmp_gt_i32_e64 s16, 0, v174
	v_ashrrev_i32_e32 v170, 31, v170
	v_xor_b32_e32 v169, vcc_lo, v169
	v_add_lshl_u32 v173, v37, v128, 2
	v_and_b32_e32 v168, v168, v175
	s_delay_alu instid0(VALU_DEP_4) | instskip(NEXT) | instid1(VALU_DEP_3)
	v_xor_b32_e32 v37, s16, v170
	v_add_nc_u32_e32 v170, 0x420, v173
	s_delay_alu instid0(VALU_DEP_3) | instskip(SKIP_2) | instid1(VALU_DEP_1)
	v_and_b32_e32 v169, v168, v169
	ds_load_b32 v168, v173 offset:1056
	; wave barrier
	v_and_b32_e32 v37, v169, v37
	v_mbcnt_lo_u32_b32 v169, v37, 0
	v_cmp_ne_u32_e64 s16, 0, v37
	s_delay_alu instid0(VALU_DEP_2) | instskip(NEXT) | instid1(VALU_DEP_2)
	v_cmp_eq_u32_e32 vcc_lo, 0, v169
	s_and_b32 s17, s16, vcc_lo
	s_delay_alu instid0(SALU_CYCLE_1)
	s_and_saveexec_b32 s16, s17
	s_cbranch_execz .LBB505_736
; %bb.735:                              ;   in Loop: Header=BB505_688 Depth=2
	s_waitcnt lgkmcnt(0)
	v_bcnt_u32_b32 v37, v37, v168
	ds_store_b32 v170, v37
.LBB505_736:                            ;   in Loop: Header=BB505_688 Depth=2
	s_or_b32 exec_lo, exec_lo, s16
	v_xor_b32_e32 v167, 0x7fffffff, v167
	; wave barrier
	s_delay_alu instid0(VALU_DEP_1) | instskip(NEXT) | instid1(VALU_DEP_1)
	v_lshrrev_b32_e32 v37, s57, v167
	v_and_b32_e32 v37, s39, v37
	s_delay_alu instid0(VALU_DEP_1)
	v_and_b32_e32 v173, 1, v37
	v_lshlrev_b32_e32 v174, 30, v37
	v_lshlrev_b32_e32 v175, 29, v37
	v_lshlrev_b32_e32 v176, 28, v37
	v_lshlrev_b32_e32 v178, 27, v37
	v_add_co_u32 v173, s16, v173, -1
	s_delay_alu instid0(VALU_DEP_1)
	v_cndmask_b32_e64 v177, 0, 1, s16
	v_not_b32_e32 v181, v174
	v_cmp_gt_i32_e64 s16, 0, v174
	v_not_b32_e32 v174, v175
	v_lshlrev_b32_e32 v179, 26, v37
	v_cmp_ne_u32_e32 vcc_lo, 0, v177
	v_ashrrev_i32_e32 v181, 31, v181
	v_lshlrev_b32_e32 v180, 25, v37
	v_ashrrev_i32_e32 v174, 31, v174
	v_lshlrev_b32_e32 v177, 24, v37
	v_xor_b32_e32 v173, vcc_lo, v173
	v_cmp_gt_i32_e32 vcc_lo, 0, v175
	v_not_b32_e32 v175, v176
	v_xor_b32_e32 v181, s16, v181
	v_cmp_gt_i32_e64 s16, 0, v176
	v_and_b32_e32 v173, exec_lo, v173
	v_not_b32_e32 v176, v178
	v_ashrrev_i32_e32 v175, 31, v175
	v_xor_b32_e32 v174, vcc_lo, v174
	v_cmp_gt_i32_e32 vcc_lo, 0, v178
	v_and_b32_e32 v173, v173, v181
	v_not_b32_e32 v178, v179
	v_ashrrev_i32_e32 v176, 31, v176
	v_xor_b32_e32 v175, s16, v175
	v_cmp_gt_i32_e64 s16, 0, v179
	v_and_b32_e32 v173, v173, v174
	v_not_b32_e32 v174, v180
	v_ashrrev_i32_e32 v178, 31, v178
	v_xor_b32_e32 v176, vcc_lo, v176
	v_cmp_gt_i32_e32 vcc_lo, 0, v180
	v_and_b32_e32 v173, v173, v175
	v_not_b32_e32 v175, v177
	v_ashrrev_i32_e32 v174, 31, v174
	v_xor_b32_e32 v178, s16, v178
	v_mul_u32_u24_e32 v37, 9, v37
	v_and_b32_e32 v173, v173, v176
	v_cmp_gt_i32_e64 s16, 0, v177
	v_ashrrev_i32_e32 v175, 31, v175
	v_xor_b32_e32 v174, vcc_lo, v174
	v_add_lshl_u32 v176, v37, v128, 2
	v_and_b32_e32 v173, v173, v178
	s_delay_alu instid0(VALU_DEP_4) | instskip(NEXT) | instid1(VALU_DEP_3)
	v_xor_b32_e32 v37, s16, v175
	v_add_nc_u32_e32 v175, 0x420, v176
	s_delay_alu instid0(VALU_DEP_3) | instskip(SKIP_2) | instid1(VALU_DEP_1)
	v_and_b32_e32 v174, v173, v174
	ds_load_b32 v173, v176 offset:1056
	; wave barrier
	v_and_b32_e32 v37, v174, v37
	v_mbcnt_lo_u32_b32 v174, v37, 0
	v_cmp_ne_u32_e64 s16, 0, v37
	s_delay_alu instid0(VALU_DEP_2) | instskip(NEXT) | instid1(VALU_DEP_2)
	v_cmp_eq_u32_e32 vcc_lo, 0, v174
	s_and_b32 s17, s16, vcc_lo
	s_delay_alu instid0(SALU_CYCLE_1)
	s_and_saveexec_b32 s16, s17
	s_cbranch_execz .LBB505_738
; %bb.737:                              ;   in Loop: Header=BB505_688 Depth=2
	s_waitcnt lgkmcnt(0)
	v_bcnt_u32_b32 v37, v37, v173
	ds_store_b32 v175, v37
.LBB505_738:                            ;   in Loop: Header=BB505_688 Depth=2
	s_or_b32 exec_lo, exec_lo, s16
	v_xor_b32_e32 v172, 0x7fffffff, v172
	; wave barrier
	s_delay_alu instid0(VALU_DEP_1) | instskip(NEXT) | instid1(VALU_DEP_1)
	v_lshrrev_b32_e32 v37, s57, v172
	v_and_b32_e32 v37, s39, v37
	s_delay_alu instid0(VALU_DEP_1)
	v_and_b32_e32 v176, 1, v37
	v_lshlrev_b32_e32 v177, 30, v37
	v_lshlrev_b32_e32 v178, 29, v37
	;; [unrolled: 1-line block ×4, first 2 shown]
	v_add_co_u32 v176, s16, v176, -1
	s_delay_alu instid0(VALU_DEP_1)
	v_cndmask_b32_e64 v180, 0, 1, s16
	v_not_b32_e32 v184, v177
	v_cmp_gt_i32_e64 s16, 0, v177
	v_not_b32_e32 v177, v178
	v_lshlrev_b32_e32 v182, 26, v37
	v_cmp_ne_u32_e32 vcc_lo, 0, v180
	v_ashrrev_i32_e32 v184, 31, v184
	v_lshlrev_b32_e32 v183, 25, v37
	v_ashrrev_i32_e32 v177, 31, v177
	v_lshlrev_b32_e32 v180, 24, v37
	v_xor_b32_e32 v176, vcc_lo, v176
	v_cmp_gt_i32_e32 vcc_lo, 0, v178
	v_not_b32_e32 v178, v179
	v_xor_b32_e32 v184, s16, v184
	v_cmp_gt_i32_e64 s16, 0, v179
	v_and_b32_e32 v176, exec_lo, v176
	v_not_b32_e32 v179, v181
	v_ashrrev_i32_e32 v178, 31, v178
	v_xor_b32_e32 v177, vcc_lo, v177
	v_cmp_gt_i32_e32 vcc_lo, 0, v181
	v_and_b32_e32 v176, v176, v184
	v_not_b32_e32 v181, v182
	v_ashrrev_i32_e32 v179, 31, v179
	v_xor_b32_e32 v178, s16, v178
	v_cmp_gt_i32_e64 s16, 0, v182
	v_and_b32_e32 v176, v176, v177
	v_not_b32_e32 v177, v183
	v_ashrrev_i32_e32 v181, 31, v181
	v_xor_b32_e32 v179, vcc_lo, v179
	v_cmp_gt_i32_e32 vcc_lo, 0, v183
	v_and_b32_e32 v176, v176, v178
	v_not_b32_e32 v178, v180
	v_ashrrev_i32_e32 v177, 31, v177
	v_xor_b32_e32 v181, s16, v181
	v_mul_u32_u24_e32 v37, 9, v37
	v_and_b32_e32 v176, v176, v179
	v_cmp_gt_i32_e64 s16, 0, v180
	v_ashrrev_i32_e32 v178, 31, v178
	v_xor_b32_e32 v177, vcc_lo, v177
	v_add_lshl_u32 v179, v37, v128, 2
	v_and_b32_e32 v176, v176, v181
	s_delay_alu instid0(VALU_DEP_4) | instskip(NEXT) | instid1(VALU_DEP_3)
	v_xor_b32_e32 v37, s16, v178
	v_add_nc_u32_e32 v178, 0x420, v179
	s_delay_alu instid0(VALU_DEP_3) | instskip(SKIP_2) | instid1(VALU_DEP_1)
	v_and_b32_e32 v177, v176, v177
	ds_load_b32 v176, v179 offset:1056
	; wave barrier
	v_and_b32_e32 v37, v177, v37
	v_mbcnt_lo_u32_b32 v177, v37, 0
	v_cmp_ne_u32_e64 s16, 0, v37
	s_delay_alu instid0(VALU_DEP_2) | instskip(NEXT) | instid1(VALU_DEP_2)
	v_cmp_eq_u32_e32 vcc_lo, 0, v177
	s_and_b32 s17, s16, vcc_lo
	s_delay_alu instid0(SALU_CYCLE_1)
	s_and_saveexec_b32 s16, s17
	s_cbranch_execz .LBB505_740
; %bb.739:                              ;   in Loop: Header=BB505_688 Depth=2
	s_waitcnt lgkmcnt(0)
	v_bcnt_u32_b32 v37, v37, v176
	ds_store_b32 v178, v37
.LBB505_740:                            ;   in Loop: Header=BB505_688 Depth=2
	s_or_b32 exec_lo, exec_lo, s16
	v_xor_b32_e32 v171, 0x7fffffff, v171
	; wave barrier
	s_delay_alu instid0(VALU_DEP_1) | instskip(NEXT) | instid1(VALU_DEP_1)
	v_lshrrev_b32_e32 v37, s57, v171
	v_and_b32_e32 v37, s39, v37
	s_delay_alu instid0(VALU_DEP_1)
	v_and_b32_e32 v179, 1, v37
	v_lshlrev_b32_e32 v180, 30, v37
	v_lshlrev_b32_e32 v181, 29, v37
	;; [unrolled: 1-line block ×4, first 2 shown]
	v_add_co_u32 v179, s16, v179, -1
	s_delay_alu instid0(VALU_DEP_1)
	v_cndmask_b32_e64 v183, 0, 1, s16
	v_not_b32_e32 v187, v180
	v_cmp_gt_i32_e64 s16, 0, v180
	v_not_b32_e32 v180, v181
	v_lshlrev_b32_e32 v185, 26, v37
	v_cmp_ne_u32_e32 vcc_lo, 0, v183
	v_ashrrev_i32_e32 v187, 31, v187
	v_lshlrev_b32_e32 v186, 25, v37
	v_ashrrev_i32_e32 v180, 31, v180
	v_lshlrev_b32_e32 v183, 24, v37
	v_xor_b32_e32 v179, vcc_lo, v179
	v_cmp_gt_i32_e32 vcc_lo, 0, v181
	v_not_b32_e32 v181, v182
	v_xor_b32_e32 v187, s16, v187
	v_cmp_gt_i32_e64 s16, 0, v182
	v_and_b32_e32 v179, exec_lo, v179
	v_not_b32_e32 v182, v184
	v_ashrrev_i32_e32 v181, 31, v181
	v_xor_b32_e32 v180, vcc_lo, v180
	v_cmp_gt_i32_e32 vcc_lo, 0, v184
	v_and_b32_e32 v179, v179, v187
	v_not_b32_e32 v184, v185
	v_ashrrev_i32_e32 v182, 31, v182
	v_xor_b32_e32 v181, s16, v181
	v_cmp_gt_i32_e64 s16, 0, v185
	v_and_b32_e32 v179, v179, v180
	v_not_b32_e32 v180, v186
	v_ashrrev_i32_e32 v184, 31, v184
	v_xor_b32_e32 v182, vcc_lo, v182
	v_cmp_gt_i32_e32 vcc_lo, 0, v186
	v_and_b32_e32 v179, v179, v181
	v_not_b32_e32 v181, v183
	v_ashrrev_i32_e32 v180, 31, v180
	v_xor_b32_e32 v184, s16, v184
	v_mul_u32_u24_e32 v37, 9, v37
	v_and_b32_e32 v179, v179, v182
	v_cmp_gt_i32_e64 s16, 0, v183
	v_ashrrev_i32_e32 v181, 31, v181
	v_xor_b32_e32 v180, vcc_lo, v180
	v_add_lshl_u32 v182, v37, v128, 2
	v_and_b32_e32 v179, v179, v184
	s_delay_alu instid0(VALU_DEP_4) | instskip(NEXT) | instid1(VALU_DEP_2)
	v_xor_b32_e32 v37, s16, v181
	v_and_b32_e32 v179, v179, v180
	ds_load_b32 v180, v182 offset:1056
	v_add_nc_u32_e32 v182, 0x420, v182
	; wave barrier
	v_and_b32_e32 v37, v179, v37
	s_delay_alu instid0(VALU_DEP_1) | instskip(SKIP_1) | instid1(VALU_DEP_2)
	v_mbcnt_lo_u32_b32 v181, v37, 0
	v_cmp_ne_u32_e64 s16, 0, v37
	v_cmp_eq_u32_e32 vcc_lo, 0, v181
	s_delay_alu instid0(VALU_DEP_2) | instskip(NEXT) | instid1(SALU_CYCLE_1)
	s_and_b32 s17, s16, vcc_lo
	s_and_saveexec_b32 s16, s17
	s_cbranch_execz .LBB505_742
; %bb.741:                              ;   in Loop: Header=BB505_688 Depth=2
	s_waitcnt lgkmcnt(0)
	v_bcnt_u32_b32 v37, v37, v180
	ds_store_b32 v182, v37
.LBB505_742:                            ;   in Loop: Header=BB505_688 Depth=2
	s_or_b32 exec_lo, exec_lo, s16
	v_xor_b32_e32 v179, 0x7fffffff, v43
	; wave barrier
	s_delay_alu instid0(VALU_DEP_1) | instskip(NEXT) | instid1(VALU_DEP_1)
	v_lshrrev_b32_e32 v37, s57, v179
	v_and_b32_e32 v37, s39, v37
	s_delay_alu instid0(VALU_DEP_1)
	v_and_b32_e32 v43, 1, v37
	v_lshlrev_b32_e32 v183, 30, v37
	v_lshlrev_b32_e32 v184, 29, v37
	;; [unrolled: 1-line block ×4, first 2 shown]
	v_add_co_u32 v43, s16, v43, -1
	s_delay_alu instid0(VALU_DEP_1)
	v_cndmask_b32_e64 v186, 0, 1, s16
	v_not_b32_e32 v190, v183
	v_cmp_gt_i32_e64 s16, 0, v183
	v_not_b32_e32 v183, v184
	v_lshlrev_b32_e32 v188, 26, v37
	v_cmp_ne_u32_e32 vcc_lo, 0, v186
	v_ashrrev_i32_e32 v190, 31, v190
	v_lshlrev_b32_e32 v189, 25, v37
	v_ashrrev_i32_e32 v183, 31, v183
	v_lshlrev_b32_e32 v186, 24, v37
	v_xor_b32_e32 v43, vcc_lo, v43
	v_cmp_gt_i32_e32 vcc_lo, 0, v184
	v_not_b32_e32 v184, v185
	v_xor_b32_e32 v190, s16, v190
	v_cmp_gt_i32_e64 s16, 0, v185
	v_and_b32_e32 v43, exec_lo, v43
	v_not_b32_e32 v185, v187
	v_ashrrev_i32_e32 v184, 31, v184
	v_xor_b32_e32 v183, vcc_lo, v183
	v_cmp_gt_i32_e32 vcc_lo, 0, v187
	v_and_b32_e32 v43, v43, v190
	v_not_b32_e32 v187, v188
	v_ashrrev_i32_e32 v185, 31, v185
	v_xor_b32_e32 v184, s16, v184
	v_cmp_gt_i32_e64 s16, 0, v188
	v_and_b32_e32 v43, v43, v183
	v_not_b32_e32 v183, v189
	v_ashrrev_i32_e32 v187, 31, v187
	v_xor_b32_e32 v185, vcc_lo, v185
	v_cmp_gt_i32_e32 vcc_lo, 0, v189
	v_and_b32_e32 v43, v43, v184
	v_not_b32_e32 v184, v186
	v_ashrrev_i32_e32 v183, 31, v183
	v_xor_b32_e32 v187, s16, v187
	v_mul_u32_u24_e32 v37, 9, v37
	v_and_b32_e32 v43, v43, v185
	v_cmp_gt_i32_e64 s16, 0, v186
	v_ashrrev_i32_e32 v184, 31, v184
	v_xor_b32_e32 v183, vcc_lo, v183
	v_add_lshl_u32 v186, v37, v128, 2
	v_and_b32_e32 v43, v43, v187
	s_delay_alu instid0(VALU_DEP_4) | instskip(SKIP_3) | instid1(VALU_DEP_2)
	v_xor_b32_e32 v37, s16, v184
	ds_load_b32 v184, v186 offset:1056
	v_and_b32_e32 v43, v43, v183
	v_add_nc_u32_e32 v186, 0x420, v186
	; wave barrier
	v_and_b32_e32 v37, v43, v37
	s_delay_alu instid0(VALU_DEP_1) | instskip(SKIP_1) | instid1(VALU_DEP_2)
	v_mbcnt_lo_u32_b32 v185, v37, 0
	v_cmp_ne_u32_e64 s16, 0, v37
	v_cmp_eq_u32_e32 vcc_lo, 0, v185
	s_delay_alu instid0(VALU_DEP_2) | instskip(NEXT) | instid1(SALU_CYCLE_1)
	s_and_b32 s17, s16, vcc_lo
	s_and_saveexec_b32 s16, s17
	s_cbranch_execz .LBB505_744
; %bb.743:                              ;   in Loop: Header=BB505_688 Depth=2
	s_waitcnt lgkmcnt(0)
	v_bcnt_u32_b32 v37, v37, v184
	ds_store_b32 v186, v37
.LBB505_744:                            ;   in Loop: Header=BB505_688 Depth=2
	s_or_b32 exec_lo, exec_lo, s16
	v_xor_b32_e32 v183, 0x7fffffff, v42
	; wave barrier
	s_delay_alu instid0(VALU_DEP_1) | instskip(NEXT) | instid1(VALU_DEP_1)
	v_lshrrev_b32_e32 v37, s57, v183
	v_and_b32_e32 v37, s39, v37
	s_delay_alu instid0(VALU_DEP_1)
	v_and_b32_e32 v42, 1, v37
	v_lshlrev_b32_e32 v43, 30, v37
	v_lshlrev_b32_e32 v187, 29, v37
	;; [unrolled: 1-line block ×4, first 2 shown]
	v_add_co_u32 v42, s16, v42, -1
	s_delay_alu instid0(VALU_DEP_1)
	v_cndmask_b32_e64 v189, 0, 1, s16
	v_not_b32_e32 v193, v43
	v_cmp_gt_i32_e64 s16, 0, v43
	v_not_b32_e32 v43, v187
	v_lshlrev_b32_e32 v191, 26, v37
	v_cmp_ne_u32_e32 vcc_lo, 0, v189
	v_ashrrev_i32_e32 v193, 31, v193
	v_lshlrev_b32_e32 v192, 25, v37
	v_ashrrev_i32_e32 v43, 31, v43
	v_lshlrev_b32_e32 v189, 24, v37
	v_xor_b32_e32 v42, vcc_lo, v42
	v_cmp_gt_i32_e32 vcc_lo, 0, v187
	v_not_b32_e32 v187, v188
	v_xor_b32_e32 v193, s16, v193
	v_cmp_gt_i32_e64 s16, 0, v188
	v_and_b32_e32 v42, exec_lo, v42
	v_not_b32_e32 v188, v190
	v_ashrrev_i32_e32 v187, 31, v187
	v_xor_b32_e32 v43, vcc_lo, v43
	v_cmp_gt_i32_e32 vcc_lo, 0, v190
	v_and_b32_e32 v42, v42, v193
	v_not_b32_e32 v190, v191
	v_ashrrev_i32_e32 v188, 31, v188
	v_xor_b32_e32 v187, s16, v187
	v_cmp_gt_i32_e64 s16, 0, v191
	v_and_b32_e32 v42, v42, v43
	v_not_b32_e32 v43, v192
	v_ashrrev_i32_e32 v190, 31, v190
	v_xor_b32_e32 v188, vcc_lo, v188
	v_cmp_gt_i32_e32 vcc_lo, 0, v192
	v_and_b32_e32 v42, v42, v187
	v_not_b32_e32 v187, v189
	v_ashrrev_i32_e32 v43, 31, v43
	v_xor_b32_e32 v190, s16, v190
	v_mul_u32_u24_e32 v37, 9, v37
	v_and_b32_e32 v42, v42, v188
	v_cmp_gt_i32_e64 s16, 0, v189
	v_ashrrev_i32_e32 v187, 31, v187
	v_xor_b32_e32 v43, vcc_lo, v43
	s_delay_alu instid0(VALU_DEP_4) | instskip(SKIP_1) | instid1(VALU_DEP_4)
	v_and_b32_e32 v42, v42, v190
	v_add_lshl_u32 v190, v37, v128, 2
	v_xor_b32_e32 v37, s16, v187
	s_delay_alu instid0(VALU_DEP_3) | instskip(SKIP_3) | instid1(VALU_DEP_1)
	v_and_b32_e32 v42, v42, v43
	ds_load_b32 v188, v190 offset:1056
	v_add_nc_u32_e32 v190, 0x420, v190
	; wave barrier
	v_and_b32_e32 v37, v42, v37
	v_mbcnt_lo_u32_b32 v189, v37, 0
	v_cmp_ne_u32_e64 s16, 0, v37
	s_delay_alu instid0(VALU_DEP_2) | instskip(NEXT) | instid1(VALU_DEP_2)
	v_cmp_eq_u32_e32 vcc_lo, 0, v189
	s_and_b32 s17, s16, vcc_lo
	s_delay_alu instid0(SALU_CYCLE_1)
	s_and_saveexec_b32 s16, s17
	s_cbranch_execz .LBB505_746
; %bb.745:                              ;   in Loop: Header=BB505_688 Depth=2
	s_waitcnt lgkmcnt(0)
	v_bcnt_u32_b32 v37, v37, v188
	ds_store_b32 v190, v37
.LBB505_746:                            ;   in Loop: Header=BB505_688 Depth=2
	s_or_b32 exec_lo, exec_lo, s16
	v_xor_b32_e32 v187, 0x7fffffff, v41
	; wave barrier
	s_delay_alu instid0(VALU_DEP_1) | instskip(NEXT) | instid1(VALU_DEP_1)
	v_lshrrev_b32_e32 v37, s57, v187
	v_and_b32_e32 v37, s39, v37
	s_delay_alu instid0(VALU_DEP_1)
	v_and_b32_e32 v41, 1, v37
	v_lshlrev_b32_e32 v42, 30, v37
	v_lshlrev_b32_e32 v43, 29, v37
	;; [unrolled: 1-line block ×4, first 2 shown]
	v_add_co_u32 v41, s16, v41, -1
	s_delay_alu instid0(VALU_DEP_1)
	v_cndmask_b32_e64 v192, 0, 1, s16
	v_not_b32_e32 v196, v42
	v_cmp_gt_i32_e64 s16, 0, v42
	v_not_b32_e32 v42, v43
	v_lshlrev_b32_e32 v194, 26, v37
	v_cmp_ne_u32_e32 vcc_lo, 0, v192
	v_ashrrev_i32_e32 v196, 31, v196
	v_lshlrev_b32_e32 v195, 25, v37
	v_ashrrev_i32_e32 v42, 31, v42
	v_lshlrev_b32_e32 v192, 24, v37
	v_xor_b32_e32 v41, vcc_lo, v41
	v_cmp_gt_i32_e32 vcc_lo, 0, v43
	v_not_b32_e32 v43, v191
	v_xor_b32_e32 v196, s16, v196
	v_cmp_gt_i32_e64 s16, 0, v191
	v_and_b32_e32 v41, exec_lo, v41
	v_not_b32_e32 v191, v193
	v_ashrrev_i32_e32 v43, 31, v43
	v_xor_b32_e32 v42, vcc_lo, v42
	v_cmp_gt_i32_e32 vcc_lo, 0, v193
	v_and_b32_e32 v41, v41, v196
	v_not_b32_e32 v193, v194
	v_ashrrev_i32_e32 v191, 31, v191
	v_xor_b32_e32 v43, s16, v43
	v_cmp_gt_i32_e64 s16, 0, v194
	v_and_b32_e32 v41, v41, v42
	v_not_b32_e32 v42, v195
	v_ashrrev_i32_e32 v193, 31, v193
	v_xor_b32_e32 v191, vcc_lo, v191
	v_cmp_gt_i32_e32 vcc_lo, 0, v195
	v_and_b32_e32 v41, v41, v43
	v_not_b32_e32 v43, v192
	v_ashrrev_i32_e32 v42, 31, v42
	v_xor_b32_e32 v193, s16, v193
	v_mul_u32_u24_e32 v37, 9, v37
	v_and_b32_e32 v41, v41, v191
	v_cmp_gt_i32_e64 s16, 0, v192
	v_ashrrev_i32_e32 v43, 31, v43
	v_xor_b32_e32 v42, vcc_lo, v42
	v_add_lshl_u32 v191, v37, v128, 2
	v_and_b32_e32 v41, v41, v193
	s_delay_alu instid0(VALU_DEP_4) | instskip(SKIP_3) | instid1(VALU_DEP_2)
	v_xor_b32_e32 v37, s16, v43
	ds_load_b32 v192, v191 offset:1056
	v_and_b32_e32 v41, v41, v42
	v_add_nc_u32_e32 v194, 0x420, v191
	; wave barrier
	v_and_b32_e32 v37, v41, v37
	s_delay_alu instid0(VALU_DEP_1) | instskip(SKIP_1) | instid1(VALU_DEP_2)
	v_mbcnt_lo_u32_b32 v193, v37, 0
	v_cmp_ne_u32_e64 s16, 0, v37
	v_cmp_eq_u32_e32 vcc_lo, 0, v193
	s_delay_alu instid0(VALU_DEP_2) | instskip(NEXT) | instid1(SALU_CYCLE_1)
	s_and_b32 s17, s16, vcc_lo
	s_and_saveexec_b32 s16, s17
	s_cbranch_execz .LBB505_748
; %bb.747:                              ;   in Loop: Header=BB505_688 Depth=2
	s_waitcnt lgkmcnt(0)
	v_bcnt_u32_b32 v37, v37, v192
	ds_store_b32 v194, v37
.LBB505_748:                            ;   in Loop: Header=BB505_688 Depth=2
	s_or_b32 exec_lo, exec_lo, s16
	v_xor_b32_e32 v191, 0x7fffffff, v40
	; wave barrier
	s_delay_alu instid0(VALU_DEP_1) | instskip(NEXT) | instid1(VALU_DEP_1)
	v_lshrrev_b32_e32 v37, s57, v191
	v_and_b32_e32 v37, s39, v37
	s_delay_alu instid0(VALU_DEP_1)
	v_and_b32_e32 v40, 1, v37
	v_lshlrev_b32_e32 v41, 30, v37
	v_lshlrev_b32_e32 v42, 29, v37
	;; [unrolled: 1-line block ×4, first 2 shown]
	v_add_co_u32 v40, s16, v40, -1
	s_delay_alu instid0(VALU_DEP_1)
	v_cndmask_b32_e64 v195, 0, 1, s16
	v_not_b32_e32 v199, v41
	v_cmp_gt_i32_e64 s16, 0, v41
	v_not_b32_e32 v41, v42
	v_lshlrev_b32_e32 v197, 26, v37
	v_cmp_ne_u32_e32 vcc_lo, 0, v195
	v_ashrrev_i32_e32 v199, 31, v199
	v_lshlrev_b32_e32 v198, 25, v37
	v_ashrrev_i32_e32 v41, 31, v41
	v_lshlrev_b32_e32 v195, 24, v37
	v_xor_b32_e32 v40, vcc_lo, v40
	v_cmp_gt_i32_e32 vcc_lo, 0, v42
	v_not_b32_e32 v42, v43
	v_xor_b32_e32 v199, s16, v199
	v_cmp_gt_i32_e64 s16, 0, v43
	v_and_b32_e32 v40, exec_lo, v40
	v_not_b32_e32 v43, v196
	v_ashrrev_i32_e32 v42, 31, v42
	v_xor_b32_e32 v41, vcc_lo, v41
	v_cmp_gt_i32_e32 vcc_lo, 0, v196
	v_and_b32_e32 v40, v40, v199
	v_not_b32_e32 v196, v197
	v_ashrrev_i32_e32 v43, 31, v43
	v_xor_b32_e32 v42, s16, v42
	v_cmp_gt_i32_e64 s16, 0, v197
	v_and_b32_e32 v40, v40, v41
	v_not_b32_e32 v41, v198
	v_ashrrev_i32_e32 v196, 31, v196
	v_xor_b32_e32 v43, vcc_lo, v43
	v_cmp_gt_i32_e32 vcc_lo, 0, v198
	v_and_b32_e32 v40, v40, v42
	v_not_b32_e32 v42, v195
	v_ashrrev_i32_e32 v41, 31, v41
	v_xor_b32_e32 v196, s16, v196
	v_mul_u32_u24_e32 v37, 9, v37
	v_and_b32_e32 v40, v40, v43
	v_cmp_gt_i32_e64 s16, 0, v195
	v_ashrrev_i32_e32 v42, 31, v42
	v_xor_b32_e32 v41, vcc_lo, v41
	v_add_lshl_u32 v43, v37, v128, 2
	v_and_b32_e32 v40, v40, v196
	s_delay_alu instid0(VALU_DEP_4) | instskip(SKIP_3) | instid1(VALU_DEP_2)
	v_xor_b32_e32 v37, s16, v42
	ds_load_b32 v196, v43 offset:1056
	v_and_b32_e32 v40, v40, v41
	v_add_nc_u32_e32 v198, 0x420, v43
	; wave barrier
	v_and_b32_e32 v37, v40, v37
	s_delay_alu instid0(VALU_DEP_1) | instskip(SKIP_1) | instid1(VALU_DEP_2)
	v_mbcnt_lo_u32_b32 v197, v37, 0
	v_cmp_ne_u32_e64 s16, 0, v37
	v_cmp_eq_u32_e32 vcc_lo, 0, v197
	s_delay_alu instid0(VALU_DEP_2) | instskip(NEXT) | instid1(SALU_CYCLE_1)
	s_and_b32 s17, s16, vcc_lo
	s_and_saveexec_b32 s16, s17
	s_cbranch_execz .LBB505_750
; %bb.749:                              ;   in Loop: Header=BB505_688 Depth=2
	s_waitcnt lgkmcnt(0)
	v_bcnt_u32_b32 v37, v37, v196
	ds_store_b32 v198, v37
.LBB505_750:                            ;   in Loop: Header=BB505_688 Depth=2
	s_or_b32 exec_lo, exec_lo, s16
	v_xor_b32_e32 v195, 0x7fffffff, v39
	; wave barrier
	s_delay_alu instid0(VALU_DEP_1) | instskip(NEXT) | instid1(VALU_DEP_1)
	v_lshrrev_b32_e32 v37, s57, v195
	v_and_b32_e32 v37, s39, v37
	s_delay_alu instid0(VALU_DEP_1)
	v_and_b32_e32 v39, 1, v37
	v_lshlrev_b32_e32 v40, 30, v37
	v_lshlrev_b32_e32 v41, 29, v37
	;; [unrolled: 1-line block ×4, first 2 shown]
	v_add_co_u32 v39, s16, v39, -1
	s_delay_alu instid0(VALU_DEP_1)
	v_cndmask_b32_e64 v43, 0, 1, s16
	v_not_b32_e32 v202, v40
	v_cmp_gt_i32_e64 s16, 0, v40
	v_not_b32_e32 v40, v41
	v_lshlrev_b32_e32 v200, 26, v37
	v_cmp_ne_u32_e32 vcc_lo, 0, v43
	v_ashrrev_i32_e32 v202, 31, v202
	v_lshlrev_b32_e32 v201, 25, v37
	v_ashrrev_i32_e32 v40, 31, v40
	v_lshlrev_b32_e32 v43, 24, v37
	v_xor_b32_e32 v39, vcc_lo, v39
	v_cmp_gt_i32_e32 vcc_lo, 0, v41
	v_not_b32_e32 v41, v42
	v_xor_b32_e32 v202, s16, v202
	v_cmp_gt_i32_e64 s16, 0, v42
	v_and_b32_e32 v39, exec_lo, v39
	v_not_b32_e32 v42, v199
	v_ashrrev_i32_e32 v41, 31, v41
	v_xor_b32_e32 v40, vcc_lo, v40
	v_cmp_gt_i32_e32 vcc_lo, 0, v199
	v_and_b32_e32 v39, v39, v202
	v_not_b32_e32 v199, v200
	v_ashrrev_i32_e32 v42, 31, v42
	v_xor_b32_e32 v41, s16, v41
	v_cmp_gt_i32_e64 s16, 0, v200
	v_and_b32_e32 v39, v39, v40
	v_not_b32_e32 v40, v201
	v_ashrrev_i32_e32 v199, 31, v199
	v_xor_b32_e32 v42, vcc_lo, v42
	v_cmp_gt_i32_e32 vcc_lo, 0, v201
	v_and_b32_e32 v39, v39, v41
	v_not_b32_e32 v41, v43
	v_ashrrev_i32_e32 v40, 31, v40
	v_xor_b32_e32 v199, s16, v199
	v_mul_u32_u24_e32 v37, 9, v37
	v_and_b32_e32 v39, v39, v42
	v_cmp_gt_i32_e64 s16, 0, v43
	v_ashrrev_i32_e32 v41, 31, v41
	v_xor_b32_e32 v40, vcc_lo, v40
	v_add_lshl_u32 v42, v37, v128, 2
	v_and_b32_e32 v39, v39, v199
	s_delay_alu instid0(VALU_DEP_4) | instskip(SKIP_3) | instid1(VALU_DEP_2)
	v_xor_b32_e32 v37, s16, v41
	ds_load_b32 v200, v42 offset:1056
	v_and_b32_e32 v39, v39, v40
	v_add_nc_u32_e32 v202, 0x420, v42
	; wave barrier
	v_and_b32_e32 v37, v39, v37
	s_delay_alu instid0(VALU_DEP_1) | instskip(SKIP_1) | instid1(VALU_DEP_2)
	v_mbcnt_lo_u32_b32 v201, v37, 0
	v_cmp_ne_u32_e64 s16, 0, v37
	v_cmp_eq_u32_e32 vcc_lo, 0, v201
	s_delay_alu instid0(VALU_DEP_2) | instskip(NEXT) | instid1(SALU_CYCLE_1)
	s_and_b32 s17, s16, vcc_lo
	s_and_saveexec_b32 s16, s17
	s_cbranch_execz .LBB505_752
; %bb.751:                              ;   in Loop: Header=BB505_688 Depth=2
	s_waitcnt lgkmcnt(0)
	v_bcnt_u32_b32 v37, v37, v200
	ds_store_b32 v202, v37
.LBB505_752:                            ;   in Loop: Header=BB505_688 Depth=2
	s_or_b32 exec_lo, exec_lo, s16
	v_xor_b32_e32 v199, 0x7fffffff, v38
	; wave barrier
	s_delay_alu instid0(VALU_DEP_1) | instskip(NEXT) | instid1(VALU_DEP_1)
	v_lshrrev_b32_e32 v37, s57, v199
	v_and_b32_e32 v37, s39, v37
	s_delay_alu instid0(VALU_DEP_1)
	v_and_b32_e32 v38, 1, v37
	v_lshlrev_b32_e32 v39, 30, v37
	v_lshlrev_b32_e32 v40, 29, v37
	;; [unrolled: 1-line block ×4, first 2 shown]
	v_add_co_u32 v38, s16, v38, -1
	s_delay_alu instid0(VALU_DEP_1)
	v_cndmask_b32_e64 v42, 0, 1, s16
	v_not_b32_e32 v205, v39
	v_cmp_gt_i32_e64 s16, 0, v39
	v_not_b32_e32 v39, v40
	v_lshlrev_b32_e32 v203, 26, v37
	v_cmp_ne_u32_e32 vcc_lo, 0, v42
	v_ashrrev_i32_e32 v205, 31, v205
	v_lshlrev_b32_e32 v204, 25, v37
	v_ashrrev_i32_e32 v39, 31, v39
	v_lshlrev_b32_e32 v42, 24, v37
	v_xor_b32_e32 v38, vcc_lo, v38
	v_cmp_gt_i32_e32 vcc_lo, 0, v40
	v_not_b32_e32 v40, v41
	v_xor_b32_e32 v205, s16, v205
	v_cmp_gt_i32_e64 s16, 0, v41
	v_and_b32_e32 v38, exec_lo, v38
	v_not_b32_e32 v41, v43
	v_ashrrev_i32_e32 v40, 31, v40
	v_xor_b32_e32 v39, vcc_lo, v39
	v_cmp_gt_i32_e32 vcc_lo, 0, v43
	v_and_b32_e32 v38, v38, v205
	v_not_b32_e32 v43, v203
	v_ashrrev_i32_e32 v41, 31, v41
	v_xor_b32_e32 v40, s16, v40
	v_cmp_gt_i32_e64 s16, 0, v203
	v_and_b32_e32 v38, v38, v39
	v_not_b32_e32 v39, v204
	v_ashrrev_i32_e32 v43, 31, v43
	v_xor_b32_e32 v41, vcc_lo, v41
	v_cmp_gt_i32_e32 vcc_lo, 0, v204
	v_and_b32_e32 v38, v38, v40
	v_not_b32_e32 v40, v42
	v_ashrrev_i32_e32 v39, 31, v39
	v_xor_b32_e32 v43, s16, v43
	v_mul_u32_u24_e32 v37, 9, v37
	v_and_b32_e32 v38, v38, v41
	v_cmp_gt_i32_e64 s16, 0, v42
	v_ashrrev_i32_e32 v40, 31, v40
	v_xor_b32_e32 v39, vcc_lo, v39
	v_add_lshl_u32 v41, v37, v128, 2
	v_and_b32_e32 v38, v38, v43
	s_delay_alu instid0(VALU_DEP_4) | instskip(SKIP_3) | instid1(VALU_DEP_2)
	v_xor_b32_e32 v37, s16, v40
	ds_load_b32 v204, v41 offset:1056
	v_and_b32_e32 v38, v38, v39
	v_add_nc_u32_e32 v206, 0x420, v41
	; wave barrier
	v_and_b32_e32 v37, v38, v37
	s_delay_alu instid0(VALU_DEP_1) | instskip(SKIP_1) | instid1(VALU_DEP_2)
	v_mbcnt_lo_u32_b32 v205, v37, 0
	v_cmp_ne_u32_e64 s16, 0, v37
	v_cmp_eq_u32_e32 vcc_lo, 0, v205
	s_delay_alu instid0(VALU_DEP_2) | instskip(NEXT) | instid1(SALU_CYCLE_1)
	s_and_b32 s17, s16, vcc_lo
	s_and_saveexec_b32 s16, s17
	s_cbranch_execz .LBB505_754
; %bb.753:                              ;   in Loop: Header=BB505_688 Depth=2
	s_waitcnt lgkmcnt(0)
	v_bcnt_u32_b32 v37, v37, v204
	ds_store_b32 v206, v37
.LBB505_754:                            ;   in Loop: Header=BB505_688 Depth=2
	s_or_b32 exec_lo, exec_lo, s16
	v_xor_b32_e32 v203, 0x7fffffff, v36
	; wave barrier
	s_delay_alu instid0(VALU_DEP_1) | instskip(NEXT) | instid1(VALU_DEP_1)
	v_lshrrev_b32_e32 v36, s57, v203
	v_and_b32_e32 v36, s39, v36
	s_delay_alu instid0(VALU_DEP_1)
	v_and_b32_e32 v37, 1, v36
	v_lshlrev_b32_e32 v38, 30, v36
	v_lshlrev_b32_e32 v39, 29, v36
	;; [unrolled: 1-line block ×4, first 2 shown]
	v_add_co_u32 v37, s16, v37, -1
	s_delay_alu instid0(VALU_DEP_1)
	v_cndmask_b32_e64 v41, 0, 1, s16
	v_not_b32_e32 v208, v38
	v_cmp_gt_i32_e64 s16, 0, v38
	v_not_b32_e32 v38, v39
	v_lshlrev_b32_e32 v43, 26, v36
	v_cmp_ne_u32_e32 vcc_lo, 0, v41
	v_ashrrev_i32_e32 v208, 31, v208
	v_lshlrev_b32_e32 v207, 25, v36
	v_ashrrev_i32_e32 v38, 31, v38
	v_lshlrev_b32_e32 v41, 24, v36
	v_xor_b32_e32 v37, vcc_lo, v37
	v_cmp_gt_i32_e32 vcc_lo, 0, v39
	v_not_b32_e32 v39, v40
	v_xor_b32_e32 v208, s16, v208
	v_cmp_gt_i32_e64 s16, 0, v40
	v_and_b32_e32 v37, exec_lo, v37
	v_not_b32_e32 v40, v42
	v_ashrrev_i32_e32 v39, 31, v39
	v_xor_b32_e32 v38, vcc_lo, v38
	v_cmp_gt_i32_e32 vcc_lo, 0, v42
	v_and_b32_e32 v37, v37, v208
	v_not_b32_e32 v42, v43
	v_ashrrev_i32_e32 v40, 31, v40
	v_xor_b32_e32 v39, s16, v39
	v_cmp_gt_i32_e64 s16, 0, v43
	v_and_b32_e32 v37, v37, v38
	v_not_b32_e32 v38, v207
	v_ashrrev_i32_e32 v42, 31, v42
	v_xor_b32_e32 v40, vcc_lo, v40
	v_cmp_gt_i32_e32 vcc_lo, 0, v207
	v_and_b32_e32 v37, v37, v39
	v_not_b32_e32 v39, v41
	v_ashrrev_i32_e32 v38, 31, v38
	v_xor_b32_e32 v42, s16, v42
	v_mul_u32_u24_e32 v36, 9, v36
	v_and_b32_e32 v37, v37, v40
	v_cmp_gt_i32_e64 s16, 0, v41
	v_ashrrev_i32_e32 v39, 31, v39
	v_xor_b32_e32 v38, vcc_lo, v38
	v_add_lshl_u32 v40, v36, v128, 2
	v_and_b32_e32 v37, v37, v42
	s_delay_alu instid0(VALU_DEP_4) | instskip(SKIP_3) | instid1(VALU_DEP_2)
	v_xor_b32_e32 v36, s16, v39
	ds_load_b32 v207, v40 offset:1056
	v_and_b32_e32 v37, v37, v38
	v_add_nc_u32_e32 v209, 0x420, v40
	; wave barrier
	v_and_b32_e32 v36, v37, v36
	s_delay_alu instid0(VALU_DEP_1) | instskip(SKIP_1) | instid1(VALU_DEP_2)
	v_mbcnt_lo_u32_b32 v208, v36, 0
	v_cmp_ne_u32_e64 s16, 0, v36
	v_cmp_eq_u32_e32 vcc_lo, 0, v208
	s_delay_alu instid0(VALU_DEP_2) | instskip(NEXT) | instid1(SALU_CYCLE_1)
	s_and_b32 s17, s16, vcc_lo
	s_and_saveexec_b32 s16, s17
	s_cbranch_execz .LBB505_756
; %bb.755:                              ;   in Loop: Header=BB505_688 Depth=2
	s_waitcnt lgkmcnt(0)
	v_bcnt_u32_b32 v36, v36, v207
	ds_store_b32 v209, v36
.LBB505_756:                            ;   in Loop: Header=BB505_688 Depth=2
	s_or_b32 exec_lo, exec_lo, s16
	; wave barrier
	s_waitcnt lgkmcnt(0)
	s_barrier
	buffer_gl0_inv
	ds_load_b32 v210, v70 offset:1056
	ds_load_2addr_b32 v[42:43], v71 offset0:1 offset1:2
	ds_load_2addr_b32 v[40:41], v71 offset0:3 offset1:4
	;; [unrolled: 1-line block ×4, first 2 shown]
	s_waitcnt lgkmcnt(3)
	v_add3_u32 v211, v42, v210, v43
	s_waitcnt lgkmcnt(2)
	s_delay_alu instid0(VALU_DEP_1) | instskip(SKIP_1) | instid1(VALU_DEP_1)
	v_add3_u32 v211, v211, v40, v41
	s_waitcnt lgkmcnt(1)
	v_add3_u32 v211, v211, v36, v37
	s_waitcnt lgkmcnt(0)
	s_delay_alu instid0(VALU_DEP_1) | instskip(NEXT) | instid1(VALU_DEP_1)
	v_add3_u32 v39, v211, v38, v39
	v_mov_b32_dpp v211, v39 row_shr:1 row_mask:0xf bank_mask:0xf
	s_delay_alu instid0(VALU_DEP_1) | instskip(NEXT) | instid1(VALU_DEP_1)
	v_cndmask_b32_e64 v211, v211, 0, s0
	v_add_nc_u32_e32 v39, v211, v39
	s_delay_alu instid0(VALU_DEP_1) | instskip(NEXT) | instid1(VALU_DEP_1)
	v_mov_b32_dpp v211, v39 row_shr:2 row_mask:0xf bank_mask:0xf
	v_cndmask_b32_e64 v211, 0, v211, s1
	s_delay_alu instid0(VALU_DEP_1) | instskip(NEXT) | instid1(VALU_DEP_1)
	v_add_nc_u32_e32 v39, v39, v211
	v_mov_b32_dpp v211, v39 row_shr:4 row_mask:0xf bank_mask:0xf
	s_delay_alu instid0(VALU_DEP_1) | instskip(NEXT) | instid1(VALU_DEP_1)
	v_cndmask_b32_e64 v211, 0, v211, s8
	v_add_nc_u32_e32 v39, v39, v211
	s_delay_alu instid0(VALU_DEP_1) | instskip(NEXT) | instid1(VALU_DEP_1)
	v_mov_b32_dpp v211, v39 row_shr:8 row_mask:0xf bank_mask:0xf
	v_cndmask_b32_e64 v211, 0, v211, s9
	s_delay_alu instid0(VALU_DEP_1) | instskip(SKIP_3) | instid1(VALU_DEP_1)
	v_add_nc_u32_e32 v39, v39, v211
	ds_swizzle_b32 v211, v39 offset:swizzle(BROADCAST,32,15)
	s_waitcnt lgkmcnt(0)
	v_cndmask_b32_e64 v211, v211, 0, s10
	v_add_nc_u32_e32 v39, v39, v211
	s_and_saveexec_b32 s16, s3
	s_cbranch_execz .LBB505_758
; %bb.757:                              ;   in Loop: Header=BB505_688 Depth=2
	ds_store_b32 v62, v39 offset:1024
.LBB505_758:                            ;   in Loop: Header=BB505_688 Depth=2
	s_or_b32 exec_lo, exec_lo, s16
	s_waitcnt lgkmcnt(0)
	s_barrier
	buffer_gl0_inv
	s_and_saveexec_b32 s16, s4
	s_cbranch_execz .LBB505_760
; %bb.759:                              ;   in Loop: Header=BB505_688 Depth=2
	v_add_nc_u32_e32 v211, v70, v72
	ds_load_b32 v212, v211 offset:1024
	s_waitcnt lgkmcnt(0)
	v_mov_b32_dpp v213, v212 row_shr:1 row_mask:0xf bank_mask:0xf
	s_delay_alu instid0(VALU_DEP_1) | instskip(NEXT) | instid1(VALU_DEP_1)
	v_cndmask_b32_e64 v213, v213, 0, s12
	v_add_nc_u32_e32 v212, v213, v212
	s_delay_alu instid0(VALU_DEP_1) | instskip(NEXT) | instid1(VALU_DEP_1)
	v_mov_b32_dpp v213, v212 row_shr:2 row_mask:0xf bank_mask:0xf
	v_cndmask_b32_e64 v213, 0, v213, s13
	s_delay_alu instid0(VALU_DEP_1) | instskip(NEXT) | instid1(VALU_DEP_1)
	v_add_nc_u32_e32 v212, v212, v213
	v_mov_b32_dpp v213, v212 row_shr:4 row_mask:0xf bank_mask:0xf
	s_delay_alu instid0(VALU_DEP_1) | instskip(NEXT) | instid1(VALU_DEP_1)
	v_cndmask_b32_e64 v213, 0, v213, s14
	v_add_nc_u32_e32 v212, v212, v213
	ds_store_b32 v211, v212 offset:1024
.LBB505_760:                            ;   in Loop: Header=BB505_688 Depth=2
	s_or_b32 exec_lo, exec_lo, s16
	v_mov_b32_e32 v211, 0
	s_waitcnt lgkmcnt(0)
	s_barrier
	buffer_gl0_inv
	s_and_saveexec_b32 s16, s5
	s_cbranch_execz .LBB505_762
; %bb.761:                              ;   in Loop: Header=BB505_688 Depth=2
	ds_load_b32 v211, v62 offset:1020
.LBB505_762:                            ;   in Loop: Header=BB505_688 Depth=2
	s_or_b32 exec_lo, exec_lo, s16
	s_waitcnt lgkmcnt(0)
	v_add_nc_u32_e32 v39, v211, v39
	ds_bpermute_b32 v39, v107, v39
	s_waitcnt lgkmcnt(0)
	v_cndmask_b32_e64 v39, v39, v211, s11
	s_delay_alu instid0(VALU_DEP_1) | instskip(NEXT) | instid1(VALU_DEP_1)
	v_cndmask_b32_e64 v39, v39, 0, s6
	v_add_nc_u32_e32 v210, v39, v210
	s_delay_alu instid0(VALU_DEP_1) | instskip(NEXT) | instid1(VALU_DEP_1)
	v_add_nc_u32_e32 v42, v210, v42
	v_add_nc_u32_e32 v43, v42, v43
	s_delay_alu instid0(VALU_DEP_1) | instskip(NEXT) | instid1(VALU_DEP_1)
	v_add_nc_u32_e32 v40, v43, v40
	;; [unrolled: 3-line block ×3, first 2 shown]
	v_add_nc_u32_e32 v37, v36, v37
	s_delay_alu instid0(VALU_DEP_1)
	v_add_nc_u32_e32 v38, v37, v38
	ds_store_b32 v70, v39 offset:1056
	ds_store_2addr_b32 v71, v210, v42 offset0:1 offset1:2
	ds_store_2addr_b32 v71, v43, v40 offset0:3 offset1:4
	;; [unrolled: 1-line block ×4, first 2 shown]
	v_mov_b32_e32 v38, 0x1000
	s_waitcnt lgkmcnt(0)
	s_barrier
	buffer_gl0_inv
	ds_load_b32 v39, v154
	ds_load_b32 v40, v158
	;; [unrolled: 1-line block ×16, first 2 shown]
	ds_load_b32 v158, v70 offset:1056
	s_and_saveexec_b32 s16, s7
	s_cbranch_execz .LBB505_764
; %bb.763:                              ;   in Loop: Header=BB505_688 Depth=2
	ds_load_b32 v38, v73 offset:1056
.LBB505_764:                            ;   in Loop: Header=BB505_688 Depth=2
	s_or_b32 exec_lo, exec_lo, s16
	s_waitcnt lgkmcnt(0)
	s_barrier
	buffer_gl0_inv
	s_and_saveexec_b32 s16, s2
	s_cbranch_execz .LBB505_766
; %bb.765:                              ;   in Loop: Header=BB505_688 Depth=2
	ds_load_b32 v162, v44
	s_waitcnt lgkmcnt(0)
	v_sub_nc_u32_e32 v158, v162, v158
	ds_store_b32 v44, v158
.LBB505_766:                            ;   in Loop: Header=BB505_688 Depth=2
	s_or_b32 exec_lo, exec_lo, s16
	v_add_nc_u32_e32 v170, v150, v149
	v_add3_u32 v166, v153, v152, v39
	v_add3_u32 v162, v157, v156, v40
	;; [unrolled: 1-line block ×5, first 2 shown]
	v_lshlrev_b32_e32 v160, 2, v170
	v_add3_u32 v43, v201, v200, v36
	v_lshlrev_b32_e32 v36, 2, v166
	v_add3_u32 v154, v174, v173, v175
	v_add3_u32 v153, v177, v176, v178
	ds_store_b32 v160, v2 offset:1024
	v_lshlrev_b32_e32 v2, 2, v162
	ds_store_b32 v36, v148 offset:1024
	v_lshlrev_b32_e32 v36, 2, v156
	v_add3_u32 v152, v181, v180, v182
	v_add3_u32 v42, v205, v204, v37
	v_lshlrev_b32_e32 v37, 2, v158
	v_add3_u32 v150, v185, v184, v186
	v_lshlrev_b32_e32 v160, 2, v157
	v_add3_u32 v149, v189, v188, v190
	v_add3_u32 v40, v193, v192, v194
	ds_store_b32 v2, v151 offset:1024
	ds_store_b32 v37, v155 offset:1024
	;; [unrolled: 1-line block ×3, first 2 shown]
	v_lshlrev_b32_e32 v2, 2, v154
	ds_store_b32 v36, v163 offset:1024
	v_lshlrev_b32_e32 v36, 2, v153
	v_lshlrev_b32_e32 v37, 2, v152
	v_lshlrev_b32_e32 v148, 2, v150
	v_add3_u32 v39, v197, v196, v198
	v_add3_u32 v41, v208, v207, v41
	ds_store_b32 v2, v167 offset:1024
	v_lshlrev_b32_e32 v2, 2, v149
	ds_store_b32 v36, v172 offset:1024
	ds_store_b32 v37, v171 offset:1024
	;; [unrolled: 1-line block ×3, first 2 shown]
	v_lshlrev_b32_e32 v36, 2, v40
	v_cmp_lt_u32_e32 vcc_lo, v1, v147
	v_lshlrev_b32_e32 v37, 2, v43
	ds_store_b32 v2, v183 offset:1024
	v_lshlrev_b32_e32 v2, 2, v39
	ds_store_b32 v36, v187 offset:1024
	v_lshlrev_b32_e32 v36, 2, v41
	v_lshlrev_b32_e32 v148, 2, v42
	ds_store_b32 v2, v191 offset:1024
	ds_store_b32 v37, v195 offset:1024
	;; [unrolled: 1-line block ×4, first 2 shown]
	s_waitcnt lgkmcnt(0)
	s_barrier
	buffer_gl0_inv
	s_and_saveexec_b32 s17, vcc_lo
	s_cbranch_execz .LBB505_782
; %bb.767:                              ;   in Loop: Header=BB505_688 Depth=2
	v_add_nc_u32_e32 v2, v70, v72
	ds_load_b32 v148, v2 offset:1024
	s_waitcnt lgkmcnt(0)
	v_lshrrev_b32_e32 v2, s57, v148
	s_delay_alu instid0(VALU_DEP_1) | instskip(NEXT) | instid1(VALU_DEP_1)
	v_and_b32_e32 v2, s39, v2
	v_lshlrev_b32_e32 v2, 2, v2
	ds_load_b32 v2, v2
	s_waitcnt lgkmcnt(0)
	v_add_nc_u32_e32 v2, v2, v1
	s_delay_alu instid0(VALU_DEP_1) | instskip(SKIP_1) | instid1(VALU_DEP_2)
	v_lshlrev_b64 v[36:37], 2, v[2:3]
	v_xor_b32_e32 v2, 0x7fffffff, v148
	v_add_co_u32 v36, s16, s46, v36
	s_delay_alu instid0(VALU_DEP_1) | instskip(SKIP_3) | instid1(VALU_DEP_1)
	v_add_co_ci_u32_e64 v37, s16, s47, v37, s16
	global_store_b32 v[36:37], v2, off
	s_or_b32 exec_lo, exec_lo, s17
	v_cmp_lt_u32_e64 s16, v45, v147
	s_and_saveexec_b32 s18, s16
	s_cbranch_execnz .LBB505_783
.LBB505_768:                            ;   in Loop: Header=BB505_688 Depth=2
	s_or_b32 exec_lo, exec_lo, s18
	v_cmp_lt_u32_e64 s17, v46, v147
	s_delay_alu instid0(VALU_DEP_1)
	s_and_saveexec_b32 s19, s17
	s_cbranch_execz .LBB505_784
.LBB505_769:                            ;   in Loop: Header=BB505_688 Depth=2
	ds_load_b32 v148, v78 offset:2048
	s_waitcnt lgkmcnt(0)
	v_lshrrev_b32_e32 v2, s57, v148
	s_delay_alu instid0(VALU_DEP_1) | instskip(NEXT) | instid1(VALU_DEP_1)
	v_and_b32_e32 v2, s39, v2
	v_lshlrev_b32_e32 v2, 2, v2
	ds_load_b32 v2, v2
	s_waitcnt lgkmcnt(0)
	v_add_nc_u32_e32 v2, v2, v46
	s_delay_alu instid0(VALU_DEP_1) | instskip(SKIP_1) | instid1(VALU_DEP_2)
	v_lshlrev_b64 v[36:37], 2, v[2:3]
	v_xor_b32_e32 v2, 0x7fffffff, v148
	v_add_co_u32 v36, s18, s46, v36
	s_delay_alu instid0(VALU_DEP_1) | instskip(SKIP_3) | instid1(VALU_DEP_1)
	v_add_co_ci_u32_e64 v37, s18, s47, v37, s18
	global_store_b32 v[36:37], v2, off
	s_or_b32 exec_lo, exec_lo, s19
	v_cmp_lt_u32_e64 s18, v47, v147
	s_and_saveexec_b32 s20, s18
	s_cbranch_execnz .LBB505_785
.LBB505_770:                            ;   in Loop: Header=BB505_688 Depth=2
	s_or_b32 exec_lo, exec_lo, s20
	v_cmp_lt_u32_e64 s19, v51, v147
	s_delay_alu instid0(VALU_DEP_1)
	s_and_saveexec_b32 s21, s19
	s_cbranch_execz .LBB505_786
.LBB505_771:                            ;   in Loop: Header=BB505_688 Depth=2
	ds_load_b32 v148, v78 offset:4096
	s_waitcnt lgkmcnt(0)
	v_lshrrev_b32_e32 v2, s57, v148
	s_delay_alu instid0(VALU_DEP_1) | instskip(NEXT) | instid1(VALU_DEP_1)
	v_and_b32_e32 v2, s39, v2
	v_lshlrev_b32_e32 v2, 2, v2
	ds_load_b32 v2, v2
	s_waitcnt lgkmcnt(0)
	v_add_nc_u32_e32 v2, v2, v51
	s_delay_alu instid0(VALU_DEP_1) | instskip(SKIP_1) | instid1(VALU_DEP_2)
	v_lshlrev_b64 v[36:37], 2, v[2:3]
	v_xor_b32_e32 v2, 0x7fffffff, v148
	v_add_co_u32 v36, s20, s46, v36
	s_delay_alu instid0(VALU_DEP_1) | instskip(SKIP_3) | instid1(VALU_DEP_1)
	v_add_co_ci_u32_e64 v37, s20, s47, v37, s20
	global_store_b32 v[36:37], v2, off
	s_or_b32 exec_lo, exec_lo, s21
	v_cmp_lt_u32_e64 s20, v52, v147
	s_and_saveexec_b32 s22, s20
	s_cbranch_execnz .LBB505_787
.LBB505_772:                            ;   in Loop: Header=BB505_688 Depth=2
	s_or_b32 exec_lo, exec_lo, s22
	v_cmp_lt_u32_e64 s21, v53, v147
	s_delay_alu instid0(VALU_DEP_1)
	s_and_saveexec_b32 s23, s21
	s_cbranch_execz .LBB505_788
.LBB505_773:                            ;   in Loop: Header=BB505_688 Depth=2
	ds_load_b32 v148, v78 offset:6144
	s_waitcnt lgkmcnt(0)
	v_lshrrev_b32_e32 v2, s57, v148
	s_delay_alu instid0(VALU_DEP_1) | instskip(NEXT) | instid1(VALU_DEP_1)
	v_and_b32_e32 v2, s39, v2
	v_lshlrev_b32_e32 v2, 2, v2
	ds_load_b32 v2, v2
	s_waitcnt lgkmcnt(0)
	v_add_nc_u32_e32 v2, v2, v53
	s_delay_alu instid0(VALU_DEP_1) | instskip(SKIP_1) | instid1(VALU_DEP_2)
	v_lshlrev_b64 v[36:37], 2, v[2:3]
	v_xor_b32_e32 v2, 0x7fffffff, v148
	v_add_co_u32 v36, s22, s46, v36
	s_delay_alu instid0(VALU_DEP_1) | instskip(SKIP_3) | instid1(VALU_DEP_1)
	v_add_co_ci_u32_e64 v37, s22, s47, v37, s22
	global_store_b32 v[36:37], v2, off
	s_or_b32 exec_lo, exec_lo, s23
	v_cmp_lt_u32_e64 s22, v54, v147
	s_and_saveexec_b32 s24, s22
	s_cbranch_execnz .LBB505_789
.LBB505_774:                            ;   in Loop: Header=BB505_688 Depth=2
	s_or_b32 exec_lo, exec_lo, s24
	v_cmp_lt_u32_e64 s23, v55, v147
	s_delay_alu instid0(VALU_DEP_1)
	s_and_saveexec_b32 s25, s23
	s_cbranch_execz .LBB505_790
.LBB505_775:                            ;   in Loop: Header=BB505_688 Depth=2
	ds_load_b32 v148, v78 offset:8192
	s_waitcnt lgkmcnt(0)
	v_lshrrev_b32_e32 v2, s57, v148
	s_delay_alu instid0(VALU_DEP_1) | instskip(NEXT) | instid1(VALU_DEP_1)
	v_and_b32_e32 v2, s39, v2
	v_lshlrev_b32_e32 v2, 2, v2
	ds_load_b32 v2, v2
	s_waitcnt lgkmcnt(0)
	v_add_nc_u32_e32 v2, v2, v55
	s_delay_alu instid0(VALU_DEP_1) | instskip(SKIP_1) | instid1(VALU_DEP_2)
	v_lshlrev_b64 v[36:37], 2, v[2:3]
	v_xor_b32_e32 v2, 0x7fffffff, v148
	v_add_co_u32 v36, s24, s46, v36
	s_delay_alu instid0(VALU_DEP_1) | instskip(SKIP_3) | instid1(VALU_DEP_1)
	v_add_co_ci_u32_e64 v37, s24, s47, v37, s24
	global_store_b32 v[36:37], v2, off
	s_or_b32 exec_lo, exec_lo, s25
	v_cmp_lt_u32_e64 s24, v56, v147
	s_and_saveexec_b32 s27, s24
	s_cbranch_execnz .LBB505_791
.LBB505_776:                            ;   in Loop: Header=BB505_688 Depth=2
	s_or_b32 exec_lo, exec_lo, s27
	v_cmp_lt_u32_e64 s25, v57, v147
	s_delay_alu instid0(VALU_DEP_1)
	s_and_saveexec_b32 s28, s25
	s_cbranch_execz .LBB505_792
.LBB505_777:                            ;   in Loop: Header=BB505_688 Depth=2
	ds_load_b32 v148, v78 offset:10240
	s_waitcnt lgkmcnt(0)
	v_lshrrev_b32_e32 v2, s57, v148
	s_delay_alu instid0(VALU_DEP_1) | instskip(NEXT) | instid1(VALU_DEP_1)
	v_and_b32_e32 v2, s39, v2
	v_lshlrev_b32_e32 v2, 2, v2
	ds_load_b32 v2, v2
	s_waitcnt lgkmcnt(0)
	v_add_nc_u32_e32 v2, v2, v57
	s_delay_alu instid0(VALU_DEP_1) | instskip(SKIP_1) | instid1(VALU_DEP_2)
	v_lshlrev_b64 v[36:37], 2, v[2:3]
	v_xor_b32_e32 v2, 0x7fffffff, v148
	v_add_co_u32 v36, s27, s46, v36
	s_delay_alu instid0(VALU_DEP_1) | instskip(SKIP_3) | instid1(VALU_DEP_1)
	v_add_co_ci_u32_e64 v37, s27, s47, v37, s27
	global_store_b32 v[36:37], v2, off
	s_or_b32 exec_lo, exec_lo, s28
	v_cmp_lt_u32_e64 s27, v58, v147
	s_and_saveexec_b32 s29, s27
	s_cbranch_execnz .LBB505_793
.LBB505_778:                            ;   in Loop: Header=BB505_688 Depth=2
	s_or_b32 exec_lo, exec_lo, s29
	v_cmp_lt_u32_e64 s28, v59, v147
	s_delay_alu instid0(VALU_DEP_1)
	s_and_saveexec_b32 s30, s28
	s_cbranch_execz .LBB505_794
.LBB505_779:                            ;   in Loop: Header=BB505_688 Depth=2
	ds_load_b32 v148, v78 offset:12288
	s_waitcnt lgkmcnt(0)
	v_lshrrev_b32_e32 v2, s57, v148
	s_delay_alu instid0(VALU_DEP_1) | instskip(NEXT) | instid1(VALU_DEP_1)
	v_and_b32_e32 v2, s39, v2
	v_lshlrev_b32_e32 v2, 2, v2
	ds_load_b32 v2, v2
	s_waitcnt lgkmcnt(0)
	v_add_nc_u32_e32 v2, v2, v59
	s_delay_alu instid0(VALU_DEP_1) | instskip(SKIP_1) | instid1(VALU_DEP_2)
	v_lshlrev_b64 v[36:37], 2, v[2:3]
	v_xor_b32_e32 v2, 0x7fffffff, v148
	v_add_co_u32 v36, s29, s46, v36
	s_delay_alu instid0(VALU_DEP_1) | instskip(SKIP_3) | instid1(VALU_DEP_1)
	v_add_co_ci_u32_e64 v37, s29, s47, v37, s29
	global_store_b32 v[36:37], v2, off
	s_or_b32 exec_lo, exec_lo, s30
	v_cmp_lt_u32_e64 s29, v60, v147
	s_and_saveexec_b32 s31, s29
	s_cbranch_execnz .LBB505_795
.LBB505_780:                            ;   in Loop: Header=BB505_688 Depth=2
	s_or_b32 exec_lo, exec_lo, s31
	v_cmp_lt_u32_e64 s30, v61, v147
	s_delay_alu instid0(VALU_DEP_1)
	s_and_saveexec_b32 s33, s30
	s_cbranch_execz .LBB505_796
.LBB505_781:                            ;   in Loop: Header=BB505_688 Depth=2
	ds_load_b32 v148, v78 offset:14336
	s_waitcnt lgkmcnt(0)
	v_lshrrev_b32_e32 v2, s57, v148
	s_delay_alu instid0(VALU_DEP_1) | instskip(NEXT) | instid1(VALU_DEP_1)
	v_and_b32_e32 v2, s39, v2
	v_lshlrev_b32_e32 v2, 2, v2
	ds_load_b32 v2, v2
	s_waitcnt lgkmcnt(0)
	v_add_nc_u32_e32 v2, v2, v61
	s_delay_alu instid0(VALU_DEP_1) | instskip(SKIP_1) | instid1(VALU_DEP_2)
	v_lshlrev_b64 v[36:37], 2, v[2:3]
	v_xor_b32_e32 v2, 0x7fffffff, v148
	v_add_co_u32 v36, s31, s46, v36
	s_delay_alu instid0(VALU_DEP_1) | instskip(SKIP_3) | instid1(VALU_DEP_1)
	v_add_co_ci_u32_e64 v37, s31, s47, v37, s31
	global_store_b32 v[36:37], v2, off
	s_or_b32 exec_lo, exec_lo, s33
	v_cmp_lt_u32_e64 s31, v63, v147
	s_and_saveexec_b32 s42, s31
	s_cbranch_execnz .LBB505_797
	s_branch .LBB505_798
.LBB505_782:                            ;   in Loop: Header=BB505_688 Depth=2
	s_or_b32 exec_lo, exec_lo, s17
	v_cmp_lt_u32_e64 s16, v45, v147
	s_delay_alu instid0(VALU_DEP_1)
	s_and_saveexec_b32 s18, s16
	s_cbranch_execz .LBB505_768
.LBB505_783:                            ;   in Loop: Header=BB505_688 Depth=2
	ds_load_b32 v148, v78 offset:1024
	s_waitcnt lgkmcnt(0)
	v_lshrrev_b32_e32 v2, s57, v148
	s_delay_alu instid0(VALU_DEP_1) | instskip(NEXT) | instid1(VALU_DEP_1)
	v_and_b32_e32 v2, s39, v2
	v_lshlrev_b32_e32 v2, 2, v2
	ds_load_b32 v2, v2
	s_waitcnt lgkmcnt(0)
	v_add_nc_u32_e32 v2, v2, v45
	s_delay_alu instid0(VALU_DEP_1) | instskip(SKIP_1) | instid1(VALU_DEP_2)
	v_lshlrev_b64 v[36:37], 2, v[2:3]
	v_xor_b32_e32 v2, 0x7fffffff, v148
	v_add_co_u32 v36, s17, s46, v36
	s_delay_alu instid0(VALU_DEP_1) | instskip(SKIP_3) | instid1(VALU_DEP_1)
	v_add_co_ci_u32_e64 v37, s17, s47, v37, s17
	global_store_b32 v[36:37], v2, off
	s_or_b32 exec_lo, exec_lo, s18
	v_cmp_lt_u32_e64 s17, v46, v147
	s_and_saveexec_b32 s19, s17
	s_cbranch_execnz .LBB505_769
.LBB505_784:                            ;   in Loop: Header=BB505_688 Depth=2
	s_or_b32 exec_lo, exec_lo, s19
	v_cmp_lt_u32_e64 s18, v47, v147
	s_delay_alu instid0(VALU_DEP_1)
	s_and_saveexec_b32 s20, s18
	s_cbranch_execz .LBB505_770
.LBB505_785:                            ;   in Loop: Header=BB505_688 Depth=2
	ds_load_b32 v148, v78 offset:3072
	s_waitcnt lgkmcnt(0)
	v_lshrrev_b32_e32 v2, s57, v148
	s_delay_alu instid0(VALU_DEP_1) | instskip(NEXT) | instid1(VALU_DEP_1)
	v_and_b32_e32 v2, s39, v2
	v_lshlrev_b32_e32 v2, 2, v2
	ds_load_b32 v2, v2
	s_waitcnt lgkmcnt(0)
	v_add_nc_u32_e32 v2, v2, v47
	s_delay_alu instid0(VALU_DEP_1) | instskip(SKIP_1) | instid1(VALU_DEP_2)
	v_lshlrev_b64 v[36:37], 2, v[2:3]
	v_xor_b32_e32 v2, 0x7fffffff, v148
	v_add_co_u32 v36, s19, s46, v36
	s_delay_alu instid0(VALU_DEP_1) | instskip(SKIP_3) | instid1(VALU_DEP_1)
	v_add_co_ci_u32_e64 v37, s19, s47, v37, s19
	global_store_b32 v[36:37], v2, off
	s_or_b32 exec_lo, exec_lo, s20
	v_cmp_lt_u32_e64 s19, v51, v147
	s_and_saveexec_b32 s21, s19
	s_cbranch_execnz .LBB505_771
.LBB505_786:                            ;   in Loop: Header=BB505_688 Depth=2
	s_or_b32 exec_lo, exec_lo, s21
	v_cmp_lt_u32_e64 s20, v52, v147
	s_delay_alu instid0(VALU_DEP_1)
	s_and_saveexec_b32 s22, s20
	s_cbranch_execz .LBB505_772
.LBB505_787:                            ;   in Loop: Header=BB505_688 Depth=2
	ds_load_b32 v148, v78 offset:5120
	s_waitcnt lgkmcnt(0)
	v_lshrrev_b32_e32 v2, s57, v148
	s_delay_alu instid0(VALU_DEP_1) | instskip(NEXT) | instid1(VALU_DEP_1)
	v_and_b32_e32 v2, s39, v2
	v_lshlrev_b32_e32 v2, 2, v2
	ds_load_b32 v2, v2
	s_waitcnt lgkmcnt(0)
	v_add_nc_u32_e32 v2, v2, v52
	s_delay_alu instid0(VALU_DEP_1) | instskip(SKIP_1) | instid1(VALU_DEP_2)
	v_lshlrev_b64 v[36:37], 2, v[2:3]
	v_xor_b32_e32 v2, 0x7fffffff, v148
	v_add_co_u32 v36, s21, s46, v36
	s_delay_alu instid0(VALU_DEP_1) | instskip(SKIP_3) | instid1(VALU_DEP_1)
	v_add_co_ci_u32_e64 v37, s21, s47, v37, s21
	global_store_b32 v[36:37], v2, off
	s_or_b32 exec_lo, exec_lo, s22
	v_cmp_lt_u32_e64 s21, v53, v147
	s_and_saveexec_b32 s23, s21
	s_cbranch_execnz .LBB505_773
.LBB505_788:                            ;   in Loop: Header=BB505_688 Depth=2
	s_or_b32 exec_lo, exec_lo, s23
	v_cmp_lt_u32_e64 s22, v54, v147
	s_delay_alu instid0(VALU_DEP_1)
	s_and_saveexec_b32 s24, s22
	s_cbranch_execz .LBB505_774
.LBB505_789:                            ;   in Loop: Header=BB505_688 Depth=2
	ds_load_b32 v148, v78 offset:7168
	s_waitcnt lgkmcnt(0)
	v_lshrrev_b32_e32 v2, s57, v148
	s_delay_alu instid0(VALU_DEP_1) | instskip(NEXT) | instid1(VALU_DEP_1)
	v_and_b32_e32 v2, s39, v2
	v_lshlrev_b32_e32 v2, 2, v2
	ds_load_b32 v2, v2
	s_waitcnt lgkmcnt(0)
	v_add_nc_u32_e32 v2, v2, v54
	s_delay_alu instid0(VALU_DEP_1) | instskip(SKIP_1) | instid1(VALU_DEP_2)
	v_lshlrev_b64 v[36:37], 2, v[2:3]
	v_xor_b32_e32 v2, 0x7fffffff, v148
	v_add_co_u32 v36, s23, s46, v36
	s_delay_alu instid0(VALU_DEP_1) | instskip(SKIP_3) | instid1(VALU_DEP_1)
	v_add_co_ci_u32_e64 v37, s23, s47, v37, s23
	global_store_b32 v[36:37], v2, off
	s_or_b32 exec_lo, exec_lo, s24
	v_cmp_lt_u32_e64 s23, v55, v147
	s_and_saveexec_b32 s25, s23
	s_cbranch_execnz .LBB505_775
.LBB505_790:                            ;   in Loop: Header=BB505_688 Depth=2
	s_or_b32 exec_lo, exec_lo, s25
	v_cmp_lt_u32_e64 s24, v56, v147
	s_delay_alu instid0(VALU_DEP_1)
	s_and_saveexec_b32 s27, s24
	s_cbranch_execz .LBB505_776
.LBB505_791:                            ;   in Loop: Header=BB505_688 Depth=2
	ds_load_b32 v148, v78 offset:9216
	s_waitcnt lgkmcnt(0)
	v_lshrrev_b32_e32 v2, s57, v148
	s_delay_alu instid0(VALU_DEP_1) | instskip(NEXT) | instid1(VALU_DEP_1)
	v_and_b32_e32 v2, s39, v2
	v_lshlrev_b32_e32 v2, 2, v2
	ds_load_b32 v2, v2
	s_waitcnt lgkmcnt(0)
	v_add_nc_u32_e32 v2, v2, v56
	s_delay_alu instid0(VALU_DEP_1) | instskip(SKIP_1) | instid1(VALU_DEP_2)
	v_lshlrev_b64 v[36:37], 2, v[2:3]
	v_xor_b32_e32 v2, 0x7fffffff, v148
	v_add_co_u32 v36, s25, s46, v36
	s_delay_alu instid0(VALU_DEP_1) | instskip(SKIP_3) | instid1(VALU_DEP_1)
	v_add_co_ci_u32_e64 v37, s25, s47, v37, s25
	global_store_b32 v[36:37], v2, off
	s_or_b32 exec_lo, exec_lo, s27
	v_cmp_lt_u32_e64 s25, v57, v147
	s_and_saveexec_b32 s28, s25
	s_cbranch_execnz .LBB505_777
.LBB505_792:                            ;   in Loop: Header=BB505_688 Depth=2
	s_or_b32 exec_lo, exec_lo, s28
	v_cmp_lt_u32_e64 s27, v58, v147
	s_delay_alu instid0(VALU_DEP_1)
	s_and_saveexec_b32 s29, s27
	s_cbranch_execz .LBB505_778
.LBB505_793:                            ;   in Loop: Header=BB505_688 Depth=2
	ds_load_b32 v148, v78 offset:11264
	s_waitcnt lgkmcnt(0)
	v_lshrrev_b32_e32 v2, s57, v148
	s_delay_alu instid0(VALU_DEP_1) | instskip(NEXT) | instid1(VALU_DEP_1)
	v_and_b32_e32 v2, s39, v2
	v_lshlrev_b32_e32 v2, 2, v2
	ds_load_b32 v2, v2
	s_waitcnt lgkmcnt(0)
	v_add_nc_u32_e32 v2, v2, v58
	s_delay_alu instid0(VALU_DEP_1) | instskip(SKIP_1) | instid1(VALU_DEP_2)
	v_lshlrev_b64 v[36:37], 2, v[2:3]
	v_xor_b32_e32 v2, 0x7fffffff, v148
	v_add_co_u32 v36, s28, s46, v36
	s_delay_alu instid0(VALU_DEP_1) | instskip(SKIP_3) | instid1(VALU_DEP_1)
	v_add_co_ci_u32_e64 v37, s28, s47, v37, s28
	global_store_b32 v[36:37], v2, off
	s_or_b32 exec_lo, exec_lo, s29
	v_cmp_lt_u32_e64 s28, v59, v147
	s_and_saveexec_b32 s30, s28
	s_cbranch_execnz .LBB505_779
.LBB505_794:                            ;   in Loop: Header=BB505_688 Depth=2
	s_or_b32 exec_lo, exec_lo, s30
	v_cmp_lt_u32_e64 s29, v60, v147
	s_delay_alu instid0(VALU_DEP_1)
	s_and_saveexec_b32 s31, s29
	s_cbranch_execz .LBB505_780
.LBB505_795:                            ;   in Loop: Header=BB505_688 Depth=2
	ds_load_b32 v148, v78 offset:13312
	s_waitcnt lgkmcnt(0)
	v_lshrrev_b32_e32 v2, s57, v148
	s_delay_alu instid0(VALU_DEP_1) | instskip(NEXT) | instid1(VALU_DEP_1)
	v_and_b32_e32 v2, s39, v2
	v_lshlrev_b32_e32 v2, 2, v2
	ds_load_b32 v2, v2
	s_waitcnt lgkmcnt(0)
	v_add_nc_u32_e32 v2, v2, v60
	s_delay_alu instid0(VALU_DEP_1) | instskip(SKIP_1) | instid1(VALU_DEP_2)
	v_lshlrev_b64 v[36:37], 2, v[2:3]
	v_xor_b32_e32 v2, 0x7fffffff, v148
	v_add_co_u32 v36, s30, s46, v36
	s_delay_alu instid0(VALU_DEP_1) | instskip(SKIP_3) | instid1(VALU_DEP_1)
	v_add_co_ci_u32_e64 v37, s30, s47, v37, s30
	global_store_b32 v[36:37], v2, off
	s_or_b32 exec_lo, exec_lo, s31
	v_cmp_lt_u32_e64 s30, v61, v147
	s_and_saveexec_b32 s33, s30
	s_cbranch_execnz .LBB505_781
.LBB505_796:                            ;   in Loop: Header=BB505_688 Depth=2
	s_or_b32 exec_lo, exec_lo, s33
	v_cmp_lt_u32_e64 s31, v63, v147
	s_delay_alu instid0(VALU_DEP_1)
	s_and_saveexec_b32 s42, s31
	s_cbranch_execz .LBB505_798
.LBB505_797:                            ;   in Loop: Header=BB505_688 Depth=2
	ds_load_b32 v148, v78 offset:15360
	s_waitcnt lgkmcnt(0)
	v_lshrrev_b32_e32 v2, s57, v148
	s_delay_alu instid0(VALU_DEP_1) | instskip(NEXT) | instid1(VALU_DEP_1)
	v_and_b32_e32 v2, s39, v2
	v_lshlrev_b32_e32 v2, 2, v2
	ds_load_b32 v2, v2
	s_waitcnt lgkmcnt(0)
	v_add_nc_u32_e32 v2, v2, v63
	s_delay_alu instid0(VALU_DEP_1) | instskip(SKIP_1) | instid1(VALU_DEP_2)
	v_lshlrev_b64 v[36:37], 2, v[2:3]
	v_xor_b32_e32 v2, 0x7fffffff, v148
	v_add_co_u32 v36, s33, s46, v36
	s_delay_alu instid0(VALU_DEP_1)
	v_add_co_ci_u32_e64 v37, s33, s47, v37, s33
	global_store_b32 v[36:37], v2, off
.LBB505_798:                            ;   in Loop: Header=BB505_688 Depth=2
	s_or_b32 exec_lo, exec_lo, s42
	s_lshl_b64 s[42:43], s[34:35], 3
	s_delay_alu instid0(SALU_CYCLE_1) | instskip(NEXT) | instid1(VALU_DEP_1)
	v_add_co_u32 v36, s33, v109, s42
	v_add_co_ci_u32_e64 v37, s33, s43, v110, s33
	v_cmp_lt_u32_e64 s33, v108, v147
	s_delay_alu instid0(VALU_DEP_1) | instskip(NEXT) | instid1(SALU_CYCLE_1)
	s_and_saveexec_b32 s34, s33
	s_xor_b32 s33, exec_lo, s34
	s_cbranch_execz .LBB505_830
; %bb.799:                              ;   in Loop: Header=BB505_688 Depth=2
	global_load_b64 v[34:35], v[36:37], off
	s_or_b32 exec_lo, exec_lo, s33
	s_delay_alu instid0(SALU_CYCLE_1)
	s_mov_b32 s34, exec_lo
	v_cmpx_lt_u32_e64 v111, v147
	s_cbranch_execnz .LBB505_831
.LBB505_800:                            ;   in Loop: Header=BB505_688 Depth=2
	s_or_b32 exec_lo, exec_lo, s34
	s_delay_alu instid0(SALU_CYCLE_1)
	s_mov_b32 s34, exec_lo
	v_cmpx_lt_u32_e64 v112, v147
	s_cbranch_execz .LBB505_832
.LBB505_801:                            ;   in Loop: Header=BB505_688 Depth=2
	global_load_b64 v[30:31], v[36:37], off offset:512
	s_or_b32 exec_lo, exec_lo, s34
	s_delay_alu instid0(SALU_CYCLE_1)
	s_mov_b32 s34, exec_lo
	v_cmpx_lt_u32_e64 v113, v147
	s_cbranch_execnz .LBB505_833
.LBB505_802:                            ;   in Loop: Header=BB505_688 Depth=2
	s_or_b32 exec_lo, exec_lo, s34
	s_delay_alu instid0(SALU_CYCLE_1)
	s_mov_b32 s34, exec_lo
	v_cmpx_lt_u32_e64 v114, v147
	s_cbranch_execz .LBB505_834
.LBB505_803:                            ;   in Loop: Header=BB505_688 Depth=2
	global_load_b64 v[26:27], v[36:37], off offset:1024
	s_or_b32 exec_lo, exec_lo, s34
	s_delay_alu instid0(SALU_CYCLE_1)
	s_mov_b32 s34, exec_lo
	v_cmpx_lt_u32_e64 v115, v147
	s_cbranch_execnz .LBB505_835
.LBB505_804:                            ;   in Loop: Header=BB505_688 Depth=2
	s_or_b32 exec_lo, exec_lo, s34
	s_delay_alu instid0(SALU_CYCLE_1)
	s_mov_b32 s34, exec_lo
	v_cmpx_lt_u32_e64 v116, v147
	s_cbranch_execz .LBB505_836
.LBB505_805:                            ;   in Loop: Header=BB505_688 Depth=2
	global_load_b64 v[22:23], v[36:37], off offset:1536
	s_or_b32 exec_lo, exec_lo, s34
	s_delay_alu instid0(SALU_CYCLE_1)
	s_mov_b32 s34, exec_lo
	v_cmpx_lt_u32_e64 v117, v147
	s_cbranch_execnz .LBB505_837
.LBB505_806:                            ;   in Loop: Header=BB505_688 Depth=2
	s_or_b32 exec_lo, exec_lo, s34
	s_delay_alu instid0(SALU_CYCLE_1)
	s_mov_b32 s34, exec_lo
	v_cmpx_lt_u32_e64 v118, v147
	s_cbranch_execz .LBB505_838
.LBB505_807:                            ;   in Loop: Header=BB505_688 Depth=2
	global_load_b64 v[18:19], v[36:37], off offset:2048
	s_or_b32 exec_lo, exec_lo, s34
	s_delay_alu instid0(SALU_CYCLE_1)
	s_mov_b32 s34, exec_lo
	v_cmpx_lt_u32_e64 v119, v147
	s_cbranch_execnz .LBB505_839
.LBB505_808:                            ;   in Loop: Header=BB505_688 Depth=2
	s_or_b32 exec_lo, exec_lo, s34
	s_delay_alu instid0(SALU_CYCLE_1)
	s_mov_b32 s34, exec_lo
	v_cmpx_lt_u32_e64 v120, v147
	s_cbranch_execz .LBB505_840
.LBB505_809:                            ;   in Loop: Header=BB505_688 Depth=2
	global_load_b64 v[14:15], v[36:37], off offset:2560
	s_or_b32 exec_lo, exec_lo, s34
	s_delay_alu instid0(SALU_CYCLE_1)
	s_mov_b32 s34, exec_lo
	v_cmpx_lt_u32_e64 v121, v147
	s_cbranch_execnz .LBB505_841
.LBB505_810:                            ;   in Loop: Header=BB505_688 Depth=2
	s_or_b32 exec_lo, exec_lo, s34
	s_delay_alu instid0(SALU_CYCLE_1)
	s_mov_b32 s34, exec_lo
	v_cmpx_lt_u32_e64 v122, v147
	s_cbranch_execz .LBB505_842
.LBB505_811:                            ;   in Loop: Header=BB505_688 Depth=2
	global_load_b64 v[10:11], v[36:37], off offset:3072
	s_or_b32 exec_lo, exec_lo, s34
	s_delay_alu instid0(SALU_CYCLE_1)
	s_mov_b32 s34, exec_lo
	v_cmpx_lt_u32_e64 v123, v147
	s_cbranch_execnz .LBB505_843
.LBB505_812:                            ;   in Loop: Header=BB505_688 Depth=2
	s_or_b32 exec_lo, exec_lo, s34
	s_delay_alu instid0(SALU_CYCLE_1)
	s_mov_b32 s34, exec_lo
	v_cmpx_lt_u32_e64 v124, v147
	s_cbranch_execz .LBB505_844
.LBB505_813:                            ;   in Loop: Header=BB505_688 Depth=2
	global_load_b64 v[6:7], v[36:37], off offset:3584
	s_or_b32 exec_lo, exec_lo, s34
	s_delay_alu instid0(SALU_CYCLE_1)
	s_mov_b32 s34, exec_lo
	v_cmpx_lt_u32_e64 v125, v147
	s_cbranch_execnz .LBB505_845
.LBB505_814:                            ;   in Loop: Header=BB505_688 Depth=2
	s_or_b32 exec_lo, exec_lo, s34
	s_and_saveexec_b32 s33, vcc_lo
	s_cbranch_execz .LBB505_846
.LBB505_815:                            ;   in Loop: Header=BB505_688 Depth=2
	v_add_nc_u32_e32 v2, v70, v72
	ds_load_b32 v2, v2 offset:1024
	s_waitcnt lgkmcnt(0)
	v_lshrrev_b32_e32 v2, s57, v2
	s_delay_alu instid0(VALU_DEP_1)
	v_and_b32_e32 v146, s39, v2
	s_or_b32 exec_lo, exec_lo, s33
	s_and_saveexec_b32 s33, s16
	s_cbranch_execnz .LBB505_847
.LBB505_816:                            ;   in Loop: Header=BB505_688 Depth=2
	s_or_b32 exec_lo, exec_lo, s33
	s_and_saveexec_b32 s33, s17
	s_cbranch_execz .LBB505_848
.LBB505_817:                            ;   in Loop: Header=BB505_688 Depth=2
	ds_load_b32 v2, v78 offset:2048
	s_waitcnt lgkmcnt(0)
	v_lshrrev_b32_e32 v2, s57, v2
	s_delay_alu instid0(VALU_DEP_1)
	v_and_b32_e32 v144, s39, v2
	s_or_b32 exec_lo, exec_lo, s33
	s_and_saveexec_b32 s33, s18
	s_cbranch_execnz .LBB505_849
.LBB505_818:                            ;   in Loop: Header=BB505_688 Depth=2
	s_or_b32 exec_lo, exec_lo, s33
	s_and_saveexec_b32 s33, s19
	s_cbranch_execz .LBB505_850
.LBB505_819:                            ;   in Loop: Header=BB505_688 Depth=2
	ds_load_b32 v2, v78 offset:4096
	s_waitcnt lgkmcnt(0)
	v_lshrrev_b32_e32 v2, s57, v2
	s_delay_alu instid0(VALU_DEP_1)
	v_and_b32_e32 v142, s39, v2
	s_or_b32 exec_lo, exec_lo, s33
	s_and_saveexec_b32 s33, s20
	s_cbranch_execnz .LBB505_851
.LBB505_820:                            ;   in Loop: Header=BB505_688 Depth=2
	s_or_b32 exec_lo, exec_lo, s33
	s_and_saveexec_b32 s33, s21
	s_cbranch_execz .LBB505_852
.LBB505_821:                            ;   in Loop: Header=BB505_688 Depth=2
	ds_load_b32 v2, v78 offset:6144
	s_waitcnt lgkmcnt(0)
	v_lshrrev_b32_e32 v2, s57, v2
	s_delay_alu instid0(VALU_DEP_1)
	v_and_b32_e32 v140, s39, v2
	s_or_b32 exec_lo, exec_lo, s33
	s_and_saveexec_b32 s33, s22
	s_cbranch_execnz .LBB505_853
.LBB505_822:                            ;   in Loop: Header=BB505_688 Depth=2
	s_or_b32 exec_lo, exec_lo, s33
	s_and_saveexec_b32 s33, s23
	s_cbranch_execz .LBB505_854
.LBB505_823:                            ;   in Loop: Header=BB505_688 Depth=2
	ds_load_b32 v2, v78 offset:8192
	s_waitcnt lgkmcnt(0)
	v_lshrrev_b32_e32 v2, s57, v2
	s_delay_alu instid0(VALU_DEP_1)
	v_and_b32_e32 v138, s39, v2
	s_or_b32 exec_lo, exec_lo, s33
	s_and_saveexec_b32 s33, s24
	s_cbranch_execnz .LBB505_855
.LBB505_824:                            ;   in Loop: Header=BB505_688 Depth=2
	s_or_b32 exec_lo, exec_lo, s33
	s_and_saveexec_b32 s33, s25
	s_cbranch_execz .LBB505_856
.LBB505_825:                            ;   in Loop: Header=BB505_688 Depth=2
	ds_load_b32 v2, v78 offset:10240
	s_waitcnt lgkmcnt(0)
	v_lshrrev_b32_e32 v2, s57, v2
	s_delay_alu instid0(VALU_DEP_1)
	v_and_b32_e32 v136, s39, v2
	s_or_b32 exec_lo, exec_lo, s33
	s_and_saveexec_b32 s33, s27
	s_cbranch_execnz .LBB505_857
.LBB505_826:                            ;   in Loop: Header=BB505_688 Depth=2
	s_or_b32 exec_lo, exec_lo, s33
	s_and_saveexec_b32 s33, s28
	s_cbranch_execz .LBB505_858
.LBB505_827:                            ;   in Loop: Header=BB505_688 Depth=2
	ds_load_b32 v2, v78 offset:12288
	s_waitcnt lgkmcnt(0)
	v_lshrrev_b32_e32 v2, s57, v2
	s_delay_alu instid0(VALU_DEP_1)
	v_and_b32_e32 v134, s39, v2
	s_or_b32 exec_lo, exec_lo, s33
	s_and_saveexec_b32 s33, s29
	s_cbranch_execnz .LBB505_859
.LBB505_828:                            ;   in Loop: Header=BB505_688 Depth=2
	s_or_b32 exec_lo, exec_lo, s33
	s_and_saveexec_b32 s33, s30
	s_cbranch_execz .LBB505_860
.LBB505_829:                            ;   in Loop: Header=BB505_688 Depth=2
	ds_load_b32 v2, v78 offset:14336
	s_waitcnt lgkmcnt(0)
	v_lshrrev_b32_e32 v2, s57, v2
	s_delay_alu instid0(VALU_DEP_1)
	v_and_b32_e32 v132, s39, v2
	s_or_b32 exec_lo, exec_lo, s33
	s_and_saveexec_b32 s33, s31
	s_cbranch_execnz .LBB505_861
	s_branch .LBB505_862
.LBB505_830:                            ;   in Loop: Header=BB505_688 Depth=2
	s_or_b32 exec_lo, exec_lo, s33
	s_delay_alu instid0(SALU_CYCLE_1)
	s_mov_b32 s34, exec_lo
	v_cmpx_lt_u32_e64 v111, v147
	s_cbranch_execz .LBB505_800
.LBB505_831:                            ;   in Loop: Header=BB505_688 Depth=2
	global_load_b64 v[32:33], v[36:37], off offset:256
	s_or_b32 exec_lo, exec_lo, s34
	s_delay_alu instid0(SALU_CYCLE_1)
	s_mov_b32 s34, exec_lo
	v_cmpx_lt_u32_e64 v112, v147
	s_cbranch_execnz .LBB505_801
.LBB505_832:                            ;   in Loop: Header=BB505_688 Depth=2
	s_or_b32 exec_lo, exec_lo, s34
	s_delay_alu instid0(SALU_CYCLE_1)
	s_mov_b32 s34, exec_lo
	v_cmpx_lt_u32_e64 v113, v147
	s_cbranch_execz .LBB505_802
.LBB505_833:                            ;   in Loop: Header=BB505_688 Depth=2
	global_load_b64 v[28:29], v[36:37], off offset:768
	s_or_b32 exec_lo, exec_lo, s34
	s_delay_alu instid0(SALU_CYCLE_1)
	s_mov_b32 s34, exec_lo
	v_cmpx_lt_u32_e64 v114, v147
	s_cbranch_execnz .LBB505_803
.LBB505_834:                            ;   in Loop: Header=BB505_688 Depth=2
	s_or_b32 exec_lo, exec_lo, s34
	s_delay_alu instid0(SALU_CYCLE_1)
	s_mov_b32 s34, exec_lo
	v_cmpx_lt_u32_e64 v115, v147
	s_cbranch_execz .LBB505_804
.LBB505_835:                            ;   in Loop: Header=BB505_688 Depth=2
	global_load_b64 v[24:25], v[36:37], off offset:1280
	s_or_b32 exec_lo, exec_lo, s34
	s_delay_alu instid0(SALU_CYCLE_1)
	s_mov_b32 s34, exec_lo
	v_cmpx_lt_u32_e64 v116, v147
	s_cbranch_execnz .LBB505_805
.LBB505_836:                            ;   in Loop: Header=BB505_688 Depth=2
	s_or_b32 exec_lo, exec_lo, s34
	s_delay_alu instid0(SALU_CYCLE_1)
	s_mov_b32 s34, exec_lo
	v_cmpx_lt_u32_e64 v117, v147
	s_cbranch_execz .LBB505_806
.LBB505_837:                            ;   in Loop: Header=BB505_688 Depth=2
	global_load_b64 v[20:21], v[36:37], off offset:1792
	s_or_b32 exec_lo, exec_lo, s34
	s_delay_alu instid0(SALU_CYCLE_1)
	s_mov_b32 s34, exec_lo
	v_cmpx_lt_u32_e64 v118, v147
	s_cbranch_execnz .LBB505_807
.LBB505_838:                            ;   in Loop: Header=BB505_688 Depth=2
	s_or_b32 exec_lo, exec_lo, s34
	s_delay_alu instid0(SALU_CYCLE_1)
	s_mov_b32 s34, exec_lo
	v_cmpx_lt_u32_e64 v119, v147
	s_cbranch_execz .LBB505_808
.LBB505_839:                            ;   in Loop: Header=BB505_688 Depth=2
	global_load_b64 v[16:17], v[36:37], off offset:2304
	s_or_b32 exec_lo, exec_lo, s34
	s_delay_alu instid0(SALU_CYCLE_1)
	s_mov_b32 s34, exec_lo
	v_cmpx_lt_u32_e64 v120, v147
	s_cbranch_execnz .LBB505_809
.LBB505_840:                            ;   in Loop: Header=BB505_688 Depth=2
	s_or_b32 exec_lo, exec_lo, s34
	s_delay_alu instid0(SALU_CYCLE_1)
	s_mov_b32 s34, exec_lo
	v_cmpx_lt_u32_e64 v121, v147
	s_cbranch_execz .LBB505_810
.LBB505_841:                            ;   in Loop: Header=BB505_688 Depth=2
	global_load_b64 v[12:13], v[36:37], off offset:2816
	s_or_b32 exec_lo, exec_lo, s34
	s_delay_alu instid0(SALU_CYCLE_1)
	s_mov_b32 s34, exec_lo
	v_cmpx_lt_u32_e64 v122, v147
	s_cbranch_execnz .LBB505_811
.LBB505_842:                            ;   in Loop: Header=BB505_688 Depth=2
	s_or_b32 exec_lo, exec_lo, s34
	s_delay_alu instid0(SALU_CYCLE_1)
	s_mov_b32 s34, exec_lo
	v_cmpx_lt_u32_e64 v123, v147
	s_cbranch_execz .LBB505_812
.LBB505_843:                            ;   in Loop: Header=BB505_688 Depth=2
	global_load_b64 v[8:9], v[36:37], off offset:3328
	s_or_b32 exec_lo, exec_lo, s34
	s_delay_alu instid0(SALU_CYCLE_1)
	s_mov_b32 s34, exec_lo
	v_cmpx_lt_u32_e64 v124, v147
	s_cbranch_execnz .LBB505_813
.LBB505_844:                            ;   in Loop: Header=BB505_688 Depth=2
	s_or_b32 exec_lo, exec_lo, s34
	s_delay_alu instid0(SALU_CYCLE_1)
	s_mov_b32 s34, exec_lo
	v_cmpx_lt_u32_e64 v125, v147
	s_cbranch_execz .LBB505_814
.LBB505_845:                            ;   in Loop: Header=BB505_688 Depth=2
	global_load_b64 v[4:5], v[36:37], off offset:3840
	s_or_b32 exec_lo, exec_lo, s34
	s_and_saveexec_b32 s33, vcc_lo
	s_cbranch_execnz .LBB505_815
.LBB505_846:                            ;   in Loop: Header=BB505_688 Depth=2
	s_or_b32 exec_lo, exec_lo, s33
	s_and_saveexec_b32 s33, s16
	s_cbranch_execz .LBB505_816
.LBB505_847:                            ;   in Loop: Header=BB505_688 Depth=2
	ds_load_b32 v2, v78 offset:1024
	s_waitcnt lgkmcnt(0)
	v_lshrrev_b32_e32 v2, s57, v2
	s_delay_alu instid0(VALU_DEP_1)
	v_and_b32_e32 v145, s39, v2
	s_or_b32 exec_lo, exec_lo, s33
	s_and_saveexec_b32 s33, s17
	s_cbranch_execnz .LBB505_817
.LBB505_848:                            ;   in Loop: Header=BB505_688 Depth=2
	s_or_b32 exec_lo, exec_lo, s33
	s_and_saveexec_b32 s33, s18
	s_cbranch_execz .LBB505_818
.LBB505_849:                            ;   in Loop: Header=BB505_688 Depth=2
	ds_load_b32 v2, v78 offset:3072
	s_waitcnt lgkmcnt(0)
	v_lshrrev_b32_e32 v2, s57, v2
	s_delay_alu instid0(VALU_DEP_1)
	v_and_b32_e32 v143, s39, v2
	s_or_b32 exec_lo, exec_lo, s33
	s_and_saveexec_b32 s33, s19
	s_cbranch_execnz .LBB505_819
.LBB505_850:                            ;   in Loop: Header=BB505_688 Depth=2
	s_or_b32 exec_lo, exec_lo, s33
	s_and_saveexec_b32 s33, s20
	s_cbranch_execz .LBB505_820
.LBB505_851:                            ;   in Loop: Header=BB505_688 Depth=2
	ds_load_b32 v2, v78 offset:5120
	s_waitcnt lgkmcnt(0)
	v_lshrrev_b32_e32 v2, s57, v2
	s_delay_alu instid0(VALU_DEP_1)
	v_and_b32_e32 v141, s39, v2
	s_or_b32 exec_lo, exec_lo, s33
	s_and_saveexec_b32 s33, s21
	s_cbranch_execnz .LBB505_821
.LBB505_852:                            ;   in Loop: Header=BB505_688 Depth=2
	s_or_b32 exec_lo, exec_lo, s33
	s_and_saveexec_b32 s33, s22
	s_cbranch_execz .LBB505_822
.LBB505_853:                            ;   in Loop: Header=BB505_688 Depth=2
	ds_load_b32 v2, v78 offset:7168
	s_waitcnt lgkmcnt(0)
	v_lshrrev_b32_e32 v2, s57, v2
	s_delay_alu instid0(VALU_DEP_1)
	v_and_b32_e32 v139, s39, v2
	s_or_b32 exec_lo, exec_lo, s33
	s_and_saveexec_b32 s33, s23
	s_cbranch_execnz .LBB505_823
.LBB505_854:                            ;   in Loop: Header=BB505_688 Depth=2
	s_or_b32 exec_lo, exec_lo, s33
	s_and_saveexec_b32 s33, s24
	s_cbranch_execz .LBB505_824
.LBB505_855:                            ;   in Loop: Header=BB505_688 Depth=2
	ds_load_b32 v2, v78 offset:9216
	s_waitcnt lgkmcnt(0)
	v_lshrrev_b32_e32 v2, s57, v2
	s_delay_alu instid0(VALU_DEP_1)
	v_and_b32_e32 v137, s39, v2
	s_or_b32 exec_lo, exec_lo, s33
	s_and_saveexec_b32 s33, s25
	s_cbranch_execnz .LBB505_825
.LBB505_856:                            ;   in Loop: Header=BB505_688 Depth=2
	s_or_b32 exec_lo, exec_lo, s33
	s_and_saveexec_b32 s33, s27
	s_cbranch_execz .LBB505_826
.LBB505_857:                            ;   in Loop: Header=BB505_688 Depth=2
	ds_load_b32 v2, v78 offset:11264
	s_waitcnt lgkmcnt(0)
	v_lshrrev_b32_e32 v2, s57, v2
	s_delay_alu instid0(VALU_DEP_1)
	v_and_b32_e32 v135, s39, v2
	s_or_b32 exec_lo, exec_lo, s33
	s_and_saveexec_b32 s33, s28
	s_cbranch_execnz .LBB505_827
.LBB505_858:                            ;   in Loop: Header=BB505_688 Depth=2
	s_or_b32 exec_lo, exec_lo, s33
	s_and_saveexec_b32 s33, s29
	s_cbranch_execz .LBB505_828
.LBB505_859:                            ;   in Loop: Header=BB505_688 Depth=2
	ds_load_b32 v2, v78 offset:13312
	s_waitcnt lgkmcnt(0)
	v_lshrrev_b32_e32 v2, s57, v2
	s_delay_alu instid0(VALU_DEP_1)
	v_and_b32_e32 v133, s39, v2
	s_or_b32 exec_lo, exec_lo, s33
	s_and_saveexec_b32 s33, s30
	s_cbranch_execnz .LBB505_829
.LBB505_860:                            ;   in Loop: Header=BB505_688 Depth=2
	s_or_b32 exec_lo, exec_lo, s33
	s_and_saveexec_b32 s33, s31
	s_cbranch_execz .LBB505_862
.LBB505_861:                            ;   in Loop: Header=BB505_688 Depth=2
	ds_load_b32 v2, v78 offset:15360
	s_waitcnt lgkmcnt(0)
	v_lshrrev_b32_e32 v2, s57, v2
	s_delay_alu instid0(VALU_DEP_1)
	v_and_b32_e32 v131, s39, v2
.LBB505_862:                            ;   in Loop: Header=BB505_688 Depth=2
	s_or_b32 exec_lo, exec_lo, s33
	v_lshlrev_b32_e32 v2, 3, v170
	v_lshlrev_b32_e32 v36, 3, v166
	s_waitcnt vmcnt(0)
	s_waitcnt_vscnt null, 0x0
	s_barrier
	buffer_gl0_inv
	ds_store_b64 v2, v[34:35] offset:1024
	v_lshlrev_b32_e32 v2, 3, v162
	v_lshlrev_b32_e32 v37, 3, v158
	;; [unrolled: 1-line block ×4, first 2 shown]
	ds_store_b64 v36, v[32:33] offset:1024
	ds_store_b64 v2, v[30:31] offset:1024
	;; [unrolled: 1-line block ×5, first 2 shown]
	v_lshlrev_b32_e32 v2, 3, v154
	v_lshlrev_b32_e32 v36, 3, v153
	;; [unrolled: 1-line block ×5, first 2 shown]
	ds_store_b64 v2, v[22:23] offset:1024
	ds_store_b64 v36, v[20:21] offset:1024
	;; [unrolled: 1-line block ×5, first 2 shown]
	v_lshlrev_b32_e32 v2, 3, v40
	v_lshlrev_b32_e32 v36, 3, v39
	;; [unrolled: 1-line block ×5, first 2 shown]
	ds_store_b64 v2, v[12:13] offset:1024
	ds_store_b64 v36, v[10:11] offset:1024
	;; [unrolled: 1-line block ×5, first 2 shown]
	s_waitcnt lgkmcnt(0)
	s_barrier
	buffer_gl0_inv
	s_and_saveexec_b32 s33, vcc_lo
	s_cbranch_execz .LBB505_878
; %bb.863:                              ;   in Loop: Header=BB505_688 Depth=2
	v_lshlrev_b32_e32 v2, 2, v146
	ds_load_b32 v2, v2
	ds_load_b64 v[36:37], v79 offset:1024
	s_waitcnt lgkmcnt(1)
	v_add_nc_u32_e32 v2, v2, v1
	s_delay_alu instid0(VALU_DEP_1) | instskip(NEXT) | instid1(VALU_DEP_1)
	v_lshlrev_b64 v[39:40], 3, v[2:3]
	v_add_co_u32 v39, vcc_lo, s52, v39
	s_delay_alu instid0(VALU_DEP_2)
	v_add_co_ci_u32_e32 v40, vcc_lo, s53, v40, vcc_lo
	s_waitcnt lgkmcnt(0)
	global_store_b64 v[39:40], v[36:37], off
	s_or_b32 exec_lo, exec_lo, s33
	s_and_saveexec_b32 s33, s16
	s_cbranch_execnz .LBB505_879
.LBB505_864:                            ;   in Loop: Header=BB505_688 Depth=2
	s_or_b32 exec_lo, exec_lo, s33
	s_and_saveexec_b32 s16, s17
	s_cbranch_execz .LBB505_880
.LBB505_865:                            ;   in Loop: Header=BB505_688 Depth=2
	v_lshlrev_b32_e32 v2, 2, v144
	v_add_nc_u32_e32 v36, v78, v44
	ds_load_b32 v2, v2
	ds_load_b64 v[36:37], v36 offset:4096
	s_waitcnt lgkmcnt(1)
	v_add_nc_u32_e32 v2, v2, v46
	s_delay_alu instid0(VALU_DEP_1) | instskip(NEXT) | instid1(VALU_DEP_1)
	v_lshlrev_b64 v[39:40], 3, v[2:3]
	v_add_co_u32 v39, vcc_lo, s52, v39
	s_delay_alu instid0(VALU_DEP_2)
	v_add_co_ci_u32_e32 v40, vcc_lo, s53, v40, vcc_lo
	s_waitcnt lgkmcnt(0)
	global_store_b64 v[39:40], v[36:37], off
	s_or_b32 exec_lo, exec_lo, s16
	s_and_saveexec_b32 s16, s18
	s_cbranch_execnz .LBB505_881
.LBB505_866:                            ;   in Loop: Header=BB505_688 Depth=2
	s_or_b32 exec_lo, exec_lo, s16
	s_and_saveexec_b32 s16, s19
	s_cbranch_execz .LBB505_882
.LBB505_867:                            ;   in Loop: Header=BB505_688 Depth=2
	v_lshlrev_b32_e32 v2, 2, v142
	v_add_nc_u32_e32 v36, v78, v44
	ds_load_b32 v2, v2
	ds_load_b64 v[36:37], v36 offset:8192
	s_waitcnt lgkmcnt(1)
	v_add_nc_u32_e32 v2, v2, v51
	s_delay_alu instid0(VALU_DEP_1) | instskip(NEXT) | instid1(VALU_DEP_1)
	v_lshlrev_b64 v[39:40], 3, v[2:3]
	v_add_co_u32 v39, vcc_lo, s52, v39
	s_delay_alu instid0(VALU_DEP_2)
	v_add_co_ci_u32_e32 v40, vcc_lo, s53, v40, vcc_lo
	s_waitcnt lgkmcnt(0)
	global_store_b64 v[39:40], v[36:37], off
	s_or_b32 exec_lo, exec_lo, s16
	s_and_saveexec_b32 s16, s20
	s_cbranch_execnz .LBB505_883
.LBB505_868:                            ;   in Loop: Header=BB505_688 Depth=2
	s_or_b32 exec_lo, exec_lo, s16
	s_and_saveexec_b32 s16, s21
	s_cbranch_execz .LBB505_884
.LBB505_869:                            ;   in Loop: Header=BB505_688 Depth=2
	v_lshlrev_b32_e32 v2, 2, v140
	v_add_nc_u32_e32 v36, v78, v44
	ds_load_b32 v2, v2
	ds_load_b64 v[36:37], v36 offset:12288
	s_waitcnt lgkmcnt(1)
	v_add_nc_u32_e32 v2, v2, v53
	s_delay_alu instid0(VALU_DEP_1) | instskip(NEXT) | instid1(VALU_DEP_1)
	v_lshlrev_b64 v[39:40], 3, v[2:3]
	v_add_co_u32 v39, vcc_lo, s52, v39
	s_delay_alu instid0(VALU_DEP_2)
	v_add_co_ci_u32_e32 v40, vcc_lo, s53, v40, vcc_lo
	s_waitcnt lgkmcnt(0)
	global_store_b64 v[39:40], v[36:37], off
	s_or_b32 exec_lo, exec_lo, s16
	s_and_saveexec_b32 s16, s22
	s_cbranch_execnz .LBB505_885
.LBB505_870:                            ;   in Loop: Header=BB505_688 Depth=2
	s_or_b32 exec_lo, exec_lo, s16
	s_and_saveexec_b32 s16, s23
	s_cbranch_execz .LBB505_886
.LBB505_871:                            ;   in Loop: Header=BB505_688 Depth=2
	v_lshlrev_b32_e32 v2, 2, v138
	v_add_nc_u32_e32 v36, v78, v44
	ds_load_b32 v2, v2
	ds_load_b64 v[36:37], v36 offset:16384
	s_waitcnt lgkmcnt(1)
	v_add_nc_u32_e32 v2, v2, v55
	s_delay_alu instid0(VALU_DEP_1) | instskip(NEXT) | instid1(VALU_DEP_1)
	v_lshlrev_b64 v[39:40], 3, v[2:3]
	v_add_co_u32 v39, vcc_lo, s52, v39
	s_delay_alu instid0(VALU_DEP_2)
	v_add_co_ci_u32_e32 v40, vcc_lo, s53, v40, vcc_lo
	s_waitcnt lgkmcnt(0)
	global_store_b64 v[39:40], v[36:37], off
	s_or_b32 exec_lo, exec_lo, s16
	s_and_saveexec_b32 s16, s24
	s_cbranch_execnz .LBB505_887
.LBB505_872:                            ;   in Loop: Header=BB505_688 Depth=2
	s_or_b32 exec_lo, exec_lo, s16
	s_and_saveexec_b32 s16, s25
	s_cbranch_execz .LBB505_888
.LBB505_873:                            ;   in Loop: Header=BB505_688 Depth=2
	v_lshlrev_b32_e32 v2, 2, v136
	v_add_nc_u32_e32 v36, v78, v44
	ds_load_b32 v2, v2
	ds_load_b64 v[36:37], v36 offset:20480
	s_waitcnt lgkmcnt(1)
	v_add_nc_u32_e32 v2, v2, v57
	s_delay_alu instid0(VALU_DEP_1) | instskip(NEXT) | instid1(VALU_DEP_1)
	v_lshlrev_b64 v[39:40], 3, v[2:3]
	v_add_co_u32 v39, vcc_lo, s52, v39
	s_delay_alu instid0(VALU_DEP_2)
	v_add_co_ci_u32_e32 v40, vcc_lo, s53, v40, vcc_lo
	s_waitcnt lgkmcnt(0)
	global_store_b64 v[39:40], v[36:37], off
	s_or_b32 exec_lo, exec_lo, s16
	s_and_saveexec_b32 s16, s27
	s_cbranch_execnz .LBB505_889
.LBB505_874:                            ;   in Loop: Header=BB505_688 Depth=2
	s_or_b32 exec_lo, exec_lo, s16
	s_and_saveexec_b32 s16, s28
	s_cbranch_execz .LBB505_890
.LBB505_875:                            ;   in Loop: Header=BB505_688 Depth=2
	v_lshlrev_b32_e32 v2, 2, v134
	v_add_nc_u32_e32 v36, v78, v44
	ds_load_b32 v2, v2
	ds_load_b64 v[36:37], v36 offset:24576
	s_waitcnt lgkmcnt(1)
	v_add_nc_u32_e32 v2, v2, v59
	s_delay_alu instid0(VALU_DEP_1) | instskip(NEXT) | instid1(VALU_DEP_1)
	v_lshlrev_b64 v[39:40], 3, v[2:3]
	v_add_co_u32 v39, vcc_lo, s52, v39
	s_delay_alu instid0(VALU_DEP_2)
	v_add_co_ci_u32_e32 v40, vcc_lo, s53, v40, vcc_lo
	s_waitcnt lgkmcnt(0)
	global_store_b64 v[39:40], v[36:37], off
	s_or_b32 exec_lo, exec_lo, s16
	s_and_saveexec_b32 s16, s29
	s_cbranch_execnz .LBB505_891
.LBB505_876:                            ;   in Loop: Header=BB505_688 Depth=2
	s_or_b32 exec_lo, exec_lo, s16
	s_and_saveexec_b32 s16, s30
	s_cbranch_execz .LBB505_892
.LBB505_877:                            ;   in Loop: Header=BB505_688 Depth=2
	v_lshlrev_b32_e32 v2, 2, v132
	v_add_nc_u32_e32 v36, v78, v44
	ds_load_b32 v2, v2
	ds_load_b64 v[36:37], v36 offset:28672
	s_waitcnt lgkmcnt(1)
	v_add_nc_u32_e32 v2, v2, v61
	s_delay_alu instid0(VALU_DEP_1) | instskip(NEXT) | instid1(VALU_DEP_1)
	v_lshlrev_b64 v[39:40], 3, v[2:3]
	v_add_co_u32 v39, vcc_lo, s52, v39
	s_delay_alu instid0(VALU_DEP_2)
	v_add_co_ci_u32_e32 v40, vcc_lo, s53, v40, vcc_lo
	s_waitcnt lgkmcnt(0)
	global_store_b64 v[39:40], v[36:37], off
	s_or_b32 exec_lo, exec_lo, s16
	s_and_saveexec_b32 s16, s31
	s_cbranch_execnz .LBB505_893
	s_branch .LBB505_894
.LBB505_878:                            ;   in Loop: Header=BB505_688 Depth=2
	s_or_b32 exec_lo, exec_lo, s33
	s_and_saveexec_b32 s33, s16
	s_cbranch_execz .LBB505_864
.LBB505_879:                            ;   in Loop: Header=BB505_688 Depth=2
	v_lshlrev_b32_e32 v2, 2, v145
	v_add_nc_u32_e32 v36, v78, v44
	ds_load_b32 v2, v2
	ds_load_b64 v[36:37], v36 offset:2048
	s_waitcnt lgkmcnt(1)
	v_add_nc_u32_e32 v2, v2, v45
	s_delay_alu instid0(VALU_DEP_1) | instskip(NEXT) | instid1(VALU_DEP_1)
	v_lshlrev_b64 v[39:40], 3, v[2:3]
	v_add_co_u32 v39, vcc_lo, s52, v39
	s_delay_alu instid0(VALU_DEP_2)
	v_add_co_ci_u32_e32 v40, vcc_lo, s53, v40, vcc_lo
	s_waitcnt lgkmcnt(0)
	global_store_b64 v[39:40], v[36:37], off
	s_or_b32 exec_lo, exec_lo, s33
	s_and_saveexec_b32 s16, s17
	s_cbranch_execnz .LBB505_865
.LBB505_880:                            ;   in Loop: Header=BB505_688 Depth=2
	s_or_b32 exec_lo, exec_lo, s16
	s_and_saveexec_b32 s16, s18
	s_cbranch_execz .LBB505_866
.LBB505_881:                            ;   in Loop: Header=BB505_688 Depth=2
	v_lshlrev_b32_e32 v2, 2, v143
	v_add_nc_u32_e32 v36, v78, v44
	ds_load_b32 v2, v2
	ds_load_b64 v[36:37], v36 offset:6144
	s_waitcnt lgkmcnt(1)
	v_add_nc_u32_e32 v2, v2, v47
	s_delay_alu instid0(VALU_DEP_1) | instskip(NEXT) | instid1(VALU_DEP_1)
	v_lshlrev_b64 v[39:40], 3, v[2:3]
	v_add_co_u32 v39, vcc_lo, s52, v39
	s_delay_alu instid0(VALU_DEP_2)
	v_add_co_ci_u32_e32 v40, vcc_lo, s53, v40, vcc_lo
	s_waitcnt lgkmcnt(0)
	global_store_b64 v[39:40], v[36:37], off
	s_or_b32 exec_lo, exec_lo, s16
	s_and_saveexec_b32 s16, s19
	s_cbranch_execnz .LBB505_867
.LBB505_882:                            ;   in Loop: Header=BB505_688 Depth=2
	s_or_b32 exec_lo, exec_lo, s16
	s_and_saveexec_b32 s16, s20
	s_cbranch_execz .LBB505_868
.LBB505_883:                            ;   in Loop: Header=BB505_688 Depth=2
	v_lshlrev_b32_e32 v2, 2, v141
	v_add_nc_u32_e32 v36, v78, v44
	ds_load_b32 v2, v2
	ds_load_b64 v[36:37], v36 offset:10240
	s_waitcnt lgkmcnt(1)
	v_add_nc_u32_e32 v2, v2, v52
	s_delay_alu instid0(VALU_DEP_1) | instskip(NEXT) | instid1(VALU_DEP_1)
	v_lshlrev_b64 v[39:40], 3, v[2:3]
	v_add_co_u32 v39, vcc_lo, s52, v39
	s_delay_alu instid0(VALU_DEP_2)
	v_add_co_ci_u32_e32 v40, vcc_lo, s53, v40, vcc_lo
	s_waitcnt lgkmcnt(0)
	global_store_b64 v[39:40], v[36:37], off
	s_or_b32 exec_lo, exec_lo, s16
	s_and_saveexec_b32 s16, s21
	s_cbranch_execnz .LBB505_869
.LBB505_884:                            ;   in Loop: Header=BB505_688 Depth=2
	s_or_b32 exec_lo, exec_lo, s16
	s_and_saveexec_b32 s16, s22
	s_cbranch_execz .LBB505_870
.LBB505_885:                            ;   in Loop: Header=BB505_688 Depth=2
	v_lshlrev_b32_e32 v2, 2, v139
	v_add_nc_u32_e32 v36, v78, v44
	ds_load_b32 v2, v2
	ds_load_b64 v[36:37], v36 offset:14336
	s_waitcnt lgkmcnt(1)
	v_add_nc_u32_e32 v2, v2, v54
	s_delay_alu instid0(VALU_DEP_1) | instskip(NEXT) | instid1(VALU_DEP_1)
	v_lshlrev_b64 v[39:40], 3, v[2:3]
	v_add_co_u32 v39, vcc_lo, s52, v39
	s_delay_alu instid0(VALU_DEP_2)
	v_add_co_ci_u32_e32 v40, vcc_lo, s53, v40, vcc_lo
	s_waitcnt lgkmcnt(0)
	global_store_b64 v[39:40], v[36:37], off
	s_or_b32 exec_lo, exec_lo, s16
	s_and_saveexec_b32 s16, s23
	s_cbranch_execnz .LBB505_871
.LBB505_886:                            ;   in Loop: Header=BB505_688 Depth=2
	s_or_b32 exec_lo, exec_lo, s16
	s_and_saveexec_b32 s16, s24
	s_cbranch_execz .LBB505_872
.LBB505_887:                            ;   in Loop: Header=BB505_688 Depth=2
	v_lshlrev_b32_e32 v2, 2, v137
	v_add_nc_u32_e32 v36, v78, v44
	ds_load_b32 v2, v2
	ds_load_b64 v[36:37], v36 offset:18432
	s_waitcnt lgkmcnt(1)
	v_add_nc_u32_e32 v2, v2, v56
	s_delay_alu instid0(VALU_DEP_1) | instskip(NEXT) | instid1(VALU_DEP_1)
	v_lshlrev_b64 v[39:40], 3, v[2:3]
	v_add_co_u32 v39, vcc_lo, s52, v39
	s_delay_alu instid0(VALU_DEP_2)
	v_add_co_ci_u32_e32 v40, vcc_lo, s53, v40, vcc_lo
	s_waitcnt lgkmcnt(0)
	global_store_b64 v[39:40], v[36:37], off
	s_or_b32 exec_lo, exec_lo, s16
	s_and_saveexec_b32 s16, s25
	s_cbranch_execnz .LBB505_873
.LBB505_888:                            ;   in Loop: Header=BB505_688 Depth=2
	s_or_b32 exec_lo, exec_lo, s16
	s_and_saveexec_b32 s16, s27
	s_cbranch_execz .LBB505_874
.LBB505_889:                            ;   in Loop: Header=BB505_688 Depth=2
	v_lshlrev_b32_e32 v2, 2, v135
	v_add_nc_u32_e32 v36, v78, v44
	ds_load_b32 v2, v2
	ds_load_b64 v[36:37], v36 offset:22528
	s_waitcnt lgkmcnt(1)
	v_add_nc_u32_e32 v2, v2, v58
	s_delay_alu instid0(VALU_DEP_1) | instskip(NEXT) | instid1(VALU_DEP_1)
	v_lshlrev_b64 v[39:40], 3, v[2:3]
	v_add_co_u32 v39, vcc_lo, s52, v39
	s_delay_alu instid0(VALU_DEP_2)
	v_add_co_ci_u32_e32 v40, vcc_lo, s53, v40, vcc_lo
	s_waitcnt lgkmcnt(0)
	global_store_b64 v[39:40], v[36:37], off
	s_or_b32 exec_lo, exec_lo, s16
	s_and_saveexec_b32 s16, s28
	s_cbranch_execnz .LBB505_875
.LBB505_890:                            ;   in Loop: Header=BB505_688 Depth=2
	s_or_b32 exec_lo, exec_lo, s16
	s_and_saveexec_b32 s16, s29
	s_cbranch_execz .LBB505_876
.LBB505_891:                            ;   in Loop: Header=BB505_688 Depth=2
	v_lshlrev_b32_e32 v2, 2, v133
	v_add_nc_u32_e32 v36, v78, v44
	ds_load_b32 v2, v2
	ds_load_b64 v[36:37], v36 offset:26624
	s_waitcnt lgkmcnt(1)
	v_add_nc_u32_e32 v2, v2, v60
	s_delay_alu instid0(VALU_DEP_1) | instskip(NEXT) | instid1(VALU_DEP_1)
	v_lshlrev_b64 v[39:40], 3, v[2:3]
	v_add_co_u32 v39, vcc_lo, s52, v39
	s_delay_alu instid0(VALU_DEP_2)
	v_add_co_ci_u32_e32 v40, vcc_lo, s53, v40, vcc_lo
	s_waitcnt lgkmcnt(0)
	global_store_b64 v[39:40], v[36:37], off
	s_or_b32 exec_lo, exec_lo, s16
	s_and_saveexec_b32 s16, s30
	s_cbranch_execnz .LBB505_877
.LBB505_892:                            ;   in Loop: Header=BB505_688 Depth=2
	s_or_b32 exec_lo, exec_lo, s16
	s_and_saveexec_b32 s16, s31
	s_cbranch_execz .LBB505_894
.LBB505_893:                            ;   in Loop: Header=BB505_688 Depth=2
	v_lshlrev_b32_e32 v2, 2, v131
	v_add_nc_u32_e32 v36, v78, v44
	ds_load_b32 v2, v2
	ds_load_b64 v[36:37], v36 offset:30720
	s_waitcnt lgkmcnt(1)
	v_add_nc_u32_e32 v2, v2, v63
	s_delay_alu instid0(VALU_DEP_1) | instskip(NEXT) | instid1(VALU_DEP_1)
	v_lshlrev_b64 v[39:40], 3, v[2:3]
	v_add_co_u32 v39, vcc_lo, s52, v39
	s_delay_alu instid0(VALU_DEP_2)
	v_add_co_ci_u32_e32 v40, vcc_lo, s53, v40, vcc_lo
	s_waitcnt lgkmcnt(0)
	global_store_b64 v[39:40], v[36:37], off
.LBB505_894:                            ;   in Loop: Header=BB505_688 Depth=2
	s_or_b32 exec_lo, exec_lo, s16
	s_waitcnt_vscnt null, 0x0
	s_barrier
	buffer_gl0_inv
	s_and_saveexec_b32 s16, s2
	s_cbranch_execz .LBB505_687
; %bb.895:                              ;   in Loop: Header=BB505_688 Depth=2
	ds_load_b32 v2, v44
	s_waitcnt lgkmcnt(0)
	v_add_nc_u32_e32 v2, v2, v38
	ds_store_b32 v44, v2
	s_branch .LBB505_687
.LBB505_896:                            ;   in Loop: Header=BB505_12 Depth=1
	s_waitcnt lgkmcnt(0)
	s_mov_b32 s0, 0
	s_barrier
.LBB505_897:                            ;   in Loop: Header=BB505_12 Depth=1
	s_and_b32 vcc_lo, exec_lo, s0
	s_cbranch_vccz .LBB505_11
; %bb.898:                              ;   in Loop: Header=BB505_12 Depth=1
	s_mov_b32 s8, s62
	s_mov_b32 s34, s60
	s_barrier
	buffer_gl0_inv
                                        ; implicit-def: $vgpr20
                                        ; implicit-def: $vgpr2
                                        ; implicit-def: $vgpr6
                                        ; implicit-def: $vgpr7
                                        ; implicit-def: $vgpr8
                                        ; implicit-def: $vgpr9
                                        ; implicit-def: $vgpr10
                                        ; implicit-def: $vgpr11
                                        ; implicit-def: $vgpr12
                                        ; implicit-def: $vgpr13
                                        ; implicit-def: $vgpr14
                                        ; implicit-def: $vgpr15
                                        ; implicit-def: $vgpr16
                                        ; implicit-def: $vgpr17
                                        ; implicit-def: $vgpr18
                                        ; implicit-def: $vgpr19
	s_branch .LBB505_900
.LBB505_899:                            ;   in Loop: Header=BB505_900 Depth=2
	s_or_b32 exec_lo, exec_lo, s0
	s_addk_i32 s8, 0xf000
	s_cmp_ge_u32 s9, s61
	s_mov_b32 s34, s9
	s_cbranch_scc1 .LBB505_970
.LBB505_900:                            ;   Parent Loop BB505_12 Depth=1
                                        ; =>  This Inner Loop Header: Depth=2
	s_add_i32 s9, s34, 0x1000
	s_delay_alu instid0(SALU_CYCLE_1)
	s_cmp_gt_u32 s9, s61
	s_cbranch_scc1 .LBB505_903
; %bb.901:                              ;   in Loop: Header=BB505_900 Depth=2
	s_mov_b32 s1, 0
	s_mov_b32 s0, s34
	s_delay_alu instid0(SALU_CYCLE_1) | instskip(NEXT) | instid1(SALU_CYCLE_1)
	s_lshl_b64 s[10:11], s[0:1], 2
	v_add_co_u32 v4, vcc_lo, v86, s10
	v_add_co_ci_u32_e32 v5, vcc_lo, s11, v87, vcc_lo
	s_movk_i32 s11, 0x1000
	s_waitcnt vmcnt(1)
	s_delay_alu instid0(VALU_DEP_2) | instskip(NEXT) | instid1(VALU_DEP_2)
	v_add_co_u32 v29, vcc_lo, 0x1000, v4
	v_add_co_ci_u32_e32 v30, vcc_lo, 0, v5, vcc_lo
	s_waitcnt vmcnt(0)
	v_add_co_u32 v36, vcc_lo, v4, 0x2000
	v_add_co_ci_u32_e32 v37, vcc_lo, 0, v5, vcc_lo
	v_add_co_u32 v33, vcc_lo, 0x2000, v4
	v_add_co_ci_u32_e32 v34, vcc_lo, 0, v5, vcc_lo
	v_add_co_u32 v38, vcc_lo, 0x3000, v4
	global_load_b32 v26, v[36:37], off
	v_add_co_ci_u32_e32 v39, vcc_lo, 0, v5, vcc_lo
	s_clause 0xd
	global_load_b32 v22, v[4:5], off
	global_load_b32 v23, v[4:5], off offset:1024
	global_load_b32 v24, v[4:5], off offset:2048
	global_load_b32 v25, v[4:5], off offset:3072
	global_load_b32 v27, v[29:30], off offset:1024
	global_load_b32 v28, v[29:30], off offset:2048
	global_load_b32 v30, v[29:30], off offset:3072
	global_load_b32 v31, v[33:34], off offset:1024
	global_load_b32 v32, v[33:34], off offset:2048
	global_load_b32 v33, v[33:34], off offset:3072
	global_load_b32 v34, v[38:39], off
	global_load_b32 v35, v[38:39], off offset:1024
	global_load_b32 v29, v[36:37], off offset:-4096
	global_load_b32 v36, v[38:39], off offset:2048
	v_add_co_u32 v4, vcc_lo, 0x3c00, v4
	v_add_co_ci_u32_e32 v5, vcc_lo, 0, v5, vcc_lo
	s_mov_b32 s10, -1
	s_cbranch_execz .LBB505_904
; %bb.902:                              ;   in Loop: Header=BB505_900 Depth=2
                                        ; implicit-def: $vgpr19
                                        ; implicit-def: $vgpr18
                                        ; implicit-def: $vgpr17
                                        ; implicit-def: $vgpr16
                                        ; implicit-def: $vgpr15
                                        ; implicit-def: $vgpr14
                                        ; implicit-def: $vgpr13
                                        ; implicit-def: $vgpr12
                                        ; implicit-def: $vgpr11
                                        ; implicit-def: $vgpr10
                                        ; implicit-def: $vgpr9
                                        ; implicit-def: $vgpr8
                                        ; implicit-def: $vgpr7
                                        ; implicit-def: $vgpr6
                                        ; implicit-def: $vgpr2
                                        ; implicit-def: $vgpr20
	v_mov_b32_e32 v21, s8
	s_and_saveexec_b32 s0, s10
	s_cbranch_execnz .LBB505_923
	s_branch .LBB505_924
.LBB505_903:                            ;   in Loop: Header=BB505_900 Depth=2
	s_mov_b32 s10, 0
                                        ; implicit-def: $sgpr11
                                        ; implicit-def: $vgpr22
                                        ; implicit-def: $vgpr23
                                        ; implicit-def: $vgpr24
                                        ; implicit-def: $vgpr25
                                        ; implicit-def: $vgpr29
                                        ; implicit-def: $vgpr27
                                        ; implicit-def: $vgpr28
                                        ; implicit-def: $vgpr30
                                        ; implicit-def: $vgpr26
                                        ; implicit-def: $vgpr31
                                        ; implicit-def: $vgpr32
                                        ; implicit-def: $vgpr33
                                        ; implicit-def: $vgpr34
                                        ; implicit-def: $vgpr35
                                        ; implicit-def: $vgpr36
                                        ; implicit-def: $vgpr4_vgpr5
.LBB505_904:                            ;   in Loop: Header=BB505_900 Depth=2
	s_lshl_b64 s[0:1], s[34:35], 2
	s_mov_b32 s11, exec_lo
	s_add_u32 s0, s44, s0
	s_addc_u32 s1, s45, s1
	v_cmpx_gt_u32_e64 s8, v1
	s_cbranch_execz .LBB505_956
; %bb.905:                              ;   in Loop: Header=BB505_900 Depth=2
	global_load_b32 v19, v93, s[0:1]
	s_or_b32 exec_lo, exec_lo, s11
	s_delay_alu instid0(SALU_CYCLE_1)
	s_mov_b32 s11, exec_lo
	v_cmpx_gt_u32_e64 s8, v45
	s_cbranch_execnz .LBB505_957
.LBB505_906:                            ;   in Loop: Header=BB505_900 Depth=2
	s_or_b32 exec_lo, exec_lo, s11
	s_delay_alu instid0(SALU_CYCLE_1)
	s_mov_b32 s11, exec_lo
	v_cmpx_gt_u32_e64 s8, v46
	s_cbranch_execz .LBB505_958
.LBB505_907:                            ;   in Loop: Header=BB505_900 Depth=2
	global_load_b32 v17, v93, s[0:1] offset:2048
	s_or_b32 exec_lo, exec_lo, s11
	s_delay_alu instid0(SALU_CYCLE_1)
	s_mov_b32 s11, exec_lo
	v_cmpx_gt_u32_e64 s8, v47
	s_cbranch_execnz .LBB505_959
.LBB505_908:                            ;   in Loop: Header=BB505_900 Depth=2
	s_or_b32 exec_lo, exec_lo, s11
	s_delay_alu instid0(SALU_CYCLE_1)
	s_mov_b32 s11, exec_lo
	v_cmpx_gt_u32_e64 s8, v51
	s_cbranch_execz .LBB505_960
.LBB505_909:                            ;   in Loop: Header=BB505_900 Depth=2
	global_load_b32 v15, v94, s[0:1]
	s_or_b32 exec_lo, exec_lo, s11
	s_delay_alu instid0(SALU_CYCLE_1)
	s_mov_b32 s11, exec_lo
	v_cmpx_gt_u32_e64 s8, v52
	s_cbranch_execnz .LBB505_961
.LBB505_910:                            ;   in Loop: Header=BB505_900 Depth=2
	s_or_b32 exec_lo, exec_lo, s11
	s_delay_alu instid0(SALU_CYCLE_1)
	s_mov_b32 s11, exec_lo
	v_cmpx_gt_u32_e64 s8, v53
	s_cbranch_execz .LBB505_962
.LBB505_911:                            ;   in Loop: Header=BB505_900 Depth=2
	global_load_b32 v13, v96, s[0:1]
	s_or_b32 exec_lo, exec_lo, s11
	s_delay_alu instid0(SALU_CYCLE_1)
	s_mov_b32 s11, exec_lo
	v_cmpx_gt_u32_e64 s8, v54
	s_cbranch_execnz .LBB505_963
.LBB505_912:                            ;   in Loop: Header=BB505_900 Depth=2
	s_or_b32 exec_lo, exec_lo, s11
	s_delay_alu instid0(SALU_CYCLE_1)
	s_mov_b32 s11, exec_lo
	v_cmpx_gt_u32_e64 s8, v55
	s_cbranch_execz .LBB505_964
.LBB505_913:                            ;   in Loop: Header=BB505_900 Depth=2
	global_load_b32 v11, v98, s[0:1]
	s_or_b32 exec_lo, exec_lo, s11
	s_delay_alu instid0(SALU_CYCLE_1)
	s_mov_b32 s11, exec_lo
	v_cmpx_gt_u32_e64 s8, v56
	s_cbranch_execnz .LBB505_965
.LBB505_914:                            ;   in Loop: Header=BB505_900 Depth=2
	s_or_b32 exec_lo, exec_lo, s11
	s_delay_alu instid0(SALU_CYCLE_1)
	s_mov_b32 s11, exec_lo
	v_cmpx_gt_u32_e64 s8, v57
	s_cbranch_execz .LBB505_966
.LBB505_915:                            ;   in Loop: Header=BB505_900 Depth=2
	global_load_b32 v9, v100, s[0:1]
	s_or_b32 exec_lo, exec_lo, s11
	s_delay_alu instid0(SALU_CYCLE_1)
	s_mov_b32 s11, exec_lo
	v_cmpx_gt_u32_e64 s8, v58
	s_cbranch_execnz .LBB505_967
.LBB505_916:                            ;   in Loop: Header=BB505_900 Depth=2
	s_or_b32 exec_lo, exec_lo, s11
	s_delay_alu instid0(SALU_CYCLE_1)
	s_mov_b32 s11, exec_lo
	v_cmpx_gt_u32_e64 s8, v59
	s_cbranch_execz .LBB505_968
.LBB505_917:                            ;   in Loop: Header=BB505_900 Depth=2
	global_load_b32 v7, v102, s[0:1]
	s_or_b32 exec_lo, exec_lo, s11
	s_delay_alu instid0(SALU_CYCLE_1)
	s_mov_b32 s11, exec_lo
	v_cmpx_gt_u32_e64 s8, v60
	s_cbranch_execnz .LBB505_969
.LBB505_918:                            ;   in Loop: Header=BB505_900 Depth=2
	s_or_b32 exec_lo, exec_lo, s11
	s_delay_alu instid0(SALU_CYCLE_1)
	s_mov_b32 s11, exec_lo
	v_cmpx_gt_u32_e64 s8, v61
	s_cbranch_execz .LBB505_920
.LBB505_919:                            ;   in Loop: Header=BB505_900 Depth=2
	global_load_b32 v2, v104, s[0:1]
.LBB505_920:                            ;   in Loop: Header=BB505_900 Depth=2
	s_or_b32 exec_lo, exec_lo, s11
	s_delay_alu instid0(SALU_CYCLE_1)
	s_mov_b32 s12, exec_lo
                                        ; implicit-def: $sgpr11
                                        ; implicit-def: $vgpr4_vgpr5
	v_cmpx_gt_u32_e64 s8, v63
; %bb.921:                              ;   in Loop: Header=BB505_900 Depth=2
	v_add_co_u32 v4, s0, s0, v105
	s_delay_alu instid0(VALU_DEP_1)
	v_add_co_ci_u32_e64 v5, null, s1, 0, s0
	s_sub_i32 s11, s61, s34
	s_or_b32 s10, s10, exec_lo
                                        ; implicit-def: $vgpr20
; %bb.922:                              ;   in Loop: Header=BB505_900 Depth=2
	s_or_b32 exec_lo, exec_lo, s12
	s_waitcnt vmcnt(0)
	v_dual_mov_b32 v22, v19 :: v_dual_mov_b32 v23, v18
	v_dual_mov_b32 v24, v17 :: v_dual_mov_b32 v25, v16
	;; [unrolled: 1-line block ×8, first 2 shown]
	s_and_saveexec_b32 s0, s10
	s_cbranch_execz .LBB505_924
.LBB505_923:                            ;   in Loop: Header=BB505_900 Depth=2
	global_load_b32 v20, v[4:5], off
	s_waitcnt vmcnt(1)
	v_dual_mov_b32 v21, s11 :: v_dual_mov_b32 v2, v36
	v_dual_mov_b32 v6, v35 :: v_dual_mov_b32 v7, v34
	;; [unrolled: 1-line block ×8, first 2 shown]
.LBB505_924:                            ;   in Loop: Header=BB505_900 Depth=2
	s_or_b32 exec_lo, exec_lo, s0
	v_lshlrev_b32_e32 v4, 2, v48
	s_mov_b32 s0, exec_lo
	v_cmpx_lt_u32_e64 v1, v21
	s_cbranch_execz .LBB505_940
; %bb.925:                              ;   in Loop: Header=BB505_900 Depth=2
	v_xor_b32_e32 v5, 0x7fffffff, v19
	s_delay_alu instid0(VALU_DEP_1) | instskip(NEXT) | instid1(VALU_DEP_1)
	v_lshrrev_b32_e32 v5, s57, v5
	v_and_b32_e32 v5, s39, v5
	s_delay_alu instid0(VALU_DEP_1) | instskip(SKIP_2) | instid1(SALU_CYCLE_1)
	v_lshl_or_b32 v5, v5, 4, v4
	ds_add_u32 v5, v92
	s_or_b32 exec_lo, exec_lo, s0
	s_mov_b32 s0, exec_lo
	v_cmpx_lt_u32_e64 v45, v21
	s_cbranch_execnz .LBB505_941
.LBB505_926:                            ;   in Loop: Header=BB505_900 Depth=2
	s_or_b32 exec_lo, exec_lo, s0
	s_delay_alu instid0(SALU_CYCLE_1)
	s_mov_b32 s0, exec_lo
	v_cmpx_lt_u32_e64 v46, v21
	s_cbranch_execz .LBB505_942
.LBB505_927:                            ;   in Loop: Header=BB505_900 Depth=2
	v_xor_b32_e32 v5, 0x7fffffff, v17
	s_delay_alu instid0(VALU_DEP_1) | instskip(NEXT) | instid1(VALU_DEP_1)
	v_lshrrev_b32_e32 v5, s57, v5
	v_and_b32_e32 v5, s39, v5
	s_delay_alu instid0(VALU_DEP_1) | instskip(SKIP_2) | instid1(SALU_CYCLE_1)
	v_lshl_or_b32 v5, v5, 4, v4
	ds_add_u32 v5, v92
	s_or_b32 exec_lo, exec_lo, s0
	s_mov_b32 s0, exec_lo
	v_cmpx_lt_u32_e64 v47, v21
	s_cbranch_execnz .LBB505_943
.LBB505_928:                            ;   in Loop: Header=BB505_900 Depth=2
	s_or_b32 exec_lo, exec_lo, s0
	s_delay_alu instid0(SALU_CYCLE_1)
	s_mov_b32 s0, exec_lo
	v_cmpx_lt_u32_e64 v51, v21
	s_cbranch_execz .LBB505_944
.LBB505_929:                            ;   in Loop: Header=BB505_900 Depth=2
	v_xor_b32_e32 v5, 0x7fffffff, v15
	s_delay_alu instid0(VALU_DEP_1) | instskip(NEXT) | instid1(VALU_DEP_1)
	v_lshrrev_b32_e32 v5, s57, v5
	v_and_b32_e32 v5, s39, v5
	s_delay_alu instid0(VALU_DEP_1) | instskip(SKIP_2) | instid1(SALU_CYCLE_1)
	v_lshl_or_b32 v5, v5, 4, v4
	ds_add_u32 v5, v92
	s_or_b32 exec_lo, exec_lo, s0
	s_mov_b32 s0, exec_lo
	v_cmpx_lt_u32_e64 v52, v21
	s_cbranch_execnz .LBB505_945
.LBB505_930:                            ;   in Loop: Header=BB505_900 Depth=2
	s_or_b32 exec_lo, exec_lo, s0
	s_delay_alu instid0(SALU_CYCLE_1)
	s_mov_b32 s0, exec_lo
	v_cmpx_lt_u32_e64 v53, v21
	s_cbranch_execz .LBB505_946
.LBB505_931:                            ;   in Loop: Header=BB505_900 Depth=2
	v_xor_b32_e32 v5, 0x7fffffff, v13
	s_delay_alu instid0(VALU_DEP_1) | instskip(NEXT) | instid1(VALU_DEP_1)
	v_lshrrev_b32_e32 v5, s57, v5
	v_and_b32_e32 v5, s39, v5
	s_delay_alu instid0(VALU_DEP_1) | instskip(SKIP_2) | instid1(SALU_CYCLE_1)
	v_lshl_or_b32 v5, v5, 4, v4
	ds_add_u32 v5, v92
	s_or_b32 exec_lo, exec_lo, s0
	s_mov_b32 s0, exec_lo
	v_cmpx_lt_u32_e64 v54, v21
	s_cbranch_execnz .LBB505_947
.LBB505_932:                            ;   in Loop: Header=BB505_900 Depth=2
	s_or_b32 exec_lo, exec_lo, s0
	s_delay_alu instid0(SALU_CYCLE_1)
	s_mov_b32 s0, exec_lo
	v_cmpx_lt_u32_e64 v55, v21
	s_cbranch_execz .LBB505_948
.LBB505_933:                            ;   in Loop: Header=BB505_900 Depth=2
	v_xor_b32_e32 v5, 0x7fffffff, v11
	s_delay_alu instid0(VALU_DEP_1) | instskip(NEXT) | instid1(VALU_DEP_1)
	v_lshrrev_b32_e32 v5, s57, v5
	v_and_b32_e32 v5, s39, v5
	s_delay_alu instid0(VALU_DEP_1) | instskip(SKIP_2) | instid1(SALU_CYCLE_1)
	v_lshl_or_b32 v5, v5, 4, v4
	ds_add_u32 v5, v92
	s_or_b32 exec_lo, exec_lo, s0
	s_mov_b32 s0, exec_lo
	v_cmpx_lt_u32_e64 v56, v21
	s_cbranch_execnz .LBB505_949
.LBB505_934:                            ;   in Loop: Header=BB505_900 Depth=2
	s_or_b32 exec_lo, exec_lo, s0
	s_delay_alu instid0(SALU_CYCLE_1)
	s_mov_b32 s0, exec_lo
	v_cmpx_lt_u32_e64 v57, v21
	s_cbranch_execz .LBB505_950
.LBB505_935:                            ;   in Loop: Header=BB505_900 Depth=2
	v_xor_b32_e32 v5, 0x7fffffff, v9
	s_delay_alu instid0(VALU_DEP_1) | instskip(NEXT) | instid1(VALU_DEP_1)
	v_lshrrev_b32_e32 v5, s57, v5
	v_and_b32_e32 v5, s39, v5
	s_delay_alu instid0(VALU_DEP_1) | instskip(SKIP_2) | instid1(SALU_CYCLE_1)
	v_lshl_or_b32 v5, v5, 4, v4
	ds_add_u32 v5, v92
	s_or_b32 exec_lo, exec_lo, s0
	s_mov_b32 s0, exec_lo
	v_cmpx_lt_u32_e64 v58, v21
	s_cbranch_execnz .LBB505_951
.LBB505_936:                            ;   in Loop: Header=BB505_900 Depth=2
	s_or_b32 exec_lo, exec_lo, s0
	s_delay_alu instid0(SALU_CYCLE_1)
	s_mov_b32 s0, exec_lo
	v_cmpx_lt_u32_e64 v59, v21
	s_cbranch_execz .LBB505_952
.LBB505_937:                            ;   in Loop: Header=BB505_900 Depth=2
	v_xor_b32_e32 v5, 0x7fffffff, v7
	s_delay_alu instid0(VALU_DEP_1) | instskip(NEXT) | instid1(VALU_DEP_1)
	v_lshrrev_b32_e32 v5, s57, v5
	v_and_b32_e32 v5, s39, v5
	s_delay_alu instid0(VALU_DEP_1) | instskip(SKIP_2) | instid1(SALU_CYCLE_1)
	v_lshl_or_b32 v5, v5, 4, v4
	ds_add_u32 v5, v92
	s_or_b32 exec_lo, exec_lo, s0
	s_mov_b32 s0, exec_lo
	v_cmpx_lt_u32_e64 v60, v21
	s_cbranch_execnz .LBB505_953
.LBB505_938:                            ;   in Loop: Header=BB505_900 Depth=2
	s_or_b32 exec_lo, exec_lo, s0
	s_delay_alu instid0(SALU_CYCLE_1)
	s_mov_b32 s0, exec_lo
	v_cmpx_lt_u32_e64 v61, v21
	s_cbranch_execz .LBB505_954
.LBB505_939:                            ;   in Loop: Header=BB505_900 Depth=2
	v_xor_b32_e32 v5, 0x7fffffff, v2
	s_delay_alu instid0(VALU_DEP_1) | instskip(NEXT) | instid1(VALU_DEP_1)
	v_lshrrev_b32_e32 v5, s57, v5
	v_and_b32_e32 v5, s39, v5
	s_delay_alu instid0(VALU_DEP_1) | instskip(SKIP_2) | instid1(SALU_CYCLE_1)
	v_lshl_or_b32 v5, v5, 4, v4
	ds_add_u32 v5, v92
	s_or_b32 exec_lo, exec_lo, s0
	s_mov_b32 s0, exec_lo
	v_cmpx_lt_u32_e64 v63, v21
	s_cbranch_execz .LBB505_899
	s_branch .LBB505_955
.LBB505_940:                            ;   in Loop: Header=BB505_900 Depth=2
	s_or_b32 exec_lo, exec_lo, s0
	s_delay_alu instid0(SALU_CYCLE_1)
	s_mov_b32 s0, exec_lo
	v_cmpx_lt_u32_e64 v45, v21
	s_cbranch_execz .LBB505_926
.LBB505_941:                            ;   in Loop: Header=BB505_900 Depth=2
	v_xor_b32_e32 v5, 0x7fffffff, v18
	s_delay_alu instid0(VALU_DEP_1) | instskip(NEXT) | instid1(VALU_DEP_1)
	v_lshrrev_b32_e32 v5, s57, v5
	v_and_b32_e32 v5, s39, v5
	s_delay_alu instid0(VALU_DEP_1) | instskip(SKIP_2) | instid1(SALU_CYCLE_1)
	v_lshl_or_b32 v5, v5, 4, v4
	ds_add_u32 v5, v92
	s_or_b32 exec_lo, exec_lo, s0
	s_mov_b32 s0, exec_lo
	v_cmpx_lt_u32_e64 v46, v21
	s_cbranch_execnz .LBB505_927
.LBB505_942:                            ;   in Loop: Header=BB505_900 Depth=2
	s_or_b32 exec_lo, exec_lo, s0
	s_delay_alu instid0(SALU_CYCLE_1)
	s_mov_b32 s0, exec_lo
	v_cmpx_lt_u32_e64 v47, v21
	s_cbranch_execz .LBB505_928
.LBB505_943:                            ;   in Loop: Header=BB505_900 Depth=2
	v_xor_b32_e32 v5, 0x7fffffff, v16
	s_delay_alu instid0(VALU_DEP_1) | instskip(NEXT) | instid1(VALU_DEP_1)
	v_lshrrev_b32_e32 v5, s57, v5
	v_and_b32_e32 v5, s39, v5
	s_delay_alu instid0(VALU_DEP_1) | instskip(SKIP_2) | instid1(SALU_CYCLE_1)
	v_lshl_or_b32 v5, v5, 4, v4
	ds_add_u32 v5, v92
	s_or_b32 exec_lo, exec_lo, s0
	s_mov_b32 s0, exec_lo
	v_cmpx_lt_u32_e64 v51, v21
	s_cbranch_execnz .LBB505_929
.LBB505_944:                            ;   in Loop: Header=BB505_900 Depth=2
	s_or_b32 exec_lo, exec_lo, s0
	s_delay_alu instid0(SALU_CYCLE_1)
	s_mov_b32 s0, exec_lo
	v_cmpx_lt_u32_e64 v52, v21
	s_cbranch_execz .LBB505_930
.LBB505_945:                            ;   in Loop: Header=BB505_900 Depth=2
	v_xor_b32_e32 v5, 0x7fffffff, v14
	s_delay_alu instid0(VALU_DEP_1) | instskip(NEXT) | instid1(VALU_DEP_1)
	v_lshrrev_b32_e32 v5, s57, v5
	v_and_b32_e32 v5, s39, v5
	s_delay_alu instid0(VALU_DEP_1) | instskip(SKIP_2) | instid1(SALU_CYCLE_1)
	v_lshl_or_b32 v5, v5, 4, v4
	ds_add_u32 v5, v92
	s_or_b32 exec_lo, exec_lo, s0
	s_mov_b32 s0, exec_lo
	v_cmpx_lt_u32_e64 v53, v21
	s_cbranch_execnz .LBB505_931
.LBB505_946:                            ;   in Loop: Header=BB505_900 Depth=2
	s_or_b32 exec_lo, exec_lo, s0
	s_delay_alu instid0(SALU_CYCLE_1)
	s_mov_b32 s0, exec_lo
	v_cmpx_lt_u32_e64 v54, v21
	s_cbranch_execz .LBB505_932
.LBB505_947:                            ;   in Loop: Header=BB505_900 Depth=2
	v_xor_b32_e32 v5, 0x7fffffff, v12
	s_delay_alu instid0(VALU_DEP_1) | instskip(NEXT) | instid1(VALU_DEP_1)
	v_lshrrev_b32_e32 v5, s57, v5
	v_and_b32_e32 v5, s39, v5
	s_delay_alu instid0(VALU_DEP_1) | instskip(SKIP_2) | instid1(SALU_CYCLE_1)
	v_lshl_or_b32 v5, v5, 4, v4
	ds_add_u32 v5, v92
	s_or_b32 exec_lo, exec_lo, s0
	s_mov_b32 s0, exec_lo
	v_cmpx_lt_u32_e64 v55, v21
	s_cbranch_execnz .LBB505_933
.LBB505_948:                            ;   in Loop: Header=BB505_900 Depth=2
	s_or_b32 exec_lo, exec_lo, s0
	s_delay_alu instid0(SALU_CYCLE_1)
	s_mov_b32 s0, exec_lo
	v_cmpx_lt_u32_e64 v56, v21
	s_cbranch_execz .LBB505_934
.LBB505_949:                            ;   in Loop: Header=BB505_900 Depth=2
	v_xor_b32_e32 v5, 0x7fffffff, v10
	s_delay_alu instid0(VALU_DEP_1) | instskip(NEXT) | instid1(VALU_DEP_1)
	v_lshrrev_b32_e32 v5, s57, v5
	v_and_b32_e32 v5, s39, v5
	s_delay_alu instid0(VALU_DEP_1) | instskip(SKIP_2) | instid1(SALU_CYCLE_1)
	v_lshl_or_b32 v5, v5, 4, v4
	ds_add_u32 v5, v92
	s_or_b32 exec_lo, exec_lo, s0
	s_mov_b32 s0, exec_lo
	v_cmpx_lt_u32_e64 v57, v21
	s_cbranch_execnz .LBB505_935
.LBB505_950:                            ;   in Loop: Header=BB505_900 Depth=2
	s_or_b32 exec_lo, exec_lo, s0
	s_delay_alu instid0(SALU_CYCLE_1)
	s_mov_b32 s0, exec_lo
	v_cmpx_lt_u32_e64 v58, v21
	s_cbranch_execz .LBB505_936
.LBB505_951:                            ;   in Loop: Header=BB505_900 Depth=2
	v_xor_b32_e32 v5, 0x7fffffff, v8
	s_delay_alu instid0(VALU_DEP_1) | instskip(NEXT) | instid1(VALU_DEP_1)
	v_lshrrev_b32_e32 v5, s57, v5
	v_and_b32_e32 v5, s39, v5
	s_delay_alu instid0(VALU_DEP_1) | instskip(SKIP_2) | instid1(SALU_CYCLE_1)
	v_lshl_or_b32 v5, v5, 4, v4
	ds_add_u32 v5, v92
	s_or_b32 exec_lo, exec_lo, s0
	s_mov_b32 s0, exec_lo
	v_cmpx_lt_u32_e64 v59, v21
	s_cbranch_execnz .LBB505_937
.LBB505_952:                            ;   in Loop: Header=BB505_900 Depth=2
	s_or_b32 exec_lo, exec_lo, s0
	s_delay_alu instid0(SALU_CYCLE_1)
	s_mov_b32 s0, exec_lo
	v_cmpx_lt_u32_e64 v60, v21
	s_cbranch_execz .LBB505_938
.LBB505_953:                            ;   in Loop: Header=BB505_900 Depth=2
	v_xor_b32_e32 v5, 0x7fffffff, v6
	s_delay_alu instid0(VALU_DEP_1) | instskip(NEXT) | instid1(VALU_DEP_1)
	v_lshrrev_b32_e32 v5, s57, v5
	v_and_b32_e32 v5, s39, v5
	s_delay_alu instid0(VALU_DEP_1) | instskip(SKIP_2) | instid1(SALU_CYCLE_1)
	v_lshl_or_b32 v5, v5, 4, v4
	ds_add_u32 v5, v92
	s_or_b32 exec_lo, exec_lo, s0
	s_mov_b32 s0, exec_lo
	v_cmpx_lt_u32_e64 v61, v21
	s_cbranch_execnz .LBB505_939
.LBB505_954:                            ;   in Loop: Header=BB505_900 Depth=2
	s_or_b32 exec_lo, exec_lo, s0
	s_delay_alu instid0(SALU_CYCLE_1)
	s_mov_b32 s0, exec_lo
	v_cmpx_lt_u32_e64 v63, v21
	s_cbranch_execz .LBB505_899
.LBB505_955:                            ;   in Loop: Header=BB505_900 Depth=2
	s_waitcnt vmcnt(0)
	v_xor_b32_e32 v5, 0x7fffffff, v20
	s_delay_alu instid0(VALU_DEP_1) | instskip(NEXT) | instid1(VALU_DEP_1)
	v_lshrrev_b32_e32 v5, s57, v5
	v_and_b32_e32 v5, s39, v5
	s_delay_alu instid0(VALU_DEP_1)
	v_lshl_or_b32 v4, v5, 4, v4
	ds_add_u32 v4, v92
	s_branch .LBB505_899
.LBB505_956:                            ;   in Loop: Header=BB505_900 Depth=2
	s_or_b32 exec_lo, exec_lo, s11
	s_delay_alu instid0(SALU_CYCLE_1)
	s_mov_b32 s11, exec_lo
	v_cmpx_gt_u32_e64 s8, v45
	s_cbranch_execz .LBB505_906
.LBB505_957:                            ;   in Loop: Header=BB505_900 Depth=2
	global_load_b32 v18, v93, s[0:1] offset:1024
	s_or_b32 exec_lo, exec_lo, s11
	s_delay_alu instid0(SALU_CYCLE_1)
	s_mov_b32 s11, exec_lo
	v_cmpx_gt_u32_e64 s8, v46
	s_cbranch_execnz .LBB505_907
.LBB505_958:                            ;   in Loop: Header=BB505_900 Depth=2
	s_or_b32 exec_lo, exec_lo, s11
	s_delay_alu instid0(SALU_CYCLE_1)
	s_mov_b32 s11, exec_lo
	v_cmpx_gt_u32_e64 s8, v47
	s_cbranch_execz .LBB505_908
.LBB505_959:                            ;   in Loop: Header=BB505_900 Depth=2
	global_load_b32 v16, v93, s[0:1] offset:3072
	s_or_b32 exec_lo, exec_lo, s11
	s_delay_alu instid0(SALU_CYCLE_1)
	s_mov_b32 s11, exec_lo
	v_cmpx_gt_u32_e64 s8, v51
	s_cbranch_execnz .LBB505_909
.LBB505_960:                            ;   in Loop: Header=BB505_900 Depth=2
	s_or_b32 exec_lo, exec_lo, s11
	s_delay_alu instid0(SALU_CYCLE_1)
	s_mov_b32 s11, exec_lo
	v_cmpx_gt_u32_e64 s8, v52
	s_cbranch_execz .LBB505_910
.LBB505_961:                            ;   in Loop: Header=BB505_900 Depth=2
	global_load_b32 v14, v95, s[0:1]
	s_or_b32 exec_lo, exec_lo, s11
	s_delay_alu instid0(SALU_CYCLE_1)
	s_mov_b32 s11, exec_lo
	v_cmpx_gt_u32_e64 s8, v53
	s_cbranch_execnz .LBB505_911
.LBB505_962:                            ;   in Loop: Header=BB505_900 Depth=2
	s_or_b32 exec_lo, exec_lo, s11
	s_delay_alu instid0(SALU_CYCLE_1)
	s_mov_b32 s11, exec_lo
	v_cmpx_gt_u32_e64 s8, v54
	s_cbranch_execz .LBB505_912
.LBB505_963:                            ;   in Loop: Header=BB505_900 Depth=2
	global_load_b32 v12, v97, s[0:1]
	s_or_b32 exec_lo, exec_lo, s11
	s_delay_alu instid0(SALU_CYCLE_1)
	s_mov_b32 s11, exec_lo
	v_cmpx_gt_u32_e64 s8, v55
	s_cbranch_execnz .LBB505_913
.LBB505_964:                            ;   in Loop: Header=BB505_900 Depth=2
	s_or_b32 exec_lo, exec_lo, s11
	s_delay_alu instid0(SALU_CYCLE_1)
	s_mov_b32 s11, exec_lo
	v_cmpx_gt_u32_e64 s8, v56
	s_cbranch_execz .LBB505_914
.LBB505_965:                            ;   in Loop: Header=BB505_900 Depth=2
	global_load_b32 v10, v99, s[0:1]
	s_or_b32 exec_lo, exec_lo, s11
	s_delay_alu instid0(SALU_CYCLE_1)
	s_mov_b32 s11, exec_lo
	v_cmpx_gt_u32_e64 s8, v57
	s_cbranch_execnz .LBB505_915
.LBB505_966:                            ;   in Loop: Header=BB505_900 Depth=2
	s_or_b32 exec_lo, exec_lo, s11
	s_delay_alu instid0(SALU_CYCLE_1)
	s_mov_b32 s11, exec_lo
	v_cmpx_gt_u32_e64 s8, v58
	s_cbranch_execz .LBB505_916
.LBB505_967:                            ;   in Loop: Header=BB505_900 Depth=2
	global_load_b32 v8, v101, s[0:1]
	s_or_b32 exec_lo, exec_lo, s11
	s_delay_alu instid0(SALU_CYCLE_1)
	s_mov_b32 s11, exec_lo
	v_cmpx_gt_u32_e64 s8, v59
	s_cbranch_execnz .LBB505_917
.LBB505_968:                            ;   in Loop: Header=BB505_900 Depth=2
	s_or_b32 exec_lo, exec_lo, s11
	s_delay_alu instid0(SALU_CYCLE_1)
	s_mov_b32 s11, exec_lo
	v_cmpx_gt_u32_e64 s8, v60
	s_cbranch_execz .LBB505_918
.LBB505_969:                            ;   in Loop: Header=BB505_900 Depth=2
	global_load_b32 v6, v103, s[0:1]
	s_or_b32 exec_lo, exec_lo, s11
	s_delay_alu instid0(SALU_CYCLE_1)
	s_mov_b32 s11, exec_lo
	v_cmpx_gt_u32_e64 s8, v61
	s_cbranch_execz .LBB505_920
	s_branch .LBB505_919
.LBB505_970:                            ;   in Loop: Header=BB505_12 Depth=1
	v_mov_b32_e32 v2, 0
	s_waitcnt vmcnt(0) lgkmcnt(0)
	s_barrier
	buffer_gl0_inv
	s_and_saveexec_b32 s0, s2
	s_cbranch_execz .LBB505_972
; %bb.971:                              ;   in Loop: Header=BB505_12 Depth=1
	ds_load_2addr_b64 v[4:7], v64 offset1:1
	s_waitcnt lgkmcnt(0)
	v_add_nc_u32_e32 v2, v5, v4
	s_delay_alu instid0(VALU_DEP_1)
	v_add3_u32 v2, v2, v6, v7
.LBB505_972:                            ;   in Loop: Header=BB505_12 Depth=1
	s_or_b32 exec_lo, exec_lo, s0
	v_and_b32_e32 v4, 15, v106
	s_delay_alu instid0(VALU_DEP_2) | instskip(SKIP_1) | instid1(VALU_DEP_3)
	v_mov_b32_dpp v5, v2 row_shr:1 row_mask:0xf bank_mask:0xf
	v_and_b32_e32 v6, 16, v106
	v_cmp_eq_u32_e64 s0, 0, v4
	v_cmp_lt_u32_e64 s1, 1, v4
	v_cmp_lt_u32_e64 s8, 3, v4
	v_cmp_lt_u32_e64 s9, 7, v4
	v_cmp_eq_u32_e64 s10, 0, v6
	v_cndmask_b32_e64 v5, v5, 0, s0
	s_delay_alu instid0(VALU_DEP_1) | instskip(NEXT) | instid1(VALU_DEP_1)
	v_add_nc_u32_e32 v2, v5, v2
	v_mov_b32_dpp v5, v2 row_shr:2 row_mask:0xf bank_mask:0xf
	s_delay_alu instid0(VALU_DEP_1) | instskip(NEXT) | instid1(VALU_DEP_1)
	v_cndmask_b32_e64 v5, 0, v5, s1
	v_add_nc_u32_e32 v2, v2, v5
	s_delay_alu instid0(VALU_DEP_1) | instskip(NEXT) | instid1(VALU_DEP_1)
	v_mov_b32_dpp v5, v2 row_shr:4 row_mask:0xf bank_mask:0xf
	v_cndmask_b32_e64 v5, 0, v5, s8
	s_delay_alu instid0(VALU_DEP_1) | instskip(NEXT) | instid1(VALU_DEP_1)
	v_add_nc_u32_e32 v2, v2, v5
	v_mov_b32_dpp v5, v2 row_shr:8 row_mask:0xf bank_mask:0xf
	s_delay_alu instid0(VALU_DEP_1) | instskip(SKIP_1) | instid1(VALU_DEP_2)
	v_cndmask_b32_e64 v4, 0, v5, s9
	v_bfe_i32 v5, v106, 4, 1
	v_add_nc_u32_e32 v2, v2, v4
	ds_swizzle_b32 v4, v2 offset:swizzle(BROADCAST,32,15)
	s_waitcnt lgkmcnt(0)
	v_and_b32_e32 v4, v5, v4
	s_delay_alu instid0(VALU_DEP_1)
	v_add_nc_u32_e32 v4, v2, v4
	s_and_saveexec_b32 s11, s3
	s_cbranch_execz .LBB505_974
; %bb.973:                              ;   in Loop: Header=BB505_12 Depth=1
	ds_store_b32 v65, v4
.LBB505_974:                            ;   in Loop: Header=BB505_12 Depth=1
	s_or_b32 exec_lo, exec_lo, s11
	v_and_b32_e32 v2, 7, v106
	s_waitcnt lgkmcnt(0)
	s_barrier
	buffer_gl0_inv
	s_and_saveexec_b32 s11, s4
	s_cbranch_execz .LBB505_976
; %bb.975:                              ;   in Loop: Header=BB505_12 Depth=1
	ds_load_b32 v5, v66
	v_cmp_ne_u32_e32 vcc_lo, 0, v2
	s_waitcnt lgkmcnt(0)
	v_mov_b32_dpp v6, v5 row_shr:1 row_mask:0xf bank_mask:0xf
	s_delay_alu instid0(VALU_DEP_1) | instskip(SKIP_1) | instid1(VALU_DEP_2)
	v_cndmask_b32_e32 v6, 0, v6, vcc_lo
	v_cmp_lt_u32_e32 vcc_lo, 1, v2
	v_add_nc_u32_e32 v5, v6, v5
	s_delay_alu instid0(VALU_DEP_1) | instskip(NEXT) | instid1(VALU_DEP_1)
	v_mov_b32_dpp v6, v5 row_shr:2 row_mask:0xf bank_mask:0xf
	v_cndmask_b32_e32 v6, 0, v6, vcc_lo
	v_cmp_lt_u32_e32 vcc_lo, 3, v2
	s_delay_alu instid0(VALU_DEP_2) | instskip(NEXT) | instid1(VALU_DEP_1)
	v_add_nc_u32_e32 v5, v5, v6
	v_mov_b32_dpp v6, v5 row_shr:4 row_mask:0xf bank_mask:0xf
	s_delay_alu instid0(VALU_DEP_1) | instskip(NEXT) | instid1(VALU_DEP_1)
	v_cndmask_b32_e32 v6, 0, v6, vcc_lo
	v_add_nc_u32_e32 v5, v5, v6
	ds_store_b32 v66, v5
.LBB505_976:                            ;   in Loop: Header=BB505_12 Depth=1
	s_or_b32 exec_lo, exec_lo, s11
	v_mov_b32_e32 v5, 0
	s_waitcnt lgkmcnt(0)
	s_barrier
	buffer_gl0_inv
	s_and_saveexec_b32 s11, s5
	s_cbranch_execz .LBB505_978
; %bb.977:                              ;   in Loop: Header=BB505_12 Depth=1
	ds_load_b32 v5, v67
.LBB505_978:                            ;   in Loop: Header=BB505_12 Depth=1
	s_or_b32 exec_lo, exec_lo, s11
	v_add_nc_u32_e32 v6, -1, v106
	s_waitcnt lgkmcnt(0)
	v_add_nc_u32_e32 v4, v5, v4
	v_cmp_eq_u32_e64 s11, 0, v106
	s_barrier
	v_cmp_gt_i32_e32 vcc_lo, 0, v6
	buffer_gl0_inv
	v_cndmask_b32_e32 v6, v6, v106, vcc_lo
	s_delay_alu instid0(VALU_DEP_1)
	v_lshlrev_b32_e32 v107, 2, v6
	ds_bpermute_b32 v4, v107, v4
	s_and_saveexec_b32 s12, s2
	s_cbranch_execz .LBB505_980
; %bb.979:                              ;   in Loop: Header=BB505_12 Depth=1
	s_waitcnt lgkmcnt(0)
	v_cndmask_b32_e64 v4, v4, v5, s11
	s_delay_alu instid0(VALU_DEP_1)
	v_add_nc_u32_e32 v4, s60, v4
	ds_store_b32 v44, v4
.LBB505_980:                            ;   in Loop: Header=BB505_12 Depth=1
	s_or_b32 exec_lo, exec_lo, s12
	s_load_b64 s[12:13], s[36:37], 0x0
	v_lshlrev_b32_e32 v5, 3, v106
	v_cmp_lt_u32_e64 s14, 3, v2
	v_or_b32_e32 v108, v106, v68
	s_mov_b32 s40, s62
	s_mov_b32 s34, s60
	v_add_co_u32 v109, vcc_lo, v88, v5
	v_add_co_ci_u32_e32 v110, vcc_lo, 0, v89, vcc_lo
	v_or_b32_e32 v111, 32, v108
	v_or_b32_e32 v112, 64, v108
	;; [unrolled: 1-line block ×10, first 2 shown]
	s_waitcnt lgkmcnt(0)
	s_cmp_lt_u32 s15, s13
	v_or_b32_e32 v121, 0x160, v108
	s_cselect_b32 s13, 14, 20
	v_or_b32_e32 v122, 0x180, v108
	s_add_u32 s16, s36, s13
	s_addc_u32 s17, s37, 0
	s_cmp_lt_u32 s26, s12
	global_load_u16 v4, v3, s[16:17]
	s_cselect_b32 s12, 12, 18
	v_or_b32_e32 v123, 0x1a0, v108
	s_add_u32 s12, s36, s12
	s_addc_u32 s13, s37, 0
	v_or_b32_e32 v124, 0x1c0, v108
	global_load_u16 v6, v3, s[12:13]
	v_cmp_eq_u32_e64 s12, 0, v2
	v_cmp_lt_u32_e64 s13, 1, v2
	v_lshlrev_b32_e32 v2, 2, v106
	v_or_b32_e32 v125, 0x1e0, v108
                                        ; implicit-def: $vgpr8_vgpr9
                                        ; implicit-def: $vgpr10_vgpr11
                                        ; implicit-def: $vgpr12_vgpr13
                                        ; implicit-def: $vgpr14_vgpr15
                                        ; implicit-def: $vgpr16_vgpr17
                                        ; implicit-def: $vgpr18_vgpr19
                                        ; implicit-def: $vgpr20_vgpr21
                                        ; implicit-def: $vgpr22_vgpr23
                                        ; implicit-def: $vgpr24_vgpr25
                                        ; implicit-def: $vgpr26_vgpr27
                                        ; implicit-def: $vgpr28_vgpr29
                                        ; implicit-def: $vgpr30_vgpr31
                                        ; implicit-def: $vgpr32_vgpr33
                                        ; implicit-def: $vgpr34_vgpr35
                                        ; implicit-def: $vgpr131
                                        ; implicit-def: $vgpr132
                                        ; implicit-def: $vgpr133
                                        ; implicit-def: $vgpr134
                                        ; implicit-def: $vgpr135
                                        ; implicit-def: $vgpr136
                                        ; implicit-def: $vgpr137
                                        ; implicit-def: $vgpr138
                                        ; implicit-def: $vgpr139
                                        ; implicit-def: $vgpr140
                                        ; implicit-def: $vgpr141
                                        ; implicit-def: $vgpr142
                                        ; implicit-def: $vgpr143
                                        ; implicit-def: $vgpr144
                                        ; implicit-def: $vgpr145
                                        ; implicit-def: $vgpr146
	s_delay_alu instid0(VALU_DEP_2) | instskip(SKIP_1) | instid1(VALU_DEP_2)
	v_add_co_u32 v126, vcc_lo, v90, v2
	v_add_co_ci_u32_e32 v127, vcc_lo, 0, v91, vcc_lo
	v_add_co_u32 v129, vcc_lo, 0x780, v126
	s_delay_alu instid0(VALU_DEP_2) | instskip(SKIP_3) | instid1(VALU_DEP_1)
	v_add_co_ci_u32_e32 v130, vcc_lo, 0, v127, vcc_lo
	s_waitcnt vmcnt(1)
	v_mad_u32_u24 v7, v69, v4, v0
	s_waitcnt vmcnt(0)
	v_mad_u64_u32 v[4:5], null, v7, v6, v[1:2]
                                        ; implicit-def: $vgpr6_vgpr7
	s_delay_alu instid0(VALU_DEP_1)
	v_lshrrev_b32_e32 v128, 5, v4
                                        ; implicit-def: $vgpr4_vgpr5
	s_branch .LBB505_982
.LBB505_981:                            ;   in Loop: Header=BB505_982 Depth=2
	s_or_b32 exec_lo, exec_lo, s16
	s_addk_i32 s40, 0xf000
	s_cmp_lt_u32 s41, s61
	s_mov_b32 s34, s41
	s_cbranch_scc0 .LBB505_10
.LBB505_982:                            ;   Parent Loop BB505_12 Depth=1
                                        ; =>  This Inner Loop Header: Depth=2
	s_add_i32 s41, s34, 0x1000
	s_delay_alu instid0(SALU_CYCLE_1)
	s_cmp_gt_u32 s41, s61
	s_cbranch_scc1 .LBB505_985
; %bb.983:                              ;   in Loop: Header=BB505_982 Depth=2
	s_mov_b32 s17, 0
	s_mov_b32 s16, s34
	s_delay_alu instid0(SALU_CYCLE_1) | instskip(NEXT) | instid1(SALU_CYCLE_1)
	s_lshl_b64 s[18:19], s[16:17], 2
	v_add_co_u32 v36, vcc_lo, v126, s18
	v_add_co_ci_u32_e32 v37, vcc_lo, s19, v127, vcc_lo
	s_mov_b32 s19, -1
	s_movk_i32 s18, 0x1000
	s_clause 0xe
	global_load_b32 v2, v[36:37], off
	global_load_b32 v148, v[36:37], off offset:128
	global_load_b32 v151, v[36:37], off offset:256
	;; [unrolled: 1-line block ×14, first 2 shown]
	s_cbranch_execz .LBB505_986
; %bb.984:                              ;   in Loop: Header=BB505_982 Depth=2
                                        ; implicit-def: $sgpr20
	v_dual_mov_b32 v36, s20 :: v_dual_mov_b32 v147, s40
	s_and_saveexec_b32 s20, s19
	s_cbranch_execnz .LBB505_1017
	s_branch .LBB505_1018
.LBB505_985:                            ;   in Loop: Header=BB505_982 Depth=2
	s_mov_b32 s17, -1
	s_mov_b32 s19, 0
                                        ; implicit-def: $sgpr18
                                        ; implicit-def: $vgpr2
                                        ; implicit-def: $vgpr148
                                        ; implicit-def: $vgpr151
                                        ; implicit-def: $vgpr155
                                        ; implicit-def: $vgpr159
                                        ; implicit-def: $vgpr163
                                        ; implicit-def: $vgpr167
                                        ; implicit-def: $vgpr172
                                        ; implicit-def: $vgpr171
                                        ; implicit-def: $vgpr43
                                        ; implicit-def: $vgpr42
                                        ; implicit-def: $vgpr41
                                        ; implicit-def: $vgpr40
                                        ; implicit-def: $vgpr39
                                        ; implicit-def: $vgpr38
.LBB505_986:                            ;   in Loop: Header=BB505_982 Depth=2
	s_lshl_b64 s[16:17], s[34:35], 2
	s_waitcnt vmcnt(13)
	v_bfrev_b32_e32 v148, 1
	v_add_co_u32 v36, vcc_lo, v126, s16
	v_add_co_ci_u32_e32 v37, vcc_lo, s17, v127, vcc_lo
	v_bfrev_b32_e32 v2, 1
	s_mov_b32 s16, exec_lo
	v_cmpx_gt_u32_e64 s40, v108
	s_cbranch_execz .LBB505_988
; %bb.987:                              ;   in Loop: Header=BB505_982 Depth=2
	global_load_b32 v2, v[36:37], off
.LBB505_988:                            ;   in Loop: Header=BB505_982 Depth=2
	s_or_b32 exec_lo, exec_lo, s16
	s_delay_alu instid0(SALU_CYCLE_1)
	s_mov_b32 s16, exec_lo
	v_cmpx_gt_u32_e64 s40, v111
	s_cbranch_execz .LBB505_990
; %bb.989:                              ;   in Loop: Header=BB505_982 Depth=2
	global_load_b32 v148, v[36:37], off offset:128
.LBB505_990:                            ;   in Loop: Header=BB505_982 Depth=2
	s_or_b32 exec_lo, exec_lo, s16
	s_waitcnt vmcnt(11)
	v_bfrev_b32_e32 v155, 1
	v_bfrev_b32_e32 v151, 1
	s_mov_b32 s16, exec_lo
	v_cmpx_gt_u32_e64 s40, v112
	s_cbranch_execz .LBB505_992
; %bb.991:                              ;   in Loop: Header=BB505_982 Depth=2
	global_load_b32 v151, v[36:37], off offset:256
.LBB505_992:                            ;   in Loop: Header=BB505_982 Depth=2
	s_or_b32 exec_lo, exec_lo, s16
	s_delay_alu instid0(SALU_CYCLE_1)
	s_mov_b32 s16, exec_lo
	v_cmpx_gt_u32_e64 s40, v113
	s_cbranch_execz .LBB505_994
; %bb.993:                              ;   in Loop: Header=BB505_982 Depth=2
	global_load_b32 v155, v[36:37], off offset:384
.LBB505_994:                            ;   in Loop: Header=BB505_982 Depth=2
	s_or_b32 exec_lo, exec_lo, s16
	s_waitcnt vmcnt(9)
	v_bfrev_b32_e32 v163, 1
	v_bfrev_b32_e32 v159, 1
	s_mov_b32 s16, exec_lo
	v_cmpx_gt_u32_e64 s40, v114
	s_cbranch_execz .LBB505_996
; %bb.995:                              ;   in Loop: Header=BB505_982 Depth=2
	global_load_b32 v159, v[36:37], off offset:512
.LBB505_996:                            ;   in Loop: Header=BB505_982 Depth=2
	s_or_b32 exec_lo, exec_lo, s16
	s_delay_alu instid0(SALU_CYCLE_1)
	s_mov_b32 s16, exec_lo
	v_cmpx_gt_u32_e64 s40, v115
	s_cbranch_execz .LBB505_998
; %bb.997:                              ;   in Loop: Header=BB505_982 Depth=2
	global_load_b32 v163, v[36:37], off offset:640
.LBB505_998:                            ;   in Loop: Header=BB505_982 Depth=2
	s_or_b32 exec_lo, exec_lo, s16
	s_waitcnt vmcnt(7)
	v_bfrev_b32_e32 v172, 1
	v_bfrev_b32_e32 v167, 1
	s_mov_b32 s16, exec_lo
	v_cmpx_gt_u32_e64 s40, v116
	s_cbranch_execz .LBB505_1000
; %bb.999:                              ;   in Loop: Header=BB505_982 Depth=2
	global_load_b32 v167, v[36:37], off offset:768
.LBB505_1000:                           ;   in Loop: Header=BB505_982 Depth=2
	s_or_b32 exec_lo, exec_lo, s16
	s_delay_alu instid0(SALU_CYCLE_1)
	s_mov_b32 s16, exec_lo
	v_cmpx_gt_u32_e64 s40, v117
	s_cbranch_execz .LBB505_1002
; %bb.1001:                             ;   in Loop: Header=BB505_982 Depth=2
	global_load_b32 v172, v[36:37], off offset:896
.LBB505_1002:                           ;   in Loop: Header=BB505_982 Depth=2
	s_or_b32 exec_lo, exec_lo, s16
	s_waitcnt vmcnt(5)
	v_bfrev_b32_e32 v43, 1
	v_bfrev_b32_e32 v171, 1
	s_mov_b32 s16, exec_lo
	v_cmpx_gt_u32_e64 s40, v118
	s_cbranch_execz .LBB505_1004
; %bb.1003:                             ;   in Loop: Header=BB505_982 Depth=2
	global_load_b32 v171, v[36:37], off offset:1024
.LBB505_1004:                           ;   in Loop: Header=BB505_982 Depth=2
	s_or_b32 exec_lo, exec_lo, s16
	s_delay_alu instid0(SALU_CYCLE_1)
	s_mov_b32 s16, exec_lo
	v_cmpx_gt_u32_e64 s40, v119
	s_cbranch_execz .LBB505_1006
; %bb.1005:                             ;   in Loop: Header=BB505_982 Depth=2
	global_load_b32 v43, v[36:37], off offset:1152
.LBB505_1006:                           ;   in Loop: Header=BB505_982 Depth=2
	s_or_b32 exec_lo, exec_lo, s16
	s_waitcnt vmcnt(3)
	v_bfrev_b32_e32 v41, 1
	v_bfrev_b32_e32 v42, 1
	s_mov_b32 s16, exec_lo
	v_cmpx_gt_u32_e64 s40, v120
	s_cbranch_execz .LBB505_1008
; %bb.1007:                             ;   in Loop: Header=BB505_982 Depth=2
	global_load_b32 v42, v[36:37], off offset:1280
.LBB505_1008:                           ;   in Loop: Header=BB505_982 Depth=2
	;; [unrolled: 18-line block ×3, first 2 shown]
	s_or_b32 exec_lo, exec_lo, s16
	s_delay_alu instid0(SALU_CYCLE_1)
	s_mov_b32 s16, exec_lo
	v_cmpx_gt_u32_e64 s40, v123
	s_cbranch_execz .LBB505_1014
; %bb.1013:                             ;   in Loop: Header=BB505_982 Depth=2
	global_load_b32 v39, v[36:37], off offset:1664
.LBB505_1014:                           ;   in Loop: Header=BB505_982 Depth=2
	s_or_b32 exec_lo, exec_lo, s16
	s_waitcnt vmcnt(0)
	v_bfrev_b32_e32 v38, 1
	s_mov_b32 s16, exec_lo
	v_cmpx_gt_u32_e64 s40, v124
	s_cbranch_execz .LBB505_1016
; %bb.1015:                             ;   in Loop: Header=BB505_982 Depth=2
	global_load_b32 v38, v[36:37], off offset:1792
.LBB505_1016:                           ;   in Loop: Header=BB505_982 Depth=2
	s_or_b32 exec_lo, exec_lo, s16
	v_cmp_gt_u32_e64 s19, s40, v125
	s_sub_i32 s18, s61, s34
	s_brev_b32 s20, 1
	s_mov_b64 s[16:17], s[34:35]
	v_dual_mov_b32 v36, s20 :: v_dual_mov_b32 v147, s40
	s_and_saveexec_b32 s20, s19
	s_cbranch_execz .LBB505_1018
.LBB505_1017:                           ;   in Loop: Header=BB505_982 Depth=2
	s_lshl_b64 s[16:17], s[16:17], 2
	v_mov_b32_e32 v147, s18
	v_add_co_u32 v36, vcc_lo, v129, s16
	v_add_co_ci_u32_e32 v37, vcc_lo, s17, v130, vcc_lo
	global_load_b32 v36, v[36:37], off
.LBB505_1018:                           ;   in Loop: Header=BB505_982 Depth=2
	s_or_b32 exec_lo, exec_lo, s20
	s_waitcnt vmcnt(14)
	v_xor_b32_e32 v2, 0x7fffffff, v2
	ds_store_b32 v70, v3 offset:1056
	ds_store_2addr_b32 v71, v3, v3 offset0:1 offset1:2
	ds_store_2addr_b32 v71, v3, v3 offset0:3 offset1:4
	;; [unrolled: 1-line block ×4, first 2 shown]
	s_waitcnt vmcnt(0) lgkmcnt(0)
	s_barrier
	v_lshrrev_b32_e32 v37, s57, v2
	buffer_gl0_inv
	; wave barrier
	v_and_b32_e32 v150, s39, v37
	s_delay_alu instid0(VALU_DEP_1)
	v_and_b32_e32 v37, 1, v150
	v_lshlrev_b32_e32 v149, 30, v150
	v_lshlrev_b32_e32 v152, 29, v150
	;; [unrolled: 1-line block ×4, first 2 shown]
	v_add_co_u32 v37, s16, v37, -1
	s_delay_alu instid0(VALU_DEP_1)
	v_cndmask_b32_e64 v154, 0, 1, s16
	v_not_b32_e32 v160, v149
	v_cmp_gt_i32_e64 s16, 0, v149
	v_not_b32_e32 v149, v152
	v_lshlrev_b32_e32 v157, 26, v150
	v_cmp_ne_u32_e32 vcc_lo, 0, v154
	v_ashrrev_i32_e32 v160, 31, v160
	v_lshlrev_b32_e32 v158, 25, v150
	v_ashrrev_i32_e32 v149, 31, v149
	v_lshlrev_b32_e32 v154, 24, v150
	v_xor_b32_e32 v37, vcc_lo, v37
	v_cmp_gt_i32_e32 vcc_lo, 0, v152
	v_not_b32_e32 v152, v153
	v_xor_b32_e32 v160, s16, v160
	v_cmp_gt_i32_e64 s16, 0, v153
	v_and_b32_e32 v37, exec_lo, v37
	v_not_b32_e32 v153, v156
	v_ashrrev_i32_e32 v152, 31, v152
	v_xor_b32_e32 v149, vcc_lo, v149
	v_cmp_gt_i32_e32 vcc_lo, 0, v156
	v_and_b32_e32 v37, v37, v160
	v_not_b32_e32 v156, v157
	v_ashrrev_i32_e32 v153, 31, v153
	v_xor_b32_e32 v152, s16, v152
	v_cmp_gt_i32_e64 s16, 0, v157
	v_and_b32_e32 v37, v37, v149
	v_not_b32_e32 v149, v158
	v_ashrrev_i32_e32 v156, 31, v156
	v_xor_b32_e32 v153, vcc_lo, v153
	v_cmp_gt_i32_e32 vcc_lo, 0, v158
	v_and_b32_e32 v37, v37, v152
	v_not_b32_e32 v152, v154
	v_ashrrev_i32_e32 v149, 31, v149
	v_xor_b32_e32 v156, s16, v156
	v_cmp_gt_i32_e64 s16, 0, v154
	v_and_b32_e32 v37, v37, v153
	v_ashrrev_i32_e32 v152, 31, v152
	v_xor_b32_e32 v149, vcc_lo, v149
	v_mad_u32_u24 v150, v150, 9, v128
	s_delay_alu instid0(VALU_DEP_4) | instskip(NEXT) | instid1(VALU_DEP_4)
	v_and_b32_e32 v37, v37, v156
	v_xor_b32_e32 v152, s16, v152
	s_delay_alu instid0(VALU_DEP_3) | instskip(NEXT) | instid1(VALU_DEP_3)
	v_lshl_add_u32 v150, v150, 2, 0x420
	v_and_b32_e32 v37, v37, v149
	s_delay_alu instid0(VALU_DEP_1) | instskip(NEXT) | instid1(VALU_DEP_1)
	v_and_b32_e32 v37, v37, v152
	v_mbcnt_lo_u32_b32 v149, v37, 0
	v_cmp_ne_u32_e64 s16, 0, v37
	s_delay_alu instid0(VALU_DEP_2) | instskip(NEXT) | instid1(VALU_DEP_2)
	v_cmp_eq_u32_e32 vcc_lo, 0, v149
	s_and_b32 s17, s16, vcc_lo
	s_delay_alu instid0(SALU_CYCLE_1)
	s_and_saveexec_b32 s16, s17
	s_cbranch_execz .LBB505_1020
; %bb.1019:                             ;   in Loop: Header=BB505_982 Depth=2
	v_bcnt_u32_b32 v37, v37, 0
	ds_store_b32 v150, v37
.LBB505_1020:                           ;   in Loop: Header=BB505_982 Depth=2
	s_or_b32 exec_lo, exec_lo, s16
	v_xor_b32_e32 v148, 0x7fffffff, v148
	; wave barrier
	s_delay_alu instid0(VALU_DEP_1) | instskip(NEXT) | instid1(VALU_DEP_1)
	v_lshrrev_b32_e32 v37, s57, v148
	v_and_b32_e32 v37, s39, v37
	s_delay_alu instid0(VALU_DEP_1)
	v_and_b32_e32 v152, 1, v37
	v_lshlrev_b32_e32 v153, 30, v37
	v_lshlrev_b32_e32 v154, 29, v37
	;; [unrolled: 1-line block ×4, first 2 shown]
	v_add_co_u32 v152, s16, v152, -1
	s_delay_alu instid0(VALU_DEP_1)
	v_cndmask_b32_e64 v157, 0, 1, s16
	v_not_b32_e32 v162, v153
	v_cmp_gt_i32_e64 s16, 0, v153
	v_not_b32_e32 v153, v154
	v_lshlrev_b32_e32 v160, 26, v37
	v_cmp_ne_u32_e32 vcc_lo, 0, v157
	v_ashrrev_i32_e32 v162, 31, v162
	v_lshlrev_b32_e32 v161, 25, v37
	v_ashrrev_i32_e32 v153, 31, v153
	v_lshlrev_b32_e32 v157, 24, v37
	v_xor_b32_e32 v152, vcc_lo, v152
	v_cmp_gt_i32_e32 vcc_lo, 0, v154
	v_not_b32_e32 v154, v156
	v_xor_b32_e32 v162, s16, v162
	v_cmp_gt_i32_e64 s16, 0, v156
	v_and_b32_e32 v152, exec_lo, v152
	v_not_b32_e32 v156, v158
	v_ashrrev_i32_e32 v154, 31, v154
	v_xor_b32_e32 v153, vcc_lo, v153
	v_cmp_gt_i32_e32 vcc_lo, 0, v158
	v_and_b32_e32 v152, v152, v162
	v_not_b32_e32 v158, v160
	v_ashrrev_i32_e32 v156, 31, v156
	v_xor_b32_e32 v154, s16, v154
	v_cmp_gt_i32_e64 s16, 0, v160
	v_and_b32_e32 v152, v152, v153
	v_not_b32_e32 v153, v161
	v_ashrrev_i32_e32 v158, 31, v158
	v_xor_b32_e32 v156, vcc_lo, v156
	v_cmp_gt_i32_e32 vcc_lo, 0, v161
	v_and_b32_e32 v152, v152, v154
	v_not_b32_e32 v154, v157
	v_ashrrev_i32_e32 v153, 31, v153
	v_xor_b32_e32 v158, s16, v158
	v_mul_u32_u24_e32 v37, 9, v37
	v_and_b32_e32 v152, v152, v156
	v_cmp_gt_i32_e64 s16, 0, v157
	v_ashrrev_i32_e32 v154, 31, v154
	v_xor_b32_e32 v153, vcc_lo, v153
	v_add_lshl_u32 v156, v37, v128, 2
	v_and_b32_e32 v152, v152, v158
	s_delay_alu instid0(VALU_DEP_4) | instskip(NEXT) | instid1(VALU_DEP_3)
	v_xor_b32_e32 v37, s16, v154
	v_add_nc_u32_e32 v154, 0x420, v156
	s_delay_alu instid0(VALU_DEP_3) | instskip(SKIP_2) | instid1(VALU_DEP_1)
	v_and_b32_e32 v153, v152, v153
	ds_load_b32 v152, v156 offset:1056
	; wave barrier
	v_and_b32_e32 v37, v153, v37
	v_mbcnt_lo_u32_b32 v153, v37, 0
	v_cmp_ne_u32_e64 s16, 0, v37
	s_delay_alu instid0(VALU_DEP_2) | instskip(NEXT) | instid1(VALU_DEP_2)
	v_cmp_eq_u32_e32 vcc_lo, 0, v153
	s_and_b32 s17, s16, vcc_lo
	s_delay_alu instid0(SALU_CYCLE_1)
	s_and_saveexec_b32 s16, s17
	s_cbranch_execz .LBB505_1022
; %bb.1021:                             ;   in Loop: Header=BB505_982 Depth=2
	s_waitcnt lgkmcnt(0)
	v_bcnt_u32_b32 v37, v37, v152
	ds_store_b32 v154, v37
.LBB505_1022:                           ;   in Loop: Header=BB505_982 Depth=2
	s_or_b32 exec_lo, exec_lo, s16
	v_xor_b32_e32 v151, 0x7fffffff, v151
	; wave barrier
	s_delay_alu instid0(VALU_DEP_1) | instskip(NEXT) | instid1(VALU_DEP_1)
	v_lshrrev_b32_e32 v37, s57, v151
	v_and_b32_e32 v37, s39, v37
	s_delay_alu instid0(VALU_DEP_1)
	v_and_b32_e32 v156, 1, v37
	v_lshlrev_b32_e32 v157, 30, v37
	v_lshlrev_b32_e32 v158, 29, v37
	;; [unrolled: 1-line block ×4, first 2 shown]
	v_add_co_u32 v156, s16, v156, -1
	s_delay_alu instid0(VALU_DEP_1)
	v_cndmask_b32_e64 v161, 0, 1, s16
	v_not_b32_e32 v166, v157
	v_cmp_gt_i32_e64 s16, 0, v157
	v_not_b32_e32 v157, v158
	v_lshlrev_b32_e32 v164, 26, v37
	v_cmp_ne_u32_e32 vcc_lo, 0, v161
	v_ashrrev_i32_e32 v166, 31, v166
	v_lshlrev_b32_e32 v165, 25, v37
	v_ashrrev_i32_e32 v157, 31, v157
	v_lshlrev_b32_e32 v161, 24, v37
	v_xor_b32_e32 v156, vcc_lo, v156
	v_cmp_gt_i32_e32 vcc_lo, 0, v158
	v_not_b32_e32 v158, v160
	v_xor_b32_e32 v166, s16, v166
	v_cmp_gt_i32_e64 s16, 0, v160
	v_and_b32_e32 v156, exec_lo, v156
	v_not_b32_e32 v160, v162
	v_ashrrev_i32_e32 v158, 31, v158
	v_xor_b32_e32 v157, vcc_lo, v157
	v_cmp_gt_i32_e32 vcc_lo, 0, v162
	v_and_b32_e32 v156, v156, v166
	v_not_b32_e32 v162, v164
	v_ashrrev_i32_e32 v160, 31, v160
	v_xor_b32_e32 v158, s16, v158
	v_cmp_gt_i32_e64 s16, 0, v164
	v_and_b32_e32 v156, v156, v157
	v_not_b32_e32 v157, v165
	v_ashrrev_i32_e32 v162, 31, v162
	v_xor_b32_e32 v160, vcc_lo, v160
	v_cmp_gt_i32_e32 vcc_lo, 0, v165
	v_and_b32_e32 v156, v156, v158
	v_not_b32_e32 v158, v161
	v_ashrrev_i32_e32 v157, 31, v157
	v_xor_b32_e32 v162, s16, v162
	v_mul_u32_u24_e32 v37, 9, v37
	v_and_b32_e32 v156, v156, v160
	v_cmp_gt_i32_e64 s16, 0, v161
	v_ashrrev_i32_e32 v158, 31, v158
	v_xor_b32_e32 v157, vcc_lo, v157
	v_add_lshl_u32 v160, v37, v128, 2
	v_and_b32_e32 v156, v156, v162
	s_delay_alu instid0(VALU_DEP_4) | instskip(NEXT) | instid1(VALU_DEP_3)
	v_xor_b32_e32 v37, s16, v158
	v_add_nc_u32_e32 v158, 0x420, v160
	s_delay_alu instid0(VALU_DEP_3) | instskip(SKIP_2) | instid1(VALU_DEP_1)
	v_and_b32_e32 v157, v156, v157
	ds_load_b32 v156, v160 offset:1056
	; wave barrier
	v_and_b32_e32 v37, v157, v37
	v_mbcnt_lo_u32_b32 v157, v37, 0
	v_cmp_ne_u32_e64 s16, 0, v37
	s_delay_alu instid0(VALU_DEP_2) | instskip(NEXT) | instid1(VALU_DEP_2)
	v_cmp_eq_u32_e32 vcc_lo, 0, v157
	s_and_b32 s17, s16, vcc_lo
	s_delay_alu instid0(SALU_CYCLE_1)
	s_and_saveexec_b32 s16, s17
	s_cbranch_execz .LBB505_1024
; %bb.1023:                             ;   in Loop: Header=BB505_982 Depth=2
	s_waitcnt lgkmcnt(0)
	v_bcnt_u32_b32 v37, v37, v156
	ds_store_b32 v158, v37
.LBB505_1024:                           ;   in Loop: Header=BB505_982 Depth=2
	s_or_b32 exec_lo, exec_lo, s16
	v_xor_b32_e32 v155, 0x7fffffff, v155
	; wave barrier
	s_delay_alu instid0(VALU_DEP_1) | instskip(NEXT) | instid1(VALU_DEP_1)
	v_lshrrev_b32_e32 v37, s57, v155
	v_and_b32_e32 v37, s39, v37
	s_delay_alu instid0(VALU_DEP_1)
	v_and_b32_e32 v160, 1, v37
	v_lshlrev_b32_e32 v161, 30, v37
	v_lshlrev_b32_e32 v162, 29, v37
	v_lshlrev_b32_e32 v164, 28, v37
	v_lshlrev_b32_e32 v166, 27, v37
	v_add_co_u32 v160, s16, v160, -1
	s_delay_alu instid0(VALU_DEP_1)
	v_cndmask_b32_e64 v165, 0, 1, s16
	v_not_b32_e32 v170, v161
	v_cmp_gt_i32_e64 s16, 0, v161
	v_not_b32_e32 v161, v162
	v_lshlrev_b32_e32 v168, 26, v37
	v_cmp_ne_u32_e32 vcc_lo, 0, v165
	v_ashrrev_i32_e32 v170, 31, v170
	v_lshlrev_b32_e32 v169, 25, v37
	v_ashrrev_i32_e32 v161, 31, v161
	v_lshlrev_b32_e32 v165, 24, v37
	v_xor_b32_e32 v160, vcc_lo, v160
	v_cmp_gt_i32_e32 vcc_lo, 0, v162
	v_not_b32_e32 v162, v164
	v_xor_b32_e32 v170, s16, v170
	v_cmp_gt_i32_e64 s16, 0, v164
	v_and_b32_e32 v160, exec_lo, v160
	v_not_b32_e32 v164, v166
	v_ashrrev_i32_e32 v162, 31, v162
	v_xor_b32_e32 v161, vcc_lo, v161
	v_cmp_gt_i32_e32 vcc_lo, 0, v166
	v_and_b32_e32 v160, v160, v170
	v_not_b32_e32 v166, v168
	v_ashrrev_i32_e32 v164, 31, v164
	v_xor_b32_e32 v162, s16, v162
	v_cmp_gt_i32_e64 s16, 0, v168
	v_and_b32_e32 v160, v160, v161
	v_not_b32_e32 v161, v169
	v_ashrrev_i32_e32 v166, 31, v166
	v_xor_b32_e32 v164, vcc_lo, v164
	v_cmp_gt_i32_e32 vcc_lo, 0, v169
	v_and_b32_e32 v160, v160, v162
	v_not_b32_e32 v162, v165
	v_ashrrev_i32_e32 v161, 31, v161
	v_xor_b32_e32 v166, s16, v166
	v_mul_u32_u24_e32 v37, 9, v37
	v_and_b32_e32 v160, v160, v164
	v_cmp_gt_i32_e64 s16, 0, v165
	v_ashrrev_i32_e32 v162, 31, v162
	v_xor_b32_e32 v161, vcc_lo, v161
	v_add_lshl_u32 v164, v37, v128, 2
	v_and_b32_e32 v160, v160, v166
	s_delay_alu instid0(VALU_DEP_4) | instskip(NEXT) | instid1(VALU_DEP_3)
	v_xor_b32_e32 v37, s16, v162
	v_add_nc_u32_e32 v162, 0x420, v164
	s_delay_alu instid0(VALU_DEP_3) | instskip(SKIP_2) | instid1(VALU_DEP_1)
	v_and_b32_e32 v161, v160, v161
	ds_load_b32 v160, v164 offset:1056
	; wave barrier
	v_and_b32_e32 v37, v161, v37
	v_mbcnt_lo_u32_b32 v161, v37, 0
	v_cmp_ne_u32_e64 s16, 0, v37
	s_delay_alu instid0(VALU_DEP_2) | instskip(NEXT) | instid1(VALU_DEP_2)
	v_cmp_eq_u32_e32 vcc_lo, 0, v161
	s_and_b32 s17, s16, vcc_lo
	s_delay_alu instid0(SALU_CYCLE_1)
	s_and_saveexec_b32 s16, s17
	s_cbranch_execz .LBB505_1026
; %bb.1025:                             ;   in Loop: Header=BB505_982 Depth=2
	s_waitcnt lgkmcnt(0)
	v_bcnt_u32_b32 v37, v37, v160
	ds_store_b32 v162, v37
.LBB505_1026:                           ;   in Loop: Header=BB505_982 Depth=2
	s_or_b32 exec_lo, exec_lo, s16
	v_xor_b32_e32 v159, 0x7fffffff, v159
	; wave barrier
	s_delay_alu instid0(VALU_DEP_1) | instskip(NEXT) | instid1(VALU_DEP_1)
	v_lshrrev_b32_e32 v37, s57, v159
	v_and_b32_e32 v37, s39, v37
	s_delay_alu instid0(VALU_DEP_1)
	v_and_b32_e32 v164, 1, v37
	v_lshlrev_b32_e32 v165, 30, v37
	v_lshlrev_b32_e32 v166, 29, v37
	v_lshlrev_b32_e32 v168, 28, v37
	v_lshlrev_b32_e32 v170, 27, v37
	v_add_co_u32 v164, s16, v164, -1
	s_delay_alu instid0(VALU_DEP_1)
	v_cndmask_b32_e64 v169, 0, 1, s16
	v_not_b32_e32 v175, v165
	v_cmp_gt_i32_e64 s16, 0, v165
	v_not_b32_e32 v165, v166
	v_lshlrev_b32_e32 v173, 26, v37
	v_cmp_ne_u32_e32 vcc_lo, 0, v169
	v_ashrrev_i32_e32 v175, 31, v175
	v_lshlrev_b32_e32 v174, 25, v37
	v_ashrrev_i32_e32 v165, 31, v165
	v_lshlrev_b32_e32 v169, 24, v37
	v_xor_b32_e32 v164, vcc_lo, v164
	v_cmp_gt_i32_e32 vcc_lo, 0, v166
	v_not_b32_e32 v166, v168
	v_xor_b32_e32 v175, s16, v175
	v_cmp_gt_i32_e64 s16, 0, v168
	v_and_b32_e32 v164, exec_lo, v164
	v_not_b32_e32 v168, v170
	v_ashrrev_i32_e32 v166, 31, v166
	v_xor_b32_e32 v165, vcc_lo, v165
	v_cmp_gt_i32_e32 vcc_lo, 0, v170
	v_and_b32_e32 v164, v164, v175
	v_not_b32_e32 v170, v173
	v_ashrrev_i32_e32 v168, 31, v168
	v_xor_b32_e32 v166, s16, v166
	v_cmp_gt_i32_e64 s16, 0, v173
	v_and_b32_e32 v164, v164, v165
	v_not_b32_e32 v165, v174
	v_ashrrev_i32_e32 v170, 31, v170
	v_xor_b32_e32 v168, vcc_lo, v168
	v_cmp_gt_i32_e32 vcc_lo, 0, v174
	v_and_b32_e32 v164, v164, v166
	v_not_b32_e32 v166, v169
	v_ashrrev_i32_e32 v165, 31, v165
	v_xor_b32_e32 v170, s16, v170
	v_mul_u32_u24_e32 v37, 9, v37
	v_and_b32_e32 v164, v164, v168
	v_cmp_gt_i32_e64 s16, 0, v169
	v_ashrrev_i32_e32 v166, 31, v166
	v_xor_b32_e32 v165, vcc_lo, v165
	v_add_lshl_u32 v168, v37, v128, 2
	v_and_b32_e32 v164, v164, v170
	s_delay_alu instid0(VALU_DEP_4) | instskip(NEXT) | instid1(VALU_DEP_3)
	v_xor_b32_e32 v37, s16, v166
	v_add_nc_u32_e32 v166, 0x420, v168
	s_delay_alu instid0(VALU_DEP_3) | instskip(SKIP_2) | instid1(VALU_DEP_1)
	v_and_b32_e32 v165, v164, v165
	ds_load_b32 v164, v168 offset:1056
	; wave barrier
	v_and_b32_e32 v37, v165, v37
	v_mbcnt_lo_u32_b32 v165, v37, 0
	v_cmp_ne_u32_e64 s16, 0, v37
	s_delay_alu instid0(VALU_DEP_2) | instskip(NEXT) | instid1(VALU_DEP_2)
	v_cmp_eq_u32_e32 vcc_lo, 0, v165
	s_and_b32 s17, s16, vcc_lo
	s_delay_alu instid0(SALU_CYCLE_1)
	s_and_saveexec_b32 s16, s17
	s_cbranch_execz .LBB505_1028
; %bb.1027:                             ;   in Loop: Header=BB505_982 Depth=2
	s_waitcnt lgkmcnt(0)
	v_bcnt_u32_b32 v37, v37, v164
	ds_store_b32 v166, v37
.LBB505_1028:                           ;   in Loop: Header=BB505_982 Depth=2
	s_or_b32 exec_lo, exec_lo, s16
	v_xor_b32_e32 v163, 0x7fffffff, v163
	; wave barrier
	s_delay_alu instid0(VALU_DEP_1) | instskip(NEXT) | instid1(VALU_DEP_1)
	v_lshrrev_b32_e32 v37, s57, v163
	v_and_b32_e32 v37, s39, v37
	s_delay_alu instid0(VALU_DEP_1)
	v_and_b32_e32 v168, 1, v37
	v_lshlrev_b32_e32 v169, 30, v37
	v_lshlrev_b32_e32 v170, 29, v37
	;; [unrolled: 1-line block ×4, first 2 shown]
	v_add_co_u32 v168, s16, v168, -1
	s_delay_alu instid0(VALU_DEP_1)
	v_cndmask_b32_e64 v174, 0, 1, s16
	v_not_b32_e32 v178, v169
	v_cmp_gt_i32_e64 s16, 0, v169
	v_not_b32_e32 v169, v170
	v_lshlrev_b32_e32 v176, 26, v37
	v_cmp_ne_u32_e32 vcc_lo, 0, v174
	v_ashrrev_i32_e32 v178, 31, v178
	v_lshlrev_b32_e32 v177, 25, v37
	v_ashrrev_i32_e32 v169, 31, v169
	v_lshlrev_b32_e32 v174, 24, v37
	v_xor_b32_e32 v168, vcc_lo, v168
	v_cmp_gt_i32_e32 vcc_lo, 0, v170
	v_not_b32_e32 v170, v173
	v_xor_b32_e32 v178, s16, v178
	v_cmp_gt_i32_e64 s16, 0, v173
	v_and_b32_e32 v168, exec_lo, v168
	v_not_b32_e32 v173, v175
	v_ashrrev_i32_e32 v170, 31, v170
	v_xor_b32_e32 v169, vcc_lo, v169
	v_cmp_gt_i32_e32 vcc_lo, 0, v175
	v_and_b32_e32 v168, v168, v178
	v_not_b32_e32 v175, v176
	v_ashrrev_i32_e32 v173, 31, v173
	v_xor_b32_e32 v170, s16, v170
	v_cmp_gt_i32_e64 s16, 0, v176
	v_and_b32_e32 v168, v168, v169
	v_not_b32_e32 v169, v177
	v_ashrrev_i32_e32 v175, 31, v175
	v_xor_b32_e32 v173, vcc_lo, v173
	v_cmp_gt_i32_e32 vcc_lo, 0, v177
	v_and_b32_e32 v168, v168, v170
	v_not_b32_e32 v170, v174
	v_ashrrev_i32_e32 v169, 31, v169
	v_xor_b32_e32 v175, s16, v175
	v_mul_u32_u24_e32 v37, 9, v37
	v_and_b32_e32 v168, v168, v173
	v_cmp_gt_i32_e64 s16, 0, v174
	v_ashrrev_i32_e32 v170, 31, v170
	v_xor_b32_e32 v169, vcc_lo, v169
	v_add_lshl_u32 v173, v37, v128, 2
	v_and_b32_e32 v168, v168, v175
	s_delay_alu instid0(VALU_DEP_4) | instskip(NEXT) | instid1(VALU_DEP_3)
	v_xor_b32_e32 v37, s16, v170
	v_add_nc_u32_e32 v170, 0x420, v173
	s_delay_alu instid0(VALU_DEP_3) | instskip(SKIP_2) | instid1(VALU_DEP_1)
	v_and_b32_e32 v169, v168, v169
	ds_load_b32 v168, v173 offset:1056
	; wave barrier
	v_and_b32_e32 v37, v169, v37
	v_mbcnt_lo_u32_b32 v169, v37, 0
	v_cmp_ne_u32_e64 s16, 0, v37
	s_delay_alu instid0(VALU_DEP_2) | instskip(NEXT) | instid1(VALU_DEP_2)
	v_cmp_eq_u32_e32 vcc_lo, 0, v169
	s_and_b32 s17, s16, vcc_lo
	s_delay_alu instid0(SALU_CYCLE_1)
	s_and_saveexec_b32 s16, s17
	s_cbranch_execz .LBB505_1030
; %bb.1029:                             ;   in Loop: Header=BB505_982 Depth=2
	s_waitcnt lgkmcnt(0)
	v_bcnt_u32_b32 v37, v37, v168
	ds_store_b32 v170, v37
.LBB505_1030:                           ;   in Loop: Header=BB505_982 Depth=2
	s_or_b32 exec_lo, exec_lo, s16
	v_xor_b32_e32 v167, 0x7fffffff, v167
	; wave barrier
	s_delay_alu instid0(VALU_DEP_1) | instskip(NEXT) | instid1(VALU_DEP_1)
	v_lshrrev_b32_e32 v37, s57, v167
	v_and_b32_e32 v37, s39, v37
	s_delay_alu instid0(VALU_DEP_1)
	v_and_b32_e32 v173, 1, v37
	v_lshlrev_b32_e32 v174, 30, v37
	v_lshlrev_b32_e32 v175, 29, v37
	;; [unrolled: 1-line block ×4, first 2 shown]
	v_add_co_u32 v173, s16, v173, -1
	s_delay_alu instid0(VALU_DEP_1)
	v_cndmask_b32_e64 v177, 0, 1, s16
	v_not_b32_e32 v181, v174
	v_cmp_gt_i32_e64 s16, 0, v174
	v_not_b32_e32 v174, v175
	v_lshlrev_b32_e32 v179, 26, v37
	v_cmp_ne_u32_e32 vcc_lo, 0, v177
	v_ashrrev_i32_e32 v181, 31, v181
	v_lshlrev_b32_e32 v180, 25, v37
	v_ashrrev_i32_e32 v174, 31, v174
	v_lshlrev_b32_e32 v177, 24, v37
	v_xor_b32_e32 v173, vcc_lo, v173
	v_cmp_gt_i32_e32 vcc_lo, 0, v175
	v_not_b32_e32 v175, v176
	v_xor_b32_e32 v181, s16, v181
	v_cmp_gt_i32_e64 s16, 0, v176
	v_and_b32_e32 v173, exec_lo, v173
	v_not_b32_e32 v176, v178
	v_ashrrev_i32_e32 v175, 31, v175
	v_xor_b32_e32 v174, vcc_lo, v174
	v_cmp_gt_i32_e32 vcc_lo, 0, v178
	v_and_b32_e32 v173, v173, v181
	v_not_b32_e32 v178, v179
	v_ashrrev_i32_e32 v176, 31, v176
	v_xor_b32_e32 v175, s16, v175
	v_cmp_gt_i32_e64 s16, 0, v179
	v_and_b32_e32 v173, v173, v174
	v_not_b32_e32 v174, v180
	v_ashrrev_i32_e32 v178, 31, v178
	v_xor_b32_e32 v176, vcc_lo, v176
	v_cmp_gt_i32_e32 vcc_lo, 0, v180
	v_and_b32_e32 v173, v173, v175
	v_not_b32_e32 v175, v177
	v_ashrrev_i32_e32 v174, 31, v174
	v_xor_b32_e32 v178, s16, v178
	v_mul_u32_u24_e32 v37, 9, v37
	v_and_b32_e32 v173, v173, v176
	v_cmp_gt_i32_e64 s16, 0, v177
	v_ashrrev_i32_e32 v175, 31, v175
	v_xor_b32_e32 v174, vcc_lo, v174
	v_add_lshl_u32 v176, v37, v128, 2
	v_and_b32_e32 v173, v173, v178
	s_delay_alu instid0(VALU_DEP_4) | instskip(NEXT) | instid1(VALU_DEP_3)
	v_xor_b32_e32 v37, s16, v175
	v_add_nc_u32_e32 v175, 0x420, v176
	s_delay_alu instid0(VALU_DEP_3) | instskip(SKIP_2) | instid1(VALU_DEP_1)
	v_and_b32_e32 v174, v173, v174
	ds_load_b32 v173, v176 offset:1056
	; wave barrier
	v_and_b32_e32 v37, v174, v37
	v_mbcnt_lo_u32_b32 v174, v37, 0
	v_cmp_ne_u32_e64 s16, 0, v37
	s_delay_alu instid0(VALU_DEP_2) | instskip(NEXT) | instid1(VALU_DEP_2)
	v_cmp_eq_u32_e32 vcc_lo, 0, v174
	s_and_b32 s17, s16, vcc_lo
	s_delay_alu instid0(SALU_CYCLE_1)
	s_and_saveexec_b32 s16, s17
	s_cbranch_execz .LBB505_1032
; %bb.1031:                             ;   in Loop: Header=BB505_982 Depth=2
	s_waitcnt lgkmcnt(0)
	v_bcnt_u32_b32 v37, v37, v173
	ds_store_b32 v175, v37
.LBB505_1032:                           ;   in Loop: Header=BB505_982 Depth=2
	s_or_b32 exec_lo, exec_lo, s16
	v_xor_b32_e32 v172, 0x7fffffff, v172
	; wave barrier
	s_delay_alu instid0(VALU_DEP_1) | instskip(NEXT) | instid1(VALU_DEP_1)
	v_lshrrev_b32_e32 v37, s57, v172
	v_and_b32_e32 v37, s39, v37
	s_delay_alu instid0(VALU_DEP_1)
	v_and_b32_e32 v176, 1, v37
	v_lshlrev_b32_e32 v177, 30, v37
	v_lshlrev_b32_e32 v178, 29, v37
	;; [unrolled: 1-line block ×4, first 2 shown]
	v_add_co_u32 v176, s16, v176, -1
	s_delay_alu instid0(VALU_DEP_1)
	v_cndmask_b32_e64 v180, 0, 1, s16
	v_not_b32_e32 v184, v177
	v_cmp_gt_i32_e64 s16, 0, v177
	v_not_b32_e32 v177, v178
	v_lshlrev_b32_e32 v182, 26, v37
	v_cmp_ne_u32_e32 vcc_lo, 0, v180
	v_ashrrev_i32_e32 v184, 31, v184
	v_lshlrev_b32_e32 v183, 25, v37
	v_ashrrev_i32_e32 v177, 31, v177
	v_lshlrev_b32_e32 v180, 24, v37
	v_xor_b32_e32 v176, vcc_lo, v176
	v_cmp_gt_i32_e32 vcc_lo, 0, v178
	v_not_b32_e32 v178, v179
	v_xor_b32_e32 v184, s16, v184
	v_cmp_gt_i32_e64 s16, 0, v179
	v_and_b32_e32 v176, exec_lo, v176
	v_not_b32_e32 v179, v181
	v_ashrrev_i32_e32 v178, 31, v178
	v_xor_b32_e32 v177, vcc_lo, v177
	v_cmp_gt_i32_e32 vcc_lo, 0, v181
	v_and_b32_e32 v176, v176, v184
	v_not_b32_e32 v181, v182
	v_ashrrev_i32_e32 v179, 31, v179
	v_xor_b32_e32 v178, s16, v178
	v_cmp_gt_i32_e64 s16, 0, v182
	v_and_b32_e32 v176, v176, v177
	v_not_b32_e32 v177, v183
	v_ashrrev_i32_e32 v181, 31, v181
	v_xor_b32_e32 v179, vcc_lo, v179
	v_cmp_gt_i32_e32 vcc_lo, 0, v183
	v_and_b32_e32 v176, v176, v178
	v_not_b32_e32 v178, v180
	v_ashrrev_i32_e32 v177, 31, v177
	v_xor_b32_e32 v181, s16, v181
	v_mul_u32_u24_e32 v37, 9, v37
	v_and_b32_e32 v176, v176, v179
	v_cmp_gt_i32_e64 s16, 0, v180
	v_ashrrev_i32_e32 v178, 31, v178
	v_xor_b32_e32 v177, vcc_lo, v177
	v_add_lshl_u32 v179, v37, v128, 2
	v_and_b32_e32 v176, v176, v181
	s_delay_alu instid0(VALU_DEP_4) | instskip(NEXT) | instid1(VALU_DEP_3)
	v_xor_b32_e32 v37, s16, v178
	v_add_nc_u32_e32 v178, 0x420, v179
	s_delay_alu instid0(VALU_DEP_3) | instskip(SKIP_2) | instid1(VALU_DEP_1)
	v_and_b32_e32 v177, v176, v177
	ds_load_b32 v176, v179 offset:1056
	; wave barrier
	v_and_b32_e32 v37, v177, v37
	v_mbcnt_lo_u32_b32 v177, v37, 0
	v_cmp_ne_u32_e64 s16, 0, v37
	s_delay_alu instid0(VALU_DEP_2) | instskip(NEXT) | instid1(VALU_DEP_2)
	v_cmp_eq_u32_e32 vcc_lo, 0, v177
	s_and_b32 s17, s16, vcc_lo
	s_delay_alu instid0(SALU_CYCLE_1)
	s_and_saveexec_b32 s16, s17
	s_cbranch_execz .LBB505_1034
; %bb.1033:                             ;   in Loop: Header=BB505_982 Depth=2
	s_waitcnt lgkmcnt(0)
	v_bcnt_u32_b32 v37, v37, v176
	ds_store_b32 v178, v37
.LBB505_1034:                           ;   in Loop: Header=BB505_982 Depth=2
	s_or_b32 exec_lo, exec_lo, s16
	v_xor_b32_e32 v171, 0x7fffffff, v171
	; wave barrier
	s_delay_alu instid0(VALU_DEP_1) | instskip(NEXT) | instid1(VALU_DEP_1)
	v_lshrrev_b32_e32 v37, s57, v171
	v_and_b32_e32 v37, s39, v37
	s_delay_alu instid0(VALU_DEP_1)
	v_and_b32_e32 v179, 1, v37
	v_lshlrev_b32_e32 v180, 30, v37
	v_lshlrev_b32_e32 v181, 29, v37
	;; [unrolled: 1-line block ×4, first 2 shown]
	v_add_co_u32 v179, s16, v179, -1
	s_delay_alu instid0(VALU_DEP_1)
	v_cndmask_b32_e64 v183, 0, 1, s16
	v_not_b32_e32 v187, v180
	v_cmp_gt_i32_e64 s16, 0, v180
	v_not_b32_e32 v180, v181
	v_lshlrev_b32_e32 v185, 26, v37
	v_cmp_ne_u32_e32 vcc_lo, 0, v183
	v_ashrrev_i32_e32 v187, 31, v187
	v_lshlrev_b32_e32 v186, 25, v37
	v_ashrrev_i32_e32 v180, 31, v180
	v_lshlrev_b32_e32 v183, 24, v37
	v_xor_b32_e32 v179, vcc_lo, v179
	v_cmp_gt_i32_e32 vcc_lo, 0, v181
	v_not_b32_e32 v181, v182
	v_xor_b32_e32 v187, s16, v187
	v_cmp_gt_i32_e64 s16, 0, v182
	v_and_b32_e32 v179, exec_lo, v179
	v_not_b32_e32 v182, v184
	v_ashrrev_i32_e32 v181, 31, v181
	v_xor_b32_e32 v180, vcc_lo, v180
	v_cmp_gt_i32_e32 vcc_lo, 0, v184
	v_and_b32_e32 v179, v179, v187
	v_not_b32_e32 v184, v185
	v_ashrrev_i32_e32 v182, 31, v182
	v_xor_b32_e32 v181, s16, v181
	v_cmp_gt_i32_e64 s16, 0, v185
	v_and_b32_e32 v179, v179, v180
	v_not_b32_e32 v180, v186
	v_ashrrev_i32_e32 v184, 31, v184
	v_xor_b32_e32 v182, vcc_lo, v182
	v_cmp_gt_i32_e32 vcc_lo, 0, v186
	v_and_b32_e32 v179, v179, v181
	v_not_b32_e32 v181, v183
	v_ashrrev_i32_e32 v180, 31, v180
	v_xor_b32_e32 v184, s16, v184
	v_mul_u32_u24_e32 v37, 9, v37
	v_and_b32_e32 v179, v179, v182
	v_cmp_gt_i32_e64 s16, 0, v183
	v_ashrrev_i32_e32 v181, 31, v181
	v_xor_b32_e32 v180, vcc_lo, v180
	v_add_lshl_u32 v182, v37, v128, 2
	v_and_b32_e32 v179, v179, v184
	s_delay_alu instid0(VALU_DEP_4) | instskip(NEXT) | instid1(VALU_DEP_2)
	v_xor_b32_e32 v37, s16, v181
	v_and_b32_e32 v179, v179, v180
	ds_load_b32 v180, v182 offset:1056
	v_add_nc_u32_e32 v182, 0x420, v182
	; wave barrier
	v_and_b32_e32 v37, v179, v37
	s_delay_alu instid0(VALU_DEP_1) | instskip(SKIP_1) | instid1(VALU_DEP_2)
	v_mbcnt_lo_u32_b32 v181, v37, 0
	v_cmp_ne_u32_e64 s16, 0, v37
	v_cmp_eq_u32_e32 vcc_lo, 0, v181
	s_delay_alu instid0(VALU_DEP_2) | instskip(NEXT) | instid1(SALU_CYCLE_1)
	s_and_b32 s17, s16, vcc_lo
	s_and_saveexec_b32 s16, s17
	s_cbranch_execz .LBB505_1036
; %bb.1035:                             ;   in Loop: Header=BB505_982 Depth=2
	s_waitcnt lgkmcnt(0)
	v_bcnt_u32_b32 v37, v37, v180
	ds_store_b32 v182, v37
.LBB505_1036:                           ;   in Loop: Header=BB505_982 Depth=2
	s_or_b32 exec_lo, exec_lo, s16
	v_xor_b32_e32 v179, 0x7fffffff, v43
	; wave barrier
	s_delay_alu instid0(VALU_DEP_1) | instskip(NEXT) | instid1(VALU_DEP_1)
	v_lshrrev_b32_e32 v37, s57, v179
	v_and_b32_e32 v37, s39, v37
	s_delay_alu instid0(VALU_DEP_1)
	v_and_b32_e32 v43, 1, v37
	v_lshlrev_b32_e32 v183, 30, v37
	v_lshlrev_b32_e32 v184, 29, v37
	;; [unrolled: 1-line block ×4, first 2 shown]
	v_add_co_u32 v43, s16, v43, -1
	s_delay_alu instid0(VALU_DEP_1)
	v_cndmask_b32_e64 v186, 0, 1, s16
	v_not_b32_e32 v190, v183
	v_cmp_gt_i32_e64 s16, 0, v183
	v_not_b32_e32 v183, v184
	v_lshlrev_b32_e32 v188, 26, v37
	v_cmp_ne_u32_e32 vcc_lo, 0, v186
	v_ashrrev_i32_e32 v190, 31, v190
	v_lshlrev_b32_e32 v189, 25, v37
	v_ashrrev_i32_e32 v183, 31, v183
	v_lshlrev_b32_e32 v186, 24, v37
	v_xor_b32_e32 v43, vcc_lo, v43
	v_cmp_gt_i32_e32 vcc_lo, 0, v184
	v_not_b32_e32 v184, v185
	v_xor_b32_e32 v190, s16, v190
	v_cmp_gt_i32_e64 s16, 0, v185
	v_and_b32_e32 v43, exec_lo, v43
	v_not_b32_e32 v185, v187
	v_ashrrev_i32_e32 v184, 31, v184
	v_xor_b32_e32 v183, vcc_lo, v183
	v_cmp_gt_i32_e32 vcc_lo, 0, v187
	v_and_b32_e32 v43, v43, v190
	v_not_b32_e32 v187, v188
	v_ashrrev_i32_e32 v185, 31, v185
	v_xor_b32_e32 v184, s16, v184
	v_cmp_gt_i32_e64 s16, 0, v188
	v_and_b32_e32 v43, v43, v183
	v_not_b32_e32 v183, v189
	v_ashrrev_i32_e32 v187, 31, v187
	v_xor_b32_e32 v185, vcc_lo, v185
	v_cmp_gt_i32_e32 vcc_lo, 0, v189
	v_and_b32_e32 v43, v43, v184
	v_not_b32_e32 v184, v186
	v_ashrrev_i32_e32 v183, 31, v183
	v_xor_b32_e32 v187, s16, v187
	v_mul_u32_u24_e32 v37, 9, v37
	v_and_b32_e32 v43, v43, v185
	v_cmp_gt_i32_e64 s16, 0, v186
	v_ashrrev_i32_e32 v184, 31, v184
	v_xor_b32_e32 v183, vcc_lo, v183
	v_add_lshl_u32 v186, v37, v128, 2
	v_and_b32_e32 v43, v43, v187
	s_delay_alu instid0(VALU_DEP_4) | instskip(SKIP_3) | instid1(VALU_DEP_2)
	v_xor_b32_e32 v37, s16, v184
	ds_load_b32 v184, v186 offset:1056
	v_and_b32_e32 v43, v43, v183
	v_add_nc_u32_e32 v186, 0x420, v186
	; wave barrier
	v_and_b32_e32 v37, v43, v37
	s_delay_alu instid0(VALU_DEP_1) | instskip(SKIP_1) | instid1(VALU_DEP_2)
	v_mbcnt_lo_u32_b32 v185, v37, 0
	v_cmp_ne_u32_e64 s16, 0, v37
	v_cmp_eq_u32_e32 vcc_lo, 0, v185
	s_delay_alu instid0(VALU_DEP_2) | instskip(NEXT) | instid1(SALU_CYCLE_1)
	s_and_b32 s17, s16, vcc_lo
	s_and_saveexec_b32 s16, s17
	s_cbranch_execz .LBB505_1038
; %bb.1037:                             ;   in Loop: Header=BB505_982 Depth=2
	s_waitcnt lgkmcnt(0)
	v_bcnt_u32_b32 v37, v37, v184
	ds_store_b32 v186, v37
.LBB505_1038:                           ;   in Loop: Header=BB505_982 Depth=2
	s_or_b32 exec_lo, exec_lo, s16
	v_xor_b32_e32 v183, 0x7fffffff, v42
	; wave barrier
	s_delay_alu instid0(VALU_DEP_1) | instskip(NEXT) | instid1(VALU_DEP_1)
	v_lshrrev_b32_e32 v37, s57, v183
	v_and_b32_e32 v37, s39, v37
	s_delay_alu instid0(VALU_DEP_1)
	v_and_b32_e32 v42, 1, v37
	v_lshlrev_b32_e32 v43, 30, v37
	v_lshlrev_b32_e32 v187, 29, v37
	;; [unrolled: 1-line block ×4, first 2 shown]
	v_add_co_u32 v42, s16, v42, -1
	s_delay_alu instid0(VALU_DEP_1)
	v_cndmask_b32_e64 v189, 0, 1, s16
	v_not_b32_e32 v193, v43
	v_cmp_gt_i32_e64 s16, 0, v43
	v_not_b32_e32 v43, v187
	v_lshlrev_b32_e32 v191, 26, v37
	v_cmp_ne_u32_e32 vcc_lo, 0, v189
	v_ashrrev_i32_e32 v193, 31, v193
	v_lshlrev_b32_e32 v192, 25, v37
	v_ashrrev_i32_e32 v43, 31, v43
	v_lshlrev_b32_e32 v189, 24, v37
	v_xor_b32_e32 v42, vcc_lo, v42
	v_cmp_gt_i32_e32 vcc_lo, 0, v187
	v_not_b32_e32 v187, v188
	v_xor_b32_e32 v193, s16, v193
	v_cmp_gt_i32_e64 s16, 0, v188
	v_and_b32_e32 v42, exec_lo, v42
	v_not_b32_e32 v188, v190
	v_ashrrev_i32_e32 v187, 31, v187
	v_xor_b32_e32 v43, vcc_lo, v43
	v_cmp_gt_i32_e32 vcc_lo, 0, v190
	v_and_b32_e32 v42, v42, v193
	v_not_b32_e32 v190, v191
	v_ashrrev_i32_e32 v188, 31, v188
	v_xor_b32_e32 v187, s16, v187
	v_cmp_gt_i32_e64 s16, 0, v191
	v_and_b32_e32 v42, v42, v43
	v_not_b32_e32 v43, v192
	v_ashrrev_i32_e32 v190, 31, v190
	v_xor_b32_e32 v188, vcc_lo, v188
	v_cmp_gt_i32_e32 vcc_lo, 0, v192
	v_and_b32_e32 v42, v42, v187
	v_not_b32_e32 v187, v189
	v_ashrrev_i32_e32 v43, 31, v43
	v_xor_b32_e32 v190, s16, v190
	v_mul_u32_u24_e32 v37, 9, v37
	v_and_b32_e32 v42, v42, v188
	v_cmp_gt_i32_e64 s16, 0, v189
	v_ashrrev_i32_e32 v187, 31, v187
	v_xor_b32_e32 v43, vcc_lo, v43
	v_add_lshl_u32 v188, v37, v128, 2
	v_and_b32_e32 v42, v42, v190
	s_delay_alu instid0(VALU_DEP_4) | instskip(SKIP_3) | instid1(VALU_DEP_2)
	v_xor_b32_e32 v37, s16, v187
	ds_load_b32 v189, v188 offset:1056
	v_and_b32_e32 v42, v42, v43
	v_add_nc_u32_e32 v191, 0x420, v188
	; wave barrier
	v_and_b32_e32 v37, v42, v37
	s_delay_alu instid0(VALU_DEP_1) | instskip(SKIP_1) | instid1(VALU_DEP_2)
	v_mbcnt_lo_u32_b32 v190, v37, 0
	v_cmp_ne_u32_e64 s16, 0, v37
	v_cmp_eq_u32_e32 vcc_lo, 0, v190
	s_delay_alu instid0(VALU_DEP_2) | instskip(NEXT) | instid1(SALU_CYCLE_1)
	s_and_b32 s17, s16, vcc_lo
	s_and_saveexec_b32 s16, s17
	s_cbranch_execz .LBB505_1040
; %bb.1039:                             ;   in Loop: Header=BB505_982 Depth=2
	s_waitcnt lgkmcnt(0)
	v_bcnt_u32_b32 v37, v37, v189
	ds_store_b32 v191, v37
.LBB505_1040:                           ;   in Loop: Header=BB505_982 Depth=2
	s_or_b32 exec_lo, exec_lo, s16
	v_xor_b32_e32 v187, 0x7fffffff, v41
	; wave barrier
	s_delay_alu instid0(VALU_DEP_1) | instskip(NEXT) | instid1(VALU_DEP_1)
	v_lshrrev_b32_e32 v37, s57, v187
	v_and_b32_e32 v37, s39, v37
	s_delay_alu instid0(VALU_DEP_1)
	v_and_b32_e32 v41, 1, v37
	v_lshlrev_b32_e32 v42, 30, v37
	v_lshlrev_b32_e32 v43, 29, v37
	;; [unrolled: 1-line block ×4, first 2 shown]
	v_add_co_u32 v41, s16, v41, -1
	s_delay_alu instid0(VALU_DEP_1)
	v_cndmask_b32_e64 v192, 0, 1, s16
	v_not_b32_e32 v196, v42
	v_cmp_gt_i32_e64 s16, 0, v42
	v_not_b32_e32 v42, v43
	v_lshlrev_b32_e32 v194, 26, v37
	v_cmp_ne_u32_e32 vcc_lo, 0, v192
	v_ashrrev_i32_e32 v196, 31, v196
	v_lshlrev_b32_e32 v195, 25, v37
	v_ashrrev_i32_e32 v42, 31, v42
	v_lshlrev_b32_e32 v192, 24, v37
	v_xor_b32_e32 v41, vcc_lo, v41
	v_cmp_gt_i32_e32 vcc_lo, 0, v43
	v_not_b32_e32 v43, v188
	v_xor_b32_e32 v196, s16, v196
	v_cmp_gt_i32_e64 s16, 0, v188
	v_and_b32_e32 v41, exec_lo, v41
	v_not_b32_e32 v188, v193
	v_ashrrev_i32_e32 v43, 31, v43
	v_xor_b32_e32 v42, vcc_lo, v42
	v_cmp_gt_i32_e32 vcc_lo, 0, v193
	v_and_b32_e32 v41, v41, v196
	v_not_b32_e32 v193, v194
	v_ashrrev_i32_e32 v188, 31, v188
	v_xor_b32_e32 v43, s16, v43
	v_cmp_gt_i32_e64 s16, 0, v194
	v_and_b32_e32 v41, v41, v42
	v_not_b32_e32 v42, v195
	v_ashrrev_i32_e32 v193, 31, v193
	v_xor_b32_e32 v188, vcc_lo, v188
	v_cmp_gt_i32_e32 vcc_lo, 0, v195
	v_and_b32_e32 v41, v41, v43
	v_not_b32_e32 v43, v192
	v_ashrrev_i32_e32 v42, 31, v42
	v_xor_b32_e32 v193, s16, v193
	v_mul_u32_u24_e32 v37, 9, v37
	v_and_b32_e32 v41, v41, v188
	v_cmp_gt_i32_e64 s16, 0, v192
	v_ashrrev_i32_e32 v43, 31, v43
	v_xor_b32_e32 v42, vcc_lo, v42
	v_add_lshl_u32 v188, v37, v128, 2
	v_and_b32_e32 v41, v41, v193
	s_delay_alu instid0(VALU_DEP_4) | instskip(SKIP_3) | instid1(VALU_DEP_2)
	v_xor_b32_e32 v37, s16, v43
	ds_load_b32 v193, v188 offset:1056
	v_and_b32_e32 v41, v41, v42
	v_add_nc_u32_e32 v195, 0x420, v188
	; wave barrier
	v_and_b32_e32 v37, v41, v37
	s_delay_alu instid0(VALU_DEP_1) | instskip(SKIP_1) | instid1(VALU_DEP_2)
	v_mbcnt_lo_u32_b32 v194, v37, 0
	v_cmp_ne_u32_e64 s16, 0, v37
	v_cmp_eq_u32_e32 vcc_lo, 0, v194
	s_delay_alu instid0(VALU_DEP_2) | instskip(NEXT) | instid1(SALU_CYCLE_1)
	s_and_b32 s17, s16, vcc_lo
	s_and_saveexec_b32 s16, s17
	s_cbranch_execz .LBB505_1042
; %bb.1041:                             ;   in Loop: Header=BB505_982 Depth=2
	s_waitcnt lgkmcnt(0)
	v_bcnt_u32_b32 v37, v37, v193
	ds_store_b32 v195, v37
.LBB505_1042:                           ;   in Loop: Header=BB505_982 Depth=2
	s_or_b32 exec_lo, exec_lo, s16
	v_xor_b32_e32 v192, 0x7fffffff, v40
	; wave barrier
	s_delay_alu instid0(VALU_DEP_1) | instskip(NEXT) | instid1(VALU_DEP_1)
	v_lshrrev_b32_e32 v37, s57, v192
	v_and_b32_e32 v37, s39, v37
	s_delay_alu instid0(VALU_DEP_1)
	v_and_b32_e32 v40, 1, v37
	v_lshlrev_b32_e32 v41, 30, v37
	v_lshlrev_b32_e32 v42, 29, v37
	;; [unrolled: 1-line block ×4, first 2 shown]
	v_add_co_u32 v40, s16, v40, -1
	s_delay_alu instid0(VALU_DEP_1)
	v_cndmask_b32_e64 v188, 0, 1, s16
	v_not_b32_e32 v199, v41
	v_cmp_gt_i32_e64 s16, 0, v41
	v_not_b32_e32 v41, v42
	v_lshlrev_b32_e32 v197, 26, v37
	v_cmp_ne_u32_e32 vcc_lo, 0, v188
	v_ashrrev_i32_e32 v199, 31, v199
	v_lshlrev_b32_e32 v198, 25, v37
	v_ashrrev_i32_e32 v41, 31, v41
	v_lshlrev_b32_e32 v188, 24, v37
	v_xor_b32_e32 v40, vcc_lo, v40
	v_cmp_gt_i32_e32 vcc_lo, 0, v42
	v_not_b32_e32 v42, v43
	v_xor_b32_e32 v199, s16, v199
	v_cmp_gt_i32_e64 s16, 0, v43
	v_and_b32_e32 v40, exec_lo, v40
	v_not_b32_e32 v43, v196
	v_ashrrev_i32_e32 v42, 31, v42
	v_xor_b32_e32 v41, vcc_lo, v41
	v_cmp_gt_i32_e32 vcc_lo, 0, v196
	v_and_b32_e32 v40, v40, v199
	v_not_b32_e32 v196, v197
	v_ashrrev_i32_e32 v43, 31, v43
	v_xor_b32_e32 v42, s16, v42
	v_cmp_gt_i32_e64 s16, 0, v197
	v_and_b32_e32 v40, v40, v41
	v_not_b32_e32 v41, v198
	v_ashrrev_i32_e32 v196, 31, v196
	v_xor_b32_e32 v43, vcc_lo, v43
	v_cmp_gt_i32_e32 vcc_lo, 0, v198
	v_and_b32_e32 v40, v40, v42
	v_not_b32_e32 v42, v188
	v_ashrrev_i32_e32 v41, 31, v41
	v_xor_b32_e32 v196, s16, v196
	v_mul_u32_u24_e32 v37, 9, v37
	v_and_b32_e32 v40, v40, v43
	v_cmp_gt_i32_e64 s16, 0, v188
	v_ashrrev_i32_e32 v42, 31, v42
	v_xor_b32_e32 v41, vcc_lo, v41
	v_add_lshl_u32 v43, v37, v128, 2
	v_and_b32_e32 v40, v40, v196
	s_delay_alu instid0(VALU_DEP_4) | instskip(SKIP_3) | instid1(VALU_DEP_2)
	v_xor_b32_e32 v37, s16, v42
	ds_load_b32 v197, v43 offset:1056
	v_and_b32_e32 v40, v40, v41
	v_add_nc_u32_e32 v199, 0x420, v43
	; wave barrier
	v_and_b32_e32 v37, v40, v37
	s_delay_alu instid0(VALU_DEP_1) | instskip(SKIP_1) | instid1(VALU_DEP_2)
	v_mbcnt_lo_u32_b32 v198, v37, 0
	v_cmp_ne_u32_e64 s16, 0, v37
	v_cmp_eq_u32_e32 vcc_lo, 0, v198
	s_delay_alu instid0(VALU_DEP_2) | instskip(NEXT) | instid1(SALU_CYCLE_1)
	s_and_b32 s17, s16, vcc_lo
	s_and_saveexec_b32 s16, s17
	s_cbranch_execz .LBB505_1044
; %bb.1043:                             ;   in Loop: Header=BB505_982 Depth=2
	s_waitcnt lgkmcnt(0)
	v_bcnt_u32_b32 v37, v37, v197
	ds_store_b32 v199, v37
.LBB505_1044:                           ;   in Loop: Header=BB505_982 Depth=2
	s_or_b32 exec_lo, exec_lo, s16
	v_xor_b32_e32 v196, 0x7fffffff, v39
	; wave barrier
	s_delay_alu instid0(VALU_DEP_1) | instskip(NEXT) | instid1(VALU_DEP_1)
	v_lshrrev_b32_e32 v37, s57, v196
	v_and_b32_e32 v37, s39, v37
	s_delay_alu instid0(VALU_DEP_1)
	v_and_b32_e32 v39, 1, v37
	v_lshlrev_b32_e32 v40, 30, v37
	v_lshlrev_b32_e32 v41, 29, v37
	v_lshlrev_b32_e32 v42, 28, v37
	v_lshlrev_b32_e32 v188, 27, v37
	v_add_co_u32 v39, s16, v39, -1
	s_delay_alu instid0(VALU_DEP_1)
	v_cndmask_b32_e64 v43, 0, 1, s16
	v_not_b32_e32 v202, v40
	v_cmp_gt_i32_e64 s16, 0, v40
	v_not_b32_e32 v40, v41
	v_lshlrev_b32_e32 v200, 26, v37
	v_cmp_ne_u32_e32 vcc_lo, 0, v43
	v_ashrrev_i32_e32 v202, 31, v202
	v_lshlrev_b32_e32 v201, 25, v37
	v_ashrrev_i32_e32 v40, 31, v40
	v_lshlrev_b32_e32 v43, 24, v37
	v_xor_b32_e32 v39, vcc_lo, v39
	v_cmp_gt_i32_e32 vcc_lo, 0, v41
	v_not_b32_e32 v41, v42
	v_xor_b32_e32 v202, s16, v202
	v_cmp_gt_i32_e64 s16, 0, v42
	v_and_b32_e32 v39, exec_lo, v39
	v_not_b32_e32 v42, v188
	v_ashrrev_i32_e32 v41, 31, v41
	v_xor_b32_e32 v40, vcc_lo, v40
	v_cmp_gt_i32_e32 vcc_lo, 0, v188
	v_and_b32_e32 v39, v39, v202
	v_not_b32_e32 v188, v200
	v_ashrrev_i32_e32 v42, 31, v42
	v_xor_b32_e32 v41, s16, v41
	v_cmp_gt_i32_e64 s16, 0, v200
	v_and_b32_e32 v39, v39, v40
	v_not_b32_e32 v40, v201
	v_ashrrev_i32_e32 v188, 31, v188
	v_xor_b32_e32 v42, vcc_lo, v42
	v_cmp_gt_i32_e32 vcc_lo, 0, v201
	v_and_b32_e32 v39, v39, v41
	v_not_b32_e32 v41, v43
	v_ashrrev_i32_e32 v40, 31, v40
	v_xor_b32_e32 v188, s16, v188
	v_mul_u32_u24_e32 v37, 9, v37
	v_and_b32_e32 v39, v39, v42
	v_cmp_gt_i32_e64 s16, 0, v43
	v_ashrrev_i32_e32 v41, 31, v41
	v_xor_b32_e32 v40, vcc_lo, v40
	v_add_lshl_u32 v42, v37, v128, 2
	v_and_b32_e32 v39, v39, v188
	s_delay_alu instid0(VALU_DEP_4) | instskip(SKIP_3) | instid1(VALU_DEP_2)
	v_xor_b32_e32 v37, s16, v41
	ds_load_b32 v201, v42 offset:1056
	v_and_b32_e32 v39, v39, v40
	v_add_nc_u32_e32 v203, 0x420, v42
	; wave barrier
	v_and_b32_e32 v37, v39, v37
	s_delay_alu instid0(VALU_DEP_1) | instskip(SKIP_1) | instid1(VALU_DEP_2)
	v_mbcnt_lo_u32_b32 v202, v37, 0
	v_cmp_ne_u32_e64 s16, 0, v37
	v_cmp_eq_u32_e32 vcc_lo, 0, v202
	s_delay_alu instid0(VALU_DEP_2) | instskip(NEXT) | instid1(SALU_CYCLE_1)
	s_and_b32 s17, s16, vcc_lo
	s_and_saveexec_b32 s16, s17
	s_cbranch_execz .LBB505_1046
; %bb.1045:                             ;   in Loop: Header=BB505_982 Depth=2
	s_waitcnt lgkmcnt(0)
	v_bcnt_u32_b32 v37, v37, v201
	ds_store_b32 v203, v37
.LBB505_1046:                           ;   in Loop: Header=BB505_982 Depth=2
	s_or_b32 exec_lo, exec_lo, s16
	v_xor_b32_e32 v200, 0x7fffffff, v38
	; wave barrier
	s_delay_alu instid0(VALU_DEP_1) | instskip(NEXT) | instid1(VALU_DEP_1)
	v_lshrrev_b32_e32 v37, s57, v200
	v_and_b32_e32 v37, s39, v37
	s_delay_alu instid0(VALU_DEP_1)
	v_and_b32_e32 v38, 1, v37
	v_lshlrev_b32_e32 v39, 30, v37
	v_lshlrev_b32_e32 v40, 29, v37
	;; [unrolled: 1-line block ×4, first 2 shown]
	v_add_co_u32 v38, s16, v38, -1
	s_delay_alu instid0(VALU_DEP_1)
	v_cndmask_b32_e64 v42, 0, 1, s16
	v_not_b32_e32 v205, v39
	v_cmp_gt_i32_e64 s16, 0, v39
	v_not_b32_e32 v39, v40
	v_lshlrev_b32_e32 v188, 26, v37
	v_cmp_ne_u32_e32 vcc_lo, 0, v42
	v_ashrrev_i32_e32 v205, 31, v205
	v_lshlrev_b32_e32 v204, 25, v37
	v_ashrrev_i32_e32 v39, 31, v39
	v_lshlrev_b32_e32 v42, 24, v37
	v_xor_b32_e32 v38, vcc_lo, v38
	v_cmp_gt_i32_e32 vcc_lo, 0, v40
	v_not_b32_e32 v40, v41
	v_xor_b32_e32 v205, s16, v205
	v_cmp_gt_i32_e64 s16, 0, v41
	v_and_b32_e32 v38, exec_lo, v38
	v_not_b32_e32 v41, v43
	v_ashrrev_i32_e32 v40, 31, v40
	v_xor_b32_e32 v39, vcc_lo, v39
	v_cmp_gt_i32_e32 vcc_lo, 0, v43
	v_and_b32_e32 v38, v38, v205
	v_not_b32_e32 v43, v188
	v_ashrrev_i32_e32 v41, 31, v41
	v_xor_b32_e32 v40, s16, v40
	v_cmp_gt_i32_e64 s16, 0, v188
	v_and_b32_e32 v38, v38, v39
	v_not_b32_e32 v39, v204
	v_ashrrev_i32_e32 v43, 31, v43
	v_xor_b32_e32 v41, vcc_lo, v41
	v_cmp_gt_i32_e32 vcc_lo, 0, v204
	v_and_b32_e32 v38, v38, v40
	v_not_b32_e32 v40, v42
	v_ashrrev_i32_e32 v39, 31, v39
	v_xor_b32_e32 v43, s16, v43
	v_mul_u32_u24_e32 v37, 9, v37
	v_and_b32_e32 v38, v38, v41
	v_cmp_gt_i32_e64 s16, 0, v42
	v_ashrrev_i32_e32 v40, 31, v40
	v_xor_b32_e32 v39, vcc_lo, v39
	v_add_lshl_u32 v41, v37, v128, 2
	v_and_b32_e32 v38, v38, v43
	s_delay_alu instid0(VALU_DEP_4) | instskip(SKIP_3) | instid1(VALU_DEP_2)
	v_xor_b32_e32 v37, s16, v40
	ds_load_b32 v205, v41 offset:1056
	v_and_b32_e32 v38, v38, v39
	v_add_nc_u32_e32 v207, 0x420, v41
	; wave barrier
	v_and_b32_e32 v37, v38, v37
	s_delay_alu instid0(VALU_DEP_1) | instskip(SKIP_1) | instid1(VALU_DEP_2)
	v_mbcnt_lo_u32_b32 v206, v37, 0
	v_cmp_ne_u32_e64 s16, 0, v37
	v_cmp_eq_u32_e32 vcc_lo, 0, v206
	s_delay_alu instid0(VALU_DEP_2) | instskip(NEXT) | instid1(SALU_CYCLE_1)
	s_and_b32 s17, s16, vcc_lo
	s_and_saveexec_b32 s16, s17
	s_cbranch_execz .LBB505_1048
; %bb.1047:                             ;   in Loop: Header=BB505_982 Depth=2
	s_waitcnt lgkmcnt(0)
	v_bcnt_u32_b32 v37, v37, v205
	ds_store_b32 v207, v37
.LBB505_1048:                           ;   in Loop: Header=BB505_982 Depth=2
	s_or_b32 exec_lo, exec_lo, s16
	v_xor_b32_e32 v204, 0x7fffffff, v36
	; wave barrier
	s_delay_alu instid0(VALU_DEP_1) | instskip(NEXT) | instid1(VALU_DEP_1)
	v_lshrrev_b32_e32 v36, s57, v204
	v_and_b32_e32 v36, s39, v36
	s_delay_alu instid0(VALU_DEP_1)
	v_and_b32_e32 v37, 1, v36
	v_lshlrev_b32_e32 v38, 30, v36
	v_lshlrev_b32_e32 v39, 29, v36
	;; [unrolled: 1-line block ×4, first 2 shown]
	v_add_co_u32 v37, s16, v37, -1
	s_delay_alu instid0(VALU_DEP_1)
	v_cndmask_b32_e64 v41, 0, 1, s16
	v_not_b32_e32 v208, v38
	v_cmp_gt_i32_e64 s16, 0, v38
	v_not_b32_e32 v38, v39
	v_lshlrev_b32_e32 v43, 26, v36
	v_cmp_ne_u32_e32 vcc_lo, 0, v41
	v_ashrrev_i32_e32 v208, 31, v208
	v_lshlrev_b32_e32 v188, 25, v36
	v_ashrrev_i32_e32 v38, 31, v38
	v_lshlrev_b32_e32 v41, 24, v36
	v_xor_b32_e32 v37, vcc_lo, v37
	v_cmp_gt_i32_e32 vcc_lo, 0, v39
	v_not_b32_e32 v39, v40
	v_xor_b32_e32 v208, s16, v208
	v_cmp_gt_i32_e64 s16, 0, v40
	v_and_b32_e32 v37, exec_lo, v37
	v_not_b32_e32 v40, v42
	v_ashrrev_i32_e32 v39, 31, v39
	v_xor_b32_e32 v38, vcc_lo, v38
	v_cmp_gt_i32_e32 vcc_lo, 0, v42
	v_and_b32_e32 v37, v37, v208
	v_not_b32_e32 v42, v43
	v_ashrrev_i32_e32 v40, 31, v40
	v_xor_b32_e32 v39, s16, v39
	v_cmp_gt_i32_e64 s16, 0, v43
	v_and_b32_e32 v37, v37, v38
	v_not_b32_e32 v38, v188
	v_ashrrev_i32_e32 v42, 31, v42
	v_xor_b32_e32 v40, vcc_lo, v40
	v_cmp_gt_i32_e32 vcc_lo, 0, v188
	v_and_b32_e32 v37, v37, v39
	v_not_b32_e32 v39, v41
	v_ashrrev_i32_e32 v38, 31, v38
	v_xor_b32_e32 v42, s16, v42
	v_mul_u32_u24_e32 v36, 9, v36
	v_and_b32_e32 v37, v37, v40
	v_cmp_gt_i32_e64 s16, 0, v41
	v_ashrrev_i32_e32 v39, 31, v39
	v_xor_b32_e32 v38, vcc_lo, v38
	v_add_lshl_u32 v40, v36, v128, 2
	v_and_b32_e32 v37, v37, v42
	s_delay_alu instid0(VALU_DEP_4) | instskip(SKIP_3) | instid1(VALU_DEP_2)
	v_xor_b32_e32 v36, s16, v39
	ds_load_b32 v208, v40 offset:1056
	v_and_b32_e32 v37, v37, v38
	v_add_nc_u32_e32 v210, 0x420, v40
	; wave barrier
	v_and_b32_e32 v36, v37, v36
	s_delay_alu instid0(VALU_DEP_1) | instskip(SKIP_1) | instid1(VALU_DEP_2)
	v_mbcnt_lo_u32_b32 v209, v36, 0
	v_cmp_ne_u32_e64 s16, 0, v36
	v_cmp_eq_u32_e32 vcc_lo, 0, v209
	s_delay_alu instid0(VALU_DEP_2) | instskip(NEXT) | instid1(SALU_CYCLE_1)
	s_and_b32 s17, s16, vcc_lo
	s_and_saveexec_b32 s16, s17
	s_cbranch_execz .LBB505_1050
; %bb.1049:                             ;   in Loop: Header=BB505_982 Depth=2
	s_waitcnt lgkmcnt(0)
	v_bcnt_u32_b32 v36, v36, v208
	ds_store_b32 v210, v36
.LBB505_1050:                           ;   in Loop: Header=BB505_982 Depth=2
	s_or_b32 exec_lo, exec_lo, s16
	; wave barrier
	s_waitcnt lgkmcnt(0)
	s_barrier
	buffer_gl0_inv
	ds_load_b32 v211, v70 offset:1056
	ds_load_2addr_b32 v[42:43], v71 offset0:1 offset1:2
	ds_load_2addr_b32 v[40:41], v71 offset0:3 offset1:4
	;; [unrolled: 1-line block ×4, first 2 shown]
	s_waitcnt lgkmcnt(3)
	v_add3_u32 v188, v42, v211, v43
	s_waitcnt lgkmcnt(2)
	s_delay_alu instid0(VALU_DEP_1) | instskip(SKIP_1) | instid1(VALU_DEP_1)
	v_add3_u32 v188, v188, v40, v41
	s_waitcnt lgkmcnt(1)
	v_add3_u32 v188, v188, v36, v37
	s_waitcnt lgkmcnt(0)
	s_delay_alu instid0(VALU_DEP_1) | instskip(NEXT) | instid1(VALU_DEP_1)
	v_add3_u32 v39, v188, v38, v39
	v_mov_b32_dpp v188, v39 row_shr:1 row_mask:0xf bank_mask:0xf
	s_delay_alu instid0(VALU_DEP_1) | instskip(NEXT) | instid1(VALU_DEP_1)
	v_cndmask_b32_e64 v188, v188, 0, s0
	v_add_nc_u32_e32 v39, v188, v39
	s_delay_alu instid0(VALU_DEP_1) | instskip(NEXT) | instid1(VALU_DEP_1)
	v_mov_b32_dpp v188, v39 row_shr:2 row_mask:0xf bank_mask:0xf
	v_cndmask_b32_e64 v188, 0, v188, s1
	s_delay_alu instid0(VALU_DEP_1) | instskip(NEXT) | instid1(VALU_DEP_1)
	v_add_nc_u32_e32 v39, v39, v188
	v_mov_b32_dpp v188, v39 row_shr:4 row_mask:0xf bank_mask:0xf
	s_delay_alu instid0(VALU_DEP_1) | instskip(NEXT) | instid1(VALU_DEP_1)
	v_cndmask_b32_e64 v188, 0, v188, s8
	v_add_nc_u32_e32 v39, v39, v188
	s_delay_alu instid0(VALU_DEP_1) | instskip(NEXT) | instid1(VALU_DEP_1)
	v_mov_b32_dpp v188, v39 row_shr:8 row_mask:0xf bank_mask:0xf
	v_cndmask_b32_e64 v188, 0, v188, s9
	s_delay_alu instid0(VALU_DEP_1) | instskip(SKIP_3) | instid1(VALU_DEP_1)
	v_add_nc_u32_e32 v39, v39, v188
	ds_swizzle_b32 v188, v39 offset:swizzle(BROADCAST,32,15)
	s_waitcnt lgkmcnt(0)
	v_cndmask_b32_e64 v188, v188, 0, s10
	v_add_nc_u32_e32 v39, v39, v188
	s_and_saveexec_b32 s16, s3
	s_cbranch_execz .LBB505_1052
; %bb.1051:                             ;   in Loop: Header=BB505_982 Depth=2
	ds_store_b32 v62, v39 offset:1024
.LBB505_1052:                           ;   in Loop: Header=BB505_982 Depth=2
	s_or_b32 exec_lo, exec_lo, s16
	v_add_nc_u32_e32 v188, v70, v72
	s_waitcnt lgkmcnt(0)
	s_barrier
	buffer_gl0_inv
	s_and_saveexec_b32 s16, s4
	s_cbranch_execz .LBB505_1054
; %bb.1053:                             ;   in Loop: Header=BB505_982 Depth=2
	ds_load_b32 v212, v188 offset:1024
	s_waitcnt lgkmcnt(0)
	v_mov_b32_dpp v213, v212 row_shr:1 row_mask:0xf bank_mask:0xf
	s_delay_alu instid0(VALU_DEP_1) | instskip(NEXT) | instid1(VALU_DEP_1)
	v_cndmask_b32_e64 v213, v213, 0, s12
	v_add_nc_u32_e32 v212, v213, v212
	s_delay_alu instid0(VALU_DEP_1) | instskip(NEXT) | instid1(VALU_DEP_1)
	v_mov_b32_dpp v213, v212 row_shr:2 row_mask:0xf bank_mask:0xf
	v_cndmask_b32_e64 v213, 0, v213, s13
	s_delay_alu instid0(VALU_DEP_1) | instskip(NEXT) | instid1(VALU_DEP_1)
	v_add_nc_u32_e32 v212, v212, v213
	v_mov_b32_dpp v213, v212 row_shr:4 row_mask:0xf bank_mask:0xf
	s_delay_alu instid0(VALU_DEP_1) | instskip(NEXT) | instid1(VALU_DEP_1)
	v_cndmask_b32_e64 v213, 0, v213, s14
	v_add_nc_u32_e32 v212, v212, v213
	ds_store_b32 v188, v212 offset:1024
.LBB505_1054:                           ;   in Loop: Header=BB505_982 Depth=2
	s_or_b32 exec_lo, exec_lo, s16
	v_mov_b32_e32 v212, 0
	s_waitcnt lgkmcnt(0)
	s_barrier
	buffer_gl0_inv
	s_and_saveexec_b32 s16, s5
	s_cbranch_execz .LBB505_1056
; %bb.1055:                             ;   in Loop: Header=BB505_982 Depth=2
	ds_load_b32 v212, v62 offset:1020
.LBB505_1056:                           ;   in Loop: Header=BB505_982 Depth=2
	s_or_b32 exec_lo, exec_lo, s16
	s_waitcnt lgkmcnt(0)
	v_add_nc_u32_e32 v39, v212, v39
	ds_bpermute_b32 v39, v107, v39
	s_waitcnt lgkmcnt(0)
	v_cndmask_b32_e64 v39, v39, v212, s11
	s_delay_alu instid0(VALU_DEP_1) | instskip(NEXT) | instid1(VALU_DEP_1)
	v_cndmask_b32_e64 v39, v39, 0, s6
	v_add_nc_u32_e32 v211, v39, v211
	s_delay_alu instid0(VALU_DEP_1) | instskip(NEXT) | instid1(VALU_DEP_1)
	v_add_nc_u32_e32 v42, v211, v42
	v_add_nc_u32_e32 v43, v42, v43
	s_delay_alu instid0(VALU_DEP_1) | instskip(NEXT) | instid1(VALU_DEP_1)
	v_add_nc_u32_e32 v40, v43, v40
	;; [unrolled: 3-line block ×3, first 2 shown]
	v_add_nc_u32_e32 v37, v36, v37
	s_delay_alu instid0(VALU_DEP_1)
	v_add_nc_u32_e32 v38, v37, v38
	ds_store_b32 v70, v39 offset:1056
	ds_store_2addr_b32 v71, v211, v42 offset0:1 offset1:2
	ds_store_2addr_b32 v71, v43, v40 offset0:3 offset1:4
	;; [unrolled: 1-line block ×4, first 2 shown]
	v_mov_b32_e32 v38, 0x1000
	s_waitcnt lgkmcnt(0)
	s_barrier
	buffer_gl0_inv
	ds_load_b32 v39, v154
	ds_load_b32 v40, v158
	;; [unrolled: 1-line block ×16, first 2 shown]
	ds_load_b32 v158, v70 offset:1056
	s_and_saveexec_b32 s16, s7
	s_cbranch_execz .LBB505_1058
; %bb.1057:                             ;   in Loop: Header=BB505_982 Depth=2
	ds_load_b32 v38, v73 offset:1056
.LBB505_1058:                           ;   in Loop: Header=BB505_982 Depth=2
	s_or_b32 exec_lo, exec_lo, s16
	s_waitcnt lgkmcnt(0)
	s_barrier
	buffer_gl0_inv
	s_and_saveexec_b32 s16, s2
	s_cbranch_execz .LBB505_1060
; %bb.1059:                             ;   in Loop: Header=BB505_982 Depth=2
	ds_load_b32 v162, v44
	s_waitcnt lgkmcnt(0)
	v_sub_nc_u32_e32 v158, v162, v158
	ds_store_b32 v44, v158
.LBB505_1060:                           ;   in Loop: Header=BB505_982 Depth=2
	s_or_b32 exec_lo, exec_lo, s16
	v_add_nc_u32_e32 v170, v150, v149
	v_add3_u32 v166, v153, v152, v39
	v_add3_u32 v162, v157, v156, v40
	v_add3_u32 v158, v161, v160, v42
	v_add3_u32 v157, v165, v164, v43
	v_add3_u32 v156, v169, v168, v154
	v_lshlrev_b32_e32 v160, 2, v170
	v_add3_u32 v43, v202, v201, v36
	v_lshlrev_b32_e32 v36, 2, v166
	v_add3_u32 v154, v174, v173, v175
	v_add3_u32 v153, v177, v176, v178
	ds_store_b32 v160, v2 offset:1024
	v_lshlrev_b32_e32 v2, 2, v162
	ds_store_b32 v36, v148 offset:1024
	v_lshlrev_b32_e32 v36, 2, v156
	v_add3_u32 v152, v181, v180, v182
	v_add3_u32 v42, v206, v205, v37
	v_lshlrev_b32_e32 v37, 2, v158
	v_add3_u32 v150, v185, v184, v186
	v_lshlrev_b32_e32 v160, 2, v157
	v_add3_u32 v149, v190, v189, v191
	v_add3_u32 v40, v194, v193, v195
	ds_store_b32 v2, v151 offset:1024
	ds_store_b32 v37, v155 offset:1024
	;; [unrolled: 1-line block ×3, first 2 shown]
	v_lshlrev_b32_e32 v2, 2, v154
	ds_store_b32 v36, v163 offset:1024
	v_lshlrev_b32_e32 v36, 2, v153
	v_lshlrev_b32_e32 v37, 2, v152
	;; [unrolled: 1-line block ×3, first 2 shown]
	v_add3_u32 v39, v198, v197, v199
	v_add3_u32 v41, v209, v208, v41
	ds_store_b32 v2, v167 offset:1024
	v_lshlrev_b32_e32 v2, 2, v149
	ds_store_b32 v36, v172 offset:1024
	ds_store_b32 v37, v171 offset:1024
	;; [unrolled: 1-line block ×3, first 2 shown]
	v_lshlrev_b32_e32 v36, 2, v40
	v_cmp_lt_u32_e32 vcc_lo, v1, v147
	v_lshlrev_b32_e32 v37, 2, v43
	ds_store_b32 v2, v183 offset:1024
	v_lshlrev_b32_e32 v2, 2, v39
	ds_store_b32 v36, v187 offset:1024
	v_lshlrev_b32_e32 v36, 2, v41
	v_lshlrev_b32_e32 v148, 2, v42
	ds_store_b32 v2, v192 offset:1024
	ds_store_b32 v37, v196 offset:1024
	;; [unrolled: 1-line block ×4, first 2 shown]
	s_waitcnt lgkmcnt(0)
	s_barrier
	buffer_gl0_inv
	s_and_saveexec_b32 s17, vcc_lo
	s_cbranch_execz .LBB505_1076
; %bb.1061:                             ;   in Loop: Header=BB505_982 Depth=2
	ds_load_b32 v148, v188 offset:1024
	s_waitcnt lgkmcnt(0)
	v_lshrrev_b32_e32 v2, s57, v148
	s_delay_alu instid0(VALU_DEP_1) | instskip(NEXT) | instid1(VALU_DEP_1)
	v_and_b32_e32 v2, s39, v2
	v_lshlrev_b32_e32 v2, 2, v2
	ds_load_b32 v2, v2
	s_waitcnt lgkmcnt(0)
	v_add_nc_u32_e32 v2, v2, v1
	s_delay_alu instid0(VALU_DEP_1) | instskip(SKIP_1) | instid1(VALU_DEP_2)
	v_lshlrev_b64 v[36:37], 2, v[2:3]
	v_xor_b32_e32 v2, 0x7fffffff, v148
	v_add_co_u32 v36, s16, s48, v36
	s_delay_alu instid0(VALU_DEP_1) | instskip(SKIP_3) | instid1(VALU_DEP_1)
	v_add_co_ci_u32_e64 v37, s16, s49, v37, s16
	global_store_b32 v[36:37], v2, off
	s_or_b32 exec_lo, exec_lo, s17
	v_cmp_lt_u32_e64 s16, v45, v147
	s_and_saveexec_b32 s18, s16
	s_cbranch_execnz .LBB505_1077
.LBB505_1062:                           ;   in Loop: Header=BB505_982 Depth=2
	s_or_b32 exec_lo, exec_lo, s18
	v_cmp_lt_u32_e64 s17, v46, v147
	s_delay_alu instid0(VALU_DEP_1)
	s_and_saveexec_b32 s19, s17
	s_cbranch_execz .LBB505_1078
.LBB505_1063:                           ;   in Loop: Header=BB505_982 Depth=2
	ds_load_b32 v148, v78 offset:2048
	s_waitcnt lgkmcnt(0)
	v_lshrrev_b32_e32 v2, s57, v148
	s_delay_alu instid0(VALU_DEP_1) | instskip(NEXT) | instid1(VALU_DEP_1)
	v_and_b32_e32 v2, s39, v2
	v_lshlrev_b32_e32 v2, 2, v2
	ds_load_b32 v2, v2
	s_waitcnt lgkmcnt(0)
	v_add_nc_u32_e32 v2, v2, v46
	s_delay_alu instid0(VALU_DEP_1) | instskip(SKIP_1) | instid1(VALU_DEP_2)
	v_lshlrev_b64 v[36:37], 2, v[2:3]
	v_xor_b32_e32 v2, 0x7fffffff, v148
	v_add_co_u32 v36, s18, s48, v36
	s_delay_alu instid0(VALU_DEP_1) | instskip(SKIP_3) | instid1(VALU_DEP_1)
	v_add_co_ci_u32_e64 v37, s18, s49, v37, s18
	global_store_b32 v[36:37], v2, off
	s_or_b32 exec_lo, exec_lo, s19
	v_cmp_lt_u32_e64 s18, v47, v147
	s_and_saveexec_b32 s20, s18
	s_cbranch_execnz .LBB505_1079
.LBB505_1064:                           ;   in Loop: Header=BB505_982 Depth=2
	s_or_b32 exec_lo, exec_lo, s20
	v_cmp_lt_u32_e64 s19, v51, v147
	s_delay_alu instid0(VALU_DEP_1)
	s_and_saveexec_b32 s21, s19
	s_cbranch_execz .LBB505_1080
.LBB505_1065:                           ;   in Loop: Header=BB505_982 Depth=2
	ds_load_b32 v148, v78 offset:4096
	s_waitcnt lgkmcnt(0)
	v_lshrrev_b32_e32 v2, s57, v148
	s_delay_alu instid0(VALU_DEP_1) | instskip(NEXT) | instid1(VALU_DEP_1)
	v_and_b32_e32 v2, s39, v2
	v_lshlrev_b32_e32 v2, 2, v2
	ds_load_b32 v2, v2
	s_waitcnt lgkmcnt(0)
	v_add_nc_u32_e32 v2, v2, v51
	s_delay_alu instid0(VALU_DEP_1) | instskip(SKIP_1) | instid1(VALU_DEP_2)
	v_lshlrev_b64 v[36:37], 2, v[2:3]
	v_xor_b32_e32 v2, 0x7fffffff, v148
	v_add_co_u32 v36, s20, s48, v36
	s_delay_alu instid0(VALU_DEP_1) | instskip(SKIP_3) | instid1(VALU_DEP_1)
	v_add_co_ci_u32_e64 v37, s20, s49, v37, s20
	global_store_b32 v[36:37], v2, off
	s_or_b32 exec_lo, exec_lo, s21
	v_cmp_lt_u32_e64 s20, v52, v147
	s_and_saveexec_b32 s22, s20
	s_cbranch_execnz .LBB505_1081
.LBB505_1066:                           ;   in Loop: Header=BB505_982 Depth=2
	s_or_b32 exec_lo, exec_lo, s22
	v_cmp_lt_u32_e64 s21, v53, v147
	s_delay_alu instid0(VALU_DEP_1)
	s_and_saveexec_b32 s23, s21
	s_cbranch_execz .LBB505_1082
.LBB505_1067:                           ;   in Loop: Header=BB505_982 Depth=2
	ds_load_b32 v148, v78 offset:6144
	s_waitcnt lgkmcnt(0)
	v_lshrrev_b32_e32 v2, s57, v148
	s_delay_alu instid0(VALU_DEP_1) | instskip(NEXT) | instid1(VALU_DEP_1)
	v_and_b32_e32 v2, s39, v2
	v_lshlrev_b32_e32 v2, 2, v2
	ds_load_b32 v2, v2
	s_waitcnt lgkmcnt(0)
	v_add_nc_u32_e32 v2, v2, v53
	s_delay_alu instid0(VALU_DEP_1) | instskip(SKIP_1) | instid1(VALU_DEP_2)
	v_lshlrev_b64 v[36:37], 2, v[2:3]
	v_xor_b32_e32 v2, 0x7fffffff, v148
	v_add_co_u32 v36, s22, s48, v36
	s_delay_alu instid0(VALU_DEP_1) | instskip(SKIP_3) | instid1(VALU_DEP_1)
	v_add_co_ci_u32_e64 v37, s22, s49, v37, s22
	global_store_b32 v[36:37], v2, off
	s_or_b32 exec_lo, exec_lo, s23
	v_cmp_lt_u32_e64 s22, v54, v147
	s_and_saveexec_b32 s24, s22
	s_cbranch_execnz .LBB505_1083
.LBB505_1068:                           ;   in Loop: Header=BB505_982 Depth=2
	s_or_b32 exec_lo, exec_lo, s24
	v_cmp_lt_u32_e64 s23, v55, v147
	s_delay_alu instid0(VALU_DEP_1)
	s_and_saveexec_b32 s25, s23
	s_cbranch_execz .LBB505_1084
.LBB505_1069:                           ;   in Loop: Header=BB505_982 Depth=2
	ds_load_b32 v148, v78 offset:8192
	s_waitcnt lgkmcnt(0)
	v_lshrrev_b32_e32 v2, s57, v148
	s_delay_alu instid0(VALU_DEP_1) | instskip(NEXT) | instid1(VALU_DEP_1)
	v_and_b32_e32 v2, s39, v2
	v_lshlrev_b32_e32 v2, 2, v2
	ds_load_b32 v2, v2
	s_waitcnt lgkmcnt(0)
	v_add_nc_u32_e32 v2, v2, v55
	s_delay_alu instid0(VALU_DEP_1) | instskip(SKIP_1) | instid1(VALU_DEP_2)
	v_lshlrev_b64 v[36:37], 2, v[2:3]
	v_xor_b32_e32 v2, 0x7fffffff, v148
	v_add_co_u32 v36, s24, s48, v36
	s_delay_alu instid0(VALU_DEP_1) | instskip(SKIP_3) | instid1(VALU_DEP_1)
	v_add_co_ci_u32_e64 v37, s24, s49, v37, s24
	global_store_b32 v[36:37], v2, off
	s_or_b32 exec_lo, exec_lo, s25
	v_cmp_lt_u32_e64 s24, v56, v147
	s_and_saveexec_b32 s27, s24
	s_cbranch_execnz .LBB505_1085
.LBB505_1070:                           ;   in Loop: Header=BB505_982 Depth=2
	s_or_b32 exec_lo, exec_lo, s27
	v_cmp_lt_u32_e64 s25, v57, v147
	s_delay_alu instid0(VALU_DEP_1)
	s_and_saveexec_b32 s28, s25
	s_cbranch_execz .LBB505_1086
.LBB505_1071:                           ;   in Loop: Header=BB505_982 Depth=2
	ds_load_b32 v148, v78 offset:10240
	s_waitcnt lgkmcnt(0)
	v_lshrrev_b32_e32 v2, s57, v148
	s_delay_alu instid0(VALU_DEP_1) | instskip(NEXT) | instid1(VALU_DEP_1)
	v_and_b32_e32 v2, s39, v2
	v_lshlrev_b32_e32 v2, 2, v2
	ds_load_b32 v2, v2
	s_waitcnt lgkmcnt(0)
	v_add_nc_u32_e32 v2, v2, v57
	s_delay_alu instid0(VALU_DEP_1) | instskip(SKIP_1) | instid1(VALU_DEP_2)
	v_lshlrev_b64 v[36:37], 2, v[2:3]
	v_xor_b32_e32 v2, 0x7fffffff, v148
	v_add_co_u32 v36, s27, s48, v36
	s_delay_alu instid0(VALU_DEP_1) | instskip(SKIP_3) | instid1(VALU_DEP_1)
	v_add_co_ci_u32_e64 v37, s27, s49, v37, s27
	global_store_b32 v[36:37], v2, off
	s_or_b32 exec_lo, exec_lo, s28
	v_cmp_lt_u32_e64 s27, v58, v147
	s_and_saveexec_b32 s29, s27
	s_cbranch_execnz .LBB505_1087
.LBB505_1072:                           ;   in Loop: Header=BB505_982 Depth=2
	s_or_b32 exec_lo, exec_lo, s29
	v_cmp_lt_u32_e64 s28, v59, v147
	s_delay_alu instid0(VALU_DEP_1)
	s_and_saveexec_b32 s30, s28
	s_cbranch_execz .LBB505_1088
.LBB505_1073:                           ;   in Loop: Header=BB505_982 Depth=2
	ds_load_b32 v148, v78 offset:12288
	s_waitcnt lgkmcnt(0)
	v_lshrrev_b32_e32 v2, s57, v148
	s_delay_alu instid0(VALU_DEP_1) | instskip(NEXT) | instid1(VALU_DEP_1)
	v_and_b32_e32 v2, s39, v2
	v_lshlrev_b32_e32 v2, 2, v2
	ds_load_b32 v2, v2
	s_waitcnt lgkmcnt(0)
	v_add_nc_u32_e32 v2, v2, v59
	s_delay_alu instid0(VALU_DEP_1) | instskip(SKIP_1) | instid1(VALU_DEP_2)
	v_lshlrev_b64 v[36:37], 2, v[2:3]
	v_xor_b32_e32 v2, 0x7fffffff, v148
	v_add_co_u32 v36, s29, s48, v36
	s_delay_alu instid0(VALU_DEP_1) | instskip(SKIP_3) | instid1(VALU_DEP_1)
	v_add_co_ci_u32_e64 v37, s29, s49, v37, s29
	global_store_b32 v[36:37], v2, off
	s_or_b32 exec_lo, exec_lo, s30
	v_cmp_lt_u32_e64 s29, v60, v147
	s_and_saveexec_b32 s31, s29
	s_cbranch_execnz .LBB505_1089
.LBB505_1074:                           ;   in Loop: Header=BB505_982 Depth=2
	s_or_b32 exec_lo, exec_lo, s31
	v_cmp_lt_u32_e64 s30, v61, v147
	s_delay_alu instid0(VALU_DEP_1)
	s_and_saveexec_b32 s33, s30
	s_cbranch_execz .LBB505_1090
.LBB505_1075:                           ;   in Loop: Header=BB505_982 Depth=2
	ds_load_b32 v148, v78 offset:14336
	s_waitcnt lgkmcnt(0)
	v_lshrrev_b32_e32 v2, s57, v148
	s_delay_alu instid0(VALU_DEP_1) | instskip(NEXT) | instid1(VALU_DEP_1)
	v_and_b32_e32 v2, s39, v2
	v_lshlrev_b32_e32 v2, 2, v2
	ds_load_b32 v2, v2
	s_waitcnt lgkmcnt(0)
	v_add_nc_u32_e32 v2, v2, v61
	s_delay_alu instid0(VALU_DEP_1) | instskip(SKIP_1) | instid1(VALU_DEP_2)
	v_lshlrev_b64 v[36:37], 2, v[2:3]
	v_xor_b32_e32 v2, 0x7fffffff, v148
	v_add_co_u32 v36, s31, s48, v36
	s_delay_alu instid0(VALU_DEP_1) | instskip(SKIP_3) | instid1(VALU_DEP_1)
	v_add_co_ci_u32_e64 v37, s31, s49, v37, s31
	global_store_b32 v[36:37], v2, off
	s_or_b32 exec_lo, exec_lo, s33
	v_cmp_lt_u32_e64 s31, v63, v147
	s_and_saveexec_b32 s42, s31
	s_cbranch_execnz .LBB505_1091
	s_branch .LBB505_1092
.LBB505_1076:                           ;   in Loop: Header=BB505_982 Depth=2
	s_or_b32 exec_lo, exec_lo, s17
	v_cmp_lt_u32_e64 s16, v45, v147
	s_delay_alu instid0(VALU_DEP_1)
	s_and_saveexec_b32 s18, s16
	s_cbranch_execz .LBB505_1062
.LBB505_1077:                           ;   in Loop: Header=BB505_982 Depth=2
	ds_load_b32 v148, v78 offset:1024
	s_waitcnt lgkmcnt(0)
	v_lshrrev_b32_e32 v2, s57, v148
	s_delay_alu instid0(VALU_DEP_1) | instskip(NEXT) | instid1(VALU_DEP_1)
	v_and_b32_e32 v2, s39, v2
	v_lshlrev_b32_e32 v2, 2, v2
	ds_load_b32 v2, v2
	s_waitcnt lgkmcnt(0)
	v_add_nc_u32_e32 v2, v2, v45
	s_delay_alu instid0(VALU_DEP_1) | instskip(SKIP_1) | instid1(VALU_DEP_2)
	v_lshlrev_b64 v[36:37], 2, v[2:3]
	v_xor_b32_e32 v2, 0x7fffffff, v148
	v_add_co_u32 v36, s17, s48, v36
	s_delay_alu instid0(VALU_DEP_1) | instskip(SKIP_3) | instid1(VALU_DEP_1)
	v_add_co_ci_u32_e64 v37, s17, s49, v37, s17
	global_store_b32 v[36:37], v2, off
	s_or_b32 exec_lo, exec_lo, s18
	v_cmp_lt_u32_e64 s17, v46, v147
	s_and_saveexec_b32 s19, s17
	s_cbranch_execnz .LBB505_1063
.LBB505_1078:                           ;   in Loop: Header=BB505_982 Depth=2
	s_or_b32 exec_lo, exec_lo, s19
	v_cmp_lt_u32_e64 s18, v47, v147
	s_delay_alu instid0(VALU_DEP_1)
	s_and_saveexec_b32 s20, s18
	s_cbranch_execz .LBB505_1064
.LBB505_1079:                           ;   in Loop: Header=BB505_982 Depth=2
	ds_load_b32 v148, v78 offset:3072
	s_waitcnt lgkmcnt(0)
	v_lshrrev_b32_e32 v2, s57, v148
	s_delay_alu instid0(VALU_DEP_1) | instskip(NEXT) | instid1(VALU_DEP_1)
	v_and_b32_e32 v2, s39, v2
	v_lshlrev_b32_e32 v2, 2, v2
	ds_load_b32 v2, v2
	s_waitcnt lgkmcnt(0)
	v_add_nc_u32_e32 v2, v2, v47
	s_delay_alu instid0(VALU_DEP_1) | instskip(SKIP_1) | instid1(VALU_DEP_2)
	v_lshlrev_b64 v[36:37], 2, v[2:3]
	v_xor_b32_e32 v2, 0x7fffffff, v148
	v_add_co_u32 v36, s19, s48, v36
	s_delay_alu instid0(VALU_DEP_1) | instskip(SKIP_3) | instid1(VALU_DEP_1)
	v_add_co_ci_u32_e64 v37, s19, s49, v37, s19
	global_store_b32 v[36:37], v2, off
	s_or_b32 exec_lo, exec_lo, s20
	v_cmp_lt_u32_e64 s19, v51, v147
	s_and_saveexec_b32 s21, s19
	s_cbranch_execnz .LBB505_1065
.LBB505_1080:                           ;   in Loop: Header=BB505_982 Depth=2
	s_or_b32 exec_lo, exec_lo, s21
	v_cmp_lt_u32_e64 s20, v52, v147
	s_delay_alu instid0(VALU_DEP_1)
	s_and_saveexec_b32 s22, s20
	s_cbranch_execz .LBB505_1066
.LBB505_1081:                           ;   in Loop: Header=BB505_982 Depth=2
	ds_load_b32 v148, v78 offset:5120
	s_waitcnt lgkmcnt(0)
	v_lshrrev_b32_e32 v2, s57, v148
	s_delay_alu instid0(VALU_DEP_1) | instskip(NEXT) | instid1(VALU_DEP_1)
	v_and_b32_e32 v2, s39, v2
	v_lshlrev_b32_e32 v2, 2, v2
	ds_load_b32 v2, v2
	s_waitcnt lgkmcnt(0)
	v_add_nc_u32_e32 v2, v2, v52
	s_delay_alu instid0(VALU_DEP_1) | instskip(SKIP_1) | instid1(VALU_DEP_2)
	v_lshlrev_b64 v[36:37], 2, v[2:3]
	v_xor_b32_e32 v2, 0x7fffffff, v148
	v_add_co_u32 v36, s21, s48, v36
	s_delay_alu instid0(VALU_DEP_1) | instskip(SKIP_3) | instid1(VALU_DEP_1)
	v_add_co_ci_u32_e64 v37, s21, s49, v37, s21
	global_store_b32 v[36:37], v2, off
	s_or_b32 exec_lo, exec_lo, s22
	v_cmp_lt_u32_e64 s21, v53, v147
	s_and_saveexec_b32 s23, s21
	s_cbranch_execnz .LBB505_1067
.LBB505_1082:                           ;   in Loop: Header=BB505_982 Depth=2
	s_or_b32 exec_lo, exec_lo, s23
	v_cmp_lt_u32_e64 s22, v54, v147
	s_delay_alu instid0(VALU_DEP_1)
	s_and_saveexec_b32 s24, s22
	s_cbranch_execz .LBB505_1068
.LBB505_1083:                           ;   in Loop: Header=BB505_982 Depth=2
	ds_load_b32 v148, v78 offset:7168
	s_waitcnt lgkmcnt(0)
	v_lshrrev_b32_e32 v2, s57, v148
	s_delay_alu instid0(VALU_DEP_1) | instskip(NEXT) | instid1(VALU_DEP_1)
	v_and_b32_e32 v2, s39, v2
	v_lshlrev_b32_e32 v2, 2, v2
	ds_load_b32 v2, v2
	s_waitcnt lgkmcnt(0)
	v_add_nc_u32_e32 v2, v2, v54
	s_delay_alu instid0(VALU_DEP_1) | instskip(SKIP_1) | instid1(VALU_DEP_2)
	v_lshlrev_b64 v[36:37], 2, v[2:3]
	v_xor_b32_e32 v2, 0x7fffffff, v148
	v_add_co_u32 v36, s23, s48, v36
	s_delay_alu instid0(VALU_DEP_1) | instskip(SKIP_3) | instid1(VALU_DEP_1)
	v_add_co_ci_u32_e64 v37, s23, s49, v37, s23
	global_store_b32 v[36:37], v2, off
	s_or_b32 exec_lo, exec_lo, s24
	v_cmp_lt_u32_e64 s23, v55, v147
	s_and_saveexec_b32 s25, s23
	s_cbranch_execnz .LBB505_1069
.LBB505_1084:                           ;   in Loop: Header=BB505_982 Depth=2
	s_or_b32 exec_lo, exec_lo, s25
	v_cmp_lt_u32_e64 s24, v56, v147
	s_delay_alu instid0(VALU_DEP_1)
	s_and_saveexec_b32 s27, s24
	s_cbranch_execz .LBB505_1070
.LBB505_1085:                           ;   in Loop: Header=BB505_982 Depth=2
	ds_load_b32 v148, v78 offset:9216
	s_waitcnt lgkmcnt(0)
	v_lshrrev_b32_e32 v2, s57, v148
	s_delay_alu instid0(VALU_DEP_1) | instskip(NEXT) | instid1(VALU_DEP_1)
	v_and_b32_e32 v2, s39, v2
	v_lshlrev_b32_e32 v2, 2, v2
	ds_load_b32 v2, v2
	s_waitcnt lgkmcnt(0)
	v_add_nc_u32_e32 v2, v2, v56
	s_delay_alu instid0(VALU_DEP_1) | instskip(SKIP_1) | instid1(VALU_DEP_2)
	v_lshlrev_b64 v[36:37], 2, v[2:3]
	v_xor_b32_e32 v2, 0x7fffffff, v148
	v_add_co_u32 v36, s25, s48, v36
	s_delay_alu instid0(VALU_DEP_1) | instskip(SKIP_3) | instid1(VALU_DEP_1)
	v_add_co_ci_u32_e64 v37, s25, s49, v37, s25
	global_store_b32 v[36:37], v2, off
	s_or_b32 exec_lo, exec_lo, s27
	v_cmp_lt_u32_e64 s25, v57, v147
	s_and_saveexec_b32 s28, s25
	s_cbranch_execnz .LBB505_1071
.LBB505_1086:                           ;   in Loop: Header=BB505_982 Depth=2
	s_or_b32 exec_lo, exec_lo, s28
	v_cmp_lt_u32_e64 s27, v58, v147
	s_delay_alu instid0(VALU_DEP_1)
	s_and_saveexec_b32 s29, s27
	s_cbranch_execz .LBB505_1072
.LBB505_1087:                           ;   in Loop: Header=BB505_982 Depth=2
	ds_load_b32 v148, v78 offset:11264
	s_waitcnt lgkmcnt(0)
	v_lshrrev_b32_e32 v2, s57, v148
	s_delay_alu instid0(VALU_DEP_1) | instskip(NEXT) | instid1(VALU_DEP_1)
	v_and_b32_e32 v2, s39, v2
	v_lshlrev_b32_e32 v2, 2, v2
	ds_load_b32 v2, v2
	s_waitcnt lgkmcnt(0)
	v_add_nc_u32_e32 v2, v2, v58
	s_delay_alu instid0(VALU_DEP_1) | instskip(SKIP_1) | instid1(VALU_DEP_2)
	v_lshlrev_b64 v[36:37], 2, v[2:3]
	v_xor_b32_e32 v2, 0x7fffffff, v148
	v_add_co_u32 v36, s28, s48, v36
	s_delay_alu instid0(VALU_DEP_1) | instskip(SKIP_3) | instid1(VALU_DEP_1)
	v_add_co_ci_u32_e64 v37, s28, s49, v37, s28
	global_store_b32 v[36:37], v2, off
	s_or_b32 exec_lo, exec_lo, s29
	v_cmp_lt_u32_e64 s28, v59, v147
	s_and_saveexec_b32 s30, s28
	s_cbranch_execnz .LBB505_1073
.LBB505_1088:                           ;   in Loop: Header=BB505_982 Depth=2
	s_or_b32 exec_lo, exec_lo, s30
	v_cmp_lt_u32_e64 s29, v60, v147
	s_delay_alu instid0(VALU_DEP_1)
	s_and_saveexec_b32 s31, s29
	s_cbranch_execz .LBB505_1074
.LBB505_1089:                           ;   in Loop: Header=BB505_982 Depth=2
	ds_load_b32 v148, v78 offset:13312
	s_waitcnt lgkmcnt(0)
	v_lshrrev_b32_e32 v2, s57, v148
	s_delay_alu instid0(VALU_DEP_1) | instskip(NEXT) | instid1(VALU_DEP_1)
	v_and_b32_e32 v2, s39, v2
	v_lshlrev_b32_e32 v2, 2, v2
	ds_load_b32 v2, v2
	s_waitcnt lgkmcnt(0)
	v_add_nc_u32_e32 v2, v2, v60
	s_delay_alu instid0(VALU_DEP_1) | instskip(SKIP_1) | instid1(VALU_DEP_2)
	v_lshlrev_b64 v[36:37], 2, v[2:3]
	v_xor_b32_e32 v2, 0x7fffffff, v148
	v_add_co_u32 v36, s30, s48, v36
	s_delay_alu instid0(VALU_DEP_1) | instskip(SKIP_3) | instid1(VALU_DEP_1)
	v_add_co_ci_u32_e64 v37, s30, s49, v37, s30
	global_store_b32 v[36:37], v2, off
	s_or_b32 exec_lo, exec_lo, s31
	v_cmp_lt_u32_e64 s30, v61, v147
	s_and_saveexec_b32 s33, s30
	s_cbranch_execnz .LBB505_1075
.LBB505_1090:                           ;   in Loop: Header=BB505_982 Depth=2
	s_or_b32 exec_lo, exec_lo, s33
	v_cmp_lt_u32_e64 s31, v63, v147
	s_delay_alu instid0(VALU_DEP_1)
	s_and_saveexec_b32 s42, s31
	s_cbranch_execz .LBB505_1092
.LBB505_1091:                           ;   in Loop: Header=BB505_982 Depth=2
	ds_load_b32 v148, v78 offset:15360
	s_waitcnt lgkmcnt(0)
	v_lshrrev_b32_e32 v2, s57, v148
	s_delay_alu instid0(VALU_DEP_1) | instskip(NEXT) | instid1(VALU_DEP_1)
	v_and_b32_e32 v2, s39, v2
	v_lshlrev_b32_e32 v2, 2, v2
	ds_load_b32 v2, v2
	s_waitcnt lgkmcnt(0)
	v_add_nc_u32_e32 v2, v2, v63
	s_delay_alu instid0(VALU_DEP_1) | instskip(SKIP_1) | instid1(VALU_DEP_2)
	v_lshlrev_b64 v[36:37], 2, v[2:3]
	v_xor_b32_e32 v2, 0x7fffffff, v148
	v_add_co_u32 v36, s33, s48, v36
	s_delay_alu instid0(VALU_DEP_1)
	v_add_co_ci_u32_e64 v37, s33, s49, v37, s33
	global_store_b32 v[36:37], v2, off
.LBB505_1092:                           ;   in Loop: Header=BB505_982 Depth=2
	s_or_b32 exec_lo, exec_lo, s42
	s_lshl_b64 s[42:43], s[34:35], 3
	s_delay_alu instid0(SALU_CYCLE_1) | instskip(NEXT) | instid1(VALU_DEP_1)
	v_add_co_u32 v36, s33, v109, s42
	v_add_co_ci_u32_e64 v37, s33, s43, v110, s33
	v_cmp_lt_u32_e64 s33, v108, v147
	s_delay_alu instid0(VALU_DEP_1) | instskip(NEXT) | instid1(SALU_CYCLE_1)
	s_and_saveexec_b32 s34, s33
	s_xor_b32 s33, exec_lo, s34
	s_cbranch_execz .LBB505_1124
; %bb.1093:                             ;   in Loop: Header=BB505_982 Depth=2
	global_load_b64 v[34:35], v[36:37], off
	s_or_b32 exec_lo, exec_lo, s33
	s_delay_alu instid0(SALU_CYCLE_1)
	s_mov_b32 s34, exec_lo
	v_cmpx_lt_u32_e64 v111, v147
	s_cbranch_execnz .LBB505_1125
.LBB505_1094:                           ;   in Loop: Header=BB505_982 Depth=2
	s_or_b32 exec_lo, exec_lo, s34
	s_delay_alu instid0(SALU_CYCLE_1)
	s_mov_b32 s34, exec_lo
	v_cmpx_lt_u32_e64 v112, v147
	s_cbranch_execz .LBB505_1126
.LBB505_1095:                           ;   in Loop: Header=BB505_982 Depth=2
	global_load_b64 v[30:31], v[36:37], off offset:512
	s_or_b32 exec_lo, exec_lo, s34
	s_delay_alu instid0(SALU_CYCLE_1)
	s_mov_b32 s34, exec_lo
	v_cmpx_lt_u32_e64 v113, v147
	s_cbranch_execnz .LBB505_1127
.LBB505_1096:                           ;   in Loop: Header=BB505_982 Depth=2
	s_or_b32 exec_lo, exec_lo, s34
	s_delay_alu instid0(SALU_CYCLE_1)
	s_mov_b32 s34, exec_lo
	v_cmpx_lt_u32_e64 v114, v147
	s_cbranch_execz .LBB505_1128
.LBB505_1097:                           ;   in Loop: Header=BB505_982 Depth=2
	global_load_b64 v[26:27], v[36:37], off offset:1024
	s_or_b32 exec_lo, exec_lo, s34
	s_delay_alu instid0(SALU_CYCLE_1)
	s_mov_b32 s34, exec_lo
	v_cmpx_lt_u32_e64 v115, v147
	s_cbranch_execnz .LBB505_1129
.LBB505_1098:                           ;   in Loop: Header=BB505_982 Depth=2
	s_or_b32 exec_lo, exec_lo, s34
	s_delay_alu instid0(SALU_CYCLE_1)
	s_mov_b32 s34, exec_lo
	v_cmpx_lt_u32_e64 v116, v147
	s_cbranch_execz .LBB505_1130
.LBB505_1099:                           ;   in Loop: Header=BB505_982 Depth=2
	global_load_b64 v[22:23], v[36:37], off offset:1536
	s_or_b32 exec_lo, exec_lo, s34
	s_delay_alu instid0(SALU_CYCLE_1)
	s_mov_b32 s34, exec_lo
	v_cmpx_lt_u32_e64 v117, v147
	s_cbranch_execnz .LBB505_1131
.LBB505_1100:                           ;   in Loop: Header=BB505_982 Depth=2
	s_or_b32 exec_lo, exec_lo, s34
	s_delay_alu instid0(SALU_CYCLE_1)
	s_mov_b32 s34, exec_lo
	v_cmpx_lt_u32_e64 v118, v147
	s_cbranch_execz .LBB505_1132
.LBB505_1101:                           ;   in Loop: Header=BB505_982 Depth=2
	global_load_b64 v[18:19], v[36:37], off offset:2048
	s_or_b32 exec_lo, exec_lo, s34
	s_delay_alu instid0(SALU_CYCLE_1)
	s_mov_b32 s34, exec_lo
	v_cmpx_lt_u32_e64 v119, v147
	s_cbranch_execnz .LBB505_1133
.LBB505_1102:                           ;   in Loop: Header=BB505_982 Depth=2
	s_or_b32 exec_lo, exec_lo, s34
	s_delay_alu instid0(SALU_CYCLE_1)
	s_mov_b32 s34, exec_lo
	v_cmpx_lt_u32_e64 v120, v147
	s_cbranch_execz .LBB505_1134
.LBB505_1103:                           ;   in Loop: Header=BB505_982 Depth=2
	global_load_b64 v[14:15], v[36:37], off offset:2560
	s_or_b32 exec_lo, exec_lo, s34
	s_delay_alu instid0(SALU_CYCLE_1)
	s_mov_b32 s34, exec_lo
	v_cmpx_lt_u32_e64 v121, v147
	s_cbranch_execnz .LBB505_1135
.LBB505_1104:                           ;   in Loop: Header=BB505_982 Depth=2
	s_or_b32 exec_lo, exec_lo, s34
	s_delay_alu instid0(SALU_CYCLE_1)
	s_mov_b32 s34, exec_lo
	v_cmpx_lt_u32_e64 v122, v147
	s_cbranch_execz .LBB505_1136
.LBB505_1105:                           ;   in Loop: Header=BB505_982 Depth=2
	global_load_b64 v[10:11], v[36:37], off offset:3072
	s_or_b32 exec_lo, exec_lo, s34
	s_delay_alu instid0(SALU_CYCLE_1)
	s_mov_b32 s34, exec_lo
	v_cmpx_lt_u32_e64 v123, v147
	s_cbranch_execnz .LBB505_1137
.LBB505_1106:                           ;   in Loop: Header=BB505_982 Depth=2
	s_or_b32 exec_lo, exec_lo, s34
	s_delay_alu instid0(SALU_CYCLE_1)
	s_mov_b32 s34, exec_lo
	v_cmpx_lt_u32_e64 v124, v147
	s_cbranch_execz .LBB505_1138
.LBB505_1107:                           ;   in Loop: Header=BB505_982 Depth=2
	global_load_b64 v[6:7], v[36:37], off offset:3584
	s_or_b32 exec_lo, exec_lo, s34
	s_delay_alu instid0(SALU_CYCLE_1)
	s_mov_b32 s34, exec_lo
	v_cmpx_lt_u32_e64 v125, v147
	s_cbranch_execnz .LBB505_1139
.LBB505_1108:                           ;   in Loop: Header=BB505_982 Depth=2
	s_or_b32 exec_lo, exec_lo, s34
	s_and_saveexec_b32 s33, vcc_lo
	s_cbranch_execz .LBB505_1140
.LBB505_1109:                           ;   in Loop: Header=BB505_982 Depth=2
	ds_load_b32 v2, v188 offset:1024
	s_waitcnt lgkmcnt(0)
	v_lshrrev_b32_e32 v2, s57, v2
	s_delay_alu instid0(VALU_DEP_1)
	v_and_b32_e32 v146, s39, v2
	s_or_b32 exec_lo, exec_lo, s33
	s_and_saveexec_b32 s33, s16
	s_cbranch_execnz .LBB505_1141
.LBB505_1110:                           ;   in Loop: Header=BB505_982 Depth=2
	s_or_b32 exec_lo, exec_lo, s33
	s_and_saveexec_b32 s33, s17
	s_cbranch_execz .LBB505_1142
.LBB505_1111:                           ;   in Loop: Header=BB505_982 Depth=2
	ds_load_b32 v2, v78 offset:2048
	s_waitcnt lgkmcnt(0)
	v_lshrrev_b32_e32 v2, s57, v2
	s_delay_alu instid0(VALU_DEP_1)
	v_and_b32_e32 v144, s39, v2
	s_or_b32 exec_lo, exec_lo, s33
	s_and_saveexec_b32 s33, s18
	s_cbranch_execnz .LBB505_1143
.LBB505_1112:                           ;   in Loop: Header=BB505_982 Depth=2
	s_or_b32 exec_lo, exec_lo, s33
	s_and_saveexec_b32 s33, s19
	s_cbranch_execz .LBB505_1144
.LBB505_1113:                           ;   in Loop: Header=BB505_982 Depth=2
	ds_load_b32 v2, v78 offset:4096
	s_waitcnt lgkmcnt(0)
	v_lshrrev_b32_e32 v2, s57, v2
	s_delay_alu instid0(VALU_DEP_1)
	v_and_b32_e32 v142, s39, v2
	s_or_b32 exec_lo, exec_lo, s33
	s_and_saveexec_b32 s33, s20
	s_cbranch_execnz .LBB505_1145
.LBB505_1114:                           ;   in Loop: Header=BB505_982 Depth=2
	s_or_b32 exec_lo, exec_lo, s33
	s_and_saveexec_b32 s33, s21
	s_cbranch_execz .LBB505_1146
.LBB505_1115:                           ;   in Loop: Header=BB505_982 Depth=2
	ds_load_b32 v2, v78 offset:6144
	s_waitcnt lgkmcnt(0)
	v_lshrrev_b32_e32 v2, s57, v2
	s_delay_alu instid0(VALU_DEP_1)
	v_and_b32_e32 v140, s39, v2
	s_or_b32 exec_lo, exec_lo, s33
	s_and_saveexec_b32 s33, s22
	s_cbranch_execnz .LBB505_1147
.LBB505_1116:                           ;   in Loop: Header=BB505_982 Depth=2
	s_or_b32 exec_lo, exec_lo, s33
	s_and_saveexec_b32 s33, s23
	s_cbranch_execz .LBB505_1148
.LBB505_1117:                           ;   in Loop: Header=BB505_982 Depth=2
	ds_load_b32 v2, v78 offset:8192
	s_waitcnt lgkmcnt(0)
	v_lshrrev_b32_e32 v2, s57, v2
	s_delay_alu instid0(VALU_DEP_1)
	v_and_b32_e32 v138, s39, v2
	s_or_b32 exec_lo, exec_lo, s33
	s_and_saveexec_b32 s33, s24
	s_cbranch_execnz .LBB505_1149
.LBB505_1118:                           ;   in Loop: Header=BB505_982 Depth=2
	s_or_b32 exec_lo, exec_lo, s33
	s_and_saveexec_b32 s33, s25
	s_cbranch_execz .LBB505_1150
.LBB505_1119:                           ;   in Loop: Header=BB505_982 Depth=2
	ds_load_b32 v2, v78 offset:10240
	s_waitcnt lgkmcnt(0)
	v_lshrrev_b32_e32 v2, s57, v2
	s_delay_alu instid0(VALU_DEP_1)
	v_and_b32_e32 v136, s39, v2
	s_or_b32 exec_lo, exec_lo, s33
	s_and_saveexec_b32 s33, s27
	s_cbranch_execnz .LBB505_1151
.LBB505_1120:                           ;   in Loop: Header=BB505_982 Depth=2
	s_or_b32 exec_lo, exec_lo, s33
	s_and_saveexec_b32 s33, s28
	s_cbranch_execz .LBB505_1152
.LBB505_1121:                           ;   in Loop: Header=BB505_982 Depth=2
	ds_load_b32 v2, v78 offset:12288
	s_waitcnt lgkmcnt(0)
	v_lshrrev_b32_e32 v2, s57, v2
	s_delay_alu instid0(VALU_DEP_1)
	v_and_b32_e32 v134, s39, v2
	s_or_b32 exec_lo, exec_lo, s33
	s_and_saveexec_b32 s33, s29
	s_cbranch_execnz .LBB505_1153
.LBB505_1122:                           ;   in Loop: Header=BB505_982 Depth=2
	s_or_b32 exec_lo, exec_lo, s33
	s_and_saveexec_b32 s33, s30
	s_cbranch_execz .LBB505_1154
.LBB505_1123:                           ;   in Loop: Header=BB505_982 Depth=2
	ds_load_b32 v2, v78 offset:14336
	s_waitcnt lgkmcnt(0)
	v_lshrrev_b32_e32 v2, s57, v2
	s_delay_alu instid0(VALU_DEP_1)
	v_and_b32_e32 v132, s39, v2
	s_or_b32 exec_lo, exec_lo, s33
	s_and_saveexec_b32 s33, s31
	s_cbranch_execnz .LBB505_1155
	s_branch .LBB505_1156
.LBB505_1124:                           ;   in Loop: Header=BB505_982 Depth=2
	s_or_b32 exec_lo, exec_lo, s33
	s_delay_alu instid0(SALU_CYCLE_1)
	s_mov_b32 s34, exec_lo
	v_cmpx_lt_u32_e64 v111, v147
	s_cbranch_execz .LBB505_1094
.LBB505_1125:                           ;   in Loop: Header=BB505_982 Depth=2
	global_load_b64 v[32:33], v[36:37], off offset:256
	s_or_b32 exec_lo, exec_lo, s34
	s_delay_alu instid0(SALU_CYCLE_1)
	s_mov_b32 s34, exec_lo
	v_cmpx_lt_u32_e64 v112, v147
	s_cbranch_execnz .LBB505_1095
.LBB505_1126:                           ;   in Loop: Header=BB505_982 Depth=2
	s_or_b32 exec_lo, exec_lo, s34
	s_delay_alu instid0(SALU_CYCLE_1)
	s_mov_b32 s34, exec_lo
	v_cmpx_lt_u32_e64 v113, v147
	s_cbranch_execz .LBB505_1096
.LBB505_1127:                           ;   in Loop: Header=BB505_982 Depth=2
	global_load_b64 v[28:29], v[36:37], off offset:768
	s_or_b32 exec_lo, exec_lo, s34
	s_delay_alu instid0(SALU_CYCLE_1)
	s_mov_b32 s34, exec_lo
	v_cmpx_lt_u32_e64 v114, v147
	s_cbranch_execnz .LBB505_1097
.LBB505_1128:                           ;   in Loop: Header=BB505_982 Depth=2
	s_or_b32 exec_lo, exec_lo, s34
	s_delay_alu instid0(SALU_CYCLE_1)
	s_mov_b32 s34, exec_lo
	v_cmpx_lt_u32_e64 v115, v147
	s_cbranch_execz .LBB505_1098
.LBB505_1129:                           ;   in Loop: Header=BB505_982 Depth=2
	global_load_b64 v[24:25], v[36:37], off offset:1280
	s_or_b32 exec_lo, exec_lo, s34
	s_delay_alu instid0(SALU_CYCLE_1)
	s_mov_b32 s34, exec_lo
	v_cmpx_lt_u32_e64 v116, v147
	s_cbranch_execnz .LBB505_1099
.LBB505_1130:                           ;   in Loop: Header=BB505_982 Depth=2
	s_or_b32 exec_lo, exec_lo, s34
	s_delay_alu instid0(SALU_CYCLE_1)
	s_mov_b32 s34, exec_lo
	v_cmpx_lt_u32_e64 v117, v147
	s_cbranch_execz .LBB505_1100
.LBB505_1131:                           ;   in Loop: Header=BB505_982 Depth=2
	global_load_b64 v[20:21], v[36:37], off offset:1792
	s_or_b32 exec_lo, exec_lo, s34
	s_delay_alu instid0(SALU_CYCLE_1)
	s_mov_b32 s34, exec_lo
	v_cmpx_lt_u32_e64 v118, v147
	s_cbranch_execnz .LBB505_1101
.LBB505_1132:                           ;   in Loop: Header=BB505_982 Depth=2
	s_or_b32 exec_lo, exec_lo, s34
	s_delay_alu instid0(SALU_CYCLE_1)
	s_mov_b32 s34, exec_lo
	v_cmpx_lt_u32_e64 v119, v147
	s_cbranch_execz .LBB505_1102
.LBB505_1133:                           ;   in Loop: Header=BB505_982 Depth=2
	global_load_b64 v[16:17], v[36:37], off offset:2304
	s_or_b32 exec_lo, exec_lo, s34
	s_delay_alu instid0(SALU_CYCLE_1)
	s_mov_b32 s34, exec_lo
	v_cmpx_lt_u32_e64 v120, v147
	s_cbranch_execnz .LBB505_1103
.LBB505_1134:                           ;   in Loop: Header=BB505_982 Depth=2
	s_or_b32 exec_lo, exec_lo, s34
	s_delay_alu instid0(SALU_CYCLE_1)
	s_mov_b32 s34, exec_lo
	v_cmpx_lt_u32_e64 v121, v147
	s_cbranch_execz .LBB505_1104
.LBB505_1135:                           ;   in Loop: Header=BB505_982 Depth=2
	global_load_b64 v[12:13], v[36:37], off offset:2816
	s_or_b32 exec_lo, exec_lo, s34
	s_delay_alu instid0(SALU_CYCLE_1)
	s_mov_b32 s34, exec_lo
	v_cmpx_lt_u32_e64 v122, v147
	s_cbranch_execnz .LBB505_1105
.LBB505_1136:                           ;   in Loop: Header=BB505_982 Depth=2
	s_or_b32 exec_lo, exec_lo, s34
	s_delay_alu instid0(SALU_CYCLE_1)
	s_mov_b32 s34, exec_lo
	v_cmpx_lt_u32_e64 v123, v147
	s_cbranch_execz .LBB505_1106
.LBB505_1137:                           ;   in Loop: Header=BB505_982 Depth=2
	global_load_b64 v[8:9], v[36:37], off offset:3328
	s_or_b32 exec_lo, exec_lo, s34
	s_delay_alu instid0(SALU_CYCLE_1)
	s_mov_b32 s34, exec_lo
	v_cmpx_lt_u32_e64 v124, v147
	s_cbranch_execnz .LBB505_1107
.LBB505_1138:                           ;   in Loop: Header=BB505_982 Depth=2
	s_or_b32 exec_lo, exec_lo, s34
	s_delay_alu instid0(SALU_CYCLE_1)
	s_mov_b32 s34, exec_lo
	v_cmpx_lt_u32_e64 v125, v147
	s_cbranch_execz .LBB505_1108
.LBB505_1139:                           ;   in Loop: Header=BB505_982 Depth=2
	global_load_b64 v[4:5], v[36:37], off offset:3840
	s_or_b32 exec_lo, exec_lo, s34
	s_and_saveexec_b32 s33, vcc_lo
	s_cbranch_execnz .LBB505_1109
.LBB505_1140:                           ;   in Loop: Header=BB505_982 Depth=2
	s_or_b32 exec_lo, exec_lo, s33
	s_and_saveexec_b32 s33, s16
	s_cbranch_execz .LBB505_1110
.LBB505_1141:                           ;   in Loop: Header=BB505_982 Depth=2
	ds_load_b32 v2, v78 offset:1024
	s_waitcnt lgkmcnt(0)
	v_lshrrev_b32_e32 v2, s57, v2
	s_delay_alu instid0(VALU_DEP_1)
	v_and_b32_e32 v145, s39, v2
	s_or_b32 exec_lo, exec_lo, s33
	s_and_saveexec_b32 s33, s17
	s_cbranch_execnz .LBB505_1111
.LBB505_1142:                           ;   in Loop: Header=BB505_982 Depth=2
	s_or_b32 exec_lo, exec_lo, s33
	s_and_saveexec_b32 s33, s18
	s_cbranch_execz .LBB505_1112
.LBB505_1143:                           ;   in Loop: Header=BB505_982 Depth=2
	ds_load_b32 v2, v78 offset:3072
	s_waitcnt lgkmcnt(0)
	v_lshrrev_b32_e32 v2, s57, v2
	s_delay_alu instid0(VALU_DEP_1)
	v_and_b32_e32 v143, s39, v2
	s_or_b32 exec_lo, exec_lo, s33
	s_and_saveexec_b32 s33, s19
	s_cbranch_execnz .LBB505_1113
.LBB505_1144:                           ;   in Loop: Header=BB505_982 Depth=2
	s_or_b32 exec_lo, exec_lo, s33
	s_and_saveexec_b32 s33, s20
	s_cbranch_execz .LBB505_1114
.LBB505_1145:                           ;   in Loop: Header=BB505_982 Depth=2
	ds_load_b32 v2, v78 offset:5120
	s_waitcnt lgkmcnt(0)
	v_lshrrev_b32_e32 v2, s57, v2
	s_delay_alu instid0(VALU_DEP_1)
	v_and_b32_e32 v141, s39, v2
	s_or_b32 exec_lo, exec_lo, s33
	s_and_saveexec_b32 s33, s21
	s_cbranch_execnz .LBB505_1115
.LBB505_1146:                           ;   in Loop: Header=BB505_982 Depth=2
	s_or_b32 exec_lo, exec_lo, s33
	s_and_saveexec_b32 s33, s22
	s_cbranch_execz .LBB505_1116
.LBB505_1147:                           ;   in Loop: Header=BB505_982 Depth=2
	ds_load_b32 v2, v78 offset:7168
	s_waitcnt lgkmcnt(0)
	v_lshrrev_b32_e32 v2, s57, v2
	s_delay_alu instid0(VALU_DEP_1)
	v_and_b32_e32 v139, s39, v2
	s_or_b32 exec_lo, exec_lo, s33
	s_and_saveexec_b32 s33, s23
	s_cbranch_execnz .LBB505_1117
.LBB505_1148:                           ;   in Loop: Header=BB505_982 Depth=2
	s_or_b32 exec_lo, exec_lo, s33
	s_and_saveexec_b32 s33, s24
	s_cbranch_execz .LBB505_1118
.LBB505_1149:                           ;   in Loop: Header=BB505_982 Depth=2
	ds_load_b32 v2, v78 offset:9216
	s_waitcnt lgkmcnt(0)
	v_lshrrev_b32_e32 v2, s57, v2
	s_delay_alu instid0(VALU_DEP_1)
	v_and_b32_e32 v137, s39, v2
	s_or_b32 exec_lo, exec_lo, s33
	s_and_saveexec_b32 s33, s25
	s_cbranch_execnz .LBB505_1119
.LBB505_1150:                           ;   in Loop: Header=BB505_982 Depth=2
	s_or_b32 exec_lo, exec_lo, s33
	s_and_saveexec_b32 s33, s27
	s_cbranch_execz .LBB505_1120
.LBB505_1151:                           ;   in Loop: Header=BB505_982 Depth=2
	ds_load_b32 v2, v78 offset:11264
	s_waitcnt lgkmcnt(0)
	v_lshrrev_b32_e32 v2, s57, v2
	s_delay_alu instid0(VALU_DEP_1)
	v_and_b32_e32 v135, s39, v2
	s_or_b32 exec_lo, exec_lo, s33
	s_and_saveexec_b32 s33, s28
	s_cbranch_execnz .LBB505_1121
.LBB505_1152:                           ;   in Loop: Header=BB505_982 Depth=2
	s_or_b32 exec_lo, exec_lo, s33
	s_and_saveexec_b32 s33, s29
	s_cbranch_execz .LBB505_1122
.LBB505_1153:                           ;   in Loop: Header=BB505_982 Depth=2
	ds_load_b32 v2, v78 offset:13312
	s_waitcnt lgkmcnt(0)
	v_lshrrev_b32_e32 v2, s57, v2
	s_delay_alu instid0(VALU_DEP_1)
	v_and_b32_e32 v133, s39, v2
	s_or_b32 exec_lo, exec_lo, s33
	s_and_saveexec_b32 s33, s30
	s_cbranch_execnz .LBB505_1123
.LBB505_1154:                           ;   in Loop: Header=BB505_982 Depth=2
	s_or_b32 exec_lo, exec_lo, s33
	s_and_saveexec_b32 s33, s31
	s_cbranch_execz .LBB505_1156
.LBB505_1155:                           ;   in Loop: Header=BB505_982 Depth=2
	ds_load_b32 v2, v78 offset:15360
	s_waitcnt lgkmcnt(0)
	v_lshrrev_b32_e32 v2, s57, v2
	s_delay_alu instid0(VALU_DEP_1)
	v_and_b32_e32 v131, s39, v2
.LBB505_1156:                           ;   in Loop: Header=BB505_982 Depth=2
	s_or_b32 exec_lo, exec_lo, s33
	v_lshlrev_b32_e32 v2, 3, v170
	v_lshlrev_b32_e32 v36, 3, v166
	s_waitcnt vmcnt(0)
	s_waitcnt_vscnt null, 0x0
	s_barrier
	buffer_gl0_inv
	ds_store_b64 v2, v[34:35] offset:1024
	v_lshlrev_b32_e32 v2, 3, v162
	v_lshlrev_b32_e32 v37, 3, v158
	;; [unrolled: 1-line block ×4, first 2 shown]
	ds_store_b64 v36, v[32:33] offset:1024
	ds_store_b64 v2, v[30:31] offset:1024
	;; [unrolled: 1-line block ×5, first 2 shown]
	v_lshlrev_b32_e32 v2, 3, v154
	v_lshlrev_b32_e32 v36, 3, v153
	v_lshlrev_b32_e32 v37, 3, v152
	v_lshlrev_b32_e32 v147, 3, v150
	v_lshlrev_b32_e32 v148, 3, v149
	ds_store_b64 v2, v[22:23] offset:1024
	ds_store_b64 v36, v[20:21] offset:1024
	;; [unrolled: 1-line block ×5, first 2 shown]
	v_lshlrev_b32_e32 v2, 3, v40
	v_lshlrev_b32_e32 v36, 3, v39
	;; [unrolled: 1-line block ×5, first 2 shown]
	ds_store_b64 v2, v[12:13] offset:1024
	ds_store_b64 v36, v[10:11] offset:1024
	ds_store_b64 v37, v[8:9] offset:1024
	ds_store_b64 v39, v[6:7] offset:1024
	ds_store_b64 v40, v[4:5] offset:1024
	s_waitcnt lgkmcnt(0)
	s_barrier
	buffer_gl0_inv
	s_and_saveexec_b32 s33, vcc_lo
	s_cbranch_execz .LBB505_1172
; %bb.1157:                             ;   in Loop: Header=BB505_982 Depth=2
	v_lshlrev_b32_e32 v2, 2, v146
	ds_load_b32 v2, v2
	ds_load_b64 v[36:37], v79 offset:1024
	s_waitcnt lgkmcnt(1)
	v_add_nc_u32_e32 v2, v2, v1
	s_delay_alu instid0(VALU_DEP_1) | instskip(NEXT) | instid1(VALU_DEP_1)
	v_lshlrev_b64 v[39:40], 3, v[2:3]
	v_add_co_u32 v39, vcc_lo, s54, v39
	s_delay_alu instid0(VALU_DEP_2)
	v_add_co_ci_u32_e32 v40, vcc_lo, s55, v40, vcc_lo
	s_waitcnt lgkmcnt(0)
	global_store_b64 v[39:40], v[36:37], off
	s_or_b32 exec_lo, exec_lo, s33
	v_add_nc_u32_e32 v36, v78, v44
	s_and_saveexec_b32 s33, s16
	s_cbranch_execnz .LBB505_1173
.LBB505_1158:                           ;   in Loop: Header=BB505_982 Depth=2
	s_or_b32 exec_lo, exec_lo, s33
	s_and_saveexec_b32 s16, s17
	s_cbranch_execz .LBB505_1174
.LBB505_1159:                           ;   in Loop: Header=BB505_982 Depth=2
	v_lshlrev_b32_e32 v2, 2, v144
	ds_load_b32 v2, v2
	ds_load_b64 v[39:40], v36 offset:4096
	s_waitcnt lgkmcnt(1)
	v_add_nc_u32_e32 v2, v2, v46
	s_delay_alu instid0(VALU_DEP_1) | instskip(NEXT) | instid1(VALU_DEP_1)
	v_lshlrev_b64 v[41:42], 3, v[2:3]
	v_add_co_u32 v41, vcc_lo, s54, v41
	s_delay_alu instid0(VALU_DEP_2)
	v_add_co_ci_u32_e32 v42, vcc_lo, s55, v42, vcc_lo
	s_waitcnt lgkmcnt(0)
	global_store_b64 v[41:42], v[39:40], off
	s_or_b32 exec_lo, exec_lo, s16
	s_and_saveexec_b32 s16, s18
	s_cbranch_execnz .LBB505_1175
.LBB505_1160:                           ;   in Loop: Header=BB505_982 Depth=2
	s_or_b32 exec_lo, exec_lo, s16
	s_and_saveexec_b32 s16, s19
	s_cbranch_execz .LBB505_1176
.LBB505_1161:                           ;   in Loop: Header=BB505_982 Depth=2
	v_lshlrev_b32_e32 v2, 2, v142
	ds_load_b32 v2, v2
	ds_load_b64 v[39:40], v36 offset:8192
	s_waitcnt lgkmcnt(1)
	v_add_nc_u32_e32 v2, v2, v51
	s_delay_alu instid0(VALU_DEP_1) | instskip(NEXT) | instid1(VALU_DEP_1)
	v_lshlrev_b64 v[41:42], 3, v[2:3]
	v_add_co_u32 v41, vcc_lo, s54, v41
	s_delay_alu instid0(VALU_DEP_2)
	v_add_co_ci_u32_e32 v42, vcc_lo, s55, v42, vcc_lo
	s_waitcnt lgkmcnt(0)
	global_store_b64 v[41:42], v[39:40], off
	s_or_b32 exec_lo, exec_lo, s16
	s_and_saveexec_b32 s16, s20
	s_cbranch_execnz .LBB505_1177
.LBB505_1162:                           ;   in Loop: Header=BB505_982 Depth=2
	s_or_b32 exec_lo, exec_lo, s16
	s_and_saveexec_b32 s16, s21
	s_cbranch_execz .LBB505_1178
.LBB505_1163:                           ;   in Loop: Header=BB505_982 Depth=2
	v_lshlrev_b32_e32 v2, 2, v140
	ds_load_b32 v2, v2
	ds_load_b64 v[39:40], v36 offset:12288
	s_waitcnt lgkmcnt(1)
	v_add_nc_u32_e32 v2, v2, v53
	s_delay_alu instid0(VALU_DEP_1) | instskip(NEXT) | instid1(VALU_DEP_1)
	v_lshlrev_b64 v[41:42], 3, v[2:3]
	v_add_co_u32 v41, vcc_lo, s54, v41
	s_delay_alu instid0(VALU_DEP_2)
	v_add_co_ci_u32_e32 v42, vcc_lo, s55, v42, vcc_lo
	s_waitcnt lgkmcnt(0)
	global_store_b64 v[41:42], v[39:40], off
	s_or_b32 exec_lo, exec_lo, s16
	s_and_saveexec_b32 s16, s22
	s_cbranch_execnz .LBB505_1179
.LBB505_1164:                           ;   in Loop: Header=BB505_982 Depth=2
	s_or_b32 exec_lo, exec_lo, s16
	s_and_saveexec_b32 s16, s23
	s_cbranch_execz .LBB505_1180
.LBB505_1165:                           ;   in Loop: Header=BB505_982 Depth=2
	v_lshlrev_b32_e32 v2, 2, v138
	ds_load_b32 v2, v2
	ds_load_b64 v[39:40], v36 offset:16384
	s_waitcnt lgkmcnt(1)
	v_add_nc_u32_e32 v2, v2, v55
	s_delay_alu instid0(VALU_DEP_1) | instskip(NEXT) | instid1(VALU_DEP_1)
	v_lshlrev_b64 v[41:42], 3, v[2:3]
	v_add_co_u32 v41, vcc_lo, s54, v41
	s_delay_alu instid0(VALU_DEP_2)
	v_add_co_ci_u32_e32 v42, vcc_lo, s55, v42, vcc_lo
	s_waitcnt lgkmcnt(0)
	global_store_b64 v[41:42], v[39:40], off
	s_or_b32 exec_lo, exec_lo, s16
	s_and_saveexec_b32 s16, s24
	s_cbranch_execnz .LBB505_1181
.LBB505_1166:                           ;   in Loop: Header=BB505_982 Depth=2
	s_or_b32 exec_lo, exec_lo, s16
	s_and_saveexec_b32 s16, s25
	s_cbranch_execz .LBB505_1182
.LBB505_1167:                           ;   in Loop: Header=BB505_982 Depth=2
	v_lshlrev_b32_e32 v2, 2, v136
	ds_load_b32 v2, v2
	ds_load_b64 v[39:40], v36 offset:20480
	s_waitcnt lgkmcnt(1)
	v_add_nc_u32_e32 v2, v2, v57
	s_delay_alu instid0(VALU_DEP_1) | instskip(NEXT) | instid1(VALU_DEP_1)
	v_lshlrev_b64 v[41:42], 3, v[2:3]
	v_add_co_u32 v41, vcc_lo, s54, v41
	s_delay_alu instid0(VALU_DEP_2)
	v_add_co_ci_u32_e32 v42, vcc_lo, s55, v42, vcc_lo
	s_waitcnt lgkmcnt(0)
	global_store_b64 v[41:42], v[39:40], off
	s_or_b32 exec_lo, exec_lo, s16
	s_and_saveexec_b32 s16, s27
	s_cbranch_execnz .LBB505_1183
.LBB505_1168:                           ;   in Loop: Header=BB505_982 Depth=2
	s_or_b32 exec_lo, exec_lo, s16
	s_and_saveexec_b32 s16, s28
	s_cbranch_execz .LBB505_1184
.LBB505_1169:                           ;   in Loop: Header=BB505_982 Depth=2
	v_lshlrev_b32_e32 v2, 2, v134
	ds_load_b32 v2, v2
	ds_load_b64 v[39:40], v36 offset:24576
	s_waitcnt lgkmcnt(1)
	v_add_nc_u32_e32 v2, v2, v59
	s_delay_alu instid0(VALU_DEP_1) | instskip(NEXT) | instid1(VALU_DEP_1)
	v_lshlrev_b64 v[41:42], 3, v[2:3]
	v_add_co_u32 v41, vcc_lo, s54, v41
	s_delay_alu instid0(VALU_DEP_2)
	v_add_co_ci_u32_e32 v42, vcc_lo, s55, v42, vcc_lo
	s_waitcnt lgkmcnt(0)
	global_store_b64 v[41:42], v[39:40], off
	s_or_b32 exec_lo, exec_lo, s16
	s_and_saveexec_b32 s16, s29
	s_cbranch_execnz .LBB505_1185
.LBB505_1170:                           ;   in Loop: Header=BB505_982 Depth=2
	s_or_b32 exec_lo, exec_lo, s16
	s_and_saveexec_b32 s16, s30
	s_cbranch_execz .LBB505_1186
.LBB505_1171:                           ;   in Loop: Header=BB505_982 Depth=2
	v_lshlrev_b32_e32 v2, 2, v132
	ds_load_b32 v2, v2
	ds_load_b64 v[39:40], v36 offset:28672
	s_waitcnt lgkmcnt(1)
	v_add_nc_u32_e32 v2, v2, v61
	s_delay_alu instid0(VALU_DEP_1) | instskip(NEXT) | instid1(VALU_DEP_1)
	v_lshlrev_b64 v[41:42], 3, v[2:3]
	v_add_co_u32 v41, vcc_lo, s54, v41
	s_delay_alu instid0(VALU_DEP_2)
	v_add_co_ci_u32_e32 v42, vcc_lo, s55, v42, vcc_lo
	s_waitcnt lgkmcnt(0)
	global_store_b64 v[41:42], v[39:40], off
	s_or_b32 exec_lo, exec_lo, s16
	s_and_saveexec_b32 s16, s31
	s_cbranch_execnz .LBB505_1187
	s_branch .LBB505_1188
.LBB505_1172:                           ;   in Loop: Header=BB505_982 Depth=2
	s_or_b32 exec_lo, exec_lo, s33
	v_add_nc_u32_e32 v36, v78, v44
	s_and_saveexec_b32 s33, s16
	s_cbranch_execz .LBB505_1158
.LBB505_1173:                           ;   in Loop: Header=BB505_982 Depth=2
	v_lshlrev_b32_e32 v2, 2, v145
	ds_load_b32 v2, v2
	ds_load_b64 v[39:40], v36 offset:2048
	s_waitcnt lgkmcnt(1)
	v_add_nc_u32_e32 v2, v2, v45
	s_delay_alu instid0(VALU_DEP_1) | instskip(NEXT) | instid1(VALU_DEP_1)
	v_lshlrev_b64 v[41:42], 3, v[2:3]
	v_add_co_u32 v41, vcc_lo, s54, v41
	s_delay_alu instid0(VALU_DEP_2)
	v_add_co_ci_u32_e32 v42, vcc_lo, s55, v42, vcc_lo
	s_waitcnt lgkmcnt(0)
	global_store_b64 v[41:42], v[39:40], off
	s_or_b32 exec_lo, exec_lo, s33
	s_and_saveexec_b32 s16, s17
	s_cbranch_execnz .LBB505_1159
.LBB505_1174:                           ;   in Loop: Header=BB505_982 Depth=2
	s_or_b32 exec_lo, exec_lo, s16
	s_and_saveexec_b32 s16, s18
	s_cbranch_execz .LBB505_1160
.LBB505_1175:                           ;   in Loop: Header=BB505_982 Depth=2
	v_lshlrev_b32_e32 v2, 2, v143
	ds_load_b32 v2, v2
	ds_load_b64 v[39:40], v36 offset:6144
	s_waitcnt lgkmcnt(1)
	v_add_nc_u32_e32 v2, v2, v47
	s_delay_alu instid0(VALU_DEP_1) | instskip(NEXT) | instid1(VALU_DEP_1)
	v_lshlrev_b64 v[41:42], 3, v[2:3]
	v_add_co_u32 v41, vcc_lo, s54, v41
	s_delay_alu instid0(VALU_DEP_2)
	v_add_co_ci_u32_e32 v42, vcc_lo, s55, v42, vcc_lo
	s_waitcnt lgkmcnt(0)
	global_store_b64 v[41:42], v[39:40], off
	s_or_b32 exec_lo, exec_lo, s16
	s_and_saveexec_b32 s16, s19
	s_cbranch_execnz .LBB505_1161
.LBB505_1176:                           ;   in Loop: Header=BB505_982 Depth=2
	s_or_b32 exec_lo, exec_lo, s16
	s_and_saveexec_b32 s16, s20
	s_cbranch_execz .LBB505_1162
.LBB505_1177:                           ;   in Loop: Header=BB505_982 Depth=2
	v_lshlrev_b32_e32 v2, 2, v141
	ds_load_b32 v2, v2
	ds_load_b64 v[39:40], v36 offset:10240
	s_waitcnt lgkmcnt(1)
	v_add_nc_u32_e32 v2, v2, v52
	s_delay_alu instid0(VALU_DEP_1) | instskip(NEXT) | instid1(VALU_DEP_1)
	v_lshlrev_b64 v[41:42], 3, v[2:3]
	v_add_co_u32 v41, vcc_lo, s54, v41
	s_delay_alu instid0(VALU_DEP_2)
	v_add_co_ci_u32_e32 v42, vcc_lo, s55, v42, vcc_lo
	s_waitcnt lgkmcnt(0)
	global_store_b64 v[41:42], v[39:40], off
	s_or_b32 exec_lo, exec_lo, s16
	s_and_saveexec_b32 s16, s21
	s_cbranch_execnz .LBB505_1163
.LBB505_1178:                           ;   in Loop: Header=BB505_982 Depth=2
	s_or_b32 exec_lo, exec_lo, s16
	s_and_saveexec_b32 s16, s22
	s_cbranch_execz .LBB505_1164
.LBB505_1179:                           ;   in Loop: Header=BB505_982 Depth=2
	v_lshlrev_b32_e32 v2, 2, v139
	ds_load_b32 v2, v2
	ds_load_b64 v[39:40], v36 offset:14336
	s_waitcnt lgkmcnt(1)
	v_add_nc_u32_e32 v2, v2, v54
	s_delay_alu instid0(VALU_DEP_1) | instskip(NEXT) | instid1(VALU_DEP_1)
	v_lshlrev_b64 v[41:42], 3, v[2:3]
	v_add_co_u32 v41, vcc_lo, s54, v41
	s_delay_alu instid0(VALU_DEP_2)
	v_add_co_ci_u32_e32 v42, vcc_lo, s55, v42, vcc_lo
	s_waitcnt lgkmcnt(0)
	global_store_b64 v[41:42], v[39:40], off
	s_or_b32 exec_lo, exec_lo, s16
	s_and_saveexec_b32 s16, s23
	s_cbranch_execnz .LBB505_1165
.LBB505_1180:                           ;   in Loop: Header=BB505_982 Depth=2
	s_or_b32 exec_lo, exec_lo, s16
	s_and_saveexec_b32 s16, s24
	s_cbranch_execz .LBB505_1166
.LBB505_1181:                           ;   in Loop: Header=BB505_982 Depth=2
	v_lshlrev_b32_e32 v2, 2, v137
	ds_load_b32 v2, v2
	ds_load_b64 v[39:40], v36 offset:18432
	s_waitcnt lgkmcnt(1)
	v_add_nc_u32_e32 v2, v2, v56
	s_delay_alu instid0(VALU_DEP_1) | instskip(NEXT) | instid1(VALU_DEP_1)
	v_lshlrev_b64 v[41:42], 3, v[2:3]
	v_add_co_u32 v41, vcc_lo, s54, v41
	s_delay_alu instid0(VALU_DEP_2)
	v_add_co_ci_u32_e32 v42, vcc_lo, s55, v42, vcc_lo
	s_waitcnt lgkmcnt(0)
	global_store_b64 v[41:42], v[39:40], off
	s_or_b32 exec_lo, exec_lo, s16
	s_and_saveexec_b32 s16, s25
	s_cbranch_execnz .LBB505_1167
.LBB505_1182:                           ;   in Loop: Header=BB505_982 Depth=2
	s_or_b32 exec_lo, exec_lo, s16
	s_and_saveexec_b32 s16, s27
	s_cbranch_execz .LBB505_1168
.LBB505_1183:                           ;   in Loop: Header=BB505_982 Depth=2
	v_lshlrev_b32_e32 v2, 2, v135
	ds_load_b32 v2, v2
	ds_load_b64 v[39:40], v36 offset:22528
	s_waitcnt lgkmcnt(1)
	v_add_nc_u32_e32 v2, v2, v58
	s_delay_alu instid0(VALU_DEP_1) | instskip(NEXT) | instid1(VALU_DEP_1)
	v_lshlrev_b64 v[41:42], 3, v[2:3]
	v_add_co_u32 v41, vcc_lo, s54, v41
	s_delay_alu instid0(VALU_DEP_2)
	v_add_co_ci_u32_e32 v42, vcc_lo, s55, v42, vcc_lo
	s_waitcnt lgkmcnt(0)
	global_store_b64 v[41:42], v[39:40], off
	s_or_b32 exec_lo, exec_lo, s16
	s_and_saveexec_b32 s16, s28
	s_cbranch_execnz .LBB505_1169
.LBB505_1184:                           ;   in Loop: Header=BB505_982 Depth=2
	s_or_b32 exec_lo, exec_lo, s16
	s_and_saveexec_b32 s16, s29
	s_cbranch_execz .LBB505_1170
.LBB505_1185:                           ;   in Loop: Header=BB505_982 Depth=2
	v_lshlrev_b32_e32 v2, 2, v133
	ds_load_b32 v2, v2
	ds_load_b64 v[39:40], v36 offset:26624
	s_waitcnt lgkmcnt(1)
	v_add_nc_u32_e32 v2, v2, v60
	s_delay_alu instid0(VALU_DEP_1) | instskip(NEXT) | instid1(VALU_DEP_1)
	v_lshlrev_b64 v[41:42], 3, v[2:3]
	v_add_co_u32 v41, vcc_lo, s54, v41
	s_delay_alu instid0(VALU_DEP_2)
	v_add_co_ci_u32_e32 v42, vcc_lo, s55, v42, vcc_lo
	s_waitcnt lgkmcnt(0)
	global_store_b64 v[41:42], v[39:40], off
	s_or_b32 exec_lo, exec_lo, s16
	s_and_saveexec_b32 s16, s30
	s_cbranch_execnz .LBB505_1171
.LBB505_1186:                           ;   in Loop: Header=BB505_982 Depth=2
	s_or_b32 exec_lo, exec_lo, s16
	s_and_saveexec_b32 s16, s31
	s_cbranch_execz .LBB505_1188
.LBB505_1187:                           ;   in Loop: Header=BB505_982 Depth=2
	v_lshlrev_b32_e32 v2, 2, v131
	ds_load_b32 v2, v2
	ds_load_b64 v[36:37], v36 offset:30720
	s_waitcnt lgkmcnt(1)
	v_add_nc_u32_e32 v2, v2, v63
	s_delay_alu instid0(VALU_DEP_1) | instskip(NEXT) | instid1(VALU_DEP_1)
	v_lshlrev_b64 v[39:40], 3, v[2:3]
	v_add_co_u32 v39, vcc_lo, s54, v39
	s_delay_alu instid0(VALU_DEP_2)
	v_add_co_ci_u32_e32 v40, vcc_lo, s55, v40, vcc_lo
	s_waitcnt lgkmcnt(0)
	global_store_b64 v[39:40], v[36:37], off
.LBB505_1188:                           ;   in Loop: Header=BB505_982 Depth=2
	s_or_b32 exec_lo, exec_lo, s16
	s_waitcnt_vscnt null, 0x0
	s_barrier
	buffer_gl0_inv
	s_and_saveexec_b32 s16, s2
	s_cbranch_execz .LBB505_981
; %bb.1189:                             ;   in Loop: Header=BB505_982 Depth=2
	ds_load_b32 v2, v44
	s_waitcnt lgkmcnt(0)
	v_add_nc_u32_e32 v2, v2, v38
	ds_store_b32 v44, v2
	s_branch .LBB505_981
.LBB505_1190:
	s_endpgm
	.section	.rodata,"a",@progbits
	.p2align	6, 0x0
	.amdhsa_kernel _ZN7rocprim17ROCPRIM_400000_NS6detail17trampoline_kernelINS0_14default_configENS1_36segmented_radix_sort_config_selectorIilEEZNS1_25segmented_radix_sort_implIS3_Lb1EPKiPiPKlPlN2at6native12_GLOBAL__N_18offset_tEEE10hipError_tPvRmT1_PNSt15iterator_traitsISK_E10value_typeET2_T3_PNSL_ISQ_E10value_typeET4_jRbjT5_SW_jjP12ihipStream_tbEUlT_E_NS1_11comp_targetILNS1_3genE9ELNS1_11target_archE1100ELNS1_3gpuE3ELNS1_3repE0EEENS1_30default_config_static_selectorELNS0_4arch9wavefront6targetE0EEEvSK_
		.amdhsa_group_segment_fixed_size 33824
		.amdhsa_private_segment_fixed_size 352
		.amdhsa_kernarg_size 352
		.amdhsa_user_sgpr_count 14
		.amdhsa_user_sgpr_dispatch_ptr 0
		.amdhsa_user_sgpr_queue_ptr 0
		.amdhsa_user_sgpr_kernarg_segment_ptr 1
		.amdhsa_user_sgpr_dispatch_id 0
		.amdhsa_user_sgpr_private_segment_size 0
		.amdhsa_wavefront_size32 1
		.amdhsa_uses_dynamic_stack 0
		.amdhsa_enable_private_segment 1
		.amdhsa_system_sgpr_workgroup_id_x 1
		.amdhsa_system_sgpr_workgroup_id_y 1
		.amdhsa_system_sgpr_workgroup_id_z 0
		.amdhsa_system_sgpr_workgroup_info 0
		.amdhsa_system_vgpr_workitem_id 2
		.amdhsa_next_free_vgpr 248
		.amdhsa_next_free_sgpr 63
		.amdhsa_reserve_vcc 1
		.amdhsa_float_round_mode_32 0
		.amdhsa_float_round_mode_16_64 0
		.amdhsa_float_denorm_mode_32 3
		.amdhsa_float_denorm_mode_16_64 3
		.amdhsa_dx10_clamp 1
		.amdhsa_ieee_mode 1
		.amdhsa_fp16_overflow 0
		.amdhsa_workgroup_processor_mode 1
		.amdhsa_memory_ordered 1
		.amdhsa_forward_progress 0
		.amdhsa_shared_vgpr_count 0
		.amdhsa_exception_fp_ieee_invalid_op 0
		.amdhsa_exception_fp_denorm_src 0
		.amdhsa_exception_fp_ieee_div_zero 0
		.amdhsa_exception_fp_ieee_overflow 0
		.amdhsa_exception_fp_ieee_underflow 0
		.amdhsa_exception_fp_ieee_inexact 0
		.amdhsa_exception_int_div_zero 0
	.end_amdhsa_kernel
	.section	.text._ZN7rocprim17ROCPRIM_400000_NS6detail17trampoline_kernelINS0_14default_configENS1_36segmented_radix_sort_config_selectorIilEEZNS1_25segmented_radix_sort_implIS3_Lb1EPKiPiPKlPlN2at6native12_GLOBAL__N_18offset_tEEE10hipError_tPvRmT1_PNSt15iterator_traitsISK_E10value_typeET2_T3_PNSL_ISQ_E10value_typeET4_jRbjT5_SW_jjP12ihipStream_tbEUlT_E_NS1_11comp_targetILNS1_3genE9ELNS1_11target_archE1100ELNS1_3gpuE3ELNS1_3repE0EEENS1_30default_config_static_selectorELNS0_4arch9wavefront6targetE0EEEvSK_,"axG",@progbits,_ZN7rocprim17ROCPRIM_400000_NS6detail17trampoline_kernelINS0_14default_configENS1_36segmented_radix_sort_config_selectorIilEEZNS1_25segmented_radix_sort_implIS3_Lb1EPKiPiPKlPlN2at6native12_GLOBAL__N_18offset_tEEE10hipError_tPvRmT1_PNSt15iterator_traitsISK_E10value_typeET2_T3_PNSL_ISQ_E10value_typeET4_jRbjT5_SW_jjP12ihipStream_tbEUlT_E_NS1_11comp_targetILNS1_3genE9ELNS1_11target_archE1100ELNS1_3gpuE3ELNS1_3repE0EEENS1_30default_config_static_selectorELNS0_4arch9wavefront6targetE0EEEvSK_,comdat
.Lfunc_end505:
	.size	_ZN7rocprim17ROCPRIM_400000_NS6detail17trampoline_kernelINS0_14default_configENS1_36segmented_radix_sort_config_selectorIilEEZNS1_25segmented_radix_sort_implIS3_Lb1EPKiPiPKlPlN2at6native12_GLOBAL__N_18offset_tEEE10hipError_tPvRmT1_PNSt15iterator_traitsISK_E10value_typeET2_T3_PNSL_ISQ_E10value_typeET4_jRbjT5_SW_jjP12ihipStream_tbEUlT_E_NS1_11comp_targetILNS1_3genE9ELNS1_11target_archE1100ELNS1_3gpuE3ELNS1_3repE0EEENS1_30default_config_static_selectorELNS0_4arch9wavefront6targetE0EEEvSK_, .Lfunc_end505-_ZN7rocprim17ROCPRIM_400000_NS6detail17trampoline_kernelINS0_14default_configENS1_36segmented_radix_sort_config_selectorIilEEZNS1_25segmented_radix_sort_implIS3_Lb1EPKiPiPKlPlN2at6native12_GLOBAL__N_18offset_tEEE10hipError_tPvRmT1_PNSt15iterator_traitsISK_E10value_typeET2_T3_PNSL_ISQ_E10value_typeET4_jRbjT5_SW_jjP12ihipStream_tbEUlT_E_NS1_11comp_targetILNS1_3genE9ELNS1_11target_archE1100ELNS1_3gpuE3ELNS1_3repE0EEENS1_30default_config_static_selectorELNS0_4arch9wavefront6targetE0EEEvSK_
                                        ; -- End function
	.section	.AMDGPU.csdata,"",@progbits
; Kernel info:
; codeLenInByte = 68028
; NumSgprs: 65
; NumVgprs: 248
; ScratchSize: 352
; MemoryBound: 0
; FloatMode: 240
; IeeeMode: 1
; LDSByteSize: 33824 bytes/workgroup (compile time only)
; SGPRBlocks: 8
; VGPRBlocks: 30
; NumSGPRsForWavesPerEU: 65
; NumVGPRsForWavesPerEU: 248
; Occupancy: 5
; WaveLimiterHint : 1
; COMPUTE_PGM_RSRC2:SCRATCH_EN: 1
; COMPUTE_PGM_RSRC2:USER_SGPR: 14
; COMPUTE_PGM_RSRC2:TRAP_HANDLER: 0
; COMPUTE_PGM_RSRC2:TGID_X_EN: 1
; COMPUTE_PGM_RSRC2:TGID_Y_EN: 1
; COMPUTE_PGM_RSRC2:TGID_Z_EN: 0
; COMPUTE_PGM_RSRC2:TIDIG_COMP_CNT: 2
	.section	.text._ZN7rocprim17ROCPRIM_400000_NS6detail17trampoline_kernelINS0_14default_configENS1_36segmented_radix_sort_config_selectorIilEEZNS1_25segmented_radix_sort_implIS3_Lb1EPKiPiPKlPlN2at6native12_GLOBAL__N_18offset_tEEE10hipError_tPvRmT1_PNSt15iterator_traitsISK_E10value_typeET2_T3_PNSL_ISQ_E10value_typeET4_jRbjT5_SW_jjP12ihipStream_tbEUlT_E_NS1_11comp_targetILNS1_3genE8ELNS1_11target_archE1030ELNS1_3gpuE2ELNS1_3repE0EEENS1_30default_config_static_selectorELNS0_4arch9wavefront6targetE0EEEvSK_,"axG",@progbits,_ZN7rocprim17ROCPRIM_400000_NS6detail17trampoline_kernelINS0_14default_configENS1_36segmented_radix_sort_config_selectorIilEEZNS1_25segmented_radix_sort_implIS3_Lb1EPKiPiPKlPlN2at6native12_GLOBAL__N_18offset_tEEE10hipError_tPvRmT1_PNSt15iterator_traitsISK_E10value_typeET2_T3_PNSL_ISQ_E10value_typeET4_jRbjT5_SW_jjP12ihipStream_tbEUlT_E_NS1_11comp_targetILNS1_3genE8ELNS1_11target_archE1030ELNS1_3gpuE2ELNS1_3repE0EEENS1_30default_config_static_selectorELNS0_4arch9wavefront6targetE0EEEvSK_,comdat
	.globl	_ZN7rocprim17ROCPRIM_400000_NS6detail17trampoline_kernelINS0_14default_configENS1_36segmented_radix_sort_config_selectorIilEEZNS1_25segmented_radix_sort_implIS3_Lb1EPKiPiPKlPlN2at6native12_GLOBAL__N_18offset_tEEE10hipError_tPvRmT1_PNSt15iterator_traitsISK_E10value_typeET2_T3_PNSL_ISQ_E10value_typeET4_jRbjT5_SW_jjP12ihipStream_tbEUlT_E_NS1_11comp_targetILNS1_3genE8ELNS1_11target_archE1030ELNS1_3gpuE2ELNS1_3repE0EEENS1_30default_config_static_selectorELNS0_4arch9wavefront6targetE0EEEvSK_ ; -- Begin function _ZN7rocprim17ROCPRIM_400000_NS6detail17trampoline_kernelINS0_14default_configENS1_36segmented_radix_sort_config_selectorIilEEZNS1_25segmented_radix_sort_implIS3_Lb1EPKiPiPKlPlN2at6native12_GLOBAL__N_18offset_tEEE10hipError_tPvRmT1_PNSt15iterator_traitsISK_E10value_typeET2_T3_PNSL_ISQ_E10value_typeET4_jRbjT5_SW_jjP12ihipStream_tbEUlT_E_NS1_11comp_targetILNS1_3genE8ELNS1_11target_archE1030ELNS1_3gpuE2ELNS1_3repE0EEENS1_30default_config_static_selectorELNS0_4arch9wavefront6targetE0EEEvSK_
	.p2align	8
	.type	_ZN7rocprim17ROCPRIM_400000_NS6detail17trampoline_kernelINS0_14default_configENS1_36segmented_radix_sort_config_selectorIilEEZNS1_25segmented_radix_sort_implIS3_Lb1EPKiPiPKlPlN2at6native12_GLOBAL__N_18offset_tEEE10hipError_tPvRmT1_PNSt15iterator_traitsISK_E10value_typeET2_T3_PNSL_ISQ_E10value_typeET4_jRbjT5_SW_jjP12ihipStream_tbEUlT_E_NS1_11comp_targetILNS1_3genE8ELNS1_11target_archE1030ELNS1_3gpuE2ELNS1_3repE0EEENS1_30default_config_static_selectorELNS0_4arch9wavefront6targetE0EEEvSK_,@function
_ZN7rocprim17ROCPRIM_400000_NS6detail17trampoline_kernelINS0_14default_configENS1_36segmented_radix_sort_config_selectorIilEEZNS1_25segmented_radix_sort_implIS3_Lb1EPKiPiPKlPlN2at6native12_GLOBAL__N_18offset_tEEE10hipError_tPvRmT1_PNSt15iterator_traitsISK_E10value_typeET2_T3_PNSL_ISQ_E10value_typeET4_jRbjT5_SW_jjP12ihipStream_tbEUlT_E_NS1_11comp_targetILNS1_3genE8ELNS1_11target_archE1030ELNS1_3gpuE2ELNS1_3repE0EEENS1_30default_config_static_selectorELNS0_4arch9wavefront6targetE0EEEvSK_: ; @_ZN7rocprim17ROCPRIM_400000_NS6detail17trampoline_kernelINS0_14default_configENS1_36segmented_radix_sort_config_selectorIilEEZNS1_25segmented_radix_sort_implIS3_Lb1EPKiPiPKlPlN2at6native12_GLOBAL__N_18offset_tEEE10hipError_tPvRmT1_PNSt15iterator_traitsISK_E10value_typeET2_T3_PNSL_ISQ_E10value_typeET4_jRbjT5_SW_jjP12ihipStream_tbEUlT_E_NS1_11comp_targetILNS1_3genE8ELNS1_11target_archE1030ELNS1_3gpuE2ELNS1_3repE0EEENS1_30default_config_static_selectorELNS0_4arch9wavefront6targetE0EEEvSK_
; %bb.0:
	.section	.rodata,"a",@progbits
	.p2align	6, 0x0
	.amdhsa_kernel _ZN7rocprim17ROCPRIM_400000_NS6detail17trampoline_kernelINS0_14default_configENS1_36segmented_radix_sort_config_selectorIilEEZNS1_25segmented_radix_sort_implIS3_Lb1EPKiPiPKlPlN2at6native12_GLOBAL__N_18offset_tEEE10hipError_tPvRmT1_PNSt15iterator_traitsISK_E10value_typeET2_T3_PNSL_ISQ_E10value_typeET4_jRbjT5_SW_jjP12ihipStream_tbEUlT_E_NS1_11comp_targetILNS1_3genE8ELNS1_11target_archE1030ELNS1_3gpuE2ELNS1_3repE0EEENS1_30default_config_static_selectorELNS0_4arch9wavefront6targetE0EEEvSK_
		.amdhsa_group_segment_fixed_size 0
		.amdhsa_private_segment_fixed_size 0
		.amdhsa_kernarg_size 96
		.amdhsa_user_sgpr_count 15
		.amdhsa_user_sgpr_dispatch_ptr 0
		.amdhsa_user_sgpr_queue_ptr 0
		.amdhsa_user_sgpr_kernarg_segment_ptr 1
		.amdhsa_user_sgpr_dispatch_id 0
		.amdhsa_user_sgpr_private_segment_size 0
		.amdhsa_wavefront_size32 1
		.amdhsa_uses_dynamic_stack 0
		.amdhsa_enable_private_segment 0
		.amdhsa_system_sgpr_workgroup_id_x 1
		.amdhsa_system_sgpr_workgroup_id_y 0
		.amdhsa_system_sgpr_workgroup_id_z 0
		.amdhsa_system_sgpr_workgroup_info 0
		.amdhsa_system_vgpr_workitem_id 0
		.amdhsa_next_free_vgpr 1
		.amdhsa_next_free_sgpr 1
		.amdhsa_reserve_vcc 0
		.amdhsa_float_round_mode_32 0
		.amdhsa_float_round_mode_16_64 0
		.amdhsa_float_denorm_mode_32 3
		.amdhsa_float_denorm_mode_16_64 3
		.amdhsa_dx10_clamp 1
		.amdhsa_ieee_mode 1
		.amdhsa_fp16_overflow 0
		.amdhsa_workgroup_processor_mode 1
		.amdhsa_memory_ordered 1
		.amdhsa_forward_progress 0
		.amdhsa_shared_vgpr_count 0
		.amdhsa_exception_fp_ieee_invalid_op 0
		.amdhsa_exception_fp_denorm_src 0
		.amdhsa_exception_fp_ieee_div_zero 0
		.amdhsa_exception_fp_ieee_overflow 0
		.amdhsa_exception_fp_ieee_underflow 0
		.amdhsa_exception_fp_ieee_inexact 0
		.amdhsa_exception_int_div_zero 0
	.end_amdhsa_kernel
	.section	.text._ZN7rocprim17ROCPRIM_400000_NS6detail17trampoline_kernelINS0_14default_configENS1_36segmented_radix_sort_config_selectorIilEEZNS1_25segmented_radix_sort_implIS3_Lb1EPKiPiPKlPlN2at6native12_GLOBAL__N_18offset_tEEE10hipError_tPvRmT1_PNSt15iterator_traitsISK_E10value_typeET2_T3_PNSL_ISQ_E10value_typeET4_jRbjT5_SW_jjP12ihipStream_tbEUlT_E_NS1_11comp_targetILNS1_3genE8ELNS1_11target_archE1030ELNS1_3gpuE2ELNS1_3repE0EEENS1_30default_config_static_selectorELNS0_4arch9wavefront6targetE0EEEvSK_,"axG",@progbits,_ZN7rocprim17ROCPRIM_400000_NS6detail17trampoline_kernelINS0_14default_configENS1_36segmented_radix_sort_config_selectorIilEEZNS1_25segmented_radix_sort_implIS3_Lb1EPKiPiPKlPlN2at6native12_GLOBAL__N_18offset_tEEE10hipError_tPvRmT1_PNSt15iterator_traitsISK_E10value_typeET2_T3_PNSL_ISQ_E10value_typeET4_jRbjT5_SW_jjP12ihipStream_tbEUlT_E_NS1_11comp_targetILNS1_3genE8ELNS1_11target_archE1030ELNS1_3gpuE2ELNS1_3repE0EEENS1_30default_config_static_selectorELNS0_4arch9wavefront6targetE0EEEvSK_,comdat
.Lfunc_end506:
	.size	_ZN7rocprim17ROCPRIM_400000_NS6detail17trampoline_kernelINS0_14default_configENS1_36segmented_radix_sort_config_selectorIilEEZNS1_25segmented_radix_sort_implIS3_Lb1EPKiPiPKlPlN2at6native12_GLOBAL__N_18offset_tEEE10hipError_tPvRmT1_PNSt15iterator_traitsISK_E10value_typeET2_T3_PNSL_ISQ_E10value_typeET4_jRbjT5_SW_jjP12ihipStream_tbEUlT_E_NS1_11comp_targetILNS1_3genE8ELNS1_11target_archE1030ELNS1_3gpuE2ELNS1_3repE0EEENS1_30default_config_static_selectorELNS0_4arch9wavefront6targetE0EEEvSK_, .Lfunc_end506-_ZN7rocprim17ROCPRIM_400000_NS6detail17trampoline_kernelINS0_14default_configENS1_36segmented_radix_sort_config_selectorIilEEZNS1_25segmented_radix_sort_implIS3_Lb1EPKiPiPKlPlN2at6native12_GLOBAL__N_18offset_tEEE10hipError_tPvRmT1_PNSt15iterator_traitsISK_E10value_typeET2_T3_PNSL_ISQ_E10value_typeET4_jRbjT5_SW_jjP12ihipStream_tbEUlT_E_NS1_11comp_targetILNS1_3genE8ELNS1_11target_archE1030ELNS1_3gpuE2ELNS1_3repE0EEENS1_30default_config_static_selectorELNS0_4arch9wavefront6targetE0EEEvSK_
                                        ; -- End function
	.section	.AMDGPU.csdata,"",@progbits
; Kernel info:
; codeLenInByte = 0
; NumSgprs: 0
; NumVgprs: 0
; ScratchSize: 0
; MemoryBound: 0
; FloatMode: 240
; IeeeMode: 1
; LDSByteSize: 0 bytes/workgroup (compile time only)
; SGPRBlocks: 0
; VGPRBlocks: 0
; NumSGPRsForWavesPerEU: 1
; NumVGPRsForWavesPerEU: 1
; Occupancy: 16
; WaveLimiterHint : 0
; COMPUTE_PGM_RSRC2:SCRATCH_EN: 0
; COMPUTE_PGM_RSRC2:USER_SGPR: 15
; COMPUTE_PGM_RSRC2:TRAP_HANDLER: 0
; COMPUTE_PGM_RSRC2:TGID_X_EN: 1
; COMPUTE_PGM_RSRC2:TGID_Y_EN: 0
; COMPUTE_PGM_RSRC2:TGID_Z_EN: 0
; COMPUTE_PGM_RSRC2:TIDIG_COMP_CNT: 0
	.section	.text._ZN7rocprim17ROCPRIM_400000_NS6detail17trampoline_kernelINS0_14default_configENS1_36segmented_radix_sort_config_selectorIilEEZNS1_25segmented_radix_sort_implIS3_Lb1EPKiPiPKlPlN2at6native12_GLOBAL__N_18offset_tEEE10hipError_tPvRmT1_PNSt15iterator_traitsISK_E10value_typeET2_T3_PNSL_ISQ_E10value_typeET4_jRbjT5_SW_jjP12ihipStream_tbEUlT_E0_NS1_11comp_targetILNS1_3genE0ELNS1_11target_archE4294967295ELNS1_3gpuE0ELNS1_3repE0EEENS1_60segmented_radix_sort_warp_sort_medium_config_static_selectorELNS0_4arch9wavefront6targetE0EEEvSK_,"axG",@progbits,_ZN7rocprim17ROCPRIM_400000_NS6detail17trampoline_kernelINS0_14default_configENS1_36segmented_radix_sort_config_selectorIilEEZNS1_25segmented_radix_sort_implIS3_Lb1EPKiPiPKlPlN2at6native12_GLOBAL__N_18offset_tEEE10hipError_tPvRmT1_PNSt15iterator_traitsISK_E10value_typeET2_T3_PNSL_ISQ_E10value_typeET4_jRbjT5_SW_jjP12ihipStream_tbEUlT_E0_NS1_11comp_targetILNS1_3genE0ELNS1_11target_archE4294967295ELNS1_3gpuE0ELNS1_3repE0EEENS1_60segmented_radix_sort_warp_sort_medium_config_static_selectorELNS0_4arch9wavefront6targetE0EEEvSK_,comdat
	.globl	_ZN7rocprim17ROCPRIM_400000_NS6detail17trampoline_kernelINS0_14default_configENS1_36segmented_radix_sort_config_selectorIilEEZNS1_25segmented_radix_sort_implIS3_Lb1EPKiPiPKlPlN2at6native12_GLOBAL__N_18offset_tEEE10hipError_tPvRmT1_PNSt15iterator_traitsISK_E10value_typeET2_T3_PNSL_ISQ_E10value_typeET4_jRbjT5_SW_jjP12ihipStream_tbEUlT_E0_NS1_11comp_targetILNS1_3genE0ELNS1_11target_archE4294967295ELNS1_3gpuE0ELNS1_3repE0EEENS1_60segmented_radix_sort_warp_sort_medium_config_static_selectorELNS0_4arch9wavefront6targetE0EEEvSK_ ; -- Begin function _ZN7rocprim17ROCPRIM_400000_NS6detail17trampoline_kernelINS0_14default_configENS1_36segmented_radix_sort_config_selectorIilEEZNS1_25segmented_radix_sort_implIS3_Lb1EPKiPiPKlPlN2at6native12_GLOBAL__N_18offset_tEEE10hipError_tPvRmT1_PNSt15iterator_traitsISK_E10value_typeET2_T3_PNSL_ISQ_E10value_typeET4_jRbjT5_SW_jjP12ihipStream_tbEUlT_E0_NS1_11comp_targetILNS1_3genE0ELNS1_11target_archE4294967295ELNS1_3gpuE0ELNS1_3repE0EEENS1_60segmented_radix_sort_warp_sort_medium_config_static_selectorELNS0_4arch9wavefront6targetE0EEEvSK_
	.p2align	8
	.type	_ZN7rocprim17ROCPRIM_400000_NS6detail17trampoline_kernelINS0_14default_configENS1_36segmented_radix_sort_config_selectorIilEEZNS1_25segmented_radix_sort_implIS3_Lb1EPKiPiPKlPlN2at6native12_GLOBAL__N_18offset_tEEE10hipError_tPvRmT1_PNSt15iterator_traitsISK_E10value_typeET2_T3_PNSL_ISQ_E10value_typeET4_jRbjT5_SW_jjP12ihipStream_tbEUlT_E0_NS1_11comp_targetILNS1_3genE0ELNS1_11target_archE4294967295ELNS1_3gpuE0ELNS1_3repE0EEENS1_60segmented_radix_sort_warp_sort_medium_config_static_selectorELNS0_4arch9wavefront6targetE0EEEvSK_,@function
_ZN7rocprim17ROCPRIM_400000_NS6detail17trampoline_kernelINS0_14default_configENS1_36segmented_radix_sort_config_selectorIilEEZNS1_25segmented_radix_sort_implIS3_Lb1EPKiPiPKlPlN2at6native12_GLOBAL__N_18offset_tEEE10hipError_tPvRmT1_PNSt15iterator_traitsISK_E10value_typeET2_T3_PNSL_ISQ_E10value_typeET4_jRbjT5_SW_jjP12ihipStream_tbEUlT_E0_NS1_11comp_targetILNS1_3genE0ELNS1_11target_archE4294967295ELNS1_3gpuE0ELNS1_3repE0EEENS1_60segmented_radix_sort_warp_sort_medium_config_static_selectorELNS0_4arch9wavefront6targetE0EEEvSK_: ; @_ZN7rocprim17ROCPRIM_400000_NS6detail17trampoline_kernelINS0_14default_configENS1_36segmented_radix_sort_config_selectorIilEEZNS1_25segmented_radix_sort_implIS3_Lb1EPKiPiPKlPlN2at6native12_GLOBAL__N_18offset_tEEE10hipError_tPvRmT1_PNSt15iterator_traitsISK_E10value_typeET2_T3_PNSL_ISQ_E10value_typeET4_jRbjT5_SW_jjP12ihipStream_tbEUlT_E0_NS1_11comp_targetILNS1_3genE0ELNS1_11target_archE4294967295ELNS1_3gpuE0ELNS1_3repE0EEENS1_60segmented_radix_sort_warp_sort_medium_config_static_selectorELNS0_4arch9wavefront6targetE0EEEvSK_
; %bb.0:
	.section	.rodata,"a",@progbits
	.p2align	6, 0x0
	.amdhsa_kernel _ZN7rocprim17ROCPRIM_400000_NS6detail17trampoline_kernelINS0_14default_configENS1_36segmented_radix_sort_config_selectorIilEEZNS1_25segmented_radix_sort_implIS3_Lb1EPKiPiPKlPlN2at6native12_GLOBAL__N_18offset_tEEE10hipError_tPvRmT1_PNSt15iterator_traitsISK_E10value_typeET2_T3_PNSL_ISQ_E10value_typeET4_jRbjT5_SW_jjP12ihipStream_tbEUlT_E0_NS1_11comp_targetILNS1_3genE0ELNS1_11target_archE4294967295ELNS1_3gpuE0ELNS1_3repE0EEENS1_60segmented_radix_sort_warp_sort_medium_config_static_selectorELNS0_4arch9wavefront6targetE0EEEvSK_
		.amdhsa_group_segment_fixed_size 0
		.amdhsa_private_segment_fixed_size 0
		.amdhsa_kernarg_size 88
		.amdhsa_user_sgpr_count 15
		.amdhsa_user_sgpr_dispatch_ptr 0
		.amdhsa_user_sgpr_queue_ptr 0
		.amdhsa_user_sgpr_kernarg_segment_ptr 1
		.amdhsa_user_sgpr_dispatch_id 0
		.amdhsa_user_sgpr_private_segment_size 0
		.amdhsa_wavefront_size32 1
		.amdhsa_uses_dynamic_stack 0
		.amdhsa_enable_private_segment 0
		.amdhsa_system_sgpr_workgroup_id_x 1
		.amdhsa_system_sgpr_workgroup_id_y 0
		.amdhsa_system_sgpr_workgroup_id_z 0
		.amdhsa_system_sgpr_workgroup_info 0
		.amdhsa_system_vgpr_workitem_id 0
		.amdhsa_next_free_vgpr 1
		.amdhsa_next_free_sgpr 1
		.amdhsa_reserve_vcc 0
		.amdhsa_float_round_mode_32 0
		.amdhsa_float_round_mode_16_64 0
		.amdhsa_float_denorm_mode_32 3
		.amdhsa_float_denorm_mode_16_64 3
		.amdhsa_dx10_clamp 1
		.amdhsa_ieee_mode 1
		.amdhsa_fp16_overflow 0
		.amdhsa_workgroup_processor_mode 1
		.amdhsa_memory_ordered 1
		.amdhsa_forward_progress 0
		.amdhsa_shared_vgpr_count 0
		.amdhsa_exception_fp_ieee_invalid_op 0
		.amdhsa_exception_fp_denorm_src 0
		.amdhsa_exception_fp_ieee_div_zero 0
		.amdhsa_exception_fp_ieee_overflow 0
		.amdhsa_exception_fp_ieee_underflow 0
		.amdhsa_exception_fp_ieee_inexact 0
		.amdhsa_exception_int_div_zero 0
	.end_amdhsa_kernel
	.section	.text._ZN7rocprim17ROCPRIM_400000_NS6detail17trampoline_kernelINS0_14default_configENS1_36segmented_radix_sort_config_selectorIilEEZNS1_25segmented_radix_sort_implIS3_Lb1EPKiPiPKlPlN2at6native12_GLOBAL__N_18offset_tEEE10hipError_tPvRmT1_PNSt15iterator_traitsISK_E10value_typeET2_T3_PNSL_ISQ_E10value_typeET4_jRbjT5_SW_jjP12ihipStream_tbEUlT_E0_NS1_11comp_targetILNS1_3genE0ELNS1_11target_archE4294967295ELNS1_3gpuE0ELNS1_3repE0EEENS1_60segmented_radix_sort_warp_sort_medium_config_static_selectorELNS0_4arch9wavefront6targetE0EEEvSK_,"axG",@progbits,_ZN7rocprim17ROCPRIM_400000_NS6detail17trampoline_kernelINS0_14default_configENS1_36segmented_radix_sort_config_selectorIilEEZNS1_25segmented_radix_sort_implIS3_Lb1EPKiPiPKlPlN2at6native12_GLOBAL__N_18offset_tEEE10hipError_tPvRmT1_PNSt15iterator_traitsISK_E10value_typeET2_T3_PNSL_ISQ_E10value_typeET4_jRbjT5_SW_jjP12ihipStream_tbEUlT_E0_NS1_11comp_targetILNS1_3genE0ELNS1_11target_archE4294967295ELNS1_3gpuE0ELNS1_3repE0EEENS1_60segmented_radix_sort_warp_sort_medium_config_static_selectorELNS0_4arch9wavefront6targetE0EEEvSK_,comdat
.Lfunc_end507:
	.size	_ZN7rocprim17ROCPRIM_400000_NS6detail17trampoline_kernelINS0_14default_configENS1_36segmented_radix_sort_config_selectorIilEEZNS1_25segmented_radix_sort_implIS3_Lb1EPKiPiPKlPlN2at6native12_GLOBAL__N_18offset_tEEE10hipError_tPvRmT1_PNSt15iterator_traitsISK_E10value_typeET2_T3_PNSL_ISQ_E10value_typeET4_jRbjT5_SW_jjP12ihipStream_tbEUlT_E0_NS1_11comp_targetILNS1_3genE0ELNS1_11target_archE4294967295ELNS1_3gpuE0ELNS1_3repE0EEENS1_60segmented_radix_sort_warp_sort_medium_config_static_selectorELNS0_4arch9wavefront6targetE0EEEvSK_, .Lfunc_end507-_ZN7rocprim17ROCPRIM_400000_NS6detail17trampoline_kernelINS0_14default_configENS1_36segmented_radix_sort_config_selectorIilEEZNS1_25segmented_radix_sort_implIS3_Lb1EPKiPiPKlPlN2at6native12_GLOBAL__N_18offset_tEEE10hipError_tPvRmT1_PNSt15iterator_traitsISK_E10value_typeET2_T3_PNSL_ISQ_E10value_typeET4_jRbjT5_SW_jjP12ihipStream_tbEUlT_E0_NS1_11comp_targetILNS1_3genE0ELNS1_11target_archE4294967295ELNS1_3gpuE0ELNS1_3repE0EEENS1_60segmented_radix_sort_warp_sort_medium_config_static_selectorELNS0_4arch9wavefront6targetE0EEEvSK_
                                        ; -- End function
	.section	.AMDGPU.csdata,"",@progbits
; Kernel info:
; codeLenInByte = 0
; NumSgprs: 0
; NumVgprs: 0
; ScratchSize: 0
; MemoryBound: 0
; FloatMode: 240
; IeeeMode: 1
; LDSByteSize: 0 bytes/workgroup (compile time only)
; SGPRBlocks: 0
; VGPRBlocks: 0
; NumSGPRsForWavesPerEU: 1
; NumVGPRsForWavesPerEU: 1
; Occupancy: 16
; WaveLimiterHint : 0
; COMPUTE_PGM_RSRC2:SCRATCH_EN: 0
; COMPUTE_PGM_RSRC2:USER_SGPR: 15
; COMPUTE_PGM_RSRC2:TRAP_HANDLER: 0
; COMPUTE_PGM_RSRC2:TGID_X_EN: 1
; COMPUTE_PGM_RSRC2:TGID_Y_EN: 0
; COMPUTE_PGM_RSRC2:TGID_Z_EN: 0
; COMPUTE_PGM_RSRC2:TIDIG_COMP_CNT: 0
	.section	.text._ZN7rocprim17ROCPRIM_400000_NS6detail17trampoline_kernelINS0_14default_configENS1_36segmented_radix_sort_config_selectorIilEEZNS1_25segmented_radix_sort_implIS3_Lb1EPKiPiPKlPlN2at6native12_GLOBAL__N_18offset_tEEE10hipError_tPvRmT1_PNSt15iterator_traitsISK_E10value_typeET2_T3_PNSL_ISQ_E10value_typeET4_jRbjT5_SW_jjP12ihipStream_tbEUlT_E0_NS1_11comp_targetILNS1_3genE5ELNS1_11target_archE942ELNS1_3gpuE9ELNS1_3repE0EEENS1_60segmented_radix_sort_warp_sort_medium_config_static_selectorELNS0_4arch9wavefront6targetE0EEEvSK_,"axG",@progbits,_ZN7rocprim17ROCPRIM_400000_NS6detail17trampoline_kernelINS0_14default_configENS1_36segmented_radix_sort_config_selectorIilEEZNS1_25segmented_radix_sort_implIS3_Lb1EPKiPiPKlPlN2at6native12_GLOBAL__N_18offset_tEEE10hipError_tPvRmT1_PNSt15iterator_traitsISK_E10value_typeET2_T3_PNSL_ISQ_E10value_typeET4_jRbjT5_SW_jjP12ihipStream_tbEUlT_E0_NS1_11comp_targetILNS1_3genE5ELNS1_11target_archE942ELNS1_3gpuE9ELNS1_3repE0EEENS1_60segmented_radix_sort_warp_sort_medium_config_static_selectorELNS0_4arch9wavefront6targetE0EEEvSK_,comdat
	.globl	_ZN7rocprim17ROCPRIM_400000_NS6detail17trampoline_kernelINS0_14default_configENS1_36segmented_radix_sort_config_selectorIilEEZNS1_25segmented_radix_sort_implIS3_Lb1EPKiPiPKlPlN2at6native12_GLOBAL__N_18offset_tEEE10hipError_tPvRmT1_PNSt15iterator_traitsISK_E10value_typeET2_T3_PNSL_ISQ_E10value_typeET4_jRbjT5_SW_jjP12ihipStream_tbEUlT_E0_NS1_11comp_targetILNS1_3genE5ELNS1_11target_archE942ELNS1_3gpuE9ELNS1_3repE0EEENS1_60segmented_radix_sort_warp_sort_medium_config_static_selectorELNS0_4arch9wavefront6targetE0EEEvSK_ ; -- Begin function _ZN7rocprim17ROCPRIM_400000_NS6detail17trampoline_kernelINS0_14default_configENS1_36segmented_radix_sort_config_selectorIilEEZNS1_25segmented_radix_sort_implIS3_Lb1EPKiPiPKlPlN2at6native12_GLOBAL__N_18offset_tEEE10hipError_tPvRmT1_PNSt15iterator_traitsISK_E10value_typeET2_T3_PNSL_ISQ_E10value_typeET4_jRbjT5_SW_jjP12ihipStream_tbEUlT_E0_NS1_11comp_targetILNS1_3genE5ELNS1_11target_archE942ELNS1_3gpuE9ELNS1_3repE0EEENS1_60segmented_radix_sort_warp_sort_medium_config_static_selectorELNS0_4arch9wavefront6targetE0EEEvSK_
	.p2align	8
	.type	_ZN7rocprim17ROCPRIM_400000_NS6detail17trampoline_kernelINS0_14default_configENS1_36segmented_radix_sort_config_selectorIilEEZNS1_25segmented_radix_sort_implIS3_Lb1EPKiPiPKlPlN2at6native12_GLOBAL__N_18offset_tEEE10hipError_tPvRmT1_PNSt15iterator_traitsISK_E10value_typeET2_T3_PNSL_ISQ_E10value_typeET4_jRbjT5_SW_jjP12ihipStream_tbEUlT_E0_NS1_11comp_targetILNS1_3genE5ELNS1_11target_archE942ELNS1_3gpuE9ELNS1_3repE0EEENS1_60segmented_radix_sort_warp_sort_medium_config_static_selectorELNS0_4arch9wavefront6targetE0EEEvSK_,@function
_ZN7rocprim17ROCPRIM_400000_NS6detail17trampoline_kernelINS0_14default_configENS1_36segmented_radix_sort_config_selectorIilEEZNS1_25segmented_radix_sort_implIS3_Lb1EPKiPiPKlPlN2at6native12_GLOBAL__N_18offset_tEEE10hipError_tPvRmT1_PNSt15iterator_traitsISK_E10value_typeET2_T3_PNSL_ISQ_E10value_typeET4_jRbjT5_SW_jjP12ihipStream_tbEUlT_E0_NS1_11comp_targetILNS1_3genE5ELNS1_11target_archE942ELNS1_3gpuE9ELNS1_3repE0EEENS1_60segmented_radix_sort_warp_sort_medium_config_static_selectorELNS0_4arch9wavefront6targetE0EEEvSK_: ; @_ZN7rocprim17ROCPRIM_400000_NS6detail17trampoline_kernelINS0_14default_configENS1_36segmented_radix_sort_config_selectorIilEEZNS1_25segmented_radix_sort_implIS3_Lb1EPKiPiPKlPlN2at6native12_GLOBAL__N_18offset_tEEE10hipError_tPvRmT1_PNSt15iterator_traitsISK_E10value_typeET2_T3_PNSL_ISQ_E10value_typeET4_jRbjT5_SW_jjP12ihipStream_tbEUlT_E0_NS1_11comp_targetILNS1_3genE5ELNS1_11target_archE942ELNS1_3gpuE9ELNS1_3repE0EEENS1_60segmented_radix_sort_warp_sort_medium_config_static_selectorELNS0_4arch9wavefront6targetE0EEEvSK_
; %bb.0:
	.section	.rodata,"a",@progbits
	.p2align	6, 0x0
	.amdhsa_kernel _ZN7rocprim17ROCPRIM_400000_NS6detail17trampoline_kernelINS0_14default_configENS1_36segmented_radix_sort_config_selectorIilEEZNS1_25segmented_radix_sort_implIS3_Lb1EPKiPiPKlPlN2at6native12_GLOBAL__N_18offset_tEEE10hipError_tPvRmT1_PNSt15iterator_traitsISK_E10value_typeET2_T3_PNSL_ISQ_E10value_typeET4_jRbjT5_SW_jjP12ihipStream_tbEUlT_E0_NS1_11comp_targetILNS1_3genE5ELNS1_11target_archE942ELNS1_3gpuE9ELNS1_3repE0EEENS1_60segmented_radix_sort_warp_sort_medium_config_static_selectorELNS0_4arch9wavefront6targetE0EEEvSK_
		.amdhsa_group_segment_fixed_size 0
		.amdhsa_private_segment_fixed_size 0
		.amdhsa_kernarg_size 88
		.amdhsa_user_sgpr_count 15
		.amdhsa_user_sgpr_dispatch_ptr 0
		.amdhsa_user_sgpr_queue_ptr 0
		.amdhsa_user_sgpr_kernarg_segment_ptr 1
		.amdhsa_user_sgpr_dispatch_id 0
		.amdhsa_user_sgpr_private_segment_size 0
		.amdhsa_wavefront_size32 1
		.amdhsa_uses_dynamic_stack 0
		.amdhsa_enable_private_segment 0
		.amdhsa_system_sgpr_workgroup_id_x 1
		.amdhsa_system_sgpr_workgroup_id_y 0
		.amdhsa_system_sgpr_workgroup_id_z 0
		.amdhsa_system_sgpr_workgroup_info 0
		.amdhsa_system_vgpr_workitem_id 0
		.amdhsa_next_free_vgpr 1
		.amdhsa_next_free_sgpr 1
		.amdhsa_reserve_vcc 0
		.amdhsa_float_round_mode_32 0
		.amdhsa_float_round_mode_16_64 0
		.amdhsa_float_denorm_mode_32 3
		.amdhsa_float_denorm_mode_16_64 3
		.amdhsa_dx10_clamp 1
		.amdhsa_ieee_mode 1
		.amdhsa_fp16_overflow 0
		.amdhsa_workgroup_processor_mode 1
		.amdhsa_memory_ordered 1
		.amdhsa_forward_progress 0
		.amdhsa_shared_vgpr_count 0
		.amdhsa_exception_fp_ieee_invalid_op 0
		.amdhsa_exception_fp_denorm_src 0
		.amdhsa_exception_fp_ieee_div_zero 0
		.amdhsa_exception_fp_ieee_overflow 0
		.amdhsa_exception_fp_ieee_underflow 0
		.amdhsa_exception_fp_ieee_inexact 0
		.amdhsa_exception_int_div_zero 0
	.end_amdhsa_kernel
	.section	.text._ZN7rocprim17ROCPRIM_400000_NS6detail17trampoline_kernelINS0_14default_configENS1_36segmented_radix_sort_config_selectorIilEEZNS1_25segmented_radix_sort_implIS3_Lb1EPKiPiPKlPlN2at6native12_GLOBAL__N_18offset_tEEE10hipError_tPvRmT1_PNSt15iterator_traitsISK_E10value_typeET2_T3_PNSL_ISQ_E10value_typeET4_jRbjT5_SW_jjP12ihipStream_tbEUlT_E0_NS1_11comp_targetILNS1_3genE5ELNS1_11target_archE942ELNS1_3gpuE9ELNS1_3repE0EEENS1_60segmented_radix_sort_warp_sort_medium_config_static_selectorELNS0_4arch9wavefront6targetE0EEEvSK_,"axG",@progbits,_ZN7rocprim17ROCPRIM_400000_NS6detail17trampoline_kernelINS0_14default_configENS1_36segmented_radix_sort_config_selectorIilEEZNS1_25segmented_radix_sort_implIS3_Lb1EPKiPiPKlPlN2at6native12_GLOBAL__N_18offset_tEEE10hipError_tPvRmT1_PNSt15iterator_traitsISK_E10value_typeET2_T3_PNSL_ISQ_E10value_typeET4_jRbjT5_SW_jjP12ihipStream_tbEUlT_E0_NS1_11comp_targetILNS1_3genE5ELNS1_11target_archE942ELNS1_3gpuE9ELNS1_3repE0EEENS1_60segmented_radix_sort_warp_sort_medium_config_static_selectorELNS0_4arch9wavefront6targetE0EEEvSK_,comdat
.Lfunc_end508:
	.size	_ZN7rocprim17ROCPRIM_400000_NS6detail17trampoline_kernelINS0_14default_configENS1_36segmented_radix_sort_config_selectorIilEEZNS1_25segmented_radix_sort_implIS3_Lb1EPKiPiPKlPlN2at6native12_GLOBAL__N_18offset_tEEE10hipError_tPvRmT1_PNSt15iterator_traitsISK_E10value_typeET2_T3_PNSL_ISQ_E10value_typeET4_jRbjT5_SW_jjP12ihipStream_tbEUlT_E0_NS1_11comp_targetILNS1_3genE5ELNS1_11target_archE942ELNS1_3gpuE9ELNS1_3repE0EEENS1_60segmented_radix_sort_warp_sort_medium_config_static_selectorELNS0_4arch9wavefront6targetE0EEEvSK_, .Lfunc_end508-_ZN7rocprim17ROCPRIM_400000_NS6detail17trampoline_kernelINS0_14default_configENS1_36segmented_radix_sort_config_selectorIilEEZNS1_25segmented_radix_sort_implIS3_Lb1EPKiPiPKlPlN2at6native12_GLOBAL__N_18offset_tEEE10hipError_tPvRmT1_PNSt15iterator_traitsISK_E10value_typeET2_T3_PNSL_ISQ_E10value_typeET4_jRbjT5_SW_jjP12ihipStream_tbEUlT_E0_NS1_11comp_targetILNS1_3genE5ELNS1_11target_archE942ELNS1_3gpuE9ELNS1_3repE0EEENS1_60segmented_radix_sort_warp_sort_medium_config_static_selectorELNS0_4arch9wavefront6targetE0EEEvSK_
                                        ; -- End function
	.section	.AMDGPU.csdata,"",@progbits
; Kernel info:
; codeLenInByte = 0
; NumSgprs: 0
; NumVgprs: 0
; ScratchSize: 0
; MemoryBound: 0
; FloatMode: 240
; IeeeMode: 1
; LDSByteSize: 0 bytes/workgroup (compile time only)
; SGPRBlocks: 0
; VGPRBlocks: 0
; NumSGPRsForWavesPerEU: 1
; NumVGPRsForWavesPerEU: 1
; Occupancy: 16
; WaveLimiterHint : 0
; COMPUTE_PGM_RSRC2:SCRATCH_EN: 0
; COMPUTE_PGM_RSRC2:USER_SGPR: 15
; COMPUTE_PGM_RSRC2:TRAP_HANDLER: 0
; COMPUTE_PGM_RSRC2:TGID_X_EN: 1
; COMPUTE_PGM_RSRC2:TGID_Y_EN: 0
; COMPUTE_PGM_RSRC2:TGID_Z_EN: 0
; COMPUTE_PGM_RSRC2:TIDIG_COMP_CNT: 0
	.section	.text._ZN7rocprim17ROCPRIM_400000_NS6detail17trampoline_kernelINS0_14default_configENS1_36segmented_radix_sort_config_selectorIilEEZNS1_25segmented_radix_sort_implIS3_Lb1EPKiPiPKlPlN2at6native12_GLOBAL__N_18offset_tEEE10hipError_tPvRmT1_PNSt15iterator_traitsISK_E10value_typeET2_T3_PNSL_ISQ_E10value_typeET4_jRbjT5_SW_jjP12ihipStream_tbEUlT_E0_NS1_11comp_targetILNS1_3genE4ELNS1_11target_archE910ELNS1_3gpuE8ELNS1_3repE0EEENS1_60segmented_radix_sort_warp_sort_medium_config_static_selectorELNS0_4arch9wavefront6targetE0EEEvSK_,"axG",@progbits,_ZN7rocprim17ROCPRIM_400000_NS6detail17trampoline_kernelINS0_14default_configENS1_36segmented_radix_sort_config_selectorIilEEZNS1_25segmented_radix_sort_implIS3_Lb1EPKiPiPKlPlN2at6native12_GLOBAL__N_18offset_tEEE10hipError_tPvRmT1_PNSt15iterator_traitsISK_E10value_typeET2_T3_PNSL_ISQ_E10value_typeET4_jRbjT5_SW_jjP12ihipStream_tbEUlT_E0_NS1_11comp_targetILNS1_3genE4ELNS1_11target_archE910ELNS1_3gpuE8ELNS1_3repE0EEENS1_60segmented_radix_sort_warp_sort_medium_config_static_selectorELNS0_4arch9wavefront6targetE0EEEvSK_,comdat
	.globl	_ZN7rocprim17ROCPRIM_400000_NS6detail17trampoline_kernelINS0_14default_configENS1_36segmented_radix_sort_config_selectorIilEEZNS1_25segmented_radix_sort_implIS3_Lb1EPKiPiPKlPlN2at6native12_GLOBAL__N_18offset_tEEE10hipError_tPvRmT1_PNSt15iterator_traitsISK_E10value_typeET2_T3_PNSL_ISQ_E10value_typeET4_jRbjT5_SW_jjP12ihipStream_tbEUlT_E0_NS1_11comp_targetILNS1_3genE4ELNS1_11target_archE910ELNS1_3gpuE8ELNS1_3repE0EEENS1_60segmented_radix_sort_warp_sort_medium_config_static_selectorELNS0_4arch9wavefront6targetE0EEEvSK_ ; -- Begin function _ZN7rocprim17ROCPRIM_400000_NS6detail17trampoline_kernelINS0_14default_configENS1_36segmented_radix_sort_config_selectorIilEEZNS1_25segmented_radix_sort_implIS3_Lb1EPKiPiPKlPlN2at6native12_GLOBAL__N_18offset_tEEE10hipError_tPvRmT1_PNSt15iterator_traitsISK_E10value_typeET2_T3_PNSL_ISQ_E10value_typeET4_jRbjT5_SW_jjP12ihipStream_tbEUlT_E0_NS1_11comp_targetILNS1_3genE4ELNS1_11target_archE910ELNS1_3gpuE8ELNS1_3repE0EEENS1_60segmented_radix_sort_warp_sort_medium_config_static_selectorELNS0_4arch9wavefront6targetE0EEEvSK_
	.p2align	8
	.type	_ZN7rocprim17ROCPRIM_400000_NS6detail17trampoline_kernelINS0_14default_configENS1_36segmented_radix_sort_config_selectorIilEEZNS1_25segmented_radix_sort_implIS3_Lb1EPKiPiPKlPlN2at6native12_GLOBAL__N_18offset_tEEE10hipError_tPvRmT1_PNSt15iterator_traitsISK_E10value_typeET2_T3_PNSL_ISQ_E10value_typeET4_jRbjT5_SW_jjP12ihipStream_tbEUlT_E0_NS1_11comp_targetILNS1_3genE4ELNS1_11target_archE910ELNS1_3gpuE8ELNS1_3repE0EEENS1_60segmented_radix_sort_warp_sort_medium_config_static_selectorELNS0_4arch9wavefront6targetE0EEEvSK_,@function
_ZN7rocprim17ROCPRIM_400000_NS6detail17trampoline_kernelINS0_14default_configENS1_36segmented_radix_sort_config_selectorIilEEZNS1_25segmented_radix_sort_implIS3_Lb1EPKiPiPKlPlN2at6native12_GLOBAL__N_18offset_tEEE10hipError_tPvRmT1_PNSt15iterator_traitsISK_E10value_typeET2_T3_PNSL_ISQ_E10value_typeET4_jRbjT5_SW_jjP12ihipStream_tbEUlT_E0_NS1_11comp_targetILNS1_3genE4ELNS1_11target_archE910ELNS1_3gpuE8ELNS1_3repE0EEENS1_60segmented_radix_sort_warp_sort_medium_config_static_selectorELNS0_4arch9wavefront6targetE0EEEvSK_: ; @_ZN7rocprim17ROCPRIM_400000_NS6detail17trampoline_kernelINS0_14default_configENS1_36segmented_radix_sort_config_selectorIilEEZNS1_25segmented_radix_sort_implIS3_Lb1EPKiPiPKlPlN2at6native12_GLOBAL__N_18offset_tEEE10hipError_tPvRmT1_PNSt15iterator_traitsISK_E10value_typeET2_T3_PNSL_ISQ_E10value_typeET4_jRbjT5_SW_jjP12ihipStream_tbEUlT_E0_NS1_11comp_targetILNS1_3genE4ELNS1_11target_archE910ELNS1_3gpuE8ELNS1_3repE0EEENS1_60segmented_radix_sort_warp_sort_medium_config_static_selectorELNS0_4arch9wavefront6targetE0EEEvSK_
; %bb.0:
	.section	.rodata,"a",@progbits
	.p2align	6, 0x0
	.amdhsa_kernel _ZN7rocprim17ROCPRIM_400000_NS6detail17trampoline_kernelINS0_14default_configENS1_36segmented_radix_sort_config_selectorIilEEZNS1_25segmented_radix_sort_implIS3_Lb1EPKiPiPKlPlN2at6native12_GLOBAL__N_18offset_tEEE10hipError_tPvRmT1_PNSt15iterator_traitsISK_E10value_typeET2_T3_PNSL_ISQ_E10value_typeET4_jRbjT5_SW_jjP12ihipStream_tbEUlT_E0_NS1_11comp_targetILNS1_3genE4ELNS1_11target_archE910ELNS1_3gpuE8ELNS1_3repE0EEENS1_60segmented_radix_sort_warp_sort_medium_config_static_selectorELNS0_4arch9wavefront6targetE0EEEvSK_
		.amdhsa_group_segment_fixed_size 0
		.amdhsa_private_segment_fixed_size 0
		.amdhsa_kernarg_size 88
		.amdhsa_user_sgpr_count 15
		.amdhsa_user_sgpr_dispatch_ptr 0
		.amdhsa_user_sgpr_queue_ptr 0
		.amdhsa_user_sgpr_kernarg_segment_ptr 1
		.amdhsa_user_sgpr_dispatch_id 0
		.amdhsa_user_sgpr_private_segment_size 0
		.amdhsa_wavefront_size32 1
		.amdhsa_uses_dynamic_stack 0
		.amdhsa_enable_private_segment 0
		.amdhsa_system_sgpr_workgroup_id_x 1
		.amdhsa_system_sgpr_workgroup_id_y 0
		.amdhsa_system_sgpr_workgroup_id_z 0
		.amdhsa_system_sgpr_workgroup_info 0
		.amdhsa_system_vgpr_workitem_id 0
		.amdhsa_next_free_vgpr 1
		.amdhsa_next_free_sgpr 1
		.amdhsa_reserve_vcc 0
		.amdhsa_float_round_mode_32 0
		.amdhsa_float_round_mode_16_64 0
		.amdhsa_float_denorm_mode_32 3
		.amdhsa_float_denorm_mode_16_64 3
		.amdhsa_dx10_clamp 1
		.amdhsa_ieee_mode 1
		.amdhsa_fp16_overflow 0
		.amdhsa_workgroup_processor_mode 1
		.amdhsa_memory_ordered 1
		.amdhsa_forward_progress 0
		.amdhsa_shared_vgpr_count 0
		.amdhsa_exception_fp_ieee_invalid_op 0
		.amdhsa_exception_fp_denorm_src 0
		.amdhsa_exception_fp_ieee_div_zero 0
		.amdhsa_exception_fp_ieee_overflow 0
		.amdhsa_exception_fp_ieee_underflow 0
		.amdhsa_exception_fp_ieee_inexact 0
		.amdhsa_exception_int_div_zero 0
	.end_amdhsa_kernel
	.section	.text._ZN7rocprim17ROCPRIM_400000_NS6detail17trampoline_kernelINS0_14default_configENS1_36segmented_radix_sort_config_selectorIilEEZNS1_25segmented_radix_sort_implIS3_Lb1EPKiPiPKlPlN2at6native12_GLOBAL__N_18offset_tEEE10hipError_tPvRmT1_PNSt15iterator_traitsISK_E10value_typeET2_T3_PNSL_ISQ_E10value_typeET4_jRbjT5_SW_jjP12ihipStream_tbEUlT_E0_NS1_11comp_targetILNS1_3genE4ELNS1_11target_archE910ELNS1_3gpuE8ELNS1_3repE0EEENS1_60segmented_radix_sort_warp_sort_medium_config_static_selectorELNS0_4arch9wavefront6targetE0EEEvSK_,"axG",@progbits,_ZN7rocprim17ROCPRIM_400000_NS6detail17trampoline_kernelINS0_14default_configENS1_36segmented_radix_sort_config_selectorIilEEZNS1_25segmented_radix_sort_implIS3_Lb1EPKiPiPKlPlN2at6native12_GLOBAL__N_18offset_tEEE10hipError_tPvRmT1_PNSt15iterator_traitsISK_E10value_typeET2_T3_PNSL_ISQ_E10value_typeET4_jRbjT5_SW_jjP12ihipStream_tbEUlT_E0_NS1_11comp_targetILNS1_3genE4ELNS1_11target_archE910ELNS1_3gpuE8ELNS1_3repE0EEENS1_60segmented_radix_sort_warp_sort_medium_config_static_selectorELNS0_4arch9wavefront6targetE0EEEvSK_,comdat
.Lfunc_end509:
	.size	_ZN7rocprim17ROCPRIM_400000_NS6detail17trampoline_kernelINS0_14default_configENS1_36segmented_radix_sort_config_selectorIilEEZNS1_25segmented_radix_sort_implIS3_Lb1EPKiPiPKlPlN2at6native12_GLOBAL__N_18offset_tEEE10hipError_tPvRmT1_PNSt15iterator_traitsISK_E10value_typeET2_T3_PNSL_ISQ_E10value_typeET4_jRbjT5_SW_jjP12ihipStream_tbEUlT_E0_NS1_11comp_targetILNS1_3genE4ELNS1_11target_archE910ELNS1_3gpuE8ELNS1_3repE0EEENS1_60segmented_radix_sort_warp_sort_medium_config_static_selectorELNS0_4arch9wavefront6targetE0EEEvSK_, .Lfunc_end509-_ZN7rocprim17ROCPRIM_400000_NS6detail17trampoline_kernelINS0_14default_configENS1_36segmented_radix_sort_config_selectorIilEEZNS1_25segmented_radix_sort_implIS3_Lb1EPKiPiPKlPlN2at6native12_GLOBAL__N_18offset_tEEE10hipError_tPvRmT1_PNSt15iterator_traitsISK_E10value_typeET2_T3_PNSL_ISQ_E10value_typeET4_jRbjT5_SW_jjP12ihipStream_tbEUlT_E0_NS1_11comp_targetILNS1_3genE4ELNS1_11target_archE910ELNS1_3gpuE8ELNS1_3repE0EEENS1_60segmented_radix_sort_warp_sort_medium_config_static_selectorELNS0_4arch9wavefront6targetE0EEEvSK_
                                        ; -- End function
	.section	.AMDGPU.csdata,"",@progbits
; Kernel info:
; codeLenInByte = 0
; NumSgprs: 0
; NumVgprs: 0
; ScratchSize: 0
; MemoryBound: 0
; FloatMode: 240
; IeeeMode: 1
; LDSByteSize: 0 bytes/workgroup (compile time only)
; SGPRBlocks: 0
; VGPRBlocks: 0
; NumSGPRsForWavesPerEU: 1
; NumVGPRsForWavesPerEU: 1
; Occupancy: 16
; WaveLimiterHint : 0
; COMPUTE_PGM_RSRC2:SCRATCH_EN: 0
; COMPUTE_PGM_RSRC2:USER_SGPR: 15
; COMPUTE_PGM_RSRC2:TRAP_HANDLER: 0
; COMPUTE_PGM_RSRC2:TGID_X_EN: 1
; COMPUTE_PGM_RSRC2:TGID_Y_EN: 0
; COMPUTE_PGM_RSRC2:TGID_Z_EN: 0
; COMPUTE_PGM_RSRC2:TIDIG_COMP_CNT: 0
	.section	.text._ZN7rocprim17ROCPRIM_400000_NS6detail17trampoline_kernelINS0_14default_configENS1_36segmented_radix_sort_config_selectorIilEEZNS1_25segmented_radix_sort_implIS3_Lb1EPKiPiPKlPlN2at6native12_GLOBAL__N_18offset_tEEE10hipError_tPvRmT1_PNSt15iterator_traitsISK_E10value_typeET2_T3_PNSL_ISQ_E10value_typeET4_jRbjT5_SW_jjP12ihipStream_tbEUlT_E0_NS1_11comp_targetILNS1_3genE3ELNS1_11target_archE908ELNS1_3gpuE7ELNS1_3repE0EEENS1_60segmented_radix_sort_warp_sort_medium_config_static_selectorELNS0_4arch9wavefront6targetE0EEEvSK_,"axG",@progbits,_ZN7rocprim17ROCPRIM_400000_NS6detail17trampoline_kernelINS0_14default_configENS1_36segmented_radix_sort_config_selectorIilEEZNS1_25segmented_radix_sort_implIS3_Lb1EPKiPiPKlPlN2at6native12_GLOBAL__N_18offset_tEEE10hipError_tPvRmT1_PNSt15iterator_traitsISK_E10value_typeET2_T3_PNSL_ISQ_E10value_typeET4_jRbjT5_SW_jjP12ihipStream_tbEUlT_E0_NS1_11comp_targetILNS1_3genE3ELNS1_11target_archE908ELNS1_3gpuE7ELNS1_3repE0EEENS1_60segmented_radix_sort_warp_sort_medium_config_static_selectorELNS0_4arch9wavefront6targetE0EEEvSK_,comdat
	.globl	_ZN7rocprim17ROCPRIM_400000_NS6detail17trampoline_kernelINS0_14default_configENS1_36segmented_radix_sort_config_selectorIilEEZNS1_25segmented_radix_sort_implIS3_Lb1EPKiPiPKlPlN2at6native12_GLOBAL__N_18offset_tEEE10hipError_tPvRmT1_PNSt15iterator_traitsISK_E10value_typeET2_T3_PNSL_ISQ_E10value_typeET4_jRbjT5_SW_jjP12ihipStream_tbEUlT_E0_NS1_11comp_targetILNS1_3genE3ELNS1_11target_archE908ELNS1_3gpuE7ELNS1_3repE0EEENS1_60segmented_radix_sort_warp_sort_medium_config_static_selectorELNS0_4arch9wavefront6targetE0EEEvSK_ ; -- Begin function _ZN7rocprim17ROCPRIM_400000_NS6detail17trampoline_kernelINS0_14default_configENS1_36segmented_radix_sort_config_selectorIilEEZNS1_25segmented_radix_sort_implIS3_Lb1EPKiPiPKlPlN2at6native12_GLOBAL__N_18offset_tEEE10hipError_tPvRmT1_PNSt15iterator_traitsISK_E10value_typeET2_T3_PNSL_ISQ_E10value_typeET4_jRbjT5_SW_jjP12ihipStream_tbEUlT_E0_NS1_11comp_targetILNS1_3genE3ELNS1_11target_archE908ELNS1_3gpuE7ELNS1_3repE0EEENS1_60segmented_radix_sort_warp_sort_medium_config_static_selectorELNS0_4arch9wavefront6targetE0EEEvSK_
	.p2align	8
	.type	_ZN7rocprim17ROCPRIM_400000_NS6detail17trampoline_kernelINS0_14default_configENS1_36segmented_radix_sort_config_selectorIilEEZNS1_25segmented_radix_sort_implIS3_Lb1EPKiPiPKlPlN2at6native12_GLOBAL__N_18offset_tEEE10hipError_tPvRmT1_PNSt15iterator_traitsISK_E10value_typeET2_T3_PNSL_ISQ_E10value_typeET4_jRbjT5_SW_jjP12ihipStream_tbEUlT_E0_NS1_11comp_targetILNS1_3genE3ELNS1_11target_archE908ELNS1_3gpuE7ELNS1_3repE0EEENS1_60segmented_radix_sort_warp_sort_medium_config_static_selectorELNS0_4arch9wavefront6targetE0EEEvSK_,@function
_ZN7rocprim17ROCPRIM_400000_NS6detail17trampoline_kernelINS0_14default_configENS1_36segmented_radix_sort_config_selectorIilEEZNS1_25segmented_radix_sort_implIS3_Lb1EPKiPiPKlPlN2at6native12_GLOBAL__N_18offset_tEEE10hipError_tPvRmT1_PNSt15iterator_traitsISK_E10value_typeET2_T3_PNSL_ISQ_E10value_typeET4_jRbjT5_SW_jjP12ihipStream_tbEUlT_E0_NS1_11comp_targetILNS1_3genE3ELNS1_11target_archE908ELNS1_3gpuE7ELNS1_3repE0EEENS1_60segmented_radix_sort_warp_sort_medium_config_static_selectorELNS0_4arch9wavefront6targetE0EEEvSK_: ; @_ZN7rocprim17ROCPRIM_400000_NS6detail17trampoline_kernelINS0_14default_configENS1_36segmented_radix_sort_config_selectorIilEEZNS1_25segmented_radix_sort_implIS3_Lb1EPKiPiPKlPlN2at6native12_GLOBAL__N_18offset_tEEE10hipError_tPvRmT1_PNSt15iterator_traitsISK_E10value_typeET2_T3_PNSL_ISQ_E10value_typeET4_jRbjT5_SW_jjP12ihipStream_tbEUlT_E0_NS1_11comp_targetILNS1_3genE3ELNS1_11target_archE908ELNS1_3gpuE7ELNS1_3repE0EEENS1_60segmented_radix_sort_warp_sort_medium_config_static_selectorELNS0_4arch9wavefront6targetE0EEEvSK_
; %bb.0:
	.section	.rodata,"a",@progbits
	.p2align	6, 0x0
	.amdhsa_kernel _ZN7rocprim17ROCPRIM_400000_NS6detail17trampoline_kernelINS0_14default_configENS1_36segmented_radix_sort_config_selectorIilEEZNS1_25segmented_radix_sort_implIS3_Lb1EPKiPiPKlPlN2at6native12_GLOBAL__N_18offset_tEEE10hipError_tPvRmT1_PNSt15iterator_traitsISK_E10value_typeET2_T3_PNSL_ISQ_E10value_typeET4_jRbjT5_SW_jjP12ihipStream_tbEUlT_E0_NS1_11comp_targetILNS1_3genE3ELNS1_11target_archE908ELNS1_3gpuE7ELNS1_3repE0EEENS1_60segmented_radix_sort_warp_sort_medium_config_static_selectorELNS0_4arch9wavefront6targetE0EEEvSK_
		.amdhsa_group_segment_fixed_size 0
		.amdhsa_private_segment_fixed_size 0
		.amdhsa_kernarg_size 88
		.amdhsa_user_sgpr_count 15
		.amdhsa_user_sgpr_dispatch_ptr 0
		.amdhsa_user_sgpr_queue_ptr 0
		.amdhsa_user_sgpr_kernarg_segment_ptr 1
		.amdhsa_user_sgpr_dispatch_id 0
		.amdhsa_user_sgpr_private_segment_size 0
		.amdhsa_wavefront_size32 1
		.amdhsa_uses_dynamic_stack 0
		.amdhsa_enable_private_segment 0
		.amdhsa_system_sgpr_workgroup_id_x 1
		.amdhsa_system_sgpr_workgroup_id_y 0
		.amdhsa_system_sgpr_workgroup_id_z 0
		.amdhsa_system_sgpr_workgroup_info 0
		.amdhsa_system_vgpr_workitem_id 0
		.amdhsa_next_free_vgpr 1
		.amdhsa_next_free_sgpr 1
		.amdhsa_reserve_vcc 0
		.amdhsa_float_round_mode_32 0
		.amdhsa_float_round_mode_16_64 0
		.amdhsa_float_denorm_mode_32 3
		.amdhsa_float_denorm_mode_16_64 3
		.amdhsa_dx10_clamp 1
		.amdhsa_ieee_mode 1
		.amdhsa_fp16_overflow 0
		.amdhsa_workgroup_processor_mode 1
		.amdhsa_memory_ordered 1
		.amdhsa_forward_progress 0
		.amdhsa_shared_vgpr_count 0
		.amdhsa_exception_fp_ieee_invalid_op 0
		.amdhsa_exception_fp_denorm_src 0
		.amdhsa_exception_fp_ieee_div_zero 0
		.amdhsa_exception_fp_ieee_overflow 0
		.amdhsa_exception_fp_ieee_underflow 0
		.amdhsa_exception_fp_ieee_inexact 0
		.amdhsa_exception_int_div_zero 0
	.end_amdhsa_kernel
	.section	.text._ZN7rocprim17ROCPRIM_400000_NS6detail17trampoline_kernelINS0_14default_configENS1_36segmented_radix_sort_config_selectorIilEEZNS1_25segmented_radix_sort_implIS3_Lb1EPKiPiPKlPlN2at6native12_GLOBAL__N_18offset_tEEE10hipError_tPvRmT1_PNSt15iterator_traitsISK_E10value_typeET2_T3_PNSL_ISQ_E10value_typeET4_jRbjT5_SW_jjP12ihipStream_tbEUlT_E0_NS1_11comp_targetILNS1_3genE3ELNS1_11target_archE908ELNS1_3gpuE7ELNS1_3repE0EEENS1_60segmented_radix_sort_warp_sort_medium_config_static_selectorELNS0_4arch9wavefront6targetE0EEEvSK_,"axG",@progbits,_ZN7rocprim17ROCPRIM_400000_NS6detail17trampoline_kernelINS0_14default_configENS1_36segmented_radix_sort_config_selectorIilEEZNS1_25segmented_radix_sort_implIS3_Lb1EPKiPiPKlPlN2at6native12_GLOBAL__N_18offset_tEEE10hipError_tPvRmT1_PNSt15iterator_traitsISK_E10value_typeET2_T3_PNSL_ISQ_E10value_typeET4_jRbjT5_SW_jjP12ihipStream_tbEUlT_E0_NS1_11comp_targetILNS1_3genE3ELNS1_11target_archE908ELNS1_3gpuE7ELNS1_3repE0EEENS1_60segmented_radix_sort_warp_sort_medium_config_static_selectorELNS0_4arch9wavefront6targetE0EEEvSK_,comdat
.Lfunc_end510:
	.size	_ZN7rocprim17ROCPRIM_400000_NS6detail17trampoline_kernelINS0_14default_configENS1_36segmented_radix_sort_config_selectorIilEEZNS1_25segmented_radix_sort_implIS3_Lb1EPKiPiPKlPlN2at6native12_GLOBAL__N_18offset_tEEE10hipError_tPvRmT1_PNSt15iterator_traitsISK_E10value_typeET2_T3_PNSL_ISQ_E10value_typeET4_jRbjT5_SW_jjP12ihipStream_tbEUlT_E0_NS1_11comp_targetILNS1_3genE3ELNS1_11target_archE908ELNS1_3gpuE7ELNS1_3repE0EEENS1_60segmented_radix_sort_warp_sort_medium_config_static_selectorELNS0_4arch9wavefront6targetE0EEEvSK_, .Lfunc_end510-_ZN7rocprim17ROCPRIM_400000_NS6detail17trampoline_kernelINS0_14default_configENS1_36segmented_radix_sort_config_selectorIilEEZNS1_25segmented_radix_sort_implIS3_Lb1EPKiPiPKlPlN2at6native12_GLOBAL__N_18offset_tEEE10hipError_tPvRmT1_PNSt15iterator_traitsISK_E10value_typeET2_T3_PNSL_ISQ_E10value_typeET4_jRbjT5_SW_jjP12ihipStream_tbEUlT_E0_NS1_11comp_targetILNS1_3genE3ELNS1_11target_archE908ELNS1_3gpuE7ELNS1_3repE0EEENS1_60segmented_radix_sort_warp_sort_medium_config_static_selectorELNS0_4arch9wavefront6targetE0EEEvSK_
                                        ; -- End function
	.section	.AMDGPU.csdata,"",@progbits
; Kernel info:
; codeLenInByte = 0
; NumSgprs: 0
; NumVgprs: 0
; ScratchSize: 0
; MemoryBound: 0
; FloatMode: 240
; IeeeMode: 1
; LDSByteSize: 0 bytes/workgroup (compile time only)
; SGPRBlocks: 0
; VGPRBlocks: 0
; NumSGPRsForWavesPerEU: 1
; NumVGPRsForWavesPerEU: 1
; Occupancy: 16
; WaveLimiterHint : 0
; COMPUTE_PGM_RSRC2:SCRATCH_EN: 0
; COMPUTE_PGM_RSRC2:USER_SGPR: 15
; COMPUTE_PGM_RSRC2:TRAP_HANDLER: 0
; COMPUTE_PGM_RSRC2:TGID_X_EN: 1
; COMPUTE_PGM_RSRC2:TGID_Y_EN: 0
; COMPUTE_PGM_RSRC2:TGID_Z_EN: 0
; COMPUTE_PGM_RSRC2:TIDIG_COMP_CNT: 0
	.section	.text._ZN7rocprim17ROCPRIM_400000_NS6detail17trampoline_kernelINS0_14default_configENS1_36segmented_radix_sort_config_selectorIilEEZNS1_25segmented_radix_sort_implIS3_Lb1EPKiPiPKlPlN2at6native12_GLOBAL__N_18offset_tEEE10hipError_tPvRmT1_PNSt15iterator_traitsISK_E10value_typeET2_T3_PNSL_ISQ_E10value_typeET4_jRbjT5_SW_jjP12ihipStream_tbEUlT_E0_NS1_11comp_targetILNS1_3genE2ELNS1_11target_archE906ELNS1_3gpuE6ELNS1_3repE0EEENS1_60segmented_radix_sort_warp_sort_medium_config_static_selectorELNS0_4arch9wavefront6targetE0EEEvSK_,"axG",@progbits,_ZN7rocprim17ROCPRIM_400000_NS6detail17trampoline_kernelINS0_14default_configENS1_36segmented_radix_sort_config_selectorIilEEZNS1_25segmented_radix_sort_implIS3_Lb1EPKiPiPKlPlN2at6native12_GLOBAL__N_18offset_tEEE10hipError_tPvRmT1_PNSt15iterator_traitsISK_E10value_typeET2_T3_PNSL_ISQ_E10value_typeET4_jRbjT5_SW_jjP12ihipStream_tbEUlT_E0_NS1_11comp_targetILNS1_3genE2ELNS1_11target_archE906ELNS1_3gpuE6ELNS1_3repE0EEENS1_60segmented_radix_sort_warp_sort_medium_config_static_selectorELNS0_4arch9wavefront6targetE0EEEvSK_,comdat
	.globl	_ZN7rocprim17ROCPRIM_400000_NS6detail17trampoline_kernelINS0_14default_configENS1_36segmented_radix_sort_config_selectorIilEEZNS1_25segmented_radix_sort_implIS3_Lb1EPKiPiPKlPlN2at6native12_GLOBAL__N_18offset_tEEE10hipError_tPvRmT1_PNSt15iterator_traitsISK_E10value_typeET2_T3_PNSL_ISQ_E10value_typeET4_jRbjT5_SW_jjP12ihipStream_tbEUlT_E0_NS1_11comp_targetILNS1_3genE2ELNS1_11target_archE906ELNS1_3gpuE6ELNS1_3repE0EEENS1_60segmented_radix_sort_warp_sort_medium_config_static_selectorELNS0_4arch9wavefront6targetE0EEEvSK_ ; -- Begin function _ZN7rocprim17ROCPRIM_400000_NS6detail17trampoline_kernelINS0_14default_configENS1_36segmented_radix_sort_config_selectorIilEEZNS1_25segmented_radix_sort_implIS3_Lb1EPKiPiPKlPlN2at6native12_GLOBAL__N_18offset_tEEE10hipError_tPvRmT1_PNSt15iterator_traitsISK_E10value_typeET2_T3_PNSL_ISQ_E10value_typeET4_jRbjT5_SW_jjP12ihipStream_tbEUlT_E0_NS1_11comp_targetILNS1_3genE2ELNS1_11target_archE906ELNS1_3gpuE6ELNS1_3repE0EEENS1_60segmented_radix_sort_warp_sort_medium_config_static_selectorELNS0_4arch9wavefront6targetE0EEEvSK_
	.p2align	8
	.type	_ZN7rocprim17ROCPRIM_400000_NS6detail17trampoline_kernelINS0_14default_configENS1_36segmented_radix_sort_config_selectorIilEEZNS1_25segmented_radix_sort_implIS3_Lb1EPKiPiPKlPlN2at6native12_GLOBAL__N_18offset_tEEE10hipError_tPvRmT1_PNSt15iterator_traitsISK_E10value_typeET2_T3_PNSL_ISQ_E10value_typeET4_jRbjT5_SW_jjP12ihipStream_tbEUlT_E0_NS1_11comp_targetILNS1_3genE2ELNS1_11target_archE906ELNS1_3gpuE6ELNS1_3repE0EEENS1_60segmented_radix_sort_warp_sort_medium_config_static_selectorELNS0_4arch9wavefront6targetE0EEEvSK_,@function
_ZN7rocprim17ROCPRIM_400000_NS6detail17trampoline_kernelINS0_14default_configENS1_36segmented_radix_sort_config_selectorIilEEZNS1_25segmented_radix_sort_implIS3_Lb1EPKiPiPKlPlN2at6native12_GLOBAL__N_18offset_tEEE10hipError_tPvRmT1_PNSt15iterator_traitsISK_E10value_typeET2_T3_PNSL_ISQ_E10value_typeET4_jRbjT5_SW_jjP12ihipStream_tbEUlT_E0_NS1_11comp_targetILNS1_3genE2ELNS1_11target_archE906ELNS1_3gpuE6ELNS1_3repE0EEENS1_60segmented_radix_sort_warp_sort_medium_config_static_selectorELNS0_4arch9wavefront6targetE0EEEvSK_: ; @_ZN7rocprim17ROCPRIM_400000_NS6detail17trampoline_kernelINS0_14default_configENS1_36segmented_radix_sort_config_selectorIilEEZNS1_25segmented_radix_sort_implIS3_Lb1EPKiPiPKlPlN2at6native12_GLOBAL__N_18offset_tEEE10hipError_tPvRmT1_PNSt15iterator_traitsISK_E10value_typeET2_T3_PNSL_ISQ_E10value_typeET4_jRbjT5_SW_jjP12ihipStream_tbEUlT_E0_NS1_11comp_targetILNS1_3genE2ELNS1_11target_archE906ELNS1_3gpuE6ELNS1_3repE0EEENS1_60segmented_radix_sort_warp_sort_medium_config_static_selectorELNS0_4arch9wavefront6targetE0EEEvSK_
; %bb.0:
	.section	.rodata,"a",@progbits
	.p2align	6, 0x0
	.amdhsa_kernel _ZN7rocprim17ROCPRIM_400000_NS6detail17trampoline_kernelINS0_14default_configENS1_36segmented_radix_sort_config_selectorIilEEZNS1_25segmented_radix_sort_implIS3_Lb1EPKiPiPKlPlN2at6native12_GLOBAL__N_18offset_tEEE10hipError_tPvRmT1_PNSt15iterator_traitsISK_E10value_typeET2_T3_PNSL_ISQ_E10value_typeET4_jRbjT5_SW_jjP12ihipStream_tbEUlT_E0_NS1_11comp_targetILNS1_3genE2ELNS1_11target_archE906ELNS1_3gpuE6ELNS1_3repE0EEENS1_60segmented_radix_sort_warp_sort_medium_config_static_selectorELNS0_4arch9wavefront6targetE0EEEvSK_
		.amdhsa_group_segment_fixed_size 0
		.amdhsa_private_segment_fixed_size 0
		.amdhsa_kernarg_size 88
		.amdhsa_user_sgpr_count 15
		.amdhsa_user_sgpr_dispatch_ptr 0
		.amdhsa_user_sgpr_queue_ptr 0
		.amdhsa_user_sgpr_kernarg_segment_ptr 1
		.amdhsa_user_sgpr_dispatch_id 0
		.amdhsa_user_sgpr_private_segment_size 0
		.amdhsa_wavefront_size32 1
		.amdhsa_uses_dynamic_stack 0
		.amdhsa_enable_private_segment 0
		.amdhsa_system_sgpr_workgroup_id_x 1
		.amdhsa_system_sgpr_workgroup_id_y 0
		.amdhsa_system_sgpr_workgroup_id_z 0
		.amdhsa_system_sgpr_workgroup_info 0
		.amdhsa_system_vgpr_workitem_id 0
		.amdhsa_next_free_vgpr 1
		.amdhsa_next_free_sgpr 1
		.amdhsa_reserve_vcc 0
		.amdhsa_float_round_mode_32 0
		.amdhsa_float_round_mode_16_64 0
		.amdhsa_float_denorm_mode_32 3
		.amdhsa_float_denorm_mode_16_64 3
		.amdhsa_dx10_clamp 1
		.amdhsa_ieee_mode 1
		.amdhsa_fp16_overflow 0
		.amdhsa_workgroup_processor_mode 1
		.amdhsa_memory_ordered 1
		.amdhsa_forward_progress 0
		.amdhsa_shared_vgpr_count 0
		.amdhsa_exception_fp_ieee_invalid_op 0
		.amdhsa_exception_fp_denorm_src 0
		.amdhsa_exception_fp_ieee_div_zero 0
		.amdhsa_exception_fp_ieee_overflow 0
		.amdhsa_exception_fp_ieee_underflow 0
		.amdhsa_exception_fp_ieee_inexact 0
		.amdhsa_exception_int_div_zero 0
	.end_amdhsa_kernel
	.section	.text._ZN7rocprim17ROCPRIM_400000_NS6detail17trampoline_kernelINS0_14default_configENS1_36segmented_radix_sort_config_selectorIilEEZNS1_25segmented_radix_sort_implIS3_Lb1EPKiPiPKlPlN2at6native12_GLOBAL__N_18offset_tEEE10hipError_tPvRmT1_PNSt15iterator_traitsISK_E10value_typeET2_T3_PNSL_ISQ_E10value_typeET4_jRbjT5_SW_jjP12ihipStream_tbEUlT_E0_NS1_11comp_targetILNS1_3genE2ELNS1_11target_archE906ELNS1_3gpuE6ELNS1_3repE0EEENS1_60segmented_radix_sort_warp_sort_medium_config_static_selectorELNS0_4arch9wavefront6targetE0EEEvSK_,"axG",@progbits,_ZN7rocprim17ROCPRIM_400000_NS6detail17trampoline_kernelINS0_14default_configENS1_36segmented_radix_sort_config_selectorIilEEZNS1_25segmented_radix_sort_implIS3_Lb1EPKiPiPKlPlN2at6native12_GLOBAL__N_18offset_tEEE10hipError_tPvRmT1_PNSt15iterator_traitsISK_E10value_typeET2_T3_PNSL_ISQ_E10value_typeET4_jRbjT5_SW_jjP12ihipStream_tbEUlT_E0_NS1_11comp_targetILNS1_3genE2ELNS1_11target_archE906ELNS1_3gpuE6ELNS1_3repE0EEENS1_60segmented_radix_sort_warp_sort_medium_config_static_selectorELNS0_4arch9wavefront6targetE0EEEvSK_,comdat
.Lfunc_end511:
	.size	_ZN7rocprim17ROCPRIM_400000_NS6detail17trampoline_kernelINS0_14default_configENS1_36segmented_radix_sort_config_selectorIilEEZNS1_25segmented_radix_sort_implIS3_Lb1EPKiPiPKlPlN2at6native12_GLOBAL__N_18offset_tEEE10hipError_tPvRmT1_PNSt15iterator_traitsISK_E10value_typeET2_T3_PNSL_ISQ_E10value_typeET4_jRbjT5_SW_jjP12ihipStream_tbEUlT_E0_NS1_11comp_targetILNS1_3genE2ELNS1_11target_archE906ELNS1_3gpuE6ELNS1_3repE0EEENS1_60segmented_radix_sort_warp_sort_medium_config_static_selectorELNS0_4arch9wavefront6targetE0EEEvSK_, .Lfunc_end511-_ZN7rocprim17ROCPRIM_400000_NS6detail17trampoline_kernelINS0_14default_configENS1_36segmented_radix_sort_config_selectorIilEEZNS1_25segmented_radix_sort_implIS3_Lb1EPKiPiPKlPlN2at6native12_GLOBAL__N_18offset_tEEE10hipError_tPvRmT1_PNSt15iterator_traitsISK_E10value_typeET2_T3_PNSL_ISQ_E10value_typeET4_jRbjT5_SW_jjP12ihipStream_tbEUlT_E0_NS1_11comp_targetILNS1_3genE2ELNS1_11target_archE906ELNS1_3gpuE6ELNS1_3repE0EEENS1_60segmented_radix_sort_warp_sort_medium_config_static_selectorELNS0_4arch9wavefront6targetE0EEEvSK_
                                        ; -- End function
	.section	.AMDGPU.csdata,"",@progbits
; Kernel info:
; codeLenInByte = 0
; NumSgprs: 0
; NumVgprs: 0
; ScratchSize: 0
; MemoryBound: 0
; FloatMode: 240
; IeeeMode: 1
; LDSByteSize: 0 bytes/workgroup (compile time only)
; SGPRBlocks: 0
; VGPRBlocks: 0
; NumSGPRsForWavesPerEU: 1
; NumVGPRsForWavesPerEU: 1
; Occupancy: 16
; WaveLimiterHint : 0
; COMPUTE_PGM_RSRC2:SCRATCH_EN: 0
; COMPUTE_PGM_RSRC2:USER_SGPR: 15
; COMPUTE_PGM_RSRC2:TRAP_HANDLER: 0
; COMPUTE_PGM_RSRC2:TGID_X_EN: 1
; COMPUTE_PGM_RSRC2:TGID_Y_EN: 0
; COMPUTE_PGM_RSRC2:TGID_Z_EN: 0
; COMPUTE_PGM_RSRC2:TIDIG_COMP_CNT: 0
	.section	.text._ZN7rocprim17ROCPRIM_400000_NS6detail17trampoline_kernelINS0_14default_configENS1_36segmented_radix_sort_config_selectorIilEEZNS1_25segmented_radix_sort_implIS3_Lb1EPKiPiPKlPlN2at6native12_GLOBAL__N_18offset_tEEE10hipError_tPvRmT1_PNSt15iterator_traitsISK_E10value_typeET2_T3_PNSL_ISQ_E10value_typeET4_jRbjT5_SW_jjP12ihipStream_tbEUlT_E0_NS1_11comp_targetILNS1_3genE10ELNS1_11target_archE1201ELNS1_3gpuE5ELNS1_3repE0EEENS1_60segmented_radix_sort_warp_sort_medium_config_static_selectorELNS0_4arch9wavefront6targetE0EEEvSK_,"axG",@progbits,_ZN7rocprim17ROCPRIM_400000_NS6detail17trampoline_kernelINS0_14default_configENS1_36segmented_radix_sort_config_selectorIilEEZNS1_25segmented_radix_sort_implIS3_Lb1EPKiPiPKlPlN2at6native12_GLOBAL__N_18offset_tEEE10hipError_tPvRmT1_PNSt15iterator_traitsISK_E10value_typeET2_T3_PNSL_ISQ_E10value_typeET4_jRbjT5_SW_jjP12ihipStream_tbEUlT_E0_NS1_11comp_targetILNS1_3genE10ELNS1_11target_archE1201ELNS1_3gpuE5ELNS1_3repE0EEENS1_60segmented_radix_sort_warp_sort_medium_config_static_selectorELNS0_4arch9wavefront6targetE0EEEvSK_,comdat
	.globl	_ZN7rocprim17ROCPRIM_400000_NS6detail17trampoline_kernelINS0_14default_configENS1_36segmented_radix_sort_config_selectorIilEEZNS1_25segmented_radix_sort_implIS3_Lb1EPKiPiPKlPlN2at6native12_GLOBAL__N_18offset_tEEE10hipError_tPvRmT1_PNSt15iterator_traitsISK_E10value_typeET2_T3_PNSL_ISQ_E10value_typeET4_jRbjT5_SW_jjP12ihipStream_tbEUlT_E0_NS1_11comp_targetILNS1_3genE10ELNS1_11target_archE1201ELNS1_3gpuE5ELNS1_3repE0EEENS1_60segmented_radix_sort_warp_sort_medium_config_static_selectorELNS0_4arch9wavefront6targetE0EEEvSK_ ; -- Begin function _ZN7rocprim17ROCPRIM_400000_NS6detail17trampoline_kernelINS0_14default_configENS1_36segmented_radix_sort_config_selectorIilEEZNS1_25segmented_radix_sort_implIS3_Lb1EPKiPiPKlPlN2at6native12_GLOBAL__N_18offset_tEEE10hipError_tPvRmT1_PNSt15iterator_traitsISK_E10value_typeET2_T3_PNSL_ISQ_E10value_typeET4_jRbjT5_SW_jjP12ihipStream_tbEUlT_E0_NS1_11comp_targetILNS1_3genE10ELNS1_11target_archE1201ELNS1_3gpuE5ELNS1_3repE0EEENS1_60segmented_radix_sort_warp_sort_medium_config_static_selectorELNS0_4arch9wavefront6targetE0EEEvSK_
	.p2align	8
	.type	_ZN7rocprim17ROCPRIM_400000_NS6detail17trampoline_kernelINS0_14default_configENS1_36segmented_radix_sort_config_selectorIilEEZNS1_25segmented_radix_sort_implIS3_Lb1EPKiPiPKlPlN2at6native12_GLOBAL__N_18offset_tEEE10hipError_tPvRmT1_PNSt15iterator_traitsISK_E10value_typeET2_T3_PNSL_ISQ_E10value_typeET4_jRbjT5_SW_jjP12ihipStream_tbEUlT_E0_NS1_11comp_targetILNS1_3genE10ELNS1_11target_archE1201ELNS1_3gpuE5ELNS1_3repE0EEENS1_60segmented_radix_sort_warp_sort_medium_config_static_selectorELNS0_4arch9wavefront6targetE0EEEvSK_,@function
_ZN7rocprim17ROCPRIM_400000_NS6detail17trampoline_kernelINS0_14default_configENS1_36segmented_radix_sort_config_selectorIilEEZNS1_25segmented_radix_sort_implIS3_Lb1EPKiPiPKlPlN2at6native12_GLOBAL__N_18offset_tEEE10hipError_tPvRmT1_PNSt15iterator_traitsISK_E10value_typeET2_T3_PNSL_ISQ_E10value_typeET4_jRbjT5_SW_jjP12ihipStream_tbEUlT_E0_NS1_11comp_targetILNS1_3genE10ELNS1_11target_archE1201ELNS1_3gpuE5ELNS1_3repE0EEENS1_60segmented_radix_sort_warp_sort_medium_config_static_selectorELNS0_4arch9wavefront6targetE0EEEvSK_: ; @_ZN7rocprim17ROCPRIM_400000_NS6detail17trampoline_kernelINS0_14default_configENS1_36segmented_radix_sort_config_selectorIilEEZNS1_25segmented_radix_sort_implIS3_Lb1EPKiPiPKlPlN2at6native12_GLOBAL__N_18offset_tEEE10hipError_tPvRmT1_PNSt15iterator_traitsISK_E10value_typeET2_T3_PNSL_ISQ_E10value_typeET4_jRbjT5_SW_jjP12ihipStream_tbEUlT_E0_NS1_11comp_targetILNS1_3genE10ELNS1_11target_archE1201ELNS1_3gpuE5ELNS1_3repE0EEENS1_60segmented_radix_sort_warp_sort_medium_config_static_selectorELNS0_4arch9wavefront6targetE0EEEvSK_
; %bb.0:
	.section	.rodata,"a",@progbits
	.p2align	6, 0x0
	.amdhsa_kernel _ZN7rocprim17ROCPRIM_400000_NS6detail17trampoline_kernelINS0_14default_configENS1_36segmented_radix_sort_config_selectorIilEEZNS1_25segmented_radix_sort_implIS3_Lb1EPKiPiPKlPlN2at6native12_GLOBAL__N_18offset_tEEE10hipError_tPvRmT1_PNSt15iterator_traitsISK_E10value_typeET2_T3_PNSL_ISQ_E10value_typeET4_jRbjT5_SW_jjP12ihipStream_tbEUlT_E0_NS1_11comp_targetILNS1_3genE10ELNS1_11target_archE1201ELNS1_3gpuE5ELNS1_3repE0EEENS1_60segmented_radix_sort_warp_sort_medium_config_static_selectorELNS0_4arch9wavefront6targetE0EEEvSK_
		.amdhsa_group_segment_fixed_size 0
		.amdhsa_private_segment_fixed_size 0
		.amdhsa_kernarg_size 88
		.amdhsa_user_sgpr_count 15
		.amdhsa_user_sgpr_dispatch_ptr 0
		.amdhsa_user_sgpr_queue_ptr 0
		.amdhsa_user_sgpr_kernarg_segment_ptr 1
		.amdhsa_user_sgpr_dispatch_id 0
		.amdhsa_user_sgpr_private_segment_size 0
		.amdhsa_wavefront_size32 1
		.amdhsa_uses_dynamic_stack 0
		.amdhsa_enable_private_segment 0
		.amdhsa_system_sgpr_workgroup_id_x 1
		.amdhsa_system_sgpr_workgroup_id_y 0
		.amdhsa_system_sgpr_workgroup_id_z 0
		.amdhsa_system_sgpr_workgroup_info 0
		.amdhsa_system_vgpr_workitem_id 0
		.amdhsa_next_free_vgpr 1
		.amdhsa_next_free_sgpr 1
		.amdhsa_reserve_vcc 0
		.amdhsa_float_round_mode_32 0
		.amdhsa_float_round_mode_16_64 0
		.amdhsa_float_denorm_mode_32 3
		.amdhsa_float_denorm_mode_16_64 3
		.amdhsa_dx10_clamp 1
		.amdhsa_ieee_mode 1
		.amdhsa_fp16_overflow 0
		.amdhsa_workgroup_processor_mode 1
		.amdhsa_memory_ordered 1
		.amdhsa_forward_progress 0
		.amdhsa_shared_vgpr_count 0
		.amdhsa_exception_fp_ieee_invalid_op 0
		.amdhsa_exception_fp_denorm_src 0
		.amdhsa_exception_fp_ieee_div_zero 0
		.amdhsa_exception_fp_ieee_overflow 0
		.amdhsa_exception_fp_ieee_underflow 0
		.amdhsa_exception_fp_ieee_inexact 0
		.amdhsa_exception_int_div_zero 0
	.end_amdhsa_kernel
	.section	.text._ZN7rocprim17ROCPRIM_400000_NS6detail17trampoline_kernelINS0_14default_configENS1_36segmented_radix_sort_config_selectorIilEEZNS1_25segmented_radix_sort_implIS3_Lb1EPKiPiPKlPlN2at6native12_GLOBAL__N_18offset_tEEE10hipError_tPvRmT1_PNSt15iterator_traitsISK_E10value_typeET2_T3_PNSL_ISQ_E10value_typeET4_jRbjT5_SW_jjP12ihipStream_tbEUlT_E0_NS1_11comp_targetILNS1_3genE10ELNS1_11target_archE1201ELNS1_3gpuE5ELNS1_3repE0EEENS1_60segmented_radix_sort_warp_sort_medium_config_static_selectorELNS0_4arch9wavefront6targetE0EEEvSK_,"axG",@progbits,_ZN7rocprim17ROCPRIM_400000_NS6detail17trampoline_kernelINS0_14default_configENS1_36segmented_radix_sort_config_selectorIilEEZNS1_25segmented_radix_sort_implIS3_Lb1EPKiPiPKlPlN2at6native12_GLOBAL__N_18offset_tEEE10hipError_tPvRmT1_PNSt15iterator_traitsISK_E10value_typeET2_T3_PNSL_ISQ_E10value_typeET4_jRbjT5_SW_jjP12ihipStream_tbEUlT_E0_NS1_11comp_targetILNS1_3genE10ELNS1_11target_archE1201ELNS1_3gpuE5ELNS1_3repE0EEENS1_60segmented_radix_sort_warp_sort_medium_config_static_selectorELNS0_4arch9wavefront6targetE0EEEvSK_,comdat
.Lfunc_end512:
	.size	_ZN7rocprim17ROCPRIM_400000_NS6detail17trampoline_kernelINS0_14default_configENS1_36segmented_radix_sort_config_selectorIilEEZNS1_25segmented_radix_sort_implIS3_Lb1EPKiPiPKlPlN2at6native12_GLOBAL__N_18offset_tEEE10hipError_tPvRmT1_PNSt15iterator_traitsISK_E10value_typeET2_T3_PNSL_ISQ_E10value_typeET4_jRbjT5_SW_jjP12ihipStream_tbEUlT_E0_NS1_11comp_targetILNS1_3genE10ELNS1_11target_archE1201ELNS1_3gpuE5ELNS1_3repE0EEENS1_60segmented_radix_sort_warp_sort_medium_config_static_selectorELNS0_4arch9wavefront6targetE0EEEvSK_, .Lfunc_end512-_ZN7rocprim17ROCPRIM_400000_NS6detail17trampoline_kernelINS0_14default_configENS1_36segmented_radix_sort_config_selectorIilEEZNS1_25segmented_radix_sort_implIS3_Lb1EPKiPiPKlPlN2at6native12_GLOBAL__N_18offset_tEEE10hipError_tPvRmT1_PNSt15iterator_traitsISK_E10value_typeET2_T3_PNSL_ISQ_E10value_typeET4_jRbjT5_SW_jjP12ihipStream_tbEUlT_E0_NS1_11comp_targetILNS1_3genE10ELNS1_11target_archE1201ELNS1_3gpuE5ELNS1_3repE0EEENS1_60segmented_radix_sort_warp_sort_medium_config_static_selectorELNS0_4arch9wavefront6targetE0EEEvSK_
                                        ; -- End function
	.section	.AMDGPU.csdata,"",@progbits
; Kernel info:
; codeLenInByte = 0
; NumSgprs: 0
; NumVgprs: 0
; ScratchSize: 0
; MemoryBound: 0
; FloatMode: 240
; IeeeMode: 1
; LDSByteSize: 0 bytes/workgroup (compile time only)
; SGPRBlocks: 0
; VGPRBlocks: 0
; NumSGPRsForWavesPerEU: 1
; NumVGPRsForWavesPerEU: 1
; Occupancy: 16
; WaveLimiterHint : 0
; COMPUTE_PGM_RSRC2:SCRATCH_EN: 0
; COMPUTE_PGM_RSRC2:USER_SGPR: 15
; COMPUTE_PGM_RSRC2:TRAP_HANDLER: 0
; COMPUTE_PGM_RSRC2:TGID_X_EN: 1
; COMPUTE_PGM_RSRC2:TGID_Y_EN: 0
; COMPUTE_PGM_RSRC2:TGID_Z_EN: 0
; COMPUTE_PGM_RSRC2:TIDIG_COMP_CNT: 0
	.section	.text._ZN7rocprim17ROCPRIM_400000_NS6detail17trampoline_kernelINS0_14default_configENS1_36segmented_radix_sort_config_selectorIilEEZNS1_25segmented_radix_sort_implIS3_Lb1EPKiPiPKlPlN2at6native12_GLOBAL__N_18offset_tEEE10hipError_tPvRmT1_PNSt15iterator_traitsISK_E10value_typeET2_T3_PNSL_ISQ_E10value_typeET4_jRbjT5_SW_jjP12ihipStream_tbEUlT_E0_NS1_11comp_targetILNS1_3genE10ELNS1_11target_archE1200ELNS1_3gpuE4ELNS1_3repE0EEENS1_60segmented_radix_sort_warp_sort_medium_config_static_selectorELNS0_4arch9wavefront6targetE0EEEvSK_,"axG",@progbits,_ZN7rocprim17ROCPRIM_400000_NS6detail17trampoline_kernelINS0_14default_configENS1_36segmented_radix_sort_config_selectorIilEEZNS1_25segmented_radix_sort_implIS3_Lb1EPKiPiPKlPlN2at6native12_GLOBAL__N_18offset_tEEE10hipError_tPvRmT1_PNSt15iterator_traitsISK_E10value_typeET2_T3_PNSL_ISQ_E10value_typeET4_jRbjT5_SW_jjP12ihipStream_tbEUlT_E0_NS1_11comp_targetILNS1_3genE10ELNS1_11target_archE1200ELNS1_3gpuE4ELNS1_3repE0EEENS1_60segmented_radix_sort_warp_sort_medium_config_static_selectorELNS0_4arch9wavefront6targetE0EEEvSK_,comdat
	.globl	_ZN7rocprim17ROCPRIM_400000_NS6detail17trampoline_kernelINS0_14default_configENS1_36segmented_radix_sort_config_selectorIilEEZNS1_25segmented_radix_sort_implIS3_Lb1EPKiPiPKlPlN2at6native12_GLOBAL__N_18offset_tEEE10hipError_tPvRmT1_PNSt15iterator_traitsISK_E10value_typeET2_T3_PNSL_ISQ_E10value_typeET4_jRbjT5_SW_jjP12ihipStream_tbEUlT_E0_NS1_11comp_targetILNS1_3genE10ELNS1_11target_archE1200ELNS1_3gpuE4ELNS1_3repE0EEENS1_60segmented_radix_sort_warp_sort_medium_config_static_selectorELNS0_4arch9wavefront6targetE0EEEvSK_ ; -- Begin function _ZN7rocprim17ROCPRIM_400000_NS6detail17trampoline_kernelINS0_14default_configENS1_36segmented_radix_sort_config_selectorIilEEZNS1_25segmented_radix_sort_implIS3_Lb1EPKiPiPKlPlN2at6native12_GLOBAL__N_18offset_tEEE10hipError_tPvRmT1_PNSt15iterator_traitsISK_E10value_typeET2_T3_PNSL_ISQ_E10value_typeET4_jRbjT5_SW_jjP12ihipStream_tbEUlT_E0_NS1_11comp_targetILNS1_3genE10ELNS1_11target_archE1200ELNS1_3gpuE4ELNS1_3repE0EEENS1_60segmented_radix_sort_warp_sort_medium_config_static_selectorELNS0_4arch9wavefront6targetE0EEEvSK_
	.p2align	8
	.type	_ZN7rocprim17ROCPRIM_400000_NS6detail17trampoline_kernelINS0_14default_configENS1_36segmented_radix_sort_config_selectorIilEEZNS1_25segmented_radix_sort_implIS3_Lb1EPKiPiPKlPlN2at6native12_GLOBAL__N_18offset_tEEE10hipError_tPvRmT1_PNSt15iterator_traitsISK_E10value_typeET2_T3_PNSL_ISQ_E10value_typeET4_jRbjT5_SW_jjP12ihipStream_tbEUlT_E0_NS1_11comp_targetILNS1_3genE10ELNS1_11target_archE1200ELNS1_3gpuE4ELNS1_3repE0EEENS1_60segmented_radix_sort_warp_sort_medium_config_static_selectorELNS0_4arch9wavefront6targetE0EEEvSK_,@function
_ZN7rocprim17ROCPRIM_400000_NS6detail17trampoline_kernelINS0_14default_configENS1_36segmented_radix_sort_config_selectorIilEEZNS1_25segmented_radix_sort_implIS3_Lb1EPKiPiPKlPlN2at6native12_GLOBAL__N_18offset_tEEE10hipError_tPvRmT1_PNSt15iterator_traitsISK_E10value_typeET2_T3_PNSL_ISQ_E10value_typeET4_jRbjT5_SW_jjP12ihipStream_tbEUlT_E0_NS1_11comp_targetILNS1_3genE10ELNS1_11target_archE1200ELNS1_3gpuE4ELNS1_3repE0EEENS1_60segmented_radix_sort_warp_sort_medium_config_static_selectorELNS0_4arch9wavefront6targetE0EEEvSK_: ; @_ZN7rocprim17ROCPRIM_400000_NS6detail17trampoline_kernelINS0_14default_configENS1_36segmented_radix_sort_config_selectorIilEEZNS1_25segmented_radix_sort_implIS3_Lb1EPKiPiPKlPlN2at6native12_GLOBAL__N_18offset_tEEE10hipError_tPvRmT1_PNSt15iterator_traitsISK_E10value_typeET2_T3_PNSL_ISQ_E10value_typeET4_jRbjT5_SW_jjP12ihipStream_tbEUlT_E0_NS1_11comp_targetILNS1_3genE10ELNS1_11target_archE1200ELNS1_3gpuE4ELNS1_3repE0EEENS1_60segmented_radix_sort_warp_sort_medium_config_static_selectorELNS0_4arch9wavefront6targetE0EEEvSK_
; %bb.0:
	.section	.rodata,"a",@progbits
	.p2align	6, 0x0
	.amdhsa_kernel _ZN7rocprim17ROCPRIM_400000_NS6detail17trampoline_kernelINS0_14default_configENS1_36segmented_radix_sort_config_selectorIilEEZNS1_25segmented_radix_sort_implIS3_Lb1EPKiPiPKlPlN2at6native12_GLOBAL__N_18offset_tEEE10hipError_tPvRmT1_PNSt15iterator_traitsISK_E10value_typeET2_T3_PNSL_ISQ_E10value_typeET4_jRbjT5_SW_jjP12ihipStream_tbEUlT_E0_NS1_11comp_targetILNS1_3genE10ELNS1_11target_archE1200ELNS1_3gpuE4ELNS1_3repE0EEENS1_60segmented_radix_sort_warp_sort_medium_config_static_selectorELNS0_4arch9wavefront6targetE0EEEvSK_
		.amdhsa_group_segment_fixed_size 0
		.amdhsa_private_segment_fixed_size 0
		.amdhsa_kernarg_size 88
		.amdhsa_user_sgpr_count 15
		.amdhsa_user_sgpr_dispatch_ptr 0
		.amdhsa_user_sgpr_queue_ptr 0
		.amdhsa_user_sgpr_kernarg_segment_ptr 1
		.amdhsa_user_sgpr_dispatch_id 0
		.amdhsa_user_sgpr_private_segment_size 0
		.amdhsa_wavefront_size32 1
		.amdhsa_uses_dynamic_stack 0
		.amdhsa_enable_private_segment 0
		.amdhsa_system_sgpr_workgroup_id_x 1
		.amdhsa_system_sgpr_workgroup_id_y 0
		.amdhsa_system_sgpr_workgroup_id_z 0
		.amdhsa_system_sgpr_workgroup_info 0
		.amdhsa_system_vgpr_workitem_id 0
		.amdhsa_next_free_vgpr 1
		.amdhsa_next_free_sgpr 1
		.amdhsa_reserve_vcc 0
		.amdhsa_float_round_mode_32 0
		.amdhsa_float_round_mode_16_64 0
		.amdhsa_float_denorm_mode_32 3
		.amdhsa_float_denorm_mode_16_64 3
		.amdhsa_dx10_clamp 1
		.amdhsa_ieee_mode 1
		.amdhsa_fp16_overflow 0
		.amdhsa_workgroup_processor_mode 1
		.amdhsa_memory_ordered 1
		.amdhsa_forward_progress 0
		.amdhsa_shared_vgpr_count 0
		.amdhsa_exception_fp_ieee_invalid_op 0
		.amdhsa_exception_fp_denorm_src 0
		.amdhsa_exception_fp_ieee_div_zero 0
		.amdhsa_exception_fp_ieee_overflow 0
		.amdhsa_exception_fp_ieee_underflow 0
		.amdhsa_exception_fp_ieee_inexact 0
		.amdhsa_exception_int_div_zero 0
	.end_amdhsa_kernel
	.section	.text._ZN7rocprim17ROCPRIM_400000_NS6detail17trampoline_kernelINS0_14default_configENS1_36segmented_radix_sort_config_selectorIilEEZNS1_25segmented_radix_sort_implIS3_Lb1EPKiPiPKlPlN2at6native12_GLOBAL__N_18offset_tEEE10hipError_tPvRmT1_PNSt15iterator_traitsISK_E10value_typeET2_T3_PNSL_ISQ_E10value_typeET4_jRbjT5_SW_jjP12ihipStream_tbEUlT_E0_NS1_11comp_targetILNS1_3genE10ELNS1_11target_archE1200ELNS1_3gpuE4ELNS1_3repE0EEENS1_60segmented_radix_sort_warp_sort_medium_config_static_selectorELNS0_4arch9wavefront6targetE0EEEvSK_,"axG",@progbits,_ZN7rocprim17ROCPRIM_400000_NS6detail17trampoline_kernelINS0_14default_configENS1_36segmented_radix_sort_config_selectorIilEEZNS1_25segmented_radix_sort_implIS3_Lb1EPKiPiPKlPlN2at6native12_GLOBAL__N_18offset_tEEE10hipError_tPvRmT1_PNSt15iterator_traitsISK_E10value_typeET2_T3_PNSL_ISQ_E10value_typeET4_jRbjT5_SW_jjP12ihipStream_tbEUlT_E0_NS1_11comp_targetILNS1_3genE10ELNS1_11target_archE1200ELNS1_3gpuE4ELNS1_3repE0EEENS1_60segmented_radix_sort_warp_sort_medium_config_static_selectorELNS0_4arch9wavefront6targetE0EEEvSK_,comdat
.Lfunc_end513:
	.size	_ZN7rocprim17ROCPRIM_400000_NS6detail17trampoline_kernelINS0_14default_configENS1_36segmented_radix_sort_config_selectorIilEEZNS1_25segmented_radix_sort_implIS3_Lb1EPKiPiPKlPlN2at6native12_GLOBAL__N_18offset_tEEE10hipError_tPvRmT1_PNSt15iterator_traitsISK_E10value_typeET2_T3_PNSL_ISQ_E10value_typeET4_jRbjT5_SW_jjP12ihipStream_tbEUlT_E0_NS1_11comp_targetILNS1_3genE10ELNS1_11target_archE1200ELNS1_3gpuE4ELNS1_3repE0EEENS1_60segmented_radix_sort_warp_sort_medium_config_static_selectorELNS0_4arch9wavefront6targetE0EEEvSK_, .Lfunc_end513-_ZN7rocprim17ROCPRIM_400000_NS6detail17trampoline_kernelINS0_14default_configENS1_36segmented_radix_sort_config_selectorIilEEZNS1_25segmented_radix_sort_implIS3_Lb1EPKiPiPKlPlN2at6native12_GLOBAL__N_18offset_tEEE10hipError_tPvRmT1_PNSt15iterator_traitsISK_E10value_typeET2_T3_PNSL_ISQ_E10value_typeET4_jRbjT5_SW_jjP12ihipStream_tbEUlT_E0_NS1_11comp_targetILNS1_3genE10ELNS1_11target_archE1200ELNS1_3gpuE4ELNS1_3repE0EEENS1_60segmented_radix_sort_warp_sort_medium_config_static_selectorELNS0_4arch9wavefront6targetE0EEEvSK_
                                        ; -- End function
	.section	.AMDGPU.csdata,"",@progbits
; Kernel info:
; codeLenInByte = 0
; NumSgprs: 0
; NumVgprs: 0
; ScratchSize: 0
; MemoryBound: 0
; FloatMode: 240
; IeeeMode: 1
; LDSByteSize: 0 bytes/workgroup (compile time only)
; SGPRBlocks: 0
; VGPRBlocks: 0
; NumSGPRsForWavesPerEU: 1
; NumVGPRsForWavesPerEU: 1
; Occupancy: 16
; WaveLimiterHint : 0
; COMPUTE_PGM_RSRC2:SCRATCH_EN: 0
; COMPUTE_PGM_RSRC2:USER_SGPR: 15
; COMPUTE_PGM_RSRC2:TRAP_HANDLER: 0
; COMPUTE_PGM_RSRC2:TGID_X_EN: 1
; COMPUTE_PGM_RSRC2:TGID_Y_EN: 0
; COMPUTE_PGM_RSRC2:TGID_Z_EN: 0
; COMPUTE_PGM_RSRC2:TIDIG_COMP_CNT: 0
	.text
	.p2align	2                               ; -- Begin function _ZN7rocprim17ROCPRIM_400000_NS6detail26segmented_warp_sort_helperINS1_20WarpSortHelperConfigILj16ELj8ELj256EEEilLi256ELb1EvE4sortIPKiPiPKlPlEEvT_T0_T1_T2_jjjjRNS5_12storage_typeE
	.type	_ZN7rocprim17ROCPRIM_400000_NS6detail26segmented_warp_sort_helperINS1_20WarpSortHelperConfigILj16ELj8ELj256EEEilLi256ELb1EvE4sortIPKiPiPKlPlEEvT_T0_T1_T2_jjjjRNS5_12storage_typeE,@function
_ZN7rocprim17ROCPRIM_400000_NS6detail26segmented_warp_sort_helperINS1_20WarpSortHelperConfigILj16ELj8ELj256EEEilLi256ELb1EvE4sortIPKiPiPKlPlEEvT_T0_T1_T2_jjjjRNS5_12storage_typeE: ; @_ZN7rocprim17ROCPRIM_400000_NS6detail26segmented_warp_sort_helperINS1_20WarpSortHelperConfigILj16ELj8ELj256EEEilLi256ELb1EvE4sortIPKiPiPKlPlEEvT_T0_T1_T2_jjjjRNS5_12storage_typeE
; %bb.0:
	s_waitcnt vmcnt(0) expcnt(0) lgkmcnt(0)
	v_mov_b32_e32 v12, v9
	v_mbcnt_lo_u32_b32 v9, -1, 0
	s_brev_b32 s0, 1
	s_delay_alu instid0(SALU_CYCLE_1)
	s_mov_b32 s1, s0
	s_mov_b32 s2, s0
	;; [unrolled: 1-line block ×7, first 2 shown]
	s_delay_alu instid0(SALU_CYCLE_1) | instskip(SKIP_2) | instid1(VALU_DEP_3)
	v_dual_mov_b32 v27, s7 :: v_dual_lshlrev_b32 v82, 3, v9
	v_dual_mov_b32 v9, 0 :: v_dual_mov_b32 v26, s6
	v_sub_nc_u32_e32 v12, v12, v8
	v_and_b32_e32 v83, 0x78, v82
	v_mov_b32_e32 v25, s5
	s_delay_alu instid0(VALU_DEP_4) | instskip(SKIP_1) | instid1(VALU_DEP_4)
	v_lshlrev_b64 v[54:55], 2, v[8:9]
	v_dual_mov_b32 v24, s4 :: v_dual_mov_b32 v23, s3
	v_lshlrev_b32_e32 v80, 2, v83
	v_dual_mov_b32 v22, s2 :: v_dual_mov_b32 v21, s1
	s_delay_alu instid0(VALU_DEP_4) | instskip(SKIP_2) | instid1(VALU_DEP_3)
	v_add_co_u32 v0, vcc_lo, v0, v54
	v_add_co_ci_u32_e32 v1, vcc_lo, v1, v55, vcc_lo
	v_mov_b32_e32 v20, s0
	v_add_co_u32 v0, vcc_lo, v0, v80
	s_delay_alu instid0(VALU_DEP_3)
	v_add_co_ci_u32_e32 v1, vcc_lo, 0, v1, vcc_lo
	v_cmp_lt_u32_e32 vcc_lo, v83, v12
	s_and_saveexec_b32 s0, vcc_lo
	s_cbranch_execz .LBB514_2
; %bb.1:
	flat_load_b32 v20, v[0:1]
	v_bfrev_b32_e32 v21, 1
	s_delay_alu instid0(VALU_DEP_1)
	v_mov_b32_e32 v22, v21
	v_mov_b32_e32 v23, v21
	;; [unrolled: 1-line block ×6, first 2 shown]
.LBB514_2:
	s_or_b32 exec_lo, exec_lo, s0
	v_or_b32_e32 v13, 1, v83
	s_delay_alu instid0(VALU_DEP_1) | instskip(NEXT) | instid1(VALU_DEP_1)
	v_cmp_lt_u32_e64 s0, v13, v12
	s_and_saveexec_b32 s1, s0
	s_cbranch_execz .LBB514_4
; %bb.3:
	flat_load_b32 v21, v[0:1] offset:4
.LBB514_4:
	s_or_b32 exec_lo, exec_lo, s1
	v_or_b32_e32 v13, 2, v83
	s_delay_alu instid0(VALU_DEP_1) | instskip(NEXT) | instid1(VALU_DEP_1)
	v_cmp_lt_u32_e64 s1, v13, v12
	s_and_saveexec_b32 s2, s1
	s_cbranch_execz .LBB514_6
; %bb.5:
	flat_load_b32 v22, v[0:1] offset:8
.LBB514_6:
	;; [unrolled: 9-line block ×7, first 2 shown]
	s_or_b32 exec_lo, exec_lo, s7
	v_lshlrev_b64 v[0:1], 3, v[8:9]
	v_lshlrev_b32_e32 v81, 3, v83
	; wave barrier
	s_delay_alu instid0(VALU_DEP_2) | instskip(NEXT) | instid1(VALU_DEP_1)
	v_add_co_u32 v4, s7, v4, v0
	v_add_co_ci_u32_e64 v5, s7, v5, v1, s7
	s_delay_alu instid0(VALU_DEP_2) | instskip(NEXT) | instid1(VALU_DEP_1)
	v_add_co_u32 v8, s7, v4, v81
	v_add_co_ci_u32_e64 v9, s7, 0, v5, s7
                                        ; implicit-def: $vgpr4_vgpr5
	s_and_saveexec_b32 s7, vcc_lo
	s_cbranch_execnz .LBB514_235
; %bb.17:
	s_or_b32 exec_lo, exec_lo, s7
	s_and_saveexec_b32 s7, s0
                                        ; implicit-def: $vgpr32_vgpr33_vgpr34_vgpr35
	s_cbranch_execnz .LBB514_236
.LBB514_18:
	s_or_b32 exec_lo, exec_lo, s7
                                        ; implicit-def: $vgpr64_vgpr65
	s_and_saveexec_b32 s7, s1
	s_cbranch_execnz .LBB514_237
.LBB514_19:
	s_or_b32 exec_lo, exec_lo, s7
	s_and_saveexec_b32 s7, s2
                                        ; implicit-def: $vgpr50_vgpr51_vgpr52_vgpr53
	s_cbranch_execnz .LBB514_238
.LBB514_20:
	s_or_b32 exec_lo, exec_lo, s7
                                        ; implicit-def: $vgpr66_vgpr67
	s_and_saveexec_b32 s7, s3
	s_cbranch_execnz .LBB514_239
.LBB514_21:
	s_or_b32 exec_lo, exec_lo, s7
	s_and_saveexec_b32 s7, s4
                                        ; implicit-def: $vgpr48_vgpr49_vgpr50_vgpr51
	s_cbranch_execnz .LBB514_240
.LBB514_22:
	s_or_b32 exec_lo, exec_lo, s7
                                        ; implicit-def: $vgpr48_vgpr49
	s_and_saveexec_b32 s7, s5
	s_cbranch_execnz .LBB514_241
.LBB514_23:
	s_or_b32 exec_lo, exec_lo, s7
	s_and_saveexec_b32 s7, s6
                                        ; implicit-def: $vgpr36_vgpr37_vgpr38_vgpr39
	s_cbranch_execz .LBB514_25
.LBB514_24:
	flat_load_b64 v[38:39], v[8:9] offset:56
.LBB514_25:
	s_or_b32 exec_lo, exec_lo, s7
	v_cmp_ne_u32_e64 s7, 0, v10
	v_cmp_ne_u32_e64 s10, 32, v11
	v_bfe_u32 v9, v31, 10, 10
	v_bfe_u32 v28, v31, 20, 10
	v_and_b32_e32 v8, 0x3ff, v31
	s_delay_alu instid0(VALU_DEP_4) | instskip(NEXT) | instid1(SALU_CYCLE_1)
	s_or_b32 s7, s7, s10
	; wave barrier
                                        ; implicit-def: $vgpr12_vgpr13_vgpr14_vgpr15_vgpr16_vgpr17_vgpr18_vgpr19
	s_and_saveexec_b32 s10, s7
	s_delay_alu instid0(SALU_CYCLE_1)
	s_xor_b32 s21, exec_lo, s10
	s_cbranch_execz .LBB514_121
; %bb.26:
	s_load_b64 s[10:11], s[8:9], 0x0
	v_mov_b32_e32 v12, 0
	v_lshlrev_b32_e64 v11, v11, -1
	v_lshlrev_b32_e64 v10, v10, -1
	s_delay_alu instid0(VALU_DEP_1) | instskip(SKIP_3) | instid1(SALU_CYCLE_1)
	v_xor_b32_e32 v84, v11, v10
	s_waitcnt lgkmcnt(0)
	s_cmp_lt_u32 s13, s11
	s_cselect_b32 s7, 14, 20
	s_add_u32 s14, s8, s7
	s_addc_u32 s15, s9, 0
	s_cmp_lt_u32 s12, s10
	global_load_u16 v13, v12, s[14:15]
	s_cselect_b32 s7, 12, 18
	s_delay_alu instid0(SALU_CYCLE_1)
	s_add_u32 s10, s8, s7
	s_addc_u32 s11, s9, 0
	global_load_u16 v12, v12, s[10:11]
	s_mov_b32 s11, exec_lo
	s_waitcnt vmcnt(1)
	v_mad_u32_u24 v9, v28, v13, v9
	s_waitcnt vmcnt(0)
	s_delay_alu instid0(VALU_DEP_1)
	v_mul_lo_u32 v9, v9, v12
	v_dual_mov_b32 v12, v20 :: v_dual_mov_b32 v15, v23
	v_dual_mov_b32 v13, v21 :: v_dual_mov_b32 v14, v22
	;; [unrolled: 1-line block ×3, first 2 shown]
	v_mov_b32_e32 v19, v27
	v_add_lshl_u32 v85, v9, v8, 3
	v_mov_b32_e32 v18, v26
	s_delay_alu instid0(VALU_DEP_2)
	v_cmpx_gt_u32_e32 0x800, v85
	s_cbranch_execz .LBB514_80
; %bb.27:
	v_dual_mov_b32 v69, v35 :: v_dual_and_b32 v16, v21, v84
	v_dual_mov_b32 v8, v20 :: v_dual_mov_b32 v9, v21
	v_dual_mov_b32 v68, v34 :: v_dual_and_b32 v17, v20, v84
	v_dual_mov_b32 v10, v22 :: v_dual_mov_b32 v11, v23
	v_dual_mov_b32 v12, v24 :: v_dual_mov_b32 v13, v25
	;; [unrolled: 1-line block ×3, first 2 shown]
	v_mov_b32_e32 v86, v20
	s_mov_b32 s10, exec_lo
	v_cmpx_gt_u32_e64 v16, v17
; %bb.28:
	v_dual_mov_b32 v8, v21 :: v_dual_mov_b32 v9, v20
	v_dual_mov_b32 v10, v22 :: v_dual_mov_b32 v11, v23
	;; [unrolled: 1-line block ×7, first 2 shown]
; %bb.29:
	s_or_b32 exec_lo, exec_lo, s10
	v_dual_mov_b32 v71, v53 :: v_dual_and_b32 v16, v11, v84
	v_dual_mov_b32 v29, v15 :: v_dual_mov_b32 v28, v14
	v_dual_mov_b32 v70, v52 :: v_dual_and_b32 v17, v10, v84
	v_dual_mov_b32 v27, v13 :: v_dual_mov_b32 v26, v12
	v_dual_mov_b32 v25, v11 :: v_dual_mov_b32 v24, v10
	;; [unrolled: 1-line block ×3, first 2 shown]
	v_mov_b32_e32 v20, v11
	s_mov_b32 s10, exec_lo
	v_cmpx_gt_u32_e64 v16, v17
; %bb.30:
	v_dual_mov_b32 v22, v8 :: v_dual_mov_b32 v23, v9
	v_dual_mov_b32 v24, v11 :: v_dual_mov_b32 v25, v10
	;; [unrolled: 1-line block ×6, first 2 shown]
	v_mov_b32_e32 v20, v10
	v_mov_b32_e32 v10, v11
; %bb.31:
	s_or_b32 exec_lo, exec_lo, s10
	v_dual_mov_b32 v8, v66 :: v_dual_and_b32 v11, v27, v84
	v_dual_mov_b32 v37, v29 :: v_dual_mov_b32 v36, v28
	v_dual_mov_b32 v9, v67 :: v_dual_and_b32 v12, v26, v84
	v_dual_mov_b32 v35, v27 :: v_dual_mov_b32 v34, v26
	v_dual_mov_b32 v33, v25 :: v_dual_mov_b32 v32, v24
	;; [unrolled: 1-line block ×3, first 2 shown]
	v_mov_b32_e32 v52, v27
	s_mov_b32 s10, exec_lo
	v_cmpx_gt_u32_e64 v11, v12
; %bb.32:
	v_dual_mov_b32 v30, v22 :: v_dual_mov_b32 v31, v23
	v_dual_mov_b32 v32, v24 :: v_dual_mov_b32 v33, v25
	;; [unrolled: 1-line block ×6, first 2 shown]
	v_mov_b32_e32 v52, v26
	v_mov_b32_e32 v26, v27
; %bb.33:
	s_or_b32 exec_lo, exec_lo, s10
	v_dual_mov_b32 v22, v48 :: v_dual_and_b32 v11, v37, v84
	v_dual_mov_b32 v12, v30 :: v_dual_mov_b32 v13, v31
	v_dual_mov_b32 v23, v49 :: v_dual_and_b32 v24, v36, v84
	v_dual_mov_b32 v14, v32 :: v_dual_mov_b32 v15, v33
	v_dual_mov_b32 v16, v34 :: v_dual_mov_b32 v17, v35
	;; [unrolled: 1-line block ×3, first 2 shown]
	v_mov_b32_e32 v53, v37
	s_mov_b32 s10, exec_lo
	v_cmpx_gt_u32_e64 v11, v24
; %bb.34:
	v_dual_mov_b32 v12, v30 :: v_dual_mov_b32 v13, v31
	v_dual_mov_b32 v14, v32 :: v_dual_mov_b32 v15, v33
	;; [unrolled: 1-line block ×7, first 2 shown]
; %bb.35:
	s_or_b32 exec_lo, exec_lo, s10
	v_dual_mov_b32 v24, v64 :: v_dual_and_b32 v11, v10, v84
	v_dual_mov_b32 v32, v10 :: v_dual_and_b32 v27, v21, v84
	v_mov_b32_e32 v25, v65
	s_delay_alu instid0(VALU_DEP_2) | instskip(NEXT) | instid1(VALU_DEP_1)
	v_cmp_gt_u32_e64 s7, v11, v27
	s_and_saveexec_b32 s10, s7
	s_delay_alu instid0(SALU_CYCLE_1)
	s_xor_b32 s7, exec_lo, s10
; %bb.36:
	v_dual_mov_b32 v13, v10 :: v_dual_mov_b32 v14, v21
	v_dual_mov_b32 v24, v68 :: v_dual_mov_b32 v25, v69
	;; [unrolled: 1-line block ×4, first 2 shown]
; %bb.37:
	s_or_b32 exec_lo, exec_lo, s7
	v_dual_mov_b32 v28, v70 :: v_dual_and_b32 v11, v20, v84
	v_dual_mov_b32 v29, v71 :: v_dual_and_b32 v10, v26, v84
	v_mov_b32_e32 v35, v26
	s_mov_b32 s10, exec_lo
	s_delay_alu instid0(VALU_DEP_2)
	v_cmpx_gt_u32_e64 v10, v11
; %bb.38:
	v_dual_mov_b32 v15, v26 :: v_dual_mov_b32 v16, v20
	v_dual_mov_b32 v29, v9 :: v_dual_mov_b32 v28, v8
	;; [unrolled: 1-line block ×4, first 2 shown]
; %bb.39:
	s_or_b32 exec_lo, exec_lo, s10
	v_dual_mov_b32 v10, v50 :: v_dual_and_b32 v27, v52, v84
	v_dual_mov_b32 v11, v51 :: v_dual_and_b32 v26, v36, v84
	v_mov_b32_e32 v37, v36
	s_mov_b32 s10, exec_lo
	s_delay_alu instid0(VALU_DEP_2)
	v_cmpx_gt_u32_e64 v26, v27
; %bb.40:
	v_dual_mov_b32 v17, v36 :: v_dual_mov_b32 v10, v22
	v_dual_mov_b32 v18, v52 :: v_dual_mov_b32 v11, v23
	;; [unrolled: 1-line block ×3, first 2 shown]
	v_mov_b32_e32 v37, v52
	v_mov_b32_e32 v52, v36
; %bb.41:
	s_or_b32 exec_lo, exec_lo, s10
	v_dual_mov_b32 v26, v68 :: v_dual_and_b32 v31, v86, v84
	v_and_b32_e32 v30, v21, v84
	v_dual_mov_b32 v27, v69 :: v_dual_mov_b32 v34, v86
	s_mov_b32 s10, exec_lo
	s_delay_alu instid0(VALU_DEP_2)
	v_cmpx_gt_u32_e64 v30, v31
; %bb.42:
	v_dual_mov_b32 v12, v21 :: v_dual_mov_b32 v13, v86
	v_dual_mov_b32 v27, v5 :: v_dual_mov_b32 v26, v4
	;; [unrolled: 1-line block ×4, first 2 shown]
; %bb.43:
	s_or_b32 exec_lo, exec_lo, s10
	v_and_b32_e32 v33, v20, v84
	v_dual_mov_b32 v31, v29 :: v_dual_and_b32 v36, v32, v84
	v_mov_b32_e32 v30, v28
	s_delay_alu instid0(VALU_DEP_2) | instskip(SKIP_1) | instid1(VALU_DEP_2)
	v_cmp_gt_u32_e64 s7, v33, v36
	v_mov_b32_e32 v36, v20
	s_and_saveexec_b32 s10, s7
; %bb.44:
	v_dual_mov_b32 v14, v20 :: v_dual_mov_b32 v31, v25
	v_mov_b32_e32 v30, v24
	v_dual_mov_b32 v24, v28 :: v_dual_mov_b32 v25, v29
	v_mov_b32_e32 v15, v32
	v_mov_b32_e32 v36, v32
	;; [unrolled: 1-line block ×3, first 2 shown]
; %bb.45:
	s_or_b32 exec_lo, exec_lo, s10
	v_dual_mov_b32 v29, v9 :: v_dual_and_b32 v20, v52, v84
	v_dual_mov_b32 v28, v8 :: v_dual_and_b32 v33, v35, v84
	v_mov_b32_e32 v48, v52
	s_mov_b32 s10, exec_lo
	s_delay_alu instid0(VALU_DEP_2)
	v_cmpx_gt_u32_e64 v20, v33
; %bb.46:
	v_dual_mov_b32 v16, v52 :: v_dual_mov_b32 v17, v35
	v_dual_mov_b32 v29, v11 :: v_dual_mov_b32 v28, v10
	;; [unrolled: 1-line block ×4, first 2 shown]
; %bb.47:
	s_or_b32 exec_lo, exec_lo, s10
	v_and_b32_e32 v20, v53, v84
	v_dual_mov_b32 v8, v22 :: v_dual_and_b32 v33, v37, v84
	v_mov_b32_e32 v9, v23
	s_delay_alu instid0(VALU_DEP_2) | instskip(SKIP_1) | instid1(VALU_DEP_2)
	v_cmp_gt_u32_e64 s7, v20, v33
	v_mov_b32_e32 v20, v53
	s_and_saveexec_b32 s10, s7
; %bb.48:
	v_dual_mov_b32 v19, v37 :: v_dual_mov_b32 v8, v38
	v_dual_mov_b32 v18, v53 :: v_dual_mov_b32 v9, v39
	;; [unrolled: 1-line block ×3, first 2 shown]
	v_mov_b32_e32 v20, v37
	v_mov_b32_e32 v37, v53
; %bb.49:
	s_or_b32 exec_lo, exec_lo, s10
	v_and_b32_e32 v33, v32, v84
	v_dual_mov_b32 v22, v24 :: v_dual_and_b32 v49, v21, v84
	v_mov_b32_e32 v23, v25
	s_delay_alu instid0(VALU_DEP_2) | instskip(SKIP_1) | instid1(VALU_DEP_2)
	v_cmp_gt_u32_e64 s7, v33, v49
	v_mov_b32_e32 v49, v32
	s_and_saveexec_b32 s10, s7
; %bb.50:
	v_dual_mov_b32 v13, v32 :: v_dual_mov_b32 v14, v21
	v_dual_mov_b32 v22, v26 :: v_dual_mov_b32 v23, v27
	;; [unrolled: 1-line block ×3, first 2 shown]
	v_mov_b32_e32 v49, v21
	v_mov_b32_e32 v21, v32
; %bb.51:
	s_or_b32 exec_lo, exec_lo, s10
	v_mov_b32_e32 v33, v31
	v_and_b32_e32 v24, v35, v84
	v_dual_mov_b32 v32, v30 :: v_dual_and_b32 v25, v36, v84
	v_mov_b32_e32 v50, v35
	s_mov_b32 s10, exec_lo
	s_delay_alu instid0(VALU_DEP_2)
	v_cmpx_gt_u32_e64 v24, v25
; %bb.52:
	v_dual_mov_b32 v15, v35 :: v_dual_mov_b32 v16, v36
	v_dual_mov_b32 v33, v29 :: v_dual_mov_b32 v32, v28
	;; [unrolled: 1-line block ×3, first 2 shown]
	v_mov_b32_e32 v50, v36
	v_mov_b32_e32 v36, v35
; %bb.53:
	s_or_b32 exec_lo, exec_lo, s10
	v_dual_mov_b32 v25, v11 :: v_dual_and_b32 v30, v37, v84
	v_dual_mov_b32 v24, v10 :: v_dual_and_b32 v31, v48, v84
	v_mov_b32_e32 v52, v37
	s_mov_b32 s10, exec_lo
	s_delay_alu instid0(VALU_DEP_2)
	v_cmpx_gt_u32_e64 v30, v31
; %bb.54:
	v_dual_mov_b32 v17, v37 :: v_dual_mov_b32 v18, v48
	v_dual_mov_b32 v25, v9 :: v_dual_mov_b32 v24, v8
	;; [unrolled: 1-line block ×3, first 2 shown]
	v_mov_b32_e32 v52, v48
	v_mov_b32_e32 v48, v37
; %bb.55:
	s_or_b32 exec_lo, exec_lo, s10
	v_mov_b32_e32 v10, v26
	v_dual_mov_b32 v11, v27 :: v_dual_and_b32 v30, v21, v84
	v_and_b32_e32 v31, v34, v84
	v_mov_b32_e32 v35, v34
	s_mov_b32 s10, exec_lo
	s_delay_alu instid0(VALU_DEP_2)
	v_cmpx_gt_u32_e64 v30, v31
; %bb.56:
	v_dual_mov_b32 v12, v21 :: v_dual_mov_b32 v13, v34
	v_dual_mov_b32 v11, v5 :: v_dual_mov_b32 v10, v4
	;; [unrolled: 1-line block ×3, first 2 shown]
	v_mov_b32_e32 v35, v21
	v_mov_b32_e32 v21, v34
; %bb.57:
	s_or_b32 exec_lo, exec_lo, s10
	v_dual_mov_b32 v30, v32 :: v_dual_and_b32 v27, v49, v84
	v_dual_mov_b32 v31, v33 :: v_dual_and_b32 v26, v36, v84
	v_mov_b32_e32 v37, v36
	s_mov_b32 s10, exec_lo
	s_delay_alu instid0(VALU_DEP_2)
	v_cmpx_gt_u32_e64 v26, v27
; %bb.58:
	v_dual_mov_b32 v14, v36 :: v_dual_mov_b32 v15, v49
	v_dual_mov_b32 v31, v23 :: v_dual_mov_b32 v30, v22
	v_dual_mov_b32 v22, v32 :: v_dual_mov_b32 v23, v33
	v_mov_b32_e32 v37, v49
	v_mov_b32_e32 v49, v36
; %bb.59:
	s_or_b32 exec_lo, exec_lo, s10
	v_dual_mov_b32 v26, v28 :: v_dual_and_b32 v33, v50, v84
	v_dual_mov_b32 v27, v29 :: v_dual_and_b32 v32, v48, v84
	v_mov_b32_e32 v36, v48
	s_mov_b32 s10, exec_lo
	s_delay_alu instid0(VALU_DEP_2)
	v_cmpx_gt_u32_e64 v32, v33
; %bb.60:
	v_dual_mov_b32 v16, v48 :: v_dual_mov_b32 v17, v50
	v_dual_mov_b32 v27, v25 :: v_dual_mov_b32 v26, v24
	v_dual_mov_b32 v24, v28 :: v_dual_mov_b32 v25, v29
	v_mov_b32_e32 v36, v50
	v_mov_b32_e32 v50, v48
; %bb.61:
	s_or_b32 exec_lo, exec_lo, s10
	v_dual_mov_b32 v29, v9 :: v_dual_and_b32 v32, v20, v84
	v_and_b32_e32 v33, v52, v84
	v_mov_b32_e32 v28, v8
	v_mov_b32_e32 v34, v20
	s_mov_b32 s10, exec_lo
	s_delay_alu instid0(VALU_DEP_3)
	v_cmpx_gt_u32_e64 v32, v33
; %bb.62:
	v_dual_mov_b32 v19, v52 :: v_dual_mov_b32 v28, v38
	v_dual_mov_b32 v18, v20 :: v_dual_mov_b32 v29, v39
	;; [unrolled: 1-line block ×3, first 2 shown]
	v_mov_b32_e32 v34, v52
	v_mov_b32_e32 v52, v20
; %bb.63:
	s_or_b32 exec_lo, exec_lo, s10
	v_mov_b32_e32 v8, v22
	v_dual_mov_b32 v9, v23 :: v_dual_and_b32 v20, v49, v84
	v_and_b32_e32 v32, v21, v84
	v_mov_b32_e32 v48, v49
	s_mov_b32 s10, exec_lo
	s_delay_alu instid0(VALU_DEP_2)
	v_cmpx_gt_u32_e64 v20, v32
; %bb.64:
	v_dual_mov_b32 v13, v49 :: v_dual_mov_b32 v8, v10
	v_dual_mov_b32 v14, v21 :: v_dual_mov_b32 v9, v11
	;; [unrolled: 1-line block ×3, first 2 shown]
	v_mov_b32_e32 v48, v21
	v_mov_b32_e32 v21, v49
; %bb.65:
	s_or_b32 exec_lo, exec_lo, s10
	v_dual_mov_b32 v33, v31 :: v_dual_and_b32 v20, v50, v84
	v_dual_mov_b32 v49, v50 :: v_dual_and_b32 v22, v37, v84
	v_mov_b32_e32 v32, v30
	s_mov_b32 s10, exec_lo
	s_delay_alu instid0(VALU_DEP_2)
	v_cmpx_gt_u32_e64 v20, v22
; %bb.66:
	v_dual_mov_b32 v15, v50 :: v_dual_mov_b32 v16, v37
	v_dual_mov_b32 v33, v27 :: v_dual_mov_b32 v32, v26
	;; [unrolled: 1-line block ×3, first 2 shown]
	v_mov_b32_e32 v49, v37
	v_mov_b32_e32 v37, v50
; %bb.67:
	s_or_b32 exec_lo, exec_lo, s10
	v_dual_mov_b32 v51, v25 :: v_dual_and_b32 v20, v52, v84
	v_and_b32_e32 v22, v36, v84
	v_mov_b32_e32 v50, v24
	v_mov_b32_e32 v30, v52
	s_mov_b32 s10, exec_lo
	s_delay_alu instid0(VALU_DEP_3)
	v_cmpx_gt_u32_e64 v20, v22
; %bb.68:
	v_dual_mov_b32 v18, v36 :: v_dual_mov_b32 v51, v29
	v_dual_mov_b32 v50, v28 :: v_dual_mov_b32 v29, v25
	v_mov_b32_e32 v17, v52
	v_mov_b32_e32 v28, v24
	;; [unrolled: 1-line block ×4, first 2 shown]
; %bb.69:
	s_or_b32 exec_lo, exec_lo, s10
	v_dual_mov_b32 v23, v11 :: v_dual_and_b32 v20, v21, v84
	v_and_b32_e32 v24, v35, v84
	v_mov_b32_e32 v22, v10
	s_delay_alu instid0(VALU_DEP_2) | instskip(SKIP_1) | instid1(VALU_DEP_2)
	v_cmp_gt_u32_e64 s7, v20, v24
	v_mov_b32_e32 v20, v35
	s_and_saveexec_b32 s10, s7
; %bb.70:
	v_dual_mov_b32 v12, v21 :: v_dual_mov_b32 v13, v35
	v_dual_mov_b32 v23, v5 :: v_dual_mov_b32 v22, v4
	v_dual_mov_b32 v4, v10 :: v_dual_mov_b32 v5, v11
	v_dual_mov_b32 v20, v21 :: v_dual_mov_b32 v21, v35
; %bb.71:
	s_or_b32 exec_lo, exec_lo, s10
	v_and_b32_e32 v24, v37, v84
	v_and_b32_e32 v25, v48, v84
	v_dual_mov_b32 v10, v32 :: v_dual_mov_b32 v11, v33
	v_mov_b32_e32 v31, v37
	s_mov_b32 s10, exec_lo
	s_delay_alu instid0(VALU_DEP_3)
	v_cmpx_gt_u32_e64 v24, v25
; %bb.72:
	v_dual_mov_b32 v14, v37 :: v_dual_mov_b32 v15, v48
	v_dual_mov_b32 v11, v9 :: v_dual_mov_b32 v10, v8
	;; [unrolled: 1-line block ×4, first 2 shown]
; %bb.73:
	s_or_b32 exec_lo, exec_lo, s10
	v_and_b32_e32 v32, v36, v84
	v_dual_mov_b32 v24, v26 :: v_dual_and_b32 v33, v49, v84
	v_mov_b32_e32 v25, v27
	s_delay_alu instid0(VALU_DEP_2) | instskip(SKIP_1) | instid1(VALU_DEP_2)
	v_cmp_gt_u32_e64 s7, v32, v33
	v_mov_b32_e32 v32, v36
	s_and_saveexec_b32 s10, s7
; %bb.74:
	v_dual_mov_b32 v16, v36 :: v_dual_mov_b32 v17, v49
	v_dual_mov_b32 v24, v50 :: v_dual_mov_b32 v25, v51
	;; [unrolled: 1-line block ×4, first 2 shown]
; %bb.75:
	s_or_b32 exec_lo, exec_lo, s10
	v_dual_mov_b32 v26, v28 :: v_dual_and_b32 v35, v34, v84
	v_and_b32_e32 v33, v30, v84
	v_mov_b32_e32 v27, v29
	s_mov_b32 s10, exec_lo
	s_delay_alu instid0(VALU_DEP_2)
	v_cmpx_gt_u32_e64 v35, v33
; %bb.76:
	v_dual_mov_b32 v26, v38 :: v_dual_mov_b32 v27, v39
	v_dual_mov_b32 v39, v29 :: v_dual_mov_b32 v18, v34
	v_mov_b32_e32 v33, v35
	v_dual_mov_b32 v19, v30 :: v_dual_mov_b32 v38, v28
	v_mov_b32_e32 v30, v34
; %bb.77:
	s_or_b32 exec_lo, exec_lo, s10
	v_and_b32_e32 v28, v48, v84
	v_and_b32_e32 v29, v21, v84
	s_delay_alu instid0(VALU_DEP_1) | instskip(SKIP_2) | instid1(VALU_DEP_3)
	v_cmp_gt_u32_e64 s7, v28, v29
	v_and_b32_e32 v28, v49, v84
	v_and_b32_e32 v29, v31, v84
	v_cndmask_b32_e64 v13, v13, v48, s7
	v_cndmask_b32_e64 v65, v9, v23, s7
	s_delay_alu instid0(VALU_DEP_3)
	v_cmp_gt_u32_e64 s10, v28, v29
	v_cndmask_b32_e64 v64, v8, v22, s7
	v_cndmask_b32_e64 v35, v23, v9, s7
	;; [unrolled: 1-line block ×5, first 2 shown]
	v_dual_mov_b32 v49, v27 :: v_dual_mov_b32 v48, v26
	v_cndmask_b32_e64 v53, v11, v25, s10
	v_cndmask_b32_e64 v52, v10, v24, s10
	v_and_b32_e32 v8, v32, v84
	v_cndmask_b32_e64 v67, v25, v11, s10
	v_cndmask_b32_e64 v66, v24, v10, s10
	;; [unrolled: 1-line block ×3, first 2 shown]
	s_mov_b32 s10, exec_lo
	v_cmpx_gt_u32_e64 v33, v8
; %bb.78:
	v_dual_mov_b32 v17, v30 :: v_dual_mov_b32 v18, v32
	v_dual_mov_b32 v48, v50 :: v_dual_mov_b32 v49, v51
	;; [unrolled: 1-line block ×3, first 2 shown]
; %bb.79:
	s_or_b32 exec_lo, exec_lo, s10
.LBB514_80:
	s_delay_alu instid0(SALU_CYCLE_1) | instskip(SKIP_4) | instid1(VALU_DEP_4)
	s_or_b32 exec_lo, exec_lo, s11
	v_dual_mov_b32 v21, v13 :: v_dual_and_b32 v8, 0xffffff00, v85
	v_or_b32_e32 v10, 8, v82
	v_and_b32_e32 v25, 8, v82
	v_and_b32_e32 v26, 0xf0, v82
	v_sub_nc_u32_e64 v11, 0x800, v8 clamp
	v_dual_mov_b32 v30, v15 :: v_dual_lshlrev_b32 v9, 2, v8
	s_mov_b32 s10, exec_lo
	v_mov_b32_e32 v29, v14
	s_delay_alu instid0(VALU_DEP_3) | instskip(NEXT) | instid1(VALU_DEP_3)
	v_min_u32_e32 v23, v11, v10
	v_add_nc_u32_e32 v8, v9, v9
	v_lshl_or_b32 v22, v82, 2, v9
	v_min_u32_e32 v27, v11, v25
	s_delay_alu instid0(VALU_DEP_4) | instskip(NEXT) | instid1(VALU_DEP_4)
	v_add_nc_u32_e32 v10, 8, v23
	v_lshl_add_u32 v31, v82, 3, v8
	v_sub_nc_u32_e32 v32, v23, v26
	s_delay_alu instid0(VALU_DEP_3) | instskip(NEXT) | instid1(VALU_DEP_3)
	v_min_u32_e32 v24, v11, v10
	v_add_nc_u32_e32 v10, 0x2000, v31
	v_add_nc_u32_e32 v25, 0x2010, v31
	;; [unrolled: 1-line block ×4, first 2 shown]
	v_sub_nc_u32_e32 v28, v24, v23
	ds_store_2addr_b64 v10, v[4:5], v[34:35] offset1:1
	ds_store_2addr_b64 v25, v[64:65], v[52:53] offset1:1
	;; [unrolled: 1-line block ×3, first 2 shown]
	ds_store_2addr_b64 v22, v[16:17], v[18:19] offset0:2 offset1:3
	v_lshl_or_b32 v20, v26, 2, v9
	ds_store_2addr_b64 v33, v[66:67], v[50:51] offset1:1
	ds_store_2addr_b64 v31, v[48:49], v[38:39] offset1:1
	v_sub_nc_u32_e64 v25, v27, v28 clamp
	v_min_u32_e32 v28, v27, v32
	; wave barrier
	s_delay_alu instid0(VALU_DEP_1)
	v_cmpx_lt_u32_e64 v25, v28
	s_cbranch_execz .LBB514_84
; %bb.81:
	v_lshlrev_b32_e32 v21, 2, v23
	v_lshlrev_b32_e32 v29, 2, v27
	s_mov_b32 s11, 0
	s_delay_alu instid0(VALU_DEP_1)
	v_add3_u32 v21, v9, v21, v29
	.p2align	6
.LBB514_82:                             ; =>This Inner Loop Header: Depth=1
	v_add_nc_u32_e32 v29, v28, v25
	s_delay_alu instid0(VALU_DEP_1) | instskip(NEXT) | instid1(VALU_DEP_1)
	v_lshrrev_b32_e32 v29, 1, v29
	v_not_b32_e32 v30, v29
	v_lshl_add_u32 v31, v29, 2, v20
	v_add_nc_u32_e32 v32, 1, v29
	s_delay_alu instid0(VALU_DEP_3)
	v_lshl_add_u32 v30, v30, 2, v21
	ds_load_b32 v31, v31
	ds_load_b32 v30, v30
	s_waitcnt lgkmcnt(1)
	v_and_b32_e32 v31, v31, v84
	s_waitcnt lgkmcnt(0)
	v_and_b32_e32 v30, v30, v84
	s_delay_alu instid0(VALU_DEP_1) | instskip(NEXT) | instid1(VALU_DEP_1)
	v_cmp_gt_u32_e64 s7, v30, v31
	v_cndmask_b32_e64 v28, v28, v29, s7
	v_cndmask_b32_e64 v25, v32, v25, s7
	s_delay_alu instid0(VALU_DEP_1) | instskip(NEXT) | instid1(VALU_DEP_1)
	v_cmp_ge_u32_e64 s7, v25, v28
	s_or_b32 s11, s7, s11
	s_delay_alu instid0(SALU_CYCLE_1)
	s_and_not1_b32 exec_lo, exec_lo, s11
	s_cbranch_execnz .LBB514_82
; %bb.83:
	s_or_b32 exec_lo, exec_lo, s11
.LBB514_84:
	s_delay_alu instid0(SALU_CYCLE_1) | instskip(SKIP_2) | instid1(VALU_DEP_2)
	s_or_b32 exec_lo, exec_lo, s10
	v_add_nc_u32_e32 v21, v23, v27
	v_add_nc_u32_e32 v26, v25, v26
	v_sub_nc_u32_e32 v21, v21, v25
	s_delay_alu instid0(VALU_DEP_2) | instskip(NEXT) | instid1(VALU_DEP_2)
	v_cmp_le_u32_e64 s7, v26, v23
	v_cmp_le_u32_e64 s10, v21, v24
	s_delay_alu instid0(VALU_DEP_1) | instskip(NEXT) | instid1(SALU_CYCLE_1)
	s_or_b32 s7, s7, s10
	s_and_saveexec_b32 s22, s7
	s_cbranch_execz .LBB514_90
; %bb.85:
	v_cmp_lt_u32_e64 s7, v26, v23
                                        ; implicit-def: $vgpr12
	s_delay_alu instid0(VALU_DEP_1)
	s_and_saveexec_b32 s10, s7
	s_cbranch_execz .LBB514_87
; %bb.86:
	v_lshl_add_u32 v4, v25, 2, v20
	ds_load_b32 v12, v4
.LBB514_87:
	s_or_b32 exec_lo, exec_lo, s10
	v_cmp_ge_u32_e64 s10, v21, v24
	s_mov_b32 s14, exec_lo
                                        ; implicit-def: $vgpr13
	v_cmpx_lt_u32_e64 v21, v24
	s_cbranch_execz .LBB514_89
; %bb.88:
	v_lshl_add_u32 v4, v21, 2, v9
	ds_load_b32 v13, v4
.LBB514_89:
	s_or_b32 exec_lo, exec_lo, s14
	s_waitcnt lgkmcnt(0)
	v_and_b32_e32 v4, v13, v84
	v_and_b32_e32 v5, v12, v84
	s_delay_alu instid0(VALU_DEP_1) | instskip(NEXT) | instid1(VALU_DEP_1)
	v_cmp_le_u32_e64 s11, v4, v5
	s_and_b32 s7, s7, s11
	s_delay_alu instid0(SALU_CYCLE_1) | instskip(NEXT) | instid1(SALU_CYCLE_1)
	s_or_b32 s7, s10, s7
	v_cndmask_b32_e64 v4, v21, v26, s7
	v_cndmask_b32_e64 v5, v24, v23, s7
	s_delay_alu instid0(VALU_DEP_2) | instskip(NEXT) | instid1(VALU_DEP_2)
	v_add_nc_u32_e32 v14, 1, v4
	v_add_nc_u32_e32 v5, -1, v5
	v_lshl_add_u32 v4, v4, 3, v8
	s_delay_alu instid0(VALU_DEP_2) | instskip(NEXT) | instid1(VALU_DEP_1)
	v_min_u32_e32 v5, v14, v5
	v_lshl_add_u32 v5, v5, 2, v9
	ds_load_b32 v5, v5
	s_waitcnt lgkmcnt(0)
	v_cndmask_b32_e64 v15, v5, v13, s7
	v_cndmask_b32_e64 v16, v12, v5, s7
	;; [unrolled: 1-line block ×5, first 2 shown]
	v_and_b32_e32 v17, v15, v84
	v_and_b32_e32 v18, v16, v84
	v_cmp_lt_u32_e64 s10, v5, v23
	v_cmp_ge_u32_e64 s14, v14, v24
	s_delay_alu instid0(VALU_DEP_3) | instskip(NEXT) | instid1(VALU_DEP_1)
	v_cmp_le_u32_e64 s11, v17, v18
	s_and_b32 s10, s10, s11
	s_delay_alu instid0(VALU_DEP_2) | instid1(SALU_CYCLE_1)
	s_or_b32 s10, s14, s10
	s_delay_alu instid0(SALU_CYCLE_1) | instskip(SKIP_2) | instid1(VALU_DEP_3)
	v_cndmask_b32_e64 v17, v14, v5, s10
	v_cndmask_b32_e64 v18, v24, v23, s10
	;; [unrolled: 1-line block ×3, first 2 shown]
	v_add_nc_u32_e32 v19, 1, v17
	s_delay_alu instid0(VALU_DEP_3) | instskip(SKIP_1) | instid1(VALU_DEP_3)
	v_add_nc_u32_e32 v18, -1, v18
	v_lshl_add_u32 v17, v17, 3, v8
	v_cndmask_b32_e64 v5, v5, v19, s10
	s_delay_alu instid0(VALU_DEP_3) | instskip(SKIP_1) | instid1(VALU_DEP_3)
	v_min_u32_e32 v18, v19, v18
	v_cndmask_b32_e64 v14, v19, v14, s10
	v_cmp_lt_u32_e64 s11, v5, v23
	s_delay_alu instid0(VALU_DEP_3) | instskip(NEXT) | instid1(VALU_DEP_3)
	v_lshl_add_u32 v18, v18, 2, v9
	v_cmp_ge_u32_e64 s15, v14, v24
	ds_load_b32 v18, v18
	s_waitcnt lgkmcnt(0)
	v_cndmask_b32_e64 v20, v18, v15, s10
	v_cndmask_b32_e64 v18, v16, v18, s10
	s_delay_alu instid0(VALU_DEP_2) | instskip(NEXT) | instid1(VALU_DEP_2)
	v_and_b32_e32 v21, v20, v84
	v_and_b32_e32 v25, v18, v84
	s_delay_alu instid0(VALU_DEP_1) | instskip(NEXT) | instid1(VALU_DEP_1)
	v_cmp_le_u32_e64 s14, v21, v25
	s_and_b32 s11, s11, s14
	s_delay_alu instid0(SALU_CYCLE_1) | instskip(NEXT) | instid1(SALU_CYCLE_1)
	s_or_b32 s11, s15, s11
	v_cndmask_b32_e64 v19, v14, v5, s11
	v_cndmask_b32_e64 v21, v24, v23, s11
	s_delay_alu instid0(VALU_DEP_2) | instskip(NEXT) | instid1(VALU_DEP_2)
	v_add_nc_u32_e32 v25, 1, v19
	v_add_nc_u32_e32 v21, -1, v21
	v_lshl_add_u32 v19, v19, 3, v8
	s_delay_alu instid0(VALU_DEP_3) | instskip(NEXT) | instid1(VALU_DEP_3)
	v_cndmask_b32_e64 v5, v5, v25, s11
	v_min_u32_e32 v21, v25, v21
	v_cndmask_b32_e64 v14, v25, v14, s11
	s_delay_alu instid0(VALU_DEP_3) | instskip(NEXT) | instid1(VALU_DEP_3)
	v_cmp_lt_u32_e64 s14, v5, v23
	v_lshl_add_u32 v21, v21, 2, v9
	s_delay_alu instid0(VALU_DEP_3) | instskip(SKIP_4) | instid1(VALU_DEP_2)
	v_cmp_ge_u32_e64 s16, v14, v24
	ds_load_b32 v21, v21
	s_waitcnt lgkmcnt(0)
	v_cndmask_b32_e64 v26, v21, v20, s11
	v_cndmask_b32_e64 v21, v18, v21, s11
	v_and_b32_e32 v27, v26, v84
	s_delay_alu instid0(VALU_DEP_2) | instskip(NEXT) | instid1(VALU_DEP_1)
	v_and_b32_e32 v28, v21, v84
	v_cmp_le_u32_e64 s15, v27, v28
	s_delay_alu instid0(VALU_DEP_1) | instskip(NEXT) | instid1(SALU_CYCLE_1)
	s_and_b32 s14, s14, s15
	s_or_b32 s14, s16, s14
	s_delay_alu instid0(SALU_CYCLE_1) | instskip(SKIP_2) | instid1(VALU_DEP_3)
	v_cndmask_b32_e64 v25, v14, v5, s14
	v_cndmask_b32_e64 v27, v24, v23, s14
	;; [unrolled: 1-line block ×3, first 2 shown]
	v_add_nc_u32_e32 v28, 1, v25
	s_delay_alu instid0(VALU_DEP_3) | instskip(NEXT) | instid1(VALU_DEP_2)
	v_add_nc_u32_e32 v27, -1, v27
	v_cndmask_b32_e64 v5, v5, v28, s14
	s_delay_alu instid0(VALU_DEP_2) | instskip(SKIP_1) | instid1(VALU_DEP_3)
	v_min_u32_e32 v27, v28, v27
	v_cndmask_b32_e64 v14, v28, v14, s14
	v_cmp_lt_u32_e64 s15, v5, v23
	s_delay_alu instid0(VALU_DEP_3) | instskip(NEXT) | instid1(VALU_DEP_3)
	v_lshl_add_u32 v27, v27, 2, v9
	v_cmp_ge_u32_e64 s17, v14, v24
	ds_load_b32 v27, v27
	s_waitcnt lgkmcnt(0)
	v_cndmask_b32_e64 v29, v27, v26, s14
	v_cndmask_b32_e64 v27, v21, v27, s14
	s_delay_alu instid0(VALU_DEP_2) | instskip(NEXT) | instid1(VALU_DEP_2)
	v_and_b32_e32 v30, v29, v84
	v_and_b32_e32 v31, v27, v84
	s_delay_alu instid0(VALU_DEP_1) | instskip(NEXT) | instid1(VALU_DEP_1)
	v_cmp_le_u32_e64 s16, v30, v31
	s_and_b32 s15, s15, s16
	s_delay_alu instid0(SALU_CYCLE_1) | instskip(NEXT) | instid1(SALU_CYCLE_1)
	s_or_b32 s15, s17, s15
	v_cndmask_b32_e64 v28, v14, v5, s15
	v_cndmask_b32_e64 v30, v24, v23, s15
	;; [unrolled: 1-line block ×3, first 2 shown]
	s_delay_alu instid0(VALU_DEP_3) | instskip(NEXT) | instid1(VALU_DEP_3)
	v_add_nc_u32_e32 v31, 1, v28
	v_add_nc_u32_e32 v30, -1, v30
	s_delay_alu instid0(VALU_DEP_2) | instskip(NEXT) | instid1(VALU_DEP_2)
	v_cndmask_b32_e64 v5, v5, v31, s15
	v_min_u32_e32 v30, v31, v30
	v_cndmask_b32_e64 v14, v31, v14, s15
	s_delay_alu instid0(VALU_DEP_3) | instskip(NEXT) | instid1(VALU_DEP_3)
	v_cmp_lt_u32_e64 s16, v5, v23
	v_lshl_add_u32 v30, v30, 2, v9
	s_delay_alu instid0(VALU_DEP_3) | instskip(SKIP_4) | instid1(VALU_DEP_2)
	v_cmp_ge_u32_e64 s18, v14, v24
	ds_load_b32 v30, v30
	s_waitcnt lgkmcnt(0)
	v_cndmask_b32_e64 v32, v30, v29, s15
	v_cndmask_b32_e64 v30, v27, v30, s15
	v_and_b32_e32 v33, v32, v84
	s_delay_alu instid0(VALU_DEP_2) | instskip(NEXT) | instid1(VALU_DEP_1)
	v_and_b32_e32 v34, v30, v84
	v_cmp_le_u32_e64 s17, v33, v34
	s_delay_alu instid0(VALU_DEP_1) | instskip(NEXT) | instid1(SALU_CYCLE_1)
	s_and_b32 s16, s16, s17
	s_or_b32 s16, s18, s16
	s_delay_alu instid0(SALU_CYCLE_1) | instskip(SKIP_1) | instid1(VALU_DEP_2)
	v_cndmask_b32_e64 v31, v14, v5, s16
	v_cndmask_b32_e64 v33, v24, v23, s16
	v_add_nc_u32_e32 v34, 1, v31
	s_delay_alu instid0(VALU_DEP_2) | instskip(NEXT) | instid1(VALU_DEP_2)
	v_add_nc_u32_e32 v33, -1, v33
	v_cndmask_b32_e64 v5, v5, v34, s16
	s_delay_alu instid0(VALU_DEP_2) | instskip(SKIP_1) | instid1(VALU_DEP_3)
	v_min_u32_e32 v33, v34, v33
	v_cndmask_b32_e64 v14, v34, v14, s16
	v_cmp_lt_u32_e64 s17, v5, v23
	s_delay_alu instid0(VALU_DEP_3) | instskip(NEXT) | instid1(VALU_DEP_3)
	v_lshl_add_u32 v33, v33, 2, v9
	v_cmp_ge_u32_e64 s19, v14, v24
	ds_load_b32 v33, v33
	s_waitcnt lgkmcnt(0)
	v_cndmask_b32_e64 v36, v33, v32, s16
	v_cndmask_b32_e64 v33, v30, v33, s16
	s_delay_alu instid0(VALU_DEP_2) | instskip(NEXT) | instid1(VALU_DEP_2)
	v_and_b32_e32 v35, v36, v84
	v_and_b32_e32 v37, v33, v84
	s_delay_alu instid0(VALU_DEP_1) | instskip(NEXT) | instid1(VALU_DEP_1)
	v_cmp_le_u32_e64 s18, v35, v37
	s_and_b32 s17, s17, s18
	s_delay_alu instid0(SALU_CYCLE_1) | instskip(NEXT) | instid1(SALU_CYCLE_1)
	s_or_b32 s17, s19, s17
	v_cndmask_b32_e64 v37, v14, v5, s17
	v_cndmask_b32_e64 v34, v24, v23, s17
	s_delay_alu instid0(VALU_DEP_2) | instskip(NEXT) | instid1(VALU_DEP_2)
	v_add_nc_u32_e32 v35, 1, v37
	v_add_nc_u32_e32 v34, -1, v34
	s_delay_alu instid0(VALU_DEP_2) | instskip(NEXT) | instid1(VALU_DEP_2)
	v_cndmask_b32_e64 v38, v5, v35, s17
	v_min_u32_e32 v34, v35, v34
	v_cndmask_b32_e64 v14, v35, v14, s17
	s_delay_alu instid0(VALU_DEP_3) | instskip(NEXT) | instid1(VALU_DEP_3)
	v_cmp_lt_u32_e64 s18, v38, v23
	v_lshl_add_u32 v34, v34, 2, v9
	s_delay_alu instid0(VALU_DEP_3)
	v_cmp_ge_u32_e64 s20, v14, v24
	v_lshl_add_u32 v23, v31, 3, v8
	v_lshl_add_u32 v24, v37, 3, v8
	ds_load_b32 v34, v34
	s_waitcnt lgkmcnt(0)
	v_cndmask_b32_e64 v68, v34, v36, s17
	v_cndmask_b32_e64 v69, v33, v34, s17
	s_delay_alu instid0(VALU_DEP_2) | instskip(NEXT) | instid1(VALU_DEP_2)
	v_and_b32_e32 v5, v68, v84
	v_and_b32_e32 v34, v69, v84
	s_delay_alu instid0(VALU_DEP_1)
	v_cmp_le_u32_e64 s19, v5, v34
	ds_load_b64 v[4:5], v4 offset:8192
	ds_load_b64 v[34:35], v17 offset:8192
	v_lshl_add_u32 v17, v25, 3, v8
	ds_load_b64 v[64:65], v19 offset:8192
	v_lshl_add_u32 v19, v28, 3, v8
	s_and_b32 s18, s18, s19
	s_delay_alu instid0(SALU_CYCLE_1) | instskip(NEXT) | instid1(SALU_CYCLE_1)
	s_or_b32 s18, s20, s18
	v_cndmask_b32_e64 v14, v14, v38, s18
	s_delay_alu instid0(VALU_DEP_1)
	v_lshl_add_u32 v14, v14, 3, v8
	ds_load_b64 v[52:53], v17 offset:8192
	ds_load_b64 v[66:67], v19 offset:8192
	;; [unrolled: 1-line block ×5, first 2 shown]
	v_cndmask_b32_e64 v14, v20, v18, s11
	v_cndmask_b32_e64 v17, v32, v30, s16
	;; [unrolled: 1-line block ×4, first 2 shown]
.LBB514_90:
	s_or_b32 exec_lo, exec_lo, s22
	v_and_b32_e32 v25, 0xe0, v82
	v_and_b32_e32 v23, 24, v82
	s_mov_b32 s10, exec_lo
	; wave barrier
	s_delay_alu instid0(VALU_DEP_2) | instskip(NEXT) | instid1(VALU_DEP_2)
	v_or_b32_e32 v20, 16, v25
	v_min_u32_e32 v26, v11, v23
	s_waitcnt lgkmcnt(6)
	ds_store_2addr_b64 v10, v[4:5], v[34:35] offset1:1
	s_waitcnt lgkmcnt(5)
	ds_store_2addr_b64 v10, v[64:65], v[52:53] offset0:2 offset1:3
	ds_store_2addr_b64 v22, v[12:13], v[14:15] offset1:1
	ds_store_2addr_b64 v22, v[16:17], v[18:19] offset0:2 offset1:3
	s_waitcnt lgkmcnt(6)
	ds_store_2addr_b64 v10, v[66:67], v[50:51] offset0:4 offset1:5
	s_waitcnt lgkmcnt(5)
	ds_store_2addr_b64 v10, v[48:49], v[38:39] offset0:6 offset1:7
	v_min_u32_e32 v20, v11, v20
	; wave barrier
	s_delay_alu instid0(VALU_DEP_1) | instskip(SKIP_1) | instid1(VALU_DEP_2)
	v_add_nc_u32_e32 v21, 16, v20
	v_sub_nc_u32_e32 v23, v20, v25
	v_min_u32_e32 v21, v11, v21
	s_delay_alu instid0(VALU_DEP_2) | instskip(NEXT) | instid1(VALU_DEP_2)
	v_min_u32_e32 v27, v26, v23
	v_sub_nc_u32_e32 v24, v21, v20
	s_delay_alu instid0(VALU_DEP_1) | instskip(SKIP_1) | instid1(VALU_DEP_2)
	v_sub_nc_u32_e64 v23, v26, v24 clamp
	v_lshl_add_u32 v24, v25, 2, v9
	v_cmpx_lt_u32_e64 v23, v27
	s_cbranch_execz .LBB514_94
; %bb.91:
	v_lshlrev_b32_e32 v28, 2, v20
	v_lshlrev_b32_e32 v29, 2, v26
	s_mov_b32 s11, 0
	s_delay_alu instid0(VALU_DEP_1)
	v_add3_u32 v28, v9, v28, v29
	.p2align	6
.LBB514_92:                             ; =>This Inner Loop Header: Depth=1
	v_add_nc_u32_e32 v29, v27, v23
	s_delay_alu instid0(VALU_DEP_1) | instskip(NEXT) | instid1(VALU_DEP_1)
	v_lshrrev_b32_e32 v29, 1, v29
	v_not_b32_e32 v30, v29
	v_lshl_add_u32 v31, v29, 2, v24
	v_add_nc_u32_e32 v32, 1, v29
	s_delay_alu instid0(VALU_DEP_3)
	v_lshl_add_u32 v30, v30, 2, v28
	ds_load_b32 v31, v31
	ds_load_b32 v30, v30
	s_waitcnt lgkmcnt(1)
	v_and_b32_e32 v31, v31, v84
	s_waitcnt lgkmcnt(0)
	v_and_b32_e32 v30, v30, v84
	s_delay_alu instid0(VALU_DEP_1) | instskip(NEXT) | instid1(VALU_DEP_1)
	v_cmp_gt_u32_e64 s7, v30, v31
	v_cndmask_b32_e64 v27, v27, v29, s7
	v_cndmask_b32_e64 v23, v32, v23, s7
	s_delay_alu instid0(VALU_DEP_1) | instskip(NEXT) | instid1(VALU_DEP_1)
	v_cmp_ge_u32_e64 s7, v23, v27
	s_or_b32 s11, s7, s11
	s_delay_alu instid0(SALU_CYCLE_1)
	s_and_not1_b32 exec_lo, exec_lo, s11
	s_cbranch_execnz .LBB514_92
; %bb.93:
	s_or_b32 exec_lo, exec_lo, s11
.LBB514_94:
	s_delay_alu instid0(SALU_CYCLE_1) | instskip(SKIP_2) | instid1(VALU_DEP_2)
	s_or_b32 exec_lo, exec_lo, s10
	v_add_nc_u32_e32 v27, v20, v26
	v_add_nc_u32_e32 v26, v23, v25
	v_sub_nc_u32_e32 v25, v27, v23
	s_delay_alu instid0(VALU_DEP_2) | instskip(NEXT) | instid1(VALU_DEP_2)
	v_cmp_le_u32_e64 s7, v26, v20
	v_cmp_le_u32_e64 s10, v25, v21
	s_delay_alu instid0(VALU_DEP_1) | instskip(NEXT) | instid1(SALU_CYCLE_1)
	s_or_b32 s7, s7, s10
	s_and_saveexec_b32 s22, s7
	s_cbranch_execz .LBB514_100
; %bb.95:
	v_cmp_lt_u32_e64 s7, v26, v20
                                        ; implicit-def: $vgpr12
	s_delay_alu instid0(VALU_DEP_1)
	s_and_saveexec_b32 s10, s7
	s_cbranch_execz .LBB514_97
; %bb.96:
	v_lshl_add_u32 v4, v23, 2, v24
	ds_load_b32 v12, v4
.LBB514_97:
	s_or_b32 exec_lo, exec_lo, s10
	v_cmp_ge_u32_e64 s10, v25, v21
	s_mov_b32 s14, exec_lo
                                        ; implicit-def: $vgpr13
	v_cmpx_lt_u32_e64 v25, v21
	s_cbranch_execz .LBB514_99
; %bb.98:
	v_lshl_add_u32 v4, v25, 2, v9
	ds_load_b32 v13, v4
.LBB514_99:
	s_or_b32 exec_lo, exec_lo, s14
	s_waitcnt lgkmcnt(0)
	v_and_b32_e32 v4, v13, v84
	v_and_b32_e32 v5, v12, v84
	s_delay_alu instid0(VALU_DEP_1) | instskip(NEXT) | instid1(VALU_DEP_1)
	v_cmp_le_u32_e64 s11, v4, v5
	s_and_b32 s7, s7, s11
	s_delay_alu instid0(SALU_CYCLE_1) | instskip(NEXT) | instid1(SALU_CYCLE_1)
	s_or_b32 s7, s10, s7
	v_cndmask_b32_e64 v4, v25, v26, s7
	v_cndmask_b32_e64 v5, v21, v20, s7
	s_delay_alu instid0(VALU_DEP_2) | instskip(NEXT) | instid1(VALU_DEP_2)
	v_add_nc_u32_e32 v14, 1, v4
	v_add_nc_u32_e32 v5, -1, v5
	v_lshl_add_u32 v4, v4, 3, v8
	s_delay_alu instid0(VALU_DEP_2) | instskip(NEXT) | instid1(VALU_DEP_1)
	v_min_u32_e32 v5, v14, v5
	v_lshl_add_u32 v5, v5, 2, v9
	ds_load_b32 v5, v5
	s_waitcnt lgkmcnt(0)
	v_cndmask_b32_e64 v15, v5, v13, s7
	v_cndmask_b32_e64 v16, v12, v5, s7
	v_cndmask_b32_e64 v5, v26, v14, s7
	v_cndmask_b32_e64 v14, v14, v25, s7
	v_cndmask_b32_e64 v12, v13, v12, s7
	v_and_b32_e32 v17, v15, v84
	v_and_b32_e32 v18, v16, v84
	v_cmp_lt_u32_e64 s10, v5, v20
	v_cmp_ge_u32_e64 s14, v14, v21
	s_delay_alu instid0(VALU_DEP_3) | instskip(NEXT) | instid1(VALU_DEP_1)
	v_cmp_le_u32_e64 s11, v17, v18
	s_and_b32 s10, s10, s11
	s_delay_alu instid0(VALU_DEP_2) | instid1(SALU_CYCLE_1)
	s_or_b32 s10, s14, s10
	s_delay_alu instid0(SALU_CYCLE_1) | instskip(SKIP_2) | instid1(VALU_DEP_3)
	v_cndmask_b32_e64 v17, v14, v5, s10
	v_cndmask_b32_e64 v18, v21, v20, s10
	;; [unrolled: 1-line block ×3, first 2 shown]
	v_add_nc_u32_e32 v19, 1, v17
	s_delay_alu instid0(VALU_DEP_3) | instskip(SKIP_1) | instid1(VALU_DEP_3)
	v_add_nc_u32_e32 v18, -1, v18
	v_lshl_add_u32 v17, v17, 3, v8
	v_cndmask_b32_e64 v5, v5, v19, s10
	s_delay_alu instid0(VALU_DEP_3) | instskip(SKIP_1) | instid1(VALU_DEP_3)
	v_min_u32_e32 v18, v19, v18
	v_cndmask_b32_e64 v14, v19, v14, s10
	v_cmp_lt_u32_e64 s11, v5, v20
	s_delay_alu instid0(VALU_DEP_3) | instskip(NEXT) | instid1(VALU_DEP_3)
	v_lshl_add_u32 v18, v18, 2, v9
	v_cmp_ge_u32_e64 s15, v14, v21
	ds_load_b32 v18, v18
	s_waitcnt lgkmcnt(0)
	v_cndmask_b32_e64 v23, v18, v15, s10
	v_cndmask_b32_e64 v18, v16, v18, s10
	s_delay_alu instid0(VALU_DEP_2) | instskip(NEXT) | instid1(VALU_DEP_2)
	v_and_b32_e32 v24, v23, v84
	v_and_b32_e32 v25, v18, v84
	s_delay_alu instid0(VALU_DEP_1) | instskip(NEXT) | instid1(VALU_DEP_1)
	v_cmp_le_u32_e64 s14, v24, v25
	s_and_b32 s11, s11, s14
	s_delay_alu instid0(SALU_CYCLE_1) | instskip(NEXT) | instid1(SALU_CYCLE_1)
	s_or_b32 s11, s15, s11
	v_cndmask_b32_e64 v19, v14, v5, s11
	v_cndmask_b32_e64 v24, v21, v20, s11
	s_delay_alu instid0(VALU_DEP_2) | instskip(NEXT) | instid1(VALU_DEP_2)
	v_add_nc_u32_e32 v25, 1, v19
	v_add_nc_u32_e32 v24, -1, v24
	v_lshl_add_u32 v19, v19, 3, v8
	s_delay_alu instid0(VALU_DEP_3) | instskip(NEXT) | instid1(VALU_DEP_3)
	v_cndmask_b32_e64 v5, v5, v25, s11
	v_min_u32_e32 v24, v25, v24
	v_cndmask_b32_e64 v14, v25, v14, s11
	s_delay_alu instid0(VALU_DEP_3) | instskip(NEXT) | instid1(VALU_DEP_3)
	v_cmp_lt_u32_e64 s14, v5, v20
	v_lshl_add_u32 v24, v24, 2, v9
	s_delay_alu instid0(VALU_DEP_3) | instskip(SKIP_4) | instid1(VALU_DEP_2)
	v_cmp_ge_u32_e64 s16, v14, v21
	ds_load_b32 v24, v24
	s_waitcnt lgkmcnt(0)
	v_cndmask_b32_e64 v26, v24, v23, s11
	v_cndmask_b32_e64 v24, v18, v24, s11
	v_and_b32_e32 v27, v26, v84
	s_delay_alu instid0(VALU_DEP_2) | instskip(NEXT) | instid1(VALU_DEP_1)
	v_and_b32_e32 v28, v24, v84
	v_cmp_le_u32_e64 s15, v27, v28
	s_delay_alu instid0(VALU_DEP_1) | instskip(NEXT) | instid1(SALU_CYCLE_1)
	s_and_b32 s14, s14, s15
	s_or_b32 s14, s16, s14
	s_delay_alu instid0(SALU_CYCLE_1) | instskip(SKIP_2) | instid1(VALU_DEP_3)
	v_cndmask_b32_e64 v25, v14, v5, s14
	v_cndmask_b32_e64 v27, v21, v20, s14
	;; [unrolled: 1-line block ×3, first 2 shown]
	v_add_nc_u32_e32 v28, 1, v25
	s_delay_alu instid0(VALU_DEP_3) | instskip(NEXT) | instid1(VALU_DEP_2)
	v_add_nc_u32_e32 v27, -1, v27
	v_cndmask_b32_e64 v5, v5, v28, s14
	s_delay_alu instid0(VALU_DEP_2) | instskip(SKIP_1) | instid1(VALU_DEP_3)
	v_min_u32_e32 v27, v28, v27
	v_cndmask_b32_e64 v14, v28, v14, s14
	v_cmp_lt_u32_e64 s15, v5, v20
	s_delay_alu instid0(VALU_DEP_3) | instskip(NEXT) | instid1(VALU_DEP_3)
	v_lshl_add_u32 v27, v27, 2, v9
	v_cmp_ge_u32_e64 s17, v14, v21
	ds_load_b32 v27, v27
	s_waitcnt lgkmcnt(0)
	v_cndmask_b32_e64 v29, v27, v26, s14
	v_cndmask_b32_e64 v27, v24, v27, s14
	s_delay_alu instid0(VALU_DEP_2) | instskip(NEXT) | instid1(VALU_DEP_2)
	v_and_b32_e32 v30, v29, v84
	v_and_b32_e32 v31, v27, v84
	s_delay_alu instid0(VALU_DEP_1) | instskip(NEXT) | instid1(VALU_DEP_1)
	v_cmp_le_u32_e64 s16, v30, v31
	s_and_b32 s15, s15, s16
	s_delay_alu instid0(SALU_CYCLE_1) | instskip(NEXT) | instid1(SALU_CYCLE_1)
	s_or_b32 s15, s17, s15
	v_cndmask_b32_e64 v28, v14, v5, s15
	v_cndmask_b32_e64 v30, v21, v20, s15
	;; [unrolled: 1-line block ×3, first 2 shown]
	s_delay_alu instid0(VALU_DEP_3) | instskip(NEXT) | instid1(VALU_DEP_3)
	v_add_nc_u32_e32 v31, 1, v28
	v_add_nc_u32_e32 v30, -1, v30
	s_delay_alu instid0(VALU_DEP_2) | instskip(NEXT) | instid1(VALU_DEP_2)
	v_cndmask_b32_e64 v5, v5, v31, s15
	v_min_u32_e32 v30, v31, v30
	v_cndmask_b32_e64 v14, v31, v14, s15
	s_delay_alu instid0(VALU_DEP_3) | instskip(NEXT) | instid1(VALU_DEP_3)
	v_cmp_lt_u32_e64 s16, v5, v20
	v_lshl_add_u32 v30, v30, 2, v9
	s_delay_alu instid0(VALU_DEP_3) | instskip(SKIP_4) | instid1(VALU_DEP_2)
	v_cmp_ge_u32_e64 s18, v14, v21
	ds_load_b32 v30, v30
	s_waitcnt lgkmcnt(0)
	v_cndmask_b32_e64 v32, v30, v29, s15
	v_cndmask_b32_e64 v30, v27, v30, s15
	v_and_b32_e32 v33, v32, v84
	s_delay_alu instid0(VALU_DEP_2) | instskip(NEXT) | instid1(VALU_DEP_1)
	v_and_b32_e32 v34, v30, v84
	v_cmp_le_u32_e64 s17, v33, v34
	s_delay_alu instid0(VALU_DEP_1) | instskip(NEXT) | instid1(SALU_CYCLE_1)
	s_and_b32 s16, s16, s17
	s_or_b32 s16, s18, s16
	s_delay_alu instid0(SALU_CYCLE_1) | instskip(SKIP_1) | instid1(VALU_DEP_2)
	v_cndmask_b32_e64 v31, v14, v5, s16
	v_cndmask_b32_e64 v33, v21, v20, s16
	v_add_nc_u32_e32 v34, 1, v31
	s_delay_alu instid0(VALU_DEP_2) | instskip(NEXT) | instid1(VALU_DEP_2)
	v_add_nc_u32_e32 v33, -1, v33
	v_cndmask_b32_e64 v5, v5, v34, s16
	s_delay_alu instid0(VALU_DEP_2) | instskip(SKIP_1) | instid1(VALU_DEP_3)
	v_min_u32_e32 v33, v34, v33
	v_cndmask_b32_e64 v14, v34, v14, s16
	v_cmp_lt_u32_e64 s17, v5, v20
	s_delay_alu instid0(VALU_DEP_3) | instskip(NEXT) | instid1(VALU_DEP_3)
	v_lshl_add_u32 v33, v33, 2, v9
	v_cmp_ge_u32_e64 s19, v14, v21
	ds_load_b32 v33, v33
	s_waitcnt lgkmcnt(0)
	v_cndmask_b32_e64 v36, v33, v32, s16
	v_cndmask_b32_e64 v33, v30, v33, s16
	s_delay_alu instid0(VALU_DEP_2) | instskip(NEXT) | instid1(VALU_DEP_2)
	v_and_b32_e32 v35, v36, v84
	v_and_b32_e32 v37, v33, v84
	s_delay_alu instid0(VALU_DEP_1) | instskip(NEXT) | instid1(VALU_DEP_1)
	v_cmp_le_u32_e64 s18, v35, v37
	s_and_b32 s17, s17, s18
	s_delay_alu instid0(SALU_CYCLE_1) | instskip(NEXT) | instid1(SALU_CYCLE_1)
	s_or_b32 s17, s19, s17
	v_cndmask_b32_e64 v37, v14, v5, s17
	v_cndmask_b32_e64 v34, v21, v20, s17
	s_delay_alu instid0(VALU_DEP_2) | instskip(NEXT) | instid1(VALU_DEP_2)
	v_add_nc_u32_e32 v35, 1, v37
	v_add_nc_u32_e32 v34, -1, v34
	s_delay_alu instid0(VALU_DEP_2) | instskip(NEXT) | instid1(VALU_DEP_2)
	v_cndmask_b32_e64 v38, v5, v35, s17
	v_min_u32_e32 v34, v35, v34
	v_cndmask_b32_e64 v14, v35, v14, s17
	s_delay_alu instid0(VALU_DEP_3) | instskip(NEXT) | instid1(VALU_DEP_3)
	v_cmp_lt_u32_e64 s18, v38, v20
	v_lshl_add_u32 v34, v34, 2, v9
	s_delay_alu instid0(VALU_DEP_3)
	v_cmp_ge_u32_e64 s20, v14, v21
	v_lshl_add_u32 v20, v31, 3, v8
	v_lshl_add_u32 v21, v37, 3, v8
	ds_load_b32 v34, v34
	s_waitcnt lgkmcnt(0)
	v_cndmask_b32_e64 v68, v34, v36, s17
	v_cndmask_b32_e64 v69, v33, v34, s17
	s_delay_alu instid0(VALU_DEP_2) | instskip(NEXT) | instid1(VALU_DEP_2)
	v_and_b32_e32 v5, v68, v84
	v_and_b32_e32 v34, v69, v84
	s_delay_alu instid0(VALU_DEP_1)
	v_cmp_le_u32_e64 s19, v5, v34
	ds_load_b64 v[4:5], v4 offset:8192
	ds_load_b64 v[34:35], v17 offset:8192
	v_lshl_add_u32 v17, v25, 3, v8
	ds_load_b64 v[64:65], v19 offset:8192
	v_lshl_add_u32 v19, v28, 3, v8
	s_and_b32 s18, s18, s19
	s_delay_alu instid0(SALU_CYCLE_1) | instskip(NEXT) | instid1(SALU_CYCLE_1)
	s_or_b32 s18, s20, s18
	v_cndmask_b32_e64 v14, v14, v38, s18
	s_delay_alu instid0(VALU_DEP_1)
	v_lshl_add_u32 v14, v14, 3, v8
	ds_load_b64 v[52:53], v17 offset:8192
	ds_load_b64 v[66:67], v19 offset:8192
	;; [unrolled: 1-line block ×5, first 2 shown]
	v_cndmask_b32_e64 v14, v23, v18, s11
	v_cndmask_b32_e64 v17, v32, v30, s16
	;; [unrolled: 1-line block ×4, first 2 shown]
.LBB514_100:
	s_or_b32 exec_lo, exec_lo, s22
	v_and_b32_e32 v25, 0xc0, v82
	v_and_b32_e32 v23, 56, v82
	s_mov_b32 s10, exec_lo
	; wave barrier
	s_delay_alu instid0(VALU_DEP_2) | instskip(NEXT) | instid1(VALU_DEP_2)
	v_or_b32_e32 v20, 32, v25
	v_min_u32_e32 v26, v11, v23
	s_waitcnt lgkmcnt(6)
	ds_store_2addr_b64 v10, v[4:5], v[34:35] offset1:1
	s_waitcnt lgkmcnt(5)
	ds_store_2addr_b64 v10, v[64:65], v[52:53] offset0:2 offset1:3
	ds_store_2addr_b64 v22, v[12:13], v[14:15] offset1:1
	ds_store_2addr_b64 v22, v[16:17], v[18:19] offset0:2 offset1:3
	s_waitcnt lgkmcnt(6)
	ds_store_2addr_b64 v10, v[66:67], v[50:51] offset0:4 offset1:5
	s_waitcnt lgkmcnt(5)
	ds_store_2addr_b64 v10, v[48:49], v[38:39] offset0:6 offset1:7
	v_min_u32_e32 v20, v11, v20
	; wave barrier
	s_delay_alu instid0(VALU_DEP_1) | instskip(SKIP_1) | instid1(VALU_DEP_2)
	v_add_nc_u32_e32 v21, 32, v20
	v_sub_nc_u32_e32 v23, v20, v25
	v_min_u32_e32 v21, v11, v21
	s_delay_alu instid0(VALU_DEP_2) | instskip(NEXT) | instid1(VALU_DEP_2)
	v_min_u32_e32 v27, v26, v23
	v_sub_nc_u32_e32 v24, v21, v20
	s_delay_alu instid0(VALU_DEP_1) | instskip(SKIP_1) | instid1(VALU_DEP_2)
	v_sub_nc_u32_e64 v23, v26, v24 clamp
	v_lshl_add_u32 v24, v25, 2, v9
	v_cmpx_lt_u32_e64 v23, v27
	s_cbranch_execz .LBB514_104
; %bb.101:
	v_lshlrev_b32_e32 v28, 2, v20
	v_lshlrev_b32_e32 v29, 2, v26
	s_mov_b32 s11, 0
	s_delay_alu instid0(VALU_DEP_1)
	v_add3_u32 v28, v9, v28, v29
	.p2align	6
.LBB514_102:                            ; =>This Inner Loop Header: Depth=1
	v_add_nc_u32_e32 v29, v27, v23
	s_delay_alu instid0(VALU_DEP_1) | instskip(NEXT) | instid1(VALU_DEP_1)
	v_lshrrev_b32_e32 v29, 1, v29
	v_not_b32_e32 v30, v29
	v_lshl_add_u32 v31, v29, 2, v24
	v_add_nc_u32_e32 v32, 1, v29
	s_delay_alu instid0(VALU_DEP_3)
	v_lshl_add_u32 v30, v30, 2, v28
	ds_load_b32 v31, v31
	ds_load_b32 v30, v30
	s_waitcnt lgkmcnt(1)
	v_and_b32_e32 v31, v31, v84
	s_waitcnt lgkmcnt(0)
	v_and_b32_e32 v30, v30, v84
	s_delay_alu instid0(VALU_DEP_1) | instskip(NEXT) | instid1(VALU_DEP_1)
	v_cmp_gt_u32_e64 s7, v30, v31
	v_cndmask_b32_e64 v27, v27, v29, s7
	v_cndmask_b32_e64 v23, v32, v23, s7
	s_delay_alu instid0(VALU_DEP_1) | instskip(NEXT) | instid1(VALU_DEP_1)
	v_cmp_ge_u32_e64 s7, v23, v27
	s_or_b32 s11, s7, s11
	s_delay_alu instid0(SALU_CYCLE_1)
	s_and_not1_b32 exec_lo, exec_lo, s11
	s_cbranch_execnz .LBB514_102
; %bb.103:
	s_or_b32 exec_lo, exec_lo, s11
.LBB514_104:
	s_delay_alu instid0(SALU_CYCLE_1) | instskip(SKIP_2) | instid1(VALU_DEP_2)
	s_or_b32 exec_lo, exec_lo, s10
	v_add_nc_u32_e32 v27, v20, v26
	v_add_nc_u32_e32 v26, v23, v25
	v_sub_nc_u32_e32 v25, v27, v23
	s_delay_alu instid0(VALU_DEP_2) | instskip(NEXT) | instid1(VALU_DEP_2)
	v_cmp_le_u32_e64 s7, v26, v20
	v_cmp_le_u32_e64 s10, v25, v21
	s_delay_alu instid0(VALU_DEP_1) | instskip(NEXT) | instid1(SALU_CYCLE_1)
	s_or_b32 s7, s7, s10
	s_and_saveexec_b32 s22, s7
	s_cbranch_execz .LBB514_110
; %bb.105:
	v_cmp_lt_u32_e64 s7, v26, v20
                                        ; implicit-def: $vgpr12
	s_delay_alu instid0(VALU_DEP_1)
	s_and_saveexec_b32 s10, s7
	s_cbranch_execz .LBB514_107
; %bb.106:
	v_lshl_add_u32 v4, v23, 2, v24
	ds_load_b32 v12, v4
.LBB514_107:
	s_or_b32 exec_lo, exec_lo, s10
	v_cmp_ge_u32_e64 s10, v25, v21
	s_mov_b32 s14, exec_lo
                                        ; implicit-def: $vgpr13
	v_cmpx_lt_u32_e64 v25, v21
	s_cbranch_execz .LBB514_109
; %bb.108:
	v_lshl_add_u32 v4, v25, 2, v9
	ds_load_b32 v13, v4
.LBB514_109:
	s_or_b32 exec_lo, exec_lo, s14
	s_waitcnt lgkmcnt(0)
	v_and_b32_e32 v4, v13, v84
	v_and_b32_e32 v5, v12, v84
	s_delay_alu instid0(VALU_DEP_1) | instskip(NEXT) | instid1(VALU_DEP_1)
	v_cmp_le_u32_e64 s11, v4, v5
	s_and_b32 s7, s7, s11
	s_delay_alu instid0(SALU_CYCLE_1) | instskip(NEXT) | instid1(SALU_CYCLE_1)
	s_or_b32 s7, s10, s7
	v_cndmask_b32_e64 v4, v25, v26, s7
	v_cndmask_b32_e64 v5, v21, v20, s7
	s_delay_alu instid0(VALU_DEP_2) | instskip(NEXT) | instid1(VALU_DEP_2)
	v_add_nc_u32_e32 v14, 1, v4
	v_add_nc_u32_e32 v5, -1, v5
	v_lshl_add_u32 v4, v4, 3, v8
	s_delay_alu instid0(VALU_DEP_2) | instskip(NEXT) | instid1(VALU_DEP_1)
	v_min_u32_e32 v5, v14, v5
	v_lshl_add_u32 v5, v5, 2, v9
	ds_load_b32 v5, v5
	s_waitcnt lgkmcnt(0)
	v_cndmask_b32_e64 v15, v5, v13, s7
	v_cndmask_b32_e64 v16, v12, v5, s7
	;; [unrolled: 1-line block ×5, first 2 shown]
	v_and_b32_e32 v17, v15, v84
	v_and_b32_e32 v18, v16, v84
	v_cmp_lt_u32_e64 s10, v5, v20
	v_cmp_ge_u32_e64 s14, v14, v21
	s_delay_alu instid0(VALU_DEP_3) | instskip(NEXT) | instid1(VALU_DEP_1)
	v_cmp_le_u32_e64 s11, v17, v18
	s_and_b32 s10, s10, s11
	s_delay_alu instid0(VALU_DEP_2) | instid1(SALU_CYCLE_1)
	s_or_b32 s10, s14, s10
	s_delay_alu instid0(SALU_CYCLE_1) | instskip(SKIP_2) | instid1(VALU_DEP_3)
	v_cndmask_b32_e64 v17, v14, v5, s10
	v_cndmask_b32_e64 v18, v21, v20, s10
	;; [unrolled: 1-line block ×3, first 2 shown]
	v_add_nc_u32_e32 v19, 1, v17
	s_delay_alu instid0(VALU_DEP_3) | instskip(SKIP_1) | instid1(VALU_DEP_3)
	v_add_nc_u32_e32 v18, -1, v18
	v_lshl_add_u32 v17, v17, 3, v8
	v_cndmask_b32_e64 v5, v5, v19, s10
	s_delay_alu instid0(VALU_DEP_3) | instskip(SKIP_1) | instid1(VALU_DEP_3)
	v_min_u32_e32 v18, v19, v18
	v_cndmask_b32_e64 v14, v19, v14, s10
	v_cmp_lt_u32_e64 s11, v5, v20
	s_delay_alu instid0(VALU_DEP_3) | instskip(NEXT) | instid1(VALU_DEP_3)
	v_lshl_add_u32 v18, v18, 2, v9
	v_cmp_ge_u32_e64 s15, v14, v21
	ds_load_b32 v18, v18
	s_waitcnt lgkmcnt(0)
	v_cndmask_b32_e64 v23, v18, v15, s10
	v_cndmask_b32_e64 v18, v16, v18, s10
	s_delay_alu instid0(VALU_DEP_2) | instskip(NEXT) | instid1(VALU_DEP_2)
	v_and_b32_e32 v24, v23, v84
	v_and_b32_e32 v25, v18, v84
	s_delay_alu instid0(VALU_DEP_1) | instskip(NEXT) | instid1(VALU_DEP_1)
	v_cmp_le_u32_e64 s14, v24, v25
	s_and_b32 s11, s11, s14
	s_delay_alu instid0(SALU_CYCLE_1) | instskip(NEXT) | instid1(SALU_CYCLE_1)
	s_or_b32 s11, s15, s11
	v_cndmask_b32_e64 v19, v14, v5, s11
	v_cndmask_b32_e64 v24, v21, v20, s11
	s_delay_alu instid0(VALU_DEP_2) | instskip(NEXT) | instid1(VALU_DEP_2)
	v_add_nc_u32_e32 v25, 1, v19
	v_add_nc_u32_e32 v24, -1, v24
	v_lshl_add_u32 v19, v19, 3, v8
	s_delay_alu instid0(VALU_DEP_3) | instskip(NEXT) | instid1(VALU_DEP_3)
	v_cndmask_b32_e64 v5, v5, v25, s11
	v_min_u32_e32 v24, v25, v24
	v_cndmask_b32_e64 v14, v25, v14, s11
	s_delay_alu instid0(VALU_DEP_3) | instskip(NEXT) | instid1(VALU_DEP_3)
	v_cmp_lt_u32_e64 s14, v5, v20
	v_lshl_add_u32 v24, v24, 2, v9
	s_delay_alu instid0(VALU_DEP_3) | instskip(SKIP_4) | instid1(VALU_DEP_2)
	v_cmp_ge_u32_e64 s16, v14, v21
	ds_load_b32 v24, v24
	s_waitcnt lgkmcnt(0)
	v_cndmask_b32_e64 v26, v24, v23, s11
	v_cndmask_b32_e64 v24, v18, v24, s11
	v_and_b32_e32 v27, v26, v84
	s_delay_alu instid0(VALU_DEP_2) | instskip(NEXT) | instid1(VALU_DEP_1)
	v_and_b32_e32 v28, v24, v84
	v_cmp_le_u32_e64 s15, v27, v28
	s_delay_alu instid0(VALU_DEP_1) | instskip(NEXT) | instid1(SALU_CYCLE_1)
	s_and_b32 s14, s14, s15
	s_or_b32 s14, s16, s14
	s_delay_alu instid0(SALU_CYCLE_1) | instskip(SKIP_2) | instid1(VALU_DEP_3)
	v_cndmask_b32_e64 v25, v14, v5, s14
	v_cndmask_b32_e64 v27, v21, v20, s14
	;; [unrolled: 1-line block ×3, first 2 shown]
	v_add_nc_u32_e32 v28, 1, v25
	s_delay_alu instid0(VALU_DEP_3) | instskip(NEXT) | instid1(VALU_DEP_2)
	v_add_nc_u32_e32 v27, -1, v27
	v_cndmask_b32_e64 v5, v5, v28, s14
	s_delay_alu instid0(VALU_DEP_2) | instskip(SKIP_1) | instid1(VALU_DEP_3)
	v_min_u32_e32 v27, v28, v27
	v_cndmask_b32_e64 v14, v28, v14, s14
	v_cmp_lt_u32_e64 s15, v5, v20
	s_delay_alu instid0(VALU_DEP_3) | instskip(NEXT) | instid1(VALU_DEP_3)
	v_lshl_add_u32 v27, v27, 2, v9
	v_cmp_ge_u32_e64 s17, v14, v21
	ds_load_b32 v27, v27
	s_waitcnt lgkmcnt(0)
	v_cndmask_b32_e64 v29, v27, v26, s14
	v_cndmask_b32_e64 v27, v24, v27, s14
	s_delay_alu instid0(VALU_DEP_2) | instskip(NEXT) | instid1(VALU_DEP_2)
	v_and_b32_e32 v30, v29, v84
	v_and_b32_e32 v31, v27, v84
	s_delay_alu instid0(VALU_DEP_1) | instskip(NEXT) | instid1(VALU_DEP_1)
	v_cmp_le_u32_e64 s16, v30, v31
	s_and_b32 s15, s15, s16
	s_delay_alu instid0(SALU_CYCLE_1) | instskip(NEXT) | instid1(SALU_CYCLE_1)
	s_or_b32 s15, s17, s15
	v_cndmask_b32_e64 v28, v14, v5, s15
	v_cndmask_b32_e64 v30, v21, v20, s15
	;; [unrolled: 1-line block ×3, first 2 shown]
	s_delay_alu instid0(VALU_DEP_3) | instskip(NEXT) | instid1(VALU_DEP_3)
	v_add_nc_u32_e32 v31, 1, v28
	v_add_nc_u32_e32 v30, -1, v30
	s_delay_alu instid0(VALU_DEP_2) | instskip(NEXT) | instid1(VALU_DEP_2)
	v_cndmask_b32_e64 v5, v5, v31, s15
	v_min_u32_e32 v30, v31, v30
	v_cndmask_b32_e64 v14, v31, v14, s15
	s_delay_alu instid0(VALU_DEP_3) | instskip(NEXT) | instid1(VALU_DEP_3)
	v_cmp_lt_u32_e64 s16, v5, v20
	v_lshl_add_u32 v30, v30, 2, v9
	s_delay_alu instid0(VALU_DEP_3) | instskip(SKIP_4) | instid1(VALU_DEP_2)
	v_cmp_ge_u32_e64 s18, v14, v21
	ds_load_b32 v30, v30
	s_waitcnt lgkmcnt(0)
	v_cndmask_b32_e64 v32, v30, v29, s15
	v_cndmask_b32_e64 v30, v27, v30, s15
	v_and_b32_e32 v33, v32, v84
	s_delay_alu instid0(VALU_DEP_2) | instskip(NEXT) | instid1(VALU_DEP_1)
	v_and_b32_e32 v34, v30, v84
	v_cmp_le_u32_e64 s17, v33, v34
	s_delay_alu instid0(VALU_DEP_1) | instskip(NEXT) | instid1(SALU_CYCLE_1)
	s_and_b32 s16, s16, s17
	s_or_b32 s16, s18, s16
	s_delay_alu instid0(SALU_CYCLE_1) | instskip(SKIP_1) | instid1(VALU_DEP_2)
	v_cndmask_b32_e64 v31, v14, v5, s16
	v_cndmask_b32_e64 v33, v21, v20, s16
	v_add_nc_u32_e32 v34, 1, v31
	s_delay_alu instid0(VALU_DEP_2) | instskip(NEXT) | instid1(VALU_DEP_2)
	v_add_nc_u32_e32 v33, -1, v33
	v_cndmask_b32_e64 v5, v5, v34, s16
	s_delay_alu instid0(VALU_DEP_2) | instskip(SKIP_1) | instid1(VALU_DEP_3)
	v_min_u32_e32 v33, v34, v33
	v_cndmask_b32_e64 v14, v34, v14, s16
	v_cmp_lt_u32_e64 s17, v5, v20
	s_delay_alu instid0(VALU_DEP_3) | instskip(NEXT) | instid1(VALU_DEP_3)
	v_lshl_add_u32 v33, v33, 2, v9
	v_cmp_ge_u32_e64 s19, v14, v21
	ds_load_b32 v33, v33
	s_waitcnt lgkmcnt(0)
	v_cndmask_b32_e64 v36, v33, v32, s16
	v_cndmask_b32_e64 v33, v30, v33, s16
	s_delay_alu instid0(VALU_DEP_2) | instskip(NEXT) | instid1(VALU_DEP_2)
	v_and_b32_e32 v35, v36, v84
	v_and_b32_e32 v37, v33, v84
	s_delay_alu instid0(VALU_DEP_1) | instskip(NEXT) | instid1(VALU_DEP_1)
	v_cmp_le_u32_e64 s18, v35, v37
	s_and_b32 s17, s17, s18
	s_delay_alu instid0(SALU_CYCLE_1) | instskip(NEXT) | instid1(SALU_CYCLE_1)
	s_or_b32 s17, s19, s17
	v_cndmask_b32_e64 v37, v14, v5, s17
	v_cndmask_b32_e64 v34, v21, v20, s17
	s_delay_alu instid0(VALU_DEP_2) | instskip(NEXT) | instid1(VALU_DEP_2)
	v_add_nc_u32_e32 v35, 1, v37
	v_add_nc_u32_e32 v34, -1, v34
	s_delay_alu instid0(VALU_DEP_2) | instskip(NEXT) | instid1(VALU_DEP_2)
	v_cndmask_b32_e64 v38, v5, v35, s17
	v_min_u32_e32 v34, v35, v34
	v_cndmask_b32_e64 v14, v35, v14, s17
	s_delay_alu instid0(VALU_DEP_3) | instskip(NEXT) | instid1(VALU_DEP_3)
	v_cmp_lt_u32_e64 s18, v38, v20
	v_lshl_add_u32 v34, v34, 2, v9
	s_delay_alu instid0(VALU_DEP_3)
	v_cmp_ge_u32_e64 s20, v14, v21
	v_lshl_add_u32 v20, v31, 3, v8
	v_lshl_add_u32 v21, v37, 3, v8
	ds_load_b32 v34, v34
	s_waitcnt lgkmcnt(0)
	v_cndmask_b32_e64 v68, v34, v36, s17
	v_cndmask_b32_e64 v69, v33, v34, s17
	s_delay_alu instid0(VALU_DEP_2) | instskip(NEXT) | instid1(VALU_DEP_2)
	v_and_b32_e32 v5, v68, v84
	v_and_b32_e32 v34, v69, v84
	s_delay_alu instid0(VALU_DEP_1)
	v_cmp_le_u32_e64 s19, v5, v34
	ds_load_b64 v[4:5], v4 offset:8192
	ds_load_b64 v[34:35], v17 offset:8192
	v_lshl_add_u32 v17, v25, 3, v8
	ds_load_b64 v[64:65], v19 offset:8192
	v_lshl_add_u32 v19, v28, 3, v8
	s_and_b32 s18, s18, s19
	s_delay_alu instid0(SALU_CYCLE_1) | instskip(NEXT) | instid1(SALU_CYCLE_1)
	s_or_b32 s18, s20, s18
	v_cndmask_b32_e64 v14, v14, v38, s18
	s_delay_alu instid0(VALU_DEP_1)
	v_lshl_add_u32 v14, v14, 3, v8
	ds_load_b64 v[52:53], v17 offset:8192
	ds_load_b64 v[66:67], v19 offset:8192
	;; [unrolled: 1-line block ×5, first 2 shown]
	v_cndmask_b32_e64 v14, v23, v18, s11
	v_cndmask_b32_e64 v17, v32, v30, s16
	;; [unrolled: 1-line block ×4, first 2 shown]
.LBB514_110:
	s_or_b32 exec_lo, exec_lo, s22
	v_and_b32_e32 v23, 0x80, v82
	v_min_u32_e32 v24, v11, v83
	; wave barrier
	s_waitcnt lgkmcnt(6)
	ds_store_2addr_b64 v10, v[4:5], v[34:35] offset1:1
	s_waitcnt lgkmcnt(5)
	ds_store_2addr_b64 v10, v[64:65], v[52:53] offset0:2 offset1:3
	ds_store_2addr_b64 v22, v[12:13], v[14:15] offset1:1
	ds_store_2addr_b64 v22, v[16:17], v[18:19] offset0:2 offset1:3
	v_or_b32_e32 v20, 64, v23
	v_lshl_add_u32 v22, v23, 2, v9
	s_mov_b32 s10, exec_lo
	s_waitcnt lgkmcnt(6)
	ds_store_2addr_b64 v10, v[66:67], v[50:51] offset0:4 offset1:5
	s_waitcnt lgkmcnt(5)
	ds_store_2addr_b64 v10, v[48:49], v[38:39] offset0:6 offset1:7
	v_min_u32_e32 v21, v11, v20
	; wave barrier
	s_delay_alu instid0(VALU_DEP_1) | instskip(NEXT) | instid1(VALU_DEP_1)
	v_add_nc_u32_e32 v20, 64, v21
	v_min_u32_e32 v20, v11, v20
	v_sub_nc_u32_e32 v11, v21, v23
	s_delay_alu instid0(VALU_DEP_2) | instskip(NEXT) | instid1(VALU_DEP_2)
	v_sub_nc_u32_e32 v26, v20, v21
	v_min_u32_e32 v25, v24, v11
	s_delay_alu instid0(VALU_DEP_2) | instskip(NEXT) | instid1(VALU_DEP_1)
	v_sub_nc_u32_e64 v11, v24, v26 clamp
	v_cmpx_lt_u32_e64 v11, v25
	s_cbranch_execz .LBB514_114
; %bb.111:
	v_lshlrev_b32_e32 v10, 2, v21
	v_lshlrev_b32_e32 v26, 2, v24
	s_mov_b32 s11, 0
	s_delay_alu instid0(VALU_DEP_1)
	v_add3_u32 v10, v9, v10, v26
	.p2align	6
.LBB514_112:                            ; =>This Inner Loop Header: Depth=1
	v_add_nc_u32_e32 v26, v25, v11
	s_delay_alu instid0(VALU_DEP_1) | instskip(NEXT) | instid1(VALU_DEP_1)
	v_lshrrev_b32_e32 v26, 1, v26
	v_not_b32_e32 v27, v26
	v_lshl_add_u32 v28, v26, 2, v22
	v_add_nc_u32_e32 v29, 1, v26
	s_delay_alu instid0(VALU_DEP_3)
	v_lshl_add_u32 v27, v27, 2, v10
	ds_load_b32 v28, v28
	ds_load_b32 v27, v27
	s_waitcnt lgkmcnt(1)
	v_and_b32_e32 v28, v28, v84
	s_waitcnt lgkmcnt(0)
	v_and_b32_e32 v27, v27, v84
	s_delay_alu instid0(VALU_DEP_1) | instskip(NEXT) | instid1(VALU_DEP_1)
	v_cmp_gt_u32_e64 s7, v27, v28
	v_cndmask_b32_e64 v25, v25, v26, s7
	v_cndmask_b32_e64 v11, v29, v11, s7
	s_delay_alu instid0(VALU_DEP_1) | instskip(NEXT) | instid1(VALU_DEP_1)
	v_cmp_ge_u32_e64 s7, v11, v25
	s_or_b32 s11, s7, s11
	s_delay_alu instid0(SALU_CYCLE_1)
	s_and_not1_b32 exec_lo, exec_lo, s11
	s_cbranch_execnz .LBB514_112
; %bb.113:
	s_or_b32 exec_lo, exec_lo, s11
.LBB514_114:
	s_delay_alu instid0(SALU_CYCLE_1) | instskip(SKIP_2) | instid1(VALU_DEP_2)
	s_or_b32 exec_lo, exec_lo, s10
	v_add_nc_u32_e32 v10, v21, v24
	v_add_nc_u32_e32 v24, v11, v23
	v_sub_nc_u32_e32 v23, v10, v11
	s_delay_alu instid0(VALU_DEP_2) | instskip(NEXT) | instid1(VALU_DEP_2)
	v_cmp_le_u32_e64 s7, v24, v21
	v_cmp_le_u32_e64 s10, v23, v20
	s_delay_alu instid0(VALU_DEP_1) | instskip(NEXT) | instid1(SALU_CYCLE_1)
	s_or_b32 s7, s7, s10
	s_and_saveexec_b32 s22, s7
	s_cbranch_execz .LBB514_120
; %bb.115:
	v_cmp_lt_u32_e64 s7, v24, v21
                                        ; implicit-def: $vgpr10
	s_delay_alu instid0(VALU_DEP_1)
	s_and_saveexec_b32 s10, s7
	s_cbranch_execz .LBB514_117
; %bb.116:
	v_lshl_add_u32 v4, v11, 2, v22
	ds_load_b32 v10, v4
.LBB514_117:
	s_or_b32 exec_lo, exec_lo, s10
	v_cmp_ge_u32_e64 s10, v23, v20
	s_mov_b32 s14, exec_lo
                                        ; implicit-def: $vgpr11
	v_cmpx_lt_u32_e64 v23, v20
	s_cbranch_execz .LBB514_119
; %bb.118:
	v_lshl_add_u32 v4, v23, 2, v9
	ds_load_b32 v11, v4
.LBB514_119:
	s_or_b32 exec_lo, exec_lo, s14
	s_waitcnt lgkmcnt(0)
	v_and_b32_e32 v4, v11, v84
	v_and_b32_e32 v5, v10, v84
	s_delay_alu instid0(VALU_DEP_1) | instskip(NEXT) | instid1(VALU_DEP_1)
	v_cmp_le_u32_e64 s11, v4, v5
	s_and_b32 s7, s7, s11
	s_delay_alu instid0(SALU_CYCLE_1) | instskip(NEXT) | instid1(SALU_CYCLE_1)
	s_or_b32 s7, s10, s7
	v_cndmask_b32_e64 v4, v23, v24, s7
	v_cndmask_b32_e64 v5, v20, v21, s7
	s_delay_alu instid0(VALU_DEP_2) | instskip(NEXT) | instid1(VALU_DEP_2)
	v_add_nc_u32_e32 v12, 1, v4
	v_add_nc_u32_e32 v5, -1, v5
	v_lshl_add_u32 v4, v4, 3, v8
	s_delay_alu instid0(VALU_DEP_2) | instskip(NEXT) | instid1(VALU_DEP_1)
	v_min_u32_e32 v5, v12, v5
	v_lshl_add_u32 v5, v5, 2, v9
	ds_load_b32 v5, v5
	s_waitcnt lgkmcnt(0)
	v_cndmask_b32_e64 v13, v5, v11, s7
	v_cndmask_b32_e64 v14, v10, v5, s7
	v_cndmask_b32_e64 v5, v24, v12, s7
	v_cndmask_b32_e64 v12, v12, v23, s7
	s_delay_alu instid0(VALU_DEP_4) | instskip(NEXT) | instid1(VALU_DEP_4)
	v_and_b32_e32 v15, v13, v84
	v_and_b32_e32 v16, v14, v84
	s_delay_alu instid0(VALU_DEP_4) | instskip(NEXT) | instid1(VALU_DEP_4)
	v_cmp_lt_u32_e64 s10, v5, v21
	v_cmp_ge_u32_e64 s14, v12, v20
	s_delay_alu instid0(VALU_DEP_3) | instskip(NEXT) | instid1(VALU_DEP_1)
	v_cmp_le_u32_e64 s11, v15, v16
	s_and_b32 s10, s10, s11
	s_delay_alu instid0(VALU_DEP_2) | instid1(SALU_CYCLE_1)
	s_or_b32 s10, s14, s10
	s_delay_alu instid0(SALU_CYCLE_1) | instskip(SKIP_1) | instid1(VALU_DEP_2)
	v_cndmask_b32_e64 v15, v12, v5, s10
	v_cndmask_b32_e64 v16, v20, v21, s10
	v_add_nc_u32_e32 v17, 1, v15
	s_delay_alu instid0(VALU_DEP_2) | instskip(SKIP_1) | instid1(VALU_DEP_3)
	v_add_nc_u32_e32 v16, -1, v16
	v_lshl_add_u32 v15, v15, 3, v8
	v_cndmask_b32_e64 v5, v5, v17, s10
	s_delay_alu instid0(VALU_DEP_3) | instskip(SKIP_1) | instid1(VALU_DEP_3)
	v_min_u32_e32 v16, v17, v16
	v_cndmask_b32_e64 v12, v17, v12, s10
	v_cmp_lt_u32_e64 s11, v5, v21
	s_delay_alu instid0(VALU_DEP_3) | instskip(NEXT) | instid1(VALU_DEP_3)
	v_lshl_add_u32 v16, v16, 2, v9
	v_cmp_ge_u32_e64 s15, v12, v20
	ds_load_b32 v16, v16
	s_waitcnt lgkmcnt(0)
	v_cndmask_b32_e64 v18, v16, v13, s10
	v_cndmask_b32_e64 v16, v14, v16, s10
	v_cndmask_b32_e64 v13, v13, v14, s10
	s_delay_alu instid0(VALU_DEP_3) | instskip(NEXT) | instid1(VALU_DEP_3)
	v_and_b32_e32 v19, v18, v84
	v_and_b32_e32 v22, v16, v84
	s_delay_alu instid0(VALU_DEP_1) | instskip(NEXT) | instid1(VALU_DEP_1)
	v_cmp_le_u32_e64 s14, v19, v22
	s_and_b32 s11, s11, s14
	s_delay_alu instid0(SALU_CYCLE_1) | instskip(NEXT) | instid1(SALU_CYCLE_1)
	s_or_b32 s11, s15, s11
	v_cndmask_b32_e64 v17, v12, v5, s11
	v_cndmask_b32_e64 v19, v20, v21, s11
	;; [unrolled: 1-line block ×3, first 2 shown]
	s_delay_alu instid0(VALU_DEP_3) | instskip(NEXT) | instid1(VALU_DEP_3)
	v_add_nc_u32_e32 v22, 1, v17
	v_add_nc_u32_e32 v19, -1, v19
	v_lshl_add_u32 v17, v17, 3, v8
	s_delay_alu instid0(VALU_DEP_3) | instskip(NEXT) | instid1(VALU_DEP_3)
	v_cndmask_b32_e64 v5, v5, v22, s11
	v_min_u32_e32 v19, v22, v19
	v_cndmask_b32_e64 v12, v22, v12, s11
	s_delay_alu instid0(VALU_DEP_3) | instskip(NEXT) | instid1(VALU_DEP_3)
	v_cmp_lt_u32_e64 s14, v5, v21
	v_lshl_add_u32 v19, v19, 2, v9
	s_delay_alu instid0(VALU_DEP_3) | instskip(SKIP_4) | instid1(VALU_DEP_2)
	v_cmp_ge_u32_e64 s16, v12, v20
	ds_load_b32 v19, v19
	s_waitcnt lgkmcnt(0)
	v_cndmask_b32_e64 v23, v19, v18, s11
	v_cndmask_b32_e64 v19, v16, v19, s11
	v_and_b32_e32 v24, v23, v84
	s_delay_alu instid0(VALU_DEP_2) | instskip(NEXT) | instid1(VALU_DEP_1)
	v_and_b32_e32 v25, v19, v84
	v_cmp_le_u32_e64 s15, v24, v25
	s_delay_alu instid0(VALU_DEP_1) | instskip(NEXT) | instid1(SALU_CYCLE_1)
	s_and_b32 s14, s14, s15
	s_or_b32 s14, s16, s14
	s_delay_alu instid0(SALU_CYCLE_1) | instskip(SKIP_1) | instid1(VALU_DEP_2)
	v_cndmask_b32_e64 v22, v12, v5, s14
	v_cndmask_b32_e64 v24, v20, v21, s14
	v_add_nc_u32_e32 v25, 1, v22
	s_delay_alu instid0(VALU_DEP_2) | instskip(NEXT) | instid1(VALU_DEP_2)
	v_add_nc_u32_e32 v24, -1, v24
	v_cndmask_b32_e64 v5, v5, v25, s14
	s_delay_alu instid0(VALU_DEP_2) | instskip(SKIP_1) | instid1(VALU_DEP_3)
	v_min_u32_e32 v24, v25, v24
	v_cndmask_b32_e64 v12, v25, v12, s14
	v_cmp_lt_u32_e64 s15, v5, v21
	s_delay_alu instid0(VALU_DEP_3) | instskip(NEXT) | instid1(VALU_DEP_3)
	v_lshl_add_u32 v24, v24, 2, v9
	v_cmp_ge_u32_e64 s17, v12, v20
	ds_load_b32 v24, v24
	s_waitcnt lgkmcnt(0)
	v_cndmask_b32_e64 v26, v24, v23, s14
	v_cndmask_b32_e64 v24, v19, v24, s14
	s_delay_alu instid0(VALU_DEP_2) | instskip(NEXT) | instid1(VALU_DEP_2)
	v_and_b32_e32 v27, v26, v84
	v_and_b32_e32 v28, v24, v84
	s_delay_alu instid0(VALU_DEP_1) | instskip(NEXT) | instid1(VALU_DEP_1)
	v_cmp_le_u32_e64 s16, v27, v28
	s_and_b32 s15, s15, s16
	s_delay_alu instid0(SALU_CYCLE_1) | instskip(NEXT) | instid1(SALU_CYCLE_1)
	s_or_b32 s15, s17, s15
	v_cndmask_b32_e64 v25, v12, v5, s15
	v_cndmask_b32_e64 v27, v20, v21, s15
	;; [unrolled: 1-line block ×3, first 2 shown]
	s_delay_alu instid0(VALU_DEP_3) | instskip(NEXT) | instid1(VALU_DEP_3)
	v_add_nc_u32_e32 v28, 1, v25
	v_add_nc_u32_e32 v27, -1, v27
	s_delay_alu instid0(VALU_DEP_2) | instskip(NEXT) | instid1(VALU_DEP_2)
	v_cndmask_b32_e64 v5, v5, v28, s15
	v_min_u32_e32 v27, v28, v27
	v_cndmask_b32_e64 v12, v28, v12, s15
	s_delay_alu instid0(VALU_DEP_3) | instskip(NEXT) | instid1(VALU_DEP_3)
	v_cmp_lt_u32_e64 s16, v5, v21
	v_lshl_add_u32 v27, v27, 2, v9
	s_delay_alu instid0(VALU_DEP_3) | instskip(SKIP_4) | instid1(VALU_DEP_2)
	v_cmp_ge_u32_e64 s18, v12, v20
	ds_load_b32 v27, v27
	s_waitcnt lgkmcnt(0)
	v_cndmask_b32_e64 v29, v27, v26, s15
	v_cndmask_b32_e64 v27, v24, v27, s15
	v_and_b32_e32 v30, v29, v84
	s_delay_alu instid0(VALU_DEP_2) | instskip(NEXT) | instid1(VALU_DEP_1)
	v_and_b32_e32 v31, v27, v84
	v_cmp_le_u32_e64 s17, v30, v31
	s_delay_alu instid0(VALU_DEP_1) | instskip(NEXT) | instid1(SALU_CYCLE_1)
	s_and_b32 s16, s16, s17
	s_or_b32 s16, s18, s16
	s_delay_alu instid0(SALU_CYCLE_1) | instskip(SKIP_1) | instid1(VALU_DEP_2)
	v_cndmask_b32_e64 v28, v12, v5, s16
	v_cndmask_b32_e64 v30, v20, v21, s16
	v_add_nc_u32_e32 v31, 1, v28
	s_delay_alu instid0(VALU_DEP_2) | instskip(NEXT) | instid1(VALU_DEP_2)
	v_add_nc_u32_e32 v30, -1, v30
	v_cndmask_b32_e64 v5, v5, v31, s16
	s_delay_alu instid0(VALU_DEP_2) | instskip(SKIP_1) | instid1(VALU_DEP_3)
	v_min_u32_e32 v30, v31, v30
	v_cndmask_b32_e64 v12, v31, v12, s16
	v_cmp_lt_u32_e64 s17, v5, v21
	s_delay_alu instid0(VALU_DEP_3) | instskip(NEXT) | instid1(VALU_DEP_3)
	v_lshl_add_u32 v30, v30, 2, v9
	v_cmp_ge_u32_e64 s19, v12, v20
	ds_load_b32 v30, v30
	s_waitcnt lgkmcnt(0)
	v_cndmask_b32_e64 v32, v30, v29, s16
	v_cndmask_b32_e64 v30, v27, v30, s16
	s_delay_alu instid0(VALU_DEP_2) | instskip(NEXT) | instid1(VALU_DEP_2)
	v_and_b32_e32 v33, v32, v84
	v_and_b32_e32 v34, v30, v84
	s_delay_alu instid0(VALU_DEP_1) | instskip(NEXT) | instid1(VALU_DEP_1)
	v_cmp_le_u32_e64 s18, v33, v34
	s_and_b32 s17, s17, s18
	s_delay_alu instid0(SALU_CYCLE_1) | instskip(NEXT) | instid1(SALU_CYCLE_1)
	s_or_b32 s17, s19, s17
	v_cndmask_b32_e64 v31, v12, v5, s17
	v_cndmask_b32_e64 v33, v20, v21, s17
	;; [unrolled: 1-line block ×3, first 2 shown]
	s_delay_alu instid0(VALU_DEP_3) | instskip(NEXT) | instid1(VALU_DEP_3)
	v_add_nc_u32_e32 v34, 1, v31
	v_add_nc_u32_e32 v33, -1, v33
	s_delay_alu instid0(VALU_DEP_2) | instskip(NEXT) | instid1(VALU_DEP_2)
	v_cndmask_b32_e64 v36, v5, v34, s17
	v_min_u32_e32 v33, v34, v33
	v_cndmask_b32_e64 v12, v34, v12, s17
	s_delay_alu instid0(VALU_DEP_3) | instskip(NEXT) | instid1(VALU_DEP_3)
	v_cmp_lt_u32_e64 s18, v36, v21
	v_lshl_add_u32 v9, v33, 2, v9
	s_delay_alu instid0(VALU_DEP_3)
	v_cmp_ge_u32_e64 s20, v12, v20
	v_lshl_add_u32 v20, v28, 3, v8
	v_lshl_add_u32 v21, v31, 3, v8
	ds_load_b32 v9, v9
	s_waitcnt lgkmcnt(0)
	v_cndmask_b32_e64 v33, v9, v32, s17
	v_cndmask_b32_e64 v9, v30, v9, s17
	s_delay_alu instid0(VALU_DEP_2) | instskip(NEXT) | instid1(VALU_DEP_2)
	v_and_b32_e32 v5, v33, v84
	v_and_b32_e32 v35, v9, v84
	s_delay_alu instid0(VALU_DEP_1)
	v_cmp_le_u32_e64 s19, v5, v35
	ds_load_b64 v[4:5], v4 offset:8192
	ds_load_b64 v[34:35], v15 offset:8192
	v_lshl_add_u32 v15, v22, 3, v8
	ds_load_b64 v[64:65], v17 offset:8192
	v_lshl_add_u32 v17, v25, 3, v8
	s_and_b32 s18, s18, s19
	s_delay_alu instid0(SALU_CYCLE_1) | instskip(NEXT) | instid1(SALU_CYCLE_1)
	s_or_b32 s18, s20, s18
	v_cndmask_b32_e64 v12, v12, v36, s18
	s_delay_alu instid0(VALU_DEP_1)
	v_lshl_add_u32 v8, v12, 3, v8
	ds_load_b64 v[52:53], v15 offset:8192
	ds_load_b64 v[66:67], v17 offset:8192
	;; [unrolled: 1-line block ×5, first 2 shown]
	v_cndmask_b32_e64 v12, v11, v10, s7
	v_cndmask_b32_e64 v15, v23, v19, s14
	;; [unrolled: 1-line block ×4, first 2 shown]
.LBB514_120:
	s_or_b32 exec_lo, exec_lo, s22
	; wave barrier
	s_waitcnt lgkmcnt(0)
	s_waitcnt_vscnt null, 0x0
	s_barrier
                                        ; implicit-def: $vgpr82
                                        ; implicit-def: $vgpr20_vgpr21_vgpr22_vgpr23_vgpr24_vgpr25_vgpr26_vgpr27
                                        ; implicit-def: $vgpr83
                                        ; implicit-def: $vgpr9
                                        ; implicit-def: $vgpr28
                                        ; implicit-def: $vgpr8
.LBB514_121:
	s_and_not1_saveexec_b32 s17, s21
	s_cbranch_execz .LBB514_217
; %bb.122:
	s_load_b64 s[10:11], s[8:9], 0x0
	v_mov_b32_e32 v10, 0
	s_waitcnt vmcnt(0) lgkmcnt(0)
	v_dual_mov_b32 v12, v20 :: v_dual_mov_b32 v15, v23
	v_dual_mov_b32 v13, v21 :: v_dual_mov_b32 v14, v22
	;; [unrolled: 1-line block ×4, first 2 shown]
	s_cmp_lt_u32 s13, s11
	s_cselect_b32 s7, 14, 20
	s_delay_alu instid0(SALU_CYCLE_1) | instskip(SKIP_4) | instid1(SALU_CYCLE_1)
	s_add_u32 s14, s8, s7
	s_addc_u32 s15, s9, 0
	s_cmp_lt_u32 s12, s10
	global_load_u16 v11, v10, s[14:15]
	s_cselect_b32 s7, 12, 18
	s_add_u32 s8, s8, s7
	s_addc_u32 s9, s9, 0
	global_load_u16 v10, v10, s[8:9]
	s_mov_b32 s9, exec_lo
	s_waitcnt vmcnt(1)
	v_mad_u32_u24 v9, v28, v11, v9
	s_waitcnt vmcnt(0)
	s_delay_alu instid0(VALU_DEP_1) | instskip(NEXT) | instid1(VALU_DEP_1)
	v_mul_lo_u32 v9, v9, v10
	v_add_lshl_u32 v84, v9, v8, 3
	s_delay_alu instid0(VALU_DEP_1)
	v_cmpx_gt_u32_e32 0x800, v84
	s_cbranch_execz .LBB514_176
; %bb.123:
	v_dual_mov_b32 v8, v20 :: v_dual_mov_b32 v9, v21
	v_dual_mov_b32 v69, v35 :: v_dual_mov_b32 v68, v34
	v_dual_mov_b32 v10, v22 :: v_dual_mov_b32 v11, v23
	v_dual_mov_b32 v12, v24 :: v_dual_mov_b32 v13, v25
	v_dual_mov_b32 v14, v26 :: v_dual_mov_b32 v15, v27
	v_mov_b32_e32 v85, v20
	s_mov_b32 s8, exec_lo
	v_cmpx_gt_i32_e64 v21, v20
; %bb.124:
	v_dual_mov_b32 v8, v21 :: v_dual_mov_b32 v9, v20
	v_dual_mov_b32 v10, v22 :: v_dual_mov_b32 v11, v23
	v_dual_mov_b32 v12, v24 :: v_dual_mov_b32 v13, v25
	v_dual_mov_b32 v14, v26 :: v_dual_mov_b32 v15, v27
	v_dual_mov_b32 v69, v5 :: v_dual_mov_b32 v68, v4
	v_dual_mov_b32 v4, v34 :: v_dual_mov_b32 v5, v35
	v_mov_b32_e32 v85, v21
	v_mov_b32_e32 v21, v20
; %bb.125:
	s_or_b32 exec_lo, exec_lo, s8
	v_dual_mov_b32 v29, v15 :: v_dual_mov_b32 v28, v14
	v_dual_mov_b32 v71, v53 :: v_dual_mov_b32 v70, v52
	v_dual_mov_b32 v27, v13 :: v_dual_mov_b32 v26, v12
	v_dual_mov_b32 v25, v11 :: v_dual_mov_b32 v24, v10
	v_dual_mov_b32 v23, v9 :: v_dual_mov_b32 v22, v8
	v_mov_b32_e32 v20, v11
	s_mov_b32 s8, exec_lo
	v_cmpx_gt_i32_e64 v11, v10
; %bb.126:
	v_dual_mov_b32 v22, v8 :: v_dual_mov_b32 v23, v9
	v_dual_mov_b32 v24, v11 :: v_dual_mov_b32 v25, v10
	v_dual_mov_b32 v26, v12 :: v_dual_mov_b32 v27, v13
	v_dual_mov_b32 v28, v14 :: v_dual_mov_b32 v29, v15
	v_dual_mov_b32 v71, v65 :: v_dual_mov_b32 v70, v64
	v_dual_mov_b32 v65, v53 :: v_dual_mov_b32 v64, v52
	v_mov_b32_e32 v20, v10
	v_mov_b32_e32 v10, v11
; %bb.127:
	s_or_b32 exec_lo, exec_lo, s8
	;; [unrolled: 19-line block ×3, first 2 shown]
	v_dual_mov_b32 v12, v30 :: v_dual_mov_b32 v13, v31
	v_dual_mov_b32 v22, v48 :: v_dual_mov_b32 v23, v49
	;; [unrolled: 1-line block ×5, first 2 shown]
	v_mov_b32_e32 v53, v37
	s_mov_b32 s8, exec_lo
	v_cmpx_gt_i32_e64 v37, v36
; %bb.130:
	v_dual_mov_b32 v12, v30 :: v_dual_mov_b32 v13, v31
	v_dual_mov_b32 v14, v32 :: v_dual_mov_b32 v15, v33
	;; [unrolled: 1-line block ×7, first 2 shown]
; %bb.131:
	s_or_b32 exec_lo, exec_lo, s8
	v_cmp_gt_i32_e64 s7, v10, v21
	v_dual_mov_b32 v24, v64 :: v_dual_mov_b32 v25, v65
	v_mov_b32_e32 v32, v10
	s_delay_alu instid0(VALU_DEP_3) | instskip(NEXT) | instid1(SALU_CYCLE_1)
	s_and_saveexec_b32 s8, s7
	s_xor_b32 s7, exec_lo, s8
; %bb.132:
	v_dual_mov_b32 v13, v10 :: v_dual_mov_b32 v14, v21
	v_dual_mov_b32 v24, v68 :: v_dual_mov_b32 v25, v69
	;; [unrolled: 1-line block ×4, first 2 shown]
; %bb.133:
	s_or_b32 exec_lo, exec_lo, s7
	v_dual_mov_b32 v28, v70 :: v_dual_mov_b32 v29, v71
	v_mov_b32_e32 v35, v26
	s_mov_b32 s8, exec_lo
	v_cmpx_gt_i32_e64 v26, v20
; %bb.134:
	v_dual_mov_b32 v15, v26 :: v_dual_mov_b32 v16, v20
	v_dual_mov_b32 v29, v9 :: v_dual_mov_b32 v28, v8
	;; [unrolled: 1-line block ×4, first 2 shown]
; %bb.135:
	s_or_b32 exec_lo, exec_lo, s8
	v_dual_mov_b32 v10, v50 :: v_dual_mov_b32 v11, v51
	v_mov_b32_e32 v37, v36
	s_mov_b32 s8, exec_lo
	v_cmpx_gt_i32_e64 v36, v52
; %bb.136:
	v_dual_mov_b32 v17, v36 :: v_dual_mov_b32 v10, v22
	v_dual_mov_b32 v18, v52 :: v_dual_mov_b32 v11, v23
	;; [unrolled: 1-line block ×3, first 2 shown]
	v_mov_b32_e32 v37, v52
	v_mov_b32_e32 v52, v36
; %bb.137:
	s_or_b32 exec_lo, exec_lo, s8
	v_dual_mov_b32 v26, v68 :: v_dual_mov_b32 v27, v69
	v_mov_b32_e32 v34, v85
	s_mov_b32 s8, exec_lo
	v_cmpx_gt_i32_e64 v21, v85
; %bb.138:
	v_mov_b32_e32 v27, v5
	v_dual_mov_b32 v13, v85 :: v_dual_mov_b32 v26, v4
	v_mov_b32_e32 v4, v68
	v_mov_b32_e32 v12, v21
	;; [unrolled: 1-line block ×5, first 2 shown]
; %bb.139:
	s_or_b32 exec_lo, exec_lo, s8
	v_dual_mov_b32 v31, v29 :: v_dual_mov_b32 v30, v28
	v_mov_b32_e32 v36, v20
	s_mov_b32 s8, exec_lo
	v_cmpx_gt_i32_e64 v20, v32
; %bb.140:
	v_dual_mov_b32 v14, v20 :: v_dual_mov_b32 v31, v25
	v_mov_b32_e32 v30, v24
	v_dual_mov_b32 v24, v28 :: v_dual_mov_b32 v25, v29
	v_mov_b32_e32 v15, v32
	v_mov_b32_e32 v36, v32
	;; [unrolled: 1-line block ×3, first 2 shown]
; %bb.141:
	s_or_b32 exec_lo, exec_lo, s8
	v_dual_mov_b32 v29, v9 :: v_dual_mov_b32 v28, v8
	v_mov_b32_e32 v48, v52
	s_mov_b32 s8, exec_lo
	v_cmpx_gt_i32_e64 v52, v35
; %bb.142:
	v_dual_mov_b32 v16, v52 :: v_dual_mov_b32 v17, v35
	v_dual_mov_b32 v29, v11 :: v_dual_mov_b32 v28, v10
	;; [unrolled: 1-line block ×4, first 2 shown]
; %bb.143:
	s_or_b32 exec_lo, exec_lo, s8
	v_dual_mov_b32 v8, v22 :: v_dual_mov_b32 v9, v23
	v_mov_b32_e32 v20, v53
	s_mov_b32 s8, exec_lo
	v_cmpx_gt_i32_e64 v53, v37
; %bb.144:
	v_dual_mov_b32 v19, v37 :: v_dual_mov_b32 v8, v38
	v_dual_mov_b32 v18, v53 :: v_dual_mov_b32 v9, v39
	v_dual_mov_b32 v39, v23 :: v_dual_mov_b32 v38, v22
	v_mov_b32_e32 v20, v37
	v_mov_b32_e32 v37, v53
; %bb.145:
	s_or_b32 exec_lo, exec_lo, s8
	v_dual_mov_b32 v22, v24 :: v_dual_mov_b32 v23, v25
	v_mov_b32_e32 v49, v32
	s_mov_b32 s8, exec_lo
	v_cmpx_gt_i32_e64 v32, v21
; %bb.146:
	v_dual_mov_b32 v13, v32 :: v_dual_mov_b32 v14, v21
	v_dual_mov_b32 v22, v26 :: v_dual_mov_b32 v23, v27
	v_dual_mov_b32 v27, v25 :: v_dual_mov_b32 v26, v24
	v_mov_b32_e32 v49, v21
	v_mov_b32_e32 v21, v32
	;; [unrolled: 12-line block ×5, first 2 shown]
; %bb.153:
	s_or_b32 exec_lo, exec_lo, s8
	v_dual_mov_b32 v30, v32 :: v_dual_mov_b32 v31, v33
	v_mov_b32_e32 v34, v36
	s_mov_b32 s8, exec_lo
	v_cmpx_gt_i32_e64 v36, v49
; %bb.154:
	v_dual_mov_b32 v14, v36 :: v_dual_mov_b32 v15, v49
	v_dual_mov_b32 v31, v23 :: v_dual_mov_b32 v30, v22
	;; [unrolled: 1-line block ×4, first 2 shown]
; %bb.155:
	s_or_b32 exec_lo, exec_lo, s8
	v_dual_mov_b32 v26, v28 :: v_dual_mov_b32 v27, v29
	v_mov_b32_e32 v36, v48
	s_mov_b32 s8, exec_lo
	v_cmpx_gt_i32_e64 v48, v50
; %bb.156:
	v_dual_mov_b32 v16, v48 :: v_dual_mov_b32 v17, v50
	v_dual_mov_b32 v27, v25 :: v_dual_mov_b32 v26, v24
	v_dual_mov_b32 v24, v28 :: v_dual_mov_b32 v25, v29
	v_mov_b32_e32 v36, v50
	v_mov_b32_e32 v50, v48
; %bb.157:
	s_or_b32 exec_lo, exec_lo, s8
	v_dual_mov_b32 v29, v9 :: v_dual_mov_b32 v28, v8
	v_mov_b32_e32 v37, v20
	s_mov_b32 s8, exec_lo
	v_cmpx_gt_i32_e64 v20, v52
; %bb.158:
	v_dual_mov_b32 v19, v52 :: v_dual_mov_b32 v28, v38
	v_dual_mov_b32 v18, v20 :: v_dual_mov_b32 v29, v39
	v_dual_mov_b32 v39, v9 :: v_dual_mov_b32 v38, v8
	v_mov_b32_e32 v37, v52
	v_mov_b32_e32 v52, v20
	;; [unrolled: 12-line block ×3, first 2 shown]
; %bb.161:
	s_or_b32 exec_lo, exec_lo, s8
	v_dual_mov_b32 v33, v31 :: v_dual_mov_b32 v32, v30
	v_mov_b32_e32 v49, v50
	s_mov_b32 s8, exec_lo
	v_cmpx_gt_i32_e64 v50, v34
; %bb.162:
	v_dual_mov_b32 v16, v34 :: v_dual_mov_b32 v33, v27
	v_mov_b32_e32 v32, v26
	v_dual_mov_b32 v26, v30 :: v_dual_mov_b32 v27, v31
	v_mov_b32_e32 v15, v50
	v_mov_b32_e32 v49, v34
	;; [unrolled: 1-line block ×3, first 2 shown]
; %bb.163:
	s_or_b32 exec_lo, exec_lo, s8
	v_dual_mov_b32 v51, v25 :: v_dual_mov_b32 v50, v24
	v_mov_b32_e32 v30, v52
	s_mov_b32 s8, exec_lo
	v_cmpx_gt_i32_e64 v52, v36
; %bb.164:
	v_dual_mov_b32 v18, v36 :: v_dual_mov_b32 v51, v29
	v_dual_mov_b32 v50, v28 :: v_dual_mov_b32 v29, v25
	v_mov_b32_e32 v17, v52
	v_mov_b32_e32 v28, v24
	;; [unrolled: 1-line block ×4, first 2 shown]
; %bb.165:
	s_or_b32 exec_lo, exec_lo, s8
	v_dual_mov_b32 v23, v11 :: v_dual_mov_b32 v22, v10
	v_mov_b32_e32 v20, v35
	s_mov_b32 s8, exec_lo
	v_cmpx_gt_i32_e64 v21, v35
; %bb.166:
	v_dual_mov_b32 v12, v21 :: v_dual_mov_b32 v13, v35
	v_dual_mov_b32 v23, v5 :: v_dual_mov_b32 v22, v4
	v_dual_mov_b32 v4, v10 :: v_dual_mov_b32 v5, v11
	v_dual_mov_b32 v20, v21 :: v_dual_mov_b32 v21, v35
; %bb.167:
	s_or_b32 exec_lo, exec_lo, s8
	v_dual_mov_b32 v10, v32 :: v_dual_mov_b32 v11, v33
	v_mov_b32_e32 v31, v34
	s_mov_b32 s8, exec_lo
	v_cmpx_gt_i32_e64 v34, v48
; %bb.168:
	v_dual_mov_b32 v14, v34 :: v_dual_mov_b32 v15, v48
	v_dual_mov_b32 v11, v9 :: v_dual_mov_b32 v10, v8
	v_dual_mov_b32 v8, v32 :: v_dual_mov_b32 v9, v33
	v_dual_mov_b32 v31, v48 :: v_dual_mov_b32 v48, v34
	;; [unrolled: 11-line block ×3, first 2 shown]
; %bb.171:
	s_or_b32 exec_lo, exec_lo, s8
	v_dual_mov_b32 v26, v28 :: v_dual_mov_b32 v27, v29
	s_mov_b32 s8, exec_lo
	v_cmpx_gt_i32_e64 v37, v30
; %bb.172:
	v_dual_mov_b32 v18, v37 :: v_dual_mov_b32 v19, v30
	v_dual_mov_b32 v26, v38 :: v_dual_mov_b32 v27, v39
	;; [unrolled: 1-line block ×3, first 2 shown]
	v_mov_b32_e32 v30, v37
; %bb.173:
	s_or_b32 exec_lo, exec_lo, s8
	v_cmp_gt_i32_e64 s7, v48, v21
	v_cmp_gt_i32_e64 s8, v49, v31
	s_delay_alu instid0(VALU_DEP_2)
	v_cndmask_b32_e64 v65, v9, v23, s7
	v_cndmask_b32_e64 v64, v8, v22, s7
	;; [unrolled: 1-line block ×12, first 2 shown]
	v_dual_mov_b32 v49, v27 :: v_dual_mov_b32 v48, v26
	s_mov_b32 s8, exec_lo
	v_cmpx_gt_i32_e64 v30, v32
; %bb.174:
	v_dual_mov_b32 v17, v30 :: v_dual_mov_b32 v18, v32
	v_dual_mov_b32 v48, v50 :: v_dual_mov_b32 v49, v51
	;; [unrolled: 1-line block ×3, first 2 shown]
; %bb.175:
	s_or_b32 exec_lo, exec_lo, s8
.LBB514_176:
	s_delay_alu instid0(SALU_CYCLE_1) | instskip(SKIP_4) | instid1(VALU_DEP_4)
	s_or_b32 exec_lo, exec_lo, s9
	v_dual_mov_b32 v21, v13 :: v_dual_and_b32 v8, 0xffffff00, v84
	v_or_b32_e32 v10, 8, v82
	v_and_b32_e32 v25, 8, v82
	v_and_b32_e32 v26, 0xf0, v82
	v_sub_nc_u32_e64 v11, 0x800, v8 clamp
	v_dual_mov_b32 v30, v15 :: v_dual_lshlrev_b32 v9, 2, v8
	s_mov_b32 s8, exec_lo
	v_mov_b32_e32 v29, v14
	s_delay_alu instid0(VALU_DEP_3) | instskip(NEXT) | instid1(VALU_DEP_3)
	v_min_u32_e32 v23, v11, v10
	v_add_nc_u32_e32 v8, v9, v9
	v_lshl_or_b32 v22, v82, 2, v9
	v_min_u32_e32 v27, v11, v25
	s_delay_alu instid0(VALU_DEP_4) | instskip(NEXT) | instid1(VALU_DEP_4)
	v_add_nc_u32_e32 v10, 8, v23
	v_lshl_add_u32 v31, v82, 3, v8
	v_sub_nc_u32_e32 v32, v23, v26
	s_delay_alu instid0(VALU_DEP_3) | instskip(NEXT) | instid1(VALU_DEP_3)
	v_min_u32_e32 v24, v11, v10
	v_add_nc_u32_e32 v10, 0x2000, v31
	v_add_nc_u32_e32 v25, 0x2010, v31
	;; [unrolled: 1-line block ×4, first 2 shown]
	v_sub_nc_u32_e32 v28, v24, v23
	ds_store_2addr_b64 v10, v[4:5], v[34:35] offset1:1
	ds_store_2addr_b64 v25, v[64:65], v[52:53] offset1:1
	ds_store_2addr_b64 v22, v[20:21], v[29:30] offset1:1
	ds_store_2addr_b64 v22, v[16:17], v[18:19] offset0:2 offset1:3
	v_lshl_or_b32 v20, v26, 2, v9
	ds_store_2addr_b64 v33, v[66:67], v[50:51] offset1:1
	ds_store_2addr_b64 v31, v[48:49], v[38:39] offset1:1
	v_sub_nc_u32_e64 v25, v27, v28 clamp
	v_min_u32_e32 v28, v27, v32
	; wave barrier
	s_delay_alu instid0(VALU_DEP_1)
	v_cmpx_lt_u32_e64 v25, v28
	s_cbranch_execz .LBB514_180
; %bb.177:
	v_lshlrev_b32_e32 v21, 2, v23
	v_lshlrev_b32_e32 v29, 2, v27
	s_mov_b32 s9, 0
	s_delay_alu instid0(VALU_DEP_1)
	v_add3_u32 v21, v9, v21, v29
	.p2align	6
.LBB514_178:                            ; =>This Inner Loop Header: Depth=1
	v_add_nc_u32_e32 v29, v28, v25
	s_delay_alu instid0(VALU_DEP_1) | instskip(NEXT) | instid1(VALU_DEP_1)
	v_lshrrev_b32_e32 v29, 1, v29
	v_not_b32_e32 v30, v29
	v_lshl_add_u32 v31, v29, 2, v20
	v_add_nc_u32_e32 v32, 1, v29
	s_delay_alu instid0(VALU_DEP_3) | instskip(SKIP_4) | instid1(VALU_DEP_1)
	v_lshl_add_u32 v30, v30, 2, v21
	ds_load_b32 v31, v31
	ds_load_b32 v30, v30
	s_waitcnt lgkmcnt(0)
	v_cmp_gt_i32_e64 s7, v30, v31
	v_cndmask_b32_e64 v28, v28, v29, s7
	v_cndmask_b32_e64 v25, v32, v25, s7
	s_delay_alu instid0(VALU_DEP_1) | instskip(NEXT) | instid1(VALU_DEP_1)
	v_cmp_ge_u32_e64 s7, v25, v28
	s_or_b32 s9, s7, s9
	s_delay_alu instid0(SALU_CYCLE_1)
	s_and_not1_b32 exec_lo, exec_lo, s9
	s_cbranch_execnz .LBB514_178
; %bb.179:
	s_or_b32 exec_lo, exec_lo, s9
.LBB514_180:
	s_delay_alu instid0(SALU_CYCLE_1) | instskip(SKIP_2) | instid1(VALU_DEP_2)
	s_or_b32 exec_lo, exec_lo, s8
	v_add_nc_u32_e32 v21, v23, v27
	v_add_nc_u32_e32 v26, v25, v26
	v_sub_nc_u32_e32 v21, v21, v25
	s_delay_alu instid0(VALU_DEP_2) | instskip(NEXT) | instid1(VALU_DEP_2)
	v_cmp_le_u32_e64 s7, v26, v23
	v_cmp_le_u32_e64 s8, v21, v24
	s_delay_alu instid0(VALU_DEP_1) | instskip(NEXT) | instid1(SALU_CYCLE_1)
	s_or_b32 s7, s7, s8
	s_and_saveexec_b32 s18, s7
	s_cbranch_execz .LBB514_186
; %bb.181:
	v_cmp_lt_u32_e64 s7, v26, v23
                                        ; implicit-def: $vgpr12
	s_delay_alu instid0(VALU_DEP_1)
	s_and_saveexec_b32 s8, s7
	s_cbranch_execz .LBB514_183
; %bb.182:
	v_lshl_add_u32 v4, v25, 2, v20
	ds_load_b32 v12, v4
.LBB514_183:
	s_or_b32 exec_lo, exec_lo, s8
	v_cmp_ge_u32_e64 s8, v21, v24
	s_mov_b32 s10, exec_lo
                                        ; implicit-def: $vgpr13
	v_cmpx_lt_u32_e64 v21, v24
	s_cbranch_execz .LBB514_185
; %bb.184:
	v_lshl_add_u32 v4, v21, 2, v9
	ds_load_b32 v13, v4
.LBB514_185:
	s_or_b32 exec_lo, exec_lo, s10
	s_waitcnt lgkmcnt(0)
	v_cmp_le_i32_e64 s9, v13, v12
	s_delay_alu instid0(VALU_DEP_1) | instskip(NEXT) | instid1(SALU_CYCLE_1)
	s_and_b32 s7, s7, s9
	s_or_b32 s7, s8, s7
	s_delay_alu instid0(SALU_CYCLE_1) | instskip(SKIP_1) | instid1(VALU_DEP_2)
	v_cndmask_b32_e64 v4, v21, v26, s7
	v_cndmask_b32_e64 v5, v24, v23, s7
	v_add_nc_u32_e32 v14, 1, v4
	s_delay_alu instid0(VALU_DEP_2) | instskip(SKIP_1) | instid1(VALU_DEP_3)
	v_add_nc_u32_e32 v5, -1, v5
	v_lshl_add_u32 v4, v4, 3, v8
	v_cndmask_b32_e64 v15, v26, v14, s7
	s_delay_alu instid0(VALU_DEP_3) | instskip(NEXT) | instid1(VALU_DEP_2)
	v_min_u32_e32 v5, v14, v5
	v_cmp_lt_u32_e64 s8, v15, v23
	s_delay_alu instid0(VALU_DEP_2)
	v_lshl_add_u32 v5, v5, 2, v9
	ds_load_b32 v5, v5
	s_waitcnt lgkmcnt(0)
	v_cndmask_b32_e64 v16, v5, v13, s7
	v_cndmask_b32_e64 v17, v12, v5, s7
	;; [unrolled: 1-line block ×4, first 2 shown]
	s_delay_alu instid0(VALU_DEP_3) | instskip(NEXT) | instid1(VALU_DEP_3)
	v_cmp_le_i32_e64 s9, v16, v17
	v_cmp_ge_u32_e64 s10, v5, v24
	s_delay_alu instid0(VALU_DEP_2)
	s_and_b32 s8, s8, s9
	s_delay_alu instid0(VALU_DEP_1) | instid1(SALU_CYCLE_1)
	s_or_b32 s8, s10, s8
	s_delay_alu instid0(SALU_CYCLE_1) | instskip(SKIP_2) | instid1(VALU_DEP_3)
	v_cndmask_b32_e64 v14, v5, v15, s8
	v_cndmask_b32_e64 v18, v24, v23, s8
	;; [unrolled: 1-line block ×3, first 2 shown]
	v_add_nc_u32_e32 v19, 1, v14
	s_delay_alu instid0(VALU_DEP_3) | instskip(SKIP_1) | instid1(VALU_DEP_3)
	v_add_nc_u32_e32 v18, -1, v18
	v_lshl_add_u32 v14, v14, 3, v8
	v_cndmask_b32_e64 v15, v15, v19, s8
	s_delay_alu instid0(VALU_DEP_3) | instskip(SKIP_1) | instid1(VALU_DEP_3)
	v_min_u32_e32 v18, v19, v18
	v_cndmask_b32_e64 v5, v19, v5, s8
	v_cmp_lt_u32_e64 s9, v15, v23
	s_delay_alu instid0(VALU_DEP_3) | instskip(NEXT) | instid1(VALU_DEP_3)
	v_lshl_add_u32 v18, v18, 2, v9
	v_cmp_ge_u32_e64 s11, v5, v24
	ds_load_b32 v18, v18
	s_waitcnt lgkmcnt(0)
	v_cndmask_b32_e64 v20, v18, v16, s8
	v_cndmask_b32_e64 v18, v17, v18, s8
	s_delay_alu instid0(VALU_DEP_1) | instskip(NEXT) | instid1(VALU_DEP_1)
	v_cmp_le_i32_e64 s10, v20, v18
	s_and_b32 s9, s9, s10
	s_delay_alu instid0(SALU_CYCLE_1) | instskip(NEXT) | instid1(SALU_CYCLE_1)
	s_or_b32 s9, s11, s9
	v_cndmask_b32_e64 v19, v5, v15, s9
	v_cndmask_b32_e64 v21, v24, v23, s9
	s_delay_alu instid0(VALU_DEP_2) | instskip(NEXT) | instid1(VALU_DEP_2)
	v_add_nc_u32_e32 v25, 1, v19
	v_add_nc_u32_e32 v21, -1, v21
	v_lshl_add_u32 v19, v19, 3, v8
	s_delay_alu instid0(VALU_DEP_3) | instskip(NEXT) | instid1(VALU_DEP_3)
	v_cndmask_b32_e64 v15, v15, v25, s9
	v_min_u32_e32 v21, v25, v21
	v_cndmask_b32_e64 v5, v25, v5, s9
	s_delay_alu instid0(VALU_DEP_3) | instskip(NEXT) | instid1(VALU_DEP_3)
	v_cmp_lt_u32_e64 s10, v15, v23
	v_lshl_add_u32 v21, v21, 2, v9
	s_delay_alu instid0(VALU_DEP_3) | instskip(SKIP_4) | instid1(VALU_DEP_1)
	v_cmp_ge_u32_e64 s12, v5, v24
	ds_load_b32 v21, v21
	s_waitcnt lgkmcnt(0)
	v_cndmask_b32_e64 v26, v21, v20, s9
	v_cndmask_b32_e64 v21, v18, v21, s9
	v_cmp_le_i32_e64 s11, v26, v21
	s_delay_alu instid0(VALU_DEP_1) | instskip(NEXT) | instid1(SALU_CYCLE_1)
	s_and_b32 s10, s10, s11
	s_or_b32 s10, s12, s10
	s_delay_alu instid0(SALU_CYCLE_1) | instskip(SKIP_1) | instid1(VALU_DEP_2)
	v_cndmask_b32_e64 v25, v5, v15, s10
	v_cndmask_b32_e64 v27, v24, v23, s10
	v_add_nc_u32_e32 v28, 1, v25
	s_delay_alu instid0(VALU_DEP_2) | instskip(NEXT) | instid1(VALU_DEP_2)
	v_add_nc_u32_e32 v27, -1, v27
	v_cndmask_b32_e64 v15, v15, v28, s10
	s_delay_alu instid0(VALU_DEP_2) | instskip(SKIP_1) | instid1(VALU_DEP_3)
	v_min_u32_e32 v27, v28, v27
	v_cndmask_b32_e64 v5, v28, v5, s10
	v_cmp_lt_u32_e64 s11, v15, v23
	s_delay_alu instid0(VALU_DEP_3) | instskip(NEXT) | instid1(VALU_DEP_3)
	v_lshl_add_u32 v27, v27, 2, v9
	v_cmp_ge_u32_e64 s13, v5, v24
	ds_load_b32 v27, v27
	s_waitcnt lgkmcnt(0)
	v_cndmask_b32_e64 v29, v27, v26, s10
	v_cndmask_b32_e64 v27, v21, v27, s10
	s_delay_alu instid0(VALU_DEP_1) | instskip(NEXT) | instid1(VALU_DEP_1)
	v_cmp_le_i32_e64 s12, v29, v27
	s_and_b32 s11, s11, s12
	s_delay_alu instid0(SALU_CYCLE_1) | instskip(NEXT) | instid1(SALU_CYCLE_1)
	s_or_b32 s11, s13, s11
	v_cndmask_b32_e64 v28, v5, v15, s11
	v_cndmask_b32_e64 v30, v24, v23, s11
	;; [unrolled: 1-line block ×3, first 2 shown]
	s_delay_alu instid0(VALU_DEP_3) | instskip(NEXT) | instid1(VALU_DEP_3)
	v_add_nc_u32_e32 v31, 1, v28
	v_add_nc_u32_e32 v30, -1, v30
	s_delay_alu instid0(VALU_DEP_2) | instskip(NEXT) | instid1(VALU_DEP_2)
	v_cndmask_b32_e64 v15, v15, v31, s11
	v_min_u32_e32 v30, v31, v30
	v_cndmask_b32_e64 v5, v31, v5, s11
	s_delay_alu instid0(VALU_DEP_3) | instskip(NEXT) | instid1(VALU_DEP_3)
	v_cmp_lt_u32_e64 s12, v15, v23
	v_lshl_add_u32 v30, v30, 2, v9
	s_delay_alu instid0(VALU_DEP_3) | instskip(SKIP_4) | instid1(VALU_DEP_1)
	v_cmp_ge_u32_e64 s14, v5, v24
	ds_load_b32 v30, v30
	s_waitcnt lgkmcnt(0)
	v_cndmask_b32_e64 v32, v30, v29, s11
	v_cndmask_b32_e64 v30, v27, v30, s11
	v_cmp_le_i32_e64 s13, v32, v30
	s_delay_alu instid0(VALU_DEP_1) | instskip(NEXT) | instid1(SALU_CYCLE_1)
	s_and_b32 s12, s12, s13
	s_or_b32 s12, s14, s12
	s_delay_alu instid0(SALU_CYCLE_1) | instskip(SKIP_2) | instid1(VALU_DEP_3)
	v_cndmask_b32_e64 v31, v5, v15, s12
	v_cndmask_b32_e64 v33, v24, v23, s12
	;; [unrolled: 1-line block ×3, first 2 shown]
	v_add_nc_u32_e32 v34, 1, v31
	s_delay_alu instid0(VALU_DEP_3) | instskip(NEXT) | instid1(VALU_DEP_2)
	v_add_nc_u32_e32 v33, -1, v33
	v_cndmask_b32_e64 v15, v15, v34, s12
	s_delay_alu instid0(VALU_DEP_2) | instskip(SKIP_1) | instid1(VALU_DEP_3)
	v_min_u32_e32 v33, v34, v33
	v_cndmask_b32_e64 v5, v34, v5, s12
	v_cmp_lt_u32_e64 s13, v15, v23
	s_delay_alu instid0(VALU_DEP_3) | instskip(NEXT) | instid1(VALU_DEP_3)
	v_lshl_add_u32 v33, v33, 2, v9
	v_cmp_ge_u32_e64 s15, v5, v24
	ds_load_b32 v33, v33
	s_waitcnt lgkmcnt(0)
	v_cndmask_b32_e64 v36, v33, v32, s12
	v_cndmask_b32_e64 v33, v30, v33, s12
	s_delay_alu instid0(VALU_DEP_1) | instskip(NEXT) | instid1(VALU_DEP_1)
	v_cmp_le_i32_e64 s14, v36, v33
	s_and_b32 s13, s13, s14
	s_delay_alu instid0(SALU_CYCLE_1) | instskip(NEXT) | instid1(SALU_CYCLE_1)
	s_or_b32 s13, s15, s13
	v_cndmask_b32_e64 v37, v5, v15, s13
	v_cndmask_b32_e64 v34, v24, v23, s13
	s_delay_alu instid0(VALU_DEP_2) | instskip(NEXT) | instid1(VALU_DEP_2)
	v_add_nc_u32_e32 v35, 1, v37
	v_add_nc_u32_e32 v34, -1, v34
	s_delay_alu instid0(VALU_DEP_2) | instskip(NEXT) | instid1(VALU_DEP_2)
	v_cndmask_b32_e64 v15, v15, v35, s13
	v_min_u32_e32 v34, v35, v34
	v_cndmask_b32_e64 v38, v35, v5, s13
	s_delay_alu instid0(VALU_DEP_3) | instskip(NEXT) | instid1(VALU_DEP_3)
	v_cmp_lt_u32_e64 s14, v15, v23
	v_lshl_add_u32 v34, v34, 2, v9
	s_delay_alu instid0(VALU_DEP_3)
	v_cmp_ge_u32_e64 s16, v38, v24
	v_lshl_add_u32 v23, v31, 3, v8
	v_lshl_add_u32 v24, v37, 3, v8
	ds_load_b32 v34, v34
	s_waitcnt lgkmcnt(0)
	v_cndmask_b32_e64 v68, v34, v36, s13
	v_cndmask_b32_e64 v69, v33, v34, s13
	ds_load_b64 v[4:5], v4 offset:8192
	ds_load_b64 v[34:35], v14 offset:8192
	;; [unrolled: 1-line block ×3, first 2 shown]
	v_lshl_add_u32 v19, v28, 3, v8
	v_cmp_le_i32_e64 s15, v68, v69
	s_delay_alu instid0(VALU_DEP_1) | instskip(NEXT) | instid1(SALU_CYCLE_1)
	s_and_b32 s14, s14, s15
	s_or_b32 s14, s16, s14
	s_delay_alu instid0(SALU_CYCLE_1) | instskip(SKIP_1) | instid1(VALU_DEP_2)
	v_cndmask_b32_e64 v14, v38, v15, s14
	v_lshl_add_u32 v15, v25, 3, v8
	v_lshl_add_u32 v14, v14, 3, v8
	ds_load_b64 v[52:53], v15 offset:8192
	ds_load_b64 v[66:67], v19 offset:8192
	;; [unrolled: 1-line block ×5, first 2 shown]
	v_cndmask_b32_e64 v14, v20, v18, s9
	v_cndmask_b32_e64 v15, v26, v21, s10
	;; [unrolled: 1-line block ×4, first 2 shown]
.LBB514_186:
	s_or_b32 exec_lo, exec_lo, s18
	v_and_b32_e32 v25, 0xe0, v82
	v_and_b32_e32 v23, 24, v82
	s_mov_b32 s8, exec_lo
	; wave barrier
	s_delay_alu instid0(VALU_DEP_2) | instskip(NEXT) | instid1(VALU_DEP_2)
	v_or_b32_e32 v20, 16, v25
	v_min_u32_e32 v26, v11, v23
	s_waitcnt lgkmcnt(6)
	ds_store_2addr_b64 v10, v[4:5], v[34:35] offset1:1
	s_waitcnt lgkmcnt(5)
	ds_store_2addr_b64 v10, v[64:65], v[52:53] offset0:2 offset1:3
	ds_store_2addr_b64 v22, v[12:13], v[14:15] offset1:1
	ds_store_2addr_b64 v22, v[16:17], v[18:19] offset0:2 offset1:3
	s_waitcnt lgkmcnt(6)
	ds_store_2addr_b64 v10, v[66:67], v[50:51] offset0:4 offset1:5
	s_waitcnt lgkmcnt(5)
	ds_store_2addr_b64 v10, v[48:49], v[38:39] offset0:6 offset1:7
	v_min_u32_e32 v20, v11, v20
	; wave barrier
	s_delay_alu instid0(VALU_DEP_1) | instskip(SKIP_1) | instid1(VALU_DEP_2)
	v_add_nc_u32_e32 v21, 16, v20
	v_sub_nc_u32_e32 v23, v20, v25
	v_min_u32_e32 v21, v11, v21
	s_delay_alu instid0(VALU_DEP_2) | instskip(NEXT) | instid1(VALU_DEP_2)
	v_min_u32_e32 v27, v26, v23
	v_sub_nc_u32_e32 v24, v21, v20
	s_delay_alu instid0(VALU_DEP_1) | instskip(SKIP_1) | instid1(VALU_DEP_2)
	v_sub_nc_u32_e64 v23, v26, v24 clamp
	v_lshl_add_u32 v24, v25, 2, v9
	v_cmpx_lt_u32_e64 v23, v27
	s_cbranch_execz .LBB514_190
; %bb.187:
	v_lshlrev_b32_e32 v28, 2, v20
	v_lshlrev_b32_e32 v29, 2, v26
	s_mov_b32 s9, 0
	s_delay_alu instid0(VALU_DEP_1)
	v_add3_u32 v28, v9, v28, v29
	.p2align	6
.LBB514_188:                            ; =>This Inner Loop Header: Depth=1
	v_add_nc_u32_e32 v29, v27, v23
	s_delay_alu instid0(VALU_DEP_1) | instskip(NEXT) | instid1(VALU_DEP_1)
	v_lshrrev_b32_e32 v29, 1, v29
	v_not_b32_e32 v30, v29
	v_lshl_add_u32 v31, v29, 2, v24
	v_add_nc_u32_e32 v32, 1, v29
	s_delay_alu instid0(VALU_DEP_3) | instskip(SKIP_4) | instid1(VALU_DEP_1)
	v_lshl_add_u32 v30, v30, 2, v28
	ds_load_b32 v31, v31
	ds_load_b32 v30, v30
	s_waitcnt lgkmcnt(0)
	v_cmp_gt_i32_e64 s7, v30, v31
	v_cndmask_b32_e64 v27, v27, v29, s7
	v_cndmask_b32_e64 v23, v32, v23, s7
	s_delay_alu instid0(VALU_DEP_1) | instskip(NEXT) | instid1(VALU_DEP_1)
	v_cmp_ge_u32_e64 s7, v23, v27
	s_or_b32 s9, s7, s9
	s_delay_alu instid0(SALU_CYCLE_1)
	s_and_not1_b32 exec_lo, exec_lo, s9
	s_cbranch_execnz .LBB514_188
; %bb.189:
	s_or_b32 exec_lo, exec_lo, s9
.LBB514_190:
	s_delay_alu instid0(SALU_CYCLE_1) | instskip(SKIP_2) | instid1(VALU_DEP_2)
	s_or_b32 exec_lo, exec_lo, s8
	v_add_nc_u32_e32 v27, v20, v26
	v_add_nc_u32_e32 v26, v23, v25
	v_sub_nc_u32_e32 v25, v27, v23
	s_delay_alu instid0(VALU_DEP_2) | instskip(NEXT) | instid1(VALU_DEP_2)
	v_cmp_le_u32_e64 s7, v26, v20
	v_cmp_le_u32_e64 s8, v25, v21
	s_delay_alu instid0(VALU_DEP_1) | instskip(NEXT) | instid1(SALU_CYCLE_1)
	s_or_b32 s7, s7, s8
	s_and_saveexec_b32 s18, s7
	s_cbranch_execz .LBB514_196
; %bb.191:
	v_cmp_lt_u32_e64 s7, v26, v20
                                        ; implicit-def: $vgpr12
	s_delay_alu instid0(VALU_DEP_1)
	s_and_saveexec_b32 s8, s7
	s_cbranch_execz .LBB514_193
; %bb.192:
	v_lshl_add_u32 v4, v23, 2, v24
	ds_load_b32 v12, v4
.LBB514_193:
	s_or_b32 exec_lo, exec_lo, s8
	v_cmp_ge_u32_e64 s8, v25, v21
	s_mov_b32 s10, exec_lo
                                        ; implicit-def: $vgpr13
	v_cmpx_lt_u32_e64 v25, v21
	s_cbranch_execz .LBB514_195
; %bb.194:
	v_lshl_add_u32 v4, v25, 2, v9
	ds_load_b32 v13, v4
.LBB514_195:
	s_or_b32 exec_lo, exec_lo, s10
	s_waitcnt lgkmcnt(0)
	v_cmp_le_i32_e64 s9, v13, v12
	s_delay_alu instid0(VALU_DEP_1) | instskip(NEXT) | instid1(SALU_CYCLE_1)
	s_and_b32 s7, s7, s9
	s_or_b32 s7, s8, s7
	s_delay_alu instid0(SALU_CYCLE_1) | instskip(SKIP_1) | instid1(VALU_DEP_2)
	v_cndmask_b32_e64 v4, v25, v26, s7
	v_cndmask_b32_e64 v5, v21, v20, s7
	v_add_nc_u32_e32 v14, 1, v4
	s_delay_alu instid0(VALU_DEP_2) | instskip(SKIP_1) | instid1(VALU_DEP_3)
	v_add_nc_u32_e32 v5, -1, v5
	v_lshl_add_u32 v4, v4, 3, v8
	v_cndmask_b32_e64 v15, v26, v14, s7
	s_delay_alu instid0(VALU_DEP_3) | instskip(NEXT) | instid1(VALU_DEP_2)
	v_min_u32_e32 v5, v14, v5
	v_cmp_lt_u32_e64 s8, v15, v20
	s_delay_alu instid0(VALU_DEP_2)
	v_lshl_add_u32 v5, v5, 2, v9
	ds_load_b32 v5, v5
	s_waitcnt lgkmcnt(0)
	v_cndmask_b32_e64 v16, v5, v13, s7
	v_cndmask_b32_e64 v17, v12, v5, s7
	;; [unrolled: 1-line block ×4, first 2 shown]
	s_delay_alu instid0(VALU_DEP_3) | instskip(NEXT) | instid1(VALU_DEP_3)
	v_cmp_le_i32_e64 s9, v16, v17
	v_cmp_ge_u32_e64 s10, v5, v21
	s_delay_alu instid0(VALU_DEP_2)
	s_and_b32 s8, s8, s9
	s_delay_alu instid0(VALU_DEP_1) | instid1(SALU_CYCLE_1)
	s_or_b32 s8, s10, s8
	s_delay_alu instid0(SALU_CYCLE_1) | instskip(SKIP_2) | instid1(VALU_DEP_3)
	v_cndmask_b32_e64 v14, v5, v15, s8
	v_cndmask_b32_e64 v18, v21, v20, s8
	;; [unrolled: 1-line block ×3, first 2 shown]
	v_add_nc_u32_e32 v19, 1, v14
	s_delay_alu instid0(VALU_DEP_3) | instskip(SKIP_1) | instid1(VALU_DEP_3)
	v_add_nc_u32_e32 v18, -1, v18
	v_lshl_add_u32 v14, v14, 3, v8
	v_cndmask_b32_e64 v15, v15, v19, s8
	s_delay_alu instid0(VALU_DEP_3) | instskip(SKIP_1) | instid1(VALU_DEP_3)
	v_min_u32_e32 v18, v19, v18
	v_cndmask_b32_e64 v5, v19, v5, s8
	v_cmp_lt_u32_e64 s9, v15, v20
	s_delay_alu instid0(VALU_DEP_3) | instskip(NEXT) | instid1(VALU_DEP_3)
	v_lshl_add_u32 v18, v18, 2, v9
	v_cmp_ge_u32_e64 s11, v5, v21
	ds_load_b32 v18, v18
	s_waitcnt lgkmcnt(0)
	v_cndmask_b32_e64 v23, v18, v16, s8
	v_cndmask_b32_e64 v18, v17, v18, s8
	s_delay_alu instid0(VALU_DEP_1) | instskip(NEXT) | instid1(VALU_DEP_1)
	v_cmp_le_i32_e64 s10, v23, v18
	s_and_b32 s9, s9, s10
	s_delay_alu instid0(SALU_CYCLE_1) | instskip(NEXT) | instid1(SALU_CYCLE_1)
	s_or_b32 s9, s11, s9
	v_cndmask_b32_e64 v19, v5, v15, s9
	v_cndmask_b32_e64 v24, v21, v20, s9
	s_delay_alu instid0(VALU_DEP_2) | instskip(NEXT) | instid1(VALU_DEP_2)
	v_add_nc_u32_e32 v25, 1, v19
	v_add_nc_u32_e32 v24, -1, v24
	v_lshl_add_u32 v19, v19, 3, v8
	s_delay_alu instid0(VALU_DEP_3) | instskip(NEXT) | instid1(VALU_DEP_3)
	v_cndmask_b32_e64 v15, v15, v25, s9
	v_min_u32_e32 v24, v25, v24
	v_cndmask_b32_e64 v5, v25, v5, s9
	s_delay_alu instid0(VALU_DEP_3) | instskip(NEXT) | instid1(VALU_DEP_3)
	v_cmp_lt_u32_e64 s10, v15, v20
	v_lshl_add_u32 v24, v24, 2, v9
	s_delay_alu instid0(VALU_DEP_3) | instskip(SKIP_4) | instid1(VALU_DEP_1)
	v_cmp_ge_u32_e64 s12, v5, v21
	ds_load_b32 v24, v24
	s_waitcnt lgkmcnt(0)
	v_cndmask_b32_e64 v26, v24, v23, s9
	v_cndmask_b32_e64 v24, v18, v24, s9
	v_cmp_le_i32_e64 s11, v26, v24
	s_delay_alu instid0(VALU_DEP_1) | instskip(NEXT) | instid1(SALU_CYCLE_1)
	s_and_b32 s10, s10, s11
	s_or_b32 s10, s12, s10
	s_delay_alu instid0(SALU_CYCLE_1) | instskip(SKIP_1) | instid1(VALU_DEP_2)
	v_cndmask_b32_e64 v25, v5, v15, s10
	v_cndmask_b32_e64 v27, v21, v20, s10
	v_add_nc_u32_e32 v28, 1, v25
	s_delay_alu instid0(VALU_DEP_2) | instskip(NEXT) | instid1(VALU_DEP_2)
	v_add_nc_u32_e32 v27, -1, v27
	v_cndmask_b32_e64 v15, v15, v28, s10
	s_delay_alu instid0(VALU_DEP_2) | instskip(SKIP_1) | instid1(VALU_DEP_3)
	v_min_u32_e32 v27, v28, v27
	v_cndmask_b32_e64 v5, v28, v5, s10
	v_cmp_lt_u32_e64 s11, v15, v20
	s_delay_alu instid0(VALU_DEP_3) | instskip(NEXT) | instid1(VALU_DEP_3)
	v_lshl_add_u32 v27, v27, 2, v9
	v_cmp_ge_u32_e64 s13, v5, v21
	ds_load_b32 v27, v27
	s_waitcnt lgkmcnt(0)
	v_cndmask_b32_e64 v29, v27, v26, s10
	v_cndmask_b32_e64 v27, v24, v27, s10
	s_delay_alu instid0(VALU_DEP_1) | instskip(NEXT) | instid1(VALU_DEP_1)
	v_cmp_le_i32_e64 s12, v29, v27
	s_and_b32 s11, s11, s12
	s_delay_alu instid0(SALU_CYCLE_1) | instskip(NEXT) | instid1(SALU_CYCLE_1)
	s_or_b32 s11, s13, s11
	v_cndmask_b32_e64 v28, v5, v15, s11
	v_cndmask_b32_e64 v30, v21, v20, s11
	;; [unrolled: 1-line block ×3, first 2 shown]
	s_delay_alu instid0(VALU_DEP_3) | instskip(NEXT) | instid1(VALU_DEP_3)
	v_add_nc_u32_e32 v31, 1, v28
	v_add_nc_u32_e32 v30, -1, v30
	s_delay_alu instid0(VALU_DEP_2) | instskip(NEXT) | instid1(VALU_DEP_2)
	v_cndmask_b32_e64 v15, v15, v31, s11
	v_min_u32_e32 v30, v31, v30
	v_cndmask_b32_e64 v5, v31, v5, s11
	s_delay_alu instid0(VALU_DEP_3) | instskip(NEXT) | instid1(VALU_DEP_3)
	v_cmp_lt_u32_e64 s12, v15, v20
	v_lshl_add_u32 v30, v30, 2, v9
	s_delay_alu instid0(VALU_DEP_3) | instskip(SKIP_4) | instid1(VALU_DEP_1)
	v_cmp_ge_u32_e64 s14, v5, v21
	ds_load_b32 v30, v30
	s_waitcnt lgkmcnt(0)
	v_cndmask_b32_e64 v32, v30, v29, s11
	v_cndmask_b32_e64 v30, v27, v30, s11
	v_cmp_le_i32_e64 s13, v32, v30
	s_delay_alu instid0(VALU_DEP_1) | instskip(NEXT) | instid1(SALU_CYCLE_1)
	s_and_b32 s12, s12, s13
	s_or_b32 s12, s14, s12
	s_delay_alu instid0(SALU_CYCLE_1) | instskip(SKIP_2) | instid1(VALU_DEP_3)
	v_cndmask_b32_e64 v31, v5, v15, s12
	v_cndmask_b32_e64 v33, v21, v20, s12
	v_cndmask_b32_e64 v17, v32, v30, s12
	v_add_nc_u32_e32 v34, 1, v31
	s_delay_alu instid0(VALU_DEP_3) | instskip(NEXT) | instid1(VALU_DEP_2)
	v_add_nc_u32_e32 v33, -1, v33
	v_cndmask_b32_e64 v15, v15, v34, s12
	s_delay_alu instid0(VALU_DEP_2) | instskip(SKIP_1) | instid1(VALU_DEP_3)
	v_min_u32_e32 v33, v34, v33
	v_cndmask_b32_e64 v5, v34, v5, s12
	v_cmp_lt_u32_e64 s13, v15, v20
	s_delay_alu instid0(VALU_DEP_3) | instskip(NEXT) | instid1(VALU_DEP_3)
	v_lshl_add_u32 v33, v33, 2, v9
	v_cmp_ge_u32_e64 s15, v5, v21
	ds_load_b32 v33, v33
	s_waitcnt lgkmcnt(0)
	v_cndmask_b32_e64 v36, v33, v32, s12
	v_cndmask_b32_e64 v33, v30, v33, s12
	s_delay_alu instid0(VALU_DEP_1) | instskip(NEXT) | instid1(VALU_DEP_1)
	v_cmp_le_i32_e64 s14, v36, v33
	s_and_b32 s13, s13, s14
	s_delay_alu instid0(SALU_CYCLE_1) | instskip(NEXT) | instid1(SALU_CYCLE_1)
	s_or_b32 s13, s15, s13
	v_cndmask_b32_e64 v37, v5, v15, s13
	v_cndmask_b32_e64 v34, v21, v20, s13
	s_delay_alu instid0(VALU_DEP_2) | instskip(NEXT) | instid1(VALU_DEP_2)
	v_add_nc_u32_e32 v35, 1, v37
	v_add_nc_u32_e32 v34, -1, v34
	s_delay_alu instid0(VALU_DEP_2) | instskip(NEXT) | instid1(VALU_DEP_2)
	v_cndmask_b32_e64 v15, v15, v35, s13
	v_min_u32_e32 v34, v35, v34
	v_cndmask_b32_e64 v38, v35, v5, s13
	s_delay_alu instid0(VALU_DEP_3) | instskip(NEXT) | instid1(VALU_DEP_3)
	v_cmp_lt_u32_e64 s14, v15, v20
	v_lshl_add_u32 v34, v34, 2, v9
	s_delay_alu instid0(VALU_DEP_3)
	v_cmp_ge_u32_e64 s16, v38, v21
	v_lshl_add_u32 v20, v31, 3, v8
	v_lshl_add_u32 v21, v37, 3, v8
	ds_load_b32 v34, v34
	s_waitcnt lgkmcnt(0)
	v_cndmask_b32_e64 v68, v34, v36, s13
	v_cndmask_b32_e64 v69, v33, v34, s13
	ds_load_b64 v[4:5], v4 offset:8192
	ds_load_b64 v[34:35], v14 offset:8192
	;; [unrolled: 1-line block ×3, first 2 shown]
	v_lshl_add_u32 v19, v28, 3, v8
	v_cmp_le_i32_e64 s15, v68, v69
	s_delay_alu instid0(VALU_DEP_1) | instskip(NEXT) | instid1(SALU_CYCLE_1)
	s_and_b32 s14, s14, s15
	s_or_b32 s14, s16, s14
	s_delay_alu instid0(SALU_CYCLE_1) | instskip(SKIP_1) | instid1(VALU_DEP_2)
	v_cndmask_b32_e64 v14, v38, v15, s14
	v_lshl_add_u32 v15, v25, 3, v8
	v_lshl_add_u32 v14, v14, 3, v8
	ds_load_b64 v[52:53], v15 offset:8192
	ds_load_b64 v[66:67], v19 offset:8192
	;; [unrolled: 1-line block ×5, first 2 shown]
	v_cndmask_b32_e64 v14, v23, v18, s9
	v_cndmask_b32_e64 v15, v26, v24, s10
	;; [unrolled: 1-line block ×4, first 2 shown]
.LBB514_196:
	s_or_b32 exec_lo, exec_lo, s18
	v_and_b32_e32 v25, 0xc0, v82
	v_and_b32_e32 v23, 56, v82
	s_mov_b32 s8, exec_lo
	; wave barrier
	s_delay_alu instid0(VALU_DEP_2) | instskip(NEXT) | instid1(VALU_DEP_2)
	v_or_b32_e32 v20, 32, v25
	v_min_u32_e32 v26, v11, v23
	s_waitcnt lgkmcnt(6)
	ds_store_2addr_b64 v10, v[4:5], v[34:35] offset1:1
	s_waitcnt lgkmcnt(5)
	ds_store_2addr_b64 v10, v[64:65], v[52:53] offset0:2 offset1:3
	ds_store_2addr_b64 v22, v[12:13], v[14:15] offset1:1
	ds_store_2addr_b64 v22, v[16:17], v[18:19] offset0:2 offset1:3
	s_waitcnt lgkmcnt(6)
	ds_store_2addr_b64 v10, v[66:67], v[50:51] offset0:4 offset1:5
	s_waitcnt lgkmcnt(5)
	ds_store_2addr_b64 v10, v[48:49], v[38:39] offset0:6 offset1:7
	v_min_u32_e32 v20, v11, v20
	; wave barrier
	s_delay_alu instid0(VALU_DEP_1) | instskip(SKIP_1) | instid1(VALU_DEP_2)
	v_add_nc_u32_e32 v21, 32, v20
	v_sub_nc_u32_e32 v23, v20, v25
	v_min_u32_e32 v21, v11, v21
	s_delay_alu instid0(VALU_DEP_2) | instskip(NEXT) | instid1(VALU_DEP_2)
	v_min_u32_e32 v27, v26, v23
	v_sub_nc_u32_e32 v24, v21, v20
	s_delay_alu instid0(VALU_DEP_1) | instskip(SKIP_1) | instid1(VALU_DEP_2)
	v_sub_nc_u32_e64 v23, v26, v24 clamp
	v_lshl_add_u32 v24, v25, 2, v9
	v_cmpx_lt_u32_e64 v23, v27
	s_cbranch_execz .LBB514_200
; %bb.197:
	v_lshlrev_b32_e32 v28, 2, v20
	v_lshlrev_b32_e32 v29, 2, v26
	s_mov_b32 s9, 0
	s_delay_alu instid0(VALU_DEP_1)
	v_add3_u32 v28, v9, v28, v29
	.p2align	6
.LBB514_198:                            ; =>This Inner Loop Header: Depth=1
	v_add_nc_u32_e32 v29, v27, v23
	s_delay_alu instid0(VALU_DEP_1) | instskip(NEXT) | instid1(VALU_DEP_1)
	v_lshrrev_b32_e32 v29, 1, v29
	v_not_b32_e32 v30, v29
	v_lshl_add_u32 v31, v29, 2, v24
	v_add_nc_u32_e32 v32, 1, v29
	s_delay_alu instid0(VALU_DEP_3) | instskip(SKIP_4) | instid1(VALU_DEP_1)
	v_lshl_add_u32 v30, v30, 2, v28
	ds_load_b32 v31, v31
	ds_load_b32 v30, v30
	s_waitcnt lgkmcnt(0)
	v_cmp_gt_i32_e64 s7, v30, v31
	v_cndmask_b32_e64 v27, v27, v29, s7
	v_cndmask_b32_e64 v23, v32, v23, s7
	s_delay_alu instid0(VALU_DEP_1) | instskip(NEXT) | instid1(VALU_DEP_1)
	v_cmp_ge_u32_e64 s7, v23, v27
	s_or_b32 s9, s7, s9
	s_delay_alu instid0(SALU_CYCLE_1)
	s_and_not1_b32 exec_lo, exec_lo, s9
	s_cbranch_execnz .LBB514_198
; %bb.199:
	s_or_b32 exec_lo, exec_lo, s9
.LBB514_200:
	s_delay_alu instid0(SALU_CYCLE_1) | instskip(SKIP_2) | instid1(VALU_DEP_2)
	s_or_b32 exec_lo, exec_lo, s8
	v_add_nc_u32_e32 v27, v20, v26
	v_add_nc_u32_e32 v26, v23, v25
	v_sub_nc_u32_e32 v25, v27, v23
	s_delay_alu instid0(VALU_DEP_2) | instskip(NEXT) | instid1(VALU_DEP_2)
	v_cmp_le_u32_e64 s7, v26, v20
	v_cmp_le_u32_e64 s8, v25, v21
	s_delay_alu instid0(VALU_DEP_1) | instskip(NEXT) | instid1(SALU_CYCLE_1)
	s_or_b32 s7, s7, s8
	s_and_saveexec_b32 s18, s7
	s_cbranch_execz .LBB514_206
; %bb.201:
	v_cmp_lt_u32_e64 s7, v26, v20
                                        ; implicit-def: $vgpr12
	s_delay_alu instid0(VALU_DEP_1)
	s_and_saveexec_b32 s8, s7
	s_cbranch_execz .LBB514_203
; %bb.202:
	v_lshl_add_u32 v4, v23, 2, v24
	ds_load_b32 v12, v4
.LBB514_203:
	s_or_b32 exec_lo, exec_lo, s8
	v_cmp_ge_u32_e64 s8, v25, v21
	s_mov_b32 s10, exec_lo
                                        ; implicit-def: $vgpr13
	v_cmpx_lt_u32_e64 v25, v21
	s_cbranch_execz .LBB514_205
; %bb.204:
	v_lshl_add_u32 v4, v25, 2, v9
	ds_load_b32 v13, v4
.LBB514_205:
	s_or_b32 exec_lo, exec_lo, s10
	s_waitcnt lgkmcnt(0)
	v_cmp_le_i32_e64 s9, v13, v12
	s_delay_alu instid0(VALU_DEP_1) | instskip(NEXT) | instid1(SALU_CYCLE_1)
	s_and_b32 s7, s7, s9
	s_or_b32 s7, s8, s7
	s_delay_alu instid0(SALU_CYCLE_1) | instskip(SKIP_1) | instid1(VALU_DEP_2)
	v_cndmask_b32_e64 v4, v25, v26, s7
	v_cndmask_b32_e64 v5, v21, v20, s7
	v_add_nc_u32_e32 v14, 1, v4
	s_delay_alu instid0(VALU_DEP_2) | instskip(SKIP_1) | instid1(VALU_DEP_3)
	v_add_nc_u32_e32 v5, -1, v5
	v_lshl_add_u32 v4, v4, 3, v8
	v_cndmask_b32_e64 v15, v26, v14, s7
	s_delay_alu instid0(VALU_DEP_3) | instskip(NEXT) | instid1(VALU_DEP_2)
	v_min_u32_e32 v5, v14, v5
	v_cmp_lt_u32_e64 s8, v15, v20
	s_delay_alu instid0(VALU_DEP_2)
	v_lshl_add_u32 v5, v5, 2, v9
	ds_load_b32 v5, v5
	s_waitcnt lgkmcnt(0)
	v_cndmask_b32_e64 v16, v5, v13, s7
	v_cndmask_b32_e64 v17, v12, v5, s7
	;; [unrolled: 1-line block ×4, first 2 shown]
	s_delay_alu instid0(VALU_DEP_3) | instskip(NEXT) | instid1(VALU_DEP_3)
	v_cmp_le_i32_e64 s9, v16, v17
	v_cmp_ge_u32_e64 s10, v5, v21
	s_delay_alu instid0(VALU_DEP_2)
	s_and_b32 s8, s8, s9
	s_delay_alu instid0(VALU_DEP_1) | instid1(SALU_CYCLE_1)
	s_or_b32 s8, s10, s8
	s_delay_alu instid0(SALU_CYCLE_1) | instskip(SKIP_2) | instid1(VALU_DEP_3)
	v_cndmask_b32_e64 v14, v5, v15, s8
	v_cndmask_b32_e64 v18, v21, v20, s8
	v_cndmask_b32_e64 v13, v16, v17, s8
	v_add_nc_u32_e32 v19, 1, v14
	s_delay_alu instid0(VALU_DEP_3) | instskip(SKIP_1) | instid1(VALU_DEP_3)
	v_add_nc_u32_e32 v18, -1, v18
	v_lshl_add_u32 v14, v14, 3, v8
	v_cndmask_b32_e64 v15, v15, v19, s8
	s_delay_alu instid0(VALU_DEP_3) | instskip(SKIP_1) | instid1(VALU_DEP_3)
	v_min_u32_e32 v18, v19, v18
	v_cndmask_b32_e64 v5, v19, v5, s8
	v_cmp_lt_u32_e64 s9, v15, v20
	s_delay_alu instid0(VALU_DEP_3) | instskip(NEXT) | instid1(VALU_DEP_3)
	v_lshl_add_u32 v18, v18, 2, v9
	v_cmp_ge_u32_e64 s11, v5, v21
	ds_load_b32 v18, v18
	s_waitcnt lgkmcnt(0)
	v_cndmask_b32_e64 v23, v18, v16, s8
	v_cndmask_b32_e64 v18, v17, v18, s8
	s_delay_alu instid0(VALU_DEP_1) | instskip(NEXT) | instid1(VALU_DEP_1)
	v_cmp_le_i32_e64 s10, v23, v18
	s_and_b32 s9, s9, s10
	s_delay_alu instid0(SALU_CYCLE_1) | instskip(NEXT) | instid1(SALU_CYCLE_1)
	s_or_b32 s9, s11, s9
	v_cndmask_b32_e64 v19, v5, v15, s9
	v_cndmask_b32_e64 v24, v21, v20, s9
	s_delay_alu instid0(VALU_DEP_2) | instskip(NEXT) | instid1(VALU_DEP_2)
	v_add_nc_u32_e32 v25, 1, v19
	v_add_nc_u32_e32 v24, -1, v24
	v_lshl_add_u32 v19, v19, 3, v8
	s_delay_alu instid0(VALU_DEP_3) | instskip(NEXT) | instid1(VALU_DEP_3)
	v_cndmask_b32_e64 v15, v15, v25, s9
	v_min_u32_e32 v24, v25, v24
	v_cndmask_b32_e64 v5, v25, v5, s9
	s_delay_alu instid0(VALU_DEP_3) | instskip(NEXT) | instid1(VALU_DEP_3)
	v_cmp_lt_u32_e64 s10, v15, v20
	v_lshl_add_u32 v24, v24, 2, v9
	s_delay_alu instid0(VALU_DEP_3) | instskip(SKIP_4) | instid1(VALU_DEP_1)
	v_cmp_ge_u32_e64 s12, v5, v21
	ds_load_b32 v24, v24
	s_waitcnt lgkmcnt(0)
	v_cndmask_b32_e64 v26, v24, v23, s9
	v_cndmask_b32_e64 v24, v18, v24, s9
	v_cmp_le_i32_e64 s11, v26, v24
	s_delay_alu instid0(VALU_DEP_1) | instskip(NEXT) | instid1(SALU_CYCLE_1)
	s_and_b32 s10, s10, s11
	s_or_b32 s10, s12, s10
	s_delay_alu instid0(SALU_CYCLE_1) | instskip(SKIP_1) | instid1(VALU_DEP_2)
	v_cndmask_b32_e64 v25, v5, v15, s10
	v_cndmask_b32_e64 v27, v21, v20, s10
	v_add_nc_u32_e32 v28, 1, v25
	s_delay_alu instid0(VALU_DEP_2) | instskip(NEXT) | instid1(VALU_DEP_2)
	v_add_nc_u32_e32 v27, -1, v27
	v_cndmask_b32_e64 v15, v15, v28, s10
	s_delay_alu instid0(VALU_DEP_2) | instskip(SKIP_1) | instid1(VALU_DEP_3)
	v_min_u32_e32 v27, v28, v27
	v_cndmask_b32_e64 v5, v28, v5, s10
	v_cmp_lt_u32_e64 s11, v15, v20
	s_delay_alu instid0(VALU_DEP_3) | instskip(NEXT) | instid1(VALU_DEP_3)
	v_lshl_add_u32 v27, v27, 2, v9
	v_cmp_ge_u32_e64 s13, v5, v21
	ds_load_b32 v27, v27
	s_waitcnt lgkmcnt(0)
	v_cndmask_b32_e64 v29, v27, v26, s10
	v_cndmask_b32_e64 v27, v24, v27, s10
	s_delay_alu instid0(VALU_DEP_1) | instskip(NEXT) | instid1(VALU_DEP_1)
	v_cmp_le_i32_e64 s12, v29, v27
	s_and_b32 s11, s11, s12
	s_delay_alu instid0(SALU_CYCLE_1) | instskip(NEXT) | instid1(SALU_CYCLE_1)
	s_or_b32 s11, s13, s11
	v_cndmask_b32_e64 v28, v5, v15, s11
	v_cndmask_b32_e64 v30, v21, v20, s11
	;; [unrolled: 1-line block ×3, first 2 shown]
	s_delay_alu instid0(VALU_DEP_3) | instskip(NEXT) | instid1(VALU_DEP_3)
	v_add_nc_u32_e32 v31, 1, v28
	v_add_nc_u32_e32 v30, -1, v30
	s_delay_alu instid0(VALU_DEP_2) | instskip(NEXT) | instid1(VALU_DEP_2)
	v_cndmask_b32_e64 v15, v15, v31, s11
	v_min_u32_e32 v30, v31, v30
	v_cndmask_b32_e64 v5, v31, v5, s11
	s_delay_alu instid0(VALU_DEP_3) | instskip(NEXT) | instid1(VALU_DEP_3)
	v_cmp_lt_u32_e64 s12, v15, v20
	v_lshl_add_u32 v30, v30, 2, v9
	s_delay_alu instid0(VALU_DEP_3) | instskip(SKIP_4) | instid1(VALU_DEP_1)
	v_cmp_ge_u32_e64 s14, v5, v21
	ds_load_b32 v30, v30
	s_waitcnt lgkmcnt(0)
	v_cndmask_b32_e64 v32, v30, v29, s11
	v_cndmask_b32_e64 v30, v27, v30, s11
	v_cmp_le_i32_e64 s13, v32, v30
	s_delay_alu instid0(VALU_DEP_1) | instskip(NEXT) | instid1(SALU_CYCLE_1)
	s_and_b32 s12, s12, s13
	s_or_b32 s12, s14, s12
	s_delay_alu instid0(SALU_CYCLE_1) | instskip(SKIP_2) | instid1(VALU_DEP_3)
	v_cndmask_b32_e64 v31, v5, v15, s12
	v_cndmask_b32_e64 v33, v21, v20, s12
	;; [unrolled: 1-line block ×3, first 2 shown]
	v_add_nc_u32_e32 v34, 1, v31
	s_delay_alu instid0(VALU_DEP_3) | instskip(NEXT) | instid1(VALU_DEP_2)
	v_add_nc_u32_e32 v33, -1, v33
	v_cndmask_b32_e64 v15, v15, v34, s12
	s_delay_alu instid0(VALU_DEP_2) | instskip(SKIP_1) | instid1(VALU_DEP_3)
	v_min_u32_e32 v33, v34, v33
	v_cndmask_b32_e64 v5, v34, v5, s12
	v_cmp_lt_u32_e64 s13, v15, v20
	s_delay_alu instid0(VALU_DEP_3) | instskip(NEXT) | instid1(VALU_DEP_3)
	v_lshl_add_u32 v33, v33, 2, v9
	v_cmp_ge_u32_e64 s15, v5, v21
	ds_load_b32 v33, v33
	s_waitcnt lgkmcnt(0)
	v_cndmask_b32_e64 v36, v33, v32, s12
	v_cndmask_b32_e64 v33, v30, v33, s12
	s_delay_alu instid0(VALU_DEP_1) | instskip(NEXT) | instid1(VALU_DEP_1)
	v_cmp_le_i32_e64 s14, v36, v33
	s_and_b32 s13, s13, s14
	s_delay_alu instid0(SALU_CYCLE_1) | instskip(NEXT) | instid1(SALU_CYCLE_1)
	s_or_b32 s13, s15, s13
	v_cndmask_b32_e64 v37, v5, v15, s13
	v_cndmask_b32_e64 v34, v21, v20, s13
	s_delay_alu instid0(VALU_DEP_2) | instskip(NEXT) | instid1(VALU_DEP_2)
	v_add_nc_u32_e32 v35, 1, v37
	v_add_nc_u32_e32 v34, -1, v34
	s_delay_alu instid0(VALU_DEP_2) | instskip(NEXT) | instid1(VALU_DEP_2)
	v_cndmask_b32_e64 v15, v15, v35, s13
	v_min_u32_e32 v34, v35, v34
	v_cndmask_b32_e64 v38, v35, v5, s13
	s_delay_alu instid0(VALU_DEP_3) | instskip(NEXT) | instid1(VALU_DEP_3)
	v_cmp_lt_u32_e64 s14, v15, v20
	v_lshl_add_u32 v34, v34, 2, v9
	s_delay_alu instid0(VALU_DEP_3)
	v_cmp_ge_u32_e64 s16, v38, v21
	v_lshl_add_u32 v20, v31, 3, v8
	v_lshl_add_u32 v21, v37, 3, v8
	ds_load_b32 v34, v34
	s_waitcnt lgkmcnt(0)
	v_cndmask_b32_e64 v68, v34, v36, s13
	v_cndmask_b32_e64 v69, v33, v34, s13
	ds_load_b64 v[4:5], v4 offset:8192
	ds_load_b64 v[34:35], v14 offset:8192
	;; [unrolled: 1-line block ×3, first 2 shown]
	v_lshl_add_u32 v19, v28, 3, v8
	v_cmp_le_i32_e64 s15, v68, v69
	s_delay_alu instid0(VALU_DEP_1) | instskip(NEXT) | instid1(SALU_CYCLE_1)
	s_and_b32 s14, s14, s15
	s_or_b32 s14, s16, s14
	s_delay_alu instid0(SALU_CYCLE_1) | instskip(SKIP_1) | instid1(VALU_DEP_2)
	v_cndmask_b32_e64 v14, v38, v15, s14
	v_lshl_add_u32 v15, v25, 3, v8
	v_lshl_add_u32 v14, v14, 3, v8
	ds_load_b64 v[52:53], v15 offset:8192
	ds_load_b64 v[66:67], v19 offset:8192
	;; [unrolled: 1-line block ×5, first 2 shown]
	v_cndmask_b32_e64 v14, v23, v18, s9
	v_cndmask_b32_e64 v15, v26, v24, s10
	;; [unrolled: 1-line block ×4, first 2 shown]
.LBB514_206:
	s_or_b32 exec_lo, exec_lo, s18
	v_and_b32_e32 v23, 0x80, v82
	v_min_u32_e32 v24, v11, v83
	; wave barrier
	s_waitcnt lgkmcnt(6)
	ds_store_2addr_b64 v10, v[4:5], v[34:35] offset1:1
	s_waitcnt lgkmcnt(5)
	ds_store_2addr_b64 v10, v[64:65], v[52:53] offset0:2 offset1:3
	ds_store_2addr_b64 v22, v[12:13], v[14:15] offset1:1
	ds_store_2addr_b64 v22, v[16:17], v[18:19] offset0:2 offset1:3
	v_or_b32_e32 v20, 64, v23
	v_lshl_add_u32 v22, v23, 2, v9
	s_mov_b32 s8, exec_lo
	s_waitcnt lgkmcnt(6)
	ds_store_2addr_b64 v10, v[66:67], v[50:51] offset0:4 offset1:5
	s_waitcnt lgkmcnt(5)
	ds_store_2addr_b64 v10, v[48:49], v[38:39] offset0:6 offset1:7
	v_min_u32_e32 v21, v11, v20
	; wave barrier
	s_delay_alu instid0(VALU_DEP_1) | instskip(NEXT) | instid1(VALU_DEP_1)
	v_add_nc_u32_e32 v20, 64, v21
	v_min_u32_e32 v20, v11, v20
	v_sub_nc_u32_e32 v11, v21, v23
	s_delay_alu instid0(VALU_DEP_2) | instskip(NEXT) | instid1(VALU_DEP_2)
	v_sub_nc_u32_e32 v26, v20, v21
	v_min_u32_e32 v25, v24, v11
	s_delay_alu instid0(VALU_DEP_2) | instskip(NEXT) | instid1(VALU_DEP_1)
	v_sub_nc_u32_e64 v11, v24, v26 clamp
	v_cmpx_lt_u32_e64 v11, v25
	s_cbranch_execz .LBB514_210
; %bb.207:
	v_lshlrev_b32_e32 v10, 2, v21
	v_lshlrev_b32_e32 v26, 2, v24
	s_mov_b32 s9, 0
	s_delay_alu instid0(VALU_DEP_1)
	v_add3_u32 v10, v9, v10, v26
	.p2align	6
.LBB514_208:                            ; =>This Inner Loop Header: Depth=1
	v_add_nc_u32_e32 v26, v25, v11
	s_delay_alu instid0(VALU_DEP_1) | instskip(NEXT) | instid1(VALU_DEP_1)
	v_lshrrev_b32_e32 v26, 1, v26
	v_not_b32_e32 v27, v26
	v_lshl_add_u32 v28, v26, 2, v22
	v_add_nc_u32_e32 v29, 1, v26
	s_delay_alu instid0(VALU_DEP_3) | instskip(SKIP_4) | instid1(VALU_DEP_1)
	v_lshl_add_u32 v27, v27, 2, v10
	ds_load_b32 v28, v28
	ds_load_b32 v27, v27
	s_waitcnt lgkmcnt(0)
	v_cmp_gt_i32_e64 s7, v27, v28
	v_cndmask_b32_e64 v25, v25, v26, s7
	v_cndmask_b32_e64 v11, v29, v11, s7
	s_delay_alu instid0(VALU_DEP_1) | instskip(NEXT) | instid1(VALU_DEP_1)
	v_cmp_ge_u32_e64 s7, v11, v25
	s_or_b32 s9, s7, s9
	s_delay_alu instid0(SALU_CYCLE_1)
	s_and_not1_b32 exec_lo, exec_lo, s9
	s_cbranch_execnz .LBB514_208
; %bb.209:
	s_or_b32 exec_lo, exec_lo, s9
.LBB514_210:
	s_delay_alu instid0(SALU_CYCLE_1) | instskip(SKIP_2) | instid1(VALU_DEP_2)
	s_or_b32 exec_lo, exec_lo, s8
	v_add_nc_u32_e32 v10, v21, v24
	v_add_nc_u32_e32 v24, v11, v23
	v_sub_nc_u32_e32 v23, v10, v11
	s_delay_alu instid0(VALU_DEP_2) | instskip(NEXT) | instid1(VALU_DEP_2)
	v_cmp_le_u32_e64 s7, v24, v21
	v_cmp_le_u32_e64 s8, v23, v20
	s_delay_alu instid0(VALU_DEP_1) | instskip(NEXT) | instid1(SALU_CYCLE_1)
	s_or_b32 s7, s7, s8
	s_and_saveexec_b32 s18, s7
	s_cbranch_execz .LBB514_216
; %bb.211:
	v_cmp_lt_u32_e64 s7, v24, v21
                                        ; implicit-def: $vgpr10
	s_delay_alu instid0(VALU_DEP_1)
	s_and_saveexec_b32 s8, s7
	s_cbranch_execz .LBB514_213
; %bb.212:
	v_lshl_add_u32 v4, v11, 2, v22
	ds_load_b32 v10, v4
.LBB514_213:
	s_or_b32 exec_lo, exec_lo, s8
	v_cmp_ge_u32_e64 s8, v23, v20
	s_mov_b32 s10, exec_lo
                                        ; implicit-def: $vgpr11
	v_cmpx_lt_u32_e64 v23, v20
	s_cbranch_execz .LBB514_215
; %bb.214:
	v_lshl_add_u32 v4, v23, 2, v9
	ds_load_b32 v11, v4
.LBB514_215:
	s_or_b32 exec_lo, exec_lo, s10
	s_waitcnt lgkmcnt(0)
	v_cmp_le_i32_e64 s9, v11, v10
	s_delay_alu instid0(VALU_DEP_1) | instskip(NEXT) | instid1(SALU_CYCLE_1)
	s_and_b32 s7, s7, s9
	s_or_b32 s7, s8, s7
	s_delay_alu instid0(SALU_CYCLE_1) | instskip(SKIP_1) | instid1(VALU_DEP_2)
	v_cndmask_b32_e64 v4, v23, v24, s7
	v_cndmask_b32_e64 v5, v20, v21, s7
	v_add_nc_u32_e32 v12, 1, v4
	s_delay_alu instid0(VALU_DEP_2) | instskip(SKIP_1) | instid1(VALU_DEP_3)
	v_add_nc_u32_e32 v5, -1, v5
	v_lshl_add_u32 v4, v4, 3, v8
	v_cndmask_b32_e64 v13, v24, v12, s7
	s_delay_alu instid0(VALU_DEP_3) | instskip(NEXT) | instid1(VALU_DEP_2)
	v_min_u32_e32 v5, v12, v5
	v_cmp_lt_u32_e64 s8, v13, v21
	s_delay_alu instid0(VALU_DEP_2)
	v_lshl_add_u32 v5, v5, 2, v9
	ds_load_b32 v5, v5
	s_waitcnt lgkmcnt(0)
	v_cndmask_b32_e64 v14, v5, v11, s7
	v_cndmask_b32_e64 v15, v10, v5, s7
	;; [unrolled: 1-line block ×3, first 2 shown]
	s_delay_alu instid0(VALU_DEP_2) | instskip(NEXT) | instid1(VALU_DEP_2)
	v_cmp_le_i32_e64 s9, v14, v15
	v_cmp_ge_u32_e64 s10, v5, v20
	s_delay_alu instid0(VALU_DEP_2)
	s_and_b32 s8, s8, s9
	s_delay_alu instid0(VALU_DEP_1) | instid1(SALU_CYCLE_1)
	s_or_b32 s8, s10, s8
	s_delay_alu instid0(SALU_CYCLE_1) | instskip(SKIP_1) | instid1(VALU_DEP_2)
	v_cndmask_b32_e64 v12, v5, v13, s8
	v_cndmask_b32_e64 v16, v20, v21, s8
	v_add_nc_u32_e32 v17, 1, v12
	s_delay_alu instid0(VALU_DEP_2) | instskip(SKIP_1) | instid1(VALU_DEP_3)
	v_add_nc_u32_e32 v16, -1, v16
	v_lshl_add_u32 v12, v12, 3, v8
	v_cndmask_b32_e64 v13, v13, v17, s8
	s_delay_alu instid0(VALU_DEP_3) | instskip(SKIP_1) | instid1(VALU_DEP_3)
	v_min_u32_e32 v16, v17, v16
	v_cndmask_b32_e64 v5, v17, v5, s8
	v_cmp_lt_u32_e64 s9, v13, v21
	s_delay_alu instid0(VALU_DEP_3) | instskip(NEXT) | instid1(VALU_DEP_3)
	v_lshl_add_u32 v16, v16, 2, v9
	v_cmp_ge_u32_e64 s11, v5, v20
	ds_load_b32 v16, v16
	s_waitcnt lgkmcnt(0)
	v_cndmask_b32_e64 v18, v16, v14, s8
	v_cndmask_b32_e64 v16, v15, v16, s8
	s_delay_alu instid0(VALU_DEP_1) | instskip(NEXT) | instid1(VALU_DEP_1)
	v_cmp_le_i32_e64 s10, v18, v16
	s_and_b32 s9, s9, s10
	s_delay_alu instid0(SALU_CYCLE_1) | instskip(NEXT) | instid1(SALU_CYCLE_1)
	s_or_b32 s9, s11, s9
	v_cndmask_b32_e64 v17, v5, v13, s9
	v_cndmask_b32_e64 v19, v20, v21, s9
	s_delay_alu instid0(VALU_DEP_2) | instskip(NEXT) | instid1(VALU_DEP_2)
	v_add_nc_u32_e32 v22, 1, v17
	v_add_nc_u32_e32 v19, -1, v19
	v_lshl_add_u32 v17, v17, 3, v8
	s_delay_alu instid0(VALU_DEP_3) | instskip(NEXT) | instid1(VALU_DEP_3)
	v_cndmask_b32_e64 v13, v13, v22, s9
	v_min_u32_e32 v19, v22, v19
	v_cndmask_b32_e64 v5, v22, v5, s9
	s_delay_alu instid0(VALU_DEP_3) | instskip(NEXT) | instid1(VALU_DEP_3)
	v_cmp_lt_u32_e64 s10, v13, v21
	v_lshl_add_u32 v19, v19, 2, v9
	s_delay_alu instid0(VALU_DEP_3) | instskip(SKIP_4) | instid1(VALU_DEP_1)
	v_cmp_ge_u32_e64 s12, v5, v20
	ds_load_b32 v19, v19
	s_waitcnt lgkmcnt(0)
	v_cndmask_b32_e64 v23, v19, v18, s9
	v_cndmask_b32_e64 v19, v16, v19, s9
	v_cmp_le_i32_e64 s11, v23, v19
	s_delay_alu instid0(VALU_DEP_1) | instskip(NEXT) | instid1(SALU_CYCLE_1)
	s_and_b32 s10, s10, s11
	s_or_b32 s10, s12, s10
	s_delay_alu instid0(SALU_CYCLE_1) | instskip(SKIP_1) | instid1(VALU_DEP_2)
	v_cndmask_b32_e64 v22, v5, v13, s10
	v_cndmask_b32_e64 v24, v20, v21, s10
	v_add_nc_u32_e32 v25, 1, v22
	s_delay_alu instid0(VALU_DEP_2) | instskip(NEXT) | instid1(VALU_DEP_2)
	v_add_nc_u32_e32 v24, -1, v24
	v_cndmask_b32_e64 v13, v13, v25, s10
	s_delay_alu instid0(VALU_DEP_2) | instskip(SKIP_1) | instid1(VALU_DEP_3)
	v_min_u32_e32 v24, v25, v24
	v_cndmask_b32_e64 v5, v25, v5, s10
	v_cmp_lt_u32_e64 s11, v13, v21
	s_delay_alu instid0(VALU_DEP_3) | instskip(NEXT) | instid1(VALU_DEP_3)
	v_lshl_add_u32 v24, v24, 2, v9
	v_cmp_ge_u32_e64 s13, v5, v20
	ds_load_b32 v24, v24
	s_waitcnt lgkmcnt(0)
	v_cndmask_b32_e64 v26, v24, v23, s10
	v_cndmask_b32_e64 v24, v19, v24, s10
	s_delay_alu instid0(VALU_DEP_1) | instskip(NEXT) | instid1(VALU_DEP_1)
	v_cmp_le_i32_e64 s12, v26, v24
	s_and_b32 s11, s11, s12
	s_delay_alu instid0(SALU_CYCLE_1) | instskip(NEXT) | instid1(SALU_CYCLE_1)
	s_or_b32 s11, s13, s11
	v_cndmask_b32_e64 v25, v5, v13, s11
	v_cndmask_b32_e64 v27, v20, v21, s11
	s_delay_alu instid0(VALU_DEP_2) | instskip(NEXT) | instid1(VALU_DEP_2)
	v_add_nc_u32_e32 v28, 1, v25
	v_add_nc_u32_e32 v27, -1, v27
	s_delay_alu instid0(VALU_DEP_2) | instskip(NEXT) | instid1(VALU_DEP_2)
	v_cndmask_b32_e64 v13, v13, v28, s11
	v_min_u32_e32 v27, v28, v27
	v_cndmask_b32_e64 v5, v28, v5, s11
	s_delay_alu instid0(VALU_DEP_3) | instskip(NEXT) | instid1(VALU_DEP_3)
	v_cmp_lt_u32_e64 s12, v13, v21
	v_lshl_add_u32 v27, v27, 2, v9
	s_delay_alu instid0(VALU_DEP_3) | instskip(SKIP_4) | instid1(VALU_DEP_1)
	v_cmp_ge_u32_e64 s14, v5, v20
	ds_load_b32 v27, v27
	s_waitcnt lgkmcnt(0)
	v_cndmask_b32_e64 v29, v27, v26, s11
	v_cndmask_b32_e64 v27, v24, v27, s11
	v_cmp_le_i32_e64 s13, v29, v27
	s_delay_alu instid0(VALU_DEP_1) | instskip(NEXT) | instid1(SALU_CYCLE_1)
	s_and_b32 s12, s12, s13
	s_or_b32 s12, s14, s12
	s_delay_alu instid0(SALU_CYCLE_1) | instskip(SKIP_1) | instid1(VALU_DEP_2)
	v_cndmask_b32_e64 v28, v5, v13, s12
	v_cndmask_b32_e64 v30, v20, v21, s12
	v_add_nc_u32_e32 v31, 1, v28
	s_delay_alu instid0(VALU_DEP_2) | instskip(NEXT) | instid1(VALU_DEP_2)
	v_add_nc_u32_e32 v30, -1, v30
	v_cndmask_b32_e64 v13, v13, v31, s12
	s_delay_alu instid0(VALU_DEP_2) | instskip(SKIP_1) | instid1(VALU_DEP_3)
	v_min_u32_e32 v30, v31, v30
	v_cndmask_b32_e64 v5, v31, v5, s12
	v_cmp_lt_u32_e64 s13, v13, v21
	s_delay_alu instid0(VALU_DEP_3) | instskip(NEXT) | instid1(VALU_DEP_3)
	v_lshl_add_u32 v30, v30, 2, v9
	v_cmp_ge_u32_e64 s15, v5, v20
	ds_load_b32 v30, v30
	s_waitcnt lgkmcnt(0)
	v_cndmask_b32_e64 v32, v30, v29, s12
	v_cndmask_b32_e64 v30, v27, v30, s12
	s_delay_alu instid0(VALU_DEP_1) | instskip(NEXT) | instid1(VALU_DEP_1)
	v_cmp_le_i32_e64 s14, v32, v30
	s_and_b32 s13, s13, s14
	s_delay_alu instid0(SALU_CYCLE_1) | instskip(NEXT) | instid1(SALU_CYCLE_1)
	s_or_b32 s13, s15, s13
	v_cndmask_b32_e64 v31, v5, v13, s13
	v_cndmask_b32_e64 v33, v20, v21, s13
	s_delay_alu instid0(VALU_DEP_2) | instskip(NEXT) | instid1(VALU_DEP_2)
	v_add_nc_u32_e32 v34, 1, v31
	v_add_nc_u32_e32 v33, -1, v33
	s_delay_alu instid0(VALU_DEP_2) | instskip(NEXT) | instid1(VALU_DEP_2)
	v_cndmask_b32_e64 v13, v13, v34, s13
	v_min_u32_e32 v33, v34, v33
	v_cndmask_b32_e64 v36, v34, v5, s13
	s_delay_alu instid0(VALU_DEP_3) | instskip(NEXT) | instid1(VALU_DEP_3)
	v_cmp_lt_u32_e64 s14, v13, v21
	v_lshl_add_u32 v9, v33, 2, v9
	s_delay_alu instid0(VALU_DEP_3)
	v_cmp_ge_u32_e64 s16, v36, v20
	v_lshl_add_u32 v20, v28, 3, v8
	v_lshl_add_u32 v21, v31, 3, v8
	ds_load_b32 v9, v9
	ds_load_b64 v[4:5], v4 offset:8192
	ds_load_b64 v[34:35], v12 offset:8192
	;; [unrolled: 1-line block ×3, first 2 shown]
	v_lshl_add_u32 v17, v25, 3, v8
	s_waitcnt lgkmcnt(3)
	v_cndmask_b32_e64 v33, v9, v32, s13
	v_cndmask_b32_e64 v9, v30, v9, s13
	s_delay_alu instid0(VALU_DEP_1) | instskip(NEXT) | instid1(VALU_DEP_1)
	v_cmp_le_i32_e64 s15, v33, v9
	s_and_b32 s14, s14, s15
	s_delay_alu instid0(SALU_CYCLE_1) | instskip(NEXT) | instid1(SALU_CYCLE_1)
	s_or_b32 s14, s16, s14
	v_cndmask_b32_e64 v12, v36, v13, s14
	v_lshl_add_u32 v13, v22, 3, v8
	s_delay_alu instid0(VALU_DEP_2)
	v_lshl_add_u32 v8, v12, 3, v8
	ds_load_b64 v[52:53], v13 offset:8192
	ds_load_b64 v[66:67], v17 offset:8192
	;; [unrolled: 1-line block ×5, first 2 shown]
	v_cndmask_b32_e64 v12, v11, v10, s7
	v_cndmask_b32_e64 v13, v14, v15, s8
	;; [unrolled: 1-line block ×8, first 2 shown]
.LBB514_216:
	s_or_b32 exec_lo, exec_lo, s18
	; wave barrier
	s_waitcnt lgkmcnt(0)
	s_waitcnt_vscnt null, 0x0
	s_barrier
.LBB514_217:
	s_or_b32 exec_lo, exec_lo, s17
	v_add_co_u32 v2, s7, v2, v54
	s_delay_alu instid0(VALU_DEP_1) | instskip(SKIP_4) | instid1(VALU_DEP_1)
	v_add_co_ci_u32_e64 v3, s7, v3, v55, s7
	s_waitcnt vmcnt(0) lgkmcnt(0)
	s_waitcnt_vscnt null, 0x0
	buffer_gl0_inv
	v_add_co_u32 v2, s7, v2, v80
	v_add_co_ci_u32_e64 v3, s7, 0, v3, s7
	; wave barrier
	s_and_saveexec_b32 s7, vcc_lo
	s_cbranch_execnz .LBB514_242
; %bb.218:
	s_or_b32 exec_lo, exec_lo, s7
	s_and_saveexec_b32 s7, s0
	s_cbranch_execnz .LBB514_243
.LBB514_219:
	s_or_b32 exec_lo, exec_lo, s7
	s_and_saveexec_b32 s7, s1
	s_cbranch_execnz .LBB514_244
.LBB514_220:
	s_or_b32 exec_lo, exec_lo, s7
	s_and_saveexec_b32 s7, s2
	s_cbranch_execnz .LBB514_245
.LBB514_221:
	s_or_b32 exec_lo, exec_lo, s7
	s_and_saveexec_b32 s7, s3
	s_cbranch_execnz .LBB514_246
.LBB514_222:
	s_or_b32 exec_lo, exec_lo, s7
	s_and_saveexec_b32 s7, s4
	s_cbranch_execnz .LBB514_247
.LBB514_223:
	s_or_b32 exec_lo, exec_lo, s7
	s_and_saveexec_b32 s7, s5
	s_cbranch_execnz .LBB514_248
.LBB514_224:
	s_or_b32 exec_lo, exec_lo, s7
	s_and_saveexec_b32 s7, s6
	s_cbranch_execz .LBB514_226
.LBB514_225:
	flat_store_b32 v[2:3], v19 offset:28
.LBB514_226:
	s_or_b32 exec_lo, exec_lo, s7
	v_add_co_u32 v0, s7, v6, v0
	s_delay_alu instid0(VALU_DEP_1) | instskip(NEXT) | instid1(VALU_DEP_2)
	v_add_co_ci_u32_e64 v1, s7, v7, v1, s7
	v_add_co_u32 v0, s7, v0, v81
	s_delay_alu instid0(VALU_DEP_1)
	v_add_co_ci_u32_e64 v1, s7, 0, v1, s7
	; wave barrier
	s_and_saveexec_b32 s7, vcc_lo
	s_cbranch_execnz .LBB514_249
; %bb.227:
	s_or_b32 exec_lo, exec_lo, s7
	s_and_saveexec_b32 s7, s0
	s_cbranch_execnz .LBB514_250
.LBB514_228:
	s_or_b32 exec_lo, exec_lo, s7
	s_and_saveexec_b32 s0, s1
	s_cbranch_execnz .LBB514_251
.LBB514_229:
	s_or_b32 exec_lo, exec_lo, s0
	s_and_saveexec_b32 s0, s2
	s_cbranch_execnz .LBB514_252
.LBB514_230:
	s_or_b32 exec_lo, exec_lo, s0
	s_and_saveexec_b32 s0, s3
	s_cbranch_execnz .LBB514_253
.LBB514_231:
	s_or_b32 exec_lo, exec_lo, s0
	s_and_saveexec_b32 s0, s4
	s_cbranch_execnz .LBB514_254
.LBB514_232:
	s_or_b32 exec_lo, exec_lo, s0
	s_and_saveexec_b32 s0, s5
	s_cbranch_execnz .LBB514_255
.LBB514_233:
	s_or_b32 exec_lo, exec_lo, s0
	s_and_saveexec_b32 s0, s6
	s_cbranch_execnz .LBB514_256
.LBB514_234:
	s_or_b32 exec_lo, exec_lo, s0
	s_waitcnt lgkmcnt(0)
	s_setpc_b64 s[30:31]
.LBB514_235:
	flat_load_b64 v[4:5], v[8:9]
	s_or_b32 exec_lo, exec_lo, s7
	s_and_saveexec_b32 s7, s0
                                        ; implicit-def: $vgpr32_vgpr33_vgpr34_vgpr35
	s_cbranch_execz .LBB514_18
.LBB514_236:
	flat_load_b64 v[34:35], v[8:9] offset:8
	s_or_b32 exec_lo, exec_lo, s7
                                        ; implicit-def: $vgpr64_vgpr65
	s_and_saveexec_b32 s7, s1
	s_cbranch_execz .LBB514_19
.LBB514_237:
	flat_load_b64 v[64:65], v[8:9] offset:16
	s_or_b32 exec_lo, exec_lo, s7
	s_and_saveexec_b32 s7, s2
                                        ; implicit-def: $vgpr50_vgpr51_vgpr52_vgpr53
	s_cbranch_execz .LBB514_20
.LBB514_238:
	flat_load_b64 v[52:53], v[8:9] offset:24
	s_or_b32 exec_lo, exec_lo, s7
                                        ; implicit-def: $vgpr66_vgpr67
	s_and_saveexec_b32 s7, s3
	s_cbranch_execz .LBB514_21
.LBB514_239:
	flat_load_b64 v[66:67], v[8:9] offset:32
	s_or_b32 exec_lo, exec_lo, s7
	s_and_saveexec_b32 s7, s4
                                        ; implicit-def: $vgpr48_vgpr49_vgpr50_vgpr51
	s_cbranch_execz .LBB514_22
.LBB514_240:
	flat_load_b64 v[50:51], v[8:9] offset:40
	s_or_b32 exec_lo, exec_lo, s7
                                        ; implicit-def: $vgpr48_vgpr49
	s_and_saveexec_b32 s7, s5
	s_cbranch_execz .LBB514_23
.LBB514_241:
	flat_load_b64 v[48:49], v[8:9] offset:48
	s_or_b32 exec_lo, exec_lo, s7
	s_and_saveexec_b32 s7, s6
                                        ; implicit-def: $vgpr36_vgpr37_vgpr38_vgpr39
	s_cbranch_execnz .LBB514_24
	s_branch .LBB514_25
.LBB514_242:
	flat_store_b32 v[2:3], v12
	s_or_b32 exec_lo, exec_lo, s7
	s_and_saveexec_b32 s7, s0
	s_cbranch_execz .LBB514_219
.LBB514_243:
	flat_store_b32 v[2:3], v13 offset:4
	s_or_b32 exec_lo, exec_lo, s7
	s_and_saveexec_b32 s7, s1
	s_cbranch_execz .LBB514_220
.LBB514_244:
	flat_store_b32 v[2:3], v14 offset:8
	s_or_b32 exec_lo, exec_lo, s7
	s_and_saveexec_b32 s7, s2
	s_cbranch_execz .LBB514_221
.LBB514_245:
	flat_store_b32 v[2:3], v15 offset:12
	s_or_b32 exec_lo, exec_lo, s7
	s_and_saveexec_b32 s7, s3
	s_cbranch_execz .LBB514_222
.LBB514_246:
	flat_store_b32 v[2:3], v16 offset:16
	s_or_b32 exec_lo, exec_lo, s7
	s_and_saveexec_b32 s7, s4
	s_cbranch_execz .LBB514_223
.LBB514_247:
	flat_store_b32 v[2:3], v17 offset:20
	s_or_b32 exec_lo, exec_lo, s7
	s_and_saveexec_b32 s7, s5
	s_cbranch_execz .LBB514_224
.LBB514_248:
	flat_store_b32 v[2:3], v18 offset:24
	s_or_b32 exec_lo, exec_lo, s7
	s_and_saveexec_b32 s7, s6
	s_cbranch_execnz .LBB514_225
	s_branch .LBB514_226
.LBB514_249:
	flat_store_b64 v[0:1], v[4:5]
	s_or_b32 exec_lo, exec_lo, s7
	s_and_saveexec_b32 s7, s0
	s_cbranch_execz .LBB514_228
.LBB514_250:
	flat_store_b64 v[0:1], v[34:35] offset:8
	s_or_b32 exec_lo, exec_lo, s7
	s_and_saveexec_b32 s0, s1
	s_cbranch_execz .LBB514_229
.LBB514_251:
	flat_store_b64 v[0:1], v[64:65] offset:16
	s_or_b32 exec_lo, exec_lo, s0
	s_and_saveexec_b32 s0, s2
	s_cbranch_execz .LBB514_230
.LBB514_252:
	flat_store_b64 v[0:1], v[52:53] offset:24
	s_or_b32 exec_lo, exec_lo, s0
	s_and_saveexec_b32 s0, s3
	s_cbranch_execz .LBB514_231
.LBB514_253:
	flat_store_b64 v[0:1], v[66:67] offset:32
	s_or_b32 exec_lo, exec_lo, s0
	s_and_saveexec_b32 s0, s4
	s_cbranch_execz .LBB514_232
.LBB514_254:
	flat_store_b64 v[0:1], v[50:51] offset:40
	s_or_b32 exec_lo, exec_lo, s0
	s_and_saveexec_b32 s0, s5
	s_cbranch_execz .LBB514_233
.LBB514_255:
	flat_store_b64 v[0:1], v[48:49] offset:48
	s_or_b32 exec_lo, exec_lo, s0
	s_and_saveexec_b32 s0, s6
	s_cbranch_execz .LBB514_234
.LBB514_256:
	flat_store_b64 v[0:1], v[38:39] offset:56
	s_or_b32 exec_lo, exec_lo, s0
	s_waitcnt lgkmcnt(0)
	s_setpc_b64 s[30:31]
.Lfunc_end514:
	.size	_ZN7rocprim17ROCPRIM_400000_NS6detail26segmented_warp_sort_helperINS1_20WarpSortHelperConfigILj16ELj8ELj256EEEilLi256ELb1EvE4sortIPKiPiPKlPlEEvT_T0_T1_T2_jjjjRNS5_12storage_typeE, .Lfunc_end514-_ZN7rocprim17ROCPRIM_400000_NS6detail26segmented_warp_sort_helperINS1_20WarpSortHelperConfigILj16ELj8ELj256EEEilLi256ELb1EvE4sortIPKiPiPKlPlEEvT_T0_T1_T2_jjjjRNS5_12storage_typeE
                                        ; -- End function
	.section	.AMDGPU.csdata,"",@progbits
; Function info:
; codeLenInByte = 19344
; NumSgprs: 34
; NumVgprs: 87
; ScratchSize: 0
; MemoryBound: 0
	.section	.text._ZN7rocprim17ROCPRIM_400000_NS6detail17trampoline_kernelINS0_14default_configENS1_36segmented_radix_sort_config_selectorIilEEZNS1_25segmented_radix_sort_implIS3_Lb1EPKiPiPKlPlN2at6native12_GLOBAL__N_18offset_tEEE10hipError_tPvRmT1_PNSt15iterator_traitsISK_E10value_typeET2_T3_PNSL_ISQ_E10value_typeET4_jRbjT5_SW_jjP12ihipStream_tbEUlT_E0_NS1_11comp_targetILNS1_3genE9ELNS1_11target_archE1100ELNS1_3gpuE3ELNS1_3repE0EEENS1_60segmented_radix_sort_warp_sort_medium_config_static_selectorELNS0_4arch9wavefront6targetE0EEEvSK_,"axG",@progbits,_ZN7rocprim17ROCPRIM_400000_NS6detail17trampoline_kernelINS0_14default_configENS1_36segmented_radix_sort_config_selectorIilEEZNS1_25segmented_radix_sort_implIS3_Lb1EPKiPiPKlPlN2at6native12_GLOBAL__N_18offset_tEEE10hipError_tPvRmT1_PNSt15iterator_traitsISK_E10value_typeET2_T3_PNSL_ISQ_E10value_typeET4_jRbjT5_SW_jjP12ihipStream_tbEUlT_E0_NS1_11comp_targetILNS1_3genE9ELNS1_11target_archE1100ELNS1_3gpuE3ELNS1_3repE0EEENS1_60segmented_radix_sort_warp_sort_medium_config_static_selectorELNS0_4arch9wavefront6targetE0EEEvSK_,comdat
	.globl	_ZN7rocprim17ROCPRIM_400000_NS6detail17trampoline_kernelINS0_14default_configENS1_36segmented_radix_sort_config_selectorIilEEZNS1_25segmented_radix_sort_implIS3_Lb1EPKiPiPKlPlN2at6native12_GLOBAL__N_18offset_tEEE10hipError_tPvRmT1_PNSt15iterator_traitsISK_E10value_typeET2_T3_PNSL_ISQ_E10value_typeET4_jRbjT5_SW_jjP12ihipStream_tbEUlT_E0_NS1_11comp_targetILNS1_3genE9ELNS1_11target_archE1100ELNS1_3gpuE3ELNS1_3repE0EEENS1_60segmented_radix_sort_warp_sort_medium_config_static_selectorELNS0_4arch9wavefront6targetE0EEEvSK_ ; -- Begin function _ZN7rocprim17ROCPRIM_400000_NS6detail17trampoline_kernelINS0_14default_configENS1_36segmented_radix_sort_config_selectorIilEEZNS1_25segmented_radix_sort_implIS3_Lb1EPKiPiPKlPlN2at6native12_GLOBAL__N_18offset_tEEE10hipError_tPvRmT1_PNSt15iterator_traitsISK_E10value_typeET2_T3_PNSL_ISQ_E10value_typeET4_jRbjT5_SW_jjP12ihipStream_tbEUlT_E0_NS1_11comp_targetILNS1_3genE9ELNS1_11target_archE1100ELNS1_3gpuE3ELNS1_3repE0EEENS1_60segmented_radix_sort_warp_sort_medium_config_static_selectorELNS0_4arch9wavefront6targetE0EEEvSK_
	.p2align	8
	.type	_ZN7rocprim17ROCPRIM_400000_NS6detail17trampoline_kernelINS0_14default_configENS1_36segmented_radix_sort_config_selectorIilEEZNS1_25segmented_radix_sort_implIS3_Lb1EPKiPiPKlPlN2at6native12_GLOBAL__N_18offset_tEEE10hipError_tPvRmT1_PNSt15iterator_traitsISK_E10value_typeET2_T3_PNSL_ISQ_E10value_typeET4_jRbjT5_SW_jjP12ihipStream_tbEUlT_E0_NS1_11comp_targetILNS1_3genE9ELNS1_11target_archE1100ELNS1_3gpuE3ELNS1_3repE0EEENS1_60segmented_radix_sort_warp_sort_medium_config_static_selectorELNS0_4arch9wavefront6targetE0EEEvSK_,@function
_ZN7rocprim17ROCPRIM_400000_NS6detail17trampoline_kernelINS0_14default_configENS1_36segmented_radix_sort_config_selectorIilEEZNS1_25segmented_radix_sort_implIS3_Lb1EPKiPiPKlPlN2at6native12_GLOBAL__N_18offset_tEEE10hipError_tPvRmT1_PNSt15iterator_traitsISK_E10value_typeET2_T3_PNSL_ISQ_E10value_typeET4_jRbjT5_SW_jjP12ihipStream_tbEUlT_E0_NS1_11comp_targetILNS1_3genE9ELNS1_11target_archE1100ELNS1_3gpuE3ELNS1_3repE0EEENS1_60segmented_radix_sort_warp_sort_medium_config_static_selectorELNS0_4arch9wavefront6targetE0EEEvSK_: ; @_ZN7rocprim17ROCPRIM_400000_NS6detail17trampoline_kernelINS0_14default_configENS1_36segmented_radix_sort_config_selectorIilEEZNS1_25segmented_radix_sort_implIS3_Lb1EPKiPiPKlPlN2at6native12_GLOBAL__N_18offset_tEEE10hipError_tPvRmT1_PNSt15iterator_traitsISK_E10value_typeET2_T3_PNSL_ISQ_E10value_typeET4_jRbjT5_SW_jjP12ihipStream_tbEUlT_E0_NS1_11comp_targetILNS1_3genE9ELNS1_11target_archE1100ELNS1_3gpuE3ELNS1_3repE0EEENS1_60segmented_radix_sort_warp_sort_medium_config_static_selectorELNS0_4arch9wavefront6targetE0EEEvSK_
; %bb.0:
	s_load_b32 s2, s[0:1], 0x64
	v_bfe_u32 v1, v0, 10, 10
	v_bfe_u32 v2, v0, 20, 10
	s_mov_b32 s32, 0
	s_waitcnt lgkmcnt(0)
	s_lshr_b32 s3, s2, 16
	s_and_b32 s2, s2, 0xffff
	v_mad_u32_u24 v4, v2, s3, v1
	v_and_b32_e32 v1, 0x3ff, v0
	s_load_b32 s3, s[0:1], 0x34
	s_delay_alu instid0(VALU_DEP_1) | instskip(SKIP_1) | instid1(VALU_DEP_1)
	v_mad_u64_u32 v[2:3], null, v4, s2, v[1:2]
	s_mov_b32 s2, exec_lo
	v_lshrrev_b32_e32 v1, 4, v2
	s_delay_alu instid0(VALU_DEP_1) | instskip(SKIP_1) | instid1(VALU_DEP_1)
	v_lshl_add_u32 v1, s14, 4, v1
	s_waitcnt lgkmcnt(0)
	v_cmpx_gt_u32_e64 s3, v1
	s_cbranch_execz .LBB515_6
; %bb.1:
	s_clause 0x1
	s_load_b64 s[2:3], s[0:1], 0x38
	s_load_b128 s[4:7], s[0:1], 0x40
	v_mov_b32_e32 v2, 0
	s_delay_alu instid0(VALU_DEP_1) | instskip(SKIP_1) | instid1(VALU_DEP_1)
	v_lshlrev_b64 v[1:2], 2, v[1:2]
	s_waitcnt lgkmcnt(0)
	v_add_co_u32 v1, vcc_lo, s2, v1
	s_delay_alu instid0(VALU_DEP_2) | instskip(SKIP_4) | instid1(VALU_DEP_2)
	v_add_co_ci_u32_e32 v2, vcc_lo, s3, v2, vcc_lo
	global_load_b32 v1, v[1:2], off
	s_waitcnt vmcnt(0)
	v_add_nc_u32_e32 v2, s5, v1
	v_add_nc_u32_e32 v1, s7, v1
	v_mul_lo_u32 v40, v2, s4
	s_delay_alu instid0(VALU_DEP_2) | instskip(NEXT) | instid1(VALU_DEP_1)
	v_mul_lo_u32 v41, v1, s6
	v_cmp_gt_u32_e32 vcc_lo, v41, v40
	s_and_b32 exec_lo, exec_lo, vcc_lo
	s_cbranch_execz .LBB515_6
; %bb.2:
	s_clause 0x3
	s_load_b32 s2, s[0:1], 0x30
	s_load_b128 s[24:27], s[0:1], 0x20
	s_load_b256 s[36:43], s[0:1], 0x0
	s_load_b64 s[28:29], s[0:1], 0x50
	s_waitcnt lgkmcnt(0)
	s_bitcmp0_b32 s2, 0
	s_mov_b32 s2, -1
	s_cbranch_scc0 .LBB515_4
; %bb.3:
	v_mov_b32_e32 v31, v0
	v_dual_mov_b32 v42, v0 :: v_dual_mov_b32 v1, s37
	v_mov_b32_e32 v0, s36
	v_dual_mov_b32 v2, s38 :: v_dual_mov_b32 v3, s39
	v_dual_mov_b32 v4, s42 :: v_dual_mov_b32 v5, s43
	;; [unrolled: 1-line block ×5, first 2 shown]
	s_add_u32 s8, s0, 0x58
	s_addc_u32 s9, s1, 0
	s_mov_b32 s12, s14
	s_mov_b32 s13, s15
	s_getpc_b64 s[2:3]
	s_add_u32 s2, s2, _ZN7rocprim17ROCPRIM_400000_NS6detail26segmented_warp_sort_helperINS1_20WarpSortHelperConfigILj16ELj8ELj256EEEilLi256ELb1EvE4sortIPKiPiPKlPlEEvT_T0_T1_T2_jjjjRNS5_12storage_typeE@rel32@lo+4
	s_addc_u32 s3, s3, _ZN7rocprim17ROCPRIM_400000_NS6detail26segmented_warp_sort_helperINS1_20WarpSortHelperConfigILj16ELj8ELj256EEEilLi256ELb1EvE4sortIPKiPiPKlPlEEvT_T0_T1_T2_jjjjRNS5_12storage_typeE@rel32@hi+12
	s_mov_b64 s[24:25], s[0:1]
	s_mov_b32 s23, s15
	s_mov_b32 s33, s14
	s_swappc_b64 s[30:31], s[2:3]
	v_mov_b32_e32 v0, v42
	s_mov_b32 s14, s33
	s_mov_b32 s15, s23
	s_mov_b64 s[0:1], s[24:25]
	s_mov_b32 s2, 0
.LBB515_4:
	s_delay_alu instid0(SALU_CYCLE_1)
	s_and_not1_b32 vcc_lo, exec_lo, s2
	s_cbranch_vccnz .LBB515_6
; %bb.5:
	v_dual_mov_b32 v31, v0 :: v_dual_mov_b32 v0, s36
	v_dual_mov_b32 v1, s37 :: v_dual_mov_b32 v2, s40
	;; [unrolled: 1-line block ×6, first 2 shown]
	v_mov_b32_e32 v11, s29
	s_add_u32 s8, s0, 0x58
	s_addc_u32 s9, s1, 0
	s_mov_b32 s12, s14
	s_mov_b32 s13, s15
	s_getpc_b64 s[0:1]
	s_add_u32 s0, s0, _ZN7rocprim17ROCPRIM_400000_NS6detail26segmented_warp_sort_helperINS1_20WarpSortHelperConfigILj16ELj8ELj256EEEilLi256ELb1EvE4sortIPKiPiPKlPlEEvT_T0_T1_T2_jjjjRNS5_12storage_typeE@rel32@lo+4
	s_addc_u32 s1, s1, _ZN7rocprim17ROCPRIM_400000_NS6detail26segmented_warp_sort_helperINS1_20WarpSortHelperConfigILj16ELj8ELj256EEEilLi256ELb1EvE4sortIPKiPiPKlPlEEvT_T0_T1_T2_jjjjRNS5_12storage_typeE@rel32@hi+12
	s_delay_alu instid0(SALU_CYCLE_1)
	s_swappc_b64 s[30:31], s[0:1]
.LBB515_6:
	s_endpgm
	.section	.rodata,"a",@progbits
	.p2align	6, 0x0
	.amdhsa_kernel _ZN7rocprim17ROCPRIM_400000_NS6detail17trampoline_kernelINS0_14default_configENS1_36segmented_radix_sort_config_selectorIilEEZNS1_25segmented_radix_sort_implIS3_Lb1EPKiPiPKlPlN2at6native12_GLOBAL__N_18offset_tEEE10hipError_tPvRmT1_PNSt15iterator_traitsISK_E10value_typeET2_T3_PNSL_ISQ_E10value_typeET4_jRbjT5_SW_jjP12ihipStream_tbEUlT_E0_NS1_11comp_targetILNS1_3genE9ELNS1_11target_archE1100ELNS1_3gpuE3ELNS1_3repE0EEENS1_60segmented_radix_sort_warp_sort_medium_config_static_selectorELNS0_4arch9wavefront6targetE0EEEvSK_
		.amdhsa_group_segment_fixed_size 24576
		.amdhsa_private_segment_fixed_size 0
		.amdhsa_kernarg_size 344
		.amdhsa_user_sgpr_count 14
		.amdhsa_user_sgpr_dispatch_ptr 0
		.amdhsa_user_sgpr_queue_ptr 0
		.amdhsa_user_sgpr_kernarg_segment_ptr 1
		.amdhsa_user_sgpr_dispatch_id 0
		.amdhsa_user_sgpr_private_segment_size 0
		.amdhsa_wavefront_size32 1
		.amdhsa_uses_dynamic_stack 0
		.amdhsa_enable_private_segment 0
		.amdhsa_system_sgpr_workgroup_id_x 1
		.amdhsa_system_sgpr_workgroup_id_y 1
		.amdhsa_system_sgpr_workgroup_id_z 0
		.amdhsa_system_sgpr_workgroup_info 0
		.amdhsa_system_vgpr_workitem_id 2
		.amdhsa_next_free_vgpr 87
		.amdhsa_next_free_sgpr 44
		.amdhsa_reserve_vcc 1
		.amdhsa_float_round_mode_32 0
		.amdhsa_float_round_mode_16_64 0
		.amdhsa_float_denorm_mode_32 3
		.amdhsa_float_denorm_mode_16_64 3
		.amdhsa_dx10_clamp 1
		.amdhsa_ieee_mode 1
		.amdhsa_fp16_overflow 0
		.amdhsa_workgroup_processor_mode 1
		.amdhsa_memory_ordered 1
		.amdhsa_forward_progress 0
		.amdhsa_shared_vgpr_count 0
		.amdhsa_exception_fp_ieee_invalid_op 0
		.amdhsa_exception_fp_denorm_src 0
		.amdhsa_exception_fp_ieee_div_zero 0
		.amdhsa_exception_fp_ieee_overflow 0
		.amdhsa_exception_fp_ieee_underflow 0
		.amdhsa_exception_fp_ieee_inexact 0
		.amdhsa_exception_int_div_zero 0
	.end_amdhsa_kernel
	.section	.text._ZN7rocprim17ROCPRIM_400000_NS6detail17trampoline_kernelINS0_14default_configENS1_36segmented_radix_sort_config_selectorIilEEZNS1_25segmented_radix_sort_implIS3_Lb1EPKiPiPKlPlN2at6native12_GLOBAL__N_18offset_tEEE10hipError_tPvRmT1_PNSt15iterator_traitsISK_E10value_typeET2_T3_PNSL_ISQ_E10value_typeET4_jRbjT5_SW_jjP12ihipStream_tbEUlT_E0_NS1_11comp_targetILNS1_3genE9ELNS1_11target_archE1100ELNS1_3gpuE3ELNS1_3repE0EEENS1_60segmented_radix_sort_warp_sort_medium_config_static_selectorELNS0_4arch9wavefront6targetE0EEEvSK_,"axG",@progbits,_ZN7rocprim17ROCPRIM_400000_NS6detail17trampoline_kernelINS0_14default_configENS1_36segmented_radix_sort_config_selectorIilEEZNS1_25segmented_radix_sort_implIS3_Lb1EPKiPiPKlPlN2at6native12_GLOBAL__N_18offset_tEEE10hipError_tPvRmT1_PNSt15iterator_traitsISK_E10value_typeET2_T3_PNSL_ISQ_E10value_typeET4_jRbjT5_SW_jjP12ihipStream_tbEUlT_E0_NS1_11comp_targetILNS1_3genE9ELNS1_11target_archE1100ELNS1_3gpuE3ELNS1_3repE0EEENS1_60segmented_radix_sort_warp_sort_medium_config_static_selectorELNS0_4arch9wavefront6targetE0EEEvSK_,comdat
.Lfunc_end515:
	.size	_ZN7rocprim17ROCPRIM_400000_NS6detail17trampoline_kernelINS0_14default_configENS1_36segmented_radix_sort_config_selectorIilEEZNS1_25segmented_radix_sort_implIS3_Lb1EPKiPiPKlPlN2at6native12_GLOBAL__N_18offset_tEEE10hipError_tPvRmT1_PNSt15iterator_traitsISK_E10value_typeET2_T3_PNSL_ISQ_E10value_typeET4_jRbjT5_SW_jjP12ihipStream_tbEUlT_E0_NS1_11comp_targetILNS1_3genE9ELNS1_11target_archE1100ELNS1_3gpuE3ELNS1_3repE0EEENS1_60segmented_radix_sort_warp_sort_medium_config_static_selectorELNS0_4arch9wavefront6targetE0EEEvSK_, .Lfunc_end515-_ZN7rocprim17ROCPRIM_400000_NS6detail17trampoline_kernelINS0_14default_configENS1_36segmented_radix_sort_config_selectorIilEEZNS1_25segmented_radix_sort_implIS3_Lb1EPKiPiPKlPlN2at6native12_GLOBAL__N_18offset_tEEE10hipError_tPvRmT1_PNSt15iterator_traitsISK_E10value_typeET2_T3_PNSL_ISQ_E10value_typeET4_jRbjT5_SW_jjP12ihipStream_tbEUlT_E0_NS1_11comp_targetILNS1_3genE9ELNS1_11target_archE1100ELNS1_3gpuE3ELNS1_3repE0EEENS1_60segmented_radix_sort_warp_sort_medium_config_static_selectorELNS0_4arch9wavefront6targetE0EEEvSK_
                                        ; -- End function
	.section	.AMDGPU.csdata,"",@progbits
; Kernel info:
; codeLenInByte = 524
; NumSgprs: 46
; NumVgprs: 87
; ScratchSize: 0
; MemoryBound: 0
; FloatMode: 240
; IeeeMode: 1
; LDSByteSize: 24576 bytes/workgroup (compile time only)
; SGPRBlocks: 5
; VGPRBlocks: 10
; NumSGPRsForWavesPerEU: 46
; NumVGPRsForWavesPerEU: 87
; Occupancy: 10
; WaveLimiterHint : 0
; COMPUTE_PGM_RSRC2:SCRATCH_EN: 0
; COMPUTE_PGM_RSRC2:USER_SGPR: 14
; COMPUTE_PGM_RSRC2:TRAP_HANDLER: 0
; COMPUTE_PGM_RSRC2:TGID_X_EN: 1
; COMPUTE_PGM_RSRC2:TGID_Y_EN: 1
; COMPUTE_PGM_RSRC2:TGID_Z_EN: 0
; COMPUTE_PGM_RSRC2:TIDIG_COMP_CNT: 2
	.section	.text._ZN7rocprim17ROCPRIM_400000_NS6detail17trampoline_kernelINS0_14default_configENS1_36segmented_radix_sort_config_selectorIilEEZNS1_25segmented_radix_sort_implIS3_Lb1EPKiPiPKlPlN2at6native12_GLOBAL__N_18offset_tEEE10hipError_tPvRmT1_PNSt15iterator_traitsISK_E10value_typeET2_T3_PNSL_ISQ_E10value_typeET4_jRbjT5_SW_jjP12ihipStream_tbEUlT_E0_NS1_11comp_targetILNS1_3genE8ELNS1_11target_archE1030ELNS1_3gpuE2ELNS1_3repE0EEENS1_60segmented_radix_sort_warp_sort_medium_config_static_selectorELNS0_4arch9wavefront6targetE0EEEvSK_,"axG",@progbits,_ZN7rocprim17ROCPRIM_400000_NS6detail17trampoline_kernelINS0_14default_configENS1_36segmented_radix_sort_config_selectorIilEEZNS1_25segmented_radix_sort_implIS3_Lb1EPKiPiPKlPlN2at6native12_GLOBAL__N_18offset_tEEE10hipError_tPvRmT1_PNSt15iterator_traitsISK_E10value_typeET2_T3_PNSL_ISQ_E10value_typeET4_jRbjT5_SW_jjP12ihipStream_tbEUlT_E0_NS1_11comp_targetILNS1_3genE8ELNS1_11target_archE1030ELNS1_3gpuE2ELNS1_3repE0EEENS1_60segmented_radix_sort_warp_sort_medium_config_static_selectorELNS0_4arch9wavefront6targetE0EEEvSK_,comdat
	.globl	_ZN7rocprim17ROCPRIM_400000_NS6detail17trampoline_kernelINS0_14default_configENS1_36segmented_radix_sort_config_selectorIilEEZNS1_25segmented_radix_sort_implIS3_Lb1EPKiPiPKlPlN2at6native12_GLOBAL__N_18offset_tEEE10hipError_tPvRmT1_PNSt15iterator_traitsISK_E10value_typeET2_T3_PNSL_ISQ_E10value_typeET4_jRbjT5_SW_jjP12ihipStream_tbEUlT_E0_NS1_11comp_targetILNS1_3genE8ELNS1_11target_archE1030ELNS1_3gpuE2ELNS1_3repE0EEENS1_60segmented_radix_sort_warp_sort_medium_config_static_selectorELNS0_4arch9wavefront6targetE0EEEvSK_ ; -- Begin function _ZN7rocprim17ROCPRIM_400000_NS6detail17trampoline_kernelINS0_14default_configENS1_36segmented_radix_sort_config_selectorIilEEZNS1_25segmented_radix_sort_implIS3_Lb1EPKiPiPKlPlN2at6native12_GLOBAL__N_18offset_tEEE10hipError_tPvRmT1_PNSt15iterator_traitsISK_E10value_typeET2_T3_PNSL_ISQ_E10value_typeET4_jRbjT5_SW_jjP12ihipStream_tbEUlT_E0_NS1_11comp_targetILNS1_3genE8ELNS1_11target_archE1030ELNS1_3gpuE2ELNS1_3repE0EEENS1_60segmented_radix_sort_warp_sort_medium_config_static_selectorELNS0_4arch9wavefront6targetE0EEEvSK_
	.p2align	8
	.type	_ZN7rocprim17ROCPRIM_400000_NS6detail17trampoline_kernelINS0_14default_configENS1_36segmented_radix_sort_config_selectorIilEEZNS1_25segmented_radix_sort_implIS3_Lb1EPKiPiPKlPlN2at6native12_GLOBAL__N_18offset_tEEE10hipError_tPvRmT1_PNSt15iterator_traitsISK_E10value_typeET2_T3_PNSL_ISQ_E10value_typeET4_jRbjT5_SW_jjP12ihipStream_tbEUlT_E0_NS1_11comp_targetILNS1_3genE8ELNS1_11target_archE1030ELNS1_3gpuE2ELNS1_3repE0EEENS1_60segmented_radix_sort_warp_sort_medium_config_static_selectorELNS0_4arch9wavefront6targetE0EEEvSK_,@function
_ZN7rocprim17ROCPRIM_400000_NS6detail17trampoline_kernelINS0_14default_configENS1_36segmented_radix_sort_config_selectorIilEEZNS1_25segmented_radix_sort_implIS3_Lb1EPKiPiPKlPlN2at6native12_GLOBAL__N_18offset_tEEE10hipError_tPvRmT1_PNSt15iterator_traitsISK_E10value_typeET2_T3_PNSL_ISQ_E10value_typeET4_jRbjT5_SW_jjP12ihipStream_tbEUlT_E0_NS1_11comp_targetILNS1_3genE8ELNS1_11target_archE1030ELNS1_3gpuE2ELNS1_3repE0EEENS1_60segmented_radix_sort_warp_sort_medium_config_static_selectorELNS0_4arch9wavefront6targetE0EEEvSK_: ; @_ZN7rocprim17ROCPRIM_400000_NS6detail17trampoline_kernelINS0_14default_configENS1_36segmented_radix_sort_config_selectorIilEEZNS1_25segmented_radix_sort_implIS3_Lb1EPKiPiPKlPlN2at6native12_GLOBAL__N_18offset_tEEE10hipError_tPvRmT1_PNSt15iterator_traitsISK_E10value_typeET2_T3_PNSL_ISQ_E10value_typeET4_jRbjT5_SW_jjP12ihipStream_tbEUlT_E0_NS1_11comp_targetILNS1_3genE8ELNS1_11target_archE1030ELNS1_3gpuE2ELNS1_3repE0EEENS1_60segmented_radix_sort_warp_sort_medium_config_static_selectorELNS0_4arch9wavefront6targetE0EEEvSK_
; %bb.0:
	.section	.rodata,"a",@progbits
	.p2align	6, 0x0
	.amdhsa_kernel _ZN7rocprim17ROCPRIM_400000_NS6detail17trampoline_kernelINS0_14default_configENS1_36segmented_radix_sort_config_selectorIilEEZNS1_25segmented_radix_sort_implIS3_Lb1EPKiPiPKlPlN2at6native12_GLOBAL__N_18offset_tEEE10hipError_tPvRmT1_PNSt15iterator_traitsISK_E10value_typeET2_T3_PNSL_ISQ_E10value_typeET4_jRbjT5_SW_jjP12ihipStream_tbEUlT_E0_NS1_11comp_targetILNS1_3genE8ELNS1_11target_archE1030ELNS1_3gpuE2ELNS1_3repE0EEENS1_60segmented_radix_sort_warp_sort_medium_config_static_selectorELNS0_4arch9wavefront6targetE0EEEvSK_
		.amdhsa_group_segment_fixed_size 0
		.amdhsa_private_segment_fixed_size 0
		.amdhsa_kernarg_size 88
		.amdhsa_user_sgpr_count 15
		.amdhsa_user_sgpr_dispatch_ptr 0
		.amdhsa_user_sgpr_queue_ptr 0
		.amdhsa_user_sgpr_kernarg_segment_ptr 1
		.amdhsa_user_sgpr_dispatch_id 0
		.amdhsa_user_sgpr_private_segment_size 0
		.amdhsa_wavefront_size32 1
		.amdhsa_uses_dynamic_stack 0
		.amdhsa_enable_private_segment 0
		.amdhsa_system_sgpr_workgroup_id_x 1
		.amdhsa_system_sgpr_workgroup_id_y 0
		.amdhsa_system_sgpr_workgroup_id_z 0
		.amdhsa_system_sgpr_workgroup_info 0
		.amdhsa_system_vgpr_workitem_id 0
		.amdhsa_next_free_vgpr 1
		.amdhsa_next_free_sgpr 1
		.amdhsa_reserve_vcc 0
		.amdhsa_float_round_mode_32 0
		.amdhsa_float_round_mode_16_64 0
		.amdhsa_float_denorm_mode_32 3
		.amdhsa_float_denorm_mode_16_64 3
		.amdhsa_dx10_clamp 1
		.amdhsa_ieee_mode 1
		.amdhsa_fp16_overflow 0
		.amdhsa_workgroup_processor_mode 1
		.amdhsa_memory_ordered 1
		.amdhsa_forward_progress 0
		.amdhsa_shared_vgpr_count 0
		.amdhsa_exception_fp_ieee_invalid_op 0
		.amdhsa_exception_fp_denorm_src 0
		.amdhsa_exception_fp_ieee_div_zero 0
		.amdhsa_exception_fp_ieee_overflow 0
		.amdhsa_exception_fp_ieee_underflow 0
		.amdhsa_exception_fp_ieee_inexact 0
		.amdhsa_exception_int_div_zero 0
	.end_amdhsa_kernel
	.section	.text._ZN7rocprim17ROCPRIM_400000_NS6detail17trampoline_kernelINS0_14default_configENS1_36segmented_radix_sort_config_selectorIilEEZNS1_25segmented_radix_sort_implIS3_Lb1EPKiPiPKlPlN2at6native12_GLOBAL__N_18offset_tEEE10hipError_tPvRmT1_PNSt15iterator_traitsISK_E10value_typeET2_T3_PNSL_ISQ_E10value_typeET4_jRbjT5_SW_jjP12ihipStream_tbEUlT_E0_NS1_11comp_targetILNS1_3genE8ELNS1_11target_archE1030ELNS1_3gpuE2ELNS1_3repE0EEENS1_60segmented_radix_sort_warp_sort_medium_config_static_selectorELNS0_4arch9wavefront6targetE0EEEvSK_,"axG",@progbits,_ZN7rocprim17ROCPRIM_400000_NS6detail17trampoline_kernelINS0_14default_configENS1_36segmented_radix_sort_config_selectorIilEEZNS1_25segmented_radix_sort_implIS3_Lb1EPKiPiPKlPlN2at6native12_GLOBAL__N_18offset_tEEE10hipError_tPvRmT1_PNSt15iterator_traitsISK_E10value_typeET2_T3_PNSL_ISQ_E10value_typeET4_jRbjT5_SW_jjP12ihipStream_tbEUlT_E0_NS1_11comp_targetILNS1_3genE8ELNS1_11target_archE1030ELNS1_3gpuE2ELNS1_3repE0EEENS1_60segmented_radix_sort_warp_sort_medium_config_static_selectorELNS0_4arch9wavefront6targetE0EEEvSK_,comdat
.Lfunc_end516:
	.size	_ZN7rocprim17ROCPRIM_400000_NS6detail17trampoline_kernelINS0_14default_configENS1_36segmented_radix_sort_config_selectorIilEEZNS1_25segmented_radix_sort_implIS3_Lb1EPKiPiPKlPlN2at6native12_GLOBAL__N_18offset_tEEE10hipError_tPvRmT1_PNSt15iterator_traitsISK_E10value_typeET2_T3_PNSL_ISQ_E10value_typeET4_jRbjT5_SW_jjP12ihipStream_tbEUlT_E0_NS1_11comp_targetILNS1_3genE8ELNS1_11target_archE1030ELNS1_3gpuE2ELNS1_3repE0EEENS1_60segmented_radix_sort_warp_sort_medium_config_static_selectorELNS0_4arch9wavefront6targetE0EEEvSK_, .Lfunc_end516-_ZN7rocprim17ROCPRIM_400000_NS6detail17trampoline_kernelINS0_14default_configENS1_36segmented_radix_sort_config_selectorIilEEZNS1_25segmented_radix_sort_implIS3_Lb1EPKiPiPKlPlN2at6native12_GLOBAL__N_18offset_tEEE10hipError_tPvRmT1_PNSt15iterator_traitsISK_E10value_typeET2_T3_PNSL_ISQ_E10value_typeET4_jRbjT5_SW_jjP12ihipStream_tbEUlT_E0_NS1_11comp_targetILNS1_3genE8ELNS1_11target_archE1030ELNS1_3gpuE2ELNS1_3repE0EEENS1_60segmented_radix_sort_warp_sort_medium_config_static_selectorELNS0_4arch9wavefront6targetE0EEEvSK_
                                        ; -- End function
	.section	.AMDGPU.csdata,"",@progbits
; Kernel info:
; codeLenInByte = 0
; NumSgprs: 0
; NumVgprs: 0
; ScratchSize: 0
; MemoryBound: 0
; FloatMode: 240
; IeeeMode: 1
; LDSByteSize: 0 bytes/workgroup (compile time only)
; SGPRBlocks: 0
; VGPRBlocks: 0
; NumSGPRsForWavesPerEU: 1
; NumVGPRsForWavesPerEU: 1
; Occupancy: 16
; WaveLimiterHint : 0
; COMPUTE_PGM_RSRC2:SCRATCH_EN: 0
; COMPUTE_PGM_RSRC2:USER_SGPR: 15
; COMPUTE_PGM_RSRC2:TRAP_HANDLER: 0
; COMPUTE_PGM_RSRC2:TGID_X_EN: 1
; COMPUTE_PGM_RSRC2:TGID_Y_EN: 0
; COMPUTE_PGM_RSRC2:TGID_Z_EN: 0
; COMPUTE_PGM_RSRC2:TIDIG_COMP_CNT: 0
	.section	.text._ZN7rocprim17ROCPRIM_400000_NS6detail17trampoline_kernelINS0_14default_configENS1_36segmented_radix_sort_config_selectorIilEEZNS1_25segmented_radix_sort_implIS3_Lb1EPKiPiPKlPlN2at6native12_GLOBAL__N_18offset_tEEE10hipError_tPvRmT1_PNSt15iterator_traitsISK_E10value_typeET2_T3_PNSL_ISQ_E10value_typeET4_jRbjT5_SW_jjP12ihipStream_tbEUlT_E1_NS1_11comp_targetILNS1_3genE0ELNS1_11target_archE4294967295ELNS1_3gpuE0ELNS1_3repE0EEENS1_59segmented_radix_sort_warp_sort_small_config_static_selectorELNS0_4arch9wavefront6targetE0EEEvSK_,"axG",@progbits,_ZN7rocprim17ROCPRIM_400000_NS6detail17trampoline_kernelINS0_14default_configENS1_36segmented_radix_sort_config_selectorIilEEZNS1_25segmented_radix_sort_implIS3_Lb1EPKiPiPKlPlN2at6native12_GLOBAL__N_18offset_tEEE10hipError_tPvRmT1_PNSt15iterator_traitsISK_E10value_typeET2_T3_PNSL_ISQ_E10value_typeET4_jRbjT5_SW_jjP12ihipStream_tbEUlT_E1_NS1_11comp_targetILNS1_3genE0ELNS1_11target_archE4294967295ELNS1_3gpuE0ELNS1_3repE0EEENS1_59segmented_radix_sort_warp_sort_small_config_static_selectorELNS0_4arch9wavefront6targetE0EEEvSK_,comdat
	.globl	_ZN7rocprim17ROCPRIM_400000_NS6detail17trampoline_kernelINS0_14default_configENS1_36segmented_radix_sort_config_selectorIilEEZNS1_25segmented_radix_sort_implIS3_Lb1EPKiPiPKlPlN2at6native12_GLOBAL__N_18offset_tEEE10hipError_tPvRmT1_PNSt15iterator_traitsISK_E10value_typeET2_T3_PNSL_ISQ_E10value_typeET4_jRbjT5_SW_jjP12ihipStream_tbEUlT_E1_NS1_11comp_targetILNS1_3genE0ELNS1_11target_archE4294967295ELNS1_3gpuE0ELNS1_3repE0EEENS1_59segmented_radix_sort_warp_sort_small_config_static_selectorELNS0_4arch9wavefront6targetE0EEEvSK_ ; -- Begin function _ZN7rocprim17ROCPRIM_400000_NS6detail17trampoline_kernelINS0_14default_configENS1_36segmented_radix_sort_config_selectorIilEEZNS1_25segmented_radix_sort_implIS3_Lb1EPKiPiPKlPlN2at6native12_GLOBAL__N_18offset_tEEE10hipError_tPvRmT1_PNSt15iterator_traitsISK_E10value_typeET2_T3_PNSL_ISQ_E10value_typeET4_jRbjT5_SW_jjP12ihipStream_tbEUlT_E1_NS1_11comp_targetILNS1_3genE0ELNS1_11target_archE4294967295ELNS1_3gpuE0ELNS1_3repE0EEENS1_59segmented_radix_sort_warp_sort_small_config_static_selectorELNS0_4arch9wavefront6targetE0EEEvSK_
	.p2align	8
	.type	_ZN7rocprim17ROCPRIM_400000_NS6detail17trampoline_kernelINS0_14default_configENS1_36segmented_radix_sort_config_selectorIilEEZNS1_25segmented_radix_sort_implIS3_Lb1EPKiPiPKlPlN2at6native12_GLOBAL__N_18offset_tEEE10hipError_tPvRmT1_PNSt15iterator_traitsISK_E10value_typeET2_T3_PNSL_ISQ_E10value_typeET4_jRbjT5_SW_jjP12ihipStream_tbEUlT_E1_NS1_11comp_targetILNS1_3genE0ELNS1_11target_archE4294967295ELNS1_3gpuE0ELNS1_3repE0EEENS1_59segmented_radix_sort_warp_sort_small_config_static_selectorELNS0_4arch9wavefront6targetE0EEEvSK_,@function
_ZN7rocprim17ROCPRIM_400000_NS6detail17trampoline_kernelINS0_14default_configENS1_36segmented_radix_sort_config_selectorIilEEZNS1_25segmented_radix_sort_implIS3_Lb1EPKiPiPKlPlN2at6native12_GLOBAL__N_18offset_tEEE10hipError_tPvRmT1_PNSt15iterator_traitsISK_E10value_typeET2_T3_PNSL_ISQ_E10value_typeET4_jRbjT5_SW_jjP12ihipStream_tbEUlT_E1_NS1_11comp_targetILNS1_3genE0ELNS1_11target_archE4294967295ELNS1_3gpuE0ELNS1_3repE0EEENS1_59segmented_radix_sort_warp_sort_small_config_static_selectorELNS0_4arch9wavefront6targetE0EEEvSK_: ; @_ZN7rocprim17ROCPRIM_400000_NS6detail17trampoline_kernelINS0_14default_configENS1_36segmented_radix_sort_config_selectorIilEEZNS1_25segmented_radix_sort_implIS3_Lb1EPKiPiPKlPlN2at6native12_GLOBAL__N_18offset_tEEE10hipError_tPvRmT1_PNSt15iterator_traitsISK_E10value_typeET2_T3_PNSL_ISQ_E10value_typeET4_jRbjT5_SW_jjP12ihipStream_tbEUlT_E1_NS1_11comp_targetILNS1_3genE0ELNS1_11target_archE4294967295ELNS1_3gpuE0ELNS1_3repE0EEENS1_59segmented_radix_sort_warp_sort_small_config_static_selectorELNS0_4arch9wavefront6targetE0EEEvSK_
; %bb.0:
	.section	.rodata,"a",@progbits
	.p2align	6, 0x0
	.amdhsa_kernel _ZN7rocprim17ROCPRIM_400000_NS6detail17trampoline_kernelINS0_14default_configENS1_36segmented_radix_sort_config_selectorIilEEZNS1_25segmented_radix_sort_implIS3_Lb1EPKiPiPKlPlN2at6native12_GLOBAL__N_18offset_tEEE10hipError_tPvRmT1_PNSt15iterator_traitsISK_E10value_typeET2_T3_PNSL_ISQ_E10value_typeET4_jRbjT5_SW_jjP12ihipStream_tbEUlT_E1_NS1_11comp_targetILNS1_3genE0ELNS1_11target_archE4294967295ELNS1_3gpuE0ELNS1_3repE0EEENS1_59segmented_radix_sort_warp_sort_small_config_static_selectorELNS0_4arch9wavefront6targetE0EEEvSK_
		.amdhsa_group_segment_fixed_size 0
		.amdhsa_private_segment_fixed_size 0
		.amdhsa_kernarg_size 88
		.amdhsa_user_sgpr_count 15
		.amdhsa_user_sgpr_dispatch_ptr 0
		.amdhsa_user_sgpr_queue_ptr 0
		.amdhsa_user_sgpr_kernarg_segment_ptr 1
		.amdhsa_user_sgpr_dispatch_id 0
		.amdhsa_user_sgpr_private_segment_size 0
		.amdhsa_wavefront_size32 1
		.amdhsa_uses_dynamic_stack 0
		.amdhsa_enable_private_segment 0
		.amdhsa_system_sgpr_workgroup_id_x 1
		.amdhsa_system_sgpr_workgroup_id_y 0
		.amdhsa_system_sgpr_workgroup_id_z 0
		.amdhsa_system_sgpr_workgroup_info 0
		.amdhsa_system_vgpr_workitem_id 0
		.amdhsa_next_free_vgpr 1
		.amdhsa_next_free_sgpr 1
		.amdhsa_reserve_vcc 0
		.amdhsa_float_round_mode_32 0
		.amdhsa_float_round_mode_16_64 0
		.amdhsa_float_denorm_mode_32 3
		.amdhsa_float_denorm_mode_16_64 3
		.amdhsa_dx10_clamp 1
		.amdhsa_ieee_mode 1
		.amdhsa_fp16_overflow 0
		.amdhsa_workgroup_processor_mode 1
		.amdhsa_memory_ordered 1
		.amdhsa_forward_progress 0
		.amdhsa_shared_vgpr_count 0
		.amdhsa_exception_fp_ieee_invalid_op 0
		.amdhsa_exception_fp_denorm_src 0
		.amdhsa_exception_fp_ieee_div_zero 0
		.amdhsa_exception_fp_ieee_overflow 0
		.amdhsa_exception_fp_ieee_underflow 0
		.amdhsa_exception_fp_ieee_inexact 0
		.amdhsa_exception_int_div_zero 0
	.end_amdhsa_kernel
	.section	.text._ZN7rocprim17ROCPRIM_400000_NS6detail17trampoline_kernelINS0_14default_configENS1_36segmented_radix_sort_config_selectorIilEEZNS1_25segmented_radix_sort_implIS3_Lb1EPKiPiPKlPlN2at6native12_GLOBAL__N_18offset_tEEE10hipError_tPvRmT1_PNSt15iterator_traitsISK_E10value_typeET2_T3_PNSL_ISQ_E10value_typeET4_jRbjT5_SW_jjP12ihipStream_tbEUlT_E1_NS1_11comp_targetILNS1_3genE0ELNS1_11target_archE4294967295ELNS1_3gpuE0ELNS1_3repE0EEENS1_59segmented_radix_sort_warp_sort_small_config_static_selectorELNS0_4arch9wavefront6targetE0EEEvSK_,"axG",@progbits,_ZN7rocprim17ROCPRIM_400000_NS6detail17trampoline_kernelINS0_14default_configENS1_36segmented_radix_sort_config_selectorIilEEZNS1_25segmented_radix_sort_implIS3_Lb1EPKiPiPKlPlN2at6native12_GLOBAL__N_18offset_tEEE10hipError_tPvRmT1_PNSt15iterator_traitsISK_E10value_typeET2_T3_PNSL_ISQ_E10value_typeET4_jRbjT5_SW_jjP12ihipStream_tbEUlT_E1_NS1_11comp_targetILNS1_3genE0ELNS1_11target_archE4294967295ELNS1_3gpuE0ELNS1_3repE0EEENS1_59segmented_radix_sort_warp_sort_small_config_static_selectorELNS0_4arch9wavefront6targetE0EEEvSK_,comdat
.Lfunc_end517:
	.size	_ZN7rocprim17ROCPRIM_400000_NS6detail17trampoline_kernelINS0_14default_configENS1_36segmented_radix_sort_config_selectorIilEEZNS1_25segmented_radix_sort_implIS3_Lb1EPKiPiPKlPlN2at6native12_GLOBAL__N_18offset_tEEE10hipError_tPvRmT1_PNSt15iterator_traitsISK_E10value_typeET2_T3_PNSL_ISQ_E10value_typeET4_jRbjT5_SW_jjP12ihipStream_tbEUlT_E1_NS1_11comp_targetILNS1_3genE0ELNS1_11target_archE4294967295ELNS1_3gpuE0ELNS1_3repE0EEENS1_59segmented_radix_sort_warp_sort_small_config_static_selectorELNS0_4arch9wavefront6targetE0EEEvSK_, .Lfunc_end517-_ZN7rocprim17ROCPRIM_400000_NS6detail17trampoline_kernelINS0_14default_configENS1_36segmented_radix_sort_config_selectorIilEEZNS1_25segmented_radix_sort_implIS3_Lb1EPKiPiPKlPlN2at6native12_GLOBAL__N_18offset_tEEE10hipError_tPvRmT1_PNSt15iterator_traitsISK_E10value_typeET2_T3_PNSL_ISQ_E10value_typeET4_jRbjT5_SW_jjP12ihipStream_tbEUlT_E1_NS1_11comp_targetILNS1_3genE0ELNS1_11target_archE4294967295ELNS1_3gpuE0ELNS1_3repE0EEENS1_59segmented_radix_sort_warp_sort_small_config_static_selectorELNS0_4arch9wavefront6targetE0EEEvSK_
                                        ; -- End function
	.section	.AMDGPU.csdata,"",@progbits
; Kernel info:
; codeLenInByte = 0
; NumSgprs: 0
; NumVgprs: 0
; ScratchSize: 0
; MemoryBound: 0
; FloatMode: 240
; IeeeMode: 1
; LDSByteSize: 0 bytes/workgroup (compile time only)
; SGPRBlocks: 0
; VGPRBlocks: 0
; NumSGPRsForWavesPerEU: 1
; NumVGPRsForWavesPerEU: 1
; Occupancy: 16
; WaveLimiterHint : 0
; COMPUTE_PGM_RSRC2:SCRATCH_EN: 0
; COMPUTE_PGM_RSRC2:USER_SGPR: 15
; COMPUTE_PGM_RSRC2:TRAP_HANDLER: 0
; COMPUTE_PGM_RSRC2:TGID_X_EN: 1
; COMPUTE_PGM_RSRC2:TGID_Y_EN: 0
; COMPUTE_PGM_RSRC2:TGID_Z_EN: 0
; COMPUTE_PGM_RSRC2:TIDIG_COMP_CNT: 0
	.section	.text._ZN7rocprim17ROCPRIM_400000_NS6detail17trampoline_kernelINS0_14default_configENS1_36segmented_radix_sort_config_selectorIilEEZNS1_25segmented_radix_sort_implIS3_Lb1EPKiPiPKlPlN2at6native12_GLOBAL__N_18offset_tEEE10hipError_tPvRmT1_PNSt15iterator_traitsISK_E10value_typeET2_T3_PNSL_ISQ_E10value_typeET4_jRbjT5_SW_jjP12ihipStream_tbEUlT_E1_NS1_11comp_targetILNS1_3genE5ELNS1_11target_archE942ELNS1_3gpuE9ELNS1_3repE0EEENS1_59segmented_radix_sort_warp_sort_small_config_static_selectorELNS0_4arch9wavefront6targetE0EEEvSK_,"axG",@progbits,_ZN7rocprim17ROCPRIM_400000_NS6detail17trampoline_kernelINS0_14default_configENS1_36segmented_radix_sort_config_selectorIilEEZNS1_25segmented_radix_sort_implIS3_Lb1EPKiPiPKlPlN2at6native12_GLOBAL__N_18offset_tEEE10hipError_tPvRmT1_PNSt15iterator_traitsISK_E10value_typeET2_T3_PNSL_ISQ_E10value_typeET4_jRbjT5_SW_jjP12ihipStream_tbEUlT_E1_NS1_11comp_targetILNS1_3genE5ELNS1_11target_archE942ELNS1_3gpuE9ELNS1_3repE0EEENS1_59segmented_radix_sort_warp_sort_small_config_static_selectorELNS0_4arch9wavefront6targetE0EEEvSK_,comdat
	.globl	_ZN7rocprim17ROCPRIM_400000_NS6detail17trampoline_kernelINS0_14default_configENS1_36segmented_radix_sort_config_selectorIilEEZNS1_25segmented_radix_sort_implIS3_Lb1EPKiPiPKlPlN2at6native12_GLOBAL__N_18offset_tEEE10hipError_tPvRmT1_PNSt15iterator_traitsISK_E10value_typeET2_T3_PNSL_ISQ_E10value_typeET4_jRbjT5_SW_jjP12ihipStream_tbEUlT_E1_NS1_11comp_targetILNS1_3genE5ELNS1_11target_archE942ELNS1_3gpuE9ELNS1_3repE0EEENS1_59segmented_radix_sort_warp_sort_small_config_static_selectorELNS0_4arch9wavefront6targetE0EEEvSK_ ; -- Begin function _ZN7rocprim17ROCPRIM_400000_NS6detail17trampoline_kernelINS0_14default_configENS1_36segmented_radix_sort_config_selectorIilEEZNS1_25segmented_radix_sort_implIS3_Lb1EPKiPiPKlPlN2at6native12_GLOBAL__N_18offset_tEEE10hipError_tPvRmT1_PNSt15iterator_traitsISK_E10value_typeET2_T3_PNSL_ISQ_E10value_typeET4_jRbjT5_SW_jjP12ihipStream_tbEUlT_E1_NS1_11comp_targetILNS1_3genE5ELNS1_11target_archE942ELNS1_3gpuE9ELNS1_3repE0EEENS1_59segmented_radix_sort_warp_sort_small_config_static_selectorELNS0_4arch9wavefront6targetE0EEEvSK_
	.p2align	8
	.type	_ZN7rocprim17ROCPRIM_400000_NS6detail17trampoline_kernelINS0_14default_configENS1_36segmented_radix_sort_config_selectorIilEEZNS1_25segmented_radix_sort_implIS3_Lb1EPKiPiPKlPlN2at6native12_GLOBAL__N_18offset_tEEE10hipError_tPvRmT1_PNSt15iterator_traitsISK_E10value_typeET2_T3_PNSL_ISQ_E10value_typeET4_jRbjT5_SW_jjP12ihipStream_tbEUlT_E1_NS1_11comp_targetILNS1_3genE5ELNS1_11target_archE942ELNS1_3gpuE9ELNS1_3repE0EEENS1_59segmented_radix_sort_warp_sort_small_config_static_selectorELNS0_4arch9wavefront6targetE0EEEvSK_,@function
_ZN7rocprim17ROCPRIM_400000_NS6detail17trampoline_kernelINS0_14default_configENS1_36segmented_radix_sort_config_selectorIilEEZNS1_25segmented_radix_sort_implIS3_Lb1EPKiPiPKlPlN2at6native12_GLOBAL__N_18offset_tEEE10hipError_tPvRmT1_PNSt15iterator_traitsISK_E10value_typeET2_T3_PNSL_ISQ_E10value_typeET4_jRbjT5_SW_jjP12ihipStream_tbEUlT_E1_NS1_11comp_targetILNS1_3genE5ELNS1_11target_archE942ELNS1_3gpuE9ELNS1_3repE0EEENS1_59segmented_radix_sort_warp_sort_small_config_static_selectorELNS0_4arch9wavefront6targetE0EEEvSK_: ; @_ZN7rocprim17ROCPRIM_400000_NS6detail17trampoline_kernelINS0_14default_configENS1_36segmented_radix_sort_config_selectorIilEEZNS1_25segmented_radix_sort_implIS3_Lb1EPKiPiPKlPlN2at6native12_GLOBAL__N_18offset_tEEE10hipError_tPvRmT1_PNSt15iterator_traitsISK_E10value_typeET2_T3_PNSL_ISQ_E10value_typeET4_jRbjT5_SW_jjP12ihipStream_tbEUlT_E1_NS1_11comp_targetILNS1_3genE5ELNS1_11target_archE942ELNS1_3gpuE9ELNS1_3repE0EEENS1_59segmented_radix_sort_warp_sort_small_config_static_selectorELNS0_4arch9wavefront6targetE0EEEvSK_
; %bb.0:
	.section	.rodata,"a",@progbits
	.p2align	6, 0x0
	.amdhsa_kernel _ZN7rocprim17ROCPRIM_400000_NS6detail17trampoline_kernelINS0_14default_configENS1_36segmented_radix_sort_config_selectorIilEEZNS1_25segmented_radix_sort_implIS3_Lb1EPKiPiPKlPlN2at6native12_GLOBAL__N_18offset_tEEE10hipError_tPvRmT1_PNSt15iterator_traitsISK_E10value_typeET2_T3_PNSL_ISQ_E10value_typeET4_jRbjT5_SW_jjP12ihipStream_tbEUlT_E1_NS1_11comp_targetILNS1_3genE5ELNS1_11target_archE942ELNS1_3gpuE9ELNS1_3repE0EEENS1_59segmented_radix_sort_warp_sort_small_config_static_selectorELNS0_4arch9wavefront6targetE0EEEvSK_
		.amdhsa_group_segment_fixed_size 0
		.amdhsa_private_segment_fixed_size 0
		.amdhsa_kernarg_size 88
		.amdhsa_user_sgpr_count 15
		.amdhsa_user_sgpr_dispatch_ptr 0
		.amdhsa_user_sgpr_queue_ptr 0
		.amdhsa_user_sgpr_kernarg_segment_ptr 1
		.amdhsa_user_sgpr_dispatch_id 0
		.amdhsa_user_sgpr_private_segment_size 0
		.amdhsa_wavefront_size32 1
		.amdhsa_uses_dynamic_stack 0
		.amdhsa_enable_private_segment 0
		.amdhsa_system_sgpr_workgroup_id_x 1
		.amdhsa_system_sgpr_workgroup_id_y 0
		.amdhsa_system_sgpr_workgroup_id_z 0
		.amdhsa_system_sgpr_workgroup_info 0
		.amdhsa_system_vgpr_workitem_id 0
		.amdhsa_next_free_vgpr 1
		.amdhsa_next_free_sgpr 1
		.amdhsa_reserve_vcc 0
		.amdhsa_float_round_mode_32 0
		.amdhsa_float_round_mode_16_64 0
		.amdhsa_float_denorm_mode_32 3
		.amdhsa_float_denorm_mode_16_64 3
		.amdhsa_dx10_clamp 1
		.amdhsa_ieee_mode 1
		.amdhsa_fp16_overflow 0
		.amdhsa_workgroup_processor_mode 1
		.amdhsa_memory_ordered 1
		.amdhsa_forward_progress 0
		.amdhsa_shared_vgpr_count 0
		.amdhsa_exception_fp_ieee_invalid_op 0
		.amdhsa_exception_fp_denorm_src 0
		.amdhsa_exception_fp_ieee_div_zero 0
		.amdhsa_exception_fp_ieee_overflow 0
		.amdhsa_exception_fp_ieee_underflow 0
		.amdhsa_exception_fp_ieee_inexact 0
		.amdhsa_exception_int_div_zero 0
	.end_amdhsa_kernel
	.section	.text._ZN7rocprim17ROCPRIM_400000_NS6detail17trampoline_kernelINS0_14default_configENS1_36segmented_radix_sort_config_selectorIilEEZNS1_25segmented_radix_sort_implIS3_Lb1EPKiPiPKlPlN2at6native12_GLOBAL__N_18offset_tEEE10hipError_tPvRmT1_PNSt15iterator_traitsISK_E10value_typeET2_T3_PNSL_ISQ_E10value_typeET4_jRbjT5_SW_jjP12ihipStream_tbEUlT_E1_NS1_11comp_targetILNS1_3genE5ELNS1_11target_archE942ELNS1_3gpuE9ELNS1_3repE0EEENS1_59segmented_radix_sort_warp_sort_small_config_static_selectorELNS0_4arch9wavefront6targetE0EEEvSK_,"axG",@progbits,_ZN7rocprim17ROCPRIM_400000_NS6detail17trampoline_kernelINS0_14default_configENS1_36segmented_radix_sort_config_selectorIilEEZNS1_25segmented_radix_sort_implIS3_Lb1EPKiPiPKlPlN2at6native12_GLOBAL__N_18offset_tEEE10hipError_tPvRmT1_PNSt15iterator_traitsISK_E10value_typeET2_T3_PNSL_ISQ_E10value_typeET4_jRbjT5_SW_jjP12ihipStream_tbEUlT_E1_NS1_11comp_targetILNS1_3genE5ELNS1_11target_archE942ELNS1_3gpuE9ELNS1_3repE0EEENS1_59segmented_radix_sort_warp_sort_small_config_static_selectorELNS0_4arch9wavefront6targetE0EEEvSK_,comdat
.Lfunc_end518:
	.size	_ZN7rocprim17ROCPRIM_400000_NS6detail17trampoline_kernelINS0_14default_configENS1_36segmented_radix_sort_config_selectorIilEEZNS1_25segmented_radix_sort_implIS3_Lb1EPKiPiPKlPlN2at6native12_GLOBAL__N_18offset_tEEE10hipError_tPvRmT1_PNSt15iterator_traitsISK_E10value_typeET2_T3_PNSL_ISQ_E10value_typeET4_jRbjT5_SW_jjP12ihipStream_tbEUlT_E1_NS1_11comp_targetILNS1_3genE5ELNS1_11target_archE942ELNS1_3gpuE9ELNS1_3repE0EEENS1_59segmented_radix_sort_warp_sort_small_config_static_selectorELNS0_4arch9wavefront6targetE0EEEvSK_, .Lfunc_end518-_ZN7rocprim17ROCPRIM_400000_NS6detail17trampoline_kernelINS0_14default_configENS1_36segmented_radix_sort_config_selectorIilEEZNS1_25segmented_radix_sort_implIS3_Lb1EPKiPiPKlPlN2at6native12_GLOBAL__N_18offset_tEEE10hipError_tPvRmT1_PNSt15iterator_traitsISK_E10value_typeET2_T3_PNSL_ISQ_E10value_typeET4_jRbjT5_SW_jjP12ihipStream_tbEUlT_E1_NS1_11comp_targetILNS1_3genE5ELNS1_11target_archE942ELNS1_3gpuE9ELNS1_3repE0EEENS1_59segmented_radix_sort_warp_sort_small_config_static_selectorELNS0_4arch9wavefront6targetE0EEEvSK_
                                        ; -- End function
	.section	.AMDGPU.csdata,"",@progbits
; Kernel info:
; codeLenInByte = 0
; NumSgprs: 0
; NumVgprs: 0
; ScratchSize: 0
; MemoryBound: 0
; FloatMode: 240
; IeeeMode: 1
; LDSByteSize: 0 bytes/workgroup (compile time only)
; SGPRBlocks: 0
; VGPRBlocks: 0
; NumSGPRsForWavesPerEU: 1
; NumVGPRsForWavesPerEU: 1
; Occupancy: 16
; WaveLimiterHint : 0
; COMPUTE_PGM_RSRC2:SCRATCH_EN: 0
; COMPUTE_PGM_RSRC2:USER_SGPR: 15
; COMPUTE_PGM_RSRC2:TRAP_HANDLER: 0
; COMPUTE_PGM_RSRC2:TGID_X_EN: 1
; COMPUTE_PGM_RSRC2:TGID_Y_EN: 0
; COMPUTE_PGM_RSRC2:TGID_Z_EN: 0
; COMPUTE_PGM_RSRC2:TIDIG_COMP_CNT: 0
	.section	.text._ZN7rocprim17ROCPRIM_400000_NS6detail17trampoline_kernelINS0_14default_configENS1_36segmented_radix_sort_config_selectorIilEEZNS1_25segmented_radix_sort_implIS3_Lb1EPKiPiPKlPlN2at6native12_GLOBAL__N_18offset_tEEE10hipError_tPvRmT1_PNSt15iterator_traitsISK_E10value_typeET2_T3_PNSL_ISQ_E10value_typeET4_jRbjT5_SW_jjP12ihipStream_tbEUlT_E1_NS1_11comp_targetILNS1_3genE4ELNS1_11target_archE910ELNS1_3gpuE8ELNS1_3repE0EEENS1_59segmented_radix_sort_warp_sort_small_config_static_selectorELNS0_4arch9wavefront6targetE0EEEvSK_,"axG",@progbits,_ZN7rocprim17ROCPRIM_400000_NS6detail17trampoline_kernelINS0_14default_configENS1_36segmented_radix_sort_config_selectorIilEEZNS1_25segmented_radix_sort_implIS3_Lb1EPKiPiPKlPlN2at6native12_GLOBAL__N_18offset_tEEE10hipError_tPvRmT1_PNSt15iterator_traitsISK_E10value_typeET2_T3_PNSL_ISQ_E10value_typeET4_jRbjT5_SW_jjP12ihipStream_tbEUlT_E1_NS1_11comp_targetILNS1_3genE4ELNS1_11target_archE910ELNS1_3gpuE8ELNS1_3repE0EEENS1_59segmented_radix_sort_warp_sort_small_config_static_selectorELNS0_4arch9wavefront6targetE0EEEvSK_,comdat
	.globl	_ZN7rocprim17ROCPRIM_400000_NS6detail17trampoline_kernelINS0_14default_configENS1_36segmented_radix_sort_config_selectorIilEEZNS1_25segmented_radix_sort_implIS3_Lb1EPKiPiPKlPlN2at6native12_GLOBAL__N_18offset_tEEE10hipError_tPvRmT1_PNSt15iterator_traitsISK_E10value_typeET2_T3_PNSL_ISQ_E10value_typeET4_jRbjT5_SW_jjP12ihipStream_tbEUlT_E1_NS1_11comp_targetILNS1_3genE4ELNS1_11target_archE910ELNS1_3gpuE8ELNS1_3repE0EEENS1_59segmented_radix_sort_warp_sort_small_config_static_selectorELNS0_4arch9wavefront6targetE0EEEvSK_ ; -- Begin function _ZN7rocprim17ROCPRIM_400000_NS6detail17trampoline_kernelINS0_14default_configENS1_36segmented_radix_sort_config_selectorIilEEZNS1_25segmented_radix_sort_implIS3_Lb1EPKiPiPKlPlN2at6native12_GLOBAL__N_18offset_tEEE10hipError_tPvRmT1_PNSt15iterator_traitsISK_E10value_typeET2_T3_PNSL_ISQ_E10value_typeET4_jRbjT5_SW_jjP12ihipStream_tbEUlT_E1_NS1_11comp_targetILNS1_3genE4ELNS1_11target_archE910ELNS1_3gpuE8ELNS1_3repE0EEENS1_59segmented_radix_sort_warp_sort_small_config_static_selectorELNS0_4arch9wavefront6targetE0EEEvSK_
	.p2align	8
	.type	_ZN7rocprim17ROCPRIM_400000_NS6detail17trampoline_kernelINS0_14default_configENS1_36segmented_radix_sort_config_selectorIilEEZNS1_25segmented_radix_sort_implIS3_Lb1EPKiPiPKlPlN2at6native12_GLOBAL__N_18offset_tEEE10hipError_tPvRmT1_PNSt15iterator_traitsISK_E10value_typeET2_T3_PNSL_ISQ_E10value_typeET4_jRbjT5_SW_jjP12ihipStream_tbEUlT_E1_NS1_11comp_targetILNS1_3genE4ELNS1_11target_archE910ELNS1_3gpuE8ELNS1_3repE0EEENS1_59segmented_radix_sort_warp_sort_small_config_static_selectorELNS0_4arch9wavefront6targetE0EEEvSK_,@function
_ZN7rocprim17ROCPRIM_400000_NS6detail17trampoline_kernelINS0_14default_configENS1_36segmented_radix_sort_config_selectorIilEEZNS1_25segmented_radix_sort_implIS3_Lb1EPKiPiPKlPlN2at6native12_GLOBAL__N_18offset_tEEE10hipError_tPvRmT1_PNSt15iterator_traitsISK_E10value_typeET2_T3_PNSL_ISQ_E10value_typeET4_jRbjT5_SW_jjP12ihipStream_tbEUlT_E1_NS1_11comp_targetILNS1_3genE4ELNS1_11target_archE910ELNS1_3gpuE8ELNS1_3repE0EEENS1_59segmented_radix_sort_warp_sort_small_config_static_selectorELNS0_4arch9wavefront6targetE0EEEvSK_: ; @_ZN7rocprim17ROCPRIM_400000_NS6detail17trampoline_kernelINS0_14default_configENS1_36segmented_radix_sort_config_selectorIilEEZNS1_25segmented_radix_sort_implIS3_Lb1EPKiPiPKlPlN2at6native12_GLOBAL__N_18offset_tEEE10hipError_tPvRmT1_PNSt15iterator_traitsISK_E10value_typeET2_T3_PNSL_ISQ_E10value_typeET4_jRbjT5_SW_jjP12ihipStream_tbEUlT_E1_NS1_11comp_targetILNS1_3genE4ELNS1_11target_archE910ELNS1_3gpuE8ELNS1_3repE0EEENS1_59segmented_radix_sort_warp_sort_small_config_static_selectorELNS0_4arch9wavefront6targetE0EEEvSK_
; %bb.0:
	.section	.rodata,"a",@progbits
	.p2align	6, 0x0
	.amdhsa_kernel _ZN7rocprim17ROCPRIM_400000_NS6detail17trampoline_kernelINS0_14default_configENS1_36segmented_radix_sort_config_selectorIilEEZNS1_25segmented_radix_sort_implIS3_Lb1EPKiPiPKlPlN2at6native12_GLOBAL__N_18offset_tEEE10hipError_tPvRmT1_PNSt15iterator_traitsISK_E10value_typeET2_T3_PNSL_ISQ_E10value_typeET4_jRbjT5_SW_jjP12ihipStream_tbEUlT_E1_NS1_11comp_targetILNS1_3genE4ELNS1_11target_archE910ELNS1_3gpuE8ELNS1_3repE0EEENS1_59segmented_radix_sort_warp_sort_small_config_static_selectorELNS0_4arch9wavefront6targetE0EEEvSK_
		.amdhsa_group_segment_fixed_size 0
		.amdhsa_private_segment_fixed_size 0
		.amdhsa_kernarg_size 88
		.amdhsa_user_sgpr_count 15
		.amdhsa_user_sgpr_dispatch_ptr 0
		.amdhsa_user_sgpr_queue_ptr 0
		.amdhsa_user_sgpr_kernarg_segment_ptr 1
		.amdhsa_user_sgpr_dispatch_id 0
		.amdhsa_user_sgpr_private_segment_size 0
		.amdhsa_wavefront_size32 1
		.amdhsa_uses_dynamic_stack 0
		.amdhsa_enable_private_segment 0
		.amdhsa_system_sgpr_workgroup_id_x 1
		.amdhsa_system_sgpr_workgroup_id_y 0
		.amdhsa_system_sgpr_workgroup_id_z 0
		.amdhsa_system_sgpr_workgroup_info 0
		.amdhsa_system_vgpr_workitem_id 0
		.amdhsa_next_free_vgpr 1
		.amdhsa_next_free_sgpr 1
		.amdhsa_reserve_vcc 0
		.amdhsa_float_round_mode_32 0
		.amdhsa_float_round_mode_16_64 0
		.amdhsa_float_denorm_mode_32 3
		.amdhsa_float_denorm_mode_16_64 3
		.amdhsa_dx10_clamp 1
		.amdhsa_ieee_mode 1
		.amdhsa_fp16_overflow 0
		.amdhsa_workgroup_processor_mode 1
		.amdhsa_memory_ordered 1
		.amdhsa_forward_progress 0
		.amdhsa_shared_vgpr_count 0
		.amdhsa_exception_fp_ieee_invalid_op 0
		.amdhsa_exception_fp_denorm_src 0
		.amdhsa_exception_fp_ieee_div_zero 0
		.amdhsa_exception_fp_ieee_overflow 0
		.amdhsa_exception_fp_ieee_underflow 0
		.amdhsa_exception_fp_ieee_inexact 0
		.amdhsa_exception_int_div_zero 0
	.end_amdhsa_kernel
	.section	.text._ZN7rocprim17ROCPRIM_400000_NS6detail17trampoline_kernelINS0_14default_configENS1_36segmented_radix_sort_config_selectorIilEEZNS1_25segmented_radix_sort_implIS3_Lb1EPKiPiPKlPlN2at6native12_GLOBAL__N_18offset_tEEE10hipError_tPvRmT1_PNSt15iterator_traitsISK_E10value_typeET2_T3_PNSL_ISQ_E10value_typeET4_jRbjT5_SW_jjP12ihipStream_tbEUlT_E1_NS1_11comp_targetILNS1_3genE4ELNS1_11target_archE910ELNS1_3gpuE8ELNS1_3repE0EEENS1_59segmented_radix_sort_warp_sort_small_config_static_selectorELNS0_4arch9wavefront6targetE0EEEvSK_,"axG",@progbits,_ZN7rocprim17ROCPRIM_400000_NS6detail17trampoline_kernelINS0_14default_configENS1_36segmented_radix_sort_config_selectorIilEEZNS1_25segmented_radix_sort_implIS3_Lb1EPKiPiPKlPlN2at6native12_GLOBAL__N_18offset_tEEE10hipError_tPvRmT1_PNSt15iterator_traitsISK_E10value_typeET2_T3_PNSL_ISQ_E10value_typeET4_jRbjT5_SW_jjP12ihipStream_tbEUlT_E1_NS1_11comp_targetILNS1_3genE4ELNS1_11target_archE910ELNS1_3gpuE8ELNS1_3repE0EEENS1_59segmented_radix_sort_warp_sort_small_config_static_selectorELNS0_4arch9wavefront6targetE0EEEvSK_,comdat
.Lfunc_end519:
	.size	_ZN7rocprim17ROCPRIM_400000_NS6detail17trampoline_kernelINS0_14default_configENS1_36segmented_radix_sort_config_selectorIilEEZNS1_25segmented_radix_sort_implIS3_Lb1EPKiPiPKlPlN2at6native12_GLOBAL__N_18offset_tEEE10hipError_tPvRmT1_PNSt15iterator_traitsISK_E10value_typeET2_T3_PNSL_ISQ_E10value_typeET4_jRbjT5_SW_jjP12ihipStream_tbEUlT_E1_NS1_11comp_targetILNS1_3genE4ELNS1_11target_archE910ELNS1_3gpuE8ELNS1_3repE0EEENS1_59segmented_radix_sort_warp_sort_small_config_static_selectorELNS0_4arch9wavefront6targetE0EEEvSK_, .Lfunc_end519-_ZN7rocprim17ROCPRIM_400000_NS6detail17trampoline_kernelINS0_14default_configENS1_36segmented_radix_sort_config_selectorIilEEZNS1_25segmented_radix_sort_implIS3_Lb1EPKiPiPKlPlN2at6native12_GLOBAL__N_18offset_tEEE10hipError_tPvRmT1_PNSt15iterator_traitsISK_E10value_typeET2_T3_PNSL_ISQ_E10value_typeET4_jRbjT5_SW_jjP12ihipStream_tbEUlT_E1_NS1_11comp_targetILNS1_3genE4ELNS1_11target_archE910ELNS1_3gpuE8ELNS1_3repE0EEENS1_59segmented_radix_sort_warp_sort_small_config_static_selectorELNS0_4arch9wavefront6targetE0EEEvSK_
                                        ; -- End function
	.section	.AMDGPU.csdata,"",@progbits
; Kernel info:
; codeLenInByte = 0
; NumSgprs: 0
; NumVgprs: 0
; ScratchSize: 0
; MemoryBound: 0
; FloatMode: 240
; IeeeMode: 1
; LDSByteSize: 0 bytes/workgroup (compile time only)
; SGPRBlocks: 0
; VGPRBlocks: 0
; NumSGPRsForWavesPerEU: 1
; NumVGPRsForWavesPerEU: 1
; Occupancy: 16
; WaveLimiterHint : 0
; COMPUTE_PGM_RSRC2:SCRATCH_EN: 0
; COMPUTE_PGM_RSRC2:USER_SGPR: 15
; COMPUTE_PGM_RSRC2:TRAP_HANDLER: 0
; COMPUTE_PGM_RSRC2:TGID_X_EN: 1
; COMPUTE_PGM_RSRC2:TGID_Y_EN: 0
; COMPUTE_PGM_RSRC2:TGID_Z_EN: 0
; COMPUTE_PGM_RSRC2:TIDIG_COMP_CNT: 0
	.section	.text._ZN7rocprim17ROCPRIM_400000_NS6detail17trampoline_kernelINS0_14default_configENS1_36segmented_radix_sort_config_selectorIilEEZNS1_25segmented_radix_sort_implIS3_Lb1EPKiPiPKlPlN2at6native12_GLOBAL__N_18offset_tEEE10hipError_tPvRmT1_PNSt15iterator_traitsISK_E10value_typeET2_T3_PNSL_ISQ_E10value_typeET4_jRbjT5_SW_jjP12ihipStream_tbEUlT_E1_NS1_11comp_targetILNS1_3genE3ELNS1_11target_archE908ELNS1_3gpuE7ELNS1_3repE0EEENS1_59segmented_radix_sort_warp_sort_small_config_static_selectorELNS0_4arch9wavefront6targetE0EEEvSK_,"axG",@progbits,_ZN7rocprim17ROCPRIM_400000_NS6detail17trampoline_kernelINS0_14default_configENS1_36segmented_radix_sort_config_selectorIilEEZNS1_25segmented_radix_sort_implIS3_Lb1EPKiPiPKlPlN2at6native12_GLOBAL__N_18offset_tEEE10hipError_tPvRmT1_PNSt15iterator_traitsISK_E10value_typeET2_T3_PNSL_ISQ_E10value_typeET4_jRbjT5_SW_jjP12ihipStream_tbEUlT_E1_NS1_11comp_targetILNS1_3genE3ELNS1_11target_archE908ELNS1_3gpuE7ELNS1_3repE0EEENS1_59segmented_radix_sort_warp_sort_small_config_static_selectorELNS0_4arch9wavefront6targetE0EEEvSK_,comdat
	.globl	_ZN7rocprim17ROCPRIM_400000_NS6detail17trampoline_kernelINS0_14default_configENS1_36segmented_radix_sort_config_selectorIilEEZNS1_25segmented_radix_sort_implIS3_Lb1EPKiPiPKlPlN2at6native12_GLOBAL__N_18offset_tEEE10hipError_tPvRmT1_PNSt15iterator_traitsISK_E10value_typeET2_T3_PNSL_ISQ_E10value_typeET4_jRbjT5_SW_jjP12ihipStream_tbEUlT_E1_NS1_11comp_targetILNS1_3genE3ELNS1_11target_archE908ELNS1_3gpuE7ELNS1_3repE0EEENS1_59segmented_radix_sort_warp_sort_small_config_static_selectorELNS0_4arch9wavefront6targetE0EEEvSK_ ; -- Begin function _ZN7rocprim17ROCPRIM_400000_NS6detail17trampoline_kernelINS0_14default_configENS1_36segmented_radix_sort_config_selectorIilEEZNS1_25segmented_radix_sort_implIS3_Lb1EPKiPiPKlPlN2at6native12_GLOBAL__N_18offset_tEEE10hipError_tPvRmT1_PNSt15iterator_traitsISK_E10value_typeET2_T3_PNSL_ISQ_E10value_typeET4_jRbjT5_SW_jjP12ihipStream_tbEUlT_E1_NS1_11comp_targetILNS1_3genE3ELNS1_11target_archE908ELNS1_3gpuE7ELNS1_3repE0EEENS1_59segmented_radix_sort_warp_sort_small_config_static_selectorELNS0_4arch9wavefront6targetE0EEEvSK_
	.p2align	8
	.type	_ZN7rocprim17ROCPRIM_400000_NS6detail17trampoline_kernelINS0_14default_configENS1_36segmented_radix_sort_config_selectorIilEEZNS1_25segmented_radix_sort_implIS3_Lb1EPKiPiPKlPlN2at6native12_GLOBAL__N_18offset_tEEE10hipError_tPvRmT1_PNSt15iterator_traitsISK_E10value_typeET2_T3_PNSL_ISQ_E10value_typeET4_jRbjT5_SW_jjP12ihipStream_tbEUlT_E1_NS1_11comp_targetILNS1_3genE3ELNS1_11target_archE908ELNS1_3gpuE7ELNS1_3repE0EEENS1_59segmented_radix_sort_warp_sort_small_config_static_selectorELNS0_4arch9wavefront6targetE0EEEvSK_,@function
_ZN7rocprim17ROCPRIM_400000_NS6detail17trampoline_kernelINS0_14default_configENS1_36segmented_radix_sort_config_selectorIilEEZNS1_25segmented_radix_sort_implIS3_Lb1EPKiPiPKlPlN2at6native12_GLOBAL__N_18offset_tEEE10hipError_tPvRmT1_PNSt15iterator_traitsISK_E10value_typeET2_T3_PNSL_ISQ_E10value_typeET4_jRbjT5_SW_jjP12ihipStream_tbEUlT_E1_NS1_11comp_targetILNS1_3genE3ELNS1_11target_archE908ELNS1_3gpuE7ELNS1_3repE0EEENS1_59segmented_radix_sort_warp_sort_small_config_static_selectorELNS0_4arch9wavefront6targetE0EEEvSK_: ; @_ZN7rocprim17ROCPRIM_400000_NS6detail17trampoline_kernelINS0_14default_configENS1_36segmented_radix_sort_config_selectorIilEEZNS1_25segmented_radix_sort_implIS3_Lb1EPKiPiPKlPlN2at6native12_GLOBAL__N_18offset_tEEE10hipError_tPvRmT1_PNSt15iterator_traitsISK_E10value_typeET2_T3_PNSL_ISQ_E10value_typeET4_jRbjT5_SW_jjP12ihipStream_tbEUlT_E1_NS1_11comp_targetILNS1_3genE3ELNS1_11target_archE908ELNS1_3gpuE7ELNS1_3repE0EEENS1_59segmented_radix_sort_warp_sort_small_config_static_selectorELNS0_4arch9wavefront6targetE0EEEvSK_
; %bb.0:
	.section	.rodata,"a",@progbits
	.p2align	6, 0x0
	.amdhsa_kernel _ZN7rocprim17ROCPRIM_400000_NS6detail17trampoline_kernelINS0_14default_configENS1_36segmented_radix_sort_config_selectorIilEEZNS1_25segmented_radix_sort_implIS3_Lb1EPKiPiPKlPlN2at6native12_GLOBAL__N_18offset_tEEE10hipError_tPvRmT1_PNSt15iterator_traitsISK_E10value_typeET2_T3_PNSL_ISQ_E10value_typeET4_jRbjT5_SW_jjP12ihipStream_tbEUlT_E1_NS1_11comp_targetILNS1_3genE3ELNS1_11target_archE908ELNS1_3gpuE7ELNS1_3repE0EEENS1_59segmented_radix_sort_warp_sort_small_config_static_selectorELNS0_4arch9wavefront6targetE0EEEvSK_
		.amdhsa_group_segment_fixed_size 0
		.amdhsa_private_segment_fixed_size 0
		.amdhsa_kernarg_size 88
		.amdhsa_user_sgpr_count 15
		.amdhsa_user_sgpr_dispatch_ptr 0
		.amdhsa_user_sgpr_queue_ptr 0
		.amdhsa_user_sgpr_kernarg_segment_ptr 1
		.amdhsa_user_sgpr_dispatch_id 0
		.amdhsa_user_sgpr_private_segment_size 0
		.amdhsa_wavefront_size32 1
		.amdhsa_uses_dynamic_stack 0
		.amdhsa_enable_private_segment 0
		.amdhsa_system_sgpr_workgroup_id_x 1
		.amdhsa_system_sgpr_workgroup_id_y 0
		.amdhsa_system_sgpr_workgroup_id_z 0
		.amdhsa_system_sgpr_workgroup_info 0
		.amdhsa_system_vgpr_workitem_id 0
		.amdhsa_next_free_vgpr 1
		.amdhsa_next_free_sgpr 1
		.amdhsa_reserve_vcc 0
		.amdhsa_float_round_mode_32 0
		.amdhsa_float_round_mode_16_64 0
		.amdhsa_float_denorm_mode_32 3
		.amdhsa_float_denorm_mode_16_64 3
		.amdhsa_dx10_clamp 1
		.amdhsa_ieee_mode 1
		.amdhsa_fp16_overflow 0
		.amdhsa_workgroup_processor_mode 1
		.amdhsa_memory_ordered 1
		.amdhsa_forward_progress 0
		.amdhsa_shared_vgpr_count 0
		.amdhsa_exception_fp_ieee_invalid_op 0
		.amdhsa_exception_fp_denorm_src 0
		.amdhsa_exception_fp_ieee_div_zero 0
		.amdhsa_exception_fp_ieee_overflow 0
		.amdhsa_exception_fp_ieee_underflow 0
		.amdhsa_exception_fp_ieee_inexact 0
		.amdhsa_exception_int_div_zero 0
	.end_amdhsa_kernel
	.section	.text._ZN7rocprim17ROCPRIM_400000_NS6detail17trampoline_kernelINS0_14default_configENS1_36segmented_radix_sort_config_selectorIilEEZNS1_25segmented_radix_sort_implIS3_Lb1EPKiPiPKlPlN2at6native12_GLOBAL__N_18offset_tEEE10hipError_tPvRmT1_PNSt15iterator_traitsISK_E10value_typeET2_T3_PNSL_ISQ_E10value_typeET4_jRbjT5_SW_jjP12ihipStream_tbEUlT_E1_NS1_11comp_targetILNS1_3genE3ELNS1_11target_archE908ELNS1_3gpuE7ELNS1_3repE0EEENS1_59segmented_radix_sort_warp_sort_small_config_static_selectorELNS0_4arch9wavefront6targetE0EEEvSK_,"axG",@progbits,_ZN7rocprim17ROCPRIM_400000_NS6detail17trampoline_kernelINS0_14default_configENS1_36segmented_radix_sort_config_selectorIilEEZNS1_25segmented_radix_sort_implIS3_Lb1EPKiPiPKlPlN2at6native12_GLOBAL__N_18offset_tEEE10hipError_tPvRmT1_PNSt15iterator_traitsISK_E10value_typeET2_T3_PNSL_ISQ_E10value_typeET4_jRbjT5_SW_jjP12ihipStream_tbEUlT_E1_NS1_11comp_targetILNS1_3genE3ELNS1_11target_archE908ELNS1_3gpuE7ELNS1_3repE0EEENS1_59segmented_radix_sort_warp_sort_small_config_static_selectorELNS0_4arch9wavefront6targetE0EEEvSK_,comdat
.Lfunc_end520:
	.size	_ZN7rocprim17ROCPRIM_400000_NS6detail17trampoline_kernelINS0_14default_configENS1_36segmented_radix_sort_config_selectorIilEEZNS1_25segmented_radix_sort_implIS3_Lb1EPKiPiPKlPlN2at6native12_GLOBAL__N_18offset_tEEE10hipError_tPvRmT1_PNSt15iterator_traitsISK_E10value_typeET2_T3_PNSL_ISQ_E10value_typeET4_jRbjT5_SW_jjP12ihipStream_tbEUlT_E1_NS1_11comp_targetILNS1_3genE3ELNS1_11target_archE908ELNS1_3gpuE7ELNS1_3repE0EEENS1_59segmented_radix_sort_warp_sort_small_config_static_selectorELNS0_4arch9wavefront6targetE0EEEvSK_, .Lfunc_end520-_ZN7rocprim17ROCPRIM_400000_NS6detail17trampoline_kernelINS0_14default_configENS1_36segmented_radix_sort_config_selectorIilEEZNS1_25segmented_radix_sort_implIS3_Lb1EPKiPiPKlPlN2at6native12_GLOBAL__N_18offset_tEEE10hipError_tPvRmT1_PNSt15iterator_traitsISK_E10value_typeET2_T3_PNSL_ISQ_E10value_typeET4_jRbjT5_SW_jjP12ihipStream_tbEUlT_E1_NS1_11comp_targetILNS1_3genE3ELNS1_11target_archE908ELNS1_3gpuE7ELNS1_3repE0EEENS1_59segmented_radix_sort_warp_sort_small_config_static_selectorELNS0_4arch9wavefront6targetE0EEEvSK_
                                        ; -- End function
	.section	.AMDGPU.csdata,"",@progbits
; Kernel info:
; codeLenInByte = 0
; NumSgprs: 0
; NumVgprs: 0
; ScratchSize: 0
; MemoryBound: 0
; FloatMode: 240
; IeeeMode: 1
; LDSByteSize: 0 bytes/workgroup (compile time only)
; SGPRBlocks: 0
; VGPRBlocks: 0
; NumSGPRsForWavesPerEU: 1
; NumVGPRsForWavesPerEU: 1
; Occupancy: 16
; WaveLimiterHint : 0
; COMPUTE_PGM_RSRC2:SCRATCH_EN: 0
; COMPUTE_PGM_RSRC2:USER_SGPR: 15
; COMPUTE_PGM_RSRC2:TRAP_HANDLER: 0
; COMPUTE_PGM_RSRC2:TGID_X_EN: 1
; COMPUTE_PGM_RSRC2:TGID_Y_EN: 0
; COMPUTE_PGM_RSRC2:TGID_Z_EN: 0
; COMPUTE_PGM_RSRC2:TIDIG_COMP_CNT: 0
	.section	.text._ZN7rocprim17ROCPRIM_400000_NS6detail17trampoline_kernelINS0_14default_configENS1_36segmented_radix_sort_config_selectorIilEEZNS1_25segmented_radix_sort_implIS3_Lb1EPKiPiPKlPlN2at6native12_GLOBAL__N_18offset_tEEE10hipError_tPvRmT1_PNSt15iterator_traitsISK_E10value_typeET2_T3_PNSL_ISQ_E10value_typeET4_jRbjT5_SW_jjP12ihipStream_tbEUlT_E1_NS1_11comp_targetILNS1_3genE2ELNS1_11target_archE906ELNS1_3gpuE6ELNS1_3repE0EEENS1_59segmented_radix_sort_warp_sort_small_config_static_selectorELNS0_4arch9wavefront6targetE0EEEvSK_,"axG",@progbits,_ZN7rocprim17ROCPRIM_400000_NS6detail17trampoline_kernelINS0_14default_configENS1_36segmented_radix_sort_config_selectorIilEEZNS1_25segmented_radix_sort_implIS3_Lb1EPKiPiPKlPlN2at6native12_GLOBAL__N_18offset_tEEE10hipError_tPvRmT1_PNSt15iterator_traitsISK_E10value_typeET2_T3_PNSL_ISQ_E10value_typeET4_jRbjT5_SW_jjP12ihipStream_tbEUlT_E1_NS1_11comp_targetILNS1_3genE2ELNS1_11target_archE906ELNS1_3gpuE6ELNS1_3repE0EEENS1_59segmented_radix_sort_warp_sort_small_config_static_selectorELNS0_4arch9wavefront6targetE0EEEvSK_,comdat
	.globl	_ZN7rocprim17ROCPRIM_400000_NS6detail17trampoline_kernelINS0_14default_configENS1_36segmented_radix_sort_config_selectorIilEEZNS1_25segmented_radix_sort_implIS3_Lb1EPKiPiPKlPlN2at6native12_GLOBAL__N_18offset_tEEE10hipError_tPvRmT1_PNSt15iterator_traitsISK_E10value_typeET2_T3_PNSL_ISQ_E10value_typeET4_jRbjT5_SW_jjP12ihipStream_tbEUlT_E1_NS1_11comp_targetILNS1_3genE2ELNS1_11target_archE906ELNS1_3gpuE6ELNS1_3repE0EEENS1_59segmented_radix_sort_warp_sort_small_config_static_selectorELNS0_4arch9wavefront6targetE0EEEvSK_ ; -- Begin function _ZN7rocprim17ROCPRIM_400000_NS6detail17trampoline_kernelINS0_14default_configENS1_36segmented_radix_sort_config_selectorIilEEZNS1_25segmented_radix_sort_implIS3_Lb1EPKiPiPKlPlN2at6native12_GLOBAL__N_18offset_tEEE10hipError_tPvRmT1_PNSt15iterator_traitsISK_E10value_typeET2_T3_PNSL_ISQ_E10value_typeET4_jRbjT5_SW_jjP12ihipStream_tbEUlT_E1_NS1_11comp_targetILNS1_3genE2ELNS1_11target_archE906ELNS1_3gpuE6ELNS1_3repE0EEENS1_59segmented_radix_sort_warp_sort_small_config_static_selectorELNS0_4arch9wavefront6targetE0EEEvSK_
	.p2align	8
	.type	_ZN7rocprim17ROCPRIM_400000_NS6detail17trampoline_kernelINS0_14default_configENS1_36segmented_radix_sort_config_selectorIilEEZNS1_25segmented_radix_sort_implIS3_Lb1EPKiPiPKlPlN2at6native12_GLOBAL__N_18offset_tEEE10hipError_tPvRmT1_PNSt15iterator_traitsISK_E10value_typeET2_T3_PNSL_ISQ_E10value_typeET4_jRbjT5_SW_jjP12ihipStream_tbEUlT_E1_NS1_11comp_targetILNS1_3genE2ELNS1_11target_archE906ELNS1_3gpuE6ELNS1_3repE0EEENS1_59segmented_radix_sort_warp_sort_small_config_static_selectorELNS0_4arch9wavefront6targetE0EEEvSK_,@function
_ZN7rocprim17ROCPRIM_400000_NS6detail17trampoline_kernelINS0_14default_configENS1_36segmented_radix_sort_config_selectorIilEEZNS1_25segmented_radix_sort_implIS3_Lb1EPKiPiPKlPlN2at6native12_GLOBAL__N_18offset_tEEE10hipError_tPvRmT1_PNSt15iterator_traitsISK_E10value_typeET2_T3_PNSL_ISQ_E10value_typeET4_jRbjT5_SW_jjP12ihipStream_tbEUlT_E1_NS1_11comp_targetILNS1_3genE2ELNS1_11target_archE906ELNS1_3gpuE6ELNS1_3repE0EEENS1_59segmented_radix_sort_warp_sort_small_config_static_selectorELNS0_4arch9wavefront6targetE0EEEvSK_: ; @_ZN7rocprim17ROCPRIM_400000_NS6detail17trampoline_kernelINS0_14default_configENS1_36segmented_radix_sort_config_selectorIilEEZNS1_25segmented_radix_sort_implIS3_Lb1EPKiPiPKlPlN2at6native12_GLOBAL__N_18offset_tEEE10hipError_tPvRmT1_PNSt15iterator_traitsISK_E10value_typeET2_T3_PNSL_ISQ_E10value_typeET4_jRbjT5_SW_jjP12ihipStream_tbEUlT_E1_NS1_11comp_targetILNS1_3genE2ELNS1_11target_archE906ELNS1_3gpuE6ELNS1_3repE0EEENS1_59segmented_radix_sort_warp_sort_small_config_static_selectorELNS0_4arch9wavefront6targetE0EEEvSK_
; %bb.0:
	.section	.rodata,"a",@progbits
	.p2align	6, 0x0
	.amdhsa_kernel _ZN7rocprim17ROCPRIM_400000_NS6detail17trampoline_kernelINS0_14default_configENS1_36segmented_radix_sort_config_selectorIilEEZNS1_25segmented_radix_sort_implIS3_Lb1EPKiPiPKlPlN2at6native12_GLOBAL__N_18offset_tEEE10hipError_tPvRmT1_PNSt15iterator_traitsISK_E10value_typeET2_T3_PNSL_ISQ_E10value_typeET4_jRbjT5_SW_jjP12ihipStream_tbEUlT_E1_NS1_11comp_targetILNS1_3genE2ELNS1_11target_archE906ELNS1_3gpuE6ELNS1_3repE0EEENS1_59segmented_radix_sort_warp_sort_small_config_static_selectorELNS0_4arch9wavefront6targetE0EEEvSK_
		.amdhsa_group_segment_fixed_size 0
		.amdhsa_private_segment_fixed_size 0
		.amdhsa_kernarg_size 88
		.amdhsa_user_sgpr_count 15
		.amdhsa_user_sgpr_dispatch_ptr 0
		.amdhsa_user_sgpr_queue_ptr 0
		.amdhsa_user_sgpr_kernarg_segment_ptr 1
		.amdhsa_user_sgpr_dispatch_id 0
		.amdhsa_user_sgpr_private_segment_size 0
		.amdhsa_wavefront_size32 1
		.amdhsa_uses_dynamic_stack 0
		.amdhsa_enable_private_segment 0
		.amdhsa_system_sgpr_workgroup_id_x 1
		.amdhsa_system_sgpr_workgroup_id_y 0
		.amdhsa_system_sgpr_workgroup_id_z 0
		.amdhsa_system_sgpr_workgroup_info 0
		.amdhsa_system_vgpr_workitem_id 0
		.amdhsa_next_free_vgpr 1
		.amdhsa_next_free_sgpr 1
		.amdhsa_reserve_vcc 0
		.amdhsa_float_round_mode_32 0
		.amdhsa_float_round_mode_16_64 0
		.amdhsa_float_denorm_mode_32 3
		.amdhsa_float_denorm_mode_16_64 3
		.amdhsa_dx10_clamp 1
		.amdhsa_ieee_mode 1
		.amdhsa_fp16_overflow 0
		.amdhsa_workgroup_processor_mode 1
		.amdhsa_memory_ordered 1
		.amdhsa_forward_progress 0
		.amdhsa_shared_vgpr_count 0
		.amdhsa_exception_fp_ieee_invalid_op 0
		.amdhsa_exception_fp_denorm_src 0
		.amdhsa_exception_fp_ieee_div_zero 0
		.amdhsa_exception_fp_ieee_overflow 0
		.amdhsa_exception_fp_ieee_underflow 0
		.amdhsa_exception_fp_ieee_inexact 0
		.amdhsa_exception_int_div_zero 0
	.end_amdhsa_kernel
	.section	.text._ZN7rocprim17ROCPRIM_400000_NS6detail17trampoline_kernelINS0_14default_configENS1_36segmented_radix_sort_config_selectorIilEEZNS1_25segmented_radix_sort_implIS3_Lb1EPKiPiPKlPlN2at6native12_GLOBAL__N_18offset_tEEE10hipError_tPvRmT1_PNSt15iterator_traitsISK_E10value_typeET2_T3_PNSL_ISQ_E10value_typeET4_jRbjT5_SW_jjP12ihipStream_tbEUlT_E1_NS1_11comp_targetILNS1_3genE2ELNS1_11target_archE906ELNS1_3gpuE6ELNS1_3repE0EEENS1_59segmented_radix_sort_warp_sort_small_config_static_selectorELNS0_4arch9wavefront6targetE0EEEvSK_,"axG",@progbits,_ZN7rocprim17ROCPRIM_400000_NS6detail17trampoline_kernelINS0_14default_configENS1_36segmented_radix_sort_config_selectorIilEEZNS1_25segmented_radix_sort_implIS3_Lb1EPKiPiPKlPlN2at6native12_GLOBAL__N_18offset_tEEE10hipError_tPvRmT1_PNSt15iterator_traitsISK_E10value_typeET2_T3_PNSL_ISQ_E10value_typeET4_jRbjT5_SW_jjP12ihipStream_tbEUlT_E1_NS1_11comp_targetILNS1_3genE2ELNS1_11target_archE906ELNS1_3gpuE6ELNS1_3repE0EEENS1_59segmented_radix_sort_warp_sort_small_config_static_selectorELNS0_4arch9wavefront6targetE0EEEvSK_,comdat
.Lfunc_end521:
	.size	_ZN7rocprim17ROCPRIM_400000_NS6detail17trampoline_kernelINS0_14default_configENS1_36segmented_radix_sort_config_selectorIilEEZNS1_25segmented_radix_sort_implIS3_Lb1EPKiPiPKlPlN2at6native12_GLOBAL__N_18offset_tEEE10hipError_tPvRmT1_PNSt15iterator_traitsISK_E10value_typeET2_T3_PNSL_ISQ_E10value_typeET4_jRbjT5_SW_jjP12ihipStream_tbEUlT_E1_NS1_11comp_targetILNS1_3genE2ELNS1_11target_archE906ELNS1_3gpuE6ELNS1_3repE0EEENS1_59segmented_radix_sort_warp_sort_small_config_static_selectorELNS0_4arch9wavefront6targetE0EEEvSK_, .Lfunc_end521-_ZN7rocprim17ROCPRIM_400000_NS6detail17trampoline_kernelINS0_14default_configENS1_36segmented_radix_sort_config_selectorIilEEZNS1_25segmented_radix_sort_implIS3_Lb1EPKiPiPKlPlN2at6native12_GLOBAL__N_18offset_tEEE10hipError_tPvRmT1_PNSt15iterator_traitsISK_E10value_typeET2_T3_PNSL_ISQ_E10value_typeET4_jRbjT5_SW_jjP12ihipStream_tbEUlT_E1_NS1_11comp_targetILNS1_3genE2ELNS1_11target_archE906ELNS1_3gpuE6ELNS1_3repE0EEENS1_59segmented_radix_sort_warp_sort_small_config_static_selectorELNS0_4arch9wavefront6targetE0EEEvSK_
                                        ; -- End function
	.section	.AMDGPU.csdata,"",@progbits
; Kernel info:
; codeLenInByte = 0
; NumSgprs: 0
; NumVgprs: 0
; ScratchSize: 0
; MemoryBound: 0
; FloatMode: 240
; IeeeMode: 1
; LDSByteSize: 0 bytes/workgroup (compile time only)
; SGPRBlocks: 0
; VGPRBlocks: 0
; NumSGPRsForWavesPerEU: 1
; NumVGPRsForWavesPerEU: 1
; Occupancy: 16
; WaveLimiterHint : 0
; COMPUTE_PGM_RSRC2:SCRATCH_EN: 0
; COMPUTE_PGM_RSRC2:USER_SGPR: 15
; COMPUTE_PGM_RSRC2:TRAP_HANDLER: 0
; COMPUTE_PGM_RSRC2:TGID_X_EN: 1
; COMPUTE_PGM_RSRC2:TGID_Y_EN: 0
; COMPUTE_PGM_RSRC2:TGID_Z_EN: 0
; COMPUTE_PGM_RSRC2:TIDIG_COMP_CNT: 0
	.section	.text._ZN7rocprim17ROCPRIM_400000_NS6detail17trampoline_kernelINS0_14default_configENS1_36segmented_radix_sort_config_selectorIilEEZNS1_25segmented_radix_sort_implIS3_Lb1EPKiPiPKlPlN2at6native12_GLOBAL__N_18offset_tEEE10hipError_tPvRmT1_PNSt15iterator_traitsISK_E10value_typeET2_T3_PNSL_ISQ_E10value_typeET4_jRbjT5_SW_jjP12ihipStream_tbEUlT_E1_NS1_11comp_targetILNS1_3genE10ELNS1_11target_archE1201ELNS1_3gpuE5ELNS1_3repE0EEENS1_59segmented_radix_sort_warp_sort_small_config_static_selectorELNS0_4arch9wavefront6targetE0EEEvSK_,"axG",@progbits,_ZN7rocprim17ROCPRIM_400000_NS6detail17trampoline_kernelINS0_14default_configENS1_36segmented_radix_sort_config_selectorIilEEZNS1_25segmented_radix_sort_implIS3_Lb1EPKiPiPKlPlN2at6native12_GLOBAL__N_18offset_tEEE10hipError_tPvRmT1_PNSt15iterator_traitsISK_E10value_typeET2_T3_PNSL_ISQ_E10value_typeET4_jRbjT5_SW_jjP12ihipStream_tbEUlT_E1_NS1_11comp_targetILNS1_3genE10ELNS1_11target_archE1201ELNS1_3gpuE5ELNS1_3repE0EEENS1_59segmented_radix_sort_warp_sort_small_config_static_selectorELNS0_4arch9wavefront6targetE0EEEvSK_,comdat
	.globl	_ZN7rocprim17ROCPRIM_400000_NS6detail17trampoline_kernelINS0_14default_configENS1_36segmented_radix_sort_config_selectorIilEEZNS1_25segmented_radix_sort_implIS3_Lb1EPKiPiPKlPlN2at6native12_GLOBAL__N_18offset_tEEE10hipError_tPvRmT1_PNSt15iterator_traitsISK_E10value_typeET2_T3_PNSL_ISQ_E10value_typeET4_jRbjT5_SW_jjP12ihipStream_tbEUlT_E1_NS1_11comp_targetILNS1_3genE10ELNS1_11target_archE1201ELNS1_3gpuE5ELNS1_3repE0EEENS1_59segmented_radix_sort_warp_sort_small_config_static_selectorELNS0_4arch9wavefront6targetE0EEEvSK_ ; -- Begin function _ZN7rocprim17ROCPRIM_400000_NS6detail17trampoline_kernelINS0_14default_configENS1_36segmented_radix_sort_config_selectorIilEEZNS1_25segmented_radix_sort_implIS3_Lb1EPKiPiPKlPlN2at6native12_GLOBAL__N_18offset_tEEE10hipError_tPvRmT1_PNSt15iterator_traitsISK_E10value_typeET2_T3_PNSL_ISQ_E10value_typeET4_jRbjT5_SW_jjP12ihipStream_tbEUlT_E1_NS1_11comp_targetILNS1_3genE10ELNS1_11target_archE1201ELNS1_3gpuE5ELNS1_3repE0EEENS1_59segmented_radix_sort_warp_sort_small_config_static_selectorELNS0_4arch9wavefront6targetE0EEEvSK_
	.p2align	8
	.type	_ZN7rocprim17ROCPRIM_400000_NS6detail17trampoline_kernelINS0_14default_configENS1_36segmented_radix_sort_config_selectorIilEEZNS1_25segmented_radix_sort_implIS3_Lb1EPKiPiPKlPlN2at6native12_GLOBAL__N_18offset_tEEE10hipError_tPvRmT1_PNSt15iterator_traitsISK_E10value_typeET2_T3_PNSL_ISQ_E10value_typeET4_jRbjT5_SW_jjP12ihipStream_tbEUlT_E1_NS1_11comp_targetILNS1_3genE10ELNS1_11target_archE1201ELNS1_3gpuE5ELNS1_3repE0EEENS1_59segmented_radix_sort_warp_sort_small_config_static_selectorELNS0_4arch9wavefront6targetE0EEEvSK_,@function
_ZN7rocprim17ROCPRIM_400000_NS6detail17trampoline_kernelINS0_14default_configENS1_36segmented_radix_sort_config_selectorIilEEZNS1_25segmented_radix_sort_implIS3_Lb1EPKiPiPKlPlN2at6native12_GLOBAL__N_18offset_tEEE10hipError_tPvRmT1_PNSt15iterator_traitsISK_E10value_typeET2_T3_PNSL_ISQ_E10value_typeET4_jRbjT5_SW_jjP12ihipStream_tbEUlT_E1_NS1_11comp_targetILNS1_3genE10ELNS1_11target_archE1201ELNS1_3gpuE5ELNS1_3repE0EEENS1_59segmented_radix_sort_warp_sort_small_config_static_selectorELNS0_4arch9wavefront6targetE0EEEvSK_: ; @_ZN7rocprim17ROCPRIM_400000_NS6detail17trampoline_kernelINS0_14default_configENS1_36segmented_radix_sort_config_selectorIilEEZNS1_25segmented_radix_sort_implIS3_Lb1EPKiPiPKlPlN2at6native12_GLOBAL__N_18offset_tEEE10hipError_tPvRmT1_PNSt15iterator_traitsISK_E10value_typeET2_T3_PNSL_ISQ_E10value_typeET4_jRbjT5_SW_jjP12ihipStream_tbEUlT_E1_NS1_11comp_targetILNS1_3genE10ELNS1_11target_archE1201ELNS1_3gpuE5ELNS1_3repE0EEENS1_59segmented_radix_sort_warp_sort_small_config_static_selectorELNS0_4arch9wavefront6targetE0EEEvSK_
; %bb.0:
	.section	.rodata,"a",@progbits
	.p2align	6, 0x0
	.amdhsa_kernel _ZN7rocprim17ROCPRIM_400000_NS6detail17trampoline_kernelINS0_14default_configENS1_36segmented_radix_sort_config_selectorIilEEZNS1_25segmented_radix_sort_implIS3_Lb1EPKiPiPKlPlN2at6native12_GLOBAL__N_18offset_tEEE10hipError_tPvRmT1_PNSt15iterator_traitsISK_E10value_typeET2_T3_PNSL_ISQ_E10value_typeET4_jRbjT5_SW_jjP12ihipStream_tbEUlT_E1_NS1_11comp_targetILNS1_3genE10ELNS1_11target_archE1201ELNS1_3gpuE5ELNS1_3repE0EEENS1_59segmented_radix_sort_warp_sort_small_config_static_selectorELNS0_4arch9wavefront6targetE0EEEvSK_
		.amdhsa_group_segment_fixed_size 0
		.amdhsa_private_segment_fixed_size 0
		.amdhsa_kernarg_size 88
		.amdhsa_user_sgpr_count 15
		.amdhsa_user_sgpr_dispatch_ptr 0
		.amdhsa_user_sgpr_queue_ptr 0
		.amdhsa_user_sgpr_kernarg_segment_ptr 1
		.amdhsa_user_sgpr_dispatch_id 0
		.amdhsa_user_sgpr_private_segment_size 0
		.amdhsa_wavefront_size32 1
		.amdhsa_uses_dynamic_stack 0
		.amdhsa_enable_private_segment 0
		.amdhsa_system_sgpr_workgroup_id_x 1
		.amdhsa_system_sgpr_workgroup_id_y 0
		.amdhsa_system_sgpr_workgroup_id_z 0
		.amdhsa_system_sgpr_workgroup_info 0
		.amdhsa_system_vgpr_workitem_id 0
		.amdhsa_next_free_vgpr 1
		.amdhsa_next_free_sgpr 1
		.amdhsa_reserve_vcc 0
		.amdhsa_float_round_mode_32 0
		.amdhsa_float_round_mode_16_64 0
		.amdhsa_float_denorm_mode_32 3
		.amdhsa_float_denorm_mode_16_64 3
		.amdhsa_dx10_clamp 1
		.amdhsa_ieee_mode 1
		.amdhsa_fp16_overflow 0
		.amdhsa_workgroup_processor_mode 1
		.amdhsa_memory_ordered 1
		.amdhsa_forward_progress 0
		.amdhsa_shared_vgpr_count 0
		.amdhsa_exception_fp_ieee_invalid_op 0
		.amdhsa_exception_fp_denorm_src 0
		.amdhsa_exception_fp_ieee_div_zero 0
		.amdhsa_exception_fp_ieee_overflow 0
		.amdhsa_exception_fp_ieee_underflow 0
		.amdhsa_exception_fp_ieee_inexact 0
		.amdhsa_exception_int_div_zero 0
	.end_amdhsa_kernel
	.section	.text._ZN7rocprim17ROCPRIM_400000_NS6detail17trampoline_kernelINS0_14default_configENS1_36segmented_radix_sort_config_selectorIilEEZNS1_25segmented_radix_sort_implIS3_Lb1EPKiPiPKlPlN2at6native12_GLOBAL__N_18offset_tEEE10hipError_tPvRmT1_PNSt15iterator_traitsISK_E10value_typeET2_T3_PNSL_ISQ_E10value_typeET4_jRbjT5_SW_jjP12ihipStream_tbEUlT_E1_NS1_11comp_targetILNS1_3genE10ELNS1_11target_archE1201ELNS1_3gpuE5ELNS1_3repE0EEENS1_59segmented_radix_sort_warp_sort_small_config_static_selectorELNS0_4arch9wavefront6targetE0EEEvSK_,"axG",@progbits,_ZN7rocprim17ROCPRIM_400000_NS6detail17trampoline_kernelINS0_14default_configENS1_36segmented_radix_sort_config_selectorIilEEZNS1_25segmented_radix_sort_implIS3_Lb1EPKiPiPKlPlN2at6native12_GLOBAL__N_18offset_tEEE10hipError_tPvRmT1_PNSt15iterator_traitsISK_E10value_typeET2_T3_PNSL_ISQ_E10value_typeET4_jRbjT5_SW_jjP12ihipStream_tbEUlT_E1_NS1_11comp_targetILNS1_3genE10ELNS1_11target_archE1201ELNS1_3gpuE5ELNS1_3repE0EEENS1_59segmented_radix_sort_warp_sort_small_config_static_selectorELNS0_4arch9wavefront6targetE0EEEvSK_,comdat
.Lfunc_end522:
	.size	_ZN7rocprim17ROCPRIM_400000_NS6detail17trampoline_kernelINS0_14default_configENS1_36segmented_radix_sort_config_selectorIilEEZNS1_25segmented_radix_sort_implIS3_Lb1EPKiPiPKlPlN2at6native12_GLOBAL__N_18offset_tEEE10hipError_tPvRmT1_PNSt15iterator_traitsISK_E10value_typeET2_T3_PNSL_ISQ_E10value_typeET4_jRbjT5_SW_jjP12ihipStream_tbEUlT_E1_NS1_11comp_targetILNS1_3genE10ELNS1_11target_archE1201ELNS1_3gpuE5ELNS1_3repE0EEENS1_59segmented_radix_sort_warp_sort_small_config_static_selectorELNS0_4arch9wavefront6targetE0EEEvSK_, .Lfunc_end522-_ZN7rocprim17ROCPRIM_400000_NS6detail17trampoline_kernelINS0_14default_configENS1_36segmented_radix_sort_config_selectorIilEEZNS1_25segmented_radix_sort_implIS3_Lb1EPKiPiPKlPlN2at6native12_GLOBAL__N_18offset_tEEE10hipError_tPvRmT1_PNSt15iterator_traitsISK_E10value_typeET2_T3_PNSL_ISQ_E10value_typeET4_jRbjT5_SW_jjP12ihipStream_tbEUlT_E1_NS1_11comp_targetILNS1_3genE10ELNS1_11target_archE1201ELNS1_3gpuE5ELNS1_3repE0EEENS1_59segmented_radix_sort_warp_sort_small_config_static_selectorELNS0_4arch9wavefront6targetE0EEEvSK_
                                        ; -- End function
	.section	.AMDGPU.csdata,"",@progbits
; Kernel info:
; codeLenInByte = 0
; NumSgprs: 0
; NumVgprs: 0
; ScratchSize: 0
; MemoryBound: 0
; FloatMode: 240
; IeeeMode: 1
; LDSByteSize: 0 bytes/workgroup (compile time only)
; SGPRBlocks: 0
; VGPRBlocks: 0
; NumSGPRsForWavesPerEU: 1
; NumVGPRsForWavesPerEU: 1
; Occupancy: 16
; WaveLimiterHint : 0
; COMPUTE_PGM_RSRC2:SCRATCH_EN: 0
; COMPUTE_PGM_RSRC2:USER_SGPR: 15
; COMPUTE_PGM_RSRC2:TRAP_HANDLER: 0
; COMPUTE_PGM_RSRC2:TGID_X_EN: 1
; COMPUTE_PGM_RSRC2:TGID_Y_EN: 0
; COMPUTE_PGM_RSRC2:TGID_Z_EN: 0
; COMPUTE_PGM_RSRC2:TIDIG_COMP_CNT: 0
	.section	.text._ZN7rocprim17ROCPRIM_400000_NS6detail17trampoline_kernelINS0_14default_configENS1_36segmented_radix_sort_config_selectorIilEEZNS1_25segmented_radix_sort_implIS3_Lb1EPKiPiPKlPlN2at6native12_GLOBAL__N_18offset_tEEE10hipError_tPvRmT1_PNSt15iterator_traitsISK_E10value_typeET2_T3_PNSL_ISQ_E10value_typeET4_jRbjT5_SW_jjP12ihipStream_tbEUlT_E1_NS1_11comp_targetILNS1_3genE10ELNS1_11target_archE1200ELNS1_3gpuE4ELNS1_3repE0EEENS1_59segmented_radix_sort_warp_sort_small_config_static_selectorELNS0_4arch9wavefront6targetE0EEEvSK_,"axG",@progbits,_ZN7rocprim17ROCPRIM_400000_NS6detail17trampoline_kernelINS0_14default_configENS1_36segmented_radix_sort_config_selectorIilEEZNS1_25segmented_radix_sort_implIS3_Lb1EPKiPiPKlPlN2at6native12_GLOBAL__N_18offset_tEEE10hipError_tPvRmT1_PNSt15iterator_traitsISK_E10value_typeET2_T3_PNSL_ISQ_E10value_typeET4_jRbjT5_SW_jjP12ihipStream_tbEUlT_E1_NS1_11comp_targetILNS1_3genE10ELNS1_11target_archE1200ELNS1_3gpuE4ELNS1_3repE0EEENS1_59segmented_radix_sort_warp_sort_small_config_static_selectorELNS0_4arch9wavefront6targetE0EEEvSK_,comdat
	.globl	_ZN7rocprim17ROCPRIM_400000_NS6detail17trampoline_kernelINS0_14default_configENS1_36segmented_radix_sort_config_selectorIilEEZNS1_25segmented_radix_sort_implIS3_Lb1EPKiPiPKlPlN2at6native12_GLOBAL__N_18offset_tEEE10hipError_tPvRmT1_PNSt15iterator_traitsISK_E10value_typeET2_T3_PNSL_ISQ_E10value_typeET4_jRbjT5_SW_jjP12ihipStream_tbEUlT_E1_NS1_11comp_targetILNS1_3genE10ELNS1_11target_archE1200ELNS1_3gpuE4ELNS1_3repE0EEENS1_59segmented_radix_sort_warp_sort_small_config_static_selectorELNS0_4arch9wavefront6targetE0EEEvSK_ ; -- Begin function _ZN7rocprim17ROCPRIM_400000_NS6detail17trampoline_kernelINS0_14default_configENS1_36segmented_radix_sort_config_selectorIilEEZNS1_25segmented_radix_sort_implIS3_Lb1EPKiPiPKlPlN2at6native12_GLOBAL__N_18offset_tEEE10hipError_tPvRmT1_PNSt15iterator_traitsISK_E10value_typeET2_T3_PNSL_ISQ_E10value_typeET4_jRbjT5_SW_jjP12ihipStream_tbEUlT_E1_NS1_11comp_targetILNS1_3genE10ELNS1_11target_archE1200ELNS1_3gpuE4ELNS1_3repE0EEENS1_59segmented_radix_sort_warp_sort_small_config_static_selectorELNS0_4arch9wavefront6targetE0EEEvSK_
	.p2align	8
	.type	_ZN7rocprim17ROCPRIM_400000_NS6detail17trampoline_kernelINS0_14default_configENS1_36segmented_radix_sort_config_selectorIilEEZNS1_25segmented_radix_sort_implIS3_Lb1EPKiPiPKlPlN2at6native12_GLOBAL__N_18offset_tEEE10hipError_tPvRmT1_PNSt15iterator_traitsISK_E10value_typeET2_T3_PNSL_ISQ_E10value_typeET4_jRbjT5_SW_jjP12ihipStream_tbEUlT_E1_NS1_11comp_targetILNS1_3genE10ELNS1_11target_archE1200ELNS1_3gpuE4ELNS1_3repE0EEENS1_59segmented_radix_sort_warp_sort_small_config_static_selectorELNS0_4arch9wavefront6targetE0EEEvSK_,@function
_ZN7rocprim17ROCPRIM_400000_NS6detail17trampoline_kernelINS0_14default_configENS1_36segmented_radix_sort_config_selectorIilEEZNS1_25segmented_radix_sort_implIS3_Lb1EPKiPiPKlPlN2at6native12_GLOBAL__N_18offset_tEEE10hipError_tPvRmT1_PNSt15iterator_traitsISK_E10value_typeET2_T3_PNSL_ISQ_E10value_typeET4_jRbjT5_SW_jjP12ihipStream_tbEUlT_E1_NS1_11comp_targetILNS1_3genE10ELNS1_11target_archE1200ELNS1_3gpuE4ELNS1_3repE0EEENS1_59segmented_radix_sort_warp_sort_small_config_static_selectorELNS0_4arch9wavefront6targetE0EEEvSK_: ; @_ZN7rocprim17ROCPRIM_400000_NS6detail17trampoline_kernelINS0_14default_configENS1_36segmented_radix_sort_config_selectorIilEEZNS1_25segmented_radix_sort_implIS3_Lb1EPKiPiPKlPlN2at6native12_GLOBAL__N_18offset_tEEE10hipError_tPvRmT1_PNSt15iterator_traitsISK_E10value_typeET2_T3_PNSL_ISQ_E10value_typeET4_jRbjT5_SW_jjP12ihipStream_tbEUlT_E1_NS1_11comp_targetILNS1_3genE10ELNS1_11target_archE1200ELNS1_3gpuE4ELNS1_3repE0EEENS1_59segmented_radix_sort_warp_sort_small_config_static_selectorELNS0_4arch9wavefront6targetE0EEEvSK_
; %bb.0:
	.section	.rodata,"a",@progbits
	.p2align	6, 0x0
	.amdhsa_kernel _ZN7rocprim17ROCPRIM_400000_NS6detail17trampoline_kernelINS0_14default_configENS1_36segmented_radix_sort_config_selectorIilEEZNS1_25segmented_radix_sort_implIS3_Lb1EPKiPiPKlPlN2at6native12_GLOBAL__N_18offset_tEEE10hipError_tPvRmT1_PNSt15iterator_traitsISK_E10value_typeET2_T3_PNSL_ISQ_E10value_typeET4_jRbjT5_SW_jjP12ihipStream_tbEUlT_E1_NS1_11comp_targetILNS1_3genE10ELNS1_11target_archE1200ELNS1_3gpuE4ELNS1_3repE0EEENS1_59segmented_radix_sort_warp_sort_small_config_static_selectorELNS0_4arch9wavefront6targetE0EEEvSK_
		.amdhsa_group_segment_fixed_size 0
		.amdhsa_private_segment_fixed_size 0
		.amdhsa_kernarg_size 88
		.amdhsa_user_sgpr_count 15
		.amdhsa_user_sgpr_dispatch_ptr 0
		.amdhsa_user_sgpr_queue_ptr 0
		.amdhsa_user_sgpr_kernarg_segment_ptr 1
		.amdhsa_user_sgpr_dispatch_id 0
		.amdhsa_user_sgpr_private_segment_size 0
		.amdhsa_wavefront_size32 1
		.amdhsa_uses_dynamic_stack 0
		.amdhsa_enable_private_segment 0
		.amdhsa_system_sgpr_workgroup_id_x 1
		.amdhsa_system_sgpr_workgroup_id_y 0
		.amdhsa_system_sgpr_workgroup_id_z 0
		.amdhsa_system_sgpr_workgroup_info 0
		.amdhsa_system_vgpr_workitem_id 0
		.amdhsa_next_free_vgpr 1
		.amdhsa_next_free_sgpr 1
		.amdhsa_reserve_vcc 0
		.amdhsa_float_round_mode_32 0
		.amdhsa_float_round_mode_16_64 0
		.amdhsa_float_denorm_mode_32 3
		.amdhsa_float_denorm_mode_16_64 3
		.amdhsa_dx10_clamp 1
		.amdhsa_ieee_mode 1
		.amdhsa_fp16_overflow 0
		.amdhsa_workgroup_processor_mode 1
		.amdhsa_memory_ordered 1
		.amdhsa_forward_progress 0
		.amdhsa_shared_vgpr_count 0
		.amdhsa_exception_fp_ieee_invalid_op 0
		.amdhsa_exception_fp_denorm_src 0
		.amdhsa_exception_fp_ieee_div_zero 0
		.amdhsa_exception_fp_ieee_overflow 0
		.amdhsa_exception_fp_ieee_underflow 0
		.amdhsa_exception_fp_ieee_inexact 0
		.amdhsa_exception_int_div_zero 0
	.end_amdhsa_kernel
	.section	.text._ZN7rocprim17ROCPRIM_400000_NS6detail17trampoline_kernelINS0_14default_configENS1_36segmented_radix_sort_config_selectorIilEEZNS1_25segmented_radix_sort_implIS3_Lb1EPKiPiPKlPlN2at6native12_GLOBAL__N_18offset_tEEE10hipError_tPvRmT1_PNSt15iterator_traitsISK_E10value_typeET2_T3_PNSL_ISQ_E10value_typeET4_jRbjT5_SW_jjP12ihipStream_tbEUlT_E1_NS1_11comp_targetILNS1_3genE10ELNS1_11target_archE1200ELNS1_3gpuE4ELNS1_3repE0EEENS1_59segmented_radix_sort_warp_sort_small_config_static_selectorELNS0_4arch9wavefront6targetE0EEEvSK_,"axG",@progbits,_ZN7rocprim17ROCPRIM_400000_NS6detail17trampoline_kernelINS0_14default_configENS1_36segmented_radix_sort_config_selectorIilEEZNS1_25segmented_radix_sort_implIS3_Lb1EPKiPiPKlPlN2at6native12_GLOBAL__N_18offset_tEEE10hipError_tPvRmT1_PNSt15iterator_traitsISK_E10value_typeET2_T3_PNSL_ISQ_E10value_typeET4_jRbjT5_SW_jjP12ihipStream_tbEUlT_E1_NS1_11comp_targetILNS1_3genE10ELNS1_11target_archE1200ELNS1_3gpuE4ELNS1_3repE0EEENS1_59segmented_radix_sort_warp_sort_small_config_static_selectorELNS0_4arch9wavefront6targetE0EEEvSK_,comdat
.Lfunc_end523:
	.size	_ZN7rocprim17ROCPRIM_400000_NS6detail17trampoline_kernelINS0_14default_configENS1_36segmented_radix_sort_config_selectorIilEEZNS1_25segmented_radix_sort_implIS3_Lb1EPKiPiPKlPlN2at6native12_GLOBAL__N_18offset_tEEE10hipError_tPvRmT1_PNSt15iterator_traitsISK_E10value_typeET2_T3_PNSL_ISQ_E10value_typeET4_jRbjT5_SW_jjP12ihipStream_tbEUlT_E1_NS1_11comp_targetILNS1_3genE10ELNS1_11target_archE1200ELNS1_3gpuE4ELNS1_3repE0EEENS1_59segmented_radix_sort_warp_sort_small_config_static_selectorELNS0_4arch9wavefront6targetE0EEEvSK_, .Lfunc_end523-_ZN7rocprim17ROCPRIM_400000_NS6detail17trampoline_kernelINS0_14default_configENS1_36segmented_radix_sort_config_selectorIilEEZNS1_25segmented_radix_sort_implIS3_Lb1EPKiPiPKlPlN2at6native12_GLOBAL__N_18offset_tEEE10hipError_tPvRmT1_PNSt15iterator_traitsISK_E10value_typeET2_T3_PNSL_ISQ_E10value_typeET4_jRbjT5_SW_jjP12ihipStream_tbEUlT_E1_NS1_11comp_targetILNS1_3genE10ELNS1_11target_archE1200ELNS1_3gpuE4ELNS1_3repE0EEENS1_59segmented_radix_sort_warp_sort_small_config_static_selectorELNS0_4arch9wavefront6targetE0EEEvSK_
                                        ; -- End function
	.section	.AMDGPU.csdata,"",@progbits
; Kernel info:
; codeLenInByte = 0
; NumSgprs: 0
; NumVgprs: 0
; ScratchSize: 0
; MemoryBound: 0
; FloatMode: 240
; IeeeMode: 1
; LDSByteSize: 0 bytes/workgroup (compile time only)
; SGPRBlocks: 0
; VGPRBlocks: 0
; NumSGPRsForWavesPerEU: 1
; NumVGPRsForWavesPerEU: 1
; Occupancy: 16
; WaveLimiterHint : 0
; COMPUTE_PGM_RSRC2:SCRATCH_EN: 0
; COMPUTE_PGM_RSRC2:USER_SGPR: 15
; COMPUTE_PGM_RSRC2:TRAP_HANDLER: 0
; COMPUTE_PGM_RSRC2:TGID_X_EN: 1
; COMPUTE_PGM_RSRC2:TGID_Y_EN: 0
; COMPUTE_PGM_RSRC2:TGID_Z_EN: 0
; COMPUTE_PGM_RSRC2:TIDIG_COMP_CNT: 0
	.text
	.p2align	2                               ; -- Begin function _ZN7rocprim17ROCPRIM_400000_NS6detail26segmented_warp_sort_helperINS1_20WarpSortHelperConfigILj8ELj4ELj256EEEilLi256ELb1EvE4sortIPKiPiPKlPlEEvT_T0_T1_T2_jjjjRNS5_12storage_typeE
	.type	_ZN7rocprim17ROCPRIM_400000_NS6detail26segmented_warp_sort_helperINS1_20WarpSortHelperConfigILj8ELj4ELj256EEEilLi256ELb1EvE4sortIPKiPiPKlPlEEvT_T0_T1_T2_jjjjRNS5_12storage_typeE,@function
_ZN7rocprim17ROCPRIM_400000_NS6detail26segmented_warp_sort_helperINS1_20WarpSortHelperConfigILj8ELj4ELj256EEEilLi256ELb1EvE4sortIPKiPiPKlPlEEvT_T0_T1_T2_jjjjRNS5_12storage_typeE: ; @_ZN7rocprim17ROCPRIM_400000_NS6detail26segmented_warp_sort_helperINS1_20WarpSortHelperConfigILj8ELj4ELj256EEEilLi256ELb1EvE4sortIPKiPiPKlPlEEvT_T0_T1_T2_jjjjRNS5_12storage_typeE
; %bb.0:
	s_waitcnt vmcnt(0) expcnt(0) lgkmcnt(0)
	v_mov_b32_e32 v14, v9
	v_mbcnt_lo_u32_b32 v9, -1, 0
	v_bfrev_b32_e32 v81, 1
	v_bfrev_b32_e32 v80, 1
	s_delay_alu instid0(VALU_DEP_3) | instskip(SKIP_2) | instid1(VALU_DEP_3)
	v_lshlrev_b32_e32 v87, 2, v9
	v_mov_b32_e32 v9, 0
	v_sub_nc_u32_e32 v14, v14, v8
	v_and_b32_e32 v96, 28, v87
	s_delay_alu instid0(VALU_DEP_3) | instskip(NEXT) | instid1(VALU_DEP_2)
	v_lshlrev_b64 v[84:85], 2, v[8:9]
	v_lshlrev_b32_e32 v30, 2, v96
	s_delay_alu instid0(VALU_DEP_2) | instskip(NEXT) | instid1(VALU_DEP_3)
	v_add_co_u32 v0, vcc_lo, v0, v84
	v_add_co_ci_u32_e32 v1, vcc_lo, v1, v85, vcc_lo
	s_delay_alu instid0(VALU_DEP_2) | instskip(NEXT) | instid1(VALU_DEP_2)
	v_add_co_u32 v0, vcc_lo, v0, v30
	v_add_co_ci_u32_e32 v1, vcc_lo, 0, v1, vcc_lo
	v_cmp_lt_u32_e32 vcc_lo, v96, v14
	s_and_saveexec_b32 s0, vcc_lo
	s_cbranch_execz .LBB524_2
; %bb.1:
	flat_load_b32 v80, v[0:1]
.LBB524_2:
	s_or_b32 exec_lo, exec_lo, s0
	v_or_b32_e32 v15, 1, v96
	s_delay_alu instid0(VALU_DEP_1) | instskip(NEXT) | instid1(VALU_DEP_1)
	v_cmp_lt_u32_e64 s0, v15, v14
	s_and_saveexec_b32 s1, s0
	s_cbranch_execz .LBB524_4
; %bb.3:
	flat_load_b32 v81, v[0:1] offset:4
.LBB524_4:
	s_or_b32 exec_lo, exec_lo, s1
	v_or_b32_e32 v15, 2, v96
	v_bfrev_b32_e32 v83, 1
	v_bfrev_b32_e32 v82, 1
	s_delay_alu instid0(VALU_DEP_3) | instskip(NEXT) | instid1(VALU_DEP_1)
	v_cmp_lt_u32_e64 s1, v15, v14
	s_and_saveexec_b32 s2, s1
	s_cbranch_execz .LBB524_6
; %bb.5:
	flat_load_b32 v82, v[0:1] offset:8
.LBB524_6:
	s_or_b32 exec_lo, exec_lo, s2
	v_or_b32_e32 v15, 3, v96
	s_delay_alu instid0(VALU_DEP_1) | instskip(NEXT) | instid1(VALU_DEP_1)
	v_cmp_lt_u32_e64 s2, v15, v14
	s_and_saveexec_b32 s3, s2
	s_cbranch_execz .LBB524_8
; %bb.7:
	flat_load_b32 v83, v[0:1] offset:12
.LBB524_8:
	s_or_b32 exec_lo, exec_lo, s3
	v_lshlrev_b64 v[0:1], 3, v[8:9]
	v_lshlrev_b32_e32 v86, 3, v96
	; wave barrier
                                        ; implicit-def: $vgpr14_vgpr15
	s_delay_alu instid0(VALU_DEP_2) | instskip(NEXT) | instid1(VALU_DEP_1)
	v_add_co_u32 v4, s3, v4, v0
	v_add_co_ci_u32_e64 v5, s3, v5, v1, s3
	s_delay_alu instid0(VALU_DEP_2) | instskip(NEXT) | instid1(VALU_DEP_1)
	v_add_co_u32 v4, s3, v4, v86
	v_add_co_ci_u32_e64 v5, s3, 0, v5, s3
	s_and_saveexec_b32 s3, vcc_lo
	s_cbranch_execz .LBB524_10
; %bb.9:
	flat_load_b64 v[14:15], v[4:5]
.LBB524_10:
	s_or_b32 exec_lo, exec_lo, s3
	s_and_saveexec_b32 s3, s0
                                        ; implicit-def: $vgpr32_vgpr33_vgpr34_vgpr35_vgpr36_vgpr37_vgpr38_vgpr39
                                        ; implicit-def: $vgpr22_vgpr23_vgpr24_vgpr25_vgpr26_vgpr27_vgpr28_vgpr29
	s_cbranch_execz .LBB524_98
; %bb.11:
	flat_load_b64 v[16:17], v[4:5] offset:8
                                        ; implicit-def: $vgpr32_vgpr33_vgpr34_vgpr35_vgpr36_vgpr37_vgpr38_vgpr39
                                        ; implicit-def: $vgpr22_vgpr23_vgpr24_vgpr25_vgpr26_vgpr27_vgpr28_vgpr29
	s_or_b32 exec_lo, exec_lo, s3
                                        ; implicit-def: $vgpr18_vgpr19
	s_and_saveexec_b32 s3, s1
	s_cbranch_execnz .LBB524_99
.LBB524_12:
	s_or_b32 exec_lo, exec_lo, s3
	s_and_saveexec_b32 s3, s2
	s_cbranch_execz .LBB524_14
.LBB524_13:
	flat_load_b64 v[28:29], v[4:5] offset:24
	s_waitcnt vmcnt(0) lgkmcnt(0)
	v_dual_mov_b32 v20, v28 :: v_dual_mov_b32 v21, v29
.LBB524_14:
	s_or_b32 exec_lo, exec_lo, s3
	v_cmp_ne_u32_e64 s3, 0, v10
	v_cmp_ne_u32_e64 s4, 32, v11
	v_bfe_u32 v8, v31, 10, 10
	v_bfe_u32 v9, v31, 20, 10
	v_and_b32_e32 v4, 0x3ff, v31
	s_delay_alu instid0(VALU_DEP_4) | instskip(NEXT) | instid1(SALU_CYCLE_1)
	s_or_b32 s3, s3, s4
	; wave barrier
	s_and_saveexec_b32 s4, s3
	s_delay_alu instid0(SALU_CYCLE_1)
	s_xor_b32 s11, exec_lo, s4
	s_cbranch_execz .LBB524_58
; %bb.15:
	s_load_b64 s[4:5], s[8:9], 0x0
	v_mov_b32_e32 v5, 0
	s_waitcnt lgkmcnt(0)
	s_cmp_lt_u32 s13, s5
	s_cselect_b32 s3, 14, 20
	s_delay_alu instid0(SALU_CYCLE_1) | instskip(SKIP_4) | instid1(SALU_CYCLE_1)
	s_add_u32 s6, s8, s3
	s_addc_u32 s7, s9, 0
	s_cmp_lt_u32 s12, s4
	global_load_u16 v22, v5, s[6:7]
	s_cselect_b32 s3, 12, 18
	s_add_u32 s4, s8, s3
	s_addc_u32 s5, s9, 0
	global_load_u16 v5, v5, s[4:5]
	s_mov_b32 s5, exec_lo
	s_waitcnt vmcnt(1)
	v_mad_u32_u24 v8, v9, v22, v8
	v_lshlrev_b32_e64 v9, v10, -1
	s_waitcnt vmcnt(0)
	s_delay_alu instid0(VALU_DEP_2) | instskip(SKIP_1) | instid1(VALU_DEP_1)
	v_mul_lo_u32 v5, v8, v5
	v_lshlrev_b32_e64 v8, v11, -1
	v_xor_b32_e32 v31, v8, v9
	s_delay_alu instid0(VALU_DEP_3) | instskip(NEXT) | instid1(VALU_DEP_1)
	v_add_lshl_u32 v10, v5, v4, 2
	v_cmpx_gt_u32_e32 0x400, v10
	s_cbranch_execz .LBB524_27
; %bb.16:
	s_delay_alu instid0(VALU_DEP_3) | instskip(SKIP_4) | instid1(VALU_DEP_3)
	v_and_b32_e32 v4, v81, v31
	v_dual_mov_b32 v8, v82 :: v_dual_and_b32 v5, v80, v31
	v_and_b32_e32 v18, v83, v31
	v_and_b32_e32 v34, v82, v31
	s_mov_b32 s6, exec_lo
	v_cmp_gt_u32_e64 s3, v4, v5
	s_delay_alu instid0(VALU_DEP_1)
	v_cndmask_b32_e64 v5, v17, v15, s3
	v_cndmask_b32_e64 v4, v16, v14, s3
	;; [unrolled: 1-line block ×4, first 2 shown]
	v_cmpx_gt_u32_e64 v18, v34
; %bb.17:
	v_dual_mov_b32 v14, v36 :: v_dual_mov_b32 v15, v37
	v_dual_mov_b32 v34, v18 :: v_dual_mov_b32 v37, v29
	v_mov_b32_e32 v36, v28
	v_dual_mov_b32 v8, v83 :: v_dual_mov_b32 v83, v82
	s_delay_alu instid0(VALU_DEP_4)
	v_dual_mov_b32 v29, v15 :: v_dual_mov_b32 v28, v14
; %bb.18:
	s_or_b32 exec_lo, exec_lo, s6
	v_cndmask_b32_e64 v35, v81, v80, s3
                                        ; implicit-def: $vgpr33
	s_delay_alu instid0(VALU_DEP_1) | instskip(NEXT) | instid1(VALU_DEP_1)
	v_and_b32_e32 v32, v35, v31
	v_cmp_le_i32_e64 s4, v34, v32
	s_delay_alu instid0(VALU_DEP_1) | instskip(NEXT) | instid1(SALU_CYCLE_1)
	s_and_saveexec_b32 s6, s4
	s_xor_b32 s4, exec_lo, s6
                                        ; implicit-def: $vgpr48_vgpr49_vgpr50_vgpr51_vgpr52_vgpr53_vgpr54_vgpr55
                                        ; implicit-def: $vgpr64_vgpr65_vgpr66_vgpr67_vgpr68_vgpr69_vgpr70_vgpr71
                                        ; implicit-def: $vgpr14_vgpr15_vgpr16_vgpr17_vgpr18_vgpr19_vgpr20_vgpr21
; %bb.19:
	v_dual_mov_b32 v50, v4 :: v_dual_mov_b32 v67, v5
	v_dual_mov_b32 v4, v36 :: v_dual_mov_b32 v5, v37
	;; [unrolled: 1-line block ×3, first 2 shown]
	v_and_b32_e32 v33, v8, v31
                                        ; implicit-def: $vgpr36_vgpr37
                                        ; implicit-def: $vgpr34
                                        ; implicit-def: $vgpr22_vgpr23_vgpr24_vgpr25_vgpr26_vgpr27_vgpr28_vgpr29
; %bb.20:
	s_or_saveexec_b32 s4, s4
	v_mov_b32_e32 v18, v35
	s_xor_b32 exec_lo, exec_lo, s4
; %bb.21:
	v_dual_mov_b32 v50, v36 :: v_dual_mov_b32 v67, v37
	v_dual_mov_b32 v20, v28 :: v_dual_mov_b32 v21, v29
	v_mov_b32_e32 v33, v32
	v_mov_b32_e32 v18, v8
	;; [unrolled: 1-line block ×4, first 2 shown]
; %bb.22:
	s_or_b32 exec_lo, exec_lo, s4
	v_cndmask_b32_e64 v19, v80, v81, s3
	v_and_b32_e32 v22, v83, v31
	s_mov_b32 s6, exec_lo
	s_delay_alu instid0(VALU_DEP_2) | instskip(NEXT) | instid1(VALU_DEP_1)
	v_and_b32_e32 v14, v19, v31
	v_cmp_gt_i32_e64 s3, v32, v14
	s_delay_alu instid0(VALU_DEP_1)
	v_cndmask_b32_e64 v17, v67, v11, s3
	v_cndmask_b32_e64 v16, v50, v9, s3
	;; [unrolled: 1-line block ×3, first 2 shown]
	v_mov_b32_e32 v11, v8
	v_cndmask_b32_e64 v14, v9, v50, s3
	v_cmpx_gt_u32_e64 v22, v33
; %bb.23:
	v_dual_mov_b32 v24, v5 :: v_dual_mov_b32 v23, v4
	v_dual_mov_b32 v11, v83 :: v_dual_mov_b32 v4, v20
	v_mov_b32_e32 v83, v8
	s_delay_alu instid0(VALU_DEP_3)
	v_dual_mov_b32 v5, v21 :: v_dual_mov_b32 v20, v23
	v_mov_b32_e32 v33, v22
	v_mov_b32_e32 v21, v24
; %bb.24:
	s_or_b32 exec_lo, exec_lo, s6
	v_cndmask_b32_e64 v81, v18, v19, s3
	v_dual_mov_b32 v9, v5 :: v_dual_mov_b32 v8, v4
	v_mov_b32_e32 v82, v11
	s_mov_b32 s6, exec_lo
	s_delay_alu instid0(VALU_DEP_3) | instskip(NEXT) | instid1(VALU_DEP_1)
	v_and_b32_e32 v22, v81, v31
	v_cmpx_gt_i32_e64 v33, v22
; %bb.25:
	v_dual_mov_b32 v8, v16 :: v_dual_mov_b32 v9, v17
	v_dual_mov_b32 v17, v5 :: v_dual_mov_b32 v16, v4
	;; [unrolled: 1-line block ×3, first 2 shown]
; %bb.26:
	s_or_b32 exec_lo, exec_lo, s6
	v_cndmask_b32_e64 v80, v19, v18, s3
	v_dual_mov_b32 v19, v9 :: v_dual_mov_b32 v18, v8
.LBB524_27:
	s_or_b32 exec_lo, exec_lo, s5
	v_dual_mov_b32 v11, 0 :: v_dual_and_b32 v10, 0xffffff80, v10
	v_or_b32_e32 v22, 4, v87
	s_mov_b32 s4, exec_lo
	s_delay_alu instid0(VALU_DEP_2) | instskip(NEXT) | instid1(VALU_DEP_3)
	v_sub_nc_u32_e64 v26, 0x400, v10 clamp
	v_lshlrev_b64 v[4:5], 2, v[10:11]
	v_lshlrev_b64 v[8:9], 3, v[10:11]
	s_delay_alu instid0(VALU_DEP_3) | instskip(NEXT) | instid1(VALU_DEP_3)
	v_min_u32_e32 v27, v26, v22
	v_add_co_u32 v24, s3, v12, v4
	s_delay_alu instid0(VALU_DEP_1) | instskip(NEXT) | instid1(VALU_DEP_4)
	v_add_co_ci_u32_e64 v25, s3, v13, v5, s3
	v_add_co_u32 v4, s3, v12, v8
	s_delay_alu instid0(VALU_DEP_1) | instskip(SKIP_1) | instid1(VALU_DEP_3)
	v_add_co_ci_u32_e64 v5, s3, v13, v9, s3
	v_add_nc_u32_e32 v8, 4, v27
	v_add_co_u32 v22, s3, 0x1000, v4
	s_delay_alu instid0(VALU_DEP_1)
	v_add_co_ci_u32_e64 v23, s3, 0, v5, s3
	v_and_b32_e32 v4, 4, v87
	v_and_b32_e32 v12, 0x78, v87
	v_min_u32_e32 v28, v26, v8
	v_lshlrev_b32_e32 v5, 3, v87
	v_lshlrev_b32_e32 v8, 2, v87
	v_min_u32_e32 v13, v26, v4
	v_sub_nc_u32_e32 v9, v27, v12
	v_sub_nc_u32_e32 v10, v28, v27
	v_add_co_u32 v4, s3, v22, v5
	s_delay_alu instid0(VALU_DEP_1) | instskip(SKIP_1) | instid1(VALU_DEP_4)
	v_add_co_ci_u32_e64 v5, s3, 0, v23, s3
	v_add_co_u32 v8, s3, v24, v8
	v_sub_nc_u32_e64 v29, v13, v10 clamp
	v_min_u32_e32 v32, v13, v9
	v_add_co_ci_u32_e64 v9, s3, 0, v25, s3
	s_clause 0x2
	flat_store_b128 v[4:5], v[14:17]
	flat_store_b128 v[8:9], v[80:83]
	flat_store_b128 v[4:5], v[18:21] offset:16
	; wave barrier
	v_cmpx_lt_u32_e64 v29, v32
	s_cbranch_execz .LBB524_31
; %bb.28:
	v_lshlrev_b32_e32 v10, 2, v12
	v_lshlrev_b32_e32 v35, 2, v27
	s_mov_b32 s5, 0
	s_delay_alu instid0(VALU_DEP_2) | instskip(NEXT) | instid1(VALU_DEP_1)
	v_add_co_u32 v33, s3, v24, v10
	v_add_co_ci_u32_e64 v34, s3, 0, v25, s3
	s_delay_alu instid0(VALU_DEP_3) | instskip(NEXT) | instid1(VALU_DEP_1)
	v_add_co_u32 v35, s3, v24, v35
	v_add_co_ci_u32_e64 v36, s3, 0, v25, s3
	s_set_inst_prefetch_distance 0x1
	.p2align	6
.LBB524_29:                             ; =>This Inner Loop Header: Depth=1
	v_add_nc_u32_e32 v10, v32, v29
	v_mov_b32_e32 v38, v11
	s_delay_alu instid0(VALU_DEP_2) | instskip(NEXT) | instid1(VALU_DEP_1)
	v_lshrrev_b32_e32 v10, 1, v10
	v_xad_u32 v37, v10, -1, v13
	v_lshlrev_b64 v[48:49], 2, v[10:11]
	s_delay_alu instid0(VALU_DEP_2) | instskip(NEXT) | instid1(VALU_DEP_2)
	v_lshlrev_b64 v[37:38], 2, v[37:38]
	v_add_co_u32 v48, s3, v33, v48
	s_delay_alu instid0(VALU_DEP_1) | instskip(NEXT) | instid1(VALU_DEP_3)
	v_add_co_ci_u32_e64 v49, s3, v34, v49, s3
	v_add_co_u32 v37, s3, v35, v37
	s_delay_alu instid0(VALU_DEP_1)
	v_add_co_ci_u32_e64 v38, s3, v36, v38, s3
	s_clause 0x1
	flat_load_b32 v39, v[48:49]
	flat_load_b32 v37, v[37:38]
	s_waitcnt vmcnt(1) lgkmcnt(1)
	v_and_b32_e32 v38, v39, v31
	s_waitcnt vmcnt(0) lgkmcnt(0)
	v_and_b32_e32 v37, v37, v31
	v_add_nc_u32_e32 v39, 1, v10
	s_delay_alu instid0(VALU_DEP_2) | instskip(NEXT) | instid1(VALU_DEP_1)
	v_cmp_gt_u32_e64 s3, v37, v38
	v_cndmask_b32_e64 v32, v32, v10, s3
	s_delay_alu instid0(VALU_DEP_3) | instskip(NEXT) | instid1(VALU_DEP_1)
	v_cndmask_b32_e64 v29, v39, v29, s3
	v_cmp_ge_u32_e64 s3, v29, v32
	s_delay_alu instid0(VALU_DEP_1) | instskip(NEXT) | instid1(SALU_CYCLE_1)
	s_or_b32 s5, s3, s5
	s_and_not1_b32 exec_lo, exec_lo, s5
	s_cbranch_execnz .LBB524_29
; %bb.30:
	s_set_inst_prefetch_distance 0x2
	s_or_b32 exec_lo, exec_lo, s5
.LBB524_31:
	s_delay_alu instid0(SALU_CYCLE_1) | instskip(SKIP_2) | instid1(VALU_DEP_2)
	s_or_b32 exec_lo, exec_lo, s4
	v_add_nc_u32_e32 v10, v27, v13
	v_add_nc_u32_e32 v12, v29, v12
	v_sub_nc_u32_e32 v10, v10, v29
	s_delay_alu instid0(VALU_DEP_2) | instskip(NEXT) | instid1(VALU_DEP_2)
	v_cmp_le_u32_e64 s3, v12, v27
	v_cmp_le_u32_e64 s4, v10, v28
	s_delay_alu instid0(VALU_DEP_1) | instskip(NEXT) | instid1(SALU_CYCLE_1)
	s_or_b32 s3, s3, s4
	s_and_saveexec_b32 s14, s3
	s_cbranch_execz .LBB524_37
; %bb.32:
	v_cmp_lt_u32_e64 s3, v12, v27
                                        ; implicit-def: $vgpr13
	s_delay_alu instid0(VALU_DEP_1)
	s_and_saveexec_b32 s5, s3
	s_cbranch_execz .LBB524_34
; %bb.33:
	v_mov_b32_e32 v13, 0
	s_delay_alu instid0(VALU_DEP_1) | instskip(NEXT) | instid1(VALU_DEP_1)
	v_lshlrev_b64 v[13:14], 2, v[12:13]
	v_add_co_u32 v13, s4, v24, v13
	s_delay_alu instid0(VALU_DEP_1)
	v_add_co_ci_u32_e64 v14, s4, v25, v14, s4
	flat_load_b32 v13, v[13:14]
.LBB524_34:
	s_or_b32 exec_lo, exec_lo, s5
	v_cmp_ge_u32_e64 s4, v10, v28
	s_mov_b32 s6, exec_lo
                                        ; implicit-def: $vgpr11
	v_cmpx_lt_u32_e64 v10, v28
	s_cbranch_execz .LBB524_36
; %bb.35:
	v_mov_b32_e32 v11, 0
	s_delay_alu instid0(VALU_DEP_1) | instskip(NEXT) | instid1(VALU_DEP_1)
	v_lshlrev_b64 v[14:15], 2, v[10:11]
	v_add_co_u32 v14, s5, v24, v14
	s_delay_alu instid0(VALU_DEP_1)
	v_add_co_ci_u32_e64 v15, s5, v25, v15, s5
	flat_load_b32 v11, v[14:15]
.LBB524_36:
	s_or_b32 exec_lo, exec_lo, s6
	s_waitcnt vmcnt(0) lgkmcnt(0)
	v_and_b32_e32 v14, v11, v31
	v_and_b32_e32 v15, v13, v31
	s_delay_alu instid0(VALU_DEP_1) | instskip(SKIP_1) | instid1(VALU_DEP_2)
	v_cmp_le_u32_e64 s5, v14, v15
	v_mov_b32_e32 v15, 0
	s_and_b32 s3, s3, s5
	s_delay_alu instid0(SALU_CYCLE_1) | instskip(NEXT) | instid1(SALU_CYCLE_1)
	s_or_b32 s3, s4, s3
	v_cndmask_b32_e64 v14, v10, v12, s3
	v_cndmask_b32_e64 v16, v28, v27, s3
	v_cndmask_b32_e64 v80, v11, v13, s3
	s_delay_alu instid0(VALU_DEP_3) | instskip(NEXT) | instid1(VALU_DEP_3)
	v_add_nc_u32_e32 v20, 1, v14
	v_add_nc_u32_e32 v18, -1, v16
	v_lshlrev_b64 v[16:17], 3, v[14:15]
	s_delay_alu instid0(VALU_DEP_3) | instskip(NEXT) | instid1(VALU_DEP_3)
	v_cndmask_b32_e64 v12, v12, v20, s3
	v_min_u32_e32 v14, v20, v18
	v_cndmask_b32_e64 v10, v20, v10, s3
	s_delay_alu instid0(VALU_DEP_2) | instskip(NEXT) | instid1(VALU_DEP_2)
	v_lshlrev_b64 v[18:19], 2, v[14:15]
	v_cmp_ge_u32_e64 s6, v10, v28
	s_delay_alu instid0(VALU_DEP_2) | instskip(NEXT) | instid1(VALU_DEP_1)
	v_add_co_u32 v18, s4, v24, v18
	v_add_co_ci_u32_e64 v19, s4, v25, v19, s4
	v_cmp_lt_u32_e64 s4, v12, v27
	flat_load_b32 v14, v[18:19]
	s_waitcnt vmcnt(0) lgkmcnt(0)
	v_cndmask_b32_e64 v29, v14, v11, s3
	v_cndmask_b32_e64 v34, v13, v14, s3
	s_delay_alu instid0(VALU_DEP_2) | instskip(NEXT) | instid1(VALU_DEP_2)
	v_and_b32_e32 v14, v29, v31
	v_and_b32_e32 v18, v34, v31
	s_delay_alu instid0(VALU_DEP_1) | instskip(NEXT) | instid1(VALU_DEP_1)
	v_cmp_le_u32_e64 s5, v14, v18
	s_and_b32 s4, s4, s5
	s_delay_alu instid0(SALU_CYCLE_1) | instskip(NEXT) | instid1(SALU_CYCLE_1)
	s_or_b32 s4, s6, s4
	v_cndmask_b32_e64 v14, v10, v12, s4
	v_cndmask_b32_e64 v18, v28, v27, s4
	v_cndmask_b32_e64 v81, v29, v34, s4
	s_delay_alu instid0(VALU_DEP_3) | instskip(NEXT) | instid1(VALU_DEP_3)
	v_add_nc_u32_e32 v32, 1, v14
	v_add_nc_u32_e32 v20, -1, v18
	v_lshlrev_b64 v[18:19], 3, v[14:15]
	s_delay_alu instid0(VALU_DEP_3) | instskip(NEXT) | instid1(VALU_DEP_3)
	v_cndmask_b32_e64 v12, v12, v32, s4
	v_min_u32_e32 v14, v32, v20
	v_cndmask_b32_e64 v10, v32, v10, s4
	s_delay_alu instid0(VALU_DEP_2) | instskip(NEXT) | instid1(VALU_DEP_2)
	v_lshlrev_b64 v[20:21], 2, v[14:15]
	v_cmp_ge_u32_e64 s7, v10, v28
	s_delay_alu instid0(VALU_DEP_2) | instskip(NEXT) | instid1(VALU_DEP_1)
	v_add_co_u32 v20, s5, v24, v20
	v_add_co_ci_u32_e64 v21, s5, v25, v21, s5
	v_cmp_lt_u32_e64 s5, v12, v27
	flat_load_b32 v14, v[20:21]
	s_waitcnt vmcnt(0) lgkmcnt(0)
	v_cndmask_b32_e64 v35, v14, v29, s4
	v_cndmask_b32_e64 v36, v34, v14, s4
	s_delay_alu instid0(VALU_DEP_2) | instskip(NEXT) | instid1(VALU_DEP_2)
	v_and_b32_e32 v14, v35, v31
	v_and_b32_e32 v20, v36, v31
	s_delay_alu instid0(VALU_DEP_1) | instskip(NEXT) | instid1(VALU_DEP_1)
	v_cmp_le_u32_e64 s6, v14, v20
	;; [unrolled: 30-line block ×3, first 2 shown]
	s_and_b32 s7, s6, s7
	v_add_co_u32 v16, s6, v22, v16
	s_delay_alu instid0(VALU_DEP_1)
	v_add_co_ci_u32_e64 v17, s6, v23, v17, s6
	s_or_b32 s6, s10, s7
	v_add_co_u32 v18, s7, v22, v18
	v_cndmask_b32_e64 v14, v10, v12, s6
	v_add_co_ci_u32_e64 v19, s7, v23, v19, s7
	v_add_co_u32 v20, s7, v22, v20
	s_delay_alu instid0(VALU_DEP_3) | instskip(SKIP_2) | instid1(VALU_DEP_3)
	v_lshlrev_b64 v[14:15], 3, v[14:15]
	v_add_co_ci_u32_e64 v21, s7, v23, v21, s7
	v_cndmask_b32_e64 v83, v32, v33, s6
	v_add_co_u32 v27, s7, v22, v14
	s_delay_alu instid0(VALU_DEP_1)
	v_add_co_ci_u32_e64 v28, s7, v23, v15, s7
	s_clause 0x3
	flat_load_b64 v[14:15], v[16:17]
	flat_load_b64 v[16:17], v[18:19]
	;; [unrolled: 1-line block ×4, first 2 shown]
.LBB524_37:
	s_or_b32 exec_lo, exec_lo, s14
	v_and_b32_e32 v12, 0x70, v87
	v_and_b32_e32 v11, 12, v87
	s_mov_b32 s4, exec_lo
	; wave barrier
	s_delay_alu instid0(VALU_DEP_2) | instskip(NEXT) | instid1(VALU_DEP_2)
	v_or_b32_e32 v10, 8, v12
	v_min_u32_e32 v13, v26, v11
	s_waitcnt vmcnt(2) lgkmcnt(2)
	s_clause 0x1
	flat_store_b128 v[4:5], v[14:17]
	flat_store_b128 v[8:9], v[80:83]
	s_waitcnt vmcnt(0) lgkmcnt(2)
	flat_store_b128 v[4:5], v[18:21] offset:16
	; wave barrier
	v_min_u32_e32 v27, v26, v10
	s_delay_alu instid0(VALU_DEP_1) | instskip(NEXT) | instid1(VALU_DEP_1)
	v_add_nc_u32_e32 v10, 8, v27
	v_min_u32_e32 v28, v26, v10
	v_sub_nc_u32_e32 v10, v27, v12
	s_delay_alu instid0(VALU_DEP_2) | instskip(NEXT) | instid1(VALU_DEP_2)
	v_sub_nc_u32_e32 v11, v28, v27
	v_min_u32_e32 v32, v13, v10
	s_delay_alu instid0(VALU_DEP_2) | instskip(NEXT) | instid1(VALU_DEP_1)
	v_sub_nc_u32_e64 v29, v13, v11 clamp
	v_cmpx_lt_u32_e64 v29, v32
	s_cbranch_execz .LBB524_41
; %bb.38:
	v_lshlrev_b32_e32 v10, 2, v12
	v_lshlrev_b32_e32 v11, 2, v27
	s_mov_b32 s5, 0
	s_delay_alu instid0(VALU_DEP_2) | instskip(NEXT) | instid1(VALU_DEP_1)
	v_add_co_u32 v33, s3, v24, v10
	v_add_co_ci_u32_e64 v34, s3, 0, v25, s3
	s_delay_alu instid0(VALU_DEP_3)
	v_add_co_u32 v35, s3, v24, v11
	v_mov_b32_e32 v11, 0
	v_add_co_ci_u32_e64 v36, s3, 0, v25, s3
	s_set_inst_prefetch_distance 0x1
	.p2align	6
.LBB524_39:                             ; =>This Inner Loop Header: Depth=1
	v_add_nc_u32_e32 v10, v32, v29
	s_delay_alu instid0(VALU_DEP_3) | instskip(NEXT) | instid1(VALU_DEP_2)
	v_mov_b32_e32 v38, v11
	v_lshrrev_b32_e32 v10, 1, v10
	s_delay_alu instid0(VALU_DEP_1) | instskip(SKIP_1) | instid1(VALU_DEP_2)
	v_xad_u32 v37, v10, -1, v13
	v_lshlrev_b64 v[48:49], 2, v[10:11]
	v_lshlrev_b64 v[37:38], 2, v[37:38]
	s_delay_alu instid0(VALU_DEP_2) | instskip(NEXT) | instid1(VALU_DEP_1)
	v_add_co_u32 v48, s3, v33, v48
	v_add_co_ci_u32_e64 v49, s3, v34, v49, s3
	s_delay_alu instid0(VALU_DEP_3) | instskip(NEXT) | instid1(VALU_DEP_1)
	v_add_co_u32 v37, s3, v35, v37
	v_add_co_ci_u32_e64 v38, s3, v36, v38, s3
	s_clause 0x1
	flat_load_b32 v39, v[48:49]
	flat_load_b32 v37, v[37:38]
	s_waitcnt vmcnt(1) lgkmcnt(1)
	v_and_b32_e32 v38, v39, v31
	s_waitcnt vmcnt(0) lgkmcnt(0)
	v_and_b32_e32 v37, v37, v31
	v_add_nc_u32_e32 v39, 1, v10
	s_delay_alu instid0(VALU_DEP_2) | instskip(NEXT) | instid1(VALU_DEP_1)
	v_cmp_gt_u32_e64 s3, v37, v38
	v_cndmask_b32_e64 v32, v32, v10, s3
	s_delay_alu instid0(VALU_DEP_3) | instskip(NEXT) | instid1(VALU_DEP_1)
	v_cndmask_b32_e64 v29, v39, v29, s3
	v_cmp_ge_u32_e64 s3, v29, v32
	s_delay_alu instid0(VALU_DEP_1) | instskip(NEXT) | instid1(SALU_CYCLE_1)
	s_or_b32 s5, s3, s5
	s_and_not1_b32 exec_lo, exec_lo, s5
	s_cbranch_execnz .LBB524_39
; %bb.40:
	s_set_inst_prefetch_distance 0x2
	s_or_b32 exec_lo, exec_lo, s5
.LBB524_41:
	s_delay_alu instid0(SALU_CYCLE_1) | instskip(SKIP_2) | instid1(VALU_DEP_2)
	s_or_b32 exec_lo, exec_lo, s4
	v_add_nc_u32_e32 v10, v27, v13
	v_add_nc_u32_e32 v12, v29, v12
	v_sub_nc_u32_e32 v10, v10, v29
	s_delay_alu instid0(VALU_DEP_2) | instskip(NEXT) | instid1(VALU_DEP_2)
	v_cmp_le_u32_e64 s3, v12, v27
	v_cmp_le_u32_e64 s4, v10, v28
	s_delay_alu instid0(VALU_DEP_1) | instskip(NEXT) | instid1(SALU_CYCLE_1)
	s_or_b32 s3, s3, s4
	s_and_saveexec_b32 s14, s3
	s_cbranch_execz .LBB524_47
; %bb.42:
	v_cmp_lt_u32_e64 s3, v12, v27
                                        ; implicit-def: $vgpr13
	s_delay_alu instid0(VALU_DEP_1)
	s_and_saveexec_b32 s5, s3
	s_cbranch_execz .LBB524_44
; %bb.43:
	v_mov_b32_e32 v13, 0
	s_delay_alu instid0(VALU_DEP_1) | instskip(NEXT) | instid1(VALU_DEP_1)
	v_lshlrev_b64 v[13:14], 2, v[12:13]
	v_add_co_u32 v13, s4, v24, v13
	s_delay_alu instid0(VALU_DEP_1)
	v_add_co_ci_u32_e64 v14, s4, v25, v14, s4
	flat_load_b32 v13, v[13:14]
.LBB524_44:
	s_or_b32 exec_lo, exec_lo, s5
	v_cmp_ge_u32_e64 s4, v10, v28
	s_mov_b32 s6, exec_lo
                                        ; implicit-def: $vgpr11
	v_cmpx_lt_u32_e64 v10, v28
	s_cbranch_execz .LBB524_46
; %bb.45:
	v_mov_b32_e32 v11, 0
	s_delay_alu instid0(VALU_DEP_1) | instskip(NEXT) | instid1(VALU_DEP_1)
	v_lshlrev_b64 v[14:15], 2, v[10:11]
	v_add_co_u32 v14, s5, v24, v14
	s_delay_alu instid0(VALU_DEP_1)
	v_add_co_ci_u32_e64 v15, s5, v25, v15, s5
	flat_load_b32 v11, v[14:15]
.LBB524_46:
	s_or_b32 exec_lo, exec_lo, s6
	s_waitcnt vmcnt(0) lgkmcnt(0)
	v_and_b32_e32 v14, v11, v31
	v_and_b32_e32 v15, v13, v31
	s_delay_alu instid0(VALU_DEP_1) | instskip(SKIP_1) | instid1(VALU_DEP_2)
	v_cmp_le_u32_e64 s5, v14, v15
	v_mov_b32_e32 v15, 0
	s_and_b32 s3, s3, s5
	s_delay_alu instid0(SALU_CYCLE_1) | instskip(NEXT) | instid1(SALU_CYCLE_1)
	s_or_b32 s3, s4, s3
	v_cndmask_b32_e64 v14, v10, v12, s3
	v_cndmask_b32_e64 v16, v28, v27, s3
	v_cndmask_b32_e64 v80, v11, v13, s3
	s_delay_alu instid0(VALU_DEP_3) | instskip(NEXT) | instid1(VALU_DEP_3)
	v_add_nc_u32_e32 v20, 1, v14
	v_add_nc_u32_e32 v18, -1, v16
	v_lshlrev_b64 v[16:17], 3, v[14:15]
	s_delay_alu instid0(VALU_DEP_3) | instskip(NEXT) | instid1(VALU_DEP_3)
	v_cndmask_b32_e64 v12, v12, v20, s3
	v_min_u32_e32 v14, v20, v18
	v_cndmask_b32_e64 v10, v20, v10, s3
	s_delay_alu instid0(VALU_DEP_2) | instskip(NEXT) | instid1(VALU_DEP_2)
	v_lshlrev_b64 v[18:19], 2, v[14:15]
	v_cmp_ge_u32_e64 s6, v10, v28
	s_delay_alu instid0(VALU_DEP_2) | instskip(NEXT) | instid1(VALU_DEP_1)
	v_add_co_u32 v18, s4, v24, v18
	v_add_co_ci_u32_e64 v19, s4, v25, v19, s4
	v_cmp_lt_u32_e64 s4, v12, v27
	flat_load_b32 v14, v[18:19]
	s_waitcnt vmcnt(0) lgkmcnt(0)
	v_cndmask_b32_e64 v29, v14, v11, s3
	v_cndmask_b32_e64 v34, v13, v14, s3
	s_delay_alu instid0(VALU_DEP_2) | instskip(NEXT) | instid1(VALU_DEP_2)
	v_and_b32_e32 v14, v29, v31
	v_and_b32_e32 v18, v34, v31
	s_delay_alu instid0(VALU_DEP_1) | instskip(NEXT) | instid1(VALU_DEP_1)
	v_cmp_le_u32_e64 s5, v14, v18
	s_and_b32 s4, s4, s5
	s_delay_alu instid0(SALU_CYCLE_1) | instskip(NEXT) | instid1(SALU_CYCLE_1)
	s_or_b32 s4, s6, s4
	v_cndmask_b32_e64 v14, v10, v12, s4
	v_cndmask_b32_e64 v18, v28, v27, s4
	v_cndmask_b32_e64 v81, v29, v34, s4
	s_delay_alu instid0(VALU_DEP_3) | instskip(NEXT) | instid1(VALU_DEP_3)
	v_add_nc_u32_e32 v32, 1, v14
	v_add_nc_u32_e32 v20, -1, v18
	v_lshlrev_b64 v[18:19], 3, v[14:15]
	s_delay_alu instid0(VALU_DEP_3) | instskip(NEXT) | instid1(VALU_DEP_3)
	v_cndmask_b32_e64 v12, v12, v32, s4
	v_min_u32_e32 v14, v32, v20
	v_cndmask_b32_e64 v10, v32, v10, s4
	s_delay_alu instid0(VALU_DEP_2) | instskip(NEXT) | instid1(VALU_DEP_2)
	v_lshlrev_b64 v[20:21], 2, v[14:15]
	v_cmp_ge_u32_e64 s7, v10, v28
	s_delay_alu instid0(VALU_DEP_2) | instskip(NEXT) | instid1(VALU_DEP_1)
	v_add_co_u32 v20, s5, v24, v20
	v_add_co_ci_u32_e64 v21, s5, v25, v21, s5
	v_cmp_lt_u32_e64 s5, v12, v27
	flat_load_b32 v14, v[20:21]
	s_waitcnt vmcnt(0) lgkmcnt(0)
	v_cndmask_b32_e64 v35, v14, v29, s4
	v_cndmask_b32_e64 v36, v34, v14, s4
	s_delay_alu instid0(VALU_DEP_2) | instskip(NEXT) | instid1(VALU_DEP_2)
	v_and_b32_e32 v14, v35, v31
	v_and_b32_e32 v20, v36, v31
	s_delay_alu instid0(VALU_DEP_1) | instskip(NEXT) | instid1(VALU_DEP_1)
	v_cmp_le_u32_e64 s6, v14, v20
	;; [unrolled: 30-line block ×3, first 2 shown]
	s_and_b32 s7, s6, s7
	v_add_co_u32 v16, s6, v22, v16
	s_delay_alu instid0(VALU_DEP_1)
	v_add_co_ci_u32_e64 v17, s6, v23, v17, s6
	s_or_b32 s6, s10, s7
	v_add_co_u32 v18, s7, v22, v18
	v_cndmask_b32_e64 v14, v10, v12, s6
	v_add_co_ci_u32_e64 v19, s7, v23, v19, s7
	v_add_co_u32 v20, s7, v22, v20
	s_delay_alu instid0(VALU_DEP_3) | instskip(SKIP_2) | instid1(VALU_DEP_3)
	v_lshlrev_b64 v[14:15], 3, v[14:15]
	v_add_co_ci_u32_e64 v21, s7, v23, v21, s7
	v_cndmask_b32_e64 v83, v32, v33, s6
	v_add_co_u32 v27, s7, v22, v14
	s_delay_alu instid0(VALU_DEP_1)
	v_add_co_ci_u32_e64 v28, s7, v23, v15, s7
	s_clause 0x3
	flat_load_b64 v[14:15], v[16:17]
	flat_load_b64 v[16:17], v[18:19]
	;; [unrolled: 1-line block ×4, first 2 shown]
.LBB524_47:
	s_or_b32 exec_lo, exec_lo, s14
	v_and_b32_e32 v12, 0x60, v87
	v_min_u32_e32 v13, v26, v96
	s_mov_b32 s4, exec_lo
	; wave barrier
	s_delay_alu instid0(VALU_DEP_2)
	v_or_b32_e32 v10, 16, v12
	s_waitcnt vmcnt(2) lgkmcnt(2)
	s_clause 0x1
	flat_store_b128 v[4:5], v[14:17]
	flat_store_b128 v[8:9], v[80:83]
	s_waitcnt vmcnt(0) lgkmcnt(2)
	flat_store_b128 v[4:5], v[18:21] offset:16
	; wave barrier
	v_min_u32_e32 v10, v26, v10
	s_delay_alu instid0(VALU_DEP_1) | instskip(NEXT) | instid1(VALU_DEP_1)
	v_add_nc_u32_e32 v11, 16, v10
	v_min_u32_e32 v11, v26, v11
	v_sub_nc_u32_e32 v26, v10, v12
	s_delay_alu instid0(VALU_DEP_2) | instskip(NEXT) | instid1(VALU_DEP_2)
	v_sub_nc_u32_e32 v28, v11, v10
	v_min_u32_e32 v27, v13, v26
	s_delay_alu instid0(VALU_DEP_2) | instskip(NEXT) | instid1(VALU_DEP_1)
	v_sub_nc_u32_e64 v26, v13, v28 clamp
	v_cmpx_lt_u32_e64 v26, v27
	s_cbranch_execz .LBB524_51
; %bb.48:
	v_lshlrev_b32_e32 v4, 2, v12
	v_lshlrev_b32_e32 v5, 2, v10
	s_mov_b32 s5, 0
	s_delay_alu instid0(VALU_DEP_2) | instskip(NEXT) | instid1(VALU_DEP_1)
	v_add_co_u32 v8, s3, v24, v4
	v_add_co_ci_u32_e64 v9, s3, 0, v25, s3
	s_delay_alu instid0(VALU_DEP_3)
	v_add_co_u32 v28, s3, v24, v5
	v_mov_b32_e32 v5, 0
	v_add_co_ci_u32_e64 v29, s3, 0, v25, s3
	s_set_inst_prefetch_distance 0x1
	.p2align	6
.LBB524_49:                             ; =>This Inner Loop Header: Depth=1
	s_delay_alu instid0(VALU_DEP_2) | instskip(NEXT) | instid1(VALU_DEP_1)
	v_dual_mov_b32 v33, v5 :: v_dual_add_nc_u32 v4, v27, v26
	v_lshrrev_b32_e32 v4, 1, v4
	s_delay_alu instid0(VALU_DEP_1) | instskip(SKIP_1) | instid1(VALU_DEP_2)
	v_xad_u32 v32, v4, -1, v13
	v_lshlrev_b64 v[34:35], 2, v[4:5]
	v_lshlrev_b64 v[32:33], 2, v[32:33]
	s_delay_alu instid0(VALU_DEP_2) | instskip(NEXT) | instid1(VALU_DEP_1)
	v_add_co_u32 v34, s3, v8, v34
	v_add_co_ci_u32_e64 v35, s3, v9, v35, s3
	s_delay_alu instid0(VALU_DEP_3) | instskip(NEXT) | instid1(VALU_DEP_1)
	v_add_co_u32 v32, s3, v28, v32
	v_add_co_ci_u32_e64 v33, s3, v29, v33, s3
	s_clause 0x1
	flat_load_b32 v34, v[34:35]
	flat_load_b32 v32, v[32:33]
	s_waitcnt vmcnt(1) lgkmcnt(1)
	v_and_b32_e32 v33, v34, v31
	s_waitcnt vmcnt(0) lgkmcnt(0)
	v_and_b32_e32 v32, v32, v31
	v_add_nc_u32_e32 v34, 1, v4
	s_delay_alu instid0(VALU_DEP_2) | instskip(NEXT) | instid1(VALU_DEP_1)
	v_cmp_gt_u32_e64 s3, v32, v33
	v_cndmask_b32_e64 v27, v27, v4, s3
	s_delay_alu instid0(VALU_DEP_3) | instskip(NEXT) | instid1(VALU_DEP_1)
	v_cndmask_b32_e64 v26, v34, v26, s3
	v_cmp_ge_u32_e64 s3, v26, v27
	s_delay_alu instid0(VALU_DEP_1) | instskip(NEXT) | instid1(SALU_CYCLE_1)
	s_or_b32 s5, s3, s5
	s_and_not1_b32 exec_lo, exec_lo, s5
	s_cbranch_execnz .LBB524_49
; %bb.50:
	s_set_inst_prefetch_distance 0x2
	s_or_b32 exec_lo, exec_lo, s5
.LBB524_51:
	s_delay_alu instid0(SALU_CYCLE_1) | instskip(SKIP_2) | instid1(VALU_DEP_2)
	s_or_b32 exec_lo, exec_lo, s4
	v_add_nc_u32_e32 v4, v10, v13
	v_add_nc_u32_e32 v8, v26, v12
	v_sub_nc_u32_e32 v4, v4, v26
	s_delay_alu instid0(VALU_DEP_2) | instskip(NEXT) | instid1(VALU_DEP_2)
	v_cmp_le_u32_e64 s3, v8, v10
	v_cmp_le_u32_e64 s4, v4, v11
	s_delay_alu instid0(VALU_DEP_1) | instskip(NEXT) | instid1(SALU_CYCLE_1)
	s_or_b32 s3, s3, s4
	s_and_saveexec_b32 s14, s3
	s_cbranch_execz .LBB524_57
; %bb.52:
	v_cmp_lt_u32_e64 s3, v8, v10
                                        ; implicit-def: $vgpr9
	s_delay_alu instid0(VALU_DEP_1)
	s_and_saveexec_b32 s5, s3
	s_cbranch_execz .LBB524_54
; %bb.53:
	v_mov_b32_e32 v9, 0
	s_delay_alu instid0(VALU_DEP_1) | instskip(NEXT) | instid1(VALU_DEP_1)
	v_lshlrev_b64 v[12:13], 2, v[8:9]
	v_add_co_u32 v12, s4, v24, v12
	s_delay_alu instid0(VALU_DEP_1)
	v_add_co_ci_u32_e64 v13, s4, v25, v13, s4
	flat_load_b32 v9, v[12:13]
.LBB524_54:
	s_or_b32 exec_lo, exec_lo, s5
	v_cmp_ge_u32_e64 s4, v4, v11
	s_mov_b32 s6, exec_lo
                                        ; implicit-def: $vgpr5
	v_cmpx_lt_u32_e64 v4, v11
	s_cbranch_execz .LBB524_56
; %bb.55:
	v_mov_b32_e32 v5, 0
	s_delay_alu instid0(VALU_DEP_1) | instskip(NEXT) | instid1(VALU_DEP_1)
	v_lshlrev_b64 v[12:13], 2, v[4:5]
	v_add_co_u32 v12, s5, v24, v12
	s_delay_alu instid0(VALU_DEP_1)
	v_add_co_ci_u32_e64 v13, s5, v25, v13, s5
	flat_load_b32 v5, v[12:13]
.LBB524_56:
	s_or_b32 exec_lo, exec_lo, s6
	s_waitcnt vmcnt(0) lgkmcnt(0)
	v_and_b32_e32 v12, v5, v31
	v_and_b32_e32 v13, v9, v31
	s_delay_alu instid0(VALU_DEP_1) | instskip(SKIP_1) | instid1(VALU_DEP_2)
	v_cmp_le_u32_e64 s5, v12, v13
	v_mov_b32_e32 v13, 0
	s_and_b32 s3, s3, s5
	s_delay_alu instid0(SALU_CYCLE_1) | instskip(NEXT) | instid1(SALU_CYCLE_1)
	s_or_b32 s3, s4, s3
	v_cndmask_b32_e64 v12, v4, v8, s3
	v_cndmask_b32_e64 v14, v11, v10, s3
	v_cndmask_b32_e64 v80, v5, v9, s3
	s_delay_alu instid0(VALU_DEP_3) | instskip(NEXT) | instid1(VALU_DEP_3)
	v_add_nc_u32_e32 v18, 1, v12
	v_add_nc_u32_e32 v16, -1, v14
	v_lshlrev_b64 v[14:15], 3, v[12:13]
	s_delay_alu instid0(VALU_DEP_3) | instskip(NEXT) | instid1(VALU_DEP_3)
	v_cndmask_b32_e64 v8, v8, v18, s3
	v_min_u32_e32 v12, v18, v16
	v_cndmask_b32_e64 v4, v18, v4, s3
	s_delay_alu instid0(VALU_DEP_2) | instskip(NEXT) | instid1(VALU_DEP_2)
	v_lshlrev_b64 v[16:17], 2, v[12:13]
	v_cmp_ge_u32_e64 s6, v4, v11
	s_delay_alu instid0(VALU_DEP_2) | instskip(NEXT) | instid1(VALU_DEP_1)
	v_add_co_u32 v16, s4, v24, v16
	v_add_co_ci_u32_e64 v17, s4, v25, v17, s4
	v_cmp_lt_u32_e64 s4, v8, v10
	flat_load_b32 v12, v[16:17]
	s_waitcnt vmcnt(0) lgkmcnt(0)
	v_cndmask_b32_e64 v26, v12, v5, s3
	v_cndmask_b32_e64 v27, v9, v12, s3
	s_delay_alu instid0(VALU_DEP_2) | instskip(NEXT) | instid1(VALU_DEP_2)
	v_and_b32_e32 v12, v26, v31
	v_and_b32_e32 v16, v27, v31
	s_delay_alu instid0(VALU_DEP_1) | instskip(NEXT) | instid1(VALU_DEP_1)
	v_cmp_le_u32_e64 s5, v12, v16
	s_and_b32 s4, s4, s5
	s_delay_alu instid0(SALU_CYCLE_1) | instskip(NEXT) | instid1(SALU_CYCLE_1)
	s_or_b32 s4, s6, s4
	v_cndmask_b32_e64 v12, v4, v8, s4
	v_cndmask_b32_e64 v16, v11, v10, s4
	v_cndmask_b32_e64 v81, v26, v27, s4
	s_delay_alu instid0(VALU_DEP_3) | instskip(NEXT) | instid1(VALU_DEP_3)
	v_add_nc_u32_e32 v20, 1, v12
	v_add_nc_u32_e32 v18, -1, v16
	v_lshlrev_b64 v[16:17], 3, v[12:13]
	s_delay_alu instid0(VALU_DEP_3) | instskip(NEXT) | instid1(VALU_DEP_3)
	v_cndmask_b32_e64 v8, v8, v20, s4
	v_min_u32_e32 v12, v20, v18
	v_cndmask_b32_e64 v4, v20, v4, s4
	s_delay_alu instid0(VALU_DEP_2) | instskip(NEXT) | instid1(VALU_DEP_2)
	v_lshlrev_b64 v[18:19], 2, v[12:13]
	v_cmp_ge_u32_e64 s7, v4, v11
	s_delay_alu instid0(VALU_DEP_2) | instskip(NEXT) | instid1(VALU_DEP_1)
	v_add_co_u32 v18, s5, v24, v18
	v_add_co_ci_u32_e64 v19, s5, v25, v19, s5
	v_cmp_lt_u32_e64 s5, v8, v10
	flat_load_b32 v12, v[18:19]
	s_waitcnt vmcnt(0) lgkmcnt(0)
	v_cndmask_b32_e64 v28, v12, v26, s4
	v_cndmask_b32_e64 v29, v27, v12, s4
	s_delay_alu instid0(VALU_DEP_2) | instskip(NEXT) | instid1(VALU_DEP_2)
	v_and_b32_e32 v12, v28, v31
	v_and_b32_e32 v18, v29, v31
	s_delay_alu instid0(VALU_DEP_1) | instskip(NEXT) | instid1(VALU_DEP_1)
	v_cmp_le_u32_e64 s6, v12, v18
	;; [unrolled: 30-line block ×3, first 2 shown]
	s_and_b32 s7, s6, s7
	v_add_co_u32 v10, s6, v22, v14
	s_delay_alu instid0(VALU_DEP_1)
	v_add_co_ci_u32_e64 v11, s6, v23, v15, s6
	s_or_b32 s6, s10, s7
	v_add_co_u32 v16, s7, v22, v16
	v_cndmask_b32_e64 v12, v4, v8, s6
	v_add_co_ci_u32_e64 v17, s7, v23, v17, s7
	v_add_co_u32 v18, s7, v22, v18
	s_delay_alu instid0(VALU_DEP_3) | instskip(SKIP_2) | instid1(VALU_DEP_3)
	v_lshlrev_b64 v[12:13], 3, v[12:13]
	v_add_co_ci_u32_e64 v19, s7, v23, v19, s7
	v_cndmask_b32_e64 v83, v24, v25, s6
	v_add_co_u32 v12, s7, v22, v12
	s_delay_alu instid0(VALU_DEP_1)
	v_add_co_ci_u32_e64 v13, s7, v23, v13, s7
	s_clause 0x3
	flat_load_b64 v[14:15], v[10:11]
	flat_load_b64 v[16:17], v[16:17]
	;; [unrolled: 1-line block ×4, first 2 shown]
.LBB524_57:
	s_or_b32 exec_lo, exec_lo, s14
	; wave barrier
	s_waitcnt vmcnt(0) lgkmcnt(0)
	s_waitcnt_vscnt null, 0x0
	s_barrier
                                        ; implicit-def: $vgpr87
                                        ; implicit-def: $vgpr12
                                        ; implicit-def: $vgpr13
                                        ; implicit-def: $vgpr96
                                        ; implicit-def: $vgpr8
                                        ; implicit-def: $vgpr9
                                        ; implicit-def: $vgpr4
                                        ; implicit-def: $vgpr32_vgpr33_vgpr34_vgpr35_vgpr36_vgpr37_vgpr38_vgpr39
                                        ; implicit-def: $vgpr22_vgpr23_vgpr24_vgpr25_vgpr26_vgpr27_vgpr28_vgpr29
.LBB524_58:
	s_and_not1_saveexec_b32 s10, s11
	s_cbranch_execz .LBB524_94
; %bb.59:
	s_load_b64 s[4:5], s[8:9], 0x0
	v_mov_b32_e32 v5, 0
	s_waitcnt lgkmcnt(0)
	s_cmp_lt_u32 s13, s5
	s_cselect_b32 s3, 14, 20
	s_delay_alu instid0(SALU_CYCLE_1) | instskip(SKIP_4) | instid1(SALU_CYCLE_1)
	s_add_u32 s6, s8, s3
	s_addc_u32 s7, s9, 0
	s_cmp_lt_u32 s12, s4
	global_load_u16 v10, v5, s[6:7]
	s_cselect_b32 s3, 12, 18
	s_add_u32 s4, s8, s3
	s_addc_u32 s5, s9, 0
	global_load_u16 v11, v5, s[4:5]
	s_mov_b32 s6, exec_lo
	s_waitcnt vmcnt(1)
	v_mad_u32_u24 v8, v9, v10, v8
	s_waitcnt vmcnt(0)
	s_delay_alu instid0(VALU_DEP_1) | instskip(NEXT) | instid1(VALU_DEP_1)
	v_mul_lo_u32 v8, v8, v11
	v_add_lshl_u32 v4, v8, v4, 2
	s_delay_alu instid0(VALU_DEP_1)
	v_cmpx_gt_u32_e32 0x400, v4
	s_cbranch_execz .LBB524_63
; %bb.60:
	v_cmp_gt_i32_e64 s3, v81, v80
	v_min_i32_e32 v18, v81, v80
	v_cmp_gt_i32_e64 s4, v83, v82
	v_max_i32_e32 v11, v83, v82
	v_max_i32_e32 v8, v81, v80
	v_cndmask_b32_e64 v19, v14, v16, s3
	v_cndmask_b32_e64 v20, v15, v17, s3
	;; [unrolled: 1-line block ×5, first 2 shown]
	v_cmp_gt_i32_e64 s5, v11, v18
	v_min_i32_e32 v9, v83, v82
	v_cndmask_b32_e64 v23, v28, v36, s4
	v_cndmask_b32_e64 v16, v37, v29, s4
	;; [unrolled: 1-line block ×3, first 2 shown]
	v_max_i32_e32 v10, v11, v18
	v_cmp_gt_i32_e64 s3, v11, v8
	v_min_i32_e32 v11, v11, v18
	v_cndmask_b32_e64 v22, v14, v17, s5
	v_cmp_lt_i32_e64 s4, v18, v9
	v_cndmask_b32_e64 v25, v17, v14, s5
	v_cndmask_b32_e64 v21, v15, v16, s5
	;; [unrolled: 1-line block ×13, first 2 shown]
	v_mov_b32_e32 v82, v22
	s_mov_b32 s7, exec_lo
	v_cmpx_gt_i32_e64 v22, v81
; %bb.61:
	s_delay_alu instid0(VALU_DEP_3) | instskip(SKIP_2) | instid1(VALU_DEP_3)
	v_dual_mov_b32 v24, v19 :: v_dual_mov_b32 v23, v18
	v_dual_mov_b32 v19, v17 :: v_dual_mov_b32 v18, v16
	;; [unrolled: 1-line block ×4, first 2 shown]
; %bb.62:
	s_or_b32 exec_lo, exec_lo, s7
	v_cndmask_b32_e64 v80, v8, v10, s3
	v_cndmask_b32_e64 v83, v9, v11, s4
.LBB524_63:
	s_or_b32 exec_lo, exec_lo, s6
	v_and_b32_e32 v4, 0xffffff80, v4
	v_or_b32_e32 v10, 4, v87
	s_mov_b32 s4, exec_lo
	s_delay_alu instid0(VALU_DEP_2) | instskip(SKIP_2) | instid1(VALU_DEP_2)
	v_lshlrev_b64 v[8:9], 2, v[4:5]
	v_sub_nc_u32_e64 v26, 0x400, v4 clamp
	v_lshlrev_b64 v[4:5], 3, v[4:5]
	v_min_u32_e32 v27, v26, v10
	s_delay_alu instid0(VALU_DEP_4) | instskip(NEXT) | instid1(VALU_DEP_1)
	v_add_co_u32 v24, s3, v12, v8
	v_add_co_ci_u32_e64 v25, s3, v13, v9, s3
	s_delay_alu instid0(VALU_DEP_4) | instskip(NEXT) | instid1(VALU_DEP_1)
	v_add_co_u32 v4, s3, v12, v4
	v_add_co_ci_u32_e64 v5, s3, v13, v5, s3
	v_add_nc_u32_e32 v8, 4, v27
	s_delay_alu instid0(VALU_DEP_3) | instskip(NEXT) | instid1(VALU_DEP_1)
	v_add_co_u32 v22, s3, 0x1000, v4
	v_add_co_ci_u32_e64 v23, s3, 0, v5, s3
	v_and_b32_e32 v4, 4, v87
	v_and_b32_e32 v12, 0x78, v87
	v_min_u32_e32 v28, v26, v8
	v_lshlrev_b32_e32 v5, 3, v87
	v_lshlrev_b32_e32 v8, 2, v87
	v_min_u32_e32 v13, v26, v4
	v_sub_nc_u32_e32 v9, v27, v12
	v_sub_nc_u32_e32 v10, v28, v27
	v_add_co_u32 v4, s3, v22, v5
	s_delay_alu instid0(VALU_DEP_1) | instskip(SKIP_1) | instid1(VALU_DEP_4)
	v_add_co_ci_u32_e64 v5, s3, 0, v23, s3
	v_add_co_u32 v8, s3, v24, v8
	v_sub_nc_u32_e64 v29, v13, v10 clamp
	v_min_u32_e32 v31, v13, v9
	v_add_co_ci_u32_e64 v9, s3, 0, v25, s3
	s_clause 0x2
	flat_store_b128 v[4:5], v[14:17]
	flat_store_b128 v[8:9], v[80:83]
	flat_store_b128 v[4:5], v[18:21] offset:16
	; wave barrier
	v_cmpx_lt_u32_e64 v29, v31
	s_cbranch_execz .LBB524_67
; %bb.64:
	v_lshlrev_b32_e32 v10, 2, v12
	v_lshlrev_b32_e32 v11, 2, v27
	s_mov_b32 s5, 0
	s_delay_alu instid0(VALU_DEP_2) | instskip(NEXT) | instid1(VALU_DEP_1)
	v_add_co_u32 v32, s3, v24, v10
	v_add_co_ci_u32_e64 v33, s3, 0, v25, s3
	s_delay_alu instid0(VALU_DEP_3)
	v_add_co_u32 v34, s3, v24, v11
	v_mov_b32_e32 v11, 0
	v_add_co_ci_u32_e64 v35, s3, 0, v25, s3
	s_set_inst_prefetch_distance 0x1
	.p2align	6
.LBB524_65:                             ; =>This Inner Loop Header: Depth=1
	v_add_nc_u32_e32 v10, v31, v29
	s_delay_alu instid0(VALU_DEP_3) | instskip(NEXT) | instid1(VALU_DEP_2)
	v_mov_b32_e32 v37, v11
	v_lshrrev_b32_e32 v10, 1, v10
	s_delay_alu instid0(VALU_DEP_1) | instskip(SKIP_1) | instid1(VALU_DEP_2)
	v_xad_u32 v36, v10, -1, v13
	v_lshlrev_b64 v[38:39], 2, v[10:11]
	v_lshlrev_b64 v[36:37], 2, v[36:37]
	s_delay_alu instid0(VALU_DEP_2) | instskip(NEXT) | instid1(VALU_DEP_1)
	v_add_co_u32 v38, s3, v32, v38
	v_add_co_ci_u32_e64 v39, s3, v33, v39, s3
	s_delay_alu instid0(VALU_DEP_3) | instskip(NEXT) | instid1(VALU_DEP_1)
	v_add_co_u32 v36, s3, v34, v36
	v_add_co_ci_u32_e64 v37, s3, v35, v37, s3
	s_clause 0x1
	flat_load_b32 v38, v[38:39]
	flat_load_b32 v36, v[36:37]
	v_add_nc_u32_e32 v37, 1, v10
	s_waitcnt vmcnt(0) lgkmcnt(0)
	v_cmp_gt_i32_e64 s3, v36, v38
	s_delay_alu instid0(VALU_DEP_1) | instskip(NEXT) | instid1(VALU_DEP_3)
	v_cndmask_b32_e64 v31, v31, v10, s3
	v_cndmask_b32_e64 v29, v37, v29, s3
	s_delay_alu instid0(VALU_DEP_1) | instskip(NEXT) | instid1(VALU_DEP_1)
	v_cmp_ge_u32_e64 s3, v29, v31
	s_or_b32 s5, s3, s5
	s_delay_alu instid0(SALU_CYCLE_1)
	s_and_not1_b32 exec_lo, exec_lo, s5
	s_cbranch_execnz .LBB524_65
; %bb.66:
	s_set_inst_prefetch_distance 0x2
	s_or_b32 exec_lo, exec_lo, s5
.LBB524_67:
	s_delay_alu instid0(SALU_CYCLE_1) | instskip(SKIP_2) | instid1(VALU_DEP_2)
	s_or_b32 exec_lo, exec_lo, s4
	v_add_nc_u32_e32 v10, v27, v13
	v_add_nc_u32_e32 v12, v29, v12
	v_sub_nc_u32_e32 v10, v10, v29
	s_delay_alu instid0(VALU_DEP_2) | instskip(NEXT) | instid1(VALU_DEP_2)
	v_cmp_le_u32_e64 s3, v12, v27
	v_cmp_le_u32_e64 s4, v10, v28
	s_delay_alu instid0(VALU_DEP_1) | instskip(NEXT) | instid1(SALU_CYCLE_1)
	s_or_b32 s3, s3, s4
	s_and_saveexec_b32 s9, s3
	s_cbranch_execz .LBB524_73
; %bb.68:
	v_cmp_lt_u32_e64 s3, v12, v27
                                        ; implicit-def: $vgpr13
	s_delay_alu instid0(VALU_DEP_1)
	s_and_saveexec_b32 s5, s3
	s_cbranch_execz .LBB524_70
; %bb.69:
	v_mov_b32_e32 v13, 0
	s_delay_alu instid0(VALU_DEP_1) | instskip(NEXT) | instid1(VALU_DEP_1)
	v_lshlrev_b64 v[13:14], 2, v[12:13]
	v_add_co_u32 v13, s4, v24, v13
	s_delay_alu instid0(VALU_DEP_1)
	v_add_co_ci_u32_e64 v14, s4, v25, v14, s4
	flat_load_b32 v13, v[13:14]
.LBB524_70:
	s_or_b32 exec_lo, exec_lo, s5
	v_cmp_ge_u32_e64 s4, v10, v28
	s_mov_b32 s6, exec_lo
                                        ; implicit-def: $vgpr11
	v_cmpx_lt_u32_e64 v10, v28
	s_cbranch_execz .LBB524_72
; %bb.71:
	v_mov_b32_e32 v11, 0
	s_delay_alu instid0(VALU_DEP_1) | instskip(NEXT) | instid1(VALU_DEP_1)
	v_lshlrev_b64 v[14:15], 2, v[10:11]
	v_add_co_u32 v14, s5, v24, v14
	s_delay_alu instid0(VALU_DEP_1)
	v_add_co_ci_u32_e64 v15, s5, v25, v15, s5
	flat_load_b32 v11, v[14:15]
.LBB524_72:
	s_or_b32 exec_lo, exec_lo, s6
	s_waitcnt vmcnt(0) lgkmcnt(0)
	v_cmp_le_i32_e64 s5, v11, v13
	s_delay_alu instid0(VALU_DEP_1) | instskip(NEXT) | instid1(SALU_CYCLE_1)
	s_and_b32 s3, s3, s5
	s_or_b32 s3, s4, s3
	s_delay_alu instid0(SALU_CYCLE_1) | instskip(SKIP_3) | instid1(VALU_DEP_4)
	v_cndmask_b32_e64 v14, v10, v12, s3
	v_cndmask_b32_e64 v16, v28, v27, s3
	v_mov_b32_e32 v15, 0
	v_cndmask_b32_e64 v80, v11, v13, s3
	v_add_nc_u32_e32 v20, 1, v14
	s_delay_alu instid0(VALU_DEP_4) | instskip(NEXT) | instid1(VALU_DEP_4)
	v_add_nc_u32_e32 v18, -1, v16
	v_lshlrev_b64 v[16:17], 3, v[14:15]
	s_delay_alu instid0(VALU_DEP_3) | instskip(NEXT) | instid1(VALU_DEP_3)
	v_cndmask_b32_e64 v12, v12, v20, s3
	v_min_u32_e32 v14, v20, v18
	v_cndmask_b32_e64 v10, v20, v10, s3
	s_delay_alu instid0(VALU_DEP_2) | instskip(NEXT) | instid1(VALU_DEP_2)
	v_lshlrev_b64 v[18:19], 2, v[14:15]
	v_cmp_ge_u32_e64 s6, v10, v28
	s_delay_alu instid0(VALU_DEP_2) | instskip(NEXT) | instid1(VALU_DEP_1)
	v_add_co_u32 v18, s4, v24, v18
	v_add_co_ci_u32_e64 v19, s4, v25, v19, s4
	v_cmp_lt_u32_e64 s4, v12, v27
	flat_load_b32 v14, v[18:19]
	s_waitcnt vmcnt(0) lgkmcnt(0)
	v_cndmask_b32_e64 v29, v14, v11, s3
	v_cndmask_b32_e64 v33, v13, v14, s3
	s_delay_alu instid0(VALU_DEP_1) | instskip(NEXT) | instid1(VALU_DEP_1)
	v_cmp_le_i32_e64 s5, v29, v33
	s_and_b32 s4, s4, s5
	s_delay_alu instid0(SALU_CYCLE_1) | instskip(NEXT) | instid1(SALU_CYCLE_1)
	s_or_b32 s4, s6, s4
	v_cndmask_b32_e64 v14, v10, v12, s4
	v_cndmask_b32_e64 v18, v28, v27, s4
	;; [unrolled: 1-line block ×3, first 2 shown]
	s_delay_alu instid0(VALU_DEP_3) | instskip(NEXT) | instid1(VALU_DEP_3)
	v_add_nc_u32_e32 v31, 1, v14
	v_add_nc_u32_e32 v20, -1, v18
	v_lshlrev_b64 v[18:19], 3, v[14:15]
	s_delay_alu instid0(VALU_DEP_3) | instskip(NEXT) | instid1(VALU_DEP_3)
	v_cndmask_b32_e64 v12, v12, v31, s4
	v_min_u32_e32 v14, v31, v20
	v_cndmask_b32_e64 v10, v31, v10, s4
	s_delay_alu instid0(VALU_DEP_2) | instskip(NEXT) | instid1(VALU_DEP_2)
	v_lshlrev_b64 v[20:21], 2, v[14:15]
	v_cmp_ge_u32_e64 s7, v10, v28
	s_delay_alu instid0(VALU_DEP_2) | instskip(NEXT) | instid1(VALU_DEP_1)
	v_add_co_u32 v20, s5, v24, v20
	v_add_co_ci_u32_e64 v21, s5, v25, v21, s5
	v_cmp_lt_u32_e64 s5, v12, v27
	flat_load_b32 v14, v[20:21]
	s_waitcnt vmcnt(0) lgkmcnt(0)
	v_cndmask_b32_e64 v34, v14, v29, s4
	v_cndmask_b32_e64 v35, v33, v14, s4
	s_delay_alu instid0(VALU_DEP_1) | instskip(NEXT) | instid1(VALU_DEP_1)
	v_cmp_le_i32_e64 s6, v34, v35
	s_and_b32 s5, s5, s6
	s_delay_alu instid0(SALU_CYCLE_1) | instskip(NEXT) | instid1(SALU_CYCLE_1)
	s_or_b32 s5, s7, s5
	v_cndmask_b32_e64 v14, v10, v12, s5
	v_cndmask_b32_e64 v20, v28, v27, s5
	;; [unrolled: 1-line block ×3, first 2 shown]
	s_delay_alu instid0(VALU_DEP_3) | instskip(NEXT) | instid1(VALU_DEP_3)
	v_add_nc_u32_e32 v36, 1, v14
	v_add_nc_u32_e32 v31, -1, v20
	v_lshlrev_b64 v[20:21], 3, v[14:15]
	s_delay_alu instid0(VALU_DEP_3) | instskip(NEXT) | instid1(VALU_DEP_3)
	v_cndmask_b32_e64 v12, v12, v36, s5
	v_min_u32_e32 v14, v36, v31
	v_cndmask_b32_e64 v10, v36, v10, s5
	s_delay_alu instid0(VALU_DEP_2) | instskip(NEXT) | instid1(VALU_DEP_2)
	v_lshlrev_b64 v[31:32], 2, v[14:15]
	v_cmp_ge_u32_e64 s8, v10, v28
	s_delay_alu instid0(VALU_DEP_2) | instskip(NEXT) | instid1(VALU_DEP_1)
	v_add_co_u32 v31, s6, v24, v31
	v_add_co_ci_u32_e64 v32, s6, v25, v32, s6
	v_cmp_lt_u32_e64 s6, v12, v27
	flat_load_b32 v14, v[31:32]
	s_waitcnt vmcnt(0) lgkmcnt(0)
	v_cndmask_b32_e64 v31, v14, v34, s5
	v_cndmask_b32_e64 v32, v35, v14, s5
	s_delay_alu instid0(VALU_DEP_1) | instskip(NEXT) | instid1(VALU_DEP_1)
	v_cmp_le_i32_e64 s7, v31, v32
	s_and_b32 s7, s6, s7
	v_add_co_u32 v16, s6, v22, v16
	s_delay_alu instid0(VALU_DEP_1)
	v_add_co_ci_u32_e64 v17, s6, v23, v17, s6
	s_or_b32 s6, s8, s7
	v_add_co_u32 v18, s7, v22, v18
	v_cndmask_b32_e64 v14, v10, v12, s6
	v_add_co_ci_u32_e64 v19, s7, v23, v19, s7
	v_add_co_u32 v20, s7, v22, v20
	s_delay_alu instid0(VALU_DEP_3) | instskip(SKIP_2) | instid1(VALU_DEP_3)
	v_lshlrev_b64 v[14:15], 3, v[14:15]
	v_add_co_ci_u32_e64 v21, s7, v23, v21, s7
	v_cndmask_b32_e64 v83, v31, v32, s6
	v_add_co_u32 v27, s7, v22, v14
	s_delay_alu instid0(VALU_DEP_1)
	v_add_co_ci_u32_e64 v28, s7, v23, v15, s7
	s_clause 0x3
	flat_load_b64 v[14:15], v[16:17]
	flat_load_b64 v[16:17], v[18:19]
	;; [unrolled: 1-line block ×4, first 2 shown]
.LBB524_73:
	s_or_b32 exec_lo, exec_lo, s9
	v_and_b32_e32 v12, 0x70, v87
	v_and_b32_e32 v11, 12, v87
	s_mov_b32 s4, exec_lo
	; wave barrier
	s_delay_alu instid0(VALU_DEP_2) | instskip(NEXT) | instid1(VALU_DEP_2)
	v_or_b32_e32 v10, 8, v12
	v_min_u32_e32 v13, v26, v11
	s_waitcnt vmcnt(2) lgkmcnt(2)
	s_clause 0x1
	flat_store_b128 v[4:5], v[14:17]
	flat_store_b128 v[8:9], v[80:83]
	s_waitcnt vmcnt(0) lgkmcnt(2)
	flat_store_b128 v[4:5], v[18:21] offset:16
	; wave barrier
	v_min_u32_e32 v27, v26, v10
	s_delay_alu instid0(VALU_DEP_1) | instskip(NEXT) | instid1(VALU_DEP_1)
	v_add_nc_u32_e32 v10, 8, v27
	v_min_u32_e32 v28, v26, v10
	v_sub_nc_u32_e32 v10, v27, v12
	s_delay_alu instid0(VALU_DEP_2) | instskip(NEXT) | instid1(VALU_DEP_2)
	v_sub_nc_u32_e32 v11, v28, v27
	v_min_u32_e32 v31, v13, v10
	s_delay_alu instid0(VALU_DEP_2) | instskip(NEXT) | instid1(VALU_DEP_1)
	v_sub_nc_u32_e64 v29, v13, v11 clamp
	v_cmpx_lt_u32_e64 v29, v31
	s_cbranch_execz .LBB524_77
; %bb.74:
	v_lshlrev_b32_e32 v10, 2, v12
	v_lshlrev_b32_e32 v11, 2, v27
	s_mov_b32 s5, 0
	s_delay_alu instid0(VALU_DEP_2) | instskip(NEXT) | instid1(VALU_DEP_1)
	v_add_co_u32 v32, s3, v24, v10
	v_add_co_ci_u32_e64 v33, s3, 0, v25, s3
	s_delay_alu instid0(VALU_DEP_3)
	v_add_co_u32 v34, s3, v24, v11
	v_mov_b32_e32 v11, 0
	v_add_co_ci_u32_e64 v35, s3, 0, v25, s3
	s_set_inst_prefetch_distance 0x1
	.p2align	6
.LBB524_75:                             ; =>This Inner Loop Header: Depth=1
	v_add_nc_u32_e32 v10, v31, v29
	s_delay_alu instid0(VALU_DEP_3) | instskip(NEXT) | instid1(VALU_DEP_2)
	v_mov_b32_e32 v37, v11
	v_lshrrev_b32_e32 v10, 1, v10
	s_delay_alu instid0(VALU_DEP_1) | instskip(SKIP_1) | instid1(VALU_DEP_2)
	v_xad_u32 v36, v10, -1, v13
	v_lshlrev_b64 v[38:39], 2, v[10:11]
	v_lshlrev_b64 v[36:37], 2, v[36:37]
	s_delay_alu instid0(VALU_DEP_2) | instskip(NEXT) | instid1(VALU_DEP_1)
	v_add_co_u32 v38, s3, v32, v38
	v_add_co_ci_u32_e64 v39, s3, v33, v39, s3
	s_delay_alu instid0(VALU_DEP_3) | instskip(NEXT) | instid1(VALU_DEP_1)
	v_add_co_u32 v36, s3, v34, v36
	v_add_co_ci_u32_e64 v37, s3, v35, v37, s3
	s_clause 0x1
	flat_load_b32 v38, v[38:39]
	flat_load_b32 v36, v[36:37]
	v_add_nc_u32_e32 v37, 1, v10
	s_waitcnt vmcnt(0) lgkmcnt(0)
	v_cmp_gt_i32_e64 s3, v36, v38
	s_delay_alu instid0(VALU_DEP_1) | instskip(NEXT) | instid1(VALU_DEP_3)
	v_cndmask_b32_e64 v31, v31, v10, s3
	v_cndmask_b32_e64 v29, v37, v29, s3
	s_delay_alu instid0(VALU_DEP_1) | instskip(NEXT) | instid1(VALU_DEP_1)
	v_cmp_ge_u32_e64 s3, v29, v31
	s_or_b32 s5, s3, s5
	s_delay_alu instid0(SALU_CYCLE_1)
	s_and_not1_b32 exec_lo, exec_lo, s5
	s_cbranch_execnz .LBB524_75
; %bb.76:
	s_set_inst_prefetch_distance 0x2
	s_or_b32 exec_lo, exec_lo, s5
.LBB524_77:
	s_delay_alu instid0(SALU_CYCLE_1) | instskip(SKIP_2) | instid1(VALU_DEP_2)
	s_or_b32 exec_lo, exec_lo, s4
	v_add_nc_u32_e32 v10, v27, v13
	v_add_nc_u32_e32 v12, v29, v12
	v_sub_nc_u32_e32 v10, v10, v29
	s_delay_alu instid0(VALU_DEP_2) | instskip(NEXT) | instid1(VALU_DEP_2)
	v_cmp_le_u32_e64 s3, v12, v27
	v_cmp_le_u32_e64 s4, v10, v28
	s_delay_alu instid0(VALU_DEP_1) | instskip(NEXT) | instid1(SALU_CYCLE_1)
	s_or_b32 s3, s3, s4
	s_and_saveexec_b32 s9, s3
	s_cbranch_execz .LBB524_83
; %bb.78:
	v_cmp_lt_u32_e64 s3, v12, v27
                                        ; implicit-def: $vgpr13
	s_delay_alu instid0(VALU_DEP_1)
	s_and_saveexec_b32 s5, s3
	s_cbranch_execz .LBB524_80
; %bb.79:
	v_mov_b32_e32 v13, 0
	s_delay_alu instid0(VALU_DEP_1) | instskip(NEXT) | instid1(VALU_DEP_1)
	v_lshlrev_b64 v[13:14], 2, v[12:13]
	v_add_co_u32 v13, s4, v24, v13
	s_delay_alu instid0(VALU_DEP_1)
	v_add_co_ci_u32_e64 v14, s4, v25, v14, s4
	flat_load_b32 v13, v[13:14]
.LBB524_80:
	s_or_b32 exec_lo, exec_lo, s5
	v_cmp_ge_u32_e64 s4, v10, v28
	s_mov_b32 s6, exec_lo
                                        ; implicit-def: $vgpr11
	v_cmpx_lt_u32_e64 v10, v28
	s_cbranch_execz .LBB524_82
; %bb.81:
	v_mov_b32_e32 v11, 0
	s_delay_alu instid0(VALU_DEP_1) | instskip(NEXT) | instid1(VALU_DEP_1)
	v_lshlrev_b64 v[14:15], 2, v[10:11]
	v_add_co_u32 v14, s5, v24, v14
	s_delay_alu instid0(VALU_DEP_1)
	v_add_co_ci_u32_e64 v15, s5, v25, v15, s5
	flat_load_b32 v11, v[14:15]
.LBB524_82:
	s_or_b32 exec_lo, exec_lo, s6
	s_waitcnt vmcnt(0) lgkmcnt(0)
	v_cmp_le_i32_e64 s5, v11, v13
	s_delay_alu instid0(VALU_DEP_1) | instskip(NEXT) | instid1(SALU_CYCLE_1)
	s_and_b32 s3, s3, s5
	s_or_b32 s3, s4, s3
	s_delay_alu instid0(SALU_CYCLE_1) | instskip(SKIP_3) | instid1(VALU_DEP_4)
	v_cndmask_b32_e64 v14, v10, v12, s3
	v_cndmask_b32_e64 v16, v28, v27, s3
	v_mov_b32_e32 v15, 0
	v_cndmask_b32_e64 v80, v11, v13, s3
	v_add_nc_u32_e32 v20, 1, v14
	s_delay_alu instid0(VALU_DEP_4) | instskip(NEXT) | instid1(VALU_DEP_4)
	v_add_nc_u32_e32 v18, -1, v16
	v_lshlrev_b64 v[16:17], 3, v[14:15]
	s_delay_alu instid0(VALU_DEP_3) | instskip(NEXT) | instid1(VALU_DEP_3)
	v_cndmask_b32_e64 v12, v12, v20, s3
	v_min_u32_e32 v14, v20, v18
	v_cndmask_b32_e64 v10, v20, v10, s3
	s_delay_alu instid0(VALU_DEP_2) | instskip(NEXT) | instid1(VALU_DEP_2)
	v_lshlrev_b64 v[18:19], 2, v[14:15]
	v_cmp_ge_u32_e64 s6, v10, v28
	s_delay_alu instid0(VALU_DEP_2) | instskip(NEXT) | instid1(VALU_DEP_1)
	v_add_co_u32 v18, s4, v24, v18
	v_add_co_ci_u32_e64 v19, s4, v25, v19, s4
	v_cmp_lt_u32_e64 s4, v12, v27
	flat_load_b32 v14, v[18:19]
	s_waitcnt vmcnt(0) lgkmcnt(0)
	v_cndmask_b32_e64 v29, v14, v11, s3
	v_cndmask_b32_e64 v33, v13, v14, s3
	s_delay_alu instid0(VALU_DEP_1) | instskip(NEXT) | instid1(VALU_DEP_1)
	v_cmp_le_i32_e64 s5, v29, v33
	s_and_b32 s4, s4, s5
	s_delay_alu instid0(SALU_CYCLE_1) | instskip(NEXT) | instid1(SALU_CYCLE_1)
	s_or_b32 s4, s6, s4
	v_cndmask_b32_e64 v14, v10, v12, s4
	v_cndmask_b32_e64 v18, v28, v27, s4
	v_cndmask_b32_e64 v81, v29, v33, s4
	s_delay_alu instid0(VALU_DEP_3) | instskip(NEXT) | instid1(VALU_DEP_3)
	v_add_nc_u32_e32 v31, 1, v14
	v_add_nc_u32_e32 v20, -1, v18
	v_lshlrev_b64 v[18:19], 3, v[14:15]
	s_delay_alu instid0(VALU_DEP_3) | instskip(NEXT) | instid1(VALU_DEP_3)
	v_cndmask_b32_e64 v12, v12, v31, s4
	v_min_u32_e32 v14, v31, v20
	v_cndmask_b32_e64 v10, v31, v10, s4
	s_delay_alu instid0(VALU_DEP_2) | instskip(NEXT) | instid1(VALU_DEP_2)
	v_lshlrev_b64 v[20:21], 2, v[14:15]
	v_cmp_ge_u32_e64 s7, v10, v28
	s_delay_alu instid0(VALU_DEP_2) | instskip(NEXT) | instid1(VALU_DEP_1)
	v_add_co_u32 v20, s5, v24, v20
	v_add_co_ci_u32_e64 v21, s5, v25, v21, s5
	v_cmp_lt_u32_e64 s5, v12, v27
	flat_load_b32 v14, v[20:21]
	s_waitcnt vmcnt(0) lgkmcnt(0)
	v_cndmask_b32_e64 v34, v14, v29, s4
	v_cndmask_b32_e64 v35, v33, v14, s4
	s_delay_alu instid0(VALU_DEP_1) | instskip(NEXT) | instid1(VALU_DEP_1)
	v_cmp_le_i32_e64 s6, v34, v35
	s_and_b32 s5, s5, s6
	s_delay_alu instid0(SALU_CYCLE_1) | instskip(NEXT) | instid1(SALU_CYCLE_1)
	s_or_b32 s5, s7, s5
	v_cndmask_b32_e64 v14, v10, v12, s5
	v_cndmask_b32_e64 v20, v28, v27, s5
	;; [unrolled: 1-line block ×3, first 2 shown]
	s_delay_alu instid0(VALU_DEP_3) | instskip(NEXT) | instid1(VALU_DEP_3)
	v_add_nc_u32_e32 v36, 1, v14
	v_add_nc_u32_e32 v31, -1, v20
	v_lshlrev_b64 v[20:21], 3, v[14:15]
	s_delay_alu instid0(VALU_DEP_3) | instskip(NEXT) | instid1(VALU_DEP_3)
	v_cndmask_b32_e64 v12, v12, v36, s5
	v_min_u32_e32 v14, v36, v31
	v_cndmask_b32_e64 v10, v36, v10, s5
	s_delay_alu instid0(VALU_DEP_2) | instskip(NEXT) | instid1(VALU_DEP_2)
	v_lshlrev_b64 v[31:32], 2, v[14:15]
	v_cmp_ge_u32_e64 s8, v10, v28
	s_delay_alu instid0(VALU_DEP_2) | instskip(NEXT) | instid1(VALU_DEP_1)
	v_add_co_u32 v31, s6, v24, v31
	v_add_co_ci_u32_e64 v32, s6, v25, v32, s6
	v_cmp_lt_u32_e64 s6, v12, v27
	flat_load_b32 v14, v[31:32]
	s_waitcnt vmcnt(0) lgkmcnt(0)
	v_cndmask_b32_e64 v31, v14, v34, s5
	v_cndmask_b32_e64 v32, v35, v14, s5
	s_delay_alu instid0(VALU_DEP_1) | instskip(NEXT) | instid1(VALU_DEP_1)
	v_cmp_le_i32_e64 s7, v31, v32
	s_and_b32 s7, s6, s7
	v_add_co_u32 v16, s6, v22, v16
	s_delay_alu instid0(VALU_DEP_1)
	v_add_co_ci_u32_e64 v17, s6, v23, v17, s6
	s_or_b32 s6, s8, s7
	v_add_co_u32 v18, s7, v22, v18
	v_cndmask_b32_e64 v14, v10, v12, s6
	v_add_co_ci_u32_e64 v19, s7, v23, v19, s7
	v_add_co_u32 v20, s7, v22, v20
	s_delay_alu instid0(VALU_DEP_3) | instskip(SKIP_2) | instid1(VALU_DEP_3)
	v_lshlrev_b64 v[14:15], 3, v[14:15]
	v_add_co_ci_u32_e64 v21, s7, v23, v21, s7
	v_cndmask_b32_e64 v83, v31, v32, s6
	v_add_co_u32 v27, s7, v22, v14
	s_delay_alu instid0(VALU_DEP_1)
	v_add_co_ci_u32_e64 v28, s7, v23, v15, s7
	s_clause 0x3
	flat_load_b64 v[14:15], v[16:17]
	flat_load_b64 v[16:17], v[18:19]
	;; [unrolled: 1-line block ×4, first 2 shown]
.LBB524_83:
	s_or_b32 exec_lo, exec_lo, s9
	v_and_b32_e32 v12, 0x60, v87
	v_min_u32_e32 v13, v26, v96
	s_mov_b32 s4, exec_lo
	; wave barrier
	s_delay_alu instid0(VALU_DEP_2)
	v_or_b32_e32 v10, 16, v12
	s_waitcnt vmcnt(2) lgkmcnt(2)
	s_clause 0x1
	flat_store_b128 v[4:5], v[14:17]
	flat_store_b128 v[8:9], v[80:83]
	s_waitcnt vmcnt(0) lgkmcnt(2)
	flat_store_b128 v[4:5], v[18:21] offset:16
	; wave barrier
	v_min_u32_e32 v10, v26, v10
	s_delay_alu instid0(VALU_DEP_1) | instskip(NEXT) | instid1(VALU_DEP_1)
	v_add_nc_u32_e32 v11, 16, v10
	v_min_u32_e32 v11, v26, v11
	v_sub_nc_u32_e32 v26, v10, v12
	s_delay_alu instid0(VALU_DEP_2) | instskip(NEXT) | instid1(VALU_DEP_2)
	v_sub_nc_u32_e32 v28, v11, v10
	v_min_u32_e32 v27, v13, v26
	s_delay_alu instid0(VALU_DEP_2) | instskip(NEXT) | instid1(VALU_DEP_1)
	v_sub_nc_u32_e64 v26, v13, v28 clamp
	v_cmpx_lt_u32_e64 v26, v27
	s_cbranch_execz .LBB524_87
; %bb.84:
	v_lshlrev_b32_e32 v4, 2, v12
	v_lshlrev_b32_e32 v5, 2, v10
	s_mov_b32 s5, 0
	s_delay_alu instid0(VALU_DEP_2) | instskip(NEXT) | instid1(VALU_DEP_1)
	v_add_co_u32 v8, s3, v24, v4
	v_add_co_ci_u32_e64 v9, s3, 0, v25, s3
	s_delay_alu instid0(VALU_DEP_3)
	v_add_co_u32 v28, s3, v24, v5
	v_mov_b32_e32 v5, 0
	v_add_co_ci_u32_e64 v29, s3, 0, v25, s3
	s_set_inst_prefetch_distance 0x1
	.p2align	6
.LBB524_85:                             ; =>This Inner Loop Header: Depth=1
	v_add_nc_u32_e32 v4, v27, v26
	s_delay_alu instid0(VALU_DEP_3) | instskip(NEXT) | instid1(VALU_DEP_2)
	v_mov_b32_e32 v32, v5
	v_lshrrev_b32_e32 v4, 1, v4
	s_delay_alu instid0(VALU_DEP_1) | instskip(SKIP_1) | instid1(VALU_DEP_2)
	v_xad_u32 v31, v4, -1, v13
	v_lshlrev_b64 v[33:34], 2, v[4:5]
	v_lshlrev_b64 v[31:32], 2, v[31:32]
	s_delay_alu instid0(VALU_DEP_2) | instskip(NEXT) | instid1(VALU_DEP_1)
	v_add_co_u32 v33, s3, v8, v33
	v_add_co_ci_u32_e64 v34, s3, v9, v34, s3
	s_delay_alu instid0(VALU_DEP_3) | instskip(NEXT) | instid1(VALU_DEP_1)
	v_add_co_u32 v31, s3, v28, v31
	v_add_co_ci_u32_e64 v32, s3, v29, v32, s3
	s_clause 0x1
	flat_load_b32 v33, v[33:34]
	flat_load_b32 v31, v[31:32]
	v_add_nc_u32_e32 v32, 1, v4
	s_waitcnt vmcnt(0) lgkmcnt(0)
	v_cmp_gt_i32_e64 s3, v31, v33
	s_delay_alu instid0(VALU_DEP_1) | instskip(NEXT) | instid1(VALU_DEP_3)
	v_cndmask_b32_e64 v27, v27, v4, s3
	v_cndmask_b32_e64 v26, v32, v26, s3
	s_delay_alu instid0(VALU_DEP_1) | instskip(NEXT) | instid1(VALU_DEP_1)
	v_cmp_ge_u32_e64 s3, v26, v27
	s_or_b32 s5, s3, s5
	s_delay_alu instid0(SALU_CYCLE_1)
	s_and_not1_b32 exec_lo, exec_lo, s5
	s_cbranch_execnz .LBB524_85
; %bb.86:
	s_set_inst_prefetch_distance 0x2
	s_or_b32 exec_lo, exec_lo, s5
.LBB524_87:
	s_delay_alu instid0(SALU_CYCLE_1) | instskip(SKIP_2) | instid1(VALU_DEP_2)
	s_or_b32 exec_lo, exec_lo, s4
	v_add_nc_u32_e32 v4, v10, v13
	v_add_nc_u32_e32 v8, v26, v12
	v_sub_nc_u32_e32 v4, v4, v26
	s_delay_alu instid0(VALU_DEP_2) | instskip(NEXT) | instid1(VALU_DEP_2)
	v_cmp_le_u32_e64 s3, v8, v10
	v_cmp_le_u32_e64 s4, v4, v11
	s_delay_alu instid0(VALU_DEP_1) | instskip(NEXT) | instid1(SALU_CYCLE_1)
	s_or_b32 s3, s3, s4
	s_and_saveexec_b32 s9, s3
	s_cbranch_execz .LBB524_93
; %bb.88:
	v_cmp_lt_u32_e64 s3, v8, v10
                                        ; implicit-def: $vgpr9
	s_delay_alu instid0(VALU_DEP_1)
	s_and_saveexec_b32 s5, s3
	s_cbranch_execz .LBB524_90
; %bb.89:
	v_mov_b32_e32 v9, 0
	s_delay_alu instid0(VALU_DEP_1) | instskip(NEXT) | instid1(VALU_DEP_1)
	v_lshlrev_b64 v[12:13], 2, v[8:9]
	v_add_co_u32 v12, s4, v24, v12
	s_delay_alu instid0(VALU_DEP_1)
	v_add_co_ci_u32_e64 v13, s4, v25, v13, s4
	flat_load_b32 v9, v[12:13]
.LBB524_90:
	s_or_b32 exec_lo, exec_lo, s5
	v_cmp_ge_u32_e64 s4, v4, v11
	s_mov_b32 s6, exec_lo
                                        ; implicit-def: $vgpr5
	v_cmpx_lt_u32_e64 v4, v11
	s_cbranch_execz .LBB524_92
; %bb.91:
	v_mov_b32_e32 v5, 0
	s_delay_alu instid0(VALU_DEP_1) | instskip(NEXT) | instid1(VALU_DEP_1)
	v_lshlrev_b64 v[12:13], 2, v[4:5]
	v_add_co_u32 v12, s5, v24, v12
	s_delay_alu instid0(VALU_DEP_1)
	v_add_co_ci_u32_e64 v13, s5, v25, v13, s5
	flat_load_b32 v5, v[12:13]
.LBB524_92:
	s_or_b32 exec_lo, exec_lo, s6
	s_waitcnt vmcnt(0) lgkmcnt(0)
	v_cmp_le_i32_e64 s5, v5, v9
	s_delay_alu instid0(VALU_DEP_1) | instskip(NEXT) | instid1(SALU_CYCLE_1)
	s_and_b32 s3, s3, s5
	s_or_b32 s3, s4, s3
	s_delay_alu instid0(SALU_CYCLE_1) | instskip(SKIP_3) | instid1(VALU_DEP_4)
	v_cndmask_b32_e64 v12, v4, v8, s3
	v_cndmask_b32_e64 v14, v11, v10, s3
	v_mov_b32_e32 v13, 0
	v_cndmask_b32_e64 v80, v5, v9, s3
	v_add_nc_u32_e32 v18, 1, v12
	s_delay_alu instid0(VALU_DEP_4) | instskip(NEXT) | instid1(VALU_DEP_4)
	v_add_nc_u32_e32 v16, -1, v14
	v_lshlrev_b64 v[14:15], 3, v[12:13]
	s_delay_alu instid0(VALU_DEP_3) | instskip(NEXT) | instid1(VALU_DEP_3)
	v_cndmask_b32_e64 v8, v8, v18, s3
	v_min_u32_e32 v12, v18, v16
	v_cndmask_b32_e64 v4, v18, v4, s3
	s_delay_alu instid0(VALU_DEP_2) | instskip(NEXT) | instid1(VALU_DEP_2)
	v_lshlrev_b64 v[16:17], 2, v[12:13]
	v_cmp_ge_u32_e64 s6, v4, v11
	s_delay_alu instid0(VALU_DEP_2) | instskip(NEXT) | instid1(VALU_DEP_1)
	v_add_co_u32 v16, s4, v24, v16
	v_add_co_ci_u32_e64 v17, s4, v25, v17, s4
	v_cmp_lt_u32_e64 s4, v8, v10
	flat_load_b32 v12, v[16:17]
	s_waitcnt vmcnt(0) lgkmcnt(0)
	v_cndmask_b32_e64 v26, v12, v5, s3
	v_cndmask_b32_e64 v27, v9, v12, s3
	s_delay_alu instid0(VALU_DEP_1) | instskip(NEXT) | instid1(VALU_DEP_1)
	v_cmp_le_i32_e64 s5, v26, v27
	s_and_b32 s4, s4, s5
	s_delay_alu instid0(SALU_CYCLE_1) | instskip(NEXT) | instid1(SALU_CYCLE_1)
	s_or_b32 s4, s6, s4
	v_cndmask_b32_e64 v12, v4, v8, s4
	v_cndmask_b32_e64 v16, v11, v10, s4
	;; [unrolled: 1-line block ×3, first 2 shown]
	s_delay_alu instid0(VALU_DEP_3) | instskip(NEXT) | instid1(VALU_DEP_3)
	v_add_nc_u32_e32 v20, 1, v12
	v_add_nc_u32_e32 v18, -1, v16
	v_lshlrev_b64 v[16:17], 3, v[12:13]
	s_delay_alu instid0(VALU_DEP_3) | instskip(NEXT) | instid1(VALU_DEP_3)
	v_cndmask_b32_e64 v8, v8, v20, s4
	v_min_u32_e32 v12, v20, v18
	v_cndmask_b32_e64 v4, v20, v4, s4
	s_delay_alu instid0(VALU_DEP_2) | instskip(NEXT) | instid1(VALU_DEP_2)
	v_lshlrev_b64 v[18:19], 2, v[12:13]
	v_cmp_ge_u32_e64 s7, v4, v11
	s_delay_alu instid0(VALU_DEP_2) | instskip(NEXT) | instid1(VALU_DEP_1)
	v_add_co_u32 v18, s5, v24, v18
	v_add_co_ci_u32_e64 v19, s5, v25, v19, s5
	v_cmp_lt_u32_e64 s5, v8, v10
	flat_load_b32 v12, v[18:19]
	s_waitcnt vmcnt(0) lgkmcnt(0)
	v_cndmask_b32_e64 v28, v12, v26, s4
	v_cndmask_b32_e64 v29, v27, v12, s4
	s_delay_alu instid0(VALU_DEP_1) | instskip(NEXT) | instid1(VALU_DEP_1)
	v_cmp_le_i32_e64 s6, v28, v29
	s_and_b32 s5, s5, s6
	s_delay_alu instid0(SALU_CYCLE_1) | instskip(NEXT) | instid1(SALU_CYCLE_1)
	s_or_b32 s5, s7, s5
	v_cndmask_b32_e64 v12, v4, v8, s5
	v_cndmask_b32_e64 v18, v11, v10, s5
	;; [unrolled: 1-line block ×3, first 2 shown]
	s_delay_alu instid0(VALU_DEP_3) | instskip(NEXT) | instid1(VALU_DEP_3)
	v_add_nc_u32_e32 v31, 1, v12
	v_add_nc_u32_e32 v20, -1, v18
	v_lshlrev_b64 v[18:19], 3, v[12:13]
	s_delay_alu instid0(VALU_DEP_3) | instskip(NEXT) | instid1(VALU_DEP_3)
	v_cndmask_b32_e64 v8, v8, v31, s5
	v_min_u32_e32 v12, v31, v20
	v_cndmask_b32_e64 v4, v31, v4, s5
	s_delay_alu instid0(VALU_DEP_2) | instskip(NEXT) | instid1(VALU_DEP_2)
	v_lshlrev_b64 v[20:21], 2, v[12:13]
	v_cmp_ge_u32_e64 s8, v4, v11
	s_delay_alu instid0(VALU_DEP_2) | instskip(NEXT) | instid1(VALU_DEP_1)
	v_add_co_u32 v20, s6, v24, v20
	v_add_co_ci_u32_e64 v21, s6, v25, v21, s6
	v_cmp_lt_u32_e64 s6, v8, v10
	flat_load_b32 v12, v[20:21]
	s_waitcnt vmcnt(0) lgkmcnt(0)
	v_cndmask_b32_e64 v24, v12, v28, s5
	v_cndmask_b32_e64 v25, v29, v12, s5
	s_delay_alu instid0(VALU_DEP_1) | instskip(NEXT) | instid1(VALU_DEP_1)
	v_cmp_le_i32_e64 s7, v24, v25
	s_and_b32 s7, s6, s7
	v_add_co_u32 v10, s6, v22, v14
	s_delay_alu instid0(VALU_DEP_1)
	v_add_co_ci_u32_e64 v11, s6, v23, v15, s6
	s_or_b32 s6, s8, s7
	v_add_co_u32 v16, s7, v22, v16
	v_cndmask_b32_e64 v12, v4, v8, s6
	v_add_co_ci_u32_e64 v17, s7, v23, v17, s7
	v_add_co_u32 v18, s7, v22, v18
	s_delay_alu instid0(VALU_DEP_3) | instskip(SKIP_2) | instid1(VALU_DEP_3)
	v_lshlrev_b64 v[12:13], 3, v[12:13]
	v_add_co_ci_u32_e64 v19, s7, v23, v19, s7
	v_cndmask_b32_e64 v83, v24, v25, s6
	v_add_co_u32 v12, s7, v22, v12
	s_delay_alu instid0(VALU_DEP_1)
	v_add_co_ci_u32_e64 v13, s7, v23, v13, s7
	s_clause 0x3
	flat_load_b64 v[14:15], v[10:11]
	flat_load_b64 v[16:17], v[16:17]
	;; [unrolled: 1-line block ×4, first 2 shown]
.LBB524_93:
	s_or_b32 exec_lo, exec_lo, s9
	; wave barrier
	s_waitcnt vmcnt(0) lgkmcnt(0)
	s_waitcnt_vscnt null, 0x0
	s_barrier
.LBB524_94:
	s_or_b32 exec_lo, exec_lo, s10
	v_add_co_u32 v2, s3, v2, v84
	s_delay_alu instid0(VALU_DEP_1) | instskip(SKIP_4) | instid1(VALU_DEP_1)
	v_add_co_ci_u32_e64 v3, s3, v3, v85, s3
	s_waitcnt vmcnt(0) lgkmcnt(0)
	s_waitcnt_vscnt null, 0x0
	buffer_gl0_inv
	v_add_co_u32 v2, s3, v2, v30
	v_add_co_ci_u32_e64 v3, s3, 0, v3, s3
	; wave barrier
	s_and_saveexec_b32 s3, vcc_lo
	s_cbranch_execz .LBB524_100
; %bb.95:
	flat_store_b32 v[2:3], v80
	s_or_b32 exec_lo, exec_lo, s3
	s_and_saveexec_b32 s3, s0
	s_cbranch_execnz .LBB524_101
.LBB524_96:
	s_or_b32 exec_lo, exec_lo, s3
	s_and_saveexec_b32 s3, s1
	s_cbranch_execz .LBB524_102
.LBB524_97:
	flat_store_b32 v[2:3], v82 offset:8
	s_or_b32 exec_lo, exec_lo, s3
	s_and_saveexec_b32 s3, s2
	s_cbranch_execnz .LBB524_103
	s_branch .LBB524_104
.LBB524_98:
	s_or_b32 exec_lo, exec_lo, s3
                                        ; implicit-def: $vgpr18_vgpr19
	s_and_saveexec_b32 s3, s1
	s_cbranch_execz .LBB524_12
.LBB524_99:
	flat_load_b64 v[36:37], v[4:5] offset:16
	s_waitcnt vmcnt(0) lgkmcnt(0)
	v_dual_mov_b32 v18, v36 :: v_dual_mov_b32 v19, v37
	s_or_b32 exec_lo, exec_lo, s3
	s_and_saveexec_b32 s3, s2
	s_cbranch_execnz .LBB524_13
	s_branch .LBB524_14
.LBB524_100:
	s_or_b32 exec_lo, exec_lo, s3
	s_and_saveexec_b32 s3, s0
	s_cbranch_execz .LBB524_96
.LBB524_101:
	flat_store_b32 v[2:3], v81 offset:4
	s_or_b32 exec_lo, exec_lo, s3
	s_and_saveexec_b32 s3, s1
	s_cbranch_execnz .LBB524_97
.LBB524_102:
	s_or_b32 exec_lo, exec_lo, s3
	s_and_saveexec_b32 s3, s2
	s_cbranch_execz .LBB524_104
.LBB524_103:
	flat_store_b32 v[2:3], v83 offset:12
.LBB524_104:
	s_or_b32 exec_lo, exec_lo, s3
	v_add_co_u32 v0, s3, v6, v0
	s_delay_alu instid0(VALU_DEP_1) | instskip(NEXT) | instid1(VALU_DEP_2)
	v_add_co_ci_u32_e64 v1, s3, v7, v1, s3
	v_add_co_u32 v0, s3, v0, v86
	s_delay_alu instid0(VALU_DEP_1)
	v_add_co_ci_u32_e64 v1, s3, 0, v1, s3
	; wave barrier
	s_and_saveexec_b32 s3, vcc_lo
	s_cbranch_execz .LBB524_109
; %bb.105:
	flat_store_b64 v[0:1], v[14:15]
	s_or_b32 exec_lo, exec_lo, s3
	s_and_saveexec_b32 s3, s0
	s_cbranch_execnz .LBB524_110
.LBB524_106:
	s_or_b32 exec_lo, exec_lo, s3
	s_and_saveexec_b32 s0, s1
	s_cbranch_execz .LBB524_111
.LBB524_107:
	flat_store_b64 v[0:1], v[18:19] offset:16
	s_or_b32 exec_lo, exec_lo, s0
	s_and_saveexec_b32 s0, s2
	s_cbranch_execnz .LBB524_112
.LBB524_108:
	s_or_b32 exec_lo, exec_lo, s0
	s_waitcnt lgkmcnt(0)
	s_setpc_b64 s[30:31]
.LBB524_109:
	s_or_b32 exec_lo, exec_lo, s3
	s_and_saveexec_b32 s3, s0
	s_cbranch_execz .LBB524_106
.LBB524_110:
	flat_store_b64 v[0:1], v[16:17] offset:8
	s_or_b32 exec_lo, exec_lo, s3
	s_and_saveexec_b32 s0, s1
	s_cbranch_execnz .LBB524_107
.LBB524_111:
	s_or_b32 exec_lo, exec_lo, s0
	s_and_saveexec_b32 s0, s2
	s_cbranch_execz .LBB524_108
.LBB524_112:
	flat_store_b64 v[0:1], v[20:21] offset:24
	s_or_b32 exec_lo, exec_lo, s0
	s_waitcnt lgkmcnt(0)
	s_setpc_b64 s[30:31]
.Lfunc_end524:
	.size	_ZN7rocprim17ROCPRIM_400000_NS6detail26segmented_warp_sort_helperINS1_20WarpSortHelperConfigILj8ELj4ELj256EEEilLi256ELb1EvE4sortIPKiPiPKlPlEEvT_T0_T1_T2_jjjjRNS5_12storage_typeE, .Lfunc_end524-_ZN7rocprim17ROCPRIM_400000_NS6detail26segmented_warp_sort_helperINS1_20WarpSortHelperConfigILj8ELj4ELj256EEEilLi256ELb1EvE4sortIPKiPiPKlPlEEvT_T0_T1_T2_jjjjRNS5_12storage_typeE
                                        ; -- End function
	.section	.AMDGPU.csdata,"",@progbits
; Function info:
; codeLenInByte = 9652
; NumSgprs: 34
; NumVgprs: 97
; ScratchSize: 0
; MemoryBound: 1
	.section	.text._ZN7rocprim17ROCPRIM_400000_NS6detail17trampoline_kernelINS0_14default_configENS1_36segmented_radix_sort_config_selectorIilEEZNS1_25segmented_radix_sort_implIS3_Lb1EPKiPiPKlPlN2at6native12_GLOBAL__N_18offset_tEEE10hipError_tPvRmT1_PNSt15iterator_traitsISK_E10value_typeET2_T3_PNSL_ISQ_E10value_typeET4_jRbjT5_SW_jjP12ihipStream_tbEUlT_E1_NS1_11comp_targetILNS1_3genE9ELNS1_11target_archE1100ELNS1_3gpuE3ELNS1_3repE0EEENS1_59segmented_radix_sort_warp_sort_small_config_static_selectorELNS0_4arch9wavefront6targetE0EEEvSK_,"axG",@progbits,_ZN7rocprim17ROCPRIM_400000_NS6detail17trampoline_kernelINS0_14default_configENS1_36segmented_radix_sort_config_selectorIilEEZNS1_25segmented_radix_sort_implIS3_Lb1EPKiPiPKlPlN2at6native12_GLOBAL__N_18offset_tEEE10hipError_tPvRmT1_PNSt15iterator_traitsISK_E10value_typeET2_T3_PNSL_ISQ_E10value_typeET4_jRbjT5_SW_jjP12ihipStream_tbEUlT_E1_NS1_11comp_targetILNS1_3genE9ELNS1_11target_archE1100ELNS1_3gpuE3ELNS1_3repE0EEENS1_59segmented_radix_sort_warp_sort_small_config_static_selectorELNS0_4arch9wavefront6targetE0EEEvSK_,comdat
	.globl	_ZN7rocprim17ROCPRIM_400000_NS6detail17trampoline_kernelINS0_14default_configENS1_36segmented_radix_sort_config_selectorIilEEZNS1_25segmented_radix_sort_implIS3_Lb1EPKiPiPKlPlN2at6native12_GLOBAL__N_18offset_tEEE10hipError_tPvRmT1_PNSt15iterator_traitsISK_E10value_typeET2_T3_PNSL_ISQ_E10value_typeET4_jRbjT5_SW_jjP12ihipStream_tbEUlT_E1_NS1_11comp_targetILNS1_3genE9ELNS1_11target_archE1100ELNS1_3gpuE3ELNS1_3repE0EEENS1_59segmented_radix_sort_warp_sort_small_config_static_selectorELNS0_4arch9wavefront6targetE0EEEvSK_ ; -- Begin function _ZN7rocprim17ROCPRIM_400000_NS6detail17trampoline_kernelINS0_14default_configENS1_36segmented_radix_sort_config_selectorIilEEZNS1_25segmented_radix_sort_implIS3_Lb1EPKiPiPKlPlN2at6native12_GLOBAL__N_18offset_tEEE10hipError_tPvRmT1_PNSt15iterator_traitsISK_E10value_typeET2_T3_PNSL_ISQ_E10value_typeET4_jRbjT5_SW_jjP12ihipStream_tbEUlT_E1_NS1_11comp_targetILNS1_3genE9ELNS1_11target_archE1100ELNS1_3gpuE3ELNS1_3repE0EEENS1_59segmented_radix_sort_warp_sort_small_config_static_selectorELNS0_4arch9wavefront6targetE0EEEvSK_
	.p2align	8
	.type	_ZN7rocprim17ROCPRIM_400000_NS6detail17trampoline_kernelINS0_14default_configENS1_36segmented_radix_sort_config_selectorIilEEZNS1_25segmented_radix_sort_implIS3_Lb1EPKiPiPKlPlN2at6native12_GLOBAL__N_18offset_tEEE10hipError_tPvRmT1_PNSt15iterator_traitsISK_E10value_typeET2_T3_PNSL_ISQ_E10value_typeET4_jRbjT5_SW_jjP12ihipStream_tbEUlT_E1_NS1_11comp_targetILNS1_3genE9ELNS1_11target_archE1100ELNS1_3gpuE3ELNS1_3repE0EEENS1_59segmented_radix_sort_warp_sort_small_config_static_selectorELNS0_4arch9wavefront6targetE0EEEvSK_,@function
_ZN7rocprim17ROCPRIM_400000_NS6detail17trampoline_kernelINS0_14default_configENS1_36segmented_radix_sort_config_selectorIilEEZNS1_25segmented_radix_sort_implIS3_Lb1EPKiPiPKlPlN2at6native12_GLOBAL__N_18offset_tEEE10hipError_tPvRmT1_PNSt15iterator_traitsISK_E10value_typeET2_T3_PNSL_ISQ_E10value_typeET4_jRbjT5_SW_jjP12ihipStream_tbEUlT_E1_NS1_11comp_targetILNS1_3genE9ELNS1_11target_archE1100ELNS1_3gpuE3ELNS1_3repE0EEENS1_59segmented_radix_sort_warp_sort_small_config_static_selectorELNS0_4arch9wavefront6targetE0EEEvSK_: ; @_ZN7rocprim17ROCPRIM_400000_NS6detail17trampoline_kernelINS0_14default_configENS1_36segmented_radix_sort_config_selectorIilEEZNS1_25segmented_radix_sort_implIS3_Lb1EPKiPiPKlPlN2at6native12_GLOBAL__N_18offset_tEEE10hipError_tPvRmT1_PNSt15iterator_traitsISK_E10value_typeET2_T3_PNSL_ISQ_E10value_typeET4_jRbjT5_SW_jjP12ihipStream_tbEUlT_E1_NS1_11comp_targetILNS1_3genE9ELNS1_11target_archE1100ELNS1_3gpuE3ELNS1_3repE0EEENS1_59segmented_radix_sort_warp_sort_small_config_static_selectorELNS0_4arch9wavefront6targetE0EEEvSK_
; %bb.0:
	s_load_b32 s2, s[0:1], 0x64
	v_bfe_u32 v1, v0, 10, 10
	v_bfe_u32 v2, v0, 20, 10
	s_mov_b32 s12, s14
	s_mov_b32 s32, 0
	s_waitcnt lgkmcnt(0)
	s_lshr_b32 s3, s2, 16
	s_and_b32 s2, s2, 0xffff
	v_mad_u32_u24 v4, v2, s3, v1
	v_and_b32_e32 v1, 0x3ff, v0
	s_load_b32 s3, s[0:1], 0x34
	s_delay_alu instid0(VALU_DEP_1) | instskip(SKIP_1) | instid1(VALU_DEP_1)
	v_mad_u64_u32 v[2:3], null, v4, s2, v[1:2]
	s_mov_b32 s2, exec_lo
	v_lshrrev_b32_e32 v1, 3, v2
	s_delay_alu instid0(VALU_DEP_1) | instskip(SKIP_1) | instid1(VALU_DEP_1)
	v_lshl_add_u32 v1, s12, 5, v1
	s_waitcnt lgkmcnt(0)
	v_cmpx_gt_u32_e64 s3, v1
	s_cbranch_execz .LBB525_6
; %bb.1:
	s_clause 0x1
	s_load_b64 s[2:3], s[0:1], 0x38
	s_load_b128 s[4:7], s[0:1], 0x40
	v_mov_b32_e32 v2, 0
	s_delay_alu instid0(VALU_DEP_1) | instskip(SKIP_1) | instid1(VALU_DEP_1)
	v_lshlrev_b64 v[1:2], 2, v[1:2]
	s_waitcnt lgkmcnt(0)
	v_sub_co_u32 v1, vcc_lo, s2, v1
	s_delay_alu instid0(VALU_DEP_2) | instskip(SKIP_4) | instid1(VALU_DEP_2)
	v_sub_co_ci_u32_e32 v2, vcc_lo, s3, v2, vcc_lo
	global_load_b32 v1, v[1:2], off offset:-4
	s_waitcnt vmcnt(0)
	v_add_nc_u32_e32 v2, s5, v1
	v_add_nc_u32_e32 v1, s7, v1
	v_mul_lo_u32 v40, v2, s4
	s_delay_alu instid0(VALU_DEP_2) | instskip(NEXT) | instid1(VALU_DEP_1)
	v_mul_lo_u32 v41, v1, s6
	v_cmp_gt_u32_e32 vcc_lo, v41, v40
	s_and_b32 exec_lo, exec_lo, vcc_lo
	s_cbranch_execz .LBB525_6
; %bb.2:
	s_clause 0x3
	s_load_b32 s2, s[0:1], 0x30
	s_load_b128 s[24:27], s[0:1], 0x20
	s_load_b256 s[16:23], s[0:1], 0x0
	s_load_b64 s[28:29], s[0:1], 0x50
	s_waitcnt lgkmcnt(0)
	s_bitcmp0_b32 s2, 0
	s_mov_b32 s2, -1
	s_cbranch_scc0 .LBB525_4
; %bb.3:
	s_mov_b64 s[2:3], src_shared_base
	v_mov_b32_e32 v31, v0
	v_dual_mov_b32 v42, v0 :: v_dual_mov_b32 v1, s17
	v_mov_b32_e32 v0, s16
	v_dual_mov_b32 v2, s18 :: v_dual_mov_b32 v3, s19
	v_dual_mov_b32 v4, s22 :: v_dual_mov_b32 v5, s23
	;; [unrolled: 1-line block ×6, first 2 shown]
	s_add_u32 s8, s0, 0x58
	s_addc_u32 s9, s1, 0
	s_mov_b32 s13, s15
	s_getpc_b64 s[4:5]
	s_add_u32 s4, s4, _ZN7rocprim17ROCPRIM_400000_NS6detail26segmented_warp_sort_helperINS1_20WarpSortHelperConfigILj8ELj4ELj256EEEilLi256ELb1EvE4sortIPKiPiPKlPlEEvT_T0_T1_T2_jjjjRNS5_12storage_typeE@rel32@lo+4
	s_addc_u32 s5, s5, _ZN7rocprim17ROCPRIM_400000_NS6detail26segmented_warp_sort_helperINS1_20WarpSortHelperConfigILj8ELj4ELj256EEEilLi256ELb1EvE4sortIPKiPiPKlPlEEvT_T0_T1_T2_jjjjRNS5_12storage_typeE@rel32@hi+12
	s_mov_b64 s[18:19], s[0:1]
	s_swappc_b64 s[30:31], s[4:5]
	v_mov_b32_e32 v0, v42
	s_mov_b64 s[0:1], s[18:19]
	s_mov_b32 s2, 0
.LBB525_4:
	s_delay_alu instid0(SALU_CYCLE_1)
	s_and_not1_b32 vcc_lo, exec_lo, s2
	s_cbranch_vccnz .LBB525_6
; %bb.5:
	s_add_u32 s8, s0, 0x58
	s_addc_u32 s9, s1, 0
	s_mov_b64 s[0:1], src_shared_base
	v_dual_mov_b32 v31, v0 :: v_dual_mov_b32 v0, s16
	v_dual_mov_b32 v1, s17 :: v_dual_mov_b32 v2, s20
	v_dual_mov_b32 v3, s21 :: v_dual_mov_b32 v4, s22
	v_dual_mov_b32 v5, s23 :: v_dual_mov_b32 v6, s26
	v_dual_mov_b32 v7, s27 :: v_dual_mov_b32 v8, v40
	v_dual_mov_b32 v9, v41 :: v_dual_mov_b32 v10, s28
	v_dual_mov_b32 v11, s29 :: v_dual_mov_b32 v12, 0
	v_mov_b32_e32 v13, s1
	s_mov_b32 s13, s15
	s_getpc_b64 s[2:3]
	s_add_u32 s2, s2, _ZN7rocprim17ROCPRIM_400000_NS6detail26segmented_warp_sort_helperINS1_20WarpSortHelperConfigILj8ELj4ELj256EEEilLi256ELb1EvE4sortIPKiPiPKlPlEEvT_T0_T1_T2_jjjjRNS5_12storage_typeE@rel32@lo+4
	s_addc_u32 s3, s3, _ZN7rocprim17ROCPRIM_400000_NS6detail26segmented_warp_sort_helperINS1_20WarpSortHelperConfigILj8ELj4ELj256EEEilLi256ELb1EvE4sortIPKiPiPKlPlEEvT_T0_T1_T2_jjjjRNS5_12storage_typeE@rel32@hi+12
	s_delay_alu instid0(SALU_CYCLE_1)
	s_swappc_b64 s[30:31], s[2:3]
.LBB525_6:
	s_endpgm
	.section	.rodata,"a",@progbits
	.p2align	6, 0x0
	.amdhsa_kernel _ZN7rocprim17ROCPRIM_400000_NS6detail17trampoline_kernelINS0_14default_configENS1_36segmented_radix_sort_config_selectorIilEEZNS1_25segmented_radix_sort_implIS3_Lb1EPKiPiPKlPlN2at6native12_GLOBAL__N_18offset_tEEE10hipError_tPvRmT1_PNSt15iterator_traitsISK_E10value_typeET2_T3_PNSL_ISQ_E10value_typeET4_jRbjT5_SW_jjP12ihipStream_tbEUlT_E1_NS1_11comp_targetILNS1_3genE9ELNS1_11target_archE1100ELNS1_3gpuE3ELNS1_3repE0EEENS1_59segmented_radix_sort_warp_sort_small_config_static_selectorELNS0_4arch9wavefront6targetE0EEEvSK_
		.amdhsa_group_segment_fixed_size 12288
		.amdhsa_private_segment_fixed_size 0
		.amdhsa_kernarg_size 344
		.amdhsa_user_sgpr_count 14
		.amdhsa_user_sgpr_dispatch_ptr 0
		.amdhsa_user_sgpr_queue_ptr 0
		.amdhsa_user_sgpr_kernarg_segment_ptr 1
		.amdhsa_user_sgpr_dispatch_id 0
		.amdhsa_user_sgpr_private_segment_size 0
		.amdhsa_wavefront_size32 1
		.amdhsa_uses_dynamic_stack 0
		.amdhsa_enable_private_segment 0
		.amdhsa_system_sgpr_workgroup_id_x 1
		.amdhsa_system_sgpr_workgroup_id_y 1
		.amdhsa_system_sgpr_workgroup_id_z 0
		.amdhsa_system_sgpr_workgroup_info 0
		.amdhsa_system_vgpr_workitem_id 2
		.amdhsa_next_free_vgpr 97
		.amdhsa_next_free_sgpr 33
		.amdhsa_reserve_vcc 1
		.amdhsa_float_round_mode_32 0
		.amdhsa_float_round_mode_16_64 0
		.amdhsa_float_denorm_mode_32 3
		.amdhsa_float_denorm_mode_16_64 3
		.amdhsa_dx10_clamp 1
		.amdhsa_ieee_mode 1
		.amdhsa_fp16_overflow 0
		.amdhsa_workgroup_processor_mode 1
		.amdhsa_memory_ordered 1
		.amdhsa_forward_progress 0
		.amdhsa_shared_vgpr_count 0
		.amdhsa_exception_fp_ieee_invalid_op 0
		.amdhsa_exception_fp_denorm_src 0
		.amdhsa_exception_fp_ieee_div_zero 0
		.amdhsa_exception_fp_ieee_overflow 0
		.amdhsa_exception_fp_ieee_underflow 0
		.amdhsa_exception_fp_ieee_inexact 0
		.amdhsa_exception_int_div_zero 0
	.end_amdhsa_kernel
	.section	.text._ZN7rocprim17ROCPRIM_400000_NS6detail17trampoline_kernelINS0_14default_configENS1_36segmented_radix_sort_config_selectorIilEEZNS1_25segmented_radix_sort_implIS3_Lb1EPKiPiPKlPlN2at6native12_GLOBAL__N_18offset_tEEE10hipError_tPvRmT1_PNSt15iterator_traitsISK_E10value_typeET2_T3_PNSL_ISQ_E10value_typeET4_jRbjT5_SW_jjP12ihipStream_tbEUlT_E1_NS1_11comp_targetILNS1_3genE9ELNS1_11target_archE1100ELNS1_3gpuE3ELNS1_3repE0EEENS1_59segmented_radix_sort_warp_sort_small_config_static_selectorELNS0_4arch9wavefront6targetE0EEEvSK_,"axG",@progbits,_ZN7rocprim17ROCPRIM_400000_NS6detail17trampoline_kernelINS0_14default_configENS1_36segmented_radix_sort_config_selectorIilEEZNS1_25segmented_radix_sort_implIS3_Lb1EPKiPiPKlPlN2at6native12_GLOBAL__N_18offset_tEEE10hipError_tPvRmT1_PNSt15iterator_traitsISK_E10value_typeET2_T3_PNSL_ISQ_E10value_typeET4_jRbjT5_SW_jjP12ihipStream_tbEUlT_E1_NS1_11comp_targetILNS1_3genE9ELNS1_11target_archE1100ELNS1_3gpuE3ELNS1_3repE0EEENS1_59segmented_radix_sort_warp_sort_small_config_static_selectorELNS0_4arch9wavefront6targetE0EEEvSK_,comdat
.Lfunc_end525:
	.size	_ZN7rocprim17ROCPRIM_400000_NS6detail17trampoline_kernelINS0_14default_configENS1_36segmented_radix_sort_config_selectorIilEEZNS1_25segmented_radix_sort_implIS3_Lb1EPKiPiPKlPlN2at6native12_GLOBAL__N_18offset_tEEE10hipError_tPvRmT1_PNSt15iterator_traitsISK_E10value_typeET2_T3_PNSL_ISQ_E10value_typeET4_jRbjT5_SW_jjP12ihipStream_tbEUlT_E1_NS1_11comp_targetILNS1_3genE9ELNS1_11target_archE1100ELNS1_3gpuE3ELNS1_3repE0EEENS1_59segmented_radix_sort_warp_sort_small_config_static_selectorELNS0_4arch9wavefront6targetE0EEEvSK_, .Lfunc_end525-_ZN7rocprim17ROCPRIM_400000_NS6detail17trampoline_kernelINS0_14default_configENS1_36segmented_radix_sort_config_selectorIilEEZNS1_25segmented_radix_sort_implIS3_Lb1EPKiPiPKlPlN2at6native12_GLOBAL__N_18offset_tEEE10hipError_tPvRmT1_PNSt15iterator_traitsISK_E10value_typeET2_T3_PNSL_ISQ_E10value_typeET4_jRbjT5_SW_jjP12ihipStream_tbEUlT_E1_NS1_11comp_targetILNS1_3genE9ELNS1_11target_archE1100ELNS1_3gpuE3ELNS1_3repE0EEENS1_59segmented_radix_sort_warp_sort_small_config_static_selectorELNS0_4arch9wavefront6targetE0EEEvSK_
                                        ; -- End function
	.section	.AMDGPU.csdata,"",@progbits
; Kernel info:
; codeLenInByte = 528
; NumSgprs: 35
; NumVgprs: 97
; ScratchSize: 0
; MemoryBound: 0
; FloatMode: 240
; IeeeMode: 1
; LDSByteSize: 12288 bytes/workgroup (compile time only)
; SGPRBlocks: 4
; VGPRBlocks: 12
; NumSGPRsForWavesPerEU: 35
; NumVGPRsForWavesPerEU: 97
; Occupancy: 12
; WaveLimiterHint : 0
; COMPUTE_PGM_RSRC2:SCRATCH_EN: 0
; COMPUTE_PGM_RSRC2:USER_SGPR: 14
; COMPUTE_PGM_RSRC2:TRAP_HANDLER: 0
; COMPUTE_PGM_RSRC2:TGID_X_EN: 1
; COMPUTE_PGM_RSRC2:TGID_Y_EN: 1
; COMPUTE_PGM_RSRC2:TGID_Z_EN: 0
; COMPUTE_PGM_RSRC2:TIDIG_COMP_CNT: 2
	.section	.text._ZN7rocprim17ROCPRIM_400000_NS6detail17trampoline_kernelINS0_14default_configENS1_36segmented_radix_sort_config_selectorIilEEZNS1_25segmented_radix_sort_implIS3_Lb1EPKiPiPKlPlN2at6native12_GLOBAL__N_18offset_tEEE10hipError_tPvRmT1_PNSt15iterator_traitsISK_E10value_typeET2_T3_PNSL_ISQ_E10value_typeET4_jRbjT5_SW_jjP12ihipStream_tbEUlT_E1_NS1_11comp_targetILNS1_3genE8ELNS1_11target_archE1030ELNS1_3gpuE2ELNS1_3repE0EEENS1_59segmented_radix_sort_warp_sort_small_config_static_selectorELNS0_4arch9wavefront6targetE0EEEvSK_,"axG",@progbits,_ZN7rocprim17ROCPRIM_400000_NS6detail17trampoline_kernelINS0_14default_configENS1_36segmented_radix_sort_config_selectorIilEEZNS1_25segmented_radix_sort_implIS3_Lb1EPKiPiPKlPlN2at6native12_GLOBAL__N_18offset_tEEE10hipError_tPvRmT1_PNSt15iterator_traitsISK_E10value_typeET2_T3_PNSL_ISQ_E10value_typeET4_jRbjT5_SW_jjP12ihipStream_tbEUlT_E1_NS1_11comp_targetILNS1_3genE8ELNS1_11target_archE1030ELNS1_3gpuE2ELNS1_3repE0EEENS1_59segmented_radix_sort_warp_sort_small_config_static_selectorELNS0_4arch9wavefront6targetE0EEEvSK_,comdat
	.globl	_ZN7rocprim17ROCPRIM_400000_NS6detail17trampoline_kernelINS0_14default_configENS1_36segmented_radix_sort_config_selectorIilEEZNS1_25segmented_radix_sort_implIS3_Lb1EPKiPiPKlPlN2at6native12_GLOBAL__N_18offset_tEEE10hipError_tPvRmT1_PNSt15iterator_traitsISK_E10value_typeET2_T3_PNSL_ISQ_E10value_typeET4_jRbjT5_SW_jjP12ihipStream_tbEUlT_E1_NS1_11comp_targetILNS1_3genE8ELNS1_11target_archE1030ELNS1_3gpuE2ELNS1_3repE0EEENS1_59segmented_radix_sort_warp_sort_small_config_static_selectorELNS0_4arch9wavefront6targetE0EEEvSK_ ; -- Begin function _ZN7rocprim17ROCPRIM_400000_NS6detail17trampoline_kernelINS0_14default_configENS1_36segmented_radix_sort_config_selectorIilEEZNS1_25segmented_radix_sort_implIS3_Lb1EPKiPiPKlPlN2at6native12_GLOBAL__N_18offset_tEEE10hipError_tPvRmT1_PNSt15iterator_traitsISK_E10value_typeET2_T3_PNSL_ISQ_E10value_typeET4_jRbjT5_SW_jjP12ihipStream_tbEUlT_E1_NS1_11comp_targetILNS1_3genE8ELNS1_11target_archE1030ELNS1_3gpuE2ELNS1_3repE0EEENS1_59segmented_radix_sort_warp_sort_small_config_static_selectorELNS0_4arch9wavefront6targetE0EEEvSK_
	.p2align	8
	.type	_ZN7rocprim17ROCPRIM_400000_NS6detail17trampoline_kernelINS0_14default_configENS1_36segmented_radix_sort_config_selectorIilEEZNS1_25segmented_radix_sort_implIS3_Lb1EPKiPiPKlPlN2at6native12_GLOBAL__N_18offset_tEEE10hipError_tPvRmT1_PNSt15iterator_traitsISK_E10value_typeET2_T3_PNSL_ISQ_E10value_typeET4_jRbjT5_SW_jjP12ihipStream_tbEUlT_E1_NS1_11comp_targetILNS1_3genE8ELNS1_11target_archE1030ELNS1_3gpuE2ELNS1_3repE0EEENS1_59segmented_radix_sort_warp_sort_small_config_static_selectorELNS0_4arch9wavefront6targetE0EEEvSK_,@function
_ZN7rocprim17ROCPRIM_400000_NS6detail17trampoline_kernelINS0_14default_configENS1_36segmented_radix_sort_config_selectorIilEEZNS1_25segmented_radix_sort_implIS3_Lb1EPKiPiPKlPlN2at6native12_GLOBAL__N_18offset_tEEE10hipError_tPvRmT1_PNSt15iterator_traitsISK_E10value_typeET2_T3_PNSL_ISQ_E10value_typeET4_jRbjT5_SW_jjP12ihipStream_tbEUlT_E1_NS1_11comp_targetILNS1_3genE8ELNS1_11target_archE1030ELNS1_3gpuE2ELNS1_3repE0EEENS1_59segmented_radix_sort_warp_sort_small_config_static_selectorELNS0_4arch9wavefront6targetE0EEEvSK_: ; @_ZN7rocprim17ROCPRIM_400000_NS6detail17trampoline_kernelINS0_14default_configENS1_36segmented_radix_sort_config_selectorIilEEZNS1_25segmented_radix_sort_implIS3_Lb1EPKiPiPKlPlN2at6native12_GLOBAL__N_18offset_tEEE10hipError_tPvRmT1_PNSt15iterator_traitsISK_E10value_typeET2_T3_PNSL_ISQ_E10value_typeET4_jRbjT5_SW_jjP12ihipStream_tbEUlT_E1_NS1_11comp_targetILNS1_3genE8ELNS1_11target_archE1030ELNS1_3gpuE2ELNS1_3repE0EEENS1_59segmented_radix_sort_warp_sort_small_config_static_selectorELNS0_4arch9wavefront6targetE0EEEvSK_
; %bb.0:
	.section	.rodata,"a",@progbits
	.p2align	6, 0x0
	.amdhsa_kernel _ZN7rocprim17ROCPRIM_400000_NS6detail17trampoline_kernelINS0_14default_configENS1_36segmented_radix_sort_config_selectorIilEEZNS1_25segmented_radix_sort_implIS3_Lb1EPKiPiPKlPlN2at6native12_GLOBAL__N_18offset_tEEE10hipError_tPvRmT1_PNSt15iterator_traitsISK_E10value_typeET2_T3_PNSL_ISQ_E10value_typeET4_jRbjT5_SW_jjP12ihipStream_tbEUlT_E1_NS1_11comp_targetILNS1_3genE8ELNS1_11target_archE1030ELNS1_3gpuE2ELNS1_3repE0EEENS1_59segmented_radix_sort_warp_sort_small_config_static_selectorELNS0_4arch9wavefront6targetE0EEEvSK_
		.amdhsa_group_segment_fixed_size 0
		.amdhsa_private_segment_fixed_size 0
		.amdhsa_kernarg_size 88
		.amdhsa_user_sgpr_count 15
		.amdhsa_user_sgpr_dispatch_ptr 0
		.amdhsa_user_sgpr_queue_ptr 0
		.amdhsa_user_sgpr_kernarg_segment_ptr 1
		.amdhsa_user_sgpr_dispatch_id 0
		.amdhsa_user_sgpr_private_segment_size 0
		.amdhsa_wavefront_size32 1
		.amdhsa_uses_dynamic_stack 0
		.amdhsa_enable_private_segment 0
		.amdhsa_system_sgpr_workgroup_id_x 1
		.amdhsa_system_sgpr_workgroup_id_y 0
		.amdhsa_system_sgpr_workgroup_id_z 0
		.amdhsa_system_sgpr_workgroup_info 0
		.amdhsa_system_vgpr_workitem_id 0
		.amdhsa_next_free_vgpr 1
		.amdhsa_next_free_sgpr 1
		.amdhsa_reserve_vcc 0
		.amdhsa_float_round_mode_32 0
		.amdhsa_float_round_mode_16_64 0
		.amdhsa_float_denorm_mode_32 3
		.amdhsa_float_denorm_mode_16_64 3
		.amdhsa_dx10_clamp 1
		.amdhsa_ieee_mode 1
		.amdhsa_fp16_overflow 0
		.amdhsa_workgroup_processor_mode 1
		.amdhsa_memory_ordered 1
		.amdhsa_forward_progress 0
		.amdhsa_shared_vgpr_count 0
		.amdhsa_exception_fp_ieee_invalid_op 0
		.amdhsa_exception_fp_denorm_src 0
		.amdhsa_exception_fp_ieee_div_zero 0
		.amdhsa_exception_fp_ieee_overflow 0
		.amdhsa_exception_fp_ieee_underflow 0
		.amdhsa_exception_fp_ieee_inexact 0
		.amdhsa_exception_int_div_zero 0
	.end_amdhsa_kernel
	.section	.text._ZN7rocprim17ROCPRIM_400000_NS6detail17trampoline_kernelINS0_14default_configENS1_36segmented_radix_sort_config_selectorIilEEZNS1_25segmented_radix_sort_implIS3_Lb1EPKiPiPKlPlN2at6native12_GLOBAL__N_18offset_tEEE10hipError_tPvRmT1_PNSt15iterator_traitsISK_E10value_typeET2_T3_PNSL_ISQ_E10value_typeET4_jRbjT5_SW_jjP12ihipStream_tbEUlT_E1_NS1_11comp_targetILNS1_3genE8ELNS1_11target_archE1030ELNS1_3gpuE2ELNS1_3repE0EEENS1_59segmented_radix_sort_warp_sort_small_config_static_selectorELNS0_4arch9wavefront6targetE0EEEvSK_,"axG",@progbits,_ZN7rocprim17ROCPRIM_400000_NS6detail17trampoline_kernelINS0_14default_configENS1_36segmented_radix_sort_config_selectorIilEEZNS1_25segmented_radix_sort_implIS3_Lb1EPKiPiPKlPlN2at6native12_GLOBAL__N_18offset_tEEE10hipError_tPvRmT1_PNSt15iterator_traitsISK_E10value_typeET2_T3_PNSL_ISQ_E10value_typeET4_jRbjT5_SW_jjP12ihipStream_tbEUlT_E1_NS1_11comp_targetILNS1_3genE8ELNS1_11target_archE1030ELNS1_3gpuE2ELNS1_3repE0EEENS1_59segmented_radix_sort_warp_sort_small_config_static_selectorELNS0_4arch9wavefront6targetE0EEEvSK_,comdat
.Lfunc_end526:
	.size	_ZN7rocprim17ROCPRIM_400000_NS6detail17trampoline_kernelINS0_14default_configENS1_36segmented_radix_sort_config_selectorIilEEZNS1_25segmented_radix_sort_implIS3_Lb1EPKiPiPKlPlN2at6native12_GLOBAL__N_18offset_tEEE10hipError_tPvRmT1_PNSt15iterator_traitsISK_E10value_typeET2_T3_PNSL_ISQ_E10value_typeET4_jRbjT5_SW_jjP12ihipStream_tbEUlT_E1_NS1_11comp_targetILNS1_3genE8ELNS1_11target_archE1030ELNS1_3gpuE2ELNS1_3repE0EEENS1_59segmented_radix_sort_warp_sort_small_config_static_selectorELNS0_4arch9wavefront6targetE0EEEvSK_, .Lfunc_end526-_ZN7rocprim17ROCPRIM_400000_NS6detail17trampoline_kernelINS0_14default_configENS1_36segmented_radix_sort_config_selectorIilEEZNS1_25segmented_radix_sort_implIS3_Lb1EPKiPiPKlPlN2at6native12_GLOBAL__N_18offset_tEEE10hipError_tPvRmT1_PNSt15iterator_traitsISK_E10value_typeET2_T3_PNSL_ISQ_E10value_typeET4_jRbjT5_SW_jjP12ihipStream_tbEUlT_E1_NS1_11comp_targetILNS1_3genE8ELNS1_11target_archE1030ELNS1_3gpuE2ELNS1_3repE0EEENS1_59segmented_radix_sort_warp_sort_small_config_static_selectorELNS0_4arch9wavefront6targetE0EEEvSK_
                                        ; -- End function
	.section	.AMDGPU.csdata,"",@progbits
; Kernel info:
; codeLenInByte = 0
; NumSgprs: 0
; NumVgprs: 0
; ScratchSize: 0
; MemoryBound: 0
; FloatMode: 240
; IeeeMode: 1
; LDSByteSize: 0 bytes/workgroup (compile time only)
; SGPRBlocks: 0
; VGPRBlocks: 0
; NumSGPRsForWavesPerEU: 1
; NumVGPRsForWavesPerEU: 1
; Occupancy: 16
; WaveLimiterHint : 0
; COMPUTE_PGM_RSRC2:SCRATCH_EN: 0
; COMPUTE_PGM_RSRC2:USER_SGPR: 15
; COMPUTE_PGM_RSRC2:TRAP_HANDLER: 0
; COMPUTE_PGM_RSRC2:TGID_X_EN: 1
; COMPUTE_PGM_RSRC2:TGID_Y_EN: 0
; COMPUTE_PGM_RSRC2:TGID_Z_EN: 0
; COMPUTE_PGM_RSRC2:TIDIG_COMP_CNT: 0
	.section	.text._ZN7rocprim17ROCPRIM_400000_NS6detail17trampoline_kernelINS0_14default_configENS1_36segmented_radix_sort_config_selectorIilEEZNS1_25segmented_radix_sort_implIS3_Lb1EPKiPiPKlPlN2at6native12_GLOBAL__N_18offset_tEEE10hipError_tPvRmT1_PNSt15iterator_traitsISK_E10value_typeET2_T3_PNSL_ISQ_E10value_typeET4_jRbjT5_SW_jjP12ihipStream_tbEUlT_E2_NS1_11comp_targetILNS1_3genE0ELNS1_11target_archE4294967295ELNS1_3gpuE0ELNS1_3repE0EEENS1_30default_config_static_selectorELNS0_4arch9wavefront6targetE0EEEvSK_,"axG",@progbits,_ZN7rocprim17ROCPRIM_400000_NS6detail17trampoline_kernelINS0_14default_configENS1_36segmented_radix_sort_config_selectorIilEEZNS1_25segmented_radix_sort_implIS3_Lb1EPKiPiPKlPlN2at6native12_GLOBAL__N_18offset_tEEE10hipError_tPvRmT1_PNSt15iterator_traitsISK_E10value_typeET2_T3_PNSL_ISQ_E10value_typeET4_jRbjT5_SW_jjP12ihipStream_tbEUlT_E2_NS1_11comp_targetILNS1_3genE0ELNS1_11target_archE4294967295ELNS1_3gpuE0ELNS1_3repE0EEENS1_30default_config_static_selectorELNS0_4arch9wavefront6targetE0EEEvSK_,comdat
	.globl	_ZN7rocprim17ROCPRIM_400000_NS6detail17trampoline_kernelINS0_14default_configENS1_36segmented_radix_sort_config_selectorIilEEZNS1_25segmented_radix_sort_implIS3_Lb1EPKiPiPKlPlN2at6native12_GLOBAL__N_18offset_tEEE10hipError_tPvRmT1_PNSt15iterator_traitsISK_E10value_typeET2_T3_PNSL_ISQ_E10value_typeET4_jRbjT5_SW_jjP12ihipStream_tbEUlT_E2_NS1_11comp_targetILNS1_3genE0ELNS1_11target_archE4294967295ELNS1_3gpuE0ELNS1_3repE0EEENS1_30default_config_static_selectorELNS0_4arch9wavefront6targetE0EEEvSK_ ; -- Begin function _ZN7rocprim17ROCPRIM_400000_NS6detail17trampoline_kernelINS0_14default_configENS1_36segmented_radix_sort_config_selectorIilEEZNS1_25segmented_radix_sort_implIS3_Lb1EPKiPiPKlPlN2at6native12_GLOBAL__N_18offset_tEEE10hipError_tPvRmT1_PNSt15iterator_traitsISK_E10value_typeET2_T3_PNSL_ISQ_E10value_typeET4_jRbjT5_SW_jjP12ihipStream_tbEUlT_E2_NS1_11comp_targetILNS1_3genE0ELNS1_11target_archE4294967295ELNS1_3gpuE0ELNS1_3repE0EEENS1_30default_config_static_selectorELNS0_4arch9wavefront6targetE0EEEvSK_
	.p2align	8
	.type	_ZN7rocprim17ROCPRIM_400000_NS6detail17trampoline_kernelINS0_14default_configENS1_36segmented_radix_sort_config_selectorIilEEZNS1_25segmented_radix_sort_implIS3_Lb1EPKiPiPKlPlN2at6native12_GLOBAL__N_18offset_tEEE10hipError_tPvRmT1_PNSt15iterator_traitsISK_E10value_typeET2_T3_PNSL_ISQ_E10value_typeET4_jRbjT5_SW_jjP12ihipStream_tbEUlT_E2_NS1_11comp_targetILNS1_3genE0ELNS1_11target_archE4294967295ELNS1_3gpuE0ELNS1_3repE0EEENS1_30default_config_static_selectorELNS0_4arch9wavefront6targetE0EEEvSK_,@function
_ZN7rocprim17ROCPRIM_400000_NS6detail17trampoline_kernelINS0_14default_configENS1_36segmented_radix_sort_config_selectorIilEEZNS1_25segmented_radix_sort_implIS3_Lb1EPKiPiPKlPlN2at6native12_GLOBAL__N_18offset_tEEE10hipError_tPvRmT1_PNSt15iterator_traitsISK_E10value_typeET2_T3_PNSL_ISQ_E10value_typeET4_jRbjT5_SW_jjP12ihipStream_tbEUlT_E2_NS1_11comp_targetILNS1_3genE0ELNS1_11target_archE4294967295ELNS1_3gpuE0ELNS1_3repE0EEENS1_30default_config_static_selectorELNS0_4arch9wavefront6targetE0EEEvSK_: ; @_ZN7rocprim17ROCPRIM_400000_NS6detail17trampoline_kernelINS0_14default_configENS1_36segmented_radix_sort_config_selectorIilEEZNS1_25segmented_radix_sort_implIS3_Lb1EPKiPiPKlPlN2at6native12_GLOBAL__N_18offset_tEEE10hipError_tPvRmT1_PNSt15iterator_traitsISK_E10value_typeET2_T3_PNSL_ISQ_E10value_typeET4_jRbjT5_SW_jjP12ihipStream_tbEUlT_E2_NS1_11comp_targetILNS1_3genE0ELNS1_11target_archE4294967295ELNS1_3gpuE0ELNS1_3repE0EEENS1_30default_config_static_selectorELNS0_4arch9wavefront6targetE0EEEvSK_
; %bb.0:
	.section	.rodata,"a",@progbits
	.p2align	6, 0x0
	.amdhsa_kernel _ZN7rocprim17ROCPRIM_400000_NS6detail17trampoline_kernelINS0_14default_configENS1_36segmented_radix_sort_config_selectorIilEEZNS1_25segmented_radix_sort_implIS3_Lb1EPKiPiPKlPlN2at6native12_GLOBAL__N_18offset_tEEE10hipError_tPvRmT1_PNSt15iterator_traitsISK_E10value_typeET2_T3_PNSL_ISQ_E10value_typeET4_jRbjT5_SW_jjP12ihipStream_tbEUlT_E2_NS1_11comp_targetILNS1_3genE0ELNS1_11target_archE4294967295ELNS1_3gpuE0ELNS1_3repE0EEENS1_30default_config_static_selectorELNS0_4arch9wavefront6targetE0EEEvSK_
		.amdhsa_group_segment_fixed_size 0
		.amdhsa_private_segment_fixed_size 0
		.amdhsa_kernarg_size 80
		.amdhsa_user_sgpr_count 15
		.amdhsa_user_sgpr_dispatch_ptr 0
		.amdhsa_user_sgpr_queue_ptr 0
		.amdhsa_user_sgpr_kernarg_segment_ptr 1
		.amdhsa_user_sgpr_dispatch_id 0
		.amdhsa_user_sgpr_private_segment_size 0
		.amdhsa_wavefront_size32 1
		.amdhsa_uses_dynamic_stack 0
		.amdhsa_enable_private_segment 0
		.amdhsa_system_sgpr_workgroup_id_x 1
		.amdhsa_system_sgpr_workgroup_id_y 0
		.amdhsa_system_sgpr_workgroup_id_z 0
		.amdhsa_system_sgpr_workgroup_info 0
		.amdhsa_system_vgpr_workitem_id 0
		.amdhsa_next_free_vgpr 1
		.amdhsa_next_free_sgpr 1
		.amdhsa_reserve_vcc 0
		.amdhsa_float_round_mode_32 0
		.amdhsa_float_round_mode_16_64 0
		.amdhsa_float_denorm_mode_32 3
		.amdhsa_float_denorm_mode_16_64 3
		.amdhsa_dx10_clamp 1
		.amdhsa_ieee_mode 1
		.amdhsa_fp16_overflow 0
		.amdhsa_workgroup_processor_mode 1
		.amdhsa_memory_ordered 1
		.amdhsa_forward_progress 0
		.amdhsa_shared_vgpr_count 0
		.amdhsa_exception_fp_ieee_invalid_op 0
		.amdhsa_exception_fp_denorm_src 0
		.amdhsa_exception_fp_ieee_div_zero 0
		.amdhsa_exception_fp_ieee_overflow 0
		.amdhsa_exception_fp_ieee_underflow 0
		.amdhsa_exception_fp_ieee_inexact 0
		.amdhsa_exception_int_div_zero 0
	.end_amdhsa_kernel
	.section	.text._ZN7rocprim17ROCPRIM_400000_NS6detail17trampoline_kernelINS0_14default_configENS1_36segmented_radix_sort_config_selectorIilEEZNS1_25segmented_radix_sort_implIS3_Lb1EPKiPiPKlPlN2at6native12_GLOBAL__N_18offset_tEEE10hipError_tPvRmT1_PNSt15iterator_traitsISK_E10value_typeET2_T3_PNSL_ISQ_E10value_typeET4_jRbjT5_SW_jjP12ihipStream_tbEUlT_E2_NS1_11comp_targetILNS1_3genE0ELNS1_11target_archE4294967295ELNS1_3gpuE0ELNS1_3repE0EEENS1_30default_config_static_selectorELNS0_4arch9wavefront6targetE0EEEvSK_,"axG",@progbits,_ZN7rocprim17ROCPRIM_400000_NS6detail17trampoline_kernelINS0_14default_configENS1_36segmented_radix_sort_config_selectorIilEEZNS1_25segmented_radix_sort_implIS3_Lb1EPKiPiPKlPlN2at6native12_GLOBAL__N_18offset_tEEE10hipError_tPvRmT1_PNSt15iterator_traitsISK_E10value_typeET2_T3_PNSL_ISQ_E10value_typeET4_jRbjT5_SW_jjP12ihipStream_tbEUlT_E2_NS1_11comp_targetILNS1_3genE0ELNS1_11target_archE4294967295ELNS1_3gpuE0ELNS1_3repE0EEENS1_30default_config_static_selectorELNS0_4arch9wavefront6targetE0EEEvSK_,comdat
.Lfunc_end527:
	.size	_ZN7rocprim17ROCPRIM_400000_NS6detail17trampoline_kernelINS0_14default_configENS1_36segmented_radix_sort_config_selectorIilEEZNS1_25segmented_radix_sort_implIS3_Lb1EPKiPiPKlPlN2at6native12_GLOBAL__N_18offset_tEEE10hipError_tPvRmT1_PNSt15iterator_traitsISK_E10value_typeET2_T3_PNSL_ISQ_E10value_typeET4_jRbjT5_SW_jjP12ihipStream_tbEUlT_E2_NS1_11comp_targetILNS1_3genE0ELNS1_11target_archE4294967295ELNS1_3gpuE0ELNS1_3repE0EEENS1_30default_config_static_selectorELNS0_4arch9wavefront6targetE0EEEvSK_, .Lfunc_end527-_ZN7rocprim17ROCPRIM_400000_NS6detail17trampoline_kernelINS0_14default_configENS1_36segmented_radix_sort_config_selectorIilEEZNS1_25segmented_radix_sort_implIS3_Lb1EPKiPiPKlPlN2at6native12_GLOBAL__N_18offset_tEEE10hipError_tPvRmT1_PNSt15iterator_traitsISK_E10value_typeET2_T3_PNSL_ISQ_E10value_typeET4_jRbjT5_SW_jjP12ihipStream_tbEUlT_E2_NS1_11comp_targetILNS1_3genE0ELNS1_11target_archE4294967295ELNS1_3gpuE0ELNS1_3repE0EEENS1_30default_config_static_selectorELNS0_4arch9wavefront6targetE0EEEvSK_
                                        ; -- End function
	.section	.AMDGPU.csdata,"",@progbits
; Kernel info:
; codeLenInByte = 0
; NumSgprs: 0
; NumVgprs: 0
; ScratchSize: 0
; MemoryBound: 0
; FloatMode: 240
; IeeeMode: 1
; LDSByteSize: 0 bytes/workgroup (compile time only)
; SGPRBlocks: 0
; VGPRBlocks: 0
; NumSGPRsForWavesPerEU: 1
; NumVGPRsForWavesPerEU: 1
; Occupancy: 16
; WaveLimiterHint : 0
; COMPUTE_PGM_RSRC2:SCRATCH_EN: 0
; COMPUTE_PGM_RSRC2:USER_SGPR: 15
; COMPUTE_PGM_RSRC2:TRAP_HANDLER: 0
; COMPUTE_PGM_RSRC2:TGID_X_EN: 1
; COMPUTE_PGM_RSRC2:TGID_Y_EN: 0
; COMPUTE_PGM_RSRC2:TGID_Z_EN: 0
; COMPUTE_PGM_RSRC2:TIDIG_COMP_CNT: 0
	.section	.text._ZN7rocprim17ROCPRIM_400000_NS6detail17trampoline_kernelINS0_14default_configENS1_36segmented_radix_sort_config_selectorIilEEZNS1_25segmented_radix_sort_implIS3_Lb1EPKiPiPKlPlN2at6native12_GLOBAL__N_18offset_tEEE10hipError_tPvRmT1_PNSt15iterator_traitsISK_E10value_typeET2_T3_PNSL_ISQ_E10value_typeET4_jRbjT5_SW_jjP12ihipStream_tbEUlT_E2_NS1_11comp_targetILNS1_3genE5ELNS1_11target_archE942ELNS1_3gpuE9ELNS1_3repE0EEENS1_30default_config_static_selectorELNS0_4arch9wavefront6targetE0EEEvSK_,"axG",@progbits,_ZN7rocprim17ROCPRIM_400000_NS6detail17trampoline_kernelINS0_14default_configENS1_36segmented_radix_sort_config_selectorIilEEZNS1_25segmented_radix_sort_implIS3_Lb1EPKiPiPKlPlN2at6native12_GLOBAL__N_18offset_tEEE10hipError_tPvRmT1_PNSt15iterator_traitsISK_E10value_typeET2_T3_PNSL_ISQ_E10value_typeET4_jRbjT5_SW_jjP12ihipStream_tbEUlT_E2_NS1_11comp_targetILNS1_3genE5ELNS1_11target_archE942ELNS1_3gpuE9ELNS1_3repE0EEENS1_30default_config_static_selectorELNS0_4arch9wavefront6targetE0EEEvSK_,comdat
	.globl	_ZN7rocprim17ROCPRIM_400000_NS6detail17trampoline_kernelINS0_14default_configENS1_36segmented_radix_sort_config_selectorIilEEZNS1_25segmented_radix_sort_implIS3_Lb1EPKiPiPKlPlN2at6native12_GLOBAL__N_18offset_tEEE10hipError_tPvRmT1_PNSt15iterator_traitsISK_E10value_typeET2_T3_PNSL_ISQ_E10value_typeET4_jRbjT5_SW_jjP12ihipStream_tbEUlT_E2_NS1_11comp_targetILNS1_3genE5ELNS1_11target_archE942ELNS1_3gpuE9ELNS1_3repE0EEENS1_30default_config_static_selectorELNS0_4arch9wavefront6targetE0EEEvSK_ ; -- Begin function _ZN7rocprim17ROCPRIM_400000_NS6detail17trampoline_kernelINS0_14default_configENS1_36segmented_radix_sort_config_selectorIilEEZNS1_25segmented_radix_sort_implIS3_Lb1EPKiPiPKlPlN2at6native12_GLOBAL__N_18offset_tEEE10hipError_tPvRmT1_PNSt15iterator_traitsISK_E10value_typeET2_T3_PNSL_ISQ_E10value_typeET4_jRbjT5_SW_jjP12ihipStream_tbEUlT_E2_NS1_11comp_targetILNS1_3genE5ELNS1_11target_archE942ELNS1_3gpuE9ELNS1_3repE0EEENS1_30default_config_static_selectorELNS0_4arch9wavefront6targetE0EEEvSK_
	.p2align	8
	.type	_ZN7rocprim17ROCPRIM_400000_NS6detail17trampoline_kernelINS0_14default_configENS1_36segmented_radix_sort_config_selectorIilEEZNS1_25segmented_radix_sort_implIS3_Lb1EPKiPiPKlPlN2at6native12_GLOBAL__N_18offset_tEEE10hipError_tPvRmT1_PNSt15iterator_traitsISK_E10value_typeET2_T3_PNSL_ISQ_E10value_typeET4_jRbjT5_SW_jjP12ihipStream_tbEUlT_E2_NS1_11comp_targetILNS1_3genE5ELNS1_11target_archE942ELNS1_3gpuE9ELNS1_3repE0EEENS1_30default_config_static_selectorELNS0_4arch9wavefront6targetE0EEEvSK_,@function
_ZN7rocprim17ROCPRIM_400000_NS6detail17trampoline_kernelINS0_14default_configENS1_36segmented_radix_sort_config_selectorIilEEZNS1_25segmented_radix_sort_implIS3_Lb1EPKiPiPKlPlN2at6native12_GLOBAL__N_18offset_tEEE10hipError_tPvRmT1_PNSt15iterator_traitsISK_E10value_typeET2_T3_PNSL_ISQ_E10value_typeET4_jRbjT5_SW_jjP12ihipStream_tbEUlT_E2_NS1_11comp_targetILNS1_3genE5ELNS1_11target_archE942ELNS1_3gpuE9ELNS1_3repE0EEENS1_30default_config_static_selectorELNS0_4arch9wavefront6targetE0EEEvSK_: ; @_ZN7rocprim17ROCPRIM_400000_NS6detail17trampoline_kernelINS0_14default_configENS1_36segmented_radix_sort_config_selectorIilEEZNS1_25segmented_radix_sort_implIS3_Lb1EPKiPiPKlPlN2at6native12_GLOBAL__N_18offset_tEEE10hipError_tPvRmT1_PNSt15iterator_traitsISK_E10value_typeET2_T3_PNSL_ISQ_E10value_typeET4_jRbjT5_SW_jjP12ihipStream_tbEUlT_E2_NS1_11comp_targetILNS1_3genE5ELNS1_11target_archE942ELNS1_3gpuE9ELNS1_3repE0EEENS1_30default_config_static_selectorELNS0_4arch9wavefront6targetE0EEEvSK_
; %bb.0:
	.section	.rodata,"a",@progbits
	.p2align	6, 0x0
	.amdhsa_kernel _ZN7rocprim17ROCPRIM_400000_NS6detail17trampoline_kernelINS0_14default_configENS1_36segmented_radix_sort_config_selectorIilEEZNS1_25segmented_radix_sort_implIS3_Lb1EPKiPiPKlPlN2at6native12_GLOBAL__N_18offset_tEEE10hipError_tPvRmT1_PNSt15iterator_traitsISK_E10value_typeET2_T3_PNSL_ISQ_E10value_typeET4_jRbjT5_SW_jjP12ihipStream_tbEUlT_E2_NS1_11comp_targetILNS1_3genE5ELNS1_11target_archE942ELNS1_3gpuE9ELNS1_3repE0EEENS1_30default_config_static_selectorELNS0_4arch9wavefront6targetE0EEEvSK_
		.amdhsa_group_segment_fixed_size 0
		.amdhsa_private_segment_fixed_size 0
		.amdhsa_kernarg_size 80
		.amdhsa_user_sgpr_count 15
		.amdhsa_user_sgpr_dispatch_ptr 0
		.amdhsa_user_sgpr_queue_ptr 0
		.amdhsa_user_sgpr_kernarg_segment_ptr 1
		.amdhsa_user_sgpr_dispatch_id 0
		.amdhsa_user_sgpr_private_segment_size 0
		.amdhsa_wavefront_size32 1
		.amdhsa_uses_dynamic_stack 0
		.amdhsa_enable_private_segment 0
		.amdhsa_system_sgpr_workgroup_id_x 1
		.amdhsa_system_sgpr_workgroup_id_y 0
		.amdhsa_system_sgpr_workgroup_id_z 0
		.amdhsa_system_sgpr_workgroup_info 0
		.amdhsa_system_vgpr_workitem_id 0
		.amdhsa_next_free_vgpr 1
		.amdhsa_next_free_sgpr 1
		.amdhsa_reserve_vcc 0
		.amdhsa_float_round_mode_32 0
		.amdhsa_float_round_mode_16_64 0
		.amdhsa_float_denorm_mode_32 3
		.amdhsa_float_denorm_mode_16_64 3
		.amdhsa_dx10_clamp 1
		.amdhsa_ieee_mode 1
		.amdhsa_fp16_overflow 0
		.amdhsa_workgroup_processor_mode 1
		.amdhsa_memory_ordered 1
		.amdhsa_forward_progress 0
		.amdhsa_shared_vgpr_count 0
		.amdhsa_exception_fp_ieee_invalid_op 0
		.amdhsa_exception_fp_denorm_src 0
		.amdhsa_exception_fp_ieee_div_zero 0
		.amdhsa_exception_fp_ieee_overflow 0
		.amdhsa_exception_fp_ieee_underflow 0
		.amdhsa_exception_fp_ieee_inexact 0
		.amdhsa_exception_int_div_zero 0
	.end_amdhsa_kernel
	.section	.text._ZN7rocprim17ROCPRIM_400000_NS6detail17trampoline_kernelINS0_14default_configENS1_36segmented_radix_sort_config_selectorIilEEZNS1_25segmented_radix_sort_implIS3_Lb1EPKiPiPKlPlN2at6native12_GLOBAL__N_18offset_tEEE10hipError_tPvRmT1_PNSt15iterator_traitsISK_E10value_typeET2_T3_PNSL_ISQ_E10value_typeET4_jRbjT5_SW_jjP12ihipStream_tbEUlT_E2_NS1_11comp_targetILNS1_3genE5ELNS1_11target_archE942ELNS1_3gpuE9ELNS1_3repE0EEENS1_30default_config_static_selectorELNS0_4arch9wavefront6targetE0EEEvSK_,"axG",@progbits,_ZN7rocprim17ROCPRIM_400000_NS6detail17trampoline_kernelINS0_14default_configENS1_36segmented_radix_sort_config_selectorIilEEZNS1_25segmented_radix_sort_implIS3_Lb1EPKiPiPKlPlN2at6native12_GLOBAL__N_18offset_tEEE10hipError_tPvRmT1_PNSt15iterator_traitsISK_E10value_typeET2_T3_PNSL_ISQ_E10value_typeET4_jRbjT5_SW_jjP12ihipStream_tbEUlT_E2_NS1_11comp_targetILNS1_3genE5ELNS1_11target_archE942ELNS1_3gpuE9ELNS1_3repE0EEENS1_30default_config_static_selectorELNS0_4arch9wavefront6targetE0EEEvSK_,comdat
.Lfunc_end528:
	.size	_ZN7rocprim17ROCPRIM_400000_NS6detail17trampoline_kernelINS0_14default_configENS1_36segmented_radix_sort_config_selectorIilEEZNS1_25segmented_radix_sort_implIS3_Lb1EPKiPiPKlPlN2at6native12_GLOBAL__N_18offset_tEEE10hipError_tPvRmT1_PNSt15iterator_traitsISK_E10value_typeET2_T3_PNSL_ISQ_E10value_typeET4_jRbjT5_SW_jjP12ihipStream_tbEUlT_E2_NS1_11comp_targetILNS1_3genE5ELNS1_11target_archE942ELNS1_3gpuE9ELNS1_3repE0EEENS1_30default_config_static_selectorELNS0_4arch9wavefront6targetE0EEEvSK_, .Lfunc_end528-_ZN7rocprim17ROCPRIM_400000_NS6detail17trampoline_kernelINS0_14default_configENS1_36segmented_radix_sort_config_selectorIilEEZNS1_25segmented_radix_sort_implIS3_Lb1EPKiPiPKlPlN2at6native12_GLOBAL__N_18offset_tEEE10hipError_tPvRmT1_PNSt15iterator_traitsISK_E10value_typeET2_T3_PNSL_ISQ_E10value_typeET4_jRbjT5_SW_jjP12ihipStream_tbEUlT_E2_NS1_11comp_targetILNS1_3genE5ELNS1_11target_archE942ELNS1_3gpuE9ELNS1_3repE0EEENS1_30default_config_static_selectorELNS0_4arch9wavefront6targetE0EEEvSK_
                                        ; -- End function
	.section	.AMDGPU.csdata,"",@progbits
; Kernel info:
; codeLenInByte = 0
; NumSgprs: 0
; NumVgprs: 0
; ScratchSize: 0
; MemoryBound: 0
; FloatMode: 240
; IeeeMode: 1
; LDSByteSize: 0 bytes/workgroup (compile time only)
; SGPRBlocks: 0
; VGPRBlocks: 0
; NumSGPRsForWavesPerEU: 1
; NumVGPRsForWavesPerEU: 1
; Occupancy: 16
; WaveLimiterHint : 0
; COMPUTE_PGM_RSRC2:SCRATCH_EN: 0
; COMPUTE_PGM_RSRC2:USER_SGPR: 15
; COMPUTE_PGM_RSRC2:TRAP_HANDLER: 0
; COMPUTE_PGM_RSRC2:TGID_X_EN: 1
; COMPUTE_PGM_RSRC2:TGID_Y_EN: 0
; COMPUTE_PGM_RSRC2:TGID_Z_EN: 0
; COMPUTE_PGM_RSRC2:TIDIG_COMP_CNT: 0
	.section	.text._ZN7rocprim17ROCPRIM_400000_NS6detail17trampoline_kernelINS0_14default_configENS1_36segmented_radix_sort_config_selectorIilEEZNS1_25segmented_radix_sort_implIS3_Lb1EPKiPiPKlPlN2at6native12_GLOBAL__N_18offset_tEEE10hipError_tPvRmT1_PNSt15iterator_traitsISK_E10value_typeET2_T3_PNSL_ISQ_E10value_typeET4_jRbjT5_SW_jjP12ihipStream_tbEUlT_E2_NS1_11comp_targetILNS1_3genE4ELNS1_11target_archE910ELNS1_3gpuE8ELNS1_3repE0EEENS1_30default_config_static_selectorELNS0_4arch9wavefront6targetE0EEEvSK_,"axG",@progbits,_ZN7rocprim17ROCPRIM_400000_NS6detail17trampoline_kernelINS0_14default_configENS1_36segmented_radix_sort_config_selectorIilEEZNS1_25segmented_radix_sort_implIS3_Lb1EPKiPiPKlPlN2at6native12_GLOBAL__N_18offset_tEEE10hipError_tPvRmT1_PNSt15iterator_traitsISK_E10value_typeET2_T3_PNSL_ISQ_E10value_typeET4_jRbjT5_SW_jjP12ihipStream_tbEUlT_E2_NS1_11comp_targetILNS1_3genE4ELNS1_11target_archE910ELNS1_3gpuE8ELNS1_3repE0EEENS1_30default_config_static_selectorELNS0_4arch9wavefront6targetE0EEEvSK_,comdat
	.globl	_ZN7rocprim17ROCPRIM_400000_NS6detail17trampoline_kernelINS0_14default_configENS1_36segmented_radix_sort_config_selectorIilEEZNS1_25segmented_radix_sort_implIS3_Lb1EPKiPiPKlPlN2at6native12_GLOBAL__N_18offset_tEEE10hipError_tPvRmT1_PNSt15iterator_traitsISK_E10value_typeET2_T3_PNSL_ISQ_E10value_typeET4_jRbjT5_SW_jjP12ihipStream_tbEUlT_E2_NS1_11comp_targetILNS1_3genE4ELNS1_11target_archE910ELNS1_3gpuE8ELNS1_3repE0EEENS1_30default_config_static_selectorELNS0_4arch9wavefront6targetE0EEEvSK_ ; -- Begin function _ZN7rocprim17ROCPRIM_400000_NS6detail17trampoline_kernelINS0_14default_configENS1_36segmented_radix_sort_config_selectorIilEEZNS1_25segmented_radix_sort_implIS3_Lb1EPKiPiPKlPlN2at6native12_GLOBAL__N_18offset_tEEE10hipError_tPvRmT1_PNSt15iterator_traitsISK_E10value_typeET2_T3_PNSL_ISQ_E10value_typeET4_jRbjT5_SW_jjP12ihipStream_tbEUlT_E2_NS1_11comp_targetILNS1_3genE4ELNS1_11target_archE910ELNS1_3gpuE8ELNS1_3repE0EEENS1_30default_config_static_selectorELNS0_4arch9wavefront6targetE0EEEvSK_
	.p2align	8
	.type	_ZN7rocprim17ROCPRIM_400000_NS6detail17trampoline_kernelINS0_14default_configENS1_36segmented_radix_sort_config_selectorIilEEZNS1_25segmented_radix_sort_implIS3_Lb1EPKiPiPKlPlN2at6native12_GLOBAL__N_18offset_tEEE10hipError_tPvRmT1_PNSt15iterator_traitsISK_E10value_typeET2_T3_PNSL_ISQ_E10value_typeET4_jRbjT5_SW_jjP12ihipStream_tbEUlT_E2_NS1_11comp_targetILNS1_3genE4ELNS1_11target_archE910ELNS1_3gpuE8ELNS1_3repE0EEENS1_30default_config_static_selectorELNS0_4arch9wavefront6targetE0EEEvSK_,@function
_ZN7rocprim17ROCPRIM_400000_NS6detail17trampoline_kernelINS0_14default_configENS1_36segmented_radix_sort_config_selectorIilEEZNS1_25segmented_radix_sort_implIS3_Lb1EPKiPiPKlPlN2at6native12_GLOBAL__N_18offset_tEEE10hipError_tPvRmT1_PNSt15iterator_traitsISK_E10value_typeET2_T3_PNSL_ISQ_E10value_typeET4_jRbjT5_SW_jjP12ihipStream_tbEUlT_E2_NS1_11comp_targetILNS1_3genE4ELNS1_11target_archE910ELNS1_3gpuE8ELNS1_3repE0EEENS1_30default_config_static_selectorELNS0_4arch9wavefront6targetE0EEEvSK_: ; @_ZN7rocprim17ROCPRIM_400000_NS6detail17trampoline_kernelINS0_14default_configENS1_36segmented_radix_sort_config_selectorIilEEZNS1_25segmented_radix_sort_implIS3_Lb1EPKiPiPKlPlN2at6native12_GLOBAL__N_18offset_tEEE10hipError_tPvRmT1_PNSt15iterator_traitsISK_E10value_typeET2_T3_PNSL_ISQ_E10value_typeET4_jRbjT5_SW_jjP12ihipStream_tbEUlT_E2_NS1_11comp_targetILNS1_3genE4ELNS1_11target_archE910ELNS1_3gpuE8ELNS1_3repE0EEENS1_30default_config_static_selectorELNS0_4arch9wavefront6targetE0EEEvSK_
; %bb.0:
	.section	.rodata,"a",@progbits
	.p2align	6, 0x0
	.amdhsa_kernel _ZN7rocprim17ROCPRIM_400000_NS6detail17trampoline_kernelINS0_14default_configENS1_36segmented_radix_sort_config_selectorIilEEZNS1_25segmented_radix_sort_implIS3_Lb1EPKiPiPKlPlN2at6native12_GLOBAL__N_18offset_tEEE10hipError_tPvRmT1_PNSt15iterator_traitsISK_E10value_typeET2_T3_PNSL_ISQ_E10value_typeET4_jRbjT5_SW_jjP12ihipStream_tbEUlT_E2_NS1_11comp_targetILNS1_3genE4ELNS1_11target_archE910ELNS1_3gpuE8ELNS1_3repE0EEENS1_30default_config_static_selectorELNS0_4arch9wavefront6targetE0EEEvSK_
		.amdhsa_group_segment_fixed_size 0
		.amdhsa_private_segment_fixed_size 0
		.amdhsa_kernarg_size 80
		.amdhsa_user_sgpr_count 15
		.amdhsa_user_sgpr_dispatch_ptr 0
		.amdhsa_user_sgpr_queue_ptr 0
		.amdhsa_user_sgpr_kernarg_segment_ptr 1
		.amdhsa_user_sgpr_dispatch_id 0
		.amdhsa_user_sgpr_private_segment_size 0
		.amdhsa_wavefront_size32 1
		.amdhsa_uses_dynamic_stack 0
		.amdhsa_enable_private_segment 0
		.amdhsa_system_sgpr_workgroup_id_x 1
		.amdhsa_system_sgpr_workgroup_id_y 0
		.amdhsa_system_sgpr_workgroup_id_z 0
		.amdhsa_system_sgpr_workgroup_info 0
		.amdhsa_system_vgpr_workitem_id 0
		.amdhsa_next_free_vgpr 1
		.amdhsa_next_free_sgpr 1
		.amdhsa_reserve_vcc 0
		.amdhsa_float_round_mode_32 0
		.amdhsa_float_round_mode_16_64 0
		.amdhsa_float_denorm_mode_32 3
		.amdhsa_float_denorm_mode_16_64 3
		.amdhsa_dx10_clamp 1
		.amdhsa_ieee_mode 1
		.amdhsa_fp16_overflow 0
		.amdhsa_workgroup_processor_mode 1
		.amdhsa_memory_ordered 1
		.amdhsa_forward_progress 0
		.amdhsa_shared_vgpr_count 0
		.amdhsa_exception_fp_ieee_invalid_op 0
		.amdhsa_exception_fp_denorm_src 0
		.amdhsa_exception_fp_ieee_div_zero 0
		.amdhsa_exception_fp_ieee_overflow 0
		.amdhsa_exception_fp_ieee_underflow 0
		.amdhsa_exception_fp_ieee_inexact 0
		.amdhsa_exception_int_div_zero 0
	.end_amdhsa_kernel
	.section	.text._ZN7rocprim17ROCPRIM_400000_NS6detail17trampoline_kernelINS0_14default_configENS1_36segmented_radix_sort_config_selectorIilEEZNS1_25segmented_radix_sort_implIS3_Lb1EPKiPiPKlPlN2at6native12_GLOBAL__N_18offset_tEEE10hipError_tPvRmT1_PNSt15iterator_traitsISK_E10value_typeET2_T3_PNSL_ISQ_E10value_typeET4_jRbjT5_SW_jjP12ihipStream_tbEUlT_E2_NS1_11comp_targetILNS1_3genE4ELNS1_11target_archE910ELNS1_3gpuE8ELNS1_3repE0EEENS1_30default_config_static_selectorELNS0_4arch9wavefront6targetE0EEEvSK_,"axG",@progbits,_ZN7rocprim17ROCPRIM_400000_NS6detail17trampoline_kernelINS0_14default_configENS1_36segmented_radix_sort_config_selectorIilEEZNS1_25segmented_radix_sort_implIS3_Lb1EPKiPiPKlPlN2at6native12_GLOBAL__N_18offset_tEEE10hipError_tPvRmT1_PNSt15iterator_traitsISK_E10value_typeET2_T3_PNSL_ISQ_E10value_typeET4_jRbjT5_SW_jjP12ihipStream_tbEUlT_E2_NS1_11comp_targetILNS1_3genE4ELNS1_11target_archE910ELNS1_3gpuE8ELNS1_3repE0EEENS1_30default_config_static_selectorELNS0_4arch9wavefront6targetE0EEEvSK_,comdat
.Lfunc_end529:
	.size	_ZN7rocprim17ROCPRIM_400000_NS6detail17trampoline_kernelINS0_14default_configENS1_36segmented_radix_sort_config_selectorIilEEZNS1_25segmented_radix_sort_implIS3_Lb1EPKiPiPKlPlN2at6native12_GLOBAL__N_18offset_tEEE10hipError_tPvRmT1_PNSt15iterator_traitsISK_E10value_typeET2_T3_PNSL_ISQ_E10value_typeET4_jRbjT5_SW_jjP12ihipStream_tbEUlT_E2_NS1_11comp_targetILNS1_3genE4ELNS1_11target_archE910ELNS1_3gpuE8ELNS1_3repE0EEENS1_30default_config_static_selectorELNS0_4arch9wavefront6targetE0EEEvSK_, .Lfunc_end529-_ZN7rocprim17ROCPRIM_400000_NS6detail17trampoline_kernelINS0_14default_configENS1_36segmented_radix_sort_config_selectorIilEEZNS1_25segmented_radix_sort_implIS3_Lb1EPKiPiPKlPlN2at6native12_GLOBAL__N_18offset_tEEE10hipError_tPvRmT1_PNSt15iterator_traitsISK_E10value_typeET2_T3_PNSL_ISQ_E10value_typeET4_jRbjT5_SW_jjP12ihipStream_tbEUlT_E2_NS1_11comp_targetILNS1_3genE4ELNS1_11target_archE910ELNS1_3gpuE8ELNS1_3repE0EEENS1_30default_config_static_selectorELNS0_4arch9wavefront6targetE0EEEvSK_
                                        ; -- End function
	.section	.AMDGPU.csdata,"",@progbits
; Kernel info:
; codeLenInByte = 0
; NumSgprs: 0
; NumVgprs: 0
; ScratchSize: 0
; MemoryBound: 0
; FloatMode: 240
; IeeeMode: 1
; LDSByteSize: 0 bytes/workgroup (compile time only)
; SGPRBlocks: 0
; VGPRBlocks: 0
; NumSGPRsForWavesPerEU: 1
; NumVGPRsForWavesPerEU: 1
; Occupancy: 16
; WaveLimiterHint : 0
; COMPUTE_PGM_RSRC2:SCRATCH_EN: 0
; COMPUTE_PGM_RSRC2:USER_SGPR: 15
; COMPUTE_PGM_RSRC2:TRAP_HANDLER: 0
; COMPUTE_PGM_RSRC2:TGID_X_EN: 1
; COMPUTE_PGM_RSRC2:TGID_Y_EN: 0
; COMPUTE_PGM_RSRC2:TGID_Z_EN: 0
; COMPUTE_PGM_RSRC2:TIDIG_COMP_CNT: 0
	.section	.text._ZN7rocprim17ROCPRIM_400000_NS6detail17trampoline_kernelINS0_14default_configENS1_36segmented_radix_sort_config_selectorIilEEZNS1_25segmented_radix_sort_implIS3_Lb1EPKiPiPKlPlN2at6native12_GLOBAL__N_18offset_tEEE10hipError_tPvRmT1_PNSt15iterator_traitsISK_E10value_typeET2_T3_PNSL_ISQ_E10value_typeET4_jRbjT5_SW_jjP12ihipStream_tbEUlT_E2_NS1_11comp_targetILNS1_3genE3ELNS1_11target_archE908ELNS1_3gpuE7ELNS1_3repE0EEENS1_30default_config_static_selectorELNS0_4arch9wavefront6targetE0EEEvSK_,"axG",@progbits,_ZN7rocprim17ROCPRIM_400000_NS6detail17trampoline_kernelINS0_14default_configENS1_36segmented_radix_sort_config_selectorIilEEZNS1_25segmented_radix_sort_implIS3_Lb1EPKiPiPKlPlN2at6native12_GLOBAL__N_18offset_tEEE10hipError_tPvRmT1_PNSt15iterator_traitsISK_E10value_typeET2_T3_PNSL_ISQ_E10value_typeET4_jRbjT5_SW_jjP12ihipStream_tbEUlT_E2_NS1_11comp_targetILNS1_3genE3ELNS1_11target_archE908ELNS1_3gpuE7ELNS1_3repE0EEENS1_30default_config_static_selectorELNS0_4arch9wavefront6targetE0EEEvSK_,comdat
	.globl	_ZN7rocprim17ROCPRIM_400000_NS6detail17trampoline_kernelINS0_14default_configENS1_36segmented_radix_sort_config_selectorIilEEZNS1_25segmented_radix_sort_implIS3_Lb1EPKiPiPKlPlN2at6native12_GLOBAL__N_18offset_tEEE10hipError_tPvRmT1_PNSt15iterator_traitsISK_E10value_typeET2_T3_PNSL_ISQ_E10value_typeET4_jRbjT5_SW_jjP12ihipStream_tbEUlT_E2_NS1_11comp_targetILNS1_3genE3ELNS1_11target_archE908ELNS1_3gpuE7ELNS1_3repE0EEENS1_30default_config_static_selectorELNS0_4arch9wavefront6targetE0EEEvSK_ ; -- Begin function _ZN7rocprim17ROCPRIM_400000_NS6detail17trampoline_kernelINS0_14default_configENS1_36segmented_radix_sort_config_selectorIilEEZNS1_25segmented_radix_sort_implIS3_Lb1EPKiPiPKlPlN2at6native12_GLOBAL__N_18offset_tEEE10hipError_tPvRmT1_PNSt15iterator_traitsISK_E10value_typeET2_T3_PNSL_ISQ_E10value_typeET4_jRbjT5_SW_jjP12ihipStream_tbEUlT_E2_NS1_11comp_targetILNS1_3genE3ELNS1_11target_archE908ELNS1_3gpuE7ELNS1_3repE0EEENS1_30default_config_static_selectorELNS0_4arch9wavefront6targetE0EEEvSK_
	.p2align	8
	.type	_ZN7rocprim17ROCPRIM_400000_NS6detail17trampoline_kernelINS0_14default_configENS1_36segmented_radix_sort_config_selectorIilEEZNS1_25segmented_radix_sort_implIS3_Lb1EPKiPiPKlPlN2at6native12_GLOBAL__N_18offset_tEEE10hipError_tPvRmT1_PNSt15iterator_traitsISK_E10value_typeET2_T3_PNSL_ISQ_E10value_typeET4_jRbjT5_SW_jjP12ihipStream_tbEUlT_E2_NS1_11comp_targetILNS1_3genE3ELNS1_11target_archE908ELNS1_3gpuE7ELNS1_3repE0EEENS1_30default_config_static_selectorELNS0_4arch9wavefront6targetE0EEEvSK_,@function
_ZN7rocprim17ROCPRIM_400000_NS6detail17trampoline_kernelINS0_14default_configENS1_36segmented_radix_sort_config_selectorIilEEZNS1_25segmented_radix_sort_implIS3_Lb1EPKiPiPKlPlN2at6native12_GLOBAL__N_18offset_tEEE10hipError_tPvRmT1_PNSt15iterator_traitsISK_E10value_typeET2_T3_PNSL_ISQ_E10value_typeET4_jRbjT5_SW_jjP12ihipStream_tbEUlT_E2_NS1_11comp_targetILNS1_3genE3ELNS1_11target_archE908ELNS1_3gpuE7ELNS1_3repE0EEENS1_30default_config_static_selectorELNS0_4arch9wavefront6targetE0EEEvSK_: ; @_ZN7rocprim17ROCPRIM_400000_NS6detail17trampoline_kernelINS0_14default_configENS1_36segmented_radix_sort_config_selectorIilEEZNS1_25segmented_radix_sort_implIS3_Lb1EPKiPiPKlPlN2at6native12_GLOBAL__N_18offset_tEEE10hipError_tPvRmT1_PNSt15iterator_traitsISK_E10value_typeET2_T3_PNSL_ISQ_E10value_typeET4_jRbjT5_SW_jjP12ihipStream_tbEUlT_E2_NS1_11comp_targetILNS1_3genE3ELNS1_11target_archE908ELNS1_3gpuE7ELNS1_3repE0EEENS1_30default_config_static_selectorELNS0_4arch9wavefront6targetE0EEEvSK_
; %bb.0:
	.section	.rodata,"a",@progbits
	.p2align	6, 0x0
	.amdhsa_kernel _ZN7rocprim17ROCPRIM_400000_NS6detail17trampoline_kernelINS0_14default_configENS1_36segmented_radix_sort_config_selectorIilEEZNS1_25segmented_radix_sort_implIS3_Lb1EPKiPiPKlPlN2at6native12_GLOBAL__N_18offset_tEEE10hipError_tPvRmT1_PNSt15iterator_traitsISK_E10value_typeET2_T3_PNSL_ISQ_E10value_typeET4_jRbjT5_SW_jjP12ihipStream_tbEUlT_E2_NS1_11comp_targetILNS1_3genE3ELNS1_11target_archE908ELNS1_3gpuE7ELNS1_3repE0EEENS1_30default_config_static_selectorELNS0_4arch9wavefront6targetE0EEEvSK_
		.amdhsa_group_segment_fixed_size 0
		.amdhsa_private_segment_fixed_size 0
		.amdhsa_kernarg_size 80
		.amdhsa_user_sgpr_count 15
		.amdhsa_user_sgpr_dispatch_ptr 0
		.amdhsa_user_sgpr_queue_ptr 0
		.amdhsa_user_sgpr_kernarg_segment_ptr 1
		.amdhsa_user_sgpr_dispatch_id 0
		.amdhsa_user_sgpr_private_segment_size 0
		.amdhsa_wavefront_size32 1
		.amdhsa_uses_dynamic_stack 0
		.amdhsa_enable_private_segment 0
		.amdhsa_system_sgpr_workgroup_id_x 1
		.amdhsa_system_sgpr_workgroup_id_y 0
		.amdhsa_system_sgpr_workgroup_id_z 0
		.amdhsa_system_sgpr_workgroup_info 0
		.amdhsa_system_vgpr_workitem_id 0
		.amdhsa_next_free_vgpr 1
		.amdhsa_next_free_sgpr 1
		.amdhsa_reserve_vcc 0
		.amdhsa_float_round_mode_32 0
		.amdhsa_float_round_mode_16_64 0
		.amdhsa_float_denorm_mode_32 3
		.amdhsa_float_denorm_mode_16_64 3
		.amdhsa_dx10_clamp 1
		.amdhsa_ieee_mode 1
		.amdhsa_fp16_overflow 0
		.amdhsa_workgroup_processor_mode 1
		.amdhsa_memory_ordered 1
		.amdhsa_forward_progress 0
		.amdhsa_shared_vgpr_count 0
		.amdhsa_exception_fp_ieee_invalid_op 0
		.amdhsa_exception_fp_denorm_src 0
		.amdhsa_exception_fp_ieee_div_zero 0
		.amdhsa_exception_fp_ieee_overflow 0
		.amdhsa_exception_fp_ieee_underflow 0
		.amdhsa_exception_fp_ieee_inexact 0
		.amdhsa_exception_int_div_zero 0
	.end_amdhsa_kernel
	.section	.text._ZN7rocprim17ROCPRIM_400000_NS6detail17trampoline_kernelINS0_14default_configENS1_36segmented_radix_sort_config_selectorIilEEZNS1_25segmented_radix_sort_implIS3_Lb1EPKiPiPKlPlN2at6native12_GLOBAL__N_18offset_tEEE10hipError_tPvRmT1_PNSt15iterator_traitsISK_E10value_typeET2_T3_PNSL_ISQ_E10value_typeET4_jRbjT5_SW_jjP12ihipStream_tbEUlT_E2_NS1_11comp_targetILNS1_3genE3ELNS1_11target_archE908ELNS1_3gpuE7ELNS1_3repE0EEENS1_30default_config_static_selectorELNS0_4arch9wavefront6targetE0EEEvSK_,"axG",@progbits,_ZN7rocprim17ROCPRIM_400000_NS6detail17trampoline_kernelINS0_14default_configENS1_36segmented_radix_sort_config_selectorIilEEZNS1_25segmented_radix_sort_implIS3_Lb1EPKiPiPKlPlN2at6native12_GLOBAL__N_18offset_tEEE10hipError_tPvRmT1_PNSt15iterator_traitsISK_E10value_typeET2_T3_PNSL_ISQ_E10value_typeET4_jRbjT5_SW_jjP12ihipStream_tbEUlT_E2_NS1_11comp_targetILNS1_3genE3ELNS1_11target_archE908ELNS1_3gpuE7ELNS1_3repE0EEENS1_30default_config_static_selectorELNS0_4arch9wavefront6targetE0EEEvSK_,comdat
.Lfunc_end530:
	.size	_ZN7rocprim17ROCPRIM_400000_NS6detail17trampoline_kernelINS0_14default_configENS1_36segmented_radix_sort_config_selectorIilEEZNS1_25segmented_radix_sort_implIS3_Lb1EPKiPiPKlPlN2at6native12_GLOBAL__N_18offset_tEEE10hipError_tPvRmT1_PNSt15iterator_traitsISK_E10value_typeET2_T3_PNSL_ISQ_E10value_typeET4_jRbjT5_SW_jjP12ihipStream_tbEUlT_E2_NS1_11comp_targetILNS1_3genE3ELNS1_11target_archE908ELNS1_3gpuE7ELNS1_3repE0EEENS1_30default_config_static_selectorELNS0_4arch9wavefront6targetE0EEEvSK_, .Lfunc_end530-_ZN7rocprim17ROCPRIM_400000_NS6detail17trampoline_kernelINS0_14default_configENS1_36segmented_radix_sort_config_selectorIilEEZNS1_25segmented_radix_sort_implIS3_Lb1EPKiPiPKlPlN2at6native12_GLOBAL__N_18offset_tEEE10hipError_tPvRmT1_PNSt15iterator_traitsISK_E10value_typeET2_T3_PNSL_ISQ_E10value_typeET4_jRbjT5_SW_jjP12ihipStream_tbEUlT_E2_NS1_11comp_targetILNS1_3genE3ELNS1_11target_archE908ELNS1_3gpuE7ELNS1_3repE0EEENS1_30default_config_static_selectorELNS0_4arch9wavefront6targetE0EEEvSK_
                                        ; -- End function
	.section	.AMDGPU.csdata,"",@progbits
; Kernel info:
; codeLenInByte = 0
; NumSgprs: 0
; NumVgprs: 0
; ScratchSize: 0
; MemoryBound: 0
; FloatMode: 240
; IeeeMode: 1
; LDSByteSize: 0 bytes/workgroup (compile time only)
; SGPRBlocks: 0
; VGPRBlocks: 0
; NumSGPRsForWavesPerEU: 1
; NumVGPRsForWavesPerEU: 1
; Occupancy: 16
; WaveLimiterHint : 0
; COMPUTE_PGM_RSRC2:SCRATCH_EN: 0
; COMPUTE_PGM_RSRC2:USER_SGPR: 15
; COMPUTE_PGM_RSRC2:TRAP_HANDLER: 0
; COMPUTE_PGM_RSRC2:TGID_X_EN: 1
; COMPUTE_PGM_RSRC2:TGID_Y_EN: 0
; COMPUTE_PGM_RSRC2:TGID_Z_EN: 0
; COMPUTE_PGM_RSRC2:TIDIG_COMP_CNT: 0
	.section	.text._ZN7rocprim17ROCPRIM_400000_NS6detail17trampoline_kernelINS0_14default_configENS1_36segmented_radix_sort_config_selectorIilEEZNS1_25segmented_radix_sort_implIS3_Lb1EPKiPiPKlPlN2at6native12_GLOBAL__N_18offset_tEEE10hipError_tPvRmT1_PNSt15iterator_traitsISK_E10value_typeET2_T3_PNSL_ISQ_E10value_typeET4_jRbjT5_SW_jjP12ihipStream_tbEUlT_E2_NS1_11comp_targetILNS1_3genE2ELNS1_11target_archE906ELNS1_3gpuE6ELNS1_3repE0EEENS1_30default_config_static_selectorELNS0_4arch9wavefront6targetE0EEEvSK_,"axG",@progbits,_ZN7rocprim17ROCPRIM_400000_NS6detail17trampoline_kernelINS0_14default_configENS1_36segmented_radix_sort_config_selectorIilEEZNS1_25segmented_radix_sort_implIS3_Lb1EPKiPiPKlPlN2at6native12_GLOBAL__N_18offset_tEEE10hipError_tPvRmT1_PNSt15iterator_traitsISK_E10value_typeET2_T3_PNSL_ISQ_E10value_typeET4_jRbjT5_SW_jjP12ihipStream_tbEUlT_E2_NS1_11comp_targetILNS1_3genE2ELNS1_11target_archE906ELNS1_3gpuE6ELNS1_3repE0EEENS1_30default_config_static_selectorELNS0_4arch9wavefront6targetE0EEEvSK_,comdat
	.globl	_ZN7rocprim17ROCPRIM_400000_NS6detail17trampoline_kernelINS0_14default_configENS1_36segmented_radix_sort_config_selectorIilEEZNS1_25segmented_radix_sort_implIS3_Lb1EPKiPiPKlPlN2at6native12_GLOBAL__N_18offset_tEEE10hipError_tPvRmT1_PNSt15iterator_traitsISK_E10value_typeET2_T3_PNSL_ISQ_E10value_typeET4_jRbjT5_SW_jjP12ihipStream_tbEUlT_E2_NS1_11comp_targetILNS1_3genE2ELNS1_11target_archE906ELNS1_3gpuE6ELNS1_3repE0EEENS1_30default_config_static_selectorELNS0_4arch9wavefront6targetE0EEEvSK_ ; -- Begin function _ZN7rocprim17ROCPRIM_400000_NS6detail17trampoline_kernelINS0_14default_configENS1_36segmented_radix_sort_config_selectorIilEEZNS1_25segmented_radix_sort_implIS3_Lb1EPKiPiPKlPlN2at6native12_GLOBAL__N_18offset_tEEE10hipError_tPvRmT1_PNSt15iterator_traitsISK_E10value_typeET2_T3_PNSL_ISQ_E10value_typeET4_jRbjT5_SW_jjP12ihipStream_tbEUlT_E2_NS1_11comp_targetILNS1_3genE2ELNS1_11target_archE906ELNS1_3gpuE6ELNS1_3repE0EEENS1_30default_config_static_selectorELNS0_4arch9wavefront6targetE0EEEvSK_
	.p2align	8
	.type	_ZN7rocprim17ROCPRIM_400000_NS6detail17trampoline_kernelINS0_14default_configENS1_36segmented_radix_sort_config_selectorIilEEZNS1_25segmented_radix_sort_implIS3_Lb1EPKiPiPKlPlN2at6native12_GLOBAL__N_18offset_tEEE10hipError_tPvRmT1_PNSt15iterator_traitsISK_E10value_typeET2_T3_PNSL_ISQ_E10value_typeET4_jRbjT5_SW_jjP12ihipStream_tbEUlT_E2_NS1_11comp_targetILNS1_3genE2ELNS1_11target_archE906ELNS1_3gpuE6ELNS1_3repE0EEENS1_30default_config_static_selectorELNS0_4arch9wavefront6targetE0EEEvSK_,@function
_ZN7rocprim17ROCPRIM_400000_NS6detail17trampoline_kernelINS0_14default_configENS1_36segmented_radix_sort_config_selectorIilEEZNS1_25segmented_radix_sort_implIS3_Lb1EPKiPiPKlPlN2at6native12_GLOBAL__N_18offset_tEEE10hipError_tPvRmT1_PNSt15iterator_traitsISK_E10value_typeET2_T3_PNSL_ISQ_E10value_typeET4_jRbjT5_SW_jjP12ihipStream_tbEUlT_E2_NS1_11comp_targetILNS1_3genE2ELNS1_11target_archE906ELNS1_3gpuE6ELNS1_3repE0EEENS1_30default_config_static_selectorELNS0_4arch9wavefront6targetE0EEEvSK_: ; @_ZN7rocprim17ROCPRIM_400000_NS6detail17trampoline_kernelINS0_14default_configENS1_36segmented_radix_sort_config_selectorIilEEZNS1_25segmented_radix_sort_implIS3_Lb1EPKiPiPKlPlN2at6native12_GLOBAL__N_18offset_tEEE10hipError_tPvRmT1_PNSt15iterator_traitsISK_E10value_typeET2_T3_PNSL_ISQ_E10value_typeET4_jRbjT5_SW_jjP12ihipStream_tbEUlT_E2_NS1_11comp_targetILNS1_3genE2ELNS1_11target_archE906ELNS1_3gpuE6ELNS1_3repE0EEENS1_30default_config_static_selectorELNS0_4arch9wavefront6targetE0EEEvSK_
; %bb.0:
	.section	.rodata,"a",@progbits
	.p2align	6, 0x0
	.amdhsa_kernel _ZN7rocprim17ROCPRIM_400000_NS6detail17trampoline_kernelINS0_14default_configENS1_36segmented_radix_sort_config_selectorIilEEZNS1_25segmented_radix_sort_implIS3_Lb1EPKiPiPKlPlN2at6native12_GLOBAL__N_18offset_tEEE10hipError_tPvRmT1_PNSt15iterator_traitsISK_E10value_typeET2_T3_PNSL_ISQ_E10value_typeET4_jRbjT5_SW_jjP12ihipStream_tbEUlT_E2_NS1_11comp_targetILNS1_3genE2ELNS1_11target_archE906ELNS1_3gpuE6ELNS1_3repE0EEENS1_30default_config_static_selectorELNS0_4arch9wavefront6targetE0EEEvSK_
		.amdhsa_group_segment_fixed_size 0
		.amdhsa_private_segment_fixed_size 0
		.amdhsa_kernarg_size 80
		.amdhsa_user_sgpr_count 15
		.amdhsa_user_sgpr_dispatch_ptr 0
		.amdhsa_user_sgpr_queue_ptr 0
		.amdhsa_user_sgpr_kernarg_segment_ptr 1
		.amdhsa_user_sgpr_dispatch_id 0
		.amdhsa_user_sgpr_private_segment_size 0
		.amdhsa_wavefront_size32 1
		.amdhsa_uses_dynamic_stack 0
		.amdhsa_enable_private_segment 0
		.amdhsa_system_sgpr_workgroup_id_x 1
		.amdhsa_system_sgpr_workgroup_id_y 0
		.amdhsa_system_sgpr_workgroup_id_z 0
		.amdhsa_system_sgpr_workgroup_info 0
		.amdhsa_system_vgpr_workitem_id 0
		.amdhsa_next_free_vgpr 1
		.amdhsa_next_free_sgpr 1
		.amdhsa_reserve_vcc 0
		.amdhsa_float_round_mode_32 0
		.amdhsa_float_round_mode_16_64 0
		.amdhsa_float_denorm_mode_32 3
		.amdhsa_float_denorm_mode_16_64 3
		.amdhsa_dx10_clamp 1
		.amdhsa_ieee_mode 1
		.amdhsa_fp16_overflow 0
		.amdhsa_workgroup_processor_mode 1
		.amdhsa_memory_ordered 1
		.amdhsa_forward_progress 0
		.amdhsa_shared_vgpr_count 0
		.amdhsa_exception_fp_ieee_invalid_op 0
		.amdhsa_exception_fp_denorm_src 0
		.amdhsa_exception_fp_ieee_div_zero 0
		.amdhsa_exception_fp_ieee_overflow 0
		.amdhsa_exception_fp_ieee_underflow 0
		.amdhsa_exception_fp_ieee_inexact 0
		.amdhsa_exception_int_div_zero 0
	.end_amdhsa_kernel
	.section	.text._ZN7rocprim17ROCPRIM_400000_NS6detail17trampoline_kernelINS0_14default_configENS1_36segmented_radix_sort_config_selectorIilEEZNS1_25segmented_radix_sort_implIS3_Lb1EPKiPiPKlPlN2at6native12_GLOBAL__N_18offset_tEEE10hipError_tPvRmT1_PNSt15iterator_traitsISK_E10value_typeET2_T3_PNSL_ISQ_E10value_typeET4_jRbjT5_SW_jjP12ihipStream_tbEUlT_E2_NS1_11comp_targetILNS1_3genE2ELNS1_11target_archE906ELNS1_3gpuE6ELNS1_3repE0EEENS1_30default_config_static_selectorELNS0_4arch9wavefront6targetE0EEEvSK_,"axG",@progbits,_ZN7rocprim17ROCPRIM_400000_NS6detail17trampoline_kernelINS0_14default_configENS1_36segmented_radix_sort_config_selectorIilEEZNS1_25segmented_radix_sort_implIS3_Lb1EPKiPiPKlPlN2at6native12_GLOBAL__N_18offset_tEEE10hipError_tPvRmT1_PNSt15iterator_traitsISK_E10value_typeET2_T3_PNSL_ISQ_E10value_typeET4_jRbjT5_SW_jjP12ihipStream_tbEUlT_E2_NS1_11comp_targetILNS1_3genE2ELNS1_11target_archE906ELNS1_3gpuE6ELNS1_3repE0EEENS1_30default_config_static_selectorELNS0_4arch9wavefront6targetE0EEEvSK_,comdat
.Lfunc_end531:
	.size	_ZN7rocprim17ROCPRIM_400000_NS6detail17trampoline_kernelINS0_14default_configENS1_36segmented_radix_sort_config_selectorIilEEZNS1_25segmented_radix_sort_implIS3_Lb1EPKiPiPKlPlN2at6native12_GLOBAL__N_18offset_tEEE10hipError_tPvRmT1_PNSt15iterator_traitsISK_E10value_typeET2_T3_PNSL_ISQ_E10value_typeET4_jRbjT5_SW_jjP12ihipStream_tbEUlT_E2_NS1_11comp_targetILNS1_3genE2ELNS1_11target_archE906ELNS1_3gpuE6ELNS1_3repE0EEENS1_30default_config_static_selectorELNS0_4arch9wavefront6targetE0EEEvSK_, .Lfunc_end531-_ZN7rocprim17ROCPRIM_400000_NS6detail17trampoline_kernelINS0_14default_configENS1_36segmented_radix_sort_config_selectorIilEEZNS1_25segmented_radix_sort_implIS3_Lb1EPKiPiPKlPlN2at6native12_GLOBAL__N_18offset_tEEE10hipError_tPvRmT1_PNSt15iterator_traitsISK_E10value_typeET2_T3_PNSL_ISQ_E10value_typeET4_jRbjT5_SW_jjP12ihipStream_tbEUlT_E2_NS1_11comp_targetILNS1_3genE2ELNS1_11target_archE906ELNS1_3gpuE6ELNS1_3repE0EEENS1_30default_config_static_selectorELNS0_4arch9wavefront6targetE0EEEvSK_
                                        ; -- End function
	.section	.AMDGPU.csdata,"",@progbits
; Kernel info:
; codeLenInByte = 0
; NumSgprs: 0
; NumVgprs: 0
; ScratchSize: 0
; MemoryBound: 0
; FloatMode: 240
; IeeeMode: 1
; LDSByteSize: 0 bytes/workgroup (compile time only)
; SGPRBlocks: 0
; VGPRBlocks: 0
; NumSGPRsForWavesPerEU: 1
; NumVGPRsForWavesPerEU: 1
; Occupancy: 16
; WaveLimiterHint : 0
; COMPUTE_PGM_RSRC2:SCRATCH_EN: 0
; COMPUTE_PGM_RSRC2:USER_SGPR: 15
; COMPUTE_PGM_RSRC2:TRAP_HANDLER: 0
; COMPUTE_PGM_RSRC2:TGID_X_EN: 1
; COMPUTE_PGM_RSRC2:TGID_Y_EN: 0
; COMPUTE_PGM_RSRC2:TGID_Z_EN: 0
; COMPUTE_PGM_RSRC2:TIDIG_COMP_CNT: 0
	.section	.text._ZN7rocprim17ROCPRIM_400000_NS6detail17trampoline_kernelINS0_14default_configENS1_36segmented_radix_sort_config_selectorIilEEZNS1_25segmented_radix_sort_implIS3_Lb1EPKiPiPKlPlN2at6native12_GLOBAL__N_18offset_tEEE10hipError_tPvRmT1_PNSt15iterator_traitsISK_E10value_typeET2_T3_PNSL_ISQ_E10value_typeET4_jRbjT5_SW_jjP12ihipStream_tbEUlT_E2_NS1_11comp_targetILNS1_3genE10ELNS1_11target_archE1201ELNS1_3gpuE5ELNS1_3repE0EEENS1_30default_config_static_selectorELNS0_4arch9wavefront6targetE0EEEvSK_,"axG",@progbits,_ZN7rocprim17ROCPRIM_400000_NS6detail17trampoline_kernelINS0_14default_configENS1_36segmented_radix_sort_config_selectorIilEEZNS1_25segmented_radix_sort_implIS3_Lb1EPKiPiPKlPlN2at6native12_GLOBAL__N_18offset_tEEE10hipError_tPvRmT1_PNSt15iterator_traitsISK_E10value_typeET2_T3_PNSL_ISQ_E10value_typeET4_jRbjT5_SW_jjP12ihipStream_tbEUlT_E2_NS1_11comp_targetILNS1_3genE10ELNS1_11target_archE1201ELNS1_3gpuE5ELNS1_3repE0EEENS1_30default_config_static_selectorELNS0_4arch9wavefront6targetE0EEEvSK_,comdat
	.globl	_ZN7rocprim17ROCPRIM_400000_NS6detail17trampoline_kernelINS0_14default_configENS1_36segmented_radix_sort_config_selectorIilEEZNS1_25segmented_radix_sort_implIS3_Lb1EPKiPiPKlPlN2at6native12_GLOBAL__N_18offset_tEEE10hipError_tPvRmT1_PNSt15iterator_traitsISK_E10value_typeET2_T3_PNSL_ISQ_E10value_typeET4_jRbjT5_SW_jjP12ihipStream_tbEUlT_E2_NS1_11comp_targetILNS1_3genE10ELNS1_11target_archE1201ELNS1_3gpuE5ELNS1_3repE0EEENS1_30default_config_static_selectorELNS0_4arch9wavefront6targetE0EEEvSK_ ; -- Begin function _ZN7rocprim17ROCPRIM_400000_NS6detail17trampoline_kernelINS0_14default_configENS1_36segmented_radix_sort_config_selectorIilEEZNS1_25segmented_radix_sort_implIS3_Lb1EPKiPiPKlPlN2at6native12_GLOBAL__N_18offset_tEEE10hipError_tPvRmT1_PNSt15iterator_traitsISK_E10value_typeET2_T3_PNSL_ISQ_E10value_typeET4_jRbjT5_SW_jjP12ihipStream_tbEUlT_E2_NS1_11comp_targetILNS1_3genE10ELNS1_11target_archE1201ELNS1_3gpuE5ELNS1_3repE0EEENS1_30default_config_static_selectorELNS0_4arch9wavefront6targetE0EEEvSK_
	.p2align	8
	.type	_ZN7rocprim17ROCPRIM_400000_NS6detail17trampoline_kernelINS0_14default_configENS1_36segmented_radix_sort_config_selectorIilEEZNS1_25segmented_radix_sort_implIS3_Lb1EPKiPiPKlPlN2at6native12_GLOBAL__N_18offset_tEEE10hipError_tPvRmT1_PNSt15iterator_traitsISK_E10value_typeET2_T3_PNSL_ISQ_E10value_typeET4_jRbjT5_SW_jjP12ihipStream_tbEUlT_E2_NS1_11comp_targetILNS1_3genE10ELNS1_11target_archE1201ELNS1_3gpuE5ELNS1_3repE0EEENS1_30default_config_static_selectorELNS0_4arch9wavefront6targetE0EEEvSK_,@function
_ZN7rocprim17ROCPRIM_400000_NS6detail17trampoline_kernelINS0_14default_configENS1_36segmented_radix_sort_config_selectorIilEEZNS1_25segmented_radix_sort_implIS3_Lb1EPKiPiPKlPlN2at6native12_GLOBAL__N_18offset_tEEE10hipError_tPvRmT1_PNSt15iterator_traitsISK_E10value_typeET2_T3_PNSL_ISQ_E10value_typeET4_jRbjT5_SW_jjP12ihipStream_tbEUlT_E2_NS1_11comp_targetILNS1_3genE10ELNS1_11target_archE1201ELNS1_3gpuE5ELNS1_3repE0EEENS1_30default_config_static_selectorELNS0_4arch9wavefront6targetE0EEEvSK_: ; @_ZN7rocprim17ROCPRIM_400000_NS6detail17trampoline_kernelINS0_14default_configENS1_36segmented_radix_sort_config_selectorIilEEZNS1_25segmented_radix_sort_implIS3_Lb1EPKiPiPKlPlN2at6native12_GLOBAL__N_18offset_tEEE10hipError_tPvRmT1_PNSt15iterator_traitsISK_E10value_typeET2_T3_PNSL_ISQ_E10value_typeET4_jRbjT5_SW_jjP12ihipStream_tbEUlT_E2_NS1_11comp_targetILNS1_3genE10ELNS1_11target_archE1201ELNS1_3gpuE5ELNS1_3repE0EEENS1_30default_config_static_selectorELNS0_4arch9wavefront6targetE0EEEvSK_
; %bb.0:
	.section	.rodata,"a",@progbits
	.p2align	6, 0x0
	.amdhsa_kernel _ZN7rocprim17ROCPRIM_400000_NS6detail17trampoline_kernelINS0_14default_configENS1_36segmented_radix_sort_config_selectorIilEEZNS1_25segmented_radix_sort_implIS3_Lb1EPKiPiPKlPlN2at6native12_GLOBAL__N_18offset_tEEE10hipError_tPvRmT1_PNSt15iterator_traitsISK_E10value_typeET2_T3_PNSL_ISQ_E10value_typeET4_jRbjT5_SW_jjP12ihipStream_tbEUlT_E2_NS1_11comp_targetILNS1_3genE10ELNS1_11target_archE1201ELNS1_3gpuE5ELNS1_3repE0EEENS1_30default_config_static_selectorELNS0_4arch9wavefront6targetE0EEEvSK_
		.amdhsa_group_segment_fixed_size 0
		.amdhsa_private_segment_fixed_size 0
		.amdhsa_kernarg_size 80
		.amdhsa_user_sgpr_count 15
		.amdhsa_user_sgpr_dispatch_ptr 0
		.amdhsa_user_sgpr_queue_ptr 0
		.amdhsa_user_sgpr_kernarg_segment_ptr 1
		.amdhsa_user_sgpr_dispatch_id 0
		.amdhsa_user_sgpr_private_segment_size 0
		.amdhsa_wavefront_size32 1
		.amdhsa_uses_dynamic_stack 0
		.amdhsa_enable_private_segment 0
		.amdhsa_system_sgpr_workgroup_id_x 1
		.amdhsa_system_sgpr_workgroup_id_y 0
		.amdhsa_system_sgpr_workgroup_id_z 0
		.amdhsa_system_sgpr_workgroup_info 0
		.amdhsa_system_vgpr_workitem_id 0
		.amdhsa_next_free_vgpr 1
		.amdhsa_next_free_sgpr 1
		.amdhsa_reserve_vcc 0
		.amdhsa_float_round_mode_32 0
		.amdhsa_float_round_mode_16_64 0
		.amdhsa_float_denorm_mode_32 3
		.amdhsa_float_denorm_mode_16_64 3
		.amdhsa_dx10_clamp 1
		.amdhsa_ieee_mode 1
		.amdhsa_fp16_overflow 0
		.amdhsa_workgroup_processor_mode 1
		.amdhsa_memory_ordered 1
		.amdhsa_forward_progress 0
		.amdhsa_shared_vgpr_count 0
		.amdhsa_exception_fp_ieee_invalid_op 0
		.amdhsa_exception_fp_denorm_src 0
		.amdhsa_exception_fp_ieee_div_zero 0
		.amdhsa_exception_fp_ieee_overflow 0
		.amdhsa_exception_fp_ieee_underflow 0
		.amdhsa_exception_fp_ieee_inexact 0
		.amdhsa_exception_int_div_zero 0
	.end_amdhsa_kernel
	.section	.text._ZN7rocprim17ROCPRIM_400000_NS6detail17trampoline_kernelINS0_14default_configENS1_36segmented_radix_sort_config_selectorIilEEZNS1_25segmented_radix_sort_implIS3_Lb1EPKiPiPKlPlN2at6native12_GLOBAL__N_18offset_tEEE10hipError_tPvRmT1_PNSt15iterator_traitsISK_E10value_typeET2_T3_PNSL_ISQ_E10value_typeET4_jRbjT5_SW_jjP12ihipStream_tbEUlT_E2_NS1_11comp_targetILNS1_3genE10ELNS1_11target_archE1201ELNS1_3gpuE5ELNS1_3repE0EEENS1_30default_config_static_selectorELNS0_4arch9wavefront6targetE0EEEvSK_,"axG",@progbits,_ZN7rocprim17ROCPRIM_400000_NS6detail17trampoline_kernelINS0_14default_configENS1_36segmented_radix_sort_config_selectorIilEEZNS1_25segmented_radix_sort_implIS3_Lb1EPKiPiPKlPlN2at6native12_GLOBAL__N_18offset_tEEE10hipError_tPvRmT1_PNSt15iterator_traitsISK_E10value_typeET2_T3_PNSL_ISQ_E10value_typeET4_jRbjT5_SW_jjP12ihipStream_tbEUlT_E2_NS1_11comp_targetILNS1_3genE10ELNS1_11target_archE1201ELNS1_3gpuE5ELNS1_3repE0EEENS1_30default_config_static_selectorELNS0_4arch9wavefront6targetE0EEEvSK_,comdat
.Lfunc_end532:
	.size	_ZN7rocprim17ROCPRIM_400000_NS6detail17trampoline_kernelINS0_14default_configENS1_36segmented_radix_sort_config_selectorIilEEZNS1_25segmented_radix_sort_implIS3_Lb1EPKiPiPKlPlN2at6native12_GLOBAL__N_18offset_tEEE10hipError_tPvRmT1_PNSt15iterator_traitsISK_E10value_typeET2_T3_PNSL_ISQ_E10value_typeET4_jRbjT5_SW_jjP12ihipStream_tbEUlT_E2_NS1_11comp_targetILNS1_3genE10ELNS1_11target_archE1201ELNS1_3gpuE5ELNS1_3repE0EEENS1_30default_config_static_selectorELNS0_4arch9wavefront6targetE0EEEvSK_, .Lfunc_end532-_ZN7rocprim17ROCPRIM_400000_NS6detail17trampoline_kernelINS0_14default_configENS1_36segmented_radix_sort_config_selectorIilEEZNS1_25segmented_radix_sort_implIS3_Lb1EPKiPiPKlPlN2at6native12_GLOBAL__N_18offset_tEEE10hipError_tPvRmT1_PNSt15iterator_traitsISK_E10value_typeET2_T3_PNSL_ISQ_E10value_typeET4_jRbjT5_SW_jjP12ihipStream_tbEUlT_E2_NS1_11comp_targetILNS1_3genE10ELNS1_11target_archE1201ELNS1_3gpuE5ELNS1_3repE0EEENS1_30default_config_static_selectorELNS0_4arch9wavefront6targetE0EEEvSK_
                                        ; -- End function
	.section	.AMDGPU.csdata,"",@progbits
; Kernel info:
; codeLenInByte = 0
; NumSgprs: 0
; NumVgprs: 0
; ScratchSize: 0
; MemoryBound: 0
; FloatMode: 240
; IeeeMode: 1
; LDSByteSize: 0 bytes/workgroup (compile time only)
; SGPRBlocks: 0
; VGPRBlocks: 0
; NumSGPRsForWavesPerEU: 1
; NumVGPRsForWavesPerEU: 1
; Occupancy: 16
; WaveLimiterHint : 0
; COMPUTE_PGM_RSRC2:SCRATCH_EN: 0
; COMPUTE_PGM_RSRC2:USER_SGPR: 15
; COMPUTE_PGM_RSRC2:TRAP_HANDLER: 0
; COMPUTE_PGM_RSRC2:TGID_X_EN: 1
; COMPUTE_PGM_RSRC2:TGID_Y_EN: 0
; COMPUTE_PGM_RSRC2:TGID_Z_EN: 0
; COMPUTE_PGM_RSRC2:TIDIG_COMP_CNT: 0
	.section	.text._ZN7rocprim17ROCPRIM_400000_NS6detail17trampoline_kernelINS0_14default_configENS1_36segmented_radix_sort_config_selectorIilEEZNS1_25segmented_radix_sort_implIS3_Lb1EPKiPiPKlPlN2at6native12_GLOBAL__N_18offset_tEEE10hipError_tPvRmT1_PNSt15iterator_traitsISK_E10value_typeET2_T3_PNSL_ISQ_E10value_typeET4_jRbjT5_SW_jjP12ihipStream_tbEUlT_E2_NS1_11comp_targetILNS1_3genE10ELNS1_11target_archE1200ELNS1_3gpuE4ELNS1_3repE0EEENS1_30default_config_static_selectorELNS0_4arch9wavefront6targetE0EEEvSK_,"axG",@progbits,_ZN7rocprim17ROCPRIM_400000_NS6detail17trampoline_kernelINS0_14default_configENS1_36segmented_radix_sort_config_selectorIilEEZNS1_25segmented_radix_sort_implIS3_Lb1EPKiPiPKlPlN2at6native12_GLOBAL__N_18offset_tEEE10hipError_tPvRmT1_PNSt15iterator_traitsISK_E10value_typeET2_T3_PNSL_ISQ_E10value_typeET4_jRbjT5_SW_jjP12ihipStream_tbEUlT_E2_NS1_11comp_targetILNS1_3genE10ELNS1_11target_archE1200ELNS1_3gpuE4ELNS1_3repE0EEENS1_30default_config_static_selectorELNS0_4arch9wavefront6targetE0EEEvSK_,comdat
	.globl	_ZN7rocprim17ROCPRIM_400000_NS6detail17trampoline_kernelINS0_14default_configENS1_36segmented_radix_sort_config_selectorIilEEZNS1_25segmented_radix_sort_implIS3_Lb1EPKiPiPKlPlN2at6native12_GLOBAL__N_18offset_tEEE10hipError_tPvRmT1_PNSt15iterator_traitsISK_E10value_typeET2_T3_PNSL_ISQ_E10value_typeET4_jRbjT5_SW_jjP12ihipStream_tbEUlT_E2_NS1_11comp_targetILNS1_3genE10ELNS1_11target_archE1200ELNS1_3gpuE4ELNS1_3repE0EEENS1_30default_config_static_selectorELNS0_4arch9wavefront6targetE0EEEvSK_ ; -- Begin function _ZN7rocprim17ROCPRIM_400000_NS6detail17trampoline_kernelINS0_14default_configENS1_36segmented_radix_sort_config_selectorIilEEZNS1_25segmented_radix_sort_implIS3_Lb1EPKiPiPKlPlN2at6native12_GLOBAL__N_18offset_tEEE10hipError_tPvRmT1_PNSt15iterator_traitsISK_E10value_typeET2_T3_PNSL_ISQ_E10value_typeET4_jRbjT5_SW_jjP12ihipStream_tbEUlT_E2_NS1_11comp_targetILNS1_3genE10ELNS1_11target_archE1200ELNS1_3gpuE4ELNS1_3repE0EEENS1_30default_config_static_selectorELNS0_4arch9wavefront6targetE0EEEvSK_
	.p2align	8
	.type	_ZN7rocprim17ROCPRIM_400000_NS6detail17trampoline_kernelINS0_14default_configENS1_36segmented_radix_sort_config_selectorIilEEZNS1_25segmented_radix_sort_implIS3_Lb1EPKiPiPKlPlN2at6native12_GLOBAL__N_18offset_tEEE10hipError_tPvRmT1_PNSt15iterator_traitsISK_E10value_typeET2_T3_PNSL_ISQ_E10value_typeET4_jRbjT5_SW_jjP12ihipStream_tbEUlT_E2_NS1_11comp_targetILNS1_3genE10ELNS1_11target_archE1200ELNS1_3gpuE4ELNS1_3repE0EEENS1_30default_config_static_selectorELNS0_4arch9wavefront6targetE0EEEvSK_,@function
_ZN7rocprim17ROCPRIM_400000_NS6detail17trampoline_kernelINS0_14default_configENS1_36segmented_radix_sort_config_selectorIilEEZNS1_25segmented_radix_sort_implIS3_Lb1EPKiPiPKlPlN2at6native12_GLOBAL__N_18offset_tEEE10hipError_tPvRmT1_PNSt15iterator_traitsISK_E10value_typeET2_T3_PNSL_ISQ_E10value_typeET4_jRbjT5_SW_jjP12ihipStream_tbEUlT_E2_NS1_11comp_targetILNS1_3genE10ELNS1_11target_archE1200ELNS1_3gpuE4ELNS1_3repE0EEENS1_30default_config_static_selectorELNS0_4arch9wavefront6targetE0EEEvSK_: ; @_ZN7rocprim17ROCPRIM_400000_NS6detail17trampoline_kernelINS0_14default_configENS1_36segmented_radix_sort_config_selectorIilEEZNS1_25segmented_radix_sort_implIS3_Lb1EPKiPiPKlPlN2at6native12_GLOBAL__N_18offset_tEEE10hipError_tPvRmT1_PNSt15iterator_traitsISK_E10value_typeET2_T3_PNSL_ISQ_E10value_typeET4_jRbjT5_SW_jjP12ihipStream_tbEUlT_E2_NS1_11comp_targetILNS1_3genE10ELNS1_11target_archE1200ELNS1_3gpuE4ELNS1_3repE0EEENS1_30default_config_static_selectorELNS0_4arch9wavefront6targetE0EEEvSK_
; %bb.0:
	.section	.rodata,"a",@progbits
	.p2align	6, 0x0
	.amdhsa_kernel _ZN7rocprim17ROCPRIM_400000_NS6detail17trampoline_kernelINS0_14default_configENS1_36segmented_radix_sort_config_selectorIilEEZNS1_25segmented_radix_sort_implIS3_Lb1EPKiPiPKlPlN2at6native12_GLOBAL__N_18offset_tEEE10hipError_tPvRmT1_PNSt15iterator_traitsISK_E10value_typeET2_T3_PNSL_ISQ_E10value_typeET4_jRbjT5_SW_jjP12ihipStream_tbEUlT_E2_NS1_11comp_targetILNS1_3genE10ELNS1_11target_archE1200ELNS1_3gpuE4ELNS1_3repE0EEENS1_30default_config_static_selectorELNS0_4arch9wavefront6targetE0EEEvSK_
		.amdhsa_group_segment_fixed_size 0
		.amdhsa_private_segment_fixed_size 0
		.amdhsa_kernarg_size 80
		.amdhsa_user_sgpr_count 15
		.amdhsa_user_sgpr_dispatch_ptr 0
		.amdhsa_user_sgpr_queue_ptr 0
		.amdhsa_user_sgpr_kernarg_segment_ptr 1
		.amdhsa_user_sgpr_dispatch_id 0
		.amdhsa_user_sgpr_private_segment_size 0
		.amdhsa_wavefront_size32 1
		.amdhsa_uses_dynamic_stack 0
		.amdhsa_enable_private_segment 0
		.amdhsa_system_sgpr_workgroup_id_x 1
		.amdhsa_system_sgpr_workgroup_id_y 0
		.amdhsa_system_sgpr_workgroup_id_z 0
		.amdhsa_system_sgpr_workgroup_info 0
		.amdhsa_system_vgpr_workitem_id 0
		.amdhsa_next_free_vgpr 1
		.amdhsa_next_free_sgpr 1
		.amdhsa_reserve_vcc 0
		.amdhsa_float_round_mode_32 0
		.amdhsa_float_round_mode_16_64 0
		.amdhsa_float_denorm_mode_32 3
		.amdhsa_float_denorm_mode_16_64 3
		.amdhsa_dx10_clamp 1
		.amdhsa_ieee_mode 1
		.amdhsa_fp16_overflow 0
		.amdhsa_workgroup_processor_mode 1
		.amdhsa_memory_ordered 1
		.amdhsa_forward_progress 0
		.amdhsa_shared_vgpr_count 0
		.amdhsa_exception_fp_ieee_invalid_op 0
		.amdhsa_exception_fp_denorm_src 0
		.amdhsa_exception_fp_ieee_div_zero 0
		.amdhsa_exception_fp_ieee_overflow 0
		.amdhsa_exception_fp_ieee_underflow 0
		.amdhsa_exception_fp_ieee_inexact 0
		.amdhsa_exception_int_div_zero 0
	.end_amdhsa_kernel
	.section	.text._ZN7rocprim17ROCPRIM_400000_NS6detail17trampoline_kernelINS0_14default_configENS1_36segmented_radix_sort_config_selectorIilEEZNS1_25segmented_radix_sort_implIS3_Lb1EPKiPiPKlPlN2at6native12_GLOBAL__N_18offset_tEEE10hipError_tPvRmT1_PNSt15iterator_traitsISK_E10value_typeET2_T3_PNSL_ISQ_E10value_typeET4_jRbjT5_SW_jjP12ihipStream_tbEUlT_E2_NS1_11comp_targetILNS1_3genE10ELNS1_11target_archE1200ELNS1_3gpuE4ELNS1_3repE0EEENS1_30default_config_static_selectorELNS0_4arch9wavefront6targetE0EEEvSK_,"axG",@progbits,_ZN7rocprim17ROCPRIM_400000_NS6detail17trampoline_kernelINS0_14default_configENS1_36segmented_radix_sort_config_selectorIilEEZNS1_25segmented_radix_sort_implIS3_Lb1EPKiPiPKlPlN2at6native12_GLOBAL__N_18offset_tEEE10hipError_tPvRmT1_PNSt15iterator_traitsISK_E10value_typeET2_T3_PNSL_ISQ_E10value_typeET4_jRbjT5_SW_jjP12ihipStream_tbEUlT_E2_NS1_11comp_targetILNS1_3genE10ELNS1_11target_archE1200ELNS1_3gpuE4ELNS1_3repE0EEENS1_30default_config_static_selectorELNS0_4arch9wavefront6targetE0EEEvSK_,comdat
.Lfunc_end533:
	.size	_ZN7rocprim17ROCPRIM_400000_NS6detail17trampoline_kernelINS0_14default_configENS1_36segmented_radix_sort_config_selectorIilEEZNS1_25segmented_radix_sort_implIS3_Lb1EPKiPiPKlPlN2at6native12_GLOBAL__N_18offset_tEEE10hipError_tPvRmT1_PNSt15iterator_traitsISK_E10value_typeET2_T3_PNSL_ISQ_E10value_typeET4_jRbjT5_SW_jjP12ihipStream_tbEUlT_E2_NS1_11comp_targetILNS1_3genE10ELNS1_11target_archE1200ELNS1_3gpuE4ELNS1_3repE0EEENS1_30default_config_static_selectorELNS0_4arch9wavefront6targetE0EEEvSK_, .Lfunc_end533-_ZN7rocprim17ROCPRIM_400000_NS6detail17trampoline_kernelINS0_14default_configENS1_36segmented_radix_sort_config_selectorIilEEZNS1_25segmented_radix_sort_implIS3_Lb1EPKiPiPKlPlN2at6native12_GLOBAL__N_18offset_tEEE10hipError_tPvRmT1_PNSt15iterator_traitsISK_E10value_typeET2_T3_PNSL_ISQ_E10value_typeET4_jRbjT5_SW_jjP12ihipStream_tbEUlT_E2_NS1_11comp_targetILNS1_3genE10ELNS1_11target_archE1200ELNS1_3gpuE4ELNS1_3repE0EEENS1_30default_config_static_selectorELNS0_4arch9wavefront6targetE0EEEvSK_
                                        ; -- End function
	.section	.AMDGPU.csdata,"",@progbits
; Kernel info:
; codeLenInByte = 0
; NumSgprs: 0
; NumVgprs: 0
; ScratchSize: 0
; MemoryBound: 0
; FloatMode: 240
; IeeeMode: 1
; LDSByteSize: 0 bytes/workgroup (compile time only)
; SGPRBlocks: 0
; VGPRBlocks: 0
; NumSGPRsForWavesPerEU: 1
; NumVGPRsForWavesPerEU: 1
; Occupancy: 16
; WaveLimiterHint : 0
; COMPUTE_PGM_RSRC2:SCRATCH_EN: 0
; COMPUTE_PGM_RSRC2:USER_SGPR: 15
; COMPUTE_PGM_RSRC2:TRAP_HANDLER: 0
; COMPUTE_PGM_RSRC2:TGID_X_EN: 1
; COMPUTE_PGM_RSRC2:TGID_Y_EN: 0
; COMPUTE_PGM_RSRC2:TGID_Z_EN: 0
; COMPUTE_PGM_RSRC2:TIDIG_COMP_CNT: 0
	.section	.text._ZN7rocprim17ROCPRIM_400000_NS6detail17trampoline_kernelINS0_14default_configENS1_36segmented_radix_sort_config_selectorIilEEZNS1_25segmented_radix_sort_implIS3_Lb1EPKiPiPKlPlN2at6native12_GLOBAL__N_18offset_tEEE10hipError_tPvRmT1_PNSt15iterator_traitsISK_E10value_typeET2_T3_PNSL_ISQ_E10value_typeET4_jRbjT5_SW_jjP12ihipStream_tbEUlT_E2_NS1_11comp_targetILNS1_3genE9ELNS1_11target_archE1100ELNS1_3gpuE3ELNS1_3repE0EEENS1_30default_config_static_selectorELNS0_4arch9wavefront6targetE0EEEvSK_,"axG",@progbits,_ZN7rocprim17ROCPRIM_400000_NS6detail17trampoline_kernelINS0_14default_configENS1_36segmented_radix_sort_config_selectorIilEEZNS1_25segmented_radix_sort_implIS3_Lb1EPKiPiPKlPlN2at6native12_GLOBAL__N_18offset_tEEE10hipError_tPvRmT1_PNSt15iterator_traitsISK_E10value_typeET2_T3_PNSL_ISQ_E10value_typeET4_jRbjT5_SW_jjP12ihipStream_tbEUlT_E2_NS1_11comp_targetILNS1_3genE9ELNS1_11target_archE1100ELNS1_3gpuE3ELNS1_3repE0EEENS1_30default_config_static_selectorELNS0_4arch9wavefront6targetE0EEEvSK_,comdat
	.globl	_ZN7rocprim17ROCPRIM_400000_NS6detail17trampoline_kernelINS0_14default_configENS1_36segmented_radix_sort_config_selectorIilEEZNS1_25segmented_radix_sort_implIS3_Lb1EPKiPiPKlPlN2at6native12_GLOBAL__N_18offset_tEEE10hipError_tPvRmT1_PNSt15iterator_traitsISK_E10value_typeET2_T3_PNSL_ISQ_E10value_typeET4_jRbjT5_SW_jjP12ihipStream_tbEUlT_E2_NS1_11comp_targetILNS1_3genE9ELNS1_11target_archE1100ELNS1_3gpuE3ELNS1_3repE0EEENS1_30default_config_static_selectorELNS0_4arch9wavefront6targetE0EEEvSK_ ; -- Begin function _ZN7rocprim17ROCPRIM_400000_NS6detail17trampoline_kernelINS0_14default_configENS1_36segmented_radix_sort_config_selectorIilEEZNS1_25segmented_radix_sort_implIS3_Lb1EPKiPiPKlPlN2at6native12_GLOBAL__N_18offset_tEEE10hipError_tPvRmT1_PNSt15iterator_traitsISK_E10value_typeET2_T3_PNSL_ISQ_E10value_typeET4_jRbjT5_SW_jjP12ihipStream_tbEUlT_E2_NS1_11comp_targetILNS1_3genE9ELNS1_11target_archE1100ELNS1_3gpuE3ELNS1_3repE0EEENS1_30default_config_static_selectorELNS0_4arch9wavefront6targetE0EEEvSK_
	.p2align	8
	.type	_ZN7rocprim17ROCPRIM_400000_NS6detail17trampoline_kernelINS0_14default_configENS1_36segmented_radix_sort_config_selectorIilEEZNS1_25segmented_radix_sort_implIS3_Lb1EPKiPiPKlPlN2at6native12_GLOBAL__N_18offset_tEEE10hipError_tPvRmT1_PNSt15iterator_traitsISK_E10value_typeET2_T3_PNSL_ISQ_E10value_typeET4_jRbjT5_SW_jjP12ihipStream_tbEUlT_E2_NS1_11comp_targetILNS1_3genE9ELNS1_11target_archE1100ELNS1_3gpuE3ELNS1_3repE0EEENS1_30default_config_static_selectorELNS0_4arch9wavefront6targetE0EEEvSK_,@function
_ZN7rocprim17ROCPRIM_400000_NS6detail17trampoline_kernelINS0_14default_configENS1_36segmented_radix_sort_config_selectorIilEEZNS1_25segmented_radix_sort_implIS3_Lb1EPKiPiPKlPlN2at6native12_GLOBAL__N_18offset_tEEE10hipError_tPvRmT1_PNSt15iterator_traitsISK_E10value_typeET2_T3_PNSL_ISQ_E10value_typeET4_jRbjT5_SW_jjP12ihipStream_tbEUlT_E2_NS1_11comp_targetILNS1_3genE9ELNS1_11target_archE1100ELNS1_3gpuE3ELNS1_3repE0EEENS1_30default_config_static_selectorELNS0_4arch9wavefront6targetE0EEEvSK_: ; @_ZN7rocprim17ROCPRIM_400000_NS6detail17trampoline_kernelINS0_14default_configENS1_36segmented_radix_sort_config_selectorIilEEZNS1_25segmented_radix_sort_implIS3_Lb1EPKiPiPKlPlN2at6native12_GLOBAL__N_18offset_tEEE10hipError_tPvRmT1_PNSt15iterator_traitsISK_E10value_typeET2_T3_PNSL_ISQ_E10value_typeET4_jRbjT5_SW_jjP12ihipStream_tbEUlT_E2_NS1_11comp_targetILNS1_3genE9ELNS1_11target_archE1100ELNS1_3gpuE3ELNS1_3repE0EEENS1_30default_config_static_selectorELNS0_4arch9wavefront6targetE0EEEvSK_
; %bb.0:
	s_load_b128 s[4:7], s[0:1], 0x34
	s_mov_b32 s32, 0
	s_waitcnt lgkmcnt(0)
	s_add_i32 s60, s5, s14
	s_add_i32 s61, s7, s14
	s_mul_i32 s60, s60, s4
	s_mul_i32 s61, s61, s6
	s_delay_alu instid0(SALU_CYCLE_1)
	s_cmp_le_u32 s61, s60
	s_cbranch_scc1 .LBB534_1198
; %bb.1:
	s_clause 0x3
	s_load_b32 s2, s[0:1], 0x30
	s_load_b128 s[52:55], s[0:1], 0x20
	s_load_b128 s[56:59], s[0:1], 0x44
	s_load_b256 s[44:51], s[0:1], 0x0
	s_waitcnt lgkmcnt(0)
	s_bitcmp1_b32 s2, 0
	s_mov_b32 s2, -1
	s_cselect_b32 s59, -1, 0
	s_sub_i32 s62, s61, s60
	s_delay_alu instid0(SALU_CYCLE_1)
	s_cmpk_lt_u32 s62, 0x1001
	s_cbranch_scc0 .LBB534_15
; %bb.2:
	s_cmp_lt_u32 s62, 33
	s_cbranch_scc0 .LBB534_9
; %bb.3:
	s_load_b32 s2, s[0:1], 0x5c
	v_bfe_u32 v1, v0, 10, 10
	v_bfe_u32 v2, v0, 20, 10
	s_mov_b32 s18, exec_lo
	s_waitcnt lgkmcnt(0)
	s_lshr_b32 s3, s2, 16
	s_and_b32 s2, s2, 0xffff
	v_mad_u32_u24 v4, v2, s3, v1
	v_and_b32_e32 v1, 0x3ff, v0
	s_delay_alu instid0(VALU_DEP_1) | instskip(NEXT) | instid1(VALU_DEP_1)
	v_mad_u64_u32 v[2:3], null, v4, s2, v[1:2]
	v_cmpx_gt_u32_e32 8, v2
	s_cbranch_execz .LBB534_8
; %bb.4:
	v_cndmask_b32_e64 v1, 0, 1, s59
	s_and_b32 s2, s56, 1
	s_delay_alu instid0(VALU_DEP_1) | instid1(SALU_CYCLE_1)
	v_cmp_ne_u32_e32 vcc_lo, s2, v1
	s_mov_b32 s2, -1
	s_cbranch_vccnz .LBB534_6
; %bb.5:
	s_mov_b64 s[2:3], src_shared_base
	v_mov_b32_e32 v31, v0
	v_dual_mov_b32 v40, v0 :: v_dual_mov_b32 v1, s45
	v_mov_b32_e32 v0, s44
	v_dual_mov_b32 v2, s48 :: v_dual_mov_b32 v3, s49
	v_dual_mov_b32 v4, s50 :: v_dual_mov_b32 v5, s51
	v_dual_mov_b32 v6, s54 :: v_dual_mov_b32 v7, s55
	v_dual_mov_b32 v8, s60 :: v_dual_mov_b32 v9, s61
	v_dual_mov_b32 v10, s57 :: v_dual_mov_b32 v11, s58
	v_dual_mov_b32 v12, 0 :: v_dual_mov_b32 v13, s3
	s_add_u32 s8, s0, 0x50
	s_addc_u32 s9, s1, 0
	s_mov_b32 s12, s14
	s_mov_b32 s13, s15
	s_getpc_b64 s[4:5]
	s_add_u32 s4, s4, _ZN7rocprim17ROCPRIM_400000_NS6detail26segmented_warp_sort_helperINS1_20WarpSortHelperConfigILj8ELj4ELj256EEEilLi256ELb1EvE4sortIPKiPiPKlPlEEvT_T0_T1_T2_jjjjRNS5_12storage_typeE@rel32@lo+4
	s_addc_u32 s5, s5, _ZN7rocprim17ROCPRIM_400000_NS6detail26segmented_warp_sort_helperINS1_20WarpSortHelperConfigILj8ELj4ELj256EEEilLi256ELb1EvE4sortIPKiPiPKlPlEEvT_T0_T1_T2_jjjjRNS5_12storage_typeE@rel32@hi+12
	s_mov_b64 s[16:17], s[0:1]
	s_mov_b32 s19, s14
	s_swappc_b64 s[30:31], s[4:5]
	v_mov_b32_e32 v0, v40
	s_mov_b32 s14, s19
	s_mov_b64 s[0:1], s[16:17]
	s_mov_b32 s2, 0
.LBB534_6:
	s_delay_alu instid0(SALU_CYCLE_1)
	s_and_not1_b32 vcc_lo, exec_lo, s2
	s_cbranch_vccnz .LBB534_8
; %bb.7:
	s_mov_b64 s[2:3], src_shared_base
	v_mov_b32_e32 v31, v0
	v_dual_mov_b32 v40, v0 :: v_dual_mov_b32 v1, s45
	v_mov_b32_e32 v0, s44
	v_dual_mov_b32 v2, s46 :: v_dual_mov_b32 v3, s47
	v_dual_mov_b32 v4, s50 :: v_dual_mov_b32 v5, s51
	;; [unrolled: 1-line block ×6, first 2 shown]
	s_add_u32 s8, s0, 0x50
	s_addc_u32 s9, s1, 0
	s_mov_b32 s12, s14
	s_mov_b32 s13, s15
	s_getpc_b64 s[4:5]
	s_add_u32 s4, s4, _ZN7rocprim17ROCPRIM_400000_NS6detail26segmented_warp_sort_helperINS1_20WarpSortHelperConfigILj8ELj4ELj256EEEilLi256ELb1EvE4sortIPKiPiPKlPlEEvT_T0_T1_T2_jjjjRNS5_12storage_typeE@rel32@lo+4
	s_addc_u32 s5, s5, _ZN7rocprim17ROCPRIM_400000_NS6detail26segmented_warp_sort_helperINS1_20WarpSortHelperConfigILj8ELj4ELj256EEEilLi256ELb1EvE4sortIPKiPiPKlPlEEvT_T0_T1_T2_jjjjRNS5_12storage_typeE@rel32@hi+12
	s_mov_b64 s[16:17], s[0:1]
	s_mov_b32 s19, s14
	s_swappc_b64 s[30:31], s[4:5]
	v_mov_b32_e32 v0, v40
	s_mov_b32 s14, s19
	s_mov_b64 s[0:1], s[16:17]
.LBB534_8:
	s_or_b32 exec_lo, exec_lo, s18
	s_mov_b32 s2, 0
.LBB534_9:
	s_delay_alu instid0(SALU_CYCLE_1)
	s_and_not1_b32 vcc_lo, exec_lo, s2
	s_cbranch_vccnz .LBB534_14
; %bb.10:
	v_cndmask_b32_e64 v1, 0, 1, s59
	s_and_b32 s2, s56, 1
	s_delay_alu instid0(VALU_DEP_1) | instid1(SALU_CYCLE_1)
	v_cmp_ne_u32_e32 vcc_lo, s2, v1
	s_mov_b32 s2, -1
	s_cbranch_vccnz .LBB534_12
; %bb.11:
	s_mov_b64 s[2:3], src_shared_base
	v_mov_b32_e32 v31, v0
	v_dual_mov_b32 v40, v0 :: v_dual_mov_b32 v1, s45
	v_mov_b32_e32 v0, s44
	v_dual_mov_b32 v2, s48 :: v_dual_mov_b32 v3, s49
	v_dual_mov_b32 v4, s50 :: v_dual_mov_b32 v5, s51
	;; [unrolled: 1-line block ×6, first 2 shown]
	s_add_u32 s8, s0, 0x50
	s_addc_u32 s9, s1, 0
	s_mov_b32 s12, s14
	s_mov_b32 s13, s15
	s_getpc_b64 s[4:5]
	s_add_u32 s4, s4, _ZN7rocprim17ROCPRIM_400000_NS6detail40segmented_radix_sort_single_block_helperIilLj256ELj16ELb1EE4sortIPKiPiPKlPlEEbT_T0_T1_T2_jjjjRNS3_12storage_typeE@rel32@lo+4
	s_addc_u32 s5, s5, _ZN7rocprim17ROCPRIM_400000_NS6detail40segmented_radix_sort_single_block_helperIilLj256ELj16ELb1EE4sortIPKiPiPKlPlEEbT_T0_T1_T2_jjjjRNS3_12storage_typeE@rel32@hi+12
	s_mov_b64 s[26:27], s[0:1]
	s_mov_b32 s28, s15
	s_mov_b32 s29, s14
	s_swappc_b64 s[30:31], s[4:5]
	v_mov_b32_e32 v0, v40
	s_mov_b32 s14, s29
	s_mov_b32 s15, s28
	s_mov_b64 s[0:1], s[26:27]
	s_mov_b32 s2, 0
.LBB534_12:
	s_delay_alu instid0(SALU_CYCLE_1)
	s_and_not1_b32 vcc_lo, exec_lo, s2
	s_cbranch_vccnz .LBB534_14
; %bb.13:
	s_mov_b64 s[2:3], src_shared_base
	v_mov_b32_e32 v31, v0
	v_dual_mov_b32 v40, v0 :: v_dual_mov_b32 v1, s45
	v_mov_b32_e32 v0, s44
	v_dual_mov_b32 v2, s46 :: v_dual_mov_b32 v3, s47
	v_dual_mov_b32 v4, s50 :: v_dual_mov_b32 v5, s51
	;; [unrolled: 1-line block ×6, first 2 shown]
	s_add_u32 s8, s0, 0x50
	s_addc_u32 s9, s1, 0
	s_mov_b32 s12, s14
	s_mov_b32 s13, s15
	s_getpc_b64 s[4:5]
	s_add_u32 s4, s4, _ZN7rocprim17ROCPRIM_400000_NS6detail40segmented_radix_sort_single_block_helperIilLj256ELj16ELb1EE4sortIPKiPiPKlPlEEbT_T0_T1_T2_jjjjRNS3_12storage_typeE@rel32@lo+4
	s_addc_u32 s5, s5, _ZN7rocprim17ROCPRIM_400000_NS6detail40segmented_radix_sort_single_block_helperIilLj256ELj16ELb1EE4sortIPKiPiPKlPlEEbT_T0_T1_T2_jjjjRNS3_12storage_typeE@rel32@hi+12
	s_mov_b64 s[26:27], s[0:1]
	s_mov_b32 s29, s15
	s_mov_b32 s28, s14
	s_swappc_b64 s[30:31], s[4:5]
	v_mov_b32_e32 v0, v40
	s_mov_b32 s14, s28
	s_mov_b32 s15, s29
	s_mov_b64 s[0:1], s[26:27]
.LBB534_14:
	s_mov_b32 s2, 0
.LBB534_15:
	s_delay_alu instid0(SALU_CYCLE_1)
	s_and_not1_b32 vcc_lo, exec_lo, s2
	s_cbranch_vccnz .LBB534_1198
; %bb.16:
	s_cmp_ge_u32 s57, s58
	s_cbranch_scc1 .LBB534_1198
; %bb.17:
	v_dual_mov_b32 v92, 1 :: v_dual_and_b32 v1, 0x3ff, v0
	v_mov_b32_e32 v3, 0
	v_bfe_u32 v69, v0, 20, 10
	v_bfe_u32 v0, v0, 10, 10
	s_delay_alu instid0(VALU_DEP_4)
	v_lshlrev_b32_e32 v44, 2, v1
	v_lshrrev_b32_e32 v2, 3, v1
	v_or_b32_e32 v4, 31, v1
	v_lshlrev_b32_e32 v5, 5, v1
	v_or_b32_e32 v51, 0x400, v1
	v_or_b32_e32 v52, 0x500, v1
	v_and_b32_e32 v62, 28, v2
	v_lshlrev_b32_e32 v2, 4, v1
	v_cmp_eq_u32_e64 s3, v4, v1
	v_add_nc_u32_e32 v4, 1, v1
	v_sub_nc_u32_e32 v72, 0, v5
	v_or_b32_e32 v53, 0x600, v1
	v_and_b32_e32 v68, 0xe00, v2
	v_mul_u32_u24_e32 v2, 9, v1
	v_or_b32_e32 v54, 0x700, v1
	v_or_b32_e32 v55, 0x800, v1
	;; [unrolled: 1-line block ×3, first 2 shown]
	v_lshlrev_b32_e32 v5, 3, v68
	v_lshl_add_u32 v71, v2, 2, 0x420
	v_mul_u32_u24_e32 v2, 9, v4
	v_or_b32_e32 v57, 0xa00, v1
	v_or_b32_e32 v58, 0xb00, v1
	v_add_co_u32 v74, s8, s54, v5
	s_delay_alu instid0(VALU_DEP_4) | instskip(SKIP_4) | instid1(VALU_DEP_4)
	v_lshlrev_b32_e32 v73, 2, v2
	v_lshlrev_b32_e32 v2, 2, v68
	v_add_co_ci_u32_e64 v75, null, s55, 0, s8
	v_or_b32_e32 v59, 0xc00, v1
	v_or_b32_e32 v60, 0xd00, v1
	v_add_co_u32 v76, s8, s48, v2
	s_delay_alu instid0(VALU_DEP_1) | instskip(SKIP_1) | instid1(VALU_DEP_1)
	v_add_co_ci_u32_e64 v77, null, s49, 0, s8
	v_add_co_u32 v80, s8, s46, v44
	v_add_co_ci_u32_e64 v81, null, s47, 0, s8
	v_add_co_u32 v82, s8, s52, v5
	s_delay_alu instid0(VALU_DEP_1) | instskip(SKIP_1) | instid1(VALU_DEP_1)
	v_add_co_ci_u32_e64 v83, null, s53, 0, s8
	v_add_co_u32 v84, s8, s46, v2
	v_add_co_ci_u32_e64 v85, null, s47, 0, s8
	v_add_co_u32 v86, s8, s44, v44
	v_or_b32_e32 v61, 0xe00, v1
	v_or_b32_e32 v63, 0xf00, v1
	v_mad_u32_u24 v64, v1, 12, v44
	v_add_co_ci_u32_e64 v87, null, s45, 0, s8
	v_add_co_u32 v88, s8, s50, v5
	v_add_co_u32 v49, s2, s48, v44
	v_add_co_ci_u32_e64 v89, null, s51, 0, s8
	v_add_co_u32 v90, s8, s44, v2
	v_or_b32_e32 v45, 0x100, v1
	v_or_b32_e32 v46, 0x200, v1
	;; [unrolled: 1-line block ×3, first 2 shown]
	v_and_b32_e32 v48, 3, v1
	v_add_co_ci_u32_e64 v50, null, s49, 0, s2
	v_cmp_gt_u32_e64 s2, 0x100, v1
	v_or_b32_e32 v65, 0x8400, v62
	v_cmp_gt_u32_e64 s4, 8, v1
	v_add_nc_u32_e32 v66, 0x8400, v44
	v_cmp_lt_u32_e64 s5, 31, v1
	v_add_nc_u32_e32 v67, 0x83fc, v62
	v_mad_u32_u24 v70, v1, 20, v64
	v_cmp_eq_u32_e64 s6, 0, v1
	v_cmp_ne_u32_e64 s7, 0x100, v4
	v_add_nc_u32_e32 v78, 0x400, v44
	v_lshlrev_b32_e32 v79, 3, v1
	v_add_co_ci_u32_e64 v91, null, s45, 0, s8
	v_lshlrev_b32_e32 v93, 2, v1
	v_lshlrev_b32_e32 v94, 2, v51
	;; [unrolled: 1-line block ×13, first 2 shown]
	v_mbcnt_lo_u32_b32 v106, -1, 0
	s_add_u32 s36, s0, 0x50
	s_mov_b32 s35, 0
	s_addc_u32 s37, s1, 0
	s_mov_b32 s38, s57
	s_branch .LBB534_20
.LBB534_18:                             ;   in Loop: Header=BB534_20 Depth=1
	s_waitcnt lgkmcnt(0)
	s_barrier
.LBB534_19:                             ;   in Loop: Header=BB534_20 Depth=1
	s_add_i32 s38, s38, 8
	buffer_gl0_inv
	s_cmp_ge_u32 s38, s58
	s_cbranch_scc1 .LBB534_1198
.LBB534_20:                             ; =>This Loop Header: Depth=1
                                        ;     Child Loop BB534_24 Depth 2
                                        ;     Child Loop BB534_106 Depth 2
	;; [unrolled: 1-line block ×8, first 2 shown]
	s_sub_i32 s0, s58, s38
	s_xor_b32 s59, s59, -1
	s_min_u32 s0, s0, 8
	ds_store_2addr_stride64_b32 v44, v3, v3 offset1:4
	s_lshl_b32 s0, -1, s0
	ds_store_2addr_stride64_b32 v44, v3, v3 offset0:8 offset1:12
	s_not_b32 s39, s0
	s_cmp_lg_u32 s38, s57
	s_mov_b32 s0, -1
	s_waitcnt lgkmcnt(0)
	s_waitcnt_vscnt null, 0x0
	s_cbranch_scc0 .LBB534_610
; %bb.21:                               ;   in Loop: Header=BB534_20 Depth=1
	s_and_b32 vcc_lo, exec_lo, s59
	s_cbranch_vccz .LBB534_315
; %bb.22:                               ;   in Loop: Header=BB534_20 Depth=1
	s_mov_b32 s8, s62
	s_mov_b32 s34, s60
	s_barrier
	buffer_gl0_inv
                                        ; implicit-def: $vgpr20
                                        ; implicit-def: $vgpr2
                                        ; implicit-def: $vgpr6
                                        ; implicit-def: $vgpr7
                                        ; implicit-def: $vgpr8
                                        ; implicit-def: $vgpr9
                                        ; implicit-def: $vgpr10
                                        ; implicit-def: $vgpr11
                                        ; implicit-def: $vgpr12
                                        ; implicit-def: $vgpr13
                                        ; implicit-def: $vgpr14
                                        ; implicit-def: $vgpr15
                                        ; implicit-def: $vgpr16
                                        ; implicit-def: $vgpr17
                                        ; implicit-def: $vgpr18
                                        ; implicit-def: $vgpr19
	s_branch .LBB534_24
.LBB534_23:                             ;   in Loop: Header=BB534_24 Depth=2
	s_or_b32 exec_lo, exec_lo, s0
	s_addk_i32 s8, 0xf000
	s_cmp_ge_u32 s9, s61
	s_mov_b32 s34, s9
	s_cbranch_scc1 .LBB534_94
.LBB534_24:                             ;   Parent Loop BB534_20 Depth=1
                                        ; =>  This Inner Loop Header: Depth=2
	s_add_i32 s9, s34, 0x1000
	s_delay_alu instid0(SALU_CYCLE_1)
	s_cmp_gt_u32 s9, s61
	s_cbranch_scc1 .LBB534_27
; %bb.25:                               ;   in Loop: Header=BB534_24 Depth=2
	s_mov_b32 s1, 0
	s_mov_b32 s0, s34
	s_delay_alu instid0(SALU_CYCLE_1) | instskip(NEXT) | instid1(SALU_CYCLE_1)
	s_lshl_b64 s[10:11], s[0:1], 2
	v_add_co_u32 v4, vcc_lo, v49, s10
	v_add_co_ci_u32_e32 v5, vcc_lo, s11, v50, vcc_lo
	s_movk_i32 s11, 0x1000
	s_waitcnt vmcnt(1)
	s_delay_alu instid0(VALU_DEP_2) | instskip(NEXT) | instid1(VALU_DEP_2)
	v_add_co_u32 v29, vcc_lo, 0x1000, v4
	v_add_co_ci_u32_e32 v30, vcc_lo, 0, v5, vcc_lo
	s_waitcnt vmcnt(0)
	v_add_co_u32 v36, vcc_lo, v4, 0x2000
	v_add_co_ci_u32_e32 v37, vcc_lo, 0, v5, vcc_lo
	v_add_co_u32 v33, vcc_lo, 0x2000, v4
	v_add_co_ci_u32_e32 v34, vcc_lo, 0, v5, vcc_lo
	v_add_co_u32 v38, vcc_lo, 0x3000, v4
	global_load_b32 v26, v[36:37], off
	v_add_co_ci_u32_e32 v39, vcc_lo, 0, v5, vcc_lo
	s_clause 0xd
	global_load_b32 v22, v[4:5], off
	global_load_b32 v23, v[4:5], off offset:1024
	global_load_b32 v24, v[4:5], off offset:2048
	;; [unrolled: 1-line block ×9, first 2 shown]
	global_load_b32 v34, v[38:39], off
	global_load_b32 v35, v[38:39], off offset:1024
	global_load_b32 v29, v[36:37], off offset:-4096
	global_load_b32 v36, v[38:39], off offset:2048
	v_add_co_u32 v4, vcc_lo, 0x3c00, v4
	v_add_co_ci_u32_e32 v5, vcc_lo, 0, v5, vcc_lo
	s_mov_b32 s10, -1
	s_cbranch_execz .LBB534_28
; %bb.26:                               ;   in Loop: Header=BB534_24 Depth=2
                                        ; implicit-def: $vgpr19
                                        ; implicit-def: $vgpr18
                                        ; implicit-def: $vgpr17
                                        ; implicit-def: $vgpr16
                                        ; implicit-def: $vgpr15
                                        ; implicit-def: $vgpr14
                                        ; implicit-def: $vgpr13
                                        ; implicit-def: $vgpr12
                                        ; implicit-def: $vgpr11
                                        ; implicit-def: $vgpr10
                                        ; implicit-def: $vgpr9
                                        ; implicit-def: $vgpr8
                                        ; implicit-def: $vgpr7
                                        ; implicit-def: $vgpr6
                                        ; implicit-def: $vgpr2
                                        ; implicit-def: $vgpr20
	v_mov_b32_e32 v21, s8
	s_and_saveexec_b32 s0, s10
	s_cbranch_execnz .LBB534_47
	s_branch .LBB534_48
.LBB534_27:                             ;   in Loop: Header=BB534_24 Depth=2
	s_mov_b32 s10, 0
                                        ; implicit-def: $sgpr11
                                        ; implicit-def: $vgpr22
                                        ; implicit-def: $vgpr23
                                        ; implicit-def: $vgpr24
                                        ; implicit-def: $vgpr25
                                        ; implicit-def: $vgpr29
                                        ; implicit-def: $vgpr27
                                        ; implicit-def: $vgpr28
                                        ; implicit-def: $vgpr30
                                        ; implicit-def: $vgpr26
                                        ; implicit-def: $vgpr31
                                        ; implicit-def: $vgpr32
                                        ; implicit-def: $vgpr33
                                        ; implicit-def: $vgpr34
                                        ; implicit-def: $vgpr35
                                        ; implicit-def: $vgpr36
                                        ; implicit-def: $vgpr4_vgpr5
.LBB534_28:                             ;   in Loop: Header=BB534_24 Depth=2
	s_lshl_b64 s[0:1], s[34:35], 2
	s_mov_b32 s11, exec_lo
	s_add_u32 s0, s48, s0
	s_addc_u32 s1, s49, s1
	v_cmpx_gt_u32_e64 s8, v1
	s_cbranch_execz .LBB534_80
; %bb.29:                               ;   in Loop: Header=BB534_24 Depth=2
	global_load_b32 v19, v93, s[0:1]
	s_or_b32 exec_lo, exec_lo, s11
	s_delay_alu instid0(SALU_CYCLE_1)
	s_mov_b32 s11, exec_lo
	v_cmpx_gt_u32_e64 s8, v45
	s_cbranch_execnz .LBB534_81
.LBB534_30:                             ;   in Loop: Header=BB534_24 Depth=2
	s_or_b32 exec_lo, exec_lo, s11
	s_delay_alu instid0(SALU_CYCLE_1)
	s_mov_b32 s11, exec_lo
	v_cmpx_gt_u32_e64 s8, v46
	s_cbranch_execz .LBB534_82
.LBB534_31:                             ;   in Loop: Header=BB534_24 Depth=2
	global_load_b32 v17, v93, s[0:1] offset:2048
	s_or_b32 exec_lo, exec_lo, s11
	s_delay_alu instid0(SALU_CYCLE_1)
	s_mov_b32 s11, exec_lo
	v_cmpx_gt_u32_e64 s8, v47
	s_cbranch_execnz .LBB534_83
.LBB534_32:                             ;   in Loop: Header=BB534_24 Depth=2
	s_or_b32 exec_lo, exec_lo, s11
	s_delay_alu instid0(SALU_CYCLE_1)
	s_mov_b32 s11, exec_lo
	v_cmpx_gt_u32_e64 s8, v51
	s_cbranch_execz .LBB534_84
.LBB534_33:                             ;   in Loop: Header=BB534_24 Depth=2
	global_load_b32 v15, v94, s[0:1]
	s_or_b32 exec_lo, exec_lo, s11
	s_delay_alu instid0(SALU_CYCLE_1)
	s_mov_b32 s11, exec_lo
	v_cmpx_gt_u32_e64 s8, v52
	s_cbranch_execnz .LBB534_85
.LBB534_34:                             ;   in Loop: Header=BB534_24 Depth=2
	s_or_b32 exec_lo, exec_lo, s11
	s_delay_alu instid0(SALU_CYCLE_1)
	s_mov_b32 s11, exec_lo
	v_cmpx_gt_u32_e64 s8, v53
	s_cbranch_execz .LBB534_86
.LBB534_35:                             ;   in Loop: Header=BB534_24 Depth=2
	global_load_b32 v13, v96, s[0:1]
	s_or_b32 exec_lo, exec_lo, s11
	s_delay_alu instid0(SALU_CYCLE_1)
	s_mov_b32 s11, exec_lo
	v_cmpx_gt_u32_e64 s8, v54
	s_cbranch_execnz .LBB534_87
.LBB534_36:                             ;   in Loop: Header=BB534_24 Depth=2
	s_or_b32 exec_lo, exec_lo, s11
	s_delay_alu instid0(SALU_CYCLE_1)
	s_mov_b32 s11, exec_lo
	v_cmpx_gt_u32_e64 s8, v55
	s_cbranch_execz .LBB534_88
.LBB534_37:                             ;   in Loop: Header=BB534_24 Depth=2
	global_load_b32 v11, v98, s[0:1]
	s_or_b32 exec_lo, exec_lo, s11
	s_delay_alu instid0(SALU_CYCLE_1)
	s_mov_b32 s11, exec_lo
	v_cmpx_gt_u32_e64 s8, v56
	s_cbranch_execnz .LBB534_89
.LBB534_38:                             ;   in Loop: Header=BB534_24 Depth=2
	s_or_b32 exec_lo, exec_lo, s11
	s_delay_alu instid0(SALU_CYCLE_1)
	s_mov_b32 s11, exec_lo
	v_cmpx_gt_u32_e64 s8, v57
	s_cbranch_execz .LBB534_90
.LBB534_39:                             ;   in Loop: Header=BB534_24 Depth=2
	global_load_b32 v9, v100, s[0:1]
	s_or_b32 exec_lo, exec_lo, s11
	s_delay_alu instid0(SALU_CYCLE_1)
	s_mov_b32 s11, exec_lo
	v_cmpx_gt_u32_e64 s8, v58
	s_cbranch_execnz .LBB534_91
.LBB534_40:                             ;   in Loop: Header=BB534_24 Depth=2
	s_or_b32 exec_lo, exec_lo, s11
	s_delay_alu instid0(SALU_CYCLE_1)
	s_mov_b32 s11, exec_lo
	v_cmpx_gt_u32_e64 s8, v59
	s_cbranch_execz .LBB534_92
.LBB534_41:                             ;   in Loop: Header=BB534_24 Depth=2
	global_load_b32 v7, v102, s[0:1]
	s_or_b32 exec_lo, exec_lo, s11
	s_delay_alu instid0(SALU_CYCLE_1)
	s_mov_b32 s11, exec_lo
	v_cmpx_gt_u32_e64 s8, v60
	s_cbranch_execnz .LBB534_93
.LBB534_42:                             ;   in Loop: Header=BB534_24 Depth=2
	s_or_b32 exec_lo, exec_lo, s11
	s_delay_alu instid0(SALU_CYCLE_1)
	s_mov_b32 s11, exec_lo
	v_cmpx_gt_u32_e64 s8, v61
	s_cbranch_execz .LBB534_44
.LBB534_43:                             ;   in Loop: Header=BB534_24 Depth=2
	global_load_b32 v2, v104, s[0:1]
.LBB534_44:                             ;   in Loop: Header=BB534_24 Depth=2
	s_or_b32 exec_lo, exec_lo, s11
	s_delay_alu instid0(SALU_CYCLE_1)
	s_mov_b32 s12, exec_lo
                                        ; implicit-def: $sgpr11
                                        ; implicit-def: $vgpr4_vgpr5
	v_cmpx_gt_u32_e64 s8, v63
; %bb.45:                               ;   in Loop: Header=BB534_24 Depth=2
	v_add_co_u32 v4, s0, s0, v105
	s_delay_alu instid0(VALU_DEP_1)
	v_add_co_ci_u32_e64 v5, null, s1, 0, s0
	s_sub_i32 s11, s61, s34
	s_or_b32 s10, s10, exec_lo
                                        ; implicit-def: $vgpr20
; %bb.46:                               ;   in Loop: Header=BB534_24 Depth=2
	s_or_b32 exec_lo, exec_lo, s12
	s_waitcnt vmcnt(0)
	v_dual_mov_b32 v22, v19 :: v_dual_mov_b32 v23, v18
	v_dual_mov_b32 v24, v17 :: v_dual_mov_b32 v25, v16
	;; [unrolled: 1-line block ×8, first 2 shown]
	s_and_saveexec_b32 s0, s10
	s_cbranch_execz .LBB534_48
.LBB534_47:                             ;   in Loop: Header=BB534_24 Depth=2
	global_load_b32 v20, v[4:5], off
	s_waitcnt vmcnt(1)
	v_dual_mov_b32 v21, s11 :: v_dual_mov_b32 v2, v36
	v_dual_mov_b32 v6, v35 :: v_dual_mov_b32 v7, v34
	;; [unrolled: 1-line block ×8, first 2 shown]
.LBB534_48:                             ;   in Loop: Header=BB534_24 Depth=2
	s_or_b32 exec_lo, exec_lo, s0
	s_delay_alu instid0(SALU_CYCLE_1)
	s_mov_b32 s0, exec_lo
	v_cmpx_lt_u32_e64 v1, v21
	s_cbranch_execz .LBB534_64
; %bb.49:                               ;   in Loop: Header=BB534_24 Depth=2
	v_xor_b32_e32 v4, 0x7fffffff, v19
	v_lshlrev_b32_e32 v5, 2, v48
	s_delay_alu instid0(VALU_DEP_2) | instskip(NEXT) | instid1(VALU_DEP_1)
	v_lshrrev_b32_e32 v4, s38, v4
	v_and_b32_e32 v4, s39, v4
	s_delay_alu instid0(VALU_DEP_1) | instskip(SKIP_2) | instid1(SALU_CYCLE_1)
	v_lshl_or_b32 v4, v4, 4, v5
	ds_add_u32 v4, v92
	s_or_b32 exec_lo, exec_lo, s0
	s_mov_b32 s0, exec_lo
	v_cmpx_lt_u32_e64 v45, v21
	s_cbranch_execnz .LBB534_65
.LBB534_50:                             ;   in Loop: Header=BB534_24 Depth=2
	s_or_b32 exec_lo, exec_lo, s0
	s_delay_alu instid0(SALU_CYCLE_1)
	s_mov_b32 s0, exec_lo
	v_cmpx_lt_u32_e64 v46, v21
	s_cbranch_execz .LBB534_66
.LBB534_51:                             ;   in Loop: Header=BB534_24 Depth=2
	v_xor_b32_e32 v4, 0x7fffffff, v17
	v_lshlrev_b32_e32 v5, 2, v48
	s_delay_alu instid0(VALU_DEP_2) | instskip(NEXT) | instid1(VALU_DEP_1)
	v_lshrrev_b32_e32 v4, s38, v4
	v_and_b32_e32 v4, s39, v4
	s_delay_alu instid0(VALU_DEP_1) | instskip(SKIP_2) | instid1(SALU_CYCLE_1)
	v_lshl_or_b32 v4, v4, 4, v5
	ds_add_u32 v4, v92
	s_or_b32 exec_lo, exec_lo, s0
	s_mov_b32 s0, exec_lo
	v_cmpx_lt_u32_e64 v47, v21
	s_cbranch_execnz .LBB534_67
.LBB534_52:                             ;   in Loop: Header=BB534_24 Depth=2
	s_or_b32 exec_lo, exec_lo, s0
	s_delay_alu instid0(SALU_CYCLE_1)
	s_mov_b32 s0, exec_lo
	v_cmpx_lt_u32_e64 v51, v21
	s_cbranch_execz .LBB534_68
.LBB534_53:                             ;   in Loop: Header=BB534_24 Depth=2
	v_xor_b32_e32 v4, 0x7fffffff, v15
	v_lshlrev_b32_e32 v5, 2, v48
	s_delay_alu instid0(VALU_DEP_2) | instskip(NEXT) | instid1(VALU_DEP_1)
	v_lshrrev_b32_e32 v4, s38, v4
	v_and_b32_e32 v4, s39, v4
	s_delay_alu instid0(VALU_DEP_1) | instskip(SKIP_2) | instid1(SALU_CYCLE_1)
	v_lshl_or_b32 v4, v4, 4, v5
	ds_add_u32 v4, v92
	s_or_b32 exec_lo, exec_lo, s0
	s_mov_b32 s0, exec_lo
	v_cmpx_lt_u32_e64 v52, v21
	s_cbranch_execnz .LBB534_69
.LBB534_54:                             ;   in Loop: Header=BB534_24 Depth=2
	s_or_b32 exec_lo, exec_lo, s0
	s_delay_alu instid0(SALU_CYCLE_1)
	s_mov_b32 s0, exec_lo
	v_cmpx_lt_u32_e64 v53, v21
	s_cbranch_execz .LBB534_70
.LBB534_55:                             ;   in Loop: Header=BB534_24 Depth=2
	v_xor_b32_e32 v4, 0x7fffffff, v13
	v_lshlrev_b32_e32 v5, 2, v48
	s_delay_alu instid0(VALU_DEP_2) | instskip(NEXT) | instid1(VALU_DEP_1)
	v_lshrrev_b32_e32 v4, s38, v4
	v_and_b32_e32 v4, s39, v4
	s_delay_alu instid0(VALU_DEP_1) | instskip(SKIP_2) | instid1(SALU_CYCLE_1)
	v_lshl_or_b32 v4, v4, 4, v5
	ds_add_u32 v4, v92
	s_or_b32 exec_lo, exec_lo, s0
	s_mov_b32 s0, exec_lo
	v_cmpx_lt_u32_e64 v54, v21
	s_cbranch_execnz .LBB534_71
.LBB534_56:                             ;   in Loop: Header=BB534_24 Depth=2
	s_or_b32 exec_lo, exec_lo, s0
	s_delay_alu instid0(SALU_CYCLE_1)
	s_mov_b32 s0, exec_lo
	v_cmpx_lt_u32_e64 v55, v21
	s_cbranch_execz .LBB534_72
.LBB534_57:                             ;   in Loop: Header=BB534_24 Depth=2
	v_xor_b32_e32 v4, 0x7fffffff, v11
	v_lshlrev_b32_e32 v5, 2, v48
	s_delay_alu instid0(VALU_DEP_2) | instskip(NEXT) | instid1(VALU_DEP_1)
	v_lshrrev_b32_e32 v4, s38, v4
	v_and_b32_e32 v4, s39, v4
	s_delay_alu instid0(VALU_DEP_1) | instskip(SKIP_2) | instid1(SALU_CYCLE_1)
	v_lshl_or_b32 v4, v4, 4, v5
	ds_add_u32 v4, v92
	s_or_b32 exec_lo, exec_lo, s0
	s_mov_b32 s0, exec_lo
	v_cmpx_lt_u32_e64 v56, v21
	s_cbranch_execnz .LBB534_73
.LBB534_58:                             ;   in Loop: Header=BB534_24 Depth=2
	s_or_b32 exec_lo, exec_lo, s0
	s_delay_alu instid0(SALU_CYCLE_1)
	s_mov_b32 s0, exec_lo
	v_cmpx_lt_u32_e64 v57, v21
	s_cbranch_execz .LBB534_74
.LBB534_59:                             ;   in Loop: Header=BB534_24 Depth=2
	v_xor_b32_e32 v4, 0x7fffffff, v9
	v_lshlrev_b32_e32 v5, 2, v48
	s_delay_alu instid0(VALU_DEP_2) | instskip(NEXT) | instid1(VALU_DEP_1)
	v_lshrrev_b32_e32 v4, s38, v4
	v_and_b32_e32 v4, s39, v4
	s_delay_alu instid0(VALU_DEP_1) | instskip(SKIP_2) | instid1(SALU_CYCLE_1)
	v_lshl_or_b32 v4, v4, 4, v5
	ds_add_u32 v4, v92
	s_or_b32 exec_lo, exec_lo, s0
	s_mov_b32 s0, exec_lo
	v_cmpx_lt_u32_e64 v58, v21
	s_cbranch_execnz .LBB534_75
.LBB534_60:                             ;   in Loop: Header=BB534_24 Depth=2
	s_or_b32 exec_lo, exec_lo, s0
	s_delay_alu instid0(SALU_CYCLE_1)
	s_mov_b32 s0, exec_lo
	v_cmpx_lt_u32_e64 v59, v21
	s_cbranch_execz .LBB534_76
.LBB534_61:                             ;   in Loop: Header=BB534_24 Depth=2
	v_xor_b32_e32 v4, 0x7fffffff, v7
	v_lshlrev_b32_e32 v5, 2, v48
	s_delay_alu instid0(VALU_DEP_2) | instskip(NEXT) | instid1(VALU_DEP_1)
	v_lshrrev_b32_e32 v4, s38, v4
	v_and_b32_e32 v4, s39, v4
	s_delay_alu instid0(VALU_DEP_1) | instskip(SKIP_2) | instid1(SALU_CYCLE_1)
	v_lshl_or_b32 v4, v4, 4, v5
	ds_add_u32 v4, v92
	s_or_b32 exec_lo, exec_lo, s0
	s_mov_b32 s0, exec_lo
	v_cmpx_lt_u32_e64 v60, v21
	s_cbranch_execnz .LBB534_77
.LBB534_62:                             ;   in Loop: Header=BB534_24 Depth=2
	s_or_b32 exec_lo, exec_lo, s0
	s_delay_alu instid0(SALU_CYCLE_1)
	s_mov_b32 s0, exec_lo
	v_cmpx_lt_u32_e64 v61, v21
	s_cbranch_execz .LBB534_78
.LBB534_63:                             ;   in Loop: Header=BB534_24 Depth=2
	v_xor_b32_e32 v4, 0x7fffffff, v2
	v_lshlrev_b32_e32 v5, 2, v48
	s_delay_alu instid0(VALU_DEP_2) | instskip(NEXT) | instid1(VALU_DEP_1)
	v_lshrrev_b32_e32 v4, s38, v4
	v_and_b32_e32 v4, s39, v4
	s_delay_alu instid0(VALU_DEP_1) | instskip(SKIP_2) | instid1(SALU_CYCLE_1)
	v_lshl_or_b32 v4, v4, 4, v5
	ds_add_u32 v4, v92
	s_or_b32 exec_lo, exec_lo, s0
	s_mov_b32 s0, exec_lo
	v_cmpx_lt_u32_e64 v63, v21
	s_cbranch_execz .LBB534_23
	s_branch .LBB534_79
.LBB534_64:                             ;   in Loop: Header=BB534_24 Depth=2
	s_or_b32 exec_lo, exec_lo, s0
	s_delay_alu instid0(SALU_CYCLE_1)
	s_mov_b32 s0, exec_lo
	v_cmpx_lt_u32_e64 v45, v21
	s_cbranch_execz .LBB534_50
.LBB534_65:                             ;   in Loop: Header=BB534_24 Depth=2
	v_xor_b32_e32 v4, 0x7fffffff, v18
	v_lshlrev_b32_e32 v5, 2, v48
	s_delay_alu instid0(VALU_DEP_2) | instskip(NEXT) | instid1(VALU_DEP_1)
	v_lshrrev_b32_e32 v4, s38, v4
	v_and_b32_e32 v4, s39, v4
	s_delay_alu instid0(VALU_DEP_1) | instskip(SKIP_2) | instid1(SALU_CYCLE_1)
	v_lshl_or_b32 v4, v4, 4, v5
	ds_add_u32 v4, v92
	s_or_b32 exec_lo, exec_lo, s0
	s_mov_b32 s0, exec_lo
	v_cmpx_lt_u32_e64 v46, v21
	s_cbranch_execnz .LBB534_51
.LBB534_66:                             ;   in Loop: Header=BB534_24 Depth=2
	s_or_b32 exec_lo, exec_lo, s0
	s_delay_alu instid0(SALU_CYCLE_1)
	s_mov_b32 s0, exec_lo
	v_cmpx_lt_u32_e64 v47, v21
	s_cbranch_execz .LBB534_52
.LBB534_67:                             ;   in Loop: Header=BB534_24 Depth=2
	v_xor_b32_e32 v4, 0x7fffffff, v16
	v_lshlrev_b32_e32 v5, 2, v48
	s_delay_alu instid0(VALU_DEP_2) | instskip(NEXT) | instid1(VALU_DEP_1)
	v_lshrrev_b32_e32 v4, s38, v4
	v_and_b32_e32 v4, s39, v4
	s_delay_alu instid0(VALU_DEP_1) | instskip(SKIP_2) | instid1(SALU_CYCLE_1)
	v_lshl_or_b32 v4, v4, 4, v5
	ds_add_u32 v4, v92
	s_or_b32 exec_lo, exec_lo, s0
	s_mov_b32 s0, exec_lo
	v_cmpx_lt_u32_e64 v51, v21
	s_cbranch_execnz .LBB534_53
.LBB534_68:                             ;   in Loop: Header=BB534_24 Depth=2
	s_or_b32 exec_lo, exec_lo, s0
	s_delay_alu instid0(SALU_CYCLE_1)
	s_mov_b32 s0, exec_lo
	v_cmpx_lt_u32_e64 v52, v21
	s_cbranch_execz .LBB534_54
.LBB534_69:                             ;   in Loop: Header=BB534_24 Depth=2
	v_xor_b32_e32 v4, 0x7fffffff, v14
	v_lshlrev_b32_e32 v5, 2, v48
	s_delay_alu instid0(VALU_DEP_2) | instskip(NEXT) | instid1(VALU_DEP_1)
	v_lshrrev_b32_e32 v4, s38, v4
	v_and_b32_e32 v4, s39, v4
	s_delay_alu instid0(VALU_DEP_1) | instskip(SKIP_2) | instid1(SALU_CYCLE_1)
	v_lshl_or_b32 v4, v4, 4, v5
	ds_add_u32 v4, v92
	s_or_b32 exec_lo, exec_lo, s0
	s_mov_b32 s0, exec_lo
	v_cmpx_lt_u32_e64 v53, v21
	s_cbranch_execnz .LBB534_55
.LBB534_70:                             ;   in Loop: Header=BB534_24 Depth=2
	s_or_b32 exec_lo, exec_lo, s0
	s_delay_alu instid0(SALU_CYCLE_1)
	s_mov_b32 s0, exec_lo
	v_cmpx_lt_u32_e64 v54, v21
	s_cbranch_execz .LBB534_56
.LBB534_71:                             ;   in Loop: Header=BB534_24 Depth=2
	v_xor_b32_e32 v4, 0x7fffffff, v12
	v_lshlrev_b32_e32 v5, 2, v48
	s_delay_alu instid0(VALU_DEP_2) | instskip(NEXT) | instid1(VALU_DEP_1)
	v_lshrrev_b32_e32 v4, s38, v4
	v_and_b32_e32 v4, s39, v4
	s_delay_alu instid0(VALU_DEP_1) | instskip(SKIP_2) | instid1(SALU_CYCLE_1)
	v_lshl_or_b32 v4, v4, 4, v5
	ds_add_u32 v4, v92
	s_or_b32 exec_lo, exec_lo, s0
	s_mov_b32 s0, exec_lo
	v_cmpx_lt_u32_e64 v55, v21
	s_cbranch_execnz .LBB534_57
.LBB534_72:                             ;   in Loop: Header=BB534_24 Depth=2
	s_or_b32 exec_lo, exec_lo, s0
	s_delay_alu instid0(SALU_CYCLE_1)
	s_mov_b32 s0, exec_lo
	v_cmpx_lt_u32_e64 v56, v21
	s_cbranch_execz .LBB534_58
.LBB534_73:                             ;   in Loop: Header=BB534_24 Depth=2
	v_xor_b32_e32 v4, 0x7fffffff, v10
	v_lshlrev_b32_e32 v5, 2, v48
	s_delay_alu instid0(VALU_DEP_2) | instskip(NEXT) | instid1(VALU_DEP_1)
	v_lshrrev_b32_e32 v4, s38, v4
	v_and_b32_e32 v4, s39, v4
	s_delay_alu instid0(VALU_DEP_1) | instskip(SKIP_2) | instid1(SALU_CYCLE_1)
	v_lshl_or_b32 v4, v4, 4, v5
	ds_add_u32 v4, v92
	s_or_b32 exec_lo, exec_lo, s0
	s_mov_b32 s0, exec_lo
	v_cmpx_lt_u32_e64 v57, v21
	s_cbranch_execnz .LBB534_59
.LBB534_74:                             ;   in Loop: Header=BB534_24 Depth=2
	s_or_b32 exec_lo, exec_lo, s0
	s_delay_alu instid0(SALU_CYCLE_1)
	s_mov_b32 s0, exec_lo
	v_cmpx_lt_u32_e64 v58, v21
	s_cbranch_execz .LBB534_60
.LBB534_75:                             ;   in Loop: Header=BB534_24 Depth=2
	v_xor_b32_e32 v4, 0x7fffffff, v8
	v_lshlrev_b32_e32 v5, 2, v48
	s_delay_alu instid0(VALU_DEP_2) | instskip(NEXT) | instid1(VALU_DEP_1)
	v_lshrrev_b32_e32 v4, s38, v4
	v_and_b32_e32 v4, s39, v4
	s_delay_alu instid0(VALU_DEP_1) | instskip(SKIP_2) | instid1(SALU_CYCLE_1)
	v_lshl_or_b32 v4, v4, 4, v5
	ds_add_u32 v4, v92
	s_or_b32 exec_lo, exec_lo, s0
	s_mov_b32 s0, exec_lo
	v_cmpx_lt_u32_e64 v59, v21
	s_cbranch_execnz .LBB534_61
.LBB534_76:                             ;   in Loop: Header=BB534_24 Depth=2
	s_or_b32 exec_lo, exec_lo, s0
	s_delay_alu instid0(SALU_CYCLE_1)
	s_mov_b32 s0, exec_lo
	v_cmpx_lt_u32_e64 v60, v21
	s_cbranch_execz .LBB534_62
.LBB534_77:                             ;   in Loop: Header=BB534_24 Depth=2
	v_xor_b32_e32 v4, 0x7fffffff, v6
	v_lshlrev_b32_e32 v5, 2, v48
	s_delay_alu instid0(VALU_DEP_2) | instskip(NEXT) | instid1(VALU_DEP_1)
	v_lshrrev_b32_e32 v4, s38, v4
	v_and_b32_e32 v4, s39, v4
	s_delay_alu instid0(VALU_DEP_1) | instskip(SKIP_2) | instid1(SALU_CYCLE_1)
	v_lshl_or_b32 v4, v4, 4, v5
	ds_add_u32 v4, v92
	s_or_b32 exec_lo, exec_lo, s0
	s_mov_b32 s0, exec_lo
	v_cmpx_lt_u32_e64 v61, v21
	s_cbranch_execnz .LBB534_63
.LBB534_78:                             ;   in Loop: Header=BB534_24 Depth=2
	s_or_b32 exec_lo, exec_lo, s0
	s_delay_alu instid0(SALU_CYCLE_1)
	s_mov_b32 s0, exec_lo
	v_cmpx_lt_u32_e64 v63, v21
	s_cbranch_execz .LBB534_23
.LBB534_79:                             ;   in Loop: Header=BB534_24 Depth=2
	s_waitcnt vmcnt(0)
	v_xor_b32_e32 v4, 0x7fffffff, v20
	v_lshlrev_b32_e32 v5, 2, v48
	s_delay_alu instid0(VALU_DEP_2) | instskip(NEXT) | instid1(VALU_DEP_1)
	v_lshrrev_b32_e32 v4, s38, v4
	v_and_b32_e32 v4, s39, v4
	s_delay_alu instid0(VALU_DEP_1)
	v_lshl_or_b32 v4, v4, 4, v5
	ds_add_u32 v4, v92
	s_branch .LBB534_23
.LBB534_80:                             ;   in Loop: Header=BB534_24 Depth=2
	s_or_b32 exec_lo, exec_lo, s11
	s_delay_alu instid0(SALU_CYCLE_1)
	s_mov_b32 s11, exec_lo
	v_cmpx_gt_u32_e64 s8, v45
	s_cbranch_execz .LBB534_30
.LBB534_81:                             ;   in Loop: Header=BB534_24 Depth=2
	global_load_b32 v18, v93, s[0:1] offset:1024
	s_or_b32 exec_lo, exec_lo, s11
	s_delay_alu instid0(SALU_CYCLE_1)
	s_mov_b32 s11, exec_lo
	v_cmpx_gt_u32_e64 s8, v46
	s_cbranch_execnz .LBB534_31
.LBB534_82:                             ;   in Loop: Header=BB534_24 Depth=2
	s_or_b32 exec_lo, exec_lo, s11
	s_delay_alu instid0(SALU_CYCLE_1)
	s_mov_b32 s11, exec_lo
	v_cmpx_gt_u32_e64 s8, v47
	s_cbranch_execz .LBB534_32
.LBB534_83:                             ;   in Loop: Header=BB534_24 Depth=2
	global_load_b32 v16, v93, s[0:1] offset:3072
	s_or_b32 exec_lo, exec_lo, s11
	s_delay_alu instid0(SALU_CYCLE_1)
	s_mov_b32 s11, exec_lo
	v_cmpx_gt_u32_e64 s8, v51
	s_cbranch_execnz .LBB534_33
.LBB534_84:                             ;   in Loop: Header=BB534_24 Depth=2
	s_or_b32 exec_lo, exec_lo, s11
	s_delay_alu instid0(SALU_CYCLE_1)
	s_mov_b32 s11, exec_lo
	v_cmpx_gt_u32_e64 s8, v52
	s_cbranch_execz .LBB534_34
.LBB534_85:                             ;   in Loop: Header=BB534_24 Depth=2
	global_load_b32 v14, v95, s[0:1]
	s_or_b32 exec_lo, exec_lo, s11
	s_delay_alu instid0(SALU_CYCLE_1)
	s_mov_b32 s11, exec_lo
	v_cmpx_gt_u32_e64 s8, v53
	s_cbranch_execnz .LBB534_35
.LBB534_86:                             ;   in Loop: Header=BB534_24 Depth=2
	s_or_b32 exec_lo, exec_lo, s11
	s_delay_alu instid0(SALU_CYCLE_1)
	s_mov_b32 s11, exec_lo
	v_cmpx_gt_u32_e64 s8, v54
	s_cbranch_execz .LBB534_36
.LBB534_87:                             ;   in Loop: Header=BB534_24 Depth=2
	global_load_b32 v12, v97, s[0:1]
	s_or_b32 exec_lo, exec_lo, s11
	s_delay_alu instid0(SALU_CYCLE_1)
	s_mov_b32 s11, exec_lo
	v_cmpx_gt_u32_e64 s8, v55
	s_cbranch_execnz .LBB534_37
.LBB534_88:                             ;   in Loop: Header=BB534_24 Depth=2
	s_or_b32 exec_lo, exec_lo, s11
	s_delay_alu instid0(SALU_CYCLE_1)
	s_mov_b32 s11, exec_lo
	v_cmpx_gt_u32_e64 s8, v56
	s_cbranch_execz .LBB534_38
.LBB534_89:                             ;   in Loop: Header=BB534_24 Depth=2
	global_load_b32 v10, v99, s[0:1]
	s_or_b32 exec_lo, exec_lo, s11
	s_delay_alu instid0(SALU_CYCLE_1)
	s_mov_b32 s11, exec_lo
	v_cmpx_gt_u32_e64 s8, v57
	s_cbranch_execnz .LBB534_39
.LBB534_90:                             ;   in Loop: Header=BB534_24 Depth=2
	s_or_b32 exec_lo, exec_lo, s11
	s_delay_alu instid0(SALU_CYCLE_1)
	s_mov_b32 s11, exec_lo
	v_cmpx_gt_u32_e64 s8, v58
	s_cbranch_execz .LBB534_40
.LBB534_91:                             ;   in Loop: Header=BB534_24 Depth=2
	global_load_b32 v8, v101, s[0:1]
	s_or_b32 exec_lo, exec_lo, s11
	s_delay_alu instid0(SALU_CYCLE_1)
	s_mov_b32 s11, exec_lo
	v_cmpx_gt_u32_e64 s8, v59
	s_cbranch_execnz .LBB534_41
.LBB534_92:                             ;   in Loop: Header=BB534_24 Depth=2
	s_or_b32 exec_lo, exec_lo, s11
	s_delay_alu instid0(SALU_CYCLE_1)
	s_mov_b32 s11, exec_lo
	v_cmpx_gt_u32_e64 s8, v60
	s_cbranch_execz .LBB534_42
.LBB534_93:                             ;   in Loop: Header=BB534_24 Depth=2
	global_load_b32 v6, v103, s[0:1]
	s_or_b32 exec_lo, exec_lo, s11
	s_delay_alu instid0(SALU_CYCLE_1)
	s_mov_b32 s11, exec_lo
	v_cmpx_gt_u32_e64 s8, v61
	s_cbranch_execz .LBB534_44
	s_branch .LBB534_43
.LBB534_94:                             ;   in Loop: Header=BB534_20 Depth=1
	v_mov_b32_e32 v2, 0
	s_waitcnt vmcnt(0) lgkmcnt(0)
	s_barrier
	buffer_gl0_inv
	s_and_saveexec_b32 s0, s2
	s_cbranch_execz .LBB534_96
; %bb.95:                               ;   in Loop: Header=BB534_20 Depth=1
	ds_load_2addr_b64 v[4:7], v64 offset1:1
	s_waitcnt lgkmcnt(0)
	v_add_nc_u32_e32 v2, v5, v4
	s_delay_alu instid0(VALU_DEP_1)
	v_add3_u32 v2, v2, v6, v7
.LBB534_96:                             ;   in Loop: Header=BB534_20 Depth=1
	s_or_b32 exec_lo, exec_lo, s0
	v_and_b32_e32 v4, 15, v106
	s_delay_alu instid0(VALU_DEP_2) | instskip(SKIP_1) | instid1(VALU_DEP_3)
	v_mov_b32_dpp v5, v2 row_shr:1 row_mask:0xf bank_mask:0xf
	v_and_b32_e32 v6, 16, v106
	v_cmp_eq_u32_e64 s0, 0, v4
	v_cmp_lt_u32_e64 s1, 1, v4
	v_cmp_lt_u32_e64 s8, 3, v4
	;; [unrolled: 1-line block ×3, first 2 shown]
	v_cmp_eq_u32_e64 s10, 0, v6
	v_cndmask_b32_e64 v5, v5, 0, s0
	s_delay_alu instid0(VALU_DEP_1) | instskip(NEXT) | instid1(VALU_DEP_1)
	v_add_nc_u32_e32 v2, v5, v2
	v_mov_b32_dpp v5, v2 row_shr:2 row_mask:0xf bank_mask:0xf
	s_delay_alu instid0(VALU_DEP_1) | instskip(NEXT) | instid1(VALU_DEP_1)
	v_cndmask_b32_e64 v5, 0, v5, s1
	v_add_nc_u32_e32 v2, v2, v5
	s_delay_alu instid0(VALU_DEP_1) | instskip(NEXT) | instid1(VALU_DEP_1)
	v_mov_b32_dpp v5, v2 row_shr:4 row_mask:0xf bank_mask:0xf
	v_cndmask_b32_e64 v5, 0, v5, s8
	s_delay_alu instid0(VALU_DEP_1) | instskip(NEXT) | instid1(VALU_DEP_1)
	v_add_nc_u32_e32 v2, v2, v5
	v_mov_b32_dpp v5, v2 row_shr:8 row_mask:0xf bank_mask:0xf
	s_delay_alu instid0(VALU_DEP_1) | instskip(SKIP_1) | instid1(VALU_DEP_2)
	v_cndmask_b32_e64 v4, 0, v5, s9
	v_bfe_i32 v5, v106, 4, 1
	v_add_nc_u32_e32 v2, v2, v4
	ds_swizzle_b32 v4, v2 offset:swizzle(BROADCAST,32,15)
	s_waitcnt lgkmcnt(0)
	v_and_b32_e32 v4, v5, v4
	s_delay_alu instid0(VALU_DEP_1)
	v_add_nc_u32_e32 v4, v2, v4
	s_and_saveexec_b32 s11, s3
	s_cbranch_execz .LBB534_98
; %bb.97:                               ;   in Loop: Header=BB534_20 Depth=1
	ds_store_b32 v65, v4
.LBB534_98:                             ;   in Loop: Header=BB534_20 Depth=1
	s_or_b32 exec_lo, exec_lo, s11
	v_and_b32_e32 v2, 7, v106
	s_waitcnt lgkmcnt(0)
	s_barrier
	buffer_gl0_inv
	s_and_saveexec_b32 s11, s4
	s_cbranch_execz .LBB534_100
; %bb.99:                               ;   in Loop: Header=BB534_20 Depth=1
	ds_load_b32 v5, v66
	v_cmp_ne_u32_e32 vcc_lo, 0, v2
	s_waitcnt lgkmcnt(0)
	v_mov_b32_dpp v6, v5 row_shr:1 row_mask:0xf bank_mask:0xf
	s_delay_alu instid0(VALU_DEP_1) | instskip(SKIP_1) | instid1(VALU_DEP_2)
	v_cndmask_b32_e32 v6, 0, v6, vcc_lo
	v_cmp_lt_u32_e32 vcc_lo, 1, v2
	v_add_nc_u32_e32 v5, v6, v5
	s_delay_alu instid0(VALU_DEP_1) | instskip(NEXT) | instid1(VALU_DEP_1)
	v_mov_b32_dpp v6, v5 row_shr:2 row_mask:0xf bank_mask:0xf
	v_cndmask_b32_e32 v6, 0, v6, vcc_lo
	v_cmp_lt_u32_e32 vcc_lo, 3, v2
	s_delay_alu instid0(VALU_DEP_2) | instskip(NEXT) | instid1(VALU_DEP_1)
	v_add_nc_u32_e32 v5, v5, v6
	v_mov_b32_dpp v6, v5 row_shr:4 row_mask:0xf bank_mask:0xf
	s_delay_alu instid0(VALU_DEP_1) | instskip(NEXT) | instid1(VALU_DEP_1)
	v_cndmask_b32_e32 v6, 0, v6, vcc_lo
	v_add_nc_u32_e32 v5, v5, v6
	ds_store_b32 v66, v5
.LBB534_100:                            ;   in Loop: Header=BB534_20 Depth=1
	s_or_b32 exec_lo, exec_lo, s11
	v_mov_b32_e32 v5, 0
	s_waitcnt lgkmcnt(0)
	s_barrier
	buffer_gl0_inv
	s_and_saveexec_b32 s11, s5
	s_cbranch_execz .LBB534_102
; %bb.101:                              ;   in Loop: Header=BB534_20 Depth=1
	ds_load_b32 v5, v67
.LBB534_102:                            ;   in Loop: Header=BB534_20 Depth=1
	s_or_b32 exec_lo, exec_lo, s11
	v_add_nc_u32_e32 v6, -1, v106
	s_waitcnt lgkmcnt(0)
	v_add_nc_u32_e32 v4, v5, v4
	v_cmp_eq_u32_e64 s11, 0, v106
	s_barrier
	v_cmp_gt_i32_e32 vcc_lo, 0, v6
	buffer_gl0_inv
	v_cndmask_b32_e32 v6, v6, v106, vcc_lo
	s_delay_alu instid0(VALU_DEP_1)
	v_lshlrev_b32_e32 v107, 2, v6
	ds_bpermute_b32 v4, v107, v4
	s_and_saveexec_b32 s12, s2
	s_cbranch_execz .LBB534_104
; %bb.103:                              ;   in Loop: Header=BB534_20 Depth=1
	s_waitcnt lgkmcnt(0)
	v_cndmask_b32_e64 v4, v4, v5, s11
	s_delay_alu instid0(VALU_DEP_1)
	v_add_nc_u32_e32 v4, s60, v4
	ds_store_b32 v44, v4
.LBB534_104:                            ;   in Loop: Header=BB534_20 Depth=1
	s_or_b32 exec_lo, exec_lo, s12
	s_clause 0x1
	s_load_b32 s12, s[36:37], 0x4
	s_load_b32 s17, s[36:37], 0xc
	v_lshlrev_b32_e32 v5, 3, v106
	v_cmp_lt_u32_e64 s16, 3, v2
	v_or_b32_e32 v108, v106, v68
	s_mov_b32 s40, s62
	s_mov_b32 s34, s60
	v_add_co_u32 v109, vcc_lo, v74, v5
	v_add_co_ci_u32_e32 v110, vcc_lo, 0, v75, vcc_lo
	v_or_b32_e32 v111, 32, v108
	v_or_b32_e32 v112, 64, v108
	;; [unrolled: 1-line block ×9, first 2 shown]
	s_waitcnt lgkmcnt(0)
	s_cmp_lt_u32 s15, s12
	v_or_b32_e32 v120, 0x140, v108
	s_cselect_b32 s12, 14, 20
	v_or_b32_e32 v121, 0x160, v108
	s_add_u32 s12, s36, s12
	s_addc_u32 s13, s37, 0
	s_and_b32 s17, s17, 0xffff
	global_load_u16 v4, v3, s[12:13]
	v_cmp_eq_u32_e64 s12, 0, v2
	v_cmp_lt_u32_e64 s13, 1, v2
	v_lshlrev_b32_e32 v2, 2, v106
	v_or_b32_e32 v122, 0x180, v108
	v_or_b32_e32 v123, 0x1a0, v108
	;; [unrolled: 1-line block ×4, first 2 shown]
	v_add_co_u32 v126, vcc_lo, v76, v2
	v_add_co_ci_u32_e32 v127, vcc_lo, 0, v77, vcc_lo
                                        ; implicit-def: $vgpr8_vgpr9
                                        ; implicit-def: $vgpr10_vgpr11
                                        ; implicit-def: $vgpr12_vgpr13
                                        ; implicit-def: $vgpr14_vgpr15
                                        ; implicit-def: $vgpr16_vgpr17
                                        ; implicit-def: $vgpr18_vgpr19
                                        ; implicit-def: $vgpr20_vgpr21
                                        ; implicit-def: $vgpr22_vgpr23
                                        ; implicit-def: $vgpr24_vgpr25
                                        ; implicit-def: $vgpr26_vgpr27
                                        ; implicit-def: $vgpr28_vgpr29
                                        ; implicit-def: $vgpr30_vgpr31
                                        ; implicit-def: $vgpr32_vgpr33
                                        ; implicit-def: $vgpr34_vgpr35
                                        ; implicit-def: $vgpr131
                                        ; implicit-def: $vgpr132
                                        ; implicit-def: $vgpr133
                                        ; implicit-def: $vgpr134
                                        ; implicit-def: $vgpr135
                                        ; implicit-def: $vgpr136
                                        ; implicit-def: $vgpr137
                                        ; implicit-def: $vgpr138
                                        ; implicit-def: $vgpr139
                                        ; implicit-def: $vgpr140
                                        ; implicit-def: $vgpr141
                                        ; implicit-def: $vgpr142
                                        ; implicit-def: $vgpr143
                                        ; implicit-def: $vgpr144
                                        ; implicit-def: $vgpr145
                                        ; implicit-def: $vgpr146
	s_delay_alu instid0(VALU_DEP_2) | instskip(NEXT) | instid1(VALU_DEP_2)
	v_add_co_u32 v129, vcc_lo, 0x780, v126
	v_add_co_ci_u32_e32 v130, vcc_lo, 0, v127, vcc_lo
	s_waitcnt vmcnt(0)
	v_mad_u32_u24 v6, v69, v4, v0
	s_delay_alu instid0(VALU_DEP_1) | instskip(NEXT) | instid1(VALU_DEP_1)
	v_mad_u64_u32 v[4:5], null, v6, s17, v[1:2]
                                        ; implicit-def: $vgpr6_vgpr7
	v_lshrrev_b32_e32 v128, 5, v4
                                        ; implicit-def: $vgpr4_vgpr5
	s_branch .LBB534_106
.LBB534_105:                            ;   in Loop: Header=BB534_106 Depth=2
	s_or_b32 exec_lo, exec_lo, s17
	s_addk_i32 s40, 0xf000
	s_cmp_lt_u32 s41, s61
	s_mov_b32 s34, s41
	s_cbranch_scc0 .LBB534_314
.LBB534_106:                            ;   Parent Loop BB534_20 Depth=1
                                        ; =>  This Inner Loop Header: Depth=2
	s_add_i32 s41, s34, 0x1000
	s_delay_alu instid0(SALU_CYCLE_1)
	s_cmp_gt_u32 s41, s61
	s_cbranch_scc1 .LBB534_109
; %bb.107:                              ;   in Loop: Header=BB534_106 Depth=2
	s_mov_b32 s19, 0
	s_mov_b32 s18, s34
	s_movk_i32 s17, 0x1000
	s_lshl_b64 s[20:21], s[18:19], 2
	s_delay_alu instid0(SALU_CYCLE_1)
	v_add_co_u32 v36, vcc_lo, v126, s20
	v_add_co_ci_u32_e32 v37, vcc_lo, s21, v127, vcc_lo
	s_mov_b32 s20, -1
	s_clause 0xe
	global_load_b32 v2, v[36:37], off
	global_load_b32 v148, v[36:37], off offset:128
	global_load_b32 v151, v[36:37], off offset:256
	;; [unrolled: 1-line block ×14, first 2 shown]
	s_cbranch_execz .LBB534_110
; %bb.108:                              ;   in Loop: Header=BB534_106 Depth=2
                                        ; implicit-def: $sgpr21
	v_dual_mov_b32 v36, s21 :: v_dual_mov_b32 v147, s40
	s_and_saveexec_b32 s21, s20
	s_cbranch_execnz .LBB534_141
	s_branch .LBB534_142
.LBB534_109:                            ;   in Loop: Header=BB534_106 Depth=2
	s_mov_b32 s19, -1
	s_mov_b32 s20, 0
                                        ; implicit-def: $sgpr17
                                        ; implicit-def: $vgpr2
                                        ; implicit-def: $vgpr148
                                        ; implicit-def: $vgpr151
                                        ; implicit-def: $vgpr155
                                        ; implicit-def: $vgpr159
                                        ; implicit-def: $vgpr163
                                        ; implicit-def: $vgpr167
                                        ; implicit-def: $vgpr172
                                        ; implicit-def: $vgpr171
                                        ; implicit-def: $vgpr43
                                        ; implicit-def: $vgpr42
                                        ; implicit-def: $vgpr41
                                        ; implicit-def: $vgpr40
                                        ; implicit-def: $vgpr39
                                        ; implicit-def: $vgpr38
.LBB534_110:                            ;   in Loop: Header=BB534_106 Depth=2
	s_lshl_b64 s[18:19], s[34:35], 2
	s_waitcnt vmcnt(13)
	v_bfrev_b32_e32 v148, 1
	v_add_co_u32 v36, vcc_lo, v126, s18
	v_add_co_ci_u32_e32 v37, vcc_lo, s19, v127, vcc_lo
	v_bfrev_b32_e32 v2, 1
	s_mov_b32 s17, exec_lo
	v_cmpx_gt_u32_e64 s40, v108
	s_cbranch_execz .LBB534_112
; %bb.111:                              ;   in Loop: Header=BB534_106 Depth=2
	global_load_b32 v2, v[36:37], off
.LBB534_112:                            ;   in Loop: Header=BB534_106 Depth=2
	s_or_b32 exec_lo, exec_lo, s17
	s_delay_alu instid0(SALU_CYCLE_1)
	s_mov_b32 s17, exec_lo
	v_cmpx_gt_u32_e64 s40, v111
	s_cbranch_execz .LBB534_114
; %bb.113:                              ;   in Loop: Header=BB534_106 Depth=2
	global_load_b32 v148, v[36:37], off offset:128
.LBB534_114:                            ;   in Loop: Header=BB534_106 Depth=2
	s_or_b32 exec_lo, exec_lo, s17
	s_waitcnt vmcnt(11)
	v_bfrev_b32_e32 v155, 1
	v_bfrev_b32_e32 v151, 1
	s_mov_b32 s17, exec_lo
	v_cmpx_gt_u32_e64 s40, v112
	s_cbranch_execz .LBB534_116
; %bb.115:                              ;   in Loop: Header=BB534_106 Depth=2
	global_load_b32 v151, v[36:37], off offset:256
.LBB534_116:                            ;   in Loop: Header=BB534_106 Depth=2
	s_or_b32 exec_lo, exec_lo, s17
	s_delay_alu instid0(SALU_CYCLE_1)
	s_mov_b32 s17, exec_lo
	v_cmpx_gt_u32_e64 s40, v113
	s_cbranch_execz .LBB534_118
; %bb.117:                              ;   in Loop: Header=BB534_106 Depth=2
	global_load_b32 v155, v[36:37], off offset:384
.LBB534_118:                            ;   in Loop: Header=BB534_106 Depth=2
	s_or_b32 exec_lo, exec_lo, s17
	s_waitcnt vmcnt(9)
	v_bfrev_b32_e32 v163, 1
	v_bfrev_b32_e32 v159, 1
	s_mov_b32 s17, exec_lo
	v_cmpx_gt_u32_e64 s40, v114
	s_cbranch_execz .LBB534_120
; %bb.119:                              ;   in Loop: Header=BB534_106 Depth=2
	global_load_b32 v159, v[36:37], off offset:512
.LBB534_120:                            ;   in Loop: Header=BB534_106 Depth=2
	;; [unrolled: 18-line block ×6, first 2 shown]
	s_or_b32 exec_lo, exec_lo, s17
	s_delay_alu instid0(SALU_CYCLE_1)
	s_mov_b32 s17, exec_lo
	v_cmpx_gt_u32_e64 s40, v123
	s_cbranch_execz .LBB534_138
; %bb.137:                              ;   in Loop: Header=BB534_106 Depth=2
	global_load_b32 v39, v[36:37], off offset:1664
.LBB534_138:                            ;   in Loop: Header=BB534_106 Depth=2
	s_or_b32 exec_lo, exec_lo, s17
	s_waitcnt vmcnt(0)
	v_bfrev_b32_e32 v38, 1
	s_mov_b32 s17, exec_lo
	v_cmpx_gt_u32_e64 s40, v124
	s_cbranch_execz .LBB534_140
; %bb.139:                              ;   in Loop: Header=BB534_106 Depth=2
	global_load_b32 v38, v[36:37], off offset:1792
.LBB534_140:                            ;   in Loop: Header=BB534_106 Depth=2
	s_or_b32 exec_lo, exec_lo, s17
	v_cmp_gt_u32_e64 s20, s40, v125
	s_sub_i32 s17, s61, s34
	s_brev_b32 s21, 1
	s_mov_b64 s[18:19], s[34:35]
	v_dual_mov_b32 v36, s21 :: v_dual_mov_b32 v147, s40
	s_and_saveexec_b32 s21, s20
	s_cbranch_execz .LBB534_142
.LBB534_141:                            ;   in Loop: Header=BB534_106 Depth=2
	s_lshl_b64 s[18:19], s[18:19], 2
	v_mov_b32_e32 v147, s17
	v_add_co_u32 v36, vcc_lo, v129, s18
	v_add_co_ci_u32_e32 v37, vcc_lo, s19, v130, vcc_lo
	global_load_b32 v36, v[36:37], off
.LBB534_142:                            ;   in Loop: Header=BB534_106 Depth=2
	s_or_b32 exec_lo, exec_lo, s21
	s_waitcnt vmcnt(14)
	v_xor_b32_e32 v2, 0x7fffffff, v2
	ds_store_b32 v70, v3 offset:1056
	ds_store_2addr_b32 v71, v3, v3 offset0:1 offset1:2
	ds_store_2addr_b32 v71, v3, v3 offset0:3 offset1:4
	;; [unrolled: 1-line block ×4, first 2 shown]
	s_waitcnt vmcnt(0) lgkmcnt(0)
	s_barrier
	v_lshrrev_b32_e32 v37, s38, v2
	buffer_gl0_inv
	; wave barrier
	v_and_b32_e32 v150, s39, v37
	s_delay_alu instid0(VALU_DEP_1)
	v_and_b32_e32 v37, 1, v150
	v_lshlrev_b32_e32 v149, 30, v150
	v_lshlrev_b32_e32 v152, 29, v150
	;; [unrolled: 1-line block ×4, first 2 shown]
	v_add_co_u32 v37, s17, v37, -1
	s_delay_alu instid0(VALU_DEP_1)
	v_cndmask_b32_e64 v154, 0, 1, s17
	v_not_b32_e32 v160, v149
	v_cmp_gt_i32_e64 s17, 0, v149
	v_not_b32_e32 v149, v152
	v_lshlrev_b32_e32 v157, 26, v150
	v_cmp_ne_u32_e32 vcc_lo, 0, v154
	v_ashrrev_i32_e32 v160, 31, v160
	v_lshlrev_b32_e32 v158, 25, v150
	v_ashrrev_i32_e32 v149, 31, v149
	v_lshlrev_b32_e32 v154, 24, v150
	v_xor_b32_e32 v37, vcc_lo, v37
	v_cmp_gt_i32_e32 vcc_lo, 0, v152
	v_not_b32_e32 v152, v153
	v_xor_b32_e32 v160, s17, v160
	v_cmp_gt_i32_e64 s17, 0, v153
	v_and_b32_e32 v37, exec_lo, v37
	v_not_b32_e32 v153, v156
	v_ashrrev_i32_e32 v152, 31, v152
	v_xor_b32_e32 v149, vcc_lo, v149
	v_cmp_gt_i32_e32 vcc_lo, 0, v156
	v_and_b32_e32 v37, v37, v160
	v_not_b32_e32 v156, v157
	v_ashrrev_i32_e32 v153, 31, v153
	v_xor_b32_e32 v152, s17, v152
	v_cmp_gt_i32_e64 s17, 0, v157
	v_and_b32_e32 v37, v37, v149
	v_not_b32_e32 v149, v158
	v_ashrrev_i32_e32 v156, 31, v156
	v_xor_b32_e32 v153, vcc_lo, v153
	v_cmp_gt_i32_e32 vcc_lo, 0, v158
	v_and_b32_e32 v37, v37, v152
	v_not_b32_e32 v152, v154
	v_ashrrev_i32_e32 v149, 31, v149
	v_xor_b32_e32 v156, s17, v156
	v_cmp_gt_i32_e64 s17, 0, v154
	v_and_b32_e32 v37, v37, v153
	v_ashrrev_i32_e32 v152, 31, v152
	v_xor_b32_e32 v149, vcc_lo, v149
	v_mad_u32_u24 v150, v150, 9, v128
	s_delay_alu instid0(VALU_DEP_4) | instskip(NEXT) | instid1(VALU_DEP_4)
	v_and_b32_e32 v37, v37, v156
	v_xor_b32_e32 v152, s17, v152
	s_delay_alu instid0(VALU_DEP_3) | instskip(NEXT) | instid1(VALU_DEP_3)
	v_lshl_add_u32 v150, v150, 2, 0x420
	v_and_b32_e32 v37, v37, v149
	s_delay_alu instid0(VALU_DEP_1) | instskip(NEXT) | instid1(VALU_DEP_1)
	v_and_b32_e32 v37, v37, v152
	v_mbcnt_lo_u32_b32 v149, v37, 0
	v_cmp_ne_u32_e64 s17, 0, v37
	s_delay_alu instid0(VALU_DEP_2) | instskip(NEXT) | instid1(VALU_DEP_2)
	v_cmp_eq_u32_e32 vcc_lo, 0, v149
	s_and_b32 s18, s17, vcc_lo
	s_delay_alu instid0(SALU_CYCLE_1)
	s_and_saveexec_b32 s17, s18
	s_cbranch_execz .LBB534_144
; %bb.143:                              ;   in Loop: Header=BB534_106 Depth=2
	v_bcnt_u32_b32 v37, v37, 0
	ds_store_b32 v150, v37
.LBB534_144:                            ;   in Loop: Header=BB534_106 Depth=2
	s_or_b32 exec_lo, exec_lo, s17
	v_xor_b32_e32 v148, 0x7fffffff, v148
	; wave barrier
	s_delay_alu instid0(VALU_DEP_1) | instskip(NEXT) | instid1(VALU_DEP_1)
	v_lshrrev_b32_e32 v37, s38, v148
	v_and_b32_e32 v37, s39, v37
	s_delay_alu instid0(VALU_DEP_1)
	v_and_b32_e32 v152, 1, v37
	v_lshlrev_b32_e32 v153, 30, v37
	v_lshlrev_b32_e32 v154, 29, v37
	;; [unrolled: 1-line block ×4, first 2 shown]
	v_add_co_u32 v152, s17, v152, -1
	s_delay_alu instid0(VALU_DEP_1)
	v_cndmask_b32_e64 v157, 0, 1, s17
	v_not_b32_e32 v162, v153
	v_cmp_gt_i32_e64 s17, 0, v153
	v_not_b32_e32 v153, v154
	v_lshlrev_b32_e32 v160, 26, v37
	v_cmp_ne_u32_e32 vcc_lo, 0, v157
	v_ashrrev_i32_e32 v162, 31, v162
	v_lshlrev_b32_e32 v161, 25, v37
	v_ashrrev_i32_e32 v153, 31, v153
	v_lshlrev_b32_e32 v157, 24, v37
	v_xor_b32_e32 v152, vcc_lo, v152
	v_cmp_gt_i32_e32 vcc_lo, 0, v154
	v_not_b32_e32 v154, v156
	v_xor_b32_e32 v162, s17, v162
	v_cmp_gt_i32_e64 s17, 0, v156
	v_and_b32_e32 v152, exec_lo, v152
	v_not_b32_e32 v156, v158
	v_ashrrev_i32_e32 v154, 31, v154
	v_xor_b32_e32 v153, vcc_lo, v153
	v_cmp_gt_i32_e32 vcc_lo, 0, v158
	v_and_b32_e32 v152, v152, v162
	v_not_b32_e32 v158, v160
	v_ashrrev_i32_e32 v156, 31, v156
	v_xor_b32_e32 v154, s17, v154
	v_cmp_gt_i32_e64 s17, 0, v160
	v_and_b32_e32 v152, v152, v153
	v_not_b32_e32 v153, v161
	v_ashrrev_i32_e32 v158, 31, v158
	v_xor_b32_e32 v156, vcc_lo, v156
	v_cmp_gt_i32_e32 vcc_lo, 0, v161
	v_and_b32_e32 v152, v152, v154
	v_not_b32_e32 v154, v157
	v_ashrrev_i32_e32 v153, 31, v153
	v_xor_b32_e32 v158, s17, v158
	v_mul_u32_u24_e32 v37, 9, v37
	v_and_b32_e32 v152, v152, v156
	v_cmp_gt_i32_e64 s17, 0, v157
	v_ashrrev_i32_e32 v154, 31, v154
	v_xor_b32_e32 v153, vcc_lo, v153
	v_add_lshl_u32 v156, v37, v128, 2
	v_and_b32_e32 v152, v152, v158
	s_delay_alu instid0(VALU_DEP_4) | instskip(NEXT) | instid1(VALU_DEP_3)
	v_xor_b32_e32 v37, s17, v154
	v_add_nc_u32_e32 v154, 0x420, v156
	s_delay_alu instid0(VALU_DEP_3) | instskip(SKIP_2) | instid1(VALU_DEP_1)
	v_and_b32_e32 v153, v152, v153
	ds_load_b32 v152, v156 offset:1056
	; wave barrier
	v_and_b32_e32 v37, v153, v37
	v_mbcnt_lo_u32_b32 v153, v37, 0
	v_cmp_ne_u32_e64 s17, 0, v37
	s_delay_alu instid0(VALU_DEP_2) | instskip(NEXT) | instid1(VALU_DEP_2)
	v_cmp_eq_u32_e32 vcc_lo, 0, v153
	s_and_b32 s18, s17, vcc_lo
	s_delay_alu instid0(SALU_CYCLE_1)
	s_and_saveexec_b32 s17, s18
	s_cbranch_execz .LBB534_146
; %bb.145:                              ;   in Loop: Header=BB534_106 Depth=2
	s_waitcnt lgkmcnt(0)
	v_bcnt_u32_b32 v37, v37, v152
	ds_store_b32 v154, v37
.LBB534_146:                            ;   in Loop: Header=BB534_106 Depth=2
	s_or_b32 exec_lo, exec_lo, s17
	v_xor_b32_e32 v151, 0x7fffffff, v151
	; wave barrier
	s_delay_alu instid0(VALU_DEP_1) | instskip(NEXT) | instid1(VALU_DEP_1)
	v_lshrrev_b32_e32 v37, s38, v151
	v_and_b32_e32 v37, s39, v37
	s_delay_alu instid0(VALU_DEP_1)
	v_and_b32_e32 v156, 1, v37
	v_lshlrev_b32_e32 v157, 30, v37
	v_lshlrev_b32_e32 v158, 29, v37
	;; [unrolled: 1-line block ×4, first 2 shown]
	v_add_co_u32 v156, s17, v156, -1
	s_delay_alu instid0(VALU_DEP_1)
	v_cndmask_b32_e64 v161, 0, 1, s17
	v_not_b32_e32 v166, v157
	v_cmp_gt_i32_e64 s17, 0, v157
	v_not_b32_e32 v157, v158
	v_lshlrev_b32_e32 v164, 26, v37
	v_cmp_ne_u32_e32 vcc_lo, 0, v161
	v_ashrrev_i32_e32 v166, 31, v166
	v_lshlrev_b32_e32 v165, 25, v37
	v_ashrrev_i32_e32 v157, 31, v157
	v_lshlrev_b32_e32 v161, 24, v37
	v_xor_b32_e32 v156, vcc_lo, v156
	v_cmp_gt_i32_e32 vcc_lo, 0, v158
	v_not_b32_e32 v158, v160
	v_xor_b32_e32 v166, s17, v166
	v_cmp_gt_i32_e64 s17, 0, v160
	v_and_b32_e32 v156, exec_lo, v156
	v_not_b32_e32 v160, v162
	v_ashrrev_i32_e32 v158, 31, v158
	v_xor_b32_e32 v157, vcc_lo, v157
	v_cmp_gt_i32_e32 vcc_lo, 0, v162
	v_and_b32_e32 v156, v156, v166
	v_not_b32_e32 v162, v164
	v_ashrrev_i32_e32 v160, 31, v160
	v_xor_b32_e32 v158, s17, v158
	v_cmp_gt_i32_e64 s17, 0, v164
	v_and_b32_e32 v156, v156, v157
	v_not_b32_e32 v157, v165
	v_ashrrev_i32_e32 v162, 31, v162
	v_xor_b32_e32 v160, vcc_lo, v160
	v_cmp_gt_i32_e32 vcc_lo, 0, v165
	v_and_b32_e32 v156, v156, v158
	v_not_b32_e32 v158, v161
	v_ashrrev_i32_e32 v157, 31, v157
	v_xor_b32_e32 v162, s17, v162
	v_mul_u32_u24_e32 v37, 9, v37
	v_and_b32_e32 v156, v156, v160
	v_cmp_gt_i32_e64 s17, 0, v161
	v_ashrrev_i32_e32 v158, 31, v158
	v_xor_b32_e32 v157, vcc_lo, v157
	v_add_lshl_u32 v160, v37, v128, 2
	v_and_b32_e32 v156, v156, v162
	s_delay_alu instid0(VALU_DEP_4) | instskip(NEXT) | instid1(VALU_DEP_3)
	v_xor_b32_e32 v37, s17, v158
	v_add_nc_u32_e32 v158, 0x420, v160
	s_delay_alu instid0(VALU_DEP_3) | instskip(SKIP_2) | instid1(VALU_DEP_1)
	v_and_b32_e32 v157, v156, v157
	ds_load_b32 v156, v160 offset:1056
	; wave barrier
	v_and_b32_e32 v37, v157, v37
	v_mbcnt_lo_u32_b32 v157, v37, 0
	v_cmp_ne_u32_e64 s17, 0, v37
	s_delay_alu instid0(VALU_DEP_2) | instskip(NEXT) | instid1(VALU_DEP_2)
	v_cmp_eq_u32_e32 vcc_lo, 0, v157
	s_and_b32 s18, s17, vcc_lo
	s_delay_alu instid0(SALU_CYCLE_1)
	s_and_saveexec_b32 s17, s18
	s_cbranch_execz .LBB534_148
; %bb.147:                              ;   in Loop: Header=BB534_106 Depth=2
	s_waitcnt lgkmcnt(0)
	v_bcnt_u32_b32 v37, v37, v156
	ds_store_b32 v158, v37
.LBB534_148:                            ;   in Loop: Header=BB534_106 Depth=2
	s_or_b32 exec_lo, exec_lo, s17
	v_xor_b32_e32 v155, 0x7fffffff, v155
	; wave barrier
	s_delay_alu instid0(VALU_DEP_1) | instskip(NEXT) | instid1(VALU_DEP_1)
	v_lshrrev_b32_e32 v37, s38, v155
	v_and_b32_e32 v37, s39, v37
	s_delay_alu instid0(VALU_DEP_1)
	v_and_b32_e32 v160, 1, v37
	v_lshlrev_b32_e32 v161, 30, v37
	v_lshlrev_b32_e32 v162, 29, v37
	;; [unrolled: 1-line block ×4, first 2 shown]
	v_add_co_u32 v160, s17, v160, -1
	s_delay_alu instid0(VALU_DEP_1)
	v_cndmask_b32_e64 v165, 0, 1, s17
	v_not_b32_e32 v170, v161
	v_cmp_gt_i32_e64 s17, 0, v161
	v_not_b32_e32 v161, v162
	v_lshlrev_b32_e32 v168, 26, v37
	v_cmp_ne_u32_e32 vcc_lo, 0, v165
	v_ashrrev_i32_e32 v170, 31, v170
	v_lshlrev_b32_e32 v169, 25, v37
	v_ashrrev_i32_e32 v161, 31, v161
	v_lshlrev_b32_e32 v165, 24, v37
	v_xor_b32_e32 v160, vcc_lo, v160
	v_cmp_gt_i32_e32 vcc_lo, 0, v162
	v_not_b32_e32 v162, v164
	v_xor_b32_e32 v170, s17, v170
	v_cmp_gt_i32_e64 s17, 0, v164
	v_and_b32_e32 v160, exec_lo, v160
	v_not_b32_e32 v164, v166
	v_ashrrev_i32_e32 v162, 31, v162
	v_xor_b32_e32 v161, vcc_lo, v161
	v_cmp_gt_i32_e32 vcc_lo, 0, v166
	v_and_b32_e32 v160, v160, v170
	v_not_b32_e32 v166, v168
	v_ashrrev_i32_e32 v164, 31, v164
	v_xor_b32_e32 v162, s17, v162
	v_cmp_gt_i32_e64 s17, 0, v168
	v_and_b32_e32 v160, v160, v161
	v_not_b32_e32 v161, v169
	v_ashrrev_i32_e32 v166, 31, v166
	v_xor_b32_e32 v164, vcc_lo, v164
	v_cmp_gt_i32_e32 vcc_lo, 0, v169
	v_and_b32_e32 v160, v160, v162
	v_not_b32_e32 v162, v165
	v_ashrrev_i32_e32 v161, 31, v161
	v_xor_b32_e32 v166, s17, v166
	v_mul_u32_u24_e32 v37, 9, v37
	v_and_b32_e32 v160, v160, v164
	v_cmp_gt_i32_e64 s17, 0, v165
	v_ashrrev_i32_e32 v162, 31, v162
	v_xor_b32_e32 v161, vcc_lo, v161
	v_add_lshl_u32 v164, v37, v128, 2
	v_and_b32_e32 v160, v160, v166
	s_delay_alu instid0(VALU_DEP_4) | instskip(NEXT) | instid1(VALU_DEP_3)
	v_xor_b32_e32 v37, s17, v162
	v_add_nc_u32_e32 v162, 0x420, v164
	s_delay_alu instid0(VALU_DEP_3) | instskip(SKIP_2) | instid1(VALU_DEP_1)
	v_and_b32_e32 v161, v160, v161
	ds_load_b32 v160, v164 offset:1056
	; wave barrier
	v_and_b32_e32 v37, v161, v37
	v_mbcnt_lo_u32_b32 v161, v37, 0
	v_cmp_ne_u32_e64 s17, 0, v37
	s_delay_alu instid0(VALU_DEP_2) | instskip(NEXT) | instid1(VALU_DEP_2)
	v_cmp_eq_u32_e32 vcc_lo, 0, v161
	s_and_b32 s18, s17, vcc_lo
	s_delay_alu instid0(SALU_CYCLE_1)
	s_and_saveexec_b32 s17, s18
	s_cbranch_execz .LBB534_150
; %bb.149:                              ;   in Loop: Header=BB534_106 Depth=2
	s_waitcnt lgkmcnt(0)
	v_bcnt_u32_b32 v37, v37, v160
	ds_store_b32 v162, v37
.LBB534_150:                            ;   in Loop: Header=BB534_106 Depth=2
	s_or_b32 exec_lo, exec_lo, s17
	v_xor_b32_e32 v159, 0x7fffffff, v159
	; wave barrier
	s_delay_alu instid0(VALU_DEP_1) | instskip(NEXT) | instid1(VALU_DEP_1)
	v_lshrrev_b32_e32 v37, s38, v159
	v_and_b32_e32 v37, s39, v37
	s_delay_alu instid0(VALU_DEP_1)
	v_and_b32_e32 v164, 1, v37
	v_lshlrev_b32_e32 v165, 30, v37
	v_lshlrev_b32_e32 v166, 29, v37
	;; [unrolled: 1-line block ×4, first 2 shown]
	v_add_co_u32 v164, s17, v164, -1
	s_delay_alu instid0(VALU_DEP_1)
	v_cndmask_b32_e64 v169, 0, 1, s17
	v_not_b32_e32 v175, v165
	v_cmp_gt_i32_e64 s17, 0, v165
	v_not_b32_e32 v165, v166
	v_lshlrev_b32_e32 v173, 26, v37
	v_cmp_ne_u32_e32 vcc_lo, 0, v169
	v_ashrrev_i32_e32 v175, 31, v175
	v_lshlrev_b32_e32 v174, 25, v37
	v_ashrrev_i32_e32 v165, 31, v165
	v_lshlrev_b32_e32 v169, 24, v37
	v_xor_b32_e32 v164, vcc_lo, v164
	v_cmp_gt_i32_e32 vcc_lo, 0, v166
	v_not_b32_e32 v166, v168
	v_xor_b32_e32 v175, s17, v175
	v_cmp_gt_i32_e64 s17, 0, v168
	v_and_b32_e32 v164, exec_lo, v164
	v_not_b32_e32 v168, v170
	v_ashrrev_i32_e32 v166, 31, v166
	v_xor_b32_e32 v165, vcc_lo, v165
	v_cmp_gt_i32_e32 vcc_lo, 0, v170
	v_and_b32_e32 v164, v164, v175
	v_not_b32_e32 v170, v173
	v_ashrrev_i32_e32 v168, 31, v168
	v_xor_b32_e32 v166, s17, v166
	v_cmp_gt_i32_e64 s17, 0, v173
	v_and_b32_e32 v164, v164, v165
	v_not_b32_e32 v165, v174
	v_ashrrev_i32_e32 v170, 31, v170
	v_xor_b32_e32 v168, vcc_lo, v168
	v_cmp_gt_i32_e32 vcc_lo, 0, v174
	v_and_b32_e32 v164, v164, v166
	v_not_b32_e32 v166, v169
	v_ashrrev_i32_e32 v165, 31, v165
	v_xor_b32_e32 v170, s17, v170
	v_mul_u32_u24_e32 v37, 9, v37
	v_and_b32_e32 v164, v164, v168
	v_cmp_gt_i32_e64 s17, 0, v169
	v_ashrrev_i32_e32 v166, 31, v166
	v_xor_b32_e32 v165, vcc_lo, v165
	v_add_lshl_u32 v168, v37, v128, 2
	v_and_b32_e32 v164, v164, v170
	s_delay_alu instid0(VALU_DEP_4) | instskip(NEXT) | instid1(VALU_DEP_3)
	v_xor_b32_e32 v37, s17, v166
	v_add_nc_u32_e32 v166, 0x420, v168
	s_delay_alu instid0(VALU_DEP_3) | instskip(SKIP_2) | instid1(VALU_DEP_1)
	v_and_b32_e32 v165, v164, v165
	ds_load_b32 v164, v168 offset:1056
	; wave barrier
	v_and_b32_e32 v37, v165, v37
	v_mbcnt_lo_u32_b32 v165, v37, 0
	v_cmp_ne_u32_e64 s17, 0, v37
	s_delay_alu instid0(VALU_DEP_2) | instskip(NEXT) | instid1(VALU_DEP_2)
	v_cmp_eq_u32_e32 vcc_lo, 0, v165
	s_and_b32 s18, s17, vcc_lo
	s_delay_alu instid0(SALU_CYCLE_1)
	s_and_saveexec_b32 s17, s18
	s_cbranch_execz .LBB534_152
; %bb.151:                              ;   in Loop: Header=BB534_106 Depth=2
	s_waitcnt lgkmcnt(0)
	v_bcnt_u32_b32 v37, v37, v164
	ds_store_b32 v166, v37
.LBB534_152:                            ;   in Loop: Header=BB534_106 Depth=2
	s_or_b32 exec_lo, exec_lo, s17
	v_xor_b32_e32 v163, 0x7fffffff, v163
	; wave barrier
	s_delay_alu instid0(VALU_DEP_1) | instskip(NEXT) | instid1(VALU_DEP_1)
	v_lshrrev_b32_e32 v37, s38, v163
	v_and_b32_e32 v37, s39, v37
	s_delay_alu instid0(VALU_DEP_1)
	v_and_b32_e32 v168, 1, v37
	v_lshlrev_b32_e32 v169, 30, v37
	v_lshlrev_b32_e32 v170, 29, v37
	;; [unrolled: 1-line block ×4, first 2 shown]
	v_add_co_u32 v168, s17, v168, -1
	s_delay_alu instid0(VALU_DEP_1)
	v_cndmask_b32_e64 v174, 0, 1, s17
	v_not_b32_e32 v178, v169
	v_cmp_gt_i32_e64 s17, 0, v169
	v_not_b32_e32 v169, v170
	v_lshlrev_b32_e32 v176, 26, v37
	v_cmp_ne_u32_e32 vcc_lo, 0, v174
	v_ashrrev_i32_e32 v178, 31, v178
	v_lshlrev_b32_e32 v177, 25, v37
	v_ashrrev_i32_e32 v169, 31, v169
	v_lshlrev_b32_e32 v174, 24, v37
	v_xor_b32_e32 v168, vcc_lo, v168
	v_cmp_gt_i32_e32 vcc_lo, 0, v170
	v_not_b32_e32 v170, v173
	v_xor_b32_e32 v178, s17, v178
	v_cmp_gt_i32_e64 s17, 0, v173
	v_and_b32_e32 v168, exec_lo, v168
	v_not_b32_e32 v173, v175
	v_ashrrev_i32_e32 v170, 31, v170
	v_xor_b32_e32 v169, vcc_lo, v169
	v_cmp_gt_i32_e32 vcc_lo, 0, v175
	v_and_b32_e32 v168, v168, v178
	v_not_b32_e32 v175, v176
	v_ashrrev_i32_e32 v173, 31, v173
	v_xor_b32_e32 v170, s17, v170
	v_cmp_gt_i32_e64 s17, 0, v176
	v_and_b32_e32 v168, v168, v169
	v_not_b32_e32 v169, v177
	v_ashrrev_i32_e32 v175, 31, v175
	v_xor_b32_e32 v173, vcc_lo, v173
	v_cmp_gt_i32_e32 vcc_lo, 0, v177
	v_and_b32_e32 v168, v168, v170
	v_not_b32_e32 v170, v174
	v_ashrrev_i32_e32 v169, 31, v169
	v_xor_b32_e32 v175, s17, v175
	v_mul_u32_u24_e32 v37, 9, v37
	v_and_b32_e32 v168, v168, v173
	v_cmp_gt_i32_e64 s17, 0, v174
	v_ashrrev_i32_e32 v170, 31, v170
	v_xor_b32_e32 v169, vcc_lo, v169
	v_add_lshl_u32 v173, v37, v128, 2
	v_and_b32_e32 v168, v168, v175
	s_delay_alu instid0(VALU_DEP_4) | instskip(NEXT) | instid1(VALU_DEP_3)
	v_xor_b32_e32 v37, s17, v170
	v_add_nc_u32_e32 v170, 0x420, v173
	s_delay_alu instid0(VALU_DEP_3) | instskip(SKIP_2) | instid1(VALU_DEP_1)
	v_and_b32_e32 v169, v168, v169
	ds_load_b32 v168, v173 offset:1056
	; wave barrier
	v_and_b32_e32 v37, v169, v37
	v_mbcnt_lo_u32_b32 v169, v37, 0
	v_cmp_ne_u32_e64 s17, 0, v37
	s_delay_alu instid0(VALU_DEP_2) | instskip(NEXT) | instid1(VALU_DEP_2)
	v_cmp_eq_u32_e32 vcc_lo, 0, v169
	s_and_b32 s18, s17, vcc_lo
	s_delay_alu instid0(SALU_CYCLE_1)
	s_and_saveexec_b32 s17, s18
	s_cbranch_execz .LBB534_154
; %bb.153:                              ;   in Loop: Header=BB534_106 Depth=2
	s_waitcnt lgkmcnt(0)
	v_bcnt_u32_b32 v37, v37, v168
	ds_store_b32 v170, v37
.LBB534_154:                            ;   in Loop: Header=BB534_106 Depth=2
	s_or_b32 exec_lo, exec_lo, s17
	v_xor_b32_e32 v167, 0x7fffffff, v167
	; wave barrier
	s_delay_alu instid0(VALU_DEP_1) | instskip(NEXT) | instid1(VALU_DEP_1)
	v_lshrrev_b32_e32 v37, s38, v167
	v_and_b32_e32 v37, s39, v37
	s_delay_alu instid0(VALU_DEP_1)
	v_and_b32_e32 v173, 1, v37
	v_lshlrev_b32_e32 v174, 30, v37
	v_lshlrev_b32_e32 v175, 29, v37
	;; [unrolled: 1-line block ×4, first 2 shown]
	v_add_co_u32 v173, s17, v173, -1
	s_delay_alu instid0(VALU_DEP_1)
	v_cndmask_b32_e64 v177, 0, 1, s17
	v_not_b32_e32 v181, v174
	v_cmp_gt_i32_e64 s17, 0, v174
	v_not_b32_e32 v174, v175
	v_lshlrev_b32_e32 v179, 26, v37
	v_cmp_ne_u32_e32 vcc_lo, 0, v177
	v_ashrrev_i32_e32 v181, 31, v181
	v_lshlrev_b32_e32 v180, 25, v37
	v_ashrrev_i32_e32 v174, 31, v174
	v_lshlrev_b32_e32 v177, 24, v37
	v_xor_b32_e32 v173, vcc_lo, v173
	v_cmp_gt_i32_e32 vcc_lo, 0, v175
	v_not_b32_e32 v175, v176
	v_xor_b32_e32 v181, s17, v181
	v_cmp_gt_i32_e64 s17, 0, v176
	v_and_b32_e32 v173, exec_lo, v173
	v_not_b32_e32 v176, v178
	v_ashrrev_i32_e32 v175, 31, v175
	v_xor_b32_e32 v174, vcc_lo, v174
	v_cmp_gt_i32_e32 vcc_lo, 0, v178
	v_and_b32_e32 v173, v173, v181
	v_not_b32_e32 v178, v179
	v_ashrrev_i32_e32 v176, 31, v176
	v_xor_b32_e32 v175, s17, v175
	v_cmp_gt_i32_e64 s17, 0, v179
	v_and_b32_e32 v173, v173, v174
	v_not_b32_e32 v174, v180
	v_ashrrev_i32_e32 v178, 31, v178
	v_xor_b32_e32 v176, vcc_lo, v176
	v_cmp_gt_i32_e32 vcc_lo, 0, v180
	v_and_b32_e32 v173, v173, v175
	v_not_b32_e32 v175, v177
	v_ashrrev_i32_e32 v174, 31, v174
	v_xor_b32_e32 v178, s17, v178
	v_mul_u32_u24_e32 v37, 9, v37
	v_and_b32_e32 v173, v173, v176
	v_cmp_gt_i32_e64 s17, 0, v177
	v_ashrrev_i32_e32 v175, 31, v175
	v_xor_b32_e32 v174, vcc_lo, v174
	v_add_lshl_u32 v176, v37, v128, 2
	v_and_b32_e32 v173, v173, v178
	s_delay_alu instid0(VALU_DEP_4) | instskip(NEXT) | instid1(VALU_DEP_3)
	v_xor_b32_e32 v37, s17, v175
	v_add_nc_u32_e32 v175, 0x420, v176
	s_delay_alu instid0(VALU_DEP_3) | instskip(SKIP_2) | instid1(VALU_DEP_1)
	v_and_b32_e32 v174, v173, v174
	ds_load_b32 v173, v176 offset:1056
	; wave barrier
	v_and_b32_e32 v37, v174, v37
	v_mbcnt_lo_u32_b32 v174, v37, 0
	v_cmp_ne_u32_e64 s17, 0, v37
	s_delay_alu instid0(VALU_DEP_2) | instskip(NEXT) | instid1(VALU_DEP_2)
	v_cmp_eq_u32_e32 vcc_lo, 0, v174
	s_and_b32 s18, s17, vcc_lo
	s_delay_alu instid0(SALU_CYCLE_1)
	s_and_saveexec_b32 s17, s18
	s_cbranch_execz .LBB534_156
; %bb.155:                              ;   in Loop: Header=BB534_106 Depth=2
	s_waitcnt lgkmcnt(0)
	v_bcnt_u32_b32 v37, v37, v173
	ds_store_b32 v175, v37
.LBB534_156:                            ;   in Loop: Header=BB534_106 Depth=2
	s_or_b32 exec_lo, exec_lo, s17
	v_xor_b32_e32 v172, 0x7fffffff, v172
	; wave barrier
	s_delay_alu instid0(VALU_DEP_1) | instskip(NEXT) | instid1(VALU_DEP_1)
	v_lshrrev_b32_e32 v37, s38, v172
	v_and_b32_e32 v37, s39, v37
	s_delay_alu instid0(VALU_DEP_1)
	v_and_b32_e32 v176, 1, v37
	v_lshlrev_b32_e32 v177, 30, v37
	v_lshlrev_b32_e32 v178, 29, v37
	;; [unrolled: 1-line block ×4, first 2 shown]
	v_add_co_u32 v176, s17, v176, -1
	s_delay_alu instid0(VALU_DEP_1)
	v_cndmask_b32_e64 v180, 0, 1, s17
	v_not_b32_e32 v184, v177
	v_cmp_gt_i32_e64 s17, 0, v177
	v_not_b32_e32 v177, v178
	v_lshlrev_b32_e32 v182, 26, v37
	v_cmp_ne_u32_e32 vcc_lo, 0, v180
	v_ashrrev_i32_e32 v184, 31, v184
	v_lshlrev_b32_e32 v183, 25, v37
	v_ashrrev_i32_e32 v177, 31, v177
	v_lshlrev_b32_e32 v180, 24, v37
	v_xor_b32_e32 v176, vcc_lo, v176
	v_cmp_gt_i32_e32 vcc_lo, 0, v178
	v_not_b32_e32 v178, v179
	v_xor_b32_e32 v184, s17, v184
	v_cmp_gt_i32_e64 s17, 0, v179
	v_and_b32_e32 v176, exec_lo, v176
	v_not_b32_e32 v179, v181
	v_ashrrev_i32_e32 v178, 31, v178
	v_xor_b32_e32 v177, vcc_lo, v177
	v_cmp_gt_i32_e32 vcc_lo, 0, v181
	v_and_b32_e32 v176, v176, v184
	v_not_b32_e32 v181, v182
	v_ashrrev_i32_e32 v179, 31, v179
	v_xor_b32_e32 v178, s17, v178
	v_cmp_gt_i32_e64 s17, 0, v182
	v_and_b32_e32 v176, v176, v177
	v_not_b32_e32 v177, v183
	v_ashrrev_i32_e32 v181, 31, v181
	v_xor_b32_e32 v179, vcc_lo, v179
	v_cmp_gt_i32_e32 vcc_lo, 0, v183
	v_and_b32_e32 v176, v176, v178
	v_not_b32_e32 v178, v180
	v_ashrrev_i32_e32 v177, 31, v177
	v_xor_b32_e32 v181, s17, v181
	v_mul_u32_u24_e32 v37, 9, v37
	v_and_b32_e32 v176, v176, v179
	v_cmp_gt_i32_e64 s17, 0, v180
	v_ashrrev_i32_e32 v178, 31, v178
	v_xor_b32_e32 v177, vcc_lo, v177
	v_add_lshl_u32 v179, v37, v128, 2
	v_and_b32_e32 v176, v176, v181
	s_delay_alu instid0(VALU_DEP_4) | instskip(NEXT) | instid1(VALU_DEP_3)
	v_xor_b32_e32 v37, s17, v178
	v_add_nc_u32_e32 v178, 0x420, v179
	s_delay_alu instid0(VALU_DEP_3) | instskip(SKIP_2) | instid1(VALU_DEP_1)
	v_and_b32_e32 v177, v176, v177
	ds_load_b32 v176, v179 offset:1056
	; wave barrier
	v_and_b32_e32 v37, v177, v37
	v_mbcnt_lo_u32_b32 v177, v37, 0
	v_cmp_ne_u32_e64 s17, 0, v37
	s_delay_alu instid0(VALU_DEP_2) | instskip(NEXT) | instid1(VALU_DEP_2)
	v_cmp_eq_u32_e32 vcc_lo, 0, v177
	s_and_b32 s18, s17, vcc_lo
	s_delay_alu instid0(SALU_CYCLE_1)
	s_and_saveexec_b32 s17, s18
	s_cbranch_execz .LBB534_158
; %bb.157:                              ;   in Loop: Header=BB534_106 Depth=2
	s_waitcnt lgkmcnt(0)
	v_bcnt_u32_b32 v37, v37, v176
	ds_store_b32 v178, v37
.LBB534_158:                            ;   in Loop: Header=BB534_106 Depth=2
	s_or_b32 exec_lo, exec_lo, s17
	v_xor_b32_e32 v171, 0x7fffffff, v171
	; wave barrier
	s_delay_alu instid0(VALU_DEP_1) | instskip(NEXT) | instid1(VALU_DEP_1)
	v_lshrrev_b32_e32 v37, s38, v171
	v_and_b32_e32 v37, s39, v37
	s_delay_alu instid0(VALU_DEP_1)
	v_and_b32_e32 v179, 1, v37
	v_lshlrev_b32_e32 v180, 30, v37
	v_lshlrev_b32_e32 v181, 29, v37
	;; [unrolled: 1-line block ×4, first 2 shown]
	v_add_co_u32 v179, s17, v179, -1
	s_delay_alu instid0(VALU_DEP_1)
	v_cndmask_b32_e64 v183, 0, 1, s17
	v_not_b32_e32 v187, v180
	v_cmp_gt_i32_e64 s17, 0, v180
	v_not_b32_e32 v180, v181
	v_lshlrev_b32_e32 v185, 26, v37
	v_cmp_ne_u32_e32 vcc_lo, 0, v183
	v_ashrrev_i32_e32 v187, 31, v187
	v_lshlrev_b32_e32 v186, 25, v37
	v_ashrrev_i32_e32 v180, 31, v180
	v_lshlrev_b32_e32 v183, 24, v37
	v_xor_b32_e32 v179, vcc_lo, v179
	v_cmp_gt_i32_e32 vcc_lo, 0, v181
	v_not_b32_e32 v181, v182
	v_xor_b32_e32 v187, s17, v187
	v_cmp_gt_i32_e64 s17, 0, v182
	v_and_b32_e32 v179, exec_lo, v179
	v_not_b32_e32 v182, v184
	v_ashrrev_i32_e32 v181, 31, v181
	v_xor_b32_e32 v180, vcc_lo, v180
	v_cmp_gt_i32_e32 vcc_lo, 0, v184
	v_and_b32_e32 v179, v179, v187
	v_not_b32_e32 v184, v185
	v_ashrrev_i32_e32 v182, 31, v182
	v_xor_b32_e32 v181, s17, v181
	v_cmp_gt_i32_e64 s17, 0, v185
	v_and_b32_e32 v179, v179, v180
	v_not_b32_e32 v180, v186
	v_ashrrev_i32_e32 v184, 31, v184
	v_xor_b32_e32 v182, vcc_lo, v182
	v_cmp_gt_i32_e32 vcc_lo, 0, v186
	v_and_b32_e32 v179, v179, v181
	v_not_b32_e32 v181, v183
	v_ashrrev_i32_e32 v180, 31, v180
	v_xor_b32_e32 v184, s17, v184
	v_mul_u32_u24_e32 v37, 9, v37
	v_and_b32_e32 v179, v179, v182
	v_cmp_gt_i32_e64 s17, 0, v183
	v_ashrrev_i32_e32 v181, 31, v181
	v_xor_b32_e32 v180, vcc_lo, v180
	v_add_lshl_u32 v182, v37, v128, 2
	v_and_b32_e32 v179, v179, v184
	s_delay_alu instid0(VALU_DEP_4) | instskip(NEXT) | instid1(VALU_DEP_2)
	v_xor_b32_e32 v37, s17, v181
	v_and_b32_e32 v179, v179, v180
	ds_load_b32 v180, v182 offset:1056
	v_add_nc_u32_e32 v182, 0x420, v182
	; wave barrier
	v_and_b32_e32 v37, v179, v37
	s_delay_alu instid0(VALU_DEP_1) | instskip(SKIP_1) | instid1(VALU_DEP_2)
	v_mbcnt_lo_u32_b32 v181, v37, 0
	v_cmp_ne_u32_e64 s17, 0, v37
	v_cmp_eq_u32_e32 vcc_lo, 0, v181
	s_delay_alu instid0(VALU_DEP_2) | instskip(NEXT) | instid1(SALU_CYCLE_1)
	s_and_b32 s18, s17, vcc_lo
	s_and_saveexec_b32 s17, s18
	s_cbranch_execz .LBB534_160
; %bb.159:                              ;   in Loop: Header=BB534_106 Depth=2
	s_waitcnt lgkmcnt(0)
	v_bcnt_u32_b32 v37, v37, v180
	ds_store_b32 v182, v37
.LBB534_160:                            ;   in Loop: Header=BB534_106 Depth=2
	s_or_b32 exec_lo, exec_lo, s17
	v_xor_b32_e32 v179, 0x7fffffff, v43
	; wave barrier
	s_delay_alu instid0(VALU_DEP_1) | instskip(NEXT) | instid1(VALU_DEP_1)
	v_lshrrev_b32_e32 v37, s38, v179
	v_and_b32_e32 v37, s39, v37
	s_delay_alu instid0(VALU_DEP_1)
	v_and_b32_e32 v43, 1, v37
	v_lshlrev_b32_e32 v183, 30, v37
	v_lshlrev_b32_e32 v184, 29, v37
	;; [unrolled: 1-line block ×4, first 2 shown]
	v_add_co_u32 v43, s17, v43, -1
	s_delay_alu instid0(VALU_DEP_1)
	v_cndmask_b32_e64 v186, 0, 1, s17
	v_not_b32_e32 v190, v183
	v_cmp_gt_i32_e64 s17, 0, v183
	v_not_b32_e32 v183, v184
	v_lshlrev_b32_e32 v188, 26, v37
	v_cmp_ne_u32_e32 vcc_lo, 0, v186
	v_ashrrev_i32_e32 v190, 31, v190
	v_lshlrev_b32_e32 v189, 25, v37
	v_ashrrev_i32_e32 v183, 31, v183
	v_lshlrev_b32_e32 v186, 24, v37
	v_xor_b32_e32 v43, vcc_lo, v43
	v_cmp_gt_i32_e32 vcc_lo, 0, v184
	v_not_b32_e32 v184, v185
	v_xor_b32_e32 v190, s17, v190
	v_cmp_gt_i32_e64 s17, 0, v185
	v_and_b32_e32 v43, exec_lo, v43
	v_not_b32_e32 v185, v187
	v_ashrrev_i32_e32 v184, 31, v184
	v_xor_b32_e32 v183, vcc_lo, v183
	v_cmp_gt_i32_e32 vcc_lo, 0, v187
	v_and_b32_e32 v43, v43, v190
	v_not_b32_e32 v187, v188
	v_ashrrev_i32_e32 v185, 31, v185
	v_xor_b32_e32 v184, s17, v184
	v_cmp_gt_i32_e64 s17, 0, v188
	v_and_b32_e32 v43, v43, v183
	v_not_b32_e32 v183, v189
	v_ashrrev_i32_e32 v187, 31, v187
	v_xor_b32_e32 v185, vcc_lo, v185
	v_cmp_gt_i32_e32 vcc_lo, 0, v189
	v_and_b32_e32 v43, v43, v184
	v_not_b32_e32 v184, v186
	v_ashrrev_i32_e32 v183, 31, v183
	v_xor_b32_e32 v187, s17, v187
	v_mul_u32_u24_e32 v37, 9, v37
	v_and_b32_e32 v43, v43, v185
	v_cmp_gt_i32_e64 s17, 0, v186
	v_ashrrev_i32_e32 v184, 31, v184
	v_xor_b32_e32 v183, vcc_lo, v183
	v_add_lshl_u32 v186, v37, v128, 2
	v_and_b32_e32 v43, v43, v187
	s_delay_alu instid0(VALU_DEP_4) | instskip(SKIP_3) | instid1(VALU_DEP_2)
	v_xor_b32_e32 v37, s17, v184
	ds_load_b32 v184, v186 offset:1056
	v_and_b32_e32 v43, v43, v183
	v_add_nc_u32_e32 v186, 0x420, v186
	; wave barrier
	v_and_b32_e32 v37, v43, v37
	s_delay_alu instid0(VALU_DEP_1) | instskip(SKIP_1) | instid1(VALU_DEP_2)
	v_mbcnt_lo_u32_b32 v185, v37, 0
	v_cmp_ne_u32_e64 s17, 0, v37
	v_cmp_eq_u32_e32 vcc_lo, 0, v185
	s_delay_alu instid0(VALU_DEP_2) | instskip(NEXT) | instid1(SALU_CYCLE_1)
	s_and_b32 s18, s17, vcc_lo
	s_and_saveexec_b32 s17, s18
	s_cbranch_execz .LBB534_162
; %bb.161:                              ;   in Loop: Header=BB534_106 Depth=2
	s_waitcnt lgkmcnt(0)
	v_bcnt_u32_b32 v37, v37, v184
	ds_store_b32 v186, v37
.LBB534_162:                            ;   in Loop: Header=BB534_106 Depth=2
	s_or_b32 exec_lo, exec_lo, s17
	v_xor_b32_e32 v183, 0x7fffffff, v42
	; wave barrier
	s_delay_alu instid0(VALU_DEP_1) | instskip(NEXT) | instid1(VALU_DEP_1)
	v_lshrrev_b32_e32 v37, s38, v183
	v_and_b32_e32 v37, s39, v37
	s_delay_alu instid0(VALU_DEP_1)
	v_and_b32_e32 v42, 1, v37
	v_lshlrev_b32_e32 v43, 30, v37
	v_lshlrev_b32_e32 v187, 29, v37
	;; [unrolled: 1-line block ×4, first 2 shown]
	v_add_co_u32 v42, s17, v42, -1
	s_delay_alu instid0(VALU_DEP_1)
	v_cndmask_b32_e64 v189, 0, 1, s17
	v_not_b32_e32 v193, v43
	v_cmp_gt_i32_e64 s17, 0, v43
	v_not_b32_e32 v43, v187
	v_lshlrev_b32_e32 v191, 26, v37
	v_cmp_ne_u32_e32 vcc_lo, 0, v189
	v_ashrrev_i32_e32 v193, 31, v193
	v_lshlrev_b32_e32 v192, 25, v37
	v_ashrrev_i32_e32 v43, 31, v43
	v_lshlrev_b32_e32 v189, 24, v37
	v_xor_b32_e32 v42, vcc_lo, v42
	v_cmp_gt_i32_e32 vcc_lo, 0, v187
	v_not_b32_e32 v187, v188
	v_xor_b32_e32 v193, s17, v193
	v_cmp_gt_i32_e64 s17, 0, v188
	v_and_b32_e32 v42, exec_lo, v42
	v_not_b32_e32 v188, v190
	v_ashrrev_i32_e32 v187, 31, v187
	v_xor_b32_e32 v43, vcc_lo, v43
	v_cmp_gt_i32_e32 vcc_lo, 0, v190
	v_and_b32_e32 v42, v42, v193
	v_not_b32_e32 v190, v191
	v_ashrrev_i32_e32 v188, 31, v188
	v_xor_b32_e32 v187, s17, v187
	v_cmp_gt_i32_e64 s17, 0, v191
	v_and_b32_e32 v42, v42, v43
	v_not_b32_e32 v43, v192
	v_ashrrev_i32_e32 v190, 31, v190
	v_xor_b32_e32 v188, vcc_lo, v188
	v_cmp_gt_i32_e32 vcc_lo, 0, v192
	v_and_b32_e32 v42, v42, v187
	v_not_b32_e32 v187, v189
	v_ashrrev_i32_e32 v43, 31, v43
	v_xor_b32_e32 v190, s17, v190
	v_mul_u32_u24_e32 v37, 9, v37
	v_and_b32_e32 v42, v42, v188
	v_cmp_gt_i32_e64 s17, 0, v189
	v_ashrrev_i32_e32 v187, 31, v187
	v_xor_b32_e32 v43, vcc_lo, v43
	s_delay_alu instid0(VALU_DEP_4) | instskip(SKIP_1) | instid1(VALU_DEP_4)
	v_and_b32_e32 v42, v42, v190
	v_add_lshl_u32 v190, v37, v128, 2
	v_xor_b32_e32 v37, s17, v187
	s_delay_alu instid0(VALU_DEP_3) | instskip(SKIP_3) | instid1(VALU_DEP_1)
	v_and_b32_e32 v42, v42, v43
	ds_load_b32 v188, v190 offset:1056
	v_add_nc_u32_e32 v190, 0x420, v190
	; wave barrier
	v_and_b32_e32 v37, v42, v37
	v_mbcnt_lo_u32_b32 v189, v37, 0
	v_cmp_ne_u32_e64 s17, 0, v37
	s_delay_alu instid0(VALU_DEP_2) | instskip(NEXT) | instid1(VALU_DEP_2)
	v_cmp_eq_u32_e32 vcc_lo, 0, v189
	s_and_b32 s18, s17, vcc_lo
	s_delay_alu instid0(SALU_CYCLE_1)
	s_and_saveexec_b32 s17, s18
	s_cbranch_execz .LBB534_164
; %bb.163:                              ;   in Loop: Header=BB534_106 Depth=2
	s_waitcnt lgkmcnt(0)
	v_bcnt_u32_b32 v37, v37, v188
	ds_store_b32 v190, v37
.LBB534_164:                            ;   in Loop: Header=BB534_106 Depth=2
	s_or_b32 exec_lo, exec_lo, s17
	v_xor_b32_e32 v187, 0x7fffffff, v41
	; wave barrier
	s_delay_alu instid0(VALU_DEP_1) | instskip(NEXT) | instid1(VALU_DEP_1)
	v_lshrrev_b32_e32 v37, s38, v187
	v_and_b32_e32 v37, s39, v37
	s_delay_alu instid0(VALU_DEP_1)
	v_and_b32_e32 v41, 1, v37
	v_lshlrev_b32_e32 v42, 30, v37
	v_lshlrev_b32_e32 v43, 29, v37
	;; [unrolled: 1-line block ×4, first 2 shown]
	v_add_co_u32 v41, s17, v41, -1
	s_delay_alu instid0(VALU_DEP_1)
	v_cndmask_b32_e64 v192, 0, 1, s17
	v_not_b32_e32 v196, v42
	v_cmp_gt_i32_e64 s17, 0, v42
	v_not_b32_e32 v42, v43
	v_lshlrev_b32_e32 v194, 26, v37
	v_cmp_ne_u32_e32 vcc_lo, 0, v192
	v_ashrrev_i32_e32 v196, 31, v196
	v_lshlrev_b32_e32 v195, 25, v37
	v_ashrrev_i32_e32 v42, 31, v42
	v_lshlrev_b32_e32 v192, 24, v37
	v_xor_b32_e32 v41, vcc_lo, v41
	v_cmp_gt_i32_e32 vcc_lo, 0, v43
	v_not_b32_e32 v43, v191
	v_xor_b32_e32 v196, s17, v196
	v_cmp_gt_i32_e64 s17, 0, v191
	v_and_b32_e32 v41, exec_lo, v41
	v_not_b32_e32 v191, v193
	v_ashrrev_i32_e32 v43, 31, v43
	v_xor_b32_e32 v42, vcc_lo, v42
	v_cmp_gt_i32_e32 vcc_lo, 0, v193
	v_and_b32_e32 v41, v41, v196
	v_not_b32_e32 v193, v194
	v_ashrrev_i32_e32 v191, 31, v191
	v_xor_b32_e32 v43, s17, v43
	v_cmp_gt_i32_e64 s17, 0, v194
	v_and_b32_e32 v41, v41, v42
	v_not_b32_e32 v42, v195
	v_ashrrev_i32_e32 v193, 31, v193
	v_xor_b32_e32 v191, vcc_lo, v191
	v_cmp_gt_i32_e32 vcc_lo, 0, v195
	v_and_b32_e32 v41, v41, v43
	v_not_b32_e32 v43, v192
	v_ashrrev_i32_e32 v42, 31, v42
	v_xor_b32_e32 v193, s17, v193
	v_mul_u32_u24_e32 v37, 9, v37
	v_and_b32_e32 v41, v41, v191
	v_cmp_gt_i32_e64 s17, 0, v192
	v_ashrrev_i32_e32 v43, 31, v43
	v_xor_b32_e32 v42, vcc_lo, v42
	v_add_lshl_u32 v191, v37, v128, 2
	v_and_b32_e32 v41, v41, v193
	s_delay_alu instid0(VALU_DEP_4) | instskip(SKIP_3) | instid1(VALU_DEP_2)
	v_xor_b32_e32 v37, s17, v43
	ds_load_b32 v192, v191 offset:1056
	v_and_b32_e32 v41, v41, v42
	v_add_nc_u32_e32 v194, 0x420, v191
	; wave barrier
	v_and_b32_e32 v37, v41, v37
	s_delay_alu instid0(VALU_DEP_1) | instskip(SKIP_1) | instid1(VALU_DEP_2)
	v_mbcnt_lo_u32_b32 v193, v37, 0
	v_cmp_ne_u32_e64 s17, 0, v37
	v_cmp_eq_u32_e32 vcc_lo, 0, v193
	s_delay_alu instid0(VALU_DEP_2) | instskip(NEXT) | instid1(SALU_CYCLE_1)
	s_and_b32 s18, s17, vcc_lo
	s_and_saveexec_b32 s17, s18
	s_cbranch_execz .LBB534_166
; %bb.165:                              ;   in Loop: Header=BB534_106 Depth=2
	s_waitcnt lgkmcnt(0)
	v_bcnt_u32_b32 v37, v37, v192
	ds_store_b32 v194, v37
.LBB534_166:                            ;   in Loop: Header=BB534_106 Depth=2
	s_or_b32 exec_lo, exec_lo, s17
	v_xor_b32_e32 v191, 0x7fffffff, v40
	; wave barrier
	s_delay_alu instid0(VALU_DEP_1) | instskip(NEXT) | instid1(VALU_DEP_1)
	v_lshrrev_b32_e32 v37, s38, v191
	v_and_b32_e32 v37, s39, v37
	s_delay_alu instid0(VALU_DEP_1)
	v_and_b32_e32 v40, 1, v37
	v_lshlrev_b32_e32 v41, 30, v37
	v_lshlrev_b32_e32 v42, 29, v37
	;; [unrolled: 1-line block ×4, first 2 shown]
	v_add_co_u32 v40, s17, v40, -1
	s_delay_alu instid0(VALU_DEP_1)
	v_cndmask_b32_e64 v195, 0, 1, s17
	v_not_b32_e32 v199, v41
	v_cmp_gt_i32_e64 s17, 0, v41
	v_not_b32_e32 v41, v42
	v_lshlrev_b32_e32 v197, 26, v37
	v_cmp_ne_u32_e32 vcc_lo, 0, v195
	v_ashrrev_i32_e32 v199, 31, v199
	v_lshlrev_b32_e32 v198, 25, v37
	v_ashrrev_i32_e32 v41, 31, v41
	v_lshlrev_b32_e32 v195, 24, v37
	v_xor_b32_e32 v40, vcc_lo, v40
	v_cmp_gt_i32_e32 vcc_lo, 0, v42
	v_not_b32_e32 v42, v43
	v_xor_b32_e32 v199, s17, v199
	v_cmp_gt_i32_e64 s17, 0, v43
	v_and_b32_e32 v40, exec_lo, v40
	v_not_b32_e32 v43, v196
	v_ashrrev_i32_e32 v42, 31, v42
	v_xor_b32_e32 v41, vcc_lo, v41
	v_cmp_gt_i32_e32 vcc_lo, 0, v196
	v_and_b32_e32 v40, v40, v199
	v_not_b32_e32 v196, v197
	v_ashrrev_i32_e32 v43, 31, v43
	v_xor_b32_e32 v42, s17, v42
	v_cmp_gt_i32_e64 s17, 0, v197
	v_and_b32_e32 v40, v40, v41
	v_not_b32_e32 v41, v198
	v_ashrrev_i32_e32 v196, 31, v196
	v_xor_b32_e32 v43, vcc_lo, v43
	v_cmp_gt_i32_e32 vcc_lo, 0, v198
	v_and_b32_e32 v40, v40, v42
	v_not_b32_e32 v42, v195
	v_ashrrev_i32_e32 v41, 31, v41
	v_xor_b32_e32 v196, s17, v196
	v_mul_u32_u24_e32 v37, 9, v37
	v_and_b32_e32 v40, v40, v43
	v_cmp_gt_i32_e64 s17, 0, v195
	v_ashrrev_i32_e32 v42, 31, v42
	v_xor_b32_e32 v41, vcc_lo, v41
	v_add_lshl_u32 v43, v37, v128, 2
	v_and_b32_e32 v40, v40, v196
	s_delay_alu instid0(VALU_DEP_4) | instskip(SKIP_3) | instid1(VALU_DEP_2)
	v_xor_b32_e32 v37, s17, v42
	ds_load_b32 v196, v43 offset:1056
	v_and_b32_e32 v40, v40, v41
	v_add_nc_u32_e32 v198, 0x420, v43
	; wave barrier
	v_and_b32_e32 v37, v40, v37
	s_delay_alu instid0(VALU_DEP_1) | instskip(SKIP_1) | instid1(VALU_DEP_2)
	v_mbcnt_lo_u32_b32 v197, v37, 0
	v_cmp_ne_u32_e64 s17, 0, v37
	v_cmp_eq_u32_e32 vcc_lo, 0, v197
	s_delay_alu instid0(VALU_DEP_2) | instskip(NEXT) | instid1(SALU_CYCLE_1)
	s_and_b32 s18, s17, vcc_lo
	s_and_saveexec_b32 s17, s18
	s_cbranch_execz .LBB534_168
; %bb.167:                              ;   in Loop: Header=BB534_106 Depth=2
	s_waitcnt lgkmcnt(0)
	v_bcnt_u32_b32 v37, v37, v196
	ds_store_b32 v198, v37
.LBB534_168:                            ;   in Loop: Header=BB534_106 Depth=2
	s_or_b32 exec_lo, exec_lo, s17
	v_xor_b32_e32 v195, 0x7fffffff, v39
	; wave barrier
	s_delay_alu instid0(VALU_DEP_1) | instskip(NEXT) | instid1(VALU_DEP_1)
	v_lshrrev_b32_e32 v37, s38, v195
	v_and_b32_e32 v37, s39, v37
	s_delay_alu instid0(VALU_DEP_1)
	v_and_b32_e32 v39, 1, v37
	v_lshlrev_b32_e32 v40, 30, v37
	v_lshlrev_b32_e32 v41, 29, v37
	;; [unrolled: 1-line block ×4, first 2 shown]
	v_add_co_u32 v39, s17, v39, -1
	s_delay_alu instid0(VALU_DEP_1)
	v_cndmask_b32_e64 v43, 0, 1, s17
	v_not_b32_e32 v202, v40
	v_cmp_gt_i32_e64 s17, 0, v40
	v_not_b32_e32 v40, v41
	v_lshlrev_b32_e32 v200, 26, v37
	v_cmp_ne_u32_e32 vcc_lo, 0, v43
	v_ashrrev_i32_e32 v202, 31, v202
	v_lshlrev_b32_e32 v201, 25, v37
	v_ashrrev_i32_e32 v40, 31, v40
	v_lshlrev_b32_e32 v43, 24, v37
	v_xor_b32_e32 v39, vcc_lo, v39
	v_cmp_gt_i32_e32 vcc_lo, 0, v41
	v_not_b32_e32 v41, v42
	v_xor_b32_e32 v202, s17, v202
	v_cmp_gt_i32_e64 s17, 0, v42
	v_and_b32_e32 v39, exec_lo, v39
	v_not_b32_e32 v42, v199
	v_ashrrev_i32_e32 v41, 31, v41
	v_xor_b32_e32 v40, vcc_lo, v40
	v_cmp_gt_i32_e32 vcc_lo, 0, v199
	v_and_b32_e32 v39, v39, v202
	v_not_b32_e32 v199, v200
	v_ashrrev_i32_e32 v42, 31, v42
	v_xor_b32_e32 v41, s17, v41
	v_cmp_gt_i32_e64 s17, 0, v200
	v_and_b32_e32 v39, v39, v40
	v_not_b32_e32 v40, v201
	v_ashrrev_i32_e32 v199, 31, v199
	v_xor_b32_e32 v42, vcc_lo, v42
	v_cmp_gt_i32_e32 vcc_lo, 0, v201
	v_and_b32_e32 v39, v39, v41
	v_not_b32_e32 v41, v43
	v_ashrrev_i32_e32 v40, 31, v40
	v_xor_b32_e32 v199, s17, v199
	v_mul_u32_u24_e32 v37, 9, v37
	v_and_b32_e32 v39, v39, v42
	v_cmp_gt_i32_e64 s17, 0, v43
	v_ashrrev_i32_e32 v41, 31, v41
	v_xor_b32_e32 v40, vcc_lo, v40
	v_add_lshl_u32 v42, v37, v128, 2
	v_and_b32_e32 v39, v39, v199
	s_delay_alu instid0(VALU_DEP_4) | instskip(SKIP_3) | instid1(VALU_DEP_2)
	v_xor_b32_e32 v37, s17, v41
	ds_load_b32 v200, v42 offset:1056
	v_and_b32_e32 v39, v39, v40
	v_add_nc_u32_e32 v202, 0x420, v42
	; wave barrier
	v_and_b32_e32 v37, v39, v37
	s_delay_alu instid0(VALU_DEP_1) | instskip(SKIP_1) | instid1(VALU_DEP_2)
	v_mbcnt_lo_u32_b32 v201, v37, 0
	v_cmp_ne_u32_e64 s17, 0, v37
	v_cmp_eq_u32_e32 vcc_lo, 0, v201
	s_delay_alu instid0(VALU_DEP_2) | instskip(NEXT) | instid1(SALU_CYCLE_1)
	s_and_b32 s18, s17, vcc_lo
	s_and_saveexec_b32 s17, s18
	s_cbranch_execz .LBB534_170
; %bb.169:                              ;   in Loop: Header=BB534_106 Depth=2
	s_waitcnt lgkmcnt(0)
	v_bcnt_u32_b32 v37, v37, v200
	ds_store_b32 v202, v37
.LBB534_170:                            ;   in Loop: Header=BB534_106 Depth=2
	s_or_b32 exec_lo, exec_lo, s17
	v_xor_b32_e32 v199, 0x7fffffff, v38
	; wave barrier
	s_delay_alu instid0(VALU_DEP_1) | instskip(NEXT) | instid1(VALU_DEP_1)
	v_lshrrev_b32_e32 v37, s38, v199
	v_and_b32_e32 v37, s39, v37
	s_delay_alu instid0(VALU_DEP_1)
	v_and_b32_e32 v38, 1, v37
	v_lshlrev_b32_e32 v39, 30, v37
	v_lshlrev_b32_e32 v40, 29, v37
	;; [unrolled: 1-line block ×4, first 2 shown]
	v_add_co_u32 v38, s17, v38, -1
	s_delay_alu instid0(VALU_DEP_1)
	v_cndmask_b32_e64 v42, 0, 1, s17
	v_not_b32_e32 v205, v39
	v_cmp_gt_i32_e64 s17, 0, v39
	v_not_b32_e32 v39, v40
	v_lshlrev_b32_e32 v203, 26, v37
	v_cmp_ne_u32_e32 vcc_lo, 0, v42
	v_ashrrev_i32_e32 v205, 31, v205
	v_lshlrev_b32_e32 v204, 25, v37
	v_ashrrev_i32_e32 v39, 31, v39
	v_lshlrev_b32_e32 v42, 24, v37
	v_xor_b32_e32 v38, vcc_lo, v38
	v_cmp_gt_i32_e32 vcc_lo, 0, v40
	v_not_b32_e32 v40, v41
	v_xor_b32_e32 v205, s17, v205
	v_cmp_gt_i32_e64 s17, 0, v41
	v_and_b32_e32 v38, exec_lo, v38
	v_not_b32_e32 v41, v43
	v_ashrrev_i32_e32 v40, 31, v40
	v_xor_b32_e32 v39, vcc_lo, v39
	v_cmp_gt_i32_e32 vcc_lo, 0, v43
	v_and_b32_e32 v38, v38, v205
	v_not_b32_e32 v43, v203
	v_ashrrev_i32_e32 v41, 31, v41
	v_xor_b32_e32 v40, s17, v40
	v_cmp_gt_i32_e64 s17, 0, v203
	v_and_b32_e32 v38, v38, v39
	v_not_b32_e32 v39, v204
	v_ashrrev_i32_e32 v43, 31, v43
	v_xor_b32_e32 v41, vcc_lo, v41
	v_cmp_gt_i32_e32 vcc_lo, 0, v204
	v_and_b32_e32 v38, v38, v40
	v_not_b32_e32 v40, v42
	v_ashrrev_i32_e32 v39, 31, v39
	v_xor_b32_e32 v43, s17, v43
	v_mul_u32_u24_e32 v37, 9, v37
	v_and_b32_e32 v38, v38, v41
	v_cmp_gt_i32_e64 s17, 0, v42
	v_ashrrev_i32_e32 v40, 31, v40
	v_xor_b32_e32 v39, vcc_lo, v39
	v_add_lshl_u32 v41, v37, v128, 2
	v_and_b32_e32 v38, v38, v43
	s_delay_alu instid0(VALU_DEP_4) | instskip(SKIP_3) | instid1(VALU_DEP_2)
	v_xor_b32_e32 v37, s17, v40
	ds_load_b32 v204, v41 offset:1056
	v_and_b32_e32 v38, v38, v39
	v_add_nc_u32_e32 v206, 0x420, v41
	; wave barrier
	v_and_b32_e32 v37, v38, v37
	s_delay_alu instid0(VALU_DEP_1) | instskip(SKIP_1) | instid1(VALU_DEP_2)
	v_mbcnt_lo_u32_b32 v205, v37, 0
	v_cmp_ne_u32_e64 s17, 0, v37
	v_cmp_eq_u32_e32 vcc_lo, 0, v205
	s_delay_alu instid0(VALU_DEP_2) | instskip(NEXT) | instid1(SALU_CYCLE_1)
	s_and_b32 s18, s17, vcc_lo
	s_and_saveexec_b32 s17, s18
	s_cbranch_execz .LBB534_172
; %bb.171:                              ;   in Loop: Header=BB534_106 Depth=2
	s_waitcnt lgkmcnt(0)
	v_bcnt_u32_b32 v37, v37, v204
	ds_store_b32 v206, v37
.LBB534_172:                            ;   in Loop: Header=BB534_106 Depth=2
	s_or_b32 exec_lo, exec_lo, s17
	v_xor_b32_e32 v203, 0x7fffffff, v36
	; wave barrier
	s_delay_alu instid0(VALU_DEP_1) | instskip(NEXT) | instid1(VALU_DEP_1)
	v_lshrrev_b32_e32 v36, s38, v203
	v_and_b32_e32 v36, s39, v36
	s_delay_alu instid0(VALU_DEP_1)
	v_and_b32_e32 v37, 1, v36
	v_lshlrev_b32_e32 v38, 30, v36
	v_lshlrev_b32_e32 v39, 29, v36
	;; [unrolled: 1-line block ×4, first 2 shown]
	v_add_co_u32 v37, s17, v37, -1
	s_delay_alu instid0(VALU_DEP_1)
	v_cndmask_b32_e64 v41, 0, 1, s17
	v_not_b32_e32 v208, v38
	v_cmp_gt_i32_e64 s17, 0, v38
	v_not_b32_e32 v38, v39
	v_lshlrev_b32_e32 v43, 26, v36
	v_cmp_ne_u32_e32 vcc_lo, 0, v41
	v_ashrrev_i32_e32 v208, 31, v208
	v_lshlrev_b32_e32 v207, 25, v36
	v_ashrrev_i32_e32 v38, 31, v38
	v_lshlrev_b32_e32 v41, 24, v36
	v_xor_b32_e32 v37, vcc_lo, v37
	v_cmp_gt_i32_e32 vcc_lo, 0, v39
	v_not_b32_e32 v39, v40
	v_xor_b32_e32 v208, s17, v208
	v_cmp_gt_i32_e64 s17, 0, v40
	v_and_b32_e32 v37, exec_lo, v37
	v_not_b32_e32 v40, v42
	v_ashrrev_i32_e32 v39, 31, v39
	v_xor_b32_e32 v38, vcc_lo, v38
	v_cmp_gt_i32_e32 vcc_lo, 0, v42
	v_and_b32_e32 v37, v37, v208
	v_not_b32_e32 v42, v43
	v_ashrrev_i32_e32 v40, 31, v40
	v_xor_b32_e32 v39, s17, v39
	v_cmp_gt_i32_e64 s17, 0, v43
	v_and_b32_e32 v37, v37, v38
	v_not_b32_e32 v38, v207
	v_ashrrev_i32_e32 v42, 31, v42
	v_xor_b32_e32 v40, vcc_lo, v40
	v_cmp_gt_i32_e32 vcc_lo, 0, v207
	v_and_b32_e32 v37, v37, v39
	v_not_b32_e32 v39, v41
	v_ashrrev_i32_e32 v38, 31, v38
	v_xor_b32_e32 v42, s17, v42
	v_mul_u32_u24_e32 v36, 9, v36
	v_and_b32_e32 v37, v37, v40
	v_cmp_gt_i32_e64 s17, 0, v41
	v_ashrrev_i32_e32 v39, 31, v39
	v_xor_b32_e32 v38, vcc_lo, v38
	v_add_lshl_u32 v40, v36, v128, 2
	v_and_b32_e32 v37, v37, v42
	s_delay_alu instid0(VALU_DEP_4) | instskip(SKIP_3) | instid1(VALU_DEP_2)
	v_xor_b32_e32 v36, s17, v39
	ds_load_b32 v207, v40 offset:1056
	v_and_b32_e32 v37, v37, v38
	v_add_nc_u32_e32 v209, 0x420, v40
	; wave barrier
	v_and_b32_e32 v36, v37, v36
	s_delay_alu instid0(VALU_DEP_1) | instskip(SKIP_1) | instid1(VALU_DEP_2)
	v_mbcnt_lo_u32_b32 v208, v36, 0
	v_cmp_ne_u32_e64 s17, 0, v36
	v_cmp_eq_u32_e32 vcc_lo, 0, v208
	s_delay_alu instid0(VALU_DEP_2) | instskip(NEXT) | instid1(SALU_CYCLE_1)
	s_and_b32 s18, s17, vcc_lo
	s_and_saveexec_b32 s17, s18
	s_cbranch_execz .LBB534_174
; %bb.173:                              ;   in Loop: Header=BB534_106 Depth=2
	s_waitcnt lgkmcnt(0)
	v_bcnt_u32_b32 v36, v36, v207
	ds_store_b32 v209, v36
.LBB534_174:                            ;   in Loop: Header=BB534_106 Depth=2
	s_or_b32 exec_lo, exec_lo, s17
	; wave barrier
	s_waitcnt lgkmcnt(0)
	s_barrier
	buffer_gl0_inv
	ds_load_b32 v210, v70 offset:1056
	ds_load_2addr_b32 v[42:43], v71 offset0:1 offset1:2
	ds_load_2addr_b32 v[40:41], v71 offset0:3 offset1:4
	;; [unrolled: 1-line block ×4, first 2 shown]
	s_waitcnt lgkmcnt(3)
	v_add3_u32 v211, v42, v210, v43
	s_waitcnt lgkmcnt(2)
	s_delay_alu instid0(VALU_DEP_1) | instskip(SKIP_1) | instid1(VALU_DEP_1)
	v_add3_u32 v211, v211, v40, v41
	s_waitcnt lgkmcnt(1)
	v_add3_u32 v211, v211, v36, v37
	s_waitcnt lgkmcnt(0)
	s_delay_alu instid0(VALU_DEP_1) | instskip(NEXT) | instid1(VALU_DEP_1)
	v_add3_u32 v39, v211, v38, v39
	v_mov_b32_dpp v211, v39 row_shr:1 row_mask:0xf bank_mask:0xf
	s_delay_alu instid0(VALU_DEP_1) | instskip(NEXT) | instid1(VALU_DEP_1)
	v_cndmask_b32_e64 v211, v211, 0, s0
	v_add_nc_u32_e32 v39, v211, v39
	s_delay_alu instid0(VALU_DEP_1) | instskip(NEXT) | instid1(VALU_DEP_1)
	v_mov_b32_dpp v211, v39 row_shr:2 row_mask:0xf bank_mask:0xf
	v_cndmask_b32_e64 v211, 0, v211, s1
	s_delay_alu instid0(VALU_DEP_1) | instskip(NEXT) | instid1(VALU_DEP_1)
	v_add_nc_u32_e32 v39, v39, v211
	v_mov_b32_dpp v211, v39 row_shr:4 row_mask:0xf bank_mask:0xf
	s_delay_alu instid0(VALU_DEP_1) | instskip(NEXT) | instid1(VALU_DEP_1)
	v_cndmask_b32_e64 v211, 0, v211, s8
	v_add_nc_u32_e32 v39, v39, v211
	s_delay_alu instid0(VALU_DEP_1) | instskip(NEXT) | instid1(VALU_DEP_1)
	v_mov_b32_dpp v211, v39 row_shr:8 row_mask:0xf bank_mask:0xf
	v_cndmask_b32_e64 v211, 0, v211, s9
	s_delay_alu instid0(VALU_DEP_1) | instskip(SKIP_3) | instid1(VALU_DEP_1)
	v_add_nc_u32_e32 v39, v39, v211
	ds_swizzle_b32 v211, v39 offset:swizzle(BROADCAST,32,15)
	s_waitcnt lgkmcnt(0)
	v_cndmask_b32_e64 v211, v211, 0, s10
	v_add_nc_u32_e32 v39, v39, v211
	s_and_saveexec_b32 s17, s3
	s_cbranch_execz .LBB534_176
; %bb.175:                              ;   in Loop: Header=BB534_106 Depth=2
	ds_store_b32 v62, v39 offset:1024
.LBB534_176:                            ;   in Loop: Header=BB534_106 Depth=2
	s_or_b32 exec_lo, exec_lo, s17
	s_waitcnt lgkmcnt(0)
	s_barrier
	buffer_gl0_inv
	s_and_saveexec_b32 s17, s4
	s_cbranch_execz .LBB534_178
; %bb.177:                              ;   in Loop: Header=BB534_106 Depth=2
	v_add_nc_u32_e32 v211, v70, v72
	ds_load_b32 v212, v211 offset:1024
	s_waitcnt lgkmcnt(0)
	v_mov_b32_dpp v213, v212 row_shr:1 row_mask:0xf bank_mask:0xf
	s_delay_alu instid0(VALU_DEP_1) | instskip(NEXT) | instid1(VALU_DEP_1)
	v_cndmask_b32_e64 v213, v213, 0, s12
	v_add_nc_u32_e32 v212, v213, v212
	s_delay_alu instid0(VALU_DEP_1) | instskip(NEXT) | instid1(VALU_DEP_1)
	v_mov_b32_dpp v213, v212 row_shr:2 row_mask:0xf bank_mask:0xf
	v_cndmask_b32_e64 v213, 0, v213, s13
	s_delay_alu instid0(VALU_DEP_1) | instskip(NEXT) | instid1(VALU_DEP_1)
	v_add_nc_u32_e32 v212, v212, v213
	v_mov_b32_dpp v213, v212 row_shr:4 row_mask:0xf bank_mask:0xf
	s_delay_alu instid0(VALU_DEP_1) | instskip(NEXT) | instid1(VALU_DEP_1)
	v_cndmask_b32_e64 v213, 0, v213, s16
	v_add_nc_u32_e32 v212, v212, v213
	ds_store_b32 v211, v212 offset:1024
.LBB534_178:                            ;   in Loop: Header=BB534_106 Depth=2
	s_or_b32 exec_lo, exec_lo, s17
	v_mov_b32_e32 v211, 0
	s_waitcnt lgkmcnt(0)
	s_barrier
	buffer_gl0_inv
	s_and_saveexec_b32 s17, s5
	s_cbranch_execz .LBB534_180
; %bb.179:                              ;   in Loop: Header=BB534_106 Depth=2
	ds_load_b32 v211, v62 offset:1020
.LBB534_180:                            ;   in Loop: Header=BB534_106 Depth=2
	s_or_b32 exec_lo, exec_lo, s17
	s_waitcnt lgkmcnt(0)
	v_add_nc_u32_e32 v39, v211, v39
	ds_bpermute_b32 v39, v107, v39
	s_waitcnt lgkmcnt(0)
	v_cndmask_b32_e64 v39, v39, v211, s11
	s_delay_alu instid0(VALU_DEP_1) | instskip(NEXT) | instid1(VALU_DEP_1)
	v_cndmask_b32_e64 v39, v39, 0, s6
	v_add_nc_u32_e32 v210, v39, v210
	s_delay_alu instid0(VALU_DEP_1) | instskip(NEXT) | instid1(VALU_DEP_1)
	v_add_nc_u32_e32 v42, v210, v42
	v_add_nc_u32_e32 v43, v42, v43
	s_delay_alu instid0(VALU_DEP_1) | instskip(NEXT) | instid1(VALU_DEP_1)
	v_add_nc_u32_e32 v40, v43, v40
	;; [unrolled: 3-line block ×3, first 2 shown]
	v_add_nc_u32_e32 v37, v36, v37
	s_delay_alu instid0(VALU_DEP_1)
	v_add_nc_u32_e32 v38, v37, v38
	ds_store_b32 v70, v39 offset:1056
	ds_store_2addr_b32 v71, v210, v42 offset0:1 offset1:2
	ds_store_2addr_b32 v71, v43, v40 offset0:3 offset1:4
	;; [unrolled: 1-line block ×4, first 2 shown]
	v_mov_b32_e32 v38, 0x1000
	s_waitcnt lgkmcnt(0)
	s_barrier
	buffer_gl0_inv
	ds_load_b32 v39, v154
	ds_load_b32 v40, v158
	;; [unrolled: 1-line block ×16, first 2 shown]
	ds_load_b32 v158, v70 offset:1056
	s_and_saveexec_b32 s17, s7
	s_cbranch_execz .LBB534_182
; %bb.181:                              ;   in Loop: Header=BB534_106 Depth=2
	ds_load_b32 v38, v73 offset:1056
.LBB534_182:                            ;   in Loop: Header=BB534_106 Depth=2
	s_or_b32 exec_lo, exec_lo, s17
	s_waitcnt lgkmcnt(0)
	s_barrier
	buffer_gl0_inv
	s_and_saveexec_b32 s17, s2
	s_cbranch_execz .LBB534_184
; %bb.183:                              ;   in Loop: Header=BB534_106 Depth=2
	ds_load_b32 v162, v44
	s_waitcnt lgkmcnt(0)
	v_sub_nc_u32_e32 v158, v162, v158
	ds_store_b32 v44, v158
.LBB534_184:                            ;   in Loop: Header=BB534_106 Depth=2
	s_or_b32 exec_lo, exec_lo, s17
	v_add_nc_u32_e32 v170, v150, v149
	v_add3_u32 v166, v153, v152, v39
	v_add3_u32 v162, v157, v156, v40
	;; [unrolled: 1-line block ×5, first 2 shown]
	v_lshlrev_b32_e32 v160, 2, v170
	v_add3_u32 v43, v201, v200, v36
	v_lshlrev_b32_e32 v36, 2, v166
	v_add3_u32 v154, v174, v173, v175
	v_add3_u32 v153, v177, v176, v178
	ds_store_b32 v160, v2 offset:1024
	v_lshlrev_b32_e32 v2, 2, v162
	ds_store_b32 v36, v148 offset:1024
	v_lshlrev_b32_e32 v36, 2, v156
	v_add3_u32 v152, v181, v180, v182
	v_add3_u32 v42, v205, v204, v37
	v_lshlrev_b32_e32 v37, 2, v158
	v_add3_u32 v150, v185, v184, v186
	v_lshlrev_b32_e32 v160, 2, v157
	v_add3_u32 v149, v189, v188, v190
	v_add3_u32 v40, v193, v192, v194
	ds_store_b32 v2, v151 offset:1024
	ds_store_b32 v37, v155 offset:1024
	;; [unrolled: 1-line block ×3, first 2 shown]
	v_lshlrev_b32_e32 v2, 2, v154
	ds_store_b32 v36, v163 offset:1024
	v_lshlrev_b32_e32 v36, 2, v153
	v_lshlrev_b32_e32 v37, 2, v152
	;; [unrolled: 1-line block ×3, first 2 shown]
	v_add3_u32 v39, v197, v196, v198
	v_add3_u32 v41, v208, v207, v41
	ds_store_b32 v2, v167 offset:1024
	v_lshlrev_b32_e32 v2, 2, v149
	ds_store_b32 v36, v172 offset:1024
	ds_store_b32 v37, v171 offset:1024
	;; [unrolled: 1-line block ×3, first 2 shown]
	v_lshlrev_b32_e32 v36, 2, v40
	v_cmp_lt_u32_e32 vcc_lo, v1, v147
	v_lshlrev_b32_e32 v37, 2, v43
	ds_store_b32 v2, v183 offset:1024
	v_lshlrev_b32_e32 v2, 2, v39
	ds_store_b32 v36, v187 offset:1024
	v_lshlrev_b32_e32 v36, 2, v41
	v_lshlrev_b32_e32 v148, 2, v42
	ds_store_b32 v2, v191 offset:1024
	ds_store_b32 v37, v195 offset:1024
	;; [unrolled: 1-line block ×4, first 2 shown]
	s_waitcnt lgkmcnt(0)
	s_barrier
	buffer_gl0_inv
	s_and_saveexec_b32 s18, vcc_lo
	s_cbranch_execz .LBB534_200
; %bb.185:                              ;   in Loop: Header=BB534_106 Depth=2
	v_add_nc_u32_e32 v2, v70, v72
	ds_load_b32 v148, v2 offset:1024
	s_waitcnt lgkmcnt(0)
	v_lshrrev_b32_e32 v2, s38, v148
	s_delay_alu instid0(VALU_DEP_1) | instskip(NEXT) | instid1(VALU_DEP_1)
	v_and_b32_e32 v2, s39, v2
	v_lshlrev_b32_e32 v2, 2, v2
	ds_load_b32 v2, v2
	s_waitcnt lgkmcnt(0)
	v_add_nc_u32_e32 v2, v2, v1
	s_delay_alu instid0(VALU_DEP_1) | instskip(SKIP_1) | instid1(VALU_DEP_2)
	v_lshlrev_b64 v[36:37], 2, v[2:3]
	v_xor_b32_e32 v2, 0x7fffffff, v148
	v_add_co_u32 v36, s17, s46, v36
	s_delay_alu instid0(VALU_DEP_1) | instskip(SKIP_3) | instid1(VALU_DEP_1)
	v_add_co_ci_u32_e64 v37, s17, s47, v37, s17
	global_store_b32 v[36:37], v2, off
	s_or_b32 exec_lo, exec_lo, s18
	v_cmp_lt_u32_e64 s17, v45, v147
	s_and_saveexec_b32 s19, s17
	s_cbranch_execnz .LBB534_201
.LBB534_186:                            ;   in Loop: Header=BB534_106 Depth=2
	s_or_b32 exec_lo, exec_lo, s19
	v_cmp_lt_u32_e64 s18, v46, v147
	s_delay_alu instid0(VALU_DEP_1)
	s_and_saveexec_b32 s20, s18
	s_cbranch_execz .LBB534_202
.LBB534_187:                            ;   in Loop: Header=BB534_106 Depth=2
	ds_load_b32 v148, v78 offset:2048
	s_waitcnt lgkmcnt(0)
	v_lshrrev_b32_e32 v2, s38, v148
	s_delay_alu instid0(VALU_DEP_1) | instskip(NEXT) | instid1(VALU_DEP_1)
	v_and_b32_e32 v2, s39, v2
	v_lshlrev_b32_e32 v2, 2, v2
	ds_load_b32 v2, v2
	s_waitcnt lgkmcnt(0)
	v_add_nc_u32_e32 v2, v2, v46
	s_delay_alu instid0(VALU_DEP_1) | instskip(SKIP_1) | instid1(VALU_DEP_2)
	v_lshlrev_b64 v[36:37], 2, v[2:3]
	v_xor_b32_e32 v2, 0x7fffffff, v148
	v_add_co_u32 v36, s19, s46, v36
	s_delay_alu instid0(VALU_DEP_1) | instskip(SKIP_3) | instid1(VALU_DEP_1)
	v_add_co_ci_u32_e64 v37, s19, s47, v37, s19
	global_store_b32 v[36:37], v2, off
	s_or_b32 exec_lo, exec_lo, s20
	v_cmp_lt_u32_e64 s19, v47, v147
	s_and_saveexec_b32 s21, s19
	s_cbranch_execnz .LBB534_203
.LBB534_188:                            ;   in Loop: Header=BB534_106 Depth=2
	s_or_b32 exec_lo, exec_lo, s21
	v_cmp_lt_u32_e64 s20, v51, v147
	s_delay_alu instid0(VALU_DEP_1)
	s_and_saveexec_b32 s22, s20
	s_cbranch_execz .LBB534_204
.LBB534_189:                            ;   in Loop: Header=BB534_106 Depth=2
	ds_load_b32 v148, v78 offset:4096
	s_waitcnt lgkmcnt(0)
	v_lshrrev_b32_e32 v2, s38, v148
	s_delay_alu instid0(VALU_DEP_1) | instskip(NEXT) | instid1(VALU_DEP_1)
	v_and_b32_e32 v2, s39, v2
	v_lshlrev_b32_e32 v2, 2, v2
	ds_load_b32 v2, v2
	s_waitcnt lgkmcnt(0)
	v_add_nc_u32_e32 v2, v2, v51
	s_delay_alu instid0(VALU_DEP_1) | instskip(SKIP_1) | instid1(VALU_DEP_2)
	v_lshlrev_b64 v[36:37], 2, v[2:3]
	v_xor_b32_e32 v2, 0x7fffffff, v148
	v_add_co_u32 v36, s21, s46, v36
	s_delay_alu instid0(VALU_DEP_1) | instskip(SKIP_3) | instid1(VALU_DEP_1)
	v_add_co_ci_u32_e64 v37, s21, s47, v37, s21
	global_store_b32 v[36:37], v2, off
	s_or_b32 exec_lo, exec_lo, s22
	v_cmp_lt_u32_e64 s21, v52, v147
	s_and_saveexec_b32 s23, s21
	s_cbranch_execnz .LBB534_205
.LBB534_190:                            ;   in Loop: Header=BB534_106 Depth=2
	s_or_b32 exec_lo, exec_lo, s23
	v_cmp_lt_u32_e64 s22, v53, v147
	s_delay_alu instid0(VALU_DEP_1)
	s_and_saveexec_b32 s24, s22
	s_cbranch_execz .LBB534_206
.LBB534_191:                            ;   in Loop: Header=BB534_106 Depth=2
	ds_load_b32 v148, v78 offset:6144
	s_waitcnt lgkmcnt(0)
	v_lshrrev_b32_e32 v2, s38, v148
	s_delay_alu instid0(VALU_DEP_1) | instskip(NEXT) | instid1(VALU_DEP_1)
	v_and_b32_e32 v2, s39, v2
	v_lshlrev_b32_e32 v2, 2, v2
	ds_load_b32 v2, v2
	s_waitcnt lgkmcnt(0)
	v_add_nc_u32_e32 v2, v2, v53
	s_delay_alu instid0(VALU_DEP_1) | instskip(SKIP_1) | instid1(VALU_DEP_2)
	v_lshlrev_b64 v[36:37], 2, v[2:3]
	v_xor_b32_e32 v2, 0x7fffffff, v148
	v_add_co_u32 v36, s23, s46, v36
	s_delay_alu instid0(VALU_DEP_1) | instskip(SKIP_3) | instid1(VALU_DEP_1)
	v_add_co_ci_u32_e64 v37, s23, s47, v37, s23
	global_store_b32 v[36:37], v2, off
	s_or_b32 exec_lo, exec_lo, s24
	v_cmp_lt_u32_e64 s23, v54, v147
	s_and_saveexec_b32 s25, s23
	s_cbranch_execnz .LBB534_207
.LBB534_192:                            ;   in Loop: Header=BB534_106 Depth=2
	s_or_b32 exec_lo, exec_lo, s25
	v_cmp_lt_u32_e64 s24, v55, v147
	s_delay_alu instid0(VALU_DEP_1)
	s_and_saveexec_b32 s26, s24
	s_cbranch_execz .LBB534_208
.LBB534_193:                            ;   in Loop: Header=BB534_106 Depth=2
	ds_load_b32 v148, v78 offset:8192
	s_waitcnt lgkmcnt(0)
	v_lshrrev_b32_e32 v2, s38, v148
	s_delay_alu instid0(VALU_DEP_1) | instskip(NEXT) | instid1(VALU_DEP_1)
	v_and_b32_e32 v2, s39, v2
	v_lshlrev_b32_e32 v2, 2, v2
	ds_load_b32 v2, v2
	s_waitcnt lgkmcnt(0)
	v_add_nc_u32_e32 v2, v2, v55
	s_delay_alu instid0(VALU_DEP_1) | instskip(SKIP_1) | instid1(VALU_DEP_2)
	v_lshlrev_b64 v[36:37], 2, v[2:3]
	v_xor_b32_e32 v2, 0x7fffffff, v148
	v_add_co_u32 v36, s25, s46, v36
	s_delay_alu instid0(VALU_DEP_1) | instskip(SKIP_3) | instid1(VALU_DEP_1)
	v_add_co_ci_u32_e64 v37, s25, s47, v37, s25
	global_store_b32 v[36:37], v2, off
	s_or_b32 exec_lo, exec_lo, s26
	v_cmp_lt_u32_e64 s25, v56, v147
	s_and_saveexec_b32 s27, s25
	s_cbranch_execnz .LBB534_209
.LBB534_194:                            ;   in Loop: Header=BB534_106 Depth=2
	s_or_b32 exec_lo, exec_lo, s27
	v_cmp_lt_u32_e64 s26, v57, v147
	s_delay_alu instid0(VALU_DEP_1)
	s_and_saveexec_b32 s28, s26
	s_cbranch_execz .LBB534_210
.LBB534_195:                            ;   in Loop: Header=BB534_106 Depth=2
	ds_load_b32 v148, v78 offset:10240
	s_waitcnt lgkmcnt(0)
	v_lshrrev_b32_e32 v2, s38, v148
	s_delay_alu instid0(VALU_DEP_1) | instskip(NEXT) | instid1(VALU_DEP_1)
	v_and_b32_e32 v2, s39, v2
	v_lshlrev_b32_e32 v2, 2, v2
	ds_load_b32 v2, v2
	s_waitcnt lgkmcnt(0)
	v_add_nc_u32_e32 v2, v2, v57
	s_delay_alu instid0(VALU_DEP_1) | instskip(SKIP_1) | instid1(VALU_DEP_2)
	v_lshlrev_b64 v[36:37], 2, v[2:3]
	v_xor_b32_e32 v2, 0x7fffffff, v148
	v_add_co_u32 v36, s27, s46, v36
	s_delay_alu instid0(VALU_DEP_1) | instskip(SKIP_3) | instid1(VALU_DEP_1)
	v_add_co_ci_u32_e64 v37, s27, s47, v37, s27
	global_store_b32 v[36:37], v2, off
	s_or_b32 exec_lo, exec_lo, s28
	v_cmp_lt_u32_e64 s27, v58, v147
	s_and_saveexec_b32 s29, s27
	s_cbranch_execnz .LBB534_211
.LBB534_196:                            ;   in Loop: Header=BB534_106 Depth=2
	s_or_b32 exec_lo, exec_lo, s29
	v_cmp_lt_u32_e64 s28, v59, v147
	s_delay_alu instid0(VALU_DEP_1)
	s_and_saveexec_b32 s30, s28
	s_cbranch_execz .LBB534_212
.LBB534_197:                            ;   in Loop: Header=BB534_106 Depth=2
	ds_load_b32 v148, v78 offset:12288
	s_waitcnt lgkmcnt(0)
	v_lshrrev_b32_e32 v2, s38, v148
	s_delay_alu instid0(VALU_DEP_1) | instskip(NEXT) | instid1(VALU_DEP_1)
	v_and_b32_e32 v2, s39, v2
	v_lshlrev_b32_e32 v2, 2, v2
	ds_load_b32 v2, v2
	s_waitcnt lgkmcnt(0)
	v_add_nc_u32_e32 v2, v2, v59
	s_delay_alu instid0(VALU_DEP_1) | instskip(SKIP_1) | instid1(VALU_DEP_2)
	v_lshlrev_b64 v[36:37], 2, v[2:3]
	v_xor_b32_e32 v2, 0x7fffffff, v148
	v_add_co_u32 v36, s29, s46, v36
	s_delay_alu instid0(VALU_DEP_1) | instskip(SKIP_3) | instid1(VALU_DEP_1)
	v_add_co_ci_u32_e64 v37, s29, s47, v37, s29
	global_store_b32 v[36:37], v2, off
	s_or_b32 exec_lo, exec_lo, s30
	v_cmp_lt_u32_e64 s29, v60, v147
	s_and_saveexec_b32 s31, s29
	s_cbranch_execnz .LBB534_213
.LBB534_198:                            ;   in Loop: Header=BB534_106 Depth=2
	s_or_b32 exec_lo, exec_lo, s31
	v_cmp_lt_u32_e64 s30, v61, v147
	s_delay_alu instid0(VALU_DEP_1)
	s_and_saveexec_b32 s33, s30
	s_cbranch_execz .LBB534_214
.LBB534_199:                            ;   in Loop: Header=BB534_106 Depth=2
	ds_load_b32 v148, v78 offset:14336
	s_waitcnt lgkmcnt(0)
	v_lshrrev_b32_e32 v2, s38, v148
	s_delay_alu instid0(VALU_DEP_1) | instskip(NEXT) | instid1(VALU_DEP_1)
	v_and_b32_e32 v2, s39, v2
	v_lshlrev_b32_e32 v2, 2, v2
	ds_load_b32 v2, v2
	s_waitcnt lgkmcnt(0)
	v_add_nc_u32_e32 v2, v2, v61
	s_delay_alu instid0(VALU_DEP_1) | instskip(SKIP_1) | instid1(VALU_DEP_2)
	v_lshlrev_b64 v[36:37], 2, v[2:3]
	v_xor_b32_e32 v2, 0x7fffffff, v148
	v_add_co_u32 v36, s31, s46, v36
	s_delay_alu instid0(VALU_DEP_1) | instskip(SKIP_3) | instid1(VALU_DEP_1)
	v_add_co_ci_u32_e64 v37, s31, s47, v37, s31
	global_store_b32 v[36:37], v2, off
	s_or_b32 exec_lo, exec_lo, s33
	v_cmp_lt_u32_e64 s31, v63, v147
	s_and_saveexec_b32 s42, s31
	s_cbranch_execnz .LBB534_215
	s_branch .LBB534_216
.LBB534_200:                            ;   in Loop: Header=BB534_106 Depth=2
	s_or_b32 exec_lo, exec_lo, s18
	v_cmp_lt_u32_e64 s17, v45, v147
	s_delay_alu instid0(VALU_DEP_1)
	s_and_saveexec_b32 s19, s17
	s_cbranch_execz .LBB534_186
.LBB534_201:                            ;   in Loop: Header=BB534_106 Depth=2
	ds_load_b32 v148, v78 offset:1024
	s_waitcnt lgkmcnt(0)
	v_lshrrev_b32_e32 v2, s38, v148
	s_delay_alu instid0(VALU_DEP_1) | instskip(NEXT) | instid1(VALU_DEP_1)
	v_and_b32_e32 v2, s39, v2
	v_lshlrev_b32_e32 v2, 2, v2
	ds_load_b32 v2, v2
	s_waitcnt lgkmcnt(0)
	v_add_nc_u32_e32 v2, v2, v45
	s_delay_alu instid0(VALU_DEP_1) | instskip(SKIP_1) | instid1(VALU_DEP_2)
	v_lshlrev_b64 v[36:37], 2, v[2:3]
	v_xor_b32_e32 v2, 0x7fffffff, v148
	v_add_co_u32 v36, s18, s46, v36
	s_delay_alu instid0(VALU_DEP_1) | instskip(SKIP_3) | instid1(VALU_DEP_1)
	v_add_co_ci_u32_e64 v37, s18, s47, v37, s18
	global_store_b32 v[36:37], v2, off
	s_or_b32 exec_lo, exec_lo, s19
	v_cmp_lt_u32_e64 s18, v46, v147
	s_and_saveexec_b32 s20, s18
	s_cbranch_execnz .LBB534_187
.LBB534_202:                            ;   in Loop: Header=BB534_106 Depth=2
	s_or_b32 exec_lo, exec_lo, s20
	v_cmp_lt_u32_e64 s19, v47, v147
	s_delay_alu instid0(VALU_DEP_1)
	s_and_saveexec_b32 s21, s19
	s_cbranch_execz .LBB534_188
.LBB534_203:                            ;   in Loop: Header=BB534_106 Depth=2
	ds_load_b32 v148, v78 offset:3072
	s_waitcnt lgkmcnt(0)
	v_lshrrev_b32_e32 v2, s38, v148
	s_delay_alu instid0(VALU_DEP_1) | instskip(NEXT) | instid1(VALU_DEP_1)
	v_and_b32_e32 v2, s39, v2
	v_lshlrev_b32_e32 v2, 2, v2
	ds_load_b32 v2, v2
	s_waitcnt lgkmcnt(0)
	v_add_nc_u32_e32 v2, v2, v47
	s_delay_alu instid0(VALU_DEP_1) | instskip(SKIP_1) | instid1(VALU_DEP_2)
	v_lshlrev_b64 v[36:37], 2, v[2:3]
	v_xor_b32_e32 v2, 0x7fffffff, v148
	v_add_co_u32 v36, s20, s46, v36
	s_delay_alu instid0(VALU_DEP_1) | instskip(SKIP_3) | instid1(VALU_DEP_1)
	v_add_co_ci_u32_e64 v37, s20, s47, v37, s20
	global_store_b32 v[36:37], v2, off
	s_or_b32 exec_lo, exec_lo, s21
	v_cmp_lt_u32_e64 s20, v51, v147
	s_and_saveexec_b32 s22, s20
	s_cbranch_execnz .LBB534_189
.LBB534_204:                            ;   in Loop: Header=BB534_106 Depth=2
	s_or_b32 exec_lo, exec_lo, s22
	v_cmp_lt_u32_e64 s21, v52, v147
	s_delay_alu instid0(VALU_DEP_1)
	s_and_saveexec_b32 s23, s21
	s_cbranch_execz .LBB534_190
.LBB534_205:                            ;   in Loop: Header=BB534_106 Depth=2
	ds_load_b32 v148, v78 offset:5120
	s_waitcnt lgkmcnt(0)
	v_lshrrev_b32_e32 v2, s38, v148
	s_delay_alu instid0(VALU_DEP_1) | instskip(NEXT) | instid1(VALU_DEP_1)
	v_and_b32_e32 v2, s39, v2
	v_lshlrev_b32_e32 v2, 2, v2
	ds_load_b32 v2, v2
	s_waitcnt lgkmcnt(0)
	v_add_nc_u32_e32 v2, v2, v52
	s_delay_alu instid0(VALU_DEP_1) | instskip(SKIP_1) | instid1(VALU_DEP_2)
	v_lshlrev_b64 v[36:37], 2, v[2:3]
	v_xor_b32_e32 v2, 0x7fffffff, v148
	v_add_co_u32 v36, s22, s46, v36
	s_delay_alu instid0(VALU_DEP_1) | instskip(SKIP_3) | instid1(VALU_DEP_1)
	v_add_co_ci_u32_e64 v37, s22, s47, v37, s22
	global_store_b32 v[36:37], v2, off
	s_or_b32 exec_lo, exec_lo, s23
	v_cmp_lt_u32_e64 s22, v53, v147
	s_and_saveexec_b32 s24, s22
	s_cbranch_execnz .LBB534_191
.LBB534_206:                            ;   in Loop: Header=BB534_106 Depth=2
	s_or_b32 exec_lo, exec_lo, s24
	v_cmp_lt_u32_e64 s23, v54, v147
	s_delay_alu instid0(VALU_DEP_1)
	s_and_saveexec_b32 s25, s23
	s_cbranch_execz .LBB534_192
.LBB534_207:                            ;   in Loop: Header=BB534_106 Depth=2
	ds_load_b32 v148, v78 offset:7168
	s_waitcnt lgkmcnt(0)
	v_lshrrev_b32_e32 v2, s38, v148
	s_delay_alu instid0(VALU_DEP_1) | instskip(NEXT) | instid1(VALU_DEP_1)
	v_and_b32_e32 v2, s39, v2
	v_lshlrev_b32_e32 v2, 2, v2
	ds_load_b32 v2, v2
	s_waitcnt lgkmcnt(0)
	v_add_nc_u32_e32 v2, v2, v54
	s_delay_alu instid0(VALU_DEP_1) | instskip(SKIP_1) | instid1(VALU_DEP_2)
	v_lshlrev_b64 v[36:37], 2, v[2:3]
	v_xor_b32_e32 v2, 0x7fffffff, v148
	v_add_co_u32 v36, s24, s46, v36
	s_delay_alu instid0(VALU_DEP_1) | instskip(SKIP_3) | instid1(VALU_DEP_1)
	v_add_co_ci_u32_e64 v37, s24, s47, v37, s24
	global_store_b32 v[36:37], v2, off
	s_or_b32 exec_lo, exec_lo, s25
	v_cmp_lt_u32_e64 s24, v55, v147
	s_and_saveexec_b32 s26, s24
	s_cbranch_execnz .LBB534_193
.LBB534_208:                            ;   in Loop: Header=BB534_106 Depth=2
	s_or_b32 exec_lo, exec_lo, s26
	v_cmp_lt_u32_e64 s25, v56, v147
	s_delay_alu instid0(VALU_DEP_1)
	s_and_saveexec_b32 s27, s25
	s_cbranch_execz .LBB534_194
.LBB534_209:                            ;   in Loop: Header=BB534_106 Depth=2
	ds_load_b32 v148, v78 offset:9216
	s_waitcnt lgkmcnt(0)
	v_lshrrev_b32_e32 v2, s38, v148
	s_delay_alu instid0(VALU_DEP_1) | instskip(NEXT) | instid1(VALU_DEP_1)
	v_and_b32_e32 v2, s39, v2
	v_lshlrev_b32_e32 v2, 2, v2
	ds_load_b32 v2, v2
	s_waitcnt lgkmcnt(0)
	v_add_nc_u32_e32 v2, v2, v56
	s_delay_alu instid0(VALU_DEP_1) | instskip(SKIP_1) | instid1(VALU_DEP_2)
	v_lshlrev_b64 v[36:37], 2, v[2:3]
	v_xor_b32_e32 v2, 0x7fffffff, v148
	v_add_co_u32 v36, s26, s46, v36
	s_delay_alu instid0(VALU_DEP_1) | instskip(SKIP_3) | instid1(VALU_DEP_1)
	v_add_co_ci_u32_e64 v37, s26, s47, v37, s26
	global_store_b32 v[36:37], v2, off
	s_or_b32 exec_lo, exec_lo, s27
	v_cmp_lt_u32_e64 s26, v57, v147
	s_and_saveexec_b32 s28, s26
	s_cbranch_execnz .LBB534_195
.LBB534_210:                            ;   in Loop: Header=BB534_106 Depth=2
	s_or_b32 exec_lo, exec_lo, s28
	v_cmp_lt_u32_e64 s27, v58, v147
	s_delay_alu instid0(VALU_DEP_1)
	s_and_saveexec_b32 s29, s27
	s_cbranch_execz .LBB534_196
.LBB534_211:                            ;   in Loop: Header=BB534_106 Depth=2
	ds_load_b32 v148, v78 offset:11264
	s_waitcnt lgkmcnt(0)
	v_lshrrev_b32_e32 v2, s38, v148
	s_delay_alu instid0(VALU_DEP_1) | instskip(NEXT) | instid1(VALU_DEP_1)
	v_and_b32_e32 v2, s39, v2
	v_lshlrev_b32_e32 v2, 2, v2
	ds_load_b32 v2, v2
	s_waitcnt lgkmcnt(0)
	v_add_nc_u32_e32 v2, v2, v58
	s_delay_alu instid0(VALU_DEP_1) | instskip(SKIP_1) | instid1(VALU_DEP_2)
	v_lshlrev_b64 v[36:37], 2, v[2:3]
	v_xor_b32_e32 v2, 0x7fffffff, v148
	v_add_co_u32 v36, s28, s46, v36
	s_delay_alu instid0(VALU_DEP_1) | instskip(SKIP_3) | instid1(VALU_DEP_1)
	v_add_co_ci_u32_e64 v37, s28, s47, v37, s28
	global_store_b32 v[36:37], v2, off
	s_or_b32 exec_lo, exec_lo, s29
	v_cmp_lt_u32_e64 s28, v59, v147
	s_and_saveexec_b32 s30, s28
	s_cbranch_execnz .LBB534_197
.LBB534_212:                            ;   in Loop: Header=BB534_106 Depth=2
	s_or_b32 exec_lo, exec_lo, s30
	v_cmp_lt_u32_e64 s29, v60, v147
	s_delay_alu instid0(VALU_DEP_1)
	s_and_saveexec_b32 s31, s29
	s_cbranch_execz .LBB534_198
.LBB534_213:                            ;   in Loop: Header=BB534_106 Depth=2
	ds_load_b32 v148, v78 offset:13312
	s_waitcnt lgkmcnt(0)
	v_lshrrev_b32_e32 v2, s38, v148
	s_delay_alu instid0(VALU_DEP_1) | instskip(NEXT) | instid1(VALU_DEP_1)
	v_and_b32_e32 v2, s39, v2
	v_lshlrev_b32_e32 v2, 2, v2
	ds_load_b32 v2, v2
	s_waitcnt lgkmcnt(0)
	v_add_nc_u32_e32 v2, v2, v60
	s_delay_alu instid0(VALU_DEP_1) | instskip(SKIP_1) | instid1(VALU_DEP_2)
	v_lshlrev_b64 v[36:37], 2, v[2:3]
	v_xor_b32_e32 v2, 0x7fffffff, v148
	v_add_co_u32 v36, s30, s46, v36
	s_delay_alu instid0(VALU_DEP_1) | instskip(SKIP_3) | instid1(VALU_DEP_1)
	v_add_co_ci_u32_e64 v37, s30, s47, v37, s30
	global_store_b32 v[36:37], v2, off
	s_or_b32 exec_lo, exec_lo, s31
	v_cmp_lt_u32_e64 s30, v61, v147
	s_and_saveexec_b32 s33, s30
	s_cbranch_execnz .LBB534_199
.LBB534_214:                            ;   in Loop: Header=BB534_106 Depth=2
	s_or_b32 exec_lo, exec_lo, s33
	v_cmp_lt_u32_e64 s31, v63, v147
	s_delay_alu instid0(VALU_DEP_1)
	s_and_saveexec_b32 s42, s31
	s_cbranch_execz .LBB534_216
.LBB534_215:                            ;   in Loop: Header=BB534_106 Depth=2
	ds_load_b32 v148, v78 offset:15360
	s_waitcnt lgkmcnt(0)
	v_lshrrev_b32_e32 v2, s38, v148
	s_delay_alu instid0(VALU_DEP_1) | instskip(NEXT) | instid1(VALU_DEP_1)
	v_and_b32_e32 v2, s39, v2
	v_lshlrev_b32_e32 v2, 2, v2
	ds_load_b32 v2, v2
	s_waitcnt lgkmcnt(0)
	v_add_nc_u32_e32 v2, v2, v63
	s_delay_alu instid0(VALU_DEP_1) | instskip(SKIP_1) | instid1(VALU_DEP_2)
	v_lshlrev_b64 v[36:37], 2, v[2:3]
	v_xor_b32_e32 v2, 0x7fffffff, v148
	v_add_co_u32 v36, s33, s46, v36
	s_delay_alu instid0(VALU_DEP_1)
	v_add_co_ci_u32_e64 v37, s33, s47, v37, s33
	global_store_b32 v[36:37], v2, off
.LBB534_216:                            ;   in Loop: Header=BB534_106 Depth=2
	s_or_b32 exec_lo, exec_lo, s42
	s_lshl_b64 s[42:43], s[34:35], 3
	s_delay_alu instid0(SALU_CYCLE_1) | instskip(NEXT) | instid1(VALU_DEP_1)
	v_add_co_u32 v36, s33, v109, s42
	v_add_co_ci_u32_e64 v37, s33, s43, v110, s33
	v_cmp_lt_u32_e64 s33, v108, v147
	s_delay_alu instid0(VALU_DEP_1) | instskip(NEXT) | instid1(SALU_CYCLE_1)
	s_and_saveexec_b32 s34, s33
	s_xor_b32 s33, exec_lo, s34
	s_cbranch_execz .LBB534_248
; %bb.217:                              ;   in Loop: Header=BB534_106 Depth=2
	global_load_b64 v[34:35], v[36:37], off
	s_or_b32 exec_lo, exec_lo, s33
	s_delay_alu instid0(SALU_CYCLE_1)
	s_mov_b32 s34, exec_lo
	v_cmpx_lt_u32_e64 v111, v147
	s_cbranch_execnz .LBB534_249
.LBB534_218:                            ;   in Loop: Header=BB534_106 Depth=2
	s_or_b32 exec_lo, exec_lo, s34
	s_delay_alu instid0(SALU_CYCLE_1)
	s_mov_b32 s34, exec_lo
	v_cmpx_lt_u32_e64 v112, v147
	s_cbranch_execz .LBB534_250
.LBB534_219:                            ;   in Loop: Header=BB534_106 Depth=2
	global_load_b64 v[30:31], v[36:37], off offset:512
	s_or_b32 exec_lo, exec_lo, s34
	s_delay_alu instid0(SALU_CYCLE_1)
	s_mov_b32 s34, exec_lo
	v_cmpx_lt_u32_e64 v113, v147
	s_cbranch_execnz .LBB534_251
.LBB534_220:                            ;   in Loop: Header=BB534_106 Depth=2
	s_or_b32 exec_lo, exec_lo, s34
	s_delay_alu instid0(SALU_CYCLE_1)
	s_mov_b32 s34, exec_lo
	v_cmpx_lt_u32_e64 v114, v147
	s_cbranch_execz .LBB534_252
.LBB534_221:                            ;   in Loop: Header=BB534_106 Depth=2
	global_load_b64 v[26:27], v[36:37], off offset:1024
	s_or_b32 exec_lo, exec_lo, s34
	s_delay_alu instid0(SALU_CYCLE_1)
	s_mov_b32 s34, exec_lo
	v_cmpx_lt_u32_e64 v115, v147
	s_cbranch_execnz .LBB534_253
.LBB534_222:                            ;   in Loop: Header=BB534_106 Depth=2
	s_or_b32 exec_lo, exec_lo, s34
	s_delay_alu instid0(SALU_CYCLE_1)
	s_mov_b32 s34, exec_lo
	v_cmpx_lt_u32_e64 v116, v147
	s_cbranch_execz .LBB534_254
.LBB534_223:                            ;   in Loop: Header=BB534_106 Depth=2
	global_load_b64 v[22:23], v[36:37], off offset:1536
	s_or_b32 exec_lo, exec_lo, s34
	s_delay_alu instid0(SALU_CYCLE_1)
	s_mov_b32 s34, exec_lo
	v_cmpx_lt_u32_e64 v117, v147
	s_cbranch_execnz .LBB534_255
.LBB534_224:                            ;   in Loop: Header=BB534_106 Depth=2
	s_or_b32 exec_lo, exec_lo, s34
	s_delay_alu instid0(SALU_CYCLE_1)
	s_mov_b32 s34, exec_lo
	v_cmpx_lt_u32_e64 v118, v147
	s_cbranch_execz .LBB534_256
.LBB534_225:                            ;   in Loop: Header=BB534_106 Depth=2
	global_load_b64 v[18:19], v[36:37], off offset:2048
	s_or_b32 exec_lo, exec_lo, s34
	s_delay_alu instid0(SALU_CYCLE_1)
	s_mov_b32 s34, exec_lo
	v_cmpx_lt_u32_e64 v119, v147
	s_cbranch_execnz .LBB534_257
.LBB534_226:                            ;   in Loop: Header=BB534_106 Depth=2
	s_or_b32 exec_lo, exec_lo, s34
	s_delay_alu instid0(SALU_CYCLE_1)
	s_mov_b32 s34, exec_lo
	v_cmpx_lt_u32_e64 v120, v147
	s_cbranch_execz .LBB534_258
.LBB534_227:                            ;   in Loop: Header=BB534_106 Depth=2
	global_load_b64 v[14:15], v[36:37], off offset:2560
	s_or_b32 exec_lo, exec_lo, s34
	s_delay_alu instid0(SALU_CYCLE_1)
	s_mov_b32 s34, exec_lo
	v_cmpx_lt_u32_e64 v121, v147
	s_cbranch_execnz .LBB534_259
.LBB534_228:                            ;   in Loop: Header=BB534_106 Depth=2
	s_or_b32 exec_lo, exec_lo, s34
	s_delay_alu instid0(SALU_CYCLE_1)
	s_mov_b32 s34, exec_lo
	v_cmpx_lt_u32_e64 v122, v147
	s_cbranch_execz .LBB534_260
.LBB534_229:                            ;   in Loop: Header=BB534_106 Depth=2
	global_load_b64 v[10:11], v[36:37], off offset:3072
	s_or_b32 exec_lo, exec_lo, s34
	s_delay_alu instid0(SALU_CYCLE_1)
	s_mov_b32 s34, exec_lo
	v_cmpx_lt_u32_e64 v123, v147
	s_cbranch_execnz .LBB534_261
.LBB534_230:                            ;   in Loop: Header=BB534_106 Depth=2
	s_or_b32 exec_lo, exec_lo, s34
	s_delay_alu instid0(SALU_CYCLE_1)
	s_mov_b32 s34, exec_lo
	v_cmpx_lt_u32_e64 v124, v147
	s_cbranch_execz .LBB534_262
.LBB534_231:                            ;   in Loop: Header=BB534_106 Depth=2
	global_load_b64 v[6:7], v[36:37], off offset:3584
	s_or_b32 exec_lo, exec_lo, s34
	s_delay_alu instid0(SALU_CYCLE_1)
	s_mov_b32 s34, exec_lo
	v_cmpx_lt_u32_e64 v125, v147
	s_cbranch_execnz .LBB534_263
.LBB534_232:                            ;   in Loop: Header=BB534_106 Depth=2
	s_or_b32 exec_lo, exec_lo, s34
	s_and_saveexec_b32 s33, vcc_lo
	s_cbranch_execz .LBB534_264
.LBB534_233:                            ;   in Loop: Header=BB534_106 Depth=2
	v_add_nc_u32_e32 v2, v70, v72
	ds_load_b32 v2, v2 offset:1024
	s_waitcnt lgkmcnt(0)
	v_lshrrev_b32_e32 v2, s38, v2
	s_delay_alu instid0(VALU_DEP_1)
	v_and_b32_e32 v146, s39, v2
	s_or_b32 exec_lo, exec_lo, s33
	s_and_saveexec_b32 s33, s17
	s_cbranch_execnz .LBB534_265
.LBB534_234:                            ;   in Loop: Header=BB534_106 Depth=2
	s_or_b32 exec_lo, exec_lo, s33
	s_and_saveexec_b32 s33, s18
	s_cbranch_execz .LBB534_266
.LBB534_235:                            ;   in Loop: Header=BB534_106 Depth=2
	ds_load_b32 v2, v78 offset:2048
	s_waitcnt lgkmcnt(0)
	v_lshrrev_b32_e32 v2, s38, v2
	s_delay_alu instid0(VALU_DEP_1)
	v_and_b32_e32 v144, s39, v2
	s_or_b32 exec_lo, exec_lo, s33
	s_and_saveexec_b32 s33, s19
	s_cbranch_execnz .LBB534_267
.LBB534_236:                            ;   in Loop: Header=BB534_106 Depth=2
	s_or_b32 exec_lo, exec_lo, s33
	s_and_saveexec_b32 s33, s20
	s_cbranch_execz .LBB534_268
.LBB534_237:                            ;   in Loop: Header=BB534_106 Depth=2
	ds_load_b32 v2, v78 offset:4096
	s_waitcnt lgkmcnt(0)
	v_lshrrev_b32_e32 v2, s38, v2
	s_delay_alu instid0(VALU_DEP_1)
	v_and_b32_e32 v142, s39, v2
	s_or_b32 exec_lo, exec_lo, s33
	s_and_saveexec_b32 s33, s21
	s_cbranch_execnz .LBB534_269
.LBB534_238:                            ;   in Loop: Header=BB534_106 Depth=2
	s_or_b32 exec_lo, exec_lo, s33
	s_and_saveexec_b32 s33, s22
	s_cbranch_execz .LBB534_270
.LBB534_239:                            ;   in Loop: Header=BB534_106 Depth=2
	ds_load_b32 v2, v78 offset:6144
	s_waitcnt lgkmcnt(0)
	v_lshrrev_b32_e32 v2, s38, v2
	s_delay_alu instid0(VALU_DEP_1)
	v_and_b32_e32 v140, s39, v2
	s_or_b32 exec_lo, exec_lo, s33
	s_and_saveexec_b32 s33, s23
	s_cbranch_execnz .LBB534_271
.LBB534_240:                            ;   in Loop: Header=BB534_106 Depth=2
	s_or_b32 exec_lo, exec_lo, s33
	s_and_saveexec_b32 s33, s24
	s_cbranch_execz .LBB534_272
.LBB534_241:                            ;   in Loop: Header=BB534_106 Depth=2
	ds_load_b32 v2, v78 offset:8192
	s_waitcnt lgkmcnt(0)
	v_lshrrev_b32_e32 v2, s38, v2
	s_delay_alu instid0(VALU_DEP_1)
	v_and_b32_e32 v138, s39, v2
	s_or_b32 exec_lo, exec_lo, s33
	s_and_saveexec_b32 s33, s25
	s_cbranch_execnz .LBB534_273
.LBB534_242:                            ;   in Loop: Header=BB534_106 Depth=2
	s_or_b32 exec_lo, exec_lo, s33
	s_and_saveexec_b32 s33, s26
	s_cbranch_execz .LBB534_274
.LBB534_243:                            ;   in Loop: Header=BB534_106 Depth=2
	ds_load_b32 v2, v78 offset:10240
	s_waitcnt lgkmcnt(0)
	v_lshrrev_b32_e32 v2, s38, v2
	s_delay_alu instid0(VALU_DEP_1)
	v_and_b32_e32 v136, s39, v2
	s_or_b32 exec_lo, exec_lo, s33
	s_and_saveexec_b32 s33, s27
	s_cbranch_execnz .LBB534_275
.LBB534_244:                            ;   in Loop: Header=BB534_106 Depth=2
	s_or_b32 exec_lo, exec_lo, s33
	s_and_saveexec_b32 s33, s28
	s_cbranch_execz .LBB534_276
.LBB534_245:                            ;   in Loop: Header=BB534_106 Depth=2
	ds_load_b32 v2, v78 offset:12288
	s_waitcnt lgkmcnt(0)
	v_lshrrev_b32_e32 v2, s38, v2
	s_delay_alu instid0(VALU_DEP_1)
	v_and_b32_e32 v134, s39, v2
	s_or_b32 exec_lo, exec_lo, s33
	s_and_saveexec_b32 s33, s29
	s_cbranch_execnz .LBB534_277
.LBB534_246:                            ;   in Loop: Header=BB534_106 Depth=2
	s_or_b32 exec_lo, exec_lo, s33
	s_and_saveexec_b32 s33, s30
	s_cbranch_execz .LBB534_278
.LBB534_247:                            ;   in Loop: Header=BB534_106 Depth=2
	ds_load_b32 v2, v78 offset:14336
	s_waitcnt lgkmcnt(0)
	v_lshrrev_b32_e32 v2, s38, v2
	s_delay_alu instid0(VALU_DEP_1)
	v_and_b32_e32 v132, s39, v2
	s_or_b32 exec_lo, exec_lo, s33
	s_and_saveexec_b32 s33, s31
	s_cbranch_execnz .LBB534_279
	s_branch .LBB534_280
.LBB534_248:                            ;   in Loop: Header=BB534_106 Depth=2
	s_or_b32 exec_lo, exec_lo, s33
	s_delay_alu instid0(SALU_CYCLE_1)
	s_mov_b32 s34, exec_lo
	v_cmpx_lt_u32_e64 v111, v147
	s_cbranch_execz .LBB534_218
.LBB534_249:                            ;   in Loop: Header=BB534_106 Depth=2
	global_load_b64 v[32:33], v[36:37], off offset:256
	s_or_b32 exec_lo, exec_lo, s34
	s_delay_alu instid0(SALU_CYCLE_1)
	s_mov_b32 s34, exec_lo
	v_cmpx_lt_u32_e64 v112, v147
	s_cbranch_execnz .LBB534_219
.LBB534_250:                            ;   in Loop: Header=BB534_106 Depth=2
	s_or_b32 exec_lo, exec_lo, s34
	s_delay_alu instid0(SALU_CYCLE_1)
	s_mov_b32 s34, exec_lo
	v_cmpx_lt_u32_e64 v113, v147
	s_cbranch_execz .LBB534_220
.LBB534_251:                            ;   in Loop: Header=BB534_106 Depth=2
	global_load_b64 v[28:29], v[36:37], off offset:768
	s_or_b32 exec_lo, exec_lo, s34
	s_delay_alu instid0(SALU_CYCLE_1)
	s_mov_b32 s34, exec_lo
	v_cmpx_lt_u32_e64 v114, v147
	s_cbranch_execnz .LBB534_221
.LBB534_252:                            ;   in Loop: Header=BB534_106 Depth=2
	s_or_b32 exec_lo, exec_lo, s34
	s_delay_alu instid0(SALU_CYCLE_1)
	s_mov_b32 s34, exec_lo
	v_cmpx_lt_u32_e64 v115, v147
	s_cbranch_execz .LBB534_222
.LBB534_253:                            ;   in Loop: Header=BB534_106 Depth=2
	global_load_b64 v[24:25], v[36:37], off offset:1280
	s_or_b32 exec_lo, exec_lo, s34
	s_delay_alu instid0(SALU_CYCLE_1)
	s_mov_b32 s34, exec_lo
	v_cmpx_lt_u32_e64 v116, v147
	s_cbranch_execnz .LBB534_223
.LBB534_254:                            ;   in Loop: Header=BB534_106 Depth=2
	s_or_b32 exec_lo, exec_lo, s34
	s_delay_alu instid0(SALU_CYCLE_1)
	s_mov_b32 s34, exec_lo
	v_cmpx_lt_u32_e64 v117, v147
	s_cbranch_execz .LBB534_224
.LBB534_255:                            ;   in Loop: Header=BB534_106 Depth=2
	global_load_b64 v[20:21], v[36:37], off offset:1792
	s_or_b32 exec_lo, exec_lo, s34
	s_delay_alu instid0(SALU_CYCLE_1)
	s_mov_b32 s34, exec_lo
	v_cmpx_lt_u32_e64 v118, v147
	s_cbranch_execnz .LBB534_225
.LBB534_256:                            ;   in Loop: Header=BB534_106 Depth=2
	s_or_b32 exec_lo, exec_lo, s34
	s_delay_alu instid0(SALU_CYCLE_1)
	s_mov_b32 s34, exec_lo
	v_cmpx_lt_u32_e64 v119, v147
	s_cbranch_execz .LBB534_226
.LBB534_257:                            ;   in Loop: Header=BB534_106 Depth=2
	global_load_b64 v[16:17], v[36:37], off offset:2304
	s_or_b32 exec_lo, exec_lo, s34
	s_delay_alu instid0(SALU_CYCLE_1)
	s_mov_b32 s34, exec_lo
	v_cmpx_lt_u32_e64 v120, v147
	s_cbranch_execnz .LBB534_227
.LBB534_258:                            ;   in Loop: Header=BB534_106 Depth=2
	s_or_b32 exec_lo, exec_lo, s34
	s_delay_alu instid0(SALU_CYCLE_1)
	s_mov_b32 s34, exec_lo
	v_cmpx_lt_u32_e64 v121, v147
	s_cbranch_execz .LBB534_228
.LBB534_259:                            ;   in Loop: Header=BB534_106 Depth=2
	global_load_b64 v[12:13], v[36:37], off offset:2816
	s_or_b32 exec_lo, exec_lo, s34
	s_delay_alu instid0(SALU_CYCLE_1)
	s_mov_b32 s34, exec_lo
	v_cmpx_lt_u32_e64 v122, v147
	s_cbranch_execnz .LBB534_229
.LBB534_260:                            ;   in Loop: Header=BB534_106 Depth=2
	s_or_b32 exec_lo, exec_lo, s34
	s_delay_alu instid0(SALU_CYCLE_1)
	s_mov_b32 s34, exec_lo
	v_cmpx_lt_u32_e64 v123, v147
	s_cbranch_execz .LBB534_230
.LBB534_261:                            ;   in Loop: Header=BB534_106 Depth=2
	global_load_b64 v[8:9], v[36:37], off offset:3328
	s_or_b32 exec_lo, exec_lo, s34
	s_delay_alu instid0(SALU_CYCLE_1)
	s_mov_b32 s34, exec_lo
	v_cmpx_lt_u32_e64 v124, v147
	s_cbranch_execnz .LBB534_231
.LBB534_262:                            ;   in Loop: Header=BB534_106 Depth=2
	s_or_b32 exec_lo, exec_lo, s34
	s_delay_alu instid0(SALU_CYCLE_1)
	s_mov_b32 s34, exec_lo
	v_cmpx_lt_u32_e64 v125, v147
	s_cbranch_execz .LBB534_232
.LBB534_263:                            ;   in Loop: Header=BB534_106 Depth=2
	global_load_b64 v[4:5], v[36:37], off offset:3840
	s_or_b32 exec_lo, exec_lo, s34
	s_and_saveexec_b32 s33, vcc_lo
	s_cbranch_execnz .LBB534_233
.LBB534_264:                            ;   in Loop: Header=BB534_106 Depth=2
	s_or_b32 exec_lo, exec_lo, s33
	s_and_saveexec_b32 s33, s17
	s_cbranch_execz .LBB534_234
.LBB534_265:                            ;   in Loop: Header=BB534_106 Depth=2
	ds_load_b32 v2, v78 offset:1024
	s_waitcnt lgkmcnt(0)
	v_lshrrev_b32_e32 v2, s38, v2
	s_delay_alu instid0(VALU_DEP_1)
	v_and_b32_e32 v145, s39, v2
	s_or_b32 exec_lo, exec_lo, s33
	s_and_saveexec_b32 s33, s18
	s_cbranch_execnz .LBB534_235
.LBB534_266:                            ;   in Loop: Header=BB534_106 Depth=2
	s_or_b32 exec_lo, exec_lo, s33
	s_and_saveexec_b32 s33, s19
	s_cbranch_execz .LBB534_236
.LBB534_267:                            ;   in Loop: Header=BB534_106 Depth=2
	ds_load_b32 v2, v78 offset:3072
	s_waitcnt lgkmcnt(0)
	v_lshrrev_b32_e32 v2, s38, v2
	s_delay_alu instid0(VALU_DEP_1)
	v_and_b32_e32 v143, s39, v2
	s_or_b32 exec_lo, exec_lo, s33
	s_and_saveexec_b32 s33, s20
	s_cbranch_execnz .LBB534_237
.LBB534_268:                            ;   in Loop: Header=BB534_106 Depth=2
	s_or_b32 exec_lo, exec_lo, s33
	s_and_saveexec_b32 s33, s21
	s_cbranch_execz .LBB534_238
.LBB534_269:                            ;   in Loop: Header=BB534_106 Depth=2
	ds_load_b32 v2, v78 offset:5120
	s_waitcnt lgkmcnt(0)
	v_lshrrev_b32_e32 v2, s38, v2
	s_delay_alu instid0(VALU_DEP_1)
	v_and_b32_e32 v141, s39, v2
	s_or_b32 exec_lo, exec_lo, s33
	s_and_saveexec_b32 s33, s22
	s_cbranch_execnz .LBB534_239
.LBB534_270:                            ;   in Loop: Header=BB534_106 Depth=2
	s_or_b32 exec_lo, exec_lo, s33
	s_and_saveexec_b32 s33, s23
	s_cbranch_execz .LBB534_240
.LBB534_271:                            ;   in Loop: Header=BB534_106 Depth=2
	ds_load_b32 v2, v78 offset:7168
	s_waitcnt lgkmcnt(0)
	v_lshrrev_b32_e32 v2, s38, v2
	s_delay_alu instid0(VALU_DEP_1)
	v_and_b32_e32 v139, s39, v2
	s_or_b32 exec_lo, exec_lo, s33
	s_and_saveexec_b32 s33, s24
	s_cbranch_execnz .LBB534_241
.LBB534_272:                            ;   in Loop: Header=BB534_106 Depth=2
	s_or_b32 exec_lo, exec_lo, s33
	s_and_saveexec_b32 s33, s25
	s_cbranch_execz .LBB534_242
.LBB534_273:                            ;   in Loop: Header=BB534_106 Depth=2
	ds_load_b32 v2, v78 offset:9216
	s_waitcnt lgkmcnt(0)
	v_lshrrev_b32_e32 v2, s38, v2
	s_delay_alu instid0(VALU_DEP_1)
	v_and_b32_e32 v137, s39, v2
	s_or_b32 exec_lo, exec_lo, s33
	s_and_saveexec_b32 s33, s26
	s_cbranch_execnz .LBB534_243
.LBB534_274:                            ;   in Loop: Header=BB534_106 Depth=2
	s_or_b32 exec_lo, exec_lo, s33
	s_and_saveexec_b32 s33, s27
	s_cbranch_execz .LBB534_244
.LBB534_275:                            ;   in Loop: Header=BB534_106 Depth=2
	ds_load_b32 v2, v78 offset:11264
	s_waitcnt lgkmcnt(0)
	v_lshrrev_b32_e32 v2, s38, v2
	s_delay_alu instid0(VALU_DEP_1)
	v_and_b32_e32 v135, s39, v2
	s_or_b32 exec_lo, exec_lo, s33
	s_and_saveexec_b32 s33, s28
	s_cbranch_execnz .LBB534_245
.LBB534_276:                            ;   in Loop: Header=BB534_106 Depth=2
	s_or_b32 exec_lo, exec_lo, s33
	s_and_saveexec_b32 s33, s29
	s_cbranch_execz .LBB534_246
.LBB534_277:                            ;   in Loop: Header=BB534_106 Depth=2
	ds_load_b32 v2, v78 offset:13312
	s_waitcnt lgkmcnt(0)
	v_lshrrev_b32_e32 v2, s38, v2
	s_delay_alu instid0(VALU_DEP_1)
	v_and_b32_e32 v133, s39, v2
	s_or_b32 exec_lo, exec_lo, s33
	s_and_saveexec_b32 s33, s30
	s_cbranch_execnz .LBB534_247
.LBB534_278:                            ;   in Loop: Header=BB534_106 Depth=2
	s_or_b32 exec_lo, exec_lo, s33
	s_and_saveexec_b32 s33, s31
	s_cbranch_execz .LBB534_280
.LBB534_279:                            ;   in Loop: Header=BB534_106 Depth=2
	ds_load_b32 v2, v78 offset:15360
	s_waitcnt lgkmcnt(0)
	v_lshrrev_b32_e32 v2, s38, v2
	s_delay_alu instid0(VALU_DEP_1)
	v_and_b32_e32 v131, s39, v2
.LBB534_280:                            ;   in Loop: Header=BB534_106 Depth=2
	s_or_b32 exec_lo, exec_lo, s33
	v_lshlrev_b32_e32 v2, 3, v170
	v_lshlrev_b32_e32 v36, 3, v166
	s_waitcnt vmcnt(0)
	s_waitcnt_vscnt null, 0x0
	s_barrier
	buffer_gl0_inv
	ds_store_b64 v2, v[34:35] offset:1024
	v_lshlrev_b32_e32 v2, 3, v162
	v_lshlrev_b32_e32 v37, 3, v158
	;; [unrolled: 1-line block ×4, first 2 shown]
	ds_store_b64 v36, v[32:33] offset:1024
	ds_store_b64 v2, v[30:31] offset:1024
	;; [unrolled: 1-line block ×5, first 2 shown]
	v_lshlrev_b32_e32 v2, 3, v154
	v_lshlrev_b32_e32 v36, 3, v153
	;; [unrolled: 1-line block ×5, first 2 shown]
	ds_store_b64 v2, v[22:23] offset:1024
	ds_store_b64 v36, v[20:21] offset:1024
	;; [unrolled: 1-line block ×5, first 2 shown]
	v_lshlrev_b32_e32 v2, 3, v40
	v_lshlrev_b32_e32 v36, 3, v39
	;; [unrolled: 1-line block ×5, first 2 shown]
	ds_store_b64 v2, v[12:13] offset:1024
	ds_store_b64 v36, v[10:11] offset:1024
	;; [unrolled: 1-line block ×5, first 2 shown]
	s_waitcnt lgkmcnt(0)
	s_barrier
	buffer_gl0_inv
	s_and_saveexec_b32 s33, vcc_lo
	s_cbranch_execz .LBB534_296
; %bb.281:                              ;   in Loop: Header=BB534_106 Depth=2
	v_lshlrev_b32_e32 v2, 2, v146
	ds_load_b32 v2, v2
	ds_load_b64 v[36:37], v79 offset:1024
	s_waitcnt lgkmcnt(1)
	v_add_nc_u32_e32 v2, v2, v1
	s_delay_alu instid0(VALU_DEP_1) | instskip(NEXT) | instid1(VALU_DEP_1)
	v_lshlrev_b64 v[39:40], 3, v[2:3]
	v_add_co_u32 v39, vcc_lo, s52, v39
	s_delay_alu instid0(VALU_DEP_2)
	v_add_co_ci_u32_e32 v40, vcc_lo, s53, v40, vcc_lo
	s_waitcnt lgkmcnt(0)
	global_store_b64 v[39:40], v[36:37], off
	s_or_b32 exec_lo, exec_lo, s33
	s_and_saveexec_b32 s33, s17
	s_cbranch_execnz .LBB534_297
.LBB534_282:                            ;   in Loop: Header=BB534_106 Depth=2
	s_or_b32 exec_lo, exec_lo, s33
	s_and_saveexec_b32 s17, s18
	s_cbranch_execz .LBB534_298
.LBB534_283:                            ;   in Loop: Header=BB534_106 Depth=2
	v_lshlrev_b32_e32 v2, 2, v144
	v_add_nc_u32_e32 v36, v78, v44
	ds_load_b32 v2, v2
	ds_load_b64 v[36:37], v36 offset:4096
	s_waitcnt lgkmcnt(1)
	v_add_nc_u32_e32 v2, v2, v46
	s_delay_alu instid0(VALU_DEP_1) | instskip(NEXT) | instid1(VALU_DEP_1)
	v_lshlrev_b64 v[39:40], 3, v[2:3]
	v_add_co_u32 v39, vcc_lo, s52, v39
	s_delay_alu instid0(VALU_DEP_2)
	v_add_co_ci_u32_e32 v40, vcc_lo, s53, v40, vcc_lo
	s_waitcnt lgkmcnt(0)
	global_store_b64 v[39:40], v[36:37], off
	s_or_b32 exec_lo, exec_lo, s17
	s_and_saveexec_b32 s17, s19
	s_cbranch_execnz .LBB534_299
.LBB534_284:                            ;   in Loop: Header=BB534_106 Depth=2
	s_or_b32 exec_lo, exec_lo, s17
	s_and_saveexec_b32 s17, s20
	s_cbranch_execz .LBB534_300
.LBB534_285:                            ;   in Loop: Header=BB534_106 Depth=2
	v_lshlrev_b32_e32 v2, 2, v142
	v_add_nc_u32_e32 v36, v78, v44
	ds_load_b32 v2, v2
	ds_load_b64 v[36:37], v36 offset:8192
	s_waitcnt lgkmcnt(1)
	v_add_nc_u32_e32 v2, v2, v51
	s_delay_alu instid0(VALU_DEP_1) | instskip(NEXT) | instid1(VALU_DEP_1)
	v_lshlrev_b64 v[39:40], 3, v[2:3]
	v_add_co_u32 v39, vcc_lo, s52, v39
	s_delay_alu instid0(VALU_DEP_2)
	v_add_co_ci_u32_e32 v40, vcc_lo, s53, v40, vcc_lo
	s_waitcnt lgkmcnt(0)
	global_store_b64 v[39:40], v[36:37], off
	s_or_b32 exec_lo, exec_lo, s17
	s_and_saveexec_b32 s17, s21
	s_cbranch_execnz .LBB534_301
.LBB534_286:                            ;   in Loop: Header=BB534_106 Depth=2
	s_or_b32 exec_lo, exec_lo, s17
	s_and_saveexec_b32 s17, s22
	s_cbranch_execz .LBB534_302
.LBB534_287:                            ;   in Loop: Header=BB534_106 Depth=2
	v_lshlrev_b32_e32 v2, 2, v140
	v_add_nc_u32_e32 v36, v78, v44
	ds_load_b32 v2, v2
	ds_load_b64 v[36:37], v36 offset:12288
	s_waitcnt lgkmcnt(1)
	v_add_nc_u32_e32 v2, v2, v53
	s_delay_alu instid0(VALU_DEP_1) | instskip(NEXT) | instid1(VALU_DEP_1)
	v_lshlrev_b64 v[39:40], 3, v[2:3]
	v_add_co_u32 v39, vcc_lo, s52, v39
	s_delay_alu instid0(VALU_DEP_2)
	v_add_co_ci_u32_e32 v40, vcc_lo, s53, v40, vcc_lo
	s_waitcnt lgkmcnt(0)
	global_store_b64 v[39:40], v[36:37], off
	s_or_b32 exec_lo, exec_lo, s17
	s_and_saveexec_b32 s17, s23
	s_cbranch_execnz .LBB534_303
.LBB534_288:                            ;   in Loop: Header=BB534_106 Depth=2
	s_or_b32 exec_lo, exec_lo, s17
	s_and_saveexec_b32 s17, s24
	s_cbranch_execz .LBB534_304
.LBB534_289:                            ;   in Loop: Header=BB534_106 Depth=2
	v_lshlrev_b32_e32 v2, 2, v138
	v_add_nc_u32_e32 v36, v78, v44
	ds_load_b32 v2, v2
	ds_load_b64 v[36:37], v36 offset:16384
	s_waitcnt lgkmcnt(1)
	v_add_nc_u32_e32 v2, v2, v55
	s_delay_alu instid0(VALU_DEP_1) | instskip(NEXT) | instid1(VALU_DEP_1)
	v_lshlrev_b64 v[39:40], 3, v[2:3]
	v_add_co_u32 v39, vcc_lo, s52, v39
	s_delay_alu instid0(VALU_DEP_2)
	v_add_co_ci_u32_e32 v40, vcc_lo, s53, v40, vcc_lo
	s_waitcnt lgkmcnt(0)
	global_store_b64 v[39:40], v[36:37], off
	s_or_b32 exec_lo, exec_lo, s17
	s_and_saveexec_b32 s17, s25
	s_cbranch_execnz .LBB534_305
.LBB534_290:                            ;   in Loop: Header=BB534_106 Depth=2
	s_or_b32 exec_lo, exec_lo, s17
	s_and_saveexec_b32 s17, s26
	s_cbranch_execz .LBB534_306
.LBB534_291:                            ;   in Loop: Header=BB534_106 Depth=2
	v_lshlrev_b32_e32 v2, 2, v136
	v_add_nc_u32_e32 v36, v78, v44
	ds_load_b32 v2, v2
	ds_load_b64 v[36:37], v36 offset:20480
	s_waitcnt lgkmcnt(1)
	v_add_nc_u32_e32 v2, v2, v57
	s_delay_alu instid0(VALU_DEP_1) | instskip(NEXT) | instid1(VALU_DEP_1)
	v_lshlrev_b64 v[39:40], 3, v[2:3]
	v_add_co_u32 v39, vcc_lo, s52, v39
	s_delay_alu instid0(VALU_DEP_2)
	v_add_co_ci_u32_e32 v40, vcc_lo, s53, v40, vcc_lo
	s_waitcnt lgkmcnt(0)
	global_store_b64 v[39:40], v[36:37], off
	s_or_b32 exec_lo, exec_lo, s17
	s_and_saveexec_b32 s17, s27
	s_cbranch_execnz .LBB534_307
.LBB534_292:                            ;   in Loop: Header=BB534_106 Depth=2
	s_or_b32 exec_lo, exec_lo, s17
	s_and_saveexec_b32 s17, s28
	s_cbranch_execz .LBB534_308
.LBB534_293:                            ;   in Loop: Header=BB534_106 Depth=2
	v_lshlrev_b32_e32 v2, 2, v134
	v_add_nc_u32_e32 v36, v78, v44
	ds_load_b32 v2, v2
	ds_load_b64 v[36:37], v36 offset:24576
	s_waitcnt lgkmcnt(1)
	v_add_nc_u32_e32 v2, v2, v59
	s_delay_alu instid0(VALU_DEP_1) | instskip(NEXT) | instid1(VALU_DEP_1)
	v_lshlrev_b64 v[39:40], 3, v[2:3]
	v_add_co_u32 v39, vcc_lo, s52, v39
	s_delay_alu instid0(VALU_DEP_2)
	v_add_co_ci_u32_e32 v40, vcc_lo, s53, v40, vcc_lo
	s_waitcnt lgkmcnt(0)
	global_store_b64 v[39:40], v[36:37], off
	s_or_b32 exec_lo, exec_lo, s17
	s_and_saveexec_b32 s17, s29
	s_cbranch_execnz .LBB534_309
.LBB534_294:                            ;   in Loop: Header=BB534_106 Depth=2
	s_or_b32 exec_lo, exec_lo, s17
	s_and_saveexec_b32 s17, s30
	s_cbranch_execz .LBB534_310
.LBB534_295:                            ;   in Loop: Header=BB534_106 Depth=2
	v_lshlrev_b32_e32 v2, 2, v132
	v_add_nc_u32_e32 v36, v78, v44
	ds_load_b32 v2, v2
	ds_load_b64 v[36:37], v36 offset:28672
	s_waitcnt lgkmcnt(1)
	v_add_nc_u32_e32 v2, v2, v61
	s_delay_alu instid0(VALU_DEP_1) | instskip(NEXT) | instid1(VALU_DEP_1)
	v_lshlrev_b64 v[39:40], 3, v[2:3]
	v_add_co_u32 v39, vcc_lo, s52, v39
	s_delay_alu instid0(VALU_DEP_2)
	v_add_co_ci_u32_e32 v40, vcc_lo, s53, v40, vcc_lo
	s_waitcnt lgkmcnt(0)
	global_store_b64 v[39:40], v[36:37], off
	s_or_b32 exec_lo, exec_lo, s17
	s_and_saveexec_b32 s17, s31
	s_cbranch_execnz .LBB534_311
	s_branch .LBB534_312
.LBB534_296:                            ;   in Loop: Header=BB534_106 Depth=2
	s_or_b32 exec_lo, exec_lo, s33
	s_and_saveexec_b32 s33, s17
	s_cbranch_execz .LBB534_282
.LBB534_297:                            ;   in Loop: Header=BB534_106 Depth=2
	v_lshlrev_b32_e32 v2, 2, v145
	v_add_nc_u32_e32 v36, v78, v44
	ds_load_b32 v2, v2
	ds_load_b64 v[36:37], v36 offset:2048
	s_waitcnt lgkmcnt(1)
	v_add_nc_u32_e32 v2, v2, v45
	s_delay_alu instid0(VALU_DEP_1) | instskip(NEXT) | instid1(VALU_DEP_1)
	v_lshlrev_b64 v[39:40], 3, v[2:3]
	v_add_co_u32 v39, vcc_lo, s52, v39
	s_delay_alu instid0(VALU_DEP_2)
	v_add_co_ci_u32_e32 v40, vcc_lo, s53, v40, vcc_lo
	s_waitcnt lgkmcnt(0)
	global_store_b64 v[39:40], v[36:37], off
	s_or_b32 exec_lo, exec_lo, s33
	s_and_saveexec_b32 s17, s18
	s_cbranch_execnz .LBB534_283
.LBB534_298:                            ;   in Loop: Header=BB534_106 Depth=2
	s_or_b32 exec_lo, exec_lo, s17
	s_and_saveexec_b32 s17, s19
	s_cbranch_execz .LBB534_284
.LBB534_299:                            ;   in Loop: Header=BB534_106 Depth=2
	v_lshlrev_b32_e32 v2, 2, v143
	v_add_nc_u32_e32 v36, v78, v44
	ds_load_b32 v2, v2
	ds_load_b64 v[36:37], v36 offset:6144
	s_waitcnt lgkmcnt(1)
	v_add_nc_u32_e32 v2, v2, v47
	s_delay_alu instid0(VALU_DEP_1) | instskip(NEXT) | instid1(VALU_DEP_1)
	v_lshlrev_b64 v[39:40], 3, v[2:3]
	v_add_co_u32 v39, vcc_lo, s52, v39
	s_delay_alu instid0(VALU_DEP_2)
	v_add_co_ci_u32_e32 v40, vcc_lo, s53, v40, vcc_lo
	s_waitcnt lgkmcnt(0)
	global_store_b64 v[39:40], v[36:37], off
	s_or_b32 exec_lo, exec_lo, s17
	s_and_saveexec_b32 s17, s20
	s_cbranch_execnz .LBB534_285
.LBB534_300:                            ;   in Loop: Header=BB534_106 Depth=2
	s_or_b32 exec_lo, exec_lo, s17
	s_and_saveexec_b32 s17, s21
	s_cbranch_execz .LBB534_286
.LBB534_301:                            ;   in Loop: Header=BB534_106 Depth=2
	v_lshlrev_b32_e32 v2, 2, v141
	v_add_nc_u32_e32 v36, v78, v44
	ds_load_b32 v2, v2
	ds_load_b64 v[36:37], v36 offset:10240
	s_waitcnt lgkmcnt(1)
	v_add_nc_u32_e32 v2, v2, v52
	s_delay_alu instid0(VALU_DEP_1) | instskip(NEXT) | instid1(VALU_DEP_1)
	v_lshlrev_b64 v[39:40], 3, v[2:3]
	v_add_co_u32 v39, vcc_lo, s52, v39
	s_delay_alu instid0(VALU_DEP_2)
	v_add_co_ci_u32_e32 v40, vcc_lo, s53, v40, vcc_lo
	s_waitcnt lgkmcnt(0)
	global_store_b64 v[39:40], v[36:37], off
	s_or_b32 exec_lo, exec_lo, s17
	s_and_saveexec_b32 s17, s22
	s_cbranch_execnz .LBB534_287
.LBB534_302:                            ;   in Loop: Header=BB534_106 Depth=2
	s_or_b32 exec_lo, exec_lo, s17
	s_and_saveexec_b32 s17, s23
	s_cbranch_execz .LBB534_288
.LBB534_303:                            ;   in Loop: Header=BB534_106 Depth=2
	v_lshlrev_b32_e32 v2, 2, v139
	v_add_nc_u32_e32 v36, v78, v44
	ds_load_b32 v2, v2
	ds_load_b64 v[36:37], v36 offset:14336
	s_waitcnt lgkmcnt(1)
	v_add_nc_u32_e32 v2, v2, v54
	s_delay_alu instid0(VALU_DEP_1) | instskip(NEXT) | instid1(VALU_DEP_1)
	v_lshlrev_b64 v[39:40], 3, v[2:3]
	v_add_co_u32 v39, vcc_lo, s52, v39
	s_delay_alu instid0(VALU_DEP_2)
	v_add_co_ci_u32_e32 v40, vcc_lo, s53, v40, vcc_lo
	s_waitcnt lgkmcnt(0)
	global_store_b64 v[39:40], v[36:37], off
	s_or_b32 exec_lo, exec_lo, s17
	s_and_saveexec_b32 s17, s24
	s_cbranch_execnz .LBB534_289
.LBB534_304:                            ;   in Loop: Header=BB534_106 Depth=2
	s_or_b32 exec_lo, exec_lo, s17
	s_and_saveexec_b32 s17, s25
	s_cbranch_execz .LBB534_290
.LBB534_305:                            ;   in Loop: Header=BB534_106 Depth=2
	v_lshlrev_b32_e32 v2, 2, v137
	v_add_nc_u32_e32 v36, v78, v44
	ds_load_b32 v2, v2
	ds_load_b64 v[36:37], v36 offset:18432
	s_waitcnt lgkmcnt(1)
	v_add_nc_u32_e32 v2, v2, v56
	s_delay_alu instid0(VALU_DEP_1) | instskip(NEXT) | instid1(VALU_DEP_1)
	v_lshlrev_b64 v[39:40], 3, v[2:3]
	v_add_co_u32 v39, vcc_lo, s52, v39
	s_delay_alu instid0(VALU_DEP_2)
	v_add_co_ci_u32_e32 v40, vcc_lo, s53, v40, vcc_lo
	s_waitcnt lgkmcnt(0)
	global_store_b64 v[39:40], v[36:37], off
	s_or_b32 exec_lo, exec_lo, s17
	s_and_saveexec_b32 s17, s26
	s_cbranch_execnz .LBB534_291
.LBB534_306:                            ;   in Loop: Header=BB534_106 Depth=2
	s_or_b32 exec_lo, exec_lo, s17
	s_and_saveexec_b32 s17, s27
	s_cbranch_execz .LBB534_292
.LBB534_307:                            ;   in Loop: Header=BB534_106 Depth=2
	v_lshlrev_b32_e32 v2, 2, v135
	v_add_nc_u32_e32 v36, v78, v44
	ds_load_b32 v2, v2
	ds_load_b64 v[36:37], v36 offset:22528
	s_waitcnt lgkmcnt(1)
	v_add_nc_u32_e32 v2, v2, v58
	s_delay_alu instid0(VALU_DEP_1) | instskip(NEXT) | instid1(VALU_DEP_1)
	v_lshlrev_b64 v[39:40], 3, v[2:3]
	v_add_co_u32 v39, vcc_lo, s52, v39
	s_delay_alu instid0(VALU_DEP_2)
	v_add_co_ci_u32_e32 v40, vcc_lo, s53, v40, vcc_lo
	s_waitcnt lgkmcnt(0)
	global_store_b64 v[39:40], v[36:37], off
	s_or_b32 exec_lo, exec_lo, s17
	s_and_saveexec_b32 s17, s28
	s_cbranch_execnz .LBB534_293
.LBB534_308:                            ;   in Loop: Header=BB534_106 Depth=2
	s_or_b32 exec_lo, exec_lo, s17
	s_and_saveexec_b32 s17, s29
	s_cbranch_execz .LBB534_294
.LBB534_309:                            ;   in Loop: Header=BB534_106 Depth=2
	v_lshlrev_b32_e32 v2, 2, v133
	v_add_nc_u32_e32 v36, v78, v44
	ds_load_b32 v2, v2
	ds_load_b64 v[36:37], v36 offset:26624
	s_waitcnt lgkmcnt(1)
	v_add_nc_u32_e32 v2, v2, v60
	s_delay_alu instid0(VALU_DEP_1) | instskip(NEXT) | instid1(VALU_DEP_1)
	v_lshlrev_b64 v[39:40], 3, v[2:3]
	v_add_co_u32 v39, vcc_lo, s52, v39
	s_delay_alu instid0(VALU_DEP_2)
	v_add_co_ci_u32_e32 v40, vcc_lo, s53, v40, vcc_lo
	s_waitcnt lgkmcnt(0)
	global_store_b64 v[39:40], v[36:37], off
	s_or_b32 exec_lo, exec_lo, s17
	s_and_saveexec_b32 s17, s30
	s_cbranch_execnz .LBB534_295
.LBB534_310:                            ;   in Loop: Header=BB534_106 Depth=2
	s_or_b32 exec_lo, exec_lo, s17
	s_and_saveexec_b32 s17, s31
	s_cbranch_execz .LBB534_312
.LBB534_311:                            ;   in Loop: Header=BB534_106 Depth=2
	v_lshlrev_b32_e32 v2, 2, v131
	v_add_nc_u32_e32 v36, v78, v44
	ds_load_b32 v2, v2
	ds_load_b64 v[36:37], v36 offset:30720
	s_waitcnt lgkmcnt(1)
	v_add_nc_u32_e32 v2, v2, v63
	s_delay_alu instid0(VALU_DEP_1) | instskip(NEXT) | instid1(VALU_DEP_1)
	v_lshlrev_b64 v[39:40], 3, v[2:3]
	v_add_co_u32 v39, vcc_lo, s52, v39
	s_delay_alu instid0(VALU_DEP_2)
	v_add_co_ci_u32_e32 v40, vcc_lo, s53, v40, vcc_lo
	s_waitcnt lgkmcnt(0)
	global_store_b64 v[39:40], v[36:37], off
.LBB534_312:                            ;   in Loop: Header=BB534_106 Depth=2
	s_or_b32 exec_lo, exec_lo, s17
	s_waitcnt_vscnt null, 0x0
	s_barrier
	buffer_gl0_inv
	s_and_saveexec_b32 s17, s2
	s_cbranch_execz .LBB534_105
; %bb.313:                              ;   in Loop: Header=BB534_106 Depth=2
	ds_load_b32 v2, v44
	s_waitcnt lgkmcnt(0)
	v_add_nc_u32_e32 v2, v2, v38
	ds_store_b32 v44, v2
	s_branch .LBB534_105
.LBB534_314:                            ;   in Loop: Header=BB534_20 Depth=1
	s_waitcnt lgkmcnt(0)
	s_mov_b32 s0, 0
	s_barrier
.LBB534_315:                            ;   in Loop: Header=BB534_20 Depth=1
	s_and_b32 vcc_lo, exec_lo, s0
	s_cbranch_vccz .LBB534_609
; %bb.316:                              ;   in Loop: Header=BB534_20 Depth=1
	s_mov_b32 s8, s62
	s_mov_b32 s34, s60
	s_barrier
	buffer_gl0_inv
                                        ; implicit-def: $vgpr20
                                        ; implicit-def: $vgpr2
                                        ; implicit-def: $vgpr6
                                        ; implicit-def: $vgpr7
                                        ; implicit-def: $vgpr8
                                        ; implicit-def: $vgpr9
                                        ; implicit-def: $vgpr10
                                        ; implicit-def: $vgpr11
                                        ; implicit-def: $vgpr12
                                        ; implicit-def: $vgpr13
                                        ; implicit-def: $vgpr14
                                        ; implicit-def: $vgpr15
                                        ; implicit-def: $vgpr16
                                        ; implicit-def: $vgpr17
                                        ; implicit-def: $vgpr18
                                        ; implicit-def: $vgpr19
	s_branch .LBB534_318
.LBB534_317:                            ;   in Loop: Header=BB534_318 Depth=2
	s_or_b32 exec_lo, exec_lo, s0
	s_addk_i32 s8, 0xf000
	s_cmp_ge_u32 s9, s61
	s_mov_b32 s34, s9
	s_cbranch_scc1 .LBB534_388
.LBB534_318:                            ;   Parent Loop BB534_20 Depth=1
                                        ; =>  This Inner Loop Header: Depth=2
	s_add_i32 s9, s34, 0x1000
	s_delay_alu instid0(SALU_CYCLE_1)
	s_cmp_gt_u32 s9, s61
	s_cbranch_scc1 .LBB534_321
; %bb.319:                              ;   in Loop: Header=BB534_318 Depth=2
	s_mov_b32 s1, 0
	s_mov_b32 s0, s34
	s_delay_alu instid0(SALU_CYCLE_1) | instskip(NEXT) | instid1(SALU_CYCLE_1)
	s_lshl_b64 s[10:11], s[0:1], 2
	v_add_co_u32 v4, vcc_lo, v80, s10
	v_add_co_ci_u32_e32 v5, vcc_lo, s11, v81, vcc_lo
	s_movk_i32 s11, 0x1000
	s_waitcnt vmcnt(1)
	s_delay_alu instid0(VALU_DEP_2) | instskip(NEXT) | instid1(VALU_DEP_2)
	v_add_co_u32 v29, vcc_lo, 0x1000, v4
	v_add_co_ci_u32_e32 v30, vcc_lo, 0, v5, vcc_lo
	s_waitcnt vmcnt(0)
	v_add_co_u32 v36, vcc_lo, v4, 0x2000
	v_add_co_ci_u32_e32 v37, vcc_lo, 0, v5, vcc_lo
	v_add_co_u32 v33, vcc_lo, 0x2000, v4
	v_add_co_ci_u32_e32 v34, vcc_lo, 0, v5, vcc_lo
	v_add_co_u32 v38, vcc_lo, 0x3000, v4
	global_load_b32 v26, v[36:37], off
	v_add_co_ci_u32_e32 v39, vcc_lo, 0, v5, vcc_lo
	s_clause 0xd
	global_load_b32 v22, v[4:5], off
	global_load_b32 v23, v[4:5], off offset:1024
	global_load_b32 v24, v[4:5], off offset:2048
	;; [unrolled: 1-line block ×9, first 2 shown]
	global_load_b32 v34, v[38:39], off
	global_load_b32 v35, v[38:39], off offset:1024
	global_load_b32 v29, v[36:37], off offset:-4096
	global_load_b32 v36, v[38:39], off offset:2048
	v_add_co_u32 v4, vcc_lo, 0x3c00, v4
	v_add_co_ci_u32_e32 v5, vcc_lo, 0, v5, vcc_lo
	s_mov_b32 s10, -1
	s_cbranch_execz .LBB534_322
; %bb.320:                              ;   in Loop: Header=BB534_318 Depth=2
                                        ; implicit-def: $vgpr19
                                        ; implicit-def: $vgpr18
                                        ; implicit-def: $vgpr17
                                        ; implicit-def: $vgpr16
                                        ; implicit-def: $vgpr15
                                        ; implicit-def: $vgpr14
                                        ; implicit-def: $vgpr13
                                        ; implicit-def: $vgpr12
                                        ; implicit-def: $vgpr11
                                        ; implicit-def: $vgpr10
                                        ; implicit-def: $vgpr9
                                        ; implicit-def: $vgpr8
                                        ; implicit-def: $vgpr7
                                        ; implicit-def: $vgpr6
                                        ; implicit-def: $vgpr2
                                        ; implicit-def: $vgpr20
	v_mov_b32_e32 v21, s8
	s_and_saveexec_b32 s0, s10
	s_cbranch_execnz .LBB534_341
	s_branch .LBB534_342
.LBB534_321:                            ;   in Loop: Header=BB534_318 Depth=2
	s_mov_b32 s10, 0
                                        ; implicit-def: $sgpr11
                                        ; implicit-def: $vgpr22
                                        ; implicit-def: $vgpr23
                                        ; implicit-def: $vgpr24
                                        ; implicit-def: $vgpr25
                                        ; implicit-def: $vgpr29
                                        ; implicit-def: $vgpr27
                                        ; implicit-def: $vgpr28
                                        ; implicit-def: $vgpr30
                                        ; implicit-def: $vgpr26
                                        ; implicit-def: $vgpr31
                                        ; implicit-def: $vgpr32
                                        ; implicit-def: $vgpr33
                                        ; implicit-def: $vgpr34
                                        ; implicit-def: $vgpr35
                                        ; implicit-def: $vgpr36
                                        ; implicit-def: $vgpr4_vgpr5
.LBB534_322:                            ;   in Loop: Header=BB534_318 Depth=2
	s_lshl_b64 s[0:1], s[34:35], 2
	s_mov_b32 s11, exec_lo
	s_add_u32 s0, s46, s0
	s_addc_u32 s1, s47, s1
	v_cmpx_gt_u32_e64 s8, v1
	s_cbranch_execz .LBB534_374
; %bb.323:                              ;   in Loop: Header=BB534_318 Depth=2
	global_load_b32 v19, v93, s[0:1]
	s_or_b32 exec_lo, exec_lo, s11
	s_delay_alu instid0(SALU_CYCLE_1)
	s_mov_b32 s11, exec_lo
	v_cmpx_gt_u32_e64 s8, v45
	s_cbranch_execnz .LBB534_375
.LBB534_324:                            ;   in Loop: Header=BB534_318 Depth=2
	s_or_b32 exec_lo, exec_lo, s11
	s_delay_alu instid0(SALU_CYCLE_1)
	s_mov_b32 s11, exec_lo
	v_cmpx_gt_u32_e64 s8, v46
	s_cbranch_execz .LBB534_376
.LBB534_325:                            ;   in Loop: Header=BB534_318 Depth=2
	global_load_b32 v17, v93, s[0:1] offset:2048
	s_or_b32 exec_lo, exec_lo, s11
	s_delay_alu instid0(SALU_CYCLE_1)
	s_mov_b32 s11, exec_lo
	v_cmpx_gt_u32_e64 s8, v47
	s_cbranch_execnz .LBB534_377
.LBB534_326:                            ;   in Loop: Header=BB534_318 Depth=2
	s_or_b32 exec_lo, exec_lo, s11
	s_delay_alu instid0(SALU_CYCLE_1)
	s_mov_b32 s11, exec_lo
	v_cmpx_gt_u32_e64 s8, v51
	s_cbranch_execz .LBB534_378
.LBB534_327:                            ;   in Loop: Header=BB534_318 Depth=2
	global_load_b32 v15, v94, s[0:1]
	s_or_b32 exec_lo, exec_lo, s11
	s_delay_alu instid0(SALU_CYCLE_1)
	s_mov_b32 s11, exec_lo
	v_cmpx_gt_u32_e64 s8, v52
	s_cbranch_execnz .LBB534_379
.LBB534_328:                            ;   in Loop: Header=BB534_318 Depth=2
	s_or_b32 exec_lo, exec_lo, s11
	s_delay_alu instid0(SALU_CYCLE_1)
	s_mov_b32 s11, exec_lo
	v_cmpx_gt_u32_e64 s8, v53
	s_cbranch_execz .LBB534_380
.LBB534_329:                            ;   in Loop: Header=BB534_318 Depth=2
	global_load_b32 v13, v96, s[0:1]
	s_or_b32 exec_lo, exec_lo, s11
	s_delay_alu instid0(SALU_CYCLE_1)
	s_mov_b32 s11, exec_lo
	v_cmpx_gt_u32_e64 s8, v54
	s_cbranch_execnz .LBB534_381
.LBB534_330:                            ;   in Loop: Header=BB534_318 Depth=2
	s_or_b32 exec_lo, exec_lo, s11
	s_delay_alu instid0(SALU_CYCLE_1)
	s_mov_b32 s11, exec_lo
	v_cmpx_gt_u32_e64 s8, v55
	s_cbranch_execz .LBB534_382
.LBB534_331:                            ;   in Loop: Header=BB534_318 Depth=2
	global_load_b32 v11, v98, s[0:1]
	s_or_b32 exec_lo, exec_lo, s11
	s_delay_alu instid0(SALU_CYCLE_1)
	s_mov_b32 s11, exec_lo
	v_cmpx_gt_u32_e64 s8, v56
	s_cbranch_execnz .LBB534_383
.LBB534_332:                            ;   in Loop: Header=BB534_318 Depth=2
	s_or_b32 exec_lo, exec_lo, s11
	s_delay_alu instid0(SALU_CYCLE_1)
	s_mov_b32 s11, exec_lo
	v_cmpx_gt_u32_e64 s8, v57
	s_cbranch_execz .LBB534_384
.LBB534_333:                            ;   in Loop: Header=BB534_318 Depth=2
	global_load_b32 v9, v100, s[0:1]
	s_or_b32 exec_lo, exec_lo, s11
	s_delay_alu instid0(SALU_CYCLE_1)
	s_mov_b32 s11, exec_lo
	v_cmpx_gt_u32_e64 s8, v58
	s_cbranch_execnz .LBB534_385
.LBB534_334:                            ;   in Loop: Header=BB534_318 Depth=2
	s_or_b32 exec_lo, exec_lo, s11
	s_delay_alu instid0(SALU_CYCLE_1)
	s_mov_b32 s11, exec_lo
	v_cmpx_gt_u32_e64 s8, v59
	s_cbranch_execz .LBB534_386
.LBB534_335:                            ;   in Loop: Header=BB534_318 Depth=2
	global_load_b32 v7, v102, s[0:1]
	s_or_b32 exec_lo, exec_lo, s11
	s_delay_alu instid0(SALU_CYCLE_1)
	s_mov_b32 s11, exec_lo
	v_cmpx_gt_u32_e64 s8, v60
	s_cbranch_execnz .LBB534_387
.LBB534_336:                            ;   in Loop: Header=BB534_318 Depth=2
	s_or_b32 exec_lo, exec_lo, s11
	s_delay_alu instid0(SALU_CYCLE_1)
	s_mov_b32 s11, exec_lo
	v_cmpx_gt_u32_e64 s8, v61
	s_cbranch_execz .LBB534_338
.LBB534_337:                            ;   in Loop: Header=BB534_318 Depth=2
	global_load_b32 v2, v104, s[0:1]
.LBB534_338:                            ;   in Loop: Header=BB534_318 Depth=2
	s_or_b32 exec_lo, exec_lo, s11
	s_delay_alu instid0(SALU_CYCLE_1)
	s_mov_b32 s12, exec_lo
                                        ; implicit-def: $sgpr11
                                        ; implicit-def: $vgpr4_vgpr5
	v_cmpx_gt_u32_e64 s8, v63
; %bb.339:                              ;   in Loop: Header=BB534_318 Depth=2
	v_add_co_u32 v4, s0, s0, v105
	s_delay_alu instid0(VALU_DEP_1)
	v_add_co_ci_u32_e64 v5, null, s1, 0, s0
	s_sub_i32 s11, s61, s34
	s_or_b32 s10, s10, exec_lo
                                        ; implicit-def: $vgpr20
; %bb.340:                              ;   in Loop: Header=BB534_318 Depth=2
	s_or_b32 exec_lo, exec_lo, s12
	s_waitcnt vmcnt(0)
	v_dual_mov_b32 v22, v19 :: v_dual_mov_b32 v23, v18
	v_dual_mov_b32 v24, v17 :: v_dual_mov_b32 v25, v16
	;; [unrolled: 1-line block ×8, first 2 shown]
	s_and_saveexec_b32 s0, s10
	s_cbranch_execz .LBB534_342
.LBB534_341:                            ;   in Loop: Header=BB534_318 Depth=2
	global_load_b32 v20, v[4:5], off
	s_waitcnt vmcnt(1)
	v_dual_mov_b32 v21, s11 :: v_dual_mov_b32 v2, v36
	v_dual_mov_b32 v6, v35 :: v_dual_mov_b32 v7, v34
	;; [unrolled: 1-line block ×8, first 2 shown]
.LBB534_342:                            ;   in Loop: Header=BB534_318 Depth=2
	s_or_b32 exec_lo, exec_lo, s0
	s_delay_alu instid0(SALU_CYCLE_1)
	s_mov_b32 s0, exec_lo
	v_cmpx_lt_u32_e64 v1, v21
	s_cbranch_execz .LBB534_358
; %bb.343:                              ;   in Loop: Header=BB534_318 Depth=2
	v_xor_b32_e32 v4, 0x7fffffff, v19
	v_lshlrev_b32_e32 v5, 2, v48
	s_delay_alu instid0(VALU_DEP_2) | instskip(NEXT) | instid1(VALU_DEP_1)
	v_lshrrev_b32_e32 v4, s38, v4
	v_and_b32_e32 v4, s39, v4
	s_delay_alu instid0(VALU_DEP_1) | instskip(SKIP_2) | instid1(SALU_CYCLE_1)
	v_lshl_or_b32 v4, v4, 4, v5
	ds_add_u32 v4, v92
	s_or_b32 exec_lo, exec_lo, s0
	s_mov_b32 s0, exec_lo
	v_cmpx_lt_u32_e64 v45, v21
	s_cbranch_execnz .LBB534_359
.LBB534_344:                            ;   in Loop: Header=BB534_318 Depth=2
	s_or_b32 exec_lo, exec_lo, s0
	s_delay_alu instid0(SALU_CYCLE_1)
	s_mov_b32 s0, exec_lo
	v_cmpx_lt_u32_e64 v46, v21
	s_cbranch_execz .LBB534_360
.LBB534_345:                            ;   in Loop: Header=BB534_318 Depth=2
	v_xor_b32_e32 v4, 0x7fffffff, v17
	v_lshlrev_b32_e32 v5, 2, v48
	s_delay_alu instid0(VALU_DEP_2) | instskip(NEXT) | instid1(VALU_DEP_1)
	v_lshrrev_b32_e32 v4, s38, v4
	v_and_b32_e32 v4, s39, v4
	s_delay_alu instid0(VALU_DEP_1) | instskip(SKIP_2) | instid1(SALU_CYCLE_1)
	v_lshl_or_b32 v4, v4, 4, v5
	ds_add_u32 v4, v92
	s_or_b32 exec_lo, exec_lo, s0
	s_mov_b32 s0, exec_lo
	v_cmpx_lt_u32_e64 v47, v21
	s_cbranch_execnz .LBB534_361
.LBB534_346:                            ;   in Loop: Header=BB534_318 Depth=2
	s_or_b32 exec_lo, exec_lo, s0
	s_delay_alu instid0(SALU_CYCLE_1)
	s_mov_b32 s0, exec_lo
	v_cmpx_lt_u32_e64 v51, v21
	s_cbranch_execz .LBB534_362
.LBB534_347:                            ;   in Loop: Header=BB534_318 Depth=2
	v_xor_b32_e32 v4, 0x7fffffff, v15
	v_lshlrev_b32_e32 v5, 2, v48
	s_delay_alu instid0(VALU_DEP_2) | instskip(NEXT) | instid1(VALU_DEP_1)
	v_lshrrev_b32_e32 v4, s38, v4
	v_and_b32_e32 v4, s39, v4
	s_delay_alu instid0(VALU_DEP_1) | instskip(SKIP_2) | instid1(SALU_CYCLE_1)
	v_lshl_or_b32 v4, v4, 4, v5
	ds_add_u32 v4, v92
	s_or_b32 exec_lo, exec_lo, s0
	s_mov_b32 s0, exec_lo
	v_cmpx_lt_u32_e64 v52, v21
	s_cbranch_execnz .LBB534_363
.LBB534_348:                            ;   in Loop: Header=BB534_318 Depth=2
	s_or_b32 exec_lo, exec_lo, s0
	s_delay_alu instid0(SALU_CYCLE_1)
	s_mov_b32 s0, exec_lo
	v_cmpx_lt_u32_e64 v53, v21
	s_cbranch_execz .LBB534_364
.LBB534_349:                            ;   in Loop: Header=BB534_318 Depth=2
	v_xor_b32_e32 v4, 0x7fffffff, v13
	v_lshlrev_b32_e32 v5, 2, v48
	s_delay_alu instid0(VALU_DEP_2) | instskip(NEXT) | instid1(VALU_DEP_1)
	v_lshrrev_b32_e32 v4, s38, v4
	v_and_b32_e32 v4, s39, v4
	s_delay_alu instid0(VALU_DEP_1) | instskip(SKIP_2) | instid1(SALU_CYCLE_1)
	v_lshl_or_b32 v4, v4, 4, v5
	ds_add_u32 v4, v92
	s_or_b32 exec_lo, exec_lo, s0
	s_mov_b32 s0, exec_lo
	v_cmpx_lt_u32_e64 v54, v21
	s_cbranch_execnz .LBB534_365
.LBB534_350:                            ;   in Loop: Header=BB534_318 Depth=2
	s_or_b32 exec_lo, exec_lo, s0
	s_delay_alu instid0(SALU_CYCLE_1)
	s_mov_b32 s0, exec_lo
	v_cmpx_lt_u32_e64 v55, v21
	s_cbranch_execz .LBB534_366
.LBB534_351:                            ;   in Loop: Header=BB534_318 Depth=2
	v_xor_b32_e32 v4, 0x7fffffff, v11
	v_lshlrev_b32_e32 v5, 2, v48
	s_delay_alu instid0(VALU_DEP_2) | instskip(NEXT) | instid1(VALU_DEP_1)
	v_lshrrev_b32_e32 v4, s38, v4
	v_and_b32_e32 v4, s39, v4
	s_delay_alu instid0(VALU_DEP_1) | instskip(SKIP_2) | instid1(SALU_CYCLE_1)
	v_lshl_or_b32 v4, v4, 4, v5
	ds_add_u32 v4, v92
	s_or_b32 exec_lo, exec_lo, s0
	s_mov_b32 s0, exec_lo
	v_cmpx_lt_u32_e64 v56, v21
	s_cbranch_execnz .LBB534_367
.LBB534_352:                            ;   in Loop: Header=BB534_318 Depth=2
	s_or_b32 exec_lo, exec_lo, s0
	s_delay_alu instid0(SALU_CYCLE_1)
	s_mov_b32 s0, exec_lo
	v_cmpx_lt_u32_e64 v57, v21
	s_cbranch_execz .LBB534_368
.LBB534_353:                            ;   in Loop: Header=BB534_318 Depth=2
	v_xor_b32_e32 v4, 0x7fffffff, v9
	v_lshlrev_b32_e32 v5, 2, v48
	s_delay_alu instid0(VALU_DEP_2) | instskip(NEXT) | instid1(VALU_DEP_1)
	v_lshrrev_b32_e32 v4, s38, v4
	v_and_b32_e32 v4, s39, v4
	s_delay_alu instid0(VALU_DEP_1) | instskip(SKIP_2) | instid1(SALU_CYCLE_1)
	v_lshl_or_b32 v4, v4, 4, v5
	ds_add_u32 v4, v92
	s_or_b32 exec_lo, exec_lo, s0
	s_mov_b32 s0, exec_lo
	v_cmpx_lt_u32_e64 v58, v21
	s_cbranch_execnz .LBB534_369
.LBB534_354:                            ;   in Loop: Header=BB534_318 Depth=2
	s_or_b32 exec_lo, exec_lo, s0
	s_delay_alu instid0(SALU_CYCLE_1)
	s_mov_b32 s0, exec_lo
	v_cmpx_lt_u32_e64 v59, v21
	s_cbranch_execz .LBB534_370
.LBB534_355:                            ;   in Loop: Header=BB534_318 Depth=2
	v_xor_b32_e32 v4, 0x7fffffff, v7
	v_lshlrev_b32_e32 v5, 2, v48
	s_delay_alu instid0(VALU_DEP_2) | instskip(NEXT) | instid1(VALU_DEP_1)
	v_lshrrev_b32_e32 v4, s38, v4
	v_and_b32_e32 v4, s39, v4
	s_delay_alu instid0(VALU_DEP_1) | instskip(SKIP_2) | instid1(SALU_CYCLE_1)
	v_lshl_or_b32 v4, v4, 4, v5
	ds_add_u32 v4, v92
	s_or_b32 exec_lo, exec_lo, s0
	s_mov_b32 s0, exec_lo
	v_cmpx_lt_u32_e64 v60, v21
	s_cbranch_execnz .LBB534_371
.LBB534_356:                            ;   in Loop: Header=BB534_318 Depth=2
	s_or_b32 exec_lo, exec_lo, s0
	s_delay_alu instid0(SALU_CYCLE_1)
	s_mov_b32 s0, exec_lo
	v_cmpx_lt_u32_e64 v61, v21
	s_cbranch_execz .LBB534_372
.LBB534_357:                            ;   in Loop: Header=BB534_318 Depth=2
	v_xor_b32_e32 v4, 0x7fffffff, v2
	v_lshlrev_b32_e32 v5, 2, v48
	s_delay_alu instid0(VALU_DEP_2) | instskip(NEXT) | instid1(VALU_DEP_1)
	v_lshrrev_b32_e32 v4, s38, v4
	v_and_b32_e32 v4, s39, v4
	s_delay_alu instid0(VALU_DEP_1) | instskip(SKIP_2) | instid1(SALU_CYCLE_1)
	v_lshl_or_b32 v4, v4, 4, v5
	ds_add_u32 v4, v92
	s_or_b32 exec_lo, exec_lo, s0
	s_mov_b32 s0, exec_lo
	v_cmpx_lt_u32_e64 v63, v21
	s_cbranch_execz .LBB534_317
	s_branch .LBB534_373
.LBB534_358:                            ;   in Loop: Header=BB534_318 Depth=2
	s_or_b32 exec_lo, exec_lo, s0
	s_delay_alu instid0(SALU_CYCLE_1)
	s_mov_b32 s0, exec_lo
	v_cmpx_lt_u32_e64 v45, v21
	s_cbranch_execz .LBB534_344
.LBB534_359:                            ;   in Loop: Header=BB534_318 Depth=2
	v_xor_b32_e32 v4, 0x7fffffff, v18
	v_lshlrev_b32_e32 v5, 2, v48
	s_delay_alu instid0(VALU_DEP_2) | instskip(NEXT) | instid1(VALU_DEP_1)
	v_lshrrev_b32_e32 v4, s38, v4
	v_and_b32_e32 v4, s39, v4
	s_delay_alu instid0(VALU_DEP_1) | instskip(SKIP_2) | instid1(SALU_CYCLE_1)
	v_lshl_or_b32 v4, v4, 4, v5
	ds_add_u32 v4, v92
	s_or_b32 exec_lo, exec_lo, s0
	s_mov_b32 s0, exec_lo
	v_cmpx_lt_u32_e64 v46, v21
	s_cbranch_execnz .LBB534_345
.LBB534_360:                            ;   in Loop: Header=BB534_318 Depth=2
	s_or_b32 exec_lo, exec_lo, s0
	s_delay_alu instid0(SALU_CYCLE_1)
	s_mov_b32 s0, exec_lo
	v_cmpx_lt_u32_e64 v47, v21
	s_cbranch_execz .LBB534_346
.LBB534_361:                            ;   in Loop: Header=BB534_318 Depth=2
	v_xor_b32_e32 v4, 0x7fffffff, v16
	v_lshlrev_b32_e32 v5, 2, v48
	s_delay_alu instid0(VALU_DEP_2) | instskip(NEXT) | instid1(VALU_DEP_1)
	v_lshrrev_b32_e32 v4, s38, v4
	v_and_b32_e32 v4, s39, v4
	s_delay_alu instid0(VALU_DEP_1) | instskip(SKIP_2) | instid1(SALU_CYCLE_1)
	v_lshl_or_b32 v4, v4, 4, v5
	ds_add_u32 v4, v92
	s_or_b32 exec_lo, exec_lo, s0
	s_mov_b32 s0, exec_lo
	v_cmpx_lt_u32_e64 v51, v21
	s_cbranch_execnz .LBB534_347
.LBB534_362:                            ;   in Loop: Header=BB534_318 Depth=2
	s_or_b32 exec_lo, exec_lo, s0
	s_delay_alu instid0(SALU_CYCLE_1)
	s_mov_b32 s0, exec_lo
	v_cmpx_lt_u32_e64 v52, v21
	s_cbranch_execz .LBB534_348
.LBB534_363:                            ;   in Loop: Header=BB534_318 Depth=2
	v_xor_b32_e32 v4, 0x7fffffff, v14
	v_lshlrev_b32_e32 v5, 2, v48
	s_delay_alu instid0(VALU_DEP_2) | instskip(NEXT) | instid1(VALU_DEP_1)
	v_lshrrev_b32_e32 v4, s38, v4
	v_and_b32_e32 v4, s39, v4
	s_delay_alu instid0(VALU_DEP_1) | instskip(SKIP_2) | instid1(SALU_CYCLE_1)
	v_lshl_or_b32 v4, v4, 4, v5
	ds_add_u32 v4, v92
	s_or_b32 exec_lo, exec_lo, s0
	s_mov_b32 s0, exec_lo
	v_cmpx_lt_u32_e64 v53, v21
	s_cbranch_execnz .LBB534_349
.LBB534_364:                            ;   in Loop: Header=BB534_318 Depth=2
	s_or_b32 exec_lo, exec_lo, s0
	s_delay_alu instid0(SALU_CYCLE_1)
	s_mov_b32 s0, exec_lo
	v_cmpx_lt_u32_e64 v54, v21
	s_cbranch_execz .LBB534_350
.LBB534_365:                            ;   in Loop: Header=BB534_318 Depth=2
	v_xor_b32_e32 v4, 0x7fffffff, v12
	v_lshlrev_b32_e32 v5, 2, v48
	s_delay_alu instid0(VALU_DEP_2) | instskip(NEXT) | instid1(VALU_DEP_1)
	v_lshrrev_b32_e32 v4, s38, v4
	v_and_b32_e32 v4, s39, v4
	s_delay_alu instid0(VALU_DEP_1) | instskip(SKIP_2) | instid1(SALU_CYCLE_1)
	v_lshl_or_b32 v4, v4, 4, v5
	ds_add_u32 v4, v92
	s_or_b32 exec_lo, exec_lo, s0
	s_mov_b32 s0, exec_lo
	v_cmpx_lt_u32_e64 v55, v21
	s_cbranch_execnz .LBB534_351
.LBB534_366:                            ;   in Loop: Header=BB534_318 Depth=2
	s_or_b32 exec_lo, exec_lo, s0
	s_delay_alu instid0(SALU_CYCLE_1)
	s_mov_b32 s0, exec_lo
	v_cmpx_lt_u32_e64 v56, v21
	s_cbranch_execz .LBB534_352
.LBB534_367:                            ;   in Loop: Header=BB534_318 Depth=2
	v_xor_b32_e32 v4, 0x7fffffff, v10
	v_lshlrev_b32_e32 v5, 2, v48
	s_delay_alu instid0(VALU_DEP_2) | instskip(NEXT) | instid1(VALU_DEP_1)
	v_lshrrev_b32_e32 v4, s38, v4
	v_and_b32_e32 v4, s39, v4
	s_delay_alu instid0(VALU_DEP_1) | instskip(SKIP_2) | instid1(SALU_CYCLE_1)
	v_lshl_or_b32 v4, v4, 4, v5
	ds_add_u32 v4, v92
	s_or_b32 exec_lo, exec_lo, s0
	s_mov_b32 s0, exec_lo
	v_cmpx_lt_u32_e64 v57, v21
	s_cbranch_execnz .LBB534_353
.LBB534_368:                            ;   in Loop: Header=BB534_318 Depth=2
	s_or_b32 exec_lo, exec_lo, s0
	s_delay_alu instid0(SALU_CYCLE_1)
	s_mov_b32 s0, exec_lo
	v_cmpx_lt_u32_e64 v58, v21
	s_cbranch_execz .LBB534_354
.LBB534_369:                            ;   in Loop: Header=BB534_318 Depth=2
	v_xor_b32_e32 v4, 0x7fffffff, v8
	v_lshlrev_b32_e32 v5, 2, v48
	s_delay_alu instid0(VALU_DEP_2) | instskip(NEXT) | instid1(VALU_DEP_1)
	v_lshrrev_b32_e32 v4, s38, v4
	v_and_b32_e32 v4, s39, v4
	s_delay_alu instid0(VALU_DEP_1) | instskip(SKIP_2) | instid1(SALU_CYCLE_1)
	v_lshl_or_b32 v4, v4, 4, v5
	ds_add_u32 v4, v92
	s_or_b32 exec_lo, exec_lo, s0
	s_mov_b32 s0, exec_lo
	v_cmpx_lt_u32_e64 v59, v21
	s_cbranch_execnz .LBB534_355
.LBB534_370:                            ;   in Loop: Header=BB534_318 Depth=2
	s_or_b32 exec_lo, exec_lo, s0
	s_delay_alu instid0(SALU_CYCLE_1)
	s_mov_b32 s0, exec_lo
	v_cmpx_lt_u32_e64 v60, v21
	s_cbranch_execz .LBB534_356
.LBB534_371:                            ;   in Loop: Header=BB534_318 Depth=2
	v_xor_b32_e32 v4, 0x7fffffff, v6
	v_lshlrev_b32_e32 v5, 2, v48
	s_delay_alu instid0(VALU_DEP_2) | instskip(NEXT) | instid1(VALU_DEP_1)
	v_lshrrev_b32_e32 v4, s38, v4
	v_and_b32_e32 v4, s39, v4
	s_delay_alu instid0(VALU_DEP_1) | instskip(SKIP_2) | instid1(SALU_CYCLE_1)
	v_lshl_or_b32 v4, v4, 4, v5
	ds_add_u32 v4, v92
	s_or_b32 exec_lo, exec_lo, s0
	s_mov_b32 s0, exec_lo
	v_cmpx_lt_u32_e64 v61, v21
	s_cbranch_execnz .LBB534_357
.LBB534_372:                            ;   in Loop: Header=BB534_318 Depth=2
	s_or_b32 exec_lo, exec_lo, s0
	s_delay_alu instid0(SALU_CYCLE_1)
	s_mov_b32 s0, exec_lo
	v_cmpx_lt_u32_e64 v63, v21
	s_cbranch_execz .LBB534_317
.LBB534_373:                            ;   in Loop: Header=BB534_318 Depth=2
	s_waitcnt vmcnt(0)
	v_xor_b32_e32 v4, 0x7fffffff, v20
	v_lshlrev_b32_e32 v5, 2, v48
	s_delay_alu instid0(VALU_DEP_2) | instskip(NEXT) | instid1(VALU_DEP_1)
	v_lshrrev_b32_e32 v4, s38, v4
	v_and_b32_e32 v4, s39, v4
	s_delay_alu instid0(VALU_DEP_1)
	v_lshl_or_b32 v4, v4, 4, v5
	ds_add_u32 v4, v92
	s_branch .LBB534_317
.LBB534_374:                            ;   in Loop: Header=BB534_318 Depth=2
	s_or_b32 exec_lo, exec_lo, s11
	s_delay_alu instid0(SALU_CYCLE_1)
	s_mov_b32 s11, exec_lo
	v_cmpx_gt_u32_e64 s8, v45
	s_cbranch_execz .LBB534_324
.LBB534_375:                            ;   in Loop: Header=BB534_318 Depth=2
	global_load_b32 v18, v93, s[0:1] offset:1024
	s_or_b32 exec_lo, exec_lo, s11
	s_delay_alu instid0(SALU_CYCLE_1)
	s_mov_b32 s11, exec_lo
	v_cmpx_gt_u32_e64 s8, v46
	s_cbranch_execnz .LBB534_325
.LBB534_376:                            ;   in Loop: Header=BB534_318 Depth=2
	s_or_b32 exec_lo, exec_lo, s11
	s_delay_alu instid0(SALU_CYCLE_1)
	s_mov_b32 s11, exec_lo
	v_cmpx_gt_u32_e64 s8, v47
	s_cbranch_execz .LBB534_326
.LBB534_377:                            ;   in Loop: Header=BB534_318 Depth=2
	global_load_b32 v16, v93, s[0:1] offset:3072
	s_or_b32 exec_lo, exec_lo, s11
	s_delay_alu instid0(SALU_CYCLE_1)
	s_mov_b32 s11, exec_lo
	v_cmpx_gt_u32_e64 s8, v51
	s_cbranch_execnz .LBB534_327
.LBB534_378:                            ;   in Loop: Header=BB534_318 Depth=2
	s_or_b32 exec_lo, exec_lo, s11
	s_delay_alu instid0(SALU_CYCLE_1)
	s_mov_b32 s11, exec_lo
	v_cmpx_gt_u32_e64 s8, v52
	s_cbranch_execz .LBB534_328
.LBB534_379:                            ;   in Loop: Header=BB534_318 Depth=2
	global_load_b32 v14, v95, s[0:1]
	s_or_b32 exec_lo, exec_lo, s11
	s_delay_alu instid0(SALU_CYCLE_1)
	s_mov_b32 s11, exec_lo
	v_cmpx_gt_u32_e64 s8, v53
	s_cbranch_execnz .LBB534_329
.LBB534_380:                            ;   in Loop: Header=BB534_318 Depth=2
	s_or_b32 exec_lo, exec_lo, s11
	s_delay_alu instid0(SALU_CYCLE_1)
	s_mov_b32 s11, exec_lo
	v_cmpx_gt_u32_e64 s8, v54
	s_cbranch_execz .LBB534_330
.LBB534_381:                            ;   in Loop: Header=BB534_318 Depth=2
	global_load_b32 v12, v97, s[0:1]
	s_or_b32 exec_lo, exec_lo, s11
	s_delay_alu instid0(SALU_CYCLE_1)
	s_mov_b32 s11, exec_lo
	v_cmpx_gt_u32_e64 s8, v55
	s_cbranch_execnz .LBB534_331
.LBB534_382:                            ;   in Loop: Header=BB534_318 Depth=2
	s_or_b32 exec_lo, exec_lo, s11
	s_delay_alu instid0(SALU_CYCLE_1)
	s_mov_b32 s11, exec_lo
	v_cmpx_gt_u32_e64 s8, v56
	s_cbranch_execz .LBB534_332
.LBB534_383:                            ;   in Loop: Header=BB534_318 Depth=2
	global_load_b32 v10, v99, s[0:1]
	s_or_b32 exec_lo, exec_lo, s11
	s_delay_alu instid0(SALU_CYCLE_1)
	s_mov_b32 s11, exec_lo
	v_cmpx_gt_u32_e64 s8, v57
	s_cbranch_execnz .LBB534_333
.LBB534_384:                            ;   in Loop: Header=BB534_318 Depth=2
	s_or_b32 exec_lo, exec_lo, s11
	s_delay_alu instid0(SALU_CYCLE_1)
	s_mov_b32 s11, exec_lo
	v_cmpx_gt_u32_e64 s8, v58
	s_cbranch_execz .LBB534_334
.LBB534_385:                            ;   in Loop: Header=BB534_318 Depth=2
	global_load_b32 v8, v101, s[0:1]
	s_or_b32 exec_lo, exec_lo, s11
	s_delay_alu instid0(SALU_CYCLE_1)
	s_mov_b32 s11, exec_lo
	v_cmpx_gt_u32_e64 s8, v59
	s_cbranch_execnz .LBB534_335
.LBB534_386:                            ;   in Loop: Header=BB534_318 Depth=2
	s_or_b32 exec_lo, exec_lo, s11
	s_delay_alu instid0(SALU_CYCLE_1)
	s_mov_b32 s11, exec_lo
	v_cmpx_gt_u32_e64 s8, v60
	s_cbranch_execz .LBB534_336
.LBB534_387:                            ;   in Loop: Header=BB534_318 Depth=2
	global_load_b32 v6, v103, s[0:1]
	s_or_b32 exec_lo, exec_lo, s11
	s_delay_alu instid0(SALU_CYCLE_1)
	s_mov_b32 s11, exec_lo
	v_cmpx_gt_u32_e64 s8, v61
	s_cbranch_execz .LBB534_338
	s_branch .LBB534_337
.LBB534_388:                            ;   in Loop: Header=BB534_20 Depth=1
	v_mov_b32_e32 v2, 0
	s_waitcnt vmcnt(0) lgkmcnt(0)
	s_barrier
	buffer_gl0_inv
	s_and_saveexec_b32 s0, s2
	s_cbranch_execz .LBB534_390
; %bb.389:                              ;   in Loop: Header=BB534_20 Depth=1
	ds_load_2addr_b64 v[4:7], v64 offset1:1
	s_waitcnt lgkmcnt(0)
	v_add_nc_u32_e32 v2, v5, v4
	s_delay_alu instid0(VALU_DEP_1)
	v_add3_u32 v2, v2, v6, v7
.LBB534_390:                            ;   in Loop: Header=BB534_20 Depth=1
	s_or_b32 exec_lo, exec_lo, s0
	v_and_b32_e32 v4, 15, v106
	s_delay_alu instid0(VALU_DEP_2) | instskip(SKIP_1) | instid1(VALU_DEP_3)
	v_mov_b32_dpp v5, v2 row_shr:1 row_mask:0xf bank_mask:0xf
	v_and_b32_e32 v6, 16, v106
	v_cmp_eq_u32_e64 s0, 0, v4
	v_cmp_lt_u32_e64 s1, 1, v4
	v_cmp_lt_u32_e64 s8, 3, v4
	;; [unrolled: 1-line block ×3, first 2 shown]
	v_cmp_eq_u32_e64 s10, 0, v6
	v_cndmask_b32_e64 v5, v5, 0, s0
	s_delay_alu instid0(VALU_DEP_1) | instskip(NEXT) | instid1(VALU_DEP_1)
	v_add_nc_u32_e32 v2, v5, v2
	v_mov_b32_dpp v5, v2 row_shr:2 row_mask:0xf bank_mask:0xf
	s_delay_alu instid0(VALU_DEP_1) | instskip(NEXT) | instid1(VALU_DEP_1)
	v_cndmask_b32_e64 v5, 0, v5, s1
	v_add_nc_u32_e32 v2, v2, v5
	s_delay_alu instid0(VALU_DEP_1) | instskip(NEXT) | instid1(VALU_DEP_1)
	v_mov_b32_dpp v5, v2 row_shr:4 row_mask:0xf bank_mask:0xf
	v_cndmask_b32_e64 v5, 0, v5, s8
	s_delay_alu instid0(VALU_DEP_1) | instskip(NEXT) | instid1(VALU_DEP_1)
	v_add_nc_u32_e32 v2, v2, v5
	v_mov_b32_dpp v5, v2 row_shr:8 row_mask:0xf bank_mask:0xf
	s_delay_alu instid0(VALU_DEP_1) | instskip(SKIP_1) | instid1(VALU_DEP_2)
	v_cndmask_b32_e64 v4, 0, v5, s9
	v_bfe_i32 v5, v106, 4, 1
	v_add_nc_u32_e32 v2, v2, v4
	ds_swizzle_b32 v4, v2 offset:swizzle(BROADCAST,32,15)
	s_waitcnt lgkmcnt(0)
	v_and_b32_e32 v4, v5, v4
	s_delay_alu instid0(VALU_DEP_1)
	v_add_nc_u32_e32 v4, v2, v4
	s_and_saveexec_b32 s11, s3
	s_cbranch_execz .LBB534_392
; %bb.391:                              ;   in Loop: Header=BB534_20 Depth=1
	ds_store_b32 v65, v4
.LBB534_392:                            ;   in Loop: Header=BB534_20 Depth=1
	s_or_b32 exec_lo, exec_lo, s11
	v_and_b32_e32 v2, 7, v106
	s_waitcnt lgkmcnt(0)
	s_barrier
	buffer_gl0_inv
	s_and_saveexec_b32 s11, s4
	s_cbranch_execz .LBB534_394
; %bb.393:                              ;   in Loop: Header=BB534_20 Depth=1
	ds_load_b32 v5, v66
	v_cmp_ne_u32_e32 vcc_lo, 0, v2
	s_waitcnt lgkmcnt(0)
	v_mov_b32_dpp v6, v5 row_shr:1 row_mask:0xf bank_mask:0xf
	s_delay_alu instid0(VALU_DEP_1) | instskip(SKIP_1) | instid1(VALU_DEP_2)
	v_cndmask_b32_e32 v6, 0, v6, vcc_lo
	v_cmp_lt_u32_e32 vcc_lo, 1, v2
	v_add_nc_u32_e32 v5, v6, v5
	s_delay_alu instid0(VALU_DEP_1) | instskip(NEXT) | instid1(VALU_DEP_1)
	v_mov_b32_dpp v6, v5 row_shr:2 row_mask:0xf bank_mask:0xf
	v_cndmask_b32_e32 v6, 0, v6, vcc_lo
	v_cmp_lt_u32_e32 vcc_lo, 3, v2
	s_delay_alu instid0(VALU_DEP_2) | instskip(NEXT) | instid1(VALU_DEP_1)
	v_add_nc_u32_e32 v5, v5, v6
	v_mov_b32_dpp v6, v5 row_shr:4 row_mask:0xf bank_mask:0xf
	s_delay_alu instid0(VALU_DEP_1) | instskip(NEXT) | instid1(VALU_DEP_1)
	v_cndmask_b32_e32 v6, 0, v6, vcc_lo
	v_add_nc_u32_e32 v5, v5, v6
	ds_store_b32 v66, v5
.LBB534_394:                            ;   in Loop: Header=BB534_20 Depth=1
	s_or_b32 exec_lo, exec_lo, s11
	v_mov_b32_e32 v5, 0
	s_waitcnt lgkmcnt(0)
	s_barrier
	buffer_gl0_inv
	s_and_saveexec_b32 s11, s5
	s_cbranch_execz .LBB534_396
; %bb.395:                              ;   in Loop: Header=BB534_20 Depth=1
	ds_load_b32 v5, v67
.LBB534_396:                            ;   in Loop: Header=BB534_20 Depth=1
	s_or_b32 exec_lo, exec_lo, s11
	v_add_nc_u32_e32 v6, -1, v106
	s_waitcnt lgkmcnt(0)
	v_add_nc_u32_e32 v4, v5, v4
	v_cmp_eq_u32_e64 s11, 0, v106
	s_barrier
	v_cmp_gt_i32_e32 vcc_lo, 0, v6
	buffer_gl0_inv
	v_cndmask_b32_e32 v6, v6, v106, vcc_lo
	s_delay_alu instid0(VALU_DEP_1)
	v_lshlrev_b32_e32 v107, 2, v6
	ds_bpermute_b32 v4, v107, v4
	s_and_saveexec_b32 s12, s2
	s_cbranch_execz .LBB534_398
; %bb.397:                              ;   in Loop: Header=BB534_20 Depth=1
	s_waitcnt lgkmcnt(0)
	v_cndmask_b32_e64 v4, v4, v5, s11
	s_delay_alu instid0(VALU_DEP_1)
	v_add_nc_u32_e32 v4, s60, v4
	ds_store_b32 v44, v4
.LBB534_398:                            ;   in Loop: Header=BB534_20 Depth=1
	s_or_b32 exec_lo, exec_lo, s12
	s_load_b64 s[12:13], s[36:37], 0x0
	v_lshlrev_b32_e32 v5, 3, v106
	v_or_b32_e32 v108, v106, v68
	s_mov_b32 s40, s62
	s_mov_b32 s34, s60
                                        ; implicit-def: $vgpr8_vgpr9
                                        ; implicit-def: $vgpr10_vgpr11
                                        ; implicit-def: $vgpr12_vgpr13
                                        ; implicit-def: $vgpr14_vgpr15
                                        ; implicit-def: $vgpr16_vgpr17
                                        ; implicit-def: $vgpr18_vgpr19
                                        ; implicit-def: $vgpr20_vgpr21
                                        ; implicit-def: $vgpr22_vgpr23
                                        ; implicit-def: $vgpr24_vgpr25
                                        ; implicit-def: $vgpr26_vgpr27
                                        ; implicit-def: $vgpr28_vgpr29
                                        ; implicit-def: $vgpr30_vgpr31
                                        ; implicit-def: $vgpr32_vgpr33
                                        ; implicit-def: $vgpr34_vgpr35
                                        ; implicit-def: $vgpr131
                                        ; implicit-def: $vgpr132
                                        ; implicit-def: $vgpr133
                                        ; implicit-def: $vgpr134
                                        ; implicit-def: $vgpr135
                                        ; implicit-def: $vgpr136
                                        ; implicit-def: $vgpr137
                                        ; implicit-def: $vgpr138
                                        ; implicit-def: $vgpr139
                                        ; implicit-def: $vgpr140
                                        ; implicit-def: $vgpr141
                                        ; implicit-def: $vgpr142
                                        ; implicit-def: $vgpr143
                                        ; implicit-def: $vgpr144
                                        ; implicit-def: $vgpr145
                                        ; implicit-def: $vgpr146
	s_delay_alu instid0(VALU_DEP_2)
	v_add_co_u32 v109, vcc_lo, v82, v5
	v_add_co_ci_u32_e32 v110, vcc_lo, 0, v83, vcc_lo
	v_or_b32_e32 v111, 32, v108
	v_or_b32_e32 v112, 64, v108
	;; [unrolled: 1-line block ×10, first 2 shown]
	s_waitcnt lgkmcnt(0)
	s_cmp_lt_u32 s15, s13
	v_or_b32_e32 v121, 0x160, v108
	s_cselect_b32 s13, 14, 20
	v_or_b32_e32 v122, 0x180, v108
	s_add_u32 s16, s36, s13
	s_addc_u32 s17, s37, 0
	s_cmp_lt_u32 s14, s12
	global_load_u16 v4, v3, s[16:17]
	s_cselect_b32 s12, 12, 18
	v_or_b32_e32 v123, 0x1a0, v108
	s_add_u32 s12, s36, s12
	s_addc_u32 s13, s37, 0
	v_or_b32_e32 v124, 0x1c0, v108
	global_load_u16 v6, v3, s[12:13]
	v_cmp_eq_u32_e64 s12, 0, v2
	v_cmp_lt_u32_e64 s13, 1, v2
	v_cmp_lt_u32_e64 s16, 3, v2
	v_lshlrev_b32_e32 v2, 2, v106
	v_or_b32_e32 v125, 0x1e0, v108
	s_delay_alu instid0(VALU_DEP_2) | instskip(SKIP_1) | instid1(VALU_DEP_2)
	v_add_co_u32 v126, vcc_lo, v84, v2
	v_add_co_ci_u32_e32 v127, vcc_lo, 0, v85, vcc_lo
	v_add_co_u32 v129, vcc_lo, 0x780, v126
	s_delay_alu instid0(VALU_DEP_2) | instskip(SKIP_3) | instid1(VALU_DEP_1)
	v_add_co_ci_u32_e32 v130, vcc_lo, 0, v127, vcc_lo
	s_waitcnt vmcnt(1)
	v_mad_u32_u24 v7, v69, v4, v0
	s_waitcnt vmcnt(0)
	v_mad_u64_u32 v[4:5], null, v7, v6, v[1:2]
                                        ; implicit-def: $vgpr6_vgpr7
	s_delay_alu instid0(VALU_DEP_1)
	v_lshrrev_b32_e32 v128, 5, v4
                                        ; implicit-def: $vgpr4_vgpr5
	s_branch .LBB534_400
.LBB534_399:                            ;   in Loop: Header=BB534_400 Depth=2
	s_or_b32 exec_lo, exec_lo, s17
	s_addk_i32 s40, 0xf000
	s_cmp_lt_u32 s41, s61
	s_mov_b32 s34, s41
	s_cbranch_scc0 .LBB534_608
.LBB534_400:                            ;   Parent Loop BB534_20 Depth=1
                                        ; =>  This Inner Loop Header: Depth=2
	s_add_i32 s41, s34, 0x1000
	s_delay_alu instid0(SALU_CYCLE_1)
	s_cmp_gt_u32 s41, s61
	s_cbranch_scc1 .LBB534_403
; %bb.401:                              ;   in Loop: Header=BB534_400 Depth=2
	s_mov_b32 s19, 0
	s_mov_b32 s18, s34
	s_movk_i32 s17, 0x1000
	s_lshl_b64 s[20:21], s[18:19], 2
	s_delay_alu instid0(SALU_CYCLE_1)
	v_add_co_u32 v36, vcc_lo, v126, s20
	v_add_co_ci_u32_e32 v37, vcc_lo, s21, v127, vcc_lo
	s_mov_b32 s20, -1
	s_clause 0xe
	global_load_b32 v2, v[36:37], off
	global_load_b32 v148, v[36:37], off offset:128
	global_load_b32 v151, v[36:37], off offset:256
	;; [unrolled: 1-line block ×14, first 2 shown]
	s_cbranch_execz .LBB534_404
; %bb.402:                              ;   in Loop: Header=BB534_400 Depth=2
                                        ; implicit-def: $sgpr21
	v_dual_mov_b32 v36, s21 :: v_dual_mov_b32 v147, s40
	s_and_saveexec_b32 s21, s20
	s_cbranch_execnz .LBB534_435
	s_branch .LBB534_436
.LBB534_403:                            ;   in Loop: Header=BB534_400 Depth=2
	s_mov_b32 s19, -1
	s_mov_b32 s20, 0
                                        ; implicit-def: $sgpr17
                                        ; implicit-def: $vgpr2
                                        ; implicit-def: $vgpr148
                                        ; implicit-def: $vgpr151
                                        ; implicit-def: $vgpr155
                                        ; implicit-def: $vgpr159
                                        ; implicit-def: $vgpr163
                                        ; implicit-def: $vgpr167
                                        ; implicit-def: $vgpr172
                                        ; implicit-def: $vgpr171
                                        ; implicit-def: $vgpr43
                                        ; implicit-def: $vgpr42
                                        ; implicit-def: $vgpr41
                                        ; implicit-def: $vgpr40
                                        ; implicit-def: $vgpr39
                                        ; implicit-def: $vgpr38
.LBB534_404:                            ;   in Loop: Header=BB534_400 Depth=2
	s_lshl_b64 s[18:19], s[34:35], 2
	s_waitcnt vmcnt(13)
	v_bfrev_b32_e32 v148, 1
	v_add_co_u32 v36, vcc_lo, v126, s18
	v_add_co_ci_u32_e32 v37, vcc_lo, s19, v127, vcc_lo
	v_bfrev_b32_e32 v2, 1
	s_mov_b32 s17, exec_lo
	v_cmpx_gt_u32_e64 s40, v108
	s_cbranch_execz .LBB534_406
; %bb.405:                              ;   in Loop: Header=BB534_400 Depth=2
	global_load_b32 v2, v[36:37], off
.LBB534_406:                            ;   in Loop: Header=BB534_400 Depth=2
	s_or_b32 exec_lo, exec_lo, s17
	s_delay_alu instid0(SALU_CYCLE_1)
	s_mov_b32 s17, exec_lo
	v_cmpx_gt_u32_e64 s40, v111
	s_cbranch_execz .LBB534_408
; %bb.407:                              ;   in Loop: Header=BB534_400 Depth=2
	global_load_b32 v148, v[36:37], off offset:128
.LBB534_408:                            ;   in Loop: Header=BB534_400 Depth=2
	s_or_b32 exec_lo, exec_lo, s17
	s_waitcnt vmcnt(11)
	v_bfrev_b32_e32 v155, 1
	v_bfrev_b32_e32 v151, 1
	s_mov_b32 s17, exec_lo
	v_cmpx_gt_u32_e64 s40, v112
	s_cbranch_execz .LBB534_410
; %bb.409:                              ;   in Loop: Header=BB534_400 Depth=2
	global_load_b32 v151, v[36:37], off offset:256
.LBB534_410:                            ;   in Loop: Header=BB534_400 Depth=2
	s_or_b32 exec_lo, exec_lo, s17
	s_delay_alu instid0(SALU_CYCLE_1)
	s_mov_b32 s17, exec_lo
	v_cmpx_gt_u32_e64 s40, v113
	s_cbranch_execz .LBB534_412
; %bb.411:                              ;   in Loop: Header=BB534_400 Depth=2
	global_load_b32 v155, v[36:37], off offset:384
.LBB534_412:                            ;   in Loop: Header=BB534_400 Depth=2
	s_or_b32 exec_lo, exec_lo, s17
	s_waitcnt vmcnt(9)
	v_bfrev_b32_e32 v163, 1
	v_bfrev_b32_e32 v159, 1
	s_mov_b32 s17, exec_lo
	v_cmpx_gt_u32_e64 s40, v114
	s_cbranch_execz .LBB534_414
; %bb.413:                              ;   in Loop: Header=BB534_400 Depth=2
	global_load_b32 v159, v[36:37], off offset:512
.LBB534_414:                            ;   in Loop: Header=BB534_400 Depth=2
	;; [unrolled: 18-line block ×6, first 2 shown]
	s_or_b32 exec_lo, exec_lo, s17
	s_delay_alu instid0(SALU_CYCLE_1)
	s_mov_b32 s17, exec_lo
	v_cmpx_gt_u32_e64 s40, v123
	s_cbranch_execz .LBB534_432
; %bb.431:                              ;   in Loop: Header=BB534_400 Depth=2
	global_load_b32 v39, v[36:37], off offset:1664
.LBB534_432:                            ;   in Loop: Header=BB534_400 Depth=2
	s_or_b32 exec_lo, exec_lo, s17
	s_waitcnt vmcnt(0)
	v_bfrev_b32_e32 v38, 1
	s_mov_b32 s17, exec_lo
	v_cmpx_gt_u32_e64 s40, v124
	s_cbranch_execz .LBB534_434
; %bb.433:                              ;   in Loop: Header=BB534_400 Depth=2
	global_load_b32 v38, v[36:37], off offset:1792
.LBB534_434:                            ;   in Loop: Header=BB534_400 Depth=2
	s_or_b32 exec_lo, exec_lo, s17
	v_cmp_gt_u32_e64 s20, s40, v125
	s_sub_i32 s17, s61, s34
	s_brev_b32 s21, 1
	s_mov_b64 s[18:19], s[34:35]
	v_dual_mov_b32 v36, s21 :: v_dual_mov_b32 v147, s40
	s_and_saveexec_b32 s21, s20
	s_cbranch_execz .LBB534_436
.LBB534_435:                            ;   in Loop: Header=BB534_400 Depth=2
	s_lshl_b64 s[18:19], s[18:19], 2
	v_mov_b32_e32 v147, s17
	v_add_co_u32 v36, vcc_lo, v129, s18
	v_add_co_ci_u32_e32 v37, vcc_lo, s19, v130, vcc_lo
	global_load_b32 v36, v[36:37], off
.LBB534_436:                            ;   in Loop: Header=BB534_400 Depth=2
	s_or_b32 exec_lo, exec_lo, s21
	s_waitcnt vmcnt(14)
	v_xor_b32_e32 v2, 0x7fffffff, v2
	ds_store_b32 v70, v3 offset:1056
	ds_store_2addr_b32 v71, v3, v3 offset0:1 offset1:2
	ds_store_2addr_b32 v71, v3, v3 offset0:3 offset1:4
	;; [unrolled: 1-line block ×4, first 2 shown]
	s_waitcnt vmcnt(0) lgkmcnt(0)
	s_barrier
	v_lshrrev_b32_e32 v37, s38, v2
	buffer_gl0_inv
	; wave barrier
	v_and_b32_e32 v150, s39, v37
	s_delay_alu instid0(VALU_DEP_1)
	v_and_b32_e32 v37, 1, v150
	v_lshlrev_b32_e32 v149, 30, v150
	v_lshlrev_b32_e32 v152, 29, v150
	;; [unrolled: 1-line block ×4, first 2 shown]
	v_add_co_u32 v37, s17, v37, -1
	s_delay_alu instid0(VALU_DEP_1)
	v_cndmask_b32_e64 v154, 0, 1, s17
	v_not_b32_e32 v160, v149
	v_cmp_gt_i32_e64 s17, 0, v149
	v_not_b32_e32 v149, v152
	v_lshlrev_b32_e32 v157, 26, v150
	v_cmp_ne_u32_e32 vcc_lo, 0, v154
	v_ashrrev_i32_e32 v160, 31, v160
	v_lshlrev_b32_e32 v158, 25, v150
	v_ashrrev_i32_e32 v149, 31, v149
	v_lshlrev_b32_e32 v154, 24, v150
	v_xor_b32_e32 v37, vcc_lo, v37
	v_cmp_gt_i32_e32 vcc_lo, 0, v152
	v_not_b32_e32 v152, v153
	v_xor_b32_e32 v160, s17, v160
	v_cmp_gt_i32_e64 s17, 0, v153
	v_and_b32_e32 v37, exec_lo, v37
	v_not_b32_e32 v153, v156
	v_ashrrev_i32_e32 v152, 31, v152
	v_xor_b32_e32 v149, vcc_lo, v149
	v_cmp_gt_i32_e32 vcc_lo, 0, v156
	v_and_b32_e32 v37, v37, v160
	v_not_b32_e32 v156, v157
	v_ashrrev_i32_e32 v153, 31, v153
	v_xor_b32_e32 v152, s17, v152
	v_cmp_gt_i32_e64 s17, 0, v157
	v_and_b32_e32 v37, v37, v149
	v_not_b32_e32 v149, v158
	v_ashrrev_i32_e32 v156, 31, v156
	v_xor_b32_e32 v153, vcc_lo, v153
	v_cmp_gt_i32_e32 vcc_lo, 0, v158
	v_and_b32_e32 v37, v37, v152
	v_not_b32_e32 v152, v154
	v_ashrrev_i32_e32 v149, 31, v149
	v_xor_b32_e32 v156, s17, v156
	v_cmp_gt_i32_e64 s17, 0, v154
	v_and_b32_e32 v37, v37, v153
	v_ashrrev_i32_e32 v152, 31, v152
	v_xor_b32_e32 v149, vcc_lo, v149
	v_mad_u32_u24 v150, v150, 9, v128
	s_delay_alu instid0(VALU_DEP_4) | instskip(NEXT) | instid1(VALU_DEP_4)
	v_and_b32_e32 v37, v37, v156
	v_xor_b32_e32 v152, s17, v152
	s_delay_alu instid0(VALU_DEP_3) | instskip(NEXT) | instid1(VALU_DEP_3)
	v_lshl_add_u32 v150, v150, 2, 0x420
	v_and_b32_e32 v37, v37, v149
	s_delay_alu instid0(VALU_DEP_1) | instskip(NEXT) | instid1(VALU_DEP_1)
	v_and_b32_e32 v37, v37, v152
	v_mbcnt_lo_u32_b32 v149, v37, 0
	v_cmp_ne_u32_e64 s17, 0, v37
	s_delay_alu instid0(VALU_DEP_2) | instskip(NEXT) | instid1(VALU_DEP_2)
	v_cmp_eq_u32_e32 vcc_lo, 0, v149
	s_and_b32 s18, s17, vcc_lo
	s_delay_alu instid0(SALU_CYCLE_1)
	s_and_saveexec_b32 s17, s18
	s_cbranch_execz .LBB534_438
; %bb.437:                              ;   in Loop: Header=BB534_400 Depth=2
	v_bcnt_u32_b32 v37, v37, 0
	ds_store_b32 v150, v37
.LBB534_438:                            ;   in Loop: Header=BB534_400 Depth=2
	s_or_b32 exec_lo, exec_lo, s17
	v_xor_b32_e32 v148, 0x7fffffff, v148
	; wave barrier
	s_delay_alu instid0(VALU_DEP_1) | instskip(NEXT) | instid1(VALU_DEP_1)
	v_lshrrev_b32_e32 v37, s38, v148
	v_and_b32_e32 v37, s39, v37
	s_delay_alu instid0(VALU_DEP_1)
	v_and_b32_e32 v152, 1, v37
	v_lshlrev_b32_e32 v153, 30, v37
	v_lshlrev_b32_e32 v154, 29, v37
	;; [unrolled: 1-line block ×4, first 2 shown]
	v_add_co_u32 v152, s17, v152, -1
	s_delay_alu instid0(VALU_DEP_1)
	v_cndmask_b32_e64 v157, 0, 1, s17
	v_not_b32_e32 v162, v153
	v_cmp_gt_i32_e64 s17, 0, v153
	v_not_b32_e32 v153, v154
	v_lshlrev_b32_e32 v160, 26, v37
	v_cmp_ne_u32_e32 vcc_lo, 0, v157
	v_ashrrev_i32_e32 v162, 31, v162
	v_lshlrev_b32_e32 v161, 25, v37
	v_ashrrev_i32_e32 v153, 31, v153
	v_lshlrev_b32_e32 v157, 24, v37
	v_xor_b32_e32 v152, vcc_lo, v152
	v_cmp_gt_i32_e32 vcc_lo, 0, v154
	v_not_b32_e32 v154, v156
	v_xor_b32_e32 v162, s17, v162
	v_cmp_gt_i32_e64 s17, 0, v156
	v_and_b32_e32 v152, exec_lo, v152
	v_not_b32_e32 v156, v158
	v_ashrrev_i32_e32 v154, 31, v154
	v_xor_b32_e32 v153, vcc_lo, v153
	v_cmp_gt_i32_e32 vcc_lo, 0, v158
	v_and_b32_e32 v152, v152, v162
	v_not_b32_e32 v158, v160
	v_ashrrev_i32_e32 v156, 31, v156
	v_xor_b32_e32 v154, s17, v154
	v_cmp_gt_i32_e64 s17, 0, v160
	v_and_b32_e32 v152, v152, v153
	v_not_b32_e32 v153, v161
	v_ashrrev_i32_e32 v158, 31, v158
	v_xor_b32_e32 v156, vcc_lo, v156
	v_cmp_gt_i32_e32 vcc_lo, 0, v161
	v_and_b32_e32 v152, v152, v154
	v_not_b32_e32 v154, v157
	v_ashrrev_i32_e32 v153, 31, v153
	v_xor_b32_e32 v158, s17, v158
	v_mul_u32_u24_e32 v37, 9, v37
	v_and_b32_e32 v152, v152, v156
	v_cmp_gt_i32_e64 s17, 0, v157
	v_ashrrev_i32_e32 v154, 31, v154
	v_xor_b32_e32 v153, vcc_lo, v153
	v_add_lshl_u32 v156, v37, v128, 2
	v_and_b32_e32 v152, v152, v158
	s_delay_alu instid0(VALU_DEP_4) | instskip(NEXT) | instid1(VALU_DEP_3)
	v_xor_b32_e32 v37, s17, v154
	v_add_nc_u32_e32 v154, 0x420, v156
	s_delay_alu instid0(VALU_DEP_3) | instskip(SKIP_2) | instid1(VALU_DEP_1)
	v_and_b32_e32 v153, v152, v153
	ds_load_b32 v152, v156 offset:1056
	; wave barrier
	v_and_b32_e32 v37, v153, v37
	v_mbcnt_lo_u32_b32 v153, v37, 0
	v_cmp_ne_u32_e64 s17, 0, v37
	s_delay_alu instid0(VALU_DEP_2) | instskip(NEXT) | instid1(VALU_DEP_2)
	v_cmp_eq_u32_e32 vcc_lo, 0, v153
	s_and_b32 s18, s17, vcc_lo
	s_delay_alu instid0(SALU_CYCLE_1)
	s_and_saveexec_b32 s17, s18
	s_cbranch_execz .LBB534_440
; %bb.439:                              ;   in Loop: Header=BB534_400 Depth=2
	s_waitcnt lgkmcnt(0)
	v_bcnt_u32_b32 v37, v37, v152
	ds_store_b32 v154, v37
.LBB534_440:                            ;   in Loop: Header=BB534_400 Depth=2
	s_or_b32 exec_lo, exec_lo, s17
	v_xor_b32_e32 v151, 0x7fffffff, v151
	; wave barrier
	s_delay_alu instid0(VALU_DEP_1) | instskip(NEXT) | instid1(VALU_DEP_1)
	v_lshrrev_b32_e32 v37, s38, v151
	v_and_b32_e32 v37, s39, v37
	s_delay_alu instid0(VALU_DEP_1)
	v_and_b32_e32 v156, 1, v37
	v_lshlrev_b32_e32 v157, 30, v37
	v_lshlrev_b32_e32 v158, 29, v37
	;; [unrolled: 1-line block ×4, first 2 shown]
	v_add_co_u32 v156, s17, v156, -1
	s_delay_alu instid0(VALU_DEP_1)
	v_cndmask_b32_e64 v161, 0, 1, s17
	v_not_b32_e32 v166, v157
	v_cmp_gt_i32_e64 s17, 0, v157
	v_not_b32_e32 v157, v158
	v_lshlrev_b32_e32 v164, 26, v37
	v_cmp_ne_u32_e32 vcc_lo, 0, v161
	v_ashrrev_i32_e32 v166, 31, v166
	v_lshlrev_b32_e32 v165, 25, v37
	v_ashrrev_i32_e32 v157, 31, v157
	v_lshlrev_b32_e32 v161, 24, v37
	v_xor_b32_e32 v156, vcc_lo, v156
	v_cmp_gt_i32_e32 vcc_lo, 0, v158
	v_not_b32_e32 v158, v160
	v_xor_b32_e32 v166, s17, v166
	v_cmp_gt_i32_e64 s17, 0, v160
	v_and_b32_e32 v156, exec_lo, v156
	v_not_b32_e32 v160, v162
	v_ashrrev_i32_e32 v158, 31, v158
	v_xor_b32_e32 v157, vcc_lo, v157
	v_cmp_gt_i32_e32 vcc_lo, 0, v162
	v_and_b32_e32 v156, v156, v166
	v_not_b32_e32 v162, v164
	v_ashrrev_i32_e32 v160, 31, v160
	v_xor_b32_e32 v158, s17, v158
	v_cmp_gt_i32_e64 s17, 0, v164
	v_and_b32_e32 v156, v156, v157
	v_not_b32_e32 v157, v165
	v_ashrrev_i32_e32 v162, 31, v162
	v_xor_b32_e32 v160, vcc_lo, v160
	v_cmp_gt_i32_e32 vcc_lo, 0, v165
	v_and_b32_e32 v156, v156, v158
	v_not_b32_e32 v158, v161
	v_ashrrev_i32_e32 v157, 31, v157
	v_xor_b32_e32 v162, s17, v162
	v_mul_u32_u24_e32 v37, 9, v37
	v_and_b32_e32 v156, v156, v160
	v_cmp_gt_i32_e64 s17, 0, v161
	v_ashrrev_i32_e32 v158, 31, v158
	v_xor_b32_e32 v157, vcc_lo, v157
	v_add_lshl_u32 v160, v37, v128, 2
	v_and_b32_e32 v156, v156, v162
	s_delay_alu instid0(VALU_DEP_4) | instskip(NEXT) | instid1(VALU_DEP_3)
	v_xor_b32_e32 v37, s17, v158
	v_add_nc_u32_e32 v158, 0x420, v160
	s_delay_alu instid0(VALU_DEP_3) | instskip(SKIP_2) | instid1(VALU_DEP_1)
	v_and_b32_e32 v157, v156, v157
	ds_load_b32 v156, v160 offset:1056
	; wave barrier
	v_and_b32_e32 v37, v157, v37
	v_mbcnt_lo_u32_b32 v157, v37, 0
	v_cmp_ne_u32_e64 s17, 0, v37
	s_delay_alu instid0(VALU_DEP_2) | instskip(NEXT) | instid1(VALU_DEP_2)
	v_cmp_eq_u32_e32 vcc_lo, 0, v157
	s_and_b32 s18, s17, vcc_lo
	s_delay_alu instid0(SALU_CYCLE_1)
	s_and_saveexec_b32 s17, s18
	s_cbranch_execz .LBB534_442
; %bb.441:                              ;   in Loop: Header=BB534_400 Depth=2
	s_waitcnt lgkmcnt(0)
	v_bcnt_u32_b32 v37, v37, v156
	ds_store_b32 v158, v37
.LBB534_442:                            ;   in Loop: Header=BB534_400 Depth=2
	s_or_b32 exec_lo, exec_lo, s17
	v_xor_b32_e32 v155, 0x7fffffff, v155
	; wave barrier
	s_delay_alu instid0(VALU_DEP_1) | instskip(NEXT) | instid1(VALU_DEP_1)
	v_lshrrev_b32_e32 v37, s38, v155
	v_and_b32_e32 v37, s39, v37
	s_delay_alu instid0(VALU_DEP_1)
	v_and_b32_e32 v160, 1, v37
	v_lshlrev_b32_e32 v161, 30, v37
	v_lshlrev_b32_e32 v162, 29, v37
	v_lshlrev_b32_e32 v164, 28, v37
	v_lshlrev_b32_e32 v166, 27, v37
	v_add_co_u32 v160, s17, v160, -1
	s_delay_alu instid0(VALU_DEP_1)
	v_cndmask_b32_e64 v165, 0, 1, s17
	v_not_b32_e32 v170, v161
	v_cmp_gt_i32_e64 s17, 0, v161
	v_not_b32_e32 v161, v162
	v_lshlrev_b32_e32 v168, 26, v37
	v_cmp_ne_u32_e32 vcc_lo, 0, v165
	v_ashrrev_i32_e32 v170, 31, v170
	v_lshlrev_b32_e32 v169, 25, v37
	v_ashrrev_i32_e32 v161, 31, v161
	v_lshlrev_b32_e32 v165, 24, v37
	v_xor_b32_e32 v160, vcc_lo, v160
	v_cmp_gt_i32_e32 vcc_lo, 0, v162
	v_not_b32_e32 v162, v164
	v_xor_b32_e32 v170, s17, v170
	v_cmp_gt_i32_e64 s17, 0, v164
	v_and_b32_e32 v160, exec_lo, v160
	v_not_b32_e32 v164, v166
	v_ashrrev_i32_e32 v162, 31, v162
	v_xor_b32_e32 v161, vcc_lo, v161
	v_cmp_gt_i32_e32 vcc_lo, 0, v166
	v_and_b32_e32 v160, v160, v170
	v_not_b32_e32 v166, v168
	v_ashrrev_i32_e32 v164, 31, v164
	v_xor_b32_e32 v162, s17, v162
	v_cmp_gt_i32_e64 s17, 0, v168
	v_and_b32_e32 v160, v160, v161
	v_not_b32_e32 v161, v169
	v_ashrrev_i32_e32 v166, 31, v166
	v_xor_b32_e32 v164, vcc_lo, v164
	v_cmp_gt_i32_e32 vcc_lo, 0, v169
	v_and_b32_e32 v160, v160, v162
	v_not_b32_e32 v162, v165
	v_ashrrev_i32_e32 v161, 31, v161
	v_xor_b32_e32 v166, s17, v166
	v_mul_u32_u24_e32 v37, 9, v37
	v_and_b32_e32 v160, v160, v164
	v_cmp_gt_i32_e64 s17, 0, v165
	v_ashrrev_i32_e32 v162, 31, v162
	v_xor_b32_e32 v161, vcc_lo, v161
	v_add_lshl_u32 v164, v37, v128, 2
	v_and_b32_e32 v160, v160, v166
	s_delay_alu instid0(VALU_DEP_4) | instskip(NEXT) | instid1(VALU_DEP_3)
	v_xor_b32_e32 v37, s17, v162
	v_add_nc_u32_e32 v162, 0x420, v164
	s_delay_alu instid0(VALU_DEP_3) | instskip(SKIP_2) | instid1(VALU_DEP_1)
	v_and_b32_e32 v161, v160, v161
	ds_load_b32 v160, v164 offset:1056
	; wave barrier
	v_and_b32_e32 v37, v161, v37
	v_mbcnt_lo_u32_b32 v161, v37, 0
	v_cmp_ne_u32_e64 s17, 0, v37
	s_delay_alu instid0(VALU_DEP_2) | instskip(NEXT) | instid1(VALU_DEP_2)
	v_cmp_eq_u32_e32 vcc_lo, 0, v161
	s_and_b32 s18, s17, vcc_lo
	s_delay_alu instid0(SALU_CYCLE_1)
	s_and_saveexec_b32 s17, s18
	s_cbranch_execz .LBB534_444
; %bb.443:                              ;   in Loop: Header=BB534_400 Depth=2
	s_waitcnt lgkmcnt(0)
	v_bcnt_u32_b32 v37, v37, v160
	ds_store_b32 v162, v37
.LBB534_444:                            ;   in Loop: Header=BB534_400 Depth=2
	s_or_b32 exec_lo, exec_lo, s17
	v_xor_b32_e32 v159, 0x7fffffff, v159
	; wave barrier
	s_delay_alu instid0(VALU_DEP_1) | instskip(NEXT) | instid1(VALU_DEP_1)
	v_lshrrev_b32_e32 v37, s38, v159
	v_and_b32_e32 v37, s39, v37
	s_delay_alu instid0(VALU_DEP_1)
	v_and_b32_e32 v164, 1, v37
	v_lshlrev_b32_e32 v165, 30, v37
	v_lshlrev_b32_e32 v166, 29, v37
	v_lshlrev_b32_e32 v168, 28, v37
	v_lshlrev_b32_e32 v170, 27, v37
	v_add_co_u32 v164, s17, v164, -1
	s_delay_alu instid0(VALU_DEP_1)
	v_cndmask_b32_e64 v169, 0, 1, s17
	v_not_b32_e32 v175, v165
	v_cmp_gt_i32_e64 s17, 0, v165
	v_not_b32_e32 v165, v166
	v_lshlrev_b32_e32 v173, 26, v37
	v_cmp_ne_u32_e32 vcc_lo, 0, v169
	v_ashrrev_i32_e32 v175, 31, v175
	v_lshlrev_b32_e32 v174, 25, v37
	v_ashrrev_i32_e32 v165, 31, v165
	v_lshlrev_b32_e32 v169, 24, v37
	v_xor_b32_e32 v164, vcc_lo, v164
	v_cmp_gt_i32_e32 vcc_lo, 0, v166
	v_not_b32_e32 v166, v168
	v_xor_b32_e32 v175, s17, v175
	v_cmp_gt_i32_e64 s17, 0, v168
	v_and_b32_e32 v164, exec_lo, v164
	v_not_b32_e32 v168, v170
	v_ashrrev_i32_e32 v166, 31, v166
	v_xor_b32_e32 v165, vcc_lo, v165
	v_cmp_gt_i32_e32 vcc_lo, 0, v170
	v_and_b32_e32 v164, v164, v175
	v_not_b32_e32 v170, v173
	v_ashrrev_i32_e32 v168, 31, v168
	v_xor_b32_e32 v166, s17, v166
	v_cmp_gt_i32_e64 s17, 0, v173
	v_and_b32_e32 v164, v164, v165
	v_not_b32_e32 v165, v174
	v_ashrrev_i32_e32 v170, 31, v170
	v_xor_b32_e32 v168, vcc_lo, v168
	v_cmp_gt_i32_e32 vcc_lo, 0, v174
	v_and_b32_e32 v164, v164, v166
	v_not_b32_e32 v166, v169
	v_ashrrev_i32_e32 v165, 31, v165
	v_xor_b32_e32 v170, s17, v170
	v_mul_u32_u24_e32 v37, 9, v37
	v_and_b32_e32 v164, v164, v168
	v_cmp_gt_i32_e64 s17, 0, v169
	v_ashrrev_i32_e32 v166, 31, v166
	v_xor_b32_e32 v165, vcc_lo, v165
	v_add_lshl_u32 v168, v37, v128, 2
	v_and_b32_e32 v164, v164, v170
	s_delay_alu instid0(VALU_DEP_4) | instskip(NEXT) | instid1(VALU_DEP_3)
	v_xor_b32_e32 v37, s17, v166
	v_add_nc_u32_e32 v166, 0x420, v168
	s_delay_alu instid0(VALU_DEP_3) | instskip(SKIP_2) | instid1(VALU_DEP_1)
	v_and_b32_e32 v165, v164, v165
	ds_load_b32 v164, v168 offset:1056
	; wave barrier
	v_and_b32_e32 v37, v165, v37
	v_mbcnt_lo_u32_b32 v165, v37, 0
	v_cmp_ne_u32_e64 s17, 0, v37
	s_delay_alu instid0(VALU_DEP_2) | instskip(NEXT) | instid1(VALU_DEP_2)
	v_cmp_eq_u32_e32 vcc_lo, 0, v165
	s_and_b32 s18, s17, vcc_lo
	s_delay_alu instid0(SALU_CYCLE_1)
	s_and_saveexec_b32 s17, s18
	s_cbranch_execz .LBB534_446
; %bb.445:                              ;   in Loop: Header=BB534_400 Depth=2
	s_waitcnt lgkmcnt(0)
	v_bcnt_u32_b32 v37, v37, v164
	ds_store_b32 v166, v37
.LBB534_446:                            ;   in Loop: Header=BB534_400 Depth=2
	s_or_b32 exec_lo, exec_lo, s17
	v_xor_b32_e32 v163, 0x7fffffff, v163
	; wave barrier
	s_delay_alu instid0(VALU_DEP_1) | instskip(NEXT) | instid1(VALU_DEP_1)
	v_lshrrev_b32_e32 v37, s38, v163
	v_and_b32_e32 v37, s39, v37
	s_delay_alu instid0(VALU_DEP_1)
	v_and_b32_e32 v168, 1, v37
	v_lshlrev_b32_e32 v169, 30, v37
	v_lshlrev_b32_e32 v170, 29, v37
	;; [unrolled: 1-line block ×4, first 2 shown]
	v_add_co_u32 v168, s17, v168, -1
	s_delay_alu instid0(VALU_DEP_1)
	v_cndmask_b32_e64 v174, 0, 1, s17
	v_not_b32_e32 v178, v169
	v_cmp_gt_i32_e64 s17, 0, v169
	v_not_b32_e32 v169, v170
	v_lshlrev_b32_e32 v176, 26, v37
	v_cmp_ne_u32_e32 vcc_lo, 0, v174
	v_ashrrev_i32_e32 v178, 31, v178
	v_lshlrev_b32_e32 v177, 25, v37
	v_ashrrev_i32_e32 v169, 31, v169
	v_lshlrev_b32_e32 v174, 24, v37
	v_xor_b32_e32 v168, vcc_lo, v168
	v_cmp_gt_i32_e32 vcc_lo, 0, v170
	v_not_b32_e32 v170, v173
	v_xor_b32_e32 v178, s17, v178
	v_cmp_gt_i32_e64 s17, 0, v173
	v_and_b32_e32 v168, exec_lo, v168
	v_not_b32_e32 v173, v175
	v_ashrrev_i32_e32 v170, 31, v170
	v_xor_b32_e32 v169, vcc_lo, v169
	v_cmp_gt_i32_e32 vcc_lo, 0, v175
	v_and_b32_e32 v168, v168, v178
	v_not_b32_e32 v175, v176
	v_ashrrev_i32_e32 v173, 31, v173
	v_xor_b32_e32 v170, s17, v170
	v_cmp_gt_i32_e64 s17, 0, v176
	v_and_b32_e32 v168, v168, v169
	v_not_b32_e32 v169, v177
	v_ashrrev_i32_e32 v175, 31, v175
	v_xor_b32_e32 v173, vcc_lo, v173
	v_cmp_gt_i32_e32 vcc_lo, 0, v177
	v_and_b32_e32 v168, v168, v170
	v_not_b32_e32 v170, v174
	v_ashrrev_i32_e32 v169, 31, v169
	v_xor_b32_e32 v175, s17, v175
	v_mul_u32_u24_e32 v37, 9, v37
	v_and_b32_e32 v168, v168, v173
	v_cmp_gt_i32_e64 s17, 0, v174
	v_ashrrev_i32_e32 v170, 31, v170
	v_xor_b32_e32 v169, vcc_lo, v169
	v_add_lshl_u32 v173, v37, v128, 2
	v_and_b32_e32 v168, v168, v175
	s_delay_alu instid0(VALU_DEP_4) | instskip(NEXT) | instid1(VALU_DEP_3)
	v_xor_b32_e32 v37, s17, v170
	v_add_nc_u32_e32 v170, 0x420, v173
	s_delay_alu instid0(VALU_DEP_3) | instskip(SKIP_2) | instid1(VALU_DEP_1)
	v_and_b32_e32 v169, v168, v169
	ds_load_b32 v168, v173 offset:1056
	; wave barrier
	v_and_b32_e32 v37, v169, v37
	v_mbcnt_lo_u32_b32 v169, v37, 0
	v_cmp_ne_u32_e64 s17, 0, v37
	s_delay_alu instid0(VALU_DEP_2) | instskip(NEXT) | instid1(VALU_DEP_2)
	v_cmp_eq_u32_e32 vcc_lo, 0, v169
	s_and_b32 s18, s17, vcc_lo
	s_delay_alu instid0(SALU_CYCLE_1)
	s_and_saveexec_b32 s17, s18
	s_cbranch_execz .LBB534_448
; %bb.447:                              ;   in Loop: Header=BB534_400 Depth=2
	s_waitcnt lgkmcnt(0)
	v_bcnt_u32_b32 v37, v37, v168
	ds_store_b32 v170, v37
.LBB534_448:                            ;   in Loop: Header=BB534_400 Depth=2
	s_or_b32 exec_lo, exec_lo, s17
	v_xor_b32_e32 v167, 0x7fffffff, v167
	; wave barrier
	s_delay_alu instid0(VALU_DEP_1) | instskip(NEXT) | instid1(VALU_DEP_1)
	v_lshrrev_b32_e32 v37, s38, v167
	v_and_b32_e32 v37, s39, v37
	s_delay_alu instid0(VALU_DEP_1)
	v_and_b32_e32 v173, 1, v37
	v_lshlrev_b32_e32 v174, 30, v37
	v_lshlrev_b32_e32 v175, 29, v37
	;; [unrolled: 1-line block ×4, first 2 shown]
	v_add_co_u32 v173, s17, v173, -1
	s_delay_alu instid0(VALU_DEP_1)
	v_cndmask_b32_e64 v177, 0, 1, s17
	v_not_b32_e32 v181, v174
	v_cmp_gt_i32_e64 s17, 0, v174
	v_not_b32_e32 v174, v175
	v_lshlrev_b32_e32 v179, 26, v37
	v_cmp_ne_u32_e32 vcc_lo, 0, v177
	v_ashrrev_i32_e32 v181, 31, v181
	v_lshlrev_b32_e32 v180, 25, v37
	v_ashrrev_i32_e32 v174, 31, v174
	v_lshlrev_b32_e32 v177, 24, v37
	v_xor_b32_e32 v173, vcc_lo, v173
	v_cmp_gt_i32_e32 vcc_lo, 0, v175
	v_not_b32_e32 v175, v176
	v_xor_b32_e32 v181, s17, v181
	v_cmp_gt_i32_e64 s17, 0, v176
	v_and_b32_e32 v173, exec_lo, v173
	v_not_b32_e32 v176, v178
	v_ashrrev_i32_e32 v175, 31, v175
	v_xor_b32_e32 v174, vcc_lo, v174
	v_cmp_gt_i32_e32 vcc_lo, 0, v178
	v_and_b32_e32 v173, v173, v181
	v_not_b32_e32 v178, v179
	v_ashrrev_i32_e32 v176, 31, v176
	v_xor_b32_e32 v175, s17, v175
	v_cmp_gt_i32_e64 s17, 0, v179
	v_and_b32_e32 v173, v173, v174
	v_not_b32_e32 v174, v180
	v_ashrrev_i32_e32 v178, 31, v178
	v_xor_b32_e32 v176, vcc_lo, v176
	v_cmp_gt_i32_e32 vcc_lo, 0, v180
	v_and_b32_e32 v173, v173, v175
	v_not_b32_e32 v175, v177
	v_ashrrev_i32_e32 v174, 31, v174
	v_xor_b32_e32 v178, s17, v178
	v_mul_u32_u24_e32 v37, 9, v37
	v_and_b32_e32 v173, v173, v176
	v_cmp_gt_i32_e64 s17, 0, v177
	v_ashrrev_i32_e32 v175, 31, v175
	v_xor_b32_e32 v174, vcc_lo, v174
	v_add_lshl_u32 v176, v37, v128, 2
	v_and_b32_e32 v173, v173, v178
	s_delay_alu instid0(VALU_DEP_4) | instskip(NEXT) | instid1(VALU_DEP_3)
	v_xor_b32_e32 v37, s17, v175
	v_add_nc_u32_e32 v175, 0x420, v176
	s_delay_alu instid0(VALU_DEP_3) | instskip(SKIP_2) | instid1(VALU_DEP_1)
	v_and_b32_e32 v174, v173, v174
	ds_load_b32 v173, v176 offset:1056
	; wave barrier
	v_and_b32_e32 v37, v174, v37
	v_mbcnt_lo_u32_b32 v174, v37, 0
	v_cmp_ne_u32_e64 s17, 0, v37
	s_delay_alu instid0(VALU_DEP_2) | instskip(NEXT) | instid1(VALU_DEP_2)
	v_cmp_eq_u32_e32 vcc_lo, 0, v174
	s_and_b32 s18, s17, vcc_lo
	s_delay_alu instid0(SALU_CYCLE_1)
	s_and_saveexec_b32 s17, s18
	s_cbranch_execz .LBB534_450
; %bb.449:                              ;   in Loop: Header=BB534_400 Depth=2
	s_waitcnt lgkmcnt(0)
	v_bcnt_u32_b32 v37, v37, v173
	ds_store_b32 v175, v37
.LBB534_450:                            ;   in Loop: Header=BB534_400 Depth=2
	s_or_b32 exec_lo, exec_lo, s17
	v_xor_b32_e32 v172, 0x7fffffff, v172
	; wave barrier
	s_delay_alu instid0(VALU_DEP_1) | instskip(NEXT) | instid1(VALU_DEP_1)
	v_lshrrev_b32_e32 v37, s38, v172
	v_and_b32_e32 v37, s39, v37
	s_delay_alu instid0(VALU_DEP_1)
	v_and_b32_e32 v176, 1, v37
	v_lshlrev_b32_e32 v177, 30, v37
	v_lshlrev_b32_e32 v178, 29, v37
	;; [unrolled: 1-line block ×4, first 2 shown]
	v_add_co_u32 v176, s17, v176, -1
	s_delay_alu instid0(VALU_DEP_1)
	v_cndmask_b32_e64 v180, 0, 1, s17
	v_not_b32_e32 v184, v177
	v_cmp_gt_i32_e64 s17, 0, v177
	v_not_b32_e32 v177, v178
	v_lshlrev_b32_e32 v182, 26, v37
	v_cmp_ne_u32_e32 vcc_lo, 0, v180
	v_ashrrev_i32_e32 v184, 31, v184
	v_lshlrev_b32_e32 v183, 25, v37
	v_ashrrev_i32_e32 v177, 31, v177
	v_lshlrev_b32_e32 v180, 24, v37
	v_xor_b32_e32 v176, vcc_lo, v176
	v_cmp_gt_i32_e32 vcc_lo, 0, v178
	v_not_b32_e32 v178, v179
	v_xor_b32_e32 v184, s17, v184
	v_cmp_gt_i32_e64 s17, 0, v179
	v_and_b32_e32 v176, exec_lo, v176
	v_not_b32_e32 v179, v181
	v_ashrrev_i32_e32 v178, 31, v178
	v_xor_b32_e32 v177, vcc_lo, v177
	v_cmp_gt_i32_e32 vcc_lo, 0, v181
	v_and_b32_e32 v176, v176, v184
	v_not_b32_e32 v181, v182
	v_ashrrev_i32_e32 v179, 31, v179
	v_xor_b32_e32 v178, s17, v178
	v_cmp_gt_i32_e64 s17, 0, v182
	v_and_b32_e32 v176, v176, v177
	v_not_b32_e32 v177, v183
	v_ashrrev_i32_e32 v181, 31, v181
	v_xor_b32_e32 v179, vcc_lo, v179
	v_cmp_gt_i32_e32 vcc_lo, 0, v183
	v_and_b32_e32 v176, v176, v178
	v_not_b32_e32 v178, v180
	v_ashrrev_i32_e32 v177, 31, v177
	v_xor_b32_e32 v181, s17, v181
	v_mul_u32_u24_e32 v37, 9, v37
	v_and_b32_e32 v176, v176, v179
	v_cmp_gt_i32_e64 s17, 0, v180
	v_ashrrev_i32_e32 v178, 31, v178
	v_xor_b32_e32 v177, vcc_lo, v177
	v_add_lshl_u32 v179, v37, v128, 2
	v_and_b32_e32 v176, v176, v181
	s_delay_alu instid0(VALU_DEP_4) | instskip(NEXT) | instid1(VALU_DEP_3)
	v_xor_b32_e32 v37, s17, v178
	v_add_nc_u32_e32 v178, 0x420, v179
	s_delay_alu instid0(VALU_DEP_3) | instskip(SKIP_2) | instid1(VALU_DEP_1)
	v_and_b32_e32 v177, v176, v177
	ds_load_b32 v176, v179 offset:1056
	; wave barrier
	v_and_b32_e32 v37, v177, v37
	v_mbcnt_lo_u32_b32 v177, v37, 0
	v_cmp_ne_u32_e64 s17, 0, v37
	s_delay_alu instid0(VALU_DEP_2) | instskip(NEXT) | instid1(VALU_DEP_2)
	v_cmp_eq_u32_e32 vcc_lo, 0, v177
	s_and_b32 s18, s17, vcc_lo
	s_delay_alu instid0(SALU_CYCLE_1)
	s_and_saveexec_b32 s17, s18
	s_cbranch_execz .LBB534_452
; %bb.451:                              ;   in Loop: Header=BB534_400 Depth=2
	s_waitcnt lgkmcnt(0)
	v_bcnt_u32_b32 v37, v37, v176
	ds_store_b32 v178, v37
.LBB534_452:                            ;   in Loop: Header=BB534_400 Depth=2
	s_or_b32 exec_lo, exec_lo, s17
	v_xor_b32_e32 v171, 0x7fffffff, v171
	; wave barrier
	s_delay_alu instid0(VALU_DEP_1) | instskip(NEXT) | instid1(VALU_DEP_1)
	v_lshrrev_b32_e32 v37, s38, v171
	v_and_b32_e32 v37, s39, v37
	s_delay_alu instid0(VALU_DEP_1)
	v_and_b32_e32 v179, 1, v37
	v_lshlrev_b32_e32 v180, 30, v37
	v_lshlrev_b32_e32 v181, 29, v37
	v_lshlrev_b32_e32 v182, 28, v37
	v_lshlrev_b32_e32 v184, 27, v37
	v_add_co_u32 v179, s17, v179, -1
	s_delay_alu instid0(VALU_DEP_1)
	v_cndmask_b32_e64 v183, 0, 1, s17
	v_not_b32_e32 v187, v180
	v_cmp_gt_i32_e64 s17, 0, v180
	v_not_b32_e32 v180, v181
	v_lshlrev_b32_e32 v185, 26, v37
	v_cmp_ne_u32_e32 vcc_lo, 0, v183
	v_ashrrev_i32_e32 v187, 31, v187
	v_lshlrev_b32_e32 v186, 25, v37
	v_ashrrev_i32_e32 v180, 31, v180
	v_lshlrev_b32_e32 v183, 24, v37
	v_xor_b32_e32 v179, vcc_lo, v179
	v_cmp_gt_i32_e32 vcc_lo, 0, v181
	v_not_b32_e32 v181, v182
	v_xor_b32_e32 v187, s17, v187
	v_cmp_gt_i32_e64 s17, 0, v182
	v_and_b32_e32 v179, exec_lo, v179
	v_not_b32_e32 v182, v184
	v_ashrrev_i32_e32 v181, 31, v181
	v_xor_b32_e32 v180, vcc_lo, v180
	v_cmp_gt_i32_e32 vcc_lo, 0, v184
	v_and_b32_e32 v179, v179, v187
	v_not_b32_e32 v184, v185
	v_ashrrev_i32_e32 v182, 31, v182
	v_xor_b32_e32 v181, s17, v181
	v_cmp_gt_i32_e64 s17, 0, v185
	v_and_b32_e32 v179, v179, v180
	v_not_b32_e32 v180, v186
	v_ashrrev_i32_e32 v184, 31, v184
	v_xor_b32_e32 v182, vcc_lo, v182
	v_cmp_gt_i32_e32 vcc_lo, 0, v186
	v_and_b32_e32 v179, v179, v181
	v_not_b32_e32 v181, v183
	v_ashrrev_i32_e32 v180, 31, v180
	v_xor_b32_e32 v184, s17, v184
	v_mul_u32_u24_e32 v37, 9, v37
	v_and_b32_e32 v179, v179, v182
	v_cmp_gt_i32_e64 s17, 0, v183
	v_ashrrev_i32_e32 v181, 31, v181
	v_xor_b32_e32 v180, vcc_lo, v180
	v_add_lshl_u32 v182, v37, v128, 2
	v_and_b32_e32 v179, v179, v184
	s_delay_alu instid0(VALU_DEP_4) | instskip(NEXT) | instid1(VALU_DEP_2)
	v_xor_b32_e32 v37, s17, v181
	v_and_b32_e32 v179, v179, v180
	ds_load_b32 v180, v182 offset:1056
	v_add_nc_u32_e32 v182, 0x420, v182
	; wave barrier
	v_and_b32_e32 v37, v179, v37
	s_delay_alu instid0(VALU_DEP_1) | instskip(SKIP_1) | instid1(VALU_DEP_2)
	v_mbcnt_lo_u32_b32 v181, v37, 0
	v_cmp_ne_u32_e64 s17, 0, v37
	v_cmp_eq_u32_e32 vcc_lo, 0, v181
	s_delay_alu instid0(VALU_DEP_2) | instskip(NEXT) | instid1(SALU_CYCLE_1)
	s_and_b32 s18, s17, vcc_lo
	s_and_saveexec_b32 s17, s18
	s_cbranch_execz .LBB534_454
; %bb.453:                              ;   in Loop: Header=BB534_400 Depth=2
	s_waitcnt lgkmcnt(0)
	v_bcnt_u32_b32 v37, v37, v180
	ds_store_b32 v182, v37
.LBB534_454:                            ;   in Loop: Header=BB534_400 Depth=2
	s_or_b32 exec_lo, exec_lo, s17
	v_xor_b32_e32 v179, 0x7fffffff, v43
	; wave barrier
	s_delay_alu instid0(VALU_DEP_1) | instskip(NEXT) | instid1(VALU_DEP_1)
	v_lshrrev_b32_e32 v37, s38, v179
	v_and_b32_e32 v37, s39, v37
	s_delay_alu instid0(VALU_DEP_1)
	v_and_b32_e32 v43, 1, v37
	v_lshlrev_b32_e32 v183, 30, v37
	v_lshlrev_b32_e32 v184, 29, v37
	;; [unrolled: 1-line block ×4, first 2 shown]
	v_add_co_u32 v43, s17, v43, -1
	s_delay_alu instid0(VALU_DEP_1)
	v_cndmask_b32_e64 v186, 0, 1, s17
	v_not_b32_e32 v190, v183
	v_cmp_gt_i32_e64 s17, 0, v183
	v_not_b32_e32 v183, v184
	v_lshlrev_b32_e32 v188, 26, v37
	v_cmp_ne_u32_e32 vcc_lo, 0, v186
	v_ashrrev_i32_e32 v190, 31, v190
	v_lshlrev_b32_e32 v189, 25, v37
	v_ashrrev_i32_e32 v183, 31, v183
	v_lshlrev_b32_e32 v186, 24, v37
	v_xor_b32_e32 v43, vcc_lo, v43
	v_cmp_gt_i32_e32 vcc_lo, 0, v184
	v_not_b32_e32 v184, v185
	v_xor_b32_e32 v190, s17, v190
	v_cmp_gt_i32_e64 s17, 0, v185
	v_and_b32_e32 v43, exec_lo, v43
	v_not_b32_e32 v185, v187
	v_ashrrev_i32_e32 v184, 31, v184
	v_xor_b32_e32 v183, vcc_lo, v183
	v_cmp_gt_i32_e32 vcc_lo, 0, v187
	v_and_b32_e32 v43, v43, v190
	v_not_b32_e32 v187, v188
	v_ashrrev_i32_e32 v185, 31, v185
	v_xor_b32_e32 v184, s17, v184
	v_cmp_gt_i32_e64 s17, 0, v188
	v_and_b32_e32 v43, v43, v183
	v_not_b32_e32 v183, v189
	v_ashrrev_i32_e32 v187, 31, v187
	v_xor_b32_e32 v185, vcc_lo, v185
	v_cmp_gt_i32_e32 vcc_lo, 0, v189
	v_and_b32_e32 v43, v43, v184
	v_not_b32_e32 v184, v186
	v_ashrrev_i32_e32 v183, 31, v183
	v_xor_b32_e32 v187, s17, v187
	v_mul_u32_u24_e32 v37, 9, v37
	v_and_b32_e32 v43, v43, v185
	v_cmp_gt_i32_e64 s17, 0, v186
	v_ashrrev_i32_e32 v184, 31, v184
	v_xor_b32_e32 v183, vcc_lo, v183
	v_add_lshl_u32 v186, v37, v128, 2
	v_and_b32_e32 v43, v43, v187
	s_delay_alu instid0(VALU_DEP_4) | instskip(SKIP_3) | instid1(VALU_DEP_2)
	v_xor_b32_e32 v37, s17, v184
	ds_load_b32 v184, v186 offset:1056
	v_and_b32_e32 v43, v43, v183
	v_add_nc_u32_e32 v186, 0x420, v186
	; wave barrier
	v_and_b32_e32 v37, v43, v37
	s_delay_alu instid0(VALU_DEP_1) | instskip(SKIP_1) | instid1(VALU_DEP_2)
	v_mbcnt_lo_u32_b32 v185, v37, 0
	v_cmp_ne_u32_e64 s17, 0, v37
	v_cmp_eq_u32_e32 vcc_lo, 0, v185
	s_delay_alu instid0(VALU_DEP_2) | instskip(NEXT) | instid1(SALU_CYCLE_1)
	s_and_b32 s18, s17, vcc_lo
	s_and_saveexec_b32 s17, s18
	s_cbranch_execz .LBB534_456
; %bb.455:                              ;   in Loop: Header=BB534_400 Depth=2
	s_waitcnt lgkmcnt(0)
	v_bcnt_u32_b32 v37, v37, v184
	ds_store_b32 v186, v37
.LBB534_456:                            ;   in Loop: Header=BB534_400 Depth=2
	s_or_b32 exec_lo, exec_lo, s17
	v_xor_b32_e32 v183, 0x7fffffff, v42
	; wave barrier
	s_delay_alu instid0(VALU_DEP_1) | instskip(NEXT) | instid1(VALU_DEP_1)
	v_lshrrev_b32_e32 v37, s38, v183
	v_and_b32_e32 v37, s39, v37
	s_delay_alu instid0(VALU_DEP_1)
	v_and_b32_e32 v42, 1, v37
	v_lshlrev_b32_e32 v43, 30, v37
	v_lshlrev_b32_e32 v187, 29, v37
	;; [unrolled: 1-line block ×4, first 2 shown]
	v_add_co_u32 v42, s17, v42, -1
	s_delay_alu instid0(VALU_DEP_1)
	v_cndmask_b32_e64 v189, 0, 1, s17
	v_not_b32_e32 v193, v43
	v_cmp_gt_i32_e64 s17, 0, v43
	v_not_b32_e32 v43, v187
	v_lshlrev_b32_e32 v191, 26, v37
	v_cmp_ne_u32_e32 vcc_lo, 0, v189
	v_ashrrev_i32_e32 v193, 31, v193
	v_lshlrev_b32_e32 v192, 25, v37
	v_ashrrev_i32_e32 v43, 31, v43
	v_lshlrev_b32_e32 v189, 24, v37
	v_xor_b32_e32 v42, vcc_lo, v42
	v_cmp_gt_i32_e32 vcc_lo, 0, v187
	v_not_b32_e32 v187, v188
	v_xor_b32_e32 v193, s17, v193
	v_cmp_gt_i32_e64 s17, 0, v188
	v_and_b32_e32 v42, exec_lo, v42
	v_not_b32_e32 v188, v190
	v_ashrrev_i32_e32 v187, 31, v187
	v_xor_b32_e32 v43, vcc_lo, v43
	v_cmp_gt_i32_e32 vcc_lo, 0, v190
	v_and_b32_e32 v42, v42, v193
	v_not_b32_e32 v190, v191
	v_ashrrev_i32_e32 v188, 31, v188
	v_xor_b32_e32 v187, s17, v187
	v_cmp_gt_i32_e64 s17, 0, v191
	v_and_b32_e32 v42, v42, v43
	v_not_b32_e32 v43, v192
	v_ashrrev_i32_e32 v190, 31, v190
	v_xor_b32_e32 v188, vcc_lo, v188
	v_cmp_gt_i32_e32 vcc_lo, 0, v192
	v_and_b32_e32 v42, v42, v187
	v_not_b32_e32 v187, v189
	v_ashrrev_i32_e32 v43, 31, v43
	v_xor_b32_e32 v190, s17, v190
	v_mul_u32_u24_e32 v37, 9, v37
	v_and_b32_e32 v42, v42, v188
	v_cmp_gt_i32_e64 s17, 0, v189
	v_ashrrev_i32_e32 v187, 31, v187
	v_xor_b32_e32 v43, vcc_lo, v43
	s_delay_alu instid0(VALU_DEP_4) | instskip(SKIP_1) | instid1(VALU_DEP_4)
	v_and_b32_e32 v42, v42, v190
	v_add_lshl_u32 v190, v37, v128, 2
	v_xor_b32_e32 v37, s17, v187
	s_delay_alu instid0(VALU_DEP_3) | instskip(SKIP_3) | instid1(VALU_DEP_1)
	v_and_b32_e32 v42, v42, v43
	ds_load_b32 v188, v190 offset:1056
	v_add_nc_u32_e32 v190, 0x420, v190
	; wave barrier
	v_and_b32_e32 v37, v42, v37
	v_mbcnt_lo_u32_b32 v189, v37, 0
	v_cmp_ne_u32_e64 s17, 0, v37
	s_delay_alu instid0(VALU_DEP_2) | instskip(NEXT) | instid1(VALU_DEP_2)
	v_cmp_eq_u32_e32 vcc_lo, 0, v189
	s_and_b32 s18, s17, vcc_lo
	s_delay_alu instid0(SALU_CYCLE_1)
	s_and_saveexec_b32 s17, s18
	s_cbranch_execz .LBB534_458
; %bb.457:                              ;   in Loop: Header=BB534_400 Depth=2
	s_waitcnt lgkmcnt(0)
	v_bcnt_u32_b32 v37, v37, v188
	ds_store_b32 v190, v37
.LBB534_458:                            ;   in Loop: Header=BB534_400 Depth=2
	s_or_b32 exec_lo, exec_lo, s17
	v_xor_b32_e32 v187, 0x7fffffff, v41
	; wave barrier
	s_delay_alu instid0(VALU_DEP_1) | instskip(NEXT) | instid1(VALU_DEP_1)
	v_lshrrev_b32_e32 v37, s38, v187
	v_and_b32_e32 v37, s39, v37
	s_delay_alu instid0(VALU_DEP_1)
	v_and_b32_e32 v41, 1, v37
	v_lshlrev_b32_e32 v42, 30, v37
	v_lshlrev_b32_e32 v43, 29, v37
	;; [unrolled: 1-line block ×4, first 2 shown]
	v_add_co_u32 v41, s17, v41, -1
	s_delay_alu instid0(VALU_DEP_1)
	v_cndmask_b32_e64 v192, 0, 1, s17
	v_not_b32_e32 v196, v42
	v_cmp_gt_i32_e64 s17, 0, v42
	v_not_b32_e32 v42, v43
	v_lshlrev_b32_e32 v194, 26, v37
	v_cmp_ne_u32_e32 vcc_lo, 0, v192
	v_ashrrev_i32_e32 v196, 31, v196
	v_lshlrev_b32_e32 v195, 25, v37
	v_ashrrev_i32_e32 v42, 31, v42
	v_lshlrev_b32_e32 v192, 24, v37
	v_xor_b32_e32 v41, vcc_lo, v41
	v_cmp_gt_i32_e32 vcc_lo, 0, v43
	v_not_b32_e32 v43, v191
	v_xor_b32_e32 v196, s17, v196
	v_cmp_gt_i32_e64 s17, 0, v191
	v_and_b32_e32 v41, exec_lo, v41
	v_not_b32_e32 v191, v193
	v_ashrrev_i32_e32 v43, 31, v43
	v_xor_b32_e32 v42, vcc_lo, v42
	v_cmp_gt_i32_e32 vcc_lo, 0, v193
	v_and_b32_e32 v41, v41, v196
	v_not_b32_e32 v193, v194
	v_ashrrev_i32_e32 v191, 31, v191
	v_xor_b32_e32 v43, s17, v43
	v_cmp_gt_i32_e64 s17, 0, v194
	v_and_b32_e32 v41, v41, v42
	v_not_b32_e32 v42, v195
	v_ashrrev_i32_e32 v193, 31, v193
	v_xor_b32_e32 v191, vcc_lo, v191
	v_cmp_gt_i32_e32 vcc_lo, 0, v195
	v_and_b32_e32 v41, v41, v43
	v_not_b32_e32 v43, v192
	v_ashrrev_i32_e32 v42, 31, v42
	v_xor_b32_e32 v193, s17, v193
	v_mul_u32_u24_e32 v37, 9, v37
	v_and_b32_e32 v41, v41, v191
	v_cmp_gt_i32_e64 s17, 0, v192
	v_ashrrev_i32_e32 v43, 31, v43
	v_xor_b32_e32 v42, vcc_lo, v42
	v_add_lshl_u32 v191, v37, v128, 2
	v_and_b32_e32 v41, v41, v193
	s_delay_alu instid0(VALU_DEP_4) | instskip(SKIP_3) | instid1(VALU_DEP_2)
	v_xor_b32_e32 v37, s17, v43
	ds_load_b32 v192, v191 offset:1056
	v_and_b32_e32 v41, v41, v42
	v_add_nc_u32_e32 v194, 0x420, v191
	; wave barrier
	v_and_b32_e32 v37, v41, v37
	s_delay_alu instid0(VALU_DEP_1) | instskip(SKIP_1) | instid1(VALU_DEP_2)
	v_mbcnt_lo_u32_b32 v193, v37, 0
	v_cmp_ne_u32_e64 s17, 0, v37
	v_cmp_eq_u32_e32 vcc_lo, 0, v193
	s_delay_alu instid0(VALU_DEP_2) | instskip(NEXT) | instid1(SALU_CYCLE_1)
	s_and_b32 s18, s17, vcc_lo
	s_and_saveexec_b32 s17, s18
	s_cbranch_execz .LBB534_460
; %bb.459:                              ;   in Loop: Header=BB534_400 Depth=2
	s_waitcnt lgkmcnt(0)
	v_bcnt_u32_b32 v37, v37, v192
	ds_store_b32 v194, v37
.LBB534_460:                            ;   in Loop: Header=BB534_400 Depth=2
	s_or_b32 exec_lo, exec_lo, s17
	v_xor_b32_e32 v191, 0x7fffffff, v40
	; wave barrier
	s_delay_alu instid0(VALU_DEP_1) | instskip(NEXT) | instid1(VALU_DEP_1)
	v_lshrrev_b32_e32 v37, s38, v191
	v_and_b32_e32 v37, s39, v37
	s_delay_alu instid0(VALU_DEP_1)
	v_and_b32_e32 v40, 1, v37
	v_lshlrev_b32_e32 v41, 30, v37
	v_lshlrev_b32_e32 v42, 29, v37
	;; [unrolled: 1-line block ×4, first 2 shown]
	v_add_co_u32 v40, s17, v40, -1
	s_delay_alu instid0(VALU_DEP_1)
	v_cndmask_b32_e64 v195, 0, 1, s17
	v_not_b32_e32 v199, v41
	v_cmp_gt_i32_e64 s17, 0, v41
	v_not_b32_e32 v41, v42
	v_lshlrev_b32_e32 v197, 26, v37
	v_cmp_ne_u32_e32 vcc_lo, 0, v195
	v_ashrrev_i32_e32 v199, 31, v199
	v_lshlrev_b32_e32 v198, 25, v37
	v_ashrrev_i32_e32 v41, 31, v41
	v_lshlrev_b32_e32 v195, 24, v37
	v_xor_b32_e32 v40, vcc_lo, v40
	v_cmp_gt_i32_e32 vcc_lo, 0, v42
	v_not_b32_e32 v42, v43
	v_xor_b32_e32 v199, s17, v199
	v_cmp_gt_i32_e64 s17, 0, v43
	v_and_b32_e32 v40, exec_lo, v40
	v_not_b32_e32 v43, v196
	v_ashrrev_i32_e32 v42, 31, v42
	v_xor_b32_e32 v41, vcc_lo, v41
	v_cmp_gt_i32_e32 vcc_lo, 0, v196
	v_and_b32_e32 v40, v40, v199
	v_not_b32_e32 v196, v197
	v_ashrrev_i32_e32 v43, 31, v43
	v_xor_b32_e32 v42, s17, v42
	v_cmp_gt_i32_e64 s17, 0, v197
	v_and_b32_e32 v40, v40, v41
	v_not_b32_e32 v41, v198
	v_ashrrev_i32_e32 v196, 31, v196
	v_xor_b32_e32 v43, vcc_lo, v43
	v_cmp_gt_i32_e32 vcc_lo, 0, v198
	v_and_b32_e32 v40, v40, v42
	v_not_b32_e32 v42, v195
	v_ashrrev_i32_e32 v41, 31, v41
	v_xor_b32_e32 v196, s17, v196
	v_mul_u32_u24_e32 v37, 9, v37
	v_and_b32_e32 v40, v40, v43
	v_cmp_gt_i32_e64 s17, 0, v195
	v_ashrrev_i32_e32 v42, 31, v42
	v_xor_b32_e32 v41, vcc_lo, v41
	v_add_lshl_u32 v43, v37, v128, 2
	v_and_b32_e32 v40, v40, v196
	s_delay_alu instid0(VALU_DEP_4) | instskip(SKIP_3) | instid1(VALU_DEP_2)
	v_xor_b32_e32 v37, s17, v42
	ds_load_b32 v196, v43 offset:1056
	v_and_b32_e32 v40, v40, v41
	v_add_nc_u32_e32 v198, 0x420, v43
	; wave barrier
	v_and_b32_e32 v37, v40, v37
	s_delay_alu instid0(VALU_DEP_1) | instskip(SKIP_1) | instid1(VALU_DEP_2)
	v_mbcnt_lo_u32_b32 v197, v37, 0
	v_cmp_ne_u32_e64 s17, 0, v37
	v_cmp_eq_u32_e32 vcc_lo, 0, v197
	s_delay_alu instid0(VALU_DEP_2) | instskip(NEXT) | instid1(SALU_CYCLE_1)
	s_and_b32 s18, s17, vcc_lo
	s_and_saveexec_b32 s17, s18
	s_cbranch_execz .LBB534_462
; %bb.461:                              ;   in Loop: Header=BB534_400 Depth=2
	s_waitcnt lgkmcnt(0)
	v_bcnt_u32_b32 v37, v37, v196
	ds_store_b32 v198, v37
.LBB534_462:                            ;   in Loop: Header=BB534_400 Depth=2
	s_or_b32 exec_lo, exec_lo, s17
	v_xor_b32_e32 v195, 0x7fffffff, v39
	; wave barrier
	s_delay_alu instid0(VALU_DEP_1) | instskip(NEXT) | instid1(VALU_DEP_1)
	v_lshrrev_b32_e32 v37, s38, v195
	v_and_b32_e32 v37, s39, v37
	s_delay_alu instid0(VALU_DEP_1)
	v_and_b32_e32 v39, 1, v37
	v_lshlrev_b32_e32 v40, 30, v37
	v_lshlrev_b32_e32 v41, 29, v37
	;; [unrolled: 1-line block ×4, first 2 shown]
	v_add_co_u32 v39, s17, v39, -1
	s_delay_alu instid0(VALU_DEP_1)
	v_cndmask_b32_e64 v43, 0, 1, s17
	v_not_b32_e32 v202, v40
	v_cmp_gt_i32_e64 s17, 0, v40
	v_not_b32_e32 v40, v41
	v_lshlrev_b32_e32 v200, 26, v37
	v_cmp_ne_u32_e32 vcc_lo, 0, v43
	v_ashrrev_i32_e32 v202, 31, v202
	v_lshlrev_b32_e32 v201, 25, v37
	v_ashrrev_i32_e32 v40, 31, v40
	v_lshlrev_b32_e32 v43, 24, v37
	v_xor_b32_e32 v39, vcc_lo, v39
	v_cmp_gt_i32_e32 vcc_lo, 0, v41
	v_not_b32_e32 v41, v42
	v_xor_b32_e32 v202, s17, v202
	v_cmp_gt_i32_e64 s17, 0, v42
	v_and_b32_e32 v39, exec_lo, v39
	v_not_b32_e32 v42, v199
	v_ashrrev_i32_e32 v41, 31, v41
	v_xor_b32_e32 v40, vcc_lo, v40
	v_cmp_gt_i32_e32 vcc_lo, 0, v199
	v_and_b32_e32 v39, v39, v202
	v_not_b32_e32 v199, v200
	v_ashrrev_i32_e32 v42, 31, v42
	v_xor_b32_e32 v41, s17, v41
	v_cmp_gt_i32_e64 s17, 0, v200
	v_and_b32_e32 v39, v39, v40
	v_not_b32_e32 v40, v201
	v_ashrrev_i32_e32 v199, 31, v199
	v_xor_b32_e32 v42, vcc_lo, v42
	v_cmp_gt_i32_e32 vcc_lo, 0, v201
	v_and_b32_e32 v39, v39, v41
	v_not_b32_e32 v41, v43
	v_ashrrev_i32_e32 v40, 31, v40
	v_xor_b32_e32 v199, s17, v199
	v_mul_u32_u24_e32 v37, 9, v37
	v_and_b32_e32 v39, v39, v42
	v_cmp_gt_i32_e64 s17, 0, v43
	v_ashrrev_i32_e32 v41, 31, v41
	v_xor_b32_e32 v40, vcc_lo, v40
	v_add_lshl_u32 v42, v37, v128, 2
	v_and_b32_e32 v39, v39, v199
	s_delay_alu instid0(VALU_DEP_4) | instskip(SKIP_3) | instid1(VALU_DEP_2)
	v_xor_b32_e32 v37, s17, v41
	ds_load_b32 v200, v42 offset:1056
	v_and_b32_e32 v39, v39, v40
	v_add_nc_u32_e32 v202, 0x420, v42
	; wave barrier
	v_and_b32_e32 v37, v39, v37
	s_delay_alu instid0(VALU_DEP_1) | instskip(SKIP_1) | instid1(VALU_DEP_2)
	v_mbcnt_lo_u32_b32 v201, v37, 0
	v_cmp_ne_u32_e64 s17, 0, v37
	v_cmp_eq_u32_e32 vcc_lo, 0, v201
	s_delay_alu instid0(VALU_DEP_2) | instskip(NEXT) | instid1(SALU_CYCLE_1)
	s_and_b32 s18, s17, vcc_lo
	s_and_saveexec_b32 s17, s18
	s_cbranch_execz .LBB534_464
; %bb.463:                              ;   in Loop: Header=BB534_400 Depth=2
	s_waitcnt lgkmcnt(0)
	v_bcnt_u32_b32 v37, v37, v200
	ds_store_b32 v202, v37
.LBB534_464:                            ;   in Loop: Header=BB534_400 Depth=2
	s_or_b32 exec_lo, exec_lo, s17
	v_xor_b32_e32 v199, 0x7fffffff, v38
	; wave barrier
	s_delay_alu instid0(VALU_DEP_1) | instskip(NEXT) | instid1(VALU_DEP_1)
	v_lshrrev_b32_e32 v37, s38, v199
	v_and_b32_e32 v37, s39, v37
	s_delay_alu instid0(VALU_DEP_1)
	v_and_b32_e32 v38, 1, v37
	v_lshlrev_b32_e32 v39, 30, v37
	v_lshlrev_b32_e32 v40, 29, v37
	;; [unrolled: 1-line block ×4, first 2 shown]
	v_add_co_u32 v38, s17, v38, -1
	s_delay_alu instid0(VALU_DEP_1)
	v_cndmask_b32_e64 v42, 0, 1, s17
	v_not_b32_e32 v205, v39
	v_cmp_gt_i32_e64 s17, 0, v39
	v_not_b32_e32 v39, v40
	v_lshlrev_b32_e32 v203, 26, v37
	v_cmp_ne_u32_e32 vcc_lo, 0, v42
	v_ashrrev_i32_e32 v205, 31, v205
	v_lshlrev_b32_e32 v204, 25, v37
	v_ashrrev_i32_e32 v39, 31, v39
	v_lshlrev_b32_e32 v42, 24, v37
	v_xor_b32_e32 v38, vcc_lo, v38
	v_cmp_gt_i32_e32 vcc_lo, 0, v40
	v_not_b32_e32 v40, v41
	v_xor_b32_e32 v205, s17, v205
	v_cmp_gt_i32_e64 s17, 0, v41
	v_and_b32_e32 v38, exec_lo, v38
	v_not_b32_e32 v41, v43
	v_ashrrev_i32_e32 v40, 31, v40
	v_xor_b32_e32 v39, vcc_lo, v39
	v_cmp_gt_i32_e32 vcc_lo, 0, v43
	v_and_b32_e32 v38, v38, v205
	v_not_b32_e32 v43, v203
	v_ashrrev_i32_e32 v41, 31, v41
	v_xor_b32_e32 v40, s17, v40
	v_cmp_gt_i32_e64 s17, 0, v203
	v_and_b32_e32 v38, v38, v39
	v_not_b32_e32 v39, v204
	v_ashrrev_i32_e32 v43, 31, v43
	v_xor_b32_e32 v41, vcc_lo, v41
	v_cmp_gt_i32_e32 vcc_lo, 0, v204
	v_and_b32_e32 v38, v38, v40
	v_not_b32_e32 v40, v42
	v_ashrrev_i32_e32 v39, 31, v39
	v_xor_b32_e32 v43, s17, v43
	v_mul_u32_u24_e32 v37, 9, v37
	v_and_b32_e32 v38, v38, v41
	v_cmp_gt_i32_e64 s17, 0, v42
	v_ashrrev_i32_e32 v40, 31, v40
	v_xor_b32_e32 v39, vcc_lo, v39
	v_add_lshl_u32 v41, v37, v128, 2
	v_and_b32_e32 v38, v38, v43
	s_delay_alu instid0(VALU_DEP_4) | instskip(SKIP_3) | instid1(VALU_DEP_2)
	v_xor_b32_e32 v37, s17, v40
	ds_load_b32 v204, v41 offset:1056
	v_and_b32_e32 v38, v38, v39
	v_add_nc_u32_e32 v206, 0x420, v41
	; wave barrier
	v_and_b32_e32 v37, v38, v37
	s_delay_alu instid0(VALU_DEP_1) | instskip(SKIP_1) | instid1(VALU_DEP_2)
	v_mbcnt_lo_u32_b32 v205, v37, 0
	v_cmp_ne_u32_e64 s17, 0, v37
	v_cmp_eq_u32_e32 vcc_lo, 0, v205
	s_delay_alu instid0(VALU_DEP_2) | instskip(NEXT) | instid1(SALU_CYCLE_1)
	s_and_b32 s18, s17, vcc_lo
	s_and_saveexec_b32 s17, s18
	s_cbranch_execz .LBB534_466
; %bb.465:                              ;   in Loop: Header=BB534_400 Depth=2
	s_waitcnt lgkmcnt(0)
	v_bcnt_u32_b32 v37, v37, v204
	ds_store_b32 v206, v37
.LBB534_466:                            ;   in Loop: Header=BB534_400 Depth=2
	s_or_b32 exec_lo, exec_lo, s17
	v_xor_b32_e32 v203, 0x7fffffff, v36
	; wave barrier
	s_delay_alu instid0(VALU_DEP_1) | instskip(NEXT) | instid1(VALU_DEP_1)
	v_lshrrev_b32_e32 v36, s38, v203
	v_and_b32_e32 v36, s39, v36
	s_delay_alu instid0(VALU_DEP_1)
	v_and_b32_e32 v37, 1, v36
	v_lshlrev_b32_e32 v38, 30, v36
	v_lshlrev_b32_e32 v39, 29, v36
	;; [unrolled: 1-line block ×4, first 2 shown]
	v_add_co_u32 v37, s17, v37, -1
	s_delay_alu instid0(VALU_DEP_1)
	v_cndmask_b32_e64 v41, 0, 1, s17
	v_not_b32_e32 v208, v38
	v_cmp_gt_i32_e64 s17, 0, v38
	v_not_b32_e32 v38, v39
	v_lshlrev_b32_e32 v43, 26, v36
	v_cmp_ne_u32_e32 vcc_lo, 0, v41
	v_ashrrev_i32_e32 v208, 31, v208
	v_lshlrev_b32_e32 v207, 25, v36
	v_ashrrev_i32_e32 v38, 31, v38
	v_lshlrev_b32_e32 v41, 24, v36
	v_xor_b32_e32 v37, vcc_lo, v37
	v_cmp_gt_i32_e32 vcc_lo, 0, v39
	v_not_b32_e32 v39, v40
	v_xor_b32_e32 v208, s17, v208
	v_cmp_gt_i32_e64 s17, 0, v40
	v_and_b32_e32 v37, exec_lo, v37
	v_not_b32_e32 v40, v42
	v_ashrrev_i32_e32 v39, 31, v39
	v_xor_b32_e32 v38, vcc_lo, v38
	v_cmp_gt_i32_e32 vcc_lo, 0, v42
	v_and_b32_e32 v37, v37, v208
	v_not_b32_e32 v42, v43
	v_ashrrev_i32_e32 v40, 31, v40
	v_xor_b32_e32 v39, s17, v39
	v_cmp_gt_i32_e64 s17, 0, v43
	v_and_b32_e32 v37, v37, v38
	v_not_b32_e32 v38, v207
	v_ashrrev_i32_e32 v42, 31, v42
	v_xor_b32_e32 v40, vcc_lo, v40
	v_cmp_gt_i32_e32 vcc_lo, 0, v207
	v_and_b32_e32 v37, v37, v39
	v_not_b32_e32 v39, v41
	v_ashrrev_i32_e32 v38, 31, v38
	v_xor_b32_e32 v42, s17, v42
	v_mul_u32_u24_e32 v36, 9, v36
	v_and_b32_e32 v37, v37, v40
	v_cmp_gt_i32_e64 s17, 0, v41
	v_ashrrev_i32_e32 v39, 31, v39
	v_xor_b32_e32 v38, vcc_lo, v38
	v_add_lshl_u32 v40, v36, v128, 2
	v_and_b32_e32 v37, v37, v42
	s_delay_alu instid0(VALU_DEP_4) | instskip(SKIP_3) | instid1(VALU_DEP_2)
	v_xor_b32_e32 v36, s17, v39
	ds_load_b32 v207, v40 offset:1056
	v_and_b32_e32 v37, v37, v38
	v_add_nc_u32_e32 v209, 0x420, v40
	; wave barrier
	v_and_b32_e32 v36, v37, v36
	s_delay_alu instid0(VALU_DEP_1) | instskip(SKIP_1) | instid1(VALU_DEP_2)
	v_mbcnt_lo_u32_b32 v208, v36, 0
	v_cmp_ne_u32_e64 s17, 0, v36
	v_cmp_eq_u32_e32 vcc_lo, 0, v208
	s_delay_alu instid0(VALU_DEP_2) | instskip(NEXT) | instid1(SALU_CYCLE_1)
	s_and_b32 s18, s17, vcc_lo
	s_and_saveexec_b32 s17, s18
	s_cbranch_execz .LBB534_468
; %bb.467:                              ;   in Loop: Header=BB534_400 Depth=2
	s_waitcnt lgkmcnt(0)
	v_bcnt_u32_b32 v36, v36, v207
	ds_store_b32 v209, v36
.LBB534_468:                            ;   in Loop: Header=BB534_400 Depth=2
	s_or_b32 exec_lo, exec_lo, s17
	; wave barrier
	s_waitcnt lgkmcnt(0)
	s_barrier
	buffer_gl0_inv
	ds_load_b32 v210, v70 offset:1056
	ds_load_2addr_b32 v[42:43], v71 offset0:1 offset1:2
	ds_load_2addr_b32 v[40:41], v71 offset0:3 offset1:4
	;; [unrolled: 1-line block ×4, first 2 shown]
	s_waitcnt lgkmcnt(3)
	v_add3_u32 v211, v42, v210, v43
	s_waitcnt lgkmcnt(2)
	s_delay_alu instid0(VALU_DEP_1) | instskip(SKIP_1) | instid1(VALU_DEP_1)
	v_add3_u32 v211, v211, v40, v41
	s_waitcnt lgkmcnt(1)
	v_add3_u32 v211, v211, v36, v37
	s_waitcnt lgkmcnt(0)
	s_delay_alu instid0(VALU_DEP_1) | instskip(NEXT) | instid1(VALU_DEP_1)
	v_add3_u32 v39, v211, v38, v39
	v_mov_b32_dpp v211, v39 row_shr:1 row_mask:0xf bank_mask:0xf
	s_delay_alu instid0(VALU_DEP_1) | instskip(NEXT) | instid1(VALU_DEP_1)
	v_cndmask_b32_e64 v211, v211, 0, s0
	v_add_nc_u32_e32 v39, v211, v39
	s_delay_alu instid0(VALU_DEP_1) | instskip(NEXT) | instid1(VALU_DEP_1)
	v_mov_b32_dpp v211, v39 row_shr:2 row_mask:0xf bank_mask:0xf
	v_cndmask_b32_e64 v211, 0, v211, s1
	s_delay_alu instid0(VALU_DEP_1) | instskip(NEXT) | instid1(VALU_DEP_1)
	v_add_nc_u32_e32 v39, v39, v211
	v_mov_b32_dpp v211, v39 row_shr:4 row_mask:0xf bank_mask:0xf
	s_delay_alu instid0(VALU_DEP_1) | instskip(NEXT) | instid1(VALU_DEP_1)
	v_cndmask_b32_e64 v211, 0, v211, s8
	v_add_nc_u32_e32 v39, v39, v211
	s_delay_alu instid0(VALU_DEP_1) | instskip(NEXT) | instid1(VALU_DEP_1)
	v_mov_b32_dpp v211, v39 row_shr:8 row_mask:0xf bank_mask:0xf
	v_cndmask_b32_e64 v211, 0, v211, s9
	s_delay_alu instid0(VALU_DEP_1) | instskip(SKIP_3) | instid1(VALU_DEP_1)
	v_add_nc_u32_e32 v39, v39, v211
	ds_swizzle_b32 v211, v39 offset:swizzle(BROADCAST,32,15)
	s_waitcnt lgkmcnt(0)
	v_cndmask_b32_e64 v211, v211, 0, s10
	v_add_nc_u32_e32 v39, v39, v211
	s_and_saveexec_b32 s17, s3
	s_cbranch_execz .LBB534_470
; %bb.469:                              ;   in Loop: Header=BB534_400 Depth=2
	ds_store_b32 v62, v39 offset:1024
.LBB534_470:                            ;   in Loop: Header=BB534_400 Depth=2
	s_or_b32 exec_lo, exec_lo, s17
	s_waitcnt lgkmcnt(0)
	s_barrier
	buffer_gl0_inv
	s_and_saveexec_b32 s17, s4
	s_cbranch_execz .LBB534_472
; %bb.471:                              ;   in Loop: Header=BB534_400 Depth=2
	v_add_nc_u32_e32 v211, v70, v72
	ds_load_b32 v212, v211 offset:1024
	s_waitcnt lgkmcnt(0)
	v_mov_b32_dpp v213, v212 row_shr:1 row_mask:0xf bank_mask:0xf
	s_delay_alu instid0(VALU_DEP_1) | instskip(NEXT) | instid1(VALU_DEP_1)
	v_cndmask_b32_e64 v213, v213, 0, s12
	v_add_nc_u32_e32 v212, v213, v212
	s_delay_alu instid0(VALU_DEP_1) | instskip(NEXT) | instid1(VALU_DEP_1)
	v_mov_b32_dpp v213, v212 row_shr:2 row_mask:0xf bank_mask:0xf
	v_cndmask_b32_e64 v213, 0, v213, s13
	s_delay_alu instid0(VALU_DEP_1) | instskip(NEXT) | instid1(VALU_DEP_1)
	v_add_nc_u32_e32 v212, v212, v213
	v_mov_b32_dpp v213, v212 row_shr:4 row_mask:0xf bank_mask:0xf
	s_delay_alu instid0(VALU_DEP_1) | instskip(NEXT) | instid1(VALU_DEP_1)
	v_cndmask_b32_e64 v213, 0, v213, s16
	v_add_nc_u32_e32 v212, v212, v213
	ds_store_b32 v211, v212 offset:1024
.LBB534_472:                            ;   in Loop: Header=BB534_400 Depth=2
	s_or_b32 exec_lo, exec_lo, s17
	v_mov_b32_e32 v211, 0
	s_waitcnt lgkmcnt(0)
	s_barrier
	buffer_gl0_inv
	s_and_saveexec_b32 s17, s5
	s_cbranch_execz .LBB534_474
; %bb.473:                              ;   in Loop: Header=BB534_400 Depth=2
	ds_load_b32 v211, v62 offset:1020
.LBB534_474:                            ;   in Loop: Header=BB534_400 Depth=2
	s_or_b32 exec_lo, exec_lo, s17
	s_waitcnt lgkmcnt(0)
	v_add_nc_u32_e32 v39, v211, v39
	ds_bpermute_b32 v39, v107, v39
	s_waitcnt lgkmcnt(0)
	v_cndmask_b32_e64 v39, v39, v211, s11
	s_delay_alu instid0(VALU_DEP_1) | instskip(NEXT) | instid1(VALU_DEP_1)
	v_cndmask_b32_e64 v39, v39, 0, s6
	v_add_nc_u32_e32 v210, v39, v210
	s_delay_alu instid0(VALU_DEP_1) | instskip(NEXT) | instid1(VALU_DEP_1)
	v_add_nc_u32_e32 v42, v210, v42
	v_add_nc_u32_e32 v43, v42, v43
	s_delay_alu instid0(VALU_DEP_1) | instskip(NEXT) | instid1(VALU_DEP_1)
	v_add_nc_u32_e32 v40, v43, v40
	;; [unrolled: 3-line block ×3, first 2 shown]
	v_add_nc_u32_e32 v37, v36, v37
	s_delay_alu instid0(VALU_DEP_1)
	v_add_nc_u32_e32 v38, v37, v38
	ds_store_b32 v70, v39 offset:1056
	ds_store_2addr_b32 v71, v210, v42 offset0:1 offset1:2
	ds_store_2addr_b32 v71, v43, v40 offset0:3 offset1:4
	;; [unrolled: 1-line block ×4, first 2 shown]
	v_mov_b32_e32 v38, 0x1000
	s_waitcnt lgkmcnt(0)
	s_barrier
	buffer_gl0_inv
	ds_load_b32 v39, v154
	ds_load_b32 v40, v158
	;; [unrolled: 1-line block ×16, first 2 shown]
	ds_load_b32 v158, v70 offset:1056
	s_and_saveexec_b32 s17, s7
	s_cbranch_execz .LBB534_476
; %bb.475:                              ;   in Loop: Header=BB534_400 Depth=2
	ds_load_b32 v38, v73 offset:1056
.LBB534_476:                            ;   in Loop: Header=BB534_400 Depth=2
	s_or_b32 exec_lo, exec_lo, s17
	s_waitcnt lgkmcnt(0)
	s_barrier
	buffer_gl0_inv
	s_and_saveexec_b32 s17, s2
	s_cbranch_execz .LBB534_478
; %bb.477:                              ;   in Loop: Header=BB534_400 Depth=2
	ds_load_b32 v162, v44
	s_waitcnt lgkmcnt(0)
	v_sub_nc_u32_e32 v158, v162, v158
	ds_store_b32 v44, v158
.LBB534_478:                            ;   in Loop: Header=BB534_400 Depth=2
	s_or_b32 exec_lo, exec_lo, s17
	v_add_nc_u32_e32 v170, v150, v149
	v_add3_u32 v166, v153, v152, v39
	v_add3_u32 v162, v157, v156, v40
	;; [unrolled: 1-line block ×5, first 2 shown]
	v_lshlrev_b32_e32 v160, 2, v170
	v_add3_u32 v43, v201, v200, v36
	v_lshlrev_b32_e32 v36, 2, v166
	v_add3_u32 v154, v174, v173, v175
	v_add3_u32 v153, v177, v176, v178
	ds_store_b32 v160, v2 offset:1024
	v_lshlrev_b32_e32 v2, 2, v162
	ds_store_b32 v36, v148 offset:1024
	v_lshlrev_b32_e32 v36, 2, v156
	v_add3_u32 v152, v181, v180, v182
	v_add3_u32 v42, v205, v204, v37
	v_lshlrev_b32_e32 v37, 2, v158
	v_add3_u32 v150, v185, v184, v186
	v_lshlrev_b32_e32 v160, 2, v157
	v_add3_u32 v149, v189, v188, v190
	v_add3_u32 v40, v193, v192, v194
	ds_store_b32 v2, v151 offset:1024
	ds_store_b32 v37, v155 offset:1024
	;; [unrolled: 1-line block ×3, first 2 shown]
	v_lshlrev_b32_e32 v2, 2, v154
	ds_store_b32 v36, v163 offset:1024
	v_lshlrev_b32_e32 v36, 2, v153
	v_lshlrev_b32_e32 v37, 2, v152
	v_lshlrev_b32_e32 v148, 2, v150
	v_add3_u32 v39, v197, v196, v198
	v_add3_u32 v41, v208, v207, v41
	ds_store_b32 v2, v167 offset:1024
	v_lshlrev_b32_e32 v2, 2, v149
	ds_store_b32 v36, v172 offset:1024
	ds_store_b32 v37, v171 offset:1024
	;; [unrolled: 1-line block ×3, first 2 shown]
	v_lshlrev_b32_e32 v36, 2, v40
	v_cmp_lt_u32_e32 vcc_lo, v1, v147
	v_lshlrev_b32_e32 v37, 2, v43
	ds_store_b32 v2, v183 offset:1024
	v_lshlrev_b32_e32 v2, 2, v39
	ds_store_b32 v36, v187 offset:1024
	v_lshlrev_b32_e32 v36, 2, v41
	v_lshlrev_b32_e32 v148, 2, v42
	ds_store_b32 v2, v191 offset:1024
	ds_store_b32 v37, v195 offset:1024
	;; [unrolled: 1-line block ×4, first 2 shown]
	s_waitcnt lgkmcnt(0)
	s_barrier
	buffer_gl0_inv
	s_and_saveexec_b32 s18, vcc_lo
	s_cbranch_execz .LBB534_494
; %bb.479:                              ;   in Loop: Header=BB534_400 Depth=2
	v_add_nc_u32_e32 v2, v70, v72
	ds_load_b32 v148, v2 offset:1024
	s_waitcnt lgkmcnt(0)
	v_lshrrev_b32_e32 v2, s38, v148
	s_delay_alu instid0(VALU_DEP_1) | instskip(NEXT) | instid1(VALU_DEP_1)
	v_and_b32_e32 v2, s39, v2
	v_lshlrev_b32_e32 v2, 2, v2
	ds_load_b32 v2, v2
	s_waitcnt lgkmcnt(0)
	v_add_nc_u32_e32 v2, v2, v1
	s_delay_alu instid0(VALU_DEP_1) | instskip(SKIP_1) | instid1(VALU_DEP_2)
	v_lshlrev_b64 v[36:37], 2, v[2:3]
	v_xor_b32_e32 v2, 0x7fffffff, v148
	v_add_co_u32 v36, s17, s48, v36
	s_delay_alu instid0(VALU_DEP_1) | instskip(SKIP_3) | instid1(VALU_DEP_1)
	v_add_co_ci_u32_e64 v37, s17, s49, v37, s17
	global_store_b32 v[36:37], v2, off
	s_or_b32 exec_lo, exec_lo, s18
	v_cmp_lt_u32_e64 s17, v45, v147
	s_and_saveexec_b32 s19, s17
	s_cbranch_execnz .LBB534_495
.LBB534_480:                            ;   in Loop: Header=BB534_400 Depth=2
	s_or_b32 exec_lo, exec_lo, s19
	v_cmp_lt_u32_e64 s18, v46, v147
	s_delay_alu instid0(VALU_DEP_1)
	s_and_saveexec_b32 s20, s18
	s_cbranch_execz .LBB534_496
.LBB534_481:                            ;   in Loop: Header=BB534_400 Depth=2
	ds_load_b32 v148, v78 offset:2048
	s_waitcnt lgkmcnt(0)
	v_lshrrev_b32_e32 v2, s38, v148
	s_delay_alu instid0(VALU_DEP_1) | instskip(NEXT) | instid1(VALU_DEP_1)
	v_and_b32_e32 v2, s39, v2
	v_lshlrev_b32_e32 v2, 2, v2
	ds_load_b32 v2, v2
	s_waitcnt lgkmcnt(0)
	v_add_nc_u32_e32 v2, v2, v46
	s_delay_alu instid0(VALU_DEP_1) | instskip(SKIP_1) | instid1(VALU_DEP_2)
	v_lshlrev_b64 v[36:37], 2, v[2:3]
	v_xor_b32_e32 v2, 0x7fffffff, v148
	v_add_co_u32 v36, s19, s48, v36
	s_delay_alu instid0(VALU_DEP_1) | instskip(SKIP_3) | instid1(VALU_DEP_1)
	v_add_co_ci_u32_e64 v37, s19, s49, v37, s19
	global_store_b32 v[36:37], v2, off
	s_or_b32 exec_lo, exec_lo, s20
	v_cmp_lt_u32_e64 s19, v47, v147
	s_and_saveexec_b32 s21, s19
	s_cbranch_execnz .LBB534_497
.LBB534_482:                            ;   in Loop: Header=BB534_400 Depth=2
	s_or_b32 exec_lo, exec_lo, s21
	v_cmp_lt_u32_e64 s20, v51, v147
	s_delay_alu instid0(VALU_DEP_1)
	s_and_saveexec_b32 s22, s20
	s_cbranch_execz .LBB534_498
.LBB534_483:                            ;   in Loop: Header=BB534_400 Depth=2
	ds_load_b32 v148, v78 offset:4096
	s_waitcnt lgkmcnt(0)
	v_lshrrev_b32_e32 v2, s38, v148
	s_delay_alu instid0(VALU_DEP_1) | instskip(NEXT) | instid1(VALU_DEP_1)
	v_and_b32_e32 v2, s39, v2
	v_lshlrev_b32_e32 v2, 2, v2
	ds_load_b32 v2, v2
	s_waitcnt lgkmcnt(0)
	v_add_nc_u32_e32 v2, v2, v51
	s_delay_alu instid0(VALU_DEP_1) | instskip(SKIP_1) | instid1(VALU_DEP_2)
	v_lshlrev_b64 v[36:37], 2, v[2:3]
	v_xor_b32_e32 v2, 0x7fffffff, v148
	v_add_co_u32 v36, s21, s48, v36
	s_delay_alu instid0(VALU_DEP_1) | instskip(SKIP_3) | instid1(VALU_DEP_1)
	v_add_co_ci_u32_e64 v37, s21, s49, v37, s21
	global_store_b32 v[36:37], v2, off
	s_or_b32 exec_lo, exec_lo, s22
	v_cmp_lt_u32_e64 s21, v52, v147
	s_and_saveexec_b32 s23, s21
	s_cbranch_execnz .LBB534_499
.LBB534_484:                            ;   in Loop: Header=BB534_400 Depth=2
	s_or_b32 exec_lo, exec_lo, s23
	v_cmp_lt_u32_e64 s22, v53, v147
	s_delay_alu instid0(VALU_DEP_1)
	s_and_saveexec_b32 s24, s22
	s_cbranch_execz .LBB534_500
.LBB534_485:                            ;   in Loop: Header=BB534_400 Depth=2
	ds_load_b32 v148, v78 offset:6144
	s_waitcnt lgkmcnt(0)
	v_lshrrev_b32_e32 v2, s38, v148
	s_delay_alu instid0(VALU_DEP_1) | instskip(NEXT) | instid1(VALU_DEP_1)
	v_and_b32_e32 v2, s39, v2
	v_lshlrev_b32_e32 v2, 2, v2
	ds_load_b32 v2, v2
	s_waitcnt lgkmcnt(0)
	v_add_nc_u32_e32 v2, v2, v53
	s_delay_alu instid0(VALU_DEP_1) | instskip(SKIP_1) | instid1(VALU_DEP_2)
	v_lshlrev_b64 v[36:37], 2, v[2:3]
	v_xor_b32_e32 v2, 0x7fffffff, v148
	v_add_co_u32 v36, s23, s48, v36
	s_delay_alu instid0(VALU_DEP_1) | instskip(SKIP_3) | instid1(VALU_DEP_1)
	v_add_co_ci_u32_e64 v37, s23, s49, v37, s23
	global_store_b32 v[36:37], v2, off
	s_or_b32 exec_lo, exec_lo, s24
	v_cmp_lt_u32_e64 s23, v54, v147
	s_and_saveexec_b32 s25, s23
	s_cbranch_execnz .LBB534_501
.LBB534_486:                            ;   in Loop: Header=BB534_400 Depth=2
	s_or_b32 exec_lo, exec_lo, s25
	v_cmp_lt_u32_e64 s24, v55, v147
	s_delay_alu instid0(VALU_DEP_1)
	s_and_saveexec_b32 s26, s24
	s_cbranch_execz .LBB534_502
.LBB534_487:                            ;   in Loop: Header=BB534_400 Depth=2
	ds_load_b32 v148, v78 offset:8192
	s_waitcnt lgkmcnt(0)
	v_lshrrev_b32_e32 v2, s38, v148
	s_delay_alu instid0(VALU_DEP_1) | instskip(NEXT) | instid1(VALU_DEP_1)
	v_and_b32_e32 v2, s39, v2
	v_lshlrev_b32_e32 v2, 2, v2
	ds_load_b32 v2, v2
	s_waitcnt lgkmcnt(0)
	v_add_nc_u32_e32 v2, v2, v55
	s_delay_alu instid0(VALU_DEP_1) | instskip(SKIP_1) | instid1(VALU_DEP_2)
	v_lshlrev_b64 v[36:37], 2, v[2:3]
	v_xor_b32_e32 v2, 0x7fffffff, v148
	v_add_co_u32 v36, s25, s48, v36
	s_delay_alu instid0(VALU_DEP_1) | instskip(SKIP_3) | instid1(VALU_DEP_1)
	v_add_co_ci_u32_e64 v37, s25, s49, v37, s25
	global_store_b32 v[36:37], v2, off
	s_or_b32 exec_lo, exec_lo, s26
	v_cmp_lt_u32_e64 s25, v56, v147
	s_and_saveexec_b32 s27, s25
	s_cbranch_execnz .LBB534_503
.LBB534_488:                            ;   in Loop: Header=BB534_400 Depth=2
	s_or_b32 exec_lo, exec_lo, s27
	v_cmp_lt_u32_e64 s26, v57, v147
	s_delay_alu instid0(VALU_DEP_1)
	s_and_saveexec_b32 s28, s26
	s_cbranch_execz .LBB534_504
.LBB534_489:                            ;   in Loop: Header=BB534_400 Depth=2
	ds_load_b32 v148, v78 offset:10240
	s_waitcnt lgkmcnt(0)
	v_lshrrev_b32_e32 v2, s38, v148
	s_delay_alu instid0(VALU_DEP_1) | instskip(NEXT) | instid1(VALU_DEP_1)
	v_and_b32_e32 v2, s39, v2
	v_lshlrev_b32_e32 v2, 2, v2
	ds_load_b32 v2, v2
	s_waitcnt lgkmcnt(0)
	v_add_nc_u32_e32 v2, v2, v57
	s_delay_alu instid0(VALU_DEP_1) | instskip(SKIP_1) | instid1(VALU_DEP_2)
	v_lshlrev_b64 v[36:37], 2, v[2:3]
	v_xor_b32_e32 v2, 0x7fffffff, v148
	v_add_co_u32 v36, s27, s48, v36
	s_delay_alu instid0(VALU_DEP_1) | instskip(SKIP_3) | instid1(VALU_DEP_1)
	v_add_co_ci_u32_e64 v37, s27, s49, v37, s27
	global_store_b32 v[36:37], v2, off
	s_or_b32 exec_lo, exec_lo, s28
	v_cmp_lt_u32_e64 s27, v58, v147
	s_and_saveexec_b32 s29, s27
	s_cbranch_execnz .LBB534_505
.LBB534_490:                            ;   in Loop: Header=BB534_400 Depth=2
	s_or_b32 exec_lo, exec_lo, s29
	v_cmp_lt_u32_e64 s28, v59, v147
	s_delay_alu instid0(VALU_DEP_1)
	s_and_saveexec_b32 s30, s28
	s_cbranch_execz .LBB534_506
.LBB534_491:                            ;   in Loop: Header=BB534_400 Depth=2
	ds_load_b32 v148, v78 offset:12288
	s_waitcnt lgkmcnt(0)
	v_lshrrev_b32_e32 v2, s38, v148
	s_delay_alu instid0(VALU_DEP_1) | instskip(NEXT) | instid1(VALU_DEP_1)
	v_and_b32_e32 v2, s39, v2
	v_lshlrev_b32_e32 v2, 2, v2
	ds_load_b32 v2, v2
	s_waitcnt lgkmcnt(0)
	v_add_nc_u32_e32 v2, v2, v59
	s_delay_alu instid0(VALU_DEP_1) | instskip(SKIP_1) | instid1(VALU_DEP_2)
	v_lshlrev_b64 v[36:37], 2, v[2:3]
	v_xor_b32_e32 v2, 0x7fffffff, v148
	v_add_co_u32 v36, s29, s48, v36
	s_delay_alu instid0(VALU_DEP_1) | instskip(SKIP_3) | instid1(VALU_DEP_1)
	v_add_co_ci_u32_e64 v37, s29, s49, v37, s29
	global_store_b32 v[36:37], v2, off
	s_or_b32 exec_lo, exec_lo, s30
	v_cmp_lt_u32_e64 s29, v60, v147
	s_and_saveexec_b32 s31, s29
	s_cbranch_execnz .LBB534_507
.LBB534_492:                            ;   in Loop: Header=BB534_400 Depth=2
	s_or_b32 exec_lo, exec_lo, s31
	v_cmp_lt_u32_e64 s30, v61, v147
	s_delay_alu instid0(VALU_DEP_1)
	s_and_saveexec_b32 s33, s30
	s_cbranch_execz .LBB534_508
.LBB534_493:                            ;   in Loop: Header=BB534_400 Depth=2
	ds_load_b32 v148, v78 offset:14336
	s_waitcnt lgkmcnt(0)
	v_lshrrev_b32_e32 v2, s38, v148
	s_delay_alu instid0(VALU_DEP_1) | instskip(NEXT) | instid1(VALU_DEP_1)
	v_and_b32_e32 v2, s39, v2
	v_lshlrev_b32_e32 v2, 2, v2
	ds_load_b32 v2, v2
	s_waitcnt lgkmcnt(0)
	v_add_nc_u32_e32 v2, v2, v61
	s_delay_alu instid0(VALU_DEP_1) | instskip(SKIP_1) | instid1(VALU_DEP_2)
	v_lshlrev_b64 v[36:37], 2, v[2:3]
	v_xor_b32_e32 v2, 0x7fffffff, v148
	v_add_co_u32 v36, s31, s48, v36
	s_delay_alu instid0(VALU_DEP_1) | instskip(SKIP_3) | instid1(VALU_DEP_1)
	v_add_co_ci_u32_e64 v37, s31, s49, v37, s31
	global_store_b32 v[36:37], v2, off
	s_or_b32 exec_lo, exec_lo, s33
	v_cmp_lt_u32_e64 s31, v63, v147
	s_and_saveexec_b32 s42, s31
	s_cbranch_execnz .LBB534_509
	s_branch .LBB534_510
.LBB534_494:                            ;   in Loop: Header=BB534_400 Depth=2
	s_or_b32 exec_lo, exec_lo, s18
	v_cmp_lt_u32_e64 s17, v45, v147
	s_delay_alu instid0(VALU_DEP_1)
	s_and_saveexec_b32 s19, s17
	s_cbranch_execz .LBB534_480
.LBB534_495:                            ;   in Loop: Header=BB534_400 Depth=2
	ds_load_b32 v148, v78 offset:1024
	s_waitcnt lgkmcnt(0)
	v_lshrrev_b32_e32 v2, s38, v148
	s_delay_alu instid0(VALU_DEP_1) | instskip(NEXT) | instid1(VALU_DEP_1)
	v_and_b32_e32 v2, s39, v2
	v_lshlrev_b32_e32 v2, 2, v2
	ds_load_b32 v2, v2
	s_waitcnt lgkmcnt(0)
	v_add_nc_u32_e32 v2, v2, v45
	s_delay_alu instid0(VALU_DEP_1) | instskip(SKIP_1) | instid1(VALU_DEP_2)
	v_lshlrev_b64 v[36:37], 2, v[2:3]
	v_xor_b32_e32 v2, 0x7fffffff, v148
	v_add_co_u32 v36, s18, s48, v36
	s_delay_alu instid0(VALU_DEP_1) | instskip(SKIP_3) | instid1(VALU_DEP_1)
	v_add_co_ci_u32_e64 v37, s18, s49, v37, s18
	global_store_b32 v[36:37], v2, off
	s_or_b32 exec_lo, exec_lo, s19
	v_cmp_lt_u32_e64 s18, v46, v147
	s_and_saveexec_b32 s20, s18
	s_cbranch_execnz .LBB534_481
.LBB534_496:                            ;   in Loop: Header=BB534_400 Depth=2
	s_or_b32 exec_lo, exec_lo, s20
	v_cmp_lt_u32_e64 s19, v47, v147
	s_delay_alu instid0(VALU_DEP_1)
	s_and_saveexec_b32 s21, s19
	s_cbranch_execz .LBB534_482
.LBB534_497:                            ;   in Loop: Header=BB534_400 Depth=2
	ds_load_b32 v148, v78 offset:3072
	s_waitcnt lgkmcnt(0)
	v_lshrrev_b32_e32 v2, s38, v148
	s_delay_alu instid0(VALU_DEP_1) | instskip(NEXT) | instid1(VALU_DEP_1)
	v_and_b32_e32 v2, s39, v2
	v_lshlrev_b32_e32 v2, 2, v2
	ds_load_b32 v2, v2
	s_waitcnt lgkmcnt(0)
	v_add_nc_u32_e32 v2, v2, v47
	s_delay_alu instid0(VALU_DEP_1) | instskip(SKIP_1) | instid1(VALU_DEP_2)
	v_lshlrev_b64 v[36:37], 2, v[2:3]
	v_xor_b32_e32 v2, 0x7fffffff, v148
	v_add_co_u32 v36, s20, s48, v36
	s_delay_alu instid0(VALU_DEP_1) | instskip(SKIP_3) | instid1(VALU_DEP_1)
	v_add_co_ci_u32_e64 v37, s20, s49, v37, s20
	global_store_b32 v[36:37], v2, off
	s_or_b32 exec_lo, exec_lo, s21
	v_cmp_lt_u32_e64 s20, v51, v147
	s_and_saveexec_b32 s22, s20
	s_cbranch_execnz .LBB534_483
.LBB534_498:                            ;   in Loop: Header=BB534_400 Depth=2
	s_or_b32 exec_lo, exec_lo, s22
	v_cmp_lt_u32_e64 s21, v52, v147
	s_delay_alu instid0(VALU_DEP_1)
	s_and_saveexec_b32 s23, s21
	s_cbranch_execz .LBB534_484
.LBB534_499:                            ;   in Loop: Header=BB534_400 Depth=2
	ds_load_b32 v148, v78 offset:5120
	s_waitcnt lgkmcnt(0)
	v_lshrrev_b32_e32 v2, s38, v148
	s_delay_alu instid0(VALU_DEP_1) | instskip(NEXT) | instid1(VALU_DEP_1)
	v_and_b32_e32 v2, s39, v2
	v_lshlrev_b32_e32 v2, 2, v2
	ds_load_b32 v2, v2
	s_waitcnt lgkmcnt(0)
	v_add_nc_u32_e32 v2, v2, v52
	s_delay_alu instid0(VALU_DEP_1) | instskip(SKIP_1) | instid1(VALU_DEP_2)
	v_lshlrev_b64 v[36:37], 2, v[2:3]
	v_xor_b32_e32 v2, 0x7fffffff, v148
	v_add_co_u32 v36, s22, s48, v36
	s_delay_alu instid0(VALU_DEP_1) | instskip(SKIP_3) | instid1(VALU_DEP_1)
	v_add_co_ci_u32_e64 v37, s22, s49, v37, s22
	global_store_b32 v[36:37], v2, off
	s_or_b32 exec_lo, exec_lo, s23
	v_cmp_lt_u32_e64 s22, v53, v147
	s_and_saveexec_b32 s24, s22
	s_cbranch_execnz .LBB534_485
.LBB534_500:                            ;   in Loop: Header=BB534_400 Depth=2
	s_or_b32 exec_lo, exec_lo, s24
	v_cmp_lt_u32_e64 s23, v54, v147
	s_delay_alu instid0(VALU_DEP_1)
	s_and_saveexec_b32 s25, s23
	s_cbranch_execz .LBB534_486
.LBB534_501:                            ;   in Loop: Header=BB534_400 Depth=2
	ds_load_b32 v148, v78 offset:7168
	s_waitcnt lgkmcnt(0)
	v_lshrrev_b32_e32 v2, s38, v148
	s_delay_alu instid0(VALU_DEP_1) | instskip(NEXT) | instid1(VALU_DEP_1)
	v_and_b32_e32 v2, s39, v2
	v_lshlrev_b32_e32 v2, 2, v2
	ds_load_b32 v2, v2
	s_waitcnt lgkmcnt(0)
	v_add_nc_u32_e32 v2, v2, v54
	s_delay_alu instid0(VALU_DEP_1) | instskip(SKIP_1) | instid1(VALU_DEP_2)
	v_lshlrev_b64 v[36:37], 2, v[2:3]
	v_xor_b32_e32 v2, 0x7fffffff, v148
	v_add_co_u32 v36, s24, s48, v36
	s_delay_alu instid0(VALU_DEP_1) | instskip(SKIP_3) | instid1(VALU_DEP_1)
	v_add_co_ci_u32_e64 v37, s24, s49, v37, s24
	global_store_b32 v[36:37], v2, off
	s_or_b32 exec_lo, exec_lo, s25
	v_cmp_lt_u32_e64 s24, v55, v147
	s_and_saveexec_b32 s26, s24
	s_cbranch_execnz .LBB534_487
.LBB534_502:                            ;   in Loop: Header=BB534_400 Depth=2
	s_or_b32 exec_lo, exec_lo, s26
	v_cmp_lt_u32_e64 s25, v56, v147
	s_delay_alu instid0(VALU_DEP_1)
	s_and_saveexec_b32 s27, s25
	s_cbranch_execz .LBB534_488
.LBB534_503:                            ;   in Loop: Header=BB534_400 Depth=2
	ds_load_b32 v148, v78 offset:9216
	s_waitcnt lgkmcnt(0)
	v_lshrrev_b32_e32 v2, s38, v148
	s_delay_alu instid0(VALU_DEP_1) | instskip(NEXT) | instid1(VALU_DEP_1)
	v_and_b32_e32 v2, s39, v2
	v_lshlrev_b32_e32 v2, 2, v2
	ds_load_b32 v2, v2
	s_waitcnt lgkmcnt(0)
	v_add_nc_u32_e32 v2, v2, v56
	s_delay_alu instid0(VALU_DEP_1) | instskip(SKIP_1) | instid1(VALU_DEP_2)
	v_lshlrev_b64 v[36:37], 2, v[2:3]
	v_xor_b32_e32 v2, 0x7fffffff, v148
	v_add_co_u32 v36, s26, s48, v36
	s_delay_alu instid0(VALU_DEP_1) | instskip(SKIP_3) | instid1(VALU_DEP_1)
	v_add_co_ci_u32_e64 v37, s26, s49, v37, s26
	global_store_b32 v[36:37], v2, off
	s_or_b32 exec_lo, exec_lo, s27
	v_cmp_lt_u32_e64 s26, v57, v147
	s_and_saveexec_b32 s28, s26
	s_cbranch_execnz .LBB534_489
.LBB534_504:                            ;   in Loop: Header=BB534_400 Depth=2
	s_or_b32 exec_lo, exec_lo, s28
	v_cmp_lt_u32_e64 s27, v58, v147
	s_delay_alu instid0(VALU_DEP_1)
	s_and_saveexec_b32 s29, s27
	s_cbranch_execz .LBB534_490
.LBB534_505:                            ;   in Loop: Header=BB534_400 Depth=2
	ds_load_b32 v148, v78 offset:11264
	s_waitcnt lgkmcnt(0)
	v_lshrrev_b32_e32 v2, s38, v148
	s_delay_alu instid0(VALU_DEP_1) | instskip(NEXT) | instid1(VALU_DEP_1)
	v_and_b32_e32 v2, s39, v2
	v_lshlrev_b32_e32 v2, 2, v2
	ds_load_b32 v2, v2
	s_waitcnt lgkmcnt(0)
	v_add_nc_u32_e32 v2, v2, v58
	s_delay_alu instid0(VALU_DEP_1) | instskip(SKIP_1) | instid1(VALU_DEP_2)
	v_lshlrev_b64 v[36:37], 2, v[2:3]
	v_xor_b32_e32 v2, 0x7fffffff, v148
	v_add_co_u32 v36, s28, s48, v36
	s_delay_alu instid0(VALU_DEP_1) | instskip(SKIP_3) | instid1(VALU_DEP_1)
	v_add_co_ci_u32_e64 v37, s28, s49, v37, s28
	global_store_b32 v[36:37], v2, off
	s_or_b32 exec_lo, exec_lo, s29
	v_cmp_lt_u32_e64 s28, v59, v147
	s_and_saveexec_b32 s30, s28
	s_cbranch_execnz .LBB534_491
.LBB534_506:                            ;   in Loop: Header=BB534_400 Depth=2
	s_or_b32 exec_lo, exec_lo, s30
	v_cmp_lt_u32_e64 s29, v60, v147
	s_delay_alu instid0(VALU_DEP_1)
	s_and_saveexec_b32 s31, s29
	s_cbranch_execz .LBB534_492
.LBB534_507:                            ;   in Loop: Header=BB534_400 Depth=2
	ds_load_b32 v148, v78 offset:13312
	s_waitcnt lgkmcnt(0)
	v_lshrrev_b32_e32 v2, s38, v148
	s_delay_alu instid0(VALU_DEP_1) | instskip(NEXT) | instid1(VALU_DEP_1)
	v_and_b32_e32 v2, s39, v2
	v_lshlrev_b32_e32 v2, 2, v2
	ds_load_b32 v2, v2
	s_waitcnt lgkmcnt(0)
	v_add_nc_u32_e32 v2, v2, v60
	s_delay_alu instid0(VALU_DEP_1) | instskip(SKIP_1) | instid1(VALU_DEP_2)
	v_lshlrev_b64 v[36:37], 2, v[2:3]
	v_xor_b32_e32 v2, 0x7fffffff, v148
	v_add_co_u32 v36, s30, s48, v36
	s_delay_alu instid0(VALU_DEP_1) | instskip(SKIP_3) | instid1(VALU_DEP_1)
	v_add_co_ci_u32_e64 v37, s30, s49, v37, s30
	global_store_b32 v[36:37], v2, off
	s_or_b32 exec_lo, exec_lo, s31
	v_cmp_lt_u32_e64 s30, v61, v147
	s_and_saveexec_b32 s33, s30
	s_cbranch_execnz .LBB534_493
.LBB534_508:                            ;   in Loop: Header=BB534_400 Depth=2
	s_or_b32 exec_lo, exec_lo, s33
	v_cmp_lt_u32_e64 s31, v63, v147
	s_delay_alu instid0(VALU_DEP_1)
	s_and_saveexec_b32 s42, s31
	s_cbranch_execz .LBB534_510
.LBB534_509:                            ;   in Loop: Header=BB534_400 Depth=2
	ds_load_b32 v148, v78 offset:15360
	s_waitcnt lgkmcnt(0)
	v_lshrrev_b32_e32 v2, s38, v148
	s_delay_alu instid0(VALU_DEP_1) | instskip(NEXT) | instid1(VALU_DEP_1)
	v_and_b32_e32 v2, s39, v2
	v_lshlrev_b32_e32 v2, 2, v2
	ds_load_b32 v2, v2
	s_waitcnt lgkmcnt(0)
	v_add_nc_u32_e32 v2, v2, v63
	s_delay_alu instid0(VALU_DEP_1) | instskip(SKIP_1) | instid1(VALU_DEP_2)
	v_lshlrev_b64 v[36:37], 2, v[2:3]
	v_xor_b32_e32 v2, 0x7fffffff, v148
	v_add_co_u32 v36, s33, s48, v36
	s_delay_alu instid0(VALU_DEP_1)
	v_add_co_ci_u32_e64 v37, s33, s49, v37, s33
	global_store_b32 v[36:37], v2, off
.LBB534_510:                            ;   in Loop: Header=BB534_400 Depth=2
	s_or_b32 exec_lo, exec_lo, s42
	s_lshl_b64 s[42:43], s[34:35], 3
	s_delay_alu instid0(SALU_CYCLE_1) | instskip(NEXT) | instid1(VALU_DEP_1)
	v_add_co_u32 v36, s33, v109, s42
	v_add_co_ci_u32_e64 v37, s33, s43, v110, s33
	v_cmp_lt_u32_e64 s33, v108, v147
	s_delay_alu instid0(VALU_DEP_1) | instskip(NEXT) | instid1(SALU_CYCLE_1)
	s_and_saveexec_b32 s34, s33
	s_xor_b32 s33, exec_lo, s34
	s_cbranch_execz .LBB534_542
; %bb.511:                              ;   in Loop: Header=BB534_400 Depth=2
	global_load_b64 v[34:35], v[36:37], off
	s_or_b32 exec_lo, exec_lo, s33
	s_delay_alu instid0(SALU_CYCLE_1)
	s_mov_b32 s34, exec_lo
	v_cmpx_lt_u32_e64 v111, v147
	s_cbranch_execnz .LBB534_543
.LBB534_512:                            ;   in Loop: Header=BB534_400 Depth=2
	s_or_b32 exec_lo, exec_lo, s34
	s_delay_alu instid0(SALU_CYCLE_1)
	s_mov_b32 s34, exec_lo
	v_cmpx_lt_u32_e64 v112, v147
	s_cbranch_execz .LBB534_544
.LBB534_513:                            ;   in Loop: Header=BB534_400 Depth=2
	global_load_b64 v[30:31], v[36:37], off offset:512
	s_or_b32 exec_lo, exec_lo, s34
	s_delay_alu instid0(SALU_CYCLE_1)
	s_mov_b32 s34, exec_lo
	v_cmpx_lt_u32_e64 v113, v147
	s_cbranch_execnz .LBB534_545
.LBB534_514:                            ;   in Loop: Header=BB534_400 Depth=2
	s_or_b32 exec_lo, exec_lo, s34
	s_delay_alu instid0(SALU_CYCLE_1)
	s_mov_b32 s34, exec_lo
	v_cmpx_lt_u32_e64 v114, v147
	s_cbranch_execz .LBB534_546
.LBB534_515:                            ;   in Loop: Header=BB534_400 Depth=2
	global_load_b64 v[26:27], v[36:37], off offset:1024
	s_or_b32 exec_lo, exec_lo, s34
	s_delay_alu instid0(SALU_CYCLE_1)
	s_mov_b32 s34, exec_lo
	v_cmpx_lt_u32_e64 v115, v147
	s_cbranch_execnz .LBB534_547
.LBB534_516:                            ;   in Loop: Header=BB534_400 Depth=2
	s_or_b32 exec_lo, exec_lo, s34
	s_delay_alu instid0(SALU_CYCLE_1)
	s_mov_b32 s34, exec_lo
	v_cmpx_lt_u32_e64 v116, v147
	s_cbranch_execz .LBB534_548
.LBB534_517:                            ;   in Loop: Header=BB534_400 Depth=2
	global_load_b64 v[22:23], v[36:37], off offset:1536
	s_or_b32 exec_lo, exec_lo, s34
	s_delay_alu instid0(SALU_CYCLE_1)
	s_mov_b32 s34, exec_lo
	v_cmpx_lt_u32_e64 v117, v147
	s_cbranch_execnz .LBB534_549
.LBB534_518:                            ;   in Loop: Header=BB534_400 Depth=2
	s_or_b32 exec_lo, exec_lo, s34
	s_delay_alu instid0(SALU_CYCLE_1)
	s_mov_b32 s34, exec_lo
	v_cmpx_lt_u32_e64 v118, v147
	s_cbranch_execz .LBB534_550
.LBB534_519:                            ;   in Loop: Header=BB534_400 Depth=2
	global_load_b64 v[18:19], v[36:37], off offset:2048
	s_or_b32 exec_lo, exec_lo, s34
	s_delay_alu instid0(SALU_CYCLE_1)
	s_mov_b32 s34, exec_lo
	v_cmpx_lt_u32_e64 v119, v147
	s_cbranch_execnz .LBB534_551
.LBB534_520:                            ;   in Loop: Header=BB534_400 Depth=2
	s_or_b32 exec_lo, exec_lo, s34
	s_delay_alu instid0(SALU_CYCLE_1)
	s_mov_b32 s34, exec_lo
	v_cmpx_lt_u32_e64 v120, v147
	s_cbranch_execz .LBB534_552
.LBB534_521:                            ;   in Loop: Header=BB534_400 Depth=2
	global_load_b64 v[14:15], v[36:37], off offset:2560
	s_or_b32 exec_lo, exec_lo, s34
	s_delay_alu instid0(SALU_CYCLE_1)
	s_mov_b32 s34, exec_lo
	v_cmpx_lt_u32_e64 v121, v147
	s_cbranch_execnz .LBB534_553
.LBB534_522:                            ;   in Loop: Header=BB534_400 Depth=2
	s_or_b32 exec_lo, exec_lo, s34
	s_delay_alu instid0(SALU_CYCLE_1)
	s_mov_b32 s34, exec_lo
	v_cmpx_lt_u32_e64 v122, v147
	s_cbranch_execz .LBB534_554
.LBB534_523:                            ;   in Loop: Header=BB534_400 Depth=2
	global_load_b64 v[10:11], v[36:37], off offset:3072
	s_or_b32 exec_lo, exec_lo, s34
	s_delay_alu instid0(SALU_CYCLE_1)
	s_mov_b32 s34, exec_lo
	v_cmpx_lt_u32_e64 v123, v147
	s_cbranch_execnz .LBB534_555
.LBB534_524:                            ;   in Loop: Header=BB534_400 Depth=2
	s_or_b32 exec_lo, exec_lo, s34
	s_delay_alu instid0(SALU_CYCLE_1)
	s_mov_b32 s34, exec_lo
	v_cmpx_lt_u32_e64 v124, v147
	s_cbranch_execz .LBB534_556
.LBB534_525:                            ;   in Loop: Header=BB534_400 Depth=2
	global_load_b64 v[6:7], v[36:37], off offset:3584
	s_or_b32 exec_lo, exec_lo, s34
	s_delay_alu instid0(SALU_CYCLE_1)
	s_mov_b32 s34, exec_lo
	v_cmpx_lt_u32_e64 v125, v147
	s_cbranch_execnz .LBB534_557
.LBB534_526:                            ;   in Loop: Header=BB534_400 Depth=2
	s_or_b32 exec_lo, exec_lo, s34
	s_and_saveexec_b32 s33, vcc_lo
	s_cbranch_execz .LBB534_558
.LBB534_527:                            ;   in Loop: Header=BB534_400 Depth=2
	v_add_nc_u32_e32 v2, v70, v72
	ds_load_b32 v2, v2 offset:1024
	s_waitcnt lgkmcnt(0)
	v_lshrrev_b32_e32 v2, s38, v2
	s_delay_alu instid0(VALU_DEP_1)
	v_and_b32_e32 v146, s39, v2
	s_or_b32 exec_lo, exec_lo, s33
	s_and_saveexec_b32 s33, s17
	s_cbranch_execnz .LBB534_559
.LBB534_528:                            ;   in Loop: Header=BB534_400 Depth=2
	s_or_b32 exec_lo, exec_lo, s33
	s_and_saveexec_b32 s33, s18
	s_cbranch_execz .LBB534_560
.LBB534_529:                            ;   in Loop: Header=BB534_400 Depth=2
	ds_load_b32 v2, v78 offset:2048
	s_waitcnt lgkmcnt(0)
	v_lshrrev_b32_e32 v2, s38, v2
	s_delay_alu instid0(VALU_DEP_1)
	v_and_b32_e32 v144, s39, v2
	s_or_b32 exec_lo, exec_lo, s33
	s_and_saveexec_b32 s33, s19
	s_cbranch_execnz .LBB534_561
.LBB534_530:                            ;   in Loop: Header=BB534_400 Depth=2
	s_or_b32 exec_lo, exec_lo, s33
	s_and_saveexec_b32 s33, s20
	s_cbranch_execz .LBB534_562
.LBB534_531:                            ;   in Loop: Header=BB534_400 Depth=2
	ds_load_b32 v2, v78 offset:4096
	s_waitcnt lgkmcnt(0)
	v_lshrrev_b32_e32 v2, s38, v2
	s_delay_alu instid0(VALU_DEP_1)
	v_and_b32_e32 v142, s39, v2
	s_or_b32 exec_lo, exec_lo, s33
	s_and_saveexec_b32 s33, s21
	s_cbranch_execnz .LBB534_563
.LBB534_532:                            ;   in Loop: Header=BB534_400 Depth=2
	s_or_b32 exec_lo, exec_lo, s33
	s_and_saveexec_b32 s33, s22
	s_cbranch_execz .LBB534_564
.LBB534_533:                            ;   in Loop: Header=BB534_400 Depth=2
	ds_load_b32 v2, v78 offset:6144
	s_waitcnt lgkmcnt(0)
	v_lshrrev_b32_e32 v2, s38, v2
	s_delay_alu instid0(VALU_DEP_1)
	v_and_b32_e32 v140, s39, v2
	s_or_b32 exec_lo, exec_lo, s33
	s_and_saveexec_b32 s33, s23
	s_cbranch_execnz .LBB534_565
.LBB534_534:                            ;   in Loop: Header=BB534_400 Depth=2
	s_or_b32 exec_lo, exec_lo, s33
	s_and_saveexec_b32 s33, s24
	s_cbranch_execz .LBB534_566
.LBB534_535:                            ;   in Loop: Header=BB534_400 Depth=2
	ds_load_b32 v2, v78 offset:8192
	s_waitcnt lgkmcnt(0)
	v_lshrrev_b32_e32 v2, s38, v2
	s_delay_alu instid0(VALU_DEP_1)
	v_and_b32_e32 v138, s39, v2
	s_or_b32 exec_lo, exec_lo, s33
	s_and_saveexec_b32 s33, s25
	s_cbranch_execnz .LBB534_567
.LBB534_536:                            ;   in Loop: Header=BB534_400 Depth=2
	s_or_b32 exec_lo, exec_lo, s33
	s_and_saveexec_b32 s33, s26
	s_cbranch_execz .LBB534_568
.LBB534_537:                            ;   in Loop: Header=BB534_400 Depth=2
	ds_load_b32 v2, v78 offset:10240
	s_waitcnt lgkmcnt(0)
	v_lshrrev_b32_e32 v2, s38, v2
	s_delay_alu instid0(VALU_DEP_1)
	v_and_b32_e32 v136, s39, v2
	s_or_b32 exec_lo, exec_lo, s33
	s_and_saveexec_b32 s33, s27
	s_cbranch_execnz .LBB534_569
.LBB534_538:                            ;   in Loop: Header=BB534_400 Depth=2
	s_or_b32 exec_lo, exec_lo, s33
	s_and_saveexec_b32 s33, s28
	s_cbranch_execz .LBB534_570
.LBB534_539:                            ;   in Loop: Header=BB534_400 Depth=2
	ds_load_b32 v2, v78 offset:12288
	s_waitcnt lgkmcnt(0)
	v_lshrrev_b32_e32 v2, s38, v2
	s_delay_alu instid0(VALU_DEP_1)
	v_and_b32_e32 v134, s39, v2
	s_or_b32 exec_lo, exec_lo, s33
	s_and_saveexec_b32 s33, s29
	s_cbranch_execnz .LBB534_571
.LBB534_540:                            ;   in Loop: Header=BB534_400 Depth=2
	s_or_b32 exec_lo, exec_lo, s33
	s_and_saveexec_b32 s33, s30
	s_cbranch_execz .LBB534_572
.LBB534_541:                            ;   in Loop: Header=BB534_400 Depth=2
	ds_load_b32 v2, v78 offset:14336
	s_waitcnt lgkmcnt(0)
	v_lshrrev_b32_e32 v2, s38, v2
	s_delay_alu instid0(VALU_DEP_1)
	v_and_b32_e32 v132, s39, v2
	s_or_b32 exec_lo, exec_lo, s33
	s_and_saveexec_b32 s33, s31
	s_cbranch_execnz .LBB534_573
	s_branch .LBB534_574
.LBB534_542:                            ;   in Loop: Header=BB534_400 Depth=2
	s_or_b32 exec_lo, exec_lo, s33
	s_delay_alu instid0(SALU_CYCLE_1)
	s_mov_b32 s34, exec_lo
	v_cmpx_lt_u32_e64 v111, v147
	s_cbranch_execz .LBB534_512
.LBB534_543:                            ;   in Loop: Header=BB534_400 Depth=2
	global_load_b64 v[32:33], v[36:37], off offset:256
	s_or_b32 exec_lo, exec_lo, s34
	s_delay_alu instid0(SALU_CYCLE_1)
	s_mov_b32 s34, exec_lo
	v_cmpx_lt_u32_e64 v112, v147
	s_cbranch_execnz .LBB534_513
.LBB534_544:                            ;   in Loop: Header=BB534_400 Depth=2
	s_or_b32 exec_lo, exec_lo, s34
	s_delay_alu instid0(SALU_CYCLE_1)
	s_mov_b32 s34, exec_lo
	v_cmpx_lt_u32_e64 v113, v147
	s_cbranch_execz .LBB534_514
.LBB534_545:                            ;   in Loop: Header=BB534_400 Depth=2
	global_load_b64 v[28:29], v[36:37], off offset:768
	s_or_b32 exec_lo, exec_lo, s34
	s_delay_alu instid0(SALU_CYCLE_1)
	s_mov_b32 s34, exec_lo
	v_cmpx_lt_u32_e64 v114, v147
	s_cbranch_execnz .LBB534_515
.LBB534_546:                            ;   in Loop: Header=BB534_400 Depth=2
	s_or_b32 exec_lo, exec_lo, s34
	s_delay_alu instid0(SALU_CYCLE_1)
	s_mov_b32 s34, exec_lo
	v_cmpx_lt_u32_e64 v115, v147
	s_cbranch_execz .LBB534_516
.LBB534_547:                            ;   in Loop: Header=BB534_400 Depth=2
	global_load_b64 v[24:25], v[36:37], off offset:1280
	s_or_b32 exec_lo, exec_lo, s34
	s_delay_alu instid0(SALU_CYCLE_1)
	s_mov_b32 s34, exec_lo
	v_cmpx_lt_u32_e64 v116, v147
	s_cbranch_execnz .LBB534_517
.LBB534_548:                            ;   in Loop: Header=BB534_400 Depth=2
	s_or_b32 exec_lo, exec_lo, s34
	s_delay_alu instid0(SALU_CYCLE_1)
	s_mov_b32 s34, exec_lo
	v_cmpx_lt_u32_e64 v117, v147
	s_cbranch_execz .LBB534_518
.LBB534_549:                            ;   in Loop: Header=BB534_400 Depth=2
	global_load_b64 v[20:21], v[36:37], off offset:1792
	s_or_b32 exec_lo, exec_lo, s34
	s_delay_alu instid0(SALU_CYCLE_1)
	s_mov_b32 s34, exec_lo
	v_cmpx_lt_u32_e64 v118, v147
	s_cbranch_execnz .LBB534_519
.LBB534_550:                            ;   in Loop: Header=BB534_400 Depth=2
	s_or_b32 exec_lo, exec_lo, s34
	s_delay_alu instid0(SALU_CYCLE_1)
	s_mov_b32 s34, exec_lo
	v_cmpx_lt_u32_e64 v119, v147
	s_cbranch_execz .LBB534_520
.LBB534_551:                            ;   in Loop: Header=BB534_400 Depth=2
	global_load_b64 v[16:17], v[36:37], off offset:2304
	s_or_b32 exec_lo, exec_lo, s34
	s_delay_alu instid0(SALU_CYCLE_1)
	s_mov_b32 s34, exec_lo
	v_cmpx_lt_u32_e64 v120, v147
	s_cbranch_execnz .LBB534_521
.LBB534_552:                            ;   in Loop: Header=BB534_400 Depth=2
	s_or_b32 exec_lo, exec_lo, s34
	s_delay_alu instid0(SALU_CYCLE_1)
	s_mov_b32 s34, exec_lo
	v_cmpx_lt_u32_e64 v121, v147
	s_cbranch_execz .LBB534_522
.LBB534_553:                            ;   in Loop: Header=BB534_400 Depth=2
	global_load_b64 v[12:13], v[36:37], off offset:2816
	s_or_b32 exec_lo, exec_lo, s34
	s_delay_alu instid0(SALU_CYCLE_1)
	s_mov_b32 s34, exec_lo
	v_cmpx_lt_u32_e64 v122, v147
	s_cbranch_execnz .LBB534_523
.LBB534_554:                            ;   in Loop: Header=BB534_400 Depth=2
	s_or_b32 exec_lo, exec_lo, s34
	s_delay_alu instid0(SALU_CYCLE_1)
	s_mov_b32 s34, exec_lo
	v_cmpx_lt_u32_e64 v123, v147
	s_cbranch_execz .LBB534_524
.LBB534_555:                            ;   in Loop: Header=BB534_400 Depth=2
	global_load_b64 v[8:9], v[36:37], off offset:3328
	s_or_b32 exec_lo, exec_lo, s34
	s_delay_alu instid0(SALU_CYCLE_1)
	s_mov_b32 s34, exec_lo
	v_cmpx_lt_u32_e64 v124, v147
	s_cbranch_execnz .LBB534_525
.LBB534_556:                            ;   in Loop: Header=BB534_400 Depth=2
	s_or_b32 exec_lo, exec_lo, s34
	s_delay_alu instid0(SALU_CYCLE_1)
	s_mov_b32 s34, exec_lo
	v_cmpx_lt_u32_e64 v125, v147
	s_cbranch_execz .LBB534_526
.LBB534_557:                            ;   in Loop: Header=BB534_400 Depth=2
	global_load_b64 v[4:5], v[36:37], off offset:3840
	s_or_b32 exec_lo, exec_lo, s34
	s_and_saveexec_b32 s33, vcc_lo
	s_cbranch_execnz .LBB534_527
.LBB534_558:                            ;   in Loop: Header=BB534_400 Depth=2
	s_or_b32 exec_lo, exec_lo, s33
	s_and_saveexec_b32 s33, s17
	s_cbranch_execz .LBB534_528
.LBB534_559:                            ;   in Loop: Header=BB534_400 Depth=2
	ds_load_b32 v2, v78 offset:1024
	s_waitcnt lgkmcnt(0)
	v_lshrrev_b32_e32 v2, s38, v2
	s_delay_alu instid0(VALU_DEP_1)
	v_and_b32_e32 v145, s39, v2
	s_or_b32 exec_lo, exec_lo, s33
	s_and_saveexec_b32 s33, s18
	s_cbranch_execnz .LBB534_529
.LBB534_560:                            ;   in Loop: Header=BB534_400 Depth=2
	s_or_b32 exec_lo, exec_lo, s33
	s_and_saveexec_b32 s33, s19
	s_cbranch_execz .LBB534_530
.LBB534_561:                            ;   in Loop: Header=BB534_400 Depth=2
	ds_load_b32 v2, v78 offset:3072
	s_waitcnt lgkmcnt(0)
	v_lshrrev_b32_e32 v2, s38, v2
	s_delay_alu instid0(VALU_DEP_1)
	v_and_b32_e32 v143, s39, v2
	s_or_b32 exec_lo, exec_lo, s33
	s_and_saveexec_b32 s33, s20
	s_cbranch_execnz .LBB534_531
.LBB534_562:                            ;   in Loop: Header=BB534_400 Depth=2
	s_or_b32 exec_lo, exec_lo, s33
	s_and_saveexec_b32 s33, s21
	s_cbranch_execz .LBB534_532
.LBB534_563:                            ;   in Loop: Header=BB534_400 Depth=2
	ds_load_b32 v2, v78 offset:5120
	s_waitcnt lgkmcnt(0)
	v_lshrrev_b32_e32 v2, s38, v2
	s_delay_alu instid0(VALU_DEP_1)
	v_and_b32_e32 v141, s39, v2
	s_or_b32 exec_lo, exec_lo, s33
	s_and_saveexec_b32 s33, s22
	s_cbranch_execnz .LBB534_533
.LBB534_564:                            ;   in Loop: Header=BB534_400 Depth=2
	s_or_b32 exec_lo, exec_lo, s33
	s_and_saveexec_b32 s33, s23
	s_cbranch_execz .LBB534_534
.LBB534_565:                            ;   in Loop: Header=BB534_400 Depth=2
	ds_load_b32 v2, v78 offset:7168
	s_waitcnt lgkmcnt(0)
	v_lshrrev_b32_e32 v2, s38, v2
	s_delay_alu instid0(VALU_DEP_1)
	v_and_b32_e32 v139, s39, v2
	s_or_b32 exec_lo, exec_lo, s33
	s_and_saveexec_b32 s33, s24
	s_cbranch_execnz .LBB534_535
.LBB534_566:                            ;   in Loop: Header=BB534_400 Depth=2
	s_or_b32 exec_lo, exec_lo, s33
	s_and_saveexec_b32 s33, s25
	s_cbranch_execz .LBB534_536
.LBB534_567:                            ;   in Loop: Header=BB534_400 Depth=2
	ds_load_b32 v2, v78 offset:9216
	s_waitcnt lgkmcnt(0)
	v_lshrrev_b32_e32 v2, s38, v2
	s_delay_alu instid0(VALU_DEP_1)
	v_and_b32_e32 v137, s39, v2
	s_or_b32 exec_lo, exec_lo, s33
	s_and_saveexec_b32 s33, s26
	s_cbranch_execnz .LBB534_537
.LBB534_568:                            ;   in Loop: Header=BB534_400 Depth=2
	s_or_b32 exec_lo, exec_lo, s33
	s_and_saveexec_b32 s33, s27
	s_cbranch_execz .LBB534_538
.LBB534_569:                            ;   in Loop: Header=BB534_400 Depth=2
	ds_load_b32 v2, v78 offset:11264
	s_waitcnt lgkmcnt(0)
	v_lshrrev_b32_e32 v2, s38, v2
	s_delay_alu instid0(VALU_DEP_1)
	v_and_b32_e32 v135, s39, v2
	s_or_b32 exec_lo, exec_lo, s33
	s_and_saveexec_b32 s33, s28
	s_cbranch_execnz .LBB534_539
.LBB534_570:                            ;   in Loop: Header=BB534_400 Depth=2
	s_or_b32 exec_lo, exec_lo, s33
	s_and_saveexec_b32 s33, s29
	s_cbranch_execz .LBB534_540
.LBB534_571:                            ;   in Loop: Header=BB534_400 Depth=2
	ds_load_b32 v2, v78 offset:13312
	s_waitcnt lgkmcnt(0)
	v_lshrrev_b32_e32 v2, s38, v2
	s_delay_alu instid0(VALU_DEP_1)
	v_and_b32_e32 v133, s39, v2
	s_or_b32 exec_lo, exec_lo, s33
	s_and_saveexec_b32 s33, s30
	s_cbranch_execnz .LBB534_541
.LBB534_572:                            ;   in Loop: Header=BB534_400 Depth=2
	s_or_b32 exec_lo, exec_lo, s33
	s_and_saveexec_b32 s33, s31
	s_cbranch_execz .LBB534_574
.LBB534_573:                            ;   in Loop: Header=BB534_400 Depth=2
	ds_load_b32 v2, v78 offset:15360
	s_waitcnt lgkmcnt(0)
	v_lshrrev_b32_e32 v2, s38, v2
	s_delay_alu instid0(VALU_DEP_1)
	v_and_b32_e32 v131, s39, v2
.LBB534_574:                            ;   in Loop: Header=BB534_400 Depth=2
	s_or_b32 exec_lo, exec_lo, s33
	v_lshlrev_b32_e32 v2, 3, v170
	v_lshlrev_b32_e32 v36, 3, v166
	s_waitcnt vmcnt(0)
	s_waitcnt_vscnt null, 0x0
	s_barrier
	buffer_gl0_inv
	ds_store_b64 v2, v[34:35] offset:1024
	v_lshlrev_b32_e32 v2, 3, v162
	v_lshlrev_b32_e32 v37, 3, v158
	;; [unrolled: 1-line block ×4, first 2 shown]
	ds_store_b64 v36, v[32:33] offset:1024
	ds_store_b64 v2, v[30:31] offset:1024
	;; [unrolled: 1-line block ×5, first 2 shown]
	v_lshlrev_b32_e32 v2, 3, v154
	v_lshlrev_b32_e32 v36, 3, v153
	;; [unrolled: 1-line block ×5, first 2 shown]
	ds_store_b64 v2, v[22:23] offset:1024
	ds_store_b64 v36, v[20:21] offset:1024
	ds_store_b64 v37, v[18:19] offset:1024
	ds_store_b64 v147, v[16:17] offset:1024
	ds_store_b64 v148, v[14:15] offset:1024
	v_lshlrev_b32_e32 v2, 3, v40
	v_lshlrev_b32_e32 v36, 3, v39
	v_lshlrev_b32_e32 v37, 3, v43
	v_lshlrev_b32_e32 v39, 3, v42
	v_lshlrev_b32_e32 v40, 3, v41
	ds_store_b64 v2, v[12:13] offset:1024
	ds_store_b64 v36, v[10:11] offset:1024
	;; [unrolled: 1-line block ×5, first 2 shown]
	s_waitcnt lgkmcnt(0)
	s_barrier
	buffer_gl0_inv
	s_and_saveexec_b32 s33, vcc_lo
	s_cbranch_execz .LBB534_590
; %bb.575:                              ;   in Loop: Header=BB534_400 Depth=2
	v_lshlrev_b32_e32 v2, 2, v146
	ds_load_b32 v2, v2
	ds_load_b64 v[36:37], v79 offset:1024
	s_waitcnt lgkmcnt(1)
	v_add_nc_u32_e32 v2, v2, v1
	s_delay_alu instid0(VALU_DEP_1) | instskip(NEXT) | instid1(VALU_DEP_1)
	v_lshlrev_b64 v[39:40], 3, v[2:3]
	v_add_co_u32 v39, vcc_lo, s54, v39
	s_delay_alu instid0(VALU_DEP_2)
	v_add_co_ci_u32_e32 v40, vcc_lo, s55, v40, vcc_lo
	s_waitcnt lgkmcnt(0)
	global_store_b64 v[39:40], v[36:37], off
	s_or_b32 exec_lo, exec_lo, s33
	s_and_saveexec_b32 s33, s17
	s_cbranch_execnz .LBB534_591
.LBB534_576:                            ;   in Loop: Header=BB534_400 Depth=2
	s_or_b32 exec_lo, exec_lo, s33
	s_and_saveexec_b32 s17, s18
	s_cbranch_execz .LBB534_592
.LBB534_577:                            ;   in Loop: Header=BB534_400 Depth=2
	v_lshlrev_b32_e32 v2, 2, v144
	v_add_nc_u32_e32 v36, v78, v44
	ds_load_b32 v2, v2
	ds_load_b64 v[36:37], v36 offset:4096
	s_waitcnt lgkmcnt(1)
	v_add_nc_u32_e32 v2, v2, v46
	s_delay_alu instid0(VALU_DEP_1) | instskip(NEXT) | instid1(VALU_DEP_1)
	v_lshlrev_b64 v[39:40], 3, v[2:3]
	v_add_co_u32 v39, vcc_lo, s54, v39
	s_delay_alu instid0(VALU_DEP_2)
	v_add_co_ci_u32_e32 v40, vcc_lo, s55, v40, vcc_lo
	s_waitcnt lgkmcnt(0)
	global_store_b64 v[39:40], v[36:37], off
	s_or_b32 exec_lo, exec_lo, s17
	s_and_saveexec_b32 s17, s19
	s_cbranch_execnz .LBB534_593
.LBB534_578:                            ;   in Loop: Header=BB534_400 Depth=2
	s_or_b32 exec_lo, exec_lo, s17
	s_and_saveexec_b32 s17, s20
	s_cbranch_execz .LBB534_594
.LBB534_579:                            ;   in Loop: Header=BB534_400 Depth=2
	v_lshlrev_b32_e32 v2, 2, v142
	v_add_nc_u32_e32 v36, v78, v44
	ds_load_b32 v2, v2
	ds_load_b64 v[36:37], v36 offset:8192
	s_waitcnt lgkmcnt(1)
	v_add_nc_u32_e32 v2, v2, v51
	s_delay_alu instid0(VALU_DEP_1) | instskip(NEXT) | instid1(VALU_DEP_1)
	v_lshlrev_b64 v[39:40], 3, v[2:3]
	v_add_co_u32 v39, vcc_lo, s54, v39
	s_delay_alu instid0(VALU_DEP_2)
	v_add_co_ci_u32_e32 v40, vcc_lo, s55, v40, vcc_lo
	s_waitcnt lgkmcnt(0)
	global_store_b64 v[39:40], v[36:37], off
	s_or_b32 exec_lo, exec_lo, s17
	s_and_saveexec_b32 s17, s21
	s_cbranch_execnz .LBB534_595
.LBB534_580:                            ;   in Loop: Header=BB534_400 Depth=2
	s_or_b32 exec_lo, exec_lo, s17
	s_and_saveexec_b32 s17, s22
	s_cbranch_execz .LBB534_596
.LBB534_581:                            ;   in Loop: Header=BB534_400 Depth=2
	v_lshlrev_b32_e32 v2, 2, v140
	v_add_nc_u32_e32 v36, v78, v44
	ds_load_b32 v2, v2
	ds_load_b64 v[36:37], v36 offset:12288
	s_waitcnt lgkmcnt(1)
	v_add_nc_u32_e32 v2, v2, v53
	s_delay_alu instid0(VALU_DEP_1) | instskip(NEXT) | instid1(VALU_DEP_1)
	v_lshlrev_b64 v[39:40], 3, v[2:3]
	v_add_co_u32 v39, vcc_lo, s54, v39
	s_delay_alu instid0(VALU_DEP_2)
	v_add_co_ci_u32_e32 v40, vcc_lo, s55, v40, vcc_lo
	s_waitcnt lgkmcnt(0)
	global_store_b64 v[39:40], v[36:37], off
	s_or_b32 exec_lo, exec_lo, s17
	s_and_saveexec_b32 s17, s23
	s_cbranch_execnz .LBB534_597
.LBB534_582:                            ;   in Loop: Header=BB534_400 Depth=2
	s_or_b32 exec_lo, exec_lo, s17
	s_and_saveexec_b32 s17, s24
	s_cbranch_execz .LBB534_598
.LBB534_583:                            ;   in Loop: Header=BB534_400 Depth=2
	v_lshlrev_b32_e32 v2, 2, v138
	v_add_nc_u32_e32 v36, v78, v44
	ds_load_b32 v2, v2
	ds_load_b64 v[36:37], v36 offset:16384
	s_waitcnt lgkmcnt(1)
	v_add_nc_u32_e32 v2, v2, v55
	s_delay_alu instid0(VALU_DEP_1) | instskip(NEXT) | instid1(VALU_DEP_1)
	v_lshlrev_b64 v[39:40], 3, v[2:3]
	v_add_co_u32 v39, vcc_lo, s54, v39
	s_delay_alu instid0(VALU_DEP_2)
	v_add_co_ci_u32_e32 v40, vcc_lo, s55, v40, vcc_lo
	s_waitcnt lgkmcnt(0)
	global_store_b64 v[39:40], v[36:37], off
	s_or_b32 exec_lo, exec_lo, s17
	s_and_saveexec_b32 s17, s25
	s_cbranch_execnz .LBB534_599
.LBB534_584:                            ;   in Loop: Header=BB534_400 Depth=2
	s_or_b32 exec_lo, exec_lo, s17
	s_and_saveexec_b32 s17, s26
	s_cbranch_execz .LBB534_600
.LBB534_585:                            ;   in Loop: Header=BB534_400 Depth=2
	v_lshlrev_b32_e32 v2, 2, v136
	v_add_nc_u32_e32 v36, v78, v44
	ds_load_b32 v2, v2
	ds_load_b64 v[36:37], v36 offset:20480
	s_waitcnt lgkmcnt(1)
	v_add_nc_u32_e32 v2, v2, v57
	s_delay_alu instid0(VALU_DEP_1) | instskip(NEXT) | instid1(VALU_DEP_1)
	v_lshlrev_b64 v[39:40], 3, v[2:3]
	v_add_co_u32 v39, vcc_lo, s54, v39
	s_delay_alu instid0(VALU_DEP_2)
	v_add_co_ci_u32_e32 v40, vcc_lo, s55, v40, vcc_lo
	s_waitcnt lgkmcnt(0)
	global_store_b64 v[39:40], v[36:37], off
	s_or_b32 exec_lo, exec_lo, s17
	s_and_saveexec_b32 s17, s27
	s_cbranch_execnz .LBB534_601
.LBB534_586:                            ;   in Loop: Header=BB534_400 Depth=2
	s_or_b32 exec_lo, exec_lo, s17
	s_and_saveexec_b32 s17, s28
	s_cbranch_execz .LBB534_602
.LBB534_587:                            ;   in Loop: Header=BB534_400 Depth=2
	v_lshlrev_b32_e32 v2, 2, v134
	v_add_nc_u32_e32 v36, v78, v44
	ds_load_b32 v2, v2
	ds_load_b64 v[36:37], v36 offset:24576
	s_waitcnt lgkmcnt(1)
	v_add_nc_u32_e32 v2, v2, v59
	s_delay_alu instid0(VALU_DEP_1) | instskip(NEXT) | instid1(VALU_DEP_1)
	v_lshlrev_b64 v[39:40], 3, v[2:3]
	v_add_co_u32 v39, vcc_lo, s54, v39
	s_delay_alu instid0(VALU_DEP_2)
	v_add_co_ci_u32_e32 v40, vcc_lo, s55, v40, vcc_lo
	s_waitcnt lgkmcnt(0)
	global_store_b64 v[39:40], v[36:37], off
	s_or_b32 exec_lo, exec_lo, s17
	s_and_saveexec_b32 s17, s29
	s_cbranch_execnz .LBB534_603
.LBB534_588:                            ;   in Loop: Header=BB534_400 Depth=2
	s_or_b32 exec_lo, exec_lo, s17
	s_and_saveexec_b32 s17, s30
	s_cbranch_execz .LBB534_604
.LBB534_589:                            ;   in Loop: Header=BB534_400 Depth=2
	v_lshlrev_b32_e32 v2, 2, v132
	v_add_nc_u32_e32 v36, v78, v44
	ds_load_b32 v2, v2
	ds_load_b64 v[36:37], v36 offset:28672
	s_waitcnt lgkmcnt(1)
	v_add_nc_u32_e32 v2, v2, v61
	s_delay_alu instid0(VALU_DEP_1) | instskip(NEXT) | instid1(VALU_DEP_1)
	v_lshlrev_b64 v[39:40], 3, v[2:3]
	v_add_co_u32 v39, vcc_lo, s54, v39
	s_delay_alu instid0(VALU_DEP_2)
	v_add_co_ci_u32_e32 v40, vcc_lo, s55, v40, vcc_lo
	s_waitcnt lgkmcnt(0)
	global_store_b64 v[39:40], v[36:37], off
	s_or_b32 exec_lo, exec_lo, s17
	s_and_saveexec_b32 s17, s31
	s_cbranch_execnz .LBB534_605
	s_branch .LBB534_606
.LBB534_590:                            ;   in Loop: Header=BB534_400 Depth=2
	s_or_b32 exec_lo, exec_lo, s33
	s_and_saveexec_b32 s33, s17
	s_cbranch_execz .LBB534_576
.LBB534_591:                            ;   in Loop: Header=BB534_400 Depth=2
	v_lshlrev_b32_e32 v2, 2, v145
	v_add_nc_u32_e32 v36, v78, v44
	ds_load_b32 v2, v2
	ds_load_b64 v[36:37], v36 offset:2048
	s_waitcnt lgkmcnt(1)
	v_add_nc_u32_e32 v2, v2, v45
	s_delay_alu instid0(VALU_DEP_1) | instskip(NEXT) | instid1(VALU_DEP_1)
	v_lshlrev_b64 v[39:40], 3, v[2:3]
	v_add_co_u32 v39, vcc_lo, s54, v39
	s_delay_alu instid0(VALU_DEP_2)
	v_add_co_ci_u32_e32 v40, vcc_lo, s55, v40, vcc_lo
	s_waitcnt lgkmcnt(0)
	global_store_b64 v[39:40], v[36:37], off
	s_or_b32 exec_lo, exec_lo, s33
	s_and_saveexec_b32 s17, s18
	s_cbranch_execnz .LBB534_577
.LBB534_592:                            ;   in Loop: Header=BB534_400 Depth=2
	s_or_b32 exec_lo, exec_lo, s17
	s_and_saveexec_b32 s17, s19
	s_cbranch_execz .LBB534_578
.LBB534_593:                            ;   in Loop: Header=BB534_400 Depth=2
	v_lshlrev_b32_e32 v2, 2, v143
	v_add_nc_u32_e32 v36, v78, v44
	ds_load_b32 v2, v2
	ds_load_b64 v[36:37], v36 offset:6144
	s_waitcnt lgkmcnt(1)
	v_add_nc_u32_e32 v2, v2, v47
	s_delay_alu instid0(VALU_DEP_1) | instskip(NEXT) | instid1(VALU_DEP_1)
	v_lshlrev_b64 v[39:40], 3, v[2:3]
	v_add_co_u32 v39, vcc_lo, s54, v39
	s_delay_alu instid0(VALU_DEP_2)
	v_add_co_ci_u32_e32 v40, vcc_lo, s55, v40, vcc_lo
	s_waitcnt lgkmcnt(0)
	global_store_b64 v[39:40], v[36:37], off
	s_or_b32 exec_lo, exec_lo, s17
	s_and_saveexec_b32 s17, s20
	s_cbranch_execnz .LBB534_579
.LBB534_594:                            ;   in Loop: Header=BB534_400 Depth=2
	s_or_b32 exec_lo, exec_lo, s17
	s_and_saveexec_b32 s17, s21
	s_cbranch_execz .LBB534_580
.LBB534_595:                            ;   in Loop: Header=BB534_400 Depth=2
	v_lshlrev_b32_e32 v2, 2, v141
	v_add_nc_u32_e32 v36, v78, v44
	ds_load_b32 v2, v2
	ds_load_b64 v[36:37], v36 offset:10240
	s_waitcnt lgkmcnt(1)
	v_add_nc_u32_e32 v2, v2, v52
	s_delay_alu instid0(VALU_DEP_1) | instskip(NEXT) | instid1(VALU_DEP_1)
	v_lshlrev_b64 v[39:40], 3, v[2:3]
	v_add_co_u32 v39, vcc_lo, s54, v39
	s_delay_alu instid0(VALU_DEP_2)
	v_add_co_ci_u32_e32 v40, vcc_lo, s55, v40, vcc_lo
	s_waitcnt lgkmcnt(0)
	global_store_b64 v[39:40], v[36:37], off
	s_or_b32 exec_lo, exec_lo, s17
	s_and_saveexec_b32 s17, s22
	s_cbranch_execnz .LBB534_581
.LBB534_596:                            ;   in Loop: Header=BB534_400 Depth=2
	s_or_b32 exec_lo, exec_lo, s17
	s_and_saveexec_b32 s17, s23
	s_cbranch_execz .LBB534_582
.LBB534_597:                            ;   in Loop: Header=BB534_400 Depth=2
	v_lshlrev_b32_e32 v2, 2, v139
	v_add_nc_u32_e32 v36, v78, v44
	ds_load_b32 v2, v2
	ds_load_b64 v[36:37], v36 offset:14336
	s_waitcnt lgkmcnt(1)
	v_add_nc_u32_e32 v2, v2, v54
	s_delay_alu instid0(VALU_DEP_1) | instskip(NEXT) | instid1(VALU_DEP_1)
	v_lshlrev_b64 v[39:40], 3, v[2:3]
	v_add_co_u32 v39, vcc_lo, s54, v39
	s_delay_alu instid0(VALU_DEP_2)
	v_add_co_ci_u32_e32 v40, vcc_lo, s55, v40, vcc_lo
	s_waitcnt lgkmcnt(0)
	global_store_b64 v[39:40], v[36:37], off
	s_or_b32 exec_lo, exec_lo, s17
	s_and_saveexec_b32 s17, s24
	s_cbranch_execnz .LBB534_583
.LBB534_598:                            ;   in Loop: Header=BB534_400 Depth=2
	s_or_b32 exec_lo, exec_lo, s17
	s_and_saveexec_b32 s17, s25
	s_cbranch_execz .LBB534_584
.LBB534_599:                            ;   in Loop: Header=BB534_400 Depth=2
	v_lshlrev_b32_e32 v2, 2, v137
	v_add_nc_u32_e32 v36, v78, v44
	ds_load_b32 v2, v2
	ds_load_b64 v[36:37], v36 offset:18432
	s_waitcnt lgkmcnt(1)
	v_add_nc_u32_e32 v2, v2, v56
	s_delay_alu instid0(VALU_DEP_1) | instskip(NEXT) | instid1(VALU_DEP_1)
	v_lshlrev_b64 v[39:40], 3, v[2:3]
	v_add_co_u32 v39, vcc_lo, s54, v39
	s_delay_alu instid0(VALU_DEP_2)
	v_add_co_ci_u32_e32 v40, vcc_lo, s55, v40, vcc_lo
	s_waitcnt lgkmcnt(0)
	global_store_b64 v[39:40], v[36:37], off
	s_or_b32 exec_lo, exec_lo, s17
	s_and_saveexec_b32 s17, s26
	s_cbranch_execnz .LBB534_585
.LBB534_600:                            ;   in Loop: Header=BB534_400 Depth=2
	s_or_b32 exec_lo, exec_lo, s17
	s_and_saveexec_b32 s17, s27
	s_cbranch_execz .LBB534_586
.LBB534_601:                            ;   in Loop: Header=BB534_400 Depth=2
	v_lshlrev_b32_e32 v2, 2, v135
	v_add_nc_u32_e32 v36, v78, v44
	ds_load_b32 v2, v2
	ds_load_b64 v[36:37], v36 offset:22528
	s_waitcnt lgkmcnt(1)
	v_add_nc_u32_e32 v2, v2, v58
	s_delay_alu instid0(VALU_DEP_1) | instskip(NEXT) | instid1(VALU_DEP_1)
	v_lshlrev_b64 v[39:40], 3, v[2:3]
	v_add_co_u32 v39, vcc_lo, s54, v39
	s_delay_alu instid0(VALU_DEP_2)
	v_add_co_ci_u32_e32 v40, vcc_lo, s55, v40, vcc_lo
	s_waitcnt lgkmcnt(0)
	global_store_b64 v[39:40], v[36:37], off
	s_or_b32 exec_lo, exec_lo, s17
	s_and_saveexec_b32 s17, s28
	s_cbranch_execnz .LBB534_587
.LBB534_602:                            ;   in Loop: Header=BB534_400 Depth=2
	s_or_b32 exec_lo, exec_lo, s17
	s_and_saveexec_b32 s17, s29
	s_cbranch_execz .LBB534_588
.LBB534_603:                            ;   in Loop: Header=BB534_400 Depth=2
	v_lshlrev_b32_e32 v2, 2, v133
	v_add_nc_u32_e32 v36, v78, v44
	ds_load_b32 v2, v2
	ds_load_b64 v[36:37], v36 offset:26624
	s_waitcnt lgkmcnt(1)
	v_add_nc_u32_e32 v2, v2, v60
	s_delay_alu instid0(VALU_DEP_1) | instskip(NEXT) | instid1(VALU_DEP_1)
	v_lshlrev_b64 v[39:40], 3, v[2:3]
	v_add_co_u32 v39, vcc_lo, s54, v39
	s_delay_alu instid0(VALU_DEP_2)
	v_add_co_ci_u32_e32 v40, vcc_lo, s55, v40, vcc_lo
	s_waitcnt lgkmcnt(0)
	global_store_b64 v[39:40], v[36:37], off
	s_or_b32 exec_lo, exec_lo, s17
	s_and_saveexec_b32 s17, s30
	s_cbranch_execnz .LBB534_589
.LBB534_604:                            ;   in Loop: Header=BB534_400 Depth=2
	s_or_b32 exec_lo, exec_lo, s17
	s_and_saveexec_b32 s17, s31
	s_cbranch_execz .LBB534_606
.LBB534_605:                            ;   in Loop: Header=BB534_400 Depth=2
	v_lshlrev_b32_e32 v2, 2, v131
	v_add_nc_u32_e32 v36, v78, v44
	ds_load_b32 v2, v2
	ds_load_b64 v[36:37], v36 offset:30720
	s_waitcnt lgkmcnt(1)
	v_add_nc_u32_e32 v2, v2, v63
	s_delay_alu instid0(VALU_DEP_1) | instskip(NEXT) | instid1(VALU_DEP_1)
	v_lshlrev_b64 v[39:40], 3, v[2:3]
	v_add_co_u32 v39, vcc_lo, s54, v39
	s_delay_alu instid0(VALU_DEP_2)
	v_add_co_ci_u32_e32 v40, vcc_lo, s55, v40, vcc_lo
	s_waitcnt lgkmcnt(0)
	global_store_b64 v[39:40], v[36:37], off
.LBB534_606:                            ;   in Loop: Header=BB534_400 Depth=2
	s_or_b32 exec_lo, exec_lo, s17
	s_waitcnt_vscnt null, 0x0
	s_barrier
	buffer_gl0_inv
	s_and_saveexec_b32 s17, s2
	s_cbranch_execz .LBB534_399
; %bb.607:                              ;   in Loop: Header=BB534_400 Depth=2
	ds_load_b32 v2, v44
	s_waitcnt lgkmcnt(0)
	v_add_nc_u32_e32 v2, v2, v38
	ds_store_b32 v44, v2
	s_branch .LBB534_399
.LBB534_608:                            ;   in Loop: Header=BB534_20 Depth=1
	s_waitcnt lgkmcnt(0)
	s_barrier
.LBB534_609:                            ;   in Loop: Header=BB534_20 Depth=1
	s_mov_b32 s0, 0
.LBB534_610:                            ;   in Loop: Header=BB534_20 Depth=1
	s_delay_alu instid0(SALU_CYCLE_1)
	s_and_not1_b32 vcc_lo, exec_lo, s0
	s_cbranch_vccnz .LBB534_19
; %bb.611:                              ;   in Loop: Header=BB534_20 Depth=1
	s_and_b32 vcc_lo, exec_lo, s59
	s_mov_b32 s0, -1
	s_cbranch_vccz .LBB534_905
; %bb.612:                              ;   in Loop: Header=BB534_20 Depth=1
	s_mov_b32 s8, s62
	s_mov_b32 s34, s60
	s_barrier
	buffer_gl0_inv
                                        ; implicit-def: $vgpr20
                                        ; implicit-def: $vgpr2
                                        ; implicit-def: $vgpr6
                                        ; implicit-def: $vgpr7
                                        ; implicit-def: $vgpr8
                                        ; implicit-def: $vgpr9
                                        ; implicit-def: $vgpr10
                                        ; implicit-def: $vgpr11
                                        ; implicit-def: $vgpr12
                                        ; implicit-def: $vgpr13
                                        ; implicit-def: $vgpr14
                                        ; implicit-def: $vgpr15
                                        ; implicit-def: $vgpr16
                                        ; implicit-def: $vgpr17
                                        ; implicit-def: $vgpr18
                                        ; implicit-def: $vgpr19
	s_branch .LBB534_614
.LBB534_613:                            ;   in Loop: Header=BB534_614 Depth=2
	s_or_b32 exec_lo, exec_lo, s0
	s_addk_i32 s8, 0xf000
	s_cmp_ge_u32 s9, s61
	s_mov_b32 s34, s9
	s_cbranch_scc1 .LBB534_684
.LBB534_614:                            ;   Parent Loop BB534_20 Depth=1
                                        ; =>  This Inner Loop Header: Depth=2
	s_add_i32 s9, s34, 0x1000
	s_delay_alu instid0(SALU_CYCLE_1)
	s_cmp_gt_u32 s9, s61
	s_cbranch_scc1 .LBB534_617
; %bb.615:                              ;   in Loop: Header=BB534_614 Depth=2
	s_mov_b32 s1, 0
	s_mov_b32 s0, s34
	s_delay_alu instid0(SALU_CYCLE_1) | instskip(NEXT) | instid1(SALU_CYCLE_1)
	s_lshl_b64 s[10:11], s[0:1], 2
	v_add_co_u32 v4, vcc_lo, v86, s10
	v_add_co_ci_u32_e32 v5, vcc_lo, s11, v87, vcc_lo
	s_movk_i32 s11, 0x1000
	s_waitcnt vmcnt(1)
	s_delay_alu instid0(VALU_DEP_2) | instskip(NEXT) | instid1(VALU_DEP_2)
	v_add_co_u32 v29, vcc_lo, 0x1000, v4
	v_add_co_ci_u32_e32 v30, vcc_lo, 0, v5, vcc_lo
	s_waitcnt vmcnt(0)
	v_add_co_u32 v36, vcc_lo, v4, 0x2000
	v_add_co_ci_u32_e32 v37, vcc_lo, 0, v5, vcc_lo
	v_add_co_u32 v33, vcc_lo, 0x2000, v4
	v_add_co_ci_u32_e32 v34, vcc_lo, 0, v5, vcc_lo
	v_add_co_u32 v38, vcc_lo, 0x3000, v4
	global_load_b32 v26, v[36:37], off
	v_add_co_ci_u32_e32 v39, vcc_lo, 0, v5, vcc_lo
	s_clause 0xd
	global_load_b32 v22, v[4:5], off
	global_load_b32 v23, v[4:5], off offset:1024
	global_load_b32 v24, v[4:5], off offset:2048
	;; [unrolled: 1-line block ×9, first 2 shown]
	global_load_b32 v34, v[38:39], off
	global_load_b32 v35, v[38:39], off offset:1024
	global_load_b32 v29, v[36:37], off offset:-4096
	global_load_b32 v36, v[38:39], off offset:2048
	v_add_co_u32 v4, vcc_lo, 0x3c00, v4
	v_add_co_ci_u32_e32 v5, vcc_lo, 0, v5, vcc_lo
	s_mov_b32 s10, -1
	s_cbranch_execz .LBB534_618
; %bb.616:                              ;   in Loop: Header=BB534_614 Depth=2
                                        ; implicit-def: $vgpr19
                                        ; implicit-def: $vgpr18
                                        ; implicit-def: $vgpr17
                                        ; implicit-def: $vgpr16
                                        ; implicit-def: $vgpr15
                                        ; implicit-def: $vgpr14
                                        ; implicit-def: $vgpr13
                                        ; implicit-def: $vgpr12
                                        ; implicit-def: $vgpr11
                                        ; implicit-def: $vgpr10
                                        ; implicit-def: $vgpr9
                                        ; implicit-def: $vgpr8
                                        ; implicit-def: $vgpr7
                                        ; implicit-def: $vgpr6
                                        ; implicit-def: $vgpr2
                                        ; implicit-def: $vgpr20
	v_mov_b32_e32 v21, s8
	s_and_saveexec_b32 s0, s10
	s_cbranch_execnz .LBB534_637
	s_branch .LBB534_638
.LBB534_617:                            ;   in Loop: Header=BB534_614 Depth=2
	s_mov_b32 s10, 0
                                        ; implicit-def: $sgpr11
                                        ; implicit-def: $vgpr22
                                        ; implicit-def: $vgpr23
                                        ; implicit-def: $vgpr24
                                        ; implicit-def: $vgpr25
                                        ; implicit-def: $vgpr29
                                        ; implicit-def: $vgpr27
                                        ; implicit-def: $vgpr28
                                        ; implicit-def: $vgpr30
                                        ; implicit-def: $vgpr26
                                        ; implicit-def: $vgpr31
                                        ; implicit-def: $vgpr32
                                        ; implicit-def: $vgpr33
                                        ; implicit-def: $vgpr34
                                        ; implicit-def: $vgpr35
                                        ; implicit-def: $vgpr36
                                        ; implicit-def: $vgpr4_vgpr5
.LBB534_618:                            ;   in Loop: Header=BB534_614 Depth=2
	s_lshl_b64 s[0:1], s[34:35], 2
	s_mov_b32 s11, exec_lo
	s_add_u32 s0, s44, s0
	s_addc_u32 s1, s45, s1
	v_cmpx_gt_u32_e64 s8, v1
	s_cbranch_execz .LBB534_670
; %bb.619:                              ;   in Loop: Header=BB534_614 Depth=2
	global_load_b32 v19, v93, s[0:1]
	s_or_b32 exec_lo, exec_lo, s11
	s_delay_alu instid0(SALU_CYCLE_1)
	s_mov_b32 s11, exec_lo
	v_cmpx_gt_u32_e64 s8, v45
	s_cbranch_execnz .LBB534_671
.LBB534_620:                            ;   in Loop: Header=BB534_614 Depth=2
	s_or_b32 exec_lo, exec_lo, s11
	s_delay_alu instid0(SALU_CYCLE_1)
	s_mov_b32 s11, exec_lo
	v_cmpx_gt_u32_e64 s8, v46
	s_cbranch_execz .LBB534_672
.LBB534_621:                            ;   in Loop: Header=BB534_614 Depth=2
	global_load_b32 v17, v93, s[0:1] offset:2048
	s_or_b32 exec_lo, exec_lo, s11
	s_delay_alu instid0(SALU_CYCLE_1)
	s_mov_b32 s11, exec_lo
	v_cmpx_gt_u32_e64 s8, v47
	s_cbranch_execnz .LBB534_673
.LBB534_622:                            ;   in Loop: Header=BB534_614 Depth=2
	s_or_b32 exec_lo, exec_lo, s11
	s_delay_alu instid0(SALU_CYCLE_1)
	s_mov_b32 s11, exec_lo
	v_cmpx_gt_u32_e64 s8, v51
	s_cbranch_execz .LBB534_674
.LBB534_623:                            ;   in Loop: Header=BB534_614 Depth=2
	global_load_b32 v15, v94, s[0:1]
	s_or_b32 exec_lo, exec_lo, s11
	s_delay_alu instid0(SALU_CYCLE_1)
	s_mov_b32 s11, exec_lo
	v_cmpx_gt_u32_e64 s8, v52
	s_cbranch_execnz .LBB534_675
.LBB534_624:                            ;   in Loop: Header=BB534_614 Depth=2
	s_or_b32 exec_lo, exec_lo, s11
	s_delay_alu instid0(SALU_CYCLE_1)
	s_mov_b32 s11, exec_lo
	v_cmpx_gt_u32_e64 s8, v53
	s_cbranch_execz .LBB534_676
.LBB534_625:                            ;   in Loop: Header=BB534_614 Depth=2
	global_load_b32 v13, v96, s[0:1]
	s_or_b32 exec_lo, exec_lo, s11
	s_delay_alu instid0(SALU_CYCLE_1)
	s_mov_b32 s11, exec_lo
	v_cmpx_gt_u32_e64 s8, v54
	s_cbranch_execnz .LBB534_677
.LBB534_626:                            ;   in Loop: Header=BB534_614 Depth=2
	s_or_b32 exec_lo, exec_lo, s11
	s_delay_alu instid0(SALU_CYCLE_1)
	s_mov_b32 s11, exec_lo
	v_cmpx_gt_u32_e64 s8, v55
	s_cbranch_execz .LBB534_678
.LBB534_627:                            ;   in Loop: Header=BB534_614 Depth=2
	global_load_b32 v11, v98, s[0:1]
	s_or_b32 exec_lo, exec_lo, s11
	s_delay_alu instid0(SALU_CYCLE_1)
	s_mov_b32 s11, exec_lo
	v_cmpx_gt_u32_e64 s8, v56
	s_cbranch_execnz .LBB534_679
.LBB534_628:                            ;   in Loop: Header=BB534_614 Depth=2
	s_or_b32 exec_lo, exec_lo, s11
	s_delay_alu instid0(SALU_CYCLE_1)
	s_mov_b32 s11, exec_lo
	v_cmpx_gt_u32_e64 s8, v57
	s_cbranch_execz .LBB534_680
.LBB534_629:                            ;   in Loop: Header=BB534_614 Depth=2
	global_load_b32 v9, v100, s[0:1]
	s_or_b32 exec_lo, exec_lo, s11
	s_delay_alu instid0(SALU_CYCLE_1)
	s_mov_b32 s11, exec_lo
	v_cmpx_gt_u32_e64 s8, v58
	s_cbranch_execnz .LBB534_681
.LBB534_630:                            ;   in Loop: Header=BB534_614 Depth=2
	s_or_b32 exec_lo, exec_lo, s11
	s_delay_alu instid0(SALU_CYCLE_1)
	s_mov_b32 s11, exec_lo
	v_cmpx_gt_u32_e64 s8, v59
	s_cbranch_execz .LBB534_682
.LBB534_631:                            ;   in Loop: Header=BB534_614 Depth=2
	global_load_b32 v7, v102, s[0:1]
	s_or_b32 exec_lo, exec_lo, s11
	s_delay_alu instid0(SALU_CYCLE_1)
	s_mov_b32 s11, exec_lo
	v_cmpx_gt_u32_e64 s8, v60
	s_cbranch_execnz .LBB534_683
.LBB534_632:                            ;   in Loop: Header=BB534_614 Depth=2
	s_or_b32 exec_lo, exec_lo, s11
	s_delay_alu instid0(SALU_CYCLE_1)
	s_mov_b32 s11, exec_lo
	v_cmpx_gt_u32_e64 s8, v61
	s_cbranch_execz .LBB534_634
.LBB534_633:                            ;   in Loop: Header=BB534_614 Depth=2
	global_load_b32 v2, v104, s[0:1]
.LBB534_634:                            ;   in Loop: Header=BB534_614 Depth=2
	s_or_b32 exec_lo, exec_lo, s11
	s_delay_alu instid0(SALU_CYCLE_1)
	s_mov_b32 s12, exec_lo
                                        ; implicit-def: $sgpr11
                                        ; implicit-def: $vgpr4_vgpr5
	v_cmpx_gt_u32_e64 s8, v63
; %bb.635:                              ;   in Loop: Header=BB534_614 Depth=2
	v_add_co_u32 v4, s0, s0, v105
	s_delay_alu instid0(VALU_DEP_1)
	v_add_co_ci_u32_e64 v5, null, s1, 0, s0
	s_sub_i32 s11, s61, s34
	s_or_b32 s10, s10, exec_lo
                                        ; implicit-def: $vgpr20
; %bb.636:                              ;   in Loop: Header=BB534_614 Depth=2
	s_or_b32 exec_lo, exec_lo, s12
	s_waitcnt vmcnt(0)
	v_dual_mov_b32 v22, v19 :: v_dual_mov_b32 v23, v18
	v_dual_mov_b32 v24, v17 :: v_dual_mov_b32 v25, v16
	;; [unrolled: 1-line block ×8, first 2 shown]
	s_and_saveexec_b32 s0, s10
	s_cbranch_execz .LBB534_638
.LBB534_637:                            ;   in Loop: Header=BB534_614 Depth=2
	global_load_b32 v20, v[4:5], off
	s_waitcnt vmcnt(1)
	v_dual_mov_b32 v21, s11 :: v_dual_mov_b32 v2, v36
	v_dual_mov_b32 v6, v35 :: v_dual_mov_b32 v7, v34
	;; [unrolled: 1-line block ×8, first 2 shown]
.LBB534_638:                            ;   in Loop: Header=BB534_614 Depth=2
	s_or_b32 exec_lo, exec_lo, s0
	s_delay_alu instid0(SALU_CYCLE_1)
	s_mov_b32 s0, exec_lo
	v_cmpx_lt_u32_e64 v1, v21
	s_cbranch_execz .LBB534_654
; %bb.639:                              ;   in Loop: Header=BB534_614 Depth=2
	v_xor_b32_e32 v4, 0x7fffffff, v19
	v_lshlrev_b32_e32 v5, 2, v48
	s_delay_alu instid0(VALU_DEP_2) | instskip(NEXT) | instid1(VALU_DEP_1)
	v_lshrrev_b32_e32 v4, s57, v4
	v_and_b32_e32 v4, s39, v4
	s_delay_alu instid0(VALU_DEP_1) | instskip(SKIP_2) | instid1(SALU_CYCLE_1)
	v_lshl_or_b32 v4, v4, 4, v5
	ds_add_u32 v4, v92
	s_or_b32 exec_lo, exec_lo, s0
	s_mov_b32 s0, exec_lo
	v_cmpx_lt_u32_e64 v45, v21
	s_cbranch_execnz .LBB534_655
.LBB534_640:                            ;   in Loop: Header=BB534_614 Depth=2
	s_or_b32 exec_lo, exec_lo, s0
	s_delay_alu instid0(SALU_CYCLE_1)
	s_mov_b32 s0, exec_lo
	v_cmpx_lt_u32_e64 v46, v21
	s_cbranch_execz .LBB534_656
.LBB534_641:                            ;   in Loop: Header=BB534_614 Depth=2
	v_xor_b32_e32 v4, 0x7fffffff, v17
	v_lshlrev_b32_e32 v5, 2, v48
	s_delay_alu instid0(VALU_DEP_2) | instskip(NEXT) | instid1(VALU_DEP_1)
	v_lshrrev_b32_e32 v4, s57, v4
	v_and_b32_e32 v4, s39, v4
	s_delay_alu instid0(VALU_DEP_1) | instskip(SKIP_2) | instid1(SALU_CYCLE_1)
	v_lshl_or_b32 v4, v4, 4, v5
	ds_add_u32 v4, v92
	s_or_b32 exec_lo, exec_lo, s0
	s_mov_b32 s0, exec_lo
	v_cmpx_lt_u32_e64 v47, v21
	s_cbranch_execnz .LBB534_657
.LBB534_642:                            ;   in Loop: Header=BB534_614 Depth=2
	s_or_b32 exec_lo, exec_lo, s0
	s_delay_alu instid0(SALU_CYCLE_1)
	s_mov_b32 s0, exec_lo
	v_cmpx_lt_u32_e64 v51, v21
	s_cbranch_execz .LBB534_658
.LBB534_643:                            ;   in Loop: Header=BB534_614 Depth=2
	v_xor_b32_e32 v4, 0x7fffffff, v15
	v_lshlrev_b32_e32 v5, 2, v48
	s_delay_alu instid0(VALU_DEP_2) | instskip(NEXT) | instid1(VALU_DEP_1)
	v_lshrrev_b32_e32 v4, s57, v4
	v_and_b32_e32 v4, s39, v4
	s_delay_alu instid0(VALU_DEP_1) | instskip(SKIP_2) | instid1(SALU_CYCLE_1)
	v_lshl_or_b32 v4, v4, 4, v5
	ds_add_u32 v4, v92
	s_or_b32 exec_lo, exec_lo, s0
	s_mov_b32 s0, exec_lo
	v_cmpx_lt_u32_e64 v52, v21
	s_cbranch_execnz .LBB534_659
.LBB534_644:                            ;   in Loop: Header=BB534_614 Depth=2
	s_or_b32 exec_lo, exec_lo, s0
	s_delay_alu instid0(SALU_CYCLE_1)
	s_mov_b32 s0, exec_lo
	v_cmpx_lt_u32_e64 v53, v21
	s_cbranch_execz .LBB534_660
.LBB534_645:                            ;   in Loop: Header=BB534_614 Depth=2
	v_xor_b32_e32 v4, 0x7fffffff, v13
	v_lshlrev_b32_e32 v5, 2, v48
	s_delay_alu instid0(VALU_DEP_2) | instskip(NEXT) | instid1(VALU_DEP_1)
	v_lshrrev_b32_e32 v4, s57, v4
	v_and_b32_e32 v4, s39, v4
	s_delay_alu instid0(VALU_DEP_1) | instskip(SKIP_2) | instid1(SALU_CYCLE_1)
	v_lshl_or_b32 v4, v4, 4, v5
	ds_add_u32 v4, v92
	s_or_b32 exec_lo, exec_lo, s0
	s_mov_b32 s0, exec_lo
	v_cmpx_lt_u32_e64 v54, v21
	s_cbranch_execnz .LBB534_661
.LBB534_646:                            ;   in Loop: Header=BB534_614 Depth=2
	s_or_b32 exec_lo, exec_lo, s0
	s_delay_alu instid0(SALU_CYCLE_1)
	s_mov_b32 s0, exec_lo
	v_cmpx_lt_u32_e64 v55, v21
	s_cbranch_execz .LBB534_662
.LBB534_647:                            ;   in Loop: Header=BB534_614 Depth=2
	v_xor_b32_e32 v4, 0x7fffffff, v11
	v_lshlrev_b32_e32 v5, 2, v48
	s_delay_alu instid0(VALU_DEP_2) | instskip(NEXT) | instid1(VALU_DEP_1)
	v_lshrrev_b32_e32 v4, s57, v4
	v_and_b32_e32 v4, s39, v4
	s_delay_alu instid0(VALU_DEP_1) | instskip(SKIP_2) | instid1(SALU_CYCLE_1)
	v_lshl_or_b32 v4, v4, 4, v5
	ds_add_u32 v4, v92
	s_or_b32 exec_lo, exec_lo, s0
	s_mov_b32 s0, exec_lo
	v_cmpx_lt_u32_e64 v56, v21
	s_cbranch_execnz .LBB534_663
.LBB534_648:                            ;   in Loop: Header=BB534_614 Depth=2
	s_or_b32 exec_lo, exec_lo, s0
	s_delay_alu instid0(SALU_CYCLE_1)
	s_mov_b32 s0, exec_lo
	v_cmpx_lt_u32_e64 v57, v21
	s_cbranch_execz .LBB534_664
.LBB534_649:                            ;   in Loop: Header=BB534_614 Depth=2
	v_xor_b32_e32 v4, 0x7fffffff, v9
	v_lshlrev_b32_e32 v5, 2, v48
	s_delay_alu instid0(VALU_DEP_2) | instskip(NEXT) | instid1(VALU_DEP_1)
	v_lshrrev_b32_e32 v4, s57, v4
	v_and_b32_e32 v4, s39, v4
	s_delay_alu instid0(VALU_DEP_1) | instskip(SKIP_2) | instid1(SALU_CYCLE_1)
	v_lshl_or_b32 v4, v4, 4, v5
	ds_add_u32 v4, v92
	s_or_b32 exec_lo, exec_lo, s0
	s_mov_b32 s0, exec_lo
	v_cmpx_lt_u32_e64 v58, v21
	s_cbranch_execnz .LBB534_665
.LBB534_650:                            ;   in Loop: Header=BB534_614 Depth=2
	s_or_b32 exec_lo, exec_lo, s0
	s_delay_alu instid0(SALU_CYCLE_1)
	s_mov_b32 s0, exec_lo
	v_cmpx_lt_u32_e64 v59, v21
	s_cbranch_execz .LBB534_666
.LBB534_651:                            ;   in Loop: Header=BB534_614 Depth=2
	v_xor_b32_e32 v4, 0x7fffffff, v7
	v_lshlrev_b32_e32 v5, 2, v48
	s_delay_alu instid0(VALU_DEP_2) | instskip(NEXT) | instid1(VALU_DEP_1)
	v_lshrrev_b32_e32 v4, s57, v4
	v_and_b32_e32 v4, s39, v4
	s_delay_alu instid0(VALU_DEP_1) | instskip(SKIP_2) | instid1(SALU_CYCLE_1)
	v_lshl_or_b32 v4, v4, 4, v5
	ds_add_u32 v4, v92
	s_or_b32 exec_lo, exec_lo, s0
	s_mov_b32 s0, exec_lo
	v_cmpx_lt_u32_e64 v60, v21
	s_cbranch_execnz .LBB534_667
.LBB534_652:                            ;   in Loop: Header=BB534_614 Depth=2
	s_or_b32 exec_lo, exec_lo, s0
	s_delay_alu instid0(SALU_CYCLE_1)
	s_mov_b32 s0, exec_lo
	v_cmpx_lt_u32_e64 v61, v21
	s_cbranch_execz .LBB534_668
.LBB534_653:                            ;   in Loop: Header=BB534_614 Depth=2
	v_xor_b32_e32 v4, 0x7fffffff, v2
	v_lshlrev_b32_e32 v5, 2, v48
	s_delay_alu instid0(VALU_DEP_2) | instskip(NEXT) | instid1(VALU_DEP_1)
	v_lshrrev_b32_e32 v4, s57, v4
	v_and_b32_e32 v4, s39, v4
	s_delay_alu instid0(VALU_DEP_1) | instskip(SKIP_2) | instid1(SALU_CYCLE_1)
	v_lshl_or_b32 v4, v4, 4, v5
	ds_add_u32 v4, v92
	s_or_b32 exec_lo, exec_lo, s0
	s_mov_b32 s0, exec_lo
	v_cmpx_lt_u32_e64 v63, v21
	s_cbranch_execz .LBB534_613
	s_branch .LBB534_669
.LBB534_654:                            ;   in Loop: Header=BB534_614 Depth=2
	s_or_b32 exec_lo, exec_lo, s0
	s_delay_alu instid0(SALU_CYCLE_1)
	s_mov_b32 s0, exec_lo
	v_cmpx_lt_u32_e64 v45, v21
	s_cbranch_execz .LBB534_640
.LBB534_655:                            ;   in Loop: Header=BB534_614 Depth=2
	v_xor_b32_e32 v4, 0x7fffffff, v18
	v_lshlrev_b32_e32 v5, 2, v48
	s_delay_alu instid0(VALU_DEP_2) | instskip(NEXT) | instid1(VALU_DEP_1)
	v_lshrrev_b32_e32 v4, s57, v4
	v_and_b32_e32 v4, s39, v4
	s_delay_alu instid0(VALU_DEP_1) | instskip(SKIP_2) | instid1(SALU_CYCLE_1)
	v_lshl_or_b32 v4, v4, 4, v5
	ds_add_u32 v4, v92
	s_or_b32 exec_lo, exec_lo, s0
	s_mov_b32 s0, exec_lo
	v_cmpx_lt_u32_e64 v46, v21
	s_cbranch_execnz .LBB534_641
.LBB534_656:                            ;   in Loop: Header=BB534_614 Depth=2
	s_or_b32 exec_lo, exec_lo, s0
	s_delay_alu instid0(SALU_CYCLE_1)
	s_mov_b32 s0, exec_lo
	v_cmpx_lt_u32_e64 v47, v21
	s_cbranch_execz .LBB534_642
.LBB534_657:                            ;   in Loop: Header=BB534_614 Depth=2
	v_xor_b32_e32 v4, 0x7fffffff, v16
	v_lshlrev_b32_e32 v5, 2, v48
	s_delay_alu instid0(VALU_DEP_2) | instskip(NEXT) | instid1(VALU_DEP_1)
	v_lshrrev_b32_e32 v4, s57, v4
	v_and_b32_e32 v4, s39, v4
	s_delay_alu instid0(VALU_DEP_1) | instskip(SKIP_2) | instid1(SALU_CYCLE_1)
	v_lshl_or_b32 v4, v4, 4, v5
	ds_add_u32 v4, v92
	s_or_b32 exec_lo, exec_lo, s0
	s_mov_b32 s0, exec_lo
	v_cmpx_lt_u32_e64 v51, v21
	s_cbranch_execnz .LBB534_643
.LBB534_658:                            ;   in Loop: Header=BB534_614 Depth=2
	s_or_b32 exec_lo, exec_lo, s0
	s_delay_alu instid0(SALU_CYCLE_1)
	s_mov_b32 s0, exec_lo
	v_cmpx_lt_u32_e64 v52, v21
	s_cbranch_execz .LBB534_644
.LBB534_659:                            ;   in Loop: Header=BB534_614 Depth=2
	v_xor_b32_e32 v4, 0x7fffffff, v14
	v_lshlrev_b32_e32 v5, 2, v48
	s_delay_alu instid0(VALU_DEP_2) | instskip(NEXT) | instid1(VALU_DEP_1)
	v_lshrrev_b32_e32 v4, s57, v4
	v_and_b32_e32 v4, s39, v4
	s_delay_alu instid0(VALU_DEP_1) | instskip(SKIP_2) | instid1(SALU_CYCLE_1)
	v_lshl_or_b32 v4, v4, 4, v5
	ds_add_u32 v4, v92
	s_or_b32 exec_lo, exec_lo, s0
	s_mov_b32 s0, exec_lo
	v_cmpx_lt_u32_e64 v53, v21
	s_cbranch_execnz .LBB534_645
.LBB534_660:                            ;   in Loop: Header=BB534_614 Depth=2
	s_or_b32 exec_lo, exec_lo, s0
	s_delay_alu instid0(SALU_CYCLE_1)
	s_mov_b32 s0, exec_lo
	v_cmpx_lt_u32_e64 v54, v21
	s_cbranch_execz .LBB534_646
.LBB534_661:                            ;   in Loop: Header=BB534_614 Depth=2
	v_xor_b32_e32 v4, 0x7fffffff, v12
	v_lshlrev_b32_e32 v5, 2, v48
	s_delay_alu instid0(VALU_DEP_2) | instskip(NEXT) | instid1(VALU_DEP_1)
	v_lshrrev_b32_e32 v4, s57, v4
	v_and_b32_e32 v4, s39, v4
	s_delay_alu instid0(VALU_DEP_1) | instskip(SKIP_2) | instid1(SALU_CYCLE_1)
	v_lshl_or_b32 v4, v4, 4, v5
	ds_add_u32 v4, v92
	s_or_b32 exec_lo, exec_lo, s0
	s_mov_b32 s0, exec_lo
	v_cmpx_lt_u32_e64 v55, v21
	s_cbranch_execnz .LBB534_647
.LBB534_662:                            ;   in Loop: Header=BB534_614 Depth=2
	s_or_b32 exec_lo, exec_lo, s0
	s_delay_alu instid0(SALU_CYCLE_1)
	s_mov_b32 s0, exec_lo
	v_cmpx_lt_u32_e64 v56, v21
	s_cbranch_execz .LBB534_648
.LBB534_663:                            ;   in Loop: Header=BB534_614 Depth=2
	v_xor_b32_e32 v4, 0x7fffffff, v10
	v_lshlrev_b32_e32 v5, 2, v48
	s_delay_alu instid0(VALU_DEP_2) | instskip(NEXT) | instid1(VALU_DEP_1)
	v_lshrrev_b32_e32 v4, s57, v4
	v_and_b32_e32 v4, s39, v4
	s_delay_alu instid0(VALU_DEP_1) | instskip(SKIP_2) | instid1(SALU_CYCLE_1)
	v_lshl_or_b32 v4, v4, 4, v5
	ds_add_u32 v4, v92
	s_or_b32 exec_lo, exec_lo, s0
	s_mov_b32 s0, exec_lo
	v_cmpx_lt_u32_e64 v57, v21
	s_cbranch_execnz .LBB534_649
.LBB534_664:                            ;   in Loop: Header=BB534_614 Depth=2
	s_or_b32 exec_lo, exec_lo, s0
	s_delay_alu instid0(SALU_CYCLE_1)
	s_mov_b32 s0, exec_lo
	v_cmpx_lt_u32_e64 v58, v21
	s_cbranch_execz .LBB534_650
.LBB534_665:                            ;   in Loop: Header=BB534_614 Depth=2
	v_xor_b32_e32 v4, 0x7fffffff, v8
	v_lshlrev_b32_e32 v5, 2, v48
	s_delay_alu instid0(VALU_DEP_2) | instskip(NEXT) | instid1(VALU_DEP_1)
	v_lshrrev_b32_e32 v4, s57, v4
	v_and_b32_e32 v4, s39, v4
	s_delay_alu instid0(VALU_DEP_1) | instskip(SKIP_2) | instid1(SALU_CYCLE_1)
	v_lshl_or_b32 v4, v4, 4, v5
	ds_add_u32 v4, v92
	s_or_b32 exec_lo, exec_lo, s0
	s_mov_b32 s0, exec_lo
	v_cmpx_lt_u32_e64 v59, v21
	s_cbranch_execnz .LBB534_651
.LBB534_666:                            ;   in Loop: Header=BB534_614 Depth=2
	s_or_b32 exec_lo, exec_lo, s0
	s_delay_alu instid0(SALU_CYCLE_1)
	s_mov_b32 s0, exec_lo
	v_cmpx_lt_u32_e64 v60, v21
	s_cbranch_execz .LBB534_652
.LBB534_667:                            ;   in Loop: Header=BB534_614 Depth=2
	v_xor_b32_e32 v4, 0x7fffffff, v6
	v_lshlrev_b32_e32 v5, 2, v48
	s_delay_alu instid0(VALU_DEP_2) | instskip(NEXT) | instid1(VALU_DEP_1)
	v_lshrrev_b32_e32 v4, s57, v4
	v_and_b32_e32 v4, s39, v4
	s_delay_alu instid0(VALU_DEP_1) | instskip(SKIP_2) | instid1(SALU_CYCLE_1)
	v_lshl_or_b32 v4, v4, 4, v5
	ds_add_u32 v4, v92
	s_or_b32 exec_lo, exec_lo, s0
	s_mov_b32 s0, exec_lo
	v_cmpx_lt_u32_e64 v61, v21
	s_cbranch_execnz .LBB534_653
.LBB534_668:                            ;   in Loop: Header=BB534_614 Depth=2
	s_or_b32 exec_lo, exec_lo, s0
	s_delay_alu instid0(SALU_CYCLE_1)
	s_mov_b32 s0, exec_lo
	v_cmpx_lt_u32_e64 v63, v21
	s_cbranch_execz .LBB534_613
.LBB534_669:                            ;   in Loop: Header=BB534_614 Depth=2
	s_waitcnt vmcnt(0)
	v_xor_b32_e32 v4, 0x7fffffff, v20
	v_lshlrev_b32_e32 v5, 2, v48
	s_delay_alu instid0(VALU_DEP_2) | instskip(NEXT) | instid1(VALU_DEP_1)
	v_lshrrev_b32_e32 v4, s57, v4
	v_and_b32_e32 v4, s39, v4
	s_delay_alu instid0(VALU_DEP_1)
	v_lshl_or_b32 v4, v4, 4, v5
	ds_add_u32 v4, v92
	s_branch .LBB534_613
.LBB534_670:                            ;   in Loop: Header=BB534_614 Depth=2
	s_or_b32 exec_lo, exec_lo, s11
	s_delay_alu instid0(SALU_CYCLE_1)
	s_mov_b32 s11, exec_lo
	v_cmpx_gt_u32_e64 s8, v45
	s_cbranch_execz .LBB534_620
.LBB534_671:                            ;   in Loop: Header=BB534_614 Depth=2
	global_load_b32 v18, v93, s[0:1] offset:1024
	s_or_b32 exec_lo, exec_lo, s11
	s_delay_alu instid0(SALU_CYCLE_1)
	s_mov_b32 s11, exec_lo
	v_cmpx_gt_u32_e64 s8, v46
	s_cbranch_execnz .LBB534_621
.LBB534_672:                            ;   in Loop: Header=BB534_614 Depth=2
	s_or_b32 exec_lo, exec_lo, s11
	s_delay_alu instid0(SALU_CYCLE_1)
	s_mov_b32 s11, exec_lo
	v_cmpx_gt_u32_e64 s8, v47
	s_cbranch_execz .LBB534_622
.LBB534_673:                            ;   in Loop: Header=BB534_614 Depth=2
	global_load_b32 v16, v93, s[0:1] offset:3072
	s_or_b32 exec_lo, exec_lo, s11
	s_delay_alu instid0(SALU_CYCLE_1)
	s_mov_b32 s11, exec_lo
	v_cmpx_gt_u32_e64 s8, v51
	s_cbranch_execnz .LBB534_623
.LBB534_674:                            ;   in Loop: Header=BB534_614 Depth=2
	s_or_b32 exec_lo, exec_lo, s11
	s_delay_alu instid0(SALU_CYCLE_1)
	s_mov_b32 s11, exec_lo
	v_cmpx_gt_u32_e64 s8, v52
	s_cbranch_execz .LBB534_624
.LBB534_675:                            ;   in Loop: Header=BB534_614 Depth=2
	global_load_b32 v14, v95, s[0:1]
	s_or_b32 exec_lo, exec_lo, s11
	s_delay_alu instid0(SALU_CYCLE_1)
	s_mov_b32 s11, exec_lo
	v_cmpx_gt_u32_e64 s8, v53
	s_cbranch_execnz .LBB534_625
.LBB534_676:                            ;   in Loop: Header=BB534_614 Depth=2
	s_or_b32 exec_lo, exec_lo, s11
	s_delay_alu instid0(SALU_CYCLE_1)
	s_mov_b32 s11, exec_lo
	v_cmpx_gt_u32_e64 s8, v54
	s_cbranch_execz .LBB534_626
.LBB534_677:                            ;   in Loop: Header=BB534_614 Depth=2
	global_load_b32 v12, v97, s[0:1]
	s_or_b32 exec_lo, exec_lo, s11
	s_delay_alu instid0(SALU_CYCLE_1)
	s_mov_b32 s11, exec_lo
	v_cmpx_gt_u32_e64 s8, v55
	s_cbranch_execnz .LBB534_627
.LBB534_678:                            ;   in Loop: Header=BB534_614 Depth=2
	s_or_b32 exec_lo, exec_lo, s11
	s_delay_alu instid0(SALU_CYCLE_1)
	s_mov_b32 s11, exec_lo
	v_cmpx_gt_u32_e64 s8, v56
	s_cbranch_execz .LBB534_628
.LBB534_679:                            ;   in Loop: Header=BB534_614 Depth=2
	global_load_b32 v10, v99, s[0:1]
	s_or_b32 exec_lo, exec_lo, s11
	s_delay_alu instid0(SALU_CYCLE_1)
	s_mov_b32 s11, exec_lo
	v_cmpx_gt_u32_e64 s8, v57
	s_cbranch_execnz .LBB534_629
.LBB534_680:                            ;   in Loop: Header=BB534_614 Depth=2
	s_or_b32 exec_lo, exec_lo, s11
	s_delay_alu instid0(SALU_CYCLE_1)
	s_mov_b32 s11, exec_lo
	v_cmpx_gt_u32_e64 s8, v58
	s_cbranch_execz .LBB534_630
.LBB534_681:                            ;   in Loop: Header=BB534_614 Depth=2
	global_load_b32 v8, v101, s[0:1]
	s_or_b32 exec_lo, exec_lo, s11
	s_delay_alu instid0(SALU_CYCLE_1)
	s_mov_b32 s11, exec_lo
	v_cmpx_gt_u32_e64 s8, v59
	s_cbranch_execnz .LBB534_631
.LBB534_682:                            ;   in Loop: Header=BB534_614 Depth=2
	s_or_b32 exec_lo, exec_lo, s11
	s_delay_alu instid0(SALU_CYCLE_1)
	s_mov_b32 s11, exec_lo
	v_cmpx_gt_u32_e64 s8, v60
	s_cbranch_execz .LBB534_632
.LBB534_683:                            ;   in Loop: Header=BB534_614 Depth=2
	global_load_b32 v6, v103, s[0:1]
	s_or_b32 exec_lo, exec_lo, s11
	s_delay_alu instid0(SALU_CYCLE_1)
	s_mov_b32 s11, exec_lo
	v_cmpx_gt_u32_e64 s8, v61
	s_cbranch_execz .LBB534_634
	s_branch .LBB534_633
.LBB534_684:                            ;   in Loop: Header=BB534_20 Depth=1
	v_mov_b32_e32 v2, 0
	s_waitcnt vmcnt(0) lgkmcnt(0)
	s_barrier
	buffer_gl0_inv
	s_and_saveexec_b32 s0, s2
	s_cbranch_execz .LBB534_686
; %bb.685:                              ;   in Loop: Header=BB534_20 Depth=1
	ds_load_2addr_b64 v[4:7], v64 offset1:1
	s_waitcnt lgkmcnt(0)
	v_add_nc_u32_e32 v2, v5, v4
	s_delay_alu instid0(VALU_DEP_1)
	v_add3_u32 v2, v2, v6, v7
.LBB534_686:                            ;   in Loop: Header=BB534_20 Depth=1
	s_or_b32 exec_lo, exec_lo, s0
	v_and_b32_e32 v4, 15, v106
	s_delay_alu instid0(VALU_DEP_2) | instskip(SKIP_1) | instid1(VALU_DEP_3)
	v_mov_b32_dpp v5, v2 row_shr:1 row_mask:0xf bank_mask:0xf
	v_and_b32_e32 v6, 16, v106
	v_cmp_eq_u32_e64 s0, 0, v4
	v_cmp_lt_u32_e64 s1, 1, v4
	v_cmp_lt_u32_e64 s8, 3, v4
	;; [unrolled: 1-line block ×3, first 2 shown]
	v_cmp_eq_u32_e64 s10, 0, v6
	v_cndmask_b32_e64 v5, v5, 0, s0
	s_delay_alu instid0(VALU_DEP_1) | instskip(NEXT) | instid1(VALU_DEP_1)
	v_add_nc_u32_e32 v2, v5, v2
	v_mov_b32_dpp v5, v2 row_shr:2 row_mask:0xf bank_mask:0xf
	s_delay_alu instid0(VALU_DEP_1) | instskip(NEXT) | instid1(VALU_DEP_1)
	v_cndmask_b32_e64 v5, 0, v5, s1
	v_add_nc_u32_e32 v2, v2, v5
	s_delay_alu instid0(VALU_DEP_1) | instskip(NEXT) | instid1(VALU_DEP_1)
	v_mov_b32_dpp v5, v2 row_shr:4 row_mask:0xf bank_mask:0xf
	v_cndmask_b32_e64 v5, 0, v5, s8
	s_delay_alu instid0(VALU_DEP_1) | instskip(NEXT) | instid1(VALU_DEP_1)
	v_add_nc_u32_e32 v2, v2, v5
	v_mov_b32_dpp v5, v2 row_shr:8 row_mask:0xf bank_mask:0xf
	s_delay_alu instid0(VALU_DEP_1) | instskip(SKIP_1) | instid1(VALU_DEP_2)
	v_cndmask_b32_e64 v4, 0, v5, s9
	v_bfe_i32 v5, v106, 4, 1
	v_add_nc_u32_e32 v2, v2, v4
	ds_swizzle_b32 v4, v2 offset:swizzle(BROADCAST,32,15)
	s_waitcnt lgkmcnt(0)
	v_and_b32_e32 v4, v5, v4
	s_delay_alu instid0(VALU_DEP_1)
	v_add_nc_u32_e32 v4, v2, v4
	s_and_saveexec_b32 s11, s3
	s_cbranch_execz .LBB534_688
; %bb.687:                              ;   in Loop: Header=BB534_20 Depth=1
	ds_store_b32 v65, v4
.LBB534_688:                            ;   in Loop: Header=BB534_20 Depth=1
	s_or_b32 exec_lo, exec_lo, s11
	v_and_b32_e32 v2, 7, v106
	s_waitcnt lgkmcnt(0)
	s_barrier
	buffer_gl0_inv
	s_and_saveexec_b32 s11, s4
	s_cbranch_execz .LBB534_690
; %bb.689:                              ;   in Loop: Header=BB534_20 Depth=1
	ds_load_b32 v5, v66
	v_cmp_ne_u32_e32 vcc_lo, 0, v2
	s_waitcnt lgkmcnt(0)
	v_mov_b32_dpp v6, v5 row_shr:1 row_mask:0xf bank_mask:0xf
	s_delay_alu instid0(VALU_DEP_1) | instskip(SKIP_1) | instid1(VALU_DEP_2)
	v_cndmask_b32_e32 v6, 0, v6, vcc_lo
	v_cmp_lt_u32_e32 vcc_lo, 1, v2
	v_add_nc_u32_e32 v5, v6, v5
	s_delay_alu instid0(VALU_DEP_1) | instskip(NEXT) | instid1(VALU_DEP_1)
	v_mov_b32_dpp v6, v5 row_shr:2 row_mask:0xf bank_mask:0xf
	v_cndmask_b32_e32 v6, 0, v6, vcc_lo
	v_cmp_lt_u32_e32 vcc_lo, 3, v2
	s_delay_alu instid0(VALU_DEP_2) | instskip(NEXT) | instid1(VALU_DEP_1)
	v_add_nc_u32_e32 v5, v5, v6
	v_mov_b32_dpp v6, v5 row_shr:4 row_mask:0xf bank_mask:0xf
	s_delay_alu instid0(VALU_DEP_1) | instskip(NEXT) | instid1(VALU_DEP_1)
	v_cndmask_b32_e32 v6, 0, v6, vcc_lo
	v_add_nc_u32_e32 v5, v5, v6
	ds_store_b32 v66, v5
.LBB534_690:                            ;   in Loop: Header=BB534_20 Depth=1
	s_or_b32 exec_lo, exec_lo, s11
	v_mov_b32_e32 v5, 0
	s_waitcnt lgkmcnt(0)
	s_barrier
	buffer_gl0_inv
	s_and_saveexec_b32 s11, s5
	s_cbranch_execz .LBB534_692
; %bb.691:                              ;   in Loop: Header=BB534_20 Depth=1
	ds_load_b32 v5, v67
.LBB534_692:                            ;   in Loop: Header=BB534_20 Depth=1
	s_or_b32 exec_lo, exec_lo, s11
	v_add_nc_u32_e32 v6, -1, v106
	s_waitcnt lgkmcnt(0)
	v_add_nc_u32_e32 v4, v5, v4
	v_cmp_eq_u32_e64 s11, 0, v106
	s_barrier
	v_cmp_gt_i32_e32 vcc_lo, 0, v6
	buffer_gl0_inv
	v_cndmask_b32_e32 v6, v6, v106, vcc_lo
	s_delay_alu instid0(VALU_DEP_1)
	v_lshlrev_b32_e32 v107, 2, v6
	ds_bpermute_b32 v4, v107, v4
	s_and_saveexec_b32 s12, s2
	s_cbranch_execz .LBB534_694
; %bb.693:                              ;   in Loop: Header=BB534_20 Depth=1
	s_waitcnt lgkmcnt(0)
	v_cndmask_b32_e64 v4, v4, v5, s11
	s_delay_alu instid0(VALU_DEP_1)
	v_add_nc_u32_e32 v4, s60, v4
	ds_store_b32 v44, v4
.LBB534_694:                            ;   in Loop: Header=BB534_20 Depth=1
	s_or_b32 exec_lo, exec_lo, s12
	s_load_b64 s[12:13], s[36:37], 0x0
	v_lshlrev_b32_e32 v5, 3, v106
	v_or_b32_e32 v108, v106, v68
	s_mov_b32 s40, s62
	s_mov_b32 s34, s60
                                        ; implicit-def: $vgpr8_vgpr9
                                        ; implicit-def: $vgpr10_vgpr11
                                        ; implicit-def: $vgpr12_vgpr13
                                        ; implicit-def: $vgpr14_vgpr15
                                        ; implicit-def: $vgpr16_vgpr17
                                        ; implicit-def: $vgpr18_vgpr19
                                        ; implicit-def: $vgpr20_vgpr21
                                        ; implicit-def: $vgpr22_vgpr23
                                        ; implicit-def: $vgpr24_vgpr25
                                        ; implicit-def: $vgpr26_vgpr27
                                        ; implicit-def: $vgpr28_vgpr29
                                        ; implicit-def: $vgpr30_vgpr31
                                        ; implicit-def: $vgpr32_vgpr33
                                        ; implicit-def: $vgpr34_vgpr35
                                        ; implicit-def: $vgpr131
                                        ; implicit-def: $vgpr132
                                        ; implicit-def: $vgpr133
                                        ; implicit-def: $vgpr134
                                        ; implicit-def: $vgpr135
                                        ; implicit-def: $vgpr136
                                        ; implicit-def: $vgpr137
                                        ; implicit-def: $vgpr138
                                        ; implicit-def: $vgpr139
                                        ; implicit-def: $vgpr140
                                        ; implicit-def: $vgpr141
                                        ; implicit-def: $vgpr142
                                        ; implicit-def: $vgpr143
                                        ; implicit-def: $vgpr144
                                        ; implicit-def: $vgpr145
                                        ; implicit-def: $vgpr146
	s_delay_alu instid0(VALU_DEP_2)
	v_add_co_u32 v109, vcc_lo, v88, v5
	v_add_co_ci_u32_e32 v110, vcc_lo, 0, v89, vcc_lo
	v_or_b32_e32 v111, 32, v108
	v_or_b32_e32 v112, 64, v108
	;; [unrolled: 1-line block ×10, first 2 shown]
	s_waitcnt lgkmcnt(0)
	s_cmp_lt_u32 s15, s13
	v_or_b32_e32 v121, 0x160, v108
	s_cselect_b32 s13, 14, 20
	v_or_b32_e32 v122, 0x180, v108
	s_add_u32 s16, s36, s13
	s_addc_u32 s17, s37, 0
	s_cmp_lt_u32 s14, s12
	global_load_u16 v4, v3, s[16:17]
	s_cselect_b32 s12, 12, 18
	v_or_b32_e32 v123, 0x1a0, v108
	s_add_u32 s12, s36, s12
	s_addc_u32 s13, s37, 0
	v_or_b32_e32 v124, 0x1c0, v108
	global_load_u16 v6, v3, s[12:13]
	v_cmp_eq_u32_e64 s12, 0, v2
	v_cmp_lt_u32_e64 s13, 1, v2
	v_cmp_lt_u32_e64 s16, 3, v2
	v_lshlrev_b32_e32 v2, 2, v106
	v_or_b32_e32 v125, 0x1e0, v108
	s_delay_alu instid0(VALU_DEP_2) | instskip(SKIP_1) | instid1(VALU_DEP_2)
	v_add_co_u32 v126, vcc_lo, v90, v2
	v_add_co_ci_u32_e32 v127, vcc_lo, 0, v91, vcc_lo
	v_add_co_u32 v129, vcc_lo, 0x780, v126
	s_delay_alu instid0(VALU_DEP_2) | instskip(SKIP_3) | instid1(VALU_DEP_1)
	v_add_co_ci_u32_e32 v130, vcc_lo, 0, v127, vcc_lo
	s_waitcnt vmcnt(1)
	v_mad_u32_u24 v7, v69, v4, v0
	s_waitcnt vmcnt(0)
	v_mad_u64_u32 v[4:5], null, v7, v6, v[1:2]
                                        ; implicit-def: $vgpr6_vgpr7
	s_delay_alu instid0(VALU_DEP_1)
	v_lshrrev_b32_e32 v128, 5, v4
                                        ; implicit-def: $vgpr4_vgpr5
	s_branch .LBB534_696
.LBB534_695:                            ;   in Loop: Header=BB534_696 Depth=2
	s_or_b32 exec_lo, exec_lo, s17
	s_addk_i32 s40, 0xf000
	s_cmp_lt_u32 s41, s61
	s_mov_b32 s34, s41
	s_cbranch_scc0 .LBB534_904
.LBB534_696:                            ;   Parent Loop BB534_20 Depth=1
                                        ; =>  This Inner Loop Header: Depth=2
	s_add_i32 s41, s34, 0x1000
	s_delay_alu instid0(SALU_CYCLE_1)
	s_cmp_gt_u32 s41, s61
	s_cbranch_scc1 .LBB534_699
; %bb.697:                              ;   in Loop: Header=BB534_696 Depth=2
	s_mov_b32 s19, 0
	s_mov_b32 s18, s34
	s_movk_i32 s17, 0x1000
	s_lshl_b64 s[20:21], s[18:19], 2
	s_delay_alu instid0(SALU_CYCLE_1)
	v_add_co_u32 v36, vcc_lo, v126, s20
	v_add_co_ci_u32_e32 v37, vcc_lo, s21, v127, vcc_lo
	s_mov_b32 s20, -1
	s_clause 0xe
	global_load_b32 v2, v[36:37], off
	global_load_b32 v148, v[36:37], off offset:128
	global_load_b32 v151, v[36:37], off offset:256
	;; [unrolled: 1-line block ×14, first 2 shown]
	s_cbranch_execz .LBB534_700
; %bb.698:                              ;   in Loop: Header=BB534_696 Depth=2
                                        ; implicit-def: $sgpr21
	v_dual_mov_b32 v36, s21 :: v_dual_mov_b32 v147, s40
	s_and_saveexec_b32 s21, s20
	s_cbranch_execnz .LBB534_731
	s_branch .LBB534_732
.LBB534_699:                            ;   in Loop: Header=BB534_696 Depth=2
	s_mov_b32 s19, -1
	s_mov_b32 s20, 0
                                        ; implicit-def: $sgpr17
                                        ; implicit-def: $vgpr2
                                        ; implicit-def: $vgpr148
                                        ; implicit-def: $vgpr151
                                        ; implicit-def: $vgpr155
                                        ; implicit-def: $vgpr159
                                        ; implicit-def: $vgpr163
                                        ; implicit-def: $vgpr167
                                        ; implicit-def: $vgpr172
                                        ; implicit-def: $vgpr171
                                        ; implicit-def: $vgpr43
                                        ; implicit-def: $vgpr42
                                        ; implicit-def: $vgpr41
                                        ; implicit-def: $vgpr40
                                        ; implicit-def: $vgpr39
                                        ; implicit-def: $vgpr38
.LBB534_700:                            ;   in Loop: Header=BB534_696 Depth=2
	s_lshl_b64 s[18:19], s[34:35], 2
	s_waitcnt vmcnt(13)
	v_bfrev_b32_e32 v148, 1
	v_add_co_u32 v36, vcc_lo, v126, s18
	v_add_co_ci_u32_e32 v37, vcc_lo, s19, v127, vcc_lo
	v_bfrev_b32_e32 v2, 1
	s_mov_b32 s17, exec_lo
	v_cmpx_gt_u32_e64 s40, v108
	s_cbranch_execz .LBB534_702
; %bb.701:                              ;   in Loop: Header=BB534_696 Depth=2
	global_load_b32 v2, v[36:37], off
.LBB534_702:                            ;   in Loop: Header=BB534_696 Depth=2
	s_or_b32 exec_lo, exec_lo, s17
	s_delay_alu instid0(SALU_CYCLE_1)
	s_mov_b32 s17, exec_lo
	v_cmpx_gt_u32_e64 s40, v111
	s_cbranch_execz .LBB534_704
; %bb.703:                              ;   in Loop: Header=BB534_696 Depth=2
	global_load_b32 v148, v[36:37], off offset:128
.LBB534_704:                            ;   in Loop: Header=BB534_696 Depth=2
	s_or_b32 exec_lo, exec_lo, s17
	s_waitcnt vmcnt(11)
	v_bfrev_b32_e32 v155, 1
	v_bfrev_b32_e32 v151, 1
	s_mov_b32 s17, exec_lo
	v_cmpx_gt_u32_e64 s40, v112
	s_cbranch_execz .LBB534_706
; %bb.705:                              ;   in Loop: Header=BB534_696 Depth=2
	global_load_b32 v151, v[36:37], off offset:256
.LBB534_706:                            ;   in Loop: Header=BB534_696 Depth=2
	s_or_b32 exec_lo, exec_lo, s17
	s_delay_alu instid0(SALU_CYCLE_1)
	s_mov_b32 s17, exec_lo
	v_cmpx_gt_u32_e64 s40, v113
	s_cbranch_execz .LBB534_708
; %bb.707:                              ;   in Loop: Header=BB534_696 Depth=2
	global_load_b32 v155, v[36:37], off offset:384
.LBB534_708:                            ;   in Loop: Header=BB534_696 Depth=2
	s_or_b32 exec_lo, exec_lo, s17
	s_waitcnt vmcnt(9)
	v_bfrev_b32_e32 v163, 1
	v_bfrev_b32_e32 v159, 1
	s_mov_b32 s17, exec_lo
	v_cmpx_gt_u32_e64 s40, v114
	s_cbranch_execz .LBB534_710
; %bb.709:                              ;   in Loop: Header=BB534_696 Depth=2
	global_load_b32 v159, v[36:37], off offset:512
.LBB534_710:                            ;   in Loop: Header=BB534_696 Depth=2
	;; [unrolled: 18-line block ×6, first 2 shown]
	s_or_b32 exec_lo, exec_lo, s17
	s_delay_alu instid0(SALU_CYCLE_1)
	s_mov_b32 s17, exec_lo
	v_cmpx_gt_u32_e64 s40, v123
	s_cbranch_execz .LBB534_728
; %bb.727:                              ;   in Loop: Header=BB534_696 Depth=2
	global_load_b32 v39, v[36:37], off offset:1664
.LBB534_728:                            ;   in Loop: Header=BB534_696 Depth=2
	s_or_b32 exec_lo, exec_lo, s17
	s_waitcnt vmcnt(0)
	v_bfrev_b32_e32 v38, 1
	s_mov_b32 s17, exec_lo
	v_cmpx_gt_u32_e64 s40, v124
	s_cbranch_execz .LBB534_730
; %bb.729:                              ;   in Loop: Header=BB534_696 Depth=2
	global_load_b32 v38, v[36:37], off offset:1792
.LBB534_730:                            ;   in Loop: Header=BB534_696 Depth=2
	s_or_b32 exec_lo, exec_lo, s17
	v_cmp_gt_u32_e64 s20, s40, v125
	s_sub_i32 s17, s61, s34
	s_brev_b32 s21, 1
	s_mov_b64 s[18:19], s[34:35]
	v_dual_mov_b32 v36, s21 :: v_dual_mov_b32 v147, s40
	s_and_saveexec_b32 s21, s20
	s_cbranch_execz .LBB534_732
.LBB534_731:                            ;   in Loop: Header=BB534_696 Depth=2
	s_lshl_b64 s[18:19], s[18:19], 2
	v_mov_b32_e32 v147, s17
	v_add_co_u32 v36, vcc_lo, v129, s18
	v_add_co_ci_u32_e32 v37, vcc_lo, s19, v130, vcc_lo
	global_load_b32 v36, v[36:37], off
.LBB534_732:                            ;   in Loop: Header=BB534_696 Depth=2
	s_or_b32 exec_lo, exec_lo, s21
	s_waitcnt vmcnt(14)
	v_xor_b32_e32 v2, 0x7fffffff, v2
	ds_store_b32 v70, v3 offset:1056
	ds_store_2addr_b32 v71, v3, v3 offset0:1 offset1:2
	ds_store_2addr_b32 v71, v3, v3 offset0:3 offset1:4
	;; [unrolled: 1-line block ×4, first 2 shown]
	s_waitcnt vmcnt(0) lgkmcnt(0)
	s_barrier
	v_lshrrev_b32_e32 v37, s57, v2
	buffer_gl0_inv
	; wave barrier
	v_and_b32_e32 v150, s39, v37
	s_delay_alu instid0(VALU_DEP_1)
	v_and_b32_e32 v37, 1, v150
	v_lshlrev_b32_e32 v149, 30, v150
	v_lshlrev_b32_e32 v152, 29, v150
	;; [unrolled: 1-line block ×4, first 2 shown]
	v_add_co_u32 v37, s17, v37, -1
	s_delay_alu instid0(VALU_DEP_1)
	v_cndmask_b32_e64 v154, 0, 1, s17
	v_not_b32_e32 v160, v149
	v_cmp_gt_i32_e64 s17, 0, v149
	v_not_b32_e32 v149, v152
	v_lshlrev_b32_e32 v157, 26, v150
	v_cmp_ne_u32_e32 vcc_lo, 0, v154
	v_ashrrev_i32_e32 v160, 31, v160
	v_lshlrev_b32_e32 v158, 25, v150
	v_ashrrev_i32_e32 v149, 31, v149
	v_lshlrev_b32_e32 v154, 24, v150
	v_xor_b32_e32 v37, vcc_lo, v37
	v_cmp_gt_i32_e32 vcc_lo, 0, v152
	v_not_b32_e32 v152, v153
	v_xor_b32_e32 v160, s17, v160
	v_cmp_gt_i32_e64 s17, 0, v153
	v_and_b32_e32 v37, exec_lo, v37
	v_not_b32_e32 v153, v156
	v_ashrrev_i32_e32 v152, 31, v152
	v_xor_b32_e32 v149, vcc_lo, v149
	v_cmp_gt_i32_e32 vcc_lo, 0, v156
	v_and_b32_e32 v37, v37, v160
	v_not_b32_e32 v156, v157
	v_ashrrev_i32_e32 v153, 31, v153
	v_xor_b32_e32 v152, s17, v152
	v_cmp_gt_i32_e64 s17, 0, v157
	v_and_b32_e32 v37, v37, v149
	v_not_b32_e32 v149, v158
	v_ashrrev_i32_e32 v156, 31, v156
	v_xor_b32_e32 v153, vcc_lo, v153
	v_cmp_gt_i32_e32 vcc_lo, 0, v158
	v_and_b32_e32 v37, v37, v152
	v_not_b32_e32 v152, v154
	v_ashrrev_i32_e32 v149, 31, v149
	v_xor_b32_e32 v156, s17, v156
	v_cmp_gt_i32_e64 s17, 0, v154
	v_and_b32_e32 v37, v37, v153
	v_ashrrev_i32_e32 v152, 31, v152
	v_xor_b32_e32 v149, vcc_lo, v149
	v_mad_u32_u24 v150, v150, 9, v128
	s_delay_alu instid0(VALU_DEP_4) | instskip(NEXT) | instid1(VALU_DEP_4)
	v_and_b32_e32 v37, v37, v156
	v_xor_b32_e32 v152, s17, v152
	s_delay_alu instid0(VALU_DEP_3) | instskip(NEXT) | instid1(VALU_DEP_3)
	v_lshl_add_u32 v150, v150, 2, 0x420
	v_and_b32_e32 v37, v37, v149
	s_delay_alu instid0(VALU_DEP_1) | instskip(NEXT) | instid1(VALU_DEP_1)
	v_and_b32_e32 v37, v37, v152
	v_mbcnt_lo_u32_b32 v149, v37, 0
	v_cmp_ne_u32_e64 s17, 0, v37
	s_delay_alu instid0(VALU_DEP_2) | instskip(NEXT) | instid1(VALU_DEP_2)
	v_cmp_eq_u32_e32 vcc_lo, 0, v149
	s_and_b32 s18, s17, vcc_lo
	s_delay_alu instid0(SALU_CYCLE_1)
	s_and_saveexec_b32 s17, s18
	s_cbranch_execz .LBB534_734
; %bb.733:                              ;   in Loop: Header=BB534_696 Depth=2
	v_bcnt_u32_b32 v37, v37, 0
	ds_store_b32 v150, v37
.LBB534_734:                            ;   in Loop: Header=BB534_696 Depth=2
	s_or_b32 exec_lo, exec_lo, s17
	v_xor_b32_e32 v148, 0x7fffffff, v148
	; wave barrier
	s_delay_alu instid0(VALU_DEP_1) | instskip(NEXT) | instid1(VALU_DEP_1)
	v_lshrrev_b32_e32 v37, s57, v148
	v_and_b32_e32 v37, s39, v37
	s_delay_alu instid0(VALU_DEP_1)
	v_and_b32_e32 v152, 1, v37
	v_lshlrev_b32_e32 v153, 30, v37
	v_lshlrev_b32_e32 v154, 29, v37
	;; [unrolled: 1-line block ×4, first 2 shown]
	v_add_co_u32 v152, s17, v152, -1
	s_delay_alu instid0(VALU_DEP_1)
	v_cndmask_b32_e64 v157, 0, 1, s17
	v_not_b32_e32 v162, v153
	v_cmp_gt_i32_e64 s17, 0, v153
	v_not_b32_e32 v153, v154
	v_lshlrev_b32_e32 v160, 26, v37
	v_cmp_ne_u32_e32 vcc_lo, 0, v157
	v_ashrrev_i32_e32 v162, 31, v162
	v_lshlrev_b32_e32 v161, 25, v37
	v_ashrrev_i32_e32 v153, 31, v153
	v_lshlrev_b32_e32 v157, 24, v37
	v_xor_b32_e32 v152, vcc_lo, v152
	v_cmp_gt_i32_e32 vcc_lo, 0, v154
	v_not_b32_e32 v154, v156
	v_xor_b32_e32 v162, s17, v162
	v_cmp_gt_i32_e64 s17, 0, v156
	v_and_b32_e32 v152, exec_lo, v152
	v_not_b32_e32 v156, v158
	v_ashrrev_i32_e32 v154, 31, v154
	v_xor_b32_e32 v153, vcc_lo, v153
	v_cmp_gt_i32_e32 vcc_lo, 0, v158
	v_and_b32_e32 v152, v152, v162
	v_not_b32_e32 v158, v160
	v_ashrrev_i32_e32 v156, 31, v156
	v_xor_b32_e32 v154, s17, v154
	v_cmp_gt_i32_e64 s17, 0, v160
	v_and_b32_e32 v152, v152, v153
	v_not_b32_e32 v153, v161
	v_ashrrev_i32_e32 v158, 31, v158
	v_xor_b32_e32 v156, vcc_lo, v156
	v_cmp_gt_i32_e32 vcc_lo, 0, v161
	v_and_b32_e32 v152, v152, v154
	v_not_b32_e32 v154, v157
	v_ashrrev_i32_e32 v153, 31, v153
	v_xor_b32_e32 v158, s17, v158
	v_mul_u32_u24_e32 v37, 9, v37
	v_and_b32_e32 v152, v152, v156
	v_cmp_gt_i32_e64 s17, 0, v157
	v_ashrrev_i32_e32 v154, 31, v154
	v_xor_b32_e32 v153, vcc_lo, v153
	v_add_lshl_u32 v156, v37, v128, 2
	v_and_b32_e32 v152, v152, v158
	s_delay_alu instid0(VALU_DEP_4) | instskip(NEXT) | instid1(VALU_DEP_3)
	v_xor_b32_e32 v37, s17, v154
	v_add_nc_u32_e32 v154, 0x420, v156
	s_delay_alu instid0(VALU_DEP_3) | instskip(SKIP_2) | instid1(VALU_DEP_1)
	v_and_b32_e32 v153, v152, v153
	ds_load_b32 v152, v156 offset:1056
	; wave barrier
	v_and_b32_e32 v37, v153, v37
	v_mbcnt_lo_u32_b32 v153, v37, 0
	v_cmp_ne_u32_e64 s17, 0, v37
	s_delay_alu instid0(VALU_DEP_2) | instskip(NEXT) | instid1(VALU_DEP_2)
	v_cmp_eq_u32_e32 vcc_lo, 0, v153
	s_and_b32 s18, s17, vcc_lo
	s_delay_alu instid0(SALU_CYCLE_1)
	s_and_saveexec_b32 s17, s18
	s_cbranch_execz .LBB534_736
; %bb.735:                              ;   in Loop: Header=BB534_696 Depth=2
	s_waitcnt lgkmcnt(0)
	v_bcnt_u32_b32 v37, v37, v152
	ds_store_b32 v154, v37
.LBB534_736:                            ;   in Loop: Header=BB534_696 Depth=2
	s_or_b32 exec_lo, exec_lo, s17
	v_xor_b32_e32 v151, 0x7fffffff, v151
	; wave barrier
	s_delay_alu instid0(VALU_DEP_1) | instskip(NEXT) | instid1(VALU_DEP_1)
	v_lshrrev_b32_e32 v37, s57, v151
	v_and_b32_e32 v37, s39, v37
	s_delay_alu instid0(VALU_DEP_1)
	v_and_b32_e32 v156, 1, v37
	v_lshlrev_b32_e32 v157, 30, v37
	v_lshlrev_b32_e32 v158, 29, v37
	;; [unrolled: 1-line block ×4, first 2 shown]
	v_add_co_u32 v156, s17, v156, -1
	s_delay_alu instid0(VALU_DEP_1)
	v_cndmask_b32_e64 v161, 0, 1, s17
	v_not_b32_e32 v166, v157
	v_cmp_gt_i32_e64 s17, 0, v157
	v_not_b32_e32 v157, v158
	v_lshlrev_b32_e32 v164, 26, v37
	v_cmp_ne_u32_e32 vcc_lo, 0, v161
	v_ashrrev_i32_e32 v166, 31, v166
	v_lshlrev_b32_e32 v165, 25, v37
	v_ashrrev_i32_e32 v157, 31, v157
	v_lshlrev_b32_e32 v161, 24, v37
	v_xor_b32_e32 v156, vcc_lo, v156
	v_cmp_gt_i32_e32 vcc_lo, 0, v158
	v_not_b32_e32 v158, v160
	v_xor_b32_e32 v166, s17, v166
	v_cmp_gt_i32_e64 s17, 0, v160
	v_and_b32_e32 v156, exec_lo, v156
	v_not_b32_e32 v160, v162
	v_ashrrev_i32_e32 v158, 31, v158
	v_xor_b32_e32 v157, vcc_lo, v157
	v_cmp_gt_i32_e32 vcc_lo, 0, v162
	v_and_b32_e32 v156, v156, v166
	v_not_b32_e32 v162, v164
	v_ashrrev_i32_e32 v160, 31, v160
	v_xor_b32_e32 v158, s17, v158
	v_cmp_gt_i32_e64 s17, 0, v164
	v_and_b32_e32 v156, v156, v157
	v_not_b32_e32 v157, v165
	v_ashrrev_i32_e32 v162, 31, v162
	v_xor_b32_e32 v160, vcc_lo, v160
	v_cmp_gt_i32_e32 vcc_lo, 0, v165
	v_and_b32_e32 v156, v156, v158
	v_not_b32_e32 v158, v161
	v_ashrrev_i32_e32 v157, 31, v157
	v_xor_b32_e32 v162, s17, v162
	v_mul_u32_u24_e32 v37, 9, v37
	v_and_b32_e32 v156, v156, v160
	v_cmp_gt_i32_e64 s17, 0, v161
	v_ashrrev_i32_e32 v158, 31, v158
	v_xor_b32_e32 v157, vcc_lo, v157
	v_add_lshl_u32 v160, v37, v128, 2
	v_and_b32_e32 v156, v156, v162
	s_delay_alu instid0(VALU_DEP_4) | instskip(NEXT) | instid1(VALU_DEP_3)
	v_xor_b32_e32 v37, s17, v158
	v_add_nc_u32_e32 v158, 0x420, v160
	s_delay_alu instid0(VALU_DEP_3) | instskip(SKIP_2) | instid1(VALU_DEP_1)
	v_and_b32_e32 v157, v156, v157
	ds_load_b32 v156, v160 offset:1056
	; wave barrier
	v_and_b32_e32 v37, v157, v37
	v_mbcnt_lo_u32_b32 v157, v37, 0
	v_cmp_ne_u32_e64 s17, 0, v37
	s_delay_alu instid0(VALU_DEP_2) | instskip(NEXT) | instid1(VALU_DEP_2)
	v_cmp_eq_u32_e32 vcc_lo, 0, v157
	s_and_b32 s18, s17, vcc_lo
	s_delay_alu instid0(SALU_CYCLE_1)
	s_and_saveexec_b32 s17, s18
	s_cbranch_execz .LBB534_738
; %bb.737:                              ;   in Loop: Header=BB534_696 Depth=2
	s_waitcnt lgkmcnt(0)
	v_bcnt_u32_b32 v37, v37, v156
	ds_store_b32 v158, v37
.LBB534_738:                            ;   in Loop: Header=BB534_696 Depth=2
	s_or_b32 exec_lo, exec_lo, s17
	v_xor_b32_e32 v155, 0x7fffffff, v155
	; wave barrier
	s_delay_alu instid0(VALU_DEP_1) | instskip(NEXT) | instid1(VALU_DEP_1)
	v_lshrrev_b32_e32 v37, s57, v155
	v_and_b32_e32 v37, s39, v37
	s_delay_alu instid0(VALU_DEP_1)
	v_and_b32_e32 v160, 1, v37
	v_lshlrev_b32_e32 v161, 30, v37
	v_lshlrev_b32_e32 v162, 29, v37
	;; [unrolled: 1-line block ×4, first 2 shown]
	v_add_co_u32 v160, s17, v160, -1
	s_delay_alu instid0(VALU_DEP_1)
	v_cndmask_b32_e64 v165, 0, 1, s17
	v_not_b32_e32 v170, v161
	v_cmp_gt_i32_e64 s17, 0, v161
	v_not_b32_e32 v161, v162
	v_lshlrev_b32_e32 v168, 26, v37
	v_cmp_ne_u32_e32 vcc_lo, 0, v165
	v_ashrrev_i32_e32 v170, 31, v170
	v_lshlrev_b32_e32 v169, 25, v37
	v_ashrrev_i32_e32 v161, 31, v161
	v_lshlrev_b32_e32 v165, 24, v37
	v_xor_b32_e32 v160, vcc_lo, v160
	v_cmp_gt_i32_e32 vcc_lo, 0, v162
	v_not_b32_e32 v162, v164
	v_xor_b32_e32 v170, s17, v170
	v_cmp_gt_i32_e64 s17, 0, v164
	v_and_b32_e32 v160, exec_lo, v160
	v_not_b32_e32 v164, v166
	v_ashrrev_i32_e32 v162, 31, v162
	v_xor_b32_e32 v161, vcc_lo, v161
	v_cmp_gt_i32_e32 vcc_lo, 0, v166
	v_and_b32_e32 v160, v160, v170
	v_not_b32_e32 v166, v168
	v_ashrrev_i32_e32 v164, 31, v164
	v_xor_b32_e32 v162, s17, v162
	v_cmp_gt_i32_e64 s17, 0, v168
	v_and_b32_e32 v160, v160, v161
	v_not_b32_e32 v161, v169
	v_ashrrev_i32_e32 v166, 31, v166
	v_xor_b32_e32 v164, vcc_lo, v164
	v_cmp_gt_i32_e32 vcc_lo, 0, v169
	v_and_b32_e32 v160, v160, v162
	v_not_b32_e32 v162, v165
	v_ashrrev_i32_e32 v161, 31, v161
	v_xor_b32_e32 v166, s17, v166
	v_mul_u32_u24_e32 v37, 9, v37
	v_and_b32_e32 v160, v160, v164
	v_cmp_gt_i32_e64 s17, 0, v165
	v_ashrrev_i32_e32 v162, 31, v162
	v_xor_b32_e32 v161, vcc_lo, v161
	v_add_lshl_u32 v164, v37, v128, 2
	v_and_b32_e32 v160, v160, v166
	s_delay_alu instid0(VALU_DEP_4) | instskip(NEXT) | instid1(VALU_DEP_3)
	v_xor_b32_e32 v37, s17, v162
	v_add_nc_u32_e32 v162, 0x420, v164
	s_delay_alu instid0(VALU_DEP_3) | instskip(SKIP_2) | instid1(VALU_DEP_1)
	v_and_b32_e32 v161, v160, v161
	ds_load_b32 v160, v164 offset:1056
	; wave barrier
	v_and_b32_e32 v37, v161, v37
	v_mbcnt_lo_u32_b32 v161, v37, 0
	v_cmp_ne_u32_e64 s17, 0, v37
	s_delay_alu instid0(VALU_DEP_2) | instskip(NEXT) | instid1(VALU_DEP_2)
	v_cmp_eq_u32_e32 vcc_lo, 0, v161
	s_and_b32 s18, s17, vcc_lo
	s_delay_alu instid0(SALU_CYCLE_1)
	s_and_saveexec_b32 s17, s18
	s_cbranch_execz .LBB534_740
; %bb.739:                              ;   in Loop: Header=BB534_696 Depth=2
	s_waitcnt lgkmcnt(0)
	v_bcnt_u32_b32 v37, v37, v160
	ds_store_b32 v162, v37
.LBB534_740:                            ;   in Loop: Header=BB534_696 Depth=2
	s_or_b32 exec_lo, exec_lo, s17
	v_xor_b32_e32 v159, 0x7fffffff, v159
	; wave barrier
	s_delay_alu instid0(VALU_DEP_1) | instskip(NEXT) | instid1(VALU_DEP_1)
	v_lshrrev_b32_e32 v37, s57, v159
	v_and_b32_e32 v37, s39, v37
	s_delay_alu instid0(VALU_DEP_1)
	v_and_b32_e32 v164, 1, v37
	v_lshlrev_b32_e32 v165, 30, v37
	v_lshlrev_b32_e32 v166, 29, v37
	;; [unrolled: 1-line block ×4, first 2 shown]
	v_add_co_u32 v164, s17, v164, -1
	s_delay_alu instid0(VALU_DEP_1)
	v_cndmask_b32_e64 v169, 0, 1, s17
	v_not_b32_e32 v175, v165
	v_cmp_gt_i32_e64 s17, 0, v165
	v_not_b32_e32 v165, v166
	v_lshlrev_b32_e32 v173, 26, v37
	v_cmp_ne_u32_e32 vcc_lo, 0, v169
	v_ashrrev_i32_e32 v175, 31, v175
	v_lshlrev_b32_e32 v174, 25, v37
	v_ashrrev_i32_e32 v165, 31, v165
	v_lshlrev_b32_e32 v169, 24, v37
	v_xor_b32_e32 v164, vcc_lo, v164
	v_cmp_gt_i32_e32 vcc_lo, 0, v166
	v_not_b32_e32 v166, v168
	v_xor_b32_e32 v175, s17, v175
	v_cmp_gt_i32_e64 s17, 0, v168
	v_and_b32_e32 v164, exec_lo, v164
	v_not_b32_e32 v168, v170
	v_ashrrev_i32_e32 v166, 31, v166
	v_xor_b32_e32 v165, vcc_lo, v165
	v_cmp_gt_i32_e32 vcc_lo, 0, v170
	v_and_b32_e32 v164, v164, v175
	v_not_b32_e32 v170, v173
	v_ashrrev_i32_e32 v168, 31, v168
	v_xor_b32_e32 v166, s17, v166
	v_cmp_gt_i32_e64 s17, 0, v173
	v_and_b32_e32 v164, v164, v165
	v_not_b32_e32 v165, v174
	v_ashrrev_i32_e32 v170, 31, v170
	v_xor_b32_e32 v168, vcc_lo, v168
	v_cmp_gt_i32_e32 vcc_lo, 0, v174
	v_and_b32_e32 v164, v164, v166
	v_not_b32_e32 v166, v169
	v_ashrrev_i32_e32 v165, 31, v165
	v_xor_b32_e32 v170, s17, v170
	v_mul_u32_u24_e32 v37, 9, v37
	v_and_b32_e32 v164, v164, v168
	v_cmp_gt_i32_e64 s17, 0, v169
	v_ashrrev_i32_e32 v166, 31, v166
	v_xor_b32_e32 v165, vcc_lo, v165
	v_add_lshl_u32 v168, v37, v128, 2
	v_and_b32_e32 v164, v164, v170
	s_delay_alu instid0(VALU_DEP_4) | instskip(NEXT) | instid1(VALU_DEP_3)
	v_xor_b32_e32 v37, s17, v166
	v_add_nc_u32_e32 v166, 0x420, v168
	s_delay_alu instid0(VALU_DEP_3) | instskip(SKIP_2) | instid1(VALU_DEP_1)
	v_and_b32_e32 v165, v164, v165
	ds_load_b32 v164, v168 offset:1056
	; wave barrier
	v_and_b32_e32 v37, v165, v37
	v_mbcnt_lo_u32_b32 v165, v37, 0
	v_cmp_ne_u32_e64 s17, 0, v37
	s_delay_alu instid0(VALU_DEP_2) | instskip(NEXT) | instid1(VALU_DEP_2)
	v_cmp_eq_u32_e32 vcc_lo, 0, v165
	s_and_b32 s18, s17, vcc_lo
	s_delay_alu instid0(SALU_CYCLE_1)
	s_and_saveexec_b32 s17, s18
	s_cbranch_execz .LBB534_742
; %bb.741:                              ;   in Loop: Header=BB534_696 Depth=2
	s_waitcnt lgkmcnt(0)
	v_bcnt_u32_b32 v37, v37, v164
	ds_store_b32 v166, v37
.LBB534_742:                            ;   in Loop: Header=BB534_696 Depth=2
	s_or_b32 exec_lo, exec_lo, s17
	v_xor_b32_e32 v163, 0x7fffffff, v163
	; wave barrier
	s_delay_alu instid0(VALU_DEP_1) | instskip(NEXT) | instid1(VALU_DEP_1)
	v_lshrrev_b32_e32 v37, s57, v163
	v_and_b32_e32 v37, s39, v37
	s_delay_alu instid0(VALU_DEP_1)
	v_and_b32_e32 v168, 1, v37
	v_lshlrev_b32_e32 v169, 30, v37
	v_lshlrev_b32_e32 v170, 29, v37
	;; [unrolled: 1-line block ×4, first 2 shown]
	v_add_co_u32 v168, s17, v168, -1
	s_delay_alu instid0(VALU_DEP_1)
	v_cndmask_b32_e64 v174, 0, 1, s17
	v_not_b32_e32 v178, v169
	v_cmp_gt_i32_e64 s17, 0, v169
	v_not_b32_e32 v169, v170
	v_lshlrev_b32_e32 v176, 26, v37
	v_cmp_ne_u32_e32 vcc_lo, 0, v174
	v_ashrrev_i32_e32 v178, 31, v178
	v_lshlrev_b32_e32 v177, 25, v37
	v_ashrrev_i32_e32 v169, 31, v169
	v_lshlrev_b32_e32 v174, 24, v37
	v_xor_b32_e32 v168, vcc_lo, v168
	v_cmp_gt_i32_e32 vcc_lo, 0, v170
	v_not_b32_e32 v170, v173
	v_xor_b32_e32 v178, s17, v178
	v_cmp_gt_i32_e64 s17, 0, v173
	v_and_b32_e32 v168, exec_lo, v168
	v_not_b32_e32 v173, v175
	v_ashrrev_i32_e32 v170, 31, v170
	v_xor_b32_e32 v169, vcc_lo, v169
	v_cmp_gt_i32_e32 vcc_lo, 0, v175
	v_and_b32_e32 v168, v168, v178
	v_not_b32_e32 v175, v176
	v_ashrrev_i32_e32 v173, 31, v173
	v_xor_b32_e32 v170, s17, v170
	v_cmp_gt_i32_e64 s17, 0, v176
	v_and_b32_e32 v168, v168, v169
	v_not_b32_e32 v169, v177
	v_ashrrev_i32_e32 v175, 31, v175
	v_xor_b32_e32 v173, vcc_lo, v173
	v_cmp_gt_i32_e32 vcc_lo, 0, v177
	v_and_b32_e32 v168, v168, v170
	v_not_b32_e32 v170, v174
	v_ashrrev_i32_e32 v169, 31, v169
	v_xor_b32_e32 v175, s17, v175
	v_mul_u32_u24_e32 v37, 9, v37
	v_and_b32_e32 v168, v168, v173
	v_cmp_gt_i32_e64 s17, 0, v174
	v_ashrrev_i32_e32 v170, 31, v170
	v_xor_b32_e32 v169, vcc_lo, v169
	v_add_lshl_u32 v173, v37, v128, 2
	v_and_b32_e32 v168, v168, v175
	s_delay_alu instid0(VALU_DEP_4) | instskip(NEXT) | instid1(VALU_DEP_3)
	v_xor_b32_e32 v37, s17, v170
	v_add_nc_u32_e32 v170, 0x420, v173
	s_delay_alu instid0(VALU_DEP_3) | instskip(SKIP_2) | instid1(VALU_DEP_1)
	v_and_b32_e32 v169, v168, v169
	ds_load_b32 v168, v173 offset:1056
	; wave barrier
	v_and_b32_e32 v37, v169, v37
	v_mbcnt_lo_u32_b32 v169, v37, 0
	v_cmp_ne_u32_e64 s17, 0, v37
	s_delay_alu instid0(VALU_DEP_2) | instskip(NEXT) | instid1(VALU_DEP_2)
	v_cmp_eq_u32_e32 vcc_lo, 0, v169
	s_and_b32 s18, s17, vcc_lo
	s_delay_alu instid0(SALU_CYCLE_1)
	s_and_saveexec_b32 s17, s18
	s_cbranch_execz .LBB534_744
; %bb.743:                              ;   in Loop: Header=BB534_696 Depth=2
	s_waitcnt lgkmcnt(0)
	v_bcnt_u32_b32 v37, v37, v168
	ds_store_b32 v170, v37
.LBB534_744:                            ;   in Loop: Header=BB534_696 Depth=2
	s_or_b32 exec_lo, exec_lo, s17
	v_xor_b32_e32 v167, 0x7fffffff, v167
	; wave barrier
	s_delay_alu instid0(VALU_DEP_1) | instskip(NEXT) | instid1(VALU_DEP_1)
	v_lshrrev_b32_e32 v37, s57, v167
	v_and_b32_e32 v37, s39, v37
	s_delay_alu instid0(VALU_DEP_1)
	v_and_b32_e32 v173, 1, v37
	v_lshlrev_b32_e32 v174, 30, v37
	v_lshlrev_b32_e32 v175, 29, v37
	;; [unrolled: 1-line block ×4, first 2 shown]
	v_add_co_u32 v173, s17, v173, -1
	s_delay_alu instid0(VALU_DEP_1)
	v_cndmask_b32_e64 v177, 0, 1, s17
	v_not_b32_e32 v181, v174
	v_cmp_gt_i32_e64 s17, 0, v174
	v_not_b32_e32 v174, v175
	v_lshlrev_b32_e32 v179, 26, v37
	v_cmp_ne_u32_e32 vcc_lo, 0, v177
	v_ashrrev_i32_e32 v181, 31, v181
	v_lshlrev_b32_e32 v180, 25, v37
	v_ashrrev_i32_e32 v174, 31, v174
	v_lshlrev_b32_e32 v177, 24, v37
	v_xor_b32_e32 v173, vcc_lo, v173
	v_cmp_gt_i32_e32 vcc_lo, 0, v175
	v_not_b32_e32 v175, v176
	v_xor_b32_e32 v181, s17, v181
	v_cmp_gt_i32_e64 s17, 0, v176
	v_and_b32_e32 v173, exec_lo, v173
	v_not_b32_e32 v176, v178
	v_ashrrev_i32_e32 v175, 31, v175
	v_xor_b32_e32 v174, vcc_lo, v174
	v_cmp_gt_i32_e32 vcc_lo, 0, v178
	v_and_b32_e32 v173, v173, v181
	v_not_b32_e32 v178, v179
	v_ashrrev_i32_e32 v176, 31, v176
	v_xor_b32_e32 v175, s17, v175
	v_cmp_gt_i32_e64 s17, 0, v179
	v_and_b32_e32 v173, v173, v174
	v_not_b32_e32 v174, v180
	v_ashrrev_i32_e32 v178, 31, v178
	v_xor_b32_e32 v176, vcc_lo, v176
	v_cmp_gt_i32_e32 vcc_lo, 0, v180
	v_and_b32_e32 v173, v173, v175
	v_not_b32_e32 v175, v177
	v_ashrrev_i32_e32 v174, 31, v174
	v_xor_b32_e32 v178, s17, v178
	v_mul_u32_u24_e32 v37, 9, v37
	v_and_b32_e32 v173, v173, v176
	v_cmp_gt_i32_e64 s17, 0, v177
	v_ashrrev_i32_e32 v175, 31, v175
	v_xor_b32_e32 v174, vcc_lo, v174
	v_add_lshl_u32 v176, v37, v128, 2
	v_and_b32_e32 v173, v173, v178
	s_delay_alu instid0(VALU_DEP_4) | instskip(NEXT) | instid1(VALU_DEP_3)
	v_xor_b32_e32 v37, s17, v175
	v_add_nc_u32_e32 v175, 0x420, v176
	s_delay_alu instid0(VALU_DEP_3) | instskip(SKIP_2) | instid1(VALU_DEP_1)
	v_and_b32_e32 v174, v173, v174
	ds_load_b32 v173, v176 offset:1056
	; wave barrier
	v_and_b32_e32 v37, v174, v37
	v_mbcnt_lo_u32_b32 v174, v37, 0
	v_cmp_ne_u32_e64 s17, 0, v37
	s_delay_alu instid0(VALU_DEP_2) | instskip(NEXT) | instid1(VALU_DEP_2)
	v_cmp_eq_u32_e32 vcc_lo, 0, v174
	s_and_b32 s18, s17, vcc_lo
	s_delay_alu instid0(SALU_CYCLE_1)
	s_and_saveexec_b32 s17, s18
	s_cbranch_execz .LBB534_746
; %bb.745:                              ;   in Loop: Header=BB534_696 Depth=2
	s_waitcnt lgkmcnt(0)
	v_bcnt_u32_b32 v37, v37, v173
	ds_store_b32 v175, v37
.LBB534_746:                            ;   in Loop: Header=BB534_696 Depth=2
	s_or_b32 exec_lo, exec_lo, s17
	v_xor_b32_e32 v172, 0x7fffffff, v172
	; wave barrier
	s_delay_alu instid0(VALU_DEP_1) | instskip(NEXT) | instid1(VALU_DEP_1)
	v_lshrrev_b32_e32 v37, s57, v172
	v_and_b32_e32 v37, s39, v37
	s_delay_alu instid0(VALU_DEP_1)
	v_and_b32_e32 v176, 1, v37
	v_lshlrev_b32_e32 v177, 30, v37
	v_lshlrev_b32_e32 v178, 29, v37
	;; [unrolled: 1-line block ×4, first 2 shown]
	v_add_co_u32 v176, s17, v176, -1
	s_delay_alu instid0(VALU_DEP_1)
	v_cndmask_b32_e64 v180, 0, 1, s17
	v_not_b32_e32 v184, v177
	v_cmp_gt_i32_e64 s17, 0, v177
	v_not_b32_e32 v177, v178
	v_lshlrev_b32_e32 v182, 26, v37
	v_cmp_ne_u32_e32 vcc_lo, 0, v180
	v_ashrrev_i32_e32 v184, 31, v184
	v_lshlrev_b32_e32 v183, 25, v37
	v_ashrrev_i32_e32 v177, 31, v177
	v_lshlrev_b32_e32 v180, 24, v37
	v_xor_b32_e32 v176, vcc_lo, v176
	v_cmp_gt_i32_e32 vcc_lo, 0, v178
	v_not_b32_e32 v178, v179
	v_xor_b32_e32 v184, s17, v184
	v_cmp_gt_i32_e64 s17, 0, v179
	v_and_b32_e32 v176, exec_lo, v176
	v_not_b32_e32 v179, v181
	v_ashrrev_i32_e32 v178, 31, v178
	v_xor_b32_e32 v177, vcc_lo, v177
	v_cmp_gt_i32_e32 vcc_lo, 0, v181
	v_and_b32_e32 v176, v176, v184
	v_not_b32_e32 v181, v182
	v_ashrrev_i32_e32 v179, 31, v179
	v_xor_b32_e32 v178, s17, v178
	v_cmp_gt_i32_e64 s17, 0, v182
	v_and_b32_e32 v176, v176, v177
	v_not_b32_e32 v177, v183
	v_ashrrev_i32_e32 v181, 31, v181
	v_xor_b32_e32 v179, vcc_lo, v179
	v_cmp_gt_i32_e32 vcc_lo, 0, v183
	v_and_b32_e32 v176, v176, v178
	v_not_b32_e32 v178, v180
	v_ashrrev_i32_e32 v177, 31, v177
	v_xor_b32_e32 v181, s17, v181
	v_mul_u32_u24_e32 v37, 9, v37
	v_and_b32_e32 v176, v176, v179
	v_cmp_gt_i32_e64 s17, 0, v180
	v_ashrrev_i32_e32 v178, 31, v178
	v_xor_b32_e32 v177, vcc_lo, v177
	v_add_lshl_u32 v179, v37, v128, 2
	v_and_b32_e32 v176, v176, v181
	s_delay_alu instid0(VALU_DEP_4) | instskip(NEXT) | instid1(VALU_DEP_3)
	v_xor_b32_e32 v37, s17, v178
	v_add_nc_u32_e32 v178, 0x420, v179
	s_delay_alu instid0(VALU_DEP_3) | instskip(SKIP_2) | instid1(VALU_DEP_1)
	v_and_b32_e32 v177, v176, v177
	ds_load_b32 v176, v179 offset:1056
	; wave barrier
	v_and_b32_e32 v37, v177, v37
	v_mbcnt_lo_u32_b32 v177, v37, 0
	v_cmp_ne_u32_e64 s17, 0, v37
	s_delay_alu instid0(VALU_DEP_2) | instskip(NEXT) | instid1(VALU_DEP_2)
	v_cmp_eq_u32_e32 vcc_lo, 0, v177
	s_and_b32 s18, s17, vcc_lo
	s_delay_alu instid0(SALU_CYCLE_1)
	s_and_saveexec_b32 s17, s18
	s_cbranch_execz .LBB534_748
; %bb.747:                              ;   in Loop: Header=BB534_696 Depth=2
	s_waitcnt lgkmcnt(0)
	v_bcnt_u32_b32 v37, v37, v176
	ds_store_b32 v178, v37
.LBB534_748:                            ;   in Loop: Header=BB534_696 Depth=2
	s_or_b32 exec_lo, exec_lo, s17
	v_xor_b32_e32 v171, 0x7fffffff, v171
	; wave barrier
	s_delay_alu instid0(VALU_DEP_1) | instskip(NEXT) | instid1(VALU_DEP_1)
	v_lshrrev_b32_e32 v37, s57, v171
	v_and_b32_e32 v37, s39, v37
	s_delay_alu instid0(VALU_DEP_1)
	v_and_b32_e32 v179, 1, v37
	v_lshlrev_b32_e32 v180, 30, v37
	v_lshlrev_b32_e32 v181, 29, v37
	;; [unrolled: 1-line block ×4, first 2 shown]
	v_add_co_u32 v179, s17, v179, -1
	s_delay_alu instid0(VALU_DEP_1)
	v_cndmask_b32_e64 v183, 0, 1, s17
	v_not_b32_e32 v187, v180
	v_cmp_gt_i32_e64 s17, 0, v180
	v_not_b32_e32 v180, v181
	v_lshlrev_b32_e32 v185, 26, v37
	v_cmp_ne_u32_e32 vcc_lo, 0, v183
	v_ashrrev_i32_e32 v187, 31, v187
	v_lshlrev_b32_e32 v186, 25, v37
	v_ashrrev_i32_e32 v180, 31, v180
	v_lshlrev_b32_e32 v183, 24, v37
	v_xor_b32_e32 v179, vcc_lo, v179
	v_cmp_gt_i32_e32 vcc_lo, 0, v181
	v_not_b32_e32 v181, v182
	v_xor_b32_e32 v187, s17, v187
	v_cmp_gt_i32_e64 s17, 0, v182
	v_and_b32_e32 v179, exec_lo, v179
	v_not_b32_e32 v182, v184
	v_ashrrev_i32_e32 v181, 31, v181
	v_xor_b32_e32 v180, vcc_lo, v180
	v_cmp_gt_i32_e32 vcc_lo, 0, v184
	v_and_b32_e32 v179, v179, v187
	v_not_b32_e32 v184, v185
	v_ashrrev_i32_e32 v182, 31, v182
	v_xor_b32_e32 v181, s17, v181
	v_cmp_gt_i32_e64 s17, 0, v185
	v_and_b32_e32 v179, v179, v180
	v_not_b32_e32 v180, v186
	v_ashrrev_i32_e32 v184, 31, v184
	v_xor_b32_e32 v182, vcc_lo, v182
	v_cmp_gt_i32_e32 vcc_lo, 0, v186
	v_and_b32_e32 v179, v179, v181
	v_not_b32_e32 v181, v183
	v_ashrrev_i32_e32 v180, 31, v180
	v_xor_b32_e32 v184, s17, v184
	v_mul_u32_u24_e32 v37, 9, v37
	v_and_b32_e32 v179, v179, v182
	v_cmp_gt_i32_e64 s17, 0, v183
	v_ashrrev_i32_e32 v181, 31, v181
	v_xor_b32_e32 v180, vcc_lo, v180
	v_add_lshl_u32 v182, v37, v128, 2
	v_and_b32_e32 v179, v179, v184
	s_delay_alu instid0(VALU_DEP_4) | instskip(NEXT) | instid1(VALU_DEP_2)
	v_xor_b32_e32 v37, s17, v181
	v_and_b32_e32 v179, v179, v180
	ds_load_b32 v180, v182 offset:1056
	v_add_nc_u32_e32 v182, 0x420, v182
	; wave barrier
	v_and_b32_e32 v37, v179, v37
	s_delay_alu instid0(VALU_DEP_1) | instskip(SKIP_1) | instid1(VALU_DEP_2)
	v_mbcnt_lo_u32_b32 v181, v37, 0
	v_cmp_ne_u32_e64 s17, 0, v37
	v_cmp_eq_u32_e32 vcc_lo, 0, v181
	s_delay_alu instid0(VALU_DEP_2) | instskip(NEXT) | instid1(SALU_CYCLE_1)
	s_and_b32 s18, s17, vcc_lo
	s_and_saveexec_b32 s17, s18
	s_cbranch_execz .LBB534_750
; %bb.749:                              ;   in Loop: Header=BB534_696 Depth=2
	s_waitcnt lgkmcnt(0)
	v_bcnt_u32_b32 v37, v37, v180
	ds_store_b32 v182, v37
.LBB534_750:                            ;   in Loop: Header=BB534_696 Depth=2
	s_or_b32 exec_lo, exec_lo, s17
	v_xor_b32_e32 v179, 0x7fffffff, v43
	; wave barrier
	s_delay_alu instid0(VALU_DEP_1) | instskip(NEXT) | instid1(VALU_DEP_1)
	v_lshrrev_b32_e32 v37, s57, v179
	v_and_b32_e32 v37, s39, v37
	s_delay_alu instid0(VALU_DEP_1)
	v_and_b32_e32 v43, 1, v37
	v_lshlrev_b32_e32 v183, 30, v37
	v_lshlrev_b32_e32 v184, 29, v37
	v_lshlrev_b32_e32 v185, 28, v37
	v_lshlrev_b32_e32 v187, 27, v37
	v_add_co_u32 v43, s17, v43, -1
	s_delay_alu instid0(VALU_DEP_1)
	v_cndmask_b32_e64 v186, 0, 1, s17
	v_not_b32_e32 v190, v183
	v_cmp_gt_i32_e64 s17, 0, v183
	v_not_b32_e32 v183, v184
	v_lshlrev_b32_e32 v188, 26, v37
	v_cmp_ne_u32_e32 vcc_lo, 0, v186
	v_ashrrev_i32_e32 v190, 31, v190
	v_lshlrev_b32_e32 v189, 25, v37
	v_ashrrev_i32_e32 v183, 31, v183
	v_lshlrev_b32_e32 v186, 24, v37
	v_xor_b32_e32 v43, vcc_lo, v43
	v_cmp_gt_i32_e32 vcc_lo, 0, v184
	v_not_b32_e32 v184, v185
	v_xor_b32_e32 v190, s17, v190
	v_cmp_gt_i32_e64 s17, 0, v185
	v_and_b32_e32 v43, exec_lo, v43
	v_not_b32_e32 v185, v187
	v_ashrrev_i32_e32 v184, 31, v184
	v_xor_b32_e32 v183, vcc_lo, v183
	v_cmp_gt_i32_e32 vcc_lo, 0, v187
	v_and_b32_e32 v43, v43, v190
	v_not_b32_e32 v187, v188
	v_ashrrev_i32_e32 v185, 31, v185
	v_xor_b32_e32 v184, s17, v184
	v_cmp_gt_i32_e64 s17, 0, v188
	v_and_b32_e32 v43, v43, v183
	v_not_b32_e32 v183, v189
	v_ashrrev_i32_e32 v187, 31, v187
	v_xor_b32_e32 v185, vcc_lo, v185
	v_cmp_gt_i32_e32 vcc_lo, 0, v189
	v_and_b32_e32 v43, v43, v184
	v_not_b32_e32 v184, v186
	v_ashrrev_i32_e32 v183, 31, v183
	v_xor_b32_e32 v187, s17, v187
	v_mul_u32_u24_e32 v37, 9, v37
	v_and_b32_e32 v43, v43, v185
	v_cmp_gt_i32_e64 s17, 0, v186
	v_ashrrev_i32_e32 v184, 31, v184
	v_xor_b32_e32 v183, vcc_lo, v183
	v_add_lshl_u32 v186, v37, v128, 2
	v_and_b32_e32 v43, v43, v187
	s_delay_alu instid0(VALU_DEP_4) | instskip(SKIP_3) | instid1(VALU_DEP_2)
	v_xor_b32_e32 v37, s17, v184
	ds_load_b32 v184, v186 offset:1056
	v_and_b32_e32 v43, v43, v183
	v_add_nc_u32_e32 v186, 0x420, v186
	; wave barrier
	v_and_b32_e32 v37, v43, v37
	s_delay_alu instid0(VALU_DEP_1) | instskip(SKIP_1) | instid1(VALU_DEP_2)
	v_mbcnt_lo_u32_b32 v185, v37, 0
	v_cmp_ne_u32_e64 s17, 0, v37
	v_cmp_eq_u32_e32 vcc_lo, 0, v185
	s_delay_alu instid0(VALU_DEP_2) | instskip(NEXT) | instid1(SALU_CYCLE_1)
	s_and_b32 s18, s17, vcc_lo
	s_and_saveexec_b32 s17, s18
	s_cbranch_execz .LBB534_752
; %bb.751:                              ;   in Loop: Header=BB534_696 Depth=2
	s_waitcnt lgkmcnt(0)
	v_bcnt_u32_b32 v37, v37, v184
	ds_store_b32 v186, v37
.LBB534_752:                            ;   in Loop: Header=BB534_696 Depth=2
	s_or_b32 exec_lo, exec_lo, s17
	v_xor_b32_e32 v183, 0x7fffffff, v42
	; wave barrier
	s_delay_alu instid0(VALU_DEP_1) | instskip(NEXT) | instid1(VALU_DEP_1)
	v_lshrrev_b32_e32 v37, s57, v183
	v_and_b32_e32 v37, s39, v37
	s_delay_alu instid0(VALU_DEP_1)
	v_and_b32_e32 v42, 1, v37
	v_lshlrev_b32_e32 v43, 30, v37
	v_lshlrev_b32_e32 v187, 29, v37
	v_lshlrev_b32_e32 v188, 28, v37
	v_lshlrev_b32_e32 v190, 27, v37
	v_add_co_u32 v42, s17, v42, -1
	s_delay_alu instid0(VALU_DEP_1)
	v_cndmask_b32_e64 v189, 0, 1, s17
	v_not_b32_e32 v193, v43
	v_cmp_gt_i32_e64 s17, 0, v43
	v_not_b32_e32 v43, v187
	v_lshlrev_b32_e32 v191, 26, v37
	v_cmp_ne_u32_e32 vcc_lo, 0, v189
	v_ashrrev_i32_e32 v193, 31, v193
	v_lshlrev_b32_e32 v192, 25, v37
	v_ashrrev_i32_e32 v43, 31, v43
	v_lshlrev_b32_e32 v189, 24, v37
	v_xor_b32_e32 v42, vcc_lo, v42
	v_cmp_gt_i32_e32 vcc_lo, 0, v187
	v_not_b32_e32 v187, v188
	v_xor_b32_e32 v193, s17, v193
	v_cmp_gt_i32_e64 s17, 0, v188
	v_and_b32_e32 v42, exec_lo, v42
	v_not_b32_e32 v188, v190
	v_ashrrev_i32_e32 v187, 31, v187
	v_xor_b32_e32 v43, vcc_lo, v43
	v_cmp_gt_i32_e32 vcc_lo, 0, v190
	v_and_b32_e32 v42, v42, v193
	v_not_b32_e32 v190, v191
	v_ashrrev_i32_e32 v188, 31, v188
	v_xor_b32_e32 v187, s17, v187
	v_cmp_gt_i32_e64 s17, 0, v191
	v_and_b32_e32 v42, v42, v43
	v_not_b32_e32 v43, v192
	v_ashrrev_i32_e32 v190, 31, v190
	v_xor_b32_e32 v188, vcc_lo, v188
	v_cmp_gt_i32_e32 vcc_lo, 0, v192
	v_and_b32_e32 v42, v42, v187
	v_not_b32_e32 v187, v189
	v_ashrrev_i32_e32 v43, 31, v43
	v_xor_b32_e32 v190, s17, v190
	v_mul_u32_u24_e32 v37, 9, v37
	v_and_b32_e32 v42, v42, v188
	v_cmp_gt_i32_e64 s17, 0, v189
	v_ashrrev_i32_e32 v187, 31, v187
	v_xor_b32_e32 v43, vcc_lo, v43
	s_delay_alu instid0(VALU_DEP_4) | instskip(SKIP_1) | instid1(VALU_DEP_4)
	v_and_b32_e32 v42, v42, v190
	v_add_lshl_u32 v190, v37, v128, 2
	v_xor_b32_e32 v37, s17, v187
	s_delay_alu instid0(VALU_DEP_3) | instskip(SKIP_3) | instid1(VALU_DEP_1)
	v_and_b32_e32 v42, v42, v43
	ds_load_b32 v188, v190 offset:1056
	v_add_nc_u32_e32 v190, 0x420, v190
	; wave barrier
	v_and_b32_e32 v37, v42, v37
	v_mbcnt_lo_u32_b32 v189, v37, 0
	v_cmp_ne_u32_e64 s17, 0, v37
	s_delay_alu instid0(VALU_DEP_2) | instskip(NEXT) | instid1(VALU_DEP_2)
	v_cmp_eq_u32_e32 vcc_lo, 0, v189
	s_and_b32 s18, s17, vcc_lo
	s_delay_alu instid0(SALU_CYCLE_1)
	s_and_saveexec_b32 s17, s18
	s_cbranch_execz .LBB534_754
; %bb.753:                              ;   in Loop: Header=BB534_696 Depth=2
	s_waitcnt lgkmcnt(0)
	v_bcnt_u32_b32 v37, v37, v188
	ds_store_b32 v190, v37
.LBB534_754:                            ;   in Loop: Header=BB534_696 Depth=2
	s_or_b32 exec_lo, exec_lo, s17
	v_xor_b32_e32 v187, 0x7fffffff, v41
	; wave barrier
	s_delay_alu instid0(VALU_DEP_1) | instskip(NEXT) | instid1(VALU_DEP_1)
	v_lshrrev_b32_e32 v37, s57, v187
	v_and_b32_e32 v37, s39, v37
	s_delay_alu instid0(VALU_DEP_1)
	v_and_b32_e32 v41, 1, v37
	v_lshlrev_b32_e32 v42, 30, v37
	v_lshlrev_b32_e32 v43, 29, v37
	;; [unrolled: 1-line block ×4, first 2 shown]
	v_add_co_u32 v41, s17, v41, -1
	s_delay_alu instid0(VALU_DEP_1)
	v_cndmask_b32_e64 v192, 0, 1, s17
	v_not_b32_e32 v196, v42
	v_cmp_gt_i32_e64 s17, 0, v42
	v_not_b32_e32 v42, v43
	v_lshlrev_b32_e32 v194, 26, v37
	v_cmp_ne_u32_e32 vcc_lo, 0, v192
	v_ashrrev_i32_e32 v196, 31, v196
	v_lshlrev_b32_e32 v195, 25, v37
	v_ashrrev_i32_e32 v42, 31, v42
	v_lshlrev_b32_e32 v192, 24, v37
	v_xor_b32_e32 v41, vcc_lo, v41
	v_cmp_gt_i32_e32 vcc_lo, 0, v43
	v_not_b32_e32 v43, v191
	v_xor_b32_e32 v196, s17, v196
	v_cmp_gt_i32_e64 s17, 0, v191
	v_and_b32_e32 v41, exec_lo, v41
	v_not_b32_e32 v191, v193
	v_ashrrev_i32_e32 v43, 31, v43
	v_xor_b32_e32 v42, vcc_lo, v42
	v_cmp_gt_i32_e32 vcc_lo, 0, v193
	v_and_b32_e32 v41, v41, v196
	v_not_b32_e32 v193, v194
	v_ashrrev_i32_e32 v191, 31, v191
	v_xor_b32_e32 v43, s17, v43
	v_cmp_gt_i32_e64 s17, 0, v194
	v_and_b32_e32 v41, v41, v42
	v_not_b32_e32 v42, v195
	v_ashrrev_i32_e32 v193, 31, v193
	v_xor_b32_e32 v191, vcc_lo, v191
	v_cmp_gt_i32_e32 vcc_lo, 0, v195
	v_and_b32_e32 v41, v41, v43
	v_not_b32_e32 v43, v192
	v_ashrrev_i32_e32 v42, 31, v42
	v_xor_b32_e32 v193, s17, v193
	v_mul_u32_u24_e32 v37, 9, v37
	v_and_b32_e32 v41, v41, v191
	v_cmp_gt_i32_e64 s17, 0, v192
	v_ashrrev_i32_e32 v43, 31, v43
	v_xor_b32_e32 v42, vcc_lo, v42
	v_add_lshl_u32 v191, v37, v128, 2
	v_and_b32_e32 v41, v41, v193
	s_delay_alu instid0(VALU_DEP_4) | instskip(SKIP_3) | instid1(VALU_DEP_2)
	v_xor_b32_e32 v37, s17, v43
	ds_load_b32 v192, v191 offset:1056
	v_and_b32_e32 v41, v41, v42
	v_add_nc_u32_e32 v194, 0x420, v191
	; wave barrier
	v_and_b32_e32 v37, v41, v37
	s_delay_alu instid0(VALU_DEP_1) | instskip(SKIP_1) | instid1(VALU_DEP_2)
	v_mbcnt_lo_u32_b32 v193, v37, 0
	v_cmp_ne_u32_e64 s17, 0, v37
	v_cmp_eq_u32_e32 vcc_lo, 0, v193
	s_delay_alu instid0(VALU_DEP_2) | instskip(NEXT) | instid1(SALU_CYCLE_1)
	s_and_b32 s18, s17, vcc_lo
	s_and_saveexec_b32 s17, s18
	s_cbranch_execz .LBB534_756
; %bb.755:                              ;   in Loop: Header=BB534_696 Depth=2
	s_waitcnt lgkmcnt(0)
	v_bcnt_u32_b32 v37, v37, v192
	ds_store_b32 v194, v37
.LBB534_756:                            ;   in Loop: Header=BB534_696 Depth=2
	s_or_b32 exec_lo, exec_lo, s17
	v_xor_b32_e32 v191, 0x7fffffff, v40
	; wave barrier
	s_delay_alu instid0(VALU_DEP_1) | instskip(NEXT) | instid1(VALU_DEP_1)
	v_lshrrev_b32_e32 v37, s57, v191
	v_and_b32_e32 v37, s39, v37
	s_delay_alu instid0(VALU_DEP_1)
	v_and_b32_e32 v40, 1, v37
	v_lshlrev_b32_e32 v41, 30, v37
	v_lshlrev_b32_e32 v42, 29, v37
	v_lshlrev_b32_e32 v43, 28, v37
	v_lshlrev_b32_e32 v196, 27, v37
	v_add_co_u32 v40, s17, v40, -1
	s_delay_alu instid0(VALU_DEP_1)
	v_cndmask_b32_e64 v195, 0, 1, s17
	v_not_b32_e32 v199, v41
	v_cmp_gt_i32_e64 s17, 0, v41
	v_not_b32_e32 v41, v42
	v_lshlrev_b32_e32 v197, 26, v37
	v_cmp_ne_u32_e32 vcc_lo, 0, v195
	v_ashrrev_i32_e32 v199, 31, v199
	v_lshlrev_b32_e32 v198, 25, v37
	v_ashrrev_i32_e32 v41, 31, v41
	v_lshlrev_b32_e32 v195, 24, v37
	v_xor_b32_e32 v40, vcc_lo, v40
	v_cmp_gt_i32_e32 vcc_lo, 0, v42
	v_not_b32_e32 v42, v43
	v_xor_b32_e32 v199, s17, v199
	v_cmp_gt_i32_e64 s17, 0, v43
	v_and_b32_e32 v40, exec_lo, v40
	v_not_b32_e32 v43, v196
	v_ashrrev_i32_e32 v42, 31, v42
	v_xor_b32_e32 v41, vcc_lo, v41
	v_cmp_gt_i32_e32 vcc_lo, 0, v196
	v_and_b32_e32 v40, v40, v199
	v_not_b32_e32 v196, v197
	v_ashrrev_i32_e32 v43, 31, v43
	v_xor_b32_e32 v42, s17, v42
	v_cmp_gt_i32_e64 s17, 0, v197
	v_and_b32_e32 v40, v40, v41
	v_not_b32_e32 v41, v198
	v_ashrrev_i32_e32 v196, 31, v196
	v_xor_b32_e32 v43, vcc_lo, v43
	v_cmp_gt_i32_e32 vcc_lo, 0, v198
	v_and_b32_e32 v40, v40, v42
	v_not_b32_e32 v42, v195
	v_ashrrev_i32_e32 v41, 31, v41
	v_xor_b32_e32 v196, s17, v196
	v_mul_u32_u24_e32 v37, 9, v37
	v_and_b32_e32 v40, v40, v43
	v_cmp_gt_i32_e64 s17, 0, v195
	v_ashrrev_i32_e32 v42, 31, v42
	v_xor_b32_e32 v41, vcc_lo, v41
	v_add_lshl_u32 v43, v37, v128, 2
	v_and_b32_e32 v40, v40, v196
	s_delay_alu instid0(VALU_DEP_4) | instskip(SKIP_3) | instid1(VALU_DEP_2)
	v_xor_b32_e32 v37, s17, v42
	ds_load_b32 v196, v43 offset:1056
	v_and_b32_e32 v40, v40, v41
	v_add_nc_u32_e32 v198, 0x420, v43
	; wave barrier
	v_and_b32_e32 v37, v40, v37
	s_delay_alu instid0(VALU_DEP_1) | instskip(SKIP_1) | instid1(VALU_DEP_2)
	v_mbcnt_lo_u32_b32 v197, v37, 0
	v_cmp_ne_u32_e64 s17, 0, v37
	v_cmp_eq_u32_e32 vcc_lo, 0, v197
	s_delay_alu instid0(VALU_DEP_2) | instskip(NEXT) | instid1(SALU_CYCLE_1)
	s_and_b32 s18, s17, vcc_lo
	s_and_saveexec_b32 s17, s18
	s_cbranch_execz .LBB534_758
; %bb.757:                              ;   in Loop: Header=BB534_696 Depth=2
	s_waitcnt lgkmcnt(0)
	v_bcnt_u32_b32 v37, v37, v196
	ds_store_b32 v198, v37
.LBB534_758:                            ;   in Loop: Header=BB534_696 Depth=2
	s_or_b32 exec_lo, exec_lo, s17
	v_xor_b32_e32 v195, 0x7fffffff, v39
	; wave barrier
	s_delay_alu instid0(VALU_DEP_1) | instskip(NEXT) | instid1(VALU_DEP_1)
	v_lshrrev_b32_e32 v37, s57, v195
	v_and_b32_e32 v37, s39, v37
	s_delay_alu instid0(VALU_DEP_1)
	v_and_b32_e32 v39, 1, v37
	v_lshlrev_b32_e32 v40, 30, v37
	v_lshlrev_b32_e32 v41, 29, v37
	;; [unrolled: 1-line block ×4, first 2 shown]
	v_add_co_u32 v39, s17, v39, -1
	s_delay_alu instid0(VALU_DEP_1)
	v_cndmask_b32_e64 v43, 0, 1, s17
	v_not_b32_e32 v202, v40
	v_cmp_gt_i32_e64 s17, 0, v40
	v_not_b32_e32 v40, v41
	v_lshlrev_b32_e32 v200, 26, v37
	v_cmp_ne_u32_e32 vcc_lo, 0, v43
	v_ashrrev_i32_e32 v202, 31, v202
	v_lshlrev_b32_e32 v201, 25, v37
	v_ashrrev_i32_e32 v40, 31, v40
	v_lshlrev_b32_e32 v43, 24, v37
	v_xor_b32_e32 v39, vcc_lo, v39
	v_cmp_gt_i32_e32 vcc_lo, 0, v41
	v_not_b32_e32 v41, v42
	v_xor_b32_e32 v202, s17, v202
	v_cmp_gt_i32_e64 s17, 0, v42
	v_and_b32_e32 v39, exec_lo, v39
	v_not_b32_e32 v42, v199
	v_ashrrev_i32_e32 v41, 31, v41
	v_xor_b32_e32 v40, vcc_lo, v40
	v_cmp_gt_i32_e32 vcc_lo, 0, v199
	v_and_b32_e32 v39, v39, v202
	v_not_b32_e32 v199, v200
	v_ashrrev_i32_e32 v42, 31, v42
	v_xor_b32_e32 v41, s17, v41
	v_cmp_gt_i32_e64 s17, 0, v200
	v_and_b32_e32 v39, v39, v40
	v_not_b32_e32 v40, v201
	v_ashrrev_i32_e32 v199, 31, v199
	v_xor_b32_e32 v42, vcc_lo, v42
	v_cmp_gt_i32_e32 vcc_lo, 0, v201
	v_and_b32_e32 v39, v39, v41
	v_not_b32_e32 v41, v43
	v_ashrrev_i32_e32 v40, 31, v40
	v_xor_b32_e32 v199, s17, v199
	v_mul_u32_u24_e32 v37, 9, v37
	v_and_b32_e32 v39, v39, v42
	v_cmp_gt_i32_e64 s17, 0, v43
	v_ashrrev_i32_e32 v41, 31, v41
	v_xor_b32_e32 v40, vcc_lo, v40
	v_add_lshl_u32 v42, v37, v128, 2
	v_and_b32_e32 v39, v39, v199
	s_delay_alu instid0(VALU_DEP_4) | instskip(SKIP_3) | instid1(VALU_DEP_2)
	v_xor_b32_e32 v37, s17, v41
	ds_load_b32 v200, v42 offset:1056
	v_and_b32_e32 v39, v39, v40
	v_add_nc_u32_e32 v202, 0x420, v42
	; wave barrier
	v_and_b32_e32 v37, v39, v37
	s_delay_alu instid0(VALU_DEP_1) | instskip(SKIP_1) | instid1(VALU_DEP_2)
	v_mbcnt_lo_u32_b32 v201, v37, 0
	v_cmp_ne_u32_e64 s17, 0, v37
	v_cmp_eq_u32_e32 vcc_lo, 0, v201
	s_delay_alu instid0(VALU_DEP_2) | instskip(NEXT) | instid1(SALU_CYCLE_1)
	s_and_b32 s18, s17, vcc_lo
	s_and_saveexec_b32 s17, s18
	s_cbranch_execz .LBB534_760
; %bb.759:                              ;   in Loop: Header=BB534_696 Depth=2
	s_waitcnt lgkmcnt(0)
	v_bcnt_u32_b32 v37, v37, v200
	ds_store_b32 v202, v37
.LBB534_760:                            ;   in Loop: Header=BB534_696 Depth=2
	s_or_b32 exec_lo, exec_lo, s17
	v_xor_b32_e32 v199, 0x7fffffff, v38
	; wave barrier
	s_delay_alu instid0(VALU_DEP_1) | instskip(NEXT) | instid1(VALU_DEP_1)
	v_lshrrev_b32_e32 v37, s57, v199
	v_and_b32_e32 v37, s39, v37
	s_delay_alu instid0(VALU_DEP_1)
	v_and_b32_e32 v38, 1, v37
	v_lshlrev_b32_e32 v39, 30, v37
	v_lshlrev_b32_e32 v40, 29, v37
	;; [unrolled: 1-line block ×4, first 2 shown]
	v_add_co_u32 v38, s17, v38, -1
	s_delay_alu instid0(VALU_DEP_1)
	v_cndmask_b32_e64 v42, 0, 1, s17
	v_not_b32_e32 v205, v39
	v_cmp_gt_i32_e64 s17, 0, v39
	v_not_b32_e32 v39, v40
	v_lshlrev_b32_e32 v203, 26, v37
	v_cmp_ne_u32_e32 vcc_lo, 0, v42
	v_ashrrev_i32_e32 v205, 31, v205
	v_lshlrev_b32_e32 v204, 25, v37
	v_ashrrev_i32_e32 v39, 31, v39
	v_lshlrev_b32_e32 v42, 24, v37
	v_xor_b32_e32 v38, vcc_lo, v38
	v_cmp_gt_i32_e32 vcc_lo, 0, v40
	v_not_b32_e32 v40, v41
	v_xor_b32_e32 v205, s17, v205
	v_cmp_gt_i32_e64 s17, 0, v41
	v_and_b32_e32 v38, exec_lo, v38
	v_not_b32_e32 v41, v43
	v_ashrrev_i32_e32 v40, 31, v40
	v_xor_b32_e32 v39, vcc_lo, v39
	v_cmp_gt_i32_e32 vcc_lo, 0, v43
	v_and_b32_e32 v38, v38, v205
	v_not_b32_e32 v43, v203
	v_ashrrev_i32_e32 v41, 31, v41
	v_xor_b32_e32 v40, s17, v40
	v_cmp_gt_i32_e64 s17, 0, v203
	v_and_b32_e32 v38, v38, v39
	v_not_b32_e32 v39, v204
	v_ashrrev_i32_e32 v43, 31, v43
	v_xor_b32_e32 v41, vcc_lo, v41
	v_cmp_gt_i32_e32 vcc_lo, 0, v204
	v_and_b32_e32 v38, v38, v40
	v_not_b32_e32 v40, v42
	v_ashrrev_i32_e32 v39, 31, v39
	v_xor_b32_e32 v43, s17, v43
	v_mul_u32_u24_e32 v37, 9, v37
	v_and_b32_e32 v38, v38, v41
	v_cmp_gt_i32_e64 s17, 0, v42
	v_ashrrev_i32_e32 v40, 31, v40
	v_xor_b32_e32 v39, vcc_lo, v39
	v_add_lshl_u32 v41, v37, v128, 2
	v_and_b32_e32 v38, v38, v43
	s_delay_alu instid0(VALU_DEP_4) | instskip(SKIP_3) | instid1(VALU_DEP_2)
	v_xor_b32_e32 v37, s17, v40
	ds_load_b32 v204, v41 offset:1056
	v_and_b32_e32 v38, v38, v39
	v_add_nc_u32_e32 v206, 0x420, v41
	; wave barrier
	v_and_b32_e32 v37, v38, v37
	s_delay_alu instid0(VALU_DEP_1) | instskip(SKIP_1) | instid1(VALU_DEP_2)
	v_mbcnt_lo_u32_b32 v205, v37, 0
	v_cmp_ne_u32_e64 s17, 0, v37
	v_cmp_eq_u32_e32 vcc_lo, 0, v205
	s_delay_alu instid0(VALU_DEP_2) | instskip(NEXT) | instid1(SALU_CYCLE_1)
	s_and_b32 s18, s17, vcc_lo
	s_and_saveexec_b32 s17, s18
	s_cbranch_execz .LBB534_762
; %bb.761:                              ;   in Loop: Header=BB534_696 Depth=2
	s_waitcnt lgkmcnt(0)
	v_bcnt_u32_b32 v37, v37, v204
	ds_store_b32 v206, v37
.LBB534_762:                            ;   in Loop: Header=BB534_696 Depth=2
	s_or_b32 exec_lo, exec_lo, s17
	v_xor_b32_e32 v203, 0x7fffffff, v36
	; wave barrier
	s_delay_alu instid0(VALU_DEP_1) | instskip(NEXT) | instid1(VALU_DEP_1)
	v_lshrrev_b32_e32 v36, s57, v203
	v_and_b32_e32 v36, s39, v36
	s_delay_alu instid0(VALU_DEP_1)
	v_and_b32_e32 v37, 1, v36
	v_lshlrev_b32_e32 v38, 30, v36
	v_lshlrev_b32_e32 v39, 29, v36
	;; [unrolled: 1-line block ×4, first 2 shown]
	v_add_co_u32 v37, s17, v37, -1
	s_delay_alu instid0(VALU_DEP_1)
	v_cndmask_b32_e64 v41, 0, 1, s17
	v_not_b32_e32 v208, v38
	v_cmp_gt_i32_e64 s17, 0, v38
	v_not_b32_e32 v38, v39
	v_lshlrev_b32_e32 v43, 26, v36
	v_cmp_ne_u32_e32 vcc_lo, 0, v41
	v_ashrrev_i32_e32 v208, 31, v208
	v_lshlrev_b32_e32 v207, 25, v36
	v_ashrrev_i32_e32 v38, 31, v38
	v_lshlrev_b32_e32 v41, 24, v36
	v_xor_b32_e32 v37, vcc_lo, v37
	v_cmp_gt_i32_e32 vcc_lo, 0, v39
	v_not_b32_e32 v39, v40
	v_xor_b32_e32 v208, s17, v208
	v_cmp_gt_i32_e64 s17, 0, v40
	v_and_b32_e32 v37, exec_lo, v37
	v_not_b32_e32 v40, v42
	v_ashrrev_i32_e32 v39, 31, v39
	v_xor_b32_e32 v38, vcc_lo, v38
	v_cmp_gt_i32_e32 vcc_lo, 0, v42
	v_and_b32_e32 v37, v37, v208
	v_not_b32_e32 v42, v43
	v_ashrrev_i32_e32 v40, 31, v40
	v_xor_b32_e32 v39, s17, v39
	v_cmp_gt_i32_e64 s17, 0, v43
	v_and_b32_e32 v37, v37, v38
	v_not_b32_e32 v38, v207
	v_ashrrev_i32_e32 v42, 31, v42
	v_xor_b32_e32 v40, vcc_lo, v40
	v_cmp_gt_i32_e32 vcc_lo, 0, v207
	v_and_b32_e32 v37, v37, v39
	v_not_b32_e32 v39, v41
	v_ashrrev_i32_e32 v38, 31, v38
	v_xor_b32_e32 v42, s17, v42
	v_mul_u32_u24_e32 v36, 9, v36
	v_and_b32_e32 v37, v37, v40
	v_cmp_gt_i32_e64 s17, 0, v41
	v_ashrrev_i32_e32 v39, 31, v39
	v_xor_b32_e32 v38, vcc_lo, v38
	v_add_lshl_u32 v40, v36, v128, 2
	v_and_b32_e32 v37, v37, v42
	s_delay_alu instid0(VALU_DEP_4) | instskip(SKIP_3) | instid1(VALU_DEP_2)
	v_xor_b32_e32 v36, s17, v39
	ds_load_b32 v207, v40 offset:1056
	v_and_b32_e32 v37, v37, v38
	v_add_nc_u32_e32 v209, 0x420, v40
	; wave barrier
	v_and_b32_e32 v36, v37, v36
	s_delay_alu instid0(VALU_DEP_1) | instskip(SKIP_1) | instid1(VALU_DEP_2)
	v_mbcnt_lo_u32_b32 v208, v36, 0
	v_cmp_ne_u32_e64 s17, 0, v36
	v_cmp_eq_u32_e32 vcc_lo, 0, v208
	s_delay_alu instid0(VALU_DEP_2) | instskip(NEXT) | instid1(SALU_CYCLE_1)
	s_and_b32 s18, s17, vcc_lo
	s_and_saveexec_b32 s17, s18
	s_cbranch_execz .LBB534_764
; %bb.763:                              ;   in Loop: Header=BB534_696 Depth=2
	s_waitcnt lgkmcnt(0)
	v_bcnt_u32_b32 v36, v36, v207
	ds_store_b32 v209, v36
.LBB534_764:                            ;   in Loop: Header=BB534_696 Depth=2
	s_or_b32 exec_lo, exec_lo, s17
	; wave barrier
	s_waitcnt lgkmcnt(0)
	s_barrier
	buffer_gl0_inv
	ds_load_b32 v210, v70 offset:1056
	ds_load_2addr_b32 v[42:43], v71 offset0:1 offset1:2
	ds_load_2addr_b32 v[40:41], v71 offset0:3 offset1:4
	;; [unrolled: 1-line block ×4, first 2 shown]
	s_waitcnt lgkmcnt(3)
	v_add3_u32 v211, v42, v210, v43
	s_waitcnt lgkmcnt(2)
	s_delay_alu instid0(VALU_DEP_1) | instskip(SKIP_1) | instid1(VALU_DEP_1)
	v_add3_u32 v211, v211, v40, v41
	s_waitcnt lgkmcnt(1)
	v_add3_u32 v211, v211, v36, v37
	s_waitcnt lgkmcnt(0)
	s_delay_alu instid0(VALU_DEP_1) | instskip(NEXT) | instid1(VALU_DEP_1)
	v_add3_u32 v39, v211, v38, v39
	v_mov_b32_dpp v211, v39 row_shr:1 row_mask:0xf bank_mask:0xf
	s_delay_alu instid0(VALU_DEP_1) | instskip(NEXT) | instid1(VALU_DEP_1)
	v_cndmask_b32_e64 v211, v211, 0, s0
	v_add_nc_u32_e32 v39, v211, v39
	s_delay_alu instid0(VALU_DEP_1) | instskip(NEXT) | instid1(VALU_DEP_1)
	v_mov_b32_dpp v211, v39 row_shr:2 row_mask:0xf bank_mask:0xf
	v_cndmask_b32_e64 v211, 0, v211, s1
	s_delay_alu instid0(VALU_DEP_1) | instskip(NEXT) | instid1(VALU_DEP_1)
	v_add_nc_u32_e32 v39, v39, v211
	v_mov_b32_dpp v211, v39 row_shr:4 row_mask:0xf bank_mask:0xf
	s_delay_alu instid0(VALU_DEP_1) | instskip(NEXT) | instid1(VALU_DEP_1)
	v_cndmask_b32_e64 v211, 0, v211, s8
	v_add_nc_u32_e32 v39, v39, v211
	s_delay_alu instid0(VALU_DEP_1) | instskip(NEXT) | instid1(VALU_DEP_1)
	v_mov_b32_dpp v211, v39 row_shr:8 row_mask:0xf bank_mask:0xf
	v_cndmask_b32_e64 v211, 0, v211, s9
	s_delay_alu instid0(VALU_DEP_1) | instskip(SKIP_3) | instid1(VALU_DEP_1)
	v_add_nc_u32_e32 v39, v39, v211
	ds_swizzle_b32 v211, v39 offset:swizzle(BROADCAST,32,15)
	s_waitcnt lgkmcnt(0)
	v_cndmask_b32_e64 v211, v211, 0, s10
	v_add_nc_u32_e32 v39, v39, v211
	s_and_saveexec_b32 s17, s3
	s_cbranch_execz .LBB534_766
; %bb.765:                              ;   in Loop: Header=BB534_696 Depth=2
	ds_store_b32 v62, v39 offset:1024
.LBB534_766:                            ;   in Loop: Header=BB534_696 Depth=2
	s_or_b32 exec_lo, exec_lo, s17
	s_waitcnt lgkmcnt(0)
	s_barrier
	buffer_gl0_inv
	s_and_saveexec_b32 s17, s4
	s_cbranch_execz .LBB534_768
; %bb.767:                              ;   in Loop: Header=BB534_696 Depth=2
	v_add_nc_u32_e32 v211, v70, v72
	ds_load_b32 v212, v211 offset:1024
	s_waitcnt lgkmcnt(0)
	v_mov_b32_dpp v213, v212 row_shr:1 row_mask:0xf bank_mask:0xf
	s_delay_alu instid0(VALU_DEP_1) | instskip(NEXT) | instid1(VALU_DEP_1)
	v_cndmask_b32_e64 v213, v213, 0, s12
	v_add_nc_u32_e32 v212, v213, v212
	s_delay_alu instid0(VALU_DEP_1) | instskip(NEXT) | instid1(VALU_DEP_1)
	v_mov_b32_dpp v213, v212 row_shr:2 row_mask:0xf bank_mask:0xf
	v_cndmask_b32_e64 v213, 0, v213, s13
	s_delay_alu instid0(VALU_DEP_1) | instskip(NEXT) | instid1(VALU_DEP_1)
	v_add_nc_u32_e32 v212, v212, v213
	v_mov_b32_dpp v213, v212 row_shr:4 row_mask:0xf bank_mask:0xf
	s_delay_alu instid0(VALU_DEP_1) | instskip(NEXT) | instid1(VALU_DEP_1)
	v_cndmask_b32_e64 v213, 0, v213, s16
	v_add_nc_u32_e32 v212, v212, v213
	ds_store_b32 v211, v212 offset:1024
.LBB534_768:                            ;   in Loop: Header=BB534_696 Depth=2
	s_or_b32 exec_lo, exec_lo, s17
	v_mov_b32_e32 v211, 0
	s_waitcnt lgkmcnt(0)
	s_barrier
	buffer_gl0_inv
	s_and_saveexec_b32 s17, s5
	s_cbranch_execz .LBB534_770
; %bb.769:                              ;   in Loop: Header=BB534_696 Depth=2
	ds_load_b32 v211, v62 offset:1020
.LBB534_770:                            ;   in Loop: Header=BB534_696 Depth=2
	s_or_b32 exec_lo, exec_lo, s17
	s_waitcnt lgkmcnt(0)
	v_add_nc_u32_e32 v39, v211, v39
	ds_bpermute_b32 v39, v107, v39
	s_waitcnt lgkmcnt(0)
	v_cndmask_b32_e64 v39, v39, v211, s11
	s_delay_alu instid0(VALU_DEP_1) | instskip(NEXT) | instid1(VALU_DEP_1)
	v_cndmask_b32_e64 v39, v39, 0, s6
	v_add_nc_u32_e32 v210, v39, v210
	s_delay_alu instid0(VALU_DEP_1) | instskip(NEXT) | instid1(VALU_DEP_1)
	v_add_nc_u32_e32 v42, v210, v42
	v_add_nc_u32_e32 v43, v42, v43
	s_delay_alu instid0(VALU_DEP_1) | instskip(NEXT) | instid1(VALU_DEP_1)
	v_add_nc_u32_e32 v40, v43, v40
	;; [unrolled: 3-line block ×3, first 2 shown]
	v_add_nc_u32_e32 v37, v36, v37
	s_delay_alu instid0(VALU_DEP_1)
	v_add_nc_u32_e32 v38, v37, v38
	ds_store_b32 v70, v39 offset:1056
	ds_store_2addr_b32 v71, v210, v42 offset0:1 offset1:2
	ds_store_2addr_b32 v71, v43, v40 offset0:3 offset1:4
	;; [unrolled: 1-line block ×4, first 2 shown]
	v_mov_b32_e32 v38, 0x1000
	s_waitcnt lgkmcnt(0)
	s_barrier
	buffer_gl0_inv
	ds_load_b32 v39, v154
	ds_load_b32 v40, v158
	;; [unrolled: 1-line block ×16, first 2 shown]
	ds_load_b32 v158, v70 offset:1056
	s_and_saveexec_b32 s17, s7
	s_cbranch_execz .LBB534_772
; %bb.771:                              ;   in Loop: Header=BB534_696 Depth=2
	ds_load_b32 v38, v73 offset:1056
.LBB534_772:                            ;   in Loop: Header=BB534_696 Depth=2
	s_or_b32 exec_lo, exec_lo, s17
	s_waitcnt lgkmcnt(0)
	s_barrier
	buffer_gl0_inv
	s_and_saveexec_b32 s17, s2
	s_cbranch_execz .LBB534_774
; %bb.773:                              ;   in Loop: Header=BB534_696 Depth=2
	ds_load_b32 v162, v44
	s_waitcnt lgkmcnt(0)
	v_sub_nc_u32_e32 v158, v162, v158
	ds_store_b32 v44, v158
.LBB534_774:                            ;   in Loop: Header=BB534_696 Depth=2
	s_or_b32 exec_lo, exec_lo, s17
	v_add_nc_u32_e32 v170, v150, v149
	v_add3_u32 v166, v153, v152, v39
	v_add3_u32 v162, v157, v156, v40
	;; [unrolled: 1-line block ×5, first 2 shown]
	v_lshlrev_b32_e32 v160, 2, v170
	v_add3_u32 v43, v201, v200, v36
	v_lshlrev_b32_e32 v36, 2, v166
	v_add3_u32 v154, v174, v173, v175
	v_add3_u32 v153, v177, v176, v178
	ds_store_b32 v160, v2 offset:1024
	v_lshlrev_b32_e32 v2, 2, v162
	ds_store_b32 v36, v148 offset:1024
	v_lshlrev_b32_e32 v36, 2, v156
	v_add3_u32 v152, v181, v180, v182
	v_add3_u32 v42, v205, v204, v37
	v_lshlrev_b32_e32 v37, 2, v158
	v_add3_u32 v150, v185, v184, v186
	v_lshlrev_b32_e32 v160, 2, v157
	v_add3_u32 v149, v189, v188, v190
	v_add3_u32 v40, v193, v192, v194
	ds_store_b32 v2, v151 offset:1024
	ds_store_b32 v37, v155 offset:1024
	;; [unrolled: 1-line block ×3, first 2 shown]
	v_lshlrev_b32_e32 v2, 2, v154
	ds_store_b32 v36, v163 offset:1024
	v_lshlrev_b32_e32 v36, 2, v153
	v_lshlrev_b32_e32 v37, 2, v152
	;; [unrolled: 1-line block ×3, first 2 shown]
	v_add3_u32 v39, v197, v196, v198
	v_add3_u32 v41, v208, v207, v41
	ds_store_b32 v2, v167 offset:1024
	v_lshlrev_b32_e32 v2, 2, v149
	ds_store_b32 v36, v172 offset:1024
	ds_store_b32 v37, v171 offset:1024
	;; [unrolled: 1-line block ×3, first 2 shown]
	v_lshlrev_b32_e32 v36, 2, v40
	v_cmp_lt_u32_e32 vcc_lo, v1, v147
	v_lshlrev_b32_e32 v37, 2, v43
	ds_store_b32 v2, v183 offset:1024
	v_lshlrev_b32_e32 v2, 2, v39
	ds_store_b32 v36, v187 offset:1024
	v_lshlrev_b32_e32 v36, 2, v41
	v_lshlrev_b32_e32 v148, 2, v42
	ds_store_b32 v2, v191 offset:1024
	ds_store_b32 v37, v195 offset:1024
	;; [unrolled: 1-line block ×4, first 2 shown]
	s_waitcnt lgkmcnt(0)
	s_barrier
	buffer_gl0_inv
	s_and_saveexec_b32 s18, vcc_lo
	s_cbranch_execz .LBB534_790
; %bb.775:                              ;   in Loop: Header=BB534_696 Depth=2
	v_add_nc_u32_e32 v2, v70, v72
	ds_load_b32 v148, v2 offset:1024
	s_waitcnt lgkmcnt(0)
	v_lshrrev_b32_e32 v2, s57, v148
	s_delay_alu instid0(VALU_DEP_1) | instskip(NEXT) | instid1(VALU_DEP_1)
	v_and_b32_e32 v2, s39, v2
	v_lshlrev_b32_e32 v2, 2, v2
	ds_load_b32 v2, v2
	s_waitcnt lgkmcnt(0)
	v_add_nc_u32_e32 v2, v2, v1
	s_delay_alu instid0(VALU_DEP_1) | instskip(SKIP_1) | instid1(VALU_DEP_2)
	v_lshlrev_b64 v[36:37], 2, v[2:3]
	v_xor_b32_e32 v2, 0x7fffffff, v148
	v_add_co_u32 v36, s17, s46, v36
	s_delay_alu instid0(VALU_DEP_1) | instskip(SKIP_3) | instid1(VALU_DEP_1)
	v_add_co_ci_u32_e64 v37, s17, s47, v37, s17
	global_store_b32 v[36:37], v2, off
	s_or_b32 exec_lo, exec_lo, s18
	v_cmp_lt_u32_e64 s17, v45, v147
	s_and_saveexec_b32 s19, s17
	s_cbranch_execnz .LBB534_791
.LBB534_776:                            ;   in Loop: Header=BB534_696 Depth=2
	s_or_b32 exec_lo, exec_lo, s19
	v_cmp_lt_u32_e64 s18, v46, v147
	s_delay_alu instid0(VALU_DEP_1)
	s_and_saveexec_b32 s20, s18
	s_cbranch_execz .LBB534_792
.LBB534_777:                            ;   in Loop: Header=BB534_696 Depth=2
	ds_load_b32 v148, v78 offset:2048
	s_waitcnt lgkmcnt(0)
	v_lshrrev_b32_e32 v2, s57, v148
	s_delay_alu instid0(VALU_DEP_1) | instskip(NEXT) | instid1(VALU_DEP_1)
	v_and_b32_e32 v2, s39, v2
	v_lshlrev_b32_e32 v2, 2, v2
	ds_load_b32 v2, v2
	s_waitcnt lgkmcnt(0)
	v_add_nc_u32_e32 v2, v2, v46
	s_delay_alu instid0(VALU_DEP_1) | instskip(SKIP_1) | instid1(VALU_DEP_2)
	v_lshlrev_b64 v[36:37], 2, v[2:3]
	v_xor_b32_e32 v2, 0x7fffffff, v148
	v_add_co_u32 v36, s19, s46, v36
	s_delay_alu instid0(VALU_DEP_1) | instskip(SKIP_3) | instid1(VALU_DEP_1)
	v_add_co_ci_u32_e64 v37, s19, s47, v37, s19
	global_store_b32 v[36:37], v2, off
	s_or_b32 exec_lo, exec_lo, s20
	v_cmp_lt_u32_e64 s19, v47, v147
	s_and_saveexec_b32 s21, s19
	s_cbranch_execnz .LBB534_793
.LBB534_778:                            ;   in Loop: Header=BB534_696 Depth=2
	s_or_b32 exec_lo, exec_lo, s21
	v_cmp_lt_u32_e64 s20, v51, v147
	s_delay_alu instid0(VALU_DEP_1)
	s_and_saveexec_b32 s22, s20
	s_cbranch_execz .LBB534_794
.LBB534_779:                            ;   in Loop: Header=BB534_696 Depth=2
	ds_load_b32 v148, v78 offset:4096
	s_waitcnt lgkmcnt(0)
	v_lshrrev_b32_e32 v2, s57, v148
	s_delay_alu instid0(VALU_DEP_1) | instskip(NEXT) | instid1(VALU_DEP_1)
	v_and_b32_e32 v2, s39, v2
	v_lshlrev_b32_e32 v2, 2, v2
	ds_load_b32 v2, v2
	s_waitcnt lgkmcnt(0)
	v_add_nc_u32_e32 v2, v2, v51
	s_delay_alu instid0(VALU_DEP_1) | instskip(SKIP_1) | instid1(VALU_DEP_2)
	v_lshlrev_b64 v[36:37], 2, v[2:3]
	v_xor_b32_e32 v2, 0x7fffffff, v148
	v_add_co_u32 v36, s21, s46, v36
	s_delay_alu instid0(VALU_DEP_1) | instskip(SKIP_3) | instid1(VALU_DEP_1)
	v_add_co_ci_u32_e64 v37, s21, s47, v37, s21
	global_store_b32 v[36:37], v2, off
	s_or_b32 exec_lo, exec_lo, s22
	v_cmp_lt_u32_e64 s21, v52, v147
	s_and_saveexec_b32 s23, s21
	s_cbranch_execnz .LBB534_795
.LBB534_780:                            ;   in Loop: Header=BB534_696 Depth=2
	s_or_b32 exec_lo, exec_lo, s23
	v_cmp_lt_u32_e64 s22, v53, v147
	s_delay_alu instid0(VALU_DEP_1)
	s_and_saveexec_b32 s24, s22
	s_cbranch_execz .LBB534_796
.LBB534_781:                            ;   in Loop: Header=BB534_696 Depth=2
	ds_load_b32 v148, v78 offset:6144
	s_waitcnt lgkmcnt(0)
	v_lshrrev_b32_e32 v2, s57, v148
	s_delay_alu instid0(VALU_DEP_1) | instskip(NEXT) | instid1(VALU_DEP_1)
	v_and_b32_e32 v2, s39, v2
	v_lshlrev_b32_e32 v2, 2, v2
	ds_load_b32 v2, v2
	s_waitcnt lgkmcnt(0)
	v_add_nc_u32_e32 v2, v2, v53
	s_delay_alu instid0(VALU_DEP_1) | instskip(SKIP_1) | instid1(VALU_DEP_2)
	v_lshlrev_b64 v[36:37], 2, v[2:3]
	v_xor_b32_e32 v2, 0x7fffffff, v148
	v_add_co_u32 v36, s23, s46, v36
	s_delay_alu instid0(VALU_DEP_1) | instskip(SKIP_3) | instid1(VALU_DEP_1)
	v_add_co_ci_u32_e64 v37, s23, s47, v37, s23
	global_store_b32 v[36:37], v2, off
	s_or_b32 exec_lo, exec_lo, s24
	v_cmp_lt_u32_e64 s23, v54, v147
	s_and_saveexec_b32 s25, s23
	s_cbranch_execnz .LBB534_797
.LBB534_782:                            ;   in Loop: Header=BB534_696 Depth=2
	s_or_b32 exec_lo, exec_lo, s25
	v_cmp_lt_u32_e64 s24, v55, v147
	s_delay_alu instid0(VALU_DEP_1)
	s_and_saveexec_b32 s26, s24
	s_cbranch_execz .LBB534_798
.LBB534_783:                            ;   in Loop: Header=BB534_696 Depth=2
	ds_load_b32 v148, v78 offset:8192
	s_waitcnt lgkmcnt(0)
	v_lshrrev_b32_e32 v2, s57, v148
	s_delay_alu instid0(VALU_DEP_1) | instskip(NEXT) | instid1(VALU_DEP_1)
	v_and_b32_e32 v2, s39, v2
	v_lshlrev_b32_e32 v2, 2, v2
	ds_load_b32 v2, v2
	s_waitcnt lgkmcnt(0)
	v_add_nc_u32_e32 v2, v2, v55
	s_delay_alu instid0(VALU_DEP_1) | instskip(SKIP_1) | instid1(VALU_DEP_2)
	v_lshlrev_b64 v[36:37], 2, v[2:3]
	v_xor_b32_e32 v2, 0x7fffffff, v148
	v_add_co_u32 v36, s25, s46, v36
	s_delay_alu instid0(VALU_DEP_1) | instskip(SKIP_3) | instid1(VALU_DEP_1)
	v_add_co_ci_u32_e64 v37, s25, s47, v37, s25
	global_store_b32 v[36:37], v2, off
	s_or_b32 exec_lo, exec_lo, s26
	v_cmp_lt_u32_e64 s25, v56, v147
	s_and_saveexec_b32 s27, s25
	s_cbranch_execnz .LBB534_799
.LBB534_784:                            ;   in Loop: Header=BB534_696 Depth=2
	s_or_b32 exec_lo, exec_lo, s27
	v_cmp_lt_u32_e64 s26, v57, v147
	s_delay_alu instid0(VALU_DEP_1)
	s_and_saveexec_b32 s28, s26
	s_cbranch_execz .LBB534_800
.LBB534_785:                            ;   in Loop: Header=BB534_696 Depth=2
	ds_load_b32 v148, v78 offset:10240
	s_waitcnt lgkmcnt(0)
	v_lshrrev_b32_e32 v2, s57, v148
	s_delay_alu instid0(VALU_DEP_1) | instskip(NEXT) | instid1(VALU_DEP_1)
	v_and_b32_e32 v2, s39, v2
	v_lshlrev_b32_e32 v2, 2, v2
	ds_load_b32 v2, v2
	s_waitcnt lgkmcnt(0)
	v_add_nc_u32_e32 v2, v2, v57
	s_delay_alu instid0(VALU_DEP_1) | instskip(SKIP_1) | instid1(VALU_DEP_2)
	v_lshlrev_b64 v[36:37], 2, v[2:3]
	v_xor_b32_e32 v2, 0x7fffffff, v148
	v_add_co_u32 v36, s27, s46, v36
	s_delay_alu instid0(VALU_DEP_1) | instskip(SKIP_3) | instid1(VALU_DEP_1)
	v_add_co_ci_u32_e64 v37, s27, s47, v37, s27
	global_store_b32 v[36:37], v2, off
	s_or_b32 exec_lo, exec_lo, s28
	v_cmp_lt_u32_e64 s27, v58, v147
	s_and_saveexec_b32 s29, s27
	s_cbranch_execnz .LBB534_801
.LBB534_786:                            ;   in Loop: Header=BB534_696 Depth=2
	s_or_b32 exec_lo, exec_lo, s29
	v_cmp_lt_u32_e64 s28, v59, v147
	s_delay_alu instid0(VALU_DEP_1)
	s_and_saveexec_b32 s30, s28
	s_cbranch_execz .LBB534_802
.LBB534_787:                            ;   in Loop: Header=BB534_696 Depth=2
	ds_load_b32 v148, v78 offset:12288
	s_waitcnt lgkmcnt(0)
	v_lshrrev_b32_e32 v2, s57, v148
	s_delay_alu instid0(VALU_DEP_1) | instskip(NEXT) | instid1(VALU_DEP_1)
	v_and_b32_e32 v2, s39, v2
	v_lshlrev_b32_e32 v2, 2, v2
	ds_load_b32 v2, v2
	s_waitcnt lgkmcnt(0)
	v_add_nc_u32_e32 v2, v2, v59
	s_delay_alu instid0(VALU_DEP_1) | instskip(SKIP_1) | instid1(VALU_DEP_2)
	v_lshlrev_b64 v[36:37], 2, v[2:3]
	v_xor_b32_e32 v2, 0x7fffffff, v148
	v_add_co_u32 v36, s29, s46, v36
	s_delay_alu instid0(VALU_DEP_1) | instskip(SKIP_3) | instid1(VALU_DEP_1)
	v_add_co_ci_u32_e64 v37, s29, s47, v37, s29
	global_store_b32 v[36:37], v2, off
	s_or_b32 exec_lo, exec_lo, s30
	v_cmp_lt_u32_e64 s29, v60, v147
	s_and_saveexec_b32 s31, s29
	s_cbranch_execnz .LBB534_803
.LBB534_788:                            ;   in Loop: Header=BB534_696 Depth=2
	s_or_b32 exec_lo, exec_lo, s31
	v_cmp_lt_u32_e64 s30, v61, v147
	s_delay_alu instid0(VALU_DEP_1)
	s_and_saveexec_b32 s33, s30
	s_cbranch_execz .LBB534_804
.LBB534_789:                            ;   in Loop: Header=BB534_696 Depth=2
	ds_load_b32 v148, v78 offset:14336
	s_waitcnt lgkmcnt(0)
	v_lshrrev_b32_e32 v2, s57, v148
	s_delay_alu instid0(VALU_DEP_1) | instskip(NEXT) | instid1(VALU_DEP_1)
	v_and_b32_e32 v2, s39, v2
	v_lshlrev_b32_e32 v2, 2, v2
	ds_load_b32 v2, v2
	s_waitcnt lgkmcnt(0)
	v_add_nc_u32_e32 v2, v2, v61
	s_delay_alu instid0(VALU_DEP_1) | instskip(SKIP_1) | instid1(VALU_DEP_2)
	v_lshlrev_b64 v[36:37], 2, v[2:3]
	v_xor_b32_e32 v2, 0x7fffffff, v148
	v_add_co_u32 v36, s31, s46, v36
	s_delay_alu instid0(VALU_DEP_1) | instskip(SKIP_3) | instid1(VALU_DEP_1)
	v_add_co_ci_u32_e64 v37, s31, s47, v37, s31
	global_store_b32 v[36:37], v2, off
	s_or_b32 exec_lo, exec_lo, s33
	v_cmp_lt_u32_e64 s31, v63, v147
	s_and_saveexec_b32 s42, s31
	s_cbranch_execnz .LBB534_805
	s_branch .LBB534_806
.LBB534_790:                            ;   in Loop: Header=BB534_696 Depth=2
	s_or_b32 exec_lo, exec_lo, s18
	v_cmp_lt_u32_e64 s17, v45, v147
	s_delay_alu instid0(VALU_DEP_1)
	s_and_saveexec_b32 s19, s17
	s_cbranch_execz .LBB534_776
.LBB534_791:                            ;   in Loop: Header=BB534_696 Depth=2
	ds_load_b32 v148, v78 offset:1024
	s_waitcnt lgkmcnt(0)
	v_lshrrev_b32_e32 v2, s57, v148
	s_delay_alu instid0(VALU_DEP_1) | instskip(NEXT) | instid1(VALU_DEP_1)
	v_and_b32_e32 v2, s39, v2
	v_lshlrev_b32_e32 v2, 2, v2
	ds_load_b32 v2, v2
	s_waitcnt lgkmcnt(0)
	v_add_nc_u32_e32 v2, v2, v45
	s_delay_alu instid0(VALU_DEP_1) | instskip(SKIP_1) | instid1(VALU_DEP_2)
	v_lshlrev_b64 v[36:37], 2, v[2:3]
	v_xor_b32_e32 v2, 0x7fffffff, v148
	v_add_co_u32 v36, s18, s46, v36
	s_delay_alu instid0(VALU_DEP_1) | instskip(SKIP_3) | instid1(VALU_DEP_1)
	v_add_co_ci_u32_e64 v37, s18, s47, v37, s18
	global_store_b32 v[36:37], v2, off
	s_or_b32 exec_lo, exec_lo, s19
	v_cmp_lt_u32_e64 s18, v46, v147
	s_and_saveexec_b32 s20, s18
	s_cbranch_execnz .LBB534_777
.LBB534_792:                            ;   in Loop: Header=BB534_696 Depth=2
	s_or_b32 exec_lo, exec_lo, s20
	v_cmp_lt_u32_e64 s19, v47, v147
	s_delay_alu instid0(VALU_DEP_1)
	s_and_saveexec_b32 s21, s19
	s_cbranch_execz .LBB534_778
.LBB534_793:                            ;   in Loop: Header=BB534_696 Depth=2
	ds_load_b32 v148, v78 offset:3072
	s_waitcnt lgkmcnt(0)
	v_lshrrev_b32_e32 v2, s57, v148
	s_delay_alu instid0(VALU_DEP_1) | instskip(NEXT) | instid1(VALU_DEP_1)
	v_and_b32_e32 v2, s39, v2
	v_lshlrev_b32_e32 v2, 2, v2
	ds_load_b32 v2, v2
	s_waitcnt lgkmcnt(0)
	v_add_nc_u32_e32 v2, v2, v47
	s_delay_alu instid0(VALU_DEP_1) | instskip(SKIP_1) | instid1(VALU_DEP_2)
	v_lshlrev_b64 v[36:37], 2, v[2:3]
	v_xor_b32_e32 v2, 0x7fffffff, v148
	v_add_co_u32 v36, s20, s46, v36
	s_delay_alu instid0(VALU_DEP_1) | instskip(SKIP_3) | instid1(VALU_DEP_1)
	v_add_co_ci_u32_e64 v37, s20, s47, v37, s20
	global_store_b32 v[36:37], v2, off
	s_or_b32 exec_lo, exec_lo, s21
	v_cmp_lt_u32_e64 s20, v51, v147
	s_and_saveexec_b32 s22, s20
	s_cbranch_execnz .LBB534_779
.LBB534_794:                            ;   in Loop: Header=BB534_696 Depth=2
	s_or_b32 exec_lo, exec_lo, s22
	v_cmp_lt_u32_e64 s21, v52, v147
	s_delay_alu instid0(VALU_DEP_1)
	s_and_saveexec_b32 s23, s21
	s_cbranch_execz .LBB534_780
.LBB534_795:                            ;   in Loop: Header=BB534_696 Depth=2
	ds_load_b32 v148, v78 offset:5120
	s_waitcnt lgkmcnt(0)
	v_lshrrev_b32_e32 v2, s57, v148
	s_delay_alu instid0(VALU_DEP_1) | instskip(NEXT) | instid1(VALU_DEP_1)
	v_and_b32_e32 v2, s39, v2
	v_lshlrev_b32_e32 v2, 2, v2
	ds_load_b32 v2, v2
	s_waitcnt lgkmcnt(0)
	v_add_nc_u32_e32 v2, v2, v52
	s_delay_alu instid0(VALU_DEP_1) | instskip(SKIP_1) | instid1(VALU_DEP_2)
	v_lshlrev_b64 v[36:37], 2, v[2:3]
	v_xor_b32_e32 v2, 0x7fffffff, v148
	v_add_co_u32 v36, s22, s46, v36
	s_delay_alu instid0(VALU_DEP_1) | instskip(SKIP_3) | instid1(VALU_DEP_1)
	v_add_co_ci_u32_e64 v37, s22, s47, v37, s22
	global_store_b32 v[36:37], v2, off
	s_or_b32 exec_lo, exec_lo, s23
	v_cmp_lt_u32_e64 s22, v53, v147
	s_and_saveexec_b32 s24, s22
	s_cbranch_execnz .LBB534_781
.LBB534_796:                            ;   in Loop: Header=BB534_696 Depth=2
	s_or_b32 exec_lo, exec_lo, s24
	v_cmp_lt_u32_e64 s23, v54, v147
	s_delay_alu instid0(VALU_DEP_1)
	s_and_saveexec_b32 s25, s23
	s_cbranch_execz .LBB534_782
.LBB534_797:                            ;   in Loop: Header=BB534_696 Depth=2
	ds_load_b32 v148, v78 offset:7168
	s_waitcnt lgkmcnt(0)
	v_lshrrev_b32_e32 v2, s57, v148
	s_delay_alu instid0(VALU_DEP_1) | instskip(NEXT) | instid1(VALU_DEP_1)
	v_and_b32_e32 v2, s39, v2
	v_lshlrev_b32_e32 v2, 2, v2
	ds_load_b32 v2, v2
	s_waitcnt lgkmcnt(0)
	v_add_nc_u32_e32 v2, v2, v54
	s_delay_alu instid0(VALU_DEP_1) | instskip(SKIP_1) | instid1(VALU_DEP_2)
	v_lshlrev_b64 v[36:37], 2, v[2:3]
	v_xor_b32_e32 v2, 0x7fffffff, v148
	v_add_co_u32 v36, s24, s46, v36
	s_delay_alu instid0(VALU_DEP_1) | instskip(SKIP_3) | instid1(VALU_DEP_1)
	v_add_co_ci_u32_e64 v37, s24, s47, v37, s24
	global_store_b32 v[36:37], v2, off
	s_or_b32 exec_lo, exec_lo, s25
	v_cmp_lt_u32_e64 s24, v55, v147
	s_and_saveexec_b32 s26, s24
	s_cbranch_execnz .LBB534_783
.LBB534_798:                            ;   in Loop: Header=BB534_696 Depth=2
	s_or_b32 exec_lo, exec_lo, s26
	v_cmp_lt_u32_e64 s25, v56, v147
	s_delay_alu instid0(VALU_DEP_1)
	s_and_saveexec_b32 s27, s25
	s_cbranch_execz .LBB534_784
.LBB534_799:                            ;   in Loop: Header=BB534_696 Depth=2
	ds_load_b32 v148, v78 offset:9216
	s_waitcnt lgkmcnt(0)
	v_lshrrev_b32_e32 v2, s57, v148
	s_delay_alu instid0(VALU_DEP_1) | instskip(NEXT) | instid1(VALU_DEP_1)
	v_and_b32_e32 v2, s39, v2
	v_lshlrev_b32_e32 v2, 2, v2
	ds_load_b32 v2, v2
	s_waitcnt lgkmcnt(0)
	v_add_nc_u32_e32 v2, v2, v56
	s_delay_alu instid0(VALU_DEP_1) | instskip(SKIP_1) | instid1(VALU_DEP_2)
	v_lshlrev_b64 v[36:37], 2, v[2:3]
	v_xor_b32_e32 v2, 0x7fffffff, v148
	v_add_co_u32 v36, s26, s46, v36
	s_delay_alu instid0(VALU_DEP_1) | instskip(SKIP_3) | instid1(VALU_DEP_1)
	v_add_co_ci_u32_e64 v37, s26, s47, v37, s26
	global_store_b32 v[36:37], v2, off
	s_or_b32 exec_lo, exec_lo, s27
	v_cmp_lt_u32_e64 s26, v57, v147
	s_and_saveexec_b32 s28, s26
	s_cbranch_execnz .LBB534_785
.LBB534_800:                            ;   in Loop: Header=BB534_696 Depth=2
	s_or_b32 exec_lo, exec_lo, s28
	v_cmp_lt_u32_e64 s27, v58, v147
	s_delay_alu instid0(VALU_DEP_1)
	s_and_saveexec_b32 s29, s27
	s_cbranch_execz .LBB534_786
.LBB534_801:                            ;   in Loop: Header=BB534_696 Depth=2
	ds_load_b32 v148, v78 offset:11264
	s_waitcnt lgkmcnt(0)
	v_lshrrev_b32_e32 v2, s57, v148
	s_delay_alu instid0(VALU_DEP_1) | instskip(NEXT) | instid1(VALU_DEP_1)
	v_and_b32_e32 v2, s39, v2
	v_lshlrev_b32_e32 v2, 2, v2
	ds_load_b32 v2, v2
	s_waitcnt lgkmcnt(0)
	v_add_nc_u32_e32 v2, v2, v58
	s_delay_alu instid0(VALU_DEP_1) | instskip(SKIP_1) | instid1(VALU_DEP_2)
	v_lshlrev_b64 v[36:37], 2, v[2:3]
	v_xor_b32_e32 v2, 0x7fffffff, v148
	v_add_co_u32 v36, s28, s46, v36
	s_delay_alu instid0(VALU_DEP_1) | instskip(SKIP_3) | instid1(VALU_DEP_1)
	v_add_co_ci_u32_e64 v37, s28, s47, v37, s28
	global_store_b32 v[36:37], v2, off
	s_or_b32 exec_lo, exec_lo, s29
	v_cmp_lt_u32_e64 s28, v59, v147
	s_and_saveexec_b32 s30, s28
	s_cbranch_execnz .LBB534_787
.LBB534_802:                            ;   in Loop: Header=BB534_696 Depth=2
	s_or_b32 exec_lo, exec_lo, s30
	v_cmp_lt_u32_e64 s29, v60, v147
	s_delay_alu instid0(VALU_DEP_1)
	s_and_saveexec_b32 s31, s29
	s_cbranch_execz .LBB534_788
.LBB534_803:                            ;   in Loop: Header=BB534_696 Depth=2
	ds_load_b32 v148, v78 offset:13312
	s_waitcnt lgkmcnt(0)
	v_lshrrev_b32_e32 v2, s57, v148
	s_delay_alu instid0(VALU_DEP_1) | instskip(NEXT) | instid1(VALU_DEP_1)
	v_and_b32_e32 v2, s39, v2
	v_lshlrev_b32_e32 v2, 2, v2
	ds_load_b32 v2, v2
	s_waitcnt lgkmcnt(0)
	v_add_nc_u32_e32 v2, v2, v60
	s_delay_alu instid0(VALU_DEP_1) | instskip(SKIP_1) | instid1(VALU_DEP_2)
	v_lshlrev_b64 v[36:37], 2, v[2:3]
	v_xor_b32_e32 v2, 0x7fffffff, v148
	v_add_co_u32 v36, s30, s46, v36
	s_delay_alu instid0(VALU_DEP_1) | instskip(SKIP_3) | instid1(VALU_DEP_1)
	v_add_co_ci_u32_e64 v37, s30, s47, v37, s30
	global_store_b32 v[36:37], v2, off
	s_or_b32 exec_lo, exec_lo, s31
	v_cmp_lt_u32_e64 s30, v61, v147
	s_and_saveexec_b32 s33, s30
	s_cbranch_execnz .LBB534_789
.LBB534_804:                            ;   in Loop: Header=BB534_696 Depth=2
	s_or_b32 exec_lo, exec_lo, s33
	v_cmp_lt_u32_e64 s31, v63, v147
	s_delay_alu instid0(VALU_DEP_1)
	s_and_saveexec_b32 s42, s31
	s_cbranch_execz .LBB534_806
.LBB534_805:                            ;   in Loop: Header=BB534_696 Depth=2
	ds_load_b32 v148, v78 offset:15360
	s_waitcnt lgkmcnt(0)
	v_lshrrev_b32_e32 v2, s57, v148
	s_delay_alu instid0(VALU_DEP_1) | instskip(NEXT) | instid1(VALU_DEP_1)
	v_and_b32_e32 v2, s39, v2
	v_lshlrev_b32_e32 v2, 2, v2
	ds_load_b32 v2, v2
	s_waitcnt lgkmcnt(0)
	v_add_nc_u32_e32 v2, v2, v63
	s_delay_alu instid0(VALU_DEP_1) | instskip(SKIP_1) | instid1(VALU_DEP_2)
	v_lshlrev_b64 v[36:37], 2, v[2:3]
	v_xor_b32_e32 v2, 0x7fffffff, v148
	v_add_co_u32 v36, s33, s46, v36
	s_delay_alu instid0(VALU_DEP_1)
	v_add_co_ci_u32_e64 v37, s33, s47, v37, s33
	global_store_b32 v[36:37], v2, off
.LBB534_806:                            ;   in Loop: Header=BB534_696 Depth=2
	s_or_b32 exec_lo, exec_lo, s42
	s_lshl_b64 s[42:43], s[34:35], 3
	s_delay_alu instid0(SALU_CYCLE_1) | instskip(NEXT) | instid1(VALU_DEP_1)
	v_add_co_u32 v36, s33, v109, s42
	v_add_co_ci_u32_e64 v37, s33, s43, v110, s33
	v_cmp_lt_u32_e64 s33, v108, v147
	s_delay_alu instid0(VALU_DEP_1) | instskip(NEXT) | instid1(SALU_CYCLE_1)
	s_and_saveexec_b32 s34, s33
	s_xor_b32 s33, exec_lo, s34
	s_cbranch_execz .LBB534_838
; %bb.807:                              ;   in Loop: Header=BB534_696 Depth=2
	global_load_b64 v[34:35], v[36:37], off
	s_or_b32 exec_lo, exec_lo, s33
	s_delay_alu instid0(SALU_CYCLE_1)
	s_mov_b32 s34, exec_lo
	v_cmpx_lt_u32_e64 v111, v147
	s_cbranch_execnz .LBB534_839
.LBB534_808:                            ;   in Loop: Header=BB534_696 Depth=2
	s_or_b32 exec_lo, exec_lo, s34
	s_delay_alu instid0(SALU_CYCLE_1)
	s_mov_b32 s34, exec_lo
	v_cmpx_lt_u32_e64 v112, v147
	s_cbranch_execz .LBB534_840
.LBB534_809:                            ;   in Loop: Header=BB534_696 Depth=2
	global_load_b64 v[30:31], v[36:37], off offset:512
	s_or_b32 exec_lo, exec_lo, s34
	s_delay_alu instid0(SALU_CYCLE_1)
	s_mov_b32 s34, exec_lo
	v_cmpx_lt_u32_e64 v113, v147
	s_cbranch_execnz .LBB534_841
.LBB534_810:                            ;   in Loop: Header=BB534_696 Depth=2
	s_or_b32 exec_lo, exec_lo, s34
	s_delay_alu instid0(SALU_CYCLE_1)
	s_mov_b32 s34, exec_lo
	v_cmpx_lt_u32_e64 v114, v147
	s_cbranch_execz .LBB534_842
.LBB534_811:                            ;   in Loop: Header=BB534_696 Depth=2
	global_load_b64 v[26:27], v[36:37], off offset:1024
	s_or_b32 exec_lo, exec_lo, s34
	s_delay_alu instid0(SALU_CYCLE_1)
	s_mov_b32 s34, exec_lo
	v_cmpx_lt_u32_e64 v115, v147
	s_cbranch_execnz .LBB534_843
.LBB534_812:                            ;   in Loop: Header=BB534_696 Depth=2
	s_or_b32 exec_lo, exec_lo, s34
	s_delay_alu instid0(SALU_CYCLE_1)
	s_mov_b32 s34, exec_lo
	v_cmpx_lt_u32_e64 v116, v147
	s_cbranch_execz .LBB534_844
.LBB534_813:                            ;   in Loop: Header=BB534_696 Depth=2
	global_load_b64 v[22:23], v[36:37], off offset:1536
	s_or_b32 exec_lo, exec_lo, s34
	s_delay_alu instid0(SALU_CYCLE_1)
	s_mov_b32 s34, exec_lo
	v_cmpx_lt_u32_e64 v117, v147
	s_cbranch_execnz .LBB534_845
.LBB534_814:                            ;   in Loop: Header=BB534_696 Depth=2
	s_or_b32 exec_lo, exec_lo, s34
	s_delay_alu instid0(SALU_CYCLE_1)
	s_mov_b32 s34, exec_lo
	v_cmpx_lt_u32_e64 v118, v147
	s_cbranch_execz .LBB534_846
.LBB534_815:                            ;   in Loop: Header=BB534_696 Depth=2
	global_load_b64 v[18:19], v[36:37], off offset:2048
	s_or_b32 exec_lo, exec_lo, s34
	s_delay_alu instid0(SALU_CYCLE_1)
	s_mov_b32 s34, exec_lo
	v_cmpx_lt_u32_e64 v119, v147
	s_cbranch_execnz .LBB534_847
.LBB534_816:                            ;   in Loop: Header=BB534_696 Depth=2
	s_or_b32 exec_lo, exec_lo, s34
	s_delay_alu instid0(SALU_CYCLE_1)
	s_mov_b32 s34, exec_lo
	v_cmpx_lt_u32_e64 v120, v147
	s_cbranch_execz .LBB534_848
.LBB534_817:                            ;   in Loop: Header=BB534_696 Depth=2
	global_load_b64 v[14:15], v[36:37], off offset:2560
	s_or_b32 exec_lo, exec_lo, s34
	s_delay_alu instid0(SALU_CYCLE_1)
	s_mov_b32 s34, exec_lo
	v_cmpx_lt_u32_e64 v121, v147
	s_cbranch_execnz .LBB534_849
.LBB534_818:                            ;   in Loop: Header=BB534_696 Depth=2
	s_or_b32 exec_lo, exec_lo, s34
	s_delay_alu instid0(SALU_CYCLE_1)
	s_mov_b32 s34, exec_lo
	v_cmpx_lt_u32_e64 v122, v147
	s_cbranch_execz .LBB534_850
.LBB534_819:                            ;   in Loop: Header=BB534_696 Depth=2
	global_load_b64 v[10:11], v[36:37], off offset:3072
	s_or_b32 exec_lo, exec_lo, s34
	s_delay_alu instid0(SALU_CYCLE_1)
	s_mov_b32 s34, exec_lo
	v_cmpx_lt_u32_e64 v123, v147
	s_cbranch_execnz .LBB534_851
.LBB534_820:                            ;   in Loop: Header=BB534_696 Depth=2
	s_or_b32 exec_lo, exec_lo, s34
	s_delay_alu instid0(SALU_CYCLE_1)
	s_mov_b32 s34, exec_lo
	v_cmpx_lt_u32_e64 v124, v147
	s_cbranch_execz .LBB534_852
.LBB534_821:                            ;   in Loop: Header=BB534_696 Depth=2
	global_load_b64 v[6:7], v[36:37], off offset:3584
	s_or_b32 exec_lo, exec_lo, s34
	s_delay_alu instid0(SALU_CYCLE_1)
	s_mov_b32 s34, exec_lo
	v_cmpx_lt_u32_e64 v125, v147
	s_cbranch_execnz .LBB534_853
.LBB534_822:                            ;   in Loop: Header=BB534_696 Depth=2
	s_or_b32 exec_lo, exec_lo, s34
	s_and_saveexec_b32 s33, vcc_lo
	s_cbranch_execz .LBB534_854
.LBB534_823:                            ;   in Loop: Header=BB534_696 Depth=2
	v_add_nc_u32_e32 v2, v70, v72
	ds_load_b32 v2, v2 offset:1024
	s_waitcnt lgkmcnt(0)
	v_lshrrev_b32_e32 v2, s57, v2
	s_delay_alu instid0(VALU_DEP_1)
	v_and_b32_e32 v146, s39, v2
	s_or_b32 exec_lo, exec_lo, s33
	s_and_saveexec_b32 s33, s17
	s_cbranch_execnz .LBB534_855
.LBB534_824:                            ;   in Loop: Header=BB534_696 Depth=2
	s_or_b32 exec_lo, exec_lo, s33
	s_and_saveexec_b32 s33, s18
	s_cbranch_execz .LBB534_856
.LBB534_825:                            ;   in Loop: Header=BB534_696 Depth=2
	ds_load_b32 v2, v78 offset:2048
	s_waitcnt lgkmcnt(0)
	v_lshrrev_b32_e32 v2, s57, v2
	s_delay_alu instid0(VALU_DEP_1)
	v_and_b32_e32 v144, s39, v2
	s_or_b32 exec_lo, exec_lo, s33
	s_and_saveexec_b32 s33, s19
	s_cbranch_execnz .LBB534_857
.LBB534_826:                            ;   in Loop: Header=BB534_696 Depth=2
	s_or_b32 exec_lo, exec_lo, s33
	s_and_saveexec_b32 s33, s20
	s_cbranch_execz .LBB534_858
.LBB534_827:                            ;   in Loop: Header=BB534_696 Depth=2
	ds_load_b32 v2, v78 offset:4096
	s_waitcnt lgkmcnt(0)
	v_lshrrev_b32_e32 v2, s57, v2
	s_delay_alu instid0(VALU_DEP_1)
	v_and_b32_e32 v142, s39, v2
	s_or_b32 exec_lo, exec_lo, s33
	s_and_saveexec_b32 s33, s21
	s_cbranch_execnz .LBB534_859
.LBB534_828:                            ;   in Loop: Header=BB534_696 Depth=2
	s_or_b32 exec_lo, exec_lo, s33
	s_and_saveexec_b32 s33, s22
	s_cbranch_execz .LBB534_860
.LBB534_829:                            ;   in Loop: Header=BB534_696 Depth=2
	ds_load_b32 v2, v78 offset:6144
	s_waitcnt lgkmcnt(0)
	v_lshrrev_b32_e32 v2, s57, v2
	s_delay_alu instid0(VALU_DEP_1)
	v_and_b32_e32 v140, s39, v2
	s_or_b32 exec_lo, exec_lo, s33
	s_and_saveexec_b32 s33, s23
	s_cbranch_execnz .LBB534_861
.LBB534_830:                            ;   in Loop: Header=BB534_696 Depth=2
	s_or_b32 exec_lo, exec_lo, s33
	s_and_saveexec_b32 s33, s24
	s_cbranch_execz .LBB534_862
.LBB534_831:                            ;   in Loop: Header=BB534_696 Depth=2
	ds_load_b32 v2, v78 offset:8192
	s_waitcnt lgkmcnt(0)
	v_lshrrev_b32_e32 v2, s57, v2
	s_delay_alu instid0(VALU_DEP_1)
	v_and_b32_e32 v138, s39, v2
	s_or_b32 exec_lo, exec_lo, s33
	s_and_saveexec_b32 s33, s25
	s_cbranch_execnz .LBB534_863
.LBB534_832:                            ;   in Loop: Header=BB534_696 Depth=2
	s_or_b32 exec_lo, exec_lo, s33
	s_and_saveexec_b32 s33, s26
	s_cbranch_execz .LBB534_864
.LBB534_833:                            ;   in Loop: Header=BB534_696 Depth=2
	ds_load_b32 v2, v78 offset:10240
	s_waitcnt lgkmcnt(0)
	v_lshrrev_b32_e32 v2, s57, v2
	s_delay_alu instid0(VALU_DEP_1)
	v_and_b32_e32 v136, s39, v2
	s_or_b32 exec_lo, exec_lo, s33
	s_and_saveexec_b32 s33, s27
	s_cbranch_execnz .LBB534_865
.LBB534_834:                            ;   in Loop: Header=BB534_696 Depth=2
	s_or_b32 exec_lo, exec_lo, s33
	s_and_saveexec_b32 s33, s28
	s_cbranch_execz .LBB534_866
.LBB534_835:                            ;   in Loop: Header=BB534_696 Depth=2
	ds_load_b32 v2, v78 offset:12288
	s_waitcnt lgkmcnt(0)
	v_lshrrev_b32_e32 v2, s57, v2
	s_delay_alu instid0(VALU_DEP_1)
	v_and_b32_e32 v134, s39, v2
	s_or_b32 exec_lo, exec_lo, s33
	s_and_saveexec_b32 s33, s29
	s_cbranch_execnz .LBB534_867
.LBB534_836:                            ;   in Loop: Header=BB534_696 Depth=2
	s_or_b32 exec_lo, exec_lo, s33
	s_and_saveexec_b32 s33, s30
	s_cbranch_execz .LBB534_868
.LBB534_837:                            ;   in Loop: Header=BB534_696 Depth=2
	ds_load_b32 v2, v78 offset:14336
	s_waitcnt lgkmcnt(0)
	v_lshrrev_b32_e32 v2, s57, v2
	s_delay_alu instid0(VALU_DEP_1)
	v_and_b32_e32 v132, s39, v2
	s_or_b32 exec_lo, exec_lo, s33
	s_and_saveexec_b32 s33, s31
	s_cbranch_execnz .LBB534_869
	s_branch .LBB534_870
.LBB534_838:                            ;   in Loop: Header=BB534_696 Depth=2
	s_or_b32 exec_lo, exec_lo, s33
	s_delay_alu instid0(SALU_CYCLE_1)
	s_mov_b32 s34, exec_lo
	v_cmpx_lt_u32_e64 v111, v147
	s_cbranch_execz .LBB534_808
.LBB534_839:                            ;   in Loop: Header=BB534_696 Depth=2
	global_load_b64 v[32:33], v[36:37], off offset:256
	s_or_b32 exec_lo, exec_lo, s34
	s_delay_alu instid0(SALU_CYCLE_1)
	s_mov_b32 s34, exec_lo
	v_cmpx_lt_u32_e64 v112, v147
	s_cbranch_execnz .LBB534_809
.LBB534_840:                            ;   in Loop: Header=BB534_696 Depth=2
	s_or_b32 exec_lo, exec_lo, s34
	s_delay_alu instid0(SALU_CYCLE_1)
	s_mov_b32 s34, exec_lo
	v_cmpx_lt_u32_e64 v113, v147
	s_cbranch_execz .LBB534_810
.LBB534_841:                            ;   in Loop: Header=BB534_696 Depth=2
	global_load_b64 v[28:29], v[36:37], off offset:768
	s_or_b32 exec_lo, exec_lo, s34
	s_delay_alu instid0(SALU_CYCLE_1)
	s_mov_b32 s34, exec_lo
	v_cmpx_lt_u32_e64 v114, v147
	s_cbranch_execnz .LBB534_811
.LBB534_842:                            ;   in Loop: Header=BB534_696 Depth=2
	s_or_b32 exec_lo, exec_lo, s34
	s_delay_alu instid0(SALU_CYCLE_1)
	s_mov_b32 s34, exec_lo
	v_cmpx_lt_u32_e64 v115, v147
	s_cbranch_execz .LBB534_812
.LBB534_843:                            ;   in Loop: Header=BB534_696 Depth=2
	global_load_b64 v[24:25], v[36:37], off offset:1280
	s_or_b32 exec_lo, exec_lo, s34
	s_delay_alu instid0(SALU_CYCLE_1)
	s_mov_b32 s34, exec_lo
	v_cmpx_lt_u32_e64 v116, v147
	s_cbranch_execnz .LBB534_813
.LBB534_844:                            ;   in Loop: Header=BB534_696 Depth=2
	s_or_b32 exec_lo, exec_lo, s34
	s_delay_alu instid0(SALU_CYCLE_1)
	s_mov_b32 s34, exec_lo
	v_cmpx_lt_u32_e64 v117, v147
	s_cbranch_execz .LBB534_814
.LBB534_845:                            ;   in Loop: Header=BB534_696 Depth=2
	global_load_b64 v[20:21], v[36:37], off offset:1792
	s_or_b32 exec_lo, exec_lo, s34
	s_delay_alu instid0(SALU_CYCLE_1)
	s_mov_b32 s34, exec_lo
	v_cmpx_lt_u32_e64 v118, v147
	s_cbranch_execnz .LBB534_815
.LBB534_846:                            ;   in Loop: Header=BB534_696 Depth=2
	s_or_b32 exec_lo, exec_lo, s34
	s_delay_alu instid0(SALU_CYCLE_1)
	s_mov_b32 s34, exec_lo
	v_cmpx_lt_u32_e64 v119, v147
	s_cbranch_execz .LBB534_816
.LBB534_847:                            ;   in Loop: Header=BB534_696 Depth=2
	global_load_b64 v[16:17], v[36:37], off offset:2304
	s_or_b32 exec_lo, exec_lo, s34
	s_delay_alu instid0(SALU_CYCLE_1)
	s_mov_b32 s34, exec_lo
	v_cmpx_lt_u32_e64 v120, v147
	s_cbranch_execnz .LBB534_817
.LBB534_848:                            ;   in Loop: Header=BB534_696 Depth=2
	s_or_b32 exec_lo, exec_lo, s34
	s_delay_alu instid0(SALU_CYCLE_1)
	s_mov_b32 s34, exec_lo
	v_cmpx_lt_u32_e64 v121, v147
	s_cbranch_execz .LBB534_818
.LBB534_849:                            ;   in Loop: Header=BB534_696 Depth=2
	global_load_b64 v[12:13], v[36:37], off offset:2816
	s_or_b32 exec_lo, exec_lo, s34
	s_delay_alu instid0(SALU_CYCLE_1)
	s_mov_b32 s34, exec_lo
	v_cmpx_lt_u32_e64 v122, v147
	s_cbranch_execnz .LBB534_819
.LBB534_850:                            ;   in Loop: Header=BB534_696 Depth=2
	s_or_b32 exec_lo, exec_lo, s34
	s_delay_alu instid0(SALU_CYCLE_1)
	s_mov_b32 s34, exec_lo
	v_cmpx_lt_u32_e64 v123, v147
	s_cbranch_execz .LBB534_820
.LBB534_851:                            ;   in Loop: Header=BB534_696 Depth=2
	global_load_b64 v[8:9], v[36:37], off offset:3328
	s_or_b32 exec_lo, exec_lo, s34
	s_delay_alu instid0(SALU_CYCLE_1)
	s_mov_b32 s34, exec_lo
	v_cmpx_lt_u32_e64 v124, v147
	s_cbranch_execnz .LBB534_821
.LBB534_852:                            ;   in Loop: Header=BB534_696 Depth=2
	s_or_b32 exec_lo, exec_lo, s34
	s_delay_alu instid0(SALU_CYCLE_1)
	s_mov_b32 s34, exec_lo
	v_cmpx_lt_u32_e64 v125, v147
	s_cbranch_execz .LBB534_822
.LBB534_853:                            ;   in Loop: Header=BB534_696 Depth=2
	global_load_b64 v[4:5], v[36:37], off offset:3840
	s_or_b32 exec_lo, exec_lo, s34
	s_and_saveexec_b32 s33, vcc_lo
	s_cbranch_execnz .LBB534_823
.LBB534_854:                            ;   in Loop: Header=BB534_696 Depth=2
	s_or_b32 exec_lo, exec_lo, s33
	s_and_saveexec_b32 s33, s17
	s_cbranch_execz .LBB534_824
.LBB534_855:                            ;   in Loop: Header=BB534_696 Depth=2
	ds_load_b32 v2, v78 offset:1024
	s_waitcnt lgkmcnt(0)
	v_lshrrev_b32_e32 v2, s57, v2
	s_delay_alu instid0(VALU_DEP_1)
	v_and_b32_e32 v145, s39, v2
	s_or_b32 exec_lo, exec_lo, s33
	s_and_saveexec_b32 s33, s18
	s_cbranch_execnz .LBB534_825
.LBB534_856:                            ;   in Loop: Header=BB534_696 Depth=2
	s_or_b32 exec_lo, exec_lo, s33
	s_and_saveexec_b32 s33, s19
	s_cbranch_execz .LBB534_826
.LBB534_857:                            ;   in Loop: Header=BB534_696 Depth=2
	ds_load_b32 v2, v78 offset:3072
	s_waitcnt lgkmcnt(0)
	v_lshrrev_b32_e32 v2, s57, v2
	s_delay_alu instid0(VALU_DEP_1)
	v_and_b32_e32 v143, s39, v2
	s_or_b32 exec_lo, exec_lo, s33
	s_and_saveexec_b32 s33, s20
	s_cbranch_execnz .LBB534_827
.LBB534_858:                            ;   in Loop: Header=BB534_696 Depth=2
	s_or_b32 exec_lo, exec_lo, s33
	s_and_saveexec_b32 s33, s21
	s_cbranch_execz .LBB534_828
.LBB534_859:                            ;   in Loop: Header=BB534_696 Depth=2
	ds_load_b32 v2, v78 offset:5120
	s_waitcnt lgkmcnt(0)
	v_lshrrev_b32_e32 v2, s57, v2
	s_delay_alu instid0(VALU_DEP_1)
	v_and_b32_e32 v141, s39, v2
	s_or_b32 exec_lo, exec_lo, s33
	s_and_saveexec_b32 s33, s22
	s_cbranch_execnz .LBB534_829
.LBB534_860:                            ;   in Loop: Header=BB534_696 Depth=2
	s_or_b32 exec_lo, exec_lo, s33
	s_and_saveexec_b32 s33, s23
	s_cbranch_execz .LBB534_830
.LBB534_861:                            ;   in Loop: Header=BB534_696 Depth=2
	ds_load_b32 v2, v78 offset:7168
	s_waitcnt lgkmcnt(0)
	v_lshrrev_b32_e32 v2, s57, v2
	s_delay_alu instid0(VALU_DEP_1)
	v_and_b32_e32 v139, s39, v2
	s_or_b32 exec_lo, exec_lo, s33
	s_and_saveexec_b32 s33, s24
	s_cbranch_execnz .LBB534_831
.LBB534_862:                            ;   in Loop: Header=BB534_696 Depth=2
	s_or_b32 exec_lo, exec_lo, s33
	s_and_saveexec_b32 s33, s25
	s_cbranch_execz .LBB534_832
.LBB534_863:                            ;   in Loop: Header=BB534_696 Depth=2
	ds_load_b32 v2, v78 offset:9216
	s_waitcnt lgkmcnt(0)
	v_lshrrev_b32_e32 v2, s57, v2
	s_delay_alu instid0(VALU_DEP_1)
	v_and_b32_e32 v137, s39, v2
	s_or_b32 exec_lo, exec_lo, s33
	s_and_saveexec_b32 s33, s26
	s_cbranch_execnz .LBB534_833
.LBB534_864:                            ;   in Loop: Header=BB534_696 Depth=2
	s_or_b32 exec_lo, exec_lo, s33
	s_and_saveexec_b32 s33, s27
	s_cbranch_execz .LBB534_834
.LBB534_865:                            ;   in Loop: Header=BB534_696 Depth=2
	ds_load_b32 v2, v78 offset:11264
	s_waitcnt lgkmcnt(0)
	v_lshrrev_b32_e32 v2, s57, v2
	s_delay_alu instid0(VALU_DEP_1)
	v_and_b32_e32 v135, s39, v2
	s_or_b32 exec_lo, exec_lo, s33
	s_and_saveexec_b32 s33, s28
	s_cbranch_execnz .LBB534_835
.LBB534_866:                            ;   in Loop: Header=BB534_696 Depth=2
	s_or_b32 exec_lo, exec_lo, s33
	s_and_saveexec_b32 s33, s29
	s_cbranch_execz .LBB534_836
.LBB534_867:                            ;   in Loop: Header=BB534_696 Depth=2
	ds_load_b32 v2, v78 offset:13312
	s_waitcnt lgkmcnt(0)
	v_lshrrev_b32_e32 v2, s57, v2
	s_delay_alu instid0(VALU_DEP_1)
	v_and_b32_e32 v133, s39, v2
	s_or_b32 exec_lo, exec_lo, s33
	s_and_saveexec_b32 s33, s30
	s_cbranch_execnz .LBB534_837
.LBB534_868:                            ;   in Loop: Header=BB534_696 Depth=2
	s_or_b32 exec_lo, exec_lo, s33
	s_and_saveexec_b32 s33, s31
	s_cbranch_execz .LBB534_870
.LBB534_869:                            ;   in Loop: Header=BB534_696 Depth=2
	ds_load_b32 v2, v78 offset:15360
	s_waitcnt lgkmcnt(0)
	v_lshrrev_b32_e32 v2, s57, v2
	s_delay_alu instid0(VALU_DEP_1)
	v_and_b32_e32 v131, s39, v2
.LBB534_870:                            ;   in Loop: Header=BB534_696 Depth=2
	s_or_b32 exec_lo, exec_lo, s33
	v_lshlrev_b32_e32 v2, 3, v170
	v_lshlrev_b32_e32 v36, 3, v166
	s_waitcnt vmcnt(0)
	s_waitcnt_vscnt null, 0x0
	s_barrier
	buffer_gl0_inv
	ds_store_b64 v2, v[34:35] offset:1024
	v_lshlrev_b32_e32 v2, 3, v162
	v_lshlrev_b32_e32 v37, 3, v158
	;; [unrolled: 1-line block ×4, first 2 shown]
	ds_store_b64 v36, v[32:33] offset:1024
	ds_store_b64 v2, v[30:31] offset:1024
	;; [unrolled: 1-line block ×5, first 2 shown]
	v_lshlrev_b32_e32 v2, 3, v154
	v_lshlrev_b32_e32 v36, 3, v153
	;; [unrolled: 1-line block ×5, first 2 shown]
	ds_store_b64 v2, v[22:23] offset:1024
	ds_store_b64 v36, v[20:21] offset:1024
	;; [unrolled: 1-line block ×5, first 2 shown]
	v_lshlrev_b32_e32 v2, 3, v40
	v_lshlrev_b32_e32 v36, 3, v39
	;; [unrolled: 1-line block ×5, first 2 shown]
	ds_store_b64 v2, v[12:13] offset:1024
	ds_store_b64 v36, v[10:11] offset:1024
	;; [unrolled: 1-line block ×5, first 2 shown]
	s_waitcnt lgkmcnt(0)
	s_barrier
	buffer_gl0_inv
	s_and_saveexec_b32 s33, vcc_lo
	s_cbranch_execz .LBB534_886
; %bb.871:                              ;   in Loop: Header=BB534_696 Depth=2
	v_lshlrev_b32_e32 v2, 2, v146
	ds_load_b32 v2, v2
	ds_load_b64 v[36:37], v79 offset:1024
	s_waitcnt lgkmcnt(1)
	v_add_nc_u32_e32 v2, v2, v1
	s_delay_alu instid0(VALU_DEP_1) | instskip(NEXT) | instid1(VALU_DEP_1)
	v_lshlrev_b64 v[39:40], 3, v[2:3]
	v_add_co_u32 v39, vcc_lo, s52, v39
	s_delay_alu instid0(VALU_DEP_2)
	v_add_co_ci_u32_e32 v40, vcc_lo, s53, v40, vcc_lo
	s_waitcnt lgkmcnt(0)
	global_store_b64 v[39:40], v[36:37], off
	s_or_b32 exec_lo, exec_lo, s33
	s_and_saveexec_b32 s33, s17
	s_cbranch_execnz .LBB534_887
.LBB534_872:                            ;   in Loop: Header=BB534_696 Depth=2
	s_or_b32 exec_lo, exec_lo, s33
	s_and_saveexec_b32 s17, s18
	s_cbranch_execz .LBB534_888
.LBB534_873:                            ;   in Loop: Header=BB534_696 Depth=2
	v_lshlrev_b32_e32 v2, 2, v144
	v_add_nc_u32_e32 v36, v78, v44
	ds_load_b32 v2, v2
	ds_load_b64 v[36:37], v36 offset:4096
	s_waitcnt lgkmcnt(1)
	v_add_nc_u32_e32 v2, v2, v46
	s_delay_alu instid0(VALU_DEP_1) | instskip(NEXT) | instid1(VALU_DEP_1)
	v_lshlrev_b64 v[39:40], 3, v[2:3]
	v_add_co_u32 v39, vcc_lo, s52, v39
	s_delay_alu instid0(VALU_DEP_2)
	v_add_co_ci_u32_e32 v40, vcc_lo, s53, v40, vcc_lo
	s_waitcnt lgkmcnt(0)
	global_store_b64 v[39:40], v[36:37], off
	s_or_b32 exec_lo, exec_lo, s17
	s_and_saveexec_b32 s17, s19
	s_cbranch_execnz .LBB534_889
.LBB534_874:                            ;   in Loop: Header=BB534_696 Depth=2
	s_or_b32 exec_lo, exec_lo, s17
	s_and_saveexec_b32 s17, s20
	s_cbranch_execz .LBB534_890
.LBB534_875:                            ;   in Loop: Header=BB534_696 Depth=2
	v_lshlrev_b32_e32 v2, 2, v142
	v_add_nc_u32_e32 v36, v78, v44
	ds_load_b32 v2, v2
	ds_load_b64 v[36:37], v36 offset:8192
	s_waitcnt lgkmcnt(1)
	v_add_nc_u32_e32 v2, v2, v51
	s_delay_alu instid0(VALU_DEP_1) | instskip(NEXT) | instid1(VALU_DEP_1)
	v_lshlrev_b64 v[39:40], 3, v[2:3]
	v_add_co_u32 v39, vcc_lo, s52, v39
	s_delay_alu instid0(VALU_DEP_2)
	v_add_co_ci_u32_e32 v40, vcc_lo, s53, v40, vcc_lo
	s_waitcnt lgkmcnt(0)
	global_store_b64 v[39:40], v[36:37], off
	s_or_b32 exec_lo, exec_lo, s17
	s_and_saveexec_b32 s17, s21
	s_cbranch_execnz .LBB534_891
.LBB534_876:                            ;   in Loop: Header=BB534_696 Depth=2
	s_or_b32 exec_lo, exec_lo, s17
	s_and_saveexec_b32 s17, s22
	s_cbranch_execz .LBB534_892
.LBB534_877:                            ;   in Loop: Header=BB534_696 Depth=2
	v_lshlrev_b32_e32 v2, 2, v140
	v_add_nc_u32_e32 v36, v78, v44
	ds_load_b32 v2, v2
	ds_load_b64 v[36:37], v36 offset:12288
	s_waitcnt lgkmcnt(1)
	v_add_nc_u32_e32 v2, v2, v53
	s_delay_alu instid0(VALU_DEP_1) | instskip(NEXT) | instid1(VALU_DEP_1)
	v_lshlrev_b64 v[39:40], 3, v[2:3]
	v_add_co_u32 v39, vcc_lo, s52, v39
	s_delay_alu instid0(VALU_DEP_2)
	v_add_co_ci_u32_e32 v40, vcc_lo, s53, v40, vcc_lo
	s_waitcnt lgkmcnt(0)
	global_store_b64 v[39:40], v[36:37], off
	s_or_b32 exec_lo, exec_lo, s17
	s_and_saveexec_b32 s17, s23
	s_cbranch_execnz .LBB534_893
.LBB534_878:                            ;   in Loop: Header=BB534_696 Depth=2
	s_or_b32 exec_lo, exec_lo, s17
	s_and_saveexec_b32 s17, s24
	s_cbranch_execz .LBB534_894
.LBB534_879:                            ;   in Loop: Header=BB534_696 Depth=2
	v_lshlrev_b32_e32 v2, 2, v138
	v_add_nc_u32_e32 v36, v78, v44
	ds_load_b32 v2, v2
	ds_load_b64 v[36:37], v36 offset:16384
	s_waitcnt lgkmcnt(1)
	v_add_nc_u32_e32 v2, v2, v55
	s_delay_alu instid0(VALU_DEP_1) | instskip(NEXT) | instid1(VALU_DEP_1)
	v_lshlrev_b64 v[39:40], 3, v[2:3]
	v_add_co_u32 v39, vcc_lo, s52, v39
	s_delay_alu instid0(VALU_DEP_2)
	v_add_co_ci_u32_e32 v40, vcc_lo, s53, v40, vcc_lo
	s_waitcnt lgkmcnt(0)
	global_store_b64 v[39:40], v[36:37], off
	s_or_b32 exec_lo, exec_lo, s17
	s_and_saveexec_b32 s17, s25
	s_cbranch_execnz .LBB534_895
.LBB534_880:                            ;   in Loop: Header=BB534_696 Depth=2
	s_or_b32 exec_lo, exec_lo, s17
	s_and_saveexec_b32 s17, s26
	s_cbranch_execz .LBB534_896
.LBB534_881:                            ;   in Loop: Header=BB534_696 Depth=2
	v_lshlrev_b32_e32 v2, 2, v136
	v_add_nc_u32_e32 v36, v78, v44
	ds_load_b32 v2, v2
	ds_load_b64 v[36:37], v36 offset:20480
	s_waitcnt lgkmcnt(1)
	v_add_nc_u32_e32 v2, v2, v57
	s_delay_alu instid0(VALU_DEP_1) | instskip(NEXT) | instid1(VALU_DEP_1)
	v_lshlrev_b64 v[39:40], 3, v[2:3]
	v_add_co_u32 v39, vcc_lo, s52, v39
	s_delay_alu instid0(VALU_DEP_2)
	v_add_co_ci_u32_e32 v40, vcc_lo, s53, v40, vcc_lo
	s_waitcnt lgkmcnt(0)
	global_store_b64 v[39:40], v[36:37], off
	s_or_b32 exec_lo, exec_lo, s17
	s_and_saveexec_b32 s17, s27
	s_cbranch_execnz .LBB534_897
.LBB534_882:                            ;   in Loop: Header=BB534_696 Depth=2
	s_or_b32 exec_lo, exec_lo, s17
	s_and_saveexec_b32 s17, s28
	s_cbranch_execz .LBB534_898
.LBB534_883:                            ;   in Loop: Header=BB534_696 Depth=2
	v_lshlrev_b32_e32 v2, 2, v134
	v_add_nc_u32_e32 v36, v78, v44
	ds_load_b32 v2, v2
	ds_load_b64 v[36:37], v36 offset:24576
	s_waitcnt lgkmcnt(1)
	v_add_nc_u32_e32 v2, v2, v59
	s_delay_alu instid0(VALU_DEP_1) | instskip(NEXT) | instid1(VALU_DEP_1)
	v_lshlrev_b64 v[39:40], 3, v[2:3]
	v_add_co_u32 v39, vcc_lo, s52, v39
	s_delay_alu instid0(VALU_DEP_2)
	v_add_co_ci_u32_e32 v40, vcc_lo, s53, v40, vcc_lo
	s_waitcnt lgkmcnt(0)
	global_store_b64 v[39:40], v[36:37], off
	s_or_b32 exec_lo, exec_lo, s17
	s_and_saveexec_b32 s17, s29
	s_cbranch_execnz .LBB534_899
.LBB534_884:                            ;   in Loop: Header=BB534_696 Depth=2
	s_or_b32 exec_lo, exec_lo, s17
	s_and_saveexec_b32 s17, s30
	s_cbranch_execz .LBB534_900
.LBB534_885:                            ;   in Loop: Header=BB534_696 Depth=2
	v_lshlrev_b32_e32 v2, 2, v132
	v_add_nc_u32_e32 v36, v78, v44
	ds_load_b32 v2, v2
	ds_load_b64 v[36:37], v36 offset:28672
	s_waitcnt lgkmcnt(1)
	v_add_nc_u32_e32 v2, v2, v61
	s_delay_alu instid0(VALU_DEP_1) | instskip(NEXT) | instid1(VALU_DEP_1)
	v_lshlrev_b64 v[39:40], 3, v[2:3]
	v_add_co_u32 v39, vcc_lo, s52, v39
	s_delay_alu instid0(VALU_DEP_2)
	v_add_co_ci_u32_e32 v40, vcc_lo, s53, v40, vcc_lo
	s_waitcnt lgkmcnt(0)
	global_store_b64 v[39:40], v[36:37], off
	s_or_b32 exec_lo, exec_lo, s17
	s_and_saveexec_b32 s17, s31
	s_cbranch_execnz .LBB534_901
	s_branch .LBB534_902
.LBB534_886:                            ;   in Loop: Header=BB534_696 Depth=2
	s_or_b32 exec_lo, exec_lo, s33
	s_and_saveexec_b32 s33, s17
	s_cbranch_execz .LBB534_872
.LBB534_887:                            ;   in Loop: Header=BB534_696 Depth=2
	v_lshlrev_b32_e32 v2, 2, v145
	v_add_nc_u32_e32 v36, v78, v44
	ds_load_b32 v2, v2
	ds_load_b64 v[36:37], v36 offset:2048
	s_waitcnt lgkmcnt(1)
	v_add_nc_u32_e32 v2, v2, v45
	s_delay_alu instid0(VALU_DEP_1) | instskip(NEXT) | instid1(VALU_DEP_1)
	v_lshlrev_b64 v[39:40], 3, v[2:3]
	v_add_co_u32 v39, vcc_lo, s52, v39
	s_delay_alu instid0(VALU_DEP_2)
	v_add_co_ci_u32_e32 v40, vcc_lo, s53, v40, vcc_lo
	s_waitcnt lgkmcnt(0)
	global_store_b64 v[39:40], v[36:37], off
	s_or_b32 exec_lo, exec_lo, s33
	s_and_saveexec_b32 s17, s18
	s_cbranch_execnz .LBB534_873
.LBB534_888:                            ;   in Loop: Header=BB534_696 Depth=2
	s_or_b32 exec_lo, exec_lo, s17
	s_and_saveexec_b32 s17, s19
	s_cbranch_execz .LBB534_874
.LBB534_889:                            ;   in Loop: Header=BB534_696 Depth=2
	v_lshlrev_b32_e32 v2, 2, v143
	v_add_nc_u32_e32 v36, v78, v44
	ds_load_b32 v2, v2
	ds_load_b64 v[36:37], v36 offset:6144
	s_waitcnt lgkmcnt(1)
	v_add_nc_u32_e32 v2, v2, v47
	s_delay_alu instid0(VALU_DEP_1) | instskip(NEXT) | instid1(VALU_DEP_1)
	v_lshlrev_b64 v[39:40], 3, v[2:3]
	v_add_co_u32 v39, vcc_lo, s52, v39
	s_delay_alu instid0(VALU_DEP_2)
	v_add_co_ci_u32_e32 v40, vcc_lo, s53, v40, vcc_lo
	s_waitcnt lgkmcnt(0)
	global_store_b64 v[39:40], v[36:37], off
	s_or_b32 exec_lo, exec_lo, s17
	s_and_saveexec_b32 s17, s20
	s_cbranch_execnz .LBB534_875
.LBB534_890:                            ;   in Loop: Header=BB534_696 Depth=2
	s_or_b32 exec_lo, exec_lo, s17
	s_and_saveexec_b32 s17, s21
	s_cbranch_execz .LBB534_876
.LBB534_891:                            ;   in Loop: Header=BB534_696 Depth=2
	v_lshlrev_b32_e32 v2, 2, v141
	v_add_nc_u32_e32 v36, v78, v44
	ds_load_b32 v2, v2
	ds_load_b64 v[36:37], v36 offset:10240
	s_waitcnt lgkmcnt(1)
	v_add_nc_u32_e32 v2, v2, v52
	s_delay_alu instid0(VALU_DEP_1) | instskip(NEXT) | instid1(VALU_DEP_1)
	v_lshlrev_b64 v[39:40], 3, v[2:3]
	v_add_co_u32 v39, vcc_lo, s52, v39
	s_delay_alu instid0(VALU_DEP_2)
	v_add_co_ci_u32_e32 v40, vcc_lo, s53, v40, vcc_lo
	s_waitcnt lgkmcnt(0)
	global_store_b64 v[39:40], v[36:37], off
	s_or_b32 exec_lo, exec_lo, s17
	s_and_saveexec_b32 s17, s22
	s_cbranch_execnz .LBB534_877
.LBB534_892:                            ;   in Loop: Header=BB534_696 Depth=2
	s_or_b32 exec_lo, exec_lo, s17
	s_and_saveexec_b32 s17, s23
	s_cbranch_execz .LBB534_878
.LBB534_893:                            ;   in Loop: Header=BB534_696 Depth=2
	v_lshlrev_b32_e32 v2, 2, v139
	v_add_nc_u32_e32 v36, v78, v44
	ds_load_b32 v2, v2
	ds_load_b64 v[36:37], v36 offset:14336
	s_waitcnt lgkmcnt(1)
	v_add_nc_u32_e32 v2, v2, v54
	s_delay_alu instid0(VALU_DEP_1) | instskip(NEXT) | instid1(VALU_DEP_1)
	v_lshlrev_b64 v[39:40], 3, v[2:3]
	v_add_co_u32 v39, vcc_lo, s52, v39
	s_delay_alu instid0(VALU_DEP_2)
	v_add_co_ci_u32_e32 v40, vcc_lo, s53, v40, vcc_lo
	s_waitcnt lgkmcnt(0)
	global_store_b64 v[39:40], v[36:37], off
	s_or_b32 exec_lo, exec_lo, s17
	s_and_saveexec_b32 s17, s24
	s_cbranch_execnz .LBB534_879
.LBB534_894:                            ;   in Loop: Header=BB534_696 Depth=2
	s_or_b32 exec_lo, exec_lo, s17
	s_and_saveexec_b32 s17, s25
	s_cbranch_execz .LBB534_880
.LBB534_895:                            ;   in Loop: Header=BB534_696 Depth=2
	v_lshlrev_b32_e32 v2, 2, v137
	v_add_nc_u32_e32 v36, v78, v44
	ds_load_b32 v2, v2
	ds_load_b64 v[36:37], v36 offset:18432
	s_waitcnt lgkmcnt(1)
	v_add_nc_u32_e32 v2, v2, v56
	s_delay_alu instid0(VALU_DEP_1) | instskip(NEXT) | instid1(VALU_DEP_1)
	v_lshlrev_b64 v[39:40], 3, v[2:3]
	v_add_co_u32 v39, vcc_lo, s52, v39
	s_delay_alu instid0(VALU_DEP_2)
	v_add_co_ci_u32_e32 v40, vcc_lo, s53, v40, vcc_lo
	s_waitcnt lgkmcnt(0)
	global_store_b64 v[39:40], v[36:37], off
	s_or_b32 exec_lo, exec_lo, s17
	s_and_saveexec_b32 s17, s26
	s_cbranch_execnz .LBB534_881
.LBB534_896:                            ;   in Loop: Header=BB534_696 Depth=2
	s_or_b32 exec_lo, exec_lo, s17
	s_and_saveexec_b32 s17, s27
	s_cbranch_execz .LBB534_882
.LBB534_897:                            ;   in Loop: Header=BB534_696 Depth=2
	v_lshlrev_b32_e32 v2, 2, v135
	v_add_nc_u32_e32 v36, v78, v44
	ds_load_b32 v2, v2
	ds_load_b64 v[36:37], v36 offset:22528
	s_waitcnt lgkmcnt(1)
	v_add_nc_u32_e32 v2, v2, v58
	s_delay_alu instid0(VALU_DEP_1) | instskip(NEXT) | instid1(VALU_DEP_1)
	v_lshlrev_b64 v[39:40], 3, v[2:3]
	v_add_co_u32 v39, vcc_lo, s52, v39
	s_delay_alu instid0(VALU_DEP_2)
	v_add_co_ci_u32_e32 v40, vcc_lo, s53, v40, vcc_lo
	s_waitcnt lgkmcnt(0)
	global_store_b64 v[39:40], v[36:37], off
	s_or_b32 exec_lo, exec_lo, s17
	s_and_saveexec_b32 s17, s28
	s_cbranch_execnz .LBB534_883
.LBB534_898:                            ;   in Loop: Header=BB534_696 Depth=2
	s_or_b32 exec_lo, exec_lo, s17
	s_and_saveexec_b32 s17, s29
	s_cbranch_execz .LBB534_884
.LBB534_899:                            ;   in Loop: Header=BB534_696 Depth=2
	v_lshlrev_b32_e32 v2, 2, v133
	v_add_nc_u32_e32 v36, v78, v44
	ds_load_b32 v2, v2
	ds_load_b64 v[36:37], v36 offset:26624
	s_waitcnt lgkmcnt(1)
	v_add_nc_u32_e32 v2, v2, v60
	s_delay_alu instid0(VALU_DEP_1) | instskip(NEXT) | instid1(VALU_DEP_1)
	v_lshlrev_b64 v[39:40], 3, v[2:3]
	v_add_co_u32 v39, vcc_lo, s52, v39
	s_delay_alu instid0(VALU_DEP_2)
	v_add_co_ci_u32_e32 v40, vcc_lo, s53, v40, vcc_lo
	s_waitcnt lgkmcnt(0)
	global_store_b64 v[39:40], v[36:37], off
	s_or_b32 exec_lo, exec_lo, s17
	s_and_saveexec_b32 s17, s30
	s_cbranch_execnz .LBB534_885
.LBB534_900:                            ;   in Loop: Header=BB534_696 Depth=2
	s_or_b32 exec_lo, exec_lo, s17
	s_and_saveexec_b32 s17, s31
	s_cbranch_execz .LBB534_902
.LBB534_901:                            ;   in Loop: Header=BB534_696 Depth=2
	v_lshlrev_b32_e32 v2, 2, v131
	v_add_nc_u32_e32 v36, v78, v44
	ds_load_b32 v2, v2
	ds_load_b64 v[36:37], v36 offset:30720
	s_waitcnt lgkmcnt(1)
	v_add_nc_u32_e32 v2, v2, v63
	s_delay_alu instid0(VALU_DEP_1) | instskip(NEXT) | instid1(VALU_DEP_1)
	v_lshlrev_b64 v[39:40], 3, v[2:3]
	v_add_co_u32 v39, vcc_lo, s52, v39
	s_delay_alu instid0(VALU_DEP_2)
	v_add_co_ci_u32_e32 v40, vcc_lo, s53, v40, vcc_lo
	s_waitcnt lgkmcnt(0)
	global_store_b64 v[39:40], v[36:37], off
.LBB534_902:                            ;   in Loop: Header=BB534_696 Depth=2
	s_or_b32 exec_lo, exec_lo, s17
	s_waitcnt_vscnt null, 0x0
	s_barrier
	buffer_gl0_inv
	s_and_saveexec_b32 s17, s2
	s_cbranch_execz .LBB534_695
; %bb.903:                              ;   in Loop: Header=BB534_696 Depth=2
	ds_load_b32 v2, v44
	s_waitcnt lgkmcnt(0)
	v_add_nc_u32_e32 v2, v2, v38
	ds_store_b32 v44, v2
	s_branch .LBB534_695
.LBB534_904:                            ;   in Loop: Header=BB534_20 Depth=1
	s_waitcnt lgkmcnt(0)
	s_mov_b32 s0, 0
	s_barrier
.LBB534_905:                            ;   in Loop: Header=BB534_20 Depth=1
	s_and_b32 vcc_lo, exec_lo, s0
	s_cbranch_vccz .LBB534_19
; %bb.906:                              ;   in Loop: Header=BB534_20 Depth=1
	s_mov_b32 s8, s62
	s_mov_b32 s34, s60
	s_barrier
	buffer_gl0_inv
                                        ; implicit-def: $vgpr20
                                        ; implicit-def: $vgpr2
                                        ; implicit-def: $vgpr6
                                        ; implicit-def: $vgpr7
                                        ; implicit-def: $vgpr8
                                        ; implicit-def: $vgpr9
                                        ; implicit-def: $vgpr10
                                        ; implicit-def: $vgpr11
                                        ; implicit-def: $vgpr12
                                        ; implicit-def: $vgpr13
                                        ; implicit-def: $vgpr14
                                        ; implicit-def: $vgpr15
                                        ; implicit-def: $vgpr16
                                        ; implicit-def: $vgpr17
                                        ; implicit-def: $vgpr18
                                        ; implicit-def: $vgpr19
	s_branch .LBB534_908
.LBB534_907:                            ;   in Loop: Header=BB534_908 Depth=2
	s_or_b32 exec_lo, exec_lo, s0
	s_addk_i32 s8, 0xf000
	s_cmp_ge_u32 s9, s61
	s_mov_b32 s34, s9
	s_cbranch_scc1 .LBB534_978
.LBB534_908:                            ;   Parent Loop BB534_20 Depth=1
                                        ; =>  This Inner Loop Header: Depth=2
	s_add_i32 s9, s34, 0x1000
	s_delay_alu instid0(SALU_CYCLE_1)
	s_cmp_gt_u32 s9, s61
	s_cbranch_scc1 .LBB534_911
; %bb.909:                              ;   in Loop: Header=BB534_908 Depth=2
	s_mov_b32 s1, 0
	s_mov_b32 s0, s34
	s_delay_alu instid0(SALU_CYCLE_1) | instskip(NEXT) | instid1(SALU_CYCLE_1)
	s_lshl_b64 s[10:11], s[0:1], 2
	v_add_co_u32 v4, vcc_lo, v86, s10
	v_add_co_ci_u32_e32 v5, vcc_lo, s11, v87, vcc_lo
	s_movk_i32 s11, 0x1000
	s_waitcnt vmcnt(1)
	s_delay_alu instid0(VALU_DEP_2) | instskip(NEXT) | instid1(VALU_DEP_2)
	v_add_co_u32 v29, vcc_lo, 0x1000, v4
	v_add_co_ci_u32_e32 v30, vcc_lo, 0, v5, vcc_lo
	s_waitcnt vmcnt(0)
	v_add_co_u32 v36, vcc_lo, v4, 0x2000
	v_add_co_ci_u32_e32 v37, vcc_lo, 0, v5, vcc_lo
	v_add_co_u32 v33, vcc_lo, 0x2000, v4
	v_add_co_ci_u32_e32 v34, vcc_lo, 0, v5, vcc_lo
	v_add_co_u32 v38, vcc_lo, 0x3000, v4
	global_load_b32 v26, v[36:37], off
	v_add_co_ci_u32_e32 v39, vcc_lo, 0, v5, vcc_lo
	s_clause 0xd
	global_load_b32 v22, v[4:5], off
	global_load_b32 v23, v[4:5], off offset:1024
	global_load_b32 v24, v[4:5], off offset:2048
	;; [unrolled: 1-line block ×9, first 2 shown]
	global_load_b32 v34, v[38:39], off
	global_load_b32 v35, v[38:39], off offset:1024
	global_load_b32 v29, v[36:37], off offset:-4096
	global_load_b32 v36, v[38:39], off offset:2048
	v_add_co_u32 v4, vcc_lo, 0x3c00, v4
	v_add_co_ci_u32_e32 v5, vcc_lo, 0, v5, vcc_lo
	s_mov_b32 s10, -1
	s_cbranch_execz .LBB534_912
; %bb.910:                              ;   in Loop: Header=BB534_908 Depth=2
                                        ; implicit-def: $vgpr19
                                        ; implicit-def: $vgpr18
                                        ; implicit-def: $vgpr17
                                        ; implicit-def: $vgpr16
                                        ; implicit-def: $vgpr15
                                        ; implicit-def: $vgpr14
                                        ; implicit-def: $vgpr13
                                        ; implicit-def: $vgpr12
                                        ; implicit-def: $vgpr11
                                        ; implicit-def: $vgpr10
                                        ; implicit-def: $vgpr9
                                        ; implicit-def: $vgpr8
                                        ; implicit-def: $vgpr7
                                        ; implicit-def: $vgpr6
                                        ; implicit-def: $vgpr2
                                        ; implicit-def: $vgpr20
	v_mov_b32_e32 v21, s8
	s_and_saveexec_b32 s0, s10
	s_cbranch_execnz .LBB534_931
	s_branch .LBB534_932
.LBB534_911:                            ;   in Loop: Header=BB534_908 Depth=2
	s_mov_b32 s10, 0
                                        ; implicit-def: $sgpr11
                                        ; implicit-def: $vgpr22
                                        ; implicit-def: $vgpr23
                                        ; implicit-def: $vgpr24
                                        ; implicit-def: $vgpr25
                                        ; implicit-def: $vgpr29
                                        ; implicit-def: $vgpr27
                                        ; implicit-def: $vgpr28
                                        ; implicit-def: $vgpr30
                                        ; implicit-def: $vgpr26
                                        ; implicit-def: $vgpr31
                                        ; implicit-def: $vgpr32
                                        ; implicit-def: $vgpr33
                                        ; implicit-def: $vgpr34
                                        ; implicit-def: $vgpr35
                                        ; implicit-def: $vgpr36
                                        ; implicit-def: $vgpr4_vgpr5
.LBB534_912:                            ;   in Loop: Header=BB534_908 Depth=2
	s_lshl_b64 s[0:1], s[34:35], 2
	s_mov_b32 s11, exec_lo
	s_add_u32 s0, s44, s0
	s_addc_u32 s1, s45, s1
	v_cmpx_gt_u32_e64 s8, v1
	s_cbranch_execz .LBB534_964
; %bb.913:                              ;   in Loop: Header=BB534_908 Depth=2
	global_load_b32 v19, v93, s[0:1]
	s_or_b32 exec_lo, exec_lo, s11
	s_delay_alu instid0(SALU_CYCLE_1)
	s_mov_b32 s11, exec_lo
	v_cmpx_gt_u32_e64 s8, v45
	s_cbranch_execnz .LBB534_965
.LBB534_914:                            ;   in Loop: Header=BB534_908 Depth=2
	s_or_b32 exec_lo, exec_lo, s11
	s_delay_alu instid0(SALU_CYCLE_1)
	s_mov_b32 s11, exec_lo
	v_cmpx_gt_u32_e64 s8, v46
	s_cbranch_execz .LBB534_966
.LBB534_915:                            ;   in Loop: Header=BB534_908 Depth=2
	global_load_b32 v17, v93, s[0:1] offset:2048
	s_or_b32 exec_lo, exec_lo, s11
	s_delay_alu instid0(SALU_CYCLE_1)
	s_mov_b32 s11, exec_lo
	v_cmpx_gt_u32_e64 s8, v47
	s_cbranch_execnz .LBB534_967
.LBB534_916:                            ;   in Loop: Header=BB534_908 Depth=2
	s_or_b32 exec_lo, exec_lo, s11
	s_delay_alu instid0(SALU_CYCLE_1)
	s_mov_b32 s11, exec_lo
	v_cmpx_gt_u32_e64 s8, v51
	s_cbranch_execz .LBB534_968
.LBB534_917:                            ;   in Loop: Header=BB534_908 Depth=2
	global_load_b32 v15, v94, s[0:1]
	s_or_b32 exec_lo, exec_lo, s11
	s_delay_alu instid0(SALU_CYCLE_1)
	s_mov_b32 s11, exec_lo
	v_cmpx_gt_u32_e64 s8, v52
	s_cbranch_execnz .LBB534_969
.LBB534_918:                            ;   in Loop: Header=BB534_908 Depth=2
	s_or_b32 exec_lo, exec_lo, s11
	s_delay_alu instid0(SALU_CYCLE_1)
	s_mov_b32 s11, exec_lo
	v_cmpx_gt_u32_e64 s8, v53
	s_cbranch_execz .LBB534_970
.LBB534_919:                            ;   in Loop: Header=BB534_908 Depth=2
	global_load_b32 v13, v96, s[0:1]
	s_or_b32 exec_lo, exec_lo, s11
	s_delay_alu instid0(SALU_CYCLE_1)
	s_mov_b32 s11, exec_lo
	v_cmpx_gt_u32_e64 s8, v54
	s_cbranch_execnz .LBB534_971
.LBB534_920:                            ;   in Loop: Header=BB534_908 Depth=2
	s_or_b32 exec_lo, exec_lo, s11
	s_delay_alu instid0(SALU_CYCLE_1)
	s_mov_b32 s11, exec_lo
	v_cmpx_gt_u32_e64 s8, v55
	s_cbranch_execz .LBB534_972
.LBB534_921:                            ;   in Loop: Header=BB534_908 Depth=2
	global_load_b32 v11, v98, s[0:1]
	s_or_b32 exec_lo, exec_lo, s11
	s_delay_alu instid0(SALU_CYCLE_1)
	s_mov_b32 s11, exec_lo
	v_cmpx_gt_u32_e64 s8, v56
	s_cbranch_execnz .LBB534_973
.LBB534_922:                            ;   in Loop: Header=BB534_908 Depth=2
	s_or_b32 exec_lo, exec_lo, s11
	s_delay_alu instid0(SALU_CYCLE_1)
	s_mov_b32 s11, exec_lo
	v_cmpx_gt_u32_e64 s8, v57
	s_cbranch_execz .LBB534_974
.LBB534_923:                            ;   in Loop: Header=BB534_908 Depth=2
	global_load_b32 v9, v100, s[0:1]
	s_or_b32 exec_lo, exec_lo, s11
	s_delay_alu instid0(SALU_CYCLE_1)
	s_mov_b32 s11, exec_lo
	v_cmpx_gt_u32_e64 s8, v58
	s_cbranch_execnz .LBB534_975
.LBB534_924:                            ;   in Loop: Header=BB534_908 Depth=2
	s_or_b32 exec_lo, exec_lo, s11
	s_delay_alu instid0(SALU_CYCLE_1)
	s_mov_b32 s11, exec_lo
	v_cmpx_gt_u32_e64 s8, v59
	s_cbranch_execz .LBB534_976
.LBB534_925:                            ;   in Loop: Header=BB534_908 Depth=2
	global_load_b32 v7, v102, s[0:1]
	s_or_b32 exec_lo, exec_lo, s11
	s_delay_alu instid0(SALU_CYCLE_1)
	s_mov_b32 s11, exec_lo
	v_cmpx_gt_u32_e64 s8, v60
	s_cbranch_execnz .LBB534_977
.LBB534_926:                            ;   in Loop: Header=BB534_908 Depth=2
	s_or_b32 exec_lo, exec_lo, s11
	s_delay_alu instid0(SALU_CYCLE_1)
	s_mov_b32 s11, exec_lo
	v_cmpx_gt_u32_e64 s8, v61
	s_cbranch_execz .LBB534_928
.LBB534_927:                            ;   in Loop: Header=BB534_908 Depth=2
	global_load_b32 v2, v104, s[0:1]
.LBB534_928:                            ;   in Loop: Header=BB534_908 Depth=2
	s_or_b32 exec_lo, exec_lo, s11
	s_delay_alu instid0(SALU_CYCLE_1)
	s_mov_b32 s12, exec_lo
                                        ; implicit-def: $sgpr11
                                        ; implicit-def: $vgpr4_vgpr5
	v_cmpx_gt_u32_e64 s8, v63
; %bb.929:                              ;   in Loop: Header=BB534_908 Depth=2
	v_add_co_u32 v4, s0, s0, v105
	s_delay_alu instid0(VALU_DEP_1)
	v_add_co_ci_u32_e64 v5, null, s1, 0, s0
	s_sub_i32 s11, s61, s34
	s_or_b32 s10, s10, exec_lo
                                        ; implicit-def: $vgpr20
; %bb.930:                              ;   in Loop: Header=BB534_908 Depth=2
	s_or_b32 exec_lo, exec_lo, s12
	s_waitcnt vmcnt(0)
	v_dual_mov_b32 v22, v19 :: v_dual_mov_b32 v23, v18
	v_dual_mov_b32 v24, v17 :: v_dual_mov_b32 v25, v16
	;; [unrolled: 1-line block ×8, first 2 shown]
	s_and_saveexec_b32 s0, s10
	s_cbranch_execz .LBB534_932
.LBB534_931:                            ;   in Loop: Header=BB534_908 Depth=2
	global_load_b32 v20, v[4:5], off
	s_waitcnt vmcnt(1)
	v_dual_mov_b32 v21, s11 :: v_dual_mov_b32 v2, v36
	v_dual_mov_b32 v6, v35 :: v_dual_mov_b32 v7, v34
	;; [unrolled: 1-line block ×8, first 2 shown]
.LBB534_932:                            ;   in Loop: Header=BB534_908 Depth=2
	s_or_b32 exec_lo, exec_lo, s0
	v_lshlrev_b32_e32 v4, 2, v48
	s_mov_b32 s0, exec_lo
	v_cmpx_lt_u32_e64 v1, v21
	s_cbranch_execz .LBB534_948
; %bb.933:                              ;   in Loop: Header=BB534_908 Depth=2
	v_xor_b32_e32 v5, 0x7fffffff, v19
	s_delay_alu instid0(VALU_DEP_1) | instskip(NEXT) | instid1(VALU_DEP_1)
	v_lshrrev_b32_e32 v5, s57, v5
	v_and_b32_e32 v5, s39, v5
	s_delay_alu instid0(VALU_DEP_1) | instskip(SKIP_2) | instid1(SALU_CYCLE_1)
	v_lshl_or_b32 v5, v5, 4, v4
	ds_add_u32 v5, v92
	s_or_b32 exec_lo, exec_lo, s0
	s_mov_b32 s0, exec_lo
	v_cmpx_lt_u32_e64 v45, v21
	s_cbranch_execnz .LBB534_949
.LBB534_934:                            ;   in Loop: Header=BB534_908 Depth=2
	s_or_b32 exec_lo, exec_lo, s0
	s_delay_alu instid0(SALU_CYCLE_1)
	s_mov_b32 s0, exec_lo
	v_cmpx_lt_u32_e64 v46, v21
	s_cbranch_execz .LBB534_950
.LBB534_935:                            ;   in Loop: Header=BB534_908 Depth=2
	v_xor_b32_e32 v5, 0x7fffffff, v17
	s_delay_alu instid0(VALU_DEP_1) | instskip(NEXT) | instid1(VALU_DEP_1)
	v_lshrrev_b32_e32 v5, s57, v5
	v_and_b32_e32 v5, s39, v5
	s_delay_alu instid0(VALU_DEP_1) | instskip(SKIP_2) | instid1(SALU_CYCLE_1)
	v_lshl_or_b32 v5, v5, 4, v4
	ds_add_u32 v5, v92
	s_or_b32 exec_lo, exec_lo, s0
	s_mov_b32 s0, exec_lo
	v_cmpx_lt_u32_e64 v47, v21
	s_cbranch_execnz .LBB534_951
.LBB534_936:                            ;   in Loop: Header=BB534_908 Depth=2
	s_or_b32 exec_lo, exec_lo, s0
	s_delay_alu instid0(SALU_CYCLE_1)
	s_mov_b32 s0, exec_lo
	v_cmpx_lt_u32_e64 v51, v21
	s_cbranch_execz .LBB534_952
.LBB534_937:                            ;   in Loop: Header=BB534_908 Depth=2
	v_xor_b32_e32 v5, 0x7fffffff, v15
	s_delay_alu instid0(VALU_DEP_1) | instskip(NEXT) | instid1(VALU_DEP_1)
	v_lshrrev_b32_e32 v5, s57, v5
	v_and_b32_e32 v5, s39, v5
	s_delay_alu instid0(VALU_DEP_1) | instskip(SKIP_2) | instid1(SALU_CYCLE_1)
	v_lshl_or_b32 v5, v5, 4, v4
	ds_add_u32 v5, v92
	s_or_b32 exec_lo, exec_lo, s0
	s_mov_b32 s0, exec_lo
	v_cmpx_lt_u32_e64 v52, v21
	s_cbranch_execnz .LBB534_953
.LBB534_938:                            ;   in Loop: Header=BB534_908 Depth=2
	s_or_b32 exec_lo, exec_lo, s0
	s_delay_alu instid0(SALU_CYCLE_1)
	s_mov_b32 s0, exec_lo
	v_cmpx_lt_u32_e64 v53, v21
	s_cbranch_execz .LBB534_954
.LBB534_939:                            ;   in Loop: Header=BB534_908 Depth=2
	v_xor_b32_e32 v5, 0x7fffffff, v13
	s_delay_alu instid0(VALU_DEP_1) | instskip(NEXT) | instid1(VALU_DEP_1)
	v_lshrrev_b32_e32 v5, s57, v5
	v_and_b32_e32 v5, s39, v5
	s_delay_alu instid0(VALU_DEP_1) | instskip(SKIP_2) | instid1(SALU_CYCLE_1)
	v_lshl_or_b32 v5, v5, 4, v4
	ds_add_u32 v5, v92
	s_or_b32 exec_lo, exec_lo, s0
	s_mov_b32 s0, exec_lo
	v_cmpx_lt_u32_e64 v54, v21
	s_cbranch_execnz .LBB534_955
.LBB534_940:                            ;   in Loop: Header=BB534_908 Depth=2
	s_or_b32 exec_lo, exec_lo, s0
	s_delay_alu instid0(SALU_CYCLE_1)
	s_mov_b32 s0, exec_lo
	v_cmpx_lt_u32_e64 v55, v21
	s_cbranch_execz .LBB534_956
.LBB534_941:                            ;   in Loop: Header=BB534_908 Depth=2
	v_xor_b32_e32 v5, 0x7fffffff, v11
	s_delay_alu instid0(VALU_DEP_1) | instskip(NEXT) | instid1(VALU_DEP_1)
	v_lshrrev_b32_e32 v5, s57, v5
	v_and_b32_e32 v5, s39, v5
	s_delay_alu instid0(VALU_DEP_1) | instskip(SKIP_2) | instid1(SALU_CYCLE_1)
	v_lshl_or_b32 v5, v5, 4, v4
	ds_add_u32 v5, v92
	s_or_b32 exec_lo, exec_lo, s0
	s_mov_b32 s0, exec_lo
	v_cmpx_lt_u32_e64 v56, v21
	s_cbranch_execnz .LBB534_957
.LBB534_942:                            ;   in Loop: Header=BB534_908 Depth=2
	s_or_b32 exec_lo, exec_lo, s0
	s_delay_alu instid0(SALU_CYCLE_1)
	s_mov_b32 s0, exec_lo
	v_cmpx_lt_u32_e64 v57, v21
	s_cbranch_execz .LBB534_958
.LBB534_943:                            ;   in Loop: Header=BB534_908 Depth=2
	v_xor_b32_e32 v5, 0x7fffffff, v9
	s_delay_alu instid0(VALU_DEP_1) | instskip(NEXT) | instid1(VALU_DEP_1)
	v_lshrrev_b32_e32 v5, s57, v5
	v_and_b32_e32 v5, s39, v5
	s_delay_alu instid0(VALU_DEP_1) | instskip(SKIP_2) | instid1(SALU_CYCLE_1)
	v_lshl_or_b32 v5, v5, 4, v4
	ds_add_u32 v5, v92
	s_or_b32 exec_lo, exec_lo, s0
	s_mov_b32 s0, exec_lo
	v_cmpx_lt_u32_e64 v58, v21
	s_cbranch_execnz .LBB534_959
.LBB534_944:                            ;   in Loop: Header=BB534_908 Depth=2
	s_or_b32 exec_lo, exec_lo, s0
	s_delay_alu instid0(SALU_CYCLE_1)
	s_mov_b32 s0, exec_lo
	v_cmpx_lt_u32_e64 v59, v21
	s_cbranch_execz .LBB534_960
.LBB534_945:                            ;   in Loop: Header=BB534_908 Depth=2
	v_xor_b32_e32 v5, 0x7fffffff, v7
	s_delay_alu instid0(VALU_DEP_1) | instskip(NEXT) | instid1(VALU_DEP_1)
	v_lshrrev_b32_e32 v5, s57, v5
	v_and_b32_e32 v5, s39, v5
	s_delay_alu instid0(VALU_DEP_1) | instskip(SKIP_2) | instid1(SALU_CYCLE_1)
	v_lshl_or_b32 v5, v5, 4, v4
	ds_add_u32 v5, v92
	s_or_b32 exec_lo, exec_lo, s0
	s_mov_b32 s0, exec_lo
	v_cmpx_lt_u32_e64 v60, v21
	s_cbranch_execnz .LBB534_961
.LBB534_946:                            ;   in Loop: Header=BB534_908 Depth=2
	s_or_b32 exec_lo, exec_lo, s0
	s_delay_alu instid0(SALU_CYCLE_1)
	s_mov_b32 s0, exec_lo
	v_cmpx_lt_u32_e64 v61, v21
	s_cbranch_execz .LBB534_962
.LBB534_947:                            ;   in Loop: Header=BB534_908 Depth=2
	v_xor_b32_e32 v5, 0x7fffffff, v2
	s_delay_alu instid0(VALU_DEP_1) | instskip(NEXT) | instid1(VALU_DEP_1)
	v_lshrrev_b32_e32 v5, s57, v5
	v_and_b32_e32 v5, s39, v5
	s_delay_alu instid0(VALU_DEP_1) | instskip(SKIP_2) | instid1(SALU_CYCLE_1)
	v_lshl_or_b32 v5, v5, 4, v4
	ds_add_u32 v5, v92
	s_or_b32 exec_lo, exec_lo, s0
	s_mov_b32 s0, exec_lo
	v_cmpx_lt_u32_e64 v63, v21
	s_cbranch_execz .LBB534_907
	s_branch .LBB534_963
.LBB534_948:                            ;   in Loop: Header=BB534_908 Depth=2
	s_or_b32 exec_lo, exec_lo, s0
	s_delay_alu instid0(SALU_CYCLE_1)
	s_mov_b32 s0, exec_lo
	v_cmpx_lt_u32_e64 v45, v21
	s_cbranch_execz .LBB534_934
.LBB534_949:                            ;   in Loop: Header=BB534_908 Depth=2
	v_xor_b32_e32 v5, 0x7fffffff, v18
	s_delay_alu instid0(VALU_DEP_1) | instskip(NEXT) | instid1(VALU_DEP_1)
	v_lshrrev_b32_e32 v5, s57, v5
	v_and_b32_e32 v5, s39, v5
	s_delay_alu instid0(VALU_DEP_1) | instskip(SKIP_2) | instid1(SALU_CYCLE_1)
	v_lshl_or_b32 v5, v5, 4, v4
	ds_add_u32 v5, v92
	s_or_b32 exec_lo, exec_lo, s0
	s_mov_b32 s0, exec_lo
	v_cmpx_lt_u32_e64 v46, v21
	s_cbranch_execnz .LBB534_935
.LBB534_950:                            ;   in Loop: Header=BB534_908 Depth=2
	s_or_b32 exec_lo, exec_lo, s0
	s_delay_alu instid0(SALU_CYCLE_1)
	s_mov_b32 s0, exec_lo
	v_cmpx_lt_u32_e64 v47, v21
	s_cbranch_execz .LBB534_936
.LBB534_951:                            ;   in Loop: Header=BB534_908 Depth=2
	v_xor_b32_e32 v5, 0x7fffffff, v16
	s_delay_alu instid0(VALU_DEP_1) | instskip(NEXT) | instid1(VALU_DEP_1)
	v_lshrrev_b32_e32 v5, s57, v5
	v_and_b32_e32 v5, s39, v5
	s_delay_alu instid0(VALU_DEP_1) | instskip(SKIP_2) | instid1(SALU_CYCLE_1)
	v_lshl_or_b32 v5, v5, 4, v4
	ds_add_u32 v5, v92
	s_or_b32 exec_lo, exec_lo, s0
	s_mov_b32 s0, exec_lo
	v_cmpx_lt_u32_e64 v51, v21
	s_cbranch_execnz .LBB534_937
.LBB534_952:                            ;   in Loop: Header=BB534_908 Depth=2
	s_or_b32 exec_lo, exec_lo, s0
	s_delay_alu instid0(SALU_CYCLE_1)
	s_mov_b32 s0, exec_lo
	v_cmpx_lt_u32_e64 v52, v21
	s_cbranch_execz .LBB534_938
.LBB534_953:                            ;   in Loop: Header=BB534_908 Depth=2
	v_xor_b32_e32 v5, 0x7fffffff, v14
	s_delay_alu instid0(VALU_DEP_1) | instskip(NEXT) | instid1(VALU_DEP_1)
	v_lshrrev_b32_e32 v5, s57, v5
	v_and_b32_e32 v5, s39, v5
	s_delay_alu instid0(VALU_DEP_1) | instskip(SKIP_2) | instid1(SALU_CYCLE_1)
	v_lshl_or_b32 v5, v5, 4, v4
	ds_add_u32 v5, v92
	s_or_b32 exec_lo, exec_lo, s0
	s_mov_b32 s0, exec_lo
	v_cmpx_lt_u32_e64 v53, v21
	s_cbranch_execnz .LBB534_939
.LBB534_954:                            ;   in Loop: Header=BB534_908 Depth=2
	s_or_b32 exec_lo, exec_lo, s0
	s_delay_alu instid0(SALU_CYCLE_1)
	s_mov_b32 s0, exec_lo
	v_cmpx_lt_u32_e64 v54, v21
	s_cbranch_execz .LBB534_940
.LBB534_955:                            ;   in Loop: Header=BB534_908 Depth=2
	v_xor_b32_e32 v5, 0x7fffffff, v12
	s_delay_alu instid0(VALU_DEP_1) | instskip(NEXT) | instid1(VALU_DEP_1)
	v_lshrrev_b32_e32 v5, s57, v5
	v_and_b32_e32 v5, s39, v5
	s_delay_alu instid0(VALU_DEP_1) | instskip(SKIP_2) | instid1(SALU_CYCLE_1)
	v_lshl_or_b32 v5, v5, 4, v4
	ds_add_u32 v5, v92
	s_or_b32 exec_lo, exec_lo, s0
	s_mov_b32 s0, exec_lo
	v_cmpx_lt_u32_e64 v55, v21
	s_cbranch_execnz .LBB534_941
.LBB534_956:                            ;   in Loop: Header=BB534_908 Depth=2
	s_or_b32 exec_lo, exec_lo, s0
	s_delay_alu instid0(SALU_CYCLE_1)
	s_mov_b32 s0, exec_lo
	v_cmpx_lt_u32_e64 v56, v21
	s_cbranch_execz .LBB534_942
.LBB534_957:                            ;   in Loop: Header=BB534_908 Depth=2
	v_xor_b32_e32 v5, 0x7fffffff, v10
	s_delay_alu instid0(VALU_DEP_1) | instskip(NEXT) | instid1(VALU_DEP_1)
	v_lshrrev_b32_e32 v5, s57, v5
	v_and_b32_e32 v5, s39, v5
	s_delay_alu instid0(VALU_DEP_1) | instskip(SKIP_2) | instid1(SALU_CYCLE_1)
	v_lshl_or_b32 v5, v5, 4, v4
	ds_add_u32 v5, v92
	s_or_b32 exec_lo, exec_lo, s0
	s_mov_b32 s0, exec_lo
	v_cmpx_lt_u32_e64 v57, v21
	s_cbranch_execnz .LBB534_943
.LBB534_958:                            ;   in Loop: Header=BB534_908 Depth=2
	s_or_b32 exec_lo, exec_lo, s0
	s_delay_alu instid0(SALU_CYCLE_1)
	s_mov_b32 s0, exec_lo
	v_cmpx_lt_u32_e64 v58, v21
	s_cbranch_execz .LBB534_944
.LBB534_959:                            ;   in Loop: Header=BB534_908 Depth=2
	v_xor_b32_e32 v5, 0x7fffffff, v8
	s_delay_alu instid0(VALU_DEP_1) | instskip(NEXT) | instid1(VALU_DEP_1)
	v_lshrrev_b32_e32 v5, s57, v5
	v_and_b32_e32 v5, s39, v5
	s_delay_alu instid0(VALU_DEP_1) | instskip(SKIP_2) | instid1(SALU_CYCLE_1)
	v_lshl_or_b32 v5, v5, 4, v4
	ds_add_u32 v5, v92
	s_or_b32 exec_lo, exec_lo, s0
	s_mov_b32 s0, exec_lo
	v_cmpx_lt_u32_e64 v59, v21
	s_cbranch_execnz .LBB534_945
.LBB534_960:                            ;   in Loop: Header=BB534_908 Depth=2
	s_or_b32 exec_lo, exec_lo, s0
	s_delay_alu instid0(SALU_CYCLE_1)
	s_mov_b32 s0, exec_lo
	v_cmpx_lt_u32_e64 v60, v21
	s_cbranch_execz .LBB534_946
.LBB534_961:                            ;   in Loop: Header=BB534_908 Depth=2
	v_xor_b32_e32 v5, 0x7fffffff, v6
	s_delay_alu instid0(VALU_DEP_1) | instskip(NEXT) | instid1(VALU_DEP_1)
	v_lshrrev_b32_e32 v5, s57, v5
	v_and_b32_e32 v5, s39, v5
	s_delay_alu instid0(VALU_DEP_1) | instskip(SKIP_2) | instid1(SALU_CYCLE_1)
	v_lshl_or_b32 v5, v5, 4, v4
	ds_add_u32 v5, v92
	s_or_b32 exec_lo, exec_lo, s0
	s_mov_b32 s0, exec_lo
	v_cmpx_lt_u32_e64 v61, v21
	s_cbranch_execnz .LBB534_947
.LBB534_962:                            ;   in Loop: Header=BB534_908 Depth=2
	s_or_b32 exec_lo, exec_lo, s0
	s_delay_alu instid0(SALU_CYCLE_1)
	s_mov_b32 s0, exec_lo
	v_cmpx_lt_u32_e64 v63, v21
	s_cbranch_execz .LBB534_907
.LBB534_963:                            ;   in Loop: Header=BB534_908 Depth=2
	s_waitcnt vmcnt(0)
	v_xor_b32_e32 v5, 0x7fffffff, v20
	s_delay_alu instid0(VALU_DEP_1) | instskip(NEXT) | instid1(VALU_DEP_1)
	v_lshrrev_b32_e32 v5, s57, v5
	v_and_b32_e32 v5, s39, v5
	s_delay_alu instid0(VALU_DEP_1)
	v_lshl_or_b32 v4, v5, 4, v4
	ds_add_u32 v4, v92
	s_branch .LBB534_907
.LBB534_964:                            ;   in Loop: Header=BB534_908 Depth=2
	s_or_b32 exec_lo, exec_lo, s11
	s_delay_alu instid0(SALU_CYCLE_1)
	s_mov_b32 s11, exec_lo
	v_cmpx_gt_u32_e64 s8, v45
	s_cbranch_execz .LBB534_914
.LBB534_965:                            ;   in Loop: Header=BB534_908 Depth=2
	global_load_b32 v18, v93, s[0:1] offset:1024
	s_or_b32 exec_lo, exec_lo, s11
	s_delay_alu instid0(SALU_CYCLE_1)
	s_mov_b32 s11, exec_lo
	v_cmpx_gt_u32_e64 s8, v46
	s_cbranch_execnz .LBB534_915
.LBB534_966:                            ;   in Loop: Header=BB534_908 Depth=2
	s_or_b32 exec_lo, exec_lo, s11
	s_delay_alu instid0(SALU_CYCLE_1)
	s_mov_b32 s11, exec_lo
	v_cmpx_gt_u32_e64 s8, v47
	s_cbranch_execz .LBB534_916
.LBB534_967:                            ;   in Loop: Header=BB534_908 Depth=2
	global_load_b32 v16, v93, s[0:1] offset:3072
	s_or_b32 exec_lo, exec_lo, s11
	s_delay_alu instid0(SALU_CYCLE_1)
	s_mov_b32 s11, exec_lo
	v_cmpx_gt_u32_e64 s8, v51
	s_cbranch_execnz .LBB534_917
.LBB534_968:                            ;   in Loop: Header=BB534_908 Depth=2
	s_or_b32 exec_lo, exec_lo, s11
	s_delay_alu instid0(SALU_CYCLE_1)
	s_mov_b32 s11, exec_lo
	v_cmpx_gt_u32_e64 s8, v52
	s_cbranch_execz .LBB534_918
.LBB534_969:                            ;   in Loop: Header=BB534_908 Depth=2
	global_load_b32 v14, v95, s[0:1]
	s_or_b32 exec_lo, exec_lo, s11
	s_delay_alu instid0(SALU_CYCLE_1)
	s_mov_b32 s11, exec_lo
	v_cmpx_gt_u32_e64 s8, v53
	s_cbranch_execnz .LBB534_919
.LBB534_970:                            ;   in Loop: Header=BB534_908 Depth=2
	s_or_b32 exec_lo, exec_lo, s11
	s_delay_alu instid0(SALU_CYCLE_1)
	s_mov_b32 s11, exec_lo
	v_cmpx_gt_u32_e64 s8, v54
	s_cbranch_execz .LBB534_920
.LBB534_971:                            ;   in Loop: Header=BB534_908 Depth=2
	global_load_b32 v12, v97, s[0:1]
	s_or_b32 exec_lo, exec_lo, s11
	s_delay_alu instid0(SALU_CYCLE_1)
	s_mov_b32 s11, exec_lo
	v_cmpx_gt_u32_e64 s8, v55
	s_cbranch_execnz .LBB534_921
.LBB534_972:                            ;   in Loop: Header=BB534_908 Depth=2
	s_or_b32 exec_lo, exec_lo, s11
	s_delay_alu instid0(SALU_CYCLE_1)
	s_mov_b32 s11, exec_lo
	v_cmpx_gt_u32_e64 s8, v56
	s_cbranch_execz .LBB534_922
.LBB534_973:                            ;   in Loop: Header=BB534_908 Depth=2
	global_load_b32 v10, v99, s[0:1]
	s_or_b32 exec_lo, exec_lo, s11
	s_delay_alu instid0(SALU_CYCLE_1)
	s_mov_b32 s11, exec_lo
	v_cmpx_gt_u32_e64 s8, v57
	s_cbranch_execnz .LBB534_923
.LBB534_974:                            ;   in Loop: Header=BB534_908 Depth=2
	s_or_b32 exec_lo, exec_lo, s11
	s_delay_alu instid0(SALU_CYCLE_1)
	s_mov_b32 s11, exec_lo
	v_cmpx_gt_u32_e64 s8, v58
	s_cbranch_execz .LBB534_924
.LBB534_975:                            ;   in Loop: Header=BB534_908 Depth=2
	global_load_b32 v8, v101, s[0:1]
	s_or_b32 exec_lo, exec_lo, s11
	s_delay_alu instid0(SALU_CYCLE_1)
	s_mov_b32 s11, exec_lo
	v_cmpx_gt_u32_e64 s8, v59
	s_cbranch_execnz .LBB534_925
.LBB534_976:                            ;   in Loop: Header=BB534_908 Depth=2
	s_or_b32 exec_lo, exec_lo, s11
	s_delay_alu instid0(SALU_CYCLE_1)
	s_mov_b32 s11, exec_lo
	v_cmpx_gt_u32_e64 s8, v60
	s_cbranch_execz .LBB534_926
.LBB534_977:                            ;   in Loop: Header=BB534_908 Depth=2
	global_load_b32 v6, v103, s[0:1]
	s_or_b32 exec_lo, exec_lo, s11
	s_delay_alu instid0(SALU_CYCLE_1)
	s_mov_b32 s11, exec_lo
	v_cmpx_gt_u32_e64 s8, v61
	s_cbranch_execz .LBB534_928
	s_branch .LBB534_927
.LBB534_978:                            ;   in Loop: Header=BB534_20 Depth=1
	v_mov_b32_e32 v2, 0
	s_waitcnt vmcnt(0) lgkmcnt(0)
	s_barrier
	buffer_gl0_inv
	s_and_saveexec_b32 s0, s2
	s_cbranch_execz .LBB534_980
; %bb.979:                              ;   in Loop: Header=BB534_20 Depth=1
	ds_load_2addr_b64 v[4:7], v64 offset1:1
	s_waitcnt lgkmcnt(0)
	v_add_nc_u32_e32 v2, v5, v4
	s_delay_alu instid0(VALU_DEP_1)
	v_add3_u32 v2, v2, v6, v7
.LBB534_980:                            ;   in Loop: Header=BB534_20 Depth=1
	s_or_b32 exec_lo, exec_lo, s0
	v_and_b32_e32 v4, 15, v106
	s_delay_alu instid0(VALU_DEP_2) | instskip(SKIP_1) | instid1(VALU_DEP_3)
	v_mov_b32_dpp v5, v2 row_shr:1 row_mask:0xf bank_mask:0xf
	v_and_b32_e32 v6, 16, v106
	v_cmp_eq_u32_e64 s0, 0, v4
	v_cmp_lt_u32_e64 s1, 1, v4
	v_cmp_lt_u32_e64 s8, 3, v4
	v_cmp_lt_u32_e64 s9, 7, v4
	v_cmp_eq_u32_e64 s10, 0, v6
	v_cndmask_b32_e64 v5, v5, 0, s0
	s_delay_alu instid0(VALU_DEP_1) | instskip(NEXT) | instid1(VALU_DEP_1)
	v_add_nc_u32_e32 v2, v5, v2
	v_mov_b32_dpp v5, v2 row_shr:2 row_mask:0xf bank_mask:0xf
	s_delay_alu instid0(VALU_DEP_1) | instskip(NEXT) | instid1(VALU_DEP_1)
	v_cndmask_b32_e64 v5, 0, v5, s1
	v_add_nc_u32_e32 v2, v2, v5
	s_delay_alu instid0(VALU_DEP_1) | instskip(NEXT) | instid1(VALU_DEP_1)
	v_mov_b32_dpp v5, v2 row_shr:4 row_mask:0xf bank_mask:0xf
	v_cndmask_b32_e64 v5, 0, v5, s8
	s_delay_alu instid0(VALU_DEP_1) | instskip(NEXT) | instid1(VALU_DEP_1)
	v_add_nc_u32_e32 v2, v2, v5
	v_mov_b32_dpp v5, v2 row_shr:8 row_mask:0xf bank_mask:0xf
	s_delay_alu instid0(VALU_DEP_1) | instskip(SKIP_1) | instid1(VALU_DEP_2)
	v_cndmask_b32_e64 v4, 0, v5, s9
	v_bfe_i32 v5, v106, 4, 1
	v_add_nc_u32_e32 v2, v2, v4
	ds_swizzle_b32 v4, v2 offset:swizzle(BROADCAST,32,15)
	s_waitcnt lgkmcnt(0)
	v_and_b32_e32 v4, v5, v4
	s_delay_alu instid0(VALU_DEP_1)
	v_add_nc_u32_e32 v4, v2, v4
	s_and_saveexec_b32 s11, s3
	s_cbranch_execz .LBB534_982
; %bb.981:                              ;   in Loop: Header=BB534_20 Depth=1
	ds_store_b32 v65, v4
.LBB534_982:                            ;   in Loop: Header=BB534_20 Depth=1
	s_or_b32 exec_lo, exec_lo, s11
	v_and_b32_e32 v2, 7, v106
	s_waitcnt lgkmcnt(0)
	s_barrier
	buffer_gl0_inv
	s_and_saveexec_b32 s11, s4
	s_cbranch_execz .LBB534_984
; %bb.983:                              ;   in Loop: Header=BB534_20 Depth=1
	ds_load_b32 v5, v66
	v_cmp_ne_u32_e32 vcc_lo, 0, v2
	s_waitcnt lgkmcnt(0)
	v_mov_b32_dpp v6, v5 row_shr:1 row_mask:0xf bank_mask:0xf
	s_delay_alu instid0(VALU_DEP_1) | instskip(SKIP_1) | instid1(VALU_DEP_2)
	v_cndmask_b32_e32 v6, 0, v6, vcc_lo
	v_cmp_lt_u32_e32 vcc_lo, 1, v2
	v_add_nc_u32_e32 v5, v6, v5
	s_delay_alu instid0(VALU_DEP_1) | instskip(NEXT) | instid1(VALU_DEP_1)
	v_mov_b32_dpp v6, v5 row_shr:2 row_mask:0xf bank_mask:0xf
	v_cndmask_b32_e32 v6, 0, v6, vcc_lo
	v_cmp_lt_u32_e32 vcc_lo, 3, v2
	s_delay_alu instid0(VALU_DEP_2) | instskip(NEXT) | instid1(VALU_DEP_1)
	v_add_nc_u32_e32 v5, v5, v6
	v_mov_b32_dpp v6, v5 row_shr:4 row_mask:0xf bank_mask:0xf
	s_delay_alu instid0(VALU_DEP_1) | instskip(NEXT) | instid1(VALU_DEP_1)
	v_cndmask_b32_e32 v6, 0, v6, vcc_lo
	v_add_nc_u32_e32 v5, v5, v6
	ds_store_b32 v66, v5
.LBB534_984:                            ;   in Loop: Header=BB534_20 Depth=1
	s_or_b32 exec_lo, exec_lo, s11
	v_mov_b32_e32 v5, 0
	s_waitcnt lgkmcnt(0)
	s_barrier
	buffer_gl0_inv
	s_and_saveexec_b32 s11, s5
	s_cbranch_execz .LBB534_986
; %bb.985:                              ;   in Loop: Header=BB534_20 Depth=1
	ds_load_b32 v5, v67
.LBB534_986:                            ;   in Loop: Header=BB534_20 Depth=1
	s_or_b32 exec_lo, exec_lo, s11
	v_add_nc_u32_e32 v6, -1, v106
	s_waitcnt lgkmcnt(0)
	v_add_nc_u32_e32 v4, v5, v4
	v_cmp_eq_u32_e64 s11, 0, v106
	s_barrier
	v_cmp_gt_i32_e32 vcc_lo, 0, v6
	buffer_gl0_inv
	v_cndmask_b32_e32 v6, v6, v106, vcc_lo
	s_delay_alu instid0(VALU_DEP_1)
	v_lshlrev_b32_e32 v107, 2, v6
	ds_bpermute_b32 v4, v107, v4
	s_and_saveexec_b32 s12, s2
	s_cbranch_execz .LBB534_988
; %bb.987:                              ;   in Loop: Header=BB534_20 Depth=1
	s_waitcnt lgkmcnt(0)
	v_cndmask_b32_e64 v4, v4, v5, s11
	s_delay_alu instid0(VALU_DEP_1)
	v_add_nc_u32_e32 v4, s60, v4
	ds_store_b32 v44, v4
.LBB534_988:                            ;   in Loop: Header=BB534_20 Depth=1
	s_or_b32 exec_lo, exec_lo, s12
	s_load_b64 s[12:13], s[36:37], 0x0
	v_lshlrev_b32_e32 v5, 3, v106
	v_or_b32_e32 v108, v106, v68
	s_mov_b32 s40, s62
	s_mov_b32 s34, s60
                                        ; implicit-def: $vgpr8_vgpr9
                                        ; implicit-def: $vgpr10_vgpr11
                                        ; implicit-def: $vgpr12_vgpr13
                                        ; implicit-def: $vgpr14_vgpr15
                                        ; implicit-def: $vgpr16_vgpr17
                                        ; implicit-def: $vgpr18_vgpr19
                                        ; implicit-def: $vgpr20_vgpr21
                                        ; implicit-def: $vgpr22_vgpr23
                                        ; implicit-def: $vgpr24_vgpr25
                                        ; implicit-def: $vgpr26_vgpr27
                                        ; implicit-def: $vgpr28_vgpr29
                                        ; implicit-def: $vgpr30_vgpr31
                                        ; implicit-def: $vgpr32_vgpr33
                                        ; implicit-def: $vgpr34_vgpr35
                                        ; implicit-def: $vgpr131
                                        ; implicit-def: $vgpr132
                                        ; implicit-def: $vgpr133
                                        ; implicit-def: $vgpr134
                                        ; implicit-def: $vgpr135
                                        ; implicit-def: $vgpr136
                                        ; implicit-def: $vgpr137
                                        ; implicit-def: $vgpr138
                                        ; implicit-def: $vgpr139
                                        ; implicit-def: $vgpr140
                                        ; implicit-def: $vgpr141
                                        ; implicit-def: $vgpr142
                                        ; implicit-def: $vgpr143
                                        ; implicit-def: $vgpr144
                                        ; implicit-def: $vgpr145
                                        ; implicit-def: $vgpr146
	s_delay_alu instid0(VALU_DEP_2)
	v_add_co_u32 v109, vcc_lo, v88, v5
	v_add_co_ci_u32_e32 v110, vcc_lo, 0, v89, vcc_lo
	v_or_b32_e32 v111, 32, v108
	v_or_b32_e32 v112, 64, v108
	;; [unrolled: 1-line block ×10, first 2 shown]
	s_waitcnt lgkmcnt(0)
	s_cmp_lt_u32 s15, s13
	v_or_b32_e32 v121, 0x160, v108
	s_cselect_b32 s13, 14, 20
	v_or_b32_e32 v122, 0x180, v108
	s_add_u32 s16, s36, s13
	s_addc_u32 s17, s37, 0
	s_cmp_lt_u32 s14, s12
	global_load_u16 v4, v3, s[16:17]
	s_cselect_b32 s12, 12, 18
	v_or_b32_e32 v123, 0x1a0, v108
	s_add_u32 s12, s36, s12
	s_addc_u32 s13, s37, 0
	v_or_b32_e32 v124, 0x1c0, v108
	global_load_u16 v6, v3, s[12:13]
	v_cmp_eq_u32_e64 s12, 0, v2
	v_cmp_lt_u32_e64 s13, 1, v2
	v_cmp_lt_u32_e64 s16, 3, v2
	v_lshlrev_b32_e32 v2, 2, v106
	v_or_b32_e32 v125, 0x1e0, v108
	s_delay_alu instid0(VALU_DEP_2) | instskip(SKIP_1) | instid1(VALU_DEP_2)
	v_add_co_u32 v126, vcc_lo, v90, v2
	v_add_co_ci_u32_e32 v127, vcc_lo, 0, v91, vcc_lo
	v_add_co_u32 v129, vcc_lo, 0x780, v126
	s_delay_alu instid0(VALU_DEP_2) | instskip(SKIP_3) | instid1(VALU_DEP_1)
	v_add_co_ci_u32_e32 v130, vcc_lo, 0, v127, vcc_lo
	s_waitcnt vmcnt(1)
	v_mad_u32_u24 v7, v69, v4, v0
	s_waitcnt vmcnt(0)
	v_mad_u64_u32 v[4:5], null, v7, v6, v[1:2]
                                        ; implicit-def: $vgpr6_vgpr7
	s_delay_alu instid0(VALU_DEP_1)
	v_lshrrev_b32_e32 v128, 5, v4
                                        ; implicit-def: $vgpr4_vgpr5
	s_branch .LBB534_990
.LBB534_989:                            ;   in Loop: Header=BB534_990 Depth=2
	s_or_b32 exec_lo, exec_lo, s17
	s_addk_i32 s40, 0xf000
	s_cmp_lt_u32 s41, s61
	s_mov_b32 s34, s41
	s_cbranch_scc0 .LBB534_18
.LBB534_990:                            ;   Parent Loop BB534_20 Depth=1
                                        ; =>  This Inner Loop Header: Depth=2
	s_add_i32 s41, s34, 0x1000
	s_delay_alu instid0(SALU_CYCLE_1)
	s_cmp_gt_u32 s41, s61
	s_cbranch_scc1 .LBB534_993
; %bb.991:                              ;   in Loop: Header=BB534_990 Depth=2
	s_mov_b32 s19, 0
	s_mov_b32 s18, s34
	s_movk_i32 s17, 0x1000
	s_lshl_b64 s[20:21], s[18:19], 2
	s_delay_alu instid0(SALU_CYCLE_1)
	v_add_co_u32 v36, vcc_lo, v126, s20
	v_add_co_ci_u32_e32 v37, vcc_lo, s21, v127, vcc_lo
	s_mov_b32 s20, -1
	s_clause 0xe
	global_load_b32 v2, v[36:37], off
	global_load_b32 v148, v[36:37], off offset:128
	global_load_b32 v151, v[36:37], off offset:256
	;; [unrolled: 1-line block ×14, first 2 shown]
	s_cbranch_execz .LBB534_994
; %bb.992:                              ;   in Loop: Header=BB534_990 Depth=2
                                        ; implicit-def: $sgpr21
	v_dual_mov_b32 v36, s21 :: v_dual_mov_b32 v147, s40
	s_and_saveexec_b32 s21, s20
	s_cbranch_execnz .LBB534_1025
	s_branch .LBB534_1026
.LBB534_993:                            ;   in Loop: Header=BB534_990 Depth=2
	s_mov_b32 s19, -1
	s_mov_b32 s20, 0
                                        ; implicit-def: $sgpr17
                                        ; implicit-def: $vgpr2
                                        ; implicit-def: $vgpr148
                                        ; implicit-def: $vgpr151
                                        ; implicit-def: $vgpr155
                                        ; implicit-def: $vgpr159
                                        ; implicit-def: $vgpr163
                                        ; implicit-def: $vgpr167
                                        ; implicit-def: $vgpr172
                                        ; implicit-def: $vgpr171
                                        ; implicit-def: $vgpr43
                                        ; implicit-def: $vgpr42
                                        ; implicit-def: $vgpr41
                                        ; implicit-def: $vgpr40
                                        ; implicit-def: $vgpr39
                                        ; implicit-def: $vgpr38
.LBB534_994:                            ;   in Loop: Header=BB534_990 Depth=2
	s_lshl_b64 s[18:19], s[34:35], 2
	s_waitcnt vmcnt(13)
	v_bfrev_b32_e32 v148, 1
	v_add_co_u32 v36, vcc_lo, v126, s18
	v_add_co_ci_u32_e32 v37, vcc_lo, s19, v127, vcc_lo
	v_bfrev_b32_e32 v2, 1
	s_mov_b32 s17, exec_lo
	v_cmpx_gt_u32_e64 s40, v108
	s_cbranch_execz .LBB534_996
; %bb.995:                              ;   in Loop: Header=BB534_990 Depth=2
	global_load_b32 v2, v[36:37], off
.LBB534_996:                            ;   in Loop: Header=BB534_990 Depth=2
	s_or_b32 exec_lo, exec_lo, s17
	s_delay_alu instid0(SALU_CYCLE_1)
	s_mov_b32 s17, exec_lo
	v_cmpx_gt_u32_e64 s40, v111
	s_cbranch_execz .LBB534_998
; %bb.997:                              ;   in Loop: Header=BB534_990 Depth=2
	global_load_b32 v148, v[36:37], off offset:128
.LBB534_998:                            ;   in Loop: Header=BB534_990 Depth=2
	s_or_b32 exec_lo, exec_lo, s17
	s_waitcnt vmcnt(11)
	v_bfrev_b32_e32 v155, 1
	v_bfrev_b32_e32 v151, 1
	s_mov_b32 s17, exec_lo
	v_cmpx_gt_u32_e64 s40, v112
	s_cbranch_execz .LBB534_1000
; %bb.999:                              ;   in Loop: Header=BB534_990 Depth=2
	global_load_b32 v151, v[36:37], off offset:256
.LBB534_1000:                           ;   in Loop: Header=BB534_990 Depth=2
	s_or_b32 exec_lo, exec_lo, s17
	s_delay_alu instid0(SALU_CYCLE_1)
	s_mov_b32 s17, exec_lo
	v_cmpx_gt_u32_e64 s40, v113
	s_cbranch_execz .LBB534_1002
; %bb.1001:                             ;   in Loop: Header=BB534_990 Depth=2
	global_load_b32 v155, v[36:37], off offset:384
.LBB534_1002:                           ;   in Loop: Header=BB534_990 Depth=2
	s_or_b32 exec_lo, exec_lo, s17
	s_waitcnt vmcnt(9)
	v_bfrev_b32_e32 v163, 1
	v_bfrev_b32_e32 v159, 1
	s_mov_b32 s17, exec_lo
	v_cmpx_gt_u32_e64 s40, v114
	s_cbranch_execz .LBB534_1004
; %bb.1003:                             ;   in Loop: Header=BB534_990 Depth=2
	global_load_b32 v159, v[36:37], off offset:512
.LBB534_1004:                           ;   in Loop: Header=BB534_990 Depth=2
	s_or_b32 exec_lo, exec_lo, s17
	s_delay_alu instid0(SALU_CYCLE_1)
	s_mov_b32 s17, exec_lo
	v_cmpx_gt_u32_e64 s40, v115
	s_cbranch_execz .LBB534_1006
; %bb.1005:                             ;   in Loop: Header=BB534_990 Depth=2
	global_load_b32 v163, v[36:37], off offset:640
.LBB534_1006:                           ;   in Loop: Header=BB534_990 Depth=2
	s_or_b32 exec_lo, exec_lo, s17
	s_waitcnt vmcnt(7)
	v_bfrev_b32_e32 v172, 1
	v_bfrev_b32_e32 v167, 1
	s_mov_b32 s17, exec_lo
	v_cmpx_gt_u32_e64 s40, v116
	s_cbranch_execz .LBB534_1008
; %bb.1007:                             ;   in Loop: Header=BB534_990 Depth=2
	global_load_b32 v167, v[36:37], off offset:768
.LBB534_1008:                           ;   in Loop: Header=BB534_990 Depth=2
	;; [unrolled: 18-line block ×5, first 2 shown]
	s_or_b32 exec_lo, exec_lo, s17
	s_delay_alu instid0(SALU_CYCLE_1)
	s_mov_b32 s17, exec_lo
	v_cmpx_gt_u32_e64 s40, v123
	s_cbranch_execz .LBB534_1022
; %bb.1021:                             ;   in Loop: Header=BB534_990 Depth=2
	global_load_b32 v39, v[36:37], off offset:1664
.LBB534_1022:                           ;   in Loop: Header=BB534_990 Depth=2
	s_or_b32 exec_lo, exec_lo, s17
	s_waitcnt vmcnt(0)
	v_bfrev_b32_e32 v38, 1
	s_mov_b32 s17, exec_lo
	v_cmpx_gt_u32_e64 s40, v124
	s_cbranch_execz .LBB534_1024
; %bb.1023:                             ;   in Loop: Header=BB534_990 Depth=2
	global_load_b32 v38, v[36:37], off offset:1792
.LBB534_1024:                           ;   in Loop: Header=BB534_990 Depth=2
	s_or_b32 exec_lo, exec_lo, s17
	v_cmp_gt_u32_e64 s20, s40, v125
	s_sub_i32 s17, s61, s34
	s_brev_b32 s21, 1
	s_mov_b64 s[18:19], s[34:35]
	v_dual_mov_b32 v36, s21 :: v_dual_mov_b32 v147, s40
	s_and_saveexec_b32 s21, s20
	s_cbranch_execz .LBB534_1026
.LBB534_1025:                           ;   in Loop: Header=BB534_990 Depth=2
	s_lshl_b64 s[18:19], s[18:19], 2
	v_mov_b32_e32 v147, s17
	v_add_co_u32 v36, vcc_lo, v129, s18
	v_add_co_ci_u32_e32 v37, vcc_lo, s19, v130, vcc_lo
	global_load_b32 v36, v[36:37], off
.LBB534_1026:                           ;   in Loop: Header=BB534_990 Depth=2
	s_or_b32 exec_lo, exec_lo, s21
	s_waitcnt vmcnt(14)
	v_xor_b32_e32 v2, 0x7fffffff, v2
	ds_store_b32 v70, v3 offset:1056
	ds_store_2addr_b32 v71, v3, v3 offset0:1 offset1:2
	ds_store_2addr_b32 v71, v3, v3 offset0:3 offset1:4
	;; [unrolled: 1-line block ×4, first 2 shown]
	s_waitcnt vmcnt(0) lgkmcnt(0)
	s_barrier
	v_lshrrev_b32_e32 v37, s57, v2
	buffer_gl0_inv
	; wave barrier
	v_and_b32_e32 v150, s39, v37
	s_delay_alu instid0(VALU_DEP_1)
	v_and_b32_e32 v37, 1, v150
	v_lshlrev_b32_e32 v149, 30, v150
	v_lshlrev_b32_e32 v152, 29, v150
	;; [unrolled: 1-line block ×4, first 2 shown]
	v_add_co_u32 v37, s17, v37, -1
	s_delay_alu instid0(VALU_DEP_1)
	v_cndmask_b32_e64 v154, 0, 1, s17
	v_not_b32_e32 v160, v149
	v_cmp_gt_i32_e64 s17, 0, v149
	v_not_b32_e32 v149, v152
	v_lshlrev_b32_e32 v157, 26, v150
	v_cmp_ne_u32_e32 vcc_lo, 0, v154
	v_ashrrev_i32_e32 v160, 31, v160
	v_lshlrev_b32_e32 v158, 25, v150
	v_ashrrev_i32_e32 v149, 31, v149
	v_lshlrev_b32_e32 v154, 24, v150
	v_xor_b32_e32 v37, vcc_lo, v37
	v_cmp_gt_i32_e32 vcc_lo, 0, v152
	v_not_b32_e32 v152, v153
	v_xor_b32_e32 v160, s17, v160
	v_cmp_gt_i32_e64 s17, 0, v153
	v_and_b32_e32 v37, exec_lo, v37
	v_not_b32_e32 v153, v156
	v_ashrrev_i32_e32 v152, 31, v152
	v_xor_b32_e32 v149, vcc_lo, v149
	v_cmp_gt_i32_e32 vcc_lo, 0, v156
	v_and_b32_e32 v37, v37, v160
	v_not_b32_e32 v156, v157
	v_ashrrev_i32_e32 v153, 31, v153
	v_xor_b32_e32 v152, s17, v152
	v_cmp_gt_i32_e64 s17, 0, v157
	v_and_b32_e32 v37, v37, v149
	v_not_b32_e32 v149, v158
	v_ashrrev_i32_e32 v156, 31, v156
	v_xor_b32_e32 v153, vcc_lo, v153
	v_cmp_gt_i32_e32 vcc_lo, 0, v158
	v_and_b32_e32 v37, v37, v152
	v_not_b32_e32 v152, v154
	v_ashrrev_i32_e32 v149, 31, v149
	v_xor_b32_e32 v156, s17, v156
	v_cmp_gt_i32_e64 s17, 0, v154
	v_and_b32_e32 v37, v37, v153
	v_ashrrev_i32_e32 v152, 31, v152
	v_xor_b32_e32 v149, vcc_lo, v149
	v_mad_u32_u24 v150, v150, 9, v128
	s_delay_alu instid0(VALU_DEP_4) | instskip(NEXT) | instid1(VALU_DEP_4)
	v_and_b32_e32 v37, v37, v156
	v_xor_b32_e32 v152, s17, v152
	s_delay_alu instid0(VALU_DEP_3) | instskip(NEXT) | instid1(VALU_DEP_3)
	v_lshl_add_u32 v150, v150, 2, 0x420
	v_and_b32_e32 v37, v37, v149
	s_delay_alu instid0(VALU_DEP_1) | instskip(NEXT) | instid1(VALU_DEP_1)
	v_and_b32_e32 v37, v37, v152
	v_mbcnt_lo_u32_b32 v149, v37, 0
	v_cmp_ne_u32_e64 s17, 0, v37
	s_delay_alu instid0(VALU_DEP_2) | instskip(NEXT) | instid1(VALU_DEP_2)
	v_cmp_eq_u32_e32 vcc_lo, 0, v149
	s_and_b32 s18, s17, vcc_lo
	s_delay_alu instid0(SALU_CYCLE_1)
	s_and_saveexec_b32 s17, s18
	s_cbranch_execz .LBB534_1028
; %bb.1027:                             ;   in Loop: Header=BB534_990 Depth=2
	v_bcnt_u32_b32 v37, v37, 0
	ds_store_b32 v150, v37
.LBB534_1028:                           ;   in Loop: Header=BB534_990 Depth=2
	s_or_b32 exec_lo, exec_lo, s17
	v_xor_b32_e32 v148, 0x7fffffff, v148
	; wave barrier
	s_delay_alu instid0(VALU_DEP_1) | instskip(NEXT) | instid1(VALU_DEP_1)
	v_lshrrev_b32_e32 v37, s57, v148
	v_and_b32_e32 v37, s39, v37
	s_delay_alu instid0(VALU_DEP_1)
	v_and_b32_e32 v152, 1, v37
	v_lshlrev_b32_e32 v153, 30, v37
	v_lshlrev_b32_e32 v154, 29, v37
	;; [unrolled: 1-line block ×4, first 2 shown]
	v_add_co_u32 v152, s17, v152, -1
	s_delay_alu instid0(VALU_DEP_1)
	v_cndmask_b32_e64 v157, 0, 1, s17
	v_not_b32_e32 v162, v153
	v_cmp_gt_i32_e64 s17, 0, v153
	v_not_b32_e32 v153, v154
	v_lshlrev_b32_e32 v160, 26, v37
	v_cmp_ne_u32_e32 vcc_lo, 0, v157
	v_ashrrev_i32_e32 v162, 31, v162
	v_lshlrev_b32_e32 v161, 25, v37
	v_ashrrev_i32_e32 v153, 31, v153
	v_lshlrev_b32_e32 v157, 24, v37
	v_xor_b32_e32 v152, vcc_lo, v152
	v_cmp_gt_i32_e32 vcc_lo, 0, v154
	v_not_b32_e32 v154, v156
	v_xor_b32_e32 v162, s17, v162
	v_cmp_gt_i32_e64 s17, 0, v156
	v_and_b32_e32 v152, exec_lo, v152
	v_not_b32_e32 v156, v158
	v_ashrrev_i32_e32 v154, 31, v154
	v_xor_b32_e32 v153, vcc_lo, v153
	v_cmp_gt_i32_e32 vcc_lo, 0, v158
	v_and_b32_e32 v152, v152, v162
	v_not_b32_e32 v158, v160
	v_ashrrev_i32_e32 v156, 31, v156
	v_xor_b32_e32 v154, s17, v154
	v_cmp_gt_i32_e64 s17, 0, v160
	v_and_b32_e32 v152, v152, v153
	v_not_b32_e32 v153, v161
	v_ashrrev_i32_e32 v158, 31, v158
	v_xor_b32_e32 v156, vcc_lo, v156
	v_cmp_gt_i32_e32 vcc_lo, 0, v161
	v_and_b32_e32 v152, v152, v154
	v_not_b32_e32 v154, v157
	v_ashrrev_i32_e32 v153, 31, v153
	v_xor_b32_e32 v158, s17, v158
	v_mul_u32_u24_e32 v37, 9, v37
	v_and_b32_e32 v152, v152, v156
	v_cmp_gt_i32_e64 s17, 0, v157
	v_ashrrev_i32_e32 v154, 31, v154
	v_xor_b32_e32 v153, vcc_lo, v153
	v_add_lshl_u32 v156, v37, v128, 2
	v_and_b32_e32 v152, v152, v158
	s_delay_alu instid0(VALU_DEP_4) | instskip(NEXT) | instid1(VALU_DEP_3)
	v_xor_b32_e32 v37, s17, v154
	v_add_nc_u32_e32 v154, 0x420, v156
	s_delay_alu instid0(VALU_DEP_3) | instskip(SKIP_2) | instid1(VALU_DEP_1)
	v_and_b32_e32 v153, v152, v153
	ds_load_b32 v152, v156 offset:1056
	; wave barrier
	v_and_b32_e32 v37, v153, v37
	v_mbcnt_lo_u32_b32 v153, v37, 0
	v_cmp_ne_u32_e64 s17, 0, v37
	s_delay_alu instid0(VALU_DEP_2) | instskip(NEXT) | instid1(VALU_DEP_2)
	v_cmp_eq_u32_e32 vcc_lo, 0, v153
	s_and_b32 s18, s17, vcc_lo
	s_delay_alu instid0(SALU_CYCLE_1)
	s_and_saveexec_b32 s17, s18
	s_cbranch_execz .LBB534_1030
; %bb.1029:                             ;   in Loop: Header=BB534_990 Depth=2
	s_waitcnt lgkmcnt(0)
	v_bcnt_u32_b32 v37, v37, v152
	ds_store_b32 v154, v37
.LBB534_1030:                           ;   in Loop: Header=BB534_990 Depth=2
	s_or_b32 exec_lo, exec_lo, s17
	v_xor_b32_e32 v151, 0x7fffffff, v151
	; wave barrier
	s_delay_alu instid0(VALU_DEP_1) | instskip(NEXT) | instid1(VALU_DEP_1)
	v_lshrrev_b32_e32 v37, s57, v151
	v_and_b32_e32 v37, s39, v37
	s_delay_alu instid0(VALU_DEP_1)
	v_and_b32_e32 v156, 1, v37
	v_lshlrev_b32_e32 v157, 30, v37
	v_lshlrev_b32_e32 v158, 29, v37
	;; [unrolled: 1-line block ×4, first 2 shown]
	v_add_co_u32 v156, s17, v156, -1
	s_delay_alu instid0(VALU_DEP_1)
	v_cndmask_b32_e64 v161, 0, 1, s17
	v_not_b32_e32 v166, v157
	v_cmp_gt_i32_e64 s17, 0, v157
	v_not_b32_e32 v157, v158
	v_lshlrev_b32_e32 v164, 26, v37
	v_cmp_ne_u32_e32 vcc_lo, 0, v161
	v_ashrrev_i32_e32 v166, 31, v166
	v_lshlrev_b32_e32 v165, 25, v37
	v_ashrrev_i32_e32 v157, 31, v157
	v_lshlrev_b32_e32 v161, 24, v37
	v_xor_b32_e32 v156, vcc_lo, v156
	v_cmp_gt_i32_e32 vcc_lo, 0, v158
	v_not_b32_e32 v158, v160
	v_xor_b32_e32 v166, s17, v166
	v_cmp_gt_i32_e64 s17, 0, v160
	v_and_b32_e32 v156, exec_lo, v156
	v_not_b32_e32 v160, v162
	v_ashrrev_i32_e32 v158, 31, v158
	v_xor_b32_e32 v157, vcc_lo, v157
	v_cmp_gt_i32_e32 vcc_lo, 0, v162
	v_and_b32_e32 v156, v156, v166
	v_not_b32_e32 v162, v164
	v_ashrrev_i32_e32 v160, 31, v160
	v_xor_b32_e32 v158, s17, v158
	v_cmp_gt_i32_e64 s17, 0, v164
	v_and_b32_e32 v156, v156, v157
	v_not_b32_e32 v157, v165
	v_ashrrev_i32_e32 v162, 31, v162
	v_xor_b32_e32 v160, vcc_lo, v160
	v_cmp_gt_i32_e32 vcc_lo, 0, v165
	v_and_b32_e32 v156, v156, v158
	v_not_b32_e32 v158, v161
	v_ashrrev_i32_e32 v157, 31, v157
	v_xor_b32_e32 v162, s17, v162
	v_mul_u32_u24_e32 v37, 9, v37
	v_and_b32_e32 v156, v156, v160
	v_cmp_gt_i32_e64 s17, 0, v161
	v_ashrrev_i32_e32 v158, 31, v158
	v_xor_b32_e32 v157, vcc_lo, v157
	v_add_lshl_u32 v160, v37, v128, 2
	v_and_b32_e32 v156, v156, v162
	s_delay_alu instid0(VALU_DEP_4) | instskip(NEXT) | instid1(VALU_DEP_3)
	v_xor_b32_e32 v37, s17, v158
	v_add_nc_u32_e32 v158, 0x420, v160
	s_delay_alu instid0(VALU_DEP_3) | instskip(SKIP_2) | instid1(VALU_DEP_1)
	v_and_b32_e32 v157, v156, v157
	ds_load_b32 v156, v160 offset:1056
	; wave barrier
	v_and_b32_e32 v37, v157, v37
	v_mbcnt_lo_u32_b32 v157, v37, 0
	v_cmp_ne_u32_e64 s17, 0, v37
	s_delay_alu instid0(VALU_DEP_2) | instskip(NEXT) | instid1(VALU_DEP_2)
	v_cmp_eq_u32_e32 vcc_lo, 0, v157
	s_and_b32 s18, s17, vcc_lo
	s_delay_alu instid0(SALU_CYCLE_1)
	s_and_saveexec_b32 s17, s18
	s_cbranch_execz .LBB534_1032
; %bb.1031:                             ;   in Loop: Header=BB534_990 Depth=2
	s_waitcnt lgkmcnt(0)
	v_bcnt_u32_b32 v37, v37, v156
	ds_store_b32 v158, v37
.LBB534_1032:                           ;   in Loop: Header=BB534_990 Depth=2
	s_or_b32 exec_lo, exec_lo, s17
	v_xor_b32_e32 v155, 0x7fffffff, v155
	; wave barrier
	s_delay_alu instid0(VALU_DEP_1) | instskip(NEXT) | instid1(VALU_DEP_1)
	v_lshrrev_b32_e32 v37, s57, v155
	v_and_b32_e32 v37, s39, v37
	s_delay_alu instid0(VALU_DEP_1)
	v_and_b32_e32 v160, 1, v37
	v_lshlrev_b32_e32 v161, 30, v37
	v_lshlrev_b32_e32 v162, 29, v37
	;; [unrolled: 1-line block ×4, first 2 shown]
	v_add_co_u32 v160, s17, v160, -1
	s_delay_alu instid0(VALU_DEP_1)
	v_cndmask_b32_e64 v165, 0, 1, s17
	v_not_b32_e32 v170, v161
	v_cmp_gt_i32_e64 s17, 0, v161
	v_not_b32_e32 v161, v162
	v_lshlrev_b32_e32 v168, 26, v37
	v_cmp_ne_u32_e32 vcc_lo, 0, v165
	v_ashrrev_i32_e32 v170, 31, v170
	v_lshlrev_b32_e32 v169, 25, v37
	v_ashrrev_i32_e32 v161, 31, v161
	v_lshlrev_b32_e32 v165, 24, v37
	v_xor_b32_e32 v160, vcc_lo, v160
	v_cmp_gt_i32_e32 vcc_lo, 0, v162
	v_not_b32_e32 v162, v164
	v_xor_b32_e32 v170, s17, v170
	v_cmp_gt_i32_e64 s17, 0, v164
	v_and_b32_e32 v160, exec_lo, v160
	v_not_b32_e32 v164, v166
	v_ashrrev_i32_e32 v162, 31, v162
	v_xor_b32_e32 v161, vcc_lo, v161
	v_cmp_gt_i32_e32 vcc_lo, 0, v166
	v_and_b32_e32 v160, v160, v170
	v_not_b32_e32 v166, v168
	v_ashrrev_i32_e32 v164, 31, v164
	v_xor_b32_e32 v162, s17, v162
	v_cmp_gt_i32_e64 s17, 0, v168
	v_and_b32_e32 v160, v160, v161
	v_not_b32_e32 v161, v169
	v_ashrrev_i32_e32 v166, 31, v166
	v_xor_b32_e32 v164, vcc_lo, v164
	v_cmp_gt_i32_e32 vcc_lo, 0, v169
	v_and_b32_e32 v160, v160, v162
	v_not_b32_e32 v162, v165
	v_ashrrev_i32_e32 v161, 31, v161
	v_xor_b32_e32 v166, s17, v166
	v_mul_u32_u24_e32 v37, 9, v37
	v_and_b32_e32 v160, v160, v164
	v_cmp_gt_i32_e64 s17, 0, v165
	v_ashrrev_i32_e32 v162, 31, v162
	v_xor_b32_e32 v161, vcc_lo, v161
	v_add_lshl_u32 v164, v37, v128, 2
	v_and_b32_e32 v160, v160, v166
	s_delay_alu instid0(VALU_DEP_4) | instskip(NEXT) | instid1(VALU_DEP_3)
	v_xor_b32_e32 v37, s17, v162
	v_add_nc_u32_e32 v162, 0x420, v164
	s_delay_alu instid0(VALU_DEP_3) | instskip(SKIP_2) | instid1(VALU_DEP_1)
	v_and_b32_e32 v161, v160, v161
	ds_load_b32 v160, v164 offset:1056
	; wave barrier
	v_and_b32_e32 v37, v161, v37
	v_mbcnt_lo_u32_b32 v161, v37, 0
	v_cmp_ne_u32_e64 s17, 0, v37
	s_delay_alu instid0(VALU_DEP_2) | instskip(NEXT) | instid1(VALU_DEP_2)
	v_cmp_eq_u32_e32 vcc_lo, 0, v161
	s_and_b32 s18, s17, vcc_lo
	s_delay_alu instid0(SALU_CYCLE_1)
	s_and_saveexec_b32 s17, s18
	s_cbranch_execz .LBB534_1034
; %bb.1033:                             ;   in Loop: Header=BB534_990 Depth=2
	s_waitcnt lgkmcnt(0)
	v_bcnt_u32_b32 v37, v37, v160
	ds_store_b32 v162, v37
.LBB534_1034:                           ;   in Loop: Header=BB534_990 Depth=2
	s_or_b32 exec_lo, exec_lo, s17
	v_xor_b32_e32 v159, 0x7fffffff, v159
	; wave barrier
	s_delay_alu instid0(VALU_DEP_1) | instskip(NEXT) | instid1(VALU_DEP_1)
	v_lshrrev_b32_e32 v37, s57, v159
	v_and_b32_e32 v37, s39, v37
	s_delay_alu instid0(VALU_DEP_1)
	v_and_b32_e32 v164, 1, v37
	v_lshlrev_b32_e32 v165, 30, v37
	v_lshlrev_b32_e32 v166, 29, v37
	;; [unrolled: 1-line block ×4, first 2 shown]
	v_add_co_u32 v164, s17, v164, -1
	s_delay_alu instid0(VALU_DEP_1)
	v_cndmask_b32_e64 v169, 0, 1, s17
	v_not_b32_e32 v175, v165
	v_cmp_gt_i32_e64 s17, 0, v165
	v_not_b32_e32 v165, v166
	v_lshlrev_b32_e32 v173, 26, v37
	v_cmp_ne_u32_e32 vcc_lo, 0, v169
	v_ashrrev_i32_e32 v175, 31, v175
	v_lshlrev_b32_e32 v174, 25, v37
	v_ashrrev_i32_e32 v165, 31, v165
	v_lshlrev_b32_e32 v169, 24, v37
	v_xor_b32_e32 v164, vcc_lo, v164
	v_cmp_gt_i32_e32 vcc_lo, 0, v166
	v_not_b32_e32 v166, v168
	v_xor_b32_e32 v175, s17, v175
	v_cmp_gt_i32_e64 s17, 0, v168
	v_and_b32_e32 v164, exec_lo, v164
	v_not_b32_e32 v168, v170
	v_ashrrev_i32_e32 v166, 31, v166
	v_xor_b32_e32 v165, vcc_lo, v165
	v_cmp_gt_i32_e32 vcc_lo, 0, v170
	v_and_b32_e32 v164, v164, v175
	v_not_b32_e32 v170, v173
	v_ashrrev_i32_e32 v168, 31, v168
	v_xor_b32_e32 v166, s17, v166
	v_cmp_gt_i32_e64 s17, 0, v173
	v_and_b32_e32 v164, v164, v165
	v_not_b32_e32 v165, v174
	v_ashrrev_i32_e32 v170, 31, v170
	v_xor_b32_e32 v168, vcc_lo, v168
	v_cmp_gt_i32_e32 vcc_lo, 0, v174
	v_and_b32_e32 v164, v164, v166
	v_not_b32_e32 v166, v169
	v_ashrrev_i32_e32 v165, 31, v165
	v_xor_b32_e32 v170, s17, v170
	v_mul_u32_u24_e32 v37, 9, v37
	v_and_b32_e32 v164, v164, v168
	v_cmp_gt_i32_e64 s17, 0, v169
	v_ashrrev_i32_e32 v166, 31, v166
	v_xor_b32_e32 v165, vcc_lo, v165
	v_add_lshl_u32 v168, v37, v128, 2
	v_and_b32_e32 v164, v164, v170
	s_delay_alu instid0(VALU_DEP_4) | instskip(NEXT) | instid1(VALU_DEP_3)
	v_xor_b32_e32 v37, s17, v166
	v_add_nc_u32_e32 v166, 0x420, v168
	s_delay_alu instid0(VALU_DEP_3) | instskip(SKIP_2) | instid1(VALU_DEP_1)
	v_and_b32_e32 v165, v164, v165
	ds_load_b32 v164, v168 offset:1056
	; wave barrier
	v_and_b32_e32 v37, v165, v37
	v_mbcnt_lo_u32_b32 v165, v37, 0
	v_cmp_ne_u32_e64 s17, 0, v37
	s_delay_alu instid0(VALU_DEP_2) | instskip(NEXT) | instid1(VALU_DEP_2)
	v_cmp_eq_u32_e32 vcc_lo, 0, v165
	s_and_b32 s18, s17, vcc_lo
	s_delay_alu instid0(SALU_CYCLE_1)
	s_and_saveexec_b32 s17, s18
	s_cbranch_execz .LBB534_1036
; %bb.1035:                             ;   in Loop: Header=BB534_990 Depth=2
	s_waitcnt lgkmcnt(0)
	v_bcnt_u32_b32 v37, v37, v164
	ds_store_b32 v166, v37
.LBB534_1036:                           ;   in Loop: Header=BB534_990 Depth=2
	s_or_b32 exec_lo, exec_lo, s17
	v_xor_b32_e32 v163, 0x7fffffff, v163
	; wave barrier
	s_delay_alu instid0(VALU_DEP_1) | instskip(NEXT) | instid1(VALU_DEP_1)
	v_lshrrev_b32_e32 v37, s57, v163
	v_and_b32_e32 v37, s39, v37
	s_delay_alu instid0(VALU_DEP_1)
	v_and_b32_e32 v168, 1, v37
	v_lshlrev_b32_e32 v169, 30, v37
	v_lshlrev_b32_e32 v170, 29, v37
	;; [unrolled: 1-line block ×4, first 2 shown]
	v_add_co_u32 v168, s17, v168, -1
	s_delay_alu instid0(VALU_DEP_1)
	v_cndmask_b32_e64 v174, 0, 1, s17
	v_not_b32_e32 v178, v169
	v_cmp_gt_i32_e64 s17, 0, v169
	v_not_b32_e32 v169, v170
	v_lshlrev_b32_e32 v176, 26, v37
	v_cmp_ne_u32_e32 vcc_lo, 0, v174
	v_ashrrev_i32_e32 v178, 31, v178
	v_lshlrev_b32_e32 v177, 25, v37
	v_ashrrev_i32_e32 v169, 31, v169
	v_lshlrev_b32_e32 v174, 24, v37
	v_xor_b32_e32 v168, vcc_lo, v168
	v_cmp_gt_i32_e32 vcc_lo, 0, v170
	v_not_b32_e32 v170, v173
	v_xor_b32_e32 v178, s17, v178
	v_cmp_gt_i32_e64 s17, 0, v173
	v_and_b32_e32 v168, exec_lo, v168
	v_not_b32_e32 v173, v175
	v_ashrrev_i32_e32 v170, 31, v170
	v_xor_b32_e32 v169, vcc_lo, v169
	v_cmp_gt_i32_e32 vcc_lo, 0, v175
	v_and_b32_e32 v168, v168, v178
	v_not_b32_e32 v175, v176
	v_ashrrev_i32_e32 v173, 31, v173
	v_xor_b32_e32 v170, s17, v170
	v_cmp_gt_i32_e64 s17, 0, v176
	v_and_b32_e32 v168, v168, v169
	v_not_b32_e32 v169, v177
	v_ashrrev_i32_e32 v175, 31, v175
	v_xor_b32_e32 v173, vcc_lo, v173
	v_cmp_gt_i32_e32 vcc_lo, 0, v177
	v_and_b32_e32 v168, v168, v170
	v_not_b32_e32 v170, v174
	v_ashrrev_i32_e32 v169, 31, v169
	v_xor_b32_e32 v175, s17, v175
	v_mul_u32_u24_e32 v37, 9, v37
	v_and_b32_e32 v168, v168, v173
	v_cmp_gt_i32_e64 s17, 0, v174
	v_ashrrev_i32_e32 v170, 31, v170
	v_xor_b32_e32 v169, vcc_lo, v169
	v_add_lshl_u32 v173, v37, v128, 2
	v_and_b32_e32 v168, v168, v175
	s_delay_alu instid0(VALU_DEP_4) | instskip(NEXT) | instid1(VALU_DEP_3)
	v_xor_b32_e32 v37, s17, v170
	v_add_nc_u32_e32 v170, 0x420, v173
	s_delay_alu instid0(VALU_DEP_3) | instskip(SKIP_2) | instid1(VALU_DEP_1)
	v_and_b32_e32 v169, v168, v169
	ds_load_b32 v168, v173 offset:1056
	; wave barrier
	v_and_b32_e32 v37, v169, v37
	v_mbcnt_lo_u32_b32 v169, v37, 0
	v_cmp_ne_u32_e64 s17, 0, v37
	s_delay_alu instid0(VALU_DEP_2) | instskip(NEXT) | instid1(VALU_DEP_2)
	v_cmp_eq_u32_e32 vcc_lo, 0, v169
	s_and_b32 s18, s17, vcc_lo
	s_delay_alu instid0(SALU_CYCLE_1)
	s_and_saveexec_b32 s17, s18
	s_cbranch_execz .LBB534_1038
; %bb.1037:                             ;   in Loop: Header=BB534_990 Depth=2
	s_waitcnt lgkmcnt(0)
	v_bcnt_u32_b32 v37, v37, v168
	ds_store_b32 v170, v37
.LBB534_1038:                           ;   in Loop: Header=BB534_990 Depth=2
	s_or_b32 exec_lo, exec_lo, s17
	v_xor_b32_e32 v167, 0x7fffffff, v167
	; wave barrier
	s_delay_alu instid0(VALU_DEP_1) | instskip(NEXT) | instid1(VALU_DEP_1)
	v_lshrrev_b32_e32 v37, s57, v167
	v_and_b32_e32 v37, s39, v37
	s_delay_alu instid0(VALU_DEP_1)
	v_and_b32_e32 v173, 1, v37
	v_lshlrev_b32_e32 v174, 30, v37
	v_lshlrev_b32_e32 v175, 29, v37
	;; [unrolled: 1-line block ×4, first 2 shown]
	v_add_co_u32 v173, s17, v173, -1
	s_delay_alu instid0(VALU_DEP_1)
	v_cndmask_b32_e64 v177, 0, 1, s17
	v_not_b32_e32 v181, v174
	v_cmp_gt_i32_e64 s17, 0, v174
	v_not_b32_e32 v174, v175
	v_lshlrev_b32_e32 v179, 26, v37
	v_cmp_ne_u32_e32 vcc_lo, 0, v177
	v_ashrrev_i32_e32 v181, 31, v181
	v_lshlrev_b32_e32 v180, 25, v37
	v_ashrrev_i32_e32 v174, 31, v174
	v_lshlrev_b32_e32 v177, 24, v37
	v_xor_b32_e32 v173, vcc_lo, v173
	v_cmp_gt_i32_e32 vcc_lo, 0, v175
	v_not_b32_e32 v175, v176
	v_xor_b32_e32 v181, s17, v181
	v_cmp_gt_i32_e64 s17, 0, v176
	v_and_b32_e32 v173, exec_lo, v173
	v_not_b32_e32 v176, v178
	v_ashrrev_i32_e32 v175, 31, v175
	v_xor_b32_e32 v174, vcc_lo, v174
	v_cmp_gt_i32_e32 vcc_lo, 0, v178
	v_and_b32_e32 v173, v173, v181
	v_not_b32_e32 v178, v179
	v_ashrrev_i32_e32 v176, 31, v176
	v_xor_b32_e32 v175, s17, v175
	v_cmp_gt_i32_e64 s17, 0, v179
	v_and_b32_e32 v173, v173, v174
	v_not_b32_e32 v174, v180
	v_ashrrev_i32_e32 v178, 31, v178
	v_xor_b32_e32 v176, vcc_lo, v176
	v_cmp_gt_i32_e32 vcc_lo, 0, v180
	v_and_b32_e32 v173, v173, v175
	v_not_b32_e32 v175, v177
	v_ashrrev_i32_e32 v174, 31, v174
	v_xor_b32_e32 v178, s17, v178
	v_mul_u32_u24_e32 v37, 9, v37
	v_and_b32_e32 v173, v173, v176
	v_cmp_gt_i32_e64 s17, 0, v177
	v_ashrrev_i32_e32 v175, 31, v175
	v_xor_b32_e32 v174, vcc_lo, v174
	v_add_lshl_u32 v176, v37, v128, 2
	v_and_b32_e32 v173, v173, v178
	s_delay_alu instid0(VALU_DEP_4) | instskip(NEXT) | instid1(VALU_DEP_3)
	v_xor_b32_e32 v37, s17, v175
	v_add_nc_u32_e32 v175, 0x420, v176
	s_delay_alu instid0(VALU_DEP_3) | instskip(SKIP_2) | instid1(VALU_DEP_1)
	v_and_b32_e32 v174, v173, v174
	ds_load_b32 v173, v176 offset:1056
	; wave barrier
	v_and_b32_e32 v37, v174, v37
	v_mbcnt_lo_u32_b32 v174, v37, 0
	v_cmp_ne_u32_e64 s17, 0, v37
	s_delay_alu instid0(VALU_DEP_2) | instskip(NEXT) | instid1(VALU_DEP_2)
	v_cmp_eq_u32_e32 vcc_lo, 0, v174
	s_and_b32 s18, s17, vcc_lo
	s_delay_alu instid0(SALU_CYCLE_1)
	s_and_saveexec_b32 s17, s18
	s_cbranch_execz .LBB534_1040
; %bb.1039:                             ;   in Loop: Header=BB534_990 Depth=2
	s_waitcnt lgkmcnt(0)
	v_bcnt_u32_b32 v37, v37, v173
	ds_store_b32 v175, v37
.LBB534_1040:                           ;   in Loop: Header=BB534_990 Depth=2
	s_or_b32 exec_lo, exec_lo, s17
	v_xor_b32_e32 v172, 0x7fffffff, v172
	; wave barrier
	s_delay_alu instid0(VALU_DEP_1) | instskip(NEXT) | instid1(VALU_DEP_1)
	v_lshrrev_b32_e32 v37, s57, v172
	v_and_b32_e32 v37, s39, v37
	s_delay_alu instid0(VALU_DEP_1)
	v_and_b32_e32 v176, 1, v37
	v_lshlrev_b32_e32 v177, 30, v37
	v_lshlrev_b32_e32 v178, 29, v37
	;; [unrolled: 1-line block ×4, first 2 shown]
	v_add_co_u32 v176, s17, v176, -1
	s_delay_alu instid0(VALU_DEP_1)
	v_cndmask_b32_e64 v180, 0, 1, s17
	v_not_b32_e32 v184, v177
	v_cmp_gt_i32_e64 s17, 0, v177
	v_not_b32_e32 v177, v178
	v_lshlrev_b32_e32 v182, 26, v37
	v_cmp_ne_u32_e32 vcc_lo, 0, v180
	v_ashrrev_i32_e32 v184, 31, v184
	v_lshlrev_b32_e32 v183, 25, v37
	v_ashrrev_i32_e32 v177, 31, v177
	v_lshlrev_b32_e32 v180, 24, v37
	v_xor_b32_e32 v176, vcc_lo, v176
	v_cmp_gt_i32_e32 vcc_lo, 0, v178
	v_not_b32_e32 v178, v179
	v_xor_b32_e32 v184, s17, v184
	v_cmp_gt_i32_e64 s17, 0, v179
	v_and_b32_e32 v176, exec_lo, v176
	v_not_b32_e32 v179, v181
	v_ashrrev_i32_e32 v178, 31, v178
	v_xor_b32_e32 v177, vcc_lo, v177
	v_cmp_gt_i32_e32 vcc_lo, 0, v181
	v_and_b32_e32 v176, v176, v184
	v_not_b32_e32 v181, v182
	v_ashrrev_i32_e32 v179, 31, v179
	v_xor_b32_e32 v178, s17, v178
	v_cmp_gt_i32_e64 s17, 0, v182
	v_and_b32_e32 v176, v176, v177
	v_not_b32_e32 v177, v183
	v_ashrrev_i32_e32 v181, 31, v181
	v_xor_b32_e32 v179, vcc_lo, v179
	v_cmp_gt_i32_e32 vcc_lo, 0, v183
	v_and_b32_e32 v176, v176, v178
	v_not_b32_e32 v178, v180
	v_ashrrev_i32_e32 v177, 31, v177
	v_xor_b32_e32 v181, s17, v181
	v_mul_u32_u24_e32 v37, 9, v37
	v_and_b32_e32 v176, v176, v179
	v_cmp_gt_i32_e64 s17, 0, v180
	v_ashrrev_i32_e32 v178, 31, v178
	v_xor_b32_e32 v177, vcc_lo, v177
	v_add_lshl_u32 v179, v37, v128, 2
	v_and_b32_e32 v176, v176, v181
	s_delay_alu instid0(VALU_DEP_4) | instskip(NEXT) | instid1(VALU_DEP_3)
	v_xor_b32_e32 v37, s17, v178
	v_add_nc_u32_e32 v178, 0x420, v179
	s_delay_alu instid0(VALU_DEP_3) | instskip(SKIP_2) | instid1(VALU_DEP_1)
	v_and_b32_e32 v177, v176, v177
	ds_load_b32 v176, v179 offset:1056
	; wave barrier
	v_and_b32_e32 v37, v177, v37
	v_mbcnt_lo_u32_b32 v177, v37, 0
	v_cmp_ne_u32_e64 s17, 0, v37
	s_delay_alu instid0(VALU_DEP_2) | instskip(NEXT) | instid1(VALU_DEP_2)
	v_cmp_eq_u32_e32 vcc_lo, 0, v177
	s_and_b32 s18, s17, vcc_lo
	s_delay_alu instid0(SALU_CYCLE_1)
	s_and_saveexec_b32 s17, s18
	s_cbranch_execz .LBB534_1042
; %bb.1041:                             ;   in Loop: Header=BB534_990 Depth=2
	s_waitcnt lgkmcnt(0)
	v_bcnt_u32_b32 v37, v37, v176
	ds_store_b32 v178, v37
.LBB534_1042:                           ;   in Loop: Header=BB534_990 Depth=2
	s_or_b32 exec_lo, exec_lo, s17
	v_xor_b32_e32 v171, 0x7fffffff, v171
	; wave barrier
	s_delay_alu instid0(VALU_DEP_1) | instskip(NEXT) | instid1(VALU_DEP_1)
	v_lshrrev_b32_e32 v37, s57, v171
	v_and_b32_e32 v37, s39, v37
	s_delay_alu instid0(VALU_DEP_1)
	v_and_b32_e32 v179, 1, v37
	v_lshlrev_b32_e32 v180, 30, v37
	v_lshlrev_b32_e32 v181, 29, v37
	v_lshlrev_b32_e32 v182, 28, v37
	v_lshlrev_b32_e32 v184, 27, v37
	v_add_co_u32 v179, s17, v179, -1
	s_delay_alu instid0(VALU_DEP_1)
	v_cndmask_b32_e64 v183, 0, 1, s17
	v_not_b32_e32 v187, v180
	v_cmp_gt_i32_e64 s17, 0, v180
	v_not_b32_e32 v180, v181
	v_lshlrev_b32_e32 v185, 26, v37
	v_cmp_ne_u32_e32 vcc_lo, 0, v183
	v_ashrrev_i32_e32 v187, 31, v187
	v_lshlrev_b32_e32 v186, 25, v37
	v_ashrrev_i32_e32 v180, 31, v180
	v_lshlrev_b32_e32 v183, 24, v37
	v_xor_b32_e32 v179, vcc_lo, v179
	v_cmp_gt_i32_e32 vcc_lo, 0, v181
	v_not_b32_e32 v181, v182
	v_xor_b32_e32 v187, s17, v187
	v_cmp_gt_i32_e64 s17, 0, v182
	v_and_b32_e32 v179, exec_lo, v179
	v_not_b32_e32 v182, v184
	v_ashrrev_i32_e32 v181, 31, v181
	v_xor_b32_e32 v180, vcc_lo, v180
	v_cmp_gt_i32_e32 vcc_lo, 0, v184
	v_and_b32_e32 v179, v179, v187
	v_not_b32_e32 v184, v185
	v_ashrrev_i32_e32 v182, 31, v182
	v_xor_b32_e32 v181, s17, v181
	v_cmp_gt_i32_e64 s17, 0, v185
	v_and_b32_e32 v179, v179, v180
	v_not_b32_e32 v180, v186
	v_ashrrev_i32_e32 v184, 31, v184
	v_xor_b32_e32 v182, vcc_lo, v182
	v_cmp_gt_i32_e32 vcc_lo, 0, v186
	v_and_b32_e32 v179, v179, v181
	v_not_b32_e32 v181, v183
	v_ashrrev_i32_e32 v180, 31, v180
	v_xor_b32_e32 v184, s17, v184
	v_mul_u32_u24_e32 v37, 9, v37
	v_and_b32_e32 v179, v179, v182
	v_cmp_gt_i32_e64 s17, 0, v183
	v_ashrrev_i32_e32 v181, 31, v181
	v_xor_b32_e32 v180, vcc_lo, v180
	v_add_lshl_u32 v182, v37, v128, 2
	v_and_b32_e32 v179, v179, v184
	s_delay_alu instid0(VALU_DEP_4) | instskip(NEXT) | instid1(VALU_DEP_2)
	v_xor_b32_e32 v37, s17, v181
	v_and_b32_e32 v179, v179, v180
	ds_load_b32 v180, v182 offset:1056
	v_add_nc_u32_e32 v182, 0x420, v182
	; wave barrier
	v_and_b32_e32 v37, v179, v37
	s_delay_alu instid0(VALU_DEP_1) | instskip(SKIP_1) | instid1(VALU_DEP_2)
	v_mbcnt_lo_u32_b32 v181, v37, 0
	v_cmp_ne_u32_e64 s17, 0, v37
	v_cmp_eq_u32_e32 vcc_lo, 0, v181
	s_delay_alu instid0(VALU_DEP_2) | instskip(NEXT) | instid1(SALU_CYCLE_1)
	s_and_b32 s18, s17, vcc_lo
	s_and_saveexec_b32 s17, s18
	s_cbranch_execz .LBB534_1044
; %bb.1043:                             ;   in Loop: Header=BB534_990 Depth=2
	s_waitcnt lgkmcnt(0)
	v_bcnt_u32_b32 v37, v37, v180
	ds_store_b32 v182, v37
.LBB534_1044:                           ;   in Loop: Header=BB534_990 Depth=2
	s_or_b32 exec_lo, exec_lo, s17
	v_xor_b32_e32 v179, 0x7fffffff, v43
	; wave barrier
	s_delay_alu instid0(VALU_DEP_1) | instskip(NEXT) | instid1(VALU_DEP_1)
	v_lshrrev_b32_e32 v37, s57, v179
	v_and_b32_e32 v37, s39, v37
	s_delay_alu instid0(VALU_DEP_1)
	v_and_b32_e32 v43, 1, v37
	v_lshlrev_b32_e32 v183, 30, v37
	v_lshlrev_b32_e32 v184, 29, v37
	;; [unrolled: 1-line block ×4, first 2 shown]
	v_add_co_u32 v43, s17, v43, -1
	s_delay_alu instid0(VALU_DEP_1)
	v_cndmask_b32_e64 v186, 0, 1, s17
	v_not_b32_e32 v190, v183
	v_cmp_gt_i32_e64 s17, 0, v183
	v_not_b32_e32 v183, v184
	v_lshlrev_b32_e32 v188, 26, v37
	v_cmp_ne_u32_e32 vcc_lo, 0, v186
	v_ashrrev_i32_e32 v190, 31, v190
	v_lshlrev_b32_e32 v189, 25, v37
	v_ashrrev_i32_e32 v183, 31, v183
	v_lshlrev_b32_e32 v186, 24, v37
	v_xor_b32_e32 v43, vcc_lo, v43
	v_cmp_gt_i32_e32 vcc_lo, 0, v184
	v_not_b32_e32 v184, v185
	v_xor_b32_e32 v190, s17, v190
	v_cmp_gt_i32_e64 s17, 0, v185
	v_and_b32_e32 v43, exec_lo, v43
	v_not_b32_e32 v185, v187
	v_ashrrev_i32_e32 v184, 31, v184
	v_xor_b32_e32 v183, vcc_lo, v183
	v_cmp_gt_i32_e32 vcc_lo, 0, v187
	v_and_b32_e32 v43, v43, v190
	v_not_b32_e32 v187, v188
	v_ashrrev_i32_e32 v185, 31, v185
	v_xor_b32_e32 v184, s17, v184
	v_cmp_gt_i32_e64 s17, 0, v188
	v_and_b32_e32 v43, v43, v183
	v_not_b32_e32 v183, v189
	v_ashrrev_i32_e32 v187, 31, v187
	v_xor_b32_e32 v185, vcc_lo, v185
	v_cmp_gt_i32_e32 vcc_lo, 0, v189
	v_and_b32_e32 v43, v43, v184
	v_not_b32_e32 v184, v186
	v_ashrrev_i32_e32 v183, 31, v183
	v_xor_b32_e32 v187, s17, v187
	v_mul_u32_u24_e32 v37, 9, v37
	v_and_b32_e32 v43, v43, v185
	v_cmp_gt_i32_e64 s17, 0, v186
	v_ashrrev_i32_e32 v184, 31, v184
	v_xor_b32_e32 v183, vcc_lo, v183
	v_add_lshl_u32 v186, v37, v128, 2
	v_and_b32_e32 v43, v43, v187
	s_delay_alu instid0(VALU_DEP_4) | instskip(SKIP_3) | instid1(VALU_DEP_2)
	v_xor_b32_e32 v37, s17, v184
	ds_load_b32 v184, v186 offset:1056
	v_and_b32_e32 v43, v43, v183
	v_add_nc_u32_e32 v186, 0x420, v186
	; wave barrier
	v_and_b32_e32 v37, v43, v37
	s_delay_alu instid0(VALU_DEP_1) | instskip(SKIP_1) | instid1(VALU_DEP_2)
	v_mbcnt_lo_u32_b32 v185, v37, 0
	v_cmp_ne_u32_e64 s17, 0, v37
	v_cmp_eq_u32_e32 vcc_lo, 0, v185
	s_delay_alu instid0(VALU_DEP_2) | instskip(NEXT) | instid1(SALU_CYCLE_1)
	s_and_b32 s18, s17, vcc_lo
	s_and_saveexec_b32 s17, s18
	s_cbranch_execz .LBB534_1046
; %bb.1045:                             ;   in Loop: Header=BB534_990 Depth=2
	s_waitcnt lgkmcnt(0)
	v_bcnt_u32_b32 v37, v37, v184
	ds_store_b32 v186, v37
.LBB534_1046:                           ;   in Loop: Header=BB534_990 Depth=2
	s_or_b32 exec_lo, exec_lo, s17
	v_xor_b32_e32 v183, 0x7fffffff, v42
	; wave barrier
	s_delay_alu instid0(VALU_DEP_1) | instskip(NEXT) | instid1(VALU_DEP_1)
	v_lshrrev_b32_e32 v37, s57, v183
	v_and_b32_e32 v37, s39, v37
	s_delay_alu instid0(VALU_DEP_1)
	v_and_b32_e32 v42, 1, v37
	v_lshlrev_b32_e32 v43, 30, v37
	v_lshlrev_b32_e32 v187, 29, v37
	;; [unrolled: 1-line block ×4, first 2 shown]
	v_add_co_u32 v42, s17, v42, -1
	s_delay_alu instid0(VALU_DEP_1)
	v_cndmask_b32_e64 v189, 0, 1, s17
	v_not_b32_e32 v193, v43
	v_cmp_gt_i32_e64 s17, 0, v43
	v_not_b32_e32 v43, v187
	v_lshlrev_b32_e32 v191, 26, v37
	v_cmp_ne_u32_e32 vcc_lo, 0, v189
	v_ashrrev_i32_e32 v193, 31, v193
	v_lshlrev_b32_e32 v192, 25, v37
	v_ashrrev_i32_e32 v43, 31, v43
	v_lshlrev_b32_e32 v189, 24, v37
	v_xor_b32_e32 v42, vcc_lo, v42
	v_cmp_gt_i32_e32 vcc_lo, 0, v187
	v_not_b32_e32 v187, v188
	v_xor_b32_e32 v193, s17, v193
	v_cmp_gt_i32_e64 s17, 0, v188
	v_and_b32_e32 v42, exec_lo, v42
	v_not_b32_e32 v188, v190
	v_ashrrev_i32_e32 v187, 31, v187
	v_xor_b32_e32 v43, vcc_lo, v43
	v_cmp_gt_i32_e32 vcc_lo, 0, v190
	v_and_b32_e32 v42, v42, v193
	v_not_b32_e32 v190, v191
	v_ashrrev_i32_e32 v188, 31, v188
	v_xor_b32_e32 v187, s17, v187
	v_cmp_gt_i32_e64 s17, 0, v191
	v_and_b32_e32 v42, v42, v43
	v_not_b32_e32 v43, v192
	v_ashrrev_i32_e32 v190, 31, v190
	v_xor_b32_e32 v188, vcc_lo, v188
	v_cmp_gt_i32_e32 vcc_lo, 0, v192
	v_and_b32_e32 v42, v42, v187
	v_not_b32_e32 v187, v189
	v_ashrrev_i32_e32 v43, 31, v43
	v_xor_b32_e32 v190, s17, v190
	v_mul_u32_u24_e32 v37, 9, v37
	v_and_b32_e32 v42, v42, v188
	v_cmp_gt_i32_e64 s17, 0, v189
	v_ashrrev_i32_e32 v187, 31, v187
	v_xor_b32_e32 v43, vcc_lo, v43
	v_add_lshl_u32 v188, v37, v128, 2
	v_and_b32_e32 v42, v42, v190
	s_delay_alu instid0(VALU_DEP_4) | instskip(SKIP_3) | instid1(VALU_DEP_2)
	v_xor_b32_e32 v37, s17, v187
	ds_load_b32 v189, v188 offset:1056
	v_and_b32_e32 v42, v42, v43
	v_add_nc_u32_e32 v191, 0x420, v188
	; wave barrier
	v_and_b32_e32 v37, v42, v37
	s_delay_alu instid0(VALU_DEP_1) | instskip(SKIP_1) | instid1(VALU_DEP_2)
	v_mbcnt_lo_u32_b32 v190, v37, 0
	v_cmp_ne_u32_e64 s17, 0, v37
	v_cmp_eq_u32_e32 vcc_lo, 0, v190
	s_delay_alu instid0(VALU_DEP_2) | instskip(NEXT) | instid1(SALU_CYCLE_1)
	s_and_b32 s18, s17, vcc_lo
	s_and_saveexec_b32 s17, s18
	s_cbranch_execz .LBB534_1048
; %bb.1047:                             ;   in Loop: Header=BB534_990 Depth=2
	s_waitcnt lgkmcnt(0)
	v_bcnt_u32_b32 v37, v37, v189
	ds_store_b32 v191, v37
.LBB534_1048:                           ;   in Loop: Header=BB534_990 Depth=2
	s_or_b32 exec_lo, exec_lo, s17
	v_xor_b32_e32 v187, 0x7fffffff, v41
	; wave barrier
	s_delay_alu instid0(VALU_DEP_1) | instskip(NEXT) | instid1(VALU_DEP_1)
	v_lshrrev_b32_e32 v37, s57, v187
	v_and_b32_e32 v37, s39, v37
	s_delay_alu instid0(VALU_DEP_1)
	v_and_b32_e32 v41, 1, v37
	v_lshlrev_b32_e32 v42, 30, v37
	v_lshlrev_b32_e32 v43, 29, v37
	;; [unrolled: 1-line block ×4, first 2 shown]
	v_add_co_u32 v41, s17, v41, -1
	s_delay_alu instid0(VALU_DEP_1)
	v_cndmask_b32_e64 v192, 0, 1, s17
	v_not_b32_e32 v196, v42
	v_cmp_gt_i32_e64 s17, 0, v42
	v_not_b32_e32 v42, v43
	v_lshlrev_b32_e32 v194, 26, v37
	v_cmp_ne_u32_e32 vcc_lo, 0, v192
	v_ashrrev_i32_e32 v196, 31, v196
	v_lshlrev_b32_e32 v195, 25, v37
	v_ashrrev_i32_e32 v42, 31, v42
	v_lshlrev_b32_e32 v192, 24, v37
	v_xor_b32_e32 v41, vcc_lo, v41
	v_cmp_gt_i32_e32 vcc_lo, 0, v43
	v_not_b32_e32 v43, v188
	v_xor_b32_e32 v196, s17, v196
	v_cmp_gt_i32_e64 s17, 0, v188
	v_and_b32_e32 v41, exec_lo, v41
	v_not_b32_e32 v188, v193
	v_ashrrev_i32_e32 v43, 31, v43
	v_xor_b32_e32 v42, vcc_lo, v42
	v_cmp_gt_i32_e32 vcc_lo, 0, v193
	v_and_b32_e32 v41, v41, v196
	v_not_b32_e32 v193, v194
	v_ashrrev_i32_e32 v188, 31, v188
	v_xor_b32_e32 v43, s17, v43
	v_cmp_gt_i32_e64 s17, 0, v194
	v_and_b32_e32 v41, v41, v42
	v_not_b32_e32 v42, v195
	v_ashrrev_i32_e32 v193, 31, v193
	v_xor_b32_e32 v188, vcc_lo, v188
	v_cmp_gt_i32_e32 vcc_lo, 0, v195
	v_and_b32_e32 v41, v41, v43
	v_not_b32_e32 v43, v192
	v_ashrrev_i32_e32 v42, 31, v42
	v_xor_b32_e32 v193, s17, v193
	v_mul_u32_u24_e32 v37, 9, v37
	v_and_b32_e32 v41, v41, v188
	v_cmp_gt_i32_e64 s17, 0, v192
	v_ashrrev_i32_e32 v43, 31, v43
	v_xor_b32_e32 v42, vcc_lo, v42
	v_add_lshl_u32 v188, v37, v128, 2
	v_and_b32_e32 v41, v41, v193
	s_delay_alu instid0(VALU_DEP_4) | instskip(SKIP_3) | instid1(VALU_DEP_2)
	v_xor_b32_e32 v37, s17, v43
	ds_load_b32 v193, v188 offset:1056
	v_and_b32_e32 v41, v41, v42
	v_add_nc_u32_e32 v195, 0x420, v188
	; wave barrier
	v_and_b32_e32 v37, v41, v37
	s_delay_alu instid0(VALU_DEP_1) | instskip(SKIP_1) | instid1(VALU_DEP_2)
	v_mbcnt_lo_u32_b32 v194, v37, 0
	v_cmp_ne_u32_e64 s17, 0, v37
	v_cmp_eq_u32_e32 vcc_lo, 0, v194
	s_delay_alu instid0(VALU_DEP_2) | instskip(NEXT) | instid1(SALU_CYCLE_1)
	s_and_b32 s18, s17, vcc_lo
	s_and_saveexec_b32 s17, s18
	s_cbranch_execz .LBB534_1050
; %bb.1049:                             ;   in Loop: Header=BB534_990 Depth=2
	s_waitcnt lgkmcnt(0)
	v_bcnt_u32_b32 v37, v37, v193
	ds_store_b32 v195, v37
.LBB534_1050:                           ;   in Loop: Header=BB534_990 Depth=2
	s_or_b32 exec_lo, exec_lo, s17
	v_xor_b32_e32 v192, 0x7fffffff, v40
	; wave barrier
	s_delay_alu instid0(VALU_DEP_1) | instskip(NEXT) | instid1(VALU_DEP_1)
	v_lshrrev_b32_e32 v37, s57, v192
	v_and_b32_e32 v37, s39, v37
	s_delay_alu instid0(VALU_DEP_1)
	v_and_b32_e32 v40, 1, v37
	v_lshlrev_b32_e32 v41, 30, v37
	v_lshlrev_b32_e32 v42, 29, v37
	;; [unrolled: 1-line block ×4, first 2 shown]
	v_add_co_u32 v40, s17, v40, -1
	s_delay_alu instid0(VALU_DEP_1)
	v_cndmask_b32_e64 v188, 0, 1, s17
	v_not_b32_e32 v199, v41
	v_cmp_gt_i32_e64 s17, 0, v41
	v_not_b32_e32 v41, v42
	v_lshlrev_b32_e32 v197, 26, v37
	v_cmp_ne_u32_e32 vcc_lo, 0, v188
	v_ashrrev_i32_e32 v199, 31, v199
	v_lshlrev_b32_e32 v198, 25, v37
	v_ashrrev_i32_e32 v41, 31, v41
	v_lshlrev_b32_e32 v188, 24, v37
	v_xor_b32_e32 v40, vcc_lo, v40
	v_cmp_gt_i32_e32 vcc_lo, 0, v42
	v_not_b32_e32 v42, v43
	v_xor_b32_e32 v199, s17, v199
	v_cmp_gt_i32_e64 s17, 0, v43
	v_and_b32_e32 v40, exec_lo, v40
	v_not_b32_e32 v43, v196
	v_ashrrev_i32_e32 v42, 31, v42
	v_xor_b32_e32 v41, vcc_lo, v41
	v_cmp_gt_i32_e32 vcc_lo, 0, v196
	v_and_b32_e32 v40, v40, v199
	v_not_b32_e32 v196, v197
	v_ashrrev_i32_e32 v43, 31, v43
	v_xor_b32_e32 v42, s17, v42
	v_cmp_gt_i32_e64 s17, 0, v197
	v_and_b32_e32 v40, v40, v41
	v_not_b32_e32 v41, v198
	v_ashrrev_i32_e32 v196, 31, v196
	v_xor_b32_e32 v43, vcc_lo, v43
	v_cmp_gt_i32_e32 vcc_lo, 0, v198
	v_and_b32_e32 v40, v40, v42
	v_not_b32_e32 v42, v188
	v_ashrrev_i32_e32 v41, 31, v41
	v_xor_b32_e32 v196, s17, v196
	v_mul_u32_u24_e32 v37, 9, v37
	v_and_b32_e32 v40, v40, v43
	v_cmp_gt_i32_e64 s17, 0, v188
	v_ashrrev_i32_e32 v42, 31, v42
	v_xor_b32_e32 v41, vcc_lo, v41
	v_add_lshl_u32 v43, v37, v128, 2
	v_and_b32_e32 v40, v40, v196
	s_delay_alu instid0(VALU_DEP_4) | instskip(SKIP_3) | instid1(VALU_DEP_2)
	v_xor_b32_e32 v37, s17, v42
	ds_load_b32 v197, v43 offset:1056
	v_and_b32_e32 v40, v40, v41
	v_add_nc_u32_e32 v199, 0x420, v43
	; wave barrier
	v_and_b32_e32 v37, v40, v37
	s_delay_alu instid0(VALU_DEP_1) | instskip(SKIP_1) | instid1(VALU_DEP_2)
	v_mbcnt_lo_u32_b32 v198, v37, 0
	v_cmp_ne_u32_e64 s17, 0, v37
	v_cmp_eq_u32_e32 vcc_lo, 0, v198
	s_delay_alu instid0(VALU_DEP_2) | instskip(NEXT) | instid1(SALU_CYCLE_1)
	s_and_b32 s18, s17, vcc_lo
	s_and_saveexec_b32 s17, s18
	s_cbranch_execz .LBB534_1052
; %bb.1051:                             ;   in Loop: Header=BB534_990 Depth=2
	s_waitcnt lgkmcnt(0)
	v_bcnt_u32_b32 v37, v37, v197
	ds_store_b32 v199, v37
.LBB534_1052:                           ;   in Loop: Header=BB534_990 Depth=2
	s_or_b32 exec_lo, exec_lo, s17
	v_xor_b32_e32 v196, 0x7fffffff, v39
	; wave barrier
	s_delay_alu instid0(VALU_DEP_1) | instskip(NEXT) | instid1(VALU_DEP_1)
	v_lshrrev_b32_e32 v37, s57, v196
	v_and_b32_e32 v37, s39, v37
	s_delay_alu instid0(VALU_DEP_1)
	v_and_b32_e32 v39, 1, v37
	v_lshlrev_b32_e32 v40, 30, v37
	v_lshlrev_b32_e32 v41, 29, v37
	;; [unrolled: 1-line block ×4, first 2 shown]
	v_add_co_u32 v39, s17, v39, -1
	s_delay_alu instid0(VALU_DEP_1)
	v_cndmask_b32_e64 v43, 0, 1, s17
	v_not_b32_e32 v202, v40
	v_cmp_gt_i32_e64 s17, 0, v40
	v_not_b32_e32 v40, v41
	v_lshlrev_b32_e32 v200, 26, v37
	v_cmp_ne_u32_e32 vcc_lo, 0, v43
	v_ashrrev_i32_e32 v202, 31, v202
	v_lshlrev_b32_e32 v201, 25, v37
	v_ashrrev_i32_e32 v40, 31, v40
	v_lshlrev_b32_e32 v43, 24, v37
	v_xor_b32_e32 v39, vcc_lo, v39
	v_cmp_gt_i32_e32 vcc_lo, 0, v41
	v_not_b32_e32 v41, v42
	v_xor_b32_e32 v202, s17, v202
	v_cmp_gt_i32_e64 s17, 0, v42
	v_and_b32_e32 v39, exec_lo, v39
	v_not_b32_e32 v42, v188
	v_ashrrev_i32_e32 v41, 31, v41
	v_xor_b32_e32 v40, vcc_lo, v40
	v_cmp_gt_i32_e32 vcc_lo, 0, v188
	v_and_b32_e32 v39, v39, v202
	v_not_b32_e32 v188, v200
	v_ashrrev_i32_e32 v42, 31, v42
	v_xor_b32_e32 v41, s17, v41
	v_cmp_gt_i32_e64 s17, 0, v200
	v_and_b32_e32 v39, v39, v40
	v_not_b32_e32 v40, v201
	v_ashrrev_i32_e32 v188, 31, v188
	v_xor_b32_e32 v42, vcc_lo, v42
	v_cmp_gt_i32_e32 vcc_lo, 0, v201
	v_and_b32_e32 v39, v39, v41
	v_not_b32_e32 v41, v43
	v_ashrrev_i32_e32 v40, 31, v40
	v_xor_b32_e32 v188, s17, v188
	v_mul_u32_u24_e32 v37, 9, v37
	v_and_b32_e32 v39, v39, v42
	v_cmp_gt_i32_e64 s17, 0, v43
	v_ashrrev_i32_e32 v41, 31, v41
	v_xor_b32_e32 v40, vcc_lo, v40
	v_add_lshl_u32 v42, v37, v128, 2
	v_and_b32_e32 v39, v39, v188
	s_delay_alu instid0(VALU_DEP_4) | instskip(SKIP_3) | instid1(VALU_DEP_2)
	v_xor_b32_e32 v37, s17, v41
	ds_load_b32 v201, v42 offset:1056
	v_and_b32_e32 v39, v39, v40
	v_add_nc_u32_e32 v203, 0x420, v42
	; wave barrier
	v_and_b32_e32 v37, v39, v37
	s_delay_alu instid0(VALU_DEP_1) | instskip(SKIP_1) | instid1(VALU_DEP_2)
	v_mbcnt_lo_u32_b32 v202, v37, 0
	v_cmp_ne_u32_e64 s17, 0, v37
	v_cmp_eq_u32_e32 vcc_lo, 0, v202
	s_delay_alu instid0(VALU_DEP_2) | instskip(NEXT) | instid1(SALU_CYCLE_1)
	s_and_b32 s18, s17, vcc_lo
	s_and_saveexec_b32 s17, s18
	s_cbranch_execz .LBB534_1054
; %bb.1053:                             ;   in Loop: Header=BB534_990 Depth=2
	s_waitcnt lgkmcnt(0)
	v_bcnt_u32_b32 v37, v37, v201
	ds_store_b32 v203, v37
.LBB534_1054:                           ;   in Loop: Header=BB534_990 Depth=2
	s_or_b32 exec_lo, exec_lo, s17
	v_xor_b32_e32 v200, 0x7fffffff, v38
	; wave barrier
	s_delay_alu instid0(VALU_DEP_1) | instskip(NEXT) | instid1(VALU_DEP_1)
	v_lshrrev_b32_e32 v37, s57, v200
	v_and_b32_e32 v37, s39, v37
	s_delay_alu instid0(VALU_DEP_1)
	v_and_b32_e32 v38, 1, v37
	v_lshlrev_b32_e32 v39, 30, v37
	v_lshlrev_b32_e32 v40, 29, v37
	;; [unrolled: 1-line block ×4, first 2 shown]
	v_add_co_u32 v38, s17, v38, -1
	s_delay_alu instid0(VALU_DEP_1)
	v_cndmask_b32_e64 v42, 0, 1, s17
	v_not_b32_e32 v205, v39
	v_cmp_gt_i32_e64 s17, 0, v39
	v_not_b32_e32 v39, v40
	v_lshlrev_b32_e32 v188, 26, v37
	v_cmp_ne_u32_e32 vcc_lo, 0, v42
	v_ashrrev_i32_e32 v205, 31, v205
	v_lshlrev_b32_e32 v204, 25, v37
	v_ashrrev_i32_e32 v39, 31, v39
	v_lshlrev_b32_e32 v42, 24, v37
	v_xor_b32_e32 v38, vcc_lo, v38
	v_cmp_gt_i32_e32 vcc_lo, 0, v40
	v_not_b32_e32 v40, v41
	v_xor_b32_e32 v205, s17, v205
	v_cmp_gt_i32_e64 s17, 0, v41
	v_and_b32_e32 v38, exec_lo, v38
	v_not_b32_e32 v41, v43
	v_ashrrev_i32_e32 v40, 31, v40
	v_xor_b32_e32 v39, vcc_lo, v39
	v_cmp_gt_i32_e32 vcc_lo, 0, v43
	v_and_b32_e32 v38, v38, v205
	v_not_b32_e32 v43, v188
	v_ashrrev_i32_e32 v41, 31, v41
	v_xor_b32_e32 v40, s17, v40
	v_cmp_gt_i32_e64 s17, 0, v188
	v_and_b32_e32 v38, v38, v39
	v_not_b32_e32 v39, v204
	v_ashrrev_i32_e32 v43, 31, v43
	v_xor_b32_e32 v41, vcc_lo, v41
	v_cmp_gt_i32_e32 vcc_lo, 0, v204
	v_and_b32_e32 v38, v38, v40
	v_not_b32_e32 v40, v42
	v_ashrrev_i32_e32 v39, 31, v39
	v_xor_b32_e32 v43, s17, v43
	v_mul_u32_u24_e32 v37, 9, v37
	v_and_b32_e32 v38, v38, v41
	v_cmp_gt_i32_e64 s17, 0, v42
	v_ashrrev_i32_e32 v40, 31, v40
	v_xor_b32_e32 v39, vcc_lo, v39
	v_add_lshl_u32 v41, v37, v128, 2
	v_and_b32_e32 v38, v38, v43
	s_delay_alu instid0(VALU_DEP_4) | instskip(SKIP_3) | instid1(VALU_DEP_2)
	v_xor_b32_e32 v37, s17, v40
	ds_load_b32 v205, v41 offset:1056
	v_and_b32_e32 v38, v38, v39
	v_add_nc_u32_e32 v207, 0x420, v41
	; wave barrier
	v_and_b32_e32 v37, v38, v37
	s_delay_alu instid0(VALU_DEP_1) | instskip(SKIP_1) | instid1(VALU_DEP_2)
	v_mbcnt_lo_u32_b32 v206, v37, 0
	v_cmp_ne_u32_e64 s17, 0, v37
	v_cmp_eq_u32_e32 vcc_lo, 0, v206
	s_delay_alu instid0(VALU_DEP_2) | instskip(NEXT) | instid1(SALU_CYCLE_1)
	s_and_b32 s18, s17, vcc_lo
	s_and_saveexec_b32 s17, s18
	s_cbranch_execz .LBB534_1056
; %bb.1055:                             ;   in Loop: Header=BB534_990 Depth=2
	s_waitcnt lgkmcnt(0)
	v_bcnt_u32_b32 v37, v37, v205
	ds_store_b32 v207, v37
.LBB534_1056:                           ;   in Loop: Header=BB534_990 Depth=2
	s_or_b32 exec_lo, exec_lo, s17
	v_xor_b32_e32 v204, 0x7fffffff, v36
	; wave barrier
	s_delay_alu instid0(VALU_DEP_1) | instskip(NEXT) | instid1(VALU_DEP_1)
	v_lshrrev_b32_e32 v36, s57, v204
	v_and_b32_e32 v36, s39, v36
	s_delay_alu instid0(VALU_DEP_1)
	v_and_b32_e32 v37, 1, v36
	v_lshlrev_b32_e32 v38, 30, v36
	v_lshlrev_b32_e32 v39, 29, v36
	;; [unrolled: 1-line block ×4, first 2 shown]
	v_add_co_u32 v37, s17, v37, -1
	s_delay_alu instid0(VALU_DEP_1)
	v_cndmask_b32_e64 v41, 0, 1, s17
	v_not_b32_e32 v208, v38
	v_cmp_gt_i32_e64 s17, 0, v38
	v_not_b32_e32 v38, v39
	v_lshlrev_b32_e32 v43, 26, v36
	v_cmp_ne_u32_e32 vcc_lo, 0, v41
	v_ashrrev_i32_e32 v208, 31, v208
	v_lshlrev_b32_e32 v188, 25, v36
	v_ashrrev_i32_e32 v38, 31, v38
	v_lshlrev_b32_e32 v41, 24, v36
	v_xor_b32_e32 v37, vcc_lo, v37
	v_cmp_gt_i32_e32 vcc_lo, 0, v39
	v_not_b32_e32 v39, v40
	v_xor_b32_e32 v208, s17, v208
	v_cmp_gt_i32_e64 s17, 0, v40
	v_and_b32_e32 v37, exec_lo, v37
	v_not_b32_e32 v40, v42
	v_ashrrev_i32_e32 v39, 31, v39
	v_xor_b32_e32 v38, vcc_lo, v38
	v_cmp_gt_i32_e32 vcc_lo, 0, v42
	v_and_b32_e32 v37, v37, v208
	v_not_b32_e32 v42, v43
	v_ashrrev_i32_e32 v40, 31, v40
	v_xor_b32_e32 v39, s17, v39
	v_cmp_gt_i32_e64 s17, 0, v43
	v_and_b32_e32 v37, v37, v38
	v_not_b32_e32 v38, v188
	v_ashrrev_i32_e32 v42, 31, v42
	v_xor_b32_e32 v40, vcc_lo, v40
	v_cmp_gt_i32_e32 vcc_lo, 0, v188
	v_and_b32_e32 v37, v37, v39
	v_not_b32_e32 v39, v41
	v_ashrrev_i32_e32 v38, 31, v38
	v_xor_b32_e32 v42, s17, v42
	v_mul_u32_u24_e32 v36, 9, v36
	v_and_b32_e32 v37, v37, v40
	v_cmp_gt_i32_e64 s17, 0, v41
	v_ashrrev_i32_e32 v39, 31, v39
	v_xor_b32_e32 v38, vcc_lo, v38
	v_add_lshl_u32 v40, v36, v128, 2
	v_and_b32_e32 v37, v37, v42
	s_delay_alu instid0(VALU_DEP_4) | instskip(SKIP_3) | instid1(VALU_DEP_2)
	v_xor_b32_e32 v36, s17, v39
	ds_load_b32 v208, v40 offset:1056
	v_and_b32_e32 v37, v37, v38
	v_add_nc_u32_e32 v210, 0x420, v40
	; wave barrier
	v_and_b32_e32 v36, v37, v36
	s_delay_alu instid0(VALU_DEP_1) | instskip(SKIP_1) | instid1(VALU_DEP_2)
	v_mbcnt_lo_u32_b32 v209, v36, 0
	v_cmp_ne_u32_e64 s17, 0, v36
	v_cmp_eq_u32_e32 vcc_lo, 0, v209
	s_delay_alu instid0(VALU_DEP_2) | instskip(NEXT) | instid1(SALU_CYCLE_1)
	s_and_b32 s18, s17, vcc_lo
	s_and_saveexec_b32 s17, s18
	s_cbranch_execz .LBB534_1058
; %bb.1057:                             ;   in Loop: Header=BB534_990 Depth=2
	s_waitcnt lgkmcnt(0)
	v_bcnt_u32_b32 v36, v36, v208
	ds_store_b32 v210, v36
.LBB534_1058:                           ;   in Loop: Header=BB534_990 Depth=2
	s_or_b32 exec_lo, exec_lo, s17
	; wave barrier
	s_waitcnt lgkmcnt(0)
	s_barrier
	buffer_gl0_inv
	ds_load_b32 v211, v70 offset:1056
	ds_load_2addr_b32 v[42:43], v71 offset0:1 offset1:2
	ds_load_2addr_b32 v[40:41], v71 offset0:3 offset1:4
	;; [unrolled: 1-line block ×4, first 2 shown]
	s_waitcnt lgkmcnt(3)
	v_add3_u32 v188, v42, v211, v43
	s_waitcnt lgkmcnt(2)
	s_delay_alu instid0(VALU_DEP_1) | instskip(SKIP_1) | instid1(VALU_DEP_1)
	v_add3_u32 v188, v188, v40, v41
	s_waitcnt lgkmcnt(1)
	v_add3_u32 v188, v188, v36, v37
	s_waitcnt lgkmcnt(0)
	s_delay_alu instid0(VALU_DEP_1) | instskip(NEXT) | instid1(VALU_DEP_1)
	v_add3_u32 v39, v188, v38, v39
	v_mov_b32_dpp v188, v39 row_shr:1 row_mask:0xf bank_mask:0xf
	s_delay_alu instid0(VALU_DEP_1) | instskip(NEXT) | instid1(VALU_DEP_1)
	v_cndmask_b32_e64 v188, v188, 0, s0
	v_add_nc_u32_e32 v39, v188, v39
	s_delay_alu instid0(VALU_DEP_1) | instskip(NEXT) | instid1(VALU_DEP_1)
	v_mov_b32_dpp v188, v39 row_shr:2 row_mask:0xf bank_mask:0xf
	v_cndmask_b32_e64 v188, 0, v188, s1
	s_delay_alu instid0(VALU_DEP_1) | instskip(NEXT) | instid1(VALU_DEP_1)
	v_add_nc_u32_e32 v39, v39, v188
	v_mov_b32_dpp v188, v39 row_shr:4 row_mask:0xf bank_mask:0xf
	s_delay_alu instid0(VALU_DEP_1) | instskip(NEXT) | instid1(VALU_DEP_1)
	v_cndmask_b32_e64 v188, 0, v188, s8
	v_add_nc_u32_e32 v39, v39, v188
	s_delay_alu instid0(VALU_DEP_1) | instskip(NEXT) | instid1(VALU_DEP_1)
	v_mov_b32_dpp v188, v39 row_shr:8 row_mask:0xf bank_mask:0xf
	v_cndmask_b32_e64 v188, 0, v188, s9
	s_delay_alu instid0(VALU_DEP_1) | instskip(SKIP_3) | instid1(VALU_DEP_1)
	v_add_nc_u32_e32 v39, v39, v188
	ds_swizzle_b32 v188, v39 offset:swizzle(BROADCAST,32,15)
	s_waitcnt lgkmcnt(0)
	v_cndmask_b32_e64 v188, v188, 0, s10
	v_add_nc_u32_e32 v39, v39, v188
	s_and_saveexec_b32 s17, s3
	s_cbranch_execz .LBB534_1060
; %bb.1059:                             ;   in Loop: Header=BB534_990 Depth=2
	ds_store_b32 v62, v39 offset:1024
.LBB534_1060:                           ;   in Loop: Header=BB534_990 Depth=2
	s_or_b32 exec_lo, exec_lo, s17
	v_add_nc_u32_e32 v188, v70, v72
	s_waitcnt lgkmcnt(0)
	s_barrier
	buffer_gl0_inv
	s_and_saveexec_b32 s17, s4
	s_cbranch_execz .LBB534_1062
; %bb.1061:                             ;   in Loop: Header=BB534_990 Depth=2
	ds_load_b32 v212, v188 offset:1024
	s_waitcnt lgkmcnt(0)
	v_mov_b32_dpp v213, v212 row_shr:1 row_mask:0xf bank_mask:0xf
	s_delay_alu instid0(VALU_DEP_1) | instskip(NEXT) | instid1(VALU_DEP_1)
	v_cndmask_b32_e64 v213, v213, 0, s12
	v_add_nc_u32_e32 v212, v213, v212
	s_delay_alu instid0(VALU_DEP_1) | instskip(NEXT) | instid1(VALU_DEP_1)
	v_mov_b32_dpp v213, v212 row_shr:2 row_mask:0xf bank_mask:0xf
	v_cndmask_b32_e64 v213, 0, v213, s13
	s_delay_alu instid0(VALU_DEP_1) | instskip(NEXT) | instid1(VALU_DEP_1)
	v_add_nc_u32_e32 v212, v212, v213
	v_mov_b32_dpp v213, v212 row_shr:4 row_mask:0xf bank_mask:0xf
	s_delay_alu instid0(VALU_DEP_1) | instskip(NEXT) | instid1(VALU_DEP_1)
	v_cndmask_b32_e64 v213, 0, v213, s16
	v_add_nc_u32_e32 v212, v212, v213
	ds_store_b32 v188, v212 offset:1024
.LBB534_1062:                           ;   in Loop: Header=BB534_990 Depth=2
	s_or_b32 exec_lo, exec_lo, s17
	v_mov_b32_e32 v212, 0
	s_waitcnt lgkmcnt(0)
	s_barrier
	buffer_gl0_inv
	s_and_saveexec_b32 s17, s5
	s_cbranch_execz .LBB534_1064
; %bb.1063:                             ;   in Loop: Header=BB534_990 Depth=2
	ds_load_b32 v212, v62 offset:1020
.LBB534_1064:                           ;   in Loop: Header=BB534_990 Depth=2
	s_or_b32 exec_lo, exec_lo, s17
	s_waitcnt lgkmcnt(0)
	v_add_nc_u32_e32 v39, v212, v39
	ds_bpermute_b32 v39, v107, v39
	s_waitcnt lgkmcnt(0)
	v_cndmask_b32_e64 v39, v39, v212, s11
	s_delay_alu instid0(VALU_DEP_1) | instskip(NEXT) | instid1(VALU_DEP_1)
	v_cndmask_b32_e64 v39, v39, 0, s6
	v_add_nc_u32_e32 v211, v39, v211
	s_delay_alu instid0(VALU_DEP_1) | instskip(NEXT) | instid1(VALU_DEP_1)
	v_add_nc_u32_e32 v42, v211, v42
	v_add_nc_u32_e32 v43, v42, v43
	s_delay_alu instid0(VALU_DEP_1) | instskip(NEXT) | instid1(VALU_DEP_1)
	v_add_nc_u32_e32 v40, v43, v40
	;; [unrolled: 3-line block ×3, first 2 shown]
	v_add_nc_u32_e32 v37, v36, v37
	s_delay_alu instid0(VALU_DEP_1)
	v_add_nc_u32_e32 v38, v37, v38
	ds_store_b32 v70, v39 offset:1056
	ds_store_2addr_b32 v71, v211, v42 offset0:1 offset1:2
	ds_store_2addr_b32 v71, v43, v40 offset0:3 offset1:4
	;; [unrolled: 1-line block ×4, first 2 shown]
	v_mov_b32_e32 v38, 0x1000
	s_waitcnt lgkmcnt(0)
	s_barrier
	buffer_gl0_inv
	ds_load_b32 v39, v154
	ds_load_b32 v40, v158
	;; [unrolled: 1-line block ×16, first 2 shown]
	ds_load_b32 v158, v70 offset:1056
	s_and_saveexec_b32 s17, s7
	s_cbranch_execz .LBB534_1066
; %bb.1065:                             ;   in Loop: Header=BB534_990 Depth=2
	ds_load_b32 v38, v73 offset:1056
.LBB534_1066:                           ;   in Loop: Header=BB534_990 Depth=2
	s_or_b32 exec_lo, exec_lo, s17
	s_waitcnt lgkmcnt(0)
	s_barrier
	buffer_gl0_inv
	s_and_saveexec_b32 s17, s2
	s_cbranch_execz .LBB534_1068
; %bb.1067:                             ;   in Loop: Header=BB534_990 Depth=2
	ds_load_b32 v162, v44
	s_waitcnt lgkmcnt(0)
	v_sub_nc_u32_e32 v158, v162, v158
	ds_store_b32 v44, v158
.LBB534_1068:                           ;   in Loop: Header=BB534_990 Depth=2
	s_or_b32 exec_lo, exec_lo, s17
	v_add_nc_u32_e32 v170, v150, v149
	v_add3_u32 v166, v153, v152, v39
	v_add3_u32 v162, v157, v156, v40
	;; [unrolled: 1-line block ×5, first 2 shown]
	v_lshlrev_b32_e32 v160, 2, v170
	v_add3_u32 v43, v202, v201, v36
	v_lshlrev_b32_e32 v36, 2, v166
	v_add3_u32 v154, v174, v173, v175
	v_add3_u32 v153, v177, v176, v178
	ds_store_b32 v160, v2 offset:1024
	v_lshlrev_b32_e32 v2, 2, v162
	ds_store_b32 v36, v148 offset:1024
	v_lshlrev_b32_e32 v36, 2, v156
	v_add3_u32 v152, v181, v180, v182
	v_add3_u32 v42, v206, v205, v37
	v_lshlrev_b32_e32 v37, 2, v158
	v_add3_u32 v150, v185, v184, v186
	v_lshlrev_b32_e32 v160, 2, v157
	v_add3_u32 v149, v190, v189, v191
	v_add3_u32 v40, v194, v193, v195
	ds_store_b32 v2, v151 offset:1024
	ds_store_b32 v37, v155 offset:1024
	;; [unrolled: 1-line block ×3, first 2 shown]
	v_lshlrev_b32_e32 v2, 2, v154
	ds_store_b32 v36, v163 offset:1024
	v_lshlrev_b32_e32 v36, 2, v153
	v_lshlrev_b32_e32 v37, 2, v152
	;; [unrolled: 1-line block ×3, first 2 shown]
	v_add3_u32 v39, v198, v197, v199
	v_add3_u32 v41, v209, v208, v41
	ds_store_b32 v2, v167 offset:1024
	v_lshlrev_b32_e32 v2, 2, v149
	ds_store_b32 v36, v172 offset:1024
	ds_store_b32 v37, v171 offset:1024
	ds_store_b32 v148, v179 offset:1024
	v_lshlrev_b32_e32 v36, 2, v40
	v_cmp_lt_u32_e32 vcc_lo, v1, v147
	v_lshlrev_b32_e32 v37, 2, v43
	ds_store_b32 v2, v183 offset:1024
	v_lshlrev_b32_e32 v2, 2, v39
	ds_store_b32 v36, v187 offset:1024
	v_lshlrev_b32_e32 v36, 2, v41
	v_lshlrev_b32_e32 v148, 2, v42
	ds_store_b32 v2, v192 offset:1024
	ds_store_b32 v37, v196 offset:1024
	;; [unrolled: 1-line block ×4, first 2 shown]
	s_waitcnt lgkmcnt(0)
	s_barrier
	buffer_gl0_inv
	s_and_saveexec_b32 s18, vcc_lo
	s_cbranch_execz .LBB534_1084
; %bb.1069:                             ;   in Loop: Header=BB534_990 Depth=2
	ds_load_b32 v148, v188 offset:1024
	s_waitcnt lgkmcnt(0)
	v_lshrrev_b32_e32 v2, s57, v148
	s_delay_alu instid0(VALU_DEP_1) | instskip(NEXT) | instid1(VALU_DEP_1)
	v_and_b32_e32 v2, s39, v2
	v_lshlrev_b32_e32 v2, 2, v2
	ds_load_b32 v2, v2
	s_waitcnt lgkmcnt(0)
	v_add_nc_u32_e32 v2, v2, v1
	s_delay_alu instid0(VALU_DEP_1) | instskip(SKIP_1) | instid1(VALU_DEP_2)
	v_lshlrev_b64 v[36:37], 2, v[2:3]
	v_xor_b32_e32 v2, 0x7fffffff, v148
	v_add_co_u32 v36, s17, s48, v36
	s_delay_alu instid0(VALU_DEP_1) | instskip(SKIP_3) | instid1(VALU_DEP_1)
	v_add_co_ci_u32_e64 v37, s17, s49, v37, s17
	global_store_b32 v[36:37], v2, off
	s_or_b32 exec_lo, exec_lo, s18
	v_cmp_lt_u32_e64 s17, v45, v147
	s_and_saveexec_b32 s19, s17
	s_cbranch_execnz .LBB534_1085
.LBB534_1070:                           ;   in Loop: Header=BB534_990 Depth=2
	s_or_b32 exec_lo, exec_lo, s19
	v_cmp_lt_u32_e64 s18, v46, v147
	s_delay_alu instid0(VALU_DEP_1)
	s_and_saveexec_b32 s20, s18
	s_cbranch_execz .LBB534_1086
.LBB534_1071:                           ;   in Loop: Header=BB534_990 Depth=2
	ds_load_b32 v148, v78 offset:2048
	s_waitcnt lgkmcnt(0)
	v_lshrrev_b32_e32 v2, s57, v148
	s_delay_alu instid0(VALU_DEP_1) | instskip(NEXT) | instid1(VALU_DEP_1)
	v_and_b32_e32 v2, s39, v2
	v_lshlrev_b32_e32 v2, 2, v2
	ds_load_b32 v2, v2
	s_waitcnt lgkmcnt(0)
	v_add_nc_u32_e32 v2, v2, v46
	s_delay_alu instid0(VALU_DEP_1) | instskip(SKIP_1) | instid1(VALU_DEP_2)
	v_lshlrev_b64 v[36:37], 2, v[2:3]
	v_xor_b32_e32 v2, 0x7fffffff, v148
	v_add_co_u32 v36, s19, s48, v36
	s_delay_alu instid0(VALU_DEP_1) | instskip(SKIP_3) | instid1(VALU_DEP_1)
	v_add_co_ci_u32_e64 v37, s19, s49, v37, s19
	global_store_b32 v[36:37], v2, off
	s_or_b32 exec_lo, exec_lo, s20
	v_cmp_lt_u32_e64 s19, v47, v147
	s_and_saveexec_b32 s21, s19
	s_cbranch_execnz .LBB534_1087
.LBB534_1072:                           ;   in Loop: Header=BB534_990 Depth=2
	s_or_b32 exec_lo, exec_lo, s21
	v_cmp_lt_u32_e64 s20, v51, v147
	s_delay_alu instid0(VALU_DEP_1)
	s_and_saveexec_b32 s22, s20
	s_cbranch_execz .LBB534_1088
.LBB534_1073:                           ;   in Loop: Header=BB534_990 Depth=2
	ds_load_b32 v148, v78 offset:4096
	s_waitcnt lgkmcnt(0)
	v_lshrrev_b32_e32 v2, s57, v148
	s_delay_alu instid0(VALU_DEP_1) | instskip(NEXT) | instid1(VALU_DEP_1)
	v_and_b32_e32 v2, s39, v2
	v_lshlrev_b32_e32 v2, 2, v2
	ds_load_b32 v2, v2
	s_waitcnt lgkmcnt(0)
	v_add_nc_u32_e32 v2, v2, v51
	s_delay_alu instid0(VALU_DEP_1) | instskip(SKIP_1) | instid1(VALU_DEP_2)
	v_lshlrev_b64 v[36:37], 2, v[2:3]
	v_xor_b32_e32 v2, 0x7fffffff, v148
	v_add_co_u32 v36, s21, s48, v36
	s_delay_alu instid0(VALU_DEP_1) | instskip(SKIP_3) | instid1(VALU_DEP_1)
	v_add_co_ci_u32_e64 v37, s21, s49, v37, s21
	global_store_b32 v[36:37], v2, off
	s_or_b32 exec_lo, exec_lo, s22
	v_cmp_lt_u32_e64 s21, v52, v147
	s_and_saveexec_b32 s23, s21
	s_cbranch_execnz .LBB534_1089
.LBB534_1074:                           ;   in Loop: Header=BB534_990 Depth=2
	s_or_b32 exec_lo, exec_lo, s23
	v_cmp_lt_u32_e64 s22, v53, v147
	s_delay_alu instid0(VALU_DEP_1)
	s_and_saveexec_b32 s24, s22
	s_cbranch_execz .LBB534_1090
.LBB534_1075:                           ;   in Loop: Header=BB534_990 Depth=2
	ds_load_b32 v148, v78 offset:6144
	s_waitcnt lgkmcnt(0)
	v_lshrrev_b32_e32 v2, s57, v148
	s_delay_alu instid0(VALU_DEP_1) | instskip(NEXT) | instid1(VALU_DEP_1)
	v_and_b32_e32 v2, s39, v2
	v_lshlrev_b32_e32 v2, 2, v2
	ds_load_b32 v2, v2
	s_waitcnt lgkmcnt(0)
	v_add_nc_u32_e32 v2, v2, v53
	s_delay_alu instid0(VALU_DEP_1) | instskip(SKIP_1) | instid1(VALU_DEP_2)
	v_lshlrev_b64 v[36:37], 2, v[2:3]
	v_xor_b32_e32 v2, 0x7fffffff, v148
	v_add_co_u32 v36, s23, s48, v36
	s_delay_alu instid0(VALU_DEP_1) | instskip(SKIP_3) | instid1(VALU_DEP_1)
	v_add_co_ci_u32_e64 v37, s23, s49, v37, s23
	global_store_b32 v[36:37], v2, off
	s_or_b32 exec_lo, exec_lo, s24
	v_cmp_lt_u32_e64 s23, v54, v147
	s_and_saveexec_b32 s25, s23
	s_cbranch_execnz .LBB534_1091
.LBB534_1076:                           ;   in Loop: Header=BB534_990 Depth=2
	s_or_b32 exec_lo, exec_lo, s25
	v_cmp_lt_u32_e64 s24, v55, v147
	s_delay_alu instid0(VALU_DEP_1)
	s_and_saveexec_b32 s26, s24
	s_cbranch_execz .LBB534_1092
.LBB534_1077:                           ;   in Loop: Header=BB534_990 Depth=2
	ds_load_b32 v148, v78 offset:8192
	s_waitcnt lgkmcnt(0)
	v_lshrrev_b32_e32 v2, s57, v148
	s_delay_alu instid0(VALU_DEP_1) | instskip(NEXT) | instid1(VALU_DEP_1)
	v_and_b32_e32 v2, s39, v2
	v_lshlrev_b32_e32 v2, 2, v2
	ds_load_b32 v2, v2
	s_waitcnt lgkmcnt(0)
	v_add_nc_u32_e32 v2, v2, v55
	s_delay_alu instid0(VALU_DEP_1) | instskip(SKIP_1) | instid1(VALU_DEP_2)
	v_lshlrev_b64 v[36:37], 2, v[2:3]
	v_xor_b32_e32 v2, 0x7fffffff, v148
	v_add_co_u32 v36, s25, s48, v36
	s_delay_alu instid0(VALU_DEP_1) | instskip(SKIP_3) | instid1(VALU_DEP_1)
	v_add_co_ci_u32_e64 v37, s25, s49, v37, s25
	global_store_b32 v[36:37], v2, off
	s_or_b32 exec_lo, exec_lo, s26
	v_cmp_lt_u32_e64 s25, v56, v147
	s_and_saveexec_b32 s27, s25
	s_cbranch_execnz .LBB534_1093
.LBB534_1078:                           ;   in Loop: Header=BB534_990 Depth=2
	s_or_b32 exec_lo, exec_lo, s27
	v_cmp_lt_u32_e64 s26, v57, v147
	s_delay_alu instid0(VALU_DEP_1)
	s_and_saveexec_b32 s28, s26
	s_cbranch_execz .LBB534_1094
.LBB534_1079:                           ;   in Loop: Header=BB534_990 Depth=2
	ds_load_b32 v148, v78 offset:10240
	s_waitcnt lgkmcnt(0)
	v_lshrrev_b32_e32 v2, s57, v148
	s_delay_alu instid0(VALU_DEP_1) | instskip(NEXT) | instid1(VALU_DEP_1)
	v_and_b32_e32 v2, s39, v2
	v_lshlrev_b32_e32 v2, 2, v2
	ds_load_b32 v2, v2
	s_waitcnt lgkmcnt(0)
	v_add_nc_u32_e32 v2, v2, v57
	s_delay_alu instid0(VALU_DEP_1) | instskip(SKIP_1) | instid1(VALU_DEP_2)
	v_lshlrev_b64 v[36:37], 2, v[2:3]
	v_xor_b32_e32 v2, 0x7fffffff, v148
	v_add_co_u32 v36, s27, s48, v36
	s_delay_alu instid0(VALU_DEP_1) | instskip(SKIP_3) | instid1(VALU_DEP_1)
	v_add_co_ci_u32_e64 v37, s27, s49, v37, s27
	global_store_b32 v[36:37], v2, off
	s_or_b32 exec_lo, exec_lo, s28
	v_cmp_lt_u32_e64 s27, v58, v147
	s_and_saveexec_b32 s29, s27
	s_cbranch_execnz .LBB534_1095
.LBB534_1080:                           ;   in Loop: Header=BB534_990 Depth=2
	s_or_b32 exec_lo, exec_lo, s29
	v_cmp_lt_u32_e64 s28, v59, v147
	s_delay_alu instid0(VALU_DEP_1)
	s_and_saveexec_b32 s30, s28
	s_cbranch_execz .LBB534_1096
.LBB534_1081:                           ;   in Loop: Header=BB534_990 Depth=2
	ds_load_b32 v148, v78 offset:12288
	s_waitcnt lgkmcnt(0)
	v_lshrrev_b32_e32 v2, s57, v148
	s_delay_alu instid0(VALU_DEP_1) | instskip(NEXT) | instid1(VALU_DEP_1)
	v_and_b32_e32 v2, s39, v2
	v_lshlrev_b32_e32 v2, 2, v2
	ds_load_b32 v2, v2
	s_waitcnt lgkmcnt(0)
	v_add_nc_u32_e32 v2, v2, v59
	s_delay_alu instid0(VALU_DEP_1) | instskip(SKIP_1) | instid1(VALU_DEP_2)
	v_lshlrev_b64 v[36:37], 2, v[2:3]
	v_xor_b32_e32 v2, 0x7fffffff, v148
	v_add_co_u32 v36, s29, s48, v36
	s_delay_alu instid0(VALU_DEP_1) | instskip(SKIP_3) | instid1(VALU_DEP_1)
	v_add_co_ci_u32_e64 v37, s29, s49, v37, s29
	global_store_b32 v[36:37], v2, off
	s_or_b32 exec_lo, exec_lo, s30
	v_cmp_lt_u32_e64 s29, v60, v147
	s_and_saveexec_b32 s31, s29
	s_cbranch_execnz .LBB534_1097
.LBB534_1082:                           ;   in Loop: Header=BB534_990 Depth=2
	s_or_b32 exec_lo, exec_lo, s31
	v_cmp_lt_u32_e64 s30, v61, v147
	s_delay_alu instid0(VALU_DEP_1)
	s_and_saveexec_b32 s33, s30
	s_cbranch_execz .LBB534_1098
.LBB534_1083:                           ;   in Loop: Header=BB534_990 Depth=2
	ds_load_b32 v148, v78 offset:14336
	s_waitcnt lgkmcnt(0)
	v_lshrrev_b32_e32 v2, s57, v148
	s_delay_alu instid0(VALU_DEP_1) | instskip(NEXT) | instid1(VALU_DEP_1)
	v_and_b32_e32 v2, s39, v2
	v_lshlrev_b32_e32 v2, 2, v2
	ds_load_b32 v2, v2
	s_waitcnt lgkmcnt(0)
	v_add_nc_u32_e32 v2, v2, v61
	s_delay_alu instid0(VALU_DEP_1) | instskip(SKIP_1) | instid1(VALU_DEP_2)
	v_lshlrev_b64 v[36:37], 2, v[2:3]
	v_xor_b32_e32 v2, 0x7fffffff, v148
	v_add_co_u32 v36, s31, s48, v36
	s_delay_alu instid0(VALU_DEP_1) | instskip(SKIP_3) | instid1(VALU_DEP_1)
	v_add_co_ci_u32_e64 v37, s31, s49, v37, s31
	global_store_b32 v[36:37], v2, off
	s_or_b32 exec_lo, exec_lo, s33
	v_cmp_lt_u32_e64 s31, v63, v147
	s_and_saveexec_b32 s42, s31
	s_cbranch_execnz .LBB534_1099
	s_branch .LBB534_1100
.LBB534_1084:                           ;   in Loop: Header=BB534_990 Depth=2
	s_or_b32 exec_lo, exec_lo, s18
	v_cmp_lt_u32_e64 s17, v45, v147
	s_delay_alu instid0(VALU_DEP_1)
	s_and_saveexec_b32 s19, s17
	s_cbranch_execz .LBB534_1070
.LBB534_1085:                           ;   in Loop: Header=BB534_990 Depth=2
	ds_load_b32 v148, v78 offset:1024
	s_waitcnt lgkmcnt(0)
	v_lshrrev_b32_e32 v2, s57, v148
	s_delay_alu instid0(VALU_DEP_1) | instskip(NEXT) | instid1(VALU_DEP_1)
	v_and_b32_e32 v2, s39, v2
	v_lshlrev_b32_e32 v2, 2, v2
	ds_load_b32 v2, v2
	s_waitcnt lgkmcnt(0)
	v_add_nc_u32_e32 v2, v2, v45
	s_delay_alu instid0(VALU_DEP_1) | instskip(SKIP_1) | instid1(VALU_DEP_2)
	v_lshlrev_b64 v[36:37], 2, v[2:3]
	v_xor_b32_e32 v2, 0x7fffffff, v148
	v_add_co_u32 v36, s18, s48, v36
	s_delay_alu instid0(VALU_DEP_1) | instskip(SKIP_3) | instid1(VALU_DEP_1)
	v_add_co_ci_u32_e64 v37, s18, s49, v37, s18
	global_store_b32 v[36:37], v2, off
	s_or_b32 exec_lo, exec_lo, s19
	v_cmp_lt_u32_e64 s18, v46, v147
	s_and_saveexec_b32 s20, s18
	s_cbranch_execnz .LBB534_1071
.LBB534_1086:                           ;   in Loop: Header=BB534_990 Depth=2
	s_or_b32 exec_lo, exec_lo, s20
	v_cmp_lt_u32_e64 s19, v47, v147
	s_delay_alu instid0(VALU_DEP_1)
	s_and_saveexec_b32 s21, s19
	s_cbranch_execz .LBB534_1072
.LBB534_1087:                           ;   in Loop: Header=BB534_990 Depth=2
	ds_load_b32 v148, v78 offset:3072
	s_waitcnt lgkmcnt(0)
	v_lshrrev_b32_e32 v2, s57, v148
	s_delay_alu instid0(VALU_DEP_1) | instskip(NEXT) | instid1(VALU_DEP_1)
	v_and_b32_e32 v2, s39, v2
	v_lshlrev_b32_e32 v2, 2, v2
	ds_load_b32 v2, v2
	s_waitcnt lgkmcnt(0)
	v_add_nc_u32_e32 v2, v2, v47
	s_delay_alu instid0(VALU_DEP_1) | instskip(SKIP_1) | instid1(VALU_DEP_2)
	v_lshlrev_b64 v[36:37], 2, v[2:3]
	v_xor_b32_e32 v2, 0x7fffffff, v148
	v_add_co_u32 v36, s20, s48, v36
	s_delay_alu instid0(VALU_DEP_1) | instskip(SKIP_3) | instid1(VALU_DEP_1)
	v_add_co_ci_u32_e64 v37, s20, s49, v37, s20
	global_store_b32 v[36:37], v2, off
	s_or_b32 exec_lo, exec_lo, s21
	v_cmp_lt_u32_e64 s20, v51, v147
	s_and_saveexec_b32 s22, s20
	s_cbranch_execnz .LBB534_1073
.LBB534_1088:                           ;   in Loop: Header=BB534_990 Depth=2
	s_or_b32 exec_lo, exec_lo, s22
	v_cmp_lt_u32_e64 s21, v52, v147
	s_delay_alu instid0(VALU_DEP_1)
	s_and_saveexec_b32 s23, s21
	s_cbranch_execz .LBB534_1074
.LBB534_1089:                           ;   in Loop: Header=BB534_990 Depth=2
	ds_load_b32 v148, v78 offset:5120
	s_waitcnt lgkmcnt(0)
	v_lshrrev_b32_e32 v2, s57, v148
	s_delay_alu instid0(VALU_DEP_1) | instskip(NEXT) | instid1(VALU_DEP_1)
	v_and_b32_e32 v2, s39, v2
	v_lshlrev_b32_e32 v2, 2, v2
	ds_load_b32 v2, v2
	s_waitcnt lgkmcnt(0)
	v_add_nc_u32_e32 v2, v2, v52
	s_delay_alu instid0(VALU_DEP_1) | instskip(SKIP_1) | instid1(VALU_DEP_2)
	v_lshlrev_b64 v[36:37], 2, v[2:3]
	v_xor_b32_e32 v2, 0x7fffffff, v148
	v_add_co_u32 v36, s22, s48, v36
	s_delay_alu instid0(VALU_DEP_1) | instskip(SKIP_3) | instid1(VALU_DEP_1)
	v_add_co_ci_u32_e64 v37, s22, s49, v37, s22
	global_store_b32 v[36:37], v2, off
	s_or_b32 exec_lo, exec_lo, s23
	v_cmp_lt_u32_e64 s22, v53, v147
	s_and_saveexec_b32 s24, s22
	s_cbranch_execnz .LBB534_1075
.LBB534_1090:                           ;   in Loop: Header=BB534_990 Depth=2
	s_or_b32 exec_lo, exec_lo, s24
	v_cmp_lt_u32_e64 s23, v54, v147
	s_delay_alu instid0(VALU_DEP_1)
	s_and_saveexec_b32 s25, s23
	s_cbranch_execz .LBB534_1076
.LBB534_1091:                           ;   in Loop: Header=BB534_990 Depth=2
	ds_load_b32 v148, v78 offset:7168
	s_waitcnt lgkmcnt(0)
	v_lshrrev_b32_e32 v2, s57, v148
	s_delay_alu instid0(VALU_DEP_1) | instskip(NEXT) | instid1(VALU_DEP_1)
	v_and_b32_e32 v2, s39, v2
	v_lshlrev_b32_e32 v2, 2, v2
	ds_load_b32 v2, v2
	s_waitcnt lgkmcnt(0)
	v_add_nc_u32_e32 v2, v2, v54
	s_delay_alu instid0(VALU_DEP_1) | instskip(SKIP_1) | instid1(VALU_DEP_2)
	v_lshlrev_b64 v[36:37], 2, v[2:3]
	v_xor_b32_e32 v2, 0x7fffffff, v148
	v_add_co_u32 v36, s24, s48, v36
	s_delay_alu instid0(VALU_DEP_1) | instskip(SKIP_3) | instid1(VALU_DEP_1)
	v_add_co_ci_u32_e64 v37, s24, s49, v37, s24
	global_store_b32 v[36:37], v2, off
	s_or_b32 exec_lo, exec_lo, s25
	v_cmp_lt_u32_e64 s24, v55, v147
	s_and_saveexec_b32 s26, s24
	s_cbranch_execnz .LBB534_1077
.LBB534_1092:                           ;   in Loop: Header=BB534_990 Depth=2
	s_or_b32 exec_lo, exec_lo, s26
	v_cmp_lt_u32_e64 s25, v56, v147
	s_delay_alu instid0(VALU_DEP_1)
	s_and_saveexec_b32 s27, s25
	s_cbranch_execz .LBB534_1078
.LBB534_1093:                           ;   in Loop: Header=BB534_990 Depth=2
	ds_load_b32 v148, v78 offset:9216
	s_waitcnt lgkmcnt(0)
	v_lshrrev_b32_e32 v2, s57, v148
	s_delay_alu instid0(VALU_DEP_1) | instskip(NEXT) | instid1(VALU_DEP_1)
	v_and_b32_e32 v2, s39, v2
	v_lshlrev_b32_e32 v2, 2, v2
	ds_load_b32 v2, v2
	s_waitcnt lgkmcnt(0)
	v_add_nc_u32_e32 v2, v2, v56
	s_delay_alu instid0(VALU_DEP_1) | instskip(SKIP_1) | instid1(VALU_DEP_2)
	v_lshlrev_b64 v[36:37], 2, v[2:3]
	v_xor_b32_e32 v2, 0x7fffffff, v148
	v_add_co_u32 v36, s26, s48, v36
	s_delay_alu instid0(VALU_DEP_1) | instskip(SKIP_3) | instid1(VALU_DEP_1)
	v_add_co_ci_u32_e64 v37, s26, s49, v37, s26
	global_store_b32 v[36:37], v2, off
	s_or_b32 exec_lo, exec_lo, s27
	v_cmp_lt_u32_e64 s26, v57, v147
	s_and_saveexec_b32 s28, s26
	s_cbranch_execnz .LBB534_1079
.LBB534_1094:                           ;   in Loop: Header=BB534_990 Depth=2
	s_or_b32 exec_lo, exec_lo, s28
	v_cmp_lt_u32_e64 s27, v58, v147
	s_delay_alu instid0(VALU_DEP_1)
	s_and_saveexec_b32 s29, s27
	s_cbranch_execz .LBB534_1080
.LBB534_1095:                           ;   in Loop: Header=BB534_990 Depth=2
	ds_load_b32 v148, v78 offset:11264
	s_waitcnt lgkmcnt(0)
	v_lshrrev_b32_e32 v2, s57, v148
	s_delay_alu instid0(VALU_DEP_1) | instskip(NEXT) | instid1(VALU_DEP_1)
	v_and_b32_e32 v2, s39, v2
	v_lshlrev_b32_e32 v2, 2, v2
	ds_load_b32 v2, v2
	s_waitcnt lgkmcnt(0)
	v_add_nc_u32_e32 v2, v2, v58
	s_delay_alu instid0(VALU_DEP_1) | instskip(SKIP_1) | instid1(VALU_DEP_2)
	v_lshlrev_b64 v[36:37], 2, v[2:3]
	v_xor_b32_e32 v2, 0x7fffffff, v148
	v_add_co_u32 v36, s28, s48, v36
	s_delay_alu instid0(VALU_DEP_1) | instskip(SKIP_3) | instid1(VALU_DEP_1)
	v_add_co_ci_u32_e64 v37, s28, s49, v37, s28
	global_store_b32 v[36:37], v2, off
	s_or_b32 exec_lo, exec_lo, s29
	v_cmp_lt_u32_e64 s28, v59, v147
	s_and_saveexec_b32 s30, s28
	s_cbranch_execnz .LBB534_1081
.LBB534_1096:                           ;   in Loop: Header=BB534_990 Depth=2
	s_or_b32 exec_lo, exec_lo, s30
	v_cmp_lt_u32_e64 s29, v60, v147
	s_delay_alu instid0(VALU_DEP_1)
	s_and_saveexec_b32 s31, s29
	s_cbranch_execz .LBB534_1082
.LBB534_1097:                           ;   in Loop: Header=BB534_990 Depth=2
	ds_load_b32 v148, v78 offset:13312
	s_waitcnt lgkmcnt(0)
	v_lshrrev_b32_e32 v2, s57, v148
	s_delay_alu instid0(VALU_DEP_1) | instskip(NEXT) | instid1(VALU_DEP_1)
	v_and_b32_e32 v2, s39, v2
	v_lshlrev_b32_e32 v2, 2, v2
	ds_load_b32 v2, v2
	s_waitcnt lgkmcnt(0)
	v_add_nc_u32_e32 v2, v2, v60
	s_delay_alu instid0(VALU_DEP_1) | instskip(SKIP_1) | instid1(VALU_DEP_2)
	v_lshlrev_b64 v[36:37], 2, v[2:3]
	v_xor_b32_e32 v2, 0x7fffffff, v148
	v_add_co_u32 v36, s30, s48, v36
	s_delay_alu instid0(VALU_DEP_1) | instskip(SKIP_3) | instid1(VALU_DEP_1)
	v_add_co_ci_u32_e64 v37, s30, s49, v37, s30
	global_store_b32 v[36:37], v2, off
	s_or_b32 exec_lo, exec_lo, s31
	v_cmp_lt_u32_e64 s30, v61, v147
	s_and_saveexec_b32 s33, s30
	s_cbranch_execnz .LBB534_1083
.LBB534_1098:                           ;   in Loop: Header=BB534_990 Depth=2
	s_or_b32 exec_lo, exec_lo, s33
	v_cmp_lt_u32_e64 s31, v63, v147
	s_delay_alu instid0(VALU_DEP_1)
	s_and_saveexec_b32 s42, s31
	s_cbranch_execz .LBB534_1100
.LBB534_1099:                           ;   in Loop: Header=BB534_990 Depth=2
	ds_load_b32 v148, v78 offset:15360
	s_waitcnt lgkmcnt(0)
	v_lshrrev_b32_e32 v2, s57, v148
	s_delay_alu instid0(VALU_DEP_1) | instskip(NEXT) | instid1(VALU_DEP_1)
	v_and_b32_e32 v2, s39, v2
	v_lshlrev_b32_e32 v2, 2, v2
	ds_load_b32 v2, v2
	s_waitcnt lgkmcnt(0)
	v_add_nc_u32_e32 v2, v2, v63
	s_delay_alu instid0(VALU_DEP_1) | instskip(SKIP_1) | instid1(VALU_DEP_2)
	v_lshlrev_b64 v[36:37], 2, v[2:3]
	v_xor_b32_e32 v2, 0x7fffffff, v148
	v_add_co_u32 v36, s33, s48, v36
	s_delay_alu instid0(VALU_DEP_1)
	v_add_co_ci_u32_e64 v37, s33, s49, v37, s33
	global_store_b32 v[36:37], v2, off
.LBB534_1100:                           ;   in Loop: Header=BB534_990 Depth=2
	s_or_b32 exec_lo, exec_lo, s42
	s_lshl_b64 s[42:43], s[34:35], 3
	s_delay_alu instid0(SALU_CYCLE_1) | instskip(NEXT) | instid1(VALU_DEP_1)
	v_add_co_u32 v36, s33, v109, s42
	v_add_co_ci_u32_e64 v37, s33, s43, v110, s33
	v_cmp_lt_u32_e64 s33, v108, v147
	s_delay_alu instid0(VALU_DEP_1) | instskip(NEXT) | instid1(SALU_CYCLE_1)
	s_and_saveexec_b32 s34, s33
	s_xor_b32 s33, exec_lo, s34
	s_cbranch_execz .LBB534_1132
; %bb.1101:                             ;   in Loop: Header=BB534_990 Depth=2
	global_load_b64 v[34:35], v[36:37], off
	s_or_b32 exec_lo, exec_lo, s33
	s_delay_alu instid0(SALU_CYCLE_1)
	s_mov_b32 s34, exec_lo
	v_cmpx_lt_u32_e64 v111, v147
	s_cbranch_execnz .LBB534_1133
.LBB534_1102:                           ;   in Loop: Header=BB534_990 Depth=2
	s_or_b32 exec_lo, exec_lo, s34
	s_delay_alu instid0(SALU_CYCLE_1)
	s_mov_b32 s34, exec_lo
	v_cmpx_lt_u32_e64 v112, v147
	s_cbranch_execz .LBB534_1134
.LBB534_1103:                           ;   in Loop: Header=BB534_990 Depth=2
	global_load_b64 v[30:31], v[36:37], off offset:512
	s_or_b32 exec_lo, exec_lo, s34
	s_delay_alu instid0(SALU_CYCLE_1)
	s_mov_b32 s34, exec_lo
	v_cmpx_lt_u32_e64 v113, v147
	s_cbranch_execnz .LBB534_1135
.LBB534_1104:                           ;   in Loop: Header=BB534_990 Depth=2
	s_or_b32 exec_lo, exec_lo, s34
	s_delay_alu instid0(SALU_CYCLE_1)
	s_mov_b32 s34, exec_lo
	v_cmpx_lt_u32_e64 v114, v147
	s_cbranch_execz .LBB534_1136
.LBB534_1105:                           ;   in Loop: Header=BB534_990 Depth=2
	global_load_b64 v[26:27], v[36:37], off offset:1024
	s_or_b32 exec_lo, exec_lo, s34
	s_delay_alu instid0(SALU_CYCLE_1)
	s_mov_b32 s34, exec_lo
	v_cmpx_lt_u32_e64 v115, v147
	s_cbranch_execnz .LBB534_1137
.LBB534_1106:                           ;   in Loop: Header=BB534_990 Depth=2
	s_or_b32 exec_lo, exec_lo, s34
	s_delay_alu instid0(SALU_CYCLE_1)
	s_mov_b32 s34, exec_lo
	v_cmpx_lt_u32_e64 v116, v147
	s_cbranch_execz .LBB534_1138
.LBB534_1107:                           ;   in Loop: Header=BB534_990 Depth=2
	global_load_b64 v[22:23], v[36:37], off offset:1536
	s_or_b32 exec_lo, exec_lo, s34
	s_delay_alu instid0(SALU_CYCLE_1)
	s_mov_b32 s34, exec_lo
	v_cmpx_lt_u32_e64 v117, v147
	s_cbranch_execnz .LBB534_1139
.LBB534_1108:                           ;   in Loop: Header=BB534_990 Depth=2
	s_or_b32 exec_lo, exec_lo, s34
	s_delay_alu instid0(SALU_CYCLE_1)
	s_mov_b32 s34, exec_lo
	v_cmpx_lt_u32_e64 v118, v147
	s_cbranch_execz .LBB534_1140
.LBB534_1109:                           ;   in Loop: Header=BB534_990 Depth=2
	global_load_b64 v[18:19], v[36:37], off offset:2048
	s_or_b32 exec_lo, exec_lo, s34
	s_delay_alu instid0(SALU_CYCLE_1)
	s_mov_b32 s34, exec_lo
	v_cmpx_lt_u32_e64 v119, v147
	s_cbranch_execnz .LBB534_1141
.LBB534_1110:                           ;   in Loop: Header=BB534_990 Depth=2
	s_or_b32 exec_lo, exec_lo, s34
	s_delay_alu instid0(SALU_CYCLE_1)
	s_mov_b32 s34, exec_lo
	v_cmpx_lt_u32_e64 v120, v147
	s_cbranch_execz .LBB534_1142
.LBB534_1111:                           ;   in Loop: Header=BB534_990 Depth=2
	global_load_b64 v[14:15], v[36:37], off offset:2560
	s_or_b32 exec_lo, exec_lo, s34
	s_delay_alu instid0(SALU_CYCLE_1)
	s_mov_b32 s34, exec_lo
	v_cmpx_lt_u32_e64 v121, v147
	s_cbranch_execnz .LBB534_1143
.LBB534_1112:                           ;   in Loop: Header=BB534_990 Depth=2
	s_or_b32 exec_lo, exec_lo, s34
	s_delay_alu instid0(SALU_CYCLE_1)
	s_mov_b32 s34, exec_lo
	v_cmpx_lt_u32_e64 v122, v147
	s_cbranch_execz .LBB534_1144
.LBB534_1113:                           ;   in Loop: Header=BB534_990 Depth=2
	global_load_b64 v[10:11], v[36:37], off offset:3072
	s_or_b32 exec_lo, exec_lo, s34
	s_delay_alu instid0(SALU_CYCLE_1)
	s_mov_b32 s34, exec_lo
	v_cmpx_lt_u32_e64 v123, v147
	s_cbranch_execnz .LBB534_1145
.LBB534_1114:                           ;   in Loop: Header=BB534_990 Depth=2
	s_or_b32 exec_lo, exec_lo, s34
	s_delay_alu instid0(SALU_CYCLE_1)
	s_mov_b32 s34, exec_lo
	v_cmpx_lt_u32_e64 v124, v147
	s_cbranch_execz .LBB534_1146
.LBB534_1115:                           ;   in Loop: Header=BB534_990 Depth=2
	global_load_b64 v[6:7], v[36:37], off offset:3584
	s_or_b32 exec_lo, exec_lo, s34
	s_delay_alu instid0(SALU_CYCLE_1)
	s_mov_b32 s34, exec_lo
	v_cmpx_lt_u32_e64 v125, v147
	s_cbranch_execnz .LBB534_1147
.LBB534_1116:                           ;   in Loop: Header=BB534_990 Depth=2
	s_or_b32 exec_lo, exec_lo, s34
	s_and_saveexec_b32 s33, vcc_lo
	s_cbranch_execz .LBB534_1148
.LBB534_1117:                           ;   in Loop: Header=BB534_990 Depth=2
	ds_load_b32 v2, v188 offset:1024
	s_waitcnt lgkmcnt(0)
	v_lshrrev_b32_e32 v2, s57, v2
	s_delay_alu instid0(VALU_DEP_1)
	v_and_b32_e32 v146, s39, v2
	s_or_b32 exec_lo, exec_lo, s33
	s_and_saveexec_b32 s33, s17
	s_cbranch_execnz .LBB534_1149
.LBB534_1118:                           ;   in Loop: Header=BB534_990 Depth=2
	s_or_b32 exec_lo, exec_lo, s33
	s_and_saveexec_b32 s33, s18
	s_cbranch_execz .LBB534_1150
.LBB534_1119:                           ;   in Loop: Header=BB534_990 Depth=2
	ds_load_b32 v2, v78 offset:2048
	s_waitcnt lgkmcnt(0)
	v_lshrrev_b32_e32 v2, s57, v2
	s_delay_alu instid0(VALU_DEP_1)
	v_and_b32_e32 v144, s39, v2
	s_or_b32 exec_lo, exec_lo, s33
	s_and_saveexec_b32 s33, s19
	s_cbranch_execnz .LBB534_1151
.LBB534_1120:                           ;   in Loop: Header=BB534_990 Depth=2
	s_or_b32 exec_lo, exec_lo, s33
	s_and_saveexec_b32 s33, s20
	s_cbranch_execz .LBB534_1152
.LBB534_1121:                           ;   in Loop: Header=BB534_990 Depth=2
	ds_load_b32 v2, v78 offset:4096
	s_waitcnt lgkmcnt(0)
	v_lshrrev_b32_e32 v2, s57, v2
	s_delay_alu instid0(VALU_DEP_1)
	v_and_b32_e32 v142, s39, v2
	s_or_b32 exec_lo, exec_lo, s33
	s_and_saveexec_b32 s33, s21
	s_cbranch_execnz .LBB534_1153
.LBB534_1122:                           ;   in Loop: Header=BB534_990 Depth=2
	s_or_b32 exec_lo, exec_lo, s33
	s_and_saveexec_b32 s33, s22
	s_cbranch_execz .LBB534_1154
.LBB534_1123:                           ;   in Loop: Header=BB534_990 Depth=2
	ds_load_b32 v2, v78 offset:6144
	s_waitcnt lgkmcnt(0)
	v_lshrrev_b32_e32 v2, s57, v2
	s_delay_alu instid0(VALU_DEP_1)
	v_and_b32_e32 v140, s39, v2
	s_or_b32 exec_lo, exec_lo, s33
	s_and_saveexec_b32 s33, s23
	s_cbranch_execnz .LBB534_1155
.LBB534_1124:                           ;   in Loop: Header=BB534_990 Depth=2
	s_or_b32 exec_lo, exec_lo, s33
	s_and_saveexec_b32 s33, s24
	s_cbranch_execz .LBB534_1156
.LBB534_1125:                           ;   in Loop: Header=BB534_990 Depth=2
	ds_load_b32 v2, v78 offset:8192
	s_waitcnt lgkmcnt(0)
	v_lshrrev_b32_e32 v2, s57, v2
	s_delay_alu instid0(VALU_DEP_1)
	v_and_b32_e32 v138, s39, v2
	s_or_b32 exec_lo, exec_lo, s33
	s_and_saveexec_b32 s33, s25
	s_cbranch_execnz .LBB534_1157
.LBB534_1126:                           ;   in Loop: Header=BB534_990 Depth=2
	s_or_b32 exec_lo, exec_lo, s33
	s_and_saveexec_b32 s33, s26
	s_cbranch_execz .LBB534_1158
.LBB534_1127:                           ;   in Loop: Header=BB534_990 Depth=2
	ds_load_b32 v2, v78 offset:10240
	s_waitcnt lgkmcnt(0)
	v_lshrrev_b32_e32 v2, s57, v2
	s_delay_alu instid0(VALU_DEP_1)
	v_and_b32_e32 v136, s39, v2
	s_or_b32 exec_lo, exec_lo, s33
	s_and_saveexec_b32 s33, s27
	s_cbranch_execnz .LBB534_1159
.LBB534_1128:                           ;   in Loop: Header=BB534_990 Depth=2
	s_or_b32 exec_lo, exec_lo, s33
	s_and_saveexec_b32 s33, s28
	s_cbranch_execz .LBB534_1160
.LBB534_1129:                           ;   in Loop: Header=BB534_990 Depth=2
	ds_load_b32 v2, v78 offset:12288
	s_waitcnt lgkmcnt(0)
	v_lshrrev_b32_e32 v2, s57, v2
	s_delay_alu instid0(VALU_DEP_1)
	v_and_b32_e32 v134, s39, v2
	s_or_b32 exec_lo, exec_lo, s33
	s_and_saveexec_b32 s33, s29
	s_cbranch_execnz .LBB534_1161
.LBB534_1130:                           ;   in Loop: Header=BB534_990 Depth=2
	s_or_b32 exec_lo, exec_lo, s33
	s_and_saveexec_b32 s33, s30
	s_cbranch_execz .LBB534_1162
.LBB534_1131:                           ;   in Loop: Header=BB534_990 Depth=2
	ds_load_b32 v2, v78 offset:14336
	s_waitcnt lgkmcnt(0)
	v_lshrrev_b32_e32 v2, s57, v2
	s_delay_alu instid0(VALU_DEP_1)
	v_and_b32_e32 v132, s39, v2
	s_or_b32 exec_lo, exec_lo, s33
	s_and_saveexec_b32 s33, s31
	s_cbranch_execnz .LBB534_1163
	s_branch .LBB534_1164
.LBB534_1132:                           ;   in Loop: Header=BB534_990 Depth=2
	s_or_b32 exec_lo, exec_lo, s33
	s_delay_alu instid0(SALU_CYCLE_1)
	s_mov_b32 s34, exec_lo
	v_cmpx_lt_u32_e64 v111, v147
	s_cbranch_execz .LBB534_1102
.LBB534_1133:                           ;   in Loop: Header=BB534_990 Depth=2
	global_load_b64 v[32:33], v[36:37], off offset:256
	s_or_b32 exec_lo, exec_lo, s34
	s_delay_alu instid0(SALU_CYCLE_1)
	s_mov_b32 s34, exec_lo
	v_cmpx_lt_u32_e64 v112, v147
	s_cbranch_execnz .LBB534_1103
.LBB534_1134:                           ;   in Loop: Header=BB534_990 Depth=2
	s_or_b32 exec_lo, exec_lo, s34
	s_delay_alu instid0(SALU_CYCLE_1)
	s_mov_b32 s34, exec_lo
	v_cmpx_lt_u32_e64 v113, v147
	s_cbranch_execz .LBB534_1104
.LBB534_1135:                           ;   in Loop: Header=BB534_990 Depth=2
	global_load_b64 v[28:29], v[36:37], off offset:768
	s_or_b32 exec_lo, exec_lo, s34
	s_delay_alu instid0(SALU_CYCLE_1)
	s_mov_b32 s34, exec_lo
	v_cmpx_lt_u32_e64 v114, v147
	s_cbranch_execnz .LBB534_1105
.LBB534_1136:                           ;   in Loop: Header=BB534_990 Depth=2
	s_or_b32 exec_lo, exec_lo, s34
	s_delay_alu instid0(SALU_CYCLE_1)
	s_mov_b32 s34, exec_lo
	v_cmpx_lt_u32_e64 v115, v147
	s_cbranch_execz .LBB534_1106
.LBB534_1137:                           ;   in Loop: Header=BB534_990 Depth=2
	global_load_b64 v[24:25], v[36:37], off offset:1280
	s_or_b32 exec_lo, exec_lo, s34
	s_delay_alu instid0(SALU_CYCLE_1)
	s_mov_b32 s34, exec_lo
	v_cmpx_lt_u32_e64 v116, v147
	s_cbranch_execnz .LBB534_1107
.LBB534_1138:                           ;   in Loop: Header=BB534_990 Depth=2
	s_or_b32 exec_lo, exec_lo, s34
	s_delay_alu instid0(SALU_CYCLE_1)
	s_mov_b32 s34, exec_lo
	v_cmpx_lt_u32_e64 v117, v147
	s_cbranch_execz .LBB534_1108
.LBB534_1139:                           ;   in Loop: Header=BB534_990 Depth=2
	global_load_b64 v[20:21], v[36:37], off offset:1792
	s_or_b32 exec_lo, exec_lo, s34
	s_delay_alu instid0(SALU_CYCLE_1)
	s_mov_b32 s34, exec_lo
	v_cmpx_lt_u32_e64 v118, v147
	s_cbranch_execnz .LBB534_1109
.LBB534_1140:                           ;   in Loop: Header=BB534_990 Depth=2
	s_or_b32 exec_lo, exec_lo, s34
	s_delay_alu instid0(SALU_CYCLE_1)
	s_mov_b32 s34, exec_lo
	v_cmpx_lt_u32_e64 v119, v147
	s_cbranch_execz .LBB534_1110
.LBB534_1141:                           ;   in Loop: Header=BB534_990 Depth=2
	global_load_b64 v[16:17], v[36:37], off offset:2304
	s_or_b32 exec_lo, exec_lo, s34
	s_delay_alu instid0(SALU_CYCLE_1)
	s_mov_b32 s34, exec_lo
	v_cmpx_lt_u32_e64 v120, v147
	s_cbranch_execnz .LBB534_1111
.LBB534_1142:                           ;   in Loop: Header=BB534_990 Depth=2
	s_or_b32 exec_lo, exec_lo, s34
	s_delay_alu instid0(SALU_CYCLE_1)
	s_mov_b32 s34, exec_lo
	v_cmpx_lt_u32_e64 v121, v147
	s_cbranch_execz .LBB534_1112
.LBB534_1143:                           ;   in Loop: Header=BB534_990 Depth=2
	global_load_b64 v[12:13], v[36:37], off offset:2816
	s_or_b32 exec_lo, exec_lo, s34
	s_delay_alu instid0(SALU_CYCLE_1)
	s_mov_b32 s34, exec_lo
	v_cmpx_lt_u32_e64 v122, v147
	s_cbranch_execnz .LBB534_1113
.LBB534_1144:                           ;   in Loop: Header=BB534_990 Depth=2
	s_or_b32 exec_lo, exec_lo, s34
	s_delay_alu instid0(SALU_CYCLE_1)
	s_mov_b32 s34, exec_lo
	v_cmpx_lt_u32_e64 v123, v147
	s_cbranch_execz .LBB534_1114
.LBB534_1145:                           ;   in Loop: Header=BB534_990 Depth=2
	global_load_b64 v[8:9], v[36:37], off offset:3328
	s_or_b32 exec_lo, exec_lo, s34
	s_delay_alu instid0(SALU_CYCLE_1)
	s_mov_b32 s34, exec_lo
	v_cmpx_lt_u32_e64 v124, v147
	s_cbranch_execnz .LBB534_1115
.LBB534_1146:                           ;   in Loop: Header=BB534_990 Depth=2
	s_or_b32 exec_lo, exec_lo, s34
	s_delay_alu instid0(SALU_CYCLE_1)
	s_mov_b32 s34, exec_lo
	v_cmpx_lt_u32_e64 v125, v147
	s_cbranch_execz .LBB534_1116
.LBB534_1147:                           ;   in Loop: Header=BB534_990 Depth=2
	global_load_b64 v[4:5], v[36:37], off offset:3840
	s_or_b32 exec_lo, exec_lo, s34
	s_and_saveexec_b32 s33, vcc_lo
	s_cbranch_execnz .LBB534_1117
.LBB534_1148:                           ;   in Loop: Header=BB534_990 Depth=2
	s_or_b32 exec_lo, exec_lo, s33
	s_and_saveexec_b32 s33, s17
	s_cbranch_execz .LBB534_1118
.LBB534_1149:                           ;   in Loop: Header=BB534_990 Depth=2
	ds_load_b32 v2, v78 offset:1024
	s_waitcnt lgkmcnt(0)
	v_lshrrev_b32_e32 v2, s57, v2
	s_delay_alu instid0(VALU_DEP_1)
	v_and_b32_e32 v145, s39, v2
	s_or_b32 exec_lo, exec_lo, s33
	s_and_saveexec_b32 s33, s18
	s_cbranch_execnz .LBB534_1119
.LBB534_1150:                           ;   in Loop: Header=BB534_990 Depth=2
	s_or_b32 exec_lo, exec_lo, s33
	s_and_saveexec_b32 s33, s19
	s_cbranch_execz .LBB534_1120
.LBB534_1151:                           ;   in Loop: Header=BB534_990 Depth=2
	ds_load_b32 v2, v78 offset:3072
	s_waitcnt lgkmcnt(0)
	v_lshrrev_b32_e32 v2, s57, v2
	s_delay_alu instid0(VALU_DEP_1)
	v_and_b32_e32 v143, s39, v2
	s_or_b32 exec_lo, exec_lo, s33
	s_and_saveexec_b32 s33, s20
	s_cbranch_execnz .LBB534_1121
.LBB534_1152:                           ;   in Loop: Header=BB534_990 Depth=2
	s_or_b32 exec_lo, exec_lo, s33
	s_and_saveexec_b32 s33, s21
	s_cbranch_execz .LBB534_1122
.LBB534_1153:                           ;   in Loop: Header=BB534_990 Depth=2
	ds_load_b32 v2, v78 offset:5120
	s_waitcnt lgkmcnt(0)
	v_lshrrev_b32_e32 v2, s57, v2
	s_delay_alu instid0(VALU_DEP_1)
	v_and_b32_e32 v141, s39, v2
	s_or_b32 exec_lo, exec_lo, s33
	s_and_saveexec_b32 s33, s22
	s_cbranch_execnz .LBB534_1123
.LBB534_1154:                           ;   in Loop: Header=BB534_990 Depth=2
	s_or_b32 exec_lo, exec_lo, s33
	s_and_saveexec_b32 s33, s23
	s_cbranch_execz .LBB534_1124
.LBB534_1155:                           ;   in Loop: Header=BB534_990 Depth=2
	ds_load_b32 v2, v78 offset:7168
	s_waitcnt lgkmcnt(0)
	v_lshrrev_b32_e32 v2, s57, v2
	s_delay_alu instid0(VALU_DEP_1)
	v_and_b32_e32 v139, s39, v2
	s_or_b32 exec_lo, exec_lo, s33
	s_and_saveexec_b32 s33, s24
	s_cbranch_execnz .LBB534_1125
.LBB534_1156:                           ;   in Loop: Header=BB534_990 Depth=2
	s_or_b32 exec_lo, exec_lo, s33
	s_and_saveexec_b32 s33, s25
	s_cbranch_execz .LBB534_1126
.LBB534_1157:                           ;   in Loop: Header=BB534_990 Depth=2
	ds_load_b32 v2, v78 offset:9216
	s_waitcnt lgkmcnt(0)
	v_lshrrev_b32_e32 v2, s57, v2
	s_delay_alu instid0(VALU_DEP_1)
	v_and_b32_e32 v137, s39, v2
	s_or_b32 exec_lo, exec_lo, s33
	s_and_saveexec_b32 s33, s26
	s_cbranch_execnz .LBB534_1127
.LBB534_1158:                           ;   in Loop: Header=BB534_990 Depth=2
	s_or_b32 exec_lo, exec_lo, s33
	s_and_saveexec_b32 s33, s27
	s_cbranch_execz .LBB534_1128
.LBB534_1159:                           ;   in Loop: Header=BB534_990 Depth=2
	ds_load_b32 v2, v78 offset:11264
	s_waitcnt lgkmcnt(0)
	v_lshrrev_b32_e32 v2, s57, v2
	s_delay_alu instid0(VALU_DEP_1)
	v_and_b32_e32 v135, s39, v2
	s_or_b32 exec_lo, exec_lo, s33
	s_and_saveexec_b32 s33, s28
	s_cbranch_execnz .LBB534_1129
.LBB534_1160:                           ;   in Loop: Header=BB534_990 Depth=2
	s_or_b32 exec_lo, exec_lo, s33
	s_and_saveexec_b32 s33, s29
	s_cbranch_execz .LBB534_1130
.LBB534_1161:                           ;   in Loop: Header=BB534_990 Depth=2
	ds_load_b32 v2, v78 offset:13312
	s_waitcnt lgkmcnt(0)
	v_lshrrev_b32_e32 v2, s57, v2
	s_delay_alu instid0(VALU_DEP_1)
	v_and_b32_e32 v133, s39, v2
	s_or_b32 exec_lo, exec_lo, s33
	s_and_saveexec_b32 s33, s30
	s_cbranch_execnz .LBB534_1131
.LBB534_1162:                           ;   in Loop: Header=BB534_990 Depth=2
	s_or_b32 exec_lo, exec_lo, s33
	s_and_saveexec_b32 s33, s31
	s_cbranch_execz .LBB534_1164
.LBB534_1163:                           ;   in Loop: Header=BB534_990 Depth=2
	ds_load_b32 v2, v78 offset:15360
	s_waitcnt lgkmcnt(0)
	v_lshrrev_b32_e32 v2, s57, v2
	s_delay_alu instid0(VALU_DEP_1)
	v_and_b32_e32 v131, s39, v2
.LBB534_1164:                           ;   in Loop: Header=BB534_990 Depth=2
	s_or_b32 exec_lo, exec_lo, s33
	v_lshlrev_b32_e32 v2, 3, v170
	v_lshlrev_b32_e32 v36, 3, v166
	s_waitcnt vmcnt(0)
	s_waitcnt_vscnt null, 0x0
	s_barrier
	buffer_gl0_inv
	ds_store_b64 v2, v[34:35] offset:1024
	v_lshlrev_b32_e32 v2, 3, v162
	v_lshlrev_b32_e32 v37, 3, v158
	;; [unrolled: 1-line block ×4, first 2 shown]
	ds_store_b64 v36, v[32:33] offset:1024
	ds_store_b64 v2, v[30:31] offset:1024
	;; [unrolled: 1-line block ×5, first 2 shown]
	v_lshlrev_b32_e32 v2, 3, v154
	v_lshlrev_b32_e32 v36, 3, v153
	;; [unrolled: 1-line block ×5, first 2 shown]
	ds_store_b64 v2, v[22:23] offset:1024
	ds_store_b64 v36, v[20:21] offset:1024
	;; [unrolled: 1-line block ×5, first 2 shown]
	v_lshlrev_b32_e32 v2, 3, v40
	v_lshlrev_b32_e32 v36, 3, v39
	;; [unrolled: 1-line block ×5, first 2 shown]
	ds_store_b64 v2, v[12:13] offset:1024
	ds_store_b64 v36, v[10:11] offset:1024
	;; [unrolled: 1-line block ×5, first 2 shown]
	s_waitcnt lgkmcnt(0)
	s_barrier
	buffer_gl0_inv
	s_and_saveexec_b32 s33, vcc_lo
	s_cbranch_execz .LBB534_1180
; %bb.1165:                             ;   in Loop: Header=BB534_990 Depth=2
	v_lshlrev_b32_e32 v2, 2, v146
	ds_load_b32 v2, v2
	ds_load_b64 v[36:37], v79 offset:1024
	s_waitcnt lgkmcnt(1)
	v_add_nc_u32_e32 v2, v2, v1
	s_delay_alu instid0(VALU_DEP_1) | instskip(NEXT) | instid1(VALU_DEP_1)
	v_lshlrev_b64 v[39:40], 3, v[2:3]
	v_add_co_u32 v39, vcc_lo, s54, v39
	s_delay_alu instid0(VALU_DEP_2)
	v_add_co_ci_u32_e32 v40, vcc_lo, s55, v40, vcc_lo
	s_waitcnt lgkmcnt(0)
	global_store_b64 v[39:40], v[36:37], off
	s_or_b32 exec_lo, exec_lo, s33
	v_add_nc_u32_e32 v36, v78, v44
	s_and_saveexec_b32 s33, s17
	s_cbranch_execnz .LBB534_1181
.LBB534_1166:                           ;   in Loop: Header=BB534_990 Depth=2
	s_or_b32 exec_lo, exec_lo, s33
	s_and_saveexec_b32 s17, s18
	s_cbranch_execz .LBB534_1182
.LBB534_1167:                           ;   in Loop: Header=BB534_990 Depth=2
	v_lshlrev_b32_e32 v2, 2, v144
	ds_load_b32 v2, v2
	ds_load_b64 v[39:40], v36 offset:4096
	s_waitcnt lgkmcnt(1)
	v_add_nc_u32_e32 v2, v2, v46
	s_delay_alu instid0(VALU_DEP_1) | instskip(NEXT) | instid1(VALU_DEP_1)
	v_lshlrev_b64 v[41:42], 3, v[2:3]
	v_add_co_u32 v41, vcc_lo, s54, v41
	s_delay_alu instid0(VALU_DEP_2)
	v_add_co_ci_u32_e32 v42, vcc_lo, s55, v42, vcc_lo
	s_waitcnt lgkmcnt(0)
	global_store_b64 v[41:42], v[39:40], off
	s_or_b32 exec_lo, exec_lo, s17
	s_and_saveexec_b32 s17, s19
	s_cbranch_execnz .LBB534_1183
.LBB534_1168:                           ;   in Loop: Header=BB534_990 Depth=2
	s_or_b32 exec_lo, exec_lo, s17
	s_and_saveexec_b32 s17, s20
	s_cbranch_execz .LBB534_1184
.LBB534_1169:                           ;   in Loop: Header=BB534_990 Depth=2
	v_lshlrev_b32_e32 v2, 2, v142
	ds_load_b32 v2, v2
	ds_load_b64 v[39:40], v36 offset:8192
	s_waitcnt lgkmcnt(1)
	v_add_nc_u32_e32 v2, v2, v51
	s_delay_alu instid0(VALU_DEP_1) | instskip(NEXT) | instid1(VALU_DEP_1)
	v_lshlrev_b64 v[41:42], 3, v[2:3]
	v_add_co_u32 v41, vcc_lo, s54, v41
	s_delay_alu instid0(VALU_DEP_2)
	v_add_co_ci_u32_e32 v42, vcc_lo, s55, v42, vcc_lo
	s_waitcnt lgkmcnt(0)
	global_store_b64 v[41:42], v[39:40], off
	s_or_b32 exec_lo, exec_lo, s17
	s_and_saveexec_b32 s17, s21
	s_cbranch_execnz .LBB534_1185
.LBB534_1170:                           ;   in Loop: Header=BB534_990 Depth=2
	s_or_b32 exec_lo, exec_lo, s17
	s_and_saveexec_b32 s17, s22
	s_cbranch_execz .LBB534_1186
.LBB534_1171:                           ;   in Loop: Header=BB534_990 Depth=2
	v_lshlrev_b32_e32 v2, 2, v140
	ds_load_b32 v2, v2
	ds_load_b64 v[39:40], v36 offset:12288
	s_waitcnt lgkmcnt(1)
	v_add_nc_u32_e32 v2, v2, v53
	s_delay_alu instid0(VALU_DEP_1) | instskip(NEXT) | instid1(VALU_DEP_1)
	v_lshlrev_b64 v[41:42], 3, v[2:3]
	v_add_co_u32 v41, vcc_lo, s54, v41
	s_delay_alu instid0(VALU_DEP_2)
	v_add_co_ci_u32_e32 v42, vcc_lo, s55, v42, vcc_lo
	s_waitcnt lgkmcnt(0)
	global_store_b64 v[41:42], v[39:40], off
	s_or_b32 exec_lo, exec_lo, s17
	s_and_saveexec_b32 s17, s23
	s_cbranch_execnz .LBB534_1187
.LBB534_1172:                           ;   in Loop: Header=BB534_990 Depth=2
	s_or_b32 exec_lo, exec_lo, s17
	s_and_saveexec_b32 s17, s24
	s_cbranch_execz .LBB534_1188
.LBB534_1173:                           ;   in Loop: Header=BB534_990 Depth=2
	v_lshlrev_b32_e32 v2, 2, v138
	ds_load_b32 v2, v2
	ds_load_b64 v[39:40], v36 offset:16384
	s_waitcnt lgkmcnt(1)
	v_add_nc_u32_e32 v2, v2, v55
	s_delay_alu instid0(VALU_DEP_1) | instskip(NEXT) | instid1(VALU_DEP_1)
	v_lshlrev_b64 v[41:42], 3, v[2:3]
	v_add_co_u32 v41, vcc_lo, s54, v41
	s_delay_alu instid0(VALU_DEP_2)
	v_add_co_ci_u32_e32 v42, vcc_lo, s55, v42, vcc_lo
	s_waitcnt lgkmcnt(0)
	global_store_b64 v[41:42], v[39:40], off
	s_or_b32 exec_lo, exec_lo, s17
	s_and_saveexec_b32 s17, s25
	s_cbranch_execnz .LBB534_1189
.LBB534_1174:                           ;   in Loop: Header=BB534_990 Depth=2
	s_or_b32 exec_lo, exec_lo, s17
	s_and_saveexec_b32 s17, s26
	s_cbranch_execz .LBB534_1190
.LBB534_1175:                           ;   in Loop: Header=BB534_990 Depth=2
	v_lshlrev_b32_e32 v2, 2, v136
	ds_load_b32 v2, v2
	ds_load_b64 v[39:40], v36 offset:20480
	s_waitcnt lgkmcnt(1)
	v_add_nc_u32_e32 v2, v2, v57
	s_delay_alu instid0(VALU_DEP_1) | instskip(NEXT) | instid1(VALU_DEP_1)
	v_lshlrev_b64 v[41:42], 3, v[2:3]
	v_add_co_u32 v41, vcc_lo, s54, v41
	s_delay_alu instid0(VALU_DEP_2)
	v_add_co_ci_u32_e32 v42, vcc_lo, s55, v42, vcc_lo
	s_waitcnt lgkmcnt(0)
	global_store_b64 v[41:42], v[39:40], off
	s_or_b32 exec_lo, exec_lo, s17
	s_and_saveexec_b32 s17, s27
	s_cbranch_execnz .LBB534_1191
.LBB534_1176:                           ;   in Loop: Header=BB534_990 Depth=2
	s_or_b32 exec_lo, exec_lo, s17
	s_and_saveexec_b32 s17, s28
	s_cbranch_execz .LBB534_1192
.LBB534_1177:                           ;   in Loop: Header=BB534_990 Depth=2
	v_lshlrev_b32_e32 v2, 2, v134
	ds_load_b32 v2, v2
	ds_load_b64 v[39:40], v36 offset:24576
	s_waitcnt lgkmcnt(1)
	v_add_nc_u32_e32 v2, v2, v59
	s_delay_alu instid0(VALU_DEP_1) | instskip(NEXT) | instid1(VALU_DEP_1)
	v_lshlrev_b64 v[41:42], 3, v[2:3]
	v_add_co_u32 v41, vcc_lo, s54, v41
	s_delay_alu instid0(VALU_DEP_2)
	v_add_co_ci_u32_e32 v42, vcc_lo, s55, v42, vcc_lo
	s_waitcnt lgkmcnt(0)
	global_store_b64 v[41:42], v[39:40], off
	s_or_b32 exec_lo, exec_lo, s17
	s_and_saveexec_b32 s17, s29
	s_cbranch_execnz .LBB534_1193
.LBB534_1178:                           ;   in Loop: Header=BB534_990 Depth=2
	s_or_b32 exec_lo, exec_lo, s17
	s_and_saveexec_b32 s17, s30
	s_cbranch_execz .LBB534_1194
.LBB534_1179:                           ;   in Loop: Header=BB534_990 Depth=2
	v_lshlrev_b32_e32 v2, 2, v132
	ds_load_b32 v2, v2
	ds_load_b64 v[39:40], v36 offset:28672
	s_waitcnt lgkmcnt(1)
	v_add_nc_u32_e32 v2, v2, v61
	s_delay_alu instid0(VALU_DEP_1) | instskip(NEXT) | instid1(VALU_DEP_1)
	v_lshlrev_b64 v[41:42], 3, v[2:3]
	v_add_co_u32 v41, vcc_lo, s54, v41
	s_delay_alu instid0(VALU_DEP_2)
	v_add_co_ci_u32_e32 v42, vcc_lo, s55, v42, vcc_lo
	s_waitcnt lgkmcnt(0)
	global_store_b64 v[41:42], v[39:40], off
	s_or_b32 exec_lo, exec_lo, s17
	s_and_saveexec_b32 s17, s31
	s_cbranch_execnz .LBB534_1195
	s_branch .LBB534_1196
.LBB534_1180:                           ;   in Loop: Header=BB534_990 Depth=2
	s_or_b32 exec_lo, exec_lo, s33
	v_add_nc_u32_e32 v36, v78, v44
	s_and_saveexec_b32 s33, s17
	s_cbranch_execz .LBB534_1166
.LBB534_1181:                           ;   in Loop: Header=BB534_990 Depth=2
	v_lshlrev_b32_e32 v2, 2, v145
	ds_load_b32 v2, v2
	ds_load_b64 v[39:40], v36 offset:2048
	s_waitcnt lgkmcnt(1)
	v_add_nc_u32_e32 v2, v2, v45
	s_delay_alu instid0(VALU_DEP_1) | instskip(NEXT) | instid1(VALU_DEP_1)
	v_lshlrev_b64 v[41:42], 3, v[2:3]
	v_add_co_u32 v41, vcc_lo, s54, v41
	s_delay_alu instid0(VALU_DEP_2)
	v_add_co_ci_u32_e32 v42, vcc_lo, s55, v42, vcc_lo
	s_waitcnt lgkmcnt(0)
	global_store_b64 v[41:42], v[39:40], off
	s_or_b32 exec_lo, exec_lo, s33
	s_and_saveexec_b32 s17, s18
	s_cbranch_execnz .LBB534_1167
.LBB534_1182:                           ;   in Loop: Header=BB534_990 Depth=2
	s_or_b32 exec_lo, exec_lo, s17
	s_and_saveexec_b32 s17, s19
	s_cbranch_execz .LBB534_1168
.LBB534_1183:                           ;   in Loop: Header=BB534_990 Depth=2
	v_lshlrev_b32_e32 v2, 2, v143
	ds_load_b32 v2, v2
	ds_load_b64 v[39:40], v36 offset:6144
	s_waitcnt lgkmcnt(1)
	v_add_nc_u32_e32 v2, v2, v47
	s_delay_alu instid0(VALU_DEP_1) | instskip(NEXT) | instid1(VALU_DEP_1)
	v_lshlrev_b64 v[41:42], 3, v[2:3]
	v_add_co_u32 v41, vcc_lo, s54, v41
	s_delay_alu instid0(VALU_DEP_2)
	v_add_co_ci_u32_e32 v42, vcc_lo, s55, v42, vcc_lo
	s_waitcnt lgkmcnt(0)
	global_store_b64 v[41:42], v[39:40], off
	s_or_b32 exec_lo, exec_lo, s17
	s_and_saveexec_b32 s17, s20
	s_cbranch_execnz .LBB534_1169
.LBB534_1184:                           ;   in Loop: Header=BB534_990 Depth=2
	s_or_b32 exec_lo, exec_lo, s17
	s_and_saveexec_b32 s17, s21
	s_cbranch_execz .LBB534_1170
.LBB534_1185:                           ;   in Loop: Header=BB534_990 Depth=2
	v_lshlrev_b32_e32 v2, 2, v141
	ds_load_b32 v2, v2
	ds_load_b64 v[39:40], v36 offset:10240
	s_waitcnt lgkmcnt(1)
	v_add_nc_u32_e32 v2, v2, v52
	s_delay_alu instid0(VALU_DEP_1) | instskip(NEXT) | instid1(VALU_DEP_1)
	v_lshlrev_b64 v[41:42], 3, v[2:3]
	v_add_co_u32 v41, vcc_lo, s54, v41
	s_delay_alu instid0(VALU_DEP_2)
	v_add_co_ci_u32_e32 v42, vcc_lo, s55, v42, vcc_lo
	s_waitcnt lgkmcnt(0)
	global_store_b64 v[41:42], v[39:40], off
	s_or_b32 exec_lo, exec_lo, s17
	s_and_saveexec_b32 s17, s22
	s_cbranch_execnz .LBB534_1171
.LBB534_1186:                           ;   in Loop: Header=BB534_990 Depth=2
	s_or_b32 exec_lo, exec_lo, s17
	s_and_saveexec_b32 s17, s23
	s_cbranch_execz .LBB534_1172
.LBB534_1187:                           ;   in Loop: Header=BB534_990 Depth=2
	v_lshlrev_b32_e32 v2, 2, v139
	ds_load_b32 v2, v2
	ds_load_b64 v[39:40], v36 offset:14336
	s_waitcnt lgkmcnt(1)
	v_add_nc_u32_e32 v2, v2, v54
	s_delay_alu instid0(VALU_DEP_1) | instskip(NEXT) | instid1(VALU_DEP_1)
	v_lshlrev_b64 v[41:42], 3, v[2:3]
	v_add_co_u32 v41, vcc_lo, s54, v41
	s_delay_alu instid0(VALU_DEP_2)
	v_add_co_ci_u32_e32 v42, vcc_lo, s55, v42, vcc_lo
	s_waitcnt lgkmcnt(0)
	global_store_b64 v[41:42], v[39:40], off
	s_or_b32 exec_lo, exec_lo, s17
	s_and_saveexec_b32 s17, s24
	s_cbranch_execnz .LBB534_1173
.LBB534_1188:                           ;   in Loop: Header=BB534_990 Depth=2
	s_or_b32 exec_lo, exec_lo, s17
	s_and_saveexec_b32 s17, s25
	s_cbranch_execz .LBB534_1174
.LBB534_1189:                           ;   in Loop: Header=BB534_990 Depth=2
	v_lshlrev_b32_e32 v2, 2, v137
	ds_load_b32 v2, v2
	ds_load_b64 v[39:40], v36 offset:18432
	s_waitcnt lgkmcnt(1)
	v_add_nc_u32_e32 v2, v2, v56
	s_delay_alu instid0(VALU_DEP_1) | instskip(NEXT) | instid1(VALU_DEP_1)
	v_lshlrev_b64 v[41:42], 3, v[2:3]
	v_add_co_u32 v41, vcc_lo, s54, v41
	s_delay_alu instid0(VALU_DEP_2)
	v_add_co_ci_u32_e32 v42, vcc_lo, s55, v42, vcc_lo
	s_waitcnt lgkmcnt(0)
	global_store_b64 v[41:42], v[39:40], off
	s_or_b32 exec_lo, exec_lo, s17
	s_and_saveexec_b32 s17, s26
	s_cbranch_execnz .LBB534_1175
.LBB534_1190:                           ;   in Loop: Header=BB534_990 Depth=2
	s_or_b32 exec_lo, exec_lo, s17
	s_and_saveexec_b32 s17, s27
	s_cbranch_execz .LBB534_1176
.LBB534_1191:                           ;   in Loop: Header=BB534_990 Depth=2
	v_lshlrev_b32_e32 v2, 2, v135
	ds_load_b32 v2, v2
	ds_load_b64 v[39:40], v36 offset:22528
	s_waitcnt lgkmcnt(1)
	v_add_nc_u32_e32 v2, v2, v58
	s_delay_alu instid0(VALU_DEP_1) | instskip(NEXT) | instid1(VALU_DEP_1)
	v_lshlrev_b64 v[41:42], 3, v[2:3]
	v_add_co_u32 v41, vcc_lo, s54, v41
	s_delay_alu instid0(VALU_DEP_2)
	v_add_co_ci_u32_e32 v42, vcc_lo, s55, v42, vcc_lo
	s_waitcnt lgkmcnt(0)
	global_store_b64 v[41:42], v[39:40], off
	s_or_b32 exec_lo, exec_lo, s17
	s_and_saveexec_b32 s17, s28
	s_cbranch_execnz .LBB534_1177
.LBB534_1192:                           ;   in Loop: Header=BB534_990 Depth=2
	s_or_b32 exec_lo, exec_lo, s17
	s_and_saveexec_b32 s17, s29
	s_cbranch_execz .LBB534_1178
.LBB534_1193:                           ;   in Loop: Header=BB534_990 Depth=2
	v_lshlrev_b32_e32 v2, 2, v133
	ds_load_b32 v2, v2
	ds_load_b64 v[39:40], v36 offset:26624
	s_waitcnt lgkmcnt(1)
	v_add_nc_u32_e32 v2, v2, v60
	s_delay_alu instid0(VALU_DEP_1) | instskip(NEXT) | instid1(VALU_DEP_1)
	v_lshlrev_b64 v[41:42], 3, v[2:3]
	v_add_co_u32 v41, vcc_lo, s54, v41
	s_delay_alu instid0(VALU_DEP_2)
	v_add_co_ci_u32_e32 v42, vcc_lo, s55, v42, vcc_lo
	s_waitcnt lgkmcnt(0)
	global_store_b64 v[41:42], v[39:40], off
	s_or_b32 exec_lo, exec_lo, s17
	s_and_saveexec_b32 s17, s30
	s_cbranch_execnz .LBB534_1179
.LBB534_1194:                           ;   in Loop: Header=BB534_990 Depth=2
	s_or_b32 exec_lo, exec_lo, s17
	s_and_saveexec_b32 s17, s31
	s_cbranch_execz .LBB534_1196
.LBB534_1195:                           ;   in Loop: Header=BB534_990 Depth=2
	v_lshlrev_b32_e32 v2, 2, v131
	ds_load_b32 v2, v2
	ds_load_b64 v[36:37], v36 offset:30720
	s_waitcnt lgkmcnt(1)
	v_add_nc_u32_e32 v2, v2, v63
	s_delay_alu instid0(VALU_DEP_1) | instskip(NEXT) | instid1(VALU_DEP_1)
	v_lshlrev_b64 v[39:40], 3, v[2:3]
	v_add_co_u32 v39, vcc_lo, s54, v39
	s_delay_alu instid0(VALU_DEP_2)
	v_add_co_ci_u32_e32 v40, vcc_lo, s55, v40, vcc_lo
	s_waitcnt lgkmcnt(0)
	global_store_b64 v[39:40], v[36:37], off
.LBB534_1196:                           ;   in Loop: Header=BB534_990 Depth=2
	s_or_b32 exec_lo, exec_lo, s17
	s_waitcnt_vscnt null, 0x0
	s_barrier
	buffer_gl0_inv
	s_and_saveexec_b32 s17, s2
	s_cbranch_execz .LBB534_989
; %bb.1197:                             ;   in Loop: Header=BB534_990 Depth=2
	ds_load_b32 v2, v44
	s_waitcnt lgkmcnt(0)
	v_add_nc_u32_e32 v2, v2, v38
	ds_store_b32 v44, v2
	s_branch .LBB534_989
.LBB534_1198:
	s_endpgm
	.section	.rodata,"a",@progbits
	.p2align	6, 0x0
	.amdhsa_kernel _ZN7rocprim17ROCPRIM_400000_NS6detail17trampoline_kernelINS0_14default_configENS1_36segmented_radix_sort_config_selectorIilEEZNS1_25segmented_radix_sort_implIS3_Lb1EPKiPiPKlPlN2at6native12_GLOBAL__N_18offset_tEEE10hipError_tPvRmT1_PNSt15iterator_traitsISK_E10value_typeET2_T3_PNSL_ISQ_E10value_typeET4_jRbjT5_SW_jjP12ihipStream_tbEUlT_E2_NS1_11comp_targetILNS1_3genE9ELNS1_11target_archE1100ELNS1_3gpuE3ELNS1_3repE0EEENS1_30default_config_static_selectorELNS0_4arch9wavefront6targetE0EEEvSK_
		.amdhsa_group_segment_fixed_size 33824
		.amdhsa_private_segment_fixed_size 352
		.amdhsa_kernarg_size 336
		.amdhsa_user_sgpr_count 14
		.amdhsa_user_sgpr_dispatch_ptr 0
		.amdhsa_user_sgpr_queue_ptr 0
		.amdhsa_user_sgpr_kernarg_segment_ptr 1
		.amdhsa_user_sgpr_dispatch_id 0
		.amdhsa_user_sgpr_private_segment_size 0
		.amdhsa_wavefront_size32 1
		.amdhsa_uses_dynamic_stack 0
		.amdhsa_enable_private_segment 1
		.amdhsa_system_sgpr_workgroup_id_x 1
		.amdhsa_system_sgpr_workgroup_id_y 1
		.amdhsa_system_sgpr_workgroup_id_z 0
		.amdhsa_system_sgpr_workgroup_info 0
		.amdhsa_system_vgpr_workitem_id 2
		.amdhsa_next_free_vgpr 248
		.amdhsa_next_free_sgpr 63
		.amdhsa_reserve_vcc 1
		.amdhsa_float_round_mode_32 0
		.amdhsa_float_round_mode_16_64 0
		.amdhsa_float_denorm_mode_32 3
		.amdhsa_float_denorm_mode_16_64 3
		.amdhsa_dx10_clamp 1
		.amdhsa_ieee_mode 1
		.amdhsa_fp16_overflow 0
		.amdhsa_workgroup_processor_mode 1
		.amdhsa_memory_ordered 1
		.amdhsa_forward_progress 0
		.amdhsa_shared_vgpr_count 0
		.amdhsa_exception_fp_ieee_invalid_op 0
		.amdhsa_exception_fp_denorm_src 0
		.amdhsa_exception_fp_ieee_div_zero 0
		.amdhsa_exception_fp_ieee_overflow 0
		.amdhsa_exception_fp_ieee_underflow 0
		.amdhsa_exception_fp_ieee_inexact 0
		.amdhsa_exception_int_div_zero 0
	.end_amdhsa_kernel
	.section	.text._ZN7rocprim17ROCPRIM_400000_NS6detail17trampoline_kernelINS0_14default_configENS1_36segmented_radix_sort_config_selectorIilEEZNS1_25segmented_radix_sort_implIS3_Lb1EPKiPiPKlPlN2at6native12_GLOBAL__N_18offset_tEEE10hipError_tPvRmT1_PNSt15iterator_traitsISK_E10value_typeET2_T3_PNSL_ISQ_E10value_typeET4_jRbjT5_SW_jjP12ihipStream_tbEUlT_E2_NS1_11comp_targetILNS1_3genE9ELNS1_11target_archE1100ELNS1_3gpuE3ELNS1_3repE0EEENS1_30default_config_static_selectorELNS0_4arch9wavefront6targetE0EEEvSK_,"axG",@progbits,_ZN7rocprim17ROCPRIM_400000_NS6detail17trampoline_kernelINS0_14default_configENS1_36segmented_radix_sort_config_selectorIilEEZNS1_25segmented_radix_sort_implIS3_Lb1EPKiPiPKlPlN2at6native12_GLOBAL__N_18offset_tEEE10hipError_tPvRmT1_PNSt15iterator_traitsISK_E10value_typeET2_T3_PNSL_ISQ_E10value_typeET4_jRbjT5_SW_jjP12ihipStream_tbEUlT_E2_NS1_11comp_targetILNS1_3genE9ELNS1_11target_archE1100ELNS1_3gpuE3ELNS1_3repE0EEENS1_30default_config_static_selectorELNS0_4arch9wavefront6targetE0EEEvSK_,comdat
.Lfunc_end534:
	.size	_ZN7rocprim17ROCPRIM_400000_NS6detail17trampoline_kernelINS0_14default_configENS1_36segmented_radix_sort_config_selectorIilEEZNS1_25segmented_radix_sort_implIS3_Lb1EPKiPiPKlPlN2at6native12_GLOBAL__N_18offset_tEEE10hipError_tPvRmT1_PNSt15iterator_traitsISK_E10value_typeET2_T3_PNSL_ISQ_E10value_typeET4_jRbjT5_SW_jjP12ihipStream_tbEUlT_E2_NS1_11comp_targetILNS1_3genE9ELNS1_11target_archE1100ELNS1_3gpuE3ELNS1_3repE0EEENS1_30default_config_static_selectorELNS0_4arch9wavefront6targetE0EEEvSK_, .Lfunc_end534-_ZN7rocprim17ROCPRIM_400000_NS6detail17trampoline_kernelINS0_14default_configENS1_36segmented_radix_sort_config_selectorIilEEZNS1_25segmented_radix_sort_implIS3_Lb1EPKiPiPKlPlN2at6native12_GLOBAL__N_18offset_tEEE10hipError_tPvRmT1_PNSt15iterator_traitsISK_E10value_typeET2_T3_PNSL_ISQ_E10value_typeET4_jRbjT5_SW_jjP12ihipStream_tbEUlT_E2_NS1_11comp_targetILNS1_3genE9ELNS1_11target_archE1100ELNS1_3gpuE3ELNS1_3repE0EEENS1_30default_config_static_selectorELNS0_4arch9wavefront6targetE0EEEvSK_
                                        ; -- End function
	.section	.AMDGPU.csdata,"",@progbits
; Kernel info:
; codeLenInByte = 68428
; NumSgprs: 65
; NumVgprs: 248
; ScratchSize: 352
; MemoryBound: 0
; FloatMode: 240
; IeeeMode: 1
; LDSByteSize: 33824 bytes/workgroup (compile time only)
; SGPRBlocks: 8
; VGPRBlocks: 30
; NumSGPRsForWavesPerEU: 65
; NumVGPRsForWavesPerEU: 248
; Occupancy: 5
; WaveLimiterHint : 1
; COMPUTE_PGM_RSRC2:SCRATCH_EN: 1
; COMPUTE_PGM_RSRC2:USER_SGPR: 14
; COMPUTE_PGM_RSRC2:TRAP_HANDLER: 0
; COMPUTE_PGM_RSRC2:TGID_X_EN: 1
; COMPUTE_PGM_RSRC2:TGID_Y_EN: 1
; COMPUTE_PGM_RSRC2:TGID_Z_EN: 0
; COMPUTE_PGM_RSRC2:TIDIG_COMP_CNT: 2
	.section	.text._ZN7rocprim17ROCPRIM_400000_NS6detail17trampoline_kernelINS0_14default_configENS1_36segmented_radix_sort_config_selectorIilEEZNS1_25segmented_radix_sort_implIS3_Lb1EPKiPiPKlPlN2at6native12_GLOBAL__N_18offset_tEEE10hipError_tPvRmT1_PNSt15iterator_traitsISK_E10value_typeET2_T3_PNSL_ISQ_E10value_typeET4_jRbjT5_SW_jjP12ihipStream_tbEUlT_E2_NS1_11comp_targetILNS1_3genE8ELNS1_11target_archE1030ELNS1_3gpuE2ELNS1_3repE0EEENS1_30default_config_static_selectorELNS0_4arch9wavefront6targetE0EEEvSK_,"axG",@progbits,_ZN7rocprim17ROCPRIM_400000_NS6detail17trampoline_kernelINS0_14default_configENS1_36segmented_radix_sort_config_selectorIilEEZNS1_25segmented_radix_sort_implIS3_Lb1EPKiPiPKlPlN2at6native12_GLOBAL__N_18offset_tEEE10hipError_tPvRmT1_PNSt15iterator_traitsISK_E10value_typeET2_T3_PNSL_ISQ_E10value_typeET4_jRbjT5_SW_jjP12ihipStream_tbEUlT_E2_NS1_11comp_targetILNS1_3genE8ELNS1_11target_archE1030ELNS1_3gpuE2ELNS1_3repE0EEENS1_30default_config_static_selectorELNS0_4arch9wavefront6targetE0EEEvSK_,comdat
	.globl	_ZN7rocprim17ROCPRIM_400000_NS6detail17trampoline_kernelINS0_14default_configENS1_36segmented_radix_sort_config_selectorIilEEZNS1_25segmented_radix_sort_implIS3_Lb1EPKiPiPKlPlN2at6native12_GLOBAL__N_18offset_tEEE10hipError_tPvRmT1_PNSt15iterator_traitsISK_E10value_typeET2_T3_PNSL_ISQ_E10value_typeET4_jRbjT5_SW_jjP12ihipStream_tbEUlT_E2_NS1_11comp_targetILNS1_3genE8ELNS1_11target_archE1030ELNS1_3gpuE2ELNS1_3repE0EEENS1_30default_config_static_selectorELNS0_4arch9wavefront6targetE0EEEvSK_ ; -- Begin function _ZN7rocprim17ROCPRIM_400000_NS6detail17trampoline_kernelINS0_14default_configENS1_36segmented_radix_sort_config_selectorIilEEZNS1_25segmented_radix_sort_implIS3_Lb1EPKiPiPKlPlN2at6native12_GLOBAL__N_18offset_tEEE10hipError_tPvRmT1_PNSt15iterator_traitsISK_E10value_typeET2_T3_PNSL_ISQ_E10value_typeET4_jRbjT5_SW_jjP12ihipStream_tbEUlT_E2_NS1_11comp_targetILNS1_3genE8ELNS1_11target_archE1030ELNS1_3gpuE2ELNS1_3repE0EEENS1_30default_config_static_selectorELNS0_4arch9wavefront6targetE0EEEvSK_
	.p2align	8
	.type	_ZN7rocprim17ROCPRIM_400000_NS6detail17trampoline_kernelINS0_14default_configENS1_36segmented_radix_sort_config_selectorIilEEZNS1_25segmented_radix_sort_implIS3_Lb1EPKiPiPKlPlN2at6native12_GLOBAL__N_18offset_tEEE10hipError_tPvRmT1_PNSt15iterator_traitsISK_E10value_typeET2_T3_PNSL_ISQ_E10value_typeET4_jRbjT5_SW_jjP12ihipStream_tbEUlT_E2_NS1_11comp_targetILNS1_3genE8ELNS1_11target_archE1030ELNS1_3gpuE2ELNS1_3repE0EEENS1_30default_config_static_selectorELNS0_4arch9wavefront6targetE0EEEvSK_,@function
_ZN7rocprim17ROCPRIM_400000_NS6detail17trampoline_kernelINS0_14default_configENS1_36segmented_radix_sort_config_selectorIilEEZNS1_25segmented_radix_sort_implIS3_Lb1EPKiPiPKlPlN2at6native12_GLOBAL__N_18offset_tEEE10hipError_tPvRmT1_PNSt15iterator_traitsISK_E10value_typeET2_T3_PNSL_ISQ_E10value_typeET4_jRbjT5_SW_jjP12ihipStream_tbEUlT_E2_NS1_11comp_targetILNS1_3genE8ELNS1_11target_archE1030ELNS1_3gpuE2ELNS1_3repE0EEENS1_30default_config_static_selectorELNS0_4arch9wavefront6targetE0EEEvSK_: ; @_ZN7rocprim17ROCPRIM_400000_NS6detail17trampoline_kernelINS0_14default_configENS1_36segmented_radix_sort_config_selectorIilEEZNS1_25segmented_radix_sort_implIS3_Lb1EPKiPiPKlPlN2at6native12_GLOBAL__N_18offset_tEEE10hipError_tPvRmT1_PNSt15iterator_traitsISK_E10value_typeET2_T3_PNSL_ISQ_E10value_typeET4_jRbjT5_SW_jjP12ihipStream_tbEUlT_E2_NS1_11comp_targetILNS1_3genE8ELNS1_11target_archE1030ELNS1_3gpuE2ELNS1_3repE0EEENS1_30default_config_static_selectorELNS0_4arch9wavefront6targetE0EEEvSK_
; %bb.0:
	.section	.rodata,"a",@progbits
	.p2align	6, 0x0
	.amdhsa_kernel _ZN7rocprim17ROCPRIM_400000_NS6detail17trampoline_kernelINS0_14default_configENS1_36segmented_radix_sort_config_selectorIilEEZNS1_25segmented_radix_sort_implIS3_Lb1EPKiPiPKlPlN2at6native12_GLOBAL__N_18offset_tEEE10hipError_tPvRmT1_PNSt15iterator_traitsISK_E10value_typeET2_T3_PNSL_ISQ_E10value_typeET4_jRbjT5_SW_jjP12ihipStream_tbEUlT_E2_NS1_11comp_targetILNS1_3genE8ELNS1_11target_archE1030ELNS1_3gpuE2ELNS1_3repE0EEENS1_30default_config_static_selectorELNS0_4arch9wavefront6targetE0EEEvSK_
		.amdhsa_group_segment_fixed_size 0
		.amdhsa_private_segment_fixed_size 0
		.amdhsa_kernarg_size 80
		.amdhsa_user_sgpr_count 15
		.amdhsa_user_sgpr_dispatch_ptr 0
		.amdhsa_user_sgpr_queue_ptr 0
		.amdhsa_user_sgpr_kernarg_segment_ptr 1
		.amdhsa_user_sgpr_dispatch_id 0
		.amdhsa_user_sgpr_private_segment_size 0
		.amdhsa_wavefront_size32 1
		.amdhsa_uses_dynamic_stack 0
		.amdhsa_enable_private_segment 0
		.amdhsa_system_sgpr_workgroup_id_x 1
		.amdhsa_system_sgpr_workgroup_id_y 0
		.amdhsa_system_sgpr_workgroup_id_z 0
		.amdhsa_system_sgpr_workgroup_info 0
		.amdhsa_system_vgpr_workitem_id 0
		.amdhsa_next_free_vgpr 1
		.amdhsa_next_free_sgpr 1
		.amdhsa_reserve_vcc 0
		.amdhsa_float_round_mode_32 0
		.amdhsa_float_round_mode_16_64 0
		.amdhsa_float_denorm_mode_32 3
		.amdhsa_float_denorm_mode_16_64 3
		.amdhsa_dx10_clamp 1
		.amdhsa_ieee_mode 1
		.amdhsa_fp16_overflow 0
		.amdhsa_workgroup_processor_mode 1
		.amdhsa_memory_ordered 1
		.amdhsa_forward_progress 0
		.amdhsa_shared_vgpr_count 0
		.amdhsa_exception_fp_ieee_invalid_op 0
		.amdhsa_exception_fp_denorm_src 0
		.amdhsa_exception_fp_ieee_div_zero 0
		.amdhsa_exception_fp_ieee_overflow 0
		.amdhsa_exception_fp_ieee_underflow 0
		.amdhsa_exception_fp_ieee_inexact 0
		.amdhsa_exception_int_div_zero 0
	.end_amdhsa_kernel
	.section	.text._ZN7rocprim17ROCPRIM_400000_NS6detail17trampoline_kernelINS0_14default_configENS1_36segmented_radix_sort_config_selectorIilEEZNS1_25segmented_radix_sort_implIS3_Lb1EPKiPiPKlPlN2at6native12_GLOBAL__N_18offset_tEEE10hipError_tPvRmT1_PNSt15iterator_traitsISK_E10value_typeET2_T3_PNSL_ISQ_E10value_typeET4_jRbjT5_SW_jjP12ihipStream_tbEUlT_E2_NS1_11comp_targetILNS1_3genE8ELNS1_11target_archE1030ELNS1_3gpuE2ELNS1_3repE0EEENS1_30default_config_static_selectorELNS0_4arch9wavefront6targetE0EEEvSK_,"axG",@progbits,_ZN7rocprim17ROCPRIM_400000_NS6detail17trampoline_kernelINS0_14default_configENS1_36segmented_radix_sort_config_selectorIilEEZNS1_25segmented_radix_sort_implIS3_Lb1EPKiPiPKlPlN2at6native12_GLOBAL__N_18offset_tEEE10hipError_tPvRmT1_PNSt15iterator_traitsISK_E10value_typeET2_T3_PNSL_ISQ_E10value_typeET4_jRbjT5_SW_jjP12ihipStream_tbEUlT_E2_NS1_11comp_targetILNS1_3genE8ELNS1_11target_archE1030ELNS1_3gpuE2ELNS1_3repE0EEENS1_30default_config_static_selectorELNS0_4arch9wavefront6targetE0EEEvSK_,comdat
.Lfunc_end535:
	.size	_ZN7rocprim17ROCPRIM_400000_NS6detail17trampoline_kernelINS0_14default_configENS1_36segmented_radix_sort_config_selectorIilEEZNS1_25segmented_radix_sort_implIS3_Lb1EPKiPiPKlPlN2at6native12_GLOBAL__N_18offset_tEEE10hipError_tPvRmT1_PNSt15iterator_traitsISK_E10value_typeET2_T3_PNSL_ISQ_E10value_typeET4_jRbjT5_SW_jjP12ihipStream_tbEUlT_E2_NS1_11comp_targetILNS1_3genE8ELNS1_11target_archE1030ELNS1_3gpuE2ELNS1_3repE0EEENS1_30default_config_static_selectorELNS0_4arch9wavefront6targetE0EEEvSK_, .Lfunc_end535-_ZN7rocprim17ROCPRIM_400000_NS6detail17trampoline_kernelINS0_14default_configENS1_36segmented_radix_sort_config_selectorIilEEZNS1_25segmented_radix_sort_implIS3_Lb1EPKiPiPKlPlN2at6native12_GLOBAL__N_18offset_tEEE10hipError_tPvRmT1_PNSt15iterator_traitsISK_E10value_typeET2_T3_PNSL_ISQ_E10value_typeET4_jRbjT5_SW_jjP12ihipStream_tbEUlT_E2_NS1_11comp_targetILNS1_3genE8ELNS1_11target_archE1030ELNS1_3gpuE2ELNS1_3repE0EEENS1_30default_config_static_selectorELNS0_4arch9wavefront6targetE0EEEvSK_
                                        ; -- End function
	.section	.AMDGPU.csdata,"",@progbits
; Kernel info:
; codeLenInByte = 0
; NumSgprs: 0
; NumVgprs: 0
; ScratchSize: 0
; MemoryBound: 0
; FloatMode: 240
; IeeeMode: 1
; LDSByteSize: 0 bytes/workgroup (compile time only)
; SGPRBlocks: 0
; VGPRBlocks: 0
; NumSGPRsForWavesPerEU: 1
; NumVGPRsForWavesPerEU: 1
; Occupancy: 16
; WaveLimiterHint : 0
; COMPUTE_PGM_RSRC2:SCRATCH_EN: 0
; COMPUTE_PGM_RSRC2:USER_SGPR: 15
; COMPUTE_PGM_RSRC2:TRAP_HANDLER: 0
; COMPUTE_PGM_RSRC2:TGID_X_EN: 1
; COMPUTE_PGM_RSRC2:TGID_Y_EN: 0
; COMPUTE_PGM_RSRC2:TGID_Z_EN: 0
; COMPUTE_PGM_RSRC2:TIDIG_COMP_CNT: 0
	.section	.text._ZN7rocprim17ROCPRIM_400000_NS6detail17trampoline_kernelINS0_13select_configILj256ELj13ELNS0_17block_load_methodE3ELS4_3ELS4_3ELNS0_20block_scan_algorithmE0ELj4294967295EEENS1_25partition_config_selectorILNS1_17partition_subalgoE4EjNS0_10empty_typeEbEEZZNS1_14partition_implILS8_4ELb0ES6_15HIP_vector_typeIjLj2EENS0_17counting_iteratorIjlEEPS9_SG_NS0_5tupleIJPjSI_NS0_16reverse_iteratorISI_EEEEENSH_IJSG_SG_SG_EEES9_SI_JZNS1_25segmented_radix_sort_implINS0_14default_configELb0EPKiPiPKlPlN2at6native12_GLOBAL__N_18offset_tEEE10hipError_tPvRmT1_PNSt15iterator_traitsIS12_E10value_typeET2_T3_PNS13_IS18_E10value_typeET4_jRbjT5_S1E_jjP12ihipStream_tbEUljE_ZNSN_ISO_Lb0ESQ_SR_ST_SU_SY_EESZ_S10_S11_S12_S16_S17_S18_S1B_S1C_jS1D_jS1E_S1E_jjS1G_bEUljE0_EEESZ_S10_S11_S18_S1C_S1E_T6_T7_T9_mT8_S1G_bDpT10_ENKUlT_T0_E_clISt17integral_constantIbLb0EES1U_EEDaS1P_S1Q_EUlS1P_E_NS1_11comp_targetILNS1_3genE0ELNS1_11target_archE4294967295ELNS1_3gpuE0ELNS1_3repE0EEENS1_30default_config_static_selectorELNS0_4arch9wavefront6targetE0EEEvS12_,"axG",@progbits,_ZN7rocprim17ROCPRIM_400000_NS6detail17trampoline_kernelINS0_13select_configILj256ELj13ELNS0_17block_load_methodE3ELS4_3ELS4_3ELNS0_20block_scan_algorithmE0ELj4294967295EEENS1_25partition_config_selectorILNS1_17partition_subalgoE4EjNS0_10empty_typeEbEEZZNS1_14partition_implILS8_4ELb0ES6_15HIP_vector_typeIjLj2EENS0_17counting_iteratorIjlEEPS9_SG_NS0_5tupleIJPjSI_NS0_16reverse_iteratorISI_EEEEENSH_IJSG_SG_SG_EEES9_SI_JZNS1_25segmented_radix_sort_implINS0_14default_configELb0EPKiPiPKlPlN2at6native12_GLOBAL__N_18offset_tEEE10hipError_tPvRmT1_PNSt15iterator_traitsIS12_E10value_typeET2_T3_PNS13_IS18_E10value_typeET4_jRbjT5_S1E_jjP12ihipStream_tbEUljE_ZNSN_ISO_Lb0ESQ_SR_ST_SU_SY_EESZ_S10_S11_S12_S16_S17_S18_S1B_S1C_jS1D_jS1E_S1E_jjS1G_bEUljE0_EEESZ_S10_S11_S18_S1C_S1E_T6_T7_T9_mT8_S1G_bDpT10_ENKUlT_T0_E_clISt17integral_constantIbLb0EES1U_EEDaS1P_S1Q_EUlS1P_E_NS1_11comp_targetILNS1_3genE0ELNS1_11target_archE4294967295ELNS1_3gpuE0ELNS1_3repE0EEENS1_30default_config_static_selectorELNS0_4arch9wavefront6targetE0EEEvS12_,comdat
	.globl	_ZN7rocprim17ROCPRIM_400000_NS6detail17trampoline_kernelINS0_13select_configILj256ELj13ELNS0_17block_load_methodE3ELS4_3ELS4_3ELNS0_20block_scan_algorithmE0ELj4294967295EEENS1_25partition_config_selectorILNS1_17partition_subalgoE4EjNS0_10empty_typeEbEEZZNS1_14partition_implILS8_4ELb0ES6_15HIP_vector_typeIjLj2EENS0_17counting_iteratorIjlEEPS9_SG_NS0_5tupleIJPjSI_NS0_16reverse_iteratorISI_EEEEENSH_IJSG_SG_SG_EEES9_SI_JZNS1_25segmented_radix_sort_implINS0_14default_configELb0EPKiPiPKlPlN2at6native12_GLOBAL__N_18offset_tEEE10hipError_tPvRmT1_PNSt15iterator_traitsIS12_E10value_typeET2_T3_PNS13_IS18_E10value_typeET4_jRbjT5_S1E_jjP12ihipStream_tbEUljE_ZNSN_ISO_Lb0ESQ_SR_ST_SU_SY_EESZ_S10_S11_S12_S16_S17_S18_S1B_S1C_jS1D_jS1E_S1E_jjS1G_bEUljE0_EEESZ_S10_S11_S18_S1C_S1E_T6_T7_T9_mT8_S1G_bDpT10_ENKUlT_T0_E_clISt17integral_constantIbLb0EES1U_EEDaS1P_S1Q_EUlS1P_E_NS1_11comp_targetILNS1_3genE0ELNS1_11target_archE4294967295ELNS1_3gpuE0ELNS1_3repE0EEENS1_30default_config_static_selectorELNS0_4arch9wavefront6targetE0EEEvS12_ ; -- Begin function _ZN7rocprim17ROCPRIM_400000_NS6detail17trampoline_kernelINS0_13select_configILj256ELj13ELNS0_17block_load_methodE3ELS4_3ELS4_3ELNS0_20block_scan_algorithmE0ELj4294967295EEENS1_25partition_config_selectorILNS1_17partition_subalgoE4EjNS0_10empty_typeEbEEZZNS1_14partition_implILS8_4ELb0ES6_15HIP_vector_typeIjLj2EENS0_17counting_iteratorIjlEEPS9_SG_NS0_5tupleIJPjSI_NS0_16reverse_iteratorISI_EEEEENSH_IJSG_SG_SG_EEES9_SI_JZNS1_25segmented_radix_sort_implINS0_14default_configELb0EPKiPiPKlPlN2at6native12_GLOBAL__N_18offset_tEEE10hipError_tPvRmT1_PNSt15iterator_traitsIS12_E10value_typeET2_T3_PNS13_IS18_E10value_typeET4_jRbjT5_S1E_jjP12ihipStream_tbEUljE_ZNSN_ISO_Lb0ESQ_SR_ST_SU_SY_EESZ_S10_S11_S12_S16_S17_S18_S1B_S1C_jS1D_jS1E_S1E_jjS1G_bEUljE0_EEESZ_S10_S11_S18_S1C_S1E_T6_T7_T9_mT8_S1G_bDpT10_ENKUlT_T0_E_clISt17integral_constantIbLb0EES1U_EEDaS1P_S1Q_EUlS1P_E_NS1_11comp_targetILNS1_3genE0ELNS1_11target_archE4294967295ELNS1_3gpuE0ELNS1_3repE0EEENS1_30default_config_static_selectorELNS0_4arch9wavefront6targetE0EEEvS12_
	.p2align	8
	.type	_ZN7rocprim17ROCPRIM_400000_NS6detail17trampoline_kernelINS0_13select_configILj256ELj13ELNS0_17block_load_methodE3ELS4_3ELS4_3ELNS0_20block_scan_algorithmE0ELj4294967295EEENS1_25partition_config_selectorILNS1_17partition_subalgoE4EjNS0_10empty_typeEbEEZZNS1_14partition_implILS8_4ELb0ES6_15HIP_vector_typeIjLj2EENS0_17counting_iteratorIjlEEPS9_SG_NS0_5tupleIJPjSI_NS0_16reverse_iteratorISI_EEEEENSH_IJSG_SG_SG_EEES9_SI_JZNS1_25segmented_radix_sort_implINS0_14default_configELb0EPKiPiPKlPlN2at6native12_GLOBAL__N_18offset_tEEE10hipError_tPvRmT1_PNSt15iterator_traitsIS12_E10value_typeET2_T3_PNS13_IS18_E10value_typeET4_jRbjT5_S1E_jjP12ihipStream_tbEUljE_ZNSN_ISO_Lb0ESQ_SR_ST_SU_SY_EESZ_S10_S11_S12_S16_S17_S18_S1B_S1C_jS1D_jS1E_S1E_jjS1G_bEUljE0_EEESZ_S10_S11_S18_S1C_S1E_T6_T7_T9_mT8_S1G_bDpT10_ENKUlT_T0_E_clISt17integral_constantIbLb0EES1U_EEDaS1P_S1Q_EUlS1P_E_NS1_11comp_targetILNS1_3genE0ELNS1_11target_archE4294967295ELNS1_3gpuE0ELNS1_3repE0EEENS1_30default_config_static_selectorELNS0_4arch9wavefront6targetE0EEEvS12_,@function
_ZN7rocprim17ROCPRIM_400000_NS6detail17trampoline_kernelINS0_13select_configILj256ELj13ELNS0_17block_load_methodE3ELS4_3ELS4_3ELNS0_20block_scan_algorithmE0ELj4294967295EEENS1_25partition_config_selectorILNS1_17partition_subalgoE4EjNS0_10empty_typeEbEEZZNS1_14partition_implILS8_4ELb0ES6_15HIP_vector_typeIjLj2EENS0_17counting_iteratorIjlEEPS9_SG_NS0_5tupleIJPjSI_NS0_16reverse_iteratorISI_EEEEENSH_IJSG_SG_SG_EEES9_SI_JZNS1_25segmented_radix_sort_implINS0_14default_configELb0EPKiPiPKlPlN2at6native12_GLOBAL__N_18offset_tEEE10hipError_tPvRmT1_PNSt15iterator_traitsIS12_E10value_typeET2_T3_PNS13_IS18_E10value_typeET4_jRbjT5_S1E_jjP12ihipStream_tbEUljE_ZNSN_ISO_Lb0ESQ_SR_ST_SU_SY_EESZ_S10_S11_S12_S16_S17_S18_S1B_S1C_jS1D_jS1E_S1E_jjS1G_bEUljE0_EEESZ_S10_S11_S18_S1C_S1E_T6_T7_T9_mT8_S1G_bDpT10_ENKUlT_T0_E_clISt17integral_constantIbLb0EES1U_EEDaS1P_S1Q_EUlS1P_E_NS1_11comp_targetILNS1_3genE0ELNS1_11target_archE4294967295ELNS1_3gpuE0ELNS1_3repE0EEENS1_30default_config_static_selectorELNS0_4arch9wavefront6targetE0EEEvS12_: ; @_ZN7rocprim17ROCPRIM_400000_NS6detail17trampoline_kernelINS0_13select_configILj256ELj13ELNS0_17block_load_methodE3ELS4_3ELS4_3ELNS0_20block_scan_algorithmE0ELj4294967295EEENS1_25partition_config_selectorILNS1_17partition_subalgoE4EjNS0_10empty_typeEbEEZZNS1_14partition_implILS8_4ELb0ES6_15HIP_vector_typeIjLj2EENS0_17counting_iteratorIjlEEPS9_SG_NS0_5tupleIJPjSI_NS0_16reverse_iteratorISI_EEEEENSH_IJSG_SG_SG_EEES9_SI_JZNS1_25segmented_radix_sort_implINS0_14default_configELb0EPKiPiPKlPlN2at6native12_GLOBAL__N_18offset_tEEE10hipError_tPvRmT1_PNSt15iterator_traitsIS12_E10value_typeET2_T3_PNS13_IS18_E10value_typeET4_jRbjT5_S1E_jjP12ihipStream_tbEUljE_ZNSN_ISO_Lb0ESQ_SR_ST_SU_SY_EESZ_S10_S11_S12_S16_S17_S18_S1B_S1C_jS1D_jS1E_S1E_jjS1G_bEUljE0_EEESZ_S10_S11_S18_S1C_S1E_T6_T7_T9_mT8_S1G_bDpT10_ENKUlT_T0_E_clISt17integral_constantIbLb0EES1U_EEDaS1P_S1Q_EUlS1P_E_NS1_11comp_targetILNS1_3genE0ELNS1_11target_archE4294967295ELNS1_3gpuE0ELNS1_3repE0EEENS1_30default_config_static_selectorELNS0_4arch9wavefront6targetE0EEEvS12_
; %bb.0:
	.section	.rodata,"a",@progbits
	.p2align	6, 0x0
	.amdhsa_kernel _ZN7rocprim17ROCPRIM_400000_NS6detail17trampoline_kernelINS0_13select_configILj256ELj13ELNS0_17block_load_methodE3ELS4_3ELS4_3ELNS0_20block_scan_algorithmE0ELj4294967295EEENS1_25partition_config_selectorILNS1_17partition_subalgoE4EjNS0_10empty_typeEbEEZZNS1_14partition_implILS8_4ELb0ES6_15HIP_vector_typeIjLj2EENS0_17counting_iteratorIjlEEPS9_SG_NS0_5tupleIJPjSI_NS0_16reverse_iteratorISI_EEEEENSH_IJSG_SG_SG_EEES9_SI_JZNS1_25segmented_radix_sort_implINS0_14default_configELb0EPKiPiPKlPlN2at6native12_GLOBAL__N_18offset_tEEE10hipError_tPvRmT1_PNSt15iterator_traitsIS12_E10value_typeET2_T3_PNS13_IS18_E10value_typeET4_jRbjT5_S1E_jjP12ihipStream_tbEUljE_ZNSN_ISO_Lb0ESQ_SR_ST_SU_SY_EESZ_S10_S11_S12_S16_S17_S18_S1B_S1C_jS1D_jS1E_S1E_jjS1G_bEUljE0_EEESZ_S10_S11_S18_S1C_S1E_T6_T7_T9_mT8_S1G_bDpT10_ENKUlT_T0_E_clISt17integral_constantIbLb0EES1U_EEDaS1P_S1Q_EUlS1P_E_NS1_11comp_targetILNS1_3genE0ELNS1_11target_archE4294967295ELNS1_3gpuE0ELNS1_3repE0EEENS1_30default_config_static_selectorELNS0_4arch9wavefront6targetE0EEEvS12_
		.amdhsa_group_segment_fixed_size 0
		.amdhsa_private_segment_fixed_size 0
		.amdhsa_kernarg_size 176
		.amdhsa_user_sgpr_count 15
		.amdhsa_user_sgpr_dispatch_ptr 0
		.amdhsa_user_sgpr_queue_ptr 0
		.amdhsa_user_sgpr_kernarg_segment_ptr 1
		.amdhsa_user_sgpr_dispatch_id 0
		.amdhsa_user_sgpr_private_segment_size 0
		.amdhsa_wavefront_size32 1
		.amdhsa_uses_dynamic_stack 0
		.amdhsa_enable_private_segment 0
		.amdhsa_system_sgpr_workgroup_id_x 1
		.amdhsa_system_sgpr_workgroup_id_y 0
		.amdhsa_system_sgpr_workgroup_id_z 0
		.amdhsa_system_sgpr_workgroup_info 0
		.amdhsa_system_vgpr_workitem_id 0
		.amdhsa_next_free_vgpr 1
		.amdhsa_next_free_sgpr 1
		.amdhsa_reserve_vcc 0
		.amdhsa_float_round_mode_32 0
		.amdhsa_float_round_mode_16_64 0
		.amdhsa_float_denorm_mode_32 3
		.amdhsa_float_denorm_mode_16_64 3
		.amdhsa_dx10_clamp 1
		.amdhsa_ieee_mode 1
		.amdhsa_fp16_overflow 0
		.amdhsa_workgroup_processor_mode 1
		.amdhsa_memory_ordered 1
		.amdhsa_forward_progress 0
		.amdhsa_shared_vgpr_count 0
		.amdhsa_exception_fp_ieee_invalid_op 0
		.amdhsa_exception_fp_denorm_src 0
		.amdhsa_exception_fp_ieee_div_zero 0
		.amdhsa_exception_fp_ieee_overflow 0
		.amdhsa_exception_fp_ieee_underflow 0
		.amdhsa_exception_fp_ieee_inexact 0
		.amdhsa_exception_int_div_zero 0
	.end_amdhsa_kernel
	.section	.text._ZN7rocprim17ROCPRIM_400000_NS6detail17trampoline_kernelINS0_13select_configILj256ELj13ELNS0_17block_load_methodE3ELS4_3ELS4_3ELNS0_20block_scan_algorithmE0ELj4294967295EEENS1_25partition_config_selectorILNS1_17partition_subalgoE4EjNS0_10empty_typeEbEEZZNS1_14partition_implILS8_4ELb0ES6_15HIP_vector_typeIjLj2EENS0_17counting_iteratorIjlEEPS9_SG_NS0_5tupleIJPjSI_NS0_16reverse_iteratorISI_EEEEENSH_IJSG_SG_SG_EEES9_SI_JZNS1_25segmented_radix_sort_implINS0_14default_configELb0EPKiPiPKlPlN2at6native12_GLOBAL__N_18offset_tEEE10hipError_tPvRmT1_PNSt15iterator_traitsIS12_E10value_typeET2_T3_PNS13_IS18_E10value_typeET4_jRbjT5_S1E_jjP12ihipStream_tbEUljE_ZNSN_ISO_Lb0ESQ_SR_ST_SU_SY_EESZ_S10_S11_S12_S16_S17_S18_S1B_S1C_jS1D_jS1E_S1E_jjS1G_bEUljE0_EEESZ_S10_S11_S18_S1C_S1E_T6_T7_T9_mT8_S1G_bDpT10_ENKUlT_T0_E_clISt17integral_constantIbLb0EES1U_EEDaS1P_S1Q_EUlS1P_E_NS1_11comp_targetILNS1_3genE0ELNS1_11target_archE4294967295ELNS1_3gpuE0ELNS1_3repE0EEENS1_30default_config_static_selectorELNS0_4arch9wavefront6targetE0EEEvS12_,"axG",@progbits,_ZN7rocprim17ROCPRIM_400000_NS6detail17trampoline_kernelINS0_13select_configILj256ELj13ELNS0_17block_load_methodE3ELS4_3ELS4_3ELNS0_20block_scan_algorithmE0ELj4294967295EEENS1_25partition_config_selectorILNS1_17partition_subalgoE4EjNS0_10empty_typeEbEEZZNS1_14partition_implILS8_4ELb0ES6_15HIP_vector_typeIjLj2EENS0_17counting_iteratorIjlEEPS9_SG_NS0_5tupleIJPjSI_NS0_16reverse_iteratorISI_EEEEENSH_IJSG_SG_SG_EEES9_SI_JZNS1_25segmented_radix_sort_implINS0_14default_configELb0EPKiPiPKlPlN2at6native12_GLOBAL__N_18offset_tEEE10hipError_tPvRmT1_PNSt15iterator_traitsIS12_E10value_typeET2_T3_PNS13_IS18_E10value_typeET4_jRbjT5_S1E_jjP12ihipStream_tbEUljE_ZNSN_ISO_Lb0ESQ_SR_ST_SU_SY_EESZ_S10_S11_S12_S16_S17_S18_S1B_S1C_jS1D_jS1E_S1E_jjS1G_bEUljE0_EEESZ_S10_S11_S18_S1C_S1E_T6_T7_T9_mT8_S1G_bDpT10_ENKUlT_T0_E_clISt17integral_constantIbLb0EES1U_EEDaS1P_S1Q_EUlS1P_E_NS1_11comp_targetILNS1_3genE0ELNS1_11target_archE4294967295ELNS1_3gpuE0ELNS1_3repE0EEENS1_30default_config_static_selectorELNS0_4arch9wavefront6targetE0EEEvS12_,comdat
.Lfunc_end536:
	.size	_ZN7rocprim17ROCPRIM_400000_NS6detail17trampoline_kernelINS0_13select_configILj256ELj13ELNS0_17block_load_methodE3ELS4_3ELS4_3ELNS0_20block_scan_algorithmE0ELj4294967295EEENS1_25partition_config_selectorILNS1_17partition_subalgoE4EjNS0_10empty_typeEbEEZZNS1_14partition_implILS8_4ELb0ES6_15HIP_vector_typeIjLj2EENS0_17counting_iteratorIjlEEPS9_SG_NS0_5tupleIJPjSI_NS0_16reverse_iteratorISI_EEEEENSH_IJSG_SG_SG_EEES9_SI_JZNS1_25segmented_radix_sort_implINS0_14default_configELb0EPKiPiPKlPlN2at6native12_GLOBAL__N_18offset_tEEE10hipError_tPvRmT1_PNSt15iterator_traitsIS12_E10value_typeET2_T3_PNS13_IS18_E10value_typeET4_jRbjT5_S1E_jjP12ihipStream_tbEUljE_ZNSN_ISO_Lb0ESQ_SR_ST_SU_SY_EESZ_S10_S11_S12_S16_S17_S18_S1B_S1C_jS1D_jS1E_S1E_jjS1G_bEUljE0_EEESZ_S10_S11_S18_S1C_S1E_T6_T7_T9_mT8_S1G_bDpT10_ENKUlT_T0_E_clISt17integral_constantIbLb0EES1U_EEDaS1P_S1Q_EUlS1P_E_NS1_11comp_targetILNS1_3genE0ELNS1_11target_archE4294967295ELNS1_3gpuE0ELNS1_3repE0EEENS1_30default_config_static_selectorELNS0_4arch9wavefront6targetE0EEEvS12_, .Lfunc_end536-_ZN7rocprim17ROCPRIM_400000_NS6detail17trampoline_kernelINS0_13select_configILj256ELj13ELNS0_17block_load_methodE3ELS4_3ELS4_3ELNS0_20block_scan_algorithmE0ELj4294967295EEENS1_25partition_config_selectorILNS1_17partition_subalgoE4EjNS0_10empty_typeEbEEZZNS1_14partition_implILS8_4ELb0ES6_15HIP_vector_typeIjLj2EENS0_17counting_iteratorIjlEEPS9_SG_NS0_5tupleIJPjSI_NS0_16reverse_iteratorISI_EEEEENSH_IJSG_SG_SG_EEES9_SI_JZNS1_25segmented_radix_sort_implINS0_14default_configELb0EPKiPiPKlPlN2at6native12_GLOBAL__N_18offset_tEEE10hipError_tPvRmT1_PNSt15iterator_traitsIS12_E10value_typeET2_T3_PNS13_IS18_E10value_typeET4_jRbjT5_S1E_jjP12ihipStream_tbEUljE_ZNSN_ISO_Lb0ESQ_SR_ST_SU_SY_EESZ_S10_S11_S12_S16_S17_S18_S1B_S1C_jS1D_jS1E_S1E_jjS1G_bEUljE0_EEESZ_S10_S11_S18_S1C_S1E_T6_T7_T9_mT8_S1G_bDpT10_ENKUlT_T0_E_clISt17integral_constantIbLb0EES1U_EEDaS1P_S1Q_EUlS1P_E_NS1_11comp_targetILNS1_3genE0ELNS1_11target_archE4294967295ELNS1_3gpuE0ELNS1_3repE0EEENS1_30default_config_static_selectorELNS0_4arch9wavefront6targetE0EEEvS12_
                                        ; -- End function
	.section	.AMDGPU.csdata,"",@progbits
; Kernel info:
; codeLenInByte = 0
; NumSgprs: 0
; NumVgprs: 0
; ScratchSize: 0
; MemoryBound: 0
; FloatMode: 240
; IeeeMode: 1
; LDSByteSize: 0 bytes/workgroup (compile time only)
; SGPRBlocks: 0
; VGPRBlocks: 0
; NumSGPRsForWavesPerEU: 1
; NumVGPRsForWavesPerEU: 1
; Occupancy: 16
; WaveLimiterHint : 0
; COMPUTE_PGM_RSRC2:SCRATCH_EN: 0
; COMPUTE_PGM_RSRC2:USER_SGPR: 15
; COMPUTE_PGM_RSRC2:TRAP_HANDLER: 0
; COMPUTE_PGM_RSRC2:TGID_X_EN: 1
; COMPUTE_PGM_RSRC2:TGID_Y_EN: 0
; COMPUTE_PGM_RSRC2:TGID_Z_EN: 0
; COMPUTE_PGM_RSRC2:TIDIG_COMP_CNT: 0
	.section	.text._ZN7rocprim17ROCPRIM_400000_NS6detail17trampoline_kernelINS0_13select_configILj256ELj13ELNS0_17block_load_methodE3ELS4_3ELS4_3ELNS0_20block_scan_algorithmE0ELj4294967295EEENS1_25partition_config_selectorILNS1_17partition_subalgoE4EjNS0_10empty_typeEbEEZZNS1_14partition_implILS8_4ELb0ES6_15HIP_vector_typeIjLj2EENS0_17counting_iteratorIjlEEPS9_SG_NS0_5tupleIJPjSI_NS0_16reverse_iteratorISI_EEEEENSH_IJSG_SG_SG_EEES9_SI_JZNS1_25segmented_radix_sort_implINS0_14default_configELb0EPKiPiPKlPlN2at6native12_GLOBAL__N_18offset_tEEE10hipError_tPvRmT1_PNSt15iterator_traitsIS12_E10value_typeET2_T3_PNS13_IS18_E10value_typeET4_jRbjT5_S1E_jjP12ihipStream_tbEUljE_ZNSN_ISO_Lb0ESQ_SR_ST_SU_SY_EESZ_S10_S11_S12_S16_S17_S18_S1B_S1C_jS1D_jS1E_S1E_jjS1G_bEUljE0_EEESZ_S10_S11_S18_S1C_S1E_T6_T7_T9_mT8_S1G_bDpT10_ENKUlT_T0_E_clISt17integral_constantIbLb0EES1U_EEDaS1P_S1Q_EUlS1P_E_NS1_11comp_targetILNS1_3genE5ELNS1_11target_archE942ELNS1_3gpuE9ELNS1_3repE0EEENS1_30default_config_static_selectorELNS0_4arch9wavefront6targetE0EEEvS12_,"axG",@progbits,_ZN7rocprim17ROCPRIM_400000_NS6detail17trampoline_kernelINS0_13select_configILj256ELj13ELNS0_17block_load_methodE3ELS4_3ELS4_3ELNS0_20block_scan_algorithmE0ELj4294967295EEENS1_25partition_config_selectorILNS1_17partition_subalgoE4EjNS0_10empty_typeEbEEZZNS1_14partition_implILS8_4ELb0ES6_15HIP_vector_typeIjLj2EENS0_17counting_iteratorIjlEEPS9_SG_NS0_5tupleIJPjSI_NS0_16reverse_iteratorISI_EEEEENSH_IJSG_SG_SG_EEES9_SI_JZNS1_25segmented_radix_sort_implINS0_14default_configELb0EPKiPiPKlPlN2at6native12_GLOBAL__N_18offset_tEEE10hipError_tPvRmT1_PNSt15iterator_traitsIS12_E10value_typeET2_T3_PNS13_IS18_E10value_typeET4_jRbjT5_S1E_jjP12ihipStream_tbEUljE_ZNSN_ISO_Lb0ESQ_SR_ST_SU_SY_EESZ_S10_S11_S12_S16_S17_S18_S1B_S1C_jS1D_jS1E_S1E_jjS1G_bEUljE0_EEESZ_S10_S11_S18_S1C_S1E_T6_T7_T9_mT8_S1G_bDpT10_ENKUlT_T0_E_clISt17integral_constantIbLb0EES1U_EEDaS1P_S1Q_EUlS1P_E_NS1_11comp_targetILNS1_3genE5ELNS1_11target_archE942ELNS1_3gpuE9ELNS1_3repE0EEENS1_30default_config_static_selectorELNS0_4arch9wavefront6targetE0EEEvS12_,comdat
	.globl	_ZN7rocprim17ROCPRIM_400000_NS6detail17trampoline_kernelINS0_13select_configILj256ELj13ELNS0_17block_load_methodE3ELS4_3ELS4_3ELNS0_20block_scan_algorithmE0ELj4294967295EEENS1_25partition_config_selectorILNS1_17partition_subalgoE4EjNS0_10empty_typeEbEEZZNS1_14partition_implILS8_4ELb0ES6_15HIP_vector_typeIjLj2EENS0_17counting_iteratorIjlEEPS9_SG_NS0_5tupleIJPjSI_NS0_16reverse_iteratorISI_EEEEENSH_IJSG_SG_SG_EEES9_SI_JZNS1_25segmented_radix_sort_implINS0_14default_configELb0EPKiPiPKlPlN2at6native12_GLOBAL__N_18offset_tEEE10hipError_tPvRmT1_PNSt15iterator_traitsIS12_E10value_typeET2_T3_PNS13_IS18_E10value_typeET4_jRbjT5_S1E_jjP12ihipStream_tbEUljE_ZNSN_ISO_Lb0ESQ_SR_ST_SU_SY_EESZ_S10_S11_S12_S16_S17_S18_S1B_S1C_jS1D_jS1E_S1E_jjS1G_bEUljE0_EEESZ_S10_S11_S18_S1C_S1E_T6_T7_T9_mT8_S1G_bDpT10_ENKUlT_T0_E_clISt17integral_constantIbLb0EES1U_EEDaS1P_S1Q_EUlS1P_E_NS1_11comp_targetILNS1_3genE5ELNS1_11target_archE942ELNS1_3gpuE9ELNS1_3repE0EEENS1_30default_config_static_selectorELNS0_4arch9wavefront6targetE0EEEvS12_ ; -- Begin function _ZN7rocprim17ROCPRIM_400000_NS6detail17trampoline_kernelINS0_13select_configILj256ELj13ELNS0_17block_load_methodE3ELS4_3ELS4_3ELNS0_20block_scan_algorithmE0ELj4294967295EEENS1_25partition_config_selectorILNS1_17partition_subalgoE4EjNS0_10empty_typeEbEEZZNS1_14partition_implILS8_4ELb0ES6_15HIP_vector_typeIjLj2EENS0_17counting_iteratorIjlEEPS9_SG_NS0_5tupleIJPjSI_NS0_16reverse_iteratorISI_EEEEENSH_IJSG_SG_SG_EEES9_SI_JZNS1_25segmented_radix_sort_implINS0_14default_configELb0EPKiPiPKlPlN2at6native12_GLOBAL__N_18offset_tEEE10hipError_tPvRmT1_PNSt15iterator_traitsIS12_E10value_typeET2_T3_PNS13_IS18_E10value_typeET4_jRbjT5_S1E_jjP12ihipStream_tbEUljE_ZNSN_ISO_Lb0ESQ_SR_ST_SU_SY_EESZ_S10_S11_S12_S16_S17_S18_S1B_S1C_jS1D_jS1E_S1E_jjS1G_bEUljE0_EEESZ_S10_S11_S18_S1C_S1E_T6_T7_T9_mT8_S1G_bDpT10_ENKUlT_T0_E_clISt17integral_constantIbLb0EES1U_EEDaS1P_S1Q_EUlS1P_E_NS1_11comp_targetILNS1_3genE5ELNS1_11target_archE942ELNS1_3gpuE9ELNS1_3repE0EEENS1_30default_config_static_selectorELNS0_4arch9wavefront6targetE0EEEvS12_
	.p2align	8
	.type	_ZN7rocprim17ROCPRIM_400000_NS6detail17trampoline_kernelINS0_13select_configILj256ELj13ELNS0_17block_load_methodE3ELS4_3ELS4_3ELNS0_20block_scan_algorithmE0ELj4294967295EEENS1_25partition_config_selectorILNS1_17partition_subalgoE4EjNS0_10empty_typeEbEEZZNS1_14partition_implILS8_4ELb0ES6_15HIP_vector_typeIjLj2EENS0_17counting_iteratorIjlEEPS9_SG_NS0_5tupleIJPjSI_NS0_16reverse_iteratorISI_EEEEENSH_IJSG_SG_SG_EEES9_SI_JZNS1_25segmented_radix_sort_implINS0_14default_configELb0EPKiPiPKlPlN2at6native12_GLOBAL__N_18offset_tEEE10hipError_tPvRmT1_PNSt15iterator_traitsIS12_E10value_typeET2_T3_PNS13_IS18_E10value_typeET4_jRbjT5_S1E_jjP12ihipStream_tbEUljE_ZNSN_ISO_Lb0ESQ_SR_ST_SU_SY_EESZ_S10_S11_S12_S16_S17_S18_S1B_S1C_jS1D_jS1E_S1E_jjS1G_bEUljE0_EEESZ_S10_S11_S18_S1C_S1E_T6_T7_T9_mT8_S1G_bDpT10_ENKUlT_T0_E_clISt17integral_constantIbLb0EES1U_EEDaS1P_S1Q_EUlS1P_E_NS1_11comp_targetILNS1_3genE5ELNS1_11target_archE942ELNS1_3gpuE9ELNS1_3repE0EEENS1_30default_config_static_selectorELNS0_4arch9wavefront6targetE0EEEvS12_,@function
_ZN7rocprim17ROCPRIM_400000_NS6detail17trampoline_kernelINS0_13select_configILj256ELj13ELNS0_17block_load_methodE3ELS4_3ELS4_3ELNS0_20block_scan_algorithmE0ELj4294967295EEENS1_25partition_config_selectorILNS1_17partition_subalgoE4EjNS0_10empty_typeEbEEZZNS1_14partition_implILS8_4ELb0ES6_15HIP_vector_typeIjLj2EENS0_17counting_iteratorIjlEEPS9_SG_NS0_5tupleIJPjSI_NS0_16reverse_iteratorISI_EEEEENSH_IJSG_SG_SG_EEES9_SI_JZNS1_25segmented_radix_sort_implINS0_14default_configELb0EPKiPiPKlPlN2at6native12_GLOBAL__N_18offset_tEEE10hipError_tPvRmT1_PNSt15iterator_traitsIS12_E10value_typeET2_T3_PNS13_IS18_E10value_typeET4_jRbjT5_S1E_jjP12ihipStream_tbEUljE_ZNSN_ISO_Lb0ESQ_SR_ST_SU_SY_EESZ_S10_S11_S12_S16_S17_S18_S1B_S1C_jS1D_jS1E_S1E_jjS1G_bEUljE0_EEESZ_S10_S11_S18_S1C_S1E_T6_T7_T9_mT8_S1G_bDpT10_ENKUlT_T0_E_clISt17integral_constantIbLb0EES1U_EEDaS1P_S1Q_EUlS1P_E_NS1_11comp_targetILNS1_3genE5ELNS1_11target_archE942ELNS1_3gpuE9ELNS1_3repE0EEENS1_30default_config_static_selectorELNS0_4arch9wavefront6targetE0EEEvS12_: ; @_ZN7rocprim17ROCPRIM_400000_NS6detail17trampoline_kernelINS0_13select_configILj256ELj13ELNS0_17block_load_methodE3ELS4_3ELS4_3ELNS0_20block_scan_algorithmE0ELj4294967295EEENS1_25partition_config_selectorILNS1_17partition_subalgoE4EjNS0_10empty_typeEbEEZZNS1_14partition_implILS8_4ELb0ES6_15HIP_vector_typeIjLj2EENS0_17counting_iteratorIjlEEPS9_SG_NS0_5tupleIJPjSI_NS0_16reverse_iteratorISI_EEEEENSH_IJSG_SG_SG_EEES9_SI_JZNS1_25segmented_radix_sort_implINS0_14default_configELb0EPKiPiPKlPlN2at6native12_GLOBAL__N_18offset_tEEE10hipError_tPvRmT1_PNSt15iterator_traitsIS12_E10value_typeET2_T3_PNS13_IS18_E10value_typeET4_jRbjT5_S1E_jjP12ihipStream_tbEUljE_ZNSN_ISO_Lb0ESQ_SR_ST_SU_SY_EESZ_S10_S11_S12_S16_S17_S18_S1B_S1C_jS1D_jS1E_S1E_jjS1G_bEUljE0_EEESZ_S10_S11_S18_S1C_S1E_T6_T7_T9_mT8_S1G_bDpT10_ENKUlT_T0_E_clISt17integral_constantIbLb0EES1U_EEDaS1P_S1Q_EUlS1P_E_NS1_11comp_targetILNS1_3genE5ELNS1_11target_archE942ELNS1_3gpuE9ELNS1_3repE0EEENS1_30default_config_static_selectorELNS0_4arch9wavefront6targetE0EEEvS12_
; %bb.0:
	.section	.rodata,"a",@progbits
	.p2align	6, 0x0
	.amdhsa_kernel _ZN7rocprim17ROCPRIM_400000_NS6detail17trampoline_kernelINS0_13select_configILj256ELj13ELNS0_17block_load_methodE3ELS4_3ELS4_3ELNS0_20block_scan_algorithmE0ELj4294967295EEENS1_25partition_config_selectorILNS1_17partition_subalgoE4EjNS0_10empty_typeEbEEZZNS1_14partition_implILS8_4ELb0ES6_15HIP_vector_typeIjLj2EENS0_17counting_iteratorIjlEEPS9_SG_NS0_5tupleIJPjSI_NS0_16reverse_iteratorISI_EEEEENSH_IJSG_SG_SG_EEES9_SI_JZNS1_25segmented_radix_sort_implINS0_14default_configELb0EPKiPiPKlPlN2at6native12_GLOBAL__N_18offset_tEEE10hipError_tPvRmT1_PNSt15iterator_traitsIS12_E10value_typeET2_T3_PNS13_IS18_E10value_typeET4_jRbjT5_S1E_jjP12ihipStream_tbEUljE_ZNSN_ISO_Lb0ESQ_SR_ST_SU_SY_EESZ_S10_S11_S12_S16_S17_S18_S1B_S1C_jS1D_jS1E_S1E_jjS1G_bEUljE0_EEESZ_S10_S11_S18_S1C_S1E_T6_T7_T9_mT8_S1G_bDpT10_ENKUlT_T0_E_clISt17integral_constantIbLb0EES1U_EEDaS1P_S1Q_EUlS1P_E_NS1_11comp_targetILNS1_3genE5ELNS1_11target_archE942ELNS1_3gpuE9ELNS1_3repE0EEENS1_30default_config_static_selectorELNS0_4arch9wavefront6targetE0EEEvS12_
		.amdhsa_group_segment_fixed_size 0
		.amdhsa_private_segment_fixed_size 0
		.amdhsa_kernarg_size 176
		.amdhsa_user_sgpr_count 15
		.amdhsa_user_sgpr_dispatch_ptr 0
		.amdhsa_user_sgpr_queue_ptr 0
		.amdhsa_user_sgpr_kernarg_segment_ptr 1
		.amdhsa_user_sgpr_dispatch_id 0
		.amdhsa_user_sgpr_private_segment_size 0
		.amdhsa_wavefront_size32 1
		.amdhsa_uses_dynamic_stack 0
		.amdhsa_enable_private_segment 0
		.amdhsa_system_sgpr_workgroup_id_x 1
		.amdhsa_system_sgpr_workgroup_id_y 0
		.amdhsa_system_sgpr_workgroup_id_z 0
		.amdhsa_system_sgpr_workgroup_info 0
		.amdhsa_system_vgpr_workitem_id 0
		.amdhsa_next_free_vgpr 1
		.amdhsa_next_free_sgpr 1
		.amdhsa_reserve_vcc 0
		.amdhsa_float_round_mode_32 0
		.amdhsa_float_round_mode_16_64 0
		.amdhsa_float_denorm_mode_32 3
		.amdhsa_float_denorm_mode_16_64 3
		.amdhsa_dx10_clamp 1
		.amdhsa_ieee_mode 1
		.amdhsa_fp16_overflow 0
		.amdhsa_workgroup_processor_mode 1
		.amdhsa_memory_ordered 1
		.amdhsa_forward_progress 0
		.amdhsa_shared_vgpr_count 0
		.amdhsa_exception_fp_ieee_invalid_op 0
		.amdhsa_exception_fp_denorm_src 0
		.amdhsa_exception_fp_ieee_div_zero 0
		.amdhsa_exception_fp_ieee_overflow 0
		.amdhsa_exception_fp_ieee_underflow 0
		.amdhsa_exception_fp_ieee_inexact 0
		.amdhsa_exception_int_div_zero 0
	.end_amdhsa_kernel
	.section	.text._ZN7rocprim17ROCPRIM_400000_NS6detail17trampoline_kernelINS0_13select_configILj256ELj13ELNS0_17block_load_methodE3ELS4_3ELS4_3ELNS0_20block_scan_algorithmE0ELj4294967295EEENS1_25partition_config_selectorILNS1_17partition_subalgoE4EjNS0_10empty_typeEbEEZZNS1_14partition_implILS8_4ELb0ES6_15HIP_vector_typeIjLj2EENS0_17counting_iteratorIjlEEPS9_SG_NS0_5tupleIJPjSI_NS0_16reverse_iteratorISI_EEEEENSH_IJSG_SG_SG_EEES9_SI_JZNS1_25segmented_radix_sort_implINS0_14default_configELb0EPKiPiPKlPlN2at6native12_GLOBAL__N_18offset_tEEE10hipError_tPvRmT1_PNSt15iterator_traitsIS12_E10value_typeET2_T3_PNS13_IS18_E10value_typeET4_jRbjT5_S1E_jjP12ihipStream_tbEUljE_ZNSN_ISO_Lb0ESQ_SR_ST_SU_SY_EESZ_S10_S11_S12_S16_S17_S18_S1B_S1C_jS1D_jS1E_S1E_jjS1G_bEUljE0_EEESZ_S10_S11_S18_S1C_S1E_T6_T7_T9_mT8_S1G_bDpT10_ENKUlT_T0_E_clISt17integral_constantIbLb0EES1U_EEDaS1P_S1Q_EUlS1P_E_NS1_11comp_targetILNS1_3genE5ELNS1_11target_archE942ELNS1_3gpuE9ELNS1_3repE0EEENS1_30default_config_static_selectorELNS0_4arch9wavefront6targetE0EEEvS12_,"axG",@progbits,_ZN7rocprim17ROCPRIM_400000_NS6detail17trampoline_kernelINS0_13select_configILj256ELj13ELNS0_17block_load_methodE3ELS4_3ELS4_3ELNS0_20block_scan_algorithmE0ELj4294967295EEENS1_25partition_config_selectorILNS1_17partition_subalgoE4EjNS0_10empty_typeEbEEZZNS1_14partition_implILS8_4ELb0ES6_15HIP_vector_typeIjLj2EENS0_17counting_iteratorIjlEEPS9_SG_NS0_5tupleIJPjSI_NS0_16reverse_iteratorISI_EEEEENSH_IJSG_SG_SG_EEES9_SI_JZNS1_25segmented_radix_sort_implINS0_14default_configELb0EPKiPiPKlPlN2at6native12_GLOBAL__N_18offset_tEEE10hipError_tPvRmT1_PNSt15iterator_traitsIS12_E10value_typeET2_T3_PNS13_IS18_E10value_typeET4_jRbjT5_S1E_jjP12ihipStream_tbEUljE_ZNSN_ISO_Lb0ESQ_SR_ST_SU_SY_EESZ_S10_S11_S12_S16_S17_S18_S1B_S1C_jS1D_jS1E_S1E_jjS1G_bEUljE0_EEESZ_S10_S11_S18_S1C_S1E_T6_T7_T9_mT8_S1G_bDpT10_ENKUlT_T0_E_clISt17integral_constantIbLb0EES1U_EEDaS1P_S1Q_EUlS1P_E_NS1_11comp_targetILNS1_3genE5ELNS1_11target_archE942ELNS1_3gpuE9ELNS1_3repE0EEENS1_30default_config_static_selectorELNS0_4arch9wavefront6targetE0EEEvS12_,comdat
.Lfunc_end537:
	.size	_ZN7rocprim17ROCPRIM_400000_NS6detail17trampoline_kernelINS0_13select_configILj256ELj13ELNS0_17block_load_methodE3ELS4_3ELS4_3ELNS0_20block_scan_algorithmE0ELj4294967295EEENS1_25partition_config_selectorILNS1_17partition_subalgoE4EjNS0_10empty_typeEbEEZZNS1_14partition_implILS8_4ELb0ES6_15HIP_vector_typeIjLj2EENS0_17counting_iteratorIjlEEPS9_SG_NS0_5tupleIJPjSI_NS0_16reverse_iteratorISI_EEEEENSH_IJSG_SG_SG_EEES9_SI_JZNS1_25segmented_radix_sort_implINS0_14default_configELb0EPKiPiPKlPlN2at6native12_GLOBAL__N_18offset_tEEE10hipError_tPvRmT1_PNSt15iterator_traitsIS12_E10value_typeET2_T3_PNS13_IS18_E10value_typeET4_jRbjT5_S1E_jjP12ihipStream_tbEUljE_ZNSN_ISO_Lb0ESQ_SR_ST_SU_SY_EESZ_S10_S11_S12_S16_S17_S18_S1B_S1C_jS1D_jS1E_S1E_jjS1G_bEUljE0_EEESZ_S10_S11_S18_S1C_S1E_T6_T7_T9_mT8_S1G_bDpT10_ENKUlT_T0_E_clISt17integral_constantIbLb0EES1U_EEDaS1P_S1Q_EUlS1P_E_NS1_11comp_targetILNS1_3genE5ELNS1_11target_archE942ELNS1_3gpuE9ELNS1_3repE0EEENS1_30default_config_static_selectorELNS0_4arch9wavefront6targetE0EEEvS12_, .Lfunc_end537-_ZN7rocprim17ROCPRIM_400000_NS6detail17trampoline_kernelINS0_13select_configILj256ELj13ELNS0_17block_load_methodE3ELS4_3ELS4_3ELNS0_20block_scan_algorithmE0ELj4294967295EEENS1_25partition_config_selectorILNS1_17partition_subalgoE4EjNS0_10empty_typeEbEEZZNS1_14partition_implILS8_4ELb0ES6_15HIP_vector_typeIjLj2EENS0_17counting_iteratorIjlEEPS9_SG_NS0_5tupleIJPjSI_NS0_16reverse_iteratorISI_EEEEENSH_IJSG_SG_SG_EEES9_SI_JZNS1_25segmented_radix_sort_implINS0_14default_configELb0EPKiPiPKlPlN2at6native12_GLOBAL__N_18offset_tEEE10hipError_tPvRmT1_PNSt15iterator_traitsIS12_E10value_typeET2_T3_PNS13_IS18_E10value_typeET4_jRbjT5_S1E_jjP12ihipStream_tbEUljE_ZNSN_ISO_Lb0ESQ_SR_ST_SU_SY_EESZ_S10_S11_S12_S16_S17_S18_S1B_S1C_jS1D_jS1E_S1E_jjS1G_bEUljE0_EEESZ_S10_S11_S18_S1C_S1E_T6_T7_T9_mT8_S1G_bDpT10_ENKUlT_T0_E_clISt17integral_constantIbLb0EES1U_EEDaS1P_S1Q_EUlS1P_E_NS1_11comp_targetILNS1_3genE5ELNS1_11target_archE942ELNS1_3gpuE9ELNS1_3repE0EEENS1_30default_config_static_selectorELNS0_4arch9wavefront6targetE0EEEvS12_
                                        ; -- End function
	.section	.AMDGPU.csdata,"",@progbits
; Kernel info:
; codeLenInByte = 0
; NumSgprs: 0
; NumVgprs: 0
; ScratchSize: 0
; MemoryBound: 0
; FloatMode: 240
; IeeeMode: 1
; LDSByteSize: 0 bytes/workgroup (compile time only)
; SGPRBlocks: 0
; VGPRBlocks: 0
; NumSGPRsForWavesPerEU: 1
; NumVGPRsForWavesPerEU: 1
; Occupancy: 16
; WaveLimiterHint : 0
; COMPUTE_PGM_RSRC2:SCRATCH_EN: 0
; COMPUTE_PGM_RSRC2:USER_SGPR: 15
; COMPUTE_PGM_RSRC2:TRAP_HANDLER: 0
; COMPUTE_PGM_RSRC2:TGID_X_EN: 1
; COMPUTE_PGM_RSRC2:TGID_Y_EN: 0
; COMPUTE_PGM_RSRC2:TGID_Z_EN: 0
; COMPUTE_PGM_RSRC2:TIDIG_COMP_CNT: 0
	.section	.text._ZN7rocprim17ROCPRIM_400000_NS6detail17trampoline_kernelINS0_13select_configILj256ELj13ELNS0_17block_load_methodE3ELS4_3ELS4_3ELNS0_20block_scan_algorithmE0ELj4294967295EEENS1_25partition_config_selectorILNS1_17partition_subalgoE4EjNS0_10empty_typeEbEEZZNS1_14partition_implILS8_4ELb0ES6_15HIP_vector_typeIjLj2EENS0_17counting_iteratorIjlEEPS9_SG_NS0_5tupleIJPjSI_NS0_16reverse_iteratorISI_EEEEENSH_IJSG_SG_SG_EEES9_SI_JZNS1_25segmented_radix_sort_implINS0_14default_configELb0EPKiPiPKlPlN2at6native12_GLOBAL__N_18offset_tEEE10hipError_tPvRmT1_PNSt15iterator_traitsIS12_E10value_typeET2_T3_PNS13_IS18_E10value_typeET4_jRbjT5_S1E_jjP12ihipStream_tbEUljE_ZNSN_ISO_Lb0ESQ_SR_ST_SU_SY_EESZ_S10_S11_S12_S16_S17_S18_S1B_S1C_jS1D_jS1E_S1E_jjS1G_bEUljE0_EEESZ_S10_S11_S18_S1C_S1E_T6_T7_T9_mT8_S1G_bDpT10_ENKUlT_T0_E_clISt17integral_constantIbLb0EES1U_EEDaS1P_S1Q_EUlS1P_E_NS1_11comp_targetILNS1_3genE4ELNS1_11target_archE910ELNS1_3gpuE8ELNS1_3repE0EEENS1_30default_config_static_selectorELNS0_4arch9wavefront6targetE0EEEvS12_,"axG",@progbits,_ZN7rocprim17ROCPRIM_400000_NS6detail17trampoline_kernelINS0_13select_configILj256ELj13ELNS0_17block_load_methodE3ELS4_3ELS4_3ELNS0_20block_scan_algorithmE0ELj4294967295EEENS1_25partition_config_selectorILNS1_17partition_subalgoE4EjNS0_10empty_typeEbEEZZNS1_14partition_implILS8_4ELb0ES6_15HIP_vector_typeIjLj2EENS0_17counting_iteratorIjlEEPS9_SG_NS0_5tupleIJPjSI_NS0_16reverse_iteratorISI_EEEEENSH_IJSG_SG_SG_EEES9_SI_JZNS1_25segmented_radix_sort_implINS0_14default_configELb0EPKiPiPKlPlN2at6native12_GLOBAL__N_18offset_tEEE10hipError_tPvRmT1_PNSt15iterator_traitsIS12_E10value_typeET2_T3_PNS13_IS18_E10value_typeET4_jRbjT5_S1E_jjP12ihipStream_tbEUljE_ZNSN_ISO_Lb0ESQ_SR_ST_SU_SY_EESZ_S10_S11_S12_S16_S17_S18_S1B_S1C_jS1D_jS1E_S1E_jjS1G_bEUljE0_EEESZ_S10_S11_S18_S1C_S1E_T6_T7_T9_mT8_S1G_bDpT10_ENKUlT_T0_E_clISt17integral_constantIbLb0EES1U_EEDaS1P_S1Q_EUlS1P_E_NS1_11comp_targetILNS1_3genE4ELNS1_11target_archE910ELNS1_3gpuE8ELNS1_3repE0EEENS1_30default_config_static_selectorELNS0_4arch9wavefront6targetE0EEEvS12_,comdat
	.globl	_ZN7rocprim17ROCPRIM_400000_NS6detail17trampoline_kernelINS0_13select_configILj256ELj13ELNS0_17block_load_methodE3ELS4_3ELS4_3ELNS0_20block_scan_algorithmE0ELj4294967295EEENS1_25partition_config_selectorILNS1_17partition_subalgoE4EjNS0_10empty_typeEbEEZZNS1_14partition_implILS8_4ELb0ES6_15HIP_vector_typeIjLj2EENS0_17counting_iteratorIjlEEPS9_SG_NS0_5tupleIJPjSI_NS0_16reverse_iteratorISI_EEEEENSH_IJSG_SG_SG_EEES9_SI_JZNS1_25segmented_radix_sort_implINS0_14default_configELb0EPKiPiPKlPlN2at6native12_GLOBAL__N_18offset_tEEE10hipError_tPvRmT1_PNSt15iterator_traitsIS12_E10value_typeET2_T3_PNS13_IS18_E10value_typeET4_jRbjT5_S1E_jjP12ihipStream_tbEUljE_ZNSN_ISO_Lb0ESQ_SR_ST_SU_SY_EESZ_S10_S11_S12_S16_S17_S18_S1B_S1C_jS1D_jS1E_S1E_jjS1G_bEUljE0_EEESZ_S10_S11_S18_S1C_S1E_T6_T7_T9_mT8_S1G_bDpT10_ENKUlT_T0_E_clISt17integral_constantIbLb0EES1U_EEDaS1P_S1Q_EUlS1P_E_NS1_11comp_targetILNS1_3genE4ELNS1_11target_archE910ELNS1_3gpuE8ELNS1_3repE0EEENS1_30default_config_static_selectorELNS0_4arch9wavefront6targetE0EEEvS12_ ; -- Begin function _ZN7rocprim17ROCPRIM_400000_NS6detail17trampoline_kernelINS0_13select_configILj256ELj13ELNS0_17block_load_methodE3ELS4_3ELS4_3ELNS0_20block_scan_algorithmE0ELj4294967295EEENS1_25partition_config_selectorILNS1_17partition_subalgoE4EjNS0_10empty_typeEbEEZZNS1_14partition_implILS8_4ELb0ES6_15HIP_vector_typeIjLj2EENS0_17counting_iteratorIjlEEPS9_SG_NS0_5tupleIJPjSI_NS0_16reverse_iteratorISI_EEEEENSH_IJSG_SG_SG_EEES9_SI_JZNS1_25segmented_radix_sort_implINS0_14default_configELb0EPKiPiPKlPlN2at6native12_GLOBAL__N_18offset_tEEE10hipError_tPvRmT1_PNSt15iterator_traitsIS12_E10value_typeET2_T3_PNS13_IS18_E10value_typeET4_jRbjT5_S1E_jjP12ihipStream_tbEUljE_ZNSN_ISO_Lb0ESQ_SR_ST_SU_SY_EESZ_S10_S11_S12_S16_S17_S18_S1B_S1C_jS1D_jS1E_S1E_jjS1G_bEUljE0_EEESZ_S10_S11_S18_S1C_S1E_T6_T7_T9_mT8_S1G_bDpT10_ENKUlT_T0_E_clISt17integral_constantIbLb0EES1U_EEDaS1P_S1Q_EUlS1P_E_NS1_11comp_targetILNS1_3genE4ELNS1_11target_archE910ELNS1_3gpuE8ELNS1_3repE0EEENS1_30default_config_static_selectorELNS0_4arch9wavefront6targetE0EEEvS12_
	.p2align	8
	.type	_ZN7rocprim17ROCPRIM_400000_NS6detail17trampoline_kernelINS0_13select_configILj256ELj13ELNS0_17block_load_methodE3ELS4_3ELS4_3ELNS0_20block_scan_algorithmE0ELj4294967295EEENS1_25partition_config_selectorILNS1_17partition_subalgoE4EjNS0_10empty_typeEbEEZZNS1_14partition_implILS8_4ELb0ES6_15HIP_vector_typeIjLj2EENS0_17counting_iteratorIjlEEPS9_SG_NS0_5tupleIJPjSI_NS0_16reverse_iteratorISI_EEEEENSH_IJSG_SG_SG_EEES9_SI_JZNS1_25segmented_radix_sort_implINS0_14default_configELb0EPKiPiPKlPlN2at6native12_GLOBAL__N_18offset_tEEE10hipError_tPvRmT1_PNSt15iterator_traitsIS12_E10value_typeET2_T3_PNS13_IS18_E10value_typeET4_jRbjT5_S1E_jjP12ihipStream_tbEUljE_ZNSN_ISO_Lb0ESQ_SR_ST_SU_SY_EESZ_S10_S11_S12_S16_S17_S18_S1B_S1C_jS1D_jS1E_S1E_jjS1G_bEUljE0_EEESZ_S10_S11_S18_S1C_S1E_T6_T7_T9_mT8_S1G_bDpT10_ENKUlT_T0_E_clISt17integral_constantIbLb0EES1U_EEDaS1P_S1Q_EUlS1P_E_NS1_11comp_targetILNS1_3genE4ELNS1_11target_archE910ELNS1_3gpuE8ELNS1_3repE0EEENS1_30default_config_static_selectorELNS0_4arch9wavefront6targetE0EEEvS12_,@function
_ZN7rocprim17ROCPRIM_400000_NS6detail17trampoline_kernelINS0_13select_configILj256ELj13ELNS0_17block_load_methodE3ELS4_3ELS4_3ELNS0_20block_scan_algorithmE0ELj4294967295EEENS1_25partition_config_selectorILNS1_17partition_subalgoE4EjNS0_10empty_typeEbEEZZNS1_14partition_implILS8_4ELb0ES6_15HIP_vector_typeIjLj2EENS0_17counting_iteratorIjlEEPS9_SG_NS0_5tupleIJPjSI_NS0_16reverse_iteratorISI_EEEEENSH_IJSG_SG_SG_EEES9_SI_JZNS1_25segmented_radix_sort_implINS0_14default_configELb0EPKiPiPKlPlN2at6native12_GLOBAL__N_18offset_tEEE10hipError_tPvRmT1_PNSt15iterator_traitsIS12_E10value_typeET2_T3_PNS13_IS18_E10value_typeET4_jRbjT5_S1E_jjP12ihipStream_tbEUljE_ZNSN_ISO_Lb0ESQ_SR_ST_SU_SY_EESZ_S10_S11_S12_S16_S17_S18_S1B_S1C_jS1D_jS1E_S1E_jjS1G_bEUljE0_EEESZ_S10_S11_S18_S1C_S1E_T6_T7_T9_mT8_S1G_bDpT10_ENKUlT_T0_E_clISt17integral_constantIbLb0EES1U_EEDaS1P_S1Q_EUlS1P_E_NS1_11comp_targetILNS1_3genE4ELNS1_11target_archE910ELNS1_3gpuE8ELNS1_3repE0EEENS1_30default_config_static_selectorELNS0_4arch9wavefront6targetE0EEEvS12_: ; @_ZN7rocprim17ROCPRIM_400000_NS6detail17trampoline_kernelINS0_13select_configILj256ELj13ELNS0_17block_load_methodE3ELS4_3ELS4_3ELNS0_20block_scan_algorithmE0ELj4294967295EEENS1_25partition_config_selectorILNS1_17partition_subalgoE4EjNS0_10empty_typeEbEEZZNS1_14partition_implILS8_4ELb0ES6_15HIP_vector_typeIjLj2EENS0_17counting_iteratorIjlEEPS9_SG_NS0_5tupleIJPjSI_NS0_16reverse_iteratorISI_EEEEENSH_IJSG_SG_SG_EEES9_SI_JZNS1_25segmented_radix_sort_implINS0_14default_configELb0EPKiPiPKlPlN2at6native12_GLOBAL__N_18offset_tEEE10hipError_tPvRmT1_PNSt15iterator_traitsIS12_E10value_typeET2_T3_PNS13_IS18_E10value_typeET4_jRbjT5_S1E_jjP12ihipStream_tbEUljE_ZNSN_ISO_Lb0ESQ_SR_ST_SU_SY_EESZ_S10_S11_S12_S16_S17_S18_S1B_S1C_jS1D_jS1E_S1E_jjS1G_bEUljE0_EEESZ_S10_S11_S18_S1C_S1E_T6_T7_T9_mT8_S1G_bDpT10_ENKUlT_T0_E_clISt17integral_constantIbLb0EES1U_EEDaS1P_S1Q_EUlS1P_E_NS1_11comp_targetILNS1_3genE4ELNS1_11target_archE910ELNS1_3gpuE8ELNS1_3repE0EEENS1_30default_config_static_selectorELNS0_4arch9wavefront6targetE0EEEvS12_
; %bb.0:
	.section	.rodata,"a",@progbits
	.p2align	6, 0x0
	.amdhsa_kernel _ZN7rocprim17ROCPRIM_400000_NS6detail17trampoline_kernelINS0_13select_configILj256ELj13ELNS0_17block_load_methodE3ELS4_3ELS4_3ELNS0_20block_scan_algorithmE0ELj4294967295EEENS1_25partition_config_selectorILNS1_17partition_subalgoE4EjNS0_10empty_typeEbEEZZNS1_14partition_implILS8_4ELb0ES6_15HIP_vector_typeIjLj2EENS0_17counting_iteratorIjlEEPS9_SG_NS0_5tupleIJPjSI_NS0_16reverse_iteratorISI_EEEEENSH_IJSG_SG_SG_EEES9_SI_JZNS1_25segmented_radix_sort_implINS0_14default_configELb0EPKiPiPKlPlN2at6native12_GLOBAL__N_18offset_tEEE10hipError_tPvRmT1_PNSt15iterator_traitsIS12_E10value_typeET2_T3_PNS13_IS18_E10value_typeET4_jRbjT5_S1E_jjP12ihipStream_tbEUljE_ZNSN_ISO_Lb0ESQ_SR_ST_SU_SY_EESZ_S10_S11_S12_S16_S17_S18_S1B_S1C_jS1D_jS1E_S1E_jjS1G_bEUljE0_EEESZ_S10_S11_S18_S1C_S1E_T6_T7_T9_mT8_S1G_bDpT10_ENKUlT_T0_E_clISt17integral_constantIbLb0EES1U_EEDaS1P_S1Q_EUlS1P_E_NS1_11comp_targetILNS1_3genE4ELNS1_11target_archE910ELNS1_3gpuE8ELNS1_3repE0EEENS1_30default_config_static_selectorELNS0_4arch9wavefront6targetE0EEEvS12_
		.amdhsa_group_segment_fixed_size 0
		.amdhsa_private_segment_fixed_size 0
		.amdhsa_kernarg_size 176
		.amdhsa_user_sgpr_count 15
		.amdhsa_user_sgpr_dispatch_ptr 0
		.amdhsa_user_sgpr_queue_ptr 0
		.amdhsa_user_sgpr_kernarg_segment_ptr 1
		.amdhsa_user_sgpr_dispatch_id 0
		.amdhsa_user_sgpr_private_segment_size 0
		.amdhsa_wavefront_size32 1
		.amdhsa_uses_dynamic_stack 0
		.amdhsa_enable_private_segment 0
		.amdhsa_system_sgpr_workgroup_id_x 1
		.amdhsa_system_sgpr_workgroup_id_y 0
		.amdhsa_system_sgpr_workgroup_id_z 0
		.amdhsa_system_sgpr_workgroup_info 0
		.amdhsa_system_vgpr_workitem_id 0
		.amdhsa_next_free_vgpr 1
		.amdhsa_next_free_sgpr 1
		.amdhsa_reserve_vcc 0
		.amdhsa_float_round_mode_32 0
		.amdhsa_float_round_mode_16_64 0
		.amdhsa_float_denorm_mode_32 3
		.amdhsa_float_denorm_mode_16_64 3
		.amdhsa_dx10_clamp 1
		.amdhsa_ieee_mode 1
		.amdhsa_fp16_overflow 0
		.amdhsa_workgroup_processor_mode 1
		.amdhsa_memory_ordered 1
		.amdhsa_forward_progress 0
		.amdhsa_shared_vgpr_count 0
		.amdhsa_exception_fp_ieee_invalid_op 0
		.amdhsa_exception_fp_denorm_src 0
		.amdhsa_exception_fp_ieee_div_zero 0
		.amdhsa_exception_fp_ieee_overflow 0
		.amdhsa_exception_fp_ieee_underflow 0
		.amdhsa_exception_fp_ieee_inexact 0
		.amdhsa_exception_int_div_zero 0
	.end_amdhsa_kernel
	.section	.text._ZN7rocprim17ROCPRIM_400000_NS6detail17trampoline_kernelINS0_13select_configILj256ELj13ELNS0_17block_load_methodE3ELS4_3ELS4_3ELNS0_20block_scan_algorithmE0ELj4294967295EEENS1_25partition_config_selectorILNS1_17partition_subalgoE4EjNS0_10empty_typeEbEEZZNS1_14partition_implILS8_4ELb0ES6_15HIP_vector_typeIjLj2EENS0_17counting_iteratorIjlEEPS9_SG_NS0_5tupleIJPjSI_NS0_16reverse_iteratorISI_EEEEENSH_IJSG_SG_SG_EEES9_SI_JZNS1_25segmented_radix_sort_implINS0_14default_configELb0EPKiPiPKlPlN2at6native12_GLOBAL__N_18offset_tEEE10hipError_tPvRmT1_PNSt15iterator_traitsIS12_E10value_typeET2_T3_PNS13_IS18_E10value_typeET4_jRbjT5_S1E_jjP12ihipStream_tbEUljE_ZNSN_ISO_Lb0ESQ_SR_ST_SU_SY_EESZ_S10_S11_S12_S16_S17_S18_S1B_S1C_jS1D_jS1E_S1E_jjS1G_bEUljE0_EEESZ_S10_S11_S18_S1C_S1E_T6_T7_T9_mT8_S1G_bDpT10_ENKUlT_T0_E_clISt17integral_constantIbLb0EES1U_EEDaS1P_S1Q_EUlS1P_E_NS1_11comp_targetILNS1_3genE4ELNS1_11target_archE910ELNS1_3gpuE8ELNS1_3repE0EEENS1_30default_config_static_selectorELNS0_4arch9wavefront6targetE0EEEvS12_,"axG",@progbits,_ZN7rocprim17ROCPRIM_400000_NS6detail17trampoline_kernelINS0_13select_configILj256ELj13ELNS0_17block_load_methodE3ELS4_3ELS4_3ELNS0_20block_scan_algorithmE0ELj4294967295EEENS1_25partition_config_selectorILNS1_17partition_subalgoE4EjNS0_10empty_typeEbEEZZNS1_14partition_implILS8_4ELb0ES6_15HIP_vector_typeIjLj2EENS0_17counting_iteratorIjlEEPS9_SG_NS0_5tupleIJPjSI_NS0_16reverse_iteratorISI_EEEEENSH_IJSG_SG_SG_EEES9_SI_JZNS1_25segmented_radix_sort_implINS0_14default_configELb0EPKiPiPKlPlN2at6native12_GLOBAL__N_18offset_tEEE10hipError_tPvRmT1_PNSt15iterator_traitsIS12_E10value_typeET2_T3_PNS13_IS18_E10value_typeET4_jRbjT5_S1E_jjP12ihipStream_tbEUljE_ZNSN_ISO_Lb0ESQ_SR_ST_SU_SY_EESZ_S10_S11_S12_S16_S17_S18_S1B_S1C_jS1D_jS1E_S1E_jjS1G_bEUljE0_EEESZ_S10_S11_S18_S1C_S1E_T6_T7_T9_mT8_S1G_bDpT10_ENKUlT_T0_E_clISt17integral_constantIbLb0EES1U_EEDaS1P_S1Q_EUlS1P_E_NS1_11comp_targetILNS1_3genE4ELNS1_11target_archE910ELNS1_3gpuE8ELNS1_3repE0EEENS1_30default_config_static_selectorELNS0_4arch9wavefront6targetE0EEEvS12_,comdat
.Lfunc_end538:
	.size	_ZN7rocprim17ROCPRIM_400000_NS6detail17trampoline_kernelINS0_13select_configILj256ELj13ELNS0_17block_load_methodE3ELS4_3ELS4_3ELNS0_20block_scan_algorithmE0ELj4294967295EEENS1_25partition_config_selectorILNS1_17partition_subalgoE4EjNS0_10empty_typeEbEEZZNS1_14partition_implILS8_4ELb0ES6_15HIP_vector_typeIjLj2EENS0_17counting_iteratorIjlEEPS9_SG_NS0_5tupleIJPjSI_NS0_16reverse_iteratorISI_EEEEENSH_IJSG_SG_SG_EEES9_SI_JZNS1_25segmented_radix_sort_implINS0_14default_configELb0EPKiPiPKlPlN2at6native12_GLOBAL__N_18offset_tEEE10hipError_tPvRmT1_PNSt15iterator_traitsIS12_E10value_typeET2_T3_PNS13_IS18_E10value_typeET4_jRbjT5_S1E_jjP12ihipStream_tbEUljE_ZNSN_ISO_Lb0ESQ_SR_ST_SU_SY_EESZ_S10_S11_S12_S16_S17_S18_S1B_S1C_jS1D_jS1E_S1E_jjS1G_bEUljE0_EEESZ_S10_S11_S18_S1C_S1E_T6_T7_T9_mT8_S1G_bDpT10_ENKUlT_T0_E_clISt17integral_constantIbLb0EES1U_EEDaS1P_S1Q_EUlS1P_E_NS1_11comp_targetILNS1_3genE4ELNS1_11target_archE910ELNS1_3gpuE8ELNS1_3repE0EEENS1_30default_config_static_selectorELNS0_4arch9wavefront6targetE0EEEvS12_, .Lfunc_end538-_ZN7rocprim17ROCPRIM_400000_NS6detail17trampoline_kernelINS0_13select_configILj256ELj13ELNS0_17block_load_methodE3ELS4_3ELS4_3ELNS0_20block_scan_algorithmE0ELj4294967295EEENS1_25partition_config_selectorILNS1_17partition_subalgoE4EjNS0_10empty_typeEbEEZZNS1_14partition_implILS8_4ELb0ES6_15HIP_vector_typeIjLj2EENS0_17counting_iteratorIjlEEPS9_SG_NS0_5tupleIJPjSI_NS0_16reverse_iteratorISI_EEEEENSH_IJSG_SG_SG_EEES9_SI_JZNS1_25segmented_radix_sort_implINS0_14default_configELb0EPKiPiPKlPlN2at6native12_GLOBAL__N_18offset_tEEE10hipError_tPvRmT1_PNSt15iterator_traitsIS12_E10value_typeET2_T3_PNS13_IS18_E10value_typeET4_jRbjT5_S1E_jjP12ihipStream_tbEUljE_ZNSN_ISO_Lb0ESQ_SR_ST_SU_SY_EESZ_S10_S11_S12_S16_S17_S18_S1B_S1C_jS1D_jS1E_S1E_jjS1G_bEUljE0_EEESZ_S10_S11_S18_S1C_S1E_T6_T7_T9_mT8_S1G_bDpT10_ENKUlT_T0_E_clISt17integral_constantIbLb0EES1U_EEDaS1P_S1Q_EUlS1P_E_NS1_11comp_targetILNS1_3genE4ELNS1_11target_archE910ELNS1_3gpuE8ELNS1_3repE0EEENS1_30default_config_static_selectorELNS0_4arch9wavefront6targetE0EEEvS12_
                                        ; -- End function
	.section	.AMDGPU.csdata,"",@progbits
; Kernel info:
; codeLenInByte = 0
; NumSgprs: 0
; NumVgprs: 0
; ScratchSize: 0
; MemoryBound: 0
; FloatMode: 240
; IeeeMode: 1
; LDSByteSize: 0 bytes/workgroup (compile time only)
; SGPRBlocks: 0
; VGPRBlocks: 0
; NumSGPRsForWavesPerEU: 1
; NumVGPRsForWavesPerEU: 1
; Occupancy: 16
; WaveLimiterHint : 0
; COMPUTE_PGM_RSRC2:SCRATCH_EN: 0
; COMPUTE_PGM_RSRC2:USER_SGPR: 15
; COMPUTE_PGM_RSRC2:TRAP_HANDLER: 0
; COMPUTE_PGM_RSRC2:TGID_X_EN: 1
; COMPUTE_PGM_RSRC2:TGID_Y_EN: 0
; COMPUTE_PGM_RSRC2:TGID_Z_EN: 0
; COMPUTE_PGM_RSRC2:TIDIG_COMP_CNT: 0
	.section	.text._ZN7rocprim17ROCPRIM_400000_NS6detail17trampoline_kernelINS0_13select_configILj256ELj13ELNS0_17block_load_methodE3ELS4_3ELS4_3ELNS0_20block_scan_algorithmE0ELj4294967295EEENS1_25partition_config_selectorILNS1_17partition_subalgoE4EjNS0_10empty_typeEbEEZZNS1_14partition_implILS8_4ELb0ES6_15HIP_vector_typeIjLj2EENS0_17counting_iteratorIjlEEPS9_SG_NS0_5tupleIJPjSI_NS0_16reverse_iteratorISI_EEEEENSH_IJSG_SG_SG_EEES9_SI_JZNS1_25segmented_radix_sort_implINS0_14default_configELb0EPKiPiPKlPlN2at6native12_GLOBAL__N_18offset_tEEE10hipError_tPvRmT1_PNSt15iterator_traitsIS12_E10value_typeET2_T3_PNS13_IS18_E10value_typeET4_jRbjT5_S1E_jjP12ihipStream_tbEUljE_ZNSN_ISO_Lb0ESQ_SR_ST_SU_SY_EESZ_S10_S11_S12_S16_S17_S18_S1B_S1C_jS1D_jS1E_S1E_jjS1G_bEUljE0_EEESZ_S10_S11_S18_S1C_S1E_T6_T7_T9_mT8_S1G_bDpT10_ENKUlT_T0_E_clISt17integral_constantIbLb0EES1U_EEDaS1P_S1Q_EUlS1P_E_NS1_11comp_targetILNS1_3genE3ELNS1_11target_archE908ELNS1_3gpuE7ELNS1_3repE0EEENS1_30default_config_static_selectorELNS0_4arch9wavefront6targetE0EEEvS12_,"axG",@progbits,_ZN7rocprim17ROCPRIM_400000_NS6detail17trampoline_kernelINS0_13select_configILj256ELj13ELNS0_17block_load_methodE3ELS4_3ELS4_3ELNS0_20block_scan_algorithmE0ELj4294967295EEENS1_25partition_config_selectorILNS1_17partition_subalgoE4EjNS0_10empty_typeEbEEZZNS1_14partition_implILS8_4ELb0ES6_15HIP_vector_typeIjLj2EENS0_17counting_iteratorIjlEEPS9_SG_NS0_5tupleIJPjSI_NS0_16reverse_iteratorISI_EEEEENSH_IJSG_SG_SG_EEES9_SI_JZNS1_25segmented_radix_sort_implINS0_14default_configELb0EPKiPiPKlPlN2at6native12_GLOBAL__N_18offset_tEEE10hipError_tPvRmT1_PNSt15iterator_traitsIS12_E10value_typeET2_T3_PNS13_IS18_E10value_typeET4_jRbjT5_S1E_jjP12ihipStream_tbEUljE_ZNSN_ISO_Lb0ESQ_SR_ST_SU_SY_EESZ_S10_S11_S12_S16_S17_S18_S1B_S1C_jS1D_jS1E_S1E_jjS1G_bEUljE0_EEESZ_S10_S11_S18_S1C_S1E_T6_T7_T9_mT8_S1G_bDpT10_ENKUlT_T0_E_clISt17integral_constantIbLb0EES1U_EEDaS1P_S1Q_EUlS1P_E_NS1_11comp_targetILNS1_3genE3ELNS1_11target_archE908ELNS1_3gpuE7ELNS1_3repE0EEENS1_30default_config_static_selectorELNS0_4arch9wavefront6targetE0EEEvS12_,comdat
	.globl	_ZN7rocprim17ROCPRIM_400000_NS6detail17trampoline_kernelINS0_13select_configILj256ELj13ELNS0_17block_load_methodE3ELS4_3ELS4_3ELNS0_20block_scan_algorithmE0ELj4294967295EEENS1_25partition_config_selectorILNS1_17partition_subalgoE4EjNS0_10empty_typeEbEEZZNS1_14partition_implILS8_4ELb0ES6_15HIP_vector_typeIjLj2EENS0_17counting_iteratorIjlEEPS9_SG_NS0_5tupleIJPjSI_NS0_16reverse_iteratorISI_EEEEENSH_IJSG_SG_SG_EEES9_SI_JZNS1_25segmented_radix_sort_implINS0_14default_configELb0EPKiPiPKlPlN2at6native12_GLOBAL__N_18offset_tEEE10hipError_tPvRmT1_PNSt15iterator_traitsIS12_E10value_typeET2_T3_PNS13_IS18_E10value_typeET4_jRbjT5_S1E_jjP12ihipStream_tbEUljE_ZNSN_ISO_Lb0ESQ_SR_ST_SU_SY_EESZ_S10_S11_S12_S16_S17_S18_S1B_S1C_jS1D_jS1E_S1E_jjS1G_bEUljE0_EEESZ_S10_S11_S18_S1C_S1E_T6_T7_T9_mT8_S1G_bDpT10_ENKUlT_T0_E_clISt17integral_constantIbLb0EES1U_EEDaS1P_S1Q_EUlS1P_E_NS1_11comp_targetILNS1_3genE3ELNS1_11target_archE908ELNS1_3gpuE7ELNS1_3repE0EEENS1_30default_config_static_selectorELNS0_4arch9wavefront6targetE0EEEvS12_ ; -- Begin function _ZN7rocprim17ROCPRIM_400000_NS6detail17trampoline_kernelINS0_13select_configILj256ELj13ELNS0_17block_load_methodE3ELS4_3ELS4_3ELNS0_20block_scan_algorithmE0ELj4294967295EEENS1_25partition_config_selectorILNS1_17partition_subalgoE4EjNS0_10empty_typeEbEEZZNS1_14partition_implILS8_4ELb0ES6_15HIP_vector_typeIjLj2EENS0_17counting_iteratorIjlEEPS9_SG_NS0_5tupleIJPjSI_NS0_16reverse_iteratorISI_EEEEENSH_IJSG_SG_SG_EEES9_SI_JZNS1_25segmented_radix_sort_implINS0_14default_configELb0EPKiPiPKlPlN2at6native12_GLOBAL__N_18offset_tEEE10hipError_tPvRmT1_PNSt15iterator_traitsIS12_E10value_typeET2_T3_PNS13_IS18_E10value_typeET4_jRbjT5_S1E_jjP12ihipStream_tbEUljE_ZNSN_ISO_Lb0ESQ_SR_ST_SU_SY_EESZ_S10_S11_S12_S16_S17_S18_S1B_S1C_jS1D_jS1E_S1E_jjS1G_bEUljE0_EEESZ_S10_S11_S18_S1C_S1E_T6_T7_T9_mT8_S1G_bDpT10_ENKUlT_T0_E_clISt17integral_constantIbLb0EES1U_EEDaS1P_S1Q_EUlS1P_E_NS1_11comp_targetILNS1_3genE3ELNS1_11target_archE908ELNS1_3gpuE7ELNS1_3repE0EEENS1_30default_config_static_selectorELNS0_4arch9wavefront6targetE0EEEvS12_
	.p2align	8
	.type	_ZN7rocprim17ROCPRIM_400000_NS6detail17trampoline_kernelINS0_13select_configILj256ELj13ELNS0_17block_load_methodE3ELS4_3ELS4_3ELNS0_20block_scan_algorithmE0ELj4294967295EEENS1_25partition_config_selectorILNS1_17partition_subalgoE4EjNS0_10empty_typeEbEEZZNS1_14partition_implILS8_4ELb0ES6_15HIP_vector_typeIjLj2EENS0_17counting_iteratorIjlEEPS9_SG_NS0_5tupleIJPjSI_NS0_16reverse_iteratorISI_EEEEENSH_IJSG_SG_SG_EEES9_SI_JZNS1_25segmented_radix_sort_implINS0_14default_configELb0EPKiPiPKlPlN2at6native12_GLOBAL__N_18offset_tEEE10hipError_tPvRmT1_PNSt15iterator_traitsIS12_E10value_typeET2_T3_PNS13_IS18_E10value_typeET4_jRbjT5_S1E_jjP12ihipStream_tbEUljE_ZNSN_ISO_Lb0ESQ_SR_ST_SU_SY_EESZ_S10_S11_S12_S16_S17_S18_S1B_S1C_jS1D_jS1E_S1E_jjS1G_bEUljE0_EEESZ_S10_S11_S18_S1C_S1E_T6_T7_T9_mT8_S1G_bDpT10_ENKUlT_T0_E_clISt17integral_constantIbLb0EES1U_EEDaS1P_S1Q_EUlS1P_E_NS1_11comp_targetILNS1_3genE3ELNS1_11target_archE908ELNS1_3gpuE7ELNS1_3repE0EEENS1_30default_config_static_selectorELNS0_4arch9wavefront6targetE0EEEvS12_,@function
_ZN7rocprim17ROCPRIM_400000_NS6detail17trampoline_kernelINS0_13select_configILj256ELj13ELNS0_17block_load_methodE3ELS4_3ELS4_3ELNS0_20block_scan_algorithmE0ELj4294967295EEENS1_25partition_config_selectorILNS1_17partition_subalgoE4EjNS0_10empty_typeEbEEZZNS1_14partition_implILS8_4ELb0ES6_15HIP_vector_typeIjLj2EENS0_17counting_iteratorIjlEEPS9_SG_NS0_5tupleIJPjSI_NS0_16reverse_iteratorISI_EEEEENSH_IJSG_SG_SG_EEES9_SI_JZNS1_25segmented_radix_sort_implINS0_14default_configELb0EPKiPiPKlPlN2at6native12_GLOBAL__N_18offset_tEEE10hipError_tPvRmT1_PNSt15iterator_traitsIS12_E10value_typeET2_T3_PNS13_IS18_E10value_typeET4_jRbjT5_S1E_jjP12ihipStream_tbEUljE_ZNSN_ISO_Lb0ESQ_SR_ST_SU_SY_EESZ_S10_S11_S12_S16_S17_S18_S1B_S1C_jS1D_jS1E_S1E_jjS1G_bEUljE0_EEESZ_S10_S11_S18_S1C_S1E_T6_T7_T9_mT8_S1G_bDpT10_ENKUlT_T0_E_clISt17integral_constantIbLb0EES1U_EEDaS1P_S1Q_EUlS1P_E_NS1_11comp_targetILNS1_3genE3ELNS1_11target_archE908ELNS1_3gpuE7ELNS1_3repE0EEENS1_30default_config_static_selectorELNS0_4arch9wavefront6targetE0EEEvS12_: ; @_ZN7rocprim17ROCPRIM_400000_NS6detail17trampoline_kernelINS0_13select_configILj256ELj13ELNS0_17block_load_methodE3ELS4_3ELS4_3ELNS0_20block_scan_algorithmE0ELj4294967295EEENS1_25partition_config_selectorILNS1_17partition_subalgoE4EjNS0_10empty_typeEbEEZZNS1_14partition_implILS8_4ELb0ES6_15HIP_vector_typeIjLj2EENS0_17counting_iteratorIjlEEPS9_SG_NS0_5tupleIJPjSI_NS0_16reverse_iteratorISI_EEEEENSH_IJSG_SG_SG_EEES9_SI_JZNS1_25segmented_radix_sort_implINS0_14default_configELb0EPKiPiPKlPlN2at6native12_GLOBAL__N_18offset_tEEE10hipError_tPvRmT1_PNSt15iterator_traitsIS12_E10value_typeET2_T3_PNS13_IS18_E10value_typeET4_jRbjT5_S1E_jjP12ihipStream_tbEUljE_ZNSN_ISO_Lb0ESQ_SR_ST_SU_SY_EESZ_S10_S11_S12_S16_S17_S18_S1B_S1C_jS1D_jS1E_S1E_jjS1G_bEUljE0_EEESZ_S10_S11_S18_S1C_S1E_T6_T7_T9_mT8_S1G_bDpT10_ENKUlT_T0_E_clISt17integral_constantIbLb0EES1U_EEDaS1P_S1Q_EUlS1P_E_NS1_11comp_targetILNS1_3genE3ELNS1_11target_archE908ELNS1_3gpuE7ELNS1_3repE0EEENS1_30default_config_static_selectorELNS0_4arch9wavefront6targetE0EEEvS12_
; %bb.0:
	.section	.rodata,"a",@progbits
	.p2align	6, 0x0
	.amdhsa_kernel _ZN7rocprim17ROCPRIM_400000_NS6detail17trampoline_kernelINS0_13select_configILj256ELj13ELNS0_17block_load_methodE3ELS4_3ELS4_3ELNS0_20block_scan_algorithmE0ELj4294967295EEENS1_25partition_config_selectorILNS1_17partition_subalgoE4EjNS0_10empty_typeEbEEZZNS1_14partition_implILS8_4ELb0ES6_15HIP_vector_typeIjLj2EENS0_17counting_iteratorIjlEEPS9_SG_NS0_5tupleIJPjSI_NS0_16reverse_iteratorISI_EEEEENSH_IJSG_SG_SG_EEES9_SI_JZNS1_25segmented_radix_sort_implINS0_14default_configELb0EPKiPiPKlPlN2at6native12_GLOBAL__N_18offset_tEEE10hipError_tPvRmT1_PNSt15iterator_traitsIS12_E10value_typeET2_T3_PNS13_IS18_E10value_typeET4_jRbjT5_S1E_jjP12ihipStream_tbEUljE_ZNSN_ISO_Lb0ESQ_SR_ST_SU_SY_EESZ_S10_S11_S12_S16_S17_S18_S1B_S1C_jS1D_jS1E_S1E_jjS1G_bEUljE0_EEESZ_S10_S11_S18_S1C_S1E_T6_T7_T9_mT8_S1G_bDpT10_ENKUlT_T0_E_clISt17integral_constantIbLb0EES1U_EEDaS1P_S1Q_EUlS1P_E_NS1_11comp_targetILNS1_3genE3ELNS1_11target_archE908ELNS1_3gpuE7ELNS1_3repE0EEENS1_30default_config_static_selectorELNS0_4arch9wavefront6targetE0EEEvS12_
		.amdhsa_group_segment_fixed_size 0
		.amdhsa_private_segment_fixed_size 0
		.amdhsa_kernarg_size 176
		.amdhsa_user_sgpr_count 15
		.amdhsa_user_sgpr_dispatch_ptr 0
		.amdhsa_user_sgpr_queue_ptr 0
		.amdhsa_user_sgpr_kernarg_segment_ptr 1
		.amdhsa_user_sgpr_dispatch_id 0
		.amdhsa_user_sgpr_private_segment_size 0
		.amdhsa_wavefront_size32 1
		.amdhsa_uses_dynamic_stack 0
		.amdhsa_enable_private_segment 0
		.amdhsa_system_sgpr_workgroup_id_x 1
		.amdhsa_system_sgpr_workgroup_id_y 0
		.amdhsa_system_sgpr_workgroup_id_z 0
		.amdhsa_system_sgpr_workgroup_info 0
		.amdhsa_system_vgpr_workitem_id 0
		.amdhsa_next_free_vgpr 1
		.amdhsa_next_free_sgpr 1
		.amdhsa_reserve_vcc 0
		.amdhsa_float_round_mode_32 0
		.amdhsa_float_round_mode_16_64 0
		.amdhsa_float_denorm_mode_32 3
		.amdhsa_float_denorm_mode_16_64 3
		.amdhsa_dx10_clamp 1
		.amdhsa_ieee_mode 1
		.amdhsa_fp16_overflow 0
		.amdhsa_workgroup_processor_mode 1
		.amdhsa_memory_ordered 1
		.amdhsa_forward_progress 0
		.amdhsa_shared_vgpr_count 0
		.amdhsa_exception_fp_ieee_invalid_op 0
		.amdhsa_exception_fp_denorm_src 0
		.amdhsa_exception_fp_ieee_div_zero 0
		.amdhsa_exception_fp_ieee_overflow 0
		.amdhsa_exception_fp_ieee_underflow 0
		.amdhsa_exception_fp_ieee_inexact 0
		.amdhsa_exception_int_div_zero 0
	.end_amdhsa_kernel
	.section	.text._ZN7rocprim17ROCPRIM_400000_NS6detail17trampoline_kernelINS0_13select_configILj256ELj13ELNS0_17block_load_methodE3ELS4_3ELS4_3ELNS0_20block_scan_algorithmE0ELj4294967295EEENS1_25partition_config_selectorILNS1_17partition_subalgoE4EjNS0_10empty_typeEbEEZZNS1_14partition_implILS8_4ELb0ES6_15HIP_vector_typeIjLj2EENS0_17counting_iteratorIjlEEPS9_SG_NS0_5tupleIJPjSI_NS0_16reverse_iteratorISI_EEEEENSH_IJSG_SG_SG_EEES9_SI_JZNS1_25segmented_radix_sort_implINS0_14default_configELb0EPKiPiPKlPlN2at6native12_GLOBAL__N_18offset_tEEE10hipError_tPvRmT1_PNSt15iterator_traitsIS12_E10value_typeET2_T3_PNS13_IS18_E10value_typeET4_jRbjT5_S1E_jjP12ihipStream_tbEUljE_ZNSN_ISO_Lb0ESQ_SR_ST_SU_SY_EESZ_S10_S11_S12_S16_S17_S18_S1B_S1C_jS1D_jS1E_S1E_jjS1G_bEUljE0_EEESZ_S10_S11_S18_S1C_S1E_T6_T7_T9_mT8_S1G_bDpT10_ENKUlT_T0_E_clISt17integral_constantIbLb0EES1U_EEDaS1P_S1Q_EUlS1P_E_NS1_11comp_targetILNS1_3genE3ELNS1_11target_archE908ELNS1_3gpuE7ELNS1_3repE0EEENS1_30default_config_static_selectorELNS0_4arch9wavefront6targetE0EEEvS12_,"axG",@progbits,_ZN7rocprim17ROCPRIM_400000_NS6detail17trampoline_kernelINS0_13select_configILj256ELj13ELNS0_17block_load_methodE3ELS4_3ELS4_3ELNS0_20block_scan_algorithmE0ELj4294967295EEENS1_25partition_config_selectorILNS1_17partition_subalgoE4EjNS0_10empty_typeEbEEZZNS1_14partition_implILS8_4ELb0ES6_15HIP_vector_typeIjLj2EENS0_17counting_iteratorIjlEEPS9_SG_NS0_5tupleIJPjSI_NS0_16reverse_iteratorISI_EEEEENSH_IJSG_SG_SG_EEES9_SI_JZNS1_25segmented_radix_sort_implINS0_14default_configELb0EPKiPiPKlPlN2at6native12_GLOBAL__N_18offset_tEEE10hipError_tPvRmT1_PNSt15iterator_traitsIS12_E10value_typeET2_T3_PNS13_IS18_E10value_typeET4_jRbjT5_S1E_jjP12ihipStream_tbEUljE_ZNSN_ISO_Lb0ESQ_SR_ST_SU_SY_EESZ_S10_S11_S12_S16_S17_S18_S1B_S1C_jS1D_jS1E_S1E_jjS1G_bEUljE0_EEESZ_S10_S11_S18_S1C_S1E_T6_T7_T9_mT8_S1G_bDpT10_ENKUlT_T0_E_clISt17integral_constantIbLb0EES1U_EEDaS1P_S1Q_EUlS1P_E_NS1_11comp_targetILNS1_3genE3ELNS1_11target_archE908ELNS1_3gpuE7ELNS1_3repE0EEENS1_30default_config_static_selectorELNS0_4arch9wavefront6targetE0EEEvS12_,comdat
.Lfunc_end539:
	.size	_ZN7rocprim17ROCPRIM_400000_NS6detail17trampoline_kernelINS0_13select_configILj256ELj13ELNS0_17block_load_methodE3ELS4_3ELS4_3ELNS0_20block_scan_algorithmE0ELj4294967295EEENS1_25partition_config_selectorILNS1_17partition_subalgoE4EjNS0_10empty_typeEbEEZZNS1_14partition_implILS8_4ELb0ES6_15HIP_vector_typeIjLj2EENS0_17counting_iteratorIjlEEPS9_SG_NS0_5tupleIJPjSI_NS0_16reverse_iteratorISI_EEEEENSH_IJSG_SG_SG_EEES9_SI_JZNS1_25segmented_radix_sort_implINS0_14default_configELb0EPKiPiPKlPlN2at6native12_GLOBAL__N_18offset_tEEE10hipError_tPvRmT1_PNSt15iterator_traitsIS12_E10value_typeET2_T3_PNS13_IS18_E10value_typeET4_jRbjT5_S1E_jjP12ihipStream_tbEUljE_ZNSN_ISO_Lb0ESQ_SR_ST_SU_SY_EESZ_S10_S11_S12_S16_S17_S18_S1B_S1C_jS1D_jS1E_S1E_jjS1G_bEUljE0_EEESZ_S10_S11_S18_S1C_S1E_T6_T7_T9_mT8_S1G_bDpT10_ENKUlT_T0_E_clISt17integral_constantIbLb0EES1U_EEDaS1P_S1Q_EUlS1P_E_NS1_11comp_targetILNS1_3genE3ELNS1_11target_archE908ELNS1_3gpuE7ELNS1_3repE0EEENS1_30default_config_static_selectorELNS0_4arch9wavefront6targetE0EEEvS12_, .Lfunc_end539-_ZN7rocprim17ROCPRIM_400000_NS6detail17trampoline_kernelINS0_13select_configILj256ELj13ELNS0_17block_load_methodE3ELS4_3ELS4_3ELNS0_20block_scan_algorithmE0ELj4294967295EEENS1_25partition_config_selectorILNS1_17partition_subalgoE4EjNS0_10empty_typeEbEEZZNS1_14partition_implILS8_4ELb0ES6_15HIP_vector_typeIjLj2EENS0_17counting_iteratorIjlEEPS9_SG_NS0_5tupleIJPjSI_NS0_16reverse_iteratorISI_EEEEENSH_IJSG_SG_SG_EEES9_SI_JZNS1_25segmented_radix_sort_implINS0_14default_configELb0EPKiPiPKlPlN2at6native12_GLOBAL__N_18offset_tEEE10hipError_tPvRmT1_PNSt15iterator_traitsIS12_E10value_typeET2_T3_PNS13_IS18_E10value_typeET4_jRbjT5_S1E_jjP12ihipStream_tbEUljE_ZNSN_ISO_Lb0ESQ_SR_ST_SU_SY_EESZ_S10_S11_S12_S16_S17_S18_S1B_S1C_jS1D_jS1E_S1E_jjS1G_bEUljE0_EEESZ_S10_S11_S18_S1C_S1E_T6_T7_T9_mT8_S1G_bDpT10_ENKUlT_T0_E_clISt17integral_constantIbLb0EES1U_EEDaS1P_S1Q_EUlS1P_E_NS1_11comp_targetILNS1_3genE3ELNS1_11target_archE908ELNS1_3gpuE7ELNS1_3repE0EEENS1_30default_config_static_selectorELNS0_4arch9wavefront6targetE0EEEvS12_
                                        ; -- End function
	.section	.AMDGPU.csdata,"",@progbits
; Kernel info:
; codeLenInByte = 0
; NumSgprs: 0
; NumVgprs: 0
; ScratchSize: 0
; MemoryBound: 0
; FloatMode: 240
; IeeeMode: 1
; LDSByteSize: 0 bytes/workgroup (compile time only)
; SGPRBlocks: 0
; VGPRBlocks: 0
; NumSGPRsForWavesPerEU: 1
; NumVGPRsForWavesPerEU: 1
; Occupancy: 16
; WaveLimiterHint : 0
; COMPUTE_PGM_RSRC2:SCRATCH_EN: 0
; COMPUTE_PGM_RSRC2:USER_SGPR: 15
; COMPUTE_PGM_RSRC2:TRAP_HANDLER: 0
; COMPUTE_PGM_RSRC2:TGID_X_EN: 1
; COMPUTE_PGM_RSRC2:TGID_Y_EN: 0
; COMPUTE_PGM_RSRC2:TGID_Z_EN: 0
; COMPUTE_PGM_RSRC2:TIDIG_COMP_CNT: 0
	.section	.text._ZN7rocprim17ROCPRIM_400000_NS6detail17trampoline_kernelINS0_13select_configILj256ELj13ELNS0_17block_load_methodE3ELS4_3ELS4_3ELNS0_20block_scan_algorithmE0ELj4294967295EEENS1_25partition_config_selectorILNS1_17partition_subalgoE4EjNS0_10empty_typeEbEEZZNS1_14partition_implILS8_4ELb0ES6_15HIP_vector_typeIjLj2EENS0_17counting_iteratorIjlEEPS9_SG_NS0_5tupleIJPjSI_NS0_16reverse_iteratorISI_EEEEENSH_IJSG_SG_SG_EEES9_SI_JZNS1_25segmented_radix_sort_implINS0_14default_configELb0EPKiPiPKlPlN2at6native12_GLOBAL__N_18offset_tEEE10hipError_tPvRmT1_PNSt15iterator_traitsIS12_E10value_typeET2_T3_PNS13_IS18_E10value_typeET4_jRbjT5_S1E_jjP12ihipStream_tbEUljE_ZNSN_ISO_Lb0ESQ_SR_ST_SU_SY_EESZ_S10_S11_S12_S16_S17_S18_S1B_S1C_jS1D_jS1E_S1E_jjS1G_bEUljE0_EEESZ_S10_S11_S18_S1C_S1E_T6_T7_T9_mT8_S1G_bDpT10_ENKUlT_T0_E_clISt17integral_constantIbLb0EES1U_EEDaS1P_S1Q_EUlS1P_E_NS1_11comp_targetILNS1_3genE2ELNS1_11target_archE906ELNS1_3gpuE6ELNS1_3repE0EEENS1_30default_config_static_selectorELNS0_4arch9wavefront6targetE0EEEvS12_,"axG",@progbits,_ZN7rocprim17ROCPRIM_400000_NS6detail17trampoline_kernelINS0_13select_configILj256ELj13ELNS0_17block_load_methodE3ELS4_3ELS4_3ELNS0_20block_scan_algorithmE0ELj4294967295EEENS1_25partition_config_selectorILNS1_17partition_subalgoE4EjNS0_10empty_typeEbEEZZNS1_14partition_implILS8_4ELb0ES6_15HIP_vector_typeIjLj2EENS0_17counting_iteratorIjlEEPS9_SG_NS0_5tupleIJPjSI_NS0_16reverse_iteratorISI_EEEEENSH_IJSG_SG_SG_EEES9_SI_JZNS1_25segmented_radix_sort_implINS0_14default_configELb0EPKiPiPKlPlN2at6native12_GLOBAL__N_18offset_tEEE10hipError_tPvRmT1_PNSt15iterator_traitsIS12_E10value_typeET2_T3_PNS13_IS18_E10value_typeET4_jRbjT5_S1E_jjP12ihipStream_tbEUljE_ZNSN_ISO_Lb0ESQ_SR_ST_SU_SY_EESZ_S10_S11_S12_S16_S17_S18_S1B_S1C_jS1D_jS1E_S1E_jjS1G_bEUljE0_EEESZ_S10_S11_S18_S1C_S1E_T6_T7_T9_mT8_S1G_bDpT10_ENKUlT_T0_E_clISt17integral_constantIbLb0EES1U_EEDaS1P_S1Q_EUlS1P_E_NS1_11comp_targetILNS1_3genE2ELNS1_11target_archE906ELNS1_3gpuE6ELNS1_3repE0EEENS1_30default_config_static_selectorELNS0_4arch9wavefront6targetE0EEEvS12_,comdat
	.globl	_ZN7rocprim17ROCPRIM_400000_NS6detail17trampoline_kernelINS0_13select_configILj256ELj13ELNS0_17block_load_methodE3ELS4_3ELS4_3ELNS0_20block_scan_algorithmE0ELj4294967295EEENS1_25partition_config_selectorILNS1_17partition_subalgoE4EjNS0_10empty_typeEbEEZZNS1_14partition_implILS8_4ELb0ES6_15HIP_vector_typeIjLj2EENS0_17counting_iteratorIjlEEPS9_SG_NS0_5tupleIJPjSI_NS0_16reverse_iteratorISI_EEEEENSH_IJSG_SG_SG_EEES9_SI_JZNS1_25segmented_radix_sort_implINS0_14default_configELb0EPKiPiPKlPlN2at6native12_GLOBAL__N_18offset_tEEE10hipError_tPvRmT1_PNSt15iterator_traitsIS12_E10value_typeET2_T3_PNS13_IS18_E10value_typeET4_jRbjT5_S1E_jjP12ihipStream_tbEUljE_ZNSN_ISO_Lb0ESQ_SR_ST_SU_SY_EESZ_S10_S11_S12_S16_S17_S18_S1B_S1C_jS1D_jS1E_S1E_jjS1G_bEUljE0_EEESZ_S10_S11_S18_S1C_S1E_T6_T7_T9_mT8_S1G_bDpT10_ENKUlT_T0_E_clISt17integral_constantIbLb0EES1U_EEDaS1P_S1Q_EUlS1P_E_NS1_11comp_targetILNS1_3genE2ELNS1_11target_archE906ELNS1_3gpuE6ELNS1_3repE0EEENS1_30default_config_static_selectorELNS0_4arch9wavefront6targetE0EEEvS12_ ; -- Begin function _ZN7rocprim17ROCPRIM_400000_NS6detail17trampoline_kernelINS0_13select_configILj256ELj13ELNS0_17block_load_methodE3ELS4_3ELS4_3ELNS0_20block_scan_algorithmE0ELj4294967295EEENS1_25partition_config_selectorILNS1_17partition_subalgoE4EjNS0_10empty_typeEbEEZZNS1_14partition_implILS8_4ELb0ES6_15HIP_vector_typeIjLj2EENS0_17counting_iteratorIjlEEPS9_SG_NS0_5tupleIJPjSI_NS0_16reverse_iteratorISI_EEEEENSH_IJSG_SG_SG_EEES9_SI_JZNS1_25segmented_radix_sort_implINS0_14default_configELb0EPKiPiPKlPlN2at6native12_GLOBAL__N_18offset_tEEE10hipError_tPvRmT1_PNSt15iterator_traitsIS12_E10value_typeET2_T3_PNS13_IS18_E10value_typeET4_jRbjT5_S1E_jjP12ihipStream_tbEUljE_ZNSN_ISO_Lb0ESQ_SR_ST_SU_SY_EESZ_S10_S11_S12_S16_S17_S18_S1B_S1C_jS1D_jS1E_S1E_jjS1G_bEUljE0_EEESZ_S10_S11_S18_S1C_S1E_T6_T7_T9_mT8_S1G_bDpT10_ENKUlT_T0_E_clISt17integral_constantIbLb0EES1U_EEDaS1P_S1Q_EUlS1P_E_NS1_11comp_targetILNS1_3genE2ELNS1_11target_archE906ELNS1_3gpuE6ELNS1_3repE0EEENS1_30default_config_static_selectorELNS0_4arch9wavefront6targetE0EEEvS12_
	.p2align	8
	.type	_ZN7rocprim17ROCPRIM_400000_NS6detail17trampoline_kernelINS0_13select_configILj256ELj13ELNS0_17block_load_methodE3ELS4_3ELS4_3ELNS0_20block_scan_algorithmE0ELj4294967295EEENS1_25partition_config_selectorILNS1_17partition_subalgoE4EjNS0_10empty_typeEbEEZZNS1_14partition_implILS8_4ELb0ES6_15HIP_vector_typeIjLj2EENS0_17counting_iteratorIjlEEPS9_SG_NS0_5tupleIJPjSI_NS0_16reverse_iteratorISI_EEEEENSH_IJSG_SG_SG_EEES9_SI_JZNS1_25segmented_radix_sort_implINS0_14default_configELb0EPKiPiPKlPlN2at6native12_GLOBAL__N_18offset_tEEE10hipError_tPvRmT1_PNSt15iterator_traitsIS12_E10value_typeET2_T3_PNS13_IS18_E10value_typeET4_jRbjT5_S1E_jjP12ihipStream_tbEUljE_ZNSN_ISO_Lb0ESQ_SR_ST_SU_SY_EESZ_S10_S11_S12_S16_S17_S18_S1B_S1C_jS1D_jS1E_S1E_jjS1G_bEUljE0_EEESZ_S10_S11_S18_S1C_S1E_T6_T7_T9_mT8_S1G_bDpT10_ENKUlT_T0_E_clISt17integral_constantIbLb0EES1U_EEDaS1P_S1Q_EUlS1P_E_NS1_11comp_targetILNS1_3genE2ELNS1_11target_archE906ELNS1_3gpuE6ELNS1_3repE0EEENS1_30default_config_static_selectorELNS0_4arch9wavefront6targetE0EEEvS12_,@function
_ZN7rocprim17ROCPRIM_400000_NS6detail17trampoline_kernelINS0_13select_configILj256ELj13ELNS0_17block_load_methodE3ELS4_3ELS4_3ELNS0_20block_scan_algorithmE0ELj4294967295EEENS1_25partition_config_selectorILNS1_17partition_subalgoE4EjNS0_10empty_typeEbEEZZNS1_14partition_implILS8_4ELb0ES6_15HIP_vector_typeIjLj2EENS0_17counting_iteratorIjlEEPS9_SG_NS0_5tupleIJPjSI_NS0_16reverse_iteratorISI_EEEEENSH_IJSG_SG_SG_EEES9_SI_JZNS1_25segmented_radix_sort_implINS0_14default_configELb0EPKiPiPKlPlN2at6native12_GLOBAL__N_18offset_tEEE10hipError_tPvRmT1_PNSt15iterator_traitsIS12_E10value_typeET2_T3_PNS13_IS18_E10value_typeET4_jRbjT5_S1E_jjP12ihipStream_tbEUljE_ZNSN_ISO_Lb0ESQ_SR_ST_SU_SY_EESZ_S10_S11_S12_S16_S17_S18_S1B_S1C_jS1D_jS1E_S1E_jjS1G_bEUljE0_EEESZ_S10_S11_S18_S1C_S1E_T6_T7_T9_mT8_S1G_bDpT10_ENKUlT_T0_E_clISt17integral_constantIbLb0EES1U_EEDaS1P_S1Q_EUlS1P_E_NS1_11comp_targetILNS1_3genE2ELNS1_11target_archE906ELNS1_3gpuE6ELNS1_3repE0EEENS1_30default_config_static_selectorELNS0_4arch9wavefront6targetE0EEEvS12_: ; @_ZN7rocprim17ROCPRIM_400000_NS6detail17trampoline_kernelINS0_13select_configILj256ELj13ELNS0_17block_load_methodE3ELS4_3ELS4_3ELNS0_20block_scan_algorithmE0ELj4294967295EEENS1_25partition_config_selectorILNS1_17partition_subalgoE4EjNS0_10empty_typeEbEEZZNS1_14partition_implILS8_4ELb0ES6_15HIP_vector_typeIjLj2EENS0_17counting_iteratorIjlEEPS9_SG_NS0_5tupleIJPjSI_NS0_16reverse_iteratorISI_EEEEENSH_IJSG_SG_SG_EEES9_SI_JZNS1_25segmented_radix_sort_implINS0_14default_configELb0EPKiPiPKlPlN2at6native12_GLOBAL__N_18offset_tEEE10hipError_tPvRmT1_PNSt15iterator_traitsIS12_E10value_typeET2_T3_PNS13_IS18_E10value_typeET4_jRbjT5_S1E_jjP12ihipStream_tbEUljE_ZNSN_ISO_Lb0ESQ_SR_ST_SU_SY_EESZ_S10_S11_S12_S16_S17_S18_S1B_S1C_jS1D_jS1E_S1E_jjS1G_bEUljE0_EEESZ_S10_S11_S18_S1C_S1E_T6_T7_T9_mT8_S1G_bDpT10_ENKUlT_T0_E_clISt17integral_constantIbLb0EES1U_EEDaS1P_S1Q_EUlS1P_E_NS1_11comp_targetILNS1_3genE2ELNS1_11target_archE906ELNS1_3gpuE6ELNS1_3repE0EEENS1_30default_config_static_selectorELNS0_4arch9wavefront6targetE0EEEvS12_
; %bb.0:
	.section	.rodata,"a",@progbits
	.p2align	6, 0x0
	.amdhsa_kernel _ZN7rocprim17ROCPRIM_400000_NS6detail17trampoline_kernelINS0_13select_configILj256ELj13ELNS0_17block_load_methodE3ELS4_3ELS4_3ELNS0_20block_scan_algorithmE0ELj4294967295EEENS1_25partition_config_selectorILNS1_17partition_subalgoE4EjNS0_10empty_typeEbEEZZNS1_14partition_implILS8_4ELb0ES6_15HIP_vector_typeIjLj2EENS0_17counting_iteratorIjlEEPS9_SG_NS0_5tupleIJPjSI_NS0_16reverse_iteratorISI_EEEEENSH_IJSG_SG_SG_EEES9_SI_JZNS1_25segmented_radix_sort_implINS0_14default_configELb0EPKiPiPKlPlN2at6native12_GLOBAL__N_18offset_tEEE10hipError_tPvRmT1_PNSt15iterator_traitsIS12_E10value_typeET2_T3_PNS13_IS18_E10value_typeET4_jRbjT5_S1E_jjP12ihipStream_tbEUljE_ZNSN_ISO_Lb0ESQ_SR_ST_SU_SY_EESZ_S10_S11_S12_S16_S17_S18_S1B_S1C_jS1D_jS1E_S1E_jjS1G_bEUljE0_EEESZ_S10_S11_S18_S1C_S1E_T6_T7_T9_mT8_S1G_bDpT10_ENKUlT_T0_E_clISt17integral_constantIbLb0EES1U_EEDaS1P_S1Q_EUlS1P_E_NS1_11comp_targetILNS1_3genE2ELNS1_11target_archE906ELNS1_3gpuE6ELNS1_3repE0EEENS1_30default_config_static_selectorELNS0_4arch9wavefront6targetE0EEEvS12_
		.amdhsa_group_segment_fixed_size 0
		.amdhsa_private_segment_fixed_size 0
		.amdhsa_kernarg_size 176
		.amdhsa_user_sgpr_count 15
		.amdhsa_user_sgpr_dispatch_ptr 0
		.amdhsa_user_sgpr_queue_ptr 0
		.amdhsa_user_sgpr_kernarg_segment_ptr 1
		.amdhsa_user_sgpr_dispatch_id 0
		.amdhsa_user_sgpr_private_segment_size 0
		.amdhsa_wavefront_size32 1
		.amdhsa_uses_dynamic_stack 0
		.amdhsa_enable_private_segment 0
		.amdhsa_system_sgpr_workgroup_id_x 1
		.amdhsa_system_sgpr_workgroup_id_y 0
		.amdhsa_system_sgpr_workgroup_id_z 0
		.amdhsa_system_sgpr_workgroup_info 0
		.amdhsa_system_vgpr_workitem_id 0
		.amdhsa_next_free_vgpr 1
		.amdhsa_next_free_sgpr 1
		.amdhsa_reserve_vcc 0
		.amdhsa_float_round_mode_32 0
		.amdhsa_float_round_mode_16_64 0
		.amdhsa_float_denorm_mode_32 3
		.amdhsa_float_denorm_mode_16_64 3
		.amdhsa_dx10_clamp 1
		.amdhsa_ieee_mode 1
		.amdhsa_fp16_overflow 0
		.amdhsa_workgroup_processor_mode 1
		.amdhsa_memory_ordered 1
		.amdhsa_forward_progress 0
		.amdhsa_shared_vgpr_count 0
		.amdhsa_exception_fp_ieee_invalid_op 0
		.amdhsa_exception_fp_denorm_src 0
		.amdhsa_exception_fp_ieee_div_zero 0
		.amdhsa_exception_fp_ieee_overflow 0
		.amdhsa_exception_fp_ieee_underflow 0
		.amdhsa_exception_fp_ieee_inexact 0
		.amdhsa_exception_int_div_zero 0
	.end_amdhsa_kernel
	.section	.text._ZN7rocprim17ROCPRIM_400000_NS6detail17trampoline_kernelINS0_13select_configILj256ELj13ELNS0_17block_load_methodE3ELS4_3ELS4_3ELNS0_20block_scan_algorithmE0ELj4294967295EEENS1_25partition_config_selectorILNS1_17partition_subalgoE4EjNS0_10empty_typeEbEEZZNS1_14partition_implILS8_4ELb0ES6_15HIP_vector_typeIjLj2EENS0_17counting_iteratorIjlEEPS9_SG_NS0_5tupleIJPjSI_NS0_16reverse_iteratorISI_EEEEENSH_IJSG_SG_SG_EEES9_SI_JZNS1_25segmented_radix_sort_implINS0_14default_configELb0EPKiPiPKlPlN2at6native12_GLOBAL__N_18offset_tEEE10hipError_tPvRmT1_PNSt15iterator_traitsIS12_E10value_typeET2_T3_PNS13_IS18_E10value_typeET4_jRbjT5_S1E_jjP12ihipStream_tbEUljE_ZNSN_ISO_Lb0ESQ_SR_ST_SU_SY_EESZ_S10_S11_S12_S16_S17_S18_S1B_S1C_jS1D_jS1E_S1E_jjS1G_bEUljE0_EEESZ_S10_S11_S18_S1C_S1E_T6_T7_T9_mT8_S1G_bDpT10_ENKUlT_T0_E_clISt17integral_constantIbLb0EES1U_EEDaS1P_S1Q_EUlS1P_E_NS1_11comp_targetILNS1_3genE2ELNS1_11target_archE906ELNS1_3gpuE6ELNS1_3repE0EEENS1_30default_config_static_selectorELNS0_4arch9wavefront6targetE0EEEvS12_,"axG",@progbits,_ZN7rocprim17ROCPRIM_400000_NS6detail17trampoline_kernelINS0_13select_configILj256ELj13ELNS0_17block_load_methodE3ELS4_3ELS4_3ELNS0_20block_scan_algorithmE0ELj4294967295EEENS1_25partition_config_selectorILNS1_17partition_subalgoE4EjNS0_10empty_typeEbEEZZNS1_14partition_implILS8_4ELb0ES6_15HIP_vector_typeIjLj2EENS0_17counting_iteratorIjlEEPS9_SG_NS0_5tupleIJPjSI_NS0_16reverse_iteratorISI_EEEEENSH_IJSG_SG_SG_EEES9_SI_JZNS1_25segmented_radix_sort_implINS0_14default_configELb0EPKiPiPKlPlN2at6native12_GLOBAL__N_18offset_tEEE10hipError_tPvRmT1_PNSt15iterator_traitsIS12_E10value_typeET2_T3_PNS13_IS18_E10value_typeET4_jRbjT5_S1E_jjP12ihipStream_tbEUljE_ZNSN_ISO_Lb0ESQ_SR_ST_SU_SY_EESZ_S10_S11_S12_S16_S17_S18_S1B_S1C_jS1D_jS1E_S1E_jjS1G_bEUljE0_EEESZ_S10_S11_S18_S1C_S1E_T6_T7_T9_mT8_S1G_bDpT10_ENKUlT_T0_E_clISt17integral_constantIbLb0EES1U_EEDaS1P_S1Q_EUlS1P_E_NS1_11comp_targetILNS1_3genE2ELNS1_11target_archE906ELNS1_3gpuE6ELNS1_3repE0EEENS1_30default_config_static_selectorELNS0_4arch9wavefront6targetE0EEEvS12_,comdat
.Lfunc_end540:
	.size	_ZN7rocprim17ROCPRIM_400000_NS6detail17trampoline_kernelINS0_13select_configILj256ELj13ELNS0_17block_load_methodE3ELS4_3ELS4_3ELNS0_20block_scan_algorithmE0ELj4294967295EEENS1_25partition_config_selectorILNS1_17partition_subalgoE4EjNS0_10empty_typeEbEEZZNS1_14partition_implILS8_4ELb0ES6_15HIP_vector_typeIjLj2EENS0_17counting_iteratorIjlEEPS9_SG_NS0_5tupleIJPjSI_NS0_16reverse_iteratorISI_EEEEENSH_IJSG_SG_SG_EEES9_SI_JZNS1_25segmented_radix_sort_implINS0_14default_configELb0EPKiPiPKlPlN2at6native12_GLOBAL__N_18offset_tEEE10hipError_tPvRmT1_PNSt15iterator_traitsIS12_E10value_typeET2_T3_PNS13_IS18_E10value_typeET4_jRbjT5_S1E_jjP12ihipStream_tbEUljE_ZNSN_ISO_Lb0ESQ_SR_ST_SU_SY_EESZ_S10_S11_S12_S16_S17_S18_S1B_S1C_jS1D_jS1E_S1E_jjS1G_bEUljE0_EEESZ_S10_S11_S18_S1C_S1E_T6_T7_T9_mT8_S1G_bDpT10_ENKUlT_T0_E_clISt17integral_constantIbLb0EES1U_EEDaS1P_S1Q_EUlS1P_E_NS1_11comp_targetILNS1_3genE2ELNS1_11target_archE906ELNS1_3gpuE6ELNS1_3repE0EEENS1_30default_config_static_selectorELNS0_4arch9wavefront6targetE0EEEvS12_, .Lfunc_end540-_ZN7rocprim17ROCPRIM_400000_NS6detail17trampoline_kernelINS0_13select_configILj256ELj13ELNS0_17block_load_methodE3ELS4_3ELS4_3ELNS0_20block_scan_algorithmE0ELj4294967295EEENS1_25partition_config_selectorILNS1_17partition_subalgoE4EjNS0_10empty_typeEbEEZZNS1_14partition_implILS8_4ELb0ES6_15HIP_vector_typeIjLj2EENS0_17counting_iteratorIjlEEPS9_SG_NS0_5tupleIJPjSI_NS0_16reverse_iteratorISI_EEEEENSH_IJSG_SG_SG_EEES9_SI_JZNS1_25segmented_radix_sort_implINS0_14default_configELb0EPKiPiPKlPlN2at6native12_GLOBAL__N_18offset_tEEE10hipError_tPvRmT1_PNSt15iterator_traitsIS12_E10value_typeET2_T3_PNS13_IS18_E10value_typeET4_jRbjT5_S1E_jjP12ihipStream_tbEUljE_ZNSN_ISO_Lb0ESQ_SR_ST_SU_SY_EESZ_S10_S11_S12_S16_S17_S18_S1B_S1C_jS1D_jS1E_S1E_jjS1G_bEUljE0_EEESZ_S10_S11_S18_S1C_S1E_T6_T7_T9_mT8_S1G_bDpT10_ENKUlT_T0_E_clISt17integral_constantIbLb0EES1U_EEDaS1P_S1Q_EUlS1P_E_NS1_11comp_targetILNS1_3genE2ELNS1_11target_archE906ELNS1_3gpuE6ELNS1_3repE0EEENS1_30default_config_static_selectorELNS0_4arch9wavefront6targetE0EEEvS12_
                                        ; -- End function
	.section	.AMDGPU.csdata,"",@progbits
; Kernel info:
; codeLenInByte = 0
; NumSgprs: 0
; NumVgprs: 0
; ScratchSize: 0
; MemoryBound: 0
; FloatMode: 240
; IeeeMode: 1
; LDSByteSize: 0 bytes/workgroup (compile time only)
; SGPRBlocks: 0
; VGPRBlocks: 0
; NumSGPRsForWavesPerEU: 1
; NumVGPRsForWavesPerEU: 1
; Occupancy: 16
; WaveLimiterHint : 0
; COMPUTE_PGM_RSRC2:SCRATCH_EN: 0
; COMPUTE_PGM_RSRC2:USER_SGPR: 15
; COMPUTE_PGM_RSRC2:TRAP_HANDLER: 0
; COMPUTE_PGM_RSRC2:TGID_X_EN: 1
; COMPUTE_PGM_RSRC2:TGID_Y_EN: 0
; COMPUTE_PGM_RSRC2:TGID_Z_EN: 0
; COMPUTE_PGM_RSRC2:TIDIG_COMP_CNT: 0
	.section	.text._ZN7rocprim17ROCPRIM_400000_NS6detail17trampoline_kernelINS0_13select_configILj256ELj13ELNS0_17block_load_methodE3ELS4_3ELS4_3ELNS0_20block_scan_algorithmE0ELj4294967295EEENS1_25partition_config_selectorILNS1_17partition_subalgoE4EjNS0_10empty_typeEbEEZZNS1_14partition_implILS8_4ELb0ES6_15HIP_vector_typeIjLj2EENS0_17counting_iteratorIjlEEPS9_SG_NS0_5tupleIJPjSI_NS0_16reverse_iteratorISI_EEEEENSH_IJSG_SG_SG_EEES9_SI_JZNS1_25segmented_radix_sort_implINS0_14default_configELb0EPKiPiPKlPlN2at6native12_GLOBAL__N_18offset_tEEE10hipError_tPvRmT1_PNSt15iterator_traitsIS12_E10value_typeET2_T3_PNS13_IS18_E10value_typeET4_jRbjT5_S1E_jjP12ihipStream_tbEUljE_ZNSN_ISO_Lb0ESQ_SR_ST_SU_SY_EESZ_S10_S11_S12_S16_S17_S18_S1B_S1C_jS1D_jS1E_S1E_jjS1G_bEUljE0_EEESZ_S10_S11_S18_S1C_S1E_T6_T7_T9_mT8_S1G_bDpT10_ENKUlT_T0_E_clISt17integral_constantIbLb0EES1U_EEDaS1P_S1Q_EUlS1P_E_NS1_11comp_targetILNS1_3genE10ELNS1_11target_archE1200ELNS1_3gpuE4ELNS1_3repE0EEENS1_30default_config_static_selectorELNS0_4arch9wavefront6targetE0EEEvS12_,"axG",@progbits,_ZN7rocprim17ROCPRIM_400000_NS6detail17trampoline_kernelINS0_13select_configILj256ELj13ELNS0_17block_load_methodE3ELS4_3ELS4_3ELNS0_20block_scan_algorithmE0ELj4294967295EEENS1_25partition_config_selectorILNS1_17partition_subalgoE4EjNS0_10empty_typeEbEEZZNS1_14partition_implILS8_4ELb0ES6_15HIP_vector_typeIjLj2EENS0_17counting_iteratorIjlEEPS9_SG_NS0_5tupleIJPjSI_NS0_16reverse_iteratorISI_EEEEENSH_IJSG_SG_SG_EEES9_SI_JZNS1_25segmented_radix_sort_implINS0_14default_configELb0EPKiPiPKlPlN2at6native12_GLOBAL__N_18offset_tEEE10hipError_tPvRmT1_PNSt15iterator_traitsIS12_E10value_typeET2_T3_PNS13_IS18_E10value_typeET4_jRbjT5_S1E_jjP12ihipStream_tbEUljE_ZNSN_ISO_Lb0ESQ_SR_ST_SU_SY_EESZ_S10_S11_S12_S16_S17_S18_S1B_S1C_jS1D_jS1E_S1E_jjS1G_bEUljE0_EEESZ_S10_S11_S18_S1C_S1E_T6_T7_T9_mT8_S1G_bDpT10_ENKUlT_T0_E_clISt17integral_constantIbLb0EES1U_EEDaS1P_S1Q_EUlS1P_E_NS1_11comp_targetILNS1_3genE10ELNS1_11target_archE1200ELNS1_3gpuE4ELNS1_3repE0EEENS1_30default_config_static_selectorELNS0_4arch9wavefront6targetE0EEEvS12_,comdat
	.globl	_ZN7rocprim17ROCPRIM_400000_NS6detail17trampoline_kernelINS0_13select_configILj256ELj13ELNS0_17block_load_methodE3ELS4_3ELS4_3ELNS0_20block_scan_algorithmE0ELj4294967295EEENS1_25partition_config_selectorILNS1_17partition_subalgoE4EjNS0_10empty_typeEbEEZZNS1_14partition_implILS8_4ELb0ES6_15HIP_vector_typeIjLj2EENS0_17counting_iteratorIjlEEPS9_SG_NS0_5tupleIJPjSI_NS0_16reverse_iteratorISI_EEEEENSH_IJSG_SG_SG_EEES9_SI_JZNS1_25segmented_radix_sort_implINS0_14default_configELb0EPKiPiPKlPlN2at6native12_GLOBAL__N_18offset_tEEE10hipError_tPvRmT1_PNSt15iterator_traitsIS12_E10value_typeET2_T3_PNS13_IS18_E10value_typeET4_jRbjT5_S1E_jjP12ihipStream_tbEUljE_ZNSN_ISO_Lb0ESQ_SR_ST_SU_SY_EESZ_S10_S11_S12_S16_S17_S18_S1B_S1C_jS1D_jS1E_S1E_jjS1G_bEUljE0_EEESZ_S10_S11_S18_S1C_S1E_T6_T7_T9_mT8_S1G_bDpT10_ENKUlT_T0_E_clISt17integral_constantIbLb0EES1U_EEDaS1P_S1Q_EUlS1P_E_NS1_11comp_targetILNS1_3genE10ELNS1_11target_archE1200ELNS1_3gpuE4ELNS1_3repE0EEENS1_30default_config_static_selectorELNS0_4arch9wavefront6targetE0EEEvS12_ ; -- Begin function _ZN7rocprim17ROCPRIM_400000_NS6detail17trampoline_kernelINS0_13select_configILj256ELj13ELNS0_17block_load_methodE3ELS4_3ELS4_3ELNS0_20block_scan_algorithmE0ELj4294967295EEENS1_25partition_config_selectorILNS1_17partition_subalgoE4EjNS0_10empty_typeEbEEZZNS1_14partition_implILS8_4ELb0ES6_15HIP_vector_typeIjLj2EENS0_17counting_iteratorIjlEEPS9_SG_NS0_5tupleIJPjSI_NS0_16reverse_iteratorISI_EEEEENSH_IJSG_SG_SG_EEES9_SI_JZNS1_25segmented_radix_sort_implINS0_14default_configELb0EPKiPiPKlPlN2at6native12_GLOBAL__N_18offset_tEEE10hipError_tPvRmT1_PNSt15iterator_traitsIS12_E10value_typeET2_T3_PNS13_IS18_E10value_typeET4_jRbjT5_S1E_jjP12ihipStream_tbEUljE_ZNSN_ISO_Lb0ESQ_SR_ST_SU_SY_EESZ_S10_S11_S12_S16_S17_S18_S1B_S1C_jS1D_jS1E_S1E_jjS1G_bEUljE0_EEESZ_S10_S11_S18_S1C_S1E_T6_T7_T9_mT8_S1G_bDpT10_ENKUlT_T0_E_clISt17integral_constantIbLb0EES1U_EEDaS1P_S1Q_EUlS1P_E_NS1_11comp_targetILNS1_3genE10ELNS1_11target_archE1200ELNS1_3gpuE4ELNS1_3repE0EEENS1_30default_config_static_selectorELNS0_4arch9wavefront6targetE0EEEvS12_
	.p2align	8
	.type	_ZN7rocprim17ROCPRIM_400000_NS6detail17trampoline_kernelINS0_13select_configILj256ELj13ELNS0_17block_load_methodE3ELS4_3ELS4_3ELNS0_20block_scan_algorithmE0ELj4294967295EEENS1_25partition_config_selectorILNS1_17partition_subalgoE4EjNS0_10empty_typeEbEEZZNS1_14partition_implILS8_4ELb0ES6_15HIP_vector_typeIjLj2EENS0_17counting_iteratorIjlEEPS9_SG_NS0_5tupleIJPjSI_NS0_16reverse_iteratorISI_EEEEENSH_IJSG_SG_SG_EEES9_SI_JZNS1_25segmented_radix_sort_implINS0_14default_configELb0EPKiPiPKlPlN2at6native12_GLOBAL__N_18offset_tEEE10hipError_tPvRmT1_PNSt15iterator_traitsIS12_E10value_typeET2_T3_PNS13_IS18_E10value_typeET4_jRbjT5_S1E_jjP12ihipStream_tbEUljE_ZNSN_ISO_Lb0ESQ_SR_ST_SU_SY_EESZ_S10_S11_S12_S16_S17_S18_S1B_S1C_jS1D_jS1E_S1E_jjS1G_bEUljE0_EEESZ_S10_S11_S18_S1C_S1E_T6_T7_T9_mT8_S1G_bDpT10_ENKUlT_T0_E_clISt17integral_constantIbLb0EES1U_EEDaS1P_S1Q_EUlS1P_E_NS1_11comp_targetILNS1_3genE10ELNS1_11target_archE1200ELNS1_3gpuE4ELNS1_3repE0EEENS1_30default_config_static_selectorELNS0_4arch9wavefront6targetE0EEEvS12_,@function
_ZN7rocprim17ROCPRIM_400000_NS6detail17trampoline_kernelINS0_13select_configILj256ELj13ELNS0_17block_load_methodE3ELS4_3ELS4_3ELNS0_20block_scan_algorithmE0ELj4294967295EEENS1_25partition_config_selectorILNS1_17partition_subalgoE4EjNS0_10empty_typeEbEEZZNS1_14partition_implILS8_4ELb0ES6_15HIP_vector_typeIjLj2EENS0_17counting_iteratorIjlEEPS9_SG_NS0_5tupleIJPjSI_NS0_16reverse_iteratorISI_EEEEENSH_IJSG_SG_SG_EEES9_SI_JZNS1_25segmented_radix_sort_implINS0_14default_configELb0EPKiPiPKlPlN2at6native12_GLOBAL__N_18offset_tEEE10hipError_tPvRmT1_PNSt15iterator_traitsIS12_E10value_typeET2_T3_PNS13_IS18_E10value_typeET4_jRbjT5_S1E_jjP12ihipStream_tbEUljE_ZNSN_ISO_Lb0ESQ_SR_ST_SU_SY_EESZ_S10_S11_S12_S16_S17_S18_S1B_S1C_jS1D_jS1E_S1E_jjS1G_bEUljE0_EEESZ_S10_S11_S18_S1C_S1E_T6_T7_T9_mT8_S1G_bDpT10_ENKUlT_T0_E_clISt17integral_constantIbLb0EES1U_EEDaS1P_S1Q_EUlS1P_E_NS1_11comp_targetILNS1_3genE10ELNS1_11target_archE1200ELNS1_3gpuE4ELNS1_3repE0EEENS1_30default_config_static_selectorELNS0_4arch9wavefront6targetE0EEEvS12_: ; @_ZN7rocprim17ROCPRIM_400000_NS6detail17trampoline_kernelINS0_13select_configILj256ELj13ELNS0_17block_load_methodE3ELS4_3ELS4_3ELNS0_20block_scan_algorithmE0ELj4294967295EEENS1_25partition_config_selectorILNS1_17partition_subalgoE4EjNS0_10empty_typeEbEEZZNS1_14partition_implILS8_4ELb0ES6_15HIP_vector_typeIjLj2EENS0_17counting_iteratorIjlEEPS9_SG_NS0_5tupleIJPjSI_NS0_16reverse_iteratorISI_EEEEENSH_IJSG_SG_SG_EEES9_SI_JZNS1_25segmented_radix_sort_implINS0_14default_configELb0EPKiPiPKlPlN2at6native12_GLOBAL__N_18offset_tEEE10hipError_tPvRmT1_PNSt15iterator_traitsIS12_E10value_typeET2_T3_PNS13_IS18_E10value_typeET4_jRbjT5_S1E_jjP12ihipStream_tbEUljE_ZNSN_ISO_Lb0ESQ_SR_ST_SU_SY_EESZ_S10_S11_S12_S16_S17_S18_S1B_S1C_jS1D_jS1E_S1E_jjS1G_bEUljE0_EEESZ_S10_S11_S18_S1C_S1E_T6_T7_T9_mT8_S1G_bDpT10_ENKUlT_T0_E_clISt17integral_constantIbLb0EES1U_EEDaS1P_S1Q_EUlS1P_E_NS1_11comp_targetILNS1_3genE10ELNS1_11target_archE1200ELNS1_3gpuE4ELNS1_3repE0EEENS1_30default_config_static_selectorELNS0_4arch9wavefront6targetE0EEEvS12_
; %bb.0:
	.section	.rodata,"a",@progbits
	.p2align	6, 0x0
	.amdhsa_kernel _ZN7rocprim17ROCPRIM_400000_NS6detail17trampoline_kernelINS0_13select_configILj256ELj13ELNS0_17block_load_methodE3ELS4_3ELS4_3ELNS0_20block_scan_algorithmE0ELj4294967295EEENS1_25partition_config_selectorILNS1_17partition_subalgoE4EjNS0_10empty_typeEbEEZZNS1_14partition_implILS8_4ELb0ES6_15HIP_vector_typeIjLj2EENS0_17counting_iteratorIjlEEPS9_SG_NS0_5tupleIJPjSI_NS0_16reverse_iteratorISI_EEEEENSH_IJSG_SG_SG_EEES9_SI_JZNS1_25segmented_radix_sort_implINS0_14default_configELb0EPKiPiPKlPlN2at6native12_GLOBAL__N_18offset_tEEE10hipError_tPvRmT1_PNSt15iterator_traitsIS12_E10value_typeET2_T3_PNS13_IS18_E10value_typeET4_jRbjT5_S1E_jjP12ihipStream_tbEUljE_ZNSN_ISO_Lb0ESQ_SR_ST_SU_SY_EESZ_S10_S11_S12_S16_S17_S18_S1B_S1C_jS1D_jS1E_S1E_jjS1G_bEUljE0_EEESZ_S10_S11_S18_S1C_S1E_T6_T7_T9_mT8_S1G_bDpT10_ENKUlT_T0_E_clISt17integral_constantIbLb0EES1U_EEDaS1P_S1Q_EUlS1P_E_NS1_11comp_targetILNS1_3genE10ELNS1_11target_archE1200ELNS1_3gpuE4ELNS1_3repE0EEENS1_30default_config_static_selectorELNS0_4arch9wavefront6targetE0EEEvS12_
		.amdhsa_group_segment_fixed_size 0
		.amdhsa_private_segment_fixed_size 0
		.amdhsa_kernarg_size 176
		.amdhsa_user_sgpr_count 15
		.amdhsa_user_sgpr_dispatch_ptr 0
		.amdhsa_user_sgpr_queue_ptr 0
		.amdhsa_user_sgpr_kernarg_segment_ptr 1
		.amdhsa_user_sgpr_dispatch_id 0
		.amdhsa_user_sgpr_private_segment_size 0
		.amdhsa_wavefront_size32 1
		.amdhsa_uses_dynamic_stack 0
		.amdhsa_enable_private_segment 0
		.amdhsa_system_sgpr_workgroup_id_x 1
		.amdhsa_system_sgpr_workgroup_id_y 0
		.amdhsa_system_sgpr_workgroup_id_z 0
		.amdhsa_system_sgpr_workgroup_info 0
		.amdhsa_system_vgpr_workitem_id 0
		.amdhsa_next_free_vgpr 1
		.amdhsa_next_free_sgpr 1
		.amdhsa_reserve_vcc 0
		.amdhsa_float_round_mode_32 0
		.amdhsa_float_round_mode_16_64 0
		.amdhsa_float_denorm_mode_32 3
		.amdhsa_float_denorm_mode_16_64 3
		.amdhsa_dx10_clamp 1
		.amdhsa_ieee_mode 1
		.amdhsa_fp16_overflow 0
		.amdhsa_workgroup_processor_mode 1
		.amdhsa_memory_ordered 1
		.amdhsa_forward_progress 0
		.amdhsa_shared_vgpr_count 0
		.amdhsa_exception_fp_ieee_invalid_op 0
		.amdhsa_exception_fp_denorm_src 0
		.amdhsa_exception_fp_ieee_div_zero 0
		.amdhsa_exception_fp_ieee_overflow 0
		.amdhsa_exception_fp_ieee_underflow 0
		.amdhsa_exception_fp_ieee_inexact 0
		.amdhsa_exception_int_div_zero 0
	.end_amdhsa_kernel
	.section	.text._ZN7rocprim17ROCPRIM_400000_NS6detail17trampoline_kernelINS0_13select_configILj256ELj13ELNS0_17block_load_methodE3ELS4_3ELS4_3ELNS0_20block_scan_algorithmE0ELj4294967295EEENS1_25partition_config_selectorILNS1_17partition_subalgoE4EjNS0_10empty_typeEbEEZZNS1_14partition_implILS8_4ELb0ES6_15HIP_vector_typeIjLj2EENS0_17counting_iteratorIjlEEPS9_SG_NS0_5tupleIJPjSI_NS0_16reverse_iteratorISI_EEEEENSH_IJSG_SG_SG_EEES9_SI_JZNS1_25segmented_radix_sort_implINS0_14default_configELb0EPKiPiPKlPlN2at6native12_GLOBAL__N_18offset_tEEE10hipError_tPvRmT1_PNSt15iterator_traitsIS12_E10value_typeET2_T3_PNS13_IS18_E10value_typeET4_jRbjT5_S1E_jjP12ihipStream_tbEUljE_ZNSN_ISO_Lb0ESQ_SR_ST_SU_SY_EESZ_S10_S11_S12_S16_S17_S18_S1B_S1C_jS1D_jS1E_S1E_jjS1G_bEUljE0_EEESZ_S10_S11_S18_S1C_S1E_T6_T7_T9_mT8_S1G_bDpT10_ENKUlT_T0_E_clISt17integral_constantIbLb0EES1U_EEDaS1P_S1Q_EUlS1P_E_NS1_11comp_targetILNS1_3genE10ELNS1_11target_archE1200ELNS1_3gpuE4ELNS1_3repE0EEENS1_30default_config_static_selectorELNS0_4arch9wavefront6targetE0EEEvS12_,"axG",@progbits,_ZN7rocprim17ROCPRIM_400000_NS6detail17trampoline_kernelINS0_13select_configILj256ELj13ELNS0_17block_load_methodE3ELS4_3ELS4_3ELNS0_20block_scan_algorithmE0ELj4294967295EEENS1_25partition_config_selectorILNS1_17partition_subalgoE4EjNS0_10empty_typeEbEEZZNS1_14partition_implILS8_4ELb0ES6_15HIP_vector_typeIjLj2EENS0_17counting_iteratorIjlEEPS9_SG_NS0_5tupleIJPjSI_NS0_16reverse_iteratorISI_EEEEENSH_IJSG_SG_SG_EEES9_SI_JZNS1_25segmented_radix_sort_implINS0_14default_configELb0EPKiPiPKlPlN2at6native12_GLOBAL__N_18offset_tEEE10hipError_tPvRmT1_PNSt15iterator_traitsIS12_E10value_typeET2_T3_PNS13_IS18_E10value_typeET4_jRbjT5_S1E_jjP12ihipStream_tbEUljE_ZNSN_ISO_Lb0ESQ_SR_ST_SU_SY_EESZ_S10_S11_S12_S16_S17_S18_S1B_S1C_jS1D_jS1E_S1E_jjS1G_bEUljE0_EEESZ_S10_S11_S18_S1C_S1E_T6_T7_T9_mT8_S1G_bDpT10_ENKUlT_T0_E_clISt17integral_constantIbLb0EES1U_EEDaS1P_S1Q_EUlS1P_E_NS1_11comp_targetILNS1_3genE10ELNS1_11target_archE1200ELNS1_3gpuE4ELNS1_3repE0EEENS1_30default_config_static_selectorELNS0_4arch9wavefront6targetE0EEEvS12_,comdat
.Lfunc_end541:
	.size	_ZN7rocprim17ROCPRIM_400000_NS6detail17trampoline_kernelINS0_13select_configILj256ELj13ELNS0_17block_load_methodE3ELS4_3ELS4_3ELNS0_20block_scan_algorithmE0ELj4294967295EEENS1_25partition_config_selectorILNS1_17partition_subalgoE4EjNS0_10empty_typeEbEEZZNS1_14partition_implILS8_4ELb0ES6_15HIP_vector_typeIjLj2EENS0_17counting_iteratorIjlEEPS9_SG_NS0_5tupleIJPjSI_NS0_16reverse_iteratorISI_EEEEENSH_IJSG_SG_SG_EEES9_SI_JZNS1_25segmented_radix_sort_implINS0_14default_configELb0EPKiPiPKlPlN2at6native12_GLOBAL__N_18offset_tEEE10hipError_tPvRmT1_PNSt15iterator_traitsIS12_E10value_typeET2_T3_PNS13_IS18_E10value_typeET4_jRbjT5_S1E_jjP12ihipStream_tbEUljE_ZNSN_ISO_Lb0ESQ_SR_ST_SU_SY_EESZ_S10_S11_S12_S16_S17_S18_S1B_S1C_jS1D_jS1E_S1E_jjS1G_bEUljE0_EEESZ_S10_S11_S18_S1C_S1E_T6_T7_T9_mT8_S1G_bDpT10_ENKUlT_T0_E_clISt17integral_constantIbLb0EES1U_EEDaS1P_S1Q_EUlS1P_E_NS1_11comp_targetILNS1_3genE10ELNS1_11target_archE1200ELNS1_3gpuE4ELNS1_3repE0EEENS1_30default_config_static_selectorELNS0_4arch9wavefront6targetE0EEEvS12_, .Lfunc_end541-_ZN7rocprim17ROCPRIM_400000_NS6detail17trampoline_kernelINS0_13select_configILj256ELj13ELNS0_17block_load_methodE3ELS4_3ELS4_3ELNS0_20block_scan_algorithmE0ELj4294967295EEENS1_25partition_config_selectorILNS1_17partition_subalgoE4EjNS0_10empty_typeEbEEZZNS1_14partition_implILS8_4ELb0ES6_15HIP_vector_typeIjLj2EENS0_17counting_iteratorIjlEEPS9_SG_NS0_5tupleIJPjSI_NS0_16reverse_iteratorISI_EEEEENSH_IJSG_SG_SG_EEES9_SI_JZNS1_25segmented_radix_sort_implINS0_14default_configELb0EPKiPiPKlPlN2at6native12_GLOBAL__N_18offset_tEEE10hipError_tPvRmT1_PNSt15iterator_traitsIS12_E10value_typeET2_T3_PNS13_IS18_E10value_typeET4_jRbjT5_S1E_jjP12ihipStream_tbEUljE_ZNSN_ISO_Lb0ESQ_SR_ST_SU_SY_EESZ_S10_S11_S12_S16_S17_S18_S1B_S1C_jS1D_jS1E_S1E_jjS1G_bEUljE0_EEESZ_S10_S11_S18_S1C_S1E_T6_T7_T9_mT8_S1G_bDpT10_ENKUlT_T0_E_clISt17integral_constantIbLb0EES1U_EEDaS1P_S1Q_EUlS1P_E_NS1_11comp_targetILNS1_3genE10ELNS1_11target_archE1200ELNS1_3gpuE4ELNS1_3repE0EEENS1_30default_config_static_selectorELNS0_4arch9wavefront6targetE0EEEvS12_
                                        ; -- End function
	.section	.AMDGPU.csdata,"",@progbits
; Kernel info:
; codeLenInByte = 0
; NumSgprs: 0
; NumVgprs: 0
; ScratchSize: 0
; MemoryBound: 0
; FloatMode: 240
; IeeeMode: 1
; LDSByteSize: 0 bytes/workgroup (compile time only)
; SGPRBlocks: 0
; VGPRBlocks: 0
; NumSGPRsForWavesPerEU: 1
; NumVGPRsForWavesPerEU: 1
; Occupancy: 16
; WaveLimiterHint : 0
; COMPUTE_PGM_RSRC2:SCRATCH_EN: 0
; COMPUTE_PGM_RSRC2:USER_SGPR: 15
; COMPUTE_PGM_RSRC2:TRAP_HANDLER: 0
; COMPUTE_PGM_RSRC2:TGID_X_EN: 1
; COMPUTE_PGM_RSRC2:TGID_Y_EN: 0
; COMPUTE_PGM_RSRC2:TGID_Z_EN: 0
; COMPUTE_PGM_RSRC2:TIDIG_COMP_CNT: 0
	.section	.text._ZN7rocprim17ROCPRIM_400000_NS6detail17trampoline_kernelINS0_13select_configILj256ELj13ELNS0_17block_load_methodE3ELS4_3ELS4_3ELNS0_20block_scan_algorithmE0ELj4294967295EEENS1_25partition_config_selectorILNS1_17partition_subalgoE4EjNS0_10empty_typeEbEEZZNS1_14partition_implILS8_4ELb0ES6_15HIP_vector_typeIjLj2EENS0_17counting_iteratorIjlEEPS9_SG_NS0_5tupleIJPjSI_NS0_16reverse_iteratorISI_EEEEENSH_IJSG_SG_SG_EEES9_SI_JZNS1_25segmented_radix_sort_implINS0_14default_configELb0EPKiPiPKlPlN2at6native12_GLOBAL__N_18offset_tEEE10hipError_tPvRmT1_PNSt15iterator_traitsIS12_E10value_typeET2_T3_PNS13_IS18_E10value_typeET4_jRbjT5_S1E_jjP12ihipStream_tbEUljE_ZNSN_ISO_Lb0ESQ_SR_ST_SU_SY_EESZ_S10_S11_S12_S16_S17_S18_S1B_S1C_jS1D_jS1E_S1E_jjS1G_bEUljE0_EEESZ_S10_S11_S18_S1C_S1E_T6_T7_T9_mT8_S1G_bDpT10_ENKUlT_T0_E_clISt17integral_constantIbLb0EES1U_EEDaS1P_S1Q_EUlS1P_E_NS1_11comp_targetILNS1_3genE9ELNS1_11target_archE1100ELNS1_3gpuE3ELNS1_3repE0EEENS1_30default_config_static_selectorELNS0_4arch9wavefront6targetE0EEEvS12_,"axG",@progbits,_ZN7rocprim17ROCPRIM_400000_NS6detail17trampoline_kernelINS0_13select_configILj256ELj13ELNS0_17block_load_methodE3ELS4_3ELS4_3ELNS0_20block_scan_algorithmE0ELj4294967295EEENS1_25partition_config_selectorILNS1_17partition_subalgoE4EjNS0_10empty_typeEbEEZZNS1_14partition_implILS8_4ELb0ES6_15HIP_vector_typeIjLj2EENS0_17counting_iteratorIjlEEPS9_SG_NS0_5tupleIJPjSI_NS0_16reverse_iteratorISI_EEEEENSH_IJSG_SG_SG_EEES9_SI_JZNS1_25segmented_radix_sort_implINS0_14default_configELb0EPKiPiPKlPlN2at6native12_GLOBAL__N_18offset_tEEE10hipError_tPvRmT1_PNSt15iterator_traitsIS12_E10value_typeET2_T3_PNS13_IS18_E10value_typeET4_jRbjT5_S1E_jjP12ihipStream_tbEUljE_ZNSN_ISO_Lb0ESQ_SR_ST_SU_SY_EESZ_S10_S11_S12_S16_S17_S18_S1B_S1C_jS1D_jS1E_S1E_jjS1G_bEUljE0_EEESZ_S10_S11_S18_S1C_S1E_T6_T7_T9_mT8_S1G_bDpT10_ENKUlT_T0_E_clISt17integral_constantIbLb0EES1U_EEDaS1P_S1Q_EUlS1P_E_NS1_11comp_targetILNS1_3genE9ELNS1_11target_archE1100ELNS1_3gpuE3ELNS1_3repE0EEENS1_30default_config_static_selectorELNS0_4arch9wavefront6targetE0EEEvS12_,comdat
	.globl	_ZN7rocprim17ROCPRIM_400000_NS6detail17trampoline_kernelINS0_13select_configILj256ELj13ELNS0_17block_load_methodE3ELS4_3ELS4_3ELNS0_20block_scan_algorithmE0ELj4294967295EEENS1_25partition_config_selectorILNS1_17partition_subalgoE4EjNS0_10empty_typeEbEEZZNS1_14partition_implILS8_4ELb0ES6_15HIP_vector_typeIjLj2EENS0_17counting_iteratorIjlEEPS9_SG_NS0_5tupleIJPjSI_NS0_16reverse_iteratorISI_EEEEENSH_IJSG_SG_SG_EEES9_SI_JZNS1_25segmented_radix_sort_implINS0_14default_configELb0EPKiPiPKlPlN2at6native12_GLOBAL__N_18offset_tEEE10hipError_tPvRmT1_PNSt15iterator_traitsIS12_E10value_typeET2_T3_PNS13_IS18_E10value_typeET4_jRbjT5_S1E_jjP12ihipStream_tbEUljE_ZNSN_ISO_Lb0ESQ_SR_ST_SU_SY_EESZ_S10_S11_S12_S16_S17_S18_S1B_S1C_jS1D_jS1E_S1E_jjS1G_bEUljE0_EEESZ_S10_S11_S18_S1C_S1E_T6_T7_T9_mT8_S1G_bDpT10_ENKUlT_T0_E_clISt17integral_constantIbLb0EES1U_EEDaS1P_S1Q_EUlS1P_E_NS1_11comp_targetILNS1_3genE9ELNS1_11target_archE1100ELNS1_3gpuE3ELNS1_3repE0EEENS1_30default_config_static_selectorELNS0_4arch9wavefront6targetE0EEEvS12_ ; -- Begin function _ZN7rocprim17ROCPRIM_400000_NS6detail17trampoline_kernelINS0_13select_configILj256ELj13ELNS0_17block_load_methodE3ELS4_3ELS4_3ELNS0_20block_scan_algorithmE0ELj4294967295EEENS1_25partition_config_selectorILNS1_17partition_subalgoE4EjNS0_10empty_typeEbEEZZNS1_14partition_implILS8_4ELb0ES6_15HIP_vector_typeIjLj2EENS0_17counting_iteratorIjlEEPS9_SG_NS0_5tupleIJPjSI_NS0_16reverse_iteratorISI_EEEEENSH_IJSG_SG_SG_EEES9_SI_JZNS1_25segmented_radix_sort_implINS0_14default_configELb0EPKiPiPKlPlN2at6native12_GLOBAL__N_18offset_tEEE10hipError_tPvRmT1_PNSt15iterator_traitsIS12_E10value_typeET2_T3_PNS13_IS18_E10value_typeET4_jRbjT5_S1E_jjP12ihipStream_tbEUljE_ZNSN_ISO_Lb0ESQ_SR_ST_SU_SY_EESZ_S10_S11_S12_S16_S17_S18_S1B_S1C_jS1D_jS1E_S1E_jjS1G_bEUljE0_EEESZ_S10_S11_S18_S1C_S1E_T6_T7_T9_mT8_S1G_bDpT10_ENKUlT_T0_E_clISt17integral_constantIbLb0EES1U_EEDaS1P_S1Q_EUlS1P_E_NS1_11comp_targetILNS1_3genE9ELNS1_11target_archE1100ELNS1_3gpuE3ELNS1_3repE0EEENS1_30default_config_static_selectorELNS0_4arch9wavefront6targetE0EEEvS12_
	.p2align	8
	.type	_ZN7rocprim17ROCPRIM_400000_NS6detail17trampoline_kernelINS0_13select_configILj256ELj13ELNS0_17block_load_methodE3ELS4_3ELS4_3ELNS0_20block_scan_algorithmE0ELj4294967295EEENS1_25partition_config_selectorILNS1_17partition_subalgoE4EjNS0_10empty_typeEbEEZZNS1_14partition_implILS8_4ELb0ES6_15HIP_vector_typeIjLj2EENS0_17counting_iteratorIjlEEPS9_SG_NS0_5tupleIJPjSI_NS0_16reverse_iteratorISI_EEEEENSH_IJSG_SG_SG_EEES9_SI_JZNS1_25segmented_radix_sort_implINS0_14default_configELb0EPKiPiPKlPlN2at6native12_GLOBAL__N_18offset_tEEE10hipError_tPvRmT1_PNSt15iterator_traitsIS12_E10value_typeET2_T3_PNS13_IS18_E10value_typeET4_jRbjT5_S1E_jjP12ihipStream_tbEUljE_ZNSN_ISO_Lb0ESQ_SR_ST_SU_SY_EESZ_S10_S11_S12_S16_S17_S18_S1B_S1C_jS1D_jS1E_S1E_jjS1G_bEUljE0_EEESZ_S10_S11_S18_S1C_S1E_T6_T7_T9_mT8_S1G_bDpT10_ENKUlT_T0_E_clISt17integral_constantIbLb0EES1U_EEDaS1P_S1Q_EUlS1P_E_NS1_11comp_targetILNS1_3genE9ELNS1_11target_archE1100ELNS1_3gpuE3ELNS1_3repE0EEENS1_30default_config_static_selectorELNS0_4arch9wavefront6targetE0EEEvS12_,@function
_ZN7rocprim17ROCPRIM_400000_NS6detail17trampoline_kernelINS0_13select_configILj256ELj13ELNS0_17block_load_methodE3ELS4_3ELS4_3ELNS0_20block_scan_algorithmE0ELj4294967295EEENS1_25partition_config_selectorILNS1_17partition_subalgoE4EjNS0_10empty_typeEbEEZZNS1_14partition_implILS8_4ELb0ES6_15HIP_vector_typeIjLj2EENS0_17counting_iteratorIjlEEPS9_SG_NS0_5tupleIJPjSI_NS0_16reverse_iteratorISI_EEEEENSH_IJSG_SG_SG_EEES9_SI_JZNS1_25segmented_radix_sort_implINS0_14default_configELb0EPKiPiPKlPlN2at6native12_GLOBAL__N_18offset_tEEE10hipError_tPvRmT1_PNSt15iterator_traitsIS12_E10value_typeET2_T3_PNS13_IS18_E10value_typeET4_jRbjT5_S1E_jjP12ihipStream_tbEUljE_ZNSN_ISO_Lb0ESQ_SR_ST_SU_SY_EESZ_S10_S11_S12_S16_S17_S18_S1B_S1C_jS1D_jS1E_S1E_jjS1G_bEUljE0_EEESZ_S10_S11_S18_S1C_S1E_T6_T7_T9_mT8_S1G_bDpT10_ENKUlT_T0_E_clISt17integral_constantIbLb0EES1U_EEDaS1P_S1Q_EUlS1P_E_NS1_11comp_targetILNS1_3genE9ELNS1_11target_archE1100ELNS1_3gpuE3ELNS1_3repE0EEENS1_30default_config_static_selectorELNS0_4arch9wavefront6targetE0EEEvS12_: ; @_ZN7rocprim17ROCPRIM_400000_NS6detail17trampoline_kernelINS0_13select_configILj256ELj13ELNS0_17block_load_methodE3ELS4_3ELS4_3ELNS0_20block_scan_algorithmE0ELj4294967295EEENS1_25partition_config_selectorILNS1_17partition_subalgoE4EjNS0_10empty_typeEbEEZZNS1_14partition_implILS8_4ELb0ES6_15HIP_vector_typeIjLj2EENS0_17counting_iteratorIjlEEPS9_SG_NS0_5tupleIJPjSI_NS0_16reverse_iteratorISI_EEEEENSH_IJSG_SG_SG_EEES9_SI_JZNS1_25segmented_radix_sort_implINS0_14default_configELb0EPKiPiPKlPlN2at6native12_GLOBAL__N_18offset_tEEE10hipError_tPvRmT1_PNSt15iterator_traitsIS12_E10value_typeET2_T3_PNS13_IS18_E10value_typeET4_jRbjT5_S1E_jjP12ihipStream_tbEUljE_ZNSN_ISO_Lb0ESQ_SR_ST_SU_SY_EESZ_S10_S11_S12_S16_S17_S18_S1B_S1C_jS1D_jS1E_S1E_jjS1G_bEUljE0_EEESZ_S10_S11_S18_S1C_S1E_T6_T7_T9_mT8_S1G_bDpT10_ENKUlT_T0_E_clISt17integral_constantIbLb0EES1U_EEDaS1P_S1Q_EUlS1P_E_NS1_11comp_targetILNS1_3genE9ELNS1_11target_archE1100ELNS1_3gpuE3ELNS1_3repE0EEENS1_30default_config_static_selectorELNS0_4arch9wavefront6targetE0EEEvS12_
; %bb.0:
	s_clause 0x6
	s_load_b32 s5, s[0:1], 0x80
	s_load_b64 s[34:35], s[0:1], 0x10
	s_load_b64 s[2:3], s[0:1], 0x68
	s_load_b32 s8, s[0:1], 0x8
	s_load_b128 s[24:27], s[0:1], 0x58
	s_load_b64 s[40:41], s[0:1], 0xa8
	s_load_b256 s[16:23], s[0:1], 0x88
	s_mul_i32 s33, s15, 0xd00
	s_waitcnt lgkmcnt(0)
	s_mul_i32 s4, s5, 0xd00
	s_add_i32 s5, s5, -1
	s_add_u32 s6, s34, s4
	s_addc_u32 s7, s35, 0
	s_load_b128 s[28:31], s[26:27], 0x0
	s_cmp_eq_u32 s15, s5
	v_cmp_lt_u64_e64 s3, s[6:7], s[2:3]
	s_cselect_b32 s14, -1, 0
	s_cmp_lg_u32 s15, s5
	s_cselect_b32 s5, -1, 0
	s_add_i32 s6, s8, s33
	s_delay_alu instid0(VALU_DEP_1) | instskip(SKIP_4) | instid1(VALU_DEP_1)
	s_or_b32 s3, s5, s3
	s_add_i32 s6, s6, s34
	s_and_b32 vcc_lo, exec_lo, s3
	v_add_nc_u32_e32 v1, s6, v0
	s_mov_b32 s5, -1
	v_add_nc_u32_e32 v2, 0x100, v1
	v_add_nc_u32_e32 v3, 0x200, v1
	;; [unrolled: 1-line block ×12, first 2 shown]
	s_cbranch_vccz .LBB542_2
; %bb.1:
	v_lshlrev_b32_e32 v14, 2, v0
	s_mov_b32 s5, 0
	ds_store_2addr_stride64_b32 v14, v1, v2 offset1:4
	ds_store_2addr_stride64_b32 v14, v3, v4 offset0:8 offset1:12
	ds_store_2addr_stride64_b32 v14, v5, v6 offset0:16 offset1:20
	;; [unrolled: 1-line block ×5, first 2 shown]
	ds_store_b32 v14, v13 offset:12288
	s_waitcnt lgkmcnt(0)
	s_barrier
.LBB542_2:
	s_and_not1_b32 vcc_lo, exec_lo, s5
	s_add_i32 s4, s4, s34
	s_cbranch_vccnz .LBB542_4
; %bb.3:
	v_lshlrev_b32_e32 v14, 2, v0
	ds_store_2addr_stride64_b32 v14, v1, v2 offset1:4
	ds_store_2addr_stride64_b32 v14, v3, v4 offset0:8 offset1:12
	ds_store_2addr_stride64_b32 v14, v5, v6 offset0:16 offset1:20
	;; [unrolled: 1-line block ×5, first 2 shown]
	ds_store_b32 v14, v13 offset:12288
	s_waitcnt lgkmcnt(0)
	s_barrier
.LBB542_4:
	v_mul_u32_u24_e32 v28, 13, v0
	s_clause 0x1
	s_load_b128 s[36:39], s[0:1], 0x28
	s_load_b64 s[26:27], s[0:1], 0x38
	s_waitcnt lgkmcnt(0)
	buffer_gl0_inv
	v_cndmask_b32_e64 v26, 0, 1, s3
	s_sub_i32 s44, s2, s4
	v_lshlrev_b32_e32 v1, 2, v28
	s_and_not1_b32 vcc_lo, exec_lo, s3
	ds_load_2addr_b32 v[16:17], v1 offset1:1
	ds_load_2addr_b32 v[14:15], v1 offset0:2 offset1:3
	ds_load_2addr_b32 v[12:13], v1 offset0:4 offset1:5
	;; [unrolled: 1-line block ×5, first 2 shown]
	ds_load_b32 v27, v1 offset:48
	s_waitcnt lgkmcnt(0)
	s_barrier
	buffer_gl0_inv
	s_cbranch_vccnz .LBB542_32
; %bb.5:
	v_add_nc_u32_e32 v1, s17, v16
	v_add_nc_u32_e32 v2, s19, v16
	s_mov_b32 s46, 0
	s_mov_b32 s45, 0
	s_mov_b32 s3, exec_lo
	v_mul_lo_u32 v1, v1, s16
	v_mul_lo_u32 v2, v2, s18
	s_delay_alu instid0(VALU_DEP_1) | instskip(NEXT) | instid1(VALU_DEP_1)
	v_sub_nc_u32_e32 v1, v1, v2
	v_cmp_lt_u32_e32 vcc_lo, s20, v1
	v_cmpx_ge_u32_e64 s20, v1
; %bb.6:
	v_add_nc_u32_e32 v1, s22, v16
	v_add_nc_u32_e32 v2, s40, v16
	s_delay_alu instid0(VALU_DEP_2) | instskip(NEXT) | instid1(VALU_DEP_2)
	v_mul_lo_u32 v1, v1, s21
	v_mul_lo_u32 v2, v2, s23
	s_delay_alu instid0(VALU_DEP_1) | instskip(NEXT) | instid1(VALU_DEP_1)
	v_sub_nc_u32_e32 v1, v1, v2
	v_cmp_lt_u32_e64 s2, s41, v1
	s_delay_alu instid0(VALU_DEP_1)
	s_and_b32 s45, s2, exec_lo
; %bb.7:
	s_or_b32 exec_lo, exec_lo, s3
	v_add_nc_u32_e32 v1, s17, v17
	v_add_nc_u32_e32 v2, s19, v17
	s_mov_b32 s4, exec_lo
	s_delay_alu instid0(VALU_DEP_2) | instskip(NEXT) | instid1(VALU_DEP_2)
	v_mul_lo_u32 v1, v1, s16
	v_mul_lo_u32 v2, v2, s18
	s_delay_alu instid0(VALU_DEP_1) | instskip(NEXT) | instid1(VALU_DEP_1)
	v_sub_nc_u32_e32 v1, v1, v2
	v_cmp_lt_u32_e64 s2, s20, v1
	v_cmpx_ge_u32_e64 s20, v1
; %bb.8:
	v_add_nc_u32_e32 v1, s22, v17
	v_add_nc_u32_e32 v2, s40, v17
	s_delay_alu instid0(VALU_DEP_2) | instskip(NEXT) | instid1(VALU_DEP_2)
	v_mul_lo_u32 v1, v1, s21
	v_mul_lo_u32 v2, v2, s23
	s_delay_alu instid0(VALU_DEP_1) | instskip(NEXT) | instid1(VALU_DEP_1)
	v_sub_nc_u32_e32 v1, v1, v2
	v_cmp_lt_u32_e64 s3, s41, v1
	s_delay_alu instid0(VALU_DEP_1)
	s_and_b32 s46, s3, exec_lo
; %bb.9:
	s_or_b32 exec_lo, exec_lo, s4
	v_add_nc_u32_e32 v1, s17, v14
	v_add_nc_u32_e32 v2, s19, v14
	s_mov_b32 s48, 0
	s_mov_b32 s47, 0
	s_mov_b32 s5, exec_lo
	v_mul_lo_u32 v1, v1, s16
	v_mul_lo_u32 v2, v2, s18
	s_delay_alu instid0(VALU_DEP_1) | instskip(NEXT) | instid1(VALU_DEP_1)
	v_sub_nc_u32_e32 v1, v1, v2
	v_cmp_lt_u32_e64 s3, s20, v1
	v_cmpx_ge_u32_e64 s20, v1
; %bb.10:
	v_add_nc_u32_e32 v1, s22, v14
	v_add_nc_u32_e32 v2, s40, v14
	s_delay_alu instid0(VALU_DEP_2) | instskip(NEXT) | instid1(VALU_DEP_2)
	v_mul_lo_u32 v1, v1, s21
	v_mul_lo_u32 v2, v2, s23
	s_delay_alu instid0(VALU_DEP_1) | instskip(NEXT) | instid1(VALU_DEP_1)
	v_sub_nc_u32_e32 v1, v1, v2
	v_cmp_lt_u32_e64 s4, s41, v1
	s_delay_alu instid0(VALU_DEP_1)
	s_and_b32 s47, s4, exec_lo
; %bb.11:
	s_or_b32 exec_lo, exec_lo, s5
	v_add_nc_u32_e32 v1, s17, v15
	v_add_nc_u32_e32 v2, s19, v15
	s_mov_b32 s6, exec_lo
	s_delay_alu instid0(VALU_DEP_2) | instskip(NEXT) | instid1(VALU_DEP_2)
	v_mul_lo_u32 v1, v1, s16
	v_mul_lo_u32 v2, v2, s18
	s_delay_alu instid0(VALU_DEP_1) | instskip(NEXT) | instid1(VALU_DEP_1)
	v_sub_nc_u32_e32 v1, v1, v2
	v_cmp_lt_u32_e64 s4, s20, v1
	v_cmpx_ge_u32_e64 s20, v1
; %bb.12:
	v_add_nc_u32_e32 v1, s22, v15
	v_add_nc_u32_e32 v2, s40, v15
	s_delay_alu instid0(VALU_DEP_2) | instskip(NEXT) | instid1(VALU_DEP_2)
	v_mul_lo_u32 v1, v1, s21
	v_mul_lo_u32 v2, v2, s23
	s_delay_alu instid0(VALU_DEP_1) | instskip(NEXT) | instid1(VALU_DEP_1)
	v_sub_nc_u32_e32 v1, v1, v2
	v_cmp_lt_u32_e64 s5, s41, v1
	s_delay_alu instid0(VALU_DEP_1)
	s_and_b32 s48, s5, exec_lo
; %bb.13:
	s_or_b32 exec_lo, exec_lo, s6
	v_add_nc_u32_e32 v1, s17, v12
	v_add_nc_u32_e32 v2, s19, v12
	s_mov_b32 s50, 0
	s_mov_b32 s49, 0
	s_mov_b32 s7, exec_lo
	v_mul_lo_u32 v1, v1, s16
	v_mul_lo_u32 v2, v2, s18
	s_delay_alu instid0(VALU_DEP_1) | instskip(NEXT) | instid1(VALU_DEP_1)
	v_sub_nc_u32_e32 v1, v1, v2
	v_cmp_lt_u32_e64 s5, s20, v1
	;; [unrolled: 47-line block ×5, first 2 shown]
	v_cmpx_ge_u32_e64 s20, v1
; %bb.26:
	v_add_nc_u32_e32 v1, s22, v6
	v_add_nc_u32_e32 v2, s40, v6
	s_delay_alu instid0(VALU_DEP_2) | instskip(NEXT) | instid1(VALU_DEP_2)
	v_mul_lo_u32 v1, v1, s21
	v_mul_lo_u32 v2, v2, s23
	s_delay_alu instid0(VALU_DEP_1) | instskip(NEXT) | instid1(VALU_DEP_1)
	v_sub_nc_u32_e32 v1, v1, v2
	v_cmp_lt_u32_e64 s12, s41, v1
	s_delay_alu instid0(VALU_DEP_1)
	s_and_b32 s57, s12, exec_lo
; %bb.27:
	s_or_b32 exec_lo, exec_lo, s13
	v_add_nc_u32_e32 v1, s17, v7
	v_add_nc_u32_e32 v2, s19, v7
	s_mov_b32 s42, exec_lo
	s_delay_alu instid0(VALU_DEP_2) | instskip(NEXT) | instid1(VALU_DEP_2)
	v_mul_lo_u32 v1, v1, s16
	v_mul_lo_u32 v2, v2, s18
	s_delay_alu instid0(VALU_DEP_1) | instskip(NEXT) | instid1(VALU_DEP_1)
	v_sub_nc_u32_e32 v1, v1, v2
	v_cmp_lt_u32_e64 s12, s20, v1
	v_cmpx_ge_u32_e64 s20, v1
; %bb.28:
	v_add_nc_u32_e32 v1, s22, v7
	v_add_nc_u32_e32 v2, s40, v7
	s_delay_alu instid0(VALU_DEP_2) | instskip(NEXT) | instid1(VALU_DEP_2)
	v_mul_lo_u32 v1, v1, s21
	v_mul_lo_u32 v2, v2, s23
	s_delay_alu instid0(VALU_DEP_1) | instskip(NEXT) | instid1(VALU_DEP_1)
	v_sub_nc_u32_e32 v1, v1, v2
	v_cmp_lt_u32_e64 s13, s41, v1
	s_delay_alu instid0(VALU_DEP_1)
	s_and_b32 s56, s13, exec_lo
; %bb.29:
	s_or_b32 exec_lo, exec_lo, s42
	v_add_nc_u32_e32 v1, s17, v27
	v_add_nc_u32_e32 v2, s19, v27
	s_mov_b32 s42, -1
	s_mov_b32 s53, 0
	s_mov_b32 s43, 0
	v_mul_lo_u32 v1, v1, s16
	v_mul_lo_u32 v2, v2, s18
	s_mov_b32 s58, exec_lo
	s_delay_alu instid0(VALU_DEP_1) | instskip(NEXT) | instid1(VALU_DEP_1)
	v_sub_nc_u32_e32 v1, v1, v2
	v_cmpx_ge_u32_e64 s20, v1
; %bb.30:
	v_add_nc_u32_e32 v1, s22, v27
	v_add_nc_u32_e32 v2, s40, v27
	s_xor_b32 s42, exec_lo, -1
	s_delay_alu instid0(VALU_DEP_2) | instskip(NEXT) | instid1(VALU_DEP_2)
	v_mul_lo_u32 v1, v1, s21
	v_mul_lo_u32 v2, v2, s23
	s_delay_alu instid0(VALU_DEP_1) | instskip(NEXT) | instid1(VALU_DEP_1)
	v_sub_nc_u32_e32 v1, v1, v2
	v_cmp_lt_u32_e64 s13, s41, v1
	s_delay_alu instid0(VALU_DEP_1)
	s_and_b32 s43, s13, exec_lo
; %bb.31:
	s_or_b32 exec_lo, exec_lo, s58
	v_cndmask_b32_e64 v48, 0, 1, s57
	v_cndmask_b32_e64 v51, 0, 1, s12
	;; [unrolled: 1-line block ×22, first 2 shown]
	v_cndmask_b32_e64 v29, 0, 1, vcc_lo
	v_cndmask_b32_e64 v52, 0, 1, s56
	s_load_b64 s[4:5], s[0:1], 0x78
	s_and_b32 vcc_lo, exec_lo, s53
	s_add_i32 s3, s44, 0xd00
	s_cbranch_vccnz .LBB542_33
	s_branch .LBB542_86
.LBB542_32:
                                        ; implicit-def: $sgpr42
                                        ; implicit-def: $sgpr43
                                        ; implicit-def: $vgpr52
                                        ; implicit-def: $vgpr48
                                        ; implicit-def: $vgpr47
                                        ; implicit-def: $vgpr45
                                        ; implicit-def: $vgpr43
                                        ; implicit-def: $vgpr40
                                        ; implicit-def: $vgpr39
                                        ; implicit-def: $vgpr37
                                        ; implicit-def: $vgpr35
                                        ; implicit-def: $vgpr29
                                        ; implicit-def: $vgpr33
                                        ; implicit-def: $vgpr31
                                        ; implicit-def: $vgpr32
                                        ; implicit-def: $vgpr38
                                        ; implicit-def: $vgpr41
                                        ; implicit-def: $vgpr42
                                        ; implicit-def: $vgpr44
                                        ; implicit-def: $vgpr46
                                        ; implicit-def: $vgpr49
                                        ; implicit-def: $vgpr50
                                        ; implicit-def: $vgpr51
                                        ; implicit-def: $vgpr30
                                        ; implicit-def: $vgpr34
                                        ; implicit-def: $vgpr36
	s_load_b64 s[4:5], s[0:1], 0x78
	s_add_i32 s3, s44, 0xd00
	s_cbranch_execz .LBB542_86
.LBB542_33:
	v_dual_mov_b32 v30, 0 :: v_dual_mov_b32 v29, 0
	s_mov_b32 s2, 0
	s_mov_b32 s1, exec_lo
	v_cmpx_gt_u32_e64 s3, v28
	s_cbranch_execz .LBB542_37
; %bb.34:
	v_add_nc_u32_e32 v1, s17, v16
	v_add_nc_u32_e32 v2, s19, v16
	s_mov_b32 s6, exec_lo
	s_delay_alu instid0(VALU_DEP_2) | instskip(NEXT) | instid1(VALU_DEP_2)
	v_mul_lo_u32 v1, v1, s16
	v_mul_lo_u32 v2, v2, s18
	s_delay_alu instid0(VALU_DEP_1) | instskip(NEXT) | instid1(VALU_DEP_1)
	v_sub_nc_u32_e32 v1, v1, v2
	v_cmp_lt_u32_e32 vcc_lo, s20, v1
	v_cmpx_ge_u32_e64 s20, v1
; %bb.35:
	v_add_nc_u32_e32 v1, s22, v16
	v_add_nc_u32_e32 v2, s40, v16
	s_delay_alu instid0(VALU_DEP_2) | instskip(NEXT) | instid1(VALU_DEP_2)
	v_mul_lo_u32 v1, v1, s21
	v_mul_lo_u32 v2, v2, s23
	s_delay_alu instid0(VALU_DEP_1) | instskip(NEXT) | instid1(VALU_DEP_1)
	v_sub_nc_u32_e32 v1, v1, v2
	v_cmp_lt_u32_e64 s0, s41, v1
	s_delay_alu instid0(VALU_DEP_1)
	s_and_b32 s2, s0, exec_lo
; %bb.36:
	s_or_b32 exec_lo, exec_lo, s6
	v_cndmask_b32_e64 v29, 0, 1, vcc_lo
	v_cndmask_b32_e64 v30, 0, 1, s2
.LBB542_37:
	s_or_b32 exec_lo, exec_lo, s1
	v_dual_mov_b32 v34, 0 :: v_dual_add_nc_u32 v1, 1, v28
	v_mov_b32_e32 v33, 0
	s_mov_b32 s2, 0
	s_mov_b32 s1, exec_lo
	s_delay_alu instid0(VALU_DEP_2)
	v_cmpx_gt_u32_e64 s3, v1
	s_cbranch_execz .LBB542_41
; %bb.38:
	v_add_nc_u32_e32 v1, s17, v17
	v_add_nc_u32_e32 v2, s19, v17
	s_mov_b32 s6, exec_lo
	s_delay_alu instid0(VALU_DEP_2) | instskip(NEXT) | instid1(VALU_DEP_2)
	v_mul_lo_u32 v1, v1, s16
	v_mul_lo_u32 v2, v2, s18
	s_delay_alu instid0(VALU_DEP_1) | instskip(NEXT) | instid1(VALU_DEP_1)
	v_sub_nc_u32_e32 v1, v1, v2
	v_cmp_lt_u32_e32 vcc_lo, s20, v1
	v_cmpx_ge_u32_e64 s20, v1
; %bb.39:
	v_add_nc_u32_e32 v1, s22, v17
	v_add_nc_u32_e32 v2, s40, v17
	s_delay_alu instid0(VALU_DEP_2) | instskip(NEXT) | instid1(VALU_DEP_2)
	v_mul_lo_u32 v1, v1, s21
	v_mul_lo_u32 v2, v2, s23
	s_delay_alu instid0(VALU_DEP_1) | instskip(NEXT) | instid1(VALU_DEP_1)
	v_sub_nc_u32_e32 v1, v1, v2
	v_cmp_lt_u32_e64 s0, s41, v1
	s_delay_alu instid0(VALU_DEP_1)
	s_and_b32 s2, s0, exec_lo
; %bb.40:
	s_or_b32 exec_lo, exec_lo, s6
	v_cndmask_b32_e64 v33, 0, 1, vcc_lo
	v_cndmask_b32_e64 v34, 0, 1, s2
.LBB542_41:
	s_or_b32 exec_lo, exec_lo, s1
	v_dual_mov_b32 v36, 0 :: v_dual_add_nc_u32 v1, 2, v28
	v_mov_b32_e32 v31, 0
	s_mov_b32 s2, 0
	s_mov_b32 s1, exec_lo
	s_delay_alu instid0(VALU_DEP_2)
	v_cmpx_gt_u32_e64 s3, v1
	s_cbranch_execz .LBB542_45
; %bb.42:
	v_add_nc_u32_e32 v1, s17, v14
	v_add_nc_u32_e32 v2, s19, v14
	s_mov_b32 s6, exec_lo
	s_delay_alu instid0(VALU_DEP_2) | instskip(NEXT) | instid1(VALU_DEP_2)
	v_mul_lo_u32 v1, v1, s16
	v_mul_lo_u32 v2, v2, s18
	s_delay_alu instid0(VALU_DEP_1) | instskip(NEXT) | instid1(VALU_DEP_1)
	v_sub_nc_u32_e32 v1, v1, v2
	v_cmp_lt_u32_e32 vcc_lo, s20, v1
	v_cmpx_ge_u32_e64 s20, v1
; %bb.43:
	v_add_nc_u32_e32 v1, s22, v14
	v_add_nc_u32_e32 v2, s40, v14
	s_delay_alu instid0(VALU_DEP_2) | instskip(NEXT) | instid1(VALU_DEP_2)
	v_mul_lo_u32 v1, v1, s21
	v_mul_lo_u32 v2, v2, s23
	s_delay_alu instid0(VALU_DEP_1) | instskip(NEXT) | instid1(VALU_DEP_1)
	v_sub_nc_u32_e32 v1, v1, v2
	v_cmp_lt_u32_e64 s0, s41, v1
	s_delay_alu instid0(VALU_DEP_1)
	s_and_b32 s2, s0, exec_lo
; %bb.44:
	s_or_b32 exec_lo, exec_lo, s6
	v_cndmask_b32_e64 v31, 0, 1, vcc_lo
	v_cndmask_b32_e64 v36, 0, 1, s2
.LBB542_45:
	s_or_b32 exec_lo, exec_lo, s1
	v_dual_mov_b32 v32, 0 :: v_dual_add_nc_u32 v1, 3, v28
	v_mov_b32_e32 v35, 0
	s_mov_b32 s2, 0
	s_mov_b32 s1, exec_lo
	s_delay_alu instid0(VALU_DEP_2)
	v_cmpx_gt_u32_e64 s3, v1
	s_cbranch_execz .LBB542_49
; %bb.46:
	v_add_nc_u32_e32 v1, s17, v15
	v_add_nc_u32_e32 v2, s19, v15
	s_mov_b32 s6, exec_lo
	s_delay_alu instid0(VALU_DEP_2) | instskip(NEXT) | instid1(VALU_DEP_2)
	v_mul_lo_u32 v1, v1, s16
	v_mul_lo_u32 v2, v2, s18
	s_delay_alu instid0(VALU_DEP_1) | instskip(NEXT) | instid1(VALU_DEP_1)
	v_sub_nc_u32_e32 v1, v1, v2
	v_cmp_lt_u32_e32 vcc_lo, s20, v1
	v_cmpx_ge_u32_e64 s20, v1
; %bb.47:
	v_add_nc_u32_e32 v1, s22, v15
	v_add_nc_u32_e32 v2, s40, v15
	s_delay_alu instid0(VALU_DEP_2) | instskip(NEXT) | instid1(VALU_DEP_2)
	v_mul_lo_u32 v1, v1, s21
	v_mul_lo_u32 v2, v2, s23
	s_delay_alu instid0(VALU_DEP_1) | instskip(NEXT) | instid1(VALU_DEP_1)
	v_sub_nc_u32_e32 v1, v1, v2
	v_cmp_lt_u32_e64 s0, s41, v1
	s_delay_alu instid0(VALU_DEP_1)
	s_and_b32 s2, s0, exec_lo
; %bb.48:
	s_or_b32 exec_lo, exec_lo, s6
	v_cndmask_b32_e64 v32, 0, 1, vcc_lo
	v_cndmask_b32_e64 v35, 0, 1, s2
.LBB542_49:
	s_or_b32 exec_lo, exec_lo, s1
	v_dual_mov_b32 v38, 0 :: v_dual_add_nc_u32 v1, 4, v28
	v_mov_b32_e32 v37, 0
	s_mov_b32 s2, 0
	s_mov_b32 s1, exec_lo
	s_delay_alu instid0(VALU_DEP_2)
	v_cmpx_gt_u32_e64 s3, v1
	s_cbranch_execz .LBB542_53
; %bb.50:
	v_add_nc_u32_e32 v1, s17, v12
	v_add_nc_u32_e32 v2, s19, v12
	s_mov_b32 s6, exec_lo
	s_delay_alu instid0(VALU_DEP_2) | instskip(NEXT) | instid1(VALU_DEP_2)
	v_mul_lo_u32 v1, v1, s16
	v_mul_lo_u32 v2, v2, s18
	s_delay_alu instid0(VALU_DEP_1) | instskip(NEXT) | instid1(VALU_DEP_1)
	v_sub_nc_u32_e32 v1, v1, v2
	v_cmp_lt_u32_e32 vcc_lo, s20, v1
	v_cmpx_ge_u32_e64 s20, v1
; %bb.51:
	v_add_nc_u32_e32 v1, s22, v12
	v_add_nc_u32_e32 v2, s40, v12
	s_delay_alu instid0(VALU_DEP_2) | instskip(NEXT) | instid1(VALU_DEP_2)
	v_mul_lo_u32 v1, v1, s21
	v_mul_lo_u32 v2, v2, s23
	s_delay_alu instid0(VALU_DEP_1) | instskip(NEXT) | instid1(VALU_DEP_1)
	v_sub_nc_u32_e32 v1, v1, v2
	v_cmp_lt_u32_e64 s0, s41, v1
	s_delay_alu instid0(VALU_DEP_1)
	s_and_b32 s2, s0, exec_lo
; %bb.52:
	s_or_b32 exec_lo, exec_lo, s6
	v_cndmask_b32_e64 v38, 0, 1, vcc_lo
	v_cndmask_b32_e64 v37, 0, 1, s2
.LBB542_53:
	s_or_b32 exec_lo, exec_lo, s1
	v_add_nc_u32_e32 v1, 5, v28
	v_mov_b32_e32 v39, 0
	v_mov_b32_e32 v41, 0
	s_mov_b32 s2, 0
	s_mov_b32 s1, exec_lo
	v_cmpx_gt_u32_e64 s3, v1
	s_cbranch_execz .LBB542_57
; %bb.54:
	v_add_nc_u32_e32 v1, s17, v13
	v_add_nc_u32_e32 v2, s19, v13
	s_mov_b32 s6, exec_lo
	s_delay_alu instid0(VALU_DEP_2) | instskip(NEXT) | instid1(VALU_DEP_2)
	v_mul_lo_u32 v1, v1, s16
	v_mul_lo_u32 v2, v2, s18
	s_delay_alu instid0(VALU_DEP_1) | instskip(NEXT) | instid1(VALU_DEP_1)
	v_sub_nc_u32_e32 v1, v1, v2
	v_cmp_lt_u32_e32 vcc_lo, s20, v1
	v_cmpx_ge_u32_e64 s20, v1
; %bb.55:
	v_add_nc_u32_e32 v1, s22, v13
	v_add_nc_u32_e32 v2, s40, v13
	s_delay_alu instid0(VALU_DEP_2) | instskip(NEXT) | instid1(VALU_DEP_2)
	v_mul_lo_u32 v1, v1, s21
	v_mul_lo_u32 v2, v2, s23
	s_delay_alu instid0(VALU_DEP_1) | instskip(NEXT) | instid1(VALU_DEP_1)
	v_sub_nc_u32_e32 v1, v1, v2
	v_cmp_lt_u32_e64 s0, s41, v1
	s_delay_alu instid0(VALU_DEP_1)
	s_and_b32 s2, s0, exec_lo
; %bb.56:
	s_or_b32 exec_lo, exec_lo, s6
	v_cndmask_b32_e64 v41, 0, 1, vcc_lo
	v_cndmask_b32_e64 v39, 0, 1, s2
.LBB542_57:
	s_or_b32 exec_lo, exec_lo, s1
	v_dual_mov_b32 v40, 0 :: v_dual_add_nc_u32 v1, 6, v28
	v_mov_b32_e32 v42, 0
	s_mov_b32 s2, 0
	s_mov_b32 s1, exec_lo
	s_delay_alu instid0(VALU_DEP_2)
	v_cmpx_gt_u32_e64 s3, v1
	s_cbranch_execz .LBB542_61
; %bb.58:
	v_add_nc_u32_e32 v1, s17, v10
	v_add_nc_u32_e32 v2, s19, v10
	s_mov_b32 s6, exec_lo
	s_delay_alu instid0(VALU_DEP_2) | instskip(NEXT) | instid1(VALU_DEP_2)
	v_mul_lo_u32 v1, v1, s16
	v_mul_lo_u32 v2, v2, s18
	s_delay_alu instid0(VALU_DEP_1) | instskip(NEXT) | instid1(VALU_DEP_1)
	v_sub_nc_u32_e32 v1, v1, v2
	v_cmp_lt_u32_e32 vcc_lo, s20, v1
	v_cmpx_ge_u32_e64 s20, v1
; %bb.59:
	v_add_nc_u32_e32 v1, s22, v10
	v_add_nc_u32_e32 v2, s40, v10
	s_delay_alu instid0(VALU_DEP_2) | instskip(NEXT) | instid1(VALU_DEP_2)
	v_mul_lo_u32 v1, v1, s21
	v_mul_lo_u32 v2, v2, s23
	s_delay_alu instid0(VALU_DEP_1) | instskip(NEXT) | instid1(VALU_DEP_1)
	v_sub_nc_u32_e32 v1, v1, v2
	v_cmp_lt_u32_e64 s0, s41, v1
	s_delay_alu instid0(VALU_DEP_1)
	s_and_b32 s2, s0, exec_lo
; %bb.60:
	s_or_b32 exec_lo, exec_lo, s6
	v_cndmask_b32_e64 v42, 0, 1, vcc_lo
	v_cndmask_b32_e64 v40, 0, 1, s2
.LBB542_61:
	s_or_b32 exec_lo, exec_lo, s1
	v_dual_mov_b32 v44, 0 :: v_dual_add_nc_u32 v1, 7, v28
	v_mov_b32_e32 v43, 0
	s_mov_b32 s2, 0
	s_mov_b32 s1, exec_lo
	s_delay_alu instid0(VALU_DEP_2)
	;; [unrolled: 35-line block ×3, first 2 shown]
	v_cmpx_gt_u32_e64 s3, v1
	s_cbranch_execz .LBB542_69
; %bb.66:
	v_add_nc_u32_e32 v1, s17, v8
	v_add_nc_u32_e32 v2, s19, v8
	s_mov_b32 s6, exec_lo
	s_delay_alu instid0(VALU_DEP_2) | instskip(NEXT) | instid1(VALU_DEP_2)
	v_mul_lo_u32 v1, v1, s16
	v_mul_lo_u32 v2, v2, s18
	s_delay_alu instid0(VALU_DEP_1) | instskip(NEXT) | instid1(VALU_DEP_1)
	v_sub_nc_u32_e32 v1, v1, v2
	v_cmp_lt_u32_e32 vcc_lo, s20, v1
	v_cmpx_ge_u32_e64 s20, v1
; %bb.67:
	v_add_nc_u32_e32 v1, s22, v8
	v_add_nc_u32_e32 v2, s40, v8
	s_delay_alu instid0(VALU_DEP_2) | instskip(NEXT) | instid1(VALU_DEP_2)
	v_mul_lo_u32 v1, v1, s21
	v_mul_lo_u32 v2, v2, s23
	s_delay_alu instid0(VALU_DEP_1) | instskip(NEXT) | instid1(VALU_DEP_1)
	v_sub_nc_u32_e32 v1, v1, v2
	v_cmp_lt_u32_e64 s0, s41, v1
	s_delay_alu instid0(VALU_DEP_1)
	s_and_b32 s2, s0, exec_lo
; %bb.68:
	s_or_b32 exec_lo, exec_lo, s6
	v_cndmask_b32_e64 v46, 0, 1, vcc_lo
	v_cndmask_b32_e64 v45, 0, 1, s2
.LBB542_69:
	s_or_b32 exec_lo, exec_lo, s1
	v_add_nc_u32_e32 v1, 9, v28
	v_mov_b32_e32 v47, 0
	v_mov_b32_e32 v49, 0
	s_mov_b32 s2, 0
	s_mov_b32 s1, exec_lo
	v_cmpx_gt_u32_e64 s3, v1
	s_cbranch_execz .LBB542_73
; %bb.70:
	v_add_nc_u32_e32 v1, s17, v9
	v_add_nc_u32_e32 v2, s19, v9
	s_mov_b32 s6, exec_lo
	s_delay_alu instid0(VALU_DEP_2) | instskip(NEXT) | instid1(VALU_DEP_2)
	v_mul_lo_u32 v1, v1, s16
	v_mul_lo_u32 v2, v2, s18
	s_delay_alu instid0(VALU_DEP_1) | instskip(NEXT) | instid1(VALU_DEP_1)
	v_sub_nc_u32_e32 v1, v1, v2
	v_cmp_lt_u32_e32 vcc_lo, s20, v1
	v_cmpx_ge_u32_e64 s20, v1
; %bb.71:
	v_add_nc_u32_e32 v1, s22, v9
	v_add_nc_u32_e32 v2, s40, v9
	s_delay_alu instid0(VALU_DEP_2) | instskip(NEXT) | instid1(VALU_DEP_2)
	v_mul_lo_u32 v1, v1, s21
	v_mul_lo_u32 v2, v2, s23
	s_delay_alu instid0(VALU_DEP_1) | instskip(NEXT) | instid1(VALU_DEP_1)
	v_sub_nc_u32_e32 v1, v1, v2
	v_cmp_lt_u32_e64 s0, s41, v1
	s_delay_alu instid0(VALU_DEP_1)
	s_and_b32 s2, s0, exec_lo
; %bb.72:
	s_or_b32 exec_lo, exec_lo, s6
	v_cndmask_b32_e64 v49, 0, 1, vcc_lo
	v_cndmask_b32_e64 v47, 0, 1, s2
.LBB542_73:
	s_or_b32 exec_lo, exec_lo, s1
	v_dual_mov_b32 v48, 0 :: v_dual_add_nc_u32 v1, 10, v28
	v_mov_b32_e32 v50, 0
	s_mov_b32 s2, 0
	s_mov_b32 s1, exec_lo
	s_delay_alu instid0(VALU_DEP_2)
	v_cmpx_gt_u32_e64 s3, v1
	s_cbranch_execz .LBB542_77
; %bb.74:
	v_add_nc_u32_e32 v1, s17, v6
	v_add_nc_u32_e32 v2, s19, v6
	s_mov_b32 s6, exec_lo
	s_delay_alu instid0(VALU_DEP_2) | instskip(NEXT) | instid1(VALU_DEP_2)
	v_mul_lo_u32 v1, v1, s16
	v_mul_lo_u32 v2, v2, s18
	s_delay_alu instid0(VALU_DEP_1) | instskip(NEXT) | instid1(VALU_DEP_1)
	v_sub_nc_u32_e32 v1, v1, v2
	v_cmp_lt_u32_e32 vcc_lo, s20, v1
	v_cmpx_ge_u32_e64 s20, v1
; %bb.75:
	v_add_nc_u32_e32 v1, s22, v6
	v_add_nc_u32_e32 v2, s40, v6
	s_delay_alu instid0(VALU_DEP_2) | instskip(NEXT) | instid1(VALU_DEP_2)
	v_mul_lo_u32 v1, v1, s21
	v_mul_lo_u32 v2, v2, s23
	s_delay_alu instid0(VALU_DEP_1) | instskip(NEXT) | instid1(VALU_DEP_1)
	v_sub_nc_u32_e32 v1, v1, v2
	v_cmp_lt_u32_e64 s0, s41, v1
	s_delay_alu instid0(VALU_DEP_1)
	s_and_b32 s2, s0, exec_lo
; %bb.76:
	s_or_b32 exec_lo, exec_lo, s6
	v_cndmask_b32_e64 v50, 0, 1, vcc_lo
	v_cndmask_b32_e64 v48, 0, 1, s2
.LBB542_77:
	s_or_b32 exec_lo, exec_lo, s1
	v_dual_mov_b32 v52, 0 :: v_dual_add_nc_u32 v1, 11, v28
	v_mov_b32_e32 v51, 0
	s_mov_b32 s2, 0
	s_mov_b32 s1, exec_lo
	s_delay_alu instid0(VALU_DEP_2)
	v_cmpx_gt_u32_e64 s3, v1
	s_cbranch_execz .LBB542_81
; %bb.78:
	v_add_nc_u32_e32 v1, s17, v7
	v_add_nc_u32_e32 v2, s19, v7
	s_mov_b32 s6, exec_lo
	s_delay_alu instid0(VALU_DEP_2) | instskip(NEXT) | instid1(VALU_DEP_2)
	v_mul_lo_u32 v1, v1, s16
	v_mul_lo_u32 v2, v2, s18
	s_delay_alu instid0(VALU_DEP_1) | instskip(NEXT) | instid1(VALU_DEP_1)
	v_sub_nc_u32_e32 v1, v1, v2
	v_cmp_lt_u32_e32 vcc_lo, s20, v1
	v_cmpx_ge_u32_e64 s20, v1
; %bb.79:
	v_add_nc_u32_e32 v1, s22, v7
	v_add_nc_u32_e32 v2, s40, v7
	s_delay_alu instid0(VALU_DEP_2) | instskip(NEXT) | instid1(VALU_DEP_2)
	v_mul_lo_u32 v1, v1, s21
	v_mul_lo_u32 v2, v2, s23
	s_delay_alu instid0(VALU_DEP_1) | instskip(NEXT) | instid1(VALU_DEP_1)
	v_sub_nc_u32_e32 v1, v1, v2
	v_cmp_lt_u32_e64 s0, s41, v1
	s_delay_alu instid0(VALU_DEP_1)
	s_and_b32 s2, s0, exec_lo
; %bb.80:
	s_or_b32 exec_lo, exec_lo, s6
	v_cndmask_b32_e64 v51, 0, 1, vcc_lo
	v_cndmask_b32_e64 v52, 0, 1, s2
.LBB542_81:
	s_or_b32 exec_lo, exec_lo, s1
	v_add_nc_u32_e32 v1, 12, v28
	s_mov_b32 s42, 0
	s_mov_b32 s43, 0
	s_mov_b32 s0, exec_lo
	s_delay_alu instid0(VALU_DEP_1)
	v_cmpx_gt_u32_e64 s3, v1
	s_cbranch_execz .LBB542_85
; %bb.82:
	v_add_nc_u32_e32 v1, s17, v27
	v_add_nc_u32_e32 v2, s19, v27
	s_mov_b32 s2, -1
	s_mov_b32 s6, 0
	s_mov_b32 s1, exec_lo
	v_mul_lo_u32 v1, v1, s16
	v_mul_lo_u32 v2, v2, s18
	s_delay_alu instid0(VALU_DEP_1) | instskip(NEXT) | instid1(VALU_DEP_1)
	v_sub_nc_u32_e32 v1, v1, v2
	v_cmpx_ge_u32_e64 s20, v1
; %bb.83:
	v_add_nc_u32_e32 v1, s22, v27
	v_add_nc_u32_e32 v2, s40, v27
	s_xor_b32 s2, exec_lo, -1
	s_delay_alu instid0(VALU_DEP_2) | instskip(NEXT) | instid1(VALU_DEP_2)
	v_mul_lo_u32 v1, v1, s21
	v_mul_lo_u32 v2, v2, s23
	s_delay_alu instid0(VALU_DEP_1) | instskip(NEXT) | instid1(VALU_DEP_1)
	v_sub_nc_u32_e32 v1, v1, v2
	v_cmp_lt_u32_e32 vcc_lo, s41, v1
	s_and_b32 s6, vcc_lo, exec_lo
; %bb.84:
	s_or_b32 exec_lo, exec_lo, s1
	s_delay_alu instid0(SALU_CYCLE_1)
	s_and_b32 s43, s6, exec_lo
	s_and_b32 s42, s2, exec_lo
.LBB542_85:
	s_or_b32 exec_lo, exec_lo, s0
.LBB542_86:
	v_and_b32_e32 v75, 0xff, v29
	v_and_b32_e32 v76, 0xff, v30
	v_and_b32_e32 v71, 0xff, v33
	v_and_b32_e32 v72, 0xff, v34
	v_and_b32_e32 v73, 0xff, v31
	v_and_b32_e32 v74, 0xff, v36
	v_and_b32_e32 v69, 0xff, v32
	v_and_b32_e32 v70, 0xff, v35
	v_and_b32_e32 v67, 0xff, v38
	v_and_b32_e32 v68, 0xff, v37
	v_add3_u32 v1, v71, v73, v75
	v_add3_u32 v2, v72, v74, v76
	v_and_b32_e32 v65, 0xff, v41
	v_and_b32_e32 v66, 0xff, v39
	v_and_b32_e32 v61, 0xff, v42
	v_and_b32_e32 v62, 0xff, v40
	v_add3_u32 v1, v1, v69, v67
	v_add3_u32 v2, v2, v70, v68
	v_and_b32_e32 v63, 0xff, v44
	v_and_b32_e32 v64, 0xff, v43
	v_and_b32_e32 v59, 0xff, v46
	v_and_b32_e32 v60, 0xff, v45
	;; [unrolled: 6-line block ×3, first 2 shown]
	v_add3_u32 v1, v1, v63, v59
	v_add3_u32 v2, v2, v64, v60
	v_mbcnt_lo_u32_b32 v77, -1, 0
	v_and_b32_e32 v53, 0xff, v51
	v_and_b32_e32 v54, 0xff, v52
	v_cndmask_b32_e64 v3, 0, 1, s43
	v_add3_u32 v1, v1, v57, v55
	v_cndmask_b32_e64 v4, 0, 1, s42
	v_add3_u32 v2, v2, v58, v56
	v_and_b32_e32 v81, 15, v77
	v_and_b32_e32 v80, 16, v77
	v_lshrrev_b32_e32 v78, 5, v0
	v_add3_u32 v82, v1, v53, v4
	v_add3_u32 v83, v2, v54, v3
	v_cmp_eq_u32_e64 s1, 0, v81
	v_cmp_lt_u32_e64 s0, 1, v81
	v_cmp_lt_u32_e64 s2, 3, v81
	v_cmp_lt_u32_e32 vcc_lo, 7, v81
	v_or_b32_e32 v79, 31, v0
	s_cmp_lg_u32 s15, 0
	s_mov_b32 s6, -1
	s_cbranch_scc0 .LBB542_114
; %bb.87:
	v_mov_b32_dpp v1, v83 row_shr:1 row_mask:0xf bank_mask:0xf
	v_mov_b32_dpp v2, v82 row_shr:1 row_mask:0xf bank_mask:0xf
	s_delay_alu instid0(VALU_DEP_2) | instskip(NEXT) | instid1(VALU_DEP_1)
	v_add_nc_u32_e32 v1, v1, v83
	v_cndmask_b32_e64 v1, v1, v83, s1
	s_delay_alu instid0(VALU_DEP_1) | instskip(NEXT) | instid1(VALU_DEP_1)
	v_mov_b32_dpp v3, v1 row_shr:2 row_mask:0xf bank_mask:0xf
	v_add_nc_u32_e32 v3, v1, v3
	s_delay_alu instid0(VALU_DEP_1) | instskip(NEXT) | instid1(VALU_DEP_1)
	v_cndmask_b32_e64 v1, v1, v3, s0
	v_mov_b32_dpp v3, v1 row_shr:4 row_mask:0xf bank_mask:0xf
	s_delay_alu instid0(VALU_DEP_1) | instskip(NEXT) | instid1(VALU_DEP_1)
	v_add_nc_u32_e32 v3, v1, v3
	v_cndmask_b32_e64 v1, v1, v3, s2
	s_delay_alu instid0(VALU_DEP_1) | instskip(NEXT) | instid1(VALU_DEP_1)
	v_mov_b32_dpp v3, v1 row_shr:8 row_mask:0xf bank_mask:0xf
	v_add_nc_u32_e32 v3, v1, v3
	s_delay_alu instid0(VALU_DEP_1) | instskip(NEXT) | instid1(VALU_DEP_1)
	v_dual_cndmask_b32 v1, v1, v3 :: v_dual_add_nc_u32 v2, v2, v82
	v_cndmask_b32_e64 v2, v2, v82, s1
	s_delay_alu instid0(VALU_DEP_1) | instskip(NEXT) | instid1(VALU_DEP_1)
	v_mov_b32_dpp v4, v2 row_shr:2 row_mask:0xf bank_mask:0xf
	v_add_nc_u32_e32 v4, v2, v4
	s_delay_alu instid0(VALU_DEP_1) | instskip(NEXT) | instid1(VALU_DEP_1)
	v_cndmask_b32_e64 v2, v2, v4, s0
	v_mov_b32_dpp v4, v2 row_shr:4 row_mask:0xf bank_mask:0xf
	s_delay_alu instid0(VALU_DEP_1) | instskip(NEXT) | instid1(VALU_DEP_1)
	v_add_nc_u32_e32 v4, v2, v4
	v_cndmask_b32_e64 v2, v2, v4, s2
	s_mov_b32 s2, exec_lo
	s_delay_alu instid0(VALU_DEP_1) | instskip(NEXT) | instid1(VALU_DEP_1)
	v_mov_b32_dpp v4, v2 row_shr:8 row_mask:0xf bank_mask:0xf
	v_add_nc_u32_e32 v4, v2, v4
	s_delay_alu instid0(VALU_DEP_1)
	v_cndmask_b32_e32 v3, v2, v4, vcc_lo
	ds_swizzle_b32 v2, v1 offset:swizzle(BROADCAST,32,15)
	v_cmp_eq_u32_e32 vcc_lo, 0, v80
	s_waitcnt lgkmcnt(0)
	v_add_nc_u32_e32 v2, v1, v2
	ds_swizzle_b32 v4, v3 offset:swizzle(BROADCAST,32,15)
	v_cndmask_b32_e32 v2, v2, v1, vcc_lo
	s_waitcnt lgkmcnt(0)
	v_add_nc_u32_e32 v4, v3, v4
	s_delay_alu instid0(VALU_DEP_1)
	v_cndmask_b32_e32 v1, v4, v3, vcc_lo
	v_cmpx_eq_u32_e64 v79, v0
	s_cbranch_execz .LBB542_89
; %bb.88:
	v_lshlrev_b32_e32 v3, 3, v78
	ds_store_b64 v3, v[1:2]
.LBB542_89:
	s_or_b32 exec_lo, exec_lo, s2
	s_delay_alu instid0(SALU_CYCLE_1)
	s_mov_b32 s2, exec_lo
	s_waitcnt lgkmcnt(0)
	s_barrier
	buffer_gl0_inv
	v_cmpx_gt_u32_e32 8, v0
	s_cbranch_execz .LBB542_91
; %bb.90:
	v_lshlrev_b32_e32 v5, 3, v0
	ds_load_b64 v[3:4], v5
	s_waitcnt lgkmcnt(0)
	v_mov_b32_dpp v18, v3 row_shr:1 row_mask:0xf bank_mask:0xf
	v_mov_b32_dpp v19, v4 row_shr:1 row_mask:0xf bank_mask:0xf
	s_delay_alu instid0(VALU_DEP_2) | instskip(SKIP_1) | instid1(VALU_DEP_3)
	v_add_nc_u32_e32 v18, v18, v3
	v_and_b32_e32 v20, 7, v77
	v_add_nc_u32_e32 v19, v19, v4
	s_delay_alu instid0(VALU_DEP_2) | instskip(NEXT) | instid1(VALU_DEP_2)
	v_cmp_eq_u32_e32 vcc_lo, 0, v20
	v_dual_cndmask_b32 v4, v19, v4 :: v_dual_cndmask_b32 v3, v18, v3
	v_cmp_lt_u32_e32 vcc_lo, 1, v20
	s_delay_alu instid0(VALU_DEP_2) | instskip(NEXT) | instid1(VALU_DEP_3)
	v_mov_b32_dpp v19, v4 row_shr:2 row_mask:0xf bank_mask:0xf
	v_mov_b32_dpp v18, v3 row_shr:2 row_mask:0xf bank_mask:0xf
	s_delay_alu instid0(VALU_DEP_2) | instskip(NEXT) | instid1(VALU_DEP_2)
	v_add_nc_u32_e32 v19, v4, v19
	v_add_nc_u32_e32 v18, v3, v18
	s_delay_alu instid0(VALU_DEP_1) | instskip(SKIP_1) | instid1(VALU_DEP_2)
	v_dual_cndmask_b32 v4, v4, v19 :: v_dual_cndmask_b32 v3, v3, v18
	v_cmp_lt_u32_e32 vcc_lo, 3, v20
	v_mov_b32_dpp v19, v4 row_shr:4 row_mask:0xf bank_mask:0xf
	s_delay_alu instid0(VALU_DEP_3) | instskip(NEXT) | instid1(VALU_DEP_1)
	v_mov_b32_dpp v18, v3 row_shr:4 row_mask:0xf bank_mask:0xf
	v_dual_cndmask_b32 v19, 0, v19 :: v_dual_cndmask_b32 v18, 0, v18
	s_delay_alu instid0(VALU_DEP_1) | instskip(NEXT) | instid1(VALU_DEP_2)
	v_add_nc_u32_e32 v4, v19, v4
	v_add_nc_u32_e32 v3, v18, v3
	ds_store_b64 v5, v[3:4]
.LBB542_91:
	s_or_b32 exec_lo, exec_lo, s2
	v_cmp_gt_u32_e32 vcc_lo, 32, v0
	v_cmp_lt_u32_e64 s2, 31, v0
	s_waitcnt lgkmcnt(0)
	s_barrier
	buffer_gl0_inv
                                        ; implicit-def: $vgpr19
	s_and_saveexec_b32 s6, s2
	s_delay_alu instid0(SALU_CYCLE_1)
	s_xor_b32 s2, exec_lo, s6
	s_cbranch_execz .LBB542_93
; %bb.92:
	v_lshl_add_u32 v3, v78, 3, -8
	ds_load_b64 v[18:19], v3
	s_waitcnt lgkmcnt(0)
	v_add_nc_u32_e32 v2, v19, v2
	v_add_nc_u32_e32 v1, v18, v1
.LBB542_93:
	s_and_not1_saveexec_b32 s2, s2
; %bb.94:
                                        ; implicit-def: $vgpr18
; %bb.95:
	s_delay_alu instid0(SALU_CYCLE_1) | instskip(SKIP_1) | instid1(VALU_DEP_1)
	s_or_b32 exec_lo, exec_lo, s2
	v_add_nc_u32_e32 v3, -1, v77
	v_cmp_gt_i32_e64 s2, 0, v3
	s_delay_alu instid0(VALU_DEP_1) | instskip(SKIP_1) | instid1(VALU_DEP_2)
	v_cndmask_b32_e64 v3, v3, v77, s2
	v_cmp_eq_u32_e64 s2, 0, v77
	v_lshlrev_b32_e32 v3, 2, v3
	ds_bpermute_b32 v84, v3, v1
	ds_bpermute_b32 v85, v3, v2
	s_and_saveexec_b32 s6, vcc_lo
	s_cbranch_execz .LBB542_113
; %bb.96:
	v_mov_b32_e32 v4, 0
	ds_load_b64 v[1:2], v4 offset:56
	s_waitcnt lgkmcnt(0)
	v_readfirstlane_b32 s7, v2
	s_and_saveexec_b32 s8, s2
	s_cbranch_execz .LBB542_98
; %bb.97:
	s_add_i32 s10, s15, 32
	s_mov_b32 s11, 0
	v_mov_b32_e32 v3, 1
	s_lshl_b64 s[12:13], s[10:11], 4
	s_mov_b32 s16, s11
	s_add_u32 s12, s4, s12
	s_addc_u32 s13, s5, s13
	s_and_b32 s17, s7, 0xff000000
	s_and_b32 s19, s7, 0xff0000
	s_mov_b32 s18, s11
	v_dual_mov_b32 v21, s13 :: v_dual_mov_b32 v20, s12
	s_or_b64 s[16:17], s[18:19], s[16:17]
	s_and_b32 s19, s7, 0xff00
	s_delay_alu instid0(SALU_CYCLE_1) | instskip(SKIP_1) | instid1(SALU_CYCLE_1)
	s_or_b64 s[16:17], s[16:17], s[18:19]
	s_and_b32 s19, s7, 0xff
	s_or_b64 s[10:11], s[16:17], s[18:19]
	s_delay_alu instid0(SALU_CYCLE_1)
	v_mov_b32_e32 v2, s11
	;;#ASMSTART
	global_store_dwordx4 v[20:21], v[1:4] off	
s_waitcnt vmcnt(0)
	;;#ASMEND
.LBB542_98:
	s_or_b32 exec_lo, exec_lo, s8
	v_xad_u32 v20, v77, -1, s15
	s_mov_b32 s9, 0
	s_mov_b32 s8, exec_lo
	s_delay_alu instid0(VALU_DEP_1) | instskip(NEXT) | instid1(VALU_DEP_1)
	v_add_nc_u32_e32 v3, 32, v20
	v_lshlrev_b64 v[2:3], 4, v[3:4]
	s_delay_alu instid0(VALU_DEP_1) | instskip(NEXT) | instid1(VALU_DEP_2)
	v_add_co_u32 v21, vcc_lo, s4, v2
	v_add_co_ci_u32_e32 v22, vcc_lo, s5, v3, vcc_lo
	;;#ASMSTART
	global_load_dwordx4 v[2:5], v[21:22] off glc	
s_waitcnt vmcnt(0)
	;;#ASMEND
	v_and_b32_e32 v5, 0xff, v3
	v_and_b32_e32 v23, 0xff00, v3
	v_or3_b32 v2, v2, 0, 0
	v_and_b32_e32 v24, 0xff000000, v3
	v_and_b32_e32 v3, 0xff0000, v3
	s_delay_alu instid0(VALU_DEP_4) | instskip(SKIP_2) | instid1(VALU_DEP_3)
	v_or3_b32 v5, 0, v5, v23
	v_and_b32_e32 v23, 0xff, v4
	v_or3_b32 v2, v2, 0, 0
	v_or3_b32 v3, v5, v3, v24
	s_delay_alu instid0(VALU_DEP_3)
	v_cmpx_eq_u16_e32 0, v23
	s_cbranch_execz .LBB542_101
.LBB542_99:                             ; =>This Inner Loop Header: Depth=1
	;;#ASMSTART
	global_load_dwordx4 v[2:5], v[21:22] off glc	
s_waitcnt vmcnt(0)
	;;#ASMEND
	v_and_b32_e32 v5, 0xff, v4
	s_delay_alu instid0(VALU_DEP_1) | instskip(SKIP_1) | instid1(SALU_CYCLE_1)
	v_cmp_ne_u16_e32 vcc_lo, 0, v5
	s_or_b32 s9, vcc_lo, s9
	s_and_not1_b32 exec_lo, exec_lo, s9
	s_cbranch_execnz .LBB542_99
; %bb.100:
	s_or_b32 exec_lo, exec_lo, s9
.LBB542_101:
	s_delay_alu instid0(SALU_CYCLE_1)
	s_or_b32 exec_lo, exec_lo, s8
	v_cmp_ne_u32_e32 vcc_lo, 31, v77
	v_lshlrev_b32_e64 v87, v77, -1
	v_add_nc_u32_e32 v91, 4, v77
	v_add_nc_u32_e32 v93, 8, v77
	;; [unrolled: 1-line block ×3, first 2 shown]
	v_add_co_ci_u32_e32 v5, vcc_lo, 0, v77, vcc_lo
	s_delay_alu instid0(VALU_DEP_1)
	v_lshlrev_b32_e32 v86, 2, v5
	ds_bpermute_b32 v21, v86, v3
	ds_bpermute_b32 v5, v86, v2
	s_waitcnt lgkmcnt(1)
	v_add_nc_u32_e32 v21, v21, v3
	v_and_b32_e32 v22, 0xff, v4
	s_waitcnt lgkmcnt(0)
	v_add_nc_u32_e32 v5, v5, v2
	s_delay_alu instid0(VALU_DEP_2) | instskip(SKIP_2) | instid1(VALU_DEP_2)
	v_cmp_eq_u16_e32 vcc_lo, 2, v22
	v_and_or_b32 v22, vcc_lo, v87, 0x80000000
	v_cmp_gt_u32_e32 vcc_lo, 30, v77
	v_ctz_i32_b32_e32 v22, v22
	v_cndmask_b32_e64 v23, 0, 1, vcc_lo
	s_delay_alu instid0(VALU_DEP_2) | instskip(NEXT) | instid1(VALU_DEP_2)
	v_cmp_lt_u32_e32 vcc_lo, v77, v22
	v_dual_cndmask_b32 v2, v2, v5 :: v_dual_lshlrev_b32 v23, 1, v23
	s_delay_alu instid0(VALU_DEP_1)
	v_add_lshl_u32 v88, v23, v77, 2
	v_cndmask_b32_e32 v3, v3, v21, vcc_lo
	v_cmp_gt_u32_e32 vcc_lo, 28, v77
	ds_bpermute_b32 v5, v88, v2
	ds_bpermute_b32 v21, v88, v3
	v_cndmask_b32_e64 v23, 0, 1, vcc_lo
	s_waitcnt lgkmcnt(1)
	v_add_nc_u32_e32 v5, v2, v5
	v_add_nc_u32_e32 v89, 2, v77
	s_waitcnt lgkmcnt(0)
	v_add_nc_u32_e32 v21, v3, v21
	s_delay_alu instid0(VALU_DEP_2) | instskip(SKIP_1) | instid1(VALU_DEP_3)
	v_cmp_gt_u32_e32 vcc_lo, v89, v22
	v_dual_cndmask_b32 v2, v5, v2 :: v_dual_lshlrev_b32 v23, 2, v23
	v_cndmask_b32_e32 v3, v21, v3, vcc_lo
	v_cmp_gt_u32_e32 vcc_lo, 24, v77
	s_delay_alu instid0(VALU_DEP_3)
	v_add_lshl_u32 v90, v23, v77, 2
	v_cndmask_b32_e64 v23, 0, 1, vcc_lo
	v_cmp_gt_u32_e32 vcc_lo, v91, v22
	ds_bpermute_b32 v5, v90, v2
	ds_bpermute_b32 v21, v90, v3
	v_lshlrev_b32_e32 v23, 3, v23
	s_delay_alu instid0(VALU_DEP_1) | instskip(SKIP_3) | instid1(VALU_DEP_1)
	v_add_lshl_u32 v92, v23, v77, 2
	s_waitcnt lgkmcnt(1)
	v_add_nc_u32_e32 v5, v2, v5
	s_waitcnt lgkmcnt(0)
	v_dual_cndmask_b32 v2, v5, v2 :: v_dual_add_nc_u32 v21, v3, v21
	s_delay_alu instid0(VALU_DEP_1)
	v_cndmask_b32_e32 v3, v21, v3, vcc_lo
	v_cmp_gt_u32_e32 vcc_lo, 16, v77
	ds_bpermute_b32 v5, v92, v2
	ds_bpermute_b32 v21, v92, v3
	v_cndmask_b32_e64 v23, 0, 1, vcc_lo
	v_cmp_gt_u32_e32 vcc_lo, v93, v22
	s_delay_alu instid0(VALU_DEP_2) | instskip(NEXT) | instid1(VALU_DEP_1)
	v_lshlrev_b32_e32 v23, 4, v23
	v_add_lshl_u32 v94, v23, v77, 2
	s_waitcnt lgkmcnt(1)
	v_add_nc_u32_e32 v5, v2, v5
	s_waitcnt lgkmcnt(0)
	s_delay_alu instid0(VALU_DEP_1) | instskip(NEXT) | instid1(VALU_DEP_1)
	v_dual_cndmask_b32 v2, v5, v2 :: v_dual_add_nc_u32 v21, v3, v21
	v_cndmask_b32_e32 v3, v21, v3, vcc_lo
	v_cmp_le_u32_e32 vcc_lo, v95, v22
	ds_bpermute_b32 v5, v94, v2
	ds_bpermute_b32 v21, v94, v3
	s_waitcnt lgkmcnt(1)
	v_cndmask_b32_e32 v5, 0, v5, vcc_lo
	s_waitcnt lgkmcnt(0)
	s_delay_alu instid0(VALU_DEP_1) | instskip(NEXT) | instid1(VALU_DEP_1)
	v_dual_cndmask_b32 v21, 0, v21 :: v_dual_add_nc_u32 v2, v5, v2
	v_add_nc_u32_e32 v3, v21, v3
	v_mov_b32_e32 v21, 0
	s_branch .LBB542_103
.LBB542_102:                            ;   in Loop: Header=BB542_103 Depth=1
	s_or_b32 exec_lo, exec_lo, s8
	ds_bpermute_b32 v5, v86, v2
	ds_bpermute_b32 v24, v86, v3
	v_subrev_nc_u32_e32 v20, 32, v20
	s_waitcnt lgkmcnt(1)
	v_add_nc_u32_e32 v5, v5, v2
	v_and_b32_e32 v25, 0xff, v4
	s_waitcnt lgkmcnt(0)
	v_add_nc_u32_e32 v24, v24, v3
	s_delay_alu instid0(VALU_DEP_2) | instskip(SKIP_1) | instid1(VALU_DEP_1)
	v_cmp_eq_u16_e32 vcc_lo, 2, v25
	v_and_or_b32 v25, vcc_lo, v87, 0x80000000
	v_ctz_i32_b32_e32 v25, v25
	s_delay_alu instid0(VALU_DEP_1)
	v_cmp_lt_u32_e32 vcc_lo, v77, v25
	v_cndmask_b32_e32 v2, v2, v5, vcc_lo
	ds_bpermute_b32 v5, v88, v2
	s_waitcnt lgkmcnt(0)
	v_add_nc_u32_e32 v5, v2, v5
	v_cndmask_b32_e32 v3, v3, v24, vcc_lo
	v_cmp_gt_u32_e32 vcc_lo, v89, v25
	s_delay_alu instid0(VALU_DEP_3)
	v_cndmask_b32_e32 v2, v5, v2, vcc_lo
	ds_bpermute_b32 v24, v88, v3
	ds_bpermute_b32 v5, v90, v2
	s_waitcnt lgkmcnt(1)
	v_add_nc_u32_e32 v24, v3, v24
	s_waitcnt lgkmcnt(0)
	v_add_nc_u32_e32 v5, v2, v5
	s_delay_alu instid0(VALU_DEP_2) | instskip(SKIP_1) | instid1(VALU_DEP_3)
	v_cndmask_b32_e32 v3, v24, v3, vcc_lo
	v_cmp_gt_u32_e32 vcc_lo, v91, v25
	v_cndmask_b32_e32 v2, v5, v2, vcc_lo
	ds_bpermute_b32 v24, v90, v3
	ds_bpermute_b32 v5, v92, v2
	s_waitcnt lgkmcnt(1)
	v_add_nc_u32_e32 v24, v3, v24
	s_waitcnt lgkmcnt(0)
	v_add_nc_u32_e32 v5, v2, v5
	s_delay_alu instid0(VALU_DEP_2) | instskip(SKIP_1) | instid1(VALU_DEP_3)
	v_cndmask_b32_e32 v3, v24, v3, vcc_lo
	v_cmp_gt_u32_e32 vcc_lo, v93, v25
	v_cndmask_b32_e32 v2, v5, v2, vcc_lo
	ds_bpermute_b32 v24, v92, v3
	ds_bpermute_b32 v5, v94, v2
	s_waitcnt lgkmcnt(1)
	v_add_nc_u32_e32 v24, v3, v24
	s_delay_alu instid0(VALU_DEP_1) | instskip(SKIP_4) | instid1(VALU_DEP_1)
	v_cndmask_b32_e32 v3, v24, v3, vcc_lo
	v_cmp_le_u32_e32 vcc_lo, v95, v25
	ds_bpermute_b32 v24, v94, v3
	s_waitcnt lgkmcnt(1)
	v_cndmask_b32_e32 v5, 0, v5, vcc_lo
	v_add3_u32 v2, v2, v22, v5
	s_waitcnt lgkmcnt(0)
	v_cndmask_b32_e32 v24, 0, v24, vcc_lo
	s_delay_alu instid0(VALU_DEP_1)
	v_add3_u32 v3, v3, v23, v24
.LBB542_103:                            ; =>This Loop Header: Depth=1
                                        ;     Child Loop BB542_106 Depth 2
	s_delay_alu instid0(VALU_DEP_1) | instskip(SKIP_1) | instid1(VALU_DEP_2)
	v_dual_mov_b32 v23, v3 :: v_dual_and_b32 v4, 0xff, v4
	v_mov_b32_e32 v22, v2
	v_cmp_ne_u16_e32 vcc_lo, 2, v4
	v_cndmask_b32_e64 v4, 0, 1, vcc_lo
	;;#ASMSTART
	;;#ASMEND
	s_delay_alu instid0(VALU_DEP_1)
	v_cmp_ne_u32_e32 vcc_lo, 0, v4
	s_cmp_lg_u32 vcc_lo, exec_lo
	s_cbranch_scc1 .LBB542_108
; %bb.104:                              ;   in Loop: Header=BB542_103 Depth=1
	v_lshlrev_b64 v[2:3], 4, v[20:21]
	s_mov_b32 s8, exec_lo
	s_delay_alu instid0(VALU_DEP_1) | instskip(NEXT) | instid1(VALU_DEP_2)
	v_add_co_u32 v24, vcc_lo, s4, v2
	v_add_co_ci_u32_e32 v25, vcc_lo, s5, v3, vcc_lo
	;;#ASMSTART
	global_load_dwordx4 v[2:5], v[24:25] off glc	
s_waitcnt vmcnt(0)
	;;#ASMEND
	v_and_b32_e32 v5, 0xff, v3
	v_and_b32_e32 v96, 0xff00, v3
	v_or3_b32 v2, v2, 0, 0
	v_and_b32_e32 v97, 0xff000000, v3
	v_and_b32_e32 v3, 0xff0000, v3
	s_delay_alu instid0(VALU_DEP_4) | instskip(SKIP_2) | instid1(VALU_DEP_3)
	v_or3_b32 v5, 0, v5, v96
	v_and_b32_e32 v96, 0xff, v4
	v_or3_b32 v2, v2, 0, 0
	v_or3_b32 v3, v5, v3, v97
	s_delay_alu instid0(VALU_DEP_3)
	v_cmpx_eq_u16_e32 0, v96
	s_cbranch_execz .LBB542_102
; %bb.105:                              ;   in Loop: Header=BB542_103 Depth=1
	s_mov_b32 s9, 0
.LBB542_106:                            ;   Parent Loop BB542_103 Depth=1
                                        ; =>  This Inner Loop Header: Depth=2
	;;#ASMSTART
	global_load_dwordx4 v[2:5], v[24:25] off glc	
s_waitcnt vmcnt(0)
	;;#ASMEND
	v_and_b32_e32 v5, 0xff, v4
	s_delay_alu instid0(VALU_DEP_1) | instskip(SKIP_1) | instid1(SALU_CYCLE_1)
	v_cmp_ne_u16_e32 vcc_lo, 0, v5
	s_or_b32 s9, vcc_lo, s9
	s_and_not1_b32 exec_lo, exec_lo, s9
	s_cbranch_execnz .LBB542_106
; %bb.107:                              ;   in Loop: Header=BB542_103 Depth=1
	s_or_b32 exec_lo, exec_lo, s9
	s_branch .LBB542_102
.LBB542_108:                            ;   in Loop: Header=BB542_103 Depth=1
                                        ; implicit-def: $vgpr4
                                        ; implicit-def: $vgpr2_vgpr3
	s_cbranch_execz .LBB542_103
; %bb.109:
	s_and_saveexec_b32 s8, s2
	s_cbranch_execnz .LBB542_352
; %bb.110:
	s_or_b32 exec_lo, exec_lo, s8
	s_and_saveexec_b32 s8, s2
	s_cbranch_execnz .LBB542_353
.LBB542_111:
	s_or_b32 exec_lo, exec_lo, s8
	v_cmp_eq_u32_e32 vcc_lo, 0, v0
	s_and_b32 exec_lo, exec_lo, vcc_lo
	s_cbranch_execz .LBB542_113
.LBB542_112:
	v_mov_b32_e32 v1, 0
	ds_store_b64 v1, v[22:23] offset:56
.LBB542_113:
	s_or_b32 exec_lo, exec_lo, s6
	v_cmp_eq_u32_e32 vcc_lo, 0, v0
	v_mov_b32_e32 v1, 0
	s_waitcnt lgkmcnt(0)
	s_barrier
	buffer_gl0_inv
	v_add_nc_u32_e64 v3, 0x3400, 0
	ds_load_b64 v[20:21], v1 offset:56
	s_waitcnt lgkmcnt(0)
	s_barrier
	buffer_gl0_inv
	ds_load_2addr_b32 v[1:2], v3 offset1:2
	ds_load_2addr_b32 v[3:4], v3 offset0:4 offset1:6
	v_cndmask_b32_e64 v5, v84, v18, s2
	v_cndmask_b32_e64 v18, v85, v19, s2
	s_delay_alu instid0(VALU_DEP_2) | instskip(NEXT) | instid1(VALU_DEP_1)
	v_add_nc_u32_e32 v19, v20, v5
	v_dual_cndmask_b32 v20, v19, v20 :: v_dual_add_nc_u32 v5, v21, v18
	s_delay_alu instid0(VALU_DEP_1)
	v_cndmask_b32_e32 v5, v5, v21, vcc_lo
	s_branch .LBB542_124
.LBB542_114:
                                        ; implicit-def: $vgpr5
                                        ; implicit-def: $vgpr3
                                        ; implicit-def: $vgpr1
                                        ; implicit-def: $vgpr20_vgpr21
	s_and_b32 vcc_lo, exec_lo, s6
	s_cbranch_vccz .LBB542_124
; %bb.115:
	s_waitcnt lgkmcnt(0)
	v_mov_b32_dpp v2, v83 row_shr:1 row_mask:0xf bank_mask:0xf
	v_cmp_lt_u32_e32 vcc_lo, 3, v81
	v_mov_b32_dpp v1, v82 row_shr:1 row_mask:0xf bank_mask:0xf
	s_delay_alu instid0(VALU_DEP_3) | instskip(NEXT) | instid1(VALU_DEP_1)
	v_add_nc_u32_e32 v2, v2, v83
	v_cndmask_b32_e64 v2, v2, v83, s1
	s_delay_alu instid0(VALU_DEP_1) | instskip(NEXT) | instid1(VALU_DEP_1)
	v_mov_b32_dpp v4, v2 row_shr:2 row_mask:0xf bank_mask:0xf
	v_add_nc_u32_e32 v4, v2, v4
	s_delay_alu instid0(VALU_DEP_1) | instskip(NEXT) | instid1(VALU_DEP_1)
	v_cndmask_b32_e64 v2, v2, v4, s0
	v_mov_b32_dpp v4, v2 row_shr:4 row_mask:0xf bank_mask:0xf
	s_delay_alu instid0(VALU_DEP_1) | instskip(NEXT) | instid1(VALU_DEP_1)
	v_add_nc_u32_e32 v4, v2, v4
	v_dual_cndmask_b32 v2, v2, v4 :: v_dual_add_nc_u32 v1, v1, v82
	s_delay_alu instid0(VALU_DEP_1) | instskip(NEXT) | instid1(VALU_DEP_2)
	v_cndmask_b32_e64 v1, v1, v82, s1
	v_mov_b32_dpp v4, v2 row_shr:8 row_mask:0xf bank_mask:0xf
	s_delay_alu instid0(VALU_DEP_2) | instskip(NEXT) | instid1(VALU_DEP_2)
	v_mov_b32_dpp v3, v1 row_shr:2 row_mask:0xf bank_mask:0xf
	v_add_nc_u32_e32 v4, v2, v4
	s_delay_alu instid0(VALU_DEP_2) | instskip(NEXT) | instid1(VALU_DEP_1)
	v_add_nc_u32_e32 v3, v1, v3
	v_cndmask_b32_e64 v1, v1, v3, s0
	s_mov_b32 s0, exec_lo
	s_delay_alu instid0(VALU_DEP_1) | instskip(NEXT) | instid1(VALU_DEP_1)
	v_mov_b32_dpp v3, v1 row_shr:4 row_mask:0xf bank_mask:0xf
	v_add_nc_u32_e32 v3, v1, v3
	s_delay_alu instid0(VALU_DEP_1) | instskip(SKIP_1) | instid1(VALU_DEP_2)
	v_cndmask_b32_e32 v1, v1, v3, vcc_lo
	v_cmp_lt_u32_e32 vcc_lo, 7, v81
	v_mov_b32_dpp v3, v1 row_shr:8 row_mask:0xf bank_mask:0xf
	s_delay_alu instid0(VALU_DEP_1) | instskip(NEXT) | instid1(VALU_DEP_1)
	v_dual_cndmask_b32 v2, v2, v4 :: v_dual_add_nc_u32 v3, v1, v3
	v_cndmask_b32_e32 v1, v1, v3, vcc_lo
	ds_swizzle_b32 v3, v2 offset:swizzle(BROADCAST,32,15)
	v_cmp_eq_u32_e32 vcc_lo, 0, v80
	ds_swizzle_b32 v4, v1 offset:swizzle(BROADCAST,32,15)
	s_waitcnt lgkmcnt(1)
	v_add_nc_u32_e32 v3, v2, v3
	s_waitcnt lgkmcnt(0)
	v_add_nc_u32_e32 v4, v1, v4
	s_delay_alu instid0(VALU_DEP_1)
	v_dual_cndmask_b32 v2, v3, v2 :: v_dual_cndmask_b32 v1, v4, v1
	v_cmpx_eq_u32_e64 v79, v0
	s_cbranch_execz .LBB542_117
; %bb.116:
	v_lshlrev_b32_e32 v3, 3, v78
	ds_store_b64 v3, v[1:2]
.LBB542_117:
	s_or_b32 exec_lo, exec_lo, s0
	s_delay_alu instid0(SALU_CYCLE_1)
	s_mov_b32 s0, exec_lo
	s_waitcnt lgkmcnt(0)
	s_barrier
	buffer_gl0_inv
	v_cmpx_gt_u32_e32 8, v0
	s_cbranch_execz .LBB542_119
; %bb.118:
	v_lshlrev_b32_e32 v5, 3, v0
	ds_load_b64 v[3:4], v5
	s_waitcnt lgkmcnt(0)
	v_mov_b32_dpp v18, v3 row_shr:1 row_mask:0xf bank_mask:0xf
	v_mov_b32_dpp v19, v4 row_shr:1 row_mask:0xf bank_mask:0xf
	s_delay_alu instid0(VALU_DEP_2) | instskip(SKIP_1) | instid1(VALU_DEP_3)
	v_add_nc_u32_e32 v18, v18, v3
	v_and_b32_e32 v20, 7, v77
	v_add_nc_u32_e32 v19, v19, v4
	s_delay_alu instid0(VALU_DEP_2) | instskip(NEXT) | instid1(VALU_DEP_2)
	v_cmp_eq_u32_e32 vcc_lo, 0, v20
	v_dual_cndmask_b32 v4, v19, v4 :: v_dual_cndmask_b32 v3, v18, v3
	v_cmp_lt_u32_e32 vcc_lo, 1, v20
	s_delay_alu instid0(VALU_DEP_2) | instskip(NEXT) | instid1(VALU_DEP_3)
	v_mov_b32_dpp v19, v4 row_shr:2 row_mask:0xf bank_mask:0xf
	v_mov_b32_dpp v18, v3 row_shr:2 row_mask:0xf bank_mask:0xf
	s_delay_alu instid0(VALU_DEP_2) | instskip(NEXT) | instid1(VALU_DEP_2)
	v_add_nc_u32_e32 v19, v4, v19
	v_add_nc_u32_e32 v18, v3, v18
	s_delay_alu instid0(VALU_DEP_1) | instskip(SKIP_1) | instid1(VALU_DEP_2)
	v_dual_cndmask_b32 v4, v4, v19 :: v_dual_cndmask_b32 v3, v3, v18
	v_cmp_lt_u32_e32 vcc_lo, 3, v20
	v_mov_b32_dpp v19, v4 row_shr:4 row_mask:0xf bank_mask:0xf
	s_delay_alu instid0(VALU_DEP_3) | instskip(NEXT) | instid1(VALU_DEP_1)
	v_mov_b32_dpp v18, v3 row_shr:4 row_mask:0xf bank_mask:0xf
	v_dual_cndmask_b32 v19, 0, v19 :: v_dual_cndmask_b32 v18, 0, v18
	s_delay_alu instid0(VALU_DEP_1) | instskip(NEXT) | instid1(VALU_DEP_2)
	v_add_nc_u32_e32 v4, v19, v4
	v_add_nc_u32_e32 v3, v18, v3
	ds_store_b64 v5, v[3:4]
.LBB542_119:
	s_or_b32 exec_lo, exec_lo, s0
	v_dual_mov_b32 v3, 0 :: v_dual_mov_b32 v18, 0
	v_mov_b32_e32 v19, 0
	s_mov_b32 s0, exec_lo
	s_waitcnt lgkmcnt(0)
	s_barrier
	buffer_gl0_inv
	v_cmpx_lt_u32_e32 31, v0
	s_cbranch_execz .LBB542_121
; %bb.120:
	v_lshl_add_u32 v4, v78, 3, -8
	ds_load_b64 v[18:19], v4
.LBB542_121:
	s_or_b32 exec_lo, exec_lo, s0
	v_add_nc_u32_e32 v4, -1, v77
	s_waitcnt lgkmcnt(0)
	v_add_nc_u32_e32 v20, v19, v2
	v_add_nc_u32_e32 v5, v18, v1
	ds_load_b64 v[1:2], v3 offset:56
	v_cmp_gt_i32_e32 vcc_lo, 0, v4
	v_cndmask_b32_e32 v4, v4, v77, vcc_lo
	v_cmp_eq_u32_e32 vcc_lo, 0, v0
	s_delay_alu instid0(VALU_DEP_2)
	v_lshlrev_b32_e32 v4, 2, v4
	ds_bpermute_b32 v5, v4, v5
	ds_bpermute_b32 v20, v4, v20
	s_waitcnt lgkmcnt(2)
	v_readfirstlane_b32 s1, v2
	s_and_saveexec_b32 s0, vcc_lo
	s_cbranch_execz .LBB542_123
; %bb.122:
	s_mov_b32 s6, 0
	s_add_u32 s4, s4, 0x200
	s_addc_u32 s5, s5, 0
	s_and_b32 s7, s1, 0xff000000
	s_and_b32 s9, s1, 0xff0000
	s_mov_b32 s8, s6
	v_mov_b32_e32 v22, s5
	s_or_b64 s[8:9], s[8:9], s[6:7]
	s_and_b32 s7, s1, 0xff00
	v_dual_mov_b32 v4, 0 :: v_dual_mov_b32 v21, s4
	s_or_b64 s[8:9], s[8:9], s[6:7]
	s_and_b32 s7, s1, 0xff
	v_mov_b32_e32 v3, 2
	s_or_b64 s[6:7], s[8:9], s[6:7]
	s_delay_alu instid0(SALU_CYCLE_1)
	v_mov_b32_e32 v2, s7
	;;#ASMSTART
	global_store_dwordx4 v[21:22], v[1:4] off	
s_waitcnt vmcnt(0)
	;;#ASMEND
.LBB542_123:
	s_or_b32 exec_lo, exec_lo, s0
	v_cmp_eq_u32_e64 s0, 0, v77
	v_dual_mov_b32 v3, 0 :: v_dual_mov_b32 v2, s1
	s_waitcnt lgkmcnt(0)
	s_barrier
	s_delay_alu instid0(VALU_DEP_2)
	v_cndmask_b32_e64 v4, v5, v18, s0
	v_cndmask_b32_e64 v5, v20, v19, s0
	buffer_gl0_inv
	v_cndmask_b32_e64 v20, v4, 0, vcc_lo
	v_cndmask_b32_e64 v5, v5, 0, vcc_lo
	v_mov_b32_e32 v4, 0
.LBB542_124:
	v_and_b32_e32 v30, 1, v30
	v_and_b32_e32 v34, 1, v34
	;; [unrolled: 1-line block ×4, first 2 shown]
	s_waitcnt lgkmcnt(0)
	v_add_co_u32 v18, s0, s28, v3
	v_cmp_eq_u32_e32 vcc_lo, 1, v30
	v_add_nc_u32_e32 v22, v5, v76
	v_sub_nc_u32_e32 v5, v5, v4
	v_add_co_ci_u32_e64 v19, null, s29, 0, s0
	s_mov_b32 s2, -1
	s_delay_alu instid0(VALU_DEP_3) | instskip(SKIP_3) | instid1(VALU_DEP_3)
	v_add_nc_u32_e32 v24, v22, v72
	v_sub_nc_u32_e32 v22, v22, v4
	v_add_nc_u32_e32 v5, v5, v1
	v_sub_co_u32 v72, s0, s30, v1
	v_add_nc_u32_e32 v22, v22, v1
	v_add_nc_u32_e32 v21, v20, v75
	v_sub_nc_u32_e32 v20, v20, v3
	s_delay_alu instid0(VALU_DEP_2)
	v_add_nc_u32_e32 v23, v21, v71
	v_add_nc_u32_e32 v71, v24, v74
	v_lshlrev_b32_e32 v74, 1, v1
	v_sub_nc_u32_e32 v21, v21, v3
	v_add_nc_u32_e32 v75, v20, v5
	v_sub_nc_u32_e32 v24, v24, v4
	s_delay_alu instid0(VALU_DEP_4) | instskip(NEXT) | instid1(VALU_DEP_4)
	v_add3_u32 v28, v74, v2, v28
	v_add_nc_u32_e32 v76, v22, v21
	s_delay_alu instid0(VALU_DEP_3) | instskip(NEXT) | instid1(VALU_DEP_3)
	v_add_nc_u32_e32 v24, v24, v1
	v_sub_nc_u32_e32 v75, v28, v75
	s_delay_alu instid0(VALU_DEP_3) | instskip(NEXT) | instid1(VALU_DEP_1)
	v_sub_nc_u32_e32 v76, v28, v76
	v_dual_cndmask_b32 v5, v75, v5 :: v_dual_add_nc_u32 v30, 1, v76
	v_cmp_eq_u32_e32 vcc_lo, 1, v34
	s_delay_alu instid0(VALU_DEP_2) | instskip(SKIP_1) | instid1(VALU_DEP_4)
	v_cndmask_b32_e32 v22, v30, v22, vcc_lo
	v_cmp_eq_u32_e32 vcc_lo, 1, v29
	v_cndmask_b32_e32 v5, v5, v20, vcc_lo
	v_and_b32_e32 v20, 1, v36
	v_cmp_eq_u32_e32 vcc_lo, 1, v33
	s_delay_alu instid0(VALU_DEP_3) | instskip(SKIP_1) | instid1(VALU_DEP_4)
	v_lshlrev_b32_e32 v5, 2, v5
	v_cndmask_b32_e32 v21, v22, v21, vcc_lo
	v_cmp_eq_u32_e32 vcc_lo, 1, v20
	v_add_nc_u32_e32 v25, v23, v73
	v_sub_nc_u32_e32 v23, v23, v3
	v_and_b32_e32 v22, 1, v31
	v_sub_co_ci_u32_e64 v73, null, s31, 0, s0
	v_and_b32_e32 v31, 1, v32
	s_delay_alu instid0(VALU_DEP_4) | instskip(NEXT) | instid1(VALU_DEP_1)
	v_add_nc_u32_e32 v77, v24, v23
	v_sub_nc_u32_e32 v75, v28, v77
	s_delay_alu instid0(VALU_DEP_1) | instskip(NEXT) | instid1(VALU_DEP_1)
	v_add_nc_u32_e32 v29, 2, v75
	v_cndmask_b32_e32 v20, v29, v24, vcc_lo
	v_sub_nc_u32_e32 v24, v71, v4
	v_cmp_eq_u32_e32 vcc_lo, 1, v22
	v_add_nc_u32_e32 v69, v25, v69
	v_lshlrev_b32_e32 v29, 2, v21
	ds_store_b32 v5, v16
	ds_store_b32 v29, v17
	v_cndmask_b32_e32 v22, v20, v23, vcc_lo
	v_sub_nc_u32_e32 v23, v25, v3
	v_add_nc_u32_e32 v24, v24, v1
	v_add_co_u32 v20, vcc_lo, v72, v4
	s_delay_alu instid0(VALU_DEP_4) | instskip(SKIP_1) | instid1(VALU_DEP_4)
	v_lshlrev_b32_e32 v5, 2, v22
	v_and_b32_e32 v22, 1, v35
	v_add_nc_u32_e32 v25, v23, v24
	v_add_co_ci_u32_e32 v21, vcc_lo, 0, v73, vcc_lo
	ds_store_b32 v5, v14
	v_cmp_eq_u32_e32 vcc_lo, 1, v22
	v_sub_nc_u32_e32 v17, v28, v25
	v_sub_nc_u32_e32 v29, v69, v3
	v_add_nc_u32_e32 v67, v69, v67
	s_delay_alu instid0(VALU_DEP_3) | instskip(NEXT) | instid1(VALU_DEP_2)
	v_add_nc_u32_e32 v17, 3, v17
	v_sub_nc_u32_e32 v30, v67, v3
	s_delay_alu instid0(VALU_DEP_2) | instskip(SKIP_2) | instid1(VALU_DEP_3)
	v_cndmask_b32_e32 v17, v17, v24, vcc_lo
	v_cmp_eq_u32_e32 vcc_lo, 1, v31
	v_and_b32_e32 v24, 1, v39
	v_cndmask_b32_e32 v14, v17, v23, vcc_lo
	v_add_nc_u32_e32 v70, v71, v70
	v_and_b32_e32 v23, 1, v38
	s_delay_alu instid0(VALU_DEP_3) | instskip(NEXT) | instid1(VALU_DEP_3)
	v_lshlrev_b32_e32 v14, 2, v14
	v_add_nc_u32_e32 v68, v70, v68
	v_sub_nc_u32_e32 v16, v70, v4
	ds_store_b32 v14, v15
	v_sub_nc_u32_e32 v25, v68, v4
	v_add_nc_u32_e32 v16, v16, v1
	s_delay_alu instid0(VALU_DEP_2) | instskip(NEXT) | instid1(VALU_DEP_2)
	v_add_nc_u32_e32 v25, v25, v1
	v_add_nc_u32_e32 v32, v29, v16
	s_delay_alu instid0(VALU_DEP_2) | instskip(NEXT) | instid1(VALU_DEP_2)
	v_add_nc_u32_e32 v22, v30, v25
	v_sub_nc_u32_e32 v5, v28, v32
	s_delay_alu instid0(VALU_DEP_2) | instskip(SKIP_1) | instid1(VALU_DEP_3)
	v_sub_nc_u32_e32 v17, v28, v22
	v_and_b32_e32 v22, 1, v37
	v_add_nc_u32_e32 v5, 4, v5
	s_delay_alu instid0(VALU_DEP_3) | instskip(NEXT) | instid1(VALU_DEP_3)
	v_add_nc_u32_e32 v17, 5, v17
	v_cmp_eq_u32_e32 vcc_lo, 1, v22
	s_delay_alu instid0(VALU_DEP_3)
	v_cndmask_b32_e32 v5, v5, v16, vcc_lo
	v_cmp_eq_u32_e32 vcc_lo, 1, v24
	v_and_b32_e32 v16, 1, v41
	v_cndmask_b32_e32 v17, v17, v25, vcc_lo
	v_cmp_eq_u32_e32 vcc_lo, 1, v23
	v_cndmask_b32_e32 v5, v5, v29, vcc_lo
	s_delay_alu instid0(VALU_DEP_4) | instskip(SKIP_1) | instid1(VALU_DEP_3)
	v_cmp_eq_u32_e32 vcc_lo, 1, v16
	v_add_nc_u32_e32 v66, v68, v66
	v_dual_cndmask_b32 v16, v17, v30 :: v_dual_lshlrev_b32 v5, 2, v5
	s_delay_alu instid0(VALU_DEP_2) | instskip(SKIP_1) | instid1(VALU_DEP_3)
	v_sub_nc_u32_e32 v22, v66, v4
	v_add_nc_u32_e32 v62, v66, v62
	v_lshlrev_b32_e32 v16, 2, v16
	ds_store_b32 v5, v12
	ds_store_b32 v16, v13
	v_and_b32_e32 v12, 1, v40
	v_add_nc_u32_e32 v22, v22, v1
	v_add_nc_u32_e32 v64, v62, v64
	v_sub_nc_u32_e32 v17, v62, v4
	v_and_b32_e32 v16, 1, v43
	v_cmp_eq_u32_e32 vcc_lo, 1, v12
	v_add_nc_u32_e32 v65, v67, v65
	v_sub_nc_u32_e32 v15, v64, v4
	v_add_nc_u32_e32 v17, v17, v1
	s_delay_alu instid0(VALU_DEP_3) | instskip(NEXT) | instid1(VALU_DEP_3)
	v_sub_nc_u32_e32 v23, v65, v3
	v_add_nc_u32_e32 v15, v15, v1
	s_delay_alu instid0(VALU_DEP_2) | instskip(NEXT) | instid1(VALU_DEP_1)
	v_add_nc_u32_e32 v24, v23, v22
	v_sub_nc_u32_e32 v14, v28, v24
	v_and_b32_e32 v24, 1, v48
	s_delay_alu instid0(VALU_DEP_2) | instskip(SKIP_1) | instid1(VALU_DEP_2)
	v_add_nc_u32_e32 v13, 6, v14
	v_and_b32_e32 v14, 1, v42
	v_cndmask_b32_e32 v12, v13, v22, vcc_lo
	v_add_nc_u32_e32 v61, v65, v61
	s_delay_alu instid0(VALU_DEP_3) | instskip(SKIP_1) | instid1(VALU_DEP_3)
	v_cmp_eq_u32_e32 vcc_lo, 1, v14
	v_and_b32_e32 v22, 1, v44
	v_sub_nc_u32_e32 v25, v61, v3
	v_add_nc_u32_e32 v63, v61, v63
	v_cndmask_b32_e32 v12, v12, v23, vcc_lo
	v_cmp_eq_u32_e32 vcc_lo, 1, v16
	v_and_b32_e32 v23, 1, v46
	v_add_nc_u32_e32 v5, v25, v17
	v_sub_nc_u32_e32 v13, v63, v3
	v_lshlrev_b32_e32 v12, 2, v12
	v_add_nc_u32_e32 v59, v63, v59
	s_delay_alu instid0(VALU_DEP_4) | instskip(NEXT) | instid1(VALU_DEP_4)
	v_sub_nc_u32_e32 v5, v28, v5
	v_add_nc_u32_e32 v14, v13, v15
	s_delay_alu instid0(VALU_DEP_3) | instskip(NEXT) | instid1(VALU_DEP_3)
	v_add_nc_u32_e32 v57, v59, v57
	v_add_nc_u32_e32 v5, 7, v5
	s_delay_alu instid0(VALU_DEP_3) | instskip(NEXT) | instid1(VALU_DEP_3)
	v_sub_nc_u32_e32 v14, v28, v14
	v_add_nc_u32_e32 v55, v57, v55
	s_delay_alu instid0(VALU_DEP_3)
	v_cndmask_b32_e32 v5, v5, v17, vcc_lo
	v_cmp_eq_u32_e32 vcc_lo, 1, v22
	v_and_b32_e32 v17, 1, v45
	v_add_nc_u32_e32 v14, 8, v14
	v_sub_nc_u32_e32 v22, v59, v3
	v_add_nc_u32_e32 v53, v55, v53
	v_cndmask_b32_e32 v5, v5, v25, vcc_lo
	v_cmp_eq_u32_e32 vcc_lo, 1, v17
	v_sub_nc_u32_e32 v17, v55, v3
	v_and_b32_e32 v25, 1, v52
	s_delay_alu instid0(VALU_DEP_4)
	v_dual_cndmask_b32 v14, v14, v15 :: v_dual_lshlrev_b32 v5, 2, v5
	v_cmp_eq_u32_e32 vcc_lo, 1, v23
	v_add_nc_u32_e32 v60, v64, v60
	ds_store_b32 v12, v10
	ds_store_b32 v5, v11
	v_and_b32_e32 v11, 1, v49
	v_cndmask_b32_e32 v5, v14, v13, vcc_lo
	v_sub_nc_u32_e32 v16, v60, v4
	v_add_nc_u32_e32 v58, v60, v58
	v_and_b32_e32 v13, 1, v47
	s_delay_alu instid0(VALU_DEP_4) | instskip(NEXT) | instid1(VALU_DEP_4)
	v_lshlrev_b32_e32 v5, 2, v5
	v_add_nc_u32_e32 v16, v16, v1
	s_delay_alu instid0(VALU_DEP_4) | instskip(SKIP_2) | instid1(VALU_DEP_4)
	v_add_nc_u32_e32 v56, v58, v56
	v_sub_nc_u32_e32 v12, v58, v4
	v_cmp_eq_u32_e32 vcc_lo, 1, v13
	v_add_nc_u32_e32 v15, v22, v16
	s_delay_alu instid0(VALU_DEP_4) | instskip(NEXT) | instid1(VALU_DEP_4)
	v_sub_nc_u32_e32 v14, v56, v4
	v_add_nc_u32_e32 v12, v12, v1
	v_add_nc_u32_e32 v54, v56, v54
	s_delay_alu instid0(VALU_DEP_4) | instskip(SKIP_2) | instid1(VALU_DEP_4)
	v_sub_nc_u32_e32 v10, v28, v15
	v_sub_nc_u32_e32 v15, v57, v3
	v_add_nc_u32_e32 v14, v14, v1
	v_sub_nc_u32_e32 v23, v54, v4
	v_sub_nc_u32_e32 v3, v53, v3
	v_add_nc_u32_e32 v10, 9, v10
	v_add_nc_u32_e32 v13, v15, v12
	s_delay_alu instid0(VALU_DEP_2) | instskip(SKIP_2) | instid1(VALU_DEP_4)
	v_dual_cndmask_b32 v10, v10, v16 :: v_dual_add_nc_u32 v23, v23, v1
	v_add_nc_u32_e32 v16, v17, v14
	v_cmp_eq_u32_e32 vcc_lo, 1, v11
	v_sub_nc_u32_e32 v11, v28, v13
	v_and_b32_e32 v13, 1, v50
	s_delay_alu instid0(VALU_DEP_4) | instskip(NEXT) | instid1(VALU_DEP_3)
	v_sub_nc_u32_e32 v16, v28, v16
	v_dual_cndmask_b32 v10, v10, v22 :: v_dual_add_nc_u32 v11, 10, v11
	v_cmp_eq_u32_e32 vcc_lo, 1, v24
	v_add_nc_u32_e32 v22, v3, v23
	s_delay_alu instid0(VALU_DEP_4) | instskip(NEXT) | instid1(VALU_DEP_4)
	v_add_nc_u32_e32 v16, 11, v16
	v_dual_cndmask_b32 v11, v11, v12 :: v_dual_lshlrev_b32 v10, 2, v10
	v_cmp_eq_u32_e32 vcc_lo, 1, v25
	s_delay_alu instid0(VALU_DEP_4) | instskip(SKIP_3) | instid1(VALU_DEP_4)
	v_sub_nc_u32_e32 v22, v28, v22
	v_and_b32_e32 v12, 1, v51
	v_cndmask_b32_e32 v14, v16, v14, vcc_lo
	v_cmp_eq_u32_e32 vcc_lo, 1, v13
	v_dual_cndmask_b32 v11, v11, v15 :: v_dual_add_nc_u32 v16, 12, v22
	s_delay_alu instid0(VALU_DEP_4) | instskip(NEXT) | instid1(VALU_DEP_2)
	v_cmp_eq_u32_e32 vcc_lo, 1, v12
	v_cndmask_b32_e64 v13, v16, v23, s43
	s_delay_alu instid0(VALU_DEP_3) | instskip(NEXT) | instid1(VALU_DEP_2)
	v_dual_cndmask_b32 v12, v14, v17 :: v_dual_lshlrev_b32 v11, 2, v11
	v_cndmask_b32_e64 v3, v13, v3, s42
	s_delay_alu instid0(VALU_DEP_2)
	v_lshlrev_b32_e32 v12, 2, v12
	ds_store_b32 v5, v8
	ds_store_b32 v10, v9
	;; [unrolled: 1-line block ×4, first 2 shown]
	v_lshlrev_b32_e32 v3, 2, v3
	v_add_co_u32 v5, s0, v2, v74
	s_delay_alu instid0(VALU_DEP_1) | instskip(SKIP_4) | instid1(VALU_DEP_2)
	v_add_co_ci_u32_e64 v6, null, 0, 0, s0
	ds_store_b32 v3, v27
	v_add_co_u32 v3, vcc_lo, v5, v20
	v_add_co_ci_u32_e32 v5, vcc_lo, v6, v21, vcc_lo
	s_add_u32 s0, s34, s33
	v_add_co_u32 v3, vcc_lo, v3, v18
	s_delay_alu instid0(VALU_DEP_2) | instskip(SKIP_1) | instid1(VALU_DEP_2)
	v_add_co_ci_u32_e32 v5, vcc_lo, v5, v19, vcc_lo
	s_addc_u32 s1, s35, 0
	v_sub_co_u32 v3, vcc_lo, s0, v3
	s_delay_alu instid0(VALU_DEP_2)
	v_sub_co_ci_u32_e32 v9, vcc_lo, s1, v5, vcc_lo
	v_lshlrev_b64 v[5:6], 2, v[20:21]
	v_lshlrev_b64 v[7:8], 2, v[18:19]
	v_add_nc_u32_e32 v10, v1, v2
	s_add_u32 s1, s26, -4
	s_waitcnt lgkmcnt(0)
	s_barrier
	v_add_co_u32 v5, vcc_lo, s38, v5
	v_add_co_ci_u32_e32 v6, vcc_lo, s39, v6, vcc_lo
	v_cmp_ne_u32_e32 vcc_lo, 1, v26
	v_add_co_u32 v7, s0, s36, v7
	s_delay_alu instid0(VALU_DEP_1)
	v_add_co_ci_u32_e64 v8, s0, s37, v8, s0
	s_addc_u32 s0, s27, -1
	buffer_gl0_inv
	s_cbranch_vccz .LBB542_128
; %bb.125:
	s_and_b32 vcc_lo, exec_lo, s2
	s_cbranch_vccnz .LBB542_233
.LBB542_126:
	v_cmp_eq_u32_e32 vcc_lo, 0, v0
	s_and_b32 s0, vcc_lo, s14
	s_delay_alu instid0(SALU_CYCLE_1)
	s_and_saveexec_b32 s1, s0
	s_cbranch_execnz .LBB542_351
.LBB542_127:
	s_nop 0
	s_sendmsg sendmsg(MSG_DEALLOC_VGPRS)
	s_endpgm
.LBB542_128:
	s_mov_b32 s2, exec_lo
	v_cmpx_le_u32_e64 v1, v0
	s_xor_b32 s2, exec_lo, s2
	s_cbranch_execz .LBB542_134
; %bb.129:
	s_mov_b32 s4, exec_lo
	v_cmpx_le_u32_e64 v10, v0
	s_xor_b32 s4, exec_lo, s4
	s_cbranch_execz .LBB542_131
; %bb.130:
	v_lshlrev_b32_e32 v11, 2, v0
	ds_load_b32 v13, v11
	v_add_co_u32 v11, vcc_lo, v3, v0
	v_add_co_ci_u32_e32 v12, vcc_lo, 0, v9, vcc_lo
	s_delay_alu instid0(VALU_DEP_1) | instskip(NEXT) | instid1(VALU_DEP_1)
	v_lshlrev_b64 v[11:12], 2, v[11:12]
	v_sub_co_u32 v11, vcc_lo, s26, v11
	s_delay_alu instid0(VALU_DEP_2)
	v_sub_co_ci_u32_e32 v12, vcc_lo, s27, v12, vcc_lo
	s_waitcnt lgkmcnt(0)
	global_store_b32 v[11:12], v13, off offset:-4
.LBB542_131:
	s_and_not1_saveexec_b32 s4, s4
	s_cbranch_execz .LBB542_133
; %bb.132:
	v_lshlrev_b32_e32 v11, 2, v0
	v_readfirstlane_b32 s6, v5
	v_readfirstlane_b32 s7, v6
	ds_load_b32 v12, v11
	s_waitcnt lgkmcnt(0)
	global_store_b32 v11, v12, s[6:7]
.LBB542_133:
	s_or_b32 exec_lo, exec_lo, s4
.LBB542_134:
	s_and_not1_saveexec_b32 s2, s2
	s_cbranch_execz .LBB542_136
; %bb.135:
	v_lshlrev_b32_e32 v11, 2, v0
	v_readfirstlane_b32 s4, v7
	v_readfirstlane_b32 s5, v8
	ds_load_b32 v12, v11
	s_waitcnt lgkmcnt(0)
	global_store_b32 v11, v12, s[4:5]
.LBB542_136:
	s_or_b32 exec_lo, exec_lo, s2
	v_or_b32_e32 v11, 0x100, v0
	s_mov_b32 s2, exec_lo
	s_delay_alu instid0(VALU_DEP_1)
	v_cmpx_le_u32_e64 v1, v11
	s_xor_b32 s2, exec_lo, s2
	s_cbranch_execz .LBB542_142
; %bb.137:
	s_mov_b32 s4, exec_lo
	v_cmpx_le_u32_e64 v10, v11
	s_xor_b32 s4, exec_lo, s4
	s_cbranch_execz .LBB542_139
; %bb.138:
	v_lshlrev_b32_e32 v11, 2, v0
	ds_load_b32 v13, v11 offset:1024
	v_add_co_u32 v11, vcc_lo, v3, v0
	v_add_co_ci_u32_e32 v12, vcc_lo, 0, v9, vcc_lo
	s_delay_alu instid0(VALU_DEP_1) | instskip(NEXT) | instid1(VALU_DEP_1)
	v_lshlrev_b64 v[11:12], 2, v[11:12]
	v_sub_co_u32 v11, vcc_lo, s1, v11
	s_delay_alu instid0(VALU_DEP_2)
	v_sub_co_ci_u32_e32 v12, vcc_lo, s0, v12, vcc_lo
	s_waitcnt lgkmcnt(0)
	global_store_b32 v[11:12], v13, off offset:-1024
.LBB542_139:
	s_and_not1_saveexec_b32 s4, s4
	s_cbranch_execz .LBB542_141
; %bb.140:
	v_lshlrev_b32_e32 v11, 2, v0
	v_readfirstlane_b32 s6, v5
	v_readfirstlane_b32 s7, v6
	ds_load_b32 v12, v11 offset:1024
	s_waitcnt lgkmcnt(0)
	global_store_b32 v11, v12, s[6:7] offset:1024
.LBB542_141:
	s_or_b32 exec_lo, exec_lo, s4
.LBB542_142:
	s_and_not1_saveexec_b32 s2, s2
	s_cbranch_execz .LBB542_144
; %bb.143:
	v_lshlrev_b32_e32 v11, 2, v0
	v_readfirstlane_b32 s4, v7
	v_readfirstlane_b32 s5, v8
	ds_load_b32 v12, v11 offset:1024
	s_waitcnt lgkmcnt(0)
	global_store_b32 v11, v12, s[4:5] offset:1024
.LBB542_144:
	s_or_b32 exec_lo, exec_lo, s2
	v_or_b32_e32 v11, 0x200, v0
	s_mov_b32 s2, exec_lo
	s_delay_alu instid0(VALU_DEP_1)
	v_cmpx_le_u32_e64 v1, v11
	s_xor_b32 s2, exec_lo, s2
	s_cbranch_execz .LBB542_150
; %bb.145:
	s_mov_b32 s4, exec_lo
	v_cmpx_le_u32_e64 v10, v11
	s_xor_b32 s4, exec_lo, s4
	s_cbranch_execz .LBB542_147
; %bb.146:
	v_lshlrev_b32_e32 v11, 2, v0
	ds_load_b32 v13, v11 offset:2048
	v_add_co_u32 v11, vcc_lo, v3, v0
	v_add_co_ci_u32_e32 v12, vcc_lo, 0, v9, vcc_lo
	s_delay_alu instid0(VALU_DEP_1) | instskip(NEXT) | instid1(VALU_DEP_1)
	v_lshlrev_b64 v[11:12], 2, v[11:12]
	v_sub_co_u32 v11, vcc_lo, s1, v11
	s_delay_alu instid0(VALU_DEP_2)
	v_sub_co_ci_u32_e32 v12, vcc_lo, s0, v12, vcc_lo
	s_waitcnt lgkmcnt(0)
	global_store_b32 v[11:12], v13, off offset:-2048
.LBB542_147:
	s_and_not1_saveexec_b32 s4, s4
	s_cbranch_execz .LBB542_149
; %bb.148:
	v_lshlrev_b32_e32 v11, 2, v0
	v_readfirstlane_b32 s6, v5
	v_readfirstlane_b32 s7, v6
	ds_load_b32 v12, v11 offset:2048
	s_waitcnt lgkmcnt(0)
	global_store_b32 v11, v12, s[6:7] offset:2048
.LBB542_149:
	s_or_b32 exec_lo, exec_lo, s4
.LBB542_150:
	s_and_not1_saveexec_b32 s2, s2
	s_cbranch_execz .LBB542_152
; %bb.151:
	v_lshlrev_b32_e32 v11, 2, v0
	v_readfirstlane_b32 s4, v7
	v_readfirstlane_b32 s5, v8
	ds_load_b32 v12, v11 offset:2048
	s_waitcnt lgkmcnt(0)
	global_store_b32 v11, v12, s[4:5] offset:2048
.LBB542_152:
	;; [unrolled: 47-line block ×3, first 2 shown]
	s_or_b32 exec_lo, exec_lo, s2
	v_or_b32_e32 v11, 0x400, v0
	s_mov_b32 s2, exec_lo
	s_delay_alu instid0(VALU_DEP_1)
	v_cmpx_le_u32_e64 v1, v11
	s_xor_b32 s2, exec_lo, s2
	s_cbranch_execz .LBB542_166
; %bb.161:
	s_mov_b32 s4, exec_lo
	v_cmpx_le_u32_e64 v10, v11
	s_xor_b32 s4, exec_lo, s4
	s_cbranch_execz .LBB542_163
; %bb.162:
	v_lshlrev_b32_e32 v11, 2, v0
	ds_load_b32 v13, v11 offset:4096
	v_add_co_u32 v11, vcc_lo, v3, v0
	v_add_co_ci_u32_e32 v12, vcc_lo, 0, v9, vcc_lo
	s_delay_alu instid0(VALU_DEP_1) | instskip(NEXT) | instid1(VALU_DEP_1)
	v_lshlrev_b64 v[11:12], 2, v[11:12]
	v_sub_co_u32 v11, vcc_lo, s1, v11
	s_delay_alu instid0(VALU_DEP_2)
	v_sub_co_ci_u32_e32 v12, vcc_lo, s0, v12, vcc_lo
	s_waitcnt lgkmcnt(0)
	global_store_b32 v[11:12], v13, off offset:-4096
                                        ; implicit-def: $vgpr11
.LBB542_163:
	s_and_not1_saveexec_b32 s4, s4
	s_cbranch_execz .LBB542_165
; %bb.164:
	v_lshlrev_b32_e32 v12, 2, v0
	v_lshlrev_b32_e32 v11, 2, v11
	v_readfirstlane_b32 s6, v5
	v_readfirstlane_b32 s7, v6
	ds_load_b32 v12, v12 offset:4096
	s_waitcnt lgkmcnt(0)
	global_store_b32 v11, v12, s[6:7]
.LBB542_165:
	s_or_b32 exec_lo, exec_lo, s4
                                        ; implicit-def: $vgpr11
.LBB542_166:
	s_and_not1_saveexec_b32 s2, s2
	s_cbranch_execz .LBB542_168
; %bb.167:
	v_lshlrev_b32_e32 v12, 2, v0
	v_lshlrev_b32_e32 v11, 2, v11
	v_readfirstlane_b32 s4, v7
	v_readfirstlane_b32 s5, v8
	ds_load_b32 v12, v12 offset:4096
	s_waitcnt lgkmcnt(0)
	global_store_b32 v11, v12, s[4:5]
.LBB542_168:
	s_or_b32 exec_lo, exec_lo, s2
	v_or_b32_e32 v11, 0x500, v0
	s_mov_b32 s2, exec_lo
	s_delay_alu instid0(VALU_DEP_1)
	v_cmpx_le_u32_e64 v1, v11
	s_xor_b32 s2, exec_lo, s2
	s_cbranch_execz .LBB542_174
; %bb.169:
	s_mov_b32 s4, exec_lo
	v_cmpx_le_u32_e64 v10, v11
	s_xor_b32 s4, exec_lo, s4
	s_cbranch_execz .LBB542_171
; %bb.170:
	v_lshlrev_b32_e32 v12, 2, v0
	v_add_co_u32 v11, vcc_lo, v3, v11
	ds_load_b32 v13, v12 offset:5120
	v_add_co_ci_u32_e32 v12, vcc_lo, 0, v9, vcc_lo
	s_delay_alu instid0(VALU_DEP_1) | instskip(NEXT) | instid1(VALU_DEP_1)
	v_lshlrev_b64 v[11:12], 2, v[11:12]
	v_sub_co_u32 v11, vcc_lo, s1, v11
	s_delay_alu instid0(VALU_DEP_2)
	v_sub_co_ci_u32_e32 v12, vcc_lo, s0, v12, vcc_lo
	s_waitcnt lgkmcnt(0)
	global_store_b32 v[11:12], v13, off
                                        ; implicit-def: $vgpr11
.LBB542_171:
	s_and_not1_saveexec_b32 s4, s4
	s_cbranch_execz .LBB542_173
; %bb.172:
	v_lshlrev_b32_e32 v12, 2, v0
	v_lshlrev_b32_e32 v11, 2, v11
	v_readfirstlane_b32 s6, v5
	v_readfirstlane_b32 s7, v6
	ds_load_b32 v12, v12 offset:5120
	s_waitcnt lgkmcnt(0)
	global_store_b32 v11, v12, s[6:7]
.LBB542_173:
	s_or_b32 exec_lo, exec_lo, s4
                                        ; implicit-def: $vgpr11
.LBB542_174:
	s_and_not1_saveexec_b32 s2, s2
	s_cbranch_execz .LBB542_176
; %bb.175:
	v_lshlrev_b32_e32 v12, 2, v0
	v_lshlrev_b32_e32 v11, 2, v11
	v_readfirstlane_b32 s4, v7
	v_readfirstlane_b32 s5, v8
	ds_load_b32 v12, v12 offset:5120
	s_waitcnt lgkmcnt(0)
	global_store_b32 v11, v12, s[4:5]
.LBB542_176:
	s_or_b32 exec_lo, exec_lo, s2
	v_or_b32_e32 v11, 0x600, v0
	s_mov_b32 s2, exec_lo
	s_delay_alu instid0(VALU_DEP_1)
	v_cmpx_le_u32_e64 v1, v11
	s_xor_b32 s2, exec_lo, s2
	s_cbranch_execz .LBB542_182
; %bb.177:
	s_mov_b32 s4, exec_lo
	v_cmpx_le_u32_e64 v10, v11
	s_xor_b32 s4, exec_lo, s4
	s_cbranch_execz .LBB542_179
; %bb.178:
	v_lshlrev_b32_e32 v12, 2, v0
	v_add_co_u32 v11, vcc_lo, v3, v11
	ds_load_b32 v13, v12 offset:6144
	v_add_co_ci_u32_e32 v12, vcc_lo, 0, v9, vcc_lo
	s_delay_alu instid0(VALU_DEP_1) | instskip(NEXT) | instid1(VALU_DEP_1)
	v_lshlrev_b64 v[11:12], 2, v[11:12]
	v_sub_co_u32 v11, vcc_lo, s1, v11
	s_delay_alu instid0(VALU_DEP_2)
	v_sub_co_ci_u32_e32 v12, vcc_lo, s0, v12, vcc_lo
	s_waitcnt lgkmcnt(0)
	global_store_b32 v[11:12], v13, off
                                        ; implicit-def: $vgpr11
.LBB542_179:
	s_and_not1_saveexec_b32 s4, s4
	s_cbranch_execz .LBB542_181
; %bb.180:
	v_lshlrev_b32_e32 v12, 2, v0
	v_lshlrev_b32_e32 v11, 2, v11
	v_readfirstlane_b32 s6, v5
	v_readfirstlane_b32 s7, v6
	ds_load_b32 v12, v12 offset:6144
	s_waitcnt lgkmcnt(0)
	global_store_b32 v11, v12, s[6:7]
.LBB542_181:
	s_or_b32 exec_lo, exec_lo, s4
                                        ; implicit-def: $vgpr11
.LBB542_182:
	;; [unrolled: 51-line block ×8, first 2 shown]
	s_and_not1_saveexec_b32 s2, s2
	s_cbranch_execz .LBB542_232
; %bb.231:
	v_lshlrev_b32_e32 v12, 2, v0
	v_lshlrev_b32_e32 v11, 2, v11
	v_readfirstlane_b32 s4, v7
	v_readfirstlane_b32 s5, v8
	ds_load_b32 v12, v12 offset:12288
	s_waitcnt lgkmcnt(0)
	global_store_b32 v11, v12, s[4:5]
.LBB542_232:
	s_or_b32 exec_lo, exec_lo, s2
	s_branch .LBB542_126
.LBB542_233:
	s_mov_b32 s2, exec_lo
	v_cmpx_gt_u32_e64 s3, v0
	s_cbranch_execz .LBB542_242
; %bb.234:
	s_mov_b32 s4, exec_lo
	v_cmpx_le_u32_e64 v1, v0
	s_xor_b32 s4, exec_lo, s4
	s_cbranch_execz .LBB542_240
; %bb.235:
	s_mov_b32 s5, exec_lo
	v_cmpx_le_u32_e64 v10, v0
	s_xor_b32 s5, exec_lo, s5
	s_cbranch_execz .LBB542_237
; %bb.236:
	v_lshlrev_b32_e32 v11, 2, v0
	ds_load_b32 v13, v11
	v_add_co_u32 v11, vcc_lo, v3, v0
	v_add_co_ci_u32_e32 v12, vcc_lo, 0, v9, vcc_lo
	s_delay_alu instid0(VALU_DEP_1) | instskip(NEXT) | instid1(VALU_DEP_1)
	v_lshlrev_b64 v[11:12], 2, v[11:12]
	v_sub_co_u32 v11, vcc_lo, s26, v11
	s_delay_alu instid0(VALU_DEP_2)
	v_sub_co_ci_u32_e32 v12, vcc_lo, s27, v12, vcc_lo
	s_waitcnt lgkmcnt(0)
	global_store_b32 v[11:12], v13, off offset:-4
.LBB542_237:
	s_and_not1_saveexec_b32 s5, s5
	s_cbranch_execz .LBB542_239
; %bb.238:
	v_lshlrev_b32_e32 v11, 2, v0
	v_readfirstlane_b32 s6, v5
	v_readfirstlane_b32 s7, v6
	ds_load_b32 v12, v11
	s_waitcnt lgkmcnt(0)
	global_store_b32 v11, v12, s[6:7]
.LBB542_239:
	s_or_b32 exec_lo, exec_lo, s5
.LBB542_240:
	s_and_not1_saveexec_b32 s4, s4
	s_cbranch_execz .LBB542_242
; %bb.241:
	v_lshlrev_b32_e32 v11, 2, v0
	v_readfirstlane_b32 s4, v7
	v_readfirstlane_b32 s5, v8
	ds_load_b32 v12, v11
	s_waitcnt lgkmcnt(0)
	global_store_b32 v11, v12, s[4:5]
.LBB542_242:
	s_or_b32 exec_lo, exec_lo, s2
	v_or_b32_e32 v11, 0x100, v0
	s_mov_b32 s2, exec_lo
	s_delay_alu instid0(VALU_DEP_1)
	v_cmpx_gt_u32_e64 s3, v11
	s_cbranch_execz .LBB542_251
; %bb.243:
	s_mov_b32 s4, exec_lo
	v_cmpx_le_u32_e64 v1, v11
	s_xor_b32 s4, exec_lo, s4
	s_cbranch_execz .LBB542_249
; %bb.244:
	s_mov_b32 s5, exec_lo
	v_cmpx_le_u32_e64 v10, v11
	s_xor_b32 s5, exec_lo, s5
	s_cbranch_execz .LBB542_246
; %bb.245:
	v_lshlrev_b32_e32 v11, 2, v0
	ds_load_b32 v13, v11 offset:1024
	v_add_co_u32 v11, vcc_lo, v3, v0
	v_add_co_ci_u32_e32 v12, vcc_lo, 0, v9, vcc_lo
	s_delay_alu instid0(VALU_DEP_1) | instskip(NEXT) | instid1(VALU_DEP_1)
	v_lshlrev_b64 v[11:12], 2, v[11:12]
	v_sub_co_u32 v11, vcc_lo, s1, v11
	s_delay_alu instid0(VALU_DEP_2)
	v_sub_co_ci_u32_e32 v12, vcc_lo, s0, v12, vcc_lo
	s_waitcnt lgkmcnt(0)
	global_store_b32 v[11:12], v13, off offset:-1024
.LBB542_246:
	s_and_not1_saveexec_b32 s5, s5
	s_cbranch_execz .LBB542_248
; %bb.247:
	v_lshlrev_b32_e32 v11, 2, v0
	v_readfirstlane_b32 s6, v5
	v_readfirstlane_b32 s7, v6
	ds_load_b32 v12, v11 offset:1024
	s_waitcnt lgkmcnt(0)
	global_store_b32 v11, v12, s[6:7] offset:1024
.LBB542_248:
	s_or_b32 exec_lo, exec_lo, s5
.LBB542_249:
	s_and_not1_saveexec_b32 s4, s4
	s_cbranch_execz .LBB542_251
; %bb.250:
	v_lshlrev_b32_e32 v11, 2, v0
	v_readfirstlane_b32 s4, v7
	v_readfirstlane_b32 s5, v8
	ds_load_b32 v12, v11 offset:1024
	s_waitcnt lgkmcnt(0)
	global_store_b32 v11, v12, s[4:5] offset:1024
.LBB542_251:
	s_or_b32 exec_lo, exec_lo, s2
	v_or_b32_e32 v11, 0x200, v0
	s_mov_b32 s2, exec_lo
	s_delay_alu instid0(VALU_DEP_1)
	v_cmpx_gt_u32_e64 s3, v11
	s_cbranch_execz .LBB542_260
; %bb.252:
	s_mov_b32 s4, exec_lo
	v_cmpx_le_u32_e64 v1, v11
	s_xor_b32 s4, exec_lo, s4
	s_cbranch_execz .LBB542_258
; %bb.253:
	s_mov_b32 s5, exec_lo
	v_cmpx_le_u32_e64 v10, v11
	s_xor_b32 s5, exec_lo, s5
	s_cbranch_execz .LBB542_255
; %bb.254:
	v_lshlrev_b32_e32 v11, 2, v0
	ds_load_b32 v13, v11 offset:2048
	v_add_co_u32 v11, vcc_lo, v3, v0
	v_add_co_ci_u32_e32 v12, vcc_lo, 0, v9, vcc_lo
	s_delay_alu instid0(VALU_DEP_1) | instskip(NEXT) | instid1(VALU_DEP_1)
	v_lshlrev_b64 v[11:12], 2, v[11:12]
	v_sub_co_u32 v11, vcc_lo, s1, v11
	s_delay_alu instid0(VALU_DEP_2)
	v_sub_co_ci_u32_e32 v12, vcc_lo, s0, v12, vcc_lo
	s_waitcnt lgkmcnt(0)
	global_store_b32 v[11:12], v13, off offset:-2048
.LBB542_255:
	s_and_not1_saveexec_b32 s5, s5
	s_cbranch_execz .LBB542_257
; %bb.256:
	v_lshlrev_b32_e32 v11, 2, v0
	v_readfirstlane_b32 s6, v5
	v_readfirstlane_b32 s7, v6
	ds_load_b32 v12, v11 offset:2048
	s_waitcnt lgkmcnt(0)
	global_store_b32 v11, v12, s[6:7] offset:2048
.LBB542_257:
	s_or_b32 exec_lo, exec_lo, s5
.LBB542_258:
	s_and_not1_saveexec_b32 s4, s4
	s_cbranch_execz .LBB542_260
; %bb.259:
	v_lshlrev_b32_e32 v11, 2, v0
	v_readfirstlane_b32 s4, v7
	v_readfirstlane_b32 s5, v8
	ds_load_b32 v12, v11 offset:2048
	s_waitcnt lgkmcnt(0)
	global_store_b32 v11, v12, s[4:5] offset:2048
.LBB542_260:
	;; [unrolled: 51-line block ×3, first 2 shown]
	s_or_b32 exec_lo, exec_lo, s2
	v_or_b32_e32 v11, 0x400, v0
	s_mov_b32 s2, exec_lo
	s_delay_alu instid0(VALU_DEP_1)
	v_cmpx_gt_u32_e64 s3, v11
	s_cbranch_execz .LBB542_278
; %bb.270:
	s_mov_b32 s4, exec_lo
	v_cmpx_le_u32_e64 v1, v11
	s_xor_b32 s4, exec_lo, s4
	s_cbranch_execz .LBB542_276
; %bb.271:
	s_mov_b32 s5, exec_lo
	v_cmpx_le_u32_e64 v10, v11
	s_xor_b32 s5, exec_lo, s5
	s_cbranch_execz .LBB542_273
; %bb.272:
	v_lshlrev_b32_e32 v11, 2, v0
	ds_load_b32 v13, v11 offset:4096
	v_add_co_u32 v11, vcc_lo, v3, v0
	v_add_co_ci_u32_e32 v12, vcc_lo, 0, v9, vcc_lo
	s_delay_alu instid0(VALU_DEP_1) | instskip(NEXT) | instid1(VALU_DEP_1)
	v_lshlrev_b64 v[11:12], 2, v[11:12]
	v_sub_co_u32 v11, vcc_lo, s1, v11
	s_delay_alu instid0(VALU_DEP_2)
	v_sub_co_ci_u32_e32 v12, vcc_lo, s0, v12, vcc_lo
	s_waitcnt lgkmcnt(0)
	global_store_b32 v[11:12], v13, off offset:-4096
                                        ; implicit-def: $vgpr11
.LBB542_273:
	s_and_not1_saveexec_b32 s5, s5
	s_cbranch_execz .LBB542_275
; %bb.274:
	v_lshlrev_b32_e32 v12, 2, v0
	v_lshlrev_b32_e32 v11, 2, v11
	v_readfirstlane_b32 s6, v5
	v_readfirstlane_b32 s7, v6
	ds_load_b32 v12, v12 offset:4096
	s_waitcnt lgkmcnt(0)
	global_store_b32 v11, v12, s[6:7]
.LBB542_275:
	s_or_b32 exec_lo, exec_lo, s5
                                        ; implicit-def: $vgpr11
.LBB542_276:
	s_and_not1_saveexec_b32 s4, s4
	s_cbranch_execz .LBB542_278
; %bb.277:
	v_lshlrev_b32_e32 v12, 2, v0
	v_lshlrev_b32_e32 v11, 2, v11
	v_readfirstlane_b32 s4, v7
	v_readfirstlane_b32 s5, v8
	ds_load_b32 v12, v12 offset:4096
	s_waitcnt lgkmcnt(0)
	global_store_b32 v11, v12, s[4:5]
.LBB542_278:
	s_or_b32 exec_lo, exec_lo, s2
	v_or_b32_e32 v11, 0x500, v0
	s_mov_b32 s2, exec_lo
	s_delay_alu instid0(VALU_DEP_1)
	v_cmpx_gt_u32_e64 s3, v11
	s_cbranch_execz .LBB542_287
; %bb.279:
	s_mov_b32 s4, exec_lo
	v_cmpx_le_u32_e64 v1, v11
	s_xor_b32 s4, exec_lo, s4
	s_cbranch_execz .LBB542_285
; %bb.280:
	s_mov_b32 s5, exec_lo
	v_cmpx_le_u32_e64 v10, v11
	s_xor_b32 s5, exec_lo, s5
	s_cbranch_execz .LBB542_282
; %bb.281:
	v_lshlrev_b32_e32 v12, 2, v0
	v_add_co_u32 v11, vcc_lo, v3, v11
	ds_load_b32 v13, v12 offset:5120
	v_add_co_ci_u32_e32 v12, vcc_lo, 0, v9, vcc_lo
	s_delay_alu instid0(VALU_DEP_1) | instskip(NEXT) | instid1(VALU_DEP_1)
	v_lshlrev_b64 v[11:12], 2, v[11:12]
	v_sub_co_u32 v11, vcc_lo, s1, v11
	s_delay_alu instid0(VALU_DEP_2)
	v_sub_co_ci_u32_e32 v12, vcc_lo, s0, v12, vcc_lo
	s_waitcnt lgkmcnt(0)
	global_store_b32 v[11:12], v13, off
                                        ; implicit-def: $vgpr11
.LBB542_282:
	s_and_not1_saveexec_b32 s5, s5
	s_cbranch_execz .LBB542_284
; %bb.283:
	v_lshlrev_b32_e32 v12, 2, v0
	v_lshlrev_b32_e32 v11, 2, v11
	v_readfirstlane_b32 s6, v5
	v_readfirstlane_b32 s7, v6
	ds_load_b32 v12, v12 offset:5120
	s_waitcnt lgkmcnt(0)
	global_store_b32 v11, v12, s[6:7]
.LBB542_284:
	s_or_b32 exec_lo, exec_lo, s5
                                        ; implicit-def: $vgpr11
.LBB542_285:
	s_and_not1_saveexec_b32 s4, s4
	s_cbranch_execz .LBB542_287
; %bb.286:
	v_lshlrev_b32_e32 v12, 2, v0
	v_lshlrev_b32_e32 v11, 2, v11
	v_readfirstlane_b32 s4, v7
	v_readfirstlane_b32 s5, v8
	ds_load_b32 v12, v12 offset:5120
	s_waitcnt lgkmcnt(0)
	global_store_b32 v11, v12, s[4:5]
.LBB542_287:
	s_or_b32 exec_lo, exec_lo, s2
	v_or_b32_e32 v11, 0x600, v0
	s_mov_b32 s2, exec_lo
	s_delay_alu instid0(VALU_DEP_1)
	v_cmpx_gt_u32_e64 s3, v11
	s_cbranch_execz .LBB542_296
; %bb.288:
	s_mov_b32 s4, exec_lo
	v_cmpx_le_u32_e64 v1, v11
	s_xor_b32 s4, exec_lo, s4
	s_cbranch_execz .LBB542_294
; %bb.289:
	s_mov_b32 s5, exec_lo
	v_cmpx_le_u32_e64 v10, v11
	s_xor_b32 s5, exec_lo, s5
	s_cbranch_execz .LBB542_291
; %bb.290:
	v_lshlrev_b32_e32 v12, 2, v0
	v_add_co_u32 v11, vcc_lo, v3, v11
	ds_load_b32 v13, v12 offset:6144
	v_add_co_ci_u32_e32 v12, vcc_lo, 0, v9, vcc_lo
	s_delay_alu instid0(VALU_DEP_1) | instskip(NEXT) | instid1(VALU_DEP_1)
	v_lshlrev_b64 v[11:12], 2, v[11:12]
	v_sub_co_u32 v11, vcc_lo, s1, v11
	s_delay_alu instid0(VALU_DEP_2)
	v_sub_co_ci_u32_e32 v12, vcc_lo, s0, v12, vcc_lo
	s_waitcnt lgkmcnt(0)
	global_store_b32 v[11:12], v13, off
                                        ; implicit-def: $vgpr11
.LBB542_291:
	s_and_not1_saveexec_b32 s5, s5
	s_cbranch_execz .LBB542_293
; %bb.292:
	v_lshlrev_b32_e32 v12, 2, v0
	v_lshlrev_b32_e32 v11, 2, v11
	v_readfirstlane_b32 s6, v5
	v_readfirstlane_b32 s7, v6
	ds_load_b32 v12, v12 offset:6144
	s_waitcnt lgkmcnt(0)
	global_store_b32 v11, v12, s[6:7]
.LBB542_293:
	s_or_b32 exec_lo, exec_lo, s5
                                        ; implicit-def: $vgpr11
.LBB542_294:
	s_and_not1_saveexec_b32 s4, s4
	s_cbranch_execz .LBB542_296
; %bb.295:
	v_lshlrev_b32_e32 v12, 2, v0
	v_lshlrev_b32_e32 v11, 2, v11
	v_readfirstlane_b32 s4, v7
	v_readfirstlane_b32 s5, v8
	ds_load_b32 v12, v12 offset:6144
	s_waitcnt lgkmcnt(0)
	global_store_b32 v11, v12, s[4:5]
.LBB542_296:
	;; [unrolled: 55-line block ×7, first 2 shown]
	s_or_b32 exec_lo, exec_lo, s2
	v_or_b32_e32 v11, 0xc00, v0
	s_mov_b32 s2, exec_lo
	s_delay_alu instid0(VALU_DEP_1)
	v_cmpx_gt_u32_e64 s3, v11
	s_cbranch_execz .LBB542_350
; %bb.342:
	s_mov_b32 s3, exec_lo
	v_cmpx_le_u32_e64 v1, v11
	s_xor_b32 s3, exec_lo, s3
	s_cbranch_execz .LBB542_348
; %bb.343:
	s_mov_b32 s4, exec_lo
	v_cmpx_le_u32_e64 v10, v11
	s_xor_b32 s4, exec_lo, s4
	s_cbranch_execz .LBB542_345
; %bb.344:
	v_lshlrev_b32_e32 v5, 2, v0
	ds_load_b32 v7, v5 offset:12288
	v_add_co_u32 v5, vcc_lo, v3, v11
	v_add_co_ci_u32_e32 v6, vcc_lo, 0, v9, vcc_lo
                                        ; implicit-def: $vgpr11
	s_delay_alu instid0(VALU_DEP_1) | instskip(NEXT) | instid1(VALU_DEP_1)
	v_lshlrev_b64 v[5:6], 2, v[5:6]
	v_sub_co_u32 v5, vcc_lo, s1, v5
	s_delay_alu instid0(VALU_DEP_2)
	v_sub_co_ci_u32_e32 v6, vcc_lo, s0, v6, vcc_lo
	s_waitcnt lgkmcnt(0)
	global_store_b32 v[5:6], v7, off
                                        ; implicit-def: $vgpr5_vgpr6
.LBB542_345:
	s_and_not1_saveexec_b32 s0, s4
	s_cbranch_execz .LBB542_347
; %bb.346:
	v_lshlrev_b32_e32 v3, 2, v0
	v_lshlrev_b32_e32 v7, 2, v11
	v_readfirstlane_b32 s4, v5
	v_readfirstlane_b32 s5, v6
	ds_load_b32 v3, v3 offset:12288
	s_waitcnt lgkmcnt(0)
	global_store_b32 v7, v3, s[4:5]
.LBB542_347:
	s_or_b32 exec_lo, exec_lo, s0
                                        ; implicit-def: $vgpr11
                                        ; implicit-def: $vgpr7_vgpr8
.LBB542_348:
	s_and_not1_saveexec_b32 s0, s3
	s_cbranch_execz .LBB542_350
; %bb.349:
	v_lshlrev_b32_e32 v3, 2, v0
	v_lshlrev_b32_e32 v5, 2, v11
	v_readfirstlane_b32 s0, v7
	v_readfirstlane_b32 s1, v8
	ds_load_b32 v3, v3 offset:12288
	s_waitcnt lgkmcnt(0)
	global_store_b32 v5, v3, s[0:1]
.LBB542_350:
	s_or_b32 exec_lo, exec_lo, s2
	v_cmp_eq_u32_e32 vcc_lo, 0, v0
	s_and_b32 s0, vcc_lo, s14
	s_delay_alu instid0(SALU_CYCLE_1)
	s_and_saveexec_b32 s1, s0
	s_cbranch_execz .LBB542_127
.LBB542_351:
	v_add_co_u32 v2, s0, s30, v2
	s_delay_alu instid0(VALU_DEP_1) | instskip(SKIP_2) | instid1(VALU_DEP_4)
	v_add_co_ci_u32_e64 v3, null, s31, 0, s0
	v_add_co_u32 v0, vcc_lo, v18, v1
	v_add_co_ci_u32_e32 v1, vcc_lo, 0, v19, vcc_lo
	v_add_co_u32 v2, vcc_lo, v2, v4
	v_mov_b32_e32 v5, 0
	v_add_co_ci_u32_e32 v3, vcc_lo, 0, v3, vcc_lo
	global_store_b128 v5, v[0:3], s[24:25]
	s_nop 0
	s_sendmsg sendmsg(MSG_DEALLOC_VGPRS)
	s_endpgm
.LBB542_352:
	v_add_nc_u32_e32 v3, s7, v23
	s_add_i32 s10, s15, 32
	s_mov_b32 s11, 0
	v_dual_mov_b32 v5, 0 :: v_dual_add_nc_u32 v2, v22, v1
	s_lshl_b64 s[10:11], s[10:11], 4
	v_and_b32_e32 v20, 0xff0000, v3
	s_add_u32 s10, s4, s10
	s_addc_u32 s11, s5, s11
	v_and_b32_e32 v4, 0xff000000, v3
	s_delay_alu instid0(VALU_DEP_1) | instskip(SKIP_2) | instid1(VALU_DEP_1)
	v_or_b32_e32 v20, v20, v4
	v_dual_mov_b32 v4, 2 :: v_dual_and_b32 v21, 0xff00, v3
	v_and_b32_e32 v3, 0xff, v3
	v_or3_b32 v3, v20, v21, v3
	v_dual_mov_b32 v21, s11 :: v_dual_mov_b32 v20, s10
	;;#ASMSTART
	global_store_dwordx4 v[20:21], v[2:5] off	
s_waitcnt vmcnt(0)
	;;#ASMEND
	s_or_b32 exec_lo, exec_lo, s8
	s_and_saveexec_b32 s8, s2
	s_cbranch_execz .LBB542_111
.LBB542_353:
	v_mov_b32_e32 v2, s7
	v_add_nc_u32_e64 v3, 0x3400, 0
	ds_store_2addr_b32 v3, v1, v2 offset1:2
	ds_store_2addr_b32 v3, v22, v23 offset0:4 offset1:6
	s_or_b32 exec_lo, exec_lo, s8
	v_cmp_eq_u32_e32 vcc_lo, 0, v0
	s_and_b32 exec_lo, exec_lo, vcc_lo
	s_cbranch_execnz .LBB542_112
	s_branch .LBB542_113
	.section	.rodata,"a",@progbits
	.p2align	6, 0x0
	.amdhsa_kernel _ZN7rocprim17ROCPRIM_400000_NS6detail17trampoline_kernelINS0_13select_configILj256ELj13ELNS0_17block_load_methodE3ELS4_3ELS4_3ELNS0_20block_scan_algorithmE0ELj4294967295EEENS1_25partition_config_selectorILNS1_17partition_subalgoE4EjNS0_10empty_typeEbEEZZNS1_14partition_implILS8_4ELb0ES6_15HIP_vector_typeIjLj2EENS0_17counting_iteratorIjlEEPS9_SG_NS0_5tupleIJPjSI_NS0_16reverse_iteratorISI_EEEEENSH_IJSG_SG_SG_EEES9_SI_JZNS1_25segmented_radix_sort_implINS0_14default_configELb0EPKiPiPKlPlN2at6native12_GLOBAL__N_18offset_tEEE10hipError_tPvRmT1_PNSt15iterator_traitsIS12_E10value_typeET2_T3_PNS13_IS18_E10value_typeET4_jRbjT5_S1E_jjP12ihipStream_tbEUljE_ZNSN_ISO_Lb0ESQ_SR_ST_SU_SY_EESZ_S10_S11_S12_S16_S17_S18_S1B_S1C_jS1D_jS1E_S1E_jjS1G_bEUljE0_EEESZ_S10_S11_S18_S1C_S1E_T6_T7_T9_mT8_S1G_bDpT10_ENKUlT_T0_E_clISt17integral_constantIbLb0EES1U_EEDaS1P_S1Q_EUlS1P_E_NS1_11comp_targetILNS1_3genE9ELNS1_11target_archE1100ELNS1_3gpuE3ELNS1_3repE0EEENS1_30default_config_static_selectorELNS0_4arch9wavefront6targetE0EEEvS12_
		.amdhsa_group_segment_fixed_size 13340
		.amdhsa_private_segment_fixed_size 0
		.amdhsa_kernarg_size 176
		.amdhsa_user_sgpr_count 15
		.amdhsa_user_sgpr_dispatch_ptr 0
		.amdhsa_user_sgpr_queue_ptr 0
		.amdhsa_user_sgpr_kernarg_segment_ptr 1
		.amdhsa_user_sgpr_dispatch_id 0
		.amdhsa_user_sgpr_private_segment_size 0
		.amdhsa_wavefront_size32 1
		.amdhsa_uses_dynamic_stack 0
		.amdhsa_enable_private_segment 0
		.amdhsa_system_sgpr_workgroup_id_x 1
		.amdhsa_system_sgpr_workgroup_id_y 0
		.amdhsa_system_sgpr_workgroup_id_z 0
		.amdhsa_system_sgpr_workgroup_info 0
		.amdhsa_system_vgpr_workitem_id 0
		.amdhsa_next_free_vgpr 98
		.amdhsa_next_free_sgpr 59
		.amdhsa_reserve_vcc 1
		.amdhsa_float_round_mode_32 0
		.amdhsa_float_round_mode_16_64 0
		.amdhsa_float_denorm_mode_32 3
		.amdhsa_float_denorm_mode_16_64 3
		.amdhsa_dx10_clamp 1
		.amdhsa_ieee_mode 1
		.amdhsa_fp16_overflow 0
		.amdhsa_workgroup_processor_mode 1
		.amdhsa_memory_ordered 1
		.amdhsa_forward_progress 0
		.amdhsa_shared_vgpr_count 0
		.amdhsa_exception_fp_ieee_invalid_op 0
		.amdhsa_exception_fp_denorm_src 0
		.amdhsa_exception_fp_ieee_div_zero 0
		.amdhsa_exception_fp_ieee_overflow 0
		.amdhsa_exception_fp_ieee_underflow 0
		.amdhsa_exception_fp_ieee_inexact 0
		.amdhsa_exception_int_div_zero 0
	.end_amdhsa_kernel
	.section	.text._ZN7rocprim17ROCPRIM_400000_NS6detail17trampoline_kernelINS0_13select_configILj256ELj13ELNS0_17block_load_methodE3ELS4_3ELS4_3ELNS0_20block_scan_algorithmE0ELj4294967295EEENS1_25partition_config_selectorILNS1_17partition_subalgoE4EjNS0_10empty_typeEbEEZZNS1_14partition_implILS8_4ELb0ES6_15HIP_vector_typeIjLj2EENS0_17counting_iteratorIjlEEPS9_SG_NS0_5tupleIJPjSI_NS0_16reverse_iteratorISI_EEEEENSH_IJSG_SG_SG_EEES9_SI_JZNS1_25segmented_radix_sort_implINS0_14default_configELb0EPKiPiPKlPlN2at6native12_GLOBAL__N_18offset_tEEE10hipError_tPvRmT1_PNSt15iterator_traitsIS12_E10value_typeET2_T3_PNS13_IS18_E10value_typeET4_jRbjT5_S1E_jjP12ihipStream_tbEUljE_ZNSN_ISO_Lb0ESQ_SR_ST_SU_SY_EESZ_S10_S11_S12_S16_S17_S18_S1B_S1C_jS1D_jS1E_S1E_jjS1G_bEUljE0_EEESZ_S10_S11_S18_S1C_S1E_T6_T7_T9_mT8_S1G_bDpT10_ENKUlT_T0_E_clISt17integral_constantIbLb0EES1U_EEDaS1P_S1Q_EUlS1P_E_NS1_11comp_targetILNS1_3genE9ELNS1_11target_archE1100ELNS1_3gpuE3ELNS1_3repE0EEENS1_30default_config_static_selectorELNS0_4arch9wavefront6targetE0EEEvS12_,"axG",@progbits,_ZN7rocprim17ROCPRIM_400000_NS6detail17trampoline_kernelINS0_13select_configILj256ELj13ELNS0_17block_load_methodE3ELS4_3ELS4_3ELNS0_20block_scan_algorithmE0ELj4294967295EEENS1_25partition_config_selectorILNS1_17partition_subalgoE4EjNS0_10empty_typeEbEEZZNS1_14partition_implILS8_4ELb0ES6_15HIP_vector_typeIjLj2EENS0_17counting_iteratorIjlEEPS9_SG_NS0_5tupleIJPjSI_NS0_16reverse_iteratorISI_EEEEENSH_IJSG_SG_SG_EEES9_SI_JZNS1_25segmented_radix_sort_implINS0_14default_configELb0EPKiPiPKlPlN2at6native12_GLOBAL__N_18offset_tEEE10hipError_tPvRmT1_PNSt15iterator_traitsIS12_E10value_typeET2_T3_PNS13_IS18_E10value_typeET4_jRbjT5_S1E_jjP12ihipStream_tbEUljE_ZNSN_ISO_Lb0ESQ_SR_ST_SU_SY_EESZ_S10_S11_S12_S16_S17_S18_S1B_S1C_jS1D_jS1E_S1E_jjS1G_bEUljE0_EEESZ_S10_S11_S18_S1C_S1E_T6_T7_T9_mT8_S1G_bDpT10_ENKUlT_T0_E_clISt17integral_constantIbLb0EES1U_EEDaS1P_S1Q_EUlS1P_E_NS1_11comp_targetILNS1_3genE9ELNS1_11target_archE1100ELNS1_3gpuE3ELNS1_3repE0EEENS1_30default_config_static_selectorELNS0_4arch9wavefront6targetE0EEEvS12_,comdat
.Lfunc_end542:
	.size	_ZN7rocprim17ROCPRIM_400000_NS6detail17trampoline_kernelINS0_13select_configILj256ELj13ELNS0_17block_load_methodE3ELS4_3ELS4_3ELNS0_20block_scan_algorithmE0ELj4294967295EEENS1_25partition_config_selectorILNS1_17partition_subalgoE4EjNS0_10empty_typeEbEEZZNS1_14partition_implILS8_4ELb0ES6_15HIP_vector_typeIjLj2EENS0_17counting_iteratorIjlEEPS9_SG_NS0_5tupleIJPjSI_NS0_16reverse_iteratorISI_EEEEENSH_IJSG_SG_SG_EEES9_SI_JZNS1_25segmented_radix_sort_implINS0_14default_configELb0EPKiPiPKlPlN2at6native12_GLOBAL__N_18offset_tEEE10hipError_tPvRmT1_PNSt15iterator_traitsIS12_E10value_typeET2_T3_PNS13_IS18_E10value_typeET4_jRbjT5_S1E_jjP12ihipStream_tbEUljE_ZNSN_ISO_Lb0ESQ_SR_ST_SU_SY_EESZ_S10_S11_S12_S16_S17_S18_S1B_S1C_jS1D_jS1E_S1E_jjS1G_bEUljE0_EEESZ_S10_S11_S18_S1C_S1E_T6_T7_T9_mT8_S1G_bDpT10_ENKUlT_T0_E_clISt17integral_constantIbLb0EES1U_EEDaS1P_S1Q_EUlS1P_E_NS1_11comp_targetILNS1_3genE9ELNS1_11target_archE1100ELNS1_3gpuE3ELNS1_3repE0EEENS1_30default_config_static_selectorELNS0_4arch9wavefront6targetE0EEEvS12_, .Lfunc_end542-_ZN7rocprim17ROCPRIM_400000_NS6detail17trampoline_kernelINS0_13select_configILj256ELj13ELNS0_17block_load_methodE3ELS4_3ELS4_3ELNS0_20block_scan_algorithmE0ELj4294967295EEENS1_25partition_config_selectorILNS1_17partition_subalgoE4EjNS0_10empty_typeEbEEZZNS1_14partition_implILS8_4ELb0ES6_15HIP_vector_typeIjLj2EENS0_17counting_iteratorIjlEEPS9_SG_NS0_5tupleIJPjSI_NS0_16reverse_iteratorISI_EEEEENSH_IJSG_SG_SG_EEES9_SI_JZNS1_25segmented_radix_sort_implINS0_14default_configELb0EPKiPiPKlPlN2at6native12_GLOBAL__N_18offset_tEEE10hipError_tPvRmT1_PNSt15iterator_traitsIS12_E10value_typeET2_T3_PNS13_IS18_E10value_typeET4_jRbjT5_S1E_jjP12ihipStream_tbEUljE_ZNSN_ISO_Lb0ESQ_SR_ST_SU_SY_EESZ_S10_S11_S12_S16_S17_S18_S1B_S1C_jS1D_jS1E_S1E_jjS1G_bEUljE0_EEESZ_S10_S11_S18_S1C_S1E_T6_T7_T9_mT8_S1G_bDpT10_ENKUlT_T0_E_clISt17integral_constantIbLb0EES1U_EEDaS1P_S1Q_EUlS1P_E_NS1_11comp_targetILNS1_3genE9ELNS1_11target_archE1100ELNS1_3gpuE3ELNS1_3repE0EEENS1_30default_config_static_selectorELNS0_4arch9wavefront6targetE0EEEvS12_
                                        ; -- End function
	.section	.AMDGPU.csdata,"",@progbits
; Kernel info:
; codeLenInByte = 14984
; NumSgprs: 61
; NumVgprs: 98
; ScratchSize: 0
; MemoryBound: 0
; FloatMode: 240
; IeeeMode: 1
; LDSByteSize: 13340 bytes/workgroup (compile time only)
; SGPRBlocks: 7
; VGPRBlocks: 12
; NumSGPRsForWavesPerEU: 61
; NumVGPRsForWavesPerEU: 98
; Occupancy: 12
; WaveLimiterHint : 1
; COMPUTE_PGM_RSRC2:SCRATCH_EN: 0
; COMPUTE_PGM_RSRC2:USER_SGPR: 15
; COMPUTE_PGM_RSRC2:TRAP_HANDLER: 0
; COMPUTE_PGM_RSRC2:TGID_X_EN: 1
; COMPUTE_PGM_RSRC2:TGID_Y_EN: 0
; COMPUTE_PGM_RSRC2:TGID_Z_EN: 0
; COMPUTE_PGM_RSRC2:TIDIG_COMP_CNT: 0
	.section	.text._ZN7rocprim17ROCPRIM_400000_NS6detail17trampoline_kernelINS0_13select_configILj256ELj13ELNS0_17block_load_methodE3ELS4_3ELS4_3ELNS0_20block_scan_algorithmE0ELj4294967295EEENS1_25partition_config_selectorILNS1_17partition_subalgoE4EjNS0_10empty_typeEbEEZZNS1_14partition_implILS8_4ELb0ES6_15HIP_vector_typeIjLj2EENS0_17counting_iteratorIjlEEPS9_SG_NS0_5tupleIJPjSI_NS0_16reverse_iteratorISI_EEEEENSH_IJSG_SG_SG_EEES9_SI_JZNS1_25segmented_radix_sort_implINS0_14default_configELb0EPKiPiPKlPlN2at6native12_GLOBAL__N_18offset_tEEE10hipError_tPvRmT1_PNSt15iterator_traitsIS12_E10value_typeET2_T3_PNS13_IS18_E10value_typeET4_jRbjT5_S1E_jjP12ihipStream_tbEUljE_ZNSN_ISO_Lb0ESQ_SR_ST_SU_SY_EESZ_S10_S11_S12_S16_S17_S18_S1B_S1C_jS1D_jS1E_S1E_jjS1G_bEUljE0_EEESZ_S10_S11_S18_S1C_S1E_T6_T7_T9_mT8_S1G_bDpT10_ENKUlT_T0_E_clISt17integral_constantIbLb0EES1U_EEDaS1P_S1Q_EUlS1P_E_NS1_11comp_targetILNS1_3genE8ELNS1_11target_archE1030ELNS1_3gpuE2ELNS1_3repE0EEENS1_30default_config_static_selectorELNS0_4arch9wavefront6targetE0EEEvS12_,"axG",@progbits,_ZN7rocprim17ROCPRIM_400000_NS6detail17trampoline_kernelINS0_13select_configILj256ELj13ELNS0_17block_load_methodE3ELS4_3ELS4_3ELNS0_20block_scan_algorithmE0ELj4294967295EEENS1_25partition_config_selectorILNS1_17partition_subalgoE4EjNS0_10empty_typeEbEEZZNS1_14partition_implILS8_4ELb0ES6_15HIP_vector_typeIjLj2EENS0_17counting_iteratorIjlEEPS9_SG_NS0_5tupleIJPjSI_NS0_16reverse_iteratorISI_EEEEENSH_IJSG_SG_SG_EEES9_SI_JZNS1_25segmented_radix_sort_implINS0_14default_configELb0EPKiPiPKlPlN2at6native12_GLOBAL__N_18offset_tEEE10hipError_tPvRmT1_PNSt15iterator_traitsIS12_E10value_typeET2_T3_PNS13_IS18_E10value_typeET4_jRbjT5_S1E_jjP12ihipStream_tbEUljE_ZNSN_ISO_Lb0ESQ_SR_ST_SU_SY_EESZ_S10_S11_S12_S16_S17_S18_S1B_S1C_jS1D_jS1E_S1E_jjS1G_bEUljE0_EEESZ_S10_S11_S18_S1C_S1E_T6_T7_T9_mT8_S1G_bDpT10_ENKUlT_T0_E_clISt17integral_constantIbLb0EES1U_EEDaS1P_S1Q_EUlS1P_E_NS1_11comp_targetILNS1_3genE8ELNS1_11target_archE1030ELNS1_3gpuE2ELNS1_3repE0EEENS1_30default_config_static_selectorELNS0_4arch9wavefront6targetE0EEEvS12_,comdat
	.globl	_ZN7rocprim17ROCPRIM_400000_NS6detail17trampoline_kernelINS0_13select_configILj256ELj13ELNS0_17block_load_methodE3ELS4_3ELS4_3ELNS0_20block_scan_algorithmE0ELj4294967295EEENS1_25partition_config_selectorILNS1_17partition_subalgoE4EjNS0_10empty_typeEbEEZZNS1_14partition_implILS8_4ELb0ES6_15HIP_vector_typeIjLj2EENS0_17counting_iteratorIjlEEPS9_SG_NS0_5tupleIJPjSI_NS0_16reverse_iteratorISI_EEEEENSH_IJSG_SG_SG_EEES9_SI_JZNS1_25segmented_radix_sort_implINS0_14default_configELb0EPKiPiPKlPlN2at6native12_GLOBAL__N_18offset_tEEE10hipError_tPvRmT1_PNSt15iterator_traitsIS12_E10value_typeET2_T3_PNS13_IS18_E10value_typeET4_jRbjT5_S1E_jjP12ihipStream_tbEUljE_ZNSN_ISO_Lb0ESQ_SR_ST_SU_SY_EESZ_S10_S11_S12_S16_S17_S18_S1B_S1C_jS1D_jS1E_S1E_jjS1G_bEUljE0_EEESZ_S10_S11_S18_S1C_S1E_T6_T7_T9_mT8_S1G_bDpT10_ENKUlT_T0_E_clISt17integral_constantIbLb0EES1U_EEDaS1P_S1Q_EUlS1P_E_NS1_11comp_targetILNS1_3genE8ELNS1_11target_archE1030ELNS1_3gpuE2ELNS1_3repE0EEENS1_30default_config_static_selectorELNS0_4arch9wavefront6targetE0EEEvS12_ ; -- Begin function _ZN7rocprim17ROCPRIM_400000_NS6detail17trampoline_kernelINS0_13select_configILj256ELj13ELNS0_17block_load_methodE3ELS4_3ELS4_3ELNS0_20block_scan_algorithmE0ELj4294967295EEENS1_25partition_config_selectorILNS1_17partition_subalgoE4EjNS0_10empty_typeEbEEZZNS1_14partition_implILS8_4ELb0ES6_15HIP_vector_typeIjLj2EENS0_17counting_iteratorIjlEEPS9_SG_NS0_5tupleIJPjSI_NS0_16reverse_iteratorISI_EEEEENSH_IJSG_SG_SG_EEES9_SI_JZNS1_25segmented_radix_sort_implINS0_14default_configELb0EPKiPiPKlPlN2at6native12_GLOBAL__N_18offset_tEEE10hipError_tPvRmT1_PNSt15iterator_traitsIS12_E10value_typeET2_T3_PNS13_IS18_E10value_typeET4_jRbjT5_S1E_jjP12ihipStream_tbEUljE_ZNSN_ISO_Lb0ESQ_SR_ST_SU_SY_EESZ_S10_S11_S12_S16_S17_S18_S1B_S1C_jS1D_jS1E_S1E_jjS1G_bEUljE0_EEESZ_S10_S11_S18_S1C_S1E_T6_T7_T9_mT8_S1G_bDpT10_ENKUlT_T0_E_clISt17integral_constantIbLb0EES1U_EEDaS1P_S1Q_EUlS1P_E_NS1_11comp_targetILNS1_3genE8ELNS1_11target_archE1030ELNS1_3gpuE2ELNS1_3repE0EEENS1_30default_config_static_selectorELNS0_4arch9wavefront6targetE0EEEvS12_
	.p2align	8
	.type	_ZN7rocprim17ROCPRIM_400000_NS6detail17trampoline_kernelINS0_13select_configILj256ELj13ELNS0_17block_load_methodE3ELS4_3ELS4_3ELNS0_20block_scan_algorithmE0ELj4294967295EEENS1_25partition_config_selectorILNS1_17partition_subalgoE4EjNS0_10empty_typeEbEEZZNS1_14partition_implILS8_4ELb0ES6_15HIP_vector_typeIjLj2EENS0_17counting_iteratorIjlEEPS9_SG_NS0_5tupleIJPjSI_NS0_16reverse_iteratorISI_EEEEENSH_IJSG_SG_SG_EEES9_SI_JZNS1_25segmented_radix_sort_implINS0_14default_configELb0EPKiPiPKlPlN2at6native12_GLOBAL__N_18offset_tEEE10hipError_tPvRmT1_PNSt15iterator_traitsIS12_E10value_typeET2_T3_PNS13_IS18_E10value_typeET4_jRbjT5_S1E_jjP12ihipStream_tbEUljE_ZNSN_ISO_Lb0ESQ_SR_ST_SU_SY_EESZ_S10_S11_S12_S16_S17_S18_S1B_S1C_jS1D_jS1E_S1E_jjS1G_bEUljE0_EEESZ_S10_S11_S18_S1C_S1E_T6_T7_T9_mT8_S1G_bDpT10_ENKUlT_T0_E_clISt17integral_constantIbLb0EES1U_EEDaS1P_S1Q_EUlS1P_E_NS1_11comp_targetILNS1_3genE8ELNS1_11target_archE1030ELNS1_3gpuE2ELNS1_3repE0EEENS1_30default_config_static_selectorELNS0_4arch9wavefront6targetE0EEEvS12_,@function
_ZN7rocprim17ROCPRIM_400000_NS6detail17trampoline_kernelINS0_13select_configILj256ELj13ELNS0_17block_load_methodE3ELS4_3ELS4_3ELNS0_20block_scan_algorithmE0ELj4294967295EEENS1_25partition_config_selectorILNS1_17partition_subalgoE4EjNS0_10empty_typeEbEEZZNS1_14partition_implILS8_4ELb0ES6_15HIP_vector_typeIjLj2EENS0_17counting_iteratorIjlEEPS9_SG_NS0_5tupleIJPjSI_NS0_16reverse_iteratorISI_EEEEENSH_IJSG_SG_SG_EEES9_SI_JZNS1_25segmented_radix_sort_implINS0_14default_configELb0EPKiPiPKlPlN2at6native12_GLOBAL__N_18offset_tEEE10hipError_tPvRmT1_PNSt15iterator_traitsIS12_E10value_typeET2_T3_PNS13_IS18_E10value_typeET4_jRbjT5_S1E_jjP12ihipStream_tbEUljE_ZNSN_ISO_Lb0ESQ_SR_ST_SU_SY_EESZ_S10_S11_S12_S16_S17_S18_S1B_S1C_jS1D_jS1E_S1E_jjS1G_bEUljE0_EEESZ_S10_S11_S18_S1C_S1E_T6_T7_T9_mT8_S1G_bDpT10_ENKUlT_T0_E_clISt17integral_constantIbLb0EES1U_EEDaS1P_S1Q_EUlS1P_E_NS1_11comp_targetILNS1_3genE8ELNS1_11target_archE1030ELNS1_3gpuE2ELNS1_3repE0EEENS1_30default_config_static_selectorELNS0_4arch9wavefront6targetE0EEEvS12_: ; @_ZN7rocprim17ROCPRIM_400000_NS6detail17trampoline_kernelINS0_13select_configILj256ELj13ELNS0_17block_load_methodE3ELS4_3ELS4_3ELNS0_20block_scan_algorithmE0ELj4294967295EEENS1_25partition_config_selectorILNS1_17partition_subalgoE4EjNS0_10empty_typeEbEEZZNS1_14partition_implILS8_4ELb0ES6_15HIP_vector_typeIjLj2EENS0_17counting_iteratorIjlEEPS9_SG_NS0_5tupleIJPjSI_NS0_16reverse_iteratorISI_EEEEENSH_IJSG_SG_SG_EEES9_SI_JZNS1_25segmented_radix_sort_implINS0_14default_configELb0EPKiPiPKlPlN2at6native12_GLOBAL__N_18offset_tEEE10hipError_tPvRmT1_PNSt15iterator_traitsIS12_E10value_typeET2_T3_PNS13_IS18_E10value_typeET4_jRbjT5_S1E_jjP12ihipStream_tbEUljE_ZNSN_ISO_Lb0ESQ_SR_ST_SU_SY_EESZ_S10_S11_S12_S16_S17_S18_S1B_S1C_jS1D_jS1E_S1E_jjS1G_bEUljE0_EEESZ_S10_S11_S18_S1C_S1E_T6_T7_T9_mT8_S1G_bDpT10_ENKUlT_T0_E_clISt17integral_constantIbLb0EES1U_EEDaS1P_S1Q_EUlS1P_E_NS1_11comp_targetILNS1_3genE8ELNS1_11target_archE1030ELNS1_3gpuE2ELNS1_3repE0EEENS1_30default_config_static_selectorELNS0_4arch9wavefront6targetE0EEEvS12_
; %bb.0:
	.section	.rodata,"a",@progbits
	.p2align	6, 0x0
	.amdhsa_kernel _ZN7rocprim17ROCPRIM_400000_NS6detail17trampoline_kernelINS0_13select_configILj256ELj13ELNS0_17block_load_methodE3ELS4_3ELS4_3ELNS0_20block_scan_algorithmE0ELj4294967295EEENS1_25partition_config_selectorILNS1_17partition_subalgoE4EjNS0_10empty_typeEbEEZZNS1_14partition_implILS8_4ELb0ES6_15HIP_vector_typeIjLj2EENS0_17counting_iteratorIjlEEPS9_SG_NS0_5tupleIJPjSI_NS0_16reverse_iteratorISI_EEEEENSH_IJSG_SG_SG_EEES9_SI_JZNS1_25segmented_radix_sort_implINS0_14default_configELb0EPKiPiPKlPlN2at6native12_GLOBAL__N_18offset_tEEE10hipError_tPvRmT1_PNSt15iterator_traitsIS12_E10value_typeET2_T3_PNS13_IS18_E10value_typeET4_jRbjT5_S1E_jjP12ihipStream_tbEUljE_ZNSN_ISO_Lb0ESQ_SR_ST_SU_SY_EESZ_S10_S11_S12_S16_S17_S18_S1B_S1C_jS1D_jS1E_S1E_jjS1G_bEUljE0_EEESZ_S10_S11_S18_S1C_S1E_T6_T7_T9_mT8_S1G_bDpT10_ENKUlT_T0_E_clISt17integral_constantIbLb0EES1U_EEDaS1P_S1Q_EUlS1P_E_NS1_11comp_targetILNS1_3genE8ELNS1_11target_archE1030ELNS1_3gpuE2ELNS1_3repE0EEENS1_30default_config_static_selectorELNS0_4arch9wavefront6targetE0EEEvS12_
		.amdhsa_group_segment_fixed_size 0
		.amdhsa_private_segment_fixed_size 0
		.amdhsa_kernarg_size 176
		.amdhsa_user_sgpr_count 15
		.amdhsa_user_sgpr_dispatch_ptr 0
		.amdhsa_user_sgpr_queue_ptr 0
		.amdhsa_user_sgpr_kernarg_segment_ptr 1
		.amdhsa_user_sgpr_dispatch_id 0
		.amdhsa_user_sgpr_private_segment_size 0
		.amdhsa_wavefront_size32 1
		.amdhsa_uses_dynamic_stack 0
		.amdhsa_enable_private_segment 0
		.amdhsa_system_sgpr_workgroup_id_x 1
		.amdhsa_system_sgpr_workgroup_id_y 0
		.amdhsa_system_sgpr_workgroup_id_z 0
		.amdhsa_system_sgpr_workgroup_info 0
		.amdhsa_system_vgpr_workitem_id 0
		.amdhsa_next_free_vgpr 1
		.amdhsa_next_free_sgpr 1
		.amdhsa_reserve_vcc 0
		.amdhsa_float_round_mode_32 0
		.amdhsa_float_round_mode_16_64 0
		.amdhsa_float_denorm_mode_32 3
		.amdhsa_float_denorm_mode_16_64 3
		.amdhsa_dx10_clamp 1
		.amdhsa_ieee_mode 1
		.amdhsa_fp16_overflow 0
		.amdhsa_workgroup_processor_mode 1
		.amdhsa_memory_ordered 1
		.amdhsa_forward_progress 0
		.amdhsa_shared_vgpr_count 0
		.amdhsa_exception_fp_ieee_invalid_op 0
		.amdhsa_exception_fp_denorm_src 0
		.amdhsa_exception_fp_ieee_div_zero 0
		.amdhsa_exception_fp_ieee_overflow 0
		.amdhsa_exception_fp_ieee_underflow 0
		.amdhsa_exception_fp_ieee_inexact 0
		.amdhsa_exception_int_div_zero 0
	.end_amdhsa_kernel
	.section	.text._ZN7rocprim17ROCPRIM_400000_NS6detail17trampoline_kernelINS0_13select_configILj256ELj13ELNS0_17block_load_methodE3ELS4_3ELS4_3ELNS0_20block_scan_algorithmE0ELj4294967295EEENS1_25partition_config_selectorILNS1_17partition_subalgoE4EjNS0_10empty_typeEbEEZZNS1_14partition_implILS8_4ELb0ES6_15HIP_vector_typeIjLj2EENS0_17counting_iteratorIjlEEPS9_SG_NS0_5tupleIJPjSI_NS0_16reverse_iteratorISI_EEEEENSH_IJSG_SG_SG_EEES9_SI_JZNS1_25segmented_radix_sort_implINS0_14default_configELb0EPKiPiPKlPlN2at6native12_GLOBAL__N_18offset_tEEE10hipError_tPvRmT1_PNSt15iterator_traitsIS12_E10value_typeET2_T3_PNS13_IS18_E10value_typeET4_jRbjT5_S1E_jjP12ihipStream_tbEUljE_ZNSN_ISO_Lb0ESQ_SR_ST_SU_SY_EESZ_S10_S11_S12_S16_S17_S18_S1B_S1C_jS1D_jS1E_S1E_jjS1G_bEUljE0_EEESZ_S10_S11_S18_S1C_S1E_T6_T7_T9_mT8_S1G_bDpT10_ENKUlT_T0_E_clISt17integral_constantIbLb0EES1U_EEDaS1P_S1Q_EUlS1P_E_NS1_11comp_targetILNS1_3genE8ELNS1_11target_archE1030ELNS1_3gpuE2ELNS1_3repE0EEENS1_30default_config_static_selectorELNS0_4arch9wavefront6targetE0EEEvS12_,"axG",@progbits,_ZN7rocprim17ROCPRIM_400000_NS6detail17trampoline_kernelINS0_13select_configILj256ELj13ELNS0_17block_load_methodE3ELS4_3ELS4_3ELNS0_20block_scan_algorithmE0ELj4294967295EEENS1_25partition_config_selectorILNS1_17partition_subalgoE4EjNS0_10empty_typeEbEEZZNS1_14partition_implILS8_4ELb0ES6_15HIP_vector_typeIjLj2EENS0_17counting_iteratorIjlEEPS9_SG_NS0_5tupleIJPjSI_NS0_16reverse_iteratorISI_EEEEENSH_IJSG_SG_SG_EEES9_SI_JZNS1_25segmented_radix_sort_implINS0_14default_configELb0EPKiPiPKlPlN2at6native12_GLOBAL__N_18offset_tEEE10hipError_tPvRmT1_PNSt15iterator_traitsIS12_E10value_typeET2_T3_PNS13_IS18_E10value_typeET4_jRbjT5_S1E_jjP12ihipStream_tbEUljE_ZNSN_ISO_Lb0ESQ_SR_ST_SU_SY_EESZ_S10_S11_S12_S16_S17_S18_S1B_S1C_jS1D_jS1E_S1E_jjS1G_bEUljE0_EEESZ_S10_S11_S18_S1C_S1E_T6_T7_T9_mT8_S1G_bDpT10_ENKUlT_T0_E_clISt17integral_constantIbLb0EES1U_EEDaS1P_S1Q_EUlS1P_E_NS1_11comp_targetILNS1_3genE8ELNS1_11target_archE1030ELNS1_3gpuE2ELNS1_3repE0EEENS1_30default_config_static_selectorELNS0_4arch9wavefront6targetE0EEEvS12_,comdat
.Lfunc_end543:
	.size	_ZN7rocprim17ROCPRIM_400000_NS6detail17trampoline_kernelINS0_13select_configILj256ELj13ELNS0_17block_load_methodE3ELS4_3ELS4_3ELNS0_20block_scan_algorithmE0ELj4294967295EEENS1_25partition_config_selectorILNS1_17partition_subalgoE4EjNS0_10empty_typeEbEEZZNS1_14partition_implILS8_4ELb0ES6_15HIP_vector_typeIjLj2EENS0_17counting_iteratorIjlEEPS9_SG_NS0_5tupleIJPjSI_NS0_16reverse_iteratorISI_EEEEENSH_IJSG_SG_SG_EEES9_SI_JZNS1_25segmented_radix_sort_implINS0_14default_configELb0EPKiPiPKlPlN2at6native12_GLOBAL__N_18offset_tEEE10hipError_tPvRmT1_PNSt15iterator_traitsIS12_E10value_typeET2_T3_PNS13_IS18_E10value_typeET4_jRbjT5_S1E_jjP12ihipStream_tbEUljE_ZNSN_ISO_Lb0ESQ_SR_ST_SU_SY_EESZ_S10_S11_S12_S16_S17_S18_S1B_S1C_jS1D_jS1E_S1E_jjS1G_bEUljE0_EEESZ_S10_S11_S18_S1C_S1E_T6_T7_T9_mT8_S1G_bDpT10_ENKUlT_T0_E_clISt17integral_constantIbLb0EES1U_EEDaS1P_S1Q_EUlS1P_E_NS1_11comp_targetILNS1_3genE8ELNS1_11target_archE1030ELNS1_3gpuE2ELNS1_3repE0EEENS1_30default_config_static_selectorELNS0_4arch9wavefront6targetE0EEEvS12_, .Lfunc_end543-_ZN7rocprim17ROCPRIM_400000_NS6detail17trampoline_kernelINS0_13select_configILj256ELj13ELNS0_17block_load_methodE3ELS4_3ELS4_3ELNS0_20block_scan_algorithmE0ELj4294967295EEENS1_25partition_config_selectorILNS1_17partition_subalgoE4EjNS0_10empty_typeEbEEZZNS1_14partition_implILS8_4ELb0ES6_15HIP_vector_typeIjLj2EENS0_17counting_iteratorIjlEEPS9_SG_NS0_5tupleIJPjSI_NS0_16reverse_iteratorISI_EEEEENSH_IJSG_SG_SG_EEES9_SI_JZNS1_25segmented_radix_sort_implINS0_14default_configELb0EPKiPiPKlPlN2at6native12_GLOBAL__N_18offset_tEEE10hipError_tPvRmT1_PNSt15iterator_traitsIS12_E10value_typeET2_T3_PNS13_IS18_E10value_typeET4_jRbjT5_S1E_jjP12ihipStream_tbEUljE_ZNSN_ISO_Lb0ESQ_SR_ST_SU_SY_EESZ_S10_S11_S12_S16_S17_S18_S1B_S1C_jS1D_jS1E_S1E_jjS1G_bEUljE0_EEESZ_S10_S11_S18_S1C_S1E_T6_T7_T9_mT8_S1G_bDpT10_ENKUlT_T0_E_clISt17integral_constantIbLb0EES1U_EEDaS1P_S1Q_EUlS1P_E_NS1_11comp_targetILNS1_3genE8ELNS1_11target_archE1030ELNS1_3gpuE2ELNS1_3repE0EEENS1_30default_config_static_selectorELNS0_4arch9wavefront6targetE0EEEvS12_
                                        ; -- End function
	.section	.AMDGPU.csdata,"",@progbits
; Kernel info:
; codeLenInByte = 0
; NumSgprs: 0
; NumVgprs: 0
; ScratchSize: 0
; MemoryBound: 0
; FloatMode: 240
; IeeeMode: 1
; LDSByteSize: 0 bytes/workgroup (compile time only)
; SGPRBlocks: 0
; VGPRBlocks: 0
; NumSGPRsForWavesPerEU: 1
; NumVGPRsForWavesPerEU: 1
; Occupancy: 16
; WaveLimiterHint : 0
; COMPUTE_PGM_RSRC2:SCRATCH_EN: 0
; COMPUTE_PGM_RSRC2:USER_SGPR: 15
; COMPUTE_PGM_RSRC2:TRAP_HANDLER: 0
; COMPUTE_PGM_RSRC2:TGID_X_EN: 1
; COMPUTE_PGM_RSRC2:TGID_Y_EN: 0
; COMPUTE_PGM_RSRC2:TGID_Z_EN: 0
; COMPUTE_PGM_RSRC2:TIDIG_COMP_CNT: 0
	.section	.text._ZN7rocprim17ROCPRIM_400000_NS6detail17trampoline_kernelINS0_13select_configILj256ELj13ELNS0_17block_load_methodE3ELS4_3ELS4_3ELNS0_20block_scan_algorithmE0ELj4294967295EEENS1_25partition_config_selectorILNS1_17partition_subalgoE4EjNS0_10empty_typeEbEEZZNS1_14partition_implILS8_4ELb0ES6_15HIP_vector_typeIjLj2EENS0_17counting_iteratorIjlEEPS9_SG_NS0_5tupleIJPjSI_NS0_16reverse_iteratorISI_EEEEENSH_IJSG_SG_SG_EEES9_SI_JZNS1_25segmented_radix_sort_implINS0_14default_configELb0EPKiPiPKlPlN2at6native12_GLOBAL__N_18offset_tEEE10hipError_tPvRmT1_PNSt15iterator_traitsIS12_E10value_typeET2_T3_PNS13_IS18_E10value_typeET4_jRbjT5_S1E_jjP12ihipStream_tbEUljE_ZNSN_ISO_Lb0ESQ_SR_ST_SU_SY_EESZ_S10_S11_S12_S16_S17_S18_S1B_S1C_jS1D_jS1E_S1E_jjS1G_bEUljE0_EEESZ_S10_S11_S18_S1C_S1E_T6_T7_T9_mT8_S1G_bDpT10_ENKUlT_T0_E_clISt17integral_constantIbLb1EES1U_EEDaS1P_S1Q_EUlS1P_E_NS1_11comp_targetILNS1_3genE0ELNS1_11target_archE4294967295ELNS1_3gpuE0ELNS1_3repE0EEENS1_30default_config_static_selectorELNS0_4arch9wavefront6targetE0EEEvS12_,"axG",@progbits,_ZN7rocprim17ROCPRIM_400000_NS6detail17trampoline_kernelINS0_13select_configILj256ELj13ELNS0_17block_load_methodE3ELS4_3ELS4_3ELNS0_20block_scan_algorithmE0ELj4294967295EEENS1_25partition_config_selectorILNS1_17partition_subalgoE4EjNS0_10empty_typeEbEEZZNS1_14partition_implILS8_4ELb0ES6_15HIP_vector_typeIjLj2EENS0_17counting_iteratorIjlEEPS9_SG_NS0_5tupleIJPjSI_NS0_16reverse_iteratorISI_EEEEENSH_IJSG_SG_SG_EEES9_SI_JZNS1_25segmented_radix_sort_implINS0_14default_configELb0EPKiPiPKlPlN2at6native12_GLOBAL__N_18offset_tEEE10hipError_tPvRmT1_PNSt15iterator_traitsIS12_E10value_typeET2_T3_PNS13_IS18_E10value_typeET4_jRbjT5_S1E_jjP12ihipStream_tbEUljE_ZNSN_ISO_Lb0ESQ_SR_ST_SU_SY_EESZ_S10_S11_S12_S16_S17_S18_S1B_S1C_jS1D_jS1E_S1E_jjS1G_bEUljE0_EEESZ_S10_S11_S18_S1C_S1E_T6_T7_T9_mT8_S1G_bDpT10_ENKUlT_T0_E_clISt17integral_constantIbLb1EES1U_EEDaS1P_S1Q_EUlS1P_E_NS1_11comp_targetILNS1_3genE0ELNS1_11target_archE4294967295ELNS1_3gpuE0ELNS1_3repE0EEENS1_30default_config_static_selectorELNS0_4arch9wavefront6targetE0EEEvS12_,comdat
	.globl	_ZN7rocprim17ROCPRIM_400000_NS6detail17trampoline_kernelINS0_13select_configILj256ELj13ELNS0_17block_load_methodE3ELS4_3ELS4_3ELNS0_20block_scan_algorithmE0ELj4294967295EEENS1_25partition_config_selectorILNS1_17partition_subalgoE4EjNS0_10empty_typeEbEEZZNS1_14partition_implILS8_4ELb0ES6_15HIP_vector_typeIjLj2EENS0_17counting_iteratorIjlEEPS9_SG_NS0_5tupleIJPjSI_NS0_16reverse_iteratorISI_EEEEENSH_IJSG_SG_SG_EEES9_SI_JZNS1_25segmented_radix_sort_implINS0_14default_configELb0EPKiPiPKlPlN2at6native12_GLOBAL__N_18offset_tEEE10hipError_tPvRmT1_PNSt15iterator_traitsIS12_E10value_typeET2_T3_PNS13_IS18_E10value_typeET4_jRbjT5_S1E_jjP12ihipStream_tbEUljE_ZNSN_ISO_Lb0ESQ_SR_ST_SU_SY_EESZ_S10_S11_S12_S16_S17_S18_S1B_S1C_jS1D_jS1E_S1E_jjS1G_bEUljE0_EEESZ_S10_S11_S18_S1C_S1E_T6_T7_T9_mT8_S1G_bDpT10_ENKUlT_T0_E_clISt17integral_constantIbLb1EES1U_EEDaS1P_S1Q_EUlS1P_E_NS1_11comp_targetILNS1_3genE0ELNS1_11target_archE4294967295ELNS1_3gpuE0ELNS1_3repE0EEENS1_30default_config_static_selectorELNS0_4arch9wavefront6targetE0EEEvS12_ ; -- Begin function _ZN7rocprim17ROCPRIM_400000_NS6detail17trampoline_kernelINS0_13select_configILj256ELj13ELNS0_17block_load_methodE3ELS4_3ELS4_3ELNS0_20block_scan_algorithmE0ELj4294967295EEENS1_25partition_config_selectorILNS1_17partition_subalgoE4EjNS0_10empty_typeEbEEZZNS1_14partition_implILS8_4ELb0ES6_15HIP_vector_typeIjLj2EENS0_17counting_iteratorIjlEEPS9_SG_NS0_5tupleIJPjSI_NS0_16reverse_iteratorISI_EEEEENSH_IJSG_SG_SG_EEES9_SI_JZNS1_25segmented_radix_sort_implINS0_14default_configELb0EPKiPiPKlPlN2at6native12_GLOBAL__N_18offset_tEEE10hipError_tPvRmT1_PNSt15iterator_traitsIS12_E10value_typeET2_T3_PNS13_IS18_E10value_typeET4_jRbjT5_S1E_jjP12ihipStream_tbEUljE_ZNSN_ISO_Lb0ESQ_SR_ST_SU_SY_EESZ_S10_S11_S12_S16_S17_S18_S1B_S1C_jS1D_jS1E_S1E_jjS1G_bEUljE0_EEESZ_S10_S11_S18_S1C_S1E_T6_T7_T9_mT8_S1G_bDpT10_ENKUlT_T0_E_clISt17integral_constantIbLb1EES1U_EEDaS1P_S1Q_EUlS1P_E_NS1_11comp_targetILNS1_3genE0ELNS1_11target_archE4294967295ELNS1_3gpuE0ELNS1_3repE0EEENS1_30default_config_static_selectorELNS0_4arch9wavefront6targetE0EEEvS12_
	.p2align	8
	.type	_ZN7rocprim17ROCPRIM_400000_NS6detail17trampoline_kernelINS0_13select_configILj256ELj13ELNS0_17block_load_methodE3ELS4_3ELS4_3ELNS0_20block_scan_algorithmE0ELj4294967295EEENS1_25partition_config_selectorILNS1_17partition_subalgoE4EjNS0_10empty_typeEbEEZZNS1_14partition_implILS8_4ELb0ES6_15HIP_vector_typeIjLj2EENS0_17counting_iteratorIjlEEPS9_SG_NS0_5tupleIJPjSI_NS0_16reverse_iteratorISI_EEEEENSH_IJSG_SG_SG_EEES9_SI_JZNS1_25segmented_radix_sort_implINS0_14default_configELb0EPKiPiPKlPlN2at6native12_GLOBAL__N_18offset_tEEE10hipError_tPvRmT1_PNSt15iterator_traitsIS12_E10value_typeET2_T3_PNS13_IS18_E10value_typeET4_jRbjT5_S1E_jjP12ihipStream_tbEUljE_ZNSN_ISO_Lb0ESQ_SR_ST_SU_SY_EESZ_S10_S11_S12_S16_S17_S18_S1B_S1C_jS1D_jS1E_S1E_jjS1G_bEUljE0_EEESZ_S10_S11_S18_S1C_S1E_T6_T7_T9_mT8_S1G_bDpT10_ENKUlT_T0_E_clISt17integral_constantIbLb1EES1U_EEDaS1P_S1Q_EUlS1P_E_NS1_11comp_targetILNS1_3genE0ELNS1_11target_archE4294967295ELNS1_3gpuE0ELNS1_3repE0EEENS1_30default_config_static_selectorELNS0_4arch9wavefront6targetE0EEEvS12_,@function
_ZN7rocprim17ROCPRIM_400000_NS6detail17trampoline_kernelINS0_13select_configILj256ELj13ELNS0_17block_load_methodE3ELS4_3ELS4_3ELNS0_20block_scan_algorithmE0ELj4294967295EEENS1_25partition_config_selectorILNS1_17partition_subalgoE4EjNS0_10empty_typeEbEEZZNS1_14partition_implILS8_4ELb0ES6_15HIP_vector_typeIjLj2EENS0_17counting_iteratorIjlEEPS9_SG_NS0_5tupleIJPjSI_NS0_16reverse_iteratorISI_EEEEENSH_IJSG_SG_SG_EEES9_SI_JZNS1_25segmented_radix_sort_implINS0_14default_configELb0EPKiPiPKlPlN2at6native12_GLOBAL__N_18offset_tEEE10hipError_tPvRmT1_PNSt15iterator_traitsIS12_E10value_typeET2_T3_PNS13_IS18_E10value_typeET4_jRbjT5_S1E_jjP12ihipStream_tbEUljE_ZNSN_ISO_Lb0ESQ_SR_ST_SU_SY_EESZ_S10_S11_S12_S16_S17_S18_S1B_S1C_jS1D_jS1E_S1E_jjS1G_bEUljE0_EEESZ_S10_S11_S18_S1C_S1E_T6_T7_T9_mT8_S1G_bDpT10_ENKUlT_T0_E_clISt17integral_constantIbLb1EES1U_EEDaS1P_S1Q_EUlS1P_E_NS1_11comp_targetILNS1_3genE0ELNS1_11target_archE4294967295ELNS1_3gpuE0ELNS1_3repE0EEENS1_30default_config_static_selectorELNS0_4arch9wavefront6targetE0EEEvS12_: ; @_ZN7rocprim17ROCPRIM_400000_NS6detail17trampoline_kernelINS0_13select_configILj256ELj13ELNS0_17block_load_methodE3ELS4_3ELS4_3ELNS0_20block_scan_algorithmE0ELj4294967295EEENS1_25partition_config_selectorILNS1_17partition_subalgoE4EjNS0_10empty_typeEbEEZZNS1_14partition_implILS8_4ELb0ES6_15HIP_vector_typeIjLj2EENS0_17counting_iteratorIjlEEPS9_SG_NS0_5tupleIJPjSI_NS0_16reverse_iteratorISI_EEEEENSH_IJSG_SG_SG_EEES9_SI_JZNS1_25segmented_radix_sort_implINS0_14default_configELb0EPKiPiPKlPlN2at6native12_GLOBAL__N_18offset_tEEE10hipError_tPvRmT1_PNSt15iterator_traitsIS12_E10value_typeET2_T3_PNS13_IS18_E10value_typeET4_jRbjT5_S1E_jjP12ihipStream_tbEUljE_ZNSN_ISO_Lb0ESQ_SR_ST_SU_SY_EESZ_S10_S11_S12_S16_S17_S18_S1B_S1C_jS1D_jS1E_S1E_jjS1G_bEUljE0_EEESZ_S10_S11_S18_S1C_S1E_T6_T7_T9_mT8_S1G_bDpT10_ENKUlT_T0_E_clISt17integral_constantIbLb1EES1U_EEDaS1P_S1Q_EUlS1P_E_NS1_11comp_targetILNS1_3genE0ELNS1_11target_archE4294967295ELNS1_3gpuE0ELNS1_3repE0EEENS1_30default_config_static_selectorELNS0_4arch9wavefront6targetE0EEEvS12_
; %bb.0:
	.section	.rodata,"a",@progbits
	.p2align	6, 0x0
	.amdhsa_kernel _ZN7rocprim17ROCPRIM_400000_NS6detail17trampoline_kernelINS0_13select_configILj256ELj13ELNS0_17block_load_methodE3ELS4_3ELS4_3ELNS0_20block_scan_algorithmE0ELj4294967295EEENS1_25partition_config_selectorILNS1_17partition_subalgoE4EjNS0_10empty_typeEbEEZZNS1_14partition_implILS8_4ELb0ES6_15HIP_vector_typeIjLj2EENS0_17counting_iteratorIjlEEPS9_SG_NS0_5tupleIJPjSI_NS0_16reverse_iteratorISI_EEEEENSH_IJSG_SG_SG_EEES9_SI_JZNS1_25segmented_radix_sort_implINS0_14default_configELb0EPKiPiPKlPlN2at6native12_GLOBAL__N_18offset_tEEE10hipError_tPvRmT1_PNSt15iterator_traitsIS12_E10value_typeET2_T3_PNS13_IS18_E10value_typeET4_jRbjT5_S1E_jjP12ihipStream_tbEUljE_ZNSN_ISO_Lb0ESQ_SR_ST_SU_SY_EESZ_S10_S11_S12_S16_S17_S18_S1B_S1C_jS1D_jS1E_S1E_jjS1G_bEUljE0_EEESZ_S10_S11_S18_S1C_S1E_T6_T7_T9_mT8_S1G_bDpT10_ENKUlT_T0_E_clISt17integral_constantIbLb1EES1U_EEDaS1P_S1Q_EUlS1P_E_NS1_11comp_targetILNS1_3genE0ELNS1_11target_archE4294967295ELNS1_3gpuE0ELNS1_3repE0EEENS1_30default_config_static_selectorELNS0_4arch9wavefront6targetE0EEEvS12_
		.amdhsa_group_segment_fixed_size 0
		.amdhsa_private_segment_fixed_size 0
		.amdhsa_kernarg_size 184
		.amdhsa_user_sgpr_count 15
		.amdhsa_user_sgpr_dispatch_ptr 0
		.amdhsa_user_sgpr_queue_ptr 0
		.amdhsa_user_sgpr_kernarg_segment_ptr 1
		.amdhsa_user_sgpr_dispatch_id 0
		.amdhsa_user_sgpr_private_segment_size 0
		.amdhsa_wavefront_size32 1
		.amdhsa_uses_dynamic_stack 0
		.amdhsa_enable_private_segment 0
		.amdhsa_system_sgpr_workgroup_id_x 1
		.amdhsa_system_sgpr_workgroup_id_y 0
		.amdhsa_system_sgpr_workgroup_id_z 0
		.amdhsa_system_sgpr_workgroup_info 0
		.amdhsa_system_vgpr_workitem_id 0
		.amdhsa_next_free_vgpr 1
		.amdhsa_next_free_sgpr 1
		.amdhsa_reserve_vcc 0
		.amdhsa_float_round_mode_32 0
		.amdhsa_float_round_mode_16_64 0
		.amdhsa_float_denorm_mode_32 3
		.amdhsa_float_denorm_mode_16_64 3
		.amdhsa_dx10_clamp 1
		.amdhsa_ieee_mode 1
		.amdhsa_fp16_overflow 0
		.amdhsa_workgroup_processor_mode 1
		.amdhsa_memory_ordered 1
		.amdhsa_forward_progress 0
		.amdhsa_shared_vgpr_count 0
		.amdhsa_exception_fp_ieee_invalid_op 0
		.amdhsa_exception_fp_denorm_src 0
		.amdhsa_exception_fp_ieee_div_zero 0
		.amdhsa_exception_fp_ieee_overflow 0
		.amdhsa_exception_fp_ieee_underflow 0
		.amdhsa_exception_fp_ieee_inexact 0
		.amdhsa_exception_int_div_zero 0
	.end_amdhsa_kernel
	.section	.text._ZN7rocprim17ROCPRIM_400000_NS6detail17trampoline_kernelINS0_13select_configILj256ELj13ELNS0_17block_load_methodE3ELS4_3ELS4_3ELNS0_20block_scan_algorithmE0ELj4294967295EEENS1_25partition_config_selectorILNS1_17partition_subalgoE4EjNS0_10empty_typeEbEEZZNS1_14partition_implILS8_4ELb0ES6_15HIP_vector_typeIjLj2EENS0_17counting_iteratorIjlEEPS9_SG_NS0_5tupleIJPjSI_NS0_16reverse_iteratorISI_EEEEENSH_IJSG_SG_SG_EEES9_SI_JZNS1_25segmented_radix_sort_implINS0_14default_configELb0EPKiPiPKlPlN2at6native12_GLOBAL__N_18offset_tEEE10hipError_tPvRmT1_PNSt15iterator_traitsIS12_E10value_typeET2_T3_PNS13_IS18_E10value_typeET4_jRbjT5_S1E_jjP12ihipStream_tbEUljE_ZNSN_ISO_Lb0ESQ_SR_ST_SU_SY_EESZ_S10_S11_S12_S16_S17_S18_S1B_S1C_jS1D_jS1E_S1E_jjS1G_bEUljE0_EEESZ_S10_S11_S18_S1C_S1E_T6_T7_T9_mT8_S1G_bDpT10_ENKUlT_T0_E_clISt17integral_constantIbLb1EES1U_EEDaS1P_S1Q_EUlS1P_E_NS1_11comp_targetILNS1_3genE0ELNS1_11target_archE4294967295ELNS1_3gpuE0ELNS1_3repE0EEENS1_30default_config_static_selectorELNS0_4arch9wavefront6targetE0EEEvS12_,"axG",@progbits,_ZN7rocprim17ROCPRIM_400000_NS6detail17trampoline_kernelINS0_13select_configILj256ELj13ELNS0_17block_load_methodE3ELS4_3ELS4_3ELNS0_20block_scan_algorithmE0ELj4294967295EEENS1_25partition_config_selectorILNS1_17partition_subalgoE4EjNS0_10empty_typeEbEEZZNS1_14partition_implILS8_4ELb0ES6_15HIP_vector_typeIjLj2EENS0_17counting_iteratorIjlEEPS9_SG_NS0_5tupleIJPjSI_NS0_16reverse_iteratorISI_EEEEENSH_IJSG_SG_SG_EEES9_SI_JZNS1_25segmented_radix_sort_implINS0_14default_configELb0EPKiPiPKlPlN2at6native12_GLOBAL__N_18offset_tEEE10hipError_tPvRmT1_PNSt15iterator_traitsIS12_E10value_typeET2_T3_PNS13_IS18_E10value_typeET4_jRbjT5_S1E_jjP12ihipStream_tbEUljE_ZNSN_ISO_Lb0ESQ_SR_ST_SU_SY_EESZ_S10_S11_S12_S16_S17_S18_S1B_S1C_jS1D_jS1E_S1E_jjS1G_bEUljE0_EEESZ_S10_S11_S18_S1C_S1E_T6_T7_T9_mT8_S1G_bDpT10_ENKUlT_T0_E_clISt17integral_constantIbLb1EES1U_EEDaS1P_S1Q_EUlS1P_E_NS1_11comp_targetILNS1_3genE0ELNS1_11target_archE4294967295ELNS1_3gpuE0ELNS1_3repE0EEENS1_30default_config_static_selectorELNS0_4arch9wavefront6targetE0EEEvS12_,comdat
.Lfunc_end544:
	.size	_ZN7rocprim17ROCPRIM_400000_NS6detail17trampoline_kernelINS0_13select_configILj256ELj13ELNS0_17block_load_methodE3ELS4_3ELS4_3ELNS0_20block_scan_algorithmE0ELj4294967295EEENS1_25partition_config_selectorILNS1_17partition_subalgoE4EjNS0_10empty_typeEbEEZZNS1_14partition_implILS8_4ELb0ES6_15HIP_vector_typeIjLj2EENS0_17counting_iteratorIjlEEPS9_SG_NS0_5tupleIJPjSI_NS0_16reverse_iteratorISI_EEEEENSH_IJSG_SG_SG_EEES9_SI_JZNS1_25segmented_radix_sort_implINS0_14default_configELb0EPKiPiPKlPlN2at6native12_GLOBAL__N_18offset_tEEE10hipError_tPvRmT1_PNSt15iterator_traitsIS12_E10value_typeET2_T3_PNS13_IS18_E10value_typeET4_jRbjT5_S1E_jjP12ihipStream_tbEUljE_ZNSN_ISO_Lb0ESQ_SR_ST_SU_SY_EESZ_S10_S11_S12_S16_S17_S18_S1B_S1C_jS1D_jS1E_S1E_jjS1G_bEUljE0_EEESZ_S10_S11_S18_S1C_S1E_T6_T7_T9_mT8_S1G_bDpT10_ENKUlT_T0_E_clISt17integral_constantIbLb1EES1U_EEDaS1P_S1Q_EUlS1P_E_NS1_11comp_targetILNS1_3genE0ELNS1_11target_archE4294967295ELNS1_3gpuE0ELNS1_3repE0EEENS1_30default_config_static_selectorELNS0_4arch9wavefront6targetE0EEEvS12_, .Lfunc_end544-_ZN7rocprim17ROCPRIM_400000_NS6detail17trampoline_kernelINS0_13select_configILj256ELj13ELNS0_17block_load_methodE3ELS4_3ELS4_3ELNS0_20block_scan_algorithmE0ELj4294967295EEENS1_25partition_config_selectorILNS1_17partition_subalgoE4EjNS0_10empty_typeEbEEZZNS1_14partition_implILS8_4ELb0ES6_15HIP_vector_typeIjLj2EENS0_17counting_iteratorIjlEEPS9_SG_NS0_5tupleIJPjSI_NS0_16reverse_iteratorISI_EEEEENSH_IJSG_SG_SG_EEES9_SI_JZNS1_25segmented_radix_sort_implINS0_14default_configELb0EPKiPiPKlPlN2at6native12_GLOBAL__N_18offset_tEEE10hipError_tPvRmT1_PNSt15iterator_traitsIS12_E10value_typeET2_T3_PNS13_IS18_E10value_typeET4_jRbjT5_S1E_jjP12ihipStream_tbEUljE_ZNSN_ISO_Lb0ESQ_SR_ST_SU_SY_EESZ_S10_S11_S12_S16_S17_S18_S1B_S1C_jS1D_jS1E_S1E_jjS1G_bEUljE0_EEESZ_S10_S11_S18_S1C_S1E_T6_T7_T9_mT8_S1G_bDpT10_ENKUlT_T0_E_clISt17integral_constantIbLb1EES1U_EEDaS1P_S1Q_EUlS1P_E_NS1_11comp_targetILNS1_3genE0ELNS1_11target_archE4294967295ELNS1_3gpuE0ELNS1_3repE0EEENS1_30default_config_static_selectorELNS0_4arch9wavefront6targetE0EEEvS12_
                                        ; -- End function
	.section	.AMDGPU.csdata,"",@progbits
; Kernel info:
; codeLenInByte = 0
; NumSgprs: 0
; NumVgprs: 0
; ScratchSize: 0
; MemoryBound: 0
; FloatMode: 240
; IeeeMode: 1
; LDSByteSize: 0 bytes/workgroup (compile time only)
; SGPRBlocks: 0
; VGPRBlocks: 0
; NumSGPRsForWavesPerEU: 1
; NumVGPRsForWavesPerEU: 1
; Occupancy: 16
; WaveLimiterHint : 0
; COMPUTE_PGM_RSRC2:SCRATCH_EN: 0
; COMPUTE_PGM_RSRC2:USER_SGPR: 15
; COMPUTE_PGM_RSRC2:TRAP_HANDLER: 0
; COMPUTE_PGM_RSRC2:TGID_X_EN: 1
; COMPUTE_PGM_RSRC2:TGID_Y_EN: 0
; COMPUTE_PGM_RSRC2:TGID_Z_EN: 0
; COMPUTE_PGM_RSRC2:TIDIG_COMP_CNT: 0
	.section	.text._ZN7rocprim17ROCPRIM_400000_NS6detail17trampoline_kernelINS0_13select_configILj256ELj13ELNS0_17block_load_methodE3ELS4_3ELS4_3ELNS0_20block_scan_algorithmE0ELj4294967295EEENS1_25partition_config_selectorILNS1_17partition_subalgoE4EjNS0_10empty_typeEbEEZZNS1_14partition_implILS8_4ELb0ES6_15HIP_vector_typeIjLj2EENS0_17counting_iteratorIjlEEPS9_SG_NS0_5tupleIJPjSI_NS0_16reverse_iteratorISI_EEEEENSH_IJSG_SG_SG_EEES9_SI_JZNS1_25segmented_radix_sort_implINS0_14default_configELb0EPKiPiPKlPlN2at6native12_GLOBAL__N_18offset_tEEE10hipError_tPvRmT1_PNSt15iterator_traitsIS12_E10value_typeET2_T3_PNS13_IS18_E10value_typeET4_jRbjT5_S1E_jjP12ihipStream_tbEUljE_ZNSN_ISO_Lb0ESQ_SR_ST_SU_SY_EESZ_S10_S11_S12_S16_S17_S18_S1B_S1C_jS1D_jS1E_S1E_jjS1G_bEUljE0_EEESZ_S10_S11_S18_S1C_S1E_T6_T7_T9_mT8_S1G_bDpT10_ENKUlT_T0_E_clISt17integral_constantIbLb1EES1U_EEDaS1P_S1Q_EUlS1P_E_NS1_11comp_targetILNS1_3genE5ELNS1_11target_archE942ELNS1_3gpuE9ELNS1_3repE0EEENS1_30default_config_static_selectorELNS0_4arch9wavefront6targetE0EEEvS12_,"axG",@progbits,_ZN7rocprim17ROCPRIM_400000_NS6detail17trampoline_kernelINS0_13select_configILj256ELj13ELNS0_17block_load_methodE3ELS4_3ELS4_3ELNS0_20block_scan_algorithmE0ELj4294967295EEENS1_25partition_config_selectorILNS1_17partition_subalgoE4EjNS0_10empty_typeEbEEZZNS1_14partition_implILS8_4ELb0ES6_15HIP_vector_typeIjLj2EENS0_17counting_iteratorIjlEEPS9_SG_NS0_5tupleIJPjSI_NS0_16reverse_iteratorISI_EEEEENSH_IJSG_SG_SG_EEES9_SI_JZNS1_25segmented_radix_sort_implINS0_14default_configELb0EPKiPiPKlPlN2at6native12_GLOBAL__N_18offset_tEEE10hipError_tPvRmT1_PNSt15iterator_traitsIS12_E10value_typeET2_T3_PNS13_IS18_E10value_typeET4_jRbjT5_S1E_jjP12ihipStream_tbEUljE_ZNSN_ISO_Lb0ESQ_SR_ST_SU_SY_EESZ_S10_S11_S12_S16_S17_S18_S1B_S1C_jS1D_jS1E_S1E_jjS1G_bEUljE0_EEESZ_S10_S11_S18_S1C_S1E_T6_T7_T9_mT8_S1G_bDpT10_ENKUlT_T0_E_clISt17integral_constantIbLb1EES1U_EEDaS1P_S1Q_EUlS1P_E_NS1_11comp_targetILNS1_3genE5ELNS1_11target_archE942ELNS1_3gpuE9ELNS1_3repE0EEENS1_30default_config_static_selectorELNS0_4arch9wavefront6targetE0EEEvS12_,comdat
	.globl	_ZN7rocprim17ROCPRIM_400000_NS6detail17trampoline_kernelINS0_13select_configILj256ELj13ELNS0_17block_load_methodE3ELS4_3ELS4_3ELNS0_20block_scan_algorithmE0ELj4294967295EEENS1_25partition_config_selectorILNS1_17partition_subalgoE4EjNS0_10empty_typeEbEEZZNS1_14partition_implILS8_4ELb0ES6_15HIP_vector_typeIjLj2EENS0_17counting_iteratorIjlEEPS9_SG_NS0_5tupleIJPjSI_NS0_16reverse_iteratorISI_EEEEENSH_IJSG_SG_SG_EEES9_SI_JZNS1_25segmented_radix_sort_implINS0_14default_configELb0EPKiPiPKlPlN2at6native12_GLOBAL__N_18offset_tEEE10hipError_tPvRmT1_PNSt15iterator_traitsIS12_E10value_typeET2_T3_PNS13_IS18_E10value_typeET4_jRbjT5_S1E_jjP12ihipStream_tbEUljE_ZNSN_ISO_Lb0ESQ_SR_ST_SU_SY_EESZ_S10_S11_S12_S16_S17_S18_S1B_S1C_jS1D_jS1E_S1E_jjS1G_bEUljE0_EEESZ_S10_S11_S18_S1C_S1E_T6_T7_T9_mT8_S1G_bDpT10_ENKUlT_T0_E_clISt17integral_constantIbLb1EES1U_EEDaS1P_S1Q_EUlS1P_E_NS1_11comp_targetILNS1_3genE5ELNS1_11target_archE942ELNS1_3gpuE9ELNS1_3repE0EEENS1_30default_config_static_selectorELNS0_4arch9wavefront6targetE0EEEvS12_ ; -- Begin function _ZN7rocprim17ROCPRIM_400000_NS6detail17trampoline_kernelINS0_13select_configILj256ELj13ELNS0_17block_load_methodE3ELS4_3ELS4_3ELNS0_20block_scan_algorithmE0ELj4294967295EEENS1_25partition_config_selectorILNS1_17partition_subalgoE4EjNS0_10empty_typeEbEEZZNS1_14partition_implILS8_4ELb0ES6_15HIP_vector_typeIjLj2EENS0_17counting_iteratorIjlEEPS9_SG_NS0_5tupleIJPjSI_NS0_16reverse_iteratorISI_EEEEENSH_IJSG_SG_SG_EEES9_SI_JZNS1_25segmented_radix_sort_implINS0_14default_configELb0EPKiPiPKlPlN2at6native12_GLOBAL__N_18offset_tEEE10hipError_tPvRmT1_PNSt15iterator_traitsIS12_E10value_typeET2_T3_PNS13_IS18_E10value_typeET4_jRbjT5_S1E_jjP12ihipStream_tbEUljE_ZNSN_ISO_Lb0ESQ_SR_ST_SU_SY_EESZ_S10_S11_S12_S16_S17_S18_S1B_S1C_jS1D_jS1E_S1E_jjS1G_bEUljE0_EEESZ_S10_S11_S18_S1C_S1E_T6_T7_T9_mT8_S1G_bDpT10_ENKUlT_T0_E_clISt17integral_constantIbLb1EES1U_EEDaS1P_S1Q_EUlS1P_E_NS1_11comp_targetILNS1_3genE5ELNS1_11target_archE942ELNS1_3gpuE9ELNS1_3repE0EEENS1_30default_config_static_selectorELNS0_4arch9wavefront6targetE0EEEvS12_
	.p2align	8
	.type	_ZN7rocprim17ROCPRIM_400000_NS6detail17trampoline_kernelINS0_13select_configILj256ELj13ELNS0_17block_load_methodE3ELS4_3ELS4_3ELNS0_20block_scan_algorithmE0ELj4294967295EEENS1_25partition_config_selectorILNS1_17partition_subalgoE4EjNS0_10empty_typeEbEEZZNS1_14partition_implILS8_4ELb0ES6_15HIP_vector_typeIjLj2EENS0_17counting_iteratorIjlEEPS9_SG_NS0_5tupleIJPjSI_NS0_16reverse_iteratorISI_EEEEENSH_IJSG_SG_SG_EEES9_SI_JZNS1_25segmented_radix_sort_implINS0_14default_configELb0EPKiPiPKlPlN2at6native12_GLOBAL__N_18offset_tEEE10hipError_tPvRmT1_PNSt15iterator_traitsIS12_E10value_typeET2_T3_PNS13_IS18_E10value_typeET4_jRbjT5_S1E_jjP12ihipStream_tbEUljE_ZNSN_ISO_Lb0ESQ_SR_ST_SU_SY_EESZ_S10_S11_S12_S16_S17_S18_S1B_S1C_jS1D_jS1E_S1E_jjS1G_bEUljE0_EEESZ_S10_S11_S18_S1C_S1E_T6_T7_T9_mT8_S1G_bDpT10_ENKUlT_T0_E_clISt17integral_constantIbLb1EES1U_EEDaS1P_S1Q_EUlS1P_E_NS1_11comp_targetILNS1_3genE5ELNS1_11target_archE942ELNS1_3gpuE9ELNS1_3repE0EEENS1_30default_config_static_selectorELNS0_4arch9wavefront6targetE0EEEvS12_,@function
_ZN7rocprim17ROCPRIM_400000_NS6detail17trampoline_kernelINS0_13select_configILj256ELj13ELNS0_17block_load_methodE3ELS4_3ELS4_3ELNS0_20block_scan_algorithmE0ELj4294967295EEENS1_25partition_config_selectorILNS1_17partition_subalgoE4EjNS0_10empty_typeEbEEZZNS1_14partition_implILS8_4ELb0ES6_15HIP_vector_typeIjLj2EENS0_17counting_iteratorIjlEEPS9_SG_NS0_5tupleIJPjSI_NS0_16reverse_iteratorISI_EEEEENSH_IJSG_SG_SG_EEES9_SI_JZNS1_25segmented_radix_sort_implINS0_14default_configELb0EPKiPiPKlPlN2at6native12_GLOBAL__N_18offset_tEEE10hipError_tPvRmT1_PNSt15iterator_traitsIS12_E10value_typeET2_T3_PNS13_IS18_E10value_typeET4_jRbjT5_S1E_jjP12ihipStream_tbEUljE_ZNSN_ISO_Lb0ESQ_SR_ST_SU_SY_EESZ_S10_S11_S12_S16_S17_S18_S1B_S1C_jS1D_jS1E_S1E_jjS1G_bEUljE0_EEESZ_S10_S11_S18_S1C_S1E_T6_T7_T9_mT8_S1G_bDpT10_ENKUlT_T0_E_clISt17integral_constantIbLb1EES1U_EEDaS1P_S1Q_EUlS1P_E_NS1_11comp_targetILNS1_3genE5ELNS1_11target_archE942ELNS1_3gpuE9ELNS1_3repE0EEENS1_30default_config_static_selectorELNS0_4arch9wavefront6targetE0EEEvS12_: ; @_ZN7rocprim17ROCPRIM_400000_NS6detail17trampoline_kernelINS0_13select_configILj256ELj13ELNS0_17block_load_methodE3ELS4_3ELS4_3ELNS0_20block_scan_algorithmE0ELj4294967295EEENS1_25partition_config_selectorILNS1_17partition_subalgoE4EjNS0_10empty_typeEbEEZZNS1_14partition_implILS8_4ELb0ES6_15HIP_vector_typeIjLj2EENS0_17counting_iteratorIjlEEPS9_SG_NS0_5tupleIJPjSI_NS0_16reverse_iteratorISI_EEEEENSH_IJSG_SG_SG_EEES9_SI_JZNS1_25segmented_radix_sort_implINS0_14default_configELb0EPKiPiPKlPlN2at6native12_GLOBAL__N_18offset_tEEE10hipError_tPvRmT1_PNSt15iterator_traitsIS12_E10value_typeET2_T3_PNS13_IS18_E10value_typeET4_jRbjT5_S1E_jjP12ihipStream_tbEUljE_ZNSN_ISO_Lb0ESQ_SR_ST_SU_SY_EESZ_S10_S11_S12_S16_S17_S18_S1B_S1C_jS1D_jS1E_S1E_jjS1G_bEUljE0_EEESZ_S10_S11_S18_S1C_S1E_T6_T7_T9_mT8_S1G_bDpT10_ENKUlT_T0_E_clISt17integral_constantIbLb1EES1U_EEDaS1P_S1Q_EUlS1P_E_NS1_11comp_targetILNS1_3genE5ELNS1_11target_archE942ELNS1_3gpuE9ELNS1_3repE0EEENS1_30default_config_static_selectorELNS0_4arch9wavefront6targetE0EEEvS12_
; %bb.0:
	.section	.rodata,"a",@progbits
	.p2align	6, 0x0
	.amdhsa_kernel _ZN7rocprim17ROCPRIM_400000_NS6detail17trampoline_kernelINS0_13select_configILj256ELj13ELNS0_17block_load_methodE3ELS4_3ELS4_3ELNS0_20block_scan_algorithmE0ELj4294967295EEENS1_25partition_config_selectorILNS1_17partition_subalgoE4EjNS0_10empty_typeEbEEZZNS1_14partition_implILS8_4ELb0ES6_15HIP_vector_typeIjLj2EENS0_17counting_iteratorIjlEEPS9_SG_NS0_5tupleIJPjSI_NS0_16reverse_iteratorISI_EEEEENSH_IJSG_SG_SG_EEES9_SI_JZNS1_25segmented_radix_sort_implINS0_14default_configELb0EPKiPiPKlPlN2at6native12_GLOBAL__N_18offset_tEEE10hipError_tPvRmT1_PNSt15iterator_traitsIS12_E10value_typeET2_T3_PNS13_IS18_E10value_typeET4_jRbjT5_S1E_jjP12ihipStream_tbEUljE_ZNSN_ISO_Lb0ESQ_SR_ST_SU_SY_EESZ_S10_S11_S12_S16_S17_S18_S1B_S1C_jS1D_jS1E_S1E_jjS1G_bEUljE0_EEESZ_S10_S11_S18_S1C_S1E_T6_T7_T9_mT8_S1G_bDpT10_ENKUlT_T0_E_clISt17integral_constantIbLb1EES1U_EEDaS1P_S1Q_EUlS1P_E_NS1_11comp_targetILNS1_3genE5ELNS1_11target_archE942ELNS1_3gpuE9ELNS1_3repE0EEENS1_30default_config_static_selectorELNS0_4arch9wavefront6targetE0EEEvS12_
		.amdhsa_group_segment_fixed_size 0
		.amdhsa_private_segment_fixed_size 0
		.amdhsa_kernarg_size 184
		.amdhsa_user_sgpr_count 15
		.amdhsa_user_sgpr_dispatch_ptr 0
		.amdhsa_user_sgpr_queue_ptr 0
		.amdhsa_user_sgpr_kernarg_segment_ptr 1
		.amdhsa_user_sgpr_dispatch_id 0
		.amdhsa_user_sgpr_private_segment_size 0
		.amdhsa_wavefront_size32 1
		.amdhsa_uses_dynamic_stack 0
		.amdhsa_enable_private_segment 0
		.amdhsa_system_sgpr_workgroup_id_x 1
		.amdhsa_system_sgpr_workgroup_id_y 0
		.amdhsa_system_sgpr_workgroup_id_z 0
		.amdhsa_system_sgpr_workgroup_info 0
		.amdhsa_system_vgpr_workitem_id 0
		.amdhsa_next_free_vgpr 1
		.amdhsa_next_free_sgpr 1
		.amdhsa_reserve_vcc 0
		.amdhsa_float_round_mode_32 0
		.amdhsa_float_round_mode_16_64 0
		.amdhsa_float_denorm_mode_32 3
		.amdhsa_float_denorm_mode_16_64 3
		.amdhsa_dx10_clamp 1
		.amdhsa_ieee_mode 1
		.amdhsa_fp16_overflow 0
		.amdhsa_workgroup_processor_mode 1
		.amdhsa_memory_ordered 1
		.amdhsa_forward_progress 0
		.amdhsa_shared_vgpr_count 0
		.amdhsa_exception_fp_ieee_invalid_op 0
		.amdhsa_exception_fp_denorm_src 0
		.amdhsa_exception_fp_ieee_div_zero 0
		.amdhsa_exception_fp_ieee_overflow 0
		.amdhsa_exception_fp_ieee_underflow 0
		.amdhsa_exception_fp_ieee_inexact 0
		.amdhsa_exception_int_div_zero 0
	.end_amdhsa_kernel
	.section	.text._ZN7rocprim17ROCPRIM_400000_NS6detail17trampoline_kernelINS0_13select_configILj256ELj13ELNS0_17block_load_methodE3ELS4_3ELS4_3ELNS0_20block_scan_algorithmE0ELj4294967295EEENS1_25partition_config_selectorILNS1_17partition_subalgoE4EjNS0_10empty_typeEbEEZZNS1_14partition_implILS8_4ELb0ES6_15HIP_vector_typeIjLj2EENS0_17counting_iteratorIjlEEPS9_SG_NS0_5tupleIJPjSI_NS0_16reverse_iteratorISI_EEEEENSH_IJSG_SG_SG_EEES9_SI_JZNS1_25segmented_radix_sort_implINS0_14default_configELb0EPKiPiPKlPlN2at6native12_GLOBAL__N_18offset_tEEE10hipError_tPvRmT1_PNSt15iterator_traitsIS12_E10value_typeET2_T3_PNS13_IS18_E10value_typeET4_jRbjT5_S1E_jjP12ihipStream_tbEUljE_ZNSN_ISO_Lb0ESQ_SR_ST_SU_SY_EESZ_S10_S11_S12_S16_S17_S18_S1B_S1C_jS1D_jS1E_S1E_jjS1G_bEUljE0_EEESZ_S10_S11_S18_S1C_S1E_T6_T7_T9_mT8_S1G_bDpT10_ENKUlT_T0_E_clISt17integral_constantIbLb1EES1U_EEDaS1P_S1Q_EUlS1P_E_NS1_11comp_targetILNS1_3genE5ELNS1_11target_archE942ELNS1_3gpuE9ELNS1_3repE0EEENS1_30default_config_static_selectorELNS0_4arch9wavefront6targetE0EEEvS12_,"axG",@progbits,_ZN7rocprim17ROCPRIM_400000_NS6detail17trampoline_kernelINS0_13select_configILj256ELj13ELNS0_17block_load_methodE3ELS4_3ELS4_3ELNS0_20block_scan_algorithmE0ELj4294967295EEENS1_25partition_config_selectorILNS1_17partition_subalgoE4EjNS0_10empty_typeEbEEZZNS1_14partition_implILS8_4ELb0ES6_15HIP_vector_typeIjLj2EENS0_17counting_iteratorIjlEEPS9_SG_NS0_5tupleIJPjSI_NS0_16reverse_iteratorISI_EEEEENSH_IJSG_SG_SG_EEES9_SI_JZNS1_25segmented_radix_sort_implINS0_14default_configELb0EPKiPiPKlPlN2at6native12_GLOBAL__N_18offset_tEEE10hipError_tPvRmT1_PNSt15iterator_traitsIS12_E10value_typeET2_T3_PNS13_IS18_E10value_typeET4_jRbjT5_S1E_jjP12ihipStream_tbEUljE_ZNSN_ISO_Lb0ESQ_SR_ST_SU_SY_EESZ_S10_S11_S12_S16_S17_S18_S1B_S1C_jS1D_jS1E_S1E_jjS1G_bEUljE0_EEESZ_S10_S11_S18_S1C_S1E_T6_T7_T9_mT8_S1G_bDpT10_ENKUlT_T0_E_clISt17integral_constantIbLb1EES1U_EEDaS1P_S1Q_EUlS1P_E_NS1_11comp_targetILNS1_3genE5ELNS1_11target_archE942ELNS1_3gpuE9ELNS1_3repE0EEENS1_30default_config_static_selectorELNS0_4arch9wavefront6targetE0EEEvS12_,comdat
.Lfunc_end545:
	.size	_ZN7rocprim17ROCPRIM_400000_NS6detail17trampoline_kernelINS0_13select_configILj256ELj13ELNS0_17block_load_methodE3ELS4_3ELS4_3ELNS0_20block_scan_algorithmE0ELj4294967295EEENS1_25partition_config_selectorILNS1_17partition_subalgoE4EjNS0_10empty_typeEbEEZZNS1_14partition_implILS8_4ELb0ES6_15HIP_vector_typeIjLj2EENS0_17counting_iteratorIjlEEPS9_SG_NS0_5tupleIJPjSI_NS0_16reverse_iteratorISI_EEEEENSH_IJSG_SG_SG_EEES9_SI_JZNS1_25segmented_radix_sort_implINS0_14default_configELb0EPKiPiPKlPlN2at6native12_GLOBAL__N_18offset_tEEE10hipError_tPvRmT1_PNSt15iterator_traitsIS12_E10value_typeET2_T3_PNS13_IS18_E10value_typeET4_jRbjT5_S1E_jjP12ihipStream_tbEUljE_ZNSN_ISO_Lb0ESQ_SR_ST_SU_SY_EESZ_S10_S11_S12_S16_S17_S18_S1B_S1C_jS1D_jS1E_S1E_jjS1G_bEUljE0_EEESZ_S10_S11_S18_S1C_S1E_T6_T7_T9_mT8_S1G_bDpT10_ENKUlT_T0_E_clISt17integral_constantIbLb1EES1U_EEDaS1P_S1Q_EUlS1P_E_NS1_11comp_targetILNS1_3genE5ELNS1_11target_archE942ELNS1_3gpuE9ELNS1_3repE0EEENS1_30default_config_static_selectorELNS0_4arch9wavefront6targetE0EEEvS12_, .Lfunc_end545-_ZN7rocprim17ROCPRIM_400000_NS6detail17trampoline_kernelINS0_13select_configILj256ELj13ELNS0_17block_load_methodE3ELS4_3ELS4_3ELNS0_20block_scan_algorithmE0ELj4294967295EEENS1_25partition_config_selectorILNS1_17partition_subalgoE4EjNS0_10empty_typeEbEEZZNS1_14partition_implILS8_4ELb0ES6_15HIP_vector_typeIjLj2EENS0_17counting_iteratorIjlEEPS9_SG_NS0_5tupleIJPjSI_NS0_16reverse_iteratorISI_EEEEENSH_IJSG_SG_SG_EEES9_SI_JZNS1_25segmented_radix_sort_implINS0_14default_configELb0EPKiPiPKlPlN2at6native12_GLOBAL__N_18offset_tEEE10hipError_tPvRmT1_PNSt15iterator_traitsIS12_E10value_typeET2_T3_PNS13_IS18_E10value_typeET4_jRbjT5_S1E_jjP12ihipStream_tbEUljE_ZNSN_ISO_Lb0ESQ_SR_ST_SU_SY_EESZ_S10_S11_S12_S16_S17_S18_S1B_S1C_jS1D_jS1E_S1E_jjS1G_bEUljE0_EEESZ_S10_S11_S18_S1C_S1E_T6_T7_T9_mT8_S1G_bDpT10_ENKUlT_T0_E_clISt17integral_constantIbLb1EES1U_EEDaS1P_S1Q_EUlS1P_E_NS1_11comp_targetILNS1_3genE5ELNS1_11target_archE942ELNS1_3gpuE9ELNS1_3repE0EEENS1_30default_config_static_selectorELNS0_4arch9wavefront6targetE0EEEvS12_
                                        ; -- End function
	.section	.AMDGPU.csdata,"",@progbits
; Kernel info:
; codeLenInByte = 0
; NumSgprs: 0
; NumVgprs: 0
; ScratchSize: 0
; MemoryBound: 0
; FloatMode: 240
; IeeeMode: 1
; LDSByteSize: 0 bytes/workgroup (compile time only)
; SGPRBlocks: 0
; VGPRBlocks: 0
; NumSGPRsForWavesPerEU: 1
; NumVGPRsForWavesPerEU: 1
; Occupancy: 16
; WaveLimiterHint : 0
; COMPUTE_PGM_RSRC2:SCRATCH_EN: 0
; COMPUTE_PGM_RSRC2:USER_SGPR: 15
; COMPUTE_PGM_RSRC2:TRAP_HANDLER: 0
; COMPUTE_PGM_RSRC2:TGID_X_EN: 1
; COMPUTE_PGM_RSRC2:TGID_Y_EN: 0
; COMPUTE_PGM_RSRC2:TGID_Z_EN: 0
; COMPUTE_PGM_RSRC2:TIDIG_COMP_CNT: 0
	.section	.text._ZN7rocprim17ROCPRIM_400000_NS6detail17trampoline_kernelINS0_13select_configILj256ELj13ELNS0_17block_load_methodE3ELS4_3ELS4_3ELNS0_20block_scan_algorithmE0ELj4294967295EEENS1_25partition_config_selectorILNS1_17partition_subalgoE4EjNS0_10empty_typeEbEEZZNS1_14partition_implILS8_4ELb0ES6_15HIP_vector_typeIjLj2EENS0_17counting_iteratorIjlEEPS9_SG_NS0_5tupleIJPjSI_NS0_16reverse_iteratorISI_EEEEENSH_IJSG_SG_SG_EEES9_SI_JZNS1_25segmented_radix_sort_implINS0_14default_configELb0EPKiPiPKlPlN2at6native12_GLOBAL__N_18offset_tEEE10hipError_tPvRmT1_PNSt15iterator_traitsIS12_E10value_typeET2_T3_PNS13_IS18_E10value_typeET4_jRbjT5_S1E_jjP12ihipStream_tbEUljE_ZNSN_ISO_Lb0ESQ_SR_ST_SU_SY_EESZ_S10_S11_S12_S16_S17_S18_S1B_S1C_jS1D_jS1E_S1E_jjS1G_bEUljE0_EEESZ_S10_S11_S18_S1C_S1E_T6_T7_T9_mT8_S1G_bDpT10_ENKUlT_T0_E_clISt17integral_constantIbLb1EES1U_EEDaS1P_S1Q_EUlS1P_E_NS1_11comp_targetILNS1_3genE4ELNS1_11target_archE910ELNS1_3gpuE8ELNS1_3repE0EEENS1_30default_config_static_selectorELNS0_4arch9wavefront6targetE0EEEvS12_,"axG",@progbits,_ZN7rocprim17ROCPRIM_400000_NS6detail17trampoline_kernelINS0_13select_configILj256ELj13ELNS0_17block_load_methodE3ELS4_3ELS4_3ELNS0_20block_scan_algorithmE0ELj4294967295EEENS1_25partition_config_selectorILNS1_17partition_subalgoE4EjNS0_10empty_typeEbEEZZNS1_14partition_implILS8_4ELb0ES6_15HIP_vector_typeIjLj2EENS0_17counting_iteratorIjlEEPS9_SG_NS0_5tupleIJPjSI_NS0_16reverse_iteratorISI_EEEEENSH_IJSG_SG_SG_EEES9_SI_JZNS1_25segmented_radix_sort_implINS0_14default_configELb0EPKiPiPKlPlN2at6native12_GLOBAL__N_18offset_tEEE10hipError_tPvRmT1_PNSt15iterator_traitsIS12_E10value_typeET2_T3_PNS13_IS18_E10value_typeET4_jRbjT5_S1E_jjP12ihipStream_tbEUljE_ZNSN_ISO_Lb0ESQ_SR_ST_SU_SY_EESZ_S10_S11_S12_S16_S17_S18_S1B_S1C_jS1D_jS1E_S1E_jjS1G_bEUljE0_EEESZ_S10_S11_S18_S1C_S1E_T6_T7_T9_mT8_S1G_bDpT10_ENKUlT_T0_E_clISt17integral_constantIbLb1EES1U_EEDaS1P_S1Q_EUlS1P_E_NS1_11comp_targetILNS1_3genE4ELNS1_11target_archE910ELNS1_3gpuE8ELNS1_3repE0EEENS1_30default_config_static_selectorELNS0_4arch9wavefront6targetE0EEEvS12_,comdat
	.globl	_ZN7rocprim17ROCPRIM_400000_NS6detail17trampoline_kernelINS0_13select_configILj256ELj13ELNS0_17block_load_methodE3ELS4_3ELS4_3ELNS0_20block_scan_algorithmE0ELj4294967295EEENS1_25partition_config_selectorILNS1_17partition_subalgoE4EjNS0_10empty_typeEbEEZZNS1_14partition_implILS8_4ELb0ES6_15HIP_vector_typeIjLj2EENS0_17counting_iteratorIjlEEPS9_SG_NS0_5tupleIJPjSI_NS0_16reverse_iteratorISI_EEEEENSH_IJSG_SG_SG_EEES9_SI_JZNS1_25segmented_radix_sort_implINS0_14default_configELb0EPKiPiPKlPlN2at6native12_GLOBAL__N_18offset_tEEE10hipError_tPvRmT1_PNSt15iterator_traitsIS12_E10value_typeET2_T3_PNS13_IS18_E10value_typeET4_jRbjT5_S1E_jjP12ihipStream_tbEUljE_ZNSN_ISO_Lb0ESQ_SR_ST_SU_SY_EESZ_S10_S11_S12_S16_S17_S18_S1B_S1C_jS1D_jS1E_S1E_jjS1G_bEUljE0_EEESZ_S10_S11_S18_S1C_S1E_T6_T7_T9_mT8_S1G_bDpT10_ENKUlT_T0_E_clISt17integral_constantIbLb1EES1U_EEDaS1P_S1Q_EUlS1P_E_NS1_11comp_targetILNS1_3genE4ELNS1_11target_archE910ELNS1_3gpuE8ELNS1_3repE0EEENS1_30default_config_static_selectorELNS0_4arch9wavefront6targetE0EEEvS12_ ; -- Begin function _ZN7rocprim17ROCPRIM_400000_NS6detail17trampoline_kernelINS0_13select_configILj256ELj13ELNS0_17block_load_methodE3ELS4_3ELS4_3ELNS0_20block_scan_algorithmE0ELj4294967295EEENS1_25partition_config_selectorILNS1_17partition_subalgoE4EjNS0_10empty_typeEbEEZZNS1_14partition_implILS8_4ELb0ES6_15HIP_vector_typeIjLj2EENS0_17counting_iteratorIjlEEPS9_SG_NS0_5tupleIJPjSI_NS0_16reverse_iteratorISI_EEEEENSH_IJSG_SG_SG_EEES9_SI_JZNS1_25segmented_radix_sort_implINS0_14default_configELb0EPKiPiPKlPlN2at6native12_GLOBAL__N_18offset_tEEE10hipError_tPvRmT1_PNSt15iterator_traitsIS12_E10value_typeET2_T3_PNS13_IS18_E10value_typeET4_jRbjT5_S1E_jjP12ihipStream_tbEUljE_ZNSN_ISO_Lb0ESQ_SR_ST_SU_SY_EESZ_S10_S11_S12_S16_S17_S18_S1B_S1C_jS1D_jS1E_S1E_jjS1G_bEUljE0_EEESZ_S10_S11_S18_S1C_S1E_T6_T7_T9_mT8_S1G_bDpT10_ENKUlT_T0_E_clISt17integral_constantIbLb1EES1U_EEDaS1P_S1Q_EUlS1P_E_NS1_11comp_targetILNS1_3genE4ELNS1_11target_archE910ELNS1_3gpuE8ELNS1_3repE0EEENS1_30default_config_static_selectorELNS0_4arch9wavefront6targetE0EEEvS12_
	.p2align	8
	.type	_ZN7rocprim17ROCPRIM_400000_NS6detail17trampoline_kernelINS0_13select_configILj256ELj13ELNS0_17block_load_methodE3ELS4_3ELS4_3ELNS0_20block_scan_algorithmE0ELj4294967295EEENS1_25partition_config_selectorILNS1_17partition_subalgoE4EjNS0_10empty_typeEbEEZZNS1_14partition_implILS8_4ELb0ES6_15HIP_vector_typeIjLj2EENS0_17counting_iteratorIjlEEPS9_SG_NS0_5tupleIJPjSI_NS0_16reverse_iteratorISI_EEEEENSH_IJSG_SG_SG_EEES9_SI_JZNS1_25segmented_radix_sort_implINS0_14default_configELb0EPKiPiPKlPlN2at6native12_GLOBAL__N_18offset_tEEE10hipError_tPvRmT1_PNSt15iterator_traitsIS12_E10value_typeET2_T3_PNS13_IS18_E10value_typeET4_jRbjT5_S1E_jjP12ihipStream_tbEUljE_ZNSN_ISO_Lb0ESQ_SR_ST_SU_SY_EESZ_S10_S11_S12_S16_S17_S18_S1B_S1C_jS1D_jS1E_S1E_jjS1G_bEUljE0_EEESZ_S10_S11_S18_S1C_S1E_T6_T7_T9_mT8_S1G_bDpT10_ENKUlT_T0_E_clISt17integral_constantIbLb1EES1U_EEDaS1P_S1Q_EUlS1P_E_NS1_11comp_targetILNS1_3genE4ELNS1_11target_archE910ELNS1_3gpuE8ELNS1_3repE0EEENS1_30default_config_static_selectorELNS0_4arch9wavefront6targetE0EEEvS12_,@function
_ZN7rocprim17ROCPRIM_400000_NS6detail17trampoline_kernelINS0_13select_configILj256ELj13ELNS0_17block_load_methodE3ELS4_3ELS4_3ELNS0_20block_scan_algorithmE0ELj4294967295EEENS1_25partition_config_selectorILNS1_17partition_subalgoE4EjNS0_10empty_typeEbEEZZNS1_14partition_implILS8_4ELb0ES6_15HIP_vector_typeIjLj2EENS0_17counting_iteratorIjlEEPS9_SG_NS0_5tupleIJPjSI_NS0_16reverse_iteratorISI_EEEEENSH_IJSG_SG_SG_EEES9_SI_JZNS1_25segmented_radix_sort_implINS0_14default_configELb0EPKiPiPKlPlN2at6native12_GLOBAL__N_18offset_tEEE10hipError_tPvRmT1_PNSt15iterator_traitsIS12_E10value_typeET2_T3_PNS13_IS18_E10value_typeET4_jRbjT5_S1E_jjP12ihipStream_tbEUljE_ZNSN_ISO_Lb0ESQ_SR_ST_SU_SY_EESZ_S10_S11_S12_S16_S17_S18_S1B_S1C_jS1D_jS1E_S1E_jjS1G_bEUljE0_EEESZ_S10_S11_S18_S1C_S1E_T6_T7_T9_mT8_S1G_bDpT10_ENKUlT_T0_E_clISt17integral_constantIbLb1EES1U_EEDaS1P_S1Q_EUlS1P_E_NS1_11comp_targetILNS1_3genE4ELNS1_11target_archE910ELNS1_3gpuE8ELNS1_3repE0EEENS1_30default_config_static_selectorELNS0_4arch9wavefront6targetE0EEEvS12_: ; @_ZN7rocprim17ROCPRIM_400000_NS6detail17trampoline_kernelINS0_13select_configILj256ELj13ELNS0_17block_load_methodE3ELS4_3ELS4_3ELNS0_20block_scan_algorithmE0ELj4294967295EEENS1_25partition_config_selectorILNS1_17partition_subalgoE4EjNS0_10empty_typeEbEEZZNS1_14partition_implILS8_4ELb0ES6_15HIP_vector_typeIjLj2EENS0_17counting_iteratorIjlEEPS9_SG_NS0_5tupleIJPjSI_NS0_16reverse_iteratorISI_EEEEENSH_IJSG_SG_SG_EEES9_SI_JZNS1_25segmented_radix_sort_implINS0_14default_configELb0EPKiPiPKlPlN2at6native12_GLOBAL__N_18offset_tEEE10hipError_tPvRmT1_PNSt15iterator_traitsIS12_E10value_typeET2_T3_PNS13_IS18_E10value_typeET4_jRbjT5_S1E_jjP12ihipStream_tbEUljE_ZNSN_ISO_Lb0ESQ_SR_ST_SU_SY_EESZ_S10_S11_S12_S16_S17_S18_S1B_S1C_jS1D_jS1E_S1E_jjS1G_bEUljE0_EEESZ_S10_S11_S18_S1C_S1E_T6_T7_T9_mT8_S1G_bDpT10_ENKUlT_T0_E_clISt17integral_constantIbLb1EES1U_EEDaS1P_S1Q_EUlS1P_E_NS1_11comp_targetILNS1_3genE4ELNS1_11target_archE910ELNS1_3gpuE8ELNS1_3repE0EEENS1_30default_config_static_selectorELNS0_4arch9wavefront6targetE0EEEvS12_
; %bb.0:
	.section	.rodata,"a",@progbits
	.p2align	6, 0x0
	.amdhsa_kernel _ZN7rocprim17ROCPRIM_400000_NS6detail17trampoline_kernelINS0_13select_configILj256ELj13ELNS0_17block_load_methodE3ELS4_3ELS4_3ELNS0_20block_scan_algorithmE0ELj4294967295EEENS1_25partition_config_selectorILNS1_17partition_subalgoE4EjNS0_10empty_typeEbEEZZNS1_14partition_implILS8_4ELb0ES6_15HIP_vector_typeIjLj2EENS0_17counting_iteratorIjlEEPS9_SG_NS0_5tupleIJPjSI_NS0_16reverse_iteratorISI_EEEEENSH_IJSG_SG_SG_EEES9_SI_JZNS1_25segmented_radix_sort_implINS0_14default_configELb0EPKiPiPKlPlN2at6native12_GLOBAL__N_18offset_tEEE10hipError_tPvRmT1_PNSt15iterator_traitsIS12_E10value_typeET2_T3_PNS13_IS18_E10value_typeET4_jRbjT5_S1E_jjP12ihipStream_tbEUljE_ZNSN_ISO_Lb0ESQ_SR_ST_SU_SY_EESZ_S10_S11_S12_S16_S17_S18_S1B_S1C_jS1D_jS1E_S1E_jjS1G_bEUljE0_EEESZ_S10_S11_S18_S1C_S1E_T6_T7_T9_mT8_S1G_bDpT10_ENKUlT_T0_E_clISt17integral_constantIbLb1EES1U_EEDaS1P_S1Q_EUlS1P_E_NS1_11comp_targetILNS1_3genE4ELNS1_11target_archE910ELNS1_3gpuE8ELNS1_3repE0EEENS1_30default_config_static_selectorELNS0_4arch9wavefront6targetE0EEEvS12_
		.amdhsa_group_segment_fixed_size 0
		.amdhsa_private_segment_fixed_size 0
		.amdhsa_kernarg_size 184
		.amdhsa_user_sgpr_count 15
		.amdhsa_user_sgpr_dispatch_ptr 0
		.amdhsa_user_sgpr_queue_ptr 0
		.amdhsa_user_sgpr_kernarg_segment_ptr 1
		.amdhsa_user_sgpr_dispatch_id 0
		.amdhsa_user_sgpr_private_segment_size 0
		.amdhsa_wavefront_size32 1
		.amdhsa_uses_dynamic_stack 0
		.amdhsa_enable_private_segment 0
		.amdhsa_system_sgpr_workgroup_id_x 1
		.amdhsa_system_sgpr_workgroup_id_y 0
		.amdhsa_system_sgpr_workgroup_id_z 0
		.amdhsa_system_sgpr_workgroup_info 0
		.amdhsa_system_vgpr_workitem_id 0
		.amdhsa_next_free_vgpr 1
		.amdhsa_next_free_sgpr 1
		.amdhsa_reserve_vcc 0
		.amdhsa_float_round_mode_32 0
		.amdhsa_float_round_mode_16_64 0
		.amdhsa_float_denorm_mode_32 3
		.amdhsa_float_denorm_mode_16_64 3
		.amdhsa_dx10_clamp 1
		.amdhsa_ieee_mode 1
		.amdhsa_fp16_overflow 0
		.amdhsa_workgroup_processor_mode 1
		.amdhsa_memory_ordered 1
		.amdhsa_forward_progress 0
		.amdhsa_shared_vgpr_count 0
		.amdhsa_exception_fp_ieee_invalid_op 0
		.amdhsa_exception_fp_denorm_src 0
		.amdhsa_exception_fp_ieee_div_zero 0
		.amdhsa_exception_fp_ieee_overflow 0
		.amdhsa_exception_fp_ieee_underflow 0
		.amdhsa_exception_fp_ieee_inexact 0
		.amdhsa_exception_int_div_zero 0
	.end_amdhsa_kernel
	.section	.text._ZN7rocprim17ROCPRIM_400000_NS6detail17trampoline_kernelINS0_13select_configILj256ELj13ELNS0_17block_load_methodE3ELS4_3ELS4_3ELNS0_20block_scan_algorithmE0ELj4294967295EEENS1_25partition_config_selectorILNS1_17partition_subalgoE4EjNS0_10empty_typeEbEEZZNS1_14partition_implILS8_4ELb0ES6_15HIP_vector_typeIjLj2EENS0_17counting_iteratorIjlEEPS9_SG_NS0_5tupleIJPjSI_NS0_16reverse_iteratorISI_EEEEENSH_IJSG_SG_SG_EEES9_SI_JZNS1_25segmented_radix_sort_implINS0_14default_configELb0EPKiPiPKlPlN2at6native12_GLOBAL__N_18offset_tEEE10hipError_tPvRmT1_PNSt15iterator_traitsIS12_E10value_typeET2_T3_PNS13_IS18_E10value_typeET4_jRbjT5_S1E_jjP12ihipStream_tbEUljE_ZNSN_ISO_Lb0ESQ_SR_ST_SU_SY_EESZ_S10_S11_S12_S16_S17_S18_S1B_S1C_jS1D_jS1E_S1E_jjS1G_bEUljE0_EEESZ_S10_S11_S18_S1C_S1E_T6_T7_T9_mT8_S1G_bDpT10_ENKUlT_T0_E_clISt17integral_constantIbLb1EES1U_EEDaS1P_S1Q_EUlS1P_E_NS1_11comp_targetILNS1_3genE4ELNS1_11target_archE910ELNS1_3gpuE8ELNS1_3repE0EEENS1_30default_config_static_selectorELNS0_4arch9wavefront6targetE0EEEvS12_,"axG",@progbits,_ZN7rocprim17ROCPRIM_400000_NS6detail17trampoline_kernelINS0_13select_configILj256ELj13ELNS0_17block_load_methodE3ELS4_3ELS4_3ELNS0_20block_scan_algorithmE0ELj4294967295EEENS1_25partition_config_selectorILNS1_17partition_subalgoE4EjNS0_10empty_typeEbEEZZNS1_14partition_implILS8_4ELb0ES6_15HIP_vector_typeIjLj2EENS0_17counting_iteratorIjlEEPS9_SG_NS0_5tupleIJPjSI_NS0_16reverse_iteratorISI_EEEEENSH_IJSG_SG_SG_EEES9_SI_JZNS1_25segmented_radix_sort_implINS0_14default_configELb0EPKiPiPKlPlN2at6native12_GLOBAL__N_18offset_tEEE10hipError_tPvRmT1_PNSt15iterator_traitsIS12_E10value_typeET2_T3_PNS13_IS18_E10value_typeET4_jRbjT5_S1E_jjP12ihipStream_tbEUljE_ZNSN_ISO_Lb0ESQ_SR_ST_SU_SY_EESZ_S10_S11_S12_S16_S17_S18_S1B_S1C_jS1D_jS1E_S1E_jjS1G_bEUljE0_EEESZ_S10_S11_S18_S1C_S1E_T6_T7_T9_mT8_S1G_bDpT10_ENKUlT_T0_E_clISt17integral_constantIbLb1EES1U_EEDaS1P_S1Q_EUlS1P_E_NS1_11comp_targetILNS1_3genE4ELNS1_11target_archE910ELNS1_3gpuE8ELNS1_3repE0EEENS1_30default_config_static_selectorELNS0_4arch9wavefront6targetE0EEEvS12_,comdat
.Lfunc_end546:
	.size	_ZN7rocprim17ROCPRIM_400000_NS6detail17trampoline_kernelINS0_13select_configILj256ELj13ELNS0_17block_load_methodE3ELS4_3ELS4_3ELNS0_20block_scan_algorithmE0ELj4294967295EEENS1_25partition_config_selectorILNS1_17partition_subalgoE4EjNS0_10empty_typeEbEEZZNS1_14partition_implILS8_4ELb0ES6_15HIP_vector_typeIjLj2EENS0_17counting_iteratorIjlEEPS9_SG_NS0_5tupleIJPjSI_NS0_16reverse_iteratorISI_EEEEENSH_IJSG_SG_SG_EEES9_SI_JZNS1_25segmented_radix_sort_implINS0_14default_configELb0EPKiPiPKlPlN2at6native12_GLOBAL__N_18offset_tEEE10hipError_tPvRmT1_PNSt15iterator_traitsIS12_E10value_typeET2_T3_PNS13_IS18_E10value_typeET4_jRbjT5_S1E_jjP12ihipStream_tbEUljE_ZNSN_ISO_Lb0ESQ_SR_ST_SU_SY_EESZ_S10_S11_S12_S16_S17_S18_S1B_S1C_jS1D_jS1E_S1E_jjS1G_bEUljE0_EEESZ_S10_S11_S18_S1C_S1E_T6_T7_T9_mT8_S1G_bDpT10_ENKUlT_T0_E_clISt17integral_constantIbLb1EES1U_EEDaS1P_S1Q_EUlS1P_E_NS1_11comp_targetILNS1_3genE4ELNS1_11target_archE910ELNS1_3gpuE8ELNS1_3repE0EEENS1_30default_config_static_selectorELNS0_4arch9wavefront6targetE0EEEvS12_, .Lfunc_end546-_ZN7rocprim17ROCPRIM_400000_NS6detail17trampoline_kernelINS0_13select_configILj256ELj13ELNS0_17block_load_methodE3ELS4_3ELS4_3ELNS0_20block_scan_algorithmE0ELj4294967295EEENS1_25partition_config_selectorILNS1_17partition_subalgoE4EjNS0_10empty_typeEbEEZZNS1_14partition_implILS8_4ELb0ES6_15HIP_vector_typeIjLj2EENS0_17counting_iteratorIjlEEPS9_SG_NS0_5tupleIJPjSI_NS0_16reverse_iteratorISI_EEEEENSH_IJSG_SG_SG_EEES9_SI_JZNS1_25segmented_radix_sort_implINS0_14default_configELb0EPKiPiPKlPlN2at6native12_GLOBAL__N_18offset_tEEE10hipError_tPvRmT1_PNSt15iterator_traitsIS12_E10value_typeET2_T3_PNS13_IS18_E10value_typeET4_jRbjT5_S1E_jjP12ihipStream_tbEUljE_ZNSN_ISO_Lb0ESQ_SR_ST_SU_SY_EESZ_S10_S11_S12_S16_S17_S18_S1B_S1C_jS1D_jS1E_S1E_jjS1G_bEUljE0_EEESZ_S10_S11_S18_S1C_S1E_T6_T7_T9_mT8_S1G_bDpT10_ENKUlT_T0_E_clISt17integral_constantIbLb1EES1U_EEDaS1P_S1Q_EUlS1P_E_NS1_11comp_targetILNS1_3genE4ELNS1_11target_archE910ELNS1_3gpuE8ELNS1_3repE0EEENS1_30default_config_static_selectorELNS0_4arch9wavefront6targetE0EEEvS12_
                                        ; -- End function
	.section	.AMDGPU.csdata,"",@progbits
; Kernel info:
; codeLenInByte = 0
; NumSgprs: 0
; NumVgprs: 0
; ScratchSize: 0
; MemoryBound: 0
; FloatMode: 240
; IeeeMode: 1
; LDSByteSize: 0 bytes/workgroup (compile time only)
; SGPRBlocks: 0
; VGPRBlocks: 0
; NumSGPRsForWavesPerEU: 1
; NumVGPRsForWavesPerEU: 1
; Occupancy: 16
; WaveLimiterHint : 0
; COMPUTE_PGM_RSRC2:SCRATCH_EN: 0
; COMPUTE_PGM_RSRC2:USER_SGPR: 15
; COMPUTE_PGM_RSRC2:TRAP_HANDLER: 0
; COMPUTE_PGM_RSRC2:TGID_X_EN: 1
; COMPUTE_PGM_RSRC2:TGID_Y_EN: 0
; COMPUTE_PGM_RSRC2:TGID_Z_EN: 0
; COMPUTE_PGM_RSRC2:TIDIG_COMP_CNT: 0
	.section	.text._ZN7rocprim17ROCPRIM_400000_NS6detail17trampoline_kernelINS0_13select_configILj256ELj13ELNS0_17block_load_methodE3ELS4_3ELS4_3ELNS0_20block_scan_algorithmE0ELj4294967295EEENS1_25partition_config_selectorILNS1_17partition_subalgoE4EjNS0_10empty_typeEbEEZZNS1_14partition_implILS8_4ELb0ES6_15HIP_vector_typeIjLj2EENS0_17counting_iteratorIjlEEPS9_SG_NS0_5tupleIJPjSI_NS0_16reverse_iteratorISI_EEEEENSH_IJSG_SG_SG_EEES9_SI_JZNS1_25segmented_radix_sort_implINS0_14default_configELb0EPKiPiPKlPlN2at6native12_GLOBAL__N_18offset_tEEE10hipError_tPvRmT1_PNSt15iterator_traitsIS12_E10value_typeET2_T3_PNS13_IS18_E10value_typeET4_jRbjT5_S1E_jjP12ihipStream_tbEUljE_ZNSN_ISO_Lb0ESQ_SR_ST_SU_SY_EESZ_S10_S11_S12_S16_S17_S18_S1B_S1C_jS1D_jS1E_S1E_jjS1G_bEUljE0_EEESZ_S10_S11_S18_S1C_S1E_T6_T7_T9_mT8_S1G_bDpT10_ENKUlT_T0_E_clISt17integral_constantIbLb1EES1U_EEDaS1P_S1Q_EUlS1P_E_NS1_11comp_targetILNS1_3genE3ELNS1_11target_archE908ELNS1_3gpuE7ELNS1_3repE0EEENS1_30default_config_static_selectorELNS0_4arch9wavefront6targetE0EEEvS12_,"axG",@progbits,_ZN7rocprim17ROCPRIM_400000_NS6detail17trampoline_kernelINS0_13select_configILj256ELj13ELNS0_17block_load_methodE3ELS4_3ELS4_3ELNS0_20block_scan_algorithmE0ELj4294967295EEENS1_25partition_config_selectorILNS1_17partition_subalgoE4EjNS0_10empty_typeEbEEZZNS1_14partition_implILS8_4ELb0ES6_15HIP_vector_typeIjLj2EENS0_17counting_iteratorIjlEEPS9_SG_NS0_5tupleIJPjSI_NS0_16reverse_iteratorISI_EEEEENSH_IJSG_SG_SG_EEES9_SI_JZNS1_25segmented_radix_sort_implINS0_14default_configELb0EPKiPiPKlPlN2at6native12_GLOBAL__N_18offset_tEEE10hipError_tPvRmT1_PNSt15iterator_traitsIS12_E10value_typeET2_T3_PNS13_IS18_E10value_typeET4_jRbjT5_S1E_jjP12ihipStream_tbEUljE_ZNSN_ISO_Lb0ESQ_SR_ST_SU_SY_EESZ_S10_S11_S12_S16_S17_S18_S1B_S1C_jS1D_jS1E_S1E_jjS1G_bEUljE0_EEESZ_S10_S11_S18_S1C_S1E_T6_T7_T9_mT8_S1G_bDpT10_ENKUlT_T0_E_clISt17integral_constantIbLb1EES1U_EEDaS1P_S1Q_EUlS1P_E_NS1_11comp_targetILNS1_3genE3ELNS1_11target_archE908ELNS1_3gpuE7ELNS1_3repE0EEENS1_30default_config_static_selectorELNS0_4arch9wavefront6targetE0EEEvS12_,comdat
	.globl	_ZN7rocprim17ROCPRIM_400000_NS6detail17trampoline_kernelINS0_13select_configILj256ELj13ELNS0_17block_load_methodE3ELS4_3ELS4_3ELNS0_20block_scan_algorithmE0ELj4294967295EEENS1_25partition_config_selectorILNS1_17partition_subalgoE4EjNS0_10empty_typeEbEEZZNS1_14partition_implILS8_4ELb0ES6_15HIP_vector_typeIjLj2EENS0_17counting_iteratorIjlEEPS9_SG_NS0_5tupleIJPjSI_NS0_16reverse_iteratorISI_EEEEENSH_IJSG_SG_SG_EEES9_SI_JZNS1_25segmented_radix_sort_implINS0_14default_configELb0EPKiPiPKlPlN2at6native12_GLOBAL__N_18offset_tEEE10hipError_tPvRmT1_PNSt15iterator_traitsIS12_E10value_typeET2_T3_PNS13_IS18_E10value_typeET4_jRbjT5_S1E_jjP12ihipStream_tbEUljE_ZNSN_ISO_Lb0ESQ_SR_ST_SU_SY_EESZ_S10_S11_S12_S16_S17_S18_S1B_S1C_jS1D_jS1E_S1E_jjS1G_bEUljE0_EEESZ_S10_S11_S18_S1C_S1E_T6_T7_T9_mT8_S1G_bDpT10_ENKUlT_T0_E_clISt17integral_constantIbLb1EES1U_EEDaS1P_S1Q_EUlS1P_E_NS1_11comp_targetILNS1_3genE3ELNS1_11target_archE908ELNS1_3gpuE7ELNS1_3repE0EEENS1_30default_config_static_selectorELNS0_4arch9wavefront6targetE0EEEvS12_ ; -- Begin function _ZN7rocprim17ROCPRIM_400000_NS6detail17trampoline_kernelINS0_13select_configILj256ELj13ELNS0_17block_load_methodE3ELS4_3ELS4_3ELNS0_20block_scan_algorithmE0ELj4294967295EEENS1_25partition_config_selectorILNS1_17partition_subalgoE4EjNS0_10empty_typeEbEEZZNS1_14partition_implILS8_4ELb0ES6_15HIP_vector_typeIjLj2EENS0_17counting_iteratorIjlEEPS9_SG_NS0_5tupleIJPjSI_NS0_16reverse_iteratorISI_EEEEENSH_IJSG_SG_SG_EEES9_SI_JZNS1_25segmented_radix_sort_implINS0_14default_configELb0EPKiPiPKlPlN2at6native12_GLOBAL__N_18offset_tEEE10hipError_tPvRmT1_PNSt15iterator_traitsIS12_E10value_typeET2_T3_PNS13_IS18_E10value_typeET4_jRbjT5_S1E_jjP12ihipStream_tbEUljE_ZNSN_ISO_Lb0ESQ_SR_ST_SU_SY_EESZ_S10_S11_S12_S16_S17_S18_S1B_S1C_jS1D_jS1E_S1E_jjS1G_bEUljE0_EEESZ_S10_S11_S18_S1C_S1E_T6_T7_T9_mT8_S1G_bDpT10_ENKUlT_T0_E_clISt17integral_constantIbLb1EES1U_EEDaS1P_S1Q_EUlS1P_E_NS1_11comp_targetILNS1_3genE3ELNS1_11target_archE908ELNS1_3gpuE7ELNS1_3repE0EEENS1_30default_config_static_selectorELNS0_4arch9wavefront6targetE0EEEvS12_
	.p2align	8
	.type	_ZN7rocprim17ROCPRIM_400000_NS6detail17trampoline_kernelINS0_13select_configILj256ELj13ELNS0_17block_load_methodE3ELS4_3ELS4_3ELNS0_20block_scan_algorithmE0ELj4294967295EEENS1_25partition_config_selectorILNS1_17partition_subalgoE4EjNS0_10empty_typeEbEEZZNS1_14partition_implILS8_4ELb0ES6_15HIP_vector_typeIjLj2EENS0_17counting_iteratorIjlEEPS9_SG_NS0_5tupleIJPjSI_NS0_16reverse_iteratorISI_EEEEENSH_IJSG_SG_SG_EEES9_SI_JZNS1_25segmented_radix_sort_implINS0_14default_configELb0EPKiPiPKlPlN2at6native12_GLOBAL__N_18offset_tEEE10hipError_tPvRmT1_PNSt15iterator_traitsIS12_E10value_typeET2_T3_PNS13_IS18_E10value_typeET4_jRbjT5_S1E_jjP12ihipStream_tbEUljE_ZNSN_ISO_Lb0ESQ_SR_ST_SU_SY_EESZ_S10_S11_S12_S16_S17_S18_S1B_S1C_jS1D_jS1E_S1E_jjS1G_bEUljE0_EEESZ_S10_S11_S18_S1C_S1E_T6_T7_T9_mT8_S1G_bDpT10_ENKUlT_T0_E_clISt17integral_constantIbLb1EES1U_EEDaS1P_S1Q_EUlS1P_E_NS1_11comp_targetILNS1_3genE3ELNS1_11target_archE908ELNS1_3gpuE7ELNS1_3repE0EEENS1_30default_config_static_selectorELNS0_4arch9wavefront6targetE0EEEvS12_,@function
_ZN7rocprim17ROCPRIM_400000_NS6detail17trampoline_kernelINS0_13select_configILj256ELj13ELNS0_17block_load_methodE3ELS4_3ELS4_3ELNS0_20block_scan_algorithmE0ELj4294967295EEENS1_25partition_config_selectorILNS1_17partition_subalgoE4EjNS0_10empty_typeEbEEZZNS1_14partition_implILS8_4ELb0ES6_15HIP_vector_typeIjLj2EENS0_17counting_iteratorIjlEEPS9_SG_NS0_5tupleIJPjSI_NS0_16reverse_iteratorISI_EEEEENSH_IJSG_SG_SG_EEES9_SI_JZNS1_25segmented_radix_sort_implINS0_14default_configELb0EPKiPiPKlPlN2at6native12_GLOBAL__N_18offset_tEEE10hipError_tPvRmT1_PNSt15iterator_traitsIS12_E10value_typeET2_T3_PNS13_IS18_E10value_typeET4_jRbjT5_S1E_jjP12ihipStream_tbEUljE_ZNSN_ISO_Lb0ESQ_SR_ST_SU_SY_EESZ_S10_S11_S12_S16_S17_S18_S1B_S1C_jS1D_jS1E_S1E_jjS1G_bEUljE0_EEESZ_S10_S11_S18_S1C_S1E_T6_T7_T9_mT8_S1G_bDpT10_ENKUlT_T0_E_clISt17integral_constantIbLb1EES1U_EEDaS1P_S1Q_EUlS1P_E_NS1_11comp_targetILNS1_3genE3ELNS1_11target_archE908ELNS1_3gpuE7ELNS1_3repE0EEENS1_30default_config_static_selectorELNS0_4arch9wavefront6targetE0EEEvS12_: ; @_ZN7rocprim17ROCPRIM_400000_NS6detail17trampoline_kernelINS0_13select_configILj256ELj13ELNS0_17block_load_methodE3ELS4_3ELS4_3ELNS0_20block_scan_algorithmE0ELj4294967295EEENS1_25partition_config_selectorILNS1_17partition_subalgoE4EjNS0_10empty_typeEbEEZZNS1_14partition_implILS8_4ELb0ES6_15HIP_vector_typeIjLj2EENS0_17counting_iteratorIjlEEPS9_SG_NS0_5tupleIJPjSI_NS0_16reverse_iteratorISI_EEEEENSH_IJSG_SG_SG_EEES9_SI_JZNS1_25segmented_radix_sort_implINS0_14default_configELb0EPKiPiPKlPlN2at6native12_GLOBAL__N_18offset_tEEE10hipError_tPvRmT1_PNSt15iterator_traitsIS12_E10value_typeET2_T3_PNS13_IS18_E10value_typeET4_jRbjT5_S1E_jjP12ihipStream_tbEUljE_ZNSN_ISO_Lb0ESQ_SR_ST_SU_SY_EESZ_S10_S11_S12_S16_S17_S18_S1B_S1C_jS1D_jS1E_S1E_jjS1G_bEUljE0_EEESZ_S10_S11_S18_S1C_S1E_T6_T7_T9_mT8_S1G_bDpT10_ENKUlT_T0_E_clISt17integral_constantIbLb1EES1U_EEDaS1P_S1Q_EUlS1P_E_NS1_11comp_targetILNS1_3genE3ELNS1_11target_archE908ELNS1_3gpuE7ELNS1_3repE0EEENS1_30default_config_static_selectorELNS0_4arch9wavefront6targetE0EEEvS12_
; %bb.0:
	.section	.rodata,"a",@progbits
	.p2align	6, 0x0
	.amdhsa_kernel _ZN7rocprim17ROCPRIM_400000_NS6detail17trampoline_kernelINS0_13select_configILj256ELj13ELNS0_17block_load_methodE3ELS4_3ELS4_3ELNS0_20block_scan_algorithmE0ELj4294967295EEENS1_25partition_config_selectorILNS1_17partition_subalgoE4EjNS0_10empty_typeEbEEZZNS1_14partition_implILS8_4ELb0ES6_15HIP_vector_typeIjLj2EENS0_17counting_iteratorIjlEEPS9_SG_NS0_5tupleIJPjSI_NS0_16reverse_iteratorISI_EEEEENSH_IJSG_SG_SG_EEES9_SI_JZNS1_25segmented_radix_sort_implINS0_14default_configELb0EPKiPiPKlPlN2at6native12_GLOBAL__N_18offset_tEEE10hipError_tPvRmT1_PNSt15iterator_traitsIS12_E10value_typeET2_T3_PNS13_IS18_E10value_typeET4_jRbjT5_S1E_jjP12ihipStream_tbEUljE_ZNSN_ISO_Lb0ESQ_SR_ST_SU_SY_EESZ_S10_S11_S12_S16_S17_S18_S1B_S1C_jS1D_jS1E_S1E_jjS1G_bEUljE0_EEESZ_S10_S11_S18_S1C_S1E_T6_T7_T9_mT8_S1G_bDpT10_ENKUlT_T0_E_clISt17integral_constantIbLb1EES1U_EEDaS1P_S1Q_EUlS1P_E_NS1_11comp_targetILNS1_3genE3ELNS1_11target_archE908ELNS1_3gpuE7ELNS1_3repE0EEENS1_30default_config_static_selectorELNS0_4arch9wavefront6targetE0EEEvS12_
		.amdhsa_group_segment_fixed_size 0
		.amdhsa_private_segment_fixed_size 0
		.amdhsa_kernarg_size 184
		.amdhsa_user_sgpr_count 15
		.amdhsa_user_sgpr_dispatch_ptr 0
		.amdhsa_user_sgpr_queue_ptr 0
		.amdhsa_user_sgpr_kernarg_segment_ptr 1
		.amdhsa_user_sgpr_dispatch_id 0
		.amdhsa_user_sgpr_private_segment_size 0
		.amdhsa_wavefront_size32 1
		.amdhsa_uses_dynamic_stack 0
		.amdhsa_enable_private_segment 0
		.amdhsa_system_sgpr_workgroup_id_x 1
		.amdhsa_system_sgpr_workgroup_id_y 0
		.amdhsa_system_sgpr_workgroup_id_z 0
		.amdhsa_system_sgpr_workgroup_info 0
		.amdhsa_system_vgpr_workitem_id 0
		.amdhsa_next_free_vgpr 1
		.amdhsa_next_free_sgpr 1
		.amdhsa_reserve_vcc 0
		.amdhsa_float_round_mode_32 0
		.amdhsa_float_round_mode_16_64 0
		.amdhsa_float_denorm_mode_32 3
		.amdhsa_float_denorm_mode_16_64 3
		.amdhsa_dx10_clamp 1
		.amdhsa_ieee_mode 1
		.amdhsa_fp16_overflow 0
		.amdhsa_workgroup_processor_mode 1
		.amdhsa_memory_ordered 1
		.amdhsa_forward_progress 0
		.amdhsa_shared_vgpr_count 0
		.amdhsa_exception_fp_ieee_invalid_op 0
		.amdhsa_exception_fp_denorm_src 0
		.amdhsa_exception_fp_ieee_div_zero 0
		.amdhsa_exception_fp_ieee_overflow 0
		.amdhsa_exception_fp_ieee_underflow 0
		.amdhsa_exception_fp_ieee_inexact 0
		.amdhsa_exception_int_div_zero 0
	.end_amdhsa_kernel
	.section	.text._ZN7rocprim17ROCPRIM_400000_NS6detail17trampoline_kernelINS0_13select_configILj256ELj13ELNS0_17block_load_methodE3ELS4_3ELS4_3ELNS0_20block_scan_algorithmE0ELj4294967295EEENS1_25partition_config_selectorILNS1_17partition_subalgoE4EjNS0_10empty_typeEbEEZZNS1_14partition_implILS8_4ELb0ES6_15HIP_vector_typeIjLj2EENS0_17counting_iteratorIjlEEPS9_SG_NS0_5tupleIJPjSI_NS0_16reverse_iteratorISI_EEEEENSH_IJSG_SG_SG_EEES9_SI_JZNS1_25segmented_radix_sort_implINS0_14default_configELb0EPKiPiPKlPlN2at6native12_GLOBAL__N_18offset_tEEE10hipError_tPvRmT1_PNSt15iterator_traitsIS12_E10value_typeET2_T3_PNS13_IS18_E10value_typeET4_jRbjT5_S1E_jjP12ihipStream_tbEUljE_ZNSN_ISO_Lb0ESQ_SR_ST_SU_SY_EESZ_S10_S11_S12_S16_S17_S18_S1B_S1C_jS1D_jS1E_S1E_jjS1G_bEUljE0_EEESZ_S10_S11_S18_S1C_S1E_T6_T7_T9_mT8_S1G_bDpT10_ENKUlT_T0_E_clISt17integral_constantIbLb1EES1U_EEDaS1P_S1Q_EUlS1P_E_NS1_11comp_targetILNS1_3genE3ELNS1_11target_archE908ELNS1_3gpuE7ELNS1_3repE0EEENS1_30default_config_static_selectorELNS0_4arch9wavefront6targetE0EEEvS12_,"axG",@progbits,_ZN7rocprim17ROCPRIM_400000_NS6detail17trampoline_kernelINS0_13select_configILj256ELj13ELNS0_17block_load_methodE3ELS4_3ELS4_3ELNS0_20block_scan_algorithmE0ELj4294967295EEENS1_25partition_config_selectorILNS1_17partition_subalgoE4EjNS0_10empty_typeEbEEZZNS1_14partition_implILS8_4ELb0ES6_15HIP_vector_typeIjLj2EENS0_17counting_iteratorIjlEEPS9_SG_NS0_5tupleIJPjSI_NS0_16reverse_iteratorISI_EEEEENSH_IJSG_SG_SG_EEES9_SI_JZNS1_25segmented_radix_sort_implINS0_14default_configELb0EPKiPiPKlPlN2at6native12_GLOBAL__N_18offset_tEEE10hipError_tPvRmT1_PNSt15iterator_traitsIS12_E10value_typeET2_T3_PNS13_IS18_E10value_typeET4_jRbjT5_S1E_jjP12ihipStream_tbEUljE_ZNSN_ISO_Lb0ESQ_SR_ST_SU_SY_EESZ_S10_S11_S12_S16_S17_S18_S1B_S1C_jS1D_jS1E_S1E_jjS1G_bEUljE0_EEESZ_S10_S11_S18_S1C_S1E_T6_T7_T9_mT8_S1G_bDpT10_ENKUlT_T0_E_clISt17integral_constantIbLb1EES1U_EEDaS1P_S1Q_EUlS1P_E_NS1_11comp_targetILNS1_3genE3ELNS1_11target_archE908ELNS1_3gpuE7ELNS1_3repE0EEENS1_30default_config_static_selectorELNS0_4arch9wavefront6targetE0EEEvS12_,comdat
.Lfunc_end547:
	.size	_ZN7rocprim17ROCPRIM_400000_NS6detail17trampoline_kernelINS0_13select_configILj256ELj13ELNS0_17block_load_methodE3ELS4_3ELS4_3ELNS0_20block_scan_algorithmE0ELj4294967295EEENS1_25partition_config_selectorILNS1_17partition_subalgoE4EjNS0_10empty_typeEbEEZZNS1_14partition_implILS8_4ELb0ES6_15HIP_vector_typeIjLj2EENS0_17counting_iteratorIjlEEPS9_SG_NS0_5tupleIJPjSI_NS0_16reverse_iteratorISI_EEEEENSH_IJSG_SG_SG_EEES9_SI_JZNS1_25segmented_radix_sort_implINS0_14default_configELb0EPKiPiPKlPlN2at6native12_GLOBAL__N_18offset_tEEE10hipError_tPvRmT1_PNSt15iterator_traitsIS12_E10value_typeET2_T3_PNS13_IS18_E10value_typeET4_jRbjT5_S1E_jjP12ihipStream_tbEUljE_ZNSN_ISO_Lb0ESQ_SR_ST_SU_SY_EESZ_S10_S11_S12_S16_S17_S18_S1B_S1C_jS1D_jS1E_S1E_jjS1G_bEUljE0_EEESZ_S10_S11_S18_S1C_S1E_T6_T7_T9_mT8_S1G_bDpT10_ENKUlT_T0_E_clISt17integral_constantIbLb1EES1U_EEDaS1P_S1Q_EUlS1P_E_NS1_11comp_targetILNS1_3genE3ELNS1_11target_archE908ELNS1_3gpuE7ELNS1_3repE0EEENS1_30default_config_static_selectorELNS0_4arch9wavefront6targetE0EEEvS12_, .Lfunc_end547-_ZN7rocprim17ROCPRIM_400000_NS6detail17trampoline_kernelINS0_13select_configILj256ELj13ELNS0_17block_load_methodE3ELS4_3ELS4_3ELNS0_20block_scan_algorithmE0ELj4294967295EEENS1_25partition_config_selectorILNS1_17partition_subalgoE4EjNS0_10empty_typeEbEEZZNS1_14partition_implILS8_4ELb0ES6_15HIP_vector_typeIjLj2EENS0_17counting_iteratorIjlEEPS9_SG_NS0_5tupleIJPjSI_NS0_16reverse_iteratorISI_EEEEENSH_IJSG_SG_SG_EEES9_SI_JZNS1_25segmented_radix_sort_implINS0_14default_configELb0EPKiPiPKlPlN2at6native12_GLOBAL__N_18offset_tEEE10hipError_tPvRmT1_PNSt15iterator_traitsIS12_E10value_typeET2_T3_PNS13_IS18_E10value_typeET4_jRbjT5_S1E_jjP12ihipStream_tbEUljE_ZNSN_ISO_Lb0ESQ_SR_ST_SU_SY_EESZ_S10_S11_S12_S16_S17_S18_S1B_S1C_jS1D_jS1E_S1E_jjS1G_bEUljE0_EEESZ_S10_S11_S18_S1C_S1E_T6_T7_T9_mT8_S1G_bDpT10_ENKUlT_T0_E_clISt17integral_constantIbLb1EES1U_EEDaS1P_S1Q_EUlS1P_E_NS1_11comp_targetILNS1_3genE3ELNS1_11target_archE908ELNS1_3gpuE7ELNS1_3repE0EEENS1_30default_config_static_selectorELNS0_4arch9wavefront6targetE0EEEvS12_
                                        ; -- End function
	.section	.AMDGPU.csdata,"",@progbits
; Kernel info:
; codeLenInByte = 0
; NumSgprs: 0
; NumVgprs: 0
; ScratchSize: 0
; MemoryBound: 0
; FloatMode: 240
; IeeeMode: 1
; LDSByteSize: 0 bytes/workgroup (compile time only)
; SGPRBlocks: 0
; VGPRBlocks: 0
; NumSGPRsForWavesPerEU: 1
; NumVGPRsForWavesPerEU: 1
; Occupancy: 16
; WaveLimiterHint : 0
; COMPUTE_PGM_RSRC2:SCRATCH_EN: 0
; COMPUTE_PGM_RSRC2:USER_SGPR: 15
; COMPUTE_PGM_RSRC2:TRAP_HANDLER: 0
; COMPUTE_PGM_RSRC2:TGID_X_EN: 1
; COMPUTE_PGM_RSRC2:TGID_Y_EN: 0
; COMPUTE_PGM_RSRC2:TGID_Z_EN: 0
; COMPUTE_PGM_RSRC2:TIDIG_COMP_CNT: 0
	.section	.text._ZN7rocprim17ROCPRIM_400000_NS6detail17trampoline_kernelINS0_13select_configILj256ELj13ELNS0_17block_load_methodE3ELS4_3ELS4_3ELNS0_20block_scan_algorithmE0ELj4294967295EEENS1_25partition_config_selectorILNS1_17partition_subalgoE4EjNS0_10empty_typeEbEEZZNS1_14partition_implILS8_4ELb0ES6_15HIP_vector_typeIjLj2EENS0_17counting_iteratorIjlEEPS9_SG_NS0_5tupleIJPjSI_NS0_16reverse_iteratorISI_EEEEENSH_IJSG_SG_SG_EEES9_SI_JZNS1_25segmented_radix_sort_implINS0_14default_configELb0EPKiPiPKlPlN2at6native12_GLOBAL__N_18offset_tEEE10hipError_tPvRmT1_PNSt15iterator_traitsIS12_E10value_typeET2_T3_PNS13_IS18_E10value_typeET4_jRbjT5_S1E_jjP12ihipStream_tbEUljE_ZNSN_ISO_Lb0ESQ_SR_ST_SU_SY_EESZ_S10_S11_S12_S16_S17_S18_S1B_S1C_jS1D_jS1E_S1E_jjS1G_bEUljE0_EEESZ_S10_S11_S18_S1C_S1E_T6_T7_T9_mT8_S1G_bDpT10_ENKUlT_T0_E_clISt17integral_constantIbLb1EES1U_EEDaS1P_S1Q_EUlS1P_E_NS1_11comp_targetILNS1_3genE2ELNS1_11target_archE906ELNS1_3gpuE6ELNS1_3repE0EEENS1_30default_config_static_selectorELNS0_4arch9wavefront6targetE0EEEvS12_,"axG",@progbits,_ZN7rocprim17ROCPRIM_400000_NS6detail17trampoline_kernelINS0_13select_configILj256ELj13ELNS0_17block_load_methodE3ELS4_3ELS4_3ELNS0_20block_scan_algorithmE0ELj4294967295EEENS1_25partition_config_selectorILNS1_17partition_subalgoE4EjNS0_10empty_typeEbEEZZNS1_14partition_implILS8_4ELb0ES6_15HIP_vector_typeIjLj2EENS0_17counting_iteratorIjlEEPS9_SG_NS0_5tupleIJPjSI_NS0_16reverse_iteratorISI_EEEEENSH_IJSG_SG_SG_EEES9_SI_JZNS1_25segmented_radix_sort_implINS0_14default_configELb0EPKiPiPKlPlN2at6native12_GLOBAL__N_18offset_tEEE10hipError_tPvRmT1_PNSt15iterator_traitsIS12_E10value_typeET2_T3_PNS13_IS18_E10value_typeET4_jRbjT5_S1E_jjP12ihipStream_tbEUljE_ZNSN_ISO_Lb0ESQ_SR_ST_SU_SY_EESZ_S10_S11_S12_S16_S17_S18_S1B_S1C_jS1D_jS1E_S1E_jjS1G_bEUljE0_EEESZ_S10_S11_S18_S1C_S1E_T6_T7_T9_mT8_S1G_bDpT10_ENKUlT_T0_E_clISt17integral_constantIbLb1EES1U_EEDaS1P_S1Q_EUlS1P_E_NS1_11comp_targetILNS1_3genE2ELNS1_11target_archE906ELNS1_3gpuE6ELNS1_3repE0EEENS1_30default_config_static_selectorELNS0_4arch9wavefront6targetE0EEEvS12_,comdat
	.globl	_ZN7rocprim17ROCPRIM_400000_NS6detail17trampoline_kernelINS0_13select_configILj256ELj13ELNS0_17block_load_methodE3ELS4_3ELS4_3ELNS0_20block_scan_algorithmE0ELj4294967295EEENS1_25partition_config_selectorILNS1_17partition_subalgoE4EjNS0_10empty_typeEbEEZZNS1_14partition_implILS8_4ELb0ES6_15HIP_vector_typeIjLj2EENS0_17counting_iteratorIjlEEPS9_SG_NS0_5tupleIJPjSI_NS0_16reverse_iteratorISI_EEEEENSH_IJSG_SG_SG_EEES9_SI_JZNS1_25segmented_radix_sort_implINS0_14default_configELb0EPKiPiPKlPlN2at6native12_GLOBAL__N_18offset_tEEE10hipError_tPvRmT1_PNSt15iterator_traitsIS12_E10value_typeET2_T3_PNS13_IS18_E10value_typeET4_jRbjT5_S1E_jjP12ihipStream_tbEUljE_ZNSN_ISO_Lb0ESQ_SR_ST_SU_SY_EESZ_S10_S11_S12_S16_S17_S18_S1B_S1C_jS1D_jS1E_S1E_jjS1G_bEUljE0_EEESZ_S10_S11_S18_S1C_S1E_T6_T7_T9_mT8_S1G_bDpT10_ENKUlT_T0_E_clISt17integral_constantIbLb1EES1U_EEDaS1P_S1Q_EUlS1P_E_NS1_11comp_targetILNS1_3genE2ELNS1_11target_archE906ELNS1_3gpuE6ELNS1_3repE0EEENS1_30default_config_static_selectorELNS0_4arch9wavefront6targetE0EEEvS12_ ; -- Begin function _ZN7rocprim17ROCPRIM_400000_NS6detail17trampoline_kernelINS0_13select_configILj256ELj13ELNS0_17block_load_methodE3ELS4_3ELS4_3ELNS0_20block_scan_algorithmE0ELj4294967295EEENS1_25partition_config_selectorILNS1_17partition_subalgoE4EjNS0_10empty_typeEbEEZZNS1_14partition_implILS8_4ELb0ES6_15HIP_vector_typeIjLj2EENS0_17counting_iteratorIjlEEPS9_SG_NS0_5tupleIJPjSI_NS0_16reverse_iteratorISI_EEEEENSH_IJSG_SG_SG_EEES9_SI_JZNS1_25segmented_radix_sort_implINS0_14default_configELb0EPKiPiPKlPlN2at6native12_GLOBAL__N_18offset_tEEE10hipError_tPvRmT1_PNSt15iterator_traitsIS12_E10value_typeET2_T3_PNS13_IS18_E10value_typeET4_jRbjT5_S1E_jjP12ihipStream_tbEUljE_ZNSN_ISO_Lb0ESQ_SR_ST_SU_SY_EESZ_S10_S11_S12_S16_S17_S18_S1B_S1C_jS1D_jS1E_S1E_jjS1G_bEUljE0_EEESZ_S10_S11_S18_S1C_S1E_T6_T7_T9_mT8_S1G_bDpT10_ENKUlT_T0_E_clISt17integral_constantIbLb1EES1U_EEDaS1P_S1Q_EUlS1P_E_NS1_11comp_targetILNS1_3genE2ELNS1_11target_archE906ELNS1_3gpuE6ELNS1_3repE0EEENS1_30default_config_static_selectorELNS0_4arch9wavefront6targetE0EEEvS12_
	.p2align	8
	.type	_ZN7rocprim17ROCPRIM_400000_NS6detail17trampoline_kernelINS0_13select_configILj256ELj13ELNS0_17block_load_methodE3ELS4_3ELS4_3ELNS0_20block_scan_algorithmE0ELj4294967295EEENS1_25partition_config_selectorILNS1_17partition_subalgoE4EjNS0_10empty_typeEbEEZZNS1_14partition_implILS8_4ELb0ES6_15HIP_vector_typeIjLj2EENS0_17counting_iteratorIjlEEPS9_SG_NS0_5tupleIJPjSI_NS0_16reverse_iteratorISI_EEEEENSH_IJSG_SG_SG_EEES9_SI_JZNS1_25segmented_radix_sort_implINS0_14default_configELb0EPKiPiPKlPlN2at6native12_GLOBAL__N_18offset_tEEE10hipError_tPvRmT1_PNSt15iterator_traitsIS12_E10value_typeET2_T3_PNS13_IS18_E10value_typeET4_jRbjT5_S1E_jjP12ihipStream_tbEUljE_ZNSN_ISO_Lb0ESQ_SR_ST_SU_SY_EESZ_S10_S11_S12_S16_S17_S18_S1B_S1C_jS1D_jS1E_S1E_jjS1G_bEUljE0_EEESZ_S10_S11_S18_S1C_S1E_T6_T7_T9_mT8_S1G_bDpT10_ENKUlT_T0_E_clISt17integral_constantIbLb1EES1U_EEDaS1P_S1Q_EUlS1P_E_NS1_11comp_targetILNS1_3genE2ELNS1_11target_archE906ELNS1_3gpuE6ELNS1_3repE0EEENS1_30default_config_static_selectorELNS0_4arch9wavefront6targetE0EEEvS12_,@function
_ZN7rocprim17ROCPRIM_400000_NS6detail17trampoline_kernelINS0_13select_configILj256ELj13ELNS0_17block_load_methodE3ELS4_3ELS4_3ELNS0_20block_scan_algorithmE0ELj4294967295EEENS1_25partition_config_selectorILNS1_17partition_subalgoE4EjNS0_10empty_typeEbEEZZNS1_14partition_implILS8_4ELb0ES6_15HIP_vector_typeIjLj2EENS0_17counting_iteratorIjlEEPS9_SG_NS0_5tupleIJPjSI_NS0_16reverse_iteratorISI_EEEEENSH_IJSG_SG_SG_EEES9_SI_JZNS1_25segmented_radix_sort_implINS0_14default_configELb0EPKiPiPKlPlN2at6native12_GLOBAL__N_18offset_tEEE10hipError_tPvRmT1_PNSt15iterator_traitsIS12_E10value_typeET2_T3_PNS13_IS18_E10value_typeET4_jRbjT5_S1E_jjP12ihipStream_tbEUljE_ZNSN_ISO_Lb0ESQ_SR_ST_SU_SY_EESZ_S10_S11_S12_S16_S17_S18_S1B_S1C_jS1D_jS1E_S1E_jjS1G_bEUljE0_EEESZ_S10_S11_S18_S1C_S1E_T6_T7_T9_mT8_S1G_bDpT10_ENKUlT_T0_E_clISt17integral_constantIbLb1EES1U_EEDaS1P_S1Q_EUlS1P_E_NS1_11comp_targetILNS1_3genE2ELNS1_11target_archE906ELNS1_3gpuE6ELNS1_3repE0EEENS1_30default_config_static_selectorELNS0_4arch9wavefront6targetE0EEEvS12_: ; @_ZN7rocprim17ROCPRIM_400000_NS6detail17trampoline_kernelINS0_13select_configILj256ELj13ELNS0_17block_load_methodE3ELS4_3ELS4_3ELNS0_20block_scan_algorithmE0ELj4294967295EEENS1_25partition_config_selectorILNS1_17partition_subalgoE4EjNS0_10empty_typeEbEEZZNS1_14partition_implILS8_4ELb0ES6_15HIP_vector_typeIjLj2EENS0_17counting_iteratorIjlEEPS9_SG_NS0_5tupleIJPjSI_NS0_16reverse_iteratorISI_EEEEENSH_IJSG_SG_SG_EEES9_SI_JZNS1_25segmented_radix_sort_implINS0_14default_configELb0EPKiPiPKlPlN2at6native12_GLOBAL__N_18offset_tEEE10hipError_tPvRmT1_PNSt15iterator_traitsIS12_E10value_typeET2_T3_PNS13_IS18_E10value_typeET4_jRbjT5_S1E_jjP12ihipStream_tbEUljE_ZNSN_ISO_Lb0ESQ_SR_ST_SU_SY_EESZ_S10_S11_S12_S16_S17_S18_S1B_S1C_jS1D_jS1E_S1E_jjS1G_bEUljE0_EEESZ_S10_S11_S18_S1C_S1E_T6_T7_T9_mT8_S1G_bDpT10_ENKUlT_T0_E_clISt17integral_constantIbLb1EES1U_EEDaS1P_S1Q_EUlS1P_E_NS1_11comp_targetILNS1_3genE2ELNS1_11target_archE906ELNS1_3gpuE6ELNS1_3repE0EEENS1_30default_config_static_selectorELNS0_4arch9wavefront6targetE0EEEvS12_
; %bb.0:
	.section	.rodata,"a",@progbits
	.p2align	6, 0x0
	.amdhsa_kernel _ZN7rocprim17ROCPRIM_400000_NS6detail17trampoline_kernelINS0_13select_configILj256ELj13ELNS0_17block_load_methodE3ELS4_3ELS4_3ELNS0_20block_scan_algorithmE0ELj4294967295EEENS1_25partition_config_selectorILNS1_17partition_subalgoE4EjNS0_10empty_typeEbEEZZNS1_14partition_implILS8_4ELb0ES6_15HIP_vector_typeIjLj2EENS0_17counting_iteratorIjlEEPS9_SG_NS0_5tupleIJPjSI_NS0_16reverse_iteratorISI_EEEEENSH_IJSG_SG_SG_EEES9_SI_JZNS1_25segmented_radix_sort_implINS0_14default_configELb0EPKiPiPKlPlN2at6native12_GLOBAL__N_18offset_tEEE10hipError_tPvRmT1_PNSt15iterator_traitsIS12_E10value_typeET2_T3_PNS13_IS18_E10value_typeET4_jRbjT5_S1E_jjP12ihipStream_tbEUljE_ZNSN_ISO_Lb0ESQ_SR_ST_SU_SY_EESZ_S10_S11_S12_S16_S17_S18_S1B_S1C_jS1D_jS1E_S1E_jjS1G_bEUljE0_EEESZ_S10_S11_S18_S1C_S1E_T6_T7_T9_mT8_S1G_bDpT10_ENKUlT_T0_E_clISt17integral_constantIbLb1EES1U_EEDaS1P_S1Q_EUlS1P_E_NS1_11comp_targetILNS1_3genE2ELNS1_11target_archE906ELNS1_3gpuE6ELNS1_3repE0EEENS1_30default_config_static_selectorELNS0_4arch9wavefront6targetE0EEEvS12_
		.amdhsa_group_segment_fixed_size 0
		.amdhsa_private_segment_fixed_size 0
		.amdhsa_kernarg_size 184
		.amdhsa_user_sgpr_count 15
		.amdhsa_user_sgpr_dispatch_ptr 0
		.amdhsa_user_sgpr_queue_ptr 0
		.amdhsa_user_sgpr_kernarg_segment_ptr 1
		.amdhsa_user_sgpr_dispatch_id 0
		.amdhsa_user_sgpr_private_segment_size 0
		.amdhsa_wavefront_size32 1
		.amdhsa_uses_dynamic_stack 0
		.amdhsa_enable_private_segment 0
		.amdhsa_system_sgpr_workgroup_id_x 1
		.amdhsa_system_sgpr_workgroup_id_y 0
		.amdhsa_system_sgpr_workgroup_id_z 0
		.amdhsa_system_sgpr_workgroup_info 0
		.amdhsa_system_vgpr_workitem_id 0
		.amdhsa_next_free_vgpr 1
		.amdhsa_next_free_sgpr 1
		.amdhsa_reserve_vcc 0
		.amdhsa_float_round_mode_32 0
		.amdhsa_float_round_mode_16_64 0
		.amdhsa_float_denorm_mode_32 3
		.amdhsa_float_denorm_mode_16_64 3
		.amdhsa_dx10_clamp 1
		.amdhsa_ieee_mode 1
		.amdhsa_fp16_overflow 0
		.amdhsa_workgroup_processor_mode 1
		.amdhsa_memory_ordered 1
		.amdhsa_forward_progress 0
		.amdhsa_shared_vgpr_count 0
		.amdhsa_exception_fp_ieee_invalid_op 0
		.amdhsa_exception_fp_denorm_src 0
		.amdhsa_exception_fp_ieee_div_zero 0
		.amdhsa_exception_fp_ieee_overflow 0
		.amdhsa_exception_fp_ieee_underflow 0
		.amdhsa_exception_fp_ieee_inexact 0
		.amdhsa_exception_int_div_zero 0
	.end_amdhsa_kernel
	.section	.text._ZN7rocprim17ROCPRIM_400000_NS6detail17trampoline_kernelINS0_13select_configILj256ELj13ELNS0_17block_load_methodE3ELS4_3ELS4_3ELNS0_20block_scan_algorithmE0ELj4294967295EEENS1_25partition_config_selectorILNS1_17partition_subalgoE4EjNS0_10empty_typeEbEEZZNS1_14partition_implILS8_4ELb0ES6_15HIP_vector_typeIjLj2EENS0_17counting_iteratorIjlEEPS9_SG_NS0_5tupleIJPjSI_NS0_16reverse_iteratorISI_EEEEENSH_IJSG_SG_SG_EEES9_SI_JZNS1_25segmented_radix_sort_implINS0_14default_configELb0EPKiPiPKlPlN2at6native12_GLOBAL__N_18offset_tEEE10hipError_tPvRmT1_PNSt15iterator_traitsIS12_E10value_typeET2_T3_PNS13_IS18_E10value_typeET4_jRbjT5_S1E_jjP12ihipStream_tbEUljE_ZNSN_ISO_Lb0ESQ_SR_ST_SU_SY_EESZ_S10_S11_S12_S16_S17_S18_S1B_S1C_jS1D_jS1E_S1E_jjS1G_bEUljE0_EEESZ_S10_S11_S18_S1C_S1E_T6_T7_T9_mT8_S1G_bDpT10_ENKUlT_T0_E_clISt17integral_constantIbLb1EES1U_EEDaS1P_S1Q_EUlS1P_E_NS1_11comp_targetILNS1_3genE2ELNS1_11target_archE906ELNS1_3gpuE6ELNS1_3repE0EEENS1_30default_config_static_selectorELNS0_4arch9wavefront6targetE0EEEvS12_,"axG",@progbits,_ZN7rocprim17ROCPRIM_400000_NS6detail17trampoline_kernelINS0_13select_configILj256ELj13ELNS0_17block_load_methodE3ELS4_3ELS4_3ELNS0_20block_scan_algorithmE0ELj4294967295EEENS1_25partition_config_selectorILNS1_17partition_subalgoE4EjNS0_10empty_typeEbEEZZNS1_14partition_implILS8_4ELb0ES6_15HIP_vector_typeIjLj2EENS0_17counting_iteratorIjlEEPS9_SG_NS0_5tupleIJPjSI_NS0_16reverse_iteratorISI_EEEEENSH_IJSG_SG_SG_EEES9_SI_JZNS1_25segmented_radix_sort_implINS0_14default_configELb0EPKiPiPKlPlN2at6native12_GLOBAL__N_18offset_tEEE10hipError_tPvRmT1_PNSt15iterator_traitsIS12_E10value_typeET2_T3_PNS13_IS18_E10value_typeET4_jRbjT5_S1E_jjP12ihipStream_tbEUljE_ZNSN_ISO_Lb0ESQ_SR_ST_SU_SY_EESZ_S10_S11_S12_S16_S17_S18_S1B_S1C_jS1D_jS1E_S1E_jjS1G_bEUljE0_EEESZ_S10_S11_S18_S1C_S1E_T6_T7_T9_mT8_S1G_bDpT10_ENKUlT_T0_E_clISt17integral_constantIbLb1EES1U_EEDaS1P_S1Q_EUlS1P_E_NS1_11comp_targetILNS1_3genE2ELNS1_11target_archE906ELNS1_3gpuE6ELNS1_3repE0EEENS1_30default_config_static_selectorELNS0_4arch9wavefront6targetE0EEEvS12_,comdat
.Lfunc_end548:
	.size	_ZN7rocprim17ROCPRIM_400000_NS6detail17trampoline_kernelINS0_13select_configILj256ELj13ELNS0_17block_load_methodE3ELS4_3ELS4_3ELNS0_20block_scan_algorithmE0ELj4294967295EEENS1_25partition_config_selectorILNS1_17partition_subalgoE4EjNS0_10empty_typeEbEEZZNS1_14partition_implILS8_4ELb0ES6_15HIP_vector_typeIjLj2EENS0_17counting_iteratorIjlEEPS9_SG_NS0_5tupleIJPjSI_NS0_16reverse_iteratorISI_EEEEENSH_IJSG_SG_SG_EEES9_SI_JZNS1_25segmented_radix_sort_implINS0_14default_configELb0EPKiPiPKlPlN2at6native12_GLOBAL__N_18offset_tEEE10hipError_tPvRmT1_PNSt15iterator_traitsIS12_E10value_typeET2_T3_PNS13_IS18_E10value_typeET4_jRbjT5_S1E_jjP12ihipStream_tbEUljE_ZNSN_ISO_Lb0ESQ_SR_ST_SU_SY_EESZ_S10_S11_S12_S16_S17_S18_S1B_S1C_jS1D_jS1E_S1E_jjS1G_bEUljE0_EEESZ_S10_S11_S18_S1C_S1E_T6_T7_T9_mT8_S1G_bDpT10_ENKUlT_T0_E_clISt17integral_constantIbLb1EES1U_EEDaS1P_S1Q_EUlS1P_E_NS1_11comp_targetILNS1_3genE2ELNS1_11target_archE906ELNS1_3gpuE6ELNS1_3repE0EEENS1_30default_config_static_selectorELNS0_4arch9wavefront6targetE0EEEvS12_, .Lfunc_end548-_ZN7rocprim17ROCPRIM_400000_NS6detail17trampoline_kernelINS0_13select_configILj256ELj13ELNS0_17block_load_methodE3ELS4_3ELS4_3ELNS0_20block_scan_algorithmE0ELj4294967295EEENS1_25partition_config_selectorILNS1_17partition_subalgoE4EjNS0_10empty_typeEbEEZZNS1_14partition_implILS8_4ELb0ES6_15HIP_vector_typeIjLj2EENS0_17counting_iteratorIjlEEPS9_SG_NS0_5tupleIJPjSI_NS0_16reverse_iteratorISI_EEEEENSH_IJSG_SG_SG_EEES9_SI_JZNS1_25segmented_radix_sort_implINS0_14default_configELb0EPKiPiPKlPlN2at6native12_GLOBAL__N_18offset_tEEE10hipError_tPvRmT1_PNSt15iterator_traitsIS12_E10value_typeET2_T3_PNS13_IS18_E10value_typeET4_jRbjT5_S1E_jjP12ihipStream_tbEUljE_ZNSN_ISO_Lb0ESQ_SR_ST_SU_SY_EESZ_S10_S11_S12_S16_S17_S18_S1B_S1C_jS1D_jS1E_S1E_jjS1G_bEUljE0_EEESZ_S10_S11_S18_S1C_S1E_T6_T7_T9_mT8_S1G_bDpT10_ENKUlT_T0_E_clISt17integral_constantIbLb1EES1U_EEDaS1P_S1Q_EUlS1P_E_NS1_11comp_targetILNS1_3genE2ELNS1_11target_archE906ELNS1_3gpuE6ELNS1_3repE0EEENS1_30default_config_static_selectorELNS0_4arch9wavefront6targetE0EEEvS12_
                                        ; -- End function
	.section	.AMDGPU.csdata,"",@progbits
; Kernel info:
; codeLenInByte = 0
; NumSgprs: 0
; NumVgprs: 0
; ScratchSize: 0
; MemoryBound: 0
; FloatMode: 240
; IeeeMode: 1
; LDSByteSize: 0 bytes/workgroup (compile time only)
; SGPRBlocks: 0
; VGPRBlocks: 0
; NumSGPRsForWavesPerEU: 1
; NumVGPRsForWavesPerEU: 1
; Occupancy: 16
; WaveLimiterHint : 0
; COMPUTE_PGM_RSRC2:SCRATCH_EN: 0
; COMPUTE_PGM_RSRC2:USER_SGPR: 15
; COMPUTE_PGM_RSRC2:TRAP_HANDLER: 0
; COMPUTE_PGM_RSRC2:TGID_X_EN: 1
; COMPUTE_PGM_RSRC2:TGID_Y_EN: 0
; COMPUTE_PGM_RSRC2:TGID_Z_EN: 0
; COMPUTE_PGM_RSRC2:TIDIG_COMP_CNT: 0
	.section	.text._ZN7rocprim17ROCPRIM_400000_NS6detail17trampoline_kernelINS0_13select_configILj256ELj13ELNS0_17block_load_methodE3ELS4_3ELS4_3ELNS0_20block_scan_algorithmE0ELj4294967295EEENS1_25partition_config_selectorILNS1_17partition_subalgoE4EjNS0_10empty_typeEbEEZZNS1_14partition_implILS8_4ELb0ES6_15HIP_vector_typeIjLj2EENS0_17counting_iteratorIjlEEPS9_SG_NS0_5tupleIJPjSI_NS0_16reverse_iteratorISI_EEEEENSH_IJSG_SG_SG_EEES9_SI_JZNS1_25segmented_radix_sort_implINS0_14default_configELb0EPKiPiPKlPlN2at6native12_GLOBAL__N_18offset_tEEE10hipError_tPvRmT1_PNSt15iterator_traitsIS12_E10value_typeET2_T3_PNS13_IS18_E10value_typeET4_jRbjT5_S1E_jjP12ihipStream_tbEUljE_ZNSN_ISO_Lb0ESQ_SR_ST_SU_SY_EESZ_S10_S11_S12_S16_S17_S18_S1B_S1C_jS1D_jS1E_S1E_jjS1G_bEUljE0_EEESZ_S10_S11_S18_S1C_S1E_T6_T7_T9_mT8_S1G_bDpT10_ENKUlT_T0_E_clISt17integral_constantIbLb1EES1U_EEDaS1P_S1Q_EUlS1P_E_NS1_11comp_targetILNS1_3genE10ELNS1_11target_archE1200ELNS1_3gpuE4ELNS1_3repE0EEENS1_30default_config_static_selectorELNS0_4arch9wavefront6targetE0EEEvS12_,"axG",@progbits,_ZN7rocprim17ROCPRIM_400000_NS6detail17trampoline_kernelINS0_13select_configILj256ELj13ELNS0_17block_load_methodE3ELS4_3ELS4_3ELNS0_20block_scan_algorithmE0ELj4294967295EEENS1_25partition_config_selectorILNS1_17partition_subalgoE4EjNS0_10empty_typeEbEEZZNS1_14partition_implILS8_4ELb0ES6_15HIP_vector_typeIjLj2EENS0_17counting_iteratorIjlEEPS9_SG_NS0_5tupleIJPjSI_NS0_16reverse_iteratorISI_EEEEENSH_IJSG_SG_SG_EEES9_SI_JZNS1_25segmented_radix_sort_implINS0_14default_configELb0EPKiPiPKlPlN2at6native12_GLOBAL__N_18offset_tEEE10hipError_tPvRmT1_PNSt15iterator_traitsIS12_E10value_typeET2_T3_PNS13_IS18_E10value_typeET4_jRbjT5_S1E_jjP12ihipStream_tbEUljE_ZNSN_ISO_Lb0ESQ_SR_ST_SU_SY_EESZ_S10_S11_S12_S16_S17_S18_S1B_S1C_jS1D_jS1E_S1E_jjS1G_bEUljE0_EEESZ_S10_S11_S18_S1C_S1E_T6_T7_T9_mT8_S1G_bDpT10_ENKUlT_T0_E_clISt17integral_constantIbLb1EES1U_EEDaS1P_S1Q_EUlS1P_E_NS1_11comp_targetILNS1_3genE10ELNS1_11target_archE1200ELNS1_3gpuE4ELNS1_3repE0EEENS1_30default_config_static_selectorELNS0_4arch9wavefront6targetE0EEEvS12_,comdat
	.globl	_ZN7rocprim17ROCPRIM_400000_NS6detail17trampoline_kernelINS0_13select_configILj256ELj13ELNS0_17block_load_methodE3ELS4_3ELS4_3ELNS0_20block_scan_algorithmE0ELj4294967295EEENS1_25partition_config_selectorILNS1_17partition_subalgoE4EjNS0_10empty_typeEbEEZZNS1_14partition_implILS8_4ELb0ES6_15HIP_vector_typeIjLj2EENS0_17counting_iteratorIjlEEPS9_SG_NS0_5tupleIJPjSI_NS0_16reverse_iteratorISI_EEEEENSH_IJSG_SG_SG_EEES9_SI_JZNS1_25segmented_radix_sort_implINS0_14default_configELb0EPKiPiPKlPlN2at6native12_GLOBAL__N_18offset_tEEE10hipError_tPvRmT1_PNSt15iterator_traitsIS12_E10value_typeET2_T3_PNS13_IS18_E10value_typeET4_jRbjT5_S1E_jjP12ihipStream_tbEUljE_ZNSN_ISO_Lb0ESQ_SR_ST_SU_SY_EESZ_S10_S11_S12_S16_S17_S18_S1B_S1C_jS1D_jS1E_S1E_jjS1G_bEUljE0_EEESZ_S10_S11_S18_S1C_S1E_T6_T7_T9_mT8_S1G_bDpT10_ENKUlT_T0_E_clISt17integral_constantIbLb1EES1U_EEDaS1P_S1Q_EUlS1P_E_NS1_11comp_targetILNS1_3genE10ELNS1_11target_archE1200ELNS1_3gpuE4ELNS1_3repE0EEENS1_30default_config_static_selectorELNS0_4arch9wavefront6targetE0EEEvS12_ ; -- Begin function _ZN7rocprim17ROCPRIM_400000_NS6detail17trampoline_kernelINS0_13select_configILj256ELj13ELNS0_17block_load_methodE3ELS4_3ELS4_3ELNS0_20block_scan_algorithmE0ELj4294967295EEENS1_25partition_config_selectorILNS1_17partition_subalgoE4EjNS0_10empty_typeEbEEZZNS1_14partition_implILS8_4ELb0ES6_15HIP_vector_typeIjLj2EENS0_17counting_iteratorIjlEEPS9_SG_NS0_5tupleIJPjSI_NS0_16reverse_iteratorISI_EEEEENSH_IJSG_SG_SG_EEES9_SI_JZNS1_25segmented_radix_sort_implINS0_14default_configELb0EPKiPiPKlPlN2at6native12_GLOBAL__N_18offset_tEEE10hipError_tPvRmT1_PNSt15iterator_traitsIS12_E10value_typeET2_T3_PNS13_IS18_E10value_typeET4_jRbjT5_S1E_jjP12ihipStream_tbEUljE_ZNSN_ISO_Lb0ESQ_SR_ST_SU_SY_EESZ_S10_S11_S12_S16_S17_S18_S1B_S1C_jS1D_jS1E_S1E_jjS1G_bEUljE0_EEESZ_S10_S11_S18_S1C_S1E_T6_T7_T9_mT8_S1G_bDpT10_ENKUlT_T0_E_clISt17integral_constantIbLb1EES1U_EEDaS1P_S1Q_EUlS1P_E_NS1_11comp_targetILNS1_3genE10ELNS1_11target_archE1200ELNS1_3gpuE4ELNS1_3repE0EEENS1_30default_config_static_selectorELNS0_4arch9wavefront6targetE0EEEvS12_
	.p2align	8
	.type	_ZN7rocprim17ROCPRIM_400000_NS6detail17trampoline_kernelINS0_13select_configILj256ELj13ELNS0_17block_load_methodE3ELS4_3ELS4_3ELNS0_20block_scan_algorithmE0ELj4294967295EEENS1_25partition_config_selectorILNS1_17partition_subalgoE4EjNS0_10empty_typeEbEEZZNS1_14partition_implILS8_4ELb0ES6_15HIP_vector_typeIjLj2EENS0_17counting_iteratorIjlEEPS9_SG_NS0_5tupleIJPjSI_NS0_16reverse_iteratorISI_EEEEENSH_IJSG_SG_SG_EEES9_SI_JZNS1_25segmented_radix_sort_implINS0_14default_configELb0EPKiPiPKlPlN2at6native12_GLOBAL__N_18offset_tEEE10hipError_tPvRmT1_PNSt15iterator_traitsIS12_E10value_typeET2_T3_PNS13_IS18_E10value_typeET4_jRbjT5_S1E_jjP12ihipStream_tbEUljE_ZNSN_ISO_Lb0ESQ_SR_ST_SU_SY_EESZ_S10_S11_S12_S16_S17_S18_S1B_S1C_jS1D_jS1E_S1E_jjS1G_bEUljE0_EEESZ_S10_S11_S18_S1C_S1E_T6_T7_T9_mT8_S1G_bDpT10_ENKUlT_T0_E_clISt17integral_constantIbLb1EES1U_EEDaS1P_S1Q_EUlS1P_E_NS1_11comp_targetILNS1_3genE10ELNS1_11target_archE1200ELNS1_3gpuE4ELNS1_3repE0EEENS1_30default_config_static_selectorELNS0_4arch9wavefront6targetE0EEEvS12_,@function
_ZN7rocprim17ROCPRIM_400000_NS6detail17trampoline_kernelINS0_13select_configILj256ELj13ELNS0_17block_load_methodE3ELS4_3ELS4_3ELNS0_20block_scan_algorithmE0ELj4294967295EEENS1_25partition_config_selectorILNS1_17partition_subalgoE4EjNS0_10empty_typeEbEEZZNS1_14partition_implILS8_4ELb0ES6_15HIP_vector_typeIjLj2EENS0_17counting_iteratorIjlEEPS9_SG_NS0_5tupleIJPjSI_NS0_16reverse_iteratorISI_EEEEENSH_IJSG_SG_SG_EEES9_SI_JZNS1_25segmented_radix_sort_implINS0_14default_configELb0EPKiPiPKlPlN2at6native12_GLOBAL__N_18offset_tEEE10hipError_tPvRmT1_PNSt15iterator_traitsIS12_E10value_typeET2_T3_PNS13_IS18_E10value_typeET4_jRbjT5_S1E_jjP12ihipStream_tbEUljE_ZNSN_ISO_Lb0ESQ_SR_ST_SU_SY_EESZ_S10_S11_S12_S16_S17_S18_S1B_S1C_jS1D_jS1E_S1E_jjS1G_bEUljE0_EEESZ_S10_S11_S18_S1C_S1E_T6_T7_T9_mT8_S1G_bDpT10_ENKUlT_T0_E_clISt17integral_constantIbLb1EES1U_EEDaS1P_S1Q_EUlS1P_E_NS1_11comp_targetILNS1_3genE10ELNS1_11target_archE1200ELNS1_3gpuE4ELNS1_3repE0EEENS1_30default_config_static_selectorELNS0_4arch9wavefront6targetE0EEEvS12_: ; @_ZN7rocprim17ROCPRIM_400000_NS6detail17trampoline_kernelINS0_13select_configILj256ELj13ELNS0_17block_load_methodE3ELS4_3ELS4_3ELNS0_20block_scan_algorithmE0ELj4294967295EEENS1_25partition_config_selectorILNS1_17partition_subalgoE4EjNS0_10empty_typeEbEEZZNS1_14partition_implILS8_4ELb0ES6_15HIP_vector_typeIjLj2EENS0_17counting_iteratorIjlEEPS9_SG_NS0_5tupleIJPjSI_NS0_16reverse_iteratorISI_EEEEENSH_IJSG_SG_SG_EEES9_SI_JZNS1_25segmented_radix_sort_implINS0_14default_configELb0EPKiPiPKlPlN2at6native12_GLOBAL__N_18offset_tEEE10hipError_tPvRmT1_PNSt15iterator_traitsIS12_E10value_typeET2_T3_PNS13_IS18_E10value_typeET4_jRbjT5_S1E_jjP12ihipStream_tbEUljE_ZNSN_ISO_Lb0ESQ_SR_ST_SU_SY_EESZ_S10_S11_S12_S16_S17_S18_S1B_S1C_jS1D_jS1E_S1E_jjS1G_bEUljE0_EEESZ_S10_S11_S18_S1C_S1E_T6_T7_T9_mT8_S1G_bDpT10_ENKUlT_T0_E_clISt17integral_constantIbLb1EES1U_EEDaS1P_S1Q_EUlS1P_E_NS1_11comp_targetILNS1_3genE10ELNS1_11target_archE1200ELNS1_3gpuE4ELNS1_3repE0EEENS1_30default_config_static_selectorELNS0_4arch9wavefront6targetE0EEEvS12_
; %bb.0:
	.section	.rodata,"a",@progbits
	.p2align	6, 0x0
	.amdhsa_kernel _ZN7rocprim17ROCPRIM_400000_NS6detail17trampoline_kernelINS0_13select_configILj256ELj13ELNS0_17block_load_methodE3ELS4_3ELS4_3ELNS0_20block_scan_algorithmE0ELj4294967295EEENS1_25partition_config_selectorILNS1_17partition_subalgoE4EjNS0_10empty_typeEbEEZZNS1_14partition_implILS8_4ELb0ES6_15HIP_vector_typeIjLj2EENS0_17counting_iteratorIjlEEPS9_SG_NS0_5tupleIJPjSI_NS0_16reverse_iteratorISI_EEEEENSH_IJSG_SG_SG_EEES9_SI_JZNS1_25segmented_radix_sort_implINS0_14default_configELb0EPKiPiPKlPlN2at6native12_GLOBAL__N_18offset_tEEE10hipError_tPvRmT1_PNSt15iterator_traitsIS12_E10value_typeET2_T3_PNS13_IS18_E10value_typeET4_jRbjT5_S1E_jjP12ihipStream_tbEUljE_ZNSN_ISO_Lb0ESQ_SR_ST_SU_SY_EESZ_S10_S11_S12_S16_S17_S18_S1B_S1C_jS1D_jS1E_S1E_jjS1G_bEUljE0_EEESZ_S10_S11_S18_S1C_S1E_T6_T7_T9_mT8_S1G_bDpT10_ENKUlT_T0_E_clISt17integral_constantIbLb1EES1U_EEDaS1P_S1Q_EUlS1P_E_NS1_11comp_targetILNS1_3genE10ELNS1_11target_archE1200ELNS1_3gpuE4ELNS1_3repE0EEENS1_30default_config_static_selectorELNS0_4arch9wavefront6targetE0EEEvS12_
		.amdhsa_group_segment_fixed_size 0
		.amdhsa_private_segment_fixed_size 0
		.amdhsa_kernarg_size 184
		.amdhsa_user_sgpr_count 15
		.amdhsa_user_sgpr_dispatch_ptr 0
		.amdhsa_user_sgpr_queue_ptr 0
		.amdhsa_user_sgpr_kernarg_segment_ptr 1
		.amdhsa_user_sgpr_dispatch_id 0
		.amdhsa_user_sgpr_private_segment_size 0
		.amdhsa_wavefront_size32 1
		.amdhsa_uses_dynamic_stack 0
		.amdhsa_enable_private_segment 0
		.amdhsa_system_sgpr_workgroup_id_x 1
		.amdhsa_system_sgpr_workgroup_id_y 0
		.amdhsa_system_sgpr_workgroup_id_z 0
		.amdhsa_system_sgpr_workgroup_info 0
		.amdhsa_system_vgpr_workitem_id 0
		.amdhsa_next_free_vgpr 1
		.amdhsa_next_free_sgpr 1
		.amdhsa_reserve_vcc 0
		.amdhsa_float_round_mode_32 0
		.amdhsa_float_round_mode_16_64 0
		.amdhsa_float_denorm_mode_32 3
		.amdhsa_float_denorm_mode_16_64 3
		.amdhsa_dx10_clamp 1
		.amdhsa_ieee_mode 1
		.amdhsa_fp16_overflow 0
		.amdhsa_workgroup_processor_mode 1
		.amdhsa_memory_ordered 1
		.amdhsa_forward_progress 0
		.amdhsa_shared_vgpr_count 0
		.amdhsa_exception_fp_ieee_invalid_op 0
		.amdhsa_exception_fp_denorm_src 0
		.amdhsa_exception_fp_ieee_div_zero 0
		.amdhsa_exception_fp_ieee_overflow 0
		.amdhsa_exception_fp_ieee_underflow 0
		.amdhsa_exception_fp_ieee_inexact 0
		.amdhsa_exception_int_div_zero 0
	.end_amdhsa_kernel
	.section	.text._ZN7rocprim17ROCPRIM_400000_NS6detail17trampoline_kernelINS0_13select_configILj256ELj13ELNS0_17block_load_methodE3ELS4_3ELS4_3ELNS0_20block_scan_algorithmE0ELj4294967295EEENS1_25partition_config_selectorILNS1_17partition_subalgoE4EjNS0_10empty_typeEbEEZZNS1_14partition_implILS8_4ELb0ES6_15HIP_vector_typeIjLj2EENS0_17counting_iteratorIjlEEPS9_SG_NS0_5tupleIJPjSI_NS0_16reverse_iteratorISI_EEEEENSH_IJSG_SG_SG_EEES9_SI_JZNS1_25segmented_radix_sort_implINS0_14default_configELb0EPKiPiPKlPlN2at6native12_GLOBAL__N_18offset_tEEE10hipError_tPvRmT1_PNSt15iterator_traitsIS12_E10value_typeET2_T3_PNS13_IS18_E10value_typeET4_jRbjT5_S1E_jjP12ihipStream_tbEUljE_ZNSN_ISO_Lb0ESQ_SR_ST_SU_SY_EESZ_S10_S11_S12_S16_S17_S18_S1B_S1C_jS1D_jS1E_S1E_jjS1G_bEUljE0_EEESZ_S10_S11_S18_S1C_S1E_T6_T7_T9_mT8_S1G_bDpT10_ENKUlT_T0_E_clISt17integral_constantIbLb1EES1U_EEDaS1P_S1Q_EUlS1P_E_NS1_11comp_targetILNS1_3genE10ELNS1_11target_archE1200ELNS1_3gpuE4ELNS1_3repE0EEENS1_30default_config_static_selectorELNS0_4arch9wavefront6targetE0EEEvS12_,"axG",@progbits,_ZN7rocprim17ROCPRIM_400000_NS6detail17trampoline_kernelINS0_13select_configILj256ELj13ELNS0_17block_load_methodE3ELS4_3ELS4_3ELNS0_20block_scan_algorithmE0ELj4294967295EEENS1_25partition_config_selectorILNS1_17partition_subalgoE4EjNS0_10empty_typeEbEEZZNS1_14partition_implILS8_4ELb0ES6_15HIP_vector_typeIjLj2EENS0_17counting_iteratorIjlEEPS9_SG_NS0_5tupleIJPjSI_NS0_16reverse_iteratorISI_EEEEENSH_IJSG_SG_SG_EEES9_SI_JZNS1_25segmented_radix_sort_implINS0_14default_configELb0EPKiPiPKlPlN2at6native12_GLOBAL__N_18offset_tEEE10hipError_tPvRmT1_PNSt15iterator_traitsIS12_E10value_typeET2_T3_PNS13_IS18_E10value_typeET4_jRbjT5_S1E_jjP12ihipStream_tbEUljE_ZNSN_ISO_Lb0ESQ_SR_ST_SU_SY_EESZ_S10_S11_S12_S16_S17_S18_S1B_S1C_jS1D_jS1E_S1E_jjS1G_bEUljE0_EEESZ_S10_S11_S18_S1C_S1E_T6_T7_T9_mT8_S1G_bDpT10_ENKUlT_T0_E_clISt17integral_constantIbLb1EES1U_EEDaS1P_S1Q_EUlS1P_E_NS1_11comp_targetILNS1_3genE10ELNS1_11target_archE1200ELNS1_3gpuE4ELNS1_3repE0EEENS1_30default_config_static_selectorELNS0_4arch9wavefront6targetE0EEEvS12_,comdat
.Lfunc_end549:
	.size	_ZN7rocprim17ROCPRIM_400000_NS6detail17trampoline_kernelINS0_13select_configILj256ELj13ELNS0_17block_load_methodE3ELS4_3ELS4_3ELNS0_20block_scan_algorithmE0ELj4294967295EEENS1_25partition_config_selectorILNS1_17partition_subalgoE4EjNS0_10empty_typeEbEEZZNS1_14partition_implILS8_4ELb0ES6_15HIP_vector_typeIjLj2EENS0_17counting_iteratorIjlEEPS9_SG_NS0_5tupleIJPjSI_NS0_16reverse_iteratorISI_EEEEENSH_IJSG_SG_SG_EEES9_SI_JZNS1_25segmented_radix_sort_implINS0_14default_configELb0EPKiPiPKlPlN2at6native12_GLOBAL__N_18offset_tEEE10hipError_tPvRmT1_PNSt15iterator_traitsIS12_E10value_typeET2_T3_PNS13_IS18_E10value_typeET4_jRbjT5_S1E_jjP12ihipStream_tbEUljE_ZNSN_ISO_Lb0ESQ_SR_ST_SU_SY_EESZ_S10_S11_S12_S16_S17_S18_S1B_S1C_jS1D_jS1E_S1E_jjS1G_bEUljE0_EEESZ_S10_S11_S18_S1C_S1E_T6_T7_T9_mT8_S1G_bDpT10_ENKUlT_T0_E_clISt17integral_constantIbLb1EES1U_EEDaS1P_S1Q_EUlS1P_E_NS1_11comp_targetILNS1_3genE10ELNS1_11target_archE1200ELNS1_3gpuE4ELNS1_3repE0EEENS1_30default_config_static_selectorELNS0_4arch9wavefront6targetE0EEEvS12_, .Lfunc_end549-_ZN7rocprim17ROCPRIM_400000_NS6detail17trampoline_kernelINS0_13select_configILj256ELj13ELNS0_17block_load_methodE3ELS4_3ELS4_3ELNS0_20block_scan_algorithmE0ELj4294967295EEENS1_25partition_config_selectorILNS1_17partition_subalgoE4EjNS0_10empty_typeEbEEZZNS1_14partition_implILS8_4ELb0ES6_15HIP_vector_typeIjLj2EENS0_17counting_iteratorIjlEEPS9_SG_NS0_5tupleIJPjSI_NS0_16reverse_iteratorISI_EEEEENSH_IJSG_SG_SG_EEES9_SI_JZNS1_25segmented_radix_sort_implINS0_14default_configELb0EPKiPiPKlPlN2at6native12_GLOBAL__N_18offset_tEEE10hipError_tPvRmT1_PNSt15iterator_traitsIS12_E10value_typeET2_T3_PNS13_IS18_E10value_typeET4_jRbjT5_S1E_jjP12ihipStream_tbEUljE_ZNSN_ISO_Lb0ESQ_SR_ST_SU_SY_EESZ_S10_S11_S12_S16_S17_S18_S1B_S1C_jS1D_jS1E_S1E_jjS1G_bEUljE0_EEESZ_S10_S11_S18_S1C_S1E_T6_T7_T9_mT8_S1G_bDpT10_ENKUlT_T0_E_clISt17integral_constantIbLb1EES1U_EEDaS1P_S1Q_EUlS1P_E_NS1_11comp_targetILNS1_3genE10ELNS1_11target_archE1200ELNS1_3gpuE4ELNS1_3repE0EEENS1_30default_config_static_selectorELNS0_4arch9wavefront6targetE0EEEvS12_
                                        ; -- End function
	.section	.AMDGPU.csdata,"",@progbits
; Kernel info:
; codeLenInByte = 0
; NumSgprs: 0
; NumVgprs: 0
; ScratchSize: 0
; MemoryBound: 0
; FloatMode: 240
; IeeeMode: 1
; LDSByteSize: 0 bytes/workgroup (compile time only)
; SGPRBlocks: 0
; VGPRBlocks: 0
; NumSGPRsForWavesPerEU: 1
; NumVGPRsForWavesPerEU: 1
; Occupancy: 16
; WaveLimiterHint : 0
; COMPUTE_PGM_RSRC2:SCRATCH_EN: 0
; COMPUTE_PGM_RSRC2:USER_SGPR: 15
; COMPUTE_PGM_RSRC2:TRAP_HANDLER: 0
; COMPUTE_PGM_RSRC2:TGID_X_EN: 1
; COMPUTE_PGM_RSRC2:TGID_Y_EN: 0
; COMPUTE_PGM_RSRC2:TGID_Z_EN: 0
; COMPUTE_PGM_RSRC2:TIDIG_COMP_CNT: 0
	.section	.text._ZN7rocprim17ROCPRIM_400000_NS6detail17trampoline_kernelINS0_13select_configILj256ELj13ELNS0_17block_load_methodE3ELS4_3ELS4_3ELNS0_20block_scan_algorithmE0ELj4294967295EEENS1_25partition_config_selectorILNS1_17partition_subalgoE4EjNS0_10empty_typeEbEEZZNS1_14partition_implILS8_4ELb0ES6_15HIP_vector_typeIjLj2EENS0_17counting_iteratorIjlEEPS9_SG_NS0_5tupleIJPjSI_NS0_16reverse_iteratorISI_EEEEENSH_IJSG_SG_SG_EEES9_SI_JZNS1_25segmented_radix_sort_implINS0_14default_configELb0EPKiPiPKlPlN2at6native12_GLOBAL__N_18offset_tEEE10hipError_tPvRmT1_PNSt15iterator_traitsIS12_E10value_typeET2_T3_PNS13_IS18_E10value_typeET4_jRbjT5_S1E_jjP12ihipStream_tbEUljE_ZNSN_ISO_Lb0ESQ_SR_ST_SU_SY_EESZ_S10_S11_S12_S16_S17_S18_S1B_S1C_jS1D_jS1E_S1E_jjS1G_bEUljE0_EEESZ_S10_S11_S18_S1C_S1E_T6_T7_T9_mT8_S1G_bDpT10_ENKUlT_T0_E_clISt17integral_constantIbLb1EES1U_EEDaS1P_S1Q_EUlS1P_E_NS1_11comp_targetILNS1_3genE9ELNS1_11target_archE1100ELNS1_3gpuE3ELNS1_3repE0EEENS1_30default_config_static_selectorELNS0_4arch9wavefront6targetE0EEEvS12_,"axG",@progbits,_ZN7rocprim17ROCPRIM_400000_NS6detail17trampoline_kernelINS0_13select_configILj256ELj13ELNS0_17block_load_methodE3ELS4_3ELS4_3ELNS0_20block_scan_algorithmE0ELj4294967295EEENS1_25partition_config_selectorILNS1_17partition_subalgoE4EjNS0_10empty_typeEbEEZZNS1_14partition_implILS8_4ELb0ES6_15HIP_vector_typeIjLj2EENS0_17counting_iteratorIjlEEPS9_SG_NS0_5tupleIJPjSI_NS0_16reverse_iteratorISI_EEEEENSH_IJSG_SG_SG_EEES9_SI_JZNS1_25segmented_radix_sort_implINS0_14default_configELb0EPKiPiPKlPlN2at6native12_GLOBAL__N_18offset_tEEE10hipError_tPvRmT1_PNSt15iterator_traitsIS12_E10value_typeET2_T3_PNS13_IS18_E10value_typeET4_jRbjT5_S1E_jjP12ihipStream_tbEUljE_ZNSN_ISO_Lb0ESQ_SR_ST_SU_SY_EESZ_S10_S11_S12_S16_S17_S18_S1B_S1C_jS1D_jS1E_S1E_jjS1G_bEUljE0_EEESZ_S10_S11_S18_S1C_S1E_T6_T7_T9_mT8_S1G_bDpT10_ENKUlT_T0_E_clISt17integral_constantIbLb1EES1U_EEDaS1P_S1Q_EUlS1P_E_NS1_11comp_targetILNS1_3genE9ELNS1_11target_archE1100ELNS1_3gpuE3ELNS1_3repE0EEENS1_30default_config_static_selectorELNS0_4arch9wavefront6targetE0EEEvS12_,comdat
	.globl	_ZN7rocprim17ROCPRIM_400000_NS6detail17trampoline_kernelINS0_13select_configILj256ELj13ELNS0_17block_load_methodE3ELS4_3ELS4_3ELNS0_20block_scan_algorithmE0ELj4294967295EEENS1_25partition_config_selectorILNS1_17partition_subalgoE4EjNS0_10empty_typeEbEEZZNS1_14partition_implILS8_4ELb0ES6_15HIP_vector_typeIjLj2EENS0_17counting_iteratorIjlEEPS9_SG_NS0_5tupleIJPjSI_NS0_16reverse_iteratorISI_EEEEENSH_IJSG_SG_SG_EEES9_SI_JZNS1_25segmented_radix_sort_implINS0_14default_configELb0EPKiPiPKlPlN2at6native12_GLOBAL__N_18offset_tEEE10hipError_tPvRmT1_PNSt15iterator_traitsIS12_E10value_typeET2_T3_PNS13_IS18_E10value_typeET4_jRbjT5_S1E_jjP12ihipStream_tbEUljE_ZNSN_ISO_Lb0ESQ_SR_ST_SU_SY_EESZ_S10_S11_S12_S16_S17_S18_S1B_S1C_jS1D_jS1E_S1E_jjS1G_bEUljE0_EEESZ_S10_S11_S18_S1C_S1E_T6_T7_T9_mT8_S1G_bDpT10_ENKUlT_T0_E_clISt17integral_constantIbLb1EES1U_EEDaS1P_S1Q_EUlS1P_E_NS1_11comp_targetILNS1_3genE9ELNS1_11target_archE1100ELNS1_3gpuE3ELNS1_3repE0EEENS1_30default_config_static_selectorELNS0_4arch9wavefront6targetE0EEEvS12_ ; -- Begin function _ZN7rocprim17ROCPRIM_400000_NS6detail17trampoline_kernelINS0_13select_configILj256ELj13ELNS0_17block_load_methodE3ELS4_3ELS4_3ELNS0_20block_scan_algorithmE0ELj4294967295EEENS1_25partition_config_selectorILNS1_17partition_subalgoE4EjNS0_10empty_typeEbEEZZNS1_14partition_implILS8_4ELb0ES6_15HIP_vector_typeIjLj2EENS0_17counting_iteratorIjlEEPS9_SG_NS0_5tupleIJPjSI_NS0_16reverse_iteratorISI_EEEEENSH_IJSG_SG_SG_EEES9_SI_JZNS1_25segmented_radix_sort_implINS0_14default_configELb0EPKiPiPKlPlN2at6native12_GLOBAL__N_18offset_tEEE10hipError_tPvRmT1_PNSt15iterator_traitsIS12_E10value_typeET2_T3_PNS13_IS18_E10value_typeET4_jRbjT5_S1E_jjP12ihipStream_tbEUljE_ZNSN_ISO_Lb0ESQ_SR_ST_SU_SY_EESZ_S10_S11_S12_S16_S17_S18_S1B_S1C_jS1D_jS1E_S1E_jjS1G_bEUljE0_EEESZ_S10_S11_S18_S1C_S1E_T6_T7_T9_mT8_S1G_bDpT10_ENKUlT_T0_E_clISt17integral_constantIbLb1EES1U_EEDaS1P_S1Q_EUlS1P_E_NS1_11comp_targetILNS1_3genE9ELNS1_11target_archE1100ELNS1_3gpuE3ELNS1_3repE0EEENS1_30default_config_static_selectorELNS0_4arch9wavefront6targetE0EEEvS12_
	.p2align	8
	.type	_ZN7rocprim17ROCPRIM_400000_NS6detail17trampoline_kernelINS0_13select_configILj256ELj13ELNS0_17block_load_methodE3ELS4_3ELS4_3ELNS0_20block_scan_algorithmE0ELj4294967295EEENS1_25partition_config_selectorILNS1_17partition_subalgoE4EjNS0_10empty_typeEbEEZZNS1_14partition_implILS8_4ELb0ES6_15HIP_vector_typeIjLj2EENS0_17counting_iteratorIjlEEPS9_SG_NS0_5tupleIJPjSI_NS0_16reverse_iteratorISI_EEEEENSH_IJSG_SG_SG_EEES9_SI_JZNS1_25segmented_radix_sort_implINS0_14default_configELb0EPKiPiPKlPlN2at6native12_GLOBAL__N_18offset_tEEE10hipError_tPvRmT1_PNSt15iterator_traitsIS12_E10value_typeET2_T3_PNS13_IS18_E10value_typeET4_jRbjT5_S1E_jjP12ihipStream_tbEUljE_ZNSN_ISO_Lb0ESQ_SR_ST_SU_SY_EESZ_S10_S11_S12_S16_S17_S18_S1B_S1C_jS1D_jS1E_S1E_jjS1G_bEUljE0_EEESZ_S10_S11_S18_S1C_S1E_T6_T7_T9_mT8_S1G_bDpT10_ENKUlT_T0_E_clISt17integral_constantIbLb1EES1U_EEDaS1P_S1Q_EUlS1P_E_NS1_11comp_targetILNS1_3genE9ELNS1_11target_archE1100ELNS1_3gpuE3ELNS1_3repE0EEENS1_30default_config_static_selectorELNS0_4arch9wavefront6targetE0EEEvS12_,@function
_ZN7rocprim17ROCPRIM_400000_NS6detail17trampoline_kernelINS0_13select_configILj256ELj13ELNS0_17block_load_methodE3ELS4_3ELS4_3ELNS0_20block_scan_algorithmE0ELj4294967295EEENS1_25partition_config_selectorILNS1_17partition_subalgoE4EjNS0_10empty_typeEbEEZZNS1_14partition_implILS8_4ELb0ES6_15HIP_vector_typeIjLj2EENS0_17counting_iteratorIjlEEPS9_SG_NS0_5tupleIJPjSI_NS0_16reverse_iteratorISI_EEEEENSH_IJSG_SG_SG_EEES9_SI_JZNS1_25segmented_radix_sort_implINS0_14default_configELb0EPKiPiPKlPlN2at6native12_GLOBAL__N_18offset_tEEE10hipError_tPvRmT1_PNSt15iterator_traitsIS12_E10value_typeET2_T3_PNS13_IS18_E10value_typeET4_jRbjT5_S1E_jjP12ihipStream_tbEUljE_ZNSN_ISO_Lb0ESQ_SR_ST_SU_SY_EESZ_S10_S11_S12_S16_S17_S18_S1B_S1C_jS1D_jS1E_S1E_jjS1G_bEUljE0_EEESZ_S10_S11_S18_S1C_S1E_T6_T7_T9_mT8_S1G_bDpT10_ENKUlT_T0_E_clISt17integral_constantIbLb1EES1U_EEDaS1P_S1Q_EUlS1P_E_NS1_11comp_targetILNS1_3genE9ELNS1_11target_archE1100ELNS1_3gpuE3ELNS1_3repE0EEENS1_30default_config_static_selectorELNS0_4arch9wavefront6targetE0EEEvS12_: ; @_ZN7rocprim17ROCPRIM_400000_NS6detail17trampoline_kernelINS0_13select_configILj256ELj13ELNS0_17block_load_methodE3ELS4_3ELS4_3ELNS0_20block_scan_algorithmE0ELj4294967295EEENS1_25partition_config_selectorILNS1_17partition_subalgoE4EjNS0_10empty_typeEbEEZZNS1_14partition_implILS8_4ELb0ES6_15HIP_vector_typeIjLj2EENS0_17counting_iteratorIjlEEPS9_SG_NS0_5tupleIJPjSI_NS0_16reverse_iteratorISI_EEEEENSH_IJSG_SG_SG_EEES9_SI_JZNS1_25segmented_radix_sort_implINS0_14default_configELb0EPKiPiPKlPlN2at6native12_GLOBAL__N_18offset_tEEE10hipError_tPvRmT1_PNSt15iterator_traitsIS12_E10value_typeET2_T3_PNS13_IS18_E10value_typeET4_jRbjT5_S1E_jjP12ihipStream_tbEUljE_ZNSN_ISO_Lb0ESQ_SR_ST_SU_SY_EESZ_S10_S11_S12_S16_S17_S18_S1B_S1C_jS1D_jS1E_S1E_jjS1G_bEUljE0_EEESZ_S10_S11_S18_S1C_S1E_T6_T7_T9_mT8_S1G_bDpT10_ENKUlT_T0_E_clISt17integral_constantIbLb1EES1U_EEDaS1P_S1Q_EUlS1P_E_NS1_11comp_targetILNS1_3genE9ELNS1_11target_archE1100ELNS1_3gpuE3ELNS1_3repE0EEENS1_30default_config_static_selectorELNS0_4arch9wavefront6targetE0EEEvS12_
; %bb.0:
	s_clause 0x7
	s_load_b64 s[34:35], s[0:1], 0x10
	s_load_b128 s[28:31], s[0:1], 0x28
	s_load_b64 s[14:15], s[0:1], 0x38
	s_load_b128 s[24:27], s[0:1], 0x58
	s_load_b64 s[4:5], s[0:1], 0x68
	s_load_b64 s[36:37], s[0:1], 0x78
	;; [unrolled: 1-line block ×3, first 2 shown]
	s_load_b256 s[16:23], s[0:1], 0x90
	v_cmp_eq_u32_e64 s2, 0, v0
	s_delay_alu instid0(VALU_DEP_1)
	s_and_saveexec_b32 s3, s2
	s_cbranch_execz .LBB550_4
; %bb.1:
	s_mov_b32 s7, exec_lo
	s_mov_b32 s6, exec_lo
	v_mbcnt_lo_u32_b32 v1, s7, 0
                                        ; implicit-def: $vgpr2
	s_delay_alu instid0(VALU_DEP_1)
	v_cmpx_eq_u32_e32 0, v1
	s_cbranch_execz .LBB550_3
; %bb.2:
	s_load_b64 s[8:9], s[0:1], 0x88
	s_bcnt1_i32_b32 s7, s7
	s_delay_alu instid0(SALU_CYCLE_1)
	v_dual_mov_b32 v2, 0 :: v_dual_mov_b32 v3, s7
	s_waitcnt lgkmcnt(0)
	global_atomic_add_u32 v2, v2, v3, s[8:9] glc
.LBB550_3:
	s_or_b32 exec_lo, exec_lo, s6
	s_waitcnt vmcnt(0)
	v_readfirstlane_b32 s6, v2
	s_delay_alu instid0(VALU_DEP_1)
	v_dual_mov_b32 v2, 0 :: v_dual_add_nc_u32 v1, s6, v1
	ds_store_b32 v2, v1
.LBB550_4:
	s_or_b32 exec_lo, exec_lo, s3
	v_mov_b32_e32 v1, 0
	s_clause 0x1
	s_load_b32 s3, s[0:1], 0x8
	s_load_b32 s0, s[0:1], 0x80
	s_waitcnt lgkmcnt(0)
	s_barrier
	buffer_gl0_inv
	ds_load_b32 v5, v1
	s_waitcnt lgkmcnt(0)
	s_barrier
	buffer_gl0_inv
	global_load_b128 v[1:4], v1, s[26:27]
	s_add_i32 s3, s3, s34
	s_mul_i32 s1, s0, 0xd00
	s_add_i32 s0, s0, -1
	s_add_u32 s6, s34, s1
	s_addc_u32 s7, s35, 0
	v_mul_lo_u32 v30, 0xd00, v5
	v_readfirstlane_b32 s26, v5
	v_cmp_lt_u64_e64 s5, s[6:7], s[4:5]
	v_cmp_ne_u32_e32 vcc_lo, s0, v5
	s_delay_alu instid0(VALU_DEP_3) | instskip(SKIP_1) | instid1(VALU_DEP_4)
	s_cmp_eq_u32 s26, s0
	s_cselect_b32 s13, -1, 0
	v_add3_u32 v5, v30, s3, v0
	s_delay_alu instid0(VALU_DEP_3) | instskip(SKIP_2) | instid1(VALU_DEP_1)
	s_or_b32 s0, s5, vcc_lo
	s_mov_b32 s3, -1
	s_and_b32 vcc_lo, exec_lo, s0
	v_add_nc_u32_e32 v6, 0x100, v5
	v_add_nc_u32_e32 v7, 0x200, v5
	;; [unrolled: 1-line block ×12, first 2 shown]
	s_cbranch_vccz .LBB550_6
; %bb.5:
	v_lshlrev_b32_e32 v18, 2, v0
	s_mov_b32 s3, 0
	ds_store_2addr_stride64_b32 v18, v5, v6 offset1:4
	ds_store_2addr_stride64_b32 v18, v7, v8 offset0:8 offset1:12
	ds_store_2addr_stride64_b32 v18, v9, v10 offset0:16 offset1:20
	;; [unrolled: 1-line block ×5, first 2 shown]
	ds_store_b32 v18, v17 offset:12288
	s_waitcnt vmcnt(0) lgkmcnt(0)
	s_barrier
.LBB550_6:
	s_and_not1_b32 vcc_lo, exec_lo, s3
	s_add_i32 s1, s1, s34
	s_cbranch_vccnz .LBB550_8
; %bb.7:
	v_lshlrev_b32_e32 v18, 2, v0
	ds_store_2addr_stride64_b32 v18, v5, v6 offset1:4
	ds_store_2addr_stride64_b32 v18, v7, v8 offset0:8 offset1:12
	ds_store_2addr_stride64_b32 v18, v9, v10 offset0:16 offset1:20
	;; [unrolled: 1-line block ×5, first 2 shown]
	ds_store_b32 v18, v17 offset:12288
	s_waitcnt vmcnt(0) lgkmcnt(0)
	s_barrier
.LBB550_8:
	v_mul_u32_u24_e32 v33, 13, v0
	s_waitcnt vmcnt(0)
	buffer_gl0_inv
	v_cndmask_b32_e64 v31, 0, 1, s0
	s_sub_i32 s40, s4, s1
	s_and_not1_b32 vcc_lo, exec_lo, s0
	v_lshlrev_b32_e32 v5, 2, v33
	ds_load_2addr_b32 v[20:21], v5 offset1:1
	ds_load_2addr_b32 v[18:19], v5 offset0:2 offset1:3
	ds_load_2addr_b32 v[16:17], v5 offset0:4 offset1:5
	;; [unrolled: 1-line block ×5, first 2 shown]
	ds_load_b32 v32, v5 offset:48
	s_waitcnt lgkmcnt(0)
	s_barrier
	buffer_gl0_inv
	s_cbranch_vccnz .LBB550_36
; %bb.9:
	v_add_nc_u32_e32 v5, s17, v20
	v_add_nc_u32_e32 v6, s19, v20
	s_mov_b32 s42, 0
	s_mov_b32 s41, 0
	s_mov_b32 s1, exec_lo
	v_mul_lo_u32 v5, v5, s16
	v_mul_lo_u32 v6, v6, s18
	s_delay_alu instid0(VALU_DEP_1) | instskip(NEXT) | instid1(VALU_DEP_1)
	v_sub_nc_u32_e32 v5, v5, v6
	v_cmp_lt_u32_e32 vcc_lo, s20, v5
	v_cmpx_ge_u32_e64 s20, v5
; %bb.10:
	v_add_nc_u32_e32 v5, s22, v20
	v_add_nc_u32_e32 v6, s38, v20
	s_delay_alu instid0(VALU_DEP_2) | instskip(NEXT) | instid1(VALU_DEP_2)
	v_mul_lo_u32 v5, v5, s21
	v_mul_lo_u32 v6, v6, s23
	s_delay_alu instid0(VALU_DEP_1) | instskip(NEXT) | instid1(VALU_DEP_1)
	v_sub_nc_u32_e32 v5, v5, v6
	v_cmp_lt_u32_e64 s0, s39, v5
	s_delay_alu instid0(VALU_DEP_1)
	s_and_b32 s41, s0, exec_lo
; %bb.11:
	s_or_b32 exec_lo, exec_lo, s1
	v_add_nc_u32_e32 v5, s17, v21
	v_add_nc_u32_e32 v6, s19, v21
	s_mov_b32 s3, exec_lo
	s_delay_alu instid0(VALU_DEP_2) | instskip(NEXT) | instid1(VALU_DEP_2)
	v_mul_lo_u32 v5, v5, s16
	v_mul_lo_u32 v6, v6, s18
	s_delay_alu instid0(VALU_DEP_1) | instskip(NEXT) | instid1(VALU_DEP_1)
	v_sub_nc_u32_e32 v5, v5, v6
	v_cmp_lt_u32_e64 s0, s20, v5
	v_cmpx_ge_u32_e64 s20, v5
; %bb.12:
	v_add_nc_u32_e32 v5, s22, v21
	v_add_nc_u32_e32 v6, s38, v21
	s_delay_alu instid0(VALU_DEP_2) | instskip(NEXT) | instid1(VALU_DEP_2)
	v_mul_lo_u32 v5, v5, s21
	v_mul_lo_u32 v6, v6, s23
	s_delay_alu instid0(VALU_DEP_1) | instskip(NEXT) | instid1(VALU_DEP_1)
	v_sub_nc_u32_e32 v5, v5, v6
	v_cmp_lt_u32_e64 s1, s39, v5
	s_delay_alu instid0(VALU_DEP_1)
	s_and_b32 s42, s1, exec_lo
; %bb.13:
	s_or_b32 exec_lo, exec_lo, s3
	v_add_nc_u32_e32 v5, s17, v18
	v_add_nc_u32_e32 v6, s19, v18
	s_mov_b32 s44, 0
	s_mov_b32 s43, 0
	s_mov_b32 s4, exec_lo
	v_mul_lo_u32 v5, v5, s16
	v_mul_lo_u32 v6, v6, s18
	s_delay_alu instid0(VALU_DEP_1) | instskip(NEXT) | instid1(VALU_DEP_1)
	v_sub_nc_u32_e32 v5, v5, v6
	v_cmp_lt_u32_e64 s1, s20, v5
	v_cmpx_ge_u32_e64 s20, v5
; %bb.14:
	v_add_nc_u32_e32 v5, s22, v18
	v_add_nc_u32_e32 v6, s38, v18
	s_delay_alu instid0(VALU_DEP_2) | instskip(NEXT) | instid1(VALU_DEP_2)
	v_mul_lo_u32 v5, v5, s21
	v_mul_lo_u32 v6, v6, s23
	s_delay_alu instid0(VALU_DEP_1) | instskip(NEXT) | instid1(VALU_DEP_1)
	v_sub_nc_u32_e32 v5, v5, v6
	v_cmp_lt_u32_e64 s3, s39, v5
	s_delay_alu instid0(VALU_DEP_1)
	s_and_b32 s43, s3, exec_lo
; %bb.15:
	s_or_b32 exec_lo, exec_lo, s4
	v_add_nc_u32_e32 v5, s17, v19
	v_add_nc_u32_e32 v6, s19, v19
	s_mov_b32 s5, exec_lo
	s_delay_alu instid0(VALU_DEP_2) | instskip(NEXT) | instid1(VALU_DEP_2)
	v_mul_lo_u32 v5, v5, s16
	v_mul_lo_u32 v6, v6, s18
	s_delay_alu instid0(VALU_DEP_1) | instskip(NEXT) | instid1(VALU_DEP_1)
	v_sub_nc_u32_e32 v5, v5, v6
	v_cmp_lt_u32_e64 s3, s20, v5
	v_cmpx_ge_u32_e64 s20, v5
; %bb.16:
	v_add_nc_u32_e32 v5, s22, v19
	v_add_nc_u32_e32 v6, s38, v19
	s_delay_alu instid0(VALU_DEP_2) | instskip(NEXT) | instid1(VALU_DEP_2)
	v_mul_lo_u32 v5, v5, s21
	v_mul_lo_u32 v6, v6, s23
	s_delay_alu instid0(VALU_DEP_1) | instskip(NEXT) | instid1(VALU_DEP_1)
	v_sub_nc_u32_e32 v5, v5, v6
	v_cmp_lt_u32_e64 s4, s39, v5
	s_delay_alu instid0(VALU_DEP_1)
	s_and_b32 s44, s4, exec_lo
; %bb.17:
	s_or_b32 exec_lo, exec_lo, s5
	v_add_nc_u32_e32 v5, s17, v16
	v_add_nc_u32_e32 v6, s19, v16
	s_mov_b32 s46, 0
	s_mov_b32 s45, 0
	s_mov_b32 s6, exec_lo
	v_mul_lo_u32 v5, v5, s16
	v_mul_lo_u32 v6, v6, s18
	s_delay_alu instid0(VALU_DEP_1) | instskip(NEXT) | instid1(VALU_DEP_1)
	v_sub_nc_u32_e32 v5, v5, v6
	v_cmp_lt_u32_e64 s4, s20, v5
	;; [unrolled: 47-line block ×5, first 2 shown]
	v_cmpx_ge_u32_e64 s20, v5
; %bb.30:
	v_add_nc_u32_e32 v5, s22, v10
	v_add_nc_u32_e32 v6, s38, v10
	s_delay_alu instid0(VALU_DEP_2) | instskip(NEXT) | instid1(VALU_DEP_2)
	v_mul_lo_u32 v5, v5, s21
	v_mul_lo_u32 v6, v6, s23
	s_delay_alu instid0(VALU_DEP_1) | instskip(NEXT) | instid1(VALU_DEP_1)
	v_sub_nc_u32_e32 v5, v5, v6
	v_cmp_lt_u32_e64 s11, s39, v5
	s_delay_alu instid0(VALU_DEP_1)
	s_and_b32 s53, s11, exec_lo
; %bb.31:
	s_or_b32 exec_lo, exec_lo, s12
	v_add_nc_u32_e32 v5, s17, v11
	v_add_nc_u32_e32 v6, s19, v11
	s_mov_b32 s27, exec_lo
	s_delay_alu instid0(VALU_DEP_2) | instskip(NEXT) | instid1(VALU_DEP_2)
	v_mul_lo_u32 v5, v5, s16
	v_mul_lo_u32 v6, v6, s18
	s_delay_alu instid0(VALU_DEP_1) | instskip(NEXT) | instid1(VALU_DEP_1)
	v_sub_nc_u32_e32 v5, v5, v6
	v_cmp_lt_u32_e64 s11, s20, v5
	v_cmpx_ge_u32_e64 s20, v5
; %bb.32:
	v_add_nc_u32_e32 v5, s22, v11
	v_add_nc_u32_e32 v6, s38, v11
	s_delay_alu instid0(VALU_DEP_2) | instskip(NEXT) | instid1(VALU_DEP_2)
	v_mul_lo_u32 v5, v5, s21
	v_mul_lo_u32 v6, v6, s23
	s_delay_alu instid0(VALU_DEP_1) | instskip(NEXT) | instid1(VALU_DEP_1)
	v_sub_nc_u32_e32 v5, v5, v6
	v_cmp_lt_u32_e64 s12, s39, v5
	s_delay_alu instid0(VALU_DEP_1)
	s_and_b32 s52, s12, exec_lo
; %bb.33:
	s_or_b32 exec_lo, exec_lo, s27
	v_add_nc_u32_e32 v5, s17, v32
	v_add_nc_u32_e32 v6, s19, v32
	s_mov_b32 s27, -1
	s_mov_b32 s49, 0
	s_mov_b32 s33, 0
	v_mul_lo_u32 v5, v5, s16
	v_mul_lo_u32 v6, v6, s18
	s_mov_b32 s54, exec_lo
	s_delay_alu instid0(VALU_DEP_1) | instskip(NEXT) | instid1(VALU_DEP_1)
	v_sub_nc_u32_e32 v5, v5, v6
	v_cmpx_ge_u32_e64 s20, v5
; %bb.34:
	v_add_nc_u32_e32 v5, s22, v32
	v_add_nc_u32_e32 v6, s38, v32
	s_xor_b32 s27, exec_lo, -1
	s_delay_alu instid0(VALU_DEP_2) | instskip(NEXT) | instid1(VALU_DEP_2)
	v_mul_lo_u32 v5, v5, s21
	v_mul_lo_u32 v6, v6, s23
	s_delay_alu instid0(VALU_DEP_1) | instskip(NEXT) | instid1(VALU_DEP_1)
	v_sub_nc_u32_e32 v5, v5, v6
	v_cmp_lt_u32_e64 s12, s39, v5
	s_delay_alu instid0(VALU_DEP_1)
	s_and_b32 s33, s12, exec_lo
; %bb.35:
	s_or_b32 exec_lo, exec_lo, s54
	v_cndmask_b32_e64 v53, 0, 1, s53
	v_cndmask_b32_e64 v56, 0, 1, s11
	;; [unrolled: 1-line block ×22, first 2 shown]
	v_cndmask_b32_e64 v34, 0, 1, vcc_lo
	v_cndmask_b32_e64 v57, 0, 1, s52
	s_and_b32 vcc_lo, exec_lo, s49
	s_add_i32 s4, s40, 0xd00
	s_cbranch_vccnz .LBB550_37
	s_branch .LBB550_90
.LBB550_36:
                                        ; implicit-def: $sgpr27
                                        ; implicit-def: $sgpr33
                                        ; implicit-def: $vgpr57
                                        ; implicit-def: $vgpr53
                                        ; implicit-def: $vgpr52
                                        ; implicit-def: $vgpr50
                                        ; implicit-def: $vgpr48
                                        ; implicit-def: $vgpr46
                                        ; implicit-def: $vgpr44
                                        ; implicit-def: $vgpr42
                                        ; implicit-def: $vgpr39
                                        ; implicit-def: $vgpr34
                                        ; implicit-def: $vgpr37
                                        ; implicit-def: $vgpr36
                                        ; implicit-def: $vgpr41
                                        ; implicit-def: $vgpr43
                                        ; implicit-def: $vgpr45
                                        ; implicit-def: $vgpr47
                                        ; implicit-def: $vgpr49
                                        ; implicit-def: $vgpr51
                                        ; implicit-def: $vgpr54
                                        ; implicit-def: $vgpr55
                                        ; implicit-def: $vgpr56
                                        ; implicit-def: $vgpr35
                                        ; implicit-def: $vgpr40
                                        ; implicit-def: $vgpr38
	s_add_i32 s4, s40, 0xd00
	s_cbranch_execz .LBB550_90
.LBB550_37:
	v_dual_mov_b32 v35, 0 :: v_dual_mov_b32 v34, 0
	s_mov_b32 s3, 0
	s_mov_b32 s1, exec_lo
	v_cmpx_gt_u32_e64 s4, v33
	s_cbranch_execz .LBB550_41
; %bb.38:
	v_add_nc_u32_e32 v5, s17, v20
	v_add_nc_u32_e32 v6, s19, v20
	s_mov_b32 s5, exec_lo
	s_delay_alu instid0(VALU_DEP_2) | instskip(NEXT) | instid1(VALU_DEP_2)
	v_mul_lo_u32 v5, v5, s16
	v_mul_lo_u32 v6, v6, s18
	s_delay_alu instid0(VALU_DEP_1) | instskip(NEXT) | instid1(VALU_DEP_1)
	v_sub_nc_u32_e32 v5, v5, v6
	v_cmp_lt_u32_e32 vcc_lo, s20, v5
	v_cmpx_ge_u32_e64 s20, v5
; %bb.39:
	v_add_nc_u32_e32 v5, s22, v20
	v_add_nc_u32_e32 v6, s38, v20
	s_delay_alu instid0(VALU_DEP_2) | instskip(NEXT) | instid1(VALU_DEP_2)
	v_mul_lo_u32 v5, v5, s21
	v_mul_lo_u32 v6, v6, s23
	s_delay_alu instid0(VALU_DEP_1) | instskip(NEXT) | instid1(VALU_DEP_1)
	v_sub_nc_u32_e32 v5, v5, v6
	v_cmp_lt_u32_e64 s0, s39, v5
	s_delay_alu instid0(VALU_DEP_1)
	s_and_b32 s3, s0, exec_lo
; %bb.40:
	s_or_b32 exec_lo, exec_lo, s5
	v_cndmask_b32_e64 v34, 0, 1, vcc_lo
	v_cndmask_b32_e64 v35, 0, 1, s3
.LBB550_41:
	s_or_b32 exec_lo, exec_lo, s1
	v_dual_mov_b32 v40, 0 :: v_dual_add_nc_u32 v5, 1, v33
	v_mov_b32_e32 v37, 0
	s_mov_b32 s3, 0
	s_mov_b32 s1, exec_lo
	s_delay_alu instid0(VALU_DEP_2)
	v_cmpx_gt_u32_e64 s4, v5
	s_cbranch_execz .LBB550_45
; %bb.42:
	v_add_nc_u32_e32 v5, s17, v21
	v_add_nc_u32_e32 v6, s19, v21
	s_mov_b32 s5, exec_lo
	s_delay_alu instid0(VALU_DEP_2) | instskip(NEXT) | instid1(VALU_DEP_2)
	v_mul_lo_u32 v5, v5, s16
	v_mul_lo_u32 v6, v6, s18
	s_delay_alu instid0(VALU_DEP_1) | instskip(NEXT) | instid1(VALU_DEP_1)
	v_sub_nc_u32_e32 v5, v5, v6
	v_cmp_lt_u32_e32 vcc_lo, s20, v5
	v_cmpx_ge_u32_e64 s20, v5
; %bb.43:
	v_add_nc_u32_e32 v5, s22, v21
	v_add_nc_u32_e32 v6, s38, v21
	s_delay_alu instid0(VALU_DEP_2) | instskip(NEXT) | instid1(VALU_DEP_2)
	v_mul_lo_u32 v5, v5, s21
	v_mul_lo_u32 v6, v6, s23
	s_delay_alu instid0(VALU_DEP_1) | instskip(NEXT) | instid1(VALU_DEP_1)
	v_sub_nc_u32_e32 v5, v5, v6
	v_cmp_lt_u32_e64 s0, s39, v5
	s_delay_alu instid0(VALU_DEP_1)
	s_and_b32 s3, s0, exec_lo
; %bb.44:
	s_or_b32 exec_lo, exec_lo, s5
	v_cndmask_b32_e64 v37, 0, 1, vcc_lo
	v_cndmask_b32_e64 v40, 0, 1, s3
.LBB550_45:
	s_or_b32 exec_lo, exec_lo, s1
	v_dual_mov_b32 v36, 0 :: v_dual_add_nc_u32 v5, 2, v33
	v_mov_b32_e32 v38, 0
	s_mov_b32 s3, 0
	s_mov_b32 s1, exec_lo
	s_delay_alu instid0(VALU_DEP_2)
	v_cmpx_gt_u32_e64 s4, v5
	s_cbranch_execz .LBB550_49
; %bb.46:
	v_add_nc_u32_e32 v5, s17, v18
	v_add_nc_u32_e32 v6, s19, v18
	s_mov_b32 s5, exec_lo
	s_delay_alu instid0(VALU_DEP_2) | instskip(NEXT) | instid1(VALU_DEP_2)
	v_mul_lo_u32 v5, v5, s16
	v_mul_lo_u32 v6, v6, s18
	s_delay_alu instid0(VALU_DEP_1) | instskip(NEXT) | instid1(VALU_DEP_1)
	v_sub_nc_u32_e32 v5, v5, v6
	v_cmp_lt_u32_e32 vcc_lo, s20, v5
	v_cmpx_ge_u32_e64 s20, v5
; %bb.47:
	v_add_nc_u32_e32 v5, s22, v18
	v_add_nc_u32_e32 v6, s38, v18
	s_delay_alu instid0(VALU_DEP_2) | instskip(NEXT) | instid1(VALU_DEP_2)
	v_mul_lo_u32 v5, v5, s21
	v_mul_lo_u32 v6, v6, s23
	s_delay_alu instid0(VALU_DEP_1) | instskip(NEXT) | instid1(VALU_DEP_1)
	v_sub_nc_u32_e32 v5, v5, v6
	v_cmp_lt_u32_e64 s0, s39, v5
	s_delay_alu instid0(VALU_DEP_1)
	s_and_b32 s3, s0, exec_lo
; %bb.48:
	s_or_b32 exec_lo, exec_lo, s5
	v_cndmask_b32_e64 v36, 0, 1, vcc_lo
	v_cndmask_b32_e64 v38, 0, 1, s3
.LBB550_49:
	s_or_b32 exec_lo, exec_lo, s1
	v_add_nc_u32_e32 v5, 3, v33
	v_mov_b32_e32 v39, 0
	v_mov_b32_e32 v41, 0
	s_mov_b32 s3, 0
	s_mov_b32 s1, exec_lo
	v_cmpx_gt_u32_e64 s4, v5
	s_cbranch_execz .LBB550_53
; %bb.50:
	v_add_nc_u32_e32 v5, s17, v19
	v_add_nc_u32_e32 v6, s19, v19
	s_mov_b32 s5, exec_lo
	s_delay_alu instid0(VALU_DEP_2) | instskip(NEXT) | instid1(VALU_DEP_2)
	v_mul_lo_u32 v5, v5, s16
	v_mul_lo_u32 v6, v6, s18
	s_delay_alu instid0(VALU_DEP_1) | instskip(NEXT) | instid1(VALU_DEP_1)
	v_sub_nc_u32_e32 v5, v5, v6
	v_cmp_lt_u32_e32 vcc_lo, s20, v5
	v_cmpx_ge_u32_e64 s20, v5
; %bb.51:
	v_add_nc_u32_e32 v5, s22, v19
	v_add_nc_u32_e32 v6, s38, v19
	s_delay_alu instid0(VALU_DEP_2) | instskip(NEXT) | instid1(VALU_DEP_2)
	v_mul_lo_u32 v5, v5, s21
	v_mul_lo_u32 v6, v6, s23
	s_delay_alu instid0(VALU_DEP_1) | instskip(NEXT) | instid1(VALU_DEP_1)
	v_sub_nc_u32_e32 v5, v5, v6
	v_cmp_lt_u32_e64 s0, s39, v5
	s_delay_alu instid0(VALU_DEP_1)
	s_and_b32 s3, s0, exec_lo
; %bb.52:
	s_or_b32 exec_lo, exec_lo, s5
	v_cndmask_b32_e64 v41, 0, 1, vcc_lo
	v_cndmask_b32_e64 v39, 0, 1, s3
.LBB550_53:
	s_or_b32 exec_lo, exec_lo, s1
	v_dual_mov_b32 v42, 0 :: v_dual_add_nc_u32 v5, 4, v33
	v_mov_b32_e32 v43, 0
	s_mov_b32 s3, 0
	s_mov_b32 s1, exec_lo
	s_delay_alu instid0(VALU_DEP_2)
	v_cmpx_gt_u32_e64 s4, v5
	s_cbranch_execz .LBB550_57
; %bb.54:
	v_add_nc_u32_e32 v5, s17, v16
	v_add_nc_u32_e32 v6, s19, v16
	s_mov_b32 s5, exec_lo
	s_delay_alu instid0(VALU_DEP_2) | instskip(NEXT) | instid1(VALU_DEP_2)
	v_mul_lo_u32 v5, v5, s16
	v_mul_lo_u32 v6, v6, s18
	s_delay_alu instid0(VALU_DEP_1) | instskip(NEXT) | instid1(VALU_DEP_1)
	v_sub_nc_u32_e32 v5, v5, v6
	v_cmp_lt_u32_e32 vcc_lo, s20, v5
	v_cmpx_ge_u32_e64 s20, v5
; %bb.55:
	v_add_nc_u32_e32 v5, s22, v16
	v_add_nc_u32_e32 v6, s38, v16
	s_delay_alu instid0(VALU_DEP_2) | instskip(NEXT) | instid1(VALU_DEP_2)
	v_mul_lo_u32 v5, v5, s21
	v_mul_lo_u32 v6, v6, s23
	s_delay_alu instid0(VALU_DEP_1) | instskip(NEXT) | instid1(VALU_DEP_1)
	v_sub_nc_u32_e32 v5, v5, v6
	v_cmp_lt_u32_e64 s0, s39, v5
	s_delay_alu instid0(VALU_DEP_1)
	s_and_b32 s3, s0, exec_lo
; %bb.56:
	s_or_b32 exec_lo, exec_lo, s5
	v_cndmask_b32_e64 v43, 0, 1, vcc_lo
	v_cndmask_b32_e64 v42, 0, 1, s3
.LBB550_57:
	s_or_b32 exec_lo, exec_lo, s1
	v_dual_mov_b32 v44, 0 :: v_dual_add_nc_u32 v5, 5, v33
	v_mov_b32_e32 v45, 0
	s_mov_b32 s3, 0
	s_mov_b32 s1, exec_lo
	s_delay_alu instid0(VALU_DEP_2)
	;; [unrolled: 35-line block ×6, first 2 shown]
	v_cmpx_gt_u32_e64 s4, v5
	s_cbranch_execz .LBB550_77
; %bb.74:
	v_add_nc_u32_e32 v5, s17, v13
	v_add_nc_u32_e32 v6, s19, v13
	s_mov_b32 s5, exec_lo
	s_delay_alu instid0(VALU_DEP_2) | instskip(NEXT) | instid1(VALU_DEP_2)
	v_mul_lo_u32 v5, v5, s16
	v_mul_lo_u32 v6, v6, s18
	s_delay_alu instid0(VALU_DEP_1) | instskip(NEXT) | instid1(VALU_DEP_1)
	v_sub_nc_u32_e32 v5, v5, v6
	v_cmp_lt_u32_e32 vcc_lo, s20, v5
	v_cmpx_ge_u32_e64 s20, v5
; %bb.75:
	v_add_nc_u32_e32 v5, s22, v13
	v_add_nc_u32_e32 v6, s38, v13
	s_delay_alu instid0(VALU_DEP_2) | instskip(NEXT) | instid1(VALU_DEP_2)
	v_mul_lo_u32 v5, v5, s21
	v_mul_lo_u32 v6, v6, s23
	s_delay_alu instid0(VALU_DEP_1) | instskip(NEXT) | instid1(VALU_DEP_1)
	v_sub_nc_u32_e32 v5, v5, v6
	v_cmp_lt_u32_e64 s0, s39, v5
	s_delay_alu instid0(VALU_DEP_1)
	s_and_b32 s3, s0, exec_lo
; %bb.76:
	s_or_b32 exec_lo, exec_lo, s5
	v_cndmask_b32_e64 v54, 0, 1, vcc_lo
	v_cndmask_b32_e64 v52, 0, 1, s3
.LBB550_77:
	s_or_b32 exec_lo, exec_lo, s1
	v_add_nc_u32_e32 v5, 10, v33
	v_mov_b32_e32 v53, 0
	v_mov_b32_e32 v55, 0
	s_mov_b32 s3, 0
	s_mov_b32 s1, exec_lo
	v_cmpx_gt_u32_e64 s4, v5
	s_cbranch_execz .LBB550_81
; %bb.78:
	v_add_nc_u32_e32 v5, s17, v10
	v_add_nc_u32_e32 v6, s19, v10
	s_mov_b32 s5, exec_lo
	s_delay_alu instid0(VALU_DEP_2) | instskip(NEXT) | instid1(VALU_DEP_2)
	v_mul_lo_u32 v5, v5, s16
	v_mul_lo_u32 v6, v6, s18
	s_delay_alu instid0(VALU_DEP_1) | instskip(NEXT) | instid1(VALU_DEP_1)
	v_sub_nc_u32_e32 v5, v5, v6
	v_cmp_lt_u32_e32 vcc_lo, s20, v5
	v_cmpx_ge_u32_e64 s20, v5
; %bb.79:
	v_add_nc_u32_e32 v5, s22, v10
	v_add_nc_u32_e32 v6, s38, v10
	s_delay_alu instid0(VALU_DEP_2) | instskip(NEXT) | instid1(VALU_DEP_2)
	v_mul_lo_u32 v5, v5, s21
	v_mul_lo_u32 v6, v6, s23
	s_delay_alu instid0(VALU_DEP_1) | instskip(NEXT) | instid1(VALU_DEP_1)
	v_sub_nc_u32_e32 v5, v5, v6
	v_cmp_lt_u32_e64 s0, s39, v5
	s_delay_alu instid0(VALU_DEP_1)
	s_and_b32 s3, s0, exec_lo
; %bb.80:
	s_or_b32 exec_lo, exec_lo, s5
	v_cndmask_b32_e64 v55, 0, 1, vcc_lo
	v_cndmask_b32_e64 v53, 0, 1, s3
.LBB550_81:
	s_or_b32 exec_lo, exec_lo, s1
	v_dual_mov_b32 v56, 0 :: v_dual_add_nc_u32 v5, 11, v33
	v_mov_b32_e32 v57, 0
	s_mov_b32 s3, 0
	s_mov_b32 s1, exec_lo
	s_delay_alu instid0(VALU_DEP_2)
	v_cmpx_gt_u32_e64 s4, v5
	s_cbranch_execz .LBB550_85
; %bb.82:
	v_add_nc_u32_e32 v5, s17, v11
	v_add_nc_u32_e32 v6, s19, v11
	s_mov_b32 s5, exec_lo
	s_delay_alu instid0(VALU_DEP_2) | instskip(NEXT) | instid1(VALU_DEP_2)
	v_mul_lo_u32 v5, v5, s16
	v_mul_lo_u32 v6, v6, s18
	s_delay_alu instid0(VALU_DEP_1) | instskip(NEXT) | instid1(VALU_DEP_1)
	v_sub_nc_u32_e32 v5, v5, v6
	v_cmp_lt_u32_e32 vcc_lo, s20, v5
	v_cmpx_ge_u32_e64 s20, v5
; %bb.83:
	v_add_nc_u32_e32 v5, s22, v11
	v_add_nc_u32_e32 v6, s38, v11
	s_delay_alu instid0(VALU_DEP_2) | instskip(NEXT) | instid1(VALU_DEP_2)
	v_mul_lo_u32 v5, v5, s21
	v_mul_lo_u32 v6, v6, s23
	s_delay_alu instid0(VALU_DEP_1) | instskip(NEXT) | instid1(VALU_DEP_1)
	v_sub_nc_u32_e32 v5, v5, v6
	v_cmp_lt_u32_e64 s0, s39, v5
	s_delay_alu instid0(VALU_DEP_1)
	s_and_b32 s3, s0, exec_lo
; %bb.84:
	s_or_b32 exec_lo, exec_lo, s5
	v_cndmask_b32_e64 v56, 0, 1, vcc_lo
	v_cndmask_b32_e64 v57, 0, 1, s3
.LBB550_85:
	s_or_b32 exec_lo, exec_lo, s1
	v_add_nc_u32_e32 v5, 12, v33
	s_mov_b32 s27, 0
	s_mov_b32 s33, 0
	s_mov_b32 s0, exec_lo
	s_delay_alu instid0(VALU_DEP_1)
	v_cmpx_gt_u32_e64 s4, v5
	s_cbranch_execz .LBB550_89
; %bb.86:
	v_add_nc_u32_e32 v5, s17, v32
	v_add_nc_u32_e32 v6, s19, v32
	s_mov_b32 s3, -1
	s_mov_b32 s5, 0
	s_mov_b32 s1, exec_lo
	v_mul_lo_u32 v5, v5, s16
	v_mul_lo_u32 v6, v6, s18
	s_delay_alu instid0(VALU_DEP_1) | instskip(NEXT) | instid1(VALU_DEP_1)
	v_sub_nc_u32_e32 v5, v5, v6
	v_cmpx_ge_u32_e64 s20, v5
; %bb.87:
	v_add_nc_u32_e32 v5, s22, v32
	v_add_nc_u32_e32 v6, s38, v32
	s_xor_b32 s3, exec_lo, -1
	s_delay_alu instid0(VALU_DEP_2) | instskip(NEXT) | instid1(VALU_DEP_2)
	v_mul_lo_u32 v5, v5, s21
	v_mul_lo_u32 v6, v6, s23
	s_delay_alu instid0(VALU_DEP_1) | instskip(NEXT) | instid1(VALU_DEP_1)
	v_sub_nc_u32_e32 v5, v5, v6
	v_cmp_lt_u32_e32 vcc_lo, s39, v5
	s_and_b32 s5, vcc_lo, exec_lo
; %bb.88:
	s_or_b32 exec_lo, exec_lo, s1
	s_delay_alu instid0(SALU_CYCLE_1)
	s_and_b32 s33, s5, exec_lo
	s_and_b32 s27, s3, exec_lo
.LBB550_89:
	s_or_b32 exec_lo, exec_lo, s0
.LBB550_90:
	v_and_b32_e32 v80, 0xff, v34
	v_and_b32_e32 v81, 0xff, v35
	;; [unrolled: 1-line block ×10, first 2 shown]
	v_add3_u32 v5, v76, v78, v80
	v_add3_u32 v6, v77, v79, v81
	v_and_b32_e32 v70, 0xff, v45
	v_and_b32_e32 v71, 0xff, v44
	v_and_b32_e32 v64, 0xff, v47
	v_and_b32_e32 v65, 0xff, v46
	v_add3_u32 v5, v5, v74, v72
	v_add3_u32 v6, v6, v75, v73
	v_and_b32_e32 v68, 0xff, v49
	v_and_b32_e32 v69, 0xff, v48
	v_and_b32_e32 v66, 0xff, v51
	v_and_b32_e32 v67, 0xff, v50
	;; [unrolled: 6-line block ×3, first 2 shown]
	v_add3_u32 v5, v5, v68, v66
	v_add3_u32 v6, v6, v69, v67
	v_mbcnt_lo_u32_b32 v82, -1, 0
	v_and_b32_e32 v58, 0xff, v56
	v_and_b32_e32 v59, 0xff, v57
	v_cndmask_b32_e64 v7, 0, 1, s33
	v_add3_u32 v5, v5, v61, v60
	v_cndmask_b32_e64 v8, 0, 1, s27
	v_add3_u32 v6, v6, v62, v63
	v_and_b32_e32 v86, 15, v82
	v_and_b32_e32 v85, 16, v82
	v_lshrrev_b32_e32 v83, 5, v0
	v_add3_u32 v87, v5, v58, v8
	v_add3_u32 v88, v6, v59, v7
	v_cmp_eq_u32_e64 s1, 0, v86
	v_cmp_lt_u32_e64 s0, 1, v86
	v_cmp_lt_u32_e64 s3, 3, v86
	v_cmp_lt_u32_e32 vcc_lo, 7, v86
	v_or_b32_e32 v84, 31, v0
	s_cmp_lg_u32 s26, 0
	s_mov_b32 s5, -1
	s_cbranch_scc0 .LBB550_123
; %bb.91:
	v_mov_b32_dpp v5, v88 row_shr:1 row_mask:0xf bank_mask:0xf
	v_mov_b32_dpp v6, v87 row_shr:1 row_mask:0xf bank_mask:0xf
	s_delay_alu instid0(VALU_DEP_2) | instskip(NEXT) | instid1(VALU_DEP_2)
	v_add_nc_u32_e32 v5, v5, v88
	v_add_nc_u32_e32 v6, v6, v87
	s_delay_alu instid0(VALU_DEP_2) | instskip(NEXT) | instid1(VALU_DEP_2)
	v_cndmask_b32_e64 v5, v5, v88, s1
	v_cndmask_b32_e64 v6, v6, v87, s1
	s_delay_alu instid0(VALU_DEP_2) | instskip(NEXT) | instid1(VALU_DEP_2)
	v_mov_b32_dpp v7, v5 row_shr:2 row_mask:0xf bank_mask:0xf
	v_mov_b32_dpp v8, v6 row_shr:2 row_mask:0xf bank_mask:0xf
	s_delay_alu instid0(VALU_DEP_2) | instskip(NEXT) | instid1(VALU_DEP_1)
	v_add_nc_u32_e32 v7, v5, v7
	v_cndmask_b32_e64 v5, v5, v7, s0
	s_delay_alu instid0(VALU_DEP_1) | instskip(NEXT) | instid1(VALU_DEP_1)
	v_mov_b32_dpp v7, v5 row_shr:4 row_mask:0xf bank_mask:0xf
	v_add_nc_u32_e32 v7, v5, v7
	s_delay_alu instid0(VALU_DEP_1) | instskip(NEXT) | instid1(VALU_DEP_1)
	v_cndmask_b32_e64 v5, v5, v7, s3
	v_mov_b32_dpp v7, v5 row_shr:8 row_mask:0xf bank_mask:0xf
	s_delay_alu instid0(VALU_DEP_1) | instskip(NEXT) | instid1(VALU_DEP_1)
	v_add_nc_u32_e32 v7, v5, v7
	v_dual_cndmask_b32 v5, v5, v7 :: v_dual_add_nc_u32 v8, v6, v8
	s_delay_alu instid0(VALU_DEP_1) | instskip(NEXT) | instid1(VALU_DEP_1)
	v_cndmask_b32_e64 v6, v6, v8, s0
	v_mov_b32_dpp v8, v6 row_shr:4 row_mask:0xf bank_mask:0xf
	s_delay_alu instid0(VALU_DEP_1) | instskip(NEXT) | instid1(VALU_DEP_1)
	v_add_nc_u32_e32 v8, v6, v8
	v_cndmask_b32_e64 v6, v6, v8, s3
	s_mov_b32 s3, exec_lo
	s_delay_alu instid0(VALU_DEP_1) | instskip(NEXT) | instid1(VALU_DEP_1)
	v_mov_b32_dpp v8, v6 row_shr:8 row_mask:0xf bank_mask:0xf
	v_add_nc_u32_e32 v8, v6, v8
	s_delay_alu instid0(VALU_DEP_1)
	v_cndmask_b32_e32 v7, v6, v8, vcc_lo
	ds_swizzle_b32 v6, v5 offset:swizzle(BROADCAST,32,15)
	v_cmp_eq_u32_e32 vcc_lo, 0, v85
	s_waitcnt lgkmcnt(0)
	v_add_nc_u32_e32 v6, v5, v6
	ds_swizzle_b32 v8, v7 offset:swizzle(BROADCAST,32,15)
	v_cndmask_b32_e32 v6, v6, v5, vcc_lo
	s_waitcnt lgkmcnt(0)
	v_add_nc_u32_e32 v8, v7, v8
	s_delay_alu instid0(VALU_DEP_1)
	v_cndmask_b32_e32 v5, v8, v7, vcc_lo
	v_cmpx_eq_u32_e64 v84, v0
	s_cbranch_execz .LBB550_93
; %bb.92:
	v_lshlrev_b32_e32 v7, 3, v83
	ds_store_b64 v7, v[5:6]
.LBB550_93:
	s_or_b32 exec_lo, exec_lo, s3
	s_delay_alu instid0(SALU_CYCLE_1)
	s_mov_b32 s3, exec_lo
	s_waitcnt lgkmcnt(0)
	s_barrier
	buffer_gl0_inv
	v_cmpx_gt_u32_e32 8, v0
	s_cbranch_execz .LBB550_95
; %bb.94:
	v_lshlrev_b32_e32 v9, 3, v0
	ds_load_b64 v[7:8], v9
	s_waitcnt lgkmcnt(0)
	v_mov_b32_dpp v22, v7 row_shr:1 row_mask:0xf bank_mask:0xf
	v_mov_b32_dpp v23, v8 row_shr:1 row_mask:0xf bank_mask:0xf
	s_delay_alu instid0(VALU_DEP_2) | instskip(SKIP_1) | instid1(VALU_DEP_3)
	v_add_nc_u32_e32 v22, v22, v7
	v_and_b32_e32 v24, 7, v82
	v_add_nc_u32_e32 v23, v23, v8
	s_delay_alu instid0(VALU_DEP_2) | instskip(NEXT) | instid1(VALU_DEP_2)
	v_cmp_eq_u32_e32 vcc_lo, 0, v24
	v_dual_cndmask_b32 v8, v23, v8 :: v_dual_cndmask_b32 v7, v22, v7
	v_cmp_lt_u32_e32 vcc_lo, 1, v24
	s_delay_alu instid0(VALU_DEP_2) | instskip(NEXT) | instid1(VALU_DEP_3)
	v_mov_b32_dpp v23, v8 row_shr:2 row_mask:0xf bank_mask:0xf
	v_mov_b32_dpp v22, v7 row_shr:2 row_mask:0xf bank_mask:0xf
	s_delay_alu instid0(VALU_DEP_2) | instskip(NEXT) | instid1(VALU_DEP_2)
	v_add_nc_u32_e32 v23, v8, v23
	v_add_nc_u32_e32 v22, v7, v22
	s_delay_alu instid0(VALU_DEP_1) | instskip(SKIP_1) | instid1(VALU_DEP_2)
	v_dual_cndmask_b32 v8, v8, v23 :: v_dual_cndmask_b32 v7, v7, v22
	v_cmp_lt_u32_e32 vcc_lo, 3, v24
	v_mov_b32_dpp v23, v8 row_shr:4 row_mask:0xf bank_mask:0xf
	s_delay_alu instid0(VALU_DEP_3) | instskip(NEXT) | instid1(VALU_DEP_1)
	v_mov_b32_dpp v22, v7 row_shr:4 row_mask:0xf bank_mask:0xf
	v_dual_cndmask_b32 v23, 0, v23 :: v_dual_cndmask_b32 v22, 0, v22
	s_delay_alu instid0(VALU_DEP_1) | instskip(NEXT) | instid1(VALU_DEP_2)
	v_add_nc_u32_e32 v8, v23, v8
	v_add_nc_u32_e32 v7, v22, v7
	ds_store_b64 v9, v[7:8]
.LBB550_95:
	s_or_b32 exec_lo, exec_lo, s3
	v_cmp_gt_u32_e32 vcc_lo, 32, v0
	v_cmp_lt_u32_e64 s3, 31, v0
	s_waitcnt lgkmcnt(0)
	s_barrier
	buffer_gl0_inv
                                        ; implicit-def: $vgpr23
	s_and_saveexec_b32 s5, s3
	s_delay_alu instid0(SALU_CYCLE_1)
	s_xor_b32 s3, exec_lo, s5
	s_cbranch_execz .LBB550_97
; %bb.96:
	v_lshl_add_u32 v7, v83, 3, -8
	ds_load_b64 v[22:23], v7
	s_waitcnt lgkmcnt(0)
	v_add_nc_u32_e32 v6, v23, v6
	v_add_nc_u32_e32 v5, v22, v5
.LBB550_97:
	s_and_not1_saveexec_b32 s3, s3
; %bb.98:
                                        ; implicit-def: $vgpr22
; %bb.99:
	s_delay_alu instid0(SALU_CYCLE_1) | instskip(SKIP_1) | instid1(VALU_DEP_1)
	s_or_b32 exec_lo, exec_lo, s3
	v_add_nc_u32_e32 v7, -1, v82
	v_cmp_gt_i32_e64 s3, 0, v7
	s_delay_alu instid0(VALU_DEP_1) | instskip(SKIP_1) | instid1(VALU_DEP_2)
	v_cndmask_b32_e64 v7, v7, v82, s3
	v_cmp_eq_u32_e64 s3, 0, v82
	v_lshlrev_b32_e32 v7, 2, v7
	ds_bpermute_b32 v89, v7, v5
	ds_bpermute_b32 v90, v7, v6
	s_and_saveexec_b32 s5, vcc_lo
	s_cbranch_execz .LBB550_122
; %bb.100:
	v_mov_b32_e32 v8, 0
	ds_load_b64 v[5:6], v8 offset:56
	s_waitcnt lgkmcnt(0)
	v_readfirstlane_b32 s6, v6
	s_and_saveexec_b32 s7, s3
	s_cbranch_execz .LBB550_102
; %bb.101:
	s_add_i32 s8, s26, 32
	s_mov_b32 s9, 0
	v_mov_b32_e32 v7, 1
	s_lshl_b64 s[10:11], s[8:9], 4
	s_mov_b32 s16, s9
	s_add_u32 s10, s36, s10
	s_addc_u32 s11, s37, s11
	s_and_b32 s17, s6, 0xff000000
	s_and_b32 s19, s6, 0xff0000
	s_mov_b32 s18, s9
	v_dual_mov_b32 v25, s11 :: v_dual_mov_b32 v24, s10
	s_or_b64 s[16:17], s[18:19], s[16:17]
	s_and_b32 s19, s6, 0xff00
	s_delay_alu instid0(SALU_CYCLE_1) | instskip(SKIP_1) | instid1(SALU_CYCLE_1)
	s_or_b64 s[16:17], s[16:17], s[18:19]
	s_and_b32 s19, s6, 0xff
	s_or_b64 s[8:9], s[16:17], s[18:19]
	s_delay_alu instid0(SALU_CYCLE_1)
	v_mov_b32_e32 v6, s9
	;;#ASMSTART
	global_store_dwordx4 v[24:25], v[5:8] off	
s_waitcnt vmcnt(0)
	;;#ASMEND
.LBB550_102:
	s_or_b32 exec_lo, exec_lo, s7
	v_xad_u32 v24, v82, -1, s26
	s_mov_b32 s8, 0
	s_mov_b32 s7, exec_lo
	s_delay_alu instid0(VALU_DEP_1) | instskip(NEXT) | instid1(VALU_DEP_1)
	v_add_nc_u32_e32 v7, 32, v24
	v_lshlrev_b64 v[6:7], 4, v[7:8]
	s_delay_alu instid0(VALU_DEP_1) | instskip(NEXT) | instid1(VALU_DEP_2)
	v_add_co_u32 v25, vcc_lo, s36, v6
	v_add_co_ci_u32_e32 v26, vcc_lo, s37, v7, vcc_lo
	;;#ASMSTART
	global_load_dwordx4 v[6:9], v[25:26] off glc	
s_waitcnt vmcnt(0)
	;;#ASMEND
	v_and_b32_e32 v9, 0xff, v7
	v_and_b32_e32 v27, 0xff00, v7
	v_or3_b32 v6, v6, 0, 0
	v_and_b32_e32 v28, 0xff000000, v7
	v_and_b32_e32 v7, 0xff0000, v7
	s_delay_alu instid0(VALU_DEP_4) | instskip(SKIP_2) | instid1(VALU_DEP_3)
	v_or3_b32 v9, 0, v9, v27
	v_and_b32_e32 v27, 0xff, v8
	v_or3_b32 v6, v6, 0, 0
	v_or3_b32 v7, v9, v7, v28
	s_delay_alu instid0(VALU_DEP_3)
	v_cmpx_eq_u16_e32 0, v27
	s_cbranch_execz .LBB550_108
; %bb.103:
	s_mov_b32 s9, 1
	.p2align	6
.LBB550_104:                            ; =>This Loop Header: Depth=1
                                        ;     Child Loop BB550_105 Depth 2
	s_delay_alu instid0(SALU_CYCLE_1)
	s_max_u32 s10, s9, 1
.LBB550_105:                            ;   Parent Loop BB550_104 Depth=1
                                        ; =>  This Inner Loop Header: Depth=2
	s_delay_alu instid0(SALU_CYCLE_1)
	s_add_i32 s10, s10, -1
	s_sleep 1
	s_cmp_eq_u32 s10, 0
	s_cbranch_scc0 .LBB550_105
; %bb.106:                              ;   in Loop: Header=BB550_104 Depth=1
	;;#ASMSTART
	global_load_dwordx4 v[6:9], v[25:26] off glc	
s_waitcnt vmcnt(0)
	;;#ASMEND
	v_and_b32_e32 v9, 0xff, v8
	s_cmp_lt_u32 s9, 32
	s_cselect_b32 s10, -1, 0
	s_delay_alu instid0(SALU_CYCLE_1) | instskip(NEXT) | instid1(VALU_DEP_1)
	s_cmp_lg_u32 s10, 0
	v_cmp_ne_u16_e32 vcc_lo, 0, v9
	s_addc_u32 s9, s9, 0
	s_or_b32 s8, vcc_lo, s8
	s_delay_alu instid0(SALU_CYCLE_1)
	s_and_not1_b32 exec_lo, exec_lo, s8
	s_cbranch_execnz .LBB550_104
; %bb.107:
	s_or_b32 exec_lo, exec_lo, s8
.LBB550_108:
	s_delay_alu instid0(SALU_CYCLE_1) | instskip(SKIP_3) | instid1(VALU_DEP_1)
	s_or_b32 exec_lo, exec_lo, s7
	v_cmp_ne_u32_e32 vcc_lo, 31, v82
	v_lshlrev_b32_e64 v92, v82, -1
	v_add_co_ci_u32_e32 v9, vcc_lo, 0, v82, vcc_lo
	v_lshlrev_b32_e32 v91, 2, v9
	ds_bpermute_b32 v25, v91, v7
	ds_bpermute_b32 v9, v91, v6
	s_waitcnt lgkmcnt(1)
	v_add_nc_u32_e32 v25, v25, v7
	v_and_b32_e32 v26, 0xff, v8
	s_waitcnt lgkmcnt(0)
	v_add_nc_u32_e32 v9, v9, v6
	s_delay_alu instid0(VALU_DEP_2) | instskip(SKIP_2) | instid1(VALU_DEP_2)
	v_cmp_eq_u16_e32 vcc_lo, 2, v26
	v_and_or_b32 v26, vcc_lo, v92, 0x80000000
	v_cmp_gt_u32_e32 vcc_lo, 30, v82
	v_ctz_i32_b32_e32 v26, v26
	v_cndmask_b32_e64 v27, 0, 1, vcc_lo
	s_delay_alu instid0(VALU_DEP_2) | instskip(NEXT) | instid1(VALU_DEP_2)
	v_cmp_lt_u32_e32 vcc_lo, v82, v26
	v_dual_cndmask_b32 v6, v6, v9 :: v_dual_lshlrev_b32 v27, 1, v27
	s_delay_alu instid0(VALU_DEP_1)
	v_add_lshl_u32 v93, v27, v82, 2
	v_cndmask_b32_e32 v7, v7, v25, vcc_lo
	v_cmp_gt_u32_e32 vcc_lo, 28, v82
	ds_bpermute_b32 v9, v93, v6
	ds_bpermute_b32 v25, v93, v7
	v_cndmask_b32_e64 v27, 0, 1, vcc_lo
	s_waitcnt lgkmcnt(1)
	v_add_nc_u32_e32 v9, v6, v9
	s_waitcnt lgkmcnt(0)
	v_add_nc_u32_e32 v25, v7, v25
	v_add_nc_u32_e32 v94, 2, v82
	s_delay_alu instid0(VALU_DEP_1) | instskip(NEXT) | instid1(VALU_DEP_3)
	v_cmp_gt_u32_e32 vcc_lo, v94, v26
	v_cndmask_b32_e32 v7, v25, v7, vcc_lo
	v_dual_cndmask_b32 v6, v9, v6 :: v_dual_lshlrev_b32 v27, 2, v27
	v_cmp_gt_u32_e32 vcc_lo, 24, v82
	s_delay_alu instid0(VALU_DEP_2) | instskip(SKIP_4) | instid1(VALU_DEP_1)
	v_add_lshl_u32 v95, v27, v82, 2
	v_cndmask_b32_e64 v27, 0, 1, vcc_lo
	ds_bpermute_b32 v25, v95, v7
	ds_bpermute_b32 v9, v95, v6
	v_lshlrev_b32_e32 v27, 3, v27
	v_add_lshl_u32 v97, v27, v82, 2
	s_waitcnt lgkmcnt(1)
	v_add_nc_u32_e32 v25, v7, v25
	v_add_nc_u32_e32 v96, 4, v82
	s_waitcnt lgkmcnt(0)
	v_add_nc_u32_e32 v9, v6, v9
	s_delay_alu instid0(VALU_DEP_2) | instskip(SKIP_1) | instid1(VALU_DEP_3)
	v_cmp_gt_u32_e32 vcc_lo, v96, v26
	v_cndmask_b32_e32 v7, v25, v7, vcc_lo
	v_cndmask_b32_e32 v6, v9, v6, vcc_lo
	v_cmp_gt_u32_e32 vcc_lo, 16, v82
	ds_bpermute_b32 v25, v97, v7
	ds_bpermute_b32 v9, v97, v6
	v_cndmask_b32_e64 v27, 0, 1, vcc_lo
	s_delay_alu instid0(VALU_DEP_1) | instskip(NEXT) | instid1(VALU_DEP_1)
	v_lshlrev_b32_e32 v27, 4, v27
	v_add_lshl_u32 v99, v27, v82, 2
	s_waitcnt lgkmcnt(1)
	v_add_nc_u32_e32 v25, v7, v25
	v_add_nc_u32_e32 v98, 8, v82
	s_waitcnt lgkmcnt(0)
	v_add_nc_u32_e32 v9, v6, v9
	s_delay_alu instid0(VALU_DEP_2) | instskip(SKIP_1) | instid1(VALU_DEP_3)
	v_cmp_gt_u32_e32 vcc_lo, v98, v26
	v_cndmask_b32_e32 v7, v25, v7, vcc_lo
	v_cndmask_b32_e32 v6, v9, v6, vcc_lo
	ds_bpermute_b32 v25, v99, v7
	ds_bpermute_b32 v9, v99, v6
	v_add_nc_u32_e32 v100, 16, v82
	s_delay_alu instid0(VALU_DEP_1) | instskip(SKIP_2) | instid1(VALU_DEP_1)
	v_cmp_le_u32_e32 vcc_lo, v100, v26
	s_waitcnt lgkmcnt(0)
	v_cndmask_b32_e32 v9, 0, v9, vcc_lo
	v_dual_cndmask_b32 v25, 0, v25 :: v_dual_add_nc_u32 v6, v9, v6
	s_delay_alu instid0(VALU_DEP_1)
	v_add_nc_u32_e32 v7, v25, v7
	v_mov_b32_e32 v25, 0
	s_branch .LBB550_110
.LBB550_109:                            ;   in Loop: Header=BB550_110 Depth=1
	s_or_b32 exec_lo, exec_lo, s7
	ds_bpermute_b32 v9, v91, v6
	ds_bpermute_b32 v28, v91, v7
	v_subrev_nc_u32_e32 v24, 32, v24
	s_waitcnt lgkmcnt(1)
	v_add_nc_u32_e32 v9, v9, v6
	v_and_b32_e32 v29, 0xff, v8
	s_waitcnt lgkmcnt(0)
	v_add_nc_u32_e32 v28, v28, v7
	s_delay_alu instid0(VALU_DEP_2) | instskip(SKIP_1) | instid1(VALU_DEP_1)
	v_cmp_eq_u16_e32 vcc_lo, 2, v29
	v_and_or_b32 v29, vcc_lo, v92, 0x80000000
	v_ctz_i32_b32_e32 v29, v29
	s_delay_alu instid0(VALU_DEP_1)
	v_cmp_lt_u32_e32 vcc_lo, v82, v29
	v_cndmask_b32_e32 v6, v6, v9, vcc_lo
	ds_bpermute_b32 v9, v93, v6
	s_waitcnt lgkmcnt(0)
	v_add_nc_u32_e32 v9, v6, v9
	v_cndmask_b32_e32 v7, v7, v28, vcc_lo
	v_cmp_gt_u32_e32 vcc_lo, v94, v29
	s_delay_alu instid0(VALU_DEP_3)
	v_cndmask_b32_e32 v6, v9, v6, vcc_lo
	ds_bpermute_b32 v28, v93, v7
	ds_bpermute_b32 v9, v95, v6
	s_waitcnt lgkmcnt(1)
	v_add_nc_u32_e32 v28, v7, v28
	s_waitcnt lgkmcnt(0)
	v_add_nc_u32_e32 v9, v6, v9
	s_delay_alu instid0(VALU_DEP_2) | instskip(SKIP_1) | instid1(VALU_DEP_3)
	v_cndmask_b32_e32 v7, v28, v7, vcc_lo
	v_cmp_gt_u32_e32 vcc_lo, v96, v29
	v_cndmask_b32_e32 v6, v9, v6, vcc_lo
	ds_bpermute_b32 v28, v95, v7
	ds_bpermute_b32 v9, v97, v6
	s_waitcnt lgkmcnt(1)
	v_add_nc_u32_e32 v28, v7, v28
	s_waitcnt lgkmcnt(0)
	v_add_nc_u32_e32 v9, v6, v9
	s_delay_alu instid0(VALU_DEP_2) | instskip(SKIP_1) | instid1(VALU_DEP_3)
	v_cndmask_b32_e32 v7, v28, v7, vcc_lo
	v_cmp_gt_u32_e32 vcc_lo, v98, v29
	v_cndmask_b32_e32 v6, v9, v6, vcc_lo
	ds_bpermute_b32 v28, v97, v7
	ds_bpermute_b32 v9, v99, v6
	s_waitcnt lgkmcnt(1)
	v_add_nc_u32_e32 v28, v7, v28
	s_delay_alu instid0(VALU_DEP_1) | instskip(SKIP_4) | instid1(VALU_DEP_1)
	v_cndmask_b32_e32 v7, v28, v7, vcc_lo
	v_cmp_le_u32_e32 vcc_lo, v100, v29
	ds_bpermute_b32 v28, v99, v7
	s_waitcnt lgkmcnt(1)
	v_cndmask_b32_e32 v9, 0, v9, vcc_lo
	v_add3_u32 v6, v6, v26, v9
	s_waitcnt lgkmcnt(0)
	v_cndmask_b32_e32 v28, 0, v28, vcc_lo
	s_delay_alu instid0(VALU_DEP_1)
	v_add3_u32 v7, v7, v27, v28
.LBB550_110:                            ; =>This Loop Header: Depth=1
                                        ;     Child Loop BB550_113 Depth 2
                                        ;       Child Loop BB550_114 Depth 3
	s_delay_alu instid0(VALU_DEP_1) | instskip(SKIP_1) | instid1(VALU_DEP_2)
	v_dual_mov_b32 v27, v7 :: v_dual_and_b32 v8, 0xff, v8
	v_mov_b32_e32 v26, v6
	v_cmp_ne_u16_e32 vcc_lo, 2, v8
	v_cndmask_b32_e64 v8, 0, 1, vcc_lo
	;;#ASMSTART
	;;#ASMEND
	s_delay_alu instid0(VALU_DEP_1)
	v_cmp_ne_u32_e32 vcc_lo, 0, v8
	s_cmp_lg_u32 vcc_lo, exec_lo
	s_cbranch_scc1 .LBB550_117
; %bb.111:                              ;   in Loop: Header=BB550_110 Depth=1
	v_lshlrev_b64 v[6:7], 4, v[24:25]
	s_mov_b32 s7, exec_lo
	s_delay_alu instid0(VALU_DEP_1) | instskip(NEXT) | instid1(VALU_DEP_2)
	v_add_co_u32 v28, vcc_lo, s36, v6
	v_add_co_ci_u32_e32 v29, vcc_lo, s37, v7, vcc_lo
	;;#ASMSTART
	global_load_dwordx4 v[6:9], v[28:29] off glc	
s_waitcnt vmcnt(0)
	;;#ASMEND
	v_and_b32_e32 v9, 0xff, v7
	v_and_b32_e32 v101, 0xff00, v7
	v_or3_b32 v6, v6, 0, 0
	v_and_b32_e32 v102, 0xff000000, v7
	v_and_b32_e32 v7, 0xff0000, v7
	s_delay_alu instid0(VALU_DEP_4) | instskip(SKIP_2) | instid1(VALU_DEP_3)
	v_or3_b32 v9, 0, v9, v101
	v_and_b32_e32 v101, 0xff, v8
	v_or3_b32 v6, v6, 0, 0
	v_or3_b32 v7, v9, v7, v102
	s_delay_alu instid0(VALU_DEP_3)
	v_cmpx_eq_u16_e32 0, v101
	s_cbranch_execz .LBB550_109
; %bb.112:                              ;   in Loop: Header=BB550_110 Depth=1
	s_mov_b32 s9, 1
	s_mov_b32 s8, 0
	.p2align	6
.LBB550_113:                            ;   Parent Loop BB550_110 Depth=1
                                        ; =>  This Loop Header: Depth=2
                                        ;       Child Loop BB550_114 Depth 3
	s_max_u32 s10, s9, 1
.LBB550_114:                            ;   Parent Loop BB550_110 Depth=1
                                        ;     Parent Loop BB550_113 Depth=2
                                        ; =>    This Inner Loop Header: Depth=3
	s_delay_alu instid0(SALU_CYCLE_1)
	s_add_i32 s10, s10, -1
	s_sleep 1
	s_cmp_eq_u32 s10, 0
	s_cbranch_scc0 .LBB550_114
; %bb.115:                              ;   in Loop: Header=BB550_113 Depth=2
	;;#ASMSTART
	global_load_dwordx4 v[6:9], v[28:29] off glc	
s_waitcnt vmcnt(0)
	;;#ASMEND
	v_and_b32_e32 v9, 0xff, v8
	s_cmp_lt_u32 s9, 32
	s_cselect_b32 s10, -1, 0
	s_delay_alu instid0(SALU_CYCLE_1) | instskip(NEXT) | instid1(VALU_DEP_1)
	s_cmp_lg_u32 s10, 0
	v_cmp_ne_u16_e32 vcc_lo, 0, v9
	s_addc_u32 s9, s9, 0
	s_or_b32 s8, vcc_lo, s8
	s_delay_alu instid0(SALU_CYCLE_1)
	s_and_not1_b32 exec_lo, exec_lo, s8
	s_cbranch_execnz .LBB550_113
; %bb.116:                              ;   in Loop: Header=BB550_110 Depth=1
	s_or_b32 exec_lo, exec_lo, s8
	s_branch .LBB550_109
.LBB550_117:                            ;   in Loop: Header=BB550_110 Depth=1
                                        ; implicit-def: $vgpr8
                                        ; implicit-def: $vgpr6_vgpr7
	s_cbranch_execz .LBB550_110
; %bb.118:
	s_and_saveexec_b32 s7, s3
	s_cbranch_execnz .LBB550_361
; %bb.119:
	s_or_b32 exec_lo, exec_lo, s7
	s_and_saveexec_b32 s7, s3
	s_cbranch_execnz .LBB550_362
.LBB550_120:
	s_or_b32 exec_lo, exec_lo, s7
	s_delay_alu instid0(SALU_CYCLE_1)
	s_and_b32 exec_lo, exec_lo, s2
	s_cbranch_execz .LBB550_122
.LBB550_121:
	v_mov_b32_e32 v5, 0
	ds_store_b64 v5, v[26:27] offset:56
.LBB550_122:
	s_or_b32 exec_lo, exec_lo, s5
	s_waitcnt lgkmcnt(1)
	v_cndmask_b32_e64 v22, v89, v22, s3
	v_mov_b32_e32 v5, 0
	s_waitcnt lgkmcnt(0)
	s_barrier
	buffer_gl0_inv
	v_add_nc_u32_e64 v7, 0x3400, 0
	ds_load_b64 v[24:25], v5 offset:56
	s_waitcnt lgkmcnt(0)
	s_barrier
	buffer_gl0_inv
	ds_load_2addr_b32 v[5:6], v7 offset1:2
	ds_load_2addr_b32 v[7:8], v7 offset0:4 offset1:6
	v_cndmask_b32_e64 v9, v90, v23, s3
	v_add_nc_u32_e32 v22, v24, v22
	s_delay_alu instid0(VALU_DEP_2) | instskip(NEXT) | instid1(VALU_DEP_2)
	v_add_nc_u32_e32 v9, v25, v9
	v_cndmask_b32_e64 v22, v22, v24, s2
	s_delay_alu instid0(VALU_DEP_2)
	v_cndmask_b32_e64 v9, v9, v25, s2
	s_branch .LBB550_133
.LBB550_123:
                                        ; implicit-def: $vgpr9
                                        ; implicit-def: $vgpr7
                                        ; implicit-def: $vgpr5
                                        ; implicit-def: $vgpr22_vgpr23
	s_and_b32 vcc_lo, exec_lo, s5
	s_cbranch_vccz .LBB550_133
; %bb.124:
	s_waitcnt lgkmcnt(1)
	v_mov_b32_dpp v6, v88 row_shr:1 row_mask:0xf bank_mask:0xf
	v_cmp_lt_u32_e32 vcc_lo, 3, v86
	v_mov_b32_dpp v5, v87 row_shr:1 row_mask:0xf bank_mask:0xf
	s_delay_alu instid0(VALU_DEP_3) | instskip(NEXT) | instid1(VALU_DEP_1)
	v_add_nc_u32_e32 v6, v6, v88
	v_cndmask_b32_e64 v6, v6, v88, s1
	s_waitcnt lgkmcnt(0)
	s_delay_alu instid0(VALU_DEP_1) | instskip(NEXT) | instid1(VALU_DEP_1)
	v_mov_b32_dpp v8, v6 row_shr:2 row_mask:0xf bank_mask:0xf
	v_add_nc_u32_e32 v8, v6, v8
	s_delay_alu instid0(VALU_DEP_1) | instskip(NEXT) | instid1(VALU_DEP_1)
	v_cndmask_b32_e64 v6, v6, v8, s0
	v_mov_b32_dpp v8, v6 row_shr:4 row_mask:0xf bank_mask:0xf
	s_delay_alu instid0(VALU_DEP_1) | instskip(NEXT) | instid1(VALU_DEP_1)
	v_add_nc_u32_e32 v8, v6, v8
	v_dual_cndmask_b32 v6, v6, v8 :: v_dual_add_nc_u32 v5, v5, v87
	s_delay_alu instid0(VALU_DEP_1) | instskip(NEXT) | instid1(VALU_DEP_2)
	v_cndmask_b32_e64 v5, v5, v87, s1
	v_mov_b32_dpp v8, v6 row_shr:8 row_mask:0xf bank_mask:0xf
	s_delay_alu instid0(VALU_DEP_2) | instskip(NEXT) | instid1(VALU_DEP_2)
	v_mov_b32_dpp v7, v5 row_shr:2 row_mask:0xf bank_mask:0xf
	v_add_nc_u32_e32 v8, v6, v8
	s_delay_alu instid0(VALU_DEP_2) | instskip(NEXT) | instid1(VALU_DEP_1)
	v_add_nc_u32_e32 v7, v5, v7
	v_cndmask_b32_e64 v5, v5, v7, s0
	s_mov_b32 s0, exec_lo
	s_delay_alu instid0(VALU_DEP_1) | instskip(NEXT) | instid1(VALU_DEP_1)
	v_mov_b32_dpp v7, v5 row_shr:4 row_mask:0xf bank_mask:0xf
	v_add_nc_u32_e32 v7, v5, v7
	s_delay_alu instid0(VALU_DEP_1) | instskip(SKIP_1) | instid1(VALU_DEP_2)
	v_cndmask_b32_e32 v5, v5, v7, vcc_lo
	v_cmp_lt_u32_e32 vcc_lo, 7, v86
	v_mov_b32_dpp v7, v5 row_shr:8 row_mask:0xf bank_mask:0xf
	s_delay_alu instid0(VALU_DEP_1) | instskip(NEXT) | instid1(VALU_DEP_1)
	v_dual_cndmask_b32 v6, v6, v8 :: v_dual_add_nc_u32 v7, v5, v7
	v_cndmask_b32_e32 v5, v5, v7, vcc_lo
	ds_swizzle_b32 v7, v6 offset:swizzle(BROADCAST,32,15)
	v_cmp_eq_u32_e32 vcc_lo, 0, v85
	ds_swizzle_b32 v8, v5 offset:swizzle(BROADCAST,32,15)
	s_waitcnt lgkmcnt(1)
	v_add_nc_u32_e32 v7, v6, v7
	s_waitcnt lgkmcnt(0)
	v_add_nc_u32_e32 v8, v5, v8
	s_delay_alu instid0(VALU_DEP_1)
	v_dual_cndmask_b32 v6, v7, v6 :: v_dual_cndmask_b32 v5, v8, v5
	v_cmpx_eq_u32_e64 v84, v0
	s_cbranch_execz .LBB550_126
; %bb.125:
	v_lshlrev_b32_e32 v7, 3, v83
	ds_store_b64 v7, v[5:6]
.LBB550_126:
	s_or_b32 exec_lo, exec_lo, s0
	s_delay_alu instid0(SALU_CYCLE_1)
	s_mov_b32 s0, exec_lo
	s_waitcnt lgkmcnt(0)
	s_barrier
	buffer_gl0_inv
	v_cmpx_gt_u32_e32 8, v0
	s_cbranch_execz .LBB550_128
; %bb.127:
	v_lshlrev_b32_e32 v9, 3, v0
	ds_load_b64 v[7:8], v9
	s_waitcnt lgkmcnt(0)
	v_mov_b32_dpp v22, v7 row_shr:1 row_mask:0xf bank_mask:0xf
	v_mov_b32_dpp v23, v8 row_shr:1 row_mask:0xf bank_mask:0xf
	s_delay_alu instid0(VALU_DEP_2) | instskip(SKIP_1) | instid1(VALU_DEP_3)
	v_add_nc_u32_e32 v22, v22, v7
	v_and_b32_e32 v24, 7, v82
	v_add_nc_u32_e32 v23, v23, v8
	s_delay_alu instid0(VALU_DEP_2) | instskip(NEXT) | instid1(VALU_DEP_2)
	v_cmp_eq_u32_e32 vcc_lo, 0, v24
	v_dual_cndmask_b32 v8, v23, v8 :: v_dual_cndmask_b32 v7, v22, v7
	v_cmp_lt_u32_e32 vcc_lo, 1, v24
	s_delay_alu instid0(VALU_DEP_2) | instskip(NEXT) | instid1(VALU_DEP_3)
	v_mov_b32_dpp v23, v8 row_shr:2 row_mask:0xf bank_mask:0xf
	v_mov_b32_dpp v22, v7 row_shr:2 row_mask:0xf bank_mask:0xf
	s_delay_alu instid0(VALU_DEP_2) | instskip(NEXT) | instid1(VALU_DEP_2)
	v_add_nc_u32_e32 v23, v8, v23
	v_add_nc_u32_e32 v22, v7, v22
	s_delay_alu instid0(VALU_DEP_1) | instskip(SKIP_1) | instid1(VALU_DEP_2)
	v_dual_cndmask_b32 v8, v8, v23 :: v_dual_cndmask_b32 v7, v7, v22
	v_cmp_lt_u32_e32 vcc_lo, 3, v24
	v_mov_b32_dpp v23, v8 row_shr:4 row_mask:0xf bank_mask:0xf
	s_delay_alu instid0(VALU_DEP_3) | instskip(NEXT) | instid1(VALU_DEP_1)
	v_mov_b32_dpp v22, v7 row_shr:4 row_mask:0xf bank_mask:0xf
	v_dual_cndmask_b32 v23, 0, v23 :: v_dual_cndmask_b32 v22, 0, v22
	s_delay_alu instid0(VALU_DEP_1) | instskip(NEXT) | instid1(VALU_DEP_2)
	v_add_nc_u32_e32 v8, v23, v8
	v_add_nc_u32_e32 v7, v22, v7
	ds_store_b64 v9, v[7:8]
.LBB550_128:
	s_or_b32 exec_lo, exec_lo, s0
	v_dual_mov_b32 v7, 0 :: v_dual_mov_b32 v22, 0
	v_mov_b32_e32 v23, 0
	s_mov_b32 s0, exec_lo
	s_waitcnt lgkmcnt(0)
	s_barrier
	buffer_gl0_inv
	v_cmpx_lt_u32_e32 31, v0
	s_cbranch_execz .LBB550_130
; %bb.129:
	v_lshl_add_u32 v8, v83, 3, -8
	ds_load_b64 v[22:23], v8
.LBB550_130:
	s_or_b32 exec_lo, exec_lo, s0
	v_add_nc_u32_e32 v8, -1, v82
	s_waitcnt lgkmcnt(0)
	v_add_nc_u32_e32 v24, v23, v6
	v_add_nc_u32_e32 v9, v22, v5
	ds_load_b64 v[5:6], v7 offset:56
	v_cmp_gt_i32_e32 vcc_lo, 0, v8
	v_cndmask_b32_e32 v8, v8, v82, vcc_lo
	s_delay_alu instid0(VALU_DEP_1)
	v_lshlrev_b32_e32 v8, 2, v8
	ds_bpermute_b32 v9, v8, v9
	ds_bpermute_b32 v24, v8, v24
	s_waitcnt lgkmcnt(2)
	v_readfirstlane_b32 s0, v6
	s_and_saveexec_b32 s1, s2
	s_cbranch_execz .LBB550_132
; %bb.131:
	s_mov_b32 s8, 0
	s_add_u32 s6, s36, 0x200
	s_addc_u32 s7, s37, 0
	s_and_b32 s9, s0, 0xff000000
	s_and_b32 s11, s0, 0xff0000
	s_mov_b32 s10, s8
	v_mov_b32_e32 v26, s7
	s_or_b64 s[10:11], s[10:11], s[8:9]
	s_and_b32 s9, s0, 0xff00
	v_dual_mov_b32 v8, 0 :: v_dual_mov_b32 v25, s6
	s_or_b64 s[10:11], s[10:11], s[8:9]
	s_and_b32 s9, s0, 0xff
	v_mov_b32_e32 v7, 2
	s_or_b64 s[8:9], s[10:11], s[8:9]
	s_delay_alu instid0(SALU_CYCLE_1)
	v_mov_b32_e32 v6, s9
	;;#ASMSTART
	global_store_dwordx4 v[25:26], v[5:8] off	
s_waitcnt vmcnt(0)
	;;#ASMEND
.LBB550_132:
	s_or_b32 exec_lo, exec_lo, s1
	v_cmp_eq_u32_e32 vcc_lo, 0, v82
	v_dual_mov_b32 v7, 0 :: v_dual_mov_b32 v6, s0
	s_waitcnt lgkmcnt(0)
	s_barrier
	v_dual_cndmask_b32 v8, v9, v22 :: v_dual_cndmask_b32 v9, v24, v23
	buffer_gl0_inv
	v_cndmask_b32_e64 v22, v8, 0, s2
	v_cndmask_b32_e64 v9, v9, 0, s2
	v_mov_b32_e32 v8, 0
.LBB550_133:
	s_delay_alu instid0(VALU_DEP_1) | instskip(SKIP_1) | instid1(VALU_DEP_2)
	v_add_nc_u32_e32 v24, v9, v81
	s_waitcnt lgkmcnt(0)
	v_sub_nc_u32_e32 v9, v9, v8
	v_add_co_u32 v1, vcc_lo, v1, v7
	v_and_b32_e32 v35, 1, v35
	v_add_nc_u32_e32 v26, v24, v77
	v_sub_nc_u32_e32 v24, v24, v8
	v_lshlrev_b32_e32 v77, 1, v5
	v_add_nc_u32_e32 v9, v9, v5
	v_add_co_ci_u32_e32 v2, vcc_lo, 0, v2, vcc_lo
	v_add_nc_u32_e32 v28, v26, v79
	s_delay_alu instid0(VALU_DEP_4)
	v_add3_u32 v33, v77, v6, v33
	v_and_b32_e32 v40, 1, v40
	v_and_b32_e32 v37, 1, v37
	;; [unrolled: 1-line block ×3, first 2 shown]
	v_add_nc_u32_e32 v29, v28, v75
	v_sub_nc_u32_e32 v28, v28, v8
	v_sub_co_u32 v75, vcc_lo, v3, v5
	s_add_u32 s1, s14, -4
	s_delay_alu instid0(VALU_DEP_3) | instskip(SKIP_4) | instid1(VALU_DEP_3)
	v_add_nc_u32_e32 v73, v29, v73
	v_sub_nc_u32_e32 v29, v29, v8
	v_add_nc_u32_e32 v28, v28, v5
	v_add_nc_u32_e32 v24, v24, v5
	s_mov_b32 s3, -1
	v_add_nc_u32_e32 v29, v29, v5
	v_add_nc_u32_e32 v23, v22, v80
	v_sub_nc_u32_e32 v22, v22, v7
	s_delay_alu instid0(VALU_DEP_2) | instskip(SKIP_3) | instid1(VALU_DEP_3)
	v_add_nc_u32_e32 v25, v23, v76
	v_sub_nc_u32_e32 v23, v23, v7
	v_subrev_co_ci_u32_e32 v76, vcc_lo, 0, v4, vcc_lo
	v_cmp_eq_u32_e32 vcc_lo, 1, v35
	v_add_nc_u32_e32 v79, v24, v23
	s_delay_alu instid0(VALU_DEP_1) | instskip(NEXT) | instid1(VALU_DEP_1)
	v_sub_nc_u32_e32 v79, v33, v79
	v_add_nc_u32_e32 v79, 1, v79
	v_add_nc_u32_e32 v27, v25, v78
	v_add_nc_u32_e32 v78, v22, v9
	s_delay_alu instid0(VALU_DEP_1) | instskip(NEXT) | instid1(VALU_DEP_1)
	v_sub_nc_u32_e32 v78, v33, v78
	v_dual_cndmask_b32 v9, v78, v9 :: v_dual_and_b32 v34, 1, v34
	v_cmp_eq_u32_e32 vcc_lo, 1, v40
	v_cndmask_b32_e32 v24, v79, v24, vcc_lo
	s_delay_alu instid0(VALU_DEP_3) | instskip(NEXT) | instid1(VALU_DEP_4)
	v_cmp_eq_u32_e32 vcc_lo, 1, v34
	v_cndmask_b32_e32 v9, v9, v22, vcc_lo
	v_sub_nc_u32_e32 v26, v26, v8
	v_cmp_eq_u32_e32 vcc_lo, 1, v37
	v_and_b32_e32 v37, 1, v38
	s_delay_alu instid0(VALU_DEP_4) | instskip(NEXT) | instid1(VALU_DEP_4)
	v_lshlrev_b32_e32 v9, 2, v9
	v_add_nc_u32_e32 v26, v26, v5
	v_cndmask_b32_e32 v24, v24, v23, vcc_lo
	v_sub_nc_u32_e32 v25, v25, v7
	v_add_co_u32 v22, vcc_lo, v75, v8
	v_add_co_ci_u32_e32 v23, vcc_lo, 0, v76, vcc_lo
	s_delay_alu instid0(VALU_DEP_3)
	v_add_nc_u32_e32 v34, v26, v25
	v_cmp_eq_u32_e32 vcc_lo, 1, v37
	v_lshlrev_b32_e32 v24, 2, v24
	ds_store_b32 v9, v20
	v_sub_nc_u32_e32 v34, v33, v34
	ds_store_b32 v24, v21
	v_and_b32_e32 v24, 1, v39
	v_add_nc_u32_e32 v34, 2, v34
	s_delay_alu instid0(VALU_DEP_1) | instskip(SKIP_3) | instid1(VALU_DEP_4)
	v_cndmask_b32_e32 v26, v34, v26, vcc_lo
	v_cmp_eq_u32_e32 vcc_lo, 1, v36
	v_add_nc_u32_e32 v74, v27, v74
	v_sub_nc_u32_e32 v27, v27, v7
	v_cndmask_b32_e32 v25, v26, v25, vcc_lo
	s_delay_alu instid0(VALU_DEP_3) | instskip(NEXT) | instid1(VALU_DEP_3)
	v_sub_nc_u32_e32 v37, v74, v7
	v_add_nc_u32_e32 v34, v27, v28
	v_cmp_eq_u32_e32 vcc_lo, 1, v24
	v_sub_nc_u32_e32 v26, v73, v8
	v_lshlrev_b32_e32 v21, 2, v25
	v_and_b32_e32 v25, 1, v41
	v_sub_nc_u32_e32 v9, v33, v34
	v_add_nc_u32_e32 v20, v37, v29
	v_and_b32_e32 v24, 1, v42
	v_add_nc_u32_e32 v26, v26, v5
	ds_store_b32 v21, v18
	v_add_nc_u32_e32 v9, 3, v9
	v_sub_nc_u32_e32 v20, v33, v20
	s_delay_alu instid0(VALU_DEP_2) | instskip(SKIP_2) | instid1(VALU_DEP_4)
	v_cndmask_b32_e32 v9, v9, v28, vcc_lo
	v_cmp_eq_u32_e32 vcc_lo, 1, v25
	v_add_nc_u32_e32 v72, v74, v72
	v_add_nc_u32_e32 v20, 4, v20
	v_and_b32_e32 v25, 1, v43
	v_cndmask_b32_e32 v9, v9, v27, vcc_lo
	s_delay_alu instid0(VALU_DEP_4)
	v_sub_nc_u32_e32 v28, v72, v7
	v_cmp_eq_u32_e32 vcc_lo, 1, v24
	v_and_b32_e32 v24, 1, v44
	v_add_nc_u32_e32 v70, v72, v70
	v_lshlrev_b32_e32 v9, 2, v9
	v_add_nc_u32_e32 v27, v28, v26
	v_cndmask_b32_e32 v20, v20, v29, vcc_lo
	v_cmp_eq_u32_e32 vcc_lo, 1, v25
	v_and_b32_e32 v25, 1, v45
	v_add_nc_u32_e32 v64, v70, v64
	v_sub_nc_u32_e32 v18, v33, v27
	v_sub_nc_u32_e32 v27, v70, v7
	v_cndmask_b32_e32 v20, v20, v37, vcc_lo
	v_cmp_eq_u32_e32 vcc_lo, 1, v24
	ds_store_b32 v9, v19
	v_add_nc_u32_e32 v18, 5, v18
	v_and_b32_e32 v19, 1, v46
	v_lshlrev_b32_e32 v20, 2, v20
	v_add_nc_u32_e32 v68, v64, v68
	s_delay_alu instid0(VALU_DEP_4)
	v_cndmask_b32_e32 v18, v18, v26, vcc_lo
	v_cmp_eq_u32_e32 vcc_lo, 1, v25
	v_sub_nc_u32_e32 v25, v64, v7
	ds_store_b32 v20, v16
	v_and_b32_e32 v20, 1, v49
	v_add_nc_u32_e32 v66, v68, v66
	v_dual_cndmask_b32 v18, v18, v28 :: v_dual_add_nc_u32 v71, v73, v71
	v_cmp_eq_u32_e32 vcc_lo, 1, v19
	v_and_b32_e32 v19, 1, v48
	s_delay_alu instid0(VALU_DEP_4) | instskip(NEXT) | instid1(VALU_DEP_4)
	v_add_nc_u32_e32 v61, v66, v61
	v_lshlrev_b32_e32 v18, 2, v18
	v_add_nc_u32_e32 v65, v71, v65
	v_sub_nc_u32_e32 v21, v71, v8
	s_delay_alu instid0(VALU_DEP_4)
	v_add_nc_u32_e32 v60, v61, v60
	ds_store_b32 v18, v17
	v_sub_nc_u32_e32 v24, v65, v8
	v_add_nc_u32_e32 v21, v21, v5
	v_add_nc_u32_e32 v69, v65, v69
	v_and_b32_e32 v17, 1, v47
	s_delay_alu instid0(VALU_DEP_4) | instskip(NEXT) | instid1(VALU_DEP_4)
	v_add_nc_u32_e32 v24, v24, v5
	v_add_nc_u32_e32 v26, v27, v21
	s_delay_alu instid0(VALU_DEP_4) | instskip(NEXT) | instid1(VALU_DEP_3)
	v_sub_nc_u32_e32 v18, v69, v8
	v_add_nc_u32_e32 v16, v25, v24
	s_delay_alu instid0(VALU_DEP_3) | instskip(NEXT) | instid1(VALU_DEP_3)
	v_sub_nc_u32_e32 v9, v33, v26
	v_add_nc_u32_e32 v18, v18, v5
	v_sub_nc_u32_e32 v26, v60, v7
	s_delay_alu instid0(VALU_DEP_4) | instskip(NEXT) | instid1(VALU_DEP_4)
	v_sub_nc_u32_e32 v16, v33, v16
	v_add_nc_u32_e32 v9, 6, v9
	s_delay_alu instid0(VALU_DEP_1) | instskip(SKIP_2) | instid1(VALU_DEP_3)
	v_dual_cndmask_b32 v9, v9, v21 :: v_dual_add_nc_u32 v16, 7, v16
	v_cmp_eq_u32_e32 vcc_lo, 1, v19
	v_sub_nc_u32_e32 v21, v68, v7
	v_cndmask_b32_e32 v16, v16, v24, vcc_lo
	v_cmp_eq_u32_e32 vcc_lo, 1, v17
	s_delay_alu instid0(VALU_DEP_3) | instskip(SKIP_3) | instid1(VALU_DEP_4)
	v_add_nc_u32_e32 v17, v21, v18
	v_cndmask_b32_e32 v9, v9, v27, vcc_lo
	v_cmp_eq_u32_e32 vcc_lo, 1, v20
	v_add_nc_u32_e32 v67, v69, v67
	v_sub_nc_u32_e32 v17, v33, v17
	v_sub_nc_u32_e32 v20, v66, v7
	v_lshlrev_b32_e32 v9, 2, v9
	v_cndmask_b32_e32 v16, v16, v25, vcc_lo
	v_sub_nc_u32_e32 v19, v67, v8
	v_add_nc_u32_e32 v62, v67, v62
	v_sub_nc_u32_e32 v25, v61, v7
	ds_store_b32 v9, v14
	v_and_b32_e32 v9, 1, v50
	v_add_nc_u32_e32 v19, v19, v5
	v_add_nc_u32_e32 v14, 8, v17
	v_lshlrev_b32_e32 v16, 2, v16
	v_add_nc_u32_e32 v63, v62, v63
	v_cmp_eq_u32_e32 vcc_lo, 1, v9
	v_add_nc_u32_e32 v17, v20, v19
	ds_store_b32 v16, v15
	v_and_b32_e32 v15, 1, v51
	v_cndmask_b32_e32 v9, v14, v18, vcc_lo
	v_sub_nc_u32_e32 v14, v33, v17
	v_and_b32_e32 v18, 1, v52
	v_sub_nc_u32_e32 v17, v62, v8
	v_and_b32_e32 v16, 1, v54
	v_sub_nc_u32_e32 v24, v63, v8
	v_add_nc_u32_e32 v14, 9, v14
	v_cmp_eq_u32_e32 vcc_lo, 1, v18
	v_add_nc_u32_e32 v17, v17, v5
	v_add_nc_u32_e32 v35, v63, v59
	;; [unrolled: 1-line block ×3, first 2 shown]
	v_cndmask_b32_e32 v14, v14, v19, vcc_lo
	v_cmp_eq_u32_e32 vcc_lo, 1, v15
	v_add_nc_u32_e32 v15, v25, v17
	s_delay_alu instid0(VALU_DEP_4)
	v_add_nc_u32_e32 v18, v26, v24
	v_and_b32_e32 v19, 1, v55
	v_cndmask_b32_e32 v9, v9, v21, vcc_lo
	v_cmp_eq_u32_e32 vcc_lo, 1, v16
	v_sub_nc_u32_e32 v15, v33, v15
	v_sub_nc_u32_e32 v18, v33, v18
	v_and_b32_e32 v21, 1, v57
	v_sub_nc_u32_e32 v16, v35, v8
	v_cndmask_b32_e32 v14, v14, v20, vcc_lo
	v_and_b32_e32 v20, 1, v53
	v_add_nc_u32_e32 v15, 10, v15
	v_add_nc_u32_e32 v18, 11, v18
	;; [unrolled: 1-line block ×3, first 2 shown]
	v_lshlrev_b32_e32 v9, 2, v9
	v_cmp_eq_u32_e32 vcc_lo, 1, v20
	v_dual_cndmask_b32 v15, v15, v17 :: v_dual_lshlrev_b32 v14, 2, v14
	v_cmp_eq_u32_e32 vcc_lo, 1, v21
	v_and_b32_e32 v17, 1, v56
	v_cndmask_b32_e32 v18, v18, v24, vcc_lo
	v_cmp_eq_u32_e32 vcc_lo, 1, v19
	v_cndmask_b32_e32 v15, v15, v25, vcc_lo
	s_delay_alu instid0(VALU_DEP_4) | instskip(NEXT) | instid1(VALU_DEP_2)
	v_cmp_eq_u32_e32 vcc_lo, 1, v17
	v_lshlrev_b32_e32 v15, 2, v15
	v_cndmask_b32_e32 v17, v18, v26, vcc_lo
	v_add_nc_u32_e32 v40, v60, v58
	s_delay_alu instid0(VALU_DEP_2) | instskip(NEXT) | instid1(VALU_DEP_2)
	v_lshlrev_b32_e32 v17, 2, v17
	v_sub_nc_u32_e32 v7, v40, v7
	ds_store_b32 v9, v12
	ds_store_b32 v14, v13
	;; [unrolled: 1-line block ×4, first 2 shown]
	v_add_co_u32 v9, s0, v6, v77
	s_delay_alu instid0(VALU_DEP_1) | instskip(SKIP_1) | instid1(VALU_DEP_3)
	v_add_co_ci_u32_e64 v10, null, 0, 0, s0
	v_add_nc_u32_e32 v27, v7, v16
	v_add_co_u32 v9, vcc_lo, v9, v22
	s_delay_alu instid0(VALU_DEP_3) | instskip(NEXT) | instid1(VALU_DEP_3)
	v_add_co_ci_u32_e32 v10, vcc_lo, v10, v23, vcc_lo
	v_sub_nc_u32_e32 v20, v33, v27
	v_add_co_u32 v11, s0, s34, v30
	s_delay_alu instid0(VALU_DEP_4) | instskip(NEXT) | instid1(VALU_DEP_3)
	v_add_co_u32 v9, vcc_lo, v9, v1
	v_add_nc_u32_e32 v18, 12, v20
	v_add_co_ci_u32_e64 v12, null, s35, 0, s0
	v_add_co_ci_u32_e32 v10, vcc_lo, v10, v2, vcc_lo
	s_delay_alu instid0(VALU_DEP_3) | instskip(SKIP_1) | instid1(VALU_DEP_2)
	v_cndmask_b32_e64 v16, v18, v16, s33
	v_add_nc_u32_e32 v14, v5, v6
	v_cndmask_b32_e64 v7, v16, v7, s27
	s_delay_alu instid0(VALU_DEP_1)
	v_lshlrev_b32_e32 v7, 2, v7
	ds_store_b32 v7, v32
	v_sub_co_u32 v7, vcc_lo, v11, v9
	v_sub_co_ci_u32_e32 v13, vcc_lo, v12, v10, vcc_lo
	v_lshlrev_b64 v[9:10], 2, v[22:23]
	v_lshlrev_b64 v[11:12], 2, v[1:2]
	s_waitcnt lgkmcnt(0)
	s_barrier
	buffer_gl0_inv
	v_add_co_u32 v9, vcc_lo, s30, v9
	v_add_co_ci_u32_e32 v10, vcc_lo, s31, v10, vcc_lo
	v_cmp_ne_u32_e32 vcc_lo, 1, v31
	v_add_co_u32 v11, s0, s28, v11
	s_delay_alu instid0(VALU_DEP_1)
	v_add_co_ci_u32_e64 v12, s0, s29, v12, s0
	s_addc_u32 s0, s15, -1
	s_cbranch_vccz .LBB550_137
; %bb.134:
	s_and_b32 vcc_lo, exec_lo, s3
	s_cbranch_vccnz .LBB550_242
.LBB550_135:
	s_and_b32 s0, s2, s13
	s_delay_alu instid0(SALU_CYCLE_1)
	s_and_saveexec_b32 s1, s0
	s_cbranch_execnz .LBB550_360
.LBB550_136:
	s_nop 0
	s_sendmsg sendmsg(MSG_DEALLOC_VGPRS)
	s_endpgm
.LBB550_137:
	s_mov_b32 s3, exec_lo
	v_cmpx_le_u32_e64 v5, v0
	s_xor_b32 s3, exec_lo, s3
	s_cbranch_execz .LBB550_143
; %bb.138:
	s_mov_b32 s5, exec_lo
	v_cmpx_le_u32_e64 v14, v0
	s_xor_b32 s5, exec_lo, s5
	s_cbranch_execz .LBB550_140
; %bb.139:
	v_lshlrev_b32_e32 v15, 2, v0
	ds_load_b32 v17, v15
	v_add_co_u32 v15, vcc_lo, v7, v0
	v_add_co_ci_u32_e32 v16, vcc_lo, 0, v13, vcc_lo
	s_delay_alu instid0(VALU_DEP_1) | instskip(NEXT) | instid1(VALU_DEP_1)
	v_lshlrev_b64 v[15:16], 2, v[15:16]
	v_sub_co_u32 v15, vcc_lo, s14, v15
	s_delay_alu instid0(VALU_DEP_2)
	v_sub_co_ci_u32_e32 v16, vcc_lo, s15, v16, vcc_lo
	s_waitcnt lgkmcnt(0)
	global_store_b32 v[15:16], v17, off offset:-4
.LBB550_140:
	s_and_not1_saveexec_b32 s5, s5
	s_cbranch_execz .LBB550_142
; %bb.141:
	v_lshlrev_b32_e32 v15, 2, v0
	v_readfirstlane_b32 s6, v9
	v_readfirstlane_b32 s7, v10
	ds_load_b32 v16, v15
	s_waitcnt lgkmcnt(0)
	global_store_b32 v15, v16, s[6:7]
.LBB550_142:
	s_or_b32 exec_lo, exec_lo, s5
.LBB550_143:
	s_and_not1_saveexec_b32 s3, s3
	s_cbranch_execz .LBB550_145
; %bb.144:
	v_lshlrev_b32_e32 v15, 2, v0
	v_readfirstlane_b32 s6, v11
	v_readfirstlane_b32 s7, v12
	ds_load_b32 v16, v15
	s_waitcnt lgkmcnt(0)
	global_store_b32 v15, v16, s[6:7]
.LBB550_145:
	s_or_b32 exec_lo, exec_lo, s3
	v_or_b32_e32 v15, 0x100, v0
	s_mov_b32 s3, exec_lo
	s_delay_alu instid0(VALU_DEP_1)
	v_cmpx_le_u32_e64 v5, v15
	s_xor_b32 s3, exec_lo, s3
	s_cbranch_execz .LBB550_151
; %bb.146:
	s_mov_b32 s5, exec_lo
	v_cmpx_le_u32_e64 v14, v15
	s_xor_b32 s5, exec_lo, s5
	s_cbranch_execz .LBB550_148
; %bb.147:
	v_lshlrev_b32_e32 v15, 2, v0
	ds_load_b32 v17, v15 offset:1024
	v_add_co_u32 v15, vcc_lo, v7, v0
	v_add_co_ci_u32_e32 v16, vcc_lo, 0, v13, vcc_lo
	s_delay_alu instid0(VALU_DEP_1) | instskip(NEXT) | instid1(VALU_DEP_1)
	v_lshlrev_b64 v[15:16], 2, v[15:16]
	v_sub_co_u32 v15, vcc_lo, s1, v15
	s_delay_alu instid0(VALU_DEP_2)
	v_sub_co_ci_u32_e32 v16, vcc_lo, s0, v16, vcc_lo
	s_waitcnt lgkmcnt(0)
	global_store_b32 v[15:16], v17, off offset:-1024
.LBB550_148:
	s_and_not1_saveexec_b32 s5, s5
	s_cbranch_execz .LBB550_150
; %bb.149:
	v_lshlrev_b32_e32 v15, 2, v0
	v_readfirstlane_b32 s6, v9
	v_readfirstlane_b32 s7, v10
	ds_load_b32 v16, v15 offset:1024
	s_waitcnt lgkmcnt(0)
	global_store_b32 v15, v16, s[6:7] offset:1024
.LBB550_150:
	s_or_b32 exec_lo, exec_lo, s5
.LBB550_151:
	s_and_not1_saveexec_b32 s3, s3
	s_cbranch_execz .LBB550_153
; %bb.152:
	v_lshlrev_b32_e32 v15, 2, v0
	v_readfirstlane_b32 s6, v11
	v_readfirstlane_b32 s7, v12
	ds_load_b32 v16, v15 offset:1024
	s_waitcnt lgkmcnt(0)
	global_store_b32 v15, v16, s[6:7] offset:1024
.LBB550_153:
	s_or_b32 exec_lo, exec_lo, s3
	v_or_b32_e32 v15, 0x200, v0
	s_mov_b32 s3, exec_lo
	s_delay_alu instid0(VALU_DEP_1)
	v_cmpx_le_u32_e64 v5, v15
	s_xor_b32 s3, exec_lo, s3
	s_cbranch_execz .LBB550_159
; %bb.154:
	s_mov_b32 s5, exec_lo
	v_cmpx_le_u32_e64 v14, v15
	s_xor_b32 s5, exec_lo, s5
	s_cbranch_execz .LBB550_156
; %bb.155:
	v_lshlrev_b32_e32 v15, 2, v0
	ds_load_b32 v17, v15 offset:2048
	v_add_co_u32 v15, vcc_lo, v7, v0
	v_add_co_ci_u32_e32 v16, vcc_lo, 0, v13, vcc_lo
	s_delay_alu instid0(VALU_DEP_1) | instskip(NEXT) | instid1(VALU_DEP_1)
	v_lshlrev_b64 v[15:16], 2, v[15:16]
	v_sub_co_u32 v15, vcc_lo, s1, v15
	s_delay_alu instid0(VALU_DEP_2)
	v_sub_co_ci_u32_e32 v16, vcc_lo, s0, v16, vcc_lo
	s_waitcnt lgkmcnt(0)
	global_store_b32 v[15:16], v17, off offset:-2048
.LBB550_156:
	s_and_not1_saveexec_b32 s5, s5
	s_cbranch_execz .LBB550_158
; %bb.157:
	v_lshlrev_b32_e32 v15, 2, v0
	v_readfirstlane_b32 s6, v9
	v_readfirstlane_b32 s7, v10
	ds_load_b32 v16, v15 offset:2048
	s_waitcnt lgkmcnt(0)
	global_store_b32 v15, v16, s[6:7] offset:2048
.LBB550_158:
	s_or_b32 exec_lo, exec_lo, s5
.LBB550_159:
	s_and_not1_saveexec_b32 s3, s3
	s_cbranch_execz .LBB550_161
; %bb.160:
	v_lshlrev_b32_e32 v15, 2, v0
	v_readfirstlane_b32 s6, v11
	v_readfirstlane_b32 s7, v12
	ds_load_b32 v16, v15 offset:2048
	s_waitcnt lgkmcnt(0)
	global_store_b32 v15, v16, s[6:7] offset:2048
.LBB550_161:
	s_or_b32 exec_lo, exec_lo, s3
	v_or_b32_e32 v15, 0x300, v0
	s_mov_b32 s3, exec_lo
	s_delay_alu instid0(VALU_DEP_1)
	v_cmpx_le_u32_e64 v5, v15
	s_xor_b32 s3, exec_lo, s3
	s_cbranch_execz .LBB550_167
; %bb.162:
	s_mov_b32 s5, exec_lo
	v_cmpx_le_u32_e64 v14, v15
	s_xor_b32 s5, exec_lo, s5
	s_cbranch_execz .LBB550_164
; %bb.163:
	v_lshlrev_b32_e32 v15, 2, v0
	ds_load_b32 v17, v15 offset:3072
	v_add_co_u32 v15, vcc_lo, v7, v0
	v_add_co_ci_u32_e32 v16, vcc_lo, 0, v13, vcc_lo
	s_delay_alu instid0(VALU_DEP_1) | instskip(NEXT) | instid1(VALU_DEP_1)
	v_lshlrev_b64 v[15:16], 2, v[15:16]
	v_sub_co_u32 v15, vcc_lo, s1, v15
	s_delay_alu instid0(VALU_DEP_2)
	v_sub_co_ci_u32_e32 v16, vcc_lo, s0, v16, vcc_lo
	s_waitcnt lgkmcnt(0)
	global_store_b32 v[15:16], v17, off offset:-3072
.LBB550_164:
	s_and_not1_saveexec_b32 s5, s5
	s_cbranch_execz .LBB550_166
; %bb.165:
	v_lshlrev_b32_e32 v15, 2, v0
	v_readfirstlane_b32 s6, v9
	v_readfirstlane_b32 s7, v10
	ds_load_b32 v16, v15 offset:3072
	s_waitcnt lgkmcnt(0)
	global_store_b32 v15, v16, s[6:7] offset:3072
.LBB550_166:
	s_or_b32 exec_lo, exec_lo, s5
.LBB550_167:
	s_and_not1_saveexec_b32 s3, s3
	s_cbranch_execz .LBB550_169
; %bb.168:
	v_lshlrev_b32_e32 v15, 2, v0
	v_readfirstlane_b32 s6, v11
	v_readfirstlane_b32 s7, v12
	ds_load_b32 v16, v15 offset:3072
	s_waitcnt lgkmcnt(0)
	global_store_b32 v15, v16, s[6:7] offset:3072
.LBB550_169:
	s_or_b32 exec_lo, exec_lo, s3
	v_or_b32_e32 v15, 0x400, v0
	s_mov_b32 s3, exec_lo
	s_delay_alu instid0(VALU_DEP_1)
	v_cmpx_le_u32_e64 v5, v15
	s_xor_b32 s3, exec_lo, s3
	s_cbranch_execz .LBB550_175
; %bb.170:
	s_mov_b32 s5, exec_lo
	v_cmpx_le_u32_e64 v14, v15
	s_xor_b32 s5, exec_lo, s5
	s_cbranch_execz .LBB550_172
; %bb.171:
	v_lshlrev_b32_e32 v15, 2, v0
	ds_load_b32 v17, v15 offset:4096
	v_add_co_u32 v15, vcc_lo, v7, v0
	v_add_co_ci_u32_e32 v16, vcc_lo, 0, v13, vcc_lo
	s_delay_alu instid0(VALU_DEP_1) | instskip(NEXT) | instid1(VALU_DEP_1)
	v_lshlrev_b64 v[15:16], 2, v[15:16]
	v_sub_co_u32 v15, vcc_lo, s1, v15
	s_delay_alu instid0(VALU_DEP_2)
	v_sub_co_ci_u32_e32 v16, vcc_lo, s0, v16, vcc_lo
	s_waitcnt lgkmcnt(0)
	global_store_b32 v[15:16], v17, off offset:-4096
                                        ; implicit-def: $vgpr15
.LBB550_172:
	s_and_not1_saveexec_b32 s5, s5
	s_cbranch_execz .LBB550_174
; %bb.173:
	v_lshlrev_b32_e32 v16, 2, v0
	v_lshlrev_b32_e32 v15, 2, v15
	v_readfirstlane_b32 s6, v9
	v_readfirstlane_b32 s7, v10
	ds_load_b32 v16, v16 offset:4096
	s_waitcnt lgkmcnt(0)
	global_store_b32 v15, v16, s[6:7]
.LBB550_174:
	s_or_b32 exec_lo, exec_lo, s5
                                        ; implicit-def: $vgpr15
.LBB550_175:
	s_and_not1_saveexec_b32 s3, s3
	s_cbranch_execz .LBB550_177
; %bb.176:
	v_lshlrev_b32_e32 v16, 2, v0
	v_lshlrev_b32_e32 v15, 2, v15
	v_readfirstlane_b32 s6, v11
	v_readfirstlane_b32 s7, v12
	ds_load_b32 v16, v16 offset:4096
	s_waitcnt lgkmcnt(0)
	global_store_b32 v15, v16, s[6:7]
.LBB550_177:
	s_or_b32 exec_lo, exec_lo, s3
	v_or_b32_e32 v15, 0x500, v0
	s_mov_b32 s3, exec_lo
	s_delay_alu instid0(VALU_DEP_1)
	v_cmpx_le_u32_e64 v5, v15
	s_xor_b32 s3, exec_lo, s3
	s_cbranch_execz .LBB550_183
; %bb.178:
	s_mov_b32 s5, exec_lo
	v_cmpx_le_u32_e64 v14, v15
	s_xor_b32 s5, exec_lo, s5
	s_cbranch_execz .LBB550_180
; %bb.179:
	v_lshlrev_b32_e32 v16, 2, v0
	v_add_co_u32 v15, vcc_lo, v7, v15
	ds_load_b32 v17, v16 offset:5120
	v_add_co_ci_u32_e32 v16, vcc_lo, 0, v13, vcc_lo
	s_delay_alu instid0(VALU_DEP_1) | instskip(NEXT) | instid1(VALU_DEP_1)
	v_lshlrev_b64 v[15:16], 2, v[15:16]
	v_sub_co_u32 v15, vcc_lo, s1, v15
	s_delay_alu instid0(VALU_DEP_2)
	v_sub_co_ci_u32_e32 v16, vcc_lo, s0, v16, vcc_lo
	s_waitcnt lgkmcnt(0)
	global_store_b32 v[15:16], v17, off
                                        ; implicit-def: $vgpr15
.LBB550_180:
	s_and_not1_saveexec_b32 s5, s5
	s_cbranch_execz .LBB550_182
; %bb.181:
	v_lshlrev_b32_e32 v16, 2, v0
	v_lshlrev_b32_e32 v15, 2, v15
	v_readfirstlane_b32 s6, v9
	v_readfirstlane_b32 s7, v10
	ds_load_b32 v16, v16 offset:5120
	s_waitcnt lgkmcnt(0)
	global_store_b32 v15, v16, s[6:7]
.LBB550_182:
	s_or_b32 exec_lo, exec_lo, s5
                                        ; implicit-def: $vgpr15
.LBB550_183:
	s_and_not1_saveexec_b32 s3, s3
	s_cbranch_execz .LBB550_185
; %bb.184:
	v_lshlrev_b32_e32 v16, 2, v0
	v_lshlrev_b32_e32 v15, 2, v15
	v_readfirstlane_b32 s6, v11
	v_readfirstlane_b32 s7, v12
	ds_load_b32 v16, v16 offset:5120
	s_waitcnt lgkmcnt(0)
	global_store_b32 v15, v16, s[6:7]
.LBB550_185:
	s_or_b32 exec_lo, exec_lo, s3
	v_or_b32_e32 v15, 0x600, v0
	s_mov_b32 s3, exec_lo
	s_delay_alu instid0(VALU_DEP_1)
	v_cmpx_le_u32_e64 v5, v15
	s_xor_b32 s3, exec_lo, s3
	s_cbranch_execz .LBB550_191
; %bb.186:
	s_mov_b32 s5, exec_lo
	v_cmpx_le_u32_e64 v14, v15
	s_xor_b32 s5, exec_lo, s5
	s_cbranch_execz .LBB550_188
; %bb.187:
	v_lshlrev_b32_e32 v16, 2, v0
	v_add_co_u32 v15, vcc_lo, v7, v15
	ds_load_b32 v17, v16 offset:6144
	v_add_co_ci_u32_e32 v16, vcc_lo, 0, v13, vcc_lo
	s_delay_alu instid0(VALU_DEP_1) | instskip(NEXT) | instid1(VALU_DEP_1)
	v_lshlrev_b64 v[15:16], 2, v[15:16]
	v_sub_co_u32 v15, vcc_lo, s1, v15
	s_delay_alu instid0(VALU_DEP_2)
	v_sub_co_ci_u32_e32 v16, vcc_lo, s0, v16, vcc_lo
	s_waitcnt lgkmcnt(0)
	global_store_b32 v[15:16], v17, off
                                        ; implicit-def: $vgpr15
.LBB550_188:
	s_and_not1_saveexec_b32 s5, s5
	s_cbranch_execz .LBB550_190
; %bb.189:
	v_lshlrev_b32_e32 v16, 2, v0
	v_lshlrev_b32_e32 v15, 2, v15
	v_readfirstlane_b32 s6, v9
	v_readfirstlane_b32 s7, v10
	ds_load_b32 v16, v16 offset:6144
	s_waitcnt lgkmcnt(0)
	global_store_b32 v15, v16, s[6:7]
.LBB550_190:
	s_or_b32 exec_lo, exec_lo, s5
                                        ; implicit-def: $vgpr15
.LBB550_191:
	;; [unrolled: 51-line block ×8, first 2 shown]
	s_and_not1_saveexec_b32 s3, s3
	s_cbranch_execz .LBB550_241
; %bb.240:
	v_lshlrev_b32_e32 v16, 2, v0
	v_lshlrev_b32_e32 v15, 2, v15
	v_readfirstlane_b32 s6, v11
	v_readfirstlane_b32 s7, v12
	ds_load_b32 v16, v16 offset:12288
	s_waitcnt lgkmcnt(0)
	global_store_b32 v15, v16, s[6:7]
.LBB550_241:
	s_or_b32 exec_lo, exec_lo, s3
	s_branch .LBB550_135
.LBB550_242:
	s_mov_b32 s3, exec_lo
	v_cmpx_gt_u32_e64 s4, v0
	s_cbranch_execz .LBB550_251
; %bb.243:
	s_mov_b32 s5, exec_lo
	v_cmpx_le_u32_e64 v5, v0
	s_xor_b32 s5, exec_lo, s5
	s_cbranch_execz .LBB550_249
; %bb.244:
	s_mov_b32 s6, exec_lo
	v_cmpx_le_u32_e64 v14, v0
	s_xor_b32 s6, exec_lo, s6
	s_cbranch_execz .LBB550_246
; %bb.245:
	v_lshlrev_b32_e32 v15, 2, v0
	ds_load_b32 v17, v15
	v_add_co_u32 v15, vcc_lo, v7, v0
	v_add_co_ci_u32_e32 v16, vcc_lo, 0, v13, vcc_lo
	s_delay_alu instid0(VALU_DEP_1) | instskip(NEXT) | instid1(VALU_DEP_1)
	v_lshlrev_b64 v[15:16], 2, v[15:16]
	v_sub_co_u32 v15, vcc_lo, s14, v15
	s_delay_alu instid0(VALU_DEP_2)
	v_sub_co_ci_u32_e32 v16, vcc_lo, s15, v16, vcc_lo
	s_waitcnt lgkmcnt(0)
	global_store_b32 v[15:16], v17, off offset:-4
.LBB550_246:
	s_and_not1_saveexec_b32 s6, s6
	s_cbranch_execz .LBB550_248
; %bb.247:
	v_lshlrev_b32_e32 v15, 2, v0
	v_readfirstlane_b32 s8, v9
	v_readfirstlane_b32 s9, v10
	ds_load_b32 v16, v15
	s_waitcnt lgkmcnt(0)
	global_store_b32 v15, v16, s[8:9]
.LBB550_248:
	s_or_b32 exec_lo, exec_lo, s6
.LBB550_249:
	s_and_not1_saveexec_b32 s5, s5
	s_cbranch_execz .LBB550_251
; %bb.250:
	v_lshlrev_b32_e32 v15, 2, v0
	v_readfirstlane_b32 s6, v11
	v_readfirstlane_b32 s7, v12
	ds_load_b32 v16, v15
	s_waitcnt lgkmcnt(0)
	global_store_b32 v15, v16, s[6:7]
.LBB550_251:
	s_or_b32 exec_lo, exec_lo, s3
	v_or_b32_e32 v15, 0x100, v0
	s_mov_b32 s3, exec_lo
	s_delay_alu instid0(VALU_DEP_1)
	v_cmpx_gt_u32_e64 s4, v15
	s_cbranch_execz .LBB550_260
; %bb.252:
	s_mov_b32 s5, exec_lo
	v_cmpx_le_u32_e64 v5, v15
	s_xor_b32 s5, exec_lo, s5
	s_cbranch_execz .LBB550_258
; %bb.253:
	s_mov_b32 s6, exec_lo
	v_cmpx_le_u32_e64 v14, v15
	s_xor_b32 s6, exec_lo, s6
	s_cbranch_execz .LBB550_255
; %bb.254:
	v_lshlrev_b32_e32 v15, 2, v0
	ds_load_b32 v17, v15 offset:1024
	v_add_co_u32 v15, vcc_lo, v7, v0
	v_add_co_ci_u32_e32 v16, vcc_lo, 0, v13, vcc_lo
	s_delay_alu instid0(VALU_DEP_1) | instskip(NEXT) | instid1(VALU_DEP_1)
	v_lshlrev_b64 v[15:16], 2, v[15:16]
	v_sub_co_u32 v15, vcc_lo, s1, v15
	s_delay_alu instid0(VALU_DEP_2)
	v_sub_co_ci_u32_e32 v16, vcc_lo, s0, v16, vcc_lo
	s_waitcnt lgkmcnt(0)
	global_store_b32 v[15:16], v17, off offset:-1024
.LBB550_255:
	s_and_not1_saveexec_b32 s6, s6
	s_cbranch_execz .LBB550_257
; %bb.256:
	v_lshlrev_b32_e32 v15, 2, v0
	v_readfirstlane_b32 s8, v9
	v_readfirstlane_b32 s9, v10
	ds_load_b32 v16, v15 offset:1024
	s_waitcnt lgkmcnt(0)
	global_store_b32 v15, v16, s[8:9] offset:1024
.LBB550_257:
	s_or_b32 exec_lo, exec_lo, s6
.LBB550_258:
	s_and_not1_saveexec_b32 s5, s5
	s_cbranch_execz .LBB550_260
; %bb.259:
	v_lshlrev_b32_e32 v15, 2, v0
	v_readfirstlane_b32 s6, v11
	v_readfirstlane_b32 s7, v12
	ds_load_b32 v16, v15 offset:1024
	s_waitcnt lgkmcnt(0)
	global_store_b32 v15, v16, s[6:7] offset:1024
.LBB550_260:
	s_or_b32 exec_lo, exec_lo, s3
	v_or_b32_e32 v15, 0x200, v0
	s_mov_b32 s3, exec_lo
	s_delay_alu instid0(VALU_DEP_1)
	v_cmpx_gt_u32_e64 s4, v15
	s_cbranch_execz .LBB550_269
; %bb.261:
	s_mov_b32 s5, exec_lo
	v_cmpx_le_u32_e64 v5, v15
	s_xor_b32 s5, exec_lo, s5
	s_cbranch_execz .LBB550_267
; %bb.262:
	s_mov_b32 s6, exec_lo
	v_cmpx_le_u32_e64 v14, v15
	s_xor_b32 s6, exec_lo, s6
	s_cbranch_execz .LBB550_264
; %bb.263:
	v_lshlrev_b32_e32 v15, 2, v0
	ds_load_b32 v17, v15 offset:2048
	v_add_co_u32 v15, vcc_lo, v7, v0
	v_add_co_ci_u32_e32 v16, vcc_lo, 0, v13, vcc_lo
	s_delay_alu instid0(VALU_DEP_1) | instskip(NEXT) | instid1(VALU_DEP_1)
	v_lshlrev_b64 v[15:16], 2, v[15:16]
	v_sub_co_u32 v15, vcc_lo, s1, v15
	s_delay_alu instid0(VALU_DEP_2)
	v_sub_co_ci_u32_e32 v16, vcc_lo, s0, v16, vcc_lo
	s_waitcnt lgkmcnt(0)
	global_store_b32 v[15:16], v17, off offset:-2048
.LBB550_264:
	s_and_not1_saveexec_b32 s6, s6
	s_cbranch_execz .LBB550_266
; %bb.265:
	v_lshlrev_b32_e32 v15, 2, v0
	v_readfirstlane_b32 s8, v9
	v_readfirstlane_b32 s9, v10
	ds_load_b32 v16, v15 offset:2048
	s_waitcnt lgkmcnt(0)
	global_store_b32 v15, v16, s[8:9] offset:2048
.LBB550_266:
	s_or_b32 exec_lo, exec_lo, s6
.LBB550_267:
	s_and_not1_saveexec_b32 s5, s5
	s_cbranch_execz .LBB550_269
; %bb.268:
	v_lshlrev_b32_e32 v15, 2, v0
	v_readfirstlane_b32 s6, v11
	v_readfirstlane_b32 s7, v12
	ds_load_b32 v16, v15 offset:2048
	s_waitcnt lgkmcnt(0)
	global_store_b32 v15, v16, s[6:7] offset:2048
.LBB550_269:
	;; [unrolled: 51-line block ×3, first 2 shown]
	s_or_b32 exec_lo, exec_lo, s3
	v_or_b32_e32 v15, 0x400, v0
	s_mov_b32 s3, exec_lo
	s_delay_alu instid0(VALU_DEP_1)
	v_cmpx_gt_u32_e64 s4, v15
	s_cbranch_execz .LBB550_287
; %bb.279:
	s_mov_b32 s5, exec_lo
	v_cmpx_le_u32_e64 v5, v15
	s_xor_b32 s5, exec_lo, s5
	s_cbranch_execz .LBB550_285
; %bb.280:
	s_mov_b32 s6, exec_lo
	v_cmpx_le_u32_e64 v14, v15
	s_xor_b32 s6, exec_lo, s6
	s_cbranch_execz .LBB550_282
; %bb.281:
	v_lshlrev_b32_e32 v15, 2, v0
	ds_load_b32 v17, v15 offset:4096
	v_add_co_u32 v15, vcc_lo, v7, v0
	v_add_co_ci_u32_e32 v16, vcc_lo, 0, v13, vcc_lo
	s_delay_alu instid0(VALU_DEP_1) | instskip(NEXT) | instid1(VALU_DEP_1)
	v_lshlrev_b64 v[15:16], 2, v[15:16]
	v_sub_co_u32 v15, vcc_lo, s1, v15
	s_delay_alu instid0(VALU_DEP_2)
	v_sub_co_ci_u32_e32 v16, vcc_lo, s0, v16, vcc_lo
	s_waitcnt lgkmcnt(0)
	global_store_b32 v[15:16], v17, off offset:-4096
                                        ; implicit-def: $vgpr15
.LBB550_282:
	s_and_not1_saveexec_b32 s6, s6
	s_cbranch_execz .LBB550_284
; %bb.283:
	v_lshlrev_b32_e32 v16, 2, v0
	v_lshlrev_b32_e32 v15, 2, v15
	v_readfirstlane_b32 s8, v9
	v_readfirstlane_b32 s9, v10
	ds_load_b32 v16, v16 offset:4096
	s_waitcnt lgkmcnt(0)
	global_store_b32 v15, v16, s[8:9]
.LBB550_284:
	s_or_b32 exec_lo, exec_lo, s6
                                        ; implicit-def: $vgpr15
.LBB550_285:
	s_and_not1_saveexec_b32 s5, s5
	s_cbranch_execz .LBB550_287
; %bb.286:
	v_lshlrev_b32_e32 v16, 2, v0
	v_lshlrev_b32_e32 v15, 2, v15
	v_readfirstlane_b32 s6, v11
	v_readfirstlane_b32 s7, v12
	ds_load_b32 v16, v16 offset:4096
	s_waitcnt lgkmcnt(0)
	global_store_b32 v15, v16, s[6:7]
.LBB550_287:
	s_or_b32 exec_lo, exec_lo, s3
	v_or_b32_e32 v15, 0x500, v0
	s_mov_b32 s3, exec_lo
	s_delay_alu instid0(VALU_DEP_1)
	v_cmpx_gt_u32_e64 s4, v15
	s_cbranch_execz .LBB550_296
; %bb.288:
	s_mov_b32 s5, exec_lo
	v_cmpx_le_u32_e64 v5, v15
	s_xor_b32 s5, exec_lo, s5
	s_cbranch_execz .LBB550_294
; %bb.289:
	s_mov_b32 s6, exec_lo
	v_cmpx_le_u32_e64 v14, v15
	s_xor_b32 s6, exec_lo, s6
	s_cbranch_execz .LBB550_291
; %bb.290:
	v_lshlrev_b32_e32 v16, 2, v0
	v_add_co_u32 v15, vcc_lo, v7, v15
	ds_load_b32 v17, v16 offset:5120
	v_add_co_ci_u32_e32 v16, vcc_lo, 0, v13, vcc_lo
	s_delay_alu instid0(VALU_DEP_1) | instskip(NEXT) | instid1(VALU_DEP_1)
	v_lshlrev_b64 v[15:16], 2, v[15:16]
	v_sub_co_u32 v15, vcc_lo, s1, v15
	s_delay_alu instid0(VALU_DEP_2)
	v_sub_co_ci_u32_e32 v16, vcc_lo, s0, v16, vcc_lo
	s_waitcnt lgkmcnt(0)
	global_store_b32 v[15:16], v17, off
                                        ; implicit-def: $vgpr15
.LBB550_291:
	s_and_not1_saveexec_b32 s6, s6
	s_cbranch_execz .LBB550_293
; %bb.292:
	v_lshlrev_b32_e32 v16, 2, v0
	v_lshlrev_b32_e32 v15, 2, v15
	v_readfirstlane_b32 s8, v9
	v_readfirstlane_b32 s9, v10
	ds_load_b32 v16, v16 offset:5120
	s_waitcnt lgkmcnt(0)
	global_store_b32 v15, v16, s[8:9]
.LBB550_293:
	s_or_b32 exec_lo, exec_lo, s6
                                        ; implicit-def: $vgpr15
.LBB550_294:
	s_and_not1_saveexec_b32 s5, s5
	s_cbranch_execz .LBB550_296
; %bb.295:
	v_lshlrev_b32_e32 v16, 2, v0
	v_lshlrev_b32_e32 v15, 2, v15
	v_readfirstlane_b32 s6, v11
	v_readfirstlane_b32 s7, v12
	ds_load_b32 v16, v16 offset:5120
	s_waitcnt lgkmcnt(0)
	global_store_b32 v15, v16, s[6:7]
.LBB550_296:
	s_or_b32 exec_lo, exec_lo, s3
	v_or_b32_e32 v15, 0x600, v0
	s_mov_b32 s3, exec_lo
	s_delay_alu instid0(VALU_DEP_1)
	v_cmpx_gt_u32_e64 s4, v15
	s_cbranch_execz .LBB550_305
; %bb.297:
	s_mov_b32 s5, exec_lo
	v_cmpx_le_u32_e64 v5, v15
	s_xor_b32 s5, exec_lo, s5
	s_cbranch_execz .LBB550_303
; %bb.298:
	s_mov_b32 s6, exec_lo
	v_cmpx_le_u32_e64 v14, v15
	s_xor_b32 s6, exec_lo, s6
	s_cbranch_execz .LBB550_300
; %bb.299:
	v_lshlrev_b32_e32 v16, 2, v0
	v_add_co_u32 v15, vcc_lo, v7, v15
	ds_load_b32 v17, v16 offset:6144
	v_add_co_ci_u32_e32 v16, vcc_lo, 0, v13, vcc_lo
	s_delay_alu instid0(VALU_DEP_1) | instskip(NEXT) | instid1(VALU_DEP_1)
	v_lshlrev_b64 v[15:16], 2, v[15:16]
	v_sub_co_u32 v15, vcc_lo, s1, v15
	s_delay_alu instid0(VALU_DEP_2)
	v_sub_co_ci_u32_e32 v16, vcc_lo, s0, v16, vcc_lo
	s_waitcnt lgkmcnt(0)
	global_store_b32 v[15:16], v17, off
                                        ; implicit-def: $vgpr15
.LBB550_300:
	s_and_not1_saveexec_b32 s6, s6
	s_cbranch_execz .LBB550_302
; %bb.301:
	v_lshlrev_b32_e32 v16, 2, v0
	v_lshlrev_b32_e32 v15, 2, v15
	v_readfirstlane_b32 s8, v9
	v_readfirstlane_b32 s9, v10
	ds_load_b32 v16, v16 offset:6144
	s_waitcnt lgkmcnt(0)
	global_store_b32 v15, v16, s[8:9]
.LBB550_302:
	s_or_b32 exec_lo, exec_lo, s6
                                        ; implicit-def: $vgpr15
.LBB550_303:
	s_and_not1_saveexec_b32 s5, s5
	s_cbranch_execz .LBB550_305
; %bb.304:
	v_lshlrev_b32_e32 v16, 2, v0
	v_lshlrev_b32_e32 v15, 2, v15
	v_readfirstlane_b32 s6, v11
	v_readfirstlane_b32 s7, v12
	ds_load_b32 v16, v16 offset:6144
	s_waitcnt lgkmcnt(0)
	global_store_b32 v15, v16, s[6:7]
.LBB550_305:
	;; [unrolled: 55-line block ×7, first 2 shown]
	s_or_b32 exec_lo, exec_lo, s3
	v_or_b32_e32 v15, 0xc00, v0
	s_mov_b32 s3, exec_lo
	s_delay_alu instid0(VALU_DEP_1)
	v_cmpx_gt_u32_e64 s4, v15
	s_cbranch_execz .LBB550_359
; %bb.351:
	s_mov_b32 s4, exec_lo
	v_cmpx_le_u32_e64 v5, v15
	s_xor_b32 s4, exec_lo, s4
	s_cbranch_execz .LBB550_357
; %bb.352:
	s_mov_b32 s5, exec_lo
	v_cmpx_le_u32_e64 v14, v15
	s_xor_b32 s5, exec_lo, s5
	s_cbranch_execz .LBB550_354
; %bb.353:
	v_lshlrev_b32_e32 v0, 2, v0
	v_add_co_u32 v9, vcc_lo, v7, v15
	v_add_co_ci_u32_e32 v10, vcc_lo, 0, v13, vcc_lo
	ds_load_b32 v0, v0 offset:12288
                                        ; implicit-def: $vgpr15
	v_lshlrev_b64 v[9:10], 2, v[9:10]
	s_delay_alu instid0(VALU_DEP_1) | instskip(NEXT) | instid1(VALU_DEP_2)
	v_sub_co_u32 v9, vcc_lo, s1, v9
	v_sub_co_ci_u32_e32 v10, vcc_lo, s0, v10, vcc_lo
	s_waitcnt lgkmcnt(0)
	global_store_b32 v[9:10], v0, off
                                        ; implicit-def: $vgpr0
                                        ; implicit-def: $vgpr9_vgpr10
.LBB550_354:
	s_and_not1_saveexec_b32 s0, s5
	s_cbranch_execz .LBB550_356
; %bb.355:
	v_lshlrev_b32_e32 v0, 2, v0
	v_lshlrev_b32_e32 v7, 2, v15
	v_readfirstlane_b32 s6, v9
	v_readfirstlane_b32 s7, v10
	ds_load_b32 v0, v0 offset:12288
	s_waitcnt lgkmcnt(0)
	global_store_b32 v7, v0, s[6:7]
.LBB550_356:
	s_or_b32 exec_lo, exec_lo, s0
                                        ; implicit-def: $vgpr0
                                        ; implicit-def: $vgpr15
                                        ; implicit-def: $vgpr11_vgpr12
.LBB550_357:
	s_and_not1_saveexec_b32 s0, s4
	s_cbranch_execz .LBB550_359
; %bb.358:
	v_lshlrev_b32_e32 v0, 2, v0
	v_lshlrev_b32_e32 v7, 2, v15
	v_readfirstlane_b32 s0, v11
	v_readfirstlane_b32 s1, v12
	ds_load_b32 v0, v0 offset:12288
	s_waitcnt lgkmcnt(0)
	global_store_b32 v7, v0, s[0:1]
.LBB550_359:
	s_or_b32 exec_lo, exec_lo, s3
	s_and_b32 s0, s2, s13
	s_delay_alu instid0(SALU_CYCLE_1)
	s_and_saveexec_b32 s1, s0
	s_cbranch_execz .LBB550_136
.LBB550_360:
	v_add_co_u32 v3, vcc_lo, v3, v6
	v_add_co_ci_u32_e32 v4, vcc_lo, 0, v4, vcc_lo
	v_add_co_u32 v0, vcc_lo, v1, v5
	v_add_co_ci_u32_e32 v1, vcc_lo, 0, v2, vcc_lo
	s_delay_alu instid0(VALU_DEP_4)
	v_add_co_u32 v2, vcc_lo, v3, v8
	v_mov_b32_e32 v7, 0
	v_add_co_ci_u32_e32 v3, vcc_lo, 0, v4, vcc_lo
	global_store_b128 v7, v[0:3], s[24:25]
	s_nop 0
	s_sendmsg sendmsg(MSG_DEALLOC_VGPRS)
	s_endpgm
.LBB550_361:
	v_add_nc_u32_e32 v7, s6, v27
	s_add_i32 s8, s26, 32
	s_mov_b32 s9, 0
	v_dual_mov_b32 v9, 0 :: v_dual_add_nc_u32 v6, v26, v5
	s_lshl_b64 s[8:9], s[8:9], 4
	v_and_b32_e32 v24, 0xff0000, v7
	s_add_u32 s8, s36, s8
	s_addc_u32 s9, s37, s9
	v_and_b32_e32 v8, 0xff000000, v7
	s_delay_alu instid0(VALU_DEP_1) | instskip(SKIP_2) | instid1(VALU_DEP_1)
	v_or_b32_e32 v24, v24, v8
	v_dual_mov_b32 v8, 2 :: v_dual_and_b32 v25, 0xff00, v7
	v_and_b32_e32 v7, 0xff, v7
	v_or3_b32 v7, v24, v25, v7
	v_dual_mov_b32 v25, s9 :: v_dual_mov_b32 v24, s8
	;;#ASMSTART
	global_store_dwordx4 v[24:25], v[6:9] off	
s_waitcnt vmcnt(0)
	;;#ASMEND
	s_or_b32 exec_lo, exec_lo, s7
	s_and_saveexec_b32 s7, s3
	s_cbranch_execz .LBB550_120
.LBB550_362:
	v_mov_b32_e32 v6, s6
	v_add_nc_u32_e64 v7, 0x3400, 0
	ds_store_2addr_b32 v7, v5, v6 offset1:2
	ds_store_2addr_b32 v7, v26, v27 offset0:4 offset1:6
	s_or_b32 exec_lo, exec_lo, s7
	s_delay_alu instid0(SALU_CYCLE_1)
	s_and_b32 exec_lo, exec_lo, s2
	s_cbranch_execnz .LBB550_121
	s_branch .LBB550_122
	.section	.rodata,"a",@progbits
	.p2align	6, 0x0
	.amdhsa_kernel _ZN7rocprim17ROCPRIM_400000_NS6detail17trampoline_kernelINS0_13select_configILj256ELj13ELNS0_17block_load_methodE3ELS4_3ELS4_3ELNS0_20block_scan_algorithmE0ELj4294967295EEENS1_25partition_config_selectorILNS1_17partition_subalgoE4EjNS0_10empty_typeEbEEZZNS1_14partition_implILS8_4ELb0ES6_15HIP_vector_typeIjLj2EENS0_17counting_iteratorIjlEEPS9_SG_NS0_5tupleIJPjSI_NS0_16reverse_iteratorISI_EEEEENSH_IJSG_SG_SG_EEES9_SI_JZNS1_25segmented_radix_sort_implINS0_14default_configELb0EPKiPiPKlPlN2at6native12_GLOBAL__N_18offset_tEEE10hipError_tPvRmT1_PNSt15iterator_traitsIS12_E10value_typeET2_T3_PNS13_IS18_E10value_typeET4_jRbjT5_S1E_jjP12ihipStream_tbEUljE_ZNSN_ISO_Lb0ESQ_SR_ST_SU_SY_EESZ_S10_S11_S12_S16_S17_S18_S1B_S1C_jS1D_jS1E_S1E_jjS1G_bEUljE0_EEESZ_S10_S11_S18_S1C_S1E_T6_T7_T9_mT8_S1G_bDpT10_ENKUlT_T0_E_clISt17integral_constantIbLb1EES1U_EEDaS1P_S1Q_EUlS1P_E_NS1_11comp_targetILNS1_3genE9ELNS1_11target_archE1100ELNS1_3gpuE3ELNS1_3repE0EEENS1_30default_config_static_selectorELNS0_4arch9wavefront6targetE0EEEvS12_
		.amdhsa_group_segment_fixed_size 13340
		.amdhsa_private_segment_fixed_size 0
		.amdhsa_kernarg_size 184
		.amdhsa_user_sgpr_count 15
		.amdhsa_user_sgpr_dispatch_ptr 0
		.amdhsa_user_sgpr_queue_ptr 0
		.amdhsa_user_sgpr_kernarg_segment_ptr 1
		.amdhsa_user_sgpr_dispatch_id 0
		.amdhsa_user_sgpr_private_segment_size 0
		.amdhsa_wavefront_size32 1
		.amdhsa_uses_dynamic_stack 0
		.amdhsa_enable_private_segment 0
		.amdhsa_system_sgpr_workgroup_id_x 1
		.amdhsa_system_sgpr_workgroup_id_y 0
		.amdhsa_system_sgpr_workgroup_id_z 0
		.amdhsa_system_sgpr_workgroup_info 0
		.amdhsa_system_vgpr_workitem_id 0
		.amdhsa_next_free_vgpr 103
		.amdhsa_next_free_sgpr 55
		.amdhsa_reserve_vcc 1
		.amdhsa_float_round_mode_32 0
		.amdhsa_float_round_mode_16_64 0
		.amdhsa_float_denorm_mode_32 3
		.amdhsa_float_denorm_mode_16_64 3
		.amdhsa_dx10_clamp 1
		.amdhsa_ieee_mode 1
		.amdhsa_fp16_overflow 0
		.amdhsa_workgroup_processor_mode 1
		.amdhsa_memory_ordered 1
		.amdhsa_forward_progress 0
		.amdhsa_shared_vgpr_count 0
		.amdhsa_exception_fp_ieee_invalid_op 0
		.amdhsa_exception_fp_denorm_src 0
		.amdhsa_exception_fp_ieee_div_zero 0
		.amdhsa_exception_fp_ieee_overflow 0
		.amdhsa_exception_fp_ieee_underflow 0
		.amdhsa_exception_fp_ieee_inexact 0
		.amdhsa_exception_int_div_zero 0
	.end_amdhsa_kernel
	.section	.text._ZN7rocprim17ROCPRIM_400000_NS6detail17trampoline_kernelINS0_13select_configILj256ELj13ELNS0_17block_load_methodE3ELS4_3ELS4_3ELNS0_20block_scan_algorithmE0ELj4294967295EEENS1_25partition_config_selectorILNS1_17partition_subalgoE4EjNS0_10empty_typeEbEEZZNS1_14partition_implILS8_4ELb0ES6_15HIP_vector_typeIjLj2EENS0_17counting_iteratorIjlEEPS9_SG_NS0_5tupleIJPjSI_NS0_16reverse_iteratorISI_EEEEENSH_IJSG_SG_SG_EEES9_SI_JZNS1_25segmented_radix_sort_implINS0_14default_configELb0EPKiPiPKlPlN2at6native12_GLOBAL__N_18offset_tEEE10hipError_tPvRmT1_PNSt15iterator_traitsIS12_E10value_typeET2_T3_PNS13_IS18_E10value_typeET4_jRbjT5_S1E_jjP12ihipStream_tbEUljE_ZNSN_ISO_Lb0ESQ_SR_ST_SU_SY_EESZ_S10_S11_S12_S16_S17_S18_S1B_S1C_jS1D_jS1E_S1E_jjS1G_bEUljE0_EEESZ_S10_S11_S18_S1C_S1E_T6_T7_T9_mT8_S1G_bDpT10_ENKUlT_T0_E_clISt17integral_constantIbLb1EES1U_EEDaS1P_S1Q_EUlS1P_E_NS1_11comp_targetILNS1_3genE9ELNS1_11target_archE1100ELNS1_3gpuE3ELNS1_3repE0EEENS1_30default_config_static_selectorELNS0_4arch9wavefront6targetE0EEEvS12_,"axG",@progbits,_ZN7rocprim17ROCPRIM_400000_NS6detail17trampoline_kernelINS0_13select_configILj256ELj13ELNS0_17block_load_methodE3ELS4_3ELS4_3ELNS0_20block_scan_algorithmE0ELj4294967295EEENS1_25partition_config_selectorILNS1_17partition_subalgoE4EjNS0_10empty_typeEbEEZZNS1_14partition_implILS8_4ELb0ES6_15HIP_vector_typeIjLj2EENS0_17counting_iteratorIjlEEPS9_SG_NS0_5tupleIJPjSI_NS0_16reverse_iteratorISI_EEEEENSH_IJSG_SG_SG_EEES9_SI_JZNS1_25segmented_radix_sort_implINS0_14default_configELb0EPKiPiPKlPlN2at6native12_GLOBAL__N_18offset_tEEE10hipError_tPvRmT1_PNSt15iterator_traitsIS12_E10value_typeET2_T3_PNS13_IS18_E10value_typeET4_jRbjT5_S1E_jjP12ihipStream_tbEUljE_ZNSN_ISO_Lb0ESQ_SR_ST_SU_SY_EESZ_S10_S11_S12_S16_S17_S18_S1B_S1C_jS1D_jS1E_S1E_jjS1G_bEUljE0_EEESZ_S10_S11_S18_S1C_S1E_T6_T7_T9_mT8_S1G_bDpT10_ENKUlT_T0_E_clISt17integral_constantIbLb1EES1U_EEDaS1P_S1Q_EUlS1P_E_NS1_11comp_targetILNS1_3genE9ELNS1_11target_archE1100ELNS1_3gpuE3ELNS1_3repE0EEENS1_30default_config_static_selectorELNS0_4arch9wavefront6targetE0EEEvS12_,comdat
.Lfunc_end550:
	.size	_ZN7rocprim17ROCPRIM_400000_NS6detail17trampoline_kernelINS0_13select_configILj256ELj13ELNS0_17block_load_methodE3ELS4_3ELS4_3ELNS0_20block_scan_algorithmE0ELj4294967295EEENS1_25partition_config_selectorILNS1_17partition_subalgoE4EjNS0_10empty_typeEbEEZZNS1_14partition_implILS8_4ELb0ES6_15HIP_vector_typeIjLj2EENS0_17counting_iteratorIjlEEPS9_SG_NS0_5tupleIJPjSI_NS0_16reverse_iteratorISI_EEEEENSH_IJSG_SG_SG_EEES9_SI_JZNS1_25segmented_radix_sort_implINS0_14default_configELb0EPKiPiPKlPlN2at6native12_GLOBAL__N_18offset_tEEE10hipError_tPvRmT1_PNSt15iterator_traitsIS12_E10value_typeET2_T3_PNS13_IS18_E10value_typeET4_jRbjT5_S1E_jjP12ihipStream_tbEUljE_ZNSN_ISO_Lb0ESQ_SR_ST_SU_SY_EESZ_S10_S11_S12_S16_S17_S18_S1B_S1C_jS1D_jS1E_S1E_jjS1G_bEUljE0_EEESZ_S10_S11_S18_S1C_S1E_T6_T7_T9_mT8_S1G_bDpT10_ENKUlT_T0_E_clISt17integral_constantIbLb1EES1U_EEDaS1P_S1Q_EUlS1P_E_NS1_11comp_targetILNS1_3genE9ELNS1_11target_archE1100ELNS1_3gpuE3ELNS1_3repE0EEENS1_30default_config_static_selectorELNS0_4arch9wavefront6targetE0EEEvS12_, .Lfunc_end550-_ZN7rocprim17ROCPRIM_400000_NS6detail17trampoline_kernelINS0_13select_configILj256ELj13ELNS0_17block_load_methodE3ELS4_3ELS4_3ELNS0_20block_scan_algorithmE0ELj4294967295EEENS1_25partition_config_selectorILNS1_17partition_subalgoE4EjNS0_10empty_typeEbEEZZNS1_14partition_implILS8_4ELb0ES6_15HIP_vector_typeIjLj2EENS0_17counting_iteratorIjlEEPS9_SG_NS0_5tupleIJPjSI_NS0_16reverse_iteratorISI_EEEEENSH_IJSG_SG_SG_EEES9_SI_JZNS1_25segmented_radix_sort_implINS0_14default_configELb0EPKiPiPKlPlN2at6native12_GLOBAL__N_18offset_tEEE10hipError_tPvRmT1_PNSt15iterator_traitsIS12_E10value_typeET2_T3_PNS13_IS18_E10value_typeET4_jRbjT5_S1E_jjP12ihipStream_tbEUljE_ZNSN_ISO_Lb0ESQ_SR_ST_SU_SY_EESZ_S10_S11_S12_S16_S17_S18_S1B_S1C_jS1D_jS1E_S1E_jjS1G_bEUljE0_EEESZ_S10_S11_S18_S1C_S1E_T6_T7_T9_mT8_S1G_bDpT10_ENKUlT_T0_E_clISt17integral_constantIbLb1EES1U_EEDaS1P_S1Q_EUlS1P_E_NS1_11comp_targetILNS1_3genE9ELNS1_11target_archE1100ELNS1_3gpuE3ELNS1_3repE0EEENS1_30default_config_static_selectorELNS0_4arch9wavefront6targetE0EEEvS12_
                                        ; -- End function
	.section	.AMDGPU.csdata,"",@progbits
; Kernel info:
; codeLenInByte = 15160
; NumSgprs: 57
; NumVgprs: 103
; ScratchSize: 0
; MemoryBound: 0
; FloatMode: 240
; IeeeMode: 1
; LDSByteSize: 13340 bytes/workgroup (compile time only)
; SGPRBlocks: 7
; VGPRBlocks: 12
; NumSGPRsForWavesPerEU: 57
; NumVGPRsForWavesPerEU: 103
; Occupancy: 12
; WaveLimiterHint : 1
; COMPUTE_PGM_RSRC2:SCRATCH_EN: 0
; COMPUTE_PGM_RSRC2:USER_SGPR: 15
; COMPUTE_PGM_RSRC2:TRAP_HANDLER: 0
; COMPUTE_PGM_RSRC2:TGID_X_EN: 1
; COMPUTE_PGM_RSRC2:TGID_Y_EN: 0
; COMPUTE_PGM_RSRC2:TGID_Z_EN: 0
; COMPUTE_PGM_RSRC2:TIDIG_COMP_CNT: 0
	.section	.text._ZN7rocprim17ROCPRIM_400000_NS6detail17trampoline_kernelINS0_13select_configILj256ELj13ELNS0_17block_load_methodE3ELS4_3ELS4_3ELNS0_20block_scan_algorithmE0ELj4294967295EEENS1_25partition_config_selectorILNS1_17partition_subalgoE4EjNS0_10empty_typeEbEEZZNS1_14partition_implILS8_4ELb0ES6_15HIP_vector_typeIjLj2EENS0_17counting_iteratorIjlEEPS9_SG_NS0_5tupleIJPjSI_NS0_16reverse_iteratorISI_EEEEENSH_IJSG_SG_SG_EEES9_SI_JZNS1_25segmented_radix_sort_implINS0_14default_configELb0EPKiPiPKlPlN2at6native12_GLOBAL__N_18offset_tEEE10hipError_tPvRmT1_PNSt15iterator_traitsIS12_E10value_typeET2_T3_PNS13_IS18_E10value_typeET4_jRbjT5_S1E_jjP12ihipStream_tbEUljE_ZNSN_ISO_Lb0ESQ_SR_ST_SU_SY_EESZ_S10_S11_S12_S16_S17_S18_S1B_S1C_jS1D_jS1E_S1E_jjS1G_bEUljE0_EEESZ_S10_S11_S18_S1C_S1E_T6_T7_T9_mT8_S1G_bDpT10_ENKUlT_T0_E_clISt17integral_constantIbLb1EES1U_EEDaS1P_S1Q_EUlS1P_E_NS1_11comp_targetILNS1_3genE8ELNS1_11target_archE1030ELNS1_3gpuE2ELNS1_3repE0EEENS1_30default_config_static_selectorELNS0_4arch9wavefront6targetE0EEEvS12_,"axG",@progbits,_ZN7rocprim17ROCPRIM_400000_NS6detail17trampoline_kernelINS0_13select_configILj256ELj13ELNS0_17block_load_methodE3ELS4_3ELS4_3ELNS0_20block_scan_algorithmE0ELj4294967295EEENS1_25partition_config_selectorILNS1_17partition_subalgoE4EjNS0_10empty_typeEbEEZZNS1_14partition_implILS8_4ELb0ES6_15HIP_vector_typeIjLj2EENS0_17counting_iteratorIjlEEPS9_SG_NS0_5tupleIJPjSI_NS0_16reverse_iteratorISI_EEEEENSH_IJSG_SG_SG_EEES9_SI_JZNS1_25segmented_radix_sort_implINS0_14default_configELb0EPKiPiPKlPlN2at6native12_GLOBAL__N_18offset_tEEE10hipError_tPvRmT1_PNSt15iterator_traitsIS12_E10value_typeET2_T3_PNS13_IS18_E10value_typeET4_jRbjT5_S1E_jjP12ihipStream_tbEUljE_ZNSN_ISO_Lb0ESQ_SR_ST_SU_SY_EESZ_S10_S11_S12_S16_S17_S18_S1B_S1C_jS1D_jS1E_S1E_jjS1G_bEUljE0_EEESZ_S10_S11_S18_S1C_S1E_T6_T7_T9_mT8_S1G_bDpT10_ENKUlT_T0_E_clISt17integral_constantIbLb1EES1U_EEDaS1P_S1Q_EUlS1P_E_NS1_11comp_targetILNS1_3genE8ELNS1_11target_archE1030ELNS1_3gpuE2ELNS1_3repE0EEENS1_30default_config_static_selectorELNS0_4arch9wavefront6targetE0EEEvS12_,comdat
	.globl	_ZN7rocprim17ROCPRIM_400000_NS6detail17trampoline_kernelINS0_13select_configILj256ELj13ELNS0_17block_load_methodE3ELS4_3ELS4_3ELNS0_20block_scan_algorithmE0ELj4294967295EEENS1_25partition_config_selectorILNS1_17partition_subalgoE4EjNS0_10empty_typeEbEEZZNS1_14partition_implILS8_4ELb0ES6_15HIP_vector_typeIjLj2EENS0_17counting_iteratorIjlEEPS9_SG_NS0_5tupleIJPjSI_NS0_16reverse_iteratorISI_EEEEENSH_IJSG_SG_SG_EEES9_SI_JZNS1_25segmented_radix_sort_implINS0_14default_configELb0EPKiPiPKlPlN2at6native12_GLOBAL__N_18offset_tEEE10hipError_tPvRmT1_PNSt15iterator_traitsIS12_E10value_typeET2_T3_PNS13_IS18_E10value_typeET4_jRbjT5_S1E_jjP12ihipStream_tbEUljE_ZNSN_ISO_Lb0ESQ_SR_ST_SU_SY_EESZ_S10_S11_S12_S16_S17_S18_S1B_S1C_jS1D_jS1E_S1E_jjS1G_bEUljE0_EEESZ_S10_S11_S18_S1C_S1E_T6_T7_T9_mT8_S1G_bDpT10_ENKUlT_T0_E_clISt17integral_constantIbLb1EES1U_EEDaS1P_S1Q_EUlS1P_E_NS1_11comp_targetILNS1_3genE8ELNS1_11target_archE1030ELNS1_3gpuE2ELNS1_3repE0EEENS1_30default_config_static_selectorELNS0_4arch9wavefront6targetE0EEEvS12_ ; -- Begin function _ZN7rocprim17ROCPRIM_400000_NS6detail17trampoline_kernelINS0_13select_configILj256ELj13ELNS0_17block_load_methodE3ELS4_3ELS4_3ELNS0_20block_scan_algorithmE0ELj4294967295EEENS1_25partition_config_selectorILNS1_17partition_subalgoE4EjNS0_10empty_typeEbEEZZNS1_14partition_implILS8_4ELb0ES6_15HIP_vector_typeIjLj2EENS0_17counting_iteratorIjlEEPS9_SG_NS0_5tupleIJPjSI_NS0_16reverse_iteratorISI_EEEEENSH_IJSG_SG_SG_EEES9_SI_JZNS1_25segmented_radix_sort_implINS0_14default_configELb0EPKiPiPKlPlN2at6native12_GLOBAL__N_18offset_tEEE10hipError_tPvRmT1_PNSt15iterator_traitsIS12_E10value_typeET2_T3_PNS13_IS18_E10value_typeET4_jRbjT5_S1E_jjP12ihipStream_tbEUljE_ZNSN_ISO_Lb0ESQ_SR_ST_SU_SY_EESZ_S10_S11_S12_S16_S17_S18_S1B_S1C_jS1D_jS1E_S1E_jjS1G_bEUljE0_EEESZ_S10_S11_S18_S1C_S1E_T6_T7_T9_mT8_S1G_bDpT10_ENKUlT_T0_E_clISt17integral_constantIbLb1EES1U_EEDaS1P_S1Q_EUlS1P_E_NS1_11comp_targetILNS1_3genE8ELNS1_11target_archE1030ELNS1_3gpuE2ELNS1_3repE0EEENS1_30default_config_static_selectorELNS0_4arch9wavefront6targetE0EEEvS12_
	.p2align	8
	.type	_ZN7rocprim17ROCPRIM_400000_NS6detail17trampoline_kernelINS0_13select_configILj256ELj13ELNS0_17block_load_methodE3ELS4_3ELS4_3ELNS0_20block_scan_algorithmE0ELj4294967295EEENS1_25partition_config_selectorILNS1_17partition_subalgoE4EjNS0_10empty_typeEbEEZZNS1_14partition_implILS8_4ELb0ES6_15HIP_vector_typeIjLj2EENS0_17counting_iteratorIjlEEPS9_SG_NS0_5tupleIJPjSI_NS0_16reverse_iteratorISI_EEEEENSH_IJSG_SG_SG_EEES9_SI_JZNS1_25segmented_radix_sort_implINS0_14default_configELb0EPKiPiPKlPlN2at6native12_GLOBAL__N_18offset_tEEE10hipError_tPvRmT1_PNSt15iterator_traitsIS12_E10value_typeET2_T3_PNS13_IS18_E10value_typeET4_jRbjT5_S1E_jjP12ihipStream_tbEUljE_ZNSN_ISO_Lb0ESQ_SR_ST_SU_SY_EESZ_S10_S11_S12_S16_S17_S18_S1B_S1C_jS1D_jS1E_S1E_jjS1G_bEUljE0_EEESZ_S10_S11_S18_S1C_S1E_T6_T7_T9_mT8_S1G_bDpT10_ENKUlT_T0_E_clISt17integral_constantIbLb1EES1U_EEDaS1P_S1Q_EUlS1P_E_NS1_11comp_targetILNS1_3genE8ELNS1_11target_archE1030ELNS1_3gpuE2ELNS1_3repE0EEENS1_30default_config_static_selectorELNS0_4arch9wavefront6targetE0EEEvS12_,@function
_ZN7rocprim17ROCPRIM_400000_NS6detail17trampoline_kernelINS0_13select_configILj256ELj13ELNS0_17block_load_methodE3ELS4_3ELS4_3ELNS0_20block_scan_algorithmE0ELj4294967295EEENS1_25partition_config_selectorILNS1_17partition_subalgoE4EjNS0_10empty_typeEbEEZZNS1_14partition_implILS8_4ELb0ES6_15HIP_vector_typeIjLj2EENS0_17counting_iteratorIjlEEPS9_SG_NS0_5tupleIJPjSI_NS0_16reverse_iteratorISI_EEEEENSH_IJSG_SG_SG_EEES9_SI_JZNS1_25segmented_radix_sort_implINS0_14default_configELb0EPKiPiPKlPlN2at6native12_GLOBAL__N_18offset_tEEE10hipError_tPvRmT1_PNSt15iterator_traitsIS12_E10value_typeET2_T3_PNS13_IS18_E10value_typeET4_jRbjT5_S1E_jjP12ihipStream_tbEUljE_ZNSN_ISO_Lb0ESQ_SR_ST_SU_SY_EESZ_S10_S11_S12_S16_S17_S18_S1B_S1C_jS1D_jS1E_S1E_jjS1G_bEUljE0_EEESZ_S10_S11_S18_S1C_S1E_T6_T7_T9_mT8_S1G_bDpT10_ENKUlT_T0_E_clISt17integral_constantIbLb1EES1U_EEDaS1P_S1Q_EUlS1P_E_NS1_11comp_targetILNS1_3genE8ELNS1_11target_archE1030ELNS1_3gpuE2ELNS1_3repE0EEENS1_30default_config_static_selectorELNS0_4arch9wavefront6targetE0EEEvS12_: ; @_ZN7rocprim17ROCPRIM_400000_NS6detail17trampoline_kernelINS0_13select_configILj256ELj13ELNS0_17block_load_methodE3ELS4_3ELS4_3ELNS0_20block_scan_algorithmE0ELj4294967295EEENS1_25partition_config_selectorILNS1_17partition_subalgoE4EjNS0_10empty_typeEbEEZZNS1_14partition_implILS8_4ELb0ES6_15HIP_vector_typeIjLj2EENS0_17counting_iteratorIjlEEPS9_SG_NS0_5tupleIJPjSI_NS0_16reverse_iteratorISI_EEEEENSH_IJSG_SG_SG_EEES9_SI_JZNS1_25segmented_radix_sort_implINS0_14default_configELb0EPKiPiPKlPlN2at6native12_GLOBAL__N_18offset_tEEE10hipError_tPvRmT1_PNSt15iterator_traitsIS12_E10value_typeET2_T3_PNS13_IS18_E10value_typeET4_jRbjT5_S1E_jjP12ihipStream_tbEUljE_ZNSN_ISO_Lb0ESQ_SR_ST_SU_SY_EESZ_S10_S11_S12_S16_S17_S18_S1B_S1C_jS1D_jS1E_S1E_jjS1G_bEUljE0_EEESZ_S10_S11_S18_S1C_S1E_T6_T7_T9_mT8_S1G_bDpT10_ENKUlT_T0_E_clISt17integral_constantIbLb1EES1U_EEDaS1P_S1Q_EUlS1P_E_NS1_11comp_targetILNS1_3genE8ELNS1_11target_archE1030ELNS1_3gpuE2ELNS1_3repE0EEENS1_30default_config_static_selectorELNS0_4arch9wavefront6targetE0EEEvS12_
; %bb.0:
	.section	.rodata,"a",@progbits
	.p2align	6, 0x0
	.amdhsa_kernel _ZN7rocprim17ROCPRIM_400000_NS6detail17trampoline_kernelINS0_13select_configILj256ELj13ELNS0_17block_load_methodE3ELS4_3ELS4_3ELNS0_20block_scan_algorithmE0ELj4294967295EEENS1_25partition_config_selectorILNS1_17partition_subalgoE4EjNS0_10empty_typeEbEEZZNS1_14partition_implILS8_4ELb0ES6_15HIP_vector_typeIjLj2EENS0_17counting_iteratorIjlEEPS9_SG_NS0_5tupleIJPjSI_NS0_16reverse_iteratorISI_EEEEENSH_IJSG_SG_SG_EEES9_SI_JZNS1_25segmented_radix_sort_implINS0_14default_configELb0EPKiPiPKlPlN2at6native12_GLOBAL__N_18offset_tEEE10hipError_tPvRmT1_PNSt15iterator_traitsIS12_E10value_typeET2_T3_PNS13_IS18_E10value_typeET4_jRbjT5_S1E_jjP12ihipStream_tbEUljE_ZNSN_ISO_Lb0ESQ_SR_ST_SU_SY_EESZ_S10_S11_S12_S16_S17_S18_S1B_S1C_jS1D_jS1E_S1E_jjS1G_bEUljE0_EEESZ_S10_S11_S18_S1C_S1E_T6_T7_T9_mT8_S1G_bDpT10_ENKUlT_T0_E_clISt17integral_constantIbLb1EES1U_EEDaS1P_S1Q_EUlS1P_E_NS1_11comp_targetILNS1_3genE8ELNS1_11target_archE1030ELNS1_3gpuE2ELNS1_3repE0EEENS1_30default_config_static_selectorELNS0_4arch9wavefront6targetE0EEEvS12_
		.amdhsa_group_segment_fixed_size 0
		.amdhsa_private_segment_fixed_size 0
		.amdhsa_kernarg_size 184
		.amdhsa_user_sgpr_count 15
		.amdhsa_user_sgpr_dispatch_ptr 0
		.amdhsa_user_sgpr_queue_ptr 0
		.amdhsa_user_sgpr_kernarg_segment_ptr 1
		.amdhsa_user_sgpr_dispatch_id 0
		.amdhsa_user_sgpr_private_segment_size 0
		.amdhsa_wavefront_size32 1
		.amdhsa_uses_dynamic_stack 0
		.amdhsa_enable_private_segment 0
		.amdhsa_system_sgpr_workgroup_id_x 1
		.amdhsa_system_sgpr_workgroup_id_y 0
		.amdhsa_system_sgpr_workgroup_id_z 0
		.amdhsa_system_sgpr_workgroup_info 0
		.amdhsa_system_vgpr_workitem_id 0
		.amdhsa_next_free_vgpr 1
		.amdhsa_next_free_sgpr 1
		.amdhsa_reserve_vcc 0
		.amdhsa_float_round_mode_32 0
		.amdhsa_float_round_mode_16_64 0
		.amdhsa_float_denorm_mode_32 3
		.amdhsa_float_denorm_mode_16_64 3
		.amdhsa_dx10_clamp 1
		.amdhsa_ieee_mode 1
		.amdhsa_fp16_overflow 0
		.amdhsa_workgroup_processor_mode 1
		.amdhsa_memory_ordered 1
		.amdhsa_forward_progress 0
		.amdhsa_shared_vgpr_count 0
		.amdhsa_exception_fp_ieee_invalid_op 0
		.amdhsa_exception_fp_denorm_src 0
		.amdhsa_exception_fp_ieee_div_zero 0
		.amdhsa_exception_fp_ieee_overflow 0
		.amdhsa_exception_fp_ieee_underflow 0
		.amdhsa_exception_fp_ieee_inexact 0
		.amdhsa_exception_int_div_zero 0
	.end_amdhsa_kernel
	.section	.text._ZN7rocprim17ROCPRIM_400000_NS6detail17trampoline_kernelINS0_13select_configILj256ELj13ELNS0_17block_load_methodE3ELS4_3ELS4_3ELNS0_20block_scan_algorithmE0ELj4294967295EEENS1_25partition_config_selectorILNS1_17partition_subalgoE4EjNS0_10empty_typeEbEEZZNS1_14partition_implILS8_4ELb0ES6_15HIP_vector_typeIjLj2EENS0_17counting_iteratorIjlEEPS9_SG_NS0_5tupleIJPjSI_NS0_16reverse_iteratorISI_EEEEENSH_IJSG_SG_SG_EEES9_SI_JZNS1_25segmented_radix_sort_implINS0_14default_configELb0EPKiPiPKlPlN2at6native12_GLOBAL__N_18offset_tEEE10hipError_tPvRmT1_PNSt15iterator_traitsIS12_E10value_typeET2_T3_PNS13_IS18_E10value_typeET4_jRbjT5_S1E_jjP12ihipStream_tbEUljE_ZNSN_ISO_Lb0ESQ_SR_ST_SU_SY_EESZ_S10_S11_S12_S16_S17_S18_S1B_S1C_jS1D_jS1E_S1E_jjS1G_bEUljE0_EEESZ_S10_S11_S18_S1C_S1E_T6_T7_T9_mT8_S1G_bDpT10_ENKUlT_T0_E_clISt17integral_constantIbLb1EES1U_EEDaS1P_S1Q_EUlS1P_E_NS1_11comp_targetILNS1_3genE8ELNS1_11target_archE1030ELNS1_3gpuE2ELNS1_3repE0EEENS1_30default_config_static_selectorELNS0_4arch9wavefront6targetE0EEEvS12_,"axG",@progbits,_ZN7rocprim17ROCPRIM_400000_NS6detail17trampoline_kernelINS0_13select_configILj256ELj13ELNS0_17block_load_methodE3ELS4_3ELS4_3ELNS0_20block_scan_algorithmE0ELj4294967295EEENS1_25partition_config_selectorILNS1_17partition_subalgoE4EjNS0_10empty_typeEbEEZZNS1_14partition_implILS8_4ELb0ES6_15HIP_vector_typeIjLj2EENS0_17counting_iteratorIjlEEPS9_SG_NS0_5tupleIJPjSI_NS0_16reverse_iteratorISI_EEEEENSH_IJSG_SG_SG_EEES9_SI_JZNS1_25segmented_radix_sort_implINS0_14default_configELb0EPKiPiPKlPlN2at6native12_GLOBAL__N_18offset_tEEE10hipError_tPvRmT1_PNSt15iterator_traitsIS12_E10value_typeET2_T3_PNS13_IS18_E10value_typeET4_jRbjT5_S1E_jjP12ihipStream_tbEUljE_ZNSN_ISO_Lb0ESQ_SR_ST_SU_SY_EESZ_S10_S11_S12_S16_S17_S18_S1B_S1C_jS1D_jS1E_S1E_jjS1G_bEUljE0_EEESZ_S10_S11_S18_S1C_S1E_T6_T7_T9_mT8_S1G_bDpT10_ENKUlT_T0_E_clISt17integral_constantIbLb1EES1U_EEDaS1P_S1Q_EUlS1P_E_NS1_11comp_targetILNS1_3genE8ELNS1_11target_archE1030ELNS1_3gpuE2ELNS1_3repE0EEENS1_30default_config_static_selectorELNS0_4arch9wavefront6targetE0EEEvS12_,comdat
.Lfunc_end551:
	.size	_ZN7rocprim17ROCPRIM_400000_NS6detail17trampoline_kernelINS0_13select_configILj256ELj13ELNS0_17block_load_methodE3ELS4_3ELS4_3ELNS0_20block_scan_algorithmE0ELj4294967295EEENS1_25partition_config_selectorILNS1_17partition_subalgoE4EjNS0_10empty_typeEbEEZZNS1_14partition_implILS8_4ELb0ES6_15HIP_vector_typeIjLj2EENS0_17counting_iteratorIjlEEPS9_SG_NS0_5tupleIJPjSI_NS0_16reverse_iteratorISI_EEEEENSH_IJSG_SG_SG_EEES9_SI_JZNS1_25segmented_radix_sort_implINS0_14default_configELb0EPKiPiPKlPlN2at6native12_GLOBAL__N_18offset_tEEE10hipError_tPvRmT1_PNSt15iterator_traitsIS12_E10value_typeET2_T3_PNS13_IS18_E10value_typeET4_jRbjT5_S1E_jjP12ihipStream_tbEUljE_ZNSN_ISO_Lb0ESQ_SR_ST_SU_SY_EESZ_S10_S11_S12_S16_S17_S18_S1B_S1C_jS1D_jS1E_S1E_jjS1G_bEUljE0_EEESZ_S10_S11_S18_S1C_S1E_T6_T7_T9_mT8_S1G_bDpT10_ENKUlT_T0_E_clISt17integral_constantIbLb1EES1U_EEDaS1P_S1Q_EUlS1P_E_NS1_11comp_targetILNS1_3genE8ELNS1_11target_archE1030ELNS1_3gpuE2ELNS1_3repE0EEENS1_30default_config_static_selectorELNS0_4arch9wavefront6targetE0EEEvS12_, .Lfunc_end551-_ZN7rocprim17ROCPRIM_400000_NS6detail17trampoline_kernelINS0_13select_configILj256ELj13ELNS0_17block_load_methodE3ELS4_3ELS4_3ELNS0_20block_scan_algorithmE0ELj4294967295EEENS1_25partition_config_selectorILNS1_17partition_subalgoE4EjNS0_10empty_typeEbEEZZNS1_14partition_implILS8_4ELb0ES6_15HIP_vector_typeIjLj2EENS0_17counting_iteratorIjlEEPS9_SG_NS0_5tupleIJPjSI_NS0_16reverse_iteratorISI_EEEEENSH_IJSG_SG_SG_EEES9_SI_JZNS1_25segmented_radix_sort_implINS0_14default_configELb0EPKiPiPKlPlN2at6native12_GLOBAL__N_18offset_tEEE10hipError_tPvRmT1_PNSt15iterator_traitsIS12_E10value_typeET2_T3_PNS13_IS18_E10value_typeET4_jRbjT5_S1E_jjP12ihipStream_tbEUljE_ZNSN_ISO_Lb0ESQ_SR_ST_SU_SY_EESZ_S10_S11_S12_S16_S17_S18_S1B_S1C_jS1D_jS1E_S1E_jjS1G_bEUljE0_EEESZ_S10_S11_S18_S1C_S1E_T6_T7_T9_mT8_S1G_bDpT10_ENKUlT_T0_E_clISt17integral_constantIbLb1EES1U_EEDaS1P_S1Q_EUlS1P_E_NS1_11comp_targetILNS1_3genE8ELNS1_11target_archE1030ELNS1_3gpuE2ELNS1_3repE0EEENS1_30default_config_static_selectorELNS0_4arch9wavefront6targetE0EEEvS12_
                                        ; -- End function
	.section	.AMDGPU.csdata,"",@progbits
; Kernel info:
; codeLenInByte = 0
; NumSgprs: 0
; NumVgprs: 0
; ScratchSize: 0
; MemoryBound: 0
; FloatMode: 240
; IeeeMode: 1
; LDSByteSize: 0 bytes/workgroup (compile time only)
; SGPRBlocks: 0
; VGPRBlocks: 0
; NumSGPRsForWavesPerEU: 1
; NumVGPRsForWavesPerEU: 1
; Occupancy: 16
; WaveLimiterHint : 0
; COMPUTE_PGM_RSRC2:SCRATCH_EN: 0
; COMPUTE_PGM_RSRC2:USER_SGPR: 15
; COMPUTE_PGM_RSRC2:TRAP_HANDLER: 0
; COMPUTE_PGM_RSRC2:TGID_X_EN: 1
; COMPUTE_PGM_RSRC2:TGID_Y_EN: 0
; COMPUTE_PGM_RSRC2:TGID_Z_EN: 0
; COMPUTE_PGM_RSRC2:TIDIG_COMP_CNT: 0
	.section	.text._ZN7rocprim17ROCPRIM_400000_NS6detail17trampoline_kernelINS0_13select_configILj256ELj13ELNS0_17block_load_methodE3ELS4_3ELS4_3ELNS0_20block_scan_algorithmE0ELj4294967295EEENS1_25partition_config_selectorILNS1_17partition_subalgoE4EjNS0_10empty_typeEbEEZZNS1_14partition_implILS8_4ELb0ES6_15HIP_vector_typeIjLj2EENS0_17counting_iteratorIjlEEPS9_SG_NS0_5tupleIJPjSI_NS0_16reverse_iteratorISI_EEEEENSH_IJSG_SG_SG_EEES9_SI_JZNS1_25segmented_radix_sort_implINS0_14default_configELb0EPKiPiPKlPlN2at6native12_GLOBAL__N_18offset_tEEE10hipError_tPvRmT1_PNSt15iterator_traitsIS12_E10value_typeET2_T3_PNS13_IS18_E10value_typeET4_jRbjT5_S1E_jjP12ihipStream_tbEUljE_ZNSN_ISO_Lb0ESQ_SR_ST_SU_SY_EESZ_S10_S11_S12_S16_S17_S18_S1B_S1C_jS1D_jS1E_S1E_jjS1G_bEUljE0_EEESZ_S10_S11_S18_S1C_S1E_T6_T7_T9_mT8_S1G_bDpT10_ENKUlT_T0_E_clISt17integral_constantIbLb1EES1T_IbLb0EEEEDaS1P_S1Q_EUlS1P_E_NS1_11comp_targetILNS1_3genE0ELNS1_11target_archE4294967295ELNS1_3gpuE0ELNS1_3repE0EEENS1_30default_config_static_selectorELNS0_4arch9wavefront6targetE0EEEvS12_,"axG",@progbits,_ZN7rocprim17ROCPRIM_400000_NS6detail17trampoline_kernelINS0_13select_configILj256ELj13ELNS0_17block_load_methodE3ELS4_3ELS4_3ELNS0_20block_scan_algorithmE0ELj4294967295EEENS1_25partition_config_selectorILNS1_17partition_subalgoE4EjNS0_10empty_typeEbEEZZNS1_14partition_implILS8_4ELb0ES6_15HIP_vector_typeIjLj2EENS0_17counting_iteratorIjlEEPS9_SG_NS0_5tupleIJPjSI_NS0_16reverse_iteratorISI_EEEEENSH_IJSG_SG_SG_EEES9_SI_JZNS1_25segmented_radix_sort_implINS0_14default_configELb0EPKiPiPKlPlN2at6native12_GLOBAL__N_18offset_tEEE10hipError_tPvRmT1_PNSt15iterator_traitsIS12_E10value_typeET2_T3_PNS13_IS18_E10value_typeET4_jRbjT5_S1E_jjP12ihipStream_tbEUljE_ZNSN_ISO_Lb0ESQ_SR_ST_SU_SY_EESZ_S10_S11_S12_S16_S17_S18_S1B_S1C_jS1D_jS1E_S1E_jjS1G_bEUljE0_EEESZ_S10_S11_S18_S1C_S1E_T6_T7_T9_mT8_S1G_bDpT10_ENKUlT_T0_E_clISt17integral_constantIbLb1EES1T_IbLb0EEEEDaS1P_S1Q_EUlS1P_E_NS1_11comp_targetILNS1_3genE0ELNS1_11target_archE4294967295ELNS1_3gpuE0ELNS1_3repE0EEENS1_30default_config_static_selectorELNS0_4arch9wavefront6targetE0EEEvS12_,comdat
	.globl	_ZN7rocprim17ROCPRIM_400000_NS6detail17trampoline_kernelINS0_13select_configILj256ELj13ELNS0_17block_load_methodE3ELS4_3ELS4_3ELNS0_20block_scan_algorithmE0ELj4294967295EEENS1_25partition_config_selectorILNS1_17partition_subalgoE4EjNS0_10empty_typeEbEEZZNS1_14partition_implILS8_4ELb0ES6_15HIP_vector_typeIjLj2EENS0_17counting_iteratorIjlEEPS9_SG_NS0_5tupleIJPjSI_NS0_16reverse_iteratorISI_EEEEENSH_IJSG_SG_SG_EEES9_SI_JZNS1_25segmented_radix_sort_implINS0_14default_configELb0EPKiPiPKlPlN2at6native12_GLOBAL__N_18offset_tEEE10hipError_tPvRmT1_PNSt15iterator_traitsIS12_E10value_typeET2_T3_PNS13_IS18_E10value_typeET4_jRbjT5_S1E_jjP12ihipStream_tbEUljE_ZNSN_ISO_Lb0ESQ_SR_ST_SU_SY_EESZ_S10_S11_S12_S16_S17_S18_S1B_S1C_jS1D_jS1E_S1E_jjS1G_bEUljE0_EEESZ_S10_S11_S18_S1C_S1E_T6_T7_T9_mT8_S1G_bDpT10_ENKUlT_T0_E_clISt17integral_constantIbLb1EES1T_IbLb0EEEEDaS1P_S1Q_EUlS1P_E_NS1_11comp_targetILNS1_3genE0ELNS1_11target_archE4294967295ELNS1_3gpuE0ELNS1_3repE0EEENS1_30default_config_static_selectorELNS0_4arch9wavefront6targetE0EEEvS12_ ; -- Begin function _ZN7rocprim17ROCPRIM_400000_NS6detail17trampoline_kernelINS0_13select_configILj256ELj13ELNS0_17block_load_methodE3ELS4_3ELS4_3ELNS0_20block_scan_algorithmE0ELj4294967295EEENS1_25partition_config_selectorILNS1_17partition_subalgoE4EjNS0_10empty_typeEbEEZZNS1_14partition_implILS8_4ELb0ES6_15HIP_vector_typeIjLj2EENS0_17counting_iteratorIjlEEPS9_SG_NS0_5tupleIJPjSI_NS0_16reverse_iteratorISI_EEEEENSH_IJSG_SG_SG_EEES9_SI_JZNS1_25segmented_radix_sort_implINS0_14default_configELb0EPKiPiPKlPlN2at6native12_GLOBAL__N_18offset_tEEE10hipError_tPvRmT1_PNSt15iterator_traitsIS12_E10value_typeET2_T3_PNS13_IS18_E10value_typeET4_jRbjT5_S1E_jjP12ihipStream_tbEUljE_ZNSN_ISO_Lb0ESQ_SR_ST_SU_SY_EESZ_S10_S11_S12_S16_S17_S18_S1B_S1C_jS1D_jS1E_S1E_jjS1G_bEUljE0_EEESZ_S10_S11_S18_S1C_S1E_T6_T7_T9_mT8_S1G_bDpT10_ENKUlT_T0_E_clISt17integral_constantIbLb1EES1T_IbLb0EEEEDaS1P_S1Q_EUlS1P_E_NS1_11comp_targetILNS1_3genE0ELNS1_11target_archE4294967295ELNS1_3gpuE0ELNS1_3repE0EEENS1_30default_config_static_selectorELNS0_4arch9wavefront6targetE0EEEvS12_
	.p2align	8
	.type	_ZN7rocprim17ROCPRIM_400000_NS6detail17trampoline_kernelINS0_13select_configILj256ELj13ELNS0_17block_load_methodE3ELS4_3ELS4_3ELNS0_20block_scan_algorithmE0ELj4294967295EEENS1_25partition_config_selectorILNS1_17partition_subalgoE4EjNS0_10empty_typeEbEEZZNS1_14partition_implILS8_4ELb0ES6_15HIP_vector_typeIjLj2EENS0_17counting_iteratorIjlEEPS9_SG_NS0_5tupleIJPjSI_NS0_16reverse_iteratorISI_EEEEENSH_IJSG_SG_SG_EEES9_SI_JZNS1_25segmented_radix_sort_implINS0_14default_configELb0EPKiPiPKlPlN2at6native12_GLOBAL__N_18offset_tEEE10hipError_tPvRmT1_PNSt15iterator_traitsIS12_E10value_typeET2_T3_PNS13_IS18_E10value_typeET4_jRbjT5_S1E_jjP12ihipStream_tbEUljE_ZNSN_ISO_Lb0ESQ_SR_ST_SU_SY_EESZ_S10_S11_S12_S16_S17_S18_S1B_S1C_jS1D_jS1E_S1E_jjS1G_bEUljE0_EEESZ_S10_S11_S18_S1C_S1E_T6_T7_T9_mT8_S1G_bDpT10_ENKUlT_T0_E_clISt17integral_constantIbLb1EES1T_IbLb0EEEEDaS1P_S1Q_EUlS1P_E_NS1_11comp_targetILNS1_3genE0ELNS1_11target_archE4294967295ELNS1_3gpuE0ELNS1_3repE0EEENS1_30default_config_static_selectorELNS0_4arch9wavefront6targetE0EEEvS12_,@function
_ZN7rocprim17ROCPRIM_400000_NS6detail17trampoline_kernelINS0_13select_configILj256ELj13ELNS0_17block_load_methodE3ELS4_3ELS4_3ELNS0_20block_scan_algorithmE0ELj4294967295EEENS1_25partition_config_selectorILNS1_17partition_subalgoE4EjNS0_10empty_typeEbEEZZNS1_14partition_implILS8_4ELb0ES6_15HIP_vector_typeIjLj2EENS0_17counting_iteratorIjlEEPS9_SG_NS0_5tupleIJPjSI_NS0_16reverse_iteratorISI_EEEEENSH_IJSG_SG_SG_EEES9_SI_JZNS1_25segmented_radix_sort_implINS0_14default_configELb0EPKiPiPKlPlN2at6native12_GLOBAL__N_18offset_tEEE10hipError_tPvRmT1_PNSt15iterator_traitsIS12_E10value_typeET2_T3_PNS13_IS18_E10value_typeET4_jRbjT5_S1E_jjP12ihipStream_tbEUljE_ZNSN_ISO_Lb0ESQ_SR_ST_SU_SY_EESZ_S10_S11_S12_S16_S17_S18_S1B_S1C_jS1D_jS1E_S1E_jjS1G_bEUljE0_EEESZ_S10_S11_S18_S1C_S1E_T6_T7_T9_mT8_S1G_bDpT10_ENKUlT_T0_E_clISt17integral_constantIbLb1EES1T_IbLb0EEEEDaS1P_S1Q_EUlS1P_E_NS1_11comp_targetILNS1_3genE0ELNS1_11target_archE4294967295ELNS1_3gpuE0ELNS1_3repE0EEENS1_30default_config_static_selectorELNS0_4arch9wavefront6targetE0EEEvS12_: ; @_ZN7rocprim17ROCPRIM_400000_NS6detail17trampoline_kernelINS0_13select_configILj256ELj13ELNS0_17block_load_methodE3ELS4_3ELS4_3ELNS0_20block_scan_algorithmE0ELj4294967295EEENS1_25partition_config_selectorILNS1_17partition_subalgoE4EjNS0_10empty_typeEbEEZZNS1_14partition_implILS8_4ELb0ES6_15HIP_vector_typeIjLj2EENS0_17counting_iteratorIjlEEPS9_SG_NS0_5tupleIJPjSI_NS0_16reverse_iteratorISI_EEEEENSH_IJSG_SG_SG_EEES9_SI_JZNS1_25segmented_radix_sort_implINS0_14default_configELb0EPKiPiPKlPlN2at6native12_GLOBAL__N_18offset_tEEE10hipError_tPvRmT1_PNSt15iterator_traitsIS12_E10value_typeET2_T3_PNS13_IS18_E10value_typeET4_jRbjT5_S1E_jjP12ihipStream_tbEUljE_ZNSN_ISO_Lb0ESQ_SR_ST_SU_SY_EESZ_S10_S11_S12_S16_S17_S18_S1B_S1C_jS1D_jS1E_S1E_jjS1G_bEUljE0_EEESZ_S10_S11_S18_S1C_S1E_T6_T7_T9_mT8_S1G_bDpT10_ENKUlT_T0_E_clISt17integral_constantIbLb1EES1T_IbLb0EEEEDaS1P_S1Q_EUlS1P_E_NS1_11comp_targetILNS1_3genE0ELNS1_11target_archE4294967295ELNS1_3gpuE0ELNS1_3repE0EEENS1_30default_config_static_selectorELNS0_4arch9wavefront6targetE0EEEvS12_
; %bb.0:
	.section	.rodata,"a",@progbits
	.p2align	6, 0x0
	.amdhsa_kernel _ZN7rocprim17ROCPRIM_400000_NS6detail17trampoline_kernelINS0_13select_configILj256ELj13ELNS0_17block_load_methodE3ELS4_3ELS4_3ELNS0_20block_scan_algorithmE0ELj4294967295EEENS1_25partition_config_selectorILNS1_17partition_subalgoE4EjNS0_10empty_typeEbEEZZNS1_14partition_implILS8_4ELb0ES6_15HIP_vector_typeIjLj2EENS0_17counting_iteratorIjlEEPS9_SG_NS0_5tupleIJPjSI_NS0_16reverse_iteratorISI_EEEEENSH_IJSG_SG_SG_EEES9_SI_JZNS1_25segmented_radix_sort_implINS0_14default_configELb0EPKiPiPKlPlN2at6native12_GLOBAL__N_18offset_tEEE10hipError_tPvRmT1_PNSt15iterator_traitsIS12_E10value_typeET2_T3_PNS13_IS18_E10value_typeET4_jRbjT5_S1E_jjP12ihipStream_tbEUljE_ZNSN_ISO_Lb0ESQ_SR_ST_SU_SY_EESZ_S10_S11_S12_S16_S17_S18_S1B_S1C_jS1D_jS1E_S1E_jjS1G_bEUljE0_EEESZ_S10_S11_S18_S1C_S1E_T6_T7_T9_mT8_S1G_bDpT10_ENKUlT_T0_E_clISt17integral_constantIbLb1EES1T_IbLb0EEEEDaS1P_S1Q_EUlS1P_E_NS1_11comp_targetILNS1_3genE0ELNS1_11target_archE4294967295ELNS1_3gpuE0ELNS1_3repE0EEENS1_30default_config_static_selectorELNS0_4arch9wavefront6targetE0EEEvS12_
		.amdhsa_group_segment_fixed_size 0
		.amdhsa_private_segment_fixed_size 0
		.amdhsa_kernarg_size 176
		.amdhsa_user_sgpr_count 15
		.amdhsa_user_sgpr_dispatch_ptr 0
		.amdhsa_user_sgpr_queue_ptr 0
		.amdhsa_user_sgpr_kernarg_segment_ptr 1
		.amdhsa_user_sgpr_dispatch_id 0
		.amdhsa_user_sgpr_private_segment_size 0
		.amdhsa_wavefront_size32 1
		.amdhsa_uses_dynamic_stack 0
		.amdhsa_enable_private_segment 0
		.amdhsa_system_sgpr_workgroup_id_x 1
		.amdhsa_system_sgpr_workgroup_id_y 0
		.amdhsa_system_sgpr_workgroup_id_z 0
		.amdhsa_system_sgpr_workgroup_info 0
		.amdhsa_system_vgpr_workitem_id 0
		.amdhsa_next_free_vgpr 1
		.amdhsa_next_free_sgpr 1
		.amdhsa_reserve_vcc 0
		.amdhsa_float_round_mode_32 0
		.amdhsa_float_round_mode_16_64 0
		.amdhsa_float_denorm_mode_32 3
		.amdhsa_float_denorm_mode_16_64 3
		.amdhsa_dx10_clamp 1
		.amdhsa_ieee_mode 1
		.amdhsa_fp16_overflow 0
		.amdhsa_workgroup_processor_mode 1
		.amdhsa_memory_ordered 1
		.amdhsa_forward_progress 0
		.amdhsa_shared_vgpr_count 0
		.amdhsa_exception_fp_ieee_invalid_op 0
		.amdhsa_exception_fp_denorm_src 0
		.amdhsa_exception_fp_ieee_div_zero 0
		.amdhsa_exception_fp_ieee_overflow 0
		.amdhsa_exception_fp_ieee_underflow 0
		.amdhsa_exception_fp_ieee_inexact 0
		.amdhsa_exception_int_div_zero 0
	.end_amdhsa_kernel
	.section	.text._ZN7rocprim17ROCPRIM_400000_NS6detail17trampoline_kernelINS0_13select_configILj256ELj13ELNS0_17block_load_methodE3ELS4_3ELS4_3ELNS0_20block_scan_algorithmE0ELj4294967295EEENS1_25partition_config_selectorILNS1_17partition_subalgoE4EjNS0_10empty_typeEbEEZZNS1_14partition_implILS8_4ELb0ES6_15HIP_vector_typeIjLj2EENS0_17counting_iteratorIjlEEPS9_SG_NS0_5tupleIJPjSI_NS0_16reverse_iteratorISI_EEEEENSH_IJSG_SG_SG_EEES9_SI_JZNS1_25segmented_radix_sort_implINS0_14default_configELb0EPKiPiPKlPlN2at6native12_GLOBAL__N_18offset_tEEE10hipError_tPvRmT1_PNSt15iterator_traitsIS12_E10value_typeET2_T3_PNS13_IS18_E10value_typeET4_jRbjT5_S1E_jjP12ihipStream_tbEUljE_ZNSN_ISO_Lb0ESQ_SR_ST_SU_SY_EESZ_S10_S11_S12_S16_S17_S18_S1B_S1C_jS1D_jS1E_S1E_jjS1G_bEUljE0_EEESZ_S10_S11_S18_S1C_S1E_T6_T7_T9_mT8_S1G_bDpT10_ENKUlT_T0_E_clISt17integral_constantIbLb1EES1T_IbLb0EEEEDaS1P_S1Q_EUlS1P_E_NS1_11comp_targetILNS1_3genE0ELNS1_11target_archE4294967295ELNS1_3gpuE0ELNS1_3repE0EEENS1_30default_config_static_selectorELNS0_4arch9wavefront6targetE0EEEvS12_,"axG",@progbits,_ZN7rocprim17ROCPRIM_400000_NS6detail17trampoline_kernelINS0_13select_configILj256ELj13ELNS0_17block_load_methodE3ELS4_3ELS4_3ELNS0_20block_scan_algorithmE0ELj4294967295EEENS1_25partition_config_selectorILNS1_17partition_subalgoE4EjNS0_10empty_typeEbEEZZNS1_14partition_implILS8_4ELb0ES6_15HIP_vector_typeIjLj2EENS0_17counting_iteratorIjlEEPS9_SG_NS0_5tupleIJPjSI_NS0_16reverse_iteratorISI_EEEEENSH_IJSG_SG_SG_EEES9_SI_JZNS1_25segmented_radix_sort_implINS0_14default_configELb0EPKiPiPKlPlN2at6native12_GLOBAL__N_18offset_tEEE10hipError_tPvRmT1_PNSt15iterator_traitsIS12_E10value_typeET2_T3_PNS13_IS18_E10value_typeET4_jRbjT5_S1E_jjP12ihipStream_tbEUljE_ZNSN_ISO_Lb0ESQ_SR_ST_SU_SY_EESZ_S10_S11_S12_S16_S17_S18_S1B_S1C_jS1D_jS1E_S1E_jjS1G_bEUljE0_EEESZ_S10_S11_S18_S1C_S1E_T6_T7_T9_mT8_S1G_bDpT10_ENKUlT_T0_E_clISt17integral_constantIbLb1EES1T_IbLb0EEEEDaS1P_S1Q_EUlS1P_E_NS1_11comp_targetILNS1_3genE0ELNS1_11target_archE4294967295ELNS1_3gpuE0ELNS1_3repE0EEENS1_30default_config_static_selectorELNS0_4arch9wavefront6targetE0EEEvS12_,comdat
.Lfunc_end552:
	.size	_ZN7rocprim17ROCPRIM_400000_NS6detail17trampoline_kernelINS0_13select_configILj256ELj13ELNS0_17block_load_methodE3ELS4_3ELS4_3ELNS0_20block_scan_algorithmE0ELj4294967295EEENS1_25partition_config_selectorILNS1_17partition_subalgoE4EjNS0_10empty_typeEbEEZZNS1_14partition_implILS8_4ELb0ES6_15HIP_vector_typeIjLj2EENS0_17counting_iteratorIjlEEPS9_SG_NS0_5tupleIJPjSI_NS0_16reverse_iteratorISI_EEEEENSH_IJSG_SG_SG_EEES9_SI_JZNS1_25segmented_radix_sort_implINS0_14default_configELb0EPKiPiPKlPlN2at6native12_GLOBAL__N_18offset_tEEE10hipError_tPvRmT1_PNSt15iterator_traitsIS12_E10value_typeET2_T3_PNS13_IS18_E10value_typeET4_jRbjT5_S1E_jjP12ihipStream_tbEUljE_ZNSN_ISO_Lb0ESQ_SR_ST_SU_SY_EESZ_S10_S11_S12_S16_S17_S18_S1B_S1C_jS1D_jS1E_S1E_jjS1G_bEUljE0_EEESZ_S10_S11_S18_S1C_S1E_T6_T7_T9_mT8_S1G_bDpT10_ENKUlT_T0_E_clISt17integral_constantIbLb1EES1T_IbLb0EEEEDaS1P_S1Q_EUlS1P_E_NS1_11comp_targetILNS1_3genE0ELNS1_11target_archE4294967295ELNS1_3gpuE0ELNS1_3repE0EEENS1_30default_config_static_selectorELNS0_4arch9wavefront6targetE0EEEvS12_, .Lfunc_end552-_ZN7rocprim17ROCPRIM_400000_NS6detail17trampoline_kernelINS0_13select_configILj256ELj13ELNS0_17block_load_methodE3ELS4_3ELS4_3ELNS0_20block_scan_algorithmE0ELj4294967295EEENS1_25partition_config_selectorILNS1_17partition_subalgoE4EjNS0_10empty_typeEbEEZZNS1_14partition_implILS8_4ELb0ES6_15HIP_vector_typeIjLj2EENS0_17counting_iteratorIjlEEPS9_SG_NS0_5tupleIJPjSI_NS0_16reverse_iteratorISI_EEEEENSH_IJSG_SG_SG_EEES9_SI_JZNS1_25segmented_radix_sort_implINS0_14default_configELb0EPKiPiPKlPlN2at6native12_GLOBAL__N_18offset_tEEE10hipError_tPvRmT1_PNSt15iterator_traitsIS12_E10value_typeET2_T3_PNS13_IS18_E10value_typeET4_jRbjT5_S1E_jjP12ihipStream_tbEUljE_ZNSN_ISO_Lb0ESQ_SR_ST_SU_SY_EESZ_S10_S11_S12_S16_S17_S18_S1B_S1C_jS1D_jS1E_S1E_jjS1G_bEUljE0_EEESZ_S10_S11_S18_S1C_S1E_T6_T7_T9_mT8_S1G_bDpT10_ENKUlT_T0_E_clISt17integral_constantIbLb1EES1T_IbLb0EEEEDaS1P_S1Q_EUlS1P_E_NS1_11comp_targetILNS1_3genE0ELNS1_11target_archE4294967295ELNS1_3gpuE0ELNS1_3repE0EEENS1_30default_config_static_selectorELNS0_4arch9wavefront6targetE0EEEvS12_
                                        ; -- End function
	.section	.AMDGPU.csdata,"",@progbits
; Kernel info:
; codeLenInByte = 0
; NumSgprs: 0
; NumVgprs: 0
; ScratchSize: 0
; MemoryBound: 0
; FloatMode: 240
; IeeeMode: 1
; LDSByteSize: 0 bytes/workgroup (compile time only)
; SGPRBlocks: 0
; VGPRBlocks: 0
; NumSGPRsForWavesPerEU: 1
; NumVGPRsForWavesPerEU: 1
; Occupancy: 16
; WaveLimiterHint : 0
; COMPUTE_PGM_RSRC2:SCRATCH_EN: 0
; COMPUTE_PGM_RSRC2:USER_SGPR: 15
; COMPUTE_PGM_RSRC2:TRAP_HANDLER: 0
; COMPUTE_PGM_RSRC2:TGID_X_EN: 1
; COMPUTE_PGM_RSRC2:TGID_Y_EN: 0
; COMPUTE_PGM_RSRC2:TGID_Z_EN: 0
; COMPUTE_PGM_RSRC2:TIDIG_COMP_CNT: 0
	.section	.text._ZN7rocprim17ROCPRIM_400000_NS6detail17trampoline_kernelINS0_13select_configILj256ELj13ELNS0_17block_load_methodE3ELS4_3ELS4_3ELNS0_20block_scan_algorithmE0ELj4294967295EEENS1_25partition_config_selectorILNS1_17partition_subalgoE4EjNS0_10empty_typeEbEEZZNS1_14partition_implILS8_4ELb0ES6_15HIP_vector_typeIjLj2EENS0_17counting_iteratorIjlEEPS9_SG_NS0_5tupleIJPjSI_NS0_16reverse_iteratorISI_EEEEENSH_IJSG_SG_SG_EEES9_SI_JZNS1_25segmented_radix_sort_implINS0_14default_configELb0EPKiPiPKlPlN2at6native12_GLOBAL__N_18offset_tEEE10hipError_tPvRmT1_PNSt15iterator_traitsIS12_E10value_typeET2_T3_PNS13_IS18_E10value_typeET4_jRbjT5_S1E_jjP12ihipStream_tbEUljE_ZNSN_ISO_Lb0ESQ_SR_ST_SU_SY_EESZ_S10_S11_S12_S16_S17_S18_S1B_S1C_jS1D_jS1E_S1E_jjS1G_bEUljE0_EEESZ_S10_S11_S18_S1C_S1E_T6_T7_T9_mT8_S1G_bDpT10_ENKUlT_T0_E_clISt17integral_constantIbLb1EES1T_IbLb0EEEEDaS1P_S1Q_EUlS1P_E_NS1_11comp_targetILNS1_3genE5ELNS1_11target_archE942ELNS1_3gpuE9ELNS1_3repE0EEENS1_30default_config_static_selectorELNS0_4arch9wavefront6targetE0EEEvS12_,"axG",@progbits,_ZN7rocprim17ROCPRIM_400000_NS6detail17trampoline_kernelINS0_13select_configILj256ELj13ELNS0_17block_load_methodE3ELS4_3ELS4_3ELNS0_20block_scan_algorithmE0ELj4294967295EEENS1_25partition_config_selectorILNS1_17partition_subalgoE4EjNS0_10empty_typeEbEEZZNS1_14partition_implILS8_4ELb0ES6_15HIP_vector_typeIjLj2EENS0_17counting_iteratorIjlEEPS9_SG_NS0_5tupleIJPjSI_NS0_16reverse_iteratorISI_EEEEENSH_IJSG_SG_SG_EEES9_SI_JZNS1_25segmented_radix_sort_implINS0_14default_configELb0EPKiPiPKlPlN2at6native12_GLOBAL__N_18offset_tEEE10hipError_tPvRmT1_PNSt15iterator_traitsIS12_E10value_typeET2_T3_PNS13_IS18_E10value_typeET4_jRbjT5_S1E_jjP12ihipStream_tbEUljE_ZNSN_ISO_Lb0ESQ_SR_ST_SU_SY_EESZ_S10_S11_S12_S16_S17_S18_S1B_S1C_jS1D_jS1E_S1E_jjS1G_bEUljE0_EEESZ_S10_S11_S18_S1C_S1E_T6_T7_T9_mT8_S1G_bDpT10_ENKUlT_T0_E_clISt17integral_constantIbLb1EES1T_IbLb0EEEEDaS1P_S1Q_EUlS1P_E_NS1_11comp_targetILNS1_3genE5ELNS1_11target_archE942ELNS1_3gpuE9ELNS1_3repE0EEENS1_30default_config_static_selectorELNS0_4arch9wavefront6targetE0EEEvS12_,comdat
	.globl	_ZN7rocprim17ROCPRIM_400000_NS6detail17trampoline_kernelINS0_13select_configILj256ELj13ELNS0_17block_load_methodE3ELS4_3ELS4_3ELNS0_20block_scan_algorithmE0ELj4294967295EEENS1_25partition_config_selectorILNS1_17partition_subalgoE4EjNS0_10empty_typeEbEEZZNS1_14partition_implILS8_4ELb0ES6_15HIP_vector_typeIjLj2EENS0_17counting_iteratorIjlEEPS9_SG_NS0_5tupleIJPjSI_NS0_16reverse_iteratorISI_EEEEENSH_IJSG_SG_SG_EEES9_SI_JZNS1_25segmented_radix_sort_implINS0_14default_configELb0EPKiPiPKlPlN2at6native12_GLOBAL__N_18offset_tEEE10hipError_tPvRmT1_PNSt15iterator_traitsIS12_E10value_typeET2_T3_PNS13_IS18_E10value_typeET4_jRbjT5_S1E_jjP12ihipStream_tbEUljE_ZNSN_ISO_Lb0ESQ_SR_ST_SU_SY_EESZ_S10_S11_S12_S16_S17_S18_S1B_S1C_jS1D_jS1E_S1E_jjS1G_bEUljE0_EEESZ_S10_S11_S18_S1C_S1E_T6_T7_T9_mT8_S1G_bDpT10_ENKUlT_T0_E_clISt17integral_constantIbLb1EES1T_IbLb0EEEEDaS1P_S1Q_EUlS1P_E_NS1_11comp_targetILNS1_3genE5ELNS1_11target_archE942ELNS1_3gpuE9ELNS1_3repE0EEENS1_30default_config_static_selectorELNS0_4arch9wavefront6targetE0EEEvS12_ ; -- Begin function _ZN7rocprim17ROCPRIM_400000_NS6detail17trampoline_kernelINS0_13select_configILj256ELj13ELNS0_17block_load_methodE3ELS4_3ELS4_3ELNS0_20block_scan_algorithmE0ELj4294967295EEENS1_25partition_config_selectorILNS1_17partition_subalgoE4EjNS0_10empty_typeEbEEZZNS1_14partition_implILS8_4ELb0ES6_15HIP_vector_typeIjLj2EENS0_17counting_iteratorIjlEEPS9_SG_NS0_5tupleIJPjSI_NS0_16reverse_iteratorISI_EEEEENSH_IJSG_SG_SG_EEES9_SI_JZNS1_25segmented_radix_sort_implINS0_14default_configELb0EPKiPiPKlPlN2at6native12_GLOBAL__N_18offset_tEEE10hipError_tPvRmT1_PNSt15iterator_traitsIS12_E10value_typeET2_T3_PNS13_IS18_E10value_typeET4_jRbjT5_S1E_jjP12ihipStream_tbEUljE_ZNSN_ISO_Lb0ESQ_SR_ST_SU_SY_EESZ_S10_S11_S12_S16_S17_S18_S1B_S1C_jS1D_jS1E_S1E_jjS1G_bEUljE0_EEESZ_S10_S11_S18_S1C_S1E_T6_T7_T9_mT8_S1G_bDpT10_ENKUlT_T0_E_clISt17integral_constantIbLb1EES1T_IbLb0EEEEDaS1P_S1Q_EUlS1P_E_NS1_11comp_targetILNS1_3genE5ELNS1_11target_archE942ELNS1_3gpuE9ELNS1_3repE0EEENS1_30default_config_static_selectorELNS0_4arch9wavefront6targetE0EEEvS12_
	.p2align	8
	.type	_ZN7rocprim17ROCPRIM_400000_NS6detail17trampoline_kernelINS0_13select_configILj256ELj13ELNS0_17block_load_methodE3ELS4_3ELS4_3ELNS0_20block_scan_algorithmE0ELj4294967295EEENS1_25partition_config_selectorILNS1_17partition_subalgoE4EjNS0_10empty_typeEbEEZZNS1_14partition_implILS8_4ELb0ES6_15HIP_vector_typeIjLj2EENS0_17counting_iteratorIjlEEPS9_SG_NS0_5tupleIJPjSI_NS0_16reverse_iteratorISI_EEEEENSH_IJSG_SG_SG_EEES9_SI_JZNS1_25segmented_radix_sort_implINS0_14default_configELb0EPKiPiPKlPlN2at6native12_GLOBAL__N_18offset_tEEE10hipError_tPvRmT1_PNSt15iterator_traitsIS12_E10value_typeET2_T3_PNS13_IS18_E10value_typeET4_jRbjT5_S1E_jjP12ihipStream_tbEUljE_ZNSN_ISO_Lb0ESQ_SR_ST_SU_SY_EESZ_S10_S11_S12_S16_S17_S18_S1B_S1C_jS1D_jS1E_S1E_jjS1G_bEUljE0_EEESZ_S10_S11_S18_S1C_S1E_T6_T7_T9_mT8_S1G_bDpT10_ENKUlT_T0_E_clISt17integral_constantIbLb1EES1T_IbLb0EEEEDaS1P_S1Q_EUlS1P_E_NS1_11comp_targetILNS1_3genE5ELNS1_11target_archE942ELNS1_3gpuE9ELNS1_3repE0EEENS1_30default_config_static_selectorELNS0_4arch9wavefront6targetE0EEEvS12_,@function
_ZN7rocprim17ROCPRIM_400000_NS6detail17trampoline_kernelINS0_13select_configILj256ELj13ELNS0_17block_load_methodE3ELS4_3ELS4_3ELNS0_20block_scan_algorithmE0ELj4294967295EEENS1_25partition_config_selectorILNS1_17partition_subalgoE4EjNS0_10empty_typeEbEEZZNS1_14partition_implILS8_4ELb0ES6_15HIP_vector_typeIjLj2EENS0_17counting_iteratorIjlEEPS9_SG_NS0_5tupleIJPjSI_NS0_16reverse_iteratorISI_EEEEENSH_IJSG_SG_SG_EEES9_SI_JZNS1_25segmented_radix_sort_implINS0_14default_configELb0EPKiPiPKlPlN2at6native12_GLOBAL__N_18offset_tEEE10hipError_tPvRmT1_PNSt15iterator_traitsIS12_E10value_typeET2_T3_PNS13_IS18_E10value_typeET4_jRbjT5_S1E_jjP12ihipStream_tbEUljE_ZNSN_ISO_Lb0ESQ_SR_ST_SU_SY_EESZ_S10_S11_S12_S16_S17_S18_S1B_S1C_jS1D_jS1E_S1E_jjS1G_bEUljE0_EEESZ_S10_S11_S18_S1C_S1E_T6_T7_T9_mT8_S1G_bDpT10_ENKUlT_T0_E_clISt17integral_constantIbLb1EES1T_IbLb0EEEEDaS1P_S1Q_EUlS1P_E_NS1_11comp_targetILNS1_3genE5ELNS1_11target_archE942ELNS1_3gpuE9ELNS1_3repE0EEENS1_30default_config_static_selectorELNS0_4arch9wavefront6targetE0EEEvS12_: ; @_ZN7rocprim17ROCPRIM_400000_NS6detail17trampoline_kernelINS0_13select_configILj256ELj13ELNS0_17block_load_methodE3ELS4_3ELS4_3ELNS0_20block_scan_algorithmE0ELj4294967295EEENS1_25partition_config_selectorILNS1_17partition_subalgoE4EjNS0_10empty_typeEbEEZZNS1_14partition_implILS8_4ELb0ES6_15HIP_vector_typeIjLj2EENS0_17counting_iteratorIjlEEPS9_SG_NS0_5tupleIJPjSI_NS0_16reverse_iteratorISI_EEEEENSH_IJSG_SG_SG_EEES9_SI_JZNS1_25segmented_radix_sort_implINS0_14default_configELb0EPKiPiPKlPlN2at6native12_GLOBAL__N_18offset_tEEE10hipError_tPvRmT1_PNSt15iterator_traitsIS12_E10value_typeET2_T3_PNS13_IS18_E10value_typeET4_jRbjT5_S1E_jjP12ihipStream_tbEUljE_ZNSN_ISO_Lb0ESQ_SR_ST_SU_SY_EESZ_S10_S11_S12_S16_S17_S18_S1B_S1C_jS1D_jS1E_S1E_jjS1G_bEUljE0_EEESZ_S10_S11_S18_S1C_S1E_T6_T7_T9_mT8_S1G_bDpT10_ENKUlT_T0_E_clISt17integral_constantIbLb1EES1T_IbLb0EEEEDaS1P_S1Q_EUlS1P_E_NS1_11comp_targetILNS1_3genE5ELNS1_11target_archE942ELNS1_3gpuE9ELNS1_3repE0EEENS1_30default_config_static_selectorELNS0_4arch9wavefront6targetE0EEEvS12_
; %bb.0:
	.section	.rodata,"a",@progbits
	.p2align	6, 0x0
	.amdhsa_kernel _ZN7rocprim17ROCPRIM_400000_NS6detail17trampoline_kernelINS0_13select_configILj256ELj13ELNS0_17block_load_methodE3ELS4_3ELS4_3ELNS0_20block_scan_algorithmE0ELj4294967295EEENS1_25partition_config_selectorILNS1_17partition_subalgoE4EjNS0_10empty_typeEbEEZZNS1_14partition_implILS8_4ELb0ES6_15HIP_vector_typeIjLj2EENS0_17counting_iteratorIjlEEPS9_SG_NS0_5tupleIJPjSI_NS0_16reverse_iteratorISI_EEEEENSH_IJSG_SG_SG_EEES9_SI_JZNS1_25segmented_radix_sort_implINS0_14default_configELb0EPKiPiPKlPlN2at6native12_GLOBAL__N_18offset_tEEE10hipError_tPvRmT1_PNSt15iterator_traitsIS12_E10value_typeET2_T3_PNS13_IS18_E10value_typeET4_jRbjT5_S1E_jjP12ihipStream_tbEUljE_ZNSN_ISO_Lb0ESQ_SR_ST_SU_SY_EESZ_S10_S11_S12_S16_S17_S18_S1B_S1C_jS1D_jS1E_S1E_jjS1G_bEUljE0_EEESZ_S10_S11_S18_S1C_S1E_T6_T7_T9_mT8_S1G_bDpT10_ENKUlT_T0_E_clISt17integral_constantIbLb1EES1T_IbLb0EEEEDaS1P_S1Q_EUlS1P_E_NS1_11comp_targetILNS1_3genE5ELNS1_11target_archE942ELNS1_3gpuE9ELNS1_3repE0EEENS1_30default_config_static_selectorELNS0_4arch9wavefront6targetE0EEEvS12_
		.amdhsa_group_segment_fixed_size 0
		.amdhsa_private_segment_fixed_size 0
		.amdhsa_kernarg_size 176
		.amdhsa_user_sgpr_count 15
		.amdhsa_user_sgpr_dispatch_ptr 0
		.amdhsa_user_sgpr_queue_ptr 0
		.amdhsa_user_sgpr_kernarg_segment_ptr 1
		.amdhsa_user_sgpr_dispatch_id 0
		.amdhsa_user_sgpr_private_segment_size 0
		.amdhsa_wavefront_size32 1
		.amdhsa_uses_dynamic_stack 0
		.amdhsa_enable_private_segment 0
		.amdhsa_system_sgpr_workgroup_id_x 1
		.amdhsa_system_sgpr_workgroup_id_y 0
		.amdhsa_system_sgpr_workgroup_id_z 0
		.amdhsa_system_sgpr_workgroup_info 0
		.amdhsa_system_vgpr_workitem_id 0
		.amdhsa_next_free_vgpr 1
		.amdhsa_next_free_sgpr 1
		.amdhsa_reserve_vcc 0
		.amdhsa_float_round_mode_32 0
		.amdhsa_float_round_mode_16_64 0
		.amdhsa_float_denorm_mode_32 3
		.amdhsa_float_denorm_mode_16_64 3
		.amdhsa_dx10_clamp 1
		.amdhsa_ieee_mode 1
		.amdhsa_fp16_overflow 0
		.amdhsa_workgroup_processor_mode 1
		.amdhsa_memory_ordered 1
		.amdhsa_forward_progress 0
		.amdhsa_shared_vgpr_count 0
		.amdhsa_exception_fp_ieee_invalid_op 0
		.amdhsa_exception_fp_denorm_src 0
		.amdhsa_exception_fp_ieee_div_zero 0
		.amdhsa_exception_fp_ieee_overflow 0
		.amdhsa_exception_fp_ieee_underflow 0
		.amdhsa_exception_fp_ieee_inexact 0
		.amdhsa_exception_int_div_zero 0
	.end_amdhsa_kernel
	.section	.text._ZN7rocprim17ROCPRIM_400000_NS6detail17trampoline_kernelINS0_13select_configILj256ELj13ELNS0_17block_load_methodE3ELS4_3ELS4_3ELNS0_20block_scan_algorithmE0ELj4294967295EEENS1_25partition_config_selectorILNS1_17partition_subalgoE4EjNS0_10empty_typeEbEEZZNS1_14partition_implILS8_4ELb0ES6_15HIP_vector_typeIjLj2EENS0_17counting_iteratorIjlEEPS9_SG_NS0_5tupleIJPjSI_NS0_16reverse_iteratorISI_EEEEENSH_IJSG_SG_SG_EEES9_SI_JZNS1_25segmented_radix_sort_implINS0_14default_configELb0EPKiPiPKlPlN2at6native12_GLOBAL__N_18offset_tEEE10hipError_tPvRmT1_PNSt15iterator_traitsIS12_E10value_typeET2_T3_PNS13_IS18_E10value_typeET4_jRbjT5_S1E_jjP12ihipStream_tbEUljE_ZNSN_ISO_Lb0ESQ_SR_ST_SU_SY_EESZ_S10_S11_S12_S16_S17_S18_S1B_S1C_jS1D_jS1E_S1E_jjS1G_bEUljE0_EEESZ_S10_S11_S18_S1C_S1E_T6_T7_T9_mT8_S1G_bDpT10_ENKUlT_T0_E_clISt17integral_constantIbLb1EES1T_IbLb0EEEEDaS1P_S1Q_EUlS1P_E_NS1_11comp_targetILNS1_3genE5ELNS1_11target_archE942ELNS1_3gpuE9ELNS1_3repE0EEENS1_30default_config_static_selectorELNS0_4arch9wavefront6targetE0EEEvS12_,"axG",@progbits,_ZN7rocprim17ROCPRIM_400000_NS6detail17trampoline_kernelINS0_13select_configILj256ELj13ELNS0_17block_load_methodE3ELS4_3ELS4_3ELNS0_20block_scan_algorithmE0ELj4294967295EEENS1_25partition_config_selectorILNS1_17partition_subalgoE4EjNS0_10empty_typeEbEEZZNS1_14partition_implILS8_4ELb0ES6_15HIP_vector_typeIjLj2EENS0_17counting_iteratorIjlEEPS9_SG_NS0_5tupleIJPjSI_NS0_16reverse_iteratorISI_EEEEENSH_IJSG_SG_SG_EEES9_SI_JZNS1_25segmented_radix_sort_implINS0_14default_configELb0EPKiPiPKlPlN2at6native12_GLOBAL__N_18offset_tEEE10hipError_tPvRmT1_PNSt15iterator_traitsIS12_E10value_typeET2_T3_PNS13_IS18_E10value_typeET4_jRbjT5_S1E_jjP12ihipStream_tbEUljE_ZNSN_ISO_Lb0ESQ_SR_ST_SU_SY_EESZ_S10_S11_S12_S16_S17_S18_S1B_S1C_jS1D_jS1E_S1E_jjS1G_bEUljE0_EEESZ_S10_S11_S18_S1C_S1E_T6_T7_T9_mT8_S1G_bDpT10_ENKUlT_T0_E_clISt17integral_constantIbLb1EES1T_IbLb0EEEEDaS1P_S1Q_EUlS1P_E_NS1_11comp_targetILNS1_3genE5ELNS1_11target_archE942ELNS1_3gpuE9ELNS1_3repE0EEENS1_30default_config_static_selectorELNS0_4arch9wavefront6targetE0EEEvS12_,comdat
.Lfunc_end553:
	.size	_ZN7rocprim17ROCPRIM_400000_NS6detail17trampoline_kernelINS0_13select_configILj256ELj13ELNS0_17block_load_methodE3ELS4_3ELS4_3ELNS0_20block_scan_algorithmE0ELj4294967295EEENS1_25partition_config_selectorILNS1_17partition_subalgoE4EjNS0_10empty_typeEbEEZZNS1_14partition_implILS8_4ELb0ES6_15HIP_vector_typeIjLj2EENS0_17counting_iteratorIjlEEPS9_SG_NS0_5tupleIJPjSI_NS0_16reverse_iteratorISI_EEEEENSH_IJSG_SG_SG_EEES9_SI_JZNS1_25segmented_radix_sort_implINS0_14default_configELb0EPKiPiPKlPlN2at6native12_GLOBAL__N_18offset_tEEE10hipError_tPvRmT1_PNSt15iterator_traitsIS12_E10value_typeET2_T3_PNS13_IS18_E10value_typeET4_jRbjT5_S1E_jjP12ihipStream_tbEUljE_ZNSN_ISO_Lb0ESQ_SR_ST_SU_SY_EESZ_S10_S11_S12_S16_S17_S18_S1B_S1C_jS1D_jS1E_S1E_jjS1G_bEUljE0_EEESZ_S10_S11_S18_S1C_S1E_T6_T7_T9_mT8_S1G_bDpT10_ENKUlT_T0_E_clISt17integral_constantIbLb1EES1T_IbLb0EEEEDaS1P_S1Q_EUlS1P_E_NS1_11comp_targetILNS1_3genE5ELNS1_11target_archE942ELNS1_3gpuE9ELNS1_3repE0EEENS1_30default_config_static_selectorELNS0_4arch9wavefront6targetE0EEEvS12_, .Lfunc_end553-_ZN7rocprim17ROCPRIM_400000_NS6detail17trampoline_kernelINS0_13select_configILj256ELj13ELNS0_17block_load_methodE3ELS4_3ELS4_3ELNS0_20block_scan_algorithmE0ELj4294967295EEENS1_25partition_config_selectorILNS1_17partition_subalgoE4EjNS0_10empty_typeEbEEZZNS1_14partition_implILS8_4ELb0ES6_15HIP_vector_typeIjLj2EENS0_17counting_iteratorIjlEEPS9_SG_NS0_5tupleIJPjSI_NS0_16reverse_iteratorISI_EEEEENSH_IJSG_SG_SG_EEES9_SI_JZNS1_25segmented_radix_sort_implINS0_14default_configELb0EPKiPiPKlPlN2at6native12_GLOBAL__N_18offset_tEEE10hipError_tPvRmT1_PNSt15iterator_traitsIS12_E10value_typeET2_T3_PNS13_IS18_E10value_typeET4_jRbjT5_S1E_jjP12ihipStream_tbEUljE_ZNSN_ISO_Lb0ESQ_SR_ST_SU_SY_EESZ_S10_S11_S12_S16_S17_S18_S1B_S1C_jS1D_jS1E_S1E_jjS1G_bEUljE0_EEESZ_S10_S11_S18_S1C_S1E_T6_T7_T9_mT8_S1G_bDpT10_ENKUlT_T0_E_clISt17integral_constantIbLb1EES1T_IbLb0EEEEDaS1P_S1Q_EUlS1P_E_NS1_11comp_targetILNS1_3genE5ELNS1_11target_archE942ELNS1_3gpuE9ELNS1_3repE0EEENS1_30default_config_static_selectorELNS0_4arch9wavefront6targetE0EEEvS12_
                                        ; -- End function
	.section	.AMDGPU.csdata,"",@progbits
; Kernel info:
; codeLenInByte = 0
; NumSgprs: 0
; NumVgprs: 0
; ScratchSize: 0
; MemoryBound: 0
; FloatMode: 240
; IeeeMode: 1
; LDSByteSize: 0 bytes/workgroup (compile time only)
; SGPRBlocks: 0
; VGPRBlocks: 0
; NumSGPRsForWavesPerEU: 1
; NumVGPRsForWavesPerEU: 1
; Occupancy: 16
; WaveLimiterHint : 0
; COMPUTE_PGM_RSRC2:SCRATCH_EN: 0
; COMPUTE_PGM_RSRC2:USER_SGPR: 15
; COMPUTE_PGM_RSRC2:TRAP_HANDLER: 0
; COMPUTE_PGM_RSRC2:TGID_X_EN: 1
; COMPUTE_PGM_RSRC2:TGID_Y_EN: 0
; COMPUTE_PGM_RSRC2:TGID_Z_EN: 0
; COMPUTE_PGM_RSRC2:TIDIG_COMP_CNT: 0
	.section	.text._ZN7rocprim17ROCPRIM_400000_NS6detail17trampoline_kernelINS0_13select_configILj256ELj13ELNS0_17block_load_methodE3ELS4_3ELS4_3ELNS0_20block_scan_algorithmE0ELj4294967295EEENS1_25partition_config_selectorILNS1_17partition_subalgoE4EjNS0_10empty_typeEbEEZZNS1_14partition_implILS8_4ELb0ES6_15HIP_vector_typeIjLj2EENS0_17counting_iteratorIjlEEPS9_SG_NS0_5tupleIJPjSI_NS0_16reverse_iteratorISI_EEEEENSH_IJSG_SG_SG_EEES9_SI_JZNS1_25segmented_radix_sort_implINS0_14default_configELb0EPKiPiPKlPlN2at6native12_GLOBAL__N_18offset_tEEE10hipError_tPvRmT1_PNSt15iterator_traitsIS12_E10value_typeET2_T3_PNS13_IS18_E10value_typeET4_jRbjT5_S1E_jjP12ihipStream_tbEUljE_ZNSN_ISO_Lb0ESQ_SR_ST_SU_SY_EESZ_S10_S11_S12_S16_S17_S18_S1B_S1C_jS1D_jS1E_S1E_jjS1G_bEUljE0_EEESZ_S10_S11_S18_S1C_S1E_T6_T7_T9_mT8_S1G_bDpT10_ENKUlT_T0_E_clISt17integral_constantIbLb1EES1T_IbLb0EEEEDaS1P_S1Q_EUlS1P_E_NS1_11comp_targetILNS1_3genE4ELNS1_11target_archE910ELNS1_3gpuE8ELNS1_3repE0EEENS1_30default_config_static_selectorELNS0_4arch9wavefront6targetE0EEEvS12_,"axG",@progbits,_ZN7rocprim17ROCPRIM_400000_NS6detail17trampoline_kernelINS0_13select_configILj256ELj13ELNS0_17block_load_methodE3ELS4_3ELS4_3ELNS0_20block_scan_algorithmE0ELj4294967295EEENS1_25partition_config_selectorILNS1_17partition_subalgoE4EjNS0_10empty_typeEbEEZZNS1_14partition_implILS8_4ELb0ES6_15HIP_vector_typeIjLj2EENS0_17counting_iteratorIjlEEPS9_SG_NS0_5tupleIJPjSI_NS0_16reverse_iteratorISI_EEEEENSH_IJSG_SG_SG_EEES9_SI_JZNS1_25segmented_radix_sort_implINS0_14default_configELb0EPKiPiPKlPlN2at6native12_GLOBAL__N_18offset_tEEE10hipError_tPvRmT1_PNSt15iterator_traitsIS12_E10value_typeET2_T3_PNS13_IS18_E10value_typeET4_jRbjT5_S1E_jjP12ihipStream_tbEUljE_ZNSN_ISO_Lb0ESQ_SR_ST_SU_SY_EESZ_S10_S11_S12_S16_S17_S18_S1B_S1C_jS1D_jS1E_S1E_jjS1G_bEUljE0_EEESZ_S10_S11_S18_S1C_S1E_T6_T7_T9_mT8_S1G_bDpT10_ENKUlT_T0_E_clISt17integral_constantIbLb1EES1T_IbLb0EEEEDaS1P_S1Q_EUlS1P_E_NS1_11comp_targetILNS1_3genE4ELNS1_11target_archE910ELNS1_3gpuE8ELNS1_3repE0EEENS1_30default_config_static_selectorELNS0_4arch9wavefront6targetE0EEEvS12_,comdat
	.globl	_ZN7rocprim17ROCPRIM_400000_NS6detail17trampoline_kernelINS0_13select_configILj256ELj13ELNS0_17block_load_methodE3ELS4_3ELS4_3ELNS0_20block_scan_algorithmE0ELj4294967295EEENS1_25partition_config_selectorILNS1_17partition_subalgoE4EjNS0_10empty_typeEbEEZZNS1_14partition_implILS8_4ELb0ES6_15HIP_vector_typeIjLj2EENS0_17counting_iteratorIjlEEPS9_SG_NS0_5tupleIJPjSI_NS0_16reverse_iteratorISI_EEEEENSH_IJSG_SG_SG_EEES9_SI_JZNS1_25segmented_radix_sort_implINS0_14default_configELb0EPKiPiPKlPlN2at6native12_GLOBAL__N_18offset_tEEE10hipError_tPvRmT1_PNSt15iterator_traitsIS12_E10value_typeET2_T3_PNS13_IS18_E10value_typeET4_jRbjT5_S1E_jjP12ihipStream_tbEUljE_ZNSN_ISO_Lb0ESQ_SR_ST_SU_SY_EESZ_S10_S11_S12_S16_S17_S18_S1B_S1C_jS1D_jS1E_S1E_jjS1G_bEUljE0_EEESZ_S10_S11_S18_S1C_S1E_T6_T7_T9_mT8_S1G_bDpT10_ENKUlT_T0_E_clISt17integral_constantIbLb1EES1T_IbLb0EEEEDaS1P_S1Q_EUlS1P_E_NS1_11comp_targetILNS1_3genE4ELNS1_11target_archE910ELNS1_3gpuE8ELNS1_3repE0EEENS1_30default_config_static_selectorELNS0_4arch9wavefront6targetE0EEEvS12_ ; -- Begin function _ZN7rocprim17ROCPRIM_400000_NS6detail17trampoline_kernelINS0_13select_configILj256ELj13ELNS0_17block_load_methodE3ELS4_3ELS4_3ELNS0_20block_scan_algorithmE0ELj4294967295EEENS1_25partition_config_selectorILNS1_17partition_subalgoE4EjNS0_10empty_typeEbEEZZNS1_14partition_implILS8_4ELb0ES6_15HIP_vector_typeIjLj2EENS0_17counting_iteratorIjlEEPS9_SG_NS0_5tupleIJPjSI_NS0_16reverse_iteratorISI_EEEEENSH_IJSG_SG_SG_EEES9_SI_JZNS1_25segmented_radix_sort_implINS0_14default_configELb0EPKiPiPKlPlN2at6native12_GLOBAL__N_18offset_tEEE10hipError_tPvRmT1_PNSt15iterator_traitsIS12_E10value_typeET2_T3_PNS13_IS18_E10value_typeET4_jRbjT5_S1E_jjP12ihipStream_tbEUljE_ZNSN_ISO_Lb0ESQ_SR_ST_SU_SY_EESZ_S10_S11_S12_S16_S17_S18_S1B_S1C_jS1D_jS1E_S1E_jjS1G_bEUljE0_EEESZ_S10_S11_S18_S1C_S1E_T6_T7_T9_mT8_S1G_bDpT10_ENKUlT_T0_E_clISt17integral_constantIbLb1EES1T_IbLb0EEEEDaS1P_S1Q_EUlS1P_E_NS1_11comp_targetILNS1_3genE4ELNS1_11target_archE910ELNS1_3gpuE8ELNS1_3repE0EEENS1_30default_config_static_selectorELNS0_4arch9wavefront6targetE0EEEvS12_
	.p2align	8
	.type	_ZN7rocprim17ROCPRIM_400000_NS6detail17trampoline_kernelINS0_13select_configILj256ELj13ELNS0_17block_load_methodE3ELS4_3ELS4_3ELNS0_20block_scan_algorithmE0ELj4294967295EEENS1_25partition_config_selectorILNS1_17partition_subalgoE4EjNS0_10empty_typeEbEEZZNS1_14partition_implILS8_4ELb0ES6_15HIP_vector_typeIjLj2EENS0_17counting_iteratorIjlEEPS9_SG_NS0_5tupleIJPjSI_NS0_16reverse_iteratorISI_EEEEENSH_IJSG_SG_SG_EEES9_SI_JZNS1_25segmented_radix_sort_implINS0_14default_configELb0EPKiPiPKlPlN2at6native12_GLOBAL__N_18offset_tEEE10hipError_tPvRmT1_PNSt15iterator_traitsIS12_E10value_typeET2_T3_PNS13_IS18_E10value_typeET4_jRbjT5_S1E_jjP12ihipStream_tbEUljE_ZNSN_ISO_Lb0ESQ_SR_ST_SU_SY_EESZ_S10_S11_S12_S16_S17_S18_S1B_S1C_jS1D_jS1E_S1E_jjS1G_bEUljE0_EEESZ_S10_S11_S18_S1C_S1E_T6_T7_T9_mT8_S1G_bDpT10_ENKUlT_T0_E_clISt17integral_constantIbLb1EES1T_IbLb0EEEEDaS1P_S1Q_EUlS1P_E_NS1_11comp_targetILNS1_3genE4ELNS1_11target_archE910ELNS1_3gpuE8ELNS1_3repE0EEENS1_30default_config_static_selectorELNS0_4arch9wavefront6targetE0EEEvS12_,@function
_ZN7rocprim17ROCPRIM_400000_NS6detail17trampoline_kernelINS0_13select_configILj256ELj13ELNS0_17block_load_methodE3ELS4_3ELS4_3ELNS0_20block_scan_algorithmE0ELj4294967295EEENS1_25partition_config_selectorILNS1_17partition_subalgoE4EjNS0_10empty_typeEbEEZZNS1_14partition_implILS8_4ELb0ES6_15HIP_vector_typeIjLj2EENS0_17counting_iteratorIjlEEPS9_SG_NS0_5tupleIJPjSI_NS0_16reverse_iteratorISI_EEEEENSH_IJSG_SG_SG_EEES9_SI_JZNS1_25segmented_radix_sort_implINS0_14default_configELb0EPKiPiPKlPlN2at6native12_GLOBAL__N_18offset_tEEE10hipError_tPvRmT1_PNSt15iterator_traitsIS12_E10value_typeET2_T3_PNS13_IS18_E10value_typeET4_jRbjT5_S1E_jjP12ihipStream_tbEUljE_ZNSN_ISO_Lb0ESQ_SR_ST_SU_SY_EESZ_S10_S11_S12_S16_S17_S18_S1B_S1C_jS1D_jS1E_S1E_jjS1G_bEUljE0_EEESZ_S10_S11_S18_S1C_S1E_T6_T7_T9_mT8_S1G_bDpT10_ENKUlT_T0_E_clISt17integral_constantIbLb1EES1T_IbLb0EEEEDaS1P_S1Q_EUlS1P_E_NS1_11comp_targetILNS1_3genE4ELNS1_11target_archE910ELNS1_3gpuE8ELNS1_3repE0EEENS1_30default_config_static_selectorELNS0_4arch9wavefront6targetE0EEEvS12_: ; @_ZN7rocprim17ROCPRIM_400000_NS6detail17trampoline_kernelINS0_13select_configILj256ELj13ELNS0_17block_load_methodE3ELS4_3ELS4_3ELNS0_20block_scan_algorithmE0ELj4294967295EEENS1_25partition_config_selectorILNS1_17partition_subalgoE4EjNS0_10empty_typeEbEEZZNS1_14partition_implILS8_4ELb0ES6_15HIP_vector_typeIjLj2EENS0_17counting_iteratorIjlEEPS9_SG_NS0_5tupleIJPjSI_NS0_16reverse_iteratorISI_EEEEENSH_IJSG_SG_SG_EEES9_SI_JZNS1_25segmented_radix_sort_implINS0_14default_configELb0EPKiPiPKlPlN2at6native12_GLOBAL__N_18offset_tEEE10hipError_tPvRmT1_PNSt15iterator_traitsIS12_E10value_typeET2_T3_PNS13_IS18_E10value_typeET4_jRbjT5_S1E_jjP12ihipStream_tbEUljE_ZNSN_ISO_Lb0ESQ_SR_ST_SU_SY_EESZ_S10_S11_S12_S16_S17_S18_S1B_S1C_jS1D_jS1E_S1E_jjS1G_bEUljE0_EEESZ_S10_S11_S18_S1C_S1E_T6_T7_T9_mT8_S1G_bDpT10_ENKUlT_T0_E_clISt17integral_constantIbLb1EES1T_IbLb0EEEEDaS1P_S1Q_EUlS1P_E_NS1_11comp_targetILNS1_3genE4ELNS1_11target_archE910ELNS1_3gpuE8ELNS1_3repE0EEENS1_30default_config_static_selectorELNS0_4arch9wavefront6targetE0EEEvS12_
; %bb.0:
	.section	.rodata,"a",@progbits
	.p2align	6, 0x0
	.amdhsa_kernel _ZN7rocprim17ROCPRIM_400000_NS6detail17trampoline_kernelINS0_13select_configILj256ELj13ELNS0_17block_load_methodE3ELS4_3ELS4_3ELNS0_20block_scan_algorithmE0ELj4294967295EEENS1_25partition_config_selectorILNS1_17partition_subalgoE4EjNS0_10empty_typeEbEEZZNS1_14partition_implILS8_4ELb0ES6_15HIP_vector_typeIjLj2EENS0_17counting_iteratorIjlEEPS9_SG_NS0_5tupleIJPjSI_NS0_16reverse_iteratorISI_EEEEENSH_IJSG_SG_SG_EEES9_SI_JZNS1_25segmented_radix_sort_implINS0_14default_configELb0EPKiPiPKlPlN2at6native12_GLOBAL__N_18offset_tEEE10hipError_tPvRmT1_PNSt15iterator_traitsIS12_E10value_typeET2_T3_PNS13_IS18_E10value_typeET4_jRbjT5_S1E_jjP12ihipStream_tbEUljE_ZNSN_ISO_Lb0ESQ_SR_ST_SU_SY_EESZ_S10_S11_S12_S16_S17_S18_S1B_S1C_jS1D_jS1E_S1E_jjS1G_bEUljE0_EEESZ_S10_S11_S18_S1C_S1E_T6_T7_T9_mT8_S1G_bDpT10_ENKUlT_T0_E_clISt17integral_constantIbLb1EES1T_IbLb0EEEEDaS1P_S1Q_EUlS1P_E_NS1_11comp_targetILNS1_3genE4ELNS1_11target_archE910ELNS1_3gpuE8ELNS1_3repE0EEENS1_30default_config_static_selectorELNS0_4arch9wavefront6targetE0EEEvS12_
		.amdhsa_group_segment_fixed_size 0
		.amdhsa_private_segment_fixed_size 0
		.amdhsa_kernarg_size 176
		.amdhsa_user_sgpr_count 15
		.amdhsa_user_sgpr_dispatch_ptr 0
		.amdhsa_user_sgpr_queue_ptr 0
		.amdhsa_user_sgpr_kernarg_segment_ptr 1
		.amdhsa_user_sgpr_dispatch_id 0
		.amdhsa_user_sgpr_private_segment_size 0
		.amdhsa_wavefront_size32 1
		.amdhsa_uses_dynamic_stack 0
		.amdhsa_enable_private_segment 0
		.amdhsa_system_sgpr_workgroup_id_x 1
		.amdhsa_system_sgpr_workgroup_id_y 0
		.amdhsa_system_sgpr_workgroup_id_z 0
		.amdhsa_system_sgpr_workgroup_info 0
		.amdhsa_system_vgpr_workitem_id 0
		.amdhsa_next_free_vgpr 1
		.amdhsa_next_free_sgpr 1
		.amdhsa_reserve_vcc 0
		.amdhsa_float_round_mode_32 0
		.amdhsa_float_round_mode_16_64 0
		.amdhsa_float_denorm_mode_32 3
		.amdhsa_float_denorm_mode_16_64 3
		.amdhsa_dx10_clamp 1
		.amdhsa_ieee_mode 1
		.amdhsa_fp16_overflow 0
		.amdhsa_workgroup_processor_mode 1
		.amdhsa_memory_ordered 1
		.amdhsa_forward_progress 0
		.amdhsa_shared_vgpr_count 0
		.amdhsa_exception_fp_ieee_invalid_op 0
		.amdhsa_exception_fp_denorm_src 0
		.amdhsa_exception_fp_ieee_div_zero 0
		.amdhsa_exception_fp_ieee_overflow 0
		.amdhsa_exception_fp_ieee_underflow 0
		.amdhsa_exception_fp_ieee_inexact 0
		.amdhsa_exception_int_div_zero 0
	.end_amdhsa_kernel
	.section	.text._ZN7rocprim17ROCPRIM_400000_NS6detail17trampoline_kernelINS0_13select_configILj256ELj13ELNS0_17block_load_methodE3ELS4_3ELS4_3ELNS0_20block_scan_algorithmE0ELj4294967295EEENS1_25partition_config_selectorILNS1_17partition_subalgoE4EjNS0_10empty_typeEbEEZZNS1_14partition_implILS8_4ELb0ES6_15HIP_vector_typeIjLj2EENS0_17counting_iteratorIjlEEPS9_SG_NS0_5tupleIJPjSI_NS0_16reverse_iteratorISI_EEEEENSH_IJSG_SG_SG_EEES9_SI_JZNS1_25segmented_radix_sort_implINS0_14default_configELb0EPKiPiPKlPlN2at6native12_GLOBAL__N_18offset_tEEE10hipError_tPvRmT1_PNSt15iterator_traitsIS12_E10value_typeET2_T3_PNS13_IS18_E10value_typeET4_jRbjT5_S1E_jjP12ihipStream_tbEUljE_ZNSN_ISO_Lb0ESQ_SR_ST_SU_SY_EESZ_S10_S11_S12_S16_S17_S18_S1B_S1C_jS1D_jS1E_S1E_jjS1G_bEUljE0_EEESZ_S10_S11_S18_S1C_S1E_T6_T7_T9_mT8_S1G_bDpT10_ENKUlT_T0_E_clISt17integral_constantIbLb1EES1T_IbLb0EEEEDaS1P_S1Q_EUlS1P_E_NS1_11comp_targetILNS1_3genE4ELNS1_11target_archE910ELNS1_3gpuE8ELNS1_3repE0EEENS1_30default_config_static_selectorELNS0_4arch9wavefront6targetE0EEEvS12_,"axG",@progbits,_ZN7rocprim17ROCPRIM_400000_NS6detail17trampoline_kernelINS0_13select_configILj256ELj13ELNS0_17block_load_methodE3ELS4_3ELS4_3ELNS0_20block_scan_algorithmE0ELj4294967295EEENS1_25partition_config_selectorILNS1_17partition_subalgoE4EjNS0_10empty_typeEbEEZZNS1_14partition_implILS8_4ELb0ES6_15HIP_vector_typeIjLj2EENS0_17counting_iteratorIjlEEPS9_SG_NS0_5tupleIJPjSI_NS0_16reverse_iteratorISI_EEEEENSH_IJSG_SG_SG_EEES9_SI_JZNS1_25segmented_radix_sort_implINS0_14default_configELb0EPKiPiPKlPlN2at6native12_GLOBAL__N_18offset_tEEE10hipError_tPvRmT1_PNSt15iterator_traitsIS12_E10value_typeET2_T3_PNS13_IS18_E10value_typeET4_jRbjT5_S1E_jjP12ihipStream_tbEUljE_ZNSN_ISO_Lb0ESQ_SR_ST_SU_SY_EESZ_S10_S11_S12_S16_S17_S18_S1B_S1C_jS1D_jS1E_S1E_jjS1G_bEUljE0_EEESZ_S10_S11_S18_S1C_S1E_T6_T7_T9_mT8_S1G_bDpT10_ENKUlT_T0_E_clISt17integral_constantIbLb1EES1T_IbLb0EEEEDaS1P_S1Q_EUlS1P_E_NS1_11comp_targetILNS1_3genE4ELNS1_11target_archE910ELNS1_3gpuE8ELNS1_3repE0EEENS1_30default_config_static_selectorELNS0_4arch9wavefront6targetE0EEEvS12_,comdat
.Lfunc_end554:
	.size	_ZN7rocprim17ROCPRIM_400000_NS6detail17trampoline_kernelINS0_13select_configILj256ELj13ELNS0_17block_load_methodE3ELS4_3ELS4_3ELNS0_20block_scan_algorithmE0ELj4294967295EEENS1_25partition_config_selectorILNS1_17partition_subalgoE4EjNS0_10empty_typeEbEEZZNS1_14partition_implILS8_4ELb0ES6_15HIP_vector_typeIjLj2EENS0_17counting_iteratorIjlEEPS9_SG_NS0_5tupleIJPjSI_NS0_16reverse_iteratorISI_EEEEENSH_IJSG_SG_SG_EEES9_SI_JZNS1_25segmented_radix_sort_implINS0_14default_configELb0EPKiPiPKlPlN2at6native12_GLOBAL__N_18offset_tEEE10hipError_tPvRmT1_PNSt15iterator_traitsIS12_E10value_typeET2_T3_PNS13_IS18_E10value_typeET4_jRbjT5_S1E_jjP12ihipStream_tbEUljE_ZNSN_ISO_Lb0ESQ_SR_ST_SU_SY_EESZ_S10_S11_S12_S16_S17_S18_S1B_S1C_jS1D_jS1E_S1E_jjS1G_bEUljE0_EEESZ_S10_S11_S18_S1C_S1E_T6_T7_T9_mT8_S1G_bDpT10_ENKUlT_T0_E_clISt17integral_constantIbLb1EES1T_IbLb0EEEEDaS1P_S1Q_EUlS1P_E_NS1_11comp_targetILNS1_3genE4ELNS1_11target_archE910ELNS1_3gpuE8ELNS1_3repE0EEENS1_30default_config_static_selectorELNS0_4arch9wavefront6targetE0EEEvS12_, .Lfunc_end554-_ZN7rocprim17ROCPRIM_400000_NS6detail17trampoline_kernelINS0_13select_configILj256ELj13ELNS0_17block_load_methodE3ELS4_3ELS4_3ELNS0_20block_scan_algorithmE0ELj4294967295EEENS1_25partition_config_selectorILNS1_17partition_subalgoE4EjNS0_10empty_typeEbEEZZNS1_14partition_implILS8_4ELb0ES6_15HIP_vector_typeIjLj2EENS0_17counting_iteratorIjlEEPS9_SG_NS0_5tupleIJPjSI_NS0_16reverse_iteratorISI_EEEEENSH_IJSG_SG_SG_EEES9_SI_JZNS1_25segmented_radix_sort_implINS0_14default_configELb0EPKiPiPKlPlN2at6native12_GLOBAL__N_18offset_tEEE10hipError_tPvRmT1_PNSt15iterator_traitsIS12_E10value_typeET2_T3_PNS13_IS18_E10value_typeET4_jRbjT5_S1E_jjP12ihipStream_tbEUljE_ZNSN_ISO_Lb0ESQ_SR_ST_SU_SY_EESZ_S10_S11_S12_S16_S17_S18_S1B_S1C_jS1D_jS1E_S1E_jjS1G_bEUljE0_EEESZ_S10_S11_S18_S1C_S1E_T6_T7_T9_mT8_S1G_bDpT10_ENKUlT_T0_E_clISt17integral_constantIbLb1EES1T_IbLb0EEEEDaS1P_S1Q_EUlS1P_E_NS1_11comp_targetILNS1_3genE4ELNS1_11target_archE910ELNS1_3gpuE8ELNS1_3repE0EEENS1_30default_config_static_selectorELNS0_4arch9wavefront6targetE0EEEvS12_
                                        ; -- End function
	.section	.AMDGPU.csdata,"",@progbits
; Kernel info:
; codeLenInByte = 0
; NumSgprs: 0
; NumVgprs: 0
; ScratchSize: 0
; MemoryBound: 0
; FloatMode: 240
; IeeeMode: 1
; LDSByteSize: 0 bytes/workgroup (compile time only)
; SGPRBlocks: 0
; VGPRBlocks: 0
; NumSGPRsForWavesPerEU: 1
; NumVGPRsForWavesPerEU: 1
; Occupancy: 16
; WaveLimiterHint : 0
; COMPUTE_PGM_RSRC2:SCRATCH_EN: 0
; COMPUTE_PGM_RSRC2:USER_SGPR: 15
; COMPUTE_PGM_RSRC2:TRAP_HANDLER: 0
; COMPUTE_PGM_RSRC2:TGID_X_EN: 1
; COMPUTE_PGM_RSRC2:TGID_Y_EN: 0
; COMPUTE_PGM_RSRC2:TGID_Z_EN: 0
; COMPUTE_PGM_RSRC2:TIDIG_COMP_CNT: 0
	.section	.text._ZN7rocprim17ROCPRIM_400000_NS6detail17trampoline_kernelINS0_13select_configILj256ELj13ELNS0_17block_load_methodE3ELS4_3ELS4_3ELNS0_20block_scan_algorithmE0ELj4294967295EEENS1_25partition_config_selectorILNS1_17partition_subalgoE4EjNS0_10empty_typeEbEEZZNS1_14partition_implILS8_4ELb0ES6_15HIP_vector_typeIjLj2EENS0_17counting_iteratorIjlEEPS9_SG_NS0_5tupleIJPjSI_NS0_16reverse_iteratorISI_EEEEENSH_IJSG_SG_SG_EEES9_SI_JZNS1_25segmented_radix_sort_implINS0_14default_configELb0EPKiPiPKlPlN2at6native12_GLOBAL__N_18offset_tEEE10hipError_tPvRmT1_PNSt15iterator_traitsIS12_E10value_typeET2_T3_PNS13_IS18_E10value_typeET4_jRbjT5_S1E_jjP12ihipStream_tbEUljE_ZNSN_ISO_Lb0ESQ_SR_ST_SU_SY_EESZ_S10_S11_S12_S16_S17_S18_S1B_S1C_jS1D_jS1E_S1E_jjS1G_bEUljE0_EEESZ_S10_S11_S18_S1C_S1E_T6_T7_T9_mT8_S1G_bDpT10_ENKUlT_T0_E_clISt17integral_constantIbLb1EES1T_IbLb0EEEEDaS1P_S1Q_EUlS1P_E_NS1_11comp_targetILNS1_3genE3ELNS1_11target_archE908ELNS1_3gpuE7ELNS1_3repE0EEENS1_30default_config_static_selectorELNS0_4arch9wavefront6targetE0EEEvS12_,"axG",@progbits,_ZN7rocprim17ROCPRIM_400000_NS6detail17trampoline_kernelINS0_13select_configILj256ELj13ELNS0_17block_load_methodE3ELS4_3ELS4_3ELNS0_20block_scan_algorithmE0ELj4294967295EEENS1_25partition_config_selectorILNS1_17partition_subalgoE4EjNS0_10empty_typeEbEEZZNS1_14partition_implILS8_4ELb0ES6_15HIP_vector_typeIjLj2EENS0_17counting_iteratorIjlEEPS9_SG_NS0_5tupleIJPjSI_NS0_16reverse_iteratorISI_EEEEENSH_IJSG_SG_SG_EEES9_SI_JZNS1_25segmented_radix_sort_implINS0_14default_configELb0EPKiPiPKlPlN2at6native12_GLOBAL__N_18offset_tEEE10hipError_tPvRmT1_PNSt15iterator_traitsIS12_E10value_typeET2_T3_PNS13_IS18_E10value_typeET4_jRbjT5_S1E_jjP12ihipStream_tbEUljE_ZNSN_ISO_Lb0ESQ_SR_ST_SU_SY_EESZ_S10_S11_S12_S16_S17_S18_S1B_S1C_jS1D_jS1E_S1E_jjS1G_bEUljE0_EEESZ_S10_S11_S18_S1C_S1E_T6_T7_T9_mT8_S1G_bDpT10_ENKUlT_T0_E_clISt17integral_constantIbLb1EES1T_IbLb0EEEEDaS1P_S1Q_EUlS1P_E_NS1_11comp_targetILNS1_3genE3ELNS1_11target_archE908ELNS1_3gpuE7ELNS1_3repE0EEENS1_30default_config_static_selectorELNS0_4arch9wavefront6targetE0EEEvS12_,comdat
	.globl	_ZN7rocprim17ROCPRIM_400000_NS6detail17trampoline_kernelINS0_13select_configILj256ELj13ELNS0_17block_load_methodE3ELS4_3ELS4_3ELNS0_20block_scan_algorithmE0ELj4294967295EEENS1_25partition_config_selectorILNS1_17partition_subalgoE4EjNS0_10empty_typeEbEEZZNS1_14partition_implILS8_4ELb0ES6_15HIP_vector_typeIjLj2EENS0_17counting_iteratorIjlEEPS9_SG_NS0_5tupleIJPjSI_NS0_16reverse_iteratorISI_EEEEENSH_IJSG_SG_SG_EEES9_SI_JZNS1_25segmented_radix_sort_implINS0_14default_configELb0EPKiPiPKlPlN2at6native12_GLOBAL__N_18offset_tEEE10hipError_tPvRmT1_PNSt15iterator_traitsIS12_E10value_typeET2_T3_PNS13_IS18_E10value_typeET4_jRbjT5_S1E_jjP12ihipStream_tbEUljE_ZNSN_ISO_Lb0ESQ_SR_ST_SU_SY_EESZ_S10_S11_S12_S16_S17_S18_S1B_S1C_jS1D_jS1E_S1E_jjS1G_bEUljE0_EEESZ_S10_S11_S18_S1C_S1E_T6_T7_T9_mT8_S1G_bDpT10_ENKUlT_T0_E_clISt17integral_constantIbLb1EES1T_IbLb0EEEEDaS1P_S1Q_EUlS1P_E_NS1_11comp_targetILNS1_3genE3ELNS1_11target_archE908ELNS1_3gpuE7ELNS1_3repE0EEENS1_30default_config_static_selectorELNS0_4arch9wavefront6targetE0EEEvS12_ ; -- Begin function _ZN7rocprim17ROCPRIM_400000_NS6detail17trampoline_kernelINS0_13select_configILj256ELj13ELNS0_17block_load_methodE3ELS4_3ELS4_3ELNS0_20block_scan_algorithmE0ELj4294967295EEENS1_25partition_config_selectorILNS1_17partition_subalgoE4EjNS0_10empty_typeEbEEZZNS1_14partition_implILS8_4ELb0ES6_15HIP_vector_typeIjLj2EENS0_17counting_iteratorIjlEEPS9_SG_NS0_5tupleIJPjSI_NS0_16reverse_iteratorISI_EEEEENSH_IJSG_SG_SG_EEES9_SI_JZNS1_25segmented_radix_sort_implINS0_14default_configELb0EPKiPiPKlPlN2at6native12_GLOBAL__N_18offset_tEEE10hipError_tPvRmT1_PNSt15iterator_traitsIS12_E10value_typeET2_T3_PNS13_IS18_E10value_typeET4_jRbjT5_S1E_jjP12ihipStream_tbEUljE_ZNSN_ISO_Lb0ESQ_SR_ST_SU_SY_EESZ_S10_S11_S12_S16_S17_S18_S1B_S1C_jS1D_jS1E_S1E_jjS1G_bEUljE0_EEESZ_S10_S11_S18_S1C_S1E_T6_T7_T9_mT8_S1G_bDpT10_ENKUlT_T0_E_clISt17integral_constantIbLb1EES1T_IbLb0EEEEDaS1P_S1Q_EUlS1P_E_NS1_11comp_targetILNS1_3genE3ELNS1_11target_archE908ELNS1_3gpuE7ELNS1_3repE0EEENS1_30default_config_static_selectorELNS0_4arch9wavefront6targetE0EEEvS12_
	.p2align	8
	.type	_ZN7rocprim17ROCPRIM_400000_NS6detail17trampoline_kernelINS0_13select_configILj256ELj13ELNS0_17block_load_methodE3ELS4_3ELS4_3ELNS0_20block_scan_algorithmE0ELj4294967295EEENS1_25partition_config_selectorILNS1_17partition_subalgoE4EjNS0_10empty_typeEbEEZZNS1_14partition_implILS8_4ELb0ES6_15HIP_vector_typeIjLj2EENS0_17counting_iteratorIjlEEPS9_SG_NS0_5tupleIJPjSI_NS0_16reverse_iteratorISI_EEEEENSH_IJSG_SG_SG_EEES9_SI_JZNS1_25segmented_radix_sort_implINS0_14default_configELb0EPKiPiPKlPlN2at6native12_GLOBAL__N_18offset_tEEE10hipError_tPvRmT1_PNSt15iterator_traitsIS12_E10value_typeET2_T3_PNS13_IS18_E10value_typeET4_jRbjT5_S1E_jjP12ihipStream_tbEUljE_ZNSN_ISO_Lb0ESQ_SR_ST_SU_SY_EESZ_S10_S11_S12_S16_S17_S18_S1B_S1C_jS1D_jS1E_S1E_jjS1G_bEUljE0_EEESZ_S10_S11_S18_S1C_S1E_T6_T7_T9_mT8_S1G_bDpT10_ENKUlT_T0_E_clISt17integral_constantIbLb1EES1T_IbLb0EEEEDaS1P_S1Q_EUlS1P_E_NS1_11comp_targetILNS1_3genE3ELNS1_11target_archE908ELNS1_3gpuE7ELNS1_3repE0EEENS1_30default_config_static_selectorELNS0_4arch9wavefront6targetE0EEEvS12_,@function
_ZN7rocprim17ROCPRIM_400000_NS6detail17trampoline_kernelINS0_13select_configILj256ELj13ELNS0_17block_load_methodE3ELS4_3ELS4_3ELNS0_20block_scan_algorithmE0ELj4294967295EEENS1_25partition_config_selectorILNS1_17partition_subalgoE4EjNS0_10empty_typeEbEEZZNS1_14partition_implILS8_4ELb0ES6_15HIP_vector_typeIjLj2EENS0_17counting_iteratorIjlEEPS9_SG_NS0_5tupleIJPjSI_NS0_16reverse_iteratorISI_EEEEENSH_IJSG_SG_SG_EEES9_SI_JZNS1_25segmented_radix_sort_implINS0_14default_configELb0EPKiPiPKlPlN2at6native12_GLOBAL__N_18offset_tEEE10hipError_tPvRmT1_PNSt15iterator_traitsIS12_E10value_typeET2_T3_PNS13_IS18_E10value_typeET4_jRbjT5_S1E_jjP12ihipStream_tbEUljE_ZNSN_ISO_Lb0ESQ_SR_ST_SU_SY_EESZ_S10_S11_S12_S16_S17_S18_S1B_S1C_jS1D_jS1E_S1E_jjS1G_bEUljE0_EEESZ_S10_S11_S18_S1C_S1E_T6_T7_T9_mT8_S1G_bDpT10_ENKUlT_T0_E_clISt17integral_constantIbLb1EES1T_IbLb0EEEEDaS1P_S1Q_EUlS1P_E_NS1_11comp_targetILNS1_3genE3ELNS1_11target_archE908ELNS1_3gpuE7ELNS1_3repE0EEENS1_30default_config_static_selectorELNS0_4arch9wavefront6targetE0EEEvS12_: ; @_ZN7rocprim17ROCPRIM_400000_NS6detail17trampoline_kernelINS0_13select_configILj256ELj13ELNS0_17block_load_methodE3ELS4_3ELS4_3ELNS0_20block_scan_algorithmE0ELj4294967295EEENS1_25partition_config_selectorILNS1_17partition_subalgoE4EjNS0_10empty_typeEbEEZZNS1_14partition_implILS8_4ELb0ES6_15HIP_vector_typeIjLj2EENS0_17counting_iteratorIjlEEPS9_SG_NS0_5tupleIJPjSI_NS0_16reverse_iteratorISI_EEEEENSH_IJSG_SG_SG_EEES9_SI_JZNS1_25segmented_radix_sort_implINS0_14default_configELb0EPKiPiPKlPlN2at6native12_GLOBAL__N_18offset_tEEE10hipError_tPvRmT1_PNSt15iterator_traitsIS12_E10value_typeET2_T3_PNS13_IS18_E10value_typeET4_jRbjT5_S1E_jjP12ihipStream_tbEUljE_ZNSN_ISO_Lb0ESQ_SR_ST_SU_SY_EESZ_S10_S11_S12_S16_S17_S18_S1B_S1C_jS1D_jS1E_S1E_jjS1G_bEUljE0_EEESZ_S10_S11_S18_S1C_S1E_T6_T7_T9_mT8_S1G_bDpT10_ENKUlT_T0_E_clISt17integral_constantIbLb1EES1T_IbLb0EEEEDaS1P_S1Q_EUlS1P_E_NS1_11comp_targetILNS1_3genE3ELNS1_11target_archE908ELNS1_3gpuE7ELNS1_3repE0EEENS1_30default_config_static_selectorELNS0_4arch9wavefront6targetE0EEEvS12_
; %bb.0:
	.section	.rodata,"a",@progbits
	.p2align	6, 0x0
	.amdhsa_kernel _ZN7rocprim17ROCPRIM_400000_NS6detail17trampoline_kernelINS0_13select_configILj256ELj13ELNS0_17block_load_methodE3ELS4_3ELS4_3ELNS0_20block_scan_algorithmE0ELj4294967295EEENS1_25partition_config_selectorILNS1_17partition_subalgoE4EjNS0_10empty_typeEbEEZZNS1_14partition_implILS8_4ELb0ES6_15HIP_vector_typeIjLj2EENS0_17counting_iteratorIjlEEPS9_SG_NS0_5tupleIJPjSI_NS0_16reverse_iteratorISI_EEEEENSH_IJSG_SG_SG_EEES9_SI_JZNS1_25segmented_radix_sort_implINS0_14default_configELb0EPKiPiPKlPlN2at6native12_GLOBAL__N_18offset_tEEE10hipError_tPvRmT1_PNSt15iterator_traitsIS12_E10value_typeET2_T3_PNS13_IS18_E10value_typeET4_jRbjT5_S1E_jjP12ihipStream_tbEUljE_ZNSN_ISO_Lb0ESQ_SR_ST_SU_SY_EESZ_S10_S11_S12_S16_S17_S18_S1B_S1C_jS1D_jS1E_S1E_jjS1G_bEUljE0_EEESZ_S10_S11_S18_S1C_S1E_T6_T7_T9_mT8_S1G_bDpT10_ENKUlT_T0_E_clISt17integral_constantIbLb1EES1T_IbLb0EEEEDaS1P_S1Q_EUlS1P_E_NS1_11comp_targetILNS1_3genE3ELNS1_11target_archE908ELNS1_3gpuE7ELNS1_3repE0EEENS1_30default_config_static_selectorELNS0_4arch9wavefront6targetE0EEEvS12_
		.amdhsa_group_segment_fixed_size 0
		.amdhsa_private_segment_fixed_size 0
		.amdhsa_kernarg_size 176
		.amdhsa_user_sgpr_count 15
		.amdhsa_user_sgpr_dispatch_ptr 0
		.amdhsa_user_sgpr_queue_ptr 0
		.amdhsa_user_sgpr_kernarg_segment_ptr 1
		.amdhsa_user_sgpr_dispatch_id 0
		.amdhsa_user_sgpr_private_segment_size 0
		.amdhsa_wavefront_size32 1
		.amdhsa_uses_dynamic_stack 0
		.amdhsa_enable_private_segment 0
		.amdhsa_system_sgpr_workgroup_id_x 1
		.amdhsa_system_sgpr_workgroup_id_y 0
		.amdhsa_system_sgpr_workgroup_id_z 0
		.amdhsa_system_sgpr_workgroup_info 0
		.amdhsa_system_vgpr_workitem_id 0
		.amdhsa_next_free_vgpr 1
		.amdhsa_next_free_sgpr 1
		.amdhsa_reserve_vcc 0
		.amdhsa_float_round_mode_32 0
		.amdhsa_float_round_mode_16_64 0
		.amdhsa_float_denorm_mode_32 3
		.amdhsa_float_denorm_mode_16_64 3
		.amdhsa_dx10_clamp 1
		.amdhsa_ieee_mode 1
		.amdhsa_fp16_overflow 0
		.amdhsa_workgroup_processor_mode 1
		.amdhsa_memory_ordered 1
		.amdhsa_forward_progress 0
		.amdhsa_shared_vgpr_count 0
		.amdhsa_exception_fp_ieee_invalid_op 0
		.amdhsa_exception_fp_denorm_src 0
		.amdhsa_exception_fp_ieee_div_zero 0
		.amdhsa_exception_fp_ieee_overflow 0
		.amdhsa_exception_fp_ieee_underflow 0
		.amdhsa_exception_fp_ieee_inexact 0
		.amdhsa_exception_int_div_zero 0
	.end_amdhsa_kernel
	.section	.text._ZN7rocprim17ROCPRIM_400000_NS6detail17trampoline_kernelINS0_13select_configILj256ELj13ELNS0_17block_load_methodE3ELS4_3ELS4_3ELNS0_20block_scan_algorithmE0ELj4294967295EEENS1_25partition_config_selectorILNS1_17partition_subalgoE4EjNS0_10empty_typeEbEEZZNS1_14partition_implILS8_4ELb0ES6_15HIP_vector_typeIjLj2EENS0_17counting_iteratorIjlEEPS9_SG_NS0_5tupleIJPjSI_NS0_16reverse_iteratorISI_EEEEENSH_IJSG_SG_SG_EEES9_SI_JZNS1_25segmented_radix_sort_implINS0_14default_configELb0EPKiPiPKlPlN2at6native12_GLOBAL__N_18offset_tEEE10hipError_tPvRmT1_PNSt15iterator_traitsIS12_E10value_typeET2_T3_PNS13_IS18_E10value_typeET4_jRbjT5_S1E_jjP12ihipStream_tbEUljE_ZNSN_ISO_Lb0ESQ_SR_ST_SU_SY_EESZ_S10_S11_S12_S16_S17_S18_S1B_S1C_jS1D_jS1E_S1E_jjS1G_bEUljE0_EEESZ_S10_S11_S18_S1C_S1E_T6_T7_T9_mT8_S1G_bDpT10_ENKUlT_T0_E_clISt17integral_constantIbLb1EES1T_IbLb0EEEEDaS1P_S1Q_EUlS1P_E_NS1_11comp_targetILNS1_3genE3ELNS1_11target_archE908ELNS1_3gpuE7ELNS1_3repE0EEENS1_30default_config_static_selectorELNS0_4arch9wavefront6targetE0EEEvS12_,"axG",@progbits,_ZN7rocprim17ROCPRIM_400000_NS6detail17trampoline_kernelINS0_13select_configILj256ELj13ELNS0_17block_load_methodE3ELS4_3ELS4_3ELNS0_20block_scan_algorithmE0ELj4294967295EEENS1_25partition_config_selectorILNS1_17partition_subalgoE4EjNS0_10empty_typeEbEEZZNS1_14partition_implILS8_4ELb0ES6_15HIP_vector_typeIjLj2EENS0_17counting_iteratorIjlEEPS9_SG_NS0_5tupleIJPjSI_NS0_16reverse_iteratorISI_EEEEENSH_IJSG_SG_SG_EEES9_SI_JZNS1_25segmented_radix_sort_implINS0_14default_configELb0EPKiPiPKlPlN2at6native12_GLOBAL__N_18offset_tEEE10hipError_tPvRmT1_PNSt15iterator_traitsIS12_E10value_typeET2_T3_PNS13_IS18_E10value_typeET4_jRbjT5_S1E_jjP12ihipStream_tbEUljE_ZNSN_ISO_Lb0ESQ_SR_ST_SU_SY_EESZ_S10_S11_S12_S16_S17_S18_S1B_S1C_jS1D_jS1E_S1E_jjS1G_bEUljE0_EEESZ_S10_S11_S18_S1C_S1E_T6_T7_T9_mT8_S1G_bDpT10_ENKUlT_T0_E_clISt17integral_constantIbLb1EES1T_IbLb0EEEEDaS1P_S1Q_EUlS1P_E_NS1_11comp_targetILNS1_3genE3ELNS1_11target_archE908ELNS1_3gpuE7ELNS1_3repE0EEENS1_30default_config_static_selectorELNS0_4arch9wavefront6targetE0EEEvS12_,comdat
.Lfunc_end555:
	.size	_ZN7rocprim17ROCPRIM_400000_NS6detail17trampoline_kernelINS0_13select_configILj256ELj13ELNS0_17block_load_methodE3ELS4_3ELS4_3ELNS0_20block_scan_algorithmE0ELj4294967295EEENS1_25partition_config_selectorILNS1_17partition_subalgoE4EjNS0_10empty_typeEbEEZZNS1_14partition_implILS8_4ELb0ES6_15HIP_vector_typeIjLj2EENS0_17counting_iteratorIjlEEPS9_SG_NS0_5tupleIJPjSI_NS0_16reverse_iteratorISI_EEEEENSH_IJSG_SG_SG_EEES9_SI_JZNS1_25segmented_radix_sort_implINS0_14default_configELb0EPKiPiPKlPlN2at6native12_GLOBAL__N_18offset_tEEE10hipError_tPvRmT1_PNSt15iterator_traitsIS12_E10value_typeET2_T3_PNS13_IS18_E10value_typeET4_jRbjT5_S1E_jjP12ihipStream_tbEUljE_ZNSN_ISO_Lb0ESQ_SR_ST_SU_SY_EESZ_S10_S11_S12_S16_S17_S18_S1B_S1C_jS1D_jS1E_S1E_jjS1G_bEUljE0_EEESZ_S10_S11_S18_S1C_S1E_T6_T7_T9_mT8_S1G_bDpT10_ENKUlT_T0_E_clISt17integral_constantIbLb1EES1T_IbLb0EEEEDaS1P_S1Q_EUlS1P_E_NS1_11comp_targetILNS1_3genE3ELNS1_11target_archE908ELNS1_3gpuE7ELNS1_3repE0EEENS1_30default_config_static_selectorELNS0_4arch9wavefront6targetE0EEEvS12_, .Lfunc_end555-_ZN7rocprim17ROCPRIM_400000_NS6detail17trampoline_kernelINS0_13select_configILj256ELj13ELNS0_17block_load_methodE3ELS4_3ELS4_3ELNS0_20block_scan_algorithmE0ELj4294967295EEENS1_25partition_config_selectorILNS1_17partition_subalgoE4EjNS0_10empty_typeEbEEZZNS1_14partition_implILS8_4ELb0ES6_15HIP_vector_typeIjLj2EENS0_17counting_iteratorIjlEEPS9_SG_NS0_5tupleIJPjSI_NS0_16reverse_iteratorISI_EEEEENSH_IJSG_SG_SG_EEES9_SI_JZNS1_25segmented_radix_sort_implINS0_14default_configELb0EPKiPiPKlPlN2at6native12_GLOBAL__N_18offset_tEEE10hipError_tPvRmT1_PNSt15iterator_traitsIS12_E10value_typeET2_T3_PNS13_IS18_E10value_typeET4_jRbjT5_S1E_jjP12ihipStream_tbEUljE_ZNSN_ISO_Lb0ESQ_SR_ST_SU_SY_EESZ_S10_S11_S12_S16_S17_S18_S1B_S1C_jS1D_jS1E_S1E_jjS1G_bEUljE0_EEESZ_S10_S11_S18_S1C_S1E_T6_T7_T9_mT8_S1G_bDpT10_ENKUlT_T0_E_clISt17integral_constantIbLb1EES1T_IbLb0EEEEDaS1P_S1Q_EUlS1P_E_NS1_11comp_targetILNS1_3genE3ELNS1_11target_archE908ELNS1_3gpuE7ELNS1_3repE0EEENS1_30default_config_static_selectorELNS0_4arch9wavefront6targetE0EEEvS12_
                                        ; -- End function
	.section	.AMDGPU.csdata,"",@progbits
; Kernel info:
; codeLenInByte = 0
; NumSgprs: 0
; NumVgprs: 0
; ScratchSize: 0
; MemoryBound: 0
; FloatMode: 240
; IeeeMode: 1
; LDSByteSize: 0 bytes/workgroup (compile time only)
; SGPRBlocks: 0
; VGPRBlocks: 0
; NumSGPRsForWavesPerEU: 1
; NumVGPRsForWavesPerEU: 1
; Occupancy: 16
; WaveLimiterHint : 0
; COMPUTE_PGM_RSRC2:SCRATCH_EN: 0
; COMPUTE_PGM_RSRC2:USER_SGPR: 15
; COMPUTE_PGM_RSRC2:TRAP_HANDLER: 0
; COMPUTE_PGM_RSRC2:TGID_X_EN: 1
; COMPUTE_PGM_RSRC2:TGID_Y_EN: 0
; COMPUTE_PGM_RSRC2:TGID_Z_EN: 0
; COMPUTE_PGM_RSRC2:TIDIG_COMP_CNT: 0
	.section	.text._ZN7rocprim17ROCPRIM_400000_NS6detail17trampoline_kernelINS0_13select_configILj256ELj13ELNS0_17block_load_methodE3ELS4_3ELS4_3ELNS0_20block_scan_algorithmE0ELj4294967295EEENS1_25partition_config_selectorILNS1_17partition_subalgoE4EjNS0_10empty_typeEbEEZZNS1_14partition_implILS8_4ELb0ES6_15HIP_vector_typeIjLj2EENS0_17counting_iteratorIjlEEPS9_SG_NS0_5tupleIJPjSI_NS0_16reverse_iteratorISI_EEEEENSH_IJSG_SG_SG_EEES9_SI_JZNS1_25segmented_radix_sort_implINS0_14default_configELb0EPKiPiPKlPlN2at6native12_GLOBAL__N_18offset_tEEE10hipError_tPvRmT1_PNSt15iterator_traitsIS12_E10value_typeET2_T3_PNS13_IS18_E10value_typeET4_jRbjT5_S1E_jjP12ihipStream_tbEUljE_ZNSN_ISO_Lb0ESQ_SR_ST_SU_SY_EESZ_S10_S11_S12_S16_S17_S18_S1B_S1C_jS1D_jS1E_S1E_jjS1G_bEUljE0_EEESZ_S10_S11_S18_S1C_S1E_T6_T7_T9_mT8_S1G_bDpT10_ENKUlT_T0_E_clISt17integral_constantIbLb1EES1T_IbLb0EEEEDaS1P_S1Q_EUlS1P_E_NS1_11comp_targetILNS1_3genE2ELNS1_11target_archE906ELNS1_3gpuE6ELNS1_3repE0EEENS1_30default_config_static_selectorELNS0_4arch9wavefront6targetE0EEEvS12_,"axG",@progbits,_ZN7rocprim17ROCPRIM_400000_NS6detail17trampoline_kernelINS0_13select_configILj256ELj13ELNS0_17block_load_methodE3ELS4_3ELS4_3ELNS0_20block_scan_algorithmE0ELj4294967295EEENS1_25partition_config_selectorILNS1_17partition_subalgoE4EjNS0_10empty_typeEbEEZZNS1_14partition_implILS8_4ELb0ES6_15HIP_vector_typeIjLj2EENS0_17counting_iteratorIjlEEPS9_SG_NS0_5tupleIJPjSI_NS0_16reverse_iteratorISI_EEEEENSH_IJSG_SG_SG_EEES9_SI_JZNS1_25segmented_radix_sort_implINS0_14default_configELb0EPKiPiPKlPlN2at6native12_GLOBAL__N_18offset_tEEE10hipError_tPvRmT1_PNSt15iterator_traitsIS12_E10value_typeET2_T3_PNS13_IS18_E10value_typeET4_jRbjT5_S1E_jjP12ihipStream_tbEUljE_ZNSN_ISO_Lb0ESQ_SR_ST_SU_SY_EESZ_S10_S11_S12_S16_S17_S18_S1B_S1C_jS1D_jS1E_S1E_jjS1G_bEUljE0_EEESZ_S10_S11_S18_S1C_S1E_T6_T7_T9_mT8_S1G_bDpT10_ENKUlT_T0_E_clISt17integral_constantIbLb1EES1T_IbLb0EEEEDaS1P_S1Q_EUlS1P_E_NS1_11comp_targetILNS1_3genE2ELNS1_11target_archE906ELNS1_3gpuE6ELNS1_3repE0EEENS1_30default_config_static_selectorELNS0_4arch9wavefront6targetE0EEEvS12_,comdat
	.globl	_ZN7rocprim17ROCPRIM_400000_NS6detail17trampoline_kernelINS0_13select_configILj256ELj13ELNS0_17block_load_methodE3ELS4_3ELS4_3ELNS0_20block_scan_algorithmE0ELj4294967295EEENS1_25partition_config_selectorILNS1_17partition_subalgoE4EjNS0_10empty_typeEbEEZZNS1_14partition_implILS8_4ELb0ES6_15HIP_vector_typeIjLj2EENS0_17counting_iteratorIjlEEPS9_SG_NS0_5tupleIJPjSI_NS0_16reverse_iteratorISI_EEEEENSH_IJSG_SG_SG_EEES9_SI_JZNS1_25segmented_radix_sort_implINS0_14default_configELb0EPKiPiPKlPlN2at6native12_GLOBAL__N_18offset_tEEE10hipError_tPvRmT1_PNSt15iterator_traitsIS12_E10value_typeET2_T3_PNS13_IS18_E10value_typeET4_jRbjT5_S1E_jjP12ihipStream_tbEUljE_ZNSN_ISO_Lb0ESQ_SR_ST_SU_SY_EESZ_S10_S11_S12_S16_S17_S18_S1B_S1C_jS1D_jS1E_S1E_jjS1G_bEUljE0_EEESZ_S10_S11_S18_S1C_S1E_T6_T7_T9_mT8_S1G_bDpT10_ENKUlT_T0_E_clISt17integral_constantIbLb1EES1T_IbLb0EEEEDaS1P_S1Q_EUlS1P_E_NS1_11comp_targetILNS1_3genE2ELNS1_11target_archE906ELNS1_3gpuE6ELNS1_3repE0EEENS1_30default_config_static_selectorELNS0_4arch9wavefront6targetE0EEEvS12_ ; -- Begin function _ZN7rocprim17ROCPRIM_400000_NS6detail17trampoline_kernelINS0_13select_configILj256ELj13ELNS0_17block_load_methodE3ELS4_3ELS4_3ELNS0_20block_scan_algorithmE0ELj4294967295EEENS1_25partition_config_selectorILNS1_17partition_subalgoE4EjNS0_10empty_typeEbEEZZNS1_14partition_implILS8_4ELb0ES6_15HIP_vector_typeIjLj2EENS0_17counting_iteratorIjlEEPS9_SG_NS0_5tupleIJPjSI_NS0_16reverse_iteratorISI_EEEEENSH_IJSG_SG_SG_EEES9_SI_JZNS1_25segmented_radix_sort_implINS0_14default_configELb0EPKiPiPKlPlN2at6native12_GLOBAL__N_18offset_tEEE10hipError_tPvRmT1_PNSt15iterator_traitsIS12_E10value_typeET2_T3_PNS13_IS18_E10value_typeET4_jRbjT5_S1E_jjP12ihipStream_tbEUljE_ZNSN_ISO_Lb0ESQ_SR_ST_SU_SY_EESZ_S10_S11_S12_S16_S17_S18_S1B_S1C_jS1D_jS1E_S1E_jjS1G_bEUljE0_EEESZ_S10_S11_S18_S1C_S1E_T6_T7_T9_mT8_S1G_bDpT10_ENKUlT_T0_E_clISt17integral_constantIbLb1EES1T_IbLb0EEEEDaS1P_S1Q_EUlS1P_E_NS1_11comp_targetILNS1_3genE2ELNS1_11target_archE906ELNS1_3gpuE6ELNS1_3repE0EEENS1_30default_config_static_selectorELNS0_4arch9wavefront6targetE0EEEvS12_
	.p2align	8
	.type	_ZN7rocprim17ROCPRIM_400000_NS6detail17trampoline_kernelINS0_13select_configILj256ELj13ELNS0_17block_load_methodE3ELS4_3ELS4_3ELNS0_20block_scan_algorithmE0ELj4294967295EEENS1_25partition_config_selectorILNS1_17partition_subalgoE4EjNS0_10empty_typeEbEEZZNS1_14partition_implILS8_4ELb0ES6_15HIP_vector_typeIjLj2EENS0_17counting_iteratorIjlEEPS9_SG_NS0_5tupleIJPjSI_NS0_16reverse_iteratorISI_EEEEENSH_IJSG_SG_SG_EEES9_SI_JZNS1_25segmented_radix_sort_implINS0_14default_configELb0EPKiPiPKlPlN2at6native12_GLOBAL__N_18offset_tEEE10hipError_tPvRmT1_PNSt15iterator_traitsIS12_E10value_typeET2_T3_PNS13_IS18_E10value_typeET4_jRbjT5_S1E_jjP12ihipStream_tbEUljE_ZNSN_ISO_Lb0ESQ_SR_ST_SU_SY_EESZ_S10_S11_S12_S16_S17_S18_S1B_S1C_jS1D_jS1E_S1E_jjS1G_bEUljE0_EEESZ_S10_S11_S18_S1C_S1E_T6_T7_T9_mT8_S1G_bDpT10_ENKUlT_T0_E_clISt17integral_constantIbLb1EES1T_IbLb0EEEEDaS1P_S1Q_EUlS1P_E_NS1_11comp_targetILNS1_3genE2ELNS1_11target_archE906ELNS1_3gpuE6ELNS1_3repE0EEENS1_30default_config_static_selectorELNS0_4arch9wavefront6targetE0EEEvS12_,@function
_ZN7rocprim17ROCPRIM_400000_NS6detail17trampoline_kernelINS0_13select_configILj256ELj13ELNS0_17block_load_methodE3ELS4_3ELS4_3ELNS0_20block_scan_algorithmE0ELj4294967295EEENS1_25partition_config_selectorILNS1_17partition_subalgoE4EjNS0_10empty_typeEbEEZZNS1_14partition_implILS8_4ELb0ES6_15HIP_vector_typeIjLj2EENS0_17counting_iteratorIjlEEPS9_SG_NS0_5tupleIJPjSI_NS0_16reverse_iteratorISI_EEEEENSH_IJSG_SG_SG_EEES9_SI_JZNS1_25segmented_radix_sort_implINS0_14default_configELb0EPKiPiPKlPlN2at6native12_GLOBAL__N_18offset_tEEE10hipError_tPvRmT1_PNSt15iterator_traitsIS12_E10value_typeET2_T3_PNS13_IS18_E10value_typeET4_jRbjT5_S1E_jjP12ihipStream_tbEUljE_ZNSN_ISO_Lb0ESQ_SR_ST_SU_SY_EESZ_S10_S11_S12_S16_S17_S18_S1B_S1C_jS1D_jS1E_S1E_jjS1G_bEUljE0_EEESZ_S10_S11_S18_S1C_S1E_T6_T7_T9_mT8_S1G_bDpT10_ENKUlT_T0_E_clISt17integral_constantIbLb1EES1T_IbLb0EEEEDaS1P_S1Q_EUlS1P_E_NS1_11comp_targetILNS1_3genE2ELNS1_11target_archE906ELNS1_3gpuE6ELNS1_3repE0EEENS1_30default_config_static_selectorELNS0_4arch9wavefront6targetE0EEEvS12_: ; @_ZN7rocprim17ROCPRIM_400000_NS6detail17trampoline_kernelINS0_13select_configILj256ELj13ELNS0_17block_load_methodE3ELS4_3ELS4_3ELNS0_20block_scan_algorithmE0ELj4294967295EEENS1_25partition_config_selectorILNS1_17partition_subalgoE4EjNS0_10empty_typeEbEEZZNS1_14partition_implILS8_4ELb0ES6_15HIP_vector_typeIjLj2EENS0_17counting_iteratorIjlEEPS9_SG_NS0_5tupleIJPjSI_NS0_16reverse_iteratorISI_EEEEENSH_IJSG_SG_SG_EEES9_SI_JZNS1_25segmented_radix_sort_implINS0_14default_configELb0EPKiPiPKlPlN2at6native12_GLOBAL__N_18offset_tEEE10hipError_tPvRmT1_PNSt15iterator_traitsIS12_E10value_typeET2_T3_PNS13_IS18_E10value_typeET4_jRbjT5_S1E_jjP12ihipStream_tbEUljE_ZNSN_ISO_Lb0ESQ_SR_ST_SU_SY_EESZ_S10_S11_S12_S16_S17_S18_S1B_S1C_jS1D_jS1E_S1E_jjS1G_bEUljE0_EEESZ_S10_S11_S18_S1C_S1E_T6_T7_T9_mT8_S1G_bDpT10_ENKUlT_T0_E_clISt17integral_constantIbLb1EES1T_IbLb0EEEEDaS1P_S1Q_EUlS1P_E_NS1_11comp_targetILNS1_3genE2ELNS1_11target_archE906ELNS1_3gpuE6ELNS1_3repE0EEENS1_30default_config_static_selectorELNS0_4arch9wavefront6targetE0EEEvS12_
; %bb.0:
	.section	.rodata,"a",@progbits
	.p2align	6, 0x0
	.amdhsa_kernel _ZN7rocprim17ROCPRIM_400000_NS6detail17trampoline_kernelINS0_13select_configILj256ELj13ELNS0_17block_load_methodE3ELS4_3ELS4_3ELNS0_20block_scan_algorithmE0ELj4294967295EEENS1_25partition_config_selectorILNS1_17partition_subalgoE4EjNS0_10empty_typeEbEEZZNS1_14partition_implILS8_4ELb0ES6_15HIP_vector_typeIjLj2EENS0_17counting_iteratorIjlEEPS9_SG_NS0_5tupleIJPjSI_NS0_16reverse_iteratorISI_EEEEENSH_IJSG_SG_SG_EEES9_SI_JZNS1_25segmented_radix_sort_implINS0_14default_configELb0EPKiPiPKlPlN2at6native12_GLOBAL__N_18offset_tEEE10hipError_tPvRmT1_PNSt15iterator_traitsIS12_E10value_typeET2_T3_PNS13_IS18_E10value_typeET4_jRbjT5_S1E_jjP12ihipStream_tbEUljE_ZNSN_ISO_Lb0ESQ_SR_ST_SU_SY_EESZ_S10_S11_S12_S16_S17_S18_S1B_S1C_jS1D_jS1E_S1E_jjS1G_bEUljE0_EEESZ_S10_S11_S18_S1C_S1E_T6_T7_T9_mT8_S1G_bDpT10_ENKUlT_T0_E_clISt17integral_constantIbLb1EES1T_IbLb0EEEEDaS1P_S1Q_EUlS1P_E_NS1_11comp_targetILNS1_3genE2ELNS1_11target_archE906ELNS1_3gpuE6ELNS1_3repE0EEENS1_30default_config_static_selectorELNS0_4arch9wavefront6targetE0EEEvS12_
		.amdhsa_group_segment_fixed_size 0
		.amdhsa_private_segment_fixed_size 0
		.amdhsa_kernarg_size 176
		.amdhsa_user_sgpr_count 15
		.amdhsa_user_sgpr_dispatch_ptr 0
		.amdhsa_user_sgpr_queue_ptr 0
		.amdhsa_user_sgpr_kernarg_segment_ptr 1
		.amdhsa_user_sgpr_dispatch_id 0
		.amdhsa_user_sgpr_private_segment_size 0
		.amdhsa_wavefront_size32 1
		.amdhsa_uses_dynamic_stack 0
		.amdhsa_enable_private_segment 0
		.amdhsa_system_sgpr_workgroup_id_x 1
		.amdhsa_system_sgpr_workgroup_id_y 0
		.amdhsa_system_sgpr_workgroup_id_z 0
		.amdhsa_system_sgpr_workgroup_info 0
		.amdhsa_system_vgpr_workitem_id 0
		.amdhsa_next_free_vgpr 1
		.amdhsa_next_free_sgpr 1
		.amdhsa_reserve_vcc 0
		.amdhsa_float_round_mode_32 0
		.amdhsa_float_round_mode_16_64 0
		.amdhsa_float_denorm_mode_32 3
		.amdhsa_float_denorm_mode_16_64 3
		.amdhsa_dx10_clamp 1
		.amdhsa_ieee_mode 1
		.amdhsa_fp16_overflow 0
		.amdhsa_workgroup_processor_mode 1
		.amdhsa_memory_ordered 1
		.amdhsa_forward_progress 0
		.amdhsa_shared_vgpr_count 0
		.amdhsa_exception_fp_ieee_invalid_op 0
		.amdhsa_exception_fp_denorm_src 0
		.amdhsa_exception_fp_ieee_div_zero 0
		.amdhsa_exception_fp_ieee_overflow 0
		.amdhsa_exception_fp_ieee_underflow 0
		.amdhsa_exception_fp_ieee_inexact 0
		.amdhsa_exception_int_div_zero 0
	.end_amdhsa_kernel
	.section	.text._ZN7rocprim17ROCPRIM_400000_NS6detail17trampoline_kernelINS0_13select_configILj256ELj13ELNS0_17block_load_methodE3ELS4_3ELS4_3ELNS0_20block_scan_algorithmE0ELj4294967295EEENS1_25partition_config_selectorILNS1_17partition_subalgoE4EjNS0_10empty_typeEbEEZZNS1_14partition_implILS8_4ELb0ES6_15HIP_vector_typeIjLj2EENS0_17counting_iteratorIjlEEPS9_SG_NS0_5tupleIJPjSI_NS0_16reverse_iteratorISI_EEEEENSH_IJSG_SG_SG_EEES9_SI_JZNS1_25segmented_radix_sort_implINS0_14default_configELb0EPKiPiPKlPlN2at6native12_GLOBAL__N_18offset_tEEE10hipError_tPvRmT1_PNSt15iterator_traitsIS12_E10value_typeET2_T3_PNS13_IS18_E10value_typeET4_jRbjT5_S1E_jjP12ihipStream_tbEUljE_ZNSN_ISO_Lb0ESQ_SR_ST_SU_SY_EESZ_S10_S11_S12_S16_S17_S18_S1B_S1C_jS1D_jS1E_S1E_jjS1G_bEUljE0_EEESZ_S10_S11_S18_S1C_S1E_T6_T7_T9_mT8_S1G_bDpT10_ENKUlT_T0_E_clISt17integral_constantIbLb1EES1T_IbLb0EEEEDaS1P_S1Q_EUlS1P_E_NS1_11comp_targetILNS1_3genE2ELNS1_11target_archE906ELNS1_3gpuE6ELNS1_3repE0EEENS1_30default_config_static_selectorELNS0_4arch9wavefront6targetE0EEEvS12_,"axG",@progbits,_ZN7rocprim17ROCPRIM_400000_NS6detail17trampoline_kernelINS0_13select_configILj256ELj13ELNS0_17block_load_methodE3ELS4_3ELS4_3ELNS0_20block_scan_algorithmE0ELj4294967295EEENS1_25partition_config_selectorILNS1_17partition_subalgoE4EjNS0_10empty_typeEbEEZZNS1_14partition_implILS8_4ELb0ES6_15HIP_vector_typeIjLj2EENS0_17counting_iteratorIjlEEPS9_SG_NS0_5tupleIJPjSI_NS0_16reverse_iteratorISI_EEEEENSH_IJSG_SG_SG_EEES9_SI_JZNS1_25segmented_radix_sort_implINS0_14default_configELb0EPKiPiPKlPlN2at6native12_GLOBAL__N_18offset_tEEE10hipError_tPvRmT1_PNSt15iterator_traitsIS12_E10value_typeET2_T3_PNS13_IS18_E10value_typeET4_jRbjT5_S1E_jjP12ihipStream_tbEUljE_ZNSN_ISO_Lb0ESQ_SR_ST_SU_SY_EESZ_S10_S11_S12_S16_S17_S18_S1B_S1C_jS1D_jS1E_S1E_jjS1G_bEUljE0_EEESZ_S10_S11_S18_S1C_S1E_T6_T7_T9_mT8_S1G_bDpT10_ENKUlT_T0_E_clISt17integral_constantIbLb1EES1T_IbLb0EEEEDaS1P_S1Q_EUlS1P_E_NS1_11comp_targetILNS1_3genE2ELNS1_11target_archE906ELNS1_3gpuE6ELNS1_3repE0EEENS1_30default_config_static_selectorELNS0_4arch9wavefront6targetE0EEEvS12_,comdat
.Lfunc_end556:
	.size	_ZN7rocprim17ROCPRIM_400000_NS6detail17trampoline_kernelINS0_13select_configILj256ELj13ELNS0_17block_load_methodE3ELS4_3ELS4_3ELNS0_20block_scan_algorithmE0ELj4294967295EEENS1_25partition_config_selectorILNS1_17partition_subalgoE4EjNS0_10empty_typeEbEEZZNS1_14partition_implILS8_4ELb0ES6_15HIP_vector_typeIjLj2EENS0_17counting_iteratorIjlEEPS9_SG_NS0_5tupleIJPjSI_NS0_16reverse_iteratorISI_EEEEENSH_IJSG_SG_SG_EEES9_SI_JZNS1_25segmented_radix_sort_implINS0_14default_configELb0EPKiPiPKlPlN2at6native12_GLOBAL__N_18offset_tEEE10hipError_tPvRmT1_PNSt15iterator_traitsIS12_E10value_typeET2_T3_PNS13_IS18_E10value_typeET4_jRbjT5_S1E_jjP12ihipStream_tbEUljE_ZNSN_ISO_Lb0ESQ_SR_ST_SU_SY_EESZ_S10_S11_S12_S16_S17_S18_S1B_S1C_jS1D_jS1E_S1E_jjS1G_bEUljE0_EEESZ_S10_S11_S18_S1C_S1E_T6_T7_T9_mT8_S1G_bDpT10_ENKUlT_T0_E_clISt17integral_constantIbLb1EES1T_IbLb0EEEEDaS1P_S1Q_EUlS1P_E_NS1_11comp_targetILNS1_3genE2ELNS1_11target_archE906ELNS1_3gpuE6ELNS1_3repE0EEENS1_30default_config_static_selectorELNS0_4arch9wavefront6targetE0EEEvS12_, .Lfunc_end556-_ZN7rocprim17ROCPRIM_400000_NS6detail17trampoline_kernelINS0_13select_configILj256ELj13ELNS0_17block_load_methodE3ELS4_3ELS4_3ELNS0_20block_scan_algorithmE0ELj4294967295EEENS1_25partition_config_selectorILNS1_17partition_subalgoE4EjNS0_10empty_typeEbEEZZNS1_14partition_implILS8_4ELb0ES6_15HIP_vector_typeIjLj2EENS0_17counting_iteratorIjlEEPS9_SG_NS0_5tupleIJPjSI_NS0_16reverse_iteratorISI_EEEEENSH_IJSG_SG_SG_EEES9_SI_JZNS1_25segmented_radix_sort_implINS0_14default_configELb0EPKiPiPKlPlN2at6native12_GLOBAL__N_18offset_tEEE10hipError_tPvRmT1_PNSt15iterator_traitsIS12_E10value_typeET2_T3_PNS13_IS18_E10value_typeET4_jRbjT5_S1E_jjP12ihipStream_tbEUljE_ZNSN_ISO_Lb0ESQ_SR_ST_SU_SY_EESZ_S10_S11_S12_S16_S17_S18_S1B_S1C_jS1D_jS1E_S1E_jjS1G_bEUljE0_EEESZ_S10_S11_S18_S1C_S1E_T6_T7_T9_mT8_S1G_bDpT10_ENKUlT_T0_E_clISt17integral_constantIbLb1EES1T_IbLb0EEEEDaS1P_S1Q_EUlS1P_E_NS1_11comp_targetILNS1_3genE2ELNS1_11target_archE906ELNS1_3gpuE6ELNS1_3repE0EEENS1_30default_config_static_selectorELNS0_4arch9wavefront6targetE0EEEvS12_
                                        ; -- End function
	.section	.AMDGPU.csdata,"",@progbits
; Kernel info:
; codeLenInByte = 0
; NumSgprs: 0
; NumVgprs: 0
; ScratchSize: 0
; MemoryBound: 0
; FloatMode: 240
; IeeeMode: 1
; LDSByteSize: 0 bytes/workgroup (compile time only)
; SGPRBlocks: 0
; VGPRBlocks: 0
; NumSGPRsForWavesPerEU: 1
; NumVGPRsForWavesPerEU: 1
; Occupancy: 16
; WaveLimiterHint : 0
; COMPUTE_PGM_RSRC2:SCRATCH_EN: 0
; COMPUTE_PGM_RSRC2:USER_SGPR: 15
; COMPUTE_PGM_RSRC2:TRAP_HANDLER: 0
; COMPUTE_PGM_RSRC2:TGID_X_EN: 1
; COMPUTE_PGM_RSRC2:TGID_Y_EN: 0
; COMPUTE_PGM_RSRC2:TGID_Z_EN: 0
; COMPUTE_PGM_RSRC2:TIDIG_COMP_CNT: 0
	.section	.text._ZN7rocprim17ROCPRIM_400000_NS6detail17trampoline_kernelINS0_13select_configILj256ELj13ELNS0_17block_load_methodE3ELS4_3ELS4_3ELNS0_20block_scan_algorithmE0ELj4294967295EEENS1_25partition_config_selectorILNS1_17partition_subalgoE4EjNS0_10empty_typeEbEEZZNS1_14partition_implILS8_4ELb0ES6_15HIP_vector_typeIjLj2EENS0_17counting_iteratorIjlEEPS9_SG_NS0_5tupleIJPjSI_NS0_16reverse_iteratorISI_EEEEENSH_IJSG_SG_SG_EEES9_SI_JZNS1_25segmented_radix_sort_implINS0_14default_configELb0EPKiPiPKlPlN2at6native12_GLOBAL__N_18offset_tEEE10hipError_tPvRmT1_PNSt15iterator_traitsIS12_E10value_typeET2_T3_PNS13_IS18_E10value_typeET4_jRbjT5_S1E_jjP12ihipStream_tbEUljE_ZNSN_ISO_Lb0ESQ_SR_ST_SU_SY_EESZ_S10_S11_S12_S16_S17_S18_S1B_S1C_jS1D_jS1E_S1E_jjS1G_bEUljE0_EEESZ_S10_S11_S18_S1C_S1E_T6_T7_T9_mT8_S1G_bDpT10_ENKUlT_T0_E_clISt17integral_constantIbLb1EES1T_IbLb0EEEEDaS1P_S1Q_EUlS1P_E_NS1_11comp_targetILNS1_3genE10ELNS1_11target_archE1200ELNS1_3gpuE4ELNS1_3repE0EEENS1_30default_config_static_selectorELNS0_4arch9wavefront6targetE0EEEvS12_,"axG",@progbits,_ZN7rocprim17ROCPRIM_400000_NS6detail17trampoline_kernelINS0_13select_configILj256ELj13ELNS0_17block_load_methodE3ELS4_3ELS4_3ELNS0_20block_scan_algorithmE0ELj4294967295EEENS1_25partition_config_selectorILNS1_17partition_subalgoE4EjNS0_10empty_typeEbEEZZNS1_14partition_implILS8_4ELb0ES6_15HIP_vector_typeIjLj2EENS0_17counting_iteratorIjlEEPS9_SG_NS0_5tupleIJPjSI_NS0_16reverse_iteratorISI_EEEEENSH_IJSG_SG_SG_EEES9_SI_JZNS1_25segmented_radix_sort_implINS0_14default_configELb0EPKiPiPKlPlN2at6native12_GLOBAL__N_18offset_tEEE10hipError_tPvRmT1_PNSt15iterator_traitsIS12_E10value_typeET2_T3_PNS13_IS18_E10value_typeET4_jRbjT5_S1E_jjP12ihipStream_tbEUljE_ZNSN_ISO_Lb0ESQ_SR_ST_SU_SY_EESZ_S10_S11_S12_S16_S17_S18_S1B_S1C_jS1D_jS1E_S1E_jjS1G_bEUljE0_EEESZ_S10_S11_S18_S1C_S1E_T6_T7_T9_mT8_S1G_bDpT10_ENKUlT_T0_E_clISt17integral_constantIbLb1EES1T_IbLb0EEEEDaS1P_S1Q_EUlS1P_E_NS1_11comp_targetILNS1_3genE10ELNS1_11target_archE1200ELNS1_3gpuE4ELNS1_3repE0EEENS1_30default_config_static_selectorELNS0_4arch9wavefront6targetE0EEEvS12_,comdat
	.globl	_ZN7rocprim17ROCPRIM_400000_NS6detail17trampoline_kernelINS0_13select_configILj256ELj13ELNS0_17block_load_methodE3ELS4_3ELS4_3ELNS0_20block_scan_algorithmE0ELj4294967295EEENS1_25partition_config_selectorILNS1_17partition_subalgoE4EjNS0_10empty_typeEbEEZZNS1_14partition_implILS8_4ELb0ES6_15HIP_vector_typeIjLj2EENS0_17counting_iteratorIjlEEPS9_SG_NS0_5tupleIJPjSI_NS0_16reverse_iteratorISI_EEEEENSH_IJSG_SG_SG_EEES9_SI_JZNS1_25segmented_radix_sort_implINS0_14default_configELb0EPKiPiPKlPlN2at6native12_GLOBAL__N_18offset_tEEE10hipError_tPvRmT1_PNSt15iterator_traitsIS12_E10value_typeET2_T3_PNS13_IS18_E10value_typeET4_jRbjT5_S1E_jjP12ihipStream_tbEUljE_ZNSN_ISO_Lb0ESQ_SR_ST_SU_SY_EESZ_S10_S11_S12_S16_S17_S18_S1B_S1C_jS1D_jS1E_S1E_jjS1G_bEUljE0_EEESZ_S10_S11_S18_S1C_S1E_T6_T7_T9_mT8_S1G_bDpT10_ENKUlT_T0_E_clISt17integral_constantIbLb1EES1T_IbLb0EEEEDaS1P_S1Q_EUlS1P_E_NS1_11comp_targetILNS1_3genE10ELNS1_11target_archE1200ELNS1_3gpuE4ELNS1_3repE0EEENS1_30default_config_static_selectorELNS0_4arch9wavefront6targetE0EEEvS12_ ; -- Begin function _ZN7rocprim17ROCPRIM_400000_NS6detail17trampoline_kernelINS0_13select_configILj256ELj13ELNS0_17block_load_methodE3ELS4_3ELS4_3ELNS0_20block_scan_algorithmE0ELj4294967295EEENS1_25partition_config_selectorILNS1_17partition_subalgoE4EjNS0_10empty_typeEbEEZZNS1_14partition_implILS8_4ELb0ES6_15HIP_vector_typeIjLj2EENS0_17counting_iteratorIjlEEPS9_SG_NS0_5tupleIJPjSI_NS0_16reverse_iteratorISI_EEEEENSH_IJSG_SG_SG_EEES9_SI_JZNS1_25segmented_radix_sort_implINS0_14default_configELb0EPKiPiPKlPlN2at6native12_GLOBAL__N_18offset_tEEE10hipError_tPvRmT1_PNSt15iterator_traitsIS12_E10value_typeET2_T3_PNS13_IS18_E10value_typeET4_jRbjT5_S1E_jjP12ihipStream_tbEUljE_ZNSN_ISO_Lb0ESQ_SR_ST_SU_SY_EESZ_S10_S11_S12_S16_S17_S18_S1B_S1C_jS1D_jS1E_S1E_jjS1G_bEUljE0_EEESZ_S10_S11_S18_S1C_S1E_T6_T7_T9_mT8_S1G_bDpT10_ENKUlT_T0_E_clISt17integral_constantIbLb1EES1T_IbLb0EEEEDaS1P_S1Q_EUlS1P_E_NS1_11comp_targetILNS1_3genE10ELNS1_11target_archE1200ELNS1_3gpuE4ELNS1_3repE0EEENS1_30default_config_static_selectorELNS0_4arch9wavefront6targetE0EEEvS12_
	.p2align	8
	.type	_ZN7rocprim17ROCPRIM_400000_NS6detail17trampoline_kernelINS0_13select_configILj256ELj13ELNS0_17block_load_methodE3ELS4_3ELS4_3ELNS0_20block_scan_algorithmE0ELj4294967295EEENS1_25partition_config_selectorILNS1_17partition_subalgoE4EjNS0_10empty_typeEbEEZZNS1_14partition_implILS8_4ELb0ES6_15HIP_vector_typeIjLj2EENS0_17counting_iteratorIjlEEPS9_SG_NS0_5tupleIJPjSI_NS0_16reverse_iteratorISI_EEEEENSH_IJSG_SG_SG_EEES9_SI_JZNS1_25segmented_radix_sort_implINS0_14default_configELb0EPKiPiPKlPlN2at6native12_GLOBAL__N_18offset_tEEE10hipError_tPvRmT1_PNSt15iterator_traitsIS12_E10value_typeET2_T3_PNS13_IS18_E10value_typeET4_jRbjT5_S1E_jjP12ihipStream_tbEUljE_ZNSN_ISO_Lb0ESQ_SR_ST_SU_SY_EESZ_S10_S11_S12_S16_S17_S18_S1B_S1C_jS1D_jS1E_S1E_jjS1G_bEUljE0_EEESZ_S10_S11_S18_S1C_S1E_T6_T7_T9_mT8_S1G_bDpT10_ENKUlT_T0_E_clISt17integral_constantIbLb1EES1T_IbLb0EEEEDaS1P_S1Q_EUlS1P_E_NS1_11comp_targetILNS1_3genE10ELNS1_11target_archE1200ELNS1_3gpuE4ELNS1_3repE0EEENS1_30default_config_static_selectorELNS0_4arch9wavefront6targetE0EEEvS12_,@function
_ZN7rocprim17ROCPRIM_400000_NS6detail17trampoline_kernelINS0_13select_configILj256ELj13ELNS0_17block_load_methodE3ELS4_3ELS4_3ELNS0_20block_scan_algorithmE0ELj4294967295EEENS1_25partition_config_selectorILNS1_17partition_subalgoE4EjNS0_10empty_typeEbEEZZNS1_14partition_implILS8_4ELb0ES6_15HIP_vector_typeIjLj2EENS0_17counting_iteratorIjlEEPS9_SG_NS0_5tupleIJPjSI_NS0_16reverse_iteratorISI_EEEEENSH_IJSG_SG_SG_EEES9_SI_JZNS1_25segmented_radix_sort_implINS0_14default_configELb0EPKiPiPKlPlN2at6native12_GLOBAL__N_18offset_tEEE10hipError_tPvRmT1_PNSt15iterator_traitsIS12_E10value_typeET2_T3_PNS13_IS18_E10value_typeET4_jRbjT5_S1E_jjP12ihipStream_tbEUljE_ZNSN_ISO_Lb0ESQ_SR_ST_SU_SY_EESZ_S10_S11_S12_S16_S17_S18_S1B_S1C_jS1D_jS1E_S1E_jjS1G_bEUljE0_EEESZ_S10_S11_S18_S1C_S1E_T6_T7_T9_mT8_S1G_bDpT10_ENKUlT_T0_E_clISt17integral_constantIbLb1EES1T_IbLb0EEEEDaS1P_S1Q_EUlS1P_E_NS1_11comp_targetILNS1_3genE10ELNS1_11target_archE1200ELNS1_3gpuE4ELNS1_3repE0EEENS1_30default_config_static_selectorELNS0_4arch9wavefront6targetE0EEEvS12_: ; @_ZN7rocprim17ROCPRIM_400000_NS6detail17trampoline_kernelINS0_13select_configILj256ELj13ELNS0_17block_load_methodE3ELS4_3ELS4_3ELNS0_20block_scan_algorithmE0ELj4294967295EEENS1_25partition_config_selectorILNS1_17partition_subalgoE4EjNS0_10empty_typeEbEEZZNS1_14partition_implILS8_4ELb0ES6_15HIP_vector_typeIjLj2EENS0_17counting_iteratorIjlEEPS9_SG_NS0_5tupleIJPjSI_NS0_16reverse_iteratorISI_EEEEENSH_IJSG_SG_SG_EEES9_SI_JZNS1_25segmented_radix_sort_implINS0_14default_configELb0EPKiPiPKlPlN2at6native12_GLOBAL__N_18offset_tEEE10hipError_tPvRmT1_PNSt15iterator_traitsIS12_E10value_typeET2_T3_PNS13_IS18_E10value_typeET4_jRbjT5_S1E_jjP12ihipStream_tbEUljE_ZNSN_ISO_Lb0ESQ_SR_ST_SU_SY_EESZ_S10_S11_S12_S16_S17_S18_S1B_S1C_jS1D_jS1E_S1E_jjS1G_bEUljE0_EEESZ_S10_S11_S18_S1C_S1E_T6_T7_T9_mT8_S1G_bDpT10_ENKUlT_T0_E_clISt17integral_constantIbLb1EES1T_IbLb0EEEEDaS1P_S1Q_EUlS1P_E_NS1_11comp_targetILNS1_3genE10ELNS1_11target_archE1200ELNS1_3gpuE4ELNS1_3repE0EEENS1_30default_config_static_selectorELNS0_4arch9wavefront6targetE0EEEvS12_
; %bb.0:
	.section	.rodata,"a",@progbits
	.p2align	6, 0x0
	.amdhsa_kernel _ZN7rocprim17ROCPRIM_400000_NS6detail17trampoline_kernelINS0_13select_configILj256ELj13ELNS0_17block_load_methodE3ELS4_3ELS4_3ELNS0_20block_scan_algorithmE0ELj4294967295EEENS1_25partition_config_selectorILNS1_17partition_subalgoE4EjNS0_10empty_typeEbEEZZNS1_14partition_implILS8_4ELb0ES6_15HIP_vector_typeIjLj2EENS0_17counting_iteratorIjlEEPS9_SG_NS0_5tupleIJPjSI_NS0_16reverse_iteratorISI_EEEEENSH_IJSG_SG_SG_EEES9_SI_JZNS1_25segmented_radix_sort_implINS0_14default_configELb0EPKiPiPKlPlN2at6native12_GLOBAL__N_18offset_tEEE10hipError_tPvRmT1_PNSt15iterator_traitsIS12_E10value_typeET2_T3_PNS13_IS18_E10value_typeET4_jRbjT5_S1E_jjP12ihipStream_tbEUljE_ZNSN_ISO_Lb0ESQ_SR_ST_SU_SY_EESZ_S10_S11_S12_S16_S17_S18_S1B_S1C_jS1D_jS1E_S1E_jjS1G_bEUljE0_EEESZ_S10_S11_S18_S1C_S1E_T6_T7_T9_mT8_S1G_bDpT10_ENKUlT_T0_E_clISt17integral_constantIbLb1EES1T_IbLb0EEEEDaS1P_S1Q_EUlS1P_E_NS1_11comp_targetILNS1_3genE10ELNS1_11target_archE1200ELNS1_3gpuE4ELNS1_3repE0EEENS1_30default_config_static_selectorELNS0_4arch9wavefront6targetE0EEEvS12_
		.amdhsa_group_segment_fixed_size 0
		.amdhsa_private_segment_fixed_size 0
		.amdhsa_kernarg_size 176
		.amdhsa_user_sgpr_count 15
		.amdhsa_user_sgpr_dispatch_ptr 0
		.amdhsa_user_sgpr_queue_ptr 0
		.amdhsa_user_sgpr_kernarg_segment_ptr 1
		.amdhsa_user_sgpr_dispatch_id 0
		.amdhsa_user_sgpr_private_segment_size 0
		.amdhsa_wavefront_size32 1
		.amdhsa_uses_dynamic_stack 0
		.amdhsa_enable_private_segment 0
		.amdhsa_system_sgpr_workgroup_id_x 1
		.amdhsa_system_sgpr_workgroup_id_y 0
		.amdhsa_system_sgpr_workgroup_id_z 0
		.amdhsa_system_sgpr_workgroup_info 0
		.amdhsa_system_vgpr_workitem_id 0
		.amdhsa_next_free_vgpr 1
		.amdhsa_next_free_sgpr 1
		.amdhsa_reserve_vcc 0
		.amdhsa_float_round_mode_32 0
		.amdhsa_float_round_mode_16_64 0
		.amdhsa_float_denorm_mode_32 3
		.amdhsa_float_denorm_mode_16_64 3
		.amdhsa_dx10_clamp 1
		.amdhsa_ieee_mode 1
		.amdhsa_fp16_overflow 0
		.amdhsa_workgroup_processor_mode 1
		.amdhsa_memory_ordered 1
		.amdhsa_forward_progress 0
		.amdhsa_shared_vgpr_count 0
		.amdhsa_exception_fp_ieee_invalid_op 0
		.amdhsa_exception_fp_denorm_src 0
		.amdhsa_exception_fp_ieee_div_zero 0
		.amdhsa_exception_fp_ieee_overflow 0
		.amdhsa_exception_fp_ieee_underflow 0
		.amdhsa_exception_fp_ieee_inexact 0
		.amdhsa_exception_int_div_zero 0
	.end_amdhsa_kernel
	.section	.text._ZN7rocprim17ROCPRIM_400000_NS6detail17trampoline_kernelINS0_13select_configILj256ELj13ELNS0_17block_load_methodE3ELS4_3ELS4_3ELNS0_20block_scan_algorithmE0ELj4294967295EEENS1_25partition_config_selectorILNS1_17partition_subalgoE4EjNS0_10empty_typeEbEEZZNS1_14partition_implILS8_4ELb0ES6_15HIP_vector_typeIjLj2EENS0_17counting_iteratorIjlEEPS9_SG_NS0_5tupleIJPjSI_NS0_16reverse_iteratorISI_EEEEENSH_IJSG_SG_SG_EEES9_SI_JZNS1_25segmented_radix_sort_implINS0_14default_configELb0EPKiPiPKlPlN2at6native12_GLOBAL__N_18offset_tEEE10hipError_tPvRmT1_PNSt15iterator_traitsIS12_E10value_typeET2_T3_PNS13_IS18_E10value_typeET4_jRbjT5_S1E_jjP12ihipStream_tbEUljE_ZNSN_ISO_Lb0ESQ_SR_ST_SU_SY_EESZ_S10_S11_S12_S16_S17_S18_S1B_S1C_jS1D_jS1E_S1E_jjS1G_bEUljE0_EEESZ_S10_S11_S18_S1C_S1E_T6_T7_T9_mT8_S1G_bDpT10_ENKUlT_T0_E_clISt17integral_constantIbLb1EES1T_IbLb0EEEEDaS1P_S1Q_EUlS1P_E_NS1_11comp_targetILNS1_3genE10ELNS1_11target_archE1200ELNS1_3gpuE4ELNS1_3repE0EEENS1_30default_config_static_selectorELNS0_4arch9wavefront6targetE0EEEvS12_,"axG",@progbits,_ZN7rocprim17ROCPRIM_400000_NS6detail17trampoline_kernelINS0_13select_configILj256ELj13ELNS0_17block_load_methodE3ELS4_3ELS4_3ELNS0_20block_scan_algorithmE0ELj4294967295EEENS1_25partition_config_selectorILNS1_17partition_subalgoE4EjNS0_10empty_typeEbEEZZNS1_14partition_implILS8_4ELb0ES6_15HIP_vector_typeIjLj2EENS0_17counting_iteratorIjlEEPS9_SG_NS0_5tupleIJPjSI_NS0_16reverse_iteratorISI_EEEEENSH_IJSG_SG_SG_EEES9_SI_JZNS1_25segmented_radix_sort_implINS0_14default_configELb0EPKiPiPKlPlN2at6native12_GLOBAL__N_18offset_tEEE10hipError_tPvRmT1_PNSt15iterator_traitsIS12_E10value_typeET2_T3_PNS13_IS18_E10value_typeET4_jRbjT5_S1E_jjP12ihipStream_tbEUljE_ZNSN_ISO_Lb0ESQ_SR_ST_SU_SY_EESZ_S10_S11_S12_S16_S17_S18_S1B_S1C_jS1D_jS1E_S1E_jjS1G_bEUljE0_EEESZ_S10_S11_S18_S1C_S1E_T6_T7_T9_mT8_S1G_bDpT10_ENKUlT_T0_E_clISt17integral_constantIbLb1EES1T_IbLb0EEEEDaS1P_S1Q_EUlS1P_E_NS1_11comp_targetILNS1_3genE10ELNS1_11target_archE1200ELNS1_3gpuE4ELNS1_3repE0EEENS1_30default_config_static_selectorELNS0_4arch9wavefront6targetE0EEEvS12_,comdat
.Lfunc_end557:
	.size	_ZN7rocprim17ROCPRIM_400000_NS6detail17trampoline_kernelINS0_13select_configILj256ELj13ELNS0_17block_load_methodE3ELS4_3ELS4_3ELNS0_20block_scan_algorithmE0ELj4294967295EEENS1_25partition_config_selectorILNS1_17partition_subalgoE4EjNS0_10empty_typeEbEEZZNS1_14partition_implILS8_4ELb0ES6_15HIP_vector_typeIjLj2EENS0_17counting_iteratorIjlEEPS9_SG_NS0_5tupleIJPjSI_NS0_16reverse_iteratorISI_EEEEENSH_IJSG_SG_SG_EEES9_SI_JZNS1_25segmented_radix_sort_implINS0_14default_configELb0EPKiPiPKlPlN2at6native12_GLOBAL__N_18offset_tEEE10hipError_tPvRmT1_PNSt15iterator_traitsIS12_E10value_typeET2_T3_PNS13_IS18_E10value_typeET4_jRbjT5_S1E_jjP12ihipStream_tbEUljE_ZNSN_ISO_Lb0ESQ_SR_ST_SU_SY_EESZ_S10_S11_S12_S16_S17_S18_S1B_S1C_jS1D_jS1E_S1E_jjS1G_bEUljE0_EEESZ_S10_S11_S18_S1C_S1E_T6_T7_T9_mT8_S1G_bDpT10_ENKUlT_T0_E_clISt17integral_constantIbLb1EES1T_IbLb0EEEEDaS1P_S1Q_EUlS1P_E_NS1_11comp_targetILNS1_3genE10ELNS1_11target_archE1200ELNS1_3gpuE4ELNS1_3repE0EEENS1_30default_config_static_selectorELNS0_4arch9wavefront6targetE0EEEvS12_, .Lfunc_end557-_ZN7rocprim17ROCPRIM_400000_NS6detail17trampoline_kernelINS0_13select_configILj256ELj13ELNS0_17block_load_methodE3ELS4_3ELS4_3ELNS0_20block_scan_algorithmE0ELj4294967295EEENS1_25partition_config_selectorILNS1_17partition_subalgoE4EjNS0_10empty_typeEbEEZZNS1_14partition_implILS8_4ELb0ES6_15HIP_vector_typeIjLj2EENS0_17counting_iteratorIjlEEPS9_SG_NS0_5tupleIJPjSI_NS0_16reverse_iteratorISI_EEEEENSH_IJSG_SG_SG_EEES9_SI_JZNS1_25segmented_radix_sort_implINS0_14default_configELb0EPKiPiPKlPlN2at6native12_GLOBAL__N_18offset_tEEE10hipError_tPvRmT1_PNSt15iterator_traitsIS12_E10value_typeET2_T3_PNS13_IS18_E10value_typeET4_jRbjT5_S1E_jjP12ihipStream_tbEUljE_ZNSN_ISO_Lb0ESQ_SR_ST_SU_SY_EESZ_S10_S11_S12_S16_S17_S18_S1B_S1C_jS1D_jS1E_S1E_jjS1G_bEUljE0_EEESZ_S10_S11_S18_S1C_S1E_T6_T7_T9_mT8_S1G_bDpT10_ENKUlT_T0_E_clISt17integral_constantIbLb1EES1T_IbLb0EEEEDaS1P_S1Q_EUlS1P_E_NS1_11comp_targetILNS1_3genE10ELNS1_11target_archE1200ELNS1_3gpuE4ELNS1_3repE0EEENS1_30default_config_static_selectorELNS0_4arch9wavefront6targetE0EEEvS12_
                                        ; -- End function
	.section	.AMDGPU.csdata,"",@progbits
; Kernel info:
; codeLenInByte = 0
; NumSgprs: 0
; NumVgprs: 0
; ScratchSize: 0
; MemoryBound: 0
; FloatMode: 240
; IeeeMode: 1
; LDSByteSize: 0 bytes/workgroup (compile time only)
; SGPRBlocks: 0
; VGPRBlocks: 0
; NumSGPRsForWavesPerEU: 1
; NumVGPRsForWavesPerEU: 1
; Occupancy: 16
; WaveLimiterHint : 0
; COMPUTE_PGM_RSRC2:SCRATCH_EN: 0
; COMPUTE_PGM_RSRC2:USER_SGPR: 15
; COMPUTE_PGM_RSRC2:TRAP_HANDLER: 0
; COMPUTE_PGM_RSRC2:TGID_X_EN: 1
; COMPUTE_PGM_RSRC2:TGID_Y_EN: 0
; COMPUTE_PGM_RSRC2:TGID_Z_EN: 0
; COMPUTE_PGM_RSRC2:TIDIG_COMP_CNT: 0
	.section	.text._ZN7rocprim17ROCPRIM_400000_NS6detail17trampoline_kernelINS0_13select_configILj256ELj13ELNS0_17block_load_methodE3ELS4_3ELS4_3ELNS0_20block_scan_algorithmE0ELj4294967295EEENS1_25partition_config_selectorILNS1_17partition_subalgoE4EjNS0_10empty_typeEbEEZZNS1_14partition_implILS8_4ELb0ES6_15HIP_vector_typeIjLj2EENS0_17counting_iteratorIjlEEPS9_SG_NS0_5tupleIJPjSI_NS0_16reverse_iteratorISI_EEEEENSH_IJSG_SG_SG_EEES9_SI_JZNS1_25segmented_radix_sort_implINS0_14default_configELb0EPKiPiPKlPlN2at6native12_GLOBAL__N_18offset_tEEE10hipError_tPvRmT1_PNSt15iterator_traitsIS12_E10value_typeET2_T3_PNS13_IS18_E10value_typeET4_jRbjT5_S1E_jjP12ihipStream_tbEUljE_ZNSN_ISO_Lb0ESQ_SR_ST_SU_SY_EESZ_S10_S11_S12_S16_S17_S18_S1B_S1C_jS1D_jS1E_S1E_jjS1G_bEUljE0_EEESZ_S10_S11_S18_S1C_S1E_T6_T7_T9_mT8_S1G_bDpT10_ENKUlT_T0_E_clISt17integral_constantIbLb1EES1T_IbLb0EEEEDaS1P_S1Q_EUlS1P_E_NS1_11comp_targetILNS1_3genE9ELNS1_11target_archE1100ELNS1_3gpuE3ELNS1_3repE0EEENS1_30default_config_static_selectorELNS0_4arch9wavefront6targetE0EEEvS12_,"axG",@progbits,_ZN7rocprim17ROCPRIM_400000_NS6detail17trampoline_kernelINS0_13select_configILj256ELj13ELNS0_17block_load_methodE3ELS4_3ELS4_3ELNS0_20block_scan_algorithmE0ELj4294967295EEENS1_25partition_config_selectorILNS1_17partition_subalgoE4EjNS0_10empty_typeEbEEZZNS1_14partition_implILS8_4ELb0ES6_15HIP_vector_typeIjLj2EENS0_17counting_iteratorIjlEEPS9_SG_NS0_5tupleIJPjSI_NS0_16reverse_iteratorISI_EEEEENSH_IJSG_SG_SG_EEES9_SI_JZNS1_25segmented_radix_sort_implINS0_14default_configELb0EPKiPiPKlPlN2at6native12_GLOBAL__N_18offset_tEEE10hipError_tPvRmT1_PNSt15iterator_traitsIS12_E10value_typeET2_T3_PNS13_IS18_E10value_typeET4_jRbjT5_S1E_jjP12ihipStream_tbEUljE_ZNSN_ISO_Lb0ESQ_SR_ST_SU_SY_EESZ_S10_S11_S12_S16_S17_S18_S1B_S1C_jS1D_jS1E_S1E_jjS1G_bEUljE0_EEESZ_S10_S11_S18_S1C_S1E_T6_T7_T9_mT8_S1G_bDpT10_ENKUlT_T0_E_clISt17integral_constantIbLb1EES1T_IbLb0EEEEDaS1P_S1Q_EUlS1P_E_NS1_11comp_targetILNS1_3genE9ELNS1_11target_archE1100ELNS1_3gpuE3ELNS1_3repE0EEENS1_30default_config_static_selectorELNS0_4arch9wavefront6targetE0EEEvS12_,comdat
	.globl	_ZN7rocprim17ROCPRIM_400000_NS6detail17trampoline_kernelINS0_13select_configILj256ELj13ELNS0_17block_load_methodE3ELS4_3ELS4_3ELNS0_20block_scan_algorithmE0ELj4294967295EEENS1_25partition_config_selectorILNS1_17partition_subalgoE4EjNS0_10empty_typeEbEEZZNS1_14partition_implILS8_4ELb0ES6_15HIP_vector_typeIjLj2EENS0_17counting_iteratorIjlEEPS9_SG_NS0_5tupleIJPjSI_NS0_16reverse_iteratorISI_EEEEENSH_IJSG_SG_SG_EEES9_SI_JZNS1_25segmented_radix_sort_implINS0_14default_configELb0EPKiPiPKlPlN2at6native12_GLOBAL__N_18offset_tEEE10hipError_tPvRmT1_PNSt15iterator_traitsIS12_E10value_typeET2_T3_PNS13_IS18_E10value_typeET4_jRbjT5_S1E_jjP12ihipStream_tbEUljE_ZNSN_ISO_Lb0ESQ_SR_ST_SU_SY_EESZ_S10_S11_S12_S16_S17_S18_S1B_S1C_jS1D_jS1E_S1E_jjS1G_bEUljE0_EEESZ_S10_S11_S18_S1C_S1E_T6_T7_T9_mT8_S1G_bDpT10_ENKUlT_T0_E_clISt17integral_constantIbLb1EES1T_IbLb0EEEEDaS1P_S1Q_EUlS1P_E_NS1_11comp_targetILNS1_3genE9ELNS1_11target_archE1100ELNS1_3gpuE3ELNS1_3repE0EEENS1_30default_config_static_selectorELNS0_4arch9wavefront6targetE0EEEvS12_ ; -- Begin function _ZN7rocprim17ROCPRIM_400000_NS6detail17trampoline_kernelINS0_13select_configILj256ELj13ELNS0_17block_load_methodE3ELS4_3ELS4_3ELNS0_20block_scan_algorithmE0ELj4294967295EEENS1_25partition_config_selectorILNS1_17partition_subalgoE4EjNS0_10empty_typeEbEEZZNS1_14partition_implILS8_4ELb0ES6_15HIP_vector_typeIjLj2EENS0_17counting_iteratorIjlEEPS9_SG_NS0_5tupleIJPjSI_NS0_16reverse_iteratorISI_EEEEENSH_IJSG_SG_SG_EEES9_SI_JZNS1_25segmented_radix_sort_implINS0_14default_configELb0EPKiPiPKlPlN2at6native12_GLOBAL__N_18offset_tEEE10hipError_tPvRmT1_PNSt15iterator_traitsIS12_E10value_typeET2_T3_PNS13_IS18_E10value_typeET4_jRbjT5_S1E_jjP12ihipStream_tbEUljE_ZNSN_ISO_Lb0ESQ_SR_ST_SU_SY_EESZ_S10_S11_S12_S16_S17_S18_S1B_S1C_jS1D_jS1E_S1E_jjS1G_bEUljE0_EEESZ_S10_S11_S18_S1C_S1E_T6_T7_T9_mT8_S1G_bDpT10_ENKUlT_T0_E_clISt17integral_constantIbLb1EES1T_IbLb0EEEEDaS1P_S1Q_EUlS1P_E_NS1_11comp_targetILNS1_3genE9ELNS1_11target_archE1100ELNS1_3gpuE3ELNS1_3repE0EEENS1_30default_config_static_selectorELNS0_4arch9wavefront6targetE0EEEvS12_
	.p2align	8
	.type	_ZN7rocprim17ROCPRIM_400000_NS6detail17trampoline_kernelINS0_13select_configILj256ELj13ELNS0_17block_load_methodE3ELS4_3ELS4_3ELNS0_20block_scan_algorithmE0ELj4294967295EEENS1_25partition_config_selectorILNS1_17partition_subalgoE4EjNS0_10empty_typeEbEEZZNS1_14partition_implILS8_4ELb0ES6_15HIP_vector_typeIjLj2EENS0_17counting_iteratorIjlEEPS9_SG_NS0_5tupleIJPjSI_NS0_16reverse_iteratorISI_EEEEENSH_IJSG_SG_SG_EEES9_SI_JZNS1_25segmented_radix_sort_implINS0_14default_configELb0EPKiPiPKlPlN2at6native12_GLOBAL__N_18offset_tEEE10hipError_tPvRmT1_PNSt15iterator_traitsIS12_E10value_typeET2_T3_PNS13_IS18_E10value_typeET4_jRbjT5_S1E_jjP12ihipStream_tbEUljE_ZNSN_ISO_Lb0ESQ_SR_ST_SU_SY_EESZ_S10_S11_S12_S16_S17_S18_S1B_S1C_jS1D_jS1E_S1E_jjS1G_bEUljE0_EEESZ_S10_S11_S18_S1C_S1E_T6_T7_T9_mT8_S1G_bDpT10_ENKUlT_T0_E_clISt17integral_constantIbLb1EES1T_IbLb0EEEEDaS1P_S1Q_EUlS1P_E_NS1_11comp_targetILNS1_3genE9ELNS1_11target_archE1100ELNS1_3gpuE3ELNS1_3repE0EEENS1_30default_config_static_selectorELNS0_4arch9wavefront6targetE0EEEvS12_,@function
_ZN7rocprim17ROCPRIM_400000_NS6detail17trampoline_kernelINS0_13select_configILj256ELj13ELNS0_17block_load_methodE3ELS4_3ELS4_3ELNS0_20block_scan_algorithmE0ELj4294967295EEENS1_25partition_config_selectorILNS1_17partition_subalgoE4EjNS0_10empty_typeEbEEZZNS1_14partition_implILS8_4ELb0ES6_15HIP_vector_typeIjLj2EENS0_17counting_iteratorIjlEEPS9_SG_NS0_5tupleIJPjSI_NS0_16reverse_iteratorISI_EEEEENSH_IJSG_SG_SG_EEES9_SI_JZNS1_25segmented_radix_sort_implINS0_14default_configELb0EPKiPiPKlPlN2at6native12_GLOBAL__N_18offset_tEEE10hipError_tPvRmT1_PNSt15iterator_traitsIS12_E10value_typeET2_T3_PNS13_IS18_E10value_typeET4_jRbjT5_S1E_jjP12ihipStream_tbEUljE_ZNSN_ISO_Lb0ESQ_SR_ST_SU_SY_EESZ_S10_S11_S12_S16_S17_S18_S1B_S1C_jS1D_jS1E_S1E_jjS1G_bEUljE0_EEESZ_S10_S11_S18_S1C_S1E_T6_T7_T9_mT8_S1G_bDpT10_ENKUlT_T0_E_clISt17integral_constantIbLb1EES1T_IbLb0EEEEDaS1P_S1Q_EUlS1P_E_NS1_11comp_targetILNS1_3genE9ELNS1_11target_archE1100ELNS1_3gpuE3ELNS1_3repE0EEENS1_30default_config_static_selectorELNS0_4arch9wavefront6targetE0EEEvS12_: ; @_ZN7rocprim17ROCPRIM_400000_NS6detail17trampoline_kernelINS0_13select_configILj256ELj13ELNS0_17block_load_methodE3ELS4_3ELS4_3ELNS0_20block_scan_algorithmE0ELj4294967295EEENS1_25partition_config_selectorILNS1_17partition_subalgoE4EjNS0_10empty_typeEbEEZZNS1_14partition_implILS8_4ELb0ES6_15HIP_vector_typeIjLj2EENS0_17counting_iteratorIjlEEPS9_SG_NS0_5tupleIJPjSI_NS0_16reverse_iteratorISI_EEEEENSH_IJSG_SG_SG_EEES9_SI_JZNS1_25segmented_radix_sort_implINS0_14default_configELb0EPKiPiPKlPlN2at6native12_GLOBAL__N_18offset_tEEE10hipError_tPvRmT1_PNSt15iterator_traitsIS12_E10value_typeET2_T3_PNS13_IS18_E10value_typeET4_jRbjT5_S1E_jjP12ihipStream_tbEUljE_ZNSN_ISO_Lb0ESQ_SR_ST_SU_SY_EESZ_S10_S11_S12_S16_S17_S18_S1B_S1C_jS1D_jS1E_S1E_jjS1G_bEUljE0_EEESZ_S10_S11_S18_S1C_S1E_T6_T7_T9_mT8_S1G_bDpT10_ENKUlT_T0_E_clISt17integral_constantIbLb1EES1T_IbLb0EEEEDaS1P_S1Q_EUlS1P_E_NS1_11comp_targetILNS1_3genE9ELNS1_11target_archE1100ELNS1_3gpuE3ELNS1_3repE0EEENS1_30default_config_static_selectorELNS0_4arch9wavefront6targetE0EEEvS12_
; %bb.0:
	s_clause 0x6
	s_load_b32 s5, s[0:1], 0x80
	s_load_b64 s[34:35], s[0:1], 0x10
	s_load_b64 s[2:3], s[0:1], 0x68
	s_load_b32 s8, s[0:1], 0x8
	s_load_b128 s[24:27], s[0:1], 0x58
	s_load_b64 s[40:41], s[0:1], 0xa8
	s_load_b256 s[16:23], s[0:1], 0x88
	s_mul_i32 s33, s15, 0xd00
	s_waitcnt lgkmcnt(0)
	s_mul_i32 s4, s5, 0xd00
	s_add_i32 s5, s5, -1
	s_add_u32 s6, s34, s4
	s_addc_u32 s7, s35, 0
	s_load_b128 s[28:31], s[26:27], 0x0
	s_cmp_eq_u32 s15, s5
	v_cmp_lt_u64_e64 s3, s[6:7], s[2:3]
	s_cselect_b32 s14, -1, 0
	s_cmp_lg_u32 s15, s5
	s_cselect_b32 s5, -1, 0
	s_add_i32 s6, s8, s33
	s_delay_alu instid0(VALU_DEP_1) | instskip(SKIP_4) | instid1(VALU_DEP_1)
	s_or_b32 s3, s5, s3
	s_add_i32 s6, s6, s34
	s_and_b32 vcc_lo, exec_lo, s3
	v_add_nc_u32_e32 v1, s6, v0
	s_mov_b32 s5, -1
	v_add_nc_u32_e32 v2, 0x100, v1
	v_add_nc_u32_e32 v3, 0x200, v1
	v_add_nc_u32_e32 v4, 0x300, v1
	v_add_nc_u32_e32 v5, 0x400, v1
	v_add_nc_u32_e32 v6, 0x500, v1
	v_add_nc_u32_e32 v7, 0x600, v1
	v_add_nc_u32_e32 v8, 0x700, v1
	v_add_nc_u32_e32 v9, 0x800, v1
	v_add_nc_u32_e32 v10, 0x900, v1
	v_add_nc_u32_e32 v11, 0xa00, v1
	v_add_nc_u32_e32 v12, 0xb00, v1
	v_add_nc_u32_e32 v13, 0xc00, v1
	s_cbranch_vccz .LBB558_2
; %bb.1:
	v_lshlrev_b32_e32 v14, 2, v0
	s_mov_b32 s5, 0
	ds_store_2addr_stride64_b32 v14, v1, v2 offset1:4
	ds_store_2addr_stride64_b32 v14, v3, v4 offset0:8 offset1:12
	ds_store_2addr_stride64_b32 v14, v5, v6 offset0:16 offset1:20
	;; [unrolled: 1-line block ×5, first 2 shown]
	ds_store_b32 v14, v13 offset:12288
	s_waitcnt lgkmcnt(0)
	s_barrier
.LBB558_2:
	s_and_not1_b32 vcc_lo, exec_lo, s5
	s_add_i32 s4, s4, s34
	s_cbranch_vccnz .LBB558_4
; %bb.3:
	v_lshlrev_b32_e32 v14, 2, v0
	ds_store_2addr_stride64_b32 v14, v1, v2 offset1:4
	ds_store_2addr_stride64_b32 v14, v3, v4 offset0:8 offset1:12
	ds_store_2addr_stride64_b32 v14, v5, v6 offset0:16 offset1:20
	;; [unrolled: 1-line block ×5, first 2 shown]
	ds_store_b32 v14, v13 offset:12288
	s_waitcnt lgkmcnt(0)
	s_barrier
.LBB558_4:
	v_mul_u32_u24_e32 v28, 13, v0
	s_clause 0x1
	s_load_b128 s[36:39], s[0:1], 0x28
	s_load_b64 s[26:27], s[0:1], 0x38
	s_waitcnt lgkmcnt(0)
	buffer_gl0_inv
	v_cndmask_b32_e64 v26, 0, 1, s3
	s_sub_i32 s44, s2, s4
	v_lshlrev_b32_e32 v1, 2, v28
	s_and_not1_b32 vcc_lo, exec_lo, s3
	ds_load_2addr_b32 v[16:17], v1 offset1:1
	ds_load_2addr_b32 v[14:15], v1 offset0:2 offset1:3
	ds_load_2addr_b32 v[12:13], v1 offset0:4 offset1:5
	;; [unrolled: 1-line block ×5, first 2 shown]
	ds_load_b32 v27, v1 offset:48
	s_waitcnt lgkmcnt(0)
	s_barrier
	buffer_gl0_inv
	s_cbranch_vccnz .LBB558_32
; %bb.5:
	v_add_nc_u32_e32 v1, s17, v16
	v_add_nc_u32_e32 v2, s19, v16
	s_mov_b32 s46, 0
	s_mov_b32 s45, 0
	s_mov_b32 s3, exec_lo
	v_mul_lo_u32 v1, v1, s16
	v_mul_lo_u32 v2, v2, s18
	s_delay_alu instid0(VALU_DEP_1) | instskip(NEXT) | instid1(VALU_DEP_1)
	v_sub_nc_u32_e32 v1, v1, v2
	v_cmp_lt_u32_e32 vcc_lo, s20, v1
	v_cmpx_ge_u32_e64 s20, v1
; %bb.6:
	v_add_nc_u32_e32 v1, s22, v16
	v_add_nc_u32_e32 v2, s40, v16
	s_delay_alu instid0(VALU_DEP_2) | instskip(NEXT) | instid1(VALU_DEP_2)
	v_mul_lo_u32 v1, v1, s21
	v_mul_lo_u32 v2, v2, s23
	s_delay_alu instid0(VALU_DEP_1) | instskip(NEXT) | instid1(VALU_DEP_1)
	v_sub_nc_u32_e32 v1, v1, v2
	v_cmp_lt_u32_e64 s2, s41, v1
	s_delay_alu instid0(VALU_DEP_1)
	s_and_b32 s45, s2, exec_lo
; %bb.7:
	s_or_b32 exec_lo, exec_lo, s3
	v_add_nc_u32_e32 v1, s17, v17
	v_add_nc_u32_e32 v2, s19, v17
	s_mov_b32 s4, exec_lo
	s_delay_alu instid0(VALU_DEP_2) | instskip(NEXT) | instid1(VALU_DEP_2)
	v_mul_lo_u32 v1, v1, s16
	v_mul_lo_u32 v2, v2, s18
	s_delay_alu instid0(VALU_DEP_1) | instskip(NEXT) | instid1(VALU_DEP_1)
	v_sub_nc_u32_e32 v1, v1, v2
	v_cmp_lt_u32_e64 s2, s20, v1
	v_cmpx_ge_u32_e64 s20, v1
; %bb.8:
	v_add_nc_u32_e32 v1, s22, v17
	v_add_nc_u32_e32 v2, s40, v17
	s_delay_alu instid0(VALU_DEP_2) | instskip(NEXT) | instid1(VALU_DEP_2)
	v_mul_lo_u32 v1, v1, s21
	v_mul_lo_u32 v2, v2, s23
	s_delay_alu instid0(VALU_DEP_1) | instskip(NEXT) | instid1(VALU_DEP_1)
	v_sub_nc_u32_e32 v1, v1, v2
	v_cmp_lt_u32_e64 s3, s41, v1
	s_delay_alu instid0(VALU_DEP_1)
	s_and_b32 s46, s3, exec_lo
; %bb.9:
	s_or_b32 exec_lo, exec_lo, s4
	v_add_nc_u32_e32 v1, s17, v14
	v_add_nc_u32_e32 v2, s19, v14
	s_mov_b32 s48, 0
	s_mov_b32 s47, 0
	s_mov_b32 s5, exec_lo
	v_mul_lo_u32 v1, v1, s16
	v_mul_lo_u32 v2, v2, s18
	s_delay_alu instid0(VALU_DEP_1) | instskip(NEXT) | instid1(VALU_DEP_1)
	v_sub_nc_u32_e32 v1, v1, v2
	v_cmp_lt_u32_e64 s3, s20, v1
	v_cmpx_ge_u32_e64 s20, v1
; %bb.10:
	v_add_nc_u32_e32 v1, s22, v14
	v_add_nc_u32_e32 v2, s40, v14
	s_delay_alu instid0(VALU_DEP_2) | instskip(NEXT) | instid1(VALU_DEP_2)
	v_mul_lo_u32 v1, v1, s21
	v_mul_lo_u32 v2, v2, s23
	s_delay_alu instid0(VALU_DEP_1) | instskip(NEXT) | instid1(VALU_DEP_1)
	v_sub_nc_u32_e32 v1, v1, v2
	v_cmp_lt_u32_e64 s4, s41, v1
	s_delay_alu instid0(VALU_DEP_1)
	s_and_b32 s47, s4, exec_lo
; %bb.11:
	s_or_b32 exec_lo, exec_lo, s5
	v_add_nc_u32_e32 v1, s17, v15
	v_add_nc_u32_e32 v2, s19, v15
	s_mov_b32 s6, exec_lo
	s_delay_alu instid0(VALU_DEP_2) | instskip(NEXT) | instid1(VALU_DEP_2)
	v_mul_lo_u32 v1, v1, s16
	v_mul_lo_u32 v2, v2, s18
	s_delay_alu instid0(VALU_DEP_1) | instskip(NEXT) | instid1(VALU_DEP_1)
	v_sub_nc_u32_e32 v1, v1, v2
	v_cmp_lt_u32_e64 s4, s20, v1
	v_cmpx_ge_u32_e64 s20, v1
; %bb.12:
	v_add_nc_u32_e32 v1, s22, v15
	v_add_nc_u32_e32 v2, s40, v15
	s_delay_alu instid0(VALU_DEP_2) | instskip(NEXT) | instid1(VALU_DEP_2)
	v_mul_lo_u32 v1, v1, s21
	v_mul_lo_u32 v2, v2, s23
	s_delay_alu instid0(VALU_DEP_1) | instskip(NEXT) | instid1(VALU_DEP_1)
	v_sub_nc_u32_e32 v1, v1, v2
	v_cmp_lt_u32_e64 s5, s41, v1
	s_delay_alu instid0(VALU_DEP_1)
	s_and_b32 s48, s5, exec_lo
; %bb.13:
	s_or_b32 exec_lo, exec_lo, s6
	v_add_nc_u32_e32 v1, s17, v12
	v_add_nc_u32_e32 v2, s19, v12
	s_mov_b32 s50, 0
	s_mov_b32 s49, 0
	s_mov_b32 s7, exec_lo
	v_mul_lo_u32 v1, v1, s16
	v_mul_lo_u32 v2, v2, s18
	s_delay_alu instid0(VALU_DEP_1) | instskip(NEXT) | instid1(VALU_DEP_1)
	v_sub_nc_u32_e32 v1, v1, v2
	v_cmp_lt_u32_e64 s5, s20, v1
	;; [unrolled: 47-line block ×5, first 2 shown]
	v_cmpx_ge_u32_e64 s20, v1
; %bb.26:
	v_add_nc_u32_e32 v1, s22, v6
	v_add_nc_u32_e32 v2, s40, v6
	s_delay_alu instid0(VALU_DEP_2) | instskip(NEXT) | instid1(VALU_DEP_2)
	v_mul_lo_u32 v1, v1, s21
	v_mul_lo_u32 v2, v2, s23
	s_delay_alu instid0(VALU_DEP_1) | instskip(NEXT) | instid1(VALU_DEP_1)
	v_sub_nc_u32_e32 v1, v1, v2
	v_cmp_lt_u32_e64 s12, s41, v1
	s_delay_alu instid0(VALU_DEP_1)
	s_and_b32 s57, s12, exec_lo
; %bb.27:
	s_or_b32 exec_lo, exec_lo, s13
	v_add_nc_u32_e32 v1, s17, v7
	v_add_nc_u32_e32 v2, s19, v7
	s_mov_b32 s42, exec_lo
	s_delay_alu instid0(VALU_DEP_2) | instskip(NEXT) | instid1(VALU_DEP_2)
	v_mul_lo_u32 v1, v1, s16
	v_mul_lo_u32 v2, v2, s18
	s_delay_alu instid0(VALU_DEP_1) | instskip(NEXT) | instid1(VALU_DEP_1)
	v_sub_nc_u32_e32 v1, v1, v2
	v_cmp_lt_u32_e64 s12, s20, v1
	v_cmpx_ge_u32_e64 s20, v1
; %bb.28:
	v_add_nc_u32_e32 v1, s22, v7
	v_add_nc_u32_e32 v2, s40, v7
	s_delay_alu instid0(VALU_DEP_2) | instskip(NEXT) | instid1(VALU_DEP_2)
	v_mul_lo_u32 v1, v1, s21
	v_mul_lo_u32 v2, v2, s23
	s_delay_alu instid0(VALU_DEP_1) | instskip(NEXT) | instid1(VALU_DEP_1)
	v_sub_nc_u32_e32 v1, v1, v2
	v_cmp_lt_u32_e64 s13, s41, v1
	s_delay_alu instid0(VALU_DEP_1)
	s_and_b32 s56, s13, exec_lo
; %bb.29:
	s_or_b32 exec_lo, exec_lo, s42
	v_add_nc_u32_e32 v1, s17, v27
	v_add_nc_u32_e32 v2, s19, v27
	s_mov_b32 s42, -1
	s_mov_b32 s53, 0
	s_mov_b32 s43, 0
	v_mul_lo_u32 v1, v1, s16
	v_mul_lo_u32 v2, v2, s18
	s_mov_b32 s58, exec_lo
	s_delay_alu instid0(VALU_DEP_1) | instskip(NEXT) | instid1(VALU_DEP_1)
	v_sub_nc_u32_e32 v1, v1, v2
	v_cmpx_ge_u32_e64 s20, v1
; %bb.30:
	v_add_nc_u32_e32 v1, s22, v27
	v_add_nc_u32_e32 v2, s40, v27
	s_xor_b32 s42, exec_lo, -1
	s_delay_alu instid0(VALU_DEP_2) | instskip(NEXT) | instid1(VALU_DEP_2)
	v_mul_lo_u32 v1, v1, s21
	v_mul_lo_u32 v2, v2, s23
	s_delay_alu instid0(VALU_DEP_1) | instskip(NEXT) | instid1(VALU_DEP_1)
	v_sub_nc_u32_e32 v1, v1, v2
	v_cmp_lt_u32_e64 s13, s41, v1
	s_delay_alu instid0(VALU_DEP_1)
	s_and_b32 s43, s13, exec_lo
; %bb.31:
	s_or_b32 exec_lo, exec_lo, s58
	v_cndmask_b32_e64 v48, 0, 1, s57
	v_cndmask_b32_e64 v51, 0, 1, s12
	;; [unrolled: 1-line block ×22, first 2 shown]
	v_cndmask_b32_e64 v29, 0, 1, vcc_lo
	v_cndmask_b32_e64 v52, 0, 1, s56
	s_load_b64 s[4:5], s[0:1], 0x78
	s_and_b32 vcc_lo, exec_lo, s53
	s_add_i32 s3, s44, 0xd00
	s_cbranch_vccnz .LBB558_33
	s_branch .LBB558_86
.LBB558_32:
                                        ; implicit-def: $sgpr42
                                        ; implicit-def: $sgpr43
                                        ; implicit-def: $vgpr52
                                        ; implicit-def: $vgpr48
                                        ; implicit-def: $vgpr47
                                        ; implicit-def: $vgpr45
                                        ; implicit-def: $vgpr43
                                        ; implicit-def: $vgpr40
                                        ; implicit-def: $vgpr39
                                        ; implicit-def: $vgpr37
                                        ; implicit-def: $vgpr35
                                        ; implicit-def: $vgpr29
                                        ; implicit-def: $vgpr33
                                        ; implicit-def: $vgpr31
                                        ; implicit-def: $vgpr32
                                        ; implicit-def: $vgpr38
                                        ; implicit-def: $vgpr41
                                        ; implicit-def: $vgpr42
                                        ; implicit-def: $vgpr44
                                        ; implicit-def: $vgpr46
                                        ; implicit-def: $vgpr49
                                        ; implicit-def: $vgpr50
                                        ; implicit-def: $vgpr51
                                        ; implicit-def: $vgpr30
                                        ; implicit-def: $vgpr34
                                        ; implicit-def: $vgpr36
	s_load_b64 s[4:5], s[0:1], 0x78
	s_add_i32 s3, s44, 0xd00
	s_cbranch_execz .LBB558_86
.LBB558_33:
	v_dual_mov_b32 v30, 0 :: v_dual_mov_b32 v29, 0
	s_mov_b32 s2, 0
	s_mov_b32 s1, exec_lo
	v_cmpx_gt_u32_e64 s3, v28
	s_cbranch_execz .LBB558_37
; %bb.34:
	v_add_nc_u32_e32 v1, s17, v16
	v_add_nc_u32_e32 v2, s19, v16
	s_mov_b32 s6, exec_lo
	s_delay_alu instid0(VALU_DEP_2) | instskip(NEXT) | instid1(VALU_DEP_2)
	v_mul_lo_u32 v1, v1, s16
	v_mul_lo_u32 v2, v2, s18
	s_delay_alu instid0(VALU_DEP_1) | instskip(NEXT) | instid1(VALU_DEP_1)
	v_sub_nc_u32_e32 v1, v1, v2
	v_cmp_lt_u32_e32 vcc_lo, s20, v1
	v_cmpx_ge_u32_e64 s20, v1
; %bb.35:
	v_add_nc_u32_e32 v1, s22, v16
	v_add_nc_u32_e32 v2, s40, v16
	s_delay_alu instid0(VALU_DEP_2) | instskip(NEXT) | instid1(VALU_DEP_2)
	v_mul_lo_u32 v1, v1, s21
	v_mul_lo_u32 v2, v2, s23
	s_delay_alu instid0(VALU_DEP_1) | instskip(NEXT) | instid1(VALU_DEP_1)
	v_sub_nc_u32_e32 v1, v1, v2
	v_cmp_lt_u32_e64 s0, s41, v1
	s_delay_alu instid0(VALU_DEP_1)
	s_and_b32 s2, s0, exec_lo
; %bb.36:
	s_or_b32 exec_lo, exec_lo, s6
	v_cndmask_b32_e64 v29, 0, 1, vcc_lo
	v_cndmask_b32_e64 v30, 0, 1, s2
.LBB558_37:
	s_or_b32 exec_lo, exec_lo, s1
	v_dual_mov_b32 v34, 0 :: v_dual_add_nc_u32 v1, 1, v28
	v_mov_b32_e32 v33, 0
	s_mov_b32 s2, 0
	s_mov_b32 s1, exec_lo
	s_delay_alu instid0(VALU_DEP_2)
	v_cmpx_gt_u32_e64 s3, v1
	s_cbranch_execz .LBB558_41
; %bb.38:
	v_add_nc_u32_e32 v1, s17, v17
	v_add_nc_u32_e32 v2, s19, v17
	s_mov_b32 s6, exec_lo
	s_delay_alu instid0(VALU_DEP_2) | instskip(NEXT) | instid1(VALU_DEP_2)
	v_mul_lo_u32 v1, v1, s16
	v_mul_lo_u32 v2, v2, s18
	s_delay_alu instid0(VALU_DEP_1) | instskip(NEXT) | instid1(VALU_DEP_1)
	v_sub_nc_u32_e32 v1, v1, v2
	v_cmp_lt_u32_e32 vcc_lo, s20, v1
	v_cmpx_ge_u32_e64 s20, v1
; %bb.39:
	v_add_nc_u32_e32 v1, s22, v17
	v_add_nc_u32_e32 v2, s40, v17
	s_delay_alu instid0(VALU_DEP_2) | instskip(NEXT) | instid1(VALU_DEP_2)
	v_mul_lo_u32 v1, v1, s21
	v_mul_lo_u32 v2, v2, s23
	s_delay_alu instid0(VALU_DEP_1) | instskip(NEXT) | instid1(VALU_DEP_1)
	v_sub_nc_u32_e32 v1, v1, v2
	v_cmp_lt_u32_e64 s0, s41, v1
	s_delay_alu instid0(VALU_DEP_1)
	s_and_b32 s2, s0, exec_lo
; %bb.40:
	s_or_b32 exec_lo, exec_lo, s6
	v_cndmask_b32_e64 v33, 0, 1, vcc_lo
	v_cndmask_b32_e64 v34, 0, 1, s2
.LBB558_41:
	s_or_b32 exec_lo, exec_lo, s1
	v_dual_mov_b32 v36, 0 :: v_dual_add_nc_u32 v1, 2, v28
	v_mov_b32_e32 v31, 0
	s_mov_b32 s2, 0
	s_mov_b32 s1, exec_lo
	s_delay_alu instid0(VALU_DEP_2)
	v_cmpx_gt_u32_e64 s3, v1
	s_cbranch_execz .LBB558_45
; %bb.42:
	v_add_nc_u32_e32 v1, s17, v14
	v_add_nc_u32_e32 v2, s19, v14
	s_mov_b32 s6, exec_lo
	s_delay_alu instid0(VALU_DEP_2) | instskip(NEXT) | instid1(VALU_DEP_2)
	v_mul_lo_u32 v1, v1, s16
	v_mul_lo_u32 v2, v2, s18
	s_delay_alu instid0(VALU_DEP_1) | instskip(NEXT) | instid1(VALU_DEP_1)
	v_sub_nc_u32_e32 v1, v1, v2
	v_cmp_lt_u32_e32 vcc_lo, s20, v1
	v_cmpx_ge_u32_e64 s20, v1
; %bb.43:
	v_add_nc_u32_e32 v1, s22, v14
	v_add_nc_u32_e32 v2, s40, v14
	s_delay_alu instid0(VALU_DEP_2) | instskip(NEXT) | instid1(VALU_DEP_2)
	v_mul_lo_u32 v1, v1, s21
	v_mul_lo_u32 v2, v2, s23
	s_delay_alu instid0(VALU_DEP_1) | instskip(NEXT) | instid1(VALU_DEP_1)
	v_sub_nc_u32_e32 v1, v1, v2
	v_cmp_lt_u32_e64 s0, s41, v1
	s_delay_alu instid0(VALU_DEP_1)
	s_and_b32 s2, s0, exec_lo
; %bb.44:
	s_or_b32 exec_lo, exec_lo, s6
	v_cndmask_b32_e64 v31, 0, 1, vcc_lo
	v_cndmask_b32_e64 v36, 0, 1, s2
.LBB558_45:
	s_or_b32 exec_lo, exec_lo, s1
	v_dual_mov_b32 v32, 0 :: v_dual_add_nc_u32 v1, 3, v28
	v_mov_b32_e32 v35, 0
	s_mov_b32 s2, 0
	s_mov_b32 s1, exec_lo
	s_delay_alu instid0(VALU_DEP_2)
	v_cmpx_gt_u32_e64 s3, v1
	s_cbranch_execz .LBB558_49
; %bb.46:
	v_add_nc_u32_e32 v1, s17, v15
	v_add_nc_u32_e32 v2, s19, v15
	s_mov_b32 s6, exec_lo
	s_delay_alu instid0(VALU_DEP_2) | instskip(NEXT) | instid1(VALU_DEP_2)
	v_mul_lo_u32 v1, v1, s16
	v_mul_lo_u32 v2, v2, s18
	s_delay_alu instid0(VALU_DEP_1) | instskip(NEXT) | instid1(VALU_DEP_1)
	v_sub_nc_u32_e32 v1, v1, v2
	v_cmp_lt_u32_e32 vcc_lo, s20, v1
	v_cmpx_ge_u32_e64 s20, v1
; %bb.47:
	v_add_nc_u32_e32 v1, s22, v15
	v_add_nc_u32_e32 v2, s40, v15
	s_delay_alu instid0(VALU_DEP_2) | instskip(NEXT) | instid1(VALU_DEP_2)
	v_mul_lo_u32 v1, v1, s21
	v_mul_lo_u32 v2, v2, s23
	s_delay_alu instid0(VALU_DEP_1) | instskip(NEXT) | instid1(VALU_DEP_1)
	v_sub_nc_u32_e32 v1, v1, v2
	v_cmp_lt_u32_e64 s0, s41, v1
	s_delay_alu instid0(VALU_DEP_1)
	s_and_b32 s2, s0, exec_lo
; %bb.48:
	s_or_b32 exec_lo, exec_lo, s6
	v_cndmask_b32_e64 v32, 0, 1, vcc_lo
	v_cndmask_b32_e64 v35, 0, 1, s2
.LBB558_49:
	s_or_b32 exec_lo, exec_lo, s1
	v_dual_mov_b32 v38, 0 :: v_dual_add_nc_u32 v1, 4, v28
	v_mov_b32_e32 v37, 0
	s_mov_b32 s2, 0
	s_mov_b32 s1, exec_lo
	s_delay_alu instid0(VALU_DEP_2)
	v_cmpx_gt_u32_e64 s3, v1
	s_cbranch_execz .LBB558_53
; %bb.50:
	v_add_nc_u32_e32 v1, s17, v12
	v_add_nc_u32_e32 v2, s19, v12
	s_mov_b32 s6, exec_lo
	s_delay_alu instid0(VALU_DEP_2) | instskip(NEXT) | instid1(VALU_DEP_2)
	v_mul_lo_u32 v1, v1, s16
	v_mul_lo_u32 v2, v2, s18
	s_delay_alu instid0(VALU_DEP_1) | instskip(NEXT) | instid1(VALU_DEP_1)
	v_sub_nc_u32_e32 v1, v1, v2
	v_cmp_lt_u32_e32 vcc_lo, s20, v1
	v_cmpx_ge_u32_e64 s20, v1
; %bb.51:
	v_add_nc_u32_e32 v1, s22, v12
	v_add_nc_u32_e32 v2, s40, v12
	s_delay_alu instid0(VALU_DEP_2) | instskip(NEXT) | instid1(VALU_DEP_2)
	v_mul_lo_u32 v1, v1, s21
	v_mul_lo_u32 v2, v2, s23
	s_delay_alu instid0(VALU_DEP_1) | instskip(NEXT) | instid1(VALU_DEP_1)
	v_sub_nc_u32_e32 v1, v1, v2
	v_cmp_lt_u32_e64 s0, s41, v1
	s_delay_alu instid0(VALU_DEP_1)
	s_and_b32 s2, s0, exec_lo
; %bb.52:
	s_or_b32 exec_lo, exec_lo, s6
	v_cndmask_b32_e64 v38, 0, 1, vcc_lo
	v_cndmask_b32_e64 v37, 0, 1, s2
.LBB558_53:
	s_or_b32 exec_lo, exec_lo, s1
	v_add_nc_u32_e32 v1, 5, v28
	v_mov_b32_e32 v39, 0
	v_mov_b32_e32 v41, 0
	s_mov_b32 s2, 0
	s_mov_b32 s1, exec_lo
	v_cmpx_gt_u32_e64 s3, v1
	s_cbranch_execz .LBB558_57
; %bb.54:
	v_add_nc_u32_e32 v1, s17, v13
	v_add_nc_u32_e32 v2, s19, v13
	s_mov_b32 s6, exec_lo
	s_delay_alu instid0(VALU_DEP_2) | instskip(NEXT) | instid1(VALU_DEP_2)
	v_mul_lo_u32 v1, v1, s16
	v_mul_lo_u32 v2, v2, s18
	s_delay_alu instid0(VALU_DEP_1) | instskip(NEXT) | instid1(VALU_DEP_1)
	v_sub_nc_u32_e32 v1, v1, v2
	v_cmp_lt_u32_e32 vcc_lo, s20, v1
	v_cmpx_ge_u32_e64 s20, v1
; %bb.55:
	v_add_nc_u32_e32 v1, s22, v13
	v_add_nc_u32_e32 v2, s40, v13
	s_delay_alu instid0(VALU_DEP_2) | instskip(NEXT) | instid1(VALU_DEP_2)
	v_mul_lo_u32 v1, v1, s21
	v_mul_lo_u32 v2, v2, s23
	s_delay_alu instid0(VALU_DEP_1) | instskip(NEXT) | instid1(VALU_DEP_1)
	v_sub_nc_u32_e32 v1, v1, v2
	v_cmp_lt_u32_e64 s0, s41, v1
	s_delay_alu instid0(VALU_DEP_1)
	s_and_b32 s2, s0, exec_lo
; %bb.56:
	s_or_b32 exec_lo, exec_lo, s6
	v_cndmask_b32_e64 v41, 0, 1, vcc_lo
	v_cndmask_b32_e64 v39, 0, 1, s2
.LBB558_57:
	s_or_b32 exec_lo, exec_lo, s1
	v_dual_mov_b32 v40, 0 :: v_dual_add_nc_u32 v1, 6, v28
	v_mov_b32_e32 v42, 0
	s_mov_b32 s2, 0
	s_mov_b32 s1, exec_lo
	s_delay_alu instid0(VALU_DEP_2)
	v_cmpx_gt_u32_e64 s3, v1
	s_cbranch_execz .LBB558_61
; %bb.58:
	v_add_nc_u32_e32 v1, s17, v10
	v_add_nc_u32_e32 v2, s19, v10
	s_mov_b32 s6, exec_lo
	s_delay_alu instid0(VALU_DEP_2) | instskip(NEXT) | instid1(VALU_DEP_2)
	v_mul_lo_u32 v1, v1, s16
	v_mul_lo_u32 v2, v2, s18
	s_delay_alu instid0(VALU_DEP_1) | instskip(NEXT) | instid1(VALU_DEP_1)
	v_sub_nc_u32_e32 v1, v1, v2
	v_cmp_lt_u32_e32 vcc_lo, s20, v1
	v_cmpx_ge_u32_e64 s20, v1
; %bb.59:
	v_add_nc_u32_e32 v1, s22, v10
	v_add_nc_u32_e32 v2, s40, v10
	s_delay_alu instid0(VALU_DEP_2) | instskip(NEXT) | instid1(VALU_DEP_2)
	v_mul_lo_u32 v1, v1, s21
	v_mul_lo_u32 v2, v2, s23
	s_delay_alu instid0(VALU_DEP_1) | instskip(NEXT) | instid1(VALU_DEP_1)
	v_sub_nc_u32_e32 v1, v1, v2
	v_cmp_lt_u32_e64 s0, s41, v1
	s_delay_alu instid0(VALU_DEP_1)
	s_and_b32 s2, s0, exec_lo
; %bb.60:
	s_or_b32 exec_lo, exec_lo, s6
	v_cndmask_b32_e64 v42, 0, 1, vcc_lo
	v_cndmask_b32_e64 v40, 0, 1, s2
.LBB558_61:
	s_or_b32 exec_lo, exec_lo, s1
	v_dual_mov_b32 v44, 0 :: v_dual_add_nc_u32 v1, 7, v28
	v_mov_b32_e32 v43, 0
	s_mov_b32 s2, 0
	s_mov_b32 s1, exec_lo
	s_delay_alu instid0(VALU_DEP_2)
	;; [unrolled: 35-line block ×3, first 2 shown]
	v_cmpx_gt_u32_e64 s3, v1
	s_cbranch_execz .LBB558_69
; %bb.66:
	v_add_nc_u32_e32 v1, s17, v8
	v_add_nc_u32_e32 v2, s19, v8
	s_mov_b32 s6, exec_lo
	s_delay_alu instid0(VALU_DEP_2) | instskip(NEXT) | instid1(VALU_DEP_2)
	v_mul_lo_u32 v1, v1, s16
	v_mul_lo_u32 v2, v2, s18
	s_delay_alu instid0(VALU_DEP_1) | instskip(NEXT) | instid1(VALU_DEP_1)
	v_sub_nc_u32_e32 v1, v1, v2
	v_cmp_lt_u32_e32 vcc_lo, s20, v1
	v_cmpx_ge_u32_e64 s20, v1
; %bb.67:
	v_add_nc_u32_e32 v1, s22, v8
	v_add_nc_u32_e32 v2, s40, v8
	s_delay_alu instid0(VALU_DEP_2) | instskip(NEXT) | instid1(VALU_DEP_2)
	v_mul_lo_u32 v1, v1, s21
	v_mul_lo_u32 v2, v2, s23
	s_delay_alu instid0(VALU_DEP_1) | instskip(NEXT) | instid1(VALU_DEP_1)
	v_sub_nc_u32_e32 v1, v1, v2
	v_cmp_lt_u32_e64 s0, s41, v1
	s_delay_alu instid0(VALU_DEP_1)
	s_and_b32 s2, s0, exec_lo
; %bb.68:
	s_or_b32 exec_lo, exec_lo, s6
	v_cndmask_b32_e64 v46, 0, 1, vcc_lo
	v_cndmask_b32_e64 v45, 0, 1, s2
.LBB558_69:
	s_or_b32 exec_lo, exec_lo, s1
	v_add_nc_u32_e32 v1, 9, v28
	v_mov_b32_e32 v47, 0
	v_mov_b32_e32 v49, 0
	s_mov_b32 s2, 0
	s_mov_b32 s1, exec_lo
	v_cmpx_gt_u32_e64 s3, v1
	s_cbranch_execz .LBB558_73
; %bb.70:
	v_add_nc_u32_e32 v1, s17, v9
	v_add_nc_u32_e32 v2, s19, v9
	s_mov_b32 s6, exec_lo
	s_delay_alu instid0(VALU_DEP_2) | instskip(NEXT) | instid1(VALU_DEP_2)
	v_mul_lo_u32 v1, v1, s16
	v_mul_lo_u32 v2, v2, s18
	s_delay_alu instid0(VALU_DEP_1) | instskip(NEXT) | instid1(VALU_DEP_1)
	v_sub_nc_u32_e32 v1, v1, v2
	v_cmp_lt_u32_e32 vcc_lo, s20, v1
	v_cmpx_ge_u32_e64 s20, v1
; %bb.71:
	v_add_nc_u32_e32 v1, s22, v9
	v_add_nc_u32_e32 v2, s40, v9
	s_delay_alu instid0(VALU_DEP_2) | instskip(NEXT) | instid1(VALU_DEP_2)
	v_mul_lo_u32 v1, v1, s21
	v_mul_lo_u32 v2, v2, s23
	s_delay_alu instid0(VALU_DEP_1) | instskip(NEXT) | instid1(VALU_DEP_1)
	v_sub_nc_u32_e32 v1, v1, v2
	v_cmp_lt_u32_e64 s0, s41, v1
	s_delay_alu instid0(VALU_DEP_1)
	s_and_b32 s2, s0, exec_lo
; %bb.72:
	s_or_b32 exec_lo, exec_lo, s6
	v_cndmask_b32_e64 v49, 0, 1, vcc_lo
	v_cndmask_b32_e64 v47, 0, 1, s2
.LBB558_73:
	s_or_b32 exec_lo, exec_lo, s1
	v_dual_mov_b32 v48, 0 :: v_dual_add_nc_u32 v1, 10, v28
	v_mov_b32_e32 v50, 0
	s_mov_b32 s2, 0
	s_mov_b32 s1, exec_lo
	s_delay_alu instid0(VALU_DEP_2)
	v_cmpx_gt_u32_e64 s3, v1
	s_cbranch_execz .LBB558_77
; %bb.74:
	v_add_nc_u32_e32 v1, s17, v6
	v_add_nc_u32_e32 v2, s19, v6
	s_mov_b32 s6, exec_lo
	s_delay_alu instid0(VALU_DEP_2) | instskip(NEXT) | instid1(VALU_DEP_2)
	v_mul_lo_u32 v1, v1, s16
	v_mul_lo_u32 v2, v2, s18
	s_delay_alu instid0(VALU_DEP_1) | instskip(NEXT) | instid1(VALU_DEP_1)
	v_sub_nc_u32_e32 v1, v1, v2
	v_cmp_lt_u32_e32 vcc_lo, s20, v1
	v_cmpx_ge_u32_e64 s20, v1
; %bb.75:
	v_add_nc_u32_e32 v1, s22, v6
	v_add_nc_u32_e32 v2, s40, v6
	s_delay_alu instid0(VALU_DEP_2) | instskip(NEXT) | instid1(VALU_DEP_2)
	v_mul_lo_u32 v1, v1, s21
	v_mul_lo_u32 v2, v2, s23
	s_delay_alu instid0(VALU_DEP_1) | instskip(NEXT) | instid1(VALU_DEP_1)
	v_sub_nc_u32_e32 v1, v1, v2
	v_cmp_lt_u32_e64 s0, s41, v1
	s_delay_alu instid0(VALU_DEP_1)
	s_and_b32 s2, s0, exec_lo
; %bb.76:
	s_or_b32 exec_lo, exec_lo, s6
	v_cndmask_b32_e64 v50, 0, 1, vcc_lo
	v_cndmask_b32_e64 v48, 0, 1, s2
.LBB558_77:
	s_or_b32 exec_lo, exec_lo, s1
	v_dual_mov_b32 v52, 0 :: v_dual_add_nc_u32 v1, 11, v28
	v_mov_b32_e32 v51, 0
	s_mov_b32 s2, 0
	s_mov_b32 s1, exec_lo
	s_delay_alu instid0(VALU_DEP_2)
	v_cmpx_gt_u32_e64 s3, v1
	s_cbranch_execz .LBB558_81
; %bb.78:
	v_add_nc_u32_e32 v1, s17, v7
	v_add_nc_u32_e32 v2, s19, v7
	s_mov_b32 s6, exec_lo
	s_delay_alu instid0(VALU_DEP_2) | instskip(NEXT) | instid1(VALU_DEP_2)
	v_mul_lo_u32 v1, v1, s16
	v_mul_lo_u32 v2, v2, s18
	s_delay_alu instid0(VALU_DEP_1) | instskip(NEXT) | instid1(VALU_DEP_1)
	v_sub_nc_u32_e32 v1, v1, v2
	v_cmp_lt_u32_e32 vcc_lo, s20, v1
	v_cmpx_ge_u32_e64 s20, v1
; %bb.79:
	v_add_nc_u32_e32 v1, s22, v7
	v_add_nc_u32_e32 v2, s40, v7
	s_delay_alu instid0(VALU_DEP_2) | instskip(NEXT) | instid1(VALU_DEP_2)
	v_mul_lo_u32 v1, v1, s21
	v_mul_lo_u32 v2, v2, s23
	s_delay_alu instid0(VALU_DEP_1) | instskip(NEXT) | instid1(VALU_DEP_1)
	v_sub_nc_u32_e32 v1, v1, v2
	v_cmp_lt_u32_e64 s0, s41, v1
	s_delay_alu instid0(VALU_DEP_1)
	s_and_b32 s2, s0, exec_lo
; %bb.80:
	s_or_b32 exec_lo, exec_lo, s6
	v_cndmask_b32_e64 v51, 0, 1, vcc_lo
	v_cndmask_b32_e64 v52, 0, 1, s2
.LBB558_81:
	s_or_b32 exec_lo, exec_lo, s1
	v_add_nc_u32_e32 v1, 12, v28
	s_mov_b32 s42, 0
	s_mov_b32 s43, 0
	s_mov_b32 s0, exec_lo
	s_delay_alu instid0(VALU_DEP_1)
	v_cmpx_gt_u32_e64 s3, v1
	s_cbranch_execz .LBB558_85
; %bb.82:
	v_add_nc_u32_e32 v1, s17, v27
	v_add_nc_u32_e32 v2, s19, v27
	s_mov_b32 s2, -1
	s_mov_b32 s6, 0
	s_mov_b32 s1, exec_lo
	v_mul_lo_u32 v1, v1, s16
	v_mul_lo_u32 v2, v2, s18
	s_delay_alu instid0(VALU_DEP_1) | instskip(NEXT) | instid1(VALU_DEP_1)
	v_sub_nc_u32_e32 v1, v1, v2
	v_cmpx_ge_u32_e64 s20, v1
; %bb.83:
	v_add_nc_u32_e32 v1, s22, v27
	v_add_nc_u32_e32 v2, s40, v27
	s_xor_b32 s2, exec_lo, -1
	s_delay_alu instid0(VALU_DEP_2) | instskip(NEXT) | instid1(VALU_DEP_2)
	v_mul_lo_u32 v1, v1, s21
	v_mul_lo_u32 v2, v2, s23
	s_delay_alu instid0(VALU_DEP_1) | instskip(NEXT) | instid1(VALU_DEP_1)
	v_sub_nc_u32_e32 v1, v1, v2
	v_cmp_lt_u32_e32 vcc_lo, s41, v1
	s_and_b32 s6, vcc_lo, exec_lo
; %bb.84:
	s_or_b32 exec_lo, exec_lo, s1
	s_delay_alu instid0(SALU_CYCLE_1)
	s_and_b32 s43, s6, exec_lo
	s_and_b32 s42, s2, exec_lo
.LBB558_85:
	s_or_b32 exec_lo, exec_lo, s0
.LBB558_86:
	v_and_b32_e32 v75, 0xff, v29
	v_and_b32_e32 v76, 0xff, v30
	;; [unrolled: 1-line block ×10, first 2 shown]
	v_add3_u32 v1, v71, v73, v75
	v_add3_u32 v2, v72, v74, v76
	v_and_b32_e32 v65, 0xff, v41
	v_and_b32_e32 v66, 0xff, v39
	v_and_b32_e32 v61, 0xff, v42
	v_and_b32_e32 v62, 0xff, v40
	v_add3_u32 v1, v1, v69, v67
	v_add3_u32 v2, v2, v70, v68
	v_and_b32_e32 v63, 0xff, v44
	v_and_b32_e32 v64, 0xff, v43
	v_and_b32_e32 v59, 0xff, v46
	v_and_b32_e32 v60, 0xff, v45
	;; [unrolled: 6-line block ×3, first 2 shown]
	v_add3_u32 v1, v1, v63, v59
	v_add3_u32 v2, v2, v64, v60
	v_mbcnt_lo_u32_b32 v77, -1, 0
	v_and_b32_e32 v53, 0xff, v51
	v_and_b32_e32 v54, 0xff, v52
	v_cndmask_b32_e64 v3, 0, 1, s43
	v_add3_u32 v1, v1, v57, v55
	v_cndmask_b32_e64 v4, 0, 1, s42
	v_add3_u32 v2, v2, v58, v56
	v_and_b32_e32 v81, 15, v77
	v_and_b32_e32 v80, 16, v77
	v_lshrrev_b32_e32 v78, 5, v0
	v_add3_u32 v82, v1, v53, v4
	v_add3_u32 v83, v2, v54, v3
	v_cmp_eq_u32_e64 s1, 0, v81
	v_cmp_lt_u32_e64 s0, 1, v81
	v_cmp_lt_u32_e64 s2, 3, v81
	v_cmp_lt_u32_e32 vcc_lo, 7, v81
	v_or_b32_e32 v79, 31, v0
	s_cmp_lg_u32 s15, 0
	s_mov_b32 s6, -1
	s_cbranch_scc0 .LBB558_119
; %bb.87:
	v_mov_b32_dpp v1, v83 row_shr:1 row_mask:0xf bank_mask:0xf
	v_mov_b32_dpp v2, v82 row_shr:1 row_mask:0xf bank_mask:0xf
	s_delay_alu instid0(VALU_DEP_2) | instskip(NEXT) | instid1(VALU_DEP_1)
	v_add_nc_u32_e32 v1, v1, v83
	v_cndmask_b32_e64 v1, v1, v83, s1
	s_delay_alu instid0(VALU_DEP_1) | instskip(NEXT) | instid1(VALU_DEP_1)
	v_mov_b32_dpp v3, v1 row_shr:2 row_mask:0xf bank_mask:0xf
	v_add_nc_u32_e32 v3, v1, v3
	s_delay_alu instid0(VALU_DEP_1) | instskip(NEXT) | instid1(VALU_DEP_1)
	v_cndmask_b32_e64 v1, v1, v3, s0
	v_mov_b32_dpp v3, v1 row_shr:4 row_mask:0xf bank_mask:0xf
	s_delay_alu instid0(VALU_DEP_1) | instskip(NEXT) | instid1(VALU_DEP_1)
	v_add_nc_u32_e32 v3, v1, v3
	v_cndmask_b32_e64 v1, v1, v3, s2
	s_delay_alu instid0(VALU_DEP_1) | instskip(NEXT) | instid1(VALU_DEP_1)
	v_mov_b32_dpp v3, v1 row_shr:8 row_mask:0xf bank_mask:0xf
	v_add_nc_u32_e32 v3, v1, v3
	s_delay_alu instid0(VALU_DEP_1) | instskip(NEXT) | instid1(VALU_DEP_1)
	v_dual_cndmask_b32 v1, v1, v3 :: v_dual_add_nc_u32 v2, v2, v82
	v_cndmask_b32_e64 v2, v2, v82, s1
	s_delay_alu instid0(VALU_DEP_1) | instskip(NEXT) | instid1(VALU_DEP_1)
	v_mov_b32_dpp v4, v2 row_shr:2 row_mask:0xf bank_mask:0xf
	v_add_nc_u32_e32 v4, v2, v4
	s_delay_alu instid0(VALU_DEP_1) | instskip(NEXT) | instid1(VALU_DEP_1)
	v_cndmask_b32_e64 v2, v2, v4, s0
	v_mov_b32_dpp v4, v2 row_shr:4 row_mask:0xf bank_mask:0xf
	s_delay_alu instid0(VALU_DEP_1) | instskip(NEXT) | instid1(VALU_DEP_1)
	v_add_nc_u32_e32 v4, v2, v4
	v_cndmask_b32_e64 v2, v2, v4, s2
	s_mov_b32 s2, exec_lo
	s_delay_alu instid0(VALU_DEP_1) | instskip(NEXT) | instid1(VALU_DEP_1)
	v_mov_b32_dpp v4, v2 row_shr:8 row_mask:0xf bank_mask:0xf
	v_add_nc_u32_e32 v4, v2, v4
	s_delay_alu instid0(VALU_DEP_1)
	v_cndmask_b32_e32 v3, v2, v4, vcc_lo
	ds_swizzle_b32 v2, v1 offset:swizzle(BROADCAST,32,15)
	v_cmp_eq_u32_e32 vcc_lo, 0, v80
	s_waitcnt lgkmcnt(0)
	v_add_nc_u32_e32 v2, v1, v2
	ds_swizzle_b32 v4, v3 offset:swizzle(BROADCAST,32,15)
	v_cndmask_b32_e32 v2, v2, v1, vcc_lo
	s_waitcnt lgkmcnt(0)
	v_add_nc_u32_e32 v4, v3, v4
	s_delay_alu instid0(VALU_DEP_1)
	v_cndmask_b32_e32 v1, v4, v3, vcc_lo
	v_cmpx_eq_u32_e64 v79, v0
	s_cbranch_execz .LBB558_89
; %bb.88:
	v_lshlrev_b32_e32 v3, 3, v78
	ds_store_b64 v3, v[1:2]
.LBB558_89:
	s_or_b32 exec_lo, exec_lo, s2
	s_delay_alu instid0(SALU_CYCLE_1)
	s_mov_b32 s2, exec_lo
	s_waitcnt lgkmcnt(0)
	s_barrier
	buffer_gl0_inv
	v_cmpx_gt_u32_e32 8, v0
	s_cbranch_execz .LBB558_91
; %bb.90:
	v_lshlrev_b32_e32 v5, 3, v0
	ds_load_b64 v[3:4], v5
	s_waitcnt lgkmcnt(0)
	v_mov_b32_dpp v18, v3 row_shr:1 row_mask:0xf bank_mask:0xf
	v_mov_b32_dpp v19, v4 row_shr:1 row_mask:0xf bank_mask:0xf
	s_delay_alu instid0(VALU_DEP_2) | instskip(SKIP_1) | instid1(VALU_DEP_3)
	v_add_nc_u32_e32 v18, v18, v3
	v_and_b32_e32 v20, 7, v77
	v_add_nc_u32_e32 v19, v19, v4
	s_delay_alu instid0(VALU_DEP_2) | instskip(NEXT) | instid1(VALU_DEP_2)
	v_cmp_eq_u32_e32 vcc_lo, 0, v20
	v_dual_cndmask_b32 v4, v19, v4 :: v_dual_cndmask_b32 v3, v18, v3
	v_cmp_lt_u32_e32 vcc_lo, 1, v20
	s_delay_alu instid0(VALU_DEP_2) | instskip(NEXT) | instid1(VALU_DEP_3)
	v_mov_b32_dpp v19, v4 row_shr:2 row_mask:0xf bank_mask:0xf
	v_mov_b32_dpp v18, v3 row_shr:2 row_mask:0xf bank_mask:0xf
	s_delay_alu instid0(VALU_DEP_2) | instskip(NEXT) | instid1(VALU_DEP_2)
	v_add_nc_u32_e32 v19, v4, v19
	v_add_nc_u32_e32 v18, v3, v18
	s_delay_alu instid0(VALU_DEP_1) | instskip(SKIP_1) | instid1(VALU_DEP_2)
	v_dual_cndmask_b32 v4, v4, v19 :: v_dual_cndmask_b32 v3, v3, v18
	v_cmp_lt_u32_e32 vcc_lo, 3, v20
	v_mov_b32_dpp v19, v4 row_shr:4 row_mask:0xf bank_mask:0xf
	s_delay_alu instid0(VALU_DEP_3) | instskip(NEXT) | instid1(VALU_DEP_1)
	v_mov_b32_dpp v18, v3 row_shr:4 row_mask:0xf bank_mask:0xf
	v_dual_cndmask_b32 v19, 0, v19 :: v_dual_cndmask_b32 v18, 0, v18
	s_delay_alu instid0(VALU_DEP_1) | instskip(NEXT) | instid1(VALU_DEP_2)
	v_add_nc_u32_e32 v4, v19, v4
	v_add_nc_u32_e32 v3, v18, v3
	ds_store_b64 v5, v[3:4]
.LBB558_91:
	s_or_b32 exec_lo, exec_lo, s2
	v_cmp_gt_u32_e32 vcc_lo, 32, v0
	v_cmp_lt_u32_e64 s2, 31, v0
	s_waitcnt lgkmcnt(0)
	s_barrier
	buffer_gl0_inv
                                        ; implicit-def: $vgpr19
	s_and_saveexec_b32 s6, s2
	s_delay_alu instid0(SALU_CYCLE_1)
	s_xor_b32 s2, exec_lo, s6
	s_cbranch_execz .LBB558_93
; %bb.92:
	v_lshl_add_u32 v3, v78, 3, -8
	ds_load_b64 v[18:19], v3
	s_waitcnt lgkmcnt(0)
	v_add_nc_u32_e32 v2, v19, v2
	v_add_nc_u32_e32 v1, v18, v1
.LBB558_93:
	s_and_not1_saveexec_b32 s2, s2
; %bb.94:
                                        ; implicit-def: $vgpr18
; %bb.95:
	s_delay_alu instid0(SALU_CYCLE_1) | instskip(SKIP_1) | instid1(VALU_DEP_1)
	s_or_b32 exec_lo, exec_lo, s2
	v_add_nc_u32_e32 v3, -1, v77
	v_cmp_gt_i32_e64 s2, 0, v3
	s_delay_alu instid0(VALU_DEP_1) | instskip(SKIP_1) | instid1(VALU_DEP_2)
	v_cndmask_b32_e64 v3, v3, v77, s2
	v_cmp_eq_u32_e64 s2, 0, v77
	v_lshlrev_b32_e32 v3, 2, v3
	ds_bpermute_b32 v84, v3, v1
	ds_bpermute_b32 v85, v3, v2
	s_and_saveexec_b32 s6, vcc_lo
	s_cbranch_execz .LBB558_118
; %bb.96:
	v_mov_b32_e32 v4, 0
	ds_load_b64 v[1:2], v4 offset:56
	s_waitcnt lgkmcnt(0)
	v_readfirstlane_b32 s7, v2
	s_and_saveexec_b32 s8, s2
	s_cbranch_execz .LBB558_98
; %bb.97:
	s_add_i32 s10, s15, 32
	s_mov_b32 s11, 0
	v_mov_b32_e32 v3, 1
	s_lshl_b64 s[12:13], s[10:11], 4
	s_mov_b32 s16, s11
	s_add_u32 s12, s4, s12
	s_addc_u32 s13, s5, s13
	s_and_b32 s17, s7, 0xff000000
	s_and_b32 s19, s7, 0xff0000
	s_mov_b32 s18, s11
	v_dual_mov_b32 v21, s13 :: v_dual_mov_b32 v20, s12
	s_or_b64 s[16:17], s[18:19], s[16:17]
	s_and_b32 s19, s7, 0xff00
	s_delay_alu instid0(SALU_CYCLE_1) | instskip(SKIP_1) | instid1(SALU_CYCLE_1)
	s_or_b64 s[16:17], s[16:17], s[18:19]
	s_and_b32 s19, s7, 0xff
	s_or_b64 s[10:11], s[16:17], s[18:19]
	s_delay_alu instid0(SALU_CYCLE_1)
	v_mov_b32_e32 v2, s11
	;;#ASMSTART
	global_store_dwordx4 v[20:21], v[1:4] off	
s_waitcnt vmcnt(0)
	;;#ASMEND
.LBB558_98:
	s_or_b32 exec_lo, exec_lo, s8
	v_xad_u32 v20, v77, -1, s15
	s_mov_b32 s9, 0
	s_mov_b32 s8, exec_lo
	s_delay_alu instid0(VALU_DEP_1) | instskip(NEXT) | instid1(VALU_DEP_1)
	v_add_nc_u32_e32 v3, 32, v20
	v_lshlrev_b64 v[2:3], 4, v[3:4]
	s_delay_alu instid0(VALU_DEP_1) | instskip(NEXT) | instid1(VALU_DEP_2)
	v_add_co_u32 v21, vcc_lo, s4, v2
	v_add_co_ci_u32_e32 v22, vcc_lo, s5, v3, vcc_lo
	;;#ASMSTART
	global_load_dwordx4 v[2:5], v[21:22] off glc	
s_waitcnt vmcnt(0)
	;;#ASMEND
	v_and_b32_e32 v5, 0xff, v3
	v_and_b32_e32 v23, 0xff00, v3
	v_or3_b32 v2, v2, 0, 0
	v_and_b32_e32 v24, 0xff000000, v3
	v_and_b32_e32 v3, 0xff0000, v3
	s_delay_alu instid0(VALU_DEP_4) | instskip(SKIP_2) | instid1(VALU_DEP_3)
	v_or3_b32 v5, 0, v5, v23
	v_and_b32_e32 v23, 0xff, v4
	v_or3_b32 v2, v2, 0, 0
	v_or3_b32 v3, v5, v3, v24
	s_delay_alu instid0(VALU_DEP_3)
	v_cmpx_eq_u16_e32 0, v23
	s_cbranch_execz .LBB558_104
; %bb.99:
	s_mov_b32 s10, 1
	.p2align	6
.LBB558_100:                            ; =>This Loop Header: Depth=1
                                        ;     Child Loop BB558_101 Depth 2
	s_delay_alu instid0(SALU_CYCLE_1)
	s_max_u32 s11, s10, 1
.LBB558_101:                            ;   Parent Loop BB558_100 Depth=1
                                        ; =>  This Inner Loop Header: Depth=2
	s_delay_alu instid0(SALU_CYCLE_1)
	s_add_i32 s11, s11, -1
	s_sleep 1
	s_cmp_eq_u32 s11, 0
	s_cbranch_scc0 .LBB558_101
; %bb.102:                              ;   in Loop: Header=BB558_100 Depth=1
	;;#ASMSTART
	global_load_dwordx4 v[2:5], v[21:22] off glc	
s_waitcnt vmcnt(0)
	;;#ASMEND
	v_and_b32_e32 v5, 0xff, v4
	s_cmp_lt_u32 s10, 32
	s_cselect_b32 s11, -1, 0
	s_delay_alu instid0(SALU_CYCLE_1) | instskip(NEXT) | instid1(VALU_DEP_1)
	s_cmp_lg_u32 s11, 0
	v_cmp_ne_u16_e32 vcc_lo, 0, v5
	s_addc_u32 s10, s10, 0
	s_or_b32 s9, vcc_lo, s9
	s_delay_alu instid0(SALU_CYCLE_1)
	s_and_not1_b32 exec_lo, exec_lo, s9
	s_cbranch_execnz .LBB558_100
; %bb.103:
	s_or_b32 exec_lo, exec_lo, s9
.LBB558_104:
	s_delay_alu instid0(SALU_CYCLE_1)
	s_or_b32 exec_lo, exec_lo, s8
	v_cmp_ne_u32_e32 vcc_lo, 31, v77
	v_lshlrev_b32_e64 v87, v77, -1
	v_add_nc_u32_e32 v91, 4, v77
	v_add_nc_u32_e32 v93, 8, v77
	;; [unrolled: 1-line block ×3, first 2 shown]
	v_add_co_ci_u32_e32 v5, vcc_lo, 0, v77, vcc_lo
	s_delay_alu instid0(VALU_DEP_1)
	v_lshlrev_b32_e32 v86, 2, v5
	ds_bpermute_b32 v21, v86, v3
	ds_bpermute_b32 v5, v86, v2
	s_waitcnt lgkmcnt(1)
	v_add_nc_u32_e32 v21, v21, v3
	v_and_b32_e32 v22, 0xff, v4
	s_waitcnt lgkmcnt(0)
	v_add_nc_u32_e32 v5, v5, v2
	s_delay_alu instid0(VALU_DEP_2) | instskip(SKIP_2) | instid1(VALU_DEP_2)
	v_cmp_eq_u16_e32 vcc_lo, 2, v22
	v_and_or_b32 v22, vcc_lo, v87, 0x80000000
	v_cmp_gt_u32_e32 vcc_lo, 30, v77
	v_ctz_i32_b32_e32 v22, v22
	v_cndmask_b32_e64 v23, 0, 1, vcc_lo
	s_delay_alu instid0(VALU_DEP_2) | instskip(NEXT) | instid1(VALU_DEP_2)
	v_cmp_lt_u32_e32 vcc_lo, v77, v22
	v_dual_cndmask_b32 v2, v2, v5 :: v_dual_lshlrev_b32 v23, 1, v23
	s_delay_alu instid0(VALU_DEP_1)
	v_add_lshl_u32 v88, v23, v77, 2
	v_cndmask_b32_e32 v3, v3, v21, vcc_lo
	v_cmp_gt_u32_e32 vcc_lo, 28, v77
	ds_bpermute_b32 v5, v88, v2
	ds_bpermute_b32 v21, v88, v3
	v_cndmask_b32_e64 v23, 0, 1, vcc_lo
	s_waitcnt lgkmcnt(1)
	v_add_nc_u32_e32 v5, v2, v5
	v_add_nc_u32_e32 v89, 2, v77
	s_waitcnt lgkmcnt(0)
	v_add_nc_u32_e32 v21, v3, v21
	s_delay_alu instid0(VALU_DEP_2) | instskip(SKIP_1) | instid1(VALU_DEP_3)
	v_cmp_gt_u32_e32 vcc_lo, v89, v22
	v_dual_cndmask_b32 v2, v5, v2 :: v_dual_lshlrev_b32 v23, 2, v23
	v_cndmask_b32_e32 v3, v21, v3, vcc_lo
	v_cmp_gt_u32_e32 vcc_lo, 24, v77
	s_delay_alu instid0(VALU_DEP_3)
	v_add_lshl_u32 v90, v23, v77, 2
	v_cndmask_b32_e64 v23, 0, 1, vcc_lo
	v_cmp_gt_u32_e32 vcc_lo, v91, v22
	ds_bpermute_b32 v5, v90, v2
	ds_bpermute_b32 v21, v90, v3
	v_lshlrev_b32_e32 v23, 3, v23
	s_delay_alu instid0(VALU_DEP_1) | instskip(SKIP_3) | instid1(VALU_DEP_1)
	v_add_lshl_u32 v92, v23, v77, 2
	s_waitcnt lgkmcnt(1)
	v_add_nc_u32_e32 v5, v2, v5
	s_waitcnt lgkmcnt(0)
	v_dual_cndmask_b32 v2, v5, v2 :: v_dual_add_nc_u32 v21, v3, v21
	s_delay_alu instid0(VALU_DEP_1)
	v_cndmask_b32_e32 v3, v21, v3, vcc_lo
	v_cmp_gt_u32_e32 vcc_lo, 16, v77
	ds_bpermute_b32 v5, v92, v2
	ds_bpermute_b32 v21, v92, v3
	v_cndmask_b32_e64 v23, 0, 1, vcc_lo
	v_cmp_gt_u32_e32 vcc_lo, v93, v22
	s_delay_alu instid0(VALU_DEP_2) | instskip(NEXT) | instid1(VALU_DEP_1)
	v_lshlrev_b32_e32 v23, 4, v23
	v_add_lshl_u32 v94, v23, v77, 2
	s_waitcnt lgkmcnt(1)
	v_add_nc_u32_e32 v5, v2, v5
	s_waitcnt lgkmcnt(0)
	s_delay_alu instid0(VALU_DEP_1) | instskip(NEXT) | instid1(VALU_DEP_1)
	v_dual_cndmask_b32 v2, v5, v2 :: v_dual_add_nc_u32 v21, v3, v21
	v_cndmask_b32_e32 v3, v21, v3, vcc_lo
	v_cmp_le_u32_e32 vcc_lo, v95, v22
	ds_bpermute_b32 v5, v94, v2
	ds_bpermute_b32 v21, v94, v3
	s_waitcnt lgkmcnt(1)
	v_cndmask_b32_e32 v5, 0, v5, vcc_lo
	s_waitcnt lgkmcnt(0)
	s_delay_alu instid0(VALU_DEP_1) | instskip(NEXT) | instid1(VALU_DEP_1)
	v_dual_cndmask_b32 v21, 0, v21 :: v_dual_add_nc_u32 v2, v5, v2
	v_add_nc_u32_e32 v3, v21, v3
	v_mov_b32_e32 v21, 0
	s_branch .LBB558_106
.LBB558_105:                            ;   in Loop: Header=BB558_106 Depth=1
	s_or_b32 exec_lo, exec_lo, s8
	ds_bpermute_b32 v5, v86, v2
	ds_bpermute_b32 v24, v86, v3
	v_subrev_nc_u32_e32 v20, 32, v20
	s_waitcnt lgkmcnt(1)
	v_add_nc_u32_e32 v5, v5, v2
	v_and_b32_e32 v25, 0xff, v4
	s_waitcnt lgkmcnt(0)
	v_add_nc_u32_e32 v24, v24, v3
	s_delay_alu instid0(VALU_DEP_2) | instskip(SKIP_1) | instid1(VALU_DEP_1)
	v_cmp_eq_u16_e32 vcc_lo, 2, v25
	v_and_or_b32 v25, vcc_lo, v87, 0x80000000
	v_ctz_i32_b32_e32 v25, v25
	s_delay_alu instid0(VALU_DEP_1)
	v_cmp_lt_u32_e32 vcc_lo, v77, v25
	v_cndmask_b32_e32 v2, v2, v5, vcc_lo
	ds_bpermute_b32 v5, v88, v2
	s_waitcnt lgkmcnt(0)
	v_add_nc_u32_e32 v5, v2, v5
	v_cndmask_b32_e32 v3, v3, v24, vcc_lo
	v_cmp_gt_u32_e32 vcc_lo, v89, v25
	s_delay_alu instid0(VALU_DEP_3)
	v_cndmask_b32_e32 v2, v5, v2, vcc_lo
	ds_bpermute_b32 v24, v88, v3
	ds_bpermute_b32 v5, v90, v2
	s_waitcnt lgkmcnt(1)
	v_add_nc_u32_e32 v24, v3, v24
	s_waitcnt lgkmcnt(0)
	v_add_nc_u32_e32 v5, v2, v5
	s_delay_alu instid0(VALU_DEP_2) | instskip(SKIP_1) | instid1(VALU_DEP_3)
	v_cndmask_b32_e32 v3, v24, v3, vcc_lo
	v_cmp_gt_u32_e32 vcc_lo, v91, v25
	v_cndmask_b32_e32 v2, v5, v2, vcc_lo
	ds_bpermute_b32 v24, v90, v3
	ds_bpermute_b32 v5, v92, v2
	s_waitcnt lgkmcnt(1)
	v_add_nc_u32_e32 v24, v3, v24
	s_waitcnt lgkmcnt(0)
	v_add_nc_u32_e32 v5, v2, v5
	s_delay_alu instid0(VALU_DEP_2) | instskip(SKIP_1) | instid1(VALU_DEP_3)
	v_cndmask_b32_e32 v3, v24, v3, vcc_lo
	v_cmp_gt_u32_e32 vcc_lo, v93, v25
	v_cndmask_b32_e32 v2, v5, v2, vcc_lo
	ds_bpermute_b32 v24, v92, v3
	ds_bpermute_b32 v5, v94, v2
	s_waitcnt lgkmcnt(1)
	v_add_nc_u32_e32 v24, v3, v24
	s_delay_alu instid0(VALU_DEP_1) | instskip(SKIP_4) | instid1(VALU_DEP_1)
	v_cndmask_b32_e32 v3, v24, v3, vcc_lo
	v_cmp_le_u32_e32 vcc_lo, v95, v25
	ds_bpermute_b32 v24, v94, v3
	s_waitcnt lgkmcnt(1)
	v_cndmask_b32_e32 v5, 0, v5, vcc_lo
	v_add3_u32 v2, v2, v22, v5
	s_waitcnt lgkmcnt(0)
	v_cndmask_b32_e32 v24, 0, v24, vcc_lo
	s_delay_alu instid0(VALU_DEP_1)
	v_add3_u32 v3, v3, v23, v24
.LBB558_106:                            ; =>This Loop Header: Depth=1
                                        ;     Child Loop BB558_109 Depth 2
                                        ;       Child Loop BB558_110 Depth 3
	s_delay_alu instid0(VALU_DEP_1) | instskip(SKIP_1) | instid1(VALU_DEP_2)
	v_dual_mov_b32 v23, v3 :: v_dual_and_b32 v4, 0xff, v4
	v_mov_b32_e32 v22, v2
	v_cmp_ne_u16_e32 vcc_lo, 2, v4
	v_cndmask_b32_e64 v4, 0, 1, vcc_lo
	;;#ASMSTART
	;;#ASMEND
	s_delay_alu instid0(VALU_DEP_1)
	v_cmp_ne_u32_e32 vcc_lo, 0, v4
	s_cmp_lg_u32 vcc_lo, exec_lo
	s_cbranch_scc1 .LBB558_113
; %bb.107:                              ;   in Loop: Header=BB558_106 Depth=1
	v_lshlrev_b64 v[2:3], 4, v[20:21]
	s_mov_b32 s8, exec_lo
	s_delay_alu instid0(VALU_DEP_1) | instskip(NEXT) | instid1(VALU_DEP_2)
	v_add_co_u32 v24, vcc_lo, s4, v2
	v_add_co_ci_u32_e32 v25, vcc_lo, s5, v3, vcc_lo
	;;#ASMSTART
	global_load_dwordx4 v[2:5], v[24:25] off glc	
s_waitcnt vmcnt(0)
	;;#ASMEND
	v_and_b32_e32 v5, 0xff, v3
	v_and_b32_e32 v96, 0xff00, v3
	v_or3_b32 v2, v2, 0, 0
	v_and_b32_e32 v97, 0xff000000, v3
	v_and_b32_e32 v3, 0xff0000, v3
	s_delay_alu instid0(VALU_DEP_4) | instskip(SKIP_2) | instid1(VALU_DEP_3)
	v_or3_b32 v5, 0, v5, v96
	v_and_b32_e32 v96, 0xff, v4
	v_or3_b32 v2, v2, 0, 0
	v_or3_b32 v3, v5, v3, v97
	s_delay_alu instid0(VALU_DEP_3)
	v_cmpx_eq_u16_e32 0, v96
	s_cbranch_execz .LBB558_105
; %bb.108:                              ;   in Loop: Header=BB558_106 Depth=1
	s_mov_b32 s10, 1
	s_mov_b32 s9, 0
	.p2align	6
.LBB558_109:                            ;   Parent Loop BB558_106 Depth=1
                                        ; =>  This Loop Header: Depth=2
                                        ;       Child Loop BB558_110 Depth 3
	s_max_u32 s11, s10, 1
.LBB558_110:                            ;   Parent Loop BB558_106 Depth=1
                                        ;     Parent Loop BB558_109 Depth=2
                                        ; =>    This Inner Loop Header: Depth=3
	s_delay_alu instid0(SALU_CYCLE_1)
	s_add_i32 s11, s11, -1
	s_sleep 1
	s_cmp_eq_u32 s11, 0
	s_cbranch_scc0 .LBB558_110
; %bb.111:                              ;   in Loop: Header=BB558_109 Depth=2
	;;#ASMSTART
	global_load_dwordx4 v[2:5], v[24:25] off glc	
s_waitcnt vmcnt(0)
	;;#ASMEND
	v_and_b32_e32 v5, 0xff, v4
	s_cmp_lt_u32 s10, 32
	s_cselect_b32 s11, -1, 0
	s_delay_alu instid0(SALU_CYCLE_1) | instskip(NEXT) | instid1(VALU_DEP_1)
	s_cmp_lg_u32 s11, 0
	v_cmp_ne_u16_e32 vcc_lo, 0, v5
	s_addc_u32 s10, s10, 0
	s_or_b32 s9, vcc_lo, s9
	s_delay_alu instid0(SALU_CYCLE_1)
	s_and_not1_b32 exec_lo, exec_lo, s9
	s_cbranch_execnz .LBB558_109
; %bb.112:                              ;   in Loop: Header=BB558_106 Depth=1
	s_or_b32 exec_lo, exec_lo, s9
	s_branch .LBB558_105
.LBB558_113:                            ;   in Loop: Header=BB558_106 Depth=1
                                        ; implicit-def: $vgpr4
                                        ; implicit-def: $vgpr2_vgpr3
	s_cbranch_execz .LBB558_106
; %bb.114:
	s_and_saveexec_b32 s8, s2
	s_cbranch_execnz .LBB558_357
; %bb.115:
	s_or_b32 exec_lo, exec_lo, s8
	s_and_saveexec_b32 s8, s2
	s_cbranch_execnz .LBB558_358
.LBB558_116:
	s_or_b32 exec_lo, exec_lo, s8
	v_cmp_eq_u32_e32 vcc_lo, 0, v0
	s_and_b32 exec_lo, exec_lo, vcc_lo
	s_cbranch_execz .LBB558_118
.LBB558_117:
	v_mov_b32_e32 v1, 0
	ds_store_b64 v1, v[22:23] offset:56
.LBB558_118:
	s_or_b32 exec_lo, exec_lo, s6
	v_cmp_eq_u32_e32 vcc_lo, 0, v0
	v_mov_b32_e32 v1, 0
	s_waitcnt lgkmcnt(0)
	s_barrier
	buffer_gl0_inv
	v_add_nc_u32_e64 v3, 0x3400, 0
	ds_load_b64 v[20:21], v1 offset:56
	s_waitcnt lgkmcnt(0)
	s_barrier
	buffer_gl0_inv
	ds_load_2addr_b32 v[1:2], v3 offset1:2
	ds_load_2addr_b32 v[3:4], v3 offset0:4 offset1:6
	v_cndmask_b32_e64 v5, v84, v18, s2
	v_cndmask_b32_e64 v18, v85, v19, s2
	s_delay_alu instid0(VALU_DEP_2) | instskip(NEXT) | instid1(VALU_DEP_1)
	v_add_nc_u32_e32 v19, v20, v5
	v_dual_cndmask_b32 v20, v19, v20 :: v_dual_add_nc_u32 v5, v21, v18
	s_delay_alu instid0(VALU_DEP_1)
	v_cndmask_b32_e32 v5, v5, v21, vcc_lo
	s_branch .LBB558_129
.LBB558_119:
                                        ; implicit-def: $vgpr5
                                        ; implicit-def: $vgpr3
                                        ; implicit-def: $vgpr1
                                        ; implicit-def: $vgpr20_vgpr21
	s_and_b32 vcc_lo, exec_lo, s6
	s_cbranch_vccz .LBB558_129
; %bb.120:
	s_waitcnt lgkmcnt(0)
	v_mov_b32_dpp v2, v83 row_shr:1 row_mask:0xf bank_mask:0xf
	v_cmp_lt_u32_e32 vcc_lo, 3, v81
	v_mov_b32_dpp v1, v82 row_shr:1 row_mask:0xf bank_mask:0xf
	s_delay_alu instid0(VALU_DEP_3) | instskip(NEXT) | instid1(VALU_DEP_1)
	v_add_nc_u32_e32 v2, v2, v83
	v_cndmask_b32_e64 v2, v2, v83, s1
	s_delay_alu instid0(VALU_DEP_1) | instskip(NEXT) | instid1(VALU_DEP_1)
	v_mov_b32_dpp v4, v2 row_shr:2 row_mask:0xf bank_mask:0xf
	v_add_nc_u32_e32 v4, v2, v4
	s_delay_alu instid0(VALU_DEP_1) | instskip(NEXT) | instid1(VALU_DEP_1)
	v_cndmask_b32_e64 v2, v2, v4, s0
	v_mov_b32_dpp v4, v2 row_shr:4 row_mask:0xf bank_mask:0xf
	s_delay_alu instid0(VALU_DEP_1) | instskip(NEXT) | instid1(VALU_DEP_1)
	v_add_nc_u32_e32 v4, v2, v4
	v_dual_cndmask_b32 v2, v2, v4 :: v_dual_add_nc_u32 v1, v1, v82
	s_delay_alu instid0(VALU_DEP_1) | instskip(NEXT) | instid1(VALU_DEP_2)
	v_cndmask_b32_e64 v1, v1, v82, s1
	v_mov_b32_dpp v4, v2 row_shr:8 row_mask:0xf bank_mask:0xf
	s_delay_alu instid0(VALU_DEP_2) | instskip(NEXT) | instid1(VALU_DEP_2)
	v_mov_b32_dpp v3, v1 row_shr:2 row_mask:0xf bank_mask:0xf
	v_add_nc_u32_e32 v4, v2, v4
	s_delay_alu instid0(VALU_DEP_2) | instskip(NEXT) | instid1(VALU_DEP_1)
	v_add_nc_u32_e32 v3, v1, v3
	v_cndmask_b32_e64 v1, v1, v3, s0
	s_mov_b32 s0, exec_lo
	s_delay_alu instid0(VALU_DEP_1) | instskip(NEXT) | instid1(VALU_DEP_1)
	v_mov_b32_dpp v3, v1 row_shr:4 row_mask:0xf bank_mask:0xf
	v_add_nc_u32_e32 v3, v1, v3
	s_delay_alu instid0(VALU_DEP_1) | instskip(SKIP_1) | instid1(VALU_DEP_2)
	v_cndmask_b32_e32 v1, v1, v3, vcc_lo
	v_cmp_lt_u32_e32 vcc_lo, 7, v81
	v_mov_b32_dpp v3, v1 row_shr:8 row_mask:0xf bank_mask:0xf
	s_delay_alu instid0(VALU_DEP_1) | instskip(NEXT) | instid1(VALU_DEP_1)
	v_dual_cndmask_b32 v2, v2, v4 :: v_dual_add_nc_u32 v3, v1, v3
	v_cndmask_b32_e32 v1, v1, v3, vcc_lo
	ds_swizzle_b32 v3, v2 offset:swizzle(BROADCAST,32,15)
	v_cmp_eq_u32_e32 vcc_lo, 0, v80
	ds_swizzle_b32 v4, v1 offset:swizzle(BROADCAST,32,15)
	s_waitcnt lgkmcnt(1)
	v_add_nc_u32_e32 v3, v2, v3
	s_waitcnt lgkmcnt(0)
	v_add_nc_u32_e32 v4, v1, v4
	s_delay_alu instid0(VALU_DEP_1)
	v_dual_cndmask_b32 v2, v3, v2 :: v_dual_cndmask_b32 v1, v4, v1
	v_cmpx_eq_u32_e64 v79, v0
	s_cbranch_execz .LBB558_122
; %bb.121:
	v_lshlrev_b32_e32 v3, 3, v78
	ds_store_b64 v3, v[1:2]
.LBB558_122:
	s_or_b32 exec_lo, exec_lo, s0
	s_delay_alu instid0(SALU_CYCLE_1)
	s_mov_b32 s0, exec_lo
	s_waitcnt lgkmcnt(0)
	s_barrier
	buffer_gl0_inv
	v_cmpx_gt_u32_e32 8, v0
	s_cbranch_execz .LBB558_124
; %bb.123:
	v_lshlrev_b32_e32 v5, 3, v0
	ds_load_b64 v[3:4], v5
	s_waitcnt lgkmcnt(0)
	v_mov_b32_dpp v18, v3 row_shr:1 row_mask:0xf bank_mask:0xf
	v_mov_b32_dpp v19, v4 row_shr:1 row_mask:0xf bank_mask:0xf
	s_delay_alu instid0(VALU_DEP_2) | instskip(SKIP_1) | instid1(VALU_DEP_3)
	v_add_nc_u32_e32 v18, v18, v3
	v_and_b32_e32 v20, 7, v77
	v_add_nc_u32_e32 v19, v19, v4
	s_delay_alu instid0(VALU_DEP_2) | instskip(NEXT) | instid1(VALU_DEP_2)
	v_cmp_eq_u32_e32 vcc_lo, 0, v20
	v_dual_cndmask_b32 v4, v19, v4 :: v_dual_cndmask_b32 v3, v18, v3
	v_cmp_lt_u32_e32 vcc_lo, 1, v20
	s_delay_alu instid0(VALU_DEP_2) | instskip(NEXT) | instid1(VALU_DEP_3)
	v_mov_b32_dpp v19, v4 row_shr:2 row_mask:0xf bank_mask:0xf
	v_mov_b32_dpp v18, v3 row_shr:2 row_mask:0xf bank_mask:0xf
	s_delay_alu instid0(VALU_DEP_2) | instskip(NEXT) | instid1(VALU_DEP_2)
	v_add_nc_u32_e32 v19, v4, v19
	v_add_nc_u32_e32 v18, v3, v18
	s_delay_alu instid0(VALU_DEP_1) | instskip(SKIP_1) | instid1(VALU_DEP_2)
	v_dual_cndmask_b32 v4, v4, v19 :: v_dual_cndmask_b32 v3, v3, v18
	v_cmp_lt_u32_e32 vcc_lo, 3, v20
	v_mov_b32_dpp v19, v4 row_shr:4 row_mask:0xf bank_mask:0xf
	s_delay_alu instid0(VALU_DEP_3) | instskip(NEXT) | instid1(VALU_DEP_1)
	v_mov_b32_dpp v18, v3 row_shr:4 row_mask:0xf bank_mask:0xf
	v_dual_cndmask_b32 v19, 0, v19 :: v_dual_cndmask_b32 v18, 0, v18
	s_delay_alu instid0(VALU_DEP_1) | instskip(NEXT) | instid1(VALU_DEP_2)
	v_add_nc_u32_e32 v4, v19, v4
	v_add_nc_u32_e32 v3, v18, v3
	ds_store_b64 v5, v[3:4]
.LBB558_124:
	s_or_b32 exec_lo, exec_lo, s0
	v_dual_mov_b32 v3, 0 :: v_dual_mov_b32 v18, 0
	v_mov_b32_e32 v19, 0
	s_mov_b32 s0, exec_lo
	s_waitcnt lgkmcnt(0)
	s_barrier
	buffer_gl0_inv
	v_cmpx_lt_u32_e32 31, v0
	s_cbranch_execz .LBB558_126
; %bb.125:
	v_lshl_add_u32 v4, v78, 3, -8
	ds_load_b64 v[18:19], v4
.LBB558_126:
	s_or_b32 exec_lo, exec_lo, s0
	v_add_nc_u32_e32 v4, -1, v77
	s_waitcnt lgkmcnt(0)
	v_add_nc_u32_e32 v20, v19, v2
	v_add_nc_u32_e32 v5, v18, v1
	ds_load_b64 v[1:2], v3 offset:56
	v_cmp_gt_i32_e32 vcc_lo, 0, v4
	v_cndmask_b32_e32 v4, v4, v77, vcc_lo
	v_cmp_eq_u32_e32 vcc_lo, 0, v0
	s_delay_alu instid0(VALU_DEP_2)
	v_lshlrev_b32_e32 v4, 2, v4
	ds_bpermute_b32 v5, v4, v5
	ds_bpermute_b32 v20, v4, v20
	s_waitcnt lgkmcnt(2)
	v_readfirstlane_b32 s1, v2
	s_and_saveexec_b32 s0, vcc_lo
	s_cbranch_execz .LBB558_128
; %bb.127:
	s_mov_b32 s6, 0
	s_add_u32 s4, s4, 0x200
	s_addc_u32 s5, s5, 0
	s_and_b32 s7, s1, 0xff000000
	s_and_b32 s9, s1, 0xff0000
	s_mov_b32 s8, s6
	v_mov_b32_e32 v22, s5
	s_or_b64 s[8:9], s[8:9], s[6:7]
	s_and_b32 s7, s1, 0xff00
	v_dual_mov_b32 v4, 0 :: v_dual_mov_b32 v21, s4
	s_or_b64 s[8:9], s[8:9], s[6:7]
	s_and_b32 s7, s1, 0xff
	v_mov_b32_e32 v3, 2
	s_or_b64 s[6:7], s[8:9], s[6:7]
	s_delay_alu instid0(SALU_CYCLE_1)
	v_mov_b32_e32 v2, s7
	;;#ASMSTART
	global_store_dwordx4 v[21:22], v[1:4] off	
s_waitcnt vmcnt(0)
	;;#ASMEND
.LBB558_128:
	s_or_b32 exec_lo, exec_lo, s0
	v_cmp_eq_u32_e64 s0, 0, v77
	v_dual_mov_b32 v3, 0 :: v_dual_mov_b32 v2, s1
	s_waitcnt lgkmcnt(0)
	s_barrier
	s_delay_alu instid0(VALU_DEP_2)
	v_cndmask_b32_e64 v4, v5, v18, s0
	v_cndmask_b32_e64 v5, v20, v19, s0
	buffer_gl0_inv
	v_cndmask_b32_e64 v20, v4, 0, vcc_lo
	v_cndmask_b32_e64 v5, v5, 0, vcc_lo
	v_mov_b32_e32 v4, 0
.LBB558_129:
	v_and_b32_e32 v30, 1, v30
	v_and_b32_e32 v34, 1, v34
	;; [unrolled: 1-line block ×4, first 2 shown]
	s_waitcnt lgkmcnt(0)
	v_add_co_u32 v18, s0, s28, v3
	v_cmp_eq_u32_e32 vcc_lo, 1, v30
	v_add_nc_u32_e32 v22, v5, v76
	v_sub_nc_u32_e32 v5, v5, v4
	v_add_co_ci_u32_e64 v19, null, s29, 0, s0
	s_mov_b32 s2, -1
	s_delay_alu instid0(VALU_DEP_3) | instskip(SKIP_3) | instid1(VALU_DEP_3)
	v_add_nc_u32_e32 v24, v22, v72
	v_sub_nc_u32_e32 v22, v22, v4
	v_add_nc_u32_e32 v5, v5, v1
	v_sub_co_u32 v72, s0, s30, v1
	v_add_nc_u32_e32 v22, v22, v1
	v_add_nc_u32_e32 v21, v20, v75
	v_sub_nc_u32_e32 v20, v20, v3
	s_delay_alu instid0(VALU_DEP_2)
	v_add_nc_u32_e32 v23, v21, v71
	v_add_nc_u32_e32 v71, v24, v74
	v_lshlrev_b32_e32 v74, 1, v1
	v_sub_nc_u32_e32 v21, v21, v3
	v_add_nc_u32_e32 v75, v20, v5
	v_sub_nc_u32_e32 v24, v24, v4
	s_delay_alu instid0(VALU_DEP_4) | instskip(NEXT) | instid1(VALU_DEP_4)
	v_add3_u32 v28, v74, v2, v28
	v_add_nc_u32_e32 v76, v22, v21
	s_delay_alu instid0(VALU_DEP_3) | instskip(NEXT) | instid1(VALU_DEP_3)
	v_add_nc_u32_e32 v24, v24, v1
	v_sub_nc_u32_e32 v75, v28, v75
	s_delay_alu instid0(VALU_DEP_3) | instskip(NEXT) | instid1(VALU_DEP_1)
	v_sub_nc_u32_e32 v76, v28, v76
	v_dual_cndmask_b32 v5, v75, v5 :: v_dual_add_nc_u32 v30, 1, v76
	v_cmp_eq_u32_e32 vcc_lo, 1, v34
	s_delay_alu instid0(VALU_DEP_2) | instskip(SKIP_1) | instid1(VALU_DEP_4)
	v_cndmask_b32_e32 v22, v30, v22, vcc_lo
	v_cmp_eq_u32_e32 vcc_lo, 1, v29
	v_cndmask_b32_e32 v5, v5, v20, vcc_lo
	v_and_b32_e32 v20, 1, v36
	v_cmp_eq_u32_e32 vcc_lo, 1, v33
	s_delay_alu instid0(VALU_DEP_3) | instskip(SKIP_1) | instid1(VALU_DEP_4)
	v_lshlrev_b32_e32 v5, 2, v5
	v_cndmask_b32_e32 v21, v22, v21, vcc_lo
	v_cmp_eq_u32_e32 vcc_lo, 1, v20
	v_add_nc_u32_e32 v25, v23, v73
	v_sub_nc_u32_e32 v23, v23, v3
	v_and_b32_e32 v22, 1, v31
	v_sub_co_ci_u32_e64 v73, null, s31, 0, s0
	v_and_b32_e32 v31, 1, v32
	s_delay_alu instid0(VALU_DEP_4) | instskip(NEXT) | instid1(VALU_DEP_1)
	v_add_nc_u32_e32 v77, v24, v23
	v_sub_nc_u32_e32 v75, v28, v77
	s_delay_alu instid0(VALU_DEP_1) | instskip(NEXT) | instid1(VALU_DEP_1)
	v_add_nc_u32_e32 v29, 2, v75
	v_cndmask_b32_e32 v20, v29, v24, vcc_lo
	v_sub_nc_u32_e32 v24, v71, v4
	v_cmp_eq_u32_e32 vcc_lo, 1, v22
	v_add_nc_u32_e32 v69, v25, v69
	v_lshlrev_b32_e32 v29, 2, v21
	ds_store_b32 v5, v16
	ds_store_b32 v29, v17
	v_cndmask_b32_e32 v22, v20, v23, vcc_lo
	v_sub_nc_u32_e32 v23, v25, v3
	v_add_nc_u32_e32 v24, v24, v1
	v_add_co_u32 v20, vcc_lo, v72, v4
	s_delay_alu instid0(VALU_DEP_4) | instskip(SKIP_1) | instid1(VALU_DEP_4)
	v_lshlrev_b32_e32 v5, 2, v22
	v_and_b32_e32 v22, 1, v35
	v_add_nc_u32_e32 v25, v23, v24
	v_add_co_ci_u32_e32 v21, vcc_lo, 0, v73, vcc_lo
	ds_store_b32 v5, v14
	v_cmp_eq_u32_e32 vcc_lo, 1, v22
	v_sub_nc_u32_e32 v17, v28, v25
	v_sub_nc_u32_e32 v29, v69, v3
	v_add_nc_u32_e32 v67, v69, v67
	s_delay_alu instid0(VALU_DEP_3) | instskip(NEXT) | instid1(VALU_DEP_2)
	v_add_nc_u32_e32 v17, 3, v17
	v_sub_nc_u32_e32 v30, v67, v3
	s_delay_alu instid0(VALU_DEP_2) | instskip(SKIP_2) | instid1(VALU_DEP_3)
	v_cndmask_b32_e32 v17, v17, v24, vcc_lo
	v_cmp_eq_u32_e32 vcc_lo, 1, v31
	v_and_b32_e32 v24, 1, v39
	v_cndmask_b32_e32 v14, v17, v23, vcc_lo
	v_add_nc_u32_e32 v70, v71, v70
	v_and_b32_e32 v23, 1, v38
	s_delay_alu instid0(VALU_DEP_3) | instskip(NEXT) | instid1(VALU_DEP_3)
	v_lshlrev_b32_e32 v14, 2, v14
	v_add_nc_u32_e32 v68, v70, v68
	v_sub_nc_u32_e32 v16, v70, v4
	ds_store_b32 v14, v15
	v_sub_nc_u32_e32 v25, v68, v4
	v_add_nc_u32_e32 v16, v16, v1
	s_delay_alu instid0(VALU_DEP_2) | instskip(NEXT) | instid1(VALU_DEP_2)
	v_add_nc_u32_e32 v25, v25, v1
	v_add_nc_u32_e32 v32, v29, v16
	s_delay_alu instid0(VALU_DEP_2) | instskip(NEXT) | instid1(VALU_DEP_2)
	v_add_nc_u32_e32 v22, v30, v25
	v_sub_nc_u32_e32 v5, v28, v32
	s_delay_alu instid0(VALU_DEP_2) | instskip(SKIP_1) | instid1(VALU_DEP_3)
	v_sub_nc_u32_e32 v17, v28, v22
	v_and_b32_e32 v22, 1, v37
	v_add_nc_u32_e32 v5, 4, v5
	s_delay_alu instid0(VALU_DEP_3) | instskip(NEXT) | instid1(VALU_DEP_3)
	v_add_nc_u32_e32 v17, 5, v17
	v_cmp_eq_u32_e32 vcc_lo, 1, v22
	s_delay_alu instid0(VALU_DEP_3)
	v_cndmask_b32_e32 v5, v5, v16, vcc_lo
	v_cmp_eq_u32_e32 vcc_lo, 1, v24
	v_and_b32_e32 v16, 1, v41
	v_cndmask_b32_e32 v17, v17, v25, vcc_lo
	v_cmp_eq_u32_e32 vcc_lo, 1, v23
	v_cndmask_b32_e32 v5, v5, v29, vcc_lo
	s_delay_alu instid0(VALU_DEP_4) | instskip(SKIP_1) | instid1(VALU_DEP_3)
	v_cmp_eq_u32_e32 vcc_lo, 1, v16
	v_add_nc_u32_e32 v66, v68, v66
	v_dual_cndmask_b32 v16, v17, v30 :: v_dual_lshlrev_b32 v5, 2, v5
	s_delay_alu instid0(VALU_DEP_2) | instskip(SKIP_1) | instid1(VALU_DEP_3)
	v_sub_nc_u32_e32 v22, v66, v4
	v_add_nc_u32_e32 v62, v66, v62
	v_lshlrev_b32_e32 v16, 2, v16
	ds_store_b32 v5, v12
	ds_store_b32 v16, v13
	v_and_b32_e32 v12, 1, v40
	v_add_nc_u32_e32 v22, v22, v1
	v_add_nc_u32_e32 v64, v62, v64
	v_sub_nc_u32_e32 v17, v62, v4
	v_and_b32_e32 v16, 1, v43
	v_cmp_eq_u32_e32 vcc_lo, 1, v12
	v_add_nc_u32_e32 v65, v67, v65
	v_sub_nc_u32_e32 v15, v64, v4
	v_add_nc_u32_e32 v17, v17, v1
	s_delay_alu instid0(VALU_DEP_3) | instskip(NEXT) | instid1(VALU_DEP_3)
	v_sub_nc_u32_e32 v23, v65, v3
	v_add_nc_u32_e32 v15, v15, v1
	s_delay_alu instid0(VALU_DEP_2) | instskip(NEXT) | instid1(VALU_DEP_1)
	v_add_nc_u32_e32 v24, v23, v22
	v_sub_nc_u32_e32 v14, v28, v24
	v_and_b32_e32 v24, 1, v48
	s_delay_alu instid0(VALU_DEP_2) | instskip(SKIP_1) | instid1(VALU_DEP_2)
	v_add_nc_u32_e32 v13, 6, v14
	v_and_b32_e32 v14, 1, v42
	v_cndmask_b32_e32 v12, v13, v22, vcc_lo
	v_add_nc_u32_e32 v61, v65, v61
	s_delay_alu instid0(VALU_DEP_3) | instskip(SKIP_1) | instid1(VALU_DEP_3)
	v_cmp_eq_u32_e32 vcc_lo, 1, v14
	v_and_b32_e32 v22, 1, v44
	v_sub_nc_u32_e32 v25, v61, v3
	v_add_nc_u32_e32 v63, v61, v63
	v_cndmask_b32_e32 v12, v12, v23, vcc_lo
	v_cmp_eq_u32_e32 vcc_lo, 1, v16
	v_and_b32_e32 v23, 1, v46
	v_add_nc_u32_e32 v5, v25, v17
	v_sub_nc_u32_e32 v13, v63, v3
	v_lshlrev_b32_e32 v12, 2, v12
	v_add_nc_u32_e32 v59, v63, v59
	s_delay_alu instid0(VALU_DEP_4) | instskip(NEXT) | instid1(VALU_DEP_4)
	v_sub_nc_u32_e32 v5, v28, v5
	v_add_nc_u32_e32 v14, v13, v15
	s_delay_alu instid0(VALU_DEP_3) | instskip(NEXT) | instid1(VALU_DEP_3)
	v_add_nc_u32_e32 v57, v59, v57
	v_add_nc_u32_e32 v5, 7, v5
	s_delay_alu instid0(VALU_DEP_3) | instskip(NEXT) | instid1(VALU_DEP_3)
	v_sub_nc_u32_e32 v14, v28, v14
	v_add_nc_u32_e32 v55, v57, v55
	s_delay_alu instid0(VALU_DEP_3)
	v_cndmask_b32_e32 v5, v5, v17, vcc_lo
	v_cmp_eq_u32_e32 vcc_lo, 1, v22
	v_and_b32_e32 v17, 1, v45
	v_add_nc_u32_e32 v14, 8, v14
	v_sub_nc_u32_e32 v22, v59, v3
	v_add_nc_u32_e32 v53, v55, v53
	v_cndmask_b32_e32 v5, v5, v25, vcc_lo
	v_cmp_eq_u32_e32 vcc_lo, 1, v17
	v_sub_nc_u32_e32 v17, v55, v3
	v_and_b32_e32 v25, 1, v52
	s_delay_alu instid0(VALU_DEP_4)
	v_dual_cndmask_b32 v14, v14, v15 :: v_dual_lshlrev_b32 v5, 2, v5
	v_cmp_eq_u32_e32 vcc_lo, 1, v23
	v_add_nc_u32_e32 v60, v64, v60
	ds_store_b32 v12, v10
	ds_store_b32 v5, v11
	v_and_b32_e32 v11, 1, v49
	v_cndmask_b32_e32 v5, v14, v13, vcc_lo
	v_sub_nc_u32_e32 v16, v60, v4
	v_add_nc_u32_e32 v58, v60, v58
	v_and_b32_e32 v13, 1, v47
	s_delay_alu instid0(VALU_DEP_4) | instskip(NEXT) | instid1(VALU_DEP_4)
	v_lshlrev_b32_e32 v5, 2, v5
	v_add_nc_u32_e32 v16, v16, v1
	s_delay_alu instid0(VALU_DEP_4) | instskip(SKIP_2) | instid1(VALU_DEP_4)
	v_add_nc_u32_e32 v56, v58, v56
	v_sub_nc_u32_e32 v12, v58, v4
	v_cmp_eq_u32_e32 vcc_lo, 1, v13
	v_add_nc_u32_e32 v15, v22, v16
	s_delay_alu instid0(VALU_DEP_4) | instskip(NEXT) | instid1(VALU_DEP_4)
	v_sub_nc_u32_e32 v14, v56, v4
	v_add_nc_u32_e32 v12, v12, v1
	v_add_nc_u32_e32 v54, v56, v54
	s_delay_alu instid0(VALU_DEP_4) | instskip(SKIP_2) | instid1(VALU_DEP_4)
	v_sub_nc_u32_e32 v10, v28, v15
	v_sub_nc_u32_e32 v15, v57, v3
	v_add_nc_u32_e32 v14, v14, v1
	v_sub_nc_u32_e32 v23, v54, v4
	v_sub_nc_u32_e32 v3, v53, v3
	v_add_nc_u32_e32 v10, 9, v10
	v_add_nc_u32_e32 v13, v15, v12
	s_delay_alu instid0(VALU_DEP_2) | instskip(SKIP_2) | instid1(VALU_DEP_4)
	v_dual_cndmask_b32 v10, v10, v16 :: v_dual_add_nc_u32 v23, v23, v1
	v_add_nc_u32_e32 v16, v17, v14
	v_cmp_eq_u32_e32 vcc_lo, 1, v11
	v_sub_nc_u32_e32 v11, v28, v13
	v_and_b32_e32 v13, 1, v50
	s_delay_alu instid0(VALU_DEP_4) | instskip(NEXT) | instid1(VALU_DEP_3)
	v_sub_nc_u32_e32 v16, v28, v16
	v_dual_cndmask_b32 v10, v10, v22 :: v_dual_add_nc_u32 v11, 10, v11
	v_cmp_eq_u32_e32 vcc_lo, 1, v24
	v_add_nc_u32_e32 v22, v3, v23
	s_delay_alu instid0(VALU_DEP_4) | instskip(NEXT) | instid1(VALU_DEP_4)
	v_add_nc_u32_e32 v16, 11, v16
	v_dual_cndmask_b32 v11, v11, v12 :: v_dual_lshlrev_b32 v10, 2, v10
	v_cmp_eq_u32_e32 vcc_lo, 1, v25
	s_delay_alu instid0(VALU_DEP_4) | instskip(SKIP_3) | instid1(VALU_DEP_4)
	v_sub_nc_u32_e32 v22, v28, v22
	v_and_b32_e32 v12, 1, v51
	v_cndmask_b32_e32 v14, v16, v14, vcc_lo
	v_cmp_eq_u32_e32 vcc_lo, 1, v13
	v_dual_cndmask_b32 v11, v11, v15 :: v_dual_add_nc_u32 v16, 12, v22
	s_delay_alu instid0(VALU_DEP_4) | instskip(NEXT) | instid1(VALU_DEP_2)
	v_cmp_eq_u32_e32 vcc_lo, 1, v12
	v_cndmask_b32_e64 v13, v16, v23, s43
	s_delay_alu instid0(VALU_DEP_3) | instskip(NEXT) | instid1(VALU_DEP_2)
	v_dual_cndmask_b32 v12, v14, v17 :: v_dual_lshlrev_b32 v11, 2, v11
	v_cndmask_b32_e64 v3, v13, v3, s42
	s_delay_alu instid0(VALU_DEP_2)
	v_lshlrev_b32_e32 v12, 2, v12
	ds_store_b32 v5, v8
	ds_store_b32 v10, v9
	;; [unrolled: 1-line block ×4, first 2 shown]
	v_lshlrev_b32_e32 v3, 2, v3
	v_add_co_u32 v5, s0, v2, v74
	s_delay_alu instid0(VALU_DEP_1) | instskip(SKIP_4) | instid1(VALU_DEP_2)
	v_add_co_ci_u32_e64 v6, null, 0, 0, s0
	ds_store_b32 v3, v27
	v_add_co_u32 v3, vcc_lo, v5, v20
	v_add_co_ci_u32_e32 v5, vcc_lo, v6, v21, vcc_lo
	s_add_u32 s0, s34, s33
	v_add_co_u32 v3, vcc_lo, v3, v18
	s_delay_alu instid0(VALU_DEP_2) | instskip(SKIP_1) | instid1(VALU_DEP_2)
	v_add_co_ci_u32_e32 v5, vcc_lo, v5, v19, vcc_lo
	s_addc_u32 s1, s35, 0
	v_sub_co_u32 v3, vcc_lo, s0, v3
	s_delay_alu instid0(VALU_DEP_2)
	v_sub_co_ci_u32_e32 v9, vcc_lo, s1, v5, vcc_lo
	v_lshlrev_b64 v[5:6], 2, v[20:21]
	v_lshlrev_b64 v[7:8], 2, v[18:19]
	v_add_nc_u32_e32 v10, v1, v2
	s_add_u32 s1, s26, -4
	s_waitcnt lgkmcnt(0)
	s_barrier
	v_add_co_u32 v5, vcc_lo, s38, v5
	v_add_co_ci_u32_e32 v6, vcc_lo, s39, v6, vcc_lo
	v_cmp_ne_u32_e32 vcc_lo, 1, v26
	v_add_co_u32 v7, s0, s36, v7
	s_delay_alu instid0(VALU_DEP_1)
	v_add_co_ci_u32_e64 v8, s0, s37, v8, s0
	s_addc_u32 s0, s27, -1
	buffer_gl0_inv
	s_cbranch_vccz .LBB558_133
; %bb.130:
	s_and_b32 vcc_lo, exec_lo, s2
	s_cbranch_vccnz .LBB558_238
.LBB558_131:
	v_cmp_eq_u32_e32 vcc_lo, 0, v0
	s_and_b32 s0, vcc_lo, s14
	s_delay_alu instid0(SALU_CYCLE_1)
	s_and_saveexec_b32 s1, s0
	s_cbranch_execnz .LBB558_356
.LBB558_132:
	s_nop 0
	s_sendmsg sendmsg(MSG_DEALLOC_VGPRS)
	s_endpgm
.LBB558_133:
	s_mov_b32 s2, exec_lo
	v_cmpx_le_u32_e64 v1, v0
	s_xor_b32 s2, exec_lo, s2
	s_cbranch_execz .LBB558_139
; %bb.134:
	s_mov_b32 s4, exec_lo
	v_cmpx_le_u32_e64 v10, v0
	s_xor_b32 s4, exec_lo, s4
	s_cbranch_execz .LBB558_136
; %bb.135:
	v_lshlrev_b32_e32 v11, 2, v0
	ds_load_b32 v13, v11
	v_add_co_u32 v11, vcc_lo, v3, v0
	v_add_co_ci_u32_e32 v12, vcc_lo, 0, v9, vcc_lo
	s_delay_alu instid0(VALU_DEP_1) | instskip(NEXT) | instid1(VALU_DEP_1)
	v_lshlrev_b64 v[11:12], 2, v[11:12]
	v_sub_co_u32 v11, vcc_lo, s26, v11
	s_delay_alu instid0(VALU_DEP_2)
	v_sub_co_ci_u32_e32 v12, vcc_lo, s27, v12, vcc_lo
	s_waitcnt lgkmcnt(0)
	global_store_b32 v[11:12], v13, off offset:-4
.LBB558_136:
	s_and_not1_saveexec_b32 s4, s4
	s_cbranch_execz .LBB558_138
; %bb.137:
	v_lshlrev_b32_e32 v11, 2, v0
	v_readfirstlane_b32 s6, v5
	v_readfirstlane_b32 s7, v6
	ds_load_b32 v12, v11
	s_waitcnt lgkmcnt(0)
	global_store_b32 v11, v12, s[6:7]
.LBB558_138:
	s_or_b32 exec_lo, exec_lo, s4
.LBB558_139:
	s_and_not1_saveexec_b32 s2, s2
	s_cbranch_execz .LBB558_141
; %bb.140:
	v_lshlrev_b32_e32 v11, 2, v0
	v_readfirstlane_b32 s4, v7
	v_readfirstlane_b32 s5, v8
	ds_load_b32 v12, v11
	s_waitcnt lgkmcnt(0)
	global_store_b32 v11, v12, s[4:5]
.LBB558_141:
	s_or_b32 exec_lo, exec_lo, s2
	v_or_b32_e32 v11, 0x100, v0
	s_mov_b32 s2, exec_lo
	s_delay_alu instid0(VALU_DEP_1)
	v_cmpx_le_u32_e64 v1, v11
	s_xor_b32 s2, exec_lo, s2
	s_cbranch_execz .LBB558_147
; %bb.142:
	s_mov_b32 s4, exec_lo
	v_cmpx_le_u32_e64 v10, v11
	s_xor_b32 s4, exec_lo, s4
	s_cbranch_execz .LBB558_144
; %bb.143:
	v_lshlrev_b32_e32 v11, 2, v0
	ds_load_b32 v13, v11 offset:1024
	v_add_co_u32 v11, vcc_lo, v3, v0
	v_add_co_ci_u32_e32 v12, vcc_lo, 0, v9, vcc_lo
	s_delay_alu instid0(VALU_DEP_1) | instskip(NEXT) | instid1(VALU_DEP_1)
	v_lshlrev_b64 v[11:12], 2, v[11:12]
	v_sub_co_u32 v11, vcc_lo, s1, v11
	s_delay_alu instid0(VALU_DEP_2)
	v_sub_co_ci_u32_e32 v12, vcc_lo, s0, v12, vcc_lo
	s_waitcnt lgkmcnt(0)
	global_store_b32 v[11:12], v13, off offset:-1024
.LBB558_144:
	s_and_not1_saveexec_b32 s4, s4
	s_cbranch_execz .LBB558_146
; %bb.145:
	v_lshlrev_b32_e32 v11, 2, v0
	v_readfirstlane_b32 s6, v5
	v_readfirstlane_b32 s7, v6
	ds_load_b32 v12, v11 offset:1024
	s_waitcnt lgkmcnt(0)
	global_store_b32 v11, v12, s[6:7] offset:1024
.LBB558_146:
	s_or_b32 exec_lo, exec_lo, s4
.LBB558_147:
	s_and_not1_saveexec_b32 s2, s2
	s_cbranch_execz .LBB558_149
; %bb.148:
	v_lshlrev_b32_e32 v11, 2, v0
	v_readfirstlane_b32 s4, v7
	v_readfirstlane_b32 s5, v8
	ds_load_b32 v12, v11 offset:1024
	s_waitcnt lgkmcnt(0)
	global_store_b32 v11, v12, s[4:5] offset:1024
.LBB558_149:
	s_or_b32 exec_lo, exec_lo, s2
	v_or_b32_e32 v11, 0x200, v0
	s_mov_b32 s2, exec_lo
	s_delay_alu instid0(VALU_DEP_1)
	v_cmpx_le_u32_e64 v1, v11
	s_xor_b32 s2, exec_lo, s2
	s_cbranch_execz .LBB558_155
; %bb.150:
	s_mov_b32 s4, exec_lo
	v_cmpx_le_u32_e64 v10, v11
	s_xor_b32 s4, exec_lo, s4
	s_cbranch_execz .LBB558_152
; %bb.151:
	v_lshlrev_b32_e32 v11, 2, v0
	ds_load_b32 v13, v11 offset:2048
	v_add_co_u32 v11, vcc_lo, v3, v0
	v_add_co_ci_u32_e32 v12, vcc_lo, 0, v9, vcc_lo
	s_delay_alu instid0(VALU_DEP_1) | instskip(NEXT) | instid1(VALU_DEP_1)
	v_lshlrev_b64 v[11:12], 2, v[11:12]
	v_sub_co_u32 v11, vcc_lo, s1, v11
	s_delay_alu instid0(VALU_DEP_2)
	v_sub_co_ci_u32_e32 v12, vcc_lo, s0, v12, vcc_lo
	s_waitcnt lgkmcnt(0)
	global_store_b32 v[11:12], v13, off offset:-2048
.LBB558_152:
	s_and_not1_saveexec_b32 s4, s4
	s_cbranch_execz .LBB558_154
; %bb.153:
	v_lshlrev_b32_e32 v11, 2, v0
	v_readfirstlane_b32 s6, v5
	v_readfirstlane_b32 s7, v6
	ds_load_b32 v12, v11 offset:2048
	s_waitcnt lgkmcnt(0)
	global_store_b32 v11, v12, s[6:7] offset:2048
.LBB558_154:
	s_or_b32 exec_lo, exec_lo, s4
.LBB558_155:
	s_and_not1_saveexec_b32 s2, s2
	s_cbranch_execz .LBB558_157
; %bb.156:
	v_lshlrev_b32_e32 v11, 2, v0
	v_readfirstlane_b32 s4, v7
	v_readfirstlane_b32 s5, v8
	ds_load_b32 v12, v11 offset:2048
	s_waitcnt lgkmcnt(0)
	global_store_b32 v11, v12, s[4:5] offset:2048
.LBB558_157:
	;; [unrolled: 47-line block ×3, first 2 shown]
	s_or_b32 exec_lo, exec_lo, s2
	v_or_b32_e32 v11, 0x400, v0
	s_mov_b32 s2, exec_lo
	s_delay_alu instid0(VALU_DEP_1)
	v_cmpx_le_u32_e64 v1, v11
	s_xor_b32 s2, exec_lo, s2
	s_cbranch_execz .LBB558_171
; %bb.166:
	s_mov_b32 s4, exec_lo
	v_cmpx_le_u32_e64 v10, v11
	s_xor_b32 s4, exec_lo, s4
	s_cbranch_execz .LBB558_168
; %bb.167:
	v_lshlrev_b32_e32 v11, 2, v0
	ds_load_b32 v13, v11 offset:4096
	v_add_co_u32 v11, vcc_lo, v3, v0
	v_add_co_ci_u32_e32 v12, vcc_lo, 0, v9, vcc_lo
	s_delay_alu instid0(VALU_DEP_1) | instskip(NEXT) | instid1(VALU_DEP_1)
	v_lshlrev_b64 v[11:12], 2, v[11:12]
	v_sub_co_u32 v11, vcc_lo, s1, v11
	s_delay_alu instid0(VALU_DEP_2)
	v_sub_co_ci_u32_e32 v12, vcc_lo, s0, v12, vcc_lo
	s_waitcnt lgkmcnt(0)
	global_store_b32 v[11:12], v13, off offset:-4096
                                        ; implicit-def: $vgpr11
.LBB558_168:
	s_and_not1_saveexec_b32 s4, s4
	s_cbranch_execz .LBB558_170
; %bb.169:
	v_lshlrev_b32_e32 v12, 2, v0
	v_lshlrev_b32_e32 v11, 2, v11
	v_readfirstlane_b32 s6, v5
	v_readfirstlane_b32 s7, v6
	ds_load_b32 v12, v12 offset:4096
	s_waitcnt lgkmcnt(0)
	global_store_b32 v11, v12, s[6:7]
.LBB558_170:
	s_or_b32 exec_lo, exec_lo, s4
                                        ; implicit-def: $vgpr11
.LBB558_171:
	s_and_not1_saveexec_b32 s2, s2
	s_cbranch_execz .LBB558_173
; %bb.172:
	v_lshlrev_b32_e32 v12, 2, v0
	v_lshlrev_b32_e32 v11, 2, v11
	v_readfirstlane_b32 s4, v7
	v_readfirstlane_b32 s5, v8
	ds_load_b32 v12, v12 offset:4096
	s_waitcnt lgkmcnt(0)
	global_store_b32 v11, v12, s[4:5]
.LBB558_173:
	s_or_b32 exec_lo, exec_lo, s2
	v_or_b32_e32 v11, 0x500, v0
	s_mov_b32 s2, exec_lo
	s_delay_alu instid0(VALU_DEP_1)
	v_cmpx_le_u32_e64 v1, v11
	s_xor_b32 s2, exec_lo, s2
	s_cbranch_execz .LBB558_179
; %bb.174:
	s_mov_b32 s4, exec_lo
	v_cmpx_le_u32_e64 v10, v11
	s_xor_b32 s4, exec_lo, s4
	s_cbranch_execz .LBB558_176
; %bb.175:
	v_lshlrev_b32_e32 v12, 2, v0
	v_add_co_u32 v11, vcc_lo, v3, v11
	ds_load_b32 v13, v12 offset:5120
	v_add_co_ci_u32_e32 v12, vcc_lo, 0, v9, vcc_lo
	s_delay_alu instid0(VALU_DEP_1) | instskip(NEXT) | instid1(VALU_DEP_1)
	v_lshlrev_b64 v[11:12], 2, v[11:12]
	v_sub_co_u32 v11, vcc_lo, s1, v11
	s_delay_alu instid0(VALU_DEP_2)
	v_sub_co_ci_u32_e32 v12, vcc_lo, s0, v12, vcc_lo
	s_waitcnt lgkmcnt(0)
	global_store_b32 v[11:12], v13, off
                                        ; implicit-def: $vgpr11
.LBB558_176:
	s_and_not1_saveexec_b32 s4, s4
	s_cbranch_execz .LBB558_178
; %bb.177:
	v_lshlrev_b32_e32 v12, 2, v0
	v_lshlrev_b32_e32 v11, 2, v11
	v_readfirstlane_b32 s6, v5
	v_readfirstlane_b32 s7, v6
	ds_load_b32 v12, v12 offset:5120
	s_waitcnt lgkmcnt(0)
	global_store_b32 v11, v12, s[6:7]
.LBB558_178:
	s_or_b32 exec_lo, exec_lo, s4
                                        ; implicit-def: $vgpr11
.LBB558_179:
	s_and_not1_saveexec_b32 s2, s2
	s_cbranch_execz .LBB558_181
; %bb.180:
	v_lshlrev_b32_e32 v12, 2, v0
	v_lshlrev_b32_e32 v11, 2, v11
	v_readfirstlane_b32 s4, v7
	v_readfirstlane_b32 s5, v8
	ds_load_b32 v12, v12 offset:5120
	s_waitcnt lgkmcnt(0)
	global_store_b32 v11, v12, s[4:5]
.LBB558_181:
	s_or_b32 exec_lo, exec_lo, s2
	v_or_b32_e32 v11, 0x600, v0
	s_mov_b32 s2, exec_lo
	s_delay_alu instid0(VALU_DEP_1)
	v_cmpx_le_u32_e64 v1, v11
	s_xor_b32 s2, exec_lo, s2
	s_cbranch_execz .LBB558_187
; %bb.182:
	s_mov_b32 s4, exec_lo
	v_cmpx_le_u32_e64 v10, v11
	s_xor_b32 s4, exec_lo, s4
	s_cbranch_execz .LBB558_184
; %bb.183:
	v_lshlrev_b32_e32 v12, 2, v0
	v_add_co_u32 v11, vcc_lo, v3, v11
	ds_load_b32 v13, v12 offset:6144
	v_add_co_ci_u32_e32 v12, vcc_lo, 0, v9, vcc_lo
	s_delay_alu instid0(VALU_DEP_1) | instskip(NEXT) | instid1(VALU_DEP_1)
	v_lshlrev_b64 v[11:12], 2, v[11:12]
	v_sub_co_u32 v11, vcc_lo, s1, v11
	s_delay_alu instid0(VALU_DEP_2)
	v_sub_co_ci_u32_e32 v12, vcc_lo, s0, v12, vcc_lo
	s_waitcnt lgkmcnt(0)
	global_store_b32 v[11:12], v13, off
                                        ; implicit-def: $vgpr11
.LBB558_184:
	s_and_not1_saveexec_b32 s4, s4
	s_cbranch_execz .LBB558_186
; %bb.185:
	v_lshlrev_b32_e32 v12, 2, v0
	v_lshlrev_b32_e32 v11, 2, v11
	v_readfirstlane_b32 s6, v5
	v_readfirstlane_b32 s7, v6
	ds_load_b32 v12, v12 offset:6144
	s_waitcnt lgkmcnt(0)
	global_store_b32 v11, v12, s[6:7]
.LBB558_186:
	s_or_b32 exec_lo, exec_lo, s4
                                        ; implicit-def: $vgpr11
.LBB558_187:
	;; [unrolled: 51-line block ×8, first 2 shown]
	s_and_not1_saveexec_b32 s2, s2
	s_cbranch_execz .LBB558_237
; %bb.236:
	v_lshlrev_b32_e32 v12, 2, v0
	v_lshlrev_b32_e32 v11, 2, v11
	v_readfirstlane_b32 s4, v7
	v_readfirstlane_b32 s5, v8
	ds_load_b32 v12, v12 offset:12288
	s_waitcnt lgkmcnt(0)
	global_store_b32 v11, v12, s[4:5]
.LBB558_237:
	s_or_b32 exec_lo, exec_lo, s2
	s_branch .LBB558_131
.LBB558_238:
	s_mov_b32 s2, exec_lo
	v_cmpx_gt_u32_e64 s3, v0
	s_cbranch_execz .LBB558_247
; %bb.239:
	s_mov_b32 s4, exec_lo
	v_cmpx_le_u32_e64 v1, v0
	s_xor_b32 s4, exec_lo, s4
	s_cbranch_execz .LBB558_245
; %bb.240:
	s_mov_b32 s5, exec_lo
	v_cmpx_le_u32_e64 v10, v0
	s_xor_b32 s5, exec_lo, s5
	s_cbranch_execz .LBB558_242
; %bb.241:
	v_lshlrev_b32_e32 v11, 2, v0
	ds_load_b32 v13, v11
	v_add_co_u32 v11, vcc_lo, v3, v0
	v_add_co_ci_u32_e32 v12, vcc_lo, 0, v9, vcc_lo
	s_delay_alu instid0(VALU_DEP_1) | instskip(NEXT) | instid1(VALU_DEP_1)
	v_lshlrev_b64 v[11:12], 2, v[11:12]
	v_sub_co_u32 v11, vcc_lo, s26, v11
	s_delay_alu instid0(VALU_DEP_2)
	v_sub_co_ci_u32_e32 v12, vcc_lo, s27, v12, vcc_lo
	s_waitcnt lgkmcnt(0)
	global_store_b32 v[11:12], v13, off offset:-4
.LBB558_242:
	s_and_not1_saveexec_b32 s5, s5
	s_cbranch_execz .LBB558_244
; %bb.243:
	v_lshlrev_b32_e32 v11, 2, v0
	v_readfirstlane_b32 s6, v5
	v_readfirstlane_b32 s7, v6
	ds_load_b32 v12, v11
	s_waitcnt lgkmcnt(0)
	global_store_b32 v11, v12, s[6:7]
.LBB558_244:
	s_or_b32 exec_lo, exec_lo, s5
.LBB558_245:
	s_and_not1_saveexec_b32 s4, s4
	s_cbranch_execz .LBB558_247
; %bb.246:
	v_lshlrev_b32_e32 v11, 2, v0
	v_readfirstlane_b32 s4, v7
	v_readfirstlane_b32 s5, v8
	ds_load_b32 v12, v11
	s_waitcnt lgkmcnt(0)
	global_store_b32 v11, v12, s[4:5]
.LBB558_247:
	s_or_b32 exec_lo, exec_lo, s2
	v_or_b32_e32 v11, 0x100, v0
	s_mov_b32 s2, exec_lo
	s_delay_alu instid0(VALU_DEP_1)
	v_cmpx_gt_u32_e64 s3, v11
	s_cbranch_execz .LBB558_256
; %bb.248:
	s_mov_b32 s4, exec_lo
	v_cmpx_le_u32_e64 v1, v11
	s_xor_b32 s4, exec_lo, s4
	s_cbranch_execz .LBB558_254
; %bb.249:
	s_mov_b32 s5, exec_lo
	v_cmpx_le_u32_e64 v10, v11
	s_xor_b32 s5, exec_lo, s5
	s_cbranch_execz .LBB558_251
; %bb.250:
	v_lshlrev_b32_e32 v11, 2, v0
	ds_load_b32 v13, v11 offset:1024
	v_add_co_u32 v11, vcc_lo, v3, v0
	v_add_co_ci_u32_e32 v12, vcc_lo, 0, v9, vcc_lo
	s_delay_alu instid0(VALU_DEP_1) | instskip(NEXT) | instid1(VALU_DEP_1)
	v_lshlrev_b64 v[11:12], 2, v[11:12]
	v_sub_co_u32 v11, vcc_lo, s1, v11
	s_delay_alu instid0(VALU_DEP_2)
	v_sub_co_ci_u32_e32 v12, vcc_lo, s0, v12, vcc_lo
	s_waitcnt lgkmcnt(0)
	global_store_b32 v[11:12], v13, off offset:-1024
.LBB558_251:
	s_and_not1_saveexec_b32 s5, s5
	s_cbranch_execz .LBB558_253
; %bb.252:
	v_lshlrev_b32_e32 v11, 2, v0
	v_readfirstlane_b32 s6, v5
	v_readfirstlane_b32 s7, v6
	ds_load_b32 v12, v11 offset:1024
	s_waitcnt lgkmcnt(0)
	global_store_b32 v11, v12, s[6:7] offset:1024
.LBB558_253:
	s_or_b32 exec_lo, exec_lo, s5
.LBB558_254:
	s_and_not1_saveexec_b32 s4, s4
	s_cbranch_execz .LBB558_256
; %bb.255:
	v_lshlrev_b32_e32 v11, 2, v0
	v_readfirstlane_b32 s4, v7
	v_readfirstlane_b32 s5, v8
	ds_load_b32 v12, v11 offset:1024
	s_waitcnt lgkmcnt(0)
	global_store_b32 v11, v12, s[4:5] offset:1024
.LBB558_256:
	s_or_b32 exec_lo, exec_lo, s2
	v_or_b32_e32 v11, 0x200, v0
	s_mov_b32 s2, exec_lo
	s_delay_alu instid0(VALU_DEP_1)
	v_cmpx_gt_u32_e64 s3, v11
	s_cbranch_execz .LBB558_265
; %bb.257:
	s_mov_b32 s4, exec_lo
	v_cmpx_le_u32_e64 v1, v11
	s_xor_b32 s4, exec_lo, s4
	s_cbranch_execz .LBB558_263
; %bb.258:
	s_mov_b32 s5, exec_lo
	v_cmpx_le_u32_e64 v10, v11
	s_xor_b32 s5, exec_lo, s5
	s_cbranch_execz .LBB558_260
; %bb.259:
	v_lshlrev_b32_e32 v11, 2, v0
	ds_load_b32 v13, v11 offset:2048
	v_add_co_u32 v11, vcc_lo, v3, v0
	v_add_co_ci_u32_e32 v12, vcc_lo, 0, v9, vcc_lo
	s_delay_alu instid0(VALU_DEP_1) | instskip(NEXT) | instid1(VALU_DEP_1)
	v_lshlrev_b64 v[11:12], 2, v[11:12]
	v_sub_co_u32 v11, vcc_lo, s1, v11
	s_delay_alu instid0(VALU_DEP_2)
	v_sub_co_ci_u32_e32 v12, vcc_lo, s0, v12, vcc_lo
	s_waitcnt lgkmcnt(0)
	global_store_b32 v[11:12], v13, off offset:-2048
.LBB558_260:
	s_and_not1_saveexec_b32 s5, s5
	s_cbranch_execz .LBB558_262
; %bb.261:
	v_lshlrev_b32_e32 v11, 2, v0
	v_readfirstlane_b32 s6, v5
	v_readfirstlane_b32 s7, v6
	ds_load_b32 v12, v11 offset:2048
	s_waitcnt lgkmcnt(0)
	global_store_b32 v11, v12, s[6:7] offset:2048
.LBB558_262:
	s_or_b32 exec_lo, exec_lo, s5
.LBB558_263:
	s_and_not1_saveexec_b32 s4, s4
	s_cbranch_execz .LBB558_265
; %bb.264:
	v_lshlrev_b32_e32 v11, 2, v0
	v_readfirstlane_b32 s4, v7
	v_readfirstlane_b32 s5, v8
	ds_load_b32 v12, v11 offset:2048
	s_waitcnt lgkmcnt(0)
	global_store_b32 v11, v12, s[4:5] offset:2048
.LBB558_265:
	;; [unrolled: 51-line block ×3, first 2 shown]
	s_or_b32 exec_lo, exec_lo, s2
	v_or_b32_e32 v11, 0x400, v0
	s_mov_b32 s2, exec_lo
	s_delay_alu instid0(VALU_DEP_1)
	v_cmpx_gt_u32_e64 s3, v11
	s_cbranch_execz .LBB558_283
; %bb.275:
	s_mov_b32 s4, exec_lo
	v_cmpx_le_u32_e64 v1, v11
	s_xor_b32 s4, exec_lo, s4
	s_cbranch_execz .LBB558_281
; %bb.276:
	s_mov_b32 s5, exec_lo
	v_cmpx_le_u32_e64 v10, v11
	s_xor_b32 s5, exec_lo, s5
	s_cbranch_execz .LBB558_278
; %bb.277:
	v_lshlrev_b32_e32 v11, 2, v0
	ds_load_b32 v13, v11 offset:4096
	v_add_co_u32 v11, vcc_lo, v3, v0
	v_add_co_ci_u32_e32 v12, vcc_lo, 0, v9, vcc_lo
	s_delay_alu instid0(VALU_DEP_1) | instskip(NEXT) | instid1(VALU_DEP_1)
	v_lshlrev_b64 v[11:12], 2, v[11:12]
	v_sub_co_u32 v11, vcc_lo, s1, v11
	s_delay_alu instid0(VALU_DEP_2)
	v_sub_co_ci_u32_e32 v12, vcc_lo, s0, v12, vcc_lo
	s_waitcnt lgkmcnt(0)
	global_store_b32 v[11:12], v13, off offset:-4096
                                        ; implicit-def: $vgpr11
.LBB558_278:
	s_and_not1_saveexec_b32 s5, s5
	s_cbranch_execz .LBB558_280
; %bb.279:
	v_lshlrev_b32_e32 v12, 2, v0
	v_lshlrev_b32_e32 v11, 2, v11
	v_readfirstlane_b32 s6, v5
	v_readfirstlane_b32 s7, v6
	ds_load_b32 v12, v12 offset:4096
	s_waitcnt lgkmcnt(0)
	global_store_b32 v11, v12, s[6:7]
.LBB558_280:
	s_or_b32 exec_lo, exec_lo, s5
                                        ; implicit-def: $vgpr11
.LBB558_281:
	s_and_not1_saveexec_b32 s4, s4
	s_cbranch_execz .LBB558_283
; %bb.282:
	v_lshlrev_b32_e32 v12, 2, v0
	v_lshlrev_b32_e32 v11, 2, v11
	v_readfirstlane_b32 s4, v7
	v_readfirstlane_b32 s5, v8
	ds_load_b32 v12, v12 offset:4096
	s_waitcnt lgkmcnt(0)
	global_store_b32 v11, v12, s[4:5]
.LBB558_283:
	s_or_b32 exec_lo, exec_lo, s2
	v_or_b32_e32 v11, 0x500, v0
	s_mov_b32 s2, exec_lo
	s_delay_alu instid0(VALU_DEP_1)
	v_cmpx_gt_u32_e64 s3, v11
	s_cbranch_execz .LBB558_292
; %bb.284:
	s_mov_b32 s4, exec_lo
	v_cmpx_le_u32_e64 v1, v11
	s_xor_b32 s4, exec_lo, s4
	s_cbranch_execz .LBB558_290
; %bb.285:
	s_mov_b32 s5, exec_lo
	v_cmpx_le_u32_e64 v10, v11
	s_xor_b32 s5, exec_lo, s5
	s_cbranch_execz .LBB558_287
; %bb.286:
	v_lshlrev_b32_e32 v12, 2, v0
	v_add_co_u32 v11, vcc_lo, v3, v11
	ds_load_b32 v13, v12 offset:5120
	v_add_co_ci_u32_e32 v12, vcc_lo, 0, v9, vcc_lo
	s_delay_alu instid0(VALU_DEP_1) | instskip(NEXT) | instid1(VALU_DEP_1)
	v_lshlrev_b64 v[11:12], 2, v[11:12]
	v_sub_co_u32 v11, vcc_lo, s1, v11
	s_delay_alu instid0(VALU_DEP_2)
	v_sub_co_ci_u32_e32 v12, vcc_lo, s0, v12, vcc_lo
	s_waitcnt lgkmcnt(0)
	global_store_b32 v[11:12], v13, off
                                        ; implicit-def: $vgpr11
.LBB558_287:
	s_and_not1_saveexec_b32 s5, s5
	s_cbranch_execz .LBB558_289
; %bb.288:
	v_lshlrev_b32_e32 v12, 2, v0
	v_lshlrev_b32_e32 v11, 2, v11
	v_readfirstlane_b32 s6, v5
	v_readfirstlane_b32 s7, v6
	ds_load_b32 v12, v12 offset:5120
	s_waitcnt lgkmcnt(0)
	global_store_b32 v11, v12, s[6:7]
.LBB558_289:
	s_or_b32 exec_lo, exec_lo, s5
                                        ; implicit-def: $vgpr11
.LBB558_290:
	s_and_not1_saveexec_b32 s4, s4
	s_cbranch_execz .LBB558_292
; %bb.291:
	v_lshlrev_b32_e32 v12, 2, v0
	v_lshlrev_b32_e32 v11, 2, v11
	v_readfirstlane_b32 s4, v7
	v_readfirstlane_b32 s5, v8
	ds_load_b32 v12, v12 offset:5120
	s_waitcnt lgkmcnt(0)
	global_store_b32 v11, v12, s[4:5]
.LBB558_292:
	s_or_b32 exec_lo, exec_lo, s2
	v_or_b32_e32 v11, 0x600, v0
	s_mov_b32 s2, exec_lo
	s_delay_alu instid0(VALU_DEP_1)
	v_cmpx_gt_u32_e64 s3, v11
	s_cbranch_execz .LBB558_301
; %bb.293:
	s_mov_b32 s4, exec_lo
	v_cmpx_le_u32_e64 v1, v11
	s_xor_b32 s4, exec_lo, s4
	s_cbranch_execz .LBB558_299
; %bb.294:
	s_mov_b32 s5, exec_lo
	v_cmpx_le_u32_e64 v10, v11
	s_xor_b32 s5, exec_lo, s5
	s_cbranch_execz .LBB558_296
; %bb.295:
	v_lshlrev_b32_e32 v12, 2, v0
	v_add_co_u32 v11, vcc_lo, v3, v11
	ds_load_b32 v13, v12 offset:6144
	v_add_co_ci_u32_e32 v12, vcc_lo, 0, v9, vcc_lo
	s_delay_alu instid0(VALU_DEP_1) | instskip(NEXT) | instid1(VALU_DEP_1)
	v_lshlrev_b64 v[11:12], 2, v[11:12]
	v_sub_co_u32 v11, vcc_lo, s1, v11
	s_delay_alu instid0(VALU_DEP_2)
	v_sub_co_ci_u32_e32 v12, vcc_lo, s0, v12, vcc_lo
	s_waitcnt lgkmcnt(0)
	global_store_b32 v[11:12], v13, off
                                        ; implicit-def: $vgpr11
.LBB558_296:
	s_and_not1_saveexec_b32 s5, s5
	s_cbranch_execz .LBB558_298
; %bb.297:
	v_lshlrev_b32_e32 v12, 2, v0
	v_lshlrev_b32_e32 v11, 2, v11
	v_readfirstlane_b32 s6, v5
	v_readfirstlane_b32 s7, v6
	ds_load_b32 v12, v12 offset:6144
	s_waitcnt lgkmcnt(0)
	global_store_b32 v11, v12, s[6:7]
.LBB558_298:
	s_or_b32 exec_lo, exec_lo, s5
                                        ; implicit-def: $vgpr11
.LBB558_299:
	s_and_not1_saveexec_b32 s4, s4
	s_cbranch_execz .LBB558_301
; %bb.300:
	v_lshlrev_b32_e32 v12, 2, v0
	v_lshlrev_b32_e32 v11, 2, v11
	v_readfirstlane_b32 s4, v7
	v_readfirstlane_b32 s5, v8
	ds_load_b32 v12, v12 offset:6144
	s_waitcnt lgkmcnt(0)
	global_store_b32 v11, v12, s[4:5]
.LBB558_301:
	;; [unrolled: 55-line block ×7, first 2 shown]
	s_or_b32 exec_lo, exec_lo, s2
	v_or_b32_e32 v11, 0xc00, v0
	s_mov_b32 s2, exec_lo
	s_delay_alu instid0(VALU_DEP_1)
	v_cmpx_gt_u32_e64 s3, v11
	s_cbranch_execz .LBB558_355
; %bb.347:
	s_mov_b32 s3, exec_lo
	v_cmpx_le_u32_e64 v1, v11
	s_xor_b32 s3, exec_lo, s3
	s_cbranch_execz .LBB558_353
; %bb.348:
	s_mov_b32 s4, exec_lo
	v_cmpx_le_u32_e64 v10, v11
	s_xor_b32 s4, exec_lo, s4
	s_cbranch_execz .LBB558_350
; %bb.349:
	v_lshlrev_b32_e32 v5, 2, v0
	ds_load_b32 v7, v5 offset:12288
	v_add_co_u32 v5, vcc_lo, v3, v11
	v_add_co_ci_u32_e32 v6, vcc_lo, 0, v9, vcc_lo
                                        ; implicit-def: $vgpr11
	s_delay_alu instid0(VALU_DEP_1) | instskip(NEXT) | instid1(VALU_DEP_1)
	v_lshlrev_b64 v[5:6], 2, v[5:6]
	v_sub_co_u32 v5, vcc_lo, s1, v5
	s_delay_alu instid0(VALU_DEP_2)
	v_sub_co_ci_u32_e32 v6, vcc_lo, s0, v6, vcc_lo
	s_waitcnt lgkmcnt(0)
	global_store_b32 v[5:6], v7, off
                                        ; implicit-def: $vgpr5_vgpr6
.LBB558_350:
	s_and_not1_saveexec_b32 s0, s4
	s_cbranch_execz .LBB558_352
; %bb.351:
	v_lshlrev_b32_e32 v3, 2, v0
	v_lshlrev_b32_e32 v7, 2, v11
	v_readfirstlane_b32 s4, v5
	v_readfirstlane_b32 s5, v6
	ds_load_b32 v3, v3 offset:12288
	s_waitcnt lgkmcnt(0)
	global_store_b32 v7, v3, s[4:5]
.LBB558_352:
	s_or_b32 exec_lo, exec_lo, s0
                                        ; implicit-def: $vgpr11
                                        ; implicit-def: $vgpr7_vgpr8
.LBB558_353:
	s_and_not1_saveexec_b32 s0, s3
	s_cbranch_execz .LBB558_355
; %bb.354:
	v_lshlrev_b32_e32 v3, 2, v0
	v_lshlrev_b32_e32 v5, 2, v11
	v_readfirstlane_b32 s0, v7
	v_readfirstlane_b32 s1, v8
	ds_load_b32 v3, v3 offset:12288
	s_waitcnt lgkmcnt(0)
	global_store_b32 v5, v3, s[0:1]
.LBB558_355:
	s_or_b32 exec_lo, exec_lo, s2
	v_cmp_eq_u32_e32 vcc_lo, 0, v0
	s_and_b32 s0, vcc_lo, s14
	s_delay_alu instid0(SALU_CYCLE_1)
	s_and_saveexec_b32 s1, s0
	s_cbranch_execz .LBB558_132
.LBB558_356:
	v_add_co_u32 v2, s0, s30, v2
	s_delay_alu instid0(VALU_DEP_1) | instskip(SKIP_2) | instid1(VALU_DEP_4)
	v_add_co_ci_u32_e64 v3, null, s31, 0, s0
	v_add_co_u32 v0, vcc_lo, v18, v1
	v_add_co_ci_u32_e32 v1, vcc_lo, 0, v19, vcc_lo
	v_add_co_u32 v2, vcc_lo, v2, v4
	v_mov_b32_e32 v5, 0
	v_add_co_ci_u32_e32 v3, vcc_lo, 0, v3, vcc_lo
	global_store_b128 v5, v[0:3], s[24:25]
	s_nop 0
	s_sendmsg sendmsg(MSG_DEALLOC_VGPRS)
	s_endpgm
.LBB558_357:
	v_add_nc_u32_e32 v3, s7, v23
	s_add_i32 s10, s15, 32
	s_mov_b32 s11, 0
	v_dual_mov_b32 v5, 0 :: v_dual_add_nc_u32 v2, v22, v1
	s_lshl_b64 s[10:11], s[10:11], 4
	v_and_b32_e32 v20, 0xff0000, v3
	s_add_u32 s10, s4, s10
	s_addc_u32 s11, s5, s11
	v_and_b32_e32 v4, 0xff000000, v3
	s_delay_alu instid0(VALU_DEP_1) | instskip(SKIP_2) | instid1(VALU_DEP_1)
	v_or_b32_e32 v20, v20, v4
	v_dual_mov_b32 v4, 2 :: v_dual_and_b32 v21, 0xff00, v3
	v_and_b32_e32 v3, 0xff, v3
	v_or3_b32 v3, v20, v21, v3
	v_dual_mov_b32 v21, s11 :: v_dual_mov_b32 v20, s10
	;;#ASMSTART
	global_store_dwordx4 v[20:21], v[2:5] off	
s_waitcnt vmcnt(0)
	;;#ASMEND
	s_or_b32 exec_lo, exec_lo, s8
	s_and_saveexec_b32 s8, s2
	s_cbranch_execz .LBB558_116
.LBB558_358:
	v_mov_b32_e32 v2, s7
	v_add_nc_u32_e64 v3, 0x3400, 0
	ds_store_2addr_b32 v3, v1, v2 offset1:2
	ds_store_2addr_b32 v3, v22, v23 offset0:4 offset1:6
	s_or_b32 exec_lo, exec_lo, s8
	v_cmp_eq_u32_e32 vcc_lo, 0, v0
	s_and_b32 exec_lo, exec_lo, vcc_lo
	s_cbranch_execnz .LBB558_117
	s_branch .LBB558_118
	.section	.rodata,"a",@progbits
	.p2align	6, 0x0
	.amdhsa_kernel _ZN7rocprim17ROCPRIM_400000_NS6detail17trampoline_kernelINS0_13select_configILj256ELj13ELNS0_17block_load_methodE3ELS4_3ELS4_3ELNS0_20block_scan_algorithmE0ELj4294967295EEENS1_25partition_config_selectorILNS1_17partition_subalgoE4EjNS0_10empty_typeEbEEZZNS1_14partition_implILS8_4ELb0ES6_15HIP_vector_typeIjLj2EENS0_17counting_iteratorIjlEEPS9_SG_NS0_5tupleIJPjSI_NS0_16reverse_iteratorISI_EEEEENSH_IJSG_SG_SG_EEES9_SI_JZNS1_25segmented_radix_sort_implINS0_14default_configELb0EPKiPiPKlPlN2at6native12_GLOBAL__N_18offset_tEEE10hipError_tPvRmT1_PNSt15iterator_traitsIS12_E10value_typeET2_T3_PNS13_IS18_E10value_typeET4_jRbjT5_S1E_jjP12ihipStream_tbEUljE_ZNSN_ISO_Lb0ESQ_SR_ST_SU_SY_EESZ_S10_S11_S12_S16_S17_S18_S1B_S1C_jS1D_jS1E_S1E_jjS1G_bEUljE0_EEESZ_S10_S11_S18_S1C_S1E_T6_T7_T9_mT8_S1G_bDpT10_ENKUlT_T0_E_clISt17integral_constantIbLb1EES1T_IbLb0EEEEDaS1P_S1Q_EUlS1P_E_NS1_11comp_targetILNS1_3genE9ELNS1_11target_archE1100ELNS1_3gpuE3ELNS1_3repE0EEENS1_30default_config_static_selectorELNS0_4arch9wavefront6targetE0EEEvS12_
		.amdhsa_group_segment_fixed_size 13340
		.amdhsa_private_segment_fixed_size 0
		.amdhsa_kernarg_size 176
		.amdhsa_user_sgpr_count 15
		.amdhsa_user_sgpr_dispatch_ptr 0
		.amdhsa_user_sgpr_queue_ptr 0
		.amdhsa_user_sgpr_kernarg_segment_ptr 1
		.amdhsa_user_sgpr_dispatch_id 0
		.amdhsa_user_sgpr_private_segment_size 0
		.amdhsa_wavefront_size32 1
		.amdhsa_uses_dynamic_stack 0
		.amdhsa_enable_private_segment 0
		.amdhsa_system_sgpr_workgroup_id_x 1
		.amdhsa_system_sgpr_workgroup_id_y 0
		.amdhsa_system_sgpr_workgroup_id_z 0
		.amdhsa_system_sgpr_workgroup_info 0
		.amdhsa_system_vgpr_workitem_id 0
		.amdhsa_next_free_vgpr 98
		.amdhsa_next_free_sgpr 59
		.amdhsa_reserve_vcc 1
		.amdhsa_float_round_mode_32 0
		.amdhsa_float_round_mode_16_64 0
		.amdhsa_float_denorm_mode_32 3
		.amdhsa_float_denorm_mode_16_64 3
		.amdhsa_dx10_clamp 1
		.amdhsa_ieee_mode 1
		.amdhsa_fp16_overflow 0
		.amdhsa_workgroup_processor_mode 1
		.amdhsa_memory_ordered 1
		.amdhsa_forward_progress 0
		.amdhsa_shared_vgpr_count 0
		.amdhsa_exception_fp_ieee_invalid_op 0
		.amdhsa_exception_fp_denorm_src 0
		.amdhsa_exception_fp_ieee_div_zero 0
		.amdhsa_exception_fp_ieee_overflow 0
		.amdhsa_exception_fp_ieee_underflow 0
		.amdhsa_exception_fp_ieee_inexact 0
		.amdhsa_exception_int_div_zero 0
	.end_amdhsa_kernel
	.section	.text._ZN7rocprim17ROCPRIM_400000_NS6detail17trampoline_kernelINS0_13select_configILj256ELj13ELNS0_17block_load_methodE3ELS4_3ELS4_3ELNS0_20block_scan_algorithmE0ELj4294967295EEENS1_25partition_config_selectorILNS1_17partition_subalgoE4EjNS0_10empty_typeEbEEZZNS1_14partition_implILS8_4ELb0ES6_15HIP_vector_typeIjLj2EENS0_17counting_iteratorIjlEEPS9_SG_NS0_5tupleIJPjSI_NS0_16reverse_iteratorISI_EEEEENSH_IJSG_SG_SG_EEES9_SI_JZNS1_25segmented_radix_sort_implINS0_14default_configELb0EPKiPiPKlPlN2at6native12_GLOBAL__N_18offset_tEEE10hipError_tPvRmT1_PNSt15iterator_traitsIS12_E10value_typeET2_T3_PNS13_IS18_E10value_typeET4_jRbjT5_S1E_jjP12ihipStream_tbEUljE_ZNSN_ISO_Lb0ESQ_SR_ST_SU_SY_EESZ_S10_S11_S12_S16_S17_S18_S1B_S1C_jS1D_jS1E_S1E_jjS1G_bEUljE0_EEESZ_S10_S11_S18_S1C_S1E_T6_T7_T9_mT8_S1G_bDpT10_ENKUlT_T0_E_clISt17integral_constantIbLb1EES1T_IbLb0EEEEDaS1P_S1Q_EUlS1P_E_NS1_11comp_targetILNS1_3genE9ELNS1_11target_archE1100ELNS1_3gpuE3ELNS1_3repE0EEENS1_30default_config_static_selectorELNS0_4arch9wavefront6targetE0EEEvS12_,"axG",@progbits,_ZN7rocprim17ROCPRIM_400000_NS6detail17trampoline_kernelINS0_13select_configILj256ELj13ELNS0_17block_load_methodE3ELS4_3ELS4_3ELNS0_20block_scan_algorithmE0ELj4294967295EEENS1_25partition_config_selectorILNS1_17partition_subalgoE4EjNS0_10empty_typeEbEEZZNS1_14partition_implILS8_4ELb0ES6_15HIP_vector_typeIjLj2EENS0_17counting_iteratorIjlEEPS9_SG_NS0_5tupleIJPjSI_NS0_16reverse_iteratorISI_EEEEENSH_IJSG_SG_SG_EEES9_SI_JZNS1_25segmented_radix_sort_implINS0_14default_configELb0EPKiPiPKlPlN2at6native12_GLOBAL__N_18offset_tEEE10hipError_tPvRmT1_PNSt15iterator_traitsIS12_E10value_typeET2_T3_PNS13_IS18_E10value_typeET4_jRbjT5_S1E_jjP12ihipStream_tbEUljE_ZNSN_ISO_Lb0ESQ_SR_ST_SU_SY_EESZ_S10_S11_S12_S16_S17_S18_S1B_S1C_jS1D_jS1E_S1E_jjS1G_bEUljE0_EEESZ_S10_S11_S18_S1C_S1E_T6_T7_T9_mT8_S1G_bDpT10_ENKUlT_T0_E_clISt17integral_constantIbLb1EES1T_IbLb0EEEEDaS1P_S1Q_EUlS1P_E_NS1_11comp_targetILNS1_3genE9ELNS1_11target_archE1100ELNS1_3gpuE3ELNS1_3repE0EEENS1_30default_config_static_selectorELNS0_4arch9wavefront6targetE0EEEvS12_,comdat
.Lfunc_end558:
	.size	_ZN7rocprim17ROCPRIM_400000_NS6detail17trampoline_kernelINS0_13select_configILj256ELj13ELNS0_17block_load_methodE3ELS4_3ELS4_3ELNS0_20block_scan_algorithmE0ELj4294967295EEENS1_25partition_config_selectorILNS1_17partition_subalgoE4EjNS0_10empty_typeEbEEZZNS1_14partition_implILS8_4ELb0ES6_15HIP_vector_typeIjLj2EENS0_17counting_iteratorIjlEEPS9_SG_NS0_5tupleIJPjSI_NS0_16reverse_iteratorISI_EEEEENSH_IJSG_SG_SG_EEES9_SI_JZNS1_25segmented_radix_sort_implINS0_14default_configELb0EPKiPiPKlPlN2at6native12_GLOBAL__N_18offset_tEEE10hipError_tPvRmT1_PNSt15iterator_traitsIS12_E10value_typeET2_T3_PNS13_IS18_E10value_typeET4_jRbjT5_S1E_jjP12ihipStream_tbEUljE_ZNSN_ISO_Lb0ESQ_SR_ST_SU_SY_EESZ_S10_S11_S12_S16_S17_S18_S1B_S1C_jS1D_jS1E_S1E_jjS1G_bEUljE0_EEESZ_S10_S11_S18_S1C_S1E_T6_T7_T9_mT8_S1G_bDpT10_ENKUlT_T0_E_clISt17integral_constantIbLb1EES1T_IbLb0EEEEDaS1P_S1Q_EUlS1P_E_NS1_11comp_targetILNS1_3genE9ELNS1_11target_archE1100ELNS1_3gpuE3ELNS1_3repE0EEENS1_30default_config_static_selectorELNS0_4arch9wavefront6targetE0EEEvS12_, .Lfunc_end558-_ZN7rocprim17ROCPRIM_400000_NS6detail17trampoline_kernelINS0_13select_configILj256ELj13ELNS0_17block_load_methodE3ELS4_3ELS4_3ELNS0_20block_scan_algorithmE0ELj4294967295EEENS1_25partition_config_selectorILNS1_17partition_subalgoE4EjNS0_10empty_typeEbEEZZNS1_14partition_implILS8_4ELb0ES6_15HIP_vector_typeIjLj2EENS0_17counting_iteratorIjlEEPS9_SG_NS0_5tupleIJPjSI_NS0_16reverse_iteratorISI_EEEEENSH_IJSG_SG_SG_EEES9_SI_JZNS1_25segmented_radix_sort_implINS0_14default_configELb0EPKiPiPKlPlN2at6native12_GLOBAL__N_18offset_tEEE10hipError_tPvRmT1_PNSt15iterator_traitsIS12_E10value_typeET2_T3_PNS13_IS18_E10value_typeET4_jRbjT5_S1E_jjP12ihipStream_tbEUljE_ZNSN_ISO_Lb0ESQ_SR_ST_SU_SY_EESZ_S10_S11_S12_S16_S17_S18_S1B_S1C_jS1D_jS1E_S1E_jjS1G_bEUljE0_EEESZ_S10_S11_S18_S1C_S1E_T6_T7_T9_mT8_S1G_bDpT10_ENKUlT_T0_E_clISt17integral_constantIbLb1EES1T_IbLb0EEEEDaS1P_S1Q_EUlS1P_E_NS1_11comp_targetILNS1_3genE9ELNS1_11target_archE1100ELNS1_3gpuE3ELNS1_3repE0EEENS1_30default_config_static_selectorELNS0_4arch9wavefront6targetE0EEEvS12_
                                        ; -- End function
	.section	.AMDGPU.csdata,"",@progbits
; Kernel info:
; codeLenInByte = 15084
; NumSgprs: 61
; NumVgprs: 98
; ScratchSize: 0
; MemoryBound: 0
; FloatMode: 240
; IeeeMode: 1
; LDSByteSize: 13340 bytes/workgroup (compile time only)
; SGPRBlocks: 7
; VGPRBlocks: 12
; NumSGPRsForWavesPerEU: 61
; NumVGPRsForWavesPerEU: 98
; Occupancy: 12
; WaveLimiterHint : 1
; COMPUTE_PGM_RSRC2:SCRATCH_EN: 0
; COMPUTE_PGM_RSRC2:USER_SGPR: 15
; COMPUTE_PGM_RSRC2:TRAP_HANDLER: 0
; COMPUTE_PGM_RSRC2:TGID_X_EN: 1
; COMPUTE_PGM_RSRC2:TGID_Y_EN: 0
; COMPUTE_PGM_RSRC2:TGID_Z_EN: 0
; COMPUTE_PGM_RSRC2:TIDIG_COMP_CNT: 0
	.section	.text._ZN7rocprim17ROCPRIM_400000_NS6detail17trampoline_kernelINS0_13select_configILj256ELj13ELNS0_17block_load_methodE3ELS4_3ELS4_3ELNS0_20block_scan_algorithmE0ELj4294967295EEENS1_25partition_config_selectorILNS1_17partition_subalgoE4EjNS0_10empty_typeEbEEZZNS1_14partition_implILS8_4ELb0ES6_15HIP_vector_typeIjLj2EENS0_17counting_iteratorIjlEEPS9_SG_NS0_5tupleIJPjSI_NS0_16reverse_iteratorISI_EEEEENSH_IJSG_SG_SG_EEES9_SI_JZNS1_25segmented_radix_sort_implINS0_14default_configELb0EPKiPiPKlPlN2at6native12_GLOBAL__N_18offset_tEEE10hipError_tPvRmT1_PNSt15iterator_traitsIS12_E10value_typeET2_T3_PNS13_IS18_E10value_typeET4_jRbjT5_S1E_jjP12ihipStream_tbEUljE_ZNSN_ISO_Lb0ESQ_SR_ST_SU_SY_EESZ_S10_S11_S12_S16_S17_S18_S1B_S1C_jS1D_jS1E_S1E_jjS1G_bEUljE0_EEESZ_S10_S11_S18_S1C_S1E_T6_T7_T9_mT8_S1G_bDpT10_ENKUlT_T0_E_clISt17integral_constantIbLb1EES1T_IbLb0EEEEDaS1P_S1Q_EUlS1P_E_NS1_11comp_targetILNS1_3genE8ELNS1_11target_archE1030ELNS1_3gpuE2ELNS1_3repE0EEENS1_30default_config_static_selectorELNS0_4arch9wavefront6targetE0EEEvS12_,"axG",@progbits,_ZN7rocprim17ROCPRIM_400000_NS6detail17trampoline_kernelINS0_13select_configILj256ELj13ELNS0_17block_load_methodE3ELS4_3ELS4_3ELNS0_20block_scan_algorithmE0ELj4294967295EEENS1_25partition_config_selectorILNS1_17partition_subalgoE4EjNS0_10empty_typeEbEEZZNS1_14partition_implILS8_4ELb0ES6_15HIP_vector_typeIjLj2EENS0_17counting_iteratorIjlEEPS9_SG_NS0_5tupleIJPjSI_NS0_16reverse_iteratorISI_EEEEENSH_IJSG_SG_SG_EEES9_SI_JZNS1_25segmented_radix_sort_implINS0_14default_configELb0EPKiPiPKlPlN2at6native12_GLOBAL__N_18offset_tEEE10hipError_tPvRmT1_PNSt15iterator_traitsIS12_E10value_typeET2_T3_PNS13_IS18_E10value_typeET4_jRbjT5_S1E_jjP12ihipStream_tbEUljE_ZNSN_ISO_Lb0ESQ_SR_ST_SU_SY_EESZ_S10_S11_S12_S16_S17_S18_S1B_S1C_jS1D_jS1E_S1E_jjS1G_bEUljE0_EEESZ_S10_S11_S18_S1C_S1E_T6_T7_T9_mT8_S1G_bDpT10_ENKUlT_T0_E_clISt17integral_constantIbLb1EES1T_IbLb0EEEEDaS1P_S1Q_EUlS1P_E_NS1_11comp_targetILNS1_3genE8ELNS1_11target_archE1030ELNS1_3gpuE2ELNS1_3repE0EEENS1_30default_config_static_selectorELNS0_4arch9wavefront6targetE0EEEvS12_,comdat
	.globl	_ZN7rocprim17ROCPRIM_400000_NS6detail17trampoline_kernelINS0_13select_configILj256ELj13ELNS0_17block_load_methodE3ELS4_3ELS4_3ELNS0_20block_scan_algorithmE0ELj4294967295EEENS1_25partition_config_selectorILNS1_17partition_subalgoE4EjNS0_10empty_typeEbEEZZNS1_14partition_implILS8_4ELb0ES6_15HIP_vector_typeIjLj2EENS0_17counting_iteratorIjlEEPS9_SG_NS0_5tupleIJPjSI_NS0_16reverse_iteratorISI_EEEEENSH_IJSG_SG_SG_EEES9_SI_JZNS1_25segmented_radix_sort_implINS0_14default_configELb0EPKiPiPKlPlN2at6native12_GLOBAL__N_18offset_tEEE10hipError_tPvRmT1_PNSt15iterator_traitsIS12_E10value_typeET2_T3_PNS13_IS18_E10value_typeET4_jRbjT5_S1E_jjP12ihipStream_tbEUljE_ZNSN_ISO_Lb0ESQ_SR_ST_SU_SY_EESZ_S10_S11_S12_S16_S17_S18_S1B_S1C_jS1D_jS1E_S1E_jjS1G_bEUljE0_EEESZ_S10_S11_S18_S1C_S1E_T6_T7_T9_mT8_S1G_bDpT10_ENKUlT_T0_E_clISt17integral_constantIbLb1EES1T_IbLb0EEEEDaS1P_S1Q_EUlS1P_E_NS1_11comp_targetILNS1_3genE8ELNS1_11target_archE1030ELNS1_3gpuE2ELNS1_3repE0EEENS1_30default_config_static_selectorELNS0_4arch9wavefront6targetE0EEEvS12_ ; -- Begin function _ZN7rocprim17ROCPRIM_400000_NS6detail17trampoline_kernelINS0_13select_configILj256ELj13ELNS0_17block_load_methodE3ELS4_3ELS4_3ELNS0_20block_scan_algorithmE0ELj4294967295EEENS1_25partition_config_selectorILNS1_17partition_subalgoE4EjNS0_10empty_typeEbEEZZNS1_14partition_implILS8_4ELb0ES6_15HIP_vector_typeIjLj2EENS0_17counting_iteratorIjlEEPS9_SG_NS0_5tupleIJPjSI_NS0_16reverse_iteratorISI_EEEEENSH_IJSG_SG_SG_EEES9_SI_JZNS1_25segmented_radix_sort_implINS0_14default_configELb0EPKiPiPKlPlN2at6native12_GLOBAL__N_18offset_tEEE10hipError_tPvRmT1_PNSt15iterator_traitsIS12_E10value_typeET2_T3_PNS13_IS18_E10value_typeET4_jRbjT5_S1E_jjP12ihipStream_tbEUljE_ZNSN_ISO_Lb0ESQ_SR_ST_SU_SY_EESZ_S10_S11_S12_S16_S17_S18_S1B_S1C_jS1D_jS1E_S1E_jjS1G_bEUljE0_EEESZ_S10_S11_S18_S1C_S1E_T6_T7_T9_mT8_S1G_bDpT10_ENKUlT_T0_E_clISt17integral_constantIbLb1EES1T_IbLb0EEEEDaS1P_S1Q_EUlS1P_E_NS1_11comp_targetILNS1_3genE8ELNS1_11target_archE1030ELNS1_3gpuE2ELNS1_3repE0EEENS1_30default_config_static_selectorELNS0_4arch9wavefront6targetE0EEEvS12_
	.p2align	8
	.type	_ZN7rocprim17ROCPRIM_400000_NS6detail17trampoline_kernelINS0_13select_configILj256ELj13ELNS0_17block_load_methodE3ELS4_3ELS4_3ELNS0_20block_scan_algorithmE0ELj4294967295EEENS1_25partition_config_selectorILNS1_17partition_subalgoE4EjNS0_10empty_typeEbEEZZNS1_14partition_implILS8_4ELb0ES6_15HIP_vector_typeIjLj2EENS0_17counting_iteratorIjlEEPS9_SG_NS0_5tupleIJPjSI_NS0_16reverse_iteratorISI_EEEEENSH_IJSG_SG_SG_EEES9_SI_JZNS1_25segmented_radix_sort_implINS0_14default_configELb0EPKiPiPKlPlN2at6native12_GLOBAL__N_18offset_tEEE10hipError_tPvRmT1_PNSt15iterator_traitsIS12_E10value_typeET2_T3_PNS13_IS18_E10value_typeET4_jRbjT5_S1E_jjP12ihipStream_tbEUljE_ZNSN_ISO_Lb0ESQ_SR_ST_SU_SY_EESZ_S10_S11_S12_S16_S17_S18_S1B_S1C_jS1D_jS1E_S1E_jjS1G_bEUljE0_EEESZ_S10_S11_S18_S1C_S1E_T6_T7_T9_mT8_S1G_bDpT10_ENKUlT_T0_E_clISt17integral_constantIbLb1EES1T_IbLb0EEEEDaS1P_S1Q_EUlS1P_E_NS1_11comp_targetILNS1_3genE8ELNS1_11target_archE1030ELNS1_3gpuE2ELNS1_3repE0EEENS1_30default_config_static_selectorELNS0_4arch9wavefront6targetE0EEEvS12_,@function
_ZN7rocprim17ROCPRIM_400000_NS6detail17trampoline_kernelINS0_13select_configILj256ELj13ELNS0_17block_load_methodE3ELS4_3ELS4_3ELNS0_20block_scan_algorithmE0ELj4294967295EEENS1_25partition_config_selectorILNS1_17partition_subalgoE4EjNS0_10empty_typeEbEEZZNS1_14partition_implILS8_4ELb0ES6_15HIP_vector_typeIjLj2EENS0_17counting_iteratorIjlEEPS9_SG_NS0_5tupleIJPjSI_NS0_16reverse_iteratorISI_EEEEENSH_IJSG_SG_SG_EEES9_SI_JZNS1_25segmented_radix_sort_implINS0_14default_configELb0EPKiPiPKlPlN2at6native12_GLOBAL__N_18offset_tEEE10hipError_tPvRmT1_PNSt15iterator_traitsIS12_E10value_typeET2_T3_PNS13_IS18_E10value_typeET4_jRbjT5_S1E_jjP12ihipStream_tbEUljE_ZNSN_ISO_Lb0ESQ_SR_ST_SU_SY_EESZ_S10_S11_S12_S16_S17_S18_S1B_S1C_jS1D_jS1E_S1E_jjS1G_bEUljE0_EEESZ_S10_S11_S18_S1C_S1E_T6_T7_T9_mT8_S1G_bDpT10_ENKUlT_T0_E_clISt17integral_constantIbLb1EES1T_IbLb0EEEEDaS1P_S1Q_EUlS1P_E_NS1_11comp_targetILNS1_3genE8ELNS1_11target_archE1030ELNS1_3gpuE2ELNS1_3repE0EEENS1_30default_config_static_selectorELNS0_4arch9wavefront6targetE0EEEvS12_: ; @_ZN7rocprim17ROCPRIM_400000_NS6detail17trampoline_kernelINS0_13select_configILj256ELj13ELNS0_17block_load_methodE3ELS4_3ELS4_3ELNS0_20block_scan_algorithmE0ELj4294967295EEENS1_25partition_config_selectorILNS1_17partition_subalgoE4EjNS0_10empty_typeEbEEZZNS1_14partition_implILS8_4ELb0ES6_15HIP_vector_typeIjLj2EENS0_17counting_iteratorIjlEEPS9_SG_NS0_5tupleIJPjSI_NS0_16reverse_iteratorISI_EEEEENSH_IJSG_SG_SG_EEES9_SI_JZNS1_25segmented_radix_sort_implINS0_14default_configELb0EPKiPiPKlPlN2at6native12_GLOBAL__N_18offset_tEEE10hipError_tPvRmT1_PNSt15iterator_traitsIS12_E10value_typeET2_T3_PNS13_IS18_E10value_typeET4_jRbjT5_S1E_jjP12ihipStream_tbEUljE_ZNSN_ISO_Lb0ESQ_SR_ST_SU_SY_EESZ_S10_S11_S12_S16_S17_S18_S1B_S1C_jS1D_jS1E_S1E_jjS1G_bEUljE0_EEESZ_S10_S11_S18_S1C_S1E_T6_T7_T9_mT8_S1G_bDpT10_ENKUlT_T0_E_clISt17integral_constantIbLb1EES1T_IbLb0EEEEDaS1P_S1Q_EUlS1P_E_NS1_11comp_targetILNS1_3genE8ELNS1_11target_archE1030ELNS1_3gpuE2ELNS1_3repE0EEENS1_30default_config_static_selectorELNS0_4arch9wavefront6targetE0EEEvS12_
; %bb.0:
	.section	.rodata,"a",@progbits
	.p2align	6, 0x0
	.amdhsa_kernel _ZN7rocprim17ROCPRIM_400000_NS6detail17trampoline_kernelINS0_13select_configILj256ELj13ELNS0_17block_load_methodE3ELS4_3ELS4_3ELNS0_20block_scan_algorithmE0ELj4294967295EEENS1_25partition_config_selectorILNS1_17partition_subalgoE4EjNS0_10empty_typeEbEEZZNS1_14partition_implILS8_4ELb0ES6_15HIP_vector_typeIjLj2EENS0_17counting_iteratorIjlEEPS9_SG_NS0_5tupleIJPjSI_NS0_16reverse_iteratorISI_EEEEENSH_IJSG_SG_SG_EEES9_SI_JZNS1_25segmented_radix_sort_implINS0_14default_configELb0EPKiPiPKlPlN2at6native12_GLOBAL__N_18offset_tEEE10hipError_tPvRmT1_PNSt15iterator_traitsIS12_E10value_typeET2_T3_PNS13_IS18_E10value_typeET4_jRbjT5_S1E_jjP12ihipStream_tbEUljE_ZNSN_ISO_Lb0ESQ_SR_ST_SU_SY_EESZ_S10_S11_S12_S16_S17_S18_S1B_S1C_jS1D_jS1E_S1E_jjS1G_bEUljE0_EEESZ_S10_S11_S18_S1C_S1E_T6_T7_T9_mT8_S1G_bDpT10_ENKUlT_T0_E_clISt17integral_constantIbLb1EES1T_IbLb0EEEEDaS1P_S1Q_EUlS1P_E_NS1_11comp_targetILNS1_3genE8ELNS1_11target_archE1030ELNS1_3gpuE2ELNS1_3repE0EEENS1_30default_config_static_selectorELNS0_4arch9wavefront6targetE0EEEvS12_
		.amdhsa_group_segment_fixed_size 0
		.amdhsa_private_segment_fixed_size 0
		.amdhsa_kernarg_size 176
		.amdhsa_user_sgpr_count 15
		.amdhsa_user_sgpr_dispatch_ptr 0
		.amdhsa_user_sgpr_queue_ptr 0
		.amdhsa_user_sgpr_kernarg_segment_ptr 1
		.amdhsa_user_sgpr_dispatch_id 0
		.amdhsa_user_sgpr_private_segment_size 0
		.amdhsa_wavefront_size32 1
		.amdhsa_uses_dynamic_stack 0
		.amdhsa_enable_private_segment 0
		.amdhsa_system_sgpr_workgroup_id_x 1
		.amdhsa_system_sgpr_workgroup_id_y 0
		.amdhsa_system_sgpr_workgroup_id_z 0
		.amdhsa_system_sgpr_workgroup_info 0
		.amdhsa_system_vgpr_workitem_id 0
		.amdhsa_next_free_vgpr 1
		.amdhsa_next_free_sgpr 1
		.amdhsa_reserve_vcc 0
		.amdhsa_float_round_mode_32 0
		.amdhsa_float_round_mode_16_64 0
		.amdhsa_float_denorm_mode_32 3
		.amdhsa_float_denorm_mode_16_64 3
		.amdhsa_dx10_clamp 1
		.amdhsa_ieee_mode 1
		.amdhsa_fp16_overflow 0
		.amdhsa_workgroup_processor_mode 1
		.amdhsa_memory_ordered 1
		.amdhsa_forward_progress 0
		.amdhsa_shared_vgpr_count 0
		.amdhsa_exception_fp_ieee_invalid_op 0
		.amdhsa_exception_fp_denorm_src 0
		.amdhsa_exception_fp_ieee_div_zero 0
		.amdhsa_exception_fp_ieee_overflow 0
		.amdhsa_exception_fp_ieee_underflow 0
		.amdhsa_exception_fp_ieee_inexact 0
		.amdhsa_exception_int_div_zero 0
	.end_amdhsa_kernel
	.section	.text._ZN7rocprim17ROCPRIM_400000_NS6detail17trampoline_kernelINS0_13select_configILj256ELj13ELNS0_17block_load_methodE3ELS4_3ELS4_3ELNS0_20block_scan_algorithmE0ELj4294967295EEENS1_25partition_config_selectorILNS1_17partition_subalgoE4EjNS0_10empty_typeEbEEZZNS1_14partition_implILS8_4ELb0ES6_15HIP_vector_typeIjLj2EENS0_17counting_iteratorIjlEEPS9_SG_NS0_5tupleIJPjSI_NS0_16reverse_iteratorISI_EEEEENSH_IJSG_SG_SG_EEES9_SI_JZNS1_25segmented_radix_sort_implINS0_14default_configELb0EPKiPiPKlPlN2at6native12_GLOBAL__N_18offset_tEEE10hipError_tPvRmT1_PNSt15iterator_traitsIS12_E10value_typeET2_T3_PNS13_IS18_E10value_typeET4_jRbjT5_S1E_jjP12ihipStream_tbEUljE_ZNSN_ISO_Lb0ESQ_SR_ST_SU_SY_EESZ_S10_S11_S12_S16_S17_S18_S1B_S1C_jS1D_jS1E_S1E_jjS1G_bEUljE0_EEESZ_S10_S11_S18_S1C_S1E_T6_T7_T9_mT8_S1G_bDpT10_ENKUlT_T0_E_clISt17integral_constantIbLb1EES1T_IbLb0EEEEDaS1P_S1Q_EUlS1P_E_NS1_11comp_targetILNS1_3genE8ELNS1_11target_archE1030ELNS1_3gpuE2ELNS1_3repE0EEENS1_30default_config_static_selectorELNS0_4arch9wavefront6targetE0EEEvS12_,"axG",@progbits,_ZN7rocprim17ROCPRIM_400000_NS6detail17trampoline_kernelINS0_13select_configILj256ELj13ELNS0_17block_load_methodE3ELS4_3ELS4_3ELNS0_20block_scan_algorithmE0ELj4294967295EEENS1_25partition_config_selectorILNS1_17partition_subalgoE4EjNS0_10empty_typeEbEEZZNS1_14partition_implILS8_4ELb0ES6_15HIP_vector_typeIjLj2EENS0_17counting_iteratorIjlEEPS9_SG_NS0_5tupleIJPjSI_NS0_16reverse_iteratorISI_EEEEENSH_IJSG_SG_SG_EEES9_SI_JZNS1_25segmented_radix_sort_implINS0_14default_configELb0EPKiPiPKlPlN2at6native12_GLOBAL__N_18offset_tEEE10hipError_tPvRmT1_PNSt15iterator_traitsIS12_E10value_typeET2_T3_PNS13_IS18_E10value_typeET4_jRbjT5_S1E_jjP12ihipStream_tbEUljE_ZNSN_ISO_Lb0ESQ_SR_ST_SU_SY_EESZ_S10_S11_S12_S16_S17_S18_S1B_S1C_jS1D_jS1E_S1E_jjS1G_bEUljE0_EEESZ_S10_S11_S18_S1C_S1E_T6_T7_T9_mT8_S1G_bDpT10_ENKUlT_T0_E_clISt17integral_constantIbLb1EES1T_IbLb0EEEEDaS1P_S1Q_EUlS1P_E_NS1_11comp_targetILNS1_3genE8ELNS1_11target_archE1030ELNS1_3gpuE2ELNS1_3repE0EEENS1_30default_config_static_selectorELNS0_4arch9wavefront6targetE0EEEvS12_,comdat
.Lfunc_end559:
	.size	_ZN7rocprim17ROCPRIM_400000_NS6detail17trampoline_kernelINS0_13select_configILj256ELj13ELNS0_17block_load_methodE3ELS4_3ELS4_3ELNS0_20block_scan_algorithmE0ELj4294967295EEENS1_25partition_config_selectorILNS1_17partition_subalgoE4EjNS0_10empty_typeEbEEZZNS1_14partition_implILS8_4ELb0ES6_15HIP_vector_typeIjLj2EENS0_17counting_iteratorIjlEEPS9_SG_NS0_5tupleIJPjSI_NS0_16reverse_iteratorISI_EEEEENSH_IJSG_SG_SG_EEES9_SI_JZNS1_25segmented_radix_sort_implINS0_14default_configELb0EPKiPiPKlPlN2at6native12_GLOBAL__N_18offset_tEEE10hipError_tPvRmT1_PNSt15iterator_traitsIS12_E10value_typeET2_T3_PNS13_IS18_E10value_typeET4_jRbjT5_S1E_jjP12ihipStream_tbEUljE_ZNSN_ISO_Lb0ESQ_SR_ST_SU_SY_EESZ_S10_S11_S12_S16_S17_S18_S1B_S1C_jS1D_jS1E_S1E_jjS1G_bEUljE0_EEESZ_S10_S11_S18_S1C_S1E_T6_T7_T9_mT8_S1G_bDpT10_ENKUlT_T0_E_clISt17integral_constantIbLb1EES1T_IbLb0EEEEDaS1P_S1Q_EUlS1P_E_NS1_11comp_targetILNS1_3genE8ELNS1_11target_archE1030ELNS1_3gpuE2ELNS1_3repE0EEENS1_30default_config_static_selectorELNS0_4arch9wavefront6targetE0EEEvS12_, .Lfunc_end559-_ZN7rocprim17ROCPRIM_400000_NS6detail17trampoline_kernelINS0_13select_configILj256ELj13ELNS0_17block_load_methodE3ELS4_3ELS4_3ELNS0_20block_scan_algorithmE0ELj4294967295EEENS1_25partition_config_selectorILNS1_17partition_subalgoE4EjNS0_10empty_typeEbEEZZNS1_14partition_implILS8_4ELb0ES6_15HIP_vector_typeIjLj2EENS0_17counting_iteratorIjlEEPS9_SG_NS0_5tupleIJPjSI_NS0_16reverse_iteratorISI_EEEEENSH_IJSG_SG_SG_EEES9_SI_JZNS1_25segmented_radix_sort_implINS0_14default_configELb0EPKiPiPKlPlN2at6native12_GLOBAL__N_18offset_tEEE10hipError_tPvRmT1_PNSt15iterator_traitsIS12_E10value_typeET2_T3_PNS13_IS18_E10value_typeET4_jRbjT5_S1E_jjP12ihipStream_tbEUljE_ZNSN_ISO_Lb0ESQ_SR_ST_SU_SY_EESZ_S10_S11_S12_S16_S17_S18_S1B_S1C_jS1D_jS1E_S1E_jjS1G_bEUljE0_EEESZ_S10_S11_S18_S1C_S1E_T6_T7_T9_mT8_S1G_bDpT10_ENKUlT_T0_E_clISt17integral_constantIbLb1EES1T_IbLb0EEEEDaS1P_S1Q_EUlS1P_E_NS1_11comp_targetILNS1_3genE8ELNS1_11target_archE1030ELNS1_3gpuE2ELNS1_3repE0EEENS1_30default_config_static_selectorELNS0_4arch9wavefront6targetE0EEEvS12_
                                        ; -- End function
	.section	.AMDGPU.csdata,"",@progbits
; Kernel info:
; codeLenInByte = 0
; NumSgprs: 0
; NumVgprs: 0
; ScratchSize: 0
; MemoryBound: 0
; FloatMode: 240
; IeeeMode: 1
; LDSByteSize: 0 bytes/workgroup (compile time only)
; SGPRBlocks: 0
; VGPRBlocks: 0
; NumSGPRsForWavesPerEU: 1
; NumVGPRsForWavesPerEU: 1
; Occupancy: 16
; WaveLimiterHint : 0
; COMPUTE_PGM_RSRC2:SCRATCH_EN: 0
; COMPUTE_PGM_RSRC2:USER_SGPR: 15
; COMPUTE_PGM_RSRC2:TRAP_HANDLER: 0
; COMPUTE_PGM_RSRC2:TGID_X_EN: 1
; COMPUTE_PGM_RSRC2:TGID_Y_EN: 0
; COMPUTE_PGM_RSRC2:TGID_Z_EN: 0
; COMPUTE_PGM_RSRC2:TIDIG_COMP_CNT: 0
	.section	.text._ZN7rocprim17ROCPRIM_400000_NS6detail17trampoline_kernelINS0_13select_configILj256ELj13ELNS0_17block_load_methodE3ELS4_3ELS4_3ELNS0_20block_scan_algorithmE0ELj4294967295EEENS1_25partition_config_selectorILNS1_17partition_subalgoE4EjNS0_10empty_typeEbEEZZNS1_14partition_implILS8_4ELb0ES6_15HIP_vector_typeIjLj2EENS0_17counting_iteratorIjlEEPS9_SG_NS0_5tupleIJPjSI_NS0_16reverse_iteratorISI_EEEEENSH_IJSG_SG_SG_EEES9_SI_JZNS1_25segmented_radix_sort_implINS0_14default_configELb0EPKiPiPKlPlN2at6native12_GLOBAL__N_18offset_tEEE10hipError_tPvRmT1_PNSt15iterator_traitsIS12_E10value_typeET2_T3_PNS13_IS18_E10value_typeET4_jRbjT5_S1E_jjP12ihipStream_tbEUljE_ZNSN_ISO_Lb0ESQ_SR_ST_SU_SY_EESZ_S10_S11_S12_S16_S17_S18_S1B_S1C_jS1D_jS1E_S1E_jjS1G_bEUljE0_EEESZ_S10_S11_S18_S1C_S1E_T6_T7_T9_mT8_S1G_bDpT10_ENKUlT_T0_E_clISt17integral_constantIbLb0EES1T_IbLb1EEEEDaS1P_S1Q_EUlS1P_E_NS1_11comp_targetILNS1_3genE0ELNS1_11target_archE4294967295ELNS1_3gpuE0ELNS1_3repE0EEENS1_30default_config_static_selectorELNS0_4arch9wavefront6targetE0EEEvS12_,"axG",@progbits,_ZN7rocprim17ROCPRIM_400000_NS6detail17trampoline_kernelINS0_13select_configILj256ELj13ELNS0_17block_load_methodE3ELS4_3ELS4_3ELNS0_20block_scan_algorithmE0ELj4294967295EEENS1_25partition_config_selectorILNS1_17partition_subalgoE4EjNS0_10empty_typeEbEEZZNS1_14partition_implILS8_4ELb0ES6_15HIP_vector_typeIjLj2EENS0_17counting_iteratorIjlEEPS9_SG_NS0_5tupleIJPjSI_NS0_16reverse_iteratorISI_EEEEENSH_IJSG_SG_SG_EEES9_SI_JZNS1_25segmented_radix_sort_implINS0_14default_configELb0EPKiPiPKlPlN2at6native12_GLOBAL__N_18offset_tEEE10hipError_tPvRmT1_PNSt15iterator_traitsIS12_E10value_typeET2_T3_PNS13_IS18_E10value_typeET4_jRbjT5_S1E_jjP12ihipStream_tbEUljE_ZNSN_ISO_Lb0ESQ_SR_ST_SU_SY_EESZ_S10_S11_S12_S16_S17_S18_S1B_S1C_jS1D_jS1E_S1E_jjS1G_bEUljE0_EEESZ_S10_S11_S18_S1C_S1E_T6_T7_T9_mT8_S1G_bDpT10_ENKUlT_T0_E_clISt17integral_constantIbLb0EES1T_IbLb1EEEEDaS1P_S1Q_EUlS1P_E_NS1_11comp_targetILNS1_3genE0ELNS1_11target_archE4294967295ELNS1_3gpuE0ELNS1_3repE0EEENS1_30default_config_static_selectorELNS0_4arch9wavefront6targetE0EEEvS12_,comdat
	.globl	_ZN7rocprim17ROCPRIM_400000_NS6detail17trampoline_kernelINS0_13select_configILj256ELj13ELNS0_17block_load_methodE3ELS4_3ELS4_3ELNS0_20block_scan_algorithmE0ELj4294967295EEENS1_25partition_config_selectorILNS1_17partition_subalgoE4EjNS0_10empty_typeEbEEZZNS1_14partition_implILS8_4ELb0ES6_15HIP_vector_typeIjLj2EENS0_17counting_iteratorIjlEEPS9_SG_NS0_5tupleIJPjSI_NS0_16reverse_iteratorISI_EEEEENSH_IJSG_SG_SG_EEES9_SI_JZNS1_25segmented_radix_sort_implINS0_14default_configELb0EPKiPiPKlPlN2at6native12_GLOBAL__N_18offset_tEEE10hipError_tPvRmT1_PNSt15iterator_traitsIS12_E10value_typeET2_T3_PNS13_IS18_E10value_typeET4_jRbjT5_S1E_jjP12ihipStream_tbEUljE_ZNSN_ISO_Lb0ESQ_SR_ST_SU_SY_EESZ_S10_S11_S12_S16_S17_S18_S1B_S1C_jS1D_jS1E_S1E_jjS1G_bEUljE0_EEESZ_S10_S11_S18_S1C_S1E_T6_T7_T9_mT8_S1G_bDpT10_ENKUlT_T0_E_clISt17integral_constantIbLb0EES1T_IbLb1EEEEDaS1P_S1Q_EUlS1P_E_NS1_11comp_targetILNS1_3genE0ELNS1_11target_archE4294967295ELNS1_3gpuE0ELNS1_3repE0EEENS1_30default_config_static_selectorELNS0_4arch9wavefront6targetE0EEEvS12_ ; -- Begin function _ZN7rocprim17ROCPRIM_400000_NS6detail17trampoline_kernelINS0_13select_configILj256ELj13ELNS0_17block_load_methodE3ELS4_3ELS4_3ELNS0_20block_scan_algorithmE0ELj4294967295EEENS1_25partition_config_selectorILNS1_17partition_subalgoE4EjNS0_10empty_typeEbEEZZNS1_14partition_implILS8_4ELb0ES6_15HIP_vector_typeIjLj2EENS0_17counting_iteratorIjlEEPS9_SG_NS0_5tupleIJPjSI_NS0_16reverse_iteratorISI_EEEEENSH_IJSG_SG_SG_EEES9_SI_JZNS1_25segmented_radix_sort_implINS0_14default_configELb0EPKiPiPKlPlN2at6native12_GLOBAL__N_18offset_tEEE10hipError_tPvRmT1_PNSt15iterator_traitsIS12_E10value_typeET2_T3_PNS13_IS18_E10value_typeET4_jRbjT5_S1E_jjP12ihipStream_tbEUljE_ZNSN_ISO_Lb0ESQ_SR_ST_SU_SY_EESZ_S10_S11_S12_S16_S17_S18_S1B_S1C_jS1D_jS1E_S1E_jjS1G_bEUljE0_EEESZ_S10_S11_S18_S1C_S1E_T6_T7_T9_mT8_S1G_bDpT10_ENKUlT_T0_E_clISt17integral_constantIbLb0EES1T_IbLb1EEEEDaS1P_S1Q_EUlS1P_E_NS1_11comp_targetILNS1_3genE0ELNS1_11target_archE4294967295ELNS1_3gpuE0ELNS1_3repE0EEENS1_30default_config_static_selectorELNS0_4arch9wavefront6targetE0EEEvS12_
	.p2align	8
	.type	_ZN7rocprim17ROCPRIM_400000_NS6detail17trampoline_kernelINS0_13select_configILj256ELj13ELNS0_17block_load_methodE3ELS4_3ELS4_3ELNS0_20block_scan_algorithmE0ELj4294967295EEENS1_25partition_config_selectorILNS1_17partition_subalgoE4EjNS0_10empty_typeEbEEZZNS1_14partition_implILS8_4ELb0ES6_15HIP_vector_typeIjLj2EENS0_17counting_iteratorIjlEEPS9_SG_NS0_5tupleIJPjSI_NS0_16reverse_iteratorISI_EEEEENSH_IJSG_SG_SG_EEES9_SI_JZNS1_25segmented_radix_sort_implINS0_14default_configELb0EPKiPiPKlPlN2at6native12_GLOBAL__N_18offset_tEEE10hipError_tPvRmT1_PNSt15iterator_traitsIS12_E10value_typeET2_T3_PNS13_IS18_E10value_typeET4_jRbjT5_S1E_jjP12ihipStream_tbEUljE_ZNSN_ISO_Lb0ESQ_SR_ST_SU_SY_EESZ_S10_S11_S12_S16_S17_S18_S1B_S1C_jS1D_jS1E_S1E_jjS1G_bEUljE0_EEESZ_S10_S11_S18_S1C_S1E_T6_T7_T9_mT8_S1G_bDpT10_ENKUlT_T0_E_clISt17integral_constantIbLb0EES1T_IbLb1EEEEDaS1P_S1Q_EUlS1P_E_NS1_11comp_targetILNS1_3genE0ELNS1_11target_archE4294967295ELNS1_3gpuE0ELNS1_3repE0EEENS1_30default_config_static_selectorELNS0_4arch9wavefront6targetE0EEEvS12_,@function
_ZN7rocprim17ROCPRIM_400000_NS6detail17trampoline_kernelINS0_13select_configILj256ELj13ELNS0_17block_load_methodE3ELS4_3ELS4_3ELNS0_20block_scan_algorithmE0ELj4294967295EEENS1_25partition_config_selectorILNS1_17partition_subalgoE4EjNS0_10empty_typeEbEEZZNS1_14partition_implILS8_4ELb0ES6_15HIP_vector_typeIjLj2EENS0_17counting_iteratorIjlEEPS9_SG_NS0_5tupleIJPjSI_NS0_16reverse_iteratorISI_EEEEENSH_IJSG_SG_SG_EEES9_SI_JZNS1_25segmented_radix_sort_implINS0_14default_configELb0EPKiPiPKlPlN2at6native12_GLOBAL__N_18offset_tEEE10hipError_tPvRmT1_PNSt15iterator_traitsIS12_E10value_typeET2_T3_PNS13_IS18_E10value_typeET4_jRbjT5_S1E_jjP12ihipStream_tbEUljE_ZNSN_ISO_Lb0ESQ_SR_ST_SU_SY_EESZ_S10_S11_S12_S16_S17_S18_S1B_S1C_jS1D_jS1E_S1E_jjS1G_bEUljE0_EEESZ_S10_S11_S18_S1C_S1E_T6_T7_T9_mT8_S1G_bDpT10_ENKUlT_T0_E_clISt17integral_constantIbLb0EES1T_IbLb1EEEEDaS1P_S1Q_EUlS1P_E_NS1_11comp_targetILNS1_3genE0ELNS1_11target_archE4294967295ELNS1_3gpuE0ELNS1_3repE0EEENS1_30default_config_static_selectorELNS0_4arch9wavefront6targetE0EEEvS12_: ; @_ZN7rocprim17ROCPRIM_400000_NS6detail17trampoline_kernelINS0_13select_configILj256ELj13ELNS0_17block_load_methodE3ELS4_3ELS4_3ELNS0_20block_scan_algorithmE0ELj4294967295EEENS1_25partition_config_selectorILNS1_17partition_subalgoE4EjNS0_10empty_typeEbEEZZNS1_14partition_implILS8_4ELb0ES6_15HIP_vector_typeIjLj2EENS0_17counting_iteratorIjlEEPS9_SG_NS0_5tupleIJPjSI_NS0_16reverse_iteratorISI_EEEEENSH_IJSG_SG_SG_EEES9_SI_JZNS1_25segmented_radix_sort_implINS0_14default_configELb0EPKiPiPKlPlN2at6native12_GLOBAL__N_18offset_tEEE10hipError_tPvRmT1_PNSt15iterator_traitsIS12_E10value_typeET2_T3_PNS13_IS18_E10value_typeET4_jRbjT5_S1E_jjP12ihipStream_tbEUljE_ZNSN_ISO_Lb0ESQ_SR_ST_SU_SY_EESZ_S10_S11_S12_S16_S17_S18_S1B_S1C_jS1D_jS1E_S1E_jjS1G_bEUljE0_EEESZ_S10_S11_S18_S1C_S1E_T6_T7_T9_mT8_S1G_bDpT10_ENKUlT_T0_E_clISt17integral_constantIbLb0EES1T_IbLb1EEEEDaS1P_S1Q_EUlS1P_E_NS1_11comp_targetILNS1_3genE0ELNS1_11target_archE4294967295ELNS1_3gpuE0ELNS1_3repE0EEENS1_30default_config_static_selectorELNS0_4arch9wavefront6targetE0EEEvS12_
; %bb.0:
	.section	.rodata,"a",@progbits
	.p2align	6, 0x0
	.amdhsa_kernel _ZN7rocprim17ROCPRIM_400000_NS6detail17trampoline_kernelINS0_13select_configILj256ELj13ELNS0_17block_load_methodE3ELS4_3ELS4_3ELNS0_20block_scan_algorithmE0ELj4294967295EEENS1_25partition_config_selectorILNS1_17partition_subalgoE4EjNS0_10empty_typeEbEEZZNS1_14partition_implILS8_4ELb0ES6_15HIP_vector_typeIjLj2EENS0_17counting_iteratorIjlEEPS9_SG_NS0_5tupleIJPjSI_NS0_16reverse_iteratorISI_EEEEENSH_IJSG_SG_SG_EEES9_SI_JZNS1_25segmented_radix_sort_implINS0_14default_configELb0EPKiPiPKlPlN2at6native12_GLOBAL__N_18offset_tEEE10hipError_tPvRmT1_PNSt15iterator_traitsIS12_E10value_typeET2_T3_PNS13_IS18_E10value_typeET4_jRbjT5_S1E_jjP12ihipStream_tbEUljE_ZNSN_ISO_Lb0ESQ_SR_ST_SU_SY_EESZ_S10_S11_S12_S16_S17_S18_S1B_S1C_jS1D_jS1E_S1E_jjS1G_bEUljE0_EEESZ_S10_S11_S18_S1C_S1E_T6_T7_T9_mT8_S1G_bDpT10_ENKUlT_T0_E_clISt17integral_constantIbLb0EES1T_IbLb1EEEEDaS1P_S1Q_EUlS1P_E_NS1_11comp_targetILNS1_3genE0ELNS1_11target_archE4294967295ELNS1_3gpuE0ELNS1_3repE0EEENS1_30default_config_static_selectorELNS0_4arch9wavefront6targetE0EEEvS12_
		.amdhsa_group_segment_fixed_size 0
		.amdhsa_private_segment_fixed_size 0
		.amdhsa_kernarg_size 184
		.amdhsa_user_sgpr_count 15
		.amdhsa_user_sgpr_dispatch_ptr 0
		.amdhsa_user_sgpr_queue_ptr 0
		.amdhsa_user_sgpr_kernarg_segment_ptr 1
		.amdhsa_user_sgpr_dispatch_id 0
		.amdhsa_user_sgpr_private_segment_size 0
		.amdhsa_wavefront_size32 1
		.amdhsa_uses_dynamic_stack 0
		.amdhsa_enable_private_segment 0
		.amdhsa_system_sgpr_workgroup_id_x 1
		.amdhsa_system_sgpr_workgroup_id_y 0
		.amdhsa_system_sgpr_workgroup_id_z 0
		.amdhsa_system_sgpr_workgroup_info 0
		.amdhsa_system_vgpr_workitem_id 0
		.amdhsa_next_free_vgpr 1
		.amdhsa_next_free_sgpr 1
		.amdhsa_reserve_vcc 0
		.amdhsa_float_round_mode_32 0
		.amdhsa_float_round_mode_16_64 0
		.amdhsa_float_denorm_mode_32 3
		.amdhsa_float_denorm_mode_16_64 3
		.amdhsa_dx10_clamp 1
		.amdhsa_ieee_mode 1
		.amdhsa_fp16_overflow 0
		.amdhsa_workgroup_processor_mode 1
		.amdhsa_memory_ordered 1
		.amdhsa_forward_progress 0
		.amdhsa_shared_vgpr_count 0
		.amdhsa_exception_fp_ieee_invalid_op 0
		.amdhsa_exception_fp_denorm_src 0
		.amdhsa_exception_fp_ieee_div_zero 0
		.amdhsa_exception_fp_ieee_overflow 0
		.amdhsa_exception_fp_ieee_underflow 0
		.amdhsa_exception_fp_ieee_inexact 0
		.amdhsa_exception_int_div_zero 0
	.end_amdhsa_kernel
	.section	.text._ZN7rocprim17ROCPRIM_400000_NS6detail17trampoline_kernelINS0_13select_configILj256ELj13ELNS0_17block_load_methodE3ELS4_3ELS4_3ELNS0_20block_scan_algorithmE0ELj4294967295EEENS1_25partition_config_selectorILNS1_17partition_subalgoE4EjNS0_10empty_typeEbEEZZNS1_14partition_implILS8_4ELb0ES6_15HIP_vector_typeIjLj2EENS0_17counting_iteratorIjlEEPS9_SG_NS0_5tupleIJPjSI_NS0_16reverse_iteratorISI_EEEEENSH_IJSG_SG_SG_EEES9_SI_JZNS1_25segmented_radix_sort_implINS0_14default_configELb0EPKiPiPKlPlN2at6native12_GLOBAL__N_18offset_tEEE10hipError_tPvRmT1_PNSt15iterator_traitsIS12_E10value_typeET2_T3_PNS13_IS18_E10value_typeET4_jRbjT5_S1E_jjP12ihipStream_tbEUljE_ZNSN_ISO_Lb0ESQ_SR_ST_SU_SY_EESZ_S10_S11_S12_S16_S17_S18_S1B_S1C_jS1D_jS1E_S1E_jjS1G_bEUljE0_EEESZ_S10_S11_S18_S1C_S1E_T6_T7_T9_mT8_S1G_bDpT10_ENKUlT_T0_E_clISt17integral_constantIbLb0EES1T_IbLb1EEEEDaS1P_S1Q_EUlS1P_E_NS1_11comp_targetILNS1_3genE0ELNS1_11target_archE4294967295ELNS1_3gpuE0ELNS1_3repE0EEENS1_30default_config_static_selectorELNS0_4arch9wavefront6targetE0EEEvS12_,"axG",@progbits,_ZN7rocprim17ROCPRIM_400000_NS6detail17trampoline_kernelINS0_13select_configILj256ELj13ELNS0_17block_load_methodE3ELS4_3ELS4_3ELNS0_20block_scan_algorithmE0ELj4294967295EEENS1_25partition_config_selectorILNS1_17partition_subalgoE4EjNS0_10empty_typeEbEEZZNS1_14partition_implILS8_4ELb0ES6_15HIP_vector_typeIjLj2EENS0_17counting_iteratorIjlEEPS9_SG_NS0_5tupleIJPjSI_NS0_16reverse_iteratorISI_EEEEENSH_IJSG_SG_SG_EEES9_SI_JZNS1_25segmented_radix_sort_implINS0_14default_configELb0EPKiPiPKlPlN2at6native12_GLOBAL__N_18offset_tEEE10hipError_tPvRmT1_PNSt15iterator_traitsIS12_E10value_typeET2_T3_PNS13_IS18_E10value_typeET4_jRbjT5_S1E_jjP12ihipStream_tbEUljE_ZNSN_ISO_Lb0ESQ_SR_ST_SU_SY_EESZ_S10_S11_S12_S16_S17_S18_S1B_S1C_jS1D_jS1E_S1E_jjS1G_bEUljE0_EEESZ_S10_S11_S18_S1C_S1E_T6_T7_T9_mT8_S1G_bDpT10_ENKUlT_T0_E_clISt17integral_constantIbLb0EES1T_IbLb1EEEEDaS1P_S1Q_EUlS1P_E_NS1_11comp_targetILNS1_3genE0ELNS1_11target_archE4294967295ELNS1_3gpuE0ELNS1_3repE0EEENS1_30default_config_static_selectorELNS0_4arch9wavefront6targetE0EEEvS12_,comdat
.Lfunc_end560:
	.size	_ZN7rocprim17ROCPRIM_400000_NS6detail17trampoline_kernelINS0_13select_configILj256ELj13ELNS0_17block_load_methodE3ELS4_3ELS4_3ELNS0_20block_scan_algorithmE0ELj4294967295EEENS1_25partition_config_selectorILNS1_17partition_subalgoE4EjNS0_10empty_typeEbEEZZNS1_14partition_implILS8_4ELb0ES6_15HIP_vector_typeIjLj2EENS0_17counting_iteratorIjlEEPS9_SG_NS0_5tupleIJPjSI_NS0_16reverse_iteratorISI_EEEEENSH_IJSG_SG_SG_EEES9_SI_JZNS1_25segmented_radix_sort_implINS0_14default_configELb0EPKiPiPKlPlN2at6native12_GLOBAL__N_18offset_tEEE10hipError_tPvRmT1_PNSt15iterator_traitsIS12_E10value_typeET2_T3_PNS13_IS18_E10value_typeET4_jRbjT5_S1E_jjP12ihipStream_tbEUljE_ZNSN_ISO_Lb0ESQ_SR_ST_SU_SY_EESZ_S10_S11_S12_S16_S17_S18_S1B_S1C_jS1D_jS1E_S1E_jjS1G_bEUljE0_EEESZ_S10_S11_S18_S1C_S1E_T6_T7_T9_mT8_S1G_bDpT10_ENKUlT_T0_E_clISt17integral_constantIbLb0EES1T_IbLb1EEEEDaS1P_S1Q_EUlS1P_E_NS1_11comp_targetILNS1_3genE0ELNS1_11target_archE4294967295ELNS1_3gpuE0ELNS1_3repE0EEENS1_30default_config_static_selectorELNS0_4arch9wavefront6targetE0EEEvS12_, .Lfunc_end560-_ZN7rocprim17ROCPRIM_400000_NS6detail17trampoline_kernelINS0_13select_configILj256ELj13ELNS0_17block_load_methodE3ELS4_3ELS4_3ELNS0_20block_scan_algorithmE0ELj4294967295EEENS1_25partition_config_selectorILNS1_17partition_subalgoE4EjNS0_10empty_typeEbEEZZNS1_14partition_implILS8_4ELb0ES6_15HIP_vector_typeIjLj2EENS0_17counting_iteratorIjlEEPS9_SG_NS0_5tupleIJPjSI_NS0_16reverse_iteratorISI_EEEEENSH_IJSG_SG_SG_EEES9_SI_JZNS1_25segmented_radix_sort_implINS0_14default_configELb0EPKiPiPKlPlN2at6native12_GLOBAL__N_18offset_tEEE10hipError_tPvRmT1_PNSt15iterator_traitsIS12_E10value_typeET2_T3_PNS13_IS18_E10value_typeET4_jRbjT5_S1E_jjP12ihipStream_tbEUljE_ZNSN_ISO_Lb0ESQ_SR_ST_SU_SY_EESZ_S10_S11_S12_S16_S17_S18_S1B_S1C_jS1D_jS1E_S1E_jjS1G_bEUljE0_EEESZ_S10_S11_S18_S1C_S1E_T6_T7_T9_mT8_S1G_bDpT10_ENKUlT_T0_E_clISt17integral_constantIbLb0EES1T_IbLb1EEEEDaS1P_S1Q_EUlS1P_E_NS1_11comp_targetILNS1_3genE0ELNS1_11target_archE4294967295ELNS1_3gpuE0ELNS1_3repE0EEENS1_30default_config_static_selectorELNS0_4arch9wavefront6targetE0EEEvS12_
                                        ; -- End function
	.section	.AMDGPU.csdata,"",@progbits
; Kernel info:
; codeLenInByte = 0
; NumSgprs: 0
; NumVgprs: 0
; ScratchSize: 0
; MemoryBound: 0
; FloatMode: 240
; IeeeMode: 1
; LDSByteSize: 0 bytes/workgroup (compile time only)
; SGPRBlocks: 0
; VGPRBlocks: 0
; NumSGPRsForWavesPerEU: 1
; NumVGPRsForWavesPerEU: 1
; Occupancy: 16
; WaveLimiterHint : 0
; COMPUTE_PGM_RSRC2:SCRATCH_EN: 0
; COMPUTE_PGM_RSRC2:USER_SGPR: 15
; COMPUTE_PGM_RSRC2:TRAP_HANDLER: 0
; COMPUTE_PGM_RSRC2:TGID_X_EN: 1
; COMPUTE_PGM_RSRC2:TGID_Y_EN: 0
; COMPUTE_PGM_RSRC2:TGID_Z_EN: 0
; COMPUTE_PGM_RSRC2:TIDIG_COMP_CNT: 0
	.section	.text._ZN7rocprim17ROCPRIM_400000_NS6detail17trampoline_kernelINS0_13select_configILj256ELj13ELNS0_17block_load_methodE3ELS4_3ELS4_3ELNS0_20block_scan_algorithmE0ELj4294967295EEENS1_25partition_config_selectorILNS1_17partition_subalgoE4EjNS0_10empty_typeEbEEZZNS1_14partition_implILS8_4ELb0ES6_15HIP_vector_typeIjLj2EENS0_17counting_iteratorIjlEEPS9_SG_NS0_5tupleIJPjSI_NS0_16reverse_iteratorISI_EEEEENSH_IJSG_SG_SG_EEES9_SI_JZNS1_25segmented_radix_sort_implINS0_14default_configELb0EPKiPiPKlPlN2at6native12_GLOBAL__N_18offset_tEEE10hipError_tPvRmT1_PNSt15iterator_traitsIS12_E10value_typeET2_T3_PNS13_IS18_E10value_typeET4_jRbjT5_S1E_jjP12ihipStream_tbEUljE_ZNSN_ISO_Lb0ESQ_SR_ST_SU_SY_EESZ_S10_S11_S12_S16_S17_S18_S1B_S1C_jS1D_jS1E_S1E_jjS1G_bEUljE0_EEESZ_S10_S11_S18_S1C_S1E_T6_T7_T9_mT8_S1G_bDpT10_ENKUlT_T0_E_clISt17integral_constantIbLb0EES1T_IbLb1EEEEDaS1P_S1Q_EUlS1P_E_NS1_11comp_targetILNS1_3genE5ELNS1_11target_archE942ELNS1_3gpuE9ELNS1_3repE0EEENS1_30default_config_static_selectorELNS0_4arch9wavefront6targetE0EEEvS12_,"axG",@progbits,_ZN7rocprim17ROCPRIM_400000_NS6detail17trampoline_kernelINS0_13select_configILj256ELj13ELNS0_17block_load_methodE3ELS4_3ELS4_3ELNS0_20block_scan_algorithmE0ELj4294967295EEENS1_25partition_config_selectorILNS1_17partition_subalgoE4EjNS0_10empty_typeEbEEZZNS1_14partition_implILS8_4ELb0ES6_15HIP_vector_typeIjLj2EENS0_17counting_iteratorIjlEEPS9_SG_NS0_5tupleIJPjSI_NS0_16reverse_iteratorISI_EEEEENSH_IJSG_SG_SG_EEES9_SI_JZNS1_25segmented_radix_sort_implINS0_14default_configELb0EPKiPiPKlPlN2at6native12_GLOBAL__N_18offset_tEEE10hipError_tPvRmT1_PNSt15iterator_traitsIS12_E10value_typeET2_T3_PNS13_IS18_E10value_typeET4_jRbjT5_S1E_jjP12ihipStream_tbEUljE_ZNSN_ISO_Lb0ESQ_SR_ST_SU_SY_EESZ_S10_S11_S12_S16_S17_S18_S1B_S1C_jS1D_jS1E_S1E_jjS1G_bEUljE0_EEESZ_S10_S11_S18_S1C_S1E_T6_T7_T9_mT8_S1G_bDpT10_ENKUlT_T0_E_clISt17integral_constantIbLb0EES1T_IbLb1EEEEDaS1P_S1Q_EUlS1P_E_NS1_11comp_targetILNS1_3genE5ELNS1_11target_archE942ELNS1_3gpuE9ELNS1_3repE0EEENS1_30default_config_static_selectorELNS0_4arch9wavefront6targetE0EEEvS12_,comdat
	.globl	_ZN7rocprim17ROCPRIM_400000_NS6detail17trampoline_kernelINS0_13select_configILj256ELj13ELNS0_17block_load_methodE3ELS4_3ELS4_3ELNS0_20block_scan_algorithmE0ELj4294967295EEENS1_25partition_config_selectorILNS1_17partition_subalgoE4EjNS0_10empty_typeEbEEZZNS1_14partition_implILS8_4ELb0ES6_15HIP_vector_typeIjLj2EENS0_17counting_iteratorIjlEEPS9_SG_NS0_5tupleIJPjSI_NS0_16reverse_iteratorISI_EEEEENSH_IJSG_SG_SG_EEES9_SI_JZNS1_25segmented_radix_sort_implINS0_14default_configELb0EPKiPiPKlPlN2at6native12_GLOBAL__N_18offset_tEEE10hipError_tPvRmT1_PNSt15iterator_traitsIS12_E10value_typeET2_T3_PNS13_IS18_E10value_typeET4_jRbjT5_S1E_jjP12ihipStream_tbEUljE_ZNSN_ISO_Lb0ESQ_SR_ST_SU_SY_EESZ_S10_S11_S12_S16_S17_S18_S1B_S1C_jS1D_jS1E_S1E_jjS1G_bEUljE0_EEESZ_S10_S11_S18_S1C_S1E_T6_T7_T9_mT8_S1G_bDpT10_ENKUlT_T0_E_clISt17integral_constantIbLb0EES1T_IbLb1EEEEDaS1P_S1Q_EUlS1P_E_NS1_11comp_targetILNS1_3genE5ELNS1_11target_archE942ELNS1_3gpuE9ELNS1_3repE0EEENS1_30default_config_static_selectorELNS0_4arch9wavefront6targetE0EEEvS12_ ; -- Begin function _ZN7rocprim17ROCPRIM_400000_NS6detail17trampoline_kernelINS0_13select_configILj256ELj13ELNS0_17block_load_methodE3ELS4_3ELS4_3ELNS0_20block_scan_algorithmE0ELj4294967295EEENS1_25partition_config_selectorILNS1_17partition_subalgoE4EjNS0_10empty_typeEbEEZZNS1_14partition_implILS8_4ELb0ES6_15HIP_vector_typeIjLj2EENS0_17counting_iteratorIjlEEPS9_SG_NS0_5tupleIJPjSI_NS0_16reverse_iteratorISI_EEEEENSH_IJSG_SG_SG_EEES9_SI_JZNS1_25segmented_radix_sort_implINS0_14default_configELb0EPKiPiPKlPlN2at6native12_GLOBAL__N_18offset_tEEE10hipError_tPvRmT1_PNSt15iterator_traitsIS12_E10value_typeET2_T3_PNS13_IS18_E10value_typeET4_jRbjT5_S1E_jjP12ihipStream_tbEUljE_ZNSN_ISO_Lb0ESQ_SR_ST_SU_SY_EESZ_S10_S11_S12_S16_S17_S18_S1B_S1C_jS1D_jS1E_S1E_jjS1G_bEUljE0_EEESZ_S10_S11_S18_S1C_S1E_T6_T7_T9_mT8_S1G_bDpT10_ENKUlT_T0_E_clISt17integral_constantIbLb0EES1T_IbLb1EEEEDaS1P_S1Q_EUlS1P_E_NS1_11comp_targetILNS1_3genE5ELNS1_11target_archE942ELNS1_3gpuE9ELNS1_3repE0EEENS1_30default_config_static_selectorELNS0_4arch9wavefront6targetE0EEEvS12_
	.p2align	8
	.type	_ZN7rocprim17ROCPRIM_400000_NS6detail17trampoline_kernelINS0_13select_configILj256ELj13ELNS0_17block_load_methodE3ELS4_3ELS4_3ELNS0_20block_scan_algorithmE0ELj4294967295EEENS1_25partition_config_selectorILNS1_17partition_subalgoE4EjNS0_10empty_typeEbEEZZNS1_14partition_implILS8_4ELb0ES6_15HIP_vector_typeIjLj2EENS0_17counting_iteratorIjlEEPS9_SG_NS0_5tupleIJPjSI_NS0_16reverse_iteratorISI_EEEEENSH_IJSG_SG_SG_EEES9_SI_JZNS1_25segmented_radix_sort_implINS0_14default_configELb0EPKiPiPKlPlN2at6native12_GLOBAL__N_18offset_tEEE10hipError_tPvRmT1_PNSt15iterator_traitsIS12_E10value_typeET2_T3_PNS13_IS18_E10value_typeET4_jRbjT5_S1E_jjP12ihipStream_tbEUljE_ZNSN_ISO_Lb0ESQ_SR_ST_SU_SY_EESZ_S10_S11_S12_S16_S17_S18_S1B_S1C_jS1D_jS1E_S1E_jjS1G_bEUljE0_EEESZ_S10_S11_S18_S1C_S1E_T6_T7_T9_mT8_S1G_bDpT10_ENKUlT_T0_E_clISt17integral_constantIbLb0EES1T_IbLb1EEEEDaS1P_S1Q_EUlS1P_E_NS1_11comp_targetILNS1_3genE5ELNS1_11target_archE942ELNS1_3gpuE9ELNS1_3repE0EEENS1_30default_config_static_selectorELNS0_4arch9wavefront6targetE0EEEvS12_,@function
_ZN7rocprim17ROCPRIM_400000_NS6detail17trampoline_kernelINS0_13select_configILj256ELj13ELNS0_17block_load_methodE3ELS4_3ELS4_3ELNS0_20block_scan_algorithmE0ELj4294967295EEENS1_25partition_config_selectorILNS1_17partition_subalgoE4EjNS0_10empty_typeEbEEZZNS1_14partition_implILS8_4ELb0ES6_15HIP_vector_typeIjLj2EENS0_17counting_iteratorIjlEEPS9_SG_NS0_5tupleIJPjSI_NS0_16reverse_iteratorISI_EEEEENSH_IJSG_SG_SG_EEES9_SI_JZNS1_25segmented_radix_sort_implINS0_14default_configELb0EPKiPiPKlPlN2at6native12_GLOBAL__N_18offset_tEEE10hipError_tPvRmT1_PNSt15iterator_traitsIS12_E10value_typeET2_T3_PNS13_IS18_E10value_typeET4_jRbjT5_S1E_jjP12ihipStream_tbEUljE_ZNSN_ISO_Lb0ESQ_SR_ST_SU_SY_EESZ_S10_S11_S12_S16_S17_S18_S1B_S1C_jS1D_jS1E_S1E_jjS1G_bEUljE0_EEESZ_S10_S11_S18_S1C_S1E_T6_T7_T9_mT8_S1G_bDpT10_ENKUlT_T0_E_clISt17integral_constantIbLb0EES1T_IbLb1EEEEDaS1P_S1Q_EUlS1P_E_NS1_11comp_targetILNS1_3genE5ELNS1_11target_archE942ELNS1_3gpuE9ELNS1_3repE0EEENS1_30default_config_static_selectorELNS0_4arch9wavefront6targetE0EEEvS12_: ; @_ZN7rocprim17ROCPRIM_400000_NS6detail17trampoline_kernelINS0_13select_configILj256ELj13ELNS0_17block_load_methodE3ELS4_3ELS4_3ELNS0_20block_scan_algorithmE0ELj4294967295EEENS1_25partition_config_selectorILNS1_17partition_subalgoE4EjNS0_10empty_typeEbEEZZNS1_14partition_implILS8_4ELb0ES6_15HIP_vector_typeIjLj2EENS0_17counting_iteratorIjlEEPS9_SG_NS0_5tupleIJPjSI_NS0_16reverse_iteratorISI_EEEEENSH_IJSG_SG_SG_EEES9_SI_JZNS1_25segmented_radix_sort_implINS0_14default_configELb0EPKiPiPKlPlN2at6native12_GLOBAL__N_18offset_tEEE10hipError_tPvRmT1_PNSt15iterator_traitsIS12_E10value_typeET2_T3_PNS13_IS18_E10value_typeET4_jRbjT5_S1E_jjP12ihipStream_tbEUljE_ZNSN_ISO_Lb0ESQ_SR_ST_SU_SY_EESZ_S10_S11_S12_S16_S17_S18_S1B_S1C_jS1D_jS1E_S1E_jjS1G_bEUljE0_EEESZ_S10_S11_S18_S1C_S1E_T6_T7_T9_mT8_S1G_bDpT10_ENKUlT_T0_E_clISt17integral_constantIbLb0EES1T_IbLb1EEEEDaS1P_S1Q_EUlS1P_E_NS1_11comp_targetILNS1_3genE5ELNS1_11target_archE942ELNS1_3gpuE9ELNS1_3repE0EEENS1_30default_config_static_selectorELNS0_4arch9wavefront6targetE0EEEvS12_
; %bb.0:
	.section	.rodata,"a",@progbits
	.p2align	6, 0x0
	.amdhsa_kernel _ZN7rocprim17ROCPRIM_400000_NS6detail17trampoline_kernelINS0_13select_configILj256ELj13ELNS0_17block_load_methodE3ELS4_3ELS4_3ELNS0_20block_scan_algorithmE0ELj4294967295EEENS1_25partition_config_selectorILNS1_17partition_subalgoE4EjNS0_10empty_typeEbEEZZNS1_14partition_implILS8_4ELb0ES6_15HIP_vector_typeIjLj2EENS0_17counting_iteratorIjlEEPS9_SG_NS0_5tupleIJPjSI_NS0_16reverse_iteratorISI_EEEEENSH_IJSG_SG_SG_EEES9_SI_JZNS1_25segmented_radix_sort_implINS0_14default_configELb0EPKiPiPKlPlN2at6native12_GLOBAL__N_18offset_tEEE10hipError_tPvRmT1_PNSt15iterator_traitsIS12_E10value_typeET2_T3_PNS13_IS18_E10value_typeET4_jRbjT5_S1E_jjP12ihipStream_tbEUljE_ZNSN_ISO_Lb0ESQ_SR_ST_SU_SY_EESZ_S10_S11_S12_S16_S17_S18_S1B_S1C_jS1D_jS1E_S1E_jjS1G_bEUljE0_EEESZ_S10_S11_S18_S1C_S1E_T6_T7_T9_mT8_S1G_bDpT10_ENKUlT_T0_E_clISt17integral_constantIbLb0EES1T_IbLb1EEEEDaS1P_S1Q_EUlS1P_E_NS1_11comp_targetILNS1_3genE5ELNS1_11target_archE942ELNS1_3gpuE9ELNS1_3repE0EEENS1_30default_config_static_selectorELNS0_4arch9wavefront6targetE0EEEvS12_
		.amdhsa_group_segment_fixed_size 0
		.amdhsa_private_segment_fixed_size 0
		.amdhsa_kernarg_size 184
		.amdhsa_user_sgpr_count 15
		.amdhsa_user_sgpr_dispatch_ptr 0
		.amdhsa_user_sgpr_queue_ptr 0
		.amdhsa_user_sgpr_kernarg_segment_ptr 1
		.amdhsa_user_sgpr_dispatch_id 0
		.amdhsa_user_sgpr_private_segment_size 0
		.amdhsa_wavefront_size32 1
		.amdhsa_uses_dynamic_stack 0
		.amdhsa_enable_private_segment 0
		.amdhsa_system_sgpr_workgroup_id_x 1
		.amdhsa_system_sgpr_workgroup_id_y 0
		.amdhsa_system_sgpr_workgroup_id_z 0
		.amdhsa_system_sgpr_workgroup_info 0
		.amdhsa_system_vgpr_workitem_id 0
		.amdhsa_next_free_vgpr 1
		.amdhsa_next_free_sgpr 1
		.amdhsa_reserve_vcc 0
		.amdhsa_float_round_mode_32 0
		.amdhsa_float_round_mode_16_64 0
		.amdhsa_float_denorm_mode_32 3
		.amdhsa_float_denorm_mode_16_64 3
		.amdhsa_dx10_clamp 1
		.amdhsa_ieee_mode 1
		.amdhsa_fp16_overflow 0
		.amdhsa_workgroup_processor_mode 1
		.amdhsa_memory_ordered 1
		.amdhsa_forward_progress 0
		.amdhsa_shared_vgpr_count 0
		.amdhsa_exception_fp_ieee_invalid_op 0
		.amdhsa_exception_fp_denorm_src 0
		.amdhsa_exception_fp_ieee_div_zero 0
		.amdhsa_exception_fp_ieee_overflow 0
		.amdhsa_exception_fp_ieee_underflow 0
		.amdhsa_exception_fp_ieee_inexact 0
		.amdhsa_exception_int_div_zero 0
	.end_amdhsa_kernel
	.section	.text._ZN7rocprim17ROCPRIM_400000_NS6detail17trampoline_kernelINS0_13select_configILj256ELj13ELNS0_17block_load_methodE3ELS4_3ELS4_3ELNS0_20block_scan_algorithmE0ELj4294967295EEENS1_25partition_config_selectorILNS1_17partition_subalgoE4EjNS0_10empty_typeEbEEZZNS1_14partition_implILS8_4ELb0ES6_15HIP_vector_typeIjLj2EENS0_17counting_iteratorIjlEEPS9_SG_NS0_5tupleIJPjSI_NS0_16reverse_iteratorISI_EEEEENSH_IJSG_SG_SG_EEES9_SI_JZNS1_25segmented_radix_sort_implINS0_14default_configELb0EPKiPiPKlPlN2at6native12_GLOBAL__N_18offset_tEEE10hipError_tPvRmT1_PNSt15iterator_traitsIS12_E10value_typeET2_T3_PNS13_IS18_E10value_typeET4_jRbjT5_S1E_jjP12ihipStream_tbEUljE_ZNSN_ISO_Lb0ESQ_SR_ST_SU_SY_EESZ_S10_S11_S12_S16_S17_S18_S1B_S1C_jS1D_jS1E_S1E_jjS1G_bEUljE0_EEESZ_S10_S11_S18_S1C_S1E_T6_T7_T9_mT8_S1G_bDpT10_ENKUlT_T0_E_clISt17integral_constantIbLb0EES1T_IbLb1EEEEDaS1P_S1Q_EUlS1P_E_NS1_11comp_targetILNS1_3genE5ELNS1_11target_archE942ELNS1_3gpuE9ELNS1_3repE0EEENS1_30default_config_static_selectorELNS0_4arch9wavefront6targetE0EEEvS12_,"axG",@progbits,_ZN7rocprim17ROCPRIM_400000_NS6detail17trampoline_kernelINS0_13select_configILj256ELj13ELNS0_17block_load_methodE3ELS4_3ELS4_3ELNS0_20block_scan_algorithmE0ELj4294967295EEENS1_25partition_config_selectorILNS1_17partition_subalgoE4EjNS0_10empty_typeEbEEZZNS1_14partition_implILS8_4ELb0ES6_15HIP_vector_typeIjLj2EENS0_17counting_iteratorIjlEEPS9_SG_NS0_5tupleIJPjSI_NS0_16reverse_iteratorISI_EEEEENSH_IJSG_SG_SG_EEES9_SI_JZNS1_25segmented_radix_sort_implINS0_14default_configELb0EPKiPiPKlPlN2at6native12_GLOBAL__N_18offset_tEEE10hipError_tPvRmT1_PNSt15iterator_traitsIS12_E10value_typeET2_T3_PNS13_IS18_E10value_typeET4_jRbjT5_S1E_jjP12ihipStream_tbEUljE_ZNSN_ISO_Lb0ESQ_SR_ST_SU_SY_EESZ_S10_S11_S12_S16_S17_S18_S1B_S1C_jS1D_jS1E_S1E_jjS1G_bEUljE0_EEESZ_S10_S11_S18_S1C_S1E_T6_T7_T9_mT8_S1G_bDpT10_ENKUlT_T0_E_clISt17integral_constantIbLb0EES1T_IbLb1EEEEDaS1P_S1Q_EUlS1P_E_NS1_11comp_targetILNS1_3genE5ELNS1_11target_archE942ELNS1_3gpuE9ELNS1_3repE0EEENS1_30default_config_static_selectorELNS0_4arch9wavefront6targetE0EEEvS12_,comdat
.Lfunc_end561:
	.size	_ZN7rocprim17ROCPRIM_400000_NS6detail17trampoline_kernelINS0_13select_configILj256ELj13ELNS0_17block_load_methodE3ELS4_3ELS4_3ELNS0_20block_scan_algorithmE0ELj4294967295EEENS1_25partition_config_selectorILNS1_17partition_subalgoE4EjNS0_10empty_typeEbEEZZNS1_14partition_implILS8_4ELb0ES6_15HIP_vector_typeIjLj2EENS0_17counting_iteratorIjlEEPS9_SG_NS0_5tupleIJPjSI_NS0_16reverse_iteratorISI_EEEEENSH_IJSG_SG_SG_EEES9_SI_JZNS1_25segmented_radix_sort_implINS0_14default_configELb0EPKiPiPKlPlN2at6native12_GLOBAL__N_18offset_tEEE10hipError_tPvRmT1_PNSt15iterator_traitsIS12_E10value_typeET2_T3_PNS13_IS18_E10value_typeET4_jRbjT5_S1E_jjP12ihipStream_tbEUljE_ZNSN_ISO_Lb0ESQ_SR_ST_SU_SY_EESZ_S10_S11_S12_S16_S17_S18_S1B_S1C_jS1D_jS1E_S1E_jjS1G_bEUljE0_EEESZ_S10_S11_S18_S1C_S1E_T6_T7_T9_mT8_S1G_bDpT10_ENKUlT_T0_E_clISt17integral_constantIbLb0EES1T_IbLb1EEEEDaS1P_S1Q_EUlS1P_E_NS1_11comp_targetILNS1_3genE5ELNS1_11target_archE942ELNS1_3gpuE9ELNS1_3repE0EEENS1_30default_config_static_selectorELNS0_4arch9wavefront6targetE0EEEvS12_, .Lfunc_end561-_ZN7rocprim17ROCPRIM_400000_NS6detail17trampoline_kernelINS0_13select_configILj256ELj13ELNS0_17block_load_methodE3ELS4_3ELS4_3ELNS0_20block_scan_algorithmE0ELj4294967295EEENS1_25partition_config_selectorILNS1_17partition_subalgoE4EjNS0_10empty_typeEbEEZZNS1_14partition_implILS8_4ELb0ES6_15HIP_vector_typeIjLj2EENS0_17counting_iteratorIjlEEPS9_SG_NS0_5tupleIJPjSI_NS0_16reverse_iteratorISI_EEEEENSH_IJSG_SG_SG_EEES9_SI_JZNS1_25segmented_radix_sort_implINS0_14default_configELb0EPKiPiPKlPlN2at6native12_GLOBAL__N_18offset_tEEE10hipError_tPvRmT1_PNSt15iterator_traitsIS12_E10value_typeET2_T3_PNS13_IS18_E10value_typeET4_jRbjT5_S1E_jjP12ihipStream_tbEUljE_ZNSN_ISO_Lb0ESQ_SR_ST_SU_SY_EESZ_S10_S11_S12_S16_S17_S18_S1B_S1C_jS1D_jS1E_S1E_jjS1G_bEUljE0_EEESZ_S10_S11_S18_S1C_S1E_T6_T7_T9_mT8_S1G_bDpT10_ENKUlT_T0_E_clISt17integral_constantIbLb0EES1T_IbLb1EEEEDaS1P_S1Q_EUlS1P_E_NS1_11comp_targetILNS1_3genE5ELNS1_11target_archE942ELNS1_3gpuE9ELNS1_3repE0EEENS1_30default_config_static_selectorELNS0_4arch9wavefront6targetE0EEEvS12_
                                        ; -- End function
	.section	.AMDGPU.csdata,"",@progbits
; Kernel info:
; codeLenInByte = 0
; NumSgprs: 0
; NumVgprs: 0
; ScratchSize: 0
; MemoryBound: 0
; FloatMode: 240
; IeeeMode: 1
; LDSByteSize: 0 bytes/workgroup (compile time only)
; SGPRBlocks: 0
; VGPRBlocks: 0
; NumSGPRsForWavesPerEU: 1
; NumVGPRsForWavesPerEU: 1
; Occupancy: 16
; WaveLimiterHint : 0
; COMPUTE_PGM_RSRC2:SCRATCH_EN: 0
; COMPUTE_PGM_RSRC2:USER_SGPR: 15
; COMPUTE_PGM_RSRC2:TRAP_HANDLER: 0
; COMPUTE_PGM_RSRC2:TGID_X_EN: 1
; COMPUTE_PGM_RSRC2:TGID_Y_EN: 0
; COMPUTE_PGM_RSRC2:TGID_Z_EN: 0
; COMPUTE_PGM_RSRC2:TIDIG_COMP_CNT: 0
	.section	.text._ZN7rocprim17ROCPRIM_400000_NS6detail17trampoline_kernelINS0_13select_configILj256ELj13ELNS0_17block_load_methodE3ELS4_3ELS4_3ELNS0_20block_scan_algorithmE0ELj4294967295EEENS1_25partition_config_selectorILNS1_17partition_subalgoE4EjNS0_10empty_typeEbEEZZNS1_14partition_implILS8_4ELb0ES6_15HIP_vector_typeIjLj2EENS0_17counting_iteratorIjlEEPS9_SG_NS0_5tupleIJPjSI_NS0_16reverse_iteratorISI_EEEEENSH_IJSG_SG_SG_EEES9_SI_JZNS1_25segmented_radix_sort_implINS0_14default_configELb0EPKiPiPKlPlN2at6native12_GLOBAL__N_18offset_tEEE10hipError_tPvRmT1_PNSt15iterator_traitsIS12_E10value_typeET2_T3_PNS13_IS18_E10value_typeET4_jRbjT5_S1E_jjP12ihipStream_tbEUljE_ZNSN_ISO_Lb0ESQ_SR_ST_SU_SY_EESZ_S10_S11_S12_S16_S17_S18_S1B_S1C_jS1D_jS1E_S1E_jjS1G_bEUljE0_EEESZ_S10_S11_S18_S1C_S1E_T6_T7_T9_mT8_S1G_bDpT10_ENKUlT_T0_E_clISt17integral_constantIbLb0EES1T_IbLb1EEEEDaS1P_S1Q_EUlS1P_E_NS1_11comp_targetILNS1_3genE4ELNS1_11target_archE910ELNS1_3gpuE8ELNS1_3repE0EEENS1_30default_config_static_selectorELNS0_4arch9wavefront6targetE0EEEvS12_,"axG",@progbits,_ZN7rocprim17ROCPRIM_400000_NS6detail17trampoline_kernelINS0_13select_configILj256ELj13ELNS0_17block_load_methodE3ELS4_3ELS4_3ELNS0_20block_scan_algorithmE0ELj4294967295EEENS1_25partition_config_selectorILNS1_17partition_subalgoE4EjNS0_10empty_typeEbEEZZNS1_14partition_implILS8_4ELb0ES6_15HIP_vector_typeIjLj2EENS0_17counting_iteratorIjlEEPS9_SG_NS0_5tupleIJPjSI_NS0_16reverse_iteratorISI_EEEEENSH_IJSG_SG_SG_EEES9_SI_JZNS1_25segmented_radix_sort_implINS0_14default_configELb0EPKiPiPKlPlN2at6native12_GLOBAL__N_18offset_tEEE10hipError_tPvRmT1_PNSt15iterator_traitsIS12_E10value_typeET2_T3_PNS13_IS18_E10value_typeET4_jRbjT5_S1E_jjP12ihipStream_tbEUljE_ZNSN_ISO_Lb0ESQ_SR_ST_SU_SY_EESZ_S10_S11_S12_S16_S17_S18_S1B_S1C_jS1D_jS1E_S1E_jjS1G_bEUljE0_EEESZ_S10_S11_S18_S1C_S1E_T6_T7_T9_mT8_S1G_bDpT10_ENKUlT_T0_E_clISt17integral_constantIbLb0EES1T_IbLb1EEEEDaS1P_S1Q_EUlS1P_E_NS1_11comp_targetILNS1_3genE4ELNS1_11target_archE910ELNS1_3gpuE8ELNS1_3repE0EEENS1_30default_config_static_selectorELNS0_4arch9wavefront6targetE0EEEvS12_,comdat
	.globl	_ZN7rocprim17ROCPRIM_400000_NS6detail17trampoline_kernelINS0_13select_configILj256ELj13ELNS0_17block_load_methodE3ELS4_3ELS4_3ELNS0_20block_scan_algorithmE0ELj4294967295EEENS1_25partition_config_selectorILNS1_17partition_subalgoE4EjNS0_10empty_typeEbEEZZNS1_14partition_implILS8_4ELb0ES6_15HIP_vector_typeIjLj2EENS0_17counting_iteratorIjlEEPS9_SG_NS0_5tupleIJPjSI_NS0_16reverse_iteratorISI_EEEEENSH_IJSG_SG_SG_EEES9_SI_JZNS1_25segmented_radix_sort_implINS0_14default_configELb0EPKiPiPKlPlN2at6native12_GLOBAL__N_18offset_tEEE10hipError_tPvRmT1_PNSt15iterator_traitsIS12_E10value_typeET2_T3_PNS13_IS18_E10value_typeET4_jRbjT5_S1E_jjP12ihipStream_tbEUljE_ZNSN_ISO_Lb0ESQ_SR_ST_SU_SY_EESZ_S10_S11_S12_S16_S17_S18_S1B_S1C_jS1D_jS1E_S1E_jjS1G_bEUljE0_EEESZ_S10_S11_S18_S1C_S1E_T6_T7_T9_mT8_S1G_bDpT10_ENKUlT_T0_E_clISt17integral_constantIbLb0EES1T_IbLb1EEEEDaS1P_S1Q_EUlS1P_E_NS1_11comp_targetILNS1_3genE4ELNS1_11target_archE910ELNS1_3gpuE8ELNS1_3repE0EEENS1_30default_config_static_selectorELNS0_4arch9wavefront6targetE0EEEvS12_ ; -- Begin function _ZN7rocprim17ROCPRIM_400000_NS6detail17trampoline_kernelINS0_13select_configILj256ELj13ELNS0_17block_load_methodE3ELS4_3ELS4_3ELNS0_20block_scan_algorithmE0ELj4294967295EEENS1_25partition_config_selectorILNS1_17partition_subalgoE4EjNS0_10empty_typeEbEEZZNS1_14partition_implILS8_4ELb0ES6_15HIP_vector_typeIjLj2EENS0_17counting_iteratorIjlEEPS9_SG_NS0_5tupleIJPjSI_NS0_16reverse_iteratorISI_EEEEENSH_IJSG_SG_SG_EEES9_SI_JZNS1_25segmented_radix_sort_implINS0_14default_configELb0EPKiPiPKlPlN2at6native12_GLOBAL__N_18offset_tEEE10hipError_tPvRmT1_PNSt15iterator_traitsIS12_E10value_typeET2_T3_PNS13_IS18_E10value_typeET4_jRbjT5_S1E_jjP12ihipStream_tbEUljE_ZNSN_ISO_Lb0ESQ_SR_ST_SU_SY_EESZ_S10_S11_S12_S16_S17_S18_S1B_S1C_jS1D_jS1E_S1E_jjS1G_bEUljE0_EEESZ_S10_S11_S18_S1C_S1E_T6_T7_T9_mT8_S1G_bDpT10_ENKUlT_T0_E_clISt17integral_constantIbLb0EES1T_IbLb1EEEEDaS1P_S1Q_EUlS1P_E_NS1_11comp_targetILNS1_3genE4ELNS1_11target_archE910ELNS1_3gpuE8ELNS1_3repE0EEENS1_30default_config_static_selectorELNS0_4arch9wavefront6targetE0EEEvS12_
	.p2align	8
	.type	_ZN7rocprim17ROCPRIM_400000_NS6detail17trampoline_kernelINS0_13select_configILj256ELj13ELNS0_17block_load_methodE3ELS4_3ELS4_3ELNS0_20block_scan_algorithmE0ELj4294967295EEENS1_25partition_config_selectorILNS1_17partition_subalgoE4EjNS0_10empty_typeEbEEZZNS1_14partition_implILS8_4ELb0ES6_15HIP_vector_typeIjLj2EENS0_17counting_iteratorIjlEEPS9_SG_NS0_5tupleIJPjSI_NS0_16reverse_iteratorISI_EEEEENSH_IJSG_SG_SG_EEES9_SI_JZNS1_25segmented_radix_sort_implINS0_14default_configELb0EPKiPiPKlPlN2at6native12_GLOBAL__N_18offset_tEEE10hipError_tPvRmT1_PNSt15iterator_traitsIS12_E10value_typeET2_T3_PNS13_IS18_E10value_typeET4_jRbjT5_S1E_jjP12ihipStream_tbEUljE_ZNSN_ISO_Lb0ESQ_SR_ST_SU_SY_EESZ_S10_S11_S12_S16_S17_S18_S1B_S1C_jS1D_jS1E_S1E_jjS1G_bEUljE0_EEESZ_S10_S11_S18_S1C_S1E_T6_T7_T9_mT8_S1G_bDpT10_ENKUlT_T0_E_clISt17integral_constantIbLb0EES1T_IbLb1EEEEDaS1P_S1Q_EUlS1P_E_NS1_11comp_targetILNS1_3genE4ELNS1_11target_archE910ELNS1_3gpuE8ELNS1_3repE0EEENS1_30default_config_static_selectorELNS0_4arch9wavefront6targetE0EEEvS12_,@function
_ZN7rocprim17ROCPRIM_400000_NS6detail17trampoline_kernelINS0_13select_configILj256ELj13ELNS0_17block_load_methodE3ELS4_3ELS4_3ELNS0_20block_scan_algorithmE0ELj4294967295EEENS1_25partition_config_selectorILNS1_17partition_subalgoE4EjNS0_10empty_typeEbEEZZNS1_14partition_implILS8_4ELb0ES6_15HIP_vector_typeIjLj2EENS0_17counting_iteratorIjlEEPS9_SG_NS0_5tupleIJPjSI_NS0_16reverse_iteratorISI_EEEEENSH_IJSG_SG_SG_EEES9_SI_JZNS1_25segmented_radix_sort_implINS0_14default_configELb0EPKiPiPKlPlN2at6native12_GLOBAL__N_18offset_tEEE10hipError_tPvRmT1_PNSt15iterator_traitsIS12_E10value_typeET2_T3_PNS13_IS18_E10value_typeET4_jRbjT5_S1E_jjP12ihipStream_tbEUljE_ZNSN_ISO_Lb0ESQ_SR_ST_SU_SY_EESZ_S10_S11_S12_S16_S17_S18_S1B_S1C_jS1D_jS1E_S1E_jjS1G_bEUljE0_EEESZ_S10_S11_S18_S1C_S1E_T6_T7_T9_mT8_S1G_bDpT10_ENKUlT_T0_E_clISt17integral_constantIbLb0EES1T_IbLb1EEEEDaS1P_S1Q_EUlS1P_E_NS1_11comp_targetILNS1_3genE4ELNS1_11target_archE910ELNS1_3gpuE8ELNS1_3repE0EEENS1_30default_config_static_selectorELNS0_4arch9wavefront6targetE0EEEvS12_: ; @_ZN7rocprim17ROCPRIM_400000_NS6detail17trampoline_kernelINS0_13select_configILj256ELj13ELNS0_17block_load_methodE3ELS4_3ELS4_3ELNS0_20block_scan_algorithmE0ELj4294967295EEENS1_25partition_config_selectorILNS1_17partition_subalgoE4EjNS0_10empty_typeEbEEZZNS1_14partition_implILS8_4ELb0ES6_15HIP_vector_typeIjLj2EENS0_17counting_iteratorIjlEEPS9_SG_NS0_5tupleIJPjSI_NS0_16reverse_iteratorISI_EEEEENSH_IJSG_SG_SG_EEES9_SI_JZNS1_25segmented_radix_sort_implINS0_14default_configELb0EPKiPiPKlPlN2at6native12_GLOBAL__N_18offset_tEEE10hipError_tPvRmT1_PNSt15iterator_traitsIS12_E10value_typeET2_T3_PNS13_IS18_E10value_typeET4_jRbjT5_S1E_jjP12ihipStream_tbEUljE_ZNSN_ISO_Lb0ESQ_SR_ST_SU_SY_EESZ_S10_S11_S12_S16_S17_S18_S1B_S1C_jS1D_jS1E_S1E_jjS1G_bEUljE0_EEESZ_S10_S11_S18_S1C_S1E_T6_T7_T9_mT8_S1G_bDpT10_ENKUlT_T0_E_clISt17integral_constantIbLb0EES1T_IbLb1EEEEDaS1P_S1Q_EUlS1P_E_NS1_11comp_targetILNS1_3genE4ELNS1_11target_archE910ELNS1_3gpuE8ELNS1_3repE0EEENS1_30default_config_static_selectorELNS0_4arch9wavefront6targetE0EEEvS12_
; %bb.0:
	.section	.rodata,"a",@progbits
	.p2align	6, 0x0
	.amdhsa_kernel _ZN7rocprim17ROCPRIM_400000_NS6detail17trampoline_kernelINS0_13select_configILj256ELj13ELNS0_17block_load_methodE3ELS4_3ELS4_3ELNS0_20block_scan_algorithmE0ELj4294967295EEENS1_25partition_config_selectorILNS1_17partition_subalgoE4EjNS0_10empty_typeEbEEZZNS1_14partition_implILS8_4ELb0ES6_15HIP_vector_typeIjLj2EENS0_17counting_iteratorIjlEEPS9_SG_NS0_5tupleIJPjSI_NS0_16reverse_iteratorISI_EEEEENSH_IJSG_SG_SG_EEES9_SI_JZNS1_25segmented_radix_sort_implINS0_14default_configELb0EPKiPiPKlPlN2at6native12_GLOBAL__N_18offset_tEEE10hipError_tPvRmT1_PNSt15iterator_traitsIS12_E10value_typeET2_T3_PNS13_IS18_E10value_typeET4_jRbjT5_S1E_jjP12ihipStream_tbEUljE_ZNSN_ISO_Lb0ESQ_SR_ST_SU_SY_EESZ_S10_S11_S12_S16_S17_S18_S1B_S1C_jS1D_jS1E_S1E_jjS1G_bEUljE0_EEESZ_S10_S11_S18_S1C_S1E_T6_T7_T9_mT8_S1G_bDpT10_ENKUlT_T0_E_clISt17integral_constantIbLb0EES1T_IbLb1EEEEDaS1P_S1Q_EUlS1P_E_NS1_11comp_targetILNS1_3genE4ELNS1_11target_archE910ELNS1_3gpuE8ELNS1_3repE0EEENS1_30default_config_static_selectorELNS0_4arch9wavefront6targetE0EEEvS12_
		.amdhsa_group_segment_fixed_size 0
		.amdhsa_private_segment_fixed_size 0
		.amdhsa_kernarg_size 184
		.amdhsa_user_sgpr_count 15
		.amdhsa_user_sgpr_dispatch_ptr 0
		.amdhsa_user_sgpr_queue_ptr 0
		.amdhsa_user_sgpr_kernarg_segment_ptr 1
		.amdhsa_user_sgpr_dispatch_id 0
		.amdhsa_user_sgpr_private_segment_size 0
		.amdhsa_wavefront_size32 1
		.amdhsa_uses_dynamic_stack 0
		.amdhsa_enable_private_segment 0
		.amdhsa_system_sgpr_workgroup_id_x 1
		.amdhsa_system_sgpr_workgroup_id_y 0
		.amdhsa_system_sgpr_workgroup_id_z 0
		.amdhsa_system_sgpr_workgroup_info 0
		.amdhsa_system_vgpr_workitem_id 0
		.amdhsa_next_free_vgpr 1
		.amdhsa_next_free_sgpr 1
		.amdhsa_reserve_vcc 0
		.amdhsa_float_round_mode_32 0
		.amdhsa_float_round_mode_16_64 0
		.amdhsa_float_denorm_mode_32 3
		.amdhsa_float_denorm_mode_16_64 3
		.amdhsa_dx10_clamp 1
		.amdhsa_ieee_mode 1
		.amdhsa_fp16_overflow 0
		.amdhsa_workgroup_processor_mode 1
		.amdhsa_memory_ordered 1
		.amdhsa_forward_progress 0
		.amdhsa_shared_vgpr_count 0
		.amdhsa_exception_fp_ieee_invalid_op 0
		.amdhsa_exception_fp_denorm_src 0
		.amdhsa_exception_fp_ieee_div_zero 0
		.amdhsa_exception_fp_ieee_overflow 0
		.amdhsa_exception_fp_ieee_underflow 0
		.amdhsa_exception_fp_ieee_inexact 0
		.amdhsa_exception_int_div_zero 0
	.end_amdhsa_kernel
	.section	.text._ZN7rocprim17ROCPRIM_400000_NS6detail17trampoline_kernelINS0_13select_configILj256ELj13ELNS0_17block_load_methodE3ELS4_3ELS4_3ELNS0_20block_scan_algorithmE0ELj4294967295EEENS1_25partition_config_selectorILNS1_17partition_subalgoE4EjNS0_10empty_typeEbEEZZNS1_14partition_implILS8_4ELb0ES6_15HIP_vector_typeIjLj2EENS0_17counting_iteratorIjlEEPS9_SG_NS0_5tupleIJPjSI_NS0_16reverse_iteratorISI_EEEEENSH_IJSG_SG_SG_EEES9_SI_JZNS1_25segmented_radix_sort_implINS0_14default_configELb0EPKiPiPKlPlN2at6native12_GLOBAL__N_18offset_tEEE10hipError_tPvRmT1_PNSt15iterator_traitsIS12_E10value_typeET2_T3_PNS13_IS18_E10value_typeET4_jRbjT5_S1E_jjP12ihipStream_tbEUljE_ZNSN_ISO_Lb0ESQ_SR_ST_SU_SY_EESZ_S10_S11_S12_S16_S17_S18_S1B_S1C_jS1D_jS1E_S1E_jjS1G_bEUljE0_EEESZ_S10_S11_S18_S1C_S1E_T6_T7_T9_mT8_S1G_bDpT10_ENKUlT_T0_E_clISt17integral_constantIbLb0EES1T_IbLb1EEEEDaS1P_S1Q_EUlS1P_E_NS1_11comp_targetILNS1_3genE4ELNS1_11target_archE910ELNS1_3gpuE8ELNS1_3repE0EEENS1_30default_config_static_selectorELNS0_4arch9wavefront6targetE0EEEvS12_,"axG",@progbits,_ZN7rocprim17ROCPRIM_400000_NS6detail17trampoline_kernelINS0_13select_configILj256ELj13ELNS0_17block_load_methodE3ELS4_3ELS4_3ELNS0_20block_scan_algorithmE0ELj4294967295EEENS1_25partition_config_selectorILNS1_17partition_subalgoE4EjNS0_10empty_typeEbEEZZNS1_14partition_implILS8_4ELb0ES6_15HIP_vector_typeIjLj2EENS0_17counting_iteratorIjlEEPS9_SG_NS0_5tupleIJPjSI_NS0_16reverse_iteratorISI_EEEEENSH_IJSG_SG_SG_EEES9_SI_JZNS1_25segmented_radix_sort_implINS0_14default_configELb0EPKiPiPKlPlN2at6native12_GLOBAL__N_18offset_tEEE10hipError_tPvRmT1_PNSt15iterator_traitsIS12_E10value_typeET2_T3_PNS13_IS18_E10value_typeET4_jRbjT5_S1E_jjP12ihipStream_tbEUljE_ZNSN_ISO_Lb0ESQ_SR_ST_SU_SY_EESZ_S10_S11_S12_S16_S17_S18_S1B_S1C_jS1D_jS1E_S1E_jjS1G_bEUljE0_EEESZ_S10_S11_S18_S1C_S1E_T6_T7_T9_mT8_S1G_bDpT10_ENKUlT_T0_E_clISt17integral_constantIbLb0EES1T_IbLb1EEEEDaS1P_S1Q_EUlS1P_E_NS1_11comp_targetILNS1_3genE4ELNS1_11target_archE910ELNS1_3gpuE8ELNS1_3repE0EEENS1_30default_config_static_selectorELNS0_4arch9wavefront6targetE0EEEvS12_,comdat
.Lfunc_end562:
	.size	_ZN7rocprim17ROCPRIM_400000_NS6detail17trampoline_kernelINS0_13select_configILj256ELj13ELNS0_17block_load_methodE3ELS4_3ELS4_3ELNS0_20block_scan_algorithmE0ELj4294967295EEENS1_25partition_config_selectorILNS1_17partition_subalgoE4EjNS0_10empty_typeEbEEZZNS1_14partition_implILS8_4ELb0ES6_15HIP_vector_typeIjLj2EENS0_17counting_iteratorIjlEEPS9_SG_NS0_5tupleIJPjSI_NS0_16reverse_iteratorISI_EEEEENSH_IJSG_SG_SG_EEES9_SI_JZNS1_25segmented_radix_sort_implINS0_14default_configELb0EPKiPiPKlPlN2at6native12_GLOBAL__N_18offset_tEEE10hipError_tPvRmT1_PNSt15iterator_traitsIS12_E10value_typeET2_T3_PNS13_IS18_E10value_typeET4_jRbjT5_S1E_jjP12ihipStream_tbEUljE_ZNSN_ISO_Lb0ESQ_SR_ST_SU_SY_EESZ_S10_S11_S12_S16_S17_S18_S1B_S1C_jS1D_jS1E_S1E_jjS1G_bEUljE0_EEESZ_S10_S11_S18_S1C_S1E_T6_T7_T9_mT8_S1G_bDpT10_ENKUlT_T0_E_clISt17integral_constantIbLb0EES1T_IbLb1EEEEDaS1P_S1Q_EUlS1P_E_NS1_11comp_targetILNS1_3genE4ELNS1_11target_archE910ELNS1_3gpuE8ELNS1_3repE0EEENS1_30default_config_static_selectorELNS0_4arch9wavefront6targetE0EEEvS12_, .Lfunc_end562-_ZN7rocprim17ROCPRIM_400000_NS6detail17trampoline_kernelINS0_13select_configILj256ELj13ELNS0_17block_load_methodE3ELS4_3ELS4_3ELNS0_20block_scan_algorithmE0ELj4294967295EEENS1_25partition_config_selectorILNS1_17partition_subalgoE4EjNS0_10empty_typeEbEEZZNS1_14partition_implILS8_4ELb0ES6_15HIP_vector_typeIjLj2EENS0_17counting_iteratorIjlEEPS9_SG_NS0_5tupleIJPjSI_NS0_16reverse_iteratorISI_EEEEENSH_IJSG_SG_SG_EEES9_SI_JZNS1_25segmented_radix_sort_implINS0_14default_configELb0EPKiPiPKlPlN2at6native12_GLOBAL__N_18offset_tEEE10hipError_tPvRmT1_PNSt15iterator_traitsIS12_E10value_typeET2_T3_PNS13_IS18_E10value_typeET4_jRbjT5_S1E_jjP12ihipStream_tbEUljE_ZNSN_ISO_Lb0ESQ_SR_ST_SU_SY_EESZ_S10_S11_S12_S16_S17_S18_S1B_S1C_jS1D_jS1E_S1E_jjS1G_bEUljE0_EEESZ_S10_S11_S18_S1C_S1E_T6_T7_T9_mT8_S1G_bDpT10_ENKUlT_T0_E_clISt17integral_constantIbLb0EES1T_IbLb1EEEEDaS1P_S1Q_EUlS1P_E_NS1_11comp_targetILNS1_3genE4ELNS1_11target_archE910ELNS1_3gpuE8ELNS1_3repE0EEENS1_30default_config_static_selectorELNS0_4arch9wavefront6targetE0EEEvS12_
                                        ; -- End function
	.section	.AMDGPU.csdata,"",@progbits
; Kernel info:
; codeLenInByte = 0
; NumSgprs: 0
; NumVgprs: 0
; ScratchSize: 0
; MemoryBound: 0
; FloatMode: 240
; IeeeMode: 1
; LDSByteSize: 0 bytes/workgroup (compile time only)
; SGPRBlocks: 0
; VGPRBlocks: 0
; NumSGPRsForWavesPerEU: 1
; NumVGPRsForWavesPerEU: 1
; Occupancy: 16
; WaveLimiterHint : 0
; COMPUTE_PGM_RSRC2:SCRATCH_EN: 0
; COMPUTE_PGM_RSRC2:USER_SGPR: 15
; COMPUTE_PGM_RSRC2:TRAP_HANDLER: 0
; COMPUTE_PGM_RSRC2:TGID_X_EN: 1
; COMPUTE_PGM_RSRC2:TGID_Y_EN: 0
; COMPUTE_PGM_RSRC2:TGID_Z_EN: 0
; COMPUTE_PGM_RSRC2:TIDIG_COMP_CNT: 0
	.section	.text._ZN7rocprim17ROCPRIM_400000_NS6detail17trampoline_kernelINS0_13select_configILj256ELj13ELNS0_17block_load_methodE3ELS4_3ELS4_3ELNS0_20block_scan_algorithmE0ELj4294967295EEENS1_25partition_config_selectorILNS1_17partition_subalgoE4EjNS0_10empty_typeEbEEZZNS1_14partition_implILS8_4ELb0ES6_15HIP_vector_typeIjLj2EENS0_17counting_iteratorIjlEEPS9_SG_NS0_5tupleIJPjSI_NS0_16reverse_iteratorISI_EEEEENSH_IJSG_SG_SG_EEES9_SI_JZNS1_25segmented_radix_sort_implINS0_14default_configELb0EPKiPiPKlPlN2at6native12_GLOBAL__N_18offset_tEEE10hipError_tPvRmT1_PNSt15iterator_traitsIS12_E10value_typeET2_T3_PNS13_IS18_E10value_typeET4_jRbjT5_S1E_jjP12ihipStream_tbEUljE_ZNSN_ISO_Lb0ESQ_SR_ST_SU_SY_EESZ_S10_S11_S12_S16_S17_S18_S1B_S1C_jS1D_jS1E_S1E_jjS1G_bEUljE0_EEESZ_S10_S11_S18_S1C_S1E_T6_T7_T9_mT8_S1G_bDpT10_ENKUlT_T0_E_clISt17integral_constantIbLb0EES1T_IbLb1EEEEDaS1P_S1Q_EUlS1P_E_NS1_11comp_targetILNS1_3genE3ELNS1_11target_archE908ELNS1_3gpuE7ELNS1_3repE0EEENS1_30default_config_static_selectorELNS0_4arch9wavefront6targetE0EEEvS12_,"axG",@progbits,_ZN7rocprim17ROCPRIM_400000_NS6detail17trampoline_kernelINS0_13select_configILj256ELj13ELNS0_17block_load_methodE3ELS4_3ELS4_3ELNS0_20block_scan_algorithmE0ELj4294967295EEENS1_25partition_config_selectorILNS1_17partition_subalgoE4EjNS0_10empty_typeEbEEZZNS1_14partition_implILS8_4ELb0ES6_15HIP_vector_typeIjLj2EENS0_17counting_iteratorIjlEEPS9_SG_NS0_5tupleIJPjSI_NS0_16reverse_iteratorISI_EEEEENSH_IJSG_SG_SG_EEES9_SI_JZNS1_25segmented_radix_sort_implINS0_14default_configELb0EPKiPiPKlPlN2at6native12_GLOBAL__N_18offset_tEEE10hipError_tPvRmT1_PNSt15iterator_traitsIS12_E10value_typeET2_T3_PNS13_IS18_E10value_typeET4_jRbjT5_S1E_jjP12ihipStream_tbEUljE_ZNSN_ISO_Lb0ESQ_SR_ST_SU_SY_EESZ_S10_S11_S12_S16_S17_S18_S1B_S1C_jS1D_jS1E_S1E_jjS1G_bEUljE0_EEESZ_S10_S11_S18_S1C_S1E_T6_T7_T9_mT8_S1G_bDpT10_ENKUlT_T0_E_clISt17integral_constantIbLb0EES1T_IbLb1EEEEDaS1P_S1Q_EUlS1P_E_NS1_11comp_targetILNS1_3genE3ELNS1_11target_archE908ELNS1_3gpuE7ELNS1_3repE0EEENS1_30default_config_static_selectorELNS0_4arch9wavefront6targetE0EEEvS12_,comdat
	.globl	_ZN7rocprim17ROCPRIM_400000_NS6detail17trampoline_kernelINS0_13select_configILj256ELj13ELNS0_17block_load_methodE3ELS4_3ELS4_3ELNS0_20block_scan_algorithmE0ELj4294967295EEENS1_25partition_config_selectorILNS1_17partition_subalgoE4EjNS0_10empty_typeEbEEZZNS1_14partition_implILS8_4ELb0ES6_15HIP_vector_typeIjLj2EENS0_17counting_iteratorIjlEEPS9_SG_NS0_5tupleIJPjSI_NS0_16reverse_iteratorISI_EEEEENSH_IJSG_SG_SG_EEES9_SI_JZNS1_25segmented_radix_sort_implINS0_14default_configELb0EPKiPiPKlPlN2at6native12_GLOBAL__N_18offset_tEEE10hipError_tPvRmT1_PNSt15iterator_traitsIS12_E10value_typeET2_T3_PNS13_IS18_E10value_typeET4_jRbjT5_S1E_jjP12ihipStream_tbEUljE_ZNSN_ISO_Lb0ESQ_SR_ST_SU_SY_EESZ_S10_S11_S12_S16_S17_S18_S1B_S1C_jS1D_jS1E_S1E_jjS1G_bEUljE0_EEESZ_S10_S11_S18_S1C_S1E_T6_T7_T9_mT8_S1G_bDpT10_ENKUlT_T0_E_clISt17integral_constantIbLb0EES1T_IbLb1EEEEDaS1P_S1Q_EUlS1P_E_NS1_11comp_targetILNS1_3genE3ELNS1_11target_archE908ELNS1_3gpuE7ELNS1_3repE0EEENS1_30default_config_static_selectorELNS0_4arch9wavefront6targetE0EEEvS12_ ; -- Begin function _ZN7rocprim17ROCPRIM_400000_NS6detail17trampoline_kernelINS0_13select_configILj256ELj13ELNS0_17block_load_methodE3ELS4_3ELS4_3ELNS0_20block_scan_algorithmE0ELj4294967295EEENS1_25partition_config_selectorILNS1_17partition_subalgoE4EjNS0_10empty_typeEbEEZZNS1_14partition_implILS8_4ELb0ES6_15HIP_vector_typeIjLj2EENS0_17counting_iteratorIjlEEPS9_SG_NS0_5tupleIJPjSI_NS0_16reverse_iteratorISI_EEEEENSH_IJSG_SG_SG_EEES9_SI_JZNS1_25segmented_radix_sort_implINS0_14default_configELb0EPKiPiPKlPlN2at6native12_GLOBAL__N_18offset_tEEE10hipError_tPvRmT1_PNSt15iterator_traitsIS12_E10value_typeET2_T3_PNS13_IS18_E10value_typeET4_jRbjT5_S1E_jjP12ihipStream_tbEUljE_ZNSN_ISO_Lb0ESQ_SR_ST_SU_SY_EESZ_S10_S11_S12_S16_S17_S18_S1B_S1C_jS1D_jS1E_S1E_jjS1G_bEUljE0_EEESZ_S10_S11_S18_S1C_S1E_T6_T7_T9_mT8_S1G_bDpT10_ENKUlT_T0_E_clISt17integral_constantIbLb0EES1T_IbLb1EEEEDaS1P_S1Q_EUlS1P_E_NS1_11comp_targetILNS1_3genE3ELNS1_11target_archE908ELNS1_3gpuE7ELNS1_3repE0EEENS1_30default_config_static_selectorELNS0_4arch9wavefront6targetE0EEEvS12_
	.p2align	8
	.type	_ZN7rocprim17ROCPRIM_400000_NS6detail17trampoline_kernelINS0_13select_configILj256ELj13ELNS0_17block_load_methodE3ELS4_3ELS4_3ELNS0_20block_scan_algorithmE0ELj4294967295EEENS1_25partition_config_selectorILNS1_17partition_subalgoE4EjNS0_10empty_typeEbEEZZNS1_14partition_implILS8_4ELb0ES6_15HIP_vector_typeIjLj2EENS0_17counting_iteratorIjlEEPS9_SG_NS0_5tupleIJPjSI_NS0_16reverse_iteratorISI_EEEEENSH_IJSG_SG_SG_EEES9_SI_JZNS1_25segmented_radix_sort_implINS0_14default_configELb0EPKiPiPKlPlN2at6native12_GLOBAL__N_18offset_tEEE10hipError_tPvRmT1_PNSt15iterator_traitsIS12_E10value_typeET2_T3_PNS13_IS18_E10value_typeET4_jRbjT5_S1E_jjP12ihipStream_tbEUljE_ZNSN_ISO_Lb0ESQ_SR_ST_SU_SY_EESZ_S10_S11_S12_S16_S17_S18_S1B_S1C_jS1D_jS1E_S1E_jjS1G_bEUljE0_EEESZ_S10_S11_S18_S1C_S1E_T6_T7_T9_mT8_S1G_bDpT10_ENKUlT_T0_E_clISt17integral_constantIbLb0EES1T_IbLb1EEEEDaS1P_S1Q_EUlS1P_E_NS1_11comp_targetILNS1_3genE3ELNS1_11target_archE908ELNS1_3gpuE7ELNS1_3repE0EEENS1_30default_config_static_selectorELNS0_4arch9wavefront6targetE0EEEvS12_,@function
_ZN7rocprim17ROCPRIM_400000_NS6detail17trampoline_kernelINS0_13select_configILj256ELj13ELNS0_17block_load_methodE3ELS4_3ELS4_3ELNS0_20block_scan_algorithmE0ELj4294967295EEENS1_25partition_config_selectorILNS1_17partition_subalgoE4EjNS0_10empty_typeEbEEZZNS1_14partition_implILS8_4ELb0ES6_15HIP_vector_typeIjLj2EENS0_17counting_iteratorIjlEEPS9_SG_NS0_5tupleIJPjSI_NS0_16reverse_iteratorISI_EEEEENSH_IJSG_SG_SG_EEES9_SI_JZNS1_25segmented_radix_sort_implINS0_14default_configELb0EPKiPiPKlPlN2at6native12_GLOBAL__N_18offset_tEEE10hipError_tPvRmT1_PNSt15iterator_traitsIS12_E10value_typeET2_T3_PNS13_IS18_E10value_typeET4_jRbjT5_S1E_jjP12ihipStream_tbEUljE_ZNSN_ISO_Lb0ESQ_SR_ST_SU_SY_EESZ_S10_S11_S12_S16_S17_S18_S1B_S1C_jS1D_jS1E_S1E_jjS1G_bEUljE0_EEESZ_S10_S11_S18_S1C_S1E_T6_T7_T9_mT8_S1G_bDpT10_ENKUlT_T0_E_clISt17integral_constantIbLb0EES1T_IbLb1EEEEDaS1P_S1Q_EUlS1P_E_NS1_11comp_targetILNS1_3genE3ELNS1_11target_archE908ELNS1_3gpuE7ELNS1_3repE0EEENS1_30default_config_static_selectorELNS0_4arch9wavefront6targetE0EEEvS12_: ; @_ZN7rocprim17ROCPRIM_400000_NS6detail17trampoline_kernelINS0_13select_configILj256ELj13ELNS0_17block_load_methodE3ELS4_3ELS4_3ELNS0_20block_scan_algorithmE0ELj4294967295EEENS1_25partition_config_selectorILNS1_17partition_subalgoE4EjNS0_10empty_typeEbEEZZNS1_14partition_implILS8_4ELb0ES6_15HIP_vector_typeIjLj2EENS0_17counting_iteratorIjlEEPS9_SG_NS0_5tupleIJPjSI_NS0_16reverse_iteratorISI_EEEEENSH_IJSG_SG_SG_EEES9_SI_JZNS1_25segmented_radix_sort_implINS0_14default_configELb0EPKiPiPKlPlN2at6native12_GLOBAL__N_18offset_tEEE10hipError_tPvRmT1_PNSt15iterator_traitsIS12_E10value_typeET2_T3_PNS13_IS18_E10value_typeET4_jRbjT5_S1E_jjP12ihipStream_tbEUljE_ZNSN_ISO_Lb0ESQ_SR_ST_SU_SY_EESZ_S10_S11_S12_S16_S17_S18_S1B_S1C_jS1D_jS1E_S1E_jjS1G_bEUljE0_EEESZ_S10_S11_S18_S1C_S1E_T6_T7_T9_mT8_S1G_bDpT10_ENKUlT_T0_E_clISt17integral_constantIbLb0EES1T_IbLb1EEEEDaS1P_S1Q_EUlS1P_E_NS1_11comp_targetILNS1_3genE3ELNS1_11target_archE908ELNS1_3gpuE7ELNS1_3repE0EEENS1_30default_config_static_selectorELNS0_4arch9wavefront6targetE0EEEvS12_
; %bb.0:
	.section	.rodata,"a",@progbits
	.p2align	6, 0x0
	.amdhsa_kernel _ZN7rocprim17ROCPRIM_400000_NS6detail17trampoline_kernelINS0_13select_configILj256ELj13ELNS0_17block_load_methodE3ELS4_3ELS4_3ELNS0_20block_scan_algorithmE0ELj4294967295EEENS1_25partition_config_selectorILNS1_17partition_subalgoE4EjNS0_10empty_typeEbEEZZNS1_14partition_implILS8_4ELb0ES6_15HIP_vector_typeIjLj2EENS0_17counting_iteratorIjlEEPS9_SG_NS0_5tupleIJPjSI_NS0_16reverse_iteratorISI_EEEEENSH_IJSG_SG_SG_EEES9_SI_JZNS1_25segmented_radix_sort_implINS0_14default_configELb0EPKiPiPKlPlN2at6native12_GLOBAL__N_18offset_tEEE10hipError_tPvRmT1_PNSt15iterator_traitsIS12_E10value_typeET2_T3_PNS13_IS18_E10value_typeET4_jRbjT5_S1E_jjP12ihipStream_tbEUljE_ZNSN_ISO_Lb0ESQ_SR_ST_SU_SY_EESZ_S10_S11_S12_S16_S17_S18_S1B_S1C_jS1D_jS1E_S1E_jjS1G_bEUljE0_EEESZ_S10_S11_S18_S1C_S1E_T6_T7_T9_mT8_S1G_bDpT10_ENKUlT_T0_E_clISt17integral_constantIbLb0EES1T_IbLb1EEEEDaS1P_S1Q_EUlS1P_E_NS1_11comp_targetILNS1_3genE3ELNS1_11target_archE908ELNS1_3gpuE7ELNS1_3repE0EEENS1_30default_config_static_selectorELNS0_4arch9wavefront6targetE0EEEvS12_
		.amdhsa_group_segment_fixed_size 0
		.amdhsa_private_segment_fixed_size 0
		.amdhsa_kernarg_size 184
		.amdhsa_user_sgpr_count 15
		.amdhsa_user_sgpr_dispatch_ptr 0
		.amdhsa_user_sgpr_queue_ptr 0
		.amdhsa_user_sgpr_kernarg_segment_ptr 1
		.amdhsa_user_sgpr_dispatch_id 0
		.amdhsa_user_sgpr_private_segment_size 0
		.amdhsa_wavefront_size32 1
		.amdhsa_uses_dynamic_stack 0
		.amdhsa_enable_private_segment 0
		.amdhsa_system_sgpr_workgroup_id_x 1
		.amdhsa_system_sgpr_workgroup_id_y 0
		.amdhsa_system_sgpr_workgroup_id_z 0
		.amdhsa_system_sgpr_workgroup_info 0
		.amdhsa_system_vgpr_workitem_id 0
		.amdhsa_next_free_vgpr 1
		.amdhsa_next_free_sgpr 1
		.amdhsa_reserve_vcc 0
		.amdhsa_float_round_mode_32 0
		.amdhsa_float_round_mode_16_64 0
		.amdhsa_float_denorm_mode_32 3
		.amdhsa_float_denorm_mode_16_64 3
		.amdhsa_dx10_clamp 1
		.amdhsa_ieee_mode 1
		.amdhsa_fp16_overflow 0
		.amdhsa_workgroup_processor_mode 1
		.amdhsa_memory_ordered 1
		.amdhsa_forward_progress 0
		.amdhsa_shared_vgpr_count 0
		.amdhsa_exception_fp_ieee_invalid_op 0
		.amdhsa_exception_fp_denorm_src 0
		.amdhsa_exception_fp_ieee_div_zero 0
		.amdhsa_exception_fp_ieee_overflow 0
		.amdhsa_exception_fp_ieee_underflow 0
		.amdhsa_exception_fp_ieee_inexact 0
		.amdhsa_exception_int_div_zero 0
	.end_amdhsa_kernel
	.section	.text._ZN7rocprim17ROCPRIM_400000_NS6detail17trampoline_kernelINS0_13select_configILj256ELj13ELNS0_17block_load_methodE3ELS4_3ELS4_3ELNS0_20block_scan_algorithmE0ELj4294967295EEENS1_25partition_config_selectorILNS1_17partition_subalgoE4EjNS0_10empty_typeEbEEZZNS1_14partition_implILS8_4ELb0ES6_15HIP_vector_typeIjLj2EENS0_17counting_iteratorIjlEEPS9_SG_NS0_5tupleIJPjSI_NS0_16reverse_iteratorISI_EEEEENSH_IJSG_SG_SG_EEES9_SI_JZNS1_25segmented_radix_sort_implINS0_14default_configELb0EPKiPiPKlPlN2at6native12_GLOBAL__N_18offset_tEEE10hipError_tPvRmT1_PNSt15iterator_traitsIS12_E10value_typeET2_T3_PNS13_IS18_E10value_typeET4_jRbjT5_S1E_jjP12ihipStream_tbEUljE_ZNSN_ISO_Lb0ESQ_SR_ST_SU_SY_EESZ_S10_S11_S12_S16_S17_S18_S1B_S1C_jS1D_jS1E_S1E_jjS1G_bEUljE0_EEESZ_S10_S11_S18_S1C_S1E_T6_T7_T9_mT8_S1G_bDpT10_ENKUlT_T0_E_clISt17integral_constantIbLb0EES1T_IbLb1EEEEDaS1P_S1Q_EUlS1P_E_NS1_11comp_targetILNS1_3genE3ELNS1_11target_archE908ELNS1_3gpuE7ELNS1_3repE0EEENS1_30default_config_static_selectorELNS0_4arch9wavefront6targetE0EEEvS12_,"axG",@progbits,_ZN7rocprim17ROCPRIM_400000_NS6detail17trampoline_kernelINS0_13select_configILj256ELj13ELNS0_17block_load_methodE3ELS4_3ELS4_3ELNS0_20block_scan_algorithmE0ELj4294967295EEENS1_25partition_config_selectorILNS1_17partition_subalgoE4EjNS0_10empty_typeEbEEZZNS1_14partition_implILS8_4ELb0ES6_15HIP_vector_typeIjLj2EENS0_17counting_iteratorIjlEEPS9_SG_NS0_5tupleIJPjSI_NS0_16reverse_iteratorISI_EEEEENSH_IJSG_SG_SG_EEES9_SI_JZNS1_25segmented_radix_sort_implINS0_14default_configELb0EPKiPiPKlPlN2at6native12_GLOBAL__N_18offset_tEEE10hipError_tPvRmT1_PNSt15iterator_traitsIS12_E10value_typeET2_T3_PNS13_IS18_E10value_typeET4_jRbjT5_S1E_jjP12ihipStream_tbEUljE_ZNSN_ISO_Lb0ESQ_SR_ST_SU_SY_EESZ_S10_S11_S12_S16_S17_S18_S1B_S1C_jS1D_jS1E_S1E_jjS1G_bEUljE0_EEESZ_S10_S11_S18_S1C_S1E_T6_T7_T9_mT8_S1G_bDpT10_ENKUlT_T0_E_clISt17integral_constantIbLb0EES1T_IbLb1EEEEDaS1P_S1Q_EUlS1P_E_NS1_11comp_targetILNS1_3genE3ELNS1_11target_archE908ELNS1_3gpuE7ELNS1_3repE0EEENS1_30default_config_static_selectorELNS0_4arch9wavefront6targetE0EEEvS12_,comdat
.Lfunc_end563:
	.size	_ZN7rocprim17ROCPRIM_400000_NS6detail17trampoline_kernelINS0_13select_configILj256ELj13ELNS0_17block_load_methodE3ELS4_3ELS4_3ELNS0_20block_scan_algorithmE0ELj4294967295EEENS1_25partition_config_selectorILNS1_17partition_subalgoE4EjNS0_10empty_typeEbEEZZNS1_14partition_implILS8_4ELb0ES6_15HIP_vector_typeIjLj2EENS0_17counting_iteratorIjlEEPS9_SG_NS0_5tupleIJPjSI_NS0_16reverse_iteratorISI_EEEEENSH_IJSG_SG_SG_EEES9_SI_JZNS1_25segmented_radix_sort_implINS0_14default_configELb0EPKiPiPKlPlN2at6native12_GLOBAL__N_18offset_tEEE10hipError_tPvRmT1_PNSt15iterator_traitsIS12_E10value_typeET2_T3_PNS13_IS18_E10value_typeET4_jRbjT5_S1E_jjP12ihipStream_tbEUljE_ZNSN_ISO_Lb0ESQ_SR_ST_SU_SY_EESZ_S10_S11_S12_S16_S17_S18_S1B_S1C_jS1D_jS1E_S1E_jjS1G_bEUljE0_EEESZ_S10_S11_S18_S1C_S1E_T6_T7_T9_mT8_S1G_bDpT10_ENKUlT_T0_E_clISt17integral_constantIbLb0EES1T_IbLb1EEEEDaS1P_S1Q_EUlS1P_E_NS1_11comp_targetILNS1_3genE3ELNS1_11target_archE908ELNS1_3gpuE7ELNS1_3repE0EEENS1_30default_config_static_selectorELNS0_4arch9wavefront6targetE0EEEvS12_, .Lfunc_end563-_ZN7rocprim17ROCPRIM_400000_NS6detail17trampoline_kernelINS0_13select_configILj256ELj13ELNS0_17block_load_methodE3ELS4_3ELS4_3ELNS0_20block_scan_algorithmE0ELj4294967295EEENS1_25partition_config_selectorILNS1_17partition_subalgoE4EjNS0_10empty_typeEbEEZZNS1_14partition_implILS8_4ELb0ES6_15HIP_vector_typeIjLj2EENS0_17counting_iteratorIjlEEPS9_SG_NS0_5tupleIJPjSI_NS0_16reverse_iteratorISI_EEEEENSH_IJSG_SG_SG_EEES9_SI_JZNS1_25segmented_radix_sort_implINS0_14default_configELb0EPKiPiPKlPlN2at6native12_GLOBAL__N_18offset_tEEE10hipError_tPvRmT1_PNSt15iterator_traitsIS12_E10value_typeET2_T3_PNS13_IS18_E10value_typeET4_jRbjT5_S1E_jjP12ihipStream_tbEUljE_ZNSN_ISO_Lb0ESQ_SR_ST_SU_SY_EESZ_S10_S11_S12_S16_S17_S18_S1B_S1C_jS1D_jS1E_S1E_jjS1G_bEUljE0_EEESZ_S10_S11_S18_S1C_S1E_T6_T7_T9_mT8_S1G_bDpT10_ENKUlT_T0_E_clISt17integral_constantIbLb0EES1T_IbLb1EEEEDaS1P_S1Q_EUlS1P_E_NS1_11comp_targetILNS1_3genE3ELNS1_11target_archE908ELNS1_3gpuE7ELNS1_3repE0EEENS1_30default_config_static_selectorELNS0_4arch9wavefront6targetE0EEEvS12_
                                        ; -- End function
	.section	.AMDGPU.csdata,"",@progbits
; Kernel info:
; codeLenInByte = 0
; NumSgprs: 0
; NumVgprs: 0
; ScratchSize: 0
; MemoryBound: 0
; FloatMode: 240
; IeeeMode: 1
; LDSByteSize: 0 bytes/workgroup (compile time only)
; SGPRBlocks: 0
; VGPRBlocks: 0
; NumSGPRsForWavesPerEU: 1
; NumVGPRsForWavesPerEU: 1
; Occupancy: 16
; WaveLimiterHint : 0
; COMPUTE_PGM_RSRC2:SCRATCH_EN: 0
; COMPUTE_PGM_RSRC2:USER_SGPR: 15
; COMPUTE_PGM_RSRC2:TRAP_HANDLER: 0
; COMPUTE_PGM_RSRC2:TGID_X_EN: 1
; COMPUTE_PGM_RSRC2:TGID_Y_EN: 0
; COMPUTE_PGM_RSRC2:TGID_Z_EN: 0
; COMPUTE_PGM_RSRC2:TIDIG_COMP_CNT: 0
	.section	.text._ZN7rocprim17ROCPRIM_400000_NS6detail17trampoline_kernelINS0_13select_configILj256ELj13ELNS0_17block_load_methodE3ELS4_3ELS4_3ELNS0_20block_scan_algorithmE0ELj4294967295EEENS1_25partition_config_selectorILNS1_17partition_subalgoE4EjNS0_10empty_typeEbEEZZNS1_14partition_implILS8_4ELb0ES6_15HIP_vector_typeIjLj2EENS0_17counting_iteratorIjlEEPS9_SG_NS0_5tupleIJPjSI_NS0_16reverse_iteratorISI_EEEEENSH_IJSG_SG_SG_EEES9_SI_JZNS1_25segmented_radix_sort_implINS0_14default_configELb0EPKiPiPKlPlN2at6native12_GLOBAL__N_18offset_tEEE10hipError_tPvRmT1_PNSt15iterator_traitsIS12_E10value_typeET2_T3_PNS13_IS18_E10value_typeET4_jRbjT5_S1E_jjP12ihipStream_tbEUljE_ZNSN_ISO_Lb0ESQ_SR_ST_SU_SY_EESZ_S10_S11_S12_S16_S17_S18_S1B_S1C_jS1D_jS1E_S1E_jjS1G_bEUljE0_EEESZ_S10_S11_S18_S1C_S1E_T6_T7_T9_mT8_S1G_bDpT10_ENKUlT_T0_E_clISt17integral_constantIbLb0EES1T_IbLb1EEEEDaS1P_S1Q_EUlS1P_E_NS1_11comp_targetILNS1_3genE2ELNS1_11target_archE906ELNS1_3gpuE6ELNS1_3repE0EEENS1_30default_config_static_selectorELNS0_4arch9wavefront6targetE0EEEvS12_,"axG",@progbits,_ZN7rocprim17ROCPRIM_400000_NS6detail17trampoline_kernelINS0_13select_configILj256ELj13ELNS0_17block_load_methodE3ELS4_3ELS4_3ELNS0_20block_scan_algorithmE0ELj4294967295EEENS1_25partition_config_selectorILNS1_17partition_subalgoE4EjNS0_10empty_typeEbEEZZNS1_14partition_implILS8_4ELb0ES6_15HIP_vector_typeIjLj2EENS0_17counting_iteratorIjlEEPS9_SG_NS0_5tupleIJPjSI_NS0_16reverse_iteratorISI_EEEEENSH_IJSG_SG_SG_EEES9_SI_JZNS1_25segmented_radix_sort_implINS0_14default_configELb0EPKiPiPKlPlN2at6native12_GLOBAL__N_18offset_tEEE10hipError_tPvRmT1_PNSt15iterator_traitsIS12_E10value_typeET2_T3_PNS13_IS18_E10value_typeET4_jRbjT5_S1E_jjP12ihipStream_tbEUljE_ZNSN_ISO_Lb0ESQ_SR_ST_SU_SY_EESZ_S10_S11_S12_S16_S17_S18_S1B_S1C_jS1D_jS1E_S1E_jjS1G_bEUljE0_EEESZ_S10_S11_S18_S1C_S1E_T6_T7_T9_mT8_S1G_bDpT10_ENKUlT_T0_E_clISt17integral_constantIbLb0EES1T_IbLb1EEEEDaS1P_S1Q_EUlS1P_E_NS1_11comp_targetILNS1_3genE2ELNS1_11target_archE906ELNS1_3gpuE6ELNS1_3repE0EEENS1_30default_config_static_selectorELNS0_4arch9wavefront6targetE0EEEvS12_,comdat
	.globl	_ZN7rocprim17ROCPRIM_400000_NS6detail17trampoline_kernelINS0_13select_configILj256ELj13ELNS0_17block_load_methodE3ELS4_3ELS4_3ELNS0_20block_scan_algorithmE0ELj4294967295EEENS1_25partition_config_selectorILNS1_17partition_subalgoE4EjNS0_10empty_typeEbEEZZNS1_14partition_implILS8_4ELb0ES6_15HIP_vector_typeIjLj2EENS0_17counting_iteratorIjlEEPS9_SG_NS0_5tupleIJPjSI_NS0_16reverse_iteratorISI_EEEEENSH_IJSG_SG_SG_EEES9_SI_JZNS1_25segmented_radix_sort_implINS0_14default_configELb0EPKiPiPKlPlN2at6native12_GLOBAL__N_18offset_tEEE10hipError_tPvRmT1_PNSt15iterator_traitsIS12_E10value_typeET2_T3_PNS13_IS18_E10value_typeET4_jRbjT5_S1E_jjP12ihipStream_tbEUljE_ZNSN_ISO_Lb0ESQ_SR_ST_SU_SY_EESZ_S10_S11_S12_S16_S17_S18_S1B_S1C_jS1D_jS1E_S1E_jjS1G_bEUljE0_EEESZ_S10_S11_S18_S1C_S1E_T6_T7_T9_mT8_S1G_bDpT10_ENKUlT_T0_E_clISt17integral_constantIbLb0EES1T_IbLb1EEEEDaS1P_S1Q_EUlS1P_E_NS1_11comp_targetILNS1_3genE2ELNS1_11target_archE906ELNS1_3gpuE6ELNS1_3repE0EEENS1_30default_config_static_selectorELNS0_4arch9wavefront6targetE0EEEvS12_ ; -- Begin function _ZN7rocprim17ROCPRIM_400000_NS6detail17trampoline_kernelINS0_13select_configILj256ELj13ELNS0_17block_load_methodE3ELS4_3ELS4_3ELNS0_20block_scan_algorithmE0ELj4294967295EEENS1_25partition_config_selectorILNS1_17partition_subalgoE4EjNS0_10empty_typeEbEEZZNS1_14partition_implILS8_4ELb0ES6_15HIP_vector_typeIjLj2EENS0_17counting_iteratorIjlEEPS9_SG_NS0_5tupleIJPjSI_NS0_16reverse_iteratorISI_EEEEENSH_IJSG_SG_SG_EEES9_SI_JZNS1_25segmented_radix_sort_implINS0_14default_configELb0EPKiPiPKlPlN2at6native12_GLOBAL__N_18offset_tEEE10hipError_tPvRmT1_PNSt15iterator_traitsIS12_E10value_typeET2_T3_PNS13_IS18_E10value_typeET4_jRbjT5_S1E_jjP12ihipStream_tbEUljE_ZNSN_ISO_Lb0ESQ_SR_ST_SU_SY_EESZ_S10_S11_S12_S16_S17_S18_S1B_S1C_jS1D_jS1E_S1E_jjS1G_bEUljE0_EEESZ_S10_S11_S18_S1C_S1E_T6_T7_T9_mT8_S1G_bDpT10_ENKUlT_T0_E_clISt17integral_constantIbLb0EES1T_IbLb1EEEEDaS1P_S1Q_EUlS1P_E_NS1_11comp_targetILNS1_3genE2ELNS1_11target_archE906ELNS1_3gpuE6ELNS1_3repE0EEENS1_30default_config_static_selectorELNS0_4arch9wavefront6targetE0EEEvS12_
	.p2align	8
	.type	_ZN7rocprim17ROCPRIM_400000_NS6detail17trampoline_kernelINS0_13select_configILj256ELj13ELNS0_17block_load_methodE3ELS4_3ELS4_3ELNS0_20block_scan_algorithmE0ELj4294967295EEENS1_25partition_config_selectorILNS1_17partition_subalgoE4EjNS0_10empty_typeEbEEZZNS1_14partition_implILS8_4ELb0ES6_15HIP_vector_typeIjLj2EENS0_17counting_iteratorIjlEEPS9_SG_NS0_5tupleIJPjSI_NS0_16reverse_iteratorISI_EEEEENSH_IJSG_SG_SG_EEES9_SI_JZNS1_25segmented_radix_sort_implINS0_14default_configELb0EPKiPiPKlPlN2at6native12_GLOBAL__N_18offset_tEEE10hipError_tPvRmT1_PNSt15iterator_traitsIS12_E10value_typeET2_T3_PNS13_IS18_E10value_typeET4_jRbjT5_S1E_jjP12ihipStream_tbEUljE_ZNSN_ISO_Lb0ESQ_SR_ST_SU_SY_EESZ_S10_S11_S12_S16_S17_S18_S1B_S1C_jS1D_jS1E_S1E_jjS1G_bEUljE0_EEESZ_S10_S11_S18_S1C_S1E_T6_T7_T9_mT8_S1G_bDpT10_ENKUlT_T0_E_clISt17integral_constantIbLb0EES1T_IbLb1EEEEDaS1P_S1Q_EUlS1P_E_NS1_11comp_targetILNS1_3genE2ELNS1_11target_archE906ELNS1_3gpuE6ELNS1_3repE0EEENS1_30default_config_static_selectorELNS0_4arch9wavefront6targetE0EEEvS12_,@function
_ZN7rocprim17ROCPRIM_400000_NS6detail17trampoline_kernelINS0_13select_configILj256ELj13ELNS0_17block_load_methodE3ELS4_3ELS4_3ELNS0_20block_scan_algorithmE0ELj4294967295EEENS1_25partition_config_selectorILNS1_17partition_subalgoE4EjNS0_10empty_typeEbEEZZNS1_14partition_implILS8_4ELb0ES6_15HIP_vector_typeIjLj2EENS0_17counting_iteratorIjlEEPS9_SG_NS0_5tupleIJPjSI_NS0_16reverse_iteratorISI_EEEEENSH_IJSG_SG_SG_EEES9_SI_JZNS1_25segmented_radix_sort_implINS0_14default_configELb0EPKiPiPKlPlN2at6native12_GLOBAL__N_18offset_tEEE10hipError_tPvRmT1_PNSt15iterator_traitsIS12_E10value_typeET2_T3_PNS13_IS18_E10value_typeET4_jRbjT5_S1E_jjP12ihipStream_tbEUljE_ZNSN_ISO_Lb0ESQ_SR_ST_SU_SY_EESZ_S10_S11_S12_S16_S17_S18_S1B_S1C_jS1D_jS1E_S1E_jjS1G_bEUljE0_EEESZ_S10_S11_S18_S1C_S1E_T6_T7_T9_mT8_S1G_bDpT10_ENKUlT_T0_E_clISt17integral_constantIbLb0EES1T_IbLb1EEEEDaS1P_S1Q_EUlS1P_E_NS1_11comp_targetILNS1_3genE2ELNS1_11target_archE906ELNS1_3gpuE6ELNS1_3repE0EEENS1_30default_config_static_selectorELNS0_4arch9wavefront6targetE0EEEvS12_: ; @_ZN7rocprim17ROCPRIM_400000_NS6detail17trampoline_kernelINS0_13select_configILj256ELj13ELNS0_17block_load_methodE3ELS4_3ELS4_3ELNS0_20block_scan_algorithmE0ELj4294967295EEENS1_25partition_config_selectorILNS1_17partition_subalgoE4EjNS0_10empty_typeEbEEZZNS1_14partition_implILS8_4ELb0ES6_15HIP_vector_typeIjLj2EENS0_17counting_iteratorIjlEEPS9_SG_NS0_5tupleIJPjSI_NS0_16reverse_iteratorISI_EEEEENSH_IJSG_SG_SG_EEES9_SI_JZNS1_25segmented_radix_sort_implINS0_14default_configELb0EPKiPiPKlPlN2at6native12_GLOBAL__N_18offset_tEEE10hipError_tPvRmT1_PNSt15iterator_traitsIS12_E10value_typeET2_T3_PNS13_IS18_E10value_typeET4_jRbjT5_S1E_jjP12ihipStream_tbEUljE_ZNSN_ISO_Lb0ESQ_SR_ST_SU_SY_EESZ_S10_S11_S12_S16_S17_S18_S1B_S1C_jS1D_jS1E_S1E_jjS1G_bEUljE0_EEESZ_S10_S11_S18_S1C_S1E_T6_T7_T9_mT8_S1G_bDpT10_ENKUlT_T0_E_clISt17integral_constantIbLb0EES1T_IbLb1EEEEDaS1P_S1Q_EUlS1P_E_NS1_11comp_targetILNS1_3genE2ELNS1_11target_archE906ELNS1_3gpuE6ELNS1_3repE0EEENS1_30default_config_static_selectorELNS0_4arch9wavefront6targetE0EEEvS12_
; %bb.0:
	.section	.rodata,"a",@progbits
	.p2align	6, 0x0
	.amdhsa_kernel _ZN7rocprim17ROCPRIM_400000_NS6detail17trampoline_kernelINS0_13select_configILj256ELj13ELNS0_17block_load_methodE3ELS4_3ELS4_3ELNS0_20block_scan_algorithmE0ELj4294967295EEENS1_25partition_config_selectorILNS1_17partition_subalgoE4EjNS0_10empty_typeEbEEZZNS1_14partition_implILS8_4ELb0ES6_15HIP_vector_typeIjLj2EENS0_17counting_iteratorIjlEEPS9_SG_NS0_5tupleIJPjSI_NS0_16reverse_iteratorISI_EEEEENSH_IJSG_SG_SG_EEES9_SI_JZNS1_25segmented_radix_sort_implINS0_14default_configELb0EPKiPiPKlPlN2at6native12_GLOBAL__N_18offset_tEEE10hipError_tPvRmT1_PNSt15iterator_traitsIS12_E10value_typeET2_T3_PNS13_IS18_E10value_typeET4_jRbjT5_S1E_jjP12ihipStream_tbEUljE_ZNSN_ISO_Lb0ESQ_SR_ST_SU_SY_EESZ_S10_S11_S12_S16_S17_S18_S1B_S1C_jS1D_jS1E_S1E_jjS1G_bEUljE0_EEESZ_S10_S11_S18_S1C_S1E_T6_T7_T9_mT8_S1G_bDpT10_ENKUlT_T0_E_clISt17integral_constantIbLb0EES1T_IbLb1EEEEDaS1P_S1Q_EUlS1P_E_NS1_11comp_targetILNS1_3genE2ELNS1_11target_archE906ELNS1_3gpuE6ELNS1_3repE0EEENS1_30default_config_static_selectorELNS0_4arch9wavefront6targetE0EEEvS12_
		.amdhsa_group_segment_fixed_size 0
		.amdhsa_private_segment_fixed_size 0
		.amdhsa_kernarg_size 184
		.amdhsa_user_sgpr_count 15
		.amdhsa_user_sgpr_dispatch_ptr 0
		.amdhsa_user_sgpr_queue_ptr 0
		.amdhsa_user_sgpr_kernarg_segment_ptr 1
		.amdhsa_user_sgpr_dispatch_id 0
		.amdhsa_user_sgpr_private_segment_size 0
		.amdhsa_wavefront_size32 1
		.amdhsa_uses_dynamic_stack 0
		.amdhsa_enable_private_segment 0
		.amdhsa_system_sgpr_workgroup_id_x 1
		.amdhsa_system_sgpr_workgroup_id_y 0
		.amdhsa_system_sgpr_workgroup_id_z 0
		.amdhsa_system_sgpr_workgroup_info 0
		.amdhsa_system_vgpr_workitem_id 0
		.amdhsa_next_free_vgpr 1
		.amdhsa_next_free_sgpr 1
		.amdhsa_reserve_vcc 0
		.amdhsa_float_round_mode_32 0
		.amdhsa_float_round_mode_16_64 0
		.amdhsa_float_denorm_mode_32 3
		.amdhsa_float_denorm_mode_16_64 3
		.amdhsa_dx10_clamp 1
		.amdhsa_ieee_mode 1
		.amdhsa_fp16_overflow 0
		.amdhsa_workgroup_processor_mode 1
		.amdhsa_memory_ordered 1
		.amdhsa_forward_progress 0
		.amdhsa_shared_vgpr_count 0
		.amdhsa_exception_fp_ieee_invalid_op 0
		.amdhsa_exception_fp_denorm_src 0
		.amdhsa_exception_fp_ieee_div_zero 0
		.amdhsa_exception_fp_ieee_overflow 0
		.amdhsa_exception_fp_ieee_underflow 0
		.amdhsa_exception_fp_ieee_inexact 0
		.amdhsa_exception_int_div_zero 0
	.end_amdhsa_kernel
	.section	.text._ZN7rocprim17ROCPRIM_400000_NS6detail17trampoline_kernelINS0_13select_configILj256ELj13ELNS0_17block_load_methodE3ELS4_3ELS4_3ELNS0_20block_scan_algorithmE0ELj4294967295EEENS1_25partition_config_selectorILNS1_17partition_subalgoE4EjNS0_10empty_typeEbEEZZNS1_14partition_implILS8_4ELb0ES6_15HIP_vector_typeIjLj2EENS0_17counting_iteratorIjlEEPS9_SG_NS0_5tupleIJPjSI_NS0_16reverse_iteratorISI_EEEEENSH_IJSG_SG_SG_EEES9_SI_JZNS1_25segmented_radix_sort_implINS0_14default_configELb0EPKiPiPKlPlN2at6native12_GLOBAL__N_18offset_tEEE10hipError_tPvRmT1_PNSt15iterator_traitsIS12_E10value_typeET2_T3_PNS13_IS18_E10value_typeET4_jRbjT5_S1E_jjP12ihipStream_tbEUljE_ZNSN_ISO_Lb0ESQ_SR_ST_SU_SY_EESZ_S10_S11_S12_S16_S17_S18_S1B_S1C_jS1D_jS1E_S1E_jjS1G_bEUljE0_EEESZ_S10_S11_S18_S1C_S1E_T6_T7_T9_mT8_S1G_bDpT10_ENKUlT_T0_E_clISt17integral_constantIbLb0EES1T_IbLb1EEEEDaS1P_S1Q_EUlS1P_E_NS1_11comp_targetILNS1_3genE2ELNS1_11target_archE906ELNS1_3gpuE6ELNS1_3repE0EEENS1_30default_config_static_selectorELNS0_4arch9wavefront6targetE0EEEvS12_,"axG",@progbits,_ZN7rocprim17ROCPRIM_400000_NS6detail17trampoline_kernelINS0_13select_configILj256ELj13ELNS0_17block_load_methodE3ELS4_3ELS4_3ELNS0_20block_scan_algorithmE0ELj4294967295EEENS1_25partition_config_selectorILNS1_17partition_subalgoE4EjNS0_10empty_typeEbEEZZNS1_14partition_implILS8_4ELb0ES6_15HIP_vector_typeIjLj2EENS0_17counting_iteratorIjlEEPS9_SG_NS0_5tupleIJPjSI_NS0_16reverse_iteratorISI_EEEEENSH_IJSG_SG_SG_EEES9_SI_JZNS1_25segmented_radix_sort_implINS0_14default_configELb0EPKiPiPKlPlN2at6native12_GLOBAL__N_18offset_tEEE10hipError_tPvRmT1_PNSt15iterator_traitsIS12_E10value_typeET2_T3_PNS13_IS18_E10value_typeET4_jRbjT5_S1E_jjP12ihipStream_tbEUljE_ZNSN_ISO_Lb0ESQ_SR_ST_SU_SY_EESZ_S10_S11_S12_S16_S17_S18_S1B_S1C_jS1D_jS1E_S1E_jjS1G_bEUljE0_EEESZ_S10_S11_S18_S1C_S1E_T6_T7_T9_mT8_S1G_bDpT10_ENKUlT_T0_E_clISt17integral_constantIbLb0EES1T_IbLb1EEEEDaS1P_S1Q_EUlS1P_E_NS1_11comp_targetILNS1_3genE2ELNS1_11target_archE906ELNS1_3gpuE6ELNS1_3repE0EEENS1_30default_config_static_selectorELNS0_4arch9wavefront6targetE0EEEvS12_,comdat
.Lfunc_end564:
	.size	_ZN7rocprim17ROCPRIM_400000_NS6detail17trampoline_kernelINS0_13select_configILj256ELj13ELNS0_17block_load_methodE3ELS4_3ELS4_3ELNS0_20block_scan_algorithmE0ELj4294967295EEENS1_25partition_config_selectorILNS1_17partition_subalgoE4EjNS0_10empty_typeEbEEZZNS1_14partition_implILS8_4ELb0ES6_15HIP_vector_typeIjLj2EENS0_17counting_iteratorIjlEEPS9_SG_NS0_5tupleIJPjSI_NS0_16reverse_iteratorISI_EEEEENSH_IJSG_SG_SG_EEES9_SI_JZNS1_25segmented_radix_sort_implINS0_14default_configELb0EPKiPiPKlPlN2at6native12_GLOBAL__N_18offset_tEEE10hipError_tPvRmT1_PNSt15iterator_traitsIS12_E10value_typeET2_T3_PNS13_IS18_E10value_typeET4_jRbjT5_S1E_jjP12ihipStream_tbEUljE_ZNSN_ISO_Lb0ESQ_SR_ST_SU_SY_EESZ_S10_S11_S12_S16_S17_S18_S1B_S1C_jS1D_jS1E_S1E_jjS1G_bEUljE0_EEESZ_S10_S11_S18_S1C_S1E_T6_T7_T9_mT8_S1G_bDpT10_ENKUlT_T0_E_clISt17integral_constantIbLb0EES1T_IbLb1EEEEDaS1P_S1Q_EUlS1P_E_NS1_11comp_targetILNS1_3genE2ELNS1_11target_archE906ELNS1_3gpuE6ELNS1_3repE0EEENS1_30default_config_static_selectorELNS0_4arch9wavefront6targetE0EEEvS12_, .Lfunc_end564-_ZN7rocprim17ROCPRIM_400000_NS6detail17trampoline_kernelINS0_13select_configILj256ELj13ELNS0_17block_load_methodE3ELS4_3ELS4_3ELNS0_20block_scan_algorithmE0ELj4294967295EEENS1_25partition_config_selectorILNS1_17partition_subalgoE4EjNS0_10empty_typeEbEEZZNS1_14partition_implILS8_4ELb0ES6_15HIP_vector_typeIjLj2EENS0_17counting_iteratorIjlEEPS9_SG_NS0_5tupleIJPjSI_NS0_16reverse_iteratorISI_EEEEENSH_IJSG_SG_SG_EEES9_SI_JZNS1_25segmented_radix_sort_implINS0_14default_configELb0EPKiPiPKlPlN2at6native12_GLOBAL__N_18offset_tEEE10hipError_tPvRmT1_PNSt15iterator_traitsIS12_E10value_typeET2_T3_PNS13_IS18_E10value_typeET4_jRbjT5_S1E_jjP12ihipStream_tbEUljE_ZNSN_ISO_Lb0ESQ_SR_ST_SU_SY_EESZ_S10_S11_S12_S16_S17_S18_S1B_S1C_jS1D_jS1E_S1E_jjS1G_bEUljE0_EEESZ_S10_S11_S18_S1C_S1E_T6_T7_T9_mT8_S1G_bDpT10_ENKUlT_T0_E_clISt17integral_constantIbLb0EES1T_IbLb1EEEEDaS1P_S1Q_EUlS1P_E_NS1_11comp_targetILNS1_3genE2ELNS1_11target_archE906ELNS1_3gpuE6ELNS1_3repE0EEENS1_30default_config_static_selectorELNS0_4arch9wavefront6targetE0EEEvS12_
                                        ; -- End function
	.section	.AMDGPU.csdata,"",@progbits
; Kernel info:
; codeLenInByte = 0
; NumSgprs: 0
; NumVgprs: 0
; ScratchSize: 0
; MemoryBound: 0
; FloatMode: 240
; IeeeMode: 1
; LDSByteSize: 0 bytes/workgroup (compile time only)
; SGPRBlocks: 0
; VGPRBlocks: 0
; NumSGPRsForWavesPerEU: 1
; NumVGPRsForWavesPerEU: 1
; Occupancy: 16
; WaveLimiterHint : 0
; COMPUTE_PGM_RSRC2:SCRATCH_EN: 0
; COMPUTE_PGM_RSRC2:USER_SGPR: 15
; COMPUTE_PGM_RSRC2:TRAP_HANDLER: 0
; COMPUTE_PGM_RSRC2:TGID_X_EN: 1
; COMPUTE_PGM_RSRC2:TGID_Y_EN: 0
; COMPUTE_PGM_RSRC2:TGID_Z_EN: 0
; COMPUTE_PGM_RSRC2:TIDIG_COMP_CNT: 0
	.section	.text._ZN7rocprim17ROCPRIM_400000_NS6detail17trampoline_kernelINS0_13select_configILj256ELj13ELNS0_17block_load_methodE3ELS4_3ELS4_3ELNS0_20block_scan_algorithmE0ELj4294967295EEENS1_25partition_config_selectorILNS1_17partition_subalgoE4EjNS0_10empty_typeEbEEZZNS1_14partition_implILS8_4ELb0ES6_15HIP_vector_typeIjLj2EENS0_17counting_iteratorIjlEEPS9_SG_NS0_5tupleIJPjSI_NS0_16reverse_iteratorISI_EEEEENSH_IJSG_SG_SG_EEES9_SI_JZNS1_25segmented_radix_sort_implINS0_14default_configELb0EPKiPiPKlPlN2at6native12_GLOBAL__N_18offset_tEEE10hipError_tPvRmT1_PNSt15iterator_traitsIS12_E10value_typeET2_T3_PNS13_IS18_E10value_typeET4_jRbjT5_S1E_jjP12ihipStream_tbEUljE_ZNSN_ISO_Lb0ESQ_SR_ST_SU_SY_EESZ_S10_S11_S12_S16_S17_S18_S1B_S1C_jS1D_jS1E_S1E_jjS1G_bEUljE0_EEESZ_S10_S11_S18_S1C_S1E_T6_T7_T9_mT8_S1G_bDpT10_ENKUlT_T0_E_clISt17integral_constantIbLb0EES1T_IbLb1EEEEDaS1P_S1Q_EUlS1P_E_NS1_11comp_targetILNS1_3genE10ELNS1_11target_archE1200ELNS1_3gpuE4ELNS1_3repE0EEENS1_30default_config_static_selectorELNS0_4arch9wavefront6targetE0EEEvS12_,"axG",@progbits,_ZN7rocprim17ROCPRIM_400000_NS6detail17trampoline_kernelINS0_13select_configILj256ELj13ELNS0_17block_load_methodE3ELS4_3ELS4_3ELNS0_20block_scan_algorithmE0ELj4294967295EEENS1_25partition_config_selectorILNS1_17partition_subalgoE4EjNS0_10empty_typeEbEEZZNS1_14partition_implILS8_4ELb0ES6_15HIP_vector_typeIjLj2EENS0_17counting_iteratorIjlEEPS9_SG_NS0_5tupleIJPjSI_NS0_16reverse_iteratorISI_EEEEENSH_IJSG_SG_SG_EEES9_SI_JZNS1_25segmented_radix_sort_implINS0_14default_configELb0EPKiPiPKlPlN2at6native12_GLOBAL__N_18offset_tEEE10hipError_tPvRmT1_PNSt15iterator_traitsIS12_E10value_typeET2_T3_PNS13_IS18_E10value_typeET4_jRbjT5_S1E_jjP12ihipStream_tbEUljE_ZNSN_ISO_Lb0ESQ_SR_ST_SU_SY_EESZ_S10_S11_S12_S16_S17_S18_S1B_S1C_jS1D_jS1E_S1E_jjS1G_bEUljE0_EEESZ_S10_S11_S18_S1C_S1E_T6_T7_T9_mT8_S1G_bDpT10_ENKUlT_T0_E_clISt17integral_constantIbLb0EES1T_IbLb1EEEEDaS1P_S1Q_EUlS1P_E_NS1_11comp_targetILNS1_3genE10ELNS1_11target_archE1200ELNS1_3gpuE4ELNS1_3repE0EEENS1_30default_config_static_selectorELNS0_4arch9wavefront6targetE0EEEvS12_,comdat
	.globl	_ZN7rocprim17ROCPRIM_400000_NS6detail17trampoline_kernelINS0_13select_configILj256ELj13ELNS0_17block_load_methodE3ELS4_3ELS4_3ELNS0_20block_scan_algorithmE0ELj4294967295EEENS1_25partition_config_selectorILNS1_17partition_subalgoE4EjNS0_10empty_typeEbEEZZNS1_14partition_implILS8_4ELb0ES6_15HIP_vector_typeIjLj2EENS0_17counting_iteratorIjlEEPS9_SG_NS0_5tupleIJPjSI_NS0_16reverse_iteratorISI_EEEEENSH_IJSG_SG_SG_EEES9_SI_JZNS1_25segmented_radix_sort_implINS0_14default_configELb0EPKiPiPKlPlN2at6native12_GLOBAL__N_18offset_tEEE10hipError_tPvRmT1_PNSt15iterator_traitsIS12_E10value_typeET2_T3_PNS13_IS18_E10value_typeET4_jRbjT5_S1E_jjP12ihipStream_tbEUljE_ZNSN_ISO_Lb0ESQ_SR_ST_SU_SY_EESZ_S10_S11_S12_S16_S17_S18_S1B_S1C_jS1D_jS1E_S1E_jjS1G_bEUljE0_EEESZ_S10_S11_S18_S1C_S1E_T6_T7_T9_mT8_S1G_bDpT10_ENKUlT_T0_E_clISt17integral_constantIbLb0EES1T_IbLb1EEEEDaS1P_S1Q_EUlS1P_E_NS1_11comp_targetILNS1_3genE10ELNS1_11target_archE1200ELNS1_3gpuE4ELNS1_3repE0EEENS1_30default_config_static_selectorELNS0_4arch9wavefront6targetE0EEEvS12_ ; -- Begin function _ZN7rocprim17ROCPRIM_400000_NS6detail17trampoline_kernelINS0_13select_configILj256ELj13ELNS0_17block_load_methodE3ELS4_3ELS4_3ELNS0_20block_scan_algorithmE0ELj4294967295EEENS1_25partition_config_selectorILNS1_17partition_subalgoE4EjNS0_10empty_typeEbEEZZNS1_14partition_implILS8_4ELb0ES6_15HIP_vector_typeIjLj2EENS0_17counting_iteratorIjlEEPS9_SG_NS0_5tupleIJPjSI_NS0_16reverse_iteratorISI_EEEEENSH_IJSG_SG_SG_EEES9_SI_JZNS1_25segmented_radix_sort_implINS0_14default_configELb0EPKiPiPKlPlN2at6native12_GLOBAL__N_18offset_tEEE10hipError_tPvRmT1_PNSt15iterator_traitsIS12_E10value_typeET2_T3_PNS13_IS18_E10value_typeET4_jRbjT5_S1E_jjP12ihipStream_tbEUljE_ZNSN_ISO_Lb0ESQ_SR_ST_SU_SY_EESZ_S10_S11_S12_S16_S17_S18_S1B_S1C_jS1D_jS1E_S1E_jjS1G_bEUljE0_EEESZ_S10_S11_S18_S1C_S1E_T6_T7_T9_mT8_S1G_bDpT10_ENKUlT_T0_E_clISt17integral_constantIbLb0EES1T_IbLb1EEEEDaS1P_S1Q_EUlS1P_E_NS1_11comp_targetILNS1_3genE10ELNS1_11target_archE1200ELNS1_3gpuE4ELNS1_3repE0EEENS1_30default_config_static_selectorELNS0_4arch9wavefront6targetE0EEEvS12_
	.p2align	8
	.type	_ZN7rocprim17ROCPRIM_400000_NS6detail17trampoline_kernelINS0_13select_configILj256ELj13ELNS0_17block_load_methodE3ELS4_3ELS4_3ELNS0_20block_scan_algorithmE0ELj4294967295EEENS1_25partition_config_selectorILNS1_17partition_subalgoE4EjNS0_10empty_typeEbEEZZNS1_14partition_implILS8_4ELb0ES6_15HIP_vector_typeIjLj2EENS0_17counting_iteratorIjlEEPS9_SG_NS0_5tupleIJPjSI_NS0_16reverse_iteratorISI_EEEEENSH_IJSG_SG_SG_EEES9_SI_JZNS1_25segmented_radix_sort_implINS0_14default_configELb0EPKiPiPKlPlN2at6native12_GLOBAL__N_18offset_tEEE10hipError_tPvRmT1_PNSt15iterator_traitsIS12_E10value_typeET2_T3_PNS13_IS18_E10value_typeET4_jRbjT5_S1E_jjP12ihipStream_tbEUljE_ZNSN_ISO_Lb0ESQ_SR_ST_SU_SY_EESZ_S10_S11_S12_S16_S17_S18_S1B_S1C_jS1D_jS1E_S1E_jjS1G_bEUljE0_EEESZ_S10_S11_S18_S1C_S1E_T6_T7_T9_mT8_S1G_bDpT10_ENKUlT_T0_E_clISt17integral_constantIbLb0EES1T_IbLb1EEEEDaS1P_S1Q_EUlS1P_E_NS1_11comp_targetILNS1_3genE10ELNS1_11target_archE1200ELNS1_3gpuE4ELNS1_3repE0EEENS1_30default_config_static_selectorELNS0_4arch9wavefront6targetE0EEEvS12_,@function
_ZN7rocprim17ROCPRIM_400000_NS6detail17trampoline_kernelINS0_13select_configILj256ELj13ELNS0_17block_load_methodE3ELS4_3ELS4_3ELNS0_20block_scan_algorithmE0ELj4294967295EEENS1_25partition_config_selectorILNS1_17partition_subalgoE4EjNS0_10empty_typeEbEEZZNS1_14partition_implILS8_4ELb0ES6_15HIP_vector_typeIjLj2EENS0_17counting_iteratorIjlEEPS9_SG_NS0_5tupleIJPjSI_NS0_16reverse_iteratorISI_EEEEENSH_IJSG_SG_SG_EEES9_SI_JZNS1_25segmented_radix_sort_implINS0_14default_configELb0EPKiPiPKlPlN2at6native12_GLOBAL__N_18offset_tEEE10hipError_tPvRmT1_PNSt15iterator_traitsIS12_E10value_typeET2_T3_PNS13_IS18_E10value_typeET4_jRbjT5_S1E_jjP12ihipStream_tbEUljE_ZNSN_ISO_Lb0ESQ_SR_ST_SU_SY_EESZ_S10_S11_S12_S16_S17_S18_S1B_S1C_jS1D_jS1E_S1E_jjS1G_bEUljE0_EEESZ_S10_S11_S18_S1C_S1E_T6_T7_T9_mT8_S1G_bDpT10_ENKUlT_T0_E_clISt17integral_constantIbLb0EES1T_IbLb1EEEEDaS1P_S1Q_EUlS1P_E_NS1_11comp_targetILNS1_3genE10ELNS1_11target_archE1200ELNS1_3gpuE4ELNS1_3repE0EEENS1_30default_config_static_selectorELNS0_4arch9wavefront6targetE0EEEvS12_: ; @_ZN7rocprim17ROCPRIM_400000_NS6detail17trampoline_kernelINS0_13select_configILj256ELj13ELNS0_17block_load_methodE3ELS4_3ELS4_3ELNS0_20block_scan_algorithmE0ELj4294967295EEENS1_25partition_config_selectorILNS1_17partition_subalgoE4EjNS0_10empty_typeEbEEZZNS1_14partition_implILS8_4ELb0ES6_15HIP_vector_typeIjLj2EENS0_17counting_iteratorIjlEEPS9_SG_NS0_5tupleIJPjSI_NS0_16reverse_iteratorISI_EEEEENSH_IJSG_SG_SG_EEES9_SI_JZNS1_25segmented_radix_sort_implINS0_14default_configELb0EPKiPiPKlPlN2at6native12_GLOBAL__N_18offset_tEEE10hipError_tPvRmT1_PNSt15iterator_traitsIS12_E10value_typeET2_T3_PNS13_IS18_E10value_typeET4_jRbjT5_S1E_jjP12ihipStream_tbEUljE_ZNSN_ISO_Lb0ESQ_SR_ST_SU_SY_EESZ_S10_S11_S12_S16_S17_S18_S1B_S1C_jS1D_jS1E_S1E_jjS1G_bEUljE0_EEESZ_S10_S11_S18_S1C_S1E_T6_T7_T9_mT8_S1G_bDpT10_ENKUlT_T0_E_clISt17integral_constantIbLb0EES1T_IbLb1EEEEDaS1P_S1Q_EUlS1P_E_NS1_11comp_targetILNS1_3genE10ELNS1_11target_archE1200ELNS1_3gpuE4ELNS1_3repE0EEENS1_30default_config_static_selectorELNS0_4arch9wavefront6targetE0EEEvS12_
; %bb.0:
	.section	.rodata,"a",@progbits
	.p2align	6, 0x0
	.amdhsa_kernel _ZN7rocprim17ROCPRIM_400000_NS6detail17trampoline_kernelINS0_13select_configILj256ELj13ELNS0_17block_load_methodE3ELS4_3ELS4_3ELNS0_20block_scan_algorithmE0ELj4294967295EEENS1_25partition_config_selectorILNS1_17partition_subalgoE4EjNS0_10empty_typeEbEEZZNS1_14partition_implILS8_4ELb0ES6_15HIP_vector_typeIjLj2EENS0_17counting_iteratorIjlEEPS9_SG_NS0_5tupleIJPjSI_NS0_16reverse_iteratorISI_EEEEENSH_IJSG_SG_SG_EEES9_SI_JZNS1_25segmented_radix_sort_implINS0_14default_configELb0EPKiPiPKlPlN2at6native12_GLOBAL__N_18offset_tEEE10hipError_tPvRmT1_PNSt15iterator_traitsIS12_E10value_typeET2_T3_PNS13_IS18_E10value_typeET4_jRbjT5_S1E_jjP12ihipStream_tbEUljE_ZNSN_ISO_Lb0ESQ_SR_ST_SU_SY_EESZ_S10_S11_S12_S16_S17_S18_S1B_S1C_jS1D_jS1E_S1E_jjS1G_bEUljE0_EEESZ_S10_S11_S18_S1C_S1E_T6_T7_T9_mT8_S1G_bDpT10_ENKUlT_T0_E_clISt17integral_constantIbLb0EES1T_IbLb1EEEEDaS1P_S1Q_EUlS1P_E_NS1_11comp_targetILNS1_3genE10ELNS1_11target_archE1200ELNS1_3gpuE4ELNS1_3repE0EEENS1_30default_config_static_selectorELNS0_4arch9wavefront6targetE0EEEvS12_
		.amdhsa_group_segment_fixed_size 0
		.amdhsa_private_segment_fixed_size 0
		.amdhsa_kernarg_size 184
		.amdhsa_user_sgpr_count 15
		.amdhsa_user_sgpr_dispatch_ptr 0
		.amdhsa_user_sgpr_queue_ptr 0
		.amdhsa_user_sgpr_kernarg_segment_ptr 1
		.amdhsa_user_sgpr_dispatch_id 0
		.amdhsa_user_sgpr_private_segment_size 0
		.amdhsa_wavefront_size32 1
		.amdhsa_uses_dynamic_stack 0
		.amdhsa_enable_private_segment 0
		.amdhsa_system_sgpr_workgroup_id_x 1
		.amdhsa_system_sgpr_workgroup_id_y 0
		.amdhsa_system_sgpr_workgroup_id_z 0
		.amdhsa_system_sgpr_workgroup_info 0
		.amdhsa_system_vgpr_workitem_id 0
		.amdhsa_next_free_vgpr 1
		.amdhsa_next_free_sgpr 1
		.amdhsa_reserve_vcc 0
		.amdhsa_float_round_mode_32 0
		.amdhsa_float_round_mode_16_64 0
		.amdhsa_float_denorm_mode_32 3
		.amdhsa_float_denorm_mode_16_64 3
		.amdhsa_dx10_clamp 1
		.amdhsa_ieee_mode 1
		.amdhsa_fp16_overflow 0
		.amdhsa_workgroup_processor_mode 1
		.amdhsa_memory_ordered 1
		.amdhsa_forward_progress 0
		.amdhsa_shared_vgpr_count 0
		.amdhsa_exception_fp_ieee_invalid_op 0
		.amdhsa_exception_fp_denorm_src 0
		.amdhsa_exception_fp_ieee_div_zero 0
		.amdhsa_exception_fp_ieee_overflow 0
		.amdhsa_exception_fp_ieee_underflow 0
		.amdhsa_exception_fp_ieee_inexact 0
		.amdhsa_exception_int_div_zero 0
	.end_amdhsa_kernel
	.section	.text._ZN7rocprim17ROCPRIM_400000_NS6detail17trampoline_kernelINS0_13select_configILj256ELj13ELNS0_17block_load_methodE3ELS4_3ELS4_3ELNS0_20block_scan_algorithmE0ELj4294967295EEENS1_25partition_config_selectorILNS1_17partition_subalgoE4EjNS0_10empty_typeEbEEZZNS1_14partition_implILS8_4ELb0ES6_15HIP_vector_typeIjLj2EENS0_17counting_iteratorIjlEEPS9_SG_NS0_5tupleIJPjSI_NS0_16reverse_iteratorISI_EEEEENSH_IJSG_SG_SG_EEES9_SI_JZNS1_25segmented_radix_sort_implINS0_14default_configELb0EPKiPiPKlPlN2at6native12_GLOBAL__N_18offset_tEEE10hipError_tPvRmT1_PNSt15iterator_traitsIS12_E10value_typeET2_T3_PNS13_IS18_E10value_typeET4_jRbjT5_S1E_jjP12ihipStream_tbEUljE_ZNSN_ISO_Lb0ESQ_SR_ST_SU_SY_EESZ_S10_S11_S12_S16_S17_S18_S1B_S1C_jS1D_jS1E_S1E_jjS1G_bEUljE0_EEESZ_S10_S11_S18_S1C_S1E_T6_T7_T9_mT8_S1G_bDpT10_ENKUlT_T0_E_clISt17integral_constantIbLb0EES1T_IbLb1EEEEDaS1P_S1Q_EUlS1P_E_NS1_11comp_targetILNS1_3genE10ELNS1_11target_archE1200ELNS1_3gpuE4ELNS1_3repE0EEENS1_30default_config_static_selectorELNS0_4arch9wavefront6targetE0EEEvS12_,"axG",@progbits,_ZN7rocprim17ROCPRIM_400000_NS6detail17trampoline_kernelINS0_13select_configILj256ELj13ELNS0_17block_load_methodE3ELS4_3ELS4_3ELNS0_20block_scan_algorithmE0ELj4294967295EEENS1_25partition_config_selectorILNS1_17partition_subalgoE4EjNS0_10empty_typeEbEEZZNS1_14partition_implILS8_4ELb0ES6_15HIP_vector_typeIjLj2EENS0_17counting_iteratorIjlEEPS9_SG_NS0_5tupleIJPjSI_NS0_16reverse_iteratorISI_EEEEENSH_IJSG_SG_SG_EEES9_SI_JZNS1_25segmented_radix_sort_implINS0_14default_configELb0EPKiPiPKlPlN2at6native12_GLOBAL__N_18offset_tEEE10hipError_tPvRmT1_PNSt15iterator_traitsIS12_E10value_typeET2_T3_PNS13_IS18_E10value_typeET4_jRbjT5_S1E_jjP12ihipStream_tbEUljE_ZNSN_ISO_Lb0ESQ_SR_ST_SU_SY_EESZ_S10_S11_S12_S16_S17_S18_S1B_S1C_jS1D_jS1E_S1E_jjS1G_bEUljE0_EEESZ_S10_S11_S18_S1C_S1E_T6_T7_T9_mT8_S1G_bDpT10_ENKUlT_T0_E_clISt17integral_constantIbLb0EES1T_IbLb1EEEEDaS1P_S1Q_EUlS1P_E_NS1_11comp_targetILNS1_3genE10ELNS1_11target_archE1200ELNS1_3gpuE4ELNS1_3repE0EEENS1_30default_config_static_selectorELNS0_4arch9wavefront6targetE0EEEvS12_,comdat
.Lfunc_end565:
	.size	_ZN7rocprim17ROCPRIM_400000_NS6detail17trampoline_kernelINS0_13select_configILj256ELj13ELNS0_17block_load_methodE3ELS4_3ELS4_3ELNS0_20block_scan_algorithmE0ELj4294967295EEENS1_25partition_config_selectorILNS1_17partition_subalgoE4EjNS0_10empty_typeEbEEZZNS1_14partition_implILS8_4ELb0ES6_15HIP_vector_typeIjLj2EENS0_17counting_iteratorIjlEEPS9_SG_NS0_5tupleIJPjSI_NS0_16reverse_iteratorISI_EEEEENSH_IJSG_SG_SG_EEES9_SI_JZNS1_25segmented_radix_sort_implINS0_14default_configELb0EPKiPiPKlPlN2at6native12_GLOBAL__N_18offset_tEEE10hipError_tPvRmT1_PNSt15iterator_traitsIS12_E10value_typeET2_T3_PNS13_IS18_E10value_typeET4_jRbjT5_S1E_jjP12ihipStream_tbEUljE_ZNSN_ISO_Lb0ESQ_SR_ST_SU_SY_EESZ_S10_S11_S12_S16_S17_S18_S1B_S1C_jS1D_jS1E_S1E_jjS1G_bEUljE0_EEESZ_S10_S11_S18_S1C_S1E_T6_T7_T9_mT8_S1G_bDpT10_ENKUlT_T0_E_clISt17integral_constantIbLb0EES1T_IbLb1EEEEDaS1P_S1Q_EUlS1P_E_NS1_11comp_targetILNS1_3genE10ELNS1_11target_archE1200ELNS1_3gpuE4ELNS1_3repE0EEENS1_30default_config_static_selectorELNS0_4arch9wavefront6targetE0EEEvS12_, .Lfunc_end565-_ZN7rocprim17ROCPRIM_400000_NS6detail17trampoline_kernelINS0_13select_configILj256ELj13ELNS0_17block_load_methodE3ELS4_3ELS4_3ELNS0_20block_scan_algorithmE0ELj4294967295EEENS1_25partition_config_selectorILNS1_17partition_subalgoE4EjNS0_10empty_typeEbEEZZNS1_14partition_implILS8_4ELb0ES6_15HIP_vector_typeIjLj2EENS0_17counting_iteratorIjlEEPS9_SG_NS0_5tupleIJPjSI_NS0_16reverse_iteratorISI_EEEEENSH_IJSG_SG_SG_EEES9_SI_JZNS1_25segmented_radix_sort_implINS0_14default_configELb0EPKiPiPKlPlN2at6native12_GLOBAL__N_18offset_tEEE10hipError_tPvRmT1_PNSt15iterator_traitsIS12_E10value_typeET2_T3_PNS13_IS18_E10value_typeET4_jRbjT5_S1E_jjP12ihipStream_tbEUljE_ZNSN_ISO_Lb0ESQ_SR_ST_SU_SY_EESZ_S10_S11_S12_S16_S17_S18_S1B_S1C_jS1D_jS1E_S1E_jjS1G_bEUljE0_EEESZ_S10_S11_S18_S1C_S1E_T6_T7_T9_mT8_S1G_bDpT10_ENKUlT_T0_E_clISt17integral_constantIbLb0EES1T_IbLb1EEEEDaS1P_S1Q_EUlS1P_E_NS1_11comp_targetILNS1_3genE10ELNS1_11target_archE1200ELNS1_3gpuE4ELNS1_3repE0EEENS1_30default_config_static_selectorELNS0_4arch9wavefront6targetE0EEEvS12_
                                        ; -- End function
	.section	.AMDGPU.csdata,"",@progbits
; Kernel info:
; codeLenInByte = 0
; NumSgprs: 0
; NumVgprs: 0
; ScratchSize: 0
; MemoryBound: 0
; FloatMode: 240
; IeeeMode: 1
; LDSByteSize: 0 bytes/workgroup (compile time only)
; SGPRBlocks: 0
; VGPRBlocks: 0
; NumSGPRsForWavesPerEU: 1
; NumVGPRsForWavesPerEU: 1
; Occupancy: 16
; WaveLimiterHint : 0
; COMPUTE_PGM_RSRC2:SCRATCH_EN: 0
; COMPUTE_PGM_RSRC2:USER_SGPR: 15
; COMPUTE_PGM_RSRC2:TRAP_HANDLER: 0
; COMPUTE_PGM_RSRC2:TGID_X_EN: 1
; COMPUTE_PGM_RSRC2:TGID_Y_EN: 0
; COMPUTE_PGM_RSRC2:TGID_Z_EN: 0
; COMPUTE_PGM_RSRC2:TIDIG_COMP_CNT: 0
	.section	.text._ZN7rocprim17ROCPRIM_400000_NS6detail17trampoline_kernelINS0_13select_configILj256ELj13ELNS0_17block_load_methodE3ELS4_3ELS4_3ELNS0_20block_scan_algorithmE0ELj4294967295EEENS1_25partition_config_selectorILNS1_17partition_subalgoE4EjNS0_10empty_typeEbEEZZNS1_14partition_implILS8_4ELb0ES6_15HIP_vector_typeIjLj2EENS0_17counting_iteratorIjlEEPS9_SG_NS0_5tupleIJPjSI_NS0_16reverse_iteratorISI_EEEEENSH_IJSG_SG_SG_EEES9_SI_JZNS1_25segmented_radix_sort_implINS0_14default_configELb0EPKiPiPKlPlN2at6native12_GLOBAL__N_18offset_tEEE10hipError_tPvRmT1_PNSt15iterator_traitsIS12_E10value_typeET2_T3_PNS13_IS18_E10value_typeET4_jRbjT5_S1E_jjP12ihipStream_tbEUljE_ZNSN_ISO_Lb0ESQ_SR_ST_SU_SY_EESZ_S10_S11_S12_S16_S17_S18_S1B_S1C_jS1D_jS1E_S1E_jjS1G_bEUljE0_EEESZ_S10_S11_S18_S1C_S1E_T6_T7_T9_mT8_S1G_bDpT10_ENKUlT_T0_E_clISt17integral_constantIbLb0EES1T_IbLb1EEEEDaS1P_S1Q_EUlS1P_E_NS1_11comp_targetILNS1_3genE9ELNS1_11target_archE1100ELNS1_3gpuE3ELNS1_3repE0EEENS1_30default_config_static_selectorELNS0_4arch9wavefront6targetE0EEEvS12_,"axG",@progbits,_ZN7rocprim17ROCPRIM_400000_NS6detail17trampoline_kernelINS0_13select_configILj256ELj13ELNS0_17block_load_methodE3ELS4_3ELS4_3ELNS0_20block_scan_algorithmE0ELj4294967295EEENS1_25partition_config_selectorILNS1_17partition_subalgoE4EjNS0_10empty_typeEbEEZZNS1_14partition_implILS8_4ELb0ES6_15HIP_vector_typeIjLj2EENS0_17counting_iteratorIjlEEPS9_SG_NS0_5tupleIJPjSI_NS0_16reverse_iteratorISI_EEEEENSH_IJSG_SG_SG_EEES9_SI_JZNS1_25segmented_radix_sort_implINS0_14default_configELb0EPKiPiPKlPlN2at6native12_GLOBAL__N_18offset_tEEE10hipError_tPvRmT1_PNSt15iterator_traitsIS12_E10value_typeET2_T3_PNS13_IS18_E10value_typeET4_jRbjT5_S1E_jjP12ihipStream_tbEUljE_ZNSN_ISO_Lb0ESQ_SR_ST_SU_SY_EESZ_S10_S11_S12_S16_S17_S18_S1B_S1C_jS1D_jS1E_S1E_jjS1G_bEUljE0_EEESZ_S10_S11_S18_S1C_S1E_T6_T7_T9_mT8_S1G_bDpT10_ENKUlT_T0_E_clISt17integral_constantIbLb0EES1T_IbLb1EEEEDaS1P_S1Q_EUlS1P_E_NS1_11comp_targetILNS1_3genE9ELNS1_11target_archE1100ELNS1_3gpuE3ELNS1_3repE0EEENS1_30default_config_static_selectorELNS0_4arch9wavefront6targetE0EEEvS12_,comdat
	.globl	_ZN7rocprim17ROCPRIM_400000_NS6detail17trampoline_kernelINS0_13select_configILj256ELj13ELNS0_17block_load_methodE3ELS4_3ELS4_3ELNS0_20block_scan_algorithmE0ELj4294967295EEENS1_25partition_config_selectorILNS1_17partition_subalgoE4EjNS0_10empty_typeEbEEZZNS1_14partition_implILS8_4ELb0ES6_15HIP_vector_typeIjLj2EENS0_17counting_iteratorIjlEEPS9_SG_NS0_5tupleIJPjSI_NS0_16reverse_iteratorISI_EEEEENSH_IJSG_SG_SG_EEES9_SI_JZNS1_25segmented_radix_sort_implINS0_14default_configELb0EPKiPiPKlPlN2at6native12_GLOBAL__N_18offset_tEEE10hipError_tPvRmT1_PNSt15iterator_traitsIS12_E10value_typeET2_T3_PNS13_IS18_E10value_typeET4_jRbjT5_S1E_jjP12ihipStream_tbEUljE_ZNSN_ISO_Lb0ESQ_SR_ST_SU_SY_EESZ_S10_S11_S12_S16_S17_S18_S1B_S1C_jS1D_jS1E_S1E_jjS1G_bEUljE0_EEESZ_S10_S11_S18_S1C_S1E_T6_T7_T9_mT8_S1G_bDpT10_ENKUlT_T0_E_clISt17integral_constantIbLb0EES1T_IbLb1EEEEDaS1P_S1Q_EUlS1P_E_NS1_11comp_targetILNS1_3genE9ELNS1_11target_archE1100ELNS1_3gpuE3ELNS1_3repE0EEENS1_30default_config_static_selectorELNS0_4arch9wavefront6targetE0EEEvS12_ ; -- Begin function _ZN7rocprim17ROCPRIM_400000_NS6detail17trampoline_kernelINS0_13select_configILj256ELj13ELNS0_17block_load_methodE3ELS4_3ELS4_3ELNS0_20block_scan_algorithmE0ELj4294967295EEENS1_25partition_config_selectorILNS1_17partition_subalgoE4EjNS0_10empty_typeEbEEZZNS1_14partition_implILS8_4ELb0ES6_15HIP_vector_typeIjLj2EENS0_17counting_iteratorIjlEEPS9_SG_NS0_5tupleIJPjSI_NS0_16reverse_iteratorISI_EEEEENSH_IJSG_SG_SG_EEES9_SI_JZNS1_25segmented_radix_sort_implINS0_14default_configELb0EPKiPiPKlPlN2at6native12_GLOBAL__N_18offset_tEEE10hipError_tPvRmT1_PNSt15iterator_traitsIS12_E10value_typeET2_T3_PNS13_IS18_E10value_typeET4_jRbjT5_S1E_jjP12ihipStream_tbEUljE_ZNSN_ISO_Lb0ESQ_SR_ST_SU_SY_EESZ_S10_S11_S12_S16_S17_S18_S1B_S1C_jS1D_jS1E_S1E_jjS1G_bEUljE0_EEESZ_S10_S11_S18_S1C_S1E_T6_T7_T9_mT8_S1G_bDpT10_ENKUlT_T0_E_clISt17integral_constantIbLb0EES1T_IbLb1EEEEDaS1P_S1Q_EUlS1P_E_NS1_11comp_targetILNS1_3genE9ELNS1_11target_archE1100ELNS1_3gpuE3ELNS1_3repE0EEENS1_30default_config_static_selectorELNS0_4arch9wavefront6targetE0EEEvS12_
	.p2align	8
	.type	_ZN7rocprim17ROCPRIM_400000_NS6detail17trampoline_kernelINS0_13select_configILj256ELj13ELNS0_17block_load_methodE3ELS4_3ELS4_3ELNS0_20block_scan_algorithmE0ELj4294967295EEENS1_25partition_config_selectorILNS1_17partition_subalgoE4EjNS0_10empty_typeEbEEZZNS1_14partition_implILS8_4ELb0ES6_15HIP_vector_typeIjLj2EENS0_17counting_iteratorIjlEEPS9_SG_NS0_5tupleIJPjSI_NS0_16reverse_iteratorISI_EEEEENSH_IJSG_SG_SG_EEES9_SI_JZNS1_25segmented_radix_sort_implINS0_14default_configELb0EPKiPiPKlPlN2at6native12_GLOBAL__N_18offset_tEEE10hipError_tPvRmT1_PNSt15iterator_traitsIS12_E10value_typeET2_T3_PNS13_IS18_E10value_typeET4_jRbjT5_S1E_jjP12ihipStream_tbEUljE_ZNSN_ISO_Lb0ESQ_SR_ST_SU_SY_EESZ_S10_S11_S12_S16_S17_S18_S1B_S1C_jS1D_jS1E_S1E_jjS1G_bEUljE0_EEESZ_S10_S11_S18_S1C_S1E_T6_T7_T9_mT8_S1G_bDpT10_ENKUlT_T0_E_clISt17integral_constantIbLb0EES1T_IbLb1EEEEDaS1P_S1Q_EUlS1P_E_NS1_11comp_targetILNS1_3genE9ELNS1_11target_archE1100ELNS1_3gpuE3ELNS1_3repE0EEENS1_30default_config_static_selectorELNS0_4arch9wavefront6targetE0EEEvS12_,@function
_ZN7rocprim17ROCPRIM_400000_NS6detail17trampoline_kernelINS0_13select_configILj256ELj13ELNS0_17block_load_methodE3ELS4_3ELS4_3ELNS0_20block_scan_algorithmE0ELj4294967295EEENS1_25partition_config_selectorILNS1_17partition_subalgoE4EjNS0_10empty_typeEbEEZZNS1_14partition_implILS8_4ELb0ES6_15HIP_vector_typeIjLj2EENS0_17counting_iteratorIjlEEPS9_SG_NS0_5tupleIJPjSI_NS0_16reverse_iteratorISI_EEEEENSH_IJSG_SG_SG_EEES9_SI_JZNS1_25segmented_radix_sort_implINS0_14default_configELb0EPKiPiPKlPlN2at6native12_GLOBAL__N_18offset_tEEE10hipError_tPvRmT1_PNSt15iterator_traitsIS12_E10value_typeET2_T3_PNS13_IS18_E10value_typeET4_jRbjT5_S1E_jjP12ihipStream_tbEUljE_ZNSN_ISO_Lb0ESQ_SR_ST_SU_SY_EESZ_S10_S11_S12_S16_S17_S18_S1B_S1C_jS1D_jS1E_S1E_jjS1G_bEUljE0_EEESZ_S10_S11_S18_S1C_S1E_T6_T7_T9_mT8_S1G_bDpT10_ENKUlT_T0_E_clISt17integral_constantIbLb0EES1T_IbLb1EEEEDaS1P_S1Q_EUlS1P_E_NS1_11comp_targetILNS1_3genE9ELNS1_11target_archE1100ELNS1_3gpuE3ELNS1_3repE0EEENS1_30default_config_static_selectorELNS0_4arch9wavefront6targetE0EEEvS12_: ; @_ZN7rocprim17ROCPRIM_400000_NS6detail17trampoline_kernelINS0_13select_configILj256ELj13ELNS0_17block_load_methodE3ELS4_3ELS4_3ELNS0_20block_scan_algorithmE0ELj4294967295EEENS1_25partition_config_selectorILNS1_17partition_subalgoE4EjNS0_10empty_typeEbEEZZNS1_14partition_implILS8_4ELb0ES6_15HIP_vector_typeIjLj2EENS0_17counting_iteratorIjlEEPS9_SG_NS0_5tupleIJPjSI_NS0_16reverse_iteratorISI_EEEEENSH_IJSG_SG_SG_EEES9_SI_JZNS1_25segmented_radix_sort_implINS0_14default_configELb0EPKiPiPKlPlN2at6native12_GLOBAL__N_18offset_tEEE10hipError_tPvRmT1_PNSt15iterator_traitsIS12_E10value_typeET2_T3_PNS13_IS18_E10value_typeET4_jRbjT5_S1E_jjP12ihipStream_tbEUljE_ZNSN_ISO_Lb0ESQ_SR_ST_SU_SY_EESZ_S10_S11_S12_S16_S17_S18_S1B_S1C_jS1D_jS1E_S1E_jjS1G_bEUljE0_EEESZ_S10_S11_S18_S1C_S1E_T6_T7_T9_mT8_S1G_bDpT10_ENKUlT_T0_E_clISt17integral_constantIbLb0EES1T_IbLb1EEEEDaS1P_S1Q_EUlS1P_E_NS1_11comp_targetILNS1_3genE9ELNS1_11target_archE1100ELNS1_3gpuE3ELNS1_3repE0EEENS1_30default_config_static_selectorELNS0_4arch9wavefront6targetE0EEEvS12_
; %bb.0:
	s_clause 0x7
	s_load_b64 s[34:35], s[0:1], 0x10
	s_load_b128 s[28:31], s[0:1], 0x28
	s_load_b64 s[14:15], s[0:1], 0x38
	s_load_b128 s[24:27], s[0:1], 0x58
	s_load_b64 s[4:5], s[0:1], 0x68
	s_load_b64 s[36:37], s[0:1], 0x78
	;; [unrolled: 1-line block ×3, first 2 shown]
	s_load_b256 s[16:23], s[0:1], 0x90
	v_cmp_eq_u32_e64 s2, 0, v0
	s_delay_alu instid0(VALU_DEP_1)
	s_and_saveexec_b32 s3, s2
	s_cbranch_execz .LBB566_4
; %bb.1:
	s_mov_b32 s7, exec_lo
	s_mov_b32 s6, exec_lo
	v_mbcnt_lo_u32_b32 v1, s7, 0
                                        ; implicit-def: $vgpr2
	s_delay_alu instid0(VALU_DEP_1)
	v_cmpx_eq_u32_e32 0, v1
	s_cbranch_execz .LBB566_3
; %bb.2:
	s_load_b64 s[8:9], s[0:1], 0x88
	s_bcnt1_i32_b32 s7, s7
	s_delay_alu instid0(SALU_CYCLE_1)
	v_dual_mov_b32 v2, 0 :: v_dual_mov_b32 v3, s7
	s_waitcnt lgkmcnt(0)
	global_atomic_add_u32 v2, v2, v3, s[8:9] glc
.LBB566_3:
	s_or_b32 exec_lo, exec_lo, s6
	s_waitcnt vmcnt(0)
	v_readfirstlane_b32 s6, v2
	s_delay_alu instid0(VALU_DEP_1)
	v_dual_mov_b32 v2, 0 :: v_dual_add_nc_u32 v1, s6, v1
	ds_store_b32 v2, v1
.LBB566_4:
	s_or_b32 exec_lo, exec_lo, s3
	v_mov_b32_e32 v1, 0
	s_clause 0x1
	s_load_b32 s3, s[0:1], 0x8
	s_load_b32 s0, s[0:1], 0x80
	s_waitcnt lgkmcnt(0)
	s_barrier
	buffer_gl0_inv
	ds_load_b32 v5, v1
	s_waitcnt lgkmcnt(0)
	s_barrier
	buffer_gl0_inv
	global_load_b128 v[1:4], v1, s[26:27]
	s_add_i32 s3, s3, s34
	s_mul_i32 s1, s0, 0xd00
	s_add_i32 s0, s0, -1
	s_add_u32 s6, s34, s1
	s_addc_u32 s7, s35, 0
	v_mul_lo_u32 v30, 0xd00, v5
	v_readfirstlane_b32 s26, v5
	v_cmp_lt_u64_e64 s5, s[6:7], s[4:5]
	v_cmp_ne_u32_e32 vcc_lo, s0, v5
	s_delay_alu instid0(VALU_DEP_3) | instskip(SKIP_1) | instid1(VALU_DEP_4)
	s_cmp_eq_u32 s26, s0
	s_cselect_b32 s13, -1, 0
	v_add3_u32 v5, v30, s3, v0
	s_delay_alu instid0(VALU_DEP_3) | instskip(SKIP_2) | instid1(VALU_DEP_1)
	s_or_b32 s0, s5, vcc_lo
	s_mov_b32 s3, -1
	s_and_b32 vcc_lo, exec_lo, s0
	v_add_nc_u32_e32 v6, 0x100, v5
	v_add_nc_u32_e32 v7, 0x200, v5
	v_add_nc_u32_e32 v8, 0x300, v5
	v_add_nc_u32_e32 v9, 0x400, v5
	v_add_nc_u32_e32 v10, 0x500, v5
	v_add_nc_u32_e32 v11, 0x600, v5
	v_add_nc_u32_e32 v12, 0x700, v5
	v_add_nc_u32_e32 v13, 0x800, v5
	v_add_nc_u32_e32 v14, 0x900, v5
	v_add_nc_u32_e32 v15, 0xa00, v5
	v_add_nc_u32_e32 v16, 0xb00, v5
	v_add_nc_u32_e32 v17, 0xc00, v5
	s_cbranch_vccz .LBB566_6
; %bb.5:
	v_lshlrev_b32_e32 v18, 2, v0
	s_mov_b32 s3, 0
	ds_store_2addr_stride64_b32 v18, v5, v6 offset1:4
	ds_store_2addr_stride64_b32 v18, v7, v8 offset0:8 offset1:12
	ds_store_2addr_stride64_b32 v18, v9, v10 offset0:16 offset1:20
	;; [unrolled: 1-line block ×5, first 2 shown]
	ds_store_b32 v18, v17 offset:12288
	s_waitcnt vmcnt(0) lgkmcnt(0)
	s_barrier
.LBB566_6:
	s_and_not1_b32 vcc_lo, exec_lo, s3
	s_add_i32 s1, s1, s34
	s_cbranch_vccnz .LBB566_8
; %bb.7:
	v_lshlrev_b32_e32 v18, 2, v0
	ds_store_2addr_stride64_b32 v18, v5, v6 offset1:4
	ds_store_2addr_stride64_b32 v18, v7, v8 offset0:8 offset1:12
	ds_store_2addr_stride64_b32 v18, v9, v10 offset0:16 offset1:20
	ds_store_2addr_stride64_b32 v18, v11, v12 offset0:24 offset1:28
	ds_store_2addr_stride64_b32 v18, v13, v14 offset0:32 offset1:36
	ds_store_2addr_stride64_b32 v18, v15, v16 offset0:40 offset1:44
	ds_store_b32 v18, v17 offset:12288
	s_waitcnt vmcnt(0) lgkmcnt(0)
	s_barrier
.LBB566_8:
	v_mul_u32_u24_e32 v33, 13, v0
	s_waitcnt vmcnt(0)
	buffer_gl0_inv
	v_cndmask_b32_e64 v31, 0, 1, s0
	s_sub_i32 s40, s4, s1
	s_and_not1_b32 vcc_lo, exec_lo, s0
	v_lshlrev_b32_e32 v5, 2, v33
	ds_load_2addr_b32 v[20:21], v5 offset1:1
	ds_load_2addr_b32 v[18:19], v5 offset0:2 offset1:3
	ds_load_2addr_b32 v[16:17], v5 offset0:4 offset1:5
	;; [unrolled: 1-line block ×5, first 2 shown]
	ds_load_b32 v32, v5 offset:48
	s_waitcnt lgkmcnt(0)
	s_barrier
	buffer_gl0_inv
	s_cbranch_vccnz .LBB566_36
; %bb.9:
	v_add_nc_u32_e32 v5, s17, v20
	v_add_nc_u32_e32 v6, s19, v20
	s_mov_b32 s42, 0
	s_mov_b32 s41, 0
	s_mov_b32 s1, exec_lo
	v_mul_lo_u32 v5, v5, s16
	v_mul_lo_u32 v6, v6, s18
	s_delay_alu instid0(VALU_DEP_1) | instskip(NEXT) | instid1(VALU_DEP_1)
	v_sub_nc_u32_e32 v5, v5, v6
	v_cmp_lt_u32_e32 vcc_lo, s20, v5
	v_cmpx_ge_u32_e64 s20, v5
; %bb.10:
	v_add_nc_u32_e32 v5, s22, v20
	v_add_nc_u32_e32 v6, s38, v20
	s_delay_alu instid0(VALU_DEP_2) | instskip(NEXT) | instid1(VALU_DEP_2)
	v_mul_lo_u32 v5, v5, s21
	v_mul_lo_u32 v6, v6, s23
	s_delay_alu instid0(VALU_DEP_1) | instskip(NEXT) | instid1(VALU_DEP_1)
	v_sub_nc_u32_e32 v5, v5, v6
	v_cmp_lt_u32_e64 s0, s39, v5
	s_delay_alu instid0(VALU_DEP_1)
	s_and_b32 s41, s0, exec_lo
; %bb.11:
	s_or_b32 exec_lo, exec_lo, s1
	v_add_nc_u32_e32 v5, s17, v21
	v_add_nc_u32_e32 v6, s19, v21
	s_mov_b32 s3, exec_lo
	s_delay_alu instid0(VALU_DEP_2) | instskip(NEXT) | instid1(VALU_DEP_2)
	v_mul_lo_u32 v5, v5, s16
	v_mul_lo_u32 v6, v6, s18
	s_delay_alu instid0(VALU_DEP_1) | instskip(NEXT) | instid1(VALU_DEP_1)
	v_sub_nc_u32_e32 v5, v5, v6
	v_cmp_lt_u32_e64 s0, s20, v5
	v_cmpx_ge_u32_e64 s20, v5
; %bb.12:
	v_add_nc_u32_e32 v5, s22, v21
	v_add_nc_u32_e32 v6, s38, v21
	s_delay_alu instid0(VALU_DEP_2) | instskip(NEXT) | instid1(VALU_DEP_2)
	v_mul_lo_u32 v5, v5, s21
	v_mul_lo_u32 v6, v6, s23
	s_delay_alu instid0(VALU_DEP_1) | instskip(NEXT) | instid1(VALU_DEP_1)
	v_sub_nc_u32_e32 v5, v5, v6
	v_cmp_lt_u32_e64 s1, s39, v5
	s_delay_alu instid0(VALU_DEP_1)
	s_and_b32 s42, s1, exec_lo
; %bb.13:
	s_or_b32 exec_lo, exec_lo, s3
	v_add_nc_u32_e32 v5, s17, v18
	v_add_nc_u32_e32 v6, s19, v18
	s_mov_b32 s44, 0
	s_mov_b32 s43, 0
	s_mov_b32 s4, exec_lo
	v_mul_lo_u32 v5, v5, s16
	v_mul_lo_u32 v6, v6, s18
	s_delay_alu instid0(VALU_DEP_1) | instskip(NEXT) | instid1(VALU_DEP_1)
	v_sub_nc_u32_e32 v5, v5, v6
	v_cmp_lt_u32_e64 s1, s20, v5
	v_cmpx_ge_u32_e64 s20, v5
; %bb.14:
	v_add_nc_u32_e32 v5, s22, v18
	v_add_nc_u32_e32 v6, s38, v18
	s_delay_alu instid0(VALU_DEP_2) | instskip(NEXT) | instid1(VALU_DEP_2)
	v_mul_lo_u32 v5, v5, s21
	v_mul_lo_u32 v6, v6, s23
	s_delay_alu instid0(VALU_DEP_1) | instskip(NEXT) | instid1(VALU_DEP_1)
	v_sub_nc_u32_e32 v5, v5, v6
	v_cmp_lt_u32_e64 s3, s39, v5
	s_delay_alu instid0(VALU_DEP_1)
	s_and_b32 s43, s3, exec_lo
; %bb.15:
	s_or_b32 exec_lo, exec_lo, s4
	v_add_nc_u32_e32 v5, s17, v19
	v_add_nc_u32_e32 v6, s19, v19
	s_mov_b32 s5, exec_lo
	s_delay_alu instid0(VALU_DEP_2) | instskip(NEXT) | instid1(VALU_DEP_2)
	v_mul_lo_u32 v5, v5, s16
	v_mul_lo_u32 v6, v6, s18
	s_delay_alu instid0(VALU_DEP_1) | instskip(NEXT) | instid1(VALU_DEP_1)
	v_sub_nc_u32_e32 v5, v5, v6
	v_cmp_lt_u32_e64 s3, s20, v5
	v_cmpx_ge_u32_e64 s20, v5
; %bb.16:
	v_add_nc_u32_e32 v5, s22, v19
	v_add_nc_u32_e32 v6, s38, v19
	s_delay_alu instid0(VALU_DEP_2) | instskip(NEXT) | instid1(VALU_DEP_2)
	v_mul_lo_u32 v5, v5, s21
	v_mul_lo_u32 v6, v6, s23
	s_delay_alu instid0(VALU_DEP_1) | instskip(NEXT) | instid1(VALU_DEP_1)
	v_sub_nc_u32_e32 v5, v5, v6
	v_cmp_lt_u32_e64 s4, s39, v5
	s_delay_alu instid0(VALU_DEP_1)
	s_and_b32 s44, s4, exec_lo
; %bb.17:
	s_or_b32 exec_lo, exec_lo, s5
	v_add_nc_u32_e32 v5, s17, v16
	v_add_nc_u32_e32 v6, s19, v16
	s_mov_b32 s46, 0
	s_mov_b32 s45, 0
	s_mov_b32 s6, exec_lo
	v_mul_lo_u32 v5, v5, s16
	v_mul_lo_u32 v6, v6, s18
	s_delay_alu instid0(VALU_DEP_1) | instskip(NEXT) | instid1(VALU_DEP_1)
	v_sub_nc_u32_e32 v5, v5, v6
	v_cmp_lt_u32_e64 s4, s20, v5
	;; [unrolled: 47-line block ×5, first 2 shown]
	v_cmpx_ge_u32_e64 s20, v5
; %bb.30:
	v_add_nc_u32_e32 v5, s22, v10
	v_add_nc_u32_e32 v6, s38, v10
	s_delay_alu instid0(VALU_DEP_2) | instskip(NEXT) | instid1(VALU_DEP_2)
	v_mul_lo_u32 v5, v5, s21
	v_mul_lo_u32 v6, v6, s23
	s_delay_alu instid0(VALU_DEP_1) | instskip(NEXT) | instid1(VALU_DEP_1)
	v_sub_nc_u32_e32 v5, v5, v6
	v_cmp_lt_u32_e64 s11, s39, v5
	s_delay_alu instid0(VALU_DEP_1)
	s_and_b32 s53, s11, exec_lo
; %bb.31:
	s_or_b32 exec_lo, exec_lo, s12
	v_add_nc_u32_e32 v5, s17, v11
	v_add_nc_u32_e32 v6, s19, v11
	s_mov_b32 s27, exec_lo
	s_delay_alu instid0(VALU_DEP_2) | instskip(NEXT) | instid1(VALU_DEP_2)
	v_mul_lo_u32 v5, v5, s16
	v_mul_lo_u32 v6, v6, s18
	s_delay_alu instid0(VALU_DEP_1) | instskip(NEXT) | instid1(VALU_DEP_1)
	v_sub_nc_u32_e32 v5, v5, v6
	v_cmp_lt_u32_e64 s11, s20, v5
	v_cmpx_ge_u32_e64 s20, v5
; %bb.32:
	v_add_nc_u32_e32 v5, s22, v11
	v_add_nc_u32_e32 v6, s38, v11
	s_delay_alu instid0(VALU_DEP_2) | instskip(NEXT) | instid1(VALU_DEP_2)
	v_mul_lo_u32 v5, v5, s21
	v_mul_lo_u32 v6, v6, s23
	s_delay_alu instid0(VALU_DEP_1) | instskip(NEXT) | instid1(VALU_DEP_1)
	v_sub_nc_u32_e32 v5, v5, v6
	v_cmp_lt_u32_e64 s12, s39, v5
	s_delay_alu instid0(VALU_DEP_1)
	s_and_b32 s52, s12, exec_lo
; %bb.33:
	s_or_b32 exec_lo, exec_lo, s27
	v_add_nc_u32_e32 v5, s17, v32
	v_add_nc_u32_e32 v6, s19, v32
	s_mov_b32 s27, -1
	s_mov_b32 s49, 0
	s_mov_b32 s33, 0
	v_mul_lo_u32 v5, v5, s16
	v_mul_lo_u32 v6, v6, s18
	s_mov_b32 s54, exec_lo
	s_delay_alu instid0(VALU_DEP_1) | instskip(NEXT) | instid1(VALU_DEP_1)
	v_sub_nc_u32_e32 v5, v5, v6
	v_cmpx_ge_u32_e64 s20, v5
; %bb.34:
	v_add_nc_u32_e32 v5, s22, v32
	v_add_nc_u32_e32 v6, s38, v32
	s_xor_b32 s27, exec_lo, -1
	s_delay_alu instid0(VALU_DEP_2) | instskip(NEXT) | instid1(VALU_DEP_2)
	v_mul_lo_u32 v5, v5, s21
	v_mul_lo_u32 v6, v6, s23
	s_delay_alu instid0(VALU_DEP_1) | instskip(NEXT) | instid1(VALU_DEP_1)
	v_sub_nc_u32_e32 v5, v5, v6
	v_cmp_lt_u32_e64 s12, s39, v5
	s_delay_alu instid0(VALU_DEP_1)
	s_and_b32 s33, s12, exec_lo
; %bb.35:
	s_or_b32 exec_lo, exec_lo, s54
	v_cndmask_b32_e64 v53, 0, 1, s53
	v_cndmask_b32_e64 v56, 0, 1, s11
	;; [unrolled: 1-line block ×22, first 2 shown]
	v_cndmask_b32_e64 v34, 0, 1, vcc_lo
	v_cndmask_b32_e64 v57, 0, 1, s52
	s_and_b32 vcc_lo, exec_lo, s49
	s_add_i32 s4, s40, 0xd00
	s_cbranch_vccnz .LBB566_37
	s_branch .LBB566_90
.LBB566_36:
                                        ; implicit-def: $sgpr27
                                        ; implicit-def: $sgpr33
                                        ; implicit-def: $vgpr57
                                        ; implicit-def: $vgpr53
                                        ; implicit-def: $vgpr52
                                        ; implicit-def: $vgpr50
                                        ; implicit-def: $vgpr48
                                        ; implicit-def: $vgpr46
                                        ; implicit-def: $vgpr44
                                        ; implicit-def: $vgpr42
                                        ; implicit-def: $vgpr39
                                        ; implicit-def: $vgpr34
                                        ; implicit-def: $vgpr37
                                        ; implicit-def: $vgpr36
                                        ; implicit-def: $vgpr41
                                        ; implicit-def: $vgpr43
                                        ; implicit-def: $vgpr45
                                        ; implicit-def: $vgpr47
                                        ; implicit-def: $vgpr49
                                        ; implicit-def: $vgpr51
                                        ; implicit-def: $vgpr54
                                        ; implicit-def: $vgpr55
                                        ; implicit-def: $vgpr56
                                        ; implicit-def: $vgpr35
                                        ; implicit-def: $vgpr40
                                        ; implicit-def: $vgpr38
	s_add_i32 s4, s40, 0xd00
	s_cbranch_execz .LBB566_90
.LBB566_37:
	v_dual_mov_b32 v35, 0 :: v_dual_mov_b32 v34, 0
	s_mov_b32 s3, 0
	s_mov_b32 s1, exec_lo
	v_cmpx_gt_u32_e64 s4, v33
	s_cbranch_execz .LBB566_41
; %bb.38:
	v_add_nc_u32_e32 v5, s17, v20
	v_add_nc_u32_e32 v6, s19, v20
	s_mov_b32 s5, exec_lo
	s_delay_alu instid0(VALU_DEP_2) | instskip(NEXT) | instid1(VALU_DEP_2)
	v_mul_lo_u32 v5, v5, s16
	v_mul_lo_u32 v6, v6, s18
	s_delay_alu instid0(VALU_DEP_1) | instskip(NEXT) | instid1(VALU_DEP_1)
	v_sub_nc_u32_e32 v5, v5, v6
	v_cmp_lt_u32_e32 vcc_lo, s20, v5
	v_cmpx_ge_u32_e64 s20, v5
; %bb.39:
	v_add_nc_u32_e32 v5, s22, v20
	v_add_nc_u32_e32 v6, s38, v20
	s_delay_alu instid0(VALU_DEP_2) | instskip(NEXT) | instid1(VALU_DEP_2)
	v_mul_lo_u32 v5, v5, s21
	v_mul_lo_u32 v6, v6, s23
	s_delay_alu instid0(VALU_DEP_1) | instskip(NEXT) | instid1(VALU_DEP_1)
	v_sub_nc_u32_e32 v5, v5, v6
	v_cmp_lt_u32_e64 s0, s39, v5
	s_delay_alu instid0(VALU_DEP_1)
	s_and_b32 s3, s0, exec_lo
; %bb.40:
	s_or_b32 exec_lo, exec_lo, s5
	v_cndmask_b32_e64 v34, 0, 1, vcc_lo
	v_cndmask_b32_e64 v35, 0, 1, s3
.LBB566_41:
	s_or_b32 exec_lo, exec_lo, s1
	v_dual_mov_b32 v40, 0 :: v_dual_add_nc_u32 v5, 1, v33
	v_mov_b32_e32 v37, 0
	s_mov_b32 s3, 0
	s_mov_b32 s1, exec_lo
	s_delay_alu instid0(VALU_DEP_2)
	v_cmpx_gt_u32_e64 s4, v5
	s_cbranch_execz .LBB566_45
; %bb.42:
	v_add_nc_u32_e32 v5, s17, v21
	v_add_nc_u32_e32 v6, s19, v21
	s_mov_b32 s5, exec_lo
	s_delay_alu instid0(VALU_DEP_2) | instskip(NEXT) | instid1(VALU_DEP_2)
	v_mul_lo_u32 v5, v5, s16
	v_mul_lo_u32 v6, v6, s18
	s_delay_alu instid0(VALU_DEP_1) | instskip(NEXT) | instid1(VALU_DEP_1)
	v_sub_nc_u32_e32 v5, v5, v6
	v_cmp_lt_u32_e32 vcc_lo, s20, v5
	v_cmpx_ge_u32_e64 s20, v5
; %bb.43:
	v_add_nc_u32_e32 v5, s22, v21
	v_add_nc_u32_e32 v6, s38, v21
	s_delay_alu instid0(VALU_DEP_2) | instskip(NEXT) | instid1(VALU_DEP_2)
	v_mul_lo_u32 v5, v5, s21
	v_mul_lo_u32 v6, v6, s23
	s_delay_alu instid0(VALU_DEP_1) | instskip(NEXT) | instid1(VALU_DEP_1)
	v_sub_nc_u32_e32 v5, v5, v6
	v_cmp_lt_u32_e64 s0, s39, v5
	s_delay_alu instid0(VALU_DEP_1)
	s_and_b32 s3, s0, exec_lo
; %bb.44:
	s_or_b32 exec_lo, exec_lo, s5
	v_cndmask_b32_e64 v37, 0, 1, vcc_lo
	v_cndmask_b32_e64 v40, 0, 1, s3
.LBB566_45:
	s_or_b32 exec_lo, exec_lo, s1
	v_dual_mov_b32 v36, 0 :: v_dual_add_nc_u32 v5, 2, v33
	v_mov_b32_e32 v38, 0
	s_mov_b32 s3, 0
	s_mov_b32 s1, exec_lo
	s_delay_alu instid0(VALU_DEP_2)
	v_cmpx_gt_u32_e64 s4, v5
	s_cbranch_execz .LBB566_49
; %bb.46:
	v_add_nc_u32_e32 v5, s17, v18
	v_add_nc_u32_e32 v6, s19, v18
	s_mov_b32 s5, exec_lo
	s_delay_alu instid0(VALU_DEP_2) | instskip(NEXT) | instid1(VALU_DEP_2)
	v_mul_lo_u32 v5, v5, s16
	v_mul_lo_u32 v6, v6, s18
	s_delay_alu instid0(VALU_DEP_1) | instskip(NEXT) | instid1(VALU_DEP_1)
	v_sub_nc_u32_e32 v5, v5, v6
	v_cmp_lt_u32_e32 vcc_lo, s20, v5
	v_cmpx_ge_u32_e64 s20, v5
; %bb.47:
	v_add_nc_u32_e32 v5, s22, v18
	v_add_nc_u32_e32 v6, s38, v18
	s_delay_alu instid0(VALU_DEP_2) | instskip(NEXT) | instid1(VALU_DEP_2)
	v_mul_lo_u32 v5, v5, s21
	v_mul_lo_u32 v6, v6, s23
	s_delay_alu instid0(VALU_DEP_1) | instskip(NEXT) | instid1(VALU_DEP_1)
	v_sub_nc_u32_e32 v5, v5, v6
	v_cmp_lt_u32_e64 s0, s39, v5
	s_delay_alu instid0(VALU_DEP_1)
	s_and_b32 s3, s0, exec_lo
; %bb.48:
	s_or_b32 exec_lo, exec_lo, s5
	v_cndmask_b32_e64 v36, 0, 1, vcc_lo
	v_cndmask_b32_e64 v38, 0, 1, s3
.LBB566_49:
	s_or_b32 exec_lo, exec_lo, s1
	v_add_nc_u32_e32 v5, 3, v33
	v_mov_b32_e32 v39, 0
	v_mov_b32_e32 v41, 0
	s_mov_b32 s3, 0
	s_mov_b32 s1, exec_lo
	v_cmpx_gt_u32_e64 s4, v5
	s_cbranch_execz .LBB566_53
; %bb.50:
	v_add_nc_u32_e32 v5, s17, v19
	v_add_nc_u32_e32 v6, s19, v19
	s_mov_b32 s5, exec_lo
	s_delay_alu instid0(VALU_DEP_2) | instskip(NEXT) | instid1(VALU_DEP_2)
	v_mul_lo_u32 v5, v5, s16
	v_mul_lo_u32 v6, v6, s18
	s_delay_alu instid0(VALU_DEP_1) | instskip(NEXT) | instid1(VALU_DEP_1)
	v_sub_nc_u32_e32 v5, v5, v6
	v_cmp_lt_u32_e32 vcc_lo, s20, v5
	v_cmpx_ge_u32_e64 s20, v5
; %bb.51:
	v_add_nc_u32_e32 v5, s22, v19
	v_add_nc_u32_e32 v6, s38, v19
	s_delay_alu instid0(VALU_DEP_2) | instskip(NEXT) | instid1(VALU_DEP_2)
	v_mul_lo_u32 v5, v5, s21
	v_mul_lo_u32 v6, v6, s23
	s_delay_alu instid0(VALU_DEP_1) | instskip(NEXT) | instid1(VALU_DEP_1)
	v_sub_nc_u32_e32 v5, v5, v6
	v_cmp_lt_u32_e64 s0, s39, v5
	s_delay_alu instid0(VALU_DEP_1)
	s_and_b32 s3, s0, exec_lo
; %bb.52:
	s_or_b32 exec_lo, exec_lo, s5
	v_cndmask_b32_e64 v41, 0, 1, vcc_lo
	v_cndmask_b32_e64 v39, 0, 1, s3
.LBB566_53:
	s_or_b32 exec_lo, exec_lo, s1
	v_dual_mov_b32 v42, 0 :: v_dual_add_nc_u32 v5, 4, v33
	v_mov_b32_e32 v43, 0
	s_mov_b32 s3, 0
	s_mov_b32 s1, exec_lo
	s_delay_alu instid0(VALU_DEP_2)
	v_cmpx_gt_u32_e64 s4, v5
	s_cbranch_execz .LBB566_57
; %bb.54:
	v_add_nc_u32_e32 v5, s17, v16
	v_add_nc_u32_e32 v6, s19, v16
	s_mov_b32 s5, exec_lo
	s_delay_alu instid0(VALU_DEP_2) | instskip(NEXT) | instid1(VALU_DEP_2)
	v_mul_lo_u32 v5, v5, s16
	v_mul_lo_u32 v6, v6, s18
	s_delay_alu instid0(VALU_DEP_1) | instskip(NEXT) | instid1(VALU_DEP_1)
	v_sub_nc_u32_e32 v5, v5, v6
	v_cmp_lt_u32_e32 vcc_lo, s20, v5
	v_cmpx_ge_u32_e64 s20, v5
; %bb.55:
	v_add_nc_u32_e32 v5, s22, v16
	v_add_nc_u32_e32 v6, s38, v16
	s_delay_alu instid0(VALU_DEP_2) | instskip(NEXT) | instid1(VALU_DEP_2)
	v_mul_lo_u32 v5, v5, s21
	v_mul_lo_u32 v6, v6, s23
	s_delay_alu instid0(VALU_DEP_1) | instskip(NEXT) | instid1(VALU_DEP_1)
	v_sub_nc_u32_e32 v5, v5, v6
	v_cmp_lt_u32_e64 s0, s39, v5
	s_delay_alu instid0(VALU_DEP_1)
	s_and_b32 s3, s0, exec_lo
; %bb.56:
	s_or_b32 exec_lo, exec_lo, s5
	v_cndmask_b32_e64 v43, 0, 1, vcc_lo
	v_cndmask_b32_e64 v42, 0, 1, s3
.LBB566_57:
	s_or_b32 exec_lo, exec_lo, s1
	v_dual_mov_b32 v44, 0 :: v_dual_add_nc_u32 v5, 5, v33
	v_mov_b32_e32 v45, 0
	s_mov_b32 s3, 0
	s_mov_b32 s1, exec_lo
	s_delay_alu instid0(VALU_DEP_2)
	;; [unrolled: 35-line block ×6, first 2 shown]
	v_cmpx_gt_u32_e64 s4, v5
	s_cbranch_execz .LBB566_77
; %bb.74:
	v_add_nc_u32_e32 v5, s17, v13
	v_add_nc_u32_e32 v6, s19, v13
	s_mov_b32 s5, exec_lo
	s_delay_alu instid0(VALU_DEP_2) | instskip(NEXT) | instid1(VALU_DEP_2)
	v_mul_lo_u32 v5, v5, s16
	v_mul_lo_u32 v6, v6, s18
	s_delay_alu instid0(VALU_DEP_1) | instskip(NEXT) | instid1(VALU_DEP_1)
	v_sub_nc_u32_e32 v5, v5, v6
	v_cmp_lt_u32_e32 vcc_lo, s20, v5
	v_cmpx_ge_u32_e64 s20, v5
; %bb.75:
	v_add_nc_u32_e32 v5, s22, v13
	v_add_nc_u32_e32 v6, s38, v13
	s_delay_alu instid0(VALU_DEP_2) | instskip(NEXT) | instid1(VALU_DEP_2)
	v_mul_lo_u32 v5, v5, s21
	v_mul_lo_u32 v6, v6, s23
	s_delay_alu instid0(VALU_DEP_1) | instskip(NEXT) | instid1(VALU_DEP_1)
	v_sub_nc_u32_e32 v5, v5, v6
	v_cmp_lt_u32_e64 s0, s39, v5
	s_delay_alu instid0(VALU_DEP_1)
	s_and_b32 s3, s0, exec_lo
; %bb.76:
	s_or_b32 exec_lo, exec_lo, s5
	v_cndmask_b32_e64 v54, 0, 1, vcc_lo
	v_cndmask_b32_e64 v52, 0, 1, s3
.LBB566_77:
	s_or_b32 exec_lo, exec_lo, s1
	v_add_nc_u32_e32 v5, 10, v33
	v_mov_b32_e32 v53, 0
	v_mov_b32_e32 v55, 0
	s_mov_b32 s3, 0
	s_mov_b32 s1, exec_lo
	v_cmpx_gt_u32_e64 s4, v5
	s_cbranch_execz .LBB566_81
; %bb.78:
	v_add_nc_u32_e32 v5, s17, v10
	v_add_nc_u32_e32 v6, s19, v10
	s_mov_b32 s5, exec_lo
	s_delay_alu instid0(VALU_DEP_2) | instskip(NEXT) | instid1(VALU_DEP_2)
	v_mul_lo_u32 v5, v5, s16
	v_mul_lo_u32 v6, v6, s18
	s_delay_alu instid0(VALU_DEP_1) | instskip(NEXT) | instid1(VALU_DEP_1)
	v_sub_nc_u32_e32 v5, v5, v6
	v_cmp_lt_u32_e32 vcc_lo, s20, v5
	v_cmpx_ge_u32_e64 s20, v5
; %bb.79:
	v_add_nc_u32_e32 v5, s22, v10
	v_add_nc_u32_e32 v6, s38, v10
	s_delay_alu instid0(VALU_DEP_2) | instskip(NEXT) | instid1(VALU_DEP_2)
	v_mul_lo_u32 v5, v5, s21
	v_mul_lo_u32 v6, v6, s23
	s_delay_alu instid0(VALU_DEP_1) | instskip(NEXT) | instid1(VALU_DEP_1)
	v_sub_nc_u32_e32 v5, v5, v6
	v_cmp_lt_u32_e64 s0, s39, v5
	s_delay_alu instid0(VALU_DEP_1)
	s_and_b32 s3, s0, exec_lo
; %bb.80:
	s_or_b32 exec_lo, exec_lo, s5
	v_cndmask_b32_e64 v55, 0, 1, vcc_lo
	v_cndmask_b32_e64 v53, 0, 1, s3
.LBB566_81:
	s_or_b32 exec_lo, exec_lo, s1
	v_dual_mov_b32 v56, 0 :: v_dual_add_nc_u32 v5, 11, v33
	v_mov_b32_e32 v57, 0
	s_mov_b32 s3, 0
	s_mov_b32 s1, exec_lo
	s_delay_alu instid0(VALU_DEP_2)
	v_cmpx_gt_u32_e64 s4, v5
	s_cbranch_execz .LBB566_85
; %bb.82:
	v_add_nc_u32_e32 v5, s17, v11
	v_add_nc_u32_e32 v6, s19, v11
	s_mov_b32 s5, exec_lo
	s_delay_alu instid0(VALU_DEP_2) | instskip(NEXT) | instid1(VALU_DEP_2)
	v_mul_lo_u32 v5, v5, s16
	v_mul_lo_u32 v6, v6, s18
	s_delay_alu instid0(VALU_DEP_1) | instskip(NEXT) | instid1(VALU_DEP_1)
	v_sub_nc_u32_e32 v5, v5, v6
	v_cmp_lt_u32_e32 vcc_lo, s20, v5
	v_cmpx_ge_u32_e64 s20, v5
; %bb.83:
	v_add_nc_u32_e32 v5, s22, v11
	v_add_nc_u32_e32 v6, s38, v11
	s_delay_alu instid0(VALU_DEP_2) | instskip(NEXT) | instid1(VALU_DEP_2)
	v_mul_lo_u32 v5, v5, s21
	v_mul_lo_u32 v6, v6, s23
	s_delay_alu instid0(VALU_DEP_1) | instskip(NEXT) | instid1(VALU_DEP_1)
	v_sub_nc_u32_e32 v5, v5, v6
	v_cmp_lt_u32_e64 s0, s39, v5
	s_delay_alu instid0(VALU_DEP_1)
	s_and_b32 s3, s0, exec_lo
; %bb.84:
	s_or_b32 exec_lo, exec_lo, s5
	v_cndmask_b32_e64 v56, 0, 1, vcc_lo
	v_cndmask_b32_e64 v57, 0, 1, s3
.LBB566_85:
	s_or_b32 exec_lo, exec_lo, s1
	v_add_nc_u32_e32 v5, 12, v33
	s_mov_b32 s27, 0
	s_mov_b32 s33, 0
	s_mov_b32 s0, exec_lo
	s_delay_alu instid0(VALU_DEP_1)
	v_cmpx_gt_u32_e64 s4, v5
	s_cbranch_execz .LBB566_89
; %bb.86:
	v_add_nc_u32_e32 v5, s17, v32
	v_add_nc_u32_e32 v6, s19, v32
	s_mov_b32 s3, -1
	s_mov_b32 s5, 0
	s_mov_b32 s1, exec_lo
	v_mul_lo_u32 v5, v5, s16
	v_mul_lo_u32 v6, v6, s18
	s_delay_alu instid0(VALU_DEP_1) | instskip(NEXT) | instid1(VALU_DEP_1)
	v_sub_nc_u32_e32 v5, v5, v6
	v_cmpx_ge_u32_e64 s20, v5
; %bb.87:
	v_add_nc_u32_e32 v5, s22, v32
	v_add_nc_u32_e32 v6, s38, v32
	s_xor_b32 s3, exec_lo, -1
	s_delay_alu instid0(VALU_DEP_2) | instskip(NEXT) | instid1(VALU_DEP_2)
	v_mul_lo_u32 v5, v5, s21
	v_mul_lo_u32 v6, v6, s23
	s_delay_alu instid0(VALU_DEP_1) | instskip(NEXT) | instid1(VALU_DEP_1)
	v_sub_nc_u32_e32 v5, v5, v6
	v_cmp_lt_u32_e32 vcc_lo, s39, v5
	s_and_b32 s5, vcc_lo, exec_lo
; %bb.88:
	s_or_b32 exec_lo, exec_lo, s1
	s_delay_alu instid0(SALU_CYCLE_1)
	s_and_b32 s33, s5, exec_lo
	s_and_b32 s27, s3, exec_lo
.LBB566_89:
	s_or_b32 exec_lo, exec_lo, s0
.LBB566_90:
	v_and_b32_e32 v80, 0xff, v34
	v_and_b32_e32 v81, 0xff, v35
	;; [unrolled: 1-line block ×10, first 2 shown]
	v_add3_u32 v5, v76, v78, v80
	v_add3_u32 v6, v77, v79, v81
	v_and_b32_e32 v70, 0xff, v45
	v_and_b32_e32 v71, 0xff, v44
	v_and_b32_e32 v64, 0xff, v47
	v_and_b32_e32 v65, 0xff, v46
	v_add3_u32 v5, v5, v74, v72
	v_add3_u32 v6, v6, v75, v73
	v_and_b32_e32 v68, 0xff, v49
	v_and_b32_e32 v69, 0xff, v48
	v_and_b32_e32 v66, 0xff, v51
	v_and_b32_e32 v67, 0xff, v50
	;; [unrolled: 6-line block ×3, first 2 shown]
	v_add3_u32 v5, v5, v68, v66
	v_add3_u32 v6, v6, v69, v67
	v_mbcnt_lo_u32_b32 v82, -1, 0
	v_and_b32_e32 v58, 0xff, v56
	v_and_b32_e32 v59, 0xff, v57
	v_cndmask_b32_e64 v7, 0, 1, s33
	v_add3_u32 v5, v5, v61, v60
	v_cndmask_b32_e64 v8, 0, 1, s27
	v_add3_u32 v6, v6, v62, v63
	v_and_b32_e32 v86, 15, v82
	v_and_b32_e32 v85, 16, v82
	v_lshrrev_b32_e32 v83, 5, v0
	v_add3_u32 v87, v5, v58, v8
	v_add3_u32 v88, v6, v59, v7
	v_cmp_eq_u32_e64 s1, 0, v86
	v_cmp_lt_u32_e64 s0, 1, v86
	v_cmp_lt_u32_e64 s3, 3, v86
	v_cmp_lt_u32_e32 vcc_lo, 7, v86
	v_or_b32_e32 v84, 31, v0
	s_cmp_lg_u32 s26, 0
	s_mov_b32 s5, -1
	s_cbranch_scc0 .LBB566_118
; %bb.91:
	v_mov_b32_dpp v5, v88 row_shr:1 row_mask:0xf bank_mask:0xf
	v_mov_b32_dpp v6, v87 row_shr:1 row_mask:0xf bank_mask:0xf
	s_delay_alu instid0(VALU_DEP_2) | instskip(NEXT) | instid1(VALU_DEP_2)
	v_add_nc_u32_e32 v5, v5, v88
	v_add_nc_u32_e32 v6, v6, v87
	s_delay_alu instid0(VALU_DEP_2) | instskip(NEXT) | instid1(VALU_DEP_2)
	v_cndmask_b32_e64 v5, v5, v88, s1
	v_cndmask_b32_e64 v6, v6, v87, s1
	s_delay_alu instid0(VALU_DEP_2) | instskip(NEXT) | instid1(VALU_DEP_2)
	v_mov_b32_dpp v7, v5 row_shr:2 row_mask:0xf bank_mask:0xf
	v_mov_b32_dpp v8, v6 row_shr:2 row_mask:0xf bank_mask:0xf
	s_delay_alu instid0(VALU_DEP_2) | instskip(NEXT) | instid1(VALU_DEP_1)
	v_add_nc_u32_e32 v7, v5, v7
	v_cndmask_b32_e64 v5, v5, v7, s0
	s_delay_alu instid0(VALU_DEP_1) | instskip(NEXT) | instid1(VALU_DEP_1)
	v_mov_b32_dpp v7, v5 row_shr:4 row_mask:0xf bank_mask:0xf
	v_add_nc_u32_e32 v7, v5, v7
	s_delay_alu instid0(VALU_DEP_1) | instskip(NEXT) | instid1(VALU_DEP_1)
	v_cndmask_b32_e64 v5, v5, v7, s3
	v_mov_b32_dpp v7, v5 row_shr:8 row_mask:0xf bank_mask:0xf
	s_delay_alu instid0(VALU_DEP_1) | instskip(NEXT) | instid1(VALU_DEP_1)
	v_add_nc_u32_e32 v7, v5, v7
	v_dual_cndmask_b32 v5, v5, v7 :: v_dual_add_nc_u32 v8, v6, v8
	s_delay_alu instid0(VALU_DEP_1) | instskip(NEXT) | instid1(VALU_DEP_1)
	v_cndmask_b32_e64 v6, v6, v8, s0
	v_mov_b32_dpp v8, v6 row_shr:4 row_mask:0xf bank_mask:0xf
	s_delay_alu instid0(VALU_DEP_1) | instskip(NEXT) | instid1(VALU_DEP_1)
	v_add_nc_u32_e32 v8, v6, v8
	v_cndmask_b32_e64 v6, v6, v8, s3
	s_mov_b32 s3, exec_lo
	s_delay_alu instid0(VALU_DEP_1) | instskip(NEXT) | instid1(VALU_DEP_1)
	v_mov_b32_dpp v8, v6 row_shr:8 row_mask:0xf bank_mask:0xf
	v_add_nc_u32_e32 v8, v6, v8
	s_delay_alu instid0(VALU_DEP_1)
	v_cndmask_b32_e32 v7, v6, v8, vcc_lo
	ds_swizzle_b32 v6, v5 offset:swizzle(BROADCAST,32,15)
	v_cmp_eq_u32_e32 vcc_lo, 0, v85
	s_waitcnt lgkmcnt(0)
	v_add_nc_u32_e32 v6, v5, v6
	ds_swizzle_b32 v8, v7 offset:swizzle(BROADCAST,32,15)
	v_cndmask_b32_e32 v6, v6, v5, vcc_lo
	s_waitcnt lgkmcnt(0)
	v_add_nc_u32_e32 v8, v7, v8
	s_delay_alu instid0(VALU_DEP_1)
	v_cndmask_b32_e32 v5, v8, v7, vcc_lo
	v_cmpx_eq_u32_e64 v84, v0
	s_cbranch_execz .LBB566_93
; %bb.92:
	v_lshlrev_b32_e32 v7, 3, v83
	ds_store_b64 v7, v[5:6]
.LBB566_93:
	s_or_b32 exec_lo, exec_lo, s3
	s_delay_alu instid0(SALU_CYCLE_1)
	s_mov_b32 s3, exec_lo
	s_waitcnt lgkmcnt(0)
	s_barrier
	buffer_gl0_inv
	v_cmpx_gt_u32_e32 8, v0
	s_cbranch_execz .LBB566_95
; %bb.94:
	v_lshlrev_b32_e32 v9, 3, v0
	ds_load_b64 v[7:8], v9
	s_waitcnt lgkmcnt(0)
	v_mov_b32_dpp v22, v7 row_shr:1 row_mask:0xf bank_mask:0xf
	v_mov_b32_dpp v23, v8 row_shr:1 row_mask:0xf bank_mask:0xf
	s_delay_alu instid0(VALU_DEP_2) | instskip(SKIP_1) | instid1(VALU_DEP_3)
	v_add_nc_u32_e32 v22, v22, v7
	v_and_b32_e32 v24, 7, v82
	v_add_nc_u32_e32 v23, v23, v8
	s_delay_alu instid0(VALU_DEP_2) | instskip(NEXT) | instid1(VALU_DEP_2)
	v_cmp_eq_u32_e32 vcc_lo, 0, v24
	v_dual_cndmask_b32 v8, v23, v8 :: v_dual_cndmask_b32 v7, v22, v7
	v_cmp_lt_u32_e32 vcc_lo, 1, v24
	s_delay_alu instid0(VALU_DEP_2) | instskip(NEXT) | instid1(VALU_DEP_3)
	v_mov_b32_dpp v23, v8 row_shr:2 row_mask:0xf bank_mask:0xf
	v_mov_b32_dpp v22, v7 row_shr:2 row_mask:0xf bank_mask:0xf
	s_delay_alu instid0(VALU_DEP_2) | instskip(NEXT) | instid1(VALU_DEP_2)
	v_add_nc_u32_e32 v23, v8, v23
	v_add_nc_u32_e32 v22, v7, v22
	s_delay_alu instid0(VALU_DEP_1) | instskip(SKIP_1) | instid1(VALU_DEP_2)
	v_dual_cndmask_b32 v8, v8, v23 :: v_dual_cndmask_b32 v7, v7, v22
	v_cmp_lt_u32_e32 vcc_lo, 3, v24
	v_mov_b32_dpp v23, v8 row_shr:4 row_mask:0xf bank_mask:0xf
	s_delay_alu instid0(VALU_DEP_3) | instskip(NEXT) | instid1(VALU_DEP_1)
	v_mov_b32_dpp v22, v7 row_shr:4 row_mask:0xf bank_mask:0xf
	v_dual_cndmask_b32 v23, 0, v23 :: v_dual_cndmask_b32 v22, 0, v22
	s_delay_alu instid0(VALU_DEP_1) | instskip(NEXT) | instid1(VALU_DEP_2)
	v_add_nc_u32_e32 v8, v23, v8
	v_add_nc_u32_e32 v7, v22, v7
	ds_store_b64 v9, v[7:8]
.LBB566_95:
	s_or_b32 exec_lo, exec_lo, s3
	v_cmp_gt_u32_e32 vcc_lo, 32, v0
	v_cmp_lt_u32_e64 s3, 31, v0
	s_waitcnt lgkmcnt(0)
	s_barrier
	buffer_gl0_inv
                                        ; implicit-def: $vgpr23
	s_and_saveexec_b32 s5, s3
	s_delay_alu instid0(SALU_CYCLE_1)
	s_xor_b32 s3, exec_lo, s5
	s_cbranch_execz .LBB566_97
; %bb.96:
	v_lshl_add_u32 v7, v83, 3, -8
	ds_load_b64 v[22:23], v7
	s_waitcnt lgkmcnt(0)
	v_add_nc_u32_e32 v6, v23, v6
	v_add_nc_u32_e32 v5, v22, v5
.LBB566_97:
	s_and_not1_saveexec_b32 s3, s3
; %bb.98:
                                        ; implicit-def: $vgpr22
; %bb.99:
	s_delay_alu instid0(SALU_CYCLE_1) | instskip(SKIP_1) | instid1(VALU_DEP_1)
	s_or_b32 exec_lo, exec_lo, s3
	v_add_nc_u32_e32 v7, -1, v82
	v_cmp_gt_i32_e64 s3, 0, v7
	s_delay_alu instid0(VALU_DEP_1) | instskip(SKIP_1) | instid1(VALU_DEP_2)
	v_cndmask_b32_e64 v7, v7, v82, s3
	v_cmp_eq_u32_e64 s3, 0, v82
	v_lshlrev_b32_e32 v7, 2, v7
	ds_bpermute_b32 v89, v7, v5
	ds_bpermute_b32 v90, v7, v6
	s_and_saveexec_b32 s5, vcc_lo
	s_cbranch_execz .LBB566_117
; %bb.100:
	v_mov_b32_e32 v8, 0
	ds_load_b64 v[5:6], v8 offset:56
	s_waitcnt lgkmcnt(0)
	v_readfirstlane_b32 s6, v6
	s_and_saveexec_b32 s7, s3
	s_cbranch_execz .LBB566_102
; %bb.101:
	s_add_i32 s8, s26, 32
	s_mov_b32 s9, 0
	v_mov_b32_e32 v7, 1
	s_lshl_b64 s[10:11], s[8:9], 4
	s_mov_b32 s16, s9
	s_add_u32 s10, s36, s10
	s_addc_u32 s11, s37, s11
	s_and_b32 s17, s6, 0xff000000
	s_and_b32 s19, s6, 0xff0000
	s_mov_b32 s18, s9
	v_dual_mov_b32 v25, s11 :: v_dual_mov_b32 v24, s10
	s_or_b64 s[16:17], s[18:19], s[16:17]
	s_and_b32 s19, s6, 0xff00
	s_delay_alu instid0(SALU_CYCLE_1) | instskip(SKIP_1) | instid1(SALU_CYCLE_1)
	s_or_b64 s[16:17], s[16:17], s[18:19]
	s_and_b32 s19, s6, 0xff
	s_or_b64 s[8:9], s[16:17], s[18:19]
	s_delay_alu instid0(SALU_CYCLE_1)
	v_mov_b32_e32 v6, s9
	;;#ASMSTART
	global_store_dwordx4 v[24:25], v[5:8] off	
s_waitcnt vmcnt(0)
	;;#ASMEND
.LBB566_102:
	s_or_b32 exec_lo, exec_lo, s7
	v_xad_u32 v24, v82, -1, s26
	s_mov_b32 s8, 0
	s_mov_b32 s7, exec_lo
	s_delay_alu instid0(VALU_DEP_1) | instskip(NEXT) | instid1(VALU_DEP_1)
	v_add_nc_u32_e32 v7, 32, v24
	v_lshlrev_b64 v[6:7], 4, v[7:8]
	s_delay_alu instid0(VALU_DEP_1) | instskip(NEXT) | instid1(VALU_DEP_2)
	v_add_co_u32 v25, vcc_lo, s36, v6
	v_add_co_ci_u32_e32 v26, vcc_lo, s37, v7, vcc_lo
	;;#ASMSTART
	global_load_dwordx4 v[6:9], v[25:26] off glc	
s_waitcnt vmcnt(0)
	;;#ASMEND
	v_and_b32_e32 v9, 0xff, v7
	v_and_b32_e32 v27, 0xff00, v7
	v_or3_b32 v6, v6, 0, 0
	v_and_b32_e32 v28, 0xff000000, v7
	v_and_b32_e32 v7, 0xff0000, v7
	s_delay_alu instid0(VALU_DEP_4) | instskip(SKIP_2) | instid1(VALU_DEP_3)
	v_or3_b32 v9, 0, v9, v27
	v_and_b32_e32 v27, 0xff, v8
	v_or3_b32 v6, v6, 0, 0
	v_or3_b32 v7, v9, v7, v28
	s_delay_alu instid0(VALU_DEP_3)
	v_cmpx_eq_u16_e32 0, v27
	s_cbranch_execz .LBB566_105
.LBB566_103:                            ; =>This Inner Loop Header: Depth=1
	;;#ASMSTART
	global_load_dwordx4 v[6:9], v[25:26] off glc	
s_waitcnt vmcnt(0)
	;;#ASMEND
	v_and_b32_e32 v9, 0xff, v8
	s_delay_alu instid0(VALU_DEP_1) | instskip(SKIP_1) | instid1(SALU_CYCLE_1)
	v_cmp_ne_u16_e32 vcc_lo, 0, v9
	s_or_b32 s8, vcc_lo, s8
	s_and_not1_b32 exec_lo, exec_lo, s8
	s_cbranch_execnz .LBB566_103
; %bb.104:
	s_or_b32 exec_lo, exec_lo, s8
.LBB566_105:
	s_delay_alu instid0(SALU_CYCLE_1) | instskip(SKIP_3) | instid1(VALU_DEP_1)
	s_or_b32 exec_lo, exec_lo, s7
	v_cmp_ne_u32_e32 vcc_lo, 31, v82
	v_lshlrev_b32_e64 v92, v82, -1
	v_add_co_ci_u32_e32 v9, vcc_lo, 0, v82, vcc_lo
	v_lshlrev_b32_e32 v91, 2, v9
	ds_bpermute_b32 v25, v91, v7
	ds_bpermute_b32 v9, v91, v6
	s_waitcnt lgkmcnt(1)
	v_add_nc_u32_e32 v25, v25, v7
	v_and_b32_e32 v26, 0xff, v8
	s_waitcnt lgkmcnt(0)
	v_add_nc_u32_e32 v9, v9, v6
	s_delay_alu instid0(VALU_DEP_2) | instskip(SKIP_2) | instid1(VALU_DEP_2)
	v_cmp_eq_u16_e32 vcc_lo, 2, v26
	v_and_or_b32 v26, vcc_lo, v92, 0x80000000
	v_cmp_gt_u32_e32 vcc_lo, 30, v82
	v_ctz_i32_b32_e32 v26, v26
	v_cndmask_b32_e64 v27, 0, 1, vcc_lo
	s_delay_alu instid0(VALU_DEP_2) | instskip(NEXT) | instid1(VALU_DEP_2)
	v_cmp_lt_u32_e32 vcc_lo, v82, v26
	v_dual_cndmask_b32 v6, v6, v9 :: v_dual_lshlrev_b32 v27, 1, v27
	s_delay_alu instid0(VALU_DEP_1)
	v_add_lshl_u32 v93, v27, v82, 2
	v_cndmask_b32_e32 v7, v7, v25, vcc_lo
	v_cmp_gt_u32_e32 vcc_lo, 28, v82
	ds_bpermute_b32 v9, v93, v6
	ds_bpermute_b32 v25, v93, v7
	v_cndmask_b32_e64 v27, 0, 1, vcc_lo
	s_waitcnt lgkmcnt(1)
	v_add_nc_u32_e32 v9, v6, v9
	s_waitcnt lgkmcnt(0)
	v_add_nc_u32_e32 v25, v7, v25
	v_add_nc_u32_e32 v94, 2, v82
	s_delay_alu instid0(VALU_DEP_1) | instskip(NEXT) | instid1(VALU_DEP_3)
	v_cmp_gt_u32_e32 vcc_lo, v94, v26
	v_cndmask_b32_e32 v7, v25, v7, vcc_lo
	v_dual_cndmask_b32 v6, v9, v6 :: v_dual_lshlrev_b32 v27, 2, v27
	v_cmp_gt_u32_e32 vcc_lo, 24, v82
	s_delay_alu instid0(VALU_DEP_2) | instskip(SKIP_4) | instid1(VALU_DEP_1)
	v_add_lshl_u32 v95, v27, v82, 2
	v_cndmask_b32_e64 v27, 0, 1, vcc_lo
	ds_bpermute_b32 v25, v95, v7
	ds_bpermute_b32 v9, v95, v6
	v_lshlrev_b32_e32 v27, 3, v27
	v_add_lshl_u32 v97, v27, v82, 2
	s_waitcnt lgkmcnt(1)
	v_add_nc_u32_e32 v25, v7, v25
	v_add_nc_u32_e32 v96, 4, v82
	s_waitcnt lgkmcnt(0)
	v_add_nc_u32_e32 v9, v6, v9
	s_delay_alu instid0(VALU_DEP_2) | instskip(SKIP_1) | instid1(VALU_DEP_3)
	v_cmp_gt_u32_e32 vcc_lo, v96, v26
	v_cndmask_b32_e32 v7, v25, v7, vcc_lo
	v_cndmask_b32_e32 v6, v9, v6, vcc_lo
	v_cmp_gt_u32_e32 vcc_lo, 16, v82
	ds_bpermute_b32 v25, v97, v7
	ds_bpermute_b32 v9, v97, v6
	v_cndmask_b32_e64 v27, 0, 1, vcc_lo
	s_delay_alu instid0(VALU_DEP_1) | instskip(NEXT) | instid1(VALU_DEP_1)
	v_lshlrev_b32_e32 v27, 4, v27
	v_add_lshl_u32 v99, v27, v82, 2
	s_waitcnt lgkmcnt(1)
	v_add_nc_u32_e32 v25, v7, v25
	v_add_nc_u32_e32 v98, 8, v82
	s_waitcnt lgkmcnt(0)
	v_add_nc_u32_e32 v9, v6, v9
	s_delay_alu instid0(VALU_DEP_2) | instskip(SKIP_1) | instid1(VALU_DEP_3)
	v_cmp_gt_u32_e32 vcc_lo, v98, v26
	v_cndmask_b32_e32 v7, v25, v7, vcc_lo
	v_cndmask_b32_e32 v6, v9, v6, vcc_lo
	ds_bpermute_b32 v25, v99, v7
	ds_bpermute_b32 v9, v99, v6
	v_add_nc_u32_e32 v100, 16, v82
	s_delay_alu instid0(VALU_DEP_1) | instskip(SKIP_2) | instid1(VALU_DEP_1)
	v_cmp_le_u32_e32 vcc_lo, v100, v26
	s_waitcnt lgkmcnt(0)
	v_cndmask_b32_e32 v9, 0, v9, vcc_lo
	v_dual_cndmask_b32 v25, 0, v25 :: v_dual_add_nc_u32 v6, v9, v6
	s_delay_alu instid0(VALU_DEP_1)
	v_add_nc_u32_e32 v7, v25, v7
	v_mov_b32_e32 v25, 0
	s_branch .LBB566_107
.LBB566_106:                            ;   in Loop: Header=BB566_107 Depth=1
	s_or_b32 exec_lo, exec_lo, s7
	ds_bpermute_b32 v9, v91, v6
	ds_bpermute_b32 v28, v91, v7
	v_subrev_nc_u32_e32 v24, 32, v24
	s_waitcnt lgkmcnt(1)
	v_add_nc_u32_e32 v9, v9, v6
	v_and_b32_e32 v29, 0xff, v8
	s_waitcnt lgkmcnt(0)
	v_add_nc_u32_e32 v28, v28, v7
	s_delay_alu instid0(VALU_DEP_2) | instskip(SKIP_1) | instid1(VALU_DEP_1)
	v_cmp_eq_u16_e32 vcc_lo, 2, v29
	v_and_or_b32 v29, vcc_lo, v92, 0x80000000
	v_ctz_i32_b32_e32 v29, v29
	s_delay_alu instid0(VALU_DEP_1)
	v_cmp_lt_u32_e32 vcc_lo, v82, v29
	v_cndmask_b32_e32 v6, v6, v9, vcc_lo
	ds_bpermute_b32 v9, v93, v6
	s_waitcnt lgkmcnt(0)
	v_add_nc_u32_e32 v9, v6, v9
	v_cndmask_b32_e32 v7, v7, v28, vcc_lo
	v_cmp_gt_u32_e32 vcc_lo, v94, v29
	s_delay_alu instid0(VALU_DEP_3)
	v_cndmask_b32_e32 v6, v9, v6, vcc_lo
	ds_bpermute_b32 v28, v93, v7
	ds_bpermute_b32 v9, v95, v6
	s_waitcnt lgkmcnt(1)
	v_add_nc_u32_e32 v28, v7, v28
	s_waitcnt lgkmcnt(0)
	v_add_nc_u32_e32 v9, v6, v9
	s_delay_alu instid0(VALU_DEP_2) | instskip(SKIP_1) | instid1(VALU_DEP_3)
	v_cndmask_b32_e32 v7, v28, v7, vcc_lo
	v_cmp_gt_u32_e32 vcc_lo, v96, v29
	v_cndmask_b32_e32 v6, v9, v6, vcc_lo
	ds_bpermute_b32 v28, v95, v7
	ds_bpermute_b32 v9, v97, v6
	s_waitcnt lgkmcnt(1)
	v_add_nc_u32_e32 v28, v7, v28
	s_waitcnt lgkmcnt(0)
	v_add_nc_u32_e32 v9, v6, v9
	s_delay_alu instid0(VALU_DEP_2) | instskip(SKIP_1) | instid1(VALU_DEP_3)
	v_cndmask_b32_e32 v7, v28, v7, vcc_lo
	v_cmp_gt_u32_e32 vcc_lo, v98, v29
	v_cndmask_b32_e32 v6, v9, v6, vcc_lo
	ds_bpermute_b32 v28, v97, v7
	ds_bpermute_b32 v9, v99, v6
	s_waitcnt lgkmcnt(1)
	v_add_nc_u32_e32 v28, v7, v28
	s_delay_alu instid0(VALU_DEP_1) | instskip(SKIP_4) | instid1(VALU_DEP_1)
	v_cndmask_b32_e32 v7, v28, v7, vcc_lo
	v_cmp_le_u32_e32 vcc_lo, v100, v29
	ds_bpermute_b32 v28, v99, v7
	s_waitcnt lgkmcnt(1)
	v_cndmask_b32_e32 v9, 0, v9, vcc_lo
	v_add3_u32 v6, v6, v26, v9
	s_waitcnt lgkmcnt(0)
	v_cndmask_b32_e32 v28, 0, v28, vcc_lo
	s_delay_alu instid0(VALU_DEP_1)
	v_add3_u32 v7, v7, v27, v28
.LBB566_107:                            ; =>This Loop Header: Depth=1
                                        ;     Child Loop BB566_110 Depth 2
	s_delay_alu instid0(VALU_DEP_1) | instskip(SKIP_1) | instid1(VALU_DEP_2)
	v_dual_mov_b32 v27, v7 :: v_dual_and_b32 v8, 0xff, v8
	v_mov_b32_e32 v26, v6
	v_cmp_ne_u16_e32 vcc_lo, 2, v8
	v_cndmask_b32_e64 v8, 0, 1, vcc_lo
	;;#ASMSTART
	;;#ASMEND
	s_delay_alu instid0(VALU_DEP_1)
	v_cmp_ne_u32_e32 vcc_lo, 0, v8
	s_cmp_lg_u32 vcc_lo, exec_lo
	s_cbranch_scc1 .LBB566_112
; %bb.108:                              ;   in Loop: Header=BB566_107 Depth=1
	v_lshlrev_b64 v[6:7], 4, v[24:25]
	s_mov_b32 s7, exec_lo
	s_delay_alu instid0(VALU_DEP_1) | instskip(NEXT) | instid1(VALU_DEP_2)
	v_add_co_u32 v28, vcc_lo, s36, v6
	v_add_co_ci_u32_e32 v29, vcc_lo, s37, v7, vcc_lo
	;;#ASMSTART
	global_load_dwordx4 v[6:9], v[28:29] off glc	
s_waitcnt vmcnt(0)
	;;#ASMEND
	v_and_b32_e32 v9, 0xff, v7
	v_and_b32_e32 v101, 0xff00, v7
	v_or3_b32 v6, v6, 0, 0
	v_and_b32_e32 v102, 0xff000000, v7
	v_and_b32_e32 v7, 0xff0000, v7
	s_delay_alu instid0(VALU_DEP_4) | instskip(SKIP_2) | instid1(VALU_DEP_3)
	v_or3_b32 v9, 0, v9, v101
	v_and_b32_e32 v101, 0xff, v8
	v_or3_b32 v6, v6, 0, 0
	v_or3_b32 v7, v9, v7, v102
	s_delay_alu instid0(VALU_DEP_3)
	v_cmpx_eq_u16_e32 0, v101
	s_cbranch_execz .LBB566_106
; %bb.109:                              ;   in Loop: Header=BB566_107 Depth=1
	s_mov_b32 s8, 0
.LBB566_110:                            ;   Parent Loop BB566_107 Depth=1
                                        ; =>  This Inner Loop Header: Depth=2
	;;#ASMSTART
	global_load_dwordx4 v[6:9], v[28:29] off glc	
s_waitcnt vmcnt(0)
	;;#ASMEND
	v_and_b32_e32 v9, 0xff, v8
	s_delay_alu instid0(VALU_DEP_1) | instskip(SKIP_1) | instid1(SALU_CYCLE_1)
	v_cmp_ne_u16_e32 vcc_lo, 0, v9
	s_or_b32 s8, vcc_lo, s8
	s_and_not1_b32 exec_lo, exec_lo, s8
	s_cbranch_execnz .LBB566_110
; %bb.111:                              ;   in Loop: Header=BB566_107 Depth=1
	s_or_b32 exec_lo, exec_lo, s8
	s_branch .LBB566_106
.LBB566_112:                            ;   in Loop: Header=BB566_107 Depth=1
                                        ; implicit-def: $vgpr8
                                        ; implicit-def: $vgpr6_vgpr7
	s_cbranch_execz .LBB566_107
; %bb.113:
	s_and_saveexec_b32 s7, s3
	s_cbranch_execnz .LBB566_356
; %bb.114:
	s_or_b32 exec_lo, exec_lo, s7
	s_and_saveexec_b32 s7, s3
	s_cbranch_execnz .LBB566_357
.LBB566_115:
	s_or_b32 exec_lo, exec_lo, s7
	s_delay_alu instid0(SALU_CYCLE_1)
	s_and_b32 exec_lo, exec_lo, s2
	s_cbranch_execz .LBB566_117
.LBB566_116:
	v_mov_b32_e32 v5, 0
	ds_store_b64 v5, v[26:27] offset:56
.LBB566_117:
	s_or_b32 exec_lo, exec_lo, s5
	s_waitcnt lgkmcnt(1)
	v_cndmask_b32_e64 v22, v89, v22, s3
	v_mov_b32_e32 v5, 0
	s_waitcnt lgkmcnt(0)
	s_barrier
	buffer_gl0_inv
	v_add_nc_u32_e64 v7, 0x3400, 0
	ds_load_b64 v[24:25], v5 offset:56
	s_waitcnt lgkmcnt(0)
	s_barrier
	buffer_gl0_inv
	ds_load_2addr_b32 v[5:6], v7 offset1:2
	ds_load_2addr_b32 v[7:8], v7 offset0:4 offset1:6
	v_cndmask_b32_e64 v9, v90, v23, s3
	v_add_nc_u32_e32 v22, v24, v22
	s_delay_alu instid0(VALU_DEP_2) | instskip(NEXT) | instid1(VALU_DEP_2)
	v_add_nc_u32_e32 v9, v25, v9
	v_cndmask_b32_e64 v22, v22, v24, s2
	s_delay_alu instid0(VALU_DEP_2)
	v_cndmask_b32_e64 v9, v9, v25, s2
	s_branch .LBB566_128
.LBB566_118:
                                        ; implicit-def: $vgpr9
                                        ; implicit-def: $vgpr7
                                        ; implicit-def: $vgpr5
                                        ; implicit-def: $vgpr22_vgpr23
	s_and_b32 vcc_lo, exec_lo, s5
	s_cbranch_vccz .LBB566_128
; %bb.119:
	s_waitcnt lgkmcnt(1)
	v_mov_b32_dpp v6, v88 row_shr:1 row_mask:0xf bank_mask:0xf
	v_cmp_lt_u32_e32 vcc_lo, 3, v86
	v_mov_b32_dpp v5, v87 row_shr:1 row_mask:0xf bank_mask:0xf
	s_delay_alu instid0(VALU_DEP_3) | instskip(NEXT) | instid1(VALU_DEP_1)
	v_add_nc_u32_e32 v6, v6, v88
	v_cndmask_b32_e64 v6, v6, v88, s1
	s_waitcnt lgkmcnt(0)
	s_delay_alu instid0(VALU_DEP_1) | instskip(NEXT) | instid1(VALU_DEP_1)
	v_mov_b32_dpp v8, v6 row_shr:2 row_mask:0xf bank_mask:0xf
	v_add_nc_u32_e32 v8, v6, v8
	s_delay_alu instid0(VALU_DEP_1) | instskip(NEXT) | instid1(VALU_DEP_1)
	v_cndmask_b32_e64 v6, v6, v8, s0
	v_mov_b32_dpp v8, v6 row_shr:4 row_mask:0xf bank_mask:0xf
	s_delay_alu instid0(VALU_DEP_1) | instskip(NEXT) | instid1(VALU_DEP_1)
	v_add_nc_u32_e32 v8, v6, v8
	v_dual_cndmask_b32 v6, v6, v8 :: v_dual_add_nc_u32 v5, v5, v87
	s_delay_alu instid0(VALU_DEP_1) | instskip(NEXT) | instid1(VALU_DEP_2)
	v_cndmask_b32_e64 v5, v5, v87, s1
	v_mov_b32_dpp v8, v6 row_shr:8 row_mask:0xf bank_mask:0xf
	s_delay_alu instid0(VALU_DEP_2) | instskip(NEXT) | instid1(VALU_DEP_2)
	v_mov_b32_dpp v7, v5 row_shr:2 row_mask:0xf bank_mask:0xf
	v_add_nc_u32_e32 v8, v6, v8
	s_delay_alu instid0(VALU_DEP_2) | instskip(NEXT) | instid1(VALU_DEP_1)
	v_add_nc_u32_e32 v7, v5, v7
	v_cndmask_b32_e64 v5, v5, v7, s0
	s_mov_b32 s0, exec_lo
	s_delay_alu instid0(VALU_DEP_1) | instskip(NEXT) | instid1(VALU_DEP_1)
	v_mov_b32_dpp v7, v5 row_shr:4 row_mask:0xf bank_mask:0xf
	v_add_nc_u32_e32 v7, v5, v7
	s_delay_alu instid0(VALU_DEP_1) | instskip(SKIP_1) | instid1(VALU_DEP_2)
	v_cndmask_b32_e32 v5, v5, v7, vcc_lo
	v_cmp_lt_u32_e32 vcc_lo, 7, v86
	v_mov_b32_dpp v7, v5 row_shr:8 row_mask:0xf bank_mask:0xf
	s_delay_alu instid0(VALU_DEP_1) | instskip(NEXT) | instid1(VALU_DEP_1)
	v_dual_cndmask_b32 v6, v6, v8 :: v_dual_add_nc_u32 v7, v5, v7
	v_cndmask_b32_e32 v5, v5, v7, vcc_lo
	ds_swizzle_b32 v7, v6 offset:swizzle(BROADCAST,32,15)
	v_cmp_eq_u32_e32 vcc_lo, 0, v85
	ds_swizzle_b32 v8, v5 offset:swizzle(BROADCAST,32,15)
	s_waitcnt lgkmcnt(1)
	v_add_nc_u32_e32 v7, v6, v7
	s_waitcnt lgkmcnt(0)
	v_add_nc_u32_e32 v8, v5, v8
	s_delay_alu instid0(VALU_DEP_1)
	v_dual_cndmask_b32 v6, v7, v6 :: v_dual_cndmask_b32 v5, v8, v5
	v_cmpx_eq_u32_e64 v84, v0
	s_cbranch_execz .LBB566_121
; %bb.120:
	v_lshlrev_b32_e32 v7, 3, v83
	ds_store_b64 v7, v[5:6]
.LBB566_121:
	s_or_b32 exec_lo, exec_lo, s0
	s_delay_alu instid0(SALU_CYCLE_1)
	s_mov_b32 s0, exec_lo
	s_waitcnt lgkmcnt(0)
	s_barrier
	buffer_gl0_inv
	v_cmpx_gt_u32_e32 8, v0
	s_cbranch_execz .LBB566_123
; %bb.122:
	v_lshlrev_b32_e32 v9, 3, v0
	ds_load_b64 v[7:8], v9
	s_waitcnt lgkmcnt(0)
	v_mov_b32_dpp v22, v7 row_shr:1 row_mask:0xf bank_mask:0xf
	v_mov_b32_dpp v23, v8 row_shr:1 row_mask:0xf bank_mask:0xf
	s_delay_alu instid0(VALU_DEP_2) | instskip(SKIP_1) | instid1(VALU_DEP_3)
	v_add_nc_u32_e32 v22, v22, v7
	v_and_b32_e32 v24, 7, v82
	v_add_nc_u32_e32 v23, v23, v8
	s_delay_alu instid0(VALU_DEP_2) | instskip(NEXT) | instid1(VALU_DEP_2)
	v_cmp_eq_u32_e32 vcc_lo, 0, v24
	v_dual_cndmask_b32 v8, v23, v8 :: v_dual_cndmask_b32 v7, v22, v7
	v_cmp_lt_u32_e32 vcc_lo, 1, v24
	s_delay_alu instid0(VALU_DEP_2) | instskip(NEXT) | instid1(VALU_DEP_3)
	v_mov_b32_dpp v23, v8 row_shr:2 row_mask:0xf bank_mask:0xf
	v_mov_b32_dpp v22, v7 row_shr:2 row_mask:0xf bank_mask:0xf
	s_delay_alu instid0(VALU_DEP_2) | instskip(NEXT) | instid1(VALU_DEP_2)
	v_add_nc_u32_e32 v23, v8, v23
	v_add_nc_u32_e32 v22, v7, v22
	s_delay_alu instid0(VALU_DEP_1) | instskip(SKIP_1) | instid1(VALU_DEP_2)
	v_dual_cndmask_b32 v8, v8, v23 :: v_dual_cndmask_b32 v7, v7, v22
	v_cmp_lt_u32_e32 vcc_lo, 3, v24
	v_mov_b32_dpp v23, v8 row_shr:4 row_mask:0xf bank_mask:0xf
	s_delay_alu instid0(VALU_DEP_3) | instskip(NEXT) | instid1(VALU_DEP_1)
	v_mov_b32_dpp v22, v7 row_shr:4 row_mask:0xf bank_mask:0xf
	v_dual_cndmask_b32 v23, 0, v23 :: v_dual_cndmask_b32 v22, 0, v22
	s_delay_alu instid0(VALU_DEP_1) | instskip(NEXT) | instid1(VALU_DEP_2)
	v_add_nc_u32_e32 v8, v23, v8
	v_add_nc_u32_e32 v7, v22, v7
	ds_store_b64 v9, v[7:8]
.LBB566_123:
	s_or_b32 exec_lo, exec_lo, s0
	v_dual_mov_b32 v7, 0 :: v_dual_mov_b32 v22, 0
	v_mov_b32_e32 v23, 0
	s_mov_b32 s0, exec_lo
	s_waitcnt lgkmcnt(0)
	s_barrier
	buffer_gl0_inv
	v_cmpx_lt_u32_e32 31, v0
	s_cbranch_execz .LBB566_125
; %bb.124:
	v_lshl_add_u32 v8, v83, 3, -8
	ds_load_b64 v[22:23], v8
.LBB566_125:
	s_or_b32 exec_lo, exec_lo, s0
	v_add_nc_u32_e32 v8, -1, v82
	s_waitcnt lgkmcnt(0)
	v_add_nc_u32_e32 v24, v23, v6
	v_add_nc_u32_e32 v9, v22, v5
	ds_load_b64 v[5:6], v7 offset:56
	v_cmp_gt_i32_e32 vcc_lo, 0, v8
	v_cndmask_b32_e32 v8, v8, v82, vcc_lo
	s_delay_alu instid0(VALU_DEP_1)
	v_lshlrev_b32_e32 v8, 2, v8
	ds_bpermute_b32 v9, v8, v9
	ds_bpermute_b32 v24, v8, v24
	s_waitcnt lgkmcnt(2)
	v_readfirstlane_b32 s0, v6
	s_and_saveexec_b32 s1, s2
	s_cbranch_execz .LBB566_127
; %bb.126:
	s_mov_b32 s8, 0
	s_add_u32 s6, s36, 0x200
	s_addc_u32 s7, s37, 0
	s_and_b32 s9, s0, 0xff000000
	s_and_b32 s11, s0, 0xff0000
	s_mov_b32 s10, s8
	v_mov_b32_e32 v26, s7
	s_or_b64 s[10:11], s[10:11], s[8:9]
	s_and_b32 s9, s0, 0xff00
	v_dual_mov_b32 v8, 0 :: v_dual_mov_b32 v25, s6
	s_or_b64 s[10:11], s[10:11], s[8:9]
	s_and_b32 s9, s0, 0xff
	v_mov_b32_e32 v7, 2
	s_or_b64 s[8:9], s[10:11], s[8:9]
	s_delay_alu instid0(SALU_CYCLE_1)
	v_mov_b32_e32 v6, s9
	;;#ASMSTART
	global_store_dwordx4 v[25:26], v[5:8] off	
s_waitcnt vmcnt(0)
	;;#ASMEND
.LBB566_127:
	s_or_b32 exec_lo, exec_lo, s1
	v_cmp_eq_u32_e32 vcc_lo, 0, v82
	v_dual_mov_b32 v7, 0 :: v_dual_mov_b32 v6, s0
	s_waitcnt lgkmcnt(0)
	s_barrier
	v_dual_cndmask_b32 v8, v9, v22 :: v_dual_cndmask_b32 v9, v24, v23
	buffer_gl0_inv
	v_cndmask_b32_e64 v22, v8, 0, s2
	v_cndmask_b32_e64 v9, v9, 0, s2
	v_mov_b32_e32 v8, 0
.LBB566_128:
	s_delay_alu instid0(VALU_DEP_1) | instskip(SKIP_1) | instid1(VALU_DEP_2)
	v_add_nc_u32_e32 v24, v9, v81
	s_waitcnt lgkmcnt(0)
	v_sub_nc_u32_e32 v9, v9, v8
	v_add_co_u32 v1, vcc_lo, v1, v7
	v_and_b32_e32 v35, 1, v35
	v_add_nc_u32_e32 v26, v24, v77
	v_sub_nc_u32_e32 v24, v24, v8
	v_lshlrev_b32_e32 v77, 1, v5
	v_add_nc_u32_e32 v9, v9, v5
	v_add_co_ci_u32_e32 v2, vcc_lo, 0, v2, vcc_lo
	v_add_nc_u32_e32 v28, v26, v79
	s_delay_alu instid0(VALU_DEP_4)
	v_add3_u32 v33, v77, v6, v33
	v_and_b32_e32 v40, 1, v40
	v_and_b32_e32 v37, 1, v37
	;; [unrolled: 1-line block ×3, first 2 shown]
	v_add_nc_u32_e32 v29, v28, v75
	v_sub_nc_u32_e32 v28, v28, v8
	v_sub_co_u32 v75, vcc_lo, v3, v5
	s_add_u32 s1, s14, -4
	s_delay_alu instid0(VALU_DEP_3) | instskip(SKIP_4) | instid1(VALU_DEP_3)
	v_add_nc_u32_e32 v73, v29, v73
	v_sub_nc_u32_e32 v29, v29, v8
	v_add_nc_u32_e32 v28, v28, v5
	v_add_nc_u32_e32 v24, v24, v5
	s_mov_b32 s3, -1
	v_add_nc_u32_e32 v29, v29, v5
	v_add_nc_u32_e32 v23, v22, v80
	v_sub_nc_u32_e32 v22, v22, v7
	s_delay_alu instid0(VALU_DEP_2) | instskip(SKIP_3) | instid1(VALU_DEP_3)
	v_add_nc_u32_e32 v25, v23, v76
	v_sub_nc_u32_e32 v23, v23, v7
	v_subrev_co_ci_u32_e32 v76, vcc_lo, 0, v4, vcc_lo
	v_cmp_eq_u32_e32 vcc_lo, 1, v35
	v_add_nc_u32_e32 v79, v24, v23
	s_delay_alu instid0(VALU_DEP_1) | instskip(NEXT) | instid1(VALU_DEP_1)
	v_sub_nc_u32_e32 v79, v33, v79
	v_add_nc_u32_e32 v79, 1, v79
	v_add_nc_u32_e32 v27, v25, v78
	;; [unrolled: 1-line block ×3, first 2 shown]
	s_delay_alu instid0(VALU_DEP_1) | instskip(NEXT) | instid1(VALU_DEP_1)
	v_sub_nc_u32_e32 v78, v33, v78
	v_dual_cndmask_b32 v9, v78, v9 :: v_dual_and_b32 v34, 1, v34
	v_cmp_eq_u32_e32 vcc_lo, 1, v40
	v_cndmask_b32_e32 v24, v79, v24, vcc_lo
	s_delay_alu instid0(VALU_DEP_3) | instskip(NEXT) | instid1(VALU_DEP_4)
	v_cmp_eq_u32_e32 vcc_lo, 1, v34
	v_cndmask_b32_e32 v9, v9, v22, vcc_lo
	v_sub_nc_u32_e32 v26, v26, v8
	v_cmp_eq_u32_e32 vcc_lo, 1, v37
	v_and_b32_e32 v37, 1, v38
	s_delay_alu instid0(VALU_DEP_4) | instskip(NEXT) | instid1(VALU_DEP_4)
	v_lshlrev_b32_e32 v9, 2, v9
	v_add_nc_u32_e32 v26, v26, v5
	v_cndmask_b32_e32 v24, v24, v23, vcc_lo
	v_sub_nc_u32_e32 v25, v25, v7
	v_add_co_u32 v22, vcc_lo, v75, v8
	v_add_co_ci_u32_e32 v23, vcc_lo, 0, v76, vcc_lo
	s_delay_alu instid0(VALU_DEP_3)
	v_add_nc_u32_e32 v34, v26, v25
	v_cmp_eq_u32_e32 vcc_lo, 1, v37
	v_lshlrev_b32_e32 v24, 2, v24
	ds_store_b32 v9, v20
	v_sub_nc_u32_e32 v34, v33, v34
	ds_store_b32 v24, v21
	v_and_b32_e32 v24, 1, v39
	v_add_nc_u32_e32 v34, 2, v34
	s_delay_alu instid0(VALU_DEP_1) | instskip(SKIP_3) | instid1(VALU_DEP_4)
	v_cndmask_b32_e32 v26, v34, v26, vcc_lo
	v_cmp_eq_u32_e32 vcc_lo, 1, v36
	v_add_nc_u32_e32 v74, v27, v74
	v_sub_nc_u32_e32 v27, v27, v7
	v_cndmask_b32_e32 v25, v26, v25, vcc_lo
	s_delay_alu instid0(VALU_DEP_3) | instskip(NEXT) | instid1(VALU_DEP_3)
	v_sub_nc_u32_e32 v37, v74, v7
	v_add_nc_u32_e32 v34, v27, v28
	v_cmp_eq_u32_e32 vcc_lo, 1, v24
	v_sub_nc_u32_e32 v26, v73, v8
	v_lshlrev_b32_e32 v21, 2, v25
	v_and_b32_e32 v25, 1, v41
	v_sub_nc_u32_e32 v9, v33, v34
	v_add_nc_u32_e32 v20, v37, v29
	v_and_b32_e32 v24, 1, v42
	v_add_nc_u32_e32 v26, v26, v5
	ds_store_b32 v21, v18
	v_add_nc_u32_e32 v9, 3, v9
	v_sub_nc_u32_e32 v20, v33, v20
	s_delay_alu instid0(VALU_DEP_2) | instskip(SKIP_2) | instid1(VALU_DEP_4)
	v_cndmask_b32_e32 v9, v9, v28, vcc_lo
	v_cmp_eq_u32_e32 vcc_lo, 1, v25
	v_add_nc_u32_e32 v72, v74, v72
	v_add_nc_u32_e32 v20, 4, v20
	v_and_b32_e32 v25, 1, v43
	v_cndmask_b32_e32 v9, v9, v27, vcc_lo
	s_delay_alu instid0(VALU_DEP_4)
	v_sub_nc_u32_e32 v28, v72, v7
	v_cmp_eq_u32_e32 vcc_lo, 1, v24
	v_and_b32_e32 v24, 1, v44
	v_add_nc_u32_e32 v70, v72, v70
	v_lshlrev_b32_e32 v9, 2, v9
	v_add_nc_u32_e32 v27, v28, v26
	v_cndmask_b32_e32 v20, v20, v29, vcc_lo
	v_cmp_eq_u32_e32 vcc_lo, 1, v25
	v_and_b32_e32 v25, 1, v45
	v_add_nc_u32_e32 v64, v70, v64
	v_sub_nc_u32_e32 v18, v33, v27
	v_sub_nc_u32_e32 v27, v70, v7
	v_cndmask_b32_e32 v20, v20, v37, vcc_lo
	v_cmp_eq_u32_e32 vcc_lo, 1, v24
	ds_store_b32 v9, v19
	v_add_nc_u32_e32 v18, 5, v18
	v_and_b32_e32 v19, 1, v46
	v_lshlrev_b32_e32 v20, 2, v20
	v_add_nc_u32_e32 v68, v64, v68
	s_delay_alu instid0(VALU_DEP_4)
	v_cndmask_b32_e32 v18, v18, v26, vcc_lo
	v_cmp_eq_u32_e32 vcc_lo, 1, v25
	v_sub_nc_u32_e32 v25, v64, v7
	ds_store_b32 v20, v16
	v_and_b32_e32 v20, 1, v49
	v_add_nc_u32_e32 v66, v68, v66
	v_dual_cndmask_b32 v18, v18, v28 :: v_dual_add_nc_u32 v71, v73, v71
	v_cmp_eq_u32_e32 vcc_lo, 1, v19
	v_and_b32_e32 v19, 1, v48
	s_delay_alu instid0(VALU_DEP_4) | instskip(NEXT) | instid1(VALU_DEP_4)
	v_add_nc_u32_e32 v61, v66, v61
	v_lshlrev_b32_e32 v18, 2, v18
	v_add_nc_u32_e32 v65, v71, v65
	v_sub_nc_u32_e32 v21, v71, v8
	s_delay_alu instid0(VALU_DEP_4)
	v_add_nc_u32_e32 v60, v61, v60
	ds_store_b32 v18, v17
	v_sub_nc_u32_e32 v24, v65, v8
	v_add_nc_u32_e32 v21, v21, v5
	v_add_nc_u32_e32 v69, v65, v69
	v_and_b32_e32 v17, 1, v47
	s_delay_alu instid0(VALU_DEP_4) | instskip(NEXT) | instid1(VALU_DEP_4)
	v_add_nc_u32_e32 v24, v24, v5
	v_add_nc_u32_e32 v26, v27, v21
	s_delay_alu instid0(VALU_DEP_4) | instskip(NEXT) | instid1(VALU_DEP_3)
	v_sub_nc_u32_e32 v18, v69, v8
	v_add_nc_u32_e32 v16, v25, v24
	s_delay_alu instid0(VALU_DEP_3) | instskip(NEXT) | instid1(VALU_DEP_3)
	v_sub_nc_u32_e32 v9, v33, v26
	v_add_nc_u32_e32 v18, v18, v5
	v_sub_nc_u32_e32 v26, v60, v7
	s_delay_alu instid0(VALU_DEP_4) | instskip(NEXT) | instid1(VALU_DEP_4)
	v_sub_nc_u32_e32 v16, v33, v16
	v_add_nc_u32_e32 v9, 6, v9
	s_delay_alu instid0(VALU_DEP_1) | instskip(SKIP_2) | instid1(VALU_DEP_3)
	v_dual_cndmask_b32 v9, v9, v21 :: v_dual_add_nc_u32 v16, 7, v16
	v_cmp_eq_u32_e32 vcc_lo, 1, v19
	v_sub_nc_u32_e32 v21, v68, v7
	v_cndmask_b32_e32 v16, v16, v24, vcc_lo
	v_cmp_eq_u32_e32 vcc_lo, 1, v17
	s_delay_alu instid0(VALU_DEP_3) | instskip(SKIP_3) | instid1(VALU_DEP_4)
	v_add_nc_u32_e32 v17, v21, v18
	v_cndmask_b32_e32 v9, v9, v27, vcc_lo
	v_cmp_eq_u32_e32 vcc_lo, 1, v20
	v_add_nc_u32_e32 v67, v69, v67
	v_sub_nc_u32_e32 v17, v33, v17
	v_sub_nc_u32_e32 v20, v66, v7
	v_lshlrev_b32_e32 v9, 2, v9
	v_cndmask_b32_e32 v16, v16, v25, vcc_lo
	v_sub_nc_u32_e32 v19, v67, v8
	v_add_nc_u32_e32 v62, v67, v62
	v_sub_nc_u32_e32 v25, v61, v7
	ds_store_b32 v9, v14
	v_and_b32_e32 v9, 1, v50
	v_add_nc_u32_e32 v19, v19, v5
	v_add_nc_u32_e32 v14, 8, v17
	v_lshlrev_b32_e32 v16, 2, v16
	v_add_nc_u32_e32 v63, v62, v63
	v_cmp_eq_u32_e32 vcc_lo, 1, v9
	v_add_nc_u32_e32 v17, v20, v19
	ds_store_b32 v16, v15
	v_and_b32_e32 v15, 1, v51
	v_cndmask_b32_e32 v9, v14, v18, vcc_lo
	v_sub_nc_u32_e32 v14, v33, v17
	v_and_b32_e32 v18, 1, v52
	v_sub_nc_u32_e32 v17, v62, v8
	v_and_b32_e32 v16, 1, v54
	v_sub_nc_u32_e32 v24, v63, v8
	v_add_nc_u32_e32 v14, 9, v14
	v_cmp_eq_u32_e32 vcc_lo, 1, v18
	v_add_nc_u32_e32 v17, v17, v5
	v_add_nc_u32_e32 v35, v63, v59
	;; [unrolled: 1-line block ×3, first 2 shown]
	v_cndmask_b32_e32 v14, v14, v19, vcc_lo
	v_cmp_eq_u32_e32 vcc_lo, 1, v15
	v_add_nc_u32_e32 v15, v25, v17
	s_delay_alu instid0(VALU_DEP_4)
	v_add_nc_u32_e32 v18, v26, v24
	v_and_b32_e32 v19, 1, v55
	v_cndmask_b32_e32 v9, v9, v21, vcc_lo
	v_cmp_eq_u32_e32 vcc_lo, 1, v16
	v_sub_nc_u32_e32 v15, v33, v15
	v_sub_nc_u32_e32 v18, v33, v18
	v_and_b32_e32 v21, 1, v57
	v_sub_nc_u32_e32 v16, v35, v8
	v_cndmask_b32_e32 v14, v14, v20, vcc_lo
	v_and_b32_e32 v20, 1, v53
	v_add_nc_u32_e32 v15, 10, v15
	v_add_nc_u32_e32 v18, 11, v18
	;; [unrolled: 1-line block ×3, first 2 shown]
	v_lshlrev_b32_e32 v9, 2, v9
	v_cmp_eq_u32_e32 vcc_lo, 1, v20
	v_dual_cndmask_b32 v15, v15, v17 :: v_dual_lshlrev_b32 v14, 2, v14
	v_cmp_eq_u32_e32 vcc_lo, 1, v21
	v_and_b32_e32 v17, 1, v56
	v_cndmask_b32_e32 v18, v18, v24, vcc_lo
	v_cmp_eq_u32_e32 vcc_lo, 1, v19
	v_cndmask_b32_e32 v15, v15, v25, vcc_lo
	s_delay_alu instid0(VALU_DEP_4) | instskip(NEXT) | instid1(VALU_DEP_2)
	v_cmp_eq_u32_e32 vcc_lo, 1, v17
	v_lshlrev_b32_e32 v15, 2, v15
	v_cndmask_b32_e32 v17, v18, v26, vcc_lo
	v_add_nc_u32_e32 v40, v60, v58
	s_delay_alu instid0(VALU_DEP_2) | instskip(NEXT) | instid1(VALU_DEP_2)
	v_lshlrev_b32_e32 v17, 2, v17
	v_sub_nc_u32_e32 v7, v40, v7
	ds_store_b32 v9, v12
	ds_store_b32 v14, v13
	ds_store_b32 v15, v10
	ds_store_b32 v17, v11
	v_add_co_u32 v9, s0, v6, v77
	s_delay_alu instid0(VALU_DEP_1) | instskip(SKIP_1) | instid1(VALU_DEP_3)
	v_add_co_ci_u32_e64 v10, null, 0, 0, s0
	v_add_nc_u32_e32 v27, v7, v16
	v_add_co_u32 v9, vcc_lo, v9, v22
	s_delay_alu instid0(VALU_DEP_3) | instskip(NEXT) | instid1(VALU_DEP_3)
	v_add_co_ci_u32_e32 v10, vcc_lo, v10, v23, vcc_lo
	v_sub_nc_u32_e32 v20, v33, v27
	v_add_co_u32 v11, s0, s34, v30
	s_delay_alu instid0(VALU_DEP_4) | instskip(NEXT) | instid1(VALU_DEP_3)
	v_add_co_u32 v9, vcc_lo, v9, v1
	v_add_nc_u32_e32 v18, 12, v20
	v_add_co_ci_u32_e64 v12, null, s35, 0, s0
	v_add_co_ci_u32_e32 v10, vcc_lo, v10, v2, vcc_lo
	s_delay_alu instid0(VALU_DEP_3) | instskip(SKIP_1) | instid1(VALU_DEP_2)
	v_cndmask_b32_e64 v16, v18, v16, s33
	v_add_nc_u32_e32 v14, v5, v6
	v_cndmask_b32_e64 v7, v16, v7, s27
	s_delay_alu instid0(VALU_DEP_1)
	v_lshlrev_b32_e32 v7, 2, v7
	ds_store_b32 v7, v32
	v_sub_co_u32 v7, vcc_lo, v11, v9
	v_sub_co_ci_u32_e32 v13, vcc_lo, v12, v10, vcc_lo
	v_lshlrev_b64 v[9:10], 2, v[22:23]
	v_lshlrev_b64 v[11:12], 2, v[1:2]
	s_waitcnt lgkmcnt(0)
	s_barrier
	buffer_gl0_inv
	v_add_co_u32 v9, vcc_lo, s30, v9
	v_add_co_ci_u32_e32 v10, vcc_lo, s31, v10, vcc_lo
	v_cmp_ne_u32_e32 vcc_lo, 1, v31
	v_add_co_u32 v11, s0, s28, v11
	s_delay_alu instid0(VALU_DEP_1)
	v_add_co_ci_u32_e64 v12, s0, s29, v12, s0
	s_addc_u32 s0, s15, -1
	s_cbranch_vccz .LBB566_132
; %bb.129:
	s_and_b32 vcc_lo, exec_lo, s3
	s_cbranch_vccnz .LBB566_237
.LBB566_130:
	s_and_b32 s0, s2, s13
	s_delay_alu instid0(SALU_CYCLE_1)
	s_and_saveexec_b32 s1, s0
	s_cbranch_execnz .LBB566_355
.LBB566_131:
	s_nop 0
	s_sendmsg sendmsg(MSG_DEALLOC_VGPRS)
	s_endpgm
.LBB566_132:
	s_mov_b32 s3, exec_lo
	v_cmpx_le_u32_e64 v5, v0
	s_xor_b32 s3, exec_lo, s3
	s_cbranch_execz .LBB566_138
; %bb.133:
	s_mov_b32 s5, exec_lo
	v_cmpx_le_u32_e64 v14, v0
	s_xor_b32 s5, exec_lo, s5
	s_cbranch_execz .LBB566_135
; %bb.134:
	v_lshlrev_b32_e32 v15, 2, v0
	ds_load_b32 v17, v15
	v_add_co_u32 v15, vcc_lo, v7, v0
	v_add_co_ci_u32_e32 v16, vcc_lo, 0, v13, vcc_lo
	s_delay_alu instid0(VALU_DEP_1) | instskip(NEXT) | instid1(VALU_DEP_1)
	v_lshlrev_b64 v[15:16], 2, v[15:16]
	v_sub_co_u32 v15, vcc_lo, s14, v15
	s_delay_alu instid0(VALU_DEP_2)
	v_sub_co_ci_u32_e32 v16, vcc_lo, s15, v16, vcc_lo
	s_waitcnt lgkmcnt(0)
	global_store_b32 v[15:16], v17, off offset:-4
.LBB566_135:
	s_and_not1_saveexec_b32 s5, s5
	s_cbranch_execz .LBB566_137
; %bb.136:
	v_lshlrev_b32_e32 v15, 2, v0
	v_readfirstlane_b32 s6, v9
	v_readfirstlane_b32 s7, v10
	ds_load_b32 v16, v15
	s_waitcnt lgkmcnt(0)
	global_store_b32 v15, v16, s[6:7]
.LBB566_137:
	s_or_b32 exec_lo, exec_lo, s5
.LBB566_138:
	s_and_not1_saveexec_b32 s3, s3
	s_cbranch_execz .LBB566_140
; %bb.139:
	v_lshlrev_b32_e32 v15, 2, v0
	v_readfirstlane_b32 s6, v11
	v_readfirstlane_b32 s7, v12
	ds_load_b32 v16, v15
	s_waitcnt lgkmcnt(0)
	global_store_b32 v15, v16, s[6:7]
.LBB566_140:
	s_or_b32 exec_lo, exec_lo, s3
	v_or_b32_e32 v15, 0x100, v0
	s_mov_b32 s3, exec_lo
	s_delay_alu instid0(VALU_DEP_1)
	v_cmpx_le_u32_e64 v5, v15
	s_xor_b32 s3, exec_lo, s3
	s_cbranch_execz .LBB566_146
; %bb.141:
	s_mov_b32 s5, exec_lo
	v_cmpx_le_u32_e64 v14, v15
	s_xor_b32 s5, exec_lo, s5
	s_cbranch_execz .LBB566_143
; %bb.142:
	v_lshlrev_b32_e32 v15, 2, v0
	ds_load_b32 v17, v15 offset:1024
	v_add_co_u32 v15, vcc_lo, v7, v0
	v_add_co_ci_u32_e32 v16, vcc_lo, 0, v13, vcc_lo
	s_delay_alu instid0(VALU_DEP_1) | instskip(NEXT) | instid1(VALU_DEP_1)
	v_lshlrev_b64 v[15:16], 2, v[15:16]
	v_sub_co_u32 v15, vcc_lo, s1, v15
	s_delay_alu instid0(VALU_DEP_2)
	v_sub_co_ci_u32_e32 v16, vcc_lo, s0, v16, vcc_lo
	s_waitcnt lgkmcnt(0)
	global_store_b32 v[15:16], v17, off offset:-1024
.LBB566_143:
	s_and_not1_saveexec_b32 s5, s5
	s_cbranch_execz .LBB566_145
; %bb.144:
	v_lshlrev_b32_e32 v15, 2, v0
	v_readfirstlane_b32 s6, v9
	v_readfirstlane_b32 s7, v10
	ds_load_b32 v16, v15 offset:1024
	s_waitcnt lgkmcnt(0)
	global_store_b32 v15, v16, s[6:7] offset:1024
.LBB566_145:
	s_or_b32 exec_lo, exec_lo, s5
.LBB566_146:
	s_and_not1_saveexec_b32 s3, s3
	s_cbranch_execz .LBB566_148
; %bb.147:
	v_lshlrev_b32_e32 v15, 2, v0
	v_readfirstlane_b32 s6, v11
	v_readfirstlane_b32 s7, v12
	ds_load_b32 v16, v15 offset:1024
	s_waitcnt lgkmcnt(0)
	global_store_b32 v15, v16, s[6:7] offset:1024
.LBB566_148:
	s_or_b32 exec_lo, exec_lo, s3
	v_or_b32_e32 v15, 0x200, v0
	s_mov_b32 s3, exec_lo
	s_delay_alu instid0(VALU_DEP_1)
	v_cmpx_le_u32_e64 v5, v15
	s_xor_b32 s3, exec_lo, s3
	s_cbranch_execz .LBB566_154
; %bb.149:
	s_mov_b32 s5, exec_lo
	v_cmpx_le_u32_e64 v14, v15
	s_xor_b32 s5, exec_lo, s5
	s_cbranch_execz .LBB566_151
; %bb.150:
	v_lshlrev_b32_e32 v15, 2, v0
	ds_load_b32 v17, v15 offset:2048
	v_add_co_u32 v15, vcc_lo, v7, v0
	v_add_co_ci_u32_e32 v16, vcc_lo, 0, v13, vcc_lo
	s_delay_alu instid0(VALU_DEP_1) | instskip(NEXT) | instid1(VALU_DEP_1)
	v_lshlrev_b64 v[15:16], 2, v[15:16]
	v_sub_co_u32 v15, vcc_lo, s1, v15
	s_delay_alu instid0(VALU_DEP_2)
	v_sub_co_ci_u32_e32 v16, vcc_lo, s0, v16, vcc_lo
	s_waitcnt lgkmcnt(0)
	global_store_b32 v[15:16], v17, off offset:-2048
.LBB566_151:
	s_and_not1_saveexec_b32 s5, s5
	s_cbranch_execz .LBB566_153
; %bb.152:
	v_lshlrev_b32_e32 v15, 2, v0
	v_readfirstlane_b32 s6, v9
	v_readfirstlane_b32 s7, v10
	ds_load_b32 v16, v15 offset:2048
	s_waitcnt lgkmcnt(0)
	global_store_b32 v15, v16, s[6:7] offset:2048
.LBB566_153:
	s_or_b32 exec_lo, exec_lo, s5
.LBB566_154:
	s_and_not1_saveexec_b32 s3, s3
	s_cbranch_execz .LBB566_156
; %bb.155:
	v_lshlrev_b32_e32 v15, 2, v0
	v_readfirstlane_b32 s6, v11
	v_readfirstlane_b32 s7, v12
	ds_load_b32 v16, v15 offset:2048
	s_waitcnt lgkmcnt(0)
	global_store_b32 v15, v16, s[6:7] offset:2048
.LBB566_156:
	;; [unrolled: 47-line block ×3, first 2 shown]
	s_or_b32 exec_lo, exec_lo, s3
	v_or_b32_e32 v15, 0x400, v0
	s_mov_b32 s3, exec_lo
	s_delay_alu instid0(VALU_DEP_1)
	v_cmpx_le_u32_e64 v5, v15
	s_xor_b32 s3, exec_lo, s3
	s_cbranch_execz .LBB566_170
; %bb.165:
	s_mov_b32 s5, exec_lo
	v_cmpx_le_u32_e64 v14, v15
	s_xor_b32 s5, exec_lo, s5
	s_cbranch_execz .LBB566_167
; %bb.166:
	v_lshlrev_b32_e32 v15, 2, v0
	ds_load_b32 v17, v15 offset:4096
	v_add_co_u32 v15, vcc_lo, v7, v0
	v_add_co_ci_u32_e32 v16, vcc_lo, 0, v13, vcc_lo
	s_delay_alu instid0(VALU_DEP_1) | instskip(NEXT) | instid1(VALU_DEP_1)
	v_lshlrev_b64 v[15:16], 2, v[15:16]
	v_sub_co_u32 v15, vcc_lo, s1, v15
	s_delay_alu instid0(VALU_DEP_2)
	v_sub_co_ci_u32_e32 v16, vcc_lo, s0, v16, vcc_lo
	s_waitcnt lgkmcnt(0)
	global_store_b32 v[15:16], v17, off offset:-4096
                                        ; implicit-def: $vgpr15
.LBB566_167:
	s_and_not1_saveexec_b32 s5, s5
	s_cbranch_execz .LBB566_169
; %bb.168:
	v_lshlrev_b32_e32 v16, 2, v0
	v_lshlrev_b32_e32 v15, 2, v15
	v_readfirstlane_b32 s6, v9
	v_readfirstlane_b32 s7, v10
	ds_load_b32 v16, v16 offset:4096
	s_waitcnt lgkmcnt(0)
	global_store_b32 v15, v16, s[6:7]
.LBB566_169:
	s_or_b32 exec_lo, exec_lo, s5
                                        ; implicit-def: $vgpr15
.LBB566_170:
	s_and_not1_saveexec_b32 s3, s3
	s_cbranch_execz .LBB566_172
; %bb.171:
	v_lshlrev_b32_e32 v16, 2, v0
	v_lshlrev_b32_e32 v15, 2, v15
	v_readfirstlane_b32 s6, v11
	v_readfirstlane_b32 s7, v12
	ds_load_b32 v16, v16 offset:4096
	s_waitcnt lgkmcnt(0)
	global_store_b32 v15, v16, s[6:7]
.LBB566_172:
	s_or_b32 exec_lo, exec_lo, s3
	v_or_b32_e32 v15, 0x500, v0
	s_mov_b32 s3, exec_lo
	s_delay_alu instid0(VALU_DEP_1)
	v_cmpx_le_u32_e64 v5, v15
	s_xor_b32 s3, exec_lo, s3
	s_cbranch_execz .LBB566_178
; %bb.173:
	s_mov_b32 s5, exec_lo
	v_cmpx_le_u32_e64 v14, v15
	s_xor_b32 s5, exec_lo, s5
	s_cbranch_execz .LBB566_175
; %bb.174:
	v_lshlrev_b32_e32 v16, 2, v0
	v_add_co_u32 v15, vcc_lo, v7, v15
	ds_load_b32 v17, v16 offset:5120
	v_add_co_ci_u32_e32 v16, vcc_lo, 0, v13, vcc_lo
	s_delay_alu instid0(VALU_DEP_1) | instskip(NEXT) | instid1(VALU_DEP_1)
	v_lshlrev_b64 v[15:16], 2, v[15:16]
	v_sub_co_u32 v15, vcc_lo, s1, v15
	s_delay_alu instid0(VALU_DEP_2)
	v_sub_co_ci_u32_e32 v16, vcc_lo, s0, v16, vcc_lo
	s_waitcnt lgkmcnt(0)
	global_store_b32 v[15:16], v17, off
                                        ; implicit-def: $vgpr15
.LBB566_175:
	s_and_not1_saveexec_b32 s5, s5
	s_cbranch_execz .LBB566_177
; %bb.176:
	v_lshlrev_b32_e32 v16, 2, v0
	v_lshlrev_b32_e32 v15, 2, v15
	v_readfirstlane_b32 s6, v9
	v_readfirstlane_b32 s7, v10
	ds_load_b32 v16, v16 offset:5120
	s_waitcnt lgkmcnt(0)
	global_store_b32 v15, v16, s[6:7]
.LBB566_177:
	s_or_b32 exec_lo, exec_lo, s5
                                        ; implicit-def: $vgpr15
.LBB566_178:
	s_and_not1_saveexec_b32 s3, s3
	s_cbranch_execz .LBB566_180
; %bb.179:
	v_lshlrev_b32_e32 v16, 2, v0
	v_lshlrev_b32_e32 v15, 2, v15
	v_readfirstlane_b32 s6, v11
	v_readfirstlane_b32 s7, v12
	ds_load_b32 v16, v16 offset:5120
	s_waitcnt lgkmcnt(0)
	global_store_b32 v15, v16, s[6:7]
.LBB566_180:
	s_or_b32 exec_lo, exec_lo, s3
	v_or_b32_e32 v15, 0x600, v0
	s_mov_b32 s3, exec_lo
	s_delay_alu instid0(VALU_DEP_1)
	v_cmpx_le_u32_e64 v5, v15
	s_xor_b32 s3, exec_lo, s3
	s_cbranch_execz .LBB566_186
; %bb.181:
	s_mov_b32 s5, exec_lo
	v_cmpx_le_u32_e64 v14, v15
	s_xor_b32 s5, exec_lo, s5
	s_cbranch_execz .LBB566_183
; %bb.182:
	v_lshlrev_b32_e32 v16, 2, v0
	v_add_co_u32 v15, vcc_lo, v7, v15
	ds_load_b32 v17, v16 offset:6144
	v_add_co_ci_u32_e32 v16, vcc_lo, 0, v13, vcc_lo
	s_delay_alu instid0(VALU_DEP_1) | instskip(NEXT) | instid1(VALU_DEP_1)
	v_lshlrev_b64 v[15:16], 2, v[15:16]
	v_sub_co_u32 v15, vcc_lo, s1, v15
	s_delay_alu instid0(VALU_DEP_2)
	v_sub_co_ci_u32_e32 v16, vcc_lo, s0, v16, vcc_lo
	s_waitcnt lgkmcnt(0)
	global_store_b32 v[15:16], v17, off
                                        ; implicit-def: $vgpr15
.LBB566_183:
	s_and_not1_saveexec_b32 s5, s5
	s_cbranch_execz .LBB566_185
; %bb.184:
	v_lshlrev_b32_e32 v16, 2, v0
	v_lshlrev_b32_e32 v15, 2, v15
	v_readfirstlane_b32 s6, v9
	v_readfirstlane_b32 s7, v10
	ds_load_b32 v16, v16 offset:6144
	s_waitcnt lgkmcnt(0)
	global_store_b32 v15, v16, s[6:7]
.LBB566_185:
	s_or_b32 exec_lo, exec_lo, s5
                                        ; implicit-def: $vgpr15
.LBB566_186:
	;; [unrolled: 51-line block ×8, first 2 shown]
	s_and_not1_saveexec_b32 s3, s3
	s_cbranch_execz .LBB566_236
; %bb.235:
	v_lshlrev_b32_e32 v16, 2, v0
	v_lshlrev_b32_e32 v15, 2, v15
	v_readfirstlane_b32 s6, v11
	v_readfirstlane_b32 s7, v12
	ds_load_b32 v16, v16 offset:12288
	s_waitcnt lgkmcnt(0)
	global_store_b32 v15, v16, s[6:7]
.LBB566_236:
	s_or_b32 exec_lo, exec_lo, s3
	s_branch .LBB566_130
.LBB566_237:
	s_mov_b32 s3, exec_lo
	v_cmpx_gt_u32_e64 s4, v0
	s_cbranch_execz .LBB566_246
; %bb.238:
	s_mov_b32 s5, exec_lo
	v_cmpx_le_u32_e64 v5, v0
	s_xor_b32 s5, exec_lo, s5
	s_cbranch_execz .LBB566_244
; %bb.239:
	s_mov_b32 s6, exec_lo
	v_cmpx_le_u32_e64 v14, v0
	s_xor_b32 s6, exec_lo, s6
	s_cbranch_execz .LBB566_241
; %bb.240:
	v_lshlrev_b32_e32 v15, 2, v0
	ds_load_b32 v17, v15
	v_add_co_u32 v15, vcc_lo, v7, v0
	v_add_co_ci_u32_e32 v16, vcc_lo, 0, v13, vcc_lo
	s_delay_alu instid0(VALU_DEP_1) | instskip(NEXT) | instid1(VALU_DEP_1)
	v_lshlrev_b64 v[15:16], 2, v[15:16]
	v_sub_co_u32 v15, vcc_lo, s14, v15
	s_delay_alu instid0(VALU_DEP_2)
	v_sub_co_ci_u32_e32 v16, vcc_lo, s15, v16, vcc_lo
	s_waitcnt lgkmcnt(0)
	global_store_b32 v[15:16], v17, off offset:-4
.LBB566_241:
	s_and_not1_saveexec_b32 s6, s6
	s_cbranch_execz .LBB566_243
; %bb.242:
	v_lshlrev_b32_e32 v15, 2, v0
	v_readfirstlane_b32 s8, v9
	v_readfirstlane_b32 s9, v10
	ds_load_b32 v16, v15
	s_waitcnt lgkmcnt(0)
	global_store_b32 v15, v16, s[8:9]
.LBB566_243:
	s_or_b32 exec_lo, exec_lo, s6
.LBB566_244:
	s_and_not1_saveexec_b32 s5, s5
	s_cbranch_execz .LBB566_246
; %bb.245:
	v_lshlrev_b32_e32 v15, 2, v0
	v_readfirstlane_b32 s6, v11
	v_readfirstlane_b32 s7, v12
	ds_load_b32 v16, v15
	s_waitcnt lgkmcnt(0)
	global_store_b32 v15, v16, s[6:7]
.LBB566_246:
	s_or_b32 exec_lo, exec_lo, s3
	v_or_b32_e32 v15, 0x100, v0
	s_mov_b32 s3, exec_lo
	s_delay_alu instid0(VALU_DEP_1)
	v_cmpx_gt_u32_e64 s4, v15
	s_cbranch_execz .LBB566_255
; %bb.247:
	s_mov_b32 s5, exec_lo
	v_cmpx_le_u32_e64 v5, v15
	s_xor_b32 s5, exec_lo, s5
	s_cbranch_execz .LBB566_253
; %bb.248:
	s_mov_b32 s6, exec_lo
	v_cmpx_le_u32_e64 v14, v15
	s_xor_b32 s6, exec_lo, s6
	s_cbranch_execz .LBB566_250
; %bb.249:
	v_lshlrev_b32_e32 v15, 2, v0
	ds_load_b32 v17, v15 offset:1024
	v_add_co_u32 v15, vcc_lo, v7, v0
	v_add_co_ci_u32_e32 v16, vcc_lo, 0, v13, vcc_lo
	s_delay_alu instid0(VALU_DEP_1) | instskip(NEXT) | instid1(VALU_DEP_1)
	v_lshlrev_b64 v[15:16], 2, v[15:16]
	v_sub_co_u32 v15, vcc_lo, s1, v15
	s_delay_alu instid0(VALU_DEP_2)
	v_sub_co_ci_u32_e32 v16, vcc_lo, s0, v16, vcc_lo
	s_waitcnt lgkmcnt(0)
	global_store_b32 v[15:16], v17, off offset:-1024
.LBB566_250:
	s_and_not1_saveexec_b32 s6, s6
	s_cbranch_execz .LBB566_252
; %bb.251:
	v_lshlrev_b32_e32 v15, 2, v0
	v_readfirstlane_b32 s8, v9
	v_readfirstlane_b32 s9, v10
	ds_load_b32 v16, v15 offset:1024
	s_waitcnt lgkmcnt(0)
	global_store_b32 v15, v16, s[8:9] offset:1024
.LBB566_252:
	s_or_b32 exec_lo, exec_lo, s6
.LBB566_253:
	s_and_not1_saveexec_b32 s5, s5
	s_cbranch_execz .LBB566_255
; %bb.254:
	v_lshlrev_b32_e32 v15, 2, v0
	v_readfirstlane_b32 s6, v11
	v_readfirstlane_b32 s7, v12
	ds_load_b32 v16, v15 offset:1024
	s_waitcnt lgkmcnt(0)
	global_store_b32 v15, v16, s[6:7] offset:1024
.LBB566_255:
	s_or_b32 exec_lo, exec_lo, s3
	v_or_b32_e32 v15, 0x200, v0
	s_mov_b32 s3, exec_lo
	s_delay_alu instid0(VALU_DEP_1)
	v_cmpx_gt_u32_e64 s4, v15
	s_cbranch_execz .LBB566_264
; %bb.256:
	s_mov_b32 s5, exec_lo
	v_cmpx_le_u32_e64 v5, v15
	s_xor_b32 s5, exec_lo, s5
	s_cbranch_execz .LBB566_262
; %bb.257:
	s_mov_b32 s6, exec_lo
	v_cmpx_le_u32_e64 v14, v15
	s_xor_b32 s6, exec_lo, s6
	s_cbranch_execz .LBB566_259
; %bb.258:
	v_lshlrev_b32_e32 v15, 2, v0
	ds_load_b32 v17, v15 offset:2048
	v_add_co_u32 v15, vcc_lo, v7, v0
	v_add_co_ci_u32_e32 v16, vcc_lo, 0, v13, vcc_lo
	s_delay_alu instid0(VALU_DEP_1) | instskip(NEXT) | instid1(VALU_DEP_1)
	v_lshlrev_b64 v[15:16], 2, v[15:16]
	v_sub_co_u32 v15, vcc_lo, s1, v15
	s_delay_alu instid0(VALU_DEP_2)
	v_sub_co_ci_u32_e32 v16, vcc_lo, s0, v16, vcc_lo
	s_waitcnt lgkmcnt(0)
	global_store_b32 v[15:16], v17, off offset:-2048
.LBB566_259:
	s_and_not1_saveexec_b32 s6, s6
	s_cbranch_execz .LBB566_261
; %bb.260:
	v_lshlrev_b32_e32 v15, 2, v0
	v_readfirstlane_b32 s8, v9
	v_readfirstlane_b32 s9, v10
	ds_load_b32 v16, v15 offset:2048
	s_waitcnt lgkmcnt(0)
	global_store_b32 v15, v16, s[8:9] offset:2048
.LBB566_261:
	s_or_b32 exec_lo, exec_lo, s6
.LBB566_262:
	s_and_not1_saveexec_b32 s5, s5
	s_cbranch_execz .LBB566_264
; %bb.263:
	v_lshlrev_b32_e32 v15, 2, v0
	v_readfirstlane_b32 s6, v11
	v_readfirstlane_b32 s7, v12
	ds_load_b32 v16, v15 offset:2048
	s_waitcnt lgkmcnt(0)
	global_store_b32 v15, v16, s[6:7] offset:2048
.LBB566_264:
	;; [unrolled: 51-line block ×3, first 2 shown]
	s_or_b32 exec_lo, exec_lo, s3
	v_or_b32_e32 v15, 0x400, v0
	s_mov_b32 s3, exec_lo
	s_delay_alu instid0(VALU_DEP_1)
	v_cmpx_gt_u32_e64 s4, v15
	s_cbranch_execz .LBB566_282
; %bb.274:
	s_mov_b32 s5, exec_lo
	v_cmpx_le_u32_e64 v5, v15
	s_xor_b32 s5, exec_lo, s5
	s_cbranch_execz .LBB566_280
; %bb.275:
	s_mov_b32 s6, exec_lo
	v_cmpx_le_u32_e64 v14, v15
	s_xor_b32 s6, exec_lo, s6
	s_cbranch_execz .LBB566_277
; %bb.276:
	v_lshlrev_b32_e32 v15, 2, v0
	ds_load_b32 v17, v15 offset:4096
	v_add_co_u32 v15, vcc_lo, v7, v0
	v_add_co_ci_u32_e32 v16, vcc_lo, 0, v13, vcc_lo
	s_delay_alu instid0(VALU_DEP_1) | instskip(NEXT) | instid1(VALU_DEP_1)
	v_lshlrev_b64 v[15:16], 2, v[15:16]
	v_sub_co_u32 v15, vcc_lo, s1, v15
	s_delay_alu instid0(VALU_DEP_2)
	v_sub_co_ci_u32_e32 v16, vcc_lo, s0, v16, vcc_lo
	s_waitcnt lgkmcnt(0)
	global_store_b32 v[15:16], v17, off offset:-4096
                                        ; implicit-def: $vgpr15
.LBB566_277:
	s_and_not1_saveexec_b32 s6, s6
	s_cbranch_execz .LBB566_279
; %bb.278:
	v_lshlrev_b32_e32 v16, 2, v0
	v_lshlrev_b32_e32 v15, 2, v15
	v_readfirstlane_b32 s8, v9
	v_readfirstlane_b32 s9, v10
	ds_load_b32 v16, v16 offset:4096
	s_waitcnt lgkmcnt(0)
	global_store_b32 v15, v16, s[8:9]
.LBB566_279:
	s_or_b32 exec_lo, exec_lo, s6
                                        ; implicit-def: $vgpr15
.LBB566_280:
	s_and_not1_saveexec_b32 s5, s5
	s_cbranch_execz .LBB566_282
; %bb.281:
	v_lshlrev_b32_e32 v16, 2, v0
	v_lshlrev_b32_e32 v15, 2, v15
	v_readfirstlane_b32 s6, v11
	v_readfirstlane_b32 s7, v12
	ds_load_b32 v16, v16 offset:4096
	s_waitcnt lgkmcnt(0)
	global_store_b32 v15, v16, s[6:7]
.LBB566_282:
	s_or_b32 exec_lo, exec_lo, s3
	v_or_b32_e32 v15, 0x500, v0
	s_mov_b32 s3, exec_lo
	s_delay_alu instid0(VALU_DEP_1)
	v_cmpx_gt_u32_e64 s4, v15
	s_cbranch_execz .LBB566_291
; %bb.283:
	s_mov_b32 s5, exec_lo
	v_cmpx_le_u32_e64 v5, v15
	s_xor_b32 s5, exec_lo, s5
	s_cbranch_execz .LBB566_289
; %bb.284:
	s_mov_b32 s6, exec_lo
	v_cmpx_le_u32_e64 v14, v15
	s_xor_b32 s6, exec_lo, s6
	s_cbranch_execz .LBB566_286
; %bb.285:
	v_lshlrev_b32_e32 v16, 2, v0
	v_add_co_u32 v15, vcc_lo, v7, v15
	ds_load_b32 v17, v16 offset:5120
	v_add_co_ci_u32_e32 v16, vcc_lo, 0, v13, vcc_lo
	s_delay_alu instid0(VALU_DEP_1) | instskip(NEXT) | instid1(VALU_DEP_1)
	v_lshlrev_b64 v[15:16], 2, v[15:16]
	v_sub_co_u32 v15, vcc_lo, s1, v15
	s_delay_alu instid0(VALU_DEP_2)
	v_sub_co_ci_u32_e32 v16, vcc_lo, s0, v16, vcc_lo
	s_waitcnt lgkmcnt(0)
	global_store_b32 v[15:16], v17, off
                                        ; implicit-def: $vgpr15
.LBB566_286:
	s_and_not1_saveexec_b32 s6, s6
	s_cbranch_execz .LBB566_288
; %bb.287:
	v_lshlrev_b32_e32 v16, 2, v0
	v_lshlrev_b32_e32 v15, 2, v15
	v_readfirstlane_b32 s8, v9
	v_readfirstlane_b32 s9, v10
	ds_load_b32 v16, v16 offset:5120
	s_waitcnt lgkmcnt(0)
	global_store_b32 v15, v16, s[8:9]
.LBB566_288:
	s_or_b32 exec_lo, exec_lo, s6
                                        ; implicit-def: $vgpr15
.LBB566_289:
	s_and_not1_saveexec_b32 s5, s5
	s_cbranch_execz .LBB566_291
; %bb.290:
	v_lshlrev_b32_e32 v16, 2, v0
	v_lshlrev_b32_e32 v15, 2, v15
	v_readfirstlane_b32 s6, v11
	v_readfirstlane_b32 s7, v12
	ds_load_b32 v16, v16 offset:5120
	s_waitcnt lgkmcnt(0)
	global_store_b32 v15, v16, s[6:7]
.LBB566_291:
	s_or_b32 exec_lo, exec_lo, s3
	v_or_b32_e32 v15, 0x600, v0
	s_mov_b32 s3, exec_lo
	s_delay_alu instid0(VALU_DEP_1)
	v_cmpx_gt_u32_e64 s4, v15
	s_cbranch_execz .LBB566_300
; %bb.292:
	s_mov_b32 s5, exec_lo
	v_cmpx_le_u32_e64 v5, v15
	s_xor_b32 s5, exec_lo, s5
	s_cbranch_execz .LBB566_298
; %bb.293:
	s_mov_b32 s6, exec_lo
	v_cmpx_le_u32_e64 v14, v15
	s_xor_b32 s6, exec_lo, s6
	s_cbranch_execz .LBB566_295
; %bb.294:
	v_lshlrev_b32_e32 v16, 2, v0
	v_add_co_u32 v15, vcc_lo, v7, v15
	ds_load_b32 v17, v16 offset:6144
	v_add_co_ci_u32_e32 v16, vcc_lo, 0, v13, vcc_lo
	s_delay_alu instid0(VALU_DEP_1) | instskip(NEXT) | instid1(VALU_DEP_1)
	v_lshlrev_b64 v[15:16], 2, v[15:16]
	v_sub_co_u32 v15, vcc_lo, s1, v15
	s_delay_alu instid0(VALU_DEP_2)
	v_sub_co_ci_u32_e32 v16, vcc_lo, s0, v16, vcc_lo
	s_waitcnt lgkmcnt(0)
	global_store_b32 v[15:16], v17, off
                                        ; implicit-def: $vgpr15
.LBB566_295:
	s_and_not1_saveexec_b32 s6, s6
	s_cbranch_execz .LBB566_297
; %bb.296:
	v_lshlrev_b32_e32 v16, 2, v0
	v_lshlrev_b32_e32 v15, 2, v15
	v_readfirstlane_b32 s8, v9
	v_readfirstlane_b32 s9, v10
	ds_load_b32 v16, v16 offset:6144
	s_waitcnt lgkmcnt(0)
	global_store_b32 v15, v16, s[8:9]
.LBB566_297:
	s_or_b32 exec_lo, exec_lo, s6
                                        ; implicit-def: $vgpr15
.LBB566_298:
	s_and_not1_saveexec_b32 s5, s5
	s_cbranch_execz .LBB566_300
; %bb.299:
	v_lshlrev_b32_e32 v16, 2, v0
	v_lshlrev_b32_e32 v15, 2, v15
	v_readfirstlane_b32 s6, v11
	v_readfirstlane_b32 s7, v12
	ds_load_b32 v16, v16 offset:6144
	s_waitcnt lgkmcnt(0)
	global_store_b32 v15, v16, s[6:7]
.LBB566_300:
	;; [unrolled: 55-line block ×7, first 2 shown]
	s_or_b32 exec_lo, exec_lo, s3
	v_or_b32_e32 v15, 0xc00, v0
	s_mov_b32 s3, exec_lo
	s_delay_alu instid0(VALU_DEP_1)
	v_cmpx_gt_u32_e64 s4, v15
	s_cbranch_execz .LBB566_354
; %bb.346:
	s_mov_b32 s4, exec_lo
	v_cmpx_le_u32_e64 v5, v15
	s_xor_b32 s4, exec_lo, s4
	s_cbranch_execz .LBB566_352
; %bb.347:
	s_mov_b32 s5, exec_lo
	v_cmpx_le_u32_e64 v14, v15
	s_xor_b32 s5, exec_lo, s5
	s_cbranch_execz .LBB566_349
; %bb.348:
	v_lshlrev_b32_e32 v0, 2, v0
	v_add_co_u32 v9, vcc_lo, v7, v15
	v_add_co_ci_u32_e32 v10, vcc_lo, 0, v13, vcc_lo
	ds_load_b32 v0, v0 offset:12288
                                        ; implicit-def: $vgpr15
	v_lshlrev_b64 v[9:10], 2, v[9:10]
	s_delay_alu instid0(VALU_DEP_1) | instskip(NEXT) | instid1(VALU_DEP_2)
	v_sub_co_u32 v9, vcc_lo, s1, v9
	v_sub_co_ci_u32_e32 v10, vcc_lo, s0, v10, vcc_lo
	s_waitcnt lgkmcnt(0)
	global_store_b32 v[9:10], v0, off
                                        ; implicit-def: $vgpr0
                                        ; implicit-def: $vgpr9_vgpr10
.LBB566_349:
	s_and_not1_saveexec_b32 s0, s5
	s_cbranch_execz .LBB566_351
; %bb.350:
	v_lshlrev_b32_e32 v0, 2, v0
	v_lshlrev_b32_e32 v7, 2, v15
	v_readfirstlane_b32 s6, v9
	v_readfirstlane_b32 s7, v10
	ds_load_b32 v0, v0 offset:12288
	s_waitcnt lgkmcnt(0)
	global_store_b32 v7, v0, s[6:7]
.LBB566_351:
	s_or_b32 exec_lo, exec_lo, s0
                                        ; implicit-def: $vgpr0
                                        ; implicit-def: $vgpr15
                                        ; implicit-def: $vgpr11_vgpr12
.LBB566_352:
	s_and_not1_saveexec_b32 s0, s4
	s_cbranch_execz .LBB566_354
; %bb.353:
	v_lshlrev_b32_e32 v0, 2, v0
	v_lshlrev_b32_e32 v7, 2, v15
	v_readfirstlane_b32 s0, v11
	v_readfirstlane_b32 s1, v12
	ds_load_b32 v0, v0 offset:12288
	s_waitcnt lgkmcnt(0)
	global_store_b32 v7, v0, s[0:1]
.LBB566_354:
	s_or_b32 exec_lo, exec_lo, s3
	s_and_b32 s0, s2, s13
	s_delay_alu instid0(SALU_CYCLE_1)
	s_and_saveexec_b32 s1, s0
	s_cbranch_execz .LBB566_131
.LBB566_355:
	v_add_co_u32 v3, vcc_lo, v3, v6
	v_add_co_ci_u32_e32 v4, vcc_lo, 0, v4, vcc_lo
	v_add_co_u32 v0, vcc_lo, v1, v5
	v_add_co_ci_u32_e32 v1, vcc_lo, 0, v2, vcc_lo
	s_delay_alu instid0(VALU_DEP_4)
	v_add_co_u32 v2, vcc_lo, v3, v8
	v_mov_b32_e32 v7, 0
	v_add_co_ci_u32_e32 v3, vcc_lo, 0, v4, vcc_lo
	global_store_b128 v7, v[0:3], s[24:25]
	s_nop 0
	s_sendmsg sendmsg(MSG_DEALLOC_VGPRS)
	s_endpgm
.LBB566_356:
	v_add_nc_u32_e32 v7, s6, v27
	s_add_i32 s8, s26, 32
	s_mov_b32 s9, 0
	v_dual_mov_b32 v9, 0 :: v_dual_add_nc_u32 v6, v26, v5
	s_lshl_b64 s[8:9], s[8:9], 4
	v_and_b32_e32 v24, 0xff0000, v7
	s_add_u32 s8, s36, s8
	s_addc_u32 s9, s37, s9
	v_and_b32_e32 v8, 0xff000000, v7
	s_delay_alu instid0(VALU_DEP_1) | instskip(SKIP_2) | instid1(VALU_DEP_1)
	v_or_b32_e32 v24, v24, v8
	v_dual_mov_b32 v8, 2 :: v_dual_and_b32 v25, 0xff00, v7
	v_and_b32_e32 v7, 0xff, v7
	v_or3_b32 v7, v24, v25, v7
	v_dual_mov_b32 v25, s9 :: v_dual_mov_b32 v24, s8
	;;#ASMSTART
	global_store_dwordx4 v[24:25], v[6:9] off	
s_waitcnt vmcnt(0)
	;;#ASMEND
	s_or_b32 exec_lo, exec_lo, s7
	s_and_saveexec_b32 s7, s3
	s_cbranch_execz .LBB566_115
.LBB566_357:
	v_mov_b32_e32 v6, s6
	v_add_nc_u32_e64 v7, 0x3400, 0
	ds_store_2addr_b32 v7, v5, v6 offset1:2
	ds_store_2addr_b32 v7, v26, v27 offset0:4 offset1:6
	s_or_b32 exec_lo, exec_lo, s7
	s_delay_alu instid0(SALU_CYCLE_1)
	s_and_b32 exec_lo, exec_lo, s2
	s_cbranch_execnz .LBB566_116
	s_branch .LBB566_117
	.section	.rodata,"a",@progbits
	.p2align	6, 0x0
	.amdhsa_kernel _ZN7rocprim17ROCPRIM_400000_NS6detail17trampoline_kernelINS0_13select_configILj256ELj13ELNS0_17block_load_methodE3ELS4_3ELS4_3ELNS0_20block_scan_algorithmE0ELj4294967295EEENS1_25partition_config_selectorILNS1_17partition_subalgoE4EjNS0_10empty_typeEbEEZZNS1_14partition_implILS8_4ELb0ES6_15HIP_vector_typeIjLj2EENS0_17counting_iteratorIjlEEPS9_SG_NS0_5tupleIJPjSI_NS0_16reverse_iteratorISI_EEEEENSH_IJSG_SG_SG_EEES9_SI_JZNS1_25segmented_radix_sort_implINS0_14default_configELb0EPKiPiPKlPlN2at6native12_GLOBAL__N_18offset_tEEE10hipError_tPvRmT1_PNSt15iterator_traitsIS12_E10value_typeET2_T3_PNS13_IS18_E10value_typeET4_jRbjT5_S1E_jjP12ihipStream_tbEUljE_ZNSN_ISO_Lb0ESQ_SR_ST_SU_SY_EESZ_S10_S11_S12_S16_S17_S18_S1B_S1C_jS1D_jS1E_S1E_jjS1G_bEUljE0_EEESZ_S10_S11_S18_S1C_S1E_T6_T7_T9_mT8_S1G_bDpT10_ENKUlT_T0_E_clISt17integral_constantIbLb0EES1T_IbLb1EEEEDaS1P_S1Q_EUlS1P_E_NS1_11comp_targetILNS1_3genE9ELNS1_11target_archE1100ELNS1_3gpuE3ELNS1_3repE0EEENS1_30default_config_static_selectorELNS0_4arch9wavefront6targetE0EEEvS12_
		.amdhsa_group_segment_fixed_size 13340
		.amdhsa_private_segment_fixed_size 0
		.amdhsa_kernarg_size 184
		.amdhsa_user_sgpr_count 15
		.amdhsa_user_sgpr_dispatch_ptr 0
		.amdhsa_user_sgpr_queue_ptr 0
		.amdhsa_user_sgpr_kernarg_segment_ptr 1
		.amdhsa_user_sgpr_dispatch_id 0
		.amdhsa_user_sgpr_private_segment_size 0
		.amdhsa_wavefront_size32 1
		.amdhsa_uses_dynamic_stack 0
		.amdhsa_enable_private_segment 0
		.amdhsa_system_sgpr_workgroup_id_x 1
		.amdhsa_system_sgpr_workgroup_id_y 0
		.amdhsa_system_sgpr_workgroup_id_z 0
		.amdhsa_system_sgpr_workgroup_info 0
		.amdhsa_system_vgpr_workitem_id 0
		.amdhsa_next_free_vgpr 103
		.amdhsa_next_free_sgpr 55
		.amdhsa_reserve_vcc 1
		.amdhsa_float_round_mode_32 0
		.amdhsa_float_round_mode_16_64 0
		.amdhsa_float_denorm_mode_32 3
		.amdhsa_float_denorm_mode_16_64 3
		.amdhsa_dx10_clamp 1
		.amdhsa_ieee_mode 1
		.amdhsa_fp16_overflow 0
		.amdhsa_workgroup_processor_mode 1
		.amdhsa_memory_ordered 1
		.amdhsa_forward_progress 0
		.amdhsa_shared_vgpr_count 0
		.amdhsa_exception_fp_ieee_invalid_op 0
		.amdhsa_exception_fp_denorm_src 0
		.amdhsa_exception_fp_ieee_div_zero 0
		.amdhsa_exception_fp_ieee_overflow 0
		.amdhsa_exception_fp_ieee_underflow 0
		.amdhsa_exception_fp_ieee_inexact 0
		.amdhsa_exception_int_div_zero 0
	.end_amdhsa_kernel
	.section	.text._ZN7rocprim17ROCPRIM_400000_NS6detail17trampoline_kernelINS0_13select_configILj256ELj13ELNS0_17block_load_methodE3ELS4_3ELS4_3ELNS0_20block_scan_algorithmE0ELj4294967295EEENS1_25partition_config_selectorILNS1_17partition_subalgoE4EjNS0_10empty_typeEbEEZZNS1_14partition_implILS8_4ELb0ES6_15HIP_vector_typeIjLj2EENS0_17counting_iteratorIjlEEPS9_SG_NS0_5tupleIJPjSI_NS0_16reverse_iteratorISI_EEEEENSH_IJSG_SG_SG_EEES9_SI_JZNS1_25segmented_radix_sort_implINS0_14default_configELb0EPKiPiPKlPlN2at6native12_GLOBAL__N_18offset_tEEE10hipError_tPvRmT1_PNSt15iterator_traitsIS12_E10value_typeET2_T3_PNS13_IS18_E10value_typeET4_jRbjT5_S1E_jjP12ihipStream_tbEUljE_ZNSN_ISO_Lb0ESQ_SR_ST_SU_SY_EESZ_S10_S11_S12_S16_S17_S18_S1B_S1C_jS1D_jS1E_S1E_jjS1G_bEUljE0_EEESZ_S10_S11_S18_S1C_S1E_T6_T7_T9_mT8_S1G_bDpT10_ENKUlT_T0_E_clISt17integral_constantIbLb0EES1T_IbLb1EEEEDaS1P_S1Q_EUlS1P_E_NS1_11comp_targetILNS1_3genE9ELNS1_11target_archE1100ELNS1_3gpuE3ELNS1_3repE0EEENS1_30default_config_static_selectorELNS0_4arch9wavefront6targetE0EEEvS12_,"axG",@progbits,_ZN7rocprim17ROCPRIM_400000_NS6detail17trampoline_kernelINS0_13select_configILj256ELj13ELNS0_17block_load_methodE3ELS4_3ELS4_3ELNS0_20block_scan_algorithmE0ELj4294967295EEENS1_25partition_config_selectorILNS1_17partition_subalgoE4EjNS0_10empty_typeEbEEZZNS1_14partition_implILS8_4ELb0ES6_15HIP_vector_typeIjLj2EENS0_17counting_iteratorIjlEEPS9_SG_NS0_5tupleIJPjSI_NS0_16reverse_iteratorISI_EEEEENSH_IJSG_SG_SG_EEES9_SI_JZNS1_25segmented_radix_sort_implINS0_14default_configELb0EPKiPiPKlPlN2at6native12_GLOBAL__N_18offset_tEEE10hipError_tPvRmT1_PNSt15iterator_traitsIS12_E10value_typeET2_T3_PNS13_IS18_E10value_typeET4_jRbjT5_S1E_jjP12ihipStream_tbEUljE_ZNSN_ISO_Lb0ESQ_SR_ST_SU_SY_EESZ_S10_S11_S12_S16_S17_S18_S1B_S1C_jS1D_jS1E_S1E_jjS1G_bEUljE0_EEESZ_S10_S11_S18_S1C_S1E_T6_T7_T9_mT8_S1G_bDpT10_ENKUlT_T0_E_clISt17integral_constantIbLb0EES1T_IbLb1EEEEDaS1P_S1Q_EUlS1P_E_NS1_11comp_targetILNS1_3genE9ELNS1_11target_archE1100ELNS1_3gpuE3ELNS1_3repE0EEENS1_30default_config_static_selectorELNS0_4arch9wavefront6targetE0EEEvS12_,comdat
.Lfunc_end566:
	.size	_ZN7rocprim17ROCPRIM_400000_NS6detail17trampoline_kernelINS0_13select_configILj256ELj13ELNS0_17block_load_methodE3ELS4_3ELS4_3ELNS0_20block_scan_algorithmE0ELj4294967295EEENS1_25partition_config_selectorILNS1_17partition_subalgoE4EjNS0_10empty_typeEbEEZZNS1_14partition_implILS8_4ELb0ES6_15HIP_vector_typeIjLj2EENS0_17counting_iteratorIjlEEPS9_SG_NS0_5tupleIJPjSI_NS0_16reverse_iteratorISI_EEEEENSH_IJSG_SG_SG_EEES9_SI_JZNS1_25segmented_radix_sort_implINS0_14default_configELb0EPKiPiPKlPlN2at6native12_GLOBAL__N_18offset_tEEE10hipError_tPvRmT1_PNSt15iterator_traitsIS12_E10value_typeET2_T3_PNS13_IS18_E10value_typeET4_jRbjT5_S1E_jjP12ihipStream_tbEUljE_ZNSN_ISO_Lb0ESQ_SR_ST_SU_SY_EESZ_S10_S11_S12_S16_S17_S18_S1B_S1C_jS1D_jS1E_S1E_jjS1G_bEUljE0_EEESZ_S10_S11_S18_S1C_S1E_T6_T7_T9_mT8_S1G_bDpT10_ENKUlT_T0_E_clISt17integral_constantIbLb0EES1T_IbLb1EEEEDaS1P_S1Q_EUlS1P_E_NS1_11comp_targetILNS1_3genE9ELNS1_11target_archE1100ELNS1_3gpuE3ELNS1_3repE0EEENS1_30default_config_static_selectorELNS0_4arch9wavefront6targetE0EEEvS12_, .Lfunc_end566-_ZN7rocprim17ROCPRIM_400000_NS6detail17trampoline_kernelINS0_13select_configILj256ELj13ELNS0_17block_load_methodE3ELS4_3ELS4_3ELNS0_20block_scan_algorithmE0ELj4294967295EEENS1_25partition_config_selectorILNS1_17partition_subalgoE4EjNS0_10empty_typeEbEEZZNS1_14partition_implILS8_4ELb0ES6_15HIP_vector_typeIjLj2EENS0_17counting_iteratorIjlEEPS9_SG_NS0_5tupleIJPjSI_NS0_16reverse_iteratorISI_EEEEENSH_IJSG_SG_SG_EEES9_SI_JZNS1_25segmented_radix_sort_implINS0_14default_configELb0EPKiPiPKlPlN2at6native12_GLOBAL__N_18offset_tEEE10hipError_tPvRmT1_PNSt15iterator_traitsIS12_E10value_typeET2_T3_PNS13_IS18_E10value_typeET4_jRbjT5_S1E_jjP12ihipStream_tbEUljE_ZNSN_ISO_Lb0ESQ_SR_ST_SU_SY_EESZ_S10_S11_S12_S16_S17_S18_S1B_S1C_jS1D_jS1E_S1E_jjS1G_bEUljE0_EEESZ_S10_S11_S18_S1C_S1E_T6_T7_T9_mT8_S1G_bDpT10_ENKUlT_T0_E_clISt17integral_constantIbLb0EES1T_IbLb1EEEEDaS1P_S1Q_EUlS1P_E_NS1_11comp_targetILNS1_3genE9ELNS1_11target_archE1100ELNS1_3gpuE3ELNS1_3repE0EEENS1_30default_config_static_selectorELNS0_4arch9wavefront6targetE0EEEvS12_
                                        ; -- End function
	.section	.AMDGPU.csdata,"",@progbits
; Kernel info:
; codeLenInByte = 15060
; NumSgprs: 57
; NumVgprs: 103
; ScratchSize: 0
; MemoryBound: 0
; FloatMode: 240
; IeeeMode: 1
; LDSByteSize: 13340 bytes/workgroup (compile time only)
; SGPRBlocks: 7
; VGPRBlocks: 12
; NumSGPRsForWavesPerEU: 57
; NumVGPRsForWavesPerEU: 103
; Occupancy: 12
; WaveLimiterHint : 1
; COMPUTE_PGM_RSRC2:SCRATCH_EN: 0
; COMPUTE_PGM_RSRC2:USER_SGPR: 15
; COMPUTE_PGM_RSRC2:TRAP_HANDLER: 0
; COMPUTE_PGM_RSRC2:TGID_X_EN: 1
; COMPUTE_PGM_RSRC2:TGID_Y_EN: 0
; COMPUTE_PGM_RSRC2:TGID_Z_EN: 0
; COMPUTE_PGM_RSRC2:TIDIG_COMP_CNT: 0
	.section	.text._ZN7rocprim17ROCPRIM_400000_NS6detail17trampoline_kernelINS0_13select_configILj256ELj13ELNS0_17block_load_methodE3ELS4_3ELS4_3ELNS0_20block_scan_algorithmE0ELj4294967295EEENS1_25partition_config_selectorILNS1_17partition_subalgoE4EjNS0_10empty_typeEbEEZZNS1_14partition_implILS8_4ELb0ES6_15HIP_vector_typeIjLj2EENS0_17counting_iteratorIjlEEPS9_SG_NS0_5tupleIJPjSI_NS0_16reverse_iteratorISI_EEEEENSH_IJSG_SG_SG_EEES9_SI_JZNS1_25segmented_radix_sort_implINS0_14default_configELb0EPKiPiPKlPlN2at6native12_GLOBAL__N_18offset_tEEE10hipError_tPvRmT1_PNSt15iterator_traitsIS12_E10value_typeET2_T3_PNS13_IS18_E10value_typeET4_jRbjT5_S1E_jjP12ihipStream_tbEUljE_ZNSN_ISO_Lb0ESQ_SR_ST_SU_SY_EESZ_S10_S11_S12_S16_S17_S18_S1B_S1C_jS1D_jS1E_S1E_jjS1G_bEUljE0_EEESZ_S10_S11_S18_S1C_S1E_T6_T7_T9_mT8_S1G_bDpT10_ENKUlT_T0_E_clISt17integral_constantIbLb0EES1T_IbLb1EEEEDaS1P_S1Q_EUlS1P_E_NS1_11comp_targetILNS1_3genE8ELNS1_11target_archE1030ELNS1_3gpuE2ELNS1_3repE0EEENS1_30default_config_static_selectorELNS0_4arch9wavefront6targetE0EEEvS12_,"axG",@progbits,_ZN7rocprim17ROCPRIM_400000_NS6detail17trampoline_kernelINS0_13select_configILj256ELj13ELNS0_17block_load_methodE3ELS4_3ELS4_3ELNS0_20block_scan_algorithmE0ELj4294967295EEENS1_25partition_config_selectorILNS1_17partition_subalgoE4EjNS0_10empty_typeEbEEZZNS1_14partition_implILS8_4ELb0ES6_15HIP_vector_typeIjLj2EENS0_17counting_iteratorIjlEEPS9_SG_NS0_5tupleIJPjSI_NS0_16reverse_iteratorISI_EEEEENSH_IJSG_SG_SG_EEES9_SI_JZNS1_25segmented_radix_sort_implINS0_14default_configELb0EPKiPiPKlPlN2at6native12_GLOBAL__N_18offset_tEEE10hipError_tPvRmT1_PNSt15iterator_traitsIS12_E10value_typeET2_T3_PNS13_IS18_E10value_typeET4_jRbjT5_S1E_jjP12ihipStream_tbEUljE_ZNSN_ISO_Lb0ESQ_SR_ST_SU_SY_EESZ_S10_S11_S12_S16_S17_S18_S1B_S1C_jS1D_jS1E_S1E_jjS1G_bEUljE0_EEESZ_S10_S11_S18_S1C_S1E_T6_T7_T9_mT8_S1G_bDpT10_ENKUlT_T0_E_clISt17integral_constantIbLb0EES1T_IbLb1EEEEDaS1P_S1Q_EUlS1P_E_NS1_11comp_targetILNS1_3genE8ELNS1_11target_archE1030ELNS1_3gpuE2ELNS1_3repE0EEENS1_30default_config_static_selectorELNS0_4arch9wavefront6targetE0EEEvS12_,comdat
	.globl	_ZN7rocprim17ROCPRIM_400000_NS6detail17trampoline_kernelINS0_13select_configILj256ELj13ELNS0_17block_load_methodE3ELS4_3ELS4_3ELNS0_20block_scan_algorithmE0ELj4294967295EEENS1_25partition_config_selectorILNS1_17partition_subalgoE4EjNS0_10empty_typeEbEEZZNS1_14partition_implILS8_4ELb0ES6_15HIP_vector_typeIjLj2EENS0_17counting_iteratorIjlEEPS9_SG_NS0_5tupleIJPjSI_NS0_16reverse_iteratorISI_EEEEENSH_IJSG_SG_SG_EEES9_SI_JZNS1_25segmented_radix_sort_implINS0_14default_configELb0EPKiPiPKlPlN2at6native12_GLOBAL__N_18offset_tEEE10hipError_tPvRmT1_PNSt15iterator_traitsIS12_E10value_typeET2_T3_PNS13_IS18_E10value_typeET4_jRbjT5_S1E_jjP12ihipStream_tbEUljE_ZNSN_ISO_Lb0ESQ_SR_ST_SU_SY_EESZ_S10_S11_S12_S16_S17_S18_S1B_S1C_jS1D_jS1E_S1E_jjS1G_bEUljE0_EEESZ_S10_S11_S18_S1C_S1E_T6_T7_T9_mT8_S1G_bDpT10_ENKUlT_T0_E_clISt17integral_constantIbLb0EES1T_IbLb1EEEEDaS1P_S1Q_EUlS1P_E_NS1_11comp_targetILNS1_3genE8ELNS1_11target_archE1030ELNS1_3gpuE2ELNS1_3repE0EEENS1_30default_config_static_selectorELNS0_4arch9wavefront6targetE0EEEvS12_ ; -- Begin function _ZN7rocprim17ROCPRIM_400000_NS6detail17trampoline_kernelINS0_13select_configILj256ELj13ELNS0_17block_load_methodE3ELS4_3ELS4_3ELNS0_20block_scan_algorithmE0ELj4294967295EEENS1_25partition_config_selectorILNS1_17partition_subalgoE4EjNS0_10empty_typeEbEEZZNS1_14partition_implILS8_4ELb0ES6_15HIP_vector_typeIjLj2EENS0_17counting_iteratorIjlEEPS9_SG_NS0_5tupleIJPjSI_NS0_16reverse_iteratorISI_EEEEENSH_IJSG_SG_SG_EEES9_SI_JZNS1_25segmented_radix_sort_implINS0_14default_configELb0EPKiPiPKlPlN2at6native12_GLOBAL__N_18offset_tEEE10hipError_tPvRmT1_PNSt15iterator_traitsIS12_E10value_typeET2_T3_PNS13_IS18_E10value_typeET4_jRbjT5_S1E_jjP12ihipStream_tbEUljE_ZNSN_ISO_Lb0ESQ_SR_ST_SU_SY_EESZ_S10_S11_S12_S16_S17_S18_S1B_S1C_jS1D_jS1E_S1E_jjS1G_bEUljE0_EEESZ_S10_S11_S18_S1C_S1E_T6_T7_T9_mT8_S1G_bDpT10_ENKUlT_T0_E_clISt17integral_constantIbLb0EES1T_IbLb1EEEEDaS1P_S1Q_EUlS1P_E_NS1_11comp_targetILNS1_3genE8ELNS1_11target_archE1030ELNS1_3gpuE2ELNS1_3repE0EEENS1_30default_config_static_selectorELNS0_4arch9wavefront6targetE0EEEvS12_
	.p2align	8
	.type	_ZN7rocprim17ROCPRIM_400000_NS6detail17trampoline_kernelINS0_13select_configILj256ELj13ELNS0_17block_load_methodE3ELS4_3ELS4_3ELNS0_20block_scan_algorithmE0ELj4294967295EEENS1_25partition_config_selectorILNS1_17partition_subalgoE4EjNS0_10empty_typeEbEEZZNS1_14partition_implILS8_4ELb0ES6_15HIP_vector_typeIjLj2EENS0_17counting_iteratorIjlEEPS9_SG_NS0_5tupleIJPjSI_NS0_16reverse_iteratorISI_EEEEENSH_IJSG_SG_SG_EEES9_SI_JZNS1_25segmented_radix_sort_implINS0_14default_configELb0EPKiPiPKlPlN2at6native12_GLOBAL__N_18offset_tEEE10hipError_tPvRmT1_PNSt15iterator_traitsIS12_E10value_typeET2_T3_PNS13_IS18_E10value_typeET4_jRbjT5_S1E_jjP12ihipStream_tbEUljE_ZNSN_ISO_Lb0ESQ_SR_ST_SU_SY_EESZ_S10_S11_S12_S16_S17_S18_S1B_S1C_jS1D_jS1E_S1E_jjS1G_bEUljE0_EEESZ_S10_S11_S18_S1C_S1E_T6_T7_T9_mT8_S1G_bDpT10_ENKUlT_T0_E_clISt17integral_constantIbLb0EES1T_IbLb1EEEEDaS1P_S1Q_EUlS1P_E_NS1_11comp_targetILNS1_3genE8ELNS1_11target_archE1030ELNS1_3gpuE2ELNS1_3repE0EEENS1_30default_config_static_selectorELNS0_4arch9wavefront6targetE0EEEvS12_,@function
_ZN7rocprim17ROCPRIM_400000_NS6detail17trampoline_kernelINS0_13select_configILj256ELj13ELNS0_17block_load_methodE3ELS4_3ELS4_3ELNS0_20block_scan_algorithmE0ELj4294967295EEENS1_25partition_config_selectorILNS1_17partition_subalgoE4EjNS0_10empty_typeEbEEZZNS1_14partition_implILS8_4ELb0ES6_15HIP_vector_typeIjLj2EENS0_17counting_iteratorIjlEEPS9_SG_NS0_5tupleIJPjSI_NS0_16reverse_iteratorISI_EEEEENSH_IJSG_SG_SG_EEES9_SI_JZNS1_25segmented_radix_sort_implINS0_14default_configELb0EPKiPiPKlPlN2at6native12_GLOBAL__N_18offset_tEEE10hipError_tPvRmT1_PNSt15iterator_traitsIS12_E10value_typeET2_T3_PNS13_IS18_E10value_typeET4_jRbjT5_S1E_jjP12ihipStream_tbEUljE_ZNSN_ISO_Lb0ESQ_SR_ST_SU_SY_EESZ_S10_S11_S12_S16_S17_S18_S1B_S1C_jS1D_jS1E_S1E_jjS1G_bEUljE0_EEESZ_S10_S11_S18_S1C_S1E_T6_T7_T9_mT8_S1G_bDpT10_ENKUlT_T0_E_clISt17integral_constantIbLb0EES1T_IbLb1EEEEDaS1P_S1Q_EUlS1P_E_NS1_11comp_targetILNS1_3genE8ELNS1_11target_archE1030ELNS1_3gpuE2ELNS1_3repE0EEENS1_30default_config_static_selectorELNS0_4arch9wavefront6targetE0EEEvS12_: ; @_ZN7rocprim17ROCPRIM_400000_NS6detail17trampoline_kernelINS0_13select_configILj256ELj13ELNS0_17block_load_methodE3ELS4_3ELS4_3ELNS0_20block_scan_algorithmE0ELj4294967295EEENS1_25partition_config_selectorILNS1_17partition_subalgoE4EjNS0_10empty_typeEbEEZZNS1_14partition_implILS8_4ELb0ES6_15HIP_vector_typeIjLj2EENS0_17counting_iteratorIjlEEPS9_SG_NS0_5tupleIJPjSI_NS0_16reverse_iteratorISI_EEEEENSH_IJSG_SG_SG_EEES9_SI_JZNS1_25segmented_radix_sort_implINS0_14default_configELb0EPKiPiPKlPlN2at6native12_GLOBAL__N_18offset_tEEE10hipError_tPvRmT1_PNSt15iterator_traitsIS12_E10value_typeET2_T3_PNS13_IS18_E10value_typeET4_jRbjT5_S1E_jjP12ihipStream_tbEUljE_ZNSN_ISO_Lb0ESQ_SR_ST_SU_SY_EESZ_S10_S11_S12_S16_S17_S18_S1B_S1C_jS1D_jS1E_S1E_jjS1G_bEUljE0_EEESZ_S10_S11_S18_S1C_S1E_T6_T7_T9_mT8_S1G_bDpT10_ENKUlT_T0_E_clISt17integral_constantIbLb0EES1T_IbLb1EEEEDaS1P_S1Q_EUlS1P_E_NS1_11comp_targetILNS1_3genE8ELNS1_11target_archE1030ELNS1_3gpuE2ELNS1_3repE0EEENS1_30default_config_static_selectorELNS0_4arch9wavefront6targetE0EEEvS12_
; %bb.0:
	.section	.rodata,"a",@progbits
	.p2align	6, 0x0
	.amdhsa_kernel _ZN7rocprim17ROCPRIM_400000_NS6detail17trampoline_kernelINS0_13select_configILj256ELj13ELNS0_17block_load_methodE3ELS4_3ELS4_3ELNS0_20block_scan_algorithmE0ELj4294967295EEENS1_25partition_config_selectorILNS1_17partition_subalgoE4EjNS0_10empty_typeEbEEZZNS1_14partition_implILS8_4ELb0ES6_15HIP_vector_typeIjLj2EENS0_17counting_iteratorIjlEEPS9_SG_NS0_5tupleIJPjSI_NS0_16reverse_iteratorISI_EEEEENSH_IJSG_SG_SG_EEES9_SI_JZNS1_25segmented_radix_sort_implINS0_14default_configELb0EPKiPiPKlPlN2at6native12_GLOBAL__N_18offset_tEEE10hipError_tPvRmT1_PNSt15iterator_traitsIS12_E10value_typeET2_T3_PNS13_IS18_E10value_typeET4_jRbjT5_S1E_jjP12ihipStream_tbEUljE_ZNSN_ISO_Lb0ESQ_SR_ST_SU_SY_EESZ_S10_S11_S12_S16_S17_S18_S1B_S1C_jS1D_jS1E_S1E_jjS1G_bEUljE0_EEESZ_S10_S11_S18_S1C_S1E_T6_T7_T9_mT8_S1G_bDpT10_ENKUlT_T0_E_clISt17integral_constantIbLb0EES1T_IbLb1EEEEDaS1P_S1Q_EUlS1P_E_NS1_11comp_targetILNS1_3genE8ELNS1_11target_archE1030ELNS1_3gpuE2ELNS1_3repE0EEENS1_30default_config_static_selectorELNS0_4arch9wavefront6targetE0EEEvS12_
		.amdhsa_group_segment_fixed_size 0
		.amdhsa_private_segment_fixed_size 0
		.amdhsa_kernarg_size 184
		.amdhsa_user_sgpr_count 15
		.amdhsa_user_sgpr_dispatch_ptr 0
		.amdhsa_user_sgpr_queue_ptr 0
		.amdhsa_user_sgpr_kernarg_segment_ptr 1
		.amdhsa_user_sgpr_dispatch_id 0
		.amdhsa_user_sgpr_private_segment_size 0
		.amdhsa_wavefront_size32 1
		.amdhsa_uses_dynamic_stack 0
		.amdhsa_enable_private_segment 0
		.amdhsa_system_sgpr_workgroup_id_x 1
		.amdhsa_system_sgpr_workgroup_id_y 0
		.amdhsa_system_sgpr_workgroup_id_z 0
		.amdhsa_system_sgpr_workgroup_info 0
		.amdhsa_system_vgpr_workitem_id 0
		.amdhsa_next_free_vgpr 1
		.amdhsa_next_free_sgpr 1
		.amdhsa_reserve_vcc 0
		.amdhsa_float_round_mode_32 0
		.amdhsa_float_round_mode_16_64 0
		.amdhsa_float_denorm_mode_32 3
		.amdhsa_float_denorm_mode_16_64 3
		.amdhsa_dx10_clamp 1
		.amdhsa_ieee_mode 1
		.amdhsa_fp16_overflow 0
		.amdhsa_workgroup_processor_mode 1
		.amdhsa_memory_ordered 1
		.amdhsa_forward_progress 0
		.amdhsa_shared_vgpr_count 0
		.amdhsa_exception_fp_ieee_invalid_op 0
		.amdhsa_exception_fp_denorm_src 0
		.amdhsa_exception_fp_ieee_div_zero 0
		.amdhsa_exception_fp_ieee_overflow 0
		.amdhsa_exception_fp_ieee_underflow 0
		.amdhsa_exception_fp_ieee_inexact 0
		.amdhsa_exception_int_div_zero 0
	.end_amdhsa_kernel
	.section	.text._ZN7rocprim17ROCPRIM_400000_NS6detail17trampoline_kernelINS0_13select_configILj256ELj13ELNS0_17block_load_methodE3ELS4_3ELS4_3ELNS0_20block_scan_algorithmE0ELj4294967295EEENS1_25partition_config_selectorILNS1_17partition_subalgoE4EjNS0_10empty_typeEbEEZZNS1_14partition_implILS8_4ELb0ES6_15HIP_vector_typeIjLj2EENS0_17counting_iteratorIjlEEPS9_SG_NS0_5tupleIJPjSI_NS0_16reverse_iteratorISI_EEEEENSH_IJSG_SG_SG_EEES9_SI_JZNS1_25segmented_radix_sort_implINS0_14default_configELb0EPKiPiPKlPlN2at6native12_GLOBAL__N_18offset_tEEE10hipError_tPvRmT1_PNSt15iterator_traitsIS12_E10value_typeET2_T3_PNS13_IS18_E10value_typeET4_jRbjT5_S1E_jjP12ihipStream_tbEUljE_ZNSN_ISO_Lb0ESQ_SR_ST_SU_SY_EESZ_S10_S11_S12_S16_S17_S18_S1B_S1C_jS1D_jS1E_S1E_jjS1G_bEUljE0_EEESZ_S10_S11_S18_S1C_S1E_T6_T7_T9_mT8_S1G_bDpT10_ENKUlT_T0_E_clISt17integral_constantIbLb0EES1T_IbLb1EEEEDaS1P_S1Q_EUlS1P_E_NS1_11comp_targetILNS1_3genE8ELNS1_11target_archE1030ELNS1_3gpuE2ELNS1_3repE0EEENS1_30default_config_static_selectorELNS0_4arch9wavefront6targetE0EEEvS12_,"axG",@progbits,_ZN7rocprim17ROCPRIM_400000_NS6detail17trampoline_kernelINS0_13select_configILj256ELj13ELNS0_17block_load_methodE3ELS4_3ELS4_3ELNS0_20block_scan_algorithmE0ELj4294967295EEENS1_25partition_config_selectorILNS1_17partition_subalgoE4EjNS0_10empty_typeEbEEZZNS1_14partition_implILS8_4ELb0ES6_15HIP_vector_typeIjLj2EENS0_17counting_iteratorIjlEEPS9_SG_NS0_5tupleIJPjSI_NS0_16reverse_iteratorISI_EEEEENSH_IJSG_SG_SG_EEES9_SI_JZNS1_25segmented_radix_sort_implINS0_14default_configELb0EPKiPiPKlPlN2at6native12_GLOBAL__N_18offset_tEEE10hipError_tPvRmT1_PNSt15iterator_traitsIS12_E10value_typeET2_T3_PNS13_IS18_E10value_typeET4_jRbjT5_S1E_jjP12ihipStream_tbEUljE_ZNSN_ISO_Lb0ESQ_SR_ST_SU_SY_EESZ_S10_S11_S12_S16_S17_S18_S1B_S1C_jS1D_jS1E_S1E_jjS1G_bEUljE0_EEESZ_S10_S11_S18_S1C_S1E_T6_T7_T9_mT8_S1G_bDpT10_ENKUlT_T0_E_clISt17integral_constantIbLb0EES1T_IbLb1EEEEDaS1P_S1Q_EUlS1P_E_NS1_11comp_targetILNS1_3genE8ELNS1_11target_archE1030ELNS1_3gpuE2ELNS1_3repE0EEENS1_30default_config_static_selectorELNS0_4arch9wavefront6targetE0EEEvS12_,comdat
.Lfunc_end567:
	.size	_ZN7rocprim17ROCPRIM_400000_NS6detail17trampoline_kernelINS0_13select_configILj256ELj13ELNS0_17block_load_methodE3ELS4_3ELS4_3ELNS0_20block_scan_algorithmE0ELj4294967295EEENS1_25partition_config_selectorILNS1_17partition_subalgoE4EjNS0_10empty_typeEbEEZZNS1_14partition_implILS8_4ELb0ES6_15HIP_vector_typeIjLj2EENS0_17counting_iteratorIjlEEPS9_SG_NS0_5tupleIJPjSI_NS0_16reverse_iteratorISI_EEEEENSH_IJSG_SG_SG_EEES9_SI_JZNS1_25segmented_radix_sort_implINS0_14default_configELb0EPKiPiPKlPlN2at6native12_GLOBAL__N_18offset_tEEE10hipError_tPvRmT1_PNSt15iterator_traitsIS12_E10value_typeET2_T3_PNS13_IS18_E10value_typeET4_jRbjT5_S1E_jjP12ihipStream_tbEUljE_ZNSN_ISO_Lb0ESQ_SR_ST_SU_SY_EESZ_S10_S11_S12_S16_S17_S18_S1B_S1C_jS1D_jS1E_S1E_jjS1G_bEUljE0_EEESZ_S10_S11_S18_S1C_S1E_T6_T7_T9_mT8_S1G_bDpT10_ENKUlT_T0_E_clISt17integral_constantIbLb0EES1T_IbLb1EEEEDaS1P_S1Q_EUlS1P_E_NS1_11comp_targetILNS1_3genE8ELNS1_11target_archE1030ELNS1_3gpuE2ELNS1_3repE0EEENS1_30default_config_static_selectorELNS0_4arch9wavefront6targetE0EEEvS12_, .Lfunc_end567-_ZN7rocprim17ROCPRIM_400000_NS6detail17trampoline_kernelINS0_13select_configILj256ELj13ELNS0_17block_load_methodE3ELS4_3ELS4_3ELNS0_20block_scan_algorithmE0ELj4294967295EEENS1_25partition_config_selectorILNS1_17partition_subalgoE4EjNS0_10empty_typeEbEEZZNS1_14partition_implILS8_4ELb0ES6_15HIP_vector_typeIjLj2EENS0_17counting_iteratorIjlEEPS9_SG_NS0_5tupleIJPjSI_NS0_16reverse_iteratorISI_EEEEENSH_IJSG_SG_SG_EEES9_SI_JZNS1_25segmented_radix_sort_implINS0_14default_configELb0EPKiPiPKlPlN2at6native12_GLOBAL__N_18offset_tEEE10hipError_tPvRmT1_PNSt15iterator_traitsIS12_E10value_typeET2_T3_PNS13_IS18_E10value_typeET4_jRbjT5_S1E_jjP12ihipStream_tbEUljE_ZNSN_ISO_Lb0ESQ_SR_ST_SU_SY_EESZ_S10_S11_S12_S16_S17_S18_S1B_S1C_jS1D_jS1E_S1E_jjS1G_bEUljE0_EEESZ_S10_S11_S18_S1C_S1E_T6_T7_T9_mT8_S1G_bDpT10_ENKUlT_T0_E_clISt17integral_constantIbLb0EES1T_IbLb1EEEEDaS1P_S1Q_EUlS1P_E_NS1_11comp_targetILNS1_3genE8ELNS1_11target_archE1030ELNS1_3gpuE2ELNS1_3repE0EEENS1_30default_config_static_selectorELNS0_4arch9wavefront6targetE0EEEvS12_
                                        ; -- End function
	.section	.AMDGPU.csdata,"",@progbits
; Kernel info:
; codeLenInByte = 0
; NumSgprs: 0
; NumVgprs: 0
; ScratchSize: 0
; MemoryBound: 0
; FloatMode: 240
; IeeeMode: 1
; LDSByteSize: 0 bytes/workgroup (compile time only)
; SGPRBlocks: 0
; VGPRBlocks: 0
; NumSGPRsForWavesPerEU: 1
; NumVGPRsForWavesPerEU: 1
; Occupancy: 16
; WaveLimiterHint : 0
; COMPUTE_PGM_RSRC2:SCRATCH_EN: 0
; COMPUTE_PGM_RSRC2:USER_SGPR: 15
; COMPUTE_PGM_RSRC2:TRAP_HANDLER: 0
; COMPUTE_PGM_RSRC2:TGID_X_EN: 1
; COMPUTE_PGM_RSRC2:TGID_Y_EN: 0
; COMPUTE_PGM_RSRC2:TGID_Z_EN: 0
; COMPUTE_PGM_RSRC2:TIDIG_COMP_CNT: 0
	.section	.text._ZN7rocprim17ROCPRIM_400000_NS6detail17trampoline_kernelINS0_13select_configILj256ELj13ELNS0_17block_load_methodE3ELS4_3ELS4_3ELNS0_20block_scan_algorithmE0ELj4294967295EEENS1_25partition_config_selectorILNS1_17partition_subalgoE3EjNS0_10empty_typeEbEEZZNS1_14partition_implILS8_3ELb0ES6_jNS0_17counting_iteratorIjlEEPS9_SE_NS0_5tupleIJPjSE_EEENSF_IJSE_SE_EEES9_SG_JZNS1_25segmented_radix_sort_implINS0_14default_configELb0EPKiPiPKlPlN2at6native12_GLOBAL__N_18offset_tEEE10hipError_tPvRmT1_PNSt15iterator_traitsISY_E10value_typeET2_T3_PNSZ_IS14_E10value_typeET4_jRbjT5_S1A_jjP12ihipStream_tbEUljE_EEESV_SW_SX_S14_S18_S1A_T6_T7_T9_mT8_S1C_bDpT10_ENKUlT_T0_E_clISt17integral_constantIbLb0EES1P_EEDaS1K_S1L_EUlS1K_E_NS1_11comp_targetILNS1_3genE0ELNS1_11target_archE4294967295ELNS1_3gpuE0ELNS1_3repE0EEENS1_30default_config_static_selectorELNS0_4arch9wavefront6targetE0EEEvSY_,"axG",@progbits,_ZN7rocprim17ROCPRIM_400000_NS6detail17trampoline_kernelINS0_13select_configILj256ELj13ELNS0_17block_load_methodE3ELS4_3ELS4_3ELNS0_20block_scan_algorithmE0ELj4294967295EEENS1_25partition_config_selectorILNS1_17partition_subalgoE3EjNS0_10empty_typeEbEEZZNS1_14partition_implILS8_3ELb0ES6_jNS0_17counting_iteratorIjlEEPS9_SE_NS0_5tupleIJPjSE_EEENSF_IJSE_SE_EEES9_SG_JZNS1_25segmented_radix_sort_implINS0_14default_configELb0EPKiPiPKlPlN2at6native12_GLOBAL__N_18offset_tEEE10hipError_tPvRmT1_PNSt15iterator_traitsISY_E10value_typeET2_T3_PNSZ_IS14_E10value_typeET4_jRbjT5_S1A_jjP12ihipStream_tbEUljE_EEESV_SW_SX_S14_S18_S1A_T6_T7_T9_mT8_S1C_bDpT10_ENKUlT_T0_E_clISt17integral_constantIbLb0EES1P_EEDaS1K_S1L_EUlS1K_E_NS1_11comp_targetILNS1_3genE0ELNS1_11target_archE4294967295ELNS1_3gpuE0ELNS1_3repE0EEENS1_30default_config_static_selectorELNS0_4arch9wavefront6targetE0EEEvSY_,comdat
	.globl	_ZN7rocprim17ROCPRIM_400000_NS6detail17trampoline_kernelINS0_13select_configILj256ELj13ELNS0_17block_load_methodE3ELS4_3ELS4_3ELNS0_20block_scan_algorithmE0ELj4294967295EEENS1_25partition_config_selectorILNS1_17partition_subalgoE3EjNS0_10empty_typeEbEEZZNS1_14partition_implILS8_3ELb0ES6_jNS0_17counting_iteratorIjlEEPS9_SE_NS0_5tupleIJPjSE_EEENSF_IJSE_SE_EEES9_SG_JZNS1_25segmented_radix_sort_implINS0_14default_configELb0EPKiPiPKlPlN2at6native12_GLOBAL__N_18offset_tEEE10hipError_tPvRmT1_PNSt15iterator_traitsISY_E10value_typeET2_T3_PNSZ_IS14_E10value_typeET4_jRbjT5_S1A_jjP12ihipStream_tbEUljE_EEESV_SW_SX_S14_S18_S1A_T6_T7_T9_mT8_S1C_bDpT10_ENKUlT_T0_E_clISt17integral_constantIbLb0EES1P_EEDaS1K_S1L_EUlS1K_E_NS1_11comp_targetILNS1_3genE0ELNS1_11target_archE4294967295ELNS1_3gpuE0ELNS1_3repE0EEENS1_30default_config_static_selectorELNS0_4arch9wavefront6targetE0EEEvSY_ ; -- Begin function _ZN7rocprim17ROCPRIM_400000_NS6detail17trampoline_kernelINS0_13select_configILj256ELj13ELNS0_17block_load_methodE3ELS4_3ELS4_3ELNS0_20block_scan_algorithmE0ELj4294967295EEENS1_25partition_config_selectorILNS1_17partition_subalgoE3EjNS0_10empty_typeEbEEZZNS1_14partition_implILS8_3ELb0ES6_jNS0_17counting_iteratorIjlEEPS9_SE_NS0_5tupleIJPjSE_EEENSF_IJSE_SE_EEES9_SG_JZNS1_25segmented_radix_sort_implINS0_14default_configELb0EPKiPiPKlPlN2at6native12_GLOBAL__N_18offset_tEEE10hipError_tPvRmT1_PNSt15iterator_traitsISY_E10value_typeET2_T3_PNSZ_IS14_E10value_typeET4_jRbjT5_S1A_jjP12ihipStream_tbEUljE_EEESV_SW_SX_S14_S18_S1A_T6_T7_T9_mT8_S1C_bDpT10_ENKUlT_T0_E_clISt17integral_constantIbLb0EES1P_EEDaS1K_S1L_EUlS1K_E_NS1_11comp_targetILNS1_3genE0ELNS1_11target_archE4294967295ELNS1_3gpuE0ELNS1_3repE0EEENS1_30default_config_static_selectorELNS0_4arch9wavefront6targetE0EEEvSY_
	.p2align	8
	.type	_ZN7rocprim17ROCPRIM_400000_NS6detail17trampoline_kernelINS0_13select_configILj256ELj13ELNS0_17block_load_methodE3ELS4_3ELS4_3ELNS0_20block_scan_algorithmE0ELj4294967295EEENS1_25partition_config_selectorILNS1_17partition_subalgoE3EjNS0_10empty_typeEbEEZZNS1_14partition_implILS8_3ELb0ES6_jNS0_17counting_iteratorIjlEEPS9_SE_NS0_5tupleIJPjSE_EEENSF_IJSE_SE_EEES9_SG_JZNS1_25segmented_radix_sort_implINS0_14default_configELb0EPKiPiPKlPlN2at6native12_GLOBAL__N_18offset_tEEE10hipError_tPvRmT1_PNSt15iterator_traitsISY_E10value_typeET2_T3_PNSZ_IS14_E10value_typeET4_jRbjT5_S1A_jjP12ihipStream_tbEUljE_EEESV_SW_SX_S14_S18_S1A_T6_T7_T9_mT8_S1C_bDpT10_ENKUlT_T0_E_clISt17integral_constantIbLb0EES1P_EEDaS1K_S1L_EUlS1K_E_NS1_11comp_targetILNS1_3genE0ELNS1_11target_archE4294967295ELNS1_3gpuE0ELNS1_3repE0EEENS1_30default_config_static_selectorELNS0_4arch9wavefront6targetE0EEEvSY_,@function
_ZN7rocprim17ROCPRIM_400000_NS6detail17trampoline_kernelINS0_13select_configILj256ELj13ELNS0_17block_load_methodE3ELS4_3ELS4_3ELNS0_20block_scan_algorithmE0ELj4294967295EEENS1_25partition_config_selectorILNS1_17partition_subalgoE3EjNS0_10empty_typeEbEEZZNS1_14partition_implILS8_3ELb0ES6_jNS0_17counting_iteratorIjlEEPS9_SE_NS0_5tupleIJPjSE_EEENSF_IJSE_SE_EEES9_SG_JZNS1_25segmented_radix_sort_implINS0_14default_configELb0EPKiPiPKlPlN2at6native12_GLOBAL__N_18offset_tEEE10hipError_tPvRmT1_PNSt15iterator_traitsISY_E10value_typeET2_T3_PNSZ_IS14_E10value_typeET4_jRbjT5_S1A_jjP12ihipStream_tbEUljE_EEESV_SW_SX_S14_S18_S1A_T6_T7_T9_mT8_S1C_bDpT10_ENKUlT_T0_E_clISt17integral_constantIbLb0EES1P_EEDaS1K_S1L_EUlS1K_E_NS1_11comp_targetILNS1_3genE0ELNS1_11target_archE4294967295ELNS1_3gpuE0ELNS1_3repE0EEENS1_30default_config_static_selectorELNS0_4arch9wavefront6targetE0EEEvSY_: ; @_ZN7rocprim17ROCPRIM_400000_NS6detail17trampoline_kernelINS0_13select_configILj256ELj13ELNS0_17block_load_methodE3ELS4_3ELS4_3ELNS0_20block_scan_algorithmE0ELj4294967295EEENS1_25partition_config_selectorILNS1_17partition_subalgoE3EjNS0_10empty_typeEbEEZZNS1_14partition_implILS8_3ELb0ES6_jNS0_17counting_iteratorIjlEEPS9_SE_NS0_5tupleIJPjSE_EEENSF_IJSE_SE_EEES9_SG_JZNS1_25segmented_radix_sort_implINS0_14default_configELb0EPKiPiPKlPlN2at6native12_GLOBAL__N_18offset_tEEE10hipError_tPvRmT1_PNSt15iterator_traitsISY_E10value_typeET2_T3_PNSZ_IS14_E10value_typeET4_jRbjT5_S1A_jjP12ihipStream_tbEUljE_EEESV_SW_SX_S14_S18_S1A_T6_T7_T9_mT8_S1C_bDpT10_ENKUlT_T0_E_clISt17integral_constantIbLb0EES1P_EEDaS1K_S1L_EUlS1K_E_NS1_11comp_targetILNS1_3genE0ELNS1_11target_archE4294967295ELNS1_3gpuE0ELNS1_3repE0EEENS1_30default_config_static_selectorELNS0_4arch9wavefront6targetE0EEEvSY_
; %bb.0:
	.section	.rodata,"a",@progbits
	.p2align	6, 0x0
	.amdhsa_kernel _ZN7rocprim17ROCPRIM_400000_NS6detail17trampoline_kernelINS0_13select_configILj256ELj13ELNS0_17block_load_methodE3ELS4_3ELS4_3ELNS0_20block_scan_algorithmE0ELj4294967295EEENS1_25partition_config_selectorILNS1_17partition_subalgoE3EjNS0_10empty_typeEbEEZZNS1_14partition_implILS8_3ELb0ES6_jNS0_17counting_iteratorIjlEEPS9_SE_NS0_5tupleIJPjSE_EEENSF_IJSE_SE_EEES9_SG_JZNS1_25segmented_radix_sort_implINS0_14default_configELb0EPKiPiPKlPlN2at6native12_GLOBAL__N_18offset_tEEE10hipError_tPvRmT1_PNSt15iterator_traitsISY_E10value_typeET2_T3_PNSZ_IS14_E10value_typeET4_jRbjT5_S1A_jjP12ihipStream_tbEUljE_EEESV_SW_SX_S14_S18_S1A_T6_T7_T9_mT8_S1C_bDpT10_ENKUlT_T0_E_clISt17integral_constantIbLb0EES1P_EEDaS1K_S1L_EUlS1K_E_NS1_11comp_targetILNS1_3genE0ELNS1_11target_archE4294967295ELNS1_3gpuE0ELNS1_3repE0EEENS1_30default_config_static_selectorELNS0_4arch9wavefront6targetE0EEEvSY_
		.amdhsa_group_segment_fixed_size 0
		.amdhsa_private_segment_fixed_size 0
		.amdhsa_kernarg_size 144
		.amdhsa_user_sgpr_count 15
		.amdhsa_user_sgpr_dispatch_ptr 0
		.amdhsa_user_sgpr_queue_ptr 0
		.amdhsa_user_sgpr_kernarg_segment_ptr 1
		.amdhsa_user_sgpr_dispatch_id 0
		.amdhsa_user_sgpr_private_segment_size 0
		.amdhsa_wavefront_size32 1
		.amdhsa_uses_dynamic_stack 0
		.amdhsa_enable_private_segment 0
		.amdhsa_system_sgpr_workgroup_id_x 1
		.amdhsa_system_sgpr_workgroup_id_y 0
		.amdhsa_system_sgpr_workgroup_id_z 0
		.amdhsa_system_sgpr_workgroup_info 0
		.amdhsa_system_vgpr_workitem_id 0
		.amdhsa_next_free_vgpr 1
		.amdhsa_next_free_sgpr 1
		.amdhsa_reserve_vcc 0
		.amdhsa_float_round_mode_32 0
		.amdhsa_float_round_mode_16_64 0
		.amdhsa_float_denorm_mode_32 3
		.amdhsa_float_denorm_mode_16_64 3
		.amdhsa_dx10_clamp 1
		.amdhsa_ieee_mode 1
		.amdhsa_fp16_overflow 0
		.amdhsa_workgroup_processor_mode 1
		.amdhsa_memory_ordered 1
		.amdhsa_forward_progress 0
		.amdhsa_shared_vgpr_count 0
		.amdhsa_exception_fp_ieee_invalid_op 0
		.amdhsa_exception_fp_denorm_src 0
		.amdhsa_exception_fp_ieee_div_zero 0
		.amdhsa_exception_fp_ieee_overflow 0
		.amdhsa_exception_fp_ieee_underflow 0
		.amdhsa_exception_fp_ieee_inexact 0
		.amdhsa_exception_int_div_zero 0
	.end_amdhsa_kernel
	.section	.text._ZN7rocprim17ROCPRIM_400000_NS6detail17trampoline_kernelINS0_13select_configILj256ELj13ELNS0_17block_load_methodE3ELS4_3ELS4_3ELNS0_20block_scan_algorithmE0ELj4294967295EEENS1_25partition_config_selectorILNS1_17partition_subalgoE3EjNS0_10empty_typeEbEEZZNS1_14partition_implILS8_3ELb0ES6_jNS0_17counting_iteratorIjlEEPS9_SE_NS0_5tupleIJPjSE_EEENSF_IJSE_SE_EEES9_SG_JZNS1_25segmented_radix_sort_implINS0_14default_configELb0EPKiPiPKlPlN2at6native12_GLOBAL__N_18offset_tEEE10hipError_tPvRmT1_PNSt15iterator_traitsISY_E10value_typeET2_T3_PNSZ_IS14_E10value_typeET4_jRbjT5_S1A_jjP12ihipStream_tbEUljE_EEESV_SW_SX_S14_S18_S1A_T6_T7_T9_mT8_S1C_bDpT10_ENKUlT_T0_E_clISt17integral_constantIbLb0EES1P_EEDaS1K_S1L_EUlS1K_E_NS1_11comp_targetILNS1_3genE0ELNS1_11target_archE4294967295ELNS1_3gpuE0ELNS1_3repE0EEENS1_30default_config_static_selectorELNS0_4arch9wavefront6targetE0EEEvSY_,"axG",@progbits,_ZN7rocprim17ROCPRIM_400000_NS6detail17trampoline_kernelINS0_13select_configILj256ELj13ELNS0_17block_load_methodE3ELS4_3ELS4_3ELNS0_20block_scan_algorithmE0ELj4294967295EEENS1_25partition_config_selectorILNS1_17partition_subalgoE3EjNS0_10empty_typeEbEEZZNS1_14partition_implILS8_3ELb0ES6_jNS0_17counting_iteratorIjlEEPS9_SE_NS0_5tupleIJPjSE_EEENSF_IJSE_SE_EEES9_SG_JZNS1_25segmented_radix_sort_implINS0_14default_configELb0EPKiPiPKlPlN2at6native12_GLOBAL__N_18offset_tEEE10hipError_tPvRmT1_PNSt15iterator_traitsISY_E10value_typeET2_T3_PNSZ_IS14_E10value_typeET4_jRbjT5_S1A_jjP12ihipStream_tbEUljE_EEESV_SW_SX_S14_S18_S1A_T6_T7_T9_mT8_S1C_bDpT10_ENKUlT_T0_E_clISt17integral_constantIbLb0EES1P_EEDaS1K_S1L_EUlS1K_E_NS1_11comp_targetILNS1_3genE0ELNS1_11target_archE4294967295ELNS1_3gpuE0ELNS1_3repE0EEENS1_30default_config_static_selectorELNS0_4arch9wavefront6targetE0EEEvSY_,comdat
.Lfunc_end568:
	.size	_ZN7rocprim17ROCPRIM_400000_NS6detail17trampoline_kernelINS0_13select_configILj256ELj13ELNS0_17block_load_methodE3ELS4_3ELS4_3ELNS0_20block_scan_algorithmE0ELj4294967295EEENS1_25partition_config_selectorILNS1_17partition_subalgoE3EjNS0_10empty_typeEbEEZZNS1_14partition_implILS8_3ELb0ES6_jNS0_17counting_iteratorIjlEEPS9_SE_NS0_5tupleIJPjSE_EEENSF_IJSE_SE_EEES9_SG_JZNS1_25segmented_radix_sort_implINS0_14default_configELb0EPKiPiPKlPlN2at6native12_GLOBAL__N_18offset_tEEE10hipError_tPvRmT1_PNSt15iterator_traitsISY_E10value_typeET2_T3_PNSZ_IS14_E10value_typeET4_jRbjT5_S1A_jjP12ihipStream_tbEUljE_EEESV_SW_SX_S14_S18_S1A_T6_T7_T9_mT8_S1C_bDpT10_ENKUlT_T0_E_clISt17integral_constantIbLb0EES1P_EEDaS1K_S1L_EUlS1K_E_NS1_11comp_targetILNS1_3genE0ELNS1_11target_archE4294967295ELNS1_3gpuE0ELNS1_3repE0EEENS1_30default_config_static_selectorELNS0_4arch9wavefront6targetE0EEEvSY_, .Lfunc_end568-_ZN7rocprim17ROCPRIM_400000_NS6detail17trampoline_kernelINS0_13select_configILj256ELj13ELNS0_17block_load_methodE3ELS4_3ELS4_3ELNS0_20block_scan_algorithmE0ELj4294967295EEENS1_25partition_config_selectorILNS1_17partition_subalgoE3EjNS0_10empty_typeEbEEZZNS1_14partition_implILS8_3ELb0ES6_jNS0_17counting_iteratorIjlEEPS9_SE_NS0_5tupleIJPjSE_EEENSF_IJSE_SE_EEES9_SG_JZNS1_25segmented_radix_sort_implINS0_14default_configELb0EPKiPiPKlPlN2at6native12_GLOBAL__N_18offset_tEEE10hipError_tPvRmT1_PNSt15iterator_traitsISY_E10value_typeET2_T3_PNSZ_IS14_E10value_typeET4_jRbjT5_S1A_jjP12ihipStream_tbEUljE_EEESV_SW_SX_S14_S18_S1A_T6_T7_T9_mT8_S1C_bDpT10_ENKUlT_T0_E_clISt17integral_constantIbLb0EES1P_EEDaS1K_S1L_EUlS1K_E_NS1_11comp_targetILNS1_3genE0ELNS1_11target_archE4294967295ELNS1_3gpuE0ELNS1_3repE0EEENS1_30default_config_static_selectorELNS0_4arch9wavefront6targetE0EEEvSY_
                                        ; -- End function
	.section	.AMDGPU.csdata,"",@progbits
; Kernel info:
; codeLenInByte = 0
; NumSgprs: 0
; NumVgprs: 0
; ScratchSize: 0
; MemoryBound: 0
; FloatMode: 240
; IeeeMode: 1
; LDSByteSize: 0 bytes/workgroup (compile time only)
; SGPRBlocks: 0
; VGPRBlocks: 0
; NumSGPRsForWavesPerEU: 1
; NumVGPRsForWavesPerEU: 1
; Occupancy: 16
; WaveLimiterHint : 0
; COMPUTE_PGM_RSRC2:SCRATCH_EN: 0
; COMPUTE_PGM_RSRC2:USER_SGPR: 15
; COMPUTE_PGM_RSRC2:TRAP_HANDLER: 0
; COMPUTE_PGM_RSRC2:TGID_X_EN: 1
; COMPUTE_PGM_RSRC2:TGID_Y_EN: 0
; COMPUTE_PGM_RSRC2:TGID_Z_EN: 0
; COMPUTE_PGM_RSRC2:TIDIG_COMP_CNT: 0
	.section	.text._ZN7rocprim17ROCPRIM_400000_NS6detail17trampoline_kernelINS0_13select_configILj256ELj13ELNS0_17block_load_methodE3ELS4_3ELS4_3ELNS0_20block_scan_algorithmE0ELj4294967295EEENS1_25partition_config_selectorILNS1_17partition_subalgoE3EjNS0_10empty_typeEbEEZZNS1_14partition_implILS8_3ELb0ES6_jNS0_17counting_iteratorIjlEEPS9_SE_NS0_5tupleIJPjSE_EEENSF_IJSE_SE_EEES9_SG_JZNS1_25segmented_radix_sort_implINS0_14default_configELb0EPKiPiPKlPlN2at6native12_GLOBAL__N_18offset_tEEE10hipError_tPvRmT1_PNSt15iterator_traitsISY_E10value_typeET2_T3_PNSZ_IS14_E10value_typeET4_jRbjT5_S1A_jjP12ihipStream_tbEUljE_EEESV_SW_SX_S14_S18_S1A_T6_T7_T9_mT8_S1C_bDpT10_ENKUlT_T0_E_clISt17integral_constantIbLb0EES1P_EEDaS1K_S1L_EUlS1K_E_NS1_11comp_targetILNS1_3genE5ELNS1_11target_archE942ELNS1_3gpuE9ELNS1_3repE0EEENS1_30default_config_static_selectorELNS0_4arch9wavefront6targetE0EEEvSY_,"axG",@progbits,_ZN7rocprim17ROCPRIM_400000_NS6detail17trampoline_kernelINS0_13select_configILj256ELj13ELNS0_17block_load_methodE3ELS4_3ELS4_3ELNS0_20block_scan_algorithmE0ELj4294967295EEENS1_25partition_config_selectorILNS1_17partition_subalgoE3EjNS0_10empty_typeEbEEZZNS1_14partition_implILS8_3ELb0ES6_jNS0_17counting_iteratorIjlEEPS9_SE_NS0_5tupleIJPjSE_EEENSF_IJSE_SE_EEES9_SG_JZNS1_25segmented_radix_sort_implINS0_14default_configELb0EPKiPiPKlPlN2at6native12_GLOBAL__N_18offset_tEEE10hipError_tPvRmT1_PNSt15iterator_traitsISY_E10value_typeET2_T3_PNSZ_IS14_E10value_typeET4_jRbjT5_S1A_jjP12ihipStream_tbEUljE_EEESV_SW_SX_S14_S18_S1A_T6_T7_T9_mT8_S1C_bDpT10_ENKUlT_T0_E_clISt17integral_constantIbLb0EES1P_EEDaS1K_S1L_EUlS1K_E_NS1_11comp_targetILNS1_3genE5ELNS1_11target_archE942ELNS1_3gpuE9ELNS1_3repE0EEENS1_30default_config_static_selectorELNS0_4arch9wavefront6targetE0EEEvSY_,comdat
	.globl	_ZN7rocprim17ROCPRIM_400000_NS6detail17trampoline_kernelINS0_13select_configILj256ELj13ELNS0_17block_load_methodE3ELS4_3ELS4_3ELNS0_20block_scan_algorithmE0ELj4294967295EEENS1_25partition_config_selectorILNS1_17partition_subalgoE3EjNS0_10empty_typeEbEEZZNS1_14partition_implILS8_3ELb0ES6_jNS0_17counting_iteratorIjlEEPS9_SE_NS0_5tupleIJPjSE_EEENSF_IJSE_SE_EEES9_SG_JZNS1_25segmented_radix_sort_implINS0_14default_configELb0EPKiPiPKlPlN2at6native12_GLOBAL__N_18offset_tEEE10hipError_tPvRmT1_PNSt15iterator_traitsISY_E10value_typeET2_T3_PNSZ_IS14_E10value_typeET4_jRbjT5_S1A_jjP12ihipStream_tbEUljE_EEESV_SW_SX_S14_S18_S1A_T6_T7_T9_mT8_S1C_bDpT10_ENKUlT_T0_E_clISt17integral_constantIbLb0EES1P_EEDaS1K_S1L_EUlS1K_E_NS1_11comp_targetILNS1_3genE5ELNS1_11target_archE942ELNS1_3gpuE9ELNS1_3repE0EEENS1_30default_config_static_selectorELNS0_4arch9wavefront6targetE0EEEvSY_ ; -- Begin function _ZN7rocprim17ROCPRIM_400000_NS6detail17trampoline_kernelINS0_13select_configILj256ELj13ELNS0_17block_load_methodE3ELS4_3ELS4_3ELNS0_20block_scan_algorithmE0ELj4294967295EEENS1_25partition_config_selectorILNS1_17partition_subalgoE3EjNS0_10empty_typeEbEEZZNS1_14partition_implILS8_3ELb0ES6_jNS0_17counting_iteratorIjlEEPS9_SE_NS0_5tupleIJPjSE_EEENSF_IJSE_SE_EEES9_SG_JZNS1_25segmented_radix_sort_implINS0_14default_configELb0EPKiPiPKlPlN2at6native12_GLOBAL__N_18offset_tEEE10hipError_tPvRmT1_PNSt15iterator_traitsISY_E10value_typeET2_T3_PNSZ_IS14_E10value_typeET4_jRbjT5_S1A_jjP12ihipStream_tbEUljE_EEESV_SW_SX_S14_S18_S1A_T6_T7_T9_mT8_S1C_bDpT10_ENKUlT_T0_E_clISt17integral_constantIbLb0EES1P_EEDaS1K_S1L_EUlS1K_E_NS1_11comp_targetILNS1_3genE5ELNS1_11target_archE942ELNS1_3gpuE9ELNS1_3repE0EEENS1_30default_config_static_selectorELNS0_4arch9wavefront6targetE0EEEvSY_
	.p2align	8
	.type	_ZN7rocprim17ROCPRIM_400000_NS6detail17trampoline_kernelINS0_13select_configILj256ELj13ELNS0_17block_load_methodE3ELS4_3ELS4_3ELNS0_20block_scan_algorithmE0ELj4294967295EEENS1_25partition_config_selectorILNS1_17partition_subalgoE3EjNS0_10empty_typeEbEEZZNS1_14partition_implILS8_3ELb0ES6_jNS0_17counting_iteratorIjlEEPS9_SE_NS0_5tupleIJPjSE_EEENSF_IJSE_SE_EEES9_SG_JZNS1_25segmented_radix_sort_implINS0_14default_configELb0EPKiPiPKlPlN2at6native12_GLOBAL__N_18offset_tEEE10hipError_tPvRmT1_PNSt15iterator_traitsISY_E10value_typeET2_T3_PNSZ_IS14_E10value_typeET4_jRbjT5_S1A_jjP12ihipStream_tbEUljE_EEESV_SW_SX_S14_S18_S1A_T6_T7_T9_mT8_S1C_bDpT10_ENKUlT_T0_E_clISt17integral_constantIbLb0EES1P_EEDaS1K_S1L_EUlS1K_E_NS1_11comp_targetILNS1_3genE5ELNS1_11target_archE942ELNS1_3gpuE9ELNS1_3repE0EEENS1_30default_config_static_selectorELNS0_4arch9wavefront6targetE0EEEvSY_,@function
_ZN7rocprim17ROCPRIM_400000_NS6detail17trampoline_kernelINS0_13select_configILj256ELj13ELNS0_17block_load_methodE3ELS4_3ELS4_3ELNS0_20block_scan_algorithmE0ELj4294967295EEENS1_25partition_config_selectorILNS1_17partition_subalgoE3EjNS0_10empty_typeEbEEZZNS1_14partition_implILS8_3ELb0ES6_jNS0_17counting_iteratorIjlEEPS9_SE_NS0_5tupleIJPjSE_EEENSF_IJSE_SE_EEES9_SG_JZNS1_25segmented_radix_sort_implINS0_14default_configELb0EPKiPiPKlPlN2at6native12_GLOBAL__N_18offset_tEEE10hipError_tPvRmT1_PNSt15iterator_traitsISY_E10value_typeET2_T3_PNSZ_IS14_E10value_typeET4_jRbjT5_S1A_jjP12ihipStream_tbEUljE_EEESV_SW_SX_S14_S18_S1A_T6_T7_T9_mT8_S1C_bDpT10_ENKUlT_T0_E_clISt17integral_constantIbLb0EES1P_EEDaS1K_S1L_EUlS1K_E_NS1_11comp_targetILNS1_3genE5ELNS1_11target_archE942ELNS1_3gpuE9ELNS1_3repE0EEENS1_30default_config_static_selectorELNS0_4arch9wavefront6targetE0EEEvSY_: ; @_ZN7rocprim17ROCPRIM_400000_NS6detail17trampoline_kernelINS0_13select_configILj256ELj13ELNS0_17block_load_methodE3ELS4_3ELS4_3ELNS0_20block_scan_algorithmE0ELj4294967295EEENS1_25partition_config_selectorILNS1_17partition_subalgoE3EjNS0_10empty_typeEbEEZZNS1_14partition_implILS8_3ELb0ES6_jNS0_17counting_iteratorIjlEEPS9_SE_NS0_5tupleIJPjSE_EEENSF_IJSE_SE_EEES9_SG_JZNS1_25segmented_radix_sort_implINS0_14default_configELb0EPKiPiPKlPlN2at6native12_GLOBAL__N_18offset_tEEE10hipError_tPvRmT1_PNSt15iterator_traitsISY_E10value_typeET2_T3_PNSZ_IS14_E10value_typeET4_jRbjT5_S1A_jjP12ihipStream_tbEUljE_EEESV_SW_SX_S14_S18_S1A_T6_T7_T9_mT8_S1C_bDpT10_ENKUlT_T0_E_clISt17integral_constantIbLb0EES1P_EEDaS1K_S1L_EUlS1K_E_NS1_11comp_targetILNS1_3genE5ELNS1_11target_archE942ELNS1_3gpuE9ELNS1_3repE0EEENS1_30default_config_static_selectorELNS0_4arch9wavefront6targetE0EEEvSY_
; %bb.0:
	.section	.rodata,"a",@progbits
	.p2align	6, 0x0
	.amdhsa_kernel _ZN7rocprim17ROCPRIM_400000_NS6detail17trampoline_kernelINS0_13select_configILj256ELj13ELNS0_17block_load_methodE3ELS4_3ELS4_3ELNS0_20block_scan_algorithmE0ELj4294967295EEENS1_25partition_config_selectorILNS1_17partition_subalgoE3EjNS0_10empty_typeEbEEZZNS1_14partition_implILS8_3ELb0ES6_jNS0_17counting_iteratorIjlEEPS9_SE_NS0_5tupleIJPjSE_EEENSF_IJSE_SE_EEES9_SG_JZNS1_25segmented_radix_sort_implINS0_14default_configELb0EPKiPiPKlPlN2at6native12_GLOBAL__N_18offset_tEEE10hipError_tPvRmT1_PNSt15iterator_traitsISY_E10value_typeET2_T3_PNSZ_IS14_E10value_typeET4_jRbjT5_S1A_jjP12ihipStream_tbEUljE_EEESV_SW_SX_S14_S18_S1A_T6_T7_T9_mT8_S1C_bDpT10_ENKUlT_T0_E_clISt17integral_constantIbLb0EES1P_EEDaS1K_S1L_EUlS1K_E_NS1_11comp_targetILNS1_3genE5ELNS1_11target_archE942ELNS1_3gpuE9ELNS1_3repE0EEENS1_30default_config_static_selectorELNS0_4arch9wavefront6targetE0EEEvSY_
		.amdhsa_group_segment_fixed_size 0
		.amdhsa_private_segment_fixed_size 0
		.amdhsa_kernarg_size 144
		.amdhsa_user_sgpr_count 15
		.amdhsa_user_sgpr_dispatch_ptr 0
		.amdhsa_user_sgpr_queue_ptr 0
		.amdhsa_user_sgpr_kernarg_segment_ptr 1
		.amdhsa_user_sgpr_dispatch_id 0
		.amdhsa_user_sgpr_private_segment_size 0
		.amdhsa_wavefront_size32 1
		.amdhsa_uses_dynamic_stack 0
		.amdhsa_enable_private_segment 0
		.amdhsa_system_sgpr_workgroup_id_x 1
		.amdhsa_system_sgpr_workgroup_id_y 0
		.amdhsa_system_sgpr_workgroup_id_z 0
		.amdhsa_system_sgpr_workgroup_info 0
		.amdhsa_system_vgpr_workitem_id 0
		.amdhsa_next_free_vgpr 1
		.amdhsa_next_free_sgpr 1
		.amdhsa_reserve_vcc 0
		.amdhsa_float_round_mode_32 0
		.amdhsa_float_round_mode_16_64 0
		.amdhsa_float_denorm_mode_32 3
		.amdhsa_float_denorm_mode_16_64 3
		.amdhsa_dx10_clamp 1
		.amdhsa_ieee_mode 1
		.amdhsa_fp16_overflow 0
		.amdhsa_workgroup_processor_mode 1
		.amdhsa_memory_ordered 1
		.amdhsa_forward_progress 0
		.amdhsa_shared_vgpr_count 0
		.amdhsa_exception_fp_ieee_invalid_op 0
		.amdhsa_exception_fp_denorm_src 0
		.amdhsa_exception_fp_ieee_div_zero 0
		.amdhsa_exception_fp_ieee_overflow 0
		.amdhsa_exception_fp_ieee_underflow 0
		.amdhsa_exception_fp_ieee_inexact 0
		.amdhsa_exception_int_div_zero 0
	.end_amdhsa_kernel
	.section	.text._ZN7rocprim17ROCPRIM_400000_NS6detail17trampoline_kernelINS0_13select_configILj256ELj13ELNS0_17block_load_methodE3ELS4_3ELS4_3ELNS0_20block_scan_algorithmE0ELj4294967295EEENS1_25partition_config_selectorILNS1_17partition_subalgoE3EjNS0_10empty_typeEbEEZZNS1_14partition_implILS8_3ELb0ES6_jNS0_17counting_iteratorIjlEEPS9_SE_NS0_5tupleIJPjSE_EEENSF_IJSE_SE_EEES9_SG_JZNS1_25segmented_radix_sort_implINS0_14default_configELb0EPKiPiPKlPlN2at6native12_GLOBAL__N_18offset_tEEE10hipError_tPvRmT1_PNSt15iterator_traitsISY_E10value_typeET2_T3_PNSZ_IS14_E10value_typeET4_jRbjT5_S1A_jjP12ihipStream_tbEUljE_EEESV_SW_SX_S14_S18_S1A_T6_T7_T9_mT8_S1C_bDpT10_ENKUlT_T0_E_clISt17integral_constantIbLb0EES1P_EEDaS1K_S1L_EUlS1K_E_NS1_11comp_targetILNS1_3genE5ELNS1_11target_archE942ELNS1_3gpuE9ELNS1_3repE0EEENS1_30default_config_static_selectorELNS0_4arch9wavefront6targetE0EEEvSY_,"axG",@progbits,_ZN7rocprim17ROCPRIM_400000_NS6detail17trampoline_kernelINS0_13select_configILj256ELj13ELNS0_17block_load_methodE3ELS4_3ELS4_3ELNS0_20block_scan_algorithmE0ELj4294967295EEENS1_25partition_config_selectorILNS1_17partition_subalgoE3EjNS0_10empty_typeEbEEZZNS1_14partition_implILS8_3ELb0ES6_jNS0_17counting_iteratorIjlEEPS9_SE_NS0_5tupleIJPjSE_EEENSF_IJSE_SE_EEES9_SG_JZNS1_25segmented_radix_sort_implINS0_14default_configELb0EPKiPiPKlPlN2at6native12_GLOBAL__N_18offset_tEEE10hipError_tPvRmT1_PNSt15iterator_traitsISY_E10value_typeET2_T3_PNSZ_IS14_E10value_typeET4_jRbjT5_S1A_jjP12ihipStream_tbEUljE_EEESV_SW_SX_S14_S18_S1A_T6_T7_T9_mT8_S1C_bDpT10_ENKUlT_T0_E_clISt17integral_constantIbLb0EES1P_EEDaS1K_S1L_EUlS1K_E_NS1_11comp_targetILNS1_3genE5ELNS1_11target_archE942ELNS1_3gpuE9ELNS1_3repE0EEENS1_30default_config_static_selectorELNS0_4arch9wavefront6targetE0EEEvSY_,comdat
.Lfunc_end569:
	.size	_ZN7rocprim17ROCPRIM_400000_NS6detail17trampoline_kernelINS0_13select_configILj256ELj13ELNS0_17block_load_methodE3ELS4_3ELS4_3ELNS0_20block_scan_algorithmE0ELj4294967295EEENS1_25partition_config_selectorILNS1_17partition_subalgoE3EjNS0_10empty_typeEbEEZZNS1_14partition_implILS8_3ELb0ES6_jNS0_17counting_iteratorIjlEEPS9_SE_NS0_5tupleIJPjSE_EEENSF_IJSE_SE_EEES9_SG_JZNS1_25segmented_radix_sort_implINS0_14default_configELb0EPKiPiPKlPlN2at6native12_GLOBAL__N_18offset_tEEE10hipError_tPvRmT1_PNSt15iterator_traitsISY_E10value_typeET2_T3_PNSZ_IS14_E10value_typeET4_jRbjT5_S1A_jjP12ihipStream_tbEUljE_EEESV_SW_SX_S14_S18_S1A_T6_T7_T9_mT8_S1C_bDpT10_ENKUlT_T0_E_clISt17integral_constantIbLb0EES1P_EEDaS1K_S1L_EUlS1K_E_NS1_11comp_targetILNS1_3genE5ELNS1_11target_archE942ELNS1_3gpuE9ELNS1_3repE0EEENS1_30default_config_static_selectorELNS0_4arch9wavefront6targetE0EEEvSY_, .Lfunc_end569-_ZN7rocprim17ROCPRIM_400000_NS6detail17trampoline_kernelINS0_13select_configILj256ELj13ELNS0_17block_load_methodE3ELS4_3ELS4_3ELNS0_20block_scan_algorithmE0ELj4294967295EEENS1_25partition_config_selectorILNS1_17partition_subalgoE3EjNS0_10empty_typeEbEEZZNS1_14partition_implILS8_3ELb0ES6_jNS0_17counting_iteratorIjlEEPS9_SE_NS0_5tupleIJPjSE_EEENSF_IJSE_SE_EEES9_SG_JZNS1_25segmented_radix_sort_implINS0_14default_configELb0EPKiPiPKlPlN2at6native12_GLOBAL__N_18offset_tEEE10hipError_tPvRmT1_PNSt15iterator_traitsISY_E10value_typeET2_T3_PNSZ_IS14_E10value_typeET4_jRbjT5_S1A_jjP12ihipStream_tbEUljE_EEESV_SW_SX_S14_S18_S1A_T6_T7_T9_mT8_S1C_bDpT10_ENKUlT_T0_E_clISt17integral_constantIbLb0EES1P_EEDaS1K_S1L_EUlS1K_E_NS1_11comp_targetILNS1_3genE5ELNS1_11target_archE942ELNS1_3gpuE9ELNS1_3repE0EEENS1_30default_config_static_selectorELNS0_4arch9wavefront6targetE0EEEvSY_
                                        ; -- End function
	.section	.AMDGPU.csdata,"",@progbits
; Kernel info:
; codeLenInByte = 0
; NumSgprs: 0
; NumVgprs: 0
; ScratchSize: 0
; MemoryBound: 0
; FloatMode: 240
; IeeeMode: 1
; LDSByteSize: 0 bytes/workgroup (compile time only)
; SGPRBlocks: 0
; VGPRBlocks: 0
; NumSGPRsForWavesPerEU: 1
; NumVGPRsForWavesPerEU: 1
; Occupancy: 16
; WaveLimiterHint : 0
; COMPUTE_PGM_RSRC2:SCRATCH_EN: 0
; COMPUTE_PGM_RSRC2:USER_SGPR: 15
; COMPUTE_PGM_RSRC2:TRAP_HANDLER: 0
; COMPUTE_PGM_RSRC2:TGID_X_EN: 1
; COMPUTE_PGM_RSRC2:TGID_Y_EN: 0
; COMPUTE_PGM_RSRC2:TGID_Z_EN: 0
; COMPUTE_PGM_RSRC2:TIDIG_COMP_CNT: 0
	.section	.text._ZN7rocprim17ROCPRIM_400000_NS6detail17trampoline_kernelINS0_13select_configILj256ELj13ELNS0_17block_load_methodE3ELS4_3ELS4_3ELNS0_20block_scan_algorithmE0ELj4294967295EEENS1_25partition_config_selectorILNS1_17partition_subalgoE3EjNS0_10empty_typeEbEEZZNS1_14partition_implILS8_3ELb0ES6_jNS0_17counting_iteratorIjlEEPS9_SE_NS0_5tupleIJPjSE_EEENSF_IJSE_SE_EEES9_SG_JZNS1_25segmented_radix_sort_implINS0_14default_configELb0EPKiPiPKlPlN2at6native12_GLOBAL__N_18offset_tEEE10hipError_tPvRmT1_PNSt15iterator_traitsISY_E10value_typeET2_T3_PNSZ_IS14_E10value_typeET4_jRbjT5_S1A_jjP12ihipStream_tbEUljE_EEESV_SW_SX_S14_S18_S1A_T6_T7_T9_mT8_S1C_bDpT10_ENKUlT_T0_E_clISt17integral_constantIbLb0EES1P_EEDaS1K_S1L_EUlS1K_E_NS1_11comp_targetILNS1_3genE4ELNS1_11target_archE910ELNS1_3gpuE8ELNS1_3repE0EEENS1_30default_config_static_selectorELNS0_4arch9wavefront6targetE0EEEvSY_,"axG",@progbits,_ZN7rocprim17ROCPRIM_400000_NS6detail17trampoline_kernelINS0_13select_configILj256ELj13ELNS0_17block_load_methodE3ELS4_3ELS4_3ELNS0_20block_scan_algorithmE0ELj4294967295EEENS1_25partition_config_selectorILNS1_17partition_subalgoE3EjNS0_10empty_typeEbEEZZNS1_14partition_implILS8_3ELb0ES6_jNS0_17counting_iteratorIjlEEPS9_SE_NS0_5tupleIJPjSE_EEENSF_IJSE_SE_EEES9_SG_JZNS1_25segmented_radix_sort_implINS0_14default_configELb0EPKiPiPKlPlN2at6native12_GLOBAL__N_18offset_tEEE10hipError_tPvRmT1_PNSt15iterator_traitsISY_E10value_typeET2_T3_PNSZ_IS14_E10value_typeET4_jRbjT5_S1A_jjP12ihipStream_tbEUljE_EEESV_SW_SX_S14_S18_S1A_T6_T7_T9_mT8_S1C_bDpT10_ENKUlT_T0_E_clISt17integral_constantIbLb0EES1P_EEDaS1K_S1L_EUlS1K_E_NS1_11comp_targetILNS1_3genE4ELNS1_11target_archE910ELNS1_3gpuE8ELNS1_3repE0EEENS1_30default_config_static_selectorELNS0_4arch9wavefront6targetE0EEEvSY_,comdat
	.globl	_ZN7rocprim17ROCPRIM_400000_NS6detail17trampoline_kernelINS0_13select_configILj256ELj13ELNS0_17block_load_methodE3ELS4_3ELS4_3ELNS0_20block_scan_algorithmE0ELj4294967295EEENS1_25partition_config_selectorILNS1_17partition_subalgoE3EjNS0_10empty_typeEbEEZZNS1_14partition_implILS8_3ELb0ES6_jNS0_17counting_iteratorIjlEEPS9_SE_NS0_5tupleIJPjSE_EEENSF_IJSE_SE_EEES9_SG_JZNS1_25segmented_radix_sort_implINS0_14default_configELb0EPKiPiPKlPlN2at6native12_GLOBAL__N_18offset_tEEE10hipError_tPvRmT1_PNSt15iterator_traitsISY_E10value_typeET2_T3_PNSZ_IS14_E10value_typeET4_jRbjT5_S1A_jjP12ihipStream_tbEUljE_EEESV_SW_SX_S14_S18_S1A_T6_T7_T9_mT8_S1C_bDpT10_ENKUlT_T0_E_clISt17integral_constantIbLb0EES1P_EEDaS1K_S1L_EUlS1K_E_NS1_11comp_targetILNS1_3genE4ELNS1_11target_archE910ELNS1_3gpuE8ELNS1_3repE0EEENS1_30default_config_static_selectorELNS0_4arch9wavefront6targetE0EEEvSY_ ; -- Begin function _ZN7rocprim17ROCPRIM_400000_NS6detail17trampoline_kernelINS0_13select_configILj256ELj13ELNS0_17block_load_methodE3ELS4_3ELS4_3ELNS0_20block_scan_algorithmE0ELj4294967295EEENS1_25partition_config_selectorILNS1_17partition_subalgoE3EjNS0_10empty_typeEbEEZZNS1_14partition_implILS8_3ELb0ES6_jNS0_17counting_iteratorIjlEEPS9_SE_NS0_5tupleIJPjSE_EEENSF_IJSE_SE_EEES9_SG_JZNS1_25segmented_radix_sort_implINS0_14default_configELb0EPKiPiPKlPlN2at6native12_GLOBAL__N_18offset_tEEE10hipError_tPvRmT1_PNSt15iterator_traitsISY_E10value_typeET2_T3_PNSZ_IS14_E10value_typeET4_jRbjT5_S1A_jjP12ihipStream_tbEUljE_EEESV_SW_SX_S14_S18_S1A_T6_T7_T9_mT8_S1C_bDpT10_ENKUlT_T0_E_clISt17integral_constantIbLb0EES1P_EEDaS1K_S1L_EUlS1K_E_NS1_11comp_targetILNS1_3genE4ELNS1_11target_archE910ELNS1_3gpuE8ELNS1_3repE0EEENS1_30default_config_static_selectorELNS0_4arch9wavefront6targetE0EEEvSY_
	.p2align	8
	.type	_ZN7rocprim17ROCPRIM_400000_NS6detail17trampoline_kernelINS0_13select_configILj256ELj13ELNS0_17block_load_methodE3ELS4_3ELS4_3ELNS0_20block_scan_algorithmE0ELj4294967295EEENS1_25partition_config_selectorILNS1_17partition_subalgoE3EjNS0_10empty_typeEbEEZZNS1_14partition_implILS8_3ELb0ES6_jNS0_17counting_iteratorIjlEEPS9_SE_NS0_5tupleIJPjSE_EEENSF_IJSE_SE_EEES9_SG_JZNS1_25segmented_radix_sort_implINS0_14default_configELb0EPKiPiPKlPlN2at6native12_GLOBAL__N_18offset_tEEE10hipError_tPvRmT1_PNSt15iterator_traitsISY_E10value_typeET2_T3_PNSZ_IS14_E10value_typeET4_jRbjT5_S1A_jjP12ihipStream_tbEUljE_EEESV_SW_SX_S14_S18_S1A_T6_T7_T9_mT8_S1C_bDpT10_ENKUlT_T0_E_clISt17integral_constantIbLb0EES1P_EEDaS1K_S1L_EUlS1K_E_NS1_11comp_targetILNS1_3genE4ELNS1_11target_archE910ELNS1_3gpuE8ELNS1_3repE0EEENS1_30default_config_static_selectorELNS0_4arch9wavefront6targetE0EEEvSY_,@function
_ZN7rocprim17ROCPRIM_400000_NS6detail17trampoline_kernelINS0_13select_configILj256ELj13ELNS0_17block_load_methodE3ELS4_3ELS4_3ELNS0_20block_scan_algorithmE0ELj4294967295EEENS1_25partition_config_selectorILNS1_17partition_subalgoE3EjNS0_10empty_typeEbEEZZNS1_14partition_implILS8_3ELb0ES6_jNS0_17counting_iteratorIjlEEPS9_SE_NS0_5tupleIJPjSE_EEENSF_IJSE_SE_EEES9_SG_JZNS1_25segmented_radix_sort_implINS0_14default_configELb0EPKiPiPKlPlN2at6native12_GLOBAL__N_18offset_tEEE10hipError_tPvRmT1_PNSt15iterator_traitsISY_E10value_typeET2_T3_PNSZ_IS14_E10value_typeET4_jRbjT5_S1A_jjP12ihipStream_tbEUljE_EEESV_SW_SX_S14_S18_S1A_T6_T7_T9_mT8_S1C_bDpT10_ENKUlT_T0_E_clISt17integral_constantIbLb0EES1P_EEDaS1K_S1L_EUlS1K_E_NS1_11comp_targetILNS1_3genE4ELNS1_11target_archE910ELNS1_3gpuE8ELNS1_3repE0EEENS1_30default_config_static_selectorELNS0_4arch9wavefront6targetE0EEEvSY_: ; @_ZN7rocprim17ROCPRIM_400000_NS6detail17trampoline_kernelINS0_13select_configILj256ELj13ELNS0_17block_load_methodE3ELS4_3ELS4_3ELNS0_20block_scan_algorithmE0ELj4294967295EEENS1_25partition_config_selectorILNS1_17partition_subalgoE3EjNS0_10empty_typeEbEEZZNS1_14partition_implILS8_3ELb0ES6_jNS0_17counting_iteratorIjlEEPS9_SE_NS0_5tupleIJPjSE_EEENSF_IJSE_SE_EEES9_SG_JZNS1_25segmented_radix_sort_implINS0_14default_configELb0EPKiPiPKlPlN2at6native12_GLOBAL__N_18offset_tEEE10hipError_tPvRmT1_PNSt15iterator_traitsISY_E10value_typeET2_T3_PNSZ_IS14_E10value_typeET4_jRbjT5_S1A_jjP12ihipStream_tbEUljE_EEESV_SW_SX_S14_S18_S1A_T6_T7_T9_mT8_S1C_bDpT10_ENKUlT_T0_E_clISt17integral_constantIbLb0EES1P_EEDaS1K_S1L_EUlS1K_E_NS1_11comp_targetILNS1_3genE4ELNS1_11target_archE910ELNS1_3gpuE8ELNS1_3repE0EEENS1_30default_config_static_selectorELNS0_4arch9wavefront6targetE0EEEvSY_
; %bb.0:
	.section	.rodata,"a",@progbits
	.p2align	6, 0x0
	.amdhsa_kernel _ZN7rocprim17ROCPRIM_400000_NS6detail17trampoline_kernelINS0_13select_configILj256ELj13ELNS0_17block_load_methodE3ELS4_3ELS4_3ELNS0_20block_scan_algorithmE0ELj4294967295EEENS1_25partition_config_selectorILNS1_17partition_subalgoE3EjNS0_10empty_typeEbEEZZNS1_14partition_implILS8_3ELb0ES6_jNS0_17counting_iteratorIjlEEPS9_SE_NS0_5tupleIJPjSE_EEENSF_IJSE_SE_EEES9_SG_JZNS1_25segmented_radix_sort_implINS0_14default_configELb0EPKiPiPKlPlN2at6native12_GLOBAL__N_18offset_tEEE10hipError_tPvRmT1_PNSt15iterator_traitsISY_E10value_typeET2_T3_PNSZ_IS14_E10value_typeET4_jRbjT5_S1A_jjP12ihipStream_tbEUljE_EEESV_SW_SX_S14_S18_S1A_T6_T7_T9_mT8_S1C_bDpT10_ENKUlT_T0_E_clISt17integral_constantIbLb0EES1P_EEDaS1K_S1L_EUlS1K_E_NS1_11comp_targetILNS1_3genE4ELNS1_11target_archE910ELNS1_3gpuE8ELNS1_3repE0EEENS1_30default_config_static_selectorELNS0_4arch9wavefront6targetE0EEEvSY_
		.amdhsa_group_segment_fixed_size 0
		.amdhsa_private_segment_fixed_size 0
		.amdhsa_kernarg_size 144
		.amdhsa_user_sgpr_count 15
		.amdhsa_user_sgpr_dispatch_ptr 0
		.amdhsa_user_sgpr_queue_ptr 0
		.amdhsa_user_sgpr_kernarg_segment_ptr 1
		.amdhsa_user_sgpr_dispatch_id 0
		.amdhsa_user_sgpr_private_segment_size 0
		.amdhsa_wavefront_size32 1
		.amdhsa_uses_dynamic_stack 0
		.amdhsa_enable_private_segment 0
		.amdhsa_system_sgpr_workgroup_id_x 1
		.amdhsa_system_sgpr_workgroup_id_y 0
		.amdhsa_system_sgpr_workgroup_id_z 0
		.amdhsa_system_sgpr_workgroup_info 0
		.amdhsa_system_vgpr_workitem_id 0
		.amdhsa_next_free_vgpr 1
		.amdhsa_next_free_sgpr 1
		.amdhsa_reserve_vcc 0
		.amdhsa_float_round_mode_32 0
		.amdhsa_float_round_mode_16_64 0
		.amdhsa_float_denorm_mode_32 3
		.amdhsa_float_denorm_mode_16_64 3
		.amdhsa_dx10_clamp 1
		.amdhsa_ieee_mode 1
		.amdhsa_fp16_overflow 0
		.amdhsa_workgroup_processor_mode 1
		.amdhsa_memory_ordered 1
		.amdhsa_forward_progress 0
		.amdhsa_shared_vgpr_count 0
		.amdhsa_exception_fp_ieee_invalid_op 0
		.amdhsa_exception_fp_denorm_src 0
		.amdhsa_exception_fp_ieee_div_zero 0
		.amdhsa_exception_fp_ieee_overflow 0
		.amdhsa_exception_fp_ieee_underflow 0
		.amdhsa_exception_fp_ieee_inexact 0
		.amdhsa_exception_int_div_zero 0
	.end_amdhsa_kernel
	.section	.text._ZN7rocprim17ROCPRIM_400000_NS6detail17trampoline_kernelINS0_13select_configILj256ELj13ELNS0_17block_load_methodE3ELS4_3ELS4_3ELNS0_20block_scan_algorithmE0ELj4294967295EEENS1_25partition_config_selectorILNS1_17partition_subalgoE3EjNS0_10empty_typeEbEEZZNS1_14partition_implILS8_3ELb0ES6_jNS0_17counting_iteratorIjlEEPS9_SE_NS0_5tupleIJPjSE_EEENSF_IJSE_SE_EEES9_SG_JZNS1_25segmented_radix_sort_implINS0_14default_configELb0EPKiPiPKlPlN2at6native12_GLOBAL__N_18offset_tEEE10hipError_tPvRmT1_PNSt15iterator_traitsISY_E10value_typeET2_T3_PNSZ_IS14_E10value_typeET4_jRbjT5_S1A_jjP12ihipStream_tbEUljE_EEESV_SW_SX_S14_S18_S1A_T6_T7_T9_mT8_S1C_bDpT10_ENKUlT_T0_E_clISt17integral_constantIbLb0EES1P_EEDaS1K_S1L_EUlS1K_E_NS1_11comp_targetILNS1_3genE4ELNS1_11target_archE910ELNS1_3gpuE8ELNS1_3repE0EEENS1_30default_config_static_selectorELNS0_4arch9wavefront6targetE0EEEvSY_,"axG",@progbits,_ZN7rocprim17ROCPRIM_400000_NS6detail17trampoline_kernelINS0_13select_configILj256ELj13ELNS0_17block_load_methodE3ELS4_3ELS4_3ELNS0_20block_scan_algorithmE0ELj4294967295EEENS1_25partition_config_selectorILNS1_17partition_subalgoE3EjNS0_10empty_typeEbEEZZNS1_14partition_implILS8_3ELb0ES6_jNS0_17counting_iteratorIjlEEPS9_SE_NS0_5tupleIJPjSE_EEENSF_IJSE_SE_EEES9_SG_JZNS1_25segmented_radix_sort_implINS0_14default_configELb0EPKiPiPKlPlN2at6native12_GLOBAL__N_18offset_tEEE10hipError_tPvRmT1_PNSt15iterator_traitsISY_E10value_typeET2_T3_PNSZ_IS14_E10value_typeET4_jRbjT5_S1A_jjP12ihipStream_tbEUljE_EEESV_SW_SX_S14_S18_S1A_T6_T7_T9_mT8_S1C_bDpT10_ENKUlT_T0_E_clISt17integral_constantIbLb0EES1P_EEDaS1K_S1L_EUlS1K_E_NS1_11comp_targetILNS1_3genE4ELNS1_11target_archE910ELNS1_3gpuE8ELNS1_3repE0EEENS1_30default_config_static_selectorELNS0_4arch9wavefront6targetE0EEEvSY_,comdat
.Lfunc_end570:
	.size	_ZN7rocprim17ROCPRIM_400000_NS6detail17trampoline_kernelINS0_13select_configILj256ELj13ELNS0_17block_load_methodE3ELS4_3ELS4_3ELNS0_20block_scan_algorithmE0ELj4294967295EEENS1_25partition_config_selectorILNS1_17partition_subalgoE3EjNS0_10empty_typeEbEEZZNS1_14partition_implILS8_3ELb0ES6_jNS0_17counting_iteratorIjlEEPS9_SE_NS0_5tupleIJPjSE_EEENSF_IJSE_SE_EEES9_SG_JZNS1_25segmented_radix_sort_implINS0_14default_configELb0EPKiPiPKlPlN2at6native12_GLOBAL__N_18offset_tEEE10hipError_tPvRmT1_PNSt15iterator_traitsISY_E10value_typeET2_T3_PNSZ_IS14_E10value_typeET4_jRbjT5_S1A_jjP12ihipStream_tbEUljE_EEESV_SW_SX_S14_S18_S1A_T6_T7_T9_mT8_S1C_bDpT10_ENKUlT_T0_E_clISt17integral_constantIbLb0EES1P_EEDaS1K_S1L_EUlS1K_E_NS1_11comp_targetILNS1_3genE4ELNS1_11target_archE910ELNS1_3gpuE8ELNS1_3repE0EEENS1_30default_config_static_selectorELNS0_4arch9wavefront6targetE0EEEvSY_, .Lfunc_end570-_ZN7rocprim17ROCPRIM_400000_NS6detail17trampoline_kernelINS0_13select_configILj256ELj13ELNS0_17block_load_methodE3ELS4_3ELS4_3ELNS0_20block_scan_algorithmE0ELj4294967295EEENS1_25partition_config_selectorILNS1_17partition_subalgoE3EjNS0_10empty_typeEbEEZZNS1_14partition_implILS8_3ELb0ES6_jNS0_17counting_iteratorIjlEEPS9_SE_NS0_5tupleIJPjSE_EEENSF_IJSE_SE_EEES9_SG_JZNS1_25segmented_radix_sort_implINS0_14default_configELb0EPKiPiPKlPlN2at6native12_GLOBAL__N_18offset_tEEE10hipError_tPvRmT1_PNSt15iterator_traitsISY_E10value_typeET2_T3_PNSZ_IS14_E10value_typeET4_jRbjT5_S1A_jjP12ihipStream_tbEUljE_EEESV_SW_SX_S14_S18_S1A_T6_T7_T9_mT8_S1C_bDpT10_ENKUlT_T0_E_clISt17integral_constantIbLb0EES1P_EEDaS1K_S1L_EUlS1K_E_NS1_11comp_targetILNS1_3genE4ELNS1_11target_archE910ELNS1_3gpuE8ELNS1_3repE0EEENS1_30default_config_static_selectorELNS0_4arch9wavefront6targetE0EEEvSY_
                                        ; -- End function
	.section	.AMDGPU.csdata,"",@progbits
; Kernel info:
; codeLenInByte = 0
; NumSgprs: 0
; NumVgprs: 0
; ScratchSize: 0
; MemoryBound: 0
; FloatMode: 240
; IeeeMode: 1
; LDSByteSize: 0 bytes/workgroup (compile time only)
; SGPRBlocks: 0
; VGPRBlocks: 0
; NumSGPRsForWavesPerEU: 1
; NumVGPRsForWavesPerEU: 1
; Occupancy: 16
; WaveLimiterHint : 0
; COMPUTE_PGM_RSRC2:SCRATCH_EN: 0
; COMPUTE_PGM_RSRC2:USER_SGPR: 15
; COMPUTE_PGM_RSRC2:TRAP_HANDLER: 0
; COMPUTE_PGM_RSRC2:TGID_X_EN: 1
; COMPUTE_PGM_RSRC2:TGID_Y_EN: 0
; COMPUTE_PGM_RSRC2:TGID_Z_EN: 0
; COMPUTE_PGM_RSRC2:TIDIG_COMP_CNT: 0
	.section	.text._ZN7rocprim17ROCPRIM_400000_NS6detail17trampoline_kernelINS0_13select_configILj256ELj13ELNS0_17block_load_methodE3ELS4_3ELS4_3ELNS0_20block_scan_algorithmE0ELj4294967295EEENS1_25partition_config_selectorILNS1_17partition_subalgoE3EjNS0_10empty_typeEbEEZZNS1_14partition_implILS8_3ELb0ES6_jNS0_17counting_iteratorIjlEEPS9_SE_NS0_5tupleIJPjSE_EEENSF_IJSE_SE_EEES9_SG_JZNS1_25segmented_radix_sort_implINS0_14default_configELb0EPKiPiPKlPlN2at6native12_GLOBAL__N_18offset_tEEE10hipError_tPvRmT1_PNSt15iterator_traitsISY_E10value_typeET2_T3_PNSZ_IS14_E10value_typeET4_jRbjT5_S1A_jjP12ihipStream_tbEUljE_EEESV_SW_SX_S14_S18_S1A_T6_T7_T9_mT8_S1C_bDpT10_ENKUlT_T0_E_clISt17integral_constantIbLb0EES1P_EEDaS1K_S1L_EUlS1K_E_NS1_11comp_targetILNS1_3genE3ELNS1_11target_archE908ELNS1_3gpuE7ELNS1_3repE0EEENS1_30default_config_static_selectorELNS0_4arch9wavefront6targetE0EEEvSY_,"axG",@progbits,_ZN7rocprim17ROCPRIM_400000_NS6detail17trampoline_kernelINS0_13select_configILj256ELj13ELNS0_17block_load_methodE3ELS4_3ELS4_3ELNS0_20block_scan_algorithmE0ELj4294967295EEENS1_25partition_config_selectorILNS1_17partition_subalgoE3EjNS0_10empty_typeEbEEZZNS1_14partition_implILS8_3ELb0ES6_jNS0_17counting_iteratorIjlEEPS9_SE_NS0_5tupleIJPjSE_EEENSF_IJSE_SE_EEES9_SG_JZNS1_25segmented_radix_sort_implINS0_14default_configELb0EPKiPiPKlPlN2at6native12_GLOBAL__N_18offset_tEEE10hipError_tPvRmT1_PNSt15iterator_traitsISY_E10value_typeET2_T3_PNSZ_IS14_E10value_typeET4_jRbjT5_S1A_jjP12ihipStream_tbEUljE_EEESV_SW_SX_S14_S18_S1A_T6_T7_T9_mT8_S1C_bDpT10_ENKUlT_T0_E_clISt17integral_constantIbLb0EES1P_EEDaS1K_S1L_EUlS1K_E_NS1_11comp_targetILNS1_3genE3ELNS1_11target_archE908ELNS1_3gpuE7ELNS1_3repE0EEENS1_30default_config_static_selectorELNS0_4arch9wavefront6targetE0EEEvSY_,comdat
	.globl	_ZN7rocprim17ROCPRIM_400000_NS6detail17trampoline_kernelINS0_13select_configILj256ELj13ELNS0_17block_load_methodE3ELS4_3ELS4_3ELNS0_20block_scan_algorithmE0ELj4294967295EEENS1_25partition_config_selectorILNS1_17partition_subalgoE3EjNS0_10empty_typeEbEEZZNS1_14partition_implILS8_3ELb0ES6_jNS0_17counting_iteratorIjlEEPS9_SE_NS0_5tupleIJPjSE_EEENSF_IJSE_SE_EEES9_SG_JZNS1_25segmented_radix_sort_implINS0_14default_configELb0EPKiPiPKlPlN2at6native12_GLOBAL__N_18offset_tEEE10hipError_tPvRmT1_PNSt15iterator_traitsISY_E10value_typeET2_T3_PNSZ_IS14_E10value_typeET4_jRbjT5_S1A_jjP12ihipStream_tbEUljE_EEESV_SW_SX_S14_S18_S1A_T6_T7_T9_mT8_S1C_bDpT10_ENKUlT_T0_E_clISt17integral_constantIbLb0EES1P_EEDaS1K_S1L_EUlS1K_E_NS1_11comp_targetILNS1_3genE3ELNS1_11target_archE908ELNS1_3gpuE7ELNS1_3repE0EEENS1_30default_config_static_selectorELNS0_4arch9wavefront6targetE0EEEvSY_ ; -- Begin function _ZN7rocprim17ROCPRIM_400000_NS6detail17trampoline_kernelINS0_13select_configILj256ELj13ELNS0_17block_load_methodE3ELS4_3ELS4_3ELNS0_20block_scan_algorithmE0ELj4294967295EEENS1_25partition_config_selectorILNS1_17partition_subalgoE3EjNS0_10empty_typeEbEEZZNS1_14partition_implILS8_3ELb0ES6_jNS0_17counting_iteratorIjlEEPS9_SE_NS0_5tupleIJPjSE_EEENSF_IJSE_SE_EEES9_SG_JZNS1_25segmented_radix_sort_implINS0_14default_configELb0EPKiPiPKlPlN2at6native12_GLOBAL__N_18offset_tEEE10hipError_tPvRmT1_PNSt15iterator_traitsISY_E10value_typeET2_T3_PNSZ_IS14_E10value_typeET4_jRbjT5_S1A_jjP12ihipStream_tbEUljE_EEESV_SW_SX_S14_S18_S1A_T6_T7_T9_mT8_S1C_bDpT10_ENKUlT_T0_E_clISt17integral_constantIbLb0EES1P_EEDaS1K_S1L_EUlS1K_E_NS1_11comp_targetILNS1_3genE3ELNS1_11target_archE908ELNS1_3gpuE7ELNS1_3repE0EEENS1_30default_config_static_selectorELNS0_4arch9wavefront6targetE0EEEvSY_
	.p2align	8
	.type	_ZN7rocprim17ROCPRIM_400000_NS6detail17trampoline_kernelINS0_13select_configILj256ELj13ELNS0_17block_load_methodE3ELS4_3ELS4_3ELNS0_20block_scan_algorithmE0ELj4294967295EEENS1_25partition_config_selectorILNS1_17partition_subalgoE3EjNS0_10empty_typeEbEEZZNS1_14partition_implILS8_3ELb0ES6_jNS0_17counting_iteratorIjlEEPS9_SE_NS0_5tupleIJPjSE_EEENSF_IJSE_SE_EEES9_SG_JZNS1_25segmented_radix_sort_implINS0_14default_configELb0EPKiPiPKlPlN2at6native12_GLOBAL__N_18offset_tEEE10hipError_tPvRmT1_PNSt15iterator_traitsISY_E10value_typeET2_T3_PNSZ_IS14_E10value_typeET4_jRbjT5_S1A_jjP12ihipStream_tbEUljE_EEESV_SW_SX_S14_S18_S1A_T6_T7_T9_mT8_S1C_bDpT10_ENKUlT_T0_E_clISt17integral_constantIbLb0EES1P_EEDaS1K_S1L_EUlS1K_E_NS1_11comp_targetILNS1_3genE3ELNS1_11target_archE908ELNS1_3gpuE7ELNS1_3repE0EEENS1_30default_config_static_selectorELNS0_4arch9wavefront6targetE0EEEvSY_,@function
_ZN7rocprim17ROCPRIM_400000_NS6detail17trampoline_kernelINS0_13select_configILj256ELj13ELNS0_17block_load_methodE3ELS4_3ELS4_3ELNS0_20block_scan_algorithmE0ELj4294967295EEENS1_25partition_config_selectorILNS1_17partition_subalgoE3EjNS0_10empty_typeEbEEZZNS1_14partition_implILS8_3ELb0ES6_jNS0_17counting_iteratorIjlEEPS9_SE_NS0_5tupleIJPjSE_EEENSF_IJSE_SE_EEES9_SG_JZNS1_25segmented_radix_sort_implINS0_14default_configELb0EPKiPiPKlPlN2at6native12_GLOBAL__N_18offset_tEEE10hipError_tPvRmT1_PNSt15iterator_traitsISY_E10value_typeET2_T3_PNSZ_IS14_E10value_typeET4_jRbjT5_S1A_jjP12ihipStream_tbEUljE_EEESV_SW_SX_S14_S18_S1A_T6_T7_T9_mT8_S1C_bDpT10_ENKUlT_T0_E_clISt17integral_constantIbLb0EES1P_EEDaS1K_S1L_EUlS1K_E_NS1_11comp_targetILNS1_3genE3ELNS1_11target_archE908ELNS1_3gpuE7ELNS1_3repE0EEENS1_30default_config_static_selectorELNS0_4arch9wavefront6targetE0EEEvSY_: ; @_ZN7rocprim17ROCPRIM_400000_NS6detail17trampoline_kernelINS0_13select_configILj256ELj13ELNS0_17block_load_methodE3ELS4_3ELS4_3ELNS0_20block_scan_algorithmE0ELj4294967295EEENS1_25partition_config_selectorILNS1_17partition_subalgoE3EjNS0_10empty_typeEbEEZZNS1_14partition_implILS8_3ELb0ES6_jNS0_17counting_iteratorIjlEEPS9_SE_NS0_5tupleIJPjSE_EEENSF_IJSE_SE_EEES9_SG_JZNS1_25segmented_radix_sort_implINS0_14default_configELb0EPKiPiPKlPlN2at6native12_GLOBAL__N_18offset_tEEE10hipError_tPvRmT1_PNSt15iterator_traitsISY_E10value_typeET2_T3_PNSZ_IS14_E10value_typeET4_jRbjT5_S1A_jjP12ihipStream_tbEUljE_EEESV_SW_SX_S14_S18_S1A_T6_T7_T9_mT8_S1C_bDpT10_ENKUlT_T0_E_clISt17integral_constantIbLb0EES1P_EEDaS1K_S1L_EUlS1K_E_NS1_11comp_targetILNS1_3genE3ELNS1_11target_archE908ELNS1_3gpuE7ELNS1_3repE0EEENS1_30default_config_static_selectorELNS0_4arch9wavefront6targetE0EEEvSY_
; %bb.0:
	.section	.rodata,"a",@progbits
	.p2align	6, 0x0
	.amdhsa_kernel _ZN7rocprim17ROCPRIM_400000_NS6detail17trampoline_kernelINS0_13select_configILj256ELj13ELNS0_17block_load_methodE3ELS4_3ELS4_3ELNS0_20block_scan_algorithmE0ELj4294967295EEENS1_25partition_config_selectorILNS1_17partition_subalgoE3EjNS0_10empty_typeEbEEZZNS1_14partition_implILS8_3ELb0ES6_jNS0_17counting_iteratorIjlEEPS9_SE_NS0_5tupleIJPjSE_EEENSF_IJSE_SE_EEES9_SG_JZNS1_25segmented_radix_sort_implINS0_14default_configELb0EPKiPiPKlPlN2at6native12_GLOBAL__N_18offset_tEEE10hipError_tPvRmT1_PNSt15iterator_traitsISY_E10value_typeET2_T3_PNSZ_IS14_E10value_typeET4_jRbjT5_S1A_jjP12ihipStream_tbEUljE_EEESV_SW_SX_S14_S18_S1A_T6_T7_T9_mT8_S1C_bDpT10_ENKUlT_T0_E_clISt17integral_constantIbLb0EES1P_EEDaS1K_S1L_EUlS1K_E_NS1_11comp_targetILNS1_3genE3ELNS1_11target_archE908ELNS1_3gpuE7ELNS1_3repE0EEENS1_30default_config_static_selectorELNS0_4arch9wavefront6targetE0EEEvSY_
		.amdhsa_group_segment_fixed_size 0
		.amdhsa_private_segment_fixed_size 0
		.amdhsa_kernarg_size 144
		.amdhsa_user_sgpr_count 15
		.amdhsa_user_sgpr_dispatch_ptr 0
		.amdhsa_user_sgpr_queue_ptr 0
		.amdhsa_user_sgpr_kernarg_segment_ptr 1
		.amdhsa_user_sgpr_dispatch_id 0
		.amdhsa_user_sgpr_private_segment_size 0
		.amdhsa_wavefront_size32 1
		.amdhsa_uses_dynamic_stack 0
		.amdhsa_enable_private_segment 0
		.amdhsa_system_sgpr_workgroup_id_x 1
		.amdhsa_system_sgpr_workgroup_id_y 0
		.amdhsa_system_sgpr_workgroup_id_z 0
		.amdhsa_system_sgpr_workgroup_info 0
		.amdhsa_system_vgpr_workitem_id 0
		.amdhsa_next_free_vgpr 1
		.amdhsa_next_free_sgpr 1
		.amdhsa_reserve_vcc 0
		.amdhsa_float_round_mode_32 0
		.amdhsa_float_round_mode_16_64 0
		.amdhsa_float_denorm_mode_32 3
		.amdhsa_float_denorm_mode_16_64 3
		.amdhsa_dx10_clamp 1
		.amdhsa_ieee_mode 1
		.amdhsa_fp16_overflow 0
		.amdhsa_workgroup_processor_mode 1
		.amdhsa_memory_ordered 1
		.amdhsa_forward_progress 0
		.amdhsa_shared_vgpr_count 0
		.amdhsa_exception_fp_ieee_invalid_op 0
		.amdhsa_exception_fp_denorm_src 0
		.amdhsa_exception_fp_ieee_div_zero 0
		.amdhsa_exception_fp_ieee_overflow 0
		.amdhsa_exception_fp_ieee_underflow 0
		.amdhsa_exception_fp_ieee_inexact 0
		.amdhsa_exception_int_div_zero 0
	.end_amdhsa_kernel
	.section	.text._ZN7rocprim17ROCPRIM_400000_NS6detail17trampoline_kernelINS0_13select_configILj256ELj13ELNS0_17block_load_methodE3ELS4_3ELS4_3ELNS0_20block_scan_algorithmE0ELj4294967295EEENS1_25partition_config_selectorILNS1_17partition_subalgoE3EjNS0_10empty_typeEbEEZZNS1_14partition_implILS8_3ELb0ES6_jNS0_17counting_iteratorIjlEEPS9_SE_NS0_5tupleIJPjSE_EEENSF_IJSE_SE_EEES9_SG_JZNS1_25segmented_radix_sort_implINS0_14default_configELb0EPKiPiPKlPlN2at6native12_GLOBAL__N_18offset_tEEE10hipError_tPvRmT1_PNSt15iterator_traitsISY_E10value_typeET2_T3_PNSZ_IS14_E10value_typeET4_jRbjT5_S1A_jjP12ihipStream_tbEUljE_EEESV_SW_SX_S14_S18_S1A_T6_T7_T9_mT8_S1C_bDpT10_ENKUlT_T0_E_clISt17integral_constantIbLb0EES1P_EEDaS1K_S1L_EUlS1K_E_NS1_11comp_targetILNS1_3genE3ELNS1_11target_archE908ELNS1_3gpuE7ELNS1_3repE0EEENS1_30default_config_static_selectorELNS0_4arch9wavefront6targetE0EEEvSY_,"axG",@progbits,_ZN7rocprim17ROCPRIM_400000_NS6detail17trampoline_kernelINS0_13select_configILj256ELj13ELNS0_17block_load_methodE3ELS4_3ELS4_3ELNS0_20block_scan_algorithmE0ELj4294967295EEENS1_25partition_config_selectorILNS1_17partition_subalgoE3EjNS0_10empty_typeEbEEZZNS1_14partition_implILS8_3ELb0ES6_jNS0_17counting_iteratorIjlEEPS9_SE_NS0_5tupleIJPjSE_EEENSF_IJSE_SE_EEES9_SG_JZNS1_25segmented_radix_sort_implINS0_14default_configELb0EPKiPiPKlPlN2at6native12_GLOBAL__N_18offset_tEEE10hipError_tPvRmT1_PNSt15iterator_traitsISY_E10value_typeET2_T3_PNSZ_IS14_E10value_typeET4_jRbjT5_S1A_jjP12ihipStream_tbEUljE_EEESV_SW_SX_S14_S18_S1A_T6_T7_T9_mT8_S1C_bDpT10_ENKUlT_T0_E_clISt17integral_constantIbLb0EES1P_EEDaS1K_S1L_EUlS1K_E_NS1_11comp_targetILNS1_3genE3ELNS1_11target_archE908ELNS1_3gpuE7ELNS1_3repE0EEENS1_30default_config_static_selectorELNS0_4arch9wavefront6targetE0EEEvSY_,comdat
.Lfunc_end571:
	.size	_ZN7rocprim17ROCPRIM_400000_NS6detail17trampoline_kernelINS0_13select_configILj256ELj13ELNS0_17block_load_methodE3ELS4_3ELS4_3ELNS0_20block_scan_algorithmE0ELj4294967295EEENS1_25partition_config_selectorILNS1_17partition_subalgoE3EjNS0_10empty_typeEbEEZZNS1_14partition_implILS8_3ELb0ES6_jNS0_17counting_iteratorIjlEEPS9_SE_NS0_5tupleIJPjSE_EEENSF_IJSE_SE_EEES9_SG_JZNS1_25segmented_radix_sort_implINS0_14default_configELb0EPKiPiPKlPlN2at6native12_GLOBAL__N_18offset_tEEE10hipError_tPvRmT1_PNSt15iterator_traitsISY_E10value_typeET2_T3_PNSZ_IS14_E10value_typeET4_jRbjT5_S1A_jjP12ihipStream_tbEUljE_EEESV_SW_SX_S14_S18_S1A_T6_T7_T9_mT8_S1C_bDpT10_ENKUlT_T0_E_clISt17integral_constantIbLb0EES1P_EEDaS1K_S1L_EUlS1K_E_NS1_11comp_targetILNS1_3genE3ELNS1_11target_archE908ELNS1_3gpuE7ELNS1_3repE0EEENS1_30default_config_static_selectorELNS0_4arch9wavefront6targetE0EEEvSY_, .Lfunc_end571-_ZN7rocprim17ROCPRIM_400000_NS6detail17trampoline_kernelINS0_13select_configILj256ELj13ELNS0_17block_load_methodE3ELS4_3ELS4_3ELNS0_20block_scan_algorithmE0ELj4294967295EEENS1_25partition_config_selectorILNS1_17partition_subalgoE3EjNS0_10empty_typeEbEEZZNS1_14partition_implILS8_3ELb0ES6_jNS0_17counting_iteratorIjlEEPS9_SE_NS0_5tupleIJPjSE_EEENSF_IJSE_SE_EEES9_SG_JZNS1_25segmented_radix_sort_implINS0_14default_configELb0EPKiPiPKlPlN2at6native12_GLOBAL__N_18offset_tEEE10hipError_tPvRmT1_PNSt15iterator_traitsISY_E10value_typeET2_T3_PNSZ_IS14_E10value_typeET4_jRbjT5_S1A_jjP12ihipStream_tbEUljE_EEESV_SW_SX_S14_S18_S1A_T6_T7_T9_mT8_S1C_bDpT10_ENKUlT_T0_E_clISt17integral_constantIbLb0EES1P_EEDaS1K_S1L_EUlS1K_E_NS1_11comp_targetILNS1_3genE3ELNS1_11target_archE908ELNS1_3gpuE7ELNS1_3repE0EEENS1_30default_config_static_selectorELNS0_4arch9wavefront6targetE0EEEvSY_
                                        ; -- End function
	.section	.AMDGPU.csdata,"",@progbits
; Kernel info:
; codeLenInByte = 0
; NumSgprs: 0
; NumVgprs: 0
; ScratchSize: 0
; MemoryBound: 0
; FloatMode: 240
; IeeeMode: 1
; LDSByteSize: 0 bytes/workgroup (compile time only)
; SGPRBlocks: 0
; VGPRBlocks: 0
; NumSGPRsForWavesPerEU: 1
; NumVGPRsForWavesPerEU: 1
; Occupancy: 16
; WaveLimiterHint : 0
; COMPUTE_PGM_RSRC2:SCRATCH_EN: 0
; COMPUTE_PGM_RSRC2:USER_SGPR: 15
; COMPUTE_PGM_RSRC2:TRAP_HANDLER: 0
; COMPUTE_PGM_RSRC2:TGID_X_EN: 1
; COMPUTE_PGM_RSRC2:TGID_Y_EN: 0
; COMPUTE_PGM_RSRC2:TGID_Z_EN: 0
; COMPUTE_PGM_RSRC2:TIDIG_COMP_CNT: 0
	.section	.text._ZN7rocprim17ROCPRIM_400000_NS6detail17trampoline_kernelINS0_13select_configILj256ELj13ELNS0_17block_load_methodE3ELS4_3ELS4_3ELNS0_20block_scan_algorithmE0ELj4294967295EEENS1_25partition_config_selectorILNS1_17partition_subalgoE3EjNS0_10empty_typeEbEEZZNS1_14partition_implILS8_3ELb0ES6_jNS0_17counting_iteratorIjlEEPS9_SE_NS0_5tupleIJPjSE_EEENSF_IJSE_SE_EEES9_SG_JZNS1_25segmented_radix_sort_implINS0_14default_configELb0EPKiPiPKlPlN2at6native12_GLOBAL__N_18offset_tEEE10hipError_tPvRmT1_PNSt15iterator_traitsISY_E10value_typeET2_T3_PNSZ_IS14_E10value_typeET4_jRbjT5_S1A_jjP12ihipStream_tbEUljE_EEESV_SW_SX_S14_S18_S1A_T6_T7_T9_mT8_S1C_bDpT10_ENKUlT_T0_E_clISt17integral_constantIbLb0EES1P_EEDaS1K_S1L_EUlS1K_E_NS1_11comp_targetILNS1_3genE2ELNS1_11target_archE906ELNS1_3gpuE6ELNS1_3repE0EEENS1_30default_config_static_selectorELNS0_4arch9wavefront6targetE0EEEvSY_,"axG",@progbits,_ZN7rocprim17ROCPRIM_400000_NS6detail17trampoline_kernelINS0_13select_configILj256ELj13ELNS0_17block_load_methodE3ELS4_3ELS4_3ELNS0_20block_scan_algorithmE0ELj4294967295EEENS1_25partition_config_selectorILNS1_17partition_subalgoE3EjNS0_10empty_typeEbEEZZNS1_14partition_implILS8_3ELb0ES6_jNS0_17counting_iteratorIjlEEPS9_SE_NS0_5tupleIJPjSE_EEENSF_IJSE_SE_EEES9_SG_JZNS1_25segmented_radix_sort_implINS0_14default_configELb0EPKiPiPKlPlN2at6native12_GLOBAL__N_18offset_tEEE10hipError_tPvRmT1_PNSt15iterator_traitsISY_E10value_typeET2_T3_PNSZ_IS14_E10value_typeET4_jRbjT5_S1A_jjP12ihipStream_tbEUljE_EEESV_SW_SX_S14_S18_S1A_T6_T7_T9_mT8_S1C_bDpT10_ENKUlT_T0_E_clISt17integral_constantIbLb0EES1P_EEDaS1K_S1L_EUlS1K_E_NS1_11comp_targetILNS1_3genE2ELNS1_11target_archE906ELNS1_3gpuE6ELNS1_3repE0EEENS1_30default_config_static_selectorELNS0_4arch9wavefront6targetE0EEEvSY_,comdat
	.globl	_ZN7rocprim17ROCPRIM_400000_NS6detail17trampoline_kernelINS0_13select_configILj256ELj13ELNS0_17block_load_methodE3ELS4_3ELS4_3ELNS0_20block_scan_algorithmE0ELj4294967295EEENS1_25partition_config_selectorILNS1_17partition_subalgoE3EjNS0_10empty_typeEbEEZZNS1_14partition_implILS8_3ELb0ES6_jNS0_17counting_iteratorIjlEEPS9_SE_NS0_5tupleIJPjSE_EEENSF_IJSE_SE_EEES9_SG_JZNS1_25segmented_radix_sort_implINS0_14default_configELb0EPKiPiPKlPlN2at6native12_GLOBAL__N_18offset_tEEE10hipError_tPvRmT1_PNSt15iterator_traitsISY_E10value_typeET2_T3_PNSZ_IS14_E10value_typeET4_jRbjT5_S1A_jjP12ihipStream_tbEUljE_EEESV_SW_SX_S14_S18_S1A_T6_T7_T9_mT8_S1C_bDpT10_ENKUlT_T0_E_clISt17integral_constantIbLb0EES1P_EEDaS1K_S1L_EUlS1K_E_NS1_11comp_targetILNS1_3genE2ELNS1_11target_archE906ELNS1_3gpuE6ELNS1_3repE0EEENS1_30default_config_static_selectorELNS0_4arch9wavefront6targetE0EEEvSY_ ; -- Begin function _ZN7rocprim17ROCPRIM_400000_NS6detail17trampoline_kernelINS0_13select_configILj256ELj13ELNS0_17block_load_methodE3ELS4_3ELS4_3ELNS0_20block_scan_algorithmE0ELj4294967295EEENS1_25partition_config_selectorILNS1_17partition_subalgoE3EjNS0_10empty_typeEbEEZZNS1_14partition_implILS8_3ELb0ES6_jNS0_17counting_iteratorIjlEEPS9_SE_NS0_5tupleIJPjSE_EEENSF_IJSE_SE_EEES9_SG_JZNS1_25segmented_radix_sort_implINS0_14default_configELb0EPKiPiPKlPlN2at6native12_GLOBAL__N_18offset_tEEE10hipError_tPvRmT1_PNSt15iterator_traitsISY_E10value_typeET2_T3_PNSZ_IS14_E10value_typeET4_jRbjT5_S1A_jjP12ihipStream_tbEUljE_EEESV_SW_SX_S14_S18_S1A_T6_T7_T9_mT8_S1C_bDpT10_ENKUlT_T0_E_clISt17integral_constantIbLb0EES1P_EEDaS1K_S1L_EUlS1K_E_NS1_11comp_targetILNS1_3genE2ELNS1_11target_archE906ELNS1_3gpuE6ELNS1_3repE0EEENS1_30default_config_static_selectorELNS0_4arch9wavefront6targetE0EEEvSY_
	.p2align	8
	.type	_ZN7rocprim17ROCPRIM_400000_NS6detail17trampoline_kernelINS0_13select_configILj256ELj13ELNS0_17block_load_methodE3ELS4_3ELS4_3ELNS0_20block_scan_algorithmE0ELj4294967295EEENS1_25partition_config_selectorILNS1_17partition_subalgoE3EjNS0_10empty_typeEbEEZZNS1_14partition_implILS8_3ELb0ES6_jNS0_17counting_iteratorIjlEEPS9_SE_NS0_5tupleIJPjSE_EEENSF_IJSE_SE_EEES9_SG_JZNS1_25segmented_radix_sort_implINS0_14default_configELb0EPKiPiPKlPlN2at6native12_GLOBAL__N_18offset_tEEE10hipError_tPvRmT1_PNSt15iterator_traitsISY_E10value_typeET2_T3_PNSZ_IS14_E10value_typeET4_jRbjT5_S1A_jjP12ihipStream_tbEUljE_EEESV_SW_SX_S14_S18_S1A_T6_T7_T9_mT8_S1C_bDpT10_ENKUlT_T0_E_clISt17integral_constantIbLb0EES1P_EEDaS1K_S1L_EUlS1K_E_NS1_11comp_targetILNS1_3genE2ELNS1_11target_archE906ELNS1_3gpuE6ELNS1_3repE0EEENS1_30default_config_static_selectorELNS0_4arch9wavefront6targetE0EEEvSY_,@function
_ZN7rocprim17ROCPRIM_400000_NS6detail17trampoline_kernelINS0_13select_configILj256ELj13ELNS0_17block_load_methodE3ELS4_3ELS4_3ELNS0_20block_scan_algorithmE0ELj4294967295EEENS1_25partition_config_selectorILNS1_17partition_subalgoE3EjNS0_10empty_typeEbEEZZNS1_14partition_implILS8_3ELb0ES6_jNS0_17counting_iteratorIjlEEPS9_SE_NS0_5tupleIJPjSE_EEENSF_IJSE_SE_EEES9_SG_JZNS1_25segmented_radix_sort_implINS0_14default_configELb0EPKiPiPKlPlN2at6native12_GLOBAL__N_18offset_tEEE10hipError_tPvRmT1_PNSt15iterator_traitsISY_E10value_typeET2_T3_PNSZ_IS14_E10value_typeET4_jRbjT5_S1A_jjP12ihipStream_tbEUljE_EEESV_SW_SX_S14_S18_S1A_T6_T7_T9_mT8_S1C_bDpT10_ENKUlT_T0_E_clISt17integral_constantIbLb0EES1P_EEDaS1K_S1L_EUlS1K_E_NS1_11comp_targetILNS1_3genE2ELNS1_11target_archE906ELNS1_3gpuE6ELNS1_3repE0EEENS1_30default_config_static_selectorELNS0_4arch9wavefront6targetE0EEEvSY_: ; @_ZN7rocprim17ROCPRIM_400000_NS6detail17trampoline_kernelINS0_13select_configILj256ELj13ELNS0_17block_load_methodE3ELS4_3ELS4_3ELNS0_20block_scan_algorithmE0ELj4294967295EEENS1_25partition_config_selectorILNS1_17partition_subalgoE3EjNS0_10empty_typeEbEEZZNS1_14partition_implILS8_3ELb0ES6_jNS0_17counting_iteratorIjlEEPS9_SE_NS0_5tupleIJPjSE_EEENSF_IJSE_SE_EEES9_SG_JZNS1_25segmented_radix_sort_implINS0_14default_configELb0EPKiPiPKlPlN2at6native12_GLOBAL__N_18offset_tEEE10hipError_tPvRmT1_PNSt15iterator_traitsISY_E10value_typeET2_T3_PNSZ_IS14_E10value_typeET4_jRbjT5_S1A_jjP12ihipStream_tbEUljE_EEESV_SW_SX_S14_S18_S1A_T6_T7_T9_mT8_S1C_bDpT10_ENKUlT_T0_E_clISt17integral_constantIbLb0EES1P_EEDaS1K_S1L_EUlS1K_E_NS1_11comp_targetILNS1_3genE2ELNS1_11target_archE906ELNS1_3gpuE6ELNS1_3repE0EEENS1_30default_config_static_selectorELNS0_4arch9wavefront6targetE0EEEvSY_
; %bb.0:
	.section	.rodata,"a",@progbits
	.p2align	6, 0x0
	.amdhsa_kernel _ZN7rocprim17ROCPRIM_400000_NS6detail17trampoline_kernelINS0_13select_configILj256ELj13ELNS0_17block_load_methodE3ELS4_3ELS4_3ELNS0_20block_scan_algorithmE0ELj4294967295EEENS1_25partition_config_selectorILNS1_17partition_subalgoE3EjNS0_10empty_typeEbEEZZNS1_14partition_implILS8_3ELb0ES6_jNS0_17counting_iteratorIjlEEPS9_SE_NS0_5tupleIJPjSE_EEENSF_IJSE_SE_EEES9_SG_JZNS1_25segmented_radix_sort_implINS0_14default_configELb0EPKiPiPKlPlN2at6native12_GLOBAL__N_18offset_tEEE10hipError_tPvRmT1_PNSt15iterator_traitsISY_E10value_typeET2_T3_PNSZ_IS14_E10value_typeET4_jRbjT5_S1A_jjP12ihipStream_tbEUljE_EEESV_SW_SX_S14_S18_S1A_T6_T7_T9_mT8_S1C_bDpT10_ENKUlT_T0_E_clISt17integral_constantIbLb0EES1P_EEDaS1K_S1L_EUlS1K_E_NS1_11comp_targetILNS1_3genE2ELNS1_11target_archE906ELNS1_3gpuE6ELNS1_3repE0EEENS1_30default_config_static_selectorELNS0_4arch9wavefront6targetE0EEEvSY_
		.amdhsa_group_segment_fixed_size 0
		.amdhsa_private_segment_fixed_size 0
		.amdhsa_kernarg_size 144
		.amdhsa_user_sgpr_count 15
		.amdhsa_user_sgpr_dispatch_ptr 0
		.amdhsa_user_sgpr_queue_ptr 0
		.amdhsa_user_sgpr_kernarg_segment_ptr 1
		.amdhsa_user_sgpr_dispatch_id 0
		.amdhsa_user_sgpr_private_segment_size 0
		.amdhsa_wavefront_size32 1
		.amdhsa_uses_dynamic_stack 0
		.amdhsa_enable_private_segment 0
		.amdhsa_system_sgpr_workgroup_id_x 1
		.amdhsa_system_sgpr_workgroup_id_y 0
		.amdhsa_system_sgpr_workgroup_id_z 0
		.amdhsa_system_sgpr_workgroup_info 0
		.amdhsa_system_vgpr_workitem_id 0
		.amdhsa_next_free_vgpr 1
		.amdhsa_next_free_sgpr 1
		.amdhsa_reserve_vcc 0
		.amdhsa_float_round_mode_32 0
		.amdhsa_float_round_mode_16_64 0
		.amdhsa_float_denorm_mode_32 3
		.amdhsa_float_denorm_mode_16_64 3
		.amdhsa_dx10_clamp 1
		.amdhsa_ieee_mode 1
		.amdhsa_fp16_overflow 0
		.amdhsa_workgroup_processor_mode 1
		.amdhsa_memory_ordered 1
		.amdhsa_forward_progress 0
		.amdhsa_shared_vgpr_count 0
		.amdhsa_exception_fp_ieee_invalid_op 0
		.amdhsa_exception_fp_denorm_src 0
		.amdhsa_exception_fp_ieee_div_zero 0
		.amdhsa_exception_fp_ieee_overflow 0
		.amdhsa_exception_fp_ieee_underflow 0
		.amdhsa_exception_fp_ieee_inexact 0
		.amdhsa_exception_int_div_zero 0
	.end_amdhsa_kernel
	.section	.text._ZN7rocprim17ROCPRIM_400000_NS6detail17trampoline_kernelINS0_13select_configILj256ELj13ELNS0_17block_load_methodE3ELS4_3ELS4_3ELNS0_20block_scan_algorithmE0ELj4294967295EEENS1_25partition_config_selectorILNS1_17partition_subalgoE3EjNS0_10empty_typeEbEEZZNS1_14partition_implILS8_3ELb0ES6_jNS0_17counting_iteratorIjlEEPS9_SE_NS0_5tupleIJPjSE_EEENSF_IJSE_SE_EEES9_SG_JZNS1_25segmented_radix_sort_implINS0_14default_configELb0EPKiPiPKlPlN2at6native12_GLOBAL__N_18offset_tEEE10hipError_tPvRmT1_PNSt15iterator_traitsISY_E10value_typeET2_T3_PNSZ_IS14_E10value_typeET4_jRbjT5_S1A_jjP12ihipStream_tbEUljE_EEESV_SW_SX_S14_S18_S1A_T6_T7_T9_mT8_S1C_bDpT10_ENKUlT_T0_E_clISt17integral_constantIbLb0EES1P_EEDaS1K_S1L_EUlS1K_E_NS1_11comp_targetILNS1_3genE2ELNS1_11target_archE906ELNS1_3gpuE6ELNS1_3repE0EEENS1_30default_config_static_selectorELNS0_4arch9wavefront6targetE0EEEvSY_,"axG",@progbits,_ZN7rocprim17ROCPRIM_400000_NS6detail17trampoline_kernelINS0_13select_configILj256ELj13ELNS0_17block_load_methodE3ELS4_3ELS4_3ELNS0_20block_scan_algorithmE0ELj4294967295EEENS1_25partition_config_selectorILNS1_17partition_subalgoE3EjNS0_10empty_typeEbEEZZNS1_14partition_implILS8_3ELb0ES6_jNS0_17counting_iteratorIjlEEPS9_SE_NS0_5tupleIJPjSE_EEENSF_IJSE_SE_EEES9_SG_JZNS1_25segmented_radix_sort_implINS0_14default_configELb0EPKiPiPKlPlN2at6native12_GLOBAL__N_18offset_tEEE10hipError_tPvRmT1_PNSt15iterator_traitsISY_E10value_typeET2_T3_PNSZ_IS14_E10value_typeET4_jRbjT5_S1A_jjP12ihipStream_tbEUljE_EEESV_SW_SX_S14_S18_S1A_T6_T7_T9_mT8_S1C_bDpT10_ENKUlT_T0_E_clISt17integral_constantIbLb0EES1P_EEDaS1K_S1L_EUlS1K_E_NS1_11comp_targetILNS1_3genE2ELNS1_11target_archE906ELNS1_3gpuE6ELNS1_3repE0EEENS1_30default_config_static_selectorELNS0_4arch9wavefront6targetE0EEEvSY_,comdat
.Lfunc_end572:
	.size	_ZN7rocprim17ROCPRIM_400000_NS6detail17trampoline_kernelINS0_13select_configILj256ELj13ELNS0_17block_load_methodE3ELS4_3ELS4_3ELNS0_20block_scan_algorithmE0ELj4294967295EEENS1_25partition_config_selectorILNS1_17partition_subalgoE3EjNS0_10empty_typeEbEEZZNS1_14partition_implILS8_3ELb0ES6_jNS0_17counting_iteratorIjlEEPS9_SE_NS0_5tupleIJPjSE_EEENSF_IJSE_SE_EEES9_SG_JZNS1_25segmented_radix_sort_implINS0_14default_configELb0EPKiPiPKlPlN2at6native12_GLOBAL__N_18offset_tEEE10hipError_tPvRmT1_PNSt15iterator_traitsISY_E10value_typeET2_T3_PNSZ_IS14_E10value_typeET4_jRbjT5_S1A_jjP12ihipStream_tbEUljE_EEESV_SW_SX_S14_S18_S1A_T6_T7_T9_mT8_S1C_bDpT10_ENKUlT_T0_E_clISt17integral_constantIbLb0EES1P_EEDaS1K_S1L_EUlS1K_E_NS1_11comp_targetILNS1_3genE2ELNS1_11target_archE906ELNS1_3gpuE6ELNS1_3repE0EEENS1_30default_config_static_selectorELNS0_4arch9wavefront6targetE0EEEvSY_, .Lfunc_end572-_ZN7rocprim17ROCPRIM_400000_NS6detail17trampoline_kernelINS0_13select_configILj256ELj13ELNS0_17block_load_methodE3ELS4_3ELS4_3ELNS0_20block_scan_algorithmE0ELj4294967295EEENS1_25partition_config_selectorILNS1_17partition_subalgoE3EjNS0_10empty_typeEbEEZZNS1_14partition_implILS8_3ELb0ES6_jNS0_17counting_iteratorIjlEEPS9_SE_NS0_5tupleIJPjSE_EEENSF_IJSE_SE_EEES9_SG_JZNS1_25segmented_radix_sort_implINS0_14default_configELb0EPKiPiPKlPlN2at6native12_GLOBAL__N_18offset_tEEE10hipError_tPvRmT1_PNSt15iterator_traitsISY_E10value_typeET2_T3_PNSZ_IS14_E10value_typeET4_jRbjT5_S1A_jjP12ihipStream_tbEUljE_EEESV_SW_SX_S14_S18_S1A_T6_T7_T9_mT8_S1C_bDpT10_ENKUlT_T0_E_clISt17integral_constantIbLb0EES1P_EEDaS1K_S1L_EUlS1K_E_NS1_11comp_targetILNS1_3genE2ELNS1_11target_archE906ELNS1_3gpuE6ELNS1_3repE0EEENS1_30default_config_static_selectorELNS0_4arch9wavefront6targetE0EEEvSY_
                                        ; -- End function
	.section	.AMDGPU.csdata,"",@progbits
; Kernel info:
; codeLenInByte = 0
; NumSgprs: 0
; NumVgprs: 0
; ScratchSize: 0
; MemoryBound: 0
; FloatMode: 240
; IeeeMode: 1
; LDSByteSize: 0 bytes/workgroup (compile time only)
; SGPRBlocks: 0
; VGPRBlocks: 0
; NumSGPRsForWavesPerEU: 1
; NumVGPRsForWavesPerEU: 1
; Occupancy: 16
; WaveLimiterHint : 0
; COMPUTE_PGM_RSRC2:SCRATCH_EN: 0
; COMPUTE_PGM_RSRC2:USER_SGPR: 15
; COMPUTE_PGM_RSRC2:TRAP_HANDLER: 0
; COMPUTE_PGM_RSRC2:TGID_X_EN: 1
; COMPUTE_PGM_RSRC2:TGID_Y_EN: 0
; COMPUTE_PGM_RSRC2:TGID_Z_EN: 0
; COMPUTE_PGM_RSRC2:TIDIG_COMP_CNT: 0
	.section	.text._ZN7rocprim17ROCPRIM_400000_NS6detail17trampoline_kernelINS0_13select_configILj256ELj13ELNS0_17block_load_methodE3ELS4_3ELS4_3ELNS0_20block_scan_algorithmE0ELj4294967295EEENS1_25partition_config_selectorILNS1_17partition_subalgoE3EjNS0_10empty_typeEbEEZZNS1_14partition_implILS8_3ELb0ES6_jNS0_17counting_iteratorIjlEEPS9_SE_NS0_5tupleIJPjSE_EEENSF_IJSE_SE_EEES9_SG_JZNS1_25segmented_radix_sort_implINS0_14default_configELb0EPKiPiPKlPlN2at6native12_GLOBAL__N_18offset_tEEE10hipError_tPvRmT1_PNSt15iterator_traitsISY_E10value_typeET2_T3_PNSZ_IS14_E10value_typeET4_jRbjT5_S1A_jjP12ihipStream_tbEUljE_EEESV_SW_SX_S14_S18_S1A_T6_T7_T9_mT8_S1C_bDpT10_ENKUlT_T0_E_clISt17integral_constantIbLb0EES1P_EEDaS1K_S1L_EUlS1K_E_NS1_11comp_targetILNS1_3genE10ELNS1_11target_archE1200ELNS1_3gpuE4ELNS1_3repE0EEENS1_30default_config_static_selectorELNS0_4arch9wavefront6targetE0EEEvSY_,"axG",@progbits,_ZN7rocprim17ROCPRIM_400000_NS6detail17trampoline_kernelINS0_13select_configILj256ELj13ELNS0_17block_load_methodE3ELS4_3ELS4_3ELNS0_20block_scan_algorithmE0ELj4294967295EEENS1_25partition_config_selectorILNS1_17partition_subalgoE3EjNS0_10empty_typeEbEEZZNS1_14partition_implILS8_3ELb0ES6_jNS0_17counting_iteratorIjlEEPS9_SE_NS0_5tupleIJPjSE_EEENSF_IJSE_SE_EEES9_SG_JZNS1_25segmented_radix_sort_implINS0_14default_configELb0EPKiPiPKlPlN2at6native12_GLOBAL__N_18offset_tEEE10hipError_tPvRmT1_PNSt15iterator_traitsISY_E10value_typeET2_T3_PNSZ_IS14_E10value_typeET4_jRbjT5_S1A_jjP12ihipStream_tbEUljE_EEESV_SW_SX_S14_S18_S1A_T6_T7_T9_mT8_S1C_bDpT10_ENKUlT_T0_E_clISt17integral_constantIbLb0EES1P_EEDaS1K_S1L_EUlS1K_E_NS1_11comp_targetILNS1_3genE10ELNS1_11target_archE1200ELNS1_3gpuE4ELNS1_3repE0EEENS1_30default_config_static_selectorELNS0_4arch9wavefront6targetE0EEEvSY_,comdat
	.globl	_ZN7rocprim17ROCPRIM_400000_NS6detail17trampoline_kernelINS0_13select_configILj256ELj13ELNS0_17block_load_methodE3ELS4_3ELS4_3ELNS0_20block_scan_algorithmE0ELj4294967295EEENS1_25partition_config_selectorILNS1_17partition_subalgoE3EjNS0_10empty_typeEbEEZZNS1_14partition_implILS8_3ELb0ES6_jNS0_17counting_iteratorIjlEEPS9_SE_NS0_5tupleIJPjSE_EEENSF_IJSE_SE_EEES9_SG_JZNS1_25segmented_radix_sort_implINS0_14default_configELb0EPKiPiPKlPlN2at6native12_GLOBAL__N_18offset_tEEE10hipError_tPvRmT1_PNSt15iterator_traitsISY_E10value_typeET2_T3_PNSZ_IS14_E10value_typeET4_jRbjT5_S1A_jjP12ihipStream_tbEUljE_EEESV_SW_SX_S14_S18_S1A_T6_T7_T9_mT8_S1C_bDpT10_ENKUlT_T0_E_clISt17integral_constantIbLb0EES1P_EEDaS1K_S1L_EUlS1K_E_NS1_11comp_targetILNS1_3genE10ELNS1_11target_archE1200ELNS1_3gpuE4ELNS1_3repE0EEENS1_30default_config_static_selectorELNS0_4arch9wavefront6targetE0EEEvSY_ ; -- Begin function _ZN7rocprim17ROCPRIM_400000_NS6detail17trampoline_kernelINS0_13select_configILj256ELj13ELNS0_17block_load_methodE3ELS4_3ELS4_3ELNS0_20block_scan_algorithmE0ELj4294967295EEENS1_25partition_config_selectorILNS1_17partition_subalgoE3EjNS0_10empty_typeEbEEZZNS1_14partition_implILS8_3ELb0ES6_jNS0_17counting_iteratorIjlEEPS9_SE_NS0_5tupleIJPjSE_EEENSF_IJSE_SE_EEES9_SG_JZNS1_25segmented_radix_sort_implINS0_14default_configELb0EPKiPiPKlPlN2at6native12_GLOBAL__N_18offset_tEEE10hipError_tPvRmT1_PNSt15iterator_traitsISY_E10value_typeET2_T3_PNSZ_IS14_E10value_typeET4_jRbjT5_S1A_jjP12ihipStream_tbEUljE_EEESV_SW_SX_S14_S18_S1A_T6_T7_T9_mT8_S1C_bDpT10_ENKUlT_T0_E_clISt17integral_constantIbLb0EES1P_EEDaS1K_S1L_EUlS1K_E_NS1_11comp_targetILNS1_3genE10ELNS1_11target_archE1200ELNS1_3gpuE4ELNS1_3repE0EEENS1_30default_config_static_selectorELNS0_4arch9wavefront6targetE0EEEvSY_
	.p2align	8
	.type	_ZN7rocprim17ROCPRIM_400000_NS6detail17trampoline_kernelINS0_13select_configILj256ELj13ELNS0_17block_load_methodE3ELS4_3ELS4_3ELNS0_20block_scan_algorithmE0ELj4294967295EEENS1_25partition_config_selectorILNS1_17partition_subalgoE3EjNS0_10empty_typeEbEEZZNS1_14partition_implILS8_3ELb0ES6_jNS0_17counting_iteratorIjlEEPS9_SE_NS0_5tupleIJPjSE_EEENSF_IJSE_SE_EEES9_SG_JZNS1_25segmented_radix_sort_implINS0_14default_configELb0EPKiPiPKlPlN2at6native12_GLOBAL__N_18offset_tEEE10hipError_tPvRmT1_PNSt15iterator_traitsISY_E10value_typeET2_T3_PNSZ_IS14_E10value_typeET4_jRbjT5_S1A_jjP12ihipStream_tbEUljE_EEESV_SW_SX_S14_S18_S1A_T6_T7_T9_mT8_S1C_bDpT10_ENKUlT_T0_E_clISt17integral_constantIbLb0EES1P_EEDaS1K_S1L_EUlS1K_E_NS1_11comp_targetILNS1_3genE10ELNS1_11target_archE1200ELNS1_3gpuE4ELNS1_3repE0EEENS1_30default_config_static_selectorELNS0_4arch9wavefront6targetE0EEEvSY_,@function
_ZN7rocprim17ROCPRIM_400000_NS6detail17trampoline_kernelINS0_13select_configILj256ELj13ELNS0_17block_load_methodE3ELS4_3ELS4_3ELNS0_20block_scan_algorithmE0ELj4294967295EEENS1_25partition_config_selectorILNS1_17partition_subalgoE3EjNS0_10empty_typeEbEEZZNS1_14partition_implILS8_3ELb0ES6_jNS0_17counting_iteratorIjlEEPS9_SE_NS0_5tupleIJPjSE_EEENSF_IJSE_SE_EEES9_SG_JZNS1_25segmented_radix_sort_implINS0_14default_configELb0EPKiPiPKlPlN2at6native12_GLOBAL__N_18offset_tEEE10hipError_tPvRmT1_PNSt15iterator_traitsISY_E10value_typeET2_T3_PNSZ_IS14_E10value_typeET4_jRbjT5_S1A_jjP12ihipStream_tbEUljE_EEESV_SW_SX_S14_S18_S1A_T6_T7_T9_mT8_S1C_bDpT10_ENKUlT_T0_E_clISt17integral_constantIbLb0EES1P_EEDaS1K_S1L_EUlS1K_E_NS1_11comp_targetILNS1_3genE10ELNS1_11target_archE1200ELNS1_3gpuE4ELNS1_3repE0EEENS1_30default_config_static_selectorELNS0_4arch9wavefront6targetE0EEEvSY_: ; @_ZN7rocprim17ROCPRIM_400000_NS6detail17trampoline_kernelINS0_13select_configILj256ELj13ELNS0_17block_load_methodE3ELS4_3ELS4_3ELNS0_20block_scan_algorithmE0ELj4294967295EEENS1_25partition_config_selectorILNS1_17partition_subalgoE3EjNS0_10empty_typeEbEEZZNS1_14partition_implILS8_3ELb0ES6_jNS0_17counting_iteratorIjlEEPS9_SE_NS0_5tupleIJPjSE_EEENSF_IJSE_SE_EEES9_SG_JZNS1_25segmented_radix_sort_implINS0_14default_configELb0EPKiPiPKlPlN2at6native12_GLOBAL__N_18offset_tEEE10hipError_tPvRmT1_PNSt15iterator_traitsISY_E10value_typeET2_T3_PNSZ_IS14_E10value_typeET4_jRbjT5_S1A_jjP12ihipStream_tbEUljE_EEESV_SW_SX_S14_S18_S1A_T6_T7_T9_mT8_S1C_bDpT10_ENKUlT_T0_E_clISt17integral_constantIbLb0EES1P_EEDaS1K_S1L_EUlS1K_E_NS1_11comp_targetILNS1_3genE10ELNS1_11target_archE1200ELNS1_3gpuE4ELNS1_3repE0EEENS1_30default_config_static_selectorELNS0_4arch9wavefront6targetE0EEEvSY_
; %bb.0:
	.section	.rodata,"a",@progbits
	.p2align	6, 0x0
	.amdhsa_kernel _ZN7rocprim17ROCPRIM_400000_NS6detail17trampoline_kernelINS0_13select_configILj256ELj13ELNS0_17block_load_methodE3ELS4_3ELS4_3ELNS0_20block_scan_algorithmE0ELj4294967295EEENS1_25partition_config_selectorILNS1_17partition_subalgoE3EjNS0_10empty_typeEbEEZZNS1_14partition_implILS8_3ELb0ES6_jNS0_17counting_iteratorIjlEEPS9_SE_NS0_5tupleIJPjSE_EEENSF_IJSE_SE_EEES9_SG_JZNS1_25segmented_radix_sort_implINS0_14default_configELb0EPKiPiPKlPlN2at6native12_GLOBAL__N_18offset_tEEE10hipError_tPvRmT1_PNSt15iterator_traitsISY_E10value_typeET2_T3_PNSZ_IS14_E10value_typeET4_jRbjT5_S1A_jjP12ihipStream_tbEUljE_EEESV_SW_SX_S14_S18_S1A_T6_T7_T9_mT8_S1C_bDpT10_ENKUlT_T0_E_clISt17integral_constantIbLb0EES1P_EEDaS1K_S1L_EUlS1K_E_NS1_11comp_targetILNS1_3genE10ELNS1_11target_archE1200ELNS1_3gpuE4ELNS1_3repE0EEENS1_30default_config_static_selectorELNS0_4arch9wavefront6targetE0EEEvSY_
		.amdhsa_group_segment_fixed_size 0
		.amdhsa_private_segment_fixed_size 0
		.amdhsa_kernarg_size 144
		.amdhsa_user_sgpr_count 15
		.amdhsa_user_sgpr_dispatch_ptr 0
		.amdhsa_user_sgpr_queue_ptr 0
		.amdhsa_user_sgpr_kernarg_segment_ptr 1
		.amdhsa_user_sgpr_dispatch_id 0
		.amdhsa_user_sgpr_private_segment_size 0
		.amdhsa_wavefront_size32 1
		.amdhsa_uses_dynamic_stack 0
		.amdhsa_enable_private_segment 0
		.amdhsa_system_sgpr_workgroup_id_x 1
		.amdhsa_system_sgpr_workgroup_id_y 0
		.amdhsa_system_sgpr_workgroup_id_z 0
		.amdhsa_system_sgpr_workgroup_info 0
		.amdhsa_system_vgpr_workitem_id 0
		.amdhsa_next_free_vgpr 1
		.amdhsa_next_free_sgpr 1
		.amdhsa_reserve_vcc 0
		.amdhsa_float_round_mode_32 0
		.amdhsa_float_round_mode_16_64 0
		.amdhsa_float_denorm_mode_32 3
		.amdhsa_float_denorm_mode_16_64 3
		.amdhsa_dx10_clamp 1
		.amdhsa_ieee_mode 1
		.amdhsa_fp16_overflow 0
		.amdhsa_workgroup_processor_mode 1
		.amdhsa_memory_ordered 1
		.amdhsa_forward_progress 0
		.amdhsa_shared_vgpr_count 0
		.amdhsa_exception_fp_ieee_invalid_op 0
		.amdhsa_exception_fp_denorm_src 0
		.amdhsa_exception_fp_ieee_div_zero 0
		.amdhsa_exception_fp_ieee_overflow 0
		.amdhsa_exception_fp_ieee_underflow 0
		.amdhsa_exception_fp_ieee_inexact 0
		.amdhsa_exception_int_div_zero 0
	.end_amdhsa_kernel
	.section	.text._ZN7rocprim17ROCPRIM_400000_NS6detail17trampoline_kernelINS0_13select_configILj256ELj13ELNS0_17block_load_methodE3ELS4_3ELS4_3ELNS0_20block_scan_algorithmE0ELj4294967295EEENS1_25partition_config_selectorILNS1_17partition_subalgoE3EjNS0_10empty_typeEbEEZZNS1_14partition_implILS8_3ELb0ES6_jNS0_17counting_iteratorIjlEEPS9_SE_NS0_5tupleIJPjSE_EEENSF_IJSE_SE_EEES9_SG_JZNS1_25segmented_radix_sort_implINS0_14default_configELb0EPKiPiPKlPlN2at6native12_GLOBAL__N_18offset_tEEE10hipError_tPvRmT1_PNSt15iterator_traitsISY_E10value_typeET2_T3_PNSZ_IS14_E10value_typeET4_jRbjT5_S1A_jjP12ihipStream_tbEUljE_EEESV_SW_SX_S14_S18_S1A_T6_T7_T9_mT8_S1C_bDpT10_ENKUlT_T0_E_clISt17integral_constantIbLb0EES1P_EEDaS1K_S1L_EUlS1K_E_NS1_11comp_targetILNS1_3genE10ELNS1_11target_archE1200ELNS1_3gpuE4ELNS1_3repE0EEENS1_30default_config_static_selectorELNS0_4arch9wavefront6targetE0EEEvSY_,"axG",@progbits,_ZN7rocprim17ROCPRIM_400000_NS6detail17trampoline_kernelINS0_13select_configILj256ELj13ELNS0_17block_load_methodE3ELS4_3ELS4_3ELNS0_20block_scan_algorithmE0ELj4294967295EEENS1_25partition_config_selectorILNS1_17partition_subalgoE3EjNS0_10empty_typeEbEEZZNS1_14partition_implILS8_3ELb0ES6_jNS0_17counting_iteratorIjlEEPS9_SE_NS0_5tupleIJPjSE_EEENSF_IJSE_SE_EEES9_SG_JZNS1_25segmented_radix_sort_implINS0_14default_configELb0EPKiPiPKlPlN2at6native12_GLOBAL__N_18offset_tEEE10hipError_tPvRmT1_PNSt15iterator_traitsISY_E10value_typeET2_T3_PNSZ_IS14_E10value_typeET4_jRbjT5_S1A_jjP12ihipStream_tbEUljE_EEESV_SW_SX_S14_S18_S1A_T6_T7_T9_mT8_S1C_bDpT10_ENKUlT_T0_E_clISt17integral_constantIbLb0EES1P_EEDaS1K_S1L_EUlS1K_E_NS1_11comp_targetILNS1_3genE10ELNS1_11target_archE1200ELNS1_3gpuE4ELNS1_3repE0EEENS1_30default_config_static_selectorELNS0_4arch9wavefront6targetE0EEEvSY_,comdat
.Lfunc_end573:
	.size	_ZN7rocprim17ROCPRIM_400000_NS6detail17trampoline_kernelINS0_13select_configILj256ELj13ELNS0_17block_load_methodE3ELS4_3ELS4_3ELNS0_20block_scan_algorithmE0ELj4294967295EEENS1_25partition_config_selectorILNS1_17partition_subalgoE3EjNS0_10empty_typeEbEEZZNS1_14partition_implILS8_3ELb0ES6_jNS0_17counting_iteratorIjlEEPS9_SE_NS0_5tupleIJPjSE_EEENSF_IJSE_SE_EEES9_SG_JZNS1_25segmented_radix_sort_implINS0_14default_configELb0EPKiPiPKlPlN2at6native12_GLOBAL__N_18offset_tEEE10hipError_tPvRmT1_PNSt15iterator_traitsISY_E10value_typeET2_T3_PNSZ_IS14_E10value_typeET4_jRbjT5_S1A_jjP12ihipStream_tbEUljE_EEESV_SW_SX_S14_S18_S1A_T6_T7_T9_mT8_S1C_bDpT10_ENKUlT_T0_E_clISt17integral_constantIbLb0EES1P_EEDaS1K_S1L_EUlS1K_E_NS1_11comp_targetILNS1_3genE10ELNS1_11target_archE1200ELNS1_3gpuE4ELNS1_3repE0EEENS1_30default_config_static_selectorELNS0_4arch9wavefront6targetE0EEEvSY_, .Lfunc_end573-_ZN7rocprim17ROCPRIM_400000_NS6detail17trampoline_kernelINS0_13select_configILj256ELj13ELNS0_17block_load_methodE3ELS4_3ELS4_3ELNS0_20block_scan_algorithmE0ELj4294967295EEENS1_25partition_config_selectorILNS1_17partition_subalgoE3EjNS0_10empty_typeEbEEZZNS1_14partition_implILS8_3ELb0ES6_jNS0_17counting_iteratorIjlEEPS9_SE_NS0_5tupleIJPjSE_EEENSF_IJSE_SE_EEES9_SG_JZNS1_25segmented_radix_sort_implINS0_14default_configELb0EPKiPiPKlPlN2at6native12_GLOBAL__N_18offset_tEEE10hipError_tPvRmT1_PNSt15iterator_traitsISY_E10value_typeET2_T3_PNSZ_IS14_E10value_typeET4_jRbjT5_S1A_jjP12ihipStream_tbEUljE_EEESV_SW_SX_S14_S18_S1A_T6_T7_T9_mT8_S1C_bDpT10_ENKUlT_T0_E_clISt17integral_constantIbLb0EES1P_EEDaS1K_S1L_EUlS1K_E_NS1_11comp_targetILNS1_3genE10ELNS1_11target_archE1200ELNS1_3gpuE4ELNS1_3repE0EEENS1_30default_config_static_selectorELNS0_4arch9wavefront6targetE0EEEvSY_
                                        ; -- End function
	.section	.AMDGPU.csdata,"",@progbits
; Kernel info:
; codeLenInByte = 0
; NumSgprs: 0
; NumVgprs: 0
; ScratchSize: 0
; MemoryBound: 0
; FloatMode: 240
; IeeeMode: 1
; LDSByteSize: 0 bytes/workgroup (compile time only)
; SGPRBlocks: 0
; VGPRBlocks: 0
; NumSGPRsForWavesPerEU: 1
; NumVGPRsForWavesPerEU: 1
; Occupancy: 16
; WaveLimiterHint : 0
; COMPUTE_PGM_RSRC2:SCRATCH_EN: 0
; COMPUTE_PGM_RSRC2:USER_SGPR: 15
; COMPUTE_PGM_RSRC2:TRAP_HANDLER: 0
; COMPUTE_PGM_RSRC2:TGID_X_EN: 1
; COMPUTE_PGM_RSRC2:TGID_Y_EN: 0
; COMPUTE_PGM_RSRC2:TGID_Z_EN: 0
; COMPUTE_PGM_RSRC2:TIDIG_COMP_CNT: 0
	.section	.text._ZN7rocprim17ROCPRIM_400000_NS6detail17trampoline_kernelINS0_13select_configILj256ELj13ELNS0_17block_load_methodE3ELS4_3ELS4_3ELNS0_20block_scan_algorithmE0ELj4294967295EEENS1_25partition_config_selectorILNS1_17partition_subalgoE3EjNS0_10empty_typeEbEEZZNS1_14partition_implILS8_3ELb0ES6_jNS0_17counting_iteratorIjlEEPS9_SE_NS0_5tupleIJPjSE_EEENSF_IJSE_SE_EEES9_SG_JZNS1_25segmented_radix_sort_implINS0_14default_configELb0EPKiPiPKlPlN2at6native12_GLOBAL__N_18offset_tEEE10hipError_tPvRmT1_PNSt15iterator_traitsISY_E10value_typeET2_T3_PNSZ_IS14_E10value_typeET4_jRbjT5_S1A_jjP12ihipStream_tbEUljE_EEESV_SW_SX_S14_S18_S1A_T6_T7_T9_mT8_S1C_bDpT10_ENKUlT_T0_E_clISt17integral_constantIbLb0EES1P_EEDaS1K_S1L_EUlS1K_E_NS1_11comp_targetILNS1_3genE9ELNS1_11target_archE1100ELNS1_3gpuE3ELNS1_3repE0EEENS1_30default_config_static_selectorELNS0_4arch9wavefront6targetE0EEEvSY_,"axG",@progbits,_ZN7rocprim17ROCPRIM_400000_NS6detail17trampoline_kernelINS0_13select_configILj256ELj13ELNS0_17block_load_methodE3ELS4_3ELS4_3ELNS0_20block_scan_algorithmE0ELj4294967295EEENS1_25partition_config_selectorILNS1_17partition_subalgoE3EjNS0_10empty_typeEbEEZZNS1_14partition_implILS8_3ELb0ES6_jNS0_17counting_iteratorIjlEEPS9_SE_NS0_5tupleIJPjSE_EEENSF_IJSE_SE_EEES9_SG_JZNS1_25segmented_radix_sort_implINS0_14default_configELb0EPKiPiPKlPlN2at6native12_GLOBAL__N_18offset_tEEE10hipError_tPvRmT1_PNSt15iterator_traitsISY_E10value_typeET2_T3_PNSZ_IS14_E10value_typeET4_jRbjT5_S1A_jjP12ihipStream_tbEUljE_EEESV_SW_SX_S14_S18_S1A_T6_T7_T9_mT8_S1C_bDpT10_ENKUlT_T0_E_clISt17integral_constantIbLb0EES1P_EEDaS1K_S1L_EUlS1K_E_NS1_11comp_targetILNS1_3genE9ELNS1_11target_archE1100ELNS1_3gpuE3ELNS1_3repE0EEENS1_30default_config_static_selectorELNS0_4arch9wavefront6targetE0EEEvSY_,comdat
	.globl	_ZN7rocprim17ROCPRIM_400000_NS6detail17trampoline_kernelINS0_13select_configILj256ELj13ELNS0_17block_load_methodE3ELS4_3ELS4_3ELNS0_20block_scan_algorithmE0ELj4294967295EEENS1_25partition_config_selectorILNS1_17partition_subalgoE3EjNS0_10empty_typeEbEEZZNS1_14partition_implILS8_3ELb0ES6_jNS0_17counting_iteratorIjlEEPS9_SE_NS0_5tupleIJPjSE_EEENSF_IJSE_SE_EEES9_SG_JZNS1_25segmented_radix_sort_implINS0_14default_configELb0EPKiPiPKlPlN2at6native12_GLOBAL__N_18offset_tEEE10hipError_tPvRmT1_PNSt15iterator_traitsISY_E10value_typeET2_T3_PNSZ_IS14_E10value_typeET4_jRbjT5_S1A_jjP12ihipStream_tbEUljE_EEESV_SW_SX_S14_S18_S1A_T6_T7_T9_mT8_S1C_bDpT10_ENKUlT_T0_E_clISt17integral_constantIbLb0EES1P_EEDaS1K_S1L_EUlS1K_E_NS1_11comp_targetILNS1_3genE9ELNS1_11target_archE1100ELNS1_3gpuE3ELNS1_3repE0EEENS1_30default_config_static_selectorELNS0_4arch9wavefront6targetE0EEEvSY_ ; -- Begin function _ZN7rocprim17ROCPRIM_400000_NS6detail17trampoline_kernelINS0_13select_configILj256ELj13ELNS0_17block_load_methodE3ELS4_3ELS4_3ELNS0_20block_scan_algorithmE0ELj4294967295EEENS1_25partition_config_selectorILNS1_17partition_subalgoE3EjNS0_10empty_typeEbEEZZNS1_14partition_implILS8_3ELb0ES6_jNS0_17counting_iteratorIjlEEPS9_SE_NS0_5tupleIJPjSE_EEENSF_IJSE_SE_EEES9_SG_JZNS1_25segmented_radix_sort_implINS0_14default_configELb0EPKiPiPKlPlN2at6native12_GLOBAL__N_18offset_tEEE10hipError_tPvRmT1_PNSt15iterator_traitsISY_E10value_typeET2_T3_PNSZ_IS14_E10value_typeET4_jRbjT5_S1A_jjP12ihipStream_tbEUljE_EEESV_SW_SX_S14_S18_S1A_T6_T7_T9_mT8_S1C_bDpT10_ENKUlT_T0_E_clISt17integral_constantIbLb0EES1P_EEDaS1K_S1L_EUlS1K_E_NS1_11comp_targetILNS1_3genE9ELNS1_11target_archE1100ELNS1_3gpuE3ELNS1_3repE0EEENS1_30default_config_static_selectorELNS0_4arch9wavefront6targetE0EEEvSY_
	.p2align	8
	.type	_ZN7rocprim17ROCPRIM_400000_NS6detail17trampoline_kernelINS0_13select_configILj256ELj13ELNS0_17block_load_methodE3ELS4_3ELS4_3ELNS0_20block_scan_algorithmE0ELj4294967295EEENS1_25partition_config_selectorILNS1_17partition_subalgoE3EjNS0_10empty_typeEbEEZZNS1_14partition_implILS8_3ELb0ES6_jNS0_17counting_iteratorIjlEEPS9_SE_NS0_5tupleIJPjSE_EEENSF_IJSE_SE_EEES9_SG_JZNS1_25segmented_radix_sort_implINS0_14default_configELb0EPKiPiPKlPlN2at6native12_GLOBAL__N_18offset_tEEE10hipError_tPvRmT1_PNSt15iterator_traitsISY_E10value_typeET2_T3_PNSZ_IS14_E10value_typeET4_jRbjT5_S1A_jjP12ihipStream_tbEUljE_EEESV_SW_SX_S14_S18_S1A_T6_T7_T9_mT8_S1C_bDpT10_ENKUlT_T0_E_clISt17integral_constantIbLb0EES1P_EEDaS1K_S1L_EUlS1K_E_NS1_11comp_targetILNS1_3genE9ELNS1_11target_archE1100ELNS1_3gpuE3ELNS1_3repE0EEENS1_30default_config_static_selectorELNS0_4arch9wavefront6targetE0EEEvSY_,@function
_ZN7rocprim17ROCPRIM_400000_NS6detail17trampoline_kernelINS0_13select_configILj256ELj13ELNS0_17block_load_methodE3ELS4_3ELS4_3ELNS0_20block_scan_algorithmE0ELj4294967295EEENS1_25partition_config_selectorILNS1_17partition_subalgoE3EjNS0_10empty_typeEbEEZZNS1_14partition_implILS8_3ELb0ES6_jNS0_17counting_iteratorIjlEEPS9_SE_NS0_5tupleIJPjSE_EEENSF_IJSE_SE_EEES9_SG_JZNS1_25segmented_radix_sort_implINS0_14default_configELb0EPKiPiPKlPlN2at6native12_GLOBAL__N_18offset_tEEE10hipError_tPvRmT1_PNSt15iterator_traitsISY_E10value_typeET2_T3_PNSZ_IS14_E10value_typeET4_jRbjT5_S1A_jjP12ihipStream_tbEUljE_EEESV_SW_SX_S14_S18_S1A_T6_T7_T9_mT8_S1C_bDpT10_ENKUlT_T0_E_clISt17integral_constantIbLb0EES1P_EEDaS1K_S1L_EUlS1K_E_NS1_11comp_targetILNS1_3genE9ELNS1_11target_archE1100ELNS1_3gpuE3ELNS1_3repE0EEENS1_30default_config_static_selectorELNS0_4arch9wavefront6targetE0EEEvSY_: ; @_ZN7rocprim17ROCPRIM_400000_NS6detail17trampoline_kernelINS0_13select_configILj256ELj13ELNS0_17block_load_methodE3ELS4_3ELS4_3ELNS0_20block_scan_algorithmE0ELj4294967295EEENS1_25partition_config_selectorILNS1_17partition_subalgoE3EjNS0_10empty_typeEbEEZZNS1_14partition_implILS8_3ELb0ES6_jNS0_17counting_iteratorIjlEEPS9_SE_NS0_5tupleIJPjSE_EEENSF_IJSE_SE_EEES9_SG_JZNS1_25segmented_radix_sort_implINS0_14default_configELb0EPKiPiPKlPlN2at6native12_GLOBAL__N_18offset_tEEE10hipError_tPvRmT1_PNSt15iterator_traitsISY_E10value_typeET2_T3_PNSZ_IS14_E10value_typeET4_jRbjT5_S1A_jjP12ihipStream_tbEUljE_EEESV_SW_SX_S14_S18_S1A_T6_T7_T9_mT8_S1C_bDpT10_ENKUlT_T0_E_clISt17integral_constantIbLb0EES1P_EEDaS1K_S1L_EUlS1K_E_NS1_11comp_targetILNS1_3genE9ELNS1_11target_archE1100ELNS1_3gpuE3ELNS1_3repE0EEENS1_30default_config_static_selectorELNS0_4arch9wavefront6targetE0EEEvSY_
; %bb.0:
	s_clause 0x5
	s_load_b32 s2, s[0:1], 0x70
	s_load_b64 s[16:17], s[0:1], 0x10
	s_load_b64 s[12:13], s[0:1], 0x58
	s_load_b32 s18, s[0:1], 0x8
	s_load_b128 s[8:11], s[0:1], 0x48
	s_load_b128 s[4:7], s[0:1], 0x78
	s_mul_i32 s23, s15, 0xd00
	v_lshlrev_b32_e32 v30, 2, v0
	s_waitcnt lgkmcnt(0)
	s_mul_i32 s20, s2, 0xd00
	s_add_i32 s19, s2, -1
	s_add_u32 s2, s16, s20
	s_addc_u32 s3, s17, 0
	s_cmp_eq_u32 s15, s19
	v_cmp_lt_u64_e64 s3, s[2:3], s[12:13]
	s_cselect_b32 s14, -1, 0
	s_cmp_lg_u32 s15, s19
	s_cselect_b32 s21, -1, 0
	s_add_i32 s2, s18, s23
	s_delay_alu instid0(VALU_DEP_1)
	s_or_b32 s3, s21, s3
	s_add_i32 s18, s2, s16
	s_load_b32 s2, s[0:1], 0x88
	v_add_nc_u32_e32 v1, s18, v0
	s_load_b64 s[18:19], s[10:11], 0x0
	s_and_b32 vcc_lo, exec_lo, s3
	s_mov_b32 s10, -1
	s_delay_alu instid0(VALU_DEP_1)
	v_add_nc_u32_e32 v2, 0x100, v1
	v_add_nc_u32_e32 v3, 0x200, v1
	;; [unrolled: 1-line block ×12, first 2 shown]
	s_cbranch_vccz .LBB574_2
; %bb.1:
	ds_store_2addr_stride64_b32 v30, v1, v2 offset1:4
	ds_store_2addr_stride64_b32 v30, v3, v4 offset0:8 offset1:12
	ds_store_2addr_stride64_b32 v30, v5, v6 offset0:16 offset1:20
	;; [unrolled: 1-line block ×5, first 2 shown]
	ds_store_b32 v30, v13 offset:12288
	s_waitcnt lgkmcnt(0)
	s_mov_b32 s10, 0
	s_barrier
.LBB574_2:
	s_and_not1_b32 vcc_lo, exec_lo, s10
	s_add_i32 s20, s20, s16
	s_cbranch_vccnz .LBB574_4
; %bb.3:
	ds_store_2addr_stride64_b32 v30, v1, v2 offset1:4
	ds_store_2addr_stride64_b32 v30, v3, v4 offset0:8 offset1:12
	ds_store_2addr_stride64_b32 v30, v5, v6 offset0:16 offset1:20
	;; [unrolled: 1-line block ×5, first 2 shown]
	ds_store_b32 v30, v13 offset:12288
	s_waitcnt lgkmcnt(0)
	s_barrier
.LBB574_4:
	v_mul_u32_u24_e32 v33, 13, v0
	s_waitcnt lgkmcnt(0)
	buffer_gl0_inv
	v_cndmask_b32_e64 v31, 0, 1, s3
	s_sub_i32 s22, s12, s20
	s_and_not1_b32 vcc_lo, exec_lo, s3
	v_lshlrev_b32_e32 v1, 2, v33
	ds_load_2addr_b32 v[28:29], v1 offset1:1
	ds_load_2addr_b32 v[26:27], v1 offset0:2 offset1:3
	ds_load_2addr_b32 v[24:25], v1 offset0:4 offset1:5
	;; [unrolled: 1-line block ×5, first 2 shown]
	ds_load_b32 v32, v1 offset:48
	s_waitcnt lgkmcnt(0)
	s_barrier
	buffer_gl0_inv
	s_cbranch_vccnz .LBB574_6
; %bb.5:
	v_add_nc_u32_e32 v1, s5, v28
	v_add_nc_u32_e32 v2, s7, v28
	;; [unrolled: 1-line block ×5, first 2 shown]
	v_mul_lo_u32 v1, v1, s4
	v_mul_lo_u32 v2, v2, s6
	;; [unrolled: 1-line block ×4, first 2 shown]
	v_add_nc_u32_e32 v6, s7, v26
	v_add_nc_u32_e32 v7, s5, v27
	;; [unrolled: 1-line block ×3, first 2 shown]
	v_mul_lo_u32 v5, v5, s4
	v_add_nc_u32_e32 v9, s5, v22
	v_sub_nc_u32_e32 v1, v1, v2
	v_mul_lo_u32 v2, v6, s6
	v_sub_nc_u32_e32 v3, v3, v4
	v_mul_lo_u32 v4, v7, s4
	v_mul_lo_u32 v6, v8, s6
	v_add_nc_u32_e32 v7, s5, v24
	v_cmp_lt_u32_e32 vcc_lo, s2, v1
	v_add_nc_u32_e32 v8, s5, v25
	v_add_nc_u32_e32 v10, s7, v22
	v_sub_nc_u32_e32 v2, v5, v2
	v_add_nc_u32_e32 v5, s7, v24
	v_cndmask_b32_e64 v1, 0, 1, vcc_lo
	v_sub_nc_u32_e32 v4, v4, v6
	v_mul_lo_u32 v6, v7, s4
	v_add_nc_u32_e32 v7, s7, v25
	v_cmp_lt_u32_e32 vcc_lo, s2, v3
	v_mul_lo_u32 v5, v5, s6
	v_mul_lo_u32 v8, v8, s4
	;; [unrolled: 1-line block ×4, first 2 shown]
	v_cndmask_b32_e64 v3, 0, 1, vcc_lo
	v_cmp_lt_u32_e32 vcc_lo, s2, v2
	v_mul_lo_u32 v10, v10, s6
	v_add_nc_u32_e32 v11, s5, v20
	v_sub_nc_u32_e32 v5, v6, v5
	v_add_nc_u32_e32 v12, s7, v20
	v_cndmask_b32_e64 v2, 0, 1, vcc_lo
	v_sub_nc_u32_e32 v6, v8, v7
	v_add_nc_u32_e32 v7, s5, v23
	v_add_nc_u32_e32 v8, s7, v23
	v_cmp_lt_u32_e32 vcc_lo, s2, v4
	v_sub_nc_u32_e32 v9, v9, v10
	v_mul_lo_u32 v10, v11, s4
	v_mul_lo_u32 v7, v7, s4
	;; [unrolled: 1-line block ×4, first 2 shown]
	v_cndmask_b32_e64 v4, 0, 1, vcc_lo
	v_cmp_lt_u32_e32 vcc_lo, s2, v5
	v_add_nc_u32_e32 v12, s5, v21
	v_add_nc_u32_e32 v13, s7, v18
	;; [unrolled: 1-line block ×4, first 2 shown]
	v_cndmask_b32_e64 v5, 0, 1, vcc_lo
	v_cmp_lt_u32_e32 vcc_lo, s2, v6
	v_sub_nc_u32_e32 v7, v7, v8
	v_sub_nc_u32_e32 v8, v10, v11
	v_add_nc_u32_e32 v11, s7, v21
	v_mul_lo_u32 v10, v12, s4
	v_cndmask_b32_e64 v6, 0, 1, vcc_lo
	v_cmp_lt_u32_e32 vcc_lo, s2, v9
	v_add_nc_u32_e32 v12, s5, v18
	v_mul_lo_u32 v11, v11, s6
	v_mul_lo_u32 v13, v13, s6
	;; [unrolled: 1-line block ×3, first 2 shown]
	v_cndmask_b32_e64 v9, 0, 1, vcc_lo
	v_cmp_lt_u32_e32 vcc_lo, s2, v7
	v_mul_lo_u32 v12, v12, s4
	v_mul_lo_u32 v15, v15, s6
	v_lshlrev_b16 v3, 8, v3
	v_sub_nc_u32_e32 v10, v10, v11
	v_cndmask_b32_e64 v7, 0, 1, vcc_lo
	v_cmp_lt_u32_e32 vcc_lo, s2, v8
	v_add_nc_u32_e32 v11, s5, v32
	v_or_b32_e32 v1, v1, v3
	v_sub_nc_u32_e32 v12, v12, v13
	v_sub_nc_u32_e32 v13, v14, v15
	v_cndmask_b32_e64 v8, 0, 1, vcc_lo
	v_cmp_lt_u32_e32 vcc_lo, s2, v10
	v_add_nc_u32_e32 v16, s7, v32
	v_mul_lo_u32 v11, v11, s4
	v_lshlrev_b16 v4, 8, v4
	v_lshlrev_b16 v6, 8, v6
	v_cndmask_b32_e64 v10, 0, 1, vcc_lo
	v_cmp_lt_u32_e32 vcc_lo, s2, v12
	v_mul_lo_u32 v14, v16, s6
	v_lshlrev_b16 v7, 8, v7
	v_or_b32_e32 v2, v2, v4
	v_lshlrev_b16 v10, 8, v10
	v_cndmask_b32_e64 v3, 0, 1, vcc_lo
	v_cmp_lt_u32_e32 vcc_lo, s2, v13
	v_or_b32_e32 v4, v5, v6
	v_or_b32_e32 v5, v9, v7
	v_sub_nc_u32_e32 v11, v11, v14
	v_or_b32_e32 v6, v8, v10
	v_cndmask_b32_e64 v12, 0, 1, vcc_lo
	v_and_b32_e32 v1, 0xffff, v1
	v_lshlrev_b32_e32 v2, 16, v2
	v_and_b32_e32 v4, 0xffff, v4
	v_lshlrev_b32_e32 v5, 16, v5
	v_lshlrev_b16 v12, 8, v12
	v_and_b32_e32 v6, 0xffff, v6
	v_cmp_lt_u32_e32 vcc_lo, s2, v11
	v_or_b32_e32 v39, v1, v2
	v_or_b32_e32 v37, v4, v5
	;; [unrolled: 1-line block ×3, first 2 shown]
	s_mov_b32 s3, 0
	v_cndmask_b32_e64 v34, 0, 1, vcc_lo
	s_delay_alu instid0(VALU_DEP_2) | instskip(NEXT) | instid1(VALU_DEP_1)
	v_lshlrev_b32_e32 v3, 16, v3
	v_or_b32_e32 v35, v6, v3
	s_branch .LBB574_7
.LBB574_6:
	s_mov_b32 s3, -1
                                        ; implicit-def: $vgpr34
                                        ; implicit-def: $vgpr35
                                        ; implicit-def: $vgpr37
                                        ; implicit-def: $vgpr39
.LBB574_7:
	s_clause 0x1
	s_load_b64 s[10:11], s[0:1], 0x28
	s_load_b64 s[20:21], s[0:1], 0x68
	s_and_not1_b32 vcc_lo, exec_lo, s3
	s_addk_i32 s22, 0xd00
	s_cbranch_vccnz .LBB574_35
; %bb.8:
	v_dual_mov_b32 v2, 0 :: v_dual_mov_b32 v1, 0
	s_mov_b32 s0, exec_lo
	v_cmpx_gt_u32_e64 s22, v33
; %bb.9:
	v_add_nc_u32_e32 v1, s5, v28
	v_add_nc_u32_e32 v3, s7, v28
	s_delay_alu instid0(VALU_DEP_2) | instskip(NEXT) | instid1(VALU_DEP_2)
	v_mul_lo_u32 v1, v1, s4
	v_mul_lo_u32 v3, v3, s6
	s_delay_alu instid0(VALU_DEP_1) | instskip(NEXT) | instid1(VALU_DEP_1)
	v_sub_nc_u32_e32 v1, v1, v3
	v_cmp_lt_u32_e32 vcc_lo, s2, v1
	v_cndmask_b32_e64 v1, 0, 1, vcc_lo
; %bb.10:
	s_or_b32 exec_lo, exec_lo, s0
	v_add_nc_u32_e32 v3, 1, v33
	s_mov_b32 s0, exec_lo
	s_delay_alu instid0(VALU_DEP_1)
	v_cmpx_gt_u32_e64 s22, v3
; %bb.11:
	v_add_nc_u32_e32 v2, s5, v29
	v_add_nc_u32_e32 v3, s7, v29
	s_delay_alu instid0(VALU_DEP_2) | instskip(NEXT) | instid1(VALU_DEP_2)
	v_mul_lo_u32 v2, v2, s4
	v_mul_lo_u32 v3, v3, s6
	s_delay_alu instid0(VALU_DEP_1) | instskip(NEXT) | instid1(VALU_DEP_1)
	v_sub_nc_u32_e32 v2, v2, v3
	v_cmp_lt_u32_e32 vcc_lo, s2, v2
	v_cndmask_b32_e64 v2, 0, 1, vcc_lo
; %bb.12:
	s_or_b32 exec_lo, exec_lo, s0
	v_dual_mov_b32 v4, 0 :: v_dual_add_nc_u32 v3, 2, v33
	s_delay_alu instid0(VALU_DEP_1)
	v_cmp_gt_u32_e32 vcc_lo, s22, v3
	v_mov_b32_e32 v3, 0
	s_and_saveexec_b32 s0, vcc_lo
; %bb.13:
	v_add_nc_u32_e32 v3, s5, v26
	v_add_nc_u32_e32 v5, s7, v26
	s_delay_alu instid0(VALU_DEP_2) | instskip(NEXT) | instid1(VALU_DEP_2)
	v_mul_lo_u32 v3, v3, s4
	v_mul_lo_u32 v5, v5, s6
	s_delay_alu instid0(VALU_DEP_1) | instskip(NEXT) | instid1(VALU_DEP_1)
	v_sub_nc_u32_e32 v3, v3, v5
	v_cmp_lt_u32_e32 vcc_lo, s2, v3
	v_cndmask_b32_e64 v3, 0, 1, vcc_lo
; %bb.14:
	s_or_b32 exec_lo, exec_lo, s0
	v_add_nc_u32_e32 v5, 3, v33
	s_mov_b32 s0, exec_lo
	s_delay_alu instid0(VALU_DEP_1)
	v_cmpx_gt_u32_e64 s22, v5
; %bb.15:
	v_add_nc_u32_e32 v4, s5, v27
	v_add_nc_u32_e32 v5, s7, v27
	s_delay_alu instid0(VALU_DEP_2) | instskip(NEXT) | instid1(VALU_DEP_2)
	v_mul_lo_u32 v4, v4, s4
	v_mul_lo_u32 v5, v5, s6
	s_delay_alu instid0(VALU_DEP_1) | instskip(NEXT) | instid1(VALU_DEP_1)
	v_sub_nc_u32_e32 v4, v4, v5
	v_cmp_lt_u32_e32 vcc_lo, s2, v4
	v_cndmask_b32_e64 v4, 0, 1, vcc_lo
; %bb.16:
	s_or_b32 exec_lo, exec_lo, s0
	v_dual_mov_b32 v6, 0 :: v_dual_add_nc_u32 v5, 4, v33
	s_delay_alu instid0(VALU_DEP_1)
	v_cmp_gt_u32_e32 vcc_lo, s22, v5
	v_mov_b32_e32 v5, 0
	s_and_saveexec_b32 s0, vcc_lo
	;; [unrolled: 33-line block ×5, first 2 shown]
; %bb.29:
	v_add_nc_u32_e32 v11, s5, v18
	v_add_nc_u32_e32 v13, s7, v18
	s_delay_alu instid0(VALU_DEP_2) | instskip(NEXT) | instid1(VALU_DEP_2)
	v_mul_lo_u32 v11, v11, s4
	v_mul_lo_u32 v13, v13, s6
	s_delay_alu instid0(VALU_DEP_1) | instskip(NEXT) | instid1(VALU_DEP_1)
	v_sub_nc_u32_e32 v11, v11, v13
	v_cmp_lt_u32_e32 vcc_lo, s2, v11
	v_cndmask_b32_e64 v11, 0, 1, vcc_lo
; %bb.30:
	s_or_b32 exec_lo, exec_lo, s0
	v_add_nc_u32_e32 v13, 11, v33
	s_mov_b32 s0, exec_lo
	s_delay_alu instid0(VALU_DEP_1)
	v_cmpx_gt_u32_e64 s22, v13
; %bb.31:
	v_add_nc_u32_e32 v12, s5, v19
	v_add_nc_u32_e32 v13, s7, v19
	s_delay_alu instid0(VALU_DEP_2) | instskip(NEXT) | instid1(VALU_DEP_2)
	v_mul_lo_u32 v12, v12, s4
	v_mul_lo_u32 v13, v13, s6
	s_delay_alu instid0(VALU_DEP_1) | instskip(NEXT) | instid1(VALU_DEP_1)
	v_sub_nc_u32_e32 v12, v12, v13
	v_cmp_lt_u32_e32 vcc_lo, s2, v12
	v_cndmask_b32_e64 v12, 0, 1, vcc_lo
; %bb.32:
	s_or_b32 exec_lo, exec_lo, s0
	v_dual_mov_b32 v34, 0 :: v_dual_add_nc_u32 v13, 12, v33
	s_mov_b32 s0, exec_lo
	s_delay_alu instid0(VALU_DEP_1)
	v_cmpx_gt_u32_e64 s22, v13
; %bb.33:
	v_add_nc_u32_e32 v13, s5, v32
	v_add_nc_u32_e32 v14, s7, v32
	s_delay_alu instid0(VALU_DEP_2) | instskip(NEXT) | instid1(VALU_DEP_2)
	v_mul_lo_u32 v13, v13, s4
	v_mul_lo_u32 v14, v14, s6
	s_delay_alu instid0(VALU_DEP_1) | instskip(NEXT) | instid1(VALU_DEP_1)
	v_sub_nc_u32_e32 v13, v13, v14
	v_cmp_lt_u32_e32 vcc_lo, s2, v13
	v_cndmask_b32_e64 v34, 0, 1, vcc_lo
; %bb.34:
	s_or_b32 exec_lo, exec_lo, s0
	v_lshlrev_b16 v2, 8, v2
	v_lshlrev_b16 v4, 8, v4
	;; [unrolled: 1-line block ×5, first 2 shown]
	v_or_b32_e32 v1, v1, v2
	v_lshlrev_b16 v2, 8, v12
	v_or_b32_e32 v3, v3, v4
	v_or_b32_e32 v4, v5, v6
	;; [unrolled: 1-line block ×5, first 2 shown]
	v_and_b32_e32 v1, 0xffff, v1
	v_lshlrev_b32_e32 v3, 16, v3
	v_and_b32_e32 v4, 0xffff, v4
	v_lshlrev_b32_e32 v5, 16, v5
	;; [unrolled: 2-line block ×3, first 2 shown]
	v_or_b32_e32 v39, v1, v3
	s_delay_alu instid0(VALU_DEP_4) | instskip(NEXT) | instid1(VALU_DEP_3)
	v_or_b32_e32 v37, v4, v5
	v_or_b32_e32 v35, v6, v2
.LBB574_35:
	s_delay_alu instid0(VALU_DEP_3)
	v_and_b32_e32 v41, 0xff, v39
	v_bfe_u32 v42, v39, 8, 8
	v_bfe_u32 v43, v39, 16, 8
	v_lshrrev_b32_e32 v40, 24, v39
	v_and_b32_e32 v44, 0xff, v37
	v_bfe_u32 v45, v37, 8, 8
	v_bfe_u32 v46, v37, 16, 8
	v_add3_u32 v1, v42, v41, v43
	v_lshrrev_b32_e32 v38, 24, v37
	v_and_b32_e32 v47, 0xff, v35
	v_bfe_u32 v48, v35, 8, 8
	v_mbcnt_lo_u32_b32 v50, -1, 0
	v_add3_u32 v1, v1, v40, v44
	v_bfe_u32 v49, v35, 16, 8
	v_lshrrev_b32_e32 v36, 24, v35
	v_and_b32_e32 v2, 0xff, v34
	v_and_b32_e32 v3, 15, v50
	v_add3_u32 v1, v1, v45, v46
	v_or_b32_e32 v4, 31, v0
	v_and_b32_e32 v5, 16, v50
	v_lshrrev_b32_e32 v51, 5, v0
	v_cmp_eq_u32_e64 s5, 0, v3
	v_add3_u32 v1, v1, v38, v47
	v_cmp_lt_u32_e64 s4, 1, v3
	v_cmp_lt_u32_e64 s3, 3, v3
	;; [unrolled: 1-line block ×3, first 2 shown]
	v_cmp_eq_u32_e64 s1, 0, v5
	v_add3_u32 v1, v1, v48, v49
	v_cmp_eq_u32_e64 s0, v4, v0
	s_cmp_lg_u32 s15, 0
	s_mov_b32 s6, -1
	s_delay_alu instid0(VALU_DEP_2)
	v_add3_u32 v52, v1, v36, v2
	s_cbranch_scc0 .LBB574_61
; %bb.36:
	s_delay_alu instid0(VALU_DEP_1) | instskip(NEXT) | instid1(VALU_DEP_1)
	v_mov_b32_dpp v1, v52 row_shr:1 row_mask:0xf bank_mask:0xf
	v_cndmask_b32_e64 v1, v1, 0, s5
	s_delay_alu instid0(VALU_DEP_1) | instskip(NEXT) | instid1(VALU_DEP_1)
	v_add_nc_u32_e32 v1, v1, v52
	v_mov_b32_dpp v2, v1 row_shr:2 row_mask:0xf bank_mask:0xf
	s_delay_alu instid0(VALU_DEP_1) | instskip(NEXT) | instid1(VALU_DEP_1)
	v_cndmask_b32_e64 v2, 0, v2, s4
	v_add_nc_u32_e32 v1, v1, v2
	s_delay_alu instid0(VALU_DEP_1) | instskip(NEXT) | instid1(VALU_DEP_1)
	v_mov_b32_dpp v2, v1 row_shr:4 row_mask:0xf bank_mask:0xf
	v_cndmask_b32_e64 v2, 0, v2, s3
	s_delay_alu instid0(VALU_DEP_1) | instskip(NEXT) | instid1(VALU_DEP_1)
	v_add_nc_u32_e32 v1, v1, v2
	v_mov_b32_dpp v2, v1 row_shr:8 row_mask:0xf bank_mask:0xf
	s_delay_alu instid0(VALU_DEP_1) | instskip(NEXT) | instid1(VALU_DEP_1)
	v_cndmask_b32_e64 v2, 0, v2, s2
	v_add_nc_u32_e32 v1, v1, v2
	ds_swizzle_b32 v2, v1 offset:swizzle(BROADCAST,32,15)
	s_waitcnt lgkmcnt(0)
	v_cndmask_b32_e64 v2, v2, 0, s1
	s_delay_alu instid0(VALU_DEP_1)
	v_add_nc_u32_e32 v1, v1, v2
	s_and_saveexec_b32 s6, s0
	s_cbranch_execz .LBB574_38
; %bb.37:
	v_lshlrev_b32_e32 v2, 2, v51
	ds_store_b32 v2, v1
.LBB574_38:
	s_or_b32 exec_lo, exec_lo, s6
	s_delay_alu instid0(SALU_CYCLE_1)
	s_mov_b32 s6, exec_lo
	s_waitcnt lgkmcnt(0)
	s_barrier
	buffer_gl0_inv
	v_cmpx_gt_u32_e32 8, v0
	s_cbranch_execz .LBB574_40
; %bb.39:
	ds_load_b32 v2, v30
	s_waitcnt lgkmcnt(0)
	v_mov_b32_dpp v4, v2 row_shr:1 row_mask:0xf bank_mask:0xf
	v_and_b32_e32 v3, 7, v50
	s_delay_alu instid0(VALU_DEP_1) | instskip(NEXT) | instid1(VALU_DEP_3)
	v_cmp_ne_u32_e32 vcc_lo, 0, v3
	v_cndmask_b32_e32 v4, 0, v4, vcc_lo
	v_cmp_lt_u32_e32 vcc_lo, 1, v3
	s_delay_alu instid0(VALU_DEP_2) | instskip(NEXT) | instid1(VALU_DEP_1)
	v_add_nc_u32_e32 v2, v4, v2
	v_mov_b32_dpp v4, v2 row_shr:2 row_mask:0xf bank_mask:0xf
	s_delay_alu instid0(VALU_DEP_1) | instskip(SKIP_1) | instid1(VALU_DEP_2)
	v_cndmask_b32_e32 v4, 0, v4, vcc_lo
	v_cmp_lt_u32_e32 vcc_lo, 3, v3
	v_add_nc_u32_e32 v2, v2, v4
	s_delay_alu instid0(VALU_DEP_1) | instskip(NEXT) | instid1(VALU_DEP_1)
	v_mov_b32_dpp v4, v2 row_shr:4 row_mask:0xf bank_mask:0xf
	v_cndmask_b32_e32 v3, 0, v4, vcc_lo
	s_delay_alu instid0(VALU_DEP_1)
	v_add_nc_u32_e32 v2, v2, v3
	ds_store_b32 v30, v2
.LBB574_40:
	s_or_b32 exec_lo, exec_lo, s6
	v_cmp_gt_u32_e32 vcc_lo, 32, v0
	s_mov_b32 s7, exec_lo
	s_waitcnt lgkmcnt(0)
	s_barrier
	buffer_gl0_inv
                                        ; implicit-def: $vgpr8
	v_cmpx_lt_u32_e32 31, v0
	s_cbranch_execz .LBB574_42
; %bb.41:
	v_lshl_add_u32 v2, v51, 2, -4
	ds_load_b32 v8, v2
	s_waitcnt lgkmcnt(0)
	v_add_nc_u32_e32 v1, v8, v1
.LBB574_42:
	s_or_b32 exec_lo, exec_lo, s7
	v_add_nc_u32_e32 v2, -1, v50
	s_delay_alu instid0(VALU_DEP_1) | instskip(NEXT) | instid1(VALU_DEP_1)
	v_cmp_gt_i32_e64 s6, 0, v2
	v_cndmask_b32_e64 v2, v2, v50, s6
	v_cmp_eq_u32_e64 s6, 0, v50
	s_delay_alu instid0(VALU_DEP_2)
	v_lshlrev_b32_e32 v2, 2, v2
	ds_bpermute_b32 v9, v2, v1
	s_and_saveexec_b32 s7, vcc_lo
	s_cbranch_execz .LBB574_60
; %bb.43:
	v_mov_b32_e32 v4, 0
	ds_load_b32 v1, v4 offset:28
	s_and_saveexec_b32 s24, s6
	s_cbranch_execz .LBB574_45
; %bb.44:
	s_add_i32 s26, s15, 32
	s_mov_b32 s27, 0
	v_mov_b32_e32 v2, 1
	s_lshl_b64 s[26:27], s[26:27], 3
	s_delay_alu instid0(SALU_CYCLE_1)
	s_add_u32 s26, s20, s26
	s_addc_u32 s27, s21, s27
	s_waitcnt lgkmcnt(0)
	global_store_b64 v4, v[1:2], s[26:27]
.LBB574_45:
	s_or_b32 exec_lo, exec_lo, s24
	v_xad_u32 v2, v50, -1, s15
	s_mov_b32 s25, 0
	s_mov_b32 s24, exec_lo
	s_delay_alu instid0(VALU_DEP_1) | instskip(NEXT) | instid1(VALU_DEP_1)
	v_add_nc_u32_e32 v3, 32, v2
	v_lshlrev_b64 v[3:4], 3, v[3:4]
	s_delay_alu instid0(VALU_DEP_1) | instskip(NEXT) | instid1(VALU_DEP_2)
	v_add_co_u32 v6, vcc_lo, s20, v3
	v_add_co_ci_u32_e32 v7, vcc_lo, s21, v4, vcc_lo
	global_load_b64 v[4:5], v[6:7], off glc
	s_waitcnt vmcnt(0)
	v_and_b32_e32 v3, 0xff, v5
	s_delay_alu instid0(VALU_DEP_1)
	v_cmpx_eq_u16_e32 0, v3
	s_cbranch_execz .LBB574_48
.LBB574_46:                             ; =>This Inner Loop Header: Depth=1
	global_load_b64 v[4:5], v[6:7], off glc
	s_waitcnt vmcnt(0)
	v_and_b32_e32 v3, 0xff, v5
	s_delay_alu instid0(VALU_DEP_1) | instskip(SKIP_1) | instid1(SALU_CYCLE_1)
	v_cmp_ne_u16_e32 vcc_lo, 0, v3
	s_or_b32 s25, vcc_lo, s25
	s_and_not1_b32 exec_lo, exec_lo, s25
	s_cbranch_execnz .LBB574_46
; %bb.47:
	s_or_b32 exec_lo, exec_lo, s25
.LBB574_48:
	s_delay_alu instid0(SALU_CYCLE_1)
	s_or_b32 exec_lo, exec_lo, s24
	v_cmp_ne_u32_e32 vcc_lo, 31, v50
	v_lshlrev_b32_e64 v11, v50, -1
	v_add_nc_u32_e32 v13, 2, v50
	v_add_nc_u32_e32 v16, 4, v50
	;; [unrolled: 1-line block ×3, first 2 shown]
	v_add_co_ci_u32_e32 v3, vcc_lo, 0, v50, vcc_lo
	v_add_nc_u32_e32 v55, 16, v50
	s_delay_alu instid0(VALU_DEP_2) | instskip(SKIP_2) | instid1(VALU_DEP_1)
	v_lshlrev_b32_e32 v10, 2, v3
	ds_bpermute_b32 v6, v10, v4
	v_and_b32_e32 v3, 0xff, v5
	v_cmp_eq_u16_e32 vcc_lo, 2, v3
	v_and_or_b32 v3, vcc_lo, v11, 0x80000000
	v_cmp_gt_u32_e32 vcc_lo, 30, v50
	s_delay_alu instid0(VALU_DEP_2) | instskip(SKIP_1) | instid1(VALU_DEP_2)
	v_ctz_i32_b32_e32 v3, v3
	v_cndmask_b32_e64 v7, 0, 1, vcc_lo
	v_cmp_lt_u32_e32 vcc_lo, v50, v3
	s_waitcnt lgkmcnt(0)
	s_delay_alu instid0(VALU_DEP_2) | instskip(NEXT) | instid1(VALU_DEP_1)
	v_dual_cndmask_b32 v6, 0, v6 :: v_dual_lshlrev_b32 v7, 1, v7
	v_add_lshl_u32 v12, v7, v50, 2
	v_cmp_gt_u32_e32 vcc_lo, 28, v50
	s_delay_alu instid0(VALU_DEP_3) | instskip(SKIP_4) | instid1(VALU_DEP_1)
	v_add_nc_u32_e32 v4, v6, v4
	v_cndmask_b32_e64 v7, 0, 1, vcc_lo
	v_cmp_le_u32_e32 vcc_lo, v13, v3
	ds_bpermute_b32 v6, v12, v4
	v_lshlrev_b32_e32 v7, 2, v7
	v_add_lshl_u32 v14, v7, v50, 2
	s_waitcnt lgkmcnt(0)
	v_cndmask_b32_e32 v6, 0, v6, vcc_lo
	v_cmp_gt_u32_e32 vcc_lo, 24, v50
	s_delay_alu instid0(VALU_DEP_2) | instskip(SKIP_4) | instid1(VALU_DEP_1)
	v_add_nc_u32_e32 v4, v4, v6
	v_cndmask_b32_e64 v7, 0, 1, vcc_lo
	v_cmp_le_u32_e32 vcc_lo, v16, v3
	ds_bpermute_b32 v6, v14, v4
	v_lshlrev_b32_e32 v7, 3, v7
	v_add_lshl_u32 v17, v7, v50, 2
	s_waitcnt lgkmcnt(0)
	v_cndmask_b32_e32 v6, 0, v6, vcc_lo
	v_cmp_gt_u32_e32 vcc_lo, 16, v50
	s_delay_alu instid0(VALU_DEP_2) | instskip(SKIP_4) | instid1(VALU_DEP_1)
	v_add_nc_u32_e32 v4, v4, v6
	v_cndmask_b32_e64 v7, 0, 1, vcc_lo
	v_cmp_le_u32_e32 vcc_lo, v53, v3
	ds_bpermute_b32 v6, v17, v4
	v_lshlrev_b32_e32 v7, 4, v7
	v_add_lshl_u32 v54, v7, v50, 2
	s_waitcnt lgkmcnt(0)
	v_cndmask_b32_e32 v6, 0, v6, vcc_lo
	v_cmp_le_u32_e32 vcc_lo, v55, v3
	s_delay_alu instid0(VALU_DEP_2) | instskip(SKIP_3) | instid1(VALU_DEP_1)
	v_add_nc_u32_e32 v4, v4, v6
	ds_bpermute_b32 v6, v54, v4
	s_waitcnt lgkmcnt(0)
	v_cndmask_b32_e32 v3, 0, v6, vcc_lo
	v_dual_mov_b32 v3, 0 :: v_dual_add_nc_u32 v4, v4, v3
	s_branch .LBB574_50
.LBB574_49:                             ;   in Loop: Header=BB574_50 Depth=1
	s_or_b32 exec_lo, exec_lo, s24
	ds_bpermute_b32 v7, v10, v4
	v_and_b32_e32 v6, 0xff, v5
	v_subrev_nc_u32_e32 v2, 32, v2
	s_delay_alu instid0(VALU_DEP_2) | instskip(SKIP_1) | instid1(VALU_DEP_1)
	v_cmp_eq_u16_e32 vcc_lo, 2, v6
	v_and_or_b32 v6, vcc_lo, v11, 0x80000000
	v_ctz_i32_b32_e32 v6, v6
	s_delay_alu instid0(VALU_DEP_1) | instskip(SKIP_3) | instid1(VALU_DEP_2)
	v_cmp_lt_u32_e32 vcc_lo, v50, v6
	s_waitcnt lgkmcnt(0)
	v_cndmask_b32_e32 v7, 0, v7, vcc_lo
	v_cmp_le_u32_e32 vcc_lo, v13, v6
	v_add_nc_u32_e32 v4, v7, v4
	ds_bpermute_b32 v7, v12, v4
	s_waitcnt lgkmcnt(0)
	v_cndmask_b32_e32 v7, 0, v7, vcc_lo
	v_cmp_le_u32_e32 vcc_lo, v16, v6
	s_delay_alu instid0(VALU_DEP_2) | instskip(SKIP_4) | instid1(VALU_DEP_2)
	v_add_nc_u32_e32 v4, v4, v7
	ds_bpermute_b32 v7, v14, v4
	s_waitcnt lgkmcnt(0)
	v_cndmask_b32_e32 v7, 0, v7, vcc_lo
	v_cmp_le_u32_e32 vcc_lo, v53, v6
	v_add_nc_u32_e32 v4, v4, v7
	ds_bpermute_b32 v7, v17, v4
	s_waitcnt lgkmcnt(0)
	v_cndmask_b32_e32 v7, 0, v7, vcc_lo
	v_cmp_le_u32_e32 vcc_lo, v55, v6
	s_delay_alu instid0(VALU_DEP_2) | instskip(SKIP_3) | instid1(VALU_DEP_1)
	v_add_nc_u32_e32 v4, v4, v7
	ds_bpermute_b32 v7, v54, v4
	s_waitcnt lgkmcnt(0)
	v_cndmask_b32_e32 v6, 0, v7, vcc_lo
	v_add3_u32 v4, v6, v15, v4
.LBB574_50:                             ; =>This Loop Header: Depth=1
                                        ;     Child Loop BB574_53 Depth 2
	v_and_b32_e32 v5, 0xff, v5
	s_delay_alu instid0(VALU_DEP_2) | instskip(NEXT) | instid1(VALU_DEP_2)
	v_mov_b32_e32 v15, v4
	v_cmp_ne_u16_e32 vcc_lo, 2, v5
	v_cndmask_b32_e64 v5, 0, 1, vcc_lo
	;;#ASMSTART
	;;#ASMEND
	s_delay_alu instid0(VALU_DEP_1)
	v_cmp_ne_u32_e32 vcc_lo, 0, v5
	s_cmp_lg_u32 vcc_lo, exec_lo
	s_cbranch_scc1 .LBB574_55
; %bb.51:                               ;   in Loop: Header=BB574_50 Depth=1
	v_lshlrev_b64 v[4:5], 3, v[2:3]
	s_mov_b32 s24, exec_lo
	s_delay_alu instid0(VALU_DEP_1) | instskip(NEXT) | instid1(VALU_DEP_2)
	v_add_co_u32 v6, vcc_lo, s20, v4
	v_add_co_ci_u32_e32 v7, vcc_lo, s21, v5, vcc_lo
	global_load_b64 v[4:5], v[6:7], off glc
	s_waitcnt vmcnt(0)
	v_and_b32_e32 v56, 0xff, v5
	s_delay_alu instid0(VALU_DEP_1)
	v_cmpx_eq_u16_e32 0, v56
	s_cbranch_execz .LBB574_49
; %bb.52:                               ;   in Loop: Header=BB574_50 Depth=1
	s_mov_b32 s25, 0
.LBB574_53:                             ;   Parent Loop BB574_50 Depth=1
                                        ; =>  This Inner Loop Header: Depth=2
	global_load_b64 v[4:5], v[6:7], off glc
	s_waitcnt vmcnt(0)
	v_and_b32_e32 v56, 0xff, v5
	s_delay_alu instid0(VALU_DEP_1) | instskip(SKIP_1) | instid1(SALU_CYCLE_1)
	v_cmp_ne_u16_e32 vcc_lo, 0, v56
	s_or_b32 s25, vcc_lo, s25
	s_and_not1_b32 exec_lo, exec_lo, s25
	s_cbranch_execnz .LBB574_53
; %bb.54:                               ;   in Loop: Header=BB574_50 Depth=1
	s_or_b32 exec_lo, exec_lo, s25
	s_branch .LBB574_49
.LBB574_55:                             ;   in Loop: Header=BB574_50 Depth=1
                                        ; implicit-def: $vgpr4
                                        ; implicit-def: $vgpr5
	s_cbranch_execz .LBB574_50
; %bb.56:
	s_and_saveexec_b32 s24, s6
	s_cbranch_execz .LBB574_58
; %bb.57:
	s_add_i32 s26, s15, 32
	s_mov_b32 s27, 0
	v_dual_mov_b32 v3, 2 :: v_dual_add_nc_u32 v2, v15, v1
	s_lshl_b64 s[26:27], s[26:27], 3
	v_mov_b32_e32 v4, 0
	v_add_nc_u32_e64 v5, 0x3400, 0
	s_add_u32 s26, s20, s26
	s_addc_u32 s27, s21, s27
	global_store_b64 v4, v[2:3], s[26:27]
	ds_store_2addr_b32 v5, v1, v15 offset1:2
.LBB574_58:
	s_or_b32 exec_lo, exec_lo, s24
	v_cmp_eq_u32_e32 vcc_lo, 0, v0
	s_and_b32 exec_lo, exec_lo, vcc_lo
	s_cbranch_execz .LBB574_60
; %bb.59:
	v_mov_b32_e32 v1, 0
	ds_store_b32 v1, v15 offset:28
.LBB574_60:
	s_or_b32 exec_lo, exec_lo, s7
	s_waitcnt lgkmcnt(0)
	v_cndmask_b32_e64 v2, v9, v8, s6
	v_cmp_ne_u32_e32 vcc_lo, 0, v0
	v_mov_b32_e32 v1, 0
	s_waitcnt_vscnt null, 0x0
	s_barrier
	buffer_gl0_inv
	v_cndmask_b32_e32 v2, 0, v2, vcc_lo
	ds_load_b32 v1, v1 offset:28
	v_add_nc_u32_e64 v11, 0x3400, 0
	s_waitcnt lgkmcnt(0)
	s_barrier
	buffer_gl0_inv
	ds_load_2addr_b32 v[16:17], v11 offset1:2
	v_add_nc_u32_e32 v1, v1, v2
	s_delay_alu instid0(VALU_DEP_1) | instskip(NEXT) | instid1(VALU_DEP_1)
	v_add_nc_u32_e32 v2, v1, v41
	v_add_nc_u32_e32 v3, v2, v42
	s_delay_alu instid0(VALU_DEP_1) | instskip(NEXT) | instid1(VALU_DEP_1)
	v_add_nc_u32_e32 v4, v3, v43
	;; [unrolled: 3-line block ×6, first 2 shown]
	v_add_nc_u32_e32 v13, v12, v36
	s_branch .LBB574_71
.LBB574_61:
                                        ; implicit-def: $vgpr17
                                        ; implicit-def: $vgpr1_vgpr2_vgpr3_vgpr4_vgpr5_vgpr6_vgpr7_vgpr8_vgpr9_vgpr10_vgpr11_vgpr12_vgpr13_vgpr14_vgpr15_vgpr16
	s_and_b32 vcc_lo, exec_lo, s6
	s_cbranch_vccz .LBB574_71
; %bb.62:
	s_delay_alu instid0(VALU_DEP_1) | instskip(NEXT) | instid1(VALU_DEP_1)
	v_mov_b32_dpp v1, v52 row_shr:1 row_mask:0xf bank_mask:0xf
	v_cndmask_b32_e64 v1, v1, 0, s5
	s_delay_alu instid0(VALU_DEP_1) | instskip(NEXT) | instid1(VALU_DEP_1)
	v_add_nc_u32_e32 v1, v1, v52
	v_mov_b32_dpp v2, v1 row_shr:2 row_mask:0xf bank_mask:0xf
	s_delay_alu instid0(VALU_DEP_1) | instskip(NEXT) | instid1(VALU_DEP_1)
	v_cndmask_b32_e64 v2, 0, v2, s4
	v_add_nc_u32_e32 v1, v1, v2
	s_delay_alu instid0(VALU_DEP_1) | instskip(NEXT) | instid1(VALU_DEP_1)
	v_mov_b32_dpp v2, v1 row_shr:4 row_mask:0xf bank_mask:0xf
	v_cndmask_b32_e64 v2, 0, v2, s3
	s_delay_alu instid0(VALU_DEP_1) | instskip(NEXT) | instid1(VALU_DEP_1)
	v_add_nc_u32_e32 v1, v1, v2
	v_mov_b32_dpp v2, v1 row_shr:8 row_mask:0xf bank_mask:0xf
	s_delay_alu instid0(VALU_DEP_1) | instskip(NEXT) | instid1(VALU_DEP_1)
	v_cndmask_b32_e64 v2, 0, v2, s2
	v_add_nc_u32_e32 v1, v1, v2
	ds_swizzle_b32 v2, v1 offset:swizzle(BROADCAST,32,15)
	s_waitcnt lgkmcnt(0)
	v_cndmask_b32_e64 v2, v2, 0, s1
	s_delay_alu instid0(VALU_DEP_1)
	v_add_nc_u32_e32 v1, v1, v2
	s_and_saveexec_b32 s1, s0
	s_cbranch_execz .LBB574_64
; %bb.63:
	v_lshlrev_b32_e32 v2, 2, v51
	ds_store_b32 v2, v1
.LBB574_64:
	s_or_b32 exec_lo, exec_lo, s1
	s_delay_alu instid0(SALU_CYCLE_1)
	s_mov_b32 s0, exec_lo
	s_waitcnt lgkmcnt(0)
	s_barrier
	buffer_gl0_inv
	v_cmpx_gt_u32_e32 8, v0
	s_cbranch_execz .LBB574_66
; %bb.65:
	ds_load_b32 v2, v30
	s_waitcnt lgkmcnt(0)
	v_mov_b32_dpp v4, v2 row_shr:1 row_mask:0xf bank_mask:0xf
	v_and_b32_e32 v3, 7, v50
	s_delay_alu instid0(VALU_DEP_1) | instskip(NEXT) | instid1(VALU_DEP_3)
	v_cmp_ne_u32_e32 vcc_lo, 0, v3
	v_cndmask_b32_e32 v4, 0, v4, vcc_lo
	v_cmp_lt_u32_e32 vcc_lo, 1, v3
	s_delay_alu instid0(VALU_DEP_2) | instskip(NEXT) | instid1(VALU_DEP_1)
	v_add_nc_u32_e32 v2, v4, v2
	v_mov_b32_dpp v4, v2 row_shr:2 row_mask:0xf bank_mask:0xf
	s_delay_alu instid0(VALU_DEP_1) | instskip(SKIP_1) | instid1(VALU_DEP_2)
	v_cndmask_b32_e32 v4, 0, v4, vcc_lo
	v_cmp_lt_u32_e32 vcc_lo, 3, v3
	v_add_nc_u32_e32 v2, v2, v4
	s_delay_alu instid0(VALU_DEP_1) | instskip(NEXT) | instid1(VALU_DEP_1)
	v_mov_b32_dpp v4, v2 row_shr:4 row_mask:0xf bank_mask:0xf
	v_cndmask_b32_e32 v3, 0, v4, vcc_lo
	s_delay_alu instid0(VALU_DEP_1)
	v_add_nc_u32_e32 v2, v2, v3
	ds_store_b32 v30, v2
.LBB574_66:
	s_or_b32 exec_lo, exec_lo, s0
	v_dual_mov_b32 v3, 0 :: v_dual_mov_b32 v2, 0
	s_mov_b32 s0, exec_lo
	s_waitcnt lgkmcnt(0)
	s_barrier
	buffer_gl0_inv
	v_cmpx_lt_u32_e32 31, v0
	s_cbranch_execz .LBB574_68
; %bb.67:
	v_lshl_add_u32 v2, v51, 2, -4
	ds_load_b32 v2, v2
.LBB574_68:
	s_or_b32 exec_lo, exec_lo, s0
	v_add_nc_u32_e32 v4, -1, v50
	ds_load_b32 v16, v3 offset:28
	s_waitcnt lgkmcnt(1)
	v_add_nc_u32_e32 v1, v2, v1
	v_cmp_gt_i32_e32 vcc_lo, 0, v4
	v_cndmask_b32_e32 v4, v4, v50, vcc_lo
	v_cmp_eq_u32_e32 vcc_lo, 0, v0
	s_delay_alu instid0(VALU_DEP_2)
	v_lshlrev_b32_e32 v4, 2, v4
	ds_bpermute_b32 v1, v4, v1
	s_and_saveexec_b32 s0, vcc_lo
	s_cbranch_execz .LBB574_70
; %bb.69:
	v_mov_b32_e32 v3, 0
	v_mov_b32_e32 v17, 2
	s_waitcnt lgkmcnt(1)
	global_store_b64 v3, v[16:17], s[20:21] offset:256
.LBB574_70:
	s_or_b32 exec_lo, exec_lo, s0
	v_cmp_eq_u32_e64 s0, 0, v50
	s_waitcnt lgkmcnt(0)
	s_waitcnt_vscnt null, 0x0
	s_barrier
	buffer_gl0_inv
	v_mov_b32_e32 v17, 0
	v_cndmask_b32_e64 v1, v1, v2, s0
	s_delay_alu instid0(VALU_DEP_1) | instskip(NEXT) | instid1(VALU_DEP_1)
	v_cndmask_b32_e64 v1, v1, 0, vcc_lo
	v_add_nc_u32_e32 v2, v1, v41
	s_delay_alu instid0(VALU_DEP_1) | instskip(NEXT) | instid1(VALU_DEP_1)
	v_add_nc_u32_e32 v3, v2, v42
	v_add_nc_u32_e32 v4, v3, v43
	s_delay_alu instid0(VALU_DEP_1) | instskip(NEXT) | instid1(VALU_DEP_1)
	v_add_nc_u32_e32 v5, v4, v40
	;; [unrolled: 3-line block ×5, first 2 shown]
	v_add_nc_u32_e32 v12, v11, v49
	s_delay_alu instid0(VALU_DEP_1)
	v_add_nc_u32_e32 v13, v12, v36
.LBB574_71:
	v_lshrrev_b32_e32 v44, 8, v39
	v_lshrrev_b32_e32 v43, 16, v39
	s_waitcnt lgkmcnt(0)
	v_sub_nc_u32_e32 v1, v1, v17
	v_and_b32_e32 v39, 1, v39
	v_sub_nc_u32_e32 v3, v3, v17
	v_add_nc_u32_e32 v33, v16, v33
	v_sub_nc_u32_e32 v2, v2, v17
	v_sub_nc_u32_e32 v4, v4, v17
	v_cmp_eq_u32_e32 vcc_lo, 1, v39
	v_and_b32_e32 v39, 1, v43
	v_sub_nc_u32_e32 v45, v33, v1
	v_and_b32_e32 v44, 1, v44
	v_sub_nc_u32_e32 v43, v33, v2
	v_lshrrev_b32_e32 v42, 8, v37
	v_lshrrev_b32_e32 v41, 16, v37
	v_cndmask_b32_e32 v1, v45, v1, vcc_lo
	v_sub_nc_u32_e32 v45, v33, v3
	v_add_nc_u32_e32 v43, 1, v43
	v_cmp_eq_u32_e32 vcc_lo, 1, v44
	v_and_b32_e32 v40, 1, v40
	v_lshlrev_b32_e32 v1, 2, v1
	v_add_nc_u32_e32 v45, 2, v45
	v_lshrrev_b32_e32 v15, 8, v35
	v_lshrrev_b32_e32 v14, 16, v35
	ds_store_b32 v1, v28
	v_cndmask_b32_e32 v1, v43, v2, vcc_lo
	v_cmp_eq_u32_e32 vcc_lo, 1, v39
	v_or_b32_e32 v28, 0x500, v0
	s_delay_alu instid0(VALU_DEP_3)
	v_dual_cndmask_b32 v2, v45, v3 :: v_dual_lshlrev_b32 v1, 2, v1
	v_sub_nc_u32_e32 v46, v33, v4
	v_cmp_eq_u32_e32 vcc_lo, 1, v40
	ds_store_b32 v1, v29
	v_lshlrev_b32_e32 v2, 2, v2
	v_add_nc_u32_e32 v46, 3, v46
	v_or_b32_e32 v29, 0x400, v0
	s_delay_alu instid0(VALU_DEP_2) | instskip(SKIP_2) | instid1(VALU_DEP_3)
	v_cndmask_b32_e32 v3, v46, v4, vcc_lo
	v_sub_nc_u32_e32 v4, v5, v17
	v_sub_nc_u32_e32 v5, v6, v17
	v_lshlrev_b32_e32 v3, 2, v3
	s_delay_alu instid0(VALU_DEP_3) | instskip(NEXT) | instid1(VALU_DEP_3)
	v_sub_nc_u32_e32 v1, v33, v4
	v_sub_nc_u32_e32 v6, v33, v5
	ds_store_b32 v2, v26
	ds_store_b32 v3, v27
	v_and_b32_e32 v2, 1, v37
	v_add_nc_u32_e32 v1, 4, v1
	v_add_nc_u32_e32 v3, 5, v6
	v_sub_nc_u32_e32 v6, v7, v17
	v_and_b32_e32 v7, 1, v42
	v_cmp_eq_u32_e32 vcc_lo, 1, v2
	v_sub_nc_u32_e32 v2, v8, v17
	v_and_b32_e32 v8, 1, v38
	v_or_b32_e32 v27, 0x600, v0
	v_or_b32_e32 v26, 0x700, v0
	v_cndmask_b32_e32 v1, v1, v4, vcc_lo
	v_sub_nc_u32_e32 v4, v33, v6
	v_cmp_eq_u32_e32 vcc_lo, 1, v7
	v_and_b32_e32 v7, 1, v41
	s_delay_alu instid0(VALU_DEP_4) | instskip(NEXT) | instid1(VALU_DEP_4)
	v_lshlrev_b32_e32 v1, 2, v1
	v_dual_cndmask_b32 v3, v3, v5 :: v_dual_add_nc_u32 v4, 6, v4
	v_sub_nc_u32_e32 v5, v33, v2
	s_delay_alu instid0(VALU_DEP_4) | instskip(SKIP_1) | instid1(VALU_DEP_4)
	v_cmp_eq_u32_e32 vcc_lo, 1, v7
	v_sub_nc_u32_e32 v7, v13, v17
	v_lshlrev_b32_e32 v3, 2, v3
	s_delay_alu instid0(VALU_DEP_4)
	v_dual_cndmask_b32 v4, v4, v6 :: v_dual_add_nc_u32 v5, 7, v5
	v_cmp_eq_u32_e32 vcc_lo, 1, v8
	v_sub_nc_u32_e32 v6, v9, v17
	ds_store_b32 v1, v24
	ds_store_b32 v3, v25
	v_or_b32_e32 v25, 0x800, v0
	v_dual_cndmask_b32 v2, v5, v2 :: v_dual_lshlrev_b32 v3, 2, v4
	v_and_b32_e32 v5, 1, v35
	v_sub_nc_u32_e32 v1, v33, v6
	v_sub_nc_u32_e32 v4, v10, v17
	v_and_b32_e32 v10, 1, v36
	v_or_b32_e32 v24, 0x900, v0
	v_cmp_eq_u32_e32 vcc_lo, 1, v5
	v_sub_nc_u32_e32 v5, v12, v17
	v_add_nc_u32_e32 v1, 8, v1
	s_delay_alu instid0(VALU_DEP_2) | instskip(NEXT) | instid1(VALU_DEP_2)
	v_sub_nc_u32_e32 v9, v33, v5
	v_dual_cndmask_b32 v1, v1, v6 :: v_dual_and_b32 v6, 1, v15
	v_add_co_u32 v15, s0, s18, v17
	s_delay_alu instid0(VALU_DEP_3)
	v_add_nc_u32_e32 v9, 11, v9
	v_lshlrev_b32_e32 v2, 2, v2
	ds_store_b32 v3, v22
	ds_store_b32 v2, v23
	v_sub_nc_u32_e32 v3, v11, v17
	v_sub_nc_u32_e32 v2, v33, v4
	v_cmp_eq_u32_e32 vcc_lo, 1, v6
	v_and_b32_e32 v11, 1, v34
	v_lshlrev_b32_e32 v1, 2, v1
	v_sub_nc_u32_e32 v8, v33, v3
	v_add_nc_u32_e32 v2, 9, v2
	v_add_co_ci_u32_e64 v17, null, s19, 0, s0
	s_add_u32 s0, s16, s23
	s_delay_alu instid0(VALU_DEP_3)
	v_add_nc_u32_e32 v6, 10, v8
	v_and_b32_e32 v8, 1, v14
	v_cndmask_b32_e32 v2, v2, v4, vcc_lo
	v_sub_nc_u32_e32 v4, v33, v7
	s_addc_u32 s1, s17, 0
	s_sub_u32 s0, s12, s0
	v_cmp_eq_u32_e32 vcc_lo, 1, v8
	v_lshlrev_b32_e32 v2, 2, v2
	v_add_nc_u32_e32 v4, 12, v4
	s_subb_u32 s1, s13, s1
	v_add_co_u32 v13, s0, s0, v16
	v_cndmask_b32_e32 v3, v6, v3, vcc_lo
	v_cmp_eq_u32_e32 vcc_lo, 1, v10
	v_add_co_ci_u32_e64 v14, null, s1, 0, s0
	v_or_b32_e32 v34, 0x100, v0
	s_delay_alu instid0(VALU_DEP_4)
	v_lshlrev_b32_e32 v3, 2, v3
	v_cndmask_b32_e32 v5, v9, v5, vcc_lo
	v_cmp_eq_u32_e32 vcc_lo, 1, v11
	v_or_b32_e32 v33, 0x200, v0
	v_or_b32_e32 v23, 0xa00, v0
	;; [unrolled: 1-line block ×3, first 2 shown]
	v_dual_cndmask_b32 v4, v4, v7 :: v_dual_lshlrev_b32 v5, 2, v5
	v_cmp_ne_u32_e32 vcc_lo, 1, v31
	s_delay_alu instid0(VALU_DEP_2)
	v_lshlrev_b32_e32 v4, 2, v4
	ds_store_b32 v1, v20
	ds_store_b32 v2, v21
	;; [unrolled: 1-line block ×5, first 2 shown]
	s_waitcnt lgkmcnt(0)
	s_barrier
	buffer_gl0_inv
	ds_load_2addr_stride64_b32 v[11:12], v30 offset1:4
	ds_load_2addr_stride64_b32 v[9:10], v30 offset0:8 offset1:12
	ds_load_2addr_stride64_b32 v[7:8], v30 offset0:16 offset1:20
	;; [unrolled: 1-line block ×5, first 2 shown]
	ds_load_b32 v18, v30 offset:12288
	v_add_co_u32 v20, s0, v13, v15
	v_or_b32_e32 v32, 0x300, v0
	v_or_b32_e32 v19, 0xc00, v0
	v_add_co_ci_u32_e64 v21, s0, v14, v17, s0
	s_mov_b32 s0, 0
	s_cbranch_vccnz .LBB574_125
; %bb.72:
	s_mov_b32 s0, exec_lo
                                        ; implicit-def: $vgpr13_vgpr14
	v_cmpx_ge_u32_e64 v0, v16
	s_xor_b32 s0, exec_lo, s0
; %bb.73:
	v_not_b32_e32 v13, v0
	s_delay_alu instid0(VALU_DEP_1) | instskip(SKIP_1) | instid1(VALU_DEP_2)
	v_ashrrev_i32_e32 v14, 31, v13
	v_add_co_u32 v13, vcc_lo, v20, v13
	v_add_co_ci_u32_e32 v14, vcc_lo, v21, v14, vcc_lo
; %bb.74:
	s_and_not1_saveexec_b32 s0, s0
; %bb.75:
	v_add_co_u32 v13, vcc_lo, v15, v0
	v_add_co_ci_u32_e32 v14, vcc_lo, 0, v17, vcc_lo
; %bb.76:
	s_or_b32 exec_lo, exec_lo, s0
	s_delay_alu instid0(VALU_DEP_1) | instskip(SKIP_1) | instid1(VALU_DEP_1)
	v_lshlrev_b64 v[13:14], 2, v[13:14]
	s_mov_b32 s0, exec_lo
	v_add_co_u32 v13, vcc_lo, s10, v13
	s_delay_alu instid0(VALU_DEP_2)
	v_add_co_ci_u32_e32 v14, vcc_lo, s11, v14, vcc_lo
	s_waitcnt lgkmcnt(6)
	global_store_b32 v[13:14], v11, off
                                        ; implicit-def: $vgpr13_vgpr14
	v_cmpx_ge_u32_e64 v34, v16
	s_xor_b32 s0, exec_lo, s0
; %bb.77:
	v_xor_b32_e32 v13, 0xfffffeff, v0
	s_delay_alu instid0(VALU_DEP_1) | instskip(SKIP_1) | instid1(VALU_DEP_2)
	v_ashrrev_i32_e32 v14, 31, v13
	v_add_co_u32 v13, vcc_lo, v20, v13
	v_add_co_ci_u32_e32 v14, vcc_lo, v21, v14, vcc_lo
; %bb.78:
	s_and_not1_saveexec_b32 s0, s0
; %bb.79:
	v_add_co_u32 v13, vcc_lo, v15, v34
	v_add_co_ci_u32_e32 v14, vcc_lo, 0, v17, vcc_lo
; %bb.80:
	s_or_b32 exec_lo, exec_lo, s0
	s_delay_alu instid0(VALU_DEP_1) | instskip(SKIP_1) | instid1(VALU_DEP_1)
	v_lshlrev_b64 v[13:14], 2, v[13:14]
	s_mov_b32 s0, exec_lo
	v_add_co_u32 v13, vcc_lo, s10, v13
	s_delay_alu instid0(VALU_DEP_2)
	v_add_co_ci_u32_e32 v14, vcc_lo, s11, v14, vcc_lo
	global_store_b32 v[13:14], v12, off
                                        ; implicit-def: $vgpr13_vgpr14
	v_cmpx_ge_u32_e64 v33, v16
	s_xor_b32 s0, exec_lo, s0
; %bb.81:
	v_xor_b32_e32 v13, 0xfffffdff, v0
	s_delay_alu instid0(VALU_DEP_1) | instskip(SKIP_1) | instid1(VALU_DEP_2)
	v_ashrrev_i32_e32 v14, 31, v13
	v_add_co_u32 v13, vcc_lo, v20, v13
	v_add_co_ci_u32_e32 v14, vcc_lo, v21, v14, vcc_lo
; %bb.82:
	s_and_not1_saveexec_b32 s0, s0
; %bb.83:
	v_add_co_u32 v13, vcc_lo, v15, v33
	v_add_co_ci_u32_e32 v14, vcc_lo, 0, v17, vcc_lo
; %bb.84:
	s_or_b32 exec_lo, exec_lo, s0
	s_delay_alu instid0(VALU_DEP_1) | instskip(SKIP_1) | instid1(VALU_DEP_1)
	v_lshlrev_b64 v[13:14], 2, v[13:14]
	s_mov_b32 s0, exec_lo
	v_add_co_u32 v13, vcc_lo, s10, v13
	s_delay_alu instid0(VALU_DEP_2)
	v_add_co_ci_u32_e32 v14, vcc_lo, s11, v14, vcc_lo
	s_waitcnt lgkmcnt(5)
	global_store_b32 v[13:14], v9, off
                                        ; implicit-def: $vgpr13_vgpr14
	v_cmpx_ge_u32_e64 v32, v16
	s_xor_b32 s0, exec_lo, s0
; %bb.85:
	v_xor_b32_e32 v13, 0xfffffcff, v0
	s_delay_alu instid0(VALU_DEP_1) | instskip(SKIP_1) | instid1(VALU_DEP_2)
	v_ashrrev_i32_e32 v14, 31, v13
	v_add_co_u32 v13, vcc_lo, v20, v13
	v_add_co_ci_u32_e32 v14, vcc_lo, v21, v14, vcc_lo
; %bb.86:
	s_and_not1_saveexec_b32 s0, s0
; %bb.87:
	v_add_co_u32 v13, vcc_lo, v15, v32
	v_add_co_ci_u32_e32 v14, vcc_lo, 0, v17, vcc_lo
; %bb.88:
	s_or_b32 exec_lo, exec_lo, s0
	s_delay_alu instid0(VALU_DEP_1) | instskip(SKIP_1) | instid1(VALU_DEP_1)
	v_lshlrev_b64 v[13:14], 2, v[13:14]
	s_mov_b32 s0, exec_lo
	v_add_co_u32 v13, vcc_lo, s10, v13
	s_delay_alu instid0(VALU_DEP_2)
	v_add_co_ci_u32_e32 v14, vcc_lo, s11, v14, vcc_lo
	global_store_b32 v[13:14], v10, off
                                        ; implicit-def: $vgpr13_vgpr14
	v_cmpx_ge_u32_e64 v29, v16
	s_xor_b32 s0, exec_lo, s0
; %bb.89:
	v_xor_b32_e32 v13, 0xfffffbff, v0
	;; [unrolled: 47-line block ×6, first 2 shown]
	s_delay_alu instid0(VALU_DEP_1) | instskip(SKIP_1) | instid1(VALU_DEP_2)
	v_ashrrev_i32_e32 v14, 31, v13
	v_add_co_u32 v13, vcc_lo, v20, v13
	v_add_co_ci_u32_e32 v14, vcc_lo, v21, v14, vcc_lo
; %bb.122:
	s_and_not1_saveexec_b32 s0, s0
; %bb.123:
	v_add_co_u32 v13, vcc_lo, v15, v19
	v_add_co_ci_u32_e32 v14, vcc_lo, 0, v17, vcc_lo
; %bb.124:
	s_or_b32 exec_lo, exec_lo, s0
	s_mov_b32 s0, -1
	s_branch .LBB574_205
.LBB574_125:
                                        ; implicit-def: $vgpr13_vgpr14
	s_cbranch_execz .LBB574_205
; %bb.126:
	s_mov_b32 s1, exec_lo
	v_cmpx_gt_u32_e64 s22, v0
	s_cbranch_execz .LBB574_162
; %bb.127:
	s_mov_b32 s2, exec_lo
                                        ; implicit-def: $vgpr13_vgpr14
	v_cmpx_ge_u32_e64 v0, v16
	s_xor_b32 s2, exec_lo, s2
; %bb.128:
	v_not_b32_e32 v13, v0
	s_delay_alu instid0(VALU_DEP_1) | instskip(SKIP_1) | instid1(VALU_DEP_2)
	v_ashrrev_i32_e32 v14, 31, v13
	v_add_co_u32 v13, vcc_lo, v20, v13
	v_add_co_ci_u32_e32 v14, vcc_lo, v21, v14, vcc_lo
; %bb.129:
	s_and_not1_saveexec_b32 s2, s2
; %bb.130:
	v_add_co_u32 v13, vcc_lo, v15, v0
	v_add_co_ci_u32_e32 v14, vcc_lo, 0, v17, vcc_lo
; %bb.131:
	s_or_b32 exec_lo, exec_lo, s2
	s_delay_alu instid0(VALU_DEP_1) | instskip(NEXT) | instid1(VALU_DEP_1)
	v_lshlrev_b64 v[13:14], 2, v[13:14]
	v_add_co_u32 v13, vcc_lo, s10, v13
	s_delay_alu instid0(VALU_DEP_2) | instskip(SKIP_3) | instid1(SALU_CYCLE_1)
	v_add_co_ci_u32_e32 v14, vcc_lo, s11, v14, vcc_lo
	s_waitcnt lgkmcnt(6)
	global_store_b32 v[13:14], v11, off
	s_or_b32 exec_lo, exec_lo, s1
	s_mov_b32 s1, exec_lo
	v_cmpx_gt_u32_e64 s22, v34
	s_cbranch_execnz .LBB574_163
.LBB574_132:
	s_or_b32 exec_lo, exec_lo, s1
	s_delay_alu instid0(SALU_CYCLE_1)
	s_mov_b32 s1, exec_lo
	v_cmpx_gt_u32_e64 s22, v33
	s_cbranch_execz .LBB574_168
.LBB574_133:
	s_mov_b32 s2, exec_lo
                                        ; implicit-def: $vgpr11_vgpr12
	v_cmpx_ge_u32_e64 v33, v16
	s_xor_b32 s2, exec_lo, s2
	s_cbranch_execz .LBB574_135
; %bb.134:
	s_waitcnt lgkmcnt(6)
	v_xor_b32_e32 v11, 0xfffffdff, v0
                                        ; implicit-def: $vgpr33
	s_delay_alu instid0(VALU_DEP_1) | instskip(SKIP_1) | instid1(VALU_DEP_2)
	v_ashrrev_i32_e32 v12, 31, v11
	v_add_co_u32 v11, vcc_lo, v20, v11
	v_add_co_ci_u32_e32 v12, vcc_lo, v21, v12, vcc_lo
.LBB574_135:
	s_and_not1_saveexec_b32 s2, s2
	s_cbranch_execz .LBB574_137
; %bb.136:
	s_waitcnt lgkmcnt(6)
	v_add_co_u32 v11, vcc_lo, v15, v33
	v_add_co_ci_u32_e32 v12, vcc_lo, 0, v17, vcc_lo
.LBB574_137:
	s_or_b32 exec_lo, exec_lo, s2
	s_waitcnt lgkmcnt(6)
	s_delay_alu instid0(VALU_DEP_1) | instskip(NEXT) | instid1(VALU_DEP_1)
	v_lshlrev_b64 v[11:12], 2, v[11:12]
	v_add_co_u32 v11, vcc_lo, s10, v11
	s_delay_alu instid0(VALU_DEP_2) | instskip(SKIP_3) | instid1(SALU_CYCLE_1)
	v_add_co_ci_u32_e32 v12, vcc_lo, s11, v12, vcc_lo
	s_waitcnt lgkmcnt(5)
	global_store_b32 v[11:12], v9, off
	s_or_b32 exec_lo, exec_lo, s1
	s_mov_b32 s1, exec_lo
	v_cmpx_gt_u32_e64 s22, v32
	s_cbranch_execnz .LBB574_169
.LBB574_138:
	s_or_b32 exec_lo, exec_lo, s1
	s_delay_alu instid0(SALU_CYCLE_1)
	s_mov_b32 s1, exec_lo
	v_cmpx_gt_u32_e64 s22, v29
	s_cbranch_execz .LBB574_174
.LBB574_139:
	s_mov_b32 s2, exec_lo
                                        ; implicit-def: $vgpr9_vgpr10
	v_cmpx_ge_u32_e64 v29, v16
	s_xor_b32 s2, exec_lo, s2
	s_cbranch_execz .LBB574_141
; %bb.140:
	s_waitcnt lgkmcnt(5)
	v_xor_b32_e32 v9, 0xfffffbff, v0
                                        ; implicit-def: $vgpr29
	s_delay_alu instid0(VALU_DEP_1) | instskip(SKIP_1) | instid1(VALU_DEP_2)
	v_ashrrev_i32_e32 v10, 31, v9
	v_add_co_u32 v9, vcc_lo, v20, v9
	v_add_co_ci_u32_e32 v10, vcc_lo, v21, v10, vcc_lo
.LBB574_141:
	s_and_not1_saveexec_b32 s2, s2
	s_cbranch_execz .LBB574_143
; %bb.142:
	s_waitcnt lgkmcnt(5)
	v_add_co_u32 v9, vcc_lo, v15, v29
	v_add_co_ci_u32_e32 v10, vcc_lo, 0, v17, vcc_lo
.LBB574_143:
	s_or_b32 exec_lo, exec_lo, s2
	s_waitcnt lgkmcnt(5)
	s_delay_alu instid0(VALU_DEP_1) | instskip(NEXT) | instid1(VALU_DEP_1)
	v_lshlrev_b64 v[9:10], 2, v[9:10]
	v_add_co_u32 v9, vcc_lo, s10, v9
	s_delay_alu instid0(VALU_DEP_2) | instskip(SKIP_3) | instid1(SALU_CYCLE_1)
	v_add_co_ci_u32_e32 v10, vcc_lo, s11, v10, vcc_lo
	s_waitcnt lgkmcnt(4)
	global_store_b32 v[9:10], v7, off
	s_or_b32 exec_lo, exec_lo, s1
	s_mov_b32 s1, exec_lo
	v_cmpx_gt_u32_e64 s22, v28
	s_cbranch_execnz .LBB574_175
.LBB574_144:
	s_or_b32 exec_lo, exec_lo, s1
	s_delay_alu instid0(SALU_CYCLE_1)
	s_mov_b32 s1, exec_lo
	v_cmpx_gt_u32_e64 s22, v27
	s_cbranch_execz .LBB574_180
.LBB574_145:
	s_mov_b32 s2, exec_lo
                                        ; implicit-def: $vgpr7_vgpr8
	v_cmpx_ge_u32_e64 v27, v16
	s_xor_b32 s2, exec_lo, s2
	s_cbranch_execz .LBB574_147
; %bb.146:
	s_waitcnt lgkmcnt(4)
	v_xor_b32_e32 v7, 0xfffff9ff, v0
                                        ; implicit-def: $vgpr27
	s_delay_alu instid0(VALU_DEP_1) | instskip(SKIP_1) | instid1(VALU_DEP_2)
	v_ashrrev_i32_e32 v8, 31, v7
	v_add_co_u32 v7, vcc_lo, v20, v7
	v_add_co_ci_u32_e32 v8, vcc_lo, v21, v8, vcc_lo
.LBB574_147:
	s_and_not1_saveexec_b32 s2, s2
	s_cbranch_execz .LBB574_149
; %bb.148:
	s_waitcnt lgkmcnt(4)
	v_add_co_u32 v7, vcc_lo, v15, v27
	v_add_co_ci_u32_e32 v8, vcc_lo, 0, v17, vcc_lo
.LBB574_149:
	s_or_b32 exec_lo, exec_lo, s2
	s_waitcnt lgkmcnt(4)
	s_delay_alu instid0(VALU_DEP_1) | instskip(NEXT) | instid1(VALU_DEP_1)
	v_lshlrev_b64 v[7:8], 2, v[7:8]
	v_add_co_u32 v7, vcc_lo, s10, v7
	s_delay_alu instid0(VALU_DEP_2) | instskip(SKIP_3) | instid1(SALU_CYCLE_1)
	v_add_co_ci_u32_e32 v8, vcc_lo, s11, v8, vcc_lo
	s_waitcnt lgkmcnt(3)
	global_store_b32 v[7:8], v5, off
	s_or_b32 exec_lo, exec_lo, s1
	s_mov_b32 s1, exec_lo
	v_cmpx_gt_u32_e64 s22, v26
	s_cbranch_execnz .LBB574_181
.LBB574_150:
	s_or_b32 exec_lo, exec_lo, s1
	s_delay_alu instid0(SALU_CYCLE_1)
	s_mov_b32 s1, exec_lo
	v_cmpx_gt_u32_e64 s22, v25
	s_cbranch_execz .LBB574_186
.LBB574_151:
	s_mov_b32 s2, exec_lo
                                        ; implicit-def: $vgpr5_vgpr6
	v_cmpx_ge_u32_e64 v25, v16
	s_xor_b32 s2, exec_lo, s2
	s_cbranch_execz .LBB574_153
; %bb.152:
	s_waitcnt lgkmcnt(3)
	v_xor_b32_e32 v5, 0xfffff7ff, v0
                                        ; implicit-def: $vgpr25
	s_delay_alu instid0(VALU_DEP_1) | instskip(SKIP_1) | instid1(VALU_DEP_2)
	v_ashrrev_i32_e32 v6, 31, v5
	v_add_co_u32 v5, vcc_lo, v20, v5
	v_add_co_ci_u32_e32 v6, vcc_lo, v21, v6, vcc_lo
.LBB574_153:
	s_and_not1_saveexec_b32 s2, s2
	s_cbranch_execz .LBB574_155
; %bb.154:
	s_waitcnt lgkmcnt(3)
	v_add_co_u32 v5, vcc_lo, v15, v25
	v_add_co_ci_u32_e32 v6, vcc_lo, 0, v17, vcc_lo
.LBB574_155:
	s_or_b32 exec_lo, exec_lo, s2
	s_waitcnt lgkmcnt(3)
	s_delay_alu instid0(VALU_DEP_1) | instskip(NEXT) | instid1(VALU_DEP_1)
	v_lshlrev_b64 v[5:6], 2, v[5:6]
	v_add_co_u32 v5, vcc_lo, s10, v5
	s_delay_alu instid0(VALU_DEP_2) | instskip(SKIP_3) | instid1(SALU_CYCLE_1)
	v_add_co_ci_u32_e32 v6, vcc_lo, s11, v6, vcc_lo
	s_waitcnt lgkmcnt(2)
	global_store_b32 v[5:6], v3, off
	s_or_b32 exec_lo, exec_lo, s1
	s_mov_b32 s1, exec_lo
	v_cmpx_gt_u32_e64 s22, v24
	s_cbranch_execnz .LBB574_187
.LBB574_156:
	s_or_b32 exec_lo, exec_lo, s1
	s_delay_alu instid0(SALU_CYCLE_1)
	s_mov_b32 s1, exec_lo
	v_cmpx_gt_u32_e64 s22, v23
	s_cbranch_execz .LBB574_192
.LBB574_157:
	s_mov_b32 s2, exec_lo
                                        ; implicit-def: $vgpr3_vgpr4
	v_cmpx_ge_u32_e64 v23, v16
	s_xor_b32 s2, exec_lo, s2
	s_cbranch_execz .LBB574_159
; %bb.158:
	s_waitcnt lgkmcnt(2)
	v_xor_b32_e32 v3, 0xfffff5ff, v0
                                        ; implicit-def: $vgpr23
	s_delay_alu instid0(VALU_DEP_1) | instskip(SKIP_1) | instid1(VALU_DEP_2)
	v_ashrrev_i32_e32 v4, 31, v3
	v_add_co_u32 v3, vcc_lo, v20, v3
	v_add_co_ci_u32_e32 v4, vcc_lo, v21, v4, vcc_lo
.LBB574_159:
	s_and_not1_saveexec_b32 s2, s2
	s_cbranch_execz .LBB574_161
; %bb.160:
	s_waitcnt lgkmcnt(2)
	v_add_co_u32 v3, vcc_lo, v15, v23
	v_add_co_ci_u32_e32 v4, vcc_lo, 0, v17, vcc_lo
.LBB574_161:
	s_or_b32 exec_lo, exec_lo, s2
	s_waitcnt lgkmcnt(2)
	s_delay_alu instid0(VALU_DEP_1) | instskip(NEXT) | instid1(VALU_DEP_1)
	v_lshlrev_b64 v[3:4], 2, v[3:4]
	v_add_co_u32 v3, vcc_lo, s10, v3
	s_delay_alu instid0(VALU_DEP_2) | instskip(SKIP_3) | instid1(SALU_CYCLE_1)
	v_add_co_ci_u32_e32 v4, vcc_lo, s11, v4, vcc_lo
	s_waitcnt lgkmcnt(1)
	global_store_b32 v[3:4], v1, off
	s_or_b32 exec_lo, exec_lo, s1
	s_mov_b32 s1, exec_lo
	v_cmpx_gt_u32_e64 s22, v22
	s_cbranch_execz .LBB574_198
	s_branch .LBB574_193
.LBB574_162:
	s_or_b32 exec_lo, exec_lo, s1
	s_delay_alu instid0(SALU_CYCLE_1)
	s_mov_b32 s1, exec_lo
	v_cmpx_gt_u32_e64 s22, v34
	s_cbranch_execz .LBB574_132
.LBB574_163:
	s_mov_b32 s2, exec_lo
                                        ; implicit-def: $vgpr13_vgpr14
	v_cmpx_ge_u32_e64 v34, v16
	s_xor_b32 s2, exec_lo, s2
	s_cbranch_execz .LBB574_165
; %bb.164:
	s_waitcnt lgkmcnt(6)
	v_xor_b32_e32 v11, 0xfffffeff, v0
                                        ; implicit-def: $vgpr34
	s_delay_alu instid0(VALU_DEP_1) | instskip(SKIP_1) | instid1(VALU_DEP_2)
	v_ashrrev_i32_e32 v14, 31, v11
	v_add_co_u32 v13, vcc_lo, v20, v11
	v_add_co_ci_u32_e32 v14, vcc_lo, v21, v14, vcc_lo
.LBB574_165:
	s_and_not1_saveexec_b32 s2, s2
; %bb.166:
	v_add_co_u32 v13, vcc_lo, v15, v34
	v_add_co_ci_u32_e32 v14, vcc_lo, 0, v17, vcc_lo
; %bb.167:
	s_or_b32 exec_lo, exec_lo, s2
	s_delay_alu instid0(VALU_DEP_1) | instskip(NEXT) | instid1(VALU_DEP_1)
	v_lshlrev_b64 v[13:14], 2, v[13:14]
	v_add_co_u32 v13, vcc_lo, s10, v13
	s_delay_alu instid0(VALU_DEP_2) | instskip(SKIP_3) | instid1(SALU_CYCLE_1)
	v_add_co_ci_u32_e32 v14, vcc_lo, s11, v14, vcc_lo
	s_waitcnt lgkmcnt(6)
	global_store_b32 v[13:14], v12, off
	s_or_b32 exec_lo, exec_lo, s1
	s_mov_b32 s1, exec_lo
	v_cmpx_gt_u32_e64 s22, v33
	s_cbranch_execnz .LBB574_133
.LBB574_168:
	s_or_b32 exec_lo, exec_lo, s1
	s_delay_alu instid0(SALU_CYCLE_1)
	s_mov_b32 s1, exec_lo
	v_cmpx_gt_u32_e64 s22, v32
	s_cbranch_execz .LBB574_138
.LBB574_169:
	s_mov_b32 s2, exec_lo
                                        ; implicit-def: $vgpr11_vgpr12
	v_cmpx_ge_u32_e64 v32, v16
	s_xor_b32 s2, exec_lo, s2
	s_cbranch_execz .LBB574_171
; %bb.170:
	s_waitcnt lgkmcnt(5)
	v_xor_b32_e32 v9, 0xfffffcff, v0
                                        ; implicit-def: $vgpr32
	s_delay_alu instid0(VALU_DEP_1) | instskip(SKIP_1) | instid1(VALU_DEP_2)
	v_ashrrev_i32_e32 v12, 31, v9
	v_add_co_u32 v11, vcc_lo, v20, v9
	v_add_co_ci_u32_e32 v12, vcc_lo, v21, v12, vcc_lo
.LBB574_171:
	s_and_not1_saveexec_b32 s2, s2
	s_cbranch_execz .LBB574_173
; %bb.172:
	s_waitcnt lgkmcnt(6)
	v_add_co_u32 v11, vcc_lo, v15, v32
	v_add_co_ci_u32_e32 v12, vcc_lo, 0, v17, vcc_lo
.LBB574_173:
	s_or_b32 exec_lo, exec_lo, s2
	s_waitcnt lgkmcnt(6)
	s_delay_alu instid0(VALU_DEP_1) | instskip(NEXT) | instid1(VALU_DEP_1)
	v_lshlrev_b64 v[11:12], 2, v[11:12]
	v_add_co_u32 v11, vcc_lo, s10, v11
	s_delay_alu instid0(VALU_DEP_2) | instskip(SKIP_3) | instid1(SALU_CYCLE_1)
	v_add_co_ci_u32_e32 v12, vcc_lo, s11, v12, vcc_lo
	s_waitcnt lgkmcnt(5)
	global_store_b32 v[11:12], v10, off
	s_or_b32 exec_lo, exec_lo, s1
	s_mov_b32 s1, exec_lo
	v_cmpx_gt_u32_e64 s22, v29
	s_cbranch_execnz .LBB574_139
.LBB574_174:
	s_or_b32 exec_lo, exec_lo, s1
	s_delay_alu instid0(SALU_CYCLE_1)
	s_mov_b32 s1, exec_lo
	v_cmpx_gt_u32_e64 s22, v28
	s_cbranch_execz .LBB574_144
.LBB574_175:
	s_mov_b32 s2, exec_lo
                                        ; implicit-def: $vgpr9_vgpr10
	v_cmpx_ge_u32_e64 v28, v16
	s_xor_b32 s2, exec_lo, s2
	s_cbranch_execz .LBB574_177
; %bb.176:
	s_waitcnt lgkmcnt(4)
	v_xor_b32_e32 v7, 0xfffffaff, v0
                                        ; implicit-def: $vgpr28
	s_delay_alu instid0(VALU_DEP_1) | instskip(SKIP_1) | instid1(VALU_DEP_2)
	v_ashrrev_i32_e32 v10, 31, v7
	v_add_co_u32 v9, vcc_lo, v20, v7
	v_add_co_ci_u32_e32 v10, vcc_lo, v21, v10, vcc_lo
.LBB574_177:
	s_and_not1_saveexec_b32 s2, s2
	s_cbranch_execz .LBB574_179
; %bb.178:
	s_waitcnt lgkmcnt(5)
	v_add_co_u32 v9, vcc_lo, v15, v28
	v_add_co_ci_u32_e32 v10, vcc_lo, 0, v17, vcc_lo
.LBB574_179:
	s_or_b32 exec_lo, exec_lo, s2
	s_waitcnt lgkmcnt(5)
	s_delay_alu instid0(VALU_DEP_1) | instskip(NEXT) | instid1(VALU_DEP_1)
	v_lshlrev_b64 v[9:10], 2, v[9:10]
	v_add_co_u32 v9, vcc_lo, s10, v9
	s_delay_alu instid0(VALU_DEP_2) | instskip(SKIP_3) | instid1(SALU_CYCLE_1)
	v_add_co_ci_u32_e32 v10, vcc_lo, s11, v10, vcc_lo
	s_waitcnt lgkmcnt(4)
	global_store_b32 v[9:10], v8, off
	s_or_b32 exec_lo, exec_lo, s1
	s_mov_b32 s1, exec_lo
	v_cmpx_gt_u32_e64 s22, v27
	s_cbranch_execnz .LBB574_145
.LBB574_180:
	s_or_b32 exec_lo, exec_lo, s1
	s_delay_alu instid0(SALU_CYCLE_1)
	s_mov_b32 s1, exec_lo
	v_cmpx_gt_u32_e64 s22, v26
	s_cbranch_execz .LBB574_150
.LBB574_181:
	s_mov_b32 s2, exec_lo
                                        ; implicit-def: $vgpr7_vgpr8
	v_cmpx_ge_u32_e64 v26, v16
	s_xor_b32 s2, exec_lo, s2
	s_cbranch_execz .LBB574_183
; %bb.182:
	s_waitcnt lgkmcnt(3)
	v_xor_b32_e32 v5, 0xfffff8ff, v0
                                        ; implicit-def: $vgpr26
	s_delay_alu instid0(VALU_DEP_1) | instskip(SKIP_1) | instid1(VALU_DEP_2)
	v_ashrrev_i32_e32 v8, 31, v5
	v_add_co_u32 v7, vcc_lo, v20, v5
	v_add_co_ci_u32_e32 v8, vcc_lo, v21, v8, vcc_lo
.LBB574_183:
	s_and_not1_saveexec_b32 s2, s2
	s_cbranch_execz .LBB574_185
; %bb.184:
	s_waitcnt lgkmcnt(4)
	v_add_co_u32 v7, vcc_lo, v15, v26
	v_add_co_ci_u32_e32 v8, vcc_lo, 0, v17, vcc_lo
.LBB574_185:
	s_or_b32 exec_lo, exec_lo, s2
	s_waitcnt lgkmcnt(4)
	s_delay_alu instid0(VALU_DEP_1) | instskip(NEXT) | instid1(VALU_DEP_1)
	v_lshlrev_b64 v[7:8], 2, v[7:8]
	v_add_co_u32 v7, vcc_lo, s10, v7
	s_delay_alu instid0(VALU_DEP_2) | instskip(SKIP_3) | instid1(SALU_CYCLE_1)
	v_add_co_ci_u32_e32 v8, vcc_lo, s11, v8, vcc_lo
	s_waitcnt lgkmcnt(3)
	global_store_b32 v[7:8], v6, off
	s_or_b32 exec_lo, exec_lo, s1
	s_mov_b32 s1, exec_lo
	v_cmpx_gt_u32_e64 s22, v25
	s_cbranch_execnz .LBB574_151
.LBB574_186:
	s_or_b32 exec_lo, exec_lo, s1
	s_delay_alu instid0(SALU_CYCLE_1)
	s_mov_b32 s1, exec_lo
	v_cmpx_gt_u32_e64 s22, v24
	s_cbranch_execz .LBB574_156
.LBB574_187:
	s_mov_b32 s2, exec_lo
                                        ; implicit-def: $vgpr5_vgpr6
	v_cmpx_ge_u32_e64 v24, v16
	s_xor_b32 s2, exec_lo, s2
	s_cbranch_execz .LBB574_189
; %bb.188:
	s_waitcnt lgkmcnt(2)
	v_xor_b32_e32 v3, 0xfffff6ff, v0
                                        ; implicit-def: $vgpr24
	s_delay_alu instid0(VALU_DEP_1) | instskip(SKIP_1) | instid1(VALU_DEP_2)
	v_ashrrev_i32_e32 v6, 31, v3
	v_add_co_u32 v5, vcc_lo, v20, v3
	v_add_co_ci_u32_e32 v6, vcc_lo, v21, v6, vcc_lo
.LBB574_189:
	s_and_not1_saveexec_b32 s2, s2
	s_cbranch_execz .LBB574_191
; %bb.190:
	s_waitcnt lgkmcnt(3)
	v_add_co_u32 v5, vcc_lo, v15, v24
	v_add_co_ci_u32_e32 v6, vcc_lo, 0, v17, vcc_lo
.LBB574_191:
	s_or_b32 exec_lo, exec_lo, s2
	s_waitcnt lgkmcnt(3)
	s_delay_alu instid0(VALU_DEP_1) | instskip(NEXT) | instid1(VALU_DEP_1)
	v_lshlrev_b64 v[5:6], 2, v[5:6]
	v_add_co_u32 v5, vcc_lo, s10, v5
	s_delay_alu instid0(VALU_DEP_2) | instskip(SKIP_3) | instid1(SALU_CYCLE_1)
	v_add_co_ci_u32_e32 v6, vcc_lo, s11, v6, vcc_lo
	s_waitcnt lgkmcnt(2)
	global_store_b32 v[5:6], v4, off
	s_or_b32 exec_lo, exec_lo, s1
	s_mov_b32 s1, exec_lo
	v_cmpx_gt_u32_e64 s22, v23
	s_cbranch_execnz .LBB574_157
.LBB574_192:
	s_or_b32 exec_lo, exec_lo, s1
	s_delay_alu instid0(SALU_CYCLE_1)
	s_mov_b32 s1, exec_lo
	v_cmpx_gt_u32_e64 s22, v22
	s_cbranch_execz .LBB574_198
.LBB574_193:
	s_mov_b32 s2, exec_lo
                                        ; implicit-def: $vgpr3_vgpr4
	v_cmpx_ge_u32_e64 v22, v16
	s_xor_b32 s2, exec_lo, s2
	s_cbranch_execz .LBB574_195
; %bb.194:
	s_waitcnt lgkmcnt(1)
	v_xor_b32_e32 v1, 0xfffff4ff, v0
                                        ; implicit-def: $vgpr22
	s_delay_alu instid0(VALU_DEP_1) | instskip(SKIP_1) | instid1(VALU_DEP_2)
	v_ashrrev_i32_e32 v4, 31, v1
	v_add_co_u32 v3, vcc_lo, v20, v1
	v_add_co_ci_u32_e32 v4, vcc_lo, v21, v4, vcc_lo
.LBB574_195:
	s_and_not1_saveexec_b32 s2, s2
	s_cbranch_execz .LBB574_197
; %bb.196:
	s_waitcnt lgkmcnt(2)
	v_add_co_u32 v3, vcc_lo, v15, v22
	v_add_co_ci_u32_e32 v4, vcc_lo, 0, v17, vcc_lo
.LBB574_197:
	s_or_b32 exec_lo, exec_lo, s2
	s_waitcnt lgkmcnt(2)
	s_delay_alu instid0(VALU_DEP_1) | instskip(NEXT) | instid1(VALU_DEP_1)
	v_lshlrev_b64 v[3:4], 2, v[3:4]
	v_add_co_u32 v3, vcc_lo, s10, v3
	s_delay_alu instid0(VALU_DEP_2)
	v_add_co_ci_u32_e32 v4, vcc_lo, s11, v4, vcc_lo
	s_waitcnt lgkmcnt(1)
	global_store_b32 v[3:4], v2, off
.LBB574_198:
	s_or_b32 exec_lo, exec_lo, s1
	s_delay_alu instid0(SALU_CYCLE_1)
	s_mov_b32 s1, exec_lo
                                        ; implicit-def: $vgpr13_vgpr14
	v_cmpx_gt_u32_e64 s22, v19
	s_cbranch_execz .LBB574_204
; %bb.199:
	s_mov_b32 s2, exec_lo
                                        ; implicit-def: $vgpr13_vgpr14
	v_cmpx_ge_u32_e64 v19, v16
	s_xor_b32 s2, exec_lo, s2
	s_cbranch_execz .LBB574_201
; %bb.200:
	s_waitcnt lgkmcnt(1)
	v_xor_b32_e32 v1, 0xfffff3ff, v0
                                        ; implicit-def: $vgpr19
	s_delay_alu instid0(VALU_DEP_1) | instskip(SKIP_1) | instid1(VALU_DEP_2)
	v_ashrrev_i32_e32 v2, 31, v1
	v_add_co_u32 v13, vcc_lo, v20, v1
	v_add_co_ci_u32_e32 v14, vcc_lo, v21, v2, vcc_lo
.LBB574_201:
	s_and_not1_saveexec_b32 s2, s2
; %bb.202:
	v_add_co_u32 v13, vcc_lo, v15, v19
	v_add_co_ci_u32_e32 v14, vcc_lo, 0, v17, vcc_lo
; %bb.203:
	s_or_b32 exec_lo, exec_lo, s2
	s_delay_alu instid0(SALU_CYCLE_1)
	s_or_b32 s0, s0, exec_lo
.LBB574_204:
	s_or_b32 exec_lo, exec_lo, s1
.LBB574_205:
	s_and_saveexec_b32 s1, s0
	s_cbranch_execz .LBB574_207
; %bb.206:
	s_waitcnt lgkmcnt(1)
	v_lshlrev_b64 v[1:2], 2, v[13:14]
	s_delay_alu instid0(VALU_DEP_1) | instskip(NEXT) | instid1(VALU_DEP_2)
	v_add_co_u32 v1, vcc_lo, s10, v1
	v_add_co_ci_u32_e32 v2, vcc_lo, s11, v2, vcc_lo
	s_waitcnt lgkmcnt(0)
	global_store_b32 v[1:2], v18, off
.LBB574_207:
	s_or_b32 exec_lo, exec_lo, s1
	v_cmp_eq_u32_e32 vcc_lo, 0, v0
	s_and_b32 s0, vcc_lo, s14
	s_delay_alu instid0(SALU_CYCLE_1)
	s_and_saveexec_b32 s1, s0
	s_cbranch_execz .LBB574_209
; %bb.208:
	v_add_co_u32 v0, vcc_lo, v15, v16
	s_waitcnt lgkmcnt(1)
	v_mov_b32_e32 v2, 0
	v_add_co_ci_u32_e32 v1, vcc_lo, 0, v17, vcc_lo
	global_store_b64 v2, v[0:1], s[8:9]
.LBB574_209:
	s_nop 0
	s_sendmsg sendmsg(MSG_DEALLOC_VGPRS)
	s_endpgm
	.section	.rodata,"a",@progbits
	.p2align	6, 0x0
	.amdhsa_kernel _ZN7rocprim17ROCPRIM_400000_NS6detail17trampoline_kernelINS0_13select_configILj256ELj13ELNS0_17block_load_methodE3ELS4_3ELS4_3ELNS0_20block_scan_algorithmE0ELj4294967295EEENS1_25partition_config_selectorILNS1_17partition_subalgoE3EjNS0_10empty_typeEbEEZZNS1_14partition_implILS8_3ELb0ES6_jNS0_17counting_iteratorIjlEEPS9_SE_NS0_5tupleIJPjSE_EEENSF_IJSE_SE_EEES9_SG_JZNS1_25segmented_radix_sort_implINS0_14default_configELb0EPKiPiPKlPlN2at6native12_GLOBAL__N_18offset_tEEE10hipError_tPvRmT1_PNSt15iterator_traitsISY_E10value_typeET2_T3_PNSZ_IS14_E10value_typeET4_jRbjT5_S1A_jjP12ihipStream_tbEUljE_EEESV_SW_SX_S14_S18_S1A_T6_T7_T9_mT8_S1C_bDpT10_ENKUlT_T0_E_clISt17integral_constantIbLb0EES1P_EEDaS1K_S1L_EUlS1K_E_NS1_11comp_targetILNS1_3genE9ELNS1_11target_archE1100ELNS1_3gpuE3ELNS1_3repE0EEENS1_30default_config_static_selectorELNS0_4arch9wavefront6targetE0EEEvSY_
		.amdhsa_group_segment_fixed_size 13324
		.amdhsa_private_segment_fixed_size 0
		.amdhsa_kernarg_size 144
		.amdhsa_user_sgpr_count 15
		.amdhsa_user_sgpr_dispatch_ptr 0
		.amdhsa_user_sgpr_queue_ptr 0
		.amdhsa_user_sgpr_kernarg_segment_ptr 1
		.amdhsa_user_sgpr_dispatch_id 0
		.amdhsa_user_sgpr_private_segment_size 0
		.amdhsa_wavefront_size32 1
		.amdhsa_uses_dynamic_stack 0
		.amdhsa_enable_private_segment 0
		.amdhsa_system_sgpr_workgroup_id_x 1
		.amdhsa_system_sgpr_workgroup_id_y 0
		.amdhsa_system_sgpr_workgroup_id_z 0
		.amdhsa_system_sgpr_workgroup_info 0
		.amdhsa_system_vgpr_workitem_id 0
		.amdhsa_next_free_vgpr 57
		.amdhsa_next_free_sgpr 28
		.amdhsa_reserve_vcc 1
		.amdhsa_float_round_mode_32 0
		.amdhsa_float_round_mode_16_64 0
		.amdhsa_float_denorm_mode_32 3
		.amdhsa_float_denorm_mode_16_64 3
		.amdhsa_dx10_clamp 1
		.amdhsa_ieee_mode 1
		.amdhsa_fp16_overflow 0
		.amdhsa_workgroup_processor_mode 1
		.amdhsa_memory_ordered 1
		.amdhsa_forward_progress 0
		.amdhsa_shared_vgpr_count 0
		.amdhsa_exception_fp_ieee_invalid_op 0
		.amdhsa_exception_fp_denorm_src 0
		.amdhsa_exception_fp_ieee_div_zero 0
		.amdhsa_exception_fp_ieee_overflow 0
		.amdhsa_exception_fp_ieee_underflow 0
		.amdhsa_exception_fp_ieee_inexact 0
		.amdhsa_exception_int_div_zero 0
	.end_amdhsa_kernel
	.section	.text._ZN7rocprim17ROCPRIM_400000_NS6detail17trampoline_kernelINS0_13select_configILj256ELj13ELNS0_17block_load_methodE3ELS4_3ELS4_3ELNS0_20block_scan_algorithmE0ELj4294967295EEENS1_25partition_config_selectorILNS1_17partition_subalgoE3EjNS0_10empty_typeEbEEZZNS1_14partition_implILS8_3ELb0ES6_jNS0_17counting_iteratorIjlEEPS9_SE_NS0_5tupleIJPjSE_EEENSF_IJSE_SE_EEES9_SG_JZNS1_25segmented_radix_sort_implINS0_14default_configELb0EPKiPiPKlPlN2at6native12_GLOBAL__N_18offset_tEEE10hipError_tPvRmT1_PNSt15iterator_traitsISY_E10value_typeET2_T3_PNSZ_IS14_E10value_typeET4_jRbjT5_S1A_jjP12ihipStream_tbEUljE_EEESV_SW_SX_S14_S18_S1A_T6_T7_T9_mT8_S1C_bDpT10_ENKUlT_T0_E_clISt17integral_constantIbLb0EES1P_EEDaS1K_S1L_EUlS1K_E_NS1_11comp_targetILNS1_3genE9ELNS1_11target_archE1100ELNS1_3gpuE3ELNS1_3repE0EEENS1_30default_config_static_selectorELNS0_4arch9wavefront6targetE0EEEvSY_,"axG",@progbits,_ZN7rocprim17ROCPRIM_400000_NS6detail17trampoline_kernelINS0_13select_configILj256ELj13ELNS0_17block_load_methodE3ELS4_3ELS4_3ELNS0_20block_scan_algorithmE0ELj4294967295EEENS1_25partition_config_selectorILNS1_17partition_subalgoE3EjNS0_10empty_typeEbEEZZNS1_14partition_implILS8_3ELb0ES6_jNS0_17counting_iteratorIjlEEPS9_SE_NS0_5tupleIJPjSE_EEENSF_IJSE_SE_EEES9_SG_JZNS1_25segmented_radix_sort_implINS0_14default_configELb0EPKiPiPKlPlN2at6native12_GLOBAL__N_18offset_tEEE10hipError_tPvRmT1_PNSt15iterator_traitsISY_E10value_typeET2_T3_PNSZ_IS14_E10value_typeET4_jRbjT5_S1A_jjP12ihipStream_tbEUljE_EEESV_SW_SX_S14_S18_S1A_T6_T7_T9_mT8_S1C_bDpT10_ENKUlT_T0_E_clISt17integral_constantIbLb0EES1P_EEDaS1K_S1L_EUlS1K_E_NS1_11comp_targetILNS1_3genE9ELNS1_11target_archE1100ELNS1_3gpuE3ELNS1_3repE0EEENS1_30default_config_static_selectorELNS0_4arch9wavefront6targetE0EEEvSY_,comdat
.Lfunc_end574:
	.size	_ZN7rocprim17ROCPRIM_400000_NS6detail17trampoline_kernelINS0_13select_configILj256ELj13ELNS0_17block_load_methodE3ELS4_3ELS4_3ELNS0_20block_scan_algorithmE0ELj4294967295EEENS1_25partition_config_selectorILNS1_17partition_subalgoE3EjNS0_10empty_typeEbEEZZNS1_14partition_implILS8_3ELb0ES6_jNS0_17counting_iteratorIjlEEPS9_SE_NS0_5tupleIJPjSE_EEENSF_IJSE_SE_EEES9_SG_JZNS1_25segmented_radix_sort_implINS0_14default_configELb0EPKiPiPKlPlN2at6native12_GLOBAL__N_18offset_tEEE10hipError_tPvRmT1_PNSt15iterator_traitsISY_E10value_typeET2_T3_PNSZ_IS14_E10value_typeET4_jRbjT5_S1A_jjP12ihipStream_tbEUljE_EEESV_SW_SX_S14_S18_S1A_T6_T7_T9_mT8_S1C_bDpT10_ENKUlT_T0_E_clISt17integral_constantIbLb0EES1P_EEDaS1K_S1L_EUlS1K_E_NS1_11comp_targetILNS1_3genE9ELNS1_11target_archE1100ELNS1_3gpuE3ELNS1_3repE0EEENS1_30default_config_static_selectorELNS0_4arch9wavefront6targetE0EEEvSY_, .Lfunc_end574-_ZN7rocprim17ROCPRIM_400000_NS6detail17trampoline_kernelINS0_13select_configILj256ELj13ELNS0_17block_load_methodE3ELS4_3ELS4_3ELNS0_20block_scan_algorithmE0ELj4294967295EEENS1_25partition_config_selectorILNS1_17partition_subalgoE3EjNS0_10empty_typeEbEEZZNS1_14partition_implILS8_3ELb0ES6_jNS0_17counting_iteratorIjlEEPS9_SE_NS0_5tupleIJPjSE_EEENSF_IJSE_SE_EEES9_SG_JZNS1_25segmented_radix_sort_implINS0_14default_configELb0EPKiPiPKlPlN2at6native12_GLOBAL__N_18offset_tEEE10hipError_tPvRmT1_PNSt15iterator_traitsISY_E10value_typeET2_T3_PNSZ_IS14_E10value_typeET4_jRbjT5_S1A_jjP12ihipStream_tbEUljE_EEESV_SW_SX_S14_S18_S1A_T6_T7_T9_mT8_S1C_bDpT10_ENKUlT_T0_E_clISt17integral_constantIbLb0EES1P_EEDaS1K_S1L_EUlS1K_E_NS1_11comp_targetILNS1_3genE9ELNS1_11target_archE1100ELNS1_3gpuE3ELNS1_3repE0EEENS1_30default_config_static_selectorELNS0_4arch9wavefront6targetE0EEEvSY_
                                        ; -- End function
	.section	.AMDGPU.csdata,"",@progbits
; Kernel info:
; codeLenInByte = 8864
; NumSgprs: 30
; NumVgprs: 57
; ScratchSize: 0
; MemoryBound: 0
; FloatMode: 240
; IeeeMode: 1
; LDSByteSize: 13324 bytes/workgroup (compile time only)
; SGPRBlocks: 3
; VGPRBlocks: 7
; NumSGPRsForWavesPerEU: 30
; NumVGPRsForWavesPerEU: 57
; Occupancy: 16
; WaveLimiterHint : 0
; COMPUTE_PGM_RSRC2:SCRATCH_EN: 0
; COMPUTE_PGM_RSRC2:USER_SGPR: 15
; COMPUTE_PGM_RSRC2:TRAP_HANDLER: 0
; COMPUTE_PGM_RSRC2:TGID_X_EN: 1
; COMPUTE_PGM_RSRC2:TGID_Y_EN: 0
; COMPUTE_PGM_RSRC2:TGID_Z_EN: 0
; COMPUTE_PGM_RSRC2:TIDIG_COMP_CNT: 0
	.section	.text._ZN7rocprim17ROCPRIM_400000_NS6detail17trampoline_kernelINS0_13select_configILj256ELj13ELNS0_17block_load_methodE3ELS4_3ELS4_3ELNS0_20block_scan_algorithmE0ELj4294967295EEENS1_25partition_config_selectorILNS1_17partition_subalgoE3EjNS0_10empty_typeEbEEZZNS1_14partition_implILS8_3ELb0ES6_jNS0_17counting_iteratorIjlEEPS9_SE_NS0_5tupleIJPjSE_EEENSF_IJSE_SE_EEES9_SG_JZNS1_25segmented_radix_sort_implINS0_14default_configELb0EPKiPiPKlPlN2at6native12_GLOBAL__N_18offset_tEEE10hipError_tPvRmT1_PNSt15iterator_traitsISY_E10value_typeET2_T3_PNSZ_IS14_E10value_typeET4_jRbjT5_S1A_jjP12ihipStream_tbEUljE_EEESV_SW_SX_S14_S18_S1A_T6_T7_T9_mT8_S1C_bDpT10_ENKUlT_T0_E_clISt17integral_constantIbLb0EES1P_EEDaS1K_S1L_EUlS1K_E_NS1_11comp_targetILNS1_3genE8ELNS1_11target_archE1030ELNS1_3gpuE2ELNS1_3repE0EEENS1_30default_config_static_selectorELNS0_4arch9wavefront6targetE0EEEvSY_,"axG",@progbits,_ZN7rocprim17ROCPRIM_400000_NS6detail17trampoline_kernelINS0_13select_configILj256ELj13ELNS0_17block_load_methodE3ELS4_3ELS4_3ELNS0_20block_scan_algorithmE0ELj4294967295EEENS1_25partition_config_selectorILNS1_17partition_subalgoE3EjNS0_10empty_typeEbEEZZNS1_14partition_implILS8_3ELb0ES6_jNS0_17counting_iteratorIjlEEPS9_SE_NS0_5tupleIJPjSE_EEENSF_IJSE_SE_EEES9_SG_JZNS1_25segmented_radix_sort_implINS0_14default_configELb0EPKiPiPKlPlN2at6native12_GLOBAL__N_18offset_tEEE10hipError_tPvRmT1_PNSt15iterator_traitsISY_E10value_typeET2_T3_PNSZ_IS14_E10value_typeET4_jRbjT5_S1A_jjP12ihipStream_tbEUljE_EEESV_SW_SX_S14_S18_S1A_T6_T7_T9_mT8_S1C_bDpT10_ENKUlT_T0_E_clISt17integral_constantIbLb0EES1P_EEDaS1K_S1L_EUlS1K_E_NS1_11comp_targetILNS1_3genE8ELNS1_11target_archE1030ELNS1_3gpuE2ELNS1_3repE0EEENS1_30default_config_static_selectorELNS0_4arch9wavefront6targetE0EEEvSY_,comdat
	.globl	_ZN7rocprim17ROCPRIM_400000_NS6detail17trampoline_kernelINS0_13select_configILj256ELj13ELNS0_17block_load_methodE3ELS4_3ELS4_3ELNS0_20block_scan_algorithmE0ELj4294967295EEENS1_25partition_config_selectorILNS1_17partition_subalgoE3EjNS0_10empty_typeEbEEZZNS1_14partition_implILS8_3ELb0ES6_jNS0_17counting_iteratorIjlEEPS9_SE_NS0_5tupleIJPjSE_EEENSF_IJSE_SE_EEES9_SG_JZNS1_25segmented_radix_sort_implINS0_14default_configELb0EPKiPiPKlPlN2at6native12_GLOBAL__N_18offset_tEEE10hipError_tPvRmT1_PNSt15iterator_traitsISY_E10value_typeET2_T3_PNSZ_IS14_E10value_typeET4_jRbjT5_S1A_jjP12ihipStream_tbEUljE_EEESV_SW_SX_S14_S18_S1A_T6_T7_T9_mT8_S1C_bDpT10_ENKUlT_T0_E_clISt17integral_constantIbLb0EES1P_EEDaS1K_S1L_EUlS1K_E_NS1_11comp_targetILNS1_3genE8ELNS1_11target_archE1030ELNS1_3gpuE2ELNS1_3repE0EEENS1_30default_config_static_selectorELNS0_4arch9wavefront6targetE0EEEvSY_ ; -- Begin function _ZN7rocprim17ROCPRIM_400000_NS6detail17trampoline_kernelINS0_13select_configILj256ELj13ELNS0_17block_load_methodE3ELS4_3ELS4_3ELNS0_20block_scan_algorithmE0ELj4294967295EEENS1_25partition_config_selectorILNS1_17partition_subalgoE3EjNS0_10empty_typeEbEEZZNS1_14partition_implILS8_3ELb0ES6_jNS0_17counting_iteratorIjlEEPS9_SE_NS0_5tupleIJPjSE_EEENSF_IJSE_SE_EEES9_SG_JZNS1_25segmented_radix_sort_implINS0_14default_configELb0EPKiPiPKlPlN2at6native12_GLOBAL__N_18offset_tEEE10hipError_tPvRmT1_PNSt15iterator_traitsISY_E10value_typeET2_T3_PNSZ_IS14_E10value_typeET4_jRbjT5_S1A_jjP12ihipStream_tbEUljE_EEESV_SW_SX_S14_S18_S1A_T6_T7_T9_mT8_S1C_bDpT10_ENKUlT_T0_E_clISt17integral_constantIbLb0EES1P_EEDaS1K_S1L_EUlS1K_E_NS1_11comp_targetILNS1_3genE8ELNS1_11target_archE1030ELNS1_3gpuE2ELNS1_3repE0EEENS1_30default_config_static_selectorELNS0_4arch9wavefront6targetE0EEEvSY_
	.p2align	8
	.type	_ZN7rocprim17ROCPRIM_400000_NS6detail17trampoline_kernelINS0_13select_configILj256ELj13ELNS0_17block_load_methodE3ELS4_3ELS4_3ELNS0_20block_scan_algorithmE0ELj4294967295EEENS1_25partition_config_selectorILNS1_17partition_subalgoE3EjNS0_10empty_typeEbEEZZNS1_14partition_implILS8_3ELb0ES6_jNS0_17counting_iteratorIjlEEPS9_SE_NS0_5tupleIJPjSE_EEENSF_IJSE_SE_EEES9_SG_JZNS1_25segmented_radix_sort_implINS0_14default_configELb0EPKiPiPKlPlN2at6native12_GLOBAL__N_18offset_tEEE10hipError_tPvRmT1_PNSt15iterator_traitsISY_E10value_typeET2_T3_PNSZ_IS14_E10value_typeET4_jRbjT5_S1A_jjP12ihipStream_tbEUljE_EEESV_SW_SX_S14_S18_S1A_T6_T7_T9_mT8_S1C_bDpT10_ENKUlT_T0_E_clISt17integral_constantIbLb0EES1P_EEDaS1K_S1L_EUlS1K_E_NS1_11comp_targetILNS1_3genE8ELNS1_11target_archE1030ELNS1_3gpuE2ELNS1_3repE0EEENS1_30default_config_static_selectorELNS0_4arch9wavefront6targetE0EEEvSY_,@function
_ZN7rocprim17ROCPRIM_400000_NS6detail17trampoline_kernelINS0_13select_configILj256ELj13ELNS0_17block_load_methodE3ELS4_3ELS4_3ELNS0_20block_scan_algorithmE0ELj4294967295EEENS1_25partition_config_selectorILNS1_17partition_subalgoE3EjNS0_10empty_typeEbEEZZNS1_14partition_implILS8_3ELb0ES6_jNS0_17counting_iteratorIjlEEPS9_SE_NS0_5tupleIJPjSE_EEENSF_IJSE_SE_EEES9_SG_JZNS1_25segmented_radix_sort_implINS0_14default_configELb0EPKiPiPKlPlN2at6native12_GLOBAL__N_18offset_tEEE10hipError_tPvRmT1_PNSt15iterator_traitsISY_E10value_typeET2_T3_PNSZ_IS14_E10value_typeET4_jRbjT5_S1A_jjP12ihipStream_tbEUljE_EEESV_SW_SX_S14_S18_S1A_T6_T7_T9_mT8_S1C_bDpT10_ENKUlT_T0_E_clISt17integral_constantIbLb0EES1P_EEDaS1K_S1L_EUlS1K_E_NS1_11comp_targetILNS1_3genE8ELNS1_11target_archE1030ELNS1_3gpuE2ELNS1_3repE0EEENS1_30default_config_static_selectorELNS0_4arch9wavefront6targetE0EEEvSY_: ; @_ZN7rocprim17ROCPRIM_400000_NS6detail17trampoline_kernelINS0_13select_configILj256ELj13ELNS0_17block_load_methodE3ELS4_3ELS4_3ELNS0_20block_scan_algorithmE0ELj4294967295EEENS1_25partition_config_selectorILNS1_17partition_subalgoE3EjNS0_10empty_typeEbEEZZNS1_14partition_implILS8_3ELb0ES6_jNS0_17counting_iteratorIjlEEPS9_SE_NS0_5tupleIJPjSE_EEENSF_IJSE_SE_EEES9_SG_JZNS1_25segmented_radix_sort_implINS0_14default_configELb0EPKiPiPKlPlN2at6native12_GLOBAL__N_18offset_tEEE10hipError_tPvRmT1_PNSt15iterator_traitsISY_E10value_typeET2_T3_PNSZ_IS14_E10value_typeET4_jRbjT5_S1A_jjP12ihipStream_tbEUljE_EEESV_SW_SX_S14_S18_S1A_T6_T7_T9_mT8_S1C_bDpT10_ENKUlT_T0_E_clISt17integral_constantIbLb0EES1P_EEDaS1K_S1L_EUlS1K_E_NS1_11comp_targetILNS1_3genE8ELNS1_11target_archE1030ELNS1_3gpuE2ELNS1_3repE0EEENS1_30default_config_static_selectorELNS0_4arch9wavefront6targetE0EEEvSY_
; %bb.0:
	.section	.rodata,"a",@progbits
	.p2align	6, 0x0
	.amdhsa_kernel _ZN7rocprim17ROCPRIM_400000_NS6detail17trampoline_kernelINS0_13select_configILj256ELj13ELNS0_17block_load_methodE3ELS4_3ELS4_3ELNS0_20block_scan_algorithmE0ELj4294967295EEENS1_25partition_config_selectorILNS1_17partition_subalgoE3EjNS0_10empty_typeEbEEZZNS1_14partition_implILS8_3ELb0ES6_jNS0_17counting_iteratorIjlEEPS9_SE_NS0_5tupleIJPjSE_EEENSF_IJSE_SE_EEES9_SG_JZNS1_25segmented_radix_sort_implINS0_14default_configELb0EPKiPiPKlPlN2at6native12_GLOBAL__N_18offset_tEEE10hipError_tPvRmT1_PNSt15iterator_traitsISY_E10value_typeET2_T3_PNSZ_IS14_E10value_typeET4_jRbjT5_S1A_jjP12ihipStream_tbEUljE_EEESV_SW_SX_S14_S18_S1A_T6_T7_T9_mT8_S1C_bDpT10_ENKUlT_T0_E_clISt17integral_constantIbLb0EES1P_EEDaS1K_S1L_EUlS1K_E_NS1_11comp_targetILNS1_3genE8ELNS1_11target_archE1030ELNS1_3gpuE2ELNS1_3repE0EEENS1_30default_config_static_selectorELNS0_4arch9wavefront6targetE0EEEvSY_
		.amdhsa_group_segment_fixed_size 0
		.amdhsa_private_segment_fixed_size 0
		.amdhsa_kernarg_size 144
		.amdhsa_user_sgpr_count 15
		.amdhsa_user_sgpr_dispatch_ptr 0
		.amdhsa_user_sgpr_queue_ptr 0
		.amdhsa_user_sgpr_kernarg_segment_ptr 1
		.amdhsa_user_sgpr_dispatch_id 0
		.amdhsa_user_sgpr_private_segment_size 0
		.amdhsa_wavefront_size32 1
		.amdhsa_uses_dynamic_stack 0
		.amdhsa_enable_private_segment 0
		.amdhsa_system_sgpr_workgroup_id_x 1
		.amdhsa_system_sgpr_workgroup_id_y 0
		.amdhsa_system_sgpr_workgroup_id_z 0
		.amdhsa_system_sgpr_workgroup_info 0
		.amdhsa_system_vgpr_workitem_id 0
		.amdhsa_next_free_vgpr 1
		.amdhsa_next_free_sgpr 1
		.amdhsa_reserve_vcc 0
		.amdhsa_float_round_mode_32 0
		.amdhsa_float_round_mode_16_64 0
		.amdhsa_float_denorm_mode_32 3
		.amdhsa_float_denorm_mode_16_64 3
		.amdhsa_dx10_clamp 1
		.amdhsa_ieee_mode 1
		.amdhsa_fp16_overflow 0
		.amdhsa_workgroup_processor_mode 1
		.amdhsa_memory_ordered 1
		.amdhsa_forward_progress 0
		.amdhsa_shared_vgpr_count 0
		.amdhsa_exception_fp_ieee_invalid_op 0
		.amdhsa_exception_fp_denorm_src 0
		.amdhsa_exception_fp_ieee_div_zero 0
		.amdhsa_exception_fp_ieee_overflow 0
		.amdhsa_exception_fp_ieee_underflow 0
		.amdhsa_exception_fp_ieee_inexact 0
		.amdhsa_exception_int_div_zero 0
	.end_amdhsa_kernel
	.section	.text._ZN7rocprim17ROCPRIM_400000_NS6detail17trampoline_kernelINS0_13select_configILj256ELj13ELNS0_17block_load_methodE3ELS4_3ELS4_3ELNS0_20block_scan_algorithmE0ELj4294967295EEENS1_25partition_config_selectorILNS1_17partition_subalgoE3EjNS0_10empty_typeEbEEZZNS1_14partition_implILS8_3ELb0ES6_jNS0_17counting_iteratorIjlEEPS9_SE_NS0_5tupleIJPjSE_EEENSF_IJSE_SE_EEES9_SG_JZNS1_25segmented_radix_sort_implINS0_14default_configELb0EPKiPiPKlPlN2at6native12_GLOBAL__N_18offset_tEEE10hipError_tPvRmT1_PNSt15iterator_traitsISY_E10value_typeET2_T3_PNSZ_IS14_E10value_typeET4_jRbjT5_S1A_jjP12ihipStream_tbEUljE_EEESV_SW_SX_S14_S18_S1A_T6_T7_T9_mT8_S1C_bDpT10_ENKUlT_T0_E_clISt17integral_constantIbLb0EES1P_EEDaS1K_S1L_EUlS1K_E_NS1_11comp_targetILNS1_3genE8ELNS1_11target_archE1030ELNS1_3gpuE2ELNS1_3repE0EEENS1_30default_config_static_selectorELNS0_4arch9wavefront6targetE0EEEvSY_,"axG",@progbits,_ZN7rocprim17ROCPRIM_400000_NS6detail17trampoline_kernelINS0_13select_configILj256ELj13ELNS0_17block_load_methodE3ELS4_3ELS4_3ELNS0_20block_scan_algorithmE0ELj4294967295EEENS1_25partition_config_selectorILNS1_17partition_subalgoE3EjNS0_10empty_typeEbEEZZNS1_14partition_implILS8_3ELb0ES6_jNS0_17counting_iteratorIjlEEPS9_SE_NS0_5tupleIJPjSE_EEENSF_IJSE_SE_EEES9_SG_JZNS1_25segmented_radix_sort_implINS0_14default_configELb0EPKiPiPKlPlN2at6native12_GLOBAL__N_18offset_tEEE10hipError_tPvRmT1_PNSt15iterator_traitsISY_E10value_typeET2_T3_PNSZ_IS14_E10value_typeET4_jRbjT5_S1A_jjP12ihipStream_tbEUljE_EEESV_SW_SX_S14_S18_S1A_T6_T7_T9_mT8_S1C_bDpT10_ENKUlT_T0_E_clISt17integral_constantIbLb0EES1P_EEDaS1K_S1L_EUlS1K_E_NS1_11comp_targetILNS1_3genE8ELNS1_11target_archE1030ELNS1_3gpuE2ELNS1_3repE0EEENS1_30default_config_static_selectorELNS0_4arch9wavefront6targetE0EEEvSY_,comdat
.Lfunc_end575:
	.size	_ZN7rocprim17ROCPRIM_400000_NS6detail17trampoline_kernelINS0_13select_configILj256ELj13ELNS0_17block_load_methodE3ELS4_3ELS4_3ELNS0_20block_scan_algorithmE0ELj4294967295EEENS1_25partition_config_selectorILNS1_17partition_subalgoE3EjNS0_10empty_typeEbEEZZNS1_14partition_implILS8_3ELb0ES6_jNS0_17counting_iteratorIjlEEPS9_SE_NS0_5tupleIJPjSE_EEENSF_IJSE_SE_EEES9_SG_JZNS1_25segmented_radix_sort_implINS0_14default_configELb0EPKiPiPKlPlN2at6native12_GLOBAL__N_18offset_tEEE10hipError_tPvRmT1_PNSt15iterator_traitsISY_E10value_typeET2_T3_PNSZ_IS14_E10value_typeET4_jRbjT5_S1A_jjP12ihipStream_tbEUljE_EEESV_SW_SX_S14_S18_S1A_T6_T7_T9_mT8_S1C_bDpT10_ENKUlT_T0_E_clISt17integral_constantIbLb0EES1P_EEDaS1K_S1L_EUlS1K_E_NS1_11comp_targetILNS1_3genE8ELNS1_11target_archE1030ELNS1_3gpuE2ELNS1_3repE0EEENS1_30default_config_static_selectorELNS0_4arch9wavefront6targetE0EEEvSY_, .Lfunc_end575-_ZN7rocprim17ROCPRIM_400000_NS6detail17trampoline_kernelINS0_13select_configILj256ELj13ELNS0_17block_load_methodE3ELS4_3ELS4_3ELNS0_20block_scan_algorithmE0ELj4294967295EEENS1_25partition_config_selectorILNS1_17partition_subalgoE3EjNS0_10empty_typeEbEEZZNS1_14partition_implILS8_3ELb0ES6_jNS0_17counting_iteratorIjlEEPS9_SE_NS0_5tupleIJPjSE_EEENSF_IJSE_SE_EEES9_SG_JZNS1_25segmented_radix_sort_implINS0_14default_configELb0EPKiPiPKlPlN2at6native12_GLOBAL__N_18offset_tEEE10hipError_tPvRmT1_PNSt15iterator_traitsISY_E10value_typeET2_T3_PNSZ_IS14_E10value_typeET4_jRbjT5_S1A_jjP12ihipStream_tbEUljE_EEESV_SW_SX_S14_S18_S1A_T6_T7_T9_mT8_S1C_bDpT10_ENKUlT_T0_E_clISt17integral_constantIbLb0EES1P_EEDaS1K_S1L_EUlS1K_E_NS1_11comp_targetILNS1_3genE8ELNS1_11target_archE1030ELNS1_3gpuE2ELNS1_3repE0EEENS1_30default_config_static_selectorELNS0_4arch9wavefront6targetE0EEEvSY_
                                        ; -- End function
	.section	.AMDGPU.csdata,"",@progbits
; Kernel info:
; codeLenInByte = 0
; NumSgprs: 0
; NumVgprs: 0
; ScratchSize: 0
; MemoryBound: 0
; FloatMode: 240
; IeeeMode: 1
; LDSByteSize: 0 bytes/workgroup (compile time only)
; SGPRBlocks: 0
; VGPRBlocks: 0
; NumSGPRsForWavesPerEU: 1
; NumVGPRsForWavesPerEU: 1
; Occupancy: 16
; WaveLimiterHint : 0
; COMPUTE_PGM_RSRC2:SCRATCH_EN: 0
; COMPUTE_PGM_RSRC2:USER_SGPR: 15
; COMPUTE_PGM_RSRC2:TRAP_HANDLER: 0
; COMPUTE_PGM_RSRC2:TGID_X_EN: 1
; COMPUTE_PGM_RSRC2:TGID_Y_EN: 0
; COMPUTE_PGM_RSRC2:TGID_Z_EN: 0
; COMPUTE_PGM_RSRC2:TIDIG_COMP_CNT: 0
	.section	.text._ZN7rocprim17ROCPRIM_400000_NS6detail17trampoline_kernelINS0_13select_configILj256ELj13ELNS0_17block_load_methodE3ELS4_3ELS4_3ELNS0_20block_scan_algorithmE0ELj4294967295EEENS1_25partition_config_selectorILNS1_17partition_subalgoE3EjNS0_10empty_typeEbEEZZNS1_14partition_implILS8_3ELb0ES6_jNS0_17counting_iteratorIjlEEPS9_SE_NS0_5tupleIJPjSE_EEENSF_IJSE_SE_EEES9_SG_JZNS1_25segmented_radix_sort_implINS0_14default_configELb0EPKiPiPKlPlN2at6native12_GLOBAL__N_18offset_tEEE10hipError_tPvRmT1_PNSt15iterator_traitsISY_E10value_typeET2_T3_PNSZ_IS14_E10value_typeET4_jRbjT5_S1A_jjP12ihipStream_tbEUljE_EEESV_SW_SX_S14_S18_S1A_T6_T7_T9_mT8_S1C_bDpT10_ENKUlT_T0_E_clISt17integral_constantIbLb1EES1P_EEDaS1K_S1L_EUlS1K_E_NS1_11comp_targetILNS1_3genE0ELNS1_11target_archE4294967295ELNS1_3gpuE0ELNS1_3repE0EEENS1_30default_config_static_selectorELNS0_4arch9wavefront6targetE0EEEvSY_,"axG",@progbits,_ZN7rocprim17ROCPRIM_400000_NS6detail17trampoline_kernelINS0_13select_configILj256ELj13ELNS0_17block_load_methodE3ELS4_3ELS4_3ELNS0_20block_scan_algorithmE0ELj4294967295EEENS1_25partition_config_selectorILNS1_17partition_subalgoE3EjNS0_10empty_typeEbEEZZNS1_14partition_implILS8_3ELb0ES6_jNS0_17counting_iteratorIjlEEPS9_SE_NS0_5tupleIJPjSE_EEENSF_IJSE_SE_EEES9_SG_JZNS1_25segmented_radix_sort_implINS0_14default_configELb0EPKiPiPKlPlN2at6native12_GLOBAL__N_18offset_tEEE10hipError_tPvRmT1_PNSt15iterator_traitsISY_E10value_typeET2_T3_PNSZ_IS14_E10value_typeET4_jRbjT5_S1A_jjP12ihipStream_tbEUljE_EEESV_SW_SX_S14_S18_S1A_T6_T7_T9_mT8_S1C_bDpT10_ENKUlT_T0_E_clISt17integral_constantIbLb1EES1P_EEDaS1K_S1L_EUlS1K_E_NS1_11comp_targetILNS1_3genE0ELNS1_11target_archE4294967295ELNS1_3gpuE0ELNS1_3repE0EEENS1_30default_config_static_selectorELNS0_4arch9wavefront6targetE0EEEvSY_,comdat
	.globl	_ZN7rocprim17ROCPRIM_400000_NS6detail17trampoline_kernelINS0_13select_configILj256ELj13ELNS0_17block_load_methodE3ELS4_3ELS4_3ELNS0_20block_scan_algorithmE0ELj4294967295EEENS1_25partition_config_selectorILNS1_17partition_subalgoE3EjNS0_10empty_typeEbEEZZNS1_14partition_implILS8_3ELb0ES6_jNS0_17counting_iteratorIjlEEPS9_SE_NS0_5tupleIJPjSE_EEENSF_IJSE_SE_EEES9_SG_JZNS1_25segmented_radix_sort_implINS0_14default_configELb0EPKiPiPKlPlN2at6native12_GLOBAL__N_18offset_tEEE10hipError_tPvRmT1_PNSt15iterator_traitsISY_E10value_typeET2_T3_PNSZ_IS14_E10value_typeET4_jRbjT5_S1A_jjP12ihipStream_tbEUljE_EEESV_SW_SX_S14_S18_S1A_T6_T7_T9_mT8_S1C_bDpT10_ENKUlT_T0_E_clISt17integral_constantIbLb1EES1P_EEDaS1K_S1L_EUlS1K_E_NS1_11comp_targetILNS1_3genE0ELNS1_11target_archE4294967295ELNS1_3gpuE0ELNS1_3repE0EEENS1_30default_config_static_selectorELNS0_4arch9wavefront6targetE0EEEvSY_ ; -- Begin function _ZN7rocprim17ROCPRIM_400000_NS6detail17trampoline_kernelINS0_13select_configILj256ELj13ELNS0_17block_load_methodE3ELS4_3ELS4_3ELNS0_20block_scan_algorithmE0ELj4294967295EEENS1_25partition_config_selectorILNS1_17partition_subalgoE3EjNS0_10empty_typeEbEEZZNS1_14partition_implILS8_3ELb0ES6_jNS0_17counting_iteratorIjlEEPS9_SE_NS0_5tupleIJPjSE_EEENSF_IJSE_SE_EEES9_SG_JZNS1_25segmented_radix_sort_implINS0_14default_configELb0EPKiPiPKlPlN2at6native12_GLOBAL__N_18offset_tEEE10hipError_tPvRmT1_PNSt15iterator_traitsISY_E10value_typeET2_T3_PNSZ_IS14_E10value_typeET4_jRbjT5_S1A_jjP12ihipStream_tbEUljE_EEESV_SW_SX_S14_S18_S1A_T6_T7_T9_mT8_S1C_bDpT10_ENKUlT_T0_E_clISt17integral_constantIbLb1EES1P_EEDaS1K_S1L_EUlS1K_E_NS1_11comp_targetILNS1_3genE0ELNS1_11target_archE4294967295ELNS1_3gpuE0ELNS1_3repE0EEENS1_30default_config_static_selectorELNS0_4arch9wavefront6targetE0EEEvSY_
	.p2align	8
	.type	_ZN7rocprim17ROCPRIM_400000_NS6detail17trampoline_kernelINS0_13select_configILj256ELj13ELNS0_17block_load_methodE3ELS4_3ELS4_3ELNS0_20block_scan_algorithmE0ELj4294967295EEENS1_25partition_config_selectorILNS1_17partition_subalgoE3EjNS0_10empty_typeEbEEZZNS1_14partition_implILS8_3ELb0ES6_jNS0_17counting_iteratorIjlEEPS9_SE_NS0_5tupleIJPjSE_EEENSF_IJSE_SE_EEES9_SG_JZNS1_25segmented_radix_sort_implINS0_14default_configELb0EPKiPiPKlPlN2at6native12_GLOBAL__N_18offset_tEEE10hipError_tPvRmT1_PNSt15iterator_traitsISY_E10value_typeET2_T3_PNSZ_IS14_E10value_typeET4_jRbjT5_S1A_jjP12ihipStream_tbEUljE_EEESV_SW_SX_S14_S18_S1A_T6_T7_T9_mT8_S1C_bDpT10_ENKUlT_T0_E_clISt17integral_constantIbLb1EES1P_EEDaS1K_S1L_EUlS1K_E_NS1_11comp_targetILNS1_3genE0ELNS1_11target_archE4294967295ELNS1_3gpuE0ELNS1_3repE0EEENS1_30default_config_static_selectorELNS0_4arch9wavefront6targetE0EEEvSY_,@function
_ZN7rocprim17ROCPRIM_400000_NS6detail17trampoline_kernelINS0_13select_configILj256ELj13ELNS0_17block_load_methodE3ELS4_3ELS4_3ELNS0_20block_scan_algorithmE0ELj4294967295EEENS1_25partition_config_selectorILNS1_17partition_subalgoE3EjNS0_10empty_typeEbEEZZNS1_14partition_implILS8_3ELb0ES6_jNS0_17counting_iteratorIjlEEPS9_SE_NS0_5tupleIJPjSE_EEENSF_IJSE_SE_EEES9_SG_JZNS1_25segmented_radix_sort_implINS0_14default_configELb0EPKiPiPKlPlN2at6native12_GLOBAL__N_18offset_tEEE10hipError_tPvRmT1_PNSt15iterator_traitsISY_E10value_typeET2_T3_PNSZ_IS14_E10value_typeET4_jRbjT5_S1A_jjP12ihipStream_tbEUljE_EEESV_SW_SX_S14_S18_S1A_T6_T7_T9_mT8_S1C_bDpT10_ENKUlT_T0_E_clISt17integral_constantIbLb1EES1P_EEDaS1K_S1L_EUlS1K_E_NS1_11comp_targetILNS1_3genE0ELNS1_11target_archE4294967295ELNS1_3gpuE0ELNS1_3repE0EEENS1_30default_config_static_selectorELNS0_4arch9wavefront6targetE0EEEvSY_: ; @_ZN7rocprim17ROCPRIM_400000_NS6detail17trampoline_kernelINS0_13select_configILj256ELj13ELNS0_17block_load_methodE3ELS4_3ELS4_3ELNS0_20block_scan_algorithmE0ELj4294967295EEENS1_25partition_config_selectorILNS1_17partition_subalgoE3EjNS0_10empty_typeEbEEZZNS1_14partition_implILS8_3ELb0ES6_jNS0_17counting_iteratorIjlEEPS9_SE_NS0_5tupleIJPjSE_EEENSF_IJSE_SE_EEES9_SG_JZNS1_25segmented_radix_sort_implINS0_14default_configELb0EPKiPiPKlPlN2at6native12_GLOBAL__N_18offset_tEEE10hipError_tPvRmT1_PNSt15iterator_traitsISY_E10value_typeET2_T3_PNSZ_IS14_E10value_typeET4_jRbjT5_S1A_jjP12ihipStream_tbEUljE_EEESV_SW_SX_S14_S18_S1A_T6_T7_T9_mT8_S1C_bDpT10_ENKUlT_T0_E_clISt17integral_constantIbLb1EES1P_EEDaS1K_S1L_EUlS1K_E_NS1_11comp_targetILNS1_3genE0ELNS1_11target_archE4294967295ELNS1_3gpuE0ELNS1_3repE0EEENS1_30default_config_static_selectorELNS0_4arch9wavefront6targetE0EEEvSY_
; %bb.0:
	.section	.rodata,"a",@progbits
	.p2align	6, 0x0
	.amdhsa_kernel _ZN7rocprim17ROCPRIM_400000_NS6detail17trampoline_kernelINS0_13select_configILj256ELj13ELNS0_17block_load_methodE3ELS4_3ELS4_3ELNS0_20block_scan_algorithmE0ELj4294967295EEENS1_25partition_config_selectorILNS1_17partition_subalgoE3EjNS0_10empty_typeEbEEZZNS1_14partition_implILS8_3ELb0ES6_jNS0_17counting_iteratorIjlEEPS9_SE_NS0_5tupleIJPjSE_EEENSF_IJSE_SE_EEES9_SG_JZNS1_25segmented_radix_sort_implINS0_14default_configELb0EPKiPiPKlPlN2at6native12_GLOBAL__N_18offset_tEEE10hipError_tPvRmT1_PNSt15iterator_traitsISY_E10value_typeET2_T3_PNSZ_IS14_E10value_typeET4_jRbjT5_S1A_jjP12ihipStream_tbEUljE_EEESV_SW_SX_S14_S18_S1A_T6_T7_T9_mT8_S1C_bDpT10_ENKUlT_T0_E_clISt17integral_constantIbLb1EES1P_EEDaS1K_S1L_EUlS1K_E_NS1_11comp_targetILNS1_3genE0ELNS1_11target_archE4294967295ELNS1_3gpuE0ELNS1_3repE0EEENS1_30default_config_static_selectorELNS0_4arch9wavefront6targetE0EEEvSY_
		.amdhsa_group_segment_fixed_size 0
		.amdhsa_private_segment_fixed_size 0
		.amdhsa_kernarg_size 152
		.amdhsa_user_sgpr_count 15
		.amdhsa_user_sgpr_dispatch_ptr 0
		.amdhsa_user_sgpr_queue_ptr 0
		.amdhsa_user_sgpr_kernarg_segment_ptr 1
		.amdhsa_user_sgpr_dispatch_id 0
		.amdhsa_user_sgpr_private_segment_size 0
		.amdhsa_wavefront_size32 1
		.amdhsa_uses_dynamic_stack 0
		.amdhsa_enable_private_segment 0
		.amdhsa_system_sgpr_workgroup_id_x 1
		.amdhsa_system_sgpr_workgroup_id_y 0
		.amdhsa_system_sgpr_workgroup_id_z 0
		.amdhsa_system_sgpr_workgroup_info 0
		.amdhsa_system_vgpr_workitem_id 0
		.amdhsa_next_free_vgpr 1
		.amdhsa_next_free_sgpr 1
		.amdhsa_reserve_vcc 0
		.amdhsa_float_round_mode_32 0
		.amdhsa_float_round_mode_16_64 0
		.amdhsa_float_denorm_mode_32 3
		.amdhsa_float_denorm_mode_16_64 3
		.amdhsa_dx10_clamp 1
		.amdhsa_ieee_mode 1
		.amdhsa_fp16_overflow 0
		.amdhsa_workgroup_processor_mode 1
		.amdhsa_memory_ordered 1
		.amdhsa_forward_progress 0
		.amdhsa_shared_vgpr_count 0
		.amdhsa_exception_fp_ieee_invalid_op 0
		.amdhsa_exception_fp_denorm_src 0
		.amdhsa_exception_fp_ieee_div_zero 0
		.amdhsa_exception_fp_ieee_overflow 0
		.amdhsa_exception_fp_ieee_underflow 0
		.amdhsa_exception_fp_ieee_inexact 0
		.amdhsa_exception_int_div_zero 0
	.end_amdhsa_kernel
	.section	.text._ZN7rocprim17ROCPRIM_400000_NS6detail17trampoline_kernelINS0_13select_configILj256ELj13ELNS0_17block_load_methodE3ELS4_3ELS4_3ELNS0_20block_scan_algorithmE0ELj4294967295EEENS1_25partition_config_selectorILNS1_17partition_subalgoE3EjNS0_10empty_typeEbEEZZNS1_14partition_implILS8_3ELb0ES6_jNS0_17counting_iteratorIjlEEPS9_SE_NS0_5tupleIJPjSE_EEENSF_IJSE_SE_EEES9_SG_JZNS1_25segmented_radix_sort_implINS0_14default_configELb0EPKiPiPKlPlN2at6native12_GLOBAL__N_18offset_tEEE10hipError_tPvRmT1_PNSt15iterator_traitsISY_E10value_typeET2_T3_PNSZ_IS14_E10value_typeET4_jRbjT5_S1A_jjP12ihipStream_tbEUljE_EEESV_SW_SX_S14_S18_S1A_T6_T7_T9_mT8_S1C_bDpT10_ENKUlT_T0_E_clISt17integral_constantIbLb1EES1P_EEDaS1K_S1L_EUlS1K_E_NS1_11comp_targetILNS1_3genE0ELNS1_11target_archE4294967295ELNS1_3gpuE0ELNS1_3repE0EEENS1_30default_config_static_selectorELNS0_4arch9wavefront6targetE0EEEvSY_,"axG",@progbits,_ZN7rocprim17ROCPRIM_400000_NS6detail17trampoline_kernelINS0_13select_configILj256ELj13ELNS0_17block_load_methodE3ELS4_3ELS4_3ELNS0_20block_scan_algorithmE0ELj4294967295EEENS1_25partition_config_selectorILNS1_17partition_subalgoE3EjNS0_10empty_typeEbEEZZNS1_14partition_implILS8_3ELb0ES6_jNS0_17counting_iteratorIjlEEPS9_SE_NS0_5tupleIJPjSE_EEENSF_IJSE_SE_EEES9_SG_JZNS1_25segmented_radix_sort_implINS0_14default_configELb0EPKiPiPKlPlN2at6native12_GLOBAL__N_18offset_tEEE10hipError_tPvRmT1_PNSt15iterator_traitsISY_E10value_typeET2_T3_PNSZ_IS14_E10value_typeET4_jRbjT5_S1A_jjP12ihipStream_tbEUljE_EEESV_SW_SX_S14_S18_S1A_T6_T7_T9_mT8_S1C_bDpT10_ENKUlT_T0_E_clISt17integral_constantIbLb1EES1P_EEDaS1K_S1L_EUlS1K_E_NS1_11comp_targetILNS1_3genE0ELNS1_11target_archE4294967295ELNS1_3gpuE0ELNS1_3repE0EEENS1_30default_config_static_selectorELNS0_4arch9wavefront6targetE0EEEvSY_,comdat
.Lfunc_end576:
	.size	_ZN7rocprim17ROCPRIM_400000_NS6detail17trampoline_kernelINS0_13select_configILj256ELj13ELNS0_17block_load_methodE3ELS4_3ELS4_3ELNS0_20block_scan_algorithmE0ELj4294967295EEENS1_25partition_config_selectorILNS1_17partition_subalgoE3EjNS0_10empty_typeEbEEZZNS1_14partition_implILS8_3ELb0ES6_jNS0_17counting_iteratorIjlEEPS9_SE_NS0_5tupleIJPjSE_EEENSF_IJSE_SE_EEES9_SG_JZNS1_25segmented_radix_sort_implINS0_14default_configELb0EPKiPiPKlPlN2at6native12_GLOBAL__N_18offset_tEEE10hipError_tPvRmT1_PNSt15iterator_traitsISY_E10value_typeET2_T3_PNSZ_IS14_E10value_typeET4_jRbjT5_S1A_jjP12ihipStream_tbEUljE_EEESV_SW_SX_S14_S18_S1A_T6_T7_T9_mT8_S1C_bDpT10_ENKUlT_T0_E_clISt17integral_constantIbLb1EES1P_EEDaS1K_S1L_EUlS1K_E_NS1_11comp_targetILNS1_3genE0ELNS1_11target_archE4294967295ELNS1_3gpuE0ELNS1_3repE0EEENS1_30default_config_static_selectorELNS0_4arch9wavefront6targetE0EEEvSY_, .Lfunc_end576-_ZN7rocprim17ROCPRIM_400000_NS6detail17trampoline_kernelINS0_13select_configILj256ELj13ELNS0_17block_load_methodE3ELS4_3ELS4_3ELNS0_20block_scan_algorithmE0ELj4294967295EEENS1_25partition_config_selectorILNS1_17partition_subalgoE3EjNS0_10empty_typeEbEEZZNS1_14partition_implILS8_3ELb0ES6_jNS0_17counting_iteratorIjlEEPS9_SE_NS0_5tupleIJPjSE_EEENSF_IJSE_SE_EEES9_SG_JZNS1_25segmented_radix_sort_implINS0_14default_configELb0EPKiPiPKlPlN2at6native12_GLOBAL__N_18offset_tEEE10hipError_tPvRmT1_PNSt15iterator_traitsISY_E10value_typeET2_T3_PNSZ_IS14_E10value_typeET4_jRbjT5_S1A_jjP12ihipStream_tbEUljE_EEESV_SW_SX_S14_S18_S1A_T6_T7_T9_mT8_S1C_bDpT10_ENKUlT_T0_E_clISt17integral_constantIbLb1EES1P_EEDaS1K_S1L_EUlS1K_E_NS1_11comp_targetILNS1_3genE0ELNS1_11target_archE4294967295ELNS1_3gpuE0ELNS1_3repE0EEENS1_30default_config_static_selectorELNS0_4arch9wavefront6targetE0EEEvSY_
                                        ; -- End function
	.section	.AMDGPU.csdata,"",@progbits
; Kernel info:
; codeLenInByte = 0
; NumSgprs: 0
; NumVgprs: 0
; ScratchSize: 0
; MemoryBound: 0
; FloatMode: 240
; IeeeMode: 1
; LDSByteSize: 0 bytes/workgroup (compile time only)
; SGPRBlocks: 0
; VGPRBlocks: 0
; NumSGPRsForWavesPerEU: 1
; NumVGPRsForWavesPerEU: 1
; Occupancy: 16
; WaveLimiterHint : 0
; COMPUTE_PGM_RSRC2:SCRATCH_EN: 0
; COMPUTE_PGM_RSRC2:USER_SGPR: 15
; COMPUTE_PGM_RSRC2:TRAP_HANDLER: 0
; COMPUTE_PGM_RSRC2:TGID_X_EN: 1
; COMPUTE_PGM_RSRC2:TGID_Y_EN: 0
; COMPUTE_PGM_RSRC2:TGID_Z_EN: 0
; COMPUTE_PGM_RSRC2:TIDIG_COMP_CNT: 0
	.section	.text._ZN7rocprim17ROCPRIM_400000_NS6detail17trampoline_kernelINS0_13select_configILj256ELj13ELNS0_17block_load_methodE3ELS4_3ELS4_3ELNS0_20block_scan_algorithmE0ELj4294967295EEENS1_25partition_config_selectorILNS1_17partition_subalgoE3EjNS0_10empty_typeEbEEZZNS1_14partition_implILS8_3ELb0ES6_jNS0_17counting_iteratorIjlEEPS9_SE_NS0_5tupleIJPjSE_EEENSF_IJSE_SE_EEES9_SG_JZNS1_25segmented_radix_sort_implINS0_14default_configELb0EPKiPiPKlPlN2at6native12_GLOBAL__N_18offset_tEEE10hipError_tPvRmT1_PNSt15iterator_traitsISY_E10value_typeET2_T3_PNSZ_IS14_E10value_typeET4_jRbjT5_S1A_jjP12ihipStream_tbEUljE_EEESV_SW_SX_S14_S18_S1A_T6_T7_T9_mT8_S1C_bDpT10_ENKUlT_T0_E_clISt17integral_constantIbLb1EES1P_EEDaS1K_S1L_EUlS1K_E_NS1_11comp_targetILNS1_3genE5ELNS1_11target_archE942ELNS1_3gpuE9ELNS1_3repE0EEENS1_30default_config_static_selectorELNS0_4arch9wavefront6targetE0EEEvSY_,"axG",@progbits,_ZN7rocprim17ROCPRIM_400000_NS6detail17trampoline_kernelINS0_13select_configILj256ELj13ELNS0_17block_load_methodE3ELS4_3ELS4_3ELNS0_20block_scan_algorithmE0ELj4294967295EEENS1_25partition_config_selectorILNS1_17partition_subalgoE3EjNS0_10empty_typeEbEEZZNS1_14partition_implILS8_3ELb0ES6_jNS0_17counting_iteratorIjlEEPS9_SE_NS0_5tupleIJPjSE_EEENSF_IJSE_SE_EEES9_SG_JZNS1_25segmented_radix_sort_implINS0_14default_configELb0EPKiPiPKlPlN2at6native12_GLOBAL__N_18offset_tEEE10hipError_tPvRmT1_PNSt15iterator_traitsISY_E10value_typeET2_T3_PNSZ_IS14_E10value_typeET4_jRbjT5_S1A_jjP12ihipStream_tbEUljE_EEESV_SW_SX_S14_S18_S1A_T6_T7_T9_mT8_S1C_bDpT10_ENKUlT_T0_E_clISt17integral_constantIbLb1EES1P_EEDaS1K_S1L_EUlS1K_E_NS1_11comp_targetILNS1_3genE5ELNS1_11target_archE942ELNS1_3gpuE9ELNS1_3repE0EEENS1_30default_config_static_selectorELNS0_4arch9wavefront6targetE0EEEvSY_,comdat
	.globl	_ZN7rocprim17ROCPRIM_400000_NS6detail17trampoline_kernelINS0_13select_configILj256ELj13ELNS0_17block_load_methodE3ELS4_3ELS4_3ELNS0_20block_scan_algorithmE0ELj4294967295EEENS1_25partition_config_selectorILNS1_17partition_subalgoE3EjNS0_10empty_typeEbEEZZNS1_14partition_implILS8_3ELb0ES6_jNS0_17counting_iteratorIjlEEPS9_SE_NS0_5tupleIJPjSE_EEENSF_IJSE_SE_EEES9_SG_JZNS1_25segmented_radix_sort_implINS0_14default_configELb0EPKiPiPKlPlN2at6native12_GLOBAL__N_18offset_tEEE10hipError_tPvRmT1_PNSt15iterator_traitsISY_E10value_typeET2_T3_PNSZ_IS14_E10value_typeET4_jRbjT5_S1A_jjP12ihipStream_tbEUljE_EEESV_SW_SX_S14_S18_S1A_T6_T7_T9_mT8_S1C_bDpT10_ENKUlT_T0_E_clISt17integral_constantIbLb1EES1P_EEDaS1K_S1L_EUlS1K_E_NS1_11comp_targetILNS1_3genE5ELNS1_11target_archE942ELNS1_3gpuE9ELNS1_3repE0EEENS1_30default_config_static_selectorELNS0_4arch9wavefront6targetE0EEEvSY_ ; -- Begin function _ZN7rocprim17ROCPRIM_400000_NS6detail17trampoline_kernelINS0_13select_configILj256ELj13ELNS0_17block_load_methodE3ELS4_3ELS4_3ELNS0_20block_scan_algorithmE0ELj4294967295EEENS1_25partition_config_selectorILNS1_17partition_subalgoE3EjNS0_10empty_typeEbEEZZNS1_14partition_implILS8_3ELb0ES6_jNS0_17counting_iteratorIjlEEPS9_SE_NS0_5tupleIJPjSE_EEENSF_IJSE_SE_EEES9_SG_JZNS1_25segmented_radix_sort_implINS0_14default_configELb0EPKiPiPKlPlN2at6native12_GLOBAL__N_18offset_tEEE10hipError_tPvRmT1_PNSt15iterator_traitsISY_E10value_typeET2_T3_PNSZ_IS14_E10value_typeET4_jRbjT5_S1A_jjP12ihipStream_tbEUljE_EEESV_SW_SX_S14_S18_S1A_T6_T7_T9_mT8_S1C_bDpT10_ENKUlT_T0_E_clISt17integral_constantIbLb1EES1P_EEDaS1K_S1L_EUlS1K_E_NS1_11comp_targetILNS1_3genE5ELNS1_11target_archE942ELNS1_3gpuE9ELNS1_3repE0EEENS1_30default_config_static_selectorELNS0_4arch9wavefront6targetE0EEEvSY_
	.p2align	8
	.type	_ZN7rocprim17ROCPRIM_400000_NS6detail17trampoline_kernelINS0_13select_configILj256ELj13ELNS0_17block_load_methodE3ELS4_3ELS4_3ELNS0_20block_scan_algorithmE0ELj4294967295EEENS1_25partition_config_selectorILNS1_17partition_subalgoE3EjNS0_10empty_typeEbEEZZNS1_14partition_implILS8_3ELb0ES6_jNS0_17counting_iteratorIjlEEPS9_SE_NS0_5tupleIJPjSE_EEENSF_IJSE_SE_EEES9_SG_JZNS1_25segmented_radix_sort_implINS0_14default_configELb0EPKiPiPKlPlN2at6native12_GLOBAL__N_18offset_tEEE10hipError_tPvRmT1_PNSt15iterator_traitsISY_E10value_typeET2_T3_PNSZ_IS14_E10value_typeET4_jRbjT5_S1A_jjP12ihipStream_tbEUljE_EEESV_SW_SX_S14_S18_S1A_T6_T7_T9_mT8_S1C_bDpT10_ENKUlT_T0_E_clISt17integral_constantIbLb1EES1P_EEDaS1K_S1L_EUlS1K_E_NS1_11comp_targetILNS1_3genE5ELNS1_11target_archE942ELNS1_3gpuE9ELNS1_3repE0EEENS1_30default_config_static_selectorELNS0_4arch9wavefront6targetE0EEEvSY_,@function
_ZN7rocprim17ROCPRIM_400000_NS6detail17trampoline_kernelINS0_13select_configILj256ELj13ELNS0_17block_load_methodE3ELS4_3ELS4_3ELNS0_20block_scan_algorithmE0ELj4294967295EEENS1_25partition_config_selectorILNS1_17partition_subalgoE3EjNS0_10empty_typeEbEEZZNS1_14partition_implILS8_3ELb0ES6_jNS0_17counting_iteratorIjlEEPS9_SE_NS0_5tupleIJPjSE_EEENSF_IJSE_SE_EEES9_SG_JZNS1_25segmented_radix_sort_implINS0_14default_configELb0EPKiPiPKlPlN2at6native12_GLOBAL__N_18offset_tEEE10hipError_tPvRmT1_PNSt15iterator_traitsISY_E10value_typeET2_T3_PNSZ_IS14_E10value_typeET4_jRbjT5_S1A_jjP12ihipStream_tbEUljE_EEESV_SW_SX_S14_S18_S1A_T6_T7_T9_mT8_S1C_bDpT10_ENKUlT_T0_E_clISt17integral_constantIbLb1EES1P_EEDaS1K_S1L_EUlS1K_E_NS1_11comp_targetILNS1_3genE5ELNS1_11target_archE942ELNS1_3gpuE9ELNS1_3repE0EEENS1_30default_config_static_selectorELNS0_4arch9wavefront6targetE0EEEvSY_: ; @_ZN7rocprim17ROCPRIM_400000_NS6detail17trampoline_kernelINS0_13select_configILj256ELj13ELNS0_17block_load_methodE3ELS4_3ELS4_3ELNS0_20block_scan_algorithmE0ELj4294967295EEENS1_25partition_config_selectorILNS1_17partition_subalgoE3EjNS0_10empty_typeEbEEZZNS1_14partition_implILS8_3ELb0ES6_jNS0_17counting_iteratorIjlEEPS9_SE_NS0_5tupleIJPjSE_EEENSF_IJSE_SE_EEES9_SG_JZNS1_25segmented_radix_sort_implINS0_14default_configELb0EPKiPiPKlPlN2at6native12_GLOBAL__N_18offset_tEEE10hipError_tPvRmT1_PNSt15iterator_traitsISY_E10value_typeET2_T3_PNSZ_IS14_E10value_typeET4_jRbjT5_S1A_jjP12ihipStream_tbEUljE_EEESV_SW_SX_S14_S18_S1A_T6_T7_T9_mT8_S1C_bDpT10_ENKUlT_T0_E_clISt17integral_constantIbLb1EES1P_EEDaS1K_S1L_EUlS1K_E_NS1_11comp_targetILNS1_3genE5ELNS1_11target_archE942ELNS1_3gpuE9ELNS1_3repE0EEENS1_30default_config_static_selectorELNS0_4arch9wavefront6targetE0EEEvSY_
; %bb.0:
	.section	.rodata,"a",@progbits
	.p2align	6, 0x0
	.amdhsa_kernel _ZN7rocprim17ROCPRIM_400000_NS6detail17trampoline_kernelINS0_13select_configILj256ELj13ELNS0_17block_load_methodE3ELS4_3ELS4_3ELNS0_20block_scan_algorithmE0ELj4294967295EEENS1_25partition_config_selectorILNS1_17partition_subalgoE3EjNS0_10empty_typeEbEEZZNS1_14partition_implILS8_3ELb0ES6_jNS0_17counting_iteratorIjlEEPS9_SE_NS0_5tupleIJPjSE_EEENSF_IJSE_SE_EEES9_SG_JZNS1_25segmented_radix_sort_implINS0_14default_configELb0EPKiPiPKlPlN2at6native12_GLOBAL__N_18offset_tEEE10hipError_tPvRmT1_PNSt15iterator_traitsISY_E10value_typeET2_T3_PNSZ_IS14_E10value_typeET4_jRbjT5_S1A_jjP12ihipStream_tbEUljE_EEESV_SW_SX_S14_S18_S1A_T6_T7_T9_mT8_S1C_bDpT10_ENKUlT_T0_E_clISt17integral_constantIbLb1EES1P_EEDaS1K_S1L_EUlS1K_E_NS1_11comp_targetILNS1_3genE5ELNS1_11target_archE942ELNS1_3gpuE9ELNS1_3repE0EEENS1_30default_config_static_selectorELNS0_4arch9wavefront6targetE0EEEvSY_
		.amdhsa_group_segment_fixed_size 0
		.amdhsa_private_segment_fixed_size 0
		.amdhsa_kernarg_size 152
		.amdhsa_user_sgpr_count 15
		.amdhsa_user_sgpr_dispatch_ptr 0
		.amdhsa_user_sgpr_queue_ptr 0
		.amdhsa_user_sgpr_kernarg_segment_ptr 1
		.amdhsa_user_sgpr_dispatch_id 0
		.amdhsa_user_sgpr_private_segment_size 0
		.amdhsa_wavefront_size32 1
		.amdhsa_uses_dynamic_stack 0
		.amdhsa_enable_private_segment 0
		.amdhsa_system_sgpr_workgroup_id_x 1
		.amdhsa_system_sgpr_workgroup_id_y 0
		.amdhsa_system_sgpr_workgroup_id_z 0
		.amdhsa_system_sgpr_workgroup_info 0
		.amdhsa_system_vgpr_workitem_id 0
		.amdhsa_next_free_vgpr 1
		.amdhsa_next_free_sgpr 1
		.amdhsa_reserve_vcc 0
		.amdhsa_float_round_mode_32 0
		.amdhsa_float_round_mode_16_64 0
		.amdhsa_float_denorm_mode_32 3
		.amdhsa_float_denorm_mode_16_64 3
		.amdhsa_dx10_clamp 1
		.amdhsa_ieee_mode 1
		.amdhsa_fp16_overflow 0
		.amdhsa_workgroup_processor_mode 1
		.amdhsa_memory_ordered 1
		.amdhsa_forward_progress 0
		.amdhsa_shared_vgpr_count 0
		.amdhsa_exception_fp_ieee_invalid_op 0
		.amdhsa_exception_fp_denorm_src 0
		.amdhsa_exception_fp_ieee_div_zero 0
		.amdhsa_exception_fp_ieee_overflow 0
		.amdhsa_exception_fp_ieee_underflow 0
		.amdhsa_exception_fp_ieee_inexact 0
		.amdhsa_exception_int_div_zero 0
	.end_amdhsa_kernel
	.section	.text._ZN7rocprim17ROCPRIM_400000_NS6detail17trampoline_kernelINS0_13select_configILj256ELj13ELNS0_17block_load_methodE3ELS4_3ELS4_3ELNS0_20block_scan_algorithmE0ELj4294967295EEENS1_25partition_config_selectorILNS1_17partition_subalgoE3EjNS0_10empty_typeEbEEZZNS1_14partition_implILS8_3ELb0ES6_jNS0_17counting_iteratorIjlEEPS9_SE_NS0_5tupleIJPjSE_EEENSF_IJSE_SE_EEES9_SG_JZNS1_25segmented_radix_sort_implINS0_14default_configELb0EPKiPiPKlPlN2at6native12_GLOBAL__N_18offset_tEEE10hipError_tPvRmT1_PNSt15iterator_traitsISY_E10value_typeET2_T3_PNSZ_IS14_E10value_typeET4_jRbjT5_S1A_jjP12ihipStream_tbEUljE_EEESV_SW_SX_S14_S18_S1A_T6_T7_T9_mT8_S1C_bDpT10_ENKUlT_T0_E_clISt17integral_constantIbLb1EES1P_EEDaS1K_S1L_EUlS1K_E_NS1_11comp_targetILNS1_3genE5ELNS1_11target_archE942ELNS1_3gpuE9ELNS1_3repE0EEENS1_30default_config_static_selectorELNS0_4arch9wavefront6targetE0EEEvSY_,"axG",@progbits,_ZN7rocprim17ROCPRIM_400000_NS6detail17trampoline_kernelINS0_13select_configILj256ELj13ELNS0_17block_load_methodE3ELS4_3ELS4_3ELNS0_20block_scan_algorithmE0ELj4294967295EEENS1_25partition_config_selectorILNS1_17partition_subalgoE3EjNS0_10empty_typeEbEEZZNS1_14partition_implILS8_3ELb0ES6_jNS0_17counting_iteratorIjlEEPS9_SE_NS0_5tupleIJPjSE_EEENSF_IJSE_SE_EEES9_SG_JZNS1_25segmented_radix_sort_implINS0_14default_configELb0EPKiPiPKlPlN2at6native12_GLOBAL__N_18offset_tEEE10hipError_tPvRmT1_PNSt15iterator_traitsISY_E10value_typeET2_T3_PNSZ_IS14_E10value_typeET4_jRbjT5_S1A_jjP12ihipStream_tbEUljE_EEESV_SW_SX_S14_S18_S1A_T6_T7_T9_mT8_S1C_bDpT10_ENKUlT_T0_E_clISt17integral_constantIbLb1EES1P_EEDaS1K_S1L_EUlS1K_E_NS1_11comp_targetILNS1_3genE5ELNS1_11target_archE942ELNS1_3gpuE9ELNS1_3repE0EEENS1_30default_config_static_selectorELNS0_4arch9wavefront6targetE0EEEvSY_,comdat
.Lfunc_end577:
	.size	_ZN7rocprim17ROCPRIM_400000_NS6detail17trampoline_kernelINS0_13select_configILj256ELj13ELNS0_17block_load_methodE3ELS4_3ELS4_3ELNS0_20block_scan_algorithmE0ELj4294967295EEENS1_25partition_config_selectorILNS1_17partition_subalgoE3EjNS0_10empty_typeEbEEZZNS1_14partition_implILS8_3ELb0ES6_jNS0_17counting_iteratorIjlEEPS9_SE_NS0_5tupleIJPjSE_EEENSF_IJSE_SE_EEES9_SG_JZNS1_25segmented_radix_sort_implINS0_14default_configELb0EPKiPiPKlPlN2at6native12_GLOBAL__N_18offset_tEEE10hipError_tPvRmT1_PNSt15iterator_traitsISY_E10value_typeET2_T3_PNSZ_IS14_E10value_typeET4_jRbjT5_S1A_jjP12ihipStream_tbEUljE_EEESV_SW_SX_S14_S18_S1A_T6_T7_T9_mT8_S1C_bDpT10_ENKUlT_T0_E_clISt17integral_constantIbLb1EES1P_EEDaS1K_S1L_EUlS1K_E_NS1_11comp_targetILNS1_3genE5ELNS1_11target_archE942ELNS1_3gpuE9ELNS1_3repE0EEENS1_30default_config_static_selectorELNS0_4arch9wavefront6targetE0EEEvSY_, .Lfunc_end577-_ZN7rocprim17ROCPRIM_400000_NS6detail17trampoline_kernelINS0_13select_configILj256ELj13ELNS0_17block_load_methodE3ELS4_3ELS4_3ELNS0_20block_scan_algorithmE0ELj4294967295EEENS1_25partition_config_selectorILNS1_17partition_subalgoE3EjNS0_10empty_typeEbEEZZNS1_14partition_implILS8_3ELb0ES6_jNS0_17counting_iteratorIjlEEPS9_SE_NS0_5tupleIJPjSE_EEENSF_IJSE_SE_EEES9_SG_JZNS1_25segmented_radix_sort_implINS0_14default_configELb0EPKiPiPKlPlN2at6native12_GLOBAL__N_18offset_tEEE10hipError_tPvRmT1_PNSt15iterator_traitsISY_E10value_typeET2_T3_PNSZ_IS14_E10value_typeET4_jRbjT5_S1A_jjP12ihipStream_tbEUljE_EEESV_SW_SX_S14_S18_S1A_T6_T7_T9_mT8_S1C_bDpT10_ENKUlT_T0_E_clISt17integral_constantIbLb1EES1P_EEDaS1K_S1L_EUlS1K_E_NS1_11comp_targetILNS1_3genE5ELNS1_11target_archE942ELNS1_3gpuE9ELNS1_3repE0EEENS1_30default_config_static_selectorELNS0_4arch9wavefront6targetE0EEEvSY_
                                        ; -- End function
	.section	.AMDGPU.csdata,"",@progbits
; Kernel info:
; codeLenInByte = 0
; NumSgprs: 0
; NumVgprs: 0
; ScratchSize: 0
; MemoryBound: 0
; FloatMode: 240
; IeeeMode: 1
; LDSByteSize: 0 bytes/workgroup (compile time only)
; SGPRBlocks: 0
; VGPRBlocks: 0
; NumSGPRsForWavesPerEU: 1
; NumVGPRsForWavesPerEU: 1
; Occupancy: 16
; WaveLimiterHint : 0
; COMPUTE_PGM_RSRC2:SCRATCH_EN: 0
; COMPUTE_PGM_RSRC2:USER_SGPR: 15
; COMPUTE_PGM_RSRC2:TRAP_HANDLER: 0
; COMPUTE_PGM_RSRC2:TGID_X_EN: 1
; COMPUTE_PGM_RSRC2:TGID_Y_EN: 0
; COMPUTE_PGM_RSRC2:TGID_Z_EN: 0
; COMPUTE_PGM_RSRC2:TIDIG_COMP_CNT: 0
	.section	.text._ZN7rocprim17ROCPRIM_400000_NS6detail17trampoline_kernelINS0_13select_configILj256ELj13ELNS0_17block_load_methodE3ELS4_3ELS4_3ELNS0_20block_scan_algorithmE0ELj4294967295EEENS1_25partition_config_selectorILNS1_17partition_subalgoE3EjNS0_10empty_typeEbEEZZNS1_14partition_implILS8_3ELb0ES6_jNS0_17counting_iteratorIjlEEPS9_SE_NS0_5tupleIJPjSE_EEENSF_IJSE_SE_EEES9_SG_JZNS1_25segmented_radix_sort_implINS0_14default_configELb0EPKiPiPKlPlN2at6native12_GLOBAL__N_18offset_tEEE10hipError_tPvRmT1_PNSt15iterator_traitsISY_E10value_typeET2_T3_PNSZ_IS14_E10value_typeET4_jRbjT5_S1A_jjP12ihipStream_tbEUljE_EEESV_SW_SX_S14_S18_S1A_T6_T7_T9_mT8_S1C_bDpT10_ENKUlT_T0_E_clISt17integral_constantIbLb1EES1P_EEDaS1K_S1L_EUlS1K_E_NS1_11comp_targetILNS1_3genE4ELNS1_11target_archE910ELNS1_3gpuE8ELNS1_3repE0EEENS1_30default_config_static_selectorELNS0_4arch9wavefront6targetE0EEEvSY_,"axG",@progbits,_ZN7rocprim17ROCPRIM_400000_NS6detail17trampoline_kernelINS0_13select_configILj256ELj13ELNS0_17block_load_methodE3ELS4_3ELS4_3ELNS0_20block_scan_algorithmE0ELj4294967295EEENS1_25partition_config_selectorILNS1_17partition_subalgoE3EjNS0_10empty_typeEbEEZZNS1_14partition_implILS8_3ELb0ES6_jNS0_17counting_iteratorIjlEEPS9_SE_NS0_5tupleIJPjSE_EEENSF_IJSE_SE_EEES9_SG_JZNS1_25segmented_radix_sort_implINS0_14default_configELb0EPKiPiPKlPlN2at6native12_GLOBAL__N_18offset_tEEE10hipError_tPvRmT1_PNSt15iterator_traitsISY_E10value_typeET2_T3_PNSZ_IS14_E10value_typeET4_jRbjT5_S1A_jjP12ihipStream_tbEUljE_EEESV_SW_SX_S14_S18_S1A_T6_T7_T9_mT8_S1C_bDpT10_ENKUlT_T0_E_clISt17integral_constantIbLb1EES1P_EEDaS1K_S1L_EUlS1K_E_NS1_11comp_targetILNS1_3genE4ELNS1_11target_archE910ELNS1_3gpuE8ELNS1_3repE0EEENS1_30default_config_static_selectorELNS0_4arch9wavefront6targetE0EEEvSY_,comdat
	.globl	_ZN7rocprim17ROCPRIM_400000_NS6detail17trampoline_kernelINS0_13select_configILj256ELj13ELNS0_17block_load_methodE3ELS4_3ELS4_3ELNS0_20block_scan_algorithmE0ELj4294967295EEENS1_25partition_config_selectorILNS1_17partition_subalgoE3EjNS0_10empty_typeEbEEZZNS1_14partition_implILS8_3ELb0ES6_jNS0_17counting_iteratorIjlEEPS9_SE_NS0_5tupleIJPjSE_EEENSF_IJSE_SE_EEES9_SG_JZNS1_25segmented_radix_sort_implINS0_14default_configELb0EPKiPiPKlPlN2at6native12_GLOBAL__N_18offset_tEEE10hipError_tPvRmT1_PNSt15iterator_traitsISY_E10value_typeET2_T3_PNSZ_IS14_E10value_typeET4_jRbjT5_S1A_jjP12ihipStream_tbEUljE_EEESV_SW_SX_S14_S18_S1A_T6_T7_T9_mT8_S1C_bDpT10_ENKUlT_T0_E_clISt17integral_constantIbLb1EES1P_EEDaS1K_S1L_EUlS1K_E_NS1_11comp_targetILNS1_3genE4ELNS1_11target_archE910ELNS1_3gpuE8ELNS1_3repE0EEENS1_30default_config_static_selectorELNS0_4arch9wavefront6targetE0EEEvSY_ ; -- Begin function _ZN7rocprim17ROCPRIM_400000_NS6detail17trampoline_kernelINS0_13select_configILj256ELj13ELNS0_17block_load_methodE3ELS4_3ELS4_3ELNS0_20block_scan_algorithmE0ELj4294967295EEENS1_25partition_config_selectorILNS1_17partition_subalgoE3EjNS0_10empty_typeEbEEZZNS1_14partition_implILS8_3ELb0ES6_jNS0_17counting_iteratorIjlEEPS9_SE_NS0_5tupleIJPjSE_EEENSF_IJSE_SE_EEES9_SG_JZNS1_25segmented_radix_sort_implINS0_14default_configELb0EPKiPiPKlPlN2at6native12_GLOBAL__N_18offset_tEEE10hipError_tPvRmT1_PNSt15iterator_traitsISY_E10value_typeET2_T3_PNSZ_IS14_E10value_typeET4_jRbjT5_S1A_jjP12ihipStream_tbEUljE_EEESV_SW_SX_S14_S18_S1A_T6_T7_T9_mT8_S1C_bDpT10_ENKUlT_T0_E_clISt17integral_constantIbLb1EES1P_EEDaS1K_S1L_EUlS1K_E_NS1_11comp_targetILNS1_3genE4ELNS1_11target_archE910ELNS1_3gpuE8ELNS1_3repE0EEENS1_30default_config_static_selectorELNS0_4arch9wavefront6targetE0EEEvSY_
	.p2align	8
	.type	_ZN7rocprim17ROCPRIM_400000_NS6detail17trampoline_kernelINS0_13select_configILj256ELj13ELNS0_17block_load_methodE3ELS4_3ELS4_3ELNS0_20block_scan_algorithmE0ELj4294967295EEENS1_25partition_config_selectorILNS1_17partition_subalgoE3EjNS0_10empty_typeEbEEZZNS1_14partition_implILS8_3ELb0ES6_jNS0_17counting_iteratorIjlEEPS9_SE_NS0_5tupleIJPjSE_EEENSF_IJSE_SE_EEES9_SG_JZNS1_25segmented_radix_sort_implINS0_14default_configELb0EPKiPiPKlPlN2at6native12_GLOBAL__N_18offset_tEEE10hipError_tPvRmT1_PNSt15iterator_traitsISY_E10value_typeET2_T3_PNSZ_IS14_E10value_typeET4_jRbjT5_S1A_jjP12ihipStream_tbEUljE_EEESV_SW_SX_S14_S18_S1A_T6_T7_T9_mT8_S1C_bDpT10_ENKUlT_T0_E_clISt17integral_constantIbLb1EES1P_EEDaS1K_S1L_EUlS1K_E_NS1_11comp_targetILNS1_3genE4ELNS1_11target_archE910ELNS1_3gpuE8ELNS1_3repE0EEENS1_30default_config_static_selectorELNS0_4arch9wavefront6targetE0EEEvSY_,@function
_ZN7rocprim17ROCPRIM_400000_NS6detail17trampoline_kernelINS0_13select_configILj256ELj13ELNS0_17block_load_methodE3ELS4_3ELS4_3ELNS0_20block_scan_algorithmE0ELj4294967295EEENS1_25partition_config_selectorILNS1_17partition_subalgoE3EjNS0_10empty_typeEbEEZZNS1_14partition_implILS8_3ELb0ES6_jNS0_17counting_iteratorIjlEEPS9_SE_NS0_5tupleIJPjSE_EEENSF_IJSE_SE_EEES9_SG_JZNS1_25segmented_radix_sort_implINS0_14default_configELb0EPKiPiPKlPlN2at6native12_GLOBAL__N_18offset_tEEE10hipError_tPvRmT1_PNSt15iterator_traitsISY_E10value_typeET2_T3_PNSZ_IS14_E10value_typeET4_jRbjT5_S1A_jjP12ihipStream_tbEUljE_EEESV_SW_SX_S14_S18_S1A_T6_T7_T9_mT8_S1C_bDpT10_ENKUlT_T0_E_clISt17integral_constantIbLb1EES1P_EEDaS1K_S1L_EUlS1K_E_NS1_11comp_targetILNS1_3genE4ELNS1_11target_archE910ELNS1_3gpuE8ELNS1_3repE0EEENS1_30default_config_static_selectorELNS0_4arch9wavefront6targetE0EEEvSY_: ; @_ZN7rocprim17ROCPRIM_400000_NS6detail17trampoline_kernelINS0_13select_configILj256ELj13ELNS0_17block_load_methodE3ELS4_3ELS4_3ELNS0_20block_scan_algorithmE0ELj4294967295EEENS1_25partition_config_selectorILNS1_17partition_subalgoE3EjNS0_10empty_typeEbEEZZNS1_14partition_implILS8_3ELb0ES6_jNS0_17counting_iteratorIjlEEPS9_SE_NS0_5tupleIJPjSE_EEENSF_IJSE_SE_EEES9_SG_JZNS1_25segmented_radix_sort_implINS0_14default_configELb0EPKiPiPKlPlN2at6native12_GLOBAL__N_18offset_tEEE10hipError_tPvRmT1_PNSt15iterator_traitsISY_E10value_typeET2_T3_PNSZ_IS14_E10value_typeET4_jRbjT5_S1A_jjP12ihipStream_tbEUljE_EEESV_SW_SX_S14_S18_S1A_T6_T7_T9_mT8_S1C_bDpT10_ENKUlT_T0_E_clISt17integral_constantIbLb1EES1P_EEDaS1K_S1L_EUlS1K_E_NS1_11comp_targetILNS1_3genE4ELNS1_11target_archE910ELNS1_3gpuE8ELNS1_3repE0EEENS1_30default_config_static_selectorELNS0_4arch9wavefront6targetE0EEEvSY_
; %bb.0:
	.section	.rodata,"a",@progbits
	.p2align	6, 0x0
	.amdhsa_kernel _ZN7rocprim17ROCPRIM_400000_NS6detail17trampoline_kernelINS0_13select_configILj256ELj13ELNS0_17block_load_methodE3ELS4_3ELS4_3ELNS0_20block_scan_algorithmE0ELj4294967295EEENS1_25partition_config_selectorILNS1_17partition_subalgoE3EjNS0_10empty_typeEbEEZZNS1_14partition_implILS8_3ELb0ES6_jNS0_17counting_iteratorIjlEEPS9_SE_NS0_5tupleIJPjSE_EEENSF_IJSE_SE_EEES9_SG_JZNS1_25segmented_radix_sort_implINS0_14default_configELb0EPKiPiPKlPlN2at6native12_GLOBAL__N_18offset_tEEE10hipError_tPvRmT1_PNSt15iterator_traitsISY_E10value_typeET2_T3_PNSZ_IS14_E10value_typeET4_jRbjT5_S1A_jjP12ihipStream_tbEUljE_EEESV_SW_SX_S14_S18_S1A_T6_T7_T9_mT8_S1C_bDpT10_ENKUlT_T0_E_clISt17integral_constantIbLb1EES1P_EEDaS1K_S1L_EUlS1K_E_NS1_11comp_targetILNS1_3genE4ELNS1_11target_archE910ELNS1_3gpuE8ELNS1_3repE0EEENS1_30default_config_static_selectorELNS0_4arch9wavefront6targetE0EEEvSY_
		.amdhsa_group_segment_fixed_size 0
		.amdhsa_private_segment_fixed_size 0
		.amdhsa_kernarg_size 152
		.amdhsa_user_sgpr_count 15
		.amdhsa_user_sgpr_dispatch_ptr 0
		.amdhsa_user_sgpr_queue_ptr 0
		.amdhsa_user_sgpr_kernarg_segment_ptr 1
		.amdhsa_user_sgpr_dispatch_id 0
		.amdhsa_user_sgpr_private_segment_size 0
		.amdhsa_wavefront_size32 1
		.amdhsa_uses_dynamic_stack 0
		.amdhsa_enable_private_segment 0
		.amdhsa_system_sgpr_workgroup_id_x 1
		.amdhsa_system_sgpr_workgroup_id_y 0
		.amdhsa_system_sgpr_workgroup_id_z 0
		.amdhsa_system_sgpr_workgroup_info 0
		.amdhsa_system_vgpr_workitem_id 0
		.amdhsa_next_free_vgpr 1
		.amdhsa_next_free_sgpr 1
		.amdhsa_reserve_vcc 0
		.amdhsa_float_round_mode_32 0
		.amdhsa_float_round_mode_16_64 0
		.amdhsa_float_denorm_mode_32 3
		.amdhsa_float_denorm_mode_16_64 3
		.amdhsa_dx10_clamp 1
		.amdhsa_ieee_mode 1
		.amdhsa_fp16_overflow 0
		.amdhsa_workgroup_processor_mode 1
		.amdhsa_memory_ordered 1
		.amdhsa_forward_progress 0
		.amdhsa_shared_vgpr_count 0
		.amdhsa_exception_fp_ieee_invalid_op 0
		.amdhsa_exception_fp_denorm_src 0
		.amdhsa_exception_fp_ieee_div_zero 0
		.amdhsa_exception_fp_ieee_overflow 0
		.amdhsa_exception_fp_ieee_underflow 0
		.amdhsa_exception_fp_ieee_inexact 0
		.amdhsa_exception_int_div_zero 0
	.end_amdhsa_kernel
	.section	.text._ZN7rocprim17ROCPRIM_400000_NS6detail17trampoline_kernelINS0_13select_configILj256ELj13ELNS0_17block_load_methodE3ELS4_3ELS4_3ELNS0_20block_scan_algorithmE0ELj4294967295EEENS1_25partition_config_selectorILNS1_17partition_subalgoE3EjNS0_10empty_typeEbEEZZNS1_14partition_implILS8_3ELb0ES6_jNS0_17counting_iteratorIjlEEPS9_SE_NS0_5tupleIJPjSE_EEENSF_IJSE_SE_EEES9_SG_JZNS1_25segmented_radix_sort_implINS0_14default_configELb0EPKiPiPKlPlN2at6native12_GLOBAL__N_18offset_tEEE10hipError_tPvRmT1_PNSt15iterator_traitsISY_E10value_typeET2_T3_PNSZ_IS14_E10value_typeET4_jRbjT5_S1A_jjP12ihipStream_tbEUljE_EEESV_SW_SX_S14_S18_S1A_T6_T7_T9_mT8_S1C_bDpT10_ENKUlT_T0_E_clISt17integral_constantIbLb1EES1P_EEDaS1K_S1L_EUlS1K_E_NS1_11comp_targetILNS1_3genE4ELNS1_11target_archE910ELNS1_3gpuE8ELNS1_3repE0EEENS1_30default_config_static_selectorELNS0_4arch9wavefront6targetE0EEEvSY_,"axG",@progbits,_ZN7rocprim17ROCPRIM_400000_NS6detail17trampoline_kernelINS0_13select_configILj256ELj13ELNS0_17block_load_methodE3ELS4_3ELS4_3ELNS0_20block_scan_algorithmE0ELj4294967295EEENS1_25partition_config_selectorILNS1_17partition_subalgoE3EjNS0_10empty_typeEbEEZZNS1_14partition_implILS8_3ELb0ES6_jNS0_17counting_iteratorIjlEEPS9_SE_NS0_5tupleIJPjSE_EEENSF_IJSE_SE_EEES9_SG_JZNS1_25segmented_radix_sort_implINS0_14default_configELb0EPKiPiPKlPlN2at6native12_GLOBAL__N_18offset_tEEE10hipError_tPvRmT1_PNSt15iterator_traitsISY_E10value_typeET2_T3_PNSZ_IS14_E10value_typeET4_jRbjT5_S1A_jjP12ihipStream_tbEUljE_EEESV_SW_SX_S14_S18_S1A_T6_T7_T9_mT8_S1C_bDpT10_ENKUlT_T0_E_clISt17integral_constantIbLb1EES1P_EEDaS1K_S1L_EUlS1K_E_NS1_11comp_targetILNS1_3genE4ELNS1_11target_archE910ELNS1_3gpuE8ELNS1_3repE0EEENS1_30default_config_static_selectorELNS0_4arch9wavefront6targetE0EEEvSY_,comdat
.Lfunc_end578:
	.size	_ZN7rocprim17ROCPRIM_400000_NS6detail17trampoline_kernelINS0_13select_configILj256ELj13ELNS0_17block_load_methodE3ELS4_3ELS4_3ELNS0_20block_scan_algorithmE0ELj4294967295EEENS1_25partition_config_selectorILNS1_17partition_subalgoE3EjNS0_10empty_typeEbEEZZNS1_14partition_implILS8_3ELb0ES6_jNS0_17counting_iteratorIjlEEPS9_SE_NS0_5tupleIJPjSE_EEENSF_IJSE_SE_EEES9_SG_JZNS1_25segmented_radix_sort_implINS0_14default_configELb0EPKiPiPKlPlN2at6native12_GLOBAL__N_18offset_tEEE10hipError_tPvRmT1_PNSt15iterator_traitsISY_E10value_typeET2_T3_PNSZ_IS14_E10value_typeET4_jRbjT5_S1A_jjP12ihipStream_tbEUljE_EEESV_SW_SX_S14_S18_S1A_T6_T7_T9_mT8_S1C_bDpT10_ENKUlT_T0_E_clISt17integral_constantIbLb1EES1P_EEDaS1K_S1L_EUlS1K_E_NS1_11comp_targetILNS1_3genE4ELNS1_11target_archE910ELNS1_3gpuE8ELNS1_3repE0EEENS1_30default_config_static_selectorELNS0_4arch9wavefront6targetE0EEEvSY_, .Lfunc_end578-_ZN7rocprim17ROCPRIM_400000_NS6detail17trampoline_kernelINS0_13select_configILj256ELj13ELNS0_17block_load_methodE3ELS4_3ELS4_3ELNS0_20block_scan_algorithmE0ELj4294967295EEENS1_25partition_config_selectorILNS1_17partition_subalgoE3EjNS0_10empty_typeEbEEZZNS1_14partition_implILS8_3ELb0ES6_jNS0_17counting_iteratorIjlEEPS9_SE_NS0_5tupleIJPjSE_EEENSF_IJSE_SE_EEES9_SG_JZNS1_25segmented_radix_sort_implINS0_14default_configELb0EPKiPiPKlPlN2at6native12_GLOBAL__N_18offset_tEEE10hipError_tPvRmT1_PNSt15iterator_traitsISY_E10value_typeET2_T3_PNSZ_IS14_E10value_typeET4_jRbjT5_S1A_jjP12ihipStream_tbEUljE_EEESV_SW_SX_S14_S18_S1A_T6_T7_T9_mT8_S1C_bDpT10_ENKUlT_T0_E_clISt17integral_constantIbLb1EES1P_EEDaS1K_S1L_EUlS1K_E_NS1_11comp_targetILNS1_3genE4ELNS1_11target_archE910ELNS1_3gpuE8ELNS1_3repE0EEENS1_30default_config_static_selectorELNS0_4arch9wavefront6targetE0EEEvSY_
                                        ; -- End function
	.section	.AMDGPU.csdata,"",@progbits
; Kernel info:
; codeLenInByte = 0
; NumSgprs: 0
; NumVgprs: 0
; ScratchSize: 0
; MemoryBound: 0
; FloatMode: 240
; IeeeMode: 1
; LDSByteSize: 0 bytes/workgroup (compile time only)
; SGPRBlocks: 0
; VGPRBlocks: 0
; NumSGPRsForWavesPerEU: 1
; NumVGPRsForWavesPerEU: 1
; Occupancy: 16
; WaveLimiterHint : 0
; COMPUTE_PGM_RSRC2:SCRATCH_EN: 0
; COMPUTE_PGM_RSRC2:USER_SGPR: 15
; COMPUTE_PGM_RSRC2:TRAP_HANDLER: 0
; COMPUTE_PGM_RSRC2:TGID_X_EN: 1
; COMPUTE_PGM_RSRC2:TGID_Y_EN: 0
; COMPUTE_PGM_RSRC2:TGID_Z_EN: 0
; COMPUTE_PGM_RSRC2:TIDIG_COMP_CNT: 0
	.section	.text._ZN7rocprim17ROCPRIM_400000_NS6detail17trampoline_kernelINS0_13select_configILj256ELj13ELNS0_17block_load_methodE3ELS4_3ELS4_3ELNS0_20block_scan_algorithmE0ELj4294967295EEENS1_25partition_config_selectorILNS1_17partition_subalgoE3EjNS0_10empty_typeEbEEZZNS1_14partition_implILS8_3ELb0ES6_jNS0_17counting_iteratorIjlEEPS9_SE_NS0_5tupleIJPjSE_EEENSF_IJSE_SE_EEES9_SG_JZNS1_25segmented_radix_sort_implINS0_14default_configELb0EPKiPiPKlPlN2at6native12_GLOBAL__N_18offset_tEEE10hipError_tPvRmT1_PNSt15iterator_traitsISY_E10value_typeET2_T3_PNSZ_IS14_E10value_typeET4_jRbjT5_S1A_jjP12ihipStream_tbEUljE_EEESV_SW_SX_S14_S18_S1A_T6_T7_T9_mT8_S1C_bDpT10_ENKUlT_T0_E_clISt17integral_constantIbLb1EES1P_EEDaS1K_S1L_EUlS1K_E_NS1_11comp_targetILNS1_3genE3ELNS1_11target_archE908ELNS1_3gpuE7ELNS1_3repE0EEENS1_30default_config_static_selectorELNS0_4arch9wavefront6targetE0EEEvSY_,"axG",@progbits,_ZN7rocprim17ROCPRIM_400000_NS6detail17trampoline_kernelINS0_13select_configILj256ELj13ELNS0_17block_load_methodE3ELS4_3ELS4_3ELNS0_20block_scan_algorithmE0ELj4294967295EEENS1_25partition_config_selectorILNS1_17partition_subalgoE3EjNS0_10empty_typeEbEEZZNS1_14partition_implILS8_3ELb0ES6_jNS0_17counting_iteratorIjlEEPS9_SE_NS0_5tupleIJPjSE_EEENSF_IJSE_SE_EEES9_SG_JZNS1_25segmented_radix_sort_implINS0_14default_configELb0EPKiPiPKlPlN2at6native12_GLOBAL__N_18offset_tEEE10hipError_tPvRmT1_PNSt15iterator_traitsISY_E10value_typeET2_T3_PNSZ_IS14_E10value_typeET4_jRbjT5_S1A_jjP12ihipStream_tbEUljE_EEESV_SW_SX_S14_S18_S1A_T6_T7_T9_mT8_S1C_bDpT10_ENKUlT_T0_E_clISt17integral_constantIbLb1EES1P_EEDaS1K_S1L_EUlS1K_E_NS1_11comp_targetILNS1_3genE3ELNS1_11target_archE908ELNS1_3gpuE7ELNS1_3repE0EEENS1_30default_config_static_selectorELNS0_4arch9wavefront6targetE0EEEvSY_,comdat
	.globl	_ZN7rocprim17ROCPRIM_400000_NS6detail17trampoline_kernelINS0_13select_configILj256ELj13ELNS0_17block_load_methodE3ELS4_3ELS4_3ELNS0_20block_scan_algorithmE0ELj4294967295EEENS1_25partition_config_selectorILNS1_17partition_subalgoE3EjNS0_10empty_typeEbEEZZNS1_14partition_implILS8_3ELb0ES6_jNS0_17counting_iteratorIjlEEPS9_SE_NS0_5tupleIJPjSE_EEENSF_IJSE_SE_EEES9_SG_JZNS1_25segmented_radix_sort_implINS0_14default_configELb0EPKiPiPKlPlN2at6native12_GLOBAL__N_18offset_tEEE10hipError_tPvRmT1_PNSt15iterator_traitsISY_E10value_typeET2_T3_PNSZ_IS14_E10value_typeET4_jRbjT5_S1A_jjP12ihipStream_tbEUljE_EEESV_SW_SX_S14_S18_S1A_T6_T7_T9_mT8_S1C_bDpT10_ENKUlT_T0_E_clISt17integral_constantIbLb1EES1P_EEDaS1K_S1L_EUlS1K_E_NS1_11comp_targetILNS1_3genE3ELNS1_11target_archE908ELNS1_3gpuE7ELNS1_3repE0EEENS1_30default_config_static_selectorELNS0_4arch9wavefront6targetE0EEEvSY_ ; -- Begin function _ZN7rocprim17ROCPRIM_400000_NS6detail17trampoline_kernelINS0_13select_configILj256ELj13ELNS0_17block_load_methodE3ELS4_3ELS4_3ELNS0_20block_scan_algorithmE0ELj4294967295EEENS1_25partition_config_selectorILNS1_17partition_subalgoE3EjNS0_10empty_typeEbEEZZNS1_14partition_implILS8_3ELb0ES6_jNS0_17counting_iteratorIjlEEPS9_SE_NS0_5tupleIJPjSE_EEENSF_IJSE_SE_EEES9_SG_JZNS1_25segmented_radix_sort_implINS0_14default_configELb0EPKiPiPKlPlN2at6native12_GLOBAL__N_18offset_tEEE10hipError_tPvRmT1_PNSt15iterator_traitsISY_E10value_typeET2_T3_PNSZ_IS14_E10value_typeET4_jRbjT5_S1A_jjP12ihipStream_tbEUljE_EEESV_SW_SX_S14_S18_S1A_T6_T7_T9_mT8_S1C_bDpT10_ENKUlT_T0_E_clISt17integral_constantIbLb1EES1P_EEDaS1K_S1L_EUlS1K_E_NS1_11comp_targetILNS1_3genE3ELNS1_11target_archE908ELNS1_3gpuE7ELNS1_3repE0EEENS1_30default_config_static_selectorELNS0_4arch9wavefront6targetE0EEEvSY_
	.p2align	8
	.type	_ZN7rocprim17ROCPRIM_400000_NS6detail17trampoline_kernelINS0_13select_configILj256ELj13ELNS0_17block_load_methodE3ELS4_3ELS4_3ELNS0_20block_scan_algorithmE0ELj4294967295EEENS1_25partition_config_selectorILNS1_17partition_subalgoE3EjNS0_10empty_typeEbEEZZNS1_14partition_implILS8_3ELb0ES6_jNS0_17counting_iteratorIjlEEPS9_SE_NS0_5tupleIJPjSE_EEENSF_IJSE_SE_EEES9_SG_JZNS1_25segmented_radix_sort_implINS0_14default_configELb0EPKiPiPKlPlN2at6native12_GLOBAL__N_18offset_tEEE10hipError_tPvRmT1_PNSt15iterator_traitsISY_E10value_typeET2_T3_PNSZ_IS14_E10value_typeET4_jRbjT5_S1A_jjP12ihipStream_tbEUljE_EEESV_SW_SX_S14_S18_S1A_T6_T7_T9_mT8_S1C_bDpT10_ENKUlT_T0_E_clISt17integral_constantIbLb1EES1P_EEDaS1K_S1L_EUlS1K_E_NS1_11comp_targetILNS1_3genE3ELNS1_11target_archE908ELNS1_3gpuE7ELNS1_3repE0EEENS1_30default_config_static_selectorELNS0_4arch9wavefront6targetE0EEEvSY_,@function
_ZN7rocprim17ROCPRIM_400000_NS6detail17trampoline_kernelINS0_13select_configILj256ELj13ELNS0_17block_load_methodE3ELS4_3ELS4_3ELNS0_20block_scan_algorithmE0ELj4294967295EEENS1_25partition_config_selectorILNS1_17partition_subalgoE3EjNS0_10empty_typeEbEEZZNS1_14partition_implILS8_3ELb0ES6_jNS0_17counting_iteratorIjlEEPS9_SE_NS0_5tupleIJPjSE_EEENSF_IJSE_SE_EEES9_SG_JZNS1_25segmented_radix_sort_implINS0_14default_configELb0EPKiPiPKlPlN2at6native12_GLOBAL__N_18offset_tEEE10hipError_tPvRmT1_PNSt15iterator_traitsISY_E10value_typeET2_T3_PNSZ_IS14_E10value_typeET4_jRbjT5_S1A_jjP12ihipStream_tbEUljE_EEESV_SW_SX_S14_S18_S1A_T6_T7_T9_mT8_S1C_bDpT10_ENKUlT_T0_E_clISt17integral_constantIbLb1EES1P_EEDaS1K_S1L_EUlS1K_E_NS1_11comp_targetILNS1_3genE3ELNS1_11target_archE908ELNS1_3gpuE7ELNS1_3repE0EEENS1_30default_config_static_selectorELNS0_4arch9wavefront6targetE0EEEvSY_: ; @_ZN7rocprim17ROCPRIM_400000_NS6detail17trampoline_kernelINS0_13select_configILj256ELj13ELNS0_17block_load_methodE3ELS4_3ELS4_3ELNS0_20block_scan_algorithmE0ELj4294967295EEENS1_25partition_config_selectorILNS1_17partition_subalgoE3EjNS0_10empty_typeEbEEZZNS1_14partition_implILS8_3ELb0ES6_jNS0_17counting_iteratorIjlEEPS9_SE_NS0_5tupleIJPjSE_EEENSF_IJSE_SE_EEES9_SG_JZNS1_25segmented_radix_sort_implINS0_14default_configELb0EPKiPiPKlPlN2at6native12_GLOBAL__N_18offset_tEEE10hipError_tPvRmT1_PNSt15iterator_traitsISY_E10value_typeET2_T3_PNSZ_IS14_E10value_typeET4_jRbjT5_S1A_jjP12ihipStream_tbEUljE_EEESV_SW_SX_S14_S18_S1A_T6_T7_T9_mT8_S1C_bDpT10_ENKUlT_T0_E_clISt17integral_constantIbLb1EES1P_EEDaS1K_S1L_EUlS1K_E_NS1_11comp_targetILNS1_3genE3ELNS1_11target_archE908ELNS1_3gpuE7ELNS1_3repE0EEENS1_30default_config_static_selectorELNS0_4arch9wavefront6targetE0EEEvSY_
; %bb.0:
	.section	.rodata,"a",@progbits
	.p2align	6, 0x0
	.amdhsa_kernel _ZN7rocprim17ROCPRIM_400000_NS6detail17trampoline_kernelINS0_13select_configILj256ELj13ELNS0_17block_load_methodE3ELS4_3ELS4_3ELNS0_20block_scan_algorithmE0ELj4294967295EEENS1_25partition_config_selectorILNS1_17partition_subalgoE3EjNS0_10empty_typeEbEEZZNS1_14partition_implILS8_3ELb0ES6_jNS0_17counting_iteratorIjlEEPS9_SE_NS0_5tupleIJPjSE_EEENSF_IJSE_SE_EEES9_SG_JZNS1_25segmented_radix_sort_implINS0_14default_configELb0EPKiPiPKlPlN2at6native12_GLOBAL__N_18offset_tEEE10hipError_tPvRmT1_PNSt15iterator_traitsISY_E10value_typeET2_T3_PNSZ_IS14_E10value_typeET4_jRbjT5_S1A_jjP12ihipStream_tbEUljE_EEESV_SW_SX_S14_S18_S1A_T6_T7_T9_mT8_S1C_bDpT10_ENKUlT_T0_E_clISt17integral_constantIbLb1EES1P_EEDaS1K_S1L_EUlS1K_E_NS1_11comp_targetILNS1_3genE3ELNS1_11target_archE908ELNS1_3gpuE7ELNS1_3repE0EEENS1_30default_config_static_selectorELNS0_4arch9wavefront6targetE0EEEvSY_
		.amdhsa_group_segment_fixed_size 0
		.amdhsa_private_segment_fixed_size 0
		.amdhsa_kernarg_size 152
		.amdhsa_user_sgpr_count 15
		.amdhsa_user_sgpr_dispatch_ptr 0
		.amdhsa_user_sgpr_queue_ptr 0
		.amdhsa_user_sgpr_kernarg_segment_ptr 1
		.amdhsa_user_sgpr_dispatch_id 0
		.amdhsa_user_sgpr_private_segment_size 0
		.amdhsa_wavefront_size32 1
		.amdhsa_uses_dynamic_stack 0
		.amdhsa_enable_private_segment 0
		.amdhsa_system_sgpr_workgroup_id_x 1
		.amdhsa_system_sgpr_workgroup_id_y 0
		.amdhsa_system_sgpr_workgroup_id_z 0
		.amdhsa_system_sgpr_workgroup_info 0
		.amdhsa_system_vgpr_workitem_id 0
		.amdhsa_next_free_vgpr 1
		.amdhsa_next_free_sgpr 1
		.amdhsa_reserve_vcc 0
		.amdhsa_float_round_mode_32 0
		.amdhsa_float_round_mode_16_64 0
		.amdhsa_float_denorm_mode_32 3
		.amdhsa_float_denorm_mode_16_64 3
		.amdhsa_dx10_clamp 1
		.amdhsa_ieee_mode 1
		.amdhsa_fp16_overflow 0
		.amdhsa_workgroup_processor_mode 1
		.amdhsa_memory_ordered 1
		.amdhsa_forward_progress 0
		.amdhsa_shared_vgpr_count 0
		.amdhsa_exception_fp_ieee_invalid_op 0
		.amdhsa_exception_fp_denorm_src 0
		.amdhsa_exception_fp_ieee_div_zero 0
		.amdhsa_exception_fp_ieee_overflow 0
		.amdhsa_exception_fp_ieee_underflow 0
		.amdhsa_exception_fp_ieee_inexact 0
		.amdhsa_exception_int_div_zero 0
	.end_amdhsa_kernel
	.section	.text._ZN7rocprim17ROCPRIM_400000_NS6detail17trampoline_kernelINS0_13select_configILj256ELj13ELNS0_17block_load_methodE3ELS4_3ELS4_3ELNS0_20block_scan_algorithmE0ELj4294967295EEENS1_25partition_config_selectorILNS1_17partition_subalgoE3EjNS0_10empty_typeEbEEZZNS1_14partition_implILS8_3ELb0ES6_jNS0_17counting_iteratorIjlEEPS9_SE_NS0_5tupleIJPjSE_EEENSF_IJSE_SE_EEES9_SG_JZNS1_25segmented_radix_sort_implINS0_14default_configELb0EPKiPiPKlPlN2at6native12_GLOBAL__N_18offset_tEEE10hipError_tPvRmT1_PNSt15iterator_traitsISY_E10value_typeET2_T3_PNSZ_IS14_E10value_typeET4_jRbjT5_S1A_jjP12ihipStream_tbEUljE_EEESV_SW_SX_S14_S18_S1A_T6_T7_T9_mT8_S1C_bDpT10_ENKUlT_T0_E_clISt17integral_constantIbLb1EES1P_EEDaS1K_S1L_EUlS1K_E_NS1_11comp_targetILNS1_3genE3ELNS1_11target_archE908ELNS1_3gpuE7ELNS1_3repE0EEENS1_30default_config_static_selectorELNS0_4arch9wavefront6targetE0EEEvSY_,"axG",@progbits,_ZN7rocprim17ROCPRIM_400000_NS6detail17trampoline_kernelINS0_13select_configILj256ELj13ELNS0_17block_load_methodE3ELS4_3ELS4_3ELNS0_20block_scan_algorithmE0ELj4294967295EEENS1_25partition_config_selectorILNS1_17partition_subalgoE3EjNS0_10empty_typeEbEEZZNS1_14partition_implILS8_3ELb0ES6_jNS0_17counting_iteratorIjlEEPS9_SE_NS0_5tupleIJPjSE_EEENSF_IJSE_SE_EEES9_SG_JZNS1_25segmented_radix_sort_implINS0_14default_configELb0EPKiPiPKlPlN2at6native12_GLOBAL__N_18offset_tEEE10hipError_tPvRmT1_PNSt15iterator_traitsISY_E10value_typeET2_T3_PNSZ_IS14_E10value_typeET4_jRbjT5_S1A_jjP12ihipStream_tbEUljE_EEESV_SW_SX_S14_S18_S1A_T6_T7_T9_mT8_S1C_bDpT10_ENKUlT_T0_E_clISt17integral_constantIbLb1EES1P_EEDaS1K_S1L_EUlS1K_E_NS1_11comp_targetILNS1_3genE3ELNS1_11target_archE908ELNS1_3gpuE7ELNS1_3repE0EEENS1_30default_config_static_selectorELNS0_4arch9wavefront6targetE0EEEvSY_,comdat
.Lfunc_end579:
	.size	_ZN7rocprim17ROCPRIM_400000_NS6detail17trampoline_kernelINS0_13select_configILj256ELj13ELNS0_17block_load_methodE3ELS4_3ELS4_3ELNS0_20block_scan_algorithmE0ELj4294967295EEENS1_25partition_config_selectorILNS1_17partition_subalgoE3EjNS0_10empty_typeEbEEZZNS1_14partition_implILS8_3ELb0ES6_jNS0_17counting_iteratorIjlEEPS9_SE_NS0_5tupleIJPjSE_EEENSF_IJSE_SE_EEES9_SG_JZNS1_25segmented_radix_sort_implINS0_14default_configELb0EPKiPiPKlPlN2at6native12_GLOBAL__N_18offset_tEEE10hipError_tPvRmT1_PNSt15iterator_traitsISY_E10value_typeET2_T3_PNSZ_IS14_E10value_typeET4_jRbjT5_S1A_jjP12ihipStream_tbEUljE_EEESV_SW_SX_S14_S18_S1A_T6_T7_T9_mT8_S1C_bDpT10_ENKUlT_T0_E_clISt17integral_constantIbLb1EES1P_EEDaS1K_S1L_EUlS1K_E_NS1_11comp_targetILNS1_3genE3ELNS1_11target_archE908ELNS1_3gpuE7ELNS1_3repE0EEENS1_30default_config_static_selectorELNS0_4arch9wavefront6targetE0EEEvSY_, .Lfunc_end579-_ZN7rocprim17ROCPRIM_400000_NS6detail17trampoline_kernelINS0_13select_configILj256ELj13ELNS0_17block_load_methodE3ELS4_3ELS4_3ELNS0_20block_scan_algorithmE0ELj4294967295EEENS1_25partition_config_selectorILNS1_17partition_subalgoE3EjNS0_10empty_typeEbEEZZNS1_14partition_implILS8_3ELb0ES6_jNS0_17counting_iteratorIjlEEPS9_SE_NS0_5tupleIJPjSE_EEENSF_IJSE_SE_EEES9_SG_JZNS1_25segmented_radix_sort_implINS0_14default_configELb0EPKiPiPKlPlN2at6native12_GLOBAL__N_18offset_tEEE10hipError_tPvRmT1_PNSt15iterator_traitsISY_E10value_typeET2_T3_PNSZ_IS14_E10value_typeET4_jRbjT5_S1A_jjP12ihipStream_tbEUljE_EEESV_SW_SX_S14_S18_S1A_T6_T7_T9_mT8_S1C_bDpT10_ENKUlT_T0_E_clISt17integral_constantIbLb1EES1P_EEDaS1K_S1L_EUlS1K_E_NS1_11comp_targetILNS1_3genE3ELNS1_11target_archE908ELNS1_3gpuE7ELNS1_3repE0EEENS1_30default_config_static_selectorELNS0_4arch9wavefront6targetE0EEEvSY_
                                        ; -- End function
	.section	.AMDGPU.csdata,"",@progbits
; Kernel info:
; codeLenInByte = 0
; NumSgprs: 0
; NumVgprs: 0
; ScratchSize: 0
; MemoryBound: 0
; FloatMode: 240
; IeeeMode: 1
; LDSByteSize: 0 bytes/workgroup (compile time only)
; SGPRBlocks: 0
; VGPRBlocks: 0
; NumSGPRsForWavesPerEU: 1
; NumVGPRsForWavesPerEU: 1
; Occupancy: 16
; WaveLimiterHint : 0
; COMPUTE_PGM_RSRC2:SCRATCH_EN: 0
; COMPUTE_PGM_RSRC2:USER_SGPR: 15
; COMPUTE_PGM_RSRC2:TRAP_HANDLER: 0
; COMPUTE_PGM_RSRC2:TGID_X_EN: 1
; COMPUTE_PGM_RSRC2:TGID_Y_EN: 0
; COMPUTE_PGM_RSRC2:TGID_Z_EN: 0
; COMPUTE_PGM_RSRC2:TIDIG_COMP_CNT: 0
	.section	.text._ZN7rocprim17ROCPRIM_400000_NS6detail17trampoline_kernelINS0_13select_configILj256ELj13ELNS0_17block_load_methodE3ELS4_3ELS4_3ELNS0_20block_scan_algorithmE0ELj4294967295EEENS1_25partition_config_selectorILNS1_17partition_subalgoE3EjNS0_10empty_typeEbEEZZNS1_14partition_implILS8_3ELb0ES6_jNS0_17counting_iteratorIjlEEPS9_SE_NS0_5tupleIJPjSE_EEENSF_IJSE_SE_EEES9_SG_JZNS1_25segmented_radix_sort_implINS0_14default_configELb0EPKiPiPKlPlN2at6native12_GLOBAL__N_18offset_tEEE10hipError_tPvRmT1_PNSt15iterator_traitsISY_E10value_typeET2_T3_PNSZ_IS14_E10value_typeET4_jRbjT5_S1A_jjP12ihipStream_tbEUljE_EEESV_SW_SX_S14_S18_S1A_T6_T7_T9_mT8_S1C_bDpT10_ENKUlT_T0_E_clISt17integral_constantIbLb1EES1P_EEDaS1K_S1L_EUlS1K_E_NS1_11comp_targetILNS1_3genE2ELNS1_11target_archE906ELNS1_3gpuE6ELNS1_3repE0EEENS1_30default_config_static_selectorELNS0_4arch9wavefront6targetE0EEEvSY_,"axG",@progbits,_ZN7rocprim17ROCPRIM_400000_NS6detail17trampoline_kernelINS0_13select_configILj256ELj13ELNS0_17block_load_methodE3ELS4_3ELS4_3ELNS0_20block_scan_algorithmE0ELj4294967295EEENS1_25partition_config_selectorILNS1_17partition_subalgoE3EjNS0_10empty_typeEbEEZZNS1_14partition_implILS8_3ELb0ES6_jNS0_17counting_iteratorIjlEEPS9_SE_NS0_5tupleIJPjSE_EEENSF_IJSE_SE_EEES9_SG_JZNS1_25segmented_radix_sort_implINS0_14default_configELb0EPKiPiPKlPlN2at6native12_GLOBAL__N_18offset_tEEE10hipError_tPvRmT1_PNSt15iterator_traitsISY_E10value_typeET2_T3_PNSZ_IS14_E10value_typeET4_jRbjT5_S1A_jjP12ihipStream_tbEUljE_EEESV_SW_SX_S14_S18_S1A_T6_T7_T9_mT8_S1C_bDpT10_ENKUlT_T0_E_clISt17integral_constantIbLb1EES1P_EEDaS1K_S1L_EUlS1K_E_NS1_11comp_targetILNS1_3genE2ELNS1_11target_archE906ELNS1_3gpuE6ELNS1_3repE0EEENS1_30default_config_static_selectorELNS0_4arch9wavefront6targetE0EEEvSY_,comdat
	.globl	_ZN7rocprim17ROCPRIM_400000_NS6detail17trampoline_kernelINS0_13select_configILj256ELj13ELNS0_17block_load_methodE3ELS4_3ELS4_3ELNS0_20block_scan_algorithmE0ELj4294967295EEENS1_25partition_config_selectorILNS1_17partition_subalgoE3EjNS0_10empty_typeEbEEZZNS1_14partition_implILS8_3ELb0ES6_jNS0_17counting_iteratorIjlEEPS9_SE_NS0_5tupleIJPjSE_EEENSF_IJSE_SE_EEES9_SG_JZNS1_25segmented_radix_sort_implINS0_14default_configELb0EPKiPiPKlPlN2at6native12_GLOBAL__N_18offset_tEEE10hipError_tPvRmT1_PNSt15iterator_traitsISY_E10value_typeET2_T3_PNSZ_IS14_E10value_typeET4_jRbjT5_S1A_jjP12ihipStream_tbEUljE_EEESV_SW_SX_S14_S18_S1A_T6_T7_T9_mT8_S1C_bDpT10_ENKUlT_T0_E_clISt17integral_constantIbLb1EES1P_EEDaS1K_S1L_EUlS1K_E_NS1_11comp_targetILNS1_3genE2ELNS1_11target_archE906ELNS1_3gpuE6ELNS1_3repE0EEENS1_30default_config_static_selectorELNS0_4arch9wavefront6targetE0EEEvSY_ ; -- Begin function _ZN7rocprim17ROCPRIM_400000_NS6detail17trampoline_kernelINS0_13select_configILj256ELj13ELNS0_17block_load_methodE3ELS4_3ELS4_3ELNS0_20block_scan_algorithmE0ELj4294967295EEENS1_25partition_config_selectorILNS1_17partition_subalgoE3EjNS0_10empty_typeEbEEZZNS1_14partition_implILS8_3ELb0ES6_jNS0_17counting_iteratorIjlEEPS9_SE_NS0_5tupleIJPjSE_EEENSF_IJSE_SE_EEES9_SG_JZNS1_25segmented_radix_sort_implINS0_14default_configELb0EPKiPiPKlPlN2at6native12_GLOBAL__N_18offset_tEEE10hipError_tPvRmT1_PNSt15iterator_traitsISY_E10value_typeET2_T3_PNSZ_IS14_E10value_typeET4_jRbjT5_S1A_jjP12ihipStream_tbEUljE_EEESV_SW_SX_S14_S18_S1A_T6_T7_T9_mT8_S1C_bDpT10_ENKUlT_T0_E_clISt17integral_constantIbLb1EES1P_EEDaS1K_S1L_EUlS1K_E_NS1_11comp_targetILNS1_3genE2ELNS1_11target_archE906ELNS1_3gpuE6ELNS1_3repE0EEENS1_30default_config_static_selectorELNS0_4arch9wavefront6targetE0EEEvSY_
	.p2align	8
	.type	_ZN7rocprim17ROCPRIM_400000_NS6detail17trampoline_kernelINS0_13select_configILj256ELj13ELNS0_17block_load_methodE3ELS4_3ELS4_3ELNS0_20block_scan_algorithmE0ELj4294967295EEENS1_25partition_config_selectorILNS1_17partition_subalgoE3EjNS0_10empty_typeEbEEZZNS1_14partition_implILS8_3ELb0ES6_jNS0_17counting_iteratorIjlEEPS9_SE_NS0_5tupleIJPjSE_EEENSF_IJSE_SE_EEES9_SG_JZNS1_25segmented_radix_sort_implINS0_14default_configELb0EPKiPiPKlPlN2at6native12_GLOBAL__N_18offset_tEEE10hipError_tPvRmT1_PNSt15iterator_traitsISY_E10value_typeET2_T3_PNSZ_IS14_E10value_typeET4_jRbjT5_S1A_jjP12ihipStream_tbEUljE_EEESV_SW_SX_S14_S18_S1A_T6_T7_T9_mT8_S1C_bDpT10_ENKUlT_T0_E_clISt17integral_constantIbLb1EES1P_EEDaS1K_S1L_EUlS1K_E_NS1_11comp_targetILNS1_3genE2ELNS1_11target_archE906ELNS1_3gpuE6ELNS1_3repE0EEENS1_30default_config_static_selectorELNS0_4arch9wavefront6targetE0EEEvSY_,@function
_ZN7rocprim17ROCPRIM_400000_NS6detail17trampoline_kernelINS0_13select_configILj256ELj13ELNS0_17block_load_methodE3ELS4_3ELS4_3ELNS0_20block_scan_algorithmE0ELj4294967295EEENS1_25partition_config_selectorILNS1_17partition_subalgoE3EjNS0_10empty_typeEbEEZZNS1_14partition_implILS8_3ELb0ES6_jNS0_17counting_iteratorIjlEEPS9_SE_NS0_5tupleIJPjSE_EEENSF_IJSE_SE_EEES9_SG_JZNS1_25segmented_radix_sort_implINS0_14default_configELb0EPKiPiPKlPlN2at6native12_GLOBAL__N_18offset_tEEE10hipError_tPvRmT1_PNSt15iterator_traitsISY_E10value_typeET2_T3_PNSZ_IS14_E10value_typeET4_jRbjT5_S1A_jjP12ihipStream_tbEUljE_EEESV_SW_SX_S14_S18_S1A_T6_T7_T9_mT8_S1C_bDpT10_ENKUlT_T0_E_clISt17integral_constantIbLb1EES1P_EEDaS1K_S1L_EUlS1K_E_NS1_11comp_targetILNS1_3genE2ELNS1_11target_archE906ELNS1_3gpuE6ELNS1_3repE0EEENS1_30default_config_static_selectorELNS0_4arch9wavefront6targetE0EEEvSY_: ; @_ZN7rocprim17ROCPRIM_400000_NS6detail17trampoline_kernelINS0_13select_configILj256ELj13ELNS0_17block_load_methodE3ELS4_3ELS4_3ELNS0_20block_scan_algorithmE0ELj4294967295EEENS1_25partition_config_selectorILNS1_17partition_subalgoE3EjNS0_10empty_typeEbEEZZNS1_14partition_implILS8_3ELb0ES6_jNS0_17counting_iteratorIjlEEPS9_SE_NS0_5tupleIJPjSE_EEENSF_IJSE_SE_EEES9_SG_JZNS1_25segmented_radix_sort_implINS0_14default_configELb0EPKiPiPKlPlN2at6native12_GLOBAL__N_18offset_tEEE10hipError_tPvRmT1_PNSt15iterator_traitsISY_E10value_typeET2_T3_PNSZ_IS14_E10value_typeET4_jRbjT5_S1A_jjP12ihipStream_tbEUljE_EEESV_SW_SX_S14_S18_S1A_T6_T7_T9_mT8_S1C_bDpT10_ENKUlT_T0_E_clISt17integral_constantIbLb1EES1P_EEDaS1K_S1L_EUlS1K_E_NS1_11comp_targetILNS1_3genE2ELNS1_11target_archE906ELNS1_3gpuE6ELNS1_3repE0EEENS1_30default_config_static_selectorELNS0_4arch9wavefront6targetE0EEEvSY_
; %bb.0:
	.section	.rodata,"a",@progbits
	.p2align	6, 0x0
	.amdhsa_kernel _ZN7rocprim17ROCPRIM_400000_NS6detail17trampoline_kernelINS0_13select_configILj256ELj13ELNS0_17block_load_methodE3ELS4_3ELS4_3ELNS0_20block_scan_algorithmE0ELj4294967295EEENS1_25partition_config_selectorILNS1_17partition_subalgoE3EjNS0_10empty_typeEbEEZZNS1_14partition_implILS8_3ELb0ES6_jNS0_17counting_iteratorIjlEEPS9_SE_NS0_5tupleIJPjSE_EEENSF_IJSE_SE_EEES9_SG_JZNS1_25segmented_radix_sort_implINS0_14default_configELb0EPKiPiPKlPlN2at6native12_GLOBAL__N_18offset_tEEE10hipError_tPvRmT1_PNSt15iterator_traitsISY_E10value_typeET2_T3_PNSZ_IS14_E10value_typeET4_jRbjT5_S1A_jjP12ihipStream_tbEUljE_EEESV_SW_SX_S14_S18_S1A_T6_T7_T9_mT8_S1C_bDpT10_ENKUlT_T0_E_clISt17integral_constantIbLb1EES1P_EEDaS1K_S1L_EUlS1K_E_NS1_11comp_targetILNS1_3genE2ELNS1_11target_archE906ELNS1_3gpuE6ELNS1_3repE0EEENS1_30default_config_static_selectorELNS0_4arch9wavefront6targetE0EEEvSY_
		.amdhsa_group_segment_fixed_size 0
		.amdhsa_private_segment_fixed_size 0
		.amdhsa_kernarg_size 152
		.amdhsa_user_sgpr_count 15
		.amdhsa_user_sgpr_dispatch_ptr 0
		.amdhsa_user_sgpr_queue_ptr 0
		.amdhsa_user_sgpr_kernarg_segment_ptr 1
		.amdhsa_user_sgpr_dispatch_id 0
		.amdhsa_user_sgpr_private_segment_size 0
		.amdhsa_wavefront_size32 1
		.amdhsa_uses_dynamic_stack 0
		.amdhsa_enable_private_segment 0
		.amdhsa_system_sgpr_workgroup_id_x 1
		.amdhsa_system_sgpr_workgroup_id_y 0
		.amdhsa_system_sgpr_workgroup_id_z 0
		.amdhsa_system_sgpr_workgroup_info 0
		.amdhsa_system_vgpr_workitem_id 0
		.amdhsa_next_free_vgpr 1
		.amdhsa_next_free_sgpr 1
		.amdhsa_reserve_vcc 0
		.amdhsa_float_round_mode_32 0
		.amdhsa_float_round_mode_16_64 0
		.amdhsa_float_denorm_mode_32 3
		.amdhsa_float_denorm_mode_16_64 3
		.amdhsa_dx10_clamp 1
		.amdhsa_ieee_mode 1
		.amdhsa_fp16_overflow 0
		.amdhsa_workgroup_processor_mode 1
		.amdhsa_memory_ordered 1
		.amdhsa_forward_progress 0
		.amdhsa_shared_vgpr_count 0
		.amdhsa_exception_fp_ieee_invalid_op 0
		.amdhsa_exception_fp_denorm_src 0
		.amdhsa_exception_fp_ieee_div_zero 0
		.amdhsa_exception_fp_ieee_overflow 0
		.amdhsa_exception_fp_ieee_underflow 0
		.amdhsa_exception_fp_ieee_inexact 0
		.amdhsa_exception_int_div_zero 0
	.end_amdhsa_kernel
	.section	.text._ZN7rocprim17ROCPRIM_400000_NS6detail17trampoline_kernelINS0_13select_configILj256ELj13ELNS0_17block_load_methodE3ELS4_3ELS4_3ELNS0_20block_scan_algorithmE0ELj4294967295EEENS1_25partition_config_selectorILNS1_17partition_subalgoE3EjNS0_10empty_typeEbEEZZNS1_14partition_implILS8_3ELb0ES6_jNS0_17counting_iteratorIjlEEPS9_SE_NS0_5tupleIJPjSE_EEENSF_IJSE_SE_EEES9_SG_JZNS1_25segmented_radix_sort_implINS0_14default_configELb0EPKiPiPKlPlN2at6native12_GLOBAL__N_18offset_tEEE10hipError_tPvRmT1_PNSt15iterator_traitsISY_E10value_typeET2_T3_PNSZ_IS14_E10value_typeET4_jRbjT5_S1A_jjP12ihipStream_tbEUljE_EEESV_SW_SX_S14_S18_S1A_T6_T7_T9_mT8_S1C_bDpT10_ENKUlT_T0_E_clISt17integral_constantIbLb1EES1P_EEDaS1K_S1L_EUlS1K_E_NS1_11comp_targetILNS1_3genE2ELNS1_11target_archE906ELNS1_3gpuE6ELNS1_3repE0EEENS1_30default_config_static_selectorELNS0_4arch9wavefront6targetE0EEEvSY_,"axG",@progbits,_ZN7rocprim17ROCPRIM_400000_NS6detail17trampoline_kernelINS0_13select_configILj256ELj13ELNS0_17block_load_methodE3ELS4_3ELS4_3ELNS0_20block_scan_algorithmE0ELj4294967295EEENS1_25partition_config_selectorILNS1_17partition_subalgoE3EjNS0_10empty_typeEbEEZZNS1_14partition_implILS8_3ELb0ES6_jNS0_17counting_iteratorIjlEEPS9_SE_NS0_5tupleIJPjSE_EEENSF_IJSE_SE_EEES9_SG_JZNS1_25segmented_radix_sort_implINS0_14default_configELb0EPKiPiPKlPlN2at6native12_GLOBAL__N_18offset_tEEE10hipError_tPvRmT1_PNSt15iterator_traitsISY_E10value_typeET2_T3_PNSZ_IS14_E10value_typeET4_jRbjT5_S1A_jjP12ihipStream_tbEUljE_EEESV_SW_SX_S14_S18_S1A_T6_T7_T9_mT8_S1C_bDpT10_ENKUlT_T0_E_clISt17integral_constantIbLb1EES1P_EEDaS1K_S1L_EUlS1K_E_NS1_11comp_targetILNS1_3genE2ELNS1_11target_archE906ELNS1_3gpuE6ELNS1_3repE0EEENS1_30default_config_static_selectorELNS0_4arch9wavefront6targetE0EEEvSY_,comdat
.Lfunc_end580:
	.size	_ZN7rocprim17ROCPRIM_400000_NS6detail17trampoline_kernelINS0_13select_configILj256ELj13ELNS0_17block_load_methodE3ELS4_3ELS4_3ELNS0_20block_scan_algorithmE0ELj4294967295EEENS1_25partition_config_selectorILNS1_17partition_subalgoE3EjNS0_10empty_typeEbEEZZNS1_14partition_implILS8_3ELb0ES6_jNS0_17counting_iteratorIjlEEPS9_SE_NS0_5tupleIJPjSE_EEENSF_IJSE_SE_EEES9_SG_JZNS1_25segmented_radix_sort_implINS0_14default_configELb0EPKiPiPKlPlN2at6native12_GLOBAL__N_18offset_tEEE10hipError_tPvRmT1_PNSt15iterator_traitsISY_E10value_typeET2_T3_PNSZ_IS14_E10value_typeET4_jRbjT5_S1A_jjP12ihipStream_tbEUljE_EEESV_SW_SX_S14_S18_S1A_T6_T7_T9_mT8_S1C_bDpT10_ENKUlT_T0_E_clISt17integral_constantIbLb1EES1P_EEDaS1K_S1L_EUlS1K_E_NS1_11comp_targetILNS1_3genE2ELNS1_11target_archE906ELNS1_3gpuE6ELNS1_3repE0EEENS1_30default_config_static_selectorELNS0_4arch9wavefront6targetE0EEEvSY_, .Lfunc_end580-_ZN7rocprim17ROCPRIM_400000_NS6detail17trampoline_kernelINS0_13select_configILj256ELj13ELNS0_17block_load_methodE3ELS4_3ELS4_3ELNS0_20block_scan_algorithmE0ELj4294967295EEENS1_25partition_config_selectorILNS1_17partition_subalgoE3EjNS0_10empty_typeEbEEZZNS1_14partition_implILS8_3ELb0ES6_jNS0_17counting_iteratorIjlEEPS9_SE_NS0_5tupleIJPjSE_EEENSF_IJSE_SE_EEES9_SG_JZNS1_25segmented_radix_sort_implINS0_14default_configELb0EPKiPiPKlPlN2at6native12_GLOBAL__N_18offset_tEEE10hipError_tPvRmT1_PNSt15iterator_traitsISY_E10value_typeET2_T3_PNSZ_IS14_E10value_typeET4_jRbjT5_S1A_jjP12ihipStream_tbEUljE_EEESV_SW_SX_S14_S18_S1A_T6_T7_T9_mT8_S1C_bDpT10_ENKUlT_T0_E_clISt17integral_constantIbLb1EES1P_EEDaS1K_S1L_EUlS1K_E_NS1_11comp_targetILNS1_3genE2ELNS1_11target_archE906ELNS1_3gpuE6ELNS1_3repE0EEENS1_30default_config_static_selectorELNS0_4arch9wavefront6targetE0EEEvSY_
                                        ; -- End function
	.section	.AMDGPU.csdata,"",@progbits
; Kernel info:
; codeLenInByte = 0
; NumSgprs: 0
; NumVgprs: 0
; ScratchSize: 0
; MemoryBound: 0
; FloatMode: 240
; IeeeMode: 1
; LDSByteSize: 0 bytes/workgroup (compile time only)
; SGPRBlocks: 0
; VGPRBlocks: 0
; NumSGPRsForWavesPerEU: 1
; NumVGPRsForWavesPerEU: 1
; Occupancy: 16
; WaveLimiterHint : 0
; COMPUTE_PGM_RSRC2:SCRATCH_EN: 0
; COMPUTE_PGM_RSRC2:USER_SGPR: 15
; COMPUTE_PGM_RSRC2:TRAP_HANDLER: 0
; COMPUTE_PGM_RSRC2:TGID_X_EN: 1
; COMPUTE_PGM_RSRC2:TGID_Y_EN: 0
; COMPUTE_PGM_RSRC2:TGID_Z_EN: 0
; COMPUTE_PGM_RSRC2:TIDIG_COMP_CNT: 0
	.section	.text._ZN7rocprim17ROCPRIM_400000_NS6detail17trampoline_kernelINS0_13select_configILj256ELj13ELNS0_17block_load_methodE3ELS4_3ELS4_3ELNS0_20block_scan_algorithmE0ELj4294967295EEENS1_25partition_config_selectorILNS1_17partition_subalgoE3EjNS0_10empty_typeEbEEZZNS1_14partition_implILS8_3ELb0ES6_jNS0_17counting_iteratorIjlEEPS9_SE_NS0_5tupleIJPjSE_EEENSF_IJSE_SE_EEES9_SG_JZNS1_25segmented_radix_sort_implINS0_14default_configELb0EPKiPiPKlPlN2at6native12_GLOBAL__N_18offset_tEEE10hipError_tPvRmT1_PNSt15iterator_traitsISY_E10value_typeET2_T3_PNSZ_IS14_E10value_typeET4_jRbjT5_S1A_jjP12ihipStream_tbEUljE_EEESV_SW_SX_S14_S18_S1A_T6_T7_T9_mT8_S1C_bDpT10_ENKUlT_T0_E_clISt17integral_constantIbLb1EES1P_EEDaS1K_S1L_EUlS1K_E_NS1_11comp_targetILNS1_3genE10ELNS1_11target_archE1200ELNS1_3gpuE4ELNS1_3repE0EEENS1_30default_config_static_selectorELNS0_4arch9wavefront6targetE0EEEvSY_,"axG",@progbits,_ZN7rocprim17ROCPRIM_400000_NS6detail17trampoline_kernelINS0_13select_configILj256ELj13ELNS0_17block_load_methodE3ELS4_3ELS4_3ELNS0_20block_scan_algorithmE0ELj4294967295EEENS1_25partition_config_selectorILNS1_17partition_subalgoE3EjNS0_10empty_typeEbEEZZNS1_14partition_implILS8_3ELb0ES6_jNS0_17counting_iteratorIjlEEPS9_SE_NS0_5tupleIJPjSE_EEENSF_IJSE_SE_EEES9_SG_JZNS1_25segmented_radix_sort_implINS0_14default_configELb0EPKiPiPKlPlN2at6native12_GLOBAL__N_18offset_tEEE10hipError_tPvRmT1_PNSt15iterator_traitsISY_E10value_typeET2_T3_PNSZ_IS14_E10value_typeET4_jRbjT5_S1A_jjP12ihipStream_tbEUljE_EEESV_SW_SX_S14_S18_S1A_T6_T7_T9_mT8_S1C_bDpT10_ENKUlT_T0_E_clISt17integral_constantIbLb1EES1P_EEDaS1K_S1L_EUlS1K_E_NS1_11comp_targetILNS1_3genE10ELNS1_11target_archE1200ELNS1_3gpuE4ELNS1_3repE0EEENS1_30default_config_static_selectorELNS0_4arch9wavefront6targetE0EEEvSY_,comdat
	.globl	_ZN7rocprim17ROCPRIM_400000_NS6detail17trampoline_kernelINS0_13select_configILj256ELj13ELNS0_17block_load_methodE3ELS4_3ELS4_3ELNS0_20block_scan_algorithmE0ELj4294967295EEENS1_25partition_config_selectorILNS1_17partition_subalgoE3EjNS0_10empty_typeEbEEZZNS1_14partition_implILS8_3ELb0ES6_jNS0_17counting_iteratorIjlEEPS9_SE_NS0_5tupleIJPjSE_EEENSF_IJSE_SE_EEES9_SG_JZNS1_25segmented_radix_sort_implINS0_14default_configELb0EPKiPiPKlPlN2at6native12_GLOBAL__N_18offset_tEEE10hipError_tPvRmT1_PNSt15iterator_traitsISY_E10value_typeET2_T3_PNSZ_IS14_E10value_typeET4_jRbjT5_S1A_jjP12ihipStream_tbEUljE_EEESV_SW_SX_S14_S18_S1A_T6_T7_T9_mT8_S1C_bDpT10_ENKUlT_T0_E_clISt17integral_constantIbLb1EES1P_EEDaS1K_S1L_EUlS1K_E_NS1_11comp_targetILNS1_3genE10ELNS1_11target_archE1200ELNS1_3gpuE4ELNS1_3repE0EEENS1_30default_config_static_selectorELNS0_4arch9wavefront6targetE0EEEvSY_ ; -- Begin function _ZN7rocprim17ROCPRIM_400000_NS6detail17trampoline_kernelINS0_13select_configILj256ELj13ELNS0_17block_load_methodE3ELS4_3ELS4_3ELNS0_20block_scan_algorithmE0ELj4294967295EEENS1_25partition_config_selectorILNS1_17partition_subalgoE3EjNS0_10empty_typeEbEEZZNS1_14partition_implILS8_3ELb0ES6_jNS0_17counting_iteratorIjlEEPS9_SE_NS0_5tupleIJPjSE_EEENSF_IJSE_SE_EEES9_SG_JZNS1_25segmented_radix_sort_implINS0_14default_configELb0EPKiPiPKlPlN2at6native12_GLOBAL__N_18offset_tEEE10hipError_tPvRmT1_PNSt15iterator_traitsISY_E10value_typeET2_T3_PNSZ_IS14_E10value_typeET4_jRbjT5_S1A_jjP12ihipStream_tbEUljE_EEESV_SW_SX_S14_S18_S1A_T6_T7_T9_mT8_S1C_bDpT10_ENKUlT_T0_E_clISt17integral_constantIbLb1EES1P_EEDaS1K_S1L_EUlS1K_E_NS1_11comp_targetILNS1_3genE10ELNS1_11target_archE1200ELNS1_3gpuE4ELNS1_3repE0EEENS1_30default_config_static_selectorELNS0_4arch9wavefront6targetE0EEEvSY_
	.p2align	8
	.type	_ZN7rocprim17ROCPRIM_400000_NS6detail17trampoline_kernelINS0_13select_configILj256ELj13ELNS0_17block_load_methodE3ELS4_3ELS4_3ELNS0_20block_scan_algorithmE0ELj4294967295EEENS1_25partition_config_selectorILNS1_17partition_subalgoE3EjNS0_10empty_typeEbEEZZNS1_14partition_implILS8_3ELb0ES6_jNS0_17counting_iteratorIjlEEPS9_SE_NS0_5tupleIJPjSE_EEENSF_IJSE_SE_EEES9_SG_JZNS1_25segmented_radix_sort_implINS0_14default_configELb0EPKiPiPKlPlN2at6native12_GLOBAL__N_18offset_tEEE10hipError_tPvRmT1_PNSt15iterator_traitsISY_E10value_typeET2_T3_PNSZ_IS14_E10value_typeET4_jRbjT5_S1A_jjP12ihipStream_tbEUljE_EEESV_SW_SX_S14_S18_S1A_T6_T7_T9_mT8_S1C_bDpT10_ENKUlT_T0_E_clISt17integral_constantIbLb1EES1P_EEDaS1K_S1L_EUlS1K_E_NS1_11comp_targetILNS1_3genE10ELNS1_11target_archE1200ELNS1_3gpuE4ELNS1_3repE0EEENS1_30default_config_static_selectorELNS0_4arch9wavefront6targetE0EEEvSY_,@function
_ZN7rocprim17ROCPRIM_400000_NS6detail17trampoline_kernelINS0_13select_configILj256ELj13ELNS0_17block_load_methodE3ELS4_3ELS4_3ELNS0_20block_scan_algorithmE0ELj4294967295EEENS1_25partition_config_selectorILNS1_17partition_subalgoE3EjNS0_10empty_typeEbEEZZNS1_14partition_implILS8_3ELb0ES6_jNS0_17counting_iteratorIjlEEPS9_SE_NS0_5tupleIJPjSE_EEENSF_IJSE_SE_EEES9_SG_JZNS1_25segmented_radix_sort_implINS0_14default_configELb0EPKiPiPKlPlN2at6native12_GLOBAL__N_18offset_tEEE10hipError_tPvRmT1_PNSt15iterator_traitsISY_E10value_typeET2_T3_PNSZ_IS14_E10value_typeET4_jRbjT5_S1A_jjP12ihipStream_tbEUljE_EEESV_SW_SX_S14_S18_S1A_T6_T7_T9_mT8_S1C_bDpT10_ENKUlT_T0_E_clISt17integral_constantIbLb1EES1P_EEDaS1K_S1L_EUlS1K_E_NS1_11comp_targetILNS1_3genE10ELNS1_11target_archE1200ELNS1_3gpuE4ELNS1_3repE0EEENS1_30default_config_static_selectorELNS0_4arch9wavefront6targetE0EEEvSY_: ; @_ZN7rocprim17ROCPRIM_400000_NS6detail17trampoline_kernelINS0_13select_configILj256ELj13ELNS0_17block_load_methodE3ELS4_3ELS4_3ELNS0_20block_scan_algorithmE0ELj4294967295EEENS1_25partition_config_selectorILNS1_17partition_subalgoE3EjNS0_10empty_typeEbEEZZNS1_14partition_implILS8_3ELb0ES6_jNS0_17counting_iteratorIjlEEPS9_SE_NS0_5tupleIJPjSE_EEENSF_IJSE_SE_EEES9_SG_JZNS1_25segmented_radix_sort_implINS0_14default_configELb0EPKiPiPKlPlN2at6native12_GLOBAL__N_18offset_tEEE10hipError_tPvRmT1_PNSt15iterator_traitsISY_E10value_typeET2_T3_PNSZ_IS14_E10value_typeET4_jRbjT5_S1A_jjP12ihipStream_tbEUljE_EEESV_SW_SX_S14_S18_S1A_T6_T7_T9_mT8_S1C_bDpT10_ENKUlT_T0_E_clISt17integral_constantIbLb1EES1P_EEDaS1K_S1L_EUlS1K_E_NS1_11comp_targetILNS1_3genE10ELNS1_11target_archE1200ELNS1_3gpuE4ELNS1_3repE0EEENS1_30default_config_static_selectorELNS0_4arch9wavefront6targetE0EEEvSY_
; %bb.0:
	.section	.rodata,"a",@progbits
	.p2align	6, 0x0
	.amdhsa_kernel _ZN7rocprim17ROCPRIM_400000_NS6detail17trampoline_kernelINS0_13select_configILj256ELj13ELNS0_17block_load_methodE3ELS4_3ELS4_3ELNS0_20block_scan_algorithmE0ELj4294967295EEENS1_25partition_config_selectorILNS1_17partition_subalgoE3EjNS0_10empty_typeEbEEZZNS1_14partition_implILS8_3ELb0ES6_jNS0_17counting_iteratorIjlEEPS9_SE_NS0_5tupleIJPjSE_EEENSF_IJSE_SE_EEES9_SG_JZNS1_25segmented_radix_sort_implINS0_14default_configELb0EPKiPiPKlPlN2at6native12_GLOBAL__N_18offset_tEEE10hipError_tPvRmT1_PNSt15iterator_traitsISY_E10value_typeET2_T3_PNSZ_IS14_E10value_typeET4_jRbjT5_S1A_jjP12ihipStream_tbEUljE_EEESV_SW_SX_S14_S18_S1A_T6_T7_T9_mT8_S1C_bDpT10_ENKUlT_T0_E_clISt17integral_constantIbLb1EES1P_EEDaS1K_S1L_EUlS1K_E_NS1_11comp_targetILNS1_3genE10ELNS1_11target_archE1200ELNS1_3gpuE4ELNS1_3repE0EEENS1_30default_config_static_selectorELNS0_4arch9wavefront6targetE0EEEvSY_
		.amdhsa_group_segment_fixed_size 0
		.amdhsa_private_segment_fixed_size 0
		.amdhsa_kernarg_size 152
		.amdhsa_user_sgpr_count 15
		.amdhsa_user_sgpr_dispatch_ptr 0
		.amdhsa_user_sgpr_queue_ptr 0
		.amdhsa_user_sgpr_kernarg_segment_ptr 1
		.amdhsa_user_sgpr_dispatch_id 0
		.amdhsa_user_sgpr_private_segment_size 0
		.amdhsa_wavefront_size32 1
		.amdhsa_uses_dynamic_stack 0
		.amdhsa_enable_private_segment 0
		.amdhsa_system_sgpr_workgroup_id_x 1
		.amdhsa_system_sgpr_workgroup_id_y 0
		.amdhsa_system_sgpr_workgroup_id_z 0
		.amdhsa_system_sgpr_workgroup_info 0
		.amdhsa_system_vgpr_workitem_id 0
		.amdhsa_next_free_vgpr 1
		.amdhsa_next_free_sgpr 1
		.amdhsa_reserve_vcc 0
		.amdhsa_float_round_mode_32 0
		.amdhsa_float_round_mode_16_64 0
		.amdhsa_float_denorm_mode_32 3
		.amdhsa_float_denorm_mode_16_64 3
		.amdhsa_dx10_clamp 1
		.amdhsa_ieee_mode 1
		.amdhsa_fp16_overflow 0
		.amdhsa_workgroup_processor_mode 1
		.amdhsa_memory_ordered 1
		.amdhsa_forward_progress 0
		.amdhsa_shared_vgpr_count 0
		.amdhsa_exception_fp_ieee_invalid_op 0
		.amdhsa_exception_fp_denorm_src 0
		.amdhsa_exception_fp_ieee_div_zero 0
		.amdhsa_exception_fp_ieee_overflow 0
		.amdhsa_exception_fp_ieee_underflow 0
		.amdhsa_exception_fp_ieee_inexact 0
		.amdhsa_exception_int_div_zero 0
	.end_amdhsa_kernel
	.section	.text._ZN7rocprim17ROCPRIM_400000_NS6detail17trampoline_kernelINS0_13select_configILj256ELj13ELNS0_17block_load_methodE3ELS4_3ELS4_3ELNS0_20block_scan_algorithmE0ELj4294967295EEENS1_25partition_config_selectorILNS1_17partition_subalgoE3EjNS0_10empty_typeEbEEZZNS1_14partition_implILS8_3ELb0ES6_jNS0_17counting_iteratorIjlEEPS9_SE_NS0_5tupleIJPjSE_EEENSF_IJSE_SE_EEES9_SG_JZNS1_25segmented_radix_sort_implINS0_14default_configELb0EPKiPiPKlPlN2at6native12_GLOBAL__N_18offset_tEEE10hipError_tPvRmT1_PNSt15iterator_traitsISY_E10value_typeET2_T3_PNSZ_IS14_E10value_typeET4_jRbjT5_S1A_jjP12ihipStream_tbEUljE_EEESV_SW_SX_S14_S18_S1A_T6_T7_T9_mT8_S1C_bDpT10_ENKUlT_T0_E_clISt17integral_constantIbLb1EES1P_EEDaS1K_S1L_EUlS1K_E_NS1_11comp_targetILNS1_3genE10ELNS1_11target_archE1200ELNS1_3gpuE4ELNS1_3repE0EEENS1_30default_config_static_selectorELNS0_4arch9wavefront6targetE0EEEvSY_,"axG",@progbits,_ZN7rocprim17ROCPRIM_400000_NS6detail17trampoline_kernelINS0_13select_configILj256ELj13ELNS0_17block_load_methodE3ELS4_3ELS4_3ELNS0_20block_scan_algorithmE0ELj4294967295EEENS1_25partition_config_selectorILNS1_17partition_subalgoE3EjNS0_10empty_typeEbEEZZNS1_14partition_implILS8_3ELb0ES6_jNS0_17counting_iteratorIjlEEPS9_SE_NS0_5tupleIJPjSE_EEENSF_IJSE_SE_EEES9_SG_JZNS1_25segmented_radix_sort_implINS0_14default_configELb0EPKiPiPKlPlN2at6native12_GLOBAL__N_18offset_tEEE10hipError_tPvRmT1_PNSt15iterator_traitsISY_E10value_typeET2_T3_PNSZ_IS14_E10value_typeET4_jRbjT5_S1A_jjP12ihipStream_tbEUljE_EEESV_SW_SX_S14_S18_S1A_T6_T7_T9_mT8_S1C_bDpT10_ENKUlT_T0_E_clISt17integral_constantIbLb1EES1P_EEDaS1K_S1L_EUlS1K_E_NS1_11comp_targetILNS1_3genE10ELNS1_11target_archE1200ELNS1_3gpuE4ELNS1_3repE0EEENS1_30default_config_static_selectorELNS0_4arch9wavefront6targetE0EEEvSY_,comdat
.Lfunc_end581:
	.size	_ZN7rocprim17ROCPRIM_400000_NS6detail17trampoline_kernelINS0_13select_configILj256ELj13ELNS0_17block_load_methodE3ELS4_3ELS4_3ELNS0_20block_scan_algorithmE0ELj4294967295EEENS1_25partition_config_selectorILNS1_17partition_subalgoE3EjNS0_10empty_typeEbEEZZNS1_14partition_implILS8_3ELb0ES6_jNS0_17counting_iteratorIjlEEPS9_SE_NS0_5tupleIJPjSE_EEENSF_IJSE_SE_EEES9_SG_JZNS1_25segmented_radix_sort_implINS0_14default_configELb0EPKiPiPKlPlN2at6native12_GLOBAL__N_18offset_tEEE10hipError_tPvRmT1_PNSt15iterator_traitsISY_E10value_typeET2_T3_PNSZ_IS14_E10value_typeET4_jRbjT5_S1A_jjP12ihipStream_tbEUljE_EEESV_SW_SX_S14_S18_S1A_T6_T7_T9_mT8_S1C_bDpT10_ENKUlT_T0_E_clISt17integral_constantIbLb1EES1P_EEDaS1K_S1L_EUlS1K_E_NS1_11comp_targetILNS1_3genE10ELNS1_11target_archE1200ELNS1_3gpuE4ELNS1_3repE0EEENS1_30default_config_static_selectorELNS0_4arch9wavefront6targetE0EEEvSY_, .Lfunc_end581-_ZN7rocprim17ROCPRIM_400000_NS6detail17trampoline_kernelINS0_13select_configILj256ELj13ELNS0_17block_load_methodE3ELS4_3ELS4_3ELNS0_20block_scan_algorithmE0ELj4294967295EEENS1_25partition_config_selectorILNS1_17partition_subalgoE3EjNS0_10empty_typeEbEEZZNS1_14partition_implILS8_3ELb0ES6_jNS0_17counting_iteratorIjlEEPS9_SE_NS0_5tupleIJPjSE_EEENSF_IJSE_SE_EEES9_SG_JZNS1_25segmented_radix_sort_implINS0_14default_configELb0EPKiPiPKlPlN2at6native12_GLOBAL__N_18offset_tEEE10hipError_tPvRmT1_PNSt15iterator_traitsISY_E10value_typeET2_T3_PNSZ_IS14_E10value_typeET4_jRbjT5_S1A_jjP12ihipStream_tbEUljE_EEESV_SW_SX_S14_S18_S1A_T6_T7_T9_mT8_S1C_bDpT10_ENKUlT_T0_E_clISt17integral_constantIbLb1EES1P_EEDaS1K_S1L_EUlS1K_E_NS1_11comp_targetILNS1_3genE10ELNS1_11target_archE1200ELNS1_3gpuE4ELNS1_3repE0EEENS1_30default_config_static_selectorELNS0_4arch9wavefront6targetE0EEEvSY_
                                        ; -- End function
	.section	.AMDGPU.csdata,"",@progbits
; Kernel info:
; codeLenInByte = 0
; NumSgprs: 0
; NumVgprs: 0
; ScratchSize: 0
; MemoryBound: 0
; FloatMode: 240
; IeeeMode: 1
; LDSByteSize: 0 bytes/workgroup (compile time only)
; SGPRBlocks: 0
; VGPRBlocks: 0
; NumSGPRsForWavesPerEU: 1
; NumVGPRsForWavesPerEU: 1
; Occupancy: 16
; WaveLimiterHint : 0
; COMPUTE_PGM_RSRC2:SCRATCH_EN: 0
; COMPUTE_PGM_RSRC2:USER_SGPR: 15
; COMPUTE_PGM_RSRC2:TRAP_HANDLER: 0
; COMPUTE_PGM_RSRC2:TGID_X_EN: 1
; COMPUTE_PGM_RSRC2:TGID_Y_EN: 0
; COMPUTE_PGM_RSRC2:TGID_Z_EN: 0
; COMPUTE_PGM_RSRC2:TIDIG_COMP_CNT: 0
	.section	.text._ZN7rocprim17ROCPRIM_400000_NS6detail17trampoline_kernelINS0_13select_configILj256ELj13ELNS0_17block_load_methodE3ELS4_3ELS4_3ELNS0_20block_scan_algorithmE0ELj4294967295EEENS1_25partition_config_selectorILNS1_17partition_subalgoE3EjNS0_10empty_typeEbEEZZNS1_14partition_implILS8_3ELb0ES6_jNS0_17counting_iteratorIjlEEPS9_SE_NS0_5tupleIJPjSE_EEENSF_IJSE_SE_EEES9_SG_JZNS1_25segmented_radix_sort_implINS0_14default_configELb0EPKiPiPKlPlN2at6native12_GLOBAL__N_18offset_tEEE10hipError_tPvRmT1_PNSt15iterator_traitsISY_E10value_typeET2_T3_PNSZ_IS14_E10value_typeET4_jRbjT5_S1A_jjP12ihipStream_tbEUljE_EEESV_SW_SX_S14_S18_S1A_T6_T7_T9_mT8_S1C_bDpT10_ENKUlT_T0_E_clISt17integral_constantIbLb1EES1P_EEDaS1K_S1L_EUlS1K_E_NS1_11comp_targetILNS1_3genE9ELNS1_11target_archE1100ELNS1_3gpuE3ELNS1_3repE0EEENS1_30default_config_static_selectorELNS0_4arch9wavefront6targetE0EEEvSY_,"axG",@progbits,_ZN7rocprim17ROCPRIM_400000_NS6detail17trampoline_kernelINS0_13select_configILj256ELj13ELNS0_17block_load_methodE3ELS4_3ELS4_3ELNS0_20block_scan_algorithmE0ELj4294967295EEENS1_25partition_config_selectorILNS1_17partition_subalgoE3EjNS0_10empty_typeEbEEZZNS1_14partition_implILS8_3ELb0ES6_jNS0_17counting_iteratorIjlEEPS9_SE_NS0_5tupleIJPjSE_EEENSF_IJSE_SE_EEES9_SG_JZNS1_25segmented_radix_sort_implINS0_14default_configELb0EPKiPiPKlPlN2at6native12_GLOBAL__N_18offset_tEEE10hipError_tPvRmT1_PNSt15iterator_traitsISY_E10value_typeET2_T3_PNSZ_IS14_E10value_typeET4_jRbjT5_S1A_jjP12ihipStream_tbEUljE_EEESV_SW_SX_S14_S18_S1A_T6_T7_T9_mT8_S1C_bDpT10_ENKUlT_T0_E_clISt17integral_constantIbLb1EES1P_EEDaS1K_S1L_EUlS1K_E_NS1_11comp_targetILNS1_3genE9ELNS1_11target_archE1100ELNS1_3gpuE3ELNS1_3repE0EEENS1_30default_config_static_selectorELNS0_4arch9wavefront6targetE0EEEvSY_,comdat
	.globl	_ZN7rocprim17ROCPRIM_400000_NS6detail17trampoline_kernelINS0_13select_configILj256ELj13ELNS0_17block_load_methodE3ELS4_3ELS4_3ELNS0_20block_scan_algorithmE0ELj4294967295EEENS1_25partition_config_selectorILNS1_17partition_subalgoE3EjNS0_10empty_typeEbEEZZNS1_14partition_implILS8_3ELb0ES6_jNS0_17counting_iteratorIjlEEPS9_SE_NS0_5tupleIJPjSE_EEENSF_IJSE_SE_EEES9_SG_JZNS1_25segmented_radix_sort_implINS0_14default_configELb0EPKiPiPKlPlN2at6native12_GLOBAL__N_18offset_tEEE10hipError_tPvRmT1_PNSt15iterator_traitsISY_E10value_typeET2_T3_PNSZ_IS14_E10value_typeET4_jRbjT5_S1A_jjP12ihipStream_tbEUljE_EEESV_SW_SX_S14_S18_S1A_T6_T7_T9_mT8_S1C_bDpT10_ENKUlT_T0_E_clISt17integral_constantIbLb1EES1P_EEDaS1K_S1L_EUlS1K_E_NS1_11comp_targetILNS1_3genE9ELNS1_11target_archE1100ELNS1_3gpuE3ELNS1_3repE0EEENS1_30default_config_static_selectorELNS0_4arch9wavefront6targetE0EEEvSY_ ; -- Begin function _ZN7rocprim17ROCPRIM_400000_NS6detail17trampoline_kernelINS0_13select_configILj256ELj13ELNS0_17block_load_methodE3ELS4_3ELS4_3ELNS0_20block_scan_algorithmE0ELj4294967295EEENS1_25partition_config_selectorILNS1_17partition_subalgoE3EjNS0_10empty_typeEbEEZZNS1_14partition_implILS8_3ELb0ES6_jNS0_17counting_iteratorIjlEEPS9_SE_NS0_5tupleIJPjSE_EEENSF_IJSE_SE_EEES9_SG_JZNS1_25segmented_radix_sort_implINS0_14default_configELb0EPKiPiPKlPlN2at6native12_GLOBAL__N_18offset_tEEE10hipError_tPvRmT1_PNSt15iterator_traitsISY_E10value_typeET2_T3_PNSZ_IS14_E10value_typeET4_jRbjT5_S1A_jjP12ihipStream_tbEUljE_EEESV_SW_SX_S14_S18_S1A_T6_T7_T9_mT8_S1C_bDpT10_ENKUlT_T0_E_clISt17integral_constantIbLb1EES1P_EEDaS1K_S1L_EUlS1K_E_NS1_11comp_targetILNS1_3genE9ELNS1_11target_archE1100ELNS1_3gpuE3ELNS1_3repE0EEENS1_30default_config_static_selectorELNS0_4arch9wavefront6targetE0EEEvSY_
	.p2align	8
	.type	_ZN7rocprim17ROCPRIM_400000_NS6detail17trampoline_kernelINS0_13select_configILj256ELj13ELNS0_17block_load_methodE3ELS4_3ELS4_3ELNS0_20block_scan_algorithmE0ELj4294967295EEENS1_25partition_config_selectorILNS1_17partition_subalgoE3EjNS0_10empty_typeEbEEZZNS1_14partition_implILS8_3ELb0ES6_jNS0_17counting_iteratorIjlEEPS9_SE_NS0_5tupleIJPjSE_EEENSF_IJSE_SE_EEES9_SG_JZNS1_25segmented_radix_sort_implINS0_14default_configELb0EPKiPiPKlPlN2at6native12_GLOBAL__N_18offset_tEEE10hipError_tPvRmT1_PNSt15iterator_traitsISY_E10value_typeET2_T3_PNSZ_IS14_E10value_typeET4_jRbjT5_S1A_jjP12ihipStream_tbEUljE_EEESV_SW_SX_S14_S18_S1A_T6_T7_T9_mT8_S1C_bDpT10_ENKUlT_T0_E_clISt17integral_constantIbLb1EES1P_EEDaS1K_S1L_EUlS1K_E_NS1_11comp_targetILNS1_3genE9ELNS1_11target_archE1100ELNS1_3gpuE3ELNS1_3repE0EEENS1_30default_config_static_selectorELNS0_4arch9wavefront6targetE0EEEvSY_,@function
_ZN7rocprim17ROCPRIM_400000_NS6detail17trampoline_kernelINS0_13select_configILj256ELj13ELNS0_17block_load_methodE3ELS4_3ELS4_3ELNS0_20block_scan_algorithmE0ELj4294967295EEENS1_25partition_config_selectorILNS1_17partition_subalgoE3EjNS0_10empty_typeEbEEZZNS1_14partition_implILS8_3ELb0ES6_jNS0_17counting_iteratorIjlEEPS9_SE_NS0_5tupleIJPjSE_EEENSF_IJSE_SE_EEES9_SG_JZNS1_25segmented_radix_sort_implINS0_14default_configELb0EPKiPiPKlPlN2at6native12_GLOBAL__N_18offset_tEEE10hipError_tPvRmT1_PNSt15iterator_traitsISY_E10value_typeET2_T3_PNSZ_IS14_E10value_typeET4_jRbjT5_S1A_jjP12ihipStream_tbEUljE_EEESV_SW_SX_S14_S18_S1A_T6_T7_T9_mT8_S1C_bDpT10_ENKUlT_T0_E_clISt17integral_constantIbLb1EES1P_EEDaS1K_S1L_EUlS1K_E_NS1_11comp_targetILNS1_3genE9ELNS1_11target_archE1100ELNS1_3gpuE3ELNS1_3repE0EEENS1_30default_config_static_selectorELNS0_4arch9wavefront6targetE0EEEvSY_: ; @_ZN7rocprim17ROCPRIM_400000_NS6detail17trampoline_kernelINS0_13select_configILj256ELj13ELNS0_17block_load_methodE3ELS4_3ELS4_3ELNS0_20block_scan_algorithmE0ELj4294967295EEENS1_25partition_config_selectorILNS1_17partition_subalgoE3EjNS0_10empty_typeEbEEZZNS1_14partition_implILS8_3ELb0ES6_jNS0_17counting_iteratorIjlEEPS9_SE_NS0_5tupleIJPjSE_EEENSF_IJSE_SE_EEES9_SG_JZNS1_25segmented_radix_sort_implINS0_14default_configELb0EPKiPiPKlPlN2at6native12_GLOBAL__N_18offset_tEEE10hipError_tPvRmT1_PNSt15iterator_traitsISY_E10value_typeET2_T3_PNSZ_IS14_E10value_typeET4_jRbjT5_S1A_jjP12ihipStream_tbEUljE_EEESV_SW_SX_S14_S18_S1A_T6_T7_T9_mT8_S1C_bDpT10_ENKUlT_T0_E_clISt17integral_constantIbLb1EES1P_EEDaS1K_S1L_EUlS1K_E_NS1_11comp_targetILNS1_3genE9ELNS1_11target_archE1100ELNS1_3gpuE3ELNS1_3repE0EEENS1_30default_config_static_selectorELNS0_4arch9wavefront6targetE0EEEvSY_
; %bb.0:
	s_clause 0x6
	s_load_b64 s[16:17], s[0:1], 0x10
	s_load_b64 s[12:13], s[0:1], 0x28
	;; [unrolled: 1-line block ×3, first 2 shown]
	s_load_b128 s[8:11], s[0:1], 0x48
	s_load_b32 s3, s[0:1], 0x90
	s_load_b64 s[18:19], s[0:1], 0x68
	s_load_b128 s[4:7], s[0:1], 0x80
	v_cmp_eq_u32_e64 s2, 0, v0
	s_delay_alu instid0(VALU_DEP_1)
	s_and_saveexec_b32 s20, s2
	s_cbranch_execz .LBB582_4
; %bb.1:
	s_mov_b32 s22, exec_lo
	s_mov_b32 s21, exec_lo
	v_mbcnt_lo_u32_b32 v1, s22, 0
                                        ; implicit-def: $vgpr2
	s_delay_alu instid0(VALU_DEP_1)
	v_cmpx_eq_u32_e32 0, v1
	s_cbranch_execz .LBB582_3
; %bb.2:
	s_load_b64 s[24:25], s[0:1], 0x78
	s_bcnt1_i32_b32 s22, s22
	s_delay_alu instid0(SALU_CYCLE_1)
	v_dual_mov_b32 v2, 0 :: v_dual_mov_b32 v3, s22
	s_waitcnt lgkmcnt(0)
	global_atomic_add_u32 v2, v2, v3, s[24:25] glc
.LBB582_3:
	s_or_b32 exec_lo, exec_lo, s21
	s_waitcnt vmcnt(0)
	v_readfirstlane_b32 s21, v2
	s_delay_alu instid0(VALU_DEP_1)
	v_dual_mov_b32 v2, 0 :: v_dual_add_nc_u32 v1, s21, v1
	ds_store_b32 v2, v1
.LBB582_4:
	s_or_b32 exec_lo, exec_lo, s20
	v_mov_b32_e32 v1, 0
	s_clause 0x1
	s_load_b32 s20, s[0:1], 0x8
	s_load_b32 s0, s[0:1], 0x70
	s_waitcnt lgkmcnt(0)
	s_barrier
	buffer_gl0_inv
	ds_load_b32 v2, v1
	s_waitcnt lgkmcnt(0)
	s_barrier
	buffer_gl0_inv
	global_load_b64 v[18:19], v1, s[10:11]
	v_lshlrev_b32_e32 v33, 2, v0
	s_add_i32 s21, s20, s16
	s_mul_i32 s1, s0, 0xd00
	s_add_i32 s0, s0, -1
	s_add_u32 s10, s16, s1
	s_addc_u32 s11, s17, 0
	v_mul_lo_u32 v32, 0xd00, v2
	v_readfirstlane_b32 s20, v2
	v_cmp_lt_u64_e64 s11, s[10:11], s[14:15]
	v_cmp_ne_u32_e32 vcc_lo, s0, v2
	s_delay_alu instid0(VALU_DEP_3) | instskip(SKIP_1) | instid1(VALU_DEP_4)
	s_cmp_eq_u32 s20, s0
	s_cselect_b32 s10, -1, 0
	v_add3_u32 v1, v32, s21, v0
	s_delay_alu instid0(VALU_DEP_3) | instskip(SKIP_2) | instid1(VALU_DEP_1)
	s_or_b32 s0, s11, vcc_lo
	s_mov_b32 s11, -1
	s_and_b32 vcc_lo, exec_lo, s0
	v_add_nc_u32_e32 v2, 0x100, v1
	v_add_nc_u32_e32 v3, 0x200, v1
	;; [unrolled: 1-line block ×12, first 2 shown]
	s_cbranch_vccz .LBB582_6
; %bb.5:
	ds_store_2addr_stride64_b32 v33, v1, v2 offset1:4
	ds_store_2addr_stride64_b32 v33, v3, v4 offset0:8 offset1:12
	ds_store_2addr_stride64_b32 v33, v5, v6 offset0:16 offset1:20
	;; [unrolled: 1-line block ×5, first 2 shown]
	ds_store_b32 v33, v13 offset:12288
	s_waitcnt vmcnt(0) lgkmcnt(0)
	s_mov_b32 s11, 0
	s_barrier
.LBB582_6:
	s_and_not1_b32 vcc_lo, exec_lo, s11
	s_add_i32 s1, s1, s16
	s_cbranch_vccnz .LBB582_8
; %bb.7:
	ds_store_2addr_stride64_b32 v33, v1, v2 offset1:4
	ds_store_2addr_stride64_b32 v33, v3, v4 offset0:8 offset1:12
	ds_store_2addr_stride64_b32 v33, v5, v6 offset0:16 offset1:20
	;; [unrolled: 1-line block ×5, first 2 shown]
	ds_store_b32 v33, v13 offset:12288
	s_waitcnt vmcnt(0) lgkmcnt(0)
	s_barrier
.LBB582_8:
	v_mul_u32_u24_e32 v36, 13, v0
	s_waitcnt vmcnt(0)
	buffer_gl0_inv
	v_cndmask_b32_e64 v34, 0, 1, s0
	s_sub_i32 s11, s14, s1
	s_and_not1_b32 vcc_lo, exec_lo, s0
	v_lshlrev_b32_e32 v1, 2, v36
	ds_load_2addr_b32 v[30:31], v1 offset1:1
	ds_load_2addr_b32 v[28:29], v1 offset0:2 offset1:3
	ds_load_2addr_b32 v[26:27], v1 offset0:4 offset1:5
	;; [unrolled: 1-line block ×5, first 2 shown]
	ds_load_b32 v35, v1 offset:48
	s_waitcnt lgkmcnt(0)
	s_barrier
	buffer_gl0_inv
	s_cbranch_vccnz .LBB582_10
; %bb.9:
	v_add_nc_u32_e32 v1, s5, v30
	v_add_nc_u32_e32 v2, s7, v30
	v_add_nc_u32_e32 v3, s5, v31
	v_add_nc_u32_e32 v4, s7, v31
	v_add_nc_u32_e32 v5, s5, v28
	v_mul_lo_u32 v1, v1, s4
	v_mul_lo_u32 v2, v2, s6
	;; [unrolled: 1-line block ×4, first 2 shown]
	v_add_nc_u32_e32 v6, s7, v28
	v_add_nc_u32_e32 v7, s5, v29
	;; [unrolled: 1-line block ×3, first 2 shown]
	v_mul_lo_u32 v5, v5, s4
	v_add_nc_u32_e32 v9, s5, v24
	v_sub_nc_u32_e32 v1, v1, v2
	v_mul_lo_u32 v2, v6, s6
	v_sub_nc_u32_e32 v3, v3, v4
	v_mul_lo_u32 v4, v7, s4
	v_mul_lo_u32 v6, v8, s6
	v_add_nc_u32_e32 v7, s5, v26
	v_cmp_lt_u32_e32 vcc_lo, s3, v1
	v_add_nc_u32_e32 v8, s5, v27
	v_add_nc_u32_e32 v10, s7, v24
	v_sub_nc_u32_e32 v2, v5, v2
	v_add_nc_u32_e32 v5, s7, v26
	v_cndmask_b32_e64 v1, 0, 1, vcc_lo
	v_sub_nc_u32_e32 v4, v4, v6
	v_mul_lo_u32 v6, v7, s4
	v_add_nc_u32_e32 v7, s7, v27
	v_cmp_lt_u32_e32 vcc_lo, s3, v3
	v_mul_lo_u32 v5, v5, s6
	v_mul_lo_u32 v8, v8, s4
	;; [unrolled: 1-line block ×4, first 2 shown]
	v_cndmask_b32_e64 v3, 0, 1, vcc_lo
	v_cmp_lt_u32_e32 vcc_lo, s3, v2
	v_mul_lo_u32 v10, v10, s6
	v_add_nc_u32_e32 v11, s5, v22
	v_sub_nc_u32_e32 v5, v6, v5
	v_add_nc_u32_e32 v12, s7, v22
	v_cndmask_b32_e64 v2, 0, 1, vcc_lo
	v_sub_nc_u32_e32 v6, v8, v7
	v_add_nc_u32_e32 v7, s5, v25
	v_add_nc_u32_e32 v8, s7, v25
	v_cmp_lt_u32_e32 vcc_lo, s3, v4
	v_sub_nc_u32_e32 v9, v9, v10
	v_mul_lo_u32 v10, v11, s4
	v_mul_lo_u32 v7, v7, s4
	;; [unrolled: 1-line block ×4, first 2 shown]
	v_cndmask_b32_e64 v4, 0, 1, vcc_lo
	v_cmp_lt_u32_e32 vcc_lo, s3, v5
	v_add_nc_u32_e32 v12, s5, v23
	v_add_nc_u32_e32 v13, s7, v20
	;; [unrolled: 1-line block ×4, first 2 shown]
	v_cndmask_b32_e64 v5, 0, 1, vcc_lo
	v_cmp_lt_u32_e32 vcc_lo, s3, v6
	v_sub_nc_u32_e32 v7, v7, v8
	v_sub_nc_u32_e32 v8, v10, v11
	v_add_nc_u32_e32 v11, s7, v23
	v_mul_lo_u32 v10, v12, s4
	v_cndmask_b32_e64 v6, 0, 1, vcc_lo
	v_cmp_lt_u32_e32 vcc_lo, s3, v9
	v_add_nc_u32_e32 v12, s5, v20
	v_mul_lo_u32 v11, v11, s6
	v_mul_lo_u32 v13, v13, s6
	;; [unrolled: 1-line block ×3, first 2 shown]
	v_cndmask_b32_e64 v9, 0, 1, vcc_lo
	v_cmp_lt_u32_e32 vcc_lo, s3, v7
	v_mul_lo_u32 v12, v12, s4
	v_mul_lo_u32 v15, v15, s6
	v_lshlrev_b16 v3, 8, v3
	v_sub_nc_u32_e32 v10, v10, v11
	v_cndmask_b32_e64 v7, 0, 1, vcc_lo
	v_cmp_lt_u32_e32 vcc_lo, s3, v8
	v_add_nc_u32_e32 v11, s5, v35
	v_or_b32_e32 v1, v1, v3
	v_sub_nc_u32_e32 v12, v12, v13
	v_sub_nc_u32_e32 v13, v14, v15
	v_cndmask_b32_e64 v8, 0, 1, vcc_lo
	v_cmp_lt_u32_e32 vcc_lo, s3, v10
	v_add_nc_u32_e32 v16, s7, v35
	v_mul_lo_u32 v11, v11, s4
	v_lshlrev_b16 v4, 8, v4
	v_lshlrev_b16 v6, 8, v6
	v_cndmask_b32_e64 v10, 0, 1, vcc_lo
	v_cmp_lt_u32_e32 vcc_lo, s3, v12
	v_mul_lo_u32 v14, v16, s6
	v_lshlrev_b16 v7, 8, v7
	v_or_b32_e32 v2, v2, v4
	v_lshlrev_b16 v10, 8, v10
	v_cndmask_b32_e64 v3, 0, 1, vcc_lo
	v_cmp_lt_u32_e32 vcc_lo, s3, v13
	v_or_b32_e32 v4, v5, v6
	v_or_b32_e32 v5, v9, v7
	v_sub_nc_u32_e32 v11, v11, v14
	v_or_b32_e32 v6, v8, v10
	v_cndmask_b32_e64 v12, 0, 1, vcc_lo
	v_and_b32_e32 v1, 0xffff, v1
	v_lshlrev_b32_e32 v2, 16, v2
	v_and_b32_e32 v4, 0xffff, v4
	v_lshlrev_b32_e32 v5, 16, v5
	v_lshlrev_b16 v12, 8, v12
	v_and_b32_e32 v6, 0xffff, v6
	v_cmp_lt_u32_e32 vcc_lo, s3, v11
	v_or_b32_e32 v42, v1, v2
	v_or_b32_e32 v40, v4, v5
	;; [unrolled: 1-line block ×3, first 2 shown]
	v_cndmask_b32_e64 v37, 0, 1, vcc_lo
	s_delay_alu instid0(VALU_DEP_2) | instskip(NEXT) | instid1(VALU_DEP_1)
	v_lshlrev_b32_e32 v3, 16, v3
	v_or_b32_e32 v38, v6, v3
	s_addk_i32 s11, 0xd00
	s_cbranch_execz .LBB582_11
	s_branch .LBB582_38
.LBB582_10:
                                        ; implicit-def: $vgpr37
                                        ; implicit-def: $vgpr38
                                        ; implicit-def: $vgpr40
                                        ; implicit-def: $vgpr42
	s_addk_i32 s11, 0xd00
.LBB582_11:
	v_dual_mov_b32 v2, 0 :: v_dual_mov_b32 v1, 0
	s_mov_b32 s0, exec_lo
	v_cmpx_gt_u32_e64 s11, v36
; %bb.12:
	v_add_nc_u32_e32 v1, s5, v30
	v_add_nc_u32_e32 v3, s7, v30
	s_delay_alu instid0(VALU_DEP_2) | instskip(NEXT) | instid1(VALU_DEP_2)
	v_mul_lo_u32 v1, v1, s4
	v_mul_lo_u32 v3, v3, s6
	s_delay_alu instid0(VALU_DEP_1) | instskip(NEXT) | instid1(VALU_DEP_1)
	v_sub_nc_u32_e32 v1, v1, v3
	v_cmp_lt_u32_e32 vcc_lo, s3, v1
	v_cndmask_b32_e64 v1, 0, 1, vcc_lo
; %bb.13:
	s_or_b32 exec_lo, exec_lo, s0
	v_add_nc_u32_e32 v3, 1, v36
	s_mov_b32 s0, exec_lo
	s_delay_alu instid0(VALU_DEP_1)
	v_cmpx_gt_u32_e64 s11, v3
; %bb.14:
	v_add_nc_u32_e32 v2, s5, v31
	v_add_nc_u32_e32 v3, s7, v31
	s_delay_alu instid0(VALU_DEP_2) | instskip(NEXT) | instid1(VALU_DEP_2)
	v_mul_lo_u32 v2, v2, s4
	v_mul_lo_u32 v3, v3, s6
	s_delay_alu instid0(VALU_DEP_1) | instskip(NEXT) | instid1(VALU_DEP_1)
	v_sub_nc_u32_e32 v2, v2, v3
	v_cmp_lt_u32_e32 vcc_lo, s3, v2
	v_cndmask_b32_e64 v2, 0, 1, vcc_lo
; %bb.15:
	s_or_b32 exec_lo, exec_lo, s0
	v_dual_mov_b32 v4, 0 :: v_dual_add_nc_u32 v3, 2, v36
	s_delay_alu instid0(VALU_DEP_1)
	v_cmp_gt_u32_e32 vcc_lo, s11, v3
	v_mov_b32_e32 v3, 0
	s_and_saveexec_b32 s0, vcc_lo
; %bb.16:
	v_add_nc_u32_e32 v3, s5, v28
	v_add_nc_u32_e32 v5, s7, v28
	s_delay_alu instid0(VALU_DEP_2) | instskip(NEXT) | instid1(VALU_DEP_2)
	v_mul_lo_u32 v3, v3, s4
	v_mul_lo_u32 v5, v5, s6
	s_delay_alu instid0(VALU_DEP_1) | instskip(NEXT) | instid1(VALU_DEP_1)
	v_sub_nc_u32_e32 v3, v3, v5
	v_cmp_lt_u32_e32 vcc_lo, s3, v3
	v_cndmask_b32_e64 v3, 0, 1, vcc_lo
; %bb.17:
	s_or_b32 exec_lo, exec_lo, s0
	v_add_nc_u32_e32 v5, 3, v36
	s_mov_b32 s0, exec_lo
	s_delay_alu instid0(VALU_DEP_1)
	v_cmpx_gt_u32_e64 s11, v5
; %bb.18:
	v_add_nc_u32_e32 v4, s5, v29
	v_add_nc_u32_e32 v5, s7, v29
	s_delay_alu instid0(VALU_DEP_2) | instskip(NEXT) | instid1(VALU_DEP_2)
	v_mul_lo_u32 v4, v4, s4
	v_mul_lo_u32 v5, v5, s6
	s_delay_alu instid0(VALU_DEP_1) | instskip(NEXT) | instid1(VALU_DEP_1)
	v_sub_nc_u32_e32 v4, v4, v5
	v_cmp_lt_u32_e32 vcc_lo, s3, v4
	v_cndmask_b32_e64 v4, 0, 1, vcc_lo
; %bb.19:
	s_or_b32 exec_lo, exec_lo, s0
	v_dual_mov_b32 v6, 0 :: v_dual_add_nc_u32 v5, 4, v36
	s_delay_alu instid0(VALU_DEP_1)
	v_cmp_gt_u32_e32 vcc_lo, s11, v5
	v_mov_b32_e32 v5, 0
	s_and_saveexec_b32 s0, vcc_lo
	;; [unrolled: 33-line block ×5, first 2 shown]
; %bb.32:
	v_add_nc_u32_e32 v11, s5, v20
	v_add_nc_u32_e32 v13, s7, v20
	s_delay_alu instid0(VALU_DEP_2) | instskip(NEXT) | instid1(VALU_DEP_2)
	v_mul_lo_u32 v11, v11, s4
	v_mul_lo_u32 v13, v13, s6
	s_delay_alu instid0(VALU_DEP_1) | instskip(NEXT) | instid1(VALU_DEP_1)
	v_sub_nc_u32_e32 v11, v11, v13
	v_cmp_lt_u32_e32 vcc_lo, s3, v11
	v_cndmask_b32_e64 v11, 0, 1, vcc_lo
; %bb.33:
	s_or_b32 exec_lo, exec_lo, s0
	v_add_nc_u32_e32 v13, 11, v36
	s_mov_b32 s0, exec_lo
	s_delay_alu instid0(VALU_DEP_1)
	v_cmpx_gt_u32_e64 s11, v13
; %bb.34:
	v_add_nc_u32_e32 v12, s5, v21
	v_add_nc_u32_e32 v13, s7, v21
	s_delay_alu instid0(VALU_DEP_2) | instskip(NEXT) | instid1(VALU_DEP_2)
	v_mul_lo_u32 v12, v12, s4
	v_mul_lo_u32 v13, v13, s6
	s_delay_alu instid0(VALU_DEP_1) | instskip(NEXT) | instid1(VALU_DEP_1)
	v_sub_nc_u32_e32 v12, v12, v13
	v_cmp_lt_u32_e32 vcc_lo, s3, v12
	v_cndmask_b32_e64 v12, 0, 1, vcc_lo
; %bb.35:
	s_or_b32 exec_lo, exec_lo, s0
	v_add_nc_u32_e32 v13, 12, v36
	v_mov_b32_e32 v37, 0
	s_mov_b32 s0, exec_lo
	s_delay_alu instid0(VALU_DEP_2)
	v_cmpx_gt_u32_e64 s11, v13
; %bb.36:
	v_add_nc_u32_e32 v13, s5, v35
	v_add_nc_u32_e32 v14, s7, v35
	s_delay_alu instid0(VALU_DEP_2) | instskip(NEXT) | instid1(VALU_DEP_2)
	v_mul_lo_u32 v13, v13, s4
	v_mul_lo_u32 v14, v14, s6
	s_delay_alu instid0(VALU_DEP_1) | instskip(NEXT) | instid1(VALU_DEP_1)
	v_sub_nc_u32_e32 v13, v13, v14
	v_cmp_lt_u32_e32 vcc_lo, s3, v13
	v_cndmask_b32_e64 v37, 0, 1, vcc_lo
; %bb.37:
	s_or_b32 exec_lo, exec_lo, s0
	v_lshlrev_b16 v2, 8, v2
	v_lshlrev_b16 v4, 8, v4
	;; [unrolled: 1-line block ×5, first 2 shown]
	v_or_b32_e32 v1, v1, v2
	v_lshlrev_b16 v2, 8, v12
	v_or_b32_e32 v3, v3, v4
	v_or_b32_e32 v4, v5, v6
	v_or_b32_e32 v5, v7, v8
	v_or_b32_e32 v6, v9, v10
	v_or_b32_e32 v2, v11, v2
	v_and_b32_e32 v1, 0xffff, v1
	v_lshlrev_b32_e32 v3, 16, v3
	v_and_b32_e32 v4, 0xffff, v4
	v_lshlrev_b32_e32 v5, 16, v5
	;; [unrolled: 2-line block ×3, first 2 shown]
	v_or_b32_e32 v42, v1, v3
	s_delay_alu instid0(VALU_DEP_4) | instskip(NEXT) | instid1(VALU_DEP_3)
	v_or_b32_e32 v40, v4, v5
	v_or_b32_e32 v38, v6, v2
.LBB582_38:
	s_delay_alu instid0(VALU_DEP_3)
	v_and_b32_e32 v44, 0xff, v42
	v_bfe_u32 v45, v42, 8, 8
	v_bfe_u32 v46, v42, 16, 8
	v_lshrrev_b32_e32 v43, 24, v42
	v_and_b32_e32 v47, 0xff, v40
	v_bfe_u32 v48, v40, 8, 8
	v_bfe_u32 v49, v40, 16, 8
	v_add3_u32 v1, v45, v44, v46
	v_lshrrev_b32_e32 v41, 24, v40
	v_and_b32_e32 v50, 0xff, v38
	v_bfe_u32 v51, v38, 8, 8
	v_mbcnt_lo_u32_b32 v53, -1, 0
	v_add3_u32 v1, v1, v43, v47
	v_bfe_u32 v52, v38, 16, 8
	v_lshrrev_b32_e32 v39, 24, v38
	v_and_b32_e32 v2, 0xff, v37
	v_and_b32_e32 v3, 15, v53
	v_add3_u32 v1, v1, v48, v49
	v_or_b32_e32 v4, 31, v0
	v_and_b32_e32 v5, 16, v53
	v_lshrrev_b32_e32 v54, 5, v0
	v_cmp_eq_u32_e64 s6, 0, v3
	v_add3_u32 v1, v1, v41, v50
	v_cmp_lt_u32_e64 s5, 1, v3
	v_cmp_lt_u32_e64 s4, 3, v3
	;; [unrolled: 1-line block ×3, first 2 shown]
	v_cmp_eq_u32_e64 s1, 0, v5
	v_add3_u32 v1, v1, v51, v52
	v_cmp_eq_u32_e64 s0, v4, v0
	s_cmp_lg_u32 s20, 0
	s_mov_b32 s7, -1
	s_delay_alu instid0(VALU_DEP_2)
	v_add3_u32 v55, v1, v39, v2
	s_cbranch_scc0 .LBB582_69
; %bb.39:
	s_delay_alu instid0(VALU_DEP_1) | instskip(NEXT) | instid1(VALU_DEP_1)
	v_mov_b32_dpp v1, v55 row_shr:1 row_mask:0xf bank_mask:0xf
	v_cndmask_b32_e64 v1, v1, 0, s6
	s_delay_alu instid0(VALU_DEP_1) | instskip(NEXT) | instid1(VALU_DEP_1)
	v_add_nc_u32_e32 v1, v1, v55
	v_mov_b32_dpp v2, v1 row_shr:2 row_mask:0xf bank_mask:0xf
	s_delay_alu instid0(VALU_DEP_1) | instskip(NEXT) | instid1(VALU_DEP_1)
	v_cndmask_b32_e64 v2, 0, v2, s5
	v_add_nc_u32_e32 v1, v1, v2
	s_delay_alu instid0(VALU_DEP_1) | instskip(NEXT) | instid1(VALU_DEP_1)
	v_mov_b32_dpp v2, v1 row_shr:4 row_mask:0xf bank_mask:0xf
	v_cndmask_b32_e64 v2, 0, v2, s4
	s_delay_alu instid0(VALU_DEP_1) | instskip(NEXT) | instid1(VALU_DEP_1)
	v_add_nc_u32_e32 v1, v1, v2
	v_mov_b32_dpp v2, v1 row_shr:8 row_mask:0xf bank_mask:0xf
	s_delay_alu instid0(VALU_DEP_1) | instskip(NEXT) | instid1(VALU_DEP_1)
	v_cndmask_b32_e64 v2, 0, v2, s3
	v_add_nc_u32_e32 v1, v1, v2
	ds_swizzle_b32 v2, v1 offset:swizzle(BROADCAST,32,15)
	s_waitcnt lgkmcnt(0)
	v_cndmask_b32_e64 v2, v2, 0, s1
	s_delay_alu instid0(VALU_DEP_1)
	v_add_nc_u32_e32 v1, v1, v2
	s_and_saveexec_b32 s7, s0
	s_cbranch_execz .LBB582_41
; %bb.40:
	v_lshlrev_b32_e32 v2, 2, v54
	ds_store_b32 v2, v1
.LBB582_41:
	s_or_b32 exec_lo, exec_lo, s7
	s_delay_alu instid0(SALU_CYCLE_1)
	s_mov_b32 s7, exec_lo
	s_waitcnt lgkmcnt(0)
	s_barrier
	buffer_gl0_inv
	v_cmpx_gt_u32_e32 8, v0
	s_cbranch_execz .LBB582_43
; %bb.42:
	ds_load_b32 v2, v33
	s_waitcnt lgkmcnt(0)
	v_mov_b32_dpp v4, v2 row_shr:1 row_mask:0xf bank_mask:0xf
	v_and_b32_e32 v3, 7, v53
	s_delay_alu instid0(VALU_DEP_1) | instskip(NEXT) | instid1(VALU_DEP_3)
	v_cmp_ne_u32_e32 vcc_lo, 0, v3
	v_cndmask_b32_e32 v4, 0, v4, vcc_lo
	v_cmp_lt_u32_e32 vcc_lo, 1, v3
	s_delay_alu instid0(VALU_DEP_2) | instskip(NEXT) | instid1(VALU_DEP_1)
	v_add_nc_u32_e32 v2, v4, v2
	v_mov_b32_dpp v4, v2 row_shr:2 row_mask:0xf bank_mask:0xf
	s_delay_alu instid0(VALU_DEP_1) | instskip(SKIP_1) | instid1(VALU_DEP_2)
	v_cndmask_b32_e32 v4, 0, v4, vcc_lo
	v_cmp_lt_u32_e32 vcc_lo, 3, v3
	v_add_nc_u32_e32 v2, v2, v4
	s_delay_alu instid0(VALU_DEP_1) | instskip(NEXT) | instid1(VALU_DEP_1)
	v_mov_b32_dpp v4, v2 row_shr:4 row_mask:0xf bank_mask:0xf
	v_cndmask_b32_e32 v3, 0, v4, vcc_lo
	s_delay_alu instid0(VALU_DEP_1)
	v_add_nc_u32_e32 v2, v2, v3
	ds_store_b32 v33, v2
.LBB582_43:
	s_or_b32 exec_lo, exec_lo, s7
	v_cmp_gt_u32_e32 vcc_lo, 32, v0
	s_mov_b32 s21, exec_lo
	s_waitcnt lgkmcnt(0)
	s_barrier
	buffer_gl0_inv
                                        ; implicit-def: $vgpr8
	v_cmpx_lt_u32_e32 31, v0
	s_cbranch_execz .LBB582_45
; %bb.44:
	v_lshl_add_u32 v2, v54, 2, -4
	ds_load_b32 v8, v2
	s_waitcnt lgkmcnt(0)
	v_add_nc_u32_e32 v1, v8, v1
.LBB582_45:
	s_or_b32 exec_lo, exec_lo, s21
	v_add_nc_u32_e32 v2, -1, v53
	s_delay_alu instid0(VALU_DEP_1) | instskip(NEXT) | instid1(VALU_DEP_1)
	v_cmp_gt_i32_e64 s7, 0, v2
	v_cndmask_b32_e64 v2, v2, v53, s7
	v_cmp_eq_u32_e64 s7, 0, v53
	s_delay_alu instid0(VALU_DEP_2)
	v_lshlrev_b32_e32 v2, 2, v2
	ds_bpermute_b32 v9, v2, v1
	s_and_saveexec_b32 s21, vcc_lo
	s_cbranch_execz .LBB582_68
; %bb.46:
	v_mov_b32_e32 v4, 0
	ds_load_b32 v1, v4 offset:28
	s_and_saveexec_b32 s22, s7
	s_cbranch_execz .LBB582_48
; %bb.47:
	s_add_i32 s24, s20, 32
	s_mov_b32 s25, 0
	v_mov_b32_e32 v2, 1
	s_lshl_b64 s[24:25], s[24:25], 3
	s_delay_alu instid0(SALU_CYCLE_1)
	s_add_u32 s24, s18, s24
	s_addc_u32 s25, s19, s25
	s_waitcnt lgkmcnt(0)
	global_store_b64 v4, v[1:2], s[24:25]
.LBB582_48:
	s_or_b32 exec_lo, exec_lo, s22
	v_xad_u32 v2, v53, -1, s20
	s_mov_b32 s23, 0
	s_mov_b32 s22, exec_lo
	s_delay_alu instid0(VALU_DEP_1) | instskip(NEXT) | instid1(VALU_DEP_1)
	v_add_nc_u32_e32 v3, 32, v2
	v_lshlrev_b64 v[3:4], 3, v[3:4]
	s_delay_alu instid0(VALU_DEP_1) | instskip(NEXT) | instid1(VALU_DEP_2)
	v_add_co_u32 v6, vcc_lo, s18, v3
	v_add_co_ci_u32_e32 v7, vcc_lo, s19, v4, vcc_lo
	global_load_b64 v[4:5], v[6:7], off glc
	s_waitcnt vmcnt(0)
	v_and_b32_e32 v3, 0xff, v5
	s_delay_alu instid0(VALU_DEP_1)
	v_cmpx_eq_u16_e32 0, v3
	s_cbranch_execz .LBB582_54
; %bb.49:
	s_mov_b32 s24, 1
	.p2align	6
.LBB582_50:                             ; =>This Loop Header: Depth=1
                                        ;     Child Loop BB582_51 Depth 2
	s_delay_alu instid0(SALU_CYCLE_1)
	s_max_u32 s25, s24, 1
.LBB582_51:                             ;   Parent Loop BB582_50 Depth=1
                                        ; =>  This Inner Loop Header: Depth=2
	s_delay_alu instid0(SALU_CYCLE_1)
	s_add_i32 s25, s25, -1
	s_sleep 1
	s_cmp_eq_u32 s25, 0
	s_cbranch_scc0 .LBB582_51
; %bb.52:                               ;   in Loop: Header=BB582_50 Depth=1
	global_load_b64 v[4:5], v[6:7], off glc
	s_cmp_lt_u32 s24, 32
	s_cselect_b32 s25, -1, 0
	s_delay_alu instid0(SALU_CYCLE_1) | instskip(SKIP_3) | instid1(VALU_DEP_1)
	s_cmp_lg_u32 s25, 0
	s_addc_u32 s24, s24, 0
	s_waitcnt vmcnt(0)
	v_and_b32_e32 v3, 0xff, v5
	v_cmp_ne_u16_e32 vcc_lo, 0, v3
	s_or_b32 s23, vcc_lo, s23
	s_delay_alu instid0(SALU_CYCLE_1)
	s_and_not1_b32 exec_lo, exec_lo, s23
	s_cbranch_execnz .LBB582_50
; %bb.53:
	s_or_b32 exec_lo, exec_lo, s23
.LBB582_54:
	s_delay_alu instid0(SALU_CYCLE_1)
	s_or_b32 exec_lo, exec_lo, s22
	v_cmp_ne_u32_e32 vcc_lo, 31, v53
	v_lshlrev_b32_e64 v11, v53, -1
	v_add_nc_u32_e32 v13, 2, v53
	v_add_nc_u32_e32 v15, 4, v53
	;; [unrolled: 1-line block ×3, first 2 shown]
	v_add_co_ci_u32_e32 v3, vcc_lo, 0, v53, vcc_lo
	v_add_nc_u32_e32 v58, 16, v53
	s_delay_alu instid0(VALU_DEP_2) | instskip(SKIP_2) | instid1(VALU_DEP_1)
	v_lshlrev_b32_e32 v10, 2, v3
	ds_bpermute_b32 v6, v10, v4
	v_and_b32_e32 v3, 0xff, v5
	v_cmp_eq_u16_e32 vcc_lo, 2, v3
	v_and_or_b32 v3, vcc_lo, v11, 0x80000000
	v_cmp_gt_u32_e32 vcc_lo, 30, v53
	s_delay_alu instid0(VALU_DEP_2) | instskip(SKIP_1) | instid1(VALU_DEP_2)
	v_ctz_i32_b32_e32 v3, v3
	v_cndmask_b32_e64 v7, 0, 1, vcc_lo
	v_cmp_lt_u32_e32 vcc_lo, v53, v3
	s_waitcnt lgkmcnt(0)
	s_delay_alu instid0(VALU_DEP_2) | instskip(NEXT) | instid1(VALU_DEP_1)
	v_dual_cndmask_b32 v6, 0, v6 :: v_dual_lshlrev_b32 v7, 1, v7
	v_add_lshl_u32 v12, v7, v53, 2
	v_cmp_gt_u32_e32 vcc_lo, 28, v53
	s_delay_alu instid0(VALU_DEP_3) | instskip(SKIP_4) | instid1(VALU_DEP_1)
	v_add_nc_u32_e32 v4, v6, v4
	v_cndmask_b32_e64 v7, 0, 1, vcc_lo
	v_cmp_le_u32_e32 vcc_lo, v13, v3
	ds_bpermute_b32 v6, v12, v4
	v_lshlrev_b32_e32 v7, 2, v7
	v_add_lshl_u32 v14, v7, v53, 2
	s_waitcnt lgkmcnt(0)
	v_cndmask_b32_e32 v6, 0, v6, vcc_lo
	v_cmp_gt_u32_e32 vcc_lo, 24, v53
	s_delay_alu instid0(VALU_DEP_2) | instskip(SKIP_4) | instid1(VALU_DEP_1)
	v_add_nc_u32_e32 v4, v4, v6
	v_cndmask_b32_e64 v7, 0, 1, vcc_lo
	v_cmp_le_u32_e32 vcc_lo, v15, v3
	ds_bpermute_b32 v6, v14, v4
	v_lshlrev_b32_e32 v7, 3, v7
	v_add_lshl_u32 v17, v7, v53, 2
	s_waitcnt lgkmcnt(0)
	v_cndmask_b32_e32 v6, 0, v6, vcc_lo
	v_cmp_gt_u32_e32 vcc_lo, 16, v53
	s_delay_alu instid0(VALU_DEP_2) | instskip(SKIP_4) | instid1(VALU_DEP_1)
	v_add_nc_u32_e32 v4, v4, v6
	v_cndmask_b32_e64 v7, 0, 1, vcc_lo
	v_cmp_le_u32_e32 vcc_lo, v56, v3
	ds_bpermute_b32 v6, v17, v4
	v_lshlrev_b32_e32 v7, 4, v7
	v_add_lshl_u32 v57, v7, v53, 2
	s_waitcnt lgkmcnt(0)
	v_cndmask_b32_e32 v6, 0, v6, vcc_lo
	v_cmp_le_u32_e32 vcc_lo, v58, v3
	s_delay_alu instid0(VALU_DEP_2) | instskip(SKIP_3) | instid1(VALU_DEP_1)
	v_add_nc_u32_e32 v4, v4, v6
	ds_bpermute_b32 v6, v57, v4
	s_waitcnt lgkmcnt(0)
	v_cndmask_b32_e32 v3, 0, v6, vcc_lo
	v_dual_mov_b32 v3, 0 :: v_dual_add_nc_u32 v4, v4, v3
	s_branch .LBB582_56
.LBB582_55:                             ;   in Loop: Header=BB582_56 Depth=1
	s_or_b32 exec_lo, exec_lo, s22
	ds_bpermute_b32 v7, v10, v4
	v_and_b32_e32 v6, 0xff, v5
	v_subrev_nc_u32_e32 v2, 32, v2
	s_delay_alu instid0(VALU_DEP_2) | instskip(SKIP_1) | instid1(VALU_DEP_1)
	v_cmp_eq_u16_e32 vcc_lo, 2, v6
	v_and_or_b32 v6, vcc_lo, v11, 0x80000000
	v_ctz_i32_b32_e32 v6, v6
	s_delay_alu instid0(VALU_DEP_1) | instskip(SKIP_3) | instid1(VALU_DEP_2)
	v_cmp_lt_u32_e32 vcc_lo, v53, v6
	s_waitcnt lgkmcnt(0)
	v_cndmask_b32_e32 v7, 0, v7, vcc_lo
	v_cmp_le_u32_e32 vcc_lo, v13, v6
	v_add_nc_u32_e32 v4, v7, v4
	ds_bpermute_b32 v7, v12, v4
	s_waitcnt lgkmcnt(0)
	v_cndmask_b32_e32 v7, 0, v7, vcc_lo
	v_cmp_le_u32_e32 vcc_lo, v15, v6
	s_delay_alu instid0(VALU_DEP_2) | instskip(SKIP_4) | instid1(VALU_DEP_2)
	v_add_nc_u32_e32 v4, v4, v7
	ds_bpermute_b32 v7, v14, v4
	s_waitcnt lgkmcnt(0)
	v_cndmask_b32_e32 v7, 0, v7, vcc_lo
	v_cmp_le_u32_e32 vcc_lo, v56, v6
	v_add_nc_u32_e32 v4, v4, v7
	ds_bpermute_b32 v7, v17, v4
	s_waitcnt lgkmcnt(0)
	v_cndmask_b32_e32 v7, 0, v7, vcc_lo
	v_cmp_le_u32_e32 vcc_lo, v58, v6
	s_delay_alu instid0(VALU_DEP_2) | instskip(SKIP_3) | instid1(VALU_DEP_1)
	v_add_nc_u32_e32 v4, v4, v7
	ds_bpermute_b32 v7, v57, v4
	s_waitcnt lgkmcnt(0)
	v_cndmask_b32_e32 v6, 0, v7, vcc_lo
	v_add3_u32 v4, v6, v16, v4
.LBB582_56:                             ; =>This Loop Header: Depth=1
                                        ;     Child Loop BB582_59 Depth 2
                                        ;       Child Loop BB582_60 Depth 3
	s_delay_alu instid0(VALU_DEP_1) | instskip(NEXT) | instid1(VALU_DEP_1)
	v_dual_mov_b32 v16, v4 :: v_dual_and_b32 v5, 0xff, v5
	v_cmp_ne_u16_e32 vcc_lo, 2, v5
	v_cndmask_b32_e64 v5, 0, 1, vcc_lo
	;;#ASMSTART
	;;#ASMEND
	s_delay_alu instid0(VALU_DEP_1)
	v_cmp_ne_u32_e32 vcc_lo, 0, v5
	s_cmp_lg_u32 vcc_lo, exec_lo
	s_cbranch_scc1 .LBB582_63
; %bb.57:                               ;   in Loop: Header=BB582_56 Depth=1
	v_lshlrev_b64 v[4:5], 3, v[2:3]
	s_mov_b32 s22, exec_lo
	s_delay_alu instid0(VALU_DEP_1) | instskip(NEXT) | instid1(VALU_DEP_2)
	v_add_co_u32 v6, vcc_lo, s18, v4
	v_add_co_ci_u32_e32 v7, vcc_lo, s19, v5, vcc_lo
	global_load_b64 v[4:5], v[6:7], off glc
	s_waitcnt vmcnt(0)
	v_and_b32_e32 v59, 0xff, v5
	s_delay_alu instid0(VALU_DEP_1)
	v_cmpx_eq_u16_e32 0, v59
	s_cbranch_execz .LBB582_55
; %bb.58:                               ;   in Loop: Header=BB582_56 Depth=1
	s_mov_b32 s24, 1
	s_mov_b32 s23, 0
	.p2align	6
.LBB582_59:                             ;   Parent Loop BB582_56 Depth=1
                                        ; =>  This Loop Header: Depth=2
                                        ;       Child Loop BB582_60 Depth 3
	s_max_u32 s25, s24, 1
.LBB582_60:                             ;   Parent Loop BB582_56 Depth=1
                                        ;     Parent Loop BB582_59 Depth=2
                                        ; =>    This Inner Loop Header: Depth=3
	s_delay_alu instid0(SALU_CYCLE_1)
	s_add_i32 s25, s25, -1
	s_sleep 1
	s_cmp_eq_u32 s25, 0
	s_cbranch_scc0 .LBB582_60
; %bb.61:                               ;   in Loop: Header=BB582_59 Depth=2
	global_load_b64 v[4:5], v[6:7], off glc
	s_cmp_lt_u32 s24, 32
	s_cselect_b32 s25, -1, 0
	s_delay_alu instid0(SALU_CYCLE_1) | instskip(SKIP_3) | instid1(VALU_DEP_1)
	s_cmp_lg_u32 s25, 0
	s_addc_u32 s24, s24, 0
	s_waitcnt vmcnt(0)
	v_and_b32_e32 v59, 0xff, v5
	v_cmp_ne_u16_e32 vcc_lo, 0, v59
	s_or_b32 s23, vcc_lo, s23
	s_delay_alu instid0(SALU_CYCLE_1)
	s_and_not1_b32 exec_lo, exec_lo, s23
	s_cbranch_execnz .LBB582_59
; %bb.62:                               ;   in Loop: Header=BB582_56 Depth=1
	s_or_b32 exec_lo, exec_lo, s23
	s_branch .LBB582_55
.LBB582_63:                             ;   in Loop: Header=BB582_56 Depth=1
                                        ; implicit-def: $vgpr4
                                        ; implicit-def: $vgpr5
	s_cbranch_execz .LBB582_56
; %bb.64:
	s_and_saveexec_b32 s22, s7
	s_cbranch_execz .LBB582_66
; %bb.65:
	s_add_i32 s24, s20, 32
	s_mov_b32 s25, 0
	v_dual_mov_b32 v3, 2 :: v_dual_add_nc_u32 v2, v16, v1
	s_lshl_b64 s[24:25], s[24:25], 3
	v_mov_b32_e32 v4, 0
	v_add_nc_u32_e64 v5, 0x3400, 0
	s_add_u32 s24, s18, s24
	s_addc_u32 s25, s19, s25
	global_store_b64 v4, v[2:3], s[24:25]
	ds_store_2addr_b32 v5, v1, v16 offset1:2
.LBB582_66:
	s_or_b32 exec_lo, exec_lo, s22
	s_delay_alu instid0(SALU_CYCLE_1)
	s_and_b32 exec_lo, exec_lo, s2
	s_cbranch_execz .LBB582_68
; %bb.67:
	v_mov_b32_e32 v1, 0
	ds_store_b32 v1, v16 offset:28
.LBB582_68:
	s_or_b32 exec_lo, exec_lo, s21
	v_mov_b32_e32 v1, 0
	s_waitcnt lgkmcnt(0)
	s_waitcnt_vscnt null, 0x0
	s_barrier
	buffer_gl0_inv
	v_cndmask_b32_e64 v2, v9, v8, s7
	ds_load_b32 v1, v1 offset:28
	v_add_nc_u32_e64 v11, 0x3400, 0
	s_waitcnt lgkmcnt(0)
	s_barrier
	v_cndmask_b32_e64 v2, v2, 0, s2
	buffer_gl0_inv
	ds_load_2addr_b32 v[16:17], v11 offset1:2
	v_add_nc_u32_e32 v1, v1, v2
	s_delay_alu instid0(VALU_DEP_1) | instskip(NEXT) | instid1(VALU_DEP_1)
	v_add_nc_u32_e32 v2, v1, v44
	v_add_nc_u32_e32 v3, v2, v45
	s_delay_alu instid0(VALU_DEP_1) | instskip(NEXT) | instid1(VALU_DEP_1)
	v_add_nc_u32_e32 v4, v3, v46
	;; [unrolled: 3-line block ×6, first 2 shown]
	v_add_nc_u32_e32 v13, v12, v39
	s_branch .LBB582_79
.LBB582_69:
                                        ; implicit-def: $vgpr17
                                        ; implicit-def: $vgpr1_vgpr2_vgpr3_vgpr4_vgpr5_vgpr6_vgpr7_vgpr8_vgpr9_vgpr10_vgpr11_vgpr12_vgpr13_vgpr14_vgpr15_vgpr16
	s_and_b32 vcc_lo, exec_lo, s7
	s_cbranch_vccz .LBB582_79
; %bb.70:
	s_delay_alu instid0(VALU_DEP_1) | instskip(NEXT) | instid1(VALU_DEP_1)
	v_mov_b32_dpp v1, v55 row_shr:1 row_mask:0xf bank_mask:0xf
	v_cndmask_b32_e64 v1, v1, 0, s6
	s_delay_alu instid0(VALU_DEP_1) | instskip(NEXT) | instid1(VALU_DEP_1)
	v_add_nc_u32_e32 v1, v1, v55
	v_mov_b32_dpp v2, v1 row_shr:2 row_mask:0xf bank_mask:0xf
	s_delay_alu instid0(VALU_DEP_1) | instskip(NEXT) | instid1(VALU_DEP_1)
	v_cndmask_b32_e64 v2, 0, v2, s5
	v_add_nc_u32_e32 v1, v1, v2
	s_delay_alu instid0(VALU_DEP_1) | instskip(NEXT) | instid1(VALU_DEP_1)
	v_mov_b32_dpp v2, v1 row_shr:4 row_mask:0xf bank_mask:0xf
	v_cndmask_b32_e64 v2, 0, v2, s4
	s_delay_alu instid0(VALU_DEP_1) | instskip(NEXT) | instid1(VALU_DEP_1)
	v_add_nc_u32_e32 v1, v1, v2
	v_mov_b32_dpp v2, v1 row_shr:8 row_mask:0xf bank_mask:0xf
	s_delay_alu instid0(VALU_DEP_1) | instskip(NEXT) | instid1(VALU_DEP_1)
	v_cndmask_b32_e64 v2, 0, v2, s3
	v_add_nc_u32_e32 v1, v1, v2
	ds_swizzle_b32 v2, v1 offset:swizzle(BROADCAST,32,15)
	s_waitcnt lgkmcnt(0)
	v_cndmask_b32_e64 v2, v2, 0, s1
	s_delay_alu instid0(VALU_DEP_1)
	v_add_nc_u32_e32 v1, v1, v2
	s_and_saveexec_b32 s1, s0
	s_cbranch_execz .LBB582_72
; %bb.71:
	v_lshlrev_b32_e32 v2, 2, v54
	ds_store_b32 v2, v1
.LBB582_72:
	s_or_b32 exec_lo, exec_lo, s1
	s_delay_alu instid0(SALU_CYCLE_1)
	s_mov_b32 s0, exec_lo
	s_waitcnt lgkmcnt(0)
	s_barrier
	buffer_gl0_inv
	v_cmpx_gt_u32_e32 8, v0
	s_cbranch_execz .LBB582_74
; %bb.73:
	ds_load_b32 v2, v33
	s_waitcnt lgkmcnt(0)
	v_mov_b32_dpp v4, v2 row_shr:1 row_mask:0xf bank_mask:0xf
	v_and_b32_e32 v3, 7, v53
	s_delay_alu instid0(VALU_DEP_1) | instskip(NEXT) | instid1(VALU_DEP_3)
	v_cmp_ne_u32_e32 vcc_lo, 0, v3
	v_cndmask_b32_e32 v4, 0, v4, vcc_lo
	v_cmp_lt_u32_e32 vcc_lo, 1, v3
	s_delay_alu instid0(VALU_DEP_2) | instskip(NEXT) | instid1(VALU_DEP_1)
	v_add_nc_u32_e32 v2, v4, v2
	v_mov_b32_dpp v4, v2 row_shr:2 row_mask:0xf bank_mask:0xf
	s_delay_alu instid0(VALU_DEP_1) | instskip(SKIP_1) | instid1(VALU_DEP_2)
	v_cndmask_b32_e32 v4, 0, v4, vcc_lo
	v_cmp_lt_u32_e32 vcc_lo, 3, v3
	v_add_nc_u32_e32 v2, v2, v4
	s_delay_alu instid0(VALU_DEP_1) | instskip(NEXT) | instid1(VALU_DEP_1)
	v_mov_b32_dpp v4, v2 row_shr:4 row_mask:0xf bank_mask:0xf
	v_cndmask_b32_e32 v3, 0, v4, vcc_lo
	s_delay_alu instid0(VALU_DEP_1)
	v_add_nc_u32_e32 v2, v2, v3
	ds_store_b32 v33, v2
.LBB582_74:
	s_or_b32 exec_lo, exec_lo, s0
	v_dual_mov_b32 v3, 0 :: v_dual_mov_b32 v2, 0
	s_mov_b32 s0, exec_lo
	s_waitcnt lgkmcnt(0)
	s_barrier
	buffer_gl0_inv
	v_cmpx_lt_u32_e32 31, v0
	s_cbranch_execz .LBB582_76
; %bb.75:
	v_lshl_add_u32 v2, v54, 2, -4
	ds_load_b32 v2, v2
.LBB582_76:
	s_or_b32 exec_lo, exec_lo, s0
	v_add_nc_u32_e32 v4, -1, v53
	s_waitcnt lgkmcnt(0)
	v_add_nc_u32_e32 v1, v2, v1
	ds_load_b32 v16, v3 offset:28
	v_cmp_gt_i32_e32 vcc_lo, 0, v4
	v_cndmask_b32_e32 v4, v4, v53, vcc_lo
	s_delay_alu instid0(VALU_DEP_1)
	v_lshlrev_b32_e32 v4, 2, v4
	ds_bpermute_b32 v1, v4, v1
	s_and_saveexec_b32 s0, s2
	s_cbranch_execz .LBB582_78
; %bb.77:
	v_mov_b32_e32 v3, 0
	v_mov_b32_e32 v17, 2
	s_waitcnt lgkmcnt(1)
	global_store_b64 v3, v[16:17], s[18:19] offset:256
.LBB582_78:
	s_or_b32 exec_lo, exec_lo, s0
	v_cmp_eq_u32_e32 vcc_lo, 0, v53
	s_waitcnt lgkmcnt(0)
	s_waitcnt_vscnt null, 0x0
	s_barrier
	buffer_gl0_inv
	v_mov_b32_e32 v17, 0
	v_cndmask_b32_e32 v1, v1, v2, vcc_lo
	s_delay_alu instid0(VALU_DEP_1) | instskip(NEXT) | instid1(VALU_DEP_1)
	v_cndmask_b32_e64 v1, v1, 0, s2
	v_add_nc_u32_e32 v2, v1, v44
	s_delay_alu instid0(VALU_DEP_1) | instskip(NEXT) | instid1(VALU_DEP_1)
	v_add_nc_u32_e32 v3, v2, v45
	v_add_nc_u32_e32 v4, v3, v46
	s_delay_alu instid0(VALU_DEP_1) | instskip(NEXT) | instid1(VALU_DEP_1)
	v_add_nc_u32_e32 v5, v4, v43
	;; [unrolled: 3-line block ×5, first 2 shown]
	v_add_nc_u32_e32 v12, v11, v52
	s_delay_alu instid0(VALU_DEP_1)
	v_add_nc_u32_e32 v13, v12, v39
.LBB582_79:
	s_waitcnt lgkmcnt(0)
	v_sub_nc_u32_e32 v1, v1, v17
	v_sub_nc_u32_e32 v2, v2, v17
	v_add_nc_u32_e32 v36, v16, v36
	v_lshrrev_b32_e32 v47, 8, v42
	v_lshrrev_b32_e32 v46, 16, v42
	v_sub_nc_u32_e32 v4, v4, v17
	v_sub_nc_u32_e32 v3, v3, v17
	;; [unrolled: 1-line block ×3, first 2 shown]
	v_and_b32_e32 v42, 1, v42
	v_and_b32_e32 v47, 1, v47
	;; [unrolled: 1-line block ×3, first 2 shown]
	v_lshrrev_b32_e32 v45, 8, v40
	v_lshrrev_b32_e32 v44, 16, v40
	v_cmp_eq_u32_e32 vcc_lo, 1, v42
	v_and_b32_e32 v42, 1, v46
	v_sub_nc_u32_e32 v46, v36, v2
	v_lshrrev_b32_e32 v15, 8, v38
	v_lshrrev_b32_e32 v14, 16, v38
	v_cndmask_b32_e32 v1, v48, v1, vcc_lo
	v_cmp_eq_u32_e32 vcc_lo, 1, v47
	v_add_nc_u32_e32 v46, 1, v46
	s_delay_alu instid0(VALU_DEP_3)
	v_lshlrev_b32_e32 v1, 2, v1
	ds_store_b32 v1, v30
	v_cndmask_b32_e32 v1, v46, v2, vcc_lo
	v_sub_nc_u32_e32 v48, v36, v3
	v_sub_nc_u32_e32 v49, v36, v4
	v_cmp_eq_u32_e32 vcc_lo, 1, v42
	v_or_b32_e32 v30, 0x300, v0
	v_lshlrev_b32_e32 v1, 2, v1
	v_add_nc_u32_e32 v48, 2, v48
	v_add_nc_u32_e32 v49, 3, v49
	ds_store_b32 v1, v31
	v_cndmask_b32_e32 v2, v48, v3, vcc_lo
	v_cmp_eq_u32_e32 vcc_lo, 1, v43
	v_or_b32_e32 v31, 0x200, v0
	s_delay_alu instid0(VALU_DEP_3) | instskip(SKIP_2) | instid1(VALU_DEP_3)
	v_dual_cndmask_b32 v3, v49, v4 :: v_dual_lshlrev_b32 v2, 2, v2
	v_sub_nc_u32_e32 v4, v5, v17
	v_sub_nc_u32_e32 v5, v6, v17
	v_lshlrev_b32_e32 v3, 2, v3
	s_delay_alu instid0(VALU_DEP_3) | instskip(NEXT) | instid1(VALU_DEP_3)
	v_sub_nc_u32_e32 v1, v36, v4
	v_sub_nc_u32_e32 v6, v36, v5
	ds_store_b32 v2, v28
	ds_store_b32 v3, v29
	v_and_b32_e32 v2, 1, v40
	v_add_nc_u32_e32 v1, 4, v1
	v_add_nc_u32_e32 v3, 5, v6
	v_sub_nc_u32_e32 v6, v7, v17
	v_and_b32_e32 v7, 1, v45
	v_cmp_eq_u32_e32 vcc_lo, 1, v2
	v_sub_nc_u32_e32 v2, v8, v17
	v_and_b32_e32 v8, 1, v41
	v_or_b32_e32 v29, 0x400, v0
	v_or_b32_e32 v28, 0x500, v0
	v_cndmask_b32_e32 v1, v1, v4, vcc_lo
	v_sub_nc_u32_e32 v4, v36, v6
	v_cmp_eq_u32_e32 vcc_lo, 1, v7
	v_and_b32_e32 v7, 1, v44
	s_delay_alu instid0(VALU_DEP_4) | instskip(NEXT) | instid1(VALU_DEP_4)
	v_lshlrev_b32_e32 v1, 2, v1
	v_dual_cndmask_b32 v3, v3, v5 :: v_dual_add_nc_u32 v4, 6, v4
	v_sub_nc_u32_e32 v5, v36, v2
	s_delay_alu instid0(VALU_DEP_4) | instskip(SKIP_2) | instid1(VALU_DEP_4)
	v_cmp_eq_u32_e32 vcc_lo, 1, v7
	v_sub_nc_u32_e32 v7, v13, v17
	v_add_co_u32 v13, s0, s16, v32
	v_dual_cndmask_b32 v4, v4, v6 :: v_dual_add_nc_u32 v5, 7, v5
	v_cmp_eq_u32_e32 vcc_lo, 1, v8
	v_sub_nc_u32_e32 v6, v9, v17
	v_lshlrev_b32_e32 v3, 2, v3
	ds_store_b32 v1, v26
	ds_store_b32 v3, v27
	v_cndmask_b32_e32 v2, v5, v2, vcc_lo
	v_sub_nc_u32_e32 v1, v36, v6
	v_lshlrev_b32_e32 v3, 2, v4
	v_and_b32_e32 v5, 1, v38
	v_sub_nc_u32_e32 v4, v10, v17
	v_lshlrev_b32_e32 v2, 2, v2
	v_add_nc_u32_e32 v1, 8, v1
	ds_store_b32 v3, v24
	ds_store_b32 v2, v25
	v_cmp_eq_u32_e32 vcc_lo, 1, v5
	v_sub_nc_u32_e32 v3, v11, v17
	v_sub_nc_u32_e32 v2, v36, v4
	v_sub_nc_u32_e32 v5, v12, v17
	v_dual_cndmask_b32 v1, v1, v6 :: v_dual_and_b32 v10, 1, v39
	v_and_b32_e32 v6, 1, v15
	v_sub_nc_u32_e32 v8, v36, v3
	v_add_nc_u32_e32 v2, 9, v2
	v_sub_nc_u32_e32 v9, v36, v5
	v_and_b32_e32 v11, 1, v37
	v_cmp_eq_u32_e32 vcc_lo, 1, v6
	v_add_nc_u32_e32 v6, 10, v8
	v_and_b32_e32 v8, 1, v14
	v_add_nc_u32_e32 v9, 11, v9
	v_dual_cndmask_b32 v2, v2, v4 :: v_dual_lshlrev_b32 v1, 2, v1
	v_sub_nc_u32_e32 v4, v36, v7
	s_delay_alu instid0(VALU_DEP_4) | instskip(SKIP_1) | instid1(VALU_DEP_4)
	v_cmp_eq_u32_e32 vcc_lo, 1, v8
	v_add_co_ci_u32_e64 v14, null, s17, 0, s0
	v_lshlrev_b32_e32 v2, 2, v2
	s_delay_alu instid0(VALU_DEP_4)
	v_dual_cndmask_b32 v3, v6, v3 :: v_dual_add_nc_u32 v4, 12, v4
	v_cmp_eq_u32_e32 vcc_lo, 1, v10
	v_or_b32_e32 v27, 0x600, v0
	v_or_b32_e32 v26, 0x700, v0
	;; [unrolled: 1-line block ×3, first 2 shown]
	v_lshlrev_b32_e32 v3, 2, v3
	v_cndmask_b32_e32 v5, v9, v5, vcc_lo
	v_cmp_eq_u32_e32 vcc_lo, 1, v11
	v_or_b32_e32 v24, 0x900, v0
	s_delay_alu instid0(VALU_DEP_3) | instskip(SKIP_2) | instid1(VALU_DEP_3)
	v_dual_cndmask_b32 v4, v4, v7 :: v_dual_lshlrev_b32 v5, 2, v5
	v_sub_co_u32 v13, vcc_lo, s14, v13
	v_sub_co_ci_u32_e32 v14, vcc_lo, s15, v14, vcc_lo
	v_lshlrev_b32_e32 v4, 2, v4
	ds_store_b32 v1, v22
	ds_store_b32 v2, v23
	;; [unrolled: 1-line block ×5, first 2 shown]
	s_waitcnt lgkmcnt(0)
	s_barrier
	buffer_gl0_inv
	ds_load_2addr_stride64_b32 v[11:12], v33 offset1:4
	ds_load_2addr_stride64_b32 v[9:10], v33 offset0:8 offset1:12
	ds_load_2addr_stride64_b32 v[7:8], v33 offset0:16 offset1:20
	;; [unrolled: 1-line block ×5, first 2 shown]
	ds_load_b32 v20, v33 offset:12288
	v_add_co_u32 v15, vcc_lo, v18, v17
	v_add_co_ci_u32_e32 v17, vcc_lo, 0, v19, vcc_lo
	v_add_co_u32 v13, vcc_lo, v13, v16
	v_add_co_ci_u32_e32 v14, vcc_lo, 0, v14, vcc_lo
	v_cmp_ne_u32_e32 vcc_lo, 1, v34
	s_delay_alu instid0(VALU_DEP_3)
	v_add_co_u32 v18, s0, v13, v15
	v_or_b32_e32 v35, 0x100, v0
	v_or_b32_e32 v23, 0xa00, v0
	;; [unrolled: 1-line block ×4, first 2 shown]
	v_add_co_ci_u32_e64 v19, s0, v14, v17, s0
	s_mov_b32 s0, 0
	s_cbranch_vccnz .LBB582_136
; %bb.80:
	s_mov_b32 s0, exec_lo
                                        ; implicit-def: $vgpr13_vgpr14
	v_cmpx_ge_u32_e64 v0, v16
	s_xor_b32 s0, exec_lo, s0
; %bb.81:
	v_not_b32_e32 v13, v0
	s_delay_alu instid0(VALU_DEP_1) | instskip(SKIP_1) | instid1(VALU_DEP_2)
	v_ashrrev_i32_e32 v14, 31, v13
	v_add_co_u32 v13, vcc_lo, v18, v13
	v_add_co_ci_u32_e32 v14, vcc_lo, v19, v14, vcc_lo
; %bb.82:
	s_and_not1_saveexec_b32 s0, s0
; %bb.83:
	v_add_co_u32 v13, vcc_lo, v15, v0
	v_add_co_ci_u32_e32 v14, vcc_lo, 0, v17, vcc_lo
; %bb.84:
	s_or_b32 exec_lo, exec_lo, s0
	s_delay_alu instid0(VALU_DEP_1) | instskip(SKIP_1) | instid1(VALU_DEP_1)
	v_lshlrev_b64 v[13:14], 2, v[13:14]
	s_mov_b32 s0, exec_lo
	v_add_co_u32 v13, vcc_lo, s12, v13
	s_delay_alu instid0(VALU_DEP_2)
	v_add_co_ci_u32_e32 v14, vcc_lo, s13, v14, vcc_lo
	s_waitcnt lgkmcnt(6)
	global_store_b32 v[13:14], v11, off
                                        ; implicit-def: $vgpr13_vgpr14
	v_cmpx_ge_u32_e64 v35, v16
	s_xor_b32 s0, exec_lo, s0
; %bb.85:
	v_xor_b32_e32 v13, 0xfffffeff, v0
	s_delay_alu instid0(VALU_DEP_1) | instskip(SKIP_1) | instid1(VALU_DEP_2)
	v_ashrrev_i32_e32 v14, 31, v13
	v_add_co_u32 v13, vcc_lo, v18, v13
	v_add_co_ci_u32_e32 v14, vcc_lo, v19, v14, vcc_lo
; %bb.86:
	s_and_not1_saveexec_b32 s0, s0
; %bb.87:
	v_add_co_u32 v13, vcc_lo, v15, v35
	v_add_co_ci_u32_e32 v14, vcc_lo, 0, v17, vcc_lo
; %bb.88:
	s_or_b32 exec_lo, exec_lo, s0
	s_delay_alu instid0(VALU_DEP_1) | instskip(SKIP_1) | instid1(VALU_DEP_1)
	v_lshlrev_b64 v[13:14], 2, v[13:14]
	s_mov_b32 s0, exec_lo
	v_add_co_u32 v13, vcc_lo, s12, v13
	s_delay_alu instid0(VALU_DEP_2)
	v_add_co_ci_u32_e32 v14, vcc_lo, s13, v14, vcc_lo
	global_store_b32 v[13:14], v12, off
                                        ; implicit-def: $vgpr13_vgpr14
	v_cmpx_ge_u32_e64 v31, v16
	s_xor_b32 s0, exec_lo, s0
; %bb.89:
	v_xor_b32_e32 v13, 0xfffffdff, v0
	s_delay_alu instid0(VALU_DEP_1) | instskip(SKIP_1) | instid1(VALU_DEP_2)
	v_ashrrev_i32_e32 v14, 31, v13
	v_add_co_u32 v13, vcc_lo, v18, v13
	v_add_co_ci_u32_e32 v14, vcc_lo, v19, v14, vcc_lo
; %bb.90:
	s_and_not1_saveexec_b32 s0, s0
; %bb.91:
	v_add_co_u32 v13, vcc_lo, v15, v31
	v_add_co_ci_u32_e32 v14, vcc_lo, 0, v17, vcc_lo
; %bb.92:
	s_or_b32 exec_lo, exec_lo, s0
	s_delay_alu instid0(VALU_DEP_1) | instskip(SKIP_1) | instid1(VALU_DEP_1)
	v_lshlrev_b64 v[13:14], 2, v[13:14]
	s_mov_b32 s0, exec_lo
	v_add_co_u32 v13, vcc_lo, s12, v13
	s_delay_alu instid0(VALU_DEP_2)
	v_add_co_ci_u32_e32 v14, vcc_lo, s13, v14, vcc_lo
	s_waitcnt lgkmcnt(5)
	global_store_b32 v[13:14], v9, off
                                        ; implicit-def: $vgpr13_vgpr14
	v_cmpx_ge_u32_e64 v30, v16
	s_xor_b32 s0, exec_lo, s0
; %bb.93:
	v_xor_b32_e32 v13, 0xfffffcff, v0
	s_delay_alu instid0(VALU_DEP_1) | instskip(SKIP_1) | instid1(VALU_DEP_2)
	v_ashrrev_i32_e32 v14, 31, v13
	v_add_co_u32 v13, vcc_lo, v18, v13
	v_add_co_ci_u32_e32 v14, vcc_lo, v19, v14, vcc_lo
; %bb.94:
	s_and_not1_saveexec_b32 s0, s0
; %bb.95:
	v_add_co_u32 v13, vcc_lo, v15, v30
	v_add_co_ci_u32_e32 v14, vcc_lo, 0, v17, vcc_lo
; %bb.96:
	s_or_b32 exec_lo, exec_lo, s0
	s_delay_alu instid0(VALU_DEP_1) | instskip(SKIP_1) | instid1(VALU_DEP_1)
	v_lshlrev_b64 v[13:14], 2, v[13:14]
	s_mov_b32 s0, exec_lo
	v_add_co_u32 v13, vcc_lo, s12, v13
	s_delay_alu instid0(VALU_DEP_2)
	v_add_co_ci_u32_e32 v14, vcc_lo, s13, v14, vcc_lo
	global_store_b32 v[13:14], v10, off
                                        ; implicit-def: $vgpr13_vgpr14
	v_cmpx_ge_u32_e64 v29, v16
	s_xor_b32 s0, exec_lo, s0
; %bb.97:
	v_xor_b32_e32 v13, 0xfffffbff, v0
	;; [unrolled: 47-line block ×6, first 2 shown]
	s_delay_alu instid0(VALU_DEP_1) | instskip(SKIP_1) | instid1(VALU_DEP_2)
	v_ashrrev_i32_e32 v14, 31, v13
	v_add_co_u32 v13, vcc_lo, v18, v13
	v_add_co_ci_u32_e32 v14, vcc_lo, v19, v14, vcc_lo
; %bb.130:
	s_and_not1_saveexec_b32 s0, s0
; %bb.131:
	v_add_co_u32 v13, vcc_lo, v15, v21
	v_add_co_ci_u32_e32 v14, vcc_lo, 0, v17, vcc_lo
; %bb.132:
	s_or_b32 exec_lo, exec_lo, s0
	s_mov_b32 s0, -1
.LBB582_133:
	s_delay_alu instid0(SALU_CYCLE_1)
	s_and_saveexec_b32 s1, s0
	s_cbranch_execz .LBB582_216
.LBB582_134:
	s_waitcnt lgkmcnt(1)
	v_lshlrev_b64 v[0:1], 2, v[13:14]
	s_delay_alu instid0(VALU_DEP_1) | instskip(NEXT) | instid1(VALU_DEP_2)
	v_add_co_u32 v0, vcc_lo, s12, v0
	v_add_co_ci_u32_e32 v1, vcc_lo, s13, v1, vcc_lo
	s_waitcnt lgkmcnt(0)
	global_store_b32 v[0:1], v20, off
	s_or_b32 exec_lo, exec_lo, s1
	s_and_b32 s0, s2, s10
	s_delay_alu instid0(SALU_CYCLE_1)
	s_and_saveexec_b32 s1, s0
	s_cbranch_execnz .LBB582_217
.LBB582_135:
	s_nop 0
	s_sendmsg sendmsg(MSG_DEALLOC_VGPRS)
	s_endpgm
.LBB582_136:
                                        ; implicit-def: $vgpr13_vgpr14
	s_cbranch_execz .LBB582_133
; %bb.137:
	s_mov_b32 s1, exec_lo
	v_cmpx_gt_u32_e64 s11, v0
	s_cbranch_execz .LBB582_173
; %bb.138:
	s_mov_b32 s3, exec_lo
                                        ; implicit-def: $vgpr13_vgpr14
	v_cmpx_ge_u32_e64 v0, v16
	s_xor_b32 s3, exec_lo, s3
; %bb.139:
	v_not_b32_e32 v13, v0
	s_delay_alu instid0(VALU_DEP_1) | instskip(SKIP_1) | instid1(VALU_DEP_2)
	v_ashrrev_i32_e32 v14, 31, v13
	v_add_co_u32 v13, vcc_lo, v18, v13
	v_add_co_ci_u32_e32 v14, vcc_lo, v19, v14, vcc_lo
; %bb.140:
	s_and_not1_saveexec_b32 s3, s3
; %bb.141:
	v_add_co_u32 v13, vcc_lo, v15, v0
	v_add_co_ci_u32_e32 v14, vcc_lo, 0, v17, vcc_lo
; %bb.142:
	s_or_b32 exec_lo, exec_lo, s3
	s_delay_alu instid0(VALU_DEP_1) | instskip(NEXT) | instid1(VALU_DEP_1)
	v_lshlrev_b64 v[13:14], 2, v[13:14]
	v_add_co_u32 v13, vcc_lo, s12, v13
	s_delay_alu instid0(VALU_DEP_2) | instskip(SKIP_3) | instid1(SALU_CYCLE_1)
	v_add_co_ci_u32_e32 v14, vcc_lo, s13, v14, vcc_lo
	s_waitcnt lgkmcnt(6)
	global_store_b32 v[13:14], v11, off
	s_or_b32 exec_lo, exec_lo, s1
	s_mov_b32 s1, exec_lo
	v_cmpx_gt_u32_e64 s11, v35
	s_cbranch_execnz .LBB582_174
.LBB582_143:
	s_or_b32 exec_lo, exec_lo, s1
	s_delay_alu instid0(SALU_CYCLE_1)
	s_mov_b32 s1, exec_lo
	v_cmpx_gt_u32_e64 s11, v31
	s_cbranch_execz .LBB582_179
.LBB582_144:
	s_mov_b32 s3, exec_lo
                                        ; implicit-def: $vgpr11_vgpr12
	v_cmpx_ge_u32_e64 v31, v16
	s_xor_b32 s3, exec_lo, s3
	s_cbranch_execz .LBB582_146
; %bb.145:
	s_waitcnt lgkmcnt(6)
	v_xor_b32_e32 v11, 0xfffffdff, v0
                                        ; implicit-def: $vgpr31
	s_delay_alu instid0(VALU_DEP_1) | instskip(SKIP_1) | instid1(VALU_DEP_2)
	v_ashrrev_i32_e32 v12, 31, v11
	v_add_co_u32 v11, vcc_lo, v18, v11
	v_add_co_ci_u32_e32 v12, vcc_lo, v19, v12, vcc_lo
.LBB582_146:
	s_and_not1_saveexec_b32 s3, s3
	s_cbranch_execz .LBB582_148
; %bb.147:
	s_waitcnt lgkmcnt(6)
	v_add_co_u32 v11, vcc_lo, v15, v31
	v_add_co_ci_u32_e32 v12, vcc_lo, 0, v17, vcc_lo
.LBB582_148:
	s_or_b32 exec_lo, exec_lo, s3
	s_waitcnt lgkmcnt(6)
	s_delay_alu instid0(VALU_DEP_1) | instskip(NEXT) | instid1(VALU_DEP_1)
	v_lshlrev_b64 v[11:12], 2, v[11:12]
	v_add_co_u32 v11, vcc_lo, s12, v11
	s_delay_alu instid0(VALU_DEP_2) | instskip(SKIP_3) | instid1(SALU_CYCLE_1)
	v_add_co_ci_u32_e32 v12, vcc_lo, s13, v12, vcc_lo
	s_waitcnt lgkmcnt(5)
	global_store_b32 v[11:12], v9, off
	s_or_b32 exec_lo, exec_lo, s1
	s_mov_b32 s1, exec_lo
	v_cmpx_gt_u32_e64 s11, v30
	s_cbranch_execnz .LBB582_180
.LBB582_149:
	s_or_b32 exec_lo, exec_lo, s1
	s_delay_alu instid0(SALU_CYCLE_1)
	s_mov_b32 s1, exec_lo
	v_cmpx_gt_u32_e64 s11, v29
	s_cbranch_execz .LBB582_185
.LBB582_150:
	s_mov_b32 s3, exec_lo
                                        ; implicit-def: $vgpr9_vgpr10
	v_cmpx_ge_u32_e64 v29, v16
	s_xor_b32 s3, exec_lo, s3
	s_cbranch_execz .LBB582_152
; %bb.151:
	s_waitcnt lgkmcnt(5)
	v_xor_b32_e32 v9, 0xfffffbff, v0
                                        ; implicit-def: $vgpr29
	s_delay_alu instid0(VALU_DEP_1) | instskip(SKIP_1) | instid1(VALU_DEP_2)
	v_ashrrev_i32_e32 v10, 31, v9
	v_add_co_u32 v9, vcc_lo, v18, v9
	v_add_co_ci_u32_e32 v10, vcc_lo, v19, v10, vcc_lo
.LBB582_152:
	s_and_not1_saveexec_b32 s3, s3
	s_cbranch_execz .LBB582_154
; %bb.153:
	s_waitcnt lgkmcnt(5)
	v_add_co_u32 v9, vcc_lo, v15, v29
	v_add_co_ci_u32_e32 v10, vcc_lo, 0, v17, vcc_lo
.LBB582_154:
	s_or_b32 exec_lo, exec_lo, s3
	s_waitcnt lgkmcnt(5)
	s_delay_alu instid0(VALU_DEP_1) | instskip(NEXT) | instid1(VALU_DEP_1)
	v_lshlrev_b64 v[9:10], 2, v[9:10]
	v_add_co_u32 v9, vcc_lo, s12, v9
	s_delay_alu instid0(VALU_DEP_2) | instskip(SKIP_3) | instid1(SALU_CYCLE_1)
	v_add_co_ci_u32_e32 v10, vcc_lo, s13, v10, vcc_lo
	s_waitcnt lgkmcnt(4)
	global_store_b32 v[9:10], v7, off
	s_or_b32 exec_lo, exec_lo, s1
	s_mov_b32 s1, exec_lo
	v_cmpx_gt_u32_e64 s11, v28
	s_cbranch_execnz .LBB582_186
.LBB582_155:
	s_or_b32 exec_lo, exec_lo, s1
	s_delay_alu instid0(SALU_CYCLE_1)
	s_mov_b32 s1, exec_lo
	v_cmpx_gt_u32_e64 s11, v27
	s_cbranch_execz .LBB582_191
.LBB582_156:
	s_mov_b32 s3, exec_lo
                                        ; implicit-def: $vgpr7_vgpr8
	v_cmpx_ge_u32_e64 v27, v16
	s_xor_b32 s3, exec_lo, s3
	s_cbranch_execz .LBB582_158
; %bb.157:
	s_waitcnt lgkmcnt(4)
	v_xor_b32_e32 v7, 0xfffff9ff, v0
                                        ; implicit-def: $vgpr27
	s_delay_alu instid0(VALU_DEP_1) | instskip(SKIP_1) | instid1(VALU_DEP_2)
	v_ashrrev_i32_e32 v8, 31, v7
	v_add_co_u32 v7, vcc_lo, v18, v7
	v_add_co_ci_u32_e32 v8, vcc_lo, v19, v8, vcc_lo
.LBB582_158:
	s_and_not1_saveexec_b32 s3, s3
	s_cbranch_execz .LBB582_160
; %bb.159:
	s_waitcnt lgkmcnt(4)
	v_add_co_u32 v7, vcc_lo, v15, v27
	v_add_co_ci_u32_e32 v8, vcc_lo, 0, v17, vcc_lo
.LBB582_160:
	s_or_b32 exec_lo, exec_lo, s3
	s_waitcnt lgkmcnt(4)
	s_delay_alu instid0(VALU_DEP_1) | instskip(NEXT) | instid1(VALU_DEP_1)
	v_lshlrev_b64 v[7:8], 2, v[7:8]
	v_add_co_u32 v7, vcc_lo, s12, v7
	s_delay_alu instid0(VALU_DEP_2) | instskip(SKIP_3) | instid1(SALU_CYCLE_1)
	v_add_co_ci_u32_e32 v8, vcc_lo, s13, v8, vcc_lo
	s_waitcnt lgkmcnt(3)
	global_store_b32 v[7:8], v5, off
	s_or_b32 exec_lo, exec_lo, s1
	s_mov_b32 s1, exec_lo
	v_cmpx_gt_u32_e64 s11, v26
	s_cbranch_execnz .LBB582_192
.LBB582_161:
	s_or_b32 exec_lo, exec_lo, s1
	s_delay_alu instid0(SALU_CYCLE_1)
	s_mov_b32 s1, exec_lo
	v_cmpx_gt_u32_e64 s11, v25
	s_cbranch_execz .LBB582_197
.LBB582_162:
	s_mov_b32 s3, exec_lo
                                        ; implicit-def: $vgpr5_vgpr6
	v_cmpx_ge_u32_e64 v25, v16
	s_xor_b32 s3, exec_lo, s3
	s_cbranch_execz .LBB582_164
; %bb.163:
	s_waitcnt lgkmcnt(3)
	v_xor_b32_e32 v5, 0xfffff7ff, v0
                                        ; implicit-def: $vgpr25
	s_delay_alu instid0(VALU_DEP_1) | instskip(SKIP_1) | instid1(VALU_DEP_2)
	v_ashrrev_i32_e32 v6, 31, v5
	v_add_co_u32 v5, vcc_lo, v18, v5
	v_add_co_ci_u32_e32 v6, vcc_lo, v19, v6, vcc_lo
.LBB582_164:
	s_and_not1_saveexec_b32 s3, s3
	s_cbranch_execz .LBB582_166
; %bb.165:
	s_waitcnt lgkmcnt(3)
	v_add_co_u32 v5, vcc_lo, v15, v25
	v_add_co_ci_u32_e32 v6, vcc_lo, 0, v17, vcc_lo
.LBB582_166:
	s_or_b32 exec_lo, exec_lo, s3
	s_waitcnt lgkmcnt(3)
	s_delay_alu instid0(VALU_DEP_1) | instskip(NEXT) | instid1(VALU_DEP_1)
	v_lshlrev_b64 v[5:6], 2, v[5:6]
	v_add_co_u32 v5, vcc_lo, s12, v5
	s_delay_alu instid0(VALU_DEP_2) | instskip(SKIP_3) | instid1(SALU_CYCLE_1)
	v_add_co_ci_u32_e32 v6, vcc_lo, s13, v6, vcc_lo
	s_waitcnt lgkmcnt(2)
	global_store_b32 v[5:6], v3, off
	s_or_b32 exec_lo, exec_lo, s1
	s_mov_b32 s1, exec_lo
	v_cmpx_gt_u32_e64 s11, v24
	s_cbranch_execnz .LBB582_198
.LBB582_167:
	s_or_b32 exec_lo, exec_lo, s1
	s_delay_alu instid0(SALU_CYCLE_1)
	s_mov_b32 s1, exec_lo
	v_cmpx_gt_u32_e64 s11, v23
	s_cbranch_execz .LBB582_203
.LBB582_168:
	s_mov_b32 s3, exec_lo
                                        ; implicit-def: $vgpr3_vgpr4
	v_cmpx_ge_u32_e64 v23, v16
	s_xor_b32 s3, exec_lo, s3
	s_cbranch_execz .LBB582_170
; %bb.169:
	s_waitcnt lgkmcnt(2)
	v_xor_b32_e32 v3, 0xfffff5ff, v0
                                        ; implicit-def: $vgpr23
	s_delay_alu instid0(VALU_DEP_1) | instskip(SKIP_1) | instid1(VALU_DEP_2)
	v_ashrrev_i32_e32 v4, 31, v3
	v_add_co_u32 v3, vcc_lo, v18, v3
	v_add_co_ci_u32_e32 v4, vcc_lo, v19, v4, vcc_lo
.LBB582_170:
	s_and_not1_saveexec_b32 s3, s3
	s_cbranch_execz .LBB582_172
; %bb.171:
	s_waitcnt lgkmcnt(2)
	v_add_co_u32 v3, vcc_lo, v15, v23
	v_add_co_ci_u32_e32 v4, vcc_lo, 0, v17, vcc_lo
.LBB582_172:
	s_or_b32 exec_lo, exec_lo, s3
	s_waitcnt lgkmcnt(2)
	s_delay_alu instid0(VALU_DEP_1) | instskip(NEXT) | instid1(VALU_DEP_1)
	v_lshlrev_b64 v[3:4], 2, v[3:4]
	v_add_co_u32 v3, vcc_lo, s12, v3
	s_delay_alu instid0(VALU_DEP_2) | instskip(SKIP_3) | instid1(SALU_CYCLE_1)
	v_add_co_ci_u32_e32 v4, vcc_lo, s13, v4, vcc_lo
	s_waitcnt lgkmcnt(1)
	global_store_b32 v[3:4], v1, off
	s_or_b32 exec_lo, exec_lo, s1
	s_mov_b32 s1, exec_lo
	v_cmpx_gt_u32_e64 s11, v22
	s_cbranch_execz .LBB582_209
	s_branch .LBB582_204
.LBB582_173:
	s_or_b32 exec_lo, exec_lo, s1
	s_delay_alu instid0(SALU_CYCLE_1)
	s_mov_b32 s1, exec_lo
	v_cmpx_gt_u32_e64 s11, v35
	s_cbranch_execz .LBB582_143
.LBB582_174:
	s_mov_b32 s3, exec_lo
                                        ; implicit-def: $vgpr13_vgpr14
	v_cmpx_ge_u32_e64 v35, v16
	s_xor_b32 s3, exec_lo, s3
	s_cbranch_execz .LBB582_176
; %bb.175:
	s_waitcnt lgkmcnt(6)
	v_xor_b32_e32 v11, 0xfffffeff, v0
                                        ; implicit-def: $vgpr35
	s_delay_alu instid0(VALU_DEP_1) | instskip(SKIP_1) | instid1(VALU_DEP_2)
	v_ashrrev_i32_e32 v14, 31, v11
	v_add_co_u32 v13, vcc_lo, v18, v11
	v_add_co_ci_u32_e32 v14, vcc_lo, v19, v14, vcc_lo
.LBB582_176:
	s_and_not1_saveexec_b32 s3, s3
; %bb.177:
	v_add_co_u32 v13, vcc_lo, v15, v35
	v_add_co_ci_u32_e32 v14, vcc_lo, 0, v17, vcc_lo
; %bb.178:
	s_or_b32 exec_lo, exec_lo, s3
	s_delay_alu instid0(VALU_DEP_1) | instskip(NEXT) | instid1(VALU_DEP_1)
	v_lshlrev_b64 v[13:14], 2, v[13:14]
	v_add_co_u32 v13, vcc_lo, s12, v13
	s_delay_alu instid0(VALU_DEP_2) | instskip(SKIP_3) | instid1(SALU_CYCLE_1)
	v_add_co_ci_u32_e32 v14, vcc_lo, s13, v14, vcc_lo
	s_waitcnt lgkmcnt(6)
	global_store_b32 v[13:14], v12, off
	s_or_b32 exec_lo, exec_lo, s1
	s_mov_b32 s1, exec_lo
	v_cmpx_gt_u32_e64 s11, v31
	s_cbranch_execnz .LBB582_144
.LBB582_179:
	s_or_b32 exec_lo, exec_lo, s1
	s_delay_alu instid0(SALU_CYCLE_1)
	s_mov_b32 s1, exec_lo
	v_cmpx_gt_u32_e64 s11, v30
	s_cbranch_execz .LBB582_149
.LBB582_180:
	s_mov_b32 s3, exec_lo
                                        ; implicit-def: $vgpr11_vgpr12
	v_cmpx_ge_u32_e64 v30, v16
	s_xor_b32 s3, exec_lo, s3
	s_cbranch_execz .LBB582_182
; %bb.181:
	s_waitcnt lgkmcnt(5)
	v_xor_b32_e32 v9, 0xfffffcff, v0
                                        ; implicit-def: $vgpr30
	s_delay_alu instid0(VALU_DEP_1) | instskip(SKIP_1) | instid1(VALU_DEP_2)
	v_ashrrev_i32_e32 v12, 31, v9
	v_add_co_u32 v11, vcc_lo, v18, v9
	v_add_co_ci_u32_e32 v12, vcc_lo, v19, v12, vcc_lo
.LBB582_182:
	s_and_not1_saveexec_b32 s3, s3
	s_cbranch_execz .LBB582_184
; %bb.183:
	s_waitcnt lgkmcnt(6)
	v_add_co_u32 v11, vcc_lo, v15, v30
	v_add_co_ci_u32_e32 v12, vcc_lo, 0, v17, vcc_lo
.LBB582_184:
	s_or_b32 exec_lo, exec_lo, s3
	s_waitcnt lgkmcnt(6)
	s_delay_alu instid0(VALU_DEP_1) | instskip(NEXT) | instid1(VALU_DEP_1)
	v_lshlrev_b64 v[11:12], 2, v[11:12]
	v_add_co_u32 v11, vcc_lo, s12, v11
	s_delay_alu instid0(VALU_DEP_2) | instskip(SKIP_3) | instid1(SALU_CYCLE_1)
	v_add_co_ci_u32_e32 v12, vcc_lo, s13, v12, vcc_lo
	s_waitcnt lgkmcnt(5)
	global_store_b32 v[11:12], v10, off
	s_or_b32 exec_lo, exec_lo, s1
	s_mov_b32 s1, exec_lo
	v_cmpx_gt_u32_e64 s11, v29
	s_cbranch_execnz .LBB582_150
.LBB582_185:
	s_or_b32 exec_lo, exec_lo, s1
	s_delay_alu instid0(SALU_CYCLE_1)
	s_mov_b32 s1, exec_lo
	v_cmpx_gt_u32_e64 s11, v28
	s_cbranch_execz .LBB582_155
.LBB582_186:
	s_mov_b32 s3, exec_lo
                                        ; implicit-def: $vgpr9_vgpr10
	v_cmpx_ge_u32_e64 v28, v16
	s_xor_b32 s3, exec_lo, s3
	s_cbranch_execz .LBB582_188
; %bb.187:
	s_waitcnt lgkmcnt(4)
	v_xor_b32_e32 v7, 0xfffffaff, v0
                                        ; implicit-def: $vgpr28
	s_delay_alu instid0(VALU_DEP_1) | instskip(SKIP_1) | instid1(VALU_DEP_2)
	v_ashrrev_i32_e32 v10, 31, v7
	v_add_co_u32 v9, vcc_lo, v18, v7
	v_add_co_ci_u32_e32 v10, vcc_lo, v19, v10, vcc_lo
.LBB582_188:
	s_and_not1_saveexec_b32 s3, s3
	s_cbranch_execz .LBB582_190
; %bb.189:
	s_waitcnt lgkmcnt(5)
	v_add_co_u32 v9, vcc_lo, v15, v28
	v_add_co_ci_u32_e32 v10, vcc_lo, 0, v17, vcc_lo
.LBB582_190:
	s_or_b32 exec_lo, exec_lo, s3
	s_waitcnt lgkmcnt(5)
	s_delay_alu instid0(VALU_DEP_1) | instskip(NEXT) | instid1(VALU_DEP_1)
	v_lshlrev_b64 v[9:10], 2, v[9:10]
	v_add_co_u32 v9, vcc_lo, s12, v9
	s_delay_alu instid0(VALU_DEP_2) | instskip(SKIP_3) | instid1(SALU_CYCLE_1)
	v_add_co_ci_u32_e32 v10, vcc_lo, s13, v10, vcc_lo
	s_waitcnt lgkmcnt(4)
	global_store_b32 v[9:10], v8, off
	s_or_b32 exec_lo, exec_lo, s1
	s_mov_b32 s1, exec_lo
	v_cmpx_gt_u32_e64 s11, v27
	s_cbranch_execnz .LBB582_156
.LBB582_191:
	s_or_b32 exec_lo, exec_lo, s1
	s_delay_alu instid0(SALU_CYCLE_1)
	s_mov_b32 s1, exec_lo
	v_cmpx_gt_u32_e64 s11, v26
	s_cbranch_execz .LBB582_161
.LBB582_192:
	s_mov_b32 s3, exec_lo
                                        ; implicit-def: $vgpr7_vgpr8
	v_cmpx_ge_u32_e64 v26, v16
	s_xor_b32 s3, exec_lo, s3
	s_cbranch_execz .LBB582_194
; %bb.193:
	s_waitcnt lgkmcnt(3)
	v_xor_b32_e32 v5, 0xfffff8ff, v0
                                        ; implicit-def: $vgpr26
	s_delay_alu instid0(VALU_DEP_1) | instskip(SKIP_1) | instid1(VALU_DEP_2)
	v_ashrrev_i32_e32 v8, 31, v5
	v_add_co_u32 v7, vcc_lo, v18, v5
	v_add_co_ci_u32_e32 v8, vcc_lo, v19, v8, vcc_lo
.LBB582_194:
	s_and_not1_saveexec_b32 s3, s3
	s_cbranch_execz .LBB582_196
; %bb.195:
	s_waitcnt lgkmcnt(4)
	v_add_co_u32 v7, vcc_lo, v15, v26
	v_add_co_ci_u32_e32 v8, vcc_lo, 0, v17, vcc_lo
.LBB582_196:
	s_or_b32 exec_lo, exec_lo, s3
	s_waitcnt lgkmcnt(4)
	s_delay_alu instid0(VALU_DEP_1) | instskip(NEXT) | instid1(VALU_DEP_1)
	v_lshlrev_b64 v[7:8], 2, v[7:8]
	v_add_co_u32 v7, vcc_lo, s12, v7
	s_delay_alu instid0(VALU_DEP_2) | instskip(SKIP_3) | instid1(SALU_CYCLE_1)
	v_add_co_ci_u32_e32 v8, vcc_lo, s13, v8, vcc_lo
	s_waitcnt lgkmcnt(3)
	global_store_b32 v[7:8], v6, off
	s_or_b32 exec_lo, exec_lo, s1
	s_mov_b32 s1, exec_lo
	v_cmpx_gt_u32_e64 s11, v25
	s_cbranch_execnz .LBB582_162
.LBB582_197:
	s_or_b32 exec_lo, exec_lo, s1
	s_delay_alu instid0(SALU_CYCLE_1)
	s_mov_b32 s1, exec_lo
	v_cmpx_gt_u32_e64 s11, v24
	s_cbranch_execz .LBB582_167
.LBB582_198:
	s_mov_b32 s3, exec_lo
                                        ; implicit-def: $vgpr5_vgpr6
	v_cmpx_ge_u32_e64 v24, v16
	s_xor_b32 s3, exec_lo, s3
	s_cbranch_execz .LBB582_200
; %bb.199:
	s_waitcnt lgkmcnt(2)
	v_xor_b32_e32 v3, 0xfffff6ff, v0
                                        ; implicit-def: $vgpr24
	s_delay_alu instid0(VALU_DEP_1) | instskip(SKIP_1) | instid1(VALU_DEP_2)
	v_ashrrev_i32_e32 v6, 31, v3
	v_add_co_u32 v5, vcc_lo, v18, v3
	v_add_co_ci_u32_e32 v6, vcc_lo, v19, v6, vcc_lo
.LBB582_200:
	s_and_not1_saveexec_b32 s3, s3
	s_cbranch_execz .LBB582_202
; %bb.201:
	s_waitcnt lgkmcnt(3)
	v_add_co_u32 v5, vcc_lo, v15, v24
	v_add_co_ci_u32_e32 v6, vcc_lo, 0, v17, vcc_lo
.LBB582_202:
	s_or_b32 exec_lo, exec_lo, s3
	s_waitcnt lgkmcnt(3)
	s_delay_alu instid0(VALU_DEP_1) | instskip(NEXT) | instid1(VALU_DEP_1)
	v_lshlrev_b64 v[5:6], 2, v[5:6]
	v_add_co_u32 v5, vcc_lo, s12, v5
	s_delay_alu instid0(VALU_DEP_2) | instskip(SKIP_3) | instid1(SALU_CYCLE_1)
	v_add_co_ci_u32_e32 v6, vcc_lo, s13, v6, vcc_lo
	s_waitcnt lgkmcnt(2)
	global_store_b32 v[5:6], v4, off
	s_or_b32 exec_lo, exec_lo, s1
	s_mov_b32 s1, exec_lo
	v_cmpx_gt_u32_e64 s11, v23
	s_cbranch_execnz .LBB582_168
.LBB582_203:
	s_or_b32 exec_lo, exec_lo, s1
	s_delay_alu instid0(SALU_CYCLE_1)
	s_mov_b32 s1, exec_lo
	v_cmpx_gt_u32_e64 s11, v22
	s_cbranch_execz .LBB582_209
.LBB582_204:
	s_mov_b32 s3, exec_lo
                                        ; implicit-def: $vgpr3_vgpr4
	v_cmpx_ge_u32_e64 v22, v16
	s_xor_b32 s3, exec_lo, s3
	s_cbranch_execz .LBB582_206
; %bb.205:
	s_waitcnt lgkmcnt(1)
	v_xor_b32_e32 v1, 0xfffff4ff, v0
                                        ; implicit-def: $vgpr22
	s_delay_alu instid0(VALU_DEP_1) | instskip(SKIP_1) | instid1(VALU_DEP_2)
	v_ashrrev_i32_e32 v4, 31, v1
	v_add_co_u32 v3, vcc_lo, v18, v1
	v_add_co_ci_u32_e32 v4, vcc_lo, v19, v4, vcc_lo
.LBB582_206:
	s_and_not1_saveexec_b32 s3, s3
	s_cbranch_execz .LBB582_208
; %bb.207:
	s_waitcnt lgkmcnt(2)
	v_add_co_u32 v3, vcc_lo, v15, v22
	v_add_co_ci_u32_e32 v4, vcc_lo, 0, v17, vcc_lo
.LBB582_208:
	s_or_b32 exec_lo, exec_lo, s3
	s_waitcnt lgkmcnt(2)
	s_delay_alu instid0(VALU_DEP_1) | instskip(NEXT) | instid1(VALU_DEP_1)
	v_lshlrev_b64 v[3:4], 2, v[3:4]
	v_add_co_u32 v3, vcc_lo, s12, v3
	s_delay_alu instid0(VALU_DEP_2)
	v_add_co_ci_u32_e32 v4, vcc_lo, s13, v4, vcc_lo
	s_waitcnt lgkmcnt(1)
	global_store_b32 v[3:4], v2, off
.LBB582_209:
	s_or_b32 exec_lo, exec_lo, s1
	s_delay_alu instid0(SALU_CYCLE_1)
	s_mov_b32 s1, exec_lo
                                        ; implicit-def: $vgpr13_vgpr14
	v_cmpx_gt_u32_e64 s11, v21
	s_cbranch_execz .LBB582_215
; %bb.210:
	s_mov_b32 s3, exec_lo
                                        ; implicit-def: $vgpr13_vgpr14
	v_cmpx_ge_u32_e64 v21, v16
	s_xor_b32 s3, exec_lo, s3
	s_cbranch_execz .LBB582_212
; %bb.211:
	v_xor_b32_e32 v0, 0xfffff3ff, v0
                                        ; implicit-def: $vgpr21
	s_waitcnt lgkmcnt(1)
	s_delay_alu instid0(VALU_DEP_1) | instskip(SKIP_1) | instid1(VALU_DEP_2)
	v_ashrrev_i32_e32 v1, 31, v0
	v_add_co_u32 v13, vcc_lo, v18, v0
	v_add_co_ci_u32_e32 v14, vcc_lo, v19, v1, vcc_lo
.LBB582_212:
	s_and_not1_saveexec_b32 s3, s3
; %bb.213:
	v_add_co_u32 v13, vcc_lo, v15, v21
	v_add_co_ci_u32_e32 v14, vcc_lo, 0, v17, vcc_lo
; %bb.214:
	s_or_b32 exec_lo, exec_lo, s3
	s_delay_alu instid0(SALU_CYCLE_1)
	s_or_b32 s0, s0, exec_lo
.LBB582_215:
	s_or_b32 exec_lo, exec_lo, s1
	s_and_saveexec_b32 s1, s0
	s_cbranch_execnz .LBB582_134
.LBB582_216:
	s_or_b32 exec_lo, exec_lo, s1
	s_and_b32 s0, s2, s10
	s_delay_alu instid0(SALU_CYCLE_1)
	s_and_saveexec_b32 s1, s0
	s_cbranch_execz .LBB582_135
.LBB582_217:
	v_add_co_u32 v0, vcc_lo, v15, v16
	s_waitcnt lgkmcnt(1)
	v_mov_b32_e32 v2, 0
	v_add_co_ci_u32_e32 v1, vcc_lo, 0, v17, vcc_lo
	global_store_b64 v2, v[0:1], s[8:9]
	s_nop 0
	s_sendmsg sendmsg(MSG_DEALLOC_VGPRS)
	s_endpgm
	.section	.rodata,"a",@progbits
	.p2align	6, 0x0
	.amdhsa_kernel _ZN7rocprim17ROCPRIM_400000_NS6detail17trampoline_kernelINS0_13select_configILj256ELj13ELNS0_17block_load_methodE3ELS4_3ELS4_3ELNS0_20block_scan_algorithmE0ELj4294967295EEENS1_25partition_config_selectorILNS1_17partition_subalgoE3EjNS0_10empty_typeEbEEZZNS1_14partition_implILS8_3ELb0ES6_jNS0_17counting_iteratorIjlEEPS9_SE_NS0_5tupleIJPjSE_EEENSF_IJSE_SE_EEES9_SG_JZNS1_25segmented_radix_sort_implINS0_14default_configELb0EPKiPiPKlPlN2at6native12_GLOBAL__N_18offset_tEEE10hipError_tPvRmT1_PNSt15iterator_traitsISY_E10value_typeET2_T3_PNSZ_IS14_E10value_typeET4_jRbjT5_S1A_jjP12ihipStream_tbEUljE_EEESV_SW_SX_S14_S18_S1A_T6_T7_T9_mT8_S1C_bDpT10_ENKUlT_T0_E_clISt17integral_constantIbLb1EES1P_EEDaS1K_S1L_EUlS1K_E_NS1_11comp_targetILNS1_3genE9ELNS1_11target_archE1100ELNS1_3gpuE3ELNS1_3repE0EEENS1_30default_config_static_selectorELNS0_4arch9wavefront6targetE0EEEvSY_
		.amdhsa_group_segment_fixed_size 13324
		.amdhsa_private_segment_fixed_size 0
		.amdhsa_kernarg_size 152
		.amdhsa_user_sgpr_count 15
		.amdhsa_user_sgpr_dispatch_ptr 0
		.amdhsa_user_sgpr_queue_ptr 0
		.amdhsa_user_sgpr_kernarg_segment_ptr 1
		.amdhsa_user_sgpr_dispatch_id 0
		.amdhsa_user_sgpr_private_segment_size 0
		.amdhsa_wavefront_size32 1
		.amdhsa_uses_dynamic_stack 0
		.amdhsa_enable_private_segment 0
		.amdhsa_system_sgpr_workgroup_id_x 1
		.amdhsa_system_sgpr_workgroup_id_y 0
		.amdhsa_system_sgpr_workgroup_id_z 0
		.amdhsa_system_sgpr_workgroup_info 0
		.amdhsa_system_vgpr_workitem_id 0
		.amdhsa_next_free_vgpr 60
		.amdhsa_next_free_sgpr 26
		.amdhsa_reserve_vcc 1
		.amdhsa_float_round_mode_32 0
		.amdhsa_float_round_mode_16_64 0
		.amdhsa_float_denorm_mode_32 3
		.amdhsa_float_denorm_mode_16_64 3
		.amdhsa_dx10_clamp 1
		.amdhsa_ieee_mode 1
		.amdhsa_fp16_overflow 0
		.amdhsa_workgroup_processor_mode 1
		.amdhsa_memory_ordered 1
		.amdhsa_forward_progress 0
		.amdhsa_shared_vgpr_count 0
		.amdhsa_exception_fp_ieee_invalid_op 0
		.amdhsa_exception_fp_denorm_src 0
		.amdhsa_exception_fp_ieee_div_zero 0
		.amdhsa_exception_fp_ieee_overflow 0
		.amdhsa_exception_fp_ieee_underflow 0
		.amdhsa_exception_fp_ieee_inexact 0
		.amdhsa_exception_int_div_zero 0
	.end_amdhsa_kernel
	.section	.text._ZN7rocprim17ROCPRIM_400000_NS6detail17trampoline_kernelINS0_13select_configILj256ELj13ELNS0_17block_load_methodE3ELS4_3ELS4_3ELNS0_20block_scan_algorithmE0ELj4294967295EEENS1_25partition_config_selectorILNS1_17partition_subalgoE3EjNS0_10empty_typeEbEEZZNS1_14partition_implILS8_3ELb0ES6_jNS0_17counting_iteratorIjlEEPS9_SE_NS0_5tupleIJPjSE_EEENSF_IJSE_SE_EEES9_SG_JZNS1_25segmented_radix_sort_implINS0_14default_configELb0EPKiPiPKlPlN2at6native12_GLOBAL__N_18offset_tEEE10hipError_tPvRmT1_PNSt15iterator_traitsISY_E10value_typeET2_T3_PNSZ_IS14_E10value_typeET4_jRbjT5_S1A_jjP12ihipStream_tbEUljE_EEESV_SW_SX_S14_S18_S1A_T6_T7_T9_mT8_S1C_bDpT10_ENKUlT_T0_E_clISt17integral_constantIbLb1EES1P_EEDaS1K_S1L_EUlS1K_E_NS1_11comp_targetILNS1_3genE9ELNS1_11target_archE1100ELNS1_3gpuE3ELNS1_3repE0EEENS1_30default_config_static_selectorELNS0_4arch9wavefront6targetE0EEEvSY_,"axG",@progbits,_ZN7rocprim17ROCPRIM_400000_NS6detail17trampoline_kernelINS0_13select_configILj256ELj13ELNS0_17block_load_methodE3ELS4_3ELS4_3ELNS0_20block_scan_algorithmE0ELj4294967295EEENS1_25partition_config_selectorILNS1_17partition_subalgoE3EjNS0_10empty_typeEbEEZZNS1_14partition_implILS8_3ELb0ES6_jNS0_17counting_iteratorIjlEEPS9_SE_NS0_5tupleIJPjSE_EEENSF_IJSE_SE_EEES9_SG_JZNS1_25segmented_radix_sort_implINS0_14default_configELb0EPKiPiPKlPlN2at6native12_GLOBAL__N_18offset_tEEE10hipError_tPvRmT1_PNSt15iterator_traitsISY_E10value_typeET2_T3_PNSZ_IS14_E10value_typeET4_jRbjT5_S1A_jjP12ihipStream_tbEUljE_EEESV_SW_SX_S14_S18_S1A_T6_T7_T9_mT8_S1C_bDpT10_ENKUlT_T0_E_clISt17integral_constantIbLb1EES1P_EEDaS1K_S1L_EUlS1K_E_NS1_11comp_targetILNS1_3genE9ELNS1_11target_archE1100ELNS1_3gpuE3ELNS1_3repE0EEENS1_30default_config_static_selectorELNS0_4arch9wavefront6targetE0EEEvSY_,comdat
.Lfunc_end582:
	.size	_ZN7rocprim17ROCPRIM_400000_NS6detail17trampoline_kernelINS0_13select_configILj256ELj13ELNS0_17block_load_methodE3ELS4_3ELS4_3ELNS0_20block_scan_algorithmE0ELj4294967295EEENS1_25partition_config_selectorILNS1_17partition_subalgoE3EjNS0_10empty_typeEbEEZZNS1_14partition_implILS8_3ELb0ES6_jNS0_17counting_iteratorIjlEEPS9_SE_NS0_5tupleIJPjSE_EEENSF_IJSE_SE_EEES9_SG_JZNS1_25segmented_radix_sort_implINS0_14default_configELb0EPKiPiPKlPlN2at6native12_GLOBAL__N_18offset_tEEE10hipError_tPvRmT1_PNSt15iterator_traitsISY_E10value_typeET2_T3_PNSZ_IS14_E10value_typeET4_jRbjT5_S1A_jjP12ihipStream_tbEUljE_EEESV_SW_SX_S14_S18_S1A_T6_T7_T9_mT8_S1C_bDpT10_ENKUlT_T0_E_clISt17integral_constantIbLb1EES1P_EEDaS1K_S1L_EUlS1K_E_NS1_11comp_targetILNS1_3genE9ELNS1_11target_archE1100ELNS1_3gpuE3ELNS1_3repE0EEENS1_30default_config_static_selectorELNS0_4arch9wavefront6targetE0EEEvSY_, .Lfunc_end582-_ZN7rocprim17ROCPRIM_400000_NS6detail17trampoline_kernelINS0_13select_configILj256ELj13ELNS0_17block_load_methodE3ELS4_3ELS4_3ELNS0_20block_scan_algorithmE0ELj4294967295EEENS1_25partition_config_selectorILNS1_17partition_subalgoE3EjNS0_10empty_typeEbEEZZNS1_14partition_implILS8_3ELb0ES6_jNS0_17counting_iteratorIjlEEPS9_SE_NS0_5tupleIJPjSE_EEENSF_IJSE_SE_EEES9_SG_JZNS1_25segmented_radix_sort_implINS0_14default_configELb0EPKiPiPKlPlN2at6native12_GLOBAL__N_18offset_tEEE10hipError_tPvRmT1_PNSt15iterator_traitsISY_E10value_typeET2_T3_PNSZ_IS14_E10value_typeET4_jRbjT5_S1A_jjP12ihipStream_tbEUljE_EEESV_SW_SX_S14_S18_S1A_T6_T7_T9_mT8_S1C_bDpT10_ENKUlT_T0_E_clISt17integral_constantIbLb1EES1P_EEDaS1K_S1L_EUlS1K_E_NS1_11comp_targetILNS1_3genE9ELNS1_11target_archE1100ELNS1_3gpuE3ELNS1_3repE0EEENS1_30default_config_static_selectorELNS0_4arch9wavefront6targetE0EEEvSY_
                                        ; -- End function
	.section	.AMDGPU.csdata,"",@progbits
; Kernel info:
; codeLenInByte = 9140
; NumSgprs: 28
; NumVgprs: 60
; ScratchSize: 0
; MemoryBound: 0
; FloatMode: 240
; IeeeMode: 1
; LDSByteSize: 13324 bytes/workgroup (compile time only)
; SGPRBlocks: 3
; VGPRBlocks: 7
; NumSGPRsForWavesPerEU: 28
; NumVGPRsForWavesPerEU: 60
; Occupancy: 16
; WaveLimiterHint : 0
; COMPUTE_PGM_RSRC2:SCRATCH_EN: 0
; COMPUTE_PGM_RSRC2:USER_SGPR: 15
; COMPUTE_PGM_RSRC2:TRAP_HANDLER: 0
; COMPUTE_PGM_RSRC2:TGID_X_EN: 1
; COMPUTE_PGM_RSRC2:TGID_Y_EN: 0
; COMPUTE_PGM_RSRC2:TGID_Z_EN: 0
; COMPUTE_PGM_RSRC2:TIDIG_COMP_CNT: 0
	.section	.text._ZN7rocprim17ROCPRIM_400000_NS6detail17trampoline_kernelINS0_13select_configILj256ELj13ELNS0_17block_load_methodE3ELS4_3ELS4_3ELNS0_20block_scan_algorithmE0ELj4294967295EEENS1_25partition_config_selectorILNS1_17partition_subalgoE3EjNS0_10empty_typeEbEEZZNS1_14partition_implILS8_3ELb0ES6_jNS0_17counting_iteratorIjlEEPS9_SE_NS0_5tupleIJPjSE_EEENSF_IJSE_SE_EEES9_SG_JZNS1_25segmented_radix_sort_implINS0_14default_configELb0EPKiPiPKlPlN2at6native12_GLOBAL__N_18offset_tEEE10hipError_tPvRmT1_PNSt15iterator_traitsISY_E10value_typeET2_T3_PNSZ_IS14_E10value_typeET4_jRbjT5_S1A_jjP12ihipStream_tbEUljE_EEESV_SW_SX_S14_S18_S1A_T6_T7_T9_mT8_S1C_bDpT10_ENKUlT_T0_E_clISt17integral_constantIbLb1EES1P_EEDaS1K_S1L_EUlS1K_E_NS1_11comp_targetILNS1_3genE8ELNS1_11target_archE1030ELNS1_3gpuE2ELNS1_3repE0EEENS1_30default_config_static_selectorELNS0_4arch9wavefront6targetE0EEEvSY_,"axG",@progbits,_ZN7rocprim17ROCPRIM_400000_NS6detail17trampoline_kernelINS0_13select_configILj256ELj13ELNS0_17block_load_methodE3ELS4_3ELS4_3ELNS0_20block_scan_algorithmE0ELj4294967295EEENS1_25partition_config_selectorILNS1_17partition_subalgoE3EjNS0_10empty_typeEbEEZZNS1_14partition_implILS8_3ELb0ES6_jNS0_17counting_iteratorIjlEEPS9_SE_NS0_5tupleIJPjSE_EEENSF_IJSE_SE_EEES9_SG_JZNS1_25segmented_radix_sort_implINS0_14default_configELb0EPKiPiPKlPlN2at6native12_GLOBAL__N_18offset_tEEE10hipError_tPvRmT1_PNSt15iterator_traitsISY_E10value_typeET2_T3_PNSZ_IS14_E10value_typeET4_jRbjT5_S1A_jjP12ihipStream_tbEUljE_EEESV_SW_SX_S14_S18_S1A_T6_T7_T9_mT8_S1C_bDpT10_ENKUlT_T0_E_clISt17integral_constantIbLb1EES1P_EEDaS1K_S1L_EUlS1K_E_NS1_11comp_targetILNS1_3genE8ELNS1_11target_archE1030ELNS1_3gpuE2ELNS1_3repE0EEENS1_30default_config_static_selectorELNS0_4arch9wavefront6targetE0EEEvSY_,comdat
	.globl	_ZN7rocprim17ROCPRIM_400000_NS6detail17trampoline_kernelINS0_13select_configILj256ELj13ELNS0_17block_load_methodE3ELS4_3ELS4_3ELNS0_20block_scan_algorithmE0ELj4294967295EEENS1_25partition_config_selectorILNS1_17partition_subalgoE3EjNS0_10empty_typeEbEEZZNS1_14partition_implILS8_3ELb0ES6_jNS0_17counting_iteratorIjlEEPS9_SE_NS0_5tupleIJPjSE_EEENSF_IJSE_SE_EEES9_SG_JZNS1_25segmented_radix_sort_implINS0_14default_configELb0EPKiPiPKlPlN2at6native12_GLOBAL__N_18offset_tEEE10hipError_tPvRmT1_PNSt15iterator_traitsISY_E10value_typeET2_T3_PNSZ_IS14_E10value_typeET4_jRbjT5_S1A_jjP12ihipStream_tbEUljE_EEESV_SW_SX_S14_S18_S1A_T6_T7_T9_mT8_S1C_bDpT10_ENKUlT_T0_E_clISt17integral_constantIbLb1EES1P_EEDaS1K_S1L_EUlS1K_E_NS1_11comp_targetILNS1_3genE8ELNS1_11target_archE1030ELNS1_3gpuE2ELNS1_3repE0EEENS1_30default_config_static_selectorELNS0_4arch9wavefront6targetE0EEEvSY_ ; -- Begin function _ZN7rocprim17ROCPRIM_400000_NS6detail17trampoline_kernelINS0_13select_configILj256ELj13ELNS0_17block_load_methodE3ELS4_3ELS4_3ELNS0_20block_scan_algorithmE0ELj4294967295EEENS1_25partition_config_selectorILNS1_17partition_subalgoE3EjNS0_10empty_typeEbEEZZNS1_14partition_implILS8_3ELb0ES6_jNS0_17counting_iteratorIjlEEPS9_SE_NS0_5tupleIJPjSE_EEENSF_IJSE_SE_EEES9_SG_JZNS1_25segmented_radix_sort_implINS0_14default_configELb0EPKiPiPKlPlN2at6native12_GLOBAL__N_18offset_tEEE10hipError_tPvRmT1_PNSt15iterator_traitsISY_E10value_typeET2_T3_PNSZ_IS14_E10value_typeET4_jRbjT5_S1A_jjP12ihipStream_tbEUljE_EEESV_SW_SX_S14_S18_S1A_T6_T7_T9_mT8_S1C_bDpT10_ENKUlT_T0_E_clISt17integral_constantIbLb1EES1P_EEDaS1K_S1L_EUlS1K_E_NS1_11comp_targetILNS1_3genE8ELNS1_11target_archE1030ELNS1_3gpuE2ELNS1_3repE0EEENS1_30default_config_static_selectorELNS0_4arch9wavefront6targetE0EEEvSY_
	.p2align	8
	.type	_ZN7rocprim17ROCPRIM_400000_NS6detail17trampoline_kernelINS0_13select_configILj256ELj13ELNS0_17block_load_methodE3ELS4_3ELS4_3ELNS0_20block_scan_algorithmE0ELj4294967295EEENS1_25partition_config_selectorILNS1_17partition_subalgoE3EjNS0_10empty_typeEbEEZZNS1_14partition_implILS8_3ELb0ES6_jNS0_17counting_iteratorIjlEEPS9_SE_NS0_5tupleIJPjSE_EEENSF_IJSE_SE_EEES9_SG_JZNS1_25segmented_radix_sort_implINS0_14default_configELb0EPKiPiPKlPlN2at6native12_GLOBAL__N_18offset_tEEE10hipError_tPvRmT1_PNSt15iterator_traitsISY_E10value_typeET2_T3_PNSZ_IS14_E10value_typeET4_jRbjT5_S1A_jjP12ihipStream_tbEUljE_EEESV_SW_SX_S14_S18_S1A_T6_T7_T9_mT8_S1C_bDpT10_ENKUlT_T0_E_clISt17integral_constantIbLb1EES1P_EEDaS1K_S1L_EUlS1K_E_NS1_11comp_targetILNS1_3genE8ELNS1_11target_archE1030ELNS1_3gpuE2ELNS1_3repE0EEENS1_30default_config_static_selectorELNS0_4arch9wavefront6targetE0EEEvSY_,@function
_ZN7rocprim17ROCPRIM_400000_NS6detail17trampoline_kernelINS0_13select_configILj256ELj13ELNS0_17block_load_methodE3ELS4_3ELS4_3ELNS0_20block_scan_algorithmE0ELj4294967295EEENS1_25partition_config_selectorILNS1_17partition_subalgoE3EjNS0_10empty_typeEbEEZZNS1_14partition_implILS8_3ELb0ES6_jNS0_17counting_iteratorIjlEEPS9_SE_NS0_5tupleIJPjSE_EEENSF_IJSE_SE_EEES9_SG_JZNS1_25segmented_radix_sort_implINS0_14default_configELb0EPKiPiPKlPlN2at6native12_GLOBAL__N_18offset_tEEE10hipError_tPvRmT1_PNSt15iterator_traitsISY_E10value_typeET2_T3_PNSZ_IS14_E10value_typeET4_jRbjT5_S1A_jjP12ihipStream_tbEUljE_EEESV_SW_SX_S14_S18_S1A_T6_T7_T9_mT8_S1C_bDpT10_ENKUlT_T0_E_clISt17integral_constantIbLb1EES1P_EEDaS1K_S1L_EUlS1K_E_NS1_11comp_targetILNS1_3genE8ELNS1_11target_archE1030ELNS1_3gpuE2ELNS1_3repE0EEENS1_30default_config_static_selectorELNS0_4arch9wavefront6targetE0EEEvSY_: ; @_ZN7rocprim17ROCPRIM_400000_NS6detail17trampoline_kernelINS0_13select_configILj256ELj13ELNS0_17block_load_methodE3ELS4_3ELS4_3ELNS0_20block_scan_algorithmE0ELj4294967295EEENS1_25partition_config_selectorILNS1_17partition_subalgoE3EjNS0_10empty_typeEbEEZZNS1_14partition_implILS8_3ELb0ES6_jNS0_17counting_iteratorIjlEEPS9_SE_NS0_5tupleIJPjSE_EEENSF_IJSE_SE_EEES9_SG_JZNS1_25segmented_radix_sort_implINS0_14default_configELb0EPKiPiPKlPlN2at6native12_GLOBAL__N_18offset_tEEE10hipError_tPvRmT1_PNSt15iterator_traitsISY_E10value_typeET2_T3_PNSZ_IS14_E10value_typeET4_jRbjT5_S1A_jjP12ihipStream_tbEUljE_EEESV_SW_SX_S14_S18_S1A_T6_T7_T9_mT8_S1C_bDpT10_ENKUlT_T0_E_clISt17integral_constantIbLb1EES1P_EEDaS1K_S1L_EUlS1K_E_NS1_11comp_targetILNS1_3genE8ELNS1_11target_archE1030ELNS1_3gpuE2ELNS1_3repE0EEENS1_30default_config_static_selectorELNS0_4arch9wavefront6targetE0EEEvSY_
; %bb.0:
	.section	.rodata,"a",@progbits
	.p2align	6, 0x0
	.amdhsa_kernel _ZN7rocprim17ROCPRIM_400000_NS6detail17trampoline_kernelINS0_13select_configILj256ELj13ELNS0_17block_load_methodE3ELS4_3ELS4_3ELNS0_20block_scan_algorithmE0ELj4294967295EEENS1_25partition_config_selectorILNS1_17partition_subalgoE3EjNS0_10empty_typeEbEEZZNS1_14partition_implILS8_3ELb0ES6_jNS0_17counting_iteratorIjlEEPS9_SE_NS0_5tupleIJPjSE_EEENSF_IJSE_SE_EEES9_SG_JZNS1_25segmented_radix_sort_implINS0_14default_configELb0EPKiPiPKlPlN2at6native12_GLOBAL__N_18offset_tEEE10hipError_tPvRmT1_PNSt15iterator_traitsISY_E10value_typeET2_T3_PNSZ_IS14_E10value_typeET4_jRbjT5_S1A_jjP12ihipStream_tbEUljE_EEESV_SW_SX_S14_S18_S1A_T6_T7_T9_mT8_S1C_bDpT10_ENKUlT_T0_E_clISt17integral_constantIbLb1EES1P_EEDaS1K_S1L_EUlS1K_E_NS1_11comp_targetILNS1_3genE8ELNS1_11target_archE1030ELNS1_3gpuE2ELNS1_3repE0EEENS1_30default_config_static_selectorELNS0_4arch9wavefront6targetE0EEEvSY_
		.amdhsa_group_segment_fixed_size 0
		.amdhsa_private_segment_fixed_size 0
		.amdhsa_kernarg_size 152
		.amdhsa_user_sgpr_count 15
		.amdhsa_user_sgpr_dispatch_ptr 0
		.amdhsa_user_sgpr_queue_ptr 0
		.amdhsa_user_sgpr_kernarg_segment_ptr 1
		.amdhsa_user_sgpr_dispatch_id 0
		.amdhsa_user_sgpr_private_segment_size 0
		.amdhsa_wavefront_size32 1
		.amdhsa_uses_dynamic_stack 0
		.amdhsa_enable_private_segment 0
		.amdhsa_system_sgpr_workgroup_id_x 1
		.amdhsa_system_sgpr_workgroup_id_y 0
		.amdhsa_system_sgpr_workgroup_id_z 0
		.amdhsa_system_sgpr_workgroup_info 0
		.amdhsa_system_vgpr_workitem_id 0
		.amdhsa_next_free_vgpr 1
		.amdhsa_next_free_sgpr 1
		.amdhsa_reserve_vcc 0
		.amdhsa_float_round_mode_32 0
		.amdhsa_float_round_mode_16_64 0
		.amdhsa_float_denorm_mode_32 3
		.amdhsa_float_denorm_mode_16_64 3
		.amdhsa_dx10_clamp 1
		.amdhsa_ieee_mode 1
		.amdhsa_fp16_overflow 0
		.amdhsa_workgroup_processor_mode 1
		.amdhsa_memory_ordered 1
		.amdhsa_forward_progress 0
		.amdhsa_shared_vgpr_count 0
		.amdhsa_exception_fp_ieee_invalid_op 0
		.amdhsa_exception_fp_denorm_src 0
		.amdhsa_exception_fp_ieee_div_zero 0
		.amdhsa_exception_fp_ieee_overflow 0
		.amdhsa_exception_fp_ieee_underflow 0
		.amdhsa_exception_fp_ieee_inexact 0
		.amdhsa_exception_int_div_zero 0
	.end_amdhsa_kernel
	.section	.text._ZN7rocprim17ROCPRIM_400000_NS6detail17trampoline_kernelINS0_13select_configILj256ELj13ELNS0_17block_load_methodE3ELS4_3ELS4_3ELNS0_20block_scan_algorithmE0ELj4294967295EEENS1_25partition_config_selectorILNS1_17partition_subalgoE3EjNS0_10empty_typeEbEEZZNS1_14partition_implILS8_3ELb0ES6_jNS0_17counting_iteratorIjlEEPS9_SE_NS0_5tupleIJPjSE_EEENSF_IJSE_SE_EEES9_SG_JZNS1_25segmented_radix_sort_implINS0_14default_configELb0EPKiPiPKlPlN2at6native12_GLOBAL__N_18offset_tEEE10hipError_tPvRmT1_PNSt15iterator_traitsISY_E10value_typeET2_T3_PNSZ_IS14_E10value_typeET4_jRbjT5_S1A_jjP12ihipStream_tbEUljE_EEESV_SW_SX_S14_S18_S1A_T6_T7_T9_mT8_S1C_bDpT10_ENKUlT_T0_E_clISt17integral_constantIbLb1EES1P_EEDaS1K_S1L_EUlS1K_E_NS1_11comp_targetILNS1_3genE8ELNS1_11target_archE1030ELNS1_3gpuE2ELNS1_3repE0EEENS1_30default_config_static_selectorELNS0_4arch9wavefront6targetE0EEEvSY_,"axG",@progbits,_ZN7rocprim17ROCPRIM_400000_NS6detail17trampoline_kernelINS0_13select_configILj256ELj13ELNS0_17block_load_methodE3ELS4_3ELS4_3ELNS0_20block_scan_algorithmE0ELj4294967295EEENS1_25partition_config_selectorILNS1_17partition_subalgoE3EjNS0_10empty_typeEbEEZZNS1_14partition_implILS8_3ELb0ES6_jNS0_17counting_iteratorIjlEEPS9_SE_NS0_5tupleIJPjSE_EEENSF_IJSE_SE_EEES9_SG_JZNS1_25segmented_radix_sort_implINS0_14default_configELb0EPKiPiPKlPlN2at6native12_GLOBAL__N_18offset_tEEE10hipError_tPvRmT1_PNSt15iterator_traitsISY_E10value_typeET2_T3_PNSZ_IS14_E10value_typeET4_jRbjT5_S1A_jjP12ihipStream_tbEUljE_EEESV_SW_SX_S14_S18_S1A_T6_T7_T9_mT8_S1C_bDpT10_ENKUlT_T0_E_clISt17integral_constantIbLb1EES1P_EEDaS1K_S1L_EUlS1K_E_NS1_11comp_targetILNS1_3genE8ELNS1_11target_archE1030ELNS1_3gpuE2ELNS1_3repE0EEENS1_30default_config_static_selectorELNS0_4arch9wavefront6targetE0EEEvSY_,comdat
.Lfunc_end583:
	.size	_ZN7rocprim17ROCPRIM_400000_NS6detail17trampoline_kernelINS0_13select_configILj256ELj13ELNS0_17block_load_methodE3ELS4_3ELS4_3ELNS0_20block_scan_algorithmE0ELj4294967295EEENS1_25partition_config_selectorILNS1_17partition_subalgoE3EjNS0_10empty_typeEbEEZZNS1_14partition_implILS8_3ELb0ES6_jNS0_17counting_iteratorIjlEEPS9_SE_NS0_5tupleIJPjSE_EEENSF_IJSE_SE_EEES9_SG_JZNS1_25segmented_radix_sort_implINS0_14default_configELb0EPKiPiPKlPlN2at6native12_GLOBAL__N_18offset_tEEE10hipError_tPvRmT1_PNSt15iterator_traitsISY_E10value_typeET2_T3_PNSZ_IS14_E10value_typeET4_jRbjT5_S1A_jjP12ihipStream_tbEUljE_EEESV_SW_SX_S14_S18_S1A_T6_T7_T9_mT8_S1C_bDpT10_ENKUlT_T0_E_clISt17integral_constantIbLb1EES1P_EEDaS1K_S1L_EUlS1K_E_NS1_11comp_targetILNS1_3genE8ELNS1_11target_archE1030ELNS1_3gpuE2ELNS1_3repE0EEENS1_30default_config_static_selectorELNS0_4arch9wavefront6targetE0EEEvSY_, .Lfunc_end583-_ZN7rocprim17ROCPRIM_400000_NS6detail17trampoline_kernelINS0_13select_configILj256ELj13ELNS0_17block_load_methodE3ELS4_3ELS4_3ELNS0_20block_scan_algorithmE0ELj4294967295EEENS1_25partition_config_selectorILNS1_17partition_subalgoE3EjNS0_10empty_typeEbEEZZNS1_14partition_implILS8_3ELb0ES6_jNS0_17counting_iteratorIjlEEPS9_SE_NS0_5tupleIJPjSE_EEENSF_IJSE_SE_EEES9_SG_JZNS1_25segmented_radix_sort_implINS0_14default_configELb0EPKiPiPKlPlN2at6native12_GLOBAL__N_18offset_tEEE10hipError_tPvRmT1_PNSt15iterator_traitsISY_E10value_typeET2_T3_PNSZ_IS14_E10value_typeET4_jRbjT5_S1A_jjP12ihipStream_tbEUljE_EEESV_SW_SX_S14_S18_S1A_T6_T7_T9_mT8_S1C_bDpT10_ENKUlT_T0_E_clISt17integral_constantIbLb1EES1P_EEDaS1K_S1L_EUlS1K_E_NS1_11comp_targetILNS1_3genE8ELNS1_11target_archE1030ELNS1_3gpuE2ELNS1_3repE0EEENS1_30default_config_static_selectorELNS0_4arch9wavefront6targetE0EEEvSY_
                                        ; -- End function
	.section	.AMDGPU.csdata,"",@progbits
; Kernel info:
; codeLenInByte = 0
; NumSgprs: 0
; NumVgprs: 0
; ScratchSize: 0
; MemoryBound: 0
; FloatMode: 240
; IeeeMode: 1
; LDSByteSize: 0 bytes/workgroup (compile time only)
; SGPRBlocks: 0
; VGPRBlocks: 0
; NumSGPRsForWavesPerEU: 1
; NumVGPRsForWavesPerEU: 1
; Occupancy: 16
; WaveLimiterHint : 0
; COMPUTE_PGM_RSRC2:SCRATCH_EN: 0
; COMPUTE_PGM_RSRC2:USER_SGPR: 15
; COMPUTE_PGM_RSRC2:TRAP_HANDLER: 0
; COMPUTE_PGM_RSRC2:TGID_X_EN: 1
; COMPUTE_PGM_RSRC2:TGID_Y_EN: 0
; COMPUTE_PGM_RSRC2:TGID_Z_EN: 0
; COMPUTE_PGM_RSRC2:TIDIG_COMP_CNT: 0
	.section	.text._ZN7rocprim17ROCPRIM_400000_NS6detail17trampoline_kernelINS0_13select_configILj256ELj13ELNS0_17block_load_methodE3ELS4_3ELS4_3ELNS0_20block_scan_algorithmE0ELj4294967295EEENS1_25partition_config_selectorILNS1_17partition_subalgoE3EjNS0_10empty_typeEbEEZZNS1_14partition_implILS8_3ELb0ES6_jNS0_17counting_iteratorIjlEEPS9_SE_NS0_5tupleIJPjSE_EEENSF_IJSE_SE_EEES9_SG_JZNS1_25segmented_radix_sort_implINS0_14default_configELb0EPKiPiPKlPlN2at6native12_GLOBAL__N_18offset_tEEE10hipError_tPvRmT1_PNSt15iterator_traitsISY_E10value_typeET2_T3_PNSZ_IS14_E10value_typeET4_jRbjT5_S1A_jjP12ihipStream_tbEUljE_EEESV_SW_SX_S14_S18_S1A_T6_T7_T9_mT8_S1C_bDpT10_ENKUlT_T0_E_clISt17integral_constantIbLb1EES1O_IbLb0EEEEDaS1K_S1L_EUlS1K_E_NS1_11comp_targetILNS1_3genE0ELNS1_11target_archE4294967295ELNS1_3gpuE0ELNS1_3repE0EEENS1_30default_config_static_selectorELNS0_4arch9wavefront6targetE0EEEvSY_,"axG",@progbits,_ZN7rocprim17ROCPRIM_400000_NS6detail17trampoline_kernelINS0_13select_configILj256ELj13ELNS0_17block_load_methodE3ELS4_3ELS4_3ELNS0_20block_scan_algorithmE0ELj4294967295EEENS1_25partition_config_selectorILNS1_17partition_subalgoE3EjNS0_10empty_typeEbEEZZNS1_14partition_implILS8_3ELb0ES6_jNS0_17counting_iteratorIjlEEPS9_SE_NS0_5tupleIJPjSE_EEENSF_IJSE_SE_EEES9_SG_JZNS1_25segmented_radix_sort_implINS0_14default_configELb0EPKiPiPKlPlN2at6native12_GLOBAL__N_18offset_tEEE10hipError_tPvRmT1_PNSt15iterator_traitsISY_E10value_typeET2_T3_PNSZ_IS14_E10value_typeET4_jRbjT5_S1A_jjP12ihipStream_tbEUljE_EEESV_SW_SX_S14_S18_S1A_T6_T7_T9_mT8_S1C_bDpT10_ENKUlT_T0_E_clISt17integral_constantIbLb1EES1O_IbLb0EEEEDaS1K_S1L_EUlS1K_E_NS1_11comp_targetILNS1_3genE0ELNS1_11target_archE4294967295ELNS1_3gpuE0ELNS1_3repE0EEENS1_30default_config_static_selectorELNS0_4arch9wavefront6targetE0EEEvSY_,comdat
	.globl	_ZN7rocprim17ROCPRIM_400000_NS6detail17trampoline_kernelINS0_13select_configILj256ELj13ELNS0_17block_load_methodE3ELS4_3ELS4_3ELNS0_20block_scan_algorithmE0ELj4294967295EEENS1_25partition_config_selectorILNS1_17partition_subalgoE3EjNS0_10empty_typeEbEEZZNS1_14partition_implILS8_3ELb0ES6_jNS0_17counting_iteratorIjlEEPS9_SE_NS0_5tupleIJPjSE_EEENSF_IJSE_SE_EEES9_SG_JZNS1_25segmented_radix_sort_implINS0_14default_configELb0EPKiPiPKlPlN2at6native12_GLOBAL__N_18offset_tEEE10hipError_tPvRmT1_PNSt15iterator_traitsISY_E10value_typeET2_T3_PNSZ_IS14_E10value_typeET4_jRbjT5_S1A_jjP12ihipStream_tbEUljE_EEESV_SW_SX_S14_S18_S1A_T6_T7_T9_mT8_S1C_bDpT10_ENKUlT_T0_E_clISt17integral_constantIbLb1EES1O_IbLb0EEEEDaS1K_S1L_EUlS1K_E_NS1_11comp_targetILNS1_3genE0ELNS1_11target_archE4294967295ELNS1_3gpuE0ELNS1_3repE0EEENS1_30default_config_static_selectorELNS0_4arch9wavefront6targetE0EEEvSY_ ; -- Begin function _ZN7rocprim17ROCPRIM_400000_NS6detail17trampoline_kernelINS0_13select_configILj256ELj13ELNS0_17block_load_methodE3ELS4_3ELS4_3ELNS0_20block_scan_algorithmE0ELj4294967295EEENS1_25partition_config_selectorILNS1_17partition_subalgoE3EjNS0_10empty_typeEbEEZZNS1_14partition_implILS8_3ELb0ES6_jNS0_17counting_iteratorIjlEEPS9_SE_NS0_5tupleIJPjSE_EEENSF_IJSE_SE_EEES9_SG_JZNS1_25segmented_radix_sort_implINS0_14default_configELb0EPKiPiPKlPlN2at6native12_GLOBAL__N_18offset_tEEE10hipError_tPvRmT1_PNSt15iterator_traitsISY_E10value_typeET2_T3_PNSZ_IS14_E10value_typeET4_jRbjT5_S1A_jjP12ihipStream_tbEUljE_EEESV_SW_SX_S14_S18_S1A_T6_T7_T9_mT8_S1C_bDpT10_ENKUlT_T0_E_clISt17integral_constantIbLb1EES1O_IbLb0EEEEDaS1K_S1L_EUlS1K_E_NS1_11comp_targetILNS1_3genE0ELNS1_11target_archE4294967295ELNS1_3gpuE0ELNS1_3repE0EEENS1_30default_config_static_selectorELNS0_4arch9wavefront6targetE0EEEvSY_
	.p2align	8
	.type	_ZN7rocprim17ROCPRIM_400000_NS6detail17trampoline_kernelINS0_13select_configILj256ELj13ELNS0_17block_load_methodE3ELS4_3ELS4_3ELNS0_20block_scan_algorithmE0ELj4294967295EEENS1_25partition_config_selectorILNS1_17partition_subalgoE3EjNS0_10empty_typeEbEEZZNS1_14partition_implILS8_3ELb0ES6_jNS0_17counting_iteratorIjlEEPS9_SE_NS0_5tupleIJPjSE_EEENSF_IJSE_SE_EEES9_SG_JZNS1_25segmented_radix_sort_implINS0_14default_configELb0EPKiPiPKlPlN2at6native12_GLOBAL__N_18offset_tEEE10hipError_tPvRmT1_PNSt15iterator_traitsISY_E10value_typeET2_T3_PNSZ_IS14_E10value_typeET4_jRbjT5_S1A_jjP12ihipStream_tbEUljE_EEESV_SW_SX_S14_S18_S1A_T6_T7_T9_mT8_S1C_bDpT10_ENKUlT_T0_E_clISt17integral_constantIbLb1EES1O_IbLb0EEEEDaS1K_S1L_EUlS1K_E_NS1_11comp_targetILNS1_3genE0ELNS1_11target_archE4294967295ELNS1_3gpuE0ELNS1_3repE0EEENS1_30default_config_static_selectorELNS0_4arch9wavefront6targetE0EEEvSY_,@function
_ZN7rocprim17ROCPRIM_400000_NS6detail17trampoline_kernelINS0_13select_configILj256ELj13ELNS0_17block_load_methodE3ELS4_3ELS4_3ELNS0_20block_scan_algorithmE0ELj4294967295EEENS1_25partition_config_selectorILNS1_17partition_subalgoE3EjNS0_10empty_typeEbEEZZNS1_14partition_implILS8_3ELb0ES6_jNS0_17counting_iteratorIjlEEPS9_SE_NS0_5tupleIJPjSE_EEENSF_IJSE_SE_EEES9_SG_JZNS1_25segmented_radix_sort_implINS0_14default_configELb0EPKiPiPKlPlN2at6native12_GLOBAL__N_18offset_tEEE10hipError_tPvRmT1_PNSt15iterator_traitsISY_E10value_typeET2_T3_PNSZ_IS14_E10value_typeET4_jRbjT5_S1A_jjP12ihipStream_tbEUljE_EEESV_SW_SX_S14_S18_S1A_T6_T7_T9_mT8_S1C_bDpT10_ENKUlT_T0_E_clISt17integral_constantIbLb1EES1O_IbLb0EEEEDaS1K_S1L_EUlS1K_E_NS1_11comp_targetILNS1_3genE0ELNS1_11target_archE4294967295ELNS1_3gpuE0ELNS1_3repE0EEENS1_30default_config_static_selectorELNS0_4arch9wavefront6targetE0EEEvSY_: ; @_ZN7rocprim17ROCPRIM_400000_NS6detail17trampoline_kernelINS0_13select_configILj256ELj13ELNS0_17block_load_methodE3ELS4_3ELS4_3ELNS0_20block_scan_algorithmE0ELj4294967295EEENS1_25partition_config_selectorILNS1_17partition_subalgoE3EjNS0_10empty_typeEbEEZZNS1_14partition_implILS8_3ELb0ES6_jNS0_17counting_iteratorIjlEEPS9_SE_NS0_5tupleIJPjSE_EEENSF_IJSE_SE_EEES9_SG_JZNS1_25segmented_radix_sort_implINS0_14default_configELb0EPKiPiPKlPlN2at6native12_GLOBAL__N_18offset_tEEE10hipError_tPvRmT1_PNSt15iterator_traitsISY_E10value_typeET2_T3_PNSZ_IS14_E10value_typeET4_jRbjT5_S1A_jjP12ihipStream_tbEUljE_EEESV_SW_SX_S14_S18_S1A_T6_T7_T9_mT8_S1C_bDpT10_ENKUlT_T0_E_clISt17integral_constantIbLb1EES1O_IbLb0EEEEDaS1K_S1L_EUlS1K_E_NS1_11comp_targetILNS1_3genE0ELNS1_11target_archE4294967295ELNS1_3gpuE0ELNS1_3repE0EEENS1_30default_config_static_selectorELNS0_4arch9wavefront6targetE0EEEvSY_
; %bb.0:
	.section	.rodata,"a",@progbits
	.p2align	6, 0x0
	.amdhsa_kernel _ZN7rocprim17ROCPRIM_400000_NS6detail17trampoline_kernelINS0_13select_configILj256ELj13ELNS0_17block_load_methodE3ELS4_3ELS4_3ELNS0_20block_scan_algorithmE0ELj4294967295EEENS1_25partition_config_selectorILNS1_17partition_subalgoE3EjNS0_10empty_typeEbEEZZNS1_14partition_implILS8_3ELb0ES6_jNS0_17counting_iteratorIjlEEPS9_SE_NS0_5tupleIJPjSE_EEENSF_IJSE_SE_EEES9_SG_JZNS1_25segmented_radix_sort_implINS0_14default_configELb0EPKiPiPKlPlN2at6native12_GLOBAL__N_18offset_tEEE10hipError_tPvRmT1_PNSt15iterator_traitsISY_E10value_typeET2_T3_PNSZ_IS14_E10value_typeET4_jRbjT5_S1A_jjP12ihipStream_tbEUljE_EEESV_SW_SX_S14_S18_S1A_T6_T7_T9_mT8_S1C_bDpT10_ENKUlT_T0_E_clISt17integral_constantIbLb1EES1O_IbLb0EEEEDaS1K_S1L_EUlS1K_E_NS1_11comp_targetILNS1_3genE0ELNS1_11target_archE4294967295ELNS1_3gpuE0ELNS1_3repE0EEENS1_30default_config_static_selectorELNS0_4arch9wavefront6targetE0EEEvSY_
		.amdhsa_group_segment_fixed_size 0
		.amdhsa_private_segment_fixed_size 0
		.amdhsa_kernarg_size 144
		.amdhsa_user_sgpr_count 15
		.amdhsa_user_sgpr_dispatch_ptr 0
		.amdhsa_user_sgpr_queue_ptr 0
		.amdhsa_user_sgpr_kernarg_segment_ptr 1
		.amdhsa_user_sgpr_dispatch_id 0
		.amdhsa_user_sgpr_private_segment_size 0
		.amdhsa_wavefront_size32 1
		.amdhsa_uses_dynamic_stack 0
		.amdhsa_enable_private_segment 0
		.amdhsa_system_sgpr_workgroup_id_x 1
		.amdhsa_system_sgpr_workgroup_id_y 0
		.amdhsa_system_sgpr_workgroup_id_z 0
		.amdhsa_system_sgpr_workgroup_info 0
		.amdhsa_system_vgpr_workitem_id 0
		.amdhsa_next_free_vgpr 1
		.amdhsa_next_free_sgpr 1
		.amdhsa_reserve_vcc 0
		.amdhsa_float_round_mode_32 0
		.amdhsa_float_round_mode_16_64 0
		.amdhsa_float_denorm_mode_32 3
		.amdhsa_float_denorm_mode_16_64 3
		.amdhsa_dx10_clamp 1
		.amdhsa_ieee_mode 1
		.amdhsa_fp16_overflow 0
		.amdhsa_workgroup_processor_mode 1
		.amdhsa_memory_ordered 1
		.amdhsa_forward_progress 0
		.amdhsa_shared_vgpr_count 0
		.amdhsa_exception_fp_ieee_invalid_op 0
		.amdhsa_exception_fp_denorm_src 0
		.amdhsa_exception_fp_ieee_div_zero 0
		.amdhsa_exception_fp_ieee_overflow 0
		.amdhsa_exception_fp_ieee_underflow 0
		.amdhsa_exception_fp_ieee_inexact 0
		.amdhsa_exception_int_div_zero 0
	.end_amdhsa_kernel
	.section	.text._ZN7rocprim17ROCPRIM_400000_NS6detail17trampoline_kernelINS0_13select_configILj256ELj13ELNS0_17block_load_methodE3ELS4_3ELS4_3ELNS0_20block_scan_algorithmE0ELj4294967295EEENS1_25partition_config_selectorILNS1_17partition_subalgoE3EjNS0_10empty_typeEbEEZZNS1_14partition_implILS8_3ELb0ES6_jNS0_17counting_iteratorIjlEEPS9_SE_NS0_5tupleIJPjSE_EEENSF_IJSE_SE_EEES9_SG_JZNS1_25segmented_radix_sort_implINS0_14default_configELb0EPKiPiPKlPlN2at6native12_GLOBAL__N_18offset_tEEE10hipError_tPvRmT1_PNSt15iterator_traitsISY_E10value_typeET2_T3_PNSZ_IS14_E10value_typeET4_jRbjT5_S1A_jjP12ihipStream_tbEUljE_EEESV_SW_SX_S14_S18_S1A_T6_T7_T9_mT8_S1C_bDpT10_ENKUlT_T0_E_clISt17integral_constantIbLb1EES1O_IbLb0EEEEDaS1K_S1L_EUlS1K_E_NS1_11comp_targetILNS1_3genE0ELNS1_11target_archE4294967295ELNS1_3gpuE0ELNS1_3repE0EEENS1_30default_config_static_selectorELNS0_4arch9wavefront6targetE0EEEvSY_,"axG",@progbits,_ZN7rocprim17ROCPRIM_400000_NS6detail17trampoline_kernelINS0_13select_configILj256ELj13ELNS0_17block_load_methodE3ELS4_3ELS4_3ELNS0_20block_scan_algorithmE0ELj4294967295EEENS1_25partition_config_selectorILNS1_17partition_subalgoE3EjNS0_10empty_typeEbEEZZNS1_14partition_implILS8_3ELb0ES6_jNS0_17counting_iteratorIjlEEPS9_SE_NS0_5tupleIJPjSE_EEENSF_IJSE_SE_EEES9_SG_JZNS1_25segmented_radix_sort_implINS0_14default_configELb0EPKiPiPKlPlN2at6native12_GLOBAL__N_18offset_tEEE10hipError_tPvRmT1_PNSt15iterator_traitsISY_E10value_typeET2_T3_PNSZ_IS14_E10value_typeET4_jRbjT5_S1A_jjP12ihipStream_tbEUljE_EEESV_SW_SX_S14_S18_S1A_T6_T7_T9_mT8_S1C_bDpT10_ENKUlT_T0_E_clISt17integral_constantIbLb1EES1O_IbLb0EEEEDaS1K_S1L_EUlS1K_E_NS1_11comp_targetILNS1_3genE0ELNS1_11target_archE4294967295ELNS1_3gpuE0ELNS1_3repE0EEENS1_30default_config_static_selectorELNS0_4arch9wavefront6targetE0EEEvSY_,comdat
.Lfunc_end584:
	.size	_ZN7rocprim17ROCPRIM_400000_NS6detail17trampoline_kernelINS0_13select_configILj256ELj13ELNS0_17block_load_methodE3ELS4_3ELS4_3ELNS0_20block_scan_algorithmE0ELj4294967295EEENS1_25partition_config_selectorILNS1_17partition_subalgoE3EjNS0_10empty_typeEbEEZZNS1_14partition_implILS8_3ELb0ES6_jNS0_17counting_iteratorIjlEEPS9_SE_NS0_5tupleIJPjSE_EEENSF_IJSE_SE_EEES9_SG_JZNS1_25segmented_radix_sort_implINS0_14default_configELb0EPKiPiPKlPlN2at6native12_GLOBAL__N_18offset_tEEE10hipError_tPvRmT1_PNSt15iterator_traitsISY_E10value_typeET2_T3_PNSZ_IS14_E10value_typeET4_jRbjT5_S1A_jjP12ihipStream_tbEUljE_EEESV_SW_SX_S14_S18_S1A_T6_T7_T9_mT8_S1C_bDpT10_ENKUlT_T0_E_clISt17integral_constantIbLb1EES1O_IbLb0EEEEDaS1K_S1L_EUlS1K_E_NS1_11comp_targetILNS1_3genE0ELNS1_11target_archE4294967295ELNS1_3gpuE0ELNS1_3repE0EEENS1_30default_config_static_selectorELNS0_4arch9wavefront6targetE0EEEvSY_, .Lfunc_end584-_ZN7rocprim17ROCPRIM_400000_NS6detail17trampoline_kernelINS0_13select_configILj256ELj13ELNS0_17block_load_methodE3ELS4_3ELS4_3ELNS0_20block_scan_algorithmE0ELj4294967295EEENS1_25partition_config_selectorILNS1_17partition_subalgoE3EjNS0_10empty_typeEbEEZZNS1_14partition_implILS8_3ELb0ES6_jNS0_17counting_iteratorIjlEEPS9_SE_NS0_5tupleIJPjSE_EEENSF_IJSE_SE_EEES9_SG_JZNS1_25segmented_radix_sort_implINS0_14default_configELb0EPKiPiPKlPlN2at6native12_GLOBAL__N_18offset_tEEE10hipError_tPvRmT1_PNSt15iterator_traitsISY_E10value_typeET2_T3_PNSZ_IS14_E10value_typeET4_jRbjT5_S1A_jjP12ihipStream_tbEUljE_EEESV_SW_SX_S14_S18_S1A_T6_T7_T9_mT8_S1C_bDpT10_ENKUlT_T0_E_clISt17integral_constantIbLb1EES1O_IbLb0EEEEDaS1K_S1L_EUlS1K_E_NS1_11comp_targetILNS1_3genE0ELNS1_11target_archE4294967295ELNS1_3gpuE0ELNS1_3repE0EEENS1_30default_config_static_selectorELNS0_4arch9wavefront6targetE0EEEvSY_
                                        ; -- End function
	.section	.AMDGPU.csdata,"",@progbits
; Kernel info:
; codeLenInByte = 0
; NumSgprs: 0
; NumVgprs: 0
; ScratchSize: 0
; MemoryBound: 0
; FloatMode: 240
; IeeeMode: 1
; LDSByteSize: 0 bytes/workgroup (compile time only)
; SGPRBlocks: 0
; VGPRBlocks: 0
; NumSGPRsForWavesPerEU: 1
; NumVGPRsForWavesPerEU: 1
; Occupancy: 16
; WaveLimiterHint : 0
; COMPUTE_PGM_RSRC2:SCRATCH_EN: 0
; COMPUTE_PGM_RSRC2:USER_SGPR: 15
; COMPUTE_PGM_RSRC2:TRAP_HANDLER: 0
; COMPUTE_PGM_RSRC2:TGID_X_EN: 1
; COMPUTE_PGM_RSRC2:TGID_Y_EN: 0
; COMPUTE_PGM_RSRC2:TGID_Z_EN: 0
; COMPUTE_PGM_RSRC2:TIDIG_COMP_CNT: 0
	.section	.text._ZN7rocprim17ROCPRIM_400000_NS6detail17trampoline_kernelINS0_13select_configILj256ELj13ELNS0_17block_load_methodE3ELS4_3ELS4_3ELNS0_20block_scan_algorithmE0ELj4294967295EEENS1_25partition_config_selectorILNS1_17partition_subalgoE3EjNS0_10empty_typeEbEEZZNS1_14partition_implILS8_3ELb0ES6_jNS0_17counting_iteratorIjlEEPS9_SE_NS0_5tupleIJPjSE_EEENSF_IJSE_SE_EEES9_SG_JZNS1_25segmented_radix_sort_implINS0_14default_configELb0EPKiPiPKlPlN2at6native12_GLOBAL__N_18offset_tEEE10hipError_tPvRmT1_PNSt15iterator_traitsISY_E10value_typeET2_T3_PNSZ_IS14_E10value_typeET4_jRbjT5_S1A_jjP12ihipStream_tbEUljE_EEESV_SW_SX_S14_S18_S1A_T6_T7_T9_mT8_S1C_bDpT10_ENKUlT_T0_E_clISt17integral_constantIbLb1EES1O_IbLb0EEEEDaS1K_S1L_EUlS1K_E_NS1_11comp_targetILNS1_3genE5ELNS1_11target_archE942ELNS1_3gpuE9ELNS1_3repE0EEENS1_30default_config_static_selectorELNS0_4arch9wavefront6targetE0EEEvSY_,"axG",@progbits,_ZN7rocprim17ROCPRIM_400000_NS6detail17trampoline_kernelINS0_13select_configILj256ELj13ELNS0_17block_load_methodE3ELS4_3ELS4_3ELNS0_20block_scan_algorithmE0ELj4294967295EEENS1_25partition_config_selectorILNS1_17partition_subalgoE3EjNS0_10empty_typeEbEEZZNS1_14partition_implILS8_3ELb0ES6_jNS0_17counting_iteratorIjlEEPS9_SE_NS0_5tupleIJPjSE_EEENSF_IJSE_SE_EEES9_SG_JZNS1_25segmented_radix_sort_implINS0_14default_configELb0EPKiPiPKlPlN2at6native12_GLOBAL__N_18offset_tEEE10hipError_tPvRmT1_PNSt15iterator_traitsISY_E10value_typeET2_T3_PNSZ_IS14_E10value_typeET4_jRbjT5_S1A_jjP12ihipStream_tbEUljE_EEESV_SW_SX_S14_S18_S1A_T6_T7_T9_mT8_S1C_bDpT10_ENKUlT_T0_E_clISt17integral_constantIbLb1EES1O_IbLb0EEEEDaS1K_S1L_EUlS1K_E_NS1_11comp_targetILNS1_3genE5ELNS1_11target_archE942ELNS1_3gpuE9ELNS1_3repE0EEENS1_30default_config_static_selectorELNS0_4arch9wavefront6targetE0EEEvSY_,comdat
	.globl	_ZN7rocprim17ROCPRIM_400000_NS6detail17trampoline_kernelINS0_13select_configILj256ELj13ELNS0_17block_load_methodE3ELS4_3ELS4_3ELNS0_20block_scan_algorithmE0ELj4294967295EEENS1_25partition_config_selectorILNS1_17partition_subalgoE3EjNS0_10empty_typeEbEEZZNS1_14partition_implILS8_3ELb0ES6_jNS0_17counting_iteratorIjlEEPS9_SE_NS0_5tupleIJPjSE_EEENSF_IJSE_SE_EEES9_SG_JZNS1_25segmented_radix_sort_implINS0_14default_configELb0EPKiPiPKlPlN2at6native12_GLOBAL__N_18offset_tEEE10hipError_tPvRmT1_PNSt15iterator_traitsISY_E10value_typeET2_T3_PNSZ_IS14_E10value_typeET4_jRbjT5_S1A_jjP12ihipStream_tbEUljE_EEESV_SW_SX_S14_S18_S1A_T6_T7_T9_mT8_S1C_bDpT10_ENKUlT_T0_E_clISt17integral_constantIbLb1EES1O_IbLb0EEEEDaS1K_S1L_EUlS1K_E_NS1_11comp_targetILNS1_3genE5ELNS1_11target_archE942ELNS1_3gpuE9ELNS1_3repE0EEENS1_30default_config_static_selectorELNS0_4arch9wavefront6targetE0EEEvSY_ ; -- Begin function _ZN7rocprim17ROCPRIM_400000_NS6detail17trampoline_kernelINS0_13select_configILj256ELj13ELNS0_17block_load_methodE3ELS4_3ELS4_3ELNS0_20block_scan_algorithmE0ELj4294967295EEENS1_25partition_config_selectorILNS1_17partition_subalgoE3EjNS0_10empty_typeEbEEZZNS1_14partition_implILS8_3ELb0ES6_jNS0_17counting_iteratorIjlEEPS9_SE_NS0_5tupleIJPjSE_EEENSF_IJSE_SE_EEES9_SG_JZNS1_25segmented_radix_sort_implINS0_14default_configELb0EPKiPiPKlPlN2at6native12_GLOBAL__N_18offset_tEEE10hipError_tPvRmT1_PNSt15iterator_traitsISY_E10value_typeET2_T3_PNSZ_IS14_E10value_typeET4_jRbjT5_S1A_jjP12ihipStream_tbEUljE_EEESV_SW_SX_S14_S18_S1A_T6_T7_T9_mT8_S1C_bDpT10_ENKUlT_T0_E_clISt17integral_constantIbLb1EES1O_IbLb0EEEEDaS1K_S1L_EUlS1K_E_NS1_11comp_targetILNS1_3genE5ELNS1_11target_archE942ELNS1_3gpuE9ELNS1_3repE0EEENS1_30default_config_static_selectorELNS0_4arch9wavefront6targetE0EEEvSY_
	.p2align	8
	.type	_ZN7rocprim17ROCPRIM_400000_NS6detail17trampoline_kernelINS0_13select_configILj256ELj13ELNS0_17block_load_methodE3ELS4_3ELS4_3ELNS0_20block_scan_algorithmE0ELj4294967295EEENS1_25partition_config_selectorILNS1_17partition_subalgoE3EjNS0_10empty_typeEbEEZZNS1_14partition_implILS8_3ELb0ES6_jNS0_17counting_iteratorIjlEEPS9_SE_NS0_5tupleIJPjSE_EEENSF_IJSE_SE_EEES9_SG_JZNS1_25segmented_radix_sort_implINS0_14default_configELb0EPKiPiPKlPlN2at6native12_GLOBAL__N_18offset_tEEE10hipError_tPvRmT1_PNSt15iterator_traitsISY_E10value_typeET2_T3_PNSZ_IS14_E10value_typeET4_jRbjT5_S1A_jjP12ihipStream_tbEUljE_EEESV_SW_SX_S14_S18_S1A_T6_T7_T9_mT8_S1C_bDpT10_ENKUlT_T0_E_clISt17integral_constantIbLb1EES1O_IbLb0EEEEDaS1K_S1L_EUlS1K_E_NS1_11comp_targetILNS1_3genE5ELNS1_11target_archE942ELNS1_3gpuE9ELNS1_3repE0EEENS1_30default_config_static_selectorELNS0_4arch9wavefront6targetE0EEEvSY_,@function
_ZN7rocprim17ROCPRIM_400000_NS6detail17trampoline_kernelINS0_13select_configILj256ELj13ELNS0_17block_load_methodE3ELS4_3ELS4_3ELNS0_20block_scan_algorithmE0ELj4294967295EEENS1_25partition_config_selectorILNS1_17partition_subalgoE3EjNS0_10empty_typeEbEEZZNS1_14partition_implILS8_3ELb0ES6_jNS0_17counting_iteratorIjlEEPS9_SE_NS0_5tupleIJPjSE_EEENSF_IJSE_SE_EEES9_SG_JZNS1_25segmented_radix_sort_implINS0_14default_configELb0EPKiPiPKlPlN2at6native12_GLOBAL__N_18offset_tEEE10hipError_tPvRmT1_PNSt15iterator_traitsISY_E10value_typeET2_T3_PNSZ_IS14_E10value_typeET4_jRbjT5_S1A_jjP12ihipStream_tbEUljE_EEESV_SW_SX_S14_S18_S1A_T6_T7_T9_mT8_S1C_bDpT10_ENKUlT_T0_E_clISt17integral_constantIbLb1EES1O_IbLb0EEEEDaS1K_S1L_EUlS1K_E_NS1_11comp_targetILNS1_3genE5ELNS1_11target_archE942ELNS1_3gpuE9ELNS1_3repE0EEENS1_30default_config_static_selectorELNS0_4arch9wavefront6targetE0EEEvSY_: ; @_ZN7rocprim17ROCPRIM_400000_NS6detail17trampoline_kernelINS0_13select_configILj256ELj13ELNS0_17block_load_methodE3ELS4_3ELS4_3ELNS0_20block_scan_algorithmE0ELj4294967295EEENS1_25partition_config_selectorILNS1_17partition_subalgoE3EjNS0_10empty_typeEbEEZZNS1_14partition_implILS8_3ELb0ES6_jNS0_17counting_iteratorIjlEEPS9_SE_NS0_5tupleIJPjSE_EEENSF_IJSE_SE_EEES9_SG_JZNS1_25segmented_radix_sort_implINS0_14default_configELb0EPKiPiPKlPlN2at6native12_GLOBAL__N_18offset_tEEE10hipError_tPvRmT1_PNSt15iterator_traitsISY_E10value_typeET2_T3_PNSZ_IS14_E10value_typeET4_jRbjT5_S1A_jjP12ihipStream_tbEUljE_EEESV_SW_SX_S14_S18_S1A_T6_T7_T9_mT8_S1C_bDpT10_ENKUlT_T0_E_clISt17integral_constantIbLb1EES1O_IbLb0EEEEDaS1K_S1L_EUlS1K_E_NS1_11comp_targetILNS1_3genE5ELNS1_11target_archE942ELNS1_3gpuE9ELNS1_3repE0EEENS1_30default_config_static_selectorELNS0_4arch9wavefront6targetE0EEEvSY_
; %bb.0:
	.section	.rodata,"a",@progbits
	.p2align	6, 0x0
	.amdhsa_kernel _ZN7rocprim17ROCPRIM_400000_NS6detail17trampoline_kernelINS0_13select_configILj256ELj13ELNS0_17block_load_methodE3ELS4_3ELS4_3ELNS0_20block_scan_algorithmE0ELj4294967295EEENS1_25partition_config_selectorILNS1_17partition_subalgoE3EjNS0_10empty_typeEbEEZZNS1_14partition_implILS8_3ELb0ES6_jNS0_17counting_iteratorIjlEEPS9_SE_NS0_5tupleIJPjSE_EEENSF_IJSE_SE_EEES9_SG_JZNS1_25segmented_radix_sort_implINS0_14default_configELb0EPKiPiPKlPlN2at6native12_GLOBAL__N_18offset_tEEE10hipError_tPvRmT1_PNSt15iterator_traitsISY_E10value_typeET2_T3_PNSZ_IS14_E10value_typeET4_jRbjT5_S1A_jjP12ihipStream_tbEUljE_EEESV_SW_SX_S14_S18_S1A_T6_T7_T9_mT8_S1C_bDpT10_ENKUlT_T0_E_clISt17integral_constantIbLb1EES1O_IbLb0EEEEDaS1K_S1L_EUlS1K_E_NS1_11comp_targetILNS1_3genE5ELNS1_11target_archE942ELNS1_3gpuE9ELNS1_3repE0EEENS1_30default_config_static_selectorELNS0_4arch9wavefront6targetE0EEEvSY_
		.amdhsa_group_segment_fixed_size 0
		.amdhsa_private_segment_fixed_size 0
		.amdhsa_kernarg_size 144
		.amdhsa_user_sgpr_count 15
		.amdhsa_user_sgpr_dispatch_ptr 0
		.amdhsa_user_sgpr_queue_ptr 0
		.amdhsa_user_sgpr_kernarg_segment_ptr 1
		.amdhsa_user_sgpr_dispatch_id 0
		.amdhsa_user_sgpr_private_segment_size 0
		.amdhsa_wavefront_size32 1
		.amdhsa_uses_dynamic_stack 0
		.amdhsa_enable_private_segment 0
		.amdhsa_system_sgpr_workgroup_id_x 1
		.amdhsa_system_sgpr_workgroup_id_y 0
		.amdhsa_system_sgpr_workgroup_id_z 0
		.amdhsa_system_sgpr_workgroup_info 0
		.amdhsa_system_vgpr_workitem_id 0
		.amdhsa_next_free_vgpr 1
		.amdhsa_next_free_sgpr 1
		.amdhsa_reserve_vcc 0
		.amdhsa_float_round_mode_32 0
		.amdhsa_float_round_mode_16_64 0
		.amdhsa_float_denorm_mode_32 3
		.amdhsa_float_denorm_mode_16_64 3
		.amdhsa_dx10_clamp 1
		.amdhsa_ieee_mode 1
		.amdhsa_fp16_overflow 0
		.amdhsa_workgroup_processor_mode 1
		.amdhsa_memory_ordered 1
		.amdhsa_forward_progress 0
		.amdhsa_shared_vgpr_count 0
		.amdhsa_exception_fp_ieee_invalid_op 0
		.amdhsa_exception_fp_denorm_src 0
		.amdhsa_exception_fp_ieee_div_zero 0
		.amdhsa_exception_fp_ieee_overflow 0
		.amdhsa_exception_fp_ieee_underflow 0
		.amdhsa_exception_fp_ieee_inexact 0
		.amdhsa_exception_int_div_zero 0
	.end_amdhsa_kernel
	.section	.text._ZN7rocprim17ROCPRIM_400000_NS6detail17trampoline_kernelINS0_13select_configILj256ELj13ELNS0_17block_load_methodE3ELS4_3ELS4_3ELNS0_20block_scan_algorithmE0ELj4294967295EEENS1_25partition_config_selectorILNS1_17partition_subalgoE3EjNS0_10empty_typeEbEEZZNS1_14partition_implILS8_3ELb0ES6_jNS0_17counting_iteratorIjlEEPS9_SE_NS0_5tupleIJPjSE_EEENSF_IJSE_SE_EEES9_SG_JZNS1_25segmented_radix_sort_implINS0_14default_configELb0EPKiPiPKlPlN2at6native12_GLOBAL__N_18offset_tEEE10hipError_tPvRmT1_PNSt15iterator_traitsISY_E10value_typeET2_T3_PNSZ_IS14_E10value_typeET4_jRbjT5_S1A_jjP12ihipStream_tbEUljE_EEESV_SW_SX_S14_S18_S1A_T6_T7_T9_mT8_S1C_bDpT10_ENKUlT_T0_E_clISt17integral_constantIbLb1EES1O_IbLb0EEEEDaS1K_S1L_EUlS1K_E_NS1_11comp_targetILNS1_3genE5ELNS1_11target_archE942ELNS1_3gpuE9ELNS1_3repE0EEENS1_30default_config_static_selectorELNS0_4arch9wavefront6targetE0EEEvSY_,"axG",@progbits,_ZN7rocprim17ROCPRIM_400000_NS6detail17trampoline_kernelINS0_13select_configILj256ELj13ELNS0_17block_load_methodE3ELS4_3ELS4_3ELNS0_20block_scan_algorithmE0ELj4294967295EEENS1_25partition_config_selectorILNS1_17partition_subalgoE3EjNS0_10empty_typeEbEEZZNS1_14partition_implILS8_3ELb0ES6_jNS0_17counting_iteratorIjlEEPS9_SE_NS0_5tupleIJPjSE_EEENSF_IJSE_SE_EEES9_SG_JZNS1_25segmented_radix_sort_implINS0_14default_configELb0EPKiPiPKlPlN2at6native12_GLOBAL__N_18offset_tEEE10hipError_tPvRmT1_PNSt15iterator_traitsISY_E10value_typeET2_T3_PNSZ_IS14_E10value_typeET4_jRbjT5_S1A_jjP12ihipStream_tbEUljE_EEESV_SW_SX_S14_S18_S1A_T6_T7_T9_mT8_S1C_bDpT10_ENKUlT_T0_E_clISt17integral_constantIbLb1EES1O_IbLb0EEEEDaS1K_S1L_EUlS1K_E_NS1_11comp_targetILNS1_3genE5ELNS1_11target_archE942ELNS1_3gpuE9ELNS1_3repE0EEENS1_30default_config_static_selectorELNS0_4arch9wavefront6targetE0EEEvSY_,comdat
.Lfunc_end585:
	.size	_ZN7rocprim17ROCPRIM_400000_NS6detail17trampoline_kernelINS0_13select_configILj256ELj13ELNS0_17block_load_methodE3ELS4_3ELS4_3ELNS0_20block_scan_algorithmE0ELj4294967295EEENS1_25partition_config_selectorILNS1_17partition_subalgoE3EjNS0_10empty_typeEbEEZZNS1_14partition_implILS8_3ELb0ES6_jNS0_17counting_iteratorIjlEEPS9_SE_NS0_5tupleIJPjSE_EEENSF_IJSE_SE_EEES9_SG_JZNS1_25segmented_radix_sort_implINS0_14default_configELb0EPKiPiPKlPlN2at6native12_GLOBAL__N_18offset_tEEE10hipError_tPvRmT1_PNSt15iterator_traitsISY_E10value_typeET2_T3_PNSZ_IS14_E10value_typeET4_jRbjT5_S1A_jjP12ihipStream_tbEUljE_EEESV_SW_SX_S14_S18_S1A_T6_T7_T9_mT8_S1C_bDpT10_ENKUlT_T0_E_clISt17integral_constantIbLb1EES1O_IbLb0EEEEDaS1K_S1L_EUlS1K_E_NS1_11comp_targetILNS1_3genE5ELNS1_11target_archE942ELNS1_3gpuE9ELNS1_3repE0EEENS1_30default_config_static_selectorELNS0_4arch9wavefront6targetE0EEEvSY_, .Lfunc_end585-_ZN7rocprim17ROCPRIM_400000_NS6detail17trampoline_kernelINS0_13select_configILj256ELj13ELNS0_17block_load_methodE3ELS4_3ELS4_3ELNS0_20block_scan_algorithmE0ELj4294967295EEENS1_25partition_config_selectorILNS1_17partition_subalgoE3EjNS0_10empty_typeEbEEZZNS1_14partition_implILS8_3ELb0ES6_jNS0_17counting_iteratorIjlEEPS9_SE_NS0_5tupleIJPjSE_EEENSF_IJSE_SE_EEES9_SG_JZNS1_25segmented_radix_sort_implINS0_14default_configELb0EPKiPiPKlPlN2at6native12_GLOBAL__N_18offset_tEEE10hipError_tPvRmT1_PNSt15iterator_traitsISY_E10value_typeET2_T3_PNSZ_IS14_E10value_typeET4_jRbjT5_S1A_jjP12ihipStream_tbEUljE_EEESV_SW_SX_S14_S18_S1A_T6_T7_T9_mT8_S1C_bDpT10_ENKUlT_T0_E_clISt17integral_constantIbLb1EES1O_IbLb0EEEEDaS1K_S1L_EUlS1K_E_NS1_11comp_targetILNS1_3genE5ELNS1_11target_archE942ELNS1_3gpuE9ELNS1_3repE0EEENS1_30default_config_static_selectorELNS0_4arch9wavefront6targetE0EEEvSY_
                                        ; -- End function
	.section	.AMDGPU.csdata,"",@progbits
; Kernel info:
; codeLenInByte = 0
; NumSgprs: 0
; NumVgprs: 0
; ScratchSize: 0
; MemoryBound: 0
; FloatMode: 240
; IeeeMode: 1
; LDSByteSize: 0 bytes/workgroup (compile time only)
; SGPRBlocks: 0
; VGPRBlocks: 0
; NumSGPRsForWavesPerEU: 1
; NumVGPRsForWavesPerEU: 1
; Occupancy: 16
; WaveLimiterHint : 0
; COMPUTE_PGM_RSRC2:SCRATCH_EN: 0
; COMPUTE_PGM_RSRC2:USER_SGPR: 15
; COMPUTE_PGM_RSRC2:TRAP_HANDLER: 0
; COMPUTE_PGM_RSRC2:TGID_X_EN: 1
; COMPUTE_PGM_RSRC2:TGID_Y_EN: 0
; COMPUTE_PGM_RSRC2:TGID_Z_EN: 0
; COMPUTE_PGM_RSRC2:TIDIG_COMP_CNT: 0
	.section	.text._ZN7rocprim17ROCPRIM_400000_NS6detail17trampoline_kernelINS0_13select_configILj256ELj13ELNS0_17block_load_methodE3ELS4_3ELS4_3ELNS0_20block_scan_algorithmE0ELj4294967295EEENS1_25partition_config_selectorILNS1_17partition_subalgoE3EjNS0_10empty_typeEbEEZZNS1_14partition_implILS8_3ELb0ES6_jNS0_17counting_iteratorIjlEEPS9_SE_NS0_5tupleIJPjSE_EEENSF_IJSE_SE_EEES9_SG_JZNS1_25segmented_radix_sort_implINS0_14default_configELb0EPKiPiPKlPlN2at6native12_GLOBAL__N_18offset_tEEE10hipError_tPvRmT1_PNSt15iterator_traitsISY_E10value_typeET2_T3_PNSZ_IS14_E10value_typeET4_jRbjT5_S1A_jjP12ihipStream_tbEUljE_EEESV_SW_SX_S14_S18_S1A_T6_T7_T9_mT8_S1C_bDpT10_ENKUlT_T0_E_clISt17integral_constantIbLb1EES1O_IbLb0EEEEDaS1K_S1L_EUlS1K_E_NS1_11comp_targetILNS1_3genE4ELNS1_11target_archE910ELNS1_3gpuE8ELNS1_3repE0EEENS1_30default_config_static_selectorELNS0_4arch9wavefront6targetE0EEEvSY_,"axG",@progbits,_ZN7rocprim17ROCPRIM_400000_NS6detail17trampoline_kernelINS0_13select_configILj256ELj13ELNS0_17block_load_methodE3ELS4_3ELS4_3ELNS0_20block_scan_algorithmE0ELj4294967295EEENS1_25partition_config_selectorILNS1_17partition_subalgoE3EjNS0_10empty_typeEbEEZZNS1_14partition_implILS8_3ELb0ES6_jNS0_17counting_iteratorIjlEEPS9_SE_NS0_5tupleIJPjSE_EEENSF_IJSE_SE_EEES9_SG_JZNS1_25segmented_radix_sort_implINS0_14default_configELb0EPKiPiPKlPlN2at6native12_GLOBAL__N_18offset_tEEE10hipError_tPvRmT1_PNSt15iterator_traitsISY_E10value_typeET2_T3_PNSZ_IS14_E10value_typeET4_jRbjT5_S1A_jjP12ihipStream_tbEUljE_EEESV_SW_SX_S14_S18_S1A_T6_T7_T9_mT8_S1C_bDpT10_ENKUlT_T0_E_clISt17integral_constantIbLb1EES1O_IbLb0EEEEDaS1K_S1L_EUlS1K_E_NS1_11comp_targetILNS1_3genE4ELNS1_11target_archE910ELNS1_3gpuE8ELNS1_3repE0EEENS1_30default_config_static_selectorELNS0_4arch9wavefront6targetE0EEEvSY_,comdat
	.globl	_ZN7rocprim17ROCPRIM_400000_NS6detail17trampoline_kernelINS0_13select_configILj256ELj13ELNS0_17block_load_methodE3ELS4_3ELS4_3ELNS0_20block_scan_algorithmE0ELj4294967295EEENS1_25partition_config_selectorILNS1_17partition_subalgoE3EjNS0_10empty_typeEbEEZZNS1_14partition_implILS8_3ELb0ES6_jNS0_17counting_iteratorIjlEEPS9_SE_NS0_5tupleIJPjSE_EEENSF_IJSE_SE_EEES9_SG_JZNS1_25segmented_radix_sort_implINS0_14default_configELb0EPKiPiPKlPlN2at6native12_GLOBAL__N_18offset_tEEE10hipError_tPvRmT1_PNSt15iterator_traitsISY_E10value_typeET2_T3_PNSZ_IS14_E10value_typeET4_jRbjT5_S1A_jjP12ihipStream_tbEUljE_EEESV_SW_SX_S14_S18_S1A_T6_T7_T9_mT8_S1C_bDpT10_ENKUlT_T0_E_clISt17integral_constantIbLb1EES1O_IbLb0EEEEDaS1K_S1L_EUlS1K_E_NS1_11comp_targetILNS1_3genE4ELNS1_11target_archE910ELNS1_3gpuE8ELNS1_3repE0EEENS1_30default_config_static_selectorELNS0_4arch9wavefront6targetE0EEEvSY_ ; -- Begin function _ZN7rocprim17ROCPRIM_400000_NS6detail17trampoline_kernelINS0_13select_configILj256ELj13ELNS0_17block_load_methodE3ELS4_3ELS4_3ELNS0_20block_scan_algorithmE0ELj4294967295EEENS1_25partition_config_selectorILNS1_17partition_subalgoE3EjNS0_10empty_typeEbEEZZNS1_14partition_implILS8_3ELb0ES6_jNS0_17counting_iteratorIjlEEPS9_SE_NS0_5tupleIJPjSE_EEENSF_IJSE_SE_EEES9_SG_JZNS1_25segmented_radix_sort_implINS0_14default_configELb0EPKiPiPKlPlN2at6native12_GLOBAL__N_18offset_tEEE10hipError_tPvRmT1_PNSt15iterator_traitsISY_E10value_typeET2_T3_PNSZ_IS14_E10value_typeET4_jRbjT5_S1A_jjP12ihipStream_tbEUljE_EEESV_SW_SX_S14_S18_S1A_T6_T7_T9_mT8_S1C_bDpT10_ENKUlT_T0_E_clISt17integral_constantIbLb1EES1O_IbLb0EEEEDaS1K_S1L_EUlS1K_E_NS1_11comp_targetILNS1_3genE4ELNS1_11target_archE910ELNS1_3gpuE8ELNS1_3repE0EEENS1_30default_config_static_selectorELNS0_4arch9wavefront6targetE0EEEvSY_
	.p2align	8
	.type	_ZN7rocprim17ROCPRIM_400000_NS6detail17trampoline_kernelINS0_13select_configILj256ELj13ELNS0_17block_load_methodE3ELS4_3ELS4_3ELNS0_20block_scan_algorithmE0ELj4294967295EEENS1_25partition_config_selectorILNS1_17partition_subalgoE3EjNS0_10empty_typeEbEEZZNS1_14partition_implILS8_3ELb0ES6_jNS0_17counting_iteratorIjlEEPS9_SE_NS0_5tupleIJPjSE_EEENSF_IJSE_SE_EEES9_SG_JZNS1_25segmented_radix_sort_implINS0_14default_configELb0EPKiPiPKlPlN2at6native12_GLOBAL__N_18offset_tEEE10hipError_tPvRmT1_PNSt15iterator_traitsISY_E10value_typeET2_T3_PNSZ_IS14_E10value_typeET4_jRbjT5_S1A_jjP12ihipStream_tbEUljE_EEESV_SW_SX_S14_S18_S1A_T6_T7_T9_mT8_S1C_bDpT10_ENKUlT_T0_E_clISt17integral_constantIbLb1EES1O_IbLb0EEEEDaS1K_S1L_EUlS1K_E_NS1_11comp_targetILNS1_3genE4ELNS1_11target_archE910ELNS1_3gpuE8ELNS1_3repE0EEENS1_30default_config_static_selectorELNS0_4arch9wavefront6targetE0EEEvSY_,@function
_ZN7rocprim17ROCPRIM_400000_NS6detail17trampoline_kernelINS0_13select_configILj256ELj13ELNS0_17block_load_methodE3ELS4_3ELS4_3ELNS0_20block_scan_algorithmE0ELj4294967295EEENS1_25partition_config_selectorILNS1_17partition_subalgoE3EjNS0_10empty_typeEbEEZZNS1_14partition_implILS8_3ELb0ES6_jNS0_17counting_iteratorIjlEEPS9_SE_NS0_5tupleIJPjSE_EEENSF_IJSE_SE_EEES9_SG_JZNS1_25segmented_radix_sort_implINS0_14default_configELb0EPKiPiPKlPlN2at6native12_GLOBAL__N_18offset_tEEE10hipError_tPvRmT1_PNSt15iterator_traitsISY_E10value_typeET2_T3_PNSZ_IS14_E10value_typeET4_jRbjT5_S1A_jjP12ihipStream_tbEUljE_EEESV_SW_SX_S14_S18_S1A_T6_T7_T9_mT8_S1C_bDpT10_ENKUlT_T0_E_clISt17integral_constantIbLb1EES1O_IbLb0EEEEDaS1K_S1L_EUlS1K_E_NS1_11comp_targetILNS1_3genE4ELNS1_11target_archE910ELNS1_3gpuE8ELNS1_3repE0EEENS1_30default_config_static_selectorELNS0_4arch9wavefront6targetE0EEEvSY_: ; @_ZN7rocprim17ROCPRIM_400000_NS6detail17trampoline_kernelINS0_13select_configILj256ELj13ELNS0_17block_load_methodE3ELS4_3ELS4_3ELNS0_20block_scan_algorithmE0ELj4294967295EEENS1_25partition_config_selectorILNS1_17partition_subalgoE3EjNS0_10empty_typeEbEEZZNS1_14partition_implILS8_3ELb0ES6_jNS0_17counting_iteratorIjlEEPS9_SE_NS0_5tupleIJPjSE_EEENSF_IJSE_SE_EEES9_SG_JZNS1_25segmented_radix_sort_implINS0_14default_configELb0EPKiPiPKlPlN2at6native12_GLOBAL__N_18offset_tEEE10hipError_tPvRmT1_PNSt15iterator_traitsISY_E10value_typeET2_T3_PNSZ_IS14_E10value_typeET4_jRbjT5_S1A_jjP12ihipStream_tbEUljE_EEESV_SW_SX_S14_S18_S1A_T6_T7_T9_mT8_S1C_bDpT10_ENKUlT_T0_E_clISt17integral_constantIbLb1EES1O_IbLb0EEEEDaS1K_S1L_EUlS1K_E_NS1_11comp_targetILNS1_3genE4ELNS1_11target_archE910ELNS1_3gpuE8ELNS1_3repE0EEENS1_30default_config_static_selectorELNS0_4arch9wavefront6targetE0EEEvSY_
; %bb.0:
	.section	.rodata,"a",@progbits
	.p2align	6, 0x0
	.amdhsa_kernel _ZN7rocprim17ROCPRIM_400000_NS6detail17trampoline_kernelINS0_13select_configILj256ELj13ELNS0_17block_load_methodE3ELS4_3ELS4_3ELNS0_20block_scan_algorithmE0ELj4294967295EEENS1_25partition_config_selectorILNS1_17partition_subalgoE3EjNS0_10empty_typeEbEEZZNS1_14partition_implILS8_3ELb0ES6_jNS0_17counting_iteratorIjlEEPS9_SE_NS0_5tupleIJPjSE_EEENSF_IJSE_SE_EEES9_SG_JZNS1_25segmented_radix_sort_implINS0_14default_configELb0EPKiPiPKlPlN2at6native12_GLOBAL__N_18offset_tEEE10hipError_tPvRmT1_PNSt15iterator_traitsISY_E10value_typeET2_T3_PNSZ_IS14_E10value_typeET4_jRbjT5_S1A_jjP12ihipStream_tbEUljE_EEESV_SW_SX_S14_S18_S1A_T6_T7_T9_mT8_S1C_bDpT10_ENKUlT_T0_E_clISt17integral_constantIbLb1EES1O_IbLb0EEEEDaS1K_S1L_EUlS1K_E_NS1_11comp_targetILNS1_3genE4ELNS1_11target_archE910ELNS1_3gpuE8ELNS1_3repE0EEENS1_30default_config_static_selectorELNS0_4arch9wavefront6targetE0EEEvSY_
		.amdhsa_group_segment_fixed_size 0
		.amdhsa_private_segment_fixed_size 0
		.amdhsa_kernarg_size 144
		.amdhsa_user_sgpr_count 15
		.amdhsa_user_sgpr_dispatch_ptr 0
		.amdhsa_user_sgpr_queue_ptr 0
		.amdhsa_user_sgpr_kernarg_segment_ptr 1
		.amdhsa_user_sgpr_dispatch_id 0
		.amdhsa_user_sgpr_private_segment_size 0
		.amdhsa_wavefront_size32 1
		.amdhsa_uses_dynamic_stack 0
		.amdhsa_enable_private_segment 0
		.amdhsa_system_sgpr_workgroup_id_x 1
		.amdhsa_system_sgpr_workgroup_id_y 0
		.amdhsa_system_sgpr_workgroup_id_z 0
		.amdhsa_system_sgpr_workgroup_info 0
		.amdhsa_system_vgpr_workitem_id 0
		.amdhsa_next_free_vgpr 1
		.amdhsa_next_free_sgpr 1
		.amdhsa_reserve_vcc 0
		.amdhsa_float_round_mode_32 0
		.amdhsa_float_round_mode_16_64 0
		.amdhsa_float_denorm_mode_32 3
		.amdhsa_float_denorm_mode_16_64 3
		.amdhsa_dx10_clamp 1
		.amdhsa_ieee_mode 1
		.amdhsa_fp16_overflow 0
		.amdhsa_workgroup_processor_mode 1
		.amdhsa_memory_ordered 1
		.amdhsa_forward_progress 0
		.amdhsa_shared_vgpr_count 0
		.amdhsa_exception_fp_ieee_invalid_op 0
		.amdhsa_exception_fp_denorm_src 0
		.amdhsa_exception_fp_ieee_div_zero 0
		.amdhsa_exception_fp_ieee_overflow 0
		.amdhsa_exception_fp_ieee_underflow 0
		.amdhsa_exception_fp_ieee_inexact 0
		.amdhsa_exception_int_div_zero 0
	.end_amdhsa_kernel
	.section	.text._ZN7rocprim17ROCPRIM_400000_NS6detail17trampoline_kernelINS0_13select_configILj256ELj13ELNS0_17block_load_methodE3ELS4_3ELS4_3ELNS0_20block_scan_algorithmE0ELj4294967295EEENS1_25partition_config_selectorILNS1_17partition_subalgoE3EjNS0_10empty_typeEbEEZZNS1_14partition_implILS8_3ELb0ES6_jNS0_17counting_iteratorIjlEEPS9_SE_NS0_5tupleIJPjSE_EEENSF_IJSE_SE_EEES9_SG_JZNS1_25segmented_radix_sort_implINS0_14default_configELb0EPKiPiPKlPlN2at6native12_GLOBAL__N_18offset_tEEE10hipError_tPvRmT1_PNSt15iterator_traitsISY_E10value_typeET2_T3_PNSZ_IS14_E10value_typeET4_jRbjT5_S1A_jjP12ihipStream_tbEUljE_EEESV_SW_SX_S14_S18_S1A_T6_T7_T9_mT8_S1C_bDpT10_ENKUlT_T0_E_clISt17integral_constantIbLb1EES1O_IbLb0EEEEDaS1K_S1L_EUlS1K_E_NS1_11comp_targetILNS1_3genE4ELNS1_11target_archE910ELNS1_3gpuE8ELNS1_3repE0EEENS1_30default_config_static_selectorELNS0_4arch9wavefront6targetE0EEEvSY_,"axG",@progbits,_ZN7rocprim17ROCPRIM_400000_NS6detail17trampoline_kernelINS0_13select_configILj256ELj13ELNS0_17block_load_methodE3ELS4_3ELS4_3ELNS0_20block_scan_algorithmE0ELj4294967295EEENS1_25partition_config_selectorILNS1_17partition_subalgoE3EjNS0_10empty_typeEbEEZZNS1_14partition_implILS8_3ELb0ES6_jNS0_17counting_iteratorIjlEEPS9_SE_NS0_5tupleIJPjSE_EEENSF_IJSE_SE_EEES9_SG_JZNS1_25segmented_radix_sort_implINS0_14default_configELb0EPKiPiPKlPlN2at6native12_GLOBAL__N_18offset_tEEE10hipError_tPvRmT1_PNSt15iterator_traitsISY_E10value_typeET2_T3_PNSZ_IS14_E10value_typeET4_jRbjT5_S1A_jjP12ihipStream_tbEUljE_EEESV_SW_SX_S14_S18_S1A_T6_T7_T9_mT8_S1C_bDpT10_ENKUlT_T0_E_clISt17integral_constantIbLb1EES1O_IbLb0EEEEDaS1K_S1L_EUlS1K_E_NS1_11comp_targetILNS1_3genE4ELNS1_11target_archE910ELNS1_3gpuE8ELNS1_3repE0EEENS1_30default_config_static_selectorELNS0_4arch9wavefront6targetE0EEEvSY_,comdat
.Lfunc_end586:
	.size	_ZN7rocprim17ROCPRIM_400000_NS6detail17trampoline_kernelINS0_13select_configILj256ELj13ELNS0_17block_load_methodE3ELS4_3ELS4_3ELNS0_20block_scan_algorithmE0ELj4294967295EEENS1_25partition_config_selectorILNS1_17partition_subalgoE3EjNS0_10empty_typeEbEEZZNS1_14partition_implILS8_3ELb0ES6_jNS0_17counting_iteratorIjlEEPS9_SE_NS0_5tupleIJPjSE_EEENSF_IJSE_SE_EEES9_SG_JZNS1_25segmented_radix_sort_implINS0_14default_configELb0EPKiPiPKlPlN2at6native12_GLOBAL__N_18offset_tEEE10hipError_tPvRmT1_PNSt15iterator_traitsISY_E10value_typeET2_T3_PNSZ_IS14_E10value_typeET4_jRbjT5_S1A_jjP12ihipStream_tbEUljE_EEESV_SW_SX_S14_S18_S1A_T6_T7_T9_mT8_S1C_bDpT10_ENKUlT_T0_E_clISt17integral_constantIbLb1EES1O_IbLb0EEEEDaS1K_S1L_EUlS1K_E_NS1_11comp_targetILNS1_3genE4ELNS1_11target_archE910ELNS1_3gpuE8ELNS1_3repE0EEENS1_30default_config_static_selectorELNS0_4arch9wavefront6targetE0EEEvSY_, .Lfunc_end586-_ZN7rocprim17ROCPRIM_400000_NS6detail17trampoline_kernelINS0_13select_configILj256ELj13ELNS0_17block_load_methodE3ELS4_3ELS4_3ELNS0_20block_scan_algorithmE0ELj4294967295EEENS1_25partition_config_selectorILNS1_17partition_subalgoE3EjNS0_10empty_typeEbEEZZNS1_14partition_implILS8_3ELb0ES6_jNS0_17counting_iteratorIjlEEPS9_SE_NS0_5tupleIJPjSE_EEENSF_IJSE_SE_EEES9_SG_JZNS1_25segmented_radix_sort_implINS0_14default_configELb0EPKiPiPKlPlN2at6native12_GLOBAL__N_18offset_tEEE10hipError_tPvRmT1_PNSt15iterator_traitsISY_E10value_typeET2_T3_PNSZ_IS14_E10value_typeET4_jRbjT5_S1A_jjP12ihipStream_tbEUljE_EEESV_SW_SX_S14_S18_S1A_T6_T7_T9_mT8_S1C_bDpT10_ENKUlT_T0_E_clISt17integral_constantIbLb1EES1O_IbLb0EEEEDaS1K_S1L_EUlS1K_E_NS1_11comp_targetILNS1_3genE4ELNS1_11target_archE910ELNS1_3gpuE8ELNS1_3repE0EEENS1_30default_config_static_selectorELNS0_4arch9wavefront6targetE0EEEvSY_
                                        ; -- End function
	.section	.AMDGPU.csdata,"",@progbits
; Kernel info:
; codeLenInByte = 0
; NumSgprs: 0
; NumVgprs: 0
; ScratchSize: 0
; MemoryBound: 0
; FloatMode: 240
; IeeeMode: 1
; LDSByteSize: 0 bytes/workgroup (compile time only)
; SGPRBlocks: 0
; VGPRBlocks: 0
; NumSGPRsForWavesPerEU: 1
; NumVGPRsForWavesPerEU: 1
; Occupancy: 16
; WaveLimiterHint : 0
; COMPUTE_PGM_RSRC2:SCRATCH_EN: 0
; COMPUTE_PGM_RSRC2:USER_SGPR: 15
; COMPUTE_PGM_RSRC2:TRAP_HANDLER: 0
; COMPUTE_PGM_RSRC2:TGID_X_EN: 1
; COMPUTE_PGM_RSRC2:TGID_Y_EN: 0
; COMPUTE_PGM_RSRC2:TGID_Z_EN: 0
; COMPUTE_PGM_RSRC2:TIDIG_COMP_CNT: 0
	.section	.text._ZN7rocprim17ROCPRIM_400000_NS6detail17trampoline_kernelINS0_13select_configILj256ELj13ELNS0_17block_load_methodE3ELS4_3ELS4_3ELNS0_20block_scan_algorithmE0ELj4294967295EEENS1_25partition_config_selectorILNS1_17partition_subalgoE3EjNS0_10empty_typeEbEEZZNS1_14partition_implILS8_3ELb0ES6_jNS0_17counting_iteratorIjlEEPS9_SE_NS0_5tupleIJPjSE_EEENSF_IJSE_SE_EEES9_SG_JZNS1_25segmented_radix_sort_implINS0_14default_configELb0EPKiPiPKlPlN2at6native12_GLOBAL__N_18offset_tEEE10hipError_tPvRmT1_PNSt15iterator_traitsISY_E10value_typeET2_T3_PNSZ_IS14_E10value_typeET4_jRbjT5_S1A_jjP12ihipStream_tbEUljE_EEESV_SW_SX_S14_S18_S1A_T6_T7_T9_mT8_S1C_bDpT10_ENKUlT_T0_E_clISt17integral_constantIbLb1EES1O_IbLb0EEEEDaS1K_S1L_EUlS1K_E_NS1_11comp_targetILNS1_3genE3ELNS1_11target_archE908ELNS1_3gpuE7ELNS1_3repE0EEENS1_30default_config_static_selectorELNS0_4arch9wavefront6targetE0EEEvSY_,"axG",@progbits,_ZN7rocprim17ROCPRIM_400000_NS6detail17trampoline_kernelINS0_13select_configILj256ELj13ELNS0_17block_load_methodE3ELS4_3ELS4_3ELNS0_20block_scan_algorithmE0ELj4294967295EEENS1_25partition_config_selectorILNS1_17partition_subalgoE3EjNS0_10empty_typeEbEEZZNS1_14partition_implILS8_3ELb0ES6_jNS0_17counting_iteratorIjlEEPS9_SE_NS0_5tupleIJPjSE_EEENSF_IJSE_SE_EEES9_SG_JZNS1_25segmented_radix_sort_implINS0_14default_configELb0EPKiPiPKlPlN2at6native12_GLOBAL__N_18offset_tEEE10hipError_tPvRmT1_PNSt15iterator_traitsISY_E10value_typeET2_T3_PNSZ_IS14_E10value_typeET4_jRbjT5_S1A_jjP12ihipStream_tbEUljE_EEESV_SW_SX_S14_S18_S1A_T6_T7_T9_mT8_S1C_bDpT10_ENKUlT_T0_E_clISt17integral_constantIbLb1EES1O_IbLb0EEEEDaS1K_S1L_EUlS1K_E_NS1_11comp_targetILNS1_3genE3ELNS1_11target_archE908ELNS1_3gpuE7ELNS1_3repE0EEENS1_30default_config_static_selectorELNS0_4arch9wavefront6targetE0EEEvSY_,comdat
	.globl	_ZN7rocprim17ROCPRIM_400000_NS6detail17trampoline_kernelINS0_13select_configILj256ELj13ELNS0_17block_load_methodE3ELS4_3ELS4_3ELNS0_20block_scan_algorithmE0ELj4294967295EEENS1_25partition_config_selectorILNS1_17partition_subalgoE3EjNS0_10empty_typeEbEEZZNS1_14partition_implILS8_3ELb0ES6_jNS0_17counting_iteratorIjlEEPS9_SE_NS0_5tupleIJPjSE_EEENSF_IJSE_SE_EEES9_SG_JZNS1_25segmented_radix_sort_implINS0_14default_configELb0EPKiPiPKlPlN2at6native12_GLOBAL__N_18offset_tEEE10hipError_tPvRmT1_PNSt15iterator_traitsISY_E10value_typeET2_T3_PNSZ_IS14_E10value_typeET4_jRbjT5_S1A_jjP12ihipStream_tbEUljE_EEESV_SW_SX_S14_S18_S1A_T6_T7_T9_mT8_S1C_bDpT10_ENKUlT_T0_E_clISt17integral_constantIbLb1EES1O_IbLb0EEEEDaS1K_S1L_EUlS1K_E_NS1_11comp_targetILNS1_3genE3ELNS1_11target_archE908ELNS1_3gpuE7ELNS1_3repE0EEENS1_30default_config_static_selectorELNS0_4arch9wavefront6targetE0EEEvSY_ ; -- Begin function _ZN7rocprim17ROCPRIM_400000_NS6detail17trampoline_kernelINS0_13select_configILj256ELj13ELNS0_17block_load_methodE3ELS4_3ELS4_3ELNS0_20block_scan_algorithmE0ELj4294967295EEENS1_25partition_config_selectorILNS1_17partition_subalgoE3EjNS0_10empty_typeEbEEZZNS1_14partition_implILS8_3ELb0ES6_jNS0_17counting_iteratorIjlEEPS9_SE_NS0_5tupleIJPjSE_EEENSF_IJSE_SE_EEES9_SG_JZNS1_25segmented_radix_sort_implINS0_14default_configELb0EPKiPiPKlPlN2at6native12_GLOBAL__N_18offset_tEEE10hipError_tPvRmT1_PNSt15iterator_traitsISY_E10value_typeET2_T3_PNSZ_IS14_E10value_typeET4_jRbjT5_S1A_jjP12ihipStream_tbEUljE_EEESV_SW_SX_S14_S18_S1A_T6_T7_T9_mT8_S1C_bDpT10_ENKUlT_T0_E_clISt17integral_constantIbLb1EES1O_IbLb0EEEEDaS1K_S1L_EUlS1K_E_NS1_11comp_targetILNS1_3genE3ELNS1_11target_archE908ELNS1_3gpuE7ELNS1_3repE0EEENS1_30default_config_static_selectorELNS0_4arch9wavefront6targetE0EEEvSY_
	.p2align	8
	.type	_ZN7rocprim17ROCPRIM_400000_NS6detail17trampoline_kernelINS0_13select_configILj256ELj13ELNS0_17block_load_methodE3ELS4_3ELS4_3ELNS0_20block_scan_algorithmE0ELj4294967295EEENS1_25partition_config_selectorILNS1_17partition_subalgoE3EjNS0_10empty_typeEbEEZZNS1_14partition_implILS8_3ELb0ES6_jNS0_17counting_iteratorIjlEEPS9_SE_NS0_5tupleIJPjSE_EEENSF_IJSE_SE_EEES9_SG_JZNS1_25segmented_radix_sort_implINS0_14default_configELb0EPKiPiPKlPlN2at6native12_GLOBAL__N_18offset_tEEE10hipError_tPvRmT1_PNSt15iterator_traitsISY_E10value_typeET2_T3_PNSZ_IS14_E10value_typeET4_jRbjT5_S1A_jjP12ihipStream_tbEUljE_EEESV_SW_SX_S14_S18_S1A_T6_T7_T9_mT8_S1C_bDpT10_ENKUlT_T0_E_clISt17integral_constantIbLb1EES1O_IbLb0EEEEDaS1K_S1L_EUlS1K_E_NS1_11comp_targetILNS1_3genE3ELNS1_11target_archE908ELNS1_3gpuE7ELNS1_3repE0EEENS1_30default_config_static_selectorELNS0_4arch9wavefront6targetE0EEEvSY_,@function
_ZN7rocprim17ROCPRIM_400000_NS6detail17trampoline_kernelINS0_13select_configILj256ELj13ELNS0_17block_load_methodE3ELS4_3ELS4_3ELNS0_20block_scan_algorithmE0ELj4294967295EEENS1_25partition_config_selectorILNS1_17partition_subalgoE3EjNS0_10empty_typeEbEEZZNS1_14partition_implILS8_3ELb0ES6_jNS0_17counting_iteratorIjlEEPS9_SE_NS0_5tupleIJPjSE_EEENSF_IJSE_SE_EEES9_SG_JZNS1_25segmented_radix_sort_implINS0_14default_configELb0EPKiPiPKlPlN2at6native12_GLOBAL__N_18offset_tEEE10hipError_tPvRmT1_PNSt15iterator_traitsISY_E10value_typeET2_T3_PNSZ_IS14_E10value_typeET4_jRbjT5_S1A_jjP12ihipStream_tbEUljE_EEESV_SW_SX_S14_S18_S1A_T6_T7_T9_mT8_S1C_bDpT10_ENKUlT_T0_E_clISt17integral_constantIbLb1EES1O_IbLb0EEEEDaS1K_S1L_EUlS1K_E_NS1_11comp_targetILNS1_3genE3ELNS1_11target_archE908ELNS1_3gpuE7ELNS1_3repE0EEENS1_30default_config_static_selectorELNS0_4arch9wavefront6targetE0EEEvSY_: ; @_ZN7rocprim17ROCPRIM_400000_NS6detail17trampoline_kernelINS0_13select_configILj256ELj13ELNS0_17block_load_methodE3ELS4_3ELS4_3ELNS0_20block_scan_algorithmE0ELj4294967295EEENS1_25partition_config_selectorILNS1_17partition_subalgoE3EjNS0_10empty_typeEbEEZZNS1_14partition_implILS8_3ELb0ES6_jNS0_17counting_iteratorIjlEEPS9_SE_NS0_5tupleIJPjSE_EEENSF_IJSE_SE_EEES9_SG_JZNS1_25segmented_radix_sort_implINS0_14default_configELb0EPKiPiPKlPlN2at6native12_GLOBAL__N_18offset_tEEE10hipError_tPvRmT1_PNSt15iterator_traitsISY_E10value_typeET2_T3_PNSZ_IS14_E10value_typeET4_jRbjT5_S1A_jjP12ihipStream_tbEUljE_EEESV_SW_SX_S14_S18_S1A_T6_T7_T9_mT8_S1C_bDpT10_ENKUlT_T0_E_clISt17integral_constantIbLb1EES1O_IbLb0EEEEDaS1K_S1L_EUlS1K_E_NS1_11comp_targetILNS1_3genE3ELNS1_11target_archE908ELNS1_3gpuE7ELNS1_3repE0EEENS1_30default_config_static_selectorELNS0_4arch9wavefront6targetE0EEEvSY_
; %bb.0:
	.section	.rodata,"a",@progbits
	.p2align	6, 0x0
	.amdhsa_kernel _ZN7rocprim17ROCPRIM_400000_NS6detail17trampoline_kernelINS0_13select_configILj256ELj13ELNS0_17block_load_methodE3ELS4_3ELS4_3ELNS0_20block_scan_algorithmE0ELj4294967295EEENS1_25partition_config_selectorILNS1_17partition_subalgoE3EjNS0_10empty_typeEbEEZZNS1_14partition_implILS8_3ELb0ES6_jNS0_17counting_iteratorIjlEEPS9_SE_NS0_5tupleIJPjSE_EEENSF_IJSE_SE_EEES9_SG_JZNS1_25segmented_radix_sort_implINS0_14default_configELb0EPKiPiPKlPlN2at6native12_GLOBAL__N_18offset_tEEE10hipError_tPvRmT1_PNSt15iterator_traitsISY_E10value_typeET2_T3_PNSZ_IS14_E10value_typeET4_jRbjT5_S1A_jjP12ihipStream_tbEUljE_EEESV_SW_SX_S14_S18_S1A_T6_T7_T9_mT8_S1C_bDpT10_ENKUlT_T0_E_clISt17integral_constantIbLb1EES1O_IbLb0EEEEDaS1K_S1L_EUlS1K_E_NS1_11comp_targetILNS1_3genE3ELNS1_11target_archE908ELNS1_3gpuE7ELNS1_3repE0EEENS1_30default_config_static_selectorELNS0_4arch9wavefront6targetE0EEEvSY_
		.amdhsa_group_segment_fixed_size 0
		.amdhsa_private_segment_fixed_size 0
		.amdhsa_kernarg_size 144
		.amdhsa_user_sgpr_count 15
		.amdhsa_user_sgpr_dispatch_ptr 0
		.amdhsa_user_sgpr_queue_ptr 0
		.amdhsa_user_sgpr_kernarg_segment_ptr 1
		.amdhsa_user_sgpr_dispatch_id 0
		.amdhsa_user_sgpr_private_segment_size 0
		.amdhsa_wavefront_size32 1
		.amdhsa_uses_dynamic_stack 0
		.amdhsa_enable_private_segment 0
		.amdhsa_system_sgpr_workgroup_id_x 1
		.amdhsa_system_sgpr_workgroup_id_y 0
		.amdhsa_system_sgpr_workgroup_id_z 0
		.amdhsa_system_sgpr_workgroup_info 0
		.amdhsa_system_vgpr_workitem_id 0
		.amdhsa_next_free_vgpr 1
		.amdhsa_next_free_sgpr 1
		.amdhsa_reserve_vcc 0
		.amdhsa_float_round_mode_32 0
		.amdhsa_float_round_mode_16_64 0
		.amdhsa_float_denorm_mode_32 3
		.amdhsa_float_denorm_mode_16_64 3
		.amdhsa_dx10_clamp 1
		.amdhsa_ieee_mode 1
		.amdhsa_fp16_overflow 0
		.amdhsa_workgroup_processor_mode 1
		.amdhsa_memory_ordered 1
		.amdhsa_forward_progress 0
		.amdhsa_shared_vgpr_count 0
		.amdhsa_exception_fp_ieee_invalid_op 0
		.amdhsa_exception_fp_denorm_src 0
		.amdhsa_exception_fp_ieee_div_zero 0
		.amdhsa_exception_fp_ieee_overflow 0
		.amdhsa_exception_fp_ieee_underflow 0
		.amdhsa_exception_fp_ieee_inexact 0
		.amdhsa_exception_int_div_zero 0
	.end_amdhsa_kernel
	.section	.text._ZN7rocprim17ROCPRIM_400000_NS6detail17trampoline_kernelINS0_13select_configILj256ELj13ELNS0_17block_load_methodE3ELS4_3ELS4_3ELNS0_20block_scan_algorithmE0ELj4294967295EEENS1_25partition_config_selectorILNS1_17partition_subalgoE3EjNS0_10empty_typeEbEEZZNS1_14partition_implILS8_3ELb0ES6_jNS0_17counting_iteratorIjlEEPS9_SE_NS0_5tupleIJPjSE_EEENSF_IJSE_SE_EEES9_SG_JZNS1_25segmented_radix_sort_implINS0_14default_configELb0EPKiPiPKlPlN2at6native12_GLOBAL__N_18offset_tEEE10hipError_tPvRmT1_PNSt15iterator_traitsISY_E10value_typeET2_T3_PNSZ_IS14_E10value_typeET4_jRbjT5_S1A_jjP12ihipStream_tbEUljE_EEESV_SW_SX_S14_S18_S1A_T6_T7_T9_mT8_S1C_bDpT10_ENKUlT_T0_E_clISt17integral_constantIbLb1EES1O_IbLb0EEEEDaS1K_S1L_EUlS1K_E_NS1_11comp_targetILNS1_3genE3ELNS1_11target_archE908ELNS1_3gpuE7ELNS1_3repE0EEENS1_30default_config_static_selectorELNS0_4arch9wavefront6targetE0EEEvSY_,"axG",@progbits,_ZN7rocprim17ROCPRIM_400000_NS6detail17trampoline_kernelINS0_13select_configILj256ELj13ELNS0_17block_load_methodE3ELS4_3ELS4_3ELNS0_20block_scan_algorithmE0ELj4294967295EEENS1_25partition_config_selectorILNS1_17partition_subalgoE3EjNS0_10empty_typeEbEEZZNS1_14partition_implILS8_3ELb0ES6_jNS0_17counting_iteratorIjlEEPS9_SE_NS0_5tupleIJPjSE_EEENSF_IJSE_SE_EEES9_SG_JZNS1_25segmented_radix_sort_implINS0_14default_configELb0EPKiPiPKlPlN2at6native12_GLOBAL__N_18offset_tEEE10hipError_tPvRmT1_PNSt15iterator_traitsISY_E10value_typeET2_T3_PNSZ_IS14_E10value_typeET4_jRbjT5_S1A_jjP12ihipStream_tbEUljE_EEESV_SW_SX_S14_S18_S1A_T6_T7_T9_mT8_S1C_bDpT10_ENKUlT_T0_E_clISt17integral_constantIbLb1EES1O_IbLb0EEEEDaS1K_S1L_EUlS1K_E_NS1_11comp_targetILNS1_3genE3ELNS1_11target_archE908ELNS1_3gpuE7ELNS1_3repE0EEENS1_30default_config_static_selectorELNS0_4arch9wavefront6targetE0EEEvSY_,comdat
.Lfunc_end587:
	.size	_ZN7rocprim17ROCPRIM_400000_NS6detail17trampoline_kernelINS0_13select_configILj256ELj13ELNS0_17block_load_methodE3ELS4_3ELS4_3ELNS0_20block_scan_algorithmE0ELj4294967295EEENS1_25partition_config_selectorILNS1_17partition_subalgoE3EjNS0_10empty_typeEbEEZZNS1_14partition_implILS8_3ELb0ES6_jNS0_17counting_iteratorIjlEEPS9_SE_NS0_5tupleIJPjSE_EEENSF_IJSE_SE_EEES9_SG_JZNS1_25segmented_radix_sort_implINS0_14default_configELb0EPKiPiPKlPlN2at6native12_GLOBAL__N_18offset_tEEE10hipError_tPvRmT1_PNSt15iterator_traitsISY_E10value_typeET2_T3_PNSZ_IS14_E10value_typeET4_jRbjT5_S1A_jjP12ihipStream_tbEUljE_EEESV_SW_SX_S14_S18_S1A_T6_T7_T9_mT8_S1C_bDpT10_ENKUlT_T0_E_clISt17integral_constantIbLb1EES1O_IbLb0EEEEDaS1K_S1L_EUlS1K_E_NS1_11comp_targetILNS1_3genE3ELNS1_11target_archE908ELNS1_3gpuE7ELNS1_3repE0EEENS1_30default_config_static_selectorELNS0_4arch9wavefront6targetE0EEEvSY_, .Lfunc_end587-_ZN7rocprim17ROCPRIM_400000_NS6detail17trampoline_kernelINS0_13select_configILj256ELj13ELNS0_17block_load_methodE3ELS4_3ELS4_3ELNS0_20block_scan_algorithmE0ELj4294967295EEENS1_25partition_config_selectorILNS1_17partition_subalgoE3EjNS0_10empty_typeEbEEZZNS1_14partition_implILS8_3ELb0ES6_jNS0_17counting_iteratorIjlEEPS9_SE_NS0_5tupleIJPjSE_EEENSF_IJSE_SE_EEES9_SG_JZNS1_25segmented_radix_sort_implINS0_14default_configELb0EPKiPiPKlPlN2at6native12_GLOBAL__N_18offset_tEEE10hipError_tPvRmT1_PNSt15iterator_traitsISY_E10value_typeET2_T3_PNSZ_IS14_E10value_typeET4_jRbjT5_S1A_jjP12ihipStream_tbEUljE_EEESV_SW_SX_S14_S18_S1A_T6_T7_T9_mT8_S1C_bDpT10_ENKUlT_T0_E_clISt17integral_constantIbLb1EES1O_IbLb0EEEEDaS1K_S1L_EUlS1K_E_NS1_11comp_targetILNS1_3genE3ELNS1_11target_archE908ELNS1_3gpuE7ELNS1_3repE0EEENS1_30default_config_static_selectorELNS0_4arch9wavefront6targetE0EEEvSY_
                                        ; -- End function
	.section	.AMDGPU.csdata,"",@progbits
; Kernel info:
; codeLenInByte = 0
; NumSgprs: 0
; NumVgprs: 0
; ScratchSize: 0
; MemoryBound: 0
; FloatMode: 240
; IeeeMode: 1
; LDSByteSize: 0 bytes/workgroup (compile time only)
; SGPRBlocks: 0
; VGPRBlocks: 0
; NumSGPRsForWavesPerEU: 1
; NumVGPRsForWavesPerEU: 1
; Occupancy: 16
; WaveLimiterHint : 0
; COMPUTE_PGM_RSRC2:SCRATCH_EN: 0
; COMPUTE_PGM_RSRC2:USER_SGPR: 15
; COMPUTE_PGM_RSRC2:TRAP_HANDLER: 0
; COMPUTE_PGM_RSRC2:TGID_X_EN: 1
; COMPUTE_PGM_RSRC2:TGID_Y_EN: 0
; COMPUTE_PGM_RSRC2:TGID_Z_EN: 0
; COMPUTE_PGM_RSRC2:TIDIG_COMP_CNT: 0
	.section	.text._ZN7rocprim17ROCPRIM_400000_NS6detail17trampoline_kernelINS0_13select_configILj256ELj13ELNS0_17block_load_methodE3ELS4_3ELS4_3ELNS0_20block_scan_algorithmE0ELj4294967295EEENS1_25partition_config_selectorILNS1_17partition_subalgoE3EjNS0_10empty_typeEbEEZZNS1_14partition_implILS8_3ELb0ES6_jNS0_17counting_iteratorIjlEEPS9_SE_NS0_5tupleIJPjSE_EEENSF_IJSE_SE_EEES9_SG_JZNS1_25segmented_radix_sort_implINS0_14default_configELb0EPKiPiPKlPlN2at6native12_GLOBAL__N_18offset_tEEE10hipError_tPvRmT1_PNSt15iterator_traitsISY_E10value_typeET2_T3_PNSZ_IS14_E10value_typeET4_jRbjT5_S1A_jjP12ihipStream_tbEUljE_EEESV_SW_SX_S14_S18_S1A_T6_T7_T9_mT8_S1C_bDpT10_ENKUlT_T0_E_clISt17integral_constantIbLb1EES1O_IbLb0EEEEDaS1K_S1L_EUlS1K_E_NS1_11comp_targetILNS1_3genE2ELNS1_11target_archE906ELNS1_3gpuE6ELNS1_3repE0EEENS1_30default_config_static_selectorELNS0_4arch9wavefront6targetE0EEEvSY_,"axG",@progbits,_ZN7rocprim17ROCPRIM_400000_NS6detail17trampoline_kernelINS0_13select_configILj256ELj13ELNS0_17block_load_methodE3ELS4_3ELS4_3ELNS0_20block_scan_algorithmE0ELj4294967295EEENS1_25partition_config_selectorILNS1_17partition_subalgoE3EjNS0_10empty_typeEbEEZZNS1_14partition_implILS8_3ELb0ES6_jNS0_17counting_iteratorIjlEEPS9_SE_NS0_5tupleIJPjSE_EEENSF_IJSE_SE_EEES9_SG_JZNS1_25segmented_radix_sort_implINS0_14default_configELb0EPKiPiPKlPlN2at6native12_GLOBAL__N_18offset_tEEE10hipError_tPvRmT1_PNSt15iterator_traitsISY_E10value_typeET2_T3_PNSZ_IS14_E10value_typeET4_jRbjT5_S1A_jjP12ihipStream_tbEUljE_EEESV_SW_SX_S14_S18_S1A_T6_T7_T9_mT8_S1C_bDpT10_ENKUlT_T0_E_clISt17integral_constantIbLb1EES1O_IbLb0EEEEDaS1K_S1L_EUlS1K_E_NS1_11comp_targetILNS1_3genE2ELNS1_11target_archE906ELNS1_3gpuE6ELNS1_3repE0EEENS1_30default_config_static_selectorELNS0_4arch9wavefront6targetE0EEEvSY_,comdat
	.globl	_ZN7rocprim17ROCPRIM_400000_NS6detail17trampoline_kernelINS0_13select_configILj256ELj13ELNS0_17block_load_methodE3ELS4_3ELS4_3ELNS0_20block_scan_algorithmE0ELj4294967295EEENS1_25partition_config_selectorILNS1_17partition_subalgoE3EjNS0_10empty_typeEbEEZZNS1_14partition_implILS8_3ELb0ES6_jNS0_17counting_iteratorIjlEEPS9_SE_NS0_5tupleIJPjSE_EEENSF_IJSE_SE_EEES9_SG_JZNS1_25segmented_radix_sort_implINS0_14default_configELb0EPKiPiPKlPlN2at6native12_GLOBAL__N_18offset_tEEE10hipError_tPvRmT1_PNSt15iterator_traitsISY_E10value_typeET2_T3_PNSZ_IS14_E10value_typeET4_jRbjT5_S1A_jjP12ihipStream_tbEUljE_EEESV_SW_SX_S14_S18_S1A_T6_T7_T9_mT8_S1C_bDpT10_ENKUlT_T0_E_clISt17integral_constantIbLb1EES1O_IbLb0EEEEDaS1K_S1L_EUlS1K_E_NS1_11comp_targetILNS1_3genE2ELNS1_11target_archE906ELNS1_3gpuE6ELNS1_3repE0EEENS1_30default_config_static_selectorELNS0_4arch9wavefront6targetE0EEEvSY_ ; -- Begin function _ZN7rocprim17ROCPRIM_400000_NS6detail17trampoline_kernelINS0_13select_configILj256ELj13ELNS0_17block_load_methodE3ELS4_3ELS4_3ELNS0_20block_scan_algorithmE0ELj4294967295EEENS1_25partition_config_selectorILNS1_17partition_subalgoE3EjNS0_10empty_typeEbEEZZNS1_14partition_implILS8_3ELb0ES6_jNS0_17counting_iteratorIjlEEPS9_SE_NS0_5tupleIJPjSE_EEENSF_IJSE_SE_EEES9_SG_JZNS1_25segmented_radix_sort_implINS0_14default_configELb0EPKiPiPKlPlN2at6native12_GLOBAL__N_18offset_tEEE10hipError_tPvRmT1_PNSt15iterator_traitsISY_E10value_typeET2_T3_PNSZ_IS14_E10value_typeET4_jRbjT5_S1A_jjP12ihipStream_tbEUljE_EEESV_SW_SX_S14_S18_S1A_T6_T7_T9_mT8_S1C_bDpT10_ENKUlT_T0_E_clISt17integral_constantIbLb1EES1O_IbLb0EEEEDaS1K_S1L_EUlS1K_E_NS1_11comp_targetILNS1_3genE2ELNS1_11target_archE906ELNS1_3gpuE6ELNS1_3repE0EEENS1_30default_config_static_selectorELNS0_4arch9wavefront6targetE0EEEvSY_
	.p2align	8
	.type	_ZN7rocprim17ROCPRIM_400000_NS6detail17trampoline_kernelINS0_13select_configILj256ELj13ELNS0_17block_load_methodE3ELS4_3ELS4_3ELNS0_20block_scan_algorithmE0ELj4294967295EEENS1_25partition_config_selectorILNS1_17partition_subalgoE3EjNS0_10empty_typeEbEEZZNS1_14partition_implILS8_3ELb0ES6_jNS0_17counting_iteratorIjlEEPS9_SE_NS0_5tupleIJPjSE_EEENSF_IJSE_SE_EEES9_SG_JZNS1_25segmented_radix_sort_implINS0_14default_configELb0EPKiPiPKlPlN2at6native12_GLOBAL__N_18offset_tEEE10hipError_tPvRmT1_PNSt15iterator_traitsISY_E10value_typeET2_T3_PNSZ_IS14_E10value_typeET4_jRbjT5_S1A_jjP12ihipStream_tbEUljE_EEESV_SW_SX_S14_S18_S1A_T6_T7_T9_mT8_S1C_bDpT10_ENKUlT_T0_E_clISt17integral_constantIbLb1EES1O_IbLb0EEEEDaS1K_S1L_EUlS1K_E_NS1_11comp_targetILNS1_3genE2ELNS1_11target_archE906ELNS1_3gpuE6ELNS1_3repE0EEENS1_30default_config_static_selectorELNS0_4arch9wavefront6targetE0EEEvSY_,@function
_ZN7rocprim17ROCPRIM_400000_NS6detail17trampoline_kernelINS0_13select_configILj256ELj13ELNS0_17block_load_methodE3ELS4_3ELS4_3ELNS0_20block_scan_algorithmE0ELj4294967295EEENS1_25partition_config_selectorILNS1_17partition_subalgoE3EjNS0_10empty_typeEbEEZZNS1_14partition_implILS8_3ELb0ES6_jNS0_17counting_iteratorIjlEEPS9_SE_NS0_5tupleIJPjSE_EEENSF_IJSE_SE_EEES9_SG_JZNS1_25segmented_radix_sort_implINS0_14default_configELb0EPKiPiPKlPlN2at6native12_GLOBAL__N_18offset_tEEE10hipError_tPvRmT1_PNSt15iterator_traitsISY_E10value_typeET2_T3_PNSZ_IS14_E10value_typeET4_jRbjT5_S1A_jjP12ihipStream_tbEUljE_EEESV_SW_SX_S14_S18_S1A_T6_T7_T9_mT8_S1C_bDpT10_ENKUlT_T0_E_clISt17integral_constantIbLb1EES1O_IbLb0EEEEDaS1K_S1L_EUlS1K_E_NS1_11comp_targetILNS1_3genE2ELNS1_11target_archE906ELNS1_3gpuE6ELNS1_3repE0EEENS1_30default_config_static_selectorELNS0_4arch9wavefront6targetE0EEEvSY_: ; @_ZN7rocprim17ROCPRIM_400000_NS6detail17trampoline_kernelINS0_13select_configILj256ELj13ELNS0_17block_load_methodE3ELS4_3ELS4_3ELNS0_20block_scan_algorithmE0ELj4294967295EEENS1_25partition_config_selectorILNS1_17partition_subalgoE3EjNS0_10empty_typeEbEEZZNS1_14partition_implILS8_3ELb0ES6_jNS0_17counting_iteratorIjlEEPS9_SE_NS0_5tupleIJPjSE_EEENSF_IJSE_SE_EEES9_SG_JZNS1_25segmented_radix_sort_implINS0_14default_configELb0EPKiPiPKlPlN2at6native12_GLOBAL__N_18offset_tEEE10hipError_tPvRmT1_PNSt15iterator_traitsISY_E10value_typeET2_T3_PNSZ_IS14_E10value_typeET4_jRbjT5_S1A_jjP12ihipStream_tbEUljE_EEESV_SW_SX_S14_S18_S1A_T6_T7_T9_mT8_S1C_bDpT10_ENKUlT_T0_E_clISt17integral_constantIbLb1EES1O_IbLb0EEEEDaS1K_S1L_EUlS1K_E_NS1_11comp_targetILNS1_3genE2ELNS1_11target_archE906ELNS1_3gpuE6ELNS1_3repE0EEENS1_30default_config_static_selectorELNS0_4arch9wavefront6targetE0EEEvSY_
; %bb.0:
	.section	.rodata,"a",@progbits
	.p2align	6, 0x0
	.amdhsa_kernel _ZN7rocprim17ROCPRIM_400000_NS6detail17trampoline_kernelINS0_13select_configILj256ELj13ELNS0_17block_load_methodE3ELS4_3ELS4_3ELNS0_20block_scan_algorithmE0ELj4294967295EEENS1_25partition_config_selectorILNS1_17partition_subalgoE3EjNS0_10empty_typeEbEEZZNS1_14partition_implILS8_3ELb0ES6_jNS0_17counting_iteratorIjlEEPS9_SE_NS0_5tupleIJPjSE_EEENSF_IJSE_SE_EEES9_SG_JZNS1_25segmented_radix_sort_implINS0_14default_configELb0EPKiPiPKlPlN2at6native12_GLOBAL__N_18offset_tEEE10hipError_tPvRmT1_PNSt15iterator_traitsISY_E10value_typeET2_T3_PNSZ_IS14_E10value_typeET4_jRbjT5_S1A_jjP12ihipStream_tbEUljE_EEESV_SW_SX_S14_S18_S1A_T6_T7_T9_mT8_S1C_bDpT10_ENKUlT_T0_E_clISt17integral_constantIbLb1EES1O_IbLb0EEEEDaS1K_S1L_EUlS1K_E_NS1_11comp_targetILNS1_3genE2ELNS1_11target_archE906ELNS1_3gpuE6ELNS1_3repE0EEENS1_30default_config_static_selectorELNS0_4arch9wavefront6targetE0EEEvSY_
		.amdhsa_group_segment_fixed_size 0
		.amdhsa_private_segment_fixed_size 0
		.amdhsa_kernarg_size 144
		.amdhsa_user_sgpr_count 15
		.amdhsa_user_sgpr_dispatch_ptr 0
		.amdhsa_user_sgpr_queue_ptr 0
		.amdhsa_user_sgpr_kernarg_segment_ptr 1
		.amdhsa_user_sgpr_dispatch_id 0
		.amdhsa_user_sgpr_private_segment_size 0
		.amdhsa_wavefront_size32 1
		.amdhsa_uses_dynamic_stack 0
		.amdhsa_enable_private_segment 0
		.amdhsa_system_sgpr_workgroup_id_x 1
		.amdhsa_system_sgpr_workgroup_id_y 0
		.amdhsa_system_sgpr_workgroup_id_z 0
		.amdhsa_system_sgpr_workgroup_info 0
		.amdhsa_system_vgpr_workitem_id 0
		.amdhsa_next_free_vgpr 1
		.amdhsa_next_free_sgpr 1
		.amdhsa_reserve_vcc 0
		.amdhsa_float_round_mode_32 0
		.amdhsa_float_round_mode_16_64 0
		.amdhsa_float_denorm_mode_32 3
		.amdhsa_float_denorm_mode_16_64 3
		.amdhsa_dx10_clamp 1
		.amdhsa_ieee_mode 1
		.amdhsa_fp16_overflow 0
		.amdhsa_workgroup_processor_mode 1
		.amdhsa_memory_ordered 1
		.amdhsa_forward_progress 0
		.amdhsa_shared_vgpr_count 0
		.amdhsa_exception_fp_ieee_invalid_op 0
		.amdhsa_exception_fp_denorm_src 0
		.amdhsa_exception_fp_ieee_div_zero 0
		.amdhsa_exception_fp_ieee_overflow 0
		.amdhsa_exception_fp_ieee_underflow 0
		.amdhsa_exception_fp_ieee_inexact 0
		.amdhsa_exception_int_div_zero 0
	.end_amdhsa_kernel
	.section	.text._ZN7rocprim17ROCPRIM_400000_NS6detail17trampoline_kernelINS0_13select_configILj256ELj13ELNS0_17block_load_methodE3ELS4_3ELS4_3ELNS0_20block_scan_algorithmE0ELj4294967295EEENS1_25partition_config_selectorILNS1_17partition_subalgoE3EjNS0_10empty_typeEbEEZZNS1_14partition_implILS8_3ELb0ES6_jNS0_17counting_iteratorIjlEEPS9_SE_NS0_5tupleIJPjSE_EEENSF_IJSE_SE_EEES9_SG_JZNS1_25segmented_radix_sort_implINS0_14default_configELb0EPKiPiPKlPlN2at6native12_GLOBAL__N_18offset_tEEE10hipError_tPvRmT1_PNSt15iterator_traitsISY_E10value_typeET2_T3_PNSZ_IS14_E10value_typeET4_jRbjT5_S1A_jjP12ihipStream_tbEUljE_EEESV_SW_SX_S14_S18_S1A_T6_T7_T9_mT8_S1C_bDpT10_ENKUlT_T0_E_clISt17integral_constantIbLb1EES1O_IbLb0EEEEDaS1K_S1L_EUlS1K_E_NS1_11comp_targetILNS1_3genE2ELNS1_11target_archE906ELNS1_3gpuE6ELNS1_3repE0EEENS1_30default_config_static_selectorELNS0_4arch9wavefront6targetE0EEEvSY_,"axG",@progbits,_ZN7rocprim17ROCPRIM_400000_NS6detail17trampoline_kernelINS0_13select_configILj256ELj13ELNS0_17block_load_methodE3ELS4_3ELS4_3ELNS0_20block_scan_algorithmE0ELj4294967295EEENS1_25partition_config_selectorILNS1_17partition_subalgoE3EjNS0_10empty_typeEbEEZZNS1_14partition_implILS8_3ELb0ES6_jNS0_17counting_iteratorIjlEEPS9_SE_NS0_5tupleIJPjSE_EEENSF_IJSE_SE_EEES9_SG_JZNS1_25segmented_radix_sort_implINS0_14default_configELb0EPKiPiPKlPlN2at6native12_GLOBAL__N_18offset_tEEE10hipError_tPvRmT1_PNSt15iterator_traitsISY_E10value_typeET2_T3_PNSZ_IS14_E10value_typeET4_jRbjT5_S1A_jjP12ihipStream_tbEUljE_EEESV_SW_SX_S14_S18_S1A_T6_T7_T9_mT8_S1C_bDpT10_ENKUlT_T0_E_clISt17integral_constantIbLb1EES1O_IbLb0EEEEDaS1K_S1L_EUlS1K_E_NS1_11comp_targetILNS1_3genE2ELNS1_11target_archE906ELNS1_3gpuE6ELNS1_3repE0EEENS1_30default_config_static_selectorELNS0_4arch9wavefront6targetE0EEEvSY_,comdat
.Lfunc_end588:
	.size	_ZN7rocprim17ROCPRIM_400000_NS6detail17trampoline_kernelINS0_13select_configILj256ELj13ELNS0_17block_load_methodE3ELS4_3ELS4_3ELNS0_20block_scan_algorithmE0ELj4294967295EEENS1_25partition_config_selectorILNS1_17partition_subalgoE3EjNS0_10empty_typeEbEEZZNS1_14partition_implILS8_3ELb0ES6_jNS0_17counting_iteratorIjlEEPS9_SE_NS0_5tupleIJPjSE_EEENSF_IJSE_SE_EEES9_SG_JZNS1_25segmented_radix_sort_implINS0_14default_configELb0EPKiPiPKlPlN2at6native12_GLOBAL__N_18offset_tEEE10hipError_tPvRmT1_PNSt15iterator_traitsISY_E10value_typeET2_T3_PNSZ_IS14_E10value_typeET4_jRbjT5_S1A_jjP12ihipStream_tbEUljE_EEESV_SW_SX_S14_S18_S1A_T6_T7_T9_mT8_S1C_bDpT10_ENKUlT_T0_E_clISt17integral_constantIbLb1EES1O_IbLb0EEEEDaS1K_S1L_EUlS1K_E_NS1_11comp_targetILNS1_3genE2ELNS1_11target_archE906ELNS1_3gpuE6ELNS1_3repE0EEENS1_30default_config_static_selectorELNS0_4arch9wavefront6targetE0EEEvSY_, .Lfunc_end588-_ZN7rocprim17ROCPRIM_400000_NS6detail17trampoline_kernelINS0_13select_configILj256ELj13ELNS0_17block_load_methodE3ELS4_3ELS4_3ELNS0_20block_scan_algorithmE0ELj4294967295EEENS1_25partition_config_selectorILNS1_17partition_subalgoE3EjNS0_10empty_typeEbEEZZNS1_14partition_implILS8_3ELb0ES6_jNS0_17counting_iteratorIjlEEPS9_SE_NS0_5tupleIJPjSE_EEENSF_IJSE_SE_EEES9_SG_JZNS1_25segmented_radix_sort_implINS0_14default_configELb0EPKiPiPKlPlN2at6native12_GLOBAL__N_18offset_tEEE10hipError_tPvRmT1_PNSt15iterator_traitsISY_E10value_typeET2_T3_PNSZ_IS14_E10value_typeET4_jRbjT5_S1A_jjP12ihipStream_tbEUljE_EEESV_SW_SX_S14_S18_S1A_T6_T7_T9_mT8_S1C_bDpT10_ENKUlT_T0_E_clISt17integral_constantIbLb1EES1O_IbLb0EEEEDaS1K_S1L_EUlS1K_E_NS1_11comp_targetILNS1_3genE2ELNS1_11target_archE906ELNS1_3gpuE6ELNS1_3repE0EEENS1_30default_config_static_selectorELNS0_4arch9wavefront6targetE0EEEvSY_
                                        ; -- End function
	.section	.AMDGPU.csdata,"",@progbits
; Kernel info:
; codeLenInByte = 0
; NumSgprs: 0
; NumVgprs: 0
; ScratchSize: 0
; MemoryBound: 0
; FloatMode: 240
; IeeeMode: 1
; LDSByteSize: 0 bytes/workgroup (compile time only)
; SGPRBlocks: 0
; VGPRBlocks: 0
; NumSGPRsForWavesPerEU: 1
; NumVGPRsForWavesPerEU: 1
; Occupancy: 16
; WaveLimiterHint : 0
; COMPUTE_PGM_RSRC2:SCRATCH_EN: 0
; COMPUTE_PGM_RSRC2:USER_SGPR: 15
; COMPUTE_PGM_RSRC2:TRAP_HANDLER: 0
; COMPUTE_PGM_RSRC2:TGID_X_EN: 1
; COMPUTE_PGM_RSRC2:TGID_Y_EN: 0
; COMPUTE_PGM_RSRC2:TGID_Z_EN: 0
; COMPUTE_PGM_RSRC2:TIDIG_COMP_CNT: 0
	.section	.text._ZN7rocprim17ROCPRIM_400000_NS6detail17trampoline_kernelINS0_13select_configILj256ELj13ELNS0_17block_load_methodE3ELS4_3ELS4_3ELNS0_20block_scan_algorithmE0ELj4294967295EEENS1_25partition_config_selectorILNS1_17partition_subalgoE3EjNS0_10empty_typeEbEEZZNS1_14partition_implILS8_3ELb0ES6_jNS0_17counting_iteratorIjlEEPS9_SE_NS0_5tupleIJPjSE_EEENSF_IJSE_SE_EEES9_SG_JZNS1_25segmented_radix_sort_implINS0_14default_configELb0EPKiPiPKlPlN2at6native12_GLOBAL__N_18offset_tEEE10hipError_tPvRmT1_PNSt15iterator_traitsISY_E10value_typeET2_T3_PNSZ_IS14_E10value_typeET4_jRbjT5_S1A_jjP12ihipStream_tbEUljE_EEESV_SW_SX_S14_S18_S1A_T6_T7_T9_mT8_S1C_bDpT10_ENKUlT_T0_E_clISt17integral_constantIbLb1EES1O_IbLb0EEEEDaS1K_S1L_EUlS1K_E_NS1_11comp_targetILNS1_3genE10ELNS1_11target_archE1200ELNS1_3gpuE4ELNS1_3repE0EEENS1_30default_config_static_selectorELNS0_4arch9wavefront6targetE0EEEvSY_,"axG",@progbits,_ZN7rocprim17ROCPRIM_400000_NS6detail17trampoline_kernelINS0_13select_configILj256ELj13ELNS0_17block_load_methodE3ELS4_3ELS4_3ELNS0_20block_scan_algorithmE0ELj4294967295EEENS1_25partition_config_selectorILNS1_17partition_subalgoE3EjNS0_10empty_typeEbEEZZNS1_14partition_implILS8_3ELb0ES6_jNS0_17counting_iteratorIjlEEPS9_SE_NS0_5tupleIJPjSE_EEENSF_IJSE_SE_EEES9_SG_JZNS1_25segmented_radix_sort_implINS0_14default_configELb0EPKiPiPKlPlN2at6native12_GLOBAL__N_18offset_tEEE10hipError_tPvRmT1_PNSt15iterator_traitsISY_E10value_typeET2_T3_PNSZ_IS14_E10value_typeET4_jRbjT5_S1A_jjP12ihipStream_tbEUljE_EEESV_SW_SX_S14_S18_S1A_T6_T7_T9_mT8_S1C_bDpT10_ENKUlT_T0_E_clISt17integral_constantIbLb1EES1O_IbLb0EEEEDaS1K_S1L_EUlS1K_E_NS1_11comp_targetILNS1_3genE10ELNS1_11target_archE1200ELNS1_3gpuE4ELNS1_3repE0EEENS1_30default_config_static_selectorELNS0_4arch9wavefront6targetE0EEEvSY_,comdat
	.globl	_ZN7rocprim17ROCPRIM_400000_NS6detail17trampoline_kernelINS0_13select_configILj256ELj13ELNS0_17block_load_methodE3ELS4_3ELS4_3ELNS0_20block_scan_algorithmE0ELj4294967295EEENS1_25partition_config_selectorILNS1_17partition_subalgoE3EjNS0_10empty_typeEbEEZZNS1_14partition_implILS8_3ELb0ES6_jNS0_17counting_iteratorIjlEEPS9_SE_NS0_5tupleIJPjSE_EEENSF_IJSE_SE_EEES9_SG_JZNS1_25segmented_radix_sort_implINS0_14default_configELb0EPKiPiPKlPlN2at6native12_GLOBAL__N_18offset_tEEE10hipError_tPvRmT1_PNSt15iterator_traitsISY_E10value_typeET2_T3_PNSZ_IS14_E10value_typeET4_jRbjT5_S1A_jjP12ihipStream_tbEUljE_EEESV_SW_SX_S14_S18_S1A_T6_T7_T9_mT8_S1C_bDpT10_ENKUlT_T0_E_clISt17integral_constantIbLb1EES1O_IbLb0EEEEDaS1K_S1L_EUlS1K_E_NS1_11comp_targetILNS1_3genE10ELNS1_11target_archE1200ELNS1_3gpuE4ELNS1_3repE0EEENS1_30default_config_static_selectorELNS0_4arch9wavefront6targetE0EEEvSY_ ; -- Begin function _ZN7rocprim17ROCPRIM_400000_NS6detail17trampoline_kernelINS0_13select_configILj256ELj13ELNS0_17block_load_methodE3ELS4_3ELS4_3ELNS0_20block_scan_algorithmE0ELj4294967295EEENS1_25partition_config_selectorILNS1_17partition_subalgoE3EjNS0_10empty_typeEbEEZZNS1_14partition_implILS8_3ELb0ES6_jNS0_17counting_iteratorIjlEEPS9_SE_NS0_5tupleIJPjSE_EEENSF_IJSE_SE_EEES9_SG_JZNS1_25segmented_radix_sort_implINS0_14default_configELb0EPKiPiPKlPlN2at6native12_GLOBAL__N_18offset_tEEE10hipError_tPvRmT1_PNSt15iterator_traitsISY_E10value_typeET2_T3_PNSZ_IS14_E10value_typeET4_jRbjT5_S1A_jjP12ihipStream_tbEUljE_EEESV_SW_SX_S14_S18_S1A_T6_T7_T9_mT8_S1C_bDpT10_ENKUlT_T0_E_clISt17integral_constantIbLb1EES1O_IbLb0EEEEDaS1K_S1L_EUlS1K_E_NS1_11comp_targetILNS1_3genE10ELNS1_11target_archE1200ELNS1_3gpuE4ELNS1_3repE0EEENS1_30default_config_static_selectorELNS0_4arch9wavefront6targetE0EEEvSY_
	.p2align	8
	.type	_ZN7rocprim17ROCPRIM_400000_NS6detail17trampoline_kernelINS0_13select_configILj256ELj13ELNS0_17block_load_methodE3ELS4_3ELS4_3ELNS0_20block_scan_algorithmE0ELj4294967295EEENS1_25partition_config_selectorILNS1_17partition_subalgoE3EjNS0_10empty_typeEbEEZZNS1_14partition_implILS8_3ELb0ES6_jNS0_17counting_iteratorIjlEEPS9_SE_NS0_5tupleIJPjSE_EEENSF_IJSE_SE_EEES9_SG_JZNS1_25segmented_radix_sort_implINS0_14default_configELb0EPKiPiPKlPlN2at6native12_GLOBAL__N_18offset_tEEE10hipError_tPvRmT1_PNSt15iterator_traitsISY_E10value_typeET2_T3_PNSZ_IS14_E10value_typeET4_jRbjT5_S1A_jjP12ihipStream_tbEUljE_EEESV_SW_SX_S14_S18_S1A_T6_T7_T9_mT8_S1C_bDpT10_ENKUlT_T0_E_clISt17integral_constantIbLb1EES1O_IbLb0EEEEDaS1K_S1L_EUlS1K_E_NS1_11comp_targetILNS1_3genE10ELNS1_11target_archE1200ELNS1_3gpuE4ELNS1_3repE0EEENS1_30default_config_static_selectorELNS0_4arch9wavefront6targetE0EEEvSY_,@function
_ZN7rocprim17ROCPRIM_400000_NS6detail17trampoline_kernelINS0_13select_configILj256ELj13ELNS0_17block_load_methodE3ELS4_3ELS4_3ELNS0_20block_scan_algorithmE0ELj4294967295EEENS1_25partition_config_selectorILNS1_17partition_subalgoE3EjNS0_10empty_typeEbEEZZNS1_14partition_implILS8_3ELb0ES6_jNS0_17counting_iteratorIjlEEPS9_SE_NS0_5tupleIJPjSE_EEENSF_IJSE_SE_EEES9_SG_JZNS1_25segmented_radix_sort_implINS0_14default_configELb0EPKiPiPKlPlN2at6native12_GLOBAL__N_18offset_tEEE10hipError_tPvRmT1_PNSt15iterator_traitsISY_E10value_typeET2_T3_PNSZ_IS14_E10value_typeET4_jRbjT5_S1A_jjP12ihipStream_tbEUljE_EEESV_SW_SX_S14_S18_S1A_T6_T7_T9_mT8_S1C_bDpT10_ENKUlT_T0_E_clISt17integral_constantIbLb1EES1O_IbLb0EEEEDaS1K_S1L_EUlS1K_E_NS1_11comp_targetILNS1_3genE10ELNS1_11target_archE1200ELNS1_3gpuE4ELNS1_3repE0EEENS1_30default_config_static_selectorELNS0_4arch9wavefront6targetE0EEEvSY_: ; @_ZN7rocprim17ROCPRIM_400000_NS6detail17trampoline_kernelINS0_13select_configILj256ELj13ELNS0_17block_load_methodE3ELS4_3ELS4_3ELNS0_20block_scan_algorithmE0ELj4294967295EEENS1_25partition_config_selectorILNS1_17partition_subalgoE3EjNS0_10empty_typeEbEEZZNS1_14partition_implILS8_3ELb0ES6_jNS0_17counting_iteratorIjlEEPS9_SE_NS0_5tupleIJPjSE_EEENSF_IJSE_SE_EEES9_SG_JZNS1_25segmented_radix_sort_implINS0_14default_configELb0EPKiPiPKlPlN2at6native12_GLOBAL__N_18offset_tEEE10hipError_tPvRmT1_PNSt15iterator_traitsISY_E10value_typeET2_T3_PNSZ_IS14_E10value_typeET4_jRbjT5_S1A_jjP12ihipStream_tbEUljE_EEESV_SW_SX_S14_S18_S1A_T6_T7_T9_mT8_S1C_bDpT10_ENKUlT_T0_E_clISt17integral_constantIbLb1EES1O_IbLb0EEEEDaS1K_S1L_EUlS1K_E_NS1_11comp_targetILNS1_3genE10ELNS1_11target_archE1200ELNS1_3gpuE4ELNS1_3repE0EEENS1_30default_config_static_selectorELNS0_4arch9wavefront6targetE0EEEvSY_
; %bb.0:
	.section	.rodata,"a",@progbits
	.p2align	6, 0x0
	.amdhsa_kernel _ZN7rocprim17ROCPRIM_400000_NS6detail17trampoline_kernelINS0_13select_configILj256ELj13ELNS0_17block_load_methodE3ELS4_3ELS4_3ELNS0_20block_scan_algorithmE0ELj4294967295EEENS1_25partition_config_selectorILNS1_17partition_subalgoE3EjNS0_10empty_typeEbEEZZNS1_14partition_implILS8_3ELb0ES6_jNS0_17counting_iteratorIjlEEPS9_SE_NS0_5tupleIJPjSE_EEENSF_IJSE_SE_EEES9_SG_JZNS1_25segmented_radix_sort_implINS0_14default_configELb0EPKiPiPKlPlN2at6native12_GLOBAL__N_18offset_tEEE10hipError_tPvRmT1_PNSt15iterator_traitsISY_E10value_typeET2_T3_PNSZ_IS14_E10value_typeET4_jRbjT5_S1A_jjP12ihipStream_tbEUljE_EEESV_SW_SX_S14_S18_S1A_T6_T7_T9_mT8_S1C_bDpT10_ENKUlT_T0_E_clISt17integral_constantIbLb1EES1O_IbLb0EEEEDaS1K_S1L_EUlS1K_E_NS1_11comp_targetILNS1_3genE10ELNS1_11target_archE1200ELNS1_3gpuE4ELNS1_3repE0EEENS1_30default_config_static_selectorELNS0_4arch9wavefront6targetE0EEEvSY_
		.amdhsa_group_segment_fixed_size 0
		.amdhsa_private_segment_fixed_size 0
		.amdhsa_kernarg_size 144
		.amdhsa_user_sgpr_count 15
		.amdhsa_user_sgpr_dispatch_ptr 0
		.amdhsa_user_sgpr_queue_ptr 0
		.amdhsa_user_sgpr_kernarg_segment_ptr 1
		.amdhsa_user_sgpr_dispatch_id 0
		.amdhsa_user_sgpr_private_segment_size 0
		.amdhsa_wavefront_size32 1
		.amdhsa_uses_dynamic_stack 0
		.amdhsa_enable_private_segment 0
		.amdhsa_system_sgpr_workgroup_id_x 1
		.amdhsa_system_sgpr_workgroup_id_y 0
		.amdhsa_system_sgpr_workgroup_id_z 0
		.amdhsa_system_sgpr_workgroup_info 0
		.amdhsa_system_vgpr_workitem_id 0
		.amdhsa_next_free_vgpr 1
		.amdhsa_next_free_sgpr 1
		.amdhsa_reserve_vcc 0
		.amdhsa_float_round_mode_32 0
		.amdhsa_float_round_mode_16_64 0
		.amdhsa_float_denorm_mode_32 3
		.amdhsa_float_denorm_mode_16_64 3
		.amdhsa_dx10_clamp 1
		.amdhsa_ieee_mode 1
		.amdhsa_fp16_overflow 0
		.amdhsa_workgroup_processor_mode 1
		.amdhsa_memory_ordered 1
		.amdhsa_forward_progress 0
		.amdhsa_shared_vgpr_count 0
		.amdhsa_exception_fp_ieee_invalid_op 0
		.amdhsa_exception_fp_denorm_src 0
		.amdhsa_exception_fp_ieee_div_zero 0
		.amdhsa_exception_fp_ieee_overflow 0
		.amdhsa_exception_fp_ieee_underflow 0
		.amdhsa_exception_fp_ieee_inexact 0
		.amdhsa_exception_int_div_zero 0
	.end_amdhsa_kernel
	.section	.text._ZN7rocprim17ROCPRIM_400000_NS6detail17trampoline_kernelINS0_13select_configILj256ELj13ELNS0_17block_load_methodE3ELS4_3ELS4_3ELNS0_20block_scan_algorithmE0ELj4294967295EEENS1_25partition_config_selectorILNS1_17partition_subalgoE3EjNS0_10empty_typeEbEEZZNS1_14partition_implILS8_3ELb0ES6_jNS0_17counting_iteratorIjlEEPS9_SE_NS0_5tupleIJPjSE_EEENSF_IJSE_SE_EEES9_SG_JZNS1_25segmented_radix_sort_implINS0_14default_configELb0EPKiPiPKlPlN2at6native12_GLOBAL__N_18offset_tEEE10hipError_tPvRmT1_PNSt15iterator_traitsISY_E10value_typeET2_T3_PNSZ_IS14_E10value_typeET4_jRbjT5_S1A_jjP12ihipStream_tbEUljE_EEESV_SW_SX_S14_S18_S1A_T6_T7_T9_mT8_S1C_bDpT10_ENKUlT_T0_E_clISt17integral_constantIbLb1EES1O_IbLb0EEEEDaS1K_S1L_EUlS1K_E_NS1_11comp_targetILNS1_3genE10ELNS1_11target_archE1200ELNS1_3gpuE4ELNS1_3repE0EEENS1_30default_config_static_selectorELNS0_4arch9wavefront6targetE0EEEvSY_,"axG",@progbits,_ZN7rocprim17ROCPRIM_400000_NS6detail17trampoline_kernelINS0_13select_configILj256ELj13ELNS0_17block_load_methodE3ELS4_3ELS4_3ELNS0_20block_scan_algorithmE0ELj4294967295EEENS1_25partition_config_selectorILNS1_17partition_subalgoE3EjNS0_10empty_typeEbEEZZNS1_14partition_implILS8_3ELb0ES6_jNS0_17counting_iteratorIjlEEPS9_SE_NS0_5tupleIJPjSE_EEENSF_IJSE_SE_EEES9_SG_JZNS1_25segmented_radix_sort_implINS0_14default_configELb0EPKiPiPKlPlN2at6native12_GLOBAL__N_18offset_tEEE10hipError_tPvRmT1_PNSt15iterator_traitsISY_E10value_typeET2_T3_PNSZ_IS14_E10value_typeET4_jRbjT5_S1A_jjP12ihipStream_tbEUljE_EEESV_SW_SX_S14_S18_S1A_T6_T7_T9_mT8_S1C_bDpT10_ENKUlT_T0_E_clISt17integral_constantIbLb1EES1O_IbLb0EEEEDaS1K_S1L_EUlS1K_E_NS1_11comp_targetILNS1_3genE10ELNS1_11target_archE1200ELNS1_3gpuE4ELNS1_3repE0EEENS1_30default_config_static_selectorELNS0_4arch9wavefront6targetE0EEEvSY_,comdat
.Lfunc_end589:
	.size	_ZN7rocprim17ROCPRIM_400000_NS6detail17trampoline_kernelINS0_13select_configILj256ELj13ELNS0_17block_load_methodE3ELS4_3ELS4_3ELNS0_20block_scan_algorithmE0ELj4294967295EEENS1_25partition_config_selectorILNS1_17partition_subalgoE3EjNS0_10empty_typeEbEEZZNS1_14partition_implILS8_3ELb0ES6_jNS0_17counting_iteratorIjlEEPS9_SE_NS0_5tupleIJPjSE_EEENSF_IJSE_SE_EEES9_SG_JZNS1_25segmented_radix_sort_implINS0_14default_configELb0EPKiPiPKlPlN2at6native12_GLOBAL__N_18offset_tEEE10hipError_tPvRmT1_PNSt15iterator_traitsISY_E10value_typeET2_T3_PNSZ_IS14_E10value_typeET4_jRbjT5_S1A_jjP12ihipStream_tbEUljE_EEESV_SW_SX_S14_S18_S1A_T6_T7_T9_mT8_S1C_bDpT10_ENKUlT_T0_E_clISt17integral_constantIbLb1EES1O_IbLb0EEEEDaS1K_S1L_EUlS1K_E_NS1_11comp_targetILNS1_3genE10ELNS1_11target_archE1200ELNS1_3gpuE4ELNS1_3repE0EEENS1_30default_config_static_selectorELNS0_4arch9wavefront6targetE0EEEvSY_, .Lfunc_end589-_ZN7rocprim17ROCPRIM_400000_NS6detail17trampoline_kernelINS0_13select_configILj256ELj13ELNS0_17block_load_methodE3ELS4_3ELS4_3ELNS0_20block_scan_algorithmE0ELj4294967295EEENS1_25partition_config_selectorILNS1_17partition_subalgoE3EjNS0_10empty_typeEbEEZZNS1_14partition_implILS8_3ELb0ES6_jNS0_17counting_iteratorIjlEEPS9_SE_NS0_5tupleIJPjSE_EEENSF_IJSE_SE_EEES9_SG_JZNS1_25segmented_radix_sort_implINS0_14default_configELb0EPKiPiPKlPlN2at6native12_GLOBAL__N_18offset_tEEE10hipError_tPvRmT1_PNSt15iterator_traitsISY_E10value_typeET2_T3_PNSZ_IS14_E10value_typeET4_jRbjT5_S1A_jjP12ihipStream_tbEUljE_EEESV_SW_SX_S14_S18_S1A_T6_T7_T9_mT8_S1C_bDpT10_ENKUlT_T0_E_clISt17integral_constantIbLb1EES1O_IbLb0EEEEDaS1K_S1L_EUlS1K_E_NS1_11comp_targetILNS1_3genE10ELNS1_11target_archE1200ELNS1_3gpuE4ELNS1_3repE0EEENS1_30default_config_static_selectorELNS0_4arch9wavefront6targetE0EEEvSY_
                                        ; -- End function
	.section	.AMDGPU.csdata,"",@progbits
; Kernel info:
; codeLenInByte = 0
; NumSgprs: 0
; NumVgprs: 0
; ScratchSize: 0
; MemoryBound: 0
; FloatMode: 240
; IeeeMode: 1
; LDSByteSize: 0 bytes/workgroup (compile time only)
; SGPRBlocks: 0
; VGPRBlocks: 0
; NumSGPRsForWavesPerEU: 1
; NumVGPRsForWavesPerEU: 1
; Occupancy: 16
; WaveLimiterHint : 0
; COMPUTE_PGM_RSRC2:SCRATCH_EN: 0
; COMPUTE_PGM_RSRC2:USER_SGPR: 15
; COMPUTE_PGM_RSRC2:TRAP_HANDLER: 0
; COMPUTE_PGM_RSRC2:TGID_X_EN: 1
; COMPUTE_PGM_RSRC2:TGID_Y_EN: 0
; COMPUTE_PGM_RSRC2:TGID_Z_EN: 0
; COMPUTE_PGM_RSRC2:TIDIG_COMP_CNT: 0
	.section	.text._ZN7rocprim17ROCPRIM_400000_NS6detail17trampoline_kernelINS0_13select_configILj256ELj13ELNS0_17block_load_methodE3ELS4_3ELS4_3ELNS0_20block_scan_algorithmE0ELj4294967295EEENS1_25partition_config_selectorILNS1_17partition_subalgoE3EjNS0_10empty_typeEbEEZZNS1_14partition_implILS8_3ELb0ES6_jNS0_17counting_iteratorIjlEEPS9_SE_NS0_5tupleIJPjSE_EEENSF_IJSE_SE_EEES9_SG_JZNS1_25segmented_radix_sort_implINS0_14default_configELb0EPKiPiPKlPlN2at6native12_GLOBAL__N_18offset_tEEE10hipError_tPvRmT1_PNSt15iterator_traitsISY_E10value_typeET2_T3_PNSZ_IS14_E10value_typeET4_jRbjT5_S1A_jjP12ihipStream_tbEUljE_EEESV_SW_SX_S14_S18_S1A_T6_T7_T9_mT8_S1C_bDpT10_ENKUlT_T0_E_clISt17integral_constantIbLb1EES1O_IbLb0EEEEDaS1K_S1L_EUlS1K_E_NS1_11comp_targetILNS1_3genE9ELNS1_11target_archE1100ELNS1_3gpuE3ELNS1_3repE0EEENS1_30default_config_static_selectorELNS0_4arch9wavefront6targetE0EEEvSY_,"axG",@progbits,_ZN7rocprim17ROCPRIM_400000_NS6detail17trampoline_kernelINS0_13select_configILj256ELj13ELNS0_17block_load_methodE3ELS4_3ELS4_3ELNS0_20block_scan_algorithmE0ELj4294967295EEENS1_25partition_config_selectorILNS1_17partition_subalgoE3EjNS0_10empty_typeEbEEZZNS1_14partition_implILS8_3ELb0ES6_jNS0_17counting_iteratorIjlEEPS9_SE_NS0_5tupleIJPjSE_EEENSF_IJSE_SE_EEES9_SG_JZNS1_25segmented_radix_sort_implINS0_14default_configELb0EPKiPiPKlPlN2at6native12_GLOBAL__N_18offset_tEEE10hipError_tPvRmT1_PNSt15iterator_traitsISY_E10value_typeET2_T3_PNSZ_IS14_E10value_typeET4_jRbjT5_S1A_jjP12ihipStream_tbEUljE_EEESV_SW_SX_S14_S18_S1A_T6_T7_T9_mT8_S1C_bDpT10_ENKUlT_T0_E_clISt17integral_constantIbLb1EES1O_IbLb0EEEEDaS1K_S1L_EUlS1K_E_NS1_11comp_targetILNS1_3genE9ELNS1_11target_archE1100ELNS1_3gpuE3ELNS1_3repE0EEENS1_30default_config_static_selectorELNS0_4arch9wavefront6targetE0EEEvSY_,comdat
	.globl	_ZN7rocprim17ROCPRIM_400000_NS6detail17trampoline_kernelINS0_13select_configILj256ELj13ELNS0_17block_load_methodE3ELS4_3ELS4_3ELNS0_20block_scan_algorithmE0ELj4294967295EEENS1_25partition_config_selectorILNS1_17partition_subalgoE3EjNS0_10empty_typeEbEEZZNS1_14partition_implILS8_3ELb0ES6_jNS0_17counting_iteratorIjlEEPS9_SE_NS0_5tupleIJPjSE_EEENSF_IJSE_SE_EEES9_SG_JZNS1_25segmented_radix_sort_implINS0_14default_configELb0EPKiPiPKlPlN2at6native12_GLOBAL__N_18offset_tEEE10hipError_tPvRmT1_PNSt15iterator_traitsISY_E10value_typeET2_T3_PNSZ_IS14_E10value_typeET4_jRbjT5_S1A_jjP12ihipStream_tbEUljE_EEESV_SW_SX_S14_S18_S1A_T6_T7_T9_mT8_S1C_bDpT10_ENKUlT_T0_E_clISt17integral_constantIbLb1EES1O_IbLb0EEEEDaS1K_S1L_EUlS1K_E_NS1_11comp_targetILNS1_3genE9ELNS1_11target_archE1100ELNS1_3gpuE3ELNS1_3repE0EEENS1_30default_config_static_selectorELNS0_4arch9wavefront6targetE0EEEvSY_ ; -- Begin function _ZN7rocprim17ROCPRIM_400000_NS6detail17trampoline_kernelINS0_13select_configILj256ELj13ELNS0_17block_load_methodE3ELS4_3ELS4_3ELNS0_20block_scan_algorithmE0ELj4294967295EEENS1_25partition_config_selectorILNS1_17partition_subalgoE3EjNS0_10empty_typeEbEEZZNS1_14partition_implILS8_3ELb0ES6_jNS0_17counting_iteratorIjlEEPS9_SE_NS0_5tupleIJPjSE_EEENSF_IJSE_SE_EEES9_SG_JZNS1_25segmented_radix_sort_implINS0_14default_configELb0EPKiPiPKlPlN2at6native12_GLOBAL__N_18offset_tEEE10hipError_tPvRmT1_PNSt15iterator_traitsISY_E10value_typeET2_T3_PNSZ_IS14_E10value_typeET4_jRbjT5_S1A_jjP12ihipStream_tbEUljE_EEESV_SW_SX_S14_S18_S1A_T6_T7_T9_mT8_S1C_bDpT10_ENKUlT_T0_E_clISt17integral_constantIbLb1EES1O_IbLb0EEEEDaS1K_S1L_EUlS1K_E_NS1_11comp_targetILNS1_3genE9ELNS1_11target_archE1100ELNS1_3gpuE3ELNS1_3repE0EEENS1_30default_config_static_selectorELNS0_4arch9wavefront6targetE0EEEvSY_
	.p2align	8
	.type	_ZN7rocprim17ROCPRIM_400000_NS6detail17trampoline_kernelINS0_13select_configILj256ELj13ELNS0_17block_load_methodE3ELS4_3ELS4_3ELNS0_20block_scan_algorithmE0ELj4294967295EEENS1_25partition_config_selectorILNS1_17partition_subalgoE3EjNS0_10empty_typeEbEEZZNS1_14partition_implILS8_3ELb0ES6_jNS0_17counting_iteratorIjlEEPS9_SE_NS0_5tupleIJPjSE_EEENSF_IJSE_SE_EEES9_SG_JZNS1_25segmented_radix_sort_implINS0_14default_configELb0EPKiPiPKlPlN2at6native12_GLOBAL__N_18offset_tEEE10hipError_tPvRmT1_PNSt15iterator_traitsISY_E10value_typeET2_T3_PNSZ_IS14_E10value_typeET4_jRbjT5_S1A_jjP12ihipStream_tbEUljE_EEESV_SW_SX_S14_S18_S1A_T6_T7_T9_mT8_S1C_bDpT10_ENKUlT_T0_E_clISt17integral_constantIbLb1EES1O_IbLb0EEEEDaS1K_S1L_EUlS1K_E_NS1_11comp_targetILNS1_3genE9ELNS1_11target_archE1100ELNS1_3gpuE3ELNS1_3repE0EEENS1_30default_config_static_selectorELNS0_4arch9wavefront6targetE0EEEvSY_,@function
_ZN7rocprim17ROCPRIM_400000_NS6detail17trampoline_kernelINS0_13select_configILj256ELj13ELNS0_17block_load_methodE3ELS4_3ELS4_3ELNS0_20block_scan_algorithmE0ELj4294967295EEENS1_25partition_config_selectorILNS1_17partition_subalgoE3EjNS0_10empty_typeEbEEZZNS1_14partition_implILS8_3ELb0ES6_jNS0_17counting_iteratorIjlEEPS9_SE_NS0_5tupleIJPjSE_EEENSF_IJSE_SE_EEES9_SG_JZNS1_25segmented_radix_sort_implINS0_14default_configELb0EPKiPiPKlPlN2at6native12_GLOBAL__N_18offset_tEEE10hipError_tPvRmT1_PNSt15iterator_traitsISY_E10value_typeET2_T3_PNSZ_IS14_E10value_typeET4_jRbjT5_S1A_jjP12ihipStream_tbEUljE_EEESV_SW_SX_S14_S18_S1A_T6_T7_T9_mT8_S1C_bDpT10_ENKUlT_T0_E_clISt17integral_constantIbLb1EES1O_IbLb0EEEEDaS1K_S1L_EUlS1K_E_NS1_11comp_targetILNS1_3genE9ELNS1_11target_archE1100ELNS1_3gpuE3ELNS1_3repE0EEENS1_30default_config_static_selectorELNS0_4arch9wavefront6targetE0EEEvSY_: ; @_ZN7rocprim17ROCPRIM_400000_NS6detail17trampoline_kernelINS0_13select_configILj256ELj13ELNS0_17block_load_methodE3ELS4_3ELS4_3ELNS0_20block_scan_algorithmE0ELj4294967295EEENS1_25partition_config_selectorILNS1_17partition_subalgoE3EjNS0_10empty_typeEbEEZZNS1_14partition_implILS8_3ELb0ES6_jNS0_17counting_iteratorIjlEEPS9_SE_NS0_5tupleIJPjSE_EEENSF_IJSE_SE_EEES9_SG_JZNS1_25segmented_radix_sort_implINS0_14default_configELb0EPKiPiPKlPlN2at6native12_GLOBAL__N_18offset_tEEE10hipError_tPvRmT1_PNSt15iterator_traitsISY_E10value_typeET2_T3_PNSZ_IS14_E10value_typeET4_jRbjT5_S1A_jjP12ihipStream_tbEUljE_EEESV_SW_SX_S14_S18_S1A_T6_T7_T9_mT8_S1C_bDpT10_ENKUlT_T0_E_clISt17integral_constantIbLb1EES1O_IbLb0EEEEDaS1K_S1L_EUlS1K_E_NS1_11comp_targetILNS1_3genE9ELNS1_11target_archE1100ELNS1_3gpuE3ELNS1_3repE0EEENS1_30default_config_static_selectorELNS0_4arch9wavefront6targetE0EEEvSY_
; %bb.0:
	s_clause 0x5
	s_load_b32 s2, s[0:1], 0x70
	s_load_b64 s[16:17], s[0:1], 0x10
	s_load_b64 s[12:13], s[0:1], 0x58
	s_load_b32 s18, s[0:1], 0x8
	s_load_b128 s[8:11], s[0:1], 0x48
	s_load_b128 s[4:7], s[0:1], 0x78
	s_mul_i32 s23, s15, 0xd00
	v_lshlrev_b32_e32 v30, 2, v0
	s_waitcnt lgkmcnt(0)
	s_mul_i32 s20, s2, 0xd00
	s_add_i32 s19, s2, -1
	s_add_u32 s2, s16, s20
	s_addc_u32 s3, s17, 0
	s_cmp_eq_u32 s15, s19
	v_cmp_lt_u64_e64 s3, s[2:3], s[12:13]
	s_cselect_b32 s14, -1, 0
	s_cmp_lg_u32 s15, s19
	s_cselect_b32 s21, -1, 0
	s_add_i32 s2, s18, s23
	s_delay_alu instid0(VALU_DEP_1)
	s_or_b32 s3, s21, s3
	s_add_i32 s18, s2, s16
	s_load_b32 s2, s[0:1], 0x88
	v_add_nc_u32_e32 v1, s18, v0
	s_load_b64 s[18:19], s[10:11], 0x0
	s_and_b32 vcc_lo, exec_lo, s3
	s_mov_b32 s10, -1
	s_delay_alu instid0(VALU_DEP_1)
	v_add_nc_u32_e32 v2, 0x100, v1
	v_add_nc_u32_e32 v3, 0x200, v1
	;; [unrolled: 1-line block ×12, first 2 shown]
	s_cbranch_vccz .LBB590_2
; %bb.1:
	ds_store_2addr_stride64_b32 v30, v1, v2 offset1:4
	ds_store_2addr_stride64_b32 v30, v3, v4 offset0:8 offset1:12
	ds_store_2addr_stride64_b32 v30, v5, v6 offset0:16 offset1:20
	;; [unrolled: 1-line block ×5, first 2 shown]
	ds_store_b32 v30, v13 offset:12288
	s_waitcnt lgkmcnt(0)
	s_mov_b32 s10, 0
	s_barrier
.LBB590_2:
	s_and_not1_b32 vcc_lo, exec_lo, s10
	s_add_i32 s20, s20, s16
	s_cbranch_vccnz .LBB590_4
; %bb.3:
	ds_store_2addr_stride64_b32 v30, v1, v2 offset1:4
	ds_store_2addr_stride64_b32 v30, v3, v4 offset0:8 offset1:12
	ds_store_2addr_stride64_b32 v30, v5, v6 offset0:16 offset1:20
	;; [unrolled: 1-line block ×5, first 2 shown]
	ds_store_b32 v30, v13 offset:12288
	s_waitcnt lgkmcnt(0)
	s_barrier
.LBB590_4:
	v_mul_u32_u24_e32 v33, 13, v0
	s_waitcnt lgkmcnt(0)
	buffer_gl0_inv
	v_cndmask_b32_e64 v31, 0, 1, s3
	s_sub_i32 s22, s12, s20
	s_and_not1_b32 vcc_lo, exec_lo, s3
	v_lshlrev_b32_e32 v1, 2, v33
	ds_load_2addr_b32 v[28:29], v1 offset1:1
	ds_load_2addr_b32 v[26:27], v1 offset0:2 offset1:3
	ds_load_2addr_b32 v[24:25], v1 offset0:4 offset1:5
	;; [unrolled: 1-line block ×5, first 2 shown]
	ds_load_b32 v32, v1 offset:48
	s_waitcnt lgkmcnt(0)
	s_barrier
	buffer_gl0_inv
	s_cbranch_vccnz .LBB590_6
; %bb.5:
	v_add_nc_u32_e32 v1, s5, v28
	v_add_nc_u32_e32 v2, s7, v28
	;; [unrolled: 1-line block ×5, first 2 shown]
	v_mul_lo_u32 v1, v1, s4
	v_mul_lo_u32 v2, v2, s6
	;; [unrolled: 1-line block ×4, first 2 shown]
	v_add_nc_u32_e32 v6, s7, v26
	v_add_nc_u32_e32 v7, s5, v27
	;; [unrolled: 1-line block ×3, first 2 shown]
	v_mul_lo_u32 v5, v5, s4
	v_add_nc_u32_e32 v9, s5, v22
	v_sub_nc_u32_e32 v1, v1, v2
	v_mul_lo_u32 v2, v6, s6
	v_sub_nc_u32_e32 v3, v3, v4
	v_mul_lo_u32 v4, v7, s4
	v_mul_lo_u32 v6, v8, s6
	v_add_nc_u32_e32 v7, s5, v24
	v_cmp_lt_u32_e32 vcc_lo, s2, v1
	v_add_nc_u32_e32 v8, s5, v25
	v_add_nc_u32_e32 v10, s7, v22
	v_sub_nc_u32_e32 v2, v5, v2
	v_add_nc_u32_e32 v5, s7, v24
	v_cndmask_b32_e64 v1, 0, 1, vcc_lo
	v_sub_nc_u32_e32 v4, v4, v6
	v_mul_lo_u32 v6, v7, s4
	v_add_nc_u32_e32 v7, s7, v25
	v_cmp_lt_u32_e32 vcc_lo, s2, v3
	v_mul_lo_u32 v5, v5, s6
	v_mul_lo_u32 v8, v8, s4
	;; [unrolled: 1-line block ×4, first 2 shown]
	v_cndmask_b32_e64 v3, 0, 1, vcc_lo
	v_cmp_lt_u32_e32 vcc_lo, s2, v2
	v_mul_lo_u32 v10, v10, s6
	v_add_nc_u32_e32 v11, s5, v20
	v_sub_nc_u32_e32 v5, v6, v5
	v_add_nc_u32_e32 v12, s7, v20
	v_cndmask_b32_e64 v2, 0, 1, vcc_lo
	v_sub_nc_u32_e32 v6, v8, v7
	v_add_nc_u32_e32 v7, s5, v23
	v_add_nc_u32_e32 v8, s7, v23
	v_cmp_lt_u32_e32 vcc_lo, s2, v4
	v_sub_nc_u32_e32 v9, v9, v10
	v_mul_lo_u32 v10, v11, s4
	v_mul_lo_u32 v7, v7, s4
	;; [unrolled: 1-line block ×4, first 2 shown]
	v_cndmask_b32_e64 v4, 0, 1, vcc_lo
	v_cmp_lt_u32_e32 vcc_lo, s2, v5
	v_add_nc_u32_e32 v12, s5, v21
	v_add_nc_u32_e32 v13, s7, v18
	;; [unrolled: 1-line block ×4, first 2 shown]
	v_cndmask_b32_e64 v5, 0, 1, vcc_lo
	v_cmp_lt_u32_e32 vcc_lo, s2, v6
	v_sub_nc_u32_e32 v7, v7, v8
	v_sub_nc_u32_e32 v8, v10, v11
	v_add_nc_u32_e32 v11, s7, v21
	v_mul_lo_u32 v10, v12, s4
	v_cndmask_b32_e64 v6, 0, 1, vcc_lo
	v_cmp_lt_u32_e32 vcc_lo, s2, v9
	v_add_nc_u32_e32 v12, s5, v18
	v_mul_lo_u32 v11, v11, s6
	v_mul_lo_u32 v13, v13, s6
	;; [unrolled: 1-line block ×3, first 2 shown]
	v_cndmask_b32_e64 v9, 0, 1, vcc_lo
	v_cmp_lt_u32_e32 vcc_lo, s2, v7
	v_mul_lo_u32 v12, v12, s4
	v_mul_lo_u32 v15, v15, s6
	v_lshlrev_b16 v3, 8, v3
	v_sub_nc_u32_e32 v10, v10, v11
	v_cndmask_b32_e64 v7, 0, 1, vcc_lo
	v_cmp_lt_u32_e32 vcc_lo, s2, v8
	v_add_nc_u32_e32 v11, s5, v32
	v_or_b32_e32 v1, v1, v3
	v_sub_nc_u32_e32 v12, v12, v13
	v_sub_nc_u32_e32 v13, v14, v15
	v_cndmask_b32_e64 v8, 0, 1, vcc_lo
	v_cmp_lt_u32_e32 vcc_lo, s2, v10
	v_add_nc_u32_e32 v16, s7, v32
	v_mul_lo_u32 v11, v11, s4
	v_lshlrev_b16 v4, 8, v4
	v_lshlrev_b16 v6, 8, v6
	v_cndmask_b32_e64 v10, 0, 1, vcc_lo
	v_cmp_lt_u32_e32 vcc_lo, s2, v12
	v_mul_lo_u32 v14, v16, s6
	v_lshlrev_b16 v7, 8, v7
	v_or_b32_e32 v2, v2, v4
	v_lshlrev_b16 v10, 8, v10
	v_cndmask_b32_e64 v3, 0, 1, vcc_lo
	v_cmp_lt_u32_e32 vcc_lo, s2, v13
	v_or_b32_e32 v4, v5, v6
	v_or_b32_e32 v5, v9, v7
	v_sub_nc_u32_e32 v11, v11, v14
	v_or_b32_e32 v6, v8, v10
	v_cndmask_b32_e64 v12, 0, 1, vcc_lo
	v_and_b32_e32 v1, 0xffff, v1
	v_lshlrev_b32_e32 v2, 16, v2
	v_and_b32_e32 v4, 0xffff, v4
	v_lshlrev_b32_e32 v5, 16, v5
	v_lshlrev_b16 v12, 8, v12
	v_and_b32_e32 v6, 0xffff, v6
	v_cmp_lt_u32_e32 vcc_lo, s2, v11
	v_or_b32_e32 v39, v1, v2
	v_or_b32_e32 v37, v4, v5
	;; [unrolled: 1-line block ×3, first 2 shown]
	s_mov_b32 s3, 0
	v_cndmask_b32_e64 v34, 0, 1, vcc_lo
	s_delay_alu instid0(VALU_DEP_2) | instskip(NEXT) | instid1(VALU_DEP_1)
	v_lshlrev_b32_e32 v3, 16, v3
	v_or_b32_e32 v35, v6, v3
	s_branch .LBB590_7
.LBB590_6:
	s_mov_b32 s3, -1
                                        ; implicit-def: $vgpr34
                                        ; implicit-def: $vgpr35
                                        ; implicit-def: $vgpr37
                                        ; implicit-def: $vgpr39
.LBB590_7:
	s_clause 0x1
	s_load_b64 s[10:11], s[0:1], 0x28
	s_load_b64 s[20:21], s[0:1], 0x68
	s_and_not1_b32 vcc_lo, exec_lo, s3
	s_addk_i32 s22, 0xd00
	s_cbranch_vccnz .LBB590_35
; %bb.8:
	v_dual_mov_b32 v2, 0 :: v_dual_mov_b32 v1, 0
	s_mov_b32 s0, exec_lo
	v_cmpx_gt_u32_e64 s22, v33
; %bb.9:
	v_add_nc_u32_e32 v1, s5, v28
	v_add_nc_u32_e32 v3, s7, v28
	s_delay_alu instid0(VALU_DEP_2) | instskip(NEXT) | instid1(VALU_DEP_2)
	v_mul_lo_u32 v1, v1, s4
	v_mul_lo_u32 v3, v3, s6
	s_delay_alu instid0(VALU_DEP_1) | instskip(NEXT) | instid1(VALU_DEP_1)
	v_sub_nc_u32_e32 v1, v1, v3
	v_cmp_lt_u32_e32 vcc_lo, s2, v1
	v_cndmask_b32_e64 v1, 0, 1, vcc_lo
; %bb.10:
	s_or_b32 exec_lo, exec_lo, s0
	v_add_nc_u32_e32 v3, 1, v33
	s_mov_b32 s0, exec_lo
	s_delay_alu instid0(VALU_DEP_1)
	v_cmpx_gt_u32_e64 s22, v3
; %bb.11:
	v_add_nc_u32_e32 v2, s5, v29
	v_add_nc_u32_e32 v3, s7, v29
	s_delay_alu instid0(VALU_DEP_2) | instskip(NEXT) | instid1(VALU_DEP_2)
	v_mul_lo_u32 v2, v2, s4
	v_mul_lo_u32 v3, v3, s6
	s_delay_alu instid0(VALU_DEP_1) | instskip(NEXT) | instid1(VALU_DEP_1)
	v_sub_nc_u32_e32 v2, v2, v3
	v_cmp_lt_u32_e32 vcc_lo, s2, v2
	v_cndmask_b32_e64 v2, 0, 1, vcc_lo
; %bb.12:
	s_or_b32 exec_lo, exec_lo, s0
	v_dual_mov_b32 v4, 0 :: v_dual_add_nc_u32 v3, 2, v33
	s_delay_alu instid0(VALU_DEP_1)
	v_cmp_gt_u32_e32 vcc_lo, s22, v3
	v_mov_b32_e32 v3, 0
	s_and_saveexec_b32 s0, vcc_lo
; %bb.13:
	v_add_nc_u32_e32 v3, s5, v26
	v_add_nc_u32_e32 v5, s7, v26
	s_delay_alu instid0(VALU_DEP_2) | instskip(NEXT) | instid1(VALU_DEP_2)
	v_mul_lo_u32 v3, v3, s4
	v_mul_lo_u32 v5, v5, s6
	s_delay_alu instid0(VALU_DEP_1) | instskip(NEXT) | instid1(VALU_DEP_1)
	v_sub_nc_u32_e32 v3, v3, v5
	v_cmp_lt_u32_e32 vcc_lo, s2, v3
	v_cndmask_b32_e64 v3, 0, 1, vcc_lo
; %bb.14:
	s_or_b32 exec_lo, exec_lo, s0
	v_add_nc_u32_e32 v5, 3, v33
	s_mov_b32 s0, exec_lo
	s_delay_alu instid0(VALU_DEP_1)
	v_cmpx_gt_u32_e64 s22, v5
; %bb.15:
	v_add_nc_u32_e32 v4, s5, v27
	v_add_nc_u32_e32 v5, s7, v27
	s_delay_alu instid0(VALU_DEP_2) | instskip(NEXT) | instid1(VALU_DEP_2)
	v_mul_lo_u32 v4, v4, s4
	v_mul_lo_u32 v5, v5, s6
	s_delay_alu instid0(VALU_DEP_1) | instskip(NEXT) | instid1(VALU_DEP_1)
	v_sub_nc_u32_e32 v4, v4, v5
	v_cmp_lt_u32_e32 vcc_lo, s2, v4
	v_cndmask_b32_e64 v4, 0, 1, vcc_lo
; %bb.16:
	s_or_b32 exec_lo, exec_lo, s0
	v_dual_mov_b32 v6, 0 :: v_dual_add_nc_u32 v5, 4, v33
	s_delay_alu instid0(VALU_DEP_1)
	v_cmp_gt_u32_e32 vcc_lo, s22, v5
	v_mov_b32_e32 v5, 0
	s_and_saveexec_b32 s0, vcc_lo
	;; [unrolled: 33-line block ×5, first 2 shown]
; %bb.29:
	v_add_nc_u32_e32 v11, s5, v18
	v_add_nc_u32_e32 v13, s7, v18
	s_delay_alu instid0(VALU_DEP_2) | instskip(NEXT) | instid1(VALU_DEP_2)
	v_mul_lo_u32 v11, v11, s4
	v_mul_lo_u32 v13, v13, s6
	s_delay_alu instid0(VALU_DEP_1) | instskip(NEXT) | instid1(VALU_DEP_1)
	v_sub_nc_u32_e32 v11, v11, v13
	v_cmp_lt_u32_e32 vcc_lo, s2, v11
	v_cndmask_b32_e64 v11, 0, 1, vcc_lo
; %bb.30:
	s_or_b32 exec_lo, exec_lo, s0
	v_add_nc_u32_e32 v13, 11, v33
	s_mov_b32 s0, exec_lo
	s_delay_alu instid0(VALU_DEP_1)
	v_cmpx_gt_u32_e64 s22, v13
; %bb.31:
	v_add_nc_u32_e32 v12, s5, v19
	v_add_nc_u32_e32 v13, s7, v19
	s_delay_alu instid0(VALU_DEP_2) | instskip(NEXT) | instid1(VALU_DEP_2)
	v_mul_lo_u32 v12, v12, s4
	v_mul_lo_u32 v13, v13, s6
	s_delay_alu instid0(VALU_DEP_1) | instskip(NEXT) | instid1(VALU_DEP_1)
	v_sub_nc_u32_e32 v12, v12, v13
	v_cmp_lt_u32_e32 vcc_lo, s2, v12
	v_cndmask_b32_e64 v12, 0, 1, vcc_lo
; %bb.32:
	s_or_b32 exec_lo, exec_lo, s0
	v_dual_mov_b32 v34, 0 :: v_dual_add_nc_u32 v13, 12, v33
	s_mov_b32 s0, exec_lo
	s_delay_alu instid0(VALU_DEP_1)
	v_cmpx_gt_u32_e64 s22, v13
; %bb.33:
	v_add_nc_u32_e32 v13, s5, v32
	v_add_nc_u32_e32 v14, s7, v32
	s_delay_alu instid0(VALU_DEP_2) | instskip(NEXT) | instid1(VALU_DEP_2)
	v_mul_lo_u32 v13, v13, s4
	v_mul_lo_u32 v14, v14, s6
	s_delay_alu instid0(VALU_DEP_1) | instskip(NEXT) | instid1(VALU_DEP_1)
	v_sub_nc_u32_e32 v13, v13, v14
	v_cmp_lt_u32_e32 vcc_lo, s2, v13
	v_cndmask_b32_e64 v34, 0, 1, vcc_lo
; %bb.34:
	s_or_b32 exec_lo, exec_lo, s0
	v_lshlrev_b16 v2, 8, v2
	v_lshlrev_b16 v4, 8, v4
	;; [unrolled: 1-line block ×5, first 2 shown]
	v_or_b32_e32 v1, v1, v2
	v_lshlrev_b16 v2, 8, v12
	v_or_b32_e32 v3, v3, v4
	v_or_b32_e32 v4, v5, v6
	;; [unrolled: 1-line block ×5, first 2 shown]
	v_and_b32_e32 v1, 0xffff, v1
	v_lshlrev_b32_e32 v3, 16, v3
	v_and_b32_e32 v4, 0xffff, v4
	v_lshlrev_b32_e32 v5, 16, v5
	;; [unrolled: 2-line block ×3, first 2 shown]
	v_or_b32_e32 v39, v1, v3
	s_delay_alu instid0(VALU_DEP_4) | instskip(NEXT) | instid1(VALU_DEP_3)
	v_or_b32_e32 v37, v4, v5
	v_or_b32_e32 v35, v6, v2
.LBB590_35:
	s_delay_alu instid0(VALU_DEP_3)
	v_and_b32_e32 v41, 0xff, v39
	v_bfe_u32 v42, v39, 8, 8
	v_bfe_u32 v43, v39, 16, 8
	v_lshrrev_b32_e32 v40, 24, v39
	v_and_b32_e32 v44, 0xff, v37
	v_bfe_u32 v45, v37, 8, 8
	v_bfe_u32 v46, v37, 16, 8
	v_add3_u32 v1, v42, v41, v43
	v_lshrrev_b32_e32 v38, 24, v37
	v_and_b32_e32 v47, 0xff, v35
	v_bfe_u32 v48, v35, 8, 8
	v_mbcnt_lo_u32_b32 v50, -1, 0
	v_add3_u32 v1, v1, v40, v44
	v_bfe_u32 v49, v35, 16, 8
	v_lshrrev_b32_e32 v36, 24, v35
	v_and_b32_e32 v2, 0xff, v34
	v_and_b32_e32 v3, 15, v50
	v_add3_u32 v1, v1, v45, v46
	v_or_b32_e32 v4, 31, v0
	v_and_b32_e32 v5, 16, v50
	v_lshrrev_b32_e32 v51, 5, v0
	v_cmp_eq_u32_e64 s5, 0, v3
	v_add3_u32 v1, v1, v38, v47
	v_cmp_lt_u32_e64 s4, 1, v3
	v_cmp_lt_u32_e64 s3, 3, v3
	;; [unrolled: 1-line block ×3, first 2 shown]
	v_cmp_eq_u32_e64 s1, 0, v5
	v_add3_u32 v1, v1, v48, v49
	v_cmp_eq_u32_e64 s0, v4, v0
	s_cmp_lg_u32 s15, 0
	s_mov_b32 s6, -1
	s_delay_alu instid0(VALU_DEP_2)
	v_add3_u32 v52, v1, v36, v2
	s_cbranch_scc0 .LBB590_66
; %bb.36:
	s_delay_alu instid0(VALU_DEP_1) | instskip(NEXT) | instid1(VALU_DEP_1)
	v_mov_b32_dpp v1, v52 row_shr:1 row_mask:0xf bank_mask:0xf
	v_cndmask_b32_e64 v1, v1, 0, s5
	s_delay_alu instid0(VALU_DEP_1) | instskip(NEXT) | instid1(VALU_DEP_1)
	v_add_nc_u32_e32 v1, v1, v52
	v_mov_b32_dpp v2, v1 row_shr:2 row_mask:0xf bank_mask:0xf
	s_delay_alu instid0(VALU_DEP_1) | instskip(NEXT) | instid1(VALU_DEP_1)
	v_cndmask_b32_e64 v2, 0, v2, s4
	v_add_nc_u32_e32 v1, v1, v2
	s_delay_alu instid0(VALU_DEP_1) | instskip(NEXT) | instid1(VALU_DEP_1)
	v_mov_b32_dpp v2, v1 row_shr:4 row_mask:0xf bank_mask:0xf
	v_cndmask_b32_e64 v2, 0, v2, s3
	s_delay_alu instid0(VALU_DEP_1) | instskip(NEXT) | instid1(VALU_DEP_1)
	v_add_nc_u32_e32 v1, v1, v2
	v_mov_b32_dpp v2, v1 row_shr:8 row_mask:0xf bank_mask:0xf
	s_delay_alu instid0(VALU_DEP_1) | instskip(NEXT) | instid1(VALU_DEP_1)
	v_cndmask_b32_e64 v2, 0, v2, s2
	v_add_nc_u32_e32 v1, v1, v2
	ds_swizzle_b32 v2, v1 offset:swizzle(BROADCAST,32,15)
	s_waitcnt lgkmcnt(0)
	v_cndmask_b32_e64 v2, v2, 0, s1
	s_delay_alu instid0(VALU_DEP_1)
	v_add_nc_u32_e32 v1, v1, v2
	s_and_saveexec_b32 s6, s0
	s_cbranch_execz .LBB590_38
; %bb.37:
	v_lshlrev_b32_e32 v2, 2, v51
	ds_store_b32 v2, v1
.LBB590_38:
	s_or_b32 exec_lo, exec_lo, s6
	s_delay_alu instid0(SALU_CYCLE_1)
	s_mov_b32 s6, exec_lo
	s_waitcnt lgkmcnt(0)
	s_barrier
	buffer_gl0_inv
	v_cmpx_gt_u32_e32 8, v0
	s_cbranch_execz .LBB590_40
; %bb.39:
	ds_load_b32 v2, v30
	s_waitcnt lgkmcnt(0)
	v_mov_b32_dpp v4, v2 row_shr:1 row_mask:0xf bank_mask:0xf
	v_and_b32_e32 v3, 7, v50
	s_delay_alu instid0(VALU_DEP_1) | instskip(NEXT) | instid1(VALU_DEP_3)
	v_cmp_ne_u32_e32 vcc_lo, 0, v3
	v_cndmask_b32_e32 v4, 0, v4, vcc_lo
	v_cmp_lt_u32_e32 vcc_lo, 1, v3
	s_delay_alu instid0(VALU_DEP_2) | instskip(NEXT) | instid1(VALU_DEP_1)
	v_add_nc_u32_e32 v2, v4, v2
	v_mov_b32_dpp v4, v2 row_shr:2 row_mask:0xf bank_mask:0xf
	s_delay_alu instid0(VALU_DEP_1) | instskip(SKIP_1) | instid1(VALU_DEP_2)
	v_cndmask_b32_e32 v4, 0, v4, vcc_lo
	v_cmp_lt_u32_e32 vcc_lo, 3, v3
	v_add_nc_u32_e32 v2, v2, v4
	s_delay_alu instid0(VALU_DEP_1) | instskip(NEXT) | instid1(VALU_DEP_1)
	v_mov_b32_dpp v4, v2 row_shr:4 row_mask:0xf bank_mask:0xf
	v_cndmask_b32_e32 v3, 0, v4, vcc_lo
	s_delay_alu instid0(VALU_DEP_1)
	v_add_nc_u32_e32 v2, v2, v3
	ds_store_b32 v30, v2
.LBB590_40:
	s_or_b32 exec_lo, exec_lo, s6
	v_cmp_gt_u32_e32 vcc_lo, 32, v0
	s_mov_b32 s7, exec_lo
	s_waitcnt lgkmcnt(0)
	s_barrier
	buffer_gl0_inv
                                        ; implicit-def: $vgpr8
	v_cmpx_lt_u32_e32 31, v0
	s_cbranch_execz .LBB590_42
; %bb.41:
	v_lshl_add_u32 v2, v51, 2, -4
	ds_load_b32 v8, v2
	s_waitcnt lgkmcnt(0)
	v_add_nc_u32_e32 v1, v8, v1
.LBB590_42:
	s_or_b32 exec_lo, exec_lo, s7
	v_add_nc_u32_e32 v2, -1, v50
	s_delay_alu instid0(VALU_DEP_1) | instskip(NEXT) | instid1(VALU_DEP_1)
	v_cmp_gt_i32_e64 s6, 0, v2
	v_cndmask_b32_e64 v2, v2, v50, s6
	v_cmp_eq_u32_e64 s6, 0, v50
	s_delay_alu instid0(VALU_DEP_2)
	v_lshlrev_b32_e32 v2, 2, v2
	ds_bpermute_b32 v9, v2, v1
	s_and_saveexec_b32 s7, vcc_lo
	s_cbranch_execz .LBB590_65
; %bb.43:
	v_mov_b32_e32 v4, 0
	ds_load_b32 v1, v4 offset:28
	s_and_saveexec_b32 s24, s6
	s_cbranch_execz .LBB590_45
; %bb.44:
	s_add_i32 s26, s15, 32
	s_mov_b32 s27, 0
	v_mov_b32_e32 v2, 1
	s_lshl_b64 s[26:27], s[26:27], 3
	s_delay_alu instid0(SALU_CYCLE_1)
	s_add_u32 s26, s20, s26
	s_addc_u32 s27, s21, s27
	s_waitcnt lgkmcnt(0)
	global_store_b64 v4, v[1:2], s[26:27]
.LBB590_45:
	s_or_b32 exec_lo, exec_lo, s24
	v_xad_u32 v2, v50, -1, s15
	s_mov_b32 s25, 0
	s_mov_b32 s24, exec_lo
	s_delay_alu instid0(VALU_DEP_1) | instskip(NEXT) | instid1(VALU_DEP_1)
	v_add_nc_u32_e32 v3, 32, v2
	v_lshlrev_b64 v[3:4], 3, v[3:4]
	s_delay_alu instid0(VALU_DEP_1) | instskip(NEXT) | instid1(VALU_DEP_2)
	v_add_co_u32 v6, vcc_lo, s20, v3
	v_add_co_ci_u32_e32 v7, vcc_lo, s21, v4, vcc_lo
	global_load_b64 v[4:5], v[6:7], off glc
	s_waitcnt vmcnt(0)
	v_and_b32_e32 v3, 0xff, v5
	s_delay_alu instid0(VALU_DEP_1)
	v_cmpx_eq_u16_e32 0, v3
	s_cbranch_execz .LBB590_51
; %bb.46:
	s_mov_b32 s26, 1
	.p2align	6
.LBB590_47:                             ; =>This Loop Header: Depth=1
                                        ;     Child Loop BB590_48 Depth 2
	s_delay_alu instid0(SALU_CYCLE_1)
	s_max_u32 s27, s26, 1
.LBB590_48:                             ;   Parent Loop BB590_47 Depth=1
                                        ; =>  This Inner Loop Header: Depth=2
	s_delay_alu instid0(SALU_CYCLE_1)
	s_add_i32 s27, s27, -1
	s_sleep 1
	s_cmp_eq_u32 s27, 0
	s_cbranch_scc0 .LBB590_48
; %bb.49:                               ;   in Loop: Header=BB590_47 Depth=1
	global_load_b64 v[4:5], v[6:7], off glc
	s_cmp_lt_u32 s26, 32
	s_cselect_b32 s27, -1, 0
	s_delay_alu instid0(SALU_CYCLE_1) | instskip(SKIP_3) | instid1(VALU_DEP_1)
	s_cmp_lg_u32 s27, 0
	s_addc_u32 s26, s26, 0
	s_waitcnt vmcnt(0)
	v_and_b32_e32 v3, 0xff, v5
	v_cmp_ne_u16_e32 vcc_lo, 0, v3
	s_or_b32 s25, vcc_lo, s25
	s_delay_alu instid0(SALU_CYCLE_1)
	s_and_not1_b32 exec_lo, exec_lo, s25
	s_cbranch_execnz .LBB590_47
; %bb.50:
	s_or_b32 exec_lo, exec_lo, s25
.LBB590_51:
	s_delay_alu instid0(SALU_CYCLE_1)
	s_or_b32 exec_lo, exec_lo, s24
	v_cmp_ne_u32_e32 vcc_lo, 31, v50
	v_lshlrev_b32_e64 v11, v50, -1
	v_add_nc_u32_e32 v13, 2, v50
	v_add_nc_u32_e32 v16, 4, v50
	;; [unrolled: 1-line block ×3, first 2 shown]
	v_add_co_ci_u32_e32 v3, vcc_lo, 0, v50, vcc_lo
	v_add_nc_u32_e32 v55, 16, v50
	s_delay_alu instid0(VALU_DEP_2) | instskip(SKIP_2) | instid1(VALU_DEP_1)
	v_lshlrev_b32_e32 v10, 2, v3
	ds_bpermute_b32 v6, v10, v4
	v_and_b32_e32 v3, 0xff, v5
	v_cmp_eq_u16_e32 vcc_lo, 2, v3
	v_and_or_b32 v3, vcc_lo, v11, 0x80000000
	v_cmp_gt_u32_e32 vcc_lo, 30, v50
	s_delay_alu instid0(VALU_DEP_2) | instskip(SKIP_1) | instid1(VALU_DEP_2)
	v_ctz_i32_b32_e32 v3, v3
	v_cndmask_b32_e64 v7, 0, 1, vcc_lo
	v_cmp_lt_u32_e32 vcc_lo, v50, v3
	s_waitcnt lgkmcnt(0)
	s_delay_alu instid0(VALU_DEP_2) | instskip(NEXT) | instid1(VALU_DEP_1)
	v_dual_cndmask_b32 v6, 0, v6 :: v_dual_lshlrev_b32 v7, 1, v7
	v_add_lshl_u32 v12, v7, v50, 2
	v_cmp_gt_u32_e32 vcc_lo, 28, v50
	s_delay_alu instid0(VALU_DEP_3) | instskip(SKIP_4) | instid1(VALU_DEP_1)
	v_add_nc_u32_e32 v4, v6, v4
	v_cndmask_b32_e64 v7, 0, 1, vcc_lo
	v_cmp_le_u32_e32 vcc_lo, v13, v3
	ds_bpermute_b32 v6, v12, v4
	v_lshlrev_b32_e32 v7, 2, v7
	v_add_lshl_u32 v14, v7, v50, 2
	s_waitcnt lgkmcnt(0)
	v_cndmask_b32_e32 v6, 0, v6, vcc_lo
	v_cmp_gt_u32_e32 vcc_lo, 24, v50
	s_delay_alu instid0(VALU_DEP_2) | instskip(SKIP_4) | instid1(VALU_DEP_1)
	v_add_nc_u32_e32 v4, v4, v6
	v_cndmask_b32_e64 v7, 0, 1, vcc_lo
	v_cmp_le_u32_e32 vcc_lo, v16, v3
	ds_bpermute_b32 v6, v14, v4
	v_lshlrev_b32_e32 v7, 3, v7
	v_add_lshl_u32 v17, v7, v50, 2
	s_waitcnt lgkmcnt(0)
	v_cndmask_b32_e32 v6, 0, v6, vcc_lo
	v_cmp_gt_u32_e32 vcc_lo, 16, v50
	s_delay_alu instid0(VALU_DEP_2) | instskip(SKIP_4) | instid1(VALU_DEP_1)
	v_add_nc_u32_e32 v4, v4, v6
	v_cndmask_b32_e64 v7, 0, 1, vcc_lo
	v_cmp_le_u32_e32 vcc_lo, v53, v3
	ds_bpermute_b32 v6, v17, v4
	v_lshlrev_b32_e32 v7, 4, v7
	v_add_lshl_u32 v54, v7, v50, 2
	s_waitcnt lgkmcnt(0)
	v_cndmask_b32_e32 v6, 0, v6, vcc_lo
	v_cmp_le_u32_e32 vcc_lo, v55, v3
	s_delay_alu instid0(VALU_DEP_2) | instskip(SKIP_3) | instid1(VALU_DEP_1)
	v_add_nc_u32_e32 v4, v4, v6
	ds_bpermute_b32 v6, v54, v4
	s_waitcnt lgkmcnt(0)
	v_cndmask_b32_e32 v3, 0, v6, vcc_lo
	v_dual_mov_b32 v3, 0 :: v_dual_add_nc_u32 v4, v4, v3
	s_branch .LBB590_53
.LBB590_52:                             ;   in Loop: Header=BB590_53 Depth=1
	s_or_b32 exec_lo, exec_lo, s24
	ds_bpermute_b32 v7, v10, v4
	v_and_b32_e32 v6, 0xff, v5
	v_subrev_nc_u32_e32 v2, 32, v2
	s_delay_alu instid0(VALU_DEP_2) | instskip(SKIP_1) | instid1(VALU_DEP_1)
	v_cmp_eq_u16_e32 vcc_lo, 2, v6
	v_and_or_b32 v6, vcc_lo, v11, 0x80000000
	v_ctz_i32_b32_e32 v6, v6
	s_delay_alu instid0(VALU_DEP_1) | instskip(SKIP_3) | instid1(VALU_DEP_2)
	v_cmp_lt_u32_e32 vcc_lo, v50, v6
	s_waitcnt lgkmcnt(0)
	v_cndmask_b32_e32 v7, 0, v7, vcc_lo
	v_cmp_le_u32_e32 vcc_lo, v13, v6
	v_add_nc_u32_e32 v4, v7, v4
	ds_bpermute_b32 v7, v12, v4
	s_waitcnt lgkmcnt(0)
	v_cndmask_b32_e32 v7, 0, v7, vcc_lo
	v_cmp_le_u32_e32 vcc_lo, v16, v6
	s_delay_alu instid0(VALU_DEP_2) | instskip(SKIP_4) | instid1(VALU_DEP_2)
	v_add_nc_u32_e32 v4, v4, v7
	ds_bpermute_b32 v7, v14, v4
	s_waitcnt lgkmcnt(0)
	v_cndmask_b32_e32 v7, 0, v7, vcc_lo
	v_cmp_le_u32_e32 vcc_lo, v53, v6
	v_add_nc_u32_e32 v4, v4, v7
	ds_bpermute_b32 v7, v17, v4
	s_waitcnt lgkmcnt(0)
	v_cndmask_b32_e32 v7, 0, v7, vcc_lo
	v_cmp_le_u32_e32 vcc_lo, v55, v6
	s_delay_alu instid0(VALU_DEP_2) | instskip(SKIP_3) | instid1(VALU_DEP_1)
	v_add_nc_u32_e32 v4, v4, v7
	ds_bpermute_b32 v7, v54, v4
	s_waitcnt lgkmcnt(0)
	v_cndmask_b32_e32 v6, 0, v7, vcc_lo
	v_add3_u32 v4, v6, v15, v4
.LBB590_53:                             ; =>This Loop Header: Depth=1
                                        ;     Child Loop BB590_56 Depth 2
                                        ;       Child Loop BB590_57 Depth 3
	v_and_b32_e32 v5, 0xff, v5
	s_delay_alu instid0(VALU_DEP_2) | instskip(NEXT) | instid1(VALU_DEP_2)
	v_mov_b32_e32 v15, v4
	v_cmp_ne_u16_e32 vcc_lo, 2, v5
	v_cndmask_b32_e64 v5, 0, 1, vcc_lo
	;;#ASMSTART
	;;#ASMEND
	s_delay_alu instid0(VALU_DEP_1)
	v_cmp_ne_u32_e32 vcc_lo, 0, v5
	s_cmp_lg_u32 vcc_lo, exec_lo
	s_cbranch_scc1 .LBB590_60
; %bb.54:                               ;   in Loop: Header=BB590_53 Depth=1
	v_lshlrev_b64 v[4:5], 3, v[2:3]
	s_mov_b32 s24, exec_lo
	s_delay_alu instid0(VALU_DEP_1) | instskip(NEXT) | instid1(VALU_DEP_2)
	v_add_co_u32 v6, vcc_lo, s20, v4
	v_add_co_ci_u32_e32 v7, vcc_lo, s21, v5, vcc_lo
	global_load_b64 v[4:5], v[6:7], off glc
	s_waitcnt vmcnt(0)
	v_and_b32_e32 v56, 0xff, v5
	s_delay_alu instid0(VALU_DEP_1)
	v_cmpx_eq_u16_e32 0, v56
	s_cbranch_execz .LBB590_52
; %bb.55:                               ;   in Loop: Header=BB590_53 Depth=1
	s_mov_b32 s26, 1
	s_mov_b32 s25, 0
	.p2align	6
.LBB590_56:                             ;   Parent Loop BB590_53 Depth=1
                                        ; =>  This Loop Header: Depth=2
                                        ;       Child Loop BB590_57 Depth 3
	s_max_u32 s27, s26, 1
.LBB590_57:                             ;   Parent Loop BB590_53 Depth=1
                                        ;     Parent Loop BB590_56 Depth=2
                                        ; =>    This Inner Loop Header: Depth=3
	s_delay_alu instid0(SALU_CYCLE_1)
	s_add_i32 s27, s27, -1
	s_sleep 1
	s_cmp_eq_u32 s27, 0
	s_cbranch_scc0 .LBB590_57
; %bb.58:                               ;   in Loop: Header=BB590_56 Depth=2
	global_load_b64 v[4:5], v[6:7], off glc
	s_cmp_lt_u32 s26, 32
	s_cselect_b32 s27, -1, 0
	s_delay_alu instid0(SALU_CYCLE_1) | instskip(SKIP_3) | instid1(VALU_DEP_1)
	s_cmp_lg_u32 s27, 0
	s_addc_u32 s26, s26, 0
	s_waitcnt vmcnt(0)
	v_and_b32_e32 v56, 0xff, v5
	v_cmp_ne_u16_e32 vcc_lo, 0, v56
	s_or_b32 s25, vcc_lo, s25
	s_delay_alu instid0(SALU_CYCLE_1)
	s_and_not1_b32 exec_lo, exec_lo, s25
	s_cbranch_execnz .LBB590_56
; %bb.59:                               ;   in Loop: Header=BB590_53 Depth=1
	s_or_b32 exec_lo, exec_lo, s25
	s_branch .LBB590_52
.LBB590_60:                             ;   in Loop: Header=BB590_53 Depth=1
                                        ; implicit-def: $vgpr4
                                        ; implicit-def: $vgpr5
	s_cbranch_execz .LBB590_53
; %bb.61:
	s_and_saveexec_b32 s24, s6
	s_cbranch_execz .LBB590_63
; %bb.62:
	s_add_i32 s26, s15, 32
	s_mov_b32 s27, 0
	v_dual_mov_b32 v3, 2 :: v_dual_add_nc_u32 v2, v15, v1
	s_lshl_b64 s[26:27], s[26:27], 3
	v_mov_b32_e32 v4, 0
	v_add_nc_u32_e64 v5, 0x3400, 0
	s_add_u32 s26, s20, s26
	s_addc_u32 s27, s21, s27
	global_store_b64 v4, v[2:3], s[26:27]
	ds_store_2addr_b32 v5, v1, v15 offset1:2
.LBB590_63:
	s_or_b32 exec_lo, exec_lo, s24
	v_cmp_eq_u32_e32 vcc_lo, 0, v0
	s_and_b32 exec_lo, exec_lo, vcc_lo
	s_cbranch_execz .LBB590_65
; %bb.64:
	v_mov_b32_e32 v1, 0
	ds_store_b32 v1, v15 offset:28
.LBB590_65:
	s_or_b32 exec_lo, exec_lo, s7
	s_waitcnt lgkmcnt(0)
	v_cndmask_b32_e64 v2, v9, v8, s6
	v_cmp_ne_u32_e32 vcc_lo, 0, v0
	v_mov_b32_e32 v1, 0
	s_waitcnt_vscnt null, 0x0
	s_barrier
	buffer_gl0_inv
	v_cndmask_b32_e32 v2, 0, v2, vcc_lo
	ds_load_b32 v1, v1 offset:28
	v_add_nc_u32_e64 v11, 0x3400, 0
	s_waitcnt lgkmcnt(0)
	s_barrier
	buffer_gl0_inv
	ds_load_2addr_b32 v[16:17], v11 offset1:2
	v_add_nc_u32_e32 v1, v1, v2
	s_delay_alu instid0(VALU_DEP_1) | instskip(NEXT) | instid1(VALU_DEP_1)
	v_add_nc_u32_e32 v2, v1, v41
	v_add_nc_u32_e32 v3, v2, v42
	s_delay_alu instid0(VALU_DEP_1) | instskip(NEXT) | instid1(VALU_DEP_1)
	v_add_nc_u32_e32 v4, v3, v43
	;; [unrolled: 3-line block ×6, first 2 shown]
	v_add_nc_u32_e32 v13, v12, v36
	s_branch .LBB590_76
.LBB590_66:
                                        ; implicit-def: $vgpr17
                                        ; implicit-def: $vgpr1_vgpr2_vgpr3_vgpr4_vgpr5_vgpr6_vgpr7_vgpr8_vgpr9_vgpr10_vgpr11_vgpr12_vgpr13_vgpr14_vgpr15_vgpr16
	s_and_b32 vcc_lo, exec_lo, s6
	s_cbranch_vccz .LBB590_76
; %bb.67:
	s_delay_alu instid0(VALU_DEP_1) | instskip(NEXT) | instid1(VALU_DEP_1)
	v_mov_b32_dpp v1, v52 row_shr:1 row_mask:0xf bank_mask:0xf
	v_cndmask_b32_e64 v1, v1, 0, s5
	s_delay_alu instid0(VALU_DEP_1) | instskip(NEXT) | instid1(VALU_DEP_1)
	v_add_nc_u32_e32 v1, v1, v52
	v_mov_b32_dpp v2, v1 row_shr:2 row_mask:0xf bank_mask:0xf
	s_delay_alu instid0(VALU_DEP_1) | instskip(NEXT) | instid1(VALU_DEP_1)
	v_cndmask_b32_e64 v2, 0, v2, s4
	v_add_nc_u32_e32 v1, v1, v2
	s_delay_alu instid0(VALU_DEP_1) | instskip(NEXT) | instid1(VALU_DEP_1)
	v_mov_b32_dpp v2, v1 row_shr:4 row_mask:0xf bank_mask:0xf
	v_cndmask_b32_e64 v2, 0, v2, s3
	s_delay_alu instid0(VALU_DEP_1) | instskip(NEXT) | instid1(VALU_DEP_1)
	v_add_nc_u32_e32 v1, v1, v2
	v_mov_b32_dpp v2, v1 row_shr:8 row_mask:0xf bank_mask:0xf
	s_delay_alu instid0(VALU_DEP_1) | instskip(NEXT) | instid1(VALU_DEP_1)
	v_cndmask_b32_e64 v2, 0, v2, s2
	v_add_nc_u32_e32 v1, v1, v2
	ds_swizzle_b32 v2, v1 offset:swizzle(BROADCAST,32,15)
	s_waitcnt lgkmcnt(0)
	v_cndmask_b32_e64 v2, v2, 0, s1
	s_delay_alu instid0(VALU_DEP_1)
	v_add_nc_u32_e32 v1, v1, v2
	s_and_saveexec_b32 s1, s0
	s_cbranch_execz .LBB590_69
; %bb.68:
	v_lshlrev_b32_e32 v2, 2, v51
	ds_store_b32 v2, v1
.LBB590_69:
	s_or_b32 exec_lo, exec_lo, s1
	s_delay_alu instid0(SALU_CYCLE_1)
	s_mov_b32 s0, exec_lo
	s_waitcnt lgkmcnt(0)
	s_barrier
	buffer_gl0_inv
	v_cmpx_gt_u32_e32 8, v0
	s_cbranch_execz .LBB590_71
; %bb.70:
	ds_load_b32 v2, v30
	s_waitcnt lgkmcnt(0)
	v_mov_b32_dpp v4, v2 row_shr:1 row_mask:0xf bank_mask:0xf
	v_and_b32_e32 v3, 7, v50
	s_delay_alu instid0(VALU_DEP_1) | instskip(NEXT) | instid1(VALU_DEP_3)
	v_cmp_ne_u32_e32 vcc_lo, 0, v3
	v_cndmask_b32_e32 v4, 0, v4, vcc_lo
	v_cmp_lt_u32_e32 vcc_lo, 1, v3
	s_delay_alu instid0(VALU_DEP_2) | instskip(NEXT) | instid1(VALU_DEP_1)
	v_add_nc_u32_e32 v2, v4, v2
	v_mov_b32_dpp v4, v2 row_shr:2 row_mask:0xf bank_mask:0xf
	s_delay_alu instid0(VALU_DEP_1) | instskip(SKIP_1) | instid1(VALU_DEP_2)
	v_cndmask_b32_e32 v4, 0, v4, vcc_lo
	v_cmp_lt_u32_e32 vcc_lo, 3, v3
	v_add_nc_u32_e32 v2, v2, v4
	s_delay_alu instid0(VALU_DEP_1) | instskip(NEXT) | instid1(VALU_DEP_1)
	v_mov_b32_dpp v4, v2 row_shr:4 row_mask:0xf bank_mask:0xf
	v_cndmask_b32_e32 v3, 0, v4, vcc_lo
	s_delay_alu instid0(VALU_DEP_1)
	v_add_nc_u32_e32 v2, v2, v3
	ds_store_b32 v30, v2
.LBB590_71:
	s_or_b32 exec_lo, exec_lo, s0
	v_dual_mov_b32 v3, 0 :: v_dual_mov_b32 v2, 0
	s_mov_b32 s0, exec_lo
	s_waitcnt lgkmcnt(0)
	s_barrier
	buffer_gl0_inv
	v_cmpx_lt_u32_e32 31, v0
	s_cbranch_execz .LBB590_73
; %bb.72:
	v_lshl_add_u32 v2, v51, 2, -4
	ds_load_b32 v2, v2
.LBB590_73:
	s_or_b32 exec_lo, exec_lo, s0
	v_add_nc_u32_e32 v4, -1, v50
	ds_load_b32 v16, v3 offset:28
	s_waitcnt lgkmcnt(1)
	v_add_nc_u32_e32 v1, v2, v1
	v_cmp_gt_i32_e32 vcc_lo, 0, v4
	v_cndmask_b32_e32 v4, v4, v50, vcc_lo
	v_cmp_eq_u32_e32 vcc_lo, 0, v0
	s_delay_alu instid0(VALU_DEP_2)
	v_lshlrev_b32_e32 v4, 2, v4
	ds_bpermute_b32 v1, v4, v1
	s_and_saveexec_b32 s0, vcc_lo
	s_cbranch_execz .LBB590_75
; %bb.74:
	v_mov_b32_e32 v3, 0
	v_mov_b32_e32 v17, 2
	s_waitcnt lgkmcnt(1)
	global_store_b64 v3, v[16:17], s[20:21] offset:256
.LBB590_75:
	s_or_b32 exec_lo, exec_lo, s0
	v_cmp_eq_u32_e64 s0, 0, v50
	s_waitcnt lgkmcnt(0)
	s_waitcnt_vscnt null, 0x0
	s_barrier
	buffer_gl0_inv
	v_mov_b32_e32 v17, 0
	v_cndmask_b32_e64 v1, v1, v2, s0
	s_delay_alu instid0(VALU_DEP_1) | instskip(NEXT) | instid1(VALU_DEP_1)
	v_cndmask_b32_e64 v1, v1, 0, vcc_lo
	v_add_nc_u32_e32 v2, v1, v41
	s_delay_alu instid0(VALU_DEP_1) | instskip(NEXT) | instid1(VALU_DEP_1)
	v_add_nc_u32_e32 v3, v2, v42
	v_add_nc_u32_e32 v4, v3, v43
	s_delay_alu instid0(VALU_DEP_1) | instskip(NEXT) | instid1(VALU_DEP_1)
	v_add_nc_u32_e32 v5, v4, v40
	;; [unrolled: 3-line block ×5, first 2 shown]
	v_add_nc_u32_e32 v12, v11, v49
	s_delay_alu instid0(VALU_DEP_1)
	v_add_nc_u32_e32 v13, v12, v36
.LBB590_76:
	v_lshrrev_b32_e32 v44, 8, v39
	v_lshrrev_b32_e32 v43, 16, v39
	s_waitcnt lgkmcnt(0)
	v_sub_nc_u32_e32 v1, v1, v17
	v_and_b32_e32 v39, 1, v39
	v_sub_nc_u32_e32 v3, v3, v17
	v_add_nc_u32_e32 v33, v16, v33
	v_sub_nc_u32_e32 v2, v2, v17
	v_sub_nc_u32_e32 v4, v4, v17
	v_cmp_eq_u32_e32 vcc_lo, 1, v39
	v_and_b32_e32 v39, 1, v43
	v_sub_nc_u32_e32 v45, v33, v1
	v_and_b32_e32 v44, 1, v44
	v_sub_nc_u32_e32 v43, v33, v2
	v_lshrrev_b32_e32 v42, 8, v37
	v_lshrrev_b32_e32 v41, 16, v37
	v_cndmask_b32_e32 v1, v45, v1, vcc_lo
	v_sub_nc_u32_e32 v45, v33, v3
	v_add_nc_u32_e32 v43, 1, v43
	v_cmp_eq_u32_e32 vcc_lo, 1, v44
	v_and_b32_e32 v40, 1, v40
	v_lshlrev_b32_e32 v1, 2, v1
	v_add_nc_u32_e32 v45, 2, v45
	v_lshrrev_b32_e32 v15, 8, v35
	v_lshrrev_b32_e32 v14, 16, v35
	ds_store_b32 v1, v28
	v_cndmask_b32_e32 v1, v43, v2, vcc_lo
	v_cmp_eq_u32_e32 vcc_lo, 1, v39
	v_or_b32_e32 v28, 0x500, v0
	s_delay_alu instid0(VALU_DEP_3)
	v_dual_cndmask_b32 v2, v45, v3 :: v_dual_lshlrev_b32 v1, 2, v1
	v_sub_nc_u32_e32 v46, v33, v4
	v_cmp_eq_u32_e32 vcc_lo, 1, v40
	ds_store_b32 v1, v29
	v_lshlrev_b32_e32 v2, 2, v2
	v_add_nc_u32_e32 v46, 3, v46
	v_or_b32_e32 v29, 0x400, v0
	s_delay_alu instid0(VALU_DEP_2) | instskip(SKIP_2) | instid1(VALU_DEP_3)
	v_cndmask_b32_e32 v3, v46, v4, vcc_lo
	v_sub_nc_u32_e32 v4, v5, v17
	v_sub_nc_u32_e32 v5, v6, v17
	v_lshlrev_b32_e32 v3, 2, v3
	s_delay_alu instid0(VALU_DEP_3) | instskip(NEXT) | instid1(VALU_DEP_3)
	v_sub_nc_u32_e32 v1, v33, v4
	v_sub_nc_u32_e32 v6, v33, v5
	ds_store_b32 v2, v26
	ds_store_b32 v3, v27
	v_and_b32_e32 v2, 1, v37
	v_add_nc_u32_e32 v1, 4, v1
	v_add_nc_u32_e32 v3, 5, v6
	v_sub_nc_u32_e32 v6, v7, v17
	v_and_b32_e32 v7, 1, v42
	v_cmp_eq_u32_e32 vcc_lo, 1, v2
	v_sub_nc_u32_e32 v2, v8, v17
	v_and_b32_e32 v8, 1, v38
	v_or_b32_e32 v27, 0x600, v0
	v_or_b32_e32 v26, 0x700, v0
	v_cndmask_b32_e32 v1, v1, v4, vcc_lo
	v_sub_nc_u32_e32 v4, v33, v6
	v_cmp_eq_u32_e32 vcc_lo, 1, v7
	v_and_b32_e32 v7, 1, v41
	s_delay_alu instid0(VALU_DEP_4) | instskip(NEXT) | instid1(VALU_DEP_4)
	v_lshlrev_b32_e32 v1, 2, v1
	v_dual_cndmask_b32 v3, v3, v5 :: v_dual_add_nc_u32 v4, 6, v4
	v_sub_nc_u32_e32 v5, v33, v2
	s_delay_alu instid0(VALU_DEP_4) | instskip(SKIP_1) | instid1(VALU_DEP_4)
	v_cmp_eq_u32_e32 vcc_lo, 1, v7
	v_sub_nc_u32_e32 v7, v13, v17
	v_lshlrev_b32_e32 v3, 2, v3
	s_delay_alu instid0(VALU_DEP_4)
	v_dual_cndmask_b32 v4, v4, v6 :: v_dual_add_nc_u32 v5, 7, v5
	v_cmp_eq_u32_e32 vcc_lo, 1, v8
	v_sub_nc_u32_e32 v6, v9, v17
	ds_store_b32 v1, v24
	ds_store_b32 v3, v25
	v_or_b32_e32 v25, 0x800, v0
	v_dual_cndmask_b32 v2, v5, v2 :: v_dual_lshlrev_b32 v3, 2, v4
	v_and_b32_e32 v5, 1, v35
	v_sub_nc_u32_e32 v1, v33, v6
	v_sub_nc_u32_e32 v4, v10, v17
	v_and_b32_e32 v10, 1, v36
	v_or_b32_e32 v24, 0x900, v0
	v_cmp_eq_u32_e32 vcc_lo, 1, v5
	v_sub_nc_u32_e32 v5, v12, v17
	v_add_nc_u32_e32 v1, 8, v1
	s_delay_alu instid0(VALU_DEP_2) | instskip(NEXT) | instid1(VALU_DEP_2)
	v_sub_nc_u32_e32 v9, v33, v5
	v_dual_cndmask_b32 v1, v1, v6 :: v_dual_and_b32 v6, 1, v15
	v_add_co_u32 v15, s0, s18, v17
	s_delay_alu instid0(VALU_DEP_3)
	v_add_nc_u32_e32 v9, 11, v9
	v_lshlrev_b32_e32 v2, 2, v2
	ds_store_b32 v3, v22
	ds_store_b32 v2, v23
	v_sub_nc_u32_e32 v3, v11, v17
	v_sub_nc_u32_e32 v2, v33, v4
	v_cmp_eq_u32_e32 vcc_lo, 1, v6
	v_and_b32_e32 v11, 1, v34
	v_lshlrev_b32_e32 v1, 2, v1
	v_sub_nc_u32_e32 v8, v33, v3
	v_add_nc_u32_e32 v2, 9, v2
	v_add_co_ci_u32_e64 v17, null, s19, 0, s0
	s_add_u32 s0, s16, s23
	s_delay_alu instid0(VALU_DEP_3)
	v_add_nc_u32_e32 v6, 10, v8
	v_and_b32_e32 v8, 1, v14
	v_cndmask_b32_e32 v2, v2, v4, vcc_lo
	v_sub_nc_u32_e32 v4, v33, v7
	s_addc_u32 s1, s17, 0
	s_sub_u32 s0, s12, s0
	v_cmp_eq_u32_e32 vcc_lo, 1, v8
	v_lshlrev_b32_e32 v2, 2, v2
	v_add_nc_u32_e32 v4, 12, v4
	s_subb_u32 s1, s13, s1
	v_add_co_u32 v13, s0, s0, v16
	v_cndmask_b32_e32 v3, v6, v3, vcc_lo
	v_cmp_eq_u32_e32 vcc_lo, 1, v10
	v_add_co_ci_u32_e64 v14, null, s1, 0, s0
	v_or_b32_e32 v34, 0x100, v0
	s_delay_alu instid0(VALU_DEP_4)
	v_lshlrev_b32_e32 v3, 2, v3
	v_cndmask_b32_e32 v5, v9, v5, vcc_lo
	v_cmp_eq_u32_e32 vcc_lo, 1, v11
	v_or_b32_e32 v33, 0x200, v0
	v_or_b32_e32 v23, 0xa00, v0
	;; [unrolled: 1-line block ×3, first 2 shown]
	v_dual_cndmask_b32 v4, v4, v7 :: v_dual_lshlrev_b32 v5, 2, v5
	v_cmp_ne_u32_e32 vcc_lo, 1, v31
	s_delay_alu instid0(VALU_DEP_2)
	v_lshlrev_b32_e32 v4, 2, v4
	ds_store_b32 v1, v20
	ds_store_b32 v2, v21
	;; [unrolled: 1-line block ×5, first 2 shown]
	s_waitcnt lgkmcnt(0)
	s_barrier
	buffer_gl0_inv
	ds_load_2addr_stride64_b32 v[11:12], v30 offset1:4
	ds_load_2addr_stride64_b32 v[9:10], v30 offset0:8 offset1:12
	ds_load_2addr_stride64_b32 v[7:8], v30 offset0:16 offset1:20
	;; [unrolled: 1-line block ×5, first 2 shown]
	ds_load_b32 v18, v30 offset:12288
	v_add_co_u32 v20, s0, v13, v15
	v_or_b32_e32 v32, 0x300, v0
	v_or_b32_e32 v19, 0xc00, v0
	v_add_co_ci_u32_e64 v21, s0, v14, v17, s0
	s_mov_b32 s0, 0
	s_cbranch_vccnz .LBB590_130
; %bb.77:
	s_mov_b32 s0, exec_lo
                                        ; implicit-def: $vgpr13_vgpr14
	v_cmpx_ge_u32_e64 v0, v16
	s_xor_b32 s0, exec_lo, s0
; %bb.78:
	v_not_b32_e32 v13, v0
	s_delay_alu instid0(VALU_DEP_1) | instskip(SKIP_1) | instid1(VALU_DEP_2)
	v_ashrrev_i32_e32 v14, 31, v13
	v_add_co_u32 v13, vcc_lo, v20, v13
	v_add_co_ci_u32_e32 v14, vcc_lo, v21, v14, vcc_lo
; %bb.79:
	s_and_not1_saveexec_b32 s0, s0
; %bb.80:
	v_add_co_u32 v13, vcc_lo, v15, v0
	v_add_co_ci_u32_e32 v14, vcc_lo, 0, v17, vcc_lo
; %bb.81:
	s_or_b32 exec_lo, exec_lo, s0
	s_delay_alu instid0(VALU_DEP_1) | instskip(SKIP_1) | instid1(VALU_DEP_1)
	v_lshlrev_b64 v[13:14], 2, v[13:14]
	s_mov_b32 s0, exec_lo
	v_add_co_u32 v13, vcc_lo, s10, v13
	s_delay_alu instid0(VALU_DEP_2)
	v_add_co_ci_u32_e32 v14, vcc_lo, s11, v14, vcc_lo
	s_waitcnt lgkmcnt(6)
	global_store_b32 v[13:14], v11, off
                                        ; implicit-def: $vgpr13_vgpr14
	v_cmpx_ge_u32_e64 v34, v16
	s_xor_b32 s0, exec_lo, s0
; %bb.82:
	v_xor_b32_e32 v13, 0xfffffeff, v0
	s_delay_alu instid0(VALU_DEP_1) | instskip(SKIP_1) | instid1(VALU_DEP_2)
	v_ashrrev_i32_e32 v14, 31, v13
	v_add_co_u32 v13, vcc_lo, v20, v13
	v_add_co_ci_u32_e32 v14, vcc_lo, v21, v14, vcc_lo
; %bb.83:
	s_and_not1_saveexec_b32 s0, s0
; %bb.84:
	v_add_co_u32 v13, vcc_lo, v15, v34
	v_add_co_ci_u32_e32 v14, vcc_lo, 0, v17, vcc_lo
; %bb.85:
	s_or_b32 exec_lo, exec_lo, s0
	s_delay_alu instid0(VALU_DEP_1) | instskip(SKIP_1) | instid1(VALU_DEP_1)
	v_lshlrev_b64 v[13:14], 2, v[13:14]
	s_mov_b32 s0, exec_lo
	v_add_co_u32 v13, vcc_lo, s10, v13
	s_delay_alu instid0(VALU_DEP_2)
	v_add_co_ci_u32_e32 v14, vcc_lo, s11, v14, vcc_lo
	global_store_b32 v[13:14], v12, off
                                        ; implicit-def: $vgpr13_vgpr14
	v_cmpx_ge_u32_e64 v33, v16
	s_xor_b32 s0, exec_lo, s0
; %bb.86:
	v_xor_b32_e32 v13, 0xfffffdff, v0
	s_delay_alu instid0(VALU_DEP_1) | instskip(SKIP_1) | instid1(VALU_DEP_2)
	v_ashrrev_i32_e32 v14, 31, v13
	v_add_co_u32 v13, vcc_lo, v20, v13
	v_add_co_ci_u32_e32 v14, vcc_lo, v21, v14, vcc_lo
; %bb.87:
	s_and_not1_saveexec_b32 s0, s0
; %bb.88:
	v_add_co_u32 v13, vcc_lo, v15, v33
	v_add_co_ci_u32_e32 v14, vcc_lo, 0, v17, vcc_lo
; %bb.89:
	s_or_b32 exec_lo, exec_lo, s0
	s_delay_alu instid0(VALU_DEP_1) | instskip(SKIP_1) | instid1(VALU_DEP_1)
	v_lshlrev_b64 v[13:14], 2, v[13:14]
	s_mov_b32 s0, exec_lo
	v_add_co_u32 v13, vcc_lo, s10, v13
	s_delay_alu instid0(VALU_DEP_2)
	v_add_co_ci_u32_e32 v14, vcc_lo, s11, v14, vcc_lo
	s_waitcnt lgkmcnt(5)
	global_store_b32 v[13:14], v9, off
                                        ; implicit-def: $vgpr13_vgpr14
	v_cmpx_ge_u32_e64 v32, v16
	s_xor_b32 s0, exec_lo, s0
; %bb.90:
	v_xor_b32_e32 v13, 0xfffffcff, v0
	s_delay_alu instid0(VALU_DEP_1) | instskip(SKIP_1) | instid1(VALU_DEP_2)
	v_ashrrev_i32_e32 v14, 31, v13
	v_add_co_u32 v13, vcc_lo, v20, v13
	v_add_co_ci_u32_e32 v14, vcc_lo, v21, v14, vcc_lo
; %bb.91:
	s_and_not1_saveexec_b32 s0, s0
; %bb.92:
	v_add_co_u32 v13, vcc_lo, v15, v32
	v_add_co_ci_u32_e32 v14, vcc_lo, 0, v17, vcc_lo
; %bb.93:
	s_or_b32 exec_lo, exec_lo, s0
	s_delay_alu instid0(VALU_DEP_1) | instskip(SKIP_1) | instid1(VALU_DEP_1)
	v_lshlrev_b64 v[13:14], 2, v[13:14]
	s_mov_b32 s0, exec_lo
	v_add_co_u32 v13, vcc_lo, s10, v13
	s_delay_alu instid0(VALU_DEP_2)
	v_add_co_ci_u32_e32 v14, vcc_lo, s11, v14, vcc_lo
	global_store_b32 v[13:14], v10, off
                                        ; implicit-def: $vgpr13_vgpr14
	v_cmpx_ge_u32_e64 v29, v16
	s_xor_b32 s0, exec_lo, s0
; %bb.94:
	v_xor_b32_e32 v13, 0xfffffbff, v0
	;; [unrolled: 47-line block ×6, first 2 shown]
	s_delay_alu instid0(VALU_DEP_1) | instskip(SKIP_1) | instid1(VALU_DEP_2)
	v_ashrrev_i32_e32 v14, 31, v13
	v_add_co_u32 v13, vcc_lo, v20, v13
	v_add_co_ci_u32_e32 v14, vcc_lo, v21, v14, vcc_lo
; %bb.127:
	s_and_not1_saveexec_b32 s0, s0
; %bb.128:
	v_add_co_u32 v13, vcc_lo, v15, v19
	v_add_co_ci_u32_e32 v14, vcc_lo, 0, v17, vcc_lo
; %bb.129:
	s_or_b32 exec_lo, exec_lo, s0
	s_mov_b32 s0, -1
	s_branch .LBB590_210
.LBB590_130:
                                        ; implicit-def: $vgpr13_vgpr14
	s_cbranch_execz .LBB590_210
; %bb.131:
	s_mov_b32 s1, exec_lo
	v_cmpx_gt_u32_e64 s22, v0
	s_cbranch_execz .LBB590_167
; %bb.132:
	s_mov_b32 s2, exec_lo
                                        ; implicit-def: $vgpr13_vgpr14
	v_cmpx_ge_u32_e64 v0, v16
	s_xor_b32 s2, exec_lo, s2
; %bb.133:
	v_not_b32_e32 v13, v0
	s_delay_alu instid0(VALU_DEP_1) | instskip(SKIP_1) | instid1(VALU_DEP_2)
	v_ashrrev_i32_e32 v14, 31, v13
	v_add_co_u32 v13, vcc_lo, v20, v13
	v_add_co_ci_u32_e32 v14, vcc_lo, v21, v14, vcc_lo
; %bb.134:
	s_and_not1_saveexec_b32 s2, s2
; %bb.135:
	v_add_co_u32 v13, vcc_lo, v15, v0
	v_add_co_ci_u32_e32 v14, vcc_lo, 0, v17, vcc_lo
; %bb.136:
	s_or_b32 exec_lo, exec_lo, s2
	s_delay_alu instid0(VALU_DEP_1) | instskip(NEXT) | instid1(VALU_DEP_1)
	v_lshlrev_b64 v[13:14], 2, v[13:14]
	v_add_co_u32 v13, vcc_lo, s10, v13
	s_delay_alu instid0(VALU_DEP_2) | instskip(SKIP_3) | instid1(SALU_CYCLE_1)
	v_add_co_ci_u32_e32 v14, vcc_lo, s11, v14, vcc_lo
	s_waitcnt lgkmcnt(6)
	global_store_b32 v[13:14], v11, off
	s_or_b32 exec_lo, exec_lo, s1
	s_mov_b32 s1, exec_lo
	v_cmpx_gt_u32_e64 s22, v34
	s_cbranch_execnz .LBB590_168
.LBB590_137:
	s_or_b32 exec_lo, exec_lo, s1
	s_delay_alu instid0(SALU_CYCLE_1)
	s_mov_b32 s1, exec_lo
	v_cmpx_gt_u32_e64 s22, v33
	s_cbranch_execz .LBB590_173
.LBB590_138:
	s_mov_b32 s2, exec_lo
                                        ; implicit-def: $vgpr11_vgpr12
	v_cmpx_ge_u32_e64 v33, v16
	s_xor_b32 s2, exec_lo, s2
	s_cbranch_execz .LBB590_140
; %bb.139:
	s_waitcnt lgkmcnt(6)
	v_xor_b32_e32 v11, 0xfffffdff, v0
                                        ; implicit-def: $vgpr33
	s_delay_alu instid0(VALU_DEP_1) | instskip(SKIP_1) | instid1(VALU_DEP_2)
	v_ashrrev_i32_e32 v12, 31, v11
	v_add_co_u32 v11, vcc_lo, v20, v11
	v_add_co_ci_u32_e32 v12, vcc_lo, v21, v12, vcc_lo
.LBB590_140:
	s_and_not1_saveexec_b32 s2, s2
	s_cbranch_execz .LBB590_142
; %bb.141:
	s_waitcnt lgkmcnt(6)
	v_add_co_u32 v11, vcc_lo, v15, v33
	v_add_co_ci_u32_e32 v12, vcc_lo, 0, v17, vcc_lo
.LBB590_142:
	s_or_b32 exec_lo, exec_lo, s2
	s_waitcnt lgkmcnt(6)
	s_delay_alu instid0(VALU_DEP_1) | instskip(NEXT) | instid1(VALU_DEP_1)
	v_lshlrev_b64 v[11:12], 2, v[11:12]
	v_add_co_u32 v11, vcc_lo, s10, v11
	s_delay_alu instid0(VALU_DEP_2) | instskip(SKIP_3) | instid1(SALU_CYCLE_1)
	v_add_co_ci_u32_e32 v12, vcc_lo, s11, v12, vcc_lo
	s_waitcnt lgkmcnt(5)
	global_store_b32 v[11:12], v9, off
	s_or_b32 exec_lo, exec_lo, s1
	s_mov_b32 s1, exec_lo
	v_cmpx_gt_u32_e64 s22, v32
	s_cbranch_execnz .LBB590_174
.LBB590_143:
	s_or_b32 exec_lo, exec_lo, s1
	s_delay_alu instid0(SALU_CYCLE_1)
	s_mov_b32 s1, exec_lo
	v_cmpx_gt_u32_e64 s22, v29
	s_cbranch_execz .LBB590_179
.LBB590_144:
	s_mov_b32 s2, exec_lo
                                        ; implicit-def: $vgpr9_vgpr10
	v_cmpx_ge_u32_e64 v29, v16
	s_xor_b32 s2, exec_lo, s2
	s_cbranch_execz .LBB590_146
; %bb.145:
	s_waitcnt lgkmcnt(5)
	v_xor_b32_e32 v9, 0xfffffbff, v0
                                        ; implicit-def: $vgpr29
	s_delay_alu instid0(VALU_DEP_1) | instskip(SKIP_1) | instid1(VALU_DEP_2)
	v_ashrrev_i32_e32 v10, 31, v9
	v_add_co_u32 v9, vcc_lo, v20, v9
	v_add_co_ci_u32_e32 v10, vcc_lo, v21, v10, vcc_lo
.LBB590_146:
	s_and_not1_saveexec_b32 s2, s2
	s_cbranch_execz .LBB590_148
; %bb.147:
	s_waitcnt lgkmcnt(5)
	v_add_co_u32 v9, vcc_lo, v15, v29
	v_add_co_ci_u32_e32 v10, vcc_lo, 0, v17, vcc_lo
.LBB590_148:
	s_or_b32 exec_lo, exec_lo, s2
	s_waitcnt lgkmcnt(5)
	s_delay_alu instid0(VALU_DEP_1) | instskip(NEXT) | instid1(VALU_DEP_1)
	v_lshlrev_b64 v[9:10], 2, v[9:10]
	v_add_co_u32 v9, vcc_lo, s10, v9
	s_delay_alu instid0(VALU_DEP_2) | instskip(SKIP_3) | instid1(SALU_CYCLE_1)
	v_add_co_ci_u32_e32 v10, vcc_lo, s11, v10, vcc_lo
	s_waitcnt lgkmcnt(4)
	global_store_b32 v[9:10], v7, off
	s_or_b32 exec_lo, exec_lo, s1
	s_mov_b32 s1, exec_lo
	v_cmpx_gt_u32_e64 s22, v28
	s_cbranch_execnz .LBB590_180
.LBB590_149:
	s_or_b32 exec_lo, exec_lo, s1
	s_delay_alu instid0(SALU_CYCLE_1)
	s_mov_b32 s1, exec_lo
	v_cmpx_gt_u32_e64 s22, v27
	s_cbranch_execz .LBB590_185
.LBB590_150:
	s_mov_b32 s2, exec_lo
                                        ; implicit-def: $vgpr7_vgpr8
	v_cmpx_ge_u32_e64 v27, v16
	s_xor_b32 s2, exec_lo, s2
	s_cbranch_execz .LBB590_152
; %bb.151:
	s_waitcnt lgkmcnt(4)
	v_xor_b32_e32 v7, 0xfffff9ff, v0
                                        ; implicit-def: $vgpr27
	s_delay_alu instid0(VALU_DEP_1) | instskip(SKIP_1) | instid1(VALU_DEP_2)
	v_ashrrev_i32_e32 v8, 31, v7
	v_add_co_u32 v7, vcc_lo, v20, v7
	v_add_co_ci_u32_e32 v8, vcc_lo, v21, v8, vcc_lo
.LBB590_152:
	s_and_not1_saveexec_b32 s2, s2
	s_cbranch_execz .LBB590_154
; %bb.153:
	s_waitcnt lgkmcnt(4)
	v_add_co_u32 v7, vcc_lo, v15, v27
	v_add_co_ci_u32_e32 v8, vcc_lo, 0, v17, vcc_lo
.LBB590_154:
	s_or_b32 exec_lo, exec_lo, s2
	s_waitcnt lgkmcnt(4)
	s_delay_alu instid0(VALU_DEP_1) | instskip(NEXT) | instid1(VALU_DEP_1)
	v_lshlrev_b64 v[7:8], 2, v[7:8]
	v_add_co_u32 v7, vcc_lo, s10, v7
	s_delay_alu instid0(VALU_DEP_2) | instskip(SKIP_3) | instid1(SALU_CYCLE_1)
	v_add_co_ci_u32_e32 v8, vcc_lo, s11, v8, vcc_lo
	s_waitcnt lgkmcnt(3)
	global_store_b32 v[7:8], v5, off
	s_or_b32 exec_lo, exec_lo, s1
	s_mov_b32 s1, exec_lo
	v_cmpx_gt_u32_e64 s22, v26
	s_cbranch_execnz .LBB590_186
.LBB590_155:
	s_or_b32 exec_lo, exec_lo, s1
	s_delay_alu instid0(SALU_CYCLE_1)
	s_mov_b32 s1, exec_lo
	v_cmpx_gt_u32_e64 s22, v25
	s_cbranch_execz .LBB590_191
.LBB590_156:
	s_mov_b32 s2, exec_lo
                                        ; implicit-def: $vgpr5_vgpr6
	v_cmpx_ge_u32_e64 v25, v16
	s_xor_b32 s2, exec_lo, s2
	s_cbranch_execz .LBB590_158
; %bb.157:
	s_waitcnt lgkmcnt(3)
	v_xor_b32_e32 v5, 0xfffff7ff, v0
                                        ; implicit-def: $vgpr25
	s_delay_alu instid0(VALU_DEP_1) | instskip(SKIP_1) | instid1(VALU_DEP_2)
	v_ashrrev_i32_e32 v6, 31, v5
	v_add_co_u32 v5, vcc_lo, v20, v5
	v_add_co_ci_u32_e32 v6, vcc_lo, v21, v6, vcc_lo
.LBB590_158:
	s_and_not1_saveexec_b32 s2, s2
	s_cbranch_execz .LBB590_160
; %bb.159:
	s_waitcnt lgkmcnt(3)
	v_add_co_u32 v5, vcc_lo, v15, v25
	v_add_co_ci_u32_e32 v6, vcc_lo, 0, v17, vcc_lo
.LBB590_160:
	s_or_b32 exec_lo, exec_lo, s2
	s_waitcnt lgkmcnt(3)
	s_delay_alu instid0(VALU_DEP_1) | instskip(NEXT) | instid1(VALU_DEP_1)
	v_lshlrev_b64 v[5:6], 2, v[5:6]
	v_add_co_u32 v5, vcc_lo, s10, v5
	s_delay_alu instid0(VALU_DEP_2) | instskip(SKIP_3) | instid1(SALU_CYCLE_1)
	v_add_co_ci_u32_e32 v6, vcc_lo, s11, v6, vcc_lo
	s_waitcnt lgkmcnt(2)
	global_store_b32 v[5:6], v3, off
	s_or_b32 exec_lo, exec_lo, s1
	s_mov_b32 s1, exec_lo
	v_cmpx_gt_u32_e64 s22, v24
	s_cbranch_execnz .LBB590_192
.LBB590_161:
	s_or_b32 exec_lo, exec_lo, s1
	s_delay_alu instid0(SALU_CYCLE_1)
	s_mov_b32 s1, exec_lo
	v_cmpx_gt_u32_e64 s22, v23
	s_cbranch_execz .LBB590_197
.LBB590_162:
	s_mov_b32 s2, exec_lo
                                        ; implicit-def: $vgpr3_vgpr4
	v_cmpx_ge_u32_e64 v23, v16
	s_xor_b32 s2, exec_lo, s2
	s_cbranch_execz .LBB590_164
; %bb.163:
	s_waitcnt lgkmcnt(2)
	v_xor_b32_e32 v3, 0xfffff5ff, v0
                                        ; implicit-def: $vgpr23
	s_delay_alu instid0(VALU_DEP_1) | instskip(SKIP_1) | instid1(VALU_DEP_2)
	v_ashrrev_i32_e32 v4, 31, v3
	v_add_co_u32 v3, vcc_lo, v20, v3
	v_add_co_ci_u32_e32 v4, vcc_lo, v21, v4, vcc_lo
.LBB590_164:
	s_and_not1_saveexec_b32 s2, s2
	s_cbranch_execz .LBB590_166
; %bb.165:
	s_waitcnt lgkmcnt(2)
	v_add_co_u32 v3, vcc_lo, v15, v23
	v_add_co_ci_u32_e32 v4, vcc_lo, 0, v17, vcc_lo
.LBB590_166:
	s_or_b32 exec_lo, exec_lo, s2
	s_waitcnt lgkmcnt(2)
	s_delay_alu instid0(VALU_DEP_1) | instskip(NEXT) | instid1(VALU_DEP_1)
	v_lshlrev_b64 v[3:4], 2, v[3:4]
	v_add_co_u32 v3, vcc_lo, s10, v3
	s_delay_alu instid0(VALU_DEP_2) | instskip(SKIP_3) | instid1(SALU_CYCLE_1)
	v_add_co_ci_u32_e32 v4, vcc_lo, s11, v4, vcc_lo
	s_waitcnt lgkmcnt(1)
	global_store_b32 v[3:4], v1, off
	s_or_b32 exec_lo, exec_lo, s1
	s_mov_b32 s1, exec_lo
	v_cmpx_gt_u32_e64 s22, v22
	s_cbranch_execz .LBB590_203
	s_branch .LBB590_198
.LBB590_167:
	s_or_b32 exec_lo, exec_lo, s1
	s_delay_alu instid0(SALU_CYCLE_1)
	s_mov_b32 s1, exec_lo
	v_cmpx_gt_u32_e64 s22, v34
	s_cbranch_execz .LBB590_137
.LBB590_168:
	s_mov_b32 s2, exec_lo
                                        ; implicit-def: $vgpr13_vgpr14
	v_cmpx_ge_u32_e64 v34, v16
	s_xor_b32 s2, exec_lo, s2
	s_cbranch_execz .LBB590_170
; %bb.169:
	s_waitcnt lgkmcnt(6)
	v_xor_b32_e32 v11, 0xfffffeff, v0
                                        ; implicit-def: $vgpr34
	s_delay_alu instid0(VALU_DEP_1) | instskip(SKIP_1) | instid1(VALU_DEP_2)
	v_ashrrev_i32_e32 v14, 31, v11
	v_add_co_u32 v13, vcc_lo, v20, v11
	v_add_co_ci_u32_e32 v14, vcc_lo, v21, v14, vcc_lo
.LBB590_170:
	s_and_not1_saveexec_b32 s2, s2
; %bb.171:
	v_add_co_u32 v13, vcc_lo, v15, v34
	v_add_co_ci_u32_e32 v14, vcc_lo, 0, v17, vcc_lo
; %bb.172:
	s_or_b32 exec_lo, exec_lo, s2
	s_delay_alu instid0(VALU_DEP_1) | instskip(NEXT) | instid1(VALU_DEP_1)
	v_lshlrev_b64 v[13:14], 2, v[13:14]
	v_add_co_u32 v13, vcc_lo, s10, v13
	s_delay_alu instid0(VALU_DEP_2) | instskip(SKIP_3) | instid1(SALU_CYCLE_1)
	v_add_co_ci_u32_e32 v14, vcc_lo, s11, v14, vcc_lo
	s_waitcnt lgkmcnt(6)
	global_store_b32 v[13:14], v12, off
	s_or_b32 exec_lo, exec_lo, s1
	s_mov_b32 s1, exec_lo
	v_cmpx_gt_u32_e64 s22, v33
	s_cbranch_execnz .LBB590_138
.LBB590_173:
	s_or_b32 exec_lo, exec_lo, s1
	s_delay_alu instid0(SALU_CYCLE_1)
	s_mov_b32 s1, exec_lo
	v_cmpx_gt_u32_e64 s22, v32
	s_cbranch_execz .LBB590_143
.LBB590_174:
	s_mov_b32 s2, exec_lo
                                        ; implicit-def: $vgpr11_vgpr12
	v_cmpx_ge_u32_e64 v32, v16
	s_xor_b32 s2, exec_lo, s2
	s_cbranch_execz .LBB590_176
; %bb.175:
	s_waitcnt lgkmcnt(5)
	v_xor_b32_e32 v9, 0xfffffcff, v0
                                        ; implicit-def: $vgpr32
	s_delay_alu instid0(VALU_DEP_1) | instskip(SKIP_1) | instid1(VALU_DEP_2)
	v_ashrrev_i32_e32 v12, 31, v9
	v_add_co_u32 v11, vcc_lo, v20, v9
	v_add_co_ci_u32_e32 v12, vcc_lo, v21, v12, vcc_lo
.LBB590_176:
	s_and_not1_saveexec_b32 s2, s2
	s_cbranch_execz .LBB590_178
; %bb.177:
	s_waitcnt lgkmcnt(6)
	v_add_co_u32 v11, vcc_lo, v15, v32
	v_add_co_ci_u32_e32 v12, vcc_lo, 0, v17, vcc_lo
.LBB590_178:
	s_or_b32 exec_lo, exec_lo, s2
	s_waitcnt lgkmcnt(6)
	s_delay_alu instid0(VALU_DEP_1) | instskip(NEXT) | instid1(VALU_DEP_1)
	v_lshlrev_b64 v[11:12], 2, v[11:12]
	v_add_co_u32 v11, vcc_lo, s10, v11
	s_delay_alu instid0(VALU_DEP_2) | instskip(SKIP_3) | instid1(SALU_CYCLE_1)
	v_add_co_ci_u32_e32 v12, vcc_lo, s11, v12, vcc_lo
	s_waitcnt lgkmcnt(5)
	global_store_b32 v[11:12], v10, off
	s_or_b32 exec_lo, exec_lo, s1
	s_mov_b32 s1, exec_lo
	v_cmpx_gt_u32_e64 s22, v29
	s_cbranch_execnz .LBB590_144
.LBB590_179:
	s_or_b32 exec_lo, exec_lo, s1
	s_delay_alu instid0(SALU_CYCLE_1)
	s_mov_b32 s1, exec_lo
	v_cmpx_gt_u32_e64 s22, v28
	s_cbranch_execz .LBB590_149
.LBB590_180:
	s_mov_b32 s2, exec_lo
                                        ; implicit-def: $vgpr9_vgpr10
	v_cmpx_ge_u32_e64 v28, v16
	s_xor_b32 s2, exec_lo, s2
	s_cbranch_execz .LBB590_182
; %bb.181:
	s_waitcnt lgkmcnt(4)
	v_xor_b32_e32 v7, 0xfffffaff, v0
                                        ; implicit-def: $vgpr28
	s_delay_alu instid0(VALU_DEP_1) | instskip(SKIP_1) | instid1(VALU_DEP_2)
	v_ashrrev_i32_e32 v10, 31, v7
	v_add_co_u32 v9, vcc_lo, v20, v7
	v_add_co_ci_u32_e32 v10, vcc_lo, v21, v10, vcc_lo
.LBB590_182:
	s_and_not1_saveexec_b32 s2, s2
	s_cbranch_execz .LBB590_184
; %bb.183:
	s_waitcnt lgkmcnt(5)
	v_add_co_u32 v9, vcc_lo, v15, v28
	v_add_co_ci_u32_e32 v10, vcc_lo, 0, v17, vcc_lo
.LBB590_184:
	s_or_b32 exec_lo, exec_lo, s2
	s_waitcnt lgkmcnt(5)
	s_delay_alu instid0(VALU_DEP_1) | instskip(NEXT) | instid1(VALU_DEP_1)
	v_lshlrev_b64 v[9:10], 2, v[9:10]
	v_add_co_u32 v9, vcc_lo, s10, v9
	s_delay_alu instid0(VALU_DEP_2) | instskip(SKIP_3) | instid1(SALU_CYCLE_1)
	v_add_co_ci_u32_e32 v10, vcc_lo, s11, v10, vcc_lo
	s_waitcnt lgkmcnt(4)
	global_store_b32 v[9:10], v8, off
	s_or_b32 exec_lo, exec_lo, s1
	s_mov_b32 s1, exec_lo
	v_cmpx_gt_u32_e64 s22, v27
	s_cbranch_execnz .LBB590_150
.LBB590_185:
	s_or_b32 exec_lo, exec_lo, s1
	s_delay_alu instid0(SALU_CYCLE_1)
	s_mov_b32 s1, exec_lo
	v_cmpx_gt_u32_e64 s22, v26
	s_cbranch_execz .LBB590_155
.LBB590_186:
	s_mov_b32 s2, exec_lo
                                        ; implicit-def: $vgpr7_vgpr8
	v_cmpx_ge_u32_e64 v26, v16
	s_xor_b32 s2, exec_lo, s2
	s_cbranch_execz .LBB590_188
; %bb.187:
	s_waitcnt lgkmcnt(3)
	v_xor_b32_e32 v5, 0xfffff8ff, v0
                                        ; implicit-def: $vgpr26
	s_delay_alu instid0(VALU_DEP_1) | instskip(SKIP_1) | instid1(VALU_DEP_2)
	v_ashrrev_i32_e32 v8, 31, v5
	v_add_co_u32 v7, vcc_lo, v20, v5
	v_add_co_ci_u32_e32 v8, vcc_lo, v21, v8, vcc_lo
.LBB590_188:
	s_and_not1_saveexec_b32 s2, s2
	s_cbranch_execz .LBB590_190
; %bb.189:
	s_waitcnt lgkmcnt(4)
	v_add_co_u32 v7, vcc_lo, v15, v26
	v_add_co_ci_u32_e32 v8, vcc_lo, 0, v17, vcc_lo
.LBB590_190:
	s_or_b32 exec_lo, exec_lo, s2
	s_waitcnt lgkmcnt(4)
	s_delay_alu instid0(VALU_DEP_1) | instskip(NEXT) | instid1(VALU_DEP_1)
	v_lshlrev_b64 v[7:8], 2, v[7:8]
	v_add_co_u32 v7, vcc_lo, s10, v7
	s_delay_alu instid0(VALU_DEP_2) | instskip(SKIP_3) | instid1(SALU_CYCLE_1)
	v_add_co_ci_u32_e32 v8, vcc_lo, s11, v8, vcc_lo
	s_waitcnt lgkmcnt(3)
	global_store_b32 v[7:8], v6, off
	s_or_b32 exec_lo, exec_lo, s1
	s_mov_b32 s1, exec_lo
	v_cmpx_gt_u32_e64 s22, v25
	s_cbranch_execnz .LBB590_156
.LBB590_191:
	s_or_b32 exec_lo, exec_lo, s1
	s_delay_alu instid0(SALU_CYCLE_1)
	s_mov_b32 s1, exec_lo
	v_cmpx_gt_u32_e64 s22, v24
	s_cbranch_execz .LBB590_161
.LBB590_192:
	s_mov_b32 s2, exec_lo
                                        ; implicit-def: $vgpr5_vgpr6
	v_cmpx_ge_u32_e64 v24, v16
	s_xor_b32 s2, exec_lo, s2
	s_cbranch_execz .LBB590_194
; %bb.193:
	s_waitcnt lgkmcnt(2)
	v_xor_b32_e32 v3, 0xfffff6ff, v0
                                        ; implicit-def: $vgpr24
	s_delay_alu instid0(VALU_DEP_1) | instskip(SKIP_1) | instid1(VALU_DEP_2)
	v_ashrrev_i32_e32 v6, 31, v3
	v_add_co_u32 v5, vcc_lo, v20, v3
	v_add_co_ci_u32_e32 v6, vcc_lo, v21, v6, vcc_lo
.LBB590_194:
	s_and_not1_saveexec_b32 s2, s2
	s_cbranch_execz .LBB590_196
; %bb.195:
	s_waitcnt lgkmcnt(3)
	v_add_co_u32 v5, vcc_lo, v15, v24
	v_add_co_ci_u32_e32 v6, vcc_lo, 0, v17, vcc_lo
.LBB590_196:
	s_or_b32 exec_lo, exec_lo, s2
	s_waitcnt lgkmcnt(3)
	s_delay_alu instid0(VALU_DEP_1) | instskip(NEXT) | instid1(VALU_DEP_1)
	v_lshlrev_b64 v[5:6], 2, v[5:6]
	v_add_co_u32 v5, vcc_lo, s10, v5
	s_delay_alu instid0(VALU_DEP_2) | instskip(SKIP_3) | instid1(SALU_CYCLE_1)
	v_add_co_ci_u32_e32 v6, vcc_lo, s11, v6, vcc_lo
	s_waitcnt lgkmcnt(2)
	global_store_b32 v[5:6], v4, off
	s_or_b32 exec_lo, exec_lo, s1
	s_mov_b32 s1, exec_lo
	v_cmpx_gt_u32_e64 s22, v23
	s_cbranch_execnz .LBB590_162
.LBB590_197:
	s_or_b32 exec_lo, exec_lo, s1
	s_delay_alu instid0(SALU_CYCLE_1)
	s_mov_b32 s1, exec_lo
	v_cmpx_gt_u32_e64 s22, v22
	s_cbranch_execz .LBB590_203
.LBB590_198:
	s_mov_b32 s2, exec_lo
                                        ; implicit-def: $vgpr3_vgpr4
	v_cmpx_ge_u32_e64 v22, v16
	s_xor_b32 s2, exec_lo, s2
	s_cbranch_execz .LBB590_200
; %bb.199:
	s_waitcnt lgkmcnt(1)
	v_xor_b32_e32 v1, 0xfffff4ff, v0
                                        ; implicit-def: $vgpr22
	s_delay_alu instid0(VALU_DEP_1) | instskip(SKIP_1) | instid1(VALU_DEP_2)
	v_ashrrev_i32_e32 v4, 31, v1
	v_add_co_u32 v3, vcc_lo, v20, v1
	v_add_co_ci_u32_e32 v4, vcc_lo, v21, v4, vcc_lo
.LBB590_200:
	s_and_not1_saveexec_b32 s2, s2
	s_cbranch_execz .LBB590_202
; %bb.201:
	s_waitcnt lgkmcnt(2)
	v_add_co_u32 v3, vcc_lo, v15, v22
	v_add_co_ci_u32_e32 v4, vcc_lo, 0, v17, vcc_lo
.LBB590_202:
	s_or_b32 exec_lo, exec_lo, s2
	s_waitcnt lgkmcnt(2)
	s_delay_alu instid0(VALU_DEP_1) | instskip(NEXT) | instid1(VALU_DEP_1)
	v_lshlrev_b64 v[3:4], 2, v[3:4]
	v_add_co_u32 v3, vcc_lo, s10, v3
	s_delay_alu instid0(VALU_DEP_2)
	v_add_co_ci_u32_e32 v4, vcc_lo, s11, v4, vcc_lo
	s_waitcnt lgkmcnt(1)
	global_store_b32 v[3:4], v2, off
.LBB590_203:
	s_or_b32 exec_lo, exec_lo, s1
	s_delay_alu instid0(SALU_CYCLE_1)
	s_mov_b32 s1, exec_lo
                                        ; implicit-def: $vgpr13_vgpr14
	v_cmpx_gt_u32_e64 s22, v19
	s_cbranch_execz .LBB590_209
; %bb.204:
	s_mov_b32 s2, exec_lo
                                        ; implicit-def: $vgpr13_vgpr14
	v_cmpx_ge_u32_e64 v19, v16
	s_xor_b32 s2, exec_lo, s2
	s_cbranch_execz .LBB590_206
; %bb.205:
	s_waitcnt lgkmcnt(1)
	v_xor_b32_e32 v1, 0xfffff3ff, v0
                                        ; implicit-def: $vgpr19
	s_delay_alu instid0(VALU_DEP_1) | instskip(SKIP_1) | instid1(VALU_DEP_2)
	v_ashrrev_i32_e32 v2, 31, v1
	v_add_co_u32 v13, vcc_lo, v20, v1
	v_add_co_ci_u32_e32 v14, vcc_lo, v21, v2, vcc_lo
.LBB590_206:
	s_and_not1_saveexec_b32 s2, s2
; %bb.207:
	v_add_co_u32 v13, vcc_lo, v15, v19
	v_add_co_ci_u32_e32 v14, vcc_lo, 0, v17, vcc_lo
; %bb.208:
	s_or_b32 exec_lo, exec_lo, s2
	s_delay_alu instid0(SALU_CYCLE_1)
	s_or_b32 s0, s0, exec_lo
.LBB590_209:
	s_or_b32 exec_lo, exec_lo, s1
.LBB590_210:
	s_and_saveexec_b32 s1, s0
	s_cbranch_execz .LBB590_212
; %bb.211:
	s_waitcnt lgkmcnt(1)
	v_lshlrev_b64 v[1:2], 2, v[13:14]
	s_delay_alu instid0(VALU_DEP_1) | instskip(NEXT) | instid1(VALU_DEP_2)
	v_add_co_u32 v1, vcc_lo, s10, v1
	v_add_co_ci_u32_e32 v2, vcc_lo, s11, v2, vcc_lo
	s_waitcnt lgkmcnt(0)
	global_store_b32 v[1:2], v18, off
.LBB590_212:
	s_or_b32 exec_lo, exec_lo, s1
	v_cmp_eq_u32_e32 vcc_lo, 0, v0
	s_and_b32 s0, vcc_lo, s14
	s_delay_alu instid0(SALU_CYCLE_1)
	s_and_saveexec_b32 s1, s0
	s_cbranch_execz .LBB590_214
; %bb.213:
	v_add_co_u32 v0, vcc_lo, v15, v16
	s_waitcnt lgkmcnt(1)
	v_mov_b32_e32 v2, 0
	v_add_co_ci_u32_e32 v1, vcc_lo, 0, v17, vcc_lo
	global_store_b64 v2, v[0:1], s[8:9]
.LBB590_214:
	s_nop 0
	s_sendmsg sendmsg(MSG_DEALLOC_VGPRS)
	s_endpgm
	.section	.rodata,"a",@progbits
	.p2align	6, 0x0
	.amdhsa_kernel _ZN7rocprim17ROCPRIM_400000_NS6detail17trampoline_kernelINS0_13select_configILj256ELj13ELNS0_17block_load_methodE3ELS4_3ELS4_3ELNS0_20block_scan_algorithmE0ELj4294967295EEENS1_25partition_config_selectorILNS1_17partition_subalgoE3EjNS0_10empty_typeEbEEZZNS1_14partition_implILS8_3ELb0ES6_jNS0_17counting_iteratorIjlEEPS9_SE_NS0_5tupleIJPjSE_EEENSF_IJSE_SE_EEES9_SG_JZNS1_25segmented_radix_sort_implINS0_14default_configELb0EPKiPiPKlPlN2at6native12_GLOBAL__N_18offset_tEEE10hipError_tPvRmT1_PNSt15iterator_traitsISY_E10value_typeET2_T3_PNSZ_IS14_E10value_typeET4_jRbjT5_S1A_jjP12ihipStream_tbEUljE_EEESV_SW_SX_S14_S18_S1A_T6_T7_T9_mT8_S1C_bDpT10_ENKUlT_T0_E_clISt17integral_constantIbLb1EES1O_IbLb0EEEEDaS1K_S1L_EUlS1K_E_NS1_11comp_targetILNS1_3genE9ELNS1_11target_archE1100ELNS1_3gpuE3ELNS1_3repE0EEENS1_30default_config_static_selectorELNS0_4arch9wavefront6targetE0EEEvSY_
		.amdhsa_group_segment_fixed_size 13324
		.amdhsa_private_segment_fixed_size 0
		.amdhsa_kernarg_size 144
		.amdhsa_user_sgpr_count 15
		.amdhsa_user_sgpr_dispatch_ptr 0
		.amdhsa_user_sgpr_queue_ptr 0
		.amdhsa_user_sgpr_kernarg_segment_ptr 1
		.amdhsa_user_sgpr_dispatch_id 0
		.amdhsa_user_sgpr_private_segment_size 0
		.amdhsa_wavefront_size32 1
		.amdhsa_uses_dynamic_stack 0
		.amdhsa_enable_private_segment 0
		.amdhsa_system_sgpr_workgroup_id_x 1
		.amdhsa_system_sgpr_workgroup_id_y 0
		.amdhsa_system_sgpr_workgroup_id_z 0
		.amdhsa_system_sgpr_workgroup_info 0
		.amdhsa_system_vgpr_workitem_id 0
		.amdhsa_next_free_vgpr 57
		.amdhsa_next_free_sgpr 28
		.amdhsa_reserve_vcc 1
		.amdhsa_float_round_mode_32 0
		.amdhsa_float_round_mode_16_64 0
		.amdhsa_float_denorm_mode_32 3
		.amdhsa_float_denorm_mode_16_64 3
		.amdhsa_dx10_clamp 1
		.amdhsa_ieee_mode 1
		.amdhsa_fp16_overflow 0
		.amdhsa_workgroup_processor_mode 1
		.amdhsa_memory_ordered 1
		.amdhsa_forward_progress 0
		.amdhsa_shared_vgpr_count 0
		.amdhsa_exception_fp_ieee_invalid_op 0
		.amdhsa_exception_fp_denorm_src 0
		.amdhsa_exception_fp_ieee_div_zero 0
		.amdhsa_exception_fp_ieee_overflow 0
		.amdhsa_exception_fp_ieee_underflow 0
		.amdhsa_exception_fp_ieee_inexact 0
		.amdhsa_exception_int_div_zero 0
	.end_amdhsa_kernel
	.section	.text._ZN7rocprim17ROCPRIM_400000_NS6detail17trampoline_kernelINS0_13select_configILj256ELj13ELNS0_17block_load_methodE3ELS4_3ELS4_3ELNS0_20block_scan_algorithmE0ELj4294967295EEENS1_25partition_config_selectorILNS1_17partition_subalgoE3EjNS0_10empty_typeEbEEZZNS1_14partition_implILS8_3ELb0ES6_jNS0_17counting_iteratorIjlEEPS9_SE_NS0_5tupleIJPjSE_EEENSF_IJSE_SE_EEES9_SG_JZNS1_25segmented_radix_sort_implINS0_14default_configELb0EPKiPiPKlPlN2at6native12_GLOBAL__N_18offset_tEEE10hipError_tPvRmT1_PNSt15iterator_traitsISY_E10value_typeET2_T3_PNSZ_IS14_E10value_typeET4_jRbjT5_S1A_jjP12ihipStream_tbEUljE_EEESV_SW_SX_S14_S18_S1A_T6_T7_T9_mT8_S1C_bDpT10_ENKUlT_T0_E_clISt17integral_constantIbLb1EES1O_IbLb0EEEEDaS1K_S1L_EUlS1K_E_NS1_11comp_targetILNS1_3genE9ELNS1_11target_archE1100ELNS1_3gpuE3ELNS1_3repE0EEENS1_30default_config_static_selectorELNS0_4arch9wavefront6targetE0EEEvSY_,"axG",@progbits,_ZN7rocprim17ROCPRIM_400000_NS6detail17trampoline_kernelINS0_13select_configILj256ELj13ELNS0_17block_load_methodE3ELS4_3ELS4_3ELNS0_20block_scan_algorithmE0ELj4294967295EEENS1_25partition_config_selectorILNS1_17partition_subalgoE3EjNS0_10empty_typeEbEEZZNS1_14partition_implILS8_3ELb0ES6_jNS0_17counting_iteratorIjlEEPS9_SE_NS0_5tupleIJPjSE_EEENSF_IJSE_SE_EEES9_SG_JZNS1_25segmented_radix_sort_implINS0_14default_configELb0EPKiPiPKlPlN2at6native12_GLOBAL__N_18offset_tEEE10hipError_tPvRmT1_PNSt15iterator_traitsISY_E10value_typeET2_T3_PNSZ_IS14_E10value_typeET4_jRbjT5_S1A_jjP12ihipStream_tbEUljE_EEESV_SW_SX_S14_S18_S1A_T6_T7_T9_mT8_S1C_bDpT10_ENKUlT_T0_E_clISt17integral_constantIbLb1EES1O_IbLb0EEEEDaS1K_S1L_EUlS1K_E_NS1_11comp_targetILNS1_3genE9ELNS1_11target_archE1100ELNS1_3gpuE3ELNS1_3repE0EEENS1_30default_config_static_selectorELNS0_4arch9wavefront6targetE0EEEvSY_,comdat
.Lfunc_end590:
	.size	_ZN7rocprim17ROCPRIM_400000_NS6detail17trampoline_kernelINS0_13select_configILj256ELj13ELNS0_17block_load_methodE3ELS4_3ELS4_3ELNS0_20block_scan_algorithmE0ELj4294967295EEENS1_25partition_config_selectorILNS1_17partition_subalgoE3EjNS0_10empty_typeEbEEZZNS1_14partition_implILS8_3ELb0ES6_jNS0_17counting_iteratorIjlEEPS9_SE_NS0_5tupleIJPjSE_EEENSF_IJSE_SE_EEES9_SG_JZNS1_25segmented_radix_sort_implINS0_14default_configELb0EPKiPiPKlPlN2at6native12_GLOBAL__N_18offset_tEEE10hipError_tPvRmT1_PNSt15iterator_traitsISY_E10value_typeET2_T3_PNSZ_IS14_E10value_typeET4_jRbjT5_S1A_jjP12ihipStream_tbEUljE_EEESV_SW_SX_S14_S18_S1A_T6_T7_T9_mT8_S1C_bDpT10_ENKUlT_T0_E_clISt17integral_constantIbLb1EES1O_IbLb0EEEEDaS1K_S1L_EUlS1K_E_NS1_11comp_targetILNS1_3genE9ELNS1_11target_archE1100ELNS1_3gpuE3ELNS1_3repE0EEENS1_30default_config_static_selectorELNS0_4arch9wavefront6targetE0EEEvSY_, .Lfunc_end590-_ZN7rocprim17ROCPRIM_400000_NS6detail17trampoline_kernelINS0_13select_configILj256ELj13ELNS0_17block_load_methodE3ELS4_3ELS4_3ELNS0_20block_scan_algorithmE0ELj4294967295EEENS1_25partition_config_selectorILNS1_17partition_subalgoE3EjNS0_10empty_typeEbEEZZNS1_14partition_implILS8_3ELb0ES6_jNS0_17counting_iteratorIjlEEPS9_SE_NS0_5tupleIJPjSE_EEENSF_IJSE_SE_EEES9_SG_JZNS1_25segmented_radix_sort_implINS0_14default_configELb0EPKiPiPKlPlN2at6native12_GLOBAL__N_18offset_tEEE10hipError_tPvRmT1_PNSt15iterator_traitsISY_E10value_typeET2_T3_PNSZ_IS14_E10value_typeET4_jRbjT5_S1A_jjP12ihipStream_tbEUljE_EEESV_SW_SX_S14_S18_S1A_T6_T7_T9_mT8_S1C_bDpT10_ENKUlT_T0_E_clISt17integral_constantIbLb1EES1O_IbLb0EEEEDaS1K_S1L_EUlS1K_E_NS1_11comp_targetILNS1_3genE9ELNS1_11target_archE1100ELNS1_3gpuE3ELNS1_3repE0EEENS1_30default_config_static_selectorELNS0_4arch9wavefront6targetE0EEEvSY_
                                        ; -- End function
	.section	.AMDGPU.csdata,"",@progbits
; Kernel info:
; codeLenInByte = 8964
; NumSgprs: 30
; NumVgprs: 57
; ScratchSize: 0
; MemoryBound: 0
; FloatMode: 240
; IeeeMode: 1
; LDSByteSize: 13324 bytes/workgroup (compile time only)
; SGPRBlocks: 3
; VGPRBlocks: 7
; NumSGPRsForWavesPerEU: 30
; NumVGPRsForWavesPerEU: 57
; Occupancy: 16
; WaveLimiterHint : 0
; COMPUTE_PGM_RSRC2:SCRATCH_EN: 0
; COMPUTE_PGM_RSRC2:USER_SGPR: 15
; COMPUTE_PGM_RSRC2:TRAP_HANDLER: 0
; COMPUTE_PGM_RSRC2:TGID_X_EN: 1
; COMPUTE_PGM_RSRC2:TGID_Y_EN: 0
; COMPUTE_PGM_RSRC2:TGID_Z_EN: 0
; COMPUTE_PGM_RSRC2:TIDIG_COMP_CNT: 0
	.section	.text._ZN7rocprim17ROCPRIM_400000_NS6detail17trampoline_kernelINS0_13select_configILj256ELj13ELNS0_17block_load_methodE3ELS4_3ELS4_3ELNS0_20block_scan_algorithmE0ELj4294967295EEENS1_25partition_config_selectorILNS1_17partition_subalgoE3EjNS0_10empty_typeEbEEZZNS1_14partition_implILS8_3ELb0ES6_jNS0_17counting_iteratorIjlEEPS9_SE_NS0_5tupleIJPjSE_EEENSF_IJSE_SE_EEES9_SG_JZNS1_25segmented_radix_sort_implINS0_14default_configELb0EPKiPiPKlPlN2at6native12_GLOBAL__N_18offset_tEEE10hipError_tPvRmT1_PNSt15iterator_traitsISY_E10value_typeET2_T3_PNSZ_IS14_E10value_typeET4_jRbjT5_S1A_jjP12ihipStream_tbEUljE_EEESV_SW_SX_S14_S18_S1A_T6_T7_T9_mT8_S1C_bDpT10_ENKUlT_T0_E_clISt17integral_constantIbLb1EES1O_IbLb0EEEEDaS1K_S1L_EUlS1K_E_NS1_11comp_targetILNS1_3genE8ELNS1_11target_archE1030ELNS1_3gpuE2ELNS1_3repE0EEENS1_30default_config_static_selectorELNS0_4arch9wavefront6targetE0EEEvSY_,"axG",@progbits,_ZN7rocprim17ROCPRIM_400000_NS6detail17trampoline_kernelINS0_13select_configILj256ELj13ELNS0_17block_load_methodE3ELS4_3ELS4_3ELNS0_20block_scan_algorithmE0ELj4294967295EEENS1_25partition_config_selectorILNS1_17partition_subalgoE3EjNS0_10empty_typeEbEEZZNS1_14partition_implILS8_3ELb0ES6_jNS0_17counting_iteratorIjlEEPS9_SE_NS0_5tupleIJPjSE_EEENSF_IJSE_SE_EEES9_SG_JZNS1_25segmented_radix_sort_implINS0_14default_configELb0EPKiPiPKlPlN2at6native12_GLOBAL__N_18offset_tEEE10hipError_tPvRmT1_PNSt15iterator_traitsISY_E10value_typeET2_T3_PNSZ_IS14_E10value_typeET4_jRbjT5_S1A_jjP12ihipStream_tbEUljE_EEESV_SW_SX_S14_S18_S1A_T6_T7_T9_mT8_S1C_bDpT10_ENKUlT_T0_E_clISt17integral_constantIbLb1EES1O_IbLb0EEEEDaS1K_S1L_EUlS1K_E_NS1_11comp_targetILNS1_3genE8ELNS1_11target_archE1030ELNS1_3gpuE2ELNS1_3repE0EEENS1_30default_config_static_selectorELNS0_4arch9wavefront6targetE0EEEvSY_,comdat
	.globl	_ZN7rocprim17ROCPRIM_400000_NS6detail17trampoline_kernelINS0_13select_configILj256ELj13ELNS0_17block_load_methodE3ELS4_3ELS4_3ELNS0_20block_scan_algorithmE0ELj4294967295EEENS1_25partition_config_selectorILNS1_17partition_subalgoE3EjNS0_10empty_typeEbEEZZNS1_14partition_implILS8_3ELb0ES6_jNS0_17counting_iteratorIjlEEPS9_SE_NS0_5tupleIJPjSE_EEENSF_IJSE_SE_EEES9_SG_JZNS1_25segmented_radix_sort_implINS0_14default_configELb0EPKiPiPKlPlN2at6native12_GLOBAL__N_18offset_tEEE10hipError_tPvRmT1_PNSt15iterator_traitsISY_E10value_typeET2_T3_PNSZ_IS14_E10value_typeET4_jRbjT5_S1A_jjP12ihipStream_tbEUljE_EEESV_SW_SX_S14_S18_S1A_T6_T7_T9_mT8_S1C_bDpT10_ENKUlT_T0_E_clISt17integral_constantIbLb1EES1O_IbLb0EEEEDaS1K_S1L_EUlS1K_E_NS1_11comp_targetILNS1_3genE8ELNS1_11target_archE1030ELNS1_3gpuE2ELNS1_3repE0EEENS1_30default_config_static_selectorELNS0_4arch9wavefront6targetE0EEEvSY_ ; -- Begin function _ZN7rocprim17ROCPRIM_400000_NS6detail17trampoline_kernelINS0_13select_configILj256ELj13ELNS0_17block_load_methodE3ELS4_3ELS4_3ELNS0_20block_scan_algorithmE0ELj4294967295EEENS1_25partition_config_selectorILNS1_17partition_subalgoE3EjNS0_10empty_typeEbEEZZNS1_14partition_implILS8_3ELb0ES6_jNS0_17counting_iteratorIjlEEPS9_SE_NS0_5tupleIJPjSE_EEENSF_IJSE_SE_EEES9_SG_JZNS1_25segmented_radix_sort_implINS0_14default_configELb0EPKiPiPKlPlN2at6native12_GLOBAL__N_18offset_tEEE10hipError_tPvRmT1_PNSt15iterator_traitsISY_E10value_typeET2_T3_PNSZ_IS14_E10value_typeET4_jRbjT5_S1A_jjP12ihipStream_tbEUljE_EEESV_SW_SX_S14_S18_S1A_T6_T7_T9_mT8_S1C_bDpT10_ENKUlT_T0_E_clISt17integral_constantIbLb1EES1O_IbLb0EEEEDaS1K_S1L_EUlS1K_E_NS1_11comp_targetILNS1_3genE8ELNS1_11target_archE1030ELNS1_3gpuE2ELNS1_3repE0EEENS1_30default_config_static_selectorELNS0_4arch9wavefront6targetE0EEEvSY_
	.p2align	8
	.type	_ZN7rocprim17ROCPRIM_400000_NS6detail17trampoline_kernelINS0_13select_configILj256ELj13ELNS0_17block_load_methodE3ELS4_3ELS4_3ELNS0_20block_scan_algorithmE0ELj4294967295EEENS1_25partition_config_selectorILNS1_17partition_subalgoE3EjNS0_10empty_typeEbEEZZNS1_14partition_implILS8_3ELb0ES6_jNS0_17counting_iteratorIjlEEPS9_SE_NS0_5tupleIJPjSE_EEENSF_IJSE_SE_EEES9_SG_JZNS1_25segmented_radix_sort_implINS0_14default_configELb0EPKiPiPKlPlN2at6native12_GLOBAL__N_18offset_tEEE10hipError_tPvRmT1_PNSt15iterator_traitsISY_E10value_typeET2_T3_PNSZ_IS14_E10value_typeET4_jRbjT5_S1A_jjP12ihipStream_tbEUljE_EEESV_SW_SX_S14_S18_S1A_T6_T7_T9_mT8_S1C_bDpT10_ENKUlT_T0_E_clISt17integral_constantIbLb1EES1O_IbLb0EEEEDaS1K_S1L_EUlS1K_E_NS1_11comp_targetILNS1_3genE8ELNS1_11target_archE1030ELNS1_3gpuE2ELNS1_3repE0EEENS1_30default_config_static_selectorELNS0_4arch9wavefront6targetE0EEEvSY_,@function
_ZN7rocprim17ROCPRIM_400000_NS6detail17trampoline_kernelINS0_13select_configILj256ELj13ELNS0_17block_load_methodE3ELS4_3ELS4_3ELNS0_20block_scan_algorithmE0ELj4294967295EEENS1_25partition_config_selectorILNS1_17partition_subalgoE3EjNS0_10empty_typeEbEEZZNS1_14partition_implILS8_3ELb0ES6_jNS0_17counting_iteratorIjlEEPS9_SE_NS0_5tupleIJPjSE_EEENSF_IJSE_SE_EEES9_SG_JZNS1_25segmented_radix_sort_implINS0_14default_configELb0EPKiPiPKlPlN2at6native12_GLOBAL__N_18offset_tEEE10hipError_tPvRmT1_PNSt15iterator_traitsISY_E10value_typeET2_T3_PNSZ_IS14_E10value_typeET4_jRbjT5_S1A_jjP12ihipStream_tbEUljE_EEESV_SW_SX_S14_S18_S1A_T6_T7_T9_mT8_S1C_bDpT10_ENKUlT_T0_E_clISt17integral_constantIbLb1EES1O_IbLb0EEEEDaS1K_S1L_EUlS1K_E_NS1_11comp_targetILNS1_3genE8ELNS1_11target_archE1030ELNS1_3gpuE2ELNS1_3repE0EEENS1_30default_config_static_selectorELNS0_4arch9wavefront6targetE0EEEvSY_: ; @_ZN7rocprim17ROCPRIM_400000_NS6detail17trampoline_kernelINS0_13select_configILj256ELj13ELNS0_17block_load_methodE3ELS4_3ELS4_3ELNS0_20block_scan_algorithmE0ELj4294967295EEENS1_25partition_config_selectorILNS1_17partition_subalgoE3EjNS0_10empty_typeEbEEZZNS1_14partition_implILS8_3ELb0ES6_jNS0_17counting_iteratorIjlEEPS9_SE_NS0_5tupleIJPjSE_EEENSF_IJSE_SE_EEES9_SG_JZNS1_25segmented_radix_sort_implINS0_14default_configELb0EPKiPiPKlPlN2at6native12_GLOBAL__N_18offset_tEEE10hipError_tPvRmT1_PNSt15iterator_traitsISY_E10value_typeET2_T3_PNSZ_IS14_E10value_typeET4_jRbjT5_S1A_jjP12ihipStream_tbEUljE_EEESV_SW_SX_S14_S18_S1A_T6_T7_T9_mT8_S1C_bDpT10_ENKUlT_T0_E_clISt17integral_constantIbLb1EES1O_IbLb0EEEEDaS1K_S1L_EUlS1K_E_NS1_11comp_targetILNS1_3genE8ELNS1_11target_archE1030ELNS1_3gpuE2ELNS1_3repE0EEENS1_30default_config_static_selectorELNS0_4arch9wavefront6targetE0EEEvSY_
; %bb.0:
	.section	.rodata,"a",@progbits
	.p2align	6, 0x0
	.amdhsa_kernel _ZN7rocprim17ROCPRIM_400000_NS6detail17trampoline_kernelINS0_13select_configILj256ELj13ELNS0_17block_load_methodE3ELS4_3ELS4_3ELNS0_20block_scan_algorithmE0ELj4294967295EEENS1_25partition_config_selectorILNS1_17partition_subalgoE3EjNS0_10empty_typeEbEEZZNS1_14partition_implILS8_3ELb0ES6_jNS0_17counting_iteratorIjlEEPS9_SE_NS0_5tupleIJPjSE_EEENSF_IJSE_SE_EEES9_SG_JZNS1_25segmented_radix_sort_implINS0_14default_configELb0EPKiPiPKlPlN2at6native12_GLOBAL__N_18offset_tEEE10hipError_tPvRmT1_PNSt15iterator_traitsISY_E10value_typeET2_T3_PNSZ_IS14_E10value_typeET4_jRbjT5_S1A_jjP12ihipStream_tbEUljE_EEESV_SW_SX_S14_S18_S1A_T6_T7_T9_mT8_S1C_bDpT10_ENKUlT_T0_E_clISt17integral_constantIbLb1EES1O_IbLb0EEEEDaS1K_S1L_EUlS1K_E_NS1_11comp_targetILNS1_3genE8ELNS1_11target_archE1030ELNS1_3gpuE2ELNS1_3repE0EEENS1_30default_config_static_selectorELNS0_4arch9wavefront6targetE0EEEvSY_
		.amdhsa_group_segment_fixed_size 0
		.amdhsa_private_segment_fixed_size 0
		.amdhsa_kernarg_size 144
		.amdhsa_user_sgpr_count 15
		.amdhsa_user_sgpr_dispatch_ptr 0
		.amdhsa_user_sgpr_queue_ptr 0
		.amdhsa_user_sgpr_kernarg_segment_ptr 1
		.amdhsa_user_sgpr_dispatch_id 0
		.amdhsa_user_sgpr_private_segment_size 0
		.amdhsa_wavefront_size32 1
		.amdhsa_uses_dynamic_stack 0
		.amdhsa_enable_private_segment 0
		.amdhsa_system_sgpr_workgroup_id_x 1
		.amdhsa_system_sgpr_workgroup_id_y 0
		.amdhsa_system_sgpr_workgroup_id_z 0
		.amdhsa_system_sgpr_workgroup_info 0
		.amdhsa_system_vgpr_workitem_id 0
		.amdhsa_next_free_vgpr 1
		.amdhsa_next_free_sgpr 1
		.amdhsa_reserve_vcc 0
		.amdhsa_float_round_mode_32 0
		.amdhsa_float_round_mode_16_64 0
		.amdhsa_float_denorm_mode_32 3
		.amdhsa_float_denorm_mode_16_64 3
		.amdhsa_dx10_clamp 1
		.amdhsa_ieee_mode 1
		.amdhsa_fp16_overflow 0
		.amdhsa_workgroup_processor_mode 1
		.amdhsa_memory_ordered 1
		.amdhsa_forward_progress 0
		.amdhsa_shared_vgpr_count 0
		.amdhsa_exception_fp_ieee_invalid_op 0
		.amdhsa_exception_fp_denorm_src 0
		.amdhsa_exception_fp_ieee_div_zero 0
		.amdhsa_exception_fp_ieee_overflow 0
		.amdhsa_exception_fp_ieee_underflow 0
		.amdhsa_exception_fp_ieee_inexact 0
		.amdhsa_exception_int_div_zero 0
	.end_amdhsa_kernel
	.section	.text._ZN7rocprim17ROCPRIM_400000_NS6detail17trampoline_kernelINS0_13select_configILj256ELj13ELNS0_17block_load_methodE3ELS4_3ELS4_3ELNS0_20block_scan_algorithmE0ELj4294967295EEENS1_25partition_config_selectorILNS1_17partition_subalgoE3EjNS0_10empty_typeEbEEZZNS1_14partition_implILS8_3ELb0ES6_jNS0_17counting_iteratorIjlEEPS9_SE_NS0_5tupleIJPjSE_EEENSF_IJSE_SE_EEES9_SG_JZNS1_25segmented_radix_sort_implINS0_14default_configELb0EPKiPiPKlPlN2at6native12_GLOBAL__N_18offset_tEEE10hipError_tPvRmT1_PNSt15iterator_traitsISY_E10value_typeET2_T3_PNSZ_IS14_E10value_typeET4_jRbjT5_S1A_jjP12ihipStream_tbEUljE_EEESV_SW_SX_S14_S18_S1A_T6_T7_T9_mT8_S1C_bDpT10_ENKUlT_T0_E_clISt17integral_constantIbLb1EES1O_IbLb0EEEEDaS1K_S1L_EUlS1K_E_NS1_11comp_targetILNS1_3genE8ELNS1_11target_archE1030ELNS1_3gpuE2ELNS1_3repE0EEENS1_30default_config_static_selectorELNS0_4arch9wavefront6targetE0EEEvSY_,"axG",@progbits,_ZN7rocprim17ROCPRIM_400000_NS6detail17trampoline_kernelINS0_13select_configILj256ELj13ELNS0_17block_load_methodE3ELS4_3ELS4_3ELNS0_20block_scan_algorithmE0ELj4294967295EEENS1_25partition_config_selectorILNS1_17partition_subalgoE3EjNS0_10empty_typeEbEEZZNS1_14partition_implILS8_3ELb0ES6_jNS0_17counting_iteratorIjlEEPS9_SE_NS0_5tupleIJPjSE_EEENSF_IJSE_SE_EEES9_SG_JZNS1_25segmented_radix_sort_implINS0_14default_configELb0EPKiPiPKlPlN2at6native12_GLOBAL__N_18offset_tEEE10hipError_tPvRmT1_PNSt15iterator_traitsISY_E10value_typeET2_T3_PNSZ_IS14_E10value_typeET4_jRbjT5_S1A_jjP12ihipStream_tbEUljE_EEESV_SW_SX_S14_S18_S1A_T6_T7_T9_mT8_S1C_bDpT10_ENKUlT_T0_E_clISt17integral_constantIbLb1EES1O_IbLb0EEEEDaS1K_S1L_EUlS1K_E_NS1_11comp_targetILNS1_3genE8ELNS1_11target_archE1030ELNS1_3gpuE2ELNS1_3repE0EEENS1_30default_config_static_selectorELNS0_4arch9wavefront6targetE0EEEvSY_,comdat
.Lfunc_end591:
	.size	_ZN7rocprim17ROCPRIM_400000_NS6detail17trampoline_kernelINS0_13select_configILj256ELj13ELNS0_17block_load_methodE3ELS4_3ELS4_3ELNS0_20block_scan_algorithmE0ELj4294967295EEENS1_25partition_config_selectorILNS1_17partition_subalgoE3EjNS0_10empty_typeEbEEZZNS1_14partition_implILS8_3ELb0ES6_jNS0_17counting_iteratorIjlEEPS9_SE_NS0_5tupleIJPjSE_EEENSF_IJSE_SE_EEES9_SG_JZNS1_25segmented_radix_sort_implINS0_14default_configELb0EPKiPiPKlPlN2at6native12_GLOBAL__N_18offset_tEEE10hipError_tPvRmT1_PNSt15iterator_traitsISY_E10value_typeET2_T3_PNSZ_IS14_E10value_typeET4_jRbjT5_S1A_jjP12ihipStream_tbEUljE_EEESV_SW_SX_S14_S18_S1A_T6_T7_T9_mT8_S1C_bDpT10_ENKUlT_T0_E_clISt17integral_constantIbLb1EES1O_IbLb0EEEEDaS1K_S1L_EUlS1K_E_NS1_11comp_targetILNS1_3genE8ELNS1_11target_archE1030ELNS1_3gpuE2ELNS1_3repE0EEENS1_30default_config_static_selectorELNS0_4arch9wavefront6targetE0EEEvSY_, .Lfunc_end591-_ZN7rocprim17ROCPRIM_400000_NS6detail17trampoline_kernelINS0_13select_configILj256ELj13ELNS0_17block_load_methodE3ELS4_3ELS4_3ELNS0_20block_scan_algorithmE0ELj4294967295EEENS1_25partition_config_selectorILNS1_17partition_subalgoE3EjNS0_10empty_typeEbEEZZNS1_14partition_implILS8_3ELb0ES6_jNS0_17counting_iteratorIjlEEPS9_SE_NS0_5tupleIJPjSE_EEENSF_IJSE_SE_EEES9_SG_JZNS1_25segmented_radix_sort_implINS0_14default_configELb0EPKiPiPKlPlN2at6native12_GLOBAL__N_18offset_tEEE10hipError_tPvRmT1_PNSt15iterator_traitsISY_E10value_typeET2_T3_PNSZ_IS14_E10value_typeET4_jRbjT5_S1A_jjP12ihipStream_tbEUljE_EEESV_SW_SX_S14_S18_S1A_T6_T7_T9_mT8_S1C_bDpT10_ENKUlT_T0_E_clISt17integral_constantIbLb1EES1O_IbLb0EEEEDaS1K_S1L_EUlS1K_E_NS1_11comp_targetILNS1_3genE8ELNS1_11target_archE1030ELNS1_3gpuE2ELNS1_3repE0EEENS1_30default_config_static_selectorELNS0_4arch9wavefront6targetE0EEEvSY_
                                        ; -- End function
	.section	.AMDGPU.csdata,"",@progbits
; Kernel info:
; codeLenInByte = 0
; NumSgprs: 0
; NumVgprs: 0
; ScratchSize: 0
; MemoryBound: 0
; FloatMode: 240
; IeeeMode: 1
; LDSByteSize: 0 bytes/workgroup (compile time only)
; SGPRBlocks: 0
; VGPRBlocks: 0
; NumSGPRsForWavesPerEU: 1
; NumVGPRsForWavesPerEU: 1
; Occupancy: 16
; WaveLimiterHint : 0
; COMPUTE_PGM_RSRC2:SCRATCH_EN: 0
; COMPUTE_PGM_RSRC2:USER_SGPR: 15
; COMPUTE_PGM_RSRC2:TRAP_HANDLER: 0
; COMPUTE_PGM_RSRC2:TGID_X_EN: 1
; COMPUTE_PGM_RSRC2:TGID_Y_EN: 0
; COMPUTE_PGM_RSRC2:TGID_Z_EN: 0
; COMPUTE_PGM_RSRC2:TIDIG_COMP_CNT: 0
	.section	.text._ZN7rocprim17ROCPRIM_400000_NS6detail17trampoline_kernelINS0_13select_configILj256ELj13ELNS0_17block_load_methodE3ELS4_3ELS4_3ELNS0_20block_scan_algorithmE0ELj4294967295EEENS1_25partition_config_selectorILNS1_17partition_subalgoE3EjNS0_10empty_typeEbEEZZNS1_14partition_implILS8_3ELb0ES6_jNS0_17counting_iteratorIjlEEPS9_SE_NS0_5tupleIJPjSE_EEENSF_IJSE_SE_EEES9_SG_JZNS1_25segmented_radix_sort_implINS0_14default_configELb0EPKiPiPKlPlN2at6native12_GLOBAL__N_18offset_tEEE10hipError_tPvRmT1_PNSt15iterator_traitsISY_E10value_typeET2_T3_PNSZ_IS14_E10value_typeET4_jRbjT5_S1A_jjP12ihipStream_tbEUljE_EEESV_SW_SX_S14_S18_S1A_T6_T7_T9_mT8_S1C_bDpT10_ENKUlT_T0_E_clISt17integral_constantIbLb0EES1O_IbLb1EEEEDaS1K_S1L_EUlS1K_E_NS1_11comp_targetILNS1_3genE0ELNS1_11target_archE4294967295ELNS1_3gpuE0ELNS1_3repE0EEENS1_30default_config_static_selectorELNS0_4arch9wavefront6targetE0EEEvSY_,"axG",@progbits,_ZN7rocprim17ROCPRIM_400000_NS6detail17trampoline_kernelINS0_13select_configILj256ELj13ELNS0_17block_load_methodE3ELS4_3ELS4_3ELNS0_20block_scan_algorithmE0ELj4294967295EEENS1_25partition_config_selectorILNS1_17partition_subalgoE3EjNS0_10empty_typeEbEEZZNS1_14partition_implILS8_3ELb0ES6_jNS0_17counting_iteratorIjlEEPS9_SE_NS0_5tupleIJPjSE_EEENSF_IJSE_SE_EEES9_SG_JZNS1_25segmented_radix_sort_implINS0_14default_configELb0EPKiPiPKlPlN2at6native12_GLOBAL__N_18offset_tEEE10hipError_tPvRmT1_PNSt15iterator_traitsISY_E10value_typeET2_T3_PNSZ_IS14_E10value_typeET4_jRbjT5_S1A_jjP12ihipStream_tbEUljE_EEESV_SW_SX_S14_S18_S1A_T6_T7_T9_mT8_S1C_bDpT10_ENKUlT_T0_E_clISt17integral_constantIbLb0EES1O_IbLb1EEEEDaS1K_S1L_EUlS1K_E_NS1_11comp_targetILNS1_3genE0ELNS1_11target_archE4294967295ELNS1_3gpuE0ELNS1_3repE0EEENS1_30default_config_static_selectorELNS0_4arch9wavefront6targetE0EEEvSY_,comdat
	.globl	_ZN7rocprim17ROCPRIM_400000_NS6detail17trampoline_kernelINS0_13select_configILj256ELj13ELNS0_17block_load_methodE3ELS4_3ELS4_3ELNS0_20block_scan_algorithmE0ELj4294967295EEENS1_25partition_config_selectorILNS1_17partition_subalgoE3EjNS0_10empty_typeEbEEZZNS1_14partition_implILS8_3ELb0ES6_jNS0_17counting_iteratorIjlEEPS9_SE_NS0_5tupleIJPjSE_EEENSF_IJSE_SE_EEES9_SG_JZNS1_25segmented_radix_sort_implINS0_14default_configELb0EPKiPiPKlPlN2at6native12_GLOBAL__N_18offset_tEEE10hipError_tPvRmT1_PNSt15iterator_traitsISY_E10value_typeET2_T3_PNSZ_IS14_E10value_typeET4_jRbjT5_S1A_jjP12ihipStream_tbEUljE_EEESV_SW_SX_S14_S18_S1A_T6_T7_T9_mT8_S1C_bDpT10_ENKUlT_T0_E_clISt17integral_constantIbLb0EES1O_IbLb1EEEEDaS1K_S1L_EUlS1K_E_NS1_11comp_targetILNS1_3genE0ELNS1_11target_archE4294967295ELNS1_3gpuE0ELNS1_3repE0EEENS1_30default_config_static_selectorELNS0_4arch9wavefront6targetE0EEEvSY_ ; -- Begin function _ZN7rocprim17ROCPRIM_400000_NS6detail17trampoline_kernelINS0_13select_configILj256ELj13ELNS0_17block_load_methodE3ELS4_3ELS4_3ELNS0_20block_scan_algorithmE0ELj4294967295EEENS1_25partition_config_selectorILNS1_17partition_subalgoE3EjNS0_10empty_typeEbEEZZNS1_14partition_implILS8_3ELb0ES6_jNS0_17counting_iteratorIjlEEPS9_SE_NS0_5tupleIJPjSE_EEENSF_IJSE_SE_EEES9_SG_JZNS1_25segmented_radix_sort_implINS0_14default_configELb0EPKiPiPKlPlN2at6native12_GLOBAL__N_18offset_tEEE10hipError_tPvRmT1_PNSt15iterator_traitsISY_E10value_typeET2_T3_PNSZ_IS14_E10value_typeET4_jRbjT5_S1A_jjP12ihipStream_tbEUljE_EEESV_SW_SX_S14_S18_S1A_T6_T7_T9_mT8_S1C_bDpT10_ENKUlT_T0_E_clISt17integral_constantIbLb0EES1O_IbLb1EEEEDaS1K_S1L_EUlS1K_E_NS1_11comp_targetILNS1_3genE0ELNS1_11target_archE4294967295ELNS1_3gpuE0ELNS1_3repE0EEENS1_30default_config_static_selectorELNS0_4arch9wavefront6targetE0EEEvSY_
	.p2align	8
	.type	_ZN7rocprim17ROCPRIM_400000_NS6detail17trampoline_kernelINS0_13select_configILj256ELj13ELNS0_17block_load_methodE3ELS4_3ELS4_3ELNS0_20block_scan_algorithmE0ELj4294967295EEENS1_25partition_config_selectorILNS1_17partition_subalgoE3EjNS0_10empty_typeEbEEZZNS1_14partition_implILS8_3ELb0ES6_jNS0_17counting_iteratorIjlEEPS9_SE_NS0_5tupleIJPjSE_EEENSF_IJSE_SE_EEES9_SG_JZNS1_25segmented_radix_sort_implINS0_14default_configELb0EPKiPiPKlPlN2at6native12_GLOBAL__N_18offset_tEEE10hipError_tPvRmT1_PNSt15iterator_traitsISY_E10value_typeET2_T3_PNSZ_IS14_E10value_typeET4_jRbjT5_S1A_jjP12ihipStream_tbEUljE_EEESV_SW_SX_S14_S18_S1A_T6_T7_T9_mT8_S1C_bDpT10_ENKUlT_T0_E_clISt17integral_constantIbLb0EES1O_IbLb1EEEEDaS1K_S1L_EUlS1K_E_NS1_11comp_targetILNS1_3genE0ELNS1_11target_archE4294967295ELNS1_3gpuE0ELNS1_3repE0EEENS1_30default_config_static_selectorELNS0_4arch9wavefront6targetE0EEEvSY_,@function
_ZN7rocprim17ROCPRIM_400000_NS6detail17trampoline_kernelINS0_13select_configILj256ELj13ELNS0_17block_load_methodE3ELS4_3ELS4_3ELNS0_20block_scan_algorithmE0ELj4294967295EEENS1_25partition_config_selectorILNS1_17partition_subalgoE3EjNS0_10empty_typeEbEEZZNS1_14partition_implILS8_3ELb0ES6_jNS0_17counting_iteratorIjlEEPS9_SE_NS0_5tupleIJPjSE_EEENSF_IJSE_SE_EEES9_SG_JZNS1_25segmented_radix_sort_implINS0_14default_configELb0EPKiPiPKlPlN2at6native12_GLOBAL__N_18offset_tEEE10hipError_tPvRmT1_PNSt15iterator_traitsISY_E10value_typeET2_T3_PNSZ_IS14_E10value_typeET4_jRbjT5_S1A_jjP12ihipStream_tbEUljE_EEESV_SW_SX_S14_S18_S1A_T6_T7_T9_mT8_S1C_bDpT10_ENKUlT_T0_E_clISt17integral_constantIbLb0EES1O_IbLb1EEEEDaS1K_S1L_EUlS1K_E_NS1_11comp_targetILNS1_3genE0ELNS1_11target_archE4294967295ELNS1_3gpuE0ELNS1_3repE0EEENS1_30default_config_static_selectorELNS0_4arch9wavefront6targetE0EEEvSY_: ; @_ZN7rocprim17ROCPRIM_400000_NS6detail17trampoline_kernelINS0_13select_configILj256ELj13ELNS0_17block_load_methodE3ELS4_3ELS4_3ELNS0_20block_scan_algorithmE0ELj4294967295EEENS1_25partition_config_selectorILNS1_17partition_subalgoE3EjNS0_10empty_typeEbEEZZNS1_14partition_implILS8_3ELb0ES6_jNS0_17counting_iteratorIjlEEPS9_SE_NS0_5tupleIJPjSE_EEENSF_IJSE_SE_EEES9_SG_JZNS1_25segmented_radix_sort_implINS0_14default_configELb0EPKiPiPKlPlN2at6native12_GLOBAL__N_18offset_tEEE10hipError_tPvRmT1_PNSt15iterator_traitsISY_E10value_typeET2_T3_PNSZ_IS14_E10value_typeET4_jRbjT5_S1A_jjP12ihipStream_tbEUljE_EEESV_SW_SX_S14_S18_S1A_T6_T7_T9_mT8_S1C_bDpT10_ENKUlT_T0_E_clISt17integral_constantIbLb0EES1O_IbLb1EEEEDaS1K_S1L_EUlS1K_E_NS1_11comp_targetILNS1_3genE0ELNS1_11target_archE4294967295ELNS1_3gpuE0ELNS1_3repE0EEENS1_30default_config_static_selectorELNS0_4arch9wavefront6targetE0EEEvSY_
; %bb.0:
	.section	.rodata,"a",@progbits
	.p2align	6, 0x0
	.amdhsa_kernel _ZN7rocprim17ROCPRIM_400000_NS6detail17trampoline_kernelINS0_13select_configILj256ELj13ELNS0_17block_load_methodE3ELS4_3ELS4_3ELNS0_20block_scan_algorithmE0ELj4294967295EEENS1_25partition_config_selectorILNS1_17partition_subalgoE3EjNS0_10empty_typeEbEEZZNS1_14partition_implILS8_3ELb0ES6_jNS0_17counting_iteratorIjlEEPS9_SE_NS0_5tupleIJPjSE_EEENSF_IJSE_SE_EEES9_SG_JZNS1_25segmented_radix_sort_implINS0_14default_configELb0EPKiPiPKlPlN2at6native12_GLOBAL__N_18offset_tEEE10hipError_tPvRmT1_PNSt15iterator_traitsISY_E10value_typeET2_T3_PNSZ_IS14_E10value_typeET4_jRbjT5_S1A_jjP12ihipStream_tbEUljE_EEESV_SW_SX_S14_S18_S1A_T6_T7_T9_mT8_S1C_bDpT10_ENKUlT_T0_E_clISt17integral_constantIbLb0EES1O_IbLb1EEEEDaS1K_S1L_EUlS1K_E_NS1_11comp_targetILNS1_3genE0ELNS1_11target_archE4294967295ELNS1_3gpuE0ELNS1_3repE0EEENS1_30default_config_static_selectorELNS0_4arch9wavefront6targetE0EEEvSY_
		.amdhsa_group_segment_fixed_size 0
		.amdhsa_private_segment_fixed_size 0
		.amdhsa_kernarg_size 152
		.amdhsa_user_sgpr_count 15
		.amdhsa_user_sgpr_dispatch_ptr 0
		.amdhsa_user_sgpr_queue_ptr 0
		.amdhsa_user_sgpr_kernarg_segment_ptr 1
		.amdhsa_user_sgpr_dispatch_id 0
		.amdhsa_user_sgpr_private_segment_size 0
		.amdhsa_wavefront_size32 1
		.amdhsa_uses_dynamic_stack 0
		.amdhsa_enable_private_segment 0
		.amdhsa_system_sgpr_workgroup_id_x 1
		.amdhsa_system_sgpr_workgroup_id_y 0
		.amdhsa_system_sgpr_workgroup_id_z 0
		.amdhsa_system_sgpr_workgroup_info 0
		.amdhsa_system_vgpr_workitem_id 0
		.amdhsa_next_free_vgpr 1
		.amdhsa_next_free_sgpr 1
		.amdhsa_reserve_vcc 0
		.amdhsa_float_round_mode_32 0
		.amdhsa_float_round_mode_16_64 0
		.amdhsa_float_denorm_mode_32 3
		.amdhsa_float_denorm_mode_16_64 3
		.amdhsa_dx10_clamp 1
		.amdhsa_ieee_mode 1
		.amdhsa_fp16_overflow 0
		.amdhsa_workgroup_processor_mode 1
		.amdhsa_memory_ordered 1
		.amdhsa_forward_progress 0
		.amdhsa_shared_vgpr_count 0
		.amdhsa_exception_fp_ieee_invalid_op 0
		.amdhsa_exception_fp_denorm_src 0
		.amdhsa_exception_fp_ieee_div_zero 0
		.amdhsa_exception_fp_ieee_overflow 0
		.amdhsa_exception_fp_ieee_underflow 0
		.amdhsa_exception_fp_ieee_inexact 0
		.amdhsa_exception_int_div_zero 0
	.end_amdhsa_kernel
	.section	.text._ZN7rocprim17ROCPRIM_400000_NS6detail17trampoline_kernelINS0_13select_configILj256ELj13ELNS0_17block_load_methodE3ELS4_3ELS4_3ELNS0_20block_scan_algorithmE0ELj4294967295EEENS1_25partition_config_selectorILNS1_17partition_subalgoE3EjNS0_10empty_typeEbEEZZNS1_14partition_implILS8_3ELb0ES6_jNS0_17counting_iteratorIjlEEPS9_SE_NS0_5tupleIJPjSE_EEENSF_IJSE_SE_EEES9_SG_JZNS1_25segmented_radix_sort_implINS0_14default_configELb0EPKiPiPKlPlN2at6native12_GLOBAL__N_18offset_tEEE10hipError_tPvRmT1_PNSt15iterator_traitsISY_E10value_typeET2_T3_PNSZ_IS14_E10value_typeET4_jRbjT5_S1A_jjP12ihipStream_tbEUljE_EEESV_SW_SX_S14_S18_S1A_T6_T7_T9_mT8_S1C_bDpT10_ENKUlT_T0_E_clISt17integral_constantIbLb0EES1O_IbLb1EEEEDaS1K_S1L_EUlS1K_E_NS1_11comp_targetILNS1_3genE0ELNS1_11target_archE4294967295ELNS1_3gpuE0ELNS1_3repE0EEENS1_30default_config_static_selectorELNS0_4arch9wavefront6targetE0EEEvSY_,"axG",@progbits,_ZN7rocprim17ROCPRIM_400000_NS6detail17trampoline_kernelINS0_13select_configILj256ELj13ELNS0_17block_load_methodE3ELS4_3ELS4_3ELNS0_20block_scan_algorithmE0ELj4294967295EEENS1_25partition_config_selectorILNS1_17partition_subalgoE3EjNS0_10empty_typeEbEEZZNS1_14partition_implILS8_3ELb0ES6_jNS0_17counting_iteratorIjlEEPS9_SE_NS0_5tupleIJPjSE_EEENSF_IJSE_SE_EEES9_SG_JZNS1_25segmented_radix_sort_implINS0_14default_configELb0EPKiPiPKlPlN2at6native12_GLOBAL__N_18offset_tEEE10hipError_tPvRmT1_PNSt15iterator_traitsISY_E10value_typeET2_T3_PNSZ_IS14_E10value_typeET4_jRbjT5_S1A_jjP12ihipStream_tbEUljE_EEESV_SW_SX_S14_S18_S1A_T6_T7_T9_mT8_S1C_bDpT10_ENKUlT_T0_E_clISt17integral_constantIbLb0EES1O_IbLb1EEEEDaS1K_S1L_EUlS1K_E_NS1_11comp_targetILNS1_3genE0ELNS1_11target_archE4294967295ELNS1_3gpuE0ELNS1_3repE0EEENS1_30default_config_static_selectorELNS0_4arch9wavefront6targetE0EEEvSY_,comdat
.Lfunc_end592:
	.size	_ZN7rocprim17ROCPRIM_400000_NS6detail17trampoline_kernelINS0_13select_configILj256ELj13ELNS0_17block_load_methodE3ELS4_3ELS4_3ELNS0_20block_scan_algorithmE0ELj4294967295EEENS1_25partition_config_selectorILNS1_17partition_subalgoE3EjNS0_10empty_typeEbEEZZNS1_14partition_implILS8_3ELb0ES6_jNS0_17counting_iteratorIjlEEPS9_SE_NS0_5tupleIJPjSE_EEENSF_IJSE_SE_EEES9_SG_JZNS1_25segmented_radix_sort_implINS0_14default_configELb0EPKiPiPKlPlN2at6native12_GLOBAL__N_18offset_tEEE10hipError_tPvRmT1_PNSt15iterator_traitsISY_E10value_typeET2_T3_PNSZ_IS14_E10value_typeET4_jRbjT5_S1A_jjP12ihipStream_tbEUljE_EEESV_SW_SX_S14_S18_S1A_T6_T7_T9_mT8_S1C_bDpT10_ENKUlT_T0_E_clISt17integral_constantIbLb0EES1O_IbLb1EEEEDaS1K_S1L_EUlS1K_E_NS1_11comp_targetILNS1_3genE0ELNS1_11target_archE4294967295ELNS1_3gpuE0ELNS1_3repE0EEENS1_30default_config_static_selectorELNS0_4arch9wavefront6targetE0EEEvSY_, .Lfunc_end592-_ZN7rocprim17ROCPRIM_400000_NS6detail17trampoline_kernelINS0_13select_configILj256ELj13ELNS0_17block_load_methodE3ELS4_3ELS4_3ELNS0_20block_scan_algorithmE0ELj4294967295EEENS1_25partition_config_selectorILNS1_17partition_subalgoE3EjNS0_10empty_typeEbEEZZNS1_14partition_implILS8_3ELb0ES6_jNS0_17counting_iteratorIjlEEPS9_SE_NS0_5tupleIJPjSE_EEENSF_IJSE_SE_EEES9_SG_JZNS1_25segmented_radix_sort_implINS0_14default_configELb0EPKiPiPKlPlN2at6native12_GLOBAL__N_18offset_tEEE10hipError_tPvRmT1_PNSt15iterator_traitsISY_E10value_typeET2_T3_PNSZ_IS14_E10value_typeET4_jRbjT5_S1A_jjP12ihipStream_tbEUljE_EEESV_SW_SX_S14_S18_S1A_T6_T7_T9_mT8_S1C_bDpT10_ENKUlT_T0_E_clISt17integral_constantIbLb0EES1O_IbLb1EEEEDaS1K_S1L_EUlS1K_E_NS1_11comp_targetILNS1_3genE0ELNS1_11target_archE4294967295ELNS1_3gpuE0ELNS1_3repE0EEENS1_30default_config_static_selectorELNS0_4arch9wavefront6targetE0EEEvSY_
                                        ; -- End function
	.section	.AMDGPU.csdata,"",@progbits
; Kernel info:
; codeLenInByte = 0
; NumSgprs: 0
; NumVgprs: 0
; ScratchSize: 0
; MemoryBound: 0
; FloatMode: 240
; IeeeMode: 1
; LDSByteSize: 0 bytes/workgroup (compile time only)
; SGPRBlocks: 0
; VGPRBlocks: 0
; NumSGPRsForWavesPerEU: 1
; NumVGPRsForWavesPerEU: 1
; Occupancy: 16
; WaveLimiterHint : 0
; COMPUTE_PGM_RSRC2:SCRATCH_EN: 0
; COMPUTE_PGM_RSRC2:USER_SGPR: 15
; COMPUTE_PGM_RSRC2:TRAP_HANDLER: 0
; COMPUTE_PGM_RSRC2:TGID_X_EN: 1
; COMPUTE_PGM_RSRC2:TGID_Y_EN: 0
; COMPUTE_PGM_RSRC2:TGID_Z_EN: 0
; COMPUTE_PGM_RSRC2:TIDIG_COMP_CNT: 0
	.section	.text._ZN7rocprim17ROCPRIM_400000_NS6detail17trampoline_kernelINS0_13select_configILj256ELj13ELNS0_17block_load_methodE3ELS4_3ELS4_3ELNS0_20block_scan_algorithmE0ELj4294967295EEENS1_25partition_config_selectorILNS1_17partition_subalgoE3EjNS0_10empty_typeEbEEZZNS1_14partition_implILS8_3ELb0ES6_jNS0_17counting_iteratorIjlEEPS9_SE_NS0_5tupleIJPjSE_EEENSF_IJSE_SE_EEES9_SG_JZNS1_25segmented_radix_sort_implINS0_14default_configELb0EPKiPiPKlPlN2at6native12_GLOBAL__N_18offset_tEEE10hipError_tPvRmT1_PNSt15iterator_traitsISY_E10value_typeET2_T3_PNSZ_IS14_E10value_typeET4_jRbjT5_S1A_jjP12ihipStream_tbEUljE_EEESV_SW_SX_S14_S18_S1A_T6_T7_T9_mT8_S1C_bDpT10_ENKUlT_T0_E_clISt17integral_constantIbLb0EES1O_IbLb1EEEEDaS1K_S1L_EUlS1K_E_NS1_11comp_targetILNS1_3genE5ELNS1_11target_archE942ELNS1_3gpuE9ELNS1_3repE0EEENS1_30default_config_static_selectorELNS0_4arch9wavefront6targetE0EEEvSY_,"axG",@progbits,_ZN7rocprim17ROCPRIM_400000_NS6detail17trampoline_kernelINS0_13select_configILj256ELj13ELNS0_17block_load_methodE3ELS4_3ELS4_3ELNS0_20block_scan_algorithmE0ELj4294967295EEENS1_25partition_config_selectorILNS1_17partition_subalgoE3EjNS0_10empty_typeEbEEZZNS1_14partition_implILS8_3ELb0ES6_jNS0_17counting_iteratorIjlEEPS9_SE_NS0_5tupleIJPjSE_EEENSF_IJSE_SE_EEES9_SG_JZNS1_25segmented_radix_sort_implINS0_14default_configELb0EPKiPiPKlPlN2at6native12_GLOBAL__N_18offset_tEEE10hipError_tPvRmT1_PNSt15iterator_traitsISY_E10value_typeET2_T3_PNSZ_IS14_E10value_typeET4_jRbjT5_S1A_jjP12ihipStream_tbEUljE_EEESV_SW_SX_S14_S18_S1A_T6_T7_T9_mT8_S1C_bDpT10_ENKUlT_T0_E_clISt17integral_constantIbLb0EES1O_IbLb1EEEEDaS1K_S1L_EUlS1K_E_NS1_11comp_targetILNS1_3genE5ELNS1_11target_archE942ELNS1_3gpuE9ELNS1_3repE0EEENS1_30default_config_static_selectorELNS0_4arch9wavefront6targetE0EEEvSY_,comdat
	.globl	_ZN7rocprim17ROCPRIM_400000_NS6detail17trampoline_kernelINS0_13select_configILj256ELj13ELNS0_17block_load_methodE3ELS4_3ELS4_3ELNS0_20block_scan_algorithmE0ELj4294967295EEENS1_25partition_config_selectorILNS1_17partition_subalgoE3EjNS0_10empty_typeEbEEZZNS1_14partition_implILS8_3ELb0ES6_jNS0_17counting_iteratorIjlEEPS9_SE_NS0_5tupleIJPjSE_EEENSF_IJSE_SE_EEES9_SG_JZNS1_25segmented_radix_sort_implINS0_14default_configELb0EPKiPiPKlPlN2at6native12_GLOBAL__N_18offset_tEEE10hipError_tPvRmT1_PNSt15iterator_traitsISY_E10value_typeET2_T3_PNSZ_IS14_E10value_typeET4_jRbjT5_S1A_jjP12ihipStream_tbEUljE_EEESV_SW_SX_S14_S18_S1A_T6_T7_T9_mT8_S1C_bDpT10_ENKUlT_T0_E_clISt17integral_constantIbLb0EES1O_IbLb1EEEEDaS1K_S1L_EUlS1K_E_NS1_11comp_targetILNS1_3genE5ELNS1_11target_archE942ELNS1_3gpuE9ELNS1_3repE0EEENS1_30default_config_static_selectorELNS0_4arch9wavefront6targetE0EEEvSY_ ; -- Begin function _ZN7rocprim17ROCPRIM_400000_NS6detail17trampoline_kernelINS0_13select_configILj256ELj13ELNS0_17block_load_methodE3ELS4_3ELS4_3ELNS0_20block_scan_algorithmE0ELj4294967295EEENS1_25partition_config_selectorILNS1_17partition_subalgoE3EjNS0_10empty_typeEbEEZZNS1_14partition_implILS8_3ELb0ES6_jNS0_17counting_iteratorIjlEEPS9_SE_NS0_5tupleIJPjSE_EEENSF_IJSE_SE_EEES9_SG_JZNS1_25segmented_radix_sort_implINS0_14default_configELb0EPKiPiPKlPlN2at6native12_GLOBAL__N_18offset_tEEE10hipError_tPvRmT1_PNSt15iterator_traitsISY_E10value_typeET2_T3_PNSZ_IS14_E10value_typeET4_jRbjT5_S1A_jjP12ihipStream_tbEUljE_EEESV_SW_SX_S14_S18_S1A_T6_T7_T9_mT8_S1C_bDpT10_ENKUlT_T0_E_clISt17integral_constantIbLb0EES1O_IbLb1EEEEDaS1K_S1L_EUlS1K_E_NS1_11comp_targetILNS1_3genE5ELNS1_11target_archE942ELNS1_3gpuE9ELNS1_3repE0EEENS1_30default_config_static_selectorELNS0_4arch9wavefront6targetE0EEEvSY_
	.p2align	8
	.type	_ZN7rocprim17ROCPRIM_400000_NS6detail17trampoline_kernelINS0_13select_configILj256ELj13ELNS0_17block_load_methodE3ELS4_3ELS4_3ELNS0_20block_scan_algorithmE0ELj4294967295EEENS1_25partition_config_selectorILNS1_17partition_subalgoE3EjNS0_10empty_typeEbEEZZNS1_14partition_implILS8_3ELb0ES6_jNS0_17counting_iteratorIjlEEPS9_SE_NS0_5tupleIJPjSE_EEENSF_IJSE_SE_EEES9_SG_JZNS1_25segmented_radix_sort_implINS0_14default_configELb0EPKiPiPKlPlN2at6native12_GLOBAL__N_18offset_tEEE10hipError_tPvRmT1_PNSt15iterator_traitsISY_E10value_typeET2_T3_PNSZ_IS14_E10value_typeET4_jRbjT5_S1A_jjP12ihipStream_tbEUljE_EEESV_SW_SX_S14_S18_S1A_T6_T7_T9_mT8_S1C_bDpT10_ENKUlT_T0_E_clISt17integral_constantIbLb0EES1O_IbLb1EEEEDaS1K_S1L_EUlS1K_E_NS1_11comp_targetILNS1_3genE5ELNS1_11target_archE942ELNS1_3gpuE9ELNS1_3repE0EEENS1_30default_config_static_selectorELNS0_4arch9wavefront6targetE0EEEvSY_,@function
_ZN7rocprim17ROCPRIM_400000_NS6detail17trampoline_kernelINS0_13select_configILj256ELj13ELNS0_17block_load_methodE3ELS4_3ELS4_3ELNS0_20block_scan_algorithmE0ELj4294967295EEENS1_25partition_config_selectorILNS1_17partition_subalgoE3EjNS0_10empty_typeEbEEZZNS1_14partition_implILS8_3ELb0ES6_jNS0_17counting_iteratorIjlEEPS9_SE_NS0_5tupleIJPjSE_EEENSF_IJSE_SE_EEES9_SG_JZNS1_25segmented_radix_sort_implINS0_14default_configELb0EPKiPiPKlPlN2at6native12_GLOBAL__N_18offset_tEEE10hipError_tPvRmT1_PNSt15iterator_traitsISY_E10value_typeET2_T3_PNSZ_IS14_E10value_typeET4_jRbjT5_S1A_jjP12ihipStream_tbEUljE_EEESV_SW_SX_S14_S18_S1A_T6_T7_T9_mT8_S1C_bDpT10_ENKUlT_T0_E_clISt17integral_constantIbLb0EES1O_IbLb1EEEEDaS1K_S1L_EUlS1K_E_NS1_11comp_targetILNS1_3genE5ELNS1_11target_archE942ELNS1_3gpuE9ELNS1_3repE0EEENS1_30default_config_static_selectorELNS0_4arch9wavefront6targetE0EEEvSY_: ; @_ZN7rocprim17ROCPRIM_400000_NS6detail17trampoline_kernelINS0_13select_configILj256ELj13ELNS0_17block_load_methodE3ELS4_3ELS4_3ELNS0_20block_scan_algorithmE0ELj4294967295EEENS1_25partition_config_selectorILNS1_17partition_subalgoE3EjNS0_10empty_typeEbEEZZNS1_14partition_implILS8_3ELb0ES6_jNS0_17counting_iteratorIjlEEPS9_SE_NS0_5tupleIJPjSE_EEENSF_IJSE_SE_EEES9_SG_JZNS1_25segmented_radix_sort_implINS0_14default_configELb0EPKiPiPKlPlN2at6native12_GLOBAL__N_18offset_tEEE10hipError_tPvRmT1_PNSt15iterator_traitsISY_E10value_typeET2_T3_PNSZ_IS14_E10value_typeET4_jRbjT5_S1A_jjP12ihipStream_tbEUljE_EEESV_SW_SX_S14_S18_S1A_T6_T7_T9_mT8_S1C_bDpT10_ENKUlT_T0_E_clISt17integral_constantIbLb0EES1O_IbLb1EEEEDaS1K_S1L_EUlS1K_E_NS1_11comp_targetILNS1_3genE5ELNS1_11target_archE942ELNS1_3gpuE9ELNS1_3repE0EEENS1_30default_config_static_selectorELNS0_4arch9wavefront6targetE0EEEvSY_
; %bb.0:
	.section	.rodata,"a",@progbits
	.p2align	6, 0x0
	.amdhsa_kernel _ZN7rocprim17ROCPRIM_400000_NS6detail17trampoline_kernelINS0_13select_configILj256ELj13ELNS0_17block_load_methodE3ELS4_3ELS4_3ELNS0_20block_scan_algorithmE0ELj4294967295EEENS1_25partition_config_selectorILNS1_17partition_subalgoE3EjNS0_10empty_typeEbEEZZNS1_14partition_implILS8_3ELb0ES6_jNS0_17counting_iteratorIjlEEPS9_SE_NS0_5tupleIJPjSE_EEENSF_IJSE_SE_EEES9_SG_JZNS1_25segmented_radix_sort_implINS0_14default_configELb0EPKiPiPKlPlN2at6native12_GLOBAL__N_18offset_tEEE10hipError_tPvRmT1_PNSt15iterator_traitsISY_E10value_typeET2_T3_PNSZ_IS14_E10value_typeET4_jRbjT5_S1A_jjP12ihipStream_tbEUljE_EEESV_SW_SX_S14_S18_S1A_T6_T7_T9_mT8_S1C_bDpT10_ENKUlT_T0_E_clISt17integral_constantIbLb0EES1O_IbLb1EEEEDaS1K_S1L_EUlS1K_E_NS1_11comp_targetILNS1_3genE5ELNS1_11target_archE942ELNS1_3gpuE9ELNS1_3repE0EEENS1_30default_config_static_selectorELNS0_4arch9wavefront6targetE0EEEvSY_
		.amdhsa_group_segment_fixed_size 0
		.amdhsa_private_segment_fixed_size 0
		.amdhsa_kernarg_size 152
		.amdhsa_user_sgpr_count 15
		.amdhsa_user_sgpr_dispatch_ptr 0
		.amdhsa_user_sgpr_queue_ptr 0
		.amdhsa_user_sgpr_kernarg_segment_ptr 1
		.amdhsa_user_sgpr_dispatch_id 0
		.amdhsa_user_sgpr_private_segment_size 0
		.amdhsa_wavefront_size32 1
		.amdhsa_uses_dynamic_stack 0
		.amdhsa_enable_private_segment 0
		.amdhsa_system_sgpr_workgroup_id_x 1
		.amdhsa_system_sgpr_workgroup_id_y 0
		.amdhsa_system_sgpr_workgroup_id_z 0
		.amdhsa_system_sgpr_workgroup_info 0
		.amdhsa_system_vgpr_workitem_id 0
		.amdhsa_next_free_vgpr 1
		.amdhsa_next_free_sgpr 1
		.amdhsa_reserve_vcc 0
		.amdhsa_float_round_mode_32 0
		.amdhsa_float_round_mode_16_64 0
		.amdhsa_float_denorm_mode_32 3
		.amdhsa_float_denorm_mode_16_64 3
		.amdhsa_dx10_clamp 1
		.amdhsa_ieee_mode 1
		.amdhsa_fp16_overflow 0
		.amdhsa_workgroup_processor_mode 1
		.amdhsa_memory_ordered 1
		.amdhsa_forward_progress 0
		.amdhsa_shared_vgpr_count 0
		.amdhsa_exception_fp_ieee_invalid_op 0
		.amdhsa_exception_fp_denorm_src 0
		.amdhsa_exception_fp_ieee_div_zero 0
		.amdhsa_exception_fp_ieee_overflow 0
		.amdhsa_exception_fp_ieee_underflow 0
		.amdhsa_exception_fp_ieee_inexact 0
		.amdhsa_exception_int_div_zero 0
	.end_amdhsa_kernel
	.section	.text._ZN7rocprim17ROCPRIM_400000_NS6detail17trampoline_kernelINS0_13select_configILj256ELj13ELNS0_17block_load_methodE3ELS4_3ELS4_3ELNS0_20block_scan_algorithmE0ELj4294967295EEENS1_25partition_config_selectorILNS1_17partition_subalgoE3EjNS0_10empty_typeEbEEZZNS1_14partition_implILS8_3ELb0ES6_jNS0_17counting_iteratorIjlEEPS9_SE_NS0_5tupleIJPjSE_EEENSF_IJSE_SE_EEES9_SG_JZNS1_25segmented_radix_sort_implINS0_14default_configELb0EPKiPiPKlPlN2at6native12_GLOBAL__N_18offset_tEEE10hipError_tPvRmT1_PNSt15iterator_traitsISY_E10value_typeET2_T3_PNSZ_IS14_E10value_typeET4_jRbjT5_S1A_jjP12ihipStream_tbEUljE_EEESV_SW_SX_S14_S18_S1A_T6_T7_T9_mT8_S1C_bDpT10_ENKUlT_T0_E_clISt17integral_constantIbLb0EES1O_IbLb1EEEEDaS1K_S1L_EUlS1K_E_NS1_11comp_targetILNS1_3genE5ELNS1_11target_archE942ELNS1_3gpuE9ELNS1_3repE0EEENS1_30default_config_static_selectorELNS0_4arch9wavefront6targetE0EEEvSY_,"axG",@progbits,_ZN7rocprim17ROCPRIM_400000_NS6detail17trampoline_kernelINS0_13select_configILj256ELj13ELNS0_17block_load_methodE3ELS4_3ELS4_3ELNS0_20block_scan_algorithmE0ELj4294967295EEENS1_25partition_config_selectorILNS1_17partition_subalgoE3EjNS0_10empty_typeEbEEZZNS1_14partition_implILS8_3ELb0ES6_jNS0_17counting_iteratorIjlEEPS9_SE_NS0_5tupleIJPjSE_EEENSF_IJSE_SE_EEES9_SG_JZNS1_25segmented_radix_sort_implINS0_14default_configELb0EPKiPiPKlPlN2at6native12_GLOBAL__N_18offset_tEEE10hipError_tPvRmT1_PNSt15iterator_traitsISY_E10value_typeET2_T3_PNSZ_IS14_E10value_typeET4_jRbjT5_S1A_jjP12ihipStream_tbEUljE_EEESV_SW_SX_S14_S18_S1A_T6_T7_T9_mT8_S1C_bDpT10_ENKUlT_T0_E_clISt17integral_constantIbLb0EES1O_IbLb1EEEEDaS1K_S1L_EUlS1K_E_NS1_11comp_targetILNS1_3genE5ELNS1_11target_archE942ELNS1_3gpuE9ELNS1_3repE0EEENS1_30default_config_static_selectorELNS0_4arch9wavefront6targetE0EEEvSY_,comdat
.Lfunc_end593:
	.size	_ZN7rocprim17ROCPRIM_400000_NS6detail17trampoline_kernelINS0_13select_configILj256ELj13ELNS0_17block_load_methodE3ELS4_3ELS4_3ELNS0_20block_scan_algorithmE0ELj4294967295EEENS1_25partition_config_selectorILNS1_17partition_subalgoE3EjNS0_10empty_typeEbEEZZNS1_14partition_implILS8_3ELb0ES6_jNS0_17counting_iteratorIjlEEPS9_SE_NS0_5tupleIJPjSE_EEENSF_IJSE_SE_EEES9_SG_JZNS1_25segmented_radix_sort_implINS0_14default_configELb0EPKiPiPKlPlN2at6native12_GLOBAL__N_18offset_tEEE10hipError_tPvRmT1_PNSt15iterator_traitsISY_E10value_typeET2_T3_PNSZ_IS14_E10value_typeET4_jRbjT5_S1A_jjP12ihipStream_tbEUljE_EEESV_SW_SX_S14_S18_S1A_T6_T7_T9_mT8_S1C_bDpT10_ENKUlT_T0_E_clISt17integral_constantIbLb0EES1O_IbLb1EEEEDaS1K_S1L_EUlS1K_E_NS1_11comp_targetILNS1_3genE5ELNS1_11target_archE942ELNS1_3gpuE9ELNS1_3repE0EEENS1_30default_config_static_selectorELNS0_4arch9wavefront6targetE0EEEvSY_, .Lfunc_end593-_ZN7rocprim17ROCPRIM_400000_NS6detail17trampoline_kernelINS0_13select_configILj256ELj13ELNS0_17block_load_methodE3ELS4_3ELS4_3ELNS0_20block_scan_algorithmE0ELj4294967295EEENS1_25partition_config_selectorILNS1_17partition_subalgoE3EjNS0_10empty_typeEbEEZZNS1_14partition_implILS8_3ELb0ES6_jNS0_17counting_iteratorIjlEEPS9_SE_NS0_5tupleIJPjSE_EEENSF_IJSE_SE_EEES9_SG_JZNS1_25segmented_radix_sort_implINS0_14default_configELb0EPKiPiPKlPlN2at6native12_GLOBAL__N_18offset_tEEE10hipError_tPvRmT1_PNSt15iterator_traitsISY_E10value_typeET2_T3_PNSZ_IS14_E10value_typeET4_jRbjT5_S1A_jjP12ihipStream_tbEUljE_EEESV_SW_SX_S14_S18_S1A_T6_T7_T9_mT8_S1C_bDpT10_ENKUlT_T0_E_clISt17integral_constantIbLb0EES1O_IbLb1EEEEDaS1K_S1L_EUlS1K_E_NS1_11comp_targetILNS1_3genE5ELNS1_11target_archE942ELNS1_3gpuE9ELNS1_3repE0EEENS1_30default_config_static_selectorELNS0_4arch9wavefront6targetE0EEEvSY_
                                        ; -- End function
	.section	.AMDGPU.csdata,"",@progbits
; Kernel info:
; codeLenInByte = 0
; NumSgprs: 0
; NumVgprs: 0
; ScratchSize: 0
; MemoryBound: 0
; FloatMode: 240
; IeeeMode: 1
; LDSByteSize: 0 bytes/workgroup (compile time only)
; SGPRBlocks: 0
; VGPRBlocks: 0
; NumSGPRsForWavesPerEU: 1
; NumVGPRsForWavesPerEU: 1
; Occupancy: 16
; WaveLimiterHint : 0
; COMPUTE_PGM_RSRC2:SCRATCH_EN: 0
; COMPUTE_PGM_RSRC2:USER_SGPR: 15
; COMPUTE_PGM_RSRC2:TRAP_HANDLER: 0
; COMPUTE_PGM_RSRC2:TGID_X_EN: 1
; COMPUTE_PGM_RSRC2:TGID_Y_EN: 0
; COMPUTE_PGM_RSRC2:TGID_Z_EN: 0
; COMPUTE_PGM_RSRC2:TIDIG_COMP_CNT: 0
	.section	.text._ZN7rocprim17ROCPRIM_400000_NS6detail17trampoline_kernelINS0_13select_configILj256ELj13ELNS0_17block_load_methodE3ELS4_3ELS4_3ELNS0_20block_scan_algorithmE0ELj4294967295EEENS1_25partition_config_selectorILNS1_17partition_subalgoE3EjNS0_10empty_typeEbEEZZNS1_14partition_implILS8_3ELb0ES6_jNS0_17counting_iteratorIjlEEPS9_SE_NS0_5tupleIJPjSE_EEENSF_IJSE_SE_EEES9_SG_JZNS1_25segmented_radix_sort_implINS0_14default_configELb0EPKiPiPKlPlN2at6native12_GLOBAL__N_18offset_tEEE10hipError_tPvRmT1_PNSt15iterator_traitsISY_E10value_typeET2_T3_PNSZ_IS14_E10value_typeET4_jRbjT5_S1A_jjP12ihipStream_tbEUljE_EEESV_SW_SX_S14_S18_S1A_T6_T7_T9_mT8_S1C_bDpT10_ENKUlT_T0_E_clISt17integral_constantIbLb0EES1O_IbLb1EEEEDaS1K_S1L_EUlS1K_E_NS1_11comp_targetILNS1_3genE4ELNS1_11target_archE910ELNS1_3gpuE8ELNS1_3repE0EEENS1_30default_config_static_selectorELNS0_4arch9wavefront6targetE0EEEvSY_,"axG",@progbits,_ZN7rocprim17ROCPRIM_400000_NS6detail17trampoline_kernelINS0_13select_configILj256ELj13ELNS0_17block_load_methodE3ELS4_3ELS4_3ELNS0_20block_scan_algorithmE0ELj4294967295EEENS1_25partition_config_selectorILNS1_17partition_subalgoE3EjNS0_10empty_typeEbEEZZNS1_14partition_implILS8_3ELb0ES6_jNS0_17counting_iteratorIjlEEPS9_SE_NS0_5tupleIJPjSE_EEENSF_IJSE_SE_EEES9_SG_JZNS1_25segmented_radix_sort_implINS0_14default_configELb0EPKiPiPKlPlN2at6native12_GLOBAL__N_18offset_tEEE10hipError_tPvRmT1_PNSt15iterator_traitsISY_E10value_typeET2_T3_PNSZ_IS14_E10value_typeET4_jRbjT5_S1A_jjP12ihipStream_tbEUljE_EEESV_SW_SX_S14_S18_S1A_T6_T7_T9_mT8_S1C_bDpT10_ENKUlT_T0_E_clISt17integral_constantIbLb0EES1O_IbLb1EEEEDaS1K_S1L_EUlS1K_E_NS1_11comp_targetILNS1_3genE4ELNS1_11target_archE910ELNS1_3gpuE8ELNS1_3repE0EEENS1_30default_config_static_selectorELNS0_4arch9wavefront6targetE0EEEvSY_,comdat
	.globl	_ZN7rocprim17ROCPRIM_400000_NS6detail17trampoline_kernelINS0_13select_configILj256ELj13ELNS0_17block_load_methodE3ELS4_3ELS4_3ELNS0_20block_scan_algorithmE0ELj4294967295EEENS1_25partition_config_selectorILNS1_17partition_subalgoE3EjNS0_10empty_typeEbEEZZNS1_14partition_implILS8_3ELb0ES6_jNS0_17counting_iteratorIjlEEPS9_SE_NS0_5tupleIJPjSE_EEENSF_IJSE_SE_EEES9_SG_JZNS1_25segmented_radix_sort_implINS0_14default_configELb0EPKiPiPKlPlN2at6native12_GLOBAL__N_18offset_tEEE10hipError_tPvRmT1_PNSt15iterator_traitsISY_E10value_typeET2_T3_PNSZ_IS14_E10value_typeET4_jRbjT5_S1A_jjP12ihipStream_tbEUljE_EEESV_SW_SX_S14_S18_S1A_T6_T7_T9_mT8_S1C_bDpT10_ENKUlT_T0_E_clISt17integral_constantIbLb0EES1O_IbLb1EEEEDaS1K_S1L_EUlS1K_E_NS1_11comp_targetILNS1_3genE4ELNS1_11target_archE910ELNS1_3gpuE8ELNS1_3repE0EEENS1_30default_config_static_selectorELNS0_4arch9wavefront6targetE0EEEvSY_ ; -- Begin function _ZN7rocprim17ROCPRIM_400000_NS6detail17trampoline_kernelINS0_13select_configILj256ELj13ELNS0_17block_load_methodE3ELS4_3ELS4_3ELNS0_20block_scan_algorithmE0ELj4294967295EEENS1_25partition_config_selectorILNS1_17partition_subalgoE3EjNS0_10empty_typeEbEEZZNS1_14partition_implILS8_3ELb0ES6_jNS0_17counting_iteratorIjlEEPS9_SE_NS0_5tupleIJPjSE_EEENSF_IJSE_SE_EEES9_SG_JZNS1_25segmented_radix_sort_implINS0_14default_configELb0EPKiPiPKlPlN2at6native12_GLOBAL__N_18offset_tEEE10hipError_tPvRmT1_PNSt15iterator_traitsISY_E10value_typeET2_T3_PNSZ_IS14_E10value_typeET4_jRbjT5_S1A_jjP12ihipStream_tbEUljE_EEESV_SW_SX_S14_S18_S1A_T6_T7_T9_mT8_S1C_bDpT10_ENKUlT_T0_E_clISt17integral_constantIbLb0EES1O_IbLb1EEEEDaS1K_S1L_EUlS1K_E_NS1_11comp_targetILNS1_3genE4ELNS1_11target_archE910ELNS1_3gpuE8ELNS1_3repE0EEENS1_30default_config_static_selectorELNS0_4arch9wavefront6targetE0EEEvSY_
	.p2align	8
	.type	_ZN7rocprim17ROCPRIM_400000_NS6detail17trampoline_kernelINS0_13select_configILj256ELj13ELNS0_17block_load_methodE3ELS4_3ELS4_3ELNS0_20block_scan_algorithmE0ELj4294967295EEENS1_25partition_config_selectorILNS1_17partition_subalgoE3EjNS0_10empty_typeEbEEZZNS1_14partition_implILS8_3ELb0ES6_jNS0_17counting_iteratorIjlEEPS9_SE_NS0_5tupleIJPjSE_EEENSF_IJSE_SE_EEES9_SG_JZNS1_25segmented_radix_sort_implINS0_14default_configELb0EPKiPiPKlPlN2at6native12_GLOBAL__N_18offset_tEEE10hipError_tPvRmT1_PNSt15iterator_traitsISY_E10value_typeET2_T3_PNSZ_IS14_E10value_typeET4_jRbjT5_S1A_jjP12ihipStream_tbEUljE_EEESV_SW_SX_S14_S18_S1A_T6_T7_T9_mT8_S1C_bDpT10_ENKUlT_T0_E_clISt17integral_constantIbLb0EES1O_IbLb1EEEEDaS1K_S1L_EUlS1K_E_NS1_11comp_targetILNS1_3genE4ELNS1_11target_archE910ELNS1_3gpuE8ELNS1_3repE0EEENS1_30default_config_static_selectorELNS0_4arch9wavefront6targetE0EEEvSY_,@function
_ZN7rocprim17ROCPRIM_400000_NS6detail17trampoline_kernelINS0_13select_configILj256ELj13ELNS0_17block_load_methodE3ELS4_3ELS4_3ELNS0_20block_scan_algorithmE0ELj4294967295EEENS1_25partition_config_selectorILNS1_17partition_subalgoE3EjNS0_10empty_typeEbEEZZNS1_14partition_implILS8_3ELb0ES6_jNS0_17counting_iteratorIjlEEPS9_SE_NS0_5tupleIJPjSE_EEENSF_IJSE_SE_EEES9_SG_JZNS1_25segmented_radix_sort_implINS0_14default_configELb0EPKiPiPKlPlN2at6native12_GLOBAL__N_18offset_tEEE10hipError_tPvRmT1_PNSt15iterator_traitsISY_E10value_typeET2_T3_PNSZ_IS14_E10value_typeET4_jRbjT5_S1A_jjP12ihipStream_tbEUljE_EEESV_SW_SX_S14_S18_S1A_T6_T7_T9_mT8_S1C_bDpT10_ENKUlT_T0_E_clISt17integral_constantIbLb0EES1O_IbLb1EEEEDaS1K_S1L_EUlS1K_E_NS1_11comp_targetILNS1_3genE4ELNS1_11target_archE910ELNS1_3gpuE8ELNS1_3repE0EEENS1_30default_config_static_selectorELNS0_4arch9wavefront6targetE0EEEvSY_: ; @_ZN7rocprim17ROCPRIM_400000_NS6detail17trampoline_kernelINS0_13select_configILj256ELj13ELNS0_17block_load_methodE3ELS4_3ELS4_3ELNS0_20block_scan_algorithmE0ELj4294967295EEENS1_25partition_config_selectorILNS1_17partition_subalgoE3EjNS0_10empty_typeEbEEZZNS1_14partition_implILS8_3ELb0ES6_jNS0_17counting_iteratorIjlEEPS9_SE_NS0_5tupleIJPjSE_EEENSF_IJSE_SE_EEES9_SG_JZNS1_25segmented_radix_sort_implINS0_14default_configELb0EPKiPiPKlPlN2at6native12_GLOBAL__N_18offset_tEEE10hipError_tPvRmT1_PNSt15iterator_traitsISY_E10value_typeET2_T3_PNSZ_IS14_E10value_typeET4_jRbjT5_S1A_jjP12ihipStream_tbEUljE_EEESV_SW_SX_S14_S18_S1A_T6_T7_T9_mT8_S1C_bDpT10_ENKUlT_T0_E_clISt17integral_constantIbLb0EES1O_IbLb1EEEEDaS1K_S1L_EUlS1K_E_NS1_11comp_targetILNS1_3genE4ELNS1_11target_archE910ELNS1_3gpuE8ELNS1_3repE0EEENS1_30default_config_static_selectorELNS0_4arch9wavefront6targetE0EEEvSY_
; %bb.0:
	.section	.rodata,"a",@progbits
	.p2align	6, 0x0
	.amdhsa_kernel _ZN7rocprim17ROCPRIM_400000_NS6detail17trampoline_kernelINS0_13select_configILj256ELj13ELNS0_17block_load_methodE3ELS4_3ELS4_3ELNS0_20block_scan_algorithmE0ELj4294967295EEENS1_25partition_config_selectorILNS1_17partition_subalgoE3EjNS0_10empty_typeEbEEZZNS1_14partition_implILS8_3ELb0ES6_jNS0_17counting_iteratorIjlEEPS9_SE_NS0_5tupleIJPjSE_EEENSF_IJSE_SE_EEES9_SG_JZNS1_25segmented_radix_sort_implINS0_14default_configELb0EPKiPiPKlPlN2at6native12_GLOBAL__N_18offset_tEEE10hipError_tPvRmT1_PNSt15iterator_traitsISY_E10value_typeET2_T3_PNSZ_IS14_E10value_typeET4_jRbjT5_S1A_jjP12ihipStream_tbEUljE_EEESV_SW_SX_S14_S18_S1A_T6_T7_T9_mT8_S1C_bDpT10_ENKUlT_T0_E_clISt17integral_constantIbLb0EES1O_IbLb1EEEEDaS1K_S1L_EUlS1K_E_NS1_11comp_targetILNS1_3genE4ELNS1_11target_archE910ELNS1_3gpuE8ELNS1_3repE0EEENS1_30default_config_static_selectorELNS0_4arch9wavefront6targetE0EEEvSY_
		.amdhsa_group_segment_fixed_size 0
		.amdhsa_private_segment_fixed_size 0
		.amdhsa_kernarg_size 152
		.amdhsa_user_sgpr_count 15
		.amdhsa_user_sgpr_dispatch_ptr 0
		.amdhsa_user_sgpr_queue_ptr 0
		.amdhsa_user_sgpr_kernarg_segment_ptr 1
		.amdhsa_user_sgpr_dispatch_id 0
		.amdhsa_user_sgpr_private_segment_size 0
		.amdhsa_wavefront_size32 1
		.amdhsa_uses_dynamic_stack 0
		.amdhsa_enable_private_segment 0
		.amdhsa_system_sgpr_workgroup_id_x 1
		.amdhsa_system_sgpr_workgroup_id_y 0
		.amdhsa_system_sgpr_workgroup_id_z 0
		.amdhsa_system_sgpr_workgroup_info 0
		.amdhsa_system_vgpr_workitem_id 0
		.amdhsa_next_free_vgpr 1
		.amdhsa_next_free_sgpr 1
		.amdhsa_reserve_vcc 0
		.amdhsa_float_round_mode_32 0
		.amdhsa_float_round_mode_16_64 0
		.amdhsa_float_denorm_mode_32 3
		.amdhsa_float_denorm_mode_16_64 3
		.amdhsa_dx10_clamp 1
		.amdhsa_ieee_mode 1
		.amdhsa_fp16_overflow 0
		.amdhsa_workgroup_processor_mode 1
		.amdhsa_memory_ordered 1
		.amdhsa_forward_progress 0
		.amdhsa_shared_vgpr_count 0
		.amdhsa_exception_fp_ieee_invalid_op 0
		.amdhsa_exception_fp_denorm_src 0
		.amdhsa_exception_fp_ieee_div_zero 0
		.amdhsa_exception_fp_ieee_overflow 0
		.amdhsa_exception_fp_ieee_underflow 0
		.amdhsa_exception_fp_ieee_inexact 0
		.amdhsa_exception_int_div_zero 0
	.end_amdhsa_kernel
	.section	.text._ZN7rocprim17ROCPRIM_400000_NS6detail17trampoline_kernelINS0_13select_configILj256ELj13ELNS0_17block_load_methodE3ELS4_3ELS4_3ELNS0_20block_scan_algorithmE0ELj4294967295EEENS1_25partition_config_selectorILNS1_17partition_subalgoE3EjNS0_10empty_typeEbEEZZNS1_14partition_implILS8_3ELb0ES6_jNS0_17counting_iteratorIjlEEPS9_SE_NS0_5tupleIJPjSE_EEENSF_IJSE_SE_EEES9_SG_JZNS1_25segmented_radix_sort_implINS0_14default_configELb0EPKiPiPKlPlN2at6native12_GLOBAL__N_18offset_tEEE10hipError_tPvRmT1_PNSt15iterator_traitsISY_E10value_typeET2_T3_PNSZ_IS14_E10value_typeET4_jRbjT5_S1A_jjP12ihipStream_tbEUljE_EEESV_SW_SX_S14_S18_S1A_T6_T7_T9_mT8_S1C_bDpT10_ENKUlT_T0_E_clISt17integral_constantIbLb0EES1O_IbLb1EEEEDaS1K_S1L_EUlS1K_E_NS1_11comp_targetILNS1_3genE4ELNS1_11target_archE910ELNS1_3gpuE8ELNS1_3repE0EEENS1_30default_config_static_selectorELNS0_4arch9wavefront6targetE0EEEvSY_,"axG",@progbits,_ZN7rocprim17ROCPRIM_400000_NS6detail17trampoline_kernelINS0_13select_configILj256ELj13ELNS0_17block_load_methodE3ELS4_3ELS4_3ELNS0_20block_scan_algorithmE0ELj4294967295EEENS1_25partition_config_selectorILNS1_17partition_subalgoE3EjNS0_10empty_typeEbEEZZNS1_14partition_implILS8_3ELb0ES6_jNS0_17counting_iteratorIjlEEPS9_SE_NS0_5tupleIJPjSE_EEENSF_IJSE_SE_EEES9_SG_JZNS1_25segmented_radix_sort_implINS0_14default_configELb0EPKiPiPKlPlN2at6native12_GLOBAL__N_18offset_tEEE10hipError_tPvRmT1_PNSt15iterator_traitsISY_E10value_typeET2_T3_PNSZ_IS14_E10value_typeET4_jRbjT5_S1A_jjP12ihipStream_tbEUljE_EEESV_SW_SX_S14_S18_S1A_T6_T7_T9_mT8_S1C_bDpT10_ENKUlT_T0_E_clISt17integral_constantIbLb0EES1O_IbLb1EEEEDaS1K_S1L_EUlS1K_E_NS1_11comp_targetILNS1_3genE4ELNS1_11target_archE910ELNS1_3gpuE8ELNS1_3repE0EEENS1_30default_config_static_selectorELNS0_4arch9wavefront6targetE0EEEvSY_,comdat
.Lfunc_end594:
	.size	_ZN7rocprim17ROCPRIM_400000_NS6detail17trampoline_kernelINS0_13select_configILj256ELj13ELNS0_17block_load_methodE3ELS4_3ELS4_3ELNS0_20block_scan_algorithmE0ELj4294967295EEENS1_25partition_config_selectorILNS1_17partition_subalgoE3EjNS0_10empty_typeEbEEZZNS1_14partition_implILS8_3ELb0ES6_jNS0_17counting_iteratorIjlEEPS9_SE_NS0_5tupleIJPjSE_EEENSF_IJSE_SE_EEES9_SG_JZNS1_25segmented_radix_sort_implINS0_14default_configELb0EPKiPiPKlPlN2at6native12_GLOBAL__N_18offset_tEEE10hipError_tPvRmT1_PNSt15iterator_traitsISY_E10value_typeET2_T3_PNSZ_IS14_E10value_typeET4_jRbjT5_S1A_jjP12ihipStream_tbEUljE_EEESV_SW_SX_S14_S18_S1A_T6_T7_T9_mT8_S1C_bDpT10_ENKUlT_T0_E_clISt17integral_constantIbLb0EES1O_IbLb1EEEEDaS1K_S1L_EUlS1K_E_NS1_11comp_targetILNS1_3genE4ELNS1_11target_archE910ELNS1_3gpuE8ELNS1_3repE0EEENS1_30default_config_static_selectorELNS0_4arch9wavefront6targetE0EEEvSY_, .Lfunc_end594-_ZN7rocprim17ROCPRIM_400000_NS6detail17trampoline_kernelINS0_13select_configILj256ELj13ELNS0_17block_load_methodE3ELS4_3ELS4_3ELNS0_20block_scan_algorithmE0ELj4294967295EEENS1_25partition_config_selectorILNS1_17partition_subalgoE3EjNS0_10empty_typeEbEEZZNS1_14partition_implILS8_3ELb0ES6_jNS0_17counting_iteratorIjlEEPS9_SE_NS0_5tupleIJPjSE_EEENSF_IJSE_SE_EEES9_SG_JZNS1_25segmented_radix_sort_implINS0_14default_configELb0EPKiPiPKlPlN2at6native12_GLOBAL__N_18offset_tEEE10hipError_tPvRmT1_PNSt15iterator_traitsISY_E10value_typeET2_T3_PNSZ_IS14_E10value_typeET4_jRbjT5_S1A_jjP12ihipStream_tbEUljE_EEESV_SW_SX_S14_S18_S1A_T6_T7_T9_mT8_S1C_bDpT10_ENKUlT_T0_E_clISt17integral_constantIbLb0EES1O_IbLb1EEEEDaS1K_S1L_EUlS1K_E_NS1_11comp_targetILNS1_3genE4ELNS1_11target_archE910ELNS1_3gpuE8ELNS1_3repE0EEENS1_30default_config_static_selectorELNS0_4arch9wavefront6targetE0EEEvSY_
                                        ; -- End function
	.section	.AMDGPU.csdata,"",@progbits
; Kernel info:
; codeLenInByte = 0
; NumSgprs: 0
; NumVgprs: 0
; ScratchSize: 0
; MemoryBound: 0
; FloatMode: 240
; IeeeMode: 1
; LDSByteSize: 0 bytes/workgroup (compile time only)
; SGPRBlocks: 0
; VGPRBlocks: 0
; NumSGPRsForWavesPerEU: 1
; NumVGPRsForWavesPerEU: 1
; Occupancy: 16
; WaveLimiterHint : 0
; COMPUTE_PGM_RSRC2:SCRATCH_EN: 0
; COMPUTE_PGM_RSRC2:USER_SGPR: 15
; COMPUTE_PGM_RSRC2:TRAP_HANDLER: 0
; COMPUTE_PGM_RSRC2:TGID_X_EN: 1
; COMPUTE_PGM_RSRC2:TGID_Y_EN: 0
; COMPUTE_PGM_RSRC2:TGID_Z_EN: 0
; COMPUTE_PGM_RSRC2:TIDIG_COMP_CNT: 0
	.section	.text._ZN7rocprim17ROCPRIM_400000_NS6detail17trampoline_kernelINS0_13select_configILj256ELj13ELNS0_17block_load_methodE3ELS4_3ELS4_3ELNS0_20block_scan_algorithmE0ELj4294967295EEENS1_25partition_config_selectorILNS1_17partition_subalgoE3EjNS0_10empty_typeEbEEZZNS1_14partition_implILS8_3ELb0ES6_jNS0_17counting_iteratorIjlEEPS9_SE_NS0_5tupleIJPjSE_EEENSF_IJSE_SE_EEES9_SG_JZNS1_25segmented_radix_sort_implINS0_14default_configELb0EPKiPiPKlPlN2at6native12_GLOBAL__N_18offset_tEEE10hipError_tPvRmT1_PNSt15iterator_traitsISY_E10value_typeET2_T3_PNSZ_IS14_E10value_typeET4_jRbjT5_S1A_jjP12ihipStream_tbEUljE_EEESV_SW_SX_S14_S18_S1A_T6_T7_T9_mT8_S1C_bDpT10_ENKUlT_T0_E_clISt17integral_constantIbLb0EES1O_IbLb1EEEEDaS1K_S1L_EUlS1K_E_NS1_11comp_targetILNS1_3genE3ELNS1_11target_archE908ELNS1_3gpuE7ELNS1_3repE0EEENS1_30default_config_static_selectorELNS0_4arch9wavefront6targetE0EEEvSY_,"axG",@progbits,_ZN7rocprim17ROCPRIM_400000_NS6detail17trampoline_kernelINS0_13select_configILj256ELj13ELNS0_17block_load_methodE3ELS4_3ELS4_3ELNS0_20block_scan_algorithmE0ELj4294967295EEENS1_25partition_config_selectorILNS1_17partition_subalgoE3EjNS0_10empty_typeEbEEZZNS1_14partition_implILS8_3ELb0ES6_jNS0_17counting_iteratorIjlEEPS9_SE_NS0_5tupleIJPjSE_EEENSF_IJSE_SE_EEES9_SG_JZNS1_25segmented_radix_sort_implINS0_14default_configELb0EPKiPiPKlPlN2at6native12_GLOBAL__N_18offset_tEEE10hipError_tPvRmT1_PNSt15iterator_traitsISY_E10value_typeET2_T3_PNSZ_IS14_E10value_typeET4_jRbjT5_S1A_jjP12ihipStream_tbEUljE_EEESV_SW_SX_S14_S18_S1A_T6_T7_T9_mT8_S1C_bDpT10_ENKUlT_T0_E_clISt17integral_constantIbLb0EES1O_IbLb1EEEEDaS1K_S1L_EUlS1K_E_NS1_11comp_targetILNS1_3genE3ELNS1_11target_archE908ELNS1_3gpuE7ELNS1_3repE0EEENS1_30default_config_static_selectorELNS0_4arch9wavefront6targetE0EEEvSY_,comdat
	.globl	_ZN7rocprim17ROCPRIM_400000_NS6detail17trampoline_kernelINS0_13select_configILj256ELj13ELNS0_17block_load_methodE3ELS4_3ELS4_3ELNS0_20block_scan_algorithmE0ELj4294967295EEENS1_25partition_config_selectorILNS1_17partition_subalgoE3EjNS0_10empty_typeEbEEZZNS1_14partition_implILS8_3ELb0ES6_jNS0_17counting_iteratorIjlEEPS9_SE_NS0_5tupleIJPjSE_EEENSF_IJSE_SE_EEES9_SG_JZNS1_25segmented_radix_sort_implINS0_14default_configELb0EPKiPiPKlPlN2at6native12_GLOBAL__N_18offset_tEEE10hipError_tPvRmT1_PNSt15iterator_traitsISY_E10value_typeET2_T3_PNSZ_IS14_E10value_typeET4_jRbjT5_S1A_jjP12ihipStream_tbEUljE_EEESV_SW_SX_S14_S18_S1A_T6_T7_T9_mT8_S1C_bDpT10_ENKUlT_T0_E_clISt17integral_constantIbLb0EES1O_IbLb1EEEEDaS1K_S1L_EUlS1K_E_NS1_11comp_targetILNS1_3genE3ELNS1_11target_archE908ELNS1_3gpuE7ELNS1_3repE0EEENS1_30default_config_static_selectorELNS0_4arch9wavefront6targetE0EEEvSY_ ; -- Begin function _ZN7rocprim17ROCPRIM_400000_NS6detail17trampoline_kernelINS0_13select_configILj256ELj13ELNS0_17block_load_methodE3ELS4_3ELS4_3ELNS0_20block_scan_algorithmE0ELj4294967295EEENS1_25partition_config_selectorILNS1_17partition_subalgoE3EjNS0_10empty_typeEbEEZZNS1_14partition_implILS8_3ELb0ES6_jNS0_17counting_iteratorIjlEEPS9_SE_NS0_5tupleIJPjSE_EEENSF_IJSE_SE_EEES9_SG_JZNS1_25segmented_radix_sort_implINS0_14default_configELb0EPKiPiPKlPlN2at6native12_GLOBAL__N_18offset_tEEE10hipError_tPvRmT1_PNSt15iterator_traitsISY_E10value_typeET2_T3_PNSZ_IS14_E10value_typeET4_jRbjT5_S1A_jjP12ihipStream_tbEUljE_EEESV_SW_SX_S14_S18_S1A_T6_T7_T9_mT8_S1C_bDpT10_ENKUlT_T0_E_clISt17integral_constantIbLb0EES1O_IbLb1EEEEDaS1K_S1L_EUlS1K_E_NS1_11comp_targetILNS1_3genE3ELNS1_11target_archE908ELNS1_3gpuE7ELNS1_3repE0EEENS1_30default_config_static_selectorELNS0_4arch9wavefront6targetE0EEEvSY_
	.p2align	8
	.type	_ZN7rocprim17ROCPRIM_400000_NS6detail17trampoline_kernelINS0_13select_configILj256ELj13ELNS0_17block_load_methodE3ELS4_3ELS4_3ELNS0_20block_scan_algorithmE0ELj4294967295EEENS1_25partition_config_selectorILNS1_17partition_subalgoE3EjNS0_10empty_typeEbEEZZNS1_14partition_implILS8_3ELb0ES6_jNS0_17counting_iteratorIjlEEPS9_SE_NS0_5tupleIJPjSE_EEENSF_IJSE_SE_EEES9_SG_JZNS1_25segmented_radix_sort_implINS0_14default_configELb0EPKiPiPKlPlN2at6native12_GLOBAL__N_18offset_tEEE10hipError_tPvRmT1_PNSt15iterator_traitsISY_E10value_typeET2_T3_PNSZ_IS14_E10value_typeET4_jRbjT5_S1A_jjP12ihipStream_tbEUljE_EEESV_SW_SX_S14_S18_S1A_T6_T7_T9_mT8_S1C_bDpT10_ENKUlT_T0_E_clISt17integral_constantIbLb0EES1O_IbLb1EEEEDaS1K_S1L_EUlS1K_E_NS1_11comp_targetILNS1_3genE3ELNS1_11target_archE908ELNS1_3gpuE7ELNS1_3repE0EEENS1_30default_config_static_selectorELNS0_4arch9wavefront6targetE0EEEvSY_,@function
_ZN7rocprim17ROCPRIM_400000_NS6detail17trampoline_kernelINS0_13select_configILj256ELj13ELNS0_17block_load_methodE3ELS4_3ELS4_3ELNS0_20block_scan_algorithmE0ELj4294967295EEENS1_25partition_config_selectorILNS1_17partition_subalgoE3EjNS0_10empty_typeEbEEZZNS1_14partition_implILS8_3ELb0ES6_jNS0_17counting_iteratorIjlEEPS9_SE_NS0_5tupleIJPjSE_EEENSF_IJSE_SE_EEES9_SG_JZNS1_25segmented_radix_sort_implINS0_14default_configELb0EPKiPiPKlPlN2at6native12_GLOBAL__N_18offset_tEEE10hipError_tPvRmT1_PNSt15iterator_traitsISY_E10value_typeET2_T3_PNSZ_IS14_E10value_typeET4_jRbjT5_S1A_jjP12ihipStream_tbEUljE_EEESV_SW_SX_S14_S18_S1A_T6_T7_T9_mT8_S1C_bDpT10_ENKUlT_T0_E_clISt17integral_constantIbLb0EES1O_IbLb1EEEEDaS1K_S1L_EUlS1K_E_NS1_11comp_targetILNS1_3genE3ELNS1_11target_archE908ELNS1_3gpuE7ELNS1_3repE0EEENS1_30default_config_static_selectorELNS0_4arch9wavefront6targetE0EEEvSY_: ; @_ZN7rocprim17ROCPRIM_400000_NS6detail17trampoline_kernelINS0_13select_configILj256ELj13ELNS0_17block_load_methodE3ELS4_3ELS4_3ELNS0_20block_scan_algorithmE0ELj4294967295EEENS1_25partition_config_selectorILNS1_17partition_subalgoE3EjNS0_10empty_typeEbEEZZNS1_14partition_implILS8_3ELb0ES6_jNS0_17counting_iteratorIjlEEPS9_SE_NS0_5tupleIJPjSE_EEENSF_IJSE_SE_EEES9_SG_JZNS1_25segmented_radix_sort_implINS0_14default_configELb0EPKiPiPKlPlN2at6native12_GLOBAL__N_18offset_tEEE10hipError_tPvRmT1_PNSt15iterator_traitsISY_E10value_typeET2_T3_PNSZ_IS14_E10value_typeET4_jRbjT5_S1A_jjP12ihipStream_tbEUljE_EEESV_SW_SX_S14_S18_S1A_T6_T7_T9_mT8_S1C_bDpT10_ENKUlT_T0_E_clISt17integral_constantIbLb0EES1O_IbLb1EEEEDaS1K_S1L_EUlS1K_E_NS1_11comp_targetILNS1_3genE3ELNS1_11target_archE908ELNS1_3gpuE7ELNS1_3repE0EEENS1_30default_config_static_selectorELNS0_4arch9wavefront6targetE0EEEvSY_
; %bb.0:
	.section	.rodata,"a",@progbits
	.p2align	6, 0x0
	.amdhsa_kernel _ZN7rocprim17ROCPRIM_400000_NS6detail17trampoline_kernelINS0_13select_configILj256ELj13ELNS0_17block_load_methodE3ELS4_3ELS4_3ELNS0_20block_scan_algorithmE0ELj4294967295EEENS1_25partition_config_selectorILNS1_17partition_subalgoE3EjNS0_10empty_typeEbEEZZNS1_14partition_implILS8_3ELb0ES6_jNS0_17counting_iteratorIjlEEPS9_SE_NS0_5tupleIJPjSE_EEENSF_IJSE_SE_EEES9_SG_JZNS1_25segmented_radix_sort_implINS0_14default_configELb0EPKiPiPKlPlN2at6native12_GLOBAL__N_18offset_tEEE10hipError_tPvRmT1_PNSt15iterator_traitsISY_E10value_typeET2_T3_PNSZ_IS14_E10value_typeET4_jRbjT5_S1A_jjP12ihipStream_tbEUljE_EEESV_SW_SX_S14_S18_S1A_T6_T7_T9_mT8_S1C_bDpT10_ENKUlT_T0_E_clISt17integral_constantIbLb0EES1O_IbLb1EEEEDaS1K_S1L_EUlS1K_E_NS1_11comp_targetILNS1_3genE3ELNS1_11target_archE908ELNS1_3gpuE7ELNS1_3repE0EEENS1_30default_config_static_selectorELNS0_4arch9wavefront6targetE0EEEvSY_
		.amdhsa_group_segment_fixed_size 0
		.amdhsa_private_segment_fixed_size 0
		.amdhsa_kernarg_size 152
		.amdhsa_user_sgpr_count 15
		.amdhsa_user_sgpr_dispatch_ptr 0
		.amdhsa_user_sgpr_queue_ptr 0
		.amdhsa_user_sgpr_kernarg_segment_ptr 1
		.amdhsa_user_sgpr_dispatch_id 0
		.amdhsa_user_sgpr_private_segment_size 0
		.amdhsa_wavefront_size32 1
		.amdhsa_uses_dynamic_stack 0
		.amdhsa_enable_private_segment 0
		.amdhsa_system_sgpr_workgroup_id_x 1
		.amdhsa_system_sgpr_workgroup_id_y 0
		.amdhsa_system_sgpr_workgroup_id_z 0
		.amdhsa_system_sgpr_workgroup_info 0
		.amdhsa_system_vgpr_workitem_id 0
		.amdhsa_next_free_vgpr 1
		.amdhsa_next_free_sgpr 1
		.amdhsa_reserve_vcc 0
		.amdhsa_float_round_mode_32 0
		.amdhsa_float_round_mode_16_64 0
		.amdhsa_float_denorm_mode_32 3
		.amdhsa_float_denorm_mode_16_64 3
		.amdhsa_dx10_clamp 1
		.amdhsa_ieee_mode 1
		.amdhsa_fp16_overflow 0
		.amdhsa_workgroup_processor_mode 1
		.amdhsa_memory_ordered 1
		.amdhsa_forward_progress 0
		.amdhsa_shared_vgpr_count 0
		.amdhsa_exception_fp_ieee_invalid_op 0
		.amdhsa_exception_fp_denorm_src 0
		.amdhsa_exception_fp_ieee_div_zero 0
		.amdhsa_exception_fp_ieee_overflow 0
		.amdhsa_exception_fp_ieee_underflow 0
		.amdhsa_exception_fp_ieee_inexact 0
		.amdhsa_exception_int_div_zero 0
	.end_amdhsa_kernel
	.section	.text._ZN7rocprim17ROCPRIM_400000_NS6detail17trampoline_kernelINS0_13select_configILj256ELj13ELNS0_17block_load_methodE3ELS4_3ELS4_3ELNS0_20block_scan_algorithmE0ELj4294967295EEENS1_25partition_config_selectorILNS1_17partition_subalgoE3EjNS0_10empty_typeEbEEZZNS1_14partition_implILS8_3ELb0ES6_jNS0_17counting_iteratorIjlEEPS9_SE_NS0_5tupleIJPjSE_EEENSF_IJSE_SE_EEES9_SG_JZNS1_25segmented_radix_sort_implINS0_14default_configELb0EPKiPiPKlPlN2at6native12_GLOBAL__N_18offset_tEEE10hipError_tPvRmT1_PNSt15iterator_traitsISY_E10value_typeET2_T3_PNSZ_IS14_E10value_typeET4_jRbjT5_S1A_jjP12ihipStream_tbEUljE_EEESV_SW_SX_S14_S18_S1A_T6_T7_T9_mT8_S1C_bDpT10_ENKUlT_T0_E_clISt17integral_constantIbLb0EES1O_IbLb1EEEEDaS1K_S1L_EUlS1K_E_NS1_11comp_targetILNS1_3genE3ELNS1_11target_archE908ELNS1_3gpuE7ELNS1_3repE0EEENS1_30default_config_static_selectorELNS0_4arch9wavefront6targetE0EEEvSY_,"axG",@progbits,_ZN7rocprim17ROCPRIM_400000_NS6detail17trampoline_kernelINS0_13select_configILj256ELj13ELNS0_17block_load_methodE3ELS4_3ELS4_3ELNS0_20block_scan_algorithmE0ELj4294967295EEENS1_25partition_config_selectorILNS1_17partition_subalgoE3EjNS0_10empty_typeEbEEZZNS1_14partition_implILS8_3ELb0ES6_jNS0_17counting_iteratorIjlEEPS9_SE_NS0_5tupleIJPjSE_EEENSF_IJSE_SE_EEES9_SG_JZNS1_25segmented_radix_sort_implINS0_14default_configELb0EPKiPiPKlPlN2at6native12_GLOBAL__N_18offset_tEEE10hipError_tPvRmT1_PNSt15iterator_traitsISY_E10value_typeET2_T3_PNSZ_IS14_E10value_typeET4_jRbjT5_S1A_jjP12ihipStream_tbEUljE_EEESV_SW_SX_S14_S18_S1A_T6_T7_T9_mT8_S1C_bDpT10_ENKUlT_T0_E_clISt17integral_constantIbLb0EES1O_IbLb1EEEEDaS1K_S1L_EUlS1K_E_NS1_11comp_targetILNS1_3genE3ELNS1_11target_archE908ELNS1_3gpuE7ELNS1_3repE0EEENS1_30default_config_static_selectorELNS0_4arch9wavefront6targetE0EEEvSY_,comdat
.Lfunc_end595:
	.size	_ZN7rocprim17ROCPRIM_400000_NS6detail17trampoline_kernelINS0_13select_configILj256ELj13ELNS0_17block_load_methodE3ELS4_3ELS4_3ELNS0_20block_scan_algorithmE0ELj4294967295EEENS1_25partition_config_selectorILNS1_17partition_subalgoE3EjNS0_10empty_typeEbEEZZNS1_14partition_implILS8_3ELb0ES6_jNS0_17counting_iteratorIjlEEPS9_SE_NS0_5tupleIJPjSE_EEENSF_IJSE_SE_EEES9_SG_JZNS1_25segmented_radix_sort_implINS0_14default_configELb0EPKiPiPKlPlN2at6native12_GLOBAL__N_18offset_tEEE10hipError_tPvRmT1_PNSt15iterator_traitsISY_E10value_typeET2_T3_PNSZ_IS14_E10value_typeET4_jRbjT5_S1A_jjP12ihipStream_tbEUljE_EEESV_SW_SX_S14_S18_S1A_T6_T7_T9_mT8_S1C_bDpT10_ENKUlT_T0_E_clISt17integral_constantIbLb0EES1O_IbLb1EEEEDaS1K_S1L_EUlS1K_E_NS1_11comp_targetILNS1_3genE3ELNS1_11target_archE908ELNS1_3gpuE7ELNS1_3repE0EEENS1_30default_config_static_selectorELNS0_4arch9wavefront6targetE0EEEvSY_, .Lfunc_end595-_ZN7rocprim17ROCPRIM_400000_NS6detail17trampoline_kernelINS0_13select_configILj256ELj13ELNS0_17block_load_methodE3ELS4_3ELS4_3ELNS0_20block_scan_algorithmE0ELj4294967295EEENS1_25partition_config_selectorILNS1_17partition_subalgoE3EjNS0_10empty_typeEbEEZZNS1_14partition_implILS8_3ELb0ES6_jNS0_17counting_iteratorIjlEEPS9_SE_NS0_5tupleIJPjSE_EEENSF_IJSE_SE_EEES9_SG_JZNS1_25segmented_radix_sort_implINS0_14default_configELb0EPKiPiPKlPlN2at6native12_GLOBAL__N_18offset_tEEE10hipError_tPvRmT1_PNSt15iterator_traitsISY_E10value_typeET2_T3_PNSZ_IS14_E10value_typeET4_jRbjT5_S1A_jjP12ihipStream_tbEUljE_EEESV_SW_SX_S14_S18_S1A_T6_T7_T9_mT8_S1C_bDpT10_ENKUlT_T0_E_clISt17integral_constantIbLb0EES1O_IbLb1EEEEDaS1K_S1L_EUlS1K_E_NS1_11comp_targetILNS1_3genE3ELNS1_11target_archE908ELNS1_3gpuE7ELNS1_3repE0EEENS1_30default_config_static_selectorELNS0_4arch9wavefront6targetE0EEEvSY_
                                        ; -- End function
	.section	.AMDGPU.csdata,"",@progbits
; Kernel info:
; codeLenInByte = 0
; NumSgprs: 0
; NumVgprs: 0
; ScratchSize: 0
; MemoryBound: 0
; FloatMode: 240
; IeeeMode: 1
; LDSByteSize: 0 bytes/workgroup (compile time only)
; SGPRBlocks: 0
; VGPRBlocks: 0
; NumSGPRsForWavesPerEU: 1
; NumVGPRsForWavesPerEU: 1
; Occupancy: 16
; WaveLimiterHint : 0
; COMPUTE_PGM_RSRC2:SCRATCH_EN: 0
; COMPUTE_PGM_RSRC2:USER_SGPR: 15
; COMPUTE_PGM_RSRC2:TRAP_HANDLER: 0
; COMPUTE_PGM_RSRC2:TGID_X_EN: 1
; COMPUTE_PGM_RSRC2:TGID_Y_EN: 0
; COMPUTE_PGM_RSRC2:TGID_Z_EN: 0
; COMPUTE_PGM_RSRC2:TIDIG_COMP_CNT: 0
	.section	.text._ZN7rocprim17ROCPRIM_400000_NS6detail17trampoline_kernelINS0_13select_configILj256ELj13ELNS0_17block_load_methodE3ELS4_3ELS4_3ELNS0_20block_scan_algorithmE0ELj4294967295EEENS1_25partition_config_selectorILNS1_17partition_subalgoE3EjNS0_10empty_typeEbEEZZNS1_14partition_implILS8_3ELb0ES6_jNS0_17counting_iteratorIjlEEPS9_SE_NS0_5tupleIJPjSE_EEENSF_IJSE_SE_EEES9_SG_JZNS1_25segmented_radix_sort_implINS0_14default_configELb0EPKiPiPKlPlN2at6native12_GLOBAL__N_18offset_tEEE10hipError_tPvRmT1_PNSt15iterator_traitsISY_E10value_typeET2_T3_PNSZ_IS14_E10value_typeET4_jRbjT5_S1A_jjP12ihipStream_tbEUljE_EEESV_SW_SX_S14_S18_S1A_T6_T7_T9_mT8_S1C_bDpT10_ENKUlT_T0_E_clISt17integral_constantIbLb0EES1O_IbLb1EEEEDaS1K_S1L_EUlS1K_E_NS1_11comp_targetILNS1_3genE2ELNS1_11target_archE906ELNS1_3gpuE6ELNS1_3repE0EEENS1_30default_config_static_selectorELNS0_4arch9wavefront6targetE0EEEvSY_,"axG",@progbits,_ZN7rocprim17ROCPRIM_400000_NS6detail17trampoline_kernelINS0_13select_configILj256ELj13ELNS0_17block_load_methodE3ELS4_3ELS4_3ELNS0_20block_scan_algorithmE0ELj4294967295EEENS1_25partition_config_selectorILNS1_17partition_subalgoE3EjNS0_10empty_typeEbEEZZNS1_14partition_implILS8_3ELb0ES6_jNS0_17counting_iteratorIjlEEPS9_SE_NS0_5tupleIJPjSE_EEENSF_IJSE_SE_EEES9_SG_JZNS1_25segmented_radix_sort_implINS0_14default_configELb0EPKiPiPKlPlN2at6native12_GLOBAL__N_18offset_tEEE10hipError_tPvRmT1_PNSt15iterator_traitsISY_E10value_typeET2_T3_PNSZ_IS14_E10value_typeET4_jRbjT5_S1A_jjP12ihipStream_tbEUljE_EEESV_SW_SX_S14_S18_S1A_T6_T7_T9_mT8_S1C_bDpT10_ENKUlT_T0_E_clISt17integral_constantIbLb0EES1O_IbLb1EEEEDaS1K_S1L_EUlS1K_E_NS1_11comp_targetILNS1_3genE2ELNS1_11target_archE906ELNS1_3gpuE6ELNS1_3repE0EEENS1_30default_config_static_selectorELNS0_4arch9wavefront6targetE0EEEvSY_,comdat
	.globl	_ZN7rocprim17ROCPRIM_400000_NS6detail17trampoline_kernelINS0_13select_configILj256ELj13ELNS0_17block_load_methodE3ELS4_3ELS4_3ELNS0_20block_scan_algorithmE0ELj4294967295EEENS1_25partition_config_selectorILNS1_17partition_subalgoE3EjNS0_10empty_typeEbEEZZNS1_14partition_implILS8_3ELb0ES6_jNS0_17counting_iteratorIjlEEPS9_SE_NS0_5tupleIJPjSE_EEENSF_IJSE_SE_EEES9_SG_JZNS1_25segmented_radix_sort_implINS0_14default_configELb0EPKiPiPKlPlN2at6native12_GLOBAL__N_18offset_tEEE10hipError_tPvRmT1_PNSt15iterator_traitsISY_E10value_typeET2_T3_PNSZ_IS14_E10value_typeET4_jRbjT5_S1A_jjP12ihipStream_tbEUljE_EEESV_SW_SX_S14_S18_S1A_T6_T7_T9_mT8_S1C_bDpT10_ENKUlT_T0_E_clISt17integral_constantIbLb0EES1O_IbLb1EEEEDaS1K_S1L_EUlS1K_E_NS1_11comp_targetILNS1_3genE2ELNS1_11target_archE906ELNS1_3gpuE6ELNS1_3repE0EEENS1_30default_config_static_selectorELNS0_4arch9wavefront6targetE0EEEvSY_ ; -- Begin function _ZN7rocprim17ROCPRIM_400000_NS6detail17trampoline_kernelINS0_13select_configILj256ELj13ELNS0_17block_load_methodE3ELS4_3ELS4_3ELNS0_20block_scan_algorithmE0ELj4294967295EEENS1_25partition_config_selectorILNS1_17partition_subalgoE3EjNS0_10empty_typeEbEEZZNS1_14partition_implILS8_3ELb0ES6_jNS0_17counting_iteratorIjlEEPS9_SE_NS0_5tupleIJPjSE_EEENSF_IJSE_SE_EEES9_SG_JZNS1_25segmented_radix_sort_implINS0_14default_configELb0EPKiPiPKlPlN2at6native12_GLOBAL__N_18offset_tEEE10hipError_tPvRmT1_PNSt15iterator_traitsISY_E10value_typeET2_T3_PNSZ_IS14_E10value_typeET4_jRbjT5_S1A_jjP12ihipStream_tbEUljE_EEESV_SW_SX_S14_S18_S1A_T6_T7_T9_mT8_S1C_bDpT10_ENKUlT_T0_E_clISt17integral_constantIbLb0EES1O_IbLb1EEEEDaS1K_S1L_EUlS1K_E_NS1_11comp_targetILNS1_3genE2ELNS1_11target_archE906ELNS1_3gpuE6ELNS1_3repE0EEENS1_30default_config_static_selectorELNS0_4arch9wavefront6targetE0EEEvSY_
	.p2align	8
	.type	_ZN7rocprim17ROCPRIM_400000_NS6detail17trampoline_kernelINS0_13select_configILj256ELj13ELNS0_17block_load_methodE3ELS4_3ELS4_3ELNS0_20block_scan_algorithmE0ELj4294967295EEENS1_25partition_config_selectorILNS1_17partition_subalgoE3EjNS0_10empty_typeEbEEZZNS1_14partition_implILS8_3ELb0ES6_jNS0_17counting_iteratorIjlEEPS9_SE_NS0_5tupleIJPjSE_EEENSF_IJSE_SE_EEES9_SG_JZNS1_25segmented_radix_sort_implINS0_14default_configELb0EPKiPiPKlPlN2at6native12_GLOBAL__N_18offset_tEEE10hipError_tPvRmT1_PNSt15iterator_traitsISY_E10value_typeET2_T3_PNSZ_IS14_E10value_typeET4_jRbjT5_S1A_jjP12ihipStream_tbEUljE_EEESV_SW_SX_S14_S18_S1A_T6_T7_T9_mT8_S1C_bDpT10_ENKUlT_T0_E_clISt17integral_constantIbLb0EES1O_IbLb1EEEEDaS1K_S1L_EUlS1K_E_NS1_11comp_targetILNS1_3genE2ELNS1_11target_archE906ELNS1_3gpuE6ELNS1_3repE0EEENS1_30default_config_static_selectorELNS0_4arch9wavefront6targetE0EEEvSY_,@function
_ZN7rocprim17ROCPRIM_400000_NS6detail17trampoline_kernelINS0_13select_configILj256ELj13ELNS0_17block_load_methodE3ELS4_3ELS4_3ELNS0_20block_scan_algorithmE0ELj4294967295EEENS1_25partition_config_selectorILNS1_17partition_subalgoE3EjNS0_10empty_typeEbEEZZNS1_14partition_implILS8_3ELb0ES6_jNS0_17counting_iteratorIjlEEPS9_SE_NS0_5tupleIJPjSE_EEENSF_IJSE_SE_EEES9_SG_JZNS1_25segmented_radix_sort_implINS0_14default_configELb0EPKiPiPKlPlN2at6native12_GLOBAL__N_18offset_tEEE10hipError_tPvRmT1_PNSt15iterator_traitsISY_E10value_typeET2_T3_PNSZ_IS14_E10value_typeET4_jRbjT5_S1A_jjP12ihipStream_tbEUljE_EEESV_SW_SX_S14_S18_S1A_T6_T7_T9_mT8_S1C_bDpT10_ENKUlT_T0_E_clISt17integral_constantIbLb0EES1O_IbLb1EEEEDaS1K_S1L_EUlS1K_E_NS1_11comp_targetILNS1_3genE2ELNS1_11target_archE906ELNS1_3gpuE6ELNS1_3repE0EEENS1_30default_config_static_selectorELNS0_4arch9wavefront6targetE0EEEvSY_: ; @_ZN7rocprim17ROCPRIM_400000_NS6detail17trampoline_kernelINS0_13select_configILj256ELj13ELNS0_17block_load_methodE3ELS4_3ELS4_3ELNS0_20block_scan_algorithmE0ELj4294967295EEENS1_25partition_config_selectorILNS1_17partition_subalgoE3EjNS0_10empty_typeEbEEZZNS1_14partition_implILS8_3ELb0ES6_jNS0_17counting_iteratorIjlEEPS9_SE_NS0_5tupleIJPjSE_EEENSF_IJSE_SE_EEES9_SG_JZNS1_25segmented_radix_sort_implINS0_14default_configELb0EPKiPiPKlPlN2at6native12_GLOBAL__N_18offset_tEEE10hipError_tPvRmT1_PNSt15iterator_traitsISY_E10value_typeET2_T3_PNSZ_IS14_E10value_typeET4_jRbjT5_S1A_jjP12ihipStream_tbEUljE_EEESV_SW_SX_S14_S18_S1A_T6_T7_T9_mT8_S1C_bDpT10_ENKUlT_T0_E_clISt17integral_constantIbLb0EES1O_IbLb1EEEEDaS1K_S1L_EUlS1K_E_NS1_11comp_targetILNS1_3genE2ELNS1_11target_archE906ELNS1_3gpuE6ELNS1_3repE0EEENS1_30default_config_static_selectorELNS0_4arch9wavefront6targetE0EEEvSY_
; %bb.0:
	.section	.rodata,"a",@progbits
	.p2align	6, 0x0
	.amdhsa_kernel _ZN7rocprim17ROCPRIM_400000_NS6detail17trampoline_kernelINS0_13select_configILj256ELj13ELNS0_17block_load_methodE3ELS4_3ELS4_3ELNS0_20block_scan_algorithmE0ELj4294967295EEENS1_25partition_config_selectorILNS1_17partition_subalgoE3EjNS0_10empty_typeEbEEZZNS1_14partition_implILS8_3ELb0ES6_jNS0_17counting_iteratorIjlEEPS9_SE_NS0_5tupleIJPjSE_EEENSF_IJSE_SE_EEES9_SG_JZNS1_25segmented_radix_sort_implINS0_14default_configELb0EPKiPiPKlPlN2at6native12_GLOBAL__N_18offset_tEEE10hipError_tPvRmT1_PNSt15iterator_traitsISY_E10value_typeET2_T3_PNSZ_IS14_E10value_typeET4_jRbjT5_S1A_jjP12ihipStream_tbEUljE_EEESV_SW_SX_S14_S18_S1A_T6_T7_T9_mT8_S1C_bDpT10_ENKUlT_T0_E_clISt17integral_constantIbLb0EES1O_IbLb1EEEEDaS1K_S1L_EUlS1K_E_NS1_11comp_targetILNS1_3genE2ELNS1_11target_archE906ELNS1_3gpuE6ELNS1_3repE0EEENS1_30default_config_static_selectorELNS0_4arch9wavefront6targetE0EEEvSY_
		.amdhsa_group_segment_fixed_size 0
		.amdhsa_private_segment_fixed_size 0
		.amdhsa_kernarg_size 152
		.amdhsa_user_sgpr_count 15
		.amdhsa_user_sgpr_dispatch_ptr 0
		.amdhsa_user_sgpr_queue_ptr 0
		.amdhsa_user_sgpr_kernarg_segment_ptr 1
		.amdhsa_user_sgpr_dispatch_id 0
		.amdhsa_user_sgpr_private_segment_size 0
		.amdhsa_wavefront_size32 1
		.amdhsa_uses_dynamic_stack 0
		.amdhsa_enable_private_segment 0
		.amdhsa_system_sgpr_workgroup_id_x 1
		.amdhsa_system_sgpr_workgroup_id_y 0
		.amdhsa_system_sgpr_workgroup_id_z 0
		.amdhsa_system_sgpr_workgroup_info 0
		.amdhsa_system_vgpr_workitem_id 0
		.amdhsa_next_free_vgpr 1
		.amdhsa_next_free_sgpr 1
		.amdhsa_reserve_vcc 0
		.amdhsa_float_round_mode_32 0
		.amdhsa_float_round_mode_16_64 0
		.amdhsa_float_denorm_mode_32 3
		.amdhsa_float_denorm_mode_16_64 3
		.amdhsa_dx10_clamp 1
		.amdhsa_ieee_mode 1
		.amdhsa_fp16_overflow 0
		.amdhsa_workgroup_processor_mode 1
		.amdhsa_memory_ordered 1
		.amdhsa_forward_progress 0
		.amdhsa_shared_vgpr_count 0
		.amdhsa_exception_fp_ieee_invalid_op 0
		.amdhsa_exception_fp_denorm_src 0
		.amdhsa_exception_fp_ieee_div_zero 0
		.amdhsa_exception_fp_ieee_overflow 0
		.amdhsa_exception_fp_ieee_underflow 0
		.amdhsa_exception_fp_ieee_inexact 0
		.amdhsa_exception_int_div_zero 0
	.end_amdhsa_kernel
	.section	.text._ZN7rocprim17ROCPRIM_400000_NS6detail17trampoline_kernelINS0_13select_configILj256ELj13ELNS0_17block_load_methodE3ELS4_3ELS4_3ELNS0_20block_scan_algorithmE0ELj4294967295EEENS1_25partition_config_selectorILNS1_17partition_subalgoE3EjNS0_10empty_typeEbEEZZNS1_14partition_implILS8_3ELb0ES6_jNS0_17counting_iteratorIjlEEPS9_SE_NS0_5tupleIJPjSE_EEENSF_IJSE_SE_EEES9_SG_JZNS1_25segmented_radix_sort_implINS0_14default_configELb0EPKiPiPKlPlN2at6native12_GLOBAL__N_18offset_tEEE10hipError_tPvRmT1_PNSt15iterator_traitsISY_E10value_typeET2_T3_PNSZ_IS14_E10value_typeET4_jRbjT5_S1A_jjP12ihipStream_tbEUljE_EEESV_SW_SX_S14_S18_S1A_T6_T7_T9_mT8_S1C_bDpT10_ENKUlT_T0_E_clISt17integral_constantIbLb0EES1O_IbLb1EEEEDaS1K_S1L_EUlS1K_E_NS1_11comp_targetILNS1_3genE2ELNS1_11target_archE906ELNS1_3gpuE6ELNS1_3repE0EEENS1_30default_config_static_selectorELNS0_4arch9wavefront6targetE0EEEvSY_,"axG",@progbits,_ZN7rocprim17ROCPRIM_400000_NS6detail17trampoline_kernelINS0_13select_configILj256ELj13ELNS0_17block_load_methodE3ELS4_3ELS4_3ELNS0_20block_scan_algorithmE0ELj4294967295EEENS1_25partition_config_selectorILNS1_17partition_subalgoE3EjNS0_10empty_typeEbEEZZNS1_14partition_implILS8_3ELb0ES6_jNS0_17counting_iteratorIjlEEPS9_SE_NS0_5tupleIJPjSE_EEENSF_IJSE_SE_EEES9_SG_JZNS1_25segmented_radix_sort_implINS0_14default_configELb0EPKiPiPKlPlN2at6native12_GLOBAL__N_18offset_tEEE10hipError_tPvRmT1_PNSt15iterator_traitsISY_E10value_typeET2_T3_PNSZ_IS14_E10value_typeET4_jRbjT5_S1A_jjP12ihipStream_tbEUljE_EEESV_SW_SX_S14_S18_S1A_T6_T7_T9_mT8_S1C_bDpT10_ENKUlT_T0_E_clISt17integral_constantIbLb0EES1O_IbLb1EEEEDaS1K_S1L_EUlS1K_E_NS1_11comp_targetILNS1_3genE2ELNS1_11target_archE906ELNS1_3gpuE6ELNS1_3repE0EEENS1_30default_config_static_selectorELNS0_4arch9wavefront6targetE0EEEvSY_,comdat
.Lfunc_end596:
	.size	_ZN7rocprim17ROCPRIM_400000_NS6detail17trampoline_kernelINS0_13select_configILj256ELj13ELNS0_17block_load_methodE3ELS4_3ELS4_3ELNS0_20block_scan_algorithmE0ELj4294967295EEENS1_25partition_config_selectorILNS1_17partition_subalgoE3EjNS0_10empty_typeEbEEZZNS1_14partition_implILS8_3ELb0ES6_jNS0_17counting_iteratorIjlEEPS9_SE_NS0_5tupleIJPjSE_EEENSF_IJSE_SE_EEES9_SG_JZNS1_25segmented_radix_sort_implINS0_14default_configELb0EPKiPiPKlPlN2at6native12_GLOBAL__N_18offset_tEEE10hipError_tPvRmT1_PNSt15iterator_traitsISY_E10value_typeET2_T3_PNSZ_IS14_E10value_typeET4_jRbjT5_S1A_jjP12ihipStream_tbEUljE_EEESV_SW_SX_S14_S18_S1A_T6_T7_T9_mT8_S1C_bDpT10_ENKUlT_T0_E_clISt17integral_constantIbLb0EES1O_IbLb1EEEEDaS1K_S1L_EUlS1K_E_NS1_11comp_targetILNS1_3genE2ELNS1_11target_archE906ELNS1_3gpuE6ELNS1_3repE0EEENS1_30default_config_static_selectorELNS0_4arch9wavefront6targetE0EEEvSY_, .Lfunc_end596-_ZN7rocprim17ROCPRIM_400000_NS6detail17trampoline_kernelINS0_13select_configILj256ELj13ELNS0_17block_load_methodE3ELS4_3ELS4_3ELNS0_20block_scan_algorithmE0ELj4294967295EEENS1_25partition_config_selectorILNS1_17partition_subalgoE3EjNS0_10empty_typeEbEEZZNS1_14partition_implILS8_3ELb0ES6_jNS0_17counting_iteratorIjlEEPS9_SE_NS0_5tupleIJPjSE_EEENSF_IJSE_SE_EEES9_SG_JZNS1_25segmented_radix_sort_implINS0_14default_configELb0EPKiPiPKlPlN2at6native12_GLOBAL__N_18offset_tEEE10hipError_tPvRmT1_PNSt15iterator_traitsISY_E10value_typeET2_T3_PNSZ_IS14_E10value_typeET4_jRbjT5_S1A_jjP12ihipStream_tbEUljE_EEESV_SW_SX_S14_S18_S1A_T6_T7_T9_mT8_S1C_bDpT10_ENKUlT_T0_E_clISt17integral_constantIbLb0EES1O_IbLb1EEEEDaS1K_S1L_EUlS1K_E_NS1_11comp_targetILNS1_3genE2ELNS1_11target_archE906ELNS1_3gpuE6ELNS1_3repE0EEENS1_30default_config_static_selectorELNS0_4arch9wavefront6targetE0EEEvSY_
                                        ; -- End function
	.section	.AMDGPU.csdata,"",@progbits
; Kernel info:
; codeLenInByte = 0
; NumSgprs: 0
; NumVgprs: 0
; ScratchSize: 0
; MemoryBound: 0
; FloatMode: 240
; IeeeMode: 1
; LDSByteSize: 0 bytes/workgroup (compile time only)
; SGPRBlocks: 0
; VGPRBlocks: 0
; NumSGPRsForWavesPerEU: 1
; NumVGPRsForWavesPerEU: 1
; Occupancy: 16
; WaveLimiterHint : 0
; COMPUTE_PGM_RSRC2:SCRATCH_EN: 0
; COMPUTE_PGM_RSRC2:USER_SGPR: 15
; COMPUTE_PGM_RSRC2:TRAP_HANDLER: 0
; COMPUTE_PGM_RSRC2:TGID_X_EN: 1
; COMPUTE_PGM_RSRC2:TGID_Y_EN: 0
; COMPUTE_PGM_RSRC2:TGID_Z_EN: 0
; COMPUTE_PGM_RSRC2:TIDIG_COMP_CNT: 0
	.section	.text._ZN7rocprim17ROCPRIM_400000_NS6detail17trampoline_kernelINS0_13select_configILj256ELj13ELNS0_17block_load_methodE3ELS4_3ELS4_3ELNS0_20block_scan_algorithmE0ELj4294967295EEENS1_25partition_config_selectorILNS1_17partition_subalgoE3EjNS0_10empty_typeEbEEZZNS1_14partition_implILS8_3ELb0ES6_jNS0_17counting_iteratorIjlEEPS9_SE_NS0_5tupleIJPjSE_EEENSF_IJSE_SE_EEES9_SG_JZNS1_25segmented_radix_sort_implINS0_14default_configELb0EPKiPiPKlPlN2at6native12_GLOBAL__N_18offset_tEEE10hipError_tPvRmT1_PNSt15iterator_traitsISY_E10value_typeET2_T3_PNSZ_IS14_E10value_typeET4_jRbjT5_S1A_jjP12ihipStream_tbEUljE_EEESV_SW_SX_S14_S18_S1A_T6_T7_T9_mT8_S1C_bDpT10_ENKUlT_T0_E_clISt17integral_constantIbLb0EES1O_IbLb1EEEEDaS1K_S1L_EUlS1K_E_NS1_11comp_targetILNS1_3genE10ELNS1_11target_archE1200ELNS1_3gpuE4ELNS1_3repE0EEENS1_30default_config_static_selectorELNS0_4arch9wavefront6targetE0EEEvSY_,"axG",@progbits,_ZN7rocprim17ROCPRIM_400000_NS6detail17trampoline_kernelINS0_13select_configILj256ELj13ELNS0_17block_load_methodE3ELS4_3ELS4_3ELNS0_20block_scan_algorithmE0ELj4294967295EEENS1_25partition_config_selectorILNS1_17partition_subalgoE3EjNS0_10empty_typeEbEEZZNS1_14partition_implILS8_3ELb0ES6_jNS0_17counting_iteratorIjlEEPS9_SE_NS0_5tupleIJPjSE_EEENSF_IJSE_SE_EEES9_SG_JZNS1_25segmented_radix_sort_implINS0_14default_configELb0EPKiPiPKlPlN2at6native12_GLOBAL__N_18offset_tEEE10hipError_tPvRmT1_PNSt15iterator_traitsISY_E10value_typeET2_T3_PNSZ_IS14_E10value_typeET4_jRbjT5_S1A_jjP12ihipStream_tbEUljE_EEESV_SW_SX_S14_S18_S1A_T6_T7_T9_mT8_S1C_bDpT10_ENKUlT_T0_E_clISt17integral_constantIbLb0EES1O_IbLb1EEEEDaS1K_S1L_EUlS1K_E_NS1_11comp_targetILNS1_3genE10ELNS1_11target_archE1200ELNS1_3gpuE4ELNS1_3repE0EEENS1_30default_config_static_selectorELNS0_4arch9wavefront6targetE0EEEvSY_,comdat
	.globl	_ZN7rocprim17ROCPRIM_400000_NS6detail17trampoline_kernelINS0_13select_configILj256ELj13ELNS0_17block_load_methodE3ELS4_3ELS4_3ELNS0_20block_scan_algorithmE0ELj4294967295EEENS1_25partition_config_selectorILNS1_17partition_subalgoE3EjNS0_10empty_typeEbEEZZNS1_14partition_implILS8_3ELb0ES6_jNS0_17counting_iteratorIjlEEPS9_SE_NS0_5tupleIJPjSE_EEENSF_IJSE_SE_EEES9_SG_JZNS1_25segmented_radix_sort_implINS0_14default_configELb0EPKiPiPKlPlN2at6native12_GLOBAL__N_18offset_tEEE10hipError_tPvRmT1_PNSt15iterator_traitsISY_E10value_typeET2_T3_PNSZ_IS14_E10value_typeET4_jRbjT5_S1A_jjP12ihipStream_tbEUljE_EEESV_SW_SX_S14_S18_S1A_T6_T7_T9_mT8_S1C_bDpT10_ENKUlT_T0_E_clISt17integral_constantIbLb0EES1O_IbLb1EEEEDaS1K_S1L_EUlS1K_E_NS1_11comp_targetILNS1_3genE10ELNS1_11target_archE1200ELNS1_3gpuE4ELNS1_3repE0EEENS1_30default_config_static_selectorELNS0_4arch9wavefront6targetE0EEEvSY_ ; -- Begin function _ZN7rocprim17ROCPRIM_400000_NS6detail17trampoline_kernelINS0_13select_configILj256ELj13ELNS0_17block_load_methodE3ELS4_3ELS4_3ELNS0_20block_scan_algorithmE0ELj4294967295EEENS1_25partition_config_selectorILNS1_17partition_subalgoE3EjNS0_10empty_typeEbEEZZNS1_14partition_implILS8_3ELb0ES6_jNS0_17counting_iteratorIjlEEPS9_SE_NS0_5tupleIJPjSE_EEENSF_IJSE_SE_EEES9_SG_JZNS1_25segmented_radix_sort_implINS0_14default_configELb0EPKiPiPKlPlN2at6native12_GLOBAL__N_18offset_tEEE10hipError_tPvRmT1_PNSt15iterator_traitsISY_E10value_typeET2_T3_PNSZ_IS14_E10value_typeET4_jRbjT5_S1A_jjP12ihipStream_tbEUljE_EEESV_SW_SX_S14_S18_S1A_T6_T7_T9_mT8_S1C_bDpT10_ENKUlT_T0_E_clISt17integral_constantIbLb0EES1O_IbLb1EEEEDaS1K_S1L_EUlS1K_E_NS1_11comp_targetILNS1_3genE10ELNS1_11target_archE1200ELNS1_3gpuE4ELNS1_3repE0EEENS1_30default_config_static_selectorELNS0_4arch9wavefront6targetE0EEEvSY_
	.p2align	8
	.type	_ZN7rocprim17ROCPRIM_400000_NS6detail17trampoline_kernelINS0_13select_configILj256ELj13ELNS0_17block_load_methodE3ELS4_3ELS4_3ELNS0_20block_scan_algorithmE0ELj4294967295EEENS1_25partition_config_selectorILNS1_17partition_subalgoE3EjNS0_10empty_typeEbEEZZNS1_14partition_implILS8_3ELb0ES6_jNS0_17counting_iteratorIjlEEPS9_SE_NS0_5tupleIJPjSE_EEENSF_IJSE_SE_EEES9_SG_JZNS1_25segmented_radix_sort_implINS0_14default_configELb0EPKiPiPKlPlN2at6native12_GLOBAL__N_18offset_tEEE10hipError_tPvRmT1_PNSt15iterator_traitsISY_E10value_typeET2_T3_PNSZ_IS14_E10value_typeET4_jRbjT5_S1A_jjP12ihipStream_tbEUljE_EEESV_SW_SX_S14_S18_S1A_T6_T7_T9_mT8_S1C_bDpT10_ENKUlT_T0_E_clISt17integral_constantIbLb0EES1O_IbLb1EEEEDaS1K_S1L_EUlS1K_E_NS1_11comp_targetILNS1_3genE10ELNS1_11target_archE1200ELNS1_3gpuE4ELNS1_3repE0EEENS1_30default_config_static_selectorELNS0_4arch9wavefront6targetE0EEEvSY_,@function
_ZN7rocprim17ROCPRIM_400000_NS6detail17trampoline_kernelINS0_13select_configILj256ELj13ELNS0_17block_load_methodE3ELS4_3ELS4_3ELNS0_20block_scan_algorithmE0ELj4294967295EEENS1_25partition_config_selectorILNS1_17partition_subalgoE3EjNS0_10empty_typeEbEEZZNS1_14partition_implILS8_3ELb0ES6_jNS0_17counting_iteratorIjlEEPS9_SE_NS0_5tupleIJPjSE_EEENSF_IJSE_SE_EEES9_SG_JZNS1_25segmented_radix_sort_implINS0_14default_configELb0EPKiPiPKlPlN2at6native12_GLOBAL__N_18offset_tEEE10hipError_tPvRmT1_PNSt15iterator_traitsISY_E10value_typeET2_T3_PNSZ_IS14_E10value_typeET4_jRbjT5_S1A_jjP12ihipStream_tbEUljE_EEESV_SW_SX_S14_S18_S1A_T6_T7_T9_mT8_S1C_bDpT10_ENKUlT_T0_E_clISt17integral_constantIbLb0EES1O_IbLb1EEEEDaS1K_S1L_EUlS1K_E_NS1_11comp_targetILNS1_3genE10ELNS1_11target_archE1200ELNS1_3gpuE4ELNS1_3repE0EEENS1_30default_config_static_selectorELNS0_4arch9wavefront6targetE0EEEvSY_: ; @_ZN7rocprim17ROCPRIM_400000_NS6detail17trampoline_kernelINS0_13select_configILj256ELj13ELNS0_17block_load_methodE3ELS4_3ELS4_3ELNS0_20block_scan_algorithmE0ELj4294967295EEENS1_25partition_config_selectorILNS1_17partition_subalgoE3EjNS0_10empty_typeEbEEZZNS1_14partition_implILS8_3ELb0ES6_jNS0_17counting_iteratorIjlEEPS9_SE_NS0_5tupleIJPjSE_EEENSF_IJSE_SE_EEES9_SG_JZNS1_25segmented_radix_sort_implINS0_14default_configELb0EPKiPiPKlPlN2at6native12_GLOBAL__N_18offset_tEEE10hipError_tPvRmT1_PNSt15iterator_traitsISY_E10value_typeET2_T3_PNSZ_IS14_E10value_typeET4_jRbjT5_S1A_jjP12ihipStream_tbEUljE_EEESV_SW_SX_S14_S18_S1A_T6_T7_T9_mT8_S1C_bDpT10_ENKUlT_T0_E_clISt17integral_constantIbLb0EES1O_IbLb1EEEEDaS1K_S1L_EUlS1K_E_NS1_11comp_targetILNS1_3genE10ELNS1_11target_archE1200ELNS1_3gpuE4ELNS1_3repE0EEENS1_30default_config_static_selectorELNS0_4arch9wavefront6targetE0EEEvSY_
; %bb.0:
	.section	.rodata,"a",@progbits
	.p2align	6, 0x0
	.amdhsa_kernel _ZN7rocprim17ROCPRIM_400000_NS6detail17trampoline_kernelINS0_13select_configILj256ELj13ELNS0_17block_load_methodE3ELS4_3ELS4_3ELNS0_20block_scan_algorithmE0ELj4294967295EEENS1_25partition_config_selectorILNS1_17partition_subalgoE3EjNS0_10empty_typeEbEEZZNS1_14partition_implILS8_3ELb0ES6_jNS0_17counting_iteratorIjlEEPS9_SE_NS0_5tupleIJPjSE_EEENSF_IJSE_SE_EEES9_SG_JZNS1_25segmented_radix_sort_implINS0_14default_configELb0EPKiPiPKlPlN2at6native12_GLOBAL__N_18offset_tEEE10hipError_tPvRmT1_PNSt15iterator_traitsISY_E10value_typeET2_T3_PNSZ_IS14_E10value_typeET4_jRbjT5_S1A_jjP12ihipStream_tbEUljE_EEESV_SW_SX_S14_S18_S1A_T6_T7_T9_mT8_S1C_bDpT10_ENKUlT_T0_E_clISt17integral_constantIbLb0EES1O_IbLb1EEEEDaS1K_S1L_EUlS1K_E_NS1_11comp_targetILNS1_3genE10ELNS1_11target_archE1200ELNS1_3gpuE4ELNS1_3repE0EEENS1_30default_config_static_selectorELNS0_4arch9wavefront6targetE0EEEvSY_
		.amdhsa_group_segment_fixed_size 0
		.amdhsa_private_segment_fixed_size 0
		.amdhsa_kernarg_size 152
		.amdhsa_user_sgpr_count 15
		.amdhsa_user_sgpr_dispatch_ptr 0
		.amdhsa_user_sgpr_queue_ptr 0
		.amdhsa_user_sgpr_kernarg_segment_ptr 1
		.amdhsa_user_sgpr_dispatch_id 0
		.amdhsa_user_sgpr_private_segment_size 0
		.amdhsa_wavefront_size32 1
		.amdhsa_uses_dynamic_stack 0
		.amdhsa_enable_private_segment 0
		.amdhsa_system_sgpr_workgroup_id_x 1
		.amdhsa_system_sgpr_workgroup_id_y 0
		.amdhsa_system_sgpr_workgroup_id_z 0
		.amdhsa_system_sgpr_workgroup_info 0
		.amdhsa_system_vgpr_workitem_id 0
		.amdhsa_next_free_vgpr 1
		.amdhsa_next_free_sgpr 1
		.amdhsa_reserve_vcc 0
		.amdhsa_float_round_mode_32 0
		.amdhsa_float_round_mode_16_64 0
		.amdhsa_float_denorm_mode_32 3
		.amdhsa_float_denorm_mode_16_64 3
		.amdhsa_dx10_clamp 1
		.amdhsa_ieee_mode 1
		.amdhsa_fp16_overflow 0
		.amdhsa_workgroup_processor_mode 1
		.amdhsa_memory_ordered 1
		.amdhsa_forward_progress 0
		.amdhsa_shared_vgpr_count 0
		.amdhsa_exception_fp_ieee_invalid_op 0
		.amdhsa_exception_fp_denorm_src 0
		.amdhsa_exception_fp_ieee_div_zero 0
		.amdhsa_exception_fp_ieee_overflow 0
		.amdhsa_exception_fp_ieee_underflow 0
		.amdhsa_exception_fp_ieee_inexact 0
		.amdhsa_exception_int_div_zero 0
	.end_amdhsa_kernel
	.section	.text._ZN7rocprim17ROCPRIM_400000_NS6detail17trampoline_kernelINS0_13select_configILj256ELj13ELNS0_17block_load_methodE3ELS4_3ELS4_3ELNS0_20block_scan_algorithmE0ELj4294967295EEENS1_25partition_config_selectorILNS1_17partition_subalgoE3EjNS0_10empty_typeEbEEZZNS1_14partition_implILS8_3ELb0ES6_jNS0_17counting_iteratorIjlEEPS9_SE_NS0_5tupleIJPjSE_EEENSF_IJSE_SE_EEES9_SG_JZNS1_25segmented_radix_sort_implINS0_14default_configELb0EPKiPiPKlPlN2at6native12_GLOBAL__N_18offset_tEEE10hipError_tPvRmT1_PNSt15iterator_traitsISY_E10value_typeET2_T3_PNSZ_IS14_E10value_typeET4_jRbjT5_S1A_jjP12ihipStream_tbEUljE_EEESV_SW_SX_S14_S18_S1A_T6_T7_T9_mT8_S1C_bDpT10_ENKUlT_T0_E_clISt17integral_constantIbLb0EES1O_IbLb1EEEEDaS1K_S1L_EUlS1K_E_NS1_11comp_targetILNS1_3genE10ELNS1_11target_archE1200ELNS1_3gpuE4ELNS1_3repE0EEENS1_30default_config_static_selectorELNS0_4arch9wavefront6targetE0EEEvSY_,"axG",@progbits,_ZN7rocprim17ROCPRIM_400000_NS6detail17trampoline_kernelINS0_13select_configILj256ELj13ELNS0_17block_load_methodE3ELS4_3ELS4_3ELNS0_20block_scan_algorithmE0ELj4294967295EEENS1_25partition_config_selectorILNS1_17partition_subalgoE3EjNS0_10empty_typeEbEEZZNS1_14partition_implILS8_3ELb0ES6_jNS0_17counting_iteratorIjlEEPS9_SE_NS0_5tupleIJPjSE_EEENSF_IJSE_SE_EEES9_SG_JZNS1_25segmented_radix_sort_implINS0_14default_configELb0EPKiPiPKlPlN2at6native12_GLOBAL__N_18offset_tEEE10hipError_tPvRmT1_PNSt15iterator_traitsISY_E10value_typeET2_T3_PNSZ_IS14_E10value_typeET4_jRbjT5_S1A_jjP12ihipStream_tbEUljE_EEESV_SW_SX_S14_S18_S1A_T6_T7_T9_mT8_S1C_bDpT10_ENKUlT_T0_E_clISt17integral_constantIbLb0EES1O_IbLb1EEEEDaS1K_S1L_EUlS1K_E_NS1_11comp_targetILNS1_3genE10ELNS1_11target_archE1200ELNS1_3gpuE4ELNS1_3repE0EEENS1_30default_config_static_selectorELNS0_4arch9wavefront6targetE0EEEvSY_,comdat
.Lfunc_end597:
	.size	_ZN7rocprim17ROCPRIM_400000_NS6detail17trampoline_kernelINS0_13select_configILj256ELj13ELNS0_17block_load_methodE3ELS4_3ELS4_3ELNS0_20block_scan_algorithmE0ELj4294967295EEENS1_25partition_config_selectorILNS1_17partition_subalgoE3EjNS0_10empty_typeEbEEZZNS1_14partition_implILS8_3ELb0ES6_jNS0_17counting_iteratorIjlEEPS9_SE_NS0_5tupleIJPjSE_EEENSF_IJSE_SE_EEES9_SG_JZNS1_25segmented_radix_sort_implINS0_14default_configELb0EPKiPiPKlPlN2at6native12_GLOBAL__N_18offset_tEEE10hipError_tPvRmT1_PNSt15iterator_traitsISY_E10value_typeET2_T3_PNSZ_IS14_E10value_typeET4_jRbjT5_S1A_jjP12ihipStream_tbEUljE_EEESV_SW_SX_S14_S18_S1A_T6_T7_T9_mT8_S1C_bDpT10_ENKUlT_T0_E_clISt17integral_constantIbLb0EES1O_IbLb1EEEEDaS1K_S1L_EUlS1K_E_NS1_11comp_targetILNS1_3genE10ELNS1_11target_archE1200ELNS1_3gpuE4ELNS1_3repE0EEENS1_30default_config_static_selectorELNS0_4arch9wavefront6targetE0EEEvSY_, .Lfunc_end597-_ZN7rocprim17ROCPRIM_400000_NS6detail17trampoline_kernelINS0_13select_configILj256ELj13ELNS0_17block_load_methodE3ELS4_3ELS4_3ELNS0_20block_scan_algorithmE0ELj4294967295EEENS1_25partition_config_selectorILNS1_17partition_subalgoE3EjNS0_10empty_typeEbEEZZNS1_14partition_implILS8_3ELb0ES6_jNS0_17counting_iteratorIjlEEPS9_SE_NS0_5tupleIJPjSE_EEENSF_IJSE_SE_EEES9_SG_JZNS1_25segmented_radix_sort_implINS0_14default_configELb0EPKiPiPKlPlN2at6native12_GLOBAL__N_18offset_tEEE10hipError_tPvRmT1_PNSt15iterator_traitsISY_E10value_typeET2_T3_PNSZ_IS14_E10value_typeET4_jRbjT5_S1A_jjP12ihipStream_tbEUljE_EEESV_SW_SX_S14_S18_S1A_T6_T7_T9_mT8_S1C_bDpT10_ENKUlT_T0_E_clISt17integral_constantIbLb0EES1O_IbLb1EEEEDaS1K_S1L_EUlS1K_E_NS1_11comp_targetILNS1_3genE10ELNS1_11target_archE1200ELNS1_3gpuE4ELNS1_3repE0EEENS1_30default_config_static_selectorELNS0_4arch9wavefront6targetE0EEEvSY_
                                        ; -- End function
	.section	.AMDGPU.csdata,"",@progbits
; Kernel info:
; codeLenInByte = 0
; NumSgprs: 0
; NumVgprs: 0
; ScratchSize: 0
; MemoryBound: 0
; FloatMode: 240
; IeeeMode: 1
; LDSByteSize: 0 bytes/workgroup (compile time only)
; SGPRBlocks: 0
; VGPRBlocks: 0
; NumSGPRsForWavesPerEU: 1
; NumVGPRsForWavesPerEU: 1
; Occupancy: 16
; WaveLimiterHint : 0
; COMPUTE_PGM_RSRC2:SCRATCH_EN: 0
; COMPUTE_PGM_RSRC2:USER_SGPR: 15
; COMPUTE_PGM_RSRC2:TRAP_HANDLER: 0
; COMPUTE_PGM_RSRC2:TGID_X_EN: 1
; COMPUTE_PGM_RSRC2:TGID_Y_EN: 0
; COMPUTE_PGM_RSRC2:TGID_Z_EN: 0
; COMPUTE_PGM_RSRC2:TIDIG_COMP_CNT: 0
	.section	.text._ZN7rocprim17ROCPRIM_400000_NS6detail17trampoline_kernelINS0_13select_configILj256ELj13ELNS0_17block_load_methodE3ELS4_3ELS4_3ELNS0_20block_scan_algorithmE0ELj4294967295EEENS1_25partition_config_selectorILNS1_17partition_subalgoE3EjNS0_10empty_typeEbEEZZNS1_14partition_implILS8_3ELb0ES6_jNS0_17counting_iteratorIjlEEPS9_SE_NS0_5tupleIJPjSE_EEENSF_IJSE_SE_EEES9_SG_JZNS1_25segmented_radix_sort_implINS0_14default_configELb0EPKiPiPKlPlN2at6native12_GLOBAL__N_18offset_tEEE10hipError_tPvRmT1_PNSt15iterator_traitsISY_E10value_typeET2_T3_PNSZ_IS14_E10value_typeET4_jRbjT5_S1A_jjP12ihipStream_tbEUljE_EEESV_SW_SX_S14_S18_S1A_T6_T7_T9_mT8_S1C_bDpT10_ENKUlT_T0_E_clISt17integral_constantIbLb0EES1O_IbLb1EEEEDaS1K_S1L_EUlS1K_E_NS1_11comp_targetILNS1_3genE9ELNS1_11target_archE1100ELNS1_3gpuE3ELNS1_3repE0EEENS1_30default_config_static_selectorELNS0_4arch9wavefront6targetE0EEEvSY_,"axG",@progbits,_ZN7rocprim17ROCPRIM_400000_NS6detail17trampoline_kernelINS0_13select_configILj256ELj13ELNS0_17block_load_methodE3ELS4_3ELS4_3ELNS0_20block_scan_algorithmE0ELj4294967295EEENS1_25partition_config_selectorILNS1_17partition_subalgoE3EjNS0_10empty_typeEbEEZZNS1_14partition_implILS8_3ELb0ES6_jNS0_17counting_iteratorIjlEEPS9_SE_NS0_5tupleIJPjSE_EEENSF_IJSE_SE_EEES9_SG_JZNS1_25segmented_radix_sort_implINS0_14default_configELb0EPKiPiPKlPlN2at6native12_GLOBAL__N_18offset_tEEE10hipError_tPvRmT1_PNSt15iterator_traitsISY_E10value_typeET2_T3_PNSZ_IS14_E10value_typeET4_jRbjT5_S1A_jjP12ihipStream_tbEUljE_EEESV_SW_SX_S14_S18_S1A_T6_T7_T9_mT8_S1C_bDpT10_ENKUlT_T0_E_clISt17integral_constantIbLb0EES1O_IbLb1EEEEDaS1K_S1L_EUlS1K_E_NS1_11comp_targetILNS1_3genE9ELNS1_11target_archE1100ELNS1_3gpuE3ELNS1_3repE0EEENS1_30default_config_static_selectorELNS0_4arch9wavefront6targetE0EEEvSY_,comdat
	.globl	_ZN7rocprim17ROCPRIM_400000_NS6detail17trampoline_kernelINS0_13select_configILj256ELj13ELNS0_17block_load_methodE3ELS4_3ELS4_3ELNS0_20block_scan_algorithmE0ELj4294967295EEENS1_25partition_config_selectorILNS1_17partition_subalgoE3EjNS0_10empty_typeEbEEZZNS1_14partition_implILS8_3ELb0ES6_jNS0_17counting_iteratorIjlEEPS9_SE_NS0_5tupleIJPjSE_EEENSF_IJSE_SE_EEES9_SG_JZNS1_25segmented_radix_sort_implINS0_14default_configELb0EPKiPiPKlPlN2at6native12_GLOBAL__N_18offset_tEEE10hipError_tPvRmT1_PNSt15iterator_traitsISY_E10value_typeET2_T3_PNSZ_IS14_E10value_typeET4_jRbjT5_S1A_jjP12ihipStream_tbEUljE_EEESV_SW_SX_S14_S18_S1A_T6_T7_T9_mT8_S1C_bDpT10_ENKUlT_T0_E_clISt17integral_constantIbLb0EES1O_IbLb1EEEEDaS1K_S1L_EUlS1K_E_NS1_11comp_targetILNS1_3genE9ELNS1_11target_archE1100ELNS1_3gpuE3ELNS1_3repE0EEENS1_30default_config_static_selectorELNS0_4arch9wavefront6targetE0EEEvSY_ ; -- Begin function _ZN7rocprim17ROCPRIM_400000_NS6detail17trampoline_kernelINS0_13select_configILj256ELj13ELNS0_17block_load_methodE3ELS4_3ELS4_3ELNS0_20block_scan_algorithmE0ELj4294967295EEENS1_25partition_config_selectorILNS1_17partition_subalgoE3EjNS0_10empty_typeEbEEZZNS1_14partition_implILS8_3ELb0ES6_jNS0_17counting_iteratorIjlEEPS9_SE_NS0_5tupleIJPjSE_EEENSF_IJSE_SE_EEES9_SG_JZNS1_25segmented_radix_sort_implINS0_14default_configELb0EPKiPiPKlPlN2at6native12_GLOBAL__N_18offset_tEEE10hipError_tPvRmT1_PNSt15iterator_traitsISY_E10value_typeET2_T3_PNSZ_IS14_E10value_typeET4_jRbjT5_S1A_jjP12ihipStream_tbEUljE_EEESV_SW_SX_S14_S18_S1A_T6_T7_T9_mT8_S1C_bDpT10_ENKUlT_T0_E_clISt17integral_constantIbLb0EES1O_IbLb1EEEEDaS1K_S1L_EUlS1K_E_NS1_11comp_targetILNS1_3genE9ELNS1_11target_archE1100ELNS1_3gpuE3ELNS1_3repE0EEENS1_30default_config_static_selectorELNS0_4arch9wavefront6targetE0EEEvSY_
	.p2align	8
	.type	_ZN7rocprim17ROCPRIM_400000_NS6detail17trampoline_kernelINS0_13select_configILj256ELj13ELNS0_17block_load_methodE3ELS4_3ELS4_3ELNS0_20block_scan_algorithmE0ELj4294967295EEENS1_25partition_config_selectorILNS1_17partition_subalgoE3EjNS0_10empty_typeEbEEZZNS1_14partition_implILS8_3ELb0ES6_jNS0_17counting_iteratorIjlEEPS9_SE_NS0_5tupleIJPjSE_EEENSF_IJSE_SE_EEES9_SG_JZNS1_25segmented_radix_sort_implINS0_14default_configELb0EPKiPiPKlPlN2at6native12_GLOBAL__N_18offset_tEEE10hipError_tPvRmT1_PNSt15iterator_traitsISY_E10value_typeET2_T3_PNSZ_IS14_E10value_typeET4_jRbjT5_S1A_jjP12ihipStream_tbEUljE_EEESV_SW_SX_S14_S18_S1A_T6_T7_T9_mT8_S1C_bDpT10_ENKUlT_T0_E_clISt17integral_constantIbLb0EES1O_IbLb1EEEEDaS1K_S1L_EUlS1K_E_NS1_11comp_targetILNS1_3genE9ELNS1_11target_archE1100ELNS1_3gpuE3ELNS1_3repE0EEENS1_30default_config_static_selectorELNS0_4arch9wavefront6targetE0EEEvSY_,@function
_ZN7rocprim17ROCPRIM_400000_NS6detail17trampoline_kernelINS0_13select_configILj256ELj13ELNS0_17block_load_methodE3ELS4_3ELS4_3ELNS0_20block_scan_algorithmE0ELj4294967295EEENS1_25partition_config_selectorILNS1_17partition_subalgoE3EjNS0_10empty_typeEbEEZZNS1_14partition_implILS8_3ELb0ES6_jNS0_17counting_iteratorIjlEEPS9_SE_NS0_5tupleIJPjSE_EEENSF_IJSE_SE_EEES9_SG_JZNS1_25segmented_radix_sort_implINS0_14default_configELb0EPKiPiPKlPlN2at6native12_GLOBAL__N_18offset_tEEE10hipError_tPvRmT1_PNSt15iterator_traitsISY_E10value_typeET2_T3_PNSZ_IS14_E10value_typeET4_jRbjT5_S1A_jjP12ihipStream_tbEUljE_EEESV_SW_SX_S14_S18_S1A_T6_T7_T9_mT8_S1C_bDpT10_ENKUlT_T0_E_clISt17integral_constantIbLb0EES1O_IbLb1EEEEDaS1K_S1L_EUlS1K_E_NS1_11comp_targetILNS1_3genE9ELNS1_11target_archE1100ELNS1_3gpuE3ELNS1_3repE0EEENS1_30default_config_static_selectorELNS0_4arch9wavefront6targetE0EEEvSY_: ; @_ZN7rocprim17ROCPRIM_400000_NS6detail17trampoline_kernelINS0_13select_configILj256ELj13ELNS0_17block_load_methodE3ELS4_3ELS4_3ELNS0_20block_scan_algorithmE0ELj4294967295EEENS1_25partition_config_selectorILNS1_17partition_subalgoE3EjNS0_10empty_typeEbEEZZNS1_14partition_implILS8_3ELb0ES6_jNS0_17counting_iteratorIjlEEPS9_SE_NS0_5tupleIJPjSE_EEENSF_IJSE_SE_EEES9_SG_JZNS1_25segmented_radix_sort_implINS0_14default_configELb0EPKiPiPKlPlN2at6native12_GLOBAL__N_18offset_tEEE10hipError_tPvRmT1_PNSt15iterator_traitsISY_E10value_typeET2_T3_PNSZ_IS14_E10value_typeET4_jRbjT5_S1A_jjP12ihipStream_tbEUljE_EEESV_SW_SX_S14_S18_S1A_T6_T7_T9_mT8_S1C_bDpT10_ENKUlT_T0_E_clISt17integral_constantIbLb0EES1O_IbLb1EEEEDaS1K_S1L_EUlS1K_E_NS1_11comp_targetILNS1_3genE9ELNS1_11target_archE1100ELNS1_3gpuE3ELNS1_3repE0EEENS1_30default_config_static_selectorELNS0_4arch9wavefront6targetE0EEEvSY_
; %bb.0:
	s_clause 0x6
	s_load_b64 s[16:17], s[0:1], 0x10
	s_load_b64 s[12:13], s[0:1], 0x28
	;; [unrolled: 1-line block ×3, first 2 shown]
	s_load_b128 s[8:11], s[0:1], 0x48
	s_load_b32 s3, s[0:1], 0x90
	s_load_b64 s[18:19], s[0:1], 0x68
	s_load_b128 s[4:7], s[0:1], 0x80
	v_cmp_eq_u32_e64 s2, 0, v0
	s_delay_alu instid0(VALU_DEP_1)
	s_and_saveexec_b32 s20, s2
	s_cbranch_execz .LBB598_4
; %bb.1:
	s_mov_b32 s22, exec_lo
	s_mov_b32 s21, exec_lo
	v_mbcnt_lo_u32_b32 v1, s22, 0
                                        ; implicit-def: $vgpr2
	s_delay_alu instid0(VALU_DEP_1)
	v_cmpx_eq_u32_e32 0, v1
	s_cbranch_execz .LBB598_3
; %bb.2:
	s_load_b64 s[24:25], s[0:1], 0x78
	s_bcnt1_i32_b32 s22, s22
	s_delay_alu instid0(SALU_CYCLE_1)
	v_dual_mov_b32 v2, 0 :: v_dual_mov_b32 v3, s22
	s_waitcnt lgkmcnt(0)
	global_atomic_add_u32 v2, v2, v3, s[24:25] glc
.LBB598_3:
	s_or_b32 exec_lo, exec_lo, s21
	s_waitcnt vmcnt(0)
	v_readfirstlane_b32 s21, v2
	s_delay_alu instid0(VALU_DEP_1)
	v_dual_mov_b32 v2, 0 :: v_dual_add_nc_u32 v1, s21, v1
	ds_store_b32 v2, v1
.LBB598_4:
	s_or_b32 exec_lo, exec_lo, s20
	v_mov_b32_e32 v1, 0
	s_clause 0x1
	s_load_b32 s20, s[0:1], 0x8
	s_load_b32 s0, s[0:1], 0x70
	s_waitcnt lgkmcnt(0)
	s_barrier
	buffer_gl0_inv
	ds_load_b32 v2, v1
	s_waitcnt lgkmcnt(0)
	s_barrier
	buffer_gl0_inv
	global_load_b64 v[18:19], v1, s[10:11]
	v_lshlrev_b32_e32 v33, 2, v0
	s_add_i32 s21, s20, s16
	s_mul_i32 s1, s0, 0xd00
	s_add_i32 s0, s0, -1
	s_add_u32 s10, s16, s1
	s_addc_u32 s11, s17, 0
	v_mul_lo_u32 v32, 0xd00, v2
	v_readfirstlane_b32 s20, v2
	v_cmp_lt_u64_e64 s11, s[10:11], s[14:15]
	v_cmp_ne_u32_e32 vcc_lo, s0, v2
	s_delay_alu instid0(VALU_DEP_3) | instskip(SKIP_1) | instid1(VALU_DEP_4)
	s_cmp_eq_u32 s20, s0
	s_cselect_b32 s10, -1, 0
	v_add3_u32 v1, v32, s21, v0
	s_delay_alu instid0(VALU_DEP_3) | instskip(SKIP_2) | instid1(VALU_DEP_1)
	s_or_b32 s0, s11, vcc_lo
	s_mov_b32 s11, -1
	s_and_b32 vcc_lo, exec_lo, s0
	v_add_nc_u32_e32 v2, 0x100, v1
	v_add_nc_u32_e32 v3, 0x200, v1
	;; [unrolled: 1-line block ×12, first 2 shown]
	s_cbranch_vccz .LBB598_6
; %bb.5:
	ds_store_2addr_stride64_b32 v33, v1, v2 offset1:4
	ds_store_2addr_stride64_b32 v33, v3, v4 offset0:8 offset1:12
	ds_store_2addr_stride64_b32 v33, v5, v6 offset0:16 offset1:20
	;; [unrolled: 1-line block ×5, first 2 shown]
	ds_store_b32 v33, v13 offset:12288
	s_waitcnt vmcnt(0) lgkmcnt(0)
	s_mov_b32 s11, 0
	s_barrier
.LBB598_6:
	s_and_not1_b32 vcc_lo, exec_lo, s11
	s_add_i32 s1, s1, s16
	s_cbranch_vccnz .LBB598_8
; %bb.7:
	ds_store_2addr_stride64_b32 v33, v1, v2 offset1:4
	ds_store_2addr_stride64_b32 v33, v3, v4 offset0:8 offset1:12
	ds_store_2addr_stride64_b32 v33, v5, v6 offset0:16 offset1:20
	;; [unrolled: 1-line block ×5, first 2 shown]
	ds_store_b32 v33, v13 offset:12288
	s_waitcnt vmcnt(0) lgkmcnt(0)
	s_barrier
.LBB598_8:
	v_mul_u32_u24_e32 v36, 13, v0
	s_waitcnt vmcnt(0)
	buffer_gl0_inv
	v_cndmask_b32_e64 v34, 0, 1, s0
	s_sub_i32 s11, s14, s1
	s_and_not1_b32 vcc_lo, exec_lo, s0
	v_lshlrev_b32_e32 v1, 2, v36
	ds_load_2addr_b32 v[30:31], v1 offset1:1
	ds_load_2addr_b32 v[28:29], v1 offset0:2 offset1:3
	ds_load_2addr_b32 v[26:27], v1 offset0:4 offset1:5
	;; [unrolled: 1-line block ×5, first 2 shown]
	ds_load_b32 v35, v1 offset:48
	s_waitcnt lgkmcnt(0)
	s_barrier
	buffer_gl0_inv
	s_cbranch_vccnz .LBB598_10
; %bb.9:
	v_add_nc_u32_e32 v1, s5, v30
	v_add_nc_u32_e32 v2, s7, v30
	;; [unrolled: 1-line block ×5, first 2 shown]
	v_mul_lo_u32 v1, v1, s4
	v_mul_lo_u32 v2, v2, s6
	;; [unrolled: 1-line block ×4, first 2 shown]
	v_add_nc_u32_e32 v6, s7, v28
	v_add_nc_u32_e32 v7, s5, v29
	;; [unrolled: 1-line block ×3, first 2 shown]
	v_mul_lo_u32 v5, v5, s4
	v_add_nc_u32_e32 v9, s5, v24
	v_sub_nc_u32_e32 v1, v1, v2
	v_mul_lo_u32 v2, v6, s6
	v_sub_nc_u32_e32 v3, v3, v4
	v_mul_lo_u32 v4, v7, s4
	v_mul_lo_u32 v6, v8, s6
	v_add_nc_u32_e32 v7, s5, v26
	v_cmp_lt_u32_e32 vcc_lo, s3, v1
	v_add_nc_u32_e32 v8, s5, v27
	v_add_nc_u32_e32 v10, s7, v24
	v_sub_nc_u32_e32 v2, v5, v2
	v_add_nc_u32_e32 v5, s7, v26
	v_cndmask_b32_e64 v1, 0, 1, vcc_lo
	v_sub_nc_u32_e32 v4, v4, v6
	v_mul_lo_u32 v6, v7, s4
	v_add_nc_u32_e32 v7, s7, v27
	v_cmp_lt_u32_e32 vcc_lo, s3, v3
	v_mul_lo_u32 v5, v5, s6
	v_mul_lo_u32 v8, v8, s4
	;; [unrolled: 1-line block ×4, first 2 shown]
	v_cndmask_b32_e64 v3, 0, 1, vcc_lo
	v_cmp_lt_u32_e32 vcc_lo, s3, v2
	v_mul_lo_u32 v10, v10, s6
	v_add_nc_u32_e32 v11, s5, v22
	v_sub_nc_u32_e32 v5, v6, v5
	v_add_nc_u32_e32 v12, s7, v22
	v_cndmask_b32_e64 v2, 0, 1, vcc_lo
	v_sub_nc_u32_e32 v6, v8, v7
	v_add_nc_u32_e32 v7, s5, v25
	v_add_nc_u32_e32 v8, s7, v25
	v_cmp_lt_u32_e32 vcc_lo, s3, v4
	v_sub_nc_u32_e32 v9, v9, v10
	v_mul_lo_u32 v10, v11, s4
	v_mul_lo_u32 v7, v7, s4
	;; [unrolled: 1-line block ×4, first 2 shown]
	v_cndmask_b32_e64 v4, 0, 1, vcc_lo
	v_cmp_lt_u32_e32 vcc_lo, s3, v5
	v_add_nc_u32_e32 v12, s5, v23
	v_add_nc_u32_e32 v13, s7, v20
	;; [unrolled: 1-line block ×4, first 2 shown]
	v_cndmask_b32_e64 v5, 0, 1, vcc_lo
	v_cmp_lt_u32_e32 vcc_lo, s3, v6
	v_sub_nc_u32_e32 v7, v7, v8
	v_sub_nc_u32_e32 v8, v10, v11
	v_add_nc_u32_e32 v11, s7, v23
	v_mul_lo_u32 v10, v12, s4
	v_cndmask_b32_e64 v6, 0, 1, vcc_lo
	v_cmp_lt_u32_e32 vcc_lo, s3, v9
	v_add_nc_u32_e32 v12, s5, v20
	v_mul_lo_u32 v11, v11, s6
	v_mul_lo_u32 v13, v13, s6
	;; [unrolled: 1-line block ×3, first 2 shown]
	v_cndmask_b32_e64 v9, 0, 1, vcc_lo
	v_cmp_lt_u32_e32 vcc_lo, s3, v7
	v_mul_lo_u32 v12, v12, s4
	v_mul_lo_u32 v15, v15, s6
	v_lshlrev_b16 v3, 8, v3
	v_sub_nc_u32_e32 v10, v10, v11
	v_cndmask_b32_e64 v7, 0, 1, vcc_lo
	v_cmp_lt_u32_e32 vcc_lo, s3, v8
	v_add_nc_u32_e32 v11, s5, v35
	v_or_b32_e32 v1, v1, v3
	v_sub_nc_u32_e32 v12, v12, v13
	v_sub_nc_u32_e32 v13, v14, v15
	v_cndmask_b32_e64 v8, 0, 1, vcc_lo
	v_cmp_lt_u32_e32 vcc_lo, s3, v10
	v_add_nc_u32_e32 v16, s7, v35
	v_mul_lo_u32 v11, v11, s4
	v_lshlrev_b16 v4, 8, v4
	v_lshlrev_b16 v6, 8, v6
	v_cndmask_b32_e64 v10, 0, 1, vcc_lo
	v_cmp_lt_u32_e32 vcc_lo, s3, v12
	v_mul_lo_u32 v14, v16, s6
	v_lshlrev_b16 v7, 8, v7
	v_or_b32_e32 v2, v2, v4
	v_lshlrev_b16 v10, 8, v10
	v_cndmask_b32_e64 v3, 0, 1, vcc_lo
	v_cmp_lt_u32_e32 vcc_lo, s3, v13
	v_or_b32_e32 v4, v5, v6
	v_or_b32_e32 v5, v9, v7
	v_sub_nc_u32_e32 v11, v11, v14
	v_or_b32_e32 v6, v8, v10
	v_cndmask_b32_e64 v12, 0, 1, vcc_lo
	v_and_b32_e32 v1, 0xffff, v1
	v_lshlrev_b32_e32 v2, 16, v2
	v_and_b32_e32 v4, 0xffff, v4
	v_lshlrev_b32_e32 v5, 16, v5
	v_lshlrev_b16 v12, 8, v12
	v_and_b32_e32 v6, 0xffff, v6
	v_cmp_lt_u32_e32 vcc_lo, s3, v11
	v_or_b32_e32 v42, v1, v2
	v_or_b32_e32 v40, v4, v5
	v_or_b32_e32 v3, v3, v12
	v_cndmask_b32_e64 v37, 0, 1, vcc_lo
	s_delay_alu instid0(VALU_DEP_2) | instskip(NEXT) | instid1(VALU_DEP_1)
	v_lshlrev_b32_e32 v3, 16, v3
	v_or_b32_e32 v38, v6, v3
	s_addk_i32 s11, 0xd00
	s_cbranch_execz .LBB598_11
	s_branch .LBB598_38
.LBB598_10:
                                        ; implicit-def: $vgpr37
                                        ; implicit-def: $vgpr38
                                        ; implicit-def: $vgpr40
                                        ; implicit-def: $vgpr42
	s_addk_i32 s11, 0xd00
.LBB598_11:
	v_dual_mov_b32 v2, 0 :: v_dual_mov_b32 v1, 0
	s_mov_b32 s0, exec_lo
	v_cmpx_gt_u32_e64 s11, v36
; %bb.12:
	v_add_nc_u32_e32 v1, s5, v30
	v_add_nc_u32_e32 v3, s7, v30
	s_delay_alu instid0(VALU_DEP_2) | instskip(NEXT) | instid1(VALU_DEP_2)
	v_mul_lo_u32 v1, v1, s4
	v_mul_lo_u32 v3, v3, s6
	s_delay_alu instid0(VALU_DEP_1) | instskip(NEXT) | instid1(VALU_DEP_1)
	v_sub_nc_u32_e32 v1, v1, v3
	v_cmp_lt_u32_e32 vcc_lo, s3, v1
	v_cndmask_b32_e64 v1, 0, 1, vcc_lo
; %bb.13:
	s_or_b32 exec_lo, exec_lo, s0
	v_add_nc_u32_e32 v3, 1, v36
	s_mov_b32 s0, exec_lo
	s_delay_alu instid0(VALU_DEP_1)
	v_cmpx_gt_u32_e64 s11, v3
; %bb.14:
	v_add_nc_u32_e32 v2, s5, v31
	v_add_nc_u32_e32 v3, s7, v31
	s_delay_alu instid0(VALU_DEP_2) | instskip(NEXT) | instid1(VALU_DEP_2)
	v_mul_lo_u32 v2, v2, s4
	v_mul_lo_u32 v3, v3, s6
	s_delay_alu instid0(VALU_DEP_1) | instskip(NEXT) | instid1(VALU_DEP_1)
	v_sub_nc_u32_e32 v2, v2, v3
	v_cmp_lt_u32_e32 vcc_lo, s3, v2
	v_cndmask_b32_e64 v2, 0, 1, vcc_lo
; %bb.15:
	s_or_b32 exec_lo, exec_lo, s0
	v_dual_mov_b32 v4, 0 :: v_dual_add_nc_u32 v3, 2, v36
	s_delay_alu instid0(VALU_DEP_1)
	v_cmp_gt_u32_e32 vcc_lo, s11, v3
	v_mov_b32_e32 v3, 0
	s_and_saveexec_b32 s0, vcc_lo
; %bb.16:
	v_add_nc_u32_e32 v3, s5, v28
	v_add_nc_u32_e32 v5, s7, v28
	s_delay_alu instid0(VALU_DEP_2) | instskip(NEXT) | instid1(VALU_DEP_2)
	v_mul_lo_u32 v3, v3, s4
	v_mul_lo_u32 v5, v5, s6
	s_delay_alu instid0(VALU_DEP_1) | instskip(NEXT) | instid1(VALU_DEP_1)
	v_sub_nc_u32_e32 v3, v3, v5
	v_cmp_lt_u32_e32 vcc_lo, s3, v3
	v_cndmask_b32_e64 v3, 0, 1, vcc_lo
; %bb.17:
	s_or_b32 exec_lo, exec_lo, s0
	v_add_nc_u32_e32 v5, 3, v36
	s_mov_b32 s0, exec_lo
	s_delay_alu instid0(VALU_DEP_1)
	v_cmpx_gt_u32_e64 s11, v5
; %bb.18:
	v_add_nc_u32_e32 v4, s5, v29
	v_add_nc_u32_e32 v5, s7, v29
	s_delay_alu instid0(VALU_DEP_2) | instskip(NEXT) | instid1(VALU_DEP_2)
	v_mul_lo_u32 v4, v4, s4
	v_mul_lo_u32 v5, v5, s6
	s_delay_alu instid0(VALU_DEP_1) | instskip(NEXT) | instid1(VALU_DEP_1)
	v_sub_nc_u32_e32 v4, v4, v5
	v_cmp_lt_u32_e32 vcc_lo, s3, v4
	v_cndmask_b32_e64 v4, 0, 1, vcc_lo
; %bb.19:
	s_or_b32 exec_lo, exec_lo, s0
	v_dual_mov_b32 v6, 0 :: v_dual_add_nc_u32 v5, 4, v36
	s_delay_alu instid0(VALU_DEP_1)
	v_cmp_gt_u32_e32 vcc_lo, s11, v5
	v_mov_b32_e32 v5, 0
	s_and_saveexec_b32 s0, vcc_lo
	;; [unrolled: 33-line block ×5, first 2 shown]
; %bb.32:
	v_add_nc_u32_e32 v11, s5, v20
	v_add_nc_u32_e32 v13, s7, v20
	s_delay_alu instid0(VALU_DEP_2) | instskip(NEXT) | instid1(VALU_DEP_2)
	v_mul_lo_u32 v11, v11, s4
	v_mul_lo_u32 v13, v13, s6
	s_delay_alu instid0(VALU_DEP_1) | instskip(NEXT) | instid1(VALU_DEP_1)
	v_sub_nc_u32_e32 v11, v11, v13
	v_cmp_lt_u32_e32 vcc_lo, s3, v11
	v_cndmask_b32_e64 v11, 0, 1, vcc_lo
; %bb.33:
	s_or_b32 exec_lo, exec_lo, s0
	v_add_nc_u32_e32 v13, 11, v36
	s_mov_b32 s0, exec_lo
	s_delay_alu instid0(VALU_DEP_1)
	v_cmpx_gt_u32_e64 s11, v13
; %bb.34:
	v_add_nc_u32_e32 v12, s5, v21
	v_add_nc_u32_e32 v13, s7, v21
	s_delay_alu instid0(VALU_DEP_2) | instskip(NEXT) | instid1(VALU_DEP_2)
	v_mul_lo_u32 v12, v12, s4
	v_mul_lo_u32 v13, v13, s6
	s_delay_alu instid0(VALU_DEP_1) | instskip(NEXT) | instid1(VALU_DEP_1)
	v_sub_nc_u32_e32 v12, v12, v13
	v_cmp_lt_u32_e32 vcc_lo, s3, v12
	v_cndmask_b32_e64 v12, 0, 1, vcc_lo
; %bb.35:
	s_or_b32 exec_lo, exec_lo, s0
	v_add_nc_u32_e32 v13, 12, v36
	v_mov_b32_e32 v37, 0
	s_mov_b32 s0, exec_lo
	s_delay_alu instid0(VALU_DEP_2)
	v_cmpx_gt_u32_e64 s11, v13
; %bb.36:
	v_add_nc_u32_e32 v13, s5, v35
	v_add_nc_u32_e32 v14, s7, v35
	s_delay_alu instid0(VALU_DEP_2) | instskip(NEXT) | instid1(VALU_DEP_2)
	v_mul_lo_u32 v13, v13, s4
	v_mul_lo_u32 v14, v14, s6
	s_delay_alu instid0(VALU_DEP_1) | instskip(NEXT) | instid1(VALU_DEP_1)
	v_sub_nc_u32_e32 v13, v13, v14
	v_cmp_lt_u32_e32 vcc_lo, s3, v13
	v_cndmask_b32_e64 v37, 0, 1, vcc_lo
; %bb.37:
	s_or_b32 exec_lo, exec_lo, s0
	v_lshlrev_b16 v2, 8, v2
	v_lshlrev_b16 v4, 8, v4
	;; [unrolled: 1-line block ×5, first 2 shown]
	v_or_b32_e32 v1, v1, v2
	v_lshlrev_b16 v2, 8, v12
	v_or_b32_e32 v3, v3, v4
	v_or_b32_e32 v4, v5, v6
	;; [unrolled: 1-line block ×5, first 2 shown]
	v_and_b32_e32 v1, 0xffff, v1
	v_lshlrev_b32_e32 v3, 16, v3
	v_and_b32_e32 v4, 0xffff, v4
	v_lshlrev_b32_e32 v5, 16, v5
	v_and_b32_e32 v6, 0xffff, v6
	v_lshlrev_b32_e32 v2, 16, v2
	v_or_b32_e32 v42, v1, v3
	s_delay_alu instid0(VALU_DEP_4) | instskip(NEXT) | instid1(VALU_DEP_3)
	v_or_b32_e32 v40, v4, v5
	v_or_b32_e32 v38, v6, v2
.LBB598_38:
	s_delay_alu instid0(VALU_DEP_3)
	v_and_b32_e32 v44, 0xff, v42
	v_bfe_u32 v45, v42, 8, 8
	v_bfe_u32 v46, v42, 16, 8
	v_lshrrev_b32_e32 v43, 24, v42
	v_and_b32_e32 v47, 0xff, v40
	v_bfe_u32 v48, v40, 8, 8
	v_bfe_u32 v49, v40, 16, 8
	v_add3_u32 v1, v45, v44, v46
	v_lshrrev_b32_e32 v41, 24, v40
	v_and_b32_e32 v50, 0xff, v38
	v_bfe_u32 v51, v38, 8, 8
	v_mbcnt_lo_u32_b32 v53, -1, 0
	v_add3_u32 v1, v1, v43, v47
	v_bfe_u32 v52, v38, 16, 8
	v_lshrrev_b32_e32 v39, 24, v38
	v_and_b32_e32 v2, 0xff, v37
	v_and_b32_e32 v3, 15, v53
	v_add3_u32 v1, v1, v48, v49
	v_or_b32_e32 v4, 31, v0
	v_and_b32_e32 v5, 16, v53
	v_lshrrev_b32_e32 v54, 5, v0
	v_cmp_eq_u32_e64 s6, 0, v3
	v_add3_u32 v1, v1, v41, v50
	v_cmp_lt_u32_e64 s5, 1, v3
	v_cmp_lt_u32_e64 s4, 3, v3
	;; [unrolled: 1-line block ×3, first 2 shown]
	v_cmp_eq_u32_e64 s1, 0, v5
	v_add3_u32 v1, v1, v51, v52
	v_cmp_eq_u32_e64 s0, v4, v0
	s_cmp_lg_u32 s20, 0
	s_mov_b32 s7, -1
	s_delay_alu instid0(VALU_DEP_2)
	v_add3_u32 v55, v1, v39, v2
	s_cbranch_scc0 .LBB598_64
; %bb.39:
	s_delay_alu instid0(VALU_DEP_1) | instskip(NEXT) | instid1(VALU_DEP_1)
	v_mov_b32_dpp v1, v55 row_shr:1 row_mask:0xf bank_mask:0xf
	v_cndmask_b32_e64 v1, v1, 0, s6
	s_delay_alu instid0(VALU_DEP_1) | instskip(NEXT) | instid1(VALU_DEP_1)
	v_add_nc_u32_e32 v1, v1, v55
	v_mov_b32_dpp v2, v1 row_shr:2 row_mask:0xf bank_mask:0xf
	s_delay_alu instid0(VALU_DEP_1) | instskip(NEXT) | instid1(VALU_DEP_1)
	v_cndmask_b32_e64 v2, 0, v2, s5
	v_add_nc_u32_e32 v1, v1, v2
	s_delay_alu instid0(VALU_DEP_1) | instskip(NEXT) | instid1(VALU_DEP_1)
	v_mov_b32_dpp v2, v1 row_shr:4 row_mask:0xf bank_mask:0xf
	v_cndmask_b32_e64 v2, 0, v2, s4
	s_delay_alu instid0(VALU_DEP_1) | instskip(NEXT) | instid1(VALU_DEP_1)
	v_add_nc_u32_e32 v1, v1, v2
	v_mov_b32_dpp v2, v1 row_shr:8 row_mask:0xf bank_mask:0xf
	s_delay_alu instid0(VALU_DEP_1) | instskip(NEXT) | instid1(VALU_DEP_1)
	v_cndmask_b32_e64 v2, 0, v2, s3
	v_add_nc_u32_e32 v1, v1, v2
	ds_swizzle_b32 v2, v1 offset:swizzle(BROADCAST,32,15)
	s_waitcnt lgkmcnt(0)
	v_cndmask_b32_e64 v2, v2, 0, s1
	s_delay_alu instid0(VALU_DEP_1)
	v_add_nc_u32_e32 v1, v1, v2
	s_and_saveexec_b32 s7, s0
	s_cbranch_execz .LBB598_41
; %bb.40:
	v_lshlrev_b32_e32 v2, 2, v54
	ds_store_b32 v2, v1
.LBB598_41:
	s_or_b32 exec_lo, exec_lo, s7
	s_delay_alu instid0(SALU_CYCLE_1)
	s_mov_b32 s7, exec_lo
	s_waitcnt lgkmcnt(0)
	s_barrier
	buffer_gl0_inv
	v_cmpx_gt_u32_e32 8, v0
	s_cbranch_execz .LBB598_43
; %bb.42:
	ds_load_b32 v2, v33
	s_waitcnt lgkmcnt(0)
	v_mov_b32_dpp v4, v2 row_shr:1 row_mask:0xf bank_mask:0xf
	v_and_b32_e32 v3, 7, v53
	s_delay_alu instid0(VALU_DEP_1) | instskip(NEXT) | instid1(VALU_DEP_3)
	v_cmp_ne_u32_e32 vcc_lo, 0, v3
	v_cndmask_b32_e32 v4, 0, v4, vcc_lo
	v_cmp_lt_u32_e32 vcc_lo, 1, v3
	s_delay_alu instid0(VALU_DEP_2) | instskip(NEXT) | instid1(VALU_DEP_1)
	v_add_nc_u32_e32 v2, v4, v2
	v_mov_b32_dpp v4, v2 row_shr:2 row_mask:0xf bank_mask:0xf
	s_delay_alu instid0(VALU_DEP_1) | instskip(SKIP_1) | instid1(VALU_DEP_2)
	v_cndmask_b32_e32 v4, 0, v4, vcc_lo
	v_cmp_lt_u32_e32 vcc_lo, 3, v3
	v_add_nc_u32_e32 v2, v2, v4
	s_delay_alu instid0(VALU_DEP_1) | instskip(NEXT) | instid1(VALU_DEP_1)
	v_mov_b32_dpp v4, v2 row_shr:4 row_mask:0xf bank_mask:0xf
	v_cndmask_b32_e32 v3, 0, v4, vcc_lo
	s_delay_alu instid0(VALU_DEP_1)
	v_add_nc_u32_e32 v2, v2, v3
	ds_store_b32 v33, v2
.LBB598_43:
	s_or_b32 exec_lo, exec_lo, s7
	v_cmp_gt_u32_e32 vcc_lo, 32, v0
	s_mov_b32 s21, exec_lo
	s_waitcnt lgkmcnt(0)
	s_barrier
	buffer_gl0_inv
                                        ; implicit-def: $vgpr8
	v_cmpx_lt_u32_e32 31, v0
	s_cbranch_execz .LBB598_45
; %bb.44:
	v_lshl_add_u32 v2, v54, 2, -4
	ds_load_b32 v8, v2
	s_waitcnt lgkmcnt(0)
	v_add_nc_u32_e32 v1, v8, v1
.LBB598_45:
	s_or_b32 exec_lo, exec_lo, s21
	v_add_nc_u32_e32 v2, -1, v53
	s_delay_alu instid0(VALU_DEP_1) | instskip(NEXT) | instid1(VALU_DEP_1)
	v_cmp_gt_i32_e64 s7, 0, v2
	v_cndmask_b32_e64 v2, v2, v53, s7
	v_cmp_eq_u32_e64 s7, 0, v53
	s_delay_alu instid0(VALU_DEP_2)
	v_lshlrev_b32_e32 v2, 2, v2
	ds_bpermute_b32 v9, v2, v1
	s_and_saveexec_b32 s21, vcc_lo
	s_cbranch_execz .LBB598_63
; %bb.46:
	v_mov_b32_e32 v4, 0
	ds_load_b32 v1, v4 offset:28
	s_and_saveexec_b32 s22, s7
	s_cbranch_execz .LBB598_48
; %bb.47:
	s_add_i32 s24, s20, 32
	s_mov_b32 s25, 0
	v_mov_b32_e32 v2, 1
	s_lshl_b64 s[24:25], s[24:25], 3
	s_delay_alu instid0(SALU_CYCLE_1)
	s_add_u32 s24, s18, s24
	s_addc_u32 s25, s19, s25
	s_waitcnt lgkmcnt(0)
	global_store_b64 v4, v[1:2], s[24:25]
.LBB598_48:
	s_or_b32 exec_lo, exec_lo, s22
	v_xad_u32 v2, v53, -1, s20
	s_mov_b32 s23, 0
	s_mov_b32 s22, exec_lo
	s_delay_alu instid0(VALU_DEP_1) | instskip(NEXT) | instid1(VALU_DEP_1)
	v_add_nc_u32_e32 v3, 32, v2
	v_lshlrev_b64 v[3:4], 3, v[3:4]
	s_delay_alu instid0(VALU_DEP_1) | instskip(NEXT) | instid1(VALU_DEP_2)
	v_add_co_u32 v6, vcc_lo, s18, v3
	v_add_co_ci_u32_e32 v7, vcc_lo, s19, v4, vcc_lo
	global_load_b64 v[4:5], v[6:7], off glc
	s_waitcnt vmcnt(0)
	v_and_b32_e32 v3, 0xff, v5
	s_delay_alu instid0(VALU_DEP_1)
	v_cmpx_eq_u16_e32 0, v3
	s_cbranch_execz .LBB598_51
.LBB598_49:                             ; =>This Inner Loop Header: Depth=1
	global_load_b64 v[4:5], v[6:7], off glc
	s_waitcnt vmcnt(0)
	v_and_b32_e32 v3, 0xff, v5
	s_delay_alu instid0(VALU_DEP_1) | instskip(SKIP_1) | instid1(SALU_CYCLE_1)
	v_cmp_ne_u16_e32 vcc_lo, 0, v3
	s_or_b32 s23, vcc_lo, s23
	s_and_not1_b32 exec_lo, exec_lo, s23
	s_cbranch_execnz .LBB598_49
; %bb.50:
	s_or_b32 exec_lo, exec_lo, s23
.LBB598_51:
	s_delay_alu instid0(SALU_CYCLE_1)
	s_or_b32 exec_lo, exec_lo, s22
	v_cmp_ne_u32_e32 vcc_lo, 31, v53
	v_lshlrev_b32_e64 v11, v53, -1
	v_add_nc_u32_e32 v13, 2, v53
	v_add_nc_u32_e32 v15, 4, v53
	;; [unrolled: 1-line block ×3, first 2 shown]
	v_add_co_ci_u32_e32 v3, vcc_lo, 0, v53, vcc_lo
	v_add_nc_u32_e32 v58, 16, v53
	s_delay_alu instid0(VALU_DEP_2) | instskip(SKIP_2) | instid1(VALU_DEP_1)
	v_lshlrev_b32_e32 v10, 2, v3
	ds_bpermute_b32 v6, v10, v4
	v_and_b32_e32 v3, 0xff, v5
	v_cmp_eq_u16_e32 vcc_lo, 2, v3
	v_and_or_b32 v3, vcc_lo, v11, 0x80000000
	v_cmp_gt_u32_e32 vcc_lo, 30, v53
	s_delay_alu instid0(VALU_DEP_2) | instskip(SKIP_1) | instid1(VALU_DEP_2)
	v_ctz_i32_b32_e32 v3, v3
	v_cndmask_b32_e64 v7, 0, 1, vcc_lo
	v_cmp_lt_u32_e32 vcc_lo, v53, v3
	s_waitcnt lgkmcnt(0)
	s_delay_alu instid0(VALU_DEP_2) | instskip(NEXT) | instid1(VALU_DEP_1)
	v_dual_cndmask_b32 v6, 0, v6 :: v_dual_lshlrev_b32 v7, 1, v7
	v_add_lshl_u32 v12, v7, v53, 2
	v_cmp_gt_u32_e32 vcc_lo, 28, v53
	s_delay_alu instid0(VALU_DEP_3) | instskip(SKIP_4) | instid1(VALU_DEP_1)
	v_add_nc_u32_e32 v4, v6, v4
	v_cndmask_b32_e64 v7, 0, 1, vcc_lo
	v_cmp_le_u32_e32 vcc_lo, v13, v3
	ds_bpermute_b32 v6, v12, v4
	v_lshlrev_b32_e32 v7, 2, v7
	v_add_lshl_u32 v14, v7, v53, 2
	s_waitcnt lgkmcnt(0)
	v_cndmask_b32_e32 v6, 0, v6, vcc_lo
	v_cmp_gt_u32_e32 vcc_lo, 24, v53
	s_delay_alu instid0(VALU_DEP_2) | instskip(SKIP_4) | instid1(VALU_DEP_1)
	v_add_nc_u32_e32 v4, v4, v6
	v_cndmask_b32_e64 v7, 0, 1, vcc_lo
	v_cmp_le_u32_e32 vcc_lo, v15, v3
	ds_bpermute_b32 v6, v14, v4
	v_lshlrev_b32_e32 v7, 3, v7
	v_add_lshl_u32 v17, v7, v53, 2
	s_waitcnt lgkmcnt(0)
	v_cndmask_b32_e32 v6, 0, v6, vcc_lo
	v_cmp_gt_u32_e32 vcc_lo, 16, v53
	s_delay_alu instid0(VALU_DEP_2) | instskip(SKIP_4) | instid1(VALU_DEP_1)
	v_add_nc_u32_e32 v4, v4, v6
	v_cndmask_b32_e64 v7, 0, 1, vcc_lo
	v_cmp_le_u32_e32 vcc_lo, v56, v3
	ds_bpermute_b32 v6, v17, v4
	v_lshlrev_b32_e32 v7, 4, v7
	v_add_lshl_u32 v57, v7, v53, 2
	s_waitcnt lgkmcnt(0)
	v_cndmask_b32_e32 v6, 0, v6, vcc_lo
	v_cmp_le_u32_e32 vcc_lo, v58, v3
	s_delay_alu instid0(VALU_DEP_2) | instskip(SKIP_3) | instid1(VALU_DEP_1)
	v_add_nc_u32_e32 v4, v4, v6
	ds_bpermute_b32 v6, v57, v4
	s_waitcnt lgkmcnt(0)
	v_cndmask_b32_e32 v3, 0, v6, vcc_lo
	v_dual_mov_b32 v3, 0 :: v_dual_add_nc_u32 v4, v4, v3
	s_branch .LBB598_53
.LBB598_52:                             ;   in Loop: Header=BB598_53 Depth=1
	s_or_b32 exec_lo, exec_lo, s22
	ds_bpermute_b32 v7, v10, v4
	v_and_b32_e32 v6, 0xff, v5
	v_subrev_nc_u32_e32 v2, 32, v2
	s_delay_alu instid0(VALU_DEP_2) | instskip(SKIP_1) | instid1(VALU_DEP_1)
	v_cmp_eq_u16_e32 vcc_lo, 2, v6
	v_and_or_b32 v6, vcc_lo, v11, 0x80000000
	v_ctz_i32_b32_e32 v6, v6
	s_delay_alu instid0(VALU_DEP_1) | instskip(SKIP_3) | instid1(VALU_DEP_2)
	v_cmp_lt_u32_e32 vcc_lo, v53, v6
	s_waitcnt lgkmcnt(0)
	v_cndmask_b32_e32 v7, 0, v7, vcc_lo
	v_cmp_le_u32_e32 vcc_lo, v13, v6
	v_add_nc_u32_e32 v4, v7, v4
	ds_bpermute_b32 v7, v12, v4
	s_waitcnt lgkmcnt(0)
	v_cndmask_b32_e32 v7, 0, v7, vcc_lo
	v_cmp_le_u32_e32 vcc_lo, v15, v6
	s_delay_alu instid0(VALU_DEP_2) | instskip(SKIP_4) | instid1(VALU_DEP_2)
	v_add_nc_u32_e32 v4, v4, v7
	ds_bpermute_b32 v7, v14, v4
	s_waitcnt lgkmcnt(0)
	v_cndmask_b32_e32 v7, 0, v7, vcc_lo
	v_cmp_le_u32_e32 vcc_lo, v56, v6
	v_add_nc_u32_e32 v4, v4, v7
	ds_bpermute_b32 v7, v17, v4
	s_waitcnt lgkmcnt(0)
	v_cndmask_b32_e32 v7, 0, v7, vcc_lo
	v_cmp_le_u32_e32 vcc_lo, v58, v6
	s_delay_alu instid0(VALU_DEP_2) | instskip(SKIP_3) | instid1(VALU_DEP_1)
	v_add_nc_u32_e32 v4, v4, v7
	ds_bpermute_b32 v7, v57, v4
	s_waitcnt lgkmcnt(0)
	v_cndmask_b32_e32 v6, 0, v7, vcc_lo
	v_add3_u32 v4, v6, v16, v4
.LBB598_53:                             ; =>This Loop Header: Depth=1
                                        ;     Child Loop BB598_56 Depth 2
	s_delay_alu instid0(VALU_DEP_1) | instskip(NEXT) | instid1(VALU_DEP_1)
	v_dual_mov_b32 v16, v4 :: v_dual_and_b32 v5, 0xff, v5
	v_cmp_ne_u16_e32 vcc_lo, 2, v5
	v_cndmask_b32_e64 v5, 0, 1, vcc_lo
	;;#ASMSTART
	;;#ASMEND
	s_delay_alu instid0(VALU_DEP_1)
	v_cmp_ne_u32_e32 vcc_lo, 0, v5
	s_cmp_lg_u32 vcc_lo, exec_lo
	s_cbranch_scc1 .LBB598_58
; %bb.54:                               ;   in Loop: Header=BB598_53 Depth=1
	v_lshlrev_b64 v[4:5], 3, v[2:3]
	s_mov_b32 s22, exec_lo
	s_delay_alu instid0(VALU_DEP_1) | instskip(NEXT) | instid1(VALU_DEP_2)
	v_add_co_u32 v6, vcc_lo, s18, v4
	v_add_co_ci_u32_e32 v7, vcc_lo, s19, v5, vcc_lo
	global_load_b64 v[4:5], v[6:7], off glc
	s_waitcnt vmcnt(0)
	v_and_b32_e32 v59, 0xff, v5
	s_delay_alu instid0(VALU_DEP_1)
	v_cmpx_eq_u16_e32 0, v59
	s_cbranch_execz .LBB598_52
; %bb.55:                               ;   in Loop: Header=BB598_53 Depth=1
	s_mov_b32 s23, 0
.LBB598_56:                             ;   Parent Loop BB598_53 Depth=1
                                        ; =>  This Inner Loop Header: Depth=2
	global_load_b64 v[4:5], v[6:7], off glc
	s_waitcnt vmcnt(0)
	v_and_b32_e32 v59, 0xff, v5
	s_delay_alu instid0(VALU_DEP_1) | instskip(SKIP_1) | instid1(SALU_CYCLE_1)
	v_cmp_ne_u16_e32 vcc_lo, 0, v59
	s_or_b32 s23, vcc_lo, s23
	s_and_not1_b32 exec_lo, exec_lo, s23
	s_cbranch_execnz .LBB598_56
; %bb.57:                               ;   in Loop: Header=BB598_53 Depth=1
	s_or_b32 exec_lo, exec_lo, s23
	s_branch .LBB598_52
.LBB598_58:                             ;   in Loop: Header=BB598_53 Depth=1
                                        ; implicit-def: $vgpr4
                                        ; implicit-def: $vgpr5
	s_cbranch_execz .LBB598_53
; %bb.59:
	s_and_saveexec_b32 s22, s7
	s_cbranch_execz .LBB598_61
; %bb.60:
	s_add_i32 s24, s20, 32
	s_mov_b32 s25, 0
	v_dual_mov_b32 v3, 2 :: v_dual_add_nc_u32 v2, v16, v1
	s_lshl_b64 s[24:25], s[24:25], 3
	v_mov_b32_e32 v4, 0
	v_add_nc_u32_e64 v5, 0x3400, 0
	s_add_u32 s24, s18, s24
	s_addc_u32 s25, s19, s25
	global_store_b64 v4, v[2:3], s[24:25]
	ds_store_2addr_b32 v5, v1, v16 offset1:2
.LBB598_61:
	s_or_b32 exec_lo, exec_lo, s22
	s_delay_alu instid0(SALU_CYCLE_1)
	s_and_b32 exec_lo, exec_lo, s2
	s_cbranch_execz .LBB598_63
; %bb.62:
	v_mov_b32_e32 v1, 0
	ds_store_b32 v1, v16 offset:28
.LBB598_63:
	s_or_b32 exec_lo, exec_lo, s21
	v_mov_b32_e32 v1, 0
	s_waitcnt lgkmcnt(0)
	s_waitcnt_vscnt null, 0x0
	s_barrier
	buffer_gl0_inv
	v_cndmask_b32_e64 v2, v9, v8, s7
	ds_load_b32 v1, v1 offset:28
	v_add_nc_u32_e64 v11, 0x3400, 0
	s_waitcnt lgkmcnt(0)
	s_barrier
	v_cndmask_b32_e64 v2, v2, 0, s2
	buffer_gl0_inv
	ds_load_2addr_b32 v[16:17], v11 offset1:2
	v_add_nc_u32_e32 v1, v1, v2
	s_delay_alu instid0(VALU_DEP_1) | instskip(NEXT) | instid1(VALU_DEP_1)
	v_add_nc_u32_e32 v2, v1, v44
	v_add_nc_u32_e32 v3, v2, v45
	s_delay_alu instid0(VALU_DEP_1) | instskip(NEXT) | instid1(VALU_DEP_1)
	v_add_nc_u32_e32 v4, v3, v46
	;; [unrolled: 3-line block ×6, first 2 shown]
	v_add_nc_u32_e32 v13, v12, v39
	s_branch .LBB598_74
.LBB598_64:
                                        ; implicit-def: $vgpr17
                                        ; implicit-def: $vgpr1_vgpr2_vgpr3_vgpr4_vgpr5_vgpr6_vgpr7_vgpr8_vgpr9_vgpr10_vgpr11_vgpr12_vgpr13_vgpr14_vgpr15_vgpr16
	s_and_b32 vcc_lo, exec_lo, s7
	s_cbranch_vccz .LBB598_74
; %bb.65:
	s_delay_alu instid0(VALU_DEP_1) | instskip(NEXT) | instid1(VALU_DEP_1)
	v_mov_b32_dpp v1, v55 row_shr:1 row_mask:0xf bank_mask:0xf
	v_cndmask_b32_e64 v1, v1, 0, s6
	s_delay_alu instid0(VALU_DEP_1) | instskip(NEXT) | instid1(VALU_DEP_1)
	v_add_nc_u32_e32 v1, v1, v55
	v_mov_b32_dpp v2, v1 row_shr:2 row_mask:0xf bank_mask:0xf
	s_delay_alu instid0(VALU_DEP_1) | instskip(NEXT) | instid1(VALU_DEP_1)
	v_cndmask_b32_e64 v2, 0, v2, s5
	v_add_nc_u32_e32 v1, v1, v2
	s_delay_alu instid0(VALU_DEP_1) | instskip(NEXT) | instid1(VALU_DEP_1)
	v_mov_b32_dpp v2, v1 row_shr:4 row_mask:0xf bank_mask:0xf
	v_cndmask_b32_e64 v2, 0, v2, s4
	s_delay_alu instid0(VALU_DEP_1) | instskip(NEXT) | instid1(VALU_DEP_1)
	v_add_nc_u32_e32 v1, v1, v2
	v_mov_b32_dpp v2, v1 row_shr:8 row_mask:0xf bank_mask:0xf
	s_delay_alu instid0(VALU_DEP_1) | instskip(NEXT) | instid1(VALU_DEP_1)
	v_cndmask_b32_e64 v2, 0, v2, s3
	v_add_nc_u32_e32 v1, v1, v2
	ds_swizzle_b32 v2, v1 offset:swizzle(BROADCAST,32,15)
	s_waitcnt lgkmcnt(0)
	v_cndmask_b32_e64 v2, v2, 0, s1
	s_delay_alu instid0(VALU_DEP_1)
	v_add_nc_u32_e32 v1, v1, v2
	s_and_saveexec_b32 s1, s0
	s_cbranch_execz .LBB598_67
; %bb.66:
	v_lshlrev_b32_e32 v2, 2, v54
	ds_store_b32 v2, v1
.LBB598_67:
	s_or_b32 exec_lo, exec_lo, s1
	s_delay_alu instid0(SALU_CYCLE_1)
	s_mov_b32 s0, exec_lo
	s_waitcnt lgkmcnt(0)
	s_barrier
	buffer_gl0_inv
	v_cmpx_gt_u32_e32 8, v0
	s_cbranch_execz .LBB598_69
; %bb.68:
	ds_load_b32 v2, v33
	s_waitcnt lgkmcnt(0)
	v_mov_b32_dpp v4, v2 row_shr:1 row_mask:0xf bank_mask:0xf
	v_and_b32_e32 v3, 7, v53
	s_delay_alu instid0(VALU_DEP_1) | instskip(NEXT) | instid1(VALU_DEP_3)
	v_cmp_ne_u32_e32 vcc_lo, 0, v3
	v_cndmask_b32_e32 v4, 0, v4, vcc_lo
	v_cmp_lt_u32_e32 vcc_lo, 1, v3
	s_delay_alu instid0(VALU_DEP_2) | instskip(NEXT) | instid1(VALU_DEP_1)
	v_add_nc_u32_e32 v2, v4, v2
	v_mov_b32_dpp v4, v2 row_shr:2 row_mask:0xf bank_mask:0xf
	s_delay_alu instid0(VALU_DEP_1) | instskip(SKIP_1) | instid1(VALU_DEP_2)
	v_cndmask_b32_e32 v4, 0, v4, vcc_lo
	v_cmp_lt_u32_e32 vcc_lo, 3, v3
	v_add_nc_u32_e32 v2, v2, v4
	s_delay_alu instid0(VALU_DEP_1) | instskip(NEXT) | instid1(VALU_DEP_1)
	v_mov_b32_dpp v4, v2 row_shr:4 row_mask:0xf bank_mask:0xf
	v_cndmask_b32_e32 v3, 0, v4, vcc_lo
	s_delay_alu instid0(VALU_DEP_1)
	v_add_nc_u32_e32 v2, v2, v3
	ds_store_b32 v33, v2
.LBB598_69:
	s_or_b32 exec_lo, exec_lo, s0
	v_dual_mov_b32 v3, 0 :: v_dual_mov_b32 v2, 0
	s_mov_b32 s0, exec_lo
	s_waitcnt lgkmcnt(0)
	s_barrier
	buffer_gl0_inv
	v_cmpx_lt_u32_e32 31, v0
	s_cbranch_execz .LBB598_71
; %bb.70:
	v_lshl_add_u32 v2, v54, 2, -4
	ds_load_b32 v2, v2
.LBB598_71:
	s_or_b32 exec_lo, exec_lo, s0
	v_add_nc_u32_e32 v4, -1, v53
	s_waitcnt lgkmcnt(0)
	v_add_nc_u32_e32 v1, v2, v1
	ds_load_b32 v16, v3 offset:28
	v_cmp_gt_i32_e32 vcc_lo, 0, v4
	v_cndmask_b32_e32 v4, v4, v53, vcc_lo
	s_delay_alu instid0(VALU_DEP_1)
	v_lshlrev_b32_e32 v4, 2, v4
	ds_bpermute_b32 v1, v4, v1
	s_and_saveexec_b32 s0, s2
	s_cbranch_execz .LBB598_73
; %bb.72:
	v_mov_b32_e32 v3, 0
	v_mov_b32_e32 v17, 2
	s_waitcnt lgkmcnt(1)
	global_store_b64 v3, v[16:17], s[18:19] offset:256
.LBB598_73:
	s_or_b32 exec_lo, exec_lo, s0
	v_cmp_eq_u32_e32 vcc_lo, 0, v53
	s_waitcnt lgkmcnt(0)
	s_waitcnt_vscnt null, 0x0
	s_barrier
	buffer_gl0_inv
	v_mov_b32_e32 v17, 0
	v_cndmask_b32_e32 v1, v1, v2, vcc_lo
	s_delay_alu instid0(VALU_DEP_1) | instskip(NEXT) | instid1(VALU_DEP_1)
	v_cndmask_b32_e64 v1, v1, 0, s2
	v_add_nc_u32_e32 v2, v1, v44
	s_delay_alu instid0(VALU_DEP_1) | instskip(NEXT) | instid1(VALU_DEP_1)
	v_add_nc_u32_e32 v3, v2, v45
	v_add_nc_u32_e32 v4, v3, v46
	s_delay_alu instid0(VALU_DEP_1) | instskip(NEXT) | instid1(VALU_DEP_1)
	v_add_nc_u32_e32 v5, v4, v43
	;; [unrolled: 3-line block ×5, first 2 shown]
	v_add_nc_u32_e32 v12, v11, v52
	s_delay_alu instid0(VALU_DEP_1)
	v_add_nc_u32_e32 v13, v12, v39
.LBB598_74:
	s_waitcnt lgkmcnt(0)
	v_sub_nc_u32_e32 v1, v1, v17
	v_sub_nc_u32_e32 v2, v2, v17
	v_add_nc_u32_e32 v36, v16, v36
	v_lshrrev_b32_e32 v47, 8, v42
	v_lshrrev_b32_e32 v46, 16, v42
	v_sub_nc_u32_e32 v4, v4, v17
	v_sub_nc_u32_e32 v3, v3, v17
	;; [unrolled: 1-line block ×3, first 2 shown]
	v_and_b32_e32 v42, 1, v42
	v_and_b32_e32 v47, 1, v47
	;; [unrolled: 1-line block ×3, first 2 shown]
	v_lshrrev_b32_e32 v45, 8, v40
	v_lshrrev_b32_e32 v44, 16, v40
	v_cmp_eq_u32_e32 vcc_lo, 1, v42
	v_and_b32_e32 v42, 1, v46
	v_sub_nc_u32_e32 v46, v36, v2
	v_lshrrev_b32_e32 v15, 8, v38
	v_lshrrev_b32_e32 v14, 16, v38
	v_cndmask_b32_e32 v1, v48, v1, vcc_lo
	v_cmp_eq_u32_e32 vcc_lo, 1, v47
	v_add_nc_u32_e32 v46, 1, v46
	s_delay_alu instid0(VALU_DEP_3)
	v_lshlrev_b32_e32 v1, 2, v1
	ds_store_b32 v1, v30
	v_cndmask_b32_e32 v1, v46, v2, vcc_lo
	v_sub_nc_u32_e32 v48, v36, v3
	v_sub_nc_u32_e32 v49, v36, v4
	v_cmp_eq_u32_e32 vcc_lo, 1, v42
	v_or_b32_e32 v30, 0x300, v0
	v_lshlrev_b32_e32 v1, 2, v1
	v_add_nc_u32_e32 v48, 2, v48
	v_add_nc_u32_e32 v49, 3, v49
	ds_store_b32 v1, v31
	v_cndmask_b32_e32 v2, v48, v3, vcc_lo
	v_cmp_eq_u32_e32 vcc_lo, 1, v43
	v_or_b32_e32 v31, 0x200, v0
	s_delay_alu instid0(VALU_DEP_3) | instskip(SKIP_2) | instid1(VALU_DEP_3)
	v_dual_cndmask_b32 v3, v49, v4 :: v_dual_lshlrev_b32 v2, 2, v2
	v_sub_nc_u32_e32 v4, v5, v17
	v_sub_nc_u32_e32 v5, v6, v17
	v_lshlrev_b32_e32 v3, 2, v3
	s_delay_alu instid0(VALU_DEP_3) | instskip(NEXT) | instid1(VALU_DEP_3)
	v_sub_nc_u32_e32 v1, v36, v4
	v_sub_nc_u32_e32 v6, v36, v5
	ds_store_b32 v2, v28
	ds_store_b32 v3, v29
	v_and_b32_e32 v2, 1, v40
	v_add_nc_u32_e32 v1, 4, v1
	v_add_nc_u32_e32 v3, 5, v6
	v_sub_nc_u32_e32 v6, v7, v17
	v_and_b32_e32 v7, 1, v45
	v_cmp_eq_u32_e32 vcc_lo, 1, v2
	v_sub_nc_u32_e32 v2, v8, v17
	v_and_b32_e32 v8, 1, v41
	v_or_b32_e32 v29, 0x400, v0
	v_or_b32_e32 v28, 0x500, v0
	v_cndmask_b32_e32 v1, v1, v4, vcc_lo
	v_sub_nc_u32_e32 v4, v36, v6
	v_cmp_eq_u32_e32 vcc_lo, 1, v7
	v_and_b32_e32 v7, 1, v44
	s_delay_alu instid0(VALU_DEP_4) | instskip(NEXT) | instid1(VALU_DEP_4)
	v_lshlrev_b32_e32 v1, 2, v1
	v_dual_cndmask_b32 v3, v3, v5 :: v_dual_add_nc_u32 v4, 6, v4
	v_sub_nc_u32_e32 v5, v36, v2
	s_delay_alu instid0(VALU_DEP_4) | instskip(SKIP_2) | instid1(VALU_DEP_4)
	v_cmp_eq_u32_e32 vcc_lo, 1, v7
	v_sub_nc_u32_e32 v7, v13, v17
	v_add_co_u32 v13, s0, s16, v32
	v_dual_cndmask_b32 v4, v4, v6 :: v_dual_add_nc_u32 v5, 7, v5
	v_cmp_eq_u32_e32 vcc_lo, 1, v8
	v_sub_nc_u32_e32 v6, v9, v17
	v_lshlrev_b32_e32 v3, 2, v3
	ds_store_b32 v1, v26
	ds_store_b32 v3, v27
	v_cndmask_b32_e32 v2, v5, v2, vcc_lo
	v_sub_nc_u32_e32 v1, v36, v6
	v_lshlrev_b32_e32 v3, 2, v4
	v_and_b32_e32 v5, 1, v38
	v_sub_nc_u32_e32 v4, v10, v17
	v_lshlrev_b32_e32 v2, 2, v2
	v_add_nc_u32_e32 v1, 8, v1
	ds_store_b32 v3, v24
	ds_store_b32 v2, v25
	v_cmp_eq_u32_e32 vcc_lo, 1, v5
	v_sub_nc_u32_e32 v3, v11, v17
	v_sub_nc_u32_e32 v2, v36, v4
	;; [unrolled: 1-line block ×3, first 2 shown]
	v_dual_cndmask_b32 v1, v1, v6 :: v_dual_and_b32 v10, 1, v39
	v_and_b32_e32 v6, 1, v15
	v_sub_nc_u32_e32 v8, v36, v3
	v_add_nc_u32_e32 v2, 9, v2
	v_sub_nc_u32_e32 v9, v36, v5
	v_and_b32_e32 v11, 1, v37
	v_cmp_eq_u32_e32 vcc_lo, 1, v6
	v_add_nc_u32_e32 v6, 10, v8
	v_and_b32_e32 v8, 1, v14
	v_add_nc_u32_e32 v9, 11, v9
	v_dual_cndmask_b32 v2, v2, v4 :: v_dual_lshlrev_b32 v1, 2, v1
	v_sub_nc_u32_e32 v4, v36, v7
	s_delay_alu instid0(VALU_DEP_4) | instskip(SKIP_1) | instid1(VALU_DEP_4)
	v_cmp_eq_u32_e32 vcc_lo, 1, v8
	v_add_co_ci_u32_e64 v14, null, s17, 0, s0
	v_lshlrev_b32_e32 v2, 2, v2
	s_delay_alu instid0(VALU_DEP_4)
	v_dual_cndmask_b32 v3, v6, v3 :: v_dual_add_nc_u32 v4, 12, v4
	v_cmp_eq_u32_e32 vcc_lo, 1, v10
	v_or_b32_e32 v27, 0x600, v0
	v_or_b32_e32 v26, 0x700, v0
	;; [unrolled: 1-line block ×3, first 2 shown]
	v_lshlrev_b32_e32 v3, 2, v3
	v_cndmask_b32_e32 v5, v9, v5, vcc_lo
	v_cmp_eq_u32_e32 vcc_lo, 1, v11
	v_or_b32_e32 v24, 0x900, v0
	s_delay_alu instid0(VALU_DEP_3) | instskip(SKIP_2) | instid1(VALU_DEP_3)
	v_dual_cndmask_b32 v4, v4, v7 :: v_dual_lshlrev_b32 v5, 2, v5
	v_sub_co_u32 v13, vcc_lo, s14, v13
	v_sub_co_ci_u32_e32 v14, vcc_lo, s15, v14, vcc_lo
	v_lshlrev_b32_e32 v4, 2, v4
	ds_store_b32 v1, v22
	ds_store_b32 v2, v23
	;; [unrolled: 1-line block ×5, first 2 shown]
	s_waitcnt lgkmcnt(0)
	s_barrier
	buffer_gl0_inv
	ds_load_2addr_stride64_b32 v[11:12], v33 offset1:4
	ds_load_2addr_stride64_b32 v[9:10], v33 offset0:8 offset1:12
	ds_load_2addr_stride64_b32 v[7:8], v33 offset0:16 offset1:20
	;; [unrolled: 1-line block ×5, first 2 shown]
	ds_load_b32 v20, v33 offset:12288
	v_add_co_u32 v15, vcc_lo, v18, v17
	v_add_co_ci_u32_e32 v17, vcc_lo, 0, v19, vcc_lo
	v_add_co_u32 v13, vcc_lo, v13, v16
	v_add_co_ci_u32_e32 v14, vcc_lo, 0, v14, vcc_lo
	v_cmp_ne_u32_e32 vcc_lo, 1, v34
	s_delay_alu instid0(VALU_DEP_3)
	v_add_co_u32 v18, s0, v13, v15
	v_or_b32_e32 v35, 0x100, v0
	v_or_b32_e32 v23, 0xa00, v0
	;; [unrolled: 1-line block ×4, first 2 shown]
	v_add_co_ci_u32_e64 v19, s0, v14, v17, s0
	s_mov_b32 s0, 0
	s_cbranch_vccnz .LBB598_131
; %bb.75:
	s_mov_b32 s0, exec_lo
                                        ; implicit-def: $vgpr13_vgpr14
	v_cmpx_ge_u32_e64 v0, v16
	s_xor_b32 s0, exec_lo, s0
; %bb.76:
	v_not_b32_e32 v13, v0
	s_delay_alu instid0(VALU_DEP_1) | instskip(SKIP_1) | instid1(VALU_DEP_2)
	v_ashrrev_i32_e32 v14, 31, v13
	v_add_co_u32 v13, vcc_lo, v18, v13
	v_add_co_ci_u32_e32 v14, vcc_lo, v19, v14, vcc_lo
; %bb.77:
	s_and_not1_saveexec_b32 s0, s0
; %bb.78:
	v_add_co_u32 v13, vcc_lo, v15, v0
	v_add_co_ci_u32_e32 v14, vcc_lo, 0, v17, vcc_lo
; %bb.79:
	s_or_b32 exec_lo, exec_lo, s0
	s_delay_alu instid0(VALU_DEP_1) | instskip(SKIP_1) | instid1(VALU_DEP_1)
	v_lshlrev_b64 v[13:14], 2, v[13:14]
	s_mov_b32 s0, exec_lo
	v_add_co_u32 v13, vcc_lo, s12, v13
	s_delay_alu instid0(VALU_DEP_2)
	v_add_co_ci_u32_e32 v14, vcc_lo, s13, v14, vcc_lo
	s_waitcnt lgkmcnt(6)
	global_store_b32 v[13:14], v11, off
                                        ; implicit-def: $vgpr13_vgpr14
	v_cmpx_ge_u32_e64 v35, v16
	s_xor_b32 s0, exec_lo, s0
; %bb.80:
	v_xor_b32_e32 v13, 0xfffffeff, v0
	s_delay_alu instid0(VALU_DEP_1) | instskip(SKIP_1) | instid1(VALU_DEP_2)
	v_ashrrev_i32_e32 v14, 31, v13
	v_add_co_u32 v13, vcc_lo, v18, v13
	v_add_co_ci_u32_e32 v14, vcc_lo, v19, v14, vcc_lo
; %bb.81:
	s_and_not1_saveexec_b32 s0, s0
; %bb.82:
	v_add_co_u32 v13, vcc_lo, v15, v35
	v_add_co_ci_u32_e32 v14, vcc_lo, 0, v17, vcc_lo
; %bb.83:
	s_or_b32 exec_lo, exec_lo, s0
	s_delay_alu instid0(VALU_DEP_1) | instskip(SKIP_1) | instid1(VALU_DEP_1)
	v_lshlrev_b64 v[13:14], 2, v[13:14]
	s_mov_b32 s0, exec_lo
	v_add_co_u32 v13, vcc_lo, s12, v13
	s_delay_alu instid0(VALU_DEP_2)
	v_add_co_ci_u32_e32 v14, vcc_lo, s13, v14, vcc_lo
	global_store_b32 v[13:14], v12, off
                                        ; implicit-def: $vgpr13_vgpr14
	v_cmpx_ge_u32_e64 v31, v16
	s_xor_b32 s0, exec_lo, s0
; %bb.84:
	v_xor_b32_e32 v13, 0xfffffdff, v0
	s_delay_alu instid0(VALU_DEP_1) | instskip(SKIP_1) | instid1(VALU_DEP_2)
	v_ashrrev_i32_e32 v14, 31, v13
	v_add_co_u32 v13, vcc_lo, v18, v13
	v_add_co_ci_u32_e32 v14, vcc_lo, v19, v14, vcc_lo
; %bb.85:
	s_and_not1_saveexec_b32 s0, s0
; %bb.86:
	v_add_co_u32 v13, vcc_lo, v15, v31
	v_add_co_ci_u32_e32 v14, vcc_lo, 0, v17, vcc_lo
; %bb.87:
	s_or_b32 exec_lo, exec_lo, s0
	s_delay_alu instid0(VALU_DEP_1) | instskip(SKIP_1) | instid1(VALU_DEP_1)
	v_lshlrev_b64 v[13:14], 2, v[13:14]
	s_mov_b32 s0, exec_lo
	v_add_co_u32 v13, vcc_lo, s12, v13
	s_delay_alu instid0(VALU_DEP_2)
	v_add_co_ci_u32_e32 v14, vcc_lo, s13, v14, vcc_lo
	s_waitcnt lgkmcnt(5)
	global_store_b32 v[13:14], v9, off
                                        ; implicit-def: $vgpr13_vgpr14
	v_cmpx_ge_u32_e64 v30, v16
	s_xor_b32 s0, exec_lo, s0
; %bb.88:
	v_xor_b32_e32 v13, 0xfffffcff, v0
	s_delay_alu instid0(VALU_DEP_1) | instskip(SKIP_1) | instid1(VALU_DEP_2)
	v_ashrrev_i32_e32 v14, 31, v13
	v_add_co_u32 v13, vcc_lo, v18, v13
	v_add_co_ci_u32_e32 v14, vcc_lo, v19, v14, vcc_lo
; %bb.89:
	s_and_not1_saveexec_b32 s0, s0
; %bb.90:
	v_add_co_u32 v13, vcc_lo, v15, v30
	v_add_co_ci_u32_e32 v14, vcc_lo, 0, v17, vcc_lo
; %bb.91:
	s_or_b32 exec_lo, exec_lo, s0
	s_delay_alu instid0(VALU_DEP_1) | instskip(SKIP_1) | instid1(VALU_DEP_1)
	v_lshlrev_b64 v[13:14], 2, v[13:14]
	s_mov_b32 s0, exec_lo
	v_add_co_u32 v13, vcc_lo, s12, v13
	s_delay_alu instid0(VALU_DEP_2)
	v_add_co_ci_u32_e32 v14, vcc_lo, s13, v14, vcc_lo
	global_store_b32 v[13:14], v10, off
                                        ; implicit-def: $vgpr13_vgpr14
	v_cmpx_ge_u32_e64 v29, v16
	s_xor_b32 s0, exec_lo, s0
; %bb.92:
	v_xor_b32_e32 v13, 0xfffffbff, v0
	;; [unrolled: 47-line block ×6, first 2 shown]
	s_delay_alu instid0(VALU_DEP_1) | instskip(SKIP_1) | instid1(VALU_DEP_2)
	v_ashrrev_i32_e32 v14, 31, v13
	v_add_co_u32 v13, vcc_lo, v18, v13
	v_add_co_ci_u32_e32 v14, vcc_lo, v19, v14, vcc_lo
; %bb.125:
	s_and_not1_saveexec_b32 s0, s0
; %bb.126:
	v_add_co_u32 v13, vcc_lo, v15, v21
	v_add_co_ci_u32_e32 v14, vcc_lo, 0, v17, vcc_lo
; %bb.127:
	s_or_b32 exec_lo, exec_lo, s0
	s_mov_b32 s0, -1
.LBB598_128:
	s_delay_alu instid0(SALU_CYCLE_1)
	s_and_saveexec_b32 s1, s0
	s_cbranch_execz .LBB598_211
.LBB598_129:
	s_waitcnt lgkmcnt(1)
	v_lshlrev_b64 v[0:1], 2, v[13:14]
	s_delay_alu instid0(VALU_DEP_1) | instskip(NEXT) | instid1(VALU_DEP_2)
	v_add_co_u32 v0, vcc_lo, s12, v0
	v_add_co_ci_u32_e32 v1, vcc_lo, s13, v1, vcc_lo
	s_waitcnt lgkmcnt(0)
	global_store_b32 v[0:1], v20, off
	s_or_b32 exec_lo, exec_lo, s1
	s_and_b32 s0, s2, s10
	s_delay_alu instid0(SALU_CYCLE_1)
	s_and_saveexec_b32 s1, s0
	s_cbranch_execnz .LBB598_212
.LBB598_130:
	s_nop 0
	s_sendmsg sendmsg(MSG_DEALLOC_VGPRS)
	s_endpgm
.LBB598_131:
                                        ; implicit-def: $vgpr13_vgpr14
	s_cbranch_execz .LBB598_128
; %bb.132:
	s_mov_b32 s1, exec_lo
	v_cmpx_gt_u32_e64 s11, v0
	s_cbranch_execz .LBB598_168
; %bb.133:
	s_mov_b32 s3, exec_lo
                                        ; implicit-def: $vgpr13_vgpr14
	v_cmpx_ge_u32_e64 v0, v16
	s_xor_b32 s3, exec_lo, s3
; %bb.134:
	v_not_b32_e32 v13, v0
	s_delay_alu instid0(VALU_DEP_1) | instskip(SKIP_1) | instid1(VALU_DEP_2)
	v_ashrrev_i32_e32 v14, 31, v13
	v_add_co_u32 v13, vcc_lo, v18, v13
	v_add_co_ci_u32_e32 v14, vcc_lo, v19, v14, vcc_lo
; %bb.135:
	s_and_not1_saveexec_b32 s3, s3
; %bb.136:
	v_add_co_u32 v13, vcc_lo, v15, v0
	v_add_co_ci_u32_e32 v14, vcc_lo, 0, v17, vcc_lo
; %bb.137:
	s_or_b32 exec_lo, exec_lo, s3
	s_delay_alu instid0(VALU_DEP_1) | instskip(NEXT) | instid1(VALU_DEP_1)
	v_lshlrev_b64 v[13:14], 2, v[13:14]
	v_add_co_u32 v13, vcc_lo, s12, v13
	s_delay_alu instid0(VALU_DEP_2) | instskip(SKIP_3) | instid1(SALU_CYCLE_1)
	v_add_co_ci_u32_e32 v14, vcc_lo, s13, v14, vcc_lo
	s_waitcnt lgkmcnt(6)
	global_store_b32 v[13:14], v11, off
	s_or_b32 exec_lo, exec_lo, s1
	s_mov_b32 s1, exec_lo
	v_cmpx_gt_u32_e64 s11, v35
	s_cbranch_execnz .LBB598_169
.LBB598_138:
	s_or_b32 exec_lo, exec_lo, s1
	s_delay_alu instid0(SALU_CYCLE_1)
	s_mov_b32 s1, exec_lo
	v_cmpx_gt_u32_e64 s11, v31
	s_cbranch_execz .LBB598_174
.LBB598_139:
	s_mov_b32 s3, exec_lo
                                        ; implicit-def: $vgpr11_vgpr12
	v_cmpx_ge_u32_e64 v31, v16
	s_xor_b32 s3, exec_lo, s3
	s_cbranch_execz .LBB598_141
; %bb.140:
	s_waitcnt lgkmcnt(6)
	v_xor_b32_e32 v11, 0xfffffdff, v0
                                        ; implicit-def: $vgpr31
	s_delay_alu instid0(VALU_DEP_1) | instskip(SKIP_1) | instid1(VALU_DEP_2)
	v_ashrrev_i32_e32 v12, 31, v11
	v_add_co_u32 v11, vcc_lo, v18, v11
	v_add_co_ci_u32_e32 v12, vcc_lo, v19, v12, vcc_lo
.LBB598_141:
	s_and_not1_saveexec_b32 s3, s3
	s_cbranch_execz .LBB598_143
; %bb.142:
	s_waitcnt lgkmcnt(6)
	v_add_co_u32 v11, vcc_lo, v15, v31
	v_add_co_ci_u32_e32 v12, vcc_lo, 0, v17, vcc_lo
.LBB598_143:
	s_or_b32 exec_lo, exec_lo, s3
	s_waitcnt lgkmcnt(6)
	s_delay_alu instid0(VALU_DEP_1) | instskip(NEXT) | instid1(VALU_DEP_1)
	v_lshlrev_b64 v[11:12], 2, v[11:12]
	v_add_co_u32 v11, vcc_lo, s12, v11
	s_delay_alu instid0(VALU_DEP_2) | instskip(SKIP_3) | instid1(SALU_CYCLE_1)
	v_add_co_ci_u32_e32 v12, vcc_lo, s13, v12, vcc_lo
	s_waitcnt lgkmcnt(5)
	global_store_b32 v[11:12], v9, off
	s_or_b32 exec_lo, exec_lo, s1
	s_mov_b32 s1, exec_lo
	v_cmpx_gt_u32_e64 s11, v30
	s_cbranch_execnz .LBB598_175
.LBB598_144:
	s_or_b32 exec_lo, exec_lo, s1
	s_delay_alu instid0(SALU_CYCLE_1)
	s_mov_b32 s1, exec_lo
	v_cmpx_gt_u32_e64 s11, v29
	s_cbranch_execz .LBB598_180
.LBB598_145:
	s_mov_b32 s3, exec_lo
                                        ; implicit-def: $vgpr9_vgpr10
	v_cmpx_ge_u32_e64 v29, v16
	s_xor_b32 s3, exec_lo, s3
	s_cbranch_execz .LBB598_147
; %bb.146:
	s_waitcnt lgkmcnt(5)
	v_xor_b32_e32 v9, 0xfffffbff, v0
                                        ; implicit-def: $vgpr29
	s_delay_alu instid0(VALU_DEP_1) | instskip(SKIP_1) | instid1(VALU_DEP_2)
	v_ashrrev_i32_e32 v10, 31, v9
	v_add_co_u32 v9, vcc_lo, v18, v9
	v_add_co_ci_u32_e32 v10, vcc_lo, v19, v10, vcc_lo
.LBB598_147:
	s_and_not1_saveexec_b32 s3, s3
	s_cbranch_execz .LBB598_149
; %bb.148:
	s_waitcnt lgkmcnt(5)
	v_add_co_u32 v9, vcc_lo, v15, v29
	v_add_co_ci_u32_e32 v10, vcc_lo, 0, v17, vcc_lo
.LBB598_149:
	s_or_b32 exec_lo, exec_lo, s3
	s_waitcnt lgkmcnt(5)
	s_delay_alu instid0(VALU_DEP_1) | instskip(NEXT) | instid1(VALU_DEP_1)
	v_lshlrev_b64 v[9:10], 2, v[9:10]
	v_add_co_u32 v9, vcc_lo, s12, v9
	s_delay_alu instid0(VALU_DEP_2) | instskip(SKIP_3) | instid1(SALU_CYCLE_1)
	v_add_co_ci_u32_e32 v10, vcc_lo, s13, v10, vcc_lo
	s_waitcnt lgkmcnt(4)
	global_store_b32 v[9:10], v7, off
	s_or_b32 exec_lo, exec_lo, s1
	s_mov_b32 s1, exec_lo
	v_cmpx_gt_u32_e64 s11, v28
	s_cbranch_execnz .LBB598_181
.LBB598_150:
	s_or_b32 exec_lo, exec_lo, s1
	s_delay_alu instid0(SALU_CYCLE_1)
	s_mov_b32 s1, exec_lo
	v_cmpx_gt_u32_e64 s11, v27
	s_cbranch_execz .LBB598_186
.LBB598_151:
	s_mov_b32 s3, exec_lo
                                        ; implicit-def: $vgpr7_vgpr8
	v_cmpx_ge_u32_e64 v27, v16
	s_xor_b32 s3, exec_lo, s3
	s_cbranch_execz .LBB598_153
; %bb.152:
	s_waitcnt lgkmcnt(4)
	v_xor_b32_e32 v7, 0xfffff9ff, v0
                                        ; implicit-def: $vgpr27
	s_delay_alu instid0(VALU_DEP_1) | instskip(SKIP_1) | instid1(VALU_DEP_2)
	v_ashrrev_i32_e32 v8, 31, v7
	v_add_co_u32 v7, vcc_lo, v18, v7
	v_add_co_ci_u32_e32 v8, vcc_lo, v19, v8, vcc_lo
.LBB598_153:
	s_and_not1_saveexec_b32 s3, s3
	s_cbranch_execz .LBB598_155
; %bb.154:
	s_waitcnt lgkmcnt(4)
	v_add_co_u32 v7, vcc_lo, v15, v27
	v_add_co_ci_u32_e32 v8, vcc_lo, 0, v17, vcc_lo
.LBB598_155:
	s_or_b32 exec_lo, exec_lo, s3
	s_waitcnt lgkmcnt(4)
	s_delay_alu instid0(VALU_DEP_1) | instskip(NEXT) | instid1(VALU_DEP_1)
	v_lshlrev_b64 v[7:8], 2, v[7:8]
	v_add_co_u32 v7, vcc_lo, s12, v7
	s_delay_alu instid0(VALU_DEP_2) | instskip(SKIP_3) | instid1(SALU_CYCLE_1)
	v_add_co_ci_u32_e32 v8, vcc_lo, s13, v8, vcc_lo
	s_waitcnt lgkmcnt(3)
	global_store_b32 v[7:8], v5, off
	s_or_b32 exec_lo, exec_lo, s1
	s_mov_b32 s1, exec_lo
	v_cmpx_gt_u32_e64 s11, v26
	s_cbranch_execnz .LBB598_187
.LBB598_156:
	s_or_b32 exec_lo, exec_lo, s1
	s_delay_alu instid0(SALU_CYCLE_1)
	s_mov_b32 s1, exec_lo
	v_cmpx_gt_u32_e64 s11, v25
	s_cbranch_execz .LBB598_192
.LBB598_157:
	s_mov_b32 s3, exec_lo
                                        ; implicit-def: $vgpr5_vgpr6
	v_cmpx_ge_u32_e64 v25, v16
	s_xor_b32 s3, exec_lo, s3
	s_cbranch_execz .LBB598_159
; %bb.158:
	s_waitcnt lgkmcnt(3)
	v_xor_b32_e32 v5, 0xfffff7ff, v0
                                        ; implicit-def: $vgpr25
	s_delay_alu instid0(VALU_DEP_1) | instskip(SKIP_1) | instid1(VALU_DEP_2)
	v_ashrrev_i32_e32 v6, 31, v5
	v_add_co_u32 v5, vcc_lo, v18, v5
	v_add_co_ci_u32_e32 v6, vcc_lo, v19, v6, vcc_lo
.LBB598_159:
	s_and_not1_saveexec_b32 s3, s3
	s_cbranch_execz .LBB598_161
; %bb.160:
	s_waitcnt lgkmcnt(3)
	v_add_co_u32 v5, vcc_lo, v15, v25
	v_add_co_ci_u32_e32 v6, vcc_lo, 0, v17, vcc_lo
.LBB598_161:
	s_or_b32 exec_lo, exec_lo, s3
	s_waitcnt lgkmcnt(3)
	s_delay_alu instid0(VALU_DEP_1) | instskip(NEXT) | instid1(VALU_DEP_1)
	v_lshlrev_b64 v[5:6], 2, v[5:6]
	v_add_co_u32 v5, vcc_lo, s12, v5
	s_delay_alu instid0(VALU_DEP_2) | instskip(SKIP_3) | instid1(SALU_CYCLE_1)
	v_add_co_ci_u32_e32 v6, vcc_lo, s13, v6, vcc_lo
	s_waitcnt lgkmcnt(2)
	global_store_b32 v[5:6], v3, off
	s_or_b32 exec_lo, exec_lo, s1
	s_mov_b32 s1, exec_lo
	v_cmpx_gt_u32_e64 s11, v24
	s_cbranch_execnz .LBB598_193
.LBB598_162:
	s_or_b32 exec_lo, exec_lo, s1
	s_delay_alu instid0(SALU_CYCLE_1)
	s_mov_b32 s1, exec_lo
	v_cmpx_gt_u32_e64 s11, v23
	s_cbranch_execz .LBB598_198
.LBB598_163:
	s_mov_b32 s3, exec_lo
                                        ; implicit-def: $vgpr3_vgpr4
	v_cmpx_ge_u32_e64 v23, v16
	s_xor_b32 s3, exec_lo, s3
	s_cbranch_execz .LBB598_165
; %bb.164:
	s_waitcnt lgkmcnt(2)
	v_xor_b32_e32 v3, 0xfffff5ff, v0
                                        ; implicit-def: $vgpr23
	s_delay_alu instid0(VALU_DEP_1) | instskip(SKIP_1) | instid1(VALU_DEP_2)
	v_ashrrev_i32_e32 v4, 31, v3
	v_add_co_u32 v3, vcc_lo, v18, v3
	v_add_co_ci_u32_e32 v4, vcc_lo, v19, v4, vcc_lo
.LBB598_165:
	s_and_not1_saveexec_b32 s3, s3
	s_cbranch_execz .LBB598_167
; %bb.166:
	s_waitcnt lgkmcnt(2)
	v_add_co_u32 v3, vcc_lo, v15, v23
	v_add_co_ci_u32_e32 v4, vcc_lo, 0, v17, vcc_lo
.LBB598_167:
	s_or_b32 exec_lo, exec_lo, s3
	s_waitcnt lgkmcnt(2)
	s_delay_alu instid0(VALU_DEP_1) | instskip(NEXT) | instid1(VALU_DEP_1)
	v_lshlrev_b64 v[3:4], 2, v[3:4]
	v_add_co_u32 v3, vcc_lo, s12, v3
	s_delay_alu instid0(VALU_DEP_2) | instskip(SKIP_3) | instid1(SALU_CYCLE_1)
	v_add_co_ci_u32_e32 v4, vcc_lo, s13, v4, vcc_lo
	s_waitcnt lgkmcnt(1)
	global_store_b32 v[3:4], v1, off
	s_or_b32 exec_lo, exec_lo, s1
	s_mov_b32 s1, exec_lo
	v_cmpx_gt_u32_e64 s11, v22
	s_cbranch_execz .LBB598_204
	s_branch .LBB598_199
.LBB598_168:
	s_or_b32 exec_lo, exec_lo, s1
	s_delay_alu instid0(SALU_CYCLE_1)
	s_mov_b32 s1, exec_lo
	v_cmpx_gt_u32_e64 s11, v35
	s_cbranch_execz .LBB598_138
.LBB598_169:
	s_mov_b32 s3, exec_lo
                                        ; implicit-def: $vgpr13_vgpr14
	v_cmpx_ge_u32_e64 v35, v16
	s_xor_b32 s3, exec_lo, s3
	s_cbranch_execz .LBB598_171
; %bb.170:
	s_waitcnt lgkmcnt(6)
	v_xor_b32_e32 v11, 0xfffffeff, v0
                                        ; implicit-def: $vgpr35
	s_delay_alu instid0(VALU_DEP_1) | instskip(SKIP_1) | instid1(VALU_DEP_2)
	v_ashrrev_i32_e32 v14, 31, v11
	v_add_co_u32 v13, vcc_lo, v18, v11
	v_add_co_ci_u32_e32 v14, vcc_lo, v19, v14, vcc_lo
.LBB598_171:
	s_and_not1_saveexec_b32 s3, s3
; %bb.172:
	v_add_co_u32 v13, vcc_lo, v15, v35
	v_add_co_ci_u32_e32 v14, vcc_lo, 0, v17, vcc_lo
; %bb.173:
	s_or_b32 exec_lo, exec_lo, s3
	s_delay_alu instid0(VALU_DEP_1) | instskip(NEXT) | instid1(VALU_DEP_1)
	v_lshlrev_b64 v[13:14], 2, v[13:14]
	v_add_co_u32 v13, vcc_lo, s12, v13
	s_delay_alu instid0(VALU_DEP_2) | instskip(SKIP_3) | instid1(SALU_CYCLE_1)
	v_add_co_ci_u32_e32 v14, vcc_lo, s13, v14, vcc_lo
	s_waitcnt lgkmcnt(6)
	global_store_b32 v[13:14], v12, off
	s_or_b32 exec_lo, exec_lo, s1
	s_mov_b32 s1, exec_lo
	v_cmpx_gt_u32_e64 s11, v31
	s_cbranch_execnz .LBB598_139
.LBB598_174:
	s_or_b32 exec_lo, exec_lo, s1
	s_delay_alu instid0(SALU_CYCLE_1)
	s_mov_b32 s1, exec_lo
	v_cmpx_gt_u32_e64 s11, v30
	s_cbranch_execz .LBB598_144
.LBB598_175:
	s_mov_b32 s3, exec_lo
                                        ; implicit-def: $vgpr11_vgpr12
	v_cmpx_ge_u32_e64 v30, v16
	s_xor_b32 s3, exec_lo, s3
	s_cbranch_execz .LBB598_177
; %bb.176:
	s_waitcnt lgkmcnt(5)
	v_xor_b32_e32 v9, 0xfffffcff, v0
                                        ; implicit-def: $vgpr30
	s_delay_alu instid0(VALU_DEP_1) | instskip(SKIP_1) | instid1(VALU_DEP_2)
	v_ashrrev_i32_e32 v12, 31, v9
	v_add_co_u32 v11, vcc_lo, v18, v9
	v_add_co_ci_u32_e32 v12, vcc_lo, v19, v12, vcc_lo
.LBB598_177:
	s_and_not1_saveexec_b32 s3, s3
	s_cbranch_execz .LBB598_179
; %bb.178:
	s_waitcnt lgkmcnt(6)
	v_add_co_u32 v11, vcc_lo, v15, v30
	v_add_co_ci_u32_e32 v12, vcc_lo, 0, v17, vcc_lo
.LBB598_179:
	s_or_b32 exec_lo, exec_lo, s3
	s_waitcnt lgkmcnt(6)
	s_delay_alu instid0(VALU_DEP_1) | instskip(NEXT) | instid1(VALU_DEP_1)
	v_lshlrev_b64 v[11:12], 2, v[11:12]
	v_add_co_u32 v11, vcc_lo, s12, v11
	s_delay_alu instid0(VALU_DEP_2) | instskip(SKIP_3) | instid1(SALU_CYCLE_1)
	v_add_co_ci_u32_e32 v12, vcc_lo, s13, v12, vcc_lo
	s_waitcnt lgkmcnt(5)
	global_store_b32 v[11:12], v10, off
	s_or_b32 exec_lo, exec_lo, s1
	s_mov_b32 s1, exec_lo
	v_cmpx_gt_u32_e64 s11, v29
	s_cbranch_execnz .LBB598_145
.LBB598_180:
	s_or_b32 exec_lo, exec_lo, s1
	s_delay_alu instid0(SALU_CYCLE_1)
	s_mov_b32 s1, exec_lo
	v_cmpx_gt_u32_e64 s11, v28
	s_cbranch_execz .LBB598_150
.LBB598_181:
	s_mov_b32 s3, exec_lo
                                        ; implicit-def: $vgpr9_vgpr10
	v_cmpx_ge_u32_e64 v28, v16
	s_xor_b32 s3, exec_lo, s3
	s_cbranch_execz .LBB598_183
; %bb.182:
	s_waitcnt lgkmcnt(4)
	v_xor_b32_e32 v7, 0xfffffaff, v0
                                        ; implicit-def: $vgpr28
	s_delay_alu instid0(VALU_DEP_1) | instskip(SKIP_1) | instid1(VALU_DEP_2)
	v_ashrrev_i32_e32 v10, 31, v7
	v_add_co_u32 v9, vcc_lo, v18, v7
	v_add_co_ci_u32_e32 v10, vcc_lo, v19, v10, vcc_lo
.LBB598_183:
	s_and_not1_saveexec_b32 s3, s3
	s_cbranch_execz .LBB598_185
; %bb.184:
	s_waitcnt lgkmcnt(5)
	v_add_co_u32 v9, vcc_lo, v15, v28
	v_add_co_ci_u32_e32 v10, vcc_lo, 0, v17, vcc_lo
.LBB598_185:
	s_or_b32 exec_lo, exec_lo, s3
	s_waitcnt lgkmcnt(5)
	s_delay_alu instid0(VALU_DEP_1) | instskip(NEXT) | instid1(VALU_DEP_1)
	v_lshlrev_b64 v[9:10], 2, v[9:10]
	v_add_co_u32 v9, vcc_lo, s12, v9
	s_delay_alu instid0(VALU_DEP_2) | instskip(SKIP_3) | instid1(SALU_CYCLE_1)
	v_add_co_ci_u32_e32 v10, vcc_lo, s13, v10, vcc_lo
	s_waitcnt lgkmcnt(4)
	global_store_b32 v[9:10], v8, off
	s_or_b32 exec_lo, exec_lo, s1
	s_mov_b32 s1, exec_lo
	v_cmpx_gt_u32_e64 s11, v27
	s_cbranch_execnz .LBB598_151
.LBB598_186:
	s_or_b32 exec_lo, exec_lo, s1
	s_delay_alu instid0(SALU_CYCLE_1)
	s_mov_b32 s1, exec_lo
	v_cmpx_gt_u32_e64 s11, v26
	s_cbranch_execz .LBB598_156
.LBB598_187:
	s_mov_b32 s3, exec_lo
                                        ; implicit-def: $vgpr7_vgpr8
	v_cmpx_ge_u32_e64 v26, v16
	s_xor_b32 s3, exec_lo, s3
	s_cbranch_execz .LBB598_189
; %bb.188:
	s_waitcnt lgkmcnt(3)
	v_xor_b32_e32 v5, 0xfffff8ff, v0
                                        ; implicit-def: $vgpr26
	s_delay_alu instid0(VALU_DEP_1) | instskip(SKIP_1) | instid1(VALU_DEP_2)
	v_ashrrev_i32_e32 v8, 31, v5
	v_add_co_u32 v7, vcc_lo, v18, v5
	v_add_co_ci_u32_e32 v8, vcc_lo, v19, v8, vcc_lo
.LBB598_189:
	s_and_not1_saveexec_b32 s3, s3
	s_cbranch_execz .LBB598_191
; %bb.190:
	s_waitcnt lgkmcnt(4)
	v_add_co_u32 v7, vcc_lo, v15, v26
	v_add_co_ci_u32_e32 v8, vcc_lo, 0, v17, vcc_lo
.LBB598_191:
	s_or_b32 exec_lo, exec_lo, s3
	s_waitcnt lgkmcnt(4)
	s_delay_alu instid0(VALU_DEP_1) | instskip(NEXT) | instid1(VALU_DEP_1)
	v_lshlrev_b64 v[7:8], 2, v[7:8]
	v_add_co_u32 v7, vcc_lo, s12, v7
	s_delay_alu instid0(VALU_DEP_2) | instskip(SKIP_3) | instid1(SALU_CYCLE_1)
	v_add_co_ci_u32_e32 v8, vcc_lo, s13, v8, vcc_lo
	s_waitcnt lgkmcnt(3)
	global_store_b32 v[7:8], v6, off
	s_or_b32 exec_lo, exec_lo, s1
	s_mov_b32 s1, exec_lo
	v_cmpx_gt_u32_e64 s11, v25
	s_cbranch_execnz .LBB598_157
.LBB598_192:
	s_or_b32 exec_lo, exec_lo, s1
	s_delay_alu instid0(SALU_CYCLE_1)
	s_mov_b32 s1, exec_lo
	v_cmpx_gt_u32_e64 s11, v24
	s_cbranch_execz .LBB598_162
.LBB598_193:
	s_mov_b32 s3, exec_lo
                                        ; implicit-def: $vgpr5_vgpr6
	v_cmpx_ge_u32_e64 v24, v16
	s_xor_b32 s3, exec_lo, s3
	s_cbranch_execz .LBB598_195
; %bb.194:
	s_waitcnt lgkmcnt(2)
	v_xor_b32_e32 v3, 0xfffff6ff, v0
                                        ; implicit-def: $vgpr24
	s_delay_alu instid0(VALU_DEP_1) | instskip(SKIP_1) | instid1(VALU_DEP_2)
	v_ashrrev_i32_e32 v6, 31, v3
	v_add_co_u32 v5, vcc_lo, v18, v3
	v_add_co_ci_u32_e32 v6, vcc_lo, v19, v6, vcc_lo
.LBB598_195:
	s_and_not1_saveexec_b32 s3, s3
	s_cbranch_execz .LBB598_197
; %bb.196:
	s_waitcnt lgkmcnt(3)
	v_add_co_u32 v5, vcc_lo, v15, v24
	v_add_co_ci_u32_e32 v6, vcc_lo, 0, v17, vcc_lo
.LBB598_197:
	s_or_b32 exec_lo, exec_lo, s3
	s_waitcnt lgkmcnt(3)
	s_delay_alu instid0(VALU_DEP_1) | instskip(NEXT) | instid1(VALU_DEP_1)
	v_lshlrev_b64 v[5:6], 2, v[5:6]
	v_add_co_u32 v5, vcc_lo, s12, v5
	s_delay_alu instid0(VALU_DEP_2) | instskip(SKIP_3) | instid1(SALU_CYCLE_1)
	v_add_co_ci_u32_e32 v6, vcc_lo, s13, v6, vcc_lo
	s_waitcnt lgkmcnt(2)
	global_store_b32 v[5:6], v4, off
	s_or_b32 exec_lo, exec_lo, s1
	s_mov_b32 s1, exec_lo
	v_cmpx_gt_u32_e64 s11, v23
	s_cbranch_execnz .LBB598_163
.LBB598_198:
	s_or_b32 exec_lo, exec_lo, s1
	s_delay_alu instid0(SALU_CYCLE_1)
	s_mov_b32 s1, exec_lo
	v_cmpx_gt_u32_e64 s11, v22
	s_cbranch_execz .LBB598_204
.LBB598_199:
	s_mov_b32 s3, exec_lo
                                        ; implicit-def: $vgpr3_vgpr4
	v_cmpx_ge_u32_e64 v22, v16
	s_xor_b32 s3, exec_lo, s3
	s_cbranch_execz .LBB598_201
; %bb.200:
	s_waitcnt lgkmcnt(1)
	v_xor_b32_e32 v1, 0xfffff4ff, v0
                                        ; implicit-def: $vgpr22
	s_delay_alu instid0(VALU_DEP_1) | instskip(SKIP_1) | instid1(VALU_DEP_2)
	v_ashrrev_i32_e32 v4, 31, v1
	v_add_co_u32 v3, vcc_lo, v18, v1
	v_add_co_ci_u32_e32 v4, vcc_lo, v19, v4, vcc_lo
.LBB598_201:
	s_and_not1_saveexec_b32 s3, s3
	s_cbranch_execz .LBB598_203
; %bb.202:
	s_waitcnt lgkmcnt(2)
	v_add_co_u32 v3, vcc_lo, v15, v22
	v_add_co_ci_u32_e32 v4, vcc_lo, 0, v17, vcc_lo
.LBB598_203:
	s_or_b32 exec_lo, exec_lo, s3
	s_waitcnt lgkmcnt(2)
	s_delay_alu instid0(VALU_DEP_1) | instskip(NEXT) | instid1(VALU_DEP_1)
	v_lshlrev_b64 v[3:4], 2, v[3:4]
	v_add_co_u32 v3, vcc_lo, s12, v3
	s_delay_alu instid0(VALU_DEP_2)
	v_add_co_ci_u32_e32 v4, vcc_lo, s13, v4, vcc_lo
	s_waitcnt lgkmcnt(1)
	global_store_b32 v[3:4], v2, off
.LBB598_204:
	s_or_b32 exec_lo, exec_lo, s1
	s_delay_alu instid0(SALU_CYCLE_1)
	s_mov_b32 s1, exec_lo
                                        ; implicit-def: $vgpr13_vgpr14
	v_cmpx_gt_u32_e64 s11, v21
	s_cbranch_execz .LBB598_210
; %bb.205:
	s_mov_b32 s3, exec_lo
                                        ; implicit-def: $vgpr13_vgpr14
	v_cmpx_ge_u32_e64 v21, v16
	s_xor_b32 s3, exec_lo, s3
	s_cbranch_execz .LBB598_207
; %bb.206:
	v_xor_b32_e32 v0, 0xfffff3ff, v0
                                        ; implicit-def: $vgpr21
	s_waitcnt lgkmcnt(1)
	s_delay_alu instid0(VALU_DEP_1) | instskip(SKIP_1) | instid1(VALU_DEP_2)
	v_ashrrev_i32_e32 v1, 31, v0
	v_add_co_u32 v13, vcc_lo, v18, v0
	v_add_co_ci_u32_e32 v14, vcc_lo, v19, v1, vcc_lo
.LBB598_207:
	s_and_not1_saveexec_b32 s3, s3
; %bb.208:
	v_add_co_u32 v13, vcc_lo, v15, v21
	v_add_co_ci_u32_e32 v14, vcc_lo, 0, v17, vcc_lo
; %bb.209:
	s_or_b32 exec_lo, exec_lo, s3
	s_delay_alu instid0(SALU_CYCLE_1)
	s_or_b32 s0, s0, exec_lo
.LBB598_210:
	s_or_b32 exec_lo, exec_lo, s1
	s_and_saveexec_b32 s1, s0
	s_cbranch_execnz .LBB598_129
.LBB598_211:
	s_or_b32 exec_lo, exec_lo, s1
	s_and_b32 s0, s2, s10
	s_delay_alu instid0(SALU_CYCLE_1)
	s_and_saveexec_b32 s1, s0
	s_cbranch_execz .LBB598_130
.LBB598_212:
	v_add_co_u32 v0, vcc_lo, v15, v16
	s_waitcnt lgkmcnt(1)
	v_mov_b32_e32 v2, 0
	v_add_co_ci_u32_e32 v1, vcc_lo, 0, v17, vcc_lo
	global_store_b64 v2, v[0:1], s[8:9]
	s_nop 0
	s_sendmsg sendmsg(MSG_DEALLOC_VGPRS)
	s_endpgm
	.section	.rodata,"a",@progbits
	.p2align	6, 0x0
	.amdhsa_kernel _ZN7rocprim17ROCPRIM_400000_NS6detail17trampoline_kernelINS0_13select_configILj256ELj13ELNS0_17block_load_methodE3ELS4_3ELS4_3ELNS0_20block_scan_algorithmE0ELj4294967295EEENS1_25partition_config_selectorILNS1_17partition_subalgoE3EjNS0_10empty_typeEbEEZZNS1_14partition_implILS8_3ELb0ES6_jNS0_17counting_iteratorIjlEEPS9_SE_NS0_5tupleIJPjSE_EEENSF_IJSE_SE_EEES9_SG_JZNS1_25segmented_radix_sort_implINS0_14default_configELb0EPKiPiPKlPlN2at6native12_GLOBAL__N_18offset_tEEE10hipError_tPvRmT1_PNSt15iterator_traitsISY_E10value_typeET2_T3_PNSZ_IS14_E10value_typeET4_jRbjT5_S1A_jjP12ihipStream_tbEUljE_EEESV_SW_SX_S14_S18_S1A_T6_T7_T9_mT8_S1C_bDpT10_ENKUlT_T0_E_clISt17integral_constantIbLb0EES1O_IbLb1EEEEDaS1K_S1L_EUlS1K_E_NS1_11comp_targetILNS1_3genE9ELNS1_11target_archE1100ELNS1_3gpuE3ELNS1_3repE0EEENS1_30default_config_static_selectorELNS0_4arch9wavefront6targetE0EEEvSY_
		.amdhsa_group_segment_fixed_size 13324
		.amdhsa_private_segment_fixed_size 0
		.amdhsa_kernarg_size 152
		.amdhsa_user_sgpr_count 15
		.amdhsa_user_sgpr_dispatch_ptr 0
		.amdhsa_user_sgpr_queue_ptr 0
		.amdhsa_user_sgpr_kernarg_segment_ptr 1
		.amdhsa_user_sgpr_dispatch_id 0
		.amdhsa_user_sgpr_private_segment_size 0
		.amdhsa_wavefront_size32 1
		.amdhsa_uses_dynamic_stack 0
		.amdhsa_enable_private_segment 0
		.amdhsa_system_sgpr_workgroup_id_x 1
		.amdhsa_system_sgpr_workgroup_id_y 0
		.amdhsa_system_sgpr_workgroup_id_z 0
		.amdhsa_system_sgpr_workgroup_info 0
		.amdhsa_system_vgpr_workitem_id 0
		.amdhsa_next_free_vgpr 60
		.amdhsa_next_free_sgpr 26
		.amdhsa_reserve_vcc 1
		.amdhsa_float_round_mode_32 0
		.amdhsa_float_round_mode_16_64 0
		.amdhsa_float_denorm_mode_32 3
		.amdhsa_float_denorm_mode_16_64 3
		.amdhsa_dx10_clamp 1
		.amdhsa_ieee_mode 1
		.amdhsa_fp16_overflow 0
		.amdhsa_workgroup_processor_mode 1
		.amdhsa_memory_ordered 1
		.amdhsa_forward_progress 0
		.amdhsa_shared_vgpr_count 0
		.amdhsa_exception_fp_ieee_invalid_op 0
		.amdhsa_exception_fp_denorm_src 0
		.amdhsa_exception_fp_ieee_div_zero 0
		.amdhsa_exception_fp_ieee_overflow 0
		.amdhsa_exception_fp_ieee_underflow 0
		.amdhsa_exception_fp_ieee_inexact 0
		.amdhsa_exception_int_div_zero 0
	.end_amdhsa_kernel
	.section	.text._ZN7rocprim17ROCPRIM_400000_NS6detail17trampoline_kernelINS0_13select_configILj256ELj13ELNS0_17block_load_methodE3ELS4_3ELS4_3ELNS0_20block_scan_algorithmE0ELj4294967295EEENS1_25partition_config_selectorILNS1_17partition_subalgoE3EjNS0_10empty_typeEbEEZZNS1_14partition_implILS8_3ELb0ES6_jNS0_17counting_iteratorIjlEEPS9_SE_NS0_5tupleIJPjSE_EEENSF_IJSE_SE_EEES9_SG_JZNS1_25segmented_radix_sort_implINS0_14default_configELb0EPKiPiPKlPlN2at6native12_GLOBAL__N_18offset_tEEE10hipError_tPvRmT1_PNSt15iterator_traitsISY_E10value_typeET2_T3_PNSZ_IS14_E10value_typeET4_jRbjT5_S1A_jjP12ihipStream_tbEUljE_EEESV_SW_SX_S14_S18_S1A_T6_T7_T9_mT8_S1C_bDpT10_ENKUlT_T0_E_clISt17integral_constantIbLb0EES1O_IbLb1EEEEDaS1K_S1L_EUlS1K_E_NS1_11comp_targetILNS1_3genE9ELNS1_11target_archE1100ELNS1_3gpuE3ELNS1_3repE0EEENS1_30default_config_static_selectorELNS0_4arch9wavefront6targetE0EEEvSY_,"axG",@progbits,_ZN7rocprim17ROCPRIM_400000_NS6detail17trampoline_kernelINS0_13select_configILj256ELj13ELNS0_17block_load_methodE3ELS4_3ELS4_3ELNS0_20block_scan_algorithmE0ELj4294967295EEENS1_25partition_config_selectorILNS1_17partition_subalgoE3EjNS0_10empty_typeEbEEZZNS1_14partition_implILS8_3ELb0ES6_jNS0_17counting_iteratorIjlEEPS9_SE_NS0_5tupleIJPjSE_EEENSF_IJSE_SE_EEES9_SG_JZNS1_25segmented_radix_sort_implINS0_14default_configELb0EPKiPiPKlPlN2at6native12_GLOBAL__N_18offset_tEEE10hipError_tPvRmT1_PNSt15iterator_traitsISY_E10value_typeET2_T3_PNSZ_IS14_E10value_typeET4_jRbjT5_S1A_jjP12ihipStream_tbEUljE_EEESV_SW_SX_S14_S18_S1A_T6_T7_T9_mT8_S1C_bDpT10_ENKUlT_T0_E_clISt17integral_constantIbLb0EES1O_IbLb1EEEEDaS1K_S1L_EUlS1K_E_NS1_11comp_targetILNS1_3genE9ELNS1_11target_archE1100ELNS1_3gpuE3ELNS1_3repE0EEENS1_30default_config_static_selectorELNS0_4arch9wavefront6targetE0EEEvSY_,comdat
.Lfunc_end598:
	.size	_ZN7rocprim17ROCPRIM_400000_NS6detail17trampoline_kernelINS0_13select_configILj256ELj13ELNS0_17block_load_methodE3ELS4_3ELS4_3ELNS0_20block_scan_algorithmE0ELj4294967295EEENS1_25partition_config_selectorILNS1_17partition_subalgoE3EjNS0_10empty_typeEbEEZZNS1_14partition_implILS8_3ELb0ES6_jNS0_17counting_iteratorIjlEEPS9_SE_NS0_5tupleIJPjSE_EEENSF_IJSE_SE_EEES9_SG_JZNS1_25segmented_radix_sort_implINS0_14default_configELb0EPKiPiPKlPlN2at6native12_GLOBAL__N_18offset_tEEE10hipError_tPvRmT1_PNSt15iterator_traitsISY_E10value_typeET2_T3_PNSZ_IS14_E10value_typeET4_jRbjT5_S1A_jjP12ihipStream_tbEUljE_EEESV_SW_SX_S14_S18_S1A_T6_T7_T9_mT8_S1C_bDpT10_ENKUlT_T0_E_clISt17integral_constantIbLb0EES1O_IbLb1EEEEDaS1K_S1L_EUlS1K_E_NS1_11comp_targetILNS1_3genE9ELNS1_11target_archE1100ELNS1_3gpuE3ELNS1_3repE0EEENS1_30default_config_static_selectorELNS0_4arch9wavefront6targetE0EEEvSY_, .Lfunc_end598-_ZN7rocprim17ROCPRIM_400000_NS6detail17trampoline_kernelINS0_13select_configILj256ELj13ELNS0_17block_load_methodE3ELS4_3ELS4_3ELNS0_20block_scan_algorithmE0ELj4294967295EEENS1_25partition_config_selectorILNS1_17partition_subalgoE3EjNS0_10empty_typeEbEEZZNS1_14partition_implILS8_3ELb0ES6_jNS0_17counting_iteratorIjlEEPS9_SE_NS0_5tupleIJPjSE_EEENSF_IJSE_SE_EEES9_SG_JZNS1_25segmented_radix_sort_implINS0_14default_configELb0EPKiPiPKlPlN2at6native12_GLOBAL__N_18offset_tEEE10hipError_tPvRmT1_PNSt15iterator_traitsISY_E10value_typeET2_T3_PNSZ_IS14_E10value_typeET4_jRbjT5_S1A_jjP12ihipStream_tbEUljE_EEESV_SW_SX_S14_S18_S1A_T6_T7_T9_mT8_S1C_bDpT10_ENKUlT_T0_E_clISt17integral_constantIbLb0EES1O_IbLb1EEEEDaS1K_S1L_EUlS1K_E_NS1_11comp_targetILNS1_3genE9ELNS1_11target_archE1100ELNS1_3gpuE3ELNS1_3repE0EEENS1_30default_config_static_selectorELNS0_4arch9wavefront6targetE0EEEvSY_
                                        ; -- End function
	.section	.AMDGPU.csdata,"",@progbits
; Kernel info:
; codeLenInByte = 9040
; NumSgprs: 28
; NumVgprs: 60
; ScratchSize: 0
; MemoryBound: 0
; FloatMode: 240
; IeeeMode: 1
; LDSByteSize: 13324 bytes/workgroup (compile time only)
; SGPRBlocks: 3
; VGPRBlocks: 7
; NumSGPRsForWavesPerEU: 28
; NumVGPRsForWavesPerEU: 60
; Occupancy: 16
; WaveLimiterHint : 0
; COMPUTE_PGM_RSRC2:SCRATCH_EN: 0
; COMPUTE_PGM_RSRC2:USER_SGPR: 15
; COMPUTE_PGM_RSRC2:TRAP_HANDLER: 0
; COMPUTE_PGM_RSRC2:TGID_X_EN: 1
; COMPUTE_PGM_RSRC2:TGID_Y_EN: 0
; COMPUTE_PGM_RSRC2:TGID_Z_EN: 0
; COMPUTE_PGM_RSRC2:TIDIG_COMP_CNT: 0
	.section	.text._ZN7rocprim17ROCPRIM_400000_NS6detail17trampoline_kernelINS0_13select_configILj256ELj13ELNS0_17block_load_methodE3ELS4_3ELS4_3ELNS0_20block_scan_algorithmE0ELj4294967295EEENS1_25partition_config_selectorILNS1_17partition_subalgoE3EjNS0_10empty_typeEbEEZZNS1_14partition_implILS8_3ELb0ES6_jNS0_17counting_iteratorIjlEEPS9_SE_NS0_5tupleIJPjSE_EEENSF_IJSE_SE_EEES9_SG_JZNS1_25segmented_radix_sort_implINS0_14default_configELb0EPKiPiPKlPlN2at6native12_GLOBAL__N_18offset_tEEE10hipError_tPvRmT1_PNSt15iterator_traitsISY_E10value_typeET2_T3_PNSZ_IS14_E10value_typeET4_jRbjT5_S1A_jjP12ihipStream_tbEUljE_EEESV_SW_SX_S14_S18_S1A_T6_T7_T9_mT8_S1C_bDpT10_ENKUlT_T0_E_clISt17integral_constantIbLb0EES1O_IbLb1EEEEDaS1K_S1L_EUlS1K_E_NS1_11comp_targetILNS1_3genE8ELNS1_11target_archE1030ELNS1_3gpuE2ELNS1_3repE0EEENS1_30default_config_static_selectorELNS0_4arch9wavefront6targetE0EEEvSY_,"axG",@progbits,_ZN7rocprim17ROCPRIM_400000_NS6detail17trampoline_kernelINS0_13select_configILj256ELj13ELNS0_17block_load_methodE3ELS4_3ELS4_3ELNS0_20block_scan_algorithmE0ELj4294967295EEENS1_25partition_config_selectorILNS1_17partition_subalgoE3EjNS0_10empty_typeEbEEZZNS1_14partition_implILS8_3ELb0ES6_jNS0_17counting_iteratorIjlEEPS9_SE_NS0_5tupleIJPjSE_EEENSF_IJSE_SE_EEES9_SG_JZNS1_25segmented_radix_sort_implINS0_14default_configELb0EPKiPiPKlPlN2at6native12_GLOBAL__N_18offset_tEEE10hipError_tPvRmT1_PNSt15iterator_traitsISY_E10value_typeET2_T3_PNSZ_IS14_E10value_typeET4_jRbjT5_S1A_jjP12ihipStream_tbEUljE_EEESV_SW_SX_S14_S18_S1A_T6_T7_T9_mT8_S1C_bDpT10_ENKUlT_T0_E_clISt17integral_constantIbLb0EES1O_IbLb1EEEEDaS1K_S1L_EUlS1K_E_NS1_11comp_targetILNS1_3genE8ELNS1_11target_archE1030ELNS1_3gpuE2ELNS1_3repE0EEENS1_30default_config_static_selectorELNS0_4arch9wavefront6targetE0EEEvSY_,comdat
	.globl	_ZN7rocprim17ROCPRIM_400000_NS6detail17trampoline_kernelINS0_13select_configILj256ELj13ELNS0_17block_load_methodE3ELS4_3ELS4_3ELNS0_20block_scan_algorithmE0ELj4294967295EEENS1_25partition_config_selectorILNS1_17partition_subalgoE3EjNS0_10empty_typeEbEEZZNS1_14partition_implILS8_3ELb0ES6_jNS0_17counting_iteratorIjlEEPS9_SE_NS0_5tupleIJPjSE_EEENSF_IJSE_SE_EEES9_SG_JZNS1_25segmented_radix_sort_implINS0_14default_configELb0EPKiPiPKlPlN2at6native12_GLOBAL__N_18offset_tEEE10hipError_tPvRmT1_PNSt15iterator_traitsISY_E10value_typeET2_T3_PNSZ_IS14_E10value_typeET4_jRbjT5_S1A_jjP12ihipStream_tbEUljE_EEESV_SW_SX_S14_S18_S1A_T6_T7_T9_mT8_S1C_bDpT10_ENKUlT_T0_E_clISt17integral_constantIbLb0EES1O_IbLb1EEEEDaS1K_S1L_EUlS1K_E_NS1_11comp_targetILNS1_3genE8ELNS1_11target_archE1030ELNS1_3gpuE2ELNS1_3repE0EEENS1_30default_config_static_selectorELNS0_4arch9wavefront6targetE0EEEvSY_ ; -- Begin function _ZN7rocprim17ROCPRIM_400000_NS6detail17trampoline_kernelINS0_13select_configILj256ELj13ELNS0_17block_load_methodE3ELS4_3ELS4_3ELNS0_20block_scan_algorithmE0ELj4294967295EEENS1_25partition_config_selectorILNS1_17partition_subalgoE3EjNS0_10empty_typeEbEEZZNS1_14partition_implILS8_3ELb0ES6_jNS0_17counting_iteratorIjlEEPS9_SE_NS0_5tupleIJPjSE_EEENSF_IJSE_SE_EEES9_SG_JZNS1_25segmented_radix_sort_implINS0_14default_configELb0EPKiPiPKlPlN2at6native12_GLOBAL__N_18offset_tEEE10hipError_tPvRmT1_PNSt15iterator_traitsISY_E10value_typeET2_T3_PNSZ_IS14_E10value_typeET4_jRbjT5_S1A_jjP12ihipStream_tbEUljE_EEESV_SW_SX_S14_S18_S1A_T6_T7_T9_mT8_S1C_bDpT10_ENKUlT_T0_E_clISt17integral_constantIbLb0EES1O_IbLb1EEEEDaS1K_S1L_EUlS1K_E_NS1_11comp_targetILNS1_3genE8ELNS1_11target_archE1030ELNS1_3gpuE2ELNS1_3repE0EEENS1_30default_config_static_selectorELNS0_4arch9wavefront6targetE0EEEvSY_
	.p2align	8
	.type	_ZN7rocprim17ROCPRIM_400000_NS6detail17trampoline_kernelINS0_13select_configILj256ELj13ELNS0_17block_load_methodE3ELS4_3ELS4_3ELNS0_20block_scan_algorithmE0ELj4294967295EEENS1_25partition_config_selectorILNS1_17partition_subalgoE3EjNS0_10empty_typeEbEEZZNS1_14partition_implILS8_3ELb0ES6_jNS0_17counting_iteratorIjlEEPS9_SE_NS0_5tupleIJPjSE_EEENSF_IJSE_SE_EEES9_SG_JZNS1_25segmented_radix_sort_implINS0_14default_configELb0EPKiPiPKlPlN2at6native12_GLOBAL__N_18offset_tEEE10hipError_tPvRmT1_PNSt15iterator_traitsISY_E10value_typeET2_T3_PNSZ_IS14_E10value_typeET4_jRbjT5_S1A_jjP12ihipStream_tbEUljE_EEESV_SW_SX_S14_S18_S1A_T6_T7_T9_mT8_S1C_bDpT10_ENKUlT_T0_E_clISt17integral_constantIbLb0EES1O_IbLb1EEEEDaS1K_S1L_EUlS1K_E_NS1_11comp_targetILNS1_3genE8ELNS1_11target_archE1030ELNS1_3gpuE2ELNS1_3repE0EEENS1_30default_config_static_selectorELNS0_4arch9wavefront6targetE0EEEvSY_,@function
_ZN7rocprim17ROCPRIM_400000_NS6detail17trampoline_kernelINS0_13select_configILj256ELj13ELNS0_17block_load_methodE3ELS4_3ELS4_3ELNS0_20block_scan_algorithmE0ELj4294967295EEENS1_25partition_config_selectorILNS1_17partition_subalgoE3EjNS0_10empty_typeEbEEZZNS1_14partition_implILS8_3ELb0ES6_jNS0_17counting_iteratorIjlEEPS9_SE_NS0_5tupleIJPjSE_EEENSF_IJSE_SE_EEES9_SG_JZNS1_25segmented_radix_sort_implINS0_14default_configELb0EPKiPiPKlPlN2at6native12_GLOBAL__N_18offset_tEEE10hipError_tPvRmT1_PNSt15iterator_traitsISY_E10value_typeET2_T3_PNSZ_IS14_E10value_typeET4_jRbjT5_S1A_jjP12ihipStream_tbEUljE_EEESV_SW_SX_S14_S18_S1A_T6_T7_T9_mT8_S1C_bDpT10_ENKUlT_T0_E_clISt17integral_constantIbLb0EES1O_IbLb1EEEEDaS1K_S1L_EUlS1K_E_NS1_11comp_targetILNS1_3genE8ELNS1_11target_archE1030ELNS1_3gpuE2ELNS1_3repE0EEENS1_30default_config_static_selectorELNS0_4arch9wavefront6targetE0EEEvSY_: ; @_ZN7rocprim17ROCPRIM_400000_NS6detail17trampoline_kernelINS0_13select_configILj256ELj13ELNS0_17block_load_methodE3ELS4_3ELS4_3ELNS0_20block_scan_algorithmE0ELj4294967295EEENS1_25partition_config_selectorILNS1_17partition_subalgoE3EjNS0_10empty_typeEbEEZZNS1_14partition_implILS8_3ELb0ES6_jNS0_17counting_iteratorIjlEEPS9_SE_NS0_5tupleIJPjSE_EEENSF_IJSE_SE_EEES9_SG_JZNS1_25segmented_radix_sort_implINS0_14default_configELb0EPKiPiPKlPlN2at6native12_GLOBAL__N_18offset_tEEE10hipError_tPvRmT1_PNSt15iterator_traitsISY_E10value_typeET2_T3_PNSZ_IS14_E10value_typeET4_jRbjT5_S1A_jjP12ihipStream_tbEUljE_EEESV_SW_SX_S14_S18_S1A_T6_T7_T9_mT8_S1C_bDpT10_ENKUlT_T0_E_clISt17integral_constantIbLb0EES1O_IbLb1EEEEDaS1K_S1L_EUlS1K_E_NS1_11comp_targetILNS1_3genE8ELNS1_11target_archE1030ELNS1_3gpuE2ELNS1_3repE0EEENS1_30default_config_static_selectorELNS0_4arch9wavefront6targetE0EEEvSY_
; %bb.0:
	.section	.rodata,"a",@progbits
	.p2align	6, 0x0
	.amdhsa_kernel _ZN7rocprim17ROCPRIM_400000_NS6detail17trampoline_kernelINS0_13select_configILj256ELj13ELNS0_17block_load_methodE3ELS4_3ELS4_3ELNS0_20block_scan_algorithmE0ELj4294967295EEENS1_25partition_config_selectorILNS1_17partition_subalgoE3EjNS0_10empty_typeEbEEZZNS1_14partition_implILS8_3ELb0ES6_jNS0_17counting_iteratorIjlEEPS9_SE_NS0_5tupleIJPjSE_EEENSF_IJSE_SE_EEES9_SG_JZNS1_25segmented_radix_sort_implINS0_14default_configELb0EPKiPiPKlPlN2at6native12_GLOBAL__N_18offset_tEEE10hipError_tPvRmT1_PNSt15iterator_traitsISY_E10value_typeET2_T3_PNSZ_IS14_E10value_typeET4_jRbjT5_S1A_jjP12ihipStream_tbEUljE_EEESV_SW_SX_S14_S18_S1A_T6_T7_T9_mT8_S1C_bDpT10_ENKUlT_T0_E_clISt17integral_constantIbLb0EES1O_IbLb1EEEEDaS1K_S1L_EUlS1K_E_NS1_11comp_targetILNS1_3genE8ELNS1_11target_archE1030ELNS1_3gpuE2ELNS1_3repE0EEENS1_30default_config_static_selectorELNS0_4arch9wavefront6targetE0EEEvSY_
		.amdhsa_group_segment_fixed_size 0
		.amdhsa_private_segment_fixed_size 0
		.amdhsa_kernarg_size 152
		.amdhsa_user_sgpr_count 15
		.amdhsa_user_sgpr_dispatch_ptr 0
		.amdhsa_user_sgpr_queue_ptr 0
		.amdhsa_user_sgpr_kernarg_segment_ptr 1
		.amdhsa_user_sgpr_dispatch_id 0
		.amdhsa_user_sgpr_private_segment_size 0
		.amdhsa_wavefront_size32 1
		.amdhsa_uses_dynamic_stack 0
		.amdhsa_enable_private_segment 0
		.amdhsa_system_sgpr_workgroup_id_x 1
		.amdhsa_system_sgpr_workgroup_id_y 0
		.amdhsa_system_sgpr_workgroup_id_z 0
		.amdhsa_system_sgpr_workgroup_info 0
		.amdhsa_system_vgpr_workitem_id 0
		.amdhsa_next_free_vgpr 1
		.amdhsa_next_free_sgpr 1
		.amdhsa_reserve_vcc 0
		.amdhsa_float_round_mode_32 0
		.amdhsa_float_round_mode_16_64 0
		.amdhsa_float_denorm_mode_32 3
		.amdhsa_float_denorm_mode_16_64 3
		.amdhsa_dx10_clamp 1
		.amdhsa_ieee_mode 1
		.amdhsa_fp16_overflow 0
		.amdhsa_workgroup_processor_mode 1
		.amdhsa_memory_ordered 1
		.amdhsa_forward_progress 0
		.amdhsa_shared_vgpr_count 0
		.amdhsa_exception_fp_ieee_invalid_op 0
		.amdhsa_exception_fp_denorm_src 0
		.amdhsa_exception_fp_ieee_div_zero 0
		.amdhsa_exception_fp_ieee_overflow 0
		.amdhsa_exception_fp_ieee_underflow 0
		.amdhsa_exception_fp_ieee_inexact 0
		.amdhsa_exception_int_div_zero 0
	.end_amdhsa_kernel
	.section	.text._ZN7rocprim17ROCPRIM_400000_NS6detail17trampoline_kernelINS0_13select_configILj256ELj13ELNS0_17block_load_methodE3ELS4_3ELS4_3ELNS0_20block_scan_algorithmE0ELj4294967295EEENS1_25partition_config_selectorILNS1_17partition_subalgoE3EjNS0_10empty_typeEbEEZZNS1_14partition_implILS8_3ELb0ES6_jNS0_17counting_iteratorIjlEEPS9_SE_NS0_5tupleIJPjSE_EEENSF_IJSE_SE_EEES9_SG_JZNS1_25segmented_radix_sort_implINS0_14default_configELb0EPKiPiPKlPlN2at6native12_GLOBAL__N_18offset_tEEE10hipError_tPvRmT1_PNSt15iterator_traitsISY_E10value_typeET2_T3_PNSZ_IS14_E10value_typeET4_jRbjT5_S1A_jjP12ihipStream_tbEUljE_EEESV_SW_SX_S14_S18_S1A_T6_T7_T9_mT8_S1C_bDpT10_ENKUlT_T0_E_clISt17integral_constantIbLb0EES1O_IbLb1EEEEDaS1K_S1L_EUlS1K_E_NS1_11comp_targetILNS1_3genE8ELNS1_11target_archE1030ELNS1_3gpuE2ELNS1_3repE0EEENS1_30default_config_static_selectorELNS0_4arch9wavefront6targetE0EEEvSY_,"axG",@progbits,_ZN7rocprim17ROCPRIM_400000_NS6detail17trampoline_kernelINS0_13select_configILj256ELj13ELNS0_17block_load_methodE3ELS4_3ELS4_3ELNS0_20block_scan_algorithmE0ELj4294967295EEENS1_25partition_config_selectorILNS1_17partition_subalgoE3EjNS0_10empty_typeEbEEZZNS1_14partition_implILS8_3ELb0ES6_jNS0_17counting_iteratorIjlEEPS9_SE_NS0_5tupleIJPjSE_EEENSF_IJSE_SE_EEES9_SG_JZNS1_25segmented_radix_sort_implINS0_14default_configELb0EPKiPiPKlPlN2at6native12_GLOBAL__N_18offset_tEEE10hipError_tPvRmT1_PNSt15iterator_traitsISY_E10value_typeET2_T3_PNSZ_IS14_E10value_typeET4_jRbjT5_S1A_jjP12ihipStream_tbEUljE_EEESV_SW_SX_S14_S18_S1A_T6_T7_T9_mT8_S1C_bDpT10_ENKUlT_T0_E_clISt17integral_constantIbLb0EES1O_IbLb1EEEEDaS1K_S1L_EUlS1K_E_NS1_11comp_targetILNS1_3genE8ELNS1_11target_archE1030ELNS1_3gpuE2ELNS1_3repE0EEENS1_30default_config_static_selectorELNS0_4arch9wavefront6targetE0EEEvSY_,comdat
.Lfunc_end599:
	.size	_ZN7rocprim17ROCPRIM_400000_NS6detail17trampoline_kernelINS0_13select_configILj256ELj13ELNS0_17block_load_methodE3ELS4_3ELS4_3ELNS0_20block_scan_algorithmE0ELj4294967295EEENS1_25partition_config_selectorILNS1_17partition_subalgoE3EjNS0_10empty_typeEbEEZZNS1_14partition_implILS8_3ELb0ES6_jNS0_17counting_iteratorIjlEEPS9_SE_NS0_5tupleIJPjSE_EEENSF_IJSE_SE_EEES9_SG_JZNS1_25segmented_radix_sort_implINS0_14default_configELb0EPKiPiPKlPlN2at6native12_GLOBAL__N_18offset_tEEE10hipError_tPvRmT1_PNSt15iterator_traitsISY_E10value_typeET2_T3_PNSZ_IS14_E10value_typeET4_jRbjT5_S1A_jjP12ihipStream_tbEUljE_EEESV_SW_SX_S14_S18_S1A_T6_T7_T9_mT8_S1C_bDpT10_ENKUlT_T0_E_clISt17integral_constantIbLb0EES1O_IbLb1EEEEDaS1K_S1L_EUlS1K_E_NS1_11comp_targetILNS1_3genE8ELNS1_11target_archE1030ELNS1_3gpuE2ELNS1_3repE0EEENS1_30default_config_static_selectorELNS0_4arch9wavefront6targetE0EEEvSY_, .Lfunc_end599-_ZN7rocprim17ROCPRIM_400000_NS6detail17trampoline_kernelINS0_13select_configILj256ELj13ELNS0_17block_load_methodE3ELS4_3ELS4_3ELNS0_20block_scan_algorithmE0ELj4294967295EEENS1_25partition_config_selectorILNS1_17partition_subalgoE3EjNS0_10empty_typeEbEEZZNS1_14partition_implILS8_3ELb0ES6_jNS0_17counting_iteratorIjlEEPS9_SE_NS0_5tupleIJPjSE_EEENSF_IJSE_SE_EEES9_SG_JZNS1_25segmented_radix_sort_implINS0_14default_configELb0EPKiPiPKlPlN2at6native12_GLOBAL__N_18offset_tEEE10hipError_tPvRmT1_PNSt15iterator_traitsISY_E10value_typeET2_T3_PNSZ_IS14_E10value_typeET4_jRbjT5_S1A_jjP12ihipStream_tbEUljE_EEESV_SW_SX_S14_S18_S1A_T6_T7_T9_mT8_S1C_bDpT10_ENKUlT_T0_E_clISt17integral_constantIbLb0EES1O_IbLb1EEEEDaS1K_S1L_EUlS1K_E_NS1_11comp_targetILNS1_3genE8ELNS1_11target_archE1030ELNS1_3gpuE2ELNS1_3repE0EEENS1_30default_config_static_selectorELNS0_4arch9wavefront6targetE0EEEvSY_
                                        ; -- End function
	.section	.AMDGPU.csdata,"",@progbits
; Kernel info:
; codeLenInByte = 0
; NumSgprs: 0
; NumVgprs: 0
; ScratchSize: 0
; MemoryBound: 0
; FloatMode: 240
; IeeeMode: 1
; LDSByteSize: 0 bytes/workgroup (compile time only)
; SGPRBlocks: 0
; VGPRBlocks: 0
; NumSGPRsForWavesPerEU: 1
; NumVGPRsForWavesPerEU: 1
; Occupancy: 16
; WaveLimiterHint : 0
; COMPUTE_PGM_RSRC2:SCRATCH_EN: 0
; COMPUTE_PGM_RSRC2:USER_SGPR: 15
; COMPUTE_PGM_RSRC2:TRAP_HANDLER: 0
; COMPUTE_PGM_RSRC2:TGID_X_EN: 1
; COMPUTE_PGM_RSRC2:TGID_Y_EN: 0
; COMPUTE_PGM_RSRC2:TGID_Z_EN: 0
; COMPUTE_PGM_RSRC2:TIDIG_COMP_CNT: 0
	.section	.text._ZN7rocprim17ROCPRIM_400000_NS6detail17trampoline_kernelINS0_14default_configENS1_36segmented_radix_sort_config_selectorIilEEZNS1_25segmented_radix_sort_implIS3_Lb0EPKiPiPKlPlN2at6native12_GLOBAL__N_18offset_tEEE10hipError_tPvRmT1_PNSt15iterator_traitsISK_E10value_typeET2_T3_PNSL_ISQ_E10value_typeET4_jRbjT5_SW_jjP12ihipStream_tbEUlT_E_NS1_11comp_targetILNS1_3genE0ELNS1_11target_archE4294967295ELNS1_3gpuE0ELNS1_3repE0EEENS1_30default_config_static_selectorELNS0_4arch9wavefront6targetE0EEEvSK_,"axG",@progbits,_ZN7rocprim17ROCPRIM_400000_NS6detail17trampoline_kernelINS0_14default_configENS1_36segmented_radix_sort_config_selectorIilEEZNS1_25segmented_radix_sort_implIS3_Lb0EPKiPiPKlPlN2at6native12_GLOBAL__N_18offset_tEEE10hipError_tPvRmT1_PNSt15iterator_traitsISK_E10value_typeET2_T3_PNSL_ISQ_E10value_typeET4_jRbjT5_SW_jjP12ihipStream_tbEUlT_E_NS1_11comp_targetILNS1_3genE0ELNS1_11target_archE4294967295ELNS1_3gpuE0ELNS1_3repE0EEENS1_30default_config_static_selectorELNS0_4arch9wavefront6targetE0EEEvSK_,comdat
	.globl	_ZN7rocprim17ROCPRIM_400000_NS6detail17trampoline_kernelINS0_14default_configENS1_36segmented_radix_sort_config_selectorIilEEZNS1_25segmented_radix_sort_implIS3_Lb0EPKiPiPKlPlN2at6native12_GLOBAL__N_18offset_tEEE10hipError_tPvRmT1_PNSt15iterator_traitsISK_E10value_typeET2_T3_PNSL_ISQ_E10value_typeET4_jRbjT5_SW_jjP12ihipStream_tbEUlT_E_NS1_11comp_targetILNS1_3genE0ELNS1_11target_archE4294967295ELNS1_3gpuE0ELNS1_3repE0EEENS1_30default_config_static_selectorELNS0_4arch9wavefront6targetE0EEEvSK_ ; -- Begin function _ZN7rocprim17ROCPRIM_400000_NS6detail17trampoline_kernelINS0_14default_configENS1_36segmented_radix_sort_config_selectorIilEEZNS1_25segmented_radix_sort_implIS3_Lb0EPKiPiPKlPlN2at6native12_GLOBAL__N_18offset_tEEE10hipError_tPvRmT1_PNSt15iterator_traitsISK_E10value_typeET2_T3_PNSL_ISQ_E10value_typeET4_jRbjT5_SW_jjP12ihipStream_tbEUlT_E_NS1_11comp_targetILNS1_3genE0ELNS1_11target_archE4294967295ELNS1_3gpuE0ELNS1_3repE0EEENS1_30default_config_static_selectorELNS0_4arch9wavefront6targetE0EEEvSK_
	.p2align	8
	.type	_ZN7rocprim17ROCPRIM_400000_NS6detail17trampoline_kernelINS0_14default_configENS1_36segmented_radix_sort_config_selectorIilEEZNS1_25segmented_radix_sort_implIS3_Lb0EPKiPiPKlPlN2at6native12_GLOBAL__N_18offset_tEEE10hipError_tPvRmT1_PNSt15iterator_traitsISK_E10value_typeET2_T3_PNSL_ISQ_E10value_typeET4_jRbjT5_SW_jjP12ihipStream_tbEUlT_E_NS1_11comp_targetILNS1_3genE0ELNS1_11target_archE4294967295ELNS1_3gpuE0ELNS1_3repE0EEENS1_30default_config_static_selectorELNS0_4arch9wavefront6targetE0EEEvSK_,@function
_ZN7rocprim17ROCPRIM_400000_NS6detail17trampoline_kernelINS0_14default_configENS1_36segmented_radix_sort_config_selectorIilEEZNS1_25segmented_radix_sort_implIS3_Lb0EPKiPiPKlPlN2at6native12_GLOBAL__N_18offset_tEEE10hipError_tPvRmT1_PNSt15iterator_traitsISK_E10value_typeET2_T3_PNSL_ISQ_E10value_typeET4_jRbjT5_SW_jjP12ihipStream_tbEUlT_E_NS1_11comp_targetILNS1_3genE0ELNS1_11target_archE4294967295ELNS1_3gpuE0ELNS1_3repE0EEENS1_30default_config_static_selectorELNS0_4arch9wavefront6targetE0EEEvSK_: ; @_ZN7rocprim17ROCPRIM_400000_NS6detail17trampoline_kernelINS0_14default_configENS1_36segmented_radix_sort_config_selectorIilEEZNS1_25segmented_radix_sort_implIS3_Lb0EPKiPiPKlPlN2at6native12_GLOBAL__N_18offset_tEEE10hipError_tPvRmT1_PNSt15iterator_traitsISK_E10value_typeET2_T3_PNSL_ISQ_E10value_typeET4_jRbjT5_SW_jjP12ihipStream_tbEUlT_E_NS1_11comp_targetILNS1_3genE0ELNS1_11target_archE4294967295ELNS1_3gpuE0ELNS1_3repE0EEENS1_30default_config_static_selectorELNS0_4arch9wavefront6targetE0EEEvSK_
; %bb.0:
	.section	.rodata,"a",@progbits
	.p2align	6, 0x0
	.amdhsa_kernel _ZN7rocprim17ROCPRIM_400000_NS6detail17trampoline_kernelINS0_14default_configENS1_36segmented_radix_sort_config_selectorIilEEZNS1_25segmented_radix_sort_implIS3_Lb0EPKiPiPKlPlN2at6native12_GLOBAL__N_18offset_tEEE10hipError_tPvRmT1_PNSt15iterator_traitsISK_E10value_typeET2_T3_PNSL_ISQ_E10value_typeET4_jRbjT5_SW_jjP12ihipStream_tbEUlT_E_NS1_11comp_targetILNS1_3genE0ELNS1_11target_archE4294967295ELNS1_3gpuE0ELNS1_3repE0EEENS1_30default_config_static_selectorELNS0_4arch9wavefront6targetE0EEEvSK_
		.amdhsa_group_segment_fixed_size 0
		.amdhsa_private_segment_fixed_size 0
		.amdhsa_kernarg_size 96
		.amdhsa_user_sgpr_count 15
		.amdhsa_user_sgpr_dispatch_ptr 0
		.amdhsa_user_sgpr_queue_ptr 0
		.amdhsa_user_sgpr_kernarg_segment_ptr 1
		.amdhsa_user_sgpr_dispatch_id 0
		.amdhsa_user_sgpr_private_segment_size 0
		.amdhsa_wavefront_size32 1
		.amdhsa_uses_dynamic_stack 0
		.amdhsa_enable_private_segment 0
		.amdhsa_system_sgpr_workgroup_id_x 1
		.amdhsa_system_sgpr_workgroup_id_y 0
		.amdhsa_system_sgpr_workgroup_id_z 0
		.amdhsa_system_sgpr_workgroup_info 0
		.amdhsa_system_vgpr_workitem_id 0
		.amdhsa_next_free_vgpr 1
		.amdhsa_next_free_sgpr 1
		.amdhsa_reserve_vcc 0
		.amdhsa_float_round_mode_32 0
		.amdhsa_float_round_mode_16_64 0
		.amdhsa_float_denorm_mode_32 3
		.amdhsa_float_denorm_mode_16_64 3
		.amdhsa_dx10_clamp 1
		.amdhsa_ieee_mode 1
		.amdhsa_fp16_overflow 0
		.amdhsa_workgroup_processor_mode 1
		.amdhsa_memory_ordered 1
		.amdhsa_forward_progress 0
		.amdhsa_shared_vgpr_count 0
		.amdhsa_exception_fp_ieee_invalid_op 0
		.amdhsa_exception_fp_denorm_src 0
		.amdhsa_exception_fp_ieee_div_zero 0
		.amdhsa_exception_fp_ieee_overflow 0
		.amdhsa_exception_fp_ieee_underflow 0
		.amdhsa_exception_fp_ieee_inexact 0
		.amdhsa_exception_int_div_zero 0
	.end_amdhsa_kernel
	.section	.text._ZN7rocprim17ROCPRIM_400000_NS6detail17trampoline_kernelINS0_14default_configENS1_36segmented_radix_sort_config_selectorIilEEZNS1_25segmented_radix_sort_implIS3_Lb0EPKiPiPKlPlN2at6native12_GLOBAL__N_18offset_tEEE10hipError_tPvRmT1_PNSt15iterator_traitsISK_E10value_typeET2_T3_PNSL_ISQ_E10value_typeET4_jRbjT5_SW_jjP12ihipStream_tbEUlT_E_NS1_11comp_targetILNS1_3genE0ELNS1_11target_archE4294967295ELNS1_3gpuE0ELNS1_3repE0EEENS1_30default_config_static_selectorELNS0_4arch9wavefront6targetE0EEEvSK_,"axG",@progbits,_ZN7rocprim17ROCPRIM_400000_NS6detail17trampoline_kernelINS0_14default_configENS1_36segmented_radix_sort_config_selectorIilEEZNS1_25segmented_radix_sort_implIS3_Lb0EPKiPiPKlPlN2at6native12_GLOBAL__N_18offset_tEEE10hipError_tPvRmT1_PNSt15iterator_traitsISK_E10value_typeET2_T3_PNSL_ISQ_E10value_typeET4_jRbjT5_SW_jjP12ihipStream_tbEUlT_E_NS1_11comp_targetILNS1_3genE0ELNS1_11target_archE4294967295ELNS1_3gpuE0ELNS1_3repE0EEENS1_30default_config_static_selectorELNS0_4arch9wavefront6targetE0EEEvSK_,comdat
.Lfunc_end600:
	.size	_ZN7rocprim17ROCPRIM_400000_NS6detail17trampoline_kernelINS0_14default_configENS1_36segmented_radix_sort_config_selectorIilEEZNS1_25segmented_radix_sort_implIS3_Lb0EPKiPiPKlPlN2at6native12_GLOBAL__N_18offset_tEEE10hipError_tPvRmT1_PNSt15iterator_traitsISK_E10value_typeET2_T3_PNSL_ISQ_E10value_typeET4_jRbjT5_SW_jjP12ihipStream_tbEUlT_E_NS1_11comp_targetILNS1_3genE0ELNS1_11target_archE4294967295ELNS1_3gpuE0ELNS1_3repE0EEENS1_30default_config_static_selectorELNS0_4arch9wavefront6targetE0EEEvSK_, .Lfunc_end600-_ZN7rocprim17ROCPRIM_400000_NS6detail17trampoline_kernelINS0_14default_configENS1_36segmented_radix_sort_config_selectorIilEEZNS1_25segmented_radix_sort_implIS3_Lb0EPKiPiPKlPlN2at6native12_GLOBAL__N_18offset_tEEE10hipError_tPvRmT1_PNSt15iterator_traitsISK_E10value_typeET2_T3_PNSL_ISQ_E10value_typeET4_jRbjT5_SW_jjP12ihipStream_tbEUlT_E_NS1_11comp_targetILNS1_3genE0ELNS1_11target_archE4294967295ELNS1_3gpuE0ELNS1_3repE0EEENS1_30default_config_static_selectorELNS0_4arch9wavefront6targetE0EEEvSK_
                                        ; -- End function
	.section	.AMDGPU.csdata,"",@progbits
; Kernel info:
; codeLenInByte = 0
; NumSgprs: 0
; NumVgprs: 0
; ScratchSize: 0
; MemoryBound: 0
; FloatMode: 240
; IeeeMode: 1
; LDSByteSize: 0 bytes/workgroup (compile time only)
; SGPRBlocks: 0
; VGPRBlocks: 0
; NumSGPRsForWavesPerEU: 1
; NumVGPRsForWavesPerEU: 1
; Occupancy: 16
; WaveLimiterHint : 0
; COMPUTE_PGM_RSRC2:SCRATCH_EN: 0
; COMPUTE_PGM_RSRC2:USER_SGPR: 15
; COMPUTE_PGM_RSRC2:TRAP_HANDLER: 0
; COMPUTE_PGM_RSRC2:TGID_X_EN: 1
; COMPUTE_PGM_RSRC2:TGID_Y_EN: 0
; COMPUTE_PGM_RSRC2:TGID_Z_EN: 0
; COMPUTE_PGM_RSRC2:TIDIG_COMP_CNT: 0
	.section	.text._ZN7rocprim17ROCPRIM_400000_NS6detail17trampoline_kernelINS0_14default_configENS1_36segmented_radix_sort_config_selectorIilEEZNS1_25segmented_radix_sort_implIS3_Lb0EPKiPiPKlPlN2at6native12_GLOBAL__N_18offset_tEEE10hipError_tPvRmT1_PNSt15iterator_traitsISK_E10value_typeET2_T3_PNSL_ISQ_E10value_typeET4_jRbjT5_SW_jjP12ihipStream_tbEUlT_E_NS1_11comp_targetILNS1_3genE5ELNS1_11target_archE942ELNS1_3gpuE9ELNS1_3repE0EEENS1_30default_config_static_selectorELNS0_4arch9wavefront6targetE0EEEvSK_,"axG",@progbits,_ZN7rocprim17ROCPRIM_400000_NS6detail17trampoline_kernelINS0_14default_configENS1_36segmented_radix_sort_config_selectorIilEEZNS1_25segmented_radix_sort_implIS3_Lb0EPKiPiPKlPlN2at6native12_GLOBAL__N_18offset_tEEE10hipError_tPvRmT1_PNSt15iterator_traitsISK_E10value_typeET2_T3_PNSL_ISQ_E10value_typeET4_jRbjT5_SW_jjP12ihipStream_tbEUlT_E_NS1_11comp_targetILNS1_3genE5ELNS1_11target_archE942ELNS1_3gpuE9ELNS1_3repE0EEENS1_30default_config_static_selectorELNS0_4arch9wavefront6targetE0EEEvSK_,comdat
	.globl	_ZN7rocprim17ROCPRIM_400000_NS6detail17trampoline_kernelINS0_14default_configENS1_36segmented_radix_sort_config_selectorIilEEZNS1_25segmented_radix_sort_implIS3_Lb0EPKiPiPKlPlN2at6native12_GLOBAL__N_18offset_tEEE10hipError_tPvRmT1_PNSt15iterator_traitsISK_E10value_typeET2_T3_PNSL_ISQ_E10value_typeET4_jRbjT5_SW_jjP12ihipStream_tbEUlT_E_NS1_11comp_targetILNS1_3genE5ELNS1_11target_archE942ELNS1_3gpuE9ELNS1_3repE0EEENS1_30default_config_static_selectorELNS0_4arch9wavefront6targetE0EEEvSK_ ; -- Begin function _ZN7rocprim17ROCPRIM_400000_NS6detail17trampoline_kernelINS0_14default_configENS1_36segmented_radix_sort_config_selectorIilEEZNS1_25segmented_radix_sort_implIS3_Lb0EPKiPiPKlPlN2at6native12_GLOBAL__N_18offset_tEEE10hipError_tPvRmT1_PNSt15iterator_traitsISK_E10value_typeET2_T3_PNSL_ISQ_E10value_typeET4_jRbjT5_SW_jjP12ihipStream_tbEUlT_E_NS1_11comp_targetILNS1_3genE5ELNS1_11target_archE942ELNS1_3gpuE9ELNS1_3repE0EEENS1_30default_config_static_selectorELNS0_4arch9wavefront6targetE0EEEvSK_
	.p2align	8
	.type	_ZN7rocprim17ROCPRIM_400000_NS6detail17trampoline_kernelINS0_14default_configENS1_36segmented_radix_sort_config_selectorIilEEZNS1_25segmented_radix_sort_implIS3_Lb0EPKiPiPKlPlN2at6native12_GLOBAL__N_18offset_tEEE10hipError_tPvRmT1_PNSt15iterator_traitsISK_E10value_typeET2_T3_PNSL_ISQ_E10value_typeET4_jRbjT5_SW_jjP12ihipStream_tbEUlT_E_NS1_11comp_targetILNS1_3genE5ELNS1_11target_archE942ELNS1_3gpuE9ELNS1_3repE0EEENS1_30default_config_static_selectorELNS0_4arch9wavefront6targetE0EEEvSK_,@function
_ZN7rocprim17ROCPRIM_400000_NS6detail17trampoline_kernelINS0_14default_configENS1_36segmented_radix_sort_config_selectorIilEEZNS1_25segmented_radix_sort_implIS3_Lb0EPKiPiPKlPlN2at6native12_GLOBAL__N_18offset_tEEE10hipError_tPvRmT1_PNSt15iterator_traitsISK_E10value_typeET2_T3_PNSL_ISQ_E10value_typeET4_jRbjT5_SW_jjP12ihipStream_tbEUlT_E_NS1_11comp_targetILNS1_3genE5ELNS1_11target_archE942ELNS1_3gpuE9ELNS1_3repE0EEENS1_30default_config_static_selectorELNS0_4arch9wavefront6targetE0EEEvSK_: ; @_ZN7rocprim17ROCPRIM_400000_NS6detail17trampoline_kernelINS0_14default_configENS1_36segmented_radix_sort_config_selectorIilEEZNS1_25segmented_radix_sort_implIS3_Lb0EPKiPiPKlPlN2at6native12_GLOBAL__N_18offset_tEEE10hipError_tPvRmT1_PNSt15iterator_traitsISK_E10value_typeET2_T3_PNSL_ISQ_E10value_typeET4_jRbjT5_SW_jjP12ihipStream_tbEUlT_E_NS1_11comp_targetILNS1_3genE5ELNS1_11target_archE942ELNS1_3gpuE9ELNS1_3repE0EEENS1_30default_config_static_selectorELNS0_4arch9wavefront6targetE0EEEvSK_
; %bb.0:
	.section	.rodata,"a",@progbits
	.p2align	6, 0x0
	.amdhsa_kernel _ZN7rocprim17ROCPRIM_400000_NS6detail17trampoline_kernelINS0_14default_configENS1_36segmented_radix_sort_config_selectorIilEEZNS1_25segmented_radix_sort_implIS3_Lb0EPKiPiPKlPlN2at6native12_GLOBAL__N_18offset_tEEE10hipError_tPvRmT1_PNSt15iterator_traitsISK_E10value_typeET2_T3_PNSL_ISQ_E10value_typeET4_jRbjT5_SW_jjP12ihipStream_tbEUlT_E_NS1_11comp_targetILNS1_3genE5ELNS1_11target_archE942ELNS1_3gpuE9ELNS1_3repE0EEENS1_30default_config_static_selectorELNS0_4arch9wavefront6targetE0EEEvSK_
		.amdhsa_group_segment_fixed_size 0
		.amdhsa_private_segment_fixed_size 0
		.amdhsa_kernarg_size 96
		.amdhsa_user_sgpr_count 15
		.amdhsa_user_sgpr_dispatch_ptr 0
		.amdhsa_user_sgpr_queue_ptr 0
		.amdhsa_user_sgpr_kernarg_segment_ptr 1
		.amdhsa_user_sgpr_dispatch_id 0
		.amdhsa_user_sgpr_private_segment_size 0
		.amdhsa_wavefront_size32 1
		.amdhsa_uses_dynamic_stack 0
		.amdhsa_enable_private_segment 0
		.amdhsa_system_sgpr_workgroup_id_x 1
		.amdhsa_system_sgpr_workgroup_id_y 0
		.amdhsa_system_sgpr_workgroup_id_z 0
		.amdhsa_system_sgpr_workgroup_info 0
		.amdhsa_system_vgpr_workitem_id 0
		.amdhsa_next_free_vgpr 1
		.amdhsa_next_free_sgpr 1
		.amdhsa_reserve_vcc 0
		.amdhsa_float_round_mode_32 0
		.amdhsa_float_round_mode_16_64 0
		.amdhsa_float_denorm_mode_32 3
		.amdhsa_float_denorm_mode_16_64 3
		.amdhsa_dx10_clamp 1
		.amdhsa_ieee_mode 1
		.amdhsa_fp16_overflow 0
		.amdhsa_workgroup_processor_mode 1
		.amdhsa_memory_ordered 1
		.amdhsa_forward_progress 0
		.amdhsa_shared_vgpr_count 0
		.amdhsa_exception_fp_ieee_invalid_op 0
		.amdhsa_exception_fp_denorm_src 0
		.amdhsa_exception_fp_ieee_div_zero 0
		.amdhsa_exception_fp_ieee_overflow 0
		.amdhsa_exception_fp_ieee_underflow 0
		.amdhsa_exception_fp_ieee_inexact 0
		.amdhsa_exception_int_div_zero 0
	.end_amdhsa_kernel
	.section	.text._ZN7rocprim17ROCPRIM_400000_NS6detail17trampoline_kernelINS0_14default_configENS1_36segmented_radix_sort_config_selectorIilEEZNS1_25segmented_radix_sort_implIS3_Lb0EPKiPiPKlPlN2at6native12_GLOBAL__N_18offset_tEEE10hipError_tPvRmT1_PNSt15iterator_traitsISK_E10value_typeET2_T3_PNSL_ISQ_E10value_typeET4_jRbjT5_SW_jjP12ihipStream_tbEUlT_E_NS1_11comp_targetILNS1_3genE5ELNS1_11target_archE942ELNS1_3gpuE9ELNS1_3repE0EEENS1_30default_config_static_selectorELNS0_4arch9wavefront6targetE0EEEvSK_,"axG",@progbits,_ZN7rocprim17ROCPRIM_400000_NS6detail17trampoline_kernelINS0_14default_configENS1_36segmented_radix_sort_config_selectorIilEEZNS1_25segmented_radix_sort_implIS3_Lb0EPKiPiPKlPlN2at6native12_GLOBAL__N_18offset_tEEE10hipError_tPvRmT1_PNSt15iterator_traitsISK_E10value_typeET2_T3_PNSL_ISQ_E10value_typeET4_jRbjT5_SW_jjP12ihipStream_tbEUlT_E_NS1_11comp_targetILNS1_3genE5ELNS1_11target_archE942ELNS1_3gpuE9ELNS1_3repE0EEENS1_30default_config_static_selectorELNS0_4arch9wavefront6targetE0EEEvSK_,comdat
.Lfunc_end601:
	.size	_ZN7rocprim17ROCPRIM_400000_NS6detail17trampoline_kernelINS0_14default_configENS1_36segmented_radix_sort_config_selectorIilEEZNS1_25segmented_radix_sort_implIS3_Lb0EPKiPiPKlPlN2at6native12_GLOBAL__N_18offset_tEEE10hipError_tPvRmT1_PNSt15iterator_traitsISK_E10value_typeET2_T3_PNSL_ISQ_E10value_typeET4_jRbjT5_SW_jjP12ihipStream_tbEUlT_E_NS1_11comp_targetILNS1_3genE5ELNS1_11target_archE942ELNS1_3gpuE9ELNS1_3repE0EEENS1_30default_config_static_selectorELNS0_4arch9wavefront6targetE0EEEvSK_, .Lfunc_end601-_ZN7rocprim17ROCPRIM_400000_NS6detail17trampoline_kernelINS0_14default_configENS1_36segmented_radix_sort_config_selectorIilEEZNS1_25segmented_radix_sort_implIS3_Lb0EPKiPiPKlPlN2at6native12_GLOBAL__N_18offset_tEEE10hipError_tPvRmT1_PNSt15iterator_traitsISK_E10value_typeET2_T3_PNSL_ISQ_E10value_typeET4_jRbjT5_SW_jjP12ihipStream_tbEUlT_E_NS1_11comp_targetILNS1_3genE5ELNS1_11target_archE942ELNS1_3gpuE9ELNS1_3repE0EEENS1_30default_config_static_selectorELNS0_4arch9wavefront6targetE0EEEvSK_
                                        ; -- End function
	.section	.AMDGPU.csdata,"",@progbits
; Kernel info:
; codeLenInByte = 0
; NumSgprs: 0
; NumVgprs: 0
; ScratchSize: 0
; MemoryBound: 0
; FloatMode: 240
; IeeeMode: 1
; LDSByteSize: 0 bytes/workgroup (compile time only)
; SGPRBlocks: 0
; VGPRBlocks: 0
; NumSGPRsForWavesPerEU: 1
; NumVGPRsForWavesPerEU: 1
; Occupancy: 16
; WaveLimiterHint : 0
; COMPUTE_PGM_RSRC2:SCRATCH_EN: 0
; COMPUTE_PGM_RSRC2:USER_SGPR: 15
; COMPUTE_PGM_RSRC2:TRAP_HANDLER: 0
; COMPUTE_PGM_RSRC2:TGID_X_EN: 1
; COMPUTE_PGM_RSRC2:TGID_Y_EN: 0
; COMPUTE_PGM_RSRC2:TGID_Z_EN: 0
; COMPUTE_PGM_RSRC2:TIDIG_COMP_CNT: 0
	.section	.text._ZN7rocprim17ROCPRIM_400000_NS6detail17trampoline_kernelINS0_14default_configENS1_36segmented_radix_sort_config_selectorIilEEZNS1_25segmented_radix_sort_implIS3_Lb0EPKiPiPKlPlN2at6native12_GLOBAL__N_18offset_tEEE10hipError_tPvRmT1_PNSt15iterator_traitsISK_E10value_typeET2_T3_PNSL_ISQ_E10value_typeET4_jRbjT5_SW_jjP12ihipStream_tbEUlT_E_NS1_11comp_targetILNS1_3genE4ELNS1_11target_archE910ELNS1_3gpuE8ELNS1_3repE0EEENS1_30default_config_static_selectorELNS0_4arch9wavefront6targetE0EEEvSK_,"axG",@progbits,_ZN7rocprim17ROCPRIM_400000_NS6detail17trampoline_kernelINS0_14default_configENS1_36segmented_radix_sort_config_selectorIilEEZNS1_25segmented_radix_sort_implIS3_Lb0EPKiPiPKlPlN2at6native12_GLOBAL__N_18offset_tEEE10hipError_tPvRmT1_PNSt15iterator_traitsISK_E10value_typeET2_T3_PNSL_ISQ_E10value_typeET4_jRbjT5_SW_jjP12ihipStream_tbEUlT_E_NS1_11comp_targetILNS1_3genE4ELNS1_11target_archE910ELNS1_3gpuE8ELNS1_3repE0EEENS1_30default_config_static_selectorELNS0_4arch9wavefront6targetE0EEEvSK_,comdat
	.globl	_ZN7rocprim17ROCPRIM_400000_NS6detail17trampoline_kernelINS0_14default_configENS1_36segmented_radix_sort_config_selectorIilEEZNS1_25segmented_radix_sort_implIS3_Lb0EPKiPiPKlPlN2at6native12_GLOBAL__N_18offset_tEEE10hipError_tPvRmT1_PNSt15iterator_traitsISK_E10value_typeET2_T3_PNSL_ISQ_E10value_typeET4_jRbjT5_SW_jjP12ihipStream_tbEUlT_E_NS1_11comp_targetILNS1_3genE4ELNS1_11target_archE910ELNS1_3gpuE8ELNS1_3repE0EEENS1_30default_config_static_selectorELNS0_4arch9wavefront6targetE0EEEvSK_ ; -- Begin function _ZN7rocprim17ROCPRIM_400000_NS6detail17trampoline_kernelINS0_14default_configENS1_36segmented_radix_sort_config_selectorIilEEZNS1_25segmented_radix_sort_implIS3_Lb0EPKiPiPKlPlN2at6native12_GLOBAL__N_18offset_tEEE10hipError_tPvRmT1_PNSt15iterator_traitsISK_E10value_typeET2_T3_PNSL_ISQ_E10value_typeET4_jRbjT5_SW_jjP12ihipStream_tbEUlT_E_NS1_11comp_targetILNS1_3genE4ELNS1_11target_archE910ELNS1_3gpuE8ELNS1_3repE0EEENS1_30default_config_static_selectorELNS0_4arch9wavefront6targetE0EEEvSK_
	.p2align	8
	.type	_ZN7rocprim17ROCPRIM_400000_NS6detail17trampoline_kernelINS0_14default_configENS1_36segmented_radix_sort_config_selectorIilEEZNS1_25segmented_radix_sort_implIS3_Lb0EPKiPiPKlPlN2at6native12_GLOBAL__N_18offset_tEEE10hipError_tPvRmT1_PNSt15iterator_traitsISK_E10value_typeET2_T3_PNSL_ISQ_E10value_typeET4_jRbjT5_SW_jjP12ihipStream_tbEUlT_E_NS1_11comp_targetILNS1_3genE4ELNS1_11target_archE910ELNS1_3gpuE8ELNS1_3repE0EEENS1_30default_config_static_selectorELNS0_4arch9wavefront6targetE0EEEvSK_,@function
_ZN7rocprim17ROCPRIM_400000_NS6detail17trampoline_kernelINS0_14default_configENS1_36segmented_radix_sort_config_selectorIilEEZNS1_25segmented_radix_sort_implIS3_Lb0EPKiPiPKlPlN2at6native12_GLOBAL__N_18offset_tEEE10hipError_tPvRmT1_PNSt15iterator_traitsISK_E10value_typeET2_T3_PNSL_ISQ_E10value_typeET4_jRbjT5_SW_jjP12ihipStream_tbEUlT_E_NS1_11comp_targetILNS1_3genE4ELNS1_11target_archE910ELNS1_3gpuE8ELNS1_3repE0EEENS1_30default_config_static_selectorELNS0_4arch9wavefront6targetE0EEEvSK_: ; @_ZN7rocprim17ROCPRIM_400000_NS6detail17trampoline_kernelINS0_14default_configENS1_36segmented_radix_sort_config_selectorIilEEZNS1_25segmented_radix_sort_implIS3_Lb0EPKiPiPKlPlN2at6native12_GLOBAL__N_18offset_tEEE10hipError_tPvRmT1_PNSt15iterator_traitsISK_E10value_typeET2_T3_PNSL_ISQ_E10value_typeET4_jRbjT5_SW_jjP12ihipStream_tbEUlT_E_NS1_11comp_targetILNS1_3genE4ELNS1_11target_archE910ELNS1_3gpuE8ELNS1_3repE0EEENS1_30default_config_static_selectorELNS0_4arch9wavefront6targetE0EEEvSK_
; %bb.0:
	.section	.rodata,"a",@progbits
	.p2align	6, 0x0
	.amdhsa_kernel _ZN7rocprim17ROCPRIM_400000_NS6detail17trampoline_kernelINS0_14default_configENS1_36segmented_radix_sort_config_selectorIilEEZNS1_25segmented_radix_sort_implIS3_Lb0EPKiPiPKlPlN2at6native12_GLOBAL__N_18offset_tEEE10hipError_tPvRmT1_PNSt15iterator_traitsISK_E10value_typeET2_T3_PNSL_ISQ_E10value_typeET4_jRbjT5_SW_jjP12ihipStream_tbEUlT_E_NS1_11comp_targetILNS1_3genE4ELNS1_11target_archE910ELNS1_3gpuE8ELNS1_3repE0EEENS1_30default_config_static_selectorELNS0_4arch9wavefront6targetE0EEEvSK_
		.amdhsa_group_segment_fixed_size 0
		.amdhsa_private_segment_fixed_size 0
		.amdhsa_kernarg_size 96
		.amdhsa_user_sgpr_count 15
		.amdhsa_user_sgpr_dispatch_ptr 0
		.amdhsa_user_sgpr_queue_ptr 0
		.amdhsa_user_sgpr_kernarg_segment_ptr 1
		.amdhsa_user_sgpr_dispatch_id 0
		.amdhsa_user_sgpr_private_segment_size 0
		.amdhsa_wavefront_size32 1
		.amdhsa_uses_dynamic_stack 0
		.amdhsa_enable_private_segment 0
		.amdhsa_system_sgpr_workgroup_id_x 1
		.amdhsa_system_sgpr_workgroup_id_y 0
		.amdhsa_system_sgpr_workgroup_id_z 0
		.amdhsa_system_sgpr_workgroup_info 0
		.amdhsa_system_vgpr_workitem_id 0
		.amdhsa_next_free_vgpr 1
		.amdhsa_next_free_sgpr 1
		.amdhsa_reserve_vcc 0
		.amdhsa_float_round_mode_32 0
		.amdhsa_float_round_mode_16_64 0
		.amdhsa_float_denorm_mode_32 3
		.amdhsa_float_denorm_mode_16_64 3
		.amdhsa_dx10_clamp 1
		.amdhsa_ieee_mode 1
		.amdhsa_fp16_overflow 0
		.amdhsa_workgroup_processor_mode 1
		.amdhsa_memory_ordered 1
		.amdhsa_forward_progress 0
		.amdhsa_shared_vgpr_count 0
		.amdhsa_exception_fp_ieee_invalid_op 0
		.amdhsa_exception_fp_denorm_src 0
		.amdhsa_exception_fp_ieee_div_zero 0
		.amdhsa_exception_fp_ieee_overflow 0
		.amdhsa_exception_fp_ieee_underflow 0
		.amdhsa_exception_fp_ieee_inexact 0
		.amdhsa_exception_int_div_zero 0
	.end_amdhsa_kernel
	.section	.text._ZN7rocprim17ROCPRIM_400000_NS6detail17trampoline_kernelINS0_14default_configENS1_36segmented_radix_sort_config_selectorIilEEZNS1_25segmented_radix_sort_implIS3_Lb0EPKiPiPKlPlN2at6native12_GLOBAL__N_18offset_tEEE10hipError_tPvRmT1_PNSt15iterator_traitsISK_E10value_typeET2_T3_PNSL_ISQ_E10value_typeET4_jRbjT5_SW_jjP12ihipStream_tbEUlT_E_NS1_11comp_targetILNS1_3genE4ELNS1_11target_archE910ELNS1_3gpuE8ELNS1_3repE0EEENS1_30default_config_static_selectorELNS0_4arch9wavefront6targetE0EEEvSK_,"axG",@progbits,_ZN7rocprim17ROCPRIM_400000_NS6detail17trampoline_kernelINS0_14default_configENS1_36segmented_radix_sort_config_selectorIilEEZNS1_25segmented_radix_sort_implIS3_Lb0EPKiPiPKlPlN2at6native12_GLOBAL__N_18offset_tEEE10hipError_tPvRmT1_PNSt15iterator_traitsISK_E10value_typeET2_T3_PNSL_ISQ_E10value_typeET4_jRbjT5_SW_jjP12ihipStream_tbEUlT_E_NS1_11comp_targetILNS1_3genE4ELNS1_11target_archE910ELNS1_3gpuE8ELNS1_3repE0EEENS1_30default_config_static_selectorELNS0_4arch9wavefront6targetE0EEEvSK_,comdat
.Lfunc_end602:
	.size	_ZN7rocprim17ROCPRIM_400000_NS6detail17trampoline_kernelINS0_14default_configENS1_36segmented_radix_sort_config_selectorIilEEZNS1_25segmented_radix_sort_implIS3_Lb0EPKiPiPKlPlN2at6native12_GLOBAL__N_18offset_tEEE10hipError_tPvRmT1_PNSt15iterator_traitsISK_E10value_typeET2_T3_PNSL_ISQ_E10value_typeET4_jRbjT5_SW_jjP12ihipStream_tbEUlT_E_NS1_11comp_targetILNS1_3genE4ELNS1_11target_archE910ELNS1_3gpuE8ELNS1_3repE0EEENS1_30default_config_static_selectorELNS0_4arch9wavefront6targetE0EEEvSK_, .Lfunc_end602-_ZN7rocprim17ROCPRIM_400000_NS6detail17trampoline_kernelINS0_14default_configENS1_36segmented_radix_sort_config_selectorIilEEZNS1_25segmented_radix_sort_implIS3_Lb0EPKiPiPKlPlN2at6native12_GLOBAL__N_18offset_tEEE10hipError_tPvRmT1_PNSt15iterator_traitsISK_E10value_typeET2_T3_PNSL_ISQ_E10value_typeET4_jRbjT5_SW_jjP12ihipStream_tbEUlT_E_NS1_11comp_targetILNS1_3genE4ELNS1_11target_archE910ELNS1_3gpuE8ELNS1_3repE0EEENS1_30default_config_static_selectorELNS0_4arch9wavefront6targetE0EEEvSK_
                                        ; -- End function
	.section	.AMDGPU.csdata,"",@progbits
; Kernel info:
; codeLenInByte = 0
; NumSgprs: 0
; NumVgprs: 0
; ScratchSize: 0
; MemoryBound: 0
; FloatMode: 240
; IeeeMode: 1
; LDSByteSize: 0 bytes/workgroup (compile time only)
; SGPRBlocks: 0
; VGPRBlocks: 0
; NumSGPRsForWavesPerEU: 1
; NumVGPRsForWavesPerEU: 1
; Occupancy: 16
; WaveLimiterHint : 0
; COMPUTE_PGM_RSRC2:SCRATCH_EN: 0
; COMPUTE_PGM_RSRC2:USER_SGPR: 15
; COMPUTE_PGM_RSRC2:TRAP_HANDLER: 0
; COMPUTE_PGM_RSRC2:TGID_X_EN: 1
; COMPUTE_PGM_RSRC2:TGID_Y_EN: 0
; COMPUTE_PGM_RSRC2:TGID_Z_EN: 0
; COMPUTE_PGM_RSRC2:TIDIG_COMP_CNT: 0
	.section	.text._ZN7rocprim17ROCPRIM_400000_NS6detail17trampoline_kernelINS0_14default_configENS1_36segmented_radix_sort_config_selectorIilEEZNS1_25segmented_radix_sort_implIS3_Lb0EPKiPiPKlPlN2at6native12_GLOBAL__N_18offset_tEEE10hipError_tPvRmT1_PNSt15iterator_traitsISK_E10value_typeET2_T3_PNSL_ISQ_E10value_typeET4_jRbjT5_SW_jjP12ihipStream_tbEUlT_E_NS1_11comp_targetILNS1_3genE3ELNS1_11target_archE908ELNS1_3gpuE7ELNS1_3repE0EEENS1_30default_config_static_selectorELNS0_4arch9wavefront6targetE0EEEvSK_,"axG",@progbits,_ZN7rocprim17ROCPRIM_400000_NS6detail17trampoline_kernelINS0_14default_configENS1_36segmented_radix_sort_config_selectorIilEEZNS1_25segmented_radix_sort_implIS3_Lb0EPKiPiPKlPlN2at6native12_GLOBAL__N_18offset_tEEE10hipError_tPvRmT1_PNSt15iterator_traitsISK_E10value_typeET2_T3_PNSL_ISQ_E10value_typeET4_jRbjT5_SW_jjP12ihipStream_tbEUlT_E_NS1_11comp_targetILNS1_3genE3ELNS1_11target_archE908ELNS1_3gpuE7ELNS1_3repE0EEENS1_30default_config_static_selectorELNS0_4arch9wavefront6targetE0EEEvSK_,comdat
	.globl	_ZN7rocprim17ROCPRIM_400000_NS6detail17trampoline_kernelINS0_14default_configENS1_36segmented_radix_sort_config_selectorIilEEZNS1_25segmented_radix_sort_implIS3_Lb0EPKiPiPKlPlN2at6native12_GLOBAL__N_18offset_tEEE10hipError_tPvRmT1_PNSt15iterator_traitsISK_E10value_typeET2_T3_PNSL_ISQ_E10value_typeET4_jRbjT5_SW_jjP12ihipStream_tbEUlT_E_NS1_11comp_targetILNS1_3genE3ELNS1_11target_archE908ELNS1_3gpuE7ELNS1_3repE0EEENS1_30default_config_static_selectorELNS0_4arch9wavefront6targetE0EEEvSK_ ; -- Begin function _ZN7rocprim17ROCPRIM_400000_NS6detail17trampoline_kernelINS0_14default_configENS1_36segmented_radix_sort_config_selectorIilEEZNS1_25segmented_radix_sort_implIS3_Lb0EPKiPiPKlPlN2at6native12_GLOBAL__N_18offset_tEEE10hipError_tPvRmT1_PNSt15iterator_traitsISK_E10value_typeET2_T3_PNSL_ISQ_E10value_typeET4_jRbjT5_SW_jjP12ihipStream_tbEUlT_E_NS1_11comp_targetILNS1_3genE3ELNS1_11target_archE908ELNS1_3gpuE7ELNS1_3repE0EEENS1_30default_config_static_selectorELNS0_4arch9wavefront6targetE0EEEvSK_
	.p2align	8
	.type	_ZN7rocprim17ROCPRIM_400000_NS6detail17trampoline_kernelINS0_14default_configENS1_36segmented_radix_sort_config_selectorIilEEZNS1_25segmented_radix_sort_implIS3_Lb0EPKiPiPKlPlN2at6native12_GLOBAL__N_18offset_tEEE10hipError_tPvRmT1_PNSt15iterator_traitsISK_E10value_typeET2_T3_PNSL_ISQ_E10value_typeET4_jRbjT5_SW_jjP12ihipStream_tbEUlT_E_NS1_11comp_targetILNS1_3genE3ELNS1_11target_archE908ELNS1_3gpuE7ELNS1_3repE0EEENS1_30default_config_static_selectorELNS0_4arch9wavefront6targetE0EEEvSK_,@function
_ZN7rocprim17ROCPRIM_400000_NS6detail17trampoline_kernelINS0_14default_configENS1_36segmented_radix_sort_config_selectorIilEEZNS1_25segmented_radix_sort_implIS3_Lb0EPKiPiPKlPlN2at6native12_GLOBAL__N_18offset_tEEE10hipError_tPvRmT1_PNSt15iterator_traitsISK_E10value_typeET2_T3_PNSL_ISQ_E10value_typeET4_jRbjT5_SW_jjP12ihipStream_tbEUlT_E_NS1_11comp_targetILNS1_3genE3ELNS1_11target_archE908ELNS1_3gpuE7ELNS1_3repE0EEENS1_30default_config_static_selectorELNS0_4arch9wavefront6targetE0EEEvSK_: ; @_ZN7rocprim17ROCPRIM_400000_NS6detail17trampoline_kernelINS0_14default_configENS1_36segmented_radix_sort_config_selectorIilEEZNS1_25segmented_radix_sort_implIS3_Lb0EPKiPiPKlPlN2at6native12_GLOBAL__N_18offset_tEEE10hipError_tPvRmT1_PNSt15iterator_traitsISK_E10value_typeET2_T3_PNSL_ISQ_E10value_typeET4_jRbjT5_SW_jjP12ihipStream_tbEUlT_E_NS1_11comp_targetILNS1_3genE3ELNS1_11target_archE908ELNS1_3gpuE7ELNS1_3repE0EEENS1_30default_config_static_selectorELNS0_4arch9wavefront6targetE0EEEvSK_
; %bb.0:
	.section	.rodata,"a",@progbits
	.p2align	6, 0x0
	.amdhsa_kernel _ZN7rocprim17ROCPRIM_400000_NS6detail17trampoline_kernelINS0_14default_configENS1_36segmented_radix_sort_config_selectorIilEEZNS1_25segmented_radix_sort_implIS3_Lb0EPKiPiPKlPlN2at6native12_GLOBAL__N_18offset_tEEE10hipError_tPvRmT1_PNSt15iterator_traitsISK_E10value_typeET2_T3_PNSL_ISQ_E10value_typeET4_jRbjT5_SW_jjP12ihipStream_tbEUlT_E_NS1_11comp_targetILNS1_3genE3ELNS1_11target_archE908ELNS1_3gpuE7ELNS1_3repE0EEENS1_30default_config_static_selectorELNS0_4arch9wavefront6targetE0EEEvSK_
		.amdhsa_group_segment_fixed_size 0
		.amdhsa_private_segment_fixed_size 0
		.amdhsa_kernarg_size 96
		.amdhsa_user_sgpr_count 15
		.amdhsa_user_sgpr_dispatch_ptr 0
		.amdhsa_user_sgpr_queue_ptr 0
		.amdhsa_user_sgpr_kernarg_segment_ptr 1
		.amdhsa_user_sgpr_dispatch_id 0
		.amdhsa_user_sgpr_private_segment_size 0
		.amdhsa_wavefront_size32 1
		.amdhsa_uses_dynamic_stack 0
		.amdhsa_enable_private_segment 0
		.amdhsa_system_sgpr_workgroup_id_x 1
		.amdhsa_system_sgpr_workgroup_id_y 0
		.amdhsa_system_sgpr_workgroup_id_z 0
		.amdhsa_system_sgpr_workgroup_info 0
		.amdhsa_system_vgpr_workitem_id 0
		.amdhsa_next_free_vgpr 1
		.amdhsa_next_free_sgpr 1
		.amdhsa_reserve_vcc 0
		.amdhsa_float_round_mode_32 0
		.amdhsa_float_round_mode_16_64 0
		.amdhsa_float_denorm_mode_32 3
		.amdhsa_float_denorm_mode_16_64 3
		.amdhsa_dx10_clamp 1
		.amdhsa_ieee_mode 1
		.amdhsa_fp16_overflow 0
		.amdhsa_workgroup_processor_mode 1
		.amdhsa_memory_ordered 1
		.amdhsa_forward_progress 0
		.amdhsa_shared_vgpr_count 0
		.amdhsa_exception_fp_ieee_invalid_op 0
		.amdhsa_exception_fp_denorm_src 0
		.amdhsa_exception_fp_ieee_div_zero 0
		.amdhsa_exception_fp_ieee_overflow 0
		.amdhsa_exception_fp_ieee_underflow 0
		.amdhsa_exception_fp_ieee_inexact 0
		.amdhsa_exception_int_div_zero 0
	.end_amdhsa_kernel
	.section	.text._ZN7rocprim17ROCPRIM_400000_NS6detail17trampoline_kernelINS0_14default_configENS1_36segmented_radix_sort_config_selectorIilEEZNS1_25segmented_radix_sort_implIS3_Lb0EPKiPiPKlPlN2at6native12_GLOBAL__N_18offset_tEEE10hipError_tPvRmT1_PNSt15iterator_traitsISK_E10value_typeET2_T3_PNSL_ISQ_E10value_typeET4_jRbjT5_SW_jjP12ihipStream_tbEUlT_E_NS1_11comp_targetILNS1_3genE3ELNS1_11target_archE908ELNS1_3gpuE7ELNS1_3repE0EEENS1_30default_config_static_selectorELNS0_4arch9wavefront6targetE0EEEvSK_,"axG",@progbits,_ZN7rocprim17ROCPRIM_400000_NS6detail17trampoline_kernelINS0_14default_configENS1_36segmented_radix_sort_config_selectorIilEEZNS1_25segmented_radix_sort_implIS3_Lb0EPKiPiPKlPlN2at6native12_GLOBAL__N_18offset_tEEE10hipError_tPvRmT1_PNSt15iterator_traitsISK_E10value_typeET2_T3_PNSL_ISQ_E10value_typeET4_jRbjT5_SW_jjP12ihipStream_tbEUlT_E_NS1_11comp_targetILNS1_3genE3ELNS1_11target_archE908ELNS1_3gpuE7ELNS1_3repE0EEENS1_30default_config_static_selectorELNS0_4arch9wavefront6targetE0EEEvSK_,comdat
.Lfunc_end603:
	.size	_ZN7rocprim17ROCPRIM_400000_NS6detail17trampoline_kernelINS0_14default_configENS1_36segmented_radix_sort_config_selectorIilEEZNS1_25segmented_radix_sort_implIS3_Lb0EPKiPiPKlPlN2at6native12_GLOBAL__N_18offset_tEEE10hipError_tPvRmT1_PNSt15iterator_traitsISK_E10value_typeET2_T3_PNSL_ISQ_E10value_typeET4_jRbjT5_SW_jjP12ihipStream_tbEUlT_E_NS1_11comp_targetILNS1_3genE3ELNS1_11target_archE908ELNS1_3gpuE7ELNS1_3repE0EEENS1_30default_config_static_selectorELNS0_4arch9wavefront6targetE0EEEvSK_, .Lfunc_end603-_ZN7rocprim17ROCPRIM_400000_NS6detail17trampoline_kernelINS0_14default_configENS1_36segmented_radix_sort_config_selectorIilEEZNS1_25segmented_radix_sort_implIS3_Lb0EPKiPiPKlPlN2at6native12_GLOBAL__N_18offset_tEEE10hipError_tPvRmT1_PNSt15iterator_traitsISK_E10value_typeET2_T3_PNSL_ISQ_E10value_typeET4_jRbjT5_SW_jjP12ihipStream_tbEUlT_E_NS1_11comp_targetILNS1_3genE3ELNS1_11target_archE908ELNS1_3gpuE7ELNS1_3repE0EEENS1_30default_config_static_selectorELNS0_4arch9wavefront6targetE0EEEvSK_
                                        ; -- End function
	.section	.AMDGPU.csdata,"",@progbits
; Kernel info:
; codeLenInByte = 0
; NumSgprs: 0
; NumVgprs: 0
; ScratchSize: 0
; MemoryBound: 0
; FloatMode: 240
; IeeeMode: 1
; LDSByteSize: 0 bytes/workgroup (compile time only)
; SGPRBlocks: 0
; VGPRBlocks: 0
; NumSGPRsForWavesPerEU: 1
; NumVGPRsForWavesPerEU: 1
; Occupancy: 16
; WaveLimiterHint : 0
; COMPUTE_PGM_RSRC2:SCRATCH_EN: 0
; COMPUTE_PGM_RSRC2:USER_SGPR: 15
; COMPUTE_PGM_RSRC2:TRAP_HANDLER: 0
; COMPUTE_PGM_RSRC2:TGID_X_EN: 1
; COMPUTE_PGM_RSRC2:TGID_Y_EN: 0
; COMPUTE_PGM_RSRC2:TGID_Z_EN: 0
; COMPUTE_PGM_RSRC2:TIDIG_COMP_CNT: 0
	.section	.text._ZN7rocprim17ROCPRIM_400000_NS6detail17trampoline_kernelINS0_14default_configENS1_36segmented_radix_sort_config_selectorIilEEZNS1_25segmented_radix_sort_implIS3_Lb0EPKiPiPKlPlN2at6native12_GLOBAL__N_18offset_tEEE10hipError_tPvRmT1_PNSt15iterator_traitsISK_E10value_typeET2_T3_PNSL_ISQ_E10value_typeET4_jRbjT5_SW_jjP12ihipStream_tbEUlT_E_NS1_11comp_targetILNS1_3genE2ELNS1_11target_archE906ELNS1_3gpuE6ELNS1_3repE0EEENS1_30default_config_static_selectorELNS0_4arch9wavefront6targetE0EEEvSK_,"axG",@progbits,_ZN7rocprim17ROCPRIM_400000_NS6detail17trampoline_kernelINS0_14default_configENS1_36segmented_radix_sort_config_selectorIilEEZNS1_25segmented_radix_sort_implIS3_Lb0EPKiPiPKlPlN2at6native12_GLOBAL__N_18offset_tEEE10hipError_tPvRmT1_PNSt15iterator_traitsISK_E10value_typeET2_T3_PNSL_ISQ_E10value_typeET4_jRbjT5_SW_jjP12ihipStream_tbEUlT_E_NS1_11comp_targetILNS1_3genE2ELNS1_11target_archE906ELNS1_3gpuE6ELNS1_3repE0EEENS1_30default_config_static_selectorELNS0_4arch9wavefront6targetE0EEEvSK_,comdat
	.globl	_ZN7rocprim17ROCPRIM_400000_NS6detail17trampoline_kernelINS0_14default_configENS1_36segmented_radix_sort_config_selectorIilEEZNS1_25segmented_radix_sort_implIS3_Lb0EPKiPiPKlPlN2at6native12_GLOBAL__N_18offset_tEEE10hipError_tPvRmT1_PNSt15iterator_traitsISK_E10value_typeET2_T3_PNSL_ISQ_E10value_typeET4_jRbjT5_SW_jjP12ihipStream_tbEUlT_E_NS1_11comp_targetILNS1_3genE2ELNS1_11target_archE906ELNS1_3gpuE6ELNS1_3repE0EEENS1_30default_config_static_selectorELNS0_4arch9wavefront6targetE0EEEvSK_ ; -- Begin function _ZN7rocprim17ROCPRIM_400000_NS6detail17trampoline_kernelINS0_14default_configENS1_36segmented_radix_sort_config_selectorIilEEZNS1_25segmented_radix_sort_implIS3_Lb0EPKiPiPKlPlN2at6native12_GLOBAL__N_18offset_tEEE10hipError_tPvRmT1_PNSt15iterator_traitsISK_E10value_typeET2_T3_PNSL_ISQ_E10value_typeET4_jRbjT5_SW_jjP12ihipStream_tbEUlT_E_NS1_11comp_targetILNS1_3genE2ELNS1_11target_archE906ELNS1_3gpuE6ELNS1_3repE0EEENS1_30default_config_static_selectorELNS0_4arch9wavefront6targetE0EEEvSK_
	.p2align	8
	.type	_ZN7rocprim17ROCPRIM_400000_NS6detail17trampoline_kernelINS0_14default_configENS1_36segmented_radix_sort_config_selectorIilEEZNS1_25segmented_radix_sort_implIS3_Lb0EPKiPiPKlPlN2at6native12_GLOBAL__N_18offset_tEEE10hipError_tPvRmT1_PNSt15iterator_traitsISK_E10value_typeET2_T3_PNSL_ISQ_E10value_typeET4_jRbjT5_SW_jjP12ihipStream_tbEUlT_E_NS1_11comp_targetILNS1_3genE2ELNS1_11target_archE906ELNS1_3gpuE6ELNS1_3repE0EEENS1_30default_config_static_selectorELNS0_4arch9wavefront6targetE0EEEvSK_,@function
_ZN7rocprim17ROCPRIM_400000_NS6detail17trampoline_kernelINS0_14default_configENS1_36segmented_radix_sort_config_selectorIilEEZNS1_25segmented_radix_sort_implIS3_Lb0EPKiPiPKlPlN2at6native12_GLOBAL__N_18offset_tEEE10hipError_tPvRmT1_PNSt15iterator_traitsISK_E10value_typeET2_T3_PNSL_ISQ_E10value_typeET4_jRbjT5_SW_jjP12ihipStream_tbEUlT_E_NS1_11comp_targetILNS1_3genE2ELNS1_11target_archE906ELNS1_3gpuE6ELNS1_3repE0EEENS1_30default_config_static_selectorELNS0_4arch9wavefront6targetE0EEEvSK_: ; @_ZN7rocprim17ROCPRIM_400000_NS6detail17trampoline_kernelINS0_14default_configENS1_36segmented_radix_sort_config_selectorIilEEZNS1_25segmented_radix_sort_implIS3_Lb0EPKiPiPKlPlN2at6native12_GLOBAL__N_18offset_tEEE10hipError_tPvRmT1_PNSt15iterator_traitsISK_E10value_typeET2_T3_PNSL_ISQ_E10value_typeET4_jRbjT5_SW_jjP12ihipStream_tbEUlT_E_NS1_11comp_targetILNS1_3genE2ELNS1_11target_archE906ELNS1_3gpuE6ELNS1_3repE0EEENS1_30default_config_static_selectorELNS0_4arch9wavefront6targetE0EEEvSK_
; %bb.0:
	.section	.rodata,"a",@progbits
	.p2align	6, 0x0
	.amdhsa_kernel _ZN7rocprim17ROCPRIM_400000_NS6detail17trampoline_kernelINS0_14default_configENS1_36segmented_radix_sort_config_selectorIilEEZNS1_25segmented_radix_sort_implIS3_Lb0EPKiPiPKlPlN2at6native12_GLOBAL__N_18offset_tEEE10hipError_tPvRmT1_PNSt15iterator_traitsISK_E10value_typeET2_T3_PNSL_ISQ_E10value_typeET4_jRbjT5_SW_jjP12ihipStream_tbEUlT_E_NS1_11comp_targetILNS1_3genE2ELNS1_11target_archE906ELNS1_3gpuE6ELNS1_3repE0EEENS1_30default_config_static_selectorELNS0_4arch9wavefront6targetE0EEEvSK_
		.amdhsa_group_segment_fixed_size 0
		.amdhsa_private_segment_fixed_size 0
		.amdhsa_kernarg_size 96
		.amdhsa_user_sgpr_count 15
		.amdhsa_user_sgpr_dispatch_ptr 0
		.amdhsa_user_sgpr_queue_ptr 0
		.amdhsa_user_sgpr_kernarg_segment_ptr 1
		.amdhsa_user_sgpr_dispatch_id 0
		.amdhsa_user_sgpr_private_segment_size 0
		.amdhsa_wavefront_size32 1
		.amdhsa_uses_dynamic_stack 0
		.amdhsa_enable_private_segment 0
		.amdhsa_system_sgpr_workgroup_id_x 1
		.amdhsa_system_sgpr_workgroup_id_y 0
		.amdhsa_system_sgpr_workgroup_id_z 0
		.amdhsa_system_sgpr_workgroup_info 0
		.amdhsa_system_vgpr_workitem_id 0
		.amdhsa_next_free_vgpr 1
		.amdhsa_next_free_sgpr 1
		.amdhsa_reserve_vcc 0
		.amdhsa_float_round_mode_32 0
		.amdhsa_float_round_mode_16_64 0
		.amdhsa_float_denorm_mode_32 3
		.amdhsa_float_denorm_mode_16_64 3
		.amdhsa_dx10_clamp 1
		.amdhsa_ieee_mode 1
		.amdhsa_fp16_overflow 0
		.amdhsa_workgroup_processor_mode 1
		.amdhsa_memory_ordered 1
		.amdhsa_forward_progress 0
		.amdhsa_shared_vgpr_count 0
		.amdhsa_exception_fp_ieee_invalid_op 0
		.amdhsa_exception_fp_denorm_src 0
		.amdhsa_exception_fp_ieee_div_zero 0
		.amdhsa_exception_fp_ieee_overflow 0
		.amdhsa_exception_fp_ieee_underflow 0
		.amdhsa_exception_fp_ieee_inexact 0
		.amdhsa_exception_int_div_zero 0
	.end_amdhsa_kernel
	.section	.text._ZN7rocprim17ROCPRIM_400000_NS6detail17trampoline_kernelINS0_14default_configENS1_36segmented_radix_sort_config_selectorIilEEZNS1_25segmented_radix_sort_implIS3_Lb0EPKiPiPKlPlN2at6native12_GLOBAL__N_18offset_tEEE10hipError_tPvRmT1_PNSt15iterator_traitsISK_E10value_typeET2_T3_PNSL_ISQ_E10value_typeET4_jRbjT5_SW_jjP12ihipStream_tbEUlT_E_NS1_11comp_targetILNS1_3genE2ELNS1_11target_archE906ELNS1_3gpuE6ELNS1_3repE0EEENS1_30default_config_static_selectorELNS0_4arch9wavefront6targetE0EEEvSK_,"axG",@progbits,_ZN7rocprim17ROCPRIM_400000_NS6detail17trampoline_kernelINS0_14default_configENS1_36segmented_radix_sort_config_selectorIilEEZNS1_25segmented_radix_sort_implIS3_Lb0EPKiPiPKlPlN2at6native12_GLOBAL__N_18offset_tEEE10hipError_tPvRmT1_PNSt15iterator_traitsISK_E10value_typeET2_T3_PNSL_ISQ_E10value_typeET4_jRbjT5_SW_jjP12ihipStream_tbEUlT_E_NS1_11comp_targetILNS1_3genE2ELNS1_11target_archE906ELNS1_3gpuE6ELNS1_3repE0EEENS1_30default_config_static_selectorELNS0_4arch9wavefront6targetE0EEEvSK_,comdat
.Lfunc_end604:
	.size	_ZN7rocprim17ROCPRIM_400000_NS6detail17trampoline_kernelINS0_14default_configENS1_36segmented_radix_sort_config_selectorIilEEZNS1_25segmented_radix_sort_implIS3_Lb0EPKiPiPKlPlN2at6native12_GLOBAL__N_18offset_tEEE10hipError_tPvRmT1_PNSt15iterator_traitsISK_E10value_typeET2_T3_PNSL_ISQ_E10value_typeET4_jRbjT5_SW_jjP12ihipStream_tbEUlT_E_NS1_11comp_targetILNS1_3genE2ELNS1_11target_archE906ELNS1_3gpuE6ELNS1_3repE0EEENS1_30default_config_static_selectorELNS0_4arch9wavefront6targetE0EEEvSK_, .Lfunc_end604-_ZN7rocprim17ROCPRIM_400000_NS6detail17trampoline_kernelINS0_14default_configENS1_36segmented_radix_sort_config_selectorIilEEZNS1_25segmented_radix_sort_implIS3_Lb0EPKiPiPKlPlN2at6native12_GLOBAL__N_18offset_tEEE10hipError_tPvRmT1_PNSt15iterator_traitsISK_E10value_typeET2_T3_PNSL_ISQ_E10value_typeET4_jRbjT5_SW_jjP12ihipStream_tbEUlT_E_NS1_11comp_targetILNS1_3genE2ELNS1_11target_archE906ELNS1_3gpuE6ELNS1_3repE0EEENS1_30default_config_static_selectorELNS0_4arch9wavefront6targetE0EEEvSK_
                                        ; -- End function
	.section	.AMDGPU.csdata,"",@progbits
; Kernel info:
; codeLenInByte = 0
; NumSgprs: 0
; NumVgprs: 0
; ScratchSize: 0
; MemoryBound: 0
; FloatMode: 240
; IeeeMode: 1
; LDSByteSize: 0 bytes/workgroup (compile time only)
; SGPRBlocks: 0
; VGPRBlocks: 0
; NumSGPRsForWavesPerEU: 1
; NumVGPRsForWavesPerEU: 1
; Occupancy: 16
; WaveLimiterHint : 0
; COMPUTE_PGM_RSRC2:SCRATCH_EN: 0
; COMPUTE_PGM_RSRC2:USER_SGPR: 15
; COMPUTE_PGM_RSRC2:TRAP_HANDLER: 0
; COMPUTE_PGM_RSRC2:TGID_X_EN: 1
; COMPUTE_PGM_RSRC2:TGID_Y_EN: 0
; COMPUTE_PGM_RSRC2:TGID_Z_EN: 0
; COMPUTE_PGM_RSRC2:TIDIG_COMP_CNT: 0
	.section	.text._ZN7rocprim17ROCPRIM_400000_NS6detail17trampoline_kernelINS0_14default_configENS1_36segmented_radix_sort_config_selectorIilEEZNS1_25segmented_radix_sort_implIS3_Lb0EPKiPiPKlPlN2at6native12_GLOBAL__N_18offset_tEEE10hipError_tPvRmT1_PNSt15iterator_traitsISK_E10value_typeET2_T3_PNSL_ISQ_E10value_typeET4_jRbjT5_SW_jjP12ihipStream_tbEUlT_E_NS1_11comp_targetILNS1_3genE10ELNS1_11target_archE1201ELNS1_3gpuE5ELNS1_3repE0EEENS1_30default_config_static_selectorELNS0_4arch9wavefront6targetE0EEEvSK_,"axG",@progbits,_ZN7rocprim17ROCPRIM_400000_NS6detail17trampoline_kernelINS0_14default_configENS1_36segmented_radix_sort_config_selectorIilEEZNS1_25segmented_radix_sort_implIS3_Lb0EPKiPiPKlPlN2at6native12_GLOBAL__N_18offset_tEEE10hipError_tPvRmT1_PNSt15iterator_traitsISK_E10value_typeET2_T3_PNSL_ISQ_E10value_typeET4_jRbjT5_SW_jjP12ihipStream_tbEUlT_E_NS1_11comp_targetILNS1_3genE10ELNS1_11target_archE1201ELNS1_3gpuE5ELNS1_3repE0EEENS1_30default_config_static_selectorELNS0_4arch9wavefront6targetE0EEEvSK_,comdat
	.globl	_ZN7rocprim17ROCPRIM_400000_NS6detail17trampoline_kernelINS0_14default_configENS1_36segmented_radix_sort_config_selectorIilEEZNS1_25segmented_radix_sort_implIS3_Lb0EPKiPiPKlPlN2at6native12_GLOBAL__N_18offset_tEEE10hipError_tPvRmT1_PNSt15iterator_traitsISK_E10value_typeET2_T3_PNSL_ISQ_E10value_typeET4_jRbjT5_SW_jjP12ihipStream_tbEUlT_E_NS1_11comp_targetILNS1_3genE10ELNS1_11target_archE1201ELNS1_3gpuE5ELNS1_3repE0EEENS1_30default_config_static_selectorELNS0_4arch9wavefront6targetE0EEEvSK_ ; -- Begin function _ZN7rocprim17ROCPRIM_400000_NS6detail17trampoline_kernelINS0_14default_configENS1_36segmented_radix_sort_config_selectorIilEEZNS1_25segmented_radix_sort_implIS3_Lb0EPKiPiPKlPlN2at6native12_GLOBAL__N_18offset_tEEE10hipError_tPvRmT1_PNSt15iterator_traitsISK_E10value_typeET2_T3_PNSL_ISQ_E10value_typeET4_jRbjT5_SW_jjP12ihipStream_tbEUlT_E_NS1_11comp_targetILNS1_3genE10ELNS1_11target_archE1201ELNS1_3gpuE5ELNS1_3repE0EEENS1_30default_config_static_selectorELNS0_4arch9wavefront6targetE0EEEvSK_
	.p2align	8
	.type	_ZN7rocprim17ROCPRIM_400000_NS6detail17trampoline_kernelINS0_14default_configENS1_36segmented_radix_sort_config_selectorIilEEZNS1_25segmented_radix_sort_implIS3_Lb0EPKiPiPKlPlN2at6native12_GLOBAL__N_18offset_tEEE10hipError_tPvRmT1_PNSt15iterator_traitsISK_E10value_typeET2_T3_PNSL_ISQ_E10value_typeET4_jRbjT5_SW_jjP12ihipStream_tbEUlT_E_NS1_11comp_targetILNS1_3genE10ELNS1_11target_archE1201ELNS1_3gpuE5ELNS1_3repE0EEENS1_30default_config_static_selectorELNS0_4arch9wavefront6targetE0EEEvSK_,@function
_ZN7rocprim17ROCPRIM_400000_NS6detail17trampoline_kernelINS0_14default_configENS1_36segmented_radix_sort_config_selectorIilEEZNS1_25segmented_radix_sort_implIS3_Lb0EPKiPiPKlPlN2at6native12_GLOBAL__N_18offset_tEEE10hipError_tPvRmT1_PNSt15iterator_traitsISK_E10value_typeET2_T3_PNSL_ISQ_E10value_typeET4_jRbjT5_SW_jjP12ihipStream_tbEUlT_E_NS1_11comp_targetILNS1_3genE10ELNS1_11target_archE1201ELNS1_3gpuE5ELNS1_3repE0EEENS1_30default_config_static_selectorELNS0_4arch9wavefront6targetE0EEEvSK_: ; @_ZN7rocprim17ROCPRIM_400000_NS6detail17trampoline_kernelINS0_14default_configENS1_36segmented_radix_sort_config_selectorIilEEZNS1_25segmented_radix_sort_implIS3_Lb0EPKiPiPKlPlN2at6native12_GLOBAL__N_18offset_tEEE10hipError_tPvRmT1_PNSt15iterator_traitsISK_E10value_typeET2_T3_PNSL_ISQ_E10value_typeET4_jRbjT5_SW_jjP12ihipStream_tbEUlT_E_NS1_11comp_targetILNS1_3genE10ELNS1_11target_archE1201ELNS1_3gpuE5ELNS1_3repE0EEENS1_30default_config_static_selectorELNS0_4arch9wavefront6targetE0EEEvSK_
; %bb.0:
	.section	.rodata,"a",@progbits
	.p2align	6, 0x0
	.amdhsa_kernel _ZN7rocprim17ROCPRIM_400000_NS6detail17trampoline_kernelINS0_14default_configENS1_36segmented_radix_sort_config_selectorIilEEZNS1_25segmented_radix_sort_implIS3_Lb0EPKiPiPKlPlN2at6native12_GLOBAL__N_18offset_tEEE10hipError_tPvRmT1_PNSt15iterator_traitsISK_E10value_typeET2_T3_PNSL_ISQ_E10value_typeET4_jRbjT5_SW_jjP12ihipStream_tbEUlT_E_NS1_11comp_targetILNS1_3genE10ELNS1_11target_archE1201ELNS1_3gpuE5ELNS1_3repE0EEENS1_30default_config_static_selectorELNS0_4arch9wavefront6targetE0EEEvSK_
		.amdhsa_group_segment_fixed_size 0
		.amdhsa_private_segment_fixed_size 0
		.amdhsa_kernarg_size 96
		.amdhsa_user_sgpr_count 15
		.amdhsa_user_sgpr_dispatch_ptr 0
		.amdhsa_user_sgpr_queue_ptr 0
		.amdhsa_user_sgpr_kernarg_segment_ptr 1
		.amdhsa_user_sgpr_dispatch_id 0
		.amdhsa_user_sgpr_private_segment_size 0
		.amdhsa_wavefront_size32 1
		.amdhsa_uses_dynamic_stack 0
		.amdhsa_enable_private_segment 0
		.amdhsa_system_sgpr_workgroup_id_x 1
		.amdhsa_system_sgpr_workgroup_id_y 0
		.amdhsa_system_sgpr_workgroup_id_z 0
		.amdhsa_system_sgpr_workgroup_info 0
		.amdhsa_system_vgpr_workitem_id 0
		.amdhsa_next_free_vgpr 1
		.amdhsa_next_free_sgpr 1
		.amdhsa_reserve_vcc 0
		.amdhsa_float_round_mode_32 0
		.amdhsa_float_round_mode_16_64 0
		.amdhsa_float_denorm_mode_32 3
		.amdhsa_float_denorm_mode_16_64 3
		.amdhsa_dx10_clamp 1
		.amdhsa_ieee_mode 1
		.amdhsa_fp16_overflow 0
		.amdhsa_workgroup_processor_mode 1
		.amdhsa_memory_ordered 1
		.amdhsa_forward_progress 0
		.amdhsa_shared_vgpr_count 0
		.amdhsa_exception_fp_ieee_invalid_op 0
		.amdhsa_exception_fp_denorm_src 0
		.amdhsa_exception_fp_ieee_div_zero 0
		.amdhsa_exception_fp_ieee_overflow 0
		.amdhsa_exception_fp_ieee_underflow 0
		.amdhsa_exception_fp_ieee_inexact 0
		.amdhsa_exception_int_div_zero 0
	.end_amdhsa_kernel
	.section	.text._ZN7rocprim17ROCPRIM_400000_NS6detail17trampoline_kernelINS0_14default_configENS1_36segmented_radix_sort_config_selectorIilEEZNS1_25segmented_radix_sort_implIS3_Lb0EPKiPiPKlPlN2at6native12_GLOBAL__N_18offset_tEEE10hipError_tPvRmT1_PNSt15iterator_traitsISK_E10value_typeET2_T3_PNSL_ISQ_E10value_typeET4_jRbjT5_SW_jjP12ihipStream_tbEUlT_E_NS1_11comp_targetILNS1_3genE10ELNS1_11target_archE1201ELNS1_3gpuE5ELNS1_3repE0EEENS1_30default_config_static_selectorELNS0_4arch9wavefront6targetE0EEEvSK_,"axG",@progbits,_ZN7rocprim17ROCPRIM_400000_NS6detail17trampoline_kernelINS0_14default_configENS1_36segmented_radix_sort_config_selectorIilEEZNS1_25segmented_radix_sort_implIS3_Lb0EPKiPiPKlPlN2at6native12_GLOBAL__N_18offset_tEEE10hipError_tPvRmT1_PNSt15iterator_traitsISK_E10value_typeET2_T3_PNSL_ISQ_E10value_typeET4_jRbjT5_SW_jjP12ihipStream_tbEUlT_E_NS1_11comp_targetILNS1_3genE10ELNS1_11target_archE1201ELNS1_3gpuE5ELNS1_3repE0EEENS1_30default_config_static_selectorELNS0_4arch9wavefront6targetE0EEEvSK_,comdat
.Lfunc_end605:
	.size	_ZN7rocprim17ROCPRIM_400000_NS6detail17trampoline_kernelINS0_14default_configENS1_36segmented_radix_sort_config_selectorIilEEZNS1_25segmented_radix_sort_implIS3_Lb0EPKiPiPKlPlN2at6native12_GLOBAL__N_18offset_tEEE10hipError_tPvRmT1_PNSt15iterator_traitsISK_E10value_typeET2_T3_PNSL_ISQ_E10value_typeET4_jRbjT5_SW_jjP12ihipStream_tbEUlT_E_NS1_11comp_targetILNS1_3genE10ELNS1_11target_archE1201ELNS1_3gpuE5ELNS1_3repE0EEENS1_30default_config_static_selectorELNS0_4arch9wavefront6targetE0EEEvSK_, .Lfunc_end605-_ZN7rocprim17ROCPRIM_400000_NS6detail17trampoline_kernelINS0_14default_configENS1_36segmented_radix_sort_config_selectorIilEEZNS1_25segmented_radix_sort_implIS3_Lb0EPKiPiPKlPlN2at6native12_GLOBAL__N_18offset_tEEE10hipError_tPvRmT1_PNSt15iterator_traitsISK_E10value_typeET2_T3_PNSL_ISQ_E10value_typeET4_jRbjT5_SW_jjP12ihipStream_tbEUlT_E_NS1_11comp_targetILNS1_3genE10ELNS1_11target_archE1201ELNS1_3gpuE5ELNS1_3repE0EEENS1_30default_config_static_selectorELNS0_4arch9wavefront6targetE0EEEvSK_
                                        ; -- End function
	.section	.AMDGPU.csdata,"",@progbits
; Kernel info:
; codeLenInByte = 0
; NumSgprs: 0
; NumVgprs: 0
; ScratchSize: 0
; MemoryBound: 0
; FloatMode: 240
; IeeeMode: 1
; LDSByteSize: 0 bytes/workgroup (compile time only)
; SGPRBlocks: 0
; VGPRBlocks: 0
; NumSGPRsForWavesPerEU: 1
; NumVGPRsForWavesPerEU: 1
; Occupancy: 16
; WaveLimiterHint : 0
; COMPUTE_PGM_RSRC2:SCRATCH_EN: 0
; COMPUTE_PGM_RSRC2:USER_SGPR: 15
; COMPUTE_PGM_RSRC2:TRAP_HANDLER: 0
; COMPUTE_PGM_RSRC2:TGID_X_EN: 1
; COMPUTE_PGM_RSRC2:TGID_Y_EN: 0
; COMPUTE_PGM_RSRC2:TGID_Z_EN: 0
; COMPUTE_PGM_RSRC2:TIDIG_COMP_CNT: 0
	.section	.text._ZN7rocprim17ROCPRIM_400000_NS6detail17trampoline_kernelINS0_14default_configENS1_36segmented_radix_sort_config_selectorIilEEZNS1_25segmented_radix_sort_implIS3_Lb0EPKiPiPKlPlN2at6native12_GLOBAL__N_18offset_tEEE10hipError_tPvRmT1_PNSt15iterator_traitsISK_E10value_typeET2_T3_PNSL_ISQ_E10value_typeET4_jRbjT5_SW_jjP12ihipStream_tbEUlT_E_NS1_11comp_targetILNS1_3genE10ELNS1_11target_archE1200ELNS1_3gpuE4ELNS1_3repE0EEENS1_30default_config_static_selectorELNS0_4arch9wavefront6targetE0EEEvSK_,"axG",@progbits,_ZN7rocprim17ROCPRIM_400000_NS6detail17trampoline_kernelINS0_14default_configENS1_36segmented_radix_sort_config_selectorIilEEZNS1_25segmented_radix_sort_implIS3_Lb0EPKiPiPKlPlN2at6native12_GLOBAL__N_18offset_tEEE10hipError_tPvRmT1_PNSt15iterator_traitsISK_E10value_typeET2_T3_PNSL_ISQ_E10value_typeET4_jRbjT5_SW_jjP12ihipStream_tbEUlT_E_NS1_11comp_targetILNS1_3genE10ELNS1_11target_archE1200ELNS1_3gpuE4ELNS1_3repE0EEENS1_30default_config_static_selectorELNS0_4arch9wavefront6targetE0EEEvSK_,comdat
	.globl	_ZN7rocprim17ROCPRIM_400000_NS6detail17trampoline_kernelINS0_14default_configENS1_36segmented_radix_sort_config_selectorIilEEZNS1_25segmented_radix_sort_implIS3_Lb0EPKiPiPKlPlN2at6native12_GLOBAL__N_18offset_tEEE10hipError_tPvRmT1_PNSt15iterator_traitsISK_E10value_typeET2_T3_PNSL_ISQ_E10value_typeET4_jRbjT5_SW_jjP12ihipStream_tbEUlT_E_NS1_11comp_targetILNS1_3genE10ELNS1_11target_archE1200ELNS1_3gpuE4ELNS1_3repE0EEENS1_30default_config_static_selectorELNS0_4arch9wavefront6targetE0EEEvSK_ ; -- Begin function _ZN7rocprim17ROCPRIM_400000_NS6detail17trampoline_kernelINS0_14default_configENS1_36segmented_radix_sort_config_selectorIilEEZNS1_25segmented_radix_sort_implIS3_Lb0EPKiPiPKlPlN2at6native12_GLOBAL__N_18offset_tEEE10hipError_tPvRmT1_PNSt15iterator_traitsISK_E10value_typeET2_T3_PNSL_ISQ_E10value_typeET4_jRbjT5_SW_jjP12ihipStream_tbEUlT_E_NS1_11comp_targetILNS1_3genE10ELNS1_11target_archE1200ELNS1_3gpuE4ELNS1_3repE0EEENS1_30default_config_static_selectorELNS0_4arch9wavefront6targetE0EEEvSK_
	.p2align	8
	.type	_ZN7rocprim17ROCPRIM_400000_NS6detail17trampoline_kernelINS0_14default_configENS1_36segmented_radix_sort_config_selectorIilEEZNS1_25segmented_radix_sort_implIS3_Lb0EPKiPiPKlPlN2at6native12_GLOBAL__N_18offset_tEEE10hipError_tPvRmT1_PNSt15iterator_traitsISK_E10value_typeET2_T3_PNSL_ISQ_E10value_typeET4_jRbjT5_SW_jjP12ihipStream_tbEUlT_E_NS1_11comp_targetILNS1_3genE10ELNS1_11target_archE1200ELNS1_3gpuE4ELNS1_3repE0EEENS1_30default_config_static_selectorELNS0_4arch9wavefront6targetE0EEEvSK_,@function
_ZN7rocprim17ROCPRIM_400000_NS6detail17trampoline_kernelINS0_14default_configENS1_36segmented_radix_sort_config_selectorIilEEZNS1_25segmented_radix_sort_implIS3_Lb0EPKiPiPKlPlN2at6native12_GLOBAL__N_18offset_tEEE10hipError_tPvRmT1_PNSt15iterator_traitsISK_E10value_typeET2_T3_PNSL_ISQ_E10value_typeET4_jRbjT5_SW_jjP12ihipStream_tbEUlT_E_NS1_11comp_targetILNS1_3genE10ELNS1_11target_archE1200ELNS1_3gpuE4ELNS1_3repE0EEENS1_30default_config_static_selectorELNS0_4arch9wavefront6targetE0EEEvSK_: ; @_ZN7rocprim17ROCPRIM_400000_NS6detail17trampoline_kernelINS0_14default_configENS1_36segmented_radix_sort_config_selectorIilEEZNS1_25segmented_radix_sort_implIS3_Lb0EPKiPiPKlPlN2at6native12_GLOBAL__N_18offset_tEEE10hipError_tPvRmT1_PNSt15iterator_traitsISK_E10value_typeET2_T3_PNSL_ISQ_E10value_typeET4_jRbjT5_SW_jjP12ihipStream_tbEUlT_E_NS1_11comp_targetILNS1_3genE10ELNS1_11target_archE1200ELNS1_3gpuE4ELNS1_3repE0EEENS1_30default_config_static_selectorELNS0_4arch9wavefront6targetE0EEEvSK_
; %bb.0:
	.section	.rodata,"a",@progbits
	.p2align	6, 0x0
	.amdhsa_kernel _ZN7rocprim17ROCPRIM_400000_NS6detail17trampoline_kernelINS0_14default_configENS1_36segmented_radix_sort_config_selectorIilEEZNS1_25segmented_radix_sort_implIS3_Lb0EPKiPiPKlPlN2at6native12_GLOBAL__N_18offset_tEEE10hipError_tPvRmT1_PNSt15iterator_traitsISK_E10value_typeET2_T3_PNSL_ISQ_E10value_typeET4_jRbjT5_SW_jjP12ihipStream_tbEUlT_E_NS1_11comp_targetILNS1_3genE10ELNS1_11target_archE1200ELNS1_3gpuE4ELNS1_3repE0EEENS1_30default_config_static_selectorELNS0_4arch9wavefront6targetE0EEEvSK_
		.amdhsa_group_segment_fixed_size 0
		.amdhsa_private_segment_fixed_size 0
		.amdhsa_kernarg_size 96
		.amdhsa_user_sgpr_count 15
		.amdhsa_user_sgpr_dispatch_ptr 0
		.amdhsa_user_sgpr_queue_ptr 0
		.amdhsa_user_sgpr_kernarg_segment_ptr 1
		.amdhsa_user_sgpr_dispatch_id 0
		.amdhsa_user_sgpr_private_segment_size 0
		.amdhsa_wavefront_size32 1
		.amdhsa_uses_dynamic_stack 0
		.amdhsa_enable_private_segment 0
		.amdhsa_system_sgpr_workgroup_id_x 1
		.amdhsa_system_sgpr_workgroup_id_y 0
		.amdhsa_system_sgpr_workgroup_id_z 0
		.amdhsa_system_sgpr_workgroup_info 0
		.amdhsa_system_vgpr_workitem_id 0
		.amdhsa_next_free_vgpr 1
		.amdhsa_next_free_sgpr 1
		.amdhsa_reserve_vcc 0
		.amdhsa_float_round_mode_32 0
		.amdhsa_float_round_mode_16_64 0
		.amdhsa_float_denorm_mode_32 3
		.amdhsa_float_denorm_mode_16_64 3
		.amdhsa_dx10_clamp 1
		.amdhsa_ieee_mode 1
		.amdhsa_fp16_overflow 0
		.amdhsa_workgroup_processor_mode 1
		.amdhsa_memory_ordered 1
		.amdhsa_forward_progress 0
		.amdhsa_shared_vgpr_count 0
		.amdhsa_exception_fp_ieee_invalid_op 0
		.amdhsa_exception_fp_denorm_src 0
		.amdhsa_exception_fp_ieee_div_zero 0
		.amdhsa_exception_fp_ieee_overflow 0
		.amdhsa_exception_fp_ieee_underflow 0
		.amdhsa_exception_fp_ieee_inexact 0
		.amdhsa_exception_int_div_zero 0
	.end_amdhsa_kernel
	.section	.text._ZN7rocprim17ROCPRIM_400000_NS6detail17trampoline_kernelINS0_14default_configENS1_36segmented_radix_sort_config_selectorIilEEZNS1_25segmented_radix_sort_implIS3_Lb0EPKiPiPKlPlN2at6native12_GLOBAL__N_18offset_tEEE10hipError_tPvRmT1_PNSt15iterator_traitsISK_E10value_typeET2_T3_PNSL_ISQ_E10value_typeET4_jRbjT5_SW_jjP12ihipStream_tbEUlT_E_NS1_11comp_targetILNS1_3genE10ELNS1_11target_archE1200ELNS1_3gpuE4ELNS1_3repE0EEENS1_30default_config_static_selectorELNS0_4arch9wavefront6targetE0EEEvSK_,"axG",@progbits,_ZN7rocprim17ROCPRIM_400000_NS6detail17trampoline_kernelINS0_14default_configENS1_36segmented_radix_sort_config_selectorIilEEZNS1_25segmented_radix_sort_implIS3_Lb0EPKiPiPKlPlN2at6native12_GLOBAL__N_18offset_tEEE10hipError_tPvRmT1_PNSt15iterator_traitsISK_E10value_typeET2_T3_PNSL_ISQ_E10value_typeET4_jRbjT5_SW_jjP12ihipStream_tbEUlT_E_NS1_11comp_targetILNS1_3genE10ELNS1_11target_archE1200ELNS1_3gpuE4ELNS1_3repE0EEENS1_30default_config_static_selectorELNS0_4arch9wavefront6targetE0EEEvSK_,comdat
.Lfunc_end606:
	.size	_ZN7rocprim17ROCPRIM_400000_NS6detail17trampoline_kernelINS0_14default_configENS1_36segmented_radix_sort_config_selectorIilEEZNS1_25segmented_radix_sort_implIS3_Lb0EPKiPiPKlPlN2at6native12_GLOBAL__N_18offset_tEEE10hipError_tPvRmT1_PNSt15iterator_traitsISK_E10value_typeET2_T3_PNSL_ISQ_E10value_typeET4_jRbjT5_SW_jjP12ihipStream_tbEUlT_E_NS1_11comp_targetILNS1_3genE10ELNS1_11target_archE1200ELNS1_3gpuE4ELNS1_3repE0EEENS1_30default_config_static_selectorELNS0_4arch9wavefront6targetE0EEEvSK_, .Lfunc_end606-_ZN7rocprim17ROCPRIM_400000_NS6detail17trampoline_kernelINS0_14default_configENS1_36segmented_radix_sort_config_selectorIilEEZNS1_25segmented_radix_sort_implIS3_Lb0EPKiPiPKlPlN2at6native12_GLOBAL__N_18offset_tEEE10hipError_tPvRmT1_PNSt15iterator_traitsISK_E10value_typeET2_T3_PNSL_ISQ_E10value_typeET4_jRbjT5_SW_jjP12ihipStream_tbEUlT_E_NS1_11comp_targetILNS1_3genE10ELNS1_11target_archE1200ELNS1_3gpuE4ELNS1_3repE0EEENS1_30default_config_static_selectorELNS0_4arch9wavefront6targetE0EEEvSK_
                                        ; -- End function
	.section	.AMDGPU.csdata,"",@progbits
; Kernel info:
; codeLenInByte = 0
; NumSgprs: 0
; NumVgprs: 0
; ScratchSize: 0
; MemoryBound: 0
; FloatMode: 240
; IeeeMode: 1
; LDSByteSize: 0 bytes/workgroup (compile time only)
; SGPRBlocks: 0
; VGPRBlocks: 0
; NumSGPRsForWavesPerEU: 1
; NumVGPRsForWavesPerEU: 1
; Occupancy: 16
; WaveLimiterHint : 0
; COMPUTE_PGM_RSRC2:SCRATCH_EN: 0
; COMPUTE_PGM_RSRC2:USER_SGPR: 15
; COMPUTE_PGM_RSRC2:TRAP_HANDLER: 0
; COMPUTE_PGM_RSRC2:TGID_X_EN: 1
; COMPUTE_PGM_RSRC2:TGID_Y_EN: 0
; COMPUTE_PGM_RSRC2:TGID_Z_EN: 0
; COMPUTE_PGM_RSRC2:TIDIG_COMP_CNT: 0
	.text
	.p2align	2                               ; -- Begin function _ZN7rocprim17ROCPRIM_400000_NS6detail40segmented_radix_sort_single_block_helperIilLj256ELj16ELb0EE4sortIPKiPiPKlPlEEbT_T0_T1_T2_jjjjRNS3_12storage_typeE
	.type	_ZN7rocprim17ROCPRIM_400000_NS6detail40segmented_radix_sort_single_block_helperIilLj256ELj16ELb0EE4sortIPKiPiPKlPlEEbT_T0_T1_T2_jjjjRNS3_12storage_typeE,@function
_ZN7rocprim17ROCPRIM_400000_NS6detail40segmented_radix_sort_single_block_helperIilLj256ELj16ELb0EE4sortIPKiPiPKlPlEEbT_T0_T1_T2_jjjjRNS3_12storage_typeE: ; @_ZN7rocprim17ROCPRIM_400000_NS6detail40segmented_radix_sort_single_block_helperIilLj256ELj16ELb0EE4sortIPKiPiPKlPlEEbT_T0_T1_T2_jjjjRNS3_12storage_typeE
; %bb.0:
	s_waitcnt vmcnt(0) expcnt(0) lgkmcnt(0)
	s_or_saveexec_b32 s0, -1
	scratch_store_b32 off, v206, s32 offset:344 ; 4-byte Folded Spill
	s_mov_b32 exec_lo, s0
	s_clause 0x1f
	scratch_store_b32 off, v40, s32 offset:340
	; meta instruction
	scratch_store_b32 off, v41, s32 offset:336
	; meta instruction
	;; [unrolled: 2-line block ×31, first 2 shown]
	scratch_store_b32 off, v95, s32 offset:216
	s_clause 0x1f
	scratch_store_b32 off, v104, s32 offset:212
	; meta instruction
	scratch_store_b32 off, v105, s32 offset:208
	; meta instruction
	scratch_store_b32 off, v106, s32 offset:204
	; meta instruction
	scratch_store_b32 off, v107, s32 offset:200
	; meta instruction
	scratch_store_b32 off, v108, s32 offset:196
	; meta instruction
	scratch_store_b32 off, v109, s32 offset:192
	; meta instruction
	scratch_store_b32 off, v110, s32 offset:188
	; meta instruction
	scratch_store_b32 off, v111, s32 offset:184
	; meta instruction
	scratch_store_b32 off, v120, s32 offset:180
	; meta instruction
	scratch_store_b32 off, v121, s32 offset:176
	; meta instruction
	scratch_store_b32 off, v122, s32 offset:172
	; meta instruction
	scratch_store_b32 off, v123, s32 offset:168
	; meta instruction
	scratch_store_b32 off, v124, s32 offset:164
	; meta instruction
	scratch_store_b32 off, v125, s32 offset:160
	; meta instruction
	scratch_store_b32 off, v126, s32 offset:156
	; meta instruction
	scratch_store_b32 off, v127, s32 offset:152
	; meta instruction
	scratch_store_b32 off, v136, s32 offset:148
	; meta instruction
	scratch_store_b32 off, v137, s32 offset:144
	; meta instruction
	scratch_store_b32 off, v138, s32 offset:140
	; meta instruction
	scratch_store_b32 off, v139, s32 offset:136
	; meta instruction
	scratch_store_b32 off, v140, s32 offset:132
	; meta instruction
	scratch_store_b32 off, v141, s32 offset:128
	; meta instruction
	scratch_store_b32 off, v142, s32 offset:124
	; meta instruction
	scratch_store_b32 off, v143, s32 offset:120
	; meta instruction
	scratch_store_b32 off, v152, s32 offset:116
	; meta instruction
	scratch_store_b32 off, v153, s32 offset:112
	; meta instruction
	scratch_store_b32 off, v154, s32 offset:108
	; meta instruction
	scratch_store_b32 off, v155, s32 offset:104
	; meta instruction
	scratch_store_b32 off, v156, s32 offset:100
	; meta instruction
	scratch_store_b32 off, v157, s32 offset:96
	; meta instruction
	scratch_store_b32 off, v158, s32 offset:92
	; meta instruction
	scratch_store_b32 off, v159, s32 offset:88
	s_clause 0x15
	scratch_store_b32 off, v168, s32 offset:84
	; meta instruction
	scratch_store_b32 off, v169, s32 offset:80
	; meta instruction
	;; [unrolled: 2-line block ×21, first 2 shown]
	scratch_store_b32 off, v205, s32
	v_writelane_b32 v206, s36, 0
	v_writelane_b32 v206, s37, 1
	;; [unrolled: 1-line block ×8, first 2 shown]
	v_sub_nc_u32_e32 v47, v9, v8
	s_mov_b32 s24, exec_lo
	s_delay_alu instid0(VALU_DEP_1)
	v_cmpx_gt_u32_e32 0x1001, v47
	s_cbranch_execz .LBB607_372
; %bb.1:
	v_bfe_u32 v14, v31, 10, 10
	v_bfe_u32 v15, v31, 20, 10
	v_and_b32_e32 v26, 0x3ff, v31
	v_mbcnt_lo_u32_b32 v37, -1, 0
	s_mov_b32 s0, exec_lo
	v_cmpx_lt_u32_e32 0x800, v47
	s_xor_b32 s25, exec_lo, s0
	s_cbranch_execz .LBB607_143
; %bb.2:
	s_load_b64 s[0:1], s[8:9], 0x0
	v_mov_b32_e32 v9, 0
	s_waitcnt lgkmcnt(0)
	s_cmp_lt_u32 s13, s1
	s_cselect_b32 s1, 14, 20
	s_delay_alu instid0(SALU_CYCLE_1) | instskip(SKIP_4) | instid1(SALU_CYCLE_1)
	s_add_u32 s2, s8, s1
	s_addc_u32 s3, s9, 0
	s_cmp_lt_u32 s12, s0
	global_load_u16 v16, v9, s[2:3]
	s_cselect_b32 s0, 12, 18
	s_add_u32 s0, s8, s0
	s_addc_u32 s1, s9, 0
	global_load_u16 v17, v9, s[0:1]
	s_waitcnt vmcnt(1)
	v_mad_u32_u24 v14, v15, v16, v14
	v_bfrev_b32_e32 v16, -2
	s_waitcnt vmcnt(0)
	s_delay_alu instid0(VALU_DEP_2) | instskip(SKIP_1) | instid1(VALU_DEP_2)
	v_mad_u64_u32 v[27:28], null, v14, v17, v[26:27]
	v_lshlrev_b32_e32 v17, 2, v37
	v_lshlrev_b32_e32 v14, 4, v27
	v_lshlrev_b64 v[29:30], 2, v[8:9]
	s_delay_alu instid0(VALU_DEP_2) | instskip(NEXT) | instid1(VALU_DEP_2)
	v_dual_mov_b32 v15, v9 :: v_dual_and_b32 v14, 0xfffffe00, v14
	v_add_co_u32 v18, vcc_lo, v0, v29
	s_delay_alu instid0(VALU_DEP_3) | instskip(NEXT) | instid1(VALU_DEP_3)
	v_add_co_ci_u32_e32 v19, vcc_lo, v1, v30, vcc_lo
	v_lshlrev_b64 v[0:1], 2, v[14:15]
	s_delay_alu instid0(VALU_DEP_3) | instskip(SKIP_1) | instid1(VALU_DEP_4)
	v_add_co_u32 v17, vcc_lo, v18, v17
	v_or_b32_e32 v36, v14, v37
	v_add_co_ci_u32_e32 v18, vcc_lo, 0, v19, vcc_lo
	s_delay_alu instid0(VALU_DEP_3) | instskip(NEXT) | instid1(VALU_DEP_3)
	v_add_co_u32 v0, s0, v17, v0
	v_cmp_lt_u32_e32 vcc_lo, v36, v47
	s_delay_alu instid0(VALU_DEP_3)
	v_add_co_ci_u32_e64 v1, s0, v18, v1, s0
	v_bfrev_b32_e32 v17, -2
	s_and_saveexec_b32 s0, vcc_lo
	s_cbranch_execz .LBB607_4
; %bb.3:
	flat_load_b32 v17, v[0:1]
.LBB607_4:
	s_or_b32 exec_lo, exec_lo, s0
	v_or_b32_e32 v18, 32, v36
	s_delay_alu instid0(VALU_DEP_1) | instskip(NEXT) | instid1(VALU_DEP_1)
	v_cmp_lt_u32_e64 s0, v18, v47
	s_and_saveexec_b32 s1, s0
	s_cbranch_execz .LBB607_6
; %bb.5:
	flat_load_b32 v16, v[0:1] offset:128
.LBB607_6:
	s_or_b32 exec_lo, exec_lo, s1
	v_or_b32_e32 v19, 64, v36
	v_bfrev_b32_e32 v18, -2
	s_delay_alu instid0(VALU_DEP_2) | instskip(SKIP_1) | instid1(VALU_DEP_2)
	v_cmp_lt_u32_e64 s1, v19, v47
	v_bfrev_b32_e32 v19, -2
	s_and_saveexec_b32 s2, s1
	s_cbranch_execz .LBB607_8
; %bb.7:
	flat_load_b32 v19, v[0:1] offset:256
.LBB607_8:
	s_or_b32 exec_lo, exec_lo, s2
	v_or_b32_e32 v20, 0x60, v36
	s_delay_alu instid0(VALU_DEP_1) | instskip(NEXT) | instid1(VALU_DEP_1)
	v_cmp_lt_u32_e64 s2, v20, v47
	s_and_saveexec_b32 s3, s2
	s_cbranch_execz .LBB607_10
; %bb.9:
	flat_load_b32 v18, v[0:1] offset:384
.LBB607_10:
	s_or_b32 exec_lo, exec_lo, s3
	v_or_b32_e32 v21, 0x80, v36
	v_bfrev_b32_e32 v20, -2
	s_delay_alu instid0(VALU_DEP_2) | instskip(SKIP_1) | instid1(VALU_DEP_2)
	v_cmp_lt_u32_e64 s3, v21, v47
	v_bfrev_b32_e32 v21, -2
	s_and_saveexec_b32 s4, s3
	s_cbranch_execz .LBB607_12
; %bb.11:
	flat_load_b32 v21, v[0:1] offset:512
.LBB607_12:
	;; [unrolled: 20-line block ×7, first 2 shown]
	s_or_b32 exec_lo, exec_lo, s18
	v_or_b32_e32 v36, 0x1e0, v36
	s_delay_alu instid0(VALU_DEP_1) | instskip(NEXT) | instid1(VALU_DEP_1)
	v_cmp_lt_u32_e64 s18, v36, v47
	s_and_saveexec_b32 s19, s18
	s_cbranch_execz .LBB607_34
; %bb.33:
	flat_load_b32 v34, v[0:1] offset:1920
.LBB607_34:
	s_or_b32 exec_lo, exec_lo, s19
	v_lshlrev_b64 v[0:1], 3, v[8:9]
	v_lshlrev_b32_e32 v8, 3, v37
                                        ; implicit-def: $vgpr162_vgpr163
	s_delay_alu instid0(VALU_DEP_2) | instskip(NEXT) | instid1(VALU_DEP_1)
	v_add_co_u32 v9, s19, v4, v0
	v_add_co_ci_u32_e64 v36, s19, v5, v1, s19
	v_lshlrev_b64 v[4:5], 3, v[14:15]
	s_delay_alu instid0(VALU_DEP_3) | instskip(NEXT) | instid1(VALU_DEP_1)
	v_add_co_u32 v8, s19, v9, v8
	v_add_co_ci_u32_e64 v9, s19, 0, v36, s19
	s_delay_alu instid0(VALU_DEP_2) | instskip(NEXT) | instid1(VALU_DEP_1)
	v_add_co_u32 v4, s19, v8, v4
	v_add_co_ci_u32_e64 v5, s19, v9, v5, s19
	s_and_saveexec_b32 s19, vcc_lo
	s_cbranch_execnz .LBB607_196
; %bb.35:
	s_or_b32 exec_lo, exec_lo, s19
                                        ; implicit-def: $vgpr164_vgpr165
	s_and_saveexec_b32 s19, s0
	s_cbranch_execnz .LBB607_197
.LBB607_36:
	s_or_b32 exec_lo, exec_lo, s19
                                        ; implicit-def: $vgpr166_vgpr167
	s_and_saveexec_b32 s0, s1
	s_cbranch_execnz .LBB607_198
.LBB607_37:
	s_or_b32 exec_lo, exec_lo, s0
                                        ; implicit-def: $vgpr176_vgpr177
	s_and_saveexec_b32 s0, s2
	s_cbranch_execnz .LBB607_199
.LBB607_38:
	s_or_b32 exec_lo, exec_lo, s0
                                        ; implicit-def: $vgpr178_vgpr179
	s_and_saveexec_b32 s0, s3
	s_cbranch_execnz .LBB607_200
.LBB607_39:
	s_or_b32 exec_lo, exec_lo, s0
                                        ; implicit-def: $vgpr180_vgpr181
	s_and_saveexec_b32 s0, s4
	s_cbranch_execnz .LBB607_201
.LBB607_40:
	s_or_b32 exec_lo, exec_lo, s0
                                        ; implicit-def: $vgpr182_vgpr183
	s_and_saveexec_b32 s0, s5
	s_cbranch_execnz .LBB607_202
.LBB607_41:
	s_or_b32 exec_lo, exec_lo, s0
                                        ; implicit-def: $vgpr192_vgpr193
	s_and_saveexec_b32 s0, s6
	s_cbranch_execnz .LBB607_203
.LBB607_42:
	s_or_b32 exec_lo, exec_lo, s0
                                        ; implicit-def: $vgpr194_vgpr195
	s_and_saveexec_b32 s0, s7
	s_cbranch_execnz .LBB607_204
.LBB607_43:
	s_or_b32 exec_lo, exec_lo, s0
                                        ; implicit-def: $vgpr196_vgpr197
	s_and_saveexec_b32 s0, s10
	s_cbranch_execnz .LBB607_205
.LBB607_44:
	s_or_b32 exec_lo, exec_lo, s0
                                        ; implicit-def: $vgpr198_vgpr199
	s_and_saveexec_b32 s0, s11
	s_cbranch_execnz .LBB607_206
.LBB607_45:
	s_or_b32 exec_lo, exec_lo, s0
                                        ; implicit-def: $vgpr208_vgpr209
	s_and_saveexec_b32 s0, s14
	s_cbranch_execnz .LBB607_207
.LBB607_46:
	s_or_b32 exec_lo, exec_lo, s0
                                        ; implicit-def: $vgpr210_vgpr211
	s_and_saveexec_b32 s0, s15
	s_cbranch_execnz .LBB607_208
.LBB607_47:
	s_or_b32 exec_lo, exec_lo, s0
                                        ; implicit-def: $vgpr212_vgpr213
	s_and_saveexec_b32 s0, s16
	s_cbranch_execnz .LBB607_209
.LBB607_48:
	s_or_b32 exec_lo, exec_lo, s0
                                        ; implicit-def: $vgpr214_vgpr215
	s_and_saveexec_b32 s0, s17
	s_cbranch_execnz .LBB607_210
.LBB607_49:
	s_or_b32 exec_lo, exec_lo, s0
                                        ; implicit-def: $vgpr224_vgpr225
	s_and_saveexec_b32 s0, s18
	s_cbranch_execz .LBB607_51
.LBB607_50:
	flat_load_b64 v[224:225], v[4:5] offset:3840
.LBB607_51:
	s_or_b32 exec_lo, exec_lo, s0
	v_dual_mov_b32 v5, 0 :: v_dual_lshlrev_b32 v4, 5, v26
	s_mov_b32 s20, 0
	s_waitcnt vmcnt(0) lgkmcnt(0)
	v_xor_b32_e32 v191, 0x80000000, v28
	v_add_co_u32 v28, vcc_lo, v12, 32
	s_mov_b32 s21, s20
	s_mov_b32 s22, s20
	;; [unrolled: 1-line block ×3, first 2 shown]
	v_and_b32_e32 v9, 0x3e0, v26
	v_add_co_ci_u32_e32 v138, vcc_lo, 0, v13, vcc_lo
	v_add_co_u32 v66, vcc_lo, v12, v4
	v_add_nc_u32_e32 v14, -1, v37
	v_add_co_ci_u32_e32 v67, vcc_lo, 0, v13, vcc_lo
	v_add_co_u32 v70, vcc_lo, v28, v4
	v_min_u32_e32 v4, 0xe0, v9
	v_and_b32_e32 v9, 16, v37
	v_and_b32_e32 v8, 15, v37
	v_cmp_gt_i32_e64 s4, 0, v14
	s_getpc_b64 s[0:1]
	s_add_u32 s0, s0, _ZN7rocprim17ROCPRIM_400000_NS16block_radix_sortIiLj256ELj16ElLj1ELj1ELj8ELNS0_26block_radix_rank_algorithmE2ELNS0_18block_padding_hintE2ELNS0_4arch9wavefront6targetE0EE19radix_bits_per_passE@rel32@lo+4
	s_addc_u32 s1, s1, _ZN7rocprim17ROCPRIM_400000_NS16block_radix_sortIiLj256ELj16ElLj1ELj1ELj8ELNS0_26block_radix_rank_algorithmE2ELNS0_18block_padding_hintE2ELNS0_4arch9wavefront6targetE0EE19radix_bits_per_passE@rel32@hi+12
	v_or_b32_e32 v4, 31, v4
	v_cmp_eq_u32_e64 s3, 0, v9
	v_lshrrev_b32_e32 v9, 5, v26
	v_add_co_ci_u32_e32 v71, vcc_lo, 0, v138, vcc_lo
	s_load_b32 s19, s[0:1], 0x0
	v_cmp_eq_u32_e32 vcc_lo, 0, v8
	v_cmp_lt_u32_e64 s0, 1, v8
	v_cmp_lt_u32_e64 s1, 3, v8
	v_cmp_lt_u32_e64 s2, 7, v8
	v_cndmask_b32_e64 v8, v14, v37, s4
	v_lshlrev_b32_e32 v14, 4, v26
	v_cmp_eq_u32_e64 s4, v4, v26
	v_lshlrev_b32_e32 v4, 2, v9
	v_and_b32_e32 v15, 7, v37
	v_lshlrev_b32_e32 v140, 2, v8
	v_and_or_b32 v14, 0x3e00, v14, v37
	v_lshlrev_b32_e32 v8, 2, v26
	v_add_co_u32 v100, s11, v12, v4
	v_add_nc_u32_e32 v4, -1, v9
	s_delay_alu instid0(VALU_DEP_4) | instskip(SKIP_2) | instid1(VALU_DEP_4)
	v_lshlrev_b32_e32 v14, 2, v14
	v_add_co_ci_u32_e64 v101, s11, 0, v13, s11
	v_add_co_u32 v48, s11, v12, v8
	v_lshlrev_b64 v[8:9], 2, v[4:5]
	s_delay_alu instid0(VALU_DEP_4) | instskip(NEXT) | instid1(VALU_DEP_1)
	v_add_co_u32 v102, s16, v12, v14
	v_add_co_ci_u32_e64 v103, s16, 0, v13, s16
	v_add_co_ci_u32_e64 v49, s11, 0, v13, s11
	s_delay_alu instid0(VALU_DEP_4) | instskip(NEXT) | instid1(VALU_DEP_1)
	v_add_co_u32 v112, s16, v12, v8
	v_add_co_ci_u32_e64 v113, s16, v13, v9, s16
	v_add_co_u32 v114, s16, v102, v14
	v_xor_b32_e32 v205, 0x80000000, v17
	v_xor_b32_e32 v204, 0x80000000, v16
	v_cmp_eq_u32_e64 s11, 0, v15
	v_cmp_lt_u32_e64 s14, 1, v15
	v_cmp_lt_u32_e64 s15, 3, v15
	v_dual_mov_b32 v14, s20 :: v_dual_mov_b32 v15, s21
	v_xor_b32_e32 v189, 0x80000000, v19
	v_xor_b32_e32 v186, 0x80000000, v18
	;; [unrolled: 1-line block ×13, first 2 shown]
	v_lshrrev_b32_e32 v139, 5, v27
	v_cmp_gt_u32_e64 s5, 8, v26
	v_cmp_lt_u32_e64 s6, 31, v26
	v_cmp_eq_u32_e64 s7, 0, v37
	v_cmp_eq_u32_e64 s10, 0, v26
	v_add_co_ci_u32_e64 v115, s16, 0, v103, s16
	v_sub_nc_u32_e32 v141, v11, v10
	v_dual_mov_b32 v16, s22 :: v_dual_mov_b32 v17, s23
	s_waitcnt lgkmcnt(0)
	s_waitcnt_vscnt null, 0x0
	s_barrier
	buffer_gl0_inv
	s_branch .LBB607_53
.LBB607_52:                             ;   in Loop: Header=BB607_53 Depth=1
	s_or_b32 exec_lo, exec_lo, s17
	s_delay_alu instid0(SALU_CYCLE_1) | instskip(NEXT) | instid1(SALU_CYCLE_1)
	s_and_b32 s16, exec_lo, s18
	s_or_b32 s20, s16, s20
	s_delay_alu instid0(SALU_CYCLE_1)
	s_and_not1_b32 exec_lo, exec_lo, s20
	s_cbranch_execz .LBB607_93
.LBB607_53:                             ; =>This Inner Loop Header: Depth=1
	v_min_u32_e32 v4, s19, v141
	v_mov_b32_e32 v142, v205
	v_dual_mov_b32 v98, v166 :: v_dual_mov_b32 v99, v167
	v_dual_mov_b32 v52, v198 :: v_dual_mov_b32 v31, v208
	s_delay_alu instid0(VALU_DEP_4) | instskip(NEXT) | instid1(VALU_DEP_4)
	v_lshlrev_b32_e64 v4, v4, -1
	v_lshrrev_b32_e32 v8, v10, v142
	v_mov_b32_e32 v84, v176
	v_mov_b32_e32 v68, v178
	;; [unrolled: 1-line block ×3, first 2 shown]
	v_not_b32_e32 v18, v4
	v_mov_b32_e32 v80, v182
	v_mov_b32_e32 v64, v192
	v_dual_mov_b32 v50, v194 :: v_dual_mov_b32 v53, v199
	s_delay_alu instid0(VALU_DEP_4) | instskip(SKIP_3) | instid1(VALU_DEP_4)
	v_and_b32_e32 v4, v8, v18
	v_mov_b32_e32 v32, v209
	v_dual_mov_b32 v8, v210 :: v_dual_mov_b32 v35, v212
	v_mov_b32_e32 v143, v204
	v_and_b32_e32 v19, 1, v4
	v_lshlrev_b32_e32 v20, 30, v4
	v_dual_mov_b32 v153, v186 :: v_dual_lshlrev_b32 v22, 29, v4
	v_dual_mov_b32 v36, v213 :: v_dual_mov_b32 v33, v214
	s_delay_alu instid0(VALU_DEP_4) | instskip(NEXT) | instid1(VALU_DEP_1)
	v_add_co_u32 v19, s16, v19, -1
	v_cndmask_b32_e64 v21, 0, 1, s16
	v_not_b32_e32 v23, v20
	v_dual_mov_b32 v34, v215 :: v_dual_mov_b32 v37, v224
	v_mov_b32_e32 v38, v225
	s_delay_alu instid0(VALU_DEP_4)
	v_cmp_ne_u32_e64 s16, 0, v21
	v_lshlrev_b32_e32 v21, 28, v4
	v_cmp_gt_i32_e64 s17, 0, v20
	v_not_b32_e32 v20, v22
	v_ashrrev_i32_e32 v23, 31, v23
	v_xor_b32_e32 v19, s16, v19
	v_cmp_gt_i32_e64 s16, 0, v22
	v_not_b32_e32 v22, v21
	v_ashrrev_i32_e32 v20, 31, v20
	v_xor_b32_e32 v23, s17, v23
	v_dual_mov_b32 v152, v189 :: v_dual_and_b32 v19, exec_lo, v19
	v_dual_mov_b32 v159, v184 :: v_dual_lshlrev_b32 v24, 27, v4
	v_cmp_gt_i32_e64 s17, 0, v21
	v_ashrrev_i32_e32 v21, 31, v22
	v_xor_b32_e32 v20, s16, v20
	v_dual_mov_b32 v158, v185 :: v_dual_and_b32 v19, v19, v23
	v_not_b32_e32 v22, v24
	v_dual_mov_b32 v170, v174 :: v_dual_lshlrev_b32 v23, 26, v4
	v_cmp_gt_i32_e64 s16, 0, v24
	v_xor_b32_e32 v21, s17, v21
	v_dual_mov_b32 v168, v188 :: v_dual_and_b32 v19, v19, v20
	v_ashrrev_i32_e32 v20, 31, v22
	v_not_b32_e32 v22, v23
	v_dual_mov_b32 v169, v175 :: v_dual_lshlrev_b32 v24, 25, v4
	s_delay_alu instid0(VALU_DEP_4) | instskip(NEXT) | instid1(VALU_DEP_4)
	v_dual_mov_b32 v172, v190 :: v_dual_and_b32 v19, v19, v21
	v_xor_b32_e32 v20, s16, v20
	v_cmp_gt_i32_e64 s16, 0, v23
	v_ashrrev_i32_e32 v21, 31, v22
	v_not_b32_e32 v22, v24
	v_mov_b32_e32 v173, v187
	v_dual_mov_b32 v154, v200 :: v_dual_and_b32 v19, v19, v20
	v_lshlrev_b32_e32 v20, 24, v4
	v_xor_b32_e32 v21, s16, v21
	v_cmp_gt_i32_e64 s16, 0, v24
	v_ashrrev_i32_e32 v22, 31, v22
	v_mov_b32_e32 v156, v201
	v_not_b32_e32 v23, v20
	v_and_b32_e32 v19, v19, v21
	v_lshl_add_u32 v4, v4, 3, v139
	v_xor_b32_e32 v21, s16, v22
	v_cmp_gt_i32_e64 s16, 0, v20
	v_ashrrev_i32_e32 v20, 31, v23
	v_dual_mov_b32 v54, v196 :: v_dual_mov_b32 v9, v211
	s_delay_alu instid0(VALU_DEP_4) | instskip(SKIP_1) | instid1(VALU_DEP_4)
	v_dual_mov_b32 v96, v162 :: v_dual_and_b32 v19, v19, v21
	v_mov_b32_e32 v97, v163
	v_xor_b32_e32 v20, s16, v20
	v_dual_mov_b32 v86, v164 :: v_dual_mov_b32 v87, v165
	v_mov_b32_e32 v85, v177
	v_mov_b32_e32 v69, v179
	s_delay_alu instid0(VALU_DEP_4)
	v_and_b32_e32 v19, v19, v20
	v_lshlrev_b64 v[20:21], 2, v[4:5]
	v_mov_b32_e32 v83, v181
	v_mov_b32_e32 v81, v183
	;; [unrolled: 1-line block ×3, first 2 shown]
	v_mbcnt_lo_u32_b32 v39, v19, 0
	v_cmp_ne_u32_e64 s17, 0, v19
	v_add_co_u32 v116, s18, v28, v20
	v_mov_b32_e32 v51, v195
	s_delay_alu instid0(VALU_DEP_4)
	v_cmp_eq_u32_e64 s16, 0, v39
	v_mov_b32_e32 v55, v197
	v_mov_b32_e32 v171, v191
	;; [unrolled: 1-line block ×4, first 2 shown]
	v_add_co_ci_u32_e64 v117, s18, v138, v21, s18
	s_and_b32 s17, s17, s16
	s_clause 0x1
	flat_store_b128 v[66:67], v[14:17] offset:32
	flat_store_b128 v[70:71], v[14:17] offset:16
	s_waitcnt lgkmcnt(0)
	s_waitcnt_vscnt null, 0x0
	s_barrier
	buffer_gl0_inv
	; wave barrier
	s_and_saveexec_b32 s16, s17
	s_cbranch_execz .LBB607_55
; %bb.54:                               ;   in Loop: Header=BB607_53 Depth=1
	v_bcnt_u32_b32 v4, v19, 0
	flat_store_b32 v[116:117], v4
.LBB607_55:                             ;   in Loop: Header=BB607_53 Depth=1
	s_or_b32 exec_lo, exec_lo, s16
	v_lshrrev_b32_e32 v4, v10, v143
	; wave barrier
	s_delay_alu instid0(VALU_DEP_1) | instskip(NEXT) | instid1(VALU_DEP_1)
	v_and_b32_e32 v21, v4, v18
	v_lshl_add_u32 v4, v21, 3, v139
	v_lshlrev_b32_e32 v22, 29, v21
	v_lshlrev_b32_e32 v23, 28, v21
	s_delay_alu instid0(VALU_DEP_3) | instskip(SKIP_1) | instid1(VALU_DEP_2)
	v_lshlrev_b64 v[19:20], 2, v[4:5]
	v_and_b32_e32 v4, 1, v21
	v_add_co_u32 v118, s16, v28, v19
	s_delay_alu instid0(VALU_DEP_1) | instskip(NEXT) | instid1(VALU_DEP_3)
	v_add_co_ci_u32_e64 v119, s16, v138, v20, s16
	v_add_co_u32 v4, s16, v4, -1
	s_delay_alu instid0(VALU_DEP_1) | instskip(SKIP_3) | instid1(VALU_DEP_2)
	v_cndmask_b32_e64 v19, 0, 1, s16
	flat_load_b32 v180, v[118:119]
	v_lshlrev_b32_e32 v20, 30, v21
	; wave barrier
	v_cmp_ne_u32_e64 s16, 0, v19
	v_not_b32_e32 v19, v20
	s_delay_alu instid0(VALU_DEP_2) | instskip(SKIP_1) | instid1(VALU_DEP_3)
	v_xor_b32_e32 v4, s16, v4
	v_cmp_gt_i32_e64 s16, 0, v20
	v_ashrrev_i32_e32 v19, 31, v19
	v_not_b32_e32 v20, v22
	s_delay_alu instid0(VALU_DEP_4) | instskip(NEXT) | instid1(VALU_DEP_3)
	v_and_b32_e32 v4, exec_lo, v4
	v_xor_b32_e32 v19, s16, v19
	v_cmp_gt_i32_e64 s16, 0, v22
	s_delay_alu instid0(VALU_DEP_4) | instskip(SKIP_1) | instid1(VALU_DEP_4)
	v_ashrrev_i32_e32 v20, 31, v20
	v_not_b32_e32 v22, v23
	v_and_b32_e32 v4, v4, v19
	v_lshlrev_b32_e32 v19, 27, v21
	s_delay_alu instid0(VALU_DEP_4) | instskip(SKIP_2) | instid1(VALU_DEP_4)
	v_xor_b32_e32 v20, s16, v20
	v_cmp_gt_i32_e64 s16, 0, v23
	v_ashrrev_i32_e32 v22, 31, v22
	v_not_b32_e32 v23, v19
	s_delay_alu instid0(VALU_DEP_4) | instskip(SKIP_1) | instid1(VALU_DEP_4)
	v_and_b32_e32 v4, v4, v20
	v_lshlrev_b32_e32 v20, 26, v21
	v_xor_b32_e32 v22, s16, v22
	v_cmp_gt_i32_e64 s16, 0, v19
	v_ashrrev_i32_e32 v19, 31, v23
	s_delay_alu instid0(VALU_DEP_4) | instskip(NEXT) | instid1(VALU_DEP_4)
	v_not_b32_e32 v23, v20
	v_and_b32_e32 v4, v4, v22
	v_lshlrev_b32_e32 v22, 25, v21
	s_delay_alu instid0(VALU_DEP_4) | instskip(SKIP_2) | instid1(VALU_DEP_4)
	v_xor_b32_e32 v19, s16, v19
	v_cmp_gt_i32_e64 s16, 0, v20
	v_ashrrev_i32_e32 v20, 31, v23
	v_not_b32_e32 v23, v22
	s_delay_alu instid0(VALU_DEP_4) | instskip(SKIP_1) | instid1(VALU_DEP_4)
	v_and_b32_e32 v4, v4, v19
	v_lshlrev_b32_e32 v19, 24, v21
	v_xor_b32_e32 v20, s16, v20
	v_cmp_gt_i32_e64 s16, 0, v22
	v_ashrrev_i32_e32 v21, 31, v23
	s_delay_alu instid0(VALU_DEP_4) | instskip(NEXT) | instid1(VALU_DEP_4)
	v_not_b32_e32 v22, v19
	v_and_b32_e32 v4, v4, v20
	s_delay_alu instid0(VALU_DEP_3) | instskip(SKIP_1) | instid1(VALU_DEP_4)
	v_xor_b32_e32 v20, s16, v21
	v_cmp_gt_i32_e64 s16, 0, v19
	v_ashrrev_i32_e32 v19, 31, v22
	s_delay_alu instid0(VALU_DEP_3) | instskip(NEXT) | instid1(VALU_DEP_2)
	v_and_b32_e32 v4, v4, v20
	v_xor_b32_e32 v19, s16, v19
	s_delay_alu instid0(VALU_DEP_1) | instskip(NEXT) | instid1(VALU_DEP_1)
	v_and_b32_e32 v4, v4, v19
	v_mbcnt_lo_u32_b32 v181, v4, 0
	v_cmp_ne_u32_e64 s17, 0, v4
	s_delay_alu instid0(VALU_DEP_2) | instskip(NEXT) | instid1(VALU_DEP_1)
	v_cmp_eq_u32_e64 s16, 0, v181
	s_and_b32 s17, s17, s16
	s_delay_alu instid0(SALU_CYCLE_1)
	s_and_saveexec_b32 s16, s17
	s_cbranch_execz .LBB607_57
; %bb.56:                               ;   in Loop: Header=BB607_53 Depth=1
	s_waitcnt vmcnt(0) lgkmcnt(0)
	v_bcnt_u32_b32 v4, v4, v180
	flat_store_b32 v[118:119], v4
.LBB607_57:                             ;   in Loop: Header=BB607_53 Depth=1
	s_or_b32 exec_lo, exec_lo, s16
	v_lshrrev_b32_e32 v4, v10, v152
	; wave barrier
	s_delay_alu instid0(VALU_DEP_1) | instskip(NEXT) | instid1(VALU_DEP_1)
	v_and_b32_e32 v21, v4, v18
	v_lshl_add_u32 v4, v21, 3, v139
	v_lshlrev_b32_e32 v22, 29, v21
	v_lshlrev_b32_e32 v23, 28, v21
	s_delay_alu instid0(VALU_DEP_3) | instskip(SKIP_1) | instid1(VALU_DEP_2)
	v_lshlrev_b64 v[19:20], 2, v[4:5]
	v_and_b32_e32 v4, 1, v21
	v_add_co_u32 v128, s16, v28, v19
	s_delay_alu instid0(VALU_DEP_1) | instskip(NEXT) | instid1(VALU_DEP_3)
	v_add_co_ci_u32_e64 v129, s16, v138, v20, s16
	v_add_co_u32 v4, s16, v4, -1
	s_delay_alu instid0(VALU_DEP_1) | instskip(SKIP_3) | instid1(VALU_DEP_2)
	v_cndmask_b32_e64 v19, 0, 1, s16
	flat_load_b32 v182, v[128:129]
	v_lshlrev_b32_e32 v20, 30, v21
	; wave barrier
	v_cmp_ne_u32_e64 s16, 0, v19
	v_not_b32_e32 v19, v20
	s_delay_alu instid0(VALU_DEP_2) | instskip(SKIP_1) | instid1(VALU_DEP_3)
	v_xor_b32_e32 v4, s16, v4
	v_cmp_gt_i32_e64 s16, 0, v20
	v_ashrrev_i32_e32 v19, 31, v19
	v_not_b32_e32 v20, v22
	s_delay_alu instid0(VALU_DEP_4) | instskip(NEXT) | instid1(VALU_DEP_3)
	v_and_b32_e32 v4, exec_lo, v4
	v_xor_b32_e32 v19, s16, v19
	v_cmp_gt_i32_e64 s16, 0, v22
	s_delay_alu instid0(VALU_DEP_4) | instskip(SKIP_1) | instid1(VALU_DEP_4)
	v_ashrrev_i32_e32 v20, 31, v20
	v_not_b32_e32 v22, v23
	v_and_b32_e32 v4, v4, v19
	v_lshlrev_b32_e32 v19, 27, v21
	s_delay_alu instid0(VALU_DEP_4) | instskip(SKIP_2) | instid1(VALU_DEP_4)
	v_xor_b32_e32 v20, s16, v20
	v_cmp_gt_i32_e64 s16, 0, v23
	v_ashrrev_i32_e32 v22, 31, v22
	v_not_b32_e32 v23, v19
	s_delay_alu instid0(VALU_DEP_4) | instskip(SKIP_1) | instid1(VALU_DEP_4)
	v_and_b32_e32 v4, v4, v20
	v_lshlrev_b32_e32 v20, 26, v21
	v_xor_b32_e32 v22, s16, v22
	v_cmp_gt_i32_e64 s16, 0, v19
	v_ashrrev_i32_e32 v19, 31, v23
	s_delay_alu instid0(VALU_DEP_4) | instskip(NEXT) | instid1(VALU_DEP_4)
	v_not_b32_e32 v23, v20
	v_and_b32_e32 v4, v4, v22
	v_lshlrev_b32_e32 v22, 25, v21
	s_delay_alu instid0(VALU_DEP_4) | instskip(SKIP_2) | instid1(VALU_DEP_4)
	v_xor_b32_e32 v19, s16, v19
	v_cmp_gt_i32_e64 s16, 0, v20
	v_ashrrev_i32_e32 v20, 31, v23
	v_not_b32_e32 v23, v22
	s_delay_alu instid0(VALU_DEP_4) | instskip(SKIP_1) | instid1(VALU_DEP_4)
	v_and_b32_e32 v4, v4, v19
	v_lshlrev_b32_e32 v19, 24, v21
	v_xor_b32_e32 v20, s16, v20
	v_cmp_gt_i32_e64 s16, 0, v22
	v_ashrrev_i32_e32 v21, 31, v23
	s_delay_alu instid0(VALU_DEP_4) | instskip(NEXT) | instid1(VALU_DEP_4)
	v_not_b32_e32 v22, v19
	v_and_b32_e32 v4, v4, v20
	s_delay_alu instid0(VALU_DEP_3) | instskip(SKIP_1) | instid1(VALU_DEP_4)
	v_xor_b32_e32 v20, s16, v21
	v_cmp_gt_i32_e64 s16, 0, v19
	v_ashrrev_i32_e32 v19, 31, v22
	s_delay_alu instid0(VALU_DEP_3) | instskip(NEXT) | instid1(VALU_DEP_2)
	v_and_b32_e32 v4, v4, v20
	v_xor_b32_e32 v19, s16, v19
	s_delay_alu instid0(VALU_DEP_1) | instskip(NEXT) | instid1(VALU_DEP_1)
	v_and_b32_e32 v4, v4, v19
	v_mbcnt_lo_u32_b32 v183, v4, 0
	v_cmp_ne_u32_e64 s17, 0, v4
	s_delay_alu instid0(VALU_DEP_2) | instskip(NEXT) | instid1(VALU_DEP_1)
	v_cmp_eq_u32_e64 s16, 0, v183
	s_and_b32 s17, s17, s16
	s_delay_alu instid0(SALU_CYCLE_1)
	s_and_saveexec_b32 s16, s17
	s_cbranch_execz .LBB607_59
; %bb.58:                               ;   in Loop: Header=BB607_53 Depth=1
	s_waitcnt vmcnt(0) lgkmcnt(0)
	v_bcnt_u32_b32 v4, v4, v182
	flat_store_b32 v[128:129], v4
.LBB607_59:                             ;   in Loop: Header=BB607_53 Depth=1
	s_or_b32 exec_lo, exec_lo, s16
	v_lshrrev_b32_e32 v4, v10, v153
	; wave barrier
	s_delay_alu instid0(VALU_DEP_1) | instskip(NEXT) | instid1(VALU_DEP_1)
	v_and_b32_e32 v21, v4, v18
	v_lshl_add_u32 v4, v21, 3, v139
	v_lshlrev_b32_e32 v22, 29, v21
	v_lshlrev_b32_e32 v23, 28, v21
	s_delay_alu instid0(VALU_DEP_3) | instskip(SKIP_1) | instid1(VALU_DEP_2)
	v_lshlrev_b64 v[19:20], 2, v[4:5]
	v_and_b32_e32 v4, 1, v21
	v_add_co_u32 v130, s16, v28, v19
	s_delay_alu instid0(VALU_DEP_1) | instskip(NEXT) | instid1(VALU_DEP_3)
	v_add_co_ci_u32_e64 v131, s16, v138, v20, s16
	v_add_co_u32 v4, s16, v4, -1
	s_delay_alu instid0(VALU_DEP_1) | instskip(SKIP_3) | instid1(VALU_DEP_2)
	v_cndmask_b32_e64 v19, 0, 1, s16
	flat_load_b32 v192, v[130:131]
	v_lshlrev_b32_e32 v20, 30, v21
	; wave barrier
	v_cmp_ne_u32_e64 s16, 0, v19
	v_not_b32_e32 v19, v20
	s_delay_alu instid0(VALU_DEP_2) | instskip(SKIP_1) | instid1(VALU_DEP_3)
	v_xor_b32_e32 v4, s16, v4
	v_cmp_gt_i32_e64 s16, 0, v20
	v_ashrrev_i32_e32 v19, 31, v19
	v_not_b32_e32 v20, v22
	s_delay_alu instid0(VALU_DEP_4) | instskip(NEXT) | instid1(VALU_DEP_3)
	v_and_b32_e32 v4, exec_lo, v4
	v_xor_b32_e32 v19, s16, v19
	v_cmp_gt_i32_e64 s16, 0, v22
	s_delay_alu instid0(VALU_DEP_4) | instskip(SKIP_1) | instid1(VALU_DEP_4)
	v_ashrrev_i32_e32 v20, 31, v20
	v_not_b32_e32 v22, v23
	v_and_b32_e32 v4, v4, v19
	v_lshlrev_b32_e32 v19, 27, v21
	s_delay_alu instid0(VALU_DEP_4) | instskip(SKIP_2) | instid1(VALU_DEP_4)
	v_xor_b32_e32 v20, s16, v20
	v_cmp_gt_i32_e64 s16, 0, v23
	v_ashrrev_i32_e32 v22, 31, v22
	v_not_b32_e32 v23, v19
	s_delay_alu instid0(VALU_DEP_4) | instskip(SKIP_1) | instid1(VALU_DEP_4)
	v_and_b32_e32 v4, v4, v20
	v_lshlrev_b32_e32 v20, 26, v21
	v_xor_b32_e32 v22, s16, v22
	v_cmp_gt_i32_e64 s16, 0, v19
	v_ashrrev_i32_e32 v19, 31, v23
	s_delay_alu instid0(VALU_DEP_4) | instskip(NEXT) | instid1(VALU_DEP_4)
	v_not_b32_e32 v23, v20
	v_and_b32_e32 v4, v4, v22
	v_lshlrev_b32_e32 v22, 25, v21
	s_delay_alu instid0(VALU_DEP_4) | instskip(SKIP_2) | instid1(VALU_DEP_4)
	v_xor_b32_e32 v19, s16, v19
	v_cmp_gt_i32_e64 s16, 0, v20
	v_ashrrev_i32_e32 v20, 31, v23
	v_not_b32_e32 v23, v22
	s_delay_alu instid0(VALU_DEP_4) | instskip(SKIP_1) | instid1(VALU_DEP_4)
	v_and_b32_e32 v4, v4, v19
	v_lshlrev_b32_e32 v19, 24, v21
	v_xor_b32_e32 v20, s16, v20
	v_cmp_gt_i32_e64 s16, 0, v22
	v_ashrrev_i32_e32 v21, 31, v23
	s_delay_alu instid0(VALU_DEP_4) | instskip(NEXT) | instid1(VALU_DEP_4)
	v_not_b32_e32 v22, v19
	v_and_b32_e32 v4, v4, v20
	s_delay_alu instid0(VALU_DEP_3) | instskip(SKIP_1) | instid1(VALU_DEP_4)
	v_xor_b32_e32 v20, s16, v21
	v_cmp_gt_i32_e64 s16, 0, v19
	v_ashrrev_i32_e32 v19, 31, v22
	s_delay_alu instid0(VALU_DEP_3) | instskip(NEXT) | instid1(VALU_DEP_2)
	v_and_b32_e32 v4, v4, v20
	v_xor_b32_e32 v19, s16, v19
	s_delay_alu instid0(VALU_DEP_1) | instskip(NEXT) | instid1(VALU_DEP_1)
	v_and_b32_e32 v4, v4, v19
	v_mbcnt_lo_u32_b32 v193, v4, 0
	v_cmp_ne_u32_e64 s17, 0, v4
	s_delay_alu instid0(VALU_DEP_2) | instskip(NEXT) | instid1(VALU_DEP_1)
	v_cmp_eq_u32_e64 s16, 0, v193
	s_and_b32 s17, s17, s16
	s_delay_alu instid0(SALU_CYCLE_1)
	s_and_saveexec_b32 s16, s17
	s_cbranch_execz .LBB607_61
; %bb.60:                               ;   in Loop: Header=BB607_53 Depth=1
	s_waitcnt vmcnt(0) lgkmcnt(0)
	v_bcnt_u32_b32 v4, v4, v192
	flat_store_b32 v[130:131], v4
.LBB607_61:                             ;   in Loop: Header=BB607_53 Depth=1
	s_or_b32 exec_lo, exec_lo, s16
	v_lshrrev_b32_e32 v4, v10, v158
	; wave barrier
	s_delay_alu instid0(VALU_DEP_1) | instskip(NEXT) | instid1(VALU_DEP_1)
	v_and_b32_e32 v21, v4, v18
	v_lshl_add_u32 v4, v21, 3, v139
	v_lshlrev_b32_e32 v22, 29, v21
	v_lshlrev_b32_e32 v23, 28, v21
	s_delay_alu instid0(VALU_DEP_3) | instskip(SKIP_1) | instid1(VALU_DEP_2)
	v_lshlrev_b64 v[19:20], 2, v[4:5]
	v_and_b32_e32 v4, 1, v21
	v_add_co_u32 v132, s16, v28, v19
	s_delay_alu instid0(VALU_DEP_1) | instskip(NEXT) | instid1(VALU_DEP_3)
	v_add_co_ci_u32_e64 v133, s16, v138, v20, s16
	v_add_co_u32 v4, s16, v4, -1
	s_delay_alu instid0(VALU_DEP_1) | instskip(SKIP_3) | instid1(VALU_DEP_2)
	v_cndmask_b32_e64 v19, 0, 1, s16
	flat_load_b32 v194, v[132:133]
	v_lshlrev_b32_e32 v20, 30, v21
	; wave barrier
	v_cmp_ne_u32_e64 s16, 0, v19
	v_not_b32_e32 v19, v20
	s_delay_alu instid0(VALU_DEP_2) | instskip(SKIP_1) | instid1(VALU_DEP_3)
	v_xor_b32_e32 v4, s16, v4
	v_cmp_gt_i32_e64 s16, 0, v20
	v_ashrrev_i32_e32 v19, 31, v19
	v_not_b32_e32 v20, v22
	s_delay_alu instid0(VALU_DEP_4) | instskip(NEXT) | instid1(VALU_DEP_3)
	v_and_b32_e32 v4, exec_lo, v4
	v_xor_b32_e32 v19, s16, v19
	v_cmp_gt_i32_e64 s16, 0, v22
	s_delay_alu instid0(VALU_DEP_4) | instskip(SKIP_1) | instid1(VALU_DEP_4)
	v_ashrrev_i32_e32 v20, 31, v20
	v_not_b32_e32 v22, v23
	v_and_b32_e32 v4, v4, v19
	v_lshlrev_b32_e32 v19, 27, v21
	s_delay_alu instid0(VALU_DEP_4) | instskip(SKIP_2) | instid1(VALU_DEP_4)
	v_xor_b32_e32 v20, s16, v20
	v_cmp_gt_i32_e64 s16, 0, v23
	v_ashrrev_i32_e32 v22, 31, v22
	v_not_b32_e32 v23, v19
	s_delay_alu instid0(VALU_DEP_4) | instskip(SKIP_1) | instid1(VALU_DEP_4)
	v_and_b32_e32 v4, v4, v20
	v_lshlrev_b32_e32 v20, 26, v21
	v_xor_b32_e32 v22, s16, v22
	v_cmp_gt_i32_e64 s16, 0, v19
	v_ashrrev_i32_e32 v19, 31, v23
	s_delay_alu instid0(VALU_DEP_4) | instskip(NEXT) | instid1(VALU_DEP_4)
	v_not_b32_e32 v23, v20
	v_and_b32_e32 v4, v4, v22
	v_lshlrev_b32_e32 v22, 25, v21
	s_delay_alu instid0(VALU_DEP_4) | instskip(SKIP_2) | instid1(VALU_DEP_4)
	v_xor_b32_e32 v19, s16, v19
	v_cmp_gt_i32_e64 s16, 0, v20
	v_ashrrev_i32_e32 v20, 31, v23
	v_not_b32_e32 v23, v22
	s_delay_alu instid0(VALU_DEP_4) | instskip(SKIP_1) | instid1(VALU_DEP_4)
	v_and_b32_e32 v4, v4, v19
	v_lshlrev_b32_e32 v19, 24, v21
	v_xor_b32_e32 v20, s16, v20
	v_cmp_gt_i32_e64 s16, 0, v22
	v_ashrrev_i32_e32 v21, 31, v23
	s_delay_alu instid0(VALU_DEP_4) | instskip(NEXT) | instid1(VALU_DEP_4)
	v_not_b32_e32 v22, v19
	v_and_b32_e32 v4, v4, v20
	s_delay_alu instid0(VALU_DEP_3) | instskip(SKIP_1) | instid1(VALU_DEP_4)
	v_xor_b32_e32 v20, s16, v21
	v_cmp_gt_i32_e64 s16, 0, v19
	v_ashrrev_i32_e32 v19, 31, v22
	s_delay_alu instid0(VALU_DEP_3) | instskip(NEXT) | instid1(VALU_DEP_2)
	v_and_b32_e32 v4, v4, v20
	v_xor_b32_e32 v19, s16, v19
	s_delay_alu instid0(VALU_DEP_1) | instskip(NEXT) | instid1(VALU_DEP_1)
	v_and_b32_e32 v4, v4, v19
	v_mbcnt_lo_u32_b32 v195, v4, 0
	v_cmp_ne_u32_e64 s17, 0, v4
	s_delay_alu instid0(VALU_DEP_2) | instskip(NEXT) | instid1(VALU_DEP_1)
	v_cmp_eq_u32_e64 s16, 0, v195
	s_and_b32 s17, s17, s16
	s_delay_alu instid0(SALU_CYCLE_1)
	s_and_saveexec_b32 s16, s17
	s_cbranch_execz .LBB607_63
; %bb.62:                               ;   in Loop: Header=BB607_53 Depth=1
	s_waitcnt vmcnt(0) lgkmcnt(0)
	v_bcnt_u32_b32 v4, v4, v194
	flat_store_b32 v[132:133], v4
.LBB607_63:                             ;   in Loop: Header=BB607_53 Depth=1
	s_or_b32 exec_lo, exec_lo, s16
	v_lshrrev_b32_e32 v4, v10, v159
	; wave barrier
	s_delay_alu instid0(VALU_DEP_1) | instskip(NEXT) | instid1(VALU_DEP_1)
	v_and_b32_e32 v21, v4, v18
	v_lshl_add_u32 v4, v21, 3, v139
	v_lshlrev_b32_e32 v22, 29, v21
	v_lshlrev_b32_e32 v23, 28, v21
	s_delay_alu instid0(VALU_DEP_3) | instskip(SKIP_1) | instid1(VALU_DEP_2)
	v_lshlrev_b64 v[19:20], 2, v[4:5]
	v_and_b32_e32 v4, 1, v21
	v_add_co_u32 v134, s16, v28, v19
	s_delay_alu instid0(VALU_DEP_1) | instskip(NEXT) | instid1(VALU_DEP_3)
	v_add_co_ci_u32_e64 v135, s16, v138, v20, s16
	v_add_co_u32 v4, s16, v4, -1
	s_delay_alu instid0(VALU_DEP_1) | instskip(SKIP_3) | instid1(VALU_DEP_2)
	v_cndmask_b32_e64 v19, 0, 1, s16
	flat_load_b32 v196, v[134:135]
	v_lshlrev_b32_e32 v20, 30, v21
	; wave barrier
	v_cmp_ne_u32_e64 s16, 0, v19
	v_not_b32_e32 v19, v20
	s_delay_alu instid0(VALU_DEP_2) | instskip(SKIP_1) | instid1(VALU_DEP_3)
	v_xor_b32_e32 v4, s16, v4
	v_cmp_gt_i32_e64 s16, 0, v20
	v_ashrrev_i32_e32 v19, 31, v19
	v_not_b32_e32 v20, v22
	s_delay_alu instid0(VALU_DEP_4) | instskip(NEXT) | instid1(VALU_DEP_3)
	v_and_b32_e32 v4, exec_lo, v4
	v_xor_b32_e32 v19, s16, v19
	v_cmp_gt_i32_e64 s16, 0, v22
	s_delay_alu instid0(VALU_DEP_4) | instskip(SKIP_1) | instid1(VALU_DEP_4)
	v_ashrrev_i32_e32 v20, 31, v20
	v_not_b32_e32 v22, v23
	v_and_b32_e32 v4, v4, v19
	v_lshlrev_b32_e32 v19, 27, v21
	s_delay_alu instid0(VALU_DEP_4) | instskip(SKIP_2) | instid1(VALU_DEP_4)
	v_xor_b32_e32 v20, s16, v20
	v_cmp_gt_i32_e64 s16, 0, v23
	v_ashrrev_i32_e32 v22, 31, v22
	v_not_b32_e32 v23, v19
	s_delay_alu instid0(VALU_DEP_4) | instskip(SKIP_1) | instid1(VALU_DEP_4)
	v_and_b32_e32 v4, v4, v20
	v_lshlrev_b32_e32 v20, 26, v21
	v_xor_b32_e32 v22, s16, v22
	v_cmp_gt_i32_e64 s16, 0, v19
	v_ashrrev_i32_e32 v19, 31, v23
	s_delay_alu instid0(VALU_DEP_4) | instskip(NEXT) | instid1(VALU_DEP_4)
	v_not_b32_e32 v23, v20
	v_and_b32_e32 v4, v4, v22
	v_lshlrev_b32_e32 v22, 25, v21
	s_delay_alu instid0(VALU_DEP_4) | instskip(SKIP_2) | instid1(VALU_DEP_4)
	v_xor_b32_e32 v19, s16, v19
	v_cmp_gt_i32_e64 s16, 0, v20
	v_ashrrev_i32_e32 v20, 31, v23
	v_not_b32_e32 v23, v22
	s_delay_alu instid0(VALU_DEP_4) | instskip(SKIP_1) | instid1(VALU_DEP_4)
	v_and_b32_e32 v4, v4, v19
	v_lshlrev_b32_e32 v19, 24, v21
	v_xor_b32_e32 v20, s16, v20
	v_cmp_gt_i32_e64 s16, 0, v22
	v_ashrrev_i32_e32 v21, 31, v23
	s_delay_alu instid0(VALU_DEP_4) | instskip(NEXT) | instid1(VALU_DEP_4)
	v_not_b32_e32 v22, v19
	v_and_b32_e32 v4, v4, v20
	s_delay_alu instid0(VALU_DEP_3) | instskip(SKIP_1) | instid1(VALU_DEP_4)
	v_xor_b32_e32 v20, s16, v21
	v_cmp_gt_i32_e64 s16, 0, v19
	v_ashrrev_i32_e32 v19, 31, v22
	s_delay_alu instid0(VALU_DEP_3) | instskip(NEXT) | instid1(VALU_DEP_2)
	v_and_b32_e32 v4, v4, v20
	v_xor_b32_e32 v19, s16, v19
	s_delay_alu instid0(VALU_DEP_1) | instskip(NEXT) | instid1(VALU_DEP_1)
	v_and_b32_e32 v4, v4, v19
	v_mbcnt_lo_u32_b32 v197, v4, 0
	v_cmp_ne_u32_e64 s17, 0, v4
	s_delay_alu instid0(VALU_DEP_2) | instskip(NEXT) | instid1(VALU_DEP_1)
	v_cmp_eq_u32_e64 s16, 0, v197
	s_and_b32 s17, s17, s16
	s_delay_alu instid0(SALU_CYCLE_1)
	s_and_saveexec_b32 s16, s17
	s_cbranch_execz .LBB607_65
; %bb.64:                               ;   in Loop: Header=BB607_53 Depth=1
	s_waitcnt vmcnt(0) lgkmcnt(0)
	v_bcnt_u32_b32 v4, v4, v196
	flat_store_b32 v[134:135], v4
.LBB607_65:                             ;   in Loop: Header=BB607_53 Depth=1
	s_or_b32 exec_lo, exec_lo, s16
	v_lshrrev_b32_e32 v4, v10, v170
	; wave barrier
	s_delay_alu instid0(VALU_DEP_1) | instskip(NEXT) | instid1(VALU_DEP_1)
	v_and_b32_e32 v21, v4, v18
	v_lshl_add_u32 v4, v21, 3, v139
	v_lshlrev_b32_e32 v22, 29, v21
	v_lshlrev_b32_e32 v23, 28, v21
	s_delay_alu instid0(VALU_DEP_3) | instskip(SKIP_1) | instid1(VALU_DEP_2)
	v_lshlrev_b64 v[19:20], 2, v[4:5]
	v_and_b32_e32 v4, 1, v21
	v_add_co_u32 v144, s16, v28, v19
	s_delay_alu instid0(VALU_DEP_1) | instskip(NEXT) | instid1(VALU_DEP_3)
	v_add_co_ci_u32_e64 v145, s16, v138, v20, s16
	v_add_co_u32 v4, s16, v4, -1
	s_delay_alu instid0(VALU_DEP_1) | instskip(SKIP_3) | instid1(VALU_DEP_2)
	v_cndmask_b32_e64 v19, 0, 1, s16
	flat_load_b32 v198, v[144:145]
	v_lshlrev_b32_e32 v20, 30, v21
	; wave barrier
	v_cmp_ne_u32_e64 s16, 0, v19
	v_not_b32_e32 v19, v20
	s_delay_alu instid0(VALU_DEP_2) | instskip(SKIP_1) | instid1(VALU_DEP_3)
	v_xor_b32_e32 v4, s16, v4
	v_cmp_gt_i32_e64 s16, 0, v20
	v_ashrrev_i32_e32 v19, 31, v19
	v_not_b32_e32 v20, v22
	s_delay_alu instid0(VALU_DEP_4) | instskip(NEXT) | instid1(VALU_DEP_3)
	v_and_b32_e32 v4, exec_lo, v4
	v_xor_b32_e32 v19, s16, v19
	v_cmp_gt_i32_e64 s16, 0, v22
	s_delay_alu instid0(VALU_DEP_4) | instskip(SKIP_1) | instid1(VALU_DEP_4)
	v_ashrrev_i32_e32 v20, 31, v20
	v_not_b32_e32 v22, v23
	v_and_b32_e32 v4, v4, v19
	v_lshlrev_b32_e32 v19, 27, v21
	s_delay_alu instid0(VALU_DEP_4) | instskip(SKIP_2) | instid1(VALU_DEP_4)
	v_xor_b32_e32 v20, s16, v20
	v_cmp_gt_i32_e64 s16, 0, v23
	v_ashrrev_i32_e32 v22, 31, v22
	v_not_b32_e32 v23, v19
	s_delay_alu instid0(VALU_DEP_4) | instskip(SKIP_1) | instid1(VALU_DEP_4)
	v_and_b32_e32 v4, v4, v20
	v_lshlrev_b32_e32 v20, 26, v21
	v_xor_b32_e32 v22, s16, v22
	v_cmp_gt_i32_e64 s16, 0, v19
	v_ashrrev_i32_e32 v19, 31, v23
	s_delay_alu instid0(VALU_DEP_4) | instskip(NEXT) | instid1(VALU_DEP_4)
	v_not_b32_e32 v23, v20
	v_and_b32_e32 v4, v4, v22
	v_lshlrev_b32_e32 v22, 25, v21
	s_delay_alu instid0(VALU_DEP_4) | instskip(SKIP_2) | instid1(VALU_DEP_4)
	v_xor_b32_e32 v19, s16, v19
	v_cmp_gt_i32_e64 s16, 0, v20
	v_ashrrev_i32_e32 v20, 31, v23
	v_not_b32_e32 v23, v22
	s_delay_alu instid0(VALU_DEP_4) | instskip(SKIP_1) | instid1(VALU_DEP_4)
	v_and_b32_e32 v4, v4, v19
	v_lshlrev_b32_e32 v19, 24, v21
	v_xor_b32_e32 v20, s16, v20
	v_cmp_gt_i32_e64 s16, 0, v22
	v_ashrrev_i32_e32 v21, 31, v23
	s_delay_alu instid0(VALU_DEP_4) | instskip(NEXT) | instid1(VALU_DEP_4)
	v_not_b32_e32 v22, v19
	v_and_b32_e32 v4, v4, v20
	s_delay_alu instid0(VALU_DEP_3) | instskip(SKIP_1) | instid1(VALU_DEP_4)
	v_xor_b32_e32 v20, s16, v21
	v_cmp_gt_i32_e64 s16, 0, v19
	v_ashrrev_i32_e32 v19, 31, v22
	s_delay_alu instid0(VALU_DEP_3) | instskip(NEXT) | instid1(VALU_DEP_2)
	v_and_b32_e32 v4, v4, v20
	v_xor_b32_e32 v19, s16, v19
	s_delay_alu instid0(VALU_DEP_1) | instskip(NEXT) | instid1(VALU_DEP_1)
	v_and_b32_e32 v4, v4, v19
	v_mbcnt_lo_u32_b32 v199, v4, 0
	v_cmp_ne_u32_e64 s17, 0, v4
	s_delay_alu instid0(VALU_DEP_2) | instskip(NEXT) | instid1(VALU_DEP_1)
	v_cmp_eq_u32_e64 s16, 0, v199
	s_and_b32 s17, s17, s16
	s_delay_alu instid0(SALU_CYCLE_1)
	s_and_saveexec_b32 s16, s17
	s_cbranch_execz .LBB607_67
; %bb.66:                               ;   in Loop: Header=BB607_53 Depth=1
	s_waitcnt vmcnt(0) lgkmcnt(0)
	v_bcnt_u32_b32 v4, v4, v198
	flat_store_b32 v[144:145], v4
.LBB607_67:                             ;   in Loop: Header=BB607_53 Depth=1
	s_or_b32 exec_lo, exec_lo, s16
	v_lshrrev_b32_e32 v4, v10, v169
	; wave barrier
	s_delay_alu instid0(VALU_DEP_1) | instskip(NEXT) | instid1(VALU_DEP_1)
	v_and_b32_e32 v21, v4, v18
	v_lshl_add_u32 v4, v21, 3, v139
	v_lshlrev_b32_e32 v22, 29, v21
	v_lshlrev_b32_e32 v23, 28, v21
	s_delay_alu instid0(VALU_DEP_3) | instskip(SKIP_1) | instid1(VALU_DEP_2)
	v_lshlrev_b64 v[19:20], 2, v[4:5]
	v_and_b32_e32 v4, 1, v21
	v_add_co_u32 v146, s16, v28, v19
	s_delay_alu instid0(VALU_DEP_1) | instskip(NEXT) | instid1(VALU_DEP_3)
	v_add_co_ci_u32_e64 v147, s16, v138, v20, s16
	v_add_co_u32 v4, s16, v4, -1
	s_delay_alu instid0(VALU_DEP_1) | instskip(SKIP_3) | instid1(VALU_DEP_2)
	v_cndmask_b32_e64 v19, 0, 1, s16
	flat_load_b32 v208, v[146:147]
	v_lshlrev_b32_e32 v20, 30, v21
	; wave barrier
	v_cmp_ne_u32_e64 s16, 0, v19
	v_not_b32_e32 v19, v20
	s_delay_alu instid0(VALU_DEP_2) | instskip(SKIP_1) | instid1(VALU_DEP_3)
	v_xor_b32_e32 v4, s16, v4
	v_cmp_gt_i32_e64 s16, 0, v20
	v_ashrrev_i32_e32 v19, 31, v19
	v_not_b32_e32 v20, v22
	s_delay_alu instid0(VALU_DEP_4) | instskip(NEXT) | instid1(VALU_DEP_3)
	v_and_b32_e32 v4, exec_lo, v4
	v_xor_b32_e32 v19, s16, v19
	v_cmp_gt_i32_e64 s16, 0, v22
	s_delay_alu instid0(VALU_DEP_4) | instskip(SKIP_1) | instid1(VALU_DEP_4)
	v_ashrrev_i32_e32 v20, 31, v20
	v_not_b32_e32 v22, v23
	v_and_b32_e32 v4, v4, v19
	v_lshlrev_b32_e32 v19, 27, v21
	s_delay_alu instid0(VALU_DEP_4) | instskip(SKIP_2) | instid1(VALU_DEP_4)
	v_xor_b32_e32 v20, s16, v20
	v_cmp_gt_i32_e64 s16, 0, v23
	v_ashrrev_i32_e32 v22, 31, v22
	v_not_b32_e32 v23, v19
	s_delay_alu instid0(VALU_DEP_4) | instskip(SKIP_1) | instid1(VALU_DEP_4)
	v_and_b32_e32 v4, v4, v20
	v_lshlrev_b32_e32 v20, 26, v21
	v_xor_b32_e32 v22, s16, v22
	v_cmp_gt_i32_e64 s16, 0, v19
	v_ashrrev_i32_e32 v19, 31, v23
	s_delay_alu instid0(VALU_DEP_4) | instskip(NEXT) | instid1(VALU_DEP_4)
	v_not_b32_e32 v23, v20
	v_and_b32_e32 v4, v4, v22
	v_lshlrev_b32_e32 v22, 25, v21
	s_delay_alu instid0(VALU_DEP_4) | instskip(SKIP_2) | instid1(VALU_DEP_4)
	v_xor_b32_e32 v19, s16, v19
	v_cmp_gt_i32_e64 s16, 0, v20
	v_ashrrev_i32_e32 v20, 31, v23
	v_not_b32_e32 v23, v22
	s_delay_alu instid0(VALU_DEP_4) | instskip(SKIP_1) | instid1(VALU_DEP_4)
	v_and_b32_e32 v4, v4, v19
	v_lshlrev_b32_e32 v19, 24, v21
	v_xor_b32_e32 v20, s16, v20
	v_cmp_gt_i32_e64 s16, 0, v22
	v_ashrrev_i32_e32 v21, 31, v23
	s_delay_alu instid0(VALU_DEP_4) | instskip(NEXT) | instid1(VALU_DEP_4)
	v_not_b32_e32 v22, v19
	v_and_b32_e32 v4, v4, v20
	s_delay_alu instid0(VALU_DEP_3) | instskip(SKIP_1) | instid1(VALU_DEP_4)
	v_xor_b32_e32 v20, s16, v21
	v_cmp_gt_i32_e64 s16, 0, v19
	v_ashrrev_i32_e32 v19, 31, v22
	s_delay_alu instid0(VALU_DEP_3) | instskip(NEXT) | instid1(VALU_DEP_2)
	v_and_b32_e32 v4, v4, v20
	v_xor_b32_e32 v19, s16, v19
	s_delay_alu instid0(VALU_DEP_1) | instskip(NEXT) | instid1(VALU_DEP_1)
	v_and_b32_e32 v4, v4, v19
	v_mbcnt_lo_u32_b32 v209, v4, 0
	v_cmp_ne_u32_e64 s17, 0, v4
	s_delay_alu instid0(VALU_DEP_2) | instskip(NEXT) | instid1(VALU_DEP_1)
	v_cmp_eq_u32_e64 s16, 0, v209
	s_and_b32 s17, s17, s16
	s_delay_alu instid0(SALU_CYCLE_1)
	s_and_saveexec_b32 s16, s17
	s_cbranch_execz .LBB607_69
; %bb.68:                               ;   in Loop: Header=BB607_53 Depth=1
	s_waitcnt vmcnt(0) lgkmcnt(0)
	v_bcnt_u32_b32 v4, v4, v208
	flat_store_b32 v[146:147], v4
.LBB607_69:                             ;   in Loop: Header=BB607_53 Depth=1
	s_or_b32 exec_lo, exec_lo, s16
	v_lshrrev_b32_e32 v4, v10, v168
	; wave barrier
	s_delay_alu instid0(VALU_DEP_1) | instskip(NEXT) | instid1(VALU_DEP_1)
	v_and_b32_e32 v21, v4, v18
	v_lshl_add_u32 v4, v21, 3, v139
	v_lshlrev_b32_e32 v22, 29, v21
	v_lshlrev_b32_e32 v23, 28, v21
	s_delay_alu instid0(VALU_DEP_3) | instskip(SKIP_1) | instid1(VALU_DEP_2)
	v_lshlrev_b64 v[19:20], 2, v[4:5]
	v_and_b32_e32 v4, 1, v21
	v_add_co_u32 v148, s16, v28, v19
	s_delay_alu instid0(VALU_DEP_1) | instskip(NEXT) | instid1(VALU_DEP_3)
	v_add_co_ci_u32_e64 v149, s16, v138, v20, s16
	v_add_co_u32 v4, s16, v4, -1
	s_delay_alu instid0(VALU_DEP_1) | instskip(SKIP_3) | instid1(VALU_DEP_2)
	v_cndmask_b32_e64 v19, 0, 1, s16
	flat_load_b32 v210, v[148:149]
	v_lshlrev_b32_e32 v20, 30, v21
	; wave barrier
	v_cmp_ne_u32_e64 s16, 0, v19
	v_not_b32_e32 v19, v20
	s_delay_alu instid0(VALU_DEP_2) | instskip(SKIP_1) | instid1(VALU_DEP_3)
	v_xor_b32_e32 v4, s16, v4
	v_cmp_gt_i32_e64 s16, 0, v20
	v_ashrrev_i32_e32 v19, 31, v19
	v_not_b32_e32 v20, v22
	s_delay_alu instid0(VALU_DEP_4) | instskip(NEXT) | instid1(VALU_DEP_3)
	v_and_b32_e32 v4, exec_lo, v4
	v_xor_b32_e32 v19, s16, v19
	v_cmp_gt_i32_e64 s16, 0, v22
	s_delay_alu instid0(VALU_DEP_4) | instskip(SKIP_1) | instid1(VALU_DEP_4)
	v_ashrrev_i32_e32 v20, 31, v20
	v_not_b32_e32 v22, v23
	v_and_b32_e32 v4, v4, v19
	v_lshlrev_b32_e32 v19, 27, v21
	s_delay_alu instid0(VALU_DEP_4) | instskip(SKIP_2) | instid1(VALU_DEP_4)
	v_xor_b32_e32 v20, s16, v20
	v_cmp_gt_i32_e64 s16, 0, v23
	v_ashrrev_i32_e32 v22, 31, v22
	v_not_b32_e32 v23, v19
	s_delay_alu instid0(VALU_DEP_4) | instskip(SKIP_1) | instid1(VALU_DEP_4)
	v_and_b32_e32 v4, v4, v20
	v_lshlrev_b32_e32 v20, 26, v21
	v_xor_b32_e32 v22, s16, v22
	v_cmp_gt_i32_e64 s16, 0, v19
	v_ashrrev_i32_e32 v19, 31, v23
	s_delay_alu instid0(VALU_DEP_4) | instskip(NEXT) | instid1(VALU_DEP_4)
	v_not_b32_e32 v23, v20
	v_and_b32_e32 v4, v4, v22
	v_lshlrev_b32_e32 v22, 25, v21
	s_delay_alu instid0(VALU_DEP_4) | instskip(SKIP_2) | instid1(VALU_DEP_4)
	v_xor_b32_e32 v19, s16, v19
	v_cmp_gt_i32_e64 s16, 0, v20
	v_ashrrev_i32_e32 v20, 31, v23
	v_not_b32_e32 v23, v22
	s_delay_alu instid0(VALU_DEP_4) | instskip(SKIP_1) | instid1(VALU_DEP_4)
	v_and_b32_e32 v4, v4, v19
	v_lshlrev_b32_e32 v19, 24, v21
	v_xor_b32_e32 v20, s16, v20
	v_cmp_gt_i32_e64 s16, 0, v22
	v_ashrrev_i32_e32 v21, 31, v23
	s_delay_alu instid0(VALU_DEP_4) | instskip(NEXT) | instid1(VALU_DEP_4)
	v_not_b32_e32 v22, v19
	v_and_b32_e32 v4, v4, v20
	s_delay_alu instid0(VALU_DEP_3) | instskip(SKIP_1) | instid1(VALU_DEP_4)
	v_xor_b32_e32 v20, s16, v21
	v_cmp_gt_i32_e64 s16, 0, v19
	v_ashrrev_i32_e32 v19, 31, v22
	s_delay_alu instid0(VALU_DEP_3) | instskip(NEXT) | instid1(VALU_DEP_2)
	v_and_b32_e32 v4, v4, v20
	v_xor_b32_e32 v19, s16, v19
	s_delay_alu instid0(VALU_DEP_1) | instskip(NEXT) | instid1(VALU_DEP_1)
	v_and_b32_e32 v4, v4, v19
	v_mbcnt_lo_u32_b32 v211, v4, 0
	v_cmp_ne_u32_e64 s17, 0, v4
	s_delay_alu instid0(VALU_DEP_2) | instskip(NEXT) | instid1(VALU_DEP_1)
	v_cmp_eq_u32_e64 s16, 0, v211
	s_and_b32 s17, s17, s16
	s_delay_alu instid0(SALU_CYCLE_1)
	s_and_saveexec_b32 s16, s17
	s_cbranch_execz .LBB607_71
; %bb.70:                               ;   in Loop: Header=BB607_53 Depth=1
	s_waitcnt vmcnt(0) lgkmcnt(0)
	v_bcnt_u32_b32 v4, v4, v210
	flat_store_b32 v[148:149], v4
.LBB607_71:                             ;   in Loop: Header=BB607_53 Depth=1
	s_or_b32 exec_lo, exec_lo, s16
	v_lshrrev_b32_e32 v4, v10, v173
	; wave barrier
	s_delay_alu instid0(VALU_DEP_1) | instskip(NEXT) | instid1(VALU_DEP_1)
	v_and_b32_e32 v21, v4, v18
	v_lshl_add_u32 v4, v21, 3, v139
	v_lshlrev_b32_e32 v22, 29, v21
	v_lshlrev_b32_e32 v23, 28, v21
	s_delay_alu instid0(VALU_DEP_3) | instskip(SKIP_1) | instid1(VALU_DEP_2)
	v_lshlrev_b64 v[19:20], 2, v[4:5]
	v_and_b32_e32 v4, 1, v21
	v_add_co_u32 v150, s16, v28, v19
	s_delay_alu instid0(VALU_DEP_1) | instskip(NEXT) | instid1(VALU_DEP_3)
	v_add_co_ci_u32_e64 v151, s16, v138, v20, s16
	v_add_co_u32 v4, s16, v4, -1
	s_delay_alu instid0(VALU_DEP_1) | instskip(SKIP_3) | instid1(VALU_DEP_2)
	v_cndmask_b32_e64 v19, 0, 1, s16
	flat_load_b32 v212, v[150:151]
	v_lshlrev_b32_e32 v20, 30, v21
	; wave barrier
	v_cmp_ne_u32_e64 s16, 0, v19
	v_not_b32_e32 v19, v20
	s_delay_alu instid0(VALU_DEP_2) | instskip(SKIP_1) | instid1(VALU_DEP_3)
	v_xor_b32_e32 v4, s16, v4
	v_cmp_gt_i32_e64 s16, 0, v20
	v_ashrrev_i32_e32 v19, 31, v19
	v_not_b32_e32 v20, v22
	s_delay_alu instid0(VALU_DEP_4) | instskip(NEXT) | instid1(VALU_DEP_3)
	v_and_b32_e32 v4, exec_lo, v4
	v_xor_b32_e32 v19, s16, v19
	v_cmp_gt_i32_e64 s16, 0, v22
	s_delay_alu instid0(VALU_DEP_4) | instskip(SKIP_1) | instid1(VALU_DEP_4)
	v_ashrrev_i32_e32 v20, 31, v20
	v_not_b32_e32 v22, v23
	v_and_b32_e32 v4, v4, v19
	v_lshlrev_b32_e32 v19, 27, v21
	s_delay_alu instid0(VALU_DEP_4) | instskip(SKIP_2) | instid1(VALU_DEP_4)
	v_xor_b32_e32 v20, s16, v20
	v_cmp_gt_i32_e64 s16, 0, v23
	v_ashrrev_i32_e32 v22, 31, v22
	v_not_b32_e32 v23, v19
	s_delay_alu instid0(VALU_DEP_4) | instskip(SKIP_1) | instid1(VALU_DEP_4)
	v_and_b32_e32 v4, v4, v20
	v_lshlrev_b32_e32 v20, 26, v21
	v_xor_b32_e32 v22, s16, v22
	v_cmp_gt_i32_e64 s16, 0, v19
	v_ashrrev_i32_e32 v19, 31, v23
	s_delay_alu instid0(VALU_DEP_4) | instskip(NEXT) | instid1(VALU_DEP_4)
	v_not_b32_e32 v23, v20
	v_and_b32_e32 v4, v4, v22
	v_lshlrev_b32_e32 v22, 25, v21
	s_delay_alu instid0(VALU_DEP_4) | instskip(SKIP_2) | instid1(VALU_DEP_4)
	v_xor_b32_e32 v19, s16, v19
	v_cmp_gt_i32_e64 s16, 0, v20
	v_ashrrev_i32_e32 v20, 31, v23
	v_not_b32_e32 v23, v22
	s_delay_alu instid0(VALU_DEP_4) | instskip(SKIP_1) | instid1(VALU_DEP_4)
	v_and_b32_e32 v4, v4, v19
	v_lshlrev_b32_e32 v19, 24, v21
	v_xor_b32_e32 v20, s16, v20
	v_cmp_gt_i32_e64 s16, 0, v22
	v_ashrrev_i32_e32 v21, 31, v23
	s_delay_alu instid0(VALU_DEP_4) | instskip(NEXT) | instid1(VALU_DEP_4)
	v_not_b32_e32 v22, v19
	v_and_b32_e32 v4, v4, v20
	s_delay_alu instid0(VALU_DEP_3) | instskip(SKIP_1) | instid1(VALU_DEP_4)
	v_xor_b32_e32 v20, s16, v21
	v_cmp_gt_i32_e64 s16, 0, v19
	v_ashrrev_i32_e32 v19, 31, v22
	s_delay_alu instid0(VALU_DEP_3) | instskip(NEXT) | instid1(VALU_DEP_2)
	v_and_b32_e32 v4, v4, v20
	v_xor_b32_e32 v19, s16, v19
	s_delay_alu instid0(VALU_DEP_1) | instskip(NEXT) | instid1(VALU_DEP_1)
	v_and_b32_e32 v4, v4, v19
	v_mbcnt_lo_u32_b32 v213, v4, 0
	v_cmp_ne_u32_e64 s17, 0, v4
	s_delay_alu instid0(VALU_DEP_2) | instskip(NEXT) | instid1(VALU_DEP_1)
	v_cmp_eq_u32_e64 s16, 0, v213
	s_and_b32 s17, s17, s16
	s_delay_alu instid0(SALU_CYCLE_1)
	s_and_saveexec_b32 s16, s17
	s_cbranch_execz .LBB607_73
; %bb.72:                               ;   in Loop: Header=BB607_53 Depth=1
	s_waitcnt vmcnt(0) lgkmcnt(0)
	v_bcnt_u32_b32 v4, v4, v212
	flat_store_b32 v[150:151], v4
.LBB607_73:                             ;   in Loop: Header=BB607_53 Depth=1
	s_or_b32 exec_lo, exec_lo, s16
	v_lshrrev_b32_e32 v4, v10, v172
	; wave barrier
	s_delay_alu instid0(VALU_DEP_1) | instskip(NEXT) | instid1(VALU_DEP_1)
	v_and_b32_e32 v21, v4, v18
	v_lshl_add_u32 v4, v21, 3, v139
	v_lshlrev_b32_e32 v22, 29, v21
	v_lshlrev_b32_e32 v23, 28, v21
	s_delay_alu instid0(VALU_DEP_3) | instskip(SKIP_1) | instid1(VALU_DEP_2)
	v_lshlrev_b64 v[19:20], 2, v[4:5]
	v_and_b32_e32 v4, 1, v21
	v_add_co_u32 v160, s16, v28, v19
	s_delay_alu instid0(VALU_DEP_1) | instskip(NEXT) | instid1(VALU_DEP_3)
	v_add_co_ci_u32_e64 v161, s16, v138, v20, s16
	v_add_co_u32 v4, s16, v4, -1
	s_delay_alu instid0(VALU_DEP_1) | instskip(SKIP_3) | instid1(VALU_DEP_2)
	v_cndmask_b32_e64 v19, 0, 1, s16
	flat_load_b32 v214, v[160:161]
	v_lshlrev_b32_e32 v20, 30, v21
	; wave barrier
	v_cmp_ne_u32_e64 s16, 0, v19
	v_not_b32_e32 v19, v20
	s_delay_alu instid0(VALU_DEP_2) | instskip(SKIP_1) | instid1(VALU_DEP_3)
	v_xor_b32_e32 v4, s16, v4
	v_cmp_gt_i32_e64 s16, 0, v20
	v_ashrrev_i32_e32 v19, 31, v19
	v_not_b32_e32 v20, v22
	s_delay_alu instid0(VALU_DEP_4) | instskip(NEXT) | instid1(VALU_DEP_3)
	v_and_b32_e32 v4, exec_lo, v4
	v_xor_b32_e32 v19, s16, v19
	v_cmp_gt_i32_e64 s16, 0, v22
	s_delay_alu instid0(VALU_DEP_4) | instskip(SKIP_1) | instid1(VALU_DEP_4)
	v_ashrrev_i32_e32 v20, 31, v20
	v_not_b32_e32 v22, v23
	v_and_b32_e32 v4, v4, v19
	v_lshlrev_b32_e32 v19, 27, v21
	s_delay_alu instid0(VALU_DEP_4) | instskip(SKIP_2) | instid1(VALU_DEP_4)
	v_xor_b32_e32 v20, s16, v20
	v_cmp_gt_i32_e64 s16, 0, v23
	v_ashrrev_i32_e32 v22, 31, v22
	v_not_b32_e32 v23, v19
	s_delay_alu instid0(VALU_DEP_4) | instskip(SKIP_1) | instid1(VALU_DEP_4)
	v_and_b32_e32 v4, v4, v20
	v_lshlrev_b32_e32 v20, 26, v21
	v_xor_b32_e32 v22, s16, v22
	v_cmp_gt_i32_e64 s16, 0, v19
	v_ashrrev_i32_e32 v19, 31, v23
	s_delay_alu instid0(VALU_DEP_4) | instskip(NEXT) | instid1(VALU_DEP_4)
	v_not_b32_e32 v23, v20
	v_and_b32_e32 v4, v4, v22
	v_lshlrev_b32_e32 v22, 25, v21
	s_delay_alu instid0(VALU_DEP_4) | instskip(SKIP_2) | instid1(VALU_DEP_4)
	v_xor_b32_e32 v19, s16, v19
	v_cmp_gt_i32_e64 s16, 0, v20
	v_ashrrev_i32_e32 v20, 31, v23
	v_not_b32_e32 v23, v22
	s_delay_alu instid0(VALU_DEP_4) | instskip(SKIP_1) | instid1(VALU_DEP_4)
	v_and_b32_e32 v4, v4, v19
	v_lshlrev_b32_e32 v19, 24, v21
	v_xor_b32_e32 v20, s16, v20
	v_cmp_gt_i32_e64 s16, 0, v22
	v_ashrrev_i32_e32 v21, 31, v23
	s_delay_alu instid0(VALU_DEP_4) | instskip(NEXT) | instid1(VALU_DEP_4)
	v_not_b32_e32 v22, v19
	v_and_b32_e32 v4, v4, v20
	s_delay_alu instid0(VALU_DEP_3) | instskip(SKIP_1) | instid1(VALU_DEP_4)
	v_xor_b32_e32 v20, s16, v21
	v_cmp_gt_i32_e64 s16, 0, v19
	v_ashrrev_i32_e32 v19, 31, v22
	s_delay_alu instid0(VALU_DEP_3) | instskip(NEXT) | instid1(VALU_DEP_2)
	v_and_b32_e32 v4, v4, v20
	v_xor_b32_e32 v19, s16, v19
	s_delay_alu instid0(VALU_DEP_1) | instskip(NEXT) | instid1(VALU_DEP_1)
	v_and_b32_e32 v4, v4, v19
	v_mbcnt_lo_u32_b32 v215, v4, 0
	v_cmp_ne_u32_e64 s17, 0, v4
	s_delay_alu instid0(VALU_DEP_2) | instskip(NEXT) | instid1(VALU_DEP_1)
	v_cmp_eq_u32_e64 s16, 0, v215
	s_and_b32 s17, s17, s16
	s_delay_alu instid0(SALU_CYCLE_1)
	s_and_saveexec_b32 s16, s17
	s_cbranch_execz .LBB607_75
; %bb.74:                               ;   in Loop: Header=BB607_53 Depth=1
	s_waitcnt vmcnt(0) lgkmcnt(0)
	v_bcnt_u32_b32 v4, v4, v214
	flat_store_b32 v[160:161], v4
.LBB607_75:                             ;   in Loop: Header=BB607_53 Depth=1
	s_or_b32 exec_lo, exec_lo, s16
	v_lshrrev_b32_e32 v4, v10, v171
	; wave barrier
	s_delay_alu instid0(VALU_DEP_1) | instskip(NEXT) | instid1(VALU_DEP_1)
	v_and_b32_e32 v21, v4, v18
	v_lshl_add_u32 v4, v21, 3, v139
	v_lshlrev_b32_e32 v22, 29, v21
	v_lshlrev_b32_e32 v23, 28, v21
	s_delay_alu instid0(VALU_DEP_3) | instskip(SKIP_1) | instid1(VALU_DEP_2)
	v_lshlrev_b64 v[19:20], 2, v[4:5]
	v_and_b32_e32 v4, 1, v21
	v_add_co_u32 v162, s16, v28, v19
	s_delay_alu instid0(VALU_DEP_1) | instskip(NEXT) | instid1(VALU_DEP_3)
	v_add_co_ci_u32_e64 v163, s16, v138, v20, s16
	v_add_co_u32 v4, s16, v4, -1
	s_delay_alu instid0(VALU_DEP_1) | instskip(SKIP_3) | instid1(VALU_DEP_2)
	v_cndmask_b32_e64 v19, 0, 1, s16
	flat_load_b32 v224, v[162:163]
	v_lshlrev_b32_e32 v20, 30, v21
	; wave barrier
	v_cmp_ne_u32_e64 s16, 0, v19
	v_not_b32_e32 v19, v20
	s_delay_alu instid0(VALU_DEP_2) | instskip(SKIP_1) | instid1(VALU_DEP_3)
	v_xor_b32_e32 v4, s16, v4
	v_cmp_gt_i32_e64 s16, 0, v20
	v_ashrrev_i32_e32 v19, 31, v19
	v_not_b32_e32 v20, v22
	s_delay_alu instid0(VALU_DEP_4) | instskip(NEXT) | instid1(VALU_DEP_3)
	v_and_b32_e32 v4, exec_lo, v4
	v_xor_b32_e32 v19, s16, v19
	v_cmp_gt_i32_e64 s16, 0, v22
	s_delay_alu instid0(VALU_DEP_4) | instskip(SKIP_1) | instid1(VALU_DEP_4)
	v_ashrrev_i32_e32 v20, 31, v20
	v_not_b32_e32 v22, v23
	v_and_b32_e32 v4, v4, v19
	v_lshlrev_b32_e32 v19, 27, v21
	s_delay_alu instid0(VALU_DEP_4) | instskip(SKIP_2) | instid1(VALU_DEP_4)
	v_xor_b32_e32 v20, s16, v20
	v_cmp_gt_i32_e64 s16, 0, v23
	v_ashrrev_i32_e32 v22, 31, v22
	v_not_b32_e32 v23, v19
	s_delay_alu instid0(VALU_DEP_4) | instskip(SKIP_1) | instid1(VALU_DEP_4)
	v_and_b32_e32 v4, v4, v20
	v_lshlrev_b32_e32 v20, 26, v21
	v_xor_b32_e32 v22, s16, v22
	v_cmp_gt_i32_e64 s16, 0, v19
	v_ashrrev_i32_e32 v19, 31, v23
	s_delay_alu instid0(VALU_DEP_4) | instskip(NEXT) | instid1(VALU_DEP_4)
	v_not_b32_e32 v23, v20
	v_and_b32_e32 v4, v4, v22
	v_lshlrev_b32_e32 v22, 25, v21
	s_delay_alu instid0(VALU_DEP_4) | instskip(SKIP_2) | instid1(VALU_DEP_4)
	v_xor_b32_e32 v19, s16, v19
	v_cmp_gt_i32_e64 s16, 0, v20
	v_ashrrev_i32_e32 v20, 31, v23
	v_not_b32_e32 v23, v22
	s_delay_alu instid0(VALU_DEP_4) | instskip(SKIP_1) | instid1(VALU_DEP_4)
	v_and_b32_e32 v4, v4, v19
	v_lshlrev_b32_e32 v19, 24, v21
	v_xor_b32_e32 v20, s16, v20
	v_cmp_gt_i32_e64 s16, 0, v22
	v_ashrrev_i32_e32 v21, 31, v23
	s_delay_alu instid0(VALU_DEP_4) | instskip(NEXT) | instid1(VALU_DEP_4)
	v_not_b32_e32 v22, v19
	v_and_b32_e32 v4, v4, v20
	s_delay_alu instid0(VALU_DEP_3) | instskip(SKIP_1) | instid1(VALU_DEP_4)
	v_xor_b32_e32 v20, s16, v21
	v_cmp_gt_i32_e64 s16, 0, v19
	v_ashrrev_i32_e32 v19, 31, v22
	s_delay_alu instid0(VALU_DEP_3) | instskip(NEXT) | instid1(VALU_DEP_2)
	v_and_b32_e32 v4, v4, v20
	v_xor_b32_e32 v19, s16, v19
	s_delay_alu instid0(VALU_DEP_1) | instskip(NEXT) | instid1(VALU_DEP_1)
	v_and_b32_e32 v4, v4, v19
	v_mbcnt_lo_u32_b32 v225, v4, 0
	v_cmp_ne_u32_e64 s17, 0, v4
	s_delay_alu instid0(VALU_DEP_2) | instskip(NEXT) | instid1(VALU_DEP_1)
	v_cmp_eq_u32_e64 s16, 0, v225
	s_and_b32 s17, s17, s16
	s_delay_alu instid0(SALU_CYCLE_1)
	s_and_saveexec_b32 s16, s17
	s_cbranch_execz .LBB607_77
; %bb.76:                               ;   in Loop: Header=BB607_53 Depth=1
	s_waitcnt vmcnt(0) lgkmcnt(0)
	v_bcnt_u32_b32 v4, v4, v224
	flat_store_b32 v[162:163], v4
.LBB607_77:                             ;   in Loop: Header=BB607_53 Depth=1
	s_or_b32 exec_lo, exec_lo, s16
	v_lshrrev_b32_e32 v4, v10, v154
	; wave barrier
	s_delay_alu instid0(VALU_DEP_1) | instskip(NEXT) | instid1(VALU_DEP_1)
	v_and_b32_e32 v21, v4, v18
	v_lshl_add_u32 v4, v21, 3, v139
	v_lshlrev_b32_e32 v22, 29, v21
	v_lshlrev_b32_e32 v23, 28, v21
	s_delay_alu instid0(VALU_DEP_3) | instskip(SKIP_1) | instid1(VALU_DEP_2)
	v_lshlrev_b64 v[19:20], 2, v[4:5]
	v_and_b32_e32 v4, 1, v21
	v_add_co_u32 v164, s16, v28, v19
	s_delay_alu instid0(VALU_DEP_1) | instskip(NEXT) | instid1(VALU_DEP_3)
	v_add_co_ci_u32_e64 v165, s16, v138, v20, s16
	v_add_co_u32 v4, s16, v4, -1
	s_delay_alu instid0(VALU_DEP_1) | instskip(SKIP_3) | instid1(VALU_DEP_2)
	v_cndmask_b32_e64 v19, 0, 1, s16
	flat_load_b32 v226, v[164:165]
	v_lshlrev_b32_e32 v20, 30, v21
	; wave barrier
	v_cmp_ne_u32_e64 s16, 0, v19
	v_not_b32_e32 v19, v20
	s_delay_alu instid0(VALU_DEP_2) | instskip(SKIP_1) | instid1(VALU_DEP_3)
	v_xor_b32_e32 v4, s16, v4
	v_cmp_gt_i32_e64 s16, 0, v20
	v_ashrrev_i32_e32 v19, 31, v19
	v_not_b32_e32 v20, v22
	s_delay_alu instid0(VALU_DEP_4) | instskip(NEXT) | instid1(VALU_DEP_3)
	v_and_b32_e32 v4, exec_lo, v4
	v_xor_b32_e32 v19, s16, v19
	v_cmp_gt_i32_e64 s16, 0, v22
	s_delay_alu instid0(VALU_DEP_4) | instskip(SKIP_1) | instid1(VALU_DEP_4)
	v_ashrrev_i32_e32 v20, 31, v20
	v_not_b32_e32 v22, v23
	v_and_b32_e32 v4, v4, v19
	v_lshlrev_b32_e32 v19, 27, v21
	s_delay_alu instid0(VALU_DEP_4) | instskip(SKIP_2) | instid1(VALU_DEP_4)
	v_xor_b32_e32 v20, s16, v20
	v_cmp_gt_i32_e64 s16, 0, v23
	v_ashrrev_i32_e32 v22, 31, v22
	v_not_b32_e32 v23, v19
	s_delay_alu instid0(VALU_DEP_4) | instskip(SKIP_1) | instid1(VALU_DEP_4)
	v_and_b32_e32 v4, v4, v20
	v_lshlrev_b32_e32 v20, 26, v21
	v_xor_b32_e32 v22, s16, v22
	v_cmp_gt_i32_e64 s16, 0, v19
	v_ashrrev_i32_e32 v19, 31, v23
	s_delay_alu instid0(VALU_DEP_4) | instskip(NEXT) | instid1(VALU_DEP_4)
	v_not_b32_e32 v23, v20
	v_and_b32_e32 v4, v4, v22
	v_lshlrev_b32_e32 v22, 25, v21
	s_delay_alu instid0(VALU_DEP_4) | instskip(SKIP_2) | instid1(VALU_DEP_4)
	v_xor_b32_e32 v19, s16, v19
	v_cmp_gt_i32_e64 s16, 0, v20
	v_ashrrev_i32_e32 v20, 31, v23
	v_not_b32_e32 v23, v22
	s_delay_alu instid0(VALU_DEP_4) | instskip(SKIP_1) | instid1(VALU_DEP_4)
	v_and_b32_e32 v4, v4, v19
	v_lshlrev_b32_e32 v19, 24, v21
	v_xor_b32_e32 v20, s16, v20
	v_cmp_gt_i32_e64 s16, 0, v22
	v_ashrrev_i32_e32 v21, 31, v23
	s_delay_alu instid0(VALU_DEP_4) | instskip(NEXT) | instid1(VALU_DEP_4)
	v_not_b32_e32 v22, v19
	v_and_b32_e32 v4, v4, v20
	s_delay_alu instid0(VALU_DEP_3) | instskip(SKIP_1) | instid1(VALU_DEP_4)
	v_xor_b32_e32 v20, s16, v21
	v_cmp_gt_i32_e64 s16, 0, v19
	v_ashrrev_i32_e32 v19, 31, v22
	s_delay_alu instid0(VALU_DEP_3) | instskip(NEXT) | instid1(VALU_DEP_2)
	v_and_b32_e32 v4, v4, v20
	v_xor_b32_e32 v19, s16, v19
	s_delay_alu instid0(VALU_DEP_1) | instskip(NEXT) | instid1(VALU_DEP_1)
	v_and_b32_e32 v4, v4, v19
	v_mbcnt_lo_u32_b32 v227, v4, 0
	v_cmp_ne_u32_e64 s17, 0, v4
	s_delay_alu instid0(VALU_DEP_2) | instskip(NEXT) | instid1(VALU_DEP_1)
	v_cmp_eq_u32_e64 s16, 0, v227
	s_and_b32 s17, s17, s16
	s_delay_alu instid0(SALU_CYCLE_1)
	s_and_saveexec_b32 s16, s17
	s_cbranch_execz .LBB607_79
; %bb.78:                               ;   in Loop: Header=BB607_53 Depth=1
	s_waitcnt vmcnt(0) lgkmcnt(0)
	v_bcnt_u32_b32 v4, v4, v226
	flat_store_b32 v[164:165], v4
.LBB607_79:                             ;   in Loop: Header=BB607_53 Depth=1
	s_or_b32 exec_lo, exec_lo, s16
	v_lshrrev_b32_e32 v4, v10, v156
	; wave barrier
	s_delay_alu instid0(VALU_DEP_1) | instskip(NEXT) | instid1(VALU_DEP_1)
	v_and_b32_e32 v21, v4, v18
	v_lshl_add_u32 v4, v21, 3, v139
	v_lshlrev_b32_e32 v22, 29, v21
	v_lshlrev_b32_e32 v23, 28, v21
	s_delay_alu instid0(VALU_DEP_3) | instskip(SKIP_1) | instid1(VALU_DEP_2)
	v_lshlrev_b64 v[19:20], 2, v[4:5]
	v_and_b32_e32 v4, 1, v21
	v_add_co_u32 v166, s16, v28, v19
	s_delay_alu instid0(VALU_DEP_1) | instskip(NEXT) | instid1(VALU_DEP_3)
	v_add_co_ci_u32_e64 v167, s16, v138, v20, s16
	v_add_co_u32 v4, s16, v4, -1
	s_delay_alu instid0(VALU_DEP_1) | instskip(SKIP_3) | instid1(VALU_DEP_2)
	v_cndmask_b32_e64 v19, 0, 1, s16
	flat_load_b32 v228, v[166:167]
	v_lshlrev_b32_e32 v20, 30, v21
	; wave barrier
	v_cmp_ne_u32_e64 s16, 0, v19
	v_not_b32_e32 v19, v20
	s_delay_alu instid0(VALU_DEP_2) | instskip(SKIP_1) | instid1(VALU_DEP_3)
	v_xor_b32_e32 v4, s16, v4
	v_cmp_gt_i32_e64 s16, 0, v20
	v_ashrrev_i32_e32 v19, 31, v19
	v_not_b32_e32 v20, v22
	s_delay_alu instid0(VALU_DEP_4) | instskip(NEXT) | instid1(VALU_DEP_3)
	v_and_b32_e32 v4, exec_lo, v4
	v_xor_b32_e32 v19, s16, v19
	v_cmp_gt_i32_e64 s16, 0, v22
	s_delay_alu instid0(VALU_DEP_4) | instskip(SKIP_1) | instid1(VALU_DEP_4)
	v_ashrrev_i32_e32 v20, 31, v20
	v_not_b32_e32 v22, v23
	v_and_b32_e32 v4, v4, v19
	v_lshlrev_b32_e32 v19, 27, v21
	s_delay_alu instid0(VALU_DEP_4) | instskip(SKIP_2) | instid1(VALU_DEP_4)
	v_xor_b32_e32 v20, s16, v20
	v_cmp_gt_i32_e64 s16, 0, v23
	v_ashrrev_i32_e32 v22, 31, v22
	v_not_b32_e32 v23, v19
	s_delay_alu instid0(VALU_DEP_4) | instskip(SKIP_1) | instid1(VALU_DEP_4)
	v_and_b32_e32 v4, v4, v20
	v_lshlrev_b32_e32 v20, 26, v21
	v_xor_b32_e32 v22, s16, v22
	v_cmp_gt_i32_e64 s16, 0, v19
	v_ashrrev_i32_e32 v19, 31, v23
	s_delay_alu instid0(VALU_DEP_4) | instskip(NEXT) | instid1(VALU_DEP_4)
	v_not_b32_e32 v23, v20
	v_and_b32_e32 v4, v4, v22
	v_lshlrev_b32_e32 v22, 25, v21
	s_delay_alu instid0(VALU_DEP_4) | instskip(SKIP_2) | instid1(VALU_DEP_4)
	v_xor_b32_e32 v19, s16, v19
	v_cmp_gt_i32_e64 s16, 0, v20
	v_ashrrev_i32_e32 v20, 31, v23
	v_not_b32_e32 v23, v22
	s_delay_alu instid0(VALU_DEP_4) | instskip(SKIP_1) | instid1(VALU_DEP_4)
	v_and_b32_e32 v4, v4, v19
	v_lshlrev_b32_e32 v19, 24, v21
	v_xor_b32_e32 v20, s16, v20
	v_cmp_gt_i32_e64 s16, 0, v22
	v_ashrrev_i32_e32 v21, 31, v23
	s_delay_alu instid0(VALU_DEP_4) | instskip(NEXT) | instid1(VALU_DEP_4)
	v_not_b32_e32 v22, v19
	v_and_b32_e32 v4, v4, v20
	s_delay_alu instid0(VALU_DEP_3) | instskip(SKIP_1) | instid1(VALU_DEP_4)
	v_xor_b32_e32 v20, s16, v21
	v_cmp_gt_i32_e64 s16, 0, v19
	v_ashrrev_i32_e32 v19, 31, v22
	s_delay_alu instid0(VALU_DEP_3) | instskip(NEXT) | instid1(VALU_DEP_2)
	v_and_b32_e32 v4, v4, v20
	v_xor_b32_e32 v19, s16, v19
	s_delay_alu instid0(VALU_DEP_1) | instskip(NEXT) | instid1(VALU_DEP_1)
	v_and_b32_e32 v4, v4, v19
	v_mbcnt_lo_u32_b32 v229, v4, 0
	v_cmp_ne_u32_e64 s17, 0, v4
	s_delay_alu instid0(VALU_DEP_2) | instskip(NEXT) | instid1(VALU_DEP_1)
	v_cmp_eq_u32_e64 s16, 0, v229
	s_and_b32 s17, s17, s16
	s_delay_alu instid0(SALU_CYCLE_1)
	s_and_saveexec_b32 s16, s17
	s_cbranch_execz .LBB607_81
; %bb.80:                               ;   in Loop: Header=BB607_53 Depth=1
	s_waitcnt vmcnt(0) lgkmcnt(0)
	v_bcnt_u32_b32 v4, v4, v228
	flat_store_b32 v[166:167], v4
.LBB607_81:                             ;   in Loop: Header=BB607_53 Depth=1
	s_or_b32 exec_lo, exec_lo, s16
	v_lshrrev_b32_e32 v4, v10, v155
	; wave barrier
	s_delay_alu instid0(VALU_DEP_1) | instskip(NEXT) | instid1(VALU_DEP_1)
	v_and_b32_e32 v21, v4, v18
	v_lshl_add_u32 v4, v21, 3, v139
	v_lshlrev_b32_e32 v22, 29, v21
	v_lshlrev_b32_e32 v23, 28, v21
	s_delay_alu instid0(VALU_DEP_3) | instskip(SKIP_1) | instid1(VALU_DEP_2)
	v_lshlrev_b64 v[19:20], 2, v[4:5]
	v_and_b32_e32 v4, 1, v21
	v_add_co_u32 v176, s16, v28, v19
	s_delay_alu instid0(VALU_DEP_1) | instskip(NEXT) | instid1(VALU_DEP_3)
	v_add_co_ci_u32_e64 v177, s16, v138, v20, s16
	v_add_co_u32 v4, s16, v4, -1
	s_delay_alu instid0(VALU_DEP_1) | instskip(SKIP_3) | instid1(VALU_DEP_2)
	v_cndmask_b32_e64 v19, 0, 1, s16
	flat_load_b32 v230, v[176:177]
	v_lshlrev_b32_e32 v20, 30, v21
	; wave barrier
	v_cmp_ne_u32_e64 s16, 0, v19
	v_not_b32_e32 v19, v20
	s_delay_alu instid0(VALU_DEP_2) | instskip(SKIP_1) | instid1(VALU_DEP_3)
	v_xor_b32_e32 v4, s16, v4
	v_cmp_gt_i32_e64 s16, 0, v20
	v_ashrrev_i32_e32 v19, 31, v19
	v_not_b32_e32 v20, v22
	s_delay_alu instid0(VALU_DEP_4) | instskip(NEXT) | instid1(VALU_DEP_3)
	v_and_b32_e32 v4, exec_lo, v4
	v_xor_b32_e32 v19, s16, v19
	v_cmp_gt_i32_e64 s16, 0, v22
	s_delay_alu instid0(VALU_DEP_4) | instskip(SKIP_1) | instid1(VALU_DEP_4)
	v_ashrrev_i32_e32 v20, 31, v20
	v_not_b32_e32 v22, v23
	v_and_b32_e32 v4, v4, v19
	v_lshlrev_b32_e32 v19, 27, v21
	s_delay_alu instid0(VALU_DEP_4) | instskip(SKIP_2) | instid1(VALU_DEP_4)
	v_xor_b32_e32 v20, s16, v20
	v_cmp_gt_i32_e64 s16, 0, v23
	v_ashrrev_i32_e32 v22, 31, v22
	v_not_b32_e32 v23, v19
	s_delay_alu instid0(VALU_DEP_4) | instskip(SKIP_1) | instid1(VALU_DEP_4)
	v_and_b32_e32 v4, v4, v20
	v_lshlrev_b32_e32 v20, 26, v21
	v_xor_b32_e32 v22, s16, v22
	v_cmp_gt_i32_e64 s16, 0, v19
	v_ashrrev_i32_e32 v19, 31, v23
	s_delay_alu instid0(VALU_DEP_4) | instskip(NEXT) | instid1(VALU_DEP_4)
	v_not_b32_e32 v23, v20
	v_and_b32_e32 v4, v4, v22
	v_lshlrev_b32_e32 v22, 25, v21
	s_delay_alu instid0(VALU_DEP_4) | instskip(SKIP_2) | instid1(VALU_DEP_4)
	v_xor_b32_e32 v19, s16, v19
	v_cmp_gt_i32_e64 s16, 0, v20
	v_ashrrev_i32_e32 v20, 31, v23
	v_not_b32_e32 v23, v22
	s_delay_alu instid0(VALU_DEP_4) | instskip(SKIP_1) | instid1(VALU_DEP_4)
	v_and_b32_e32 v4, v4, v19
	v_lshlrev_b32_e32 v19, 24, v21
	v_xor_b32_e32 v20, s16, v20
	v_cmp_gt_i32_e64 s16, 0, v22
	v_ashrrev_i32_e32 v21, 31, v23
	s_delay_alu instid0(VALU_DEP_4) | instskip(NEXT) | instid1(VALU_DEP_4)
	v_not_b32_e32 v22, v19
	v_and_b32_e32 v4, v4, v20
	s_delay_alu instid0(VALU_DEP_3) | instskip(SKIP_1) | instid1(VALU_DEP_4)
	v_xor_b32_e32 v20, s16, v21
	v_cmp_gt_i32_e64 s16, 0, v19
	v_ashrrev_i32_e32 v19, 31, v22
	s_delay_alu instid0(VALU_DEP_3) | instskip(NEXT) | instid1(VALU_DEP_2)
	v_and_b32_e32 v4, v4, v20
	v_xor_b32_e32 v19, s16, v19
	s_delay_alu instid0(VALU_DEP_1) | instskip(NEXT) | instid1(VALU_DEP_1)
	v_and_b32_e32 v4, v4, v19
	v_mbcnt_lo_u32_b32 v231, v4, 0
	v_cmp_ne_u32_e64 s17, 0, v4
	s_delay_alu instid0(VALU_DEP_2) | instskip(NEXT) | instid1(VALU_DEP_1)
	v_cmp_eq_u32_e64 s16, 0, v231
	s_and_b32 s17, s17, s16
	s_delay_alu instid0(SALU_CYCLE_1)
	s_and_saveexec_b32 s16, s17
	s_cbranch_execz .LBB607_83
; %bb.82:                               ;   in Loop: Header=BB607_53 Depth=1
	s_waitcnt vmcnt(0) lgkmcnt(0)
	v_bcnt_u32_b32 v4, v4, v230
	flat_store_b32 v[176:177], v4
.LBB607_83:                             ;   in Loop: Header=BB607_53 Depth=1
	s_or_b32 exec_lo, exec_lo, s16
	v_lshrrev_b32_e32 v4, v10, v157
	; wave barrier
	s_delay_alu instid0(VALU_DEP_1) | instskip(NEXT) | instid1(VALU_DEP_1)
	v_and_b32_e32 v20, v4, v18
	v_lshl_add_u32 v4, v20, 3, v139
	v_lshlrev_b32_e32 v21, 29, v20
	v_lshlrev_b32_e32 v22, 28, v20
	s_delay_alu instid0(VALU_DEP_3) | instskip(SKIP_1) | instid1(VALU_DEP_2)
	v_lshlrev_b64 v[18:19], 2, v[4:5]
	v_and_b32_e32 v4, 1, v20
	v_add_co_u32 v178, s16, v28, v18
	s_delay_alu instid0(VALU_DEP_1) | instskip(NEXT) | instid1(VALU_DEP_3)
	v_add_co_ci_u32_e64 v179, s16, v138, v19, s16
	v_add_co_u32 v4, s16, v4, -1
	s_delay_alu instid0(VALU_DEP_1) | instskip(SKIP_3) | instid1(VALU_DEP_2)
	v_cndmask_b32_e64 v18, 0, 1, s16
	flat_load_b32 v240, v[178:179]
	v_lshlrev_b32_e32 v19, 30, v20
	; wave barrier
	v_cmp_ne_u32_e64 s16, 0, v18
	v_not_b32_e32 v18, v19
	s_delay_alu instid0(VALU_DEP_2) | instskip(SKIP_1) | instid1(VALU_DEP_3)
	v_xor_b32_e32 v4, s16, v4
	v_cmp_gt_i32_e64 s16, 0, v19
	v_ashrrev_i32_e32 v18, 31, v18
	v_not_b32_e32 v19, v21
	s_delay_alu instid0(VALU_DEP_4) | instskip(NEXT) | instid1(VALU_DEP_3)
	v_and_b32_e32 v4, exec_lo, v4
	v_xor_b32_e32 v18, s16, v18
	v_cmp_gt_i32_e64 s16, 0, v21
	s_delay_alu instid0(VALU_DEP_4) | instskip(SKIP_1) | instid1(VALU_DEP_4)
	v_ashrrev_i32_e32 v19, 31, v19
	v_not_b32_e32 v21, v22
	v_and_b32_e32 v4, v4, v18
	v_lshlrev_b32_e32 v18, 27, v20
	s_delay_alu instid0(VALU_DEP_4) | instskip(SKIP_2) | instid1(VALU_DEP_4)
	v_xor_b32_e32 v19, s16, v19
	v_cmp_gt_i32_e64 s16, 0, v22
	v_ashrrev_i32_e32 v21, 31, v21
	v_not_b32_e32 v22, v18
	s_delay_alu instid0(VALU_DEP_4) | instskip(SKIP_1) | instid1(VALU_DEP_4)
	v_and_b32_e32 v4, v4, v19
	v_lshlrev_b32_e32 v19, 26, v20
	v_xor_b32_e32 v21, s16, v21
	v_cmp_gt_i32_e64 s16, 0, v18
	v_ashrrev_i32_e32 v18, 31, v22
	s_delay_alu instid0(VALU_DEP_4) | instskip(NEXT) | instid1(VALU_DEP_4)
	v_not_b32_e32 v22, v19
	v_and_b32_e32 v4, v4, v21
	v_lshlrev_b32_e32 v21, 25, v20
	s_delay_alu instid0(VALU_DEP_4) | instskip(SKIP_2) | instid1(VALU_DEP_4)
	v_xor_b32_e32 v18, s16, v18
	v_cmp_gt_i32_e64 s16, 0, v19
	v_ashrrev_i32_e32 v19, 31, v22
	v_not_b32_e32 v22, v21
	s_delay_alu instid0(VALU_DEP_4) | instskip(SKIP_1) | instid1(VALU_DEP_4)
	v_and_b32_e32 v4, v4, v18
	v_lshlrev_b32_e32 v18, 24, v20
	v_xor_b32_e32 v19, s16, v19
	v_cmp_gt_i32_e64 s16, 0, v21
	v_ashrrev_i32_e32 v20, 31, v22
	s_delay_alu instid0(VALU_DEP_4) | instskip(NEXT) | instid1(VALU_DEP_4)
	v_not_b32_e32 v21, v18
	v_and_b32_e32 v4, v4, v19
	s_delay_alu instid0(VALU_DEP_3) | instskip(SKIP_1) | instid1(VALU_DEP_4)
	v_xor_b32_e32 v19, s16, v20
	v_cmp_gt_i32_e64 s16, 0, v18
	v_ashrrev_i32_e32 v18, 31, v21
	s_delay_alu instid0(VALU_DEP_3) | instskip(NEXT) | instid1(VALU_DEP_2)
	v_and_b32_e32 v4, v4, v19
	v_xor_b32_e32 v18, s16, v18
	s_delay_alu instid0(VALU_DEP_1) | instskip(NEXT) | instid1(VALU_DEP_1)
	v_and_b32_e32 v4, v4, v18
	v_mbcnt_lo_u32_b32 v241, v4, 0
	v_cmp_ne_u32_e64 s17, 0, v4
	s_delay_alu instid0(VALU_DEP_2) | instskip(NEXT) | instid1(VALU_DEP_1)
	v_cmp_eq_u32_e64 s16, 0, v241
	s_and_b32 s17, s17, s16
	s_delay_alu instid0(SALU_CYCLE_1)
	s_and_saveexec_b32 s16, s17
	s_cbranch_execz .LBB607_85
; %bb.84:                               ;   in Loop: Header=BB607_53 Depth=1
	s_waitcnt vmcnt(0) lgkmcnt(0)
	v_bcnt_u32_b32 v4, v4, v240
	flat_store_b32 v[178:179], v4
.LBB607_85:                             ;   in Loop: Header=BB607_53 Depth=1
	s_or_b32 exec_lo, exec_lo, s16
	; wave barrier
	s_waitcnt vmcnt(0) lgkmcnt(0)
	s_waitcnt_vscnt null, 0x0
	s_barrier
	buffer_gl0_inv
	s_clause 0x1
	flat_load_b128 v[22:25], v[66:67] offset:32
	flat_load_b128 v[18:21], v[70:71] offset:16
	s_waitcnt vmcnt(1) lgkmcnt(1)
	v_add_nc_u32_e32 v4, v23, v22
	s_delay_alu instid0(VALU_DEP_1) | instskip(SKIP_1) | instid1(VALU_DEP_1)
	v_add3_u32 v4, v4, v24, v25
	s_waitcnt vmcnt(0) lgkmcnt(0)
	v_add3_u32 v4, v4, v18, v19
	s_delay_alu instid0(VALU_DEP_1) | instskip(NEXT) | instid1(VALU_DEP_1)
	v_add3_u32 v4, v4, v20, v21
	v_mov_b32_dpp v21, v4 row_shr:1 row_mask:0xf bank_mask:0xf
	s_delay_alu instid0(VALU_DEP_1) | instskip(NEXT) | instid1(VALU_DEP_1)
	v_cndmask_b32_e64 v21, v21, 0, vcc_lo
	v_add_nc_u32_e32 v4, v21, v4
	s_delay_alu instid0(VALU_DEP_1) | instskip(NEXT) | instid1(VALU_DEP_1)
	v_mov_b32_dpp v21, v4 row_shr:2 row_mask:0xf bank_mask:0xf
	v_cndmask_b32_e64 v21, 0, v21, s0
	s_delay_alu instid0(VALU_DEP_1) | instskip(NEXT) | instid1(VALU_DEP_1)
	v_add_nc_u32_e32 v4, v4, v21
	v_mov_b32_dpp v21, v4 row_shr:4 row_mask:0xf bank_mask:0xf
	s_delay_alu instid0(VALU_DEP_1) | instskip(NEXT) | instid1(VALU_DEP_1)
	v_cndmask_b32_e64 v21, 0, v21, s1
	v_add_nc_u32_e32 v4, v4, v21
	s_delay_alu instid0(VALU_DEP_1) | instskip(NEXT) | instid1(VALU_DEP_1)
	v_mov_b32_dpp v21, v4 row_shr:8 row_mask:0xf bank_mask:0xf
	v_cndmask_b32_e64 v21, 0, v21, s2
	s_delay_alu instid0(VALU_DEP_1) | instskip(SKIP_3) | instid1(VALU_DEP_1)
	v_add_nc_u32_e32 v4, v4, v21
	ds_swizzle_b32 v21, v4 offset:swizzle(BROADCAST,32,15)
	s_waitcnt lgkmcnt(0)
	v_cndmask_b32_e64 v21, v21, 0, s3
	v_add_nc_u32_e32 v4, v4, v21
	s_and_saveexec_b32 s16, s4
	s_cbranch_execz .LBB607_87
; %bb.86:                               ;   in Loop: Header=BB607_53 Depth=1
	flat_store_b32 v[100:101], v4
.LBB607_87:                             ;   in Loop: Header=BB607_53 Depth=1
	s_or_b32 exec_lo, exec_lo, s16
	s_waitcnt lgkmcnt(0)
	s_waitcnt_vscnt null, 0x0
	s_barrier
	buffer_gl0_inv
	s_and_saveexec_b32 s16, s5
	s_cbranch_execz .LBB607_89
; %bb.88:                               ;   in Loop: Header=BB607_53 Depth=1
	flat_load_b32 v21, v[48:49]
	s_waitcnt vmcnt(0) lgkmcnt(0)
	v_mov_b32_dpp v242, v21 row_shr:1 row_mask:0xf bank_mask:0xf
	s_delay_alu instid0(VALU_DEP_1) | instskip(NEXT) | instid1(VALU_DEP_1)
	v_cndmask_b32_e64 v242, v242, 0, s11
	v_add_nc_u32_e32 v21, v242, v21
	s_delay_alu instid0(VALU_DEP_1) | instskip(NEXT) | instid1(VALU_DEP_1)
	v_mov_b32_dpp v242, v21 row_shr:2 row_mask:0xf bank_mask:0xf
	v_cndmask_b32_e64 v242, 0, v242, s14
	s_delay_alu instid0(VALU_DEP_1) | instskip(NEXT) | instid1(VALU_DEP_1)
	v_add_nc_u32_e32 v21, v21, v242
	v_mov_b32_dpp v242, v21 row_shr:4 row_mask:0xf bank_mask:0xf
	s_delay_alu instid0(VALU_DEP_1) | instskip(NEXT) | instid1(VALU_DEP_1)
	v_cndmask_b32_e64 v242, 0, v242, s15
	v_add_nc_u32_e32 v21, v21, v242
	flat_store_b32 v[48:49], v21
.LBB607_89:                             ;   in Loop: Header=BB607_53 Depth=1
	s_or_b32 exec_lo, exec_lo, s16
	v_mov_b32_e32 v21, 0
	s_waitcnt lgkmcnt(0)
	s_waitcnt_vscnt null, 0x0
	s_barrier
	buffer_gl0_inv
	s_and_saveexec_b32 s16, s6
	s_cbranch_execz .LBB607_91
; %bb.90:                               ;   in Loop: Header=BB607_53 Depth=1
	flat_load_b32 v21, v[112:113]
.LBB607_91:                             ;   in Loop: Header=BB607_53 Depth=1
	s_or_b32 exec_lo, exec_lo, s16
	s_waitcnt vmcnt(0) lgkmcnt(0)
	v_add_nc_u32_e32 v4, v21, v4
	v_add_nc_u32_e32 v10, 8, v10
	s_mov_b32 s18, -1
                                        ; implicit-def: $vgpr205
                                        ; implicit-def: $vgpr204
                                        ; implicit-def: $vgpr189
                                        ; implicit-def: $vgpr186
                                        ; implicit-def: $vgpr185
                                        ; implicit-def: $vgpr184
                                        ; implicit-def: $vgpr174
                                        ; implicit-def: $vgpr175
                                        ; implicit-def: $vgpr188
                                        ; implicit-def: $vgpr187
                                        ; implicit-def: $vgpr190
                                        ; implicit-def: $vgpr191
                                        ; implicit-def: $vgpr200
                                        ; implicit-def: $vgpr201
                                        ; implicit-def: $vgpr202
                                        ; implicit-def: $vgpr203
	ds_bpermute_b32 v4, v140, v4
	s_waitcnt lgkmcnt(0)
	v_cndmask_b32_e64 v4, v4, v21, s7
	s_delay_alu instid0(VALU_DEP_1) | instskip(NEXT) | instid1(VALU_DEP_1)
	v_cndmask_b32_e64 v21, v4, 0, s10
	v_add_nc_u32_e32 v22, v21, v22
	s_delay_alu instid0(VALU_DEP_1) | instskip(NEXT) | instid1(VALU_DEP_1)
	v_add_nc_u32_e32 v23, v22, v23
	v_add_nc_u32_e32 v24, v23, v24
	s_delay_alu instid0(VALU_DEP_1) | instskip(NEXT) | instid1(VALU_DEP_1)
	v_dual_mov_b32 v25, v5 :: v_dual_add_nc_u32 v242, v24, v25
	v_add_nc_u32_e32 v243, v242, v18
	s_delay_alu instid0(VALU_DEP_1) | instskip(NEXT) | instid1(VALU_DEP_1)
	v_dual_mov_b32 v19, v5 :: v_dual_add_nc_u32 v244, v243, v19
	v_add_nc_u32_e32 v245, v244, v20
	s_clause 0x1
	flat_store_b128 v[66:67], v[21:24] offset:32
	flat_store_b128 v[70:71], v[242:245] offset:16
	s_waitcnt lgkmcnt(0)
	s_waitcnt_vscnt null, 0x0
	s_barrier
	buffer_gl0_inv
	s_clause 0xf
	flat_load_b32 v4, v[116:117]
	flat_load_b32 v18, v[118:119]
	;; [unrolled: 1-line block ×16, first 2 shown]
	v_mov_b32_e32 v149, v5
	v_mov_b32_e32 v145, v5
	;; [unrolled: 1-line block ×13, first 2 shown]
	v_cmp_lt_u32_e64 s16, v10, v11
	s_waitcnt vmcnt(0) lgkmcnt(0)
	s_waitcnt_vscnt null, 0x0
                                        ; implicit-def: $vgpr176_vgpr177
                                        ; implicit-def: $vgpr178_vgpr179
	s_waitcnt vmcnt(15) lgkmcnt(15)
	v_add_nc_u32_e32 v4, v4, v39
	s_waitcnt vmcnt(14) lgkmcnt(14)
	v_add3_u32 v160, v181, v180, v18
	s_waitcnt vmcnt(13) lgkmcnt(13)
	v_add3_u32 v150, v183, v182, v20
	;; [unrolled: 2-line block ×4, first 2 shown]
	v_lshlrev_b64 v[136:137], 2, v[4:5]
	v_lshlrev_b64 v[126:127], 2, v[160:161]
	;; [unrolled: 1-line block ×4, first 2 shown]
	s_waitcnt vmcnt(10) lgkmcnt(10)
	v_add3_u32 v144, v197, v196, v116
	s_waitcnt vmcnt(8) lgkmcnt(8)
	v_add3_u32 v132, v209, v208, v128
	;; [unrolled: 2-line block ×4, first 2 shown]
	v_add_co_u32 v226, s17, v12, v136
	s_delay_alu instid0(VALU_DEP_1) | instskip(SKIP_3) | instid1(VALU_DEP_1)
	v_add_co_ci_u32_e64 v227, s17, v13, v137, s17
	s_waitcnt vmcnt(1) lgkmcnt(1)
	v_add3_u32 v20, v231, v230, v165
	v_add_co_u32 v230, s17, v12, v126
	v_add_co_ci_u32_e64 v231, s17, v13, v127, s17
	v_lshlrev_b64 v[120:121], 2, v[146:147]
	v_add_co_u32 v242, s17, v12, v124
	v_add3_u32 v134, v199, v198, v118
	v_add3_u32 v118, v215, v214, v243
	v_add_co_ci_u32_e64 v243, s17, v13, v125, s17
	v_lshlrev_b64 v[110:111], 2, v[144:145]
	v_add_co_u32 v246, s17, v12, v122
	s_delay_alu instid0(VALU_DEP_1)
	v_add_co_ci_u32_e64 v247, s17, v13, v123, s17
	v_lshlrev_b64 v[108:109], 2, v[134:135]
	v_add_co_u32 v41, s17, v12, v120
	v_add3_u32 v130, v211, v210, v130
	v_add_co_ci_u32_e64 v42, s17, v13, v121, s17
	v_lshlrev_b64 v[106:107], 2, v[132:133]
	v_add_co_u32 v43, s17, v12, v110
	s_delay_alu instid0(VALU_DEP_1) | instskip(SKIP_2) | instid1(VALU_DEP_1)
	v_add_co_ci_u32_e64 v44, s17, v13, v111, s17
	v_lshlrev_b64 v[104:105], 2, v[130:131]
	v_add_co_u32 v45, s17, v12, v108
	v_add_co_ci_u32_e64 v46, s17, v13, v109, s17
	v_lshlrev_b64 v[94:95], 2, v[128:129]
	v_add_co_u32 v56, s17, v12, v106
	v_add3_u32 v116, v225, v224, v162
	v_add_co_ci_u32_e64 v57, s17, v13, v107, s17
	v_lshlrev_b64 v[92:93], 2, v[118:119]
	v_add_co_u32 v58, s17, v12, v104
	s_delay_alu instid0(VALU_DEP_1)
	v_add_co_ci_u32_e64 v59, s17, v13, v105, s17
	v_lshlrev_b64 v[90:91], 2, v[116:117]
	v_add_co_u32 v60, s17, v12, v94
	v_add3_u32 v22, v229, v228, v164
	v_add_co_ci_u32_e64 v61, s17, v13, v95, s17
	v_lshlrev_b64 v[88:89], 2, v[24:25]
	v_add_co_u32 v62, s17, v12, v92
	s_delay_alu instid0(VALU_DEP_1)
	v_add_co_ci_u32_e64 v63, s17, v13, v93, s17
	v_lshlrev_b64 v[78:79], 2, v[22:23]
	v_add_co_u32 v72, s17, v12, v90
	s_waitcnt vmcnt(0) lgkmcnt(0)
	v_add3_u32 v18, v241, v240, v166
	v_add_co_ci_u32_e64 v73, s17, v13, v91, s17
	v_lshlrev_b64 v[76:77], 2, v[20:21]
	v_add_co_u32 v228, s17, v12, v88
	s_delay_alu instid0(VALU_DEP_1) | instskip(SKIP_2) | instid1(VALU_DEP_1)
	v_add_co_ci_u32_e64 v229, s17, v13, v89, s17
	v_lshlrev_b64 v[74:75], 2, v[18:19]
	v_add_co_u32 v240, s17, v12, v78
	v_add_co_ci_u32_e64 v241, s17, v13, v79, s17
	v_add_co_u32 v244, s17, v12, v76
	s_delay_alu instid0(VALU_DEP_1) | instskip(SKIP_1) | instid1(VALU_DEP_1)
	v_add_co_ci_u32_e64 v245, s17, v13, v77, s17
	v_add_co_u32 v39, s17, v12, v74
	v_add_co_ci_u32_e64 v40, s17, v13, v75, s17
                                        ; implicit-def: $vgpr162_vgpr163
                                        ; implicit-def: $vgpr164_vgpr165
                                        ; implicit-def: $vgpr166_vgpr167
                                        ; implicit-def: $vgpr180_vgpr181
                                        ; implicit-def: $vgpr182_vgpr183
                                        ; implicit-def: $vgpr192_vgpr193
                                        ; implicit-def: $vgpr194_vgpr195
                                        ; implicit-def: $vgpr196_vgpr197
                                        ; implicit-def: $vgpr198_vgpr199
                                        ; implicit-def: $vgpr208_vgpr209
                                        ; implicit-def: $vgpr210_vgpr211
                                        ; implicit-def: $vgpr212_vgpr213
                                        ; implicit-def: $vgpr214_vgpr215
                                        ; implicit-def: $vgpr224_vgpr225
	s_and_saveexec_b32 s17, s16
	s_cbranch_execz .LBB607_52
; %bb.92:                               ;   in Loop: Header=BB607_53 Depth=1
	v_add_co_u32 v162, s16, v226, v136
	s_delay_alu instid0(VALU_DEP_1)
	v_add_co_ci_u32_e64 v163, s16, v227, v137, s16
	s_barrier
	buffer_gl0_inv
	s_clause 0xf
	flat_store_b32 v[226:227], v142
	flat_store_b32 v[230:231], v143
	;; [unrolled: 1-line block ×16, first 2 shown]
	s_waitcnt lgkmcnt(0)
	s_waitcnt_vscnt null, 0x0
	s_barrier
	buffer_gl0_inv
	s_clause 0xf
	flat_load_b32 v205, v[102:103]
	flat_load_b32 v204, v[102:103] offset:128
	flat_load_b32 v189, v[102:103] offset:256
	;; [unrolled: 1-line block ×15, first 2 shown]
	s_waitcnt vmcnt(0) lgkmcnt(0)
	s_barrier
	buffer_gl0_inv
	flat_store_b64 v[162:163], v[96:97]
	v_add_co_u32 v162, s16, v230, v126
	s_delay_alu instid0(VALU_DEP_1) | instskip(SKIP_1) | instid1(VALU_DEP_1)
	v_add_co_ci_u32_e64 v163, s16, v231, v127, s16
	v_add_co_u32 v164, s16, v242, v124
	v_add_co_ci_u32_e64 v165, s16, v243, v125, s16
	v_add_co_u32 v166, s16, v246, v122
	s_delay_alu instid0(VALU_DEP_1) | instskip(SKIP_1) | instid1(VALU_DEP_1)
	v_add_co_ci_u32_e64 v167, s16, v247, v123, s16
	v_add_co_u32 v176, s16, v41, v120
	v_add_co_ci_u32_e64 v177, s16, v42, v121, s16
	v_add_co_u32 v178, s16, v43, v110
	s_delay_alu instid0(VALU_DEP_1)
	v_add_co_ci_u32_e64 v179, s16, v44, v111, s16
	s_clause 0x4
	flat_store_b64 v[162:163], v[86:87]
	flat_store_b64 v[164:165], v[98:99]
	flat_store_b64 v[166:167], v[84:85]
	flat_store_b64 v[176:177], v[68:69]
	flat_store_b64 v[178:179], v[82:83]
	v_add_co_u32 v162, s16, v45, v108
	s_delay_alu instid0(VALU_DEP_1) | instskip(SKIP_1) | instid1(VALU_DEP_1)
	v_add_co_ci_u32_e64 v163, s16, v46, v109, s16
	v_add_co_u32 v164, s16, v56, v106
	v_add_co_ci_u32_e64 v165, s16, v57, v107, s16
	v_add_co_u32 v166, s16, v58, v104
	s_delay_alu instid0(VALU_DEP_1) | instskip(SKIP_1) | instid1(VALU_DEP_1)
	v_add_co_ci_u32_e64 v167, s16, v59, v105, s16
	v_add_co_u32 v176, s16, v60, v94
	v_add_co_ci_u32_e64 v177, s16, v61, v95, s16
	v_add_co_u32 v178, s16, v62, v92
	s_delay_alu instid0(VALU_DEP_1)
	v_add_co_ci_u32_e64 v179, s16, v63, v93, s16
	s_clause 0x4
	flat_store_b64 v[162:163], v[80:81]
	flat_store_b64 v[164:165], v[64:65]
	flat_store_b64 v[166:167], v[50:51]
	flat_store_b64 v[176:177], v[54:55]
	;; [unrolled: 19-line block ×3, first 2 shown]
	flat_store_b64 v[178:179], v[37:38]
	s_waitcnt lgkmcnt(0)
	s_waitcnt_vscnt null, 0x0
	s_barrier
	buffer_gl0_inv
	s_clause 0xf
	flat_load_b64 v[162:163], v[114:115]
	flat_load_b64 v[164:165], v[114:115] offset:256
	flat_load_b64 v[166:167], v[114:115] offset:512
	;; [unrolled: 1-line block ×15, first 2 shown]
	v_add_nc_u32_e32 v141, -8, v141
	s_xor_b32 s18, exec_lo, -1
	s_waitcnt vmcnt(0) lgkmcnt(0)
	s_barrier
	buffer_gl0_inv
	s_branch .LBB607_52
.LBB607_93:
	s_or_b32 exec_lo, exec_lo, s20
	v_or_b32_e32 v28, 0x400, v26
	v_or_b32_e32 v167, 0x800, v26
	;; [unrolled: 1-line block ×3, first 2 shown]
	s_barrier
	buffer_gl0_inv
	v_lshlrev_b32_e32 v10, 2, v28
	v_lshlrev_b32_e32 v16, 2, v167
	s_clause 0xf
	flat_store_b32 v[226:227], v142
	flat_store_b32 v[230:231], v143
	;; [unrolled: 1-line block ×16, first 2 shown]
	s_waitcnt lgkmcnt(0)
	s_waitcnt_vscnt null, 0x0
	v_add_co_u32 v10, vcc_lo, v12, v10
	v_add_co_ci_u32_e32 v11, vcc_lo, 0, v13, vcc_lo
	v_add_co_u32 v14, vcc_lo, 0x1000, v48
	v_add_co_ci_u32_e32 v15, vcc_lo, 0, v49, vcc_lo
	s_barrier
	buffer_gl0_inv
	s_clause 0x7
	flat_load_b32 v164, v[48:49]
	flat_load_b32 v163, v[48:49] offset:1024
	flat_load_b32 v162, v[48:49] offset:2048
	flat_load_b32 v115, v[48:49] offset:3072
	flat_load_b32 v114, v[10:11]
	flat_load_b32 v113, v[14:15] offset:1024
	flat_load_b32 v103, v[14:15] offset:2048
	;; [unrolled: 1-line block ×3, first 2 shown]
	v_add_co_u32 v10, vcc_lo, v12, v16
	v_lshlrev_b32_e32 v16, 2, v176
	v_add_co_ci_u32_e32 v11, vcc_lo, 0, v13, vcc_lo
	v_add_co_u32 v14, vcc_lo, 0x2000, v48
	v_add_co_ci_u32_e32 v15, vcc_lo, 0, v49, vcc_lo
	s_delay_alu instid0(VALU_DEP_4)
	v_add_co_u32 v16, vcc_lo, v12, v16
	v_add_co_ci_u32_e32 v17, vcc_lo, 0, v13, vcc_lo
	v_add_co_u32 v165, vcc_lo, 0x3000, v48
	v_lshlrev_b64 v[4:5], 3, v[4:5]
	v_add_co_ci_u32_e32 v166, vcc_lo, 0, v49, vcc_lo
	v_add_co_u32 v177, vcc_lo, 0x3c00, v48
	s_clause 0x7
	flat_load_b32 v112, v[10:11]
	flat_load_b32 v102, v[14:15] offset:1024
	flat_load_b32 v100, v[14:15] offset:2048
	;; [unrolled: 1-line block ×3, first 2 shown]
	flat_load_b32 v70, v[16:17]
	flat_load_b32 v67, v[165:166] offset:1024
	flat_load_b32 v66, v[165:166] offset:2048
	;; [unrolled: 1-line block ×3, first 2 shown]
	v_lshlrev_b64 v[10:11], 3, v[160:161]
	v_add_co_ci_u32_e32 v178, vcc_lo, 0, v49, vcc_lo
	v_add_co_u32 v4, vcc_lo, v12, v4
	v_lshlrev_b64 v[14:15], 3, v[150:151]
	v_add_co_ci_u32_e32 v5, vcc_lo, v13, v5, vcc_lo
	v_add_co_u32 v10, vcc_lo, v12, v10
	v_add_co_ci_u32_e32 v11, vcc_lo, v13, v11, vcc_lo
	s_delay_alu instid0(VALU_DEP_4)
	v_add_co_u32 v14, vcc_lo, v12, v14
	v_add_co_ci_u32_e32 v15, vcc_lo, v13, v15, vcc_lo
	v_lshlrev_b64 v[16:17], 3, v[148:149]
	s_waitcnt vmcnt(0) lgkmcnt(0)
	s_barrier
	buffer_gl0_inv
	s_clause 0x2
	flat_store_b64 v[4:5], v[96:97]
	flat_store_b64 v[10:11], v[86:87]
	;; [unrolled: 1-line block ×3, first 2 shown]
	v_lshlrev_b64 v[4:5], 3, v[146:147]
	v_add_co_u32 v10, vcc_lo, v12, v16
	v_lshlrev_b64 v[14:15], 3, v[144:145]
	v_add_co_ci_u32_e32 v11, vcc_lo, v13, v17, vcc_lo
	s_delay_alu instid0(VALU_DEP_4) | instskip(SKIP_4) | instid1(VALU_DEP_4)
	v_add_co_u32 v4, vcc_lo, v12, v4
	v_lshlrev_b64 v[16:17], 3, v[134:135]
	v_add_co_ci_u32_e32 v5, vcc_lo, v13, v5, vcc_lo
	v_add_co_u32 v14, vcc_lo, v12, v14
	v_add_co_ci_u32_e32 v15, vcc_lo, v13, v15, vcc_lo
	v_add_co_u32 v16, vcc_lo, v12, v16
	v_add_co_ci_u32_e32 v17, vcc_lo, v13, v17, vcc_lo
	flat_store_b64 v[10:11], v[84:85]
	v_lshlrev_b64 v[10:11], 3, v[132:133]
	s_clause 0x2
	flat_store_b64 v[4:5], v[68:69]
	flat_store_b64 v[14:15], v[82:83]
	flat_store_b64 v[16:17], v[80:81]
	v_lshlrev_b64 v[4:5], 3, v[130:131]
	v_lshlrev_b64 v[14:15], 3, v[128:129]
	;; [unrolled: 1-line block ×4, first 2 shown]
	v_add_co_u32 v10, vcc_lo, v12, v10
	v_add_co_ci_u32_e32 v11, vcc_lo, v13, v11, vcc_lo
	v_add_co_u32 v4, vcc_lo, v12, v4
	v_add_co_ci_u32_e32 v5, vcc_lo, v13, v5, vcc_lo
	;; [unrolled: 2-line block ×4, first 2 shown]
	flat_store_b64 v[10:11], v[64:65]
	v_lshlrev_b64 v[10:11], 3, v[116:117]
	s_clause 0x2
	flat_store_b64 v[4:5], v[50:51]
	flat_store_b64 v[14:15], v[54:55]
	flat_store_b64 v[16:17], v[52:53]
	v_lshlrev_b64 v[4:5], 3, v[24:25]
	v_lshlrev_b64 v[14:15], 3, v[22:23]
	;; [unrolled: 1-line block ×3, first 2 shown]
	v_add_co_u32 v10, vcc_lo, v12, v10
	v_add_co_ci_u32_e32 v11, vcc_lo, v13, v11, vcc_lo
	v_add_co_u32 v4, vcc_lo, v12, v4
	v_add_co_ci_u32_e32 v5, vcc_lo, v13, v5, vcc_lo
	;; [unrolled: 2-line block ×5, first 2 shown]
	s_clause 0x4
	flat_store_b64 v[10:11], v[31:32]
	flat_store_b64 v[4:5], v[8:9]
	;; [unrolled: 1-line block ×5, first 2 shown]
	v_lshlrev_b32_e32 v4, 3, v26
	v_lshlrev_b32_e32 v10, 3, v28
	s_waitcnt lgkmcnt(0)
	s_waitcnt_vscnt null, 0x0
	s_barrier
	buffer_gl0_inv
	v_add_co_u32 v4, vcc_lo, v12, v4
	v_add_co_ci_u32_e32 v5, vcc_lo, 0, v13, vcc_lo
	v_lshlrev_b32_e32 v18, 3, v176
	s_delay_alu instid0(VALU_DEP_3) | instskip(NEXT) | instid1(VALU_DEP_3)
	v_add_co_u32 v8, vcc_lo, 0x1000, v4
	v_add_co_ci_u32_e32 v9, vcc_lo, 0, v5, vcc_lo
	v_add_co_u32 v10, vcc_lo, v12, v10
	v_add_co_ci_u32_e32 v11, vcc_lo, 0, v13, vcc_lo
	v_add_co_u32 v14, vcc_lo, 0x2000, v4
	s_clause 0x3
	flat_load_b64 v[50:51], v[4:5]
	flat_load_b64 v[48:49], v[4:5] offset:2048
	flat_load_b64 v[37:38], v[8:9]
	flat_load_b64 v[35:36], v[8:9] offset:2048
	v_lshlrev_b32_e32 v8, 3, v167
	v_add_co_ci_u32_e32 v15, vcc_lo, 0, v5, vcc_lo
	v_add_co_u32 v16, vcc_lo, 0x3000, v4
	v_add_co_ci_u32_e32 v17, vcc_lo, 0, v5, vcc_lo
	s_delay_alu instid0(VALU_DEP_4)
	v_add_co_u32 v8, vcc_lo, v12, v8
	v_add_co_ci_u32_e32 v9, vcc_lo, 0, v13, vcc_lo
	s_clause 0x3
	flat_load_b64 v[33:34], v[10:11]
	flat_load_b64 v[24:25], v[14:15] offset:2048
	flat_load_b64 v[20:21], v[16:17]
	flat_load_b64 v[16:17], v[16:17] offset:2048
	v_add_co_u32 v10, vcc_lo, 0x4000, v4
	v_add_co_ci_u32_e32 v11, vcc_lo, 0, v5, vcc_lo
	v_add_co_u32 v14, vcc_lo, 0x5000, v4
	v_add_co_ci_u32_e32 v15, vcc_lo, 0, v5, vcc_lo
	;; [unrolled: 2-line block ×3, first 2 shown]
	v_add_co_u32 v52, vcc_lo, 0x6000, v4
	v_lshl_add_u32 v18, v26, 2, 0x3c00
	v_add_co_ci_u32_e32 v53, vcc_lo, 0, v5, vcc_lo
	v_add_co_u32 v4, vcc_lo, 0x7000, v4
	v_add_co_ci_u32_e32 v5, vcc_lo, 0, v5, vcc_lo
	s_delay_alu instid0(VALU_DEP_4)
	v_add_co_u32 v54, vcc_lo, v177, v18
	v_add_co_ci_u32_e32 v55, vcc_lo, 0, v178, vcc_lo
	s_clause 0x7
	flat_load_b64 v[31:32], v[8:9]
	flat_load_b64 v[22:23], v[10:11] offset:2048
	flat_load_b64 v[18:19], v[14:15]
	flat_load_b64 v[14:15], v[14:15] offset:2048
	;; [unrolled: 2-line block ×3, first 2 shown]
	flat_load_b64 v[8:9], v[4:5]
	flat_load_b64 v[4:5], v[54:55]
	v_mov_b32_e32 v28, 0
	v_add_co_u32 v2, vcc_lo, v2, v29
	v_add_co_ci_u32_e32 v3, vcc_lo, v3, v30, vcc_lo
	s_delay_alu instid0(VALU_DEP_3)
	v_lshlrev_b64 v[52:53], 2, v[27:28]
	s_waitcnt vmcnt(0) lgkmcnt(0)
	s_barrier
	buffer_gl0_inv
	v_add_co_u32 v2, vcc_lo, v2, v52
	v_add_co_ci_u32_e32 v3, vcc_lo, v3, v53, vcc_lo
	v_cmp_lt_u32_e32 vcc_lo, v27, v47
	s_and_saveexec_b32 s0, vcc_lo
	s_cbranch_execz .LBB607_95
; %bb.94:
	v_xor_b32_e32 v26, 0x80000000, v164
	flat_store_b32 v[2:3], v26
.LBB607_95:
	s_or_b32 exec_lo, exec_lo, s0
	v_add_nc_u32_e32 v26, 0x100, v27
	s_delay_alu instid0(VALU_DEP_1) | instskip(NEXT) | instid1(VALU_DEP_1)
	v_cmp_lt_u32_e64 s0, v26, v47
	s_and_saveexec_b32 s1, s0
	s_cbranch_execz .LBB607_97
; %bb.96:
	v_xor_b32_e32 v26, 0x80000000, v163
	flat_store_b32 v[2:3], v26 offset:1024
.LBB607_97:
	s_or_b32 exec_lo, exec_lo, s1
	v_add_nc_u32_e32 v26, 0x200, v27
	s_delay_alu instid0(VALU_DEP_1) | instskip(NEXT) | instid1(VALU_DEP_1)
	v_cmp_lt_u32_e64 s3, v26, v47
	s_and_saveexec_b32 s1, s3
	s_cbranch_execz .LBB607_99
; %bb.98:
	v_xor_b32_e32 v26, 0x80000000, v162
	flat_store_b32 v[2:3], v26 offset:2048
.LBB607_99:
	;; [unrolled: 10-line block ×3, first 2 shown]
	s_or_b32 exec_lo, exec_lo, s1
	v_add_nc_u32_e32 v26, 0x400, v27
	s_delay_alu instid0(VALU_DEP_1) | instskip(NEXT) | instid1(VALU_DEP_1)
	v_cmp_lt_u32_e64 s1, v26, v47
	s_and_saveexec_b32 s5, s1
	s_cbranch_execz .LBB607_103
; %bb.102:
	v_add_co_u32 v29, s4, 0x1000, v2
	v_xor_b32_e32 v26, 0x80000000, v114
	v_add_co_ci_u32_e64 v30, s4, 0, v3, s4
	flat_store_b32 v[29:30], v26
.LBB607_103:
	s_or_b32 exec_lo, exec_lo, s5
	v_add_nc_u32_e32 v26, 0x500, v27
	s_delay_alu instid0(VALU_DEP_1) | instskip(NEXT) | instid1(VALU_DEP_1)
	v_cmp_lt_u32_e64 s4, v26, v47
	s_and_saveexec_b32 s6, s4
	s_cbranch_execz .LBB607_105
; %bb.104:
	v_add_co_u32 v29, s5, 0x1000, v2
	v_xor_b32_e32 v26, 0x80000000, v113
	v_add_co_ci_u32_e64 v30, s5, 0, v3, s5
	flat_store_b32 v[29:30], v26 offset:1024
.LBB607_105:
	s_or_b32 exec_lo, exec_lo, s6
	v_add_nc_u32_e32 v26, 0x600, v27
	s_delay_alu instid0(VALU_DEP_1) | instskip(NEXT) | instid1(VALU_DEP_1)
	v_cmp_lt_u32_e64 s5, v26, v47
	s_and_saveexec_b32 s7, s5
	s_cbranch_execz .LBB607_107
; %bb.106:
	v_add_co_u32 v29, s6, 0x1000, v2
	v_xor_b32_e32 v26, 0x80000000, v103
	v_add_co_ci_u32_e64 v30, s6, 0, v3, s6
	flat_store_b32 v[29:30], v26 offset:2048
.LBB607_107:
	s_or_b32 exec_lo, exec_lo, s7
	v_add_nc_u32_e32 v26, 0x700, v27
	s_delay_alu instid0(VALU_DEP_1) | instskip(NEXT) | instid1(VALU_DEP_1)
	v_cmp_lt_u32_e64 s6, v26, v47
	s_and_saveexec_b32 s10, s6
	s_cbranch_execz .LBB607_109
; %bb.108:
	v_add_co_u32 v29, s7, 0x1000, v2
	v_xor_b32_e32 v26, 0x80000000, v101
	v_add_co_ci_u32_e64 v30, s7, 0, v3, s7
	flat_store_b32 v[29:30], v26 offset:3072
.LBB607_109:
	s_or_b32 exec_lo, exec_lo, s10
	v_add_nc_u32_e32 v26, 0x800, v27
	s_delay_alu instid0(VALU_DEP_1) | instskip(NEXT) | instid1(VALU_DEP_1)
	v_cmp_lt_u32_e64 s7, v26, v47
	s_and_saveexec_b32 s11, s7
	s_cbranch_execz .LBB607_111
; %bb.110:
	v_add_co_u32 v29, s10, 0x2000, v2
	v_xor_b32_e32 v26, 0x80000000, v112
	v_add_co_ci_u32_e64 v30, s10, 0, v3, s10
	flat_store_b32 v[29:30], v26
.LBB607_111:
	s_or_b32 exec_lo, exec_lo, s11
	v_add_nc_u32_e32 v26, 0x900, v27
	s_delay_alu instid0(VALU_DEP_1) | instskip(NEXT) | instid1(VALU_DEP_1)
	v_cmp_lt_u32_e64 s10, v26, v47
	s_and_saveexec_b32 s14, s10
	s_cbranch_execz .LBB607_113
; %bb.112:
	v_add_co_u32 v29, s11, 0x2000, v2
	v_xor_b32_e32 v26, 0x80000000, v102
	v_add_co_ci_u32_e64 v30, s11, 0, v3, s11
	flat_store_b32 v[29:30], v26 offset:1024
.LBB607_113:
	s_or_b32 exec_lo, exec_lo, s14
	v_add_nc_u32_e32 v26, 0xa00, v27
	s_delay_alu instid0(VALU_DEP_1) | instskip(NEXT) | instid1(VALU_DEP_1)
	v_cmp_lt_u32_e64 s11, v26, v47
	s_and_saveexec_b32 s15, s11
	s_cbranch_execz .LBB607_115
; %bb.114:
	v_add_co_u32 v29, s14, 0x2000, v2
	v_xor_b32_e32 v26, 0x80000000, v100
	v_add_co_ci_u32_e64 v30, s14, 0, v3, s14
	flat_store_b32 v[29:30], v26 offset:2048
.LBB607_115:
	s_or_b32 exec_lo, exec_lo, s15
	v_add_nc_u32_e32 v26, 0xb00, v27
	s_delay_alu instid0(VALU_DEP_1) | instskip(NEXT) | instid1(VALU_DEP_1)
	v_cmp_lt_u32_e64 s14, v26, v47
	s_and_saveexec_b32 s16, s14
	s_cbranch_execz .LBB607_117
; %bb.116:
	v_add_co_u32 v29, s15, 0x2000, v2
	v_xor_b32_e32 v26, 0x80000000, v71
	v_add_co_ci_u32_e64 v30, s15, 0, v3, s15
	flat_store_b32 v[29:30], v26 offset:3072
.LBB607_117:
	s_or_b32 exec_lo, exec_lo, s16
	v_add_nc_u32_e32 v26, 0xc00, v27
	s_delay_alu instid0(VALU_DEP_1) | instskip(NEXT) | instid1(VALU_DEP_1)
	v_cmp_lt_u32_e64 s15, v26, v47
	s_and_saveexec_b32 s17, s15
	s_cbranch_execz .LBB607_119
; %bb.118:
	v_add_co_u32 v29, s16, 0x3000, v2
	v_xor_b32_e32 v26, 0x80000000, v70
	v_add_co_ci_u32_e64 v30, s16, 0, v3, s16
	flat_store_b32 v[29:30], v26
.LBB607_119:
	s_or_b32 exec_lo, exec_lo, s17
	v_add_nc_u32_e32 v26, 0xd00, v27
	s_delay_alu instid0(VALU_DEP_1) | instskip(NEXT) | instid1(VALU_DEP_1)
	v_cmp_lt_u32_e64 s16, v26, v47
	s_and_saveexec_b32 s18, s16
	s_cbranch_execz .LBB607_121
; %bb.120:
	v_add_co_u32 v29, s17, 0x3000, v2
	v_xor_b32_e32 v26, 0x80000000, v67
	v_add_co_ci_u32_e64 v30, s17, 0, v3, s17
	flat_store_b32 v[29:30], v26 offset:1024
.LBB607_121:
	s_or_b32 exec_lo, exec_lo, s18
	v_add_nc_u32_e32 v26, 0xe00, v27
	s_delay_alu instid0(VALU_DEP_1) | instskip(NEXT) | instid1(VALU_DEP_1)
	v_cmp_lt_u32_e64 s17, v26, v47
	s_and_saveexec_b32 s19, s17
	s_cbranch_execz .LBB607_123
; %bb.122:
	v_add_co_u32 v29, s18, 0x3000, v2
	v_xor_b32_e32 v26, 0x80000000, v66
	v_add_co_ci_u32_e64 v30, s18, 0, v3, s18
	flat_store_b32 v[29:30], v26 offset:2048
.LBB607_123:
	s_or_b32 exec_lo, exec_lo, s19
	v_add_nc_u32_e32 v26, 0xf00, v27
	s_delay_alu instid0(VALU_DEP_1) | instskip(NEXT) | instid1(VALU_DEP_1)
	v_cmp_lt_u32_e64 s18, v26, v47
	s_and_saveexec_b32 s20, s18
	s_cbranch_execz .LBB607_125
; %bb.124:
	v_add_co_u32 v2, s19, 0x3000, v2
	v_xor_b32_e32 v26, 0x80000000, v39
	v_add_co_ci_u32_e64 v3, s19, 0, v3, s19
	flat_store_b32 v[2:3], v26 offset:3072
.LBB607_125:
	s_or_b32 exec_lo, exec_lo, s20
	v_lshlrev_b64 v[2:3], 3, v[27:28]
	v_add_co_u32 v0, s19, v6, v0
	s_delay_alu instid0(VALU_DEP_1) | instskip(NEXT) | instid1(VALU_DEP_2)
	v_add_co_ci_u32_e64 v1, s19, v7, v1, s19
	v_add_co_u32 v0, s19, v0, v2
	s_delay_alu instid0(VALU_DEP_1)
	v_add_co_ci_u32_e64 v1, s19, v1, v3, s19
	s_and_saveexec_b32 s19, vcc_lo
	s_cbranch_execnz .LBB607_211
; %bb.126:
	s_or_b32 exec_lo, exec_lo, s19
	s_and_saveexec_b32 s19, s0
	s_cbranch_execnz .LBB607_212
.LBB607_127:
	s_or_b32 exec_lo, exec_lo, s19
	s_and_saveexec_b32 s0, s3
	s_cbranch_execnz .LBB607_213
.LBB607_128:
	s_or_b32 exec_lo, exec_lo, s0
	s_and_saveexec_b32 s0, s2
	s_cbranch_execnz .LBB607_214
.LBB607_129:
	s_or_b32 exec_lo, exec_lo, s0
	s_and_saveexec_b32 s0, s1
	s_cbranch_execnz .LBB607_215
.LBB607_130:
	s_or_b32 exec_lo, exec_lo, s0
	s_and_saveexec_b32 s0, s4
	s_cbranch_execnz .LBB607_216
.LBB607_131:
	s_or_b32 exec_lo, exec_lo, s0
	s_and_saveexec_b32 s0, s5
	s_cbranch_execnz .LBB607_217
.LBB607_132:
	s_or_b32 exec_lo, exec_lo, s0
	s_and_saveexec_b32 s0, s6
	s_cbranch_execnz .LBB607_218
.LBB607_133:
	s_or_b32 exec_lo, exec_lo, s0
	s_and_saveexec_b32 s0, s7
	s_cbranch_execnz .LBB607_219
.LBB607_134:
	s_or_b32 exec_lo, exec_lo, s0
	s_and_saveexec_b32 s0, s10
	s_cbranch_execnz .LBB607_220
.LBB607_135:
	s_or_b32 exec_lo, exec_lo, s0
	s_and_saveexec_b32 s0, s11
	s_cbranch_execnz .LBB607_221
.LBB607_136:
	s_or_b32 exec_lo, exec_lo, s0
	s_and_saveexec_b32 s0, s14
	s_cbranch_execnz .LBB607_222
.LBB607_137:
	s_or_b32 exec_lo, exec_lo, s0
	s_and_saveexec_b32 s0, s15
	s_cbranch_execnz .LBB607_223
.LBB607_138:
	s_or_b32 exec_lo, exec_lo, s0
	s_and_saveexec_b32 s0, s16
	s_cbranch_execnz .LBB607_224
.LBB607_139:
	s_or_b32 exec_lo, exec_lo, s0
	s_and_saveexec_b32 s0, s17
	s_cbranch_execnz .LBB607_225
.LBB607_140:
	s_or_b32 exec_lo, exec_lo, s0
	s_and_saveexec_b32 s0, s18
	s_cbranch_execz .LBB607_142
.LBB607_141:
	v_add_co_u32 v0, vcc_lo, 0x7000, v0
	v_add_co_ci_u32_e32 v1, vcc_lo, 0, v1, vcc_lo
	flat_store_b64 v[0:1], v[4:5] offset:2048
.LBB607_142:
	s_or_b32 exec_lo, exec_lo, s0
                                        ; implicit-def: $vgpr47
                                        ; implicit-def: $vgpr0
                                        ; implicit-def: $vgpr1
                                        ; implicit-def: $vgpr2
                                        ; implicit-def: $vgpr3
                                        ; implicit-def: $vgpr4
                                        ; implicit-def: $vgpr5
                                        ; implicit-def: $vgpr6
                                        ; implicit-def: $vgpr7
                                        ; implicit-def: $vgpr8
                                        ; implicit-def: $vgpr10
                                        ; implicit-def: $vgpr11
                                        ; implicit-def: $vgpr12
                                        ; implicit-def: $vgpr13
                                        ; implicit-def: $vgpr14
                                        ; implicit-def: $vgpr15
                                        ; implicit-def: $vgpr26
                                        ; implicit-def: $vgpr37
.LBB607_143:
	s_and_not1_saveexec_b32 s0, s25
	s_cbranch_execz .LBB607_372
; %bb.144:
	s_mov_b32 s0, exec_lo
	v_cmpx_lt_u32_e32 0x400, v47
	s_xor_b32 s19, exec_lo, s0
	s_cbranch_execz .LBB607_252
; %bb.145:
	s_load_b64 s[0:1], s[8:9], 0x0
	v_mov_b32_e32 v9, 0
	s_brev_b32 s36, -2
	s_delay_alu instid0(SALU_CYCLE_1)
	s_mov_b32 s37, s36
	s_mov_b32 s38, s36
	s_mov_b32 s39, s36
	s_mov_b32 s40, s36
	s_mov_b32 s41, s36
	s_mov_b32 s42, s36
	s_mov_b32 s43, s36
	s_waitcnt lgkmcnt(0)
	s_cmp_lt_u32 s13, s1
	s_cselect_b32 s1, 14, 20
	s_delay_alu instid0(SALU_CYCLE_1) | instskip(SKIP_4) | instid1(SALU_CYCLE_1)
	s_add_u32 s2, s8, s1
	s_addc_u32 s3, s9, 0
	s_cmp_lt_u32 s12, s0
	global_load_u16 v16, v9, s[2:3]
	s_cselect_b32 s0, 12, 18
	s_add_u32 s0, s8, s0
	s_addc_u32 s1, s9, 0
	global_load_u16 v17, v9, s[0:1]
	s_waitcnt vmcnt(1)
	v_mad_u32_u24 v14, v15, v16, v14
	s_waitcnt vmcnt(0)
	s_delay_alu instid0(VALU_DEP_1) | instskip(SKIP_2) | instid1(VALU_DEP_3)
	v_mad_u64_u32 v[27:28], null, v14, v17, v[26:27]
	v_lshlrev_b32_e32 v14, 2, v37
	v_lshlrev_b64 v[29:30], 2, v[8:9]
	v_lshlrev_b32_e32 v15, 3, v27
	s_delay_alu instid0(VALU_DEP_1) | instskip(NEXT) | instid1(VALU_DEP_3)
	v_dual_mov_b32 v23, v9 :: v_dual_and_b32 v22, 0xffffff00, v15
	v_add_co_u32 v15, vcc_lo, v0, v29
	s_delay_alu instid0(VALU_DEP_4) | instskip(NEXT) | instid1(VALU_DEP_3)
	v_add_co_ci_u32_e32 v16, vcc_lo, v1, v30, vcc_lo
	v_lshlrev_b64 v[0:1], 2, v[22:23]
	s_delay_alu instid0(VALU_DEP_3) | instskip(NEXT) | instid1(VALU_DEP_3)
	v_add_co_u32 v14, vcc_lo, v15, v14
	v_add_co_ci_u32_e32 v15, vcc_lo, 0, v16, vcc_lo
	v_or_b32_e32 v24, v22, v37
	s_delay_alu instid0(VALU_DEP_3) | instskip(NEXT) | instid1(VALU_DEP_1)
	v_add_co_u32 v0, s0, v14, v0
	v_add_co_ci_u32_e64 v1, s0, v15, v1, s0
	v_dual_mov_b32 v14, s36 :: v_dual_mov_b32 v15, s37
	s_delay_alu instid0(VALU_DEP_4)
	v_cmp_lt_u32_e32 vcc_lo, v24, v47
	v_dual_mov_b32 v16, s38 :: v_dual_mov_b32 v17, s39
	v_dual_mov_b32 v18, s40 :: v_dual_mov_b32 v19, s41
	;; [unrolled: 1-line block ×3, first 2 shown]
	s_and_saveexec_b32 s0, vcc_lo
	s_cbranch_execz .LBB607_147
; %bb.146:
	flat_load_b32 v14, v[0:1]
	v_bfrev_b32_e32 v15, -2
	s_delay_alu instid0(VALU_DEP_1)
	v_mov_b32_e32 v16, v15
	v_mov_b32_e32 v17, v15
	;; [unrolled: 1-line block ×6, first 2 shown]
.LBB607_147:
	s_or_b32 exec_lo, exec_lo, s0
	v_or_b32_e32 v25, 32, v24
	s_delay_alu instid0(VALU_DEP_1) | instskip(NEXT) | instid1(VALU_DEP_1)
	v_cmp_lt_u32_e64 s0, v25, v47
	s_and_saveexec_b32 s1, s0
	s_cbranch_execz .LBB607_149
; %bb.148:
	flat_load_b32 v15, v[0:1] offset:128
.LBB607_149:
	s_or_b32 exec_lo, exec_lo, s1
	v_or_b32_e32 v25, 64, v24
	s_delay_alu instid0(VALU_DEP_1) | instskip(NEXT) | instid1(VALU_DEP_1)
	v_cmp_lt_u32_e64 s1, v25, v47
	s_and_saveexec_b32 s2, s1
	s_cbranch_execz .LBB607_151
; %bb.150:
	flat_load_b32 v16, v[0:1] offset:256
.LBB607_151:
	;; [unrolled: 9-line block ×7, first 2 shown]
	s_or_b32 exec_lo, exec_lo, s7
	v_lshlrev_b64 v[0:1], 3, v[8:9]
	v_lshlrev_b32_e32 v8, 3, v37
	s_delay_alu instid0(VALU_DEP_2) | instskip(NEXT) | instid1(VALU_DEP_1)
	v_add_co_u32 v9, s7, v4, v0
	v_add_co_ci_u32_e64 v24, s7, v5, v1, s7
	v_lshlrev_b64 v[4:5], 3, v[22:23]
	s_delay_alu instid0(VALU_DEP_3) | instskip(NEXT) | instid1(VALU_DEP_1)
	v_add_co_u32 v8, s7, v9, v8
	v_add_co_ci_u32_e64 v9, s7, 0, v24, s7
                                        ; implicit-def: $vgpr22_vgpr23
	s_delay_alu instid0(VALU_DEP_2) | instskip(NEXT) | instid1(VALU_DEP_1)
	v_add_co_u32 v4, s7, v8, v4
	v_add_co_ci_u32_e64 v5, s7, v9, v5, s7
	s_and_saveexec_b32 s7, vcc_lo
	s_cbranch_execnz .LBB607_285
; %bb.162:
	s_or_b32 exec_lo, exec_lo, s7
                                        ; implicit-def: $vgpr24_vgpr25
	s_and_saveexec_b32 s7, s0
	s_cbranch_execnz .LBB607_286
.LBB607_163:
	s_or_b32 exec_lo, exec_lo, s7
                                        ; implicit-def: $vgpr84_vgpr85
	s_and_saveexec_b32 s0, s1
	s_cbranch_execnz .LBB607_287
.LBB607_164:
	s_or_b32 exec_lo, exec_lo, s0
                                        ; implicit-def: $vgpr86_vgpr87
	s_and_saveexec_b32 s0, s2
	s_cbranch_execnz .LBB607_288
.LBB607_165:
	s_or_b32 exec_lo, exec_lo, s0
                                        ; implicit-def: $vgpr96_vgpr97
	s_and_saveexec_b32 s0, s3
	s_cbranch_execnz .LBB607_289
.LBB607_166:
	s_or_b32 exec_lo, exec_lo, s0
                                        ; implicit-def: $vgpr98_vgpr99
	s_and_saveexec_b32 s0, s4
	s_cbranch_execnz .LBB607_290
.LBB607_167:
	s_or_b32 exec_lo, exec_lo, s0
                                        ; implicit-def: $vgpr100_vgpr101
	s_and_saveexec_b32 s0, s5
	s_cbranch_execnz .LBB607_291
.LBB607_168:
	s_or_b32 exec_lo, exec_lo, s0
                                        ; implicit-def: $vgpr102_vgpr103
	s_and_saveexec_b32 s0, s6
	s_cbranch_execz .LBB607_170
.LBB607_169:
	flat_load_b64 v[102:103], v[4:5] offset:1792
.LBB607_170:
	s_or_b32 exec_lo, exec_lo, s0
	v_dual_mov_b32 v5, 0 :: v_dual_lshlrev_b32 v4, 5, v26
	s_mov_b32 s20, 0
	v_add_co_u32 v39, vcc_lo, v12, 32
	s_waitcnt vmcnt(0) lgkmcnt(0)
	v_xor_b32_e32 v193, 0x80000000, v16
	s_mov_b32 s21, s20
	s_mov_b32 s22, s20
	;; [unrolled: 1-line block ×3, first 2 shown]
	v_and_b32_e32 v16, 0x3e0, v26
	v_add_co_ci_u32_e32 v164, vcc_lo, 0, v13, vcc_lo
	v_add_co_u32 v8, vcc_lo, v12, v4
	v_add_co_ci_u32_e32 v9, vcc_lo, 0, v13, vcc_lo
	v_xor_b32_e32 v194, 0x80000000, v17
	v_add_co_u32 v31, vcc_lo, v39, v4
	v_min_u32_e32 v4, 0xe0, v16
	v_and_b32_e32 v16, 16, v37
	v_add_nc_u32_e32 v17, -1, v37
	v_xor_b32_e32 v192, 0x80000000, v15
	v_and_b32_e32 v15, 15, v37
	v_or_b32_e32 v4, 31, v4
	v_cmp_eq_u32_e64 s3, 0, v16
	v_cmp_gt_i32_e64 s4, 0, v17
	v_lshrrev_b32_e32 v16, 5, v26
	s_getpc_b64 s[0:1]
	s_add_u32 s0, s0, _ZN7rocprim17ROCPRIM_400000_NS16block_radix_sortIiLj256ELj8ElLj1ELj1ELj8ELNS0_26block_radix_rank_algorithmE2ELNS0_18block_padding_hintE2ELNS0_4arch9wavefront6targetE0EE19radix_bits_per_passE@rel32@lo+4
	s_addc_u32 s1, s1, _ZN7rocprim17ROCPRIM_400000_NS16block_radix_sortIiLj256ELj8ElLj1ELj1ELj8ELNS0_26block_radix_rank_algorithmE2ELNS0_18block_padding_hintE2ELNS0_4arch9wavefront6targetE0EE19radix_bits_per_passE@rel32@hi+12
	v_xor_b32_e32 v197, 0x80000000, v14
	v_lshlrev_b32_e32 v14, 3, v26
	v_add_co_ci_u32_e32 v32, vcc_lo, 0, v164, vcc_lo
	s_load_b32 s25, s[0:1], 0x0
	v_cmp_eq_u32_e32 vcc_lo, 0, v15
	v_cmp_lt_u32_e64 s0, 1, v15
	v_cmp_lt_u32_e64 s1, 3, v15
	;; [unrolled: 1-line block ×3, first 2 shown]
	v_cndmask_b32_e64 v15, v17, v37, s4
	v_cmp_eq_u32_e64 s4, v4, v26
	v_lshlrev_b32_e32 v4, 2, v16
	v_lshlrev_b32_e32 v28, 2, v26
	v_and_or_b32 v14, 0x1f00, v14, v37
	v_lshlrev_b32_e32 v166, 2, v15
	v_and_b32_e32 v15, 7, v37
	v_add_co_u32 v35, s11, v12, v4
	v_add_nc_u32_e32 v4, -1, v16
	v_add_co_ci_u32_e64 v36, s11, 0, v13, s11
	v_add_co_u32 v33, s11, v12, v28
	v_lshlrev_b32_e32 v16, 2, v14
	v_add_co_ci_u32_e64 v34, s11, 0, v13, s11
	v_cmp_eq_u32_e64 s11, 0, v15
	v_cmp_lt_u32_e64 s14, 1, v15
	v_cmp_lt_u32_e64 s15, 3, v15
	v_lshlrev_b64 v[14:15], 2, v[4:5]
	v_cmp_eq_u32_e64 s7, 0, v37
	v_add_co_u32 v37, s16, v12, v16
	s_delay_alu instid0(VALU_DEP_1) | instskip(NEXT) | instid1(VALU_DEP_4)
	v_add_co_ci_u32_e64 v38, s16, 0, v13, s16
	v_add_co_u32 v48, s16, v12, v14
	s_delay_alu instid0(VALU_DEP_1) | instskip(NEXT) | instid1(VALU_DEP_4)
	v_add_co_ci_u32_e64 v49, s16, v13, v15, s16
	v_add_co_u32 v50, s16, v37, v16
	v_dual_mov_b32 v14, s20 :: v_dual_mov_b32 v15, s21
	v_xor_b32_e32 v195, 0x80000000, v18
	v_xor_b32_e32 v196, 0x80000000, v19
	;; [unrolled: 1-line block ×4, first 2 shown]
	v_lshrrev_b32_e32 v165, 5, v27
	v_cmp_gt_u32_e64 s5, 8, v26
	v_cmp_lt_u32_e64 s6, 31, v26
	v_cmp_eq_u32_e64 s10, 0, v26
	v_add_co_ci_u32_e64 v51, s16, 0, v38, s16
	v_sub_nc_u32_e32 v167, v11, v10
	v_dual_mov_b32 v16, s22 :: v_dual_mov_b32 v17, s23
	s_waitcnt lgkmcnt(0)
	s_waitcnt_vscnt null, 0x0
	s_barrier
	buffer_gl0_inv
	s_branch .LBB607_172
.LBB607_171:                            ;   in Loop: Header=BB607_172 Depth=1
	s_or_b32 exec_lo, exec_lo, s17
	s_delay_alu instid0(SALU_CYCLE_1) | instskip(NEXT) | instid1(SALU_CYCLE_1)
	s_and_b32 s16, exec_lo, s18
	s_or_b32 s20, s16, s20
	s_delay_alu instid0(SALU_CYCLE_1)
	s_and_not1_b32 exec_lo, exec_lo, s20
	s_cbranch_execz .LBB607_226
.LBB607_172:                            ; =>This Inner Loop Header: Depth=1
	v_min_u32_e32 v4, s25, v167
	v_dual_mov_b32 v176, v197 :: v_dual_mov_b32 v177, v199
	v_dual_mov_b32 v178, v198 :: v_dual_mov_b32 v179, v196
	s_delay_alu instid0(VALU_DEP_3) | instskip(NEXT) | instid1(VALU_DEP_3)
	v_lshlrev_b32_e64 v4, v4, -1
	v_lshrrev_b32_e32 v19, v10, v176
	s_clause 0x1
	flat_store_b128 v[8:9], v[14:17] offset:32
	flat_store_b128 v[31:32], v[14:17] offset:16
	s_waitcnt lgkmcnt(0)
	s_waitcnt_vscnt null, 0x0
	s_barrier
	v_not_b32_e32 v18, v4
	buffer_gl0_inv
	; wave barrier
	v_dual_mov_b32 v181, v194 :: v_dual_and_b32 v4, v19, v18
	v_mov_b32_e32 v180, v195
	v_dual_mov_b32 v182, v193 :: v_dual_mov_b32 v183, v192
	v_mov_b32_e32 v83, v23
	s_delay_alu instid0(VALU_DEP_4) | instskip(SKIP_4) | instid1(VALU_DEP_4)
	v_lshlrev_b32_e32 v21, 29, v4
	v_and_b32_e32 v19, 1, v4
	v_lshlrev_b32_e32 v20, 30, v4
	v_lshlrev_b32_e32 v52, 28, v4
	v_dual_mov_b32 v81, v25 :: v_dual_lshlrev_b32 v54, 27, v4
	v_add_co_u32 v19, s16, v19, -1
	s_delay_alu instid0(VALU_DEP_1)
	v_cndmask_b32_e64 v53, 0, 1, s16
	v_not_b32_e32 v65, v20
	v_cmp_gt_i32_e64 s17, 0, v20
	v_not_b32_e32 v20, v21
	v_dual_mov_b32 v82, v22 :: v_dual_lshlrev_b32 v55, 26, v4
	v_cmp_ne_u32_e64 s16, 0, v53
	v_ashrrev_i32_e32 v65, 31, v65
	s_delay_alu instid0(VALU_DEP_4)
	v_ashrrev_i32_e32 v20, 31, v20
	v_lshlrev_b32_e32 v64, 25, v4
	v_dual_mov_b32 v80, v24 :: v_dual_lshlrev_b32 v53, 24, v4
	v_xor_b32_e32 v19, s16, v19
	v_cmp_gt_i32_e64 s16, 0, v21
	v_not_b32_e32 v21, v52
	v_xor_b32_e32 v65, s17, v65
	v_cmp_gt_i32_e64 s17, 0, v52
	v_dual_mov_b32 v70, v84 :: v_dual_and_b32 v19, exec_lo, v19
	v_not_b32_e32 v52, v54
	v_ashrrev_i32_e32 v21, 31, v21
	v_xor_b32_e32 v20, s16, v20
	s_delay_alu instid0(VALU_DEP_4)
	v_dual_mov_b32 v68, v86 :: v_dual_and_b32 v19, v19, v65
	v_cmp_gt_i32_e64 s16, 0, v54
	v_not_b32_e32 v54, v55
	v_ashrrev_i32_e32 v52, 31, v52
	v_xor_b32_e32 v21, s17, v21
	v_dual_mov_b32 v66, v96 :: v_dual_and_b32 v19, v19, v20
	v_cmp_gt_i32_e64 s17, 0, v55
	v_ashrrev_i32_e32 v54, 31, v54
	v_xor_b32_e32 v52, s16, v52
	s_delay_alu instid0(VALU_DEP_4)
	v_and_b32_e32 v19, v19, v21
	v_mov_b32_e32 v71, v85
	v_not_b32_e32 v20, v64
	v_cmp_gt_i32_e64 s16, 0, v64
	v_mov_b32_e32 v64, v98
	v_not_b32_e32 v21, v53
	v_xor_b32_e32 v54, s17, v54
	v_ashrrev_i32_e32 v20, 31, v20
	v_and_b32_e32 v19, v19, v52
	v_cmp_gt_i32_e64 s17, 0, v53
	v_ashrrev_i32_e32 v21, 31, v21
	v_mov_b32_e32 v52, v102
	v_xor_b32_e32 v20, s16, v20
	v_and_b32_e32 v19, v19, v54
	v_lshl_add_u32 v4, v4, 3, v165
	v_xor_b32_e32 v21, s17, v21
	v_dual_mov_b32 v54, v100 :: v_dual_mov_b32 v69, v87
	s_delay_alu instid0(VALU_DEP_4)
	v_and_b32_e32 v19, v19, v20
	v_mov_b32_e32 v67, v97
	v_mov_b32_e32 v65, v99
	;; [unrolled: 1-line block ×4, first 2 shown]
	v_and_b32_e32 v19, v19, v21
	v_lshlrev_b64 v[20:21], 2, v[4:5]
	s_delay_alu instid0(VALU_DEP_2) | instskip(SKIP_1) | instid1(VALU_DEP_3)
	v_mbcnt_lo_u32_b32 v116, v19, 0
	v_cmp_ne_u32_e64 s16, 0, v19
	v_add_co_u32 v84, s18, v39, v20
	s_delay_alu instid0(VALU_DEP_1) | instskip(NEXT) | instid1(VALU_DEP_4)
	v_add_co_ci_u32_e64 v85, s18, v164, v21, s18
	v_cmp_eq_u32_e64 s17, 0, v116
	s_delay_alu instid0(VALU_DEP_1) | instskip(NEXT) | instid1(SALU_CYCLE_1)
	s_and_b32 s17, s16, s17
	s_and_saveexec_b32 s16, s17
	s_cbranch_execz .LBB607_174
; %bb.173:                              ;   in Loop: Header=BB607_172 Depth=1
	v_bcnt_u32_b32 v4, v19, 0
	flat_store_b32 v[84:85], v4
.LBB607_174:                            ;   in Loop: Header=BB607_172 Depth=1
	s_or_b32 exec_lo, exec_lo, s16
	v_lshrrev_b32_e32 v4, v10, v183
	; wave barrier
	s_delay_alu instid0(VALU_DEP_1) | instskip(NEXT) | instid1(VALU_DEP_1)
	v_and_b32_e32 v21, v4, v18
	v_lshl_add_u32 v4, v21, 3, v165
	v_lshlrev_b32_e32 v22, 29, v21
	v_lshlrev_b32_e32 v23, 28, v21
	s_delay_alu instid0(VALU_DEP_3) | instskip(SKIP_1) | instid1(VALU_DEP_2)
	v_lshlrev_b64 v[19:20], 2, v[4:5]
	v_and_b32_e32 v4, 1, v21
	v_add_co_u32 v86, s16, v39, v19
	s_delay_alu instid0(VALU_DEP_1) | instskip(NEXT) | instid1(VALU_DEP_3)
	v_add_co_ci_u32_e64 v87, s16, v164, v20, s16
	v_add_co_u32 v4, s16, v4, -1
	s_delay_alu instid0(VALU_DEP_1) | instskip(SKIP_3) | instid1(VALU_DEP_2)
	v_cndmask_b32_e64 v19, 0, 1, s16
	flat_load_b32 v117, v[86:87]
	v_lshlrev_b32_e32 v20, 30, v21
	; wave barrier
	v_cmp_ne_u32_e64 s16, 0, v19
	v_not_b32_e32 v19, v20
	s_delay_alu instid0(VALU_DEP_2) | instskip(SKIP_1) | instid1(VALU_DEP_3)
	v_xor_b32_e32 v4, s16, v4
	v_cmp_gt_i32_e64 s16, 0, v20
	v_ashrrev_i32_e32 v19, 31, v19
	v_not_b32_e32 v20, v22
	s_delay_alu instid0(VALU_DEP_4) | instskip(NEXT) | instid1(VALU_DEP_3)
	v_and_b32_e32 v4, exec_lo, v4
	v_xor_b32_e32 v19, s16, v19
	v_cmp_gt_i32_e64 s16, 0, v22
	s_delay_alu instid0(VALU_DEP_4) | instskip(SKIP_1) | instid1(VALU_DEP_4)
	v_ashrrev_i32_e32 v20, 31, v20
	v_not_b32_e32 v22, v23
	v_and_b32_e32 v4, v4, v19
	v_lshlrev_b32_e32 v19, 27, v21
	s_delay_alu instid0(VALU_DEP_4) | instskip(SKIP_2) | instid1(VALU_DEP_4)
	v_xor_b32_e32 v20, s16, v20
	v_cmp_gt_i32_e64 s16, 0, v23
	v_ashrrev_i32_e32 v22, 31, v22
	v_not_b32_e32 v23, v19
	s_delay_alu instid0(VALU_DEP_4) | instskip(SKIP_1) | instid1(VALU_DEP_4)
	v_and_b32_e32 v4, v4, v20
	v_lshlrev_b32_e32 v20, 26, v21
	v_xor_b32_e32 v22, s16, v22
	v_cmp_gt_i32_e64 s16, 0, v19
	v_ashrrev_i32_e32 v19, 31, v23
	s_delay_alu instid0(VALU_DEP_4) | instskip(NEXT) | instid1(VALU_DEP_4)
	v_not_b32_e32 v23, v20
	v_and_b32_e32 v4, v4, v22
	v_lshlrev_b32_e32 v22, 25, v21
	s_delay_alu instid0(VALU_DEP_4) | instskip(SKIP_2) | instid1(VALU_DEP_4)
	v_xor_b32_e32 v19, s16, v19
	v_cmp_gt_i32_e64 s16, 0, v20
	v_ashrrev_i32_e32 v20, 31, v23
	v_not_b32_e32 v23, v22
	s_delay_alu instid0(VALU_DEP_4) | instskip(SKIP_1) | instid1(VALU_DEP_4)
	v_and_b32_e32 v4, v4, v19
	v_lshlrev_b32_e32 v19, 24, v21
	v_xor_b32_e32 v20, s16, v20
	v_cmp_gt_i32_e64 s16, 0, v22
	v_ashrrev_i32_e32 v21, 31, v23
	s_delay_alu instid0(VALU_DEP_4) | instskip(NEXT) | instid1(VALU_DEP_4)
	v_not_b32_e32 v22, v19
	v_and_b32_e32 v4, v4, v20
	s_delay_alu instid0(VALU_DEP_3) | instskip(SKIP_1) | instid1(VALU_DEP_4)
	v_xor_b32_e32 v20, s16, v21
	v_cmp_gt_i32_e64 s16, 0, v19
	v_ashrrev_i32_e32 v19, 31, v22
	s_delay_alu instid0(VALU_DEP_3) | instskip(NEXT) | instid1(VALU_DEP_2)
	v_and_b32_e32 v4, v4, v20
	v_xor_b32_e32 v19, s16, v19
	s_delay_alu instid0(VALU_DEP_1) | instskip(NEXT) | instid1(VALU_DEP_1)
	v_and_b32_e32 v4, v4, v19
	v_mbcnt_lo_u32_b32 v118, v4, 0
	v_cmp_ne_u32_e64 s17, 0, v4
	s_delay_alu instid0(VALU_DEP_2) | instskip(NEXT) | instid1(VALU_DEP_1)
	v_cmp_eq_u32_e64 s16, 0, v118
	s_and_b32 s17, s17, s16
	s_delay_alu instid0(SALU_CYCLE_1)
	s_and_saveexec_b32 s16, s17
	s_cbranch_execz .LBB607_176
; %bb.175:                              ;   in Loop: Header=BB607_172 Depth=1
	s_waitcnt vmcnt(0) lgkmcnt(0)
	v_bcnt_u32_b32 v4, v4, v117
	flat_store_b32 v[86:87], v4
.LBB607_176:                            ;   in Loop: Header=BB607_172 Depth=1
	s_or_b32 exec_lo, exec_lo, s16
	v_lshrrev_b32_e32 v4, v10, v182
	; wave barrier
	s_delay_alu instid0(VALU_DEP_1) | instskip(NEXT) | instid1(VALU_DEP_1)
	v_and_b32_e32 v21, v4, v18
	v_lshl_add_u32 v4, v21, 3, v165
	v_lshlrev_b32_e32 v22, 29, v21
	v_lshlrev_b32_e32 v23, 28, v21
	s_delay_alu instid0(VALU_DEP_3) | instskip(SKIP_1) | instid1(VALU_DEP_2)
	v_lshlrev_b64 v[19:20], 2, v[4:5]
	v_and_b32_e32 v4, 1, v21
	v_add_co_u32 v96, s16, v39, v19
	s_delay_alu instid0(VALU_DEP_1) | instskip(NEXT) | instid1(VALU_DEP_3)
	v_add_co_ci_u32_e64 v97, s16, v164, v20, s16
	v_add_co_u32 v4, s16, v4, -1
	s_delay_alu instid0(VALU_DEP_1) | instskip(SKIP_3) | instid1(VALU_DEP_2)
	v_cndmask_b32_e64 v19, 0, 1, s16
	flat_load_b32 v119, v[96:97]
	v_lshlrev_b32_e32 v20, 30, v21
	; wave barrier
	v_cmp_ne_u32_e64 s16, 0, v19
	v_not_b32_e32 v19, v20
	s_delay_alu instid0(VALU_DEP_2) | instskip(SKIP_1) | instid1(VALU_DEP_3)
	v_xor_b32_e32 v4, s16, v4
	v_cmp_gt_i32_e64 s16, 0, v20
	v_ashrrev_i32_e32 v19, 31, v19
	v_not_b32_e32 v20, v22
	s_delay_alu instid0(VALU_DEP_4) | instskip(NEXT) | instid1(VALU_DEP_3)
	v_and_b32_e32 v4, exec_lo, v4
	v_xor_b32_e32 v19, s16, v19
	v_cmp_gt_i32_e64 s16, 0, v22
	s_delay_alu instid0(VALU_DEP_4) | instskip(SKIP_1) | instid1(VALU_DEP_4)
	v_ashrrev_i32_e32 v20, 31, v20
	v_not_b32_e32 v22, v23
	v_and_b32_e32 v4, v4, v19
	v_lshlrev_b32_e32 v19, 27, v21
	s_delay_alu instid0(VALU_DEP_4) | instskip(SKIP_2) | instid1(VALU_DEP_4)
	v_xor_b32_e32 v20, s16, v20
	v_cmp_gt_i32_e64 s16, 0, v23
	v_ashrrev_i32_e32 v22, 31, v22
	v_not_b32_e32 v23, v19
	s_delay_alu instid0(VALU_DEP_4) | instskip(SKIP_1) | instid1(VALU_DEP_4)
	v_and_b32_e32 v4, v4, v20
	v_lshlrev_b32_e32 v20, 26, v21
	v_xor_b32_e32 v22, s16, v22
	v_cmp_gt_i32_e64 s16, 0, v19
	v_ashrrev_i32_e32 v19, 31, v23
	s_delay_alu instid0(VALU_DEP_4) | instskip(NEXT) | instid1(VALU_DEP_4)
	v_not_b32_e32 v23, v20
	v_and_b32_e32 v4, v4, v22
	v_lshlrev_b32_e32 v22, 25, v21
	s_delay_alu instid0(VALU_DEP_4) | instskip(SKIP_2) | instid1(VALU_DEP_4)
	v_xor_b32_e32 v19, s16, v19
	v_cmp_gt_i32_e64 s16, 0, v20
	v_ashrrev_i32_e32 v20, 31, v23
	v_not_b32_e32 v23, v22
	s_delay_alu instid0(VALU_DEP_4) | instskip(SKIP_1) | instid1(VALU_DEP_4)
	v_and_b32_e32 v4, v4, v19
	v_lshlrev_b32_e32 v19, 24, v21
	v_xor_b32_e32 v20, s16, v20
	v_cmp_gt_i32_e64 s16, 0, v22
	v_ashrrev_i32_e32 v21, 31, v23
	s_delay_alu instid0(VALU_DEP_4) | instskip(NEXT) | instid1(VALU_DEP_4)
	v_not_b32_e32 v22, v19
	v_and_b32_e32 v4, v4, v20
	s_delay_alu instid0(VALU_DEP_3) | instskip(SKIP_1) | instid1(VALU_DEP_4)
	v_xor_b32_e32 v20, s16, v21
	v_cmp_gt_i32_e64 s16, 0, v19
	v_ashrrev_i32_e32 v19, 31, v22
	s_delay_alu instid0(VALU_DEP_3) | instskip(NEXT) | instid1(VALU_DEP_2)
	v_and_b32_e32 v4, v4, v20
	v_xor_b32_e32 v19, s16, v19
	s_delay_alu instid0(VALU_DEP_1) | instskip(NEXT) | instid1(VALU_DEP_1)
	v_and_b32_e32 v4, v4, v19
	v_mbcnt_lo_u32_b32 v128, v4, 0
	v_cmp_ne_u32_e64 s17, 0, v4
	s_delay_alu instid0(VALU_DEP_2) | instskip(NEXT) | instid1(VALU_DEP_1)
	v_cmp_eq_u32_e64 s16, 0, v128
	s_and_b32 s17, s17, s16
	s_delay_alu instid0(SALU_CYCLE_1)
	s_and_saveexec_b32 s16, s17
	s_cbranch_execz .LBB607_178
; %bb.177:                              ;   in Loop: Header=BB607_172 Depth=1
	s_waitcnt vmcnt(0) lgkmcnt(0)
	v_bcnt_u32_b32 v4, v4, v119
	flat_store_b32 v[96:97], v4
.LBB607_178:                            ;   in Loop: Header=BB607_172 Depth=1
	s_or_b32 exec_lo, exec_lo, s16
	v_lshrrev_b32_e32 v4, v10, v181
	; wave barrier
	s_delay_alu instid0(VALU_DEP_1) | instskip(NEXT) | instid1(VALU_DEP_1)
	v_and_b32_e32 v21, v4, v18
	v_lshl_add_u32 v4, v21, 3, v165
	v_lshlrev_b32_e32 v22, 29, v21
	v_lshlrev_b32_e32 v23, 28, v21
	s_delay_alu instid0(VALU_DEP_3) | instskip(SKIP_1) | instid1(VALU_DEP_2)
	v_lshlrev_b64 v[19:20], 2, v[4:5]
	v_and_b32_e32 v4, 1, v21
	v_add_co_u32 v98, s16, v39, v19
	s_delay_alu instid0(VALU_DEP_1) | instskip(NEXT) | instid1(VALU_DEP_3)
	v_add_co_ci_u32_e64 v99, s16, v164, v20, s16
	v_add_co_u32 v4, s16, v4, -1
	s_delay_alu instid0(VALU_DEP_1) | instskip(SKIP_3) | instid1(VALU_DEP_2)
	v_cndmask_b32_e64 v19, 0, 1, s16
	flat_load_b32 v129, v[98:99]
	v_lshlrev_b32_e32 v20, 30, v21
	; wave barrier
	v_cmp_ne_u32_e64 s16, 0, v19
	v_not_b32_e32 v19, v20
	s_delay_alu instid0(VALU_DEP_2) | instskip(SKIP_1) | instid1(VALU_DEP_3)
	v_xor_b32_e32 v4, s16, v4
	v_cmp_gt_i32_e64 s16, 0, v20
	v_ashrrev_i32_e32 v19, 31, v19
	v_not_b32_e32 v20, v22
	s_delay_alu instid0(VALU_DEP_4) | instskip(NEXT) | instid1(VALU_DEP_3)
	v_and_b32_e32 v4, exec_lo, v4
	v_xor_b32_e32 v19, s16, v19
	v_cmp_gt_i32_e64 s16, 0, v22
	s_delay_alu instid0(VALU_DEP_4) | instskip(SKIP_1) | instid1(VALU_DEP_4)
	v_ashrrev_i32_e32 v20, 31, v20
	v_not_b32_e32 v22, v23
	v_and_b32_e32 v4, v4, v19
	v_lshlrev_b32_e32 v19, 27, v21
	s_delay_alu instid0(VALU_DEP_4) | instskip(SKIP_2) | instid1(VALU_DEP_4)
	v_xor_b32_e32 v20, s16, v20
	v_cmp_gt_i32_e64 s16, 0, v23
	v_ashrrev_i32_e32 v22, 31, v22
	v_not_b32_e32 v23, v19
	s_delay_alu instid0(VALU_DEP_4) | instskip(SKIP_1) | instid1(VALU_DEP_4)
	v_and_b32_e32 v4, v4, v20
	v_lshlrev_b32_e32 v20, 26, v21
	v_xor_b32_e32 v22, s16, v22
	v_cmp_gt_i32_e64 s16, 0, v19
	v_ashrrev_i32_e32 v19, 31, v23
	s_delay_alu instid0(VALU_DEP_4) | instskip(NEXT) | instid1(VALU_DEP_4)
	v_not_b32_e32 v23, v20
	v_and_b32_e32 v4, v4, v22
	v_lshlrev_b32_e32 v22, 25, v21
	s_delay_alu instid0(VALU_DEP_4) | instskip(SKIP_2) | instid1(VALU_DEP_4)
	v_xor_b32_e32 v19, s16, v19
	v_cmp_gt_i32_e64 s16, 0, v20
	v_ashrrev_i32_e32 v20, 31, v23
	v_not_b32_e32 v23, v22
	s_delay_alu instid0(VALU_DEP_4) | instskip(SKIP_1) | instid1(VALU_DEP_4)
	v_and_b32_e32 v4, v4, v19
	v_lshlrev_b32_e32 v19, 24, v21
	v_xor_b32_e32 v20, s16, v20
	v_cmp_gt_i32_e64 s16, 0, v22
	v_ashrrev_i32_e32 v21, 31, v23
	s_delay_alu instid0(VALU_DEP_4) | instskip(NEXT) | instid1(VALU_DEP_4)
	v_not_b32_e32 v22, v19
	v_and_b32_e32 v4, v4, v20
	s_delay_alu instid0(VALU_DEP_3) | instskip(SKIP_1) | instid1(VALU_DEP_4)
	v_xor_b32_e32 v20, s16, v21
	v_cmp_gt_i32_e64 s16, 0, v19
	v_ashrrev_i32_e32 v19, 31, v22
	s_delay_alu instid0(VALU_DEP_3) | instskip(NEXT) | instid1(VALU_DEP_2)
	v_and_b32_e32 v4, v4, v20
	v_xor_b32_e32 v19, s16, v19
	s_delay_alu instid0(VALU_DEP_1) | instskip(NEXT) | instid1(VALU_DEP_1)
	v_and_b32_e32 v4, v4, v19
	v_mbcnt_lo_u32_b32 v130, v4, 0
	v_cmp_ne_u32_e64 s17, 0, v4
	s_delay_alu instid0(VALU_DEP_2) | instskip(NEXT) | instid1(VALU_DEP_1)
	v_cmp_eq_u32_e64 s16, 0, v130
	s_and_b32 s17, s17, s16
	s_delay_alu instid0(SALU_CYCLE_1)
	s_and_saveexec_b32 s16, s17
	s_cbranch_execz .LBB607_180
; %bb.179:                              ;   in Loop: Header=BB607_172 Depth=1
	s_waitcnt vmcnt(0) lgkmcnt(0)
	v_bcnt_u32_b32 v4, v4, v129
	flat_store_b32 v[98:99], v4
.LBB607_180:                            ;   in Loop: Header=BB607_172 Depth=1
	s_or_b32 exec_lo, exec_lo, s16
	v_lshrrev_b32_e32 v4, v10, v180
	; wave barrier
	s_delay_alu instid0(VALU_DEP_1) | instskip(NEXT) | instid1(VALU_DEP_1)
	v_and_b32_e32 v21, v4, v18
	v_lshl_add_u32 v4, v21, 3, v165
	v_lshlrev_b32_e32 v22, 29, v21
	v_lshlrev_b32_e32 v23, 28, v21
	s_delay_alu instid0(VALU_DEP_3) | instskip(SKIP_1) | instid1(VALU_DEP_2)
	v_lshlrev_b64 v[19:20], 2, v[4:5]
	v_and_b32_e32 v4, 1, v21
	v_add_co_u32 v100, s16, v39, v19
	s_delay_alu instid0(VALU_DEP_1) | instskip(NEXT) | instid1(VALU_DEP_3)
	v_add_co_ci_u32_e64 v101, s16, v164, v20, s16
	v_add_co_u32 v4, s16, v4, -1
	s_delay_alu instid0(VALU_DEP_1) | instskip(SKIP_3) | instid1(VALU_DEP_2)
	v_cndmask_b32_e64 v19, 0, 1, s16
	flat_load_b32 v131, v[100:101]
	v_lshlrev_b32_e32 v20, 30, v21
	; wave barrier
	v_cmp_ne_u32_e64 s16, 0, v19
	v_not_b32_e32 v19, v20
	s_delay_alu instid0(VALU_DEP_2) | instskip(SKIP_1) | instid1(VALU_DEP_3)
	v_xor_b32_e32 v4, s16, v4
	v_cmp_gt_i32_e64 s16, 0, v20
	v_ashrrev_i32_e32 v19, 31, v19
	v_not_b32_e32 v20, v22
	s_delay_alu instid0(VALU_DEP_4) | instskip(NEXT) | instid1(VALU_DEP_3)
	v_and_b32_e32 v4, exec_lo, v4
	v_xor_b32_e32 v19, s16, v19
	v_cmp_gt_i32_e64 s16, 0, v22
	s_delay_alu instid0(VALU_DEP_4) | instskip(SKIP_1) | instid1(VALU_DEP_4)
	v_ashrrev_i32_e32 v20, 31, v20
	v_not_b32_e32 v22, v23
	v_and_b32_e32 v4, v4, v19
	v_lshlrev_b32_e32 v19, 27, v21
	s_delay_alu instid0(VALU_DEP_4) | instskip(SKIP_2) | instid1(VALU_DEP_4)
	v_xor_b32_e32 v20, s16, v20
	v_cmp_gt_i32_e64 s16, 0, v23
	v_ashrrev_i32_e32 v22, 31, v22
	v_not_b32_e32 v23, v19
	s_delay_alu instid0(VALU_DEP_4) | instskip(SKIP_1) | instid1(VALU_DEP_4)
	v_and_b32_e32 v4, v4, v20
	v_lshlrev_b32_e32 v20, 26, v21
	v_xor_b32_e32 v22, s16, v22
	v_cmp_gt_i32_e64 s16, 0, v19
	v_ashrrev_i32_e32 v19, 31, v23
	s_delay_alu instid0(VALU_DEP_4) | instskip(NEXT) | instid1(VALU_DEP_4)
	v_not_b32_e32 v23, v20
	v_and_b32_e32 v4, v4, v22
	v_lshlrev_b32_e32 v22, 25, v21
	s_delay_alu instid0(VALU_DEP_4) | instskip(SKIP_2) | instid1(VALU_DEP_4)
	v_xor_b32_e32 v19, s16, v19
	v_cmp_gt_i32_e64 s16, 0, v20
	v_ashrrev_i32_e32 v20, 31, v23
	v_not_b32_e32 v23, v22
	s_delay_alu instid0(VALU_DEP_4) | instskip(SKIP_1) | instid1(VALU_DEP_4)
	v_and_b32_e32 v4, v4, v19
	v_lshlrev_b32_e32 v19, 24, v21
	v_xor_b32_e32 v20, s16, v20
	v_cmp_gt_i32_e64 s16, 0, v22
	v_ashrrev_i32_e32 v21, 31, v23
	s_delay_alu instid0(VALU_DEP_4) | instskip(NEXT) | instid1(VALU_DEP_4)
	v_not_b32_e32 v22, v19
	v_and_b32_e32 v4, v4, v20
	s_delay_alu instid0(VALU_DEP_3) | instskip(SKIP_1) | instid1(VALU_DEP_4)
	v_xor_b32_e32 v20, s16, v21
	v_cmp_gt_i32_e64 s16, 0, v19
	v_ashrrev_i32_e32 v19, 31, v22
	s_delay_alu instid0(VALU_DEP_3) | instskip(NEXT) | instid1(VALU_DEP_2)
	v_and_b32_e32 v4, v4, v20
	v_xor_b32_e32 v19, s16, v19
	s_delay_alu instid0(VALU_DEP_1) | instskip(NEXT) | instid1(VALU_DEP_1)
	v_and_b32_e32 v4, v4, v19
	v_mbcnt_lo_u32_b32 v132, v4, 0
	v_cmp_ne_u32_e64 s17, 0, v4
	s_delay_alu instid0(VALU_DEP_2) | instskip(NEXT) | instid1(VALU_DEP_1)
	v_cmp_eq_u32_e64 s16, 0, v132
	s_and_b32 s17, s17, s16
	s_delay_alu instid0(SALU_CYCLE_1)
	s_and_saveexec_b32 s16, s17
	s_cbranch_execz .LBB607_182
; %bb.181:                              ;   in Loop: Header=BB607_172 Depth=1
	s_waitcnt vmcnt(0) lgkmcnt(0)
	v_bcnt_u32_b32 v4, v4, v131
	flat_store_b32 v[100:101], v4
.LBB607_182:                            ;   in Loop: Header=BB607_172 Depth=1
	s_or_b32 exec_lo, exec_lo, s16
	v_lshrrev_b32_e32 v4, v10, v179
	; wave barrier
	s_delay_alu instid0(VALU_DEP_1) | instskip(NEXT) | instid1(VALU_DEP_1)
	v_and_b32_e32 v21, v4, v18
	v_lshl_add_u32 v4, v21, 3, v165
	v_lshlrev_b32_e32 v22, 29, v21
	v_lshlrev_b32_e32 v23, 28, v21
	s_delay_alu instid0(VALU_DEP_3) | instskip(SKIP_1) | instid1(VALU_DEP_2)
	v_lshlrev_b64 v[19:20], 2, v[4:5]
	v_and_b32_e32 v4, 1, v21
	v_add_co_u32 v102, s16, v39, v19
	s_delay_alu instid0(VALU_DEP_1) | instskip(NEXT) | instid1(VALU_DEP_3)
	v_add_co_ci_u32_e64 v103, s16, v164, v20, s16
	v_add_co_u32 v4, s16, v4, -1
	s_delay_alu instid0(VALU_DEP_1) | instskip(SKIP_3) | instid1(VALU_DEP_2)
	v_cndmask_b32_e64 v19, 0, 1, s16
	flat_load_b32 v133, v[102:103]
	v_lshlrev_b32_e32 v20, 30, v21
	; wave barrier
	v_cmp_ne_u32_e64 s16, 0, v19
	v_not_b32_e32 v19, v20
	s_delay_alu instid0(VALU_DEP_2) | instskip(SKIP_1) | instid1(VALU_DEP_3)
	v_xor_b32_e32 v4, s16, v4
	v_cmp_gt_i32_e64 s16, 0, v20
	v_ashrrev_i32_e32 v19, 31, v19
	v_not_b32_e32 v20, v22
	s_delay_alu instid0(VALU_DEP_4) | instskip(NEXT) | instid1(VALU_DEP_3)
	v_and_b32_e32 v4, exec_lo, v4
	v_xor_b32_e32 v19, s16, v19
	v_cmp_gt_i32_e64 s16, 0, v22
	s_delay_alu instid0(VALU_DEP_4) | instskip(SKIP_1) | instid1(VALU_DEP_4)
	v_ashrrev_i32_e32 v20, 31, v20
	v_not_b32_e32 v22, v23
	v_and_b32_e32 v4, v4, v19
	v_lshlrev_b32_e32 v19, 27, v21
	s_delay_alu instid0(VALU_DEP_4) | instskip(SKIP_2) | instid1(VALU_DEP_4)
	v_xor_b32_e32 v20, s16, v20
	v_cmp_gt_i32_e64 s16, 0, v23
	v_ashrrev_i32_e32 v22, 31, v22
	v_not_b32_e32 v23, v19
	s_delay_alu instid0(VALU_DEP_4) | instskip(SKIP_1) | instid1(VALU_DEP_4)
	v_and_b32_e32 v4, v4, v20
	v_lshlrev_b32_e32 v20, 26, v21
	v_xor_b32_e32 v22, s16, v22
	v_cmp_gt_i32_e64 s16, 0, v19
	v_ashrrev_i32_e32 v19, 31, v23
	s_delay_alu instid0(VALU_DEP_4) | instskip(NEXT) | instid1(VALU_DEP_4)
	v_not_b32_e32 v23, v20
	v_and_b32_e32 v4, v4, v22
	v_lshlrev_b32_e32 v22, 25, v21
	s_delay_alu instid0(VALU_DEP_4) | instskip(SKIP_2) | instid1(VALU_DEP_4)
	v_xor_b32_e32 v19, s16, v19
	v_cmp_gt_i32_e64 s16, 0, v20
	v_ashrrev_i32_e32 v20, 31, v23
	v_not_b32_e32 v23, v22
	s_delay_alu instid0(VALU_DEP_4) | instskip(SKIP_1) | instid1(VALU_DEP_4)
	v_and_b32_e32 v4, v4, v19
	v_lshlrev_b32_e32 v19, 24, v21
	v_xor_b32_e32 v20, s16, v20
	v_cmp_gt_i32_e64 s16, 0, v22
	v_ashrrev_i32_e32 v21, 31, v23
	s_delay_alu instid0(VALU_DEP_4) | instskip(NEXT) | instid1(VALU_DEP_4)
	v_not_b32_e32 v22, v19
	v_and_b32_e32 v4, v4, v20
	s_delay_alu instid0(VALU_DEP_3) | instskip(SKIP_1) | instid1(VALU_DEP_4)
	v_xor_b32_e32 v20, s16, v21
	v_cmp_gt_i32_e64 s16, 0, v19
	v_ashrrev_i32_e32 v19, 31, v22
	s_delay_alu instid0(VALU_DEP_3) | instskip(NEXT) | instid1(VALU_DEP_2)
	v_and_b32_e32 v4, v4, v20
	v_xor_b32_e32 v19, s16, v19
	s_delay_alu instid0(VALU_DEP_1) | instskip(NEXT) | instid1(VALU_DEP_1)
	v_and_b32_e32 v4, v4, v19
	v_mbcnt_lo_u32_b32 v134, v4, 0
	v_cmp_ne_u32_e64 s17, 0, v4
	s_delay_alu instid0(VALU_DEP_2) | instskip(NEXT) | instid1(VALU_DEP_1)
	v_cmp_eq_u32_e64 s16, 0, v134
	s_and_b32 s17, s17, s16
	s_delay_alu instid0(SALU_CYCLE_1)
	s_and_saveexec_b32 s16, s17
	s_cbranch_execz .LBB607_184
; %bb.183:                              ;   in Loop: Header=BB607_172 Depth=1
	s_waitcnt vmcnt(0) lgkmcnt(0)
	v_bcnt_u32_b32 v4, v4, v133
	flat_store_b32 v[102:103], v4
.LBB607_184:                            ;   in Loop: Header=BB607_172 Depth=1
	s_or_b32 exec_lo, exec_lo, s16
	v_lshrrev_b32_e32 v4, v10, v178
	; wave barrier
	s_delay_alu instid0(VALU_DEP_1) | instskip(NEXT) | instid1(VALU_DEP_1)
	v_and_b32_e32 v21, v4, v18
	v_lshl_add_u32 v4, v21, 3, v165
	v_lshlrev_b32_e32 v22, 29, v21
	v_lshlrev_b32_e32 v23, 28, v21
	s_delay_alu instid0(VALU_DEP_3) | instskip(SKIP_1) | instid1(VALU_DEP_2)
	v_lshlrev_b64 v[19:20], 2, v[4:5]
	v_and_b32_e32 v4, 1, v21
	v_add_co_u32 v112, s16, v39, v19
	s_delay_alu instid0(VALU_DEP_1) | instskip(NEXT) | instid1(VALU_DEP_3)
	v_add_co_ci_u32_e64 v113, s16, v164, v20, s16
	v_add_co_u32 v4, s16, v4, -1
	s_delay_alu instid0(VALU_DEP_1) | instskip(SKIP_3) | instid1(VALU_DEP_2)
	v_cndmask_b32_e64 v19, 0, 1, s16
	flat_load_b32 v135, v[112:113]
	v_lshlrev_b32_e32 v20, 30, v21
	; wave barrier
	v_cmp_ne_u32_e64 s16, 0, v19
	v_not_b32_e32 v19, v20
	s_delay_alu instid0(VALU_DEP_2) | instskip(SKIP_1) | instid1(VALU_DEP_3)
	v_xor_b32_e32 v4, s16, v4
	v_cmp_gt_i32_e64 s16, 0, v20
	v_ashrrev_i32_e32 v19, 31, v19
	v_not_b32_e32 v20, v22
	s_delay_alu instid0(VALU_DEP_4) | instskip(NEXT) | instid1(VALU_DEP_3)
	v_and_b32_e32 v4, exec_lo, v4
	v_xor_b32_e32 v19, s16, v19
	v_cmp_gt_i32_e64 s16, 0, v22
	s_delay_alu instid0(VALU_DEP_4) | instskip(SKIP_1) | instid1(VALU_DEP_4)
	v_ashrrev_i32_e32 v20, 31, v20
	v_not_b32_e32 v22, v23
	v_and_b32_e32 v4, v4, v19
	v_lshlrev_b32_e32 v19, 27, v21
	s_delay_alu instid0(VALU_DEP_4) | instskip(SKIP_2) | instid1(VALU_DEP_4)
	v_xor_b32_e32 v20, s16, v20
	v_cmp_gt_i32_e64 s16, 0, v23
	v_ashrrev_i32_e32 v22, 31, v22
	v_not_b32_e32 v23, v19
	s_delay_alu instid0(VALU_DEP_4) | instskip(SKIP_1) | instid1(VALU_DEP_4)
	v_and_b32_e32 v4, v4, v20
	v_lshlrev_b32_e32 v20, 26, v21
	v_xor_b32_e32 v22, s16, v22
	v_cmp_gt_i32_e64 s16, 0, v19
	v_ashrrev_i32_e32 v19, 31, v23
	s_delay_alu instid0(VALU_DEP_4) | instskip(NEXT) | instid1(VALU_DEP_4)
	v_not_b32_e32 v23, v20
	v_and_b32_e32 v4, v4, v22
	v_lshlrev_b32_e32 v22, 25, v21
	s_delay_alu instid0(VALU_DEP_4) | instskip(SKIP_2) | instid1(VALU_DEP_4)
	v_xor_b32_e32 v19, s16, v19
	v_cmp_gt_i32_e64 s16, 0, v20
	v_ashrrev_i32_e32 v20, 31, v23
	v_not_b32_e32 v23, v22
	s_delay_alu instid0(VALU_DEP_4) | instskip(SKIP_1) | instid1(VALU_DEP_4)
	v_and_b32_e32 v4, v4, v19
	v_lshlrev_b32_e32 v19, 24, v21
	v_xor_b32_e32 v20, s16, v20
	v_cmp_gt_i32_e64 s16, 0, v22
	v_ashrrev_i32_e32 v21, 31, v23
	s_delay_alu instid0(VALU_DEP_4) | instskip(NEXT) | instid1(VALU_DEP_4)
	v_not_b32_e32 v22, v19
	v_and_b32_e32 v4, v4, v20
	s_delay_alu instid0(VALU_DEP_3) | instskip(SKIP_1) | instid1(VALU_DEP_4)
	v_xor_b32_e32 v20, s16, v21
	v_cmp_gt_i32_e64 s16, 0, v19
	v_ashrrev_i32_e32 v19, 31, v22
	s_delay_alu instid0(VALU_DEP_3) | instskip(NEXT) | instid1(VALU_DEP_2)
	v_and_b32_e32 v4, v4, v20
	v_xor_b32_e32 v19, s16, v19
	s_delay_alu instid0(VALU_DEP_1) | instskip(NEXT) | instid1(VALU_DEP_1)
	v_and_b32_e32 v4, v4, v19
	v_mbcnt_lo_u32_b32 v144, v4, 0
	v_cmp_ne_u32_e64 s17, 0, v4
	s_delay_alu instid0(VALU_DEP_2) | instskip(NEXT) | instid1(VALU_DEP_1)
	v_cmp_eq_u32_e64 s16, 0, v144
	s_and_b32 s17, s17, s16
	s_delay_alu instid0(SALU_CYCLE_1)
	s_and_saveexec_b32 s16, s17
	s_cbranch_execz .LBB607_186
; %bb.185:                              ;   in Loop: Header=BB607_172 Depth=1
	s_waitcnt vmcnt(0) lgkmcnt(0)
	v_bcnt_u32_b32 v4, v4, v135
	flat_store_b32 v[112:113], v4
.LBB607_186:                            ;   in Loop: Header=BB607_172 Depth=1
	s_or_b32 exec_lo, exec_lo, s16
	v_lshrrev_b32_e32 v4, v10, v177
	; wave barrier
	s_delay_alu instid0(VALU_DEP_1) | instskip(NEXT) | instid1(VALU_DEP_1)
	v_and_b32_e32 v20, v4, v18
	v_lshl_add_u32 v4, v20, 3, v165
	v_lshlrev_b32_e32 v21, 29, v20
	v_lshlrev_b32_e32 v22, 28, v20
	s_delay_alu instid0(VALU_DEP_3) | instskip(SKIP_1) | instid1(VALU_DEP_2)
	v_lshlrev_b64 v[18:19], 2, v[4:5]
	v_and_b32_e32 v4, 1, v20
	v_add_co_u32 v114, s16, v39, v18
	s_delay_alu instid0(VALU_DEP_1) | instskip(NEXT) | instid1(VALU_DEP_3)
	v_add_co_ci_u32_e64 v115, s16, v164, v19, s16
	v_add_co_u32 v4, s16, v4, -1
	s_delay_alu instid0(VALU_DEP_1) | instskip(SKIP_3) | instid1(VALU_DEP_2)
	v_cndmask_b32_e64 v18, 0, 1, s16
	flat_load_b32 v145, v[114:115]
	v_lshlrev_b32_e32 v19, 30, v20
	; wave barrier
	v_cmp_ne_u32_e64 s16, 0, v18
	v_not_b32_e32 v18, v19
	s_delay_alu instid0(VALU_DEP_2) | instskip(SKIP_1) | instid1(VALU_DEP_3)
	v_xor_b32_e32 v4, s16, v4
	v_cmp_gt_i32_e64 s16, 0, v19
	v_ashrrev_i32_e32 v18, 31, v18
	v_not_b32_e32 v19, v21
	s_delay_alu instid0(VALU_DEP_4) | instskip(NEXT) | instid1(VALU_DEP_3)
	v_and_b32_e32 v4, exec_lo, v4
	v_xor_b32_e32 v18, s16, v18
	v_cmp_gt_i32_e64 s16, 0, v21
	s_delay_alu instid0(VALU_DEP_4) | instskip(SKIP_1) | instid1(VALU_DEP_4)
	v_ashrrev_i32_e32 v19, 31, v19
	v_not_b32_e32 v21, v22
	v_and_b32_e32 v4, v4, v18
	v_lshlrev_b32_e32 v18, 27, v20
	s_delay_alu instid0(VALU_DEP_4) | instskip(SKIP_2) | instid1(VALU_DEP_4)
	v_xor_b32_e32 v19, s16, v19
	v_cmp_gt_i32_e64 s16, 0, v22
	v_ashrrev_i32_e32 v21, 31, v21
	v_not_b32_e32 v22, v18
	s_delay_alu instid0(VALU_DEP_4) | instskip(SKIP_1) | instid1(VALU_DEP_4)
	v_and_b32_e32 v4, v4, v19
	v_lshlrev_b32_e32 v19, 26, v20
	v_xor_b32_e32 v21, s16, v21
	v_cmp_gt_i32_e64 s16, 0, v18
	v_ashrrev_i32_e32 v18, 31, v22
	s_delay_alu instid0(VALU_DEP_4) | instskip(NEXT) | instid1(VALU_DEP_4)
	v_not_b32_e32 v22, v19
	v_and_b32_e32 v4, v4, v21
	v_lshlrev_b32_e32 v21, 25, v20
	s_delay_alu instid0(VALU_DEP_4) | instskip(SKIP_2) | instid1(VALU_DEP_4)
	v_xor_b32_e32 v18, s16, v18
	v_cmp_gt_i32_e64 s16, 0, v19
	v_ashrrev_i32_e32 v19, 31, v22
	v_not_b32_e32 v22, v21
	s_delay_alu instid0(VALU_DEP_4) | instskip(SKIP_1) | instid1(VALU_DEP_4)
	v_and_b32_e32 v4, v4, v18
	v_lshlrev_b32_e32 v18, 24, v20
	v_xor_b32_e32 v19, s16, v19
	v_cmp_gt_i32_e64 s16, 0, v21
	v_ashrrev_i32_e32 v20, 31, v22
	s_delay_alu instid0(VALU_DEP_4) | instskip(NEXT) | instid1(VALU_DEP_4)
	v_not_b32_e32 v21, v18
	v_and_b32_e32 v4, v4, v19
	s_delay_alu instid0(VALU_DEP_3) | instskip(SKIP_1) | instid1(VALU_DEP_4)
	v_xor_b32_e32 v19, s16, v20
	v_cmp_gt_i32_e64 s16, 0, v18
	v_ashrrev_i32_e32 v18, 31, v21
	s_delay_alu instid0(VALU_DEP_3) | instskip(NEXT) | instid1(VALU_DEP_2)
	v_and_b32_e32 v4, v4, v19
	v_xor_b32_e32 v18, s16, v18
	s_delay_alu instid0(VALU_DEP_1) | instskip(NEXT) | instid1(VALU_DEP_1)
	v_and_b32_e32 v4, v4, v18
	v_mbcnt_lo_u32_b32 v146, v4, 0
	v_cmp_ne_u32_e64 s17, 0, v4
	s_delay_alu instid0(VALU_DEP_2) | instskip(NEXT) | instid1(VALU_DEP_1)
	v_cmp_eq_u32_e64 s16, 0, v146
	s_and_b32 s17, s17, s16
	s_delay_alu instid0(SALU_CYCLE_1)
	s_and_saveexec_b32 s16, s17
	s_cbranch_execz .LBB607_188
; %bb.187:                              ;   in Loop: Header=BB607_172 Depth=1
	s_waitcnt vmcnt(0) lgkmcnt(0)
	v_bcnt_u32_b32 v4, v4, v145
	flat_store_b32 v[114:115], v4
.LBB607_188:                            ;   in Loop: Header=BB607_172 Depth=1
	s_or_b32 exec_lo, exec_lo, s16
	; wave barrier
	s_waitcnt vmcnt(0) lgkmcnt(0)
	s_waitcnt_vscnt null, 0x0
	s_barrier
	buffer_gl0_inv
	s_clause 0x1
	flat_load_b128 v[22:25], v[8:9] offset:32
	flat_load_b128 v[18:21], v[31:32] offset:16
	s_waitcnt vmcnt(1) lgkmcnt(1)
	v_add_nc_u32_e32 v4, v23, v22
	s_delay_alu instid0(VALU_DEP_1) | instskip(SKIP_1) | instid1(VALU_DEP_1)
	v_add3_u32 v4, v4, v24, v25
	s_waitcnt vmcnt(0) lgkmcnt(0)
	v_add3_u32 v4, v4, v18, v19
	s_delay_alu instid0(VALU_DEP_1) | instskip(NEXT) | instid1(VALU_DEP_1)
	v_add3_u32 v4, v4, v20, v21
	v_mov_b32_dpp v21, v4 row_shr:1 row_mask:0xf bank_mask:0xf
	s_delay_alu instid0(VALU_DEP_1) | instskip(NEXT) | instid1(VALU_DEP_1)
	v_cndmask_b32_e64 v21, v21, 0, vcc_lo
	v_add_nc_u32_e32 v4, v21, v4
	s_delay_alu instid0(VALU_DEP_1) | instskip(NEXT) | instid1(VALU_DEP_1)
	v_mov_b32_dpp v21, v4 row_shr:2 row_mask:0xf bank_mask:0xf
	v_cndmask_b32_e64 v21, 0, v21, s0
	s_delay_alu instid0(VALU_DEP_1) | instskip(NEXT) | instid1(VALU_DEP_1)
	v_add_nc_u32_e32 v4, v4, v21
	v_mov_b32_dpp v21, v4 row_shr:4 row_mask:0xf bank_mask:0xf
	s_delay_alu instid0(VALU_DEP_1) | instskip(NEXT) | instid1(VALU_DEP_1)
	v_cndmask_b32_e64 v21, 0, v21, s1
	v_add_nc_u32_e32 v4, v4, v21
	s_delay_alu instid0(VALU_DEP_1) | instskip(NEXT) | instid1(VALU_DEP_1)
	v_mov_b32_dpp v21, v4 row_shr:8 row_mask:0xf bank_mask:0xf
	v_cndmask_b32_e64 v21, 0, v21, s2
	s_delay_alu instid0(VALU_DEP_1) | instskip(SKIP_3) | instid1(VALU_DEP_1)
	v_add_nc_u32_e32 v4, v4, v21
	ds_swizzle_b32 v21, v4 offset:swizzle(BROADCAST,32,15)
	s_waitcnt lgkmcnt(0)
	v_cndmask_b32_e64 v21, v21, 0, s3
	v_add_nc_u32_e32 v4, v4, v21
	s_and_saveexec_b32 s16, s4
	s_cbranch_execz .LBB607_190
; %bb.189:                              ;   in Loop: Header=BB607_172 Depth=1
	flat_store_b32 v[35:36], v4
.LBB607_190:                            ;   in Loop: Header=BB607_172 Depth=1
	s_or_b32 exec_lo, exec_lo, s16
	s_waitcnt lgkmcnt(0)
	s_waitcnt_vscnt null, 0x0
	s_barrier
	buffer_gl0_inv
	s_and_saveexec_b32 s16, s5
	s_cbranch_execz .LBB607_192
; %bb.191:                              ;   in Loop: Header=BB607_172 Depth=1
	flat_load_b32 v21, v[33:34]
	s_waitcnt vmcnt(0) lgkmcnt(0)
	v_mov_b32_dpp v147, v21 row_shr:1 row_mask:0xf bank_mask:0xf
	s_delay_alu instid0(VALU_DEP_1) | instskip(NEXT) | instid1(VALU_DEP_1)
	v_cndmask_b32_e64 v147, v147, 0, s11
	v_add_nc_u32_e32 v21, v147, v21
	s_delay_alu instid0(VALU_DEP_1) | instskip(NEXT) | instid1(VALU_DEP_1)
	v_mov_b32_dpp v147, v21 row_shr:2 row_mask:0xf bank_mask:0xf
	v_cndmask_b32_e64 v147, 0, v147, s14
	s_delay_alu instid0(VALU_DEP_1) | instskip(NEXT) | instid1(VALU_DEP_1)
	v_add_nc_u32_e32 v21, v21, v147
	v_mov_b32_dpp v147, v21 row_shr:4 row_mask:0xf bank_mask:0xf
	s_delay_alu instid0(VALU_DEP_1) | instskip(NEXT) | instid1(VALU_DEP_1)
	v_cndmask_b32_e64 v147, 0, v147, s15
	v_add_nc_u32_e32 v21, v21, v147
	flat_store_b32 v[33:34], v21
.LBB607_192:                            ;   in Loop: Header=BB607_172 Depth=1
	s_or_b32 exec_lo, exec_lo, s16
	v_mov_b32_e32 v21, 0
	s_waitcnt lgkmcnt(0)
	s_waitcnt_vscnt null, 0x0
	s_barrier
	buffer_gl0_inv
	s_and_saveexec_b32 s16, s6
	s_cbranch_execz .LBB607_194
; %bb.193:                              ;   in Loop: Header=BB607_172 Depth=1
	flat_load_b32 v21, v[48:49]
.LBB607_194:                            ;   in Loop: Header=BB607_172 Depth=1
	s_or_b32 exec_lo, exec_lo, s16
	s_waitcnt vmcnt(0) lgkmcnt(0)
	v_add_nc_u32_e32 v4, v21, v4
	v_add_nc_u32_e32 v10, 8, v10
	s_mov_b32 s18, -1
                                        ; implicit-def: $vgpr199
                                        ; implicit-def: $vgpr198
                                        ; implicit-def: $vgpr196
                                        ; implicit-def: $vgpr195
                                        ; implicit-def: $vgpr194
                                        ; implicit-def: $vgpr193
                                        ; implicit-def: $vgpr192
                                        ; implicit-def: $vgpr197
	ds_bpermute_b32 v4, v166, v4
	s_waitcnt lgkmcnt(0)
	v_cndmask_b32_e64 v4, v4, v21, s7
	s_delay_alu instid0(VALU_DEP_1) | instskip(NEXT) | instid1(VALU_DEP_1)
	v_cndmask_b32_e64 v21, v4, 0, s10
	v_add_nc_u32_e32 v22, v21, v22
	s_delay_alu instid0(VALU_DEP_1) | instskip(NEXT) | instid1(VALU_DEP_1)
	v_add_nc_u32_e32 v23, v22, v23
	v_add_nc_u32_e32 v24, v23, v24
	s_delay_alu instid0(VALU_DEP_1) | instskip(NEXT) | instid1(VALU_DEP_1)
	v_add_nc_u32_e32 v147, v24, v25
	v_add_nc_u32_e32 v148, v147, v18
	s_delay_alu instid0(VALU_DEP_1) | instskip(SKIP_1) | instid1(VALU_DEP_2)
	v_add_nc_u32_e32 v149, v148, v19
	v_mov_b32_e32 v19, v5
	v_add_nc_u32_e32 v150, v149, v20
	s_clause 0x1
	flat_store_b128 v[8:9], v[21:24] offset:32
	flat_store_b128 v[31:32], v[147:150] offset:16
	v_mov_b32_e32 v21, v5
	s_waitcnt lgkmcnt(0)
	s_waitcnt_vscnt null, 0x0
	s_barrier
	buffer_gl0_inv
	s_clause 0x7
	flat_load_b32 v4, v[84:85]
	flat_load_b32 v18, v[86:87]
	;; [unrolled: 1-line block ×8, first 2 shown]
	v_mov_b32_e32 v25, v5
	v_mov_b32_e32 v23, v5
	;; [unrolled: 1-line block ×5, first 2 shown]
	v_cmp_lt_u32_e64 s16, v10, v11
	s_waitcnt vmcnt(0) lgkmcnt(0)
	s_waitcnt_vscnt null, 0x0
                                        ; implicit-def: $vgpr98_vgpr99
                                        ; implicit-def: $vgpr100_vgpr101
                                        ; implicit-def: $vgpr102_vgpr103
	s_waitcnt vmcnt(7) lgkmcnt(7)
	v_add_nc_u32_e32 v4, v4, v116
	s_waitcnt vmcnt(6) lgkmcnt(6)
	v_add3_u32 v18, v118, v117, v18
	s_waitcnt vmcnt(5) lgkmcnt(5)
	v_add3_u32 v20, v128, v119, v20
	;; [unrolled: 2-line block ×4, first 2 shown]
	v_lshlrev_b64 v[148:149], 2, v[4:5]
	s_waitcnt vmcnt(1) lgkmcnt(1)
	v_add3_u32 v86, v144, v135, v86
	s_waitcnt vmcnt(0) lgkmcnt(0)
	v_add3_u32 v96, v146, v145, v96
	v_lshlrev_b64 v[144:145], 2, v[18:19]
	v_add3_u32 v84, v134, v133, v84
	v_lshlrev_b64 v[134:135], 2, v[20:21]
	v_add_co_u32 v162, s17, v12, v148
	s_delay_alu instid0(VALU_DEP_1) | instskip(SKIP_2) | instid1(VALU_DEP_1)
	v_add_co_ci_u32_e64 v163, s17, v13, v149, s17
	v_lshlrev_b64 v[128:129], 2, v[22:23]
	v_add_co_u32 v160, s17, v12, v144
	v_add_co_ci_u32_e64 v161, s17, v13, v145, s17
	v_lshlrev_b64 v[114:115], 2, v[24:25]
	v_add_co_u32 v150, s17, v12, v134
	s_delay_alu instid0(VALU_DEP_1) | instskip(SKIP_2) | instid1(VALU_DEP_1)
	v_add_co_ci_u32_e64 v151, s17, v13, v135, s17
	v_lshlrev_b64 v[112:113], 2, v[84:85]
	v_add_co_u32 v146, s17, v12, v128
	v_add_co_ci_u32_e64 v147, s17, v13, v129, s17
	;; [unrolled: 7-line block ×3, first 2 shown]
	v_add_co_u32 v118, s17, v12, v20
	s_delay_alu instid0(VALU_DEP_1) | instskip(SKIP_1) | instid1(VALU_DEP_1)
	v_add_co_ci_u32_e64 v119, s17, v13, v21, s17
	v_add_co_u32 v116, s17, v12, v18
	v_add_co_ci_u32_e64 v117, s17, v13, v19, s17
                                        ; implicit-def: $vgpr22_vgpr23
                                        ; implicit-def: $vgpr24_vgpr25
                                        ; implicit-def: $vgpr84_vgpr85
                                        ; implicit-def: $vgpr86_vgpr87
                                        ; implicit-def: $vgpr96_vgpr97
	s_and_saveexec_b32 s17, s16
	s_cbranch_execz .LBB607_171
; %bb.195:                              ;   in Loop: Header=BB607_172 Depth=1
	v_add_co_u32 v22, s16, v162, v148
	s_delay_alu instid0(VALU_DEP_1) | instskip(SKIP_1) | instid1(VALU_DEP_1)
	v_add_co_ci_u32_e64 v23, s16, v163, v149, s16
	v_add_co_u32 v24, s16, v160, v144
	v_add_co_ci_u32_e64 v25, s16, v161, v145, s16
	v_add_co_u32 v84, s16, v150, v134
	s_delay_alu instid0(VALU_DEP_1)
	v_add_co_ci_u32_e64 v85, s16, v151, v135, s16
	s_barrier
	buffer_gl0_inv
	s_clause 0x7
	flat_store_b32 v[162:163], v176
	flat_store_b32 v[160:161], v183
	;; [unrolled: 1-line block ×8, first 2 shown]
	s_waitcnt lgkmcnt(0)
	s_waitcnt_vscnt null, 0x0
	s_barrier
	buffer_gl0_inv
	s_clause 0x7
	flat_load_b32 v197, v[37:38]
	flat_load_b32 v192, v[37:38] offset:128
	flat_load_b32 v193, v[37:38] offset:256
	;; [unrolled: 1-line block ×7, first 2 shown]
	s_waitcnt vmcnt(0) lgkmcnt(0)
	s_barrier
	buffer_gl0_inv
	s_clause 0x2
	flat_store_b64 v[22:23], v[82:83]
	flat_store_b64 v[24:25], v[80:81]
	;; [unrolled: 1-line block ×3, first 2 shown]
	v_add_co_u32 v22, s16, v146, v128
	s_delay_alu instid0(VALU_DEP_1) | instskip(SKIP_1) | instid1(VALU_DEP_1)
	v_add_co_ci_u32_e64 v23, s16, v147, v129, s16
	v_add_co_u32 v24, s16, v132, v114
	v_add_co_ci_u32_e64 v25, s16, v133, v115, s16
	v_add_co_u32 v84, s16, v130, v112
	s_delay_alu instid0(VALU_DEP_1) | instskip(SKIP_1) | instid1(VALU_DEP_1)
	v_add_co_ci_u32_e64 v85, s16, v131, v113, s16
	v_add_co_u32 v86, s16, v118, v20
	v_add_co_ci_u32_e64 v87, s16, v119, v21, s16
	v_add_co_u32 v96, s16, v116, v18
	s_delay_alu instid0(VALU_DEP_1)
	v_add_co_ci_u32_e64 v97, s16, v117, v19, s16
	s_clause 0x4
	flat_store_b64 v[22:23], v[68:69]
	flat_store_b64 v[24:25], v[66:67]
	;; [unrolled: 1-line block ×5, first 2 shown]
	s_waitcnt lgkmcnt(0)
	s_waitcnt_vscnt null, 0x0
	s_barrier
	buffer_gl0_inv
	s_clause 0x7
	flat_load_b64 v[22:23], v[50:51]
	flat_load_b64 v[24:25], v[50:51] offset:256
	flat_load_b64 v[84:85], v[50:51] offset:512
	;; [unrolled: 1-line block ×7, first 2 shown]
	v_add_nc_u32_e32 v167, -8, v167
	s_xor_b32 s18, exec_lo, -1
	s_waitcnt vmcnt(0) lgkmcnt(0)
	s_barrier
	buffer_gl0_inv
	s_branch .LBB607_171
.LBB607_196:
	flat_load_b64 v[162:163], v[4:5]
	s_or_b32 exec_lo, exec_lo, s19
                                        ; implicit-def: $vgpr164_vgpr165
	s_and_saveexec_b32 s19, s0
	s_cbranch_execz .LBB607_36
.LBB607_197:
	flat_load_b64 v[164:165], v[4:5] offset:256
	s_or_b32 exec_lo, exec_lo, s19
                                        ; implicit-def: $vgpr166_vgpr167
	s_and_saveexec_b32 s0, s1
	s_cbranch_execz .LBB607_37
.LBB607_198:
	flat_load_b64 v[166:167], v[4:5] offset:512
	s_or_b32 exec_lo, exec_lo, s0
                                        ; implicit-def: $vgpr176_vgpr177
	s_and_saveexec_b32 s0, s2
	s_cbranch_execz .LBB607_38
.LBB607_199:
	flat_load_b64 v[176:177], v[4:5] offset:768
	s_or_b32 exec_lo, exec_lo, s0
                                        ; implicit-def: $vgpr178_vgpr179
	s_and_saveexec_b32 s0, s3
	s_cbranch_execz .LBB607_39
.LBB607_200:
	flat_load_b64 v[178:179], v[4:5] offset:1024
	s_or_b32 exec_lo, exec_lo, s0
                                        ; implicit-def: $vgpr180_vgpr181
	s_and_saveexec_b32 s0, s4
	s_cbranch_execz .LBB607_40
.LBB607_201:
	flat_load_b64 v[180:181], v[4:5] offset:1280
	s_or_b32 exec_lo, exec_lo, s0
                                        ; implicit-def: $vgpr182_vgpr183
	s_and_saveexec_b32 s0, s5
	s_cbranch_execz .LBB607_41
.LBB607_202:
	flat_load_b64 v[182:183], v[4:5] offset:1536
	s_or_b32 exec_lo, exec_lo, s0
                                        ; implicit-def: $vgpr192_vgpr193
	s_and_saveexec_b32 s0, s6
	s_cbranch_execz .LBB607_42
.LBB607_203:
	flat_load_b64 v[192:193], v[4:5] offset:1792
	s_or_b32 exec_lo, exec_lo, s0
                                        ; implicit-def: $vgpr194_vgpr195
	s_and_saveexec_b32 s0, s7
	s_cbranch_execz .LBB607_43
.LBB607_204:
	flat_load_b64 v[194:195], v[4:5] offset:2048
	s_or_b32 exec_lo, exec_lo, s0
                                        ; implicit-def: $vgpr196_vgpr197
	s_and_saveexec_b32 s0, s10
	s_cbranch_execz .LBB607_44
.LBB607_205:
	flat_load_b64 v[196:197], v[4:5] offset:2304
	s_or_b32 exec_lo, exec_lo, s0
                                        ; implicit-def: $vgpr198_vgpr199
	s_and_saveexec_b32 s0, s11
	s_cbranch_execz .LBB607_45
.LBB607_206:
	flat_load_b64 v[198:199], v[4:5] offset:2560
	s_or_b32 exec_lo, exec_lo, s0
                                        ; implicit-def: $vgpr208_vgpr209
	s_and_saveexec_b32 s0, s14
	s_cbranch_execz .LBB607_46
.LBB607_207:
	flat_load_b64 v[208:209], v[4:5] offset:2816
	s_or_b32 exec_lo, exec_lo, s0
                                        ; implicit-def: $vgpr210_vgpr211
	s_and_saveexec_b32 s0, s15
	s_cbranch_execz .LBB607_47
.LBB607_208:
	flat_load_b64 v[210:211], v[4:5] offset:3072
	s_or_b32 exec_lo, exec_lo, s0
                                        ; implicit-def: $vgpr212_vgpr213
	s_and_saveexec_b32 s0, s16
	s_cbranch_execz .LBB607_48
.LBB607_209:
	flat_load_b64 v[212:213], v[4:5] offset:3328
	s_or_b32 exec_lo, exec_lo, s0
                                        ; implicit-def: $vgpr214_vgpr215
	s_and_saveexec_b32 s0, s17
	s_cbranch_execz .LBB607_49
.LBB607_210:
	flat_load_b64 v[214:215], v[4:5] offset:3584
	s_or_b32 exec_lo, exec_lo, s0
                                        ; implicit-def: $vgpr224_vgpr225
	s_and_saveexec_b32 s0, s18
	s_cbranch_execnz .LBB607_50
	s_branch .LBB607_51
.LBB607_211:
	flat_store_b64 v[0:1], v[50:51]
	s_or_b32 exec_lo, exec_lo, s19
	s_and_saveexec_b32 s19, s0
	s_cbranch_execz .LBB607_127
.LBB607_212:
	flat_store_b64 v[0:1], v[48:49] offset:2048
	s_or_b32 exec_lo, exec_lo, s19
	s_and_saveexec_b32 s0, s3
	s_cbranch_execz .LBB607_128
.LBB607_213:
	v_add_co_u32 v2, vcc_lo, 0x1000, v0
	v_add_co_ci_u32_e32 v3, vcc_lo, 0, v1, vcc_lo
	flat_store_b64 v[2:3], v[37:38]
	s_or_b32 exec_lo, exec_lo, s0
	s_and_saveexec_b32 s0, s2
	s_cbranch_execz .LBB607_129
.LBB607_214:
	v_add_co_u32 v2, vcc_lo, 0x1000, v0
	v_add_co_ci_u32_e32 v3, vcc_lo, 0, v1, vcc_lo
	flat_store_b64 v[2:3], v[35:36] offset:2048
	s_or_b32 exec_lo, exec_lo, s0
	s_and_saveexec_b32 s0, s1
	s_cbranch_execz .LBB607_130
.LBB607_215:
	v_add_co_u32 v2, vcc_lo, 0x2000, v0
	v_add_co_ci_u32_e32 v3, vcc_lo, 0, v1, vcc_lo
	flat_store_b64 v[2:3], v[33:34]
	s_or_b32 exec_lo, exec_lo, s0
	s_and_saveexec_b32 s0, s4
	s_cbranch_execz .LBB607_131
.LBB607_216:
	v_add_co_u32 v2, vcc_lo, 0x2000, v0
	v_add_co_ci_u32_e32 v3, vcc_lo, 0, v1, vcc_lo
	flat_store_b64 v[2:3], v[24:25] offset:2048
	s_or_b32 exec_lo, exec_lo, s0
	s_and_saveexec_b32 s0, s5
	s_cbranch_execz .LBB607_132
.LBB607_217:
	v_add_co_u32 v2, vcc_lo, 0x3000, v0
	v_add_co_ci_u32_e32 v3, vcc_lo, 0, v1, vcc_lo
	flat_store_b64 v[2:3], v[20:21]
	s_or_b32 exec_lo, exec_lo, s0
	s_and_saveexec_b32 s0, s6
	s_cbranch_execz .LBB607_133
.LBB607_218:
	v_add_co_u32 v2, vcc_lo, 0x3000, v0
	v_add_co_ci_u32_e32 v3, vcc_lo, 0, v1, vcc_lo
	flat_store_b64 v[2:3], v[16:17] offset:2048
	s_or_b32 exec_lo, exec_lo, s0
	s_and_saveexec_b32 s0, s7
	s_cbranch_execz .LBB607_134
.LBB607_219:
	v_add_co_u32 v2, vcc_lo, 0x4000, v0
	v_add_co_ci_u32_e32 v3, vcc_lo, 0, v1, vcc_lo
	flat_store_b64 v[2:3], v[31:32]
	s_or_b32 exec_lo, exec_lo, s0
	s_and_saveexec_b32 s0, s10
	s_cbranch_execz .LBB607_135
.LBB607_220:
	v_add_co_u32 v2, vcc_lo, 0x4000, v0
	v_add_co_ci_u32_e32 v3, vcc_lo, 0, v1, vcc_lo
	flat_store_b64 v[2:3], v[22:23] offset:2048
	s_or_b32 exec_lo, exec_lo, s0
	s_and_saveexec_b32 s0, s11
	s_cbranch_execz .LBB607_136
.LBB607_221:
	v_add_co_u32 v2, vcc_lo, 0x5000, v0
	v_add_co_ci_u32_e32 v3, vcc_lo, 0, v1, vcc_lo
	flat_store_b64 v[2:3], v[18:19]
	s_or_b32 exec_lo, exec_lo, s0
	s_and_saveexec_b32 s0, s14
	s_cbranch_execz .LBB607_137
.LBB607_222:
	v_add_co_u32 v2, vcc_lo, 0x5000, v0
	v_add_co_ci_u32_e32 v3, vcc_lo, 0, v1, vcc_lo
	flat_store_b64 v[2:3], v[14:15] offset:2048
	s_or_b32 exec_lo, exec_lo, s0
	s_and_saveexec_b32 s0, s15
	s_cbranch_execz .LBB607_138
.LBB607_223:
	v_add_co_u32 v2, vcc_lo, 0x6000, v0
	v_add_co_ci_u32_e32 v3, vcc_lo, 0, v1, vcc_lo
	flat_store_b64 v[2:3], v[12:13]
	s_or_b32 exec_lo, exec_lo, s0
	s_and_saveexec_b32 s0, s16
	s_cbranch_execz .LBB607_139
.LBB607_224:
	v_add_co_u32 v2, vcc_lo, 0x6000, v0
	v_add_co_ci_u32_e32 v3, vcc_lo, 0, v1, vcc_lo
	flat_store_b64 v[2:3], v[10:11] offset:2048
	s_or_b32 exec_lo, exec_lo, s0
	s_and_saveexec_b32 s0, s17
	s_cbranch_execz .LBB607_140
.LBB607_225:
	v_add_co_u32 v2, vcc_lo, 0x7000, v0
	v_add_co_ci_u32_e32 v3, vcc_lo, 0, v1, vcc_lo
	flat_store_b64 v[2:3], v[8:9]
	s_or_b32 exec_lo, exec_lo, s0
	s_and_saveexec_b32 s0, s18
	s_cbranch_execnz .LBB607_141
	s_branch .LBB607_142
.LBB607_226:
	s_or_b32 exec_lo, exec_lo, s20
	v_or_b32_e32 v37, 0x1000, v28
	s_barrier
	buffer_gl0_inv
	s_clause 0x7
	flat_store_b32 v[162:163], v176
	flat_store_b32 v[160:161], v183
	;; [unrolled: 1-line block ×8, first 2 shown]
	s_waitcnt lgkmcnt(0)
	s_waitcnt_vscnt null, 0x0
	v_add_co_u32 v4, vcc_lo, v12, v37
	v_add_co_ci_u32_e32 v5, vcc_lo, 0, v13, vcc_lo
	v_add_co_u32 v38, vcc_lo, 0x1400, v33
	v_add_co_ci_u32_e32 v39, vcc_lo, 0, v34, vcc_lo
	;; [unrolled: 2-line block ×5, first 2 shown]
	s_barrier
	buffer_gl0_inv
	s_clause 0x7
	flat_load_b32 v36, v[33:34]
	flat_load_b32 v35, v[33:34] offset:1024
	flat_load_b32 v32, v[33:34] offset:2048
	;; [unrolled: 1-line block ×3, first 2 shown]
	flat_load_b32 v25, v[4:5]
	flat_load_b32 v24, v[8:9] offset:1024
	flat_load_b32 v23, v[8:9] offset:2048
	;; [unrolled: 1-line block ×3, first 2 shown]
	v_add_co_u32 v8, vcc_lo, v162, v148
	v_add_co_ci_u32_e32 v9, vcc_lo, v163, v149, vcc_lo
	v_add_co_u32 v10, vcc_lo, v160, v144
	v_add_co_ci_u32_e32 v11, vcc_lo, v161, v145, vcc_lo
	;; [unrolled: 2-line block ×4, first 2 shown]
	s_waitcnt vmcnt(0) lgkmcnt(0)
	s_barrier
	buffer_gl0_inv
	s_clause 0x3
	flat_store_b64 v[8:9], v[82:83]
	flat_store_b64 v[10:11], v[80:81]
	;; [unrolled: 1-line block ×4, first 2 shown]
	v_add_co_u32 v8, vcc_lo, v132, v114
	v_add_co_ci_u32_e32 v9, vcc_lo, v133, v115, vcc_lo
	v_add_co_u32 v10, vcc_lo, v130, v112
	v_add_co_ci_u32_e32 v11, vcc_lo, v131, v113, vcc_lo
	;; [unrolled: 2-line block ×3, first 2 shown]
	s_clause 0x2
	flat_store_b64 v[8:9], v[66:67]
	flat_store_b64 v[10:11], v[64:65]
	;; [unrolled: 1-line block ×3, first 2 shown]
	v_lshlrev_b32_e32 v8, 3, v26
	v_add_co_u32 v16, vcc_lo, v116, v18
	v_add_co_ci_u32_e32 v17, vcc_lo, v117, v19, vcc_lo
	s_delay_alu instid0(VALU_DEP_3) | instskip(SKIP_2) | instid1(VALU_DEP_3)
	v_add_co_u32 v8, vcc_lo, v12, v8
	v_add_co_ci_u32_e32 v9, vcc_lo, 0, v13, vcc_lo
	v_add_nc_u32_e32 v12, 0x1400, v28
	v_add_co_u32 v10, vcc_lo, 0x1000, v8
	s_delay_alu instid0(VALU_DEP_3)
	v_add_co_ci_u32_e32 v11, vcc_lo, 0, v9, vcc_lo
	v_add_co_u32 v4, vcc_lo, v4, v37
	v_add_nc_u32_e32 v13, 0x1800, v28
	v_add_co_ci_u32_e32 v5, vcc_lo, 0, v5, vcc_lo
	v_add_co_u32 v33, vcc_lo, v38, v12
	v_add_nc_u32_e32 v12, 0x1c00, v28
	v_mov_b32_e32 v28, 0
	v_add_co_ci_u32_e32 v34, vcc_lo, 0, v39, vcc_lo
	v_add_co_u32 v37, vcc_lo, v48, v13
	v_add_co_ci_u32_e32 v38, vcc_lo, 0, v49, vcc_lo
	v_add_co_u32 v48, vcc_lo, v50, v12
	flat_store_b64 v[16:17], v[52:53]
	s_waitcnt lgkmcnt(0)
	s_waitcnt_vscnt null, 0x0
	s_barrier
	buffer_gl0_inv
	v_add_co_ci_u32_e32 v49, vcc_lo, 0, v51, vcc_lo
	s_clause 0x7
	flat_load_b64 v[20:21], v[8:9]
	flat_load_b64 v[18:19], v[8:9] offset:2048
	flat_load_b64 v[16:17], v[10:11]
	flat_load_b64 v[14:15], v[10:11] offset:2048
	flat_load_b64 v[12:13], v[4:5]
	flat_load_b64 v[10:11], v[33:34]
	;; [unrolled: 1-line block ×4, first 2 shown]
	v_lshlrev_b64 v[33:34], 2, v[27:28]
	v_add_co_u32 v2, vcc_lo, v2, v29
	v_add_co_ci_u32_e32 v3, vcc_lo, v3, v30, vcc_lo
	s_waitcnt vmcnt(0) lgkmcnt(0)
	s_delay_alu instid0(VALU_DEP_2) | instskip(NEXT) | instid1(VALU_DEP_2)
	v_add_co_u32 v2, vcc_lo, v2, v33
	v_add_co_ci_u32_e32 v3, vcc_lo, v3, v34, vcc_lo
	v_cmp_lt_u32_e32 vcc_lo, v27, v47
	s_barrier
	buffer_gl0_inv
	s_and_saveexec_b32 s0, vcc_lo
	s_cbranch_execz .LBB607_228
; %bb.227:
	v_xor_b32_e32 v26, 0x80000000, v36
	flat_store_b32 v[2:3], v26
.LBB607_228:
	s_or_b32 exec_lo, exec_lo, s0
	v_add_nc_u32_e32 v26, 0x100, v27
	s_delay_alu instid0(VALU_DEP_1) | instskip(NEXT) | instid1(VALU_DEP_1)
	v_cmp_lt_u32_e64 s0, v26, v47
	s_and_saveexec_b32 s1, s0
	s_cbranch_execz .LBB607_230
; %bb.229:
	v_xor_b32_e32 v26, 0x80000000, v35
	flat_store_b32 v[2:3], v26 offset:1024
.LBB607_230:
	s_or_b32 exec_lo, exec_lo, s1
	v_add_nc_u32_e32 v26, 0x200, v27
	s_delay_alu instid0(VALU_DEP_1) | instskip(NEXT) | instid1(VALU_DEP_1)
	v_cmp_lt_u32_e64 s3, v26, v47
	s_and_saveexec_b32 s1, s3
	s_cbranch_execz .LBB607_232
; %bb.231:
	v_xor_b32_e32 v26, 0x80000000, v32
	flat_store_b32 v[2:3], v26 offset:2048
.LBB607_232:
	;; [unrolled: 10-line block ×3, first 2 shown]
	s_or_b32 exec_lo, exec_lo, s1
	v_add_nc_u32_e32 v26, 0x400, v27
	s_delay_alu instid0(VALU_DEP_1) | instskip(NEXT) | instid1(VALU_DEP_1)
	v_cmp_lt_u32_e64 s1, v26, v47
	s_and_saveexec_b32 s5, s1
	s_cbranch_execz .LBB607_236
; %bb.235:
	v_xor_b32_e32 v29, 0x80000000, v25
	v_add_co_u32 v25, s4, 0x1000, v2
	s_delay_alu instid0(VALU_DEP_1)
	v_add_co_ci_u32_e64 v26, s4, 0, v3, s4
	flat_store_b32 v[25:26], v29
.LBB607_236:
	s_or_b32 exec_lo, exec_lo, s5
	v_add_nc_u32_e32 v25, 0x500, v27
	s_delay_alu instid0(VALU_DEP_1) | instskip(NEXT) | instid1(VALU_DEP_1)
	v_cmp_lt_u32_e64 s4, v25, v47
	s_and_saveexec_b32 s6, s4
	s_cbranch_execz .LBB607_238
; %bb.237:
	v_xor_b32_e32 v26, 0x80000000, v24
	v_add_co_u32 v24, s5, 0x1000, v2
	s_delay_alu instid0(VALU_DEP_1)
	v_add_co_ci_u32_e64 v25, s5, 0, v3, s5
	flat_store_b32 v[24:25], v26 offset:1024
.LBB607_238:
	s_or_b32 exec_lo, exec_lo, s6
	v_add_nc_u32_e32 v24, 0x600, v27
	s_delay_alu instid0(VALU_DEP_1) | instskip(NEXT) | instid1(VALU_DEP_1)
	v_cmp_lt_u32_e64 s5, v24, v47
	s_and_saveexec_b32 s7, s5
	s_cbranch_execz .LBB607_240
; %bb.239:
	v_xor_b32_e32 v25, 0x80000000, v23
	v_add_co_u32 v23, s6, 0x1000, v2
	s_delay_alu instid0(VALU_DEP_1)
	v_add_co_ci_u32_e64 v24, s6, 0, v3, s6
	flat_store_b32 v[23:24], v25 offset:2048
.LBB607_240:
	s_or_b32 exec_lo, exec_lo, s7
	v_add_nc_u32_e32 v23, 0x700, v27
	s_delay_alu instid0(VALU_DEP_1) | instskip(NEXT) | instid1(VALU_DEP_1)
	v_cmp_lt_u32_e64 s6, v23, v47
	s_and_saveexec_b32 s10, s6
	s_cbranch_execz .LBB607_242
; %bb.241:
	v_add_co_u32 v2, s7, 0x1000, v2
	v_xor_b32_e32 v22, 0x80000000, v22
	v_add_co_ci_u32_e64 v3, s7, 0, v3, s7
	flat_store_b32 v[2:3], v22 offset:3072
.LBB607_242:
	s_or_b32 exec_lo, exec_lo, s10
	v_lshlrev_b64 v[2:3], 3, v[27:28]
	v_add_co_u32 v0, s7, v6, v0
	s_delay_alu instid0(VALU_DEP_1) | instskip(NEXT) | instid1(VALU_DEP_2)
	v_add_co_ci_u32_e64 v1, s7, v7, v1, s7
	v_add_co_u32 v0, s7, v0, v2
	s_delay_alu instid0(VALU_DEP_1)
	v_add_co_ci_u32_e64 v1, s7, v1, v3, s7
	s_and_saveexec_b32 s7, vcc_lo
	s_cbranch_execnz .LBB607_292
; %bb.243:
	s_or_b32 exec_lo, exec_lo, s7
	s_and_saveexec_b32 s7, s0
	s_cbranch_execnz .LBB607_293
.LBB607_244:
	s_or_b32 exec_lo, exec_lo, s7
	s_and_saveexec_b32 s0, s3
	s_cbranch_execnz .LBB607_294
.LBB607_245:
	s_or_b32 exec_lo, exec_lo, s0
	s_and_saveexec_b32 s0, s2
	s_cbranch_execnz .LBB607_295
.LBB607_246:
	s_or_b32 exec_lo, exec_lo, s0
	s_and_saveexec_b32 s0, s1
	s_cbranch_execnz .LBB607_296
.LBB607_247:
	s_or_b32 exec_lo, exec_lo, s0
	s_and_saveexec_b32 s0, s4
	s_cbranch_execnz .LBB607_297
.LBB607_248:
	s_or_b32 exec_lo, exec_lo, s0
	s_and_saveexec_b32 s0, s5
	s_cbranch_execnz .LBB607_298
.LBB607_249:
	s_or_b32 exec_lo, exec_lo, s0
	s_and_saveexec_b32 s0, s6
	s_cbranch_execz .LBB607_251
.LBB607_250:
	v_add_co_u32 v0, vcc_lo, 0x3000, v0
	v_add_co_ci_u32_e32 v1, vcc_lo, 0, v1, vcc_lo
	flat_store_b64 v[0:1], v[4:5] offset:2048
.LBB607_251:
	s_or_b32 exec_lo, exec_lo, s0
                                        ; implicit-def: $vgpr47
                                        ; implicit-def: $vgpr0
                                        ; implicit-def: $vgpr1
                                        ; implicit-def: $vgpr2
                                        ; implicit-def: $vgpr3
                                        ; implicit-def: $vgpr4
                                        ; implicit-def: $vgpr5
                                        ; implicit-def: $vgpr6
                                        ; implicit-def: $vgpr7
                                        ; implicit-def: $vgpr8
                                        ; implicit-def: $vgpr10
                                        ; implicit-def: $vgpr11
                                        ; implicit-def: $vgpr12
                                        ; implicit-def: $vgpr13
                                        ; implicit-def: $vgpr14
                                        ; implicit-def: $vgpr15
                                        ; implicit-def: $vgpr26
                                        ; implicit-def: $vgpr37
.LBB607_252:
	s_and_not1_saveexec_b32 s0, s19
	s_cbranch_execz .LBB607_372
; %bb.253:
	s_mov_b32 s0, exec_lo
	v_cmpx_lt_u32_e32 0x200, v47
	s_xor_b32 s19, exec_lo, s0
	s_cbranch_execz .LBB607_313
; %bb.254:
	s_load_b64 s[0:1], s[8:9], 0x0
	v_mov_b32_e32 v9, 0
	s_brev_b32 s4, -2
	s_delay_alu instid0(SALU_CYCLE_1)
	s_mov_b32 s5, s4
	s_mov_b32 s6, s4
	;; [unrolled: 1-line block ×3, first 2 shown]
	s_waitcnt lgkmcnt(0)
	s_cmp_lt_u32 s13, s1
	s_cselect_b32 s1, 14, 20
	s_delay_alu instid0(SALU_CYCLE_1) | instskip(SKIP_4) | instid1(SALU_CYCLE_1)
	s_add_u32 s2, s8, s1
	s_addc_u32 s3, s9, 0
	s_cmp_lt_u32 s12, s0
	global_load_u16 v16, v9, s[2:3]
	s_cselect_b32 s0, 12, 18
	s_add_u32 s0, s8, s0
	s_addc_u32 s1, s9, 0
	global_load_u16 v17, v9, s[0:1]
	s_waitcnt vmcnt(1)
	v_mad_u32_u24 v14, v15, v16, v14
	s_waitcnt vmcnt(0)
	s_delay_alu instid0(VALU_DEP_1) | instskip(SKIP_2) | instid1(VALU_DEP_3)
	v_mad_u64_u32 v[27:28], null, v14, v17, v[26:27]
	v_lshlrev_b32_e32 v14, 2, v37
	v_lshlrev_b64 v[29:30], 2, v[8:9]
	v_lshlrev_b32_e32 v15, 2, v27
	s_delay_alu instid0(VALU_DEP_1) | instskip(NEXT) | instid1(VALU_DEP_3)
	v_dual_mov_b32 v19, v9 :: v_dual_and_b32 v18, 0xffffff80, v15
	v_add_co_u32 v15, vcc_lo, v0, v29
	s_delay_alu instid0(VALU_DEP_4) | instskip(NEXT) | instid1(VALU_DEP_3)
	v_add_co_ci_u32_e32 v16, vcc_lo, v1, v30, vcc_lo
	v_lshlrev_b64 v[0:1], 2, v[18:19]
	s_delay_alu instid0(VALU_DEP_3) | instskip(NEXT) | instid1(VALU_DEP_3)
	v_add_co_u32 v14, vcc_lo, v15, v14
	v_add_co_ci_u32_e32 v15, vcc_lo, 0, v16, vcc_lo
	v_or_b32_e32 v20, v18, v37
	s_delay_alu instid0(VALU_DEP_3) | instskip(NEXT) | instid1(VALU_DEP_1)
	v_add_co_u32 v0, s0, v14, v0
	v_add_co_ci_u32_e64 v1, s0, v15, v1, s0
	v_dual_mov_b32 v17, s7 :: v_dual_mov_b32 v14, s4
	s_delay_alu instid0(VALU_DEP_4)
	v_cmp_lt_u32_e32 vcc_lo, v20, v47
	v_dual_mov_b32 v16, s6 :: v_dual_mov_b32 v15, s5
	s_and_saveexec_b32 s0, vcc_lo
	s_cbranch_execz .LBB607_256
; %bb.255:
	flat_load_b32 v14, v[0:1]
	v_bfrev_b32_e32 v15, -2
	s_delay_alu instid0(VALU_DEP_1)
	v_mov_b32_e32 v16, v15
	v_mov_b32_e32 v17, v15
.LBB607_256:
	s_or_b32 exec_lo, exec_lo, s0
	v_or_b32_e32 v21, 32, v20
	s_delay_alu instid0(VALU_DEP_1) | instskip(NEXT) | instid1(VALU_DEP_1)
	v_cmp_lt_u32_e64 s0, v21, v47
	s_and_saveexec_b32 s1, s0
	s_cbranch_execz .LBB607_258
; %bb.257:
	flat_load_b32 v15, v[0:1] offset:128
.LBB607_258:
	s_or_b32 exec_lo, exec_lo, s1
	v_or_b32_e32 v21, 64, v20
	s_delay_alu instid0(VALU_DEP_1) | instskip(NEXT) | instid1(VALU_DEP_1)
	v_cmp_lt_u32_e64 s1, v21, v47
	s_and_saveexec_b32 s2, s1
	s_cbranch_execz .LBB607_260
; %bb.259:
	flat_load_b32 v16, v[0:1] offset:256
.LBB607_260:
	;; [unrolled: 9-line block ×3, first 2 shown]
	s_or_b32 exec_lo, exec_lo, s3
	v_lshlrev_b64 v[0:1], 3, v[8:9]
	v_lshlrev_b32_e32 v8, 3, v37
	s_delay_alu instid0(VALU_DEP_2) | instskip(NEXT) | instid1(VALU_DEP_1)
	v_add_co_u32 v9, s3, v4, v0
	v_add_co_ci_u32_e64 v20, s3, v5, v1, s3
	v_lshlrev_b64 v[4:5], 3, v[18:19]
	s_delay_alu instid0(VALU_DEP_3) | instskip(NEXT) | instid1(VALU_DEP_1)
	v_add_co_u32 v8, s3, v9, v8
	v_add_co_ci_u32_e64 v9, s3, 0, v20, s3
                                        ; implicit-def: $vgpr18_vgpr19
	s_delay_alu instid0(VALU_DEP_2) | instskip(NEXT) | instid1(VALU_DEP_1)
	v_add_co_u32 v4, s3, v8, v4
	v_add_co_ci_u32_e64 v5, s3, v9, v5, s3
	s_and_saveexec_b32 s3, vcc_lo
	s_cbranch_execnz .LBB607_337
; %bb.263:
	s_or_b32 exec_lo, exec_lo, s3
                                        ; implicit-def: $vgpr20_vgpr21
	s_and_saveexec_b32 s3, s0
	s_cbranch_execnz .LBB607_338
.LBB607_264:
	s_or_b32 exec_lo, exec_lo, s3
                                        ; implicit-def: $vgpr22_vgpr23
	s_and_saveexec_b32 s0, s1
	s_cbranch_execnz .LBB607_339
.LBB607_265:
	s_or_b32 exec_lo, exec_lo, s0
                                        ; implicit-def: $vgpr24_vgpr25
	s_and_saveexec_b32 s0, s2
	s_cbranch_execz .LBB607_267
.LBB607_266:
	flat_load_b64 v[24:25], v[4:5] offset:768
.LBB607_267:
	s_or_b32 exec_lo, exec_lo, s0
	s_mov_b32 s20, 0
	v_dual_mov_b32 v5, 0 :: v_dual_lshlrev_b32 v4, 5, v26
	s_waitcnt vmcnt(0) lgkmcnt(0)
	v_xor_b32_e32 v116, 0x80000000, v16
	s_mov_b32 s21, s20
	s_mov_b32 s22, s20
	;; [unrolled: 1-line block ×3, first 2 shown]
	v_add_nc_u32_e32 v16, -1, v37
	v_add_co_u32 v28, vcc_lo, v12, 32
	v_xor_b32_e32 v115, 0x80000000, v15
	v_and_b32_e32 v15, 0x3e0, v26
	v_add_co_ci_u32_e32 v39, vcc_lo, 0, v13, vcc_lo
	v_add_co_u32 v8, vcc_lo, v12, v4
	v_xor_b32_e32 v118, 0x80000000, v14
	v_and_b32_e32 v14, 15, v37
	v_cmp_gt_i32_e64 s4, 0, v16
	v_add_co_ci_u32_e32 v9, vcc_lo, 0, v13, vcc_lo
	v_add_co_u32 v31, vcc_lo, v28, v4
	v_min_u32_e32 v4, 0xe0, v15
	v_and_b32_e32 v15, 16, v37
	s_getpc_b64 s[0:1]
	s_add_u32 s0, s0, _ZN7rocprim17ROCPRIM_400000_NS16block_radix_sortIiLj256ELj4ElLj1ELj1ELj8ELNS0_26block_radix_rank_algorithmE2ELNS0_18block_padding_hintE2ELNS0_4arch9wavefront6targetE0EE19radix_bits_per_passE@rel32@lo+4
	s_addc_u32 s1, s1, _ZN7rocprim17ROCPRIM_400000_NS16block_radix_sortIiLj256ELj4ElLj1ELj1ELj8ELNS0_26block_radix_rank_algorithmE2ELNS0_18block_padding_hintE2ELNS0_4arch9wavefront6targetE0EE19radix_bits_per_passE@rel32@hi+12
	v_add_co_ci_u32_e32 v32, vcc_lo, 0, v39, vcc_lo
	s_load_b32 s25, s[0:1], 0x0
	v_cmp_eq_u32_e32 vcc_lo, 0, v14
	v_cmp_lt_u32_e64 s0, 1, v14
	v_cmp_lt_u32_e64 s1, 3, v14
	;; [unrolled: 1-line block ×3, first 2 shown]
	v_cndmask_b32_e64 v14, v16, v37, s4
	v_or_b32_e32 v4, 31, v4
	v_cmp_eq_u32_e64 s3, 0, v15
	v_lshrrev_b32_e32 v15, 5, v26
	v_xor_b32_e32 v117, 0x80000000, v17
	v_lshlrev_b32_e32 v101, 2, v14
	v_lshlrev_b32_e32 v14, 2, v26
	v_cmp_eq_u32_e64 s4, v4, v26
	v_lshlrev_b32_e32 v4, 2, v15
	v_cmp_eq_u32_e64 s7, 0, v37
	v_and_b32_e32 v16, 7, v37
	v_and_or_b32 v17, 0xf80, v14, v37
	v_lshrrev_b32_e32 v100, 5, v27
	v_add_co_u32 v33, s11, v12, v4
	v_add_nc_u32_e32 v4, -1, v15
	s_delay_alu instid0(VALU_DEP_4) | instskip(SKIP_2) | instid1(VALU_DEP_4)
	v_lshlrev_b32_e32 v17, 2, v17
	v_add_co_ci_u32_e64 v34, s11, 0, v13, s11
	v_add_co_u32 v35, s11, v12, v14
	v_lshlrev_b64 v[14:15], 2, v[4:5]
	s_delay_alu instid0(VALU_DEP_4) | instskip(NEXT) | instid1(VALU_DEP_1)
	v_add_co_u32 v37, s16, v12, v17
	v_add_co_ci_u32_e64 v38, s16, 0, v13, s16
	v_add_co_ci_u32_e64 v36, s11, 0, v13, s11
	s_delay_alu instid0(VALU_DEP_4) | instskip(NEXT) | instid1(VALU_DEP_1)
	v_add_co_u32 v48, s16, v12, v14
	v_add_co_ci_u32_e64 v49, s16, v13, v15, s16
	v_add_co_u32 v50, s16, v37, v17
	v_cmp_eq_u32_e64 s11, 0, v16
	v_cmp_lt_u32_e64 s14, 1, v16
	v_cmp_lt_u32_e64 s15, 3, v16
	v_mov_b32_e32 v14, s20
	v_cmp_gt_u32_e64 s5, 8, v26
	v_cmp_lt_u32_e64 s6, 31, v26
	v_cmp_eq_u32_e64 s10, 0, v26
	v_add_co_ci_u32_e64 v51, s16, 0, v38, s16
	v_sub_nc_u32_e32 v102, v11, v10
	v_dual_mov_b32 v15, s21 :: v_dual_mov_b32 v16, s22
	v_mov_b32_e32 v17, s23
	s_waitcnt lgkmcnt(0)
	s_waitcnt_vscnt null, 0x0
	s_barrier
	buffer_gl0_inv
	s_branch .LBB607_269
.LBB607_268:                            ;   in Loop: Header=BB607_269 Depth=1
	s_or_b32 exec_lo, exec_lo, s17
	s_delay_alu instid0(SALU_CYCLE_1) | instskip(NEXT) | instid1(SALU_CYCLE_1)
	s_and_b32 s16, exec_lo, s18
	s_or_b32 s20, s16, s20
	s_delay_alu instid0(SALU_CYCLE_1)
	s_and_not1_b32 exec_lo, exec_lo, s20
	s_cbranch_execz .LBB607_299
.LBB607_269:                            ; =>This Inner Loop Header: Depth=1
	v_min_u32_e32 v4, s25, v102
	s_clause 0x1
	flat_store_b128 v[8:9], v[14:17] offset:32
	flat_store_b128 v[31:32], v[14:17] offset:16
	s_waitcnt lgkmcnt(0)
	s_waitcnt_vscnt null, 0x0
	s_barrier
	buffer_gl0_inv
	v_lshlrev_b32_e64 v4, v4, -1
	; wave barrier
	v_dual_mov_b32 v113, v116 :: v_dual_mov_b32 v112, v117
	s_delay_alu instid0(VALU_DEP_2) | instskip(SKIP_1) | instid1(VALU_DEP_1)
	v_not_b32_e32 v82, v4
	v_dual_mov_b32 v103, v118 :: v_dual_mov_b32 v114, v115
	v_lshrrev_b32_e32 v52, v10, v103
	s_delay_alu instid0(VALU_DEP_1) | instskip(NEXT) | instid1(VALU_DEP_1)
	v_and_b32_e32 v4, v52, v82
	v_and_b32_e32 v52, 1, v4
	v_lshlrev_b32_e32 v53, 30, v4
	v_lshlrev_b32_e32 v54, 29, v4
	;; [unrolled: 1-line block ×4, first 2 shown]
	v_add_co_u32 v52, s16, v52, -1
	s_delay_alu instid0(VALU_DEP_1)
	v_cndmask_b32_e64 v64, 0, 1, s16
	v_not_b32_e32 v68, v53
	v_cmp_gt_i32_e64 s17, 0, v53
	v_not_b32_e32 v53, v54
	v_lshlrev_b32_e32 v66, 26, v4
	v_cmp_ne_u32_e64 s16, 0, v64
	v_ashrrev_i32_e32 v68, 31, v68
	v_lshlrev_b32_e32 v64, 24, v4
	v_ashrrev_i32_e32 v53, 31, v53
	v_lshlrev_b32_e32 v67, 25, v4
	v_xor_b32_e32 v52, s16, v52
	v_cmp_gt_i32_e64 s16, 0, v54
	v_not_b32_e32 v54, v55
	v_xor_b32_e32 v68, s17, v68
	v_cmp_gt_i32_e64 s17, 0, v55
	v_and_b32_e32 v52, exec_lo, v52
	v_xor_b32_e32 v53, s16, v53
	v_ashrrev_i32_e32 v54, 31, v54
	v_not_b32_e32 v55, v65
	v_cmp_gt_i32_e64 s16, 0, v65
	v_and_b32_e32 v52, v52, v68
	v_not_b32_e32 v65, v66
	v_xor_b32_e32 v54, s17, v54
	v_ashrrev_i32_e32 v55, 31, v55
	v_cmp_gt_i32_e64 s17, 0, v66
	v_and_b32_e32 v52, v52, v53
	v_ashrrev_i32_e32 v65, 31, v65
	v_lshl_add_u32 v4, v4, 3, v100
	v_xor_b32_e32 v55, s16, v55
	s_delay_alu instid0(VALU_DEP_4) | instskip(SKIP_3) | instid1(VALU_DEP_4)
	v_and_b32_e32 v52, v52, v54
	v_not_b32_e32 v54, v64
	v_xor_b32_e32 v65, s17, v65
	v_cmp_gt_i32_e64 s17, 0, v64
	v_and_b32_e32 v52, v52, v55
	s_delay_alu instid0(VALU_DEP_4) | instskip(NEXT) | instid1(VALU_DEP_2)
	v_ashrrev_i32_e32 v54, 31, v54
	v_and_b32_e32 v52, v52, v65
	s_delay_alu instid0(VALU_DEP_2)
	v_xor_b32_e32 v64, s17, v54
	v_dual_mov_b32 v55, v21 :: v_dual_mov_b32 v54, v20
	v_not_b32_e32 v53, v67
	v_cmp_gt_i32_e64 s16, 0, v67
	v_dual_mov_b32 v67, v19 :: v_dual_mov_b32 v66, v18
	v_lshlrev_b64 v[19:20], 2, v[4:5]
	s_delay_alu instid0(VALU_DEP_4) | instskip(NEXT) | instid1(VALU_DEP_1)
	v_ashrrev_i32_e32 v53, 31, v53
	v_xor_b32_e32 v53, s16, v53
	s_delay_alu instid0(VALU_DEP_3) | instskip(NEXT) | instid1(VALU_DEP_1)
	v_add_co_u32 v68, s18, v28, v19
	v_add_co_ci_u32_e64 v69, s18, v39, v20, s18
	s_delay_alu instid0(VALU_DEP_3) | instskip(SKIP_1) | instid1(VALU_DEP_2)
	v_and_b32_e32 v65, v52, v53
	v_dual_mov_b32 v53, v23 :: v_dual_mov_b32 v52, v22
	v_and_b32_e32 v18, v65, v64
	v_dual_mov_b32 v65, v25 :: v_dual_mov_b32 v64, v24
	s_delay_alu instid0(VALU_DEP_2) | instskip(SKIP_1) | instid1(VALU_DEP_2)
	v_mbcnt_lo_u32_b32 v84, v18, 0
	v_cmp_ne_u32_e64 s16, 0, v18
	v_cmp_eq_u32_e64 s17, 0, v84
	s_delay_alu instid0(VALU_DEP_1) | instskip(NEXT) | instid1(SALU_CYCLE_1)
	s_and_b32 s17, s16, s17
	s_and_saveexec_b32 s16, s17
	s_cbranch_execz .LBB607_271
; %bb.270:                              ;   in Loop: Header=BB607_269 Depth=1
	v_bcnt_u32_b32 v4, v18, 0
	flat_store_b32 v[68:69], v4
.LBB607_271:                            ;   in Loop: Header=BB607_269 Depth=1
	s_or_b32 exec_lo, exec_lo, s16
	v_lshrrev_b32_e32 v4, v10, v114
	; wave barrier
	s_delay_alu instid0(VALU_DEP_1) | instskip(NEXT) | instid1(VALU_DEP_1)
	v_and_b32_e32 v20, v4, v82
	v_lshl_add_u32 v4, v20, 3, v100
	v_lshlrev_b32_e32 v21, 29, v20
	v_lshlrev_b32_e32 v22, 28, v20
	s_delay_alu instid0(VALU_DEP_3) | instskip(SKIP_1) | instid1(VALU_DEP_2)
	v_lshlrev_b64 v[18:19], 2, v[4:5]
	v_and_b32_e32 v4, 1, v20
	v_add_co_u32 v70, s16, v28, v18
	s_delay_alu instid0(VALU_DEP_1) | instskip(NEXT) | instid1(VALU_DEP_3)
	v_add_co_ci_u32_e64 v71, s16, v39, v19, s16
	v_add_co_u32 v4, s16, v4, -1
	s_delay_alu instid0(VALU_DEP_1) | instskip(SKIP_3) | instid1(VALU_DEP_2)
	v_cndmask_b32_e64 v18, 0, 1, s16
	flat_load_b32 v85, v[70:71]
	v_lshlrev_b32_e32 v19, 30, v20
	; wave barrier
	v_cmp_ne_u32_e64 s16, 0, v18
	v_not_b32_e32 v18, v19
	s_delay_alu instid0(VALU_DEP_2) | instskip(SKIP_1) | instid1(VALU_DEP_3)
	v_xor_b32_e32 v4, s16, v4
	v_cmp_gt_i32_e64 s16, 0, v19
	v_ashrrev_i32_e32 v18, 31, v18
	v_not_b32_e32 v19, v21
	s_delay_alu instid0(VALU_DEP_4) | instskip(NEXT) | instid1(VALU_DEP_3)
	v_and_b32_e32 v4, exec_lo, v4
	v_xor_b32_e32 v18, s16, v18
	v_cmp_gt_i32_e64 s16, 0, v21
	s_delay_alu instid0(VALU_DEP_4) | instskip(SKIP_1) | instid1(VALU_DEP_4)
	v_ashrrev_i32_e32 v19, 31, v19
	v_not_b32_e32 v21, v22
	v_and_b32_e32 v4, v4, v18
	v_lshlrev_b32_e32 v18, 27, v20
	s_delay_alu instid0(VALU_DEP_4) | instskip(SKIP_2) | instid1(VALU_DEP_4)
	v_xor_b32_e32 v19, s16, v19
	v_cmp_gt_i32_e64 s16, 0, v22
	v_ashrrev_i32_e32 v21, 31, v21
	v_not_b32_e32 v22, v18
	s_delay_alu instid0(VALU_DEP_4) | instskip(SKIP_1) | instid1(VALU_DEP_4)
	v_and_b32_e32 v4, v4, v19
	v_lshlrev_b32_e32 v19, 26, v20
	v_xor_b32_e32 v21, s16, v21
	v_cmp_gt_i32_e64 s16, 0, v18
	v_ashrrev_i32_e32 v18, 31, v22
	s_delay_alu instid0(VALU_DEP_4) | instskip(NEXT) | instid1(VALU_DEP_4)
	v_not_b32_e32 v22, v19
	v_and_b32_e32 v4, v4, v21
	v_lshlrev_b32_e32 v21, 25, v20
	s_delay_alu instid0(VALU_DEP_4) | instskip(SKIP_2) | instid1(VALU_DEP_4)
	v_xor_b32_e32 v18, s16, v18
	v_cmp_gt_i32_e64 s16, 0, v19
	v_ashrrev_i32_e32 v19, 31, v22
	v_not_b32_e32 v22, v21
	s_delay_alu instid0(VALU_DEP_4) | instskip(SKIP_1) | instid1(VALU_DEP_4)
	v_and_b32_e32 v4, v4, v18
	v_lshlrev_b32_e32 v18, 24, v20
	v_xor_b32_e32 v19, s16, v19
	v_cmp_gt_i32_e64 s16, 0, v21
	v_ashrrev_i32_e32 v20, 31, v22
	s_delay_alu instid0(VALU_DEP_4) | instskip(NEXT) | instid1(VALU_DEP_4)
	v_not_b32_e32 v21, v18
	v_and_b32_e32 v4, v4, v19
	s_delay_alu instid0(VALU_DEP_3) | instskip(SKIP_1) | instid1(VALU_DEP_4)
	v_xor_b32_e32 v19, s16, v20
	v_cmp_gt_i32_e64 s16, 0, v18
	v_ashrrev_i32_e32 v18, 31, v21
	s_delay_alu instid0(VALU_DEP_3) | instskip(NEXT) | instid1(VALU_DEP_2)
	v_and_b32_e32 v4, v4, v19
	v_xor_b32_e32 v18, s16, v18
	s_delay_alu instid0(VALU_DEP_1) | instskip(NEXT) | instid1(VALU_DEP_1)
	v_and_b32_e32 v4, v4, v18
	v_mbcnt_lo_u32_b32 v86, v4, 0
	v_cmp_ne_u32_e64 s17, 0, v4
	s_delay_alu instid0(VALU_DEP_2) | instskip(NEXT) | instid1(VALU_DEP_1)
	v_cmp_eq_u32_e64 s16, 0, v86
	s_and_b32 s17, s17, s16
	s_delay_alu instid0(SALU_CYCLE_1)
	s_and_saveexec_b32 s16, s17
	s_cbranch_execz .LBB607_273
; %bb.272:                              ;   in Loop: Header=BB607_269 Depth=1
	s_waitcnt vmcnt(0) lgkmcnt(0)
	v_bcnt_u32_b32 v4, v4, v85
	flat_store_b32 v[70:71], v4
.LBB607_273:                            ;   in Loop: Header=BB607_269 Depth=1
	s_or_b32 exec_lo, exec_lo, s16
	v_lshrrev_b32_e32 v4, v10, v113
	; wave barrier
	s_delay_alu instid0(VALU_DEP_1) | instskip(NEXT) | instid1(VALU_DEP_1)
	v_and_b32_e32 v20, v4, v82
	v_lshl_add_u32 v4, v20, 3, v100
	v_lshlrev_b32_e32 v21, 29, v20
	v_lshlrev_b32_e32 v22, 28, v20
	s_delay_alu instid0(VALU_DEP_3) | instskip(SKIP_1) | instid1(VALU_DEP_2)
	v_lshlrev_b64 v[18:19], 2, v[4:5]
	v_and_b32_e32 v4, 1, v20
	v_add_co_u32 v80, s16, v28, v18
	s_delay_alu instid0(VALU_DEP_1) | instskip(NEXT) | instid1(VALU_DEP_3)
	v_add_co_ci_u32_e64 v81, s16, v39, v19, s16
	v_add_co_u32 v4, s16, v4, -1
	s_delay_alu instid0(VALU_DEP_1) | instskip(SKIP_3) | instid1(VALU_DEP_2)
	v_cndmask_b32_e64 v18, 0, 1, s16
	flat_load_b32 v87, v[80:81]
	v_lshlrev_b32_e32 v19, 30, v20
	; wave barrier
	v_cmp_ne_u32_e64 s16, 0, v18
	v_not_b32_e32 v18, v19
	s_delay_alu instid0(VALU_DEP_2) | instskip(SKIP_1) | instid1(VALU_DEP_3)
	v_xor_b32_e32 v4, s16, v4
	v_cmp_gt_i32_e64 s16, 0, v19
	v_ashrrev_i32_e32 v18, 31, v18
	v_not_b32_e32 v19, v21
	s_delay_alu instid0(VALU_DEP_4) | instskip(NEXT) | instid1(VALU_DEP_3)
	v_and_b32_e32 v4, exec_lo, v4
	v_xor_b32_e32 v18, s16, v18
	v_cmp_gt_i32_e64 s16, 0, v21
	s_delay_alu instid0(VALU_DEP_4) | instskip(SKIP_1) | instid1(VALU_DEP_4)
	v_ashrrev_i32_e32 v19, 31, v19
	v_not_b32_e32 v21, v22
	v_and_b32_e32 v4, v4, v18
	v_lshlrev_b32_e32 v18, 27, v20
	s_delay_alu instid0(VALU_DEP_4) | instskip(SKIP_2) | instid1(VALU_DEP_4)
	v_xor_b32_e32 v19, s16, v19
	v_cmp_gt_i32_e64 s16, 0, v22
	v_ashrrev_i32_e32 v21, 31, v21
	v_not_b32_e32 v22, v18
	s_delay_alu instid0(VALU_DEP_4) | instskip(SKIP_1) | instid1(VALU_DEP_4)
	v_and_b32_e32 v4, v4, v19
	v_lshlrev_b32_e32 v19, 26, v20
	v_xor_b32_e32 v21, s16, v21
	v_cmp_gt_i32_e64 s16, 0, v18
	v_ashrrev_i32_e32 v18, 31, v22
	s_delay_alu instid0(VALU_DEP_4) | instskip(NEXT) | instid1(VALU_DEP_4)
	v_not_b32_e32 v22, v19
	v_and_b32_e32 v4, v4, v21
	v_lshlrev_b32_e32 v21, 25, v20
	s_delay_alu instid0(VALU_DEP_4) | instskip(SKIP_2) | instid1(VALU_DEP_4)
	v_xor_b32_e32 v18, s16, v18
	v_cmp_gt_i32_e64 s16, 0, v19
	v_ashrrev_i32_e32 v19, 31, v22
	v_not_b32_e32 v22, v21
	s_delay_alu instid0(VALU_DEP_4) | instskip(SKIP_1) | instid1(VALU_DEP_4)
	v_and_b32_e32 v4, v4, v18
	v_lshlrev_b32_e32 v18, 24, v20
	v_xor_b32_e32 v19, s16, v19
	v_cmp_gt_i32_e64 s16, 0, v21
	v_ashrrev_i32_e32 v20, 31, v22
	s_delay_alu instid0(VALU_DEP_4) | instskip(NEXT) | instid1(VALU_DEP_4)
	v_not_b32_e32 v21, v18
	v_and_b32_e32 v4, v4, v19
	s_delay_alu instid0(VALU_DEP_3) | instskip(SKIP_1) | instid1(VALU_DEP_4)
	v_xor_b32_e32 v19, s16, v20
	v_cmp_gt_i32_e64 s16, 0, v18
	v_ashrrev_i32_e32 v18, 31, v21
	s_delay_alu instid0(VALU_DEP_3) | instskip(NEXT) | instid1(VALU_DEP_2)
	v_and_b32_e32 v4, v4, v19
	v_xor_b32_e32 v18, s16, v18
	s_delay_alu instid0(VALU_DEP_1) | instskip(NEXT) | instid1(VALU_DEP_1)
	v_and_b32_e32 v4, v4, v18
	v_mbcnt_lo_u32_b32 v96, v4, 0
	v_cmp_ne_u32_e64 s17, 0, v4
	s_delay_alu instid0(VALU_DEP_2) | instskip(NEXT) | instid1(VALU_DEP_1)
	v_cmp_eq_u32_e64 s16, 0, v96
	s_and_b32 s17, s17, s16
	s_delay_alu instid0(SALU_CYCLE_1)
	s_and_saveexec_b32 s16, s17
	s_cbranch_execz .LBB607_275
; %bb.274:                              ;   in Loop: Header=BB607_269 Depth=1
	s_waitcnt vmcnt(0) lgkmcnt(0)
	v_bcnt_u32_b32 v4, v4, v87
	flat_store_b32 v[80:81], v4
.LBB607_275:                            ;   in Loop: Header=BB607_269 Depth=1
	s_or_b32 exec_lo, exec_lo, s16
	v_lshrrev_b32_e32 v4, v10, v112
	; wave barrier
	s_delay_alu instid0(VALU_DEP_1) | instskip(NEXT) | instid1(VALU_DEP_1)
	v_and_b32_e32 v20, v4, v82
	v_lshl_add_u32 v4, v20, 3, v100
	v_lshlrev_b32_e32 v21, 29, v20
	v_lshlrev_b32_e32 v22, 28, v20
	s_delay_alu instid0(VALU_DEP_3) | instskip(SKIP_1) | instid1(VALU_DEP_2)
	v_lshlrev_b64 v[18:19], 2, v[4:5]
	v_and_b32_e32 v4, 1, v20
	v_add_co_u32 v82, s16, v28, v18
	s_delay_alu instid0(VALU_DEP_1) | instskip(NEXT) | instid1(VALU_DEP_3)
	v_add_co_ci_u32_e64 v83, s16, v39, v19, s16
	v_add_co_u32 v4, s16, v4, -1
	s_delay_alu instid0(VALU_DEP_1) | instskip(SKIP_3) | instid1(VALU_DEP_2)
	v_cndmask_b32_e64 v18, 0, 1, s16
	flat_load_b32 v97, v[82:83]
	v_lshlrev_b32_e32 v19, 30, v20
	; wave barrier
	v_cmp_ne_u32_e64 s16, 0, v18
	v_not_b32_e32 v18, v19
	s_delay_alu instid0(VALU_DEP_2) | instskip(SKIP_1) | instid1(VALU_DEP_3)
	v_xor_b32_e32 v4, s16, v4
	v_cmp_gt_i32_e64 s16, 0, v19
	v_ashrrev_i32_e32 v18, 31, v18
	v_not_b32_e32 v19, v21
	s_delay_alu instid0(VALU_DEP_4) | instskip(NEXT) | instid1(VALU_DEP_3)
	v_and_b32_e32 v4, exec_lo, v4
	v_xor_b32_e32 v18, s16, v18
	v_cmp_gt_i32_e64 s16, 0, v21
	s_delay_alu instid0(VALU_DEP_4) | instskip(SKIP_1) | instid1(VALU_DEP_4)
	v_ashrrev_i32_e32 v19, 31, v19
	v_not_b32_e32 v21, v22
	v_and_b32_e32 v4, v4, v18
	v_lshlrev_b32_e32 v18, 27, v20
	s_delay_alu instid0(VALU_DEP_4) | instskip(SKIP_2) | instid1(VALU_DEP_4)
	v_xor_b32_e32 v19, s16, v19
	v_cmp_gt_i32_e64 s16, 0, v22
	v_ashrrev_i32_e32 v21, 31, v21
	v_not_b32_e32 v22, v18
	s_delay_alu instid0(VALU_DEP_4) | instskip(SKIP_1) | instid1(VALU_DEP_4)
	v_and_b32_e32 v4, v4, v19
	v_lshlrev_b32_e32 v19, 26, v20
	v_xor_b32_e32 v21, s16, v21
	v_cmp_gt_i32_e64 s16, 0, v18
	v_ashrrev_i32_e32 v18, 31, v22
	s_delay_alu instid0(VALU_DEP_4) | instskip(NEXT) | instid1(VALU_DEP_4)
	v_not_b32_e32 v22, v19
	v_and_b32_e32 v4, v4, v21
	v_lshlrev_b32_e32 v21, 25, v20
	s_delay_alu instid0(VALU_DEP_4) | instskip(SKIP_2) | instid1(VALU_DEP_4)
	v_xor_b32_e32 v18, s16, v18
	v_cmp_gt_i32_e64 s16, 0, v19
	v_ashrrev_i32_e32 v19, 31, v22
	v_not_b32_e32 v22, v21
	s_delay_alu instid0(VALU_DEP_4) | instskip(SKIP_1) | instid1(VALU_DEP_4)
	v_and_b32_e32 v4, v4, v18
	v_lshlrev_b32_e32 v18, 24, v20
	v_xor_b32_e32 v19, s16, v19
	v_cmp_gt_i32_e64 s16, 0, v21
	v_ashrrev_i32_e32 v20, 31, v22
	s_delay_alu instid0(VALU_DEP_4) | instskip(NEXT) | instid1(VALU_DEP_4)
	v_not_b32_e32 v21, v18
	v_and_b32_e32 v4, v4, v19
	s_delay_alu instid0(VALU_DEP_3) | instskip(SKIP_1) | instid1(VALU_DEP_4)
	v_xor_b32_e32 v19, s16, v20
	v_cmp_gt_i32_e64 s16, 0, v18
	v_ashrrev_i32_e32 v18, 31, v21
	s_delay_alu instid0(VALU_DEP_3) | instskip(NEXT) | instid1(VALU_DEP_2)
	v_and_b32_e32 v4, v4, v19
	v_xor_b32_e32 v18, s16, v18
	s_delay_alu instid0(VALU_DEP_1) | instskip(NEXT) | instid1(VALU_DEP_1)
	v_and_b32_e32 v4, v4, v18
	v_mbcnt_lo_u32_b32 v98, v4, 0
	v_cmp_ne_u32_e64 s17, 0, v4
	s_delay_alu instid0(VALU_DEP_2) | instskip(NEXT) | instid1(VALU_DEP_1)
	v_cmp_eq_u32_e64 s16, 0, v98
	s_and_b32 s17, s17, s16
	s_delay_alu instid0(SALU_CYCLE_1)
	s_and_saveexec_b32 s16, s17
	s_cbranch_execz .LBB607_277
; %bb.276:                              ;   in Loop: Header=BB607_269 Depth=1
	s_waitcnt vmcnt(0) lgkmcnt(0)
	v_bcnt_u32_b32 v4, v4, v97
	flat_store_b32 v[82:83], v4
.LBB607_277:                            ;   in Loop: Header=BB607_269 Depth=1
	s_or_b32 exec_lo, exec_lo, s16
	; wave barrier
	s_waitcnt vmcnt(0) lgkmcnt(0)
	s_waitcnt_vscnt null, 0x0
	s_barrier
	buffer_gl0_inv
	s_clause 0x1
	flat_load_b128 v[22:25], v[8:9] offset:32
	flat_load_b128 v[18:21], v[31:32] offset:16
	s_waitcnt vmcnt(1) lgkmcnt(1)
	v_add_nc_u32_e32 v4, v23, v22
	s_delay_alu instid0(VALU_DEP_1) | instskip(SKIP_1) | instid1(VALU_DEP_1)
	v_add3_u32 v4, v4, v24, v25
	s_waitcnt vmcnt(0) lgkmcnt(0)
	v_add3_u32 v4, v4, v18, v19
	s_delay_alu instid0(VALU_DEP_1) | instskip(NEXT) | instid1(VALU_DEP_1)
	v_add3_u32 v4, v4, v20, v21
	v_mov_b32_dpp v21, v4 row_shr:1 row_mask:0xf bank_mask:0xf
	s_delay_alu instid0(VALU_DEP_1) | instskip(NEXT) | instid1(VALU_DEP_1)
	v_cndmask_b32_e64 v21, v21, 0, vcc_lo
	v_add_nc_u32_e32 v4, v21, v4
	s_delay_alu instid0(VALU_DEP_1) | instskip(NEXT) | instid1(VALU_DEP_1)
	v_mov_b32_dpp v21, v4 row_shr:2 row_mask:0xf bank_mask:0xf
	v_cndmask_b32_e64 v21, 0, v21, s0
	s_delay_alu instid0(VALU_DEP_1) | instskip(NEXT) | instid1(VALU_DEP_1)
	v_add_nc_u32_e32 v4, v4, v21
	v_mov_b32_dpp v21, v4 row_shr:4 row_mask:0xf bank_mask:0xf
	s_delay_alu instid0(VALU_DEP_1) | instskip(NEXT) | instid1(VALU_DEP_1)
	v_cndmask_b32_e64 v21, 0, v21, s1
	v_add_nc_u32_e32 v4, v4, v21
	s_delay_alu instid0(VALU_DEP_1) | instskip(NEXT) | instid1(VALU_DEP_1)
	v_mov_b32_dpp v21, v4 row_shr:8 row_mask:0xf bank_mask:0xf
	v_cndmask_b32_e64 v21, 0, v21, s2
	s_delay_alu instid0(VALU_DEP_1) | instskip(SKIP_3) | instid1(VALU_DEP_1)
	v_add_nc_u32_e32 v4, v4, v21
	ds_swizzle_b32 v21, v4 offset:swizzle(BROADCAST,32,15)
	s_waitcnt lgkmcnt(0)
	v_cndmask_b32_e64 v21, v21, 0, s3
	v_add_nc_u32_e32 v4, v4, v21
	s_and_saveexec_b32 s16, s4
	s_cbranch_execz .LBB607_279
; %bb.278:                              ;   in Loop: Header=BB607_269 Depth=1
	flat_store_b32 v[33:34], v4
.LBB607_279:                            ;   in Loop: Header=BB607_269 Depth=1
	s_or_b32 exec_lo, exec_lo, s16
	s_waitcnt lgkmcnt(0)
	s_waitcnt_vscnt null, 0x0
	s_barrier
	buffer_gl0_inv
	s_and_saveexec_b32 s16, s5
	s_cbranch_execz .LBB607_281
; %bb.280:                              ;   in Loop: Header=BB607_269 Depth=1
	flat_load_b32 v21, v[35:36]
	s_waitcnt vmcnt(0) lgkmcnt(0)
	v_mov_b32_dpp v99, v21 row_shr:1 row_mask:0xf bank_mask:0xf
	s_delay_alu instid0(VALU_DEP_1) | instskip(NEXT) | instid1(VALU_DEP_1)
	v_cndmask_b32_e64 v99, v99, 0, s11
	v_add_nc_u32_e32 v21, v99, v21
	s_delay_alu instid0(VALU_DEP_1) | instskip(NEXT) | instid1(VALU_DEP_1)
	v_mov_b32_dpp v99, v21 row_shr:2 row_mask:0xf bank_mask:0xf
	v_cndmask_b32_e64 v99, 0, v99, s14
	s_delay_alu instid0(VALU_DEP_1) | instskip(NEXT) | instid1(VALU_DEP_1)
	v_add_nc_u32_e32 v21, v21, v99
	v_mov_b32_dpp v99, v21 row_shr:4 row_mask:0xf bank_mask:0xf
	s_delay_alu instid0(VALU_DEP_1) | instskip(NEXT) | instid1(VALU_DEP_1)
	v_cndmask_b32_e64 v99, 0, v99, s15
	v_add_nc_u32_e32 v21, v21, v99
	flat_store_b32 v[35:36], v21
.LBB607_281:                            ;   in Loop: Header=BB607_269 Depth=1
	s_or_b32 exec_lo, exec_lo, s16
	v_mov_b32_e32 v21, 0
	s_waitcnt lgkmcnt(0)
	s_waitcnt_vscnt null, 0x0
	s_barrier
	buffer_gl0_inv
	s_and_saveexec_b32 s16, s6
	s_cbranch_execz .LBB607_283
; %bb.282:                              ;   in Loop: Header=BB607_269 Depth=1
	flat_load_b32 v21, v[48:49]
.LBB607_283:                            ;   in Loop: Header=BB607_269 Depth=1
	s_or_b32 exec_lo, exec_lo, s16
	s_waitcnt vmcnt(0) lgkmcnt(0)
	v_add_nc_u32_e32 v4, v21, v4
	v_add_nc_u32_e32 v10, 8, v10
	s_mov_b32 s18, -1
	ds_bpermute_b32 v4, v101, v4
	s_waitcnt lgkmcnt(0)
	v_cndmask_b32_e64 v4, v4, v21, s7
	s_delay_alu instid0(VALU_DEP_1) | instskip(NEXT) | instid1(VALU_DEP_1)
	v_cndmask_b32_e64 v21, v4, 0, s10
	v_add_nc_u32_e32 v22, v21, v22
	s_delay_alu instid0(VALU_DEP_1) | instskip(NEXT) | instid1(VALU_DEP_1)
	v_add_nc_u32_e32 v23, v22, v23
	v_add_nc_u32_e32 v24, v23, v24
	s_delay_alu instid0(VALU_DEP_1) | instskip(NEXT) | instid1(VALU_DEP_1)
	v_add_nc_u32_e32 v115, v24, v25
	v_add_nc_u32_e32 v116, v115, v18
	s_delay_alu instid0(VALU_DEP_1) | instskip(SKIP_1) | instid1(VALU_DEP_2)
	v_add_nc_u32_e32 v117, v116, v19
	v_mov_b32_e32 v19, v5
	v_add_nc_u32_e32 v118, v117, v20
	s_clause 0x1
	flat_store_b128 v[8:9], v[21:24] offset:32
	flat_store_b128 v[31:32], v[115:118] offset:16
	v_mov_b32_e32 v21, v5
	s_waitcnt lgkmcnt(0)
	s_waitcnt_vscnt null, 0x0
	s_barrier
	buffer_gl0_inv
	s_clause 0x3
	flat_load_b32 v4, v[68:69]
	flat_load_b32 v18, v[70:71]
	;; [unrolled: 1-line block ×4, first 2 shown]
	v_mov_b32_e32 v23, v5
	v_cmp_lt_u32_e64 s16, v10, v11
	s_waitcnt vmcnt(0) lgkmcnt(0)
	s_waitcnt_vscnt null, 0x0
                                        ; implicit-def: $vgpr117
                                        ; implicit-def: $vgpr116
                                        ; implicit-def: $vgpr115
                                        ; implicit-def: $vgpr118
                                        ; implicit-def: $vgpr24_vgpr25
	s_waitcnt vmcnt(3) lgkmcnt(3)
	v_add_nc_u32_e32 v4, v4, v84
	s_waitcnt vmcnt(2) lgkmcnt(2)
	v_add3_u32 v18, v86, v85, v18
	s_waitcnt vmcnt(1) lgkmcnt(1)
	v_add3_u32 v20, v96, v87, v20
	;; [unrolled: 2-line block ×3, first 2 shown]
	v_lshlrev_b64 v[86:87], 2, v[4:5]
	v_lshlrev_b64 v[82:83], 2, v[18:19]
	;; [unrolled: 1-line block ×3, first 2 shown]
	s_delay_alu instid0(VALU_DEP_4) | instskip(NEXT) | instid1(VALU_DEP_4)
	v_lshlrev_b64 v[68:69], 2, v[22:23]
                                        ; implicit-def: $vgpr18_vgpr19
                                        ; implicit-def: $vgpr20_vgpr21
                                        ; implicit-def: $vgpr22_vgpr23
	v_add_co_u32 v98, s17, v12, v86
	s_delay_alu instid0(VALU_DEP_1) | instskip(SKIP_1) | instid1(VALU_DEP_1)
	v_add_co_ci_u32_e64 v99, s17, v13, v87, s17
	v_add_co_u32 v96, s17, v12, v82
	v_add_co_ci_u32_e64 v97, s17, v13, v83, s17
	v_add_co_u32 v84, s17, v12, v70
	s_delay_alu instid0(VALU_DEP_1) | instskip(SKIP_1) | instid1(VALU_DEP_1)
	v_add_co_ci_u32_e64 v85, s17, v13, v71, s17
	v_add_co_u32 v80, s17, v12, v68
	v_add_co_ci_u32_e64 v81, s17, v13, v69, s17
	s_and_saveexec_b32 s17, s16
	s_cbranch_execz .LBB607_268
; %bb.284:                              ;   in Loop: Header=BB607_269 Depth=1
	v_add_co_u32 v18, s16, v98, v86
	s_delay_alu instid0(VALU_DEP_1) | instskip(SKIP_1) | instid1(VALU_DEP_1)
	v_add_co_ci_u32_e64 v19, s16, v99, v87, s16
	v_add_co_u32 v20, s16, v96, v82
	v_add_co_ci_u32_e64 v21, s16, v97, v83, s16
	v_add_co_u32 v22, s16, v84, v70
	s_delay_alu instid0(VALU_DEP_1) | instskip(SKIP_1) | instid1(VALU_DEP_1)
	v_add_co_ci_u32_e64 v23, s16, v85, v71, s16
	v_add_co_u32 v24, s16, v80, v68
	v_add_co_ci_u32_e64 v25, s16, v81, v69, s16
	s_barrier
	buffer_gl0_inv
	s_clause 0x3
	flat_store_b32 v[98:99], v103
	flat_store_b32 v[96:97], v114
	;; [unrolled: 1-line block ×4, first 2 shown]
	s_waitcnt lgkmcnt(0)
	s_waitcnt_vscnt null, 0x0
	s_barrier
	buffer_gl0_inv
	s_clause 0x3
	flat_load_b32 v118, v[37:38]
	flat_load_b32 v115, v[37:38] offset:128
	flat_load_b32 v116, v[37:38] offset:256
	;; [unrolled: 1-line block ×3, first 2 shown]
	s_waitcnt vmcnt(0) lgkmcnt(0)
	s_barrier
	buffer_gl0_inv
	s_clause 0x3
	flat_store_b64 v[18:19], v[66:67]
	flat_store_b64 v[20:21], v[54:55]
	;; [unrolled: 1-line block ×4, first 2 shown]
	s_waitcnt lgkmcnt(0)
	s_waitcnt_vscnt null, 0x0
	s_barrier
	buffer_gl0_inv
	s_clause 0x3
	flat_load_b64 v[18:19], v[50:51]
	flat_load_b64 v[20:21], v[50:51] offset:256
	flat_load_b64 v[22:23], v[50:51] offset:512
	;; [unrolled: 1-line block ×3, first 2 shown]
	v_add_nc_u32_e32 v102, -8, v102
	s_xor_b32 s18, exec_lo, -1
	s_waitcnt vmcnt(0) lgkmcnt(0)
	s_barrier
	buffer_gl0_inv
	s_branch .LBB607_268
.LBB607_285:
	flat_load_b64 v[22:23], v[4:5]
	s_or_b32 exec_lo, exec_lo, s7
                                        ; implicit-def: $vgpr24_vgpr25
	s_and_saveexec_b32 s7, s0
	s_cbranch_execz .LBB607_163
.LBB607_286:
	flat_load_b64 v[24:25], v[4:5] offset:256
	s_or_b32 exec_lo, exec_lo, s7
                                        ; implicit-def: $vgpr84_vgpr85
	s_and_saveexec_b32 s0, s1
	s_cbranch_execz .LBB607_164
.LBB607_287:
	flat_load_b64 v[84:85], v[4:5] offset:512
	s_or_b32 exec_lo, exec_lo, s0
                                        ; implicit-def: $vgpr86_vgpr87
	s_and_saveexec_b32 s0, s2
	s_cbranch_execz .LBB607_165
.LBB607_288:
	flat_load_b64 v[86:87], v[4:5] offset:768
	s_or_b32 exec_lo, exec_lo, s0
                                        ; implicit-def: $vgpr96_vgpr97
	s_and_saveexec_b32 s0, s3
	s_cbranch_execz .LBB607_166
.LBB607_289:
	flat_load_b64 v[96:97], v[4:5] offset:1024
	s_or_b32 exec_lo, exec_lo, s0
                                        ; implicit-def: $vgpr98_vgpr99
	s_and_saveexec_b32 s0, s4
	s_cbranch_execz .LBB607_167
.LBB607_290:
	flat_load_b64 v[98:99], v[4:5] offset:1280
	s_or_b32 exec_lo, exec_lo, s0
                                        ; implicit-def: $vgpr100_vgpr101
	s_and_saveexec_b32 s0, s5
	s_cbranch_execz .LBB607_168
.LBB607_291:
	flat_load_b64 v[100:101], v[4:5] offset:1536
	s_or_b32 exec_lo, exec_lo, s0
                                        ; implicit-def: $vgpr102_vgpr103
	s_and_saveexec_b32 s0, s6
	s_cbranch_execnz .LBB607_169
	s_branch .LBB607_170
.LBB607_292:
	flat_store_b64 v[0:1], v[20:21]
	s_or_b32 exec_lo, exec_lo, s7
	s_and_saveexec_b32 s7, s0
	s_cbranch_execz .LBB607_244
.LBB607_293:
	flat_store_b64 v[0:1], v[18:19] offset:2048
	s_or_b32 exec_lo, exec_lo, s7
	s_and_saveexec_b32 s0, s3
	s_cbranch_execz .LBB607_245
.LBB607_294:
	v_add_co_u32 v2, vcc_lo, 0x1000, v0
	v_add_co_ci_u32_e32 v3, vcc_lo, 0, v1, vcc_lo
	flat_store_b64 v[2:3], v[16:17]
	s_or_b32 exec_lo, exec_lo, s0
	s_and_saveexec_b32 s0, s2
	s_cbranch_execz .LBB607_246
.LBB607_295:
	v_add_co_u32 v2, vcc_lo, 0x1000, v0
	v_add_co_ci_u32_e32 v3, vcc_lo, 0, v1, vcc_lo
	flat_store_b64 v[2:3], v[14:15] offset:2048
	s_or_b32 exec_lo, exec_lo, s0
	s_and_saveexec_b32 s0, s1
	s_cbranch_execz .LBB607_247
.LBB607_296:
	v_add_co_u32 v2, vcc_lo, 0x2000, v0
	v_add_co_ci_u32_e32 v3, vcc_lo, 0, v1, vcc_lo
	flat_store_b64 v[2:3], v[12:13]
	s_or_b32 exec_lo, exec_lo, s0
	s_and_saveexec_b32 s0, s4
	s_cbranch_execz .LBB607_248
.LBB607_297:
	v_add_co_u32 v2, vcc_lo, 0x2000, v0
	v_add_co_ci_u32_e32 v3, vcc_lo, 0, v1, vcc_lo
	flat_store_b64 v[2:3], v[10:11] offset:2048
	s_or_b32 exec_lo, exec_lo, s0
	s_and_saveexec_b32 s0, s5
	s_cbranch_execz .LBB607_249
.LBB607_298:
	v_add_co_u32 v2, vcc_lo, 0x3000, v0
	v_add_co_ci_u32_e32 v3, vcc_lo, 0, v1, vcc_lo
	flat_store_b64 v[2:3], v[8:9]
	s_or_b32 exec_lo, exec_lo, s0
	s_and_saveexec_b32 s0, s6
	s_cbranch_execnz .LBB607_250
	s_branch .LBB607_251
.LBB607_299:
	s_or_b32 exec_lo, exec_lo, s20
	v_add_co_u32 v4, vcc_lo, v98, v86
	v_add_co_ci_u32_e32 v5, vcc_lo, v99, v87, vcc_lo
	v_add_co_u32 v8, vcc_lo, v96, v82
	v_add_co_ci_u32_e32 v9, vcc_lo, v97, v83, vcc_lo
	v_add_co_u32 v10, vcc_lo, v84, v70
	s_barrier
	buffer_gl0_inv
	s_clause 0x3
	flat_store_b32 v[98:99], v103
	flat_store_b32 v[96:97], v114
	;; [unrolled: 1-line block ×4, first 2 shown]
	s_waitcnt lgkmcnt(0)
	s_waitcnt_vscnt null, 0x0
	s_barrier
	buffer_gl0_inv
	s_clause 0x3
	flat_load_b32 v17, v[35:36]
	flat_load_b32 v16, v[35:36] offset:1024
	flat_load_b32 v15, v[35:36] offset:2048
	;; [unrolled: 1-line block ×3, first 2 shown]
	s_waitcnt vmcnt(0) lgkmcnt(0)
	s_barrier
	buffer_gl0_inv
	flat_store_b64 v[4:5], v[66:67]
	v_lshlrev_b32_e32 v4, 3, v26
	v_add_co_ci_u32_e32 v11, vcc_lo, v85, v71, vcc_lo
	v_add_co_u32 v18, vcc_lo, v80, v68
	v_add_co_ci_u32_e32 v19, vcc_lo, v81, v69, vcc_lo
	s_delay_alu instid0(VALU_DEP_4)
	v_add_co_u32 v4, vcc_lo, v12, v4
	v_add_co_ci_u32_e32 v5, vcc_lo, 0, v13, vcc_lo
	s_clause 0x2
	flat_store_b64 v[8:9], v[54:55]
	flat_store_b64 v[10:11], v[52:53]
	;; [unrolled: 1-line block ×3, first 2 shown]
	v_add_co_u32 v18, vcc_lo, 0x1000, v4
	v_add_co_ci_u32_e32 v19, vcc_lo, 0, v5, vcc_lo
	s_waitcnt lgkmcnt(0)
	s_waitcnt_vscnt null, 0x0
	s_barrier
	buffer_gl0_inv
	s_clause 0x3
	flat_load_b64 v[12:13], v[4:5]
	flat_load_b64 v[10:11], v[4:5] offset:2048
	flat_load_b64 v[8:9], v[18:19]
	flat_load_b64 v[4:5], v[18:19] offset:2048
	v_mov_b32_e32 v28, 0
	v_add_co_u32 v2, vcc_lo, v2, v29
	v_add_co_ci_u32_e32 v3, vcc_lo, v3, v30, vcc_lo
	s_delay_alu instid0(VALU_DEP_3)
	v_lshlrev_b64 v[18:19], 2, v[27:28]
	s_waitcnt vmcnt(0) lgkmcnt(0)
	s_barrier
	buffer_gl0_inv
	v_add_co_u32 v2, vcc_lo, v2, v18
	v_add_co_ci_u32_e32 v3, vcc_lo, v3, v19, vcc_lo
	v_cmp_lt_u32_e32 vcc_lo, v27, v47
	s_and_saveexec_b32 s0, vcc_lo
	s_cbranch_execz .LBB607_301
; %bb.300:
	v_xor_b32_e32 v17, 0x80000000, v17
	flat_store_b32 v[2:3], v17
.LBB607_301:
	s_or_b32 exec_lo, exec_lo, s0
	v_add_nc_u32_e32 v17, 0x100, v27
	s_delay_alu instid0(VALU_DEP_1) | instskip(NEXT) | instid1(VALU_DEP_1)
	v_cmp_lt_u32_e64 s0, v17, v47
	s_and_saveexec_b32 s1, s0
	s_cbranch_execz .LBB607_303
; %bb.302:
	v_xor_b32_e32 v16, 0x80000000, v16
	flat_store_b32 v[2:3], v16 offset:1024
.LBB607_303:
	s_or_b32 exec_lo, exec_lo, s1
	v_add_nc_u32_e32 v16, 0x200, v27
	s_delay_alu instid0(VALU_DEP_1) | instskip(NEXT) | instid1(VALU_DEP_1)
	v_cmp_lt_u32_e64 s2, v16, v47
	s_and_saveexec_b32 s1, s2
	s_cbranch_execz .LBB607_305
; %bb.304:
	v_xor_b32_e32 v15, 0x80000000, v15
	flat_store_b32 v[2:3], v15 offset:2048
.LBB607_305:
	;; [unrolled: 10-line block ×3, first 2 shown]
	s_or_b32 exec_lo, exec_lo, s3
	v_lshlrev_b64 v[2:3], 3, v[27:28]
	v_add_co_u32 v0, s3, v6, v0
	s_delay_alu instid0(VALU_DEP_1) | instskip(NEXT) | instid1(VALU_DEP_2)
	v_add_co_ci_u32_e64 v1, s3, v7, v1, s3
	v_add_co_u32 v0, s3, v0, v2
	s_delay_alu instid0(VALU_DEP_1)
	v_add_co_ci_u32_e64 v1, s3, v1, v3, s3
	s_and_saveexec_b32 s3, vcc_lo
	s_cbranch_execnz .LBB607_340
; %bb.308:
	s_or_b32 exec_lo, exec_lo, s3
	s_and_saveexec_b32 s3, s0
	s_cbranch_execnz .LBB607_341
.LBB607_309:
	s_or_b32 exec_lo, exec_lo, s3
	s_and_saveexec_b32 s0, s2
	s_cbranch_execnz .LBB607_342
.LBB607_310:
	s_or_b32 exec_lo, exec_lo, s0
	s_and_saveexec_b32 s0, s1
	s_cbranch_execz .LBB607_312
.LBB607_311:
	v_add_co_u32 v0, vcc_lo, 0x1000, v0
	v_add_co_ci_u32_e32 v1, vcc_lo, 0, v1, vcc_lo
	flat_store_b64 v[0:1], v[4:5] offset:2048
.LBB607_312:
	s_or_b32 exec_lo, exec_lo, s0
                                        ; implicit-def: $vgpr47
                                        ; implicit-def: $vgpr0
                                        ; implicit-def: $vgpr1
                                        ; implicit-def: $vgpr2
                                        ; implicit-def: $vgpr3
                                        ; implicit-def: $vgpr4
                                        ; implicit-def: $vgpr5
                                        ; implicit-def: $vgpr6
                                        ; implicit-def: $vgpr7
                                        ; implicit-def: $vgpr8
                                        ; implicit-def: $vgpr10
                                        ; implicit-def: $vgpr11
                                        ; implicit-def: $vgpr12
                                        ; implicit-def: $vgpr13
                                        ; implicit-def: $vgpr14
                                        ; implicit-def: $vgpr15
                                        ; implicit-def: $vgpr26
                                        ; implicit-def: $vgpr37
.LBB607_313:
	s_and_not1_saveexec_b32 s0, s19
	s_cbranch_execz .LBB607_372
; %bb.314:
	s_load_b64 s[0:1], s[8:9], 0x0
	v_mov_b32_e32 v9, 0
	s_delay_alu instid0(VALU_DEP_1) | instskip(SKIP_3) | instid1(SALU_CYCLE_1)
	v_lshlrev_b64 v[29:30], 2, v[8:9]
	s_waitcnt lgkmcnt(0)
	s_cmp_lt_u32 s13, s1
	s_cselect_b32 s1, 14, 20
	s_add_u32 s2, s8, s1
	s_addc_u32 s3, s9, 0
	s_cmp_lt_u32 s12, s0
	global_load_u16 v16, v9, s[2:3]
	s_cselect_b32 s0, 12, 18
	s_delay_alu instid0(SALU_CYCLE_1)
	s_add_u32 s0, s8, s0
	s_addc_u32 s1, s9, 0
	global_load_u16 v17, v9, s[0:1]
	s_mov_b32 s0, exec_lo
	s_waitcnt vmcnt(1)
	v_mad_u32_u24 v14, v15, v16, v14
	s_waitcnt vmcnt(0)
	s_delay_alu instid0(VALU_DEP_1)
	v_mad_u64_u32 v[27:28], null, v14, v17, v[26:27]
	v_cmpx_lt_u32_e32 0x100, v47
	s_xor_b32 s15, exec_lo, s0
	s_cbranch_execz .LBB607_352
; %bb.315:
	s_delay_alu instid0(VALU_DEP_2) | instskip(SKIP_1) | instid1(SALU_CYCLE_1)
	v_dual_mov_b32 v17, v9 :: v_dual_lshlrev_b32 v14, 1, v27
	s_brev_b32 s0, -2
	s_mov_b32 s1, s0
	s_delay_alu instid0(VALU_DEP_1) | instskip(SKIP_3) | instid1(VALU_DEP_4)
	v_and_b32_e32 v16, 0xffffffc0, v14
	v_lshlrev_b32_e32 v15, 2, v37
	v_add_co_u32 v14, vcc_lo, v0, v29
	v_add_co_ci_u32_e32 v18, vcc_lo, v1, v30, vcc_lo
	v_lshlrev_b64 v[0:1], 2, v[16:17]
	s_delay_alu instid0(VALU_DEP_3) | instskip(NEXT) | instid1(VALU_DEP_3)
	v_add_co_u32 v14, vcc_lo, v14, v15
	v_add_co_ci_u32_e32 v15, vcc_lo, 0, v18, vcc_lo
	s_delay_alu instid0(VALU_DEP_2) | instskip(NEXT) | instid1(VALU_DEP_2)
	v_add_co_u32 v0, vcc_lo, v14, v0
	v_add_co_ci_u32_e32 v1, vcc_lo, v15, v1, vcc_lo
	v_dual_mov_b32 v15, s1 :: v_dual_mov_b32 v14, s0
	v_or_b32_e32 v18, v37, v16
	s_delay_alu instid0(VALU_DEP_1)
	v_cmp_lt_u32_e32 vcc_lo, v18, v47
	s_and_saveexec_b32 s0, vcc_lo
	s_cbranch_execz .LBB607_317
; %bb.316:
	flat_load_b32 v14, v[0:1]
	v_bfrev_b32_e32 v15, -2
.LBB607_317:
	s_or_b32 exec_lo, exec_lo, s0
	v_or_b32_e32 v18, 32, v18
	s_delay_alu instid0(VALU_DEP_1) | instskip(NEXT) | instid1(VALU_DEP_1)
	v_cmp_lt_u32_e64 s0, v18, v47
	s_and_saveexec_b32 s1, s0
	s_cbranch_execz .LBB607_319
; %bb.318:
	flat_load_b32 v15, v[0:1] offset:128
.LBB607_319:
	s_or_b32 exec_lo, exec_lo, s1
	v_lshlrev_b64 v[0:1], 3, v[8:9]
	v_lshlrev_b32_e32 v8, 3, v37
	s_delay_alu instid0(VALU_DEP_2) | instskip(NEXT) | instid1(VALU_DEP_1)
	v_add_co_u32 v9, s1, v4, v0
	v_add_co_ci_u32_e64 v18, s1, v5, v1, s1
	v_lshlrev_b64 v[4:5], 3, v[16:17]
	s_delay_alu instid0(VALU_DEP_3) | instskip(NEXT) | instid1(VALU_DEP_1)
	v_add_co_u32 v8, s1, v9, v8
	v_add_co_ci_u32_e64 v9, s1, 0, v18, s1
                                        ; implicit-def: $vgpr18_vgpr19
	s_delay_alu instid0(VALU_DEP_2) | instskip(NEXT) | instid1(VALU_DEP_1)
	v_add_co_u32 v4, s1, v8, v4
	v_add_co_ci_u32_e64 v5, s1, v9, v5, s1
	s_and_saveexec_b32 s1, vcc_lo
	s_cbranch_execz .LBB607_321
; %bb.320:
	flat_load_b64 v[18:19], v[4:5]
.LBB607_321:
	s_or_b32 exec_lo, exec_lo, s1
                                        ; implicit-def: $vgpr20_vgpr21
	s_and_saveexec_b32 s1, s0
	s_cbranch_execz .LBB607_323
; %bb.322:
	flat_load_b64 v[20:21], v[4:5] offset:256
.LBB607_323:
	s_or_b32 exec_lo, exec_lo, s1
	v_dual_mov_b32 v5, 0 :: v_dual_lshlrev_b32 v4, 5, v26
	s_mov_b32 s16, 0
	v_add_co_u32 v28, vcc_lo, v12, 32
	s_waitcnt vmcnt(0) lgkmcnt(0)
	v_xor_b32_e32 v81, 0x80000000, v15
	s_mov_b32 s17, s16
	s_mov_b32 s18, s16
	;; [unrolled: 1-line block ×3, first 2 shown]
	v_and_b32_e32 v15, 0x3e0, v26
	v_add_co_ci_u32_e32 v39, vcc_lo, 0, v13, vcc_lo
	v_add_co_u32 v8, vcc_lo, v12, v4
	v_add_nc_u32_e32 v16, -1, v37
	v_add_co_ci_u32_e32 v9, vcc_lo, 0, v13, vcc_lo
	v_add_co_u32 v31, vcc_lo, v28, v4
	v_min_u32_e32 v4, 0xe0, v15
	v_and_b32_e32 v15, 16, v37
	v_xor_b32_e32 v82, 0x80000000, v14
	v_and_b32_e32 v14, 15, v37
	v_cmp_gt_i32_e64 s4, 0, v16
	v_or_b32_e32 v4, 31, v4
	v_cmp_eq_u32_e64 s3, 0, v15
	v_lshrrev_b32_e32 v15, 5, v26
	s_getpc_b64 s[0:1]
	s_add_u32 s0, s0, _ZN7rocprim17ROCPRIM_400000_NS16block_radix_sortIiLj256ELj2ElLj1ELj1ELj8ELNS0_26block_radix_rank_algorithmE2ELNS0_18block_padding_hintE2ELNS0_4arch9wavefront6targetE0EE19radix_bits_per_passE@rel32@lo+4
	s_addc_u32 s1, s1, _ZN7rocprim17ROCPRIM_400000_NS16block_radix_sortIiLj256ELj2ElLj1ELj1ELj8ELNS0_26block_radix_rank_algorithmE2ELNS0_18block_padding_hintE2ELNS0_4arch9wavefront6targetE0EE19radix_bits_per_passE@rel32@hi+12
	v_add_co_ci_u32_e32 v32, vcc_lo, 0, v39, vcc_lo
	s_load_b32 s20, s[0:1], 0x0
	v_cmp_eq_u32_e32 vcc_lo, 0, v14
	v_cmp_lt_u32_e64 s0, 1, v14
	v_cmp_lt_u32_e64 s1, 3, v14
	;; [unrolled: 1-line block ×3, first 2 shown]
	v_cndmask_b32_e64 v14, v16, v37, s4
	v_lshlrev_b32_e32 v16, 1, v26
	v_cmp_eq_u32_e64 s4, v4, v26
	v_lshlrev_b32_e32 v4, 2, v15
	v_cmp_eq_u32_e64 s7, 0, v37
	v_lshlrev_b32_e32 v69, 2, v14
	v_and_or_b32 v16, 0x7c0, v16, v37
	v_lshlrev_b32_e32 v14, 2, v26
	v_add_co_u32 v35, s9, v12, v4
	v_add_nc_u32_e32 v4, -1, v15
	s_delay_alu instid0(VALU_DEP_4) | instskip(SKIP_2) | instid1(VALU_DEP_4)
	v_lshlrev_b32_e32 v16, 2, v16
	v_add_co_ci_u32_e64 v36, s9, 0, v13, s9
	v_add_co_u32 v33, s9, v12, v14
	v_lshlrev_b64 v[14:15], 2, v[4:5]
	v_and_b32_e32 v17, 7, v37
	v_add_co_u32 v37, s12, v12, v16
	s_delay_alu instid0(VALU_DEP_1) | instskip(NEXT) | instid1(VALU_DEP_4)
	v_add_co_ci_u32_e64 v38, s12, 0, v13, s12
	v_add_co_u32 v48, s12, v12, v14
	s_delay_alu instid0(VALU_DEP_1)
	v_add_co_ci_u32_e64 v49, s12, v13, v15, s12
	v_add_co_ci_u32_e64 v34, s9, 0, v13, s9
	v_add_co_u32 v50, s12, v37, v16
	v_cmp_eq_u32_e64 s9, 0, v17
	v_cmp_lt_u32_e64 s10, 1, v17
	v_cmp_lt_u32_e64 s11, 3, v17
	v_mov_b32_e32 v14, s16
	v_lshrrev_b32_e32 v68, 5, v27
	v_cmp_gt_u32_e64 s5, 8, v26
	v_cmp_lt_u32_e64 s6, 31, v26
	v_cmp_eq_u32_e64 s8, 0, v26
	v_add_co_ci_u32_e64 v51, s12, 0, v38, s12
	v_sub_nc_u32_e32 v70, v11, v10
	v_dual_mov_b32 v15, s17 :: v_dual_mov_b32 v16, s18
	v_mov_b32_e32 v17, s19
	s_waitcnt lgkmcnt(0)
	s_waitcnt_vscnt null, 0x0
	s_barrier
	buffer_gl0_inv
	s_branch .LBB607_325
.LBB607_324:                            ;   in Loop: Header=BB607_325 Depth=1
	s_or_b32 exec_lo, exec_lo, s13
	s_delay_alu instid0(SALU_CYCLE_1) | instskip(NEXT) | instid1(SALU_CYCLE_1)
	s_and_b32 s12, exec_lo, s14
	s_or_b32 s16, s12, s16
	s_delay_alu instid0(SALU_CYCLE_1)
	s_and_not1_b32 exec_lo, exec_lo, s16
	s_cbranch_execz .LBB607_343
.LBB607_325:                            ; =>This Inner Loop Header: Depth=1
	v_min_u32_e32 v4, s20, v70
	s_clause 0x1
	flat_store_b128 v[8:9], v[14:17] offset:32
	flat_store_b128 v[31:32], v[14:17] offset:16
	s_waitcnt lgkmcnt(0)
	s_waitcnt_vscnt null, 0x0
	s_barrier
	buffer_gl0_inv
	v_lshlrev_b32_e64 v4, v4, -1
	; wave barrier
	v_mov_b32_e32 v80, v81
	s_delay_alu instid0(VALU_DEP_2) | instskip(SKIP_1) | instid1(VALU_DEP_1)
	v_not_b32_e32 v22, v4
	v_mov_b32_e32 v71, v82
	v_lshrrev_b32_e32 v23, v10, v71
	s_delay_alu instid0(VALU_DEP_1) | instskip(NEXT) | instid1(VALU_DEP_1)
	v_and_b32_e32 v4, v23, v22
	v_and_b32_e32 v23, 1, v4
	v_lshlrev_b32_e32 v24, 30, v4
	v_lshlrev_b32_e32 v25, 29, v4
	;; [unrolled: 1-line block ×4, first 2 shown]
	v_add_co_u32 v23, s12, v23, -1
	s_delay_alu instid0(VALU_DEP_1)
	v_cndmask_b32_e64 v53, 0, 1, s12
	v_not_b32_e32 v65, v24
	v_cmp_gt_i32_e64 s13, 0, v24
	v_not_b32_e32 v24, v25
	v_lshlrev_b32_e32 v55, 26, v4
	v_cmp_ne_u32_e64 s12, 0, v53
	v_ashrrev_i32_e32 v65, 31, v65
	v_lshlrev_b32_e32 v64, 25, v4
	v_ashrrev_i32_e32 v24, 31, v24
	v_lshlrev_b32_e32 v53, 24, v4
	v_xor_b32_e32 v23, s12, v23
	v_cmp_gt_i32_e64 s12, 0, v25
	v_not_b32_e32 v25, v52
	v_xor_b32_e32 v65, s13, v65
	v_cmp_gt_i32_e64 s13, 0, v52
	v_and_b32_e32 v23, exec_lo, v23
	v_not_b32_e32 v52, v54
	v_ashrrev_i32_e32 v25, 31, v25
	v_xor_b32_e32 v24, s12, v24
	v_cmp_gt_i32_e64 s12, 0, v54
	v_and_b32_e32 v23, v23, v65
	v_not_b32_e32 v54, v55
	v_ashrrev_i32_e32 v52, 31, v52
	v_xor_b32_e32 v25, s13, v25
	v_cmp_gt_i32_e64 s13, 0, v55
	v_and_b32_e32 v23, v23, v24
	;; [unrolled: 5-line block ×4, first 2 shown]
	v_ashrrev_i32_e32 v25, 31, v25
	v_xor_b32_e32 v24, s12, v24
	v_mov_b32_e32 v53, v21
	v_lshl_add_u32 v4, v4, 3, v68
	v_and_b32_e32 v23, v23, v54
	v_xor_b32_e32 v25, s13, v25
	v_dual_mov_b32 v52, v20 :: v_dual_mov_b32 v55, v19
	s_delay_alu instid0(VALU_DEP_3) | instskip(SKIP_1) | instid1(VALU_DEP_2)
	v_dual_mov_b32 v54, v18 :: v_dual_and_b32 v23, v23, v24
	v_lshlrev_b64 v[18:19], 2, v[4:5]
	v_and_b32_e32 v20, v23, v25
	s_delay_alu instid0(VALU_DEP_2) | instskip(NEXT) | instid1(VALU_DEP_1)
	v_add_co_u32 v64, s14, v28, v18
	v_add_co_ci_u32_e64 v65, s14, v39, v19, s14
	s_delay_alu instid0(VALU_DEP_3) | instskip(SKIP_1) | instid1(VALU_DEP_2)
	v_mbcnt_lo_u32_b32 v81, v20, 0
	v_cmp_ne_u32_e64 s12, 0, v20
	v_cmp_eq_u32_e64 s13, 0, v81
	s_delay_alu instid0(VALU_DEP_1) | instskip(NEXT) | instid1(SALU_CYCLE_1)
	s_and_b32 s13, s12, s13
	s_and_saveexec_b32 s12, s13
	s_cbranch_execz .LBB607_327
; %bb.326:                              ;   in Loop: Header=BB607_325 Depth=1
	v_bcnt_u32_b32 v4, v20, 0
	flat_store_b32 v[64:65], v4
.LBB607_327:                            ;   in Loop: Header=BB607_325 Depth=1
	s_or_b32 exec_lo, exec_lo, s12
	v_lshrrev_b32_e32 v4, v10, v80
	; wave barrier
	s_delay_alu instid0(VALU_DEP_1) | instskip(NEXT) | instid1(VALU_DEP_1)
	v_and_b32_e32 v20, v4, v22
	v_lshl_add_u32 v4, v20, 3, v68
	v_lshlrev_b32_e32 v21, 29, v20
	v_lshlrev_b32_e32 v22, 28, v20
	s_delay_alu instid0(VALU_DEP_3) | instskip(SKIP_1) | instid1(VALU_DEP_2)
	v_lshlrev_b64 v[18:19], 2, v[4:5]
	v_and_b32_e32 v4, 1, v20
	v_add_co_u32 v66, s12, v28, v18
	s_delay_alu instid0(VALU_DEP_1) | instskip(NEXT) | instid1(VALU_DEP_3)
	v_add_co_ci_u32_e64 v67, s12, v39, v19, s12
	v_add_co_u32 v4, s12, v4, -1
	s_delay_alu instid0(VALU_DEP_1) | instskip(SKIP_3) | instid1(VALU_DEP_2)
	v_cndmask_b32_e64 v18, 0, 1, s12
	flat_load_b32 v82, v[66:67]
	v_lshlrev_b32_e32 v19, 30, v20
	; wave barrier
	v_cmp_ne_u32_e64 s12, 0, v18
	v_not_b32_e32 v18, v19
	s_delay_alu instid0(VALU_DEP_2) | instskip(SKIP_1) | instid1(VALU_DEP_3)
	v_xor_b32_e32 v4, s12, v4
	v_cmp_gt_i32_e64 s12, 0, v19
	v_ashrrev_i32_e32 v18, 31, v18
	v_not_b32_e32 v19, v21
	s_delay_alu instid0(VALU_DEP_4) | instskip(NEXT) | instid1(VALU_DEP_3)
	v_and_b32_e32 v4, exec_lo, v4
	v_xor_b32_e32 v18, s12, v18
	v_cmp_gt_i32_e64 s12, 0, v21
	s_delay_alu instid0(VALU_DEP_4) | instskip(SKIP_1) | instid1(VALU_DEP_4)
	v_ashrrev_i32_e32 v19, 31, v19
	v_not_b32_e32 v21, v22
	v_and_b32_e32 v4, v4, v18
	v_lshlrev_b32_e32 v18, 27, v20
	s_delay_alu instid0(VALU_DEP_4) | instskip(SKIP_2) | instid1(VALU_DEP_4)
	v_xor_b32_e32 v19, s12, v19
	v_cmp_gt_i32_e64 s12, 0, v22
	v_ashrrev_i32_e32 v21, 31, v21
	v_not_b32_e32 v22, v18
	s_delay_alu instid0(VALU_DEP_4) | instskip(SKIP_1) | instid1(VALU_DEP_4)
	v_and_b32_e32 v4, v4, v19
	v_lshlrev_b32_e32 v19, 26, v20
	v_xor_b32_e32 v21, s12, v21
	v_cmp_gt_i32_e64 s12, 0, v18
	v_ashrrev_i32_e32 v18, 31, v22
	s_delay_alu instid0(VALU_DEP_4) | instskip(NEXT) | instid1(VALU_DEP_4)
	v_not_b32_e32 v22, v19
	v_and_b32_e32 v4, v4, v21
	v_lshlrev_b32_e32 v21, 25, v20
	s_delay_alu instid0(VALU_DEP_4) | instskip(SKIP_2) | instid1(VALU_DEP_4)
	v_xor_b32_e32 v18, s12, v18
	v_cmp_gt_i32_e64 s12, 0, v19
	v_ashrrev_i32_e32 v19, 31, v22
	v_not_b32_e32 v22, v21
	s_delay_alu instid0(VALU_DEP_4) | instskip(SKIP_1) | instid1(VALU_DEP_4)
	v_and_b32_e32 v4, v4, v18
	v_lshlrev_b32_e32 v18, 24, v20
	v_xor_b32_e32 v19, s12, v19
	v_cmp_gt_i32_e64 s12, 0, v21
	v_ashrrev_i32_e32 v20, 31, v22
	s_delay_alu instid0(VALU_DEP_4) | instskip(NEXT) | instid1(VALU_DEP_4)
	v_not_b32_e32 v21, v18
	v_and_b32_e32 v4, v4, v19
	s_delay_alu instid0(VALU_DEP_3) | instskip(SKIP_1) | instid1(VALU_DEP_4)
	v_xor_b32_e32 v19, s12, v20
	v_cmp_gt_i32_e64 s12, 0, v18
	v_ashrrev_i32_e32 v18, 31, v21
	s_delay_alu instid0(VALU_DEP_3) | instskip(NEXT) | instid1(VALU_DEP_2)
	v_and_b32_e32 v4, v4, v19
	v_xor_b32_e32 v18, s12, v18
	s_delay_alu instid0(VALU_DEP_1) | instskip(NEXT) | instid1(VALU_DEP_1)
	v_and_b32_e32 v4, v4, v18
	v_mbcnt_lo_u32_b32 v83, v4, 0
	v_cmp_ne_u32_e64 s13, 0, v4
	s_delay_alu instid0(VALU_DEP_2) | instskip(NEXT) | instid1(VALU_DEP_1)
	v_cmp_eq_u32_e64 s12, 0, v83
	s_and_b32 s13, s13, s12
	s_delay_alu instid0(SALU_CYCLE_1)
	s_and_saveexec_b32 s12, s13
	s_cbranch_execz .LBB607_329
; %bb.328:                              ;   in Loop: Header=BB607_325 Depth=1
	s_waitcnt vmcnt(0) lgkmcnt(0)
	v_bcnt_u32_b32 v4, v4, v82
	flat_store_b32 v[66:67], v4
.LBB607_329:                            ;   in Loop: Header=BB607_325 Depth=1
	s_or_b32 exec_lo, exec_lo, s12
	; wave barrier
	s_waitcnt vmcnt(0) lgkmcnt(0)
	s_waitcnt_vscnt null, 0x0
	s_barrier
	buffer_gl0_inv
	s_clause 0x1
	flat_load_b128 v[22:25], v[8:9] offset:32
	flat_load_b128 v[18:21], v[31:32] offset:16
	s_waitcnt vmcnt(1) lgkmcnt(1)
	v_add_nc_u32_e32 v4, v23, v22
	s_delay_alu instid0(VALU_DEP_1) | instskip(SKIP_1) | instid1(VALU_DEP_1)
	v_add3_u32 v4, v4, v24, v25
	s_waitcnt vmcnt(0) lgkmcnt(0)
	v_add3_u32 v4, v4, v18, v19
	s_delay_alu instid0(VALU_DEP_1) | instskip(NEXT) | instid1(VALU_DEP_1)
	v_add3_u32 v4, v4, v20, v21
	v_mov_b32_dpp v21, v4 row_shr:1 row_mask:0xf bank_mask:0xf
	s_delay_alu instid0(VALU_DEP_1) | instskip(NEXT) | instid1(VALU_DEP_1)
	v_cndmask_b32_e64 v21, v21, 0, vcc_lo
	v_add_nc_u32_e32 v4, v21, v4
	s_delay_alu instid0(VALU_DEP_1) | instskip(NEXT) | instid1(VALU_DEP_1)
	v_mov_b32_dpp v21, v4 row_shr:2 row_mask:0xf bank_mask:0xf
	v_cndmask_b32_e64 v21, 0, v21, s0
	s_delay_alu instid0(VALU_DEP_1) | instskip(NEXT) | instid1(VALU_DEP_1)
	v_add_nc_u32_e32 v4, v4, v21
	v_mov_b32_dpp v21, v4 row_shr:4 row_mask:0xf bank_mask:0xf
	s_delay_alu instid0(VALU_DEP_1) | instskip(NEXT) | instid1(VALU_DEP_1)
	v_cndmask_b32_e64 v21, 0, v21, s1
	v_add_nc_u32_e32 v4, v4, v21
	s_delay_alu instid0(VALU_DEP_1) | instskip(NEXT) | instid1(VALU_DEP_1)
	v_mov_b32_dpp v21, v4 row_shr:8 row_mask:0xf bank_mask:0xf
	v_cndmask_b32_e64 v21, 0, v21, s2
	s_delay_alu instid0(VALU_DEP_1) | instskip(SKIP_3) | instid1(VALU_DEP_1)
	v_add_nc_u32_e32 v4, v4, v21
	ds_swizzle_b32 v21, v4 offset:swizzle(BROADCAST,32,15)
	s_waitcnt lgkmcnt(0)
	v_cndmask_b32_e64 v21, v21, 0, s3
	v_add_nc_u32_e32 v4, v4, v21
	s_and_saveexec_b32 s12, s4
	s_cbranch_execz .LBB607_331
; %bb.330:                              ;   in Loop: Header=BB607_325 Depth=1
	flat_store_b32 v[35:36], v4
.LBB607_331:                            ;   in Loop: Header=BB607_325 Depth=1
	s_or_b32 exec_lo, exec_lo, s12
	s_waitcnt lgkmcnt(0)
	s_waitcnt_vscnt null, 0x0
	s_barrier
	buffer_gl0_inv
	s_and_saveexec_b32 s12, s5
	s_cbranch_execz .LBB607_333
; %bb.332:                              ;   in Loop: Header=BB607_325 Depth=1
	flat_load_b32 v21, v[33:34]
	s_waitcnt vmcnt(0) lgkmcnt(0)
	v_mov_b32_dpp v84, v21 row_shr:1 row_mask:0xf bank_mask:0xf
	s_delay_alu instid0(VALU_DEP_1) | instskip(NEXT) | instid1(VALU_DEP_1)
	v_cndmask_b32_e64 v84, v84, 0, s9
	v_add_nc_u32_e32 v21, v84, v21
	s_delay_alu instid0(VALU_DEP_1) | instskip(NEXT) | instid1(VALU_DEP_1)
	v_mov_b32_dpp v84, v21 row_shr:2 row_mask:0xf bank_mask:0xf
	v_cndmask_b32_e64 v84, 0, v84, s10
	s_delay_alu instid0(VALU_DEP_1) | instskip(NEXT) | instid1(VALU_DEP_1)
	v_add_nc_u32_e32 v21, v21, v84
	v_mov_b32_dpp v84, v21 row_shr:4 row_mask:0xf bank_mask:0xf
	s_delay_alu instid0(VALU_DEP_1) | instskip(NEXT) | instid1(VALU_DEP_1)
	v_cndmask_b32_e64 v84, 0, v84, s11
	v_add_nc_u32_e32 v21, v21, v84
	flat_store_b32 v[33:34], v21
.LBB607_333:                            ;   in Loop: Header=BB607_325 Depth=1
	s_or_b32 exec_lo, exec_lo, s12
	v_mov_b32_e32 v21, 0
	s_waitcnt lgkmcnt(0)
	s_waitcnt_vscnt null, 0x0
	s_barrier
	buffer_gl0_inv
	s_and_saveexec_b32 s12, s6
	s_cbranch_execz .LBB607_335
; %bb.334:                              ;   in Loop: Header=BB607_325 Depth=1
	flat_load_b32 v21, v[48:49]
.LBB607_335:                            ;   in Loop: Header=BB607_325 Depth=1
	s_or_b32 exec_lo, exec_lo, s12
	s_waitcnt vmcnt(0) lgkmcnt(0)
	v_add_nc_u32_e32 v4, v21, v4
	v_add_nc_u32_e32 v10, 8, v10
	s_mov_b32 s14, -1
	ds_bpermute_b32 v4, v69, v4
	s_waitcnt lgkmcnt(0)
	v_cndmask_b32_e64 v4, v4, v21, s7
	s_delay_alu instid0(VALU_DEP_1) | instskip(NEXT) | instid1(VALU_DEP_1)
	v_cndmask_b32_e64 v21, v4, 0, s8
	v_add_nc_u32_e32 v22, v21, v22
	s_delay_alu instid0(VALU_DEP_1) | instskip(NEXT) | instid1(VALU_DEP_1)
	v_add_nc_u32_e32 v23, v22, v23
	v_add_nc_u32_e32 v24, v23, v24
	s_delay_alu instid0(VALU_DEP_1) | instskip(NEXT) | instid1(VALU_DEP_1)
	v_add_nc_u32_e32 v84, v24, v25
	v_add_nc_u32_e32 v85, v84, v18
	s_delay_alu instid0(VALU_DEP_1) | instskip(SKIP_1) | instid1(VALU_DEP_2)
	v_add_nc_u32_e32 v86, v85, v19
	v_mov_b32_e32 v19, v5
	v_add_nc_u32_e32 v87, v86, v20
	s_clause 0x1
	flat_store_b128 v[8:9], v[21:24] offset:32
	flat_store_b128 v[31:32], v[84:87] offset:16
	s_waitcnt lgkmcnt(0)
	s_waitcnt_vscnt null, 0x0
	s_barrier
	buffer_gl0_inv
	s_clause 0x1
	flat_load_b32 v4, v[64:65]
	flat_load_b32 v18, v[66:67]
	s_waitcnt vmcnt(0) lgkmcnt(0)
	s_waitcnt_vscnt null, 0x0
                                        ; implicit-def: $vgpr20_vgpr21
	s_waitcnt vmcnt(1) lgkmcnt(1)
	v_add_nc_u32_e32 v4, v4, v81
	s_waitcnt vmcnt(0) lgkmcnt(0)
	v_add3_u32 v18, v83, v82, v18
                                        ; implicit-def: $vgpr81
                                        ; implicit-def: $vgpr82
	s_delay_alu instid0(VALU_DEP_2) | instskip(NEXT) | instid1(VALU_DEP_2)
	v_lshlrev_b64 v[64:65], 2, v[4:5]
	v_lshlrev_b64 v[22:23], 2, v[18:19]
                                        ; implicit-def: $vgpr18_vgpr19
	s_delay_alu instid0(VALU_DEP_2) | instskip(NEXT) | instid1(VALU_DEP_1)
	v_add_co_u32 v66, s13, v12, v64
	v_add_co_ci_u32_e64 v67, s13, v13, v65, s13
	s_delay_alu instid0(VALU_DEP_3) | instskip(NEXT) | instid1(VALU_DEP_1)
	v_add_co_u32 v24, s13, v12, v22
	v_add_co_ci_u32_e64 v25, s13, v13, v23, s13
	s_mov_b32 s13, exec_lo
	v_cmpx_lt_u32_e64 v10, v11
	s_cbranch_execz .LBB607_324
; %bb.336:                              ;   in Loop: Header=BB607_325 Depth=1
	v_add_co_u32 v18, s12, v66, v64
	s_delay_alu instid0(VALU_DEP_1) | instskip(SKIP_1) | instid1(VALU_DEP_1)
	v_add_co_ci_u32_e64 v19, s12, v67, v65, s12
	v_add_co_u32 v20, s12, v24, v22
	v_add_co_ci_u32_e64 v21, s12, v25, v23, s12
	s_barrier
	buffer_gl0_inv
	s_clause 0x1
	flat_store_b32 v[66:67], v71
	flat_store_b32 v[24:25], v80
	s_waitcnt lgkmcnt(0)
	s_waitcnt_vscnt null, 0x0
	s_barrier
	buffer_gl0_inv
	s_clause 0x1
	flat_load_b32 v82, v[37:38]
	flat_load_b32 v81, v[37:38] offset:128
	s_waitcnt vmcnt(0) lgkmcnt(0)
	s_barrier
	buffer_gl0_inv
	s_clause 0x1
	flat_store_b64 v[18:19], v[54:55]
	flat_store_b64 v[20:21], v[52:53]
	s_waitcnt lgkmcnt(0)
	s_waitcnt_vscnt null, 0x0
	s_barrier
	buffer_gl0_inv
	s_clause 0x1
	flat_load_b64 v[18:19], v[50:51]
	flat_load_b64 v[20:21], v[50:51] offset:256
	v_add_nc_u32_e32 v70, -8, v70
	s_xor_b32 s14, exec_lo, -1
	s_waitcnt vmcnt(0) lgkmcnt(0)
	s_barrier
	buffer_gl0_inv
	s_branch .LBB607_324
.LBB607_337:
	flat_load_b64 v[18:19], v[4:5]
	s_or_b32 exec_lo, exec_lo, s3
                                        ; implicit-def: $vgpr20_vgpr21
	s_and_saveexec_b32 s3, s0
	s_cbranch_execz .LBB607_264
.LBB607_338:
	flat_load_b64 v[20:21], v[4:5] offset:256
	s_or_b32 exec_lo, exec_lo, s3
                                        ; implicit-def: $vgpr22_vgpr23
	s_and_saveexec_b32 s0, s1
	s_cbranch_execz .LBB607_265
.LBB607_339:
	flat_load_b64 v[22:23], v[4:5] offset:512
	s_or_b32 exec_lo, exec_lo, s0
                                        ; implicit-def: $vgpr24_vgpr25
	s_and_saveexec_b32 s0, s2
	s_cbranch_execnz .LBB607_266
	s_branch .LBB607_267
.LBB607_340:
	flat_store_b64 v[0:1], v[12:13]
	s_or_b32 exec_lo, exec_lo, s3
	s_and_saveexec_b32 s3, s0
	s_cbranch_execz .LBB607_309
.LBB607_341:
	flat_store_b64 v[0:1], v[10:11] offset:2048
	s_or_b32 exec_lo, exec_lo, s3
	s_and_saveexec_b32 s0, s2
	s_cbranch_execz .LBB607_310
.LBB607_342:
	v_add_co_u32 v2, vcc_lo, 0x1000, v0
	v_add_co_ci_u32_e32 v3, vcc_lo, 0, v1, vcc_lo
	flat_store_b64 v[2:3], v[8:9]
	s_or_b32 exec_lo, exec_lo, s0
	s_and_saveexec_b32 s0, s1
	s_cbranch_execnz .LBB607_311
	s_branch .LBB607_312
.LBB607_343:
	s_or_b32 exec_lo, exec_lo, s16
	v_add_co_u32 v4, vcc_lo, v66, v64
	v_add_co_ci_u32_e32 v5, vcc_lo, v67, v65, vcc_lo
	v_lshlrev_b32_e32 v8, 3, v26
	s_barrier
	buffer_gl0_inv
	s_clause 0x1
	flat_store_b32 v[66:67], v71
	flat_store_b32 v[24:25], v80
	s_waitcnt lgkmcnt(0)
	s_waitcnt_vscnt null, 0x0
	s_barrier
	buffer_gl0_inv
	s_clause 0x1
	flat_load_b32 v11, v[33:34]
	flat_load_b32 v10, v[33:34] offset:1024
	s_waitcnt vmcnt(0) lgkmcnt(0)
	s_barrier
	buffer_gl0_inv
	flat_store_b64 v[4:5], v[54:55]
	v_add_co_u32 v4, vcc_lo, v24, v22
	v_add_co_ci_u32_e32 v5, vcc_lo, v25, v23, vcc_lo
	v_add_co_u32 v12, vcc_lo, v12, v8
	v_add_co_ci_u32_e32 v13, vcc_lo, 0, v13, vcc_lo
	flat_store_b64 v[4:5], v[52:53]
	s_waitcnt lgkmcnt(0)
	s_waitcnt_vscnt null, 0x0
	s_barrier
	buffer_gl0_inv
	s_clause 0x1
	flat_load_b64 v[8:9], v[12:13]
	flat_load_b64 v[4:5], v[12:13] offset:2048
	v_mov_b32_e32 v28, 0
	v_add_co_u32 v2, vcc_lo, v2, v29
	v_add_co_ci_u32_e32 v3, vcc_lo, v3, v30, vcc_lo
	s_delay_alu instid0(VALU_DEP_3)
	v_lshlrev_b64 v[12:13], 2, v[27:28]
	s_waitcnt vmcnt(0) lgkmcnt(0)
	s_barrier
	buffer_gl0_inv
	v_add_co_u32 v2, vcc_lo, v2, v12
	v_add_co_ci_u32_e32 v3, vcc_lo, v3, v13, vcc_lo
	v_cmp_lt_u32_e32 vcc_lo, v27, v47
	s_and_saveexec_b32 s0, vcc_lo
	s_cbranch_execz .LBB607_345
; %bb.344:
	v_xor_b32_e32 v11, 0x80000000, v11
	flat_store_b32 v[2:3], v11
.LBB607_345:
	s_or_b32 exec_lo, exec_lo, s0
	v_add_nc_u32_e32 v11, 0x100, v27
	s_delay_alu instid0(VALU_DEP_1) | instskip(NEXT) | instid1(VALU_DEP_1)
	v_cmp_lt_u32_e64 s0, v11, v47
	s_and_saveexec_b32 s1, s0
	s_cbranch_execz .LBB607_347
; %bb.346:
	v_xor_b32_e32 v10, 0x80000000, v10
	flat_store_b32 v[2:3], v10 offset:1024
.LBB607_347:
	s_or_b32 exec_lo, exec_lo, s1
	v_lshlrev_b64 v[2:3], 3, v[27:28]
	v_add_co_u32 v0, s1, v6, v0
	s_delay_alu instid0(VALU_DEP_1) | instskip(NEXT) | instid1(VALU_DEP_2)
	v_add_co_ci_u32_e64 v1, s1, v7, v1, s1
	v_add_co_u32 v0, s1, v0, v2
	s_delay_alu instid0(VALU_DEP_1)
	v_add_co_ci_u32_e64 v1, s1, v1, v3, s1
	s_and_saveexec_b32 s1, vcc_lo
	s_cbranch_execz .LBB607_349
; %bb.348:
	flat_store_b64 v[0:1], v[8:9]
.LBB607_349:
	s_or_b32 exec_lo, exec_lo, s1
	s_and_saveexec_b32 s1, s0
	s_cbranch_execz .LBB607_351
; %bb.350:
	flat_store_b64 v[0:1], v[4:5] offset:2048
.LBB607_351:
	s_or_b32 exec_lo, exec_lo, s1
                                        ; implicit-def: $vgpr27_vgpr28
                                        ; implicit-def: $vgpr8_vgpr9
                                        ; implicit-def: $vgpr29_vgpr30
                                        ; implicit-def: $vgpr47
                                        ; implicit-def: $vgpr0
                                        ; implicit-def: $vgpr1
                                        ; implicit-def: $vgpr2
                                        ; implicit-def: $vgpr3
                                        ; implicit-def: $vgpr4
                                        ; implicit-def: $vgpr5
                                        ; implicit-def: $vgpr6
                                        ; implicit-def: $vgpr7
                                        ; implicit-def: $vgpr10
                                        ; implicit-def: $vgpr11
                                        ; implicit-def: $vgpr12
                                        ; implicit-def: $vgpr13
                                        ; implicit-def: $vgpr26
                                        ; implicit-def: $vgpr37
.LBB607_352:
	s_and_not1_saveexec_b32 s0, s15
	s_cbranch_execz .LBB607_372
; %bb.353:
	s_delay_alu instid0(VALU_DEP_2) | instskip(SKIP_1) | instid1(VALU_DEP_2)
	v_and_b32_e32 v14, 0xffffffe0, v27
	v_mov_b32_e32 v24, -1
	v_or_b32_e32 v15, v37, v14
	s_delay_alu instid0(VALU_DEP_1)
	v_cmp_lt_u32_e32 vcc_lo, v15, v47
	s_and_saveexec_b32 s1, vcc_lo
	s_cbranch_execz .LBB607_355
; %bb.354:
	v_dual_mov_b32 v15, 0 :: v_dual_lshlrev_b32 v16, 2, v37
	v_add_co_u32 v17, s0, v0, v29
	s_delay_alu instid0(VALU_DEP_1) | instskip(NEXT) | instid1(VALU_DEP_3)
	v_add_co_ci_u32_e64 v18, s0, v1, v30, s0
	v_lshlrev_b64 v[0:1], 2, v[14:15]
	s_delay_alu instid0(VALU_DEP_3) | instskip(NEXT) | instid1(VALU_DEP_1)
	v_add_co_u32 v15, s0, v17, v16
	v_add_co_ci_u32_e64 v16, s0, 0, v18, s0
	s_delay_alu instid0(VALU_DEP_2) | instskip(NEXT) | instid1(VALU_DEP_1)
	v_add_co_u32 v0, s0, v15, v0
	v_add_co_ci_u32_e64 v1, s0, v16, v1, s0
	flat_load_b32 v0, v[0:1]
	s_waitcnt vmcnt(0) lgkmcnt(0)
	v_xor_b32_e32 v24, 0x80000000, v0
.LBB607_355:
	s_or_b32 exec_lo, exec_lo, s1
	v_lshlrev_b64 v[0:1], 3, v[8:9]
                                        ; implicit-def: $vgpr18_vgpr19
	s_and_saveexec_b32 s0, vcc_lo
	s_cbranch_execz .LBB607_357
; %bb.356:
	v_dual_mov_b32 v15, 0 :: v_dual_lshlrev_b32 v8, 3, v37
	s_delay_alu instid0(VALU_DEP_2) | instskip(NEXT) | instid1(VALU_DEP_3)
	v_add_co_u32 v9, vcc_lo, v4, v0
	v_add_co_ci_u32_e32 v16, vcc_lo, v5, v1, vcc_lo
	s_delay_alu instid0(VALU_DEP_3) | instskip(NEXT) | instid1(VALU_DEP_3)
	v_lshlrev_b64 v[4:5], 3, v[14:15]
	v_add_co_u32 v8, vcc_lo, v9, v8
	s_delay_alu instid0(VALU_DEP_3) | instskip(NEXT) | instid1(VALU_DEP_2)
	v_add_co_ci_u32_e32 v9, vcc_lo, 0, v16, vcc_lo
	v_add_co_u32 v4, vcc_lo, v8, v4
	s_delay_alu instid0(VALU_DEP_2)
	v_add_co_ci_u32_e32 v5, vcc_lo, v9, v5, vcc_lo
	flat_load_b64 v[18:19], v[4:5]
.LBB607_357:
	s_or_b32 exec_lo, exec_lo, s0
	v_dual_mov_b32 v5, 0 :: v_dual_lshlrev_b32 v4, 5, v26
	s_mov_b32 s16, 0
	v_add_co_u32 v28, vcc_lo, v12, 32
	s_mov_b32 s17, s16
	s_mov_b32 s18, s16
	;; [unrolled: 1-line block ×3, first 2 shown]
	v_and_b32_e32 v15, 0x3e0, v26
	v_add_co_ci_u32_e32 v39, vcc_lo, 0, v13, vcc_lo
	v_add_co_u32 v8, vcc_lo, v12, v4
	v_add_co_ci_u32_e32 v9, vcc_lo, 0, v13, vcc_lo
	v_add_co_u32 v31, vcc_lo, v28, v4
	v_min_u32_e32 v4, 0xe0, v15
	v_and_b32_e32 v16, 16, v37
	v_add_nc_u32_e32 v17, -1, v37
	v_and_b32_e32 v14, 15, v37
	s_getpc_b64 s[0:1]
	s_add_u32 s0, s0, _ZN7rocprim17ROCPRIM_400000_NS16block_radix_sortIiLj256ELj1ElLj1ELj1ELj8ELNS0_26block_radix_rank_algorithmE2ELNS0_18block_padding_hintE2ELNS0_4arch9wavefront6targetE0EE19radix_bits_per_passE@rel32@lo+4
	s_addc_u32 s1, s1, _ZN7rocprim17ROCPRIM_400000_NS16block_radix_sortIiLj256ELj1ElLj1ELj1ELj8ELNS0_26block_radix_rank_algorithmE2ELNS0_18block_padding_hintE2ELNS0_4arch9wavefront6targetE0EE19radix_bits_per_passE@rel32@hi+12
	v_or_b32_e32 v4, 31, v4
	v_cmp_eq_u32_e64 s3, 0, v16
	v_cmp_gt_i32_e64 s4, 0, v17
	v_lshrrev_b32_e32 v16, 5, v26
	v_add_co_ci_u32_e32 v32, vcc_lo, 0, v39, vcc_lo
	s_load_b32 s15, s[0:1], 0x0
	v_cmp_eq_u32_e32 vcc_lo, 0, v14
	v_cmp_lt_u32_e64 s0, 1, v14
	v_cmp_lt_u32_e64 s1, 3, v14
	;; [unrolled: 1-line block ×3, first 2 shown]
	v_cndmask_b32_e64 v14, v17, v37, s4
	v_cmp_eq_u32_e64 s4, v4, v26
	v_lshlrev_b32_e32 v4, 2, v16
	v_or_b32_e32 v15, v37, v15
	v_cmp_eq_u32_e64 s7, 0, v37
	v_lshlrev_b32_e32 v65, 2, v14
	v_lshlrev_b32_e32 v14, 2, v26
	v_add_co_u32 v33, s9, v12, v4
	v_add_nc_u32_e32 v4, -1, v16
	v_lshlrev_b32_e32 v16, 2, v15
	v_add_co_ci_u32_e64 v34, s9, 0, v13, s9
	v_add_co_u32 v35, s9, v12, v14
	s_delay_alu instid0(VALU_DEP_4) | instskip(SKIP_2) | instid1(VALU_DEP_1)
	v_lshlrev_b64 v[14:15], 2, v[4:5]
	v_and_b32_e32 v17, 7, v37
	v_add_co_u32 v37, s12, v12, v16
	v_add_co_ci_u32_e64 v38, s12, 0, v13, s12
	s_delay_alu instid0(VALU_DEP_4) | instskip(NEXT) | instid1(VALU_DEP_1)
	v_add_co_u32 v48, s12, v12, v14
	v_add_co_ci_u32_e64 v49, s12, v13, v15, s12
	v_add_co_ci_u32_e64 v36, s9, 0, v13, s9
	v_add_co_u32 v50, s12, v37, v16
	v_cmp_eq_u32_e64 s9, 0, v17
	v_cmp_lt_u32_e64 s10, 1, v17
	v_cmp_lt_u32_e64 s11, 3, v17
	v_mov_b32_e32 v14, s16
	v_lshrrev_b32_e32 v64, 5, v27
	v_cmp_gt_u32_e64 s5, 8, v26
	v_cmp_lt_u32_e64 s6, 31, v26
	v_cmp_eq_u32_e64 s8, 0, v26
	v_add_co_ci_u32_e64 v51, s12, 0, v38, s12
	v_sub_nc_u32_e32 v66, v11, v10
	v_dual_mov_b32 v15, s17 :: v_dual_mov_b32 v16, s18
	v_mov_b32_e32 v17, s19
	s_waitcnt vmcnt(0) lgkmcnt(0)
	s_waitcnt_vscnt null, 0x0
	s_barrier
	buffer_gl0_inv
	s_branch .LBB607_359
.LBB607_358:                            ;   in Loop: Header=BB607_359 Depth=1
	s_or_b32 exec_lo, exec_lo, s13
	s_delay_alu instid0(SALU_CYCLE_1) | instskip(NEXT) | instid1(SALU_CYCLE_1)
	s_and_b32 s12, exec_lo, s14
	s_or_b32 s16, s12, s16
	s_delay_alu instid0(SALU_CYCLE_1)
	s_and_not1_b32 exec_lo, exec_lo, s16
	s_cbranch_execz .LBB607_369
.LBB607_359:                            ; =>This Inner Loop Header: Depth=1
	v_mov_b32_e32 v67, v24
	v_min_u32_e32 v4, s15, v66
	s_clause 0x1
	flat_store_b128 v[8:9], v[14:17] offset:32
	flat_store_b128 v[31:32], v[14:17] offset:16
	s_waitcnt lgkmcnt(0)
	s_waitcnt_vscnt null, 0x0
	s_barrier
	v_lshrrev_b32_e32 v20, v10, v67
	buffer_gl0_inv
	; wave barrier
	v_bfe_u32 v4, v20, 0, v4
	s_delay_alu instid0(VALU_DEP_1)
	v_and_b32_e32 v20, 1, v4
	v_lshlrev_b32_e32 v21, 30, v4
	v_lshlrev_b32_e32 v22, 29, v4
	;; [unrolled: 1-line block ×4, first 2 shown]
	v_add_co_u32 v20, s12, v20, -1
	s_delay_alu instid0(VALU_DEP_1)
	v_cndmask_b32_e64 v24, 0, 1, s12
	v_not_b32_e32 v54, v21
	v_cmp_gt_i32_e64 s13, 0, v21
	v_not_b32_e32 v21, v22
	v_lshlrev_b32_e32 v52, 26, v4
	v_cmp_ne_u32_e64 s12, 0, v24
	v_ashrrev_i32_e32 v54, 31, v54
	v_lshlrev_b32_e32 v53, 25, v4
	v_ashrrev_i32_e32 v21, 31, v21
	v_lshlrev_b32_e32 v24, 24, v4
	v_xor_b32_e32 v20, s12, v20
	v_cmp_gt_i32_e64 s12, 0, v22
	v_not_b32_e32 v22, v23
	v_xor_b32_e32 v54, s13, v54
	v_cmp_gt_i32_e64 s13, 0, v23
	v_and_b32_e32 v20, exec_lo, v20
	v_not_b32_e32 v23, v25
	v_ashrrev_i32_e32 v22, 31, v22
	v_xor_b32_e32 v21, s12, v21
	v_cmp_gt_i32_e64 s12, 0, v25
	v_and_b32_e32 v20, v20, v54
	v_not_b32_e32 v25, v52
	v_ashrrev_i32_e32 v23, 31, v23
	v_xor_b32_e32 v22, s13, v22
	v_cmp_gt_i32_e64 s13, 0, v52
	v_and_b32_e32 v20, v20, v21
	v_not_b32_e32 v21, v53
	v_ashrrev_i32_e32 v25, 31, v25
	v_xor_b32_e32 v23, s12, v23
	v_cmp_gt_i32_e64 s12, 0, v53
	v_dual_mov_b32 v53, v19 :: v_dual_and_b32 v20, v20, v22
	v_not_b32_e32 v22, v24
	v_ashrrev_i32_e32 v21, 31, v21
	v_xor_b32_e32 v25, s13, v25
	v_cmp_gt_i32_e64 s13, 0, v24
	v_and_b32_e32 v20, v20, v23
	v_ashrrev_i32_e32 v22, 31, v22
	v_xor_b32_e32 v21, s12, v21
	v_lshl_add_u32 v4, v4, 3, v64
	v_mov_b32_e32 v52, v18
	v_and_b32_e32 v20, v20, v25
	v_xor_b32_e32 v22, s13, v22
	s_delay_alu instid0(VALU_DEP_4) | instskip(NEXT) | instid1(VALU_DEP_3)
	v_lshlrev_b64 v[18:19], 2, v[4:5]
	v_and_b32_e32 v20, v20, v21
	s_delay_alu instid0(VALU_DEP_2) | instskip(NEXT) | instid1(VALU_DEP_2)
	v_add_co_u32 v54, s14, v28, v18
	v_and_b32_e32 v20, v20, v22
	s_delay_alu instid0(VALU_DEP_4) | instskip(NEXT) | instid1(VALU_DEP_2)
	v_add_co_ci_u32_e64 v55, s14, v39, v19, s14
	v_mbcnt_lo_u32_b32 v68, v20, 0
	v_cmp_ne_u32_e64 s12, 0, v20
	s_delay_alu instid0(VALU_DEP_2) | instskip(NEXT) | instid1(VALU_DEP_1)
	v_cmp_eq_u32_e64 s13, 0, v68
	s_and_b32 s13, s12, s13
	s_delay_alu instid0(SALU_CYCLE_1)
	s_and_saveexec_b32 s12, s13
	s_cbranch_execz .LBB607_361
; %bb.360:                              ;   in Loop: Header=BB607_359 Depth=1
	v_bcnt_u32_b32 v4, v20, 0
	flat_store_b32 v[54:55], v4
.LBB607_361:                            ;   in Loop: Header=BB607_359 Depth=1
	s_or_b32 exec_lo, exec_lo, s12
	; wave barrier
	s_waitcnt lgkmcnt(0)
	s_waitcnt_vscnt null, 0x0
	s_barrier
	buffer_gl0_inv
	s_clause 0x1
	flat_load_b128 v[22:25], v[8:9] offset:32
	flat_load_b128 v[18:21], v[31:32] offset:16
	s_waitcnt vmcnt(1) lgkmcnt(1)
	v_add_nc_u32_e32 v4, v23, v22
	s_delay_alu instid0(VALU_DEP_1) | instskip(SKIP_1) | instid1(VALU_DEP_1)
	v_add3_u32 v4, v4, v24, v25
	s_waitcnt vmcnt(0) lgkmcnt(0)
	v_add3_u32 v4, v4, v18, v19
	s_delay_alu instid0(VALU_DEP_1) | instskip(NEXT) | instid1(VALU_DEP_1)
	v_add3_u32 v4, v4, v20, v21
	v_mov_b32_dpp v21, v4 row_shr:1 row_mask:0xf bank_mask:0xf
	s_delay_alu instid0(VALU_DEP_1) | instskip(NEXT) | instid1(VALU_DEP_1)
	v_cndmask_b32_e64 v21, v21, 0, vcc_lo
	v_add_nc_u32_e32 v4, v21, v4
	s_delay_alu instid0(VALU_DEP_1) | instskip(NEXT) | instid1(VALU_DEP_1)
	v_mov_b32_dpp v21, v4 row_shr:2 row_mask:0xf bank_mask:0xf
	v_cndmask_b32_e64 v21, 0, v21, s0
	s_delay_alu instid0(VALU_DEP_1) | instskip(NEXT) | instid1(VALU_DEP_1)
	v_add_nc_u32_e32 v4, v4, v21
	v_mov_b32_dpp v21, v4 row_shr:4 row_mask:0xf bank_mask:0xf
	s_delay_alu instid0(VALU_DEP_1) | instskip(NEXT) | instid1(VALU_DEP_1)
	v_cndmask_b32_e64 v21, 0, v21, s1
	v_add_nc_u32_e32 v4, v4, v21
	s_delay_alu instid0(VALU_DEP_1) | instskip(NEXT) | instid1(VALU_DEP_1)
	v_mov_b32_dpp v21, v4 row_shr:8 row_mask:0xf bank_mask:0xf
	v_cndmask_b32_e64 v21, 0, v21, s2
	s_delay_alu instid0(VALU_DEP_1) | instskip(SKIP_3) | instid1(VALU_DEP_1)
	v_add_nc_u32_e32 v4, v4, v21
	ds_swizzle_b32 v21, v4 offset:swizzle(BROADCAST,32,15)
	s_waitcnt lgkmcnt(0)
	v_cndmask_b32_e64 v21, v21, 0, s3
	v_add_nc_u32_e32 v4, v4, v21
	s_and_saveexec_b32 s12, s4
	s_cbranch_execz .LBB607_363
; %bb.362:                              ;   in Loop: Header=BB607_359 Depth=1
	flat_store_b32 v[33:34], v4
.LBB607_363:                            ;   in Loop: Header=BB607_359 Depth=1
	s_or_b32 exec_lo, exec_lo, s12
	s_waitcnt lgkmcnt(0)
	s_waitcnt_vscnt null, 0x0
	s_barrier
	buffer_gl0_inv
	s_and_saveexec_b32 s12, s5
	s_cbranch_execz .LBB607_365
; %bb.364:                              ;   in Loop: Header=BB607_359 Depth=1
	flat_load_b32 v21, v[35:36]
	s_waitcnt vmcnt(0) lgkmcnt(0)
	v_mov_b32_dpp v69, v21 row_shr:1 row_mask:0xf bank_mask:0xf
	s_delay_alu instid0(VALU_DEP_1) | instskip(NEXT) | instid1(VALU_DEP_1)
	v_cndmask_b32_e64 v69, v69, 0, s9
	v_add_nc_u32_e32 v21, v69, v21
	s_delay_alu instid0(VALU_DEP_1) | instskip(NEXT) | instid1(VALU_DEP_1)
	v_mov_b32_dpp v69, v21 row_shr:2 row_mask:0xf bank_mask:0xf
	v_cndmask_b32_e64 v69, 0, v69, s10
	s_delay_alu instid0(VALU_DEP_1) | instskip(NEXT) | instid1(VALU_DEP_1)
	v_add_nc_u32_e32 v21, v21, v69
	v_mov_b32_dpp v69, v21 row_shr:4 row_mask:0xf bank_mask:0xf
	s_delay_alu instid0(VALU_DEP_1) | instskip(NEXT) | instid1(VALU_DEP_1)
	v_cndmask_b32_e64 v69, 0, v69, s11
	v_add_nc_u32_e32 v21, v21, v69
	flat_store_b32 v[35:36], v21
.LBB607_365:                            ;   in Loop: Header=BB607_359 Depth=1
	s_or_b32 exec_lo, exec_lo, s12
	v_mov_b32_e32 v21, 0
	s_waitcnt lgkmcnt(0)
	s_waitcnt_vscnt null, 0x0
	s_barrier
	buffer_gl0_inv
	s_and_saveexec_b32 s12, s6
	s_cbranch_execz .LBB607_367
; %bb.366:                              ;   in Loop: Header=BB607_359 Depth=1
	flat_load_b32 v21, v[48:49]
.LBB607_367:                            ;   in Loop: Header=BB607_359 Depth=1
	s_or_b32 exec_lo, exec_lo, s12
	s_waitcnt vmcnt(0) lgkmcnt(0)
	v_add_nc_u32_e32 v4, v21, v4
	v_add_nc_u32_e32 v10, 8, v10
	s_mov_b32 s14, -1
	ds_bpermute_b32 v4, v65, v4
	s_waitcnt lgkmcnt(0)
	v_cndmask_b32_e64 v4, v4, v21, s7
	s_delay_alu instid0(VALU_DEP_1) | instskip(NEXT) | instid1(VALU_DEP_1)
	v_cndmask_b32_e64 v21, v4, 0, s8
	v_add_nc_u32_e32 v22, v21, v22
	s_delay_alu instid0(VALU_DEP_1) | instskip(NEXT) | instid1(VALU_DEP_1)
	v_add_nc_u32_e32 v23, v22, v23
	v_add_nc_u32_e32 v24, v23, v24
	s_delay_alu instid0(VALU_DEP_1) | instskip(NEXT) | instid1(VALU_DEP_1)
	v_add_nc_u32_e32 v80, v24, v25
	v_add_nc_u32_e32 v81, v80, v18
	s_delay_alu instid0(VALU_DEP_1) | instskip(NEXT) | instid1(VALU_DEP_1)
	v_add_nc_u32_e32 v82, v81, v19
	v_add_nc_u32_e32 v83, v82, v20
	s_clause 0x1
	flat_store_b128 v[8:9], v[21:24] offset:32
	flat_store_b128 v[31:32], v[80:83] offset:16
	s_waitcnt lgkmcnt(0)
	s_waitcnt_vscnt null, 0x0
	s_barrier
	buffer_gl0_inv
	flat_load_b32 v4, v[54:55]
	s_waitcnt vmcnt(0) lgkmcnt(0)
	s_waitcnt_vscnt null, 0x0
                                        ; implicit-def: $vgpr24
	s_waitcnt vmcnt(0) lgkmcnt(0)
	v_add_nc_u32_e32 v4, v4, v68
	s_delay_alu instid0(VALU_DEP_1) | instskip(NEXT) | instid1(VALU_DEP_1)
	v_lshlrev_b64 v[18:19], 2, v[4:5]
	v_add_co_u32 v22, s12, v12, v18
	s_delay_alu instid0(VALU_DEP_1) | instskip(NEXT) | instid1(VALU_DEP_2)
	v_add_co_ci_u32_e64 v23, s12, v13, v19, s12
	v_add_co_u32 v20, s13, v22, v18
	s_delay_alu instid0(VALU_DEP_1)
	v_add_co_ci_u32_e64 v21, s13, v23, v19, s13
	s_mov_b32 s13, exec_lo
                                        ; implicit-def: $vgpr18_vgpr19
	v_cmpx_lt_u32_e64 v10, v11
	s_cbranch_execz .LBB607_358
; %bb.368:                              ;   in Loop: Header=BB607_359 Depth=1
	s_barrier
	buffer_gl0_inv
	flat_store_b32 v[22:23], v67
	s_waitcnt lgkmcnt(0)
	s_waitcnt_vscnt null, 0x0
	s_barrier
	buffer_gl0_inv
	flat_load_b32 v24, v[37:38]
	s_waitcnt vmcnt(0) lgkmcnt(0)
	s_barrier
	buffer_gl0_inv
	flat_store_b64 v[20:21], v[52:53]
	s_waitcnt lgkmcnt(0)
	s_waitcnt_vscnt null, 0x0
	s_barrier
	buffer_gl0_inv
	flat_load_b64 v[18:19], v[50:51]
	v_add_nc_u32_e32 v66, -8, v66
	s_xor_b32 s14, exec_lo, -1
	s_waitcnt vmcnt(0) lgkmcnt(0)
	s_barrier
	buffer_gl0_inv
	s_branch .LBB607_358
.LBB607_369:
	s_or_b32 exec_lo, exec_lo, s16
	v_lshlrev_b32_e32 v4, 3, v26
	s_barrier
	buffer_gl0_inv
	flat_store_b32 v[22:23], v67
	s_waitcnt lgkmcnt(0)
	s_waitcnt_vscnt null, 0x0
	v_add_co_u32 v4, vcc_lo, v12, v4
	v_add_co_ci_u32_e32 v5, vcc_lo, 0, v13, vcc_lo
	s_barrier
	buffer_gl0_inv
	flat_load_b32 v8, v[35:36]
	s_waitcnt vmcnt(0) lgkmcnt(0)
	s_barrier
	buffer_gl0_inv
	flat_store_b64 v[20:21], v[52:53]
	s_waitcnt lgkmcnt(0)
	s_waitcnt_vscnt null, 0x0
	s_barrier
	buffer_gl0_inv
	flat_load_b64 v[4:5], v[4:5]
	v_mov_b32_e32 v28, 0
	s_mov_b32 s0, exec_lo
	s_waitcnt vmcnt(0) lgkmcnt(0)
	s_barrier
	buffer_gl0_inv
	v_cmpx_lt_u32_e64 v27, v47
	s_cbranch_execz .LBB607_371
; %bb.370:
	v_lshlrev_b64 v[9:10], 2, v[27:28]
	v_add_co_u32 v2, vcc_lo, v2, v29
	v_add_co_ci_u32_e32 v3, vcc_lo, v3, v30, vcc_lo
	s_delay_alu instid0(VALU_DEP_2) | instskip(NEXT) | instid1(VALU_DEP_2)
	v_add_co_u32 v2, vcc_lo, v2, v9
	v_add_co_ci_u32_e32 v3, vcc_lo, v3, v10, vcc_lo
	v_lshlrev_b64 v[9:10], 3, v[27:28]
	v_add_co_u32 v0, vcc_lo, v6, v0
	v_add_co_ci_u32_e32 v1, vcc_lo, v7, v1, vcc_lo
	v_xor_b32_e32 v6, 0x80000000, v8
	s_delay_alu instid0(VALU_DEP_3) | instskip(NEXT) | instid1(VALU_DEP_3)
	v_add_co_u32 v0, vcc_lo, v0, v9
	v_add_co_ci_u32_e32 v1, vcc_lo, v1, v10, vcc_lo
	flat_store_b32 v[2:3], v6
	flat_store_b64 v[0:1], v[4:5]
.LBB607_371:
	s_or_b32 exec_lo, exec_lo, s0
.LBB607_372:
	s_delay_alu instid0(SALU_CYCLE_1)
	s_or_b32 exec_lo, exec_lo, s24
	s_clause 0x1f
	scratch_load_b32 v205, off, s32
	scratch_load_b32 v204, off, s32 offset:4
	scratch_load_b32 v203, off, s32 offset:8
	scratch_load_b32 v202, off, s32 offset:12
	scratch_load_b32 v201, off, s32 offset:16
	scratch_load_b32 v200, off, s32 offset:20
	scratch_load_b32 v191, off, s32 offset:24
	scratch_load_b32 v190, off, s32 offset:28
	scratch_load_b32 v189, off, s32 offset:32
	scratch_load_b32 v188, off, s32 offset:36
	scratch_load_b32 v187, off, s32 offset:40
	scratch_load_b32 v186, off, s32 offset:44
	scratch_load_b32 v185, off, s32 offset:48
	scratch_load_b32 v184, off, s32 offset:52
	scratch_load_b32 v175, off, s32 offset:56
	scratch_load_b32 v174, off, s32 offset:60
	scratch_load_b32 v173, off, s32 offset:64
	scratch_load_b32 v172, off, s32 offset:68
	scratch_load_b32 v171, off, s32 offset:72
	scratch_load_b32 v170, off, s32 offset:76
	scratch_load_b32 v169, off, s32 offset:80
	scratch_load_b32 v168, off, s32 offset:84
	scratch_load_b32 v159, off, s32 offset:88
	scratch_load_b32 v158, off, s32 offset:92
	scratch_load_b32 v157, off, s32 offset:96
	scratch_load_b32 v156, off, s32 offset:100
	scratch_load_b32 v155, off, s32 offset:104
	scratch_load_b32 v154, off, s32 offset:108
	scratch_load_b32 v153, off, s32 offset:112
	scratch_load_b32 v152, off, s32 offset:116
	scratch_load_b32 v143, off, s32 offset:120
	scratch_load_b32 v142, off, s32 offset:124
	s_clause 0x1f
	scratch_load_b32 v141, off, s32 offset:128
	scratch_load_b32 v140, off, s32 offset:132
	;; [unrolled: 1-line block ×32, first 2 shown]
	s_clause 0x15
	scratch_load_b32 v77, off, s32 offset:256
	scratch_load_b32 v76, off, s32 offset:260
	;; [unrolled: 1-line block ×22, first 2 shown]
	v_readlane_b32 s43, v206, 7
	v_readlane_b32 s42, v206, 6
	;; [unrolled: 1-line block ×8, first 2 shown]
	s_or_saveexec_b32 s0, -1
	scratch_load_b32 v206, off, s32 offset:344 ; 4-byte Folded Reload
	s_mov_b32 exec_lo, s0
	s_waitcnt vmcnt(0) lgkmcnt(0)
	s_setpc_b64 s[30:31]
.Lfunc_end607:
	.size	_ZN7rocprim17ROCPRIM_400000_NS6detail40segmented_radix_sort_single_block_helperIilLj256ELj16ELb0EE4sortIPKiPiPKlPlEEbT_T0_T1_T2_jjjjRNS3_12storage_typeE, .Lfunc_end607-_ZN7rocprim17ROCPRIM_400000_NS6detail40segmented_radix_sort_single_block_helperIilLj256ELj16ELb0EE4sortIPKiPiPKlPlEEbT_T0_T1_T2_jjjjRNS3_12storage_typeE
                                        ; -- End function
	.section	.AMDGPU.csdata,"",@progbits
; Function info:
; codeLenInByte = 33512
; NumSgprs: 46
; NumVgprs: 248
; ScratchSize: 352
; MemoryBound: 1
	.section	.text._ZN7rocprim17ROCPRIM_400000_NS6detail17trampoline_kernelINS0_14default_configENS1_36segmented_radix_sort_config_selectorIilEEZNS1_25segmented_radix_sort_implIS3_Lb0EPKiPiPKlPlN2at6native12_GLOBAL__N_18offset_tEEE10hipError_tPvRmT1_PNSt15iterator_traitsISK_E10value_typeET2_T3_PNSL_ISQ_E10value_typeET4_jRbjT5_SW_jjP12ihipStream_tbEUlT_E_NS1_11comp_targetILNS1_3genE9ELNS1_11target_archE1100ELNS1_3gpuE3ELNS1_3repE0EEENS1_30default_config_static_selectorELNS0_4arch9wavefront6targetE0EEEvSK_,"axG",@progbits,_ZN7rocprim17ROCPRIM_400000_NS6detail17trampoline_kernelINS0_14default_configENS1_36segmented_radix_sort_config_selectorIilEEZNS1_25segmented_radix_sort_implIS3_Lb0EPKiPiPKlPlN2at6native12_GLOBAL__N_18offset_tEEE10hipError_tPvRmT1_PNSt15iterator_traitsISK_E10value_typeET2_T3_PNSL_ISQ_E10value_typeET4_jRbjT5_SW_jjP12ihipStream_tbEUlT_E_NS1_11comp_targetILNS1_3genE9ELNS1_11target_archE1100ELNS1_3gpuE3ELNS1_3repE0EEENS1_30default_config_static_selectorELNS0_4arch9wavefront6targetE0EEEvSK_,comdat
	.globl	_ZN7rocprim17ROCPRIM_400000_NS6detail17trampoline_kernelINS0_14default_configENS1_36segmented_radix_sort_config_selectorIilEEZNS1_25segmented_radix_sort_implIS3_Lb0EPKiPiPKlPlN2at6native12_GLOBAL__N_18offset_tEEE10hipError_tPvRmT1_PNSt15iterator_traitsISK_E10value_typeET2_T3_PNSL_ISQ_E10value_typeET4_jRbjT5_SW_jjP12ihipStream_tbEUlT_E_NS1_11comp_targetILNS1_3genE9ELNS1_11target_archE1100ELNS1_3gpuE3ELNS1_3repE0EEENS1_30default_config_static_selectorELNS0_4arch9wavefront6targetE0EEEvSK_ ; -- Begin function _ZN7rocprim17ROCPRIM_400000_NS6detail17trampoline_kernelINS0_14default_configENS1_36segmented_radix_sort_config_selectorIilEEZNS1_25segmented_radix_sort_implIS3_Lb0EPKiPiPKlPlN2at6native12_GLOBAL__N_18offset_tEEE10hipError_tPvRmT1_PNSt15iterator_traitsISK_E10value_typeET2_T3_PNSL_ISQ_E10value_typeET4_jRbjT5_SW_jjP12ihipStream_tbEUlT_E_NS1_11comp_targetILNS1_3genE9ELNS1_11target_archE1100ELNS1_3gpuE3ELNS1_3repE0EEENS1_30default_config_static_selectorELNS0_4arch9wavefront6targetE0EEEvSK_
	.p2align	8
	.type	_ZN7rocprim17ROCPRIM_400000_NS6detail17trampoline_kernelINS0_14default_configENS1_36segmented_radix_sort_config_selectorIilEEZNS1_25segmented_radix_sort_implIS3_Lb0EPKiPiPKlPlN2at6native12_GLOBAL__N_18offset_tEEE10hipError_tPvRmT1_PNSt15iterator_traitsISK_E10value_typeET2_T3_PNSL_ISQ_E10value_typeET4_jRbjT5_SW_jjP12ihipStream_tbEUlT_E_NS1_11comp_targetILNS1_3genE9ELNS1_11target_archE1100ELNS1_3gpuE3ELNS1_3repE0EEENS1_30default_config_static_selectorELNS0_4arch9wavefront6targetE0EEEvSK_,@function
_ZN7rocprim17ROCPRIM_400000_NS6detail17trampoline_kernelINS0_14default_configENS1_36segmented_radix_sort_config_selectorIilEEZNS1_25segmented_radix_sort_implIS3_Lb0EPKiPiPKlPlN2at6native12_GLOBAL__N_18offset_tEEE10hipError_tPvRmT1_PNSt15iterator_traitsISK_E10value_typeET2_T3_PNSL_ISQ_E10value_typeET4_jRbjT5_SW_jjP12ihipStream_tbEUlT_E_NS1_11comp_targetILNS1_3genE9ELNS1_11target_archE1100ELNS1_3gpuE3ELNS1_3repE0EEENS1_30default_config_static_selectorELNS0_4arch9wavefront6targetE0EEEvSK_: ; @_ZN7rocprim17ROCPRIM_400000_NS6detail17trampoline_kernelINS0_14default_configENS1_36segmented_radix_sort_config_selectorIilEEZNS1_25segmented_radix_sort_implIS3_Lb0EPKiPiPKlPlN2at6native12_GLOBAL__N_18offset_tEEE10hipError_tPvRmT1_PNSt15iterator_traitsISK_E10value_typeET2_T3_PNSL_ISQ_E10value_typeET4_jRbjT5_SW_jjP12ihipStream_tbEUlT_E_NS1_11comp_targetILNS1_3genE9ELNS1_11target_archE1100ELNS1_3gpuE3ELNS1_3repE0EEENS1_30default_config_static_selectorELNS0_4arch9wavefront6targetE0EEEvSK_
; %bb.0:
	s_clause 0x1
	s_load_b64 s[2:3], s[0:1], 0x38
	s_load_b128 s[4:7], s[0:1], 0x40
	s_mov_b32 s26, s14
	s_mov_b32 s27, 0
	;; [unrolled: 1-line block ×3, first 2 shown]
	s_lshl_b64 s[8:9], s[26:27], 2
	s_waitcnt lgkmcnt(0)
	s_add_u32 s2, s2, s8
	s_addc_u32 s3, s3, s9
	s_load_b32 s2, s[2:3], 0x0
	s_waitcnt lgkmcnt(0)
	s_add_i32 s60, s2, s5
	s_add_i32 s61, s2, s7
	s_mul_i32 s60, s60, s4
	s_mul_i32 s61, s61, s6
	s_delay_alu instid0(SALU_CYCLE_1)
	s_cmp_le_u32 s61, s60
	s_cbranch_scc1 .LBB608_1190
; %bb.1:
	s_clause 0x3
	s_load_b32 s2, s[0:1], 0x30
	s_load_b128 s[52:55], s[0:1], 0x20
	s_load_b128 s[56:59], s[0:1], 0x50
	s_load_b256 s[44:51], s[0:1], 0x0
	s_waitcnt lgkmcnt(0)
	s_bitcmp1_b32 s2, 0
	s_mov_b32 s2, -1
	s_cselect_b32 s59, -1, 0
	s_sub_i32 s62, s61, s60
	s_delay_alu instid0(SALU_CYCLE_1)
	s_cmpk_lt_u32 s62, 0x1001
	s_cbranch_scc0 .LBB608_7
; %bb.2:
	v_cndmask_b32_e64 v1, 0, 1, s59
	s_and_b32 s2, s56, 1
	s_delay_alu instid0(VALU_DEP_1) | instid1(SALU_CYCLE_1)
	v_cmp_ne_u32_e32 vcc_lo, s2, v1
	s_mov_b32 s2, -1
	s_cbranch_vccnz .LBB608_4
; %bb.3:
	s_mov_b64 s[2:3], src_shared_base
	v_mov_b32_e32 v31, v0
	v_dual_mov_b32 v40, v0 :: v_dual_mov_b32 v1, s45
	v_mov_b32_e32 v0, s44
	v_dual_mov_b32 v2, s48 :: v_dual_mov_b32 v3, s49
	v_dual_mov_b32 v4, s50 :: v_dual_mov_b32 v5, s51
	;; [unrolled: 1-line block ×6, first 2 shown]
	s_add_u32 s8, s0, 0x60
	s_addc_u32 s9, s1, 0
	s_mov_b32 s12, s26
	s_mov_b32 s13, s15
	s_getpc_b64 s[4:5]
	s_add_u32 s4, s4, _ZN7rocprim17ROCPRIM_400000_NS6detail40segmented_radix_sort_single_block_helperIilLj256ELj16ELb0EE4sortIPKiPiPKlPlEEbT_T0_T1_T2_jjjjRNS3_12storage_typeE@rel32@lo+4
	s_addc_u32 s5, s5, _ZN7rocprim17ROCPRIM_400000_NS6detail40segmented_radix_sort_single_block_helperIilLj256ELj16ELb0EE4sortIPKiPiPKlPlEEbT_T0_T1_T2_jjjjRNS3_12storage_typeE@rel32@hi+12
	s_mov_b64 s[28:29], s[0:1]
	s_mov_b32 s27, s15
	s_swappc_b64 s[30:31], s[4:5]
	v_mov_b32_e32 v0, v40
	s_mov_b32 s15, s27
	s_mov_b64 s[0:1], s[28:29]
	s_mov_b32 s2, 0
.LBB608_4:
	s_delay_alu instid0(SALU_CYCLE_1)
	s_and_not1_b32 vcc_lo, exec_lo, s2
	s_cbranch_vccnz .LBB608_6
; %bb.5:
	s_mov_b64 s[2:3], src_shared_base
	v_mov_b32_e32 v31, v0
	v_dual_mov_b32 v40, v0 :: v_dual_mov_b32 v1, s45
	v_mov_b32_e32 v0, s44
	v_dual_mov_b32 v2, s46 :: v_dual_mov_b32 v3, s47
	v_dual_mov_b32 v4, s50 :: v_dual_mov_b32 v5, s51
	;; [unrolled: 1-line block ×6, first 2 shown]
	s_add_u32 s8, s0, 0x60
	s_addc_u32 s9, s1, 0
	s_mov_b32 s12, s26
	s_mov_b32 s13, s15
	s_getpc_b64 s[4:5]
	s_add_u32 s4, s4, _ZN7rocprim17ROCPRIM_400000_NS6detail40segmented_radix_sort_single_block_helperIilLj256ELj16ELb0EE4sortIPKiPiPKlPlEEbT_T0_T1_T2_jjjjRNS3_12storage_typeE@rel32@lo+4
	s_addc_u32 s5, s5, _ZN7rocprim17ROCPRIM_400000_NS6detail40segmented_radix_sort_single_block_helperIilLj256ELj16ELb0EE4sortIPKiPiPKlPlEEbT_T0_T1_T2_jjjjRNS3_12storage_typeE@rel32@hi+12
	s_mov_b64 s[28:29], s[0:1]
	s_mov_b32 s27, s15
	s_swappc_b64 s[30:31], s[4:5]
	v_mov_b32_e32 v0, v40
	s_mov_b32 s15, s27
	s_mov_b64 s[0:1], s[28:29]
.LBB608_6:
	s_mov_b32 s2, 0
.LBB608_7:
	s_delay_alu instid0(SALU_CYCLE_1)
	s_and_not1_b32 vcc_lo, exec_lo, s2
	s_cbranch_vccnz .LBB608_1190
; %bb.8:
	s_cmp_ge_u32 s57, s58
	s_cbranch_scc1 .LBB608_1190
; %bb.9:
	v_dual_mov_b32 v92, 1 :: v_dual_and_b32 v1, 0x3ff, v0
	v_mov_b32_e32 v3, 0
	v_bfe_u32 v69, v0, 20, 10
	v_bfe_u32 v0, v0, 10, 10
	s_delay_alu instid0(VALU_DEP_4)
	v_lshlrev_b32_e32 v44, 2, v1
	v_lshrrev_b32_e32 v2, 3, v1
	v_or_b32_e32 v4, 31, v1
	v_lshlrev_b32_e32 v5, 5, v1
	v_or_b32_e32 v51, 0x400, v1
	v_or_b32_e32 v52, 0x500, v1
	v_and_b32_e32 v62, 28, v2
	v_lshlrev_b32_e32 v2, 4, v1
	v_cmp_eq_u32_e64 s3, v4, v1
	v_add_nc_u32_e32 v4, 1, v1
	v_sub_nc_u32_e32 v72, 0, v5
	v_or_b32_e32 v53, 0x600, v1
	v_and_b32_e32 v68, 0xe00, v2
	v_mul_u32_u24_e32 v2, 9, v1
	v_or_b32_e32 v54, 0x700, v1
	v_or_b32_e32 v55, 0x800, v1
	;; [unrolled: 1-line block ×3, first 2 shown]
	v_lshlrev_b32_e32 v5, 3, v68
	v_lshl_add_u32 v71, v2, 2, 0x420
	v_mul_u32_u24_e32 v2, 9, v4
	v_or_b32_e32 v57, 0xa00, v1
	v_or_b32_e32 v58, 0xb00, v1
	v_add_co_u32 v74, s8, s54, v5
	s_delay_alu instid0(VALU_DEP_4) | instskip(SKIP_4) | instid1(VALU_DEP_4)
	v_lshlrev_b32_e32 v73, 2, v2
	v_lshlrev_b32_e32 v2, 2, v68
	v_add_co_ci_u32_e64 v75, null, s55, 0, s8
	v_or_b32_e32 v59, 0xc00, v1
	v_or_b32_e32 v60, 0xd00, v1
	v_add_co_u32 v76, s8, s48, v2
	s_delay_alu instid0(VALU_DEP_1) | instskip(SKIP_1) | instid1(VALU_DEP_1)
	v_add_co_ci_u32_e64 v77, null, s49, 0, s8
	v_add_co_u32 v80, s8, s46, v44
	v_add_co_ci_u32_e64 v81, null, s47, 0, s8
	v_add_co_u32 v82, s8, s52, v5
	s_delay_alu instid0(VALU_DEP_1) | instskip(SKIP_1) | instid1(VALU_DEP_1)
	v_add_co_ci_u32_e64 v83, null, s53, 0, s8
	v_add_co_u32 v84, s8, s46, v2
	v_add_co_ci_u32_e64 v85, null, s47, 0, s8
	v_add_co_u32 v86, s8, s44, v44
	v_or_b32_e32 v61, 0xe00, v1
	v_or_b32_e32 v63, 0xf00, v1
	v_mad_u32_u24 v64, v1, 12, v44
	v_add_co_ci_u32_e64 v87, null, s45, 0, s8
	v_add_co_u32 v88, s8, s50, v5
	v_add_co_u32 v49, s2, s48, v44
	v_add_co_ci_u32_e64 v89, null, s51, 0, s8
	v_add_co_u32 v90, s8, s44, v2
	v_or_b32_e32 v45, 0x100, v1
	v_or_b32_e32 v46, 0x200, v1
	;; [unrolled: 1-line block ×3, first 2 shown]
	v_and_b32_e32 v48, 3, v1
	v_add_co_ci_u32_e64 v50, null, s49, 0, s2
	v_cmp_gt_u32_e64 s2, 0x100, v1
	v_or_b32_e32 v65, 0x8400, v62
	v_cmp_gt_u32_e64 s4, 8, v1
	v_add_nc_u32_e32 v66, 0x8400, v44
	v_cmp_lt_u32_e64 s5, 31, v1
	v_add_nc_u32_e32 v67, 0x83fc, v62
	v_mad_u32_u24 v70, v1, 20, v64
	v_cmp_eq_u32_e64 s6, 0, v1
	v_cmp_ne_u32_e64 s7, 0x100, v4
	v_add_nc_u32_e32 v78, 0x400, v44
	v_lshlrev_b32_e32 v79, 3, v1
	v_add_co_ci_u32_e64 v91, null, s45, 0, s8
	v_lshlrev_b32_e32 v93, 2, v1
	v_lshlrev_b32_e32 v94, 2, v51
	;; [unrolled: 1-line block ×13, first 2 shown]
	v_mbcnt_lo_u32_b32 v106, -1, 0
	s_add_u32 s36, s0, 0x60
	s_mov_b32 s35, 0
	s_addc_u32 s37, s1, 0
	s_mov_b32 s38, s57
	s_branch .LBB608_12
.LBB608_10:                             ;   in Loop: Header=BB608_12 Depth=1
	s_waitcnt lgkmcnt(0)
	s_barrier
.LBB608_11:                             ;   in Loop: Header=BB608_12 Depth=1
	s_add_i32 s38, s38, 8
	buffer_gl0_inv
	s_cmp_ge_u32 s38, s58
	s_cbranch_scc1 .LBB608_1190
.LBB608_12:                             ; =>This Loop Header: Depth=1
                                        ;     Child Loop BB608_16 Depth 2
                                        ;     Child Loop BB608_98 Depth 2
	;; [unrolled: 1-line block ×8, first 2 shown]
	s_sub_i32 s0, s58, s38
	s_xor_b32 s59, s59, -1
	s_min_u32 s0, s0, 8
	ds_store_2addr_stride64_b32 v44, v3, v3 offset1:4
	s_lshl_b32 s0, -1, s0
	ds_store_2addr_stride64_b32 v44, v3, v3 offset0:8 offset1:12
	s_not_b32 s39, s0
	s_cmp_lg_u32 s38, s57
	s_mov_b32 s0, -1
	s_waitcnt lgkmcnt(0)
	s_waitcnt_vscnt null, 0x0
	s_cbranch_scc0 .LBB608_602
; %bb.13:                               ;   in Loop: Header=BB608_12 Depth=1
	s_and_b32 vcc_lo, exec_lo, s59
	s_cbranch_vccz .LBB608_307
; %bb.14:                               ;   in Loop: Header=BB608_12 Depth=1
	s_mov_b32 s8, s62
	s_mov_b32 s34, s60
	s_barrier
	buffer_gl0_inv
                                        ; implicit-def: $vgpr20
                                        ; implicit-def: $vgpr2
                                        ; implicit-def: $vgpr6
                                        ; implicit-def: $vgpr7
                                        ; implicit-def: $vgpr8
                                        ; implicit-def: $vgpr9
                                        ; implicit-def: $vgpr10
                                        ; implicit-def: $vgpr11
                                        ; implicit-def: $vgpr12
                                        ; implicit-def: $vgpr13
                                        ; implicit-def: $vgpr14
                                        ; implicit-def: $vgpr15
                                        ; implicit-def: $vgpr16
                                        ; implicit-def: $vgpr17
                                        ; implicit-def: $vgpr18
                                        ; implicit-def: $vgpr19
	s_branch .LBB608_16
.LBB608_15:                             ;   in Loop: Header=BB608_16 Depth=2
	s_or_b32 exec_lo, exec_lo, s0
	s_addk_i32 s8, 0xf000
	s_cmp_ge_u32 s9, s61
	s_mov_b32 s34, s9
	s_cbranch_scc1 .LBB608_86
.LBB608_16:                             ;   Parent Loop BB608_12 Depth=1
                                        ; =>  This Inner Loop Header: Depth=2
	s_add_i32 s9, s34, 0x1000
	s_delay_alu instid0(SALU_CYCLE_1)
	s_cmp_gt_u32 s9, s61
	s_cbranch_scc1 .LBB608_19
; %bb.17:                               ;   in Loop: Header=BB608_16 Depth=2
	s_mov_b32 s1, 0
	s_mov_b32 s0, s34
	s_delay_alu instid0(SALU_CYCLE_1) | instskip(NEXT) | instid1(SALU_CYCLE_1)
	s_lshl_b64 s[10:11], s[0:1], 2
	v_add_co_u32 v4, vcc_lo, v49, s10
	v_add_co_ci_u32_e32 v5, vcc_lo, s11, v50, vcc_lo
	s_movk_i32 s11, 0x1000
	s_waitcnt vmcnt(1)
	s_delay_alu instid0(VALU_DEP_2) | instskip(NEXT) | instid1(VALU_DEP_2)
	v_add_co_u32 v29, vcc_lo, 0x1000, v4
	v_add_co_ci_u32_e32 v30, vcc_lo, 0, v5, vcc_lo
	s_waitcnt vmcnt(0)
	v_add_co_u32 v36, vcc_lo, v4, 0x2000
	v_add_co_ci_u32_e32 v37, vcc_lo, 0, v5, vcc_lo
	v_add_co_u32 v33, vcc_lo, 0x2000, v4
	v_add_co_ci_u32_e32 v34, vcc_lo, 0, v5, vcc_lo
	v_add_co_u32 v38, vcc_lo, 0x3000, v4
	global_load_b32 v26, v[36:37], off
	v_add_co_ci_u32_e32 v39, vcc_lo, 0, v5, vcc_lo
	s_clause 0xd
	global_load_b32 v22, v[4:5], off
	global_load_b32 v23, v[4:5], off offset:1024
	global_load_b32 v24, v[4:5], off offset:2048
	;; [unrolled: 1-line block ×9, first 2 shown]
	global_load_b32 v34, v[38:39], off
	global_load_b32 v35, v[38:39], off offset:1024
	global_load_b32 v29, v[36:37], off offset:-4096
	global_load_b32 v36, v[38:39], off offset:2048
	v_add_co_u32 v4, vcc_lo, 0x3c00, v4
	v_add_co_ci_u32_e32 v5, vcc_lo, 0, v5, vcc_lo
	s_mov_b32 s10, -1
	s_cbranch_execz .LBB608_20
; %bb.18:                               ;   in Loop: Header=BB608_16 Depth=2
                                        ; implicit-def: $vgpr19
                                        ; implicit-def: $vgpr18
                                        ; implicit-def: $vgpr17
                                        ; implicit-def: $vgpr16
                                        ; implicit-def: $vgpr15
                                        ; implicit-def: $vgpr14
                                        ; implicit-def: $vgpr13
                                        ; implicit-def: $vgpr12
                                        ; implicit-def: $vgpr11
                                        ; implicit-def: $vgpr10
                                        ; implicit-def: $vgpr9
                                        ; implicit-def: $vgpr8
                                        ; implicit-def: $vgpr7
                                        ; implicit-def: $vgpr6
                                        ; implicit-def: $vgpr2
                                        ; implicit-def: $vgpr20
	v_mov_b32_e32 v21, s8
	s_and_saveexec_b32 s0, s10
	s_cbranch_execnz .LBB608_39
	s_branch .LBB608_40
.LBB608_19:                             ;   in Loop: Header=BB608_16 Depth=2
	s_mov_b32 s10, 0
                                        ; implicit-def: $sgpr11
                                        ; implicit-def: $vgpr22
                                        ; implicit-def: $vgpr23
                                        ; implicit-def: $vgpr24
                                        ; implicit-def: $vgpr25
                                        ; implicit-def: $vgpr29
                                        ; implicit-def: $vgpr27
                                        ; implicit-def: $vgpr28
                                        ; implicit-def: $vgpr30
                                        ; implicit-def: $vgpr26
                                        ; implicit-def: $vgpr31
                                        ; implicit-def: $vgpr32
                                        ; implicit-def: $vgpr33
                                        ; implicit-def: $vgpr34
                                        ; implicit-def: $vgpr35
                                        ; implicit-def: $vgpr36
                                        ; implicit-def: $vgpr4_vgpr5
.LBB608_20:                             ;   in Loop: Header=BB608_16 Depth=2
	s_lshl_b64 s[0:1], s[34:35], 2
	s_mov_b32 s11, exec_lo
	s_add_u32 s0, s48, s0
	s_addc_u32 s1, s49, s1
	v_cmpx_gt_u32_e64 s8, v1
	s_cbranch_execz .LBB608_72
; %bb.21:                               ;   in Loop: Header=BB608_16 Depth=2
	global_load_b32 v19, v93, s[0:1]
	s_or_b32 exec_lo, exec_lo, s11
	s_delay_alu instid0(SALU_CYCLE_1)
	s_mov_b32 s11, exec_lo
	v_cmpx_gt_u32_e64 s8, v45
	s_cbranch_execnz .LBB608_73
.LBB608_22:                             ;   in Loop: Header=BB608_16 Depth=2
	s_or_b32 exec_lo, exec_lo, s11
	s_delay_alu instid0(SALU_CYCLE_1)
	s_mov_b32 s11, exec_lo
	v_cmpx_gt_u32_e64 s8, v46
	s_cbranch_execz .LBB608_74
.LBB608_23:                             ;   in Loop: Header=BB608_16 Depth=2
	global_load_b32 v17, v93, s[0:1] offset:2048
	s_or_b32 exec_lo, exec_lo, s11
	s_delay_alu instid0(SALU_CYCLE_1)
	s_mov_b32 s11, exec_lo
	v_cmpx_gt_u32_e64 s8, v47
	s_cbranch_execnz .LBB608_75
.LBB608_24:                             ;   in Loop: Header=BB608_16 Depth=2
	s_or_b32 exec_lo, exec_lo, s11
	s_delay_alu instid0(SALU_CYCLE_1)
	s_mov_b32 s11, exec_lo
	v_cmpx_gt_u32_e64 s8, v51
	s_cbranch_execz .LBB608_76
.LBB608_25:                             ;   in Loop: Header=BB608_16 Depth=2
	global_load_b32 v15, v94, s[0:1]
	s_or_b32 exec_lo, exec_lo, s11
	s_delay_alu instid0(SALU_CYCLE_1)
	s_mov_b32 s11, exec_lo
	v_cmpx_gt_u32_e64 s8, v52
	s_cbranch_execnz .LBB608_77
.LBB608_26:                             ;   in Loop: Header=BB608_16 Depth=2
	s_or_b32 exec_lo, exec_lo, s11
	s_delay_alu instid0(SALU_CYCLE_1)
	s_mov_b32 s11, exec_lo
	v_cmpx_gt_u32_e64 s8, v53
	s_cbranch_execz .LBB608_78
.LBB608_27:                             ;   in Loop: Header=BB608_16 Depth=2
	global_load_b32 v13, v96, s[0:1]
	s_or_b32 exec_lo, exec_lo, s11
	s_delay_alu instid0(SALU_CYCLE_1)
	s_mov_b32 s11, exec_lo
	v_cmpx_gt_u32_e64 s8, v54
	s_cbranch_execnz .LBB608_79
.LBB608_28:                             ;   in Loop: Header=BB608_16 Depth=2
	s_or_b32 exec_lo, exec_lo, s11
	s_delay_alu instid0(SALU_CYCLE_1)
	s_mov_b32 s11, exec_lo
	v_cmpx_gt_u32_e64 s8, v55
	s_cbranch_execz .LBB608_80
.LBB608_29:                             ;   in Loop: Header=BB608_16 Depth=2
	global_load_b32 v11, v98, s[0:1]
	s_or_b32 exec_lo, exec_lo, s11
	s_delay_alu instid0(SALU_CYCLE_1)
	s_mov_b32 s11, exec_lo
	v_cmpx_gt_u32_e64 s8, v56
	s_cbranch_execnz .LBB608_81
.LBB608_30:                             ;   in Loop: Header=BB608_16 Depth=2
	s_or_b32 exec_lo, exec_lo, s11
	s_delay_alu instid0(SALU_CYCLE_1)
	s_mov_b32 s11, exec_lo
	v_cmpx_gt_u32_e64 s8, v57
	s_cbranch_execz .LBB608_82
.LBB608_31:                             ;   in Loop: Header=BB608_16 Depth=2
	global_load_b32 v9, v100, s[0:1]
	s_or_b32 exec_lo, exec_lo, s11
	s_delay_alu instid0(SALU_CYCLE_1)
	s_mov_b32 s11, exec_lo
	v_cmpx_gt_u32_e64 s8, v58
	s_cbranch_execnz .LBB608_83
.LBB608_32:                             ;   in Loop: Header=BB608_16 Depth=2
	s_or_b32 exec_lo, exec_lo, s11
	s_delay_alu instid0(SALU_CYCLE_1)
	s_mov_b32 s11, exec_lo
	v_cmpx_gt_u32_e64 s8, v59
	s_cbranch_execz .LBB608_84
.LBB608_33:                             ;   in Loop: Header=BB608_16 Depth=2
	global_load_b32 v7, v102, s[0:1]
	s_or_b32 exec_lo, exec_lo, s11
	s_delay_alu instid0(SALU_CYCLE_1)
	s_mov_b32 s11, exec_lo
	v_cmpx_gt_u32_e64 s8, v60
	s_cbranch_execnz .LBB608_85
.LBB608_34:                             ;   in Loop: Header=BB608_16 Depth=2
	s_or_b32 exec_lo, exec_lo, s11
	s_delay_alu instid0(SALU_CYCLE_1)
	s_mov_b32 s11, exec_lo
	v_cmpx_gt_u32_e64 s8, v61
	s_cbranch_execz .LBB608_36
.LBB608_35:                             ;   in Loop: Header=BB608_16 Depth=2
	global_load_b32 v2, v104, s[0:1]
.LBB608_36:                             ;   in Loop: Header=BB608_16 Depth=2
	s_or_b32 exec_lo, exec_lo, s11
	s_delay_alu instid0(SALU_CYCLE_1)
	s_mov_b32 s12, exec_lo
                                        ; implicit-def: $sgpr11
                                        ; implicit-def: $vgpr4_vgpr5
	v_cmpx_gt_u32_e64 s8, v63
; %bb.37:                               ;   in Loop: Header=BB608_16 Depth=2
	v_add_co_u32 v4, s0, s0, v105
	s_delay_alu instid0(VALU_DEP_1)
	v_add_co_ci_u32_e64 v5, null, s1, 0, s0
	s_sub_i32 s11, s61, s34
	s_or_b32 s10, s10, exec_lo
                                        ; implicit-def: $vgpr20
; %bb.38:                               ;   in Loop: Header=BB608_16 Depth=2
	s_or_b32 exec_lo, exec_lo, s12
	s_waitcnt vmcnt(0)
	v_dual_mov_b32 v22, v19 :: v_dual_mov_b32 v23, v18
	v_dual_mov_b32 v24, v17 :: v_dual_mov_b32 v25, v16
	;; [unrolled: 1-line block ×8, first 2 shown]
	s_and_saveexec_b32 s0, s10
	s_cbranch_execz .LBB608_40
.LBB608_39:                             ;   in Loop: Header=BB608_16 Depth=2
	global_load_b32 v20, v[4:5], off
	s_waitcnt vmcnt(1)
	v_dual_mov_b32 v21, s11 :: v_dual_mov_b32 v2, v36
	v_dual_mov_b32 v6, v35 :: v_dual_mov_b32 v7, v34
	;; [unrolled: 1-line block ×8, first 2 shown]
.LBB608_40:                             ;   in Loop: Header=BB608_16 Depth=2
	s_or_b32 exec_lo, exec_lo, s0
	s_delay_alu instid0(SALU_CYCLE_1)
	s_mov_b32 s0, exec_lo
	v_cmpx_lt_u32_e64 v1, v21
	s_cbranch_execz .LBB608_56
; %bb.41:                               ;   in Loop: Header=BB608_16 Depth=2
	v_xor_b32_e32 v4, 0x80000000, v19
	v_lshlrev_b32_e32 v5, 2, v48
	s_delay_alu instid0(VALU_DEP_2) | instskip(NEXT) | instid1(VALU_DEP_1)
	v_lshrrev_b32_e32 v4, s38, v4
	v_and_b32_e32 v4, s39, v4
	s_delay_alu instid0(VALU_DEP_1) | instskip(SKIP_2) | instid1(SALU_CYCLE_1)
	v_lshl_or_b32 v4, v4, 4, v5
	ds_add_u32 v4, v92
	s_or_b32 exec_lo, exec_lo, s0
	s_mov_b32 s0, exec_lo
	v_cmpx_lt_u32_e64 v45, v21
	s_cbranch_execnz .LBB608_57
.LBB608_42:                             ;   in Loop: Header=BB608_16 Depth=2
	s_or_b32 exec_lo, exec_lo, s0
	s_delay_alu instid0(SALU_CYCLE_1)
	s_mov_b32 s0, exec_lo
	v_cmpx_lt_u32_e64 v46, v21
	s_cbranch_execz .LBB608_58
.LBB608_43:                             ;   in Loop: Header=BB608_16 Depth=2
	v_xor_b32_e32 v4, 0x80000000, v17
	v_lshlrev_b32_e32 v5, 2, v48
	s_delay_alu instid0(VALU_DEP_2) | instskip(NEXT) | instid1(VALU_DEP_1)
	v_lshrrev_b32_e32 v4, s38, v4
	v_and_b32_e32 v4, s39, v4
	s_delay_alu instid0(VALU_DEP_1) | instskip(SKIP_2) | instid1(SALU_CYCLE_1)
	v_lshl_or_b32 v4, v4, 4, v5
	ds_add_u32 v4, v92
	s_or_b32 exec_lo, exec_lo, s0
	s_mov_b32 s0, exec_lo
	v_cmpx_lt_u32_e64 v47, v21
	s_cbranch_execnz .LBB608_59
.LBB608_44:                             ;   in Loop: Header=BB608_16 Depth=2
	s_or_b32 exec_lo, exec_lo, s0
	s_delay_alu instid0(SALU_CYCLE_1)
	s_mov_b32 s0, exec_lo
	v_cmpx_lt_u32_e64 v51, v21
	s_cbranch_execz .LBB608_60
.LBB608_45:                             ;   in Loop: Header=BB608_16 Depth=2
	v_xor_b32_e32 v4, 0x80000000, v15
	v_lshlrev_b32_e32 v5, 2, v48
	s_delay_alu instid0(VALU_DEP_2) | instskip(NEXT) | instid1(VALU_DEP_1)
	v_lshrrev_b32_e32 v4, s38, v4
	v_and_b32_e32 v4, s39, v4
	s_delay_alu instid0(VALU_DEP_1) | instskip(SKIP_2) | instid1(SALU_CYCLE_1)
	v_lshl_or_b32 v4, v4, 4, v5
	ds_add_u32 v4, v92
	s_or_b32 exec_lo, exec_lo, s0
	s_mov_b32 s0, exec_lo
	v_cmpx_lt_u32_e64 v52, v21
	s_cbranch_execnz .LBB608_61
.LBB608_46:                             ;   in Loop: Header=BB608_16 Depth=2
	s_or_b32 exec_lo, exec_lo, s0
	s_delay_alu instid0(SALU_CYCLE_1)
	s_mov_b32 s0, exec_lo
	v_cmpx_lt_u32_e64 v53, v21
	s_cbranch_execz .LBB608_62
.LBB608_47:                             ;   in Loop: Header=BB608_16 Depth=2
	v_xor_b32_e32 v4, 0x80000000, v13
	v_lshlrev_b32_e32 v5, 2, v48
	s_delay_alu instid0(VALU_DEP_2) | instskip(NEXT) | instid1(VALU_DEP_1)
	v_lshrrev_b32_e32 v4, s38, v4
	v_and_b32_e32 v4, s39, v4
	s_delay_alu instid0(VALU_DEP_1) | instskip(SKIP_2) | instid1(SALU_CYCLE_1)
	v_lshl_or_b32 v4, v4, 4, v5
	ds_add_u32 v4, v92
	s_or_b32 exec_lo, exec_lo, s0
	s_mov_b32 s0, exec_lo
	v_cmpx_lt_u32_e64 v54, v21
	s_cbranch_execnz .LBB608_63
.LBB608_48:                             ;   in Loop: Header=BB608_16 Depth=2
	s_or_b32 exec_lo, exec_lo, s0
	s_delay_alu instid0(SALU_CYCLE_1)
	s_mov_b32 s0, exec_lo
	v_cmpx_lt_u32_e64 v55, v21
	s_cbranch_execz .LBB608_64
.LBB608_49:                             ;   in Loop: Header=BB608_16 Depth=2
	v_xor_b32_e32 v4, 0x80000000, v11
	v_lshlrev_b32_e32 v5, 2, v48
	s_delay_alu instid0(VALU_DEP_2) | instskip(NEXT) | instid1(VALU_DEP_1)
	v_lshrrev_b32_e32 v4, s38, v4
	v_and_b32_e32 v4, s39, v4
	s_delay_alu instid0(VALU_DEP_1) | instskip(SKIP_2) | instid1(SALU_CYCLE_1)
	v_lshl_or_b32 v4, v4, 4, v5
	ds_add_u32 v4, v92
	s_or_b32 exec_lo, exec_lo, s0
	s_mov_b32 s0, exec_lo
	v_cmpx_lt_u32_e64 v56, v21
	s_cbranch_execnz .LBB608_65
.LBB608_50:                             ;   in Loop: Header=BB608_16 Depth=2
	s_or_b32 exec_lo, exec_lo, s0
	s_delay_alu instid0(SALU_CYCLE_1)
	s_mov_b32 s0, exec_lo
	v_cmpx_lt_u32_e64 v57, v21
	s_cbranch_execz .LBB608_66
.LBB608_51:                             ;   in Loop: Header=BB608_16 Depth=2
	v_xor_b32_e32 v4, 0x80000000, v9
	v_lshlrev_b32_e32 v5, 2, v48
	s_delay_alu instid0(VALU_DEP_2) | instskip(NEXT) | instid1(VALU_DEP_1)
	v_lshrrev_b32_e32 v4, s38, v4
	v_and_b32_e32 v4, s39, v4
	s_delay_alu instid0(VALU_DEP_1) | instskip(SKIP_2) | instid1(SALU_CYCLE_1)
	v_lshl_or_b32 v4, v4, 4, v5
	ds_add_u32 v4, v92
	s_or_b32 exec_lo, exec_lo, s0
	s_mov_b32 s0, exec_lo
	v_cmpx_lt_u32_e64 v58, v21
	s_cbranch_execnz .LBB608_67
.LBB608_52:                             ;   in Loop: Header=BB608_16 Depth=2
	s_or_b32 exec_lo, exec_lo, s0
	s_delay_alu instid0(SALU_CYCLE_1)
	s_mov_b32 s0, exec_lo
	v_cmpx_lt_u32_e64 v59, v21
	s_cbranch_execz .LBB608_68
.LBB608_53:                             ;   in Loop: Header=BB608_16 Depth=2
	v_xor_b32_e32 v4, 0x80000000, v7
	v_lshlrev_b32_e32 v5, 2, v48
	s_delay_alu instid0(VALU_DEP_2) | instskip(NEXT) | instid1(VALU_DEP_1)
	v_lshrrev_b32_e32 v4, s38, v4
	v_and_b32_e32 v4, s39, v4
	s_delay_alu instid0(VALU_DEP_1) | instskip(SKIP_2) | instid1(SALU_CYCLE_1)
	v_lshl_or_b32 v4, v4, 4, v5
	ds_add_u32 v4, v92
	s_or_b32 exec_lo, exec_lo, s0
	s_mov_b32 s0, exec_lo
	v_cmpx_lt_u32_e64 v60, v21
	s_cbranch_execnz .LBB608_69
.LBB608_54:                             ;   in Loop: Header=BB608_16 Depth=2
	s_or_b32 exec_lo, exec_lo, s0
	s_delay_alu instid0(SALU_CYCLE_1)
	s_mov_b32 s0, exec_lo
	v_cmpx_lt_u32_e64 v61, v21
	s_cbranch_execz .LBB608_70
.LBB608_55:                             ;   in Loop: Header=BB608_16 Depth=2
	v_xor_b32_e32 v4, 0x80000000, v2
	v_lshlrev_b32_e32 v5, 2, v48
	s_delay_alu instid0(VALU_DEP_2) | instskip(NEXT) | instid1(VALU_DEP_1)
	v_lshrrev_b32_e32 v4, s38, v4
	v_and_b32_e32 v4, s39, v4
	s_delay_alu instid0(VALU_DEP_1) | instskip(SKIP_2) | instid1(SALU_CYCLE_1)
	v_lshl_or_b32 v4, v4, 4, v5
	ds_add_u32 v4, v92
	s_or_b32 exec_lo, exec_lo, s0
	s_mov_b32 s0, exec_lo
	v_cmpx_lt_u32_e64 v63, v21
	s_cbranch_execz .LBB608_15
	s_branch .LBB608_71
.LBB608_56:                             ;   in Loop: Header=BB608_16 Depth=2
	s_or_b32 exec_lo, exec_lo, s0
	s_delay_alu instid0(SALU_CYCLE_1)
	s_mov_b32 s0, exec_lo
	v_cmpx_lt_u32_e64 v45, v21
	s_cbranch_execz .LBB608_42
.LBB608_57:                             ;   in Loop: Header=BB608_16 Depth=2
	v_xor_b32_e32 v4, 0x80000000, v18
	v_lshlrev_b32_e32 v5, 2, v48
	s_delay_alu instid0(VALU_DEP_2) | instskip(NEXT) | instid1(VALU_DEP_1)
	v_lshrrev_b32_e32 v4, s38, v4
	v_and_b32_e32 v4, s39, v4
	s_delay_alu instid0(VALU_DEP_1) | instskip(SKIP_2) | instid1(SALU_CYCLE_1)
	v_lshl_or_b32 v4, v4, 4, v5
	ds_add_u32 v4, v92
	s_or_b32 exec_lo, exec_lo, s0
	s_mov_b32 s0, exec_lo
	v_cmpx_lt_u32_e64 v46, v21
	s_cbranch_execnz .LBB608_43
.LBB608_58:                             ;   in Loop: Header=BB608_16 Depth=2
	s_or_b32 exec_lo, exec_lo, s0
	s_delay_alu instid0(SALU_CYCLE_1)
	s_mov_b32 s0, exec_lo
	v_cmpx_lt_u32_e64 v47, v21
	s_cbranch_execz .LBB608_44
.LBB608_59:                             ;   in Loop: Header=BB608_16 Depth=2
	v_xor_b32_e32 v4, 0x80000000, v16
	v_lshlrev_b32_e32 v5, 2, v48
	s_delay_alu instid0(VALU_DEP_2) | instskip(NEXT) | instid1(VALU_DEP_1)
	v_lshrrev_b32_e32 v4, s38, v4
	v_and_b32_e32 v4, s39, v4
	s_delay_alu instid0(VALU_DEP_1) | instskip(SKIP_2) | instid1(SALU_CYCLE_1)
	v_lshl_or_b32 v4, v4, 4, v5
	ds_add_u32 v4, v92
	s_or_b32 exec_lo, exec_lo, s0
	s_mov_b32 s0, exec_lo
	v_cmpx_lt_u32_e64 v51, v21
	s_cbranch_execnz .LBB608_45
.LBB608_60:                             ;   in Loop: Header=BB608_16 Depth=2
	s_or_b32 exec_lo, exec_lo, s0
	s_delay_alu instid0(SALU_CYCLE_1)
	s_mov_b32 s0, exec_lo
	v_cmpx_lt_u32_e64 v52, v21
	s_cbranch_execz .LBB608_46
.LBB608_61:                             ;   in Loop: Header=BB608_16 Depth=2
	v_xor_b32_e32 v4, 0x80000000, v14
	v_lshlrev_b32_e32 v5, 2, v48
	s_delay_alu instid0(VALU_DEP_2) | instskip(NEXT) | instid1(VALU_DEP_1)
	v_lshrrev_b32_e32 v4, s38, v4
	v_and_b32_e32 v4, s39, v4
	s_delay_alu instid0(VALU_DEP_1) | instskip(SKIP_2) | instid1(SALU_CYCLE_1)
	v_lshl_or_b32 v4, v4, 4, v5
	ds_add_u32 v4, v92
	s_or_b32 exec_lo, exec_lo, s0
	s_mov_b32 s0, exec_lo
	v_cmpx_lt_u32_e64 v53, v21
	s_cbranch_execnz .LBB608_47
.LBB608_62:                             ;   in Loop: Header=BB608_16 Depth=2
	s_or_b32 exec_lo, exec_lo, s0
	s_delay_alu instid0(SALU_CYCLE_1)
	s_mov_b32 s0, exec_lo
	v_cmpx_lt_u32_e64 v54, v21
	s_cbranch_execz .LBB608_48
.LBB608_63:                             ;   in Loop: Header=BB608_16 Depth=2
	v_xor_b32_e32 v4, 0x80000000, v12
	v_lshlrev_b32_e32 v5, 2, v48
	s_delay_alu instid0(VALU_DEP_2) | instskip(NEXT) | instid1(VALU_DEP_1)
	v_lshrrev_b32_e32 v4, s38, v4
	v_and_b32_e32 v4, s39, v4
	s_delay_alu instid0(VALU_DEP_1) | instskip(SKIP_2) | instid1(SALU_CYCLE_1)
	v_lshl_or_b32 v4, v4, 4, v5
	ds_add_u32 v4, v92
	s_or_b32 exec_lo, exec_lo, s0
	s_mov_b32 s0, exec_lo
	v_cmpx_lt_u32_e64 v55, v21
	s_cbranch_execnz .LBB608_49
.LBB608_64:                             ;   in Loop: Header=BB608_16 Depth=2
	s_or_b32 exec_lo, exec_lo, s0
	s_delay_alu instid0(SALU_CYCLE_1)
	s_mov_b32 s0, exec_lo
	v_cmpx_lt_u32_e64 v56, v21
	s_cbranch_execz .LBB608_50
.LBB608_65:                             ;   in Loop: Header=BB608_16 Depth=2
	v_xor_b32_e32 v4, 0x80000000, v10
	v_lshlrev_b32_e32 v5, 2, v48
	s_delay_alu instid0(VALU_DEP_2) | instskip(NEXT) | instid1(VALU_DEP_1)
	v_lshrrev_b32_e32 v4, s38, v4
	v_and_b32_e32 v4, s39, v4
	s_delay_alu instid0(VALU_DEP_1) | instskip(SKIP_2) | instid1(SALU_CYCLE_1)
	v_lshl_or_b32 v4, v4, 4, v5
	ds_add_u32 v4, v92
	s_or_b32 exec_lo, exec_lo, s0
	s_mov_b32 s0, exec_lo
	v_cmpx_lt_u32_e64 v57, v21
	s_cbranch_execnz .LBB608_51
.LBB608_66:                             ;   in Loop: Header=BB608_16 Depth=2
	s_or_b32 exec_lo, exec_lo, s0
	s_delay_alu instid0(SALU_CYCLE_1)
	s_mov_b32 s0, exec_lo
	v_cmpx_lt_u32_e64 v58, v21
	s_cbranch_execz .LBB608_52
.LBB608_67:                             ;   in Loop: Header=BB608_16 Depth=2
	v_xor_b32_e32 v4, 0x80000000, v8
	v_lshlrev_b32_e32 v5, 2, v48
	s_delay_alu instid0(VALU_DEP_2) | instskip(NEXT) | instid1(VALU_DEP_1)
	v_lshrrev_b32_e32 v4, s38, v4
	v_and_b32_e32 v4, s39, v4
	s_delay_alu instid0(VALU_DEP_1) | instskip(SKIP_2) | instid1(SALU_CYCLE_1)
	v_lshl_or_b32 v4, v4, 4, v5
	ds_add_u32 v4, v92
	s_or_b32 exec_lo, exec_lo, s0
	s_mov_b32 s0, exec_lo
	v_cmpx_lt_u32_e64 v59, v21
	s_cbranch_execnz .LBB608_53
.LBB608_68:                             ;   in Loop: Header=BB608_16 Depth=2
	s_or_b32 exec_lo, exec_lo, s0
	s_delay_alu instid0(SALU_CYCLE_1)
	s_mov_b32 s0, exec_lo
	v_cmpx_lt_u32_e64 v60, v21
	s_cbranch_execz .LBB608_54
.LBB608_69:                             ;   in Loop: Header=BB608_16 Depth=2
	v_xor_b32_e32 v4, 0x80000000, v6
	v_lshlrev_b32_e32 v5, 2, v48
	s_delay_alu instid0(VALU_DEP_2) | instskip(NEXT) | instid1(VALU_DEP_1)
	v_lshrrev_b32_e32 v4, s38, v4
	v_and_b32_e32 v4, s39, v4
	s_delay_alu instid0(VALU_DEP_1) | instskip(SKIP_2) | instid1(SALU_CYCLE_1)
	v_lshl_or_b32 v4, v4, 4, v5
	ds_add_u32 v4, v92
	s_or_b32 exec_lo, exec_lo, s0
	s_mov_b32 s0, exec_lo
	v_cmpx_lt_u32_e64 v61, v21
	s_cbranch_execnz .LBB608_55
.LBB608_70:                             ;   in Loop: Header=BB608_16 Depth=2
	s_or_b32 exec_lo, exec_lo, s0
	s_delay_alu instid0(SALU_CYCLE_1)
	s_mov_b32 s0, exec_lo
	v_cmpx_lt_u32_e64 v63, v21
	s_cbranch_execz .LBB608_15
.LBB608_71:                             ;   in Loop: Header=BB608_16 Depth=2
	s_waitcnt vmcnt(0)
	v_xor_b32_e32 v4, 0x80000000, v20
	v_lshlrev_b32_e32 v5, 2, v48
	s_delay_alu instid0(VALU_DEP_2) | instskip(NEXT) | instid1(VALU_DEP_1)
	v_lshrrev_b32_e32 v4, s38, v4
	v_and_b32_e32 v4, s39, v4
	s_delay_alu instid0(VALU_DEP_1)
	v_lshl_or_b32 v4, v4, 4, v5
	ds_add_u32 v4, v92
	s_branch .LBB608_15
.LBB608_72:                             ;   in Loop: Header=BB608_16 Depth=2
	s_or_b32 exec_lo, exec_lo, s11
	s_delay_alu instid0(SALU_CYCLE_1)
	s_mov_b32 s11, exec_lo
	v_cmpx_gt_u32_e64 s8, v45
	s_cbranch_execz .LBB608_22
.LBB608_73:                             ;   in Loop: Header=BB608_16 Depth=2
	global_load_b32 v18, v93, s[0:1] offset:1024
	s_or_b32 exec_lo, exec_lo, s11
	s_delay_alu instid0(SALU_CYCLE_1)
	s_mov_b32 s11, exec_lo
	v_cmpx_gt_u32_e64 s8, v46
	s_cbranch_execnz .LBB608_23
.LBB608_74:                             ;   in Loop: Header=BB608_16 Depth=2
	s_or_b32 exec_lo, exec_lo, s11
	s_delay_alu instid0(SALU_CYCLE_1)
	s_mov_b32 s11, exec_lo
	v_cmpx_gt_u32_e64 s8, v47
	s_cbranch_execz .LBB608_24
.LBB608_75:                             ;   in Loop: Header=BB608_16 Depth=2
	global_load_b32 v16, v93, s[0:1] offset:3072
	s_or_b32 exec_lo, exec_lo, s11
	s_delay_alu instid0(SALU_CYCLE_1)
	s_mov_b32 s11, exec_lo
	v_cmpx_gt_u32_e64 s8, v51
	s_cbranch_execnz .LBB608_25
.LBB608_76:                             ;   in Loop: Header=BB608_16 Depth=2
	s_or_b32 exec_lo, exec_lo, s11
	s_delay_alu instid0(SALU_CYCLE_1)
	s_mov_b32 s11, exec_lo
	v_cmpx_gt_u32_e64 s8, v52
	s_cbranch_execz .LBB608_26
.LBB608_77:                             ;   in Loop: Header=BB608_16 Depth=2
	global_load_b32 v14, v95, s[0:1]
	s_or_b32 exec_lo, exec_lo, s11
	s_delay_alu instid0(SALU_CYCLE_1)
	s_mov_b32 s11, exec_lo
	v_cmpx_gt_u32_e64 s8, v53
	s_cbranch_execnz .LBB608_27
.LBB608_78:                             ;   in Loop: Header=BB608_16 Depth=2
	s_or_b32 exec_lo, exec_lo, s11
	s_delay_alu instid0(SALU_CYCLE_1)
	s_mov_b32 s11, exec_lo
	v_cmpx_gt_u32_e64 s8, v54
	s_cbranch_execz .LBB608_28
.LBB608_79:                             ;   in Loop: Header=BB608_16 Depth=2
	global_load_b32 v12, v97, s[0:1]
	s_or_b32 exec_lo, exec_lo, s11
	s_delay_alu instid0(SALU_CYCLE_1)
	s_mov_b32 s11, exec_lo
	v_cmpx_gt_u32_e64 s8, v55
	s_cbranch_execnz .LBB608_29
.LBB608_80:                             ;   in Loop: Header=BB608_16 Depth=2
	s_or_b32 exec_lo, exec_lo, s11
	s_delay_alu instid0(SALU_CYCLE_1)
	s_mov_b32 s11, exec_lo
	v_cmpx_gt_u32_e64 s8, v56
	s_cbranch_execz .LBB608_30
.LBB608_81:                             ;   in Loop: Header=BB608_16 Depth=2
	global_load_b32 v10, v99, s[0:1]
	s_or_b32 exec_lo, exec_lo, s11
	s_delay_alu instid0(SALU_CYCLE_1)
	s_mov_b32 s11, exec_lo
	v_cmpx_gt_u32_e64 s8, v57
	s_cbranch_execnz .LBB608_31
.LBB608_82:                             ;   in Loop: Header=BB608_16 Depth=2
	s_or_b32 exec_lo, exec_lo, s11
	s_delay_alu instid0(SALU_CYCLE_1)
	s_mov_b32 s11, exec_lo
	v_cmpx_gt_u32_e64 s8, v58
	s_cbranch_execz .LBB608_32
.LBB608_83:                             ;   in Loop: Header=BB608_16 Depth=2
	global_load_b32 v8, v101, s[0:1]
	s_or_b32 exec_lo, exec_lo, s11
	s_delay_alu instid0(SALU_CYCLE_1)
	s_mov_b32 s11, exec_lo
	v_cmpx_gt_u32_e64 s8, v59
	s_cbranch_execnz .LBB608_33
.LBB608_84:                             ;   in Loop: Header=BB608_16 Depth=2
	s_or_b32 exec_lo, exec_lo, s11
	s_delay_alu instid0(SALU_CYCLE_1)
	s_mov_b32 s11, exec_lo
	v_cmpx_gt_u32_e64 s8, v60
	s_cbranch_execz .LBB608_34
.LBB608_85:                             ;   in Loop: Header=BB608_16 Depth=2
	global_load_b32 v6, v103, s[0:1]
	s_or_b32 exec_lo, exec_lo, s11
	s_delay_alu instid0(SALU_CYCLE_1)
	s_mov_b32 s11, exec_lo
	v_cmpx_gt_u32_e64 s8, v61
	s_cbranch_execz .LBB608_36
	s_branch .LBB608_35
.LBB608_86:                             ;   in Loop: Header=BB608_12 Depth=1
	v_mov_b32_e32 v2, 0
	s_waitcnt vmcnt(0) lgkmcnt(0)
	s_barrier
	buffer_gl0_inv
	s_and_saveexec_b32 s0, s2
	s_cbranch_execz .LBB608_88
; %bb.87:                               ;   in Loop: Header=BB608_12 Depth=1
	ds_load_2addr_b64 v[4:7], v64 offset1:1
	s_waitcnt lgkmcnt(0)
	v_add_nc_u32_e32 v2, v5, v4
	s_delay_alu instid0(VALU_DEP_1)
	v_add3_u32 v2, v2, v6, v7
.LBB608_88:                             ;   in Loop: Header=BB608_12 Depth=1
	s_or_b32 exec_lo, exec_lo, s0
	v_and_b32_e32 v4, 15, v106
	s_delay_alu instid0(VALU_DEP_2) | instskip(SKIP_1) | instid1(VALU_DEP_3)
	v_mov_b32_dpp v5, v2 row_shr:1 row_mask:0xf bank_mask:0xf
	v_and_b32_e32 v6, 16, v106
	v_cmp_eq_u32_e64 s0, 0, v4
	v_cmp_lt_u32_e64 s1, 1, v4
	v_cmp_lt_u32_e64 s8, 3, v4
	;; [unrolled: 1-line block ×3, first 2 shown]
	v_cmp_eq_u32_e64 s10, 0, v6
	v_cndmask_b32_e64 v5, v5, 0, s0
	s_delay_alu instid0(VALU_DEP_1) | instskip(NEXT) | instid1(VALU_DEP_1)
	v_add_nc_u32_e32 v2, v5, v2
	v_mov_b32_dpp v5, v2 row_shr:2 row_mask:0xf bank_mask:0xf
	s_delay_alu instid0(VALU_DEP_1) | instskip(NEXT) | instid1(VALU_DEP_1)
	v_cndmask_b32_e64 v5, 0, v5, s1
	v_add_nc_u32_e32 v2, v2, v5
	s_delay_alu instid0(VALU_DEP_1) | instskip(NEXT) | instid1(VALU_DEP_1)
	v_mov_b32_dpp v5, v2 row_shr:4 row_mask:0xf bank_mask:0xf
	v_cndmask_b32_e64 v5, 0, v5, s8
	s_delay_alu instid0(VALU_DEP_1) | instskip(NEXT) | instid1(VALU_DEP_1)
	v_add_nc_u32_e32 v2, v2, v5
	v_mov_b32_dpp v5, v2 row_shr:8 row_mask:0xf bank_mask:0xf
	s_delay_alu instid0(VALU_DEP_1) | instskip(SKIP_1) | instid1(VALU_DEP_2)
	v_cndmask_b32_e64 v4, 0, v5, s9
	v_bfe_i32 v5, v106, 4, 1
	v_add_nc_u32_e32 v2, v2, v4
	ds_swizzle_b32 v4, v2 offset:swizzle(BROADCAST,32,15)
	s_waitcnt lgkmcnt(0)
	v_and_b32_e32 v4, v5, v4
	s_delay_alu instid0(VALU_DEP_1)
	v_add_nc_u32_e32 v4, v2, v4
	s_and_saveexec_b32 s11, s3
	s_cbranch_execz .LBB608_90
; %bb.89:                               ;   in Loop: Header=BB608_12 Depth=1
	ds_store_b32 v65, v4
.LBB608_90:                             ;   in Loop: Header=BB608_12 Depth=1
	s_or_b32 exec_lo, exec_lo, s11
	v_and_b32_e32 v2, 7, v106
	s_waitcnt lgkmcnt(0)
	s_barrier
	buffer_gl0_inv
	s_and_saveexec_b32 s11, s4
	s_cbranch_execz .LBB608_92
; %bb.91:                               ;   in Loop: Header=BB608_12 Depth=1
	ds_load_b32 v5, v66
	v_cmp_ne_u32_e32 vcc_lo, 0, v2
	s_waitcnt lgkmcnt(0)
	v_mov_b32_dpp v6, v5 row_shr:1 row_mask:0xf bank_mask:0xf
	s_delay_alu instid0(VALU_DEP_1) | instskip(SKIP_1) | instid1(VALU_DEP_2)
	v_cndmask_b32_e32 v6, 0, v6, vcc_lo
	v_cmp_lt_u32_e32 vcc_lo, 1, v2
	v_add_nc_u32_e32 v5, v6, v5
	s_delay_alu instid0(VALU_DEP_1) | instskip(NEXT) | instid1(VALU_DEP_1)
	v_mov_b32_dpp v6, v5 row_shr:2 row_mask:0xf bank_mask:0xf
	v_cndmask_b32_e32 v6, 0, v6, vcc_lo
	v_cmp_lt_u32_e32 vcc_lo, 3, v2
	s_delay_alu instid0(VALU_DEP_2) | instskip(NEXT) | instid1(VALU_DEP_1)
	v_add_nc_u32_e32 v5, v5, v6
	v_mov_b32_dpp v6, v5 row_shr:4 row_mask:0xf bank_mask:0xf
	s_delay_alu instid0(VALU_DEP_1) | instskip(NEXT) | instid1(VALU_DEP_1)
	v_cndmask_b32_e32 v6, 0, v6, vcc_lo
	v_add_nc_u32_e32 v5, v5, v6
	ds_store_b32 v66, v5
.LBB608_92:                             ;   in Loop: Header=BB608_12 Depth=1
	s_or_b32 exec_lo, exec_lo, s11
	v_mov_b32_e32 v5, 0
	s_waitcnt lgkmcnt(0)
	s_barrier
	buffer_gl0_inv
	s_and_saveexec_b32 s11, s5
	s_cbranch_execz .LBB608_94
; %bb.93:                               ;   in Loop: Header=BB608_12 Depth=1
	ds_load_b32 v5, v67
.LBB608_94:                             ;   in Loop: Header=BB608_12 Depth=1
	s_or_b32 exec_lo, exec_lo, s11
	v_add_nc_u32_e32 v6, -1, v106
	s_waitcnt lgkmcnt(0)
	v_add_nc_u32_e32 v4, v5, v4
	v_cmp_eq_u32_e64 s11, 0, v106
	s_barrier
	v_cmp_gt_i32_e32 vcc_lo, 0, v6
	buffer_gl0_inv
	v_cndmask_b32_e32 v6, v6, v106, vcc_lo
	s_delay_alu instid0(VALU_DEP_1)
	v_lshlrev_b32_e32 v107, 2, v6
	ds_bpermute_b32 v4, v107, v4
	s_and_saveexec_b32 s12, s2
	s_cbranch_execz .LBB608_96
; %bb.95:                               ;   in Loop: Header=BB608_12 Depth=1
	s_waitcnt lgkmcnt(0)
	v_cndmask_b32_e64 v4, v4, v5, s11
	s_delay_alu instid0(VALU_DEP_1)
	v_add_nc_u32_e32 v4, s60, v4
	ds_store_b32 v44, v4
.LBB608_96:                             ;   in Loop: Header=BB608_12 Depth=1
	s_or_b32 exec_lo, exec_lo, s12
	s_clause 0x1
	s_load_b32 s12, s[36:37], 0x4
	s_load_b32 s16, s[36:37], 0xc
	v_lshlrev_b32_e32 v5, 3, v106
	v_cmp_lt_u32_e64 s14, 3, v2
	v_or_b32_e32 v108, v106, v68
	s_mov_b32 s40, s62
	s_mov_b32 s34, s60
	v_add_co_u32 v109, vcc_lo, v74, v5
	v_add_co_ci_u32_e32 v110, vcc_lo, 0, v75, vcc_lo
	v_or_b32_e32 v111, 32, v108
	v_or_b32_e32 v112, 64, v108
	;; [unrolled: 1-line block ×9, first 2 shown]
	s_waitcnt lgkmcnt(0)
	s_cmp_lt_u32 s15, s12
	v_or_b32_e32 v120, 0x140, v108
	s_cselect_b32 s12, 14, 20
	v_or_b32_e32 v121, 0x160, v108
	s_add_u32 s12, s36, s12
	s_addc_u32 s13, s37, 0
	s_and_b32 s16, s16, 0xffff
	global_load_u16 v4, v3, s[12:13]
	v_cmp_eq_u32_e64 s12, 0, v2
	v_cmp_lt_u32_e64 s13, 1, v2
	v_lshlrev_b32_e32 v2, 2, v106
	v_or_b32_e32 v122, 0x180, v108
	v_or_b32_e32 v123, 0x1a0, v108
	;; [unrolled: 1-line block ×4, first 2 shown]
	v_add_co_u32 v126, vcc_lo, v76, v2
	v_add_co_ci_u32_e32 v127, vcc_lo, 0, v77, vcc_lo
                                        ; implicit-def: $vgpr8_vgpr9
                                        ; implicit-def: $vgpr10_vgpr11
                                        ; implicit-def: $vgpr12_vgpr13
                                        ; implicit-def: $vgpr14_vgpr15
                                        ; implicit-def: $vgpr16_vgpr17
                                        ; implicit-def: $vgpr18_vgpr19
                                        ; implicit-def: $vgpr20_vgpr21
                                        ; implicit-def: $vgpr22_vgpr23
                                        ; implicit-def: $vgpr24_vgpr25
                                        ; implicit-def: $vgpr26_vgpr27
                                        ; implicit-def: $vgpr28_vgpr29
                                        ; implicit-def: $vgpr30_vgpr31
                                        ; implicit-def: $vgpr32_vgpr33
                                        ; implicit-def: $vgpr34_vgpr35
                                        ; implicit-def: $vgpr131
                                        ; implicit-def: $vgpr132
                                        ; implicit-def: $vgpr133
                                        ; implicit-def: $vgpr134
                                        ; implicit-def: $vgpr135
                                        ; implicit-def: $vgpr136
                                        ; implicit-def: $vgpr137
                                        ; implicit-def: $vgpr138
                                        ; implicit-def: $vgpr139
                                        ; implicit-def: $vgpr140
                                        ; implicit-def: $vgpr141
                                        ; implicit-def: $vgpr142
                                        ; implicit-def: $vgpr143
                                        ; implicit-def: $vgpr144
                                        ; implicit-def: $vgpr145
                                        ; implicit-def: $vgpr146
	s_delay_alu instid0(VALU_DEP_2) | instskip(NEXT) | instid1(VALU_DEP_2)
	v_add_co_u32 v129, vcc_lo, 0x780, v126
	v_add_co_ci_u32_e32 v130, vcc_lo, 0, v127, vcc_lo
	s_waitcnt vmcnt(0)
	v_mad_u32_u24 v6, v69, v4, v0
	s_delay_alu instid0(VALU_DEP_1) | instskip(NEXT) | instid1(VALU_DEP_1)
	v_mad_u64_u32 v[4:5], null, v6, s16, v[1:2]
                                        ; implicit-def: $vgpr6_vgpr7
	v_lshrrev_b32_e32 v128, 5, v4
                                        ; implicit-def: $vgpr4_vgpr5
	s_branch .LBB608_98
.LBB608_97:                             ;   in Loop: Header=BB608_98 Depth=2
	s_or_b32 exec_lo, exec_lo, s16
	s_addk_i32 s40, 0xf000
	s_cmp_lt_u32 s41, s61
	s_mov_b32 s34, s41
	s_cbranch_scc0 .LBB608_306
.LBB608_98:                             ;   Parent Loop BB608_12 Depth=1
                                        ; =>  This Inner Loop Header: Depth=2
	s_add_i32 s41, s34, 0x1000
	s_delay_alu instid0(SALU_CYCLE_1)
	s_cmp_gt_u32 s41, s61
	s_cbranch_scc1 .LBB608_101
; %bb.99:                               ;   in Loop: Header=BB608_98 Depth=2
	s_mov_b32 s17, 0
	s_mov_b32 s16, s34
	s_delay_alu instid0(SALU_CYCLE_1) | instskip(NEXT) | instid1(SALU_CYCLE_1)
	s_lshl_b64 s[18:19], s[16:17], 2
	v_add_co_u32 v36, vcc_lo, v126, s18
	v_add_co_ci_u32_e32 v37, vcc_lo, s19, v127, vcc_lo
	s_mov_b32 s19, -1
	s_movk_i32 s18, 0x1000
	s_clause 0xe
	global_load_b32 v2, v[36:37], off
	global_load_b32 v148, v[36:37], off offset:128
	global_load_b32 v151, v[36:37], off offset:256
	global_load_b32 v155, v[36:37], off offset:384
	global_load_b32 v159, v[36:37], off offset:512
	global_load_b32 v163, v[36:37], off offset:640
	global_load_b32 v167, v[36:37], off offset:768
	global_load_b32 v172, v[36:37], off offset:896
	global_load_b32 v171, v[36:37], off offset:1024
	global_load_b32 v43, v[36:37], off offset:1152
	global_load_b32 v42, v[36:37], off offset:1280
	global_load_b32 v41, v[36:37], off offset:1408
	global_load_b32 v40, v[36:37], off offset:1536
	global_load_b32 v39, v[36:37], off offset:1664
	global_load_b32 v38, v[36:37], off offset:1792
	s_cbranch_execz .LBB608_102
; %bb.100:                              ;   in Loop: Header=BB608_98 Depth=2
                                        ; implicit-def: $sgpr20
	v_dual_mov_b32 v36, s20 :: v_dual_mov_b32 v147, s40
	s_and_saveexec_b32 s20, s19
	s_cbranch_execnz .LBB608_133
	s_branch .LBB608_134
.LBB608_101:                            ;   in Loop: Header=BB608_98 Depth=2
	s_mov_b32 s17, -1
	s_mov_b32 s19, 0
                                        ; implicit-def: $sgpr18
                                        ; implicit-def: $vgpr2
                                        ; implicit-def: $vgpr148
                                        ; implicit-def: $vgpr151
                                        ; implicit-def: $vgpr155
                                        ; implicit-def: $vgpr159
                                        ; implicit-def: $vgpr163
                                        ; implicit-def: $vgpr167
                                        ; implicit-def: $vgpr172
                                        ; implicit-def: $vgpr171
                                        ; implicit-def: $vgpr43
                                        ; implicit-def: $vgpr42
                                        ; implicit-def: $vgpr41
                                        ; implicit-def: $vgpr40
                                        ; implicit-def: $vgpr39
                                        ; implicit-def: $vgpr38
.LBB608_102:                            ;   in Loop: Header=BB608_98 Depth=2
	s_lshl_b64 s[16:17], s[34:35], 2
	s_waitcnt vmcnt(13)
	v_bfrev_b32_e32 v148, -2
	v_add_co_u32 v36, vcc_lo, v126, s16
	v_add_co_ci_u32_e32 v37, vcc_lo, s17, v127, vcc_lo
	v_bfrev_b32_e32 v2, -2
	s_mov_b32 s16, exec_lo
	v_cmpx_gt_u32_e64 s40, v108
	s_cbranch_execz .LBB608_104
; %bb.103:                              ;   in Loop: Header=BB608_98 Depth=2
	global_load_b32 v2, v[36:37], off
.LBB608_104:                            ;   in Loop: Header=BB608_98 Depth=2
	s_or_b32 exec_lo, exec_lo, s16
	s_delay_alu instid0(SALU_CYCLE_1)
	s_mov_b32 s16, exec_lo
	v_cmpx_gt_u32_e64 s40, v111
	s_cbranch_execz .LBB608_106
; %bb.105:                              ;   in Loop: Header=BB608_98 Depth=2
	global_load_b32 v148, v[36:37], off offset:128
.LBB608_106:                            ;   in Loop: Header=BB608_98 Depth=2
	s_or_b32 exec_lo, exec_lo, s16
	s_waitcnt vmcnt(11)
	v_bfrev_b32_e32 v155, -2
	v_bfrev_b32_e32 v151, -2
	s_mov_b32 s16, exec_lo
	v_cmpx_gt_u32_e64 s40, v112
	s_cbranch_execz .LBB608_108
; %bb.107:                              ;   in Loop: Header=BB608_98 Depth=2
	global_load_b32 v151, v[36:37], off offset:256
.LBB608_108:                            ;   in Loop: Header=BB608_98 Depth=2
	s_or_b32 exec_lo, exec_lo, s16
	s_delay_alu instid0(SALU_CYCLE_1)
	s_mov_b32 s16, exec_lo
	v_cmpx_gt_u32_e64 s40, v113
	s_cbranch_execz .LBB608_110
; %bb.109:                              ;   in Loop: Header=BB608_98 Depth=2
	global_load_b32 v155, v[36:37], off offset:384
.LBB608_110:                            ;   in Loop: Header=BB608_98 Depth=2
	s_or_b32 exec_lo, exec_lo, s16
	s_waitcnt vmcnt(9)
	v_bfrev_b32_e32 v163, -2
	v_bfrev_b32_e32 v159, -2
	s_mov_b32 s16, exec_lo
	v_cmpx_gt_u32_e64 s40, v114
	s_cbranch_execz .LBB608_112
; %bb.111:                              ;   in Loop: Header=BB608_98 Depth=2
	global_load_b32 v159, v[36:37], off offset:512
.LBB608_112:                            ;   in Loop: Header=BB608_98 Depth=2
	;; [unrolled: 18-line block ×6, first 2 shown]
	s_or_b32 exec_lo, exec_lo, s16
	s_delay_alu instid0(SALU_CYCLE_1)
	s_mov_b32 s16, exec_lo
	v_cmpx_gt_u32_e64 s40, v123
	s_cbranch_execz .LBB608_130
; %bb.129:                              ;   in Loop: Header=BB608_98 Depth=2
	global_load_b32 v39, v[36:37], off offset:1664
.LBB608_130:                            ;   in Loop: Header=BB608_98 Depth=2
	s_or_b32 exec_lo, exec_lo, s16
	s_waitcnt vmcnt(0)
	v_bfrev_b32_e32 v38, -2
	s_mov_b32 s16, exec_lo
	v_cmpx_gt_u32_e64 s40, v124
	s_cbranch_execz .LBB608_132
; %bb.131:                              ;   in Loop: Header=BB608_98 Depth=2
	global_load_b32 v38, v[36:37], off offset:1792
.LBB608_132:                            ;   in Loop: Header=BB608_98 Depth=2
	s_or_b32 exec_lo, exec_lo, s16
	v_cmp_gt_u32_e64 s19, s40, v125
	s_sub_i32 s18, s61, s34
	s_brev_b32 s20, -2
	s_mov_b64 s[16:17], s[34:35]
	v_dual_mov_b32 v36, s20 :: v_dual_mov_b32 v147, s40
	s_and_saveexec_b32 s20, s19
	s_cbranch_execz .LBB608_134
.LBB608_133:                            ;   in Loop: Header=BB608_98 Depth=2
	s_lshl_b64 s[16:17], s[16:17], 2
	v_mov_b32_e32 v147, s18
	v_add_co_u32 v36, vcc_lo, v129, s16
	v_add_co_ci_u32_e32 v37, vcc_lo, s17, v130, vcc_lo
	global_load_b32 v36, v[36:37], off
.LBB608_134:                            ;   in Loop: Header=BB608_98 Depth=2
	s_or_b32 exec_lo, exec_lo, s20
	s_waitcnt vmcnt(14)
	v_xor_b32_e32 v2, 0x80000000, v2
	ds_store_b32 v70, v3 offset:1056
	ds_store_2addr_b32 v71, v3, v3 offset0:1 offset1:2
	ds_store_2addr_b32 v71, v3, v3 offset0:3 offset1:4
	;; [unrolled: 1-line block ×4, first 2 shown]
	s_waitcnt vmcnt(0) lgkmcnt(0)
	s_barrier
	v_lshrrev_b32_e32 v37, s38, v2
	buffer_gl0_inv
	; wave barrier
	v_and_b32_e32 v150, s39, v37
	s_delay_alu instid0(VALU_DEP_1)
	v_and_b32_e32 v37, 1, v150
	v_lshlrev_b32_e32 v149, 30, v150
	v_lshlrev_b32_e32 v152, 29, v150
	;; [unrolled: 1-line block ×4, first 2 shown]
	v_add_co_u32 v37, s16, v37, -1
	s_delay_alu instid0(VALU_DEP_1)
	v_cndmask_b32_e64 v154, 0, 1, s16
	v_not_b32_e32 v160, v149
	v_cmp_gt_i32_e64 s16, 0, v149
	v_not_b32_e32 v149, v152
	v_lshlrev_b32_e32 v157, 26, v150
	v_cmp_ne_u32_e32 vcc_lo, 0, v154
	v_ashrrev_i32_e32 v160, 31, v160
	v_lshlrev_b32_e32 v158, 25, v150
	v_ashrrev_i32_e32 v149, 31, v149
	v_lshlrev_b32_e32 v154, 24, v150
	v_xor_b32_e32 v37, vcc_lo, v37
	v_cmp_gt_i32_e32 vcc_lo, 0, v152
	v_not_b32_e32 v152, v153
	v_xor_b32_e32 v160, s16, v160
	v_cmp_gt_i32_e64 s16, 0, v153
	v_and_b32_e32 v37, exec_lo, v37
	v_not_b32_e32 v153, v156
	v_ashrrev_i32_e32 v152, 31, v152
	v_xor_b32_e32 v149, vcc_lo, v149
	v_cmp_gt_i32_e32 vcc_lo, 0, v156
	v_and_b32_e32 v37, v37, v160
	v_not_b32_e32 v156, v157
	v_ashrrev_i32_e32 v153, 31, v153
	v_xor_b32_e32 v152, s16, v152
	v_cmp_gt_i32_e64 s16, 0, v157
	v_and_b32_e32 v37, v37, v149
	v_not_b32_e32 v149, v158
	v_ashrrev_i32_e32 v156, 31, v156
	v_xor_b32_e32 v153, vcc_lo, v153
	v_cmp_gt_i32_e32 vcc_lo, 0, v158
	v_and_b32_e32 v37, v37, v152
	v_not_b32_e32 v152, v154
	v_ashrrev_i32_e32 v149, 31, v149
	v_xor_b32_e32 v156, s16, v156
	v_cmp_gt_i32_e64 s16, 0, v154
	v_and_b32_e32 v37, v37, v153
	v_ashrrev_i32_e32 v152, 31, v152
	v_xor_b32_e32 v149, vcc_lo, v149
	v_mad_u32_u24 v150, v150, 9, v128
	s_delay_alu instid0(VALU_DEP_4) | instskip(NEXT) | instid1(VALU_DEP_4)
	v_and_b32_e32 v37, v37, v156
	v_xor_b32_e32 v152, s16, v152
	s_delay_alu instid0(VALU_DEP_3) | instskip(NEXT) | instid1(VALU_DEP_3)
	v_lshl_add_u32 v150, v150, 2, 0x420
	v_and_b32_e32 v37, v37, v149
	s_delay_alu instid0(VALU_DEP_1) | instskip(NEXT) | instid1(VALU_DEP_1)
	v_and_b32_e32 v37, v37, v152
	v_mbcnt_lo_u32_b32 v149, v37, 0
	v_cmp_ne_u32_e64 s16, 0, v37
	s_delay_alu instid0(VALU_DEP_2) | instskip(NEXT) | instid1(VALU_DEP_2)
	v_cmp_eq_u32_e32 vcc_lo, 0, v149
	s_and_b32 s17, s16, vcc_lo
	s_delay_alu instid0(SALU_CYCLE_1)
	s_and_saveexec_b32 s16, s17
	s_cbranch_execz .LBB608_136
; %bb.135:                              ;   in Loop: Header=BB608_98 Depth=2
	v_bcnt_u32_b32 v37, v37, 0
	ds_store_b32 v150, v37
.LBB608_136:                            ;   in Loop: Header=BB608_98 Depth=2
	s_or_b32 exec_lo, exec_lo, s16
	v_xor_b32_e32 v148, 0x80000000, v148
	; wave barrier
	s_delay_alu instid0(VALU_DEP_1) | instskip(NEXT) | instid1(VALU_DEP_1)
	v_lshrrev_b32_e32 v37, s38, v148
	v_and_b32_e32 v37, s39, v37
	s_delay_alu instid0(VALU_DEP_1)
	v_and_b32_e32 v152, 1, v37
	v_lshlrev_b32_e32 v153, 30, v37
	v_lshlrev_b32_e32 v154, 29, v37
	;; [unrolled: 1-line block ×4, first 2 shown]
	v_add_co_u32 v152, s16, v152, -1
	s_delay_alu instid0(VALU_DEP_1)
	v_cndmask_b32_e64 v157, 0, 1, s16
	v_not_b32_e32 v162, v153
	v_cmp_gt_i32_e64 s16, 0, v153
	v_not_b32_e32 v153, v154
	v_lshlrev_b32_e32 v160, 26, v37
	v_cmp_ne_u32_e32 vcc_lo, 0, v157
	v_ashrrev_i32_e32 v162, 31, v162
	v_lshlrev_b32_e32 v161, 25, v37
	v_ashrrev_i32_e32 v153, 31, v153
	v_lshlrev_b32_e32 v157, 24, v37
	v_xor_b32_e32 v152, vcc_lo, v152
	v_cmp_gt_i32_e32 vcc_lo, 0, v154
	v_not_b32_e32 v154, v156
	v_xor_b32_e32 v162, s16, v162
	v_cmp_gt_i32_e64 s16, 0, v156
	v_and_b32_e32 v152, exec_lo, v152
	v_not_b32_e32 v156, v158
	v_ashrrev_i32_e32 v154, 31, v154
	v_xor_b32_e32 v153, vcc_lo, v153
	v_cmp_gt_i32_e32 vcc_lo, 0, v158
	v_and_b32_e32 v152, v152, v162
	v_not_b32_e32 v158, v160
	v_ashrrev_i32_e32 v156, 31, v156
	v_xor_b32_e32 v154, s16, v154
	v_cmp_gt_i32_e64 s16, 0, v160
	v_and_b32_e32 v152, v152, v153
	v_not_b32_e32 v153, v161
	v_ashrrev_i32_e32 v158, 31, v158
	v_xor_b32_e32 v156, vcc_lo, v156
	v_cmp_gt_i32_e32 vcc_lo, 0, v161
	v_and_b32_e32 v152, v152, v154
	v_not_b32_e32 v154, v157
	v_ashrrev_i32_e32 v153, 31, v153
	v_xor_b32_e32 v158, s16, v158
	v_mul_u32_u24_e32 v37, 9, v37
	v_and_b32_e32 v152, v152, v156
	v_cmp_gt_i32_e64 s16, 0, v157
	v_ashrrev_i32_e32 v154, 31, v154
	v_xor_b32_e32 v153, vcc_lo, v153
	v_add_lshl_u32 v156, v37, v128, 2
	v_and_b32_e32 v152, v152, v158
	s_delay_alu instid0(VALU_DEP_4) | instskip(NEXT) | instid1(VALU_DEP_3)
	v_xor_b32_e32 v37, s16, v154
	v_add_nc_u32_e32 v154, 0x420, v156
	s_delay_alu instid0(VALU_DEP_3) | instskip(SKIP_2) | instid1(VALU_DEP_1)
	v_and_b32_e32 v153, v152, v153
	ds_load_b32 v152, v156 offset:1056
	; wave barrier
	v_and_b32_e32 v37, v153, v37
	v_mbcnt_lo_u32_b32 v153, v37, 0
	v_cmp_ne_u32_e64 s16, 0, v37
	s_delay_alu instid0(VALU_DEP_2) | instskip(NEXT) | instid1(VALU_DEP_2)
	v_cmp_eq_u32_e32 vcc_lo, 0, v153
	s_and_b32 s17, s16, vcc_lo
	s_delay_alu instid0(SALU_CYCLE_1)
	s_and_saveexec_b32 s16, s17
	s_cbranch_execz .LBB608_138
; %bb.137:                              ;   in Loop: Header=BB608_98 Depth=2
	s_waitcnt lgkmcnt(0)
	v_bcnt_u32_b32 v37, v37, v152
	ds_store_b32 v154, v37
.LBB608_138:                            ;   in Loop: Header=BB608_98 Depth=2
	s_or_b32 exec_lo, exec_lo, s16
	v_xor_b32_e32 v151, 0x80000000, v151
	; wave barrier
	s_delay_alu instid0(VALU_DEP_1) | instskip(NEXT) | instid1(VALU_DEP_1)
	v_lshrrev_b32_e32 v37, s38, v151
	v_and_b32_e32 v37, s39, v37
	s_delay_alu instid0(VALU_DEP_1)
	v_and_b32_e32 v156, 1, v37
	v_lshlrev_b32_e32 v157, 30, v37
	v_lshlrev_b32_e32 v158, 29, v37
	;; [unrolled: 1-line block ×4, first 2 shown]
	v_add_co_u32 v156, s16, v156, -1
	s_delay_alu instid0(VALU_DEP_1)
	v_cndmask_b32_e64 v161, 0, 1, s16
	v_not_b32_e32 v166, v157
	v_cmp_gt_i32_e64 s16, 0, v157
	v_not_b32_e32 v157, v158
	v_lshlrev_b32_e32 v164, 26, v37
	v_cmp_ne_u32_e32 vcc_lo, 0, v161
	v_ashrrev_i32_e32 v166, 31, v166
	v_lshlrev_b32_e32 v165, 25, v37
	v_ashrrev_i32_e32 v157, 31, v157
	v_lshlrev_b32_e32 v161, 24, v37
	v_xor_b32_e32 v156, vcc_lo, v156
	v_cmp_gt_i32_e32 vcc_lo, 0, v158
	v_not_b32_e32 v158, v160
	v_xor_b32_e32 v166, s16, v166
	v_cmp_gt_i32_e64 s16, 0, v160
	v_and_b32_e32 v156, exec_lo, v156
	v_not_b32_e32 v160, v162
	v_ashrrev_i32_e32 v158, 31, v158
	v_xor_b32_e32 v157, vcc_lo, v157
	v_cmp_gt_i32_e32 vcc_lo, 0, v162
	v_and_b32_e32 v156, v156, v166
	v_not_b32_e32 v162, v164
	v_ashrrev_i32_e32 v160, 31, v160
	v_xor_b32_e32 v158, s16, v158
	v_cmp_gt_i32_e64 s16, 0, v164
	v_and_b32_e32 v156, v156, v157
	v_not_b32_e32 v157, v165
	v_ashrrev_i32_e32 v162, 31, v162
	v_xor_b32_e32 v160, vcc_lo, v160
	v_cmp_gt_i32_e32 vcc_lo, 0, v165
	v_and_b32_e32 v156, v156, v158
	v_not_b32_e32 v158, v161
	v_ashrrev_i32_e32 v157, 31, v157
	v_xor_b32_e32 v162, s16, v162
	v_mul_u32_u24_e32 v37, 9, v37
	v_and_b32_e32 v156, v156, v160
	v_cmp_gt_i32_e64 s16, 0, v161
	v_ashrrev_i32_e32 v158, 31, v158
	v_xor_b32_e32 v157, vcc_lo, v157
	v_add_lshl_u32 v160, v37, v128, 2
	v_and_b32_e32 v156, v156, v162
	s_delay_alu instid0(VALU_DEP_4) | instskip(NEXT) | instid1(VALU_DEP_3)
	v_xor_b32_e32 v37, s16, v158
	v_add_nc_u32_e32 v158, 0x420, v160
	s_delay_alu instid0(VALU_DEP_3) | instskip(SKIP_2) | instid1(VALU_DEP_1)
	v_and_b32_e32 v157, v156, v157
	ds_load_b32 v156, v160 offset:1056
	; wave barrier
	v_and_b32_e32 v37, v157, v37
	v_mbcnt_lo_u32_b32 v157, v37, 0
	v_cmp_ne_u32_e64 s16, 0, v37
	s_delay_alu instid0(VALU_DEP_2) | instskip(NEXT) | instid1(VALU_DEP_2)
	v_cmp_eq_u32_e32 vcc_lo, 0, v157
	s_and_b32 s17, s16, vcc_lo
	s_delay_alu instid0(SALU_CYCLE_1)
	s_and_saveexec_b32 s16, s17
	s_cbranch_execz .LBB608_140
; %bb.139:                              ;   in Loop: Header=BB608_98 Depth=2
	s_waitcnt lgkmcnt(0)
	v_bcnt_u32_b32 v37, v37, v156
	ds_store_b32 v158, v37
.LBB608_140:                            ;   in Loop: Header=BB608_98 Depth=2
	s_or_b32 exec_lo, exec_lo, s16
	v_xor_b32_e32 v155, 0x80000000, v155
	; wave barrier
	s_delay_alu instid0(VALU_DEP_1) | instskip(NEXT) | instid1(VALU_DEP_1)
	v_lshrrev_b32_e32 v37, s38, v155
	v_and_b32_e32 v37, s39, v37
	s_delay_alu instid0(VALU_DEP_1)
	v_and_b32_e32 v160, 1, v37
	v_lshlrev_b32_e32 v161, 30, v37
	v_lshlrev_b32_e32 v162, 29, v37
	;; [unrolled: 1-line block ×4, first 2 shown]
	v_add_co_u32 v160, s16, v160, -1
	s_delay_alu instid0(VALU_DEP_1)
	v_cndmask_b32_e64 v165, 0, 1, s16
	v_not_b32_e32 v170, v161
	v_cmp_gt_i32_e64 s16, 0, v161
	v_not_b32_e32 v161, v162
	v_lshlrev_b32_e32 v168, 26, v37
	v_cmp_ne_u32_e32 vcc_lo, 0, v165
	v_ashrrev_i32_e32 v170, 31, v170
	v_lshlrev_b32_e32 v169, 25, v37
	v_ashrrev_i32_e32 v161, 31, v161
	v_lshlrev_b32_e32 v165, 24, v37
	v_xor_b32_e32 v160, vcc_lo, v160
	v_cmp_gt_i32_e32 vcc_lo, 0, v162
	v_not_b32_e32 v162, v164
	v_xor_b32_e32 v170, s16, v170
	v_cmp_gt_i32_e64 s16, 0, v164
	v_and_b32_e32 v160, exec_lo, v160
	v_not_b32_e32 v164, v166
	v_ashrrev_i32_e32 v162, 31, v162
	v_xor_b32_e32 v161, vcc_lo, v161
	v_cmp_gt_i32_e32 vcc_lo, 0, v166
	v_and_b32_e32 v160, v160, v170
	v_not_b32_e32 v166, v168
	v_ashrrev_i32_e32 v164, 31, v164
	v_xor_b32_e32 v162, s16, v162
	v_cmp_gt_i32_e64 s16, 0, v168
	v_and_b32_e32 v160, v160, v161
	v_not_b32_e32 v161, v169
	v_ashrrev_i32_e32 v166, 31, v166
	v_xor_b32_e32 v164, vcc_lo, v164
	v_cmp_gt_i32_e32 vcc_lo, 0, v169
	v_and_b32_e32 v160, v160, v162
	v_not_b32_e32 v162, v165
	v_ashrrev_i32_e32 v161, 31, v161
	v_xor_b32_e32 v166, s16, v166
	v_mul_u32_u24_e32 v37, 9, v37
	v_and_b32_e32 v160, v160, v164
	v_cmp_gt_i32_e64 s16, 0, v165
	v_ashrrev_i32_e32 v162, 31, v162
	v_xor_b32_e32 v161, vcc_lo, v161
	v_add_lshl_u32 v164, v37, v128, 2
	v_and_b32_e32 v160, v160, v166
	s_delay_alu instid0(VALU_DEP_4) | instskip(NEXT) | instid1(VALU_DEP_3)
	v_xor_b32_e32 v37, s16, v162
	v_add_nc_u32_e32 v162, 0x420, v164
	s_delay_alu instid0(VALU_DEP_3) | instskip(SKIP_2) | instid1(VALU_DEP_1)
	v_and_b32_e32 v161, v160, v161
	ds_load_b32 v160, v164 offset:1056
	; wave barrier
	v_and_b32_e32 v37, v161, v37
	v_mbcnt_lo_u32_b32 v161, v37, 0
	v_cmp_ne_u32_e64 s16, 0, v37
	s_delay_alu instid0(VALU_DEP_2) | instskip(NEXT) | instid1(VALU_DEP_2)
	v_cmp_eq_u32_e32 vcc_lo, 0, v161
	s_and_b32 s17, s16, vcc_lo
	s_delay_alu instid0(SALU_CYCLE_1)
	s_and_saveexec_b32 s16, s17
	s_cbranch_execz .LBB608_142
; %bb.141:                              ;   in Loop: Header=BB608_98 Depth=2
	s_waitcnt lgkmcnt(0)
	v_bcnt_u32_b32 v37, v37, v160
	ds_store_b32 v162, v37
.LBB608_142:                            ;   in Loop: Header=BB608_98 Depth=2
	s_or_b32 exec_lo, exec_lo, s16
	v_xor_b32_e32 v159, 0x80000000, v159
	; wave barrier
	s_delay_alu instid0(VALU_DEP_1) | instskip(NEXT) | instid1(VALU_DEP_1)
	v_lshrrev_b32_e32 v37, s38, v159
	v_and_b32_e32 v37, s39, v37
	s_delay_alu instid0(VALU_DEP_1)
	v_and_b32_e32 v164, 1, v37
	v_lshlrev_b32_e32 v165, 30, v37
	v_lshlrev_b32_e32 v166, 29, v37
	;; [unrolled: 1-line block ×4, first 2 shown]
	v_add_co_u32 v164, s16, v164, -1
	s_delay_alu instid0(VALU_DEP_1)
	v_cndmask_b32_e64 v169, 0, 1, s16
	v_not_b32_e32 v175, v165
	v_cmp_gt_i32_e64 s16, 0, v165
	v_not_b32_e32 v165, v166
	v_lshlrev_b32_e32 v173, 26, v37
	v_cmp_ne_u32_e32 vcc_lo, 0, v169
	v_ashrrev_i32_e32 v175, 31, v175
	v_lshlrev_b32_e32 v174, 25, v37
	v_ashrrev_i32_e32 v165, 31, v165
	v_lshlrev_b32_e32 v169, 24, v37
	v_xor_b32_e32 v164, vcc_lo, v164
	v_cmp_gt_i32_e32 vcc_lo, 0, v166
	v_not_b32_e32 v166, v168
	v_xor_b32_e32 v175, s16, v175
	v_cmp_gt_i32_e64 s16, 0, v168
	v_and_b32_e32 v164, exec_lo, v164
	v_not_b32_e32 v168, v170
	v_ashrrev_i32_e32 v166, 31, v166
	v_xor_b32_e32 v165, vcc_lo, v165
	v_cmp_gt_i32_e32 vcc_lo, 0, v170
	v_and_b32_e32 v164, v164, v175
	v_not_b32_e32 v170, v173
	v_ashrrev_i32_e32 v168, 31, v168
	v_xor_b32_e32 v166, s16, v166
	v_cmp_gt_i32_e64 s16, 0, v173
	v_and_b32_e32 v164, v164, v165
	v_not_b32_e32 v165, v174
	v_ashrrev_i32_e32 v170, 31, v170
	v_xor_b32_e32 v168, vcc_lo, v168
	v_cmp_gt_i32_e32 vcc_lo, 0, v174
	v_and_b32_e32 v164, v164, v166
	v_not_b32_e32 v166, v169
	v_ashrrev_i32_e32 v165, 31, v165
	v_xor_b32_e32 v170, s16, v170
	v_mul_u32_u24_e32 v37, 9, v37
	v_and_b32_e32 v164, v164, v168
	v_cmp_gt_i32_e64 s16, 0, v169
	v_ashrrev_i32_e32 v166, 31, v166
	v_xor_b32_e32 v165, vcc_lo, v165
	v_add_lshl_u32 v168, v37, v128, 2
	v_and_b32_e32 v164, v164, v170
	s_delay_alu instid0(VALU_DEP_4) | instskip(NEXT) | instid1(VALU_DEP_3)
	v_xor_b32_e32 v37, s16, v166
	v_add_nc_u32_e32 v166, 0x420, v168
	s_delay_alu instid0(VALU_DEP_3) | instskip(SKIP_2) | instid1(VALU_DEP_1)
	v_and_b32_e32 v165, v164, v165
	ds_load_b32 v164, v168 offset:1056
	; wave barrier
	v_and_b32_e32 v37, v165, v37
	v_mbcnt_lo_u32_b32 v165, v37, 0
	v_cmp_ne_u32_e64 s16, 0, v37
	s_delay_alu instid0(VALU_DEP_2) | instskip(NEXT) | instid1(VALU_DEP_2)
	v_cmp_eq_u32_e32 vcc_lo, 0, v165
	s_and_b32 s17, s16, vcc_lo
	s_delay_alu instid0(SALU_CYCLE_1)
	s_and_saveexec_b32 s16, s17
	s_cbranch_execz .LBB608_144
; %bb.143:                              ;   in Loop: Header=BB608_98 Depth=2
	s_waitcnt lgkmcnt(0)
	v_bcnt_u32_b32 v37, v37, v164
	ds_store_b32 v166, v37
.LBB608_144:                            ;   in Loop: Header=BB608_98 Depth=2
	s_or_b32 exec_lo, exec_lo, s16
	v_xor_b32_e32 v163, 0x80000000, v163
	; wave barrier
	s_delay_alu instid0(VALU_DEP_1) | instskip(NEXT) | instid1(VALU_DEP_1)
	v_lshrrev_b32_e32 v37, s38, v163
	v_and_b32_e32 v37, s39, v37
	s_delay_alu instid0(VALU_DEP_1)
	v_and_b32_e32 v168, 1, v37
	v_lshlrev_b32_e32 v169, 30, v37
	v_lshlrev_b32_e32 v170, 29, v37
	;; [unrolled: 1-line block ×4, first 2 shown]
	v_add_co_u32 v168, s16, v168, -1
	s_delay_alu instid0(VALU_DEP_1)
	v_cndmask_b32_e64 v174, 0, 1, s16
	v_not_b32_e32 v178, v169
	v_cmp_gt_i32_e64 s16, 0, v169
	v_not_b32_e32 v169, v170
	v_lshlrev_b32_e32 v176, 26, v37
	v_cmp_ne_u32_e32 vcc_lo, 0, v174
	v_ashrrev_i32_e32 v178, 31, v178
	v_lshlrev_b32_e32 v177, 25, v37
	v_ashrrev_i32_e32 v169, 31, v169
	v_lshlrev_b32_e32 v174, 24, v37
	v_xor_b32_e32 v168, vcc_lo, v168
	v_cmp_gt_i32_e32 vcc_lo, 0, v170
	v_not_b32_e32 v170, v173
	v_xor_b32_e32 v178, s16, v178
	v_cmp_gt_i32_e64 s16, 0, v173
	v_and_b32_e32 v168, exec_lo, v168
	v_not_b32_e32 v173, v175
	v_ashrrev_i32_e32 v170, 31, v170
	v_xor_b32_e32 v169, vcc_lo, v169
	v_cmp_gt_i32_e32 vcc_lo, 0, v175
	v_and_b32_e32 v168, v168, v178
	v_not_b32_e32 v175, v176
	v_ashrrev_i32_e32 v173, 31, v173
	v_xor_b32_e32 v170, s16, v170
	v_cmp_gt_i32_e64 s16, 0, v176
	v_and_b32_e32 v168, v168, v169
	v_not_b32_e32 v169, v177
	v_ashrrev_i32_e32 v175, 31, v175
	v_xor_b32_e32 v173, vcc_lo, v173
	v_cmp_gt_i32_e32 vcc_lo, 0, v177
	v_and_b32_e32 v168, v168, v170
	v_not_b32_e32 v170, v174
	v_ashrrev_i32_e32 v169, 31, v169
	v_xor_b32_e32 v175, s16, v175
	v_mul_u32_u24_e32 v37, 9, v37
	v_and_b32_e32 v168, v168, v173
	v_cmp_gt_i32_e64 s16, 0, v174
	v_ashrrev_i32_e32 v170, 31, v170
	v_xor_b32_e32 v169, vcc_lo, v169
	v_add_lshl_u32 v173, v37, v128, 2
	v_and_b32_e32 v168, v168, v175
	s_delay_alu instid0(VALU_DEP_4) | instskip(NEXT) | instid1(VALU_DEP_3)
	v_xor_b32_e32 v37, s16, v170
	v_add_nc_u32_e32 v170, 0x420, v173
	s_delay_alu instid0(VALU_DEP_3) | instskip(SKIP_2) | instid1(VALU_DEP_1)
	v_and_b32_e32 v169, v168, v169
	ds_load_b32 v168, v173 offset:1056
	; wave barrier
	v_and_b32_e32 v37, v169, v37
	v_mbcnt_lo_u32_b32 v169, v37, 0
	v_cmp_ne_u32_e64 s16, 0, v37
	s_delay_alu instid0(VALU_DEP_2) | instskip(NEXT) | instid1(VALU_DEP_2)
	v_cmp_eq_u32_e32 vcc_lo, 0, v169
	s_and_b32 s17, s16, vcc_lo
	s_delay_alu instid0(SALU_CYCLE_1)
	s_and_saveexec_b32 s16, s17
	s_cbranch_execz .LBB608_146
; %bb.145:                              ;   in Loop: Header=BB608_98 Depth=2
	s_waitcnt lgkmcnt(0)
	v_bcnt_u32_b32 v37, v37, v168
	ds_store_b32 v170, v37
.LBB608_146:                            ;   in Loop: Header=BB608_98 Depth=2
	s_or_b32 exec_lo, exec_lo, s16
	v_xor_b32_e32 v167, 0x80000000, v167
	; wave barrier
	s_delay_alu instid0(VALU_DEP_1) | instskip(NEXT) | instid1(VALU_DEP_1)
	v_lshrrev_b32_e32 v37, s38, v167
	v_and_b32_e32 v37, s39, v37
	s_delay_alu instid0(VALU_DEP_1)
	v_and_b32_e32 v173, 1, v37
	v_lshlrev_b32_e32 v174, 30, v37
	v_lshlrev_b32_e32 v175, 29, v37
	;; [unrolled: 1-line block ×4, first 2 shown]
	v_add_co_u32 v173, s16, v173, -1
	s_delay_alu instid0(VALU_DEP_1)
	v_cndmask_b32_e64 v177, 0, 1, s16
	v_not_b32_e32 v181, v174
	v_cmp_gt_i32_e64 s16, 0, v174
	v_not_b32_e32 v174, v175
	v_lshlrev_b32_e32 v179, 26, v37
	v_cmp_ne_u32_e32 vcc_lo, 0, v177
	v_ashrrev_i32_e32 v181, 31, v181
	v_lshlrev_b32_e32 v180, 25, v37
	v_ashrrev_i32_e32 v174, 31, v174
	v_lshlrev_b32_e32 v177, 24, v37
	v_xor_b32_e32 v173, vcc_lo, v173
	v_cmp_gt_i32_e32 vcc_lo, 0, v175
	v_not_b32_e32 v175, v176
	v_xor_b32_e32 v181, s16, v181
	v_cmp_gt_i32_e64 s16, 0, v176
	v_and_b32_e32 v173, exec_lo, v173
	v_not_b32_e32 v176, v178
	v_ashrrev_i32_e32 v175, 31, v175
	v_xor_b32_e32 v174, vcc_lo, v174
	v_cmp_gt_i32_e32 vcc_lo, 0, v178
	v_and_b32_e32 v173, v173, v181
	v_not_b32_e32 v178, v179
	v_ashrrev_i32_e32 v176, 31, v176
	v_xor_b32_e32 v175, s16, v175
	v_cmp_gt_i32_e64 s16, 0, v179
	v_and_b32_e32 v173, v173, v174
	v_not_b32_e32 v174, v180
	v_ashrrev_i32_e32 v178, 31, v178
	v_xor_b32_e32 v176, vcc_lo, v176
	v_cmp_gt_i32_e32 vcc_lo, 0, v180
	v_and_b32_e32 v173, v173, v175
	v_not_b32_e32 v175, v177
	v_ashrrev_i32_e32 v174, 31, v174
	v_xor_b32_e32 v178, s16, v178
	v_mul_u32_u24_e32 v37, 9, v37
	v_and_b32_e32 v173, v173, v176
	v_cmp_gt_i32_e64 s16, 0, v177
	v_ashrrev_i32_e32 v175, 31, v175
	v_xor_b32_e32 v174, vcc_lo, v174
	v_add_lshl_u32 v176, v37, v128, 2
	v_and_b32_e32 v173, v173, v178
	s_delay_alu instid0(VALU_DEP_4) | instskip(NEXT) | instid1(VALU_DEP_3)
	v_xor_b32_e32 v37, s16, v175
	v_add_nc_u32_e32 v175, 0x420, v176
	s_delay_alu instid0(VALU_DEP_3) | instskip(SKIP_2) | instid1(VALU_DEP_1)
	v_and_b32_e32 v174, v173, v174
	ds_load_b32 v173, v176 offset:1056
	; wave barrier
	v_and_b32_e32 v37, v174, v37
	v_mbcnt_lo_u32_b32 v174, v37, 0
	v_cmp_ne_u32_e64 s16, 0, v37
	s_delay_alu instid0(VALU_DEP_2) | instskip(NEXT) | instid1(VALU_DEP_2)
	v_cmp_eq_u32_e32 vcc_lo, 0, v174
	s_and_b32 s17, s16, vcc_lo
	s_delay_alu instid0(SALU_CYCLE_1)
	s_and_saveexec_b32 s16, s17
	s_cbranch_execz .LBB608_148
; %bb.147:                              ;   in Loop: Header=BB608_98 Depth=2
	s_waitcnt lgkmcnt(0)
	v_bcnt_u32_b32 v37, v37, v173
	ds_store_b32 v175, v37
.LBB608_148:                            ;   in Loop: Header=BB608_98 Depth=2
	s_or_b32 exec_lo, exec_lo, s16
	v_xor_b32_e32 v172, 0x80000000, v172
	; wave barrier
	s_delay_alu instid0(VALU_DEP_1) | instskip(NEXT) | instid1(VALU_DEP_1)
	v_lshrrev_b32_e32 v37, s38, v172
	v_and_b32_e32 v37, s39, v37
	s_delay_alu instid0(VALU_DEP_1)
	v_and_b32_e32 v176, 1, v37
	v_lshlrev_b32_e32 v177, 30, v37
	v_lshlrev_b32_e32 v178, 29, v37
	;; [unrolled: 1-line block ×4, first 2 shown]
	v_add_co_u32 v176, s16, v176, -1
	s_delay_alu instid0(VALU_DEP_1)
	v_cndmask_b32_e64 v180, 0, 1, s16
	v_not_b32_e32 v184, v177
	v_cmp_gt_i32_e64 s16, 0, v177
	v_not_b32_e32 v177, v178
	v_lshlrev_b32_e32 v182, 26, v37
	v_cmp_ne_u32_e32 vcc_lo, 0, v180
	v_ashrrev_i32_e32 v184, 31, v184
	v_lshlrev_b32_e32 v183, 25, v37
	v_ashrrev_i32_e32 v177, 31, v177
	v_lshlrev_b32_e32 v180, 24, v37
	v_xor_b32_e32 v176, vcc_lo, v176
	v_cmp_gt_i32_e32 vcc_lo, 0, v178
	v_not_b32_e32 v178, v179
	v_xor_b32_e32 v184, s16, v184
	v_cmp_gt_i32_e64 s16, 0, v179
	v_and_b32_e32 v176, exec_lo, v176
	v_not_b32_e32 v179, v181
	v_ashrrev_i32_e32 v178, 31, v178
	v_xor_b32_e32 v177, vcc_lo, v177
	v_cmp_gt_i32_e32 vcc_lo, 0, v181
	v_and_b32_e32 v176, v176, v184
	v_not_b32_e32 v181, v182
	v_ashrrev_i32_e32 v179, 31, v179
	v_xor_b32_e32 v178, s16, v178
	v_cmp_gt_i32_e64 s16, 0, v182
	v_and_b32_e32 v176, v176, v177
	v_not_b32_e32 v177, v183
	v_ashrrev_i32_e32 v181, 31, v181
	v_xor_b32_e32 v179, vcc_lo, v179
	v_cmp_gt_i32_e32 vcc_lo, 0, v183
	v_and_b32_e32 v176, v176, v178
	v_not_b32_e32 v178, v180
	v_ashrrev_i32_e32 v177, 31, v177
	v_xor_b32_e32 v181, s16, v181
	v_mul_u32_u24_e32 v37, 9, v37
	v_and_b32_e32 v176, v176, v179
	v_cmp_gt_i32_e64 s16, 0, v180
	v_ashrrev_i32_e32 v178, 31, v178
	v_xor_b32_e32 v177, vcc_lo, v177
	v_add_lshl_u32 v179, v37, v128, 2
	v_and_b32_e32 v176, v176, v181
	s_delay_alu instid0(VALU_DEP_4) | instskip(NEXT) | instid1(VALU_DEP_3)
	v_xor_b32_e32 v37, s16, v178
	v_add_nc_u32_e32 v178, 0x420, v179
	s_delay_alu instid0(VALU_DEP_3) | instskip(SKIP_2) | instid1(VALU_DEP_1)
	v_and_b32_e32 v177, v176, v177
	ds_load_b32 v176, v179 offset:1056
	; wave barrier
	v_and_b32_e32 v37, v177, v37
	v_mbcnt_lo_u32_b32 v177, v37, 0
	v_cmp_ne_u32_e64 s16, 0, v37
	s_delay_alu instid0(VALU_DEP_2) | instskip(NEXT) | instid1(VALU_DEP_2)
	v_cmp_eq_u32_e32 vcc_lo, 0, v177
	s_and_b32 s17, s16, vcc_lo
	s_delay_alu instid0(SALU_CYCLE_1)
	s_and_saveexec_b32 s16, s17
	s_cbranch_execz .LBB608_150
; %bb.149:                              ;   in Loop: Header=BB608_98 Depth=2
	s_waitcnt lgkmcnt(0)
	v_bcnt_u32_b32 v37, v37, v176
	ds_store_b32 v178, v37
.LBB608_150:                            ;   in Loop: Header=BB608_98 Depth=2
	s_or_b32 exec_lo, exec_lo, s16
	v_xor_b32_e32 v171, 0x80000000, v171
	; wave barrier
	s_delay_alu instid0(VALU_DEP_1) | instskip(NEXT) | instid1(VALU_DEP_1)
	v_lshrrev_b32_e32 v37, s38, v171
	v_and_b32_e32 v37, s39, v37
	s_delay_alu instid0(VALU_DEP_1)
	v_and_b32_e32 v179, 1, v37
	v_lshlrev_b32_e32 v180, 30, v37
	v_lshlrev_b32_e32 v181, 29, v37
	;; [unrolled: 1-line block ×4, first 2 shown]
	v_add_co_u32 v179, s16, v179, -1
	s_delay_alu instid0(VALU_DEP_1)
	v_cndmask_b32_e64 v183, 0, 1, s16
	v_not_b32_e32 v187, v180
	v_cmp_gt_i32_e64 s16, 0, v180
	v_not_b32_e32 v180, v181
	v_lshlrev_b32_e32 v185, 26, v37
	v_cmp_ne_u32_e32 vcc_lo, 0, v183
	v_ashrrev_i32_e32 v187, 31, v187
	v_lshlrev_b32_e32 v186, 25, v37
	v_ashrrev_i32_e32 v180, 31, v180
	v_lshlrev_b32_e32 v183, 24, v37
	v_xor_b32_e32 v179, vcc_lo, v179
	v_cmp_gt_i32_e32 vcc_lo, 0, v181
	v_not_b32_e32 v181, v182
	v_xor_b32_e32 v187, s16, v187
	v_cmp_gt_i32_e64 s16, 0, v182
	v_and_b32_e32 v179, exec_lo, v179
	v_not_b32_e32 v182, v184
	v_ashrrev_i32_e32 v181, 31, v181
	v_xor_b32_e32 v180, vcc_lo, v180
	v_cmp_gt_i32_e32 vcc_lo, 0, v184
	v_and_b32_e32 v179, v179, v187
	v_not_b32_e32 v184, v185
	v_ashrrev_i32_e32 v182, 31, v182
	v_xor_b32_e32 v181, s16, v181
	v_cmp_gt_i32_e64 s16, 0, v185
	v_and_b32_e32 v179, v179, v180
	v_not_b32_e32 v180, v186
	v_ashrrev_i32_e32 v184, 31, v184
	v_xor_b32_e32 v182, vcc_lo, v182
	v_cmp_gt_i32_e32 vcc_lo, 0, v186
	v_and_b32_e32 v179, v179, v181
	v_not_b32_e32 v181, v183
	v_ashrrev_i32_e32 v180, 31, v180
	v_xor_b32_e32 v184, s16, v184
	v_mul_u32_u24_e32 v37, 9, v37
	v_and_b32_e32 v179, v179, v182
	v_cmp_gt_i32_e64 s16, 0, v183
	v_ashrrev_i32_e32 v181, 31, v181
	v_xor_b32_e32 v180, vcc_lo, v180
	v_add_lshl_u32 v182, v37, v128, 2
	v_and_b32_e32 v179, v179, v184
	s_delay_alu instid0(VALU_DEP_4) | instskip(NEXT) | instid1(VALU_DEP_2)
	v_xor_b32_e32 v37, s16, v181
	v_and_b32_e32 v179, v179, v180
	ds_load_b32 v180, v182 offset:1056
	v_add_nc_u32_e32 v182, 0x420, v182
	; wave barrier
	v_and_b32_e32 v37, v179, v37
	s_delay_alu instid0(VALU_DEP_1) | instskip(SKIP_1) | instid1(VALU_DEP_2)
	v_mbcnt_lo_u32_b32 v181, v37, 0
	v_cmp_ne_u32_e64 s16, 0, v37
	v_cmp_eq_u32_e32 vcc_lo, 0, v181
	s_delay_alu instid0(VALU_DEP_2) | instskip(NEXT) | instid1(SALU_CYCLE_1)
	s_and_b32 s17, s16, vcc_lo
	s_and_saveexec_b32 s16, s17
	s_cbranch_execz .LBB608_152
; %bb.151:                              ;   in Loop: Header=BB608_98 Depth=2
	s_waitcnt lgkmcnt(0)
	v_bcnt_u32_b32 v37, v37, v180
	ds_store_b32 v182, v37
.LBB608_152:                            ;   in Loop: Header=BB608_98 Depth=2
	s_or_b32 exec_lo, exec_lo, s16
	v_xor_b32_e32 v179, 0x80000000, v43
	; wave barrier
	s_delay_alu instid0(VALU_DEP_1) | instskip(NEXT) | instid1(VALU_DEP_1)
	v_lshrrev_b32_e32 v37, s38, v179
	v_and_b32_e32 v37, s39, v37
	s_delay_alu instid0(VALU_DEP_1)
	v_and_b32_e32 v43, 1, v37
	v_lshlrev_b32_e32 v183, 30, v37
	v_lshlrev_b32_e32 v184, 29, v37
	;; [unrolled: 1-line block ×4, first 2 shown]
	v_add_co_u32 v43, s16, v43, -1
	s_delay_alu instid0(VALU_DEP_1)
	v_cndmask_b32_e64 v186, 0, 1, s16
	v_not_b32_e32 v190, v183
	v_cmp_gt_i32_e64 s16, 0, v183
	v_not_b32_e32 v183, v184
	v_lshlrev_b32_e32 v188, 26, v37
	v_cmp_ne_u32_e32 vcc_lo, 0, v186
	v_ashrrev_i32_e32 v190, 31, v190
	v_lshlrev_b32_e32 v189, 25, v37
	v_ashrrev_i32_e32 v183, 31, v183
	v_lshlrev_b32_e32 v186, 24, v37
	v_xor_b32_e32 v43, vcc_lo, v43
	v_cmp_gt_i32_e32 vcc_lo, 0, v184
	v_not_b32_e32 v184, v185
	v_xor_b32_e32 v190, s16, v190
	v_cmp_gt_i32_e64 s16, 0, v185
	v_and_b32_e32 v43, exec_lo, v43
	v_not_b32_e32 v185, v187
	v_ashrrev_i32_e32 v184, 31, v184
	v_xor_b32_e32 v183, vcc_lo, v183
	v_cmp_gt_i32_e32 vcc_lo, 0, v187
	v_and_b32_e32 v43, v43, v190
	v_not_b32_e32 v187, v188
	v_ashrrev_i32_e32 v185, 31, v185
	v_xor_b32_e32 v184, s16, v184
	v_cmp_gt_i32_e64 s16, 0, v188
	v_and_b32_e32 v43, v43, v183
	v_not_b32_e32 v183, v189
	v_ashrrev_i32_e32 v187, 31, v187
	v_xor_b32_e32 v185, vcc_lo, v185
	v_cmp_gt_i32_e32 vcc_lo, 0, v189
	v_and_b32_e32 v43, v43, v184
	v_not_b32_e32 v184, v186
	v_ashrrev_i32_e32 v183, 31, v183
	v_xor_b32_e32 v187, s16, v187
	v_mul_u32_u24_e32 v37, 9, v37
	v_and_b32_e32 v43, v43, v185
	v_cmp_gt_i32_e64 s16, 0, v186
	v_ashrrev_i32_e32 v184, 31, v184
	v_xor_b32_e32 v183, vcc_lo, v183
	v_add_lshl_u32 v186, v37, v128, 2
	v_and_b32_e32 v43, v43, v187
	s_delay_alu instid0(VALU_DEP_4) | instskip(SKIP_3) | instid1(VALU_DEP_2)
	v_xor_b32_e32 v37, s16, v184
	ds_load_b32 v184, v186 offset:1056
	v_and_b32_e32 v43, v43, v183
	v_add_nc_u32_e32 v186, 0x420, v186
	; wave barrier
	v_and_b32_e32 v37, v43, v37
	s_delay_alu instid0(VALU_DEP_1) | instskip(SKIP_1) | instid1(VALU_DEP_2)
	v_mbcnt_lo_u32_b32 v185, v37, 0
	v_cmp_ne_u32_e64 s16, 0, v37
	v_cmp_eq_u32_e32 vcc_lo, 0, v185
	s_delay_alu instid0(VALU_DEP_2) | instskip(NEXT) | instid1(SALU_CYCLE_1)
	s_and_b32 s17, s16, vcc_lo
	s_and_saveexec_b32 s16, s17
	s_cbranch_execz .LBB608_154
; %bb.153:                              ;   in Loop: Header=BB608_98 Depth=2
	s_waitcnt lgkmcnt(0)
	v_bcnt_u32_b32 v37, v37, v184
	ds_store_b32 v186, v37
.LBB608_154:                            ;   in Loop: Header=BB608_98 Depth=2
	s_or_b32 exec_lo, exec_lo, s16
	v_xor_b32_e32 v183, 0x80000000, v42
	; wave barrier
	s_delay_alu instid0(VALU_DEP_1) | instskip(NEXT) | instid1(VALU_DEP_1)
	v_lshrrev_b32_e32 v37, s38, v183
	v_and_b32_e32 v37, s39, v37
	s_delay_alu instid0(VALU_DEP_1)
	v_and_b32_e32 v42, 1, v37
	v_lshlrev_b32_e32 v43, 30, v37
	v_lshlrev_b32_e32 v187, 29, v37
	;; [unrolled: 1-line block ×4, first 2 shown]
	v_add_co_u32 v42, s16, v42, -1
	s_delay_alu instid0(VALU_DEP_1)
	v_cndmask_b32_e64 v189, 0, 1, s16
	v_not_b32_e32 v193, v43
	v_cmp_gt_i32_e64 s16, 0, v43
	v_not_b32_e32 v43, v187
	v_lshlrev_b32_e32 v191, 26, v37
	v_cmp_ne_u32_e32 vcc_lo, 0, v189
	v_ashrrev_i32_e32 v193, 31, v193
	v_lshlrev_b32_e32 v192, 25, v37
	v_ashrrev_i32_e32 v43, 31, v43
	v_lshlrev_b32_e32 v189, 24, v37
	v_xor_b32_e32 v42, vcc_lo, v42
	v_cmp_gt_i32_e32 vcc_lo, 0, v187
	v_not_b32_e32 v187, v188
	v_xor_b32_e32 v193, s16, v193
	v_cmp_gt_i32_e64 s16, 0, v188
	v_and_b32_e32 v42, exec_lo, v42
	v_not_b32_e32 v188, v190
	v_ashrrev_i32_e32 v187, 31, v187
	v_xor_b32_e32 v43, vcc_lo, v43
	v_cmp_gt_i32_e32 vcc_lo, 0, v190
	v_and_b32_e32 v42, v42, v193
	v_not_b32_e32 v190, v191
	v_ashrrev_i32_e32 v188, 31, v188
	v_xor_b32_e32 v187, s16, v187
	v_cmp_gt_i32_e64 s16, 0, v191
	v_and_b32_e32 v42, v42, v43
	v_not_b32_e32 v43, v192
	v_ashrrev_i32_e32 v190, 31, v190
	v_xor_b32_e32 v188, vcc_lo, v188
	v_cmp_gt_i32_e32 vcc_lo, 0, v192
	v_and_b32_e32 v42, v42, v187
	v_not_b32_e32 v187, v189
	v_ashrrev_i32_e32 v43, 31, v43
	v_xor_b32_e32 v190, s16, v190
	v_mul_u32_u24_e32 v37, 9, v37
	v_and_b32_e32 v42, v42, v188
	v_cmp_gt_i32_e64 s16, 0, v189
	v_ashrrev_i32_e32 v187, 31, v187
	v_xor_b32_e32 v43, vcc_lo, v43
	s_delay_alu instid0(VALU_DEP_4) | instskip(SKIP_1) | instid1(VALU_DEP_4)
	v_and_b32_e32 v42, v42, v190
	v_add_lshl_u32 v190, v37, v128, 2
	v_xor_b32_e32 v37, s16, v187
	s_delay_alu instid0(VALU_DEP_3) | instskip(SKIP_3) | instid1(VALU_DEP_1)
	v_and_b32_e32 v42, v42, v43
	ds_load_b32 v188, v190 offset:1056
	v_add_nc_u32_e32 v190, 0x420, v190
	; wave barrier
	v_and_b32_e32 v37, v42, v37
	v_mbcnt_lo_u32_b32 v189, v37, 0
	v_cmp_ne_u32_e64 s16, 0, v37
	s_delay_alu instid0(VALU_DEP_2) | instskip(NEXT) | instid1(VALU_DEP_2)
	v_cmp_eq_u32_e32 vcc_lo, 0, v189
	s_and_b32 s17, s16, vcc_lo
	s_delay_alu instid0(SALU_CYCLE_1)
	s_and_saveexec_b32 s16, s17
	s_cbranch_execz .LBB608_156
; %bb.155:                              ;   in Loop: Header=BB608_98 Depth=2
	s_waitcnt lgkmcnt(0)
	v_bcnt_u32_b32 v37, v37, v188
	ds_store_b32 v190, v37
.LBB608_156:                            ;   in Loop: Header=BB608_98 Depth=2
	s_or_b32 exec_lo, exec_lo, s16
	v_xor_b32_e32 v187, 0x80000000, v41
	; wave barrier
	s_delay_alu instid0(VALU_DEP_1) | instskip(NEXT) | instid1(VALU_DEP_1)
	v_lshrrev_b32_e32 v37, s38, v187
	v_and_b32_e32 v37, s39, v37
	s_delay_alu instid0(VALU_DEP_1)
	v_and_b32_e32 v41, 1, v37
	v_lshlrev_b32_e32 v42, 30, v37
	v_lshlrev_b32_e32 v43, 29, v37
	;; [unrolled: 1-line block ×4, first 2 shown]
	v_add_co_u32 v41, s16, v41, -1
	s_delay_alu instid0(VALU_DEP_1)
	v_cndmask_b32_e64 v192, 0, 1, s16
	v_not_b32_e32 v196, v42
	v_cmp_gt_i32_e64 s16, 0, v42
	v_not_b32_e32 v42, v43
	v_lshlrev_b32_e32 v194, 26, v37
	v_cmp_ne_u32_e32 vcc_lo, 0, v192
	v_ashrrev_i32_e32 v196, 31, v196
	v_lshlrev_b32_e32 v195, 25, v37
	v_ashrrev_i32_e32 v42, 31, v42
	v_lshlrev_b32_e32 v192, 24, v37
	v_xor_b32_e32 v41, vcc_lo, v41
	v_cmp_gt_i32_e32 vcc_lo, 0, v43
	v_not_b32_e32 v43, v191
	v_xor_b32_e32 v196, s16, v196
	v_cmp_gt_i32_e64 s16, 0, v191
	v_and_b32_e32 v41, exec_lo, v41
	v_not_b32_e32 v191, v193
	v_ashrrev_i32_e32 v43, 31, v43
	v_xor_b32_e32 v42, vcc_lo, v42
	v_cmp_gt_i32_e32 vcc_lo, 0, v193
	v_and_b32_e32 v41, v41, v196
	v_not_b32_e32 v193, v194
	v_ashrrev_i32_e32 v191, 31, v191
	v_xor_b32_e32 v43, s16, v43
	v_cmp_gt_i32_e64 s16, 0, v194
	v_and_b32_e32 v41, v41, v42
	v_not_b32_e32 v42, v195
	v_ashrrev_i32_e32 v193, 31, v193
	v_xor_b32_e32 v191, vcc_lo, v191
	v_cmp_gt_i32_e32 vcc_lo, 0, v195
	v_and_b32_e32 v41, v41, v43
	v_not_b32_e32 v43, v192
	v_ashrrev_i32_e32 v42, 31, v42
	v_xor_b32_e32 v193, s16, v193
	v_mul_u32_u24_e32 v37, 9, v37
	v_and_b32_e32 v41, v41, v191
	v_cmp_gt_i32_e64 s16, 0, v192
	v_ashrrev_i32_e32 v43, 31, v43
	v_xor_b32_e32 v42, vcc_lo, v42
	v_add_lshl_u32 v191, v37, v128, 2
	v_and_b32_e32 v41, v41, v193
	s_delay_alu instid0(VALU_DEP_4) | instskip(SKIP_3) | instid1(VALU_DEP_2)
	v_xor_b32_e32 v37, s16, v43
	ds_load_b32 v192, v191 offset:1056
	v_and_b32_e32 v41, v41, v42
	v_add_nc_u32_e32 v194, 0x420, v191
	; wave barrier
	v_and_b32_e32 v37, v41, v37
	s_delay_alu instid0(VALU_DEP_1) | instskip(SKIP_1) | instid1(VALU_DEP_2)
	v_mbcnt_lo_u32_b32 v193, v37, 0
	v_cmp_ne_u32_e64 s16, 0, v37
	v_cmp_eq_u32_e32 vcc_lo, 0, v193
	s_delay_alu instid0(VALU_DEP_2) | instskip(NEXT) | instid1(SALU_CYCLE_1)
	s_and_b32 s17, s16, vcc_lo
	s_and_saveexec_b32 s16, s17
	s_cbranch_execz .LBB608_158
; %bb.157:                              ;   in Loop: Header=BB608_98 Depth=2
	s_waitcnt lgkmcnt(0)
	v_bcnt_u32_b32 v37, v37, v192
	ds_store_b32 v194, v37
.LBB608_158:                            ;   in Loop: Header=BB608_98 Depth=2
	s_or_b32 exec_lo, exec_lo, s16
	v_xor_b32_e32 v191, 0x80000000, v40
	; wave barrier
	s_delay_alu instid0(VALU_DEP_1) | instskip(NEXT) | instid1(VALU_DEP_1)
	v_lshrrev_b32_e32 v37, s38, v191
	v_and_b32_e32 v37, s39, v37
	s_delay_alu instid0(VALU_DEP_1)
	v_and_b32_e32 v40, 1, v37
	v_lshlrev_b32_e32 v41, 30, v37
	v_lshlrev_b32_e32 v42, 29, v37
	v_lshlrev_b32_e32 v43, 28, v37
	v_lshlrev_b32_e32 v196, 27, v37
	v_add_co_u32 v40, s16, v40, -1
	s_delay_alu instid0(VALU_DEP_1)
	v_cndmask_b32_e64 v195, 0, 1, s16
	v_not_b32_e32 v199, v41
	v_cmp_gt_i32_e64 s16, 0, v41
	v_not_b32_e32 v41, v42
	v_lshlrev_b32_e32 v197, 26, v37
	v_cmp_ne_u32_e32 vcc_lo, 0, v195
	v_ashrrev_i32_e32 v199, 31, v199
	v_lshlrev_b32_e32 v198, 25, v37
	v_ashrrev_i32_e32 v41, 31, v41
	v_lshlrev_b32_e32 v195, 24, v37
	v_xor_b32_e32 v40, vcc_lo, v40
	v_cmp_gt_i32_e32 vcc_lo, 0, v42
	v_not_b32_e32 v42, v43
	v_xor_b32_e32 v199, s16, v199
	v_cmp_gt_i32_e64 s16, 0, v43
	v_and_b32_e32 v40, exec_lo, v40
	v_not_b32_e32 v43, v196
	v_ashrrev_i32_e32 v42, 31, v42
	v_xor_b32_e32 v41, vcc_lo, v41
	v_cmp_gt_i32_e32 vcc_lo, 0, v196
	v_and_b32_e32 v40, v40, v199
	v_not_b32_e32 v196, v197
	v_ashrrev_i32_e32 v43, 31, v43
	v_xor_b32_e32 v42, s16, v42
	v_cmp_gt_i32_e64 s16, 0, v197
	v_and_b32_e32 v40, v40, v41
	v_not_b32_e32 v41, v198
	v_ashrrev_i32_e32 v196, 31, v196
	v_xor_b32_e32 v43, vcc_lo, v43
	v_cmp_gt_i32_e32 vcc_lo, 0, v198
	v_and_b32_e32 v40, v40, v42
	v_not_b32_e32 v42, v195
	v_ashrrev_i32_e32 v41, 31, v41
	v_xor_b32_e32 v196, s16, v196
	v_mul_u32_u24_e32 v37, 9, v37
	v_and_b32_e32 v40, v40, v43
	v_cmp_gt_i32_e64 s16, 0, v195
	v_ashrrev_i32_e32 v42, 31, v42
	v_xor_b32_e32 v41, vcc_lo, v41
	v_add_lshl_u32 v43, v37, v128, 2
	v_and_b32_e32 v40, v40, v196
	s_delay_alu instid0(VALU_DEP_4) | instskip(SKIP_3) | instid1(VALU_DEP_2)
	v_xor_b32_e32 v37, s16, v42
	ds_load_b32 v196, v43 offset:1056
	v_and_b32_e32 v40, v40, v41
	v_add_nc_u32_e32 v198, 0x420, v43
	; wave barrier
	v_and_b32_e32 v37, v40, v37
	s_delay_alu instid0(VALU_DEP_1) | instskip(SKIP_1) | instid1(VALU_DEP_2)
	v_mbcnt_lo_u32_b32 v197, v37, 0
	v_cmp_ne_u32_e64 s16, 0, v37
	v_cmp_eq_u32_e32 vcc_lo, 0, v197
	s_delay_alu instid0(VALU_DEP_2) | instskip(NEXT) | instid1(SALU_CYCLE_1)
	s_and_b32 s17, s16, vcc_lo
	s_and_saveexec_b32 s16, s17
	s_cbranch_execz .LBB608_160
; %bb.159:                              ;   in Loop: Header=BB608_98 Depth=2
	s_waitcnt lgkmcnt(0)
	v_bcnt_u32_b32 v37, v37, v196
	ds_store_b32 v198, v37
.LBB608_160:                            ;   in Loop: Header=BB608_98 Depth=2
	s_or_b32 exec_lo, exec_lo, s16
	v_xor_b32_e32 v195, 0x80000000, v39
	; wave barrier
	s_delay_alu instid0(VALU_DEP_1) | instskip(NEXT) | instid1(VALU_DEP_1)
	v_lshrrev_b32_e32 v37, s38, v195
	v_and_b32_e32 v37, s39, v37
	s_delay_alu instid0(VALU_DEP_1)
	v_and_b32_e32 v39, 1, v37
	v_lshlrev_b32_e32 v40, 30, v37
	v_lshlrev_b32_e32 v41, 29, v37
	;; [unrolled: 1-line block ×4, first 2 shown]
	v_add_co_u32 v39, s16, v39, -1
	s_delay_alu instid0(VALU_DEP_1)
	v_cndmask_b32_e64 v43, 0, 1, s16
	v_not_b32_e32 v202, v40
	v_cmp_gt_i32_e64 s16, 0, v40
	v_not_b32_e32 v40, v41
	v_lshlrev_b32_e32 v200, 26, v37
	v_cmp_ne_u32_e32 vcc_lo, 0, v43
	v_ashrrev_i32_e32 v202, 31, v202
	v_lshlrev_b32_e32 v201, 25, v37
	v_ashrrev_i32_e32 v40, 31, v40
	v_lshlrev_b32_e32 v43, 24, v37
	v_xor_b32_e32 v39, vcc_lo, v39
	v_cmp_gt_i32_e32 vcc_lo, 0, v41
	v_not_b32_e32 v41, v42
	v_xor_b32_e32 v202, s16, v202
	v_cmp_gt_i32_e64 s16, 0, v42
	v_and_b32_e32 v39, exec_lo, v39
	v_not_b32_e32 v42, v199
	v_ashrrev_i32_e32 v41, 31, v41
	v_xor_b32_e32 v40, vcc_lo, v40
	v_cmp_gt_i32_e32 vcc_lo, 0, v199
	v_and_b32_e32 v39, v39, v202
	v_not_b32_e32 v199, v200
	v_ashrrev_i32_e32 v42, 31, v42
	v_xor_b32_e32 v41, s16, v41
	v_cmp_gt_i32_e64 s16, 0, v200
	v_and_b32_e32 v39, v39, v40
	v_not_b32_e32 v40, v201
	v_ashrrev_i32_e32 v199, 31, v199
	v_xor_b32_e32 v42, vcc_lo, v42
	v_cmp_gt_i32_e32 vcc_lo, 0, v201
	v_and_b32_e32 v39, v39, v41
	v_not_b32_e32 v41, v43
	v_ashrrev_i32_e32 v40, 31, v40
	v_xor_b32_e32 v199, s16, v199
	v_mul_u32_u24_e32 v37, 9, v37
	v_and_b32_e32 v39, v39, v42
	v_cmp_gt_i32_e64 s16, 0, v43
	v_ashrrev_i32_e32 v41, 31, v41
	v_xor_b32_e32 v40, vcc_lo, v40
	v_add_lshl_u32 v42, v37, v128, 2
	v_and_b32_e32 v39, v39, v199
	s_delay_alu instid0(VALU_DEP_4) | instskip(SKIP_3) | instid1(VALU_DEP_2)
	v_xor_b32_e32 v37, s16, v41
	ds_load_b32 v200, v42 offset:1056
	v_and_b32_e32 v39, v39, v40
	v_add_nc_u32_e32 v202, 0x420, v42
	; wave barrier
	v_and_b32_e32 v37, v39, v37
	s_delay_alu instid0(VALU_DEP_1) | instskip(SKIP_1) | instid1(VALU_DEP_2)
	v_mbcnt_lo_u32_b32 v201, v37, 0
	v_cmp_ne_u32_e64 s16, 0, v37
	v_cmp_eq_u32_e32 vcc_lo, 0, v201
	s_delay_alu instid0(VALU_DEP_2) | instskip(NEXT) | instid1(SALU_CYCLE_1)
	s_and_b32 s17, s16, vcc_lo
	s_and_saveexec_b32 s16, s17
	s_cbranch_execz .LBB608_162
; %bb.161:                              ;   in Loop: Header=BB608_98 Depth=2
	s_waitcnt lgkmcnt(0)
	v_bcnt_u32_b32 v37, v37, v200
	ds_store_b32 v202, v37
.LBB608_162:                            ;   in Loop: Header=BB608_98 Depth=2
	s_or_b32 exec_lo, exec_lo, s16
	v_xor_b32_e32 v199, 0x80000000, v38
	; wave barrier
	s_delay_alu instid0(VALU_DEP_1) | instskip(NEXT) | instid1(VALU_DEP_1)
	v_lshrrev_b32_e32 v37, s38, v199
	v_and_b32_e32 v37, s39, v37
	s_delay_alu instid0(VALU_DEP_1)
	v_and_b32_e32 v38, 1, v37
	v_lshlrev_b32_e32 v39, 30, v37
	v_lshlrev_b32_e32 v40, 29, v37
	;; [unrolled: 1-line block ×4, first 2 shown]
	v_add_co_u32 v38, s16, v38, -1
	s_delay_alu instid0(VALU_DEP_1)
	v_cndmask_b32_e64 v42, 0, 1, s16
	v_not_b32_e32 v205, v39
	v_cmp_gt_i32_e64 s16, 0, v39
	v_not_b32_e32 v39, v40
	v_lshlrev_b32_e32 v203, 26, v37
	v_cmp_ne_u32_e32 vcc_lo, 0, v42
	v_ashrrev_i32_e32 v205, 31, v205
	v_lshlrev_b32_e32 v204, 25, v37
	v_ashrrev_i32_e32 v39, 31, v39
	v_lshlrev_b32_e32 v42, 24, v37
	v_xor_b32_e32 v38, vcc_lo, v38
	v_cmp_gt_i32_e32 vcc_lo, 0, v40
	v_not_b32_e32 v40, v41
	v_xor_b32_e32 v205, s16, v205
	v_cmp_gt_i32_e64 s16, 0, v41
	v_and_b32_e32 v38, exec_lo, v38
	v_not_b32_e32 v41, v43
	v_ashrrev_i32_e32 v40, 31, v40
	v_xor_b32_e32 v39, vcc_lo, v39
	v_cmp_gt_i32_e32 vcc_lo, 0, v43
	v_and_b32_e32 v38, v38, v205
	v_not_b32_e32 v43, v203
	v_ashrrev_i32_e32 v41, 31, v41
	v_xor_b32_e32 v40, s16, v40
	v_cmp_gt_i32_e64 s16, 0, v203
	v_and_b32_e32 v38, v38, v39
	v_not_b32_e32 v39, v204
	v_ashrrev_i32_e32 v43, 31, v43
	v_xor_b32_e32 v41, vcc_lo, v41
	v_cmp_gt_i32_e32 vcc_lo, 0, v204
	v_and_b32_e32 v38, v38, v40
	v_not_b32_e32 v40, v42
	v_ashrrev_i32_e32 v39, 31, v39
	v_xor_b32_e32 v43, s16, v43
	v_mul_u32_u24_e32 v37, 9, v37
	v_and_b32_e32 v38, v38, v41
	v_cmp_gt_i32_e64 s16, 0, v42
	v_ashrrev_i32_e32 v40, 31, v40
	v_xor_b32_e32 v39, vcc_lo, v39
	v_add_lshl_u32 v41, v37, v128, 2
	v_and_b32_e32 v38, v38, v43
	s_delay_alu instid0(VALU_DEP_4) | instskip(SKIP_3) | instid1(VALU_DEP_2)
	v_xor_b32_e32 v37, s16, v40
	ds_load_b32 v204, v41 offset:1056
	v_and_b32_e32 v38, v38, v39
	v_add_nc_u32_e32 v206, 0x420, v41
	; wave barrier
	v_and_b32_e32 v37, v38, v37
	s_delay_alu instid0(VALU_DEP_1) | instskip(SKIP_1) | instid1(VALU_DEP_2)
	v_mbcnt_lo_u32_b32 v205, v37, 0
	v_cmp_ne_u32_e64 s16, 0, v37
	v_cmp_eq_u32_e32 vcc_lo, 0, v205
	s_delay_alu instid0(VALU_DEP_2) | instskip(NEXT) | instid1(SALU_CYCLE_1)
	s_and_b32 s17, s16, vcc_lo
	s_and_saveexec_b32 s16, s17
	s_cbranch_execz .LBB608_164
; %bb.163:                              ;   in Loop: Header=BB608_98 Depth=2
	s_waitcnt lgkmcnt(0)
	v_bcnt_u32_b32 v37, v37, v204
	ds_store_b32 v206, v37
.LBB608_164:                            ;   in Loop: Header=BB608_98 Depth=2
	s_or_b32 exec_lo, exec_lo, s16
	v_xor_b32_e32 v203, 0x80000000, v36
	; wave barrier
	s_delay_alu instid0(VALU_DEP_1) | instskip(NEXT) | instid1(VALU_DEP_1)
	v_lshrrev_b32_e32 v36, s38, v203
	v_and_b32_e32 v36, s39, v36
	s_delay_alu instid0(VALU_DEP_1)
	v_and_b32_e32 v37, 1, v36
	v_lshlrev_b32_e32 v38, 30, v36
	v_lshlrev_b32_e32 v39, 29, v36
	;; [unrolled: 1-line block ×4, first 2 shown]
	v_add_co_u32 v37, s16, v37, -1
	s_delay_alu instid0(VALU_DEP_1)
	v_cndmask_b32_e64 v41, 0, 1, s16
	v_not_b32_e32 v208, v38
	v_cmp_gt_i32_e64 s16, 0, v38
	v_not_b32_e32 v38, v39
	v_lshlrev_b32_e32 v43, 26, v36
	v_cmp_ne_u32_e32 vcc_lo, 0, v41
	v_ashrrev_i32_e32 v208, 31, v208
	v_lshlrev_b32_e32 v207, 25, v36
	v_ashrrev_i32_e32 v38, 31, v38
	v_lshlrev_b32_e32 v41, 24, v36
	v_xor_b32_e32 v37, vcc_lo, v37
	v_cmp_gt_i32_e32 vcc_lo, 0, v39
	v_not_b32_e32 v39, v40
	v_xor_b32_e32 v208, s16, v208
	v_cmp_gt_i32_e64 s16, 0, v40
	v_and_b32_e32 v37, exec_lo, v37
	v_not_b32_e32 v40, v42
	v_ashrrev_i32_e32 v39, 31, v39
	v_xor_b32_e32 v38, vcc_lo, v38
	v_cmp_gt_i32_e32 vcc_lo, 0, v42
	v_and_b32_e32 v37, v37, v208
	v_not_b32_e32 v42, v43
	v_ashrrev_i32_e32 v40, 31, v40
	v_xor_b32_e32 v39, s16, v39
	v_cmp_gt_i32_e64 s16, 0, v43
	v_and_b32_e32 v37, v37, v38
	v_not_b32_e32 v38, v207
	v_ashrrev_i32_e32 v42, 31, v42
	v_xor_b32_e32 v40, vcc_lo, v40
	v_cmp_gt_i32_e32 vcc_lo, 0, v207
	v_and_b32_e32 v37, v37, v39
	v_not_b32_e32 v39, v41
	v_ashrrev_i32_e32 v38, 31, v38
	v_xor_b32_e32 v42, s16, v42
	v_mul_u32_u24_e32 v36, 9, v36
	v_and_b32_e32 v37, v37, v40
	v_cmp_gt_i32_e64 s16, 0, v41
	v_ashrrev_i32_e32 v39, 31, v39
	v_xor_b32_e32 v38, vcc_lo, v38
	v_add_lshl_u32 v40, v36, v128, 2
	v_and_b32_e32 v37, v37, v42
	s_delay_alu instid0(VALU_DEP_4) | instskip(SKIP_3) | instid1(VALU_DEP_2)
	v_xor_b32_e32 v36, s16, v39
	ds_load_b32 v207, v40 offset:1056
	v_and_b32_e32 v37, v37, v38
	v_add_nc_u32_e32 v209, 0x420, v40
	; wave barrier
	v_and_b32_e32 v36, v37, v36
	s_delay_alu instid0(VALU_DEP_1) | instskip(SKIP_1) | instid1(VALU_DEP_2)
	v_mbcnt_lo_u32_b32 v208, v36, 0
	v_cmp_ne_u32_e64 s16, 0, v36
	v_cmp_eq_u32_e32 vcc_lo, 0, v208
	s_delay_alu instid0(VALU_DEP_2) | instskip(NEXT) | instid1(SALU_CYCLE_1)
	s_and_b32 s17, s16, vcc_lo
	s_and_saveexec_b32 s16, s17
	s_cbranch_execz .LBB608_166
; %bb.165:                              ;   in Loop: Header=BB608_98 Depth=2
	s_waitcnt lgkmcnt(0)
	v_bcnt_u32_b32 v36, v36, v207
	ds_store_b32 v209, v36
.LBB608_166:                            ;   in Loop: Header=BB608_98 Depth=2
	s_or_b32 exec_lo, exec_lo, s16
	; wave barrier
	s_waitcnt lgkmcnt(0)
	s_barrier
	buffer_gl0_inv
	ds_load_b32 v210, v70 offset:1056
	ds_load_2addr_b32 v[42:43], v71 offset0:1 offset1:2
	ds_load_2addr_b32 v[40:41], v71 offset0:3 offset1:4
	;; [unrolled: 1-line block ×4, first 2 shown]
	s_waitcnt lgkmcnt(3)
	v_add3_u32 v211, v42, v210, v43
	s_waitcnt lgkmcnt(2)
	s_delay_alu instid0(VALU_DEP_1) | instskip(SKIP_1) | instid1(VALU_DEP_1)
	v_add3_u32 v211, v211, v40, v41
	s_waitcnt lgkmcnt(1)
	v_add3_u32 v211, v211, v36, v37
	s_waitcnt lgkmcnt(0)
	s_delay_alu instid0(VALU_DEP_1) | instskip(NEXT) | instid1(VALU_DEP_1)
	v_add3_u32 v39, v211, v38, v39
	v_mov_b32_dpp v211, v39 row_shr:1 row_mask:0xf bank_mask:0xf
	s_delay_alu instid0(VALU_DEP_1) | instskip(NEXT) | instid1(VALU_DEP_1)
	v_cndmask_b32_e64 v211, v211, 0, s0
	v_add_nc_u32_e32 v39, v211, v39
	s_delay_alu instid0(VALU_DEP_1) | instskip(NEXT) | instid1(VALU_DEP_1)
	v_mov_b32_dpp v211, v39 row_shr:2 row_mask:0xf bank_mask:0xf
	v_cndmask_b32_e64 v211, 0, v211, s1
	s_delay_alu instid0(VALU_DEP_1) | instskip(NEXT) | instid1(VALU_DEP_1)
	v_add_nc_u32_e32 v39, v39, v211
	v_mov_b32_dpp v211, v39 row_shr:4 row_mask:0xf bank_mask:0xf
	s_delay_alu instid0(VALU_DEP_1) | instskip(NEXT) | instid1(VALU_DEP_1)
	v_cndmask_b32_e64 v211, 0, v211, s8
	v_add_nc_u32_e32 v39, v39, v211
	s_delay_alu instid0(VALU_DEP_1) | instskip(NEXT) | instid1(VALU_DEP_1)
	v_mov_b32_dpp v211, v39 row_shr:8 row_mask:0xf bank_mask:0xf
	v_cndmask_b32_e64 v211, 0, v211, s9
	s_delay_alu instid0(VALU_DEP_1) | instskip(SKIP_3) | instid1(VALU_DEP_1)
	v_add_nc_u32_e32 v39, v39, v211
	ds_swizzle_b32 v211, v39 offset:swizzle(BROADCAST,32,15)
	s_waitcnt lgkmcnt(0)
	v_cndmask_b32_e64 v211, v211, 0, s10
	v_add_nc_u32_e32 v39, v39, v211
	s_and_saveexec_b32 s16, s3
	s_cbranch_execz .LBB608_168
; %bb.167:                              ;   in Loop: Header=BB608_98 Depth=2
	ds_store_b32 v62, v39 offset:1024
.LBB608_168:                            ;   in Loop: Header=BB608_98 Depth=2
	s_or_b32 exec_lo, exec_lo, s16
	s_waitcnt lgkmcnt(0)
	s_barrier
	buffer_gl0_inv
	s_and_saveexec_b32 s16, s4
	s_cbranch_execz .LBB608_170
; %bb.169:                              ;   in Loop: Header=BB608_98 Depth=2
	v_add_nc_u32_e32 v211, v70, v72
	ds_load_b32 v212, v211 offset:1024
	s_waitcnt lgkmcnt(0)
	v_mov_b32_dpp v213, v212 row_shr:1 row_mask:0xf bank_mask:0xf
	s_delay_alu instid0(VALU_DEP_1) | instskip(NEXT) | instid1(VALU_DEP_1)
	v_cndmask_b32_e64 v213, v213, 0, s12
	v_add_nc_u32_e32 v212, v213, v212
	s_delay_alu instid0(VALU_DEP_1) | instskip(NEXT) | instid1(VALU_DEP_1)
	v_mov_b32_dpp v213, v212 row_shr:2 row_mask:0xf bank_mask:0xf
	v_cndmask_b32_e64 v213, 0, v213, s13
	s_delay_alu instid0(VALU_DEP_1) | instskip(NEXT) | instid1(VALU_DEP_1)
	v_add_nc_u32_e32 v212, v212, v213
	v_mov_b32_dpp v213, v212 row_shr:4 row_mask:0xf bank_mask:0xf
	s_delay_alu instid0(VALU_DEP_1) | instskip(NEXT) | instid1(VALU_DEP_1)
	v_cndmask_b32_e64 v213, 0, v213, s14
	v_add_nc_u32_e32 v212, v212, v213
	ds_store_b32 v211, v212 offset:1024
.LBB608_170:                            ;   in Loop: Header=BB608_98 Depth=2
	s_or_b32 exec_lo, exec_lo, s16
	v_mov_b32_e32 v211, 0
	s_waitcnt lgkmcnt(0)
	s_barrier
	buffer_gl0_inv
	s_and_saveexec_b32 s16, s5
	s_cbranch_execz .LBB608_172
; %bb.171:                              ;   in Loop: Header=BB608_98 Depth=2
	ds_load_b32 v211, v62 offset:1020
.LBB608_172:                            ;   in Loop: Header=BB608_98 Depth=2
	s_or_b32 exec_lo, exec_lo, s16
	s_waitcnt lgkmcnt(0)
	v_add_nc_u32_e32 v39, v211, v39
	ds_bpermute_b32 v39, v107, v39
	s_waitcnt lgkmcnt(0)
	v_cndmask_b32_e64 v39, v39, v211, s11
	s_delay_alu instid0(VALU_DEP_1) | instskip(NEXT) | instid1(VALU_DEP_1)
	v_cndmask_b32_e64 v39, v39, 0, s6
	v_add_nc_u32_e32 v210, v39, v210
	s_delay_alu instid0(VALU_DEP_1) | instskip(NEXT) | instid1(VALU_DEP_1)
	v_add_nc_u32_e32 v42, v210, v42
	v_add_nc_u32_e32 v43, v42, v43
	s_delay_alu instid0(VALU_DEP_1) | instskip(NEXT) | instid1(VALU_DEP_1)
	v_add_nc_u32_e32 v40, v43, v40
	;; [unrolled: 3-line block ×3, first 2 shown]
	v_add_nc_u32_e32 v37, v36, v37
	s_delay_alu instid0(VALU_DEP_1)
	v_add_nc_u32_e32 v38, v37, v38
	ds_store_b32 v70, v39 offset:1056
	ds_store_2addr_b32 v71, v210, v42 offset0:1 offset1:2
	ds_store_2addr_b32 v71, v43, v40 offset0:3 offset1:4
	ds_store_2addr_b32 v71, v41, v36 offset0:5 offset1:6
	ds_store_2addr_b32 v71, v37, v38 offset0:7 offset1:8
	v_mov_b32_e32 v38, 0x1000
	s_waitcnt lgkmcnt(0)
	s_barrier
	buffer_gl0_inv
	ds_load_b32 v39, v154
	ds_load_b32 v40, v158
	;; [unrolled: 1-line block ×16, first 2 shown]
	ds_load_b32 v158, v70 offset:1056
	s_and_saveexec_b32 s16, s7
	s_cbranch_execz .LBB608_174
; %bb.173:                              ;   in Loop: Header=BB608_98 Depth=2
	ds_load_b32 v38, v73 offset:1056
.LBB608_174:                            ;   in Loop: Header=BB608_98 Depth=2
	s_or_b32 exec_lo, exec_lo, s16
	s_waitcnt lgkmcnt(0)
	s_barrier
	buffer_gl0_inv
	s_and_saveexec_b32 s16, s2
	s_cbranch_execz .LBB608_176
; %bb.175:                              ;   in Loop: Header=BB608_98 Depth=2
	ds_load_b32 v162, v44
	s_waitcnt lgkmcnt(0)
	v_sub_nc_u32_e32 v158, v162, v158
	ds_store_b32 v44, v158
.LBB608_176:                            ;   in Loop: Header=BB608_98 Depth=2
	s_or_b32 exec_lo, exec_lo, s16
	v_add_nc_u32_e32 v170, v150, v149
	v_add3_u32 v166, v153, v152, v39
	v_add3_u32 v162, v157, v156, v40
	;; [unrolled: 1-line block ×5, first 2 shown]
	v_lshlrev_b32_e32 v160, 2, v170
	v_add3_u32 v43, v201, v200, v36
	v_lshlrev_b32_e32 v36, 2, v166
	v_add3_u32 v154, v174, v173, v175
	v_add3_u32 v153, v177, v176, v178
	ds_store_b32 v160, v2 offset:1024
	v_lshlrev_b32_e32 v2, 2, v162
	ds_store_b32 v36, v148 offset:1024
	v_lshlrev_b32_e32 v36, 2, v156
	v_add3_u32 v152, v181, v180, v182
	v_add3_u32 v42, v205, v204, v37
	v_lshlrev_b32_e32 v37, 2, v158
	v_add3_u32 v150, v185, v184, v186
	v_lshlrev_b32_e32 v160, 2, v157
	v_add3_u32 v149, v189, v188, v190
	v_add3_u32 v40, v193, v192, v194
	ds_store_b32 v2, v151 offset:1024
	ds_store_b32 v37, v155 offset:1024
	;; [unrolled: 1-line block ×3, first 2 shown]
	v_lshlrev_b32_e32 v2, 2, v154
	ds_store_b32 v36, v163 offset:1024
	v_lshlrev_b32_e32 v36, 2, v153
	v_lshlrev_b32_e32 v37, 2, v152
	;; [unrolled: 1-line block ×3, first 2 shown]
	v_add3_u32 v39, v197, v196, v198
	v_add3_u32 v41, v208, v207, v41
	ds_store_b32 v2, v167 offset:1024
	v_lshlrev_b32_e32 v2, 2, v149
	ds_store_b32 v36, v172 offset:1024
	ds_store_b32 v37, v171 offset:1024
	;; [unrolled: 1-line block ×3, first 2 shown]
	v_lshlrev_b32_e32 v36, 2, v40
	v_cmp_lt_u32_e32 vcc_lo, v1, v147
	v_lshlrev_b32_e32 v37, 2, v43
	ds_store_b32 v2, v183 offset:1024
	v_lshlrev_b32_e32 v2, 2, v39
	ds_store_b32 v36, v187 offset:1024
	v_lshlrev_b32_e32 v36, 2, v41
	v_lshlrev_b32_e32 v148, 2, v42
	ds_store_b32 v2, v191 offset:1024
	ds_store_b32 v37, v195 offset:1024
	;; [unrolled: 1-line block ×4, first 2 shown]
	s_waitcnt lgkmcnt(0)
	s_barrier
	buffer_gl0_inv
	s_and_saveexec_b32 s17, vcc_lo
	s_cbranch_execz .LBB608_192
; %bb.177:                              ;   in Loop: Header=BB608_98 Depth=2
	v_add_nc_u32_e32 v2, v70, v72
	ds_load_b32 v148, v2 offset:1024
	s_waitcnt lgkmcnt(0)
	v_lshrrev_b32_e32 v2, s38, v148
	s_delay_alu instid0(VALU_DEP_1) | instskip(NEXT) | instid1(VALU_DEP_1)
	v_and_b32_e32 v2, s39, v2
	v_lshlrev_b32_e32 v2, 2, v2
	ds_load_b32 v2, v2
	s_waitcnt lgkmcnt(0)
	v_add_nc_u32_e32 v2, v2, v1
	s_delay_alu instid0(VALU_DEP_1) | instskip(SKIP_1) | instid1(VALU_DEP_2)
	v_lshlrev_b64 v[36:37], 2, v[2:3]
	v_xor_b32_e32 v2, 0x80000000, v148
	v_add_co_u32 v36, s16, s46, v36
	s_delay_alu instid0(VALU_DEP_1) | instskip(SKIP_3) | instid1(VALU_DEP_1)
	v_add_co_ci_u32_e64 v37, s16, s47, v37, s16
	global_store_b32 v[36:37], v2, off
	s_or_b32 exec_lo, exec_lo, s17
	v_cmp_lt_u32_e64 s16, v45, v147
	s_and_saveexec_b32 s18, s16
	s_cbranch_execnz .LBB608_193
.LBB608_178:                            ;   in Loop: Header=BB608_98 Depth=2
	s_or_b32 exec_lo, exec_lo, s18
	v_cmp_lt_u32_e64 s17, v46, v147
	s_delay_alu instid0(VALU_DEP_1)
	s_and_saveexec_b32 s19, s17
	s_cbranch_execz .LBB608_194
.LBB608_179:                            ;   in Loop: Header=BB608_98 Depth=2
	ds_load_b32 v148, v78 offset:2048
	s_waitcnt lgkmcnt(0)
	v_lshrrev_b32_e32 v2, s38, v148
	s_delay_alu instid0(VALU_DEP_1) | instskip(NEXT) | instid1(VALU_DEP_1)
	v_and_b32_e32 v2, s39, v2
	v_lshlrev_b32_e32 v2, 2, v2
	ds_load_b32 v2, v2
	s_waitcnt lgkmcnt(0)
	v_add_nc_u32_e32 v2, v2, v46
	s_delay_alu instid0(VALU_DEP_1) | instskip(SKIP_1) | instid1(VALU_DEP_2)
	v_lshlrev_b64 v[36:37], 2, v[2:3]
	v_xor_b32_e32 v2, 0x80000000, v148
	v_add_co_u32 v36, s18, s46, v36
	s_delay_alu instid0(VALU_DEP_1) | instskip(SKIP_3) | instid1(VALU_DEP_1)
	v_add_co_ci_u32_e64 v37, s18, s47, v37, s18
	global_store_b32 v[36:37], v2, off
	s_or_b32 exec_lo, exec_lo, s19
	v_cmp_lt_u32_e64 s18, v47, v147
	s_and_saveexec_b32 s20, s18
	s_cbranch_execnz .LBB608_195
.LBB608_180:                            ;   in Loop: Header=BB608_98 Depth=2
	s_or_b32 exec_lo, exec_lo, s20
	v_cmp_lt_u32_e64 s19, v51, v147
	s_delay_alu instid0(VALU_DEP_1)
	s_and_saveexec_b32 s21, s19
	s_cbranch_execz .LBB608_196
.LBB608_181:                            ;   in Loop: Header=BB608_98 Depth=2
	ds_load_b32 v148, v78 offset:4096
	s_waitcnt lgkmcnt(0)
	v_lshrrev_b32_e32 v2, s38, v148
	s_delay_alu instid0(VALU_DEP_1) | instskip(NEXT) | instid1(VALU_DEP_1)
	v_and_b32_e32 v2, s39, v2
	v_lshlrev_b32_e32 v2, 2, v2
	ds_load_b32 v2, v2
	s_waitcnt lgkmcnt(0)
	v_add_nc_u32_e32 v2, v2, v51
	s_delay_alu instid0(VALU_DEP_1) | instskip(SKIP_1) | instid1(VALU_DEP_2)
	v_lshlrev_b64 v[36:37], 2, v[2:3]
	v_xor_b32_e32 v2, 0x80000000, v148
	v_add_co_u32 v36, s20, s46, v36
	s_delay_alu instid0(VALU_DEP_1) | instskip(SKIP_3) | instid1(VALU_DEP_1)
	v_add_co_ci_u32_e64 v37, s20, s47, v37, s20
	global_store_b32 v[36:37], v2, off
	s_or_b32 exec_lo, exec_lo, s21
	v_cmp_lt_u32_e64 s20, v52, v147
	s_and_saveexec_b32 s22, s20
	s_cbranch_execnz .LBB608_197
.LBB608_182:                            ;   in Loop: Header=BB608_98 Depth=2
	s_or_b32 exec_lo, exec_lo, s22
	v_cmp_lt_u32_e64 s21, v53, v147
	s_delay_alu instid0(VALU_DEP_1)
	s_and_saveexec_b32 s23, s21
	s_cbranch_execz .LBB608_198
.LBB608_183:                            ;   in Loop: Header=BB608_98 Depth=2
	ds_load_b32 v148, v78 offset:6144
	s_waitcnt lgkmcnt(0)
	v_lshrrev_b32_e32 v2, s38, v148
	s_delay_alu instid0(VALU_DEP_1) | instskip(NEXT) | instid1(VALU_DEP_1)
	v_and_b32_e32 v2, s39, v2
	v_lshlrev_b32_e32 v2, 2, v2
	ds_load_b32 v2, v2
	s_waitcnt lgkmcnt(0)
	v_add_nc_u32_e32 v2, v2, v53
	s_delay_alu instid0(VALU_DEP_1) | instskip(SKIP_1) | instid1(VALU_DEP_2)
	v_lshlrev_b64 v[36:37], 2, v[2:3]
	v_xor_b32_e32 v2, 0x80000000, v148
	v_add_co_u32 v36, s22, s46, v36
	s_delay_alu instid0(VALU_DEP_1) | instskip(SKIP_3) | instid1(VALU_DEP_1)
	v_add_co_ci_u32_e64 v37, s22, s47, v37, s22
	global_store_b32 v[36:37], v2, off
	s_or_b32 exec_lo, exec_lo, s23
	v_cmp_lt_u32_e64 s22, v54, v147
	s_and_saveexec_b32 s24, s22
	s_cbranch_execnz .LBB608_199
.LBB608_184:                            ;   in Loop: Header=BB608_98 Depth=2
	s_or_b32 exec_lo, exec_lo, s24
	v_cmp_lt_u32_e64 s23, v55, v147
	s_delay_alu instid0(VALU_DEP_1)
	s_and_saveexec_b32 s25, s23
	s_cbranch_execz .LBB608_200
.LBB608_185:                            ;   in Loop: Header=BB608_98 Depth=2
	ds_load_b32 v148, v78 offset:8192
	s_waitcnt lgkmcnt(0)
	v_lshrrev_b32_e32 v2, s38, v148
	s_delay_alu instid0(VALU_DEP_1) | instskip(NEXT) | instid1(VALU_DEP_1)
	v_and_b32_e32 v2, s39, v2
	v_lshlrev_b32_e32 v2, 2, v2
	ds_load_b32 v2, v2
	s_waitcnt lgkmcnt(0)
	v_add_nc_u32_e32 v2, v2, v55
	s_delay_alu instid0(VALU_DEP_1) | instskip(SKIP_1) | instid1(VALU_DEP_2)
	v_lshlrev_b64 v[36:37], 2, v[2:3]
	v_xor_b32_e32 v2, 0x80000000, v148
	v_add_co_u32 v36, s24, s46, v36
	s_delay_alu instid0(VALU_DEP_1) | instskip(SKIP_3) | instid1(VALU_DEP_1)
	v_add_co_ci_u32_e64 v37, s24, s47, v37, s24
	global_store_b32 v[36:37], v2, off
	s_or_b32 exec_lo, exec_lo, s25
	v_cmp_lt_u32_e64 s24, v56, v147
	s_and_saveexec_b32 s27, s24
	s_cbranch_execnz .LBB608_201
.LBB608_186:                            ;   in Loop: Header=BB608_98 Depth=2
	s_or_b32 exec_lo, exec_lo, s27
	v_cmp_lt_u32_e64 s25, v57, v147
	s_delay_alu instid0(VALU_DEP_1)
	s_and_saveexec_b32 s28, s25
	s_cbranch_execz .LBB608_202
.LBB608_187:                            ;   in Loop: Header=BB608_98 Depth=2
	ds_load_b32 v148, v78 offset:10240
	s_waitcnt lgkmcnt(0)
	v_lshrrev_b32_e32 v2, s38, v148
	s_delay_alu instid0(VALU_DEP_1) | instskip(NEXT) | instid1(VALU_DEP_1)
	v_and_b32_e32 v2, s39, v2
	v_lshlrev_b32_e32 v2, 2, v2
	ds_load_b32 v2, v2
	s_waitcnt lgkmcnt(0)
	v_add_nc_u32_e32 v2, v2, v57
	s_delay_alu instid0(VALU_DEP_1) | instskip(SKIP_1) | instid1(VALU_DEP_2)
	v_lshlrev_b64 v[36:37], 2, v[2:3]
	v_xor_b32_e32 v2, 0x80000000, v148
	v_add_co_u32 v36, s27, s46, v36
	s_delay_alu instid0(VALU_DEP_1) | instskip(SKIP_3) | instid1(VALU_DEP_1)
	v_add_co_ci_u32_e64 v37, s27, s47, v37, s27
	global_store_b32 v[36:37], v2, off
	s_or_b32 exec_lo, exec_lo, s28
	v_cmp_lt_u32_e64 s27, v58, v147
	s_and_saveexec_b32 s29, s27
	s_cbranch_execnz .LBB608_203
.LBB608_188:                            ;   in Loop: Header=BB608_98 Depth=2
	s_or_b32 exec_lo, exec_lo, s29
	v_cmp_lt_u32_e64 s28, v59, v147
	s_delay_alu instid0(VALU_DEP_1)
	s_and_saveexec_b32 s30, s28
	s_cbranch_execz .LBB608_204
.LBB608_189:                            ;   in Loop: Header=BB608_98 Depth=2
	ds_load_b32 v148, v78 offset:12288
	s_waitcnt lgkmcnt(0)
	v_lshrrev_b32_e32 v2, s38, v148
	s_delay_alu instid0(VALU_DEP_1) | instskip(NEXT) | instid1(VALU_DEP_1)
	v_and_b32_e32 v2, s39, v2
	v_lshlrev_b32_e32 v2, 2, v2
	ds_load_b32 v2, v2
	s_waitcnt lgkmcnt(0)
	v_add_nc_u32_e32 v2, v2, v59
	s_delay_alu instid0(VALU_DEP_1) | instskip(SKIP_1) | instid1(VALU_DEP_2)
	v_lshlrev_b64 v[36:37], 2, v[2:3]
	v_xor_b32_e32 v2, 0x80000000, v148
	v_add_co_u32 v36, s29, s46, v36
	s_delay_alu instid0(VALU_DEP_1) | instskip(SKIP_3) | instid1(VALU_DEP_1)
	v_add_co_ci_u32_e64 v37, s29, s47, v37, s29
	global_store_b32 v[36:37], v2, off
	s_or_b32 exec_lo, exec_lo, s30
	v_cmp_lt_u32_e64 s29, v60, v147
	s_and_saveexec_b32 s31, s29
	s_cbranch_execnz .LBB608_205
.LBB608_190:                            ;   in Loop: Header=BB608_98 Depth=2
	s_or_b32 exec_lo, exec_lo, s31
	v_cmp_lt_u32_e64 s30, v61, v147
	s_delay_alu instid0(VALU_DEP_1)
	s_and_saveexec_b32 s33, s30
	s_cbranch_execz .LBB608_206
.LBB608_191:                            ;   in Loop: Header=BB608_98 Depth=2
	ds_load_b32 v148, v78 offset:14336
	s_waitcnt lgkmcnt(0)
	v_lshrrev_b32_e32 v2, s38, v148
	s_delay_alu instid0(VALU_DEP_1) | instskip(NEXT) | instid1(VALU_DEP_1)
	v_and_b32_e32 v2, s39, v2
	v_lshlrev_b32_e32 v2, 2, v2
	ds_load_b32 v2, v2
	s_waitcnt lgkmcnt(0)
	v_add_nc_u32_e32 v2, v2, v61
	s_delay_alu instid0(VALU_DEP_1) | instskip(SKIP_1) | instid1(VALU_DEP_2)
	v_lshlrev_b64 v[36:37], 2, v[2:3]
	v_xor_b32_e32 v2, 0x80000000, v148
	v_add_co_u32 v36, s31, s46, v36
	s_delay_alu instid0(VALU_DEP_1) | instskip(SKIP_3) | instid1(VALU_DEP_1)
	v_add_co_ci_u32_e64 v37, s31, s47, v37, s31
	global_store_b32 v[36:37], v2, off
	s_or_b32 exec_lo, exec_lo, s33
	v_cmp_lt_u32_e64 s31, v63, v147
	s_and_saveexec_b32 s42, s31
	s_cbranch_execnz .LBB608_207
	s_branch .LBB608_208
.LBB608_192:                            ;   in Loop: Header=BB608_98 Depth=2
	s_or_b32 exec_lo, exec_lo, s17
	v_cmp_lt_u32_e64 s16, v45, v147
	s_delay_alu instid0(VALU_DEP_1)
	s_and_saveexec_b32 s18, s16
	s_cbranch_execz .LBB608_178
.LBB608_193:                            ;   in Loop: Header=BB608_98 Depth=2
	ds_load_b32 v148, v78 offset:1024
	s_waitcnt lgkmcnt(0)
	v_lshrrev_b32_e32 v2, s38, v148
	s_delay_alu instid0(VALU_DEP_1) | instskip(NEXT) | instid1(VALU_DEP_1)
	v_and_b32_e32 v2, s39, v2
	v_lshlrev_b32_e32 v2, 2, v2
	ds_load_b32 v2, v2
	s_waitcnt lgkmcnt(0)
	v_add_nc_u32_e32 v2, v2, v45
	s_delay_alu instid0(VALU_DEP_1) | instskip(SKIP_1) | instid1(VALU_DEP_2)
	v_lshlrev_b64 v[36:37], 2, v[2:3]
	v_xor_b32_e32 v2, 0x80000000, v148
	v_add_co_u32 v36, s17, s46, v36
	s_delay_alu instid0(VALU_DEP_1) | instskip(SKIP_3) | instid1(VALU_DEP_1)
	v_add_co_ci_u32_e64 v37, s17, s47, v37, s17
	global_store_b32 v[36:37], v2, off
	s_or_b32 exec_lo, exec_lo, s18
	v_cmp_lt_u32_e64 s17, v46, v147
	s_and_saveexec_b32 s19, s17
	s_cbranch_execnz .LBB608_179
.LBB608_194:                            ;   in Loop: Header=BB608_98 Depth=2
	s_or_b32 exec_lo, exec_lo, s19
	v_cmp_lt_u32_e64 s18, v47, v147
	s_delay_alu instid0(VALU_DEP_1)
	s_and_saveexec_b32 s20, s18
	s_cbranch_execz .LBB608_180
.LBB608_195:                            ;   in Loop: Header=BB608_98 Depth=2
	ds_load_b32 v148, v78 offset:3072
	s_waitcnt lgkmcnt(0)
	v_lshrrev_b32_e32 v2, s38, v148
	s_delay_alu instid0(VALU_DEP_1) | instskip(NEXT) | instid1(VALU_DEP_1)
	v_and_b32_e32 v2, s39, v2
	v_lshlrev_b32_e32 v2, 2, v2
	ds_load_b32 v2, v2
	s_waitcnt lgkmcnt(0)
	v_add_nc_u32_e32 v2, v2, v47
	s_delay_alu instid0(VALU_DEP_1) | instskip(SKIP_1) | instid1(VALU_DEP_2)
	v_lshlrev_b64 v[36:37], 2, v[2:3]
	v_xor_b32_e32 v2, 0x80000000, v148
	v_add_co_u32 v36, s19, s46, v36
	s_delay_alu instid0(VALU_DEP_1) | instskip(SKIP_3) | instid1(VALU_DEP_1)
	v_add_co_ci_u32_e64 v37, s19, s47, v37, s19
	global_store_b32 v[36:37], v2, off
	s_or_b32 exec_lo, exec_lo, s20
	v_cmp_lt_u32_e64 s19, v51, v147
	s_and_saveexec_b32 s21, s19
	s_cbranch_execnz .LBB608_181
.LBB608_196:                            ;   in Loop: Header=BB608_98 Depth=2
	s_or_b32 exec_lo, exec_lo, s21
	v_cmp_lt_u32_e64 s20, v52, v147
	s_delay_alu instid0(VALU_DEP_1)
	s_and_saveexec_b32 s22, s20
	s_cbranch_execz .LBB608_182
.LBB608_197:                            ;   in Loop: Header=BB608_98 Depth=2
	ds_load_b32 v148, v78 offset:5120
	s_waitcnt lgkmcnt(0)
	v_lshrrev_b32_e32 v2, s38, v148
	s_delay_alu instid0(VALU_DEP_1) | instskip(NEXT) | instid1(VALU_DEP_1)
	v_and_b32_e32 v2, s39, v2
	v_lshlrev_b32_e32 v2, 2, v2
	ds_load_b32 v2, v2
	s_waitcnt lgkmcnt(0)
	v_add_nc_u32_e32 v2, v2, v52
	s_delay_alu instid0(VALU_DEP_1) | instskip(SKIP_1) | instid1(VALU_DEP_2)
	v_lshlrev_b64 v[36:37], 2, v[2:3]
	v_xor_b32_e32 v2, 0x80000000, v148
	v_add_co_u32 v36, s21, s46, v36
	s_delay_alu instid0(VALU_DEP_1) | instskip(SKIP_3) | instid1(VALU_DEP_1)
	v_add_co_ci_u32_e64 v37, s21, s47, v37, s21
	global_store_b32 v[36:37], v2, off
	s_or_b32 exec_lo, exec_lo, s22
	v_cmp_lt_u32_e64 s21, v53, v147
	s_and_saveexec_b32 s23, s21
	s_cbranch_execnz .LBB608_183
.LBB608_198:                            ;   in Loop: Header=BB608_98 Depth=2
	s_or_b32 exec_lo, exec_lo, s23
	v_cmp_lt_u32_e64 s22, v54, v147
	s_delay_alu instid0(VALU_DEP_1)
	s_and_saveexec_b32 s24, s22
	s_cbranch_execz .LBB608_184
.LBB608_199:                            ;   in Loop: Header=BB608_98 Depth=2
	ds_load_b32 v148, v78 offset:7168
	s_waitcnt lgkmcnt(0)
	v_lshrrev_b32_e32 v2, s38, v148
	s_delay_alu instid0(VALU_DEP_1) | instskip(NEXT) | instid1(VALU_DEP_1)
	v_and_b32_e32 v2, s39, v2
	v_lshlrev_b32_e32 v2, 2, v2
	ds_load_b32 v2, v2
	s_waitcnt lgkmcnt(0)
	v_add_nc_u32_e32 v2, v2, v54
	s_delay_alu instid0(VALU_DEP_1) | instskip(SKIP_1) | instid1(VALU_DEP_2)
	v_lshlrev_b64 v[36:37], 2, v[2:3]
	v_xor_b32_e32 v2, 0x80000000, v148
	v_add_co_u32 v36, s23, s46, v36
	s_delay_alu instid0(VALU_DEP_1) | instskip(SKIP_3) | instid1(VALU_DEP_1)
	v_add_co_ci_u32_e64 v37, s23, s47, v37, s23
	global_store_b32 v[36:37], v2, off
	s_or_b32 exec_lo, exec_lo, s24
	v_cmp_lt_u32_e64 s23, v55, v147
	s_and_saveexec_b32 s25, s23
	s_cbranch_execnz .LBB608_185
.LBB608_200:                            ;   in Loop: Header=BB608_98 Depth=2
	s_or_b32 exec_lo, exec_lo, s25
	v_cmp_lt_u32_e64 s24, v56, v147
	s_delay_alu instid0(VALU_DEP_1)
	s_and_saveexec_b32 s27, s24
	s_cbranch_execz .LBB608_186
.LBB608_201:                            ;   in Loop: Header=BB608_98 Depth=2
	ds_load_b32 v148, v78 offset:9216
	s_waitcnt lgkmcnt(0)
	v_lshrrev_b32_e32 v2, s38, v148
	s_delay_alu instid0(VALU_DEP_1) | instskip(NEXT) | instid1(VALU_DEP_1)
	v_and_b32_e32 v2, s39, v2
	v_lshlrev_b32_e32 v2, 2, v2
	ds_load_b32 v2, v2
	s_waitcnt lgkmcnt(0)
	v_add_nc_u32_e32 v2, v2, v56
	s_delay_alu instid0(VALU_DEP_1) | instskip(SKIP_1) | instid1(VALU_DEP_2)
	v_lshlrev_b64 v[36:37], 2, v[2:3]
	v_xor_b32_e32 v2, 0x80000000, v148
	v_add_co_u32 v36, s25, s46, v36
	s_delay_alu instid0(VALU_DEP_1) | instskip(SKIP_3) | instid1(VALU_DEP_1)
	v_add_co_ci_u32_e64 v37, s25, s47, v37, s25
	global_store_b32 v[36:37], v2, off
	s_or_b32 exec_lo, exec_lo, s27
	v_cmp_lt_u32_e64 s25, v57, v147
	s_and_saveexec_b32 s28, s25
	s_cbranch_execnz .LBB608_187
.LBB608_202:                            ;   in Loop: Header=BB608_98 Depth=2
	s_or_b32 exec_lo, exec_lo, s28
	v_cmp_lt_u32_e64 s27, v58, v147
	s_delay_alu instid0(VALU_DEP_1)
	s_and_saveexec_b32 s29, s27
	s_cbranch_execz .LBB608_188
.LBB608_203:                            ;   in Loop: Header=BB608_98 Depth=2
	ds_load_b32 v148, v78 offset:11264
	s_waitcnt lgkmcnt(0)
	v_lshrrev_b32_e32 v2, s38, v148
	s_delay_alu instid0(VALU_DEP_1) | instskip(NEXT) | instid1(VALU_DEP_1)
	v_and_b32_e32 v2, s39, v2
	v_lshlrev_b32_e32 v2, 2, v2
	ds_load_b32 v2, v2
	s_waitcnt lgkmcnt(0)
	v_add_nc_u32_e32 v2, v2, v58
	s_delay_alu instid0(VALU_DEP_1) | instskip(SKIP_1) | instid1(VALU_DEP_2)
	v_lshlrev_b64 v[36:37], 2, v[2:3]
	v_xor_b32_e32 v2, 0x80000000, v148
	v_add_co_u32 v36, s28, s46, v36
	s_delay_alu instid0(VALU_DEP_1) | instskip(SKIP_3) | instid1(VALU_DEP_1)
	v_add_co_ci_u32_e64 v37, s28, s47, v37, s28
	global_store_b32 v[36:37], v2, off
	s_or_b32 exec_lo, exec_lo, s29
	v_cmp_lt_u32_e64 s28, v59, v147
	s_and_saveexec_b32 s30, s28
	s_cbranch_execnz .LBB608_189
.LBB608_204:                            ;   in Loop: Header=BB608_98 Depth=2
	s_or_b32 exec_lo, exec_lo, s30
	v_cmp_lt_u32_e64 s29, v60, v147
	s_delay_alu instid0(VALU_DEP_1)
	s_and_saveexec_b32 s31, s29
	s_cbranch_execz .LBB608_190
.LBB608_205:                            ;   in Loop: Header=BB608_98 Depth=2
	ds_load_b32 v148, v78 offset:13312
	s_waitcnt lgkmcnt(0)
	v_lshrrev_b32_e32 v2, s38, v148
	s_delay_alu instid0(VALU_DEP_1) | instskip(NEXT) | instid1(VALU_DEP_1)
	v_and_b32_e32 v2, s39, v2
	v_lshlrev_b32_e32 v2, 2, v2
	ds_load_b32 v2, v2
	s_waitcnt lgkmcnt(0)
	v_add_nc_u32_e32 v2, v2, v60
	s_delay_alu instid0(VALU_DEP_1) | instskip(SKIP_1) | instid1(VALU_DEP_2)
	v_lshlrev_b64 v[36:37], 2, v[2:3]
	v_xor_b32_e32 v2, 0x80000000, v148
	v_add_co_u32 v36, s30, s46, v36
	s_delay_alu instid0(VALU_DEP_1) | instskip(SKIP_3) | instid1(VALU_DEP_1)
	v_add_co_ci_u32_e64 v37, s30, s47, v37, s30
	global_store_b32 v[36:37], v2, off
	s_or_b32 exec_lo, exec_lo, s31
	v_cmp_lt_u32_e64 s30, v61, v147
	s_and_saveexec_b32 s33, s30
	s_cbranch_execnz .LBB608_191
.LBB608_206:                            ;   in Loop: Header=BB608_98 Depth=2
	s_or_b32 exec_lo, exec_lo, s33
	v_cmp_lt_u32_e64 s31, v63, v147
	s_delay_alu instid0(VALU_DEP_1)
	s_and_saveexec_b32 s42, s31
	s_cbranch_execz .LBB608_208
.LBB608_207:                            ;   in Loop: Header=BB608_98 Depth=2
	ds_load_b32 v148, v78 offset:15360
	s_waitcnt lgkmcnt(0)
	v_lshrrev_b32_e32 v2, s38, v148
	s_delay_alu instid0(VALU_DEP_1) | instskip(NEXT) | instid1(VALU_DEP_1)
	v_and_b32_e32 v2, s39, v2
	v_lshlrev_b32_e32 v2, 2, v2
	ds_load_b32 v2, v2
	s_waitcnt lgkmcnt(0)
	v_add_nc_u32_e32 v2, v2, v63
	s_delay_alu instid0(VALU_DEP_1) | instskip(SKIP_1) | instid1(VALU_DEP_2)
	v_lshlrev_b64 v[36:37], 2, v[2:3]
	v_xor_b32_e32 v2, 0x80000000, v148
	v_add_co_u32 v36, s33, s46, v36
	s_delay_alu instid0(VALU_DEP_1)
	v_add_co_ci_u32_e64 v37, s33, s47, v37, s33
	global_store_b32 v[36:37], v2, off
.LBB608_208:                            ;   in Loop: Header=BB608_98 Depth=2
	s_or_b32 exec_lo, exec_lo, s42
	s_lshl_b64 s[42:43], s[34:35], 3
	s_delay_alu instid0(SALU_CYCLE_1) | instskip(NEXT) | instid1(VALU_DEP_1)
	v_add_co_u32 v36, s33, v109, s42
	v_add_co_ci_u32_e64 v37, s33, s43, v110, s33
	v_cmp_lt_u32_e64 s33, v108, v147
	s_delay_alu instid0(VALU_DEP_1) | instskip(NEXT) | instid1(SALU_CYCLE_1)
	s_and_saveexec_b32 s34, s33
	s_xor_b32 s33, exec_lo, s34
	s_cbranch_execz .LBB608_240
; %bb.209:                              ;   in Loop: Header=BB608_98 Depth=2
	global_load_b64 v[34:35], v[36:37], off
	s_or_b32 exec_lo, exec_lo, s33
	s_delay_alu instid0(SALU_CYCLE_1)
	s_mov_b32 s34, exec_lo
	v_cmpx_lt_u32_e64 v111, v147
	s_cbranch_execnz .LBB608_241
.LBB608_210:                            ;   in Loop: Header=BB608_98 Depth=2
	s_or_b32 exec_lo, exec_lo, s34
	s_delay_alu instid0(SALU_CYCLE_1)
	s_mov_b32 s34, exec_lo
	v_cmpx_lt_u32_e64 v112, v147
	s_cbranch_execz .LBB608_242
.LBB608_211:                            ;   in Loop: Header=BB608_98 Depth=2
	global_load_b64 v[30:31], v[36:37], off offset:512
	s_or_b32 exec_lo, exec_lo, s34
	s_delay_alu instid0(SALU_CYCLE_1)
	s_mov_b32 s34, exec_lo
	v_cmpx_lt_u32_e64 v113, v147
	s_cbranch_execnz .LBB608_243
.LBB608_212:                            ;   in Loop: Header=BB608_98 Depth=2
	s_or_b32 exec_lo, exec_lo, s34
	s_delay_alu instid0(SALU_CYCLE_1)
	s_mov_b32 s34, exec_lo
	v_cmpx_lt_u32_e64 v114, v147
	s_cbranch_execz .LBB608_244
.LBB608_213:                            ;   in Loop: Header=BB608_98 Depth=2
	global_load_b64 v[26:27], v[36:37], off offset:1024
	s_or_b32 exec_lo, exec_lo, s34
	s_delay_alu instid0(SALU_CYCLE_1)
	s_mov_b32 s34, exec_lo
	v_cmpx_lt_u32_e64 v115, v147
	s_cbranch_execnz .LBB608_245
.LBB608_214:                            ;   in Loop: Header=BB608_98 Depth=2
	s_or_b32 exec_lo, exec_lo, s34
	s_delay_alu instid0(SALU_CYCLE_1)
	s_mov_b32 s34, exec_lo
	v_cmpx_lt_u32_e64 v116, v147
	s_cbranch_execz .LBB608_246
.LBB608_215:                            ;   in Loop: Header=BB608_98 Depth=2
	global_load_b64 v[22:23], v[36:37], off offset:1536
	s_or_b32 exec_lo, exec_lo, s34
	s_delay_alu instid0(SALU_CYCLE_1)
	s_mov_b32 s34, exec_lo
	v_cmpx_lt_u32_e64 v117, v147
	s_cbranch_execnz .LBB608_247
.LBB608_216:                            ;   in Loop: Header=BB608_98 Depth=2
	s_or_b32 exec_lo, exec_lo, s34
	s_delay_alu instid0(SALU_CYCLE_1)
	s_mov_b32 s34, exec_lo
	v_cmpx_lt_u32_e64 v118, v147
	s_cbranch_execz .LBB608_248
.LBB608_217:                            ;   in Loop: Header=BB608_98 Depth=2
	global_load_b64 v[18:19], v[36:37], off offset:2048
	s_or_b32 exec_lo, exec_lo, s34
	s_delay_alu instid0(SALU_CYCLE_1)
	s_mov_b32 s34, exec_lo
	v_cmpx_lt_u32_e64 v119, v147
	s_cbranch_execnz .LBB608_249
.LBB608_218:                            ;   in Loop: Header=BB608_98 Depth=2
	s_or_b32 exec_lo, exec_lo, s34
	s_delay_alu instid0(SALU_CYCLE_1)
	s_mov_b32 s34, exec_lo
	v_cmpx_lt_u32_e64 v120, v147
	s_cbranch_execz .LBB608_250
.LBB608_219:                            ;   in Loop: Header=BB608_98 Depth=2
	global_load_b64 v[14:15], v[36:37], off offset:2560
	s_or_b32 exec_lo, exec_lo, s34
	s_delay_alu instid0(SALU_CYCLE_1)
	s_mov_b32 s34, exec_lo
	v_cmpx_lt_u32_e64 v121, v147
	s_cbranch_execnz .LBB608_251
.LBB608_220:                            ;   in Loop: Header=BB608_98 Depth=2
	s_or_b32 exec_lo, exec_lo, s34
	s_delay_alu instid0(SALU_CYCLE_1)
	s_mov_b32 s34, exec_lo
	v_cmpx_lt_u32_e64 v122, v147
	s_cbranch_execz .LBB608_252
.LBB608_221:                            ;   in Loop: Header=BB608_98 Depth=2
	global_load_b64 v[10:11], v[36:37], off offset:3072
	s_or_b32 exec_lo, exec_lo, s34
	s_delay_alu instid0(SALU_CYCLE_1)
	s_mov_b32 s34, exec_lo
	v_cmpx_lt_u32_e64 v123, v147
	s_cbranch_execnz .LBB608_253
.LBB608_222:                            ;   in Loop: Header=BB608_98 Depth=2
	s_or_b32 exec_lo, exec_lo, s34
	s_delay_alu instid0(SALU_CYCLE_1)
	s_mov_b32 s34, exec_lo
	v_cmpx_lt_u32_e64 v124, v147
	s_cbranch_execz .LBB608_254
.LBB608_223:                            ;   in Loop: Header=BB608_98 Depth=2
	global_load_b64 v[6:7], v[36:37], off offset:3584
	s_or_b32 exec_lo, exec_lo, s34
	s_delay_alu instid0(SALU_CYCLE_1)
	s_mov_b32 s34, exec_lo
	v_cmpx_lt_u32_e64 v125, v147
	s_cbranch_execnz .LBB608_255
.LBB608_224:                            ;   in Loop: Header=BB608_98 Depth=2
	s_or_b32 exec_lo, exec_lo, s34
	s_and_saveexec_b32 s33, vcc_lo
	s_cbranch_execz .LBB608_256
.LBB608_225:                            ;   in Loop: Header=BB608_98 Depth=2
	v_add_nc_u32_e32 v2, v70, v72
	ds_load_b32 v2, v2 offset:1024
	s_waitcnt lgkmcnt(0)
	v_lshrrev_b32_e32 v2, s38, v2
	s_delay_alu instid0(VALU_DEP_1)
	v_and_b32_e32 v146, s39, v2
	s_or_b32 exec_lo, exec_lo, s33
	s_and_saveexec_b32 s33, s16
	s_cbranch_execnz .LBB608_257
.LBB608_226:                            ;   in Loop: Header=BB608_98 Depth=2
	s_or_b32 exec_lo, exec_lo, s33
	s_and_saveexec_b32 s33, s17
	s_cbranch_execz .LBB608_258
.LBB608_227:                            ;   in Loop: Header=BB608_98 Depth=2
	ds_load_b32 v2, v78 offset:2048
	s_waitcnt lgkmcnt(0)
	v_lshrrev_b32_e32 v2, s38, v2
	s_delay_alu instid0(VALU_DEP_1)
	v_and_b32_e32 v144, s39, v2
	s_or_b32 exec_lo, exec_lo, s33
	s_and_saveexec_b32 s33, s18
	s_cbranch_execnz .LBB608_259
.LBB608_228:                            ;   in Loop: Header=BB608_98 Depth=2
	s_or_b32 exec_lo, exec_lo, s33
	s_and_saveexec_b32 s33, s19
	s_cbranch_execz .LBB608_260
.LBB608_229:                            ;   in Loop: Header=BB608_98 Depth=2
	ds_load_b32 v2, v78 offset:4096
	s_waitcnt lgkmcnt(0)
	v_lshrrev_b32_e32 v2, s38, v2
	s_delay_alu instid0(VALU_DEP_1)
	v_and_b32_e32 v142, s39, v2
	s_or_b32 exec_lo, exec_lo, s33
	s_and_saveexec_b32 s33, s20
	s_cbranch_execnz .LBB608_261
.LBB608_230:                            ;   in Loop: Header=BB608_98 Depth=2
	s_or_b32 exec_lo, exec_lo, s33
	s_and_saveexec_b32 s33, s21
	s_cbranch_execz .LBB608_262
.LBB608_231:                            ;   in Loop: Header=BB608_98 Depth=2
	ds_load_b32 v2, v78 offset:6144
	s_waitcnt lgkmcnt(0)
	v_lshrrev_b32_e32 v2, s38, v2
	s_delay_alu instid0(VALU_DEP_1)
	v_and_b32_e32 v140, s39, v2
	s_or_b32 exec_lo, exec_lo, s33
	s_and_saveexec_b32 s33, s22
	s_cbranch_execnz .LBB608_263
.LBB608_232:                            ;   in Loop: Header=BB608_98 Depth=2
	s_or_b32 exec_lo, exec_lo, s33
	s_and_saveexec_b32 s33, s23
	s_cbranch_execz .LBB608_264
.LBB608_233:                            ;   in Loop: Header=BB608_98 Depth=2
	ds_load_b32 v2, v78 offset:8192
	s_waitcnt lgkmcnt(0)
	v_lshrrev_b32_e32 v2, s38, v2
	s_delay_alu instid0(VALU_DEP_1)
	v_and_b32_e32 v138, s39, v2
	s_or_b32 exec_lo, exec_lo, s33
	s_and_saveexec_b32 s33, s24
	s_cbranch_execnz .LBB608_265
.LBB608_234:                            ;   in Loop: Header=BB608_98 Depth=2
	s_or_b32 exec_lo, exec_lo, s33
	s_and_saveexec_b32 s33, s25
	s_cbranch_execz .LBB608_266
.LBB608_235:                            ;   in Loop: Header=BB608_98 Depth=2
	ds_load_b32 v2, v78 offset:10240
	s_waitcnt lgkmcnt(0)
	v_lshrrev_b32_e32 v2, s38, v2
	s_delay_alu instid0(VALU_DEP_1)
	v_and_b32_e32 v136, s39, v2
	s_or_b32 exec_lo, exec_lo, s33
	s_and_saveexec_b32 s33, s27
	s_cbranch_execnz .LBB608_267
.LBB608_236:                            ;   in Loop: Header=BB608_98 Depth=2
	s_or_b32 exec_lo, exec_lo, s33
	s_and_saveexec_b32 s33, s28
	s_cbranch_execz .LBB608_268
.LBB608_237:                            ;   in Loop: Header=BB608_98 Depth=2
	ds_load_b32 v2, v78 offset:12288
	s_waitcnt lgkmcnt(0)
	v_lshrrev_b32_e32 v2, s38, v2
	s_delay_alu instid0(VALU_DEP_1)
	v_and_b32_e32 v134, s39, v2
	s_or_b32 exec_lo, exec_lo, s33
	s_and_saveexec_b32 s33, s29
	s_cbranch_execnz .LBB608_269
.LBB608_238:                            ;   in Loop: Header=BB608_98 Depth=2
	s_or_b32 exec_lo, exec_lo, s33
	s_and_saveexec_b32 s33, s30
	s_cbranch_execz .LBB608_270
.LBB608_239:                            ;   in Loop: Header=BB608_98 Depth=2
	ds_load_b32 v2, v78 offset:14336
	s_waitcnt lgkmcnt(0)
	v_lshrrev_b32_e32 v2, s38, v2
	s_delay_alu instid0(VALU_DEP_1)
	v_and_b32_e32 v132, s39, v2
	s_or_b32 exec_lo, exec_lo, s33
	s_and_saveexec_b32 s33, s31
	s_cbranch_execnz .LBB608_271
	s_branch .LBB608_272
.LBB608_240:                            ;   in Loop: Header=BB608_98 Depth=2
	s_or_b32 exec_lo, exec_lo, s33
	s_delay_alu instid0(SALU_CYCLE_1)
	s_mov_b32 s34, exec_lo
	v_cmpx_lt_u32_e64 v111, v147
	s_cbranch_execz .LBB608_210
.LBB608_241:                            ;   in Loop: Header=BB608_98 Depth=2
	global_load_b64 v[32:33], v[36:37], off offset:256
	s_or_b32 exec_lo, exec_lo, s34
	s_delay_alu instid0(SALU_CYCLE_1)
	s_mov_b32 s34, exec_lo
	v_cmpx_lt_u32_e64 v112, v147
	s_cbranch_execnz .LBB608_211
.LBB608_242:                            ;   in Loop: Header=BB608_98 Depth=2
	s_or_b32 exec_lo, exec_lo, s34
	s_delay_alu instid0(SALU_CYCLE_1)
	s_mov_b32 s34, exec_lo
	v_cmpx_lt_u32_e64 v113, v147
	s_cbranch_execz .LBB608_212
.LBB608_243:                            ;   in Loop: Header=BB608_98 Depth=2
	global_load_b64 v[28:29], v[36:37], off offset:768
	s_or_b32 exec_lo, exec_lo, s34
	s_delay_alu instid0(SALU_CYCLE_1)
	s_mov_b32 s34, exec_lo
	v_cmpx_lt_u32_e64 v114, v147
	s_cbranch_execnz .LBB608_213
.LBB608_244:                            ;   in Loop: Header=BB608_98 Depth=2
	s_or_b32 exec_lo, exec_lo, s34
	s_delay_alu instid0(SALU_CYCLE_1)
	s_mov_b32 s34, exec_lo
	v_cmpx_lt_u32_e64 v115, v147
	s_cbranch_execz .LBB608_214
.LBB608_245:                            ;   in Loop: Header=BB608_98 Depth=2
	global_load_b64 v[24:25], v[36:37], off offset:1280
	s_or_b32 exec_lo, exec_lo, s34
	s_delay_alu instid0(SALU_CYCLE_1)
	s_mov_b32 s34, exec_lo
	v_cmpx_lt_u32_e64 v116, v147
	s_cbranch_execnz .LBB608_215
.LBB608_246:                            ;   in Loop: Header=BB608_98 Depth=2
	s_or_b32 exec_lo, exec_lo, s34
	s_delay_alu instid0(SALU_CYCLE_1)
	s_mov_b32 s34, exec_lo
	v_cmpx_lt_u32_e64 v117, v147
	s_cbranch_execz .LBB608_216
.LBB608_247:                            ;   in Loop: Header=BB608_98 Depth=2
	global_load_b64 v[20:21], v[36:37], off offset:1792
	s_or_b32 exec_lo, exec_lo, s34
	s_delay_alu instid0(SALU_CYCLE_1)
	s_mov_b32 s34, exec_lo
	v_cmpx_lt_u32_e64 v118, v147
	s_cbranch_execnz .LBB608_217
.LBB608_248:                            ;   in Loop: Header=BB608_98 Depth=2
	s_or_b32 exec_lo, exec_lo, s34
	s_delay_alu instid0(SALU_CYCLE_1)
	s_mov_b32 s34, exec_lo
	v_cmpx_lt_u32_e64 v119, v147
	s_cbranch_execz .LBB608_218
.LBB608_249:                            ;   in Loop: Header=BB608_98 Depth=2
	global_load_b64 v[16:17], v[36:37], off offset:2304
	s_or_b32 exec_lo, exec_lo, s34
	s_delay_alu instid0(SALU_CYCLE_1)
	s_mov_b32 s34, exec_lo
	v_cmpx_lt_u32_e64 v120, v147
	s_cbranch_execnz .LBB608_219
.LBB608_250:                            ;   in Loop: Header=BB608_98 Depth=2
	s_or_b32 exec_lo, exec_lo, s34
	s_delay_alu instid0(SALU_CYCLE_1)
	s_mov_b32 s34, exec_lo
	v_cmpx_lt_u32_e64 v121, v147
	s_cbranch_execz .LBB608_220
.LBB608_251:                            ;   in Loop: Header=BB608_98 Depth=2
	global_load_b64 v[12:13], v[36:37], off offset:2816
	s_or_b32 exec_lo, exec_lo, s34
	s_delay_alu instid0(SALU_CYCLE_1)
	s_mov_b32 s34, exec_lo
	v_cmpx_lt_u32_e64 v122, v147
	s_cbranch_execnz .LBB608_221
.LBB608_252:                            ;   in Loop: Header=BB608_98 Depth=2
	s_or_b32 exec_lo, exec_lo, s34
	s_delay_alu instid0(SALU_CYCLE_1)
	s_mov_b32 s34, exec_lo
	v_cmpx_lt_u32_e64 v123, v147
	s_cbranch_execz .LBB608_222
.LBB608_253:                            ;   in Loop: Header=BB608_98 Depth=2
	global_load_b64 v[8:9], v[36:37], off offset:3328
	s_or_b32 exec_lo, exec_lo, s34
	s_delay_alu instid0(SALU_CYCLE_1)
	s_mov_b32 s34, exec_lo
	v_cmpx_lt_u32_e64 v124, v147
	s_cbranch_execnz .LBB608_223
.LBB608_254:                            ;   in Loop: Header=BB608_98 Depth=2
	s_or_b32 exec_lo, exec_lo, s34
	s_delay_alu instid0(SALU_CYCLE_1)
	s_mov_b32 s34, exec_lo
	v_cmpx_lt_u32_e64 v125, v147
	s_cbranch_execz .LBB608_224
.LBB608_255:                            ;   in Loop: Header=BB608_98 Depth=2
	global_load_b64 v[4:5], v[36:37], off offset:3840
	s_or_b32 exec_lo, exec_lo, s34
	s_and_saveexec_b32 s33, vcc_lo
	s_cbranch_execnz .LBB608_225
.LBB608_256:                            ;   in Loop: Header=BB608_98 Depth=2
	s_or_b32 exec_lo, exec_lo, s33
	s_and_saveexec_b32 s33, s16
	s_cbranch_execz .LBB608_226
.LBB608_257:                            ;   in Loop: Header=BB608_98 Depth=2
	ds_load_b32 v2, v78 offset:1024
	s_waitcnt lgkmcnt(0)
	v_lshrrev_b32_e32 v2, s38, v2
	s_delay_alu instid0(VALU_DEP_1)
	v_and_b32_e32 v145, s39, v2
	s_or_b32 exec_lo, exec_lo, s33
	s_and_saveexec_b32 s33, s17
	s_cbranch_execnz .LBB608_227
.LBB608_258:                            ;   in Loop: Header=BB608_98 Depth=2
	s_or_b32 exec_lo, exec_lo, s33
	s_and_saveexec_b32 s33, s18
	s_cbranch_execz .LBB608_228
.LBB608_259:                            ;   in Loop: Header=BB608_98 Depth=2
	ds_load_b32 v2, v78 offset:3072
	s_waitcnt lgkmcnt(0)
	v_lshrrev_b32_e32 v2, s38, v2
	s_delay_alu instid0(VALU_DEP_1)
	v_and_b32_e32 v143, s39, v2
	s_or_b32 exec_lo, exec_lo, s33
	s_and_saveexec_b32 s33, s19
	s_cbranch_execnz .LBB608_229
.LBB608_260:                            ;   in Loop: Header=BB608_98 Depth=2
	s_or_b32 exec_lo, exec_lo, s33
	s_and_saveexec_b32 s33, s20
	s_cbranch_execz .LBB608_230
.LBB608_261:                            ;   in Loop: Header=BB608_98 Depth=2
	ds_load_b32 v2, v78 offset:5120
	s_waitcnt lgkmcnt(0)
	v_lshrrev_b32_e32 v2, s38, v2
	s_delay_alu instid0(VALU_DEP_1)
	v_and_b32_e32 v141, s39, v2
	s_or_b32 exec_lo, exec_lo, s33
	s_and_saveexec_b32 s33, s21
	s_cbranch_execnz .LBB608_231
.LBB608_262:                            ;   in Loop: Header=BB608_98 Depth=2
	s_or_b32 exec_lo, exec_lo, s33
	s_and_saveexec_b32 s33, s22
	s_cbranch_execz .LBB608_232
.LBB608_263:                            ;   in Loop: Header=BB608_98 Depth=2
	ds_load_b32 v2, v78 offset:7168
	s_waitcnt lgkmcnt(0)
	v_lshrrev_b32_e32 v2, s38, v2
	s_delay_alu instid0(VALU_DEP_1)
	v_and_b32_e32 v139, s39, v2
	s_or_b32 exec_lo, exec_lo, s33
	s_and_saveexec_b32 s33, s23
	s_cbranch_execnz .LBB608_233
.LBB608_264:                            ;   in Loop: Header=BB608_98 Depth=2
	s_or_b32 exec_lo, exec_lo, s33
	s_and_saveexec_b32 s33, s24
	s_cbranch_execz .LBB608_234
.LBB608_265:                            ;   in Loop: Header=BB608_98 Depth=2
	ds_load_b32 v2, v78 offset:9216
	s_waitcnt lgkmcnt(0)
	v_lshrrev_b32_e32 v2, s38, v2
	s_delay_alu instid0(VALU_DEP_1)
	v_and_b32_e32 v137, s39, v2
	s_or_b32 exec_lo, exec_lo, s33
	s_and_saveexec_b32 s33, s25
	s_cbranch_execnz .LBB608_235
.LBB608_266:                            ;   in Loop: Header=BB608_98 Depth=2
	s_or_b32 exec_lo, exec_lo, s33
	s_and_saveexec_b32 s33, s27
	s_cbranch_execz .LBB608_236
.LBB608_267:                            ;   in Loop: Header=BB608_98 Depth=2
	ds_load_b32 v2, v78 offset:11264
	s_waitcnt lgkmcnt(0)
	v_lshrrev_b32_e32 v2, s38, v2
	s_delay_alu instid0(VALU_DEP_1)
	v_and_b32_e32 v135, s39, v2
	s_or_b32 exec_lo, exec_lo, s33
	s_and_saveexec_b32 s33, s28
	s_cbranch_execnz .LBB608_237
.LBB608_268:                            ;   in Loop: Header=BB608_98 Depth=2
	s_or_b32 exec_lo, exec_lo, s33
	s_and_saveexec_b32 s33, s29
	s_cbranch_execz .LBB608_238
.LBB608_269:                            ;   in Loop: Header=BB608_98 Depth=2
	ds_load_b32 v2, v78 offset:13312
	s_waitcnt lgkmcnt(0)
	v_lshrrev_b32_e32 v2, s38, v2
	s_delay_alu instid0(VALU_DEP_1)
	v_and_b32_e32 v133, s39, v2
	s_or_b32 exec_lo, exec_lo, s33
	s_and_saveexec_b32 s33, s30
	s_cbranch_execnz .LBB608_239
.LBB608_270:                            ;   in Loop: Header=BB608_98 Depth=2
	s_or_b32 exec_lo, exec_lo, s33
	s_and_saveexec_b32 s33, s31
	s_cbranch_execz .LBB608_272
.LBB608_271:                            ;   in Loop: Header=BB608_98 Depth=2
	ds_load_b32 v2, v78 offset:15360
	s_waitcnt lgkmcnt(0)
	v_lshrrev_b32_e32 v2, s38, v2
	s_delay_alu instid0(VALU_DEP_1)
	v_and_b32_e32 v131, s39, v2
.LBB608_272:                            ;   in Loop: Header=BB608_98 Depth=2
	s_or_b32 exec_lo, exec_lo, s33
	v_lshlrev_b32_e32 v2, 3, v170
	v_lshlrev_b32_e32 v36, 3, v166
	s_waitcnt vmcnt(0)
	s_waitcnt_vscnt null, 0x0
	s_barrier
	buffer_gl0_inv
	ds_store_b64 v2, v[34:35] offset:1024
	v_lshlrev_b32_e32 v2, 3, v162
	v_lshlrev_b32_e32 v37, 3, v158
	;; [unrolled: 1-line block ×4, first 2 shown]
	ds_store_b64 v36, v[32:33] offset:1024
	ds_store_b64 v2, v[30:31] offset:1024
	;; [unrolled: 1-line block ×5, first 2 shown]
	v_lshlrev_b32_e32 v2, 3, v154
	v_lshlrev_b32_e32 v36, 3, v153
	;; [unrolled: 1-line block ×5, first 2 shown]
	ds_store_b64 v2, v[22:23] offset:1024
	ds_store_b64 v36, v[20:21] offset:1024
	;; [unrolled: 1-line block ×5, first 2 shown]
	v_lshlrev_b32_e32 v2, 3, v40
	v_lshlrev_b32_e32 v36, 3, v39
	;; [unrolled: 1-line block ×5, first 2 shown]
	ds_store_b64 v2, v[12:13] offset:1024
	ds_store_b64 v36, v[10:11] offset:1024
	;; [unrolled: 1-line block ×5, first 2 shown]
	s_waitcnt lgkmcnt(0)
	s_barrier
	buffer_gl0_inv
	s_and_saveexec_b32 s33, vcc_lo
	s_cbranch_execz .LBB608_288
; %bb.273:                              ;   in Loop: Header=BB608_98 Depth=2
	v_lshlrev_b32_e32 v2, 2, v146
	ds_load_b32 v2, v2
	ds_load_b64 v[36:37], v79 offset:1024
	s_waitcnt lgkmcnt(1)
	v_add_nc_u32_e32 v2, v2, v1
	s_delay_alu instid0(VALU_DEP_1) | instskip(NEXT) | instid1(VALU_DEP_1)
	v_lshlrev_b64 v[39:40], 3, v[2:3]
	v_add_co_u32 v39, vcc_lo, s52, v39
	s_delay_alu instid0(VALU_DEP_2)
	v_add_co_ci_u32_e32 v40, vcc_lo, s53, v40, vcc_lo
	s_waitcnt lgkmcnt(0)
	global_store_b64 v[39:40], v[36:37], off
	s_or_b32 exec_lo, exec_lo, s33
	s_and_saveexec_b32 s33, s16
	s_cbranch_execnz .LBB608_289
.LBB608_274:                            ;   in Loop: Header=BB608_98 Depth=2
	s_or_b32 exec_lo, exec_lo, s33
	s_and_saveexec_b32 s16, s17
	s_cbranch_execz .LBB608_290
.LBB608_275:                            ;   in Loop: Header=BB608_98 Depth=2
	v_lshlrev_b32_e32 v2, 2, v144
	v_add_nc_u32_e32 v36, v78, v44
	ds_load_b32 v2, v2
	ds_load_b64 v[36:37], v36 offset:4096
	s_waitcnt lgkmcnt(1)
	v_add_nc_u32_e32 v2, v2, v46
	s_delay_alu instid0(VALU_DEP_1) | instskip(NEXT) | instid1(VALU_DEP_1)
	v_lshlrev_b64 v[39:40], 3, v[2:3]
	v_add_co_u32 v39, vcc_lo, s52, v39
	s_delay_alu instid0(VALU_DEP_2)
	v_add_co_ci_u32_e32 v40, vcc_lo, s53, v40, vcc_lo
	s_waitcnt lgkmcnt(0)
	global_store_b64 v[39:40], v[36:37], off
	s_or_b32 exec_lo, exec_lo, s16
	s_and_saveexec_b32 s16, s18
	s_cbranch_execnz .LBB608_291
.LBB608_276:                            ;   in Loop: Header=BB608_98 Depth=2
	s_or_b32 exec_lo, exec_lo, s16
	s_and_saveexec_b32 s16, s19
	s_cbranch_execz .LBB608_292
.LBB608_277:                            ;   in Loop: Header=BB608_98 Depth=2
	v_lshlrev_b32_e32 v2, 2, v142
	v_add_nc_u32_e32 v36, v78, v44
	ds_load_b32 v2, v2
	ds_load_b64 v[36:37], v36 offset:8192
	s_waitcnt lgkmcnt(1)
	v_add_nc_u32_e32 v2, v2, v51
	s_delay_alu instid0(VALU_DEP_1) | instskip(NEXT) | instid1(VALU_DEP_1)
	v_lshlrev_b64 v[39:40], 3, v[2:3]
	v_add_co_u32 v39, vcc_lo, s52, v39
	s_delay_alu instid0(VALU_DEP_2)
	v_add_co_ci_u32_e32 v40, vcc_lo, s53, v40, vcc_lo
	s_waitcnt lgkmcnt(0)
	global_store_b64 v[39:40], v[36:37], off
	s_or_b32 exec_lo, exec_lo, s16
	s_and_saveexec_b32 s16, s20
	s_cbranch_execnz .LBB608_293
.LBB608_278:                            ;   in Loop: Header=BB608_98 Depth=2
	s_or_b32 exec_lo, exec_lo, s16
	s_and_saveexec_b32 s16, s21
	s_cbranch_execz .LBB608_294
.LBB608_279:                            ;   in Loop: Header=BB608_98 Depth=2
	v_lshlrev_b32_e32 v2, 2, v140
	v_add_nc_u32_e32 v36, v78, v44
	ds_load_b32 v2, v2
	ds_load_b64 v[36:37], v36 offset:12288
	s_waitcnt lgkmcnt(1)
	v_add_nc_u32_e32 v2, v2, v53
	s_delay_alu instid0(VALU_DEP_1) | instskip(NEXT) | instid1(VALU_DEP_1)
	v_lshlrev_b64 v[39:40], 3, v[2:3]
	v_add_co_u32 v39, vcc_lo, s52, v39
	s_delay_alu instid0(VALU_DEP_2)
	v_add_co_ci_u32_e32 v40, vcc_lo, s53, v40, vcc_lo
	s_waitcnt lgkmcnt(0)
	global_store_b64 v[39:40], v[36:37], off
	s_or_b32 exec_lo, exec_lo, s16
	s_and_saveexec_b32 s16, s22
	s_cbranch_execnz .LBB608_295
.LBB608_280:                            ;   in Loop: Header=BB608_98 Depth=2
	s_or_b32 exec_lo, exec_lo, s16
	s_and_saveexec_b32 s16, s23
	s_cbranch_execz .LBB608_296
.LBB608_281:                            ;   in Loop: Header=BB608_98 Depth=2
	v_lshlrev_b32_e32 v2, 2, v138
	v_add_nc_u32_e32 v36, v78, v44
	ds_load_b32 v2, v2
	ds_load_b64 v[36:37], v36 offset:16384
	s_waitcnt lgkmcnt(1)
	v_add_nc_u32_e32 v2, v2, v55
	s_delay_alu instid0(VALU_DEP_1) | instskip(NEXT) | instid1(VALU_DEP_1)
	v_lshlrev_b64 v[39:40], 3, v[2:3]
	v_add_co_u32 v39, vcc_lo, s52, v39
	s_delay_alu instid0(VALU_DEP_2)
	v_add_co_ci_u32_e32 v40, vcc_lo, s53, v40, vcc_lo
	s_waitcnt lgkmcnt(0)
	global_store_b64 v[39:40], v[36:37], off
	s_or_b32 exec_lo, exec_lo, s16
	s_and_saveexec_b32 s16, s24
	s_cbranch_execnz .LBB608_297
.LBB608_282:                            ;   in Loop: Header=BB608_98 Depth=2
	s_or_b32 exec_lo, exec_lo, s16
	s_and_saveexec_b32 s16, s25
	s_cbranch_execz .LBB608_298
.LBB608_283:                            ;   in Loop: Header=BB608_98 Depth=2
	v_lshlrev_b32_e32 v2, 2, v136
	v_add_nc_u32_e32 v36, v78, v44
	ds_load_b32 v2, v2
	ds_load_b64 v[36:37], v36 offset:20480
	s_waitcnt lgkmcnt(1)
	v_add_nc_u32_e32 v2, v2, v57
	s_delay_alu instid0(VALU_DEP_1) | instskip(NEXT) | instid1(VALU_DEP_1)
	v_lshlrev_b64 v[39:40], 3, v[2:3]
	v_add_co_u32 v39, vcc_lo, s52, v39
	s_delay_alu instid0(VALU_DEP_2)
	v_add_co_ci_u32_e32 v40, vcc_lo, s53, v40, vcc_lo
	s_waitcnt lgkmcnt(0)
	global_store_b64 v[39:40], v[36:37], off
	s_or_b32 exec_lo, exec_lo, s16
	s_and_saveexec_b32 s16, s27
	s_cbranch_execnz .LBB608_299
.LBB608_284:                            ;   in Loop: Header=BB608_98 Depth=2
	s_or_b32 exec_lo, exec_lo, s16
	s_and_saveexec_b32 s16, s28
	s_cbranch_execz .LBB608_300
.LBB608_285:                            ;   in Loop: Header=BB608_98 Depth=2
	v_lshlrev_b32_e32 v2, 2, v134
	v_add_nc_u32_e32 v36, v78, v44
	ds_load_b32 v2, v2
	ds_load_b64 v[36:37], v36 offset:24576
	s_waitcnt lgkmcnt(1)
	v_add_nc_u32_e32 v2, v2, v59
	s_delay_alu instid0(VALU_DEP_1) | instskip(NEXT) | instid1(VALU_DEP_1)
	v_lshlrev_b64 v[39:40], 3, v[2:3]
	v_add_co_u32 v39, vcc_lo, s52, v39
	s_delay_alu instid0(VALU_DEP_2)
	v_add_co_ci_u32_e32 v40, vcc_lo, s53, v40, vcc_lo
	s_waitcnt lgkmcnt(0)
	global_store_b64 v[39:40], v[36:37], off
	s_or_b32 exec_lo, exec_lo, s16
	s_and_saveexec_b32 s16, s29
	s_cbranch_execnz .LBB608_301
.LBB608_286:                            ;   in Loop: Header=BB608_98 Depth=2
	s_or_b32 exec_lo, exec_lo, s16
	s_and_saveexec_b32 s16, s30
	s_cbranch_execz .LBB608_302
.LBB608_287:                            ;   in Loop: Header=BB608_98 Depth=2
	v_lshlrev_b32_e32 v2, 2, v132
	v_add_nc_u32_e32 v36, v78, v44
	ds_load_b32 v2, v2
	ds_load_b64 v[36:37], v36 offset:28672
	s_waitcnt lgkmcnt(1)
	v_add_nc_u32_e32 v2, v2, v61
	s_delay_alu instid0(VALU_DEP_1) | instskip(NEXT) | instid1(VALU_DEP_1)
	v_lshlrev_b64 v[39:40], 3, v[2:3]
	v_add_co_u32 v39, vcc_lo, s52, v39
	s_delay_alu instid0(VALU_DEP_2)
	v_add_co_ci_u32_e32 v40, vcc_lo, s53, v40, vcc_lo
	s_waitcnt lgkmcnt(0)
	global_store_b64 v[39:40], v[36:37], off
	s_or_b32 exec_lo, exec_lo, s16
	s_and_saveexec_b32 s16, s31
	s_cbranch_execnz .LBB608_303
	s_branch .LBB608_304
.LBB608_288:                            ;   in Loop: Header=BB608_98 Depth=2
	s_or_b32 exec_lo, exec_lo, s33
	s_and_saveexec_b32 s33, s16
	s_cbranch_execz .LBB608_274
.LBB608_289:                            ;   in Loop: Header=BB608_98 Depth=2
	v_lshlrev_b32_e32 v2, 2, v145
	v_add_nc_u32_e32 v36, v78, v44
	ds_load_b32 v2, v2
	ds_load_b64 v[36:37], v36 offset:2048
	s_waitcnt lgkmcnt(1)
	v_add_nc_u32_e32 v2, v2, v45
	s_delay_alu instid0(VALU_DEP_1) | instskip(NEXT) | instid1(VALU_DEP_1)
	v_lshlrev_b64 v[39:40], 3, v[2:3]
	v_add_co_u32 v39, vcc_lo, s52, v39
	s_delay_alu instid0(VALU_DEP_2)
	v_add_co_ci_u32_e32 v40, vcc_lo, s53, v40, vcc_lo
	s_waitcnt lgkmcnt(0)
	global_store_b64 v[39:40], v[36:37], off
	s_or_b32 exec_lo, exec_lo, s33
	s_and_saveexec_b32 s16, s17
	s_cbranch_execnz .LBB608_275
.LBB608_290:                            ;   in Loop: Header=BB608_98 Depth=2
	s_or_b32 exec_lo, exec_lo, s16
	s_and_saveexec_b32 s16, s18
	s_cbranch_execz .LBB608_276
.LBB608_291:                            ;   in Loop: Header=BB608_98 Depth=2
	v_lshlrev_b32_e32 v2, 2, v143
	v_add_nc_u32_e32 v36, v78, v44
	ds_load_b32 v2, v2
	ds_load_b64 v[36:37], v36 offset:6144
	s_waitcnt lgkmcnt(1)
	v_add_nc_u32_e32 v2, v2, v47
	s_delay_alu instid0(VALU_DEP_1) | instskip(NEXT) | instid1(VALU_DEP_1)
	v_lshlrev_b64 v[39:40], 3, v[2:3]
	v_add_co_u32 v39, vcc_lo, s52, v39
	s_delay_alu instid0(VALU_DEP_2)
	v_add_co_ci_u32_e32 v40, vcc_lo, s53, v40, vcc_lo
	s_waitcnt lgkmcnt(0)
	global_store_b64 v[39:40], v[36:37], off
	s_or_b32 exec_lo, exec_lo, s16
	s_and_saveexec_b32 s16, s19
	s_cbranch_execnz .LBB608_277
.LBB608_292:                            ;   in Loop: Header=BB608_98 Depth=2
	s_or_b32 exec_lo, exec_lo, s16
	s_and_saveexec_b32 s16, s20
	s_cbranch_execz .LBB608_278
.LBB608_293:                            ;   in Loop: Header=BB608_98 Depth=2
	v_lshlrev_b32_e32 v2, 2, v141
	v_add_nc_u32_e32 v36, v78, v44
	ds_load_b32 v2, v2
	ds_load_b64 v[36:37], v36 offset:10240
	s_waitcnt lgkmcnt(1)
	v_add_nc_u32_e32 v2, v2, v52
	s_delay_alu instid0(VALU_DEP_1) | instskip(NEXT) | instid1(VALU_DEP_1)
	v_lshlrev_b64 v[39:40], 3, v[2:3]
	v_add_co_u32 v39, vcc_lo, s52, v39
	s_delay_alu instid0(VALU_DEP_2)
	v_add_co_ci_u32_e32 v40, vcc_lo, s53, v40, vcc_lo
	s_waitcnt lgkmcnt(0)
	global_store_b64 v[39:40], v[36:37], off
	s_or_b32 exec_lo, exec_lo, s16
	s_and_saveexec_b32 s16, s21
	s_cbranch_execnz .LBB608_279
.LBB608_294:                            ;   in Loop: Header=BB608_98 Depth=2
	s_or_b32 exec_lo, exec_lo, s16
	s_and_saveexec_b32 s16, s22
	s_cbranch_execz .LBB608_280
.LBB608_295:                            ;   in Loop: Header=BB608_98 Depth=2
	v_lshlrev_b32_e32 v2, 2, v139
	v_add_nc_u32_e32 v36, v78, v44
	ds_load_b32 v2, v2
	ds_load_b64 v[36:37], v36 offset:14336
	s_waitcnt lgkmcnt(1)
	v_add_nc_u32_e32 v2, v2, v54
	s_delay_alu instid0(VALU_DEP_1) | instskip(NEXT) | instid1(VALU_DEP_1)
	v_lshlrev_b64 v[39:40], 3, v[2:3]
	v_add_co_u32 v39, vcc_lo, s52, v39
	s_delay_alu instid0(VALU_DEP_2)
	v_add_co_ci_u32_e32 v40, vcc_lo, s53, v40, vcc_lo
	s_waitcnt lgkmcnt(0)
	global_store_b64 v[39:40], v[36:37], off
	s_or_b32 exec_lo, exec_lo, s16
	s_and_saveexec_b32 s16, s23
	s_cbranch_execnz .LBB608_281
.LBB608_296:                            ;   in Loop: Header=BB608_98 Depth=2
	s_or_b32 exec_lo, exec_lo, s16
	s_and_saveexec_b32 s16, s24
	s_cbranch_execz .LBB608_282
.LBB608_297:                            ;   in Loop: Header=BB608_98 Depth=2
	v_lshlrev_b32_e32 v2, 2, v137
	v_add_nc_u32_e32 v36, v78, v44
	ds_load_b32 v2, v2
	ds_load_b64 v[36:37], v36 offset:18432
	s_waitcnt lgkmcnt(1)
	v_add_nc_u32_e32 v2, v2, v56
	s_delay_alu instid0(VALU_DEP_1) | instskip(NEXT) | instid1(VALU_DEP_1)
	v_lshlrev_b64 v[39:40], 3, v[2:3]
	v_add_co_u32 v39, vcc_lo, s52, v39
	s_delay_alu instid0(VALU_DEP_2)
	v_add_co_ci_u32_e32 v40, vcc_lo, s53, v40, vcc_lo
	s_waitcnt lgkmcnt(0)
	global_store_b64 v[39:40], v[36:37], off
	s_or_b32 exec_lo, exec_lo, s16
	s_and_saveexec_b32 s16, s25
	s_cbranch_execnz .LBB608_283
.LBB608_298:                            ;   in Loop: Header=BB608_98 Depth=2
	s_or_b32 exec_lo, exec_lo, s16
	s_and_saveexec_b32 s16, s27
	s_cbranch_execz .LBB608_284
.LBB608_299:                            ;   in Loop: Header=BB608_98 Depth=2
	v_lshlrev_b32_e32 v2, 2, v135
	v_add_nc_u32_e32 v36, v78, v44
	ds_load_b32 v2, v2
	ds_load_b64 v[36:37], v36 offset:22528
	s_waitcnt lgkmcnt(1)
	v_add_nc_u32_e32 v2, v2, v58
	s_delay_alu instid0(VALU_DEP_1) | instskip(NEXT) | instid1(VALU_DEP_1)
	v_lshlrev_b64 v[39:40], 3, v[2:3]
	v_add_co_u32 v39, vcc_lo, s52, v39
	s_delay_alu instid0(VALU_DEP_2)
	v_add_co_ci_u32_e32 v40, vcc_lo, s53, v40, vcc_lo
	s_waitcnt lgkmcnt(0)
	global_store_b64 v[39:40], v[36:37], off
	s_or_b32 exec_lo, exec_lo, s16
	s_and_saveexec_b32 s16, s28
	s_cbranch_execnz .LBB608_285
.LBB608_300:                            ;   in Loop: Header=BB608_98 Depth=2
	s_or_b32 exec_lo, exec_lo, s16
	s_and_saveexec_b32 s16, s29
	s_cbranch_execz .LBB608_286
.LBB608_301:                            ;   in Loop: Header=BB608_98 Depth=2
	v_lshlrev_b32_e32 v2, 2, v133
	v_add_nc_u32_e32 v36, v78, v44
	ds_load_b32 v2, v2
	ds_load_b64 v[36:37], v36 offset:26624
	s_waitcnt lgkmcnt(1)
	v_add_nc_u32_e32 v2, v2, v60
	s_delay_alu instid0(VALU_DEP_1) | instskip(NEXT) | instid1(VALU_DEP_1)
	v_lshlrev_b64 v[39:40], 3, v[2:3]
	v_add_co_u32 v39, vcc_lo, s52, v39
	s_delay_alu instid0(VALU_DEP_2)
	v_add_co_ci_u32_e32 v40, vcc_lo, s53, v40, vcc_lo
	s_waitcnt lgkmcnt(0)
	global_store_b64 v[39:40], v[36:37], off
	s_or_b32 exec_lo, exec_lo, s16
	s_and_saveexec_b32 s16, s30
	s_cbranch_execnz .LBB608_287
.LBB608_302:                            ;   in Loop: Header=BB608_98 Depth=2
	s_or_b32 exec_lo, exec_lo, s16
	s_and_saveexec_b32 s16, s31
	s_cbranch_execz .LBB608_304
.LBB608_303:                            ;   in Loop: Header=BB608_98 Depth=2
	v_lshlrev_b32_e32 v2, 2, v131
	v_add_nc_u32_e32 v36, v78, v44
	ds_load_b32 v2, v2
	ds_load_b64 v[36:37], v36 offset:30720
	s_waitcnt lgkmcnt(1)
	v_add_nc_u32_e32 v2, v2, v63
	s_delay_alu instid0(VALU_DEP_1) | instskip(NEXT) | instid1(VALU_DEP_1)
	v_lshlrev_b64 v[39:40], 3, v[2:3]
	v_add_co_u32 v39, vcc_lo, s52, v39
	s_delay_alu instid0(VALU_DEP_2)
	v_add_co_ci_u32_e32 v40, vcc_lo, s53, v40, vcc_lo
	s_waitcnt lgkmcnt(0)
	global_store_b64 v[39:40], v[36:37], off
.LBB608_304:                            ;   in Loop: Header=BB608_98 Depth=2
	s_or_b32 exec_lo, exec_lo, s16
	s_waitcnt_vscnt null, 0x0
	s_barrier
	buffer_gl0_inv
	s_and_saveexec_b32 s16, s2
	s_cbranch_execz .LBB608_97
; %bb.305:                              ;   in Loop: Header=BB608_98 Depth=2
	ds_load_b32 v2, v44
	s_waitcnt lgkmcnt(0)
	v_add_nc_u32_e32 v2, v2, v38
	ds_store_b32 v44, v2
	s_branch .LBB608_97
.LBB608_306:                            ;   in Loop: Header=BB608_12 Depth=1
	s_waitcnt lgkmcnt(0)
	s_mov_b32 s0, 0
	s_barrier
.LBB608_307:                            ;   in Loop: Header=BB608_12 Depth=1
	s_and_b32 vcc_lo, exec_lo, s0
	s_cbranch_vccz .LBB608_601
; %bb.308:                              ;   in Loop: Header=BB608_12 Depth=1
	s_mov_b32 s8, s62
	s_mov_b32 s34, s60
	s_barrier
	buffer_gl0_inv
                                        ; implicit-def: $vgpr20
                                        ; implicit-def: $vgpr2
                                        ; implicit-def: $vgpr6
                                        ; implicit-def: $vgpr7
                                        ; implicit-def: $vgpr8
                                        ; implicit-def: $vgpr9
                                        ; implicit-def: $vgpr10
                                        ; implicit-def: $vgpr11
                                        ; implicit-def: $vgpr12
                                        ; implicit-def: $vgpr13
                                        ; implicit-def: $vgpr14
                                        ; implicit-def: $vgpr15
                                        ; implicit-def: $vgpr16
                                        ; implicit-def: $vgpr17
                                        ; implicit-def: $vgpr18
                                        ; implicit-def: $vgpr19
	s_branch .LBB608_310
.LBB608_309:                            ;   in Loop: Header=BB608_310 Depth=2
	s_or_b32 exec_lo, exec_lo, s0
	s_addk_i32 s8, 0xf000
	s_cmp_ge_u32 s9, s61
	s_mov_b32 s34, s9
	s_cbranch_scc1 .LBB608_380
.LBB608_310:                            ;   Parent Loop BB608_12 Depth=1
                                        ; =>  This Inner Loop Header: Depth=2
	s_add_i32 s9, s34, 0x1000
	s_delay_alu instid0(SALU_CYCLE_1)
	s_cmp_gt_u32 s9, s61
	s_cbranch_scc1 .LBB608_313
; %bb.311:                              ;   in Loop: Header=BB608_310 Depth=2
	s_mov_b32 s1, 0
	s_mov_b32 s0, s34
	s_delay_alu instid0(SALU_CYCLE_1) | instskip(NEXT) | instid1(SALU_CYCLE_1)
	s_lshl_b64 s[10:11], s[0:1], 2
	v_add_co_u32 v4, vcc_lo, v80, s10
	v_add_co_ci_u32_e32 v5, vcc_lo, s11, v81, vcc_lo
	s_movk_i32 s11, 0x1000
	s_waitcnt vmcnt(1)
	s_delay_alu instid0(VALU_DEP_2) | instskip(NEXT) | instid1(VALU_DEP_2)
	v_add_co_u32 v29, vcc_lo, 0x1000, v4
	v_add_co_ci_u32_e32 v30, vcc_lo, 0, v5, vcc_lo
	s_waitcnt vmcnt(0)
	v_add_co_u32 v36, vcc_lo, v4, 0x2000
	v_add_co_ci_u32_e32 v37, vcc_lo, 0, v5, vcc_lo
	v_add_co_u32 v33, vcc_lo, 0x2000, v4
	v_add_co_ci_u32_e32 v34, vcc_lo, 0, v5, vcc_lo
	v_add_co_u32 v38, vcc_lo, 0x3000, v4
	global_load_b32 v26, v[36:37], off
	v_add_co_ci_u32_e32 v39, vcc_lo, 0, v5, vcc_lo
	s_clause 0xd
	global_load_b32 v22, v[4:5], off
	global_load_b32 v23, v[4:5], off offset:1024
	global_load_b32 v24, v[4:5], off offset:2048
	;; [unrolled: 1-line block ×9, first 2 shown]
	global_load_b32 v34, v[38:39], off
	global_load_b32 v35, v[38:39], off offset:1024
	global_load_b32 v29, v[36:37], off offset:-4096
	global_load_b32 v36, v[38:39], off offset:2048
	v_add_co_u32 v4, vcc_lo, 0x3c00, v4
	v_add_co_ci_u32_e32 v5, vcc_lo, 0, v5, vcc_lo
	s_mov_b32 s10, -1
	s_cbranch_execz .LBB608_314
; %bb.312:                              ;   in Loop: Header=BB608_310 Depth=2
                                        ; implicit-def: $vgpr19
                                        ; implicit-def: $vgpr18
                                        ; implicit-def: $vgpr17
                                        ; implicit-def: $vgpr16
                                        ; implicit-def: $vgpr15
                                        ; implicit-def: $vgpr14
                                        ; implicit-def: $vgpr13
                                        ; implicit-def: $vgpr12
                                        ; implicit-def: $vgpr11
                                        ; implicit-def: $vgpr10
                                        ; implicit-def: $vgpr9
                                        ; implicit-def: $vgpr8
                                        ; implicit-def: $vgpr7
                                        ; implicit-def: $vgpr6
                                        ; implicit-def: $vgpr2
                                        ; implicit-def: $vgpr20
	v_mov_b32_e32 v21, s8
	s_and_saveexec_b32 s0, s10
	s_cbranch_execnz .LBB608_333
	s_branch .LBB608_334
.LBB608_313:                            ;   in Loop: Header=BB608_310 Depth=2
	s_mov_b32 s10, 0
                                        ; implicit-def: $sgpr11
                                        ; implicit-def: $vgpr22
                                        ; implicit-def: $vgpr23
                                        ; implicit-def: $vgpr24
                                        ; implicit-def: $vgpr25
                                        ; implicit-def: $vgpr29
                                        ; implicit-def: $vgpr27
                                        ; implicit-def: $vgpr28
                                        ; implicit-def: $vgpr30
                                        ; implicit-def: $vgpr26
                                        ; implicit-def: $vgpr31
                                        ; implicit-def: $vgpr32
                                        ; implicit-def: $vgpr33
                                        ; implicit-def: $vgpr34
                                        ; implicit-def: $vgpr35
                                        ; implicit-def: $vgpr36
                                        ; implicit-def: $vgpr4_vgpr5
.LBB608_314:                            ;   in Loop: Header=BB608_310 Depth=2
	s_lshl_b64 s[0:1], s[34:35], 2
	s_mov_b32 s11, exec_lo
	s_add_u32 s0, s46, s0
	s_addc_u32 s1, s47, s1
	v_cmpx_gt_u32_e64 s8, v1
	s_cbranch_execz .LBB608_366
; %bb.315:                              ;   in Loop: Header=BB608_310 Depth=2
	global_load_b32 v19, v93, s[0:1]
	s_or_b32 exec_lo, exec_lo, s11
	s_delay_alu instid0(SALU_CYCLE_1)
	s_mov_b32 s11, exec_lo
	v_cmpx_gt_u32_e64 s8, v45
	s_cbranch_execnz .LBB608_367
.LBB608_316:                            ;   in Loop: Header=BB608_310 Depth=2
	s_or_b32 exec_lo, exec_lo, s11
	s_delay_alu instid0(SALU_CYCLE_1)
	s_mov_b32 s11, exec_lo
	v_cmpx_gt_u32_e64 s8, v46
	s_cbranch_execz .LBB608_368
.LBB608_317:                            ;   in Loop: Header=BB608_310 Depth=2
	global_load_b32 v17, v93, s[0:1] offset:2048
	s_or_b32 exec_lo, exec_lo, s11
	s_delay_alu instid0(SALU_CYCLE_1)
	s_mov_b32 s11, exec_lo
	v_cmpx_gt_u32_e64 s8, v47
	s_cbranch_execnz .LBB608_369
.LBB608_318:                            ;   in Loop: Header=BB608_310 Depth=2
	s_or_b32 exec_lo, exec_lo, s11
	s_delay_alu instid0(SALU_CYCLE_1)
	s_mov_b32 s11, exec_lo
	v_cmpx_gt_u32_e64 s8, v51
	s_cbranch_execz .LBB608_370
.LBB608_319:                            ;   in Loop: Header=BB608_310 Depth=2
	global_load_b32 v15, v94, s[0:1]
	s_or_b32 exec_lo, exec_lo, s11
	s_delay_alu instid0(SALU_CYCLE_1)
	s_mov_b32 s11, exec_lo
	v_cmpx_gt_u32_e64 s8, v52
	s_cbranch_execnz .LBB608_371
.LBB608_320:                            ;   in Loop: Header=BB608_310 Depth=2
	s_or_b32 exec_lo, exec_lo, s11
	s_delay_alu instid0(SALU_CYCLE_1)
	s_mov_b32 s11, exec_lo
	v_cmpx_gt_u32_e64 s8, v53
	s_cbranch_execz .LBB608_372
.LBB608_321:                            ;   in Loop: Header=BB608_310 Depth=2
	global_load_b32 v13, v96, s[0:1]
	s_or_b32 exec_lo, exec_lo, s11
	s_delay_alu instid0(SALU_CYCLE_1)
	s_mov_b32 s11, exec_lo
	v_cmpx_gt_u32_e64 s8, v54
	s_cbranch_execnz .LBB608_373
.LBB608_322:                            ;   in Loop: Header=BB608_310 Depth=2
	s_or_b32 exec_lo, exec_lo, s11
	s_delay_alu instid0(SALU_CYCLE_1)
	s_mov_b32 s11, exec_lo
	v_cmpx_gt_u32_e64 s8, v55
	s_cbranch_execz .LBB608_374
.LBB608_323:                            ;   in Loop: Header=BB608_310 Depth=2
	global_load_b32 v11, v98, s[0:1]
	s_or_b32 exec_lo, exec_lo, s11
	s_delay_alu instid0(SALU_CYCLE_1)
	s_mov_b32 s11, exec_lo
	v_cmpx_gt_u32_e64 s8, v56
	s_cbranch_execnz .LBB608_375
.LBB608_324:                            ;   in Loop: Header=BB608_310 Depth=2
	s_or_b32 exec_lo, exec_lo, s11
	s_delay_alu instid0(SALU_CYCLE_1)
	s_mov_b32 s11, exec_lo
	v_cmpx_gt_u32_e64 s8, v57
	s_cbranch_execz .LBB608_376
.LBB608_325:                            ;   in Loop: Header=BB608_310 Depth=2
	global_load_b32 v9, v100, s[0:1]
	s_or_b32 exec_lo, exec_lo, s11
	s_delay_alu instid0(SALU_CYCLE_1)
	s_mov_b32 s11, exec_lo
	v_cmpx_gt_u32_e64 s8, v58
	s_cbranch_execnz .LBB608_377
.LBB608_326:                            ;   in Loop: Header=BB608_310 Depth=2
	s_or_b32 exec_lo, exec_lo, s11
	s_delay_alu instid0(SALU_CYCLE_1)
	s_mov_b32 s11, exec_lo
	v_cmpx_gt_u32_e64 s8, v59
	s_cbranch_execz .LBB608_378
.LBB608_327:                            ;   in Loop: Header=BB608_310 Depth=2
	global_load_b32 v7, v102, s[0:1]
	s_or_b32 exec_lo, exec_lo, s11
	s_delay_alu instid0(SALU_CYCLE_1)
	s_mov_b32 s11, exec_lo
	v_cmpx_gt_u32_e64 s8, v60
	s_cbranch_execnz .LBB608_379
.LBB608_328:                            ;   in Loop: Header=BB608_310 Depth=2
	s_or_b32 exec_lo, exec_lo, s11
	s_delay_alu instid0(SALU_CYCLE_1)
	s_mov_b32 s11, exec_lo
	v_cmpx_gt_u32_e64 s8, v61
	s_cbranch_execz .LBB608_330
.LBB608_329:                            ;   in Loop: Header=BB608_310 Depth=2
	global_load_b32 v2, v104, s[0:1]
.LBB608_330:                            ;   in Loop: Header=BB608_310 Depth=2
	s_or_b32 exec_lo, exec_lo, s11
	s_delay_alu instid0(SALU_CYCLE_1)
	s_mov_b32 s12, exec_lo
                                        ; implicit-def: $sgpr11
                                        ; implicit-def: $vgpr4_vgpr5
	v_cmpx_gt_u32_e64 s8, v63
; %bb.331:                              ;   in Loop: Header=BB608_310 Depth=2
	v_add_co_u32 v4, s0, s0, v105
	s_delay_alu instid0(VALU_DEP_1)
	v_add_co_ci_u32_e64 v5, null, s1, 0, s0
	s_sub_i32 s11, s61, s34
	s_or_b32 s10, s10, exec_lo
                                        ; implicit-def: $vgpr20
; %bb.332:                              ;   in Loop: Header=BB608_310 Depth=2
	s_or_b32 exec_lo, exec_lo, s12
	s_waitcnt vmcnt(0)
	v_dual_mov_b32 v22, v19 :: v_dual_mov_b32 v23, v18
	v_dual_mov_b32 v24, v17 :: v_dual_mov_b32 v25, v16
	v_dual_mov_b32 v29, v15 :: v_dual_mov_b32 v28, v13
	v_dual_mov_b32 v27, v14 :: v_dual_mov_b32 v30, v12
	v_dual_mov_b32 v26, v11 :: v_dual_mov_b32 v31, v10
	v_dual_mov_b32 v32, v9 :: v_dual_mov_b32 v33, v8
	v_dual_mov_b32 v34, v7 :: v_dual_mov_b32 v35, v6
	v_dual_mov_b32 v36, v2 :: v_dual_mov_b32 v21, s8
	s_and_saveexec_b32 s0, s10
	s_cbranch_execz .LBB608_334
.LBB608_333:                            ;   in Loop: Header=BB608_310 Depth=2
	global_load_b32 v20, v[4:5], off
	s_waitcnt vmcnt(1)
	v_dual_mov_b32 v21, s11 :: v_dual_mov_b32 v2, v36
	v_dual_mov_b32 v6, v35 :: v_dual_mov_b32 v7, v34
	;; [unrolled: 1-line block ×8, first 2 shown]
.LBB608_334:                            ;   in Loop: Header=BB608_310 Depth=2
	s_or_b32 exec_lo, exec_lo, s0
	s_delay_alu instid0(SALU_CYCLE_1)
	s_mov_b32 s0, exec_lo
	v_cmpx_lt_u32_e64 v1, v21
	s_cbranch_execz .LBB608_350
; %bb.335:                              ;   in Loop: Header=BB608_310 Depth=2
	v_xor_b32_e32 v4, 0x80000000, v19
	v_lshlrev_b32_e32 v5, 2, v48
	s_delay_alu instid0(VALU_DEP_2) | instskip(NEXT) | instid1(VALU_DEP_1)
	v_lshrrev_b32_e32 v4, s38, v4
	v_and_b32_e32 v4, s39, v4
	s_delay_alu instid0(VALU_DEP_1) | instskip(SKIP_2) | instid1(SALU_CYCLE_1)
	v_lshl_or_b32 v4, v4, 4, v5
	ds_add_u32 v4, v92
	s_or_b32 exec_lo, exec_lo, s0
	s_mov_b32 s0, exec_lo
	v_cmpx_lt_u32_e64 v45, v21
	s_cbranch_execnz .LBB608_351
.LBB608_336:                            ;   in Loop: Header=BB608_310 Depth=2
	s_or_b32 exec_lo, exec_lo, s0
	s_delay_alu instid0(SALU_CYCLE_1)
	s_mov_b32 s0, exec_lo
	v_cmpx_lt_u32_e64 v46, v21
	s_cbranch_execz .LBB608_352
.LBB608_337:                            ;   in Loop: Header=BB608_310 Depth=2
	v_xor_b32_e32 v4, 0x80000000, v17
	v_lshlrev_b32_e32 v5, 2, v48
	s_delay_alu instid0(VALU_DEP_2) | instskip(NEXT) | instid1(VALU_DEP_1)
	v_lshrrev_b32_e32 v4, s38, v4
	v_and_b32_e32 v4, s39, v4
	s_delay_alu instid0(VALU_DEP_1) | instskip(SKIP_2) | instid1(SALU_CYCLE_1)
	v_lshl_or_b32 v4, v4, 4, v5
	ds_add_u32 v4, v92
	s_or_b32 exec_lo, exec_lo, s0
	s_mov_b32 s0, exec_lo
	v_cmpx_lt_u32_e64 v47, v21
	s_cbranch_execnz .LBB608_353
.LBB608_338:                            ;   in Loop: Header=BB608_310 Depth=2
	s_or_b32 exec_lo, exec_lo, s0
	s_delay_alu instid0(SALU_CYCLE_1)
	s_mov_b32 s0, exec_lo
	v_cmpx_lt_u32_e64 v51, v21
	s_cbranch_execz .LBB608_354
.LBB608_339:                            ;   in Loop: Header=BB608_310 Depth=2
	v_xor_b32_e32 v4, 0x80000000, v15
	v_lshlrev_b32_e32 v5, 2, v48
	s_delay_alu instid0(VALU_DEP_2) | instskip(NEXT) | instid1(VALU_DEP_1)
	v_lshrrev_b32_e32 v4, s38, v4
	v_and_b32_e32 v4, s39, v4
	s_delay_alu instid0(VALU_DEP_1) | instskip(SKIP_2) | instid1(SALU_CYCLE_1)
	v_lshl_or_b32 v4, v4, 4, v5
	ds_add_u32 v4, v92
	s_or_b32 exec_lo, exec_lo, s0
	s_mov_b32 s0, exec_lo
	v_cmpx_lt_u32_e64 v52, v21
	s_cbranch_execnz .LBB608_355
.LBB608_340:                            ;   in Loop: Header=BB608_310 Depth=2
	s_or_b32 exec_lo, exec_lo, s0
	s_delay_alu instid0(SALU_CYCLE_1)
	s_mov_b32 s0, exec_lo
	v_cmpx_lt_u32_e64 v53, v21
	s_cbranch_execz .LBB608_356
.LBB608_341:                            ;   in Loop: Header=BB608_310 Depth=2
	v_xor_b32_e32 v4, 0x80000000, v13
	v_lshlrev_b32_e32 v5, 2, v48
	s_delay_alu instid0(VALU_DEP_2) | instskip(NEXT) | instid1(VALU_DEP_1)
	v_lshrrev_b32_e32 v4, s38, v4
	v_and_b32_e32 v4, s39, v4
	s_delay_alu instid0(VALU_DEP_1) | instskip(SKIP_2) | instid1(SALU_CYCLE_1)
	v_lshl_or_b32 v4, v4, 4, v5
	ds_add_u32 v4, v92
	s_or_b32 exec_lo, exec_lo, s0
	s_mov_b32 s0, exec_lo
	v_cmpx_lt_u32_e64 v54, v21
	s_cbranch_execnz .LBB608_357
.LBB608_342:                            ;   in Loop: Header=BB608_310 Depth=2
	s_or_b32 exec_lo, exec_lo, s0
	s_delay_alu instid0(SALU_CYCLE_1)
	s_mov_b32 s0, exec_lo
	v_cmpx_lt_u32_e64 v55, v21
	s_cbranch_execz .LBB608_358
.LBB608_343:                            ;   in Loop: Header=BB608_310 Depth=2
	v_xor_b32_e32 v4, 0x80000000, v11
	v_lshlrev_b32_e32 v5, 2, v48
	s_delay_alu instid0(VALU_DEP_2) | instskip(NEXT) | instid1(VALU_DEP_1)
	v_lshrrev_b32_e32 v4, s38, v4
	v_and_b32_e32 v4, s39, v4
	s_delay_alu instid0(VALU_DEP_1) | instskip(SKIP_2) | instid1(SALU_CYCLE_1)
	v_lshl_or_b32 v4, v4, 4, v5
	ds_add_u32 v4, v92
	s_or_b32 exec_lo, exec_lo, s0
	s_mov_b32 s0, exec_lo
	v_cmpx_lt_u32_e64 v56, v21
	s_cbranch_execnz .LBB608_359
.LBB608_344:                            ;   in Loop: Header=BB608_310 Depth=2
	s_or_b32 exec_lo, exec_lo, s0
	s_delay_alu instid0(SALU_CYCLE_1)
	s_mov_b32 s0, exec_lo
	v_cmpx_lt_u32_e64 v57, v21
	s_cbranch_execz .LBB608_360
.LBB608_345:                            ;   in Loop: Header=BB608_310 Depth=2
	v_xor_b32_e32 v4, 0x80000000, v9
	v_lshlrev_b32_e32 v5, 2, v48
	s_delay_alu instid0(VALU_DEP_2) | instskip(NEXT) | instid1(VALU_DEP_1)
	v_lshrrev_b32_e32 v4, s38, v4
	v_and_b32_e32 v4, s39, v4
	s_delay_alu instid0(VALU_DEP_1) | instskip(SKIP_2) | instid1(SALU_CYCLE_1)
	v_lshl_or_b32 v4, v4, 4, v5
	ds_add_u32 v4, v92
	s_or_b32 exec_lo, exec_lo, s0
	s_mov_b32 s0, exec_lo
	v_cmpx_lt_u32_e64 v58, v21
	s_cbranch_execnz .LBB608_361
.LBB608_346:                            ;   in Loop: Header=BB608_310 Depth=2
	s_or_b32 exec_lo, exec_lo, s0
	s_delay_alu instid0(SALU_CYCLE_1)
	s_mov_b32 s0, exec_lo
	v_cmpx_lt_u32_e64 v59, v21
	s_cbranch_execz .LBB608_362
.LBB608_347:                            ;   in Loop: Header=BB608_310 Depth=2
	v_xor_b32_e32 v4, 0x80000000, v7
	v_lshlrev_b32_e32 v5, 2, v48
	s_delay_alu instid0(VALU_DEP_2) | instskip(NEXT) | instid1(VALU_DEP_1)
	v_lshrrev_b32_e32 v4, s38, v4
	v_and_b32_e32 v4, s39, v4
	s_delay_alu instid0(VALU_DEP_1) | instskip(SKIP_2) | instid1(SALU_CYCLE_1)
	v_lshl_or_b32 v4, v4, 4, v5
	ds_add_u32 v4, v92
	s_or_b32 exec_lo, exec_lo, s0
	s_mov_b32 s0, exec_lo
	v_cmpx_lt_u32_e64 v60, v21
	s_cbranch_execnz .LBB608_363
.LBB608_348:                            ;   in Loop: Header=BB608_310 Depth=2
	s_or_b32 exec_lo, exec_lo, s0
	s_delay_alu instid0(SALU_CYCLE_1)
	s_mov_b32 s0, exec_lo
	v_cmpx_lt_u32_e64 v61, v21
	s_cbranch_execz .LBB608_364
.LBB608_349:                            ;   in Loop: Header=BB608_310 Depth=2
	v_xor_b32_e32 v4, 0x80000000, v2
	v_lshlrev_b32_e32 v5, 2, v48
	s_delay_alu instid0(VALU_DEP_2) | instskip(NEXT) | instid1(VALU_DEP_1)
	v_lshrrev_b32_e32 v4, s38, v4
	v_and_b32_e32 v4, s39, v4
	s_delay_alu instid0(VALU_DEP_1) | instskip(SKIP_2) | instid1(SALU_CYCLE_1)
	v_lshl_or_b32 v4, v4, 4, v5
	ds_add_u32 v4, v92
	s_or_b32 exec_lo, exec_lo, s0
	s_mov_b32 s0, exec_lo
	v_cmpx_lt_u32_e64 v63, v21
	s_cbranch_execz .LBB608_309
	s_branch .LBB608_365
.LBB608_350:                            ;   in Loop: Header=BB608_310 Depth=2
	s_or_b32 exec_lo, exec_lo, s0
	s_delay_alu instid0(SALU_CYCLE_1)
	s_mov_b32 s0, exec_lo
	v_cmpx_lt_u32_e64 v45, v21
	s_cbranch_execz .LBB608_336
.LBB608_351:                            ;   in Loop: Header=BB608_310 Depth=2
	v_xor_b32_e32 v4, 0x80000000, v18
	v_lshlrev_b32_e32 v5, 2, v48
	s_delay_alu instid0(VALU_DEP_2) | instskip(NEXT) | instid1(VALU_DEP_1)
	v_lshrrev_b32_e32 v4, s38, v4
	v_and_b32_e32 v4, s39, v4
	s_delay_alu instid0(VALU_DEP_1) | instskip(SKIP_2) | instid1(SALU_CYCLE_1)
	v_lshl_or_b32 v4, v4, 4, v5
	ds_add_u32 v4, v92
	s_or_b32 exec_lo, exec_lo, s0
	s_mov_b32 s0, exec_lo
	v_cmpx_lt_u32_e64 v46, v21
	s_cbranch_execnz .LBB608_337
.LBB608_352:                            ;   in Loop: Header=BB608_310 Depth=2
	s_or_b32 exec_lo, exec_lo, s0
	s_delay_alu instid0(SALU_CYCLE_1)
	s_mov_b32 s0, exec_lo
	v_cmpx_lt_u32_e64 v47, v21
	s_cbranch_execz .LBB608_338
.LBB608_353:                            ;   in Loop: Header=BB608_310 Depth=2
	v_xor_b32_e32 v4, 0x80000000, v16
	v_lshlrev_b32_e32 v5, 2, v48
	s_delay_alu instid0(VALU_DEP_2) | instskip(NEXT) | instid1(VALU_DEP_1)
	v_lshrrev_b32_e32 v4, s38, v4
	v_and_b32_e32 v4, s39, v4
	s_delay_alu instid0(VALU_DEP_1) | instskip(SKIP_2) | instid1(SALU_CYCLE_1)
	v_lshl_or_b32 v4, v4, 4, v5
	ds_add_u32 v4, v92
	s_or_b32 exec_lo, exec_lo, s0
	s_mov_b32 s0, exec_lo
	v_cmpx_lt_u32_e64 v51, v21
	s_cbranch_execnz .LBB608_339
.LBB608_354:                            ;   in Loop: Header=BB608_310 Depth=2
	s_or_b32 exec_lo, exec_lo, s0
	s_delay_alu instid0(SALU_CYCLE_1)
	s_mov_b32 s0, exec_lo
	v_cmpx_lt_u32_e64 v52, v21
	s_cbranch_execz .LBB608_340
.LBB608_355:                            ;   in Loop: Header=BB608_310 Depth=2
	v_xor_b32_e32 v4, 0x80000000, v14
	v_lshlrev_b32_e32 v5, 2, v48
	s_delay_alu instid0(VALU_DEP_2) | instskip(NEXT) | instid1(VALU_DEP_1)
	v_lshrrev_b32_e32 v4, s38, v4
	v_and_b32_e32 v4, s39, v4
	s_delay_alu instid0(VALU_DEP_1) | instskip(SKIP_2) | instid1(SALU_CYCLE_1)
	v_lshl_or_b32 v4, v4, 4, v5
	ds_add_u32 v4, v92
	s_or_b32 exec_lo, exec_lo, s0
	s_mov_b32 s0, exec_lo
	v_cmpx_lt_u32_e64 v53, v21
	s_cbranch_execnz .LBB608_341
.LBB608_356:                            ;   in Loop: Header=BB608_310 Depth=2
	s_or_b32 exec_lo, exec_lo, s0
	s_delay_alu instid0(SALU_CYCLE_1)
	s_mov_b32 s0, exec_lo
	v_cmpx_lt_u32_e64 v54, v21
	s_cbranch_execz .LBB608_342
.LBB608_357:                            ;   in Loop: Header=BB608_310 Depth=2
	v_xor_b32_e32 v4, 0x80000000, v12
	v_lshlrev_b32_e32 v5, 2, v48
	s_delay_alu instid0(VALU_DEP_2) | instskip(NEXT) | instid1(VALU_DEP_1)
	v_lshrrev_b32_e32 v4, s38, v4
	v_and_b32_e32 v4, s39, v4
	s_delay_alu instid0(VALU_DEP_1) | instskip(SKIP_2) | instid1(SALU_CYCLE_1)
	v_lshl_or_b32 v4, v4, 4, v5
	ds_add_u32 v4, v92
	s_or_b32 exec_lo, exec_lo, s0
	s_mov_b32 s0, exec_lo
	v_cmpx_lt_u32_e64 v55, v21
	s_cbranch_execnz .LBB608_343
.LBB608_358:                            ;   in Loop: Header=BB608_310 Depth=2
	s_or_b32 exec_lo, exec_lo, s0
	s_delay_alu instid0(SALU_CYCLE_1)
	s_mov_b32 s0, exec_lo
	v_cmpx_lt_u32_e64 v56, v21
	s_cbranch_execz .LBB608_344
.LBB608_359:                            ;   in Loop: Header=BB608_310 Depth=2
	v_xor_b32_e32 v4, 0x80000000, v10
	v_lshlrev_b32_e32 v5, 2, v48
	s_delay_alu instid0(VALU_DEP_2) | instskip(NEXT) | instid1(VALU_DEP_1)
	v_lshrrev_b32_e32 v4, s38, v4
	v_and_b32_e32 v4, s39, v4
	s_delay_alu instid0(VALU_DEP_1) | instskip(SKIP_2) | instid1(SALU_CYCLE_1)
	v_lshl_or_b32 v4, v4, 4, v5
	ds_add_u32 v4, v92
	s_or_b32 exec_lo, exec_lo, s0
	s_mov_b32 s0, exec_lo
	v_cmpx_lt_u32_e64 v57, v21
	s_cbranch_execnz .LBB608_345
.LBB608_360:                            ;   in Loop: Header=BB608_310 Depth=2
	s_or_b32 exec_lo, exec_lo, s0
	s_delay_alu instid0(SALU_CYCLE_1)
	s_mov_b32 s0, exec_lo
	v_cmpx_lt_u32_e64 v58, v21
	s_cbranch_execz .LBB608_346
.LBB608_361:                            ;   in Loop: Header=BB608_310 Depth=2
	v_xor_b32_e32 v4, 0x80000000, v8
	v_lshlrev_b32_e32 v5, 2, v48
	s_delay_alu instid0(VALU_DEP_2) | instskip(NEXT) | instid1(VALU_DEP_1)
	v_lshrrev_b32_e32 v4, s38, v4
	v_and_b32_e32 v4, s39, v4
	s_delay_alu instid0(VALU_DEP_1) | instskip(SKIP_2) | instid1(SALU_CYCLE_1)
	v_lshl_or_b32 v4, v4, 4, v5
	ds_add_u32 v4, v92
	s_or_b32 exec_lo, exec_lo, s0
	s_mov_b32 s0, exec_lo
	v_cmpx_lt_u32_e64 v59, v21
	s_cbranch_execnz .LBB608_347
.LBB608_362:                            ;   in Loop: Header=BB608_310 Depth=2
	s_or_b32 exec_lo, exec_lo, s0
	s_delay_alu instid0(SALU_CYCLE_1)
	s_mov_b32 s0, exec_lo
	v_cmpx_lt_u32_e64 v60, v21
	s_cbranch_execz .LBB608_348
.LBB608_363:                            ;   in Loop: Header=BB608_310 Depth=2
	v_xor_b32_e32 v4, 0x80000000, v6
	v_lshlrev_b32_e32 v5, 2, v48
	s_delay_alu instid0(VALU_DEP_2) | instskip(NEXT) | instid1(VALU_DEP_1)
	v_lshrrev_b32_e32 v4, s38, v4
	v_and_b32_e32 v4, s39, v4
	s_delay_alu instid0(VALU_DEP_1) | instskip(SKIP_2) | instid1(SALU_CYCLE_1)
	v_lshl_or_b32 v4, v4, 4, v5
	ds_add_u32 v4, v92
	s_or_b32 exec_lo, exec_lo, s0
	s_mov_b32 s0, exec_lo
	v_cmpx_lt_u32_e64 v61, v21
	s_cbranch_execnz .LBB608_349
.LBB608_364:                            ;   in Loop: Header=BB608_310 Depth=2
	s_or_b32 exec_lo, exec_lo, s0
	s_delay_alu instid0(SALU_CYCLE_1)
	s_mov_b32 s0, exec_lo
	v_cmpx_lt_u32_e64 v63, v21
	s_cbranch_execz .LBB608_309
.LBB608_365:                            ;   in Loop: Header=BB608_310 Depth=2
	s_waitcnt vmcnt(0)
	v_xor_b32_e32 v4, 0x80000000, v20
	v_lshlrev_b32_e32 v5, 2, v48
	s_delay_alu instid0(VALU_DEP_2) | instskip(NEXT) | instid1(VALU_DEP_1)
	v_lshrrev_b32_e32 v4, s38, v4
	v_and_b32_e32 v4, s39, v4
	s_delay_alu instid0(VALU_DEP_1)
	v_lshl_or_b32 v4, v4, 4, v5
	ds_add_u32 v4, v92
	s_branch .LBB608_309
.LBB608_366:                            ;   in Loop: Header=BB608_310 Depth=2
	s_or_b32 exec_lo, exec_lo, s11
	s_delay_alu instid0(SALU_CYCLE_1)
	s_mov_b32 s11, exec_lo
	v_cmpx_gt_u32_e64 s8, v45
	s_cbranch_execz .LBB608_316
.LBB608_367:                            ;   in Loop: Header=BB608_310 Depth=2
	global_load_b32 v18, v93, s[0:1] offset:1024
	s_or_b32 exec_lo, exec_lo, s11
	s_delay_alu instid0(SALU_CYCLE_1)
	s_mov_b32 s11, exec_lo
	v_cmpx_gt_u32_e64 s8, v46
	s_cbranch_execnz .LBB608_317
.LBB608_368:                            ;   in Loop: Header=BB608_310 Depth=2
	s_or_b32 exec_lo, exec_lo, s11
	s_delay_alu instid0(SALU_CYCLE_1)
	s_mov_b32 s11, exec_lo
	v_cmpx_gt_u32_e64 s8, v47
	s_cbranch_execz .LBB608_318
.LBB608_369:                            ;   in Loop: Header=BB608_310 Depth=2
	global_load_b32 v16, v93, s[0:1] offset:3072
	s_or_b32 exec_lo, exec_lo, s11
	s_delay_alu instid0(SALU_CYCLE_1)
	s_mov_b32 s11, exec_lo
	v_cmpx_gt_u32_e64 s8, v51
	s_cbranch_execnz .LBB608_319
.LBB608_370:                            ;   in Loop: Header=BB608_310 Depth=2
	s_or_b32 exec_lo, exec_lo, s11
	s_delay_alu instid0(SALU_CYCLE_1)
	s_mov_b32 s11, exec_lo
	v_cmpx_gt_u32_e64 s8, v52
	s_cbranch_execz .LBB608_320
.LBB608_371:                            ;   in Loop: Header=BB608_310 Depth=2
	global_load_b32 v14, v95, s[0:1]
	s_or_b32 exec_lo, exec_lo, s11
	s_delay_alu instid0(SALU_CYCLE_1)
	s_mov_b32 s11, exec_lo
	v_cmpx_gt_u32_e64 s8, v53
	s_cbranch_execnz .LBB608_321
.LBB608_372:                            ;   in Loop: Header=BB608_310 Depth=2
	s_or_b32 exec_lo, exec_lo, s11
	s_delay_alu instid0(SALU_CYCLE_1)
	s_mov_b32 s11, exec_lo
	v_cmpx_gt_u32_e64 s8, v54
	s_cbranch_execz .LBB608_322
.LBB608_373:                            ;   in Loop: Header=BB608_310 Depth=2
	global_load_b32 v12, v97, s[0:1]
	s_or_b32 exec_lo, exec_lo, s11
	s_delay_alu instid0(SALU_CYCLE_1)
	s_mov_b32 s11, exec_lo
	v_cmpx_gt_u32_e64 s8, v55
	s_cbranch_execnz .LBB608_323
.LBB608_374:                            ;   in Loop: Header=BB608_310 Depth=2
	s_or_b32 exec_lo, exec_lo, s11
	s_delay_alu instid0(SALU_CYCLE_1)
	s_mov_b32 s11, exec_lo
	v_cmpx_gt_u32_e64 s8, v56
	s_cbranch_execz .LBB608_324
.LBB608_375:                            ;   in Loop: Header=BB608_310 Depth=2
	global_load_b32 v10, v99, s[0:1]
	s_or_b32 exec_lo, exec_lo, s11
	s_delay_alu instid0(SALU_CYCLE_1)
	s_mov_b32 s11, exec_lo
	v_cmpx_gt_u32_e64 s8, v57
	s_cbranch_execnz .LBB608_325
.LBB608_376:                            ;   in Loop: Header=BB608_310 Depth=2
	s_or_b32 exec_lo, exec_lo, s11
	s_delay_alu instid0(SALU_CYCLE_1)
	s_mov_b32 s11, exec_lo
	v_cmpx_gt_u32_e64 s8, v58
	s_cbranch_execz .LBB608_326
.LBB608_377:                            ;   in Loop: Header=BB608_310 Depth=2
	global_load_b32 v8, v101, s[0:1]
	s_or_b32 exec_lo, exec_lo, s11
	s_delay_alu instid0(SALU_CYCLE_1)
	s_mov_b32 s11, exec_lo
	v_cmpx_gt_u32_e64 s8, v59
	s_cbranch_execnz .LBB608_327
.LBB608_378:                            ;   in Loop: Header=BB608_310 Depth=2
	s_or_b32 exec_lo, exec_lo, s11
	s_delay_alu instid0(SALU_CYCLE_1)
	s_mov_b32 s11, exec_lo
	v_cmpx_gt_u32_e64 s8, v60
	s_cbranch_execz .LBB608_328
.LBB608_379:                            ;   in Loop: Header=BB608_310 Depth=2
	global_load_b32 v6, v103, s[0:1]
	s_or_b32 exec_lo, exec_lo, s11
	s_delay_alu instid0(SALU_CYCLE_1)
	s_mov_b32 s11, exec_lo
	v_cmpx_gt_u32_e64 s8, v61
	s_cbranch_execz .LBB608_330
	s_branch .LBB608_329
.LBB608_380:                            ;   in Loop: Header=BB608_12 Depth=1
	v_mov_b32_e32 v2, 0
	s_waitcnt vmcnt(0) lgkmcnt(0)
	s_barrier
	buffer_gl0_inv
	s_and_saveexec_b32 s0, s2
	s_cbranch_execz .LBB608_382
; %bb.381:                              ;   in Loop: Header=BB608_12 Depth=1
	ds_load_2addr_b64 v[4:7], v64 offset1:1
	s_waitcnt lgkmcnt(0)
	v_add_nc_u32_e32 v2, v5, v4
	s_delay_alu instid0(VALU_DEP_1)
	v_add3_u32 v2, v2, v6, v7
.LBB608_382:                            ;   in Loop: Header=BB608_12 Depth=1
	s_or_b32 exec_lo, exec_lo, s0
	v_and_b32_e32 v4, 15, v106
	s_delay_alu instid0(VALU_DEP_2) | instskip(SKIP_1) | instid1(VALU_DEP_3)
	v_mov_b32_dpp v5, v2 row_shr:1 row_mask:0xf bank_mask:0xf
	v_and_b32_e32 v6, 16, v106
	v_cmp_eq_u32_e64 s0, 0, v4
	v_cmp_lt_u32_e64 s1, 1, v4
	v_cmp_lt_u32_e64 s8, 3, v4
	;; [unrolled: 1-line block ×3, first 2 shown]
	v_cmp_eq_u32_e64 s10, 0, v6
	v_cndmask_b32_e64 v5, v5, 0, s0
	s_delay_alu instid0(VALU_DEP_1) | instskip(NEXT) | instid1(VALU_DEP_1)
	v_add_nc_u32_e32 v2, v5, v2
	v_mov_b32_dpp v5, v2 row_shr:2 row_mask:0xf bank_mask:0xf
	s_delay_alu instid0(VALU_DEP_1) | instskip(NEXT) | instid1(VALU_DEP_1)
	v_cndmask_b32_e64 v5, 0, v5, s1
	v_add_nc_u32_e32 v2, v2, v5
	s_delay_alu instid0(VALU_DEP_1) | instskip(NEXT) | instid1(VALU_DEP_1)
	v_mov_b32_dpp v5, v2 row_shr:4 row_mask:0xf bank_mask:0xf
	v_cndmask_b32_e64 v5, 0, v5, s8
	s_delay_alu instid0(VALU_DEP_1) | instskip(NEXT) | instid1(VALU_DEP_1)
	v_add_nc_u32_e32 v2, v2, v5
	v_mov_b32_dpp v5, v2 row_shr:8 row_mask:0xf bank_mask:0xf
	s_delay_alu instid0(VALU_DEP_1) | instskip(SKIP_1) | instid1(VALU_DEP_2)
	v_cndmask_b32_e64 v4, 0, v5, s9
	v_bfe_i32 v5, v106, 4, 1
	v_add_nc_u32_e32 v2, v2, v4
	ds_swizzle_b32 v4, v2 offset:swizzle(BROADCAST,32,15)
	s_waitcnt lgkmcnt(0)
	v_and_b32_e32 v4, v5, v4
	s_delay_alu instid0(VALU_DEP_1)
	v_add_nc_u32_e32 v4, v2, v4
	s_and_saveexec_b32 s11, s3
	s_cbranch_execz .LBB608_384
; %bb.383:                              ;   in Loop: Header=BB608_12 Depth=1
	ds_store_b32 v65, v4
.LBB608_384:                            ;   in Loop: Header=BB608_12 Depth=1
	s_or_b32 exec_lo, exec_lo, s11
	v_and_b32_e32 v2, 7, v106
	s_waitcnt lgkmcnt(0)
	s_barrier
	buffer_gl0_inv
	s_and_saveexec_b32 s11, s4
	s_cbranch_execz .LBB608_386
; %bb.385:                              ;   in Loop: Header=BB608_12 Depth=1
	ds_load_b32 v5, v66
	v_cmp_ne_u32_e32 vcc_lo, 0, v2
	s_waitcnt lgkmcnt(0)
	v_mov_b32_dpp v6, v5 row_shr:1 row_mask:0xf bank_mask:0xf
	s_delay_alu instid0(VALU_DEP_1) | instskip(SKIP_1) | instid1(VALU_DEP_2)
	v_cndmask_b32_e32 v6, 0, v6, vcc_lo
	v_cmp_lt_u32_e32 vcc_lo, 1, v2
	v_add_nc_u32_e32 v5, v6, v5
	s_delay_alu instid0(VALU_DEP_1) | instskip(NEXT) | instid1(VALU_DEP_1)
	v_mov_b32_dpp v6, v5 row_shr:2 row_mask:0xf bank_mask:0xf
	v_cndmask_b32_e32 v6, 0, v6, vcc_lo
	v_cmp_lt_u32_e32 vcc_lo, 3, v2
	s_delay_alu instid0(VALU_DEP_2) | instskip(NEXT) | instid1(VALU_DEP_1)
	v_add_nc_u32_e32 v5, v5, v6
	v_mov_b32_dpp v6, v5 row_shr:4 row_mask:0xf bank_mask:0xf
	s_delay_alu instid0(VALU_DEP_1) | instskip(NEXT) | instid1(VALU_DEP_1)
	v_cndmask_b32_e32 v6, 0, v6, vcc_lo
	v_add_nc_u32_e32 v5, v5, v6
	ds_store_b32 v66, v5
.LBB608_386:                            ;   in Loop: Header=BB608_12 Depth=1
	s_or_b32 exec_lo, exec_lo, s11
	v_mov_b32_e32 v5, 0
	s_waitcnt lgkmcnt(0)
	s_barrier
	buffer_gl0_inv
	s_and_saveexec_b32 s11, s5
	s_cbranch_execz .LBB608_388
; %bb.387:                              ;   in Loop: Header=BB608_12 Depth=1
	ds_load_b32 v5, v67
.LBB608_388:                            ;   in Loop: Header=BB608_12 Depth=1
	s_or_b32 exec_lo, exec_lo, s11
	v_add_nc_u32_e32 v6, -1, v106
	s_waitcnt lgkmcnt(0)
	v_add_nc_u32_e32 v4, v5, v4
	v_cmp_eq_u32_e64 s11, 0, v106
	s_barrier
	v_cmp_gt_i32_e32 vcc_lo, 0, v6
	buffer_gl0_inv
	v_cndmask_b32_e32 v6, v6, v106, vcc_lo
	s_delay_alu instid0(VALU_DEP_1)
	v_lshlrev_b32_e32 v107, 2, v6
	ds_bpermute_b32 v4, v107, v4
	s_and_saveexec_b32 s12, s2
	s_cbranch_execz .LBB608_390
; %bb.389:                              ;   in Loop: Header=BB608_12 Depth=1
	s_waitcnt lgkmcnt(0)
	v_cndmask_b32_e64 v4, v4, v5, s11
	s_delay_alu instid0(VALU_DEP_1)
	v_add_nc_u32_e32 v4, s60, v4
	ds_store_b32 v44, v4
.LBB608_390:                            ;   in Loop: Header=BB608_12 Depth=1
	s_or_b32 exec_lo, exec_lo, s12
	s_load_b64 s[12:13], s[36:37], 0x0
	v_lshlrev_b32_e32 v5, 3, v106
	v_cmp_lt_u32_e64 s14, 3, v2
	v_or_b32_e32 v108, v106, v68
	s_mov_b32 s40, s62
	s_mov_b32 s34, s60
	v_add_co_u32 v109, vcc_lo, v82, v5
	v_add_co_ci_u32_e32 v110, vcc_lo, 0, v83, vcc_lo
	v_or_b32_e32 v111, 32, v108
	v_or_b32_e32 v112, 64, v108
	;; [unrolled: 1-line block ×10, first 2 shown]
	s_waitcnt lgkmcnt(0)
	s_cmp_lt_u32 s15, s13
	v_or_b32_e32 v121, 0x160, v108
	s_cselect_b32 s13, 14, 20
	v_or_b32_e32 v122, 0x180, v108
	s_add_u32 s16, s36, s13
	s_addc_u32 s17, s37, 0
	s_cmp_lt_u32 s26, s12
	global_load_u16 v4, v3, s[16:17]
	s_cselect_b32 s12, 12, 18
	v_or_b32_e32 v123, 0x1a0, v108
	s_add_u32 s12, s36, s12
	s_addc_u32 s13, s37, 0
	v_or_b32_e32 v124, 0x1c0, v108
	global_load_u16 v6, v3, s[12:13]
	v_cmp_eq_u32_e64 s12, 0, v2
	v_cmp_lt_u32_e64 s13, 1, v2
	v_lshlrev_b32_e32 v2, 2, v106
	v_or_b32_e32 v125, 0x1e0, v108
                                        ; implicit-def: $vgpr8_vgpr9
                                        ; implicit-def: $vgpr10_vgpr11
                                        ; implicit-def: $vgpr12_vgpr13
                                        ; implicit-def: $vgpr14_vgpr15
                                        ; implicit-def: $vgpr16_vgpr17
                                        ; implicit-def: $vgpr18_vgpr19
                                        ; implicit-def: $vgpr20_vgpr21
                                        ; implicit-def: $vgpr22_vgpr23
                                        ; implicit-def: $vgpr24_vgpr25
                                        ; implicit-def: $vgpr26_vgpr27
                                        ; implicit-def: $vgpr28_vgpr29
                                        ; implicit-def: $vgpr30_vgpr31
                                        ; implicit-def: $vgpr32_vgpr33
                                        ; implicit-def: $vgpr34_vgpr35
                                        ; implicit-def: $vgpr131
                                        ; implicit-def: $vgpr132
                                        ; implicit-def: $vgpr133
                                        ; implicit-def: $vgpr134
                                        ; implicit-def: $vgpr135
                                        ; implicit-def: $vgpr136
                                        ; implicit-def: $vgpr137
                                        ; implicit-def: $vgpr138
                                        ; implicit-def: $vgpr139
                                        ; implicit-def: $vgpr140
                                        ; implicit-def: $vgpr141
                                        ; implicit-def: $vgpr142
                                        ; implicit-def: $vgpr143
                                        ; implicit-def: $vgpr144
                                        ; implicit-def: $vgpr145
                                        ; implicit-def: $vgpr146
	s_delay_alu instid0(VALU_DEP_2) | instskip(SKIP_1) | instid1(VALU_DEP_2)
	v_add_co_u32 v126, vcc_lo, v84, v2
	v_add_co_ci_u32_e32 v127, vcc_lo, 0, v85, vcc_lo
	v_add_co_u32 v129, vcc_lo, 0x780, v126
	s_delay_alu instid0(VALU_DEP_2) | instskip(SKIP_3) | instid1(VALU_DEP_1)
	v_add_co_ci_u32_e32 v130, vcc_lo, 0, v127, vcc_lo
	s_waitcnt vmcnt(1)
	v_mad_u32_u24 v7, v69, v4, v0
	s_waitcnt vmcnt(0)
	v_mad_u64_u32 v[4:5], null, v7, v6, v[1:2]
                                        ; implicit-def: $vgpr6_vgpr7
	s_delay_alu instid0(VALU_DEP_1)
	v_lshrrev_b32_e32 v128, 5, v4
                                        ; implicit-def: $vgpr4_vgpr5
	s_branch .LBB608_392
.LBB608_391:                            ;   in Loop: Header=BB608_392 Depth=2
	s_or_b32 exec_lo, exec_lo, s16
	s_addk_i32 s40, 0xf000
	s_cmp_lt_u32 s41, s61
	s_mov_b32 s34, s41
	s_cbranch_scc0 .LBB608_600
.LBB608_392:                            ;   Parent Loop BB608_12 Depth=1
                                        ; =>  This Inner Loop Header: Depth=2
	s_add_i32 s41, s34, 0x1000
	s_delay_alu instid0(SALU_CYCLE_1)
	s_cmp_gt_u32 s41, s61
	s_cbranch_scc1 .LBB608_395
; %bb.393:                              ;   in Loop: Header=BB608_392 Depth=2
	s_mov_b32 s17, 0
	s_mov_b32 s16, s34
	s_delay_alu instid0(SALU_CYCLE_1) | instskip(NEXT) | instid1(SALU_CYCLE_1)
	s_lshl_b64 s[18:19], s[16:17], 2
	v_add_co_u32 v36, vcc_lo, v126, s18
	v_add_co_ci_u32_e32 v37, vcc_lo, s19, v127, vcc_lo
	s_mov_b32 s19, -1
	s_movk_i32 s18, 0x1000
	s_clause 0xe
	global_load_b32 v2, v[36:37], off
	global_load_b32 v148, v[36:37], off offset:128
	global_load_b32 v151, v[36:37], off offset:256
	;; [unrolled: 1-line block ×14, first 2 shown]
	s_cbranch_execz .LBB608_396
; %bb.394:                              ;   in Loop: Header=BB608_392 Depth=2
                                        ; implicit-def: $sgpr20
	v_dual_mov_b32 v36, s20 :: v_dual_mov_b32 v147, s40
	s_and_saveexec_b32 s20, s19
	s_cbranch_execnz .LBB608_427
	s_branch .LBB608_428
.LBB608_395:                            ;   in Loop: Header=BB608_392 Depth=2
	s_mov_b32 s17, -1
	s_mov_b32 s19, 0
                                        ; implicit-def: $sgpr18
                                        ; implicit-def: $vgpr2
                                        ; implicit-def: $vgpr148
                                        ; implicit-def: $vgpr151
                                        ; implicit-def: $vgpr155
                                        ; implicit-def: $vgpr159
                                        ; implicit-def: $vgpr163
                                        ; implicit-def: $vgpr167
                                        ; implicit-def: $vgpr172
                                        ; implicit-def: $vgpr171
                                        ; implicit-def: $vgpr43
                                        ; implicit-def: $vgpr42
                                        ; implicit-def: $vgpr41
                                        ; implicit-def: $vgpr40
                                        ; implicit-def: $vgpr39
                                        ; implicit-def: $vgpr38
.LBB608_396:                            ;   in Loop: Header=BB608_392 Depth=2
	s_lshl_b64 s[16:17], s[34:35], 2
	s_waitcnt vmcnt(13)
	v_bfrev_b32_e32 v148, -2
	v_add_co_u32 v36, vcc_lo, v126, s16
	v_add_co_ci_u32_e32 v37, vcc_lo, s17, v127, vcc_lo
	v_bfrev_b32_e32 v2, -2
	s_mov_b32 s16, exec_lo
	v_cmpx_gt_u32_e64 s40, v108
	s_cbranch_execz .LBB608_398
; %bb.397:                              ;   in Loop: Header=BB608_392 Depth=2
	global_load_b32 v2, v[36:37], off
.LBB608_398:                            ;   in Loop: Header=BB608_392 Depth=2
	s_or_b32 exec_lo, exec_lo, s16
	s_delay_alu instid0(SALU_CYCLE_1)
	s_mov_b32 s16, exec_lo
	v_cmpx_gt_u32_e64 s40, v111
	s_cbranch_execz .LBB608_400
; %bb.399:                              ;   in Loop: Header=BB608_392 Depth=2
	global_load_b32 v148, v[36:37], off offset:128
.LBB608_400:                            ;   in Loop: Header=BB608_392 Depth=2
	s_or_b32 exec_lo, exec_lo, s16
	s_waitcnt vmcnt(11)
	v_bfrev_b32_e32 v155, -2
	v_bfrev_b32_e32 v151, -2
	s_mov_b32 s16, exec_lo
	v_cmpx_gt_u32_e64 s40, v112
	s_cbranch_execz .LBB608_402
; %bb.401:                              ;   in Loop: Header=BB608_392 Depth=2
	global_load_b32 v151, v[36:37], off offset:256
.LBB608_402:                            ;   in Loop: Header=BB608_392 Depth=2
	s_or_b32 exec_lo, exec_lo, s16
	s_delay_alu instid0(SALU_CYCLE_1)
	s_mov_b32 s16, exec_lo
	v_cmpx_gt_u32_e64 s40, v113
	s_cbranch_execz .LBB608_404
; %bb.403:                              ;   in Loop: Header=BB608_392 Depth=2
	global_load_b32 v155, v[36:37], off offset:384
.LBB608_404:                            ;   in Loop: Header=BB608_392 Depth=2
	s_or_b32 exec_lo, exec_lo, s16
	s_waitcnt vmcnt(9)
	v_bfrev_b32_e32 v163, -2
	v_bfrev_b32_e32 v159, -2
	s_mov_b32 s16, exec_lo
	v_cmpx_gt_u32_e64 s40, v114
	s_cbranch_execz .LBB608_406
; %bb.405:                              ;   in Loop: Header=BB608_392 Depth=2
	global_load_b32 v159, v[36:37], off offset:512
.LBB608_406:                            ;   in Loop: Header=BB608_392 Depth=2
	;; [unrolled: 18-line block ×6, first 2 shown]
	s_or_b32 exec_lo, exec_lo, s16
	s_delay_alu instid0(SALU_CYCLE_1)
	s_mov_b32 s16, exec_lo
	v_cmpx_gt_u32_e64 s40, v123
	s_cbranch_execz .LBB608_424
; %bb.423:                              ;   in Loop: Header=BB608_392 Depth=2
	global_load_b32 v39, v[36:37], off offset:1664
.LBB608_424:                            ;   in Loop: Header=BB608_392 Depth=2
	s_or_b32 exec_lo, exec_lo, s16
	s_waitcnt vmcnt(0)
	v_bfrev_b32_e32 v38, -2
	s_mov_b32 s16, exec_lo
	v_cmpx_gt_u32_e64 s40, v124
	s_cbranch_execz .LBB608_426
; %bb.425:                              ;   in Loop: Header=BB608_392 Depth=2
	global_load_b32 v38, v[36:37], off offset:1792
.LBB608_426:                            ;   in Loop: Header=BB608_392 Depth=2
	s_or_b32 exec_lo, exec_lo, s16
	v_cmp_gt_u32_e64 s19, s40, v125
	s_sub_i32 s18, s61, s34
	s_brev_b32 s20, -2
	s_mov_b64 s[16:17], s[34:35]
	v_dual_mov_b32 v36, s20 :: v_dual_mov_b32 v147, s40
	s_and_saveexec_b32 s20, s19
	s_cbranch_execz .LBB608_428
.LBB608_427:                            ;   in Loop: Header=BB608_392 Depth=2
	s_lshl_b64 s[16:17], s[16:17], 2
	v_mov_b32_e32 v147, s18
	v_add_co_u32 v36, vcc_lo, v129, s16
	v_add_co_ci_u32_e32 v37, vcc_lo, s17, v130, vcc_lo
	global_load_b32 v36, v[36:37], off
.LBB608_428:                            ;   in Loop: Header=BB608_392 Depth=2
	s_or_b32 exec_lo, exec_lo, s20
	s_waitcnt vmcnt(14)
	v_xor_b32_e32 v2, 0x80000000, v2
	ds_store_b32 v70, v3 offset:1056
	ds_store_2addr_b32 v71, v3, v3 offset0:1 offset1:2
	ds_store_2addr_b32 v71, v3, v3 offset0:3 offset1:4
	;; [unrolled: 1-line block ×4, first 2 shown]
	s_waitcnt vmcnt(0) lgkmcnt(0)
	s_barrier
	v_lshrrev_b32_e32 v37, s38, v2
	buffer_gl0_inv
	; wave barrier
	v_and_b32_e32 v150, s39, v37
	s_delay_alu instid0(VALU_DEP_1)
	v_and_b32_e32 v37, 1, v150
	v_lshlrev_b32_e32 v149, 30, v150
	v_lshlrev_b32_e32 v152, 29, v150
	;; [unrolled: 1-line block ×4, first 2 shown]
	v_add_co_u32 v37, s16, v37, -1
	s_delay_alu instid0(VALU_DEP_1)
	v_cndmask_b32_e64 v154, 0, 1, s16
	v_not_b32_e32 v160, v149
	v_cmp_gt_i32_e64 s16, 0, v149
	v_not_b32_e32 v149, v152
	v_lshlrev_b32_e32 v157, 26, v150
	v_cmp_ne_u32_e32 vcc_lo, 0, v154
	v_ashrrev_i32_e32 v160, 31, v160
	v_lshlrev_b32_e32 v158, 25, v150
	v_ashrrev_i32_e32 v149, 31, v149
	v_lshlrev_b32_e32 v154, 24, v150
	v_xor_b32_e32 v37, vcc_lo, v37
	v_cmp_gt_i32_e32 vcc_lo, 0, v152
	v_not_b32_e32 v152, v153
	v_xor_b32_e32 v160, s16, v160
	v_cmp_gt_i32_e64 s16, 0, v153
	v_and_b32_e32 v37, exec_lo, v37
	v_not_b32_e32 v153, v156
	v_ashrrev_i32_e32 v152, 31, v152
	v_xor_b32_e32 v149, vcc_lo, v149
	v_cmp_gt_i32_e32 vcc_lo, 0, v156
	v_and_b32_e32 v37, v37, v160
	v_not_b32_e32 v156, v157
	v_ashrrev_i32_e32 v153, 31, v153
	v_xor_b32_e32 v152, s16, v152
	v_cmp_gt_i32_e64 s16, 0, v157
	v_and_b32_e32 v37, v37, v149
	v_not_b32_e32 v149, v158
	v_ashrrev_i32_e32 v156, 31, v156
	v_xor_b32_e32 v153, vcc_lo, v153
	v_cmp_gt_i32_e32 vcc_lo, 0, v158
	v_and_b32_e32 v37, v37, v152
	v_not_b32_e32 v152, v154
	v_ashrrev_i32_e32 v149, 31, v149
	v_xor_b32_e32 v156, s16, v156
	v_cmp_gt_i32_e64 s16, 0, v154
	v_and_b32_e32 v37, v37, v153
	v_ashrrev_i32_e32 v152, 31, v152
	v_xor_b32_e32 v149, vcc_lo, v149
	v_mad_u32_u24 v150, v150, 9, v128
	s_delay_alu instid0(VALU_DEP_4) | instskip(NEXT) | instid1(VALU_DEP_4)
	v_and_b32_e32 v37, v37, v156
	v_xor_b32_e32 v152, s16, v152
	s_delay_alu instid0(VALU_DEP_3) | instskip(NEXT) | instid1(VALU_DEP_3)
	v_lshl_add_u32 v150, v150, 2, 0x420
	v_and_b32_e32 v37, v37, v149
	s_delay_alu instid0(VALU_DEP_1) | instskip(NEXT) | instid1(VALU_DEP_1)
	v_and_b32_e32 v37, v37, v152
	v_mbcnt_lo_u32_b32 v149, v37, 0
	v_cmp_ne_u32_e64 s16, 0, v37
	s_delay_alu instid0(VALU_DEP_2) | instskip(NEXT) | instid1(VALU_DEP_2)
	v_cmp_eq_u32_e32 vcc_lo, 0, v149
	s_and_b32 s17, s16, vcc_lo
	s_delay_alu instid0(SALU_CYCLE_1)
	s_and_saveexec_b32 s16, s17
	s_cbranch_execz .LBB608_430
; %bb.429:                              ;   in Loop: Header=BB608_392 Depth=2
	v_bcnt_u32_b32 v37, v37, 0
	ds_store_b32 v150, v37
.LBB608_430:                            ;   in Loop: Header=BB608_392 Depth=2
	s_or_b32 exec_lo, exec_lo, s16
	v_xor_b32_e32 v148, 0x80000000, v148
	; wave barrier
	s_delay_alu instid0(VALU_DEP_1) | instskip(NEXT) | instid1(VALU_DEP_1)
	v_lshrrev_b32_e32 v37, s38, v148
	v_and_b32_e32 v37, s39, v37
	s_delay_alu instid0(VALU_DEP_1)
	v_and_b32_e32 v152, 1, v37
	v_lshlrev_b32_e32 v153, 30, v37
	v_lshlrev_b32_e32 v154, 29, v37
	;; [unrolled: 1-line block ×4, first 2 shown]
	v_add_co_u32 v152, s16, v152, -1
	s_delay_alu instid0(VALU_DEP_1)
	v_cndmask_b32_e64 v157, 0, 1, s16
	v_not_b32_e32 v162, v153
	v_cmp_gt_i32_e64 s16, 0, v153
	v_not_b32_e32 v153, v154
	v_lshlrev_b32_e32 v160, 26, v37
	v_cmp_ne_u32_e32 vcc_lo, 0, v157
	v_ashrrev_i32_e32 v162, 31, v162
	v_lshlrev_b32_e32 v161, 25, v37
	v_ashrrev_i32_e32 v153, 31, v153
	v_lshlrev_b32_e32 v157, 24, v37
	v_xor_b32_e32 v152, vcc_lo, v152
	v_cmp_gt_i32_e32 vcc_lo, 0, v154
	v_not_b32_e32 v154, v156
	v_xor_b32_e32 v162, s16, v162
	v_cmp_gt_i32_e64 s16, 0, v156
	v_and_b32_e32 v152, exec_lo, v152
	v_not_b32_e32 v156, v158
	v_ashrrev_i32_e32 v154, 31, v154
	v_xor_b32_e32 v153, vcc_lo, v153
	v_cmp_gt_i32_e32 vcc_lo, 0, v158
	v_and_b32_e32 v152, v152, v162
	v_not_b32_e32 v158, v160
	v_ashrrev_i32_e32 v156, 31, v156
	v_xor_b32_e32 v154, s16, v154
	v_cmp_gt_i32_e64 s16, 0, v160
	v_and_b32_e32 v152, v152, v153
	v_not_b32_e32 v153, v161
	v_ashrrev_i32_e32 v158, 31, v158
	v_xor_b32_e32 v156, vcc_lo, v156
	v_cmp_gt_i32_e32 vcc_lo, 0, v161
	v_and_b32_e32 v152, v152, v154
	v_not_b32_e32 v154, v157
	v_ashrrev_i32_e32 v153, 31, v153
	v_xor_b32_e32 v158, s16, v158
	v_mul_u32_u24_e32 v37, 9, v37
	v_and_b32_e32 v152, v152, v156
	v_cmp_gt_i32_e64 s16, 0, v157
	v_ashrrev_i32_e32 v154, 31, v154
	v_xor_b32_e32 v153, vcc_lo, v153
	v_add_lshl_u32 v156, v37, v128, 2
	v_and_b32_e32 v152, v152, v158
	s_delay_alu instid0(VALU_DEP_4) | instskip(NEXT) | instid1(VALU_DEP_3)
	v_xor_b32_e32 v37, s16, v154
	v_add_nc_u32_e32 v154, 0x420, v156
	s_delay_alu instid0(VALU_DEP_3) | instskip(SKIP_2) | instid1(VALU_DEP_1)
	v_and_b32_e32 v153, v152, v153
	ds_load_b32 v152, v156 offset:1056
	; wave barrier
	v_and_b32_e32 v37, v153, v37
	v_mbcnt_lo_u32_b32 v153, v37, 0
	v_cmp_ne_u32_e64 s16, 0, v37
	s_delay_alu instid0(VALU_DEP_2) | instskip(NEXT) | instid1(VALU_DEP_2)
	v_cmp_eq_u32_e32 vcc_lo, 0, v153
	s_and_b32 s17, s16, vcc_lo
	s_delay_alu instid0(SALU_CYCLE_1)
	s_and_saveexec_b32 s16, s17
	s_cbranch_execz .LBB608_432
; %bb.431:                              ;   in Loop: Header=BB608_392 Depth=2
	s_waitcnt lgkmcnt(0)
	v_bcnt_u32_b32 v37, v37, v152
	ds_store_b32 v154, v37
.LBB608_432:                            ;   in Loop: Header=BB608_392 Depth=2
	s_or_b32 exec_lo, exec_lo, s16
	v_xor_b32_e32 v151, 0x80000000, v151
	; wave barrier
	s_delay_alu instid0(VALU_DEP_1) | instskip(NEXT) | instid1(VALU_DEP_1)
	v_lshrrev_b32_e32 v37, s38, v151
	v_and_b32_e32 v37, s39, v37
	s_delay_alu instid0(VALU_DEP_1)
	v_and_b32_e32 v156, 1, v37
	v_lshlrev_b32_e32 v157, 30, v37
	v_lshlrev_b32_e32 v158, 29, v37
	;; [unrolled: 1-line block ×4, first 2 shown]
	v_add_co_u32 v156, s16, v156, -1
	s_delay_alu instid0(VALU_DEP_1)
	v_cndmask_b32_e64 v161, 0, 1, s16
	v_not_b32_e32 v166, v157
	v_cmp_gt_i32_e64 s16, 0, v157
	v_not_b32_e32 v157, v158
	v_lshlrev_b32_e32 v164, 26, v37
	v_cmp_ne_u32_e32 vcc_lo, 0, v161
	v_ashrrev_i32_e32 v166, 31, v166
	v_lshlrev_b32_e32 v165, 25, v37
	v_ashrrev_i32_e32 v157, 31, v157
	v_lshlrev_b32_e32 v161, 24, v37
	v_xor_b32_e32 v156, vcc_lo, v156
	v_cmp_gt_i32_e32 vcc_lo, 0, v158
	v_not_b32_e32 v158, v160
	v_xor_b32_e32 v166, s16, v166
	v_cmp_gt_i32_e64 s16, 0, v160
	v_and_b32_e32 v156, exec_lo, v156
	v_not_b32_e32 v160, v162
	v_ashrrev_i32_e32 v158, 31, v158
	v_xor_b32_e32 v157, vcc_lo, v157
	v_cmp_gt_i32_e32 vcc_lo, 0, v162
	v_and_b32_e32 v156, v156, v166
	v_not_b32_e32 v162, v164
	v_ashrrev_i32_e32 v160, 31, v160
	v_xor_b32_e32 v158, s16, v158
	v_cmp_gt_i32_e64 s16, 0, v164
	v_and_b32_e32 v156, v156, v157
	v_not_b32_e32 v157, v165
	v_ashrrev_i32_e32 v162, 31, v162
	v_xor_b32_e32 v160, vcc_lo, v160
	v_cmp_gt_i32_e32 vcc_lo, 0, v165
	v_and_b32_e32 v156, v156, v158
	v_not_b32_e32 v158, v161
	v_ashrrev_i32_e32 v157, 31, v157
	v_xor_b32_e32 v162, s16, v162
	v_mul_u32_u24_e32 v37, 9, v37
	v_and_b32_e32 v156, v156, v160
	v_cmp_gt_i32_e64 s16, 0, v161
	v_ashrrev_i32_e32 v158, 31, v158
	v_xor_b32_e32 v157, vcc_lo, v157
	v_add_lshl_u32 v160, v37, v128, 2
	v_and_b32_e32 v156, v156, v162
	s_delay_alu instid0(VALU_DEP_4) | instskip(NEXT) | instid1(VALU_DEP_3)
	v_xor_b32_e32 v37, s16, v158
	v_add_nc_u32_e32 v158, 0x420, v160
	s_delay_alu instid0(VALU_DEP_3) | instskip(SKIP_2) | instid1(VALU_DEP_1)
	v_and_b32_e32 v157, v156, v157
	ds_load_b32 v156, v160 offset:1056
	; wave barrier
	v_and_b32_e32 v37, v157, v37
	v_mbcnt_lo_u32_b32 v157, v37, 0
	v_cmp_ne_u32_e64 s16, 0, v37
	s_delay_alu instid0(VALU_DEP_2) | instskip(NEXT) | instid1(VALU_DEP_2)
	v_cmp_eq_u32_e32 vcc_lo, 0, v157
	s_and_b32 s17, s16, vcc_lo
	s_delay_alu instid0(SALU_CYCLE_1)
	s_and_saveexec_b32 s16, s17
	s_cbranch_execz .LBB608_434
; %bb.433:                              ;   in Loop: Header=BB608_392 Depth=2
	s_waitcnt lgkmcnt(0)
	v_bcnt_u32_b32 v37, v37, v156
	ds_store_b32 v158, v37
.LBB608_434:                            ;   in Loop: Header=BB608_392 Depth=2
	s_or_b32 exec_lo, exec_lo, s16
	v_xor_b32_e32 v155, 0x80000000, v155
	; wave barrier
	s_delay_alu instid0(VALU_DEP_1) | instskip(NEXT) | instid1(VALU_DEP_1)
	v_lshrrev_b32_e32 v37, s38, v155
	v_and_b32_e32 v37, s39, v37
	s_delay_alu instid0(VALU_DEP_1)
	v_and_b32_e32 v160, 1, v37
	v_lshlrev_b32_e32 v161, 30, v37
	v_lshlrev_b32_e32 v162, 29, v37
	;; [unrolled: 1-line block ×4, first 2 shown]
	v_add_co_u32 v160, s16, v160, -1
	s_delay_alu instid0(VALU_DEP_1)
	v_cndmask_b32_e64 v165, 0, 1, s16
	v_not_b32_e32 v170, v161
	v_cmp_gt_i32_e64 s16, 0, v161
	v_not_b32_e32 v161, v162
	v_lshlrev_b32_e32 v168, 26, v37
	v_cmp_ne_u32_e32 vcc_lo, 0, v165
	v_ashrrev_i32_e32 v170, 31, v170
	v_lshlrev_b32_e32 v169, 25, v37
	v_ashrrev_i32_e32 v161, 31, v161
	v_lshlrev_b32_e32 v165, 24, v37
	v_xor_b32_e32 v160, vcc_lo, v160
	v_cmp_gt_i32_e32 vcc_lo, 0, v162
	v_not_b32_e32 v162, v164
	v_xor_b32_e32 v170, s16, v170
	v_cmp_gt_i32_e64 s16, 0, v164
	v_and_b32_e32 v160, exec_lo, v160
	v_not_b32_e32 v164, v166
	v_ashrrev_i32_e32 v162, 31, v162
	v_xor_b32_e32 v161, vcc_lo, v161
	v_cmp_gt_i32_e32 vcc_lo, 0, v166
	v_and_b32_e32 v160, v160, v170
	v_not_b32_e32 v166, v168
	v_ashrrev_i32_e32 v164, 31, v164
	v_xor_b32_e32 v162, s16, v162
	v_cmp_gt_i32_e64 s16, 0, v168
	v_and_b32_e32 v160, v160, v161
	v_not_b32_e32 v161, v169
	v_ashrrev_i32_e32 v166, 31, v166
	v_xor_b32_e32 v164, vcc_lo, v164
	v_cmp_gt_i32_e32 vcc_lo, 0, v169
	v_and_b32_e32 v160, v160, v162
	v_not_b32_e32 v162, v165
	v_ashrrev_i32_e32 v161, 31, v161
	v_xor_b32_e32 v166, s16, v166
	v_mul_u32_u24_e32 v37, 9, v37
	v_and_b32_e32 v160, v160, v164
	v_cmp_gt_i32_e64 s16, 0, v165
	v_ashrrev_i32_e32 v162, 31, v162
	v_xor_b32_e32 v161, vcc_lo, v161
	v_add_lshl_u32 v164, v37, v128, 2
	v_and_b32_e32 v160, v160, v166
	s_delay_alu instid0(VALU_DEP_4) | instskip(NEXT) | instid1(VALU_DEP_3)
	v_xor_b32_e32 v37, s16, v162
	v_add_nc_u32_e32 v162, 0x420, v164
	s_delay_alu instid0(VALU_DEP_3) | instskip(SKIP_2) | instid1(VALU_DEP_1)
	v_and_b32_e32 v161, v160, v161
	ds_load_b32 v160, v164 offset:1056
	; wave barrier
	v_and_b32_e32 v37, v161, v37
	v_mbcnt_lo_u32_b32 v161, v37, 0
	v_cmp_ne_u32_e64 s16, 0, v37
	s_delay_alu instid0(VALU_DEP_2) | instskip(NEXT) | instid1(VALU_DEP_2)
	v_cmp_eq_u32_e32 vcc_lo, 0, v161
	s_and_b32 s17, s16, vcc_lo
	s_delay_alu instid0(SALU_CYCLE_1)
	s_and_saveexec_b32 s16, s17
	s_cbranch_execz .LBB608_436
; %bb.435:                              ;   in Loop: Header=BB608_392 Depth=2
	s_waitcnt lgkmcnt(0)
	v_bcnt_u32_b32 v37, v37, v160
	ds_store_b32 v162, v37
.LBB608_436:                            ;   in Loop: Header=BB608_392 Depth=2
	s_or_b32 exec_lo, exec_lo, s16
	v_xor_b32_e32 v159, 0x80000000, v159
	; wave barrier
	s_delay_alu instid0(VALU_DEP_1) | instskip(NEXT) | instid1(VALU_DEP_1)
	v_lshrrev_b32_e32 v37, s38, v159
	v_and_b32_e32 v37, s39, v37
	s_delay_alu instid0(VALU_DEP_1)
	v_and_b32_e32 v164, 1, v37
	v_lshlrev_b32_e32 v165, 30, v37
	v_lshlrev_b32_e32 v166, 29, v37
	;; [unrolled: 1-line block ×4, first 2 shown]
	v_add_co_u32 v164, s16, v164, -1
	s_delay_alu instid0(VALU_DEP_1)
	v_cndmask_b32_e64 v169, 0, 1, s16
	v_not_b32_e32 v175, v165
	v_cmp_gt_i32_e64 s16, 0, v165
	v_not_b32_e32 v165, v166
	v_lshlrev_b32_e32 v173, 26, v37
	v_cmp_ne_u32_e32 vcc_lo, 0, v169
	v_ashrrev_i32_e32 v175, 31, v175
	v_lshlrev_b32_e32 v174, 25, v37
	v_ashrrev_i32_e32 v165, 31, v165
	v_lshlrev_b32_e32 v169, 24, v37
	v_xor_b32_e32 v164, vcc_lo, v164
	v_cmp_gt_i32_e32 vcc_lo, 0, v166
	v_not_b32_e32 v166, v168
	v_xor_b32_e32 v175, s16, v175
	v_cmp_gt_i32_e64 s16, 0, v168
	v_and_b32_e32 v164, exec_lo, v164
	v_not_b32_e32 v168, v170
	v_ashrrev_i32_e32 v166, 31, v166
	v_xor_b32_e32 v165, vcc_lo, v165
	v_cmp_gt_i32_e32 vcc_lo, 0, v170
	v_and_b32_e32 v164, v164, v175
	v_not_b32_e32 v170, v173
	v_ashrrev_i32_e32 v168, 31, v168
	v_xor_b32_e32 v166, s16, v166
	v_cmp_gt_i32_e64 s16, 0, v173
	v_and_b32_e32 v164, v164, v165
	v_not_b32_e32 v165, v174
	v_ashrrev_i32_e32 v170, 31, v170
	v_xor_b32_e32 v168, vcc_lo, v168
	v_cmp_gt_i32_e32 vcc_lo, 0, v174
	v_and_b32_e32 v164, v164, v166
	v_not_b32_e32 v166, v169
	v_ashrrev_i32_e32 v165, 31, v165
	v_xor_b32_e32 v170, s16, v170
	v_mul_u32_u24_e32 v37, 9, v37
	v_and_b32_e32 v164, v164, v168
	v_cmp_gt_i32_e64 s16, 0, v169
	v_ashrrev_i32_e32 v166, 31, v166
	v_xor_b32_e32 v165, vcc_lo, v165
	v_add_lshl_u32 v168, v37, v128, 2
	v_and_b32_e32 v164, v164, v170
	s_delay_alu instid0(VALU_DEP_4) | instskip(NEXT) | instid1(VALU_DEP_3)
	v_xor_b32_e32 v37, s16, v166
	v_add_nc_u32_e32 v166, 0x420, v168
	s_delay_alu instid0(VALU_DEP_3) | instskip(SKIP_2) | instid1(VALU_DEP_1)
	v_and_b32_e32 v165, v164, v165
	ds_load_b32 v164, v168 offset:1056
	; wave barrier
	v_and_b32_e32 v37, v165, v37
	v_mbcnt_lo_u32_b32 v165, v37, 0
	v_cmp_ne_u32_e64 s16, 0, v37
	s_delay_alu instid0(VALU_DEP_2) | instskip(NEXT) | instid1(VALU_DEP_2)
	v_cmp_eq_u32_e32 vcc_lo, 0, v165
	s_and_b32 s17, s16, vcc_lo
	s_delay_alu instid0(SALU_CYCLE_1)
	s_and_saveexec_b32 s16, s17
	s_cbranch_execz .LBB608_438
; %bb.437:                              ;   in Loop: Header=BB608_392 Depth=2
	s_waitcnt lgkmcnt(0)
	v_bcnt_u32_b32 v37, v37, v164
	ds_store_b32 v166, v37
.LBB608_438:                            ;   in Loop: Header=BB608_392 Depth=2
	s_or_b32 exec_lo, exec_lo, s16
	v_xor_b32_e32 v163, 0x80000000, v163
	; wave barrier
	s_delay_alu instid0(VALU_DEP_1) | instskip(NEXT) | instid1(VALU_DEP_1)
	v_lshrrev_b32_e32 v37, s38, v163
	v_and_b32_e32 v37, s39, v37
	s_delay_alu instid0(VALU_DEP_1)
	v_and_b32_e32 v168, 1, v37
	v_lshlrev_b32_e32 v169, 30, v37
	v_lshlrev_b32_e32 v170, 29, v37
	;; [unrolled: 1-line block ×4, first 2 shown]
	v_add_co_u32 v168, s16, v168, -1
	s_delay_alu instid0(VALU_DEP_1)
	v_cndmask_b32_e64 v174, 0, 1, s16
	v_not_b32_e32 v178, v169
	v_cmp_gt_i32_e64 s16, 0, v169
	v_not_b32_e32 v169, v170
	v_lshlrev_b32_e32 v176, 26, v37
	v_cmp_ne_u32_e32 vcc_lo, 0, v174
	v_ashrrev_i32_e32 v178, 31, v178
	v_lshlrev_b32_e32 v177, 25, v37
	v_ashrrev_i32_e32 v169, 31, v169
	v_lshlrev_b32_e32 v174, 24, v37
	v_xor_b32_e32 v168, vcc_lo, v168
	v_cmp_gt_i32_e32 vcc_lo, 0, v170
	v_not_b32_e32 v170, v173
	v_xor_b32_e32 v178, s16, v178
	v_cmp_gt_i32_e64 s16, 0, v173
	v_and_b32_e32 v168, exec_lo, v168
	v_not_b32_e32 v173, v175
	v_ashrrev_i32_e32 v170, 31, v170
	v_xor_b32_e32 v169, vcc_lo, v169
	v_cmp_gt_i32_e32 vcc_lo, 0, v175
	v_and_b32_e32 v168, v168, v178
	v_not_b32_e32 v175, v176
	v_ashrrev_i32_e32 v173, 31, v173
	v_xor_b32_e32 v170, s16, v170
	v_cmp_gt_i32_e64 s16, 0, v176
	v_and_b32_e32 v168, v168, v169
	v_not_b32_e32 v169, v177
	v_ashrrev_i32_e32 v175, 31, v175
	v_xor_b32_e32 v173, vcc_lo, v173
	v_cmp_gt_i32_e32 vcc_lo, 0, v177
	v_and_b32_e32 v168, v168, v170
	v_not_b32_e32 v170, v174
	v_ashrrev_i32_e32 v169, 31, v169
	v_xor_b32_e32 v175, s16, v175
	v_mul_u32_u24_e32 v37, 9, v37
	v_and_b32_e32 v168, v168, v173
	v_cmp_gt_i32_e64 s16, 0, v174
	v_ashrrev_i32_e32 v170, 31, v170
	v_xor_b32_e32 v169, vcc_lo, v169
	v_add_lshl_u32 v173, v37, v128, 2
	v_and_b32_e32 v168, v168, v175
	s_delay_alu instid0(VALU_DEP_4) | instskip(NEXT) | instid1(VALU_DEP_3)
	v_xor_b32_e32 v37, s16, v170
	v_add_nc_u32_e32 v170, 0x420, v173
	s_delay_alu instid0(VALU_DEP_3) | instskip(SKIP_2) | instid1(VALU_DEP_1)
	v_and_b32_e32 v169, v168, v169
	ds_load_b32 v168, v173 offset:1056
	; wave barrier
	v_and_b32_e32 v37, v169, v37
	v_mbcnt_lo_u32_b32 v169, v37, 0
	v_cmp_ne_u32_e64 s16, 0, v37
	s_delay_alu instid0(VALU_DEP_2) | instskip(NEXT) | instid1(VALU_DEP_2)
	v_cmp_eq_u32_e32 vcc_lo, 0, v169
	s_and_b32 s17, s16, vcc_lo
	s_delay_alu instid0(SALU_CYCLE_1)
	s_and_saveexec_b32 s16, s17
	s_cbranch_execz .LBB608_440
; %bb.439:                              ;   in Loop: Header=BB608_392 Depth=2
	s_waitcnt lgkmcnt(0)
	v_bcnt_u32_b32 v37, v37, v168
	ds_store_b32 v170, v37
.LBB608_440:                            ;   in Loop: Header=BB608_392 Depth=2
	s_or_b32 exec_lo, exec_lo, s16
	v_xor_b32_e32 v167, 0x80000000, v167
	; wave barrier
	s_delay_alu instid0(VALU_DEP_1) | instskip(NEXT) | instid1(VALU_DEP_1)
	v_lshrrev_b32_e32 v37, s38, v167
	v_and_b32_e32 v37, s39, v37
	s_delay_alu instid0(VALU_DEP_1)
	v_and_b32_e32 v173, 1, v37
	v_lshlrev_b32_e32 v174, 30, v37
	v_lshlrev_b32_e32 v175, 29, v37
	;; [unrolled: 1-line block ×4, first 2 shown]
	v_add_co_u32 v173, s16, v173, -1
	s_delay_alu instid0(VALU_DEP_1)
	v_cndmask_b32_e64 v177, 0, 1, s16
	v_not_b32_e32 v181, v174
	v_cmp_gt_i32_e64 s16, 0, v174
	v_not_b32_e32 v174, v175
	v_lshlrev_b32_e32 v179, 26, v37
	v_cmp_ne_u32_e32 vcc_lo, 0, v177
	v_ashrrev_i32_e32 v181, 31, v181
	v_lshlrev_b32_e32 v180, 25, v37
	v_ashrrev_i32_e32 v174, 31, v174
	v_lshlrev_b32_e32 v177, 24, v37
	v_xor_b32_e32 v173, vcc_lo, v173
	v_cmp_gt_i32_e32 vcc_lo, 0, v175
	v_not_b32_e32 v175, v176
	v_xor_b32_e32 v181, s16, v181
	v_cmp_gt_i32_e64 s16, 0, v176
	v_and_b32_e32 v173, exec_lo, v173
	v_not_b32_e32 v176, v178
	v_ashrrev_i32_e32 v175, 31, v175
	v_xor_b32_e32 v174, vcc_lo, v174
	v_cmp_gt_i32_e32 vcc_lo, 0, v178
	v_and_b32_e32 v173, v173, v181
	v_not_b32_e32 v178, v179
	v_ashrrev_i32_e32 v176, 31, v176
	v_xor_b32_e32 v175, s16, v175
	v_cmp_gt_i32_e64 s16, 0, v179
	v_and_b32_e32 v173, v173, v174
	v_not_b32_e32 v174, v180
	v_ashrrev_i32_e32 v178, 31, v178
	v_xor_b32_e32 v176, vcc_lo, v176
	v_cmp_gt_i32_e32 vcc_lo, 0, v180
	v_and_b32_e32 v173, v173, v175
	v_not_b32_e32 v175, v177
	v_ashrrev_i32_e32 v174, 31, v174
	v_xor_b32_e32 v178, s16, v178
	v_mul_u32_u24_e32 v37, 9, v37
	v_and_b32_e32 v173, v173, v176
	v_cmp_gt_i32_e64 s16, 0, v177
	v_ashrrev_i32_e32 v175, 31, v175
	v_xor_b32_e32 v174, vcc_lo, v174
	v_add_lshl_u32 v176, v37, v128, 2
	v_and_b32_e32 v173, v173, v178
	s_delay_alu instid0(VALU_DEP_4) | instskip(NEXT) | instid1(VALU_DEP_3)
	v_xor_b32_e32 v37, s16, v175
	v_add_nc_u32_e32 v175, 0x420, v176
	s_delay_alu instid0(VALU_DEP_3) | instskip(SKIP_2) | instid1(VALU_DEP_1)
	v_and_b32_e32 v174, v173, v174
	ds_load_b32 v173, v176 offset:1056
	; wave barrier
	v_and_b32_e32 v37, v174, v37
	v_mbcnt_lo_u32_b32 v174, v37, 0
	v_cmp_ne_u32_e64 s16, 0, v37
	s_delay_alu instid0(VALU_DEP_2) | instskip(NEXT) | instid1(VALU_DEP_2)
	v_cmp_eq_u32_e32 vcc_lo, 0, v174
	s_and_b32 s17, s16, vcc_lo
	s_delay_alu instid0(SALU_CYCLE_1)
	s_and_saveexec_b32 s16, s17
	s_cbranch_execz .LBB608_442
; %bb.441:                              ;   in Loop: Header=BB608_392 Depth=2
	s_waitcnt lgkmcnt(0)
	v_bcnt_u32_b32 v37, v37, v173
	ds_store_b32 v175, v37
.LBB608_442:                            ;   in Loop: Header=BB608_392 Depth=2
	s_or_b32 exec_lo, exec_lo, s16
	v_xor_b32_e32 v172, 0x80000000, v172
	; wave barrier
	s_delay_alu instid0(VALU_DEP_1) | instskip(NEXT) | instid1(VALU_DEP_1)
	v_lshrrev_b32_e32 v37, s38, v172
	v_and_b32_e32 v37, s39, v37
	s_delay_alu instid0(VALU_DEP_1)
	v_and_b32_e32 v176, 1, v37
	v_lshlrev_b32_e32 v177, 30, v37
	v_lshlrev_b32_e32 v178, 29, v37
	;; [unrolled: 1-line block ×4, first 2 shown]
	v_add_co_u32 v176, s16, v176, -1
	s_delay_alu instid0(VALU_DEP_1)
	v_cndmask_b32_e64 v180, 0, 1, s16
	v_not_b32_e32 v184, v177
	v_cmp_gt_i32_e64 s16, 0, v177
	v_not_b32_e32 v177, v178
	v_lshlrev_b32_e32 v182, 26, v37
	v_cmp_ne_u32_e32 vcc_lo, 0, v180
	v_ashrrev_i32_e32 v184, 31, v184
	v_lshlrev_b32_e32 v183, 25, v37
	v_ashrrev_i32_e32 v177, 31, v177
	v_lshlrev_b32_e32 v180, 24, v37
	v_xor_b32_e32 v176, vcc_lo, v176
	v_cmp_gt_i32_e32 vcc_lo, 0, v178
	v_not_b32_e32 v178, v179
	v_xor_b32_e32 v184, s16, v184
	v_cmp_gt_i32_e64 s16, 0, v179
	v_and_b32_e32 v176, exec_lo, v176
	v_not_b32_e32 v179, v181
	v_ashrrev_i32_e32 v178, 31, v178
	v_xor_b32_e32 v177, vcc_lo, v177
	v_cmp_gt_i32_e32 vcc_lo, 0, v181
	v_and_b32_e32 v176, v176, v184
	v_not_b32_e32 v181, v182
	v_ashrrev_i32_e32 v179, 31, v179
	v_xor_b32_e32 v178, s16, v178
	v_cmp_gt_i32_e64 s16, 0, v182
	v_and_b32_e32 v176, v176, v177
	v_not_b32_e32 v177, v183
	v_ashrrev_i32_e32 v181, 31, v181
	v_xor_b32_e32 v179, vcc_lo, v179
	v_cmp_gt_i32_e32 vcc_lo, 0, v183
	v_and_b32_e32 v176, v176, v178
	v_not_b32_e32 v178, v180
	v_ashrrev_i32_e32 v177, 31, v177
	v_xor_b32_e32 v181, s16, v181
	v_mul_u32_u24_e32 v37, 9, v37
	v_and_b32_e32 v176, v176, v179
	v_cmp_gt_i32_e64 s16, 0, v180
	v_ashrrev_i32_e32 v178, 31, v178
	v_xor_b32_e32 v177, vcc_lo, v177
	v_add_lshl_u32 v179, v37, v128, 2
	v_and_b32_e32 v176, v176, v181
	s_delay_alu instid0(VALU_DEP_4) | instskip(NEXT) | instid1(VALU_DEP_3)
	v_xor_b32_e32 v37, s16, v178
	v_add_nc_u32_e32 v178, 0x420, v179
	s_delay_alu instid0(VALU_DEP_3) | instskip(SKIP_2) | instid1(VALU_DEP_1)
	v_and_b32_e32 v177, v176, v177
	ds_load_b32 v176, v179 offset:1056
	; wave barrier
	v_and_b32_e32 v37, v177, v37
	v_mbcnt_lo_u32_b32 v177, v37, 0
	v_cmp_ne_u32_e64 s16, 0, v37
	s_delay_alu instid0(VALU_DEP_2) | instskip(NEXT) | instid1(VALU_DEP_2)
	v_cmp_eq_u32_e32 vcc_lo, 0, v177
	s_and_b32 s17, s16, vcc_lo
	s_delay_alu instid0(SALU_CYCLE_1)
	s_and_saveexec_b32 s16, s17
	s_cbranch_execz .LBB608_444
; %bb.443:                              ;   in Loop: Header=BB608_392 Depth=2
	s_waitcnt lgkmcnt(0)
	v_bcnt_u32_b32 v37, v37, v176
	ds_store_b32 v178, v37
.LBB608_444:                            ;   in Loop: Header=BB608_392 Depth=2
	s_or_b32 exec_lo, exec_lo, s16
	v_xor_b32_e32 v171, 0x80000000, v171
	; wave barrier
	s_delay_alu instid0(VALU_DEP_1) | instskip(NEXT) | instid1(VALU_DEP_1)
	v_lshrrev_b32_e32 v37, s38, v171
	v_and_b32_e32 v37, s39, v37
	s_delay_alu instid0(VALU_DEP_1)
	v_and_b32_e32 v179, 1, v37
	v_lshlrev_b32_e32 v180, 30, v37
	v_lshlrev_b32_e32 v181, 29, v37
	;; [unrolled: 1-line block ×4, first 2 shown]
	v_add_co_u32 v179, s16, v179, -1
	s_delay_alu instid0(VALU_DEP_1)
	v_cndmask_b32_e64 v183, 0, 1, s16
	v_not_b32_e32 v187, v180
	v_cmp_gt_i32_e64 s16, 0, v180
	v_not_b32_e32 v180, v181
	v_lshlrev_b32_e32 v185, 26, v37
	v_cmp_ne_u32_e32 vcc_lo, 0, v183
	v_ashrrev_i32_e32 v187, 31, v187
	v_lshlrev_b32_e32 v186, 25, v37
	v_ashrrev_i32_e32 v180, 31, v180
	v_lshlrev_b32_e32 v183, 24, v37
	v_xor_b32_e32 v179, vcc_lo, v179
	v_cmp_gt_i32_e32 vcc_lo, 0, v181
	v_not_b32_e32 v181, v182
	v_xor_b32_e32 v187, s16, v187
	v_cmp_gt_i32_e64 s16, 0, v182
	v_and_b32_e32 v179, exec_lo, v179
	v_not_b32_e32 v182, v184
	v_ashrrev_i32_e32 v181, 31, v181
	v_xor_b32_e32 v180, vcc_lo, v180
	v_cmp_gt_i32_e32 vcc_lo, 0, v184
	v_and_b32_e32 v179, v179, v187
	v_not_b32_e32 v184, v185
	v_ashrrev_i32_e32 v182, 31, v182
	v_xor_b32_e32 v181, s16, v181
	v_cmp_gt_i32_e64 s16, 0, v185
	v_and_b32_e32 v179, v179, v180
	v_not_b32_e32 v180, v186
	v_ashrrev_i32_e32 v184, 31, v184
	v_xor_b32_e32 v182, vcc_lo, v182
	v_cmp_gt_i32_e32 vcc_lo, 0, v186
	v_and_b32_e32 v179, v179, v181
	v_not_b32_e32 v181, v183
	v_ashrrev_i32_e32 v180, 31, v180
	v_xor_b32_e32 v184, s16, v184
	v_mul_u32_u24_e32 v37, 9, v37
	v_and_b32_e32 v179, v179, v182
	v_cmp_gt_i32_e64 s16, 0, v183
	v_ashrrev_i32_e32 v181, 31, v181
	v_xor_b32_e32 v180, vcc_lo, v180
	v_add_lshl_u32 v182, v37, v128, 2
	v_and_b32_e32 v179, v179, v184
	s_delay_alu instid0(VALU_DEP_4) | instskip(NEXT) | instid1(VALU_DEP_2)
	v_xor_b32_e32 v37, s16, v181
	v_and_b32_e32 v179, v179, v180
	ds_load_b32 v180, v182 offset:1056
	v_add_nc_u32_e32 v182, 0x420, v182
	; wave barrier
	v_and_b32_e32 v37, v179, v37
	s_delay_alu instid0(VALU_DEP_1) | instskip(SKIP_1) | instid1(VALU_DEP_2)
	v_mbcnt_lo_u32_b32 v181, v37, 0
	v_cmp_ne_u32_e64 s16, 0, v37
	v_cmp_eq_u32_e32 vcc_lo, 0, v181
	s_delay_alu instid0(VALU_DEP_2) | instskip(NEXT) | instid1(SALU_CYCLE_1)
	s_and_b32 s17, s16, vcc_lo
	s_and_saveexec_b32 s16, s17
	s_cbranch_execz .LBB608_446
; %bb.445:                              ;   in Loop: Header=BB608_392 Depth=2
	s_waitcnt lgkmcnt(0)
	v_bcnt_u32_b32 v37, v37, v180
	ds_store_b32 v182, v37
.LBB608_446:                            ;   in Loop: Header=BB608_392 Depth=2
	s_or_b32 exec_lo, exec_lo, s16
	v_xor_b32_e32 v179, 0x80000000, v43
	; wave barrier
	s_delay_alu instid0(VALU_DEP_1) | instskip(NEXT) | instid1(VALU_DEP_1)
	v_lshrrev_b32_e32 v37, s38, v179
	v_and_b32_e32 v37, s39, v37
	s_delay_alu instid0(VALU_DEP_1)
	v_and_b32_e32 v43, 1, v37
	v_lshlrev_b32_e32 v183, 30, v37
	v_lshlrev_b32_e32 v184, 29, v37
	;; [unrolled: 1-line block ×4, first 2 shown]
	v_add_co_u32 v43, s16, v43, -1
	s_delay_alu instid0(VALU_DEP_1)
	v_cndmask_b32_e64 v186, 0, 1, s16
	v_not_b32_e32 v190, v183
	v_cmp_gt_i32_e64 s16, 0, v183
	v_not_b32_e32 v183, v184
	v_lshlrev_b32_e32 v188, 26, v37
	v_cmp_ne_u32_e32 vcc_lo, 0, v186
	v_ashrrev_i32_e32 v190, 31, v190
	v_lshlrev_b32_e32 v189, 25, v37
	v_ashrrev_i32_e32 v183, 31, v183
	v_lshlrev_b32_e32 v186, 24, v37
	v_xor_b32_e32 v43, vcc_lo, v43
	v_cmp_gt_i32_e32 vcc_lo, 0, v184
	v_not_b32_e32 v184, v185
	v_xor_b32_e32 v190, s16, v190
	v_cmp_gt_i32_e64 s16, 0, v185
	v_and_b32_e32 v43, exec_lo, v43
	v_not_b32_e32 v185, v187
	v_ashrrev_i32_e32 v184, 31, v184
	v_xor_b32_e32 v183, vcc_lo, v183
	v_cmp_gt_i32_e32 vcc_lo, 0, v187
	v_and_b32_e32 v43, v43, v190
	v_not_b32_e32 v187, v188
	v_ashrrev_i32_e32 v185, 31, v185
	v_xor_b32_e32 v184, s16, v184
	v_cmp_gt_i32_e64 s16, 0, v188
	v_and_b32_e32 v43, v43, v183
	v_not_b32_e32 v183, v189
	v_ashrrev_i32_e32 v187, 31, v187
	v_xor_b32_e32 v185, vcc_lo, v185
	v_cmp_gt_i32_e32 vcc_lo, 0, v189
	v_and_b32_e32 v43, v43, v184
	v_not_b32_e32 v184, v186
	v_ashrrev_i32_e32 v183, 31, v183
	v_xor_b32_e32 v187, s16, v187
	v_mul_u32_u24_e32 v37, 9, v37
	v_and_b32_e32 v43, v43, v185
	v_cmp_gt_i32_e64 s16, 0, v186
	v_ashrrev_i32_e32 v184, 31, v184
	v_xor_b32_e32 v183, vcc_lo, v183
	v_add_lshl_u32 v186, v37, v128, 2
	v_and_b32_e32 v43, v43, v187
	s_delay_alu instid0(VALU_DEP_4) | instskip(SKIP_3) | instid1(VALU_DEP_2)
	v_xor_b32_e32 v37, s16, v184
	ds_load_b32 v184, v186 offset:1056
	v_and_b32_e32 v43, v43, v183
	v_add_nc_u32_e32 v186, 0x420, v186
	; wave barrier
	v_and_b32_e32 v37, v43, v37
	s_delay_alu instid0(VALU_DEP_1) | instskip(SKIP_1) | instid1(VALU_DEP_2)
	v_mbcnt_lo_u32_b32 v185, v37, 0
	v_cmp_ne_u32_e64 s16, 0, v37
	v_cmp_eq_u32_e32 vcc_lo, 0, v185
	s_delay_alu instid0(VALU_DEP_2) | instskip(NEXT) | instid1(SALU_CYCLE_1)
	s_and_b32 s17, s16, vcc_lo
	s_and_saveexec_b32 s16, s17
	s_cbranch_execz .LBB608_448
; %bb.447:                              ;   in Loop: Header=BB608_392 Depth=2
	s_waitcnt lgkmcnt(0)
	v_bcnt_u32_b32 v37, v37, v184
	ds_store_b32 v186, v37
.LBB608_448:                            ;   in Loop: Header=BB608_392 Depth=2
	s_or_b32 exec_lo, exec_lo, s16
	v_xor_b32_e32 v183, 0x80000000, v42
	; wave barrier
	s_delay_alu instid0(VALU_DEP_1) | instskip(NEXT) | instid1(VALU_DEP_1)
	v_lshrrev_b32_e32 v37, s38, v183
	v_and_b32_e32 v37, s39, v37
	s_delay_alu instid0(VALU_DEP_1)
	v_and_b32_e32 v42, 1, v37
	v_lshlrev_b32_e32 v43, 30, v37
	v_lshlrev_b32_e32 v187, 29, v37
	;; [unrolled: 1-line block ×4, first 2 shown]
	v_add_co_u32 v42, s16, v42, -1
	s_delay_alu instid0(VALU_DEP_1)
	v_cndmask_b32_e64 v189, 0, 1, s16
	v_not_b32_e32 v193, v43
	v_cmp_gt_i32_e64 s16, 0, v43
	v_not_b32_e32 v43, v187
	v_lshlrev_b32_e32 v191, 26, v37
	v_cmp_ne_u32_e32 vcc_lo, 0, v189
	v_ashrrev_i32_e32 v193, 31, v193
	v_lshlrev_b32_e32 v192, 25, v37
	v_ashrrev_i32_e32 v43, 31, v43
	v_lshlrev_b32_e32 v189, 24, v37
	v_xor_b32_e32 v42, vcc_lo, v42
	v_cmp_gt_i32_e32 vcc_lo, 0, v187
	v_not_b32_e32 v187, v188
	v_xor_b32_e32 v193, s16, v193
	v_cmp_gt_i32_e64 s16, 0, v188
	v_and_b32_e32 v42, exec_lo, v42
	v_not_b32_e32 v188, v190
	v_ashrrev_i32_e32 v187, 31, v187
	v_xor_b32_e32 v43, vcc_lo, v43
	v_cmp_gt_i32_e32 vcc_lo, 0, v190
	v_and_b32_e32 v42, v42, v193
	v_not_b32_e32 v190, v191
	v_ashrrev_i32_e32 v188, 31, v188
	v_xor_b32_e32 v187, s16, v187
	v_cmp_gt_i32_e64 s16, 0, v191
	v_and_b32_e32 v42, v42, v43
	v_not_b32_e32 v43, v192
	v_ashrrev_i32_e32 v190, 31, v190
	v_xor_b32_e32 v188, vcc_lo, v188
	v_cmp_gt_i32_e32 vcc_lo, 0, v192
	v_and_b32_e32 v42, v42, v187
	v_not_b32_e32 v187, v189
	v_ashrrev_i32_e32 v43, 31, v43
	v_xor_b32_e32 v190, s16, v190
	v_mul_u32_u24_e32 v37, 9, v37
	v_and_b32_e32 v42, v42, v188
	v_cmp_gt_i32_e64 s16, 0, v189
	v_ashrrev_i32_e32 v187, 31, v187
	v_xor_b32_e32 v43, vcc_lo, v43
	s_delay_alu instid0(VALU_DEP_4) | instskip(SKIP_1) | instid1(VALU_DEP_4)
	v_and_b32_e32 v42, v42, v190
	v_add_lshl_u32 v190, v37, v128, 2
	v_xor_b32_e32 v37, s16, v187
	s_delay_alu instid0(VALU_DEP_3) | instskip(SKIP_3) | instid1(VALU_DEP_1)
	v_and_b32_e32 v42, v42, v43
	ds_load_b32 v188, v190 offset:1056
	v_add_nc_u32_e32 v190, 0x420, v190
	; wave barrier
	v_and_b32_e32 v37, v42, v37
	v_mbcnt_lo_u32_b32 v189, v37, 0
	v_cmp_ne_u32_e64 s16, 0, v37
	s_delay_alu instid0(VALU_DEP_2) | instskip(NEXT) | instid1(VALU_DEP_2)
	v_cmp_eq_u32_e32 vcc_lo, 0, v189
	s_and_b32 s17, s16, vcc_lo
	s_delay_alu instid0(SALU_CYCLE_1)
	s_and_saveexec_b32 s16, s17
	s_cbranch_execz .LBB608_450
; %bb.449:                              ;   in Loop: Header=BB608_392 Depth=2
	s_waitcnt lgkmcnt(0)
	v_bcnt_u32_b32 v37, v37, v188
	ds_store_b32 v190, v37
.LBB608_450:                            ;   in Loop: Header=BB608_392 Depth=2
	s_or_b32 exec_lo, exec_lo, s16
	v_xor_b32_e32 v187, 0x80000000, v41
	; wave barrier
	s_delay_alu instid0(VALU_DEP_1) | instskip(NEXT) | instid1(VALU_DEP_1)
	v_lshrrev_b32_e32 v37, s38, v187
	v_and_b32_e32 v37, s39, v37
	s_delay_alu instid0(VALU_DEP_1)
	v_and_b32_e32 v41, 1, v37
	v_lshlrev_b32_e32 v42, 30, v37
	v_lshlrev_b32_e32 v43, 29, v37
	;; [unrolled: 1-line block ×4, first 2 shown]
	v_add_co_u32 v41, s16, v41, -1
	s_delay_alu instid0(VALU_DEP_1)
	v_cndmask_b32_e64 v192, 0, 1, s16
	v_not_b32_e32 v196, v42
	v_cmp_gt_i32_e64 s16, 0, v42
	v_not_b32_e32 v42, v43
	v_lshlrev_b32_e32 v194, 26, v37
	v_cmp_ne_u32_e32 vcc_lo, 0, v192
	v_ashrrev_i32_e32 v196, 31, v196
	v_lshlrev_b32_e32 v195, 25, v37
	v_ashrrev_i32_e32 v42, 31, v42
	v_lshlrev_b32_e32 v192, 24, v37
	v_xor_b32_e32 v41, vcc_lo, v41
	v_cmp_gt_i32_e32 vcc_lo, 0, v43
	v_not_b32_e32 v43, v191
	v_xor_b32_e32 v196, s16, v196
	v_cmp_gt_i32_e64 s16, 0, v191
	v_and_b32_e32 v41, exec_lo, v41
	v_not_b32_e32 v191, v193
	v_ashrrev_i32_e32 v43, 31, v43
	v_xor_b32_e32 v42, vcc_lo, v42
	v_cmp_gt_i32_e32 vcc_lo, 0, v193
	v_and_b32_e32 v41, v41, v196
	v_not_b32_e32 v193, v194
	v_ashrrev_i32_e32 v191, 31, v191
	v_xor_b32_e32 v43, s16, v43
	v_cmp_gt_i32_e64 s16, 0, v194
	v_and_b32_e32 v41, v41, v42
	v_not_b32_e32 v42, v195
	v_ashrrev_i32_e32 v193, 31, v193
	v_xor_b32_e32 v191, vcc_lo, v191
	v_cmp_gt_i32_e32 vcc_lo, 0, v195
	v_and_b32_e32 v41, v41, v43
	v_not_b32_e32 v43, v192
	v_ashrrev_i32_e32 v42, 31, v42
	v_xor_b32_e32 v193, s16, v193
	v_mul_u32_u24_e32 v37, 9, v37
	v_and_b32_e32 v41, v41, v191
	v_cmp_gt_i32_e64 s16, 0, v192
	v_ashrrev_i32_e32 v43, 31, v43
	v_xor_b32_e32 v42, vcc_lo, v42
	v_add_lshl_u32 v191, v37, v128, 2
	v_and_b32_e32 v41, v41, v193
	s_delay_alu instid0(VALU_DEP_4) | instskip(SKIP_3) | instid1(VALU_DEP_2)
	v_xor_b32_e32 v37, s16, v43
	ds_load_b32 v192, v191 offset:1056
	v_and_b32_e32 v41, v41, v42
	v_add_nc_u32_e32 v194, 0x420, v191
	; wave barrier
	v_and_b32_e32 v37, v41, v37
	s_delay_alu instid0(VALU_DEP_1) | instskip(SKIP_1) | instid1(VALU_DEP_2)
	v_mbcnt_lo_u32_b32 v193, v37, 0
	v_cmp_ne_u32_e64 s16, 0, v37
	v_cmp_eq_u32_e32 vcc_lo, 0, v193
	s_delay_alu instid0(VALU_DEP_2) | instskip(NEXT) | instid1(SALU_CYCLE_1)
	s_and_b32 s17, s16, vcc_lo
	s_and_saveexec_b32 s16, s17
	s_cbranch_execz .LBB608_452
; %bb.451:                              ;   in Loop: Header=BB608_392 Depth=2
	s_waitcnt lgkmcnt(0)
	v_bcnt_u32_b32 v37, v37, v192
	ds_store_b32 v194, v37
.LBB608_452:                            ;   in Loop: Header=BB608_392 Depth=2
	s_or_b32 exec_lo, exec_lo, s16
	v_xor_b32_e32 v191, 0x80000000, v40
	; wave barrier
	s_delay_alu instid0(VALU_DEP_1) | instskip(NEXT) | instid1(VALU_DEP_1)
	v_lshrrev_b32_e32 v37, s38, v191
	v_and_b32_e32 v37, s39, v37
	s_delay_alu instid0(VALU_DEP_1)
	v_and_b32_e32 v40, 1, v37
	v_lshlrev_b32_e32 v41, 30, v37
	v_lshlrev_b32_e32 v42, 29, v37
	;; [unrolled: 1-line block ×4, first 2 shown]
	v_add_co_u32 v40, s16, v40, -1
	s_delay_alu instid0(VALU_DEP_1)
	v_cndmask_b32_e64 v195, 0, 1, s16
	v_not_b32_e32 v199, v41
	v_cmp_gt_i32_e64 s16, 0, v41
	v_not_b32_e32 v41, v42
	v_lshlrev_b32_e32 v197, 26, v37
	v_cmp_ne_u32_e32 vcc_lo, 0, v195
	v_ashrrev_i32_e32 v199, 31, v199
	v_lshlrev_b32_e32 v198, 25, v37
	v_ashrrev_i32_e32 v41, 31, v41
	v_lshlrev_b32_e32 v195, 24, v37
	v_xor_b32_e32 v40, vcc_lo, v40
	v_cmp_gt_i32_e32 vcc_lo, 0, v42
	v_not_b32_e32 v42, v43
	v_xor_b32_e32 v199, s16, v199
	v_cmp_gt_i32_e64 s16, 0, v43
	v_and_b32_e32 v40, exec_lo, v40
	v_not_b32_e32 v43, v196
	v_ashrrev_i32_e32 v42, 31, v42
	v_xor_b32_e32 v41, vcc_lo, v41
	v_cmp_gt_i32_e32 vcc_lo, 0, v196
	v_and_b32_e32 v40, v40, v199
	v_not_b32_e32 v196, v197
	v_ashrrev_i32_e32 v43, 31, v43
	v_xor_b32_e32 v42, s16, v42
	v_cmp_gt_i32_e64 s16, 0, v197
	v_and_b32_e32 v40, v40, v41
	v_not_b32_e32 v41, v198
	v_ashrrev_i32_e32 v196, 31, v196
	v_xor_b32_e32 v43, vcc_lo, v43
	v_cmp_gt_i32_e32 vcc_lo, 0, v198
	v_and_b32_e32 v40, v40, v42
	v_not_b32_e32 v42, v195
	v_ashrrev_i32_e32 v41, 31, v41
	v_xor_b32_e32 v196, s16, v196
	v_mul_u32_u24_e32 v37, 9, v37
	v_and_b32_e32 v40, v40, v43
	v_cmp_gt_i32_e64 s16, 0, v195
	v_ashrrev_i32_e32 v42, 31, v42
	v_xor_b32_e32 v41, vcc_lo, v41
	v_add_lshl_u32 v43, v37, v128, 2
	v_and_b32_e32 v40, v40, v196
	s_delay_alu instid0(VALU_DEP_4) | instskip(SKIP_3) | instid1(VALU_DEP_2)
	v_xor_b32_e32 v37, s16, v42
	ds_load_b32 v196, v43 offset:1056
	v_and_b32_e32 v40, v40, v41
	v_add_nc_u32_e32 v198, 0x420, v43
	; wave barrier
	v_and_b32_e32 v37, v40, v37
	s_delay_alu instid0(VALU_DEP_1) | instskip(SKIP_1) | instid1(VALU_DEP_2)
	v_mbcnt_lo_u32_b32 v197, v37, 0
	v_cmp_ne_u32_e64 s16, 0, v37
	v_cmp_eq_u32_e32 vcc_lo, 0, v197
	s_delay_alu instid0(VALU_DEP_2) | instskip(NEXT) | instid1(SALU_CYCLE_1)
	s_and_b32 s17, s16, vcc_lo
	s_and_saveexec_b32 s16, s17
	s_cbranch_execz .LBB608_454
; %bb.453:                              ;   in Loop: Header=BB608_392 Depth=2
	s_waitcnt lgkmcnt(0)
	v_bcnt_u32_b32 v37, v37, v196
	ds_store_b32 v198, v37
.LBB608_454:                            ;   in Loop: Header=BB608_392 Depth=2
	s_or_b32 exec_lo, exec_lo, s16
	v_xor_b32_e32 v195, 0x80000000, v39
	; wave barrier
	s_delay_alu instid0(VALU_DEP_1) | instskip(NEXT) | instid1(VALU_DEP_1)
	v_lshrrev_b32_e32 v37, s38, v195
	v_and_b32_e32 v37, s39, v37
	s_delay_alu instid0(VALU_DEP_1)
	v_and_b32_e32 v39, 1, v37
	v_lshlrev_b32_e32 v40, 30, v37
	v_lshlrev_b32_e32 v41, 29, v37
	;; [unrolled: 1-line block ×4, first 2 shown]
	v_add_co_u32 v39, s16, v39, -1
	s_delay_alu instid0(VALU_DEP_1)
	v_cndmask_b32_e64 v43, 0, 1, s16
	v_not_b32_e32 v202, v40
	v_cmp_gt_i32_e64 s16, 0, v40
	v_not_b32_e32 v40, v41
	v_lshlrev_b32_e32 v200, 26, v37
	v_cmp_ne_u32_e32 vcc_lo, 0, v43
	v_ashrrev_i32_e32 v202, 31, v202
	v_lshlrev_b32_e32 v201, 25, v37
	v_ashrrev_i32_e32 v40, 31, v40
	v_lshlrev_b32_e32 v43, 24, v37
	v_xor_b32_e32 v39, vcc_lo, v39
	v_cmp_gt_i32_e32 vcc_lo, 0, v41
	v_not_b32_e32 v41, v42
	v_xor_b32_e32 v202, s16, v202
	v_cmp_gt_i32_e64 s16, 0, v42
	v_and_b32_e32 v39, exec_lo, v39
	v_not_b32_e32 v42, v199
	v_ashrrev_i32_e32 v41, 31, v41
	v_xor_b32_e32 v40, vcc_lo, v40
	v_cmp_gt_i32_e32 vcc_lo, 0, v199
	v_and_b32_e32 v39, v39, v202
	v_not_b32_e32 v199, v200
	v_ashrrev_i32_e32 v42, 31, v42
	v_xor_b32_e32 v41, s16, v41
	v_cmp_gt_i32_e64 s16, 0, v200
	v_and_b32_e32 v39, v39, v40
	v_not_b32_e32 v40, v201
	v_ashrrev_i32_e32 v199, 31, v199
	v_xor_b32_e32 v42, vcc_lo, v42
	v_cmp_gt_i32_e32 vcc_lo, 0, v201
	v_and_b32_e32 v39, v39, v41
	v_not_b32_e32 v41, v43
	v_ashrrev_i32_e32 v40, 31, v40
	v_xor_b32_e32 v199, s16, v199
	v_mul_u32_u24_e32 v37, 9, v37
	v_and_b32_e32 v39, v39, v42
	v_cmp_gt_i32_e64 s16, 0, v43
	v_ashrrev_i32_e32 v41, 31, v41
	v_xor_b32_e32 v40, vcc_lo, v40
	v_add_lshl_u32 v42, v37, v128, 2
	v_and_b32_e32 v39, v39, v199
	s_delay_alu instid0(VALU_DEP_4) | instskip(SKIP_3) | instid1(VALU_DEP_2)
	v_xor_b32_e32 v37, s16, v41
	ds_load_b32 v200, v42 offset:1056
	v_and_b32_e32 v39, v39, v40
	v_add_nc_u32_e32 v202, 0x420, v42
	; wave barrier
	v_and_b32_e32 v37, v39, v37
	s_delay_alu instid0(VALU_DEP_1) | instskip(SKIP_1) | instid1(VALU_DEP_2)
	v_mbcnt_lo_u32_b32 v201, v37, 0
	v_cmp_ne_u32_e64 s16, 0, v37
	v_cmp_eq_u32_e32 vcc_lo, 0, v201
	s_delay_alu instid0(VALU_DEP_2) | instskip(NEXT) | instid1(SALU_CYCLE_1)
	s_and_b32 s17, s16, vcc_lo
	s_and_saveexec_b32 s16, s17
	s_cbranch_execz .LBB608_456
; %bb.455:                              ;   in Loop: Header=BB608_392 Depth=2
	s_waitcnt lgkmcnt(0)
	v_bcnt_u32_b32 v37, v37, v200
	ds_store_b32 v202, v37
.LBB608_456:                            ;   in Loop: Header=BB608_392 Depth=2
	s_or_b32 exec_lo, exec_lo, s16
	v_xor_b32_e32 v199, 0x80000000, v38
	; wave barrier
	s_delay_alu instid0(VALU_DEP_1) | instskip(NEXT) | instid1(VALU_DEP_1)
	v_lshrrev_b32_e32 v37, s38, v199
	v_and_b32_e32 v37, s39, v37
	s_delay_alu instid0(VALU_DEP_1)
	v_and_b32_e32 v38, 1, v37
	v_lshlrev_b32_e32 v39, 30, v37
	v_lshlrev_b32_e32 v40, 29, v37
	;; [unrolled: 1-line block ×4, first 2 shown]
	v_add_co_u32 v38, s16, v38, -1
	s_delay_alu instid0(VALU_DEP_1)
	v_cndmask_b32_e64 v42, 0, 1, s16
	v_not_b32_e32 v205, v39
	v_cmp_gt_i32_e64 s16, 0, v39
	v_not_b32_e32 v39, v40
	v_lshlrev_b32_e32 v203, 26, v37
	v_cmp_ne_u32_e32 vcc_lo, 0, v42
	v_ashrrev_i32_e32 v205, 31, v205
	v_lshlrev_b32_e32 v204, 25, v37
	v_ashrrev_i32_e32 v39, 31, v39
	v_lshlrev_b32_e32 v42, 24, v37
	v_xor_b32_e32 v38, vcc_lo, v38
	v_cmp_gt_i32_e32 vcc_lo, 0, v40
	v_not_b32_e32 v40, v41
	v_xor_b32_e32 v205, s16, v205
	v_cmp_gt_i32_e64 s16, 0, v41
	v_and_b32_e32 v38, exec_lo, v38
	v_not_b32_e32 v41, v43
	v_ashrrev_i32_e32 v40, 31, v40
	v_xor_b32_e32 v39, vcc_lo, v39
	v_cmp_gt_i32_e32 vcc_lo, 0, v43
	v_and_b32_e32 v38, v38, v205
	v_not_b32_e32 v43, v203
	v_ashrrev_i32_e32 v41, 31, v41
	v_xor_b32_e32 v40, s16, v40
	v_cmp_gt_i32_e64 s16, 0, v203
	v_and_b32_e32 v38, v38, v39
	v_not_b32_e32 v39, v204
	v_ashrrev_i32_e32 v43, 31, v43
	v_xor_b32_e32 v41, vcc_lo, v41
	v_cmp_gt_i32_e32 vcc_lo, 0, v204
	v_and_b32_e32 v38, v38, v40
	v_not_b32_e32 v40, v42
	v_ashrrev_i32_e32 v39, 31, v39
	v_xor_b32_e32 v43, s16, v43
	v_mul_u32_u24_e32 v37, 9, v37
	v_and_b32_e32 v38, v38, v41
	v_cmp_gt_i32_e64 s16, 0, v42
	v_ashrrev_i32_e32 v40, 31, v40
	v_xor_b32_e32 v39, vcc_lo, v39
	v_add_lshl_u32 v41, v37, v128, 2
	v_and_b32_e32 v38, v38, v43
	s_delay_alu instid0(VALU_DEP_4) | instskip(SKIP_3) | instid1(VALU_DEP_2)
	v_xor_b32_e32 v37, s16, v40
	ds_load_b32 v204, v41 offset:1056
	v_and_b32_e32 v38, v38, v39
	v_add_nc_u32_e32 v206, 0x420, v41
	; wave barrier
	v_and_b32_e32 v37, v38, v37
	s_delay_alu instid0(VALU_DEP_1) | instskip(SKIP_1) | instid1(VALU_DEP_2)
	v_mbcnt_lo_u32_b32 v205, v37, 0
	v_cmp_ne_u32_e64 s16, 0, v37
	v_cmp_eq_u32_e32 vcc_lo, 0, v205
	s_delay_alu instid0(VALU_DEP_2) | instskip(NEXT) | instid1(SALU_CYCLE_1)
	s_and_b32 s17, s16, vcc_lo
	s_and_saveexec_b32 s16, s17
	s_cbranch_execz .LBB608_458
; %bb.457:                              ;   in Loop: Header=BB608_392 Depth=2
	s_waitcnt lgkmcnt(0)
	v_bcnt_u32_b32 v37, v37, v204
	ds_store_b32 v206, v37
.LBB608_458:                            ;   in Loop: Header=BB608_392 Depth=2
	s_or_b32 exec_lo, exec_lo, s16
	v_xor_b32_e32 v203, 0x80000000, v36
	; wave barrier
	s_delay_alu instid0(VALU_DEP_1) | instskip(NEXT) | instid1(VALU_DEP_1)
	v_lshrrev_b32_e32 v36, s38, v203
	v_and_b32_e32 v36, s39, v36
	s_delay_alu instid0(VALU_DEP_1)
	v_and_b32_e32 v37, 1, v36
	v_lshlrev_b32_e32 v38, 30, v36
	v_lshlrev_b32_e32 v39, 29, v36
	;; [unrolled: 1-line block ×4, first 2 shown]
	v_add_co_u32 v37, s16, v37, -1
	s_delay_alu instid0(VALU_DEP_1)
	v_cndmask_b32_e64 v41, 0, 1, s16
	v_not_b32_e32 v208, v38
	v_cmp_gt_i32_e64 s16, 0, v38
	v_not_b32_e32 v38, v39
	v_lshlrev_b32_e32 v43, 26, v36
	v_cmp_ne_u32_e32 vcc_lo, 0, v41
	v_ashrrev_i32_e32 v208, 31, v208
	v_lshlrev_b32_e32 v207, 25, v36
	v_ashrrev_i32_e32 v38, 31, v38
	v_lshlrev_b32_e32 v41, 24, v36
	v_xor_b32_e32 v37, vcc_lo, v37
	v_cmp_gt_i32_e32 vcc_lo, 0, v39
	v_not_b32_e32 v39, v40
	v_xor_b32_e32 v208, s16, v208
	v_cmp_gt_i32_e64 s16, 0, v40
	v_and_b32_e32 v37, exec_lo, v37
	v_not_b32_e32 v40, v42
	v_ashrrev_i32_e32 v39, 31, v39
	v_xor_b32_e32 v38, vcc_lo, v38
	v_cmp_gt_i32_e32 vcc_lo, 0, v42
	v_and_b32_e32 v37, v37, v208
	v_not_b32_e32 v42, v43
	v_ashrrev_i32_e32 v40, 31, v40
	v_xor_b32_e32 v39, s16, v39
	v_cmp_gt_i32_e64 s16, 0, v43
	v_and_b32_e32 v37, v37, v38
	v_not_b32_e32 v38, v207
	v_ashrrev_i32_e32 v42, 31, v42
	v_xor_b32_e32 v40, vcc_lo, v40
	v_cmp_gt_i32_e32 vcc_lo, 0, v207
	v_and_b32_e32 v37, v37, v39
	v_not_b32_e32 v39, v41
	v_ashrrev_i32_e32 v38, 31, v38
	v_xor_b32_e32 v42, s16, v42
	v_mul_u32_u24_e32 v36, 9, v36
	v_and_b32_e32 v37, v37, v40
	v_cmp_gt_i32_e64 s16, 0, v41
	v_ashrrev_i32_e32 v39, 31, v39
	v_xor_b32_e32 v38, vcc_lo, v38
	v_add_lshl_u32 v40, v36, v128, 2
	v_and_b32_e32 v37, v37, v42
	s_delay_alu instid0(VALU_DEP_4) | instskip(SKIP_3) | instid1(VALU_DEP_2)
	v_xor_b32_e32 v36, s16, v39
	ds_load_b32 v207, v40 offset:1056
	v_and_b32_e32 v37, v37, v38
	v_add_nc_u32_e32 v209, 0x420, v40
	; wave barrier
	v_and_b32_e32 v36, v37, v36
	s_delay_alu instid0(VALU_DEP_1) | instskip(SKIP_1) | instid1(VALU_DEP_2)
	v_mbcnt_lo_u32_b32 v208, v36, 0
	v_cmp_ne_u32_e64 s16, 0, v36
	v_cmp_eq_u32_e32 vcc_lo, 0, v208
	s_delay_alu instid0(VALU_DEP_2) | instskip(NEXT) | instid1(SALU_CYCLE_1)
	s_and_b32 s17, s16, vcc_lo
	s_and_saveexec_b32 s16, s17
	s_cbranch_execz .LBB608_460
; %bb.459:                              ;   in Loop: Header=BB608_392 Depth=2
	s_waitcnt lgkmcnt(0)
	v_bcnt_u32_b32 v36, v36, v207
	ds_store_b32 v209, v36
.LBB608_460:                            ;   in Loop: Header=BB608_392 Depth=2
	s_or_b32 exec_lo, exec_lo, s16
	; wave barrier
	s_waitcnt lgkmcnt(0)
	s_barrier
	buffer_gl0_inv
	ds_load_b32 v210, v70 offset:1056
	ds_load_2addr_b32 v[42:43], v71 offset0:1 offset1:2
	ds_load_2addr_b32 v[40:41], v71 offset0:3 offset1:4
	;; [unrolled: 1-line block ×4, first 2 shown]
	s_waitcnt lgkmcnt(3)
	v_add3_u32 v211, v42, v210, v43
	s_waitcnt lgkmcnt(2)
	s_delay_alu instid0(VALU_DEP_1) | instskip(SKIP_1) | instid1(VALU_DEP_1)
	v_add3_u32 v211, v211, v40, v41
	s_waitcnt lgkmcnt(1)
	v_add3_u32 v211, v211, v36, v37
	s_waitcnt lgkmcnt(0)
	s_delay_alu instid0(VALU_DEP_1) | instskip(NEXT) | instid1(VALU_DEP_1)
	v_add3_u32 v39, v211, v38, v39
	v_mov_b32_dpp v211, v39 row_shr:1 row_mask:0xf bank_mask:0xf
	s_delay_alu instid0(VALU_DEP_1) | instskip(NEXT) | instid1(VALU_DEP_1)
	v_cndmask_b32_e64 v211, v211, 0, s0
	v_add_nc_u32_e32 v39, v211, v39
	s_delay_alu instid0(VALU_DEP_1) | instskip(NEXT) | instid1(VALU_DEP_1)
	v_mov_b32_dpp v211, v39 row_shr:2 row_mask:0xf bank_mask:0xf
	v_cndmask_b32_e64 v211, 0, v211, s1
	s_delay_alu instid0(VALU_DEP_1) | instskip(NEXT) | instid1(VALU_DEP_1)
	v_add_nc_u32_e32 v39, v39, v211
	v_mov_b32_dpp v211, v39 row_shr:4 row_mask:0xf bank_mask:0xf
	s_delay_alu instid0(VALU_DEP_1) | instskip(NEXT) | instid1(VALU_DEP_1)
	v_cndmask_b32_e64 v211, 0, v211, s8
	v_add_nc_u32_e32 v39, v39, v211
	s_delay_alu instid0(VALU_DEP_1) | instskip(NEXT) | instid1(VALU_DEP_1)
	v_mov_b32_dpp v211, v39 row_shr:8 row_mask:0xf bank_mask:0xf
	v_cndmask_b32_e64 v211, 0, v211, s9
	s_delay_alu instid0(VALU_DEP_1) | instskip(SKIP_3) | instid1(VALU_DEP_1)
	v_add_nc_u32_e32 v39, v39, v211
	ds_swizzle_b32 v211, v39 offset:swizzle(BROADCAST,32,15)
	s_waitcnt lgkmcnt(0)
	v_cndmask_b32_e64 v211, v211, 0, s10
	v_add_nc_u32_e32 v39, v39, v211
	s_and_saveexec_b32 s16, s3
	s_cbranch_execz .LBB608_462
; %bb.461:                              ;   in Loop: Header=BB608_392 Depth=2
	ds_store_b32 v62, v39 offset:1024
.LBB608_462:                            ;   in Loop: Header=BB608_392 Depth=2
	s_or_b32 exec_lo, exec_lo, s16
	s_waitcnt lgkmcnt(0)
	s_barrier
	buffer_gl0_inv
	s_and_saveexec_b32 s16, s4
	s_cbranch_execz .LBB608_464
; %bb.463:                              ;   in Loop: Header=BB608_392 Depth=2
	v_add_nc_u32_e32 v211, v70, v72
	ds_load_b32 v212, v211 offset:1024
	s_waitcnt lgkmcnt(0)
	v_mov_b32_dpp v213, v212 row_shr:1 row_mask:0xf bank_mask:0xf
	s_delay_alu instid0(VALU_DEP_1) | instskip(NEXT) | instid1(VALU_DEP_1)
	v_cndmask_b32_e64 v213, v213, 0, s12
	v_add_nc_u32_e32 v212, v213, v212
	s_delay_alu instid0(VALU_DEP_1) | instskip(NEXT) | instid1(VALU_DEP_1)
	v_mov_b32_dpp v213, v212 row_shr:2 row_mask:0xf bank_mask:0xf
	v_cndmask_b32_e64 v213, 0, v213, s13
	s_delay_alu instid0(VALU_DEP_1) | instskip(NEXT) | instid1(VALU_DEP_1)
	v_add_nc_u32_e32 v212, v212, v213
	v_mov_b32_dpp v213, v212 row_shr:4 row_mask:0xf bank_mask:0xf
	s_delay_alu instid0(VALU_DEP_1) | instskip(NEXT) | instid1(VALU_DEP_1)
	v_cndmask_b32_e64 v213, 0, v213, s14
	v_add_nc_u32_e32 v212, v212, v213
	ds_store_b32 v211, v212 offset:1024
.LBB608_464:                            ;   in Loop: Header=BB608_392 Depth=2
	s_or_b32 exec_lo, exec_lo, s16
	v_mov_b32_e32 v211, 0
	s_waitcnt lgkmcnt(0)
	s_barrier
	buffer_gl0_inv
	s_and_saveexec_b32 s16, s5
	s_cbranch_execz .LBB608_466
; %bb.465:                              ;   in Loop: Header=BB608_392 Depth=2
	ds_load_b32 v211, v62 offset:1020
.LBB608_466:                            ;   in Loop: Header=BB608_392 Depth=2
	s_or_b32 exec_lo, exec_lo, s16
	s_waitcnt lgkmcnt(0)
	v_add_nc_u32_e32 v39, v211, v39
	ds_bpermute_b32 v39, v107, v39
	s_waitcnt lgkmcnt(0)
	v_cndmask_b32_e64 v39, v39, v211, s11
	s_delay_alu instid0(VALU_DEP_1) | instskip(NEXT) | instid1(VALU_DEP_1)
	v_cndmask_b32_e64 v39, v39, 0, s6
	v_add_nc_u32_e32 v210, v39, v210
	s_delay_alu instid0(VALU_DEP_1) | instskip(NEXT) | instid1(VALU_DEP_1)
	v_add_nc_u32_e32 v42, v210, v42
	v_add_nc_u32_e32 v43, v42, v43
	s_delay_alu instid0(VALU_DEP_1) | instskip(NEXT) | instid1(VALU_DEP_1)
	v_add_nc_u32_e32 v40, v43, v40
	;; [unrolled: 3-line block ×3, first 2 shown]
	v_add_nc_u32_e32 v37, v36, v37
	s_delay_alu instid0(VALU_DEP_1)
	v_add_nc_u32_e32 v38, v37, v38
	ds_store_b32 v70, v39 offset:1056
	ds_store_2addr_b32 v71, v210, v42 offset0:1 offset1:2
	ds_store_2addr_b32 v71, v43, v40 offset0:3 offset1:4
	;; [unrolled: 1-line block ×4, first 2 shown]
	v_mov_b32_e32 v38, 0x1000
	s_waitcnt lgkmcnt(0)
	s_barrier
	buffer_gl0_inv
	ds_load_b32 v39, v154
	ds_load_b32 v40, v158
	;; [unrolled: 1-line block ×16, first 2 shown]
	ds_load_b32 v158, v70 offset:1056
	s_and_saveexec_b32 s16, s7
	s_cbranch_execz .LBB608_468
; %bb.467:                              ;   in Loop: Header=BB608_392 Depth=2
	ds_load_b32 v38, v73 offset:1056
.LBB608_468:                            ;   in Loop: Header=BB608_392 Depth=2
	s_or_b32 exec_lo, exec_lo, s16
	s_waitcnt lgkmcnt(0)
	s_barrier
	buffer_gl0_inv
	s_and_saveexec_b32 s16, s2
	s_cbranch_execz .LBB608_470
; %bb.469:                              ;   in Loop: Header=BB608_392 Depth=2
	ds_load_b32 v162, v44
	s_waitcnt lgkmcnt(0)
	v_sub_nc_u32_e32 v158, v162, v158
	ds_store_b32 v44, v158
.LBB608_470:                            ;   in Loop: Header=BB608_392 Depth=2
	s_or_b32 exec_lo, exec_lo, s16
	v_add_nc_u32_e32 v170, v150, v149
	v_add3_u32 v166, v153, v152, v39
	v_add3_u32 v162, v157, v156, v40
	;; [unrolled: 1-line block ×5, first 2 shown]
	v_lshlrev_b32_e32 v160, 2, v170
	v_add3_u32 v43, v201, v200, v36
	v_lshlrev_b32_e32 v36, 2, v166
	v_add3_u32 v154, v174, v173, v175
	v_add3_u32 v153, v177, v176, v178
	ds_store_b32 v160, v2 offset:1024
	v_lshlrev_b32_e32 v2, 2, v162
	ds_store_b32 v36, v148 offset:1024
	v_lshlrev_b32_e32 v36, 2, v156
	v_add3_u32 v152, v181, v180, v182
	v_add3_u32 v42, v205, v204, v37
	v_lshlrev_b32_e32 v37, 2, v158
	v_add3_u32 v150, v185, v184, v186
	v_lshlrev_b32_e32 v160, 2, v157
	v_add3_u32 v149, v189, v188, v190
	v_add3_u32 v40, v193, v192, v194
	ds_store_b32 v2, v151 offset:1024
	ds_store_b32 v37, v155 offset:1024
	;; [unrolled: 1-line block ×3, first 2 shown]
	v_lshlrev_b32_e32 v2, 2, v154
	ds_store_b32 v36, v163 offset:1024
	v_lshlrev_b32_e32 v36, 2, v153
	v_lshlrev_b32_e32 v37, 2, v152
	;; [unrolled: 1-line block ×3, first 2 shown]
	v_add3_u32 v39, v197, v196, v198
	v_add3_u32 v41, v208, v207, v41
	ds_store_b32 v2, v167 offset:1024
	v_lshlrev_b32_e32 v2, 2, v149
	ds_store_b32 v36, v172 offset:1024
	ds_store_b32 v37, v171 offset:1024
	;; [unrolled: 1-line block ×3, first 2 shown]
	v_lshlrev_b32_e32 v36, 2, v40
	v_cmp_lt_u32_e32 vcc_lo, v1, v147
	v_lshlrev_b32_e32 v37, 2, v43
	ds_store_b32 v2, v183 offset:1024
	v_lshlrev_b32_e32 v2, 2, v39
	ds_store_b32 v36, v187 offset:1024
	v_lshlrev_b32_e32 v36, 2, v41
	v_lshlrev_b32_e32 v148, 2, v42
	ds_store_b32 v2, v191 offset:1024
	ds_store_b32 v37, v195 offset:1024
	;; [unrolled: 1-line block ×4, first 2 shown]
	s_waitcnt lgkmcnt(0)
	s_barrier
	buffer_gl0_inv
	s_and_saveexec_b32 s17, vcc_lo
	s_cbranch_execz .LBB608_486
; %bb.471:                              ;   in Loop: Header=BB608_392 Depth=2
	v_add_nc_u32_e32 v2, v70, v72
	ds_load_b32 v148, v2 offset:1024
	s_waitcnt lgkmcnt(0)
	v_lshrrev_b32_e32 v2, s38, v148
	s_delay_alu instid0(VALU_DEP_1) | instskip(NEXT) | instid1(VALU_DEP_1)
	v_and_b32_e32 v2, s39, v2
	v_lshlrev_b32_e32 v2, 2, v2
	ds_load_b32 v2, v2
	s_waitcnt lgkmcnt(0)
	v_add_nc_u32_e32 v2, v2, v1
	s_delay_alu instid0(VALU_DEP_1) | instskip(SKIP_1) | instid1(VALU_DEP_2)
	v_lshlrev_b64 v[36:37], 2, v[2:3]
	v_xor_b32_e32 v2, 0x80000000, v148
	v_add_co_u32 v36, s16, s48, v36
	s_delay_alu instid0(VALU_DEP_1) | instskip(SKIP_3) | instid1(VALU_DEP_1)
	v_add_co_ci_u32_e64 v37, s16, s49, v37, s16
	global_store_b32 v[36:37], v2, off
	s_or_b32 exec_lo, exec_lo, s17
	v_cmp_lt_u32_e64 s16, v45, v147
	s_and_saveexec_b32 s18, s16
	s_cbranch_execnz .LBB608_487
.LBB608_472:                            ;   in Loop: Header=BB608_392 Depth=2
	s_or_b32 exec_lo, exec_lo, s18
	v_cmp_lt_u32_e64 s17, v46, v147
	s_delay_alu instid0(VALU_DEP_1)
	s_and_saveexec_b32 s19, s17
	s_cbranch_execz .LBB608_488
.LBB608_473:                            ;   in Loop: Header=BB608_392 Depth=2
	ds_load_b32 v148, v78 offset:2048
	s_waitcnt lgkmcnt(0)
	v_lshrrev_b32_e32 v2, s38, v148
	s_delay_alu instid0(VALU_DEP_1) | instskip(NEXT) | instid1(VALU_DEP_1)
	v_and_b32_e32 v2, s39, v2
	v_lshlrev_b32_e32 v2, 2, v2
	ds_load_b32 v2, v2
	s_waitcnt lgkmcnt(0)
	v_add_nc_u32_e32 v2, v2, v46
	s_delay_alu instid0(VALU_DEP_1) | instskip(SKIP_1) | instid1(VALU_DEP_2)
	v_lshlrev_b64 v[36:37], 2, v[2:3]
	v_xor_b32_e32 v2, 0x80000000, v148
	v_add_co_u32 v36, s18, s48, v36
	s_delay_alu instid0(VALU_DEP_1) | instskip(SKIP_3) | instid1(VALU_DEP_1)
	v_add_co_ci_u32_e64 v37, s18, s49, v37, s18
	global_store_b32 v[36:37], v2, off
	s_or_b32 exec_lo, exec_lo, s19
	v_cmp_lt_u32_e64 s18, v47, v147
	s_and_saveexec_b32 s20, s18
	s_cbranch_execnz .LBB608_489
.LBB608_474:                            ;   in Loop: Header=BB608_392 Depth=2
	s_or_b32 exec_lo, exec_lo, s20
	v_cmp_lt_u32_e64 s19, v51, v147
	s_delay_alu instid0(VALU_DEP_1)
	s_and_saveexec_b32 s21, s19
	s_cbranch_execz .LBB608_490
.LBB608_475:                            ;   in Loop: Header=BB608_392 Depth=2
	ds_load_b32 v148, v78 offset:4096
	s_waitcnt lgkmcnt(0)
	v_lshrrev_b32_e32 v2, s38, v148
	s_delay_alu instid0(VALU_DEP_1) | instskip(NEXT) | instid1(VALU_DEP_1)
	v_and_b32_e32 v2, s39, v2
	v_lshlrev_b32_e32 v2, 2, v2
	ds_load_b32 v2, v2
	s_waitcnt lgkmcnt(0)
	v_add_nc_u32_e32 v2, v2, v51
	s_delay_alu instid0(VALU_DEP_1) | instskip(SKIP_1) | instid1(VALU_DEP_2)
	v_lshlrev_b64 v[36:37], 2, v[2:3]
	v_xor_b32_e32 v2, 0x80000000, v148
	v_add_co_u32 v36, s20, s48, v36
	s_delay_alu instid0(VALU_DEP_1) | instskip(SKIP_3) | instid1(VALU_DEP_1)
	v_add_co_ci_u32_e64 v37, s20, s49, v37, s20
	global_store_b32 v[36:37], v2, off
	s_or_b32 exec_lo, exec_lo, s21
	v_cmp_lt_u32_e64 s20, v52, v147
	s_and_saveexec_b32 s22, s20
	s_cbranch_execnz .LBB608_491
.LBB608_476:                            ;   in Loop: Header=BB608_392 Depth=2
	s_or_b32 exec_lo, exec_lo, s22
	v_cmp_lt_u32_e64 s21, v53, v147
	s_delay_alu instid0(VALU_DEP_1)
	s_and_saveexec_b32 s23, s21
	s_cbranch_execz .LBB608_492
.LBB608_477:                            ;   in Loop: Header=BB608_392 Depth=2
	ds_load_b32 v148, v78 offset:6144
	s_waitcnt lgkmcnt(0)
	v_lshrrev_b32_e32 v2, s38, v148
	s_delay_alu instid0(VALU_DEP_1) | instskip(NEXT) | instid1(VALU_DEP_1)
	v_and_b32_e32 v2, s39, v2
	v_lshlrev_b32_e32 v2, 2, v2
	ds_load_b32 v2, v2
	s_waitcnt lgkmcnt(0)
	v_add_nc_u32_e32 v2, v2, v53
	s_delay_alu instid0(VALU_DEP_1) | instskip(SKIP_1) | instid1(VALU_DEP_2)
	v_lshlrev_b64 v[36:37], 2, v[2:3]
	v_xor_b32_e32 v2, 0x80000000, v148
	v_add_co_u32 v36, s22, s48, v36
	s_delay_alu instid0(VALU_DEP_1) | instskip(SKIP_3) | instid1(VALU_DEP_1)
	v_add_co_ci_u32_e64 v37, s22, s49, v37, s22
	global_store_b32 v[36:37], v2, off
	s_or_b32 exec_lo, exec_lo, s23
	v_cmp_lt_u32_e64 s22, v54, v147
	s_and_saveexec_b32 s24, s22
	s_cbranch_execnz .LBB608_493
.LBB608_478:                            ;   in Loop: Header=BB608_392 Depth=2
	s_or_b32 exec_lo, exec_lo, s24
	v_cmp_lt_u32_e64 s23, v55, v147
	s_delay_alu instid0(VALU_DEP_1)
	s_and_saveexec_b32 s25, s23
	s_cbranch_execz .LBB608_494
.LBB608_479:                            ;   in Loop: Header=BB608_392 Depth=2
	ds_load_b32 v148, v78 offset:8192
	s_waitcnt lgkmcnt(0)
	v_lshrrev_b32_e32 v2, s38, v148
	s_delay_alu instid0(VALU_DEP_1) | instskip(NEXT) | instid1(VALU_DEP_1)
	v_and_b32_e32 v2, s39, v2
	v_lshlrev_b32_e32 v2, 2, v2
	ds_load_b32 v2, v2
	s_waitcnt lgkmcnt(0)
	v_add_nc_u32_e32 v2, v2, v55
	s_delay_alu instid0(VALU_DEP_1) | instskip(SKIP_1) | instid1(VALU_DEP_2)
	v_lshlrev_b64 v[36:37], 2, v[2:3]
	v_xor_b32_e32 v2, 0x80000000, v148
	v_add_co_u32 v36, s24, s48, v36
	s_delay_alu instid0(VALU_DEP_1) | instskip(SKIP_3) | instid1(VALU_DEP_1)
	v_add_co_ci_u32_e64 v37, s24, s49, v37, s24
	global_store_b32 v[36:37], v2, off
	s_or_b32 exec_lo, exec_lo, s25
	v_cmp_lt_u32_e64 s24, v56, v147
	s_and_saveexec_b32 s27, s24
	s_cbranch_execnz .LBB608_495
.LBB608_480:                            ;   in Loop: Header=BB608_392 Depth=2
	s_or_b32 exec_lo, exec_lo, s27
	v_cmp_lt_u32_e64 s25, v57, v147
	s_delay_alu instid0(VALU_DEP_1)
	s_and_saveexec_b32 s28, s25
	s_cbranch_execz .LBB608_496
.LBB608_481:                            ;   in Loop: Header=BB608_392 Depth=2
	ds_load_b32 v148, v78 offset:10240
	s_waitcnt lgkmcnt(0)
	v_lshrrev_b32_e32 v2, s38, v148
	s_delay_alu instid0(VALU_DEP_1) | instskip(NEXT) | instid1(VALU_DEP_1)
	v_and_b32_e32 v2, s39, v2
	v_lshlrev_b32_e32 v2, 2, v2
	ds_load_b32 v2, v2
	s_waitcnt lgkmcnt(0)
	v_add_nc_u32_e32 v2, v2, v57
	s_delay_alu instid0(VALU_DEP_1) | instskip(SKIP_1) | instid1(VALU_DEP_2)
	v_lshlrev_b64 v[36:37], 2, v[2:3]
	v_xor_b32_e32 v2, 0x80000000, v148
	v_add_co_u32 v36, s27, s48, v36
	s_delay_alu instid0(VALU_DEP_1) | instskip(SKIP_3) | instid1(VALU_DEP_1)
	v_add_co_ci_u32_e64 v37, s27, s49, v37, s27
	global_store_b32 v[36:37], v2, off
	s_or_b32 exec_lo, exec_lo, s28
	v_cmp_lt_u32_e64 s27, v58, v147
	s_and_saveexec_b32 s29, s27
	s_cbranch_execnz .LBB608_497
.LBB608_482:                            ;   in Loop: Header=BB608_392 Depth=2
	s_or_b32 exec_lo, exec_lo, s29
	v_cmp_lt_u32_e64 s28, v59, v147
	s_delay_alu instid0(VALU_DEP_1)
	s_and_saveexec_b32 s30, s28
	s_cbranch_execz .LBB608_498
.LBB608_483:                            ;   in Loop: Header=BB608_392 Depth=2
	ds_load_b32 v148, v78 offset:12288
	s_waitcnt lgkmcnt(0)
	v_lshrrev_b32_e32 v2, s38, v148
	s_delay_alu instid0(VALU_DEP_1) | instskip(NEXT) | instid1(VALU_DEP_1)
	v_and_b32_e32 v2, s39, v2
	v_lshlrev_b32_e32 v2, 2, v2
	ds_load_b32 v2, v2
	s_waitcnt lgkmcnt(0)
	v_add_nc_u32_e32 v2, v2, v59
	s_delay_alu instid0(VALU_DEP_1) | instskip(SKIP_1) | instid1(VALU_DEP_2)
	v_lshlrev_b64 v[36:37], 2, v[2:3]
	v_xor_b32_e32 v2, 0x80000000, v148
	v_add_co_u32 v36, s29, s48, v36
	s_delay_alu instid0(VALU_DEP_1) | instskip(SKIP_3) | instid1(VALU_DEP_1)
	v_add_co_ci_u32_e64 v37, s29, s49, v37, s29
	global_store_b32 v[36:37], v2, off
	s_or_b32 exec_lo, exec_lo, s30
	v_cmp_lt_u32_e64 s29, v60, v147
	s_and_saveexec_b32 s31, s29
	s_cbranch_execnz .LBB608_499
.LBB608_484:                            ;   in Loop: Header=BB608_392 Depth=2
	s_or_b32 exec_lo, exec_lo, s31
	v_cmp_lt_u32_e64 s30, v61, v147
	s_delay_alu instid0(VALU_DEP_1)
	s_and_saveexec_b32 s33, s30
	s_cbranch_execz .LBB608_500
.LBB608_485:                            ;   in Loop: Header=BB608_392 Depth=2
	ds_load_b32 v148, v78 offset:14336
	s_waitcnt lgkmcnt(0)
	v_lshrrev_b32_e32 v2, s38, v148
	s_delay_alu instid0(VALU_DEP_1) | instskip(NEXT) | instid1(VALU_DEP_1)
	v_and_b32_e32 v2, s39, v2
	v_lshlrev_b32_e32 v2, 2, v2
	ds_load_b32 v2, v2
	s_waitcnt lgkmcnt(0)
	v_add_nc_u32_e32 v2, v2, v61
	s_delay_alu instid0(VALU_DEP_1) | instskip(SKIP_1) | instid1(VALU_DEP_2)
	v_lshlrev_b64 v[36:37], 2, v[2:3]
	v_xor_b32_e32 v2, 0x80000000, v148
	v_add_co_u32 v36, s31, s48, v36
	s_delay_alu instid0(VALU_DEP_1) | instskip(SKIP_3) | instid1(VALU_DEP_1)
	v_add_co_ci_u32_e64 v37, s31, s49, v37, s31
	global_store_b32 v[36:37], v2, off
	s_or_b32 exec_lo, exec_lo, s33
	v_cmp_lt_u32_e64 s31, v63, v147
	s_and_saveexec_b32 s42, s31
	s_cbranch_execnz .LBB608_501
	s_branch .LBB608_502
.LBB608_486:                            ;   in Loop: Header=BB608_392 Depth=2
	s_or_b32 exec_lo, exec_lo, s17
	v_cmp_lt_u32_e64 s16, v45, v147
	s_delay_alu instid0(VALU_DEP_1)
	s_and_saveexec_b32 s18, s16
	s_cbranch_execz .LBB608_472
.LBB608_487:                            ;   in Loop: Header=BB608_392 Depth=2
	ds_load_b32 v148, v78 offset:1024
	s_waitcnt lgkmcnt(0)
	v_lshrrev_b32_e32 v2, s38, v148
	s_delay_alu instid0(VALU_DEP_1) | instskip(NEXT) | instid1(VALU_DEP_1)
	v_and_b32_e32 v2, s39, v2
	v_lshlrev_b32_e32 v2, 2, v2
	ds_load_b32 v2, v2
	s_waitcnt lgkmcnt(0)
	v_add_nc_u32_e32 v2, v2, v45
	s_delay_alu instid0(VALU_DEP_1) | instskip(SKIP_1) | instid1(VALU_DEP_2)
	v_lshlrev_b64 v[36:37], 2, v[2:3]
	v_xor_b32_e32 v2, 0x80000000, v148
	v_add_co_u32 v36, s17, s48, v36
	s_delay_alu instid0(VALU_DEP_1) | instskip(SKIP_3) | instid1(VALU_DEP_1)
	v_add_co_ci_u32_e64 v37, s17, s49, v37, s17
	global_store_b32 v[36:37], v2, off
	s_or_b32 exec_lo, exec_lo, s18
	v_cmp_lt_u32_e64 s17, v46, v147
	s_and_saveexec_b32 s19, s17
	s_cbranch_execnz .LBB608_473
.LBB608_488:                            ;   in Loop: Header=BB608_392 Depth=2
	s_or_b32 exec_lo, exec_lo, s19
	v_cmp_lt_u32_e64 s18, v47, v147
	s_delay_alu instid0(VALU_DEP_1)
	s_and_saveexec_b32 s20, s18
	s_cbranch_execz .LBB608_474
.LBB608_489:                            ;   in Loop: Header=BB608_392 Depth=2
	ds_load_b32 v148, v78 offset:3072
	s_waitcnt lgkmcnt(0)
	v_lshrrev_b32_e32 v2, s38, v148
	s_delay_alu instid0(VALU_DEP_1) | instskip(NEXT) | instid1(VALU_DEP_1)
	v_and_b32_e32 v2, s39, v2
	v_lshlrev_b32_e32 v2, 2, v2
	ds_load_b32 v2, v2
	s_waitcnt lgkmcnt(0)
	v_add_nc_u32_e32 v2, v2, v47
	s_delay_alu instid0(VALU_DEP_1) | instskip(SKIP_1) | instid1(VALU_DEP_2)
	v_lshlrev_b64 v[36:37], 2, v[2:3]
	v_xor_b32_e32 v2, 0x80000000, v148
	v_add_co_u32 v36, s19, s48, v36
	s_delay_alu instid0(VALU_DEP_1) | instskip(SKIP_3) | instid1(VALU_DEP_1)
	v_add_co_ci_u32_e64 v37, s19, s49, v37, s19
	global_store_b32 v[36:37], v2, off
	s_or_b32 exec_lo, exec_lo, s20
	v_cmp_lt_u32_e64 s19, v51, v147
	s_and_saveexec_b32 s21, s19
	s_cbranch_execnz .LBB608_475
.LBB608_490:                            ;   in Loop: Header=BB608_392 Depth=2
	s_or_b32 exec_lo, exec_lo, s21
	v_cmp_lt_u32_e64 s20, v52, v147
	s_delay_alu instid0(VALU_DEP_1)
	s_and_saveexec_b32 s22, s20
	s_cbranch_execz .LBB608_476
.LBB608_491:                            ;   in Loop: Header=BB608_392 Depth=2
	ds_load_b32 v148, v78 offset:5120
	s_waitcnt lgkmcnt(0)
	v_lshrrev_b32_e32 v2, s38, v148
	s_delay_alu instid0(VALU_DEP_1) | instskip(NEXT) | instid1(VALU_DEP_1)
	v_and_b32_e32 v2, s39, v2
	v_lshlrev_b32_e32 v2, 2, v2
	ds_load_b32 v2, v2
	s_waitcnt lgkmcnt(0)
	v_add_nc_u32_e32 v2, v2, v52
	s_delay_alu instid0(VALU_DEP_1) | instskip(SKIP_1) | instid1(VALU_DEP_2)
	v_lshlrev_b64 v[36:37], 2, v[2:3]
	v_xor_b32_e32 v2, 0x80000000, v148
	v_add_co_u32 v36, s21, s48, v36
	s_delay_alu instid0(VALU_DEP_1) | instskip(SKIP_3) | instid1(VALU_DEP_1)
	v_add_co_ci_u32_e64 v37, s21, s49, v37, s21
	global_store_b32 v[36:37], v2, off
	s_or_b32 exec_lo, exec_lo, s22
	v_cmp_lt_u32_e64 s21, v53, v147
	s_and_saveexec_b32 s23, s21
	s_cbranch_execnz .LBB608_477
.LBB608_492:                            ;   in Loop: Header=BB608_392 Depth=2
	s_or_b32 exec_lo, exec_lo, s23
	v_cmp_lt_u32_e64 s22, v54, v147
	s_delay_alu instid0(VALU_DEP_1)
	s_and_saveexec_b32 s24, s22
	s_cbranch_execz .LBB608_478
.LBB608_493:                            ;   in Loop: Header=BB608_392 Depth=2
	ds_load_b32 v148, v78 offset:7168
	s_waitcnt lgkmcnt(0)
	v_lshrrev_b32_e32 v2, s38, v148
	s_delay_alu instid0(VALU_DEP_1) | instskip(NEXT) | instid1(VALU_DEP_1)
	v_and_b32_e32 v2, s39, v2
	v_lshlrev_b32_e32 v2, 2, v2
	ds_load_b32 v2, v2
	s_waitcnt lgkmcnt(0)
	v_add_nc_u32_e32 v2, v2, v54
	s_delay_alu instid0(VALU_DEP_1) | instskip(SKIP_1) | instid1(VALU_DEP_2)
	v_lshlrev_b64 v[36:37], 2, v[2:3]
	v_xor_b32_e32 v2, 0x80000000, v148
	v_add_co_u32 v36, s23, s48, v36
	s_delay_alu instid0(VALU_DEP_1) | instskip(SKIP_3) | instid1(VALU_DEP_1)
	v_add_co_ci_u32_e64 v37, s23, s49, v37, s23
	global_store_b32 v[36:37], v2, off
	s_or_b32 exec_lo, exec_lo, s24
	v_cmp_lt_u32_e64 s23, v55, v147
	s_and_saveexec_b32 s25, s23
	s_cbranch_execnz .LBB608_479
.LBB608_494:                            ;   in Loop: Header=BB608_392 Depth=2
	s_or_b32 exec_lo, exec_lo, s25
	v_cmp_lt_u32_e64 s24, v56, v147
	s_delay_alu instid0(VALU_DEP_1)
	s_and_saveexec_b32 s27, s24
	s_cbranch_execz .LBB608_480
.LBB608_495:                            ;   in Loop: Header=BB608_392 Depth=2
	ds_load_b32 v148, v78 offset:9216
	s_waitcnt lgkmcnt(0)
	v_lshrrev_b32_e32 v2, s38, v148
	s_delay_alu instid0(VALU_DEP_1) | instskip(NEXT) | instid1(VALU_DEP_1)
	v_and_b32_e32 v2, s39, v2
	v_lshlrev_b32_e32 v2, 2, v2
	ds_load_b32 v2, v2
	s_waitcnt lgkmcnt(0)
	v_add_nc_u32_e32 v2, v2, v56
	s_delay_alu instid0(VALU_DEP_1) | instskip(SKIP_1) | instid1(VALU_DEP_2)
	v_lshlrev_b64 v[36:37], 2, v[2:3]
	v_xor_b32_e32 v2, 0x80000000, v148
	v_add_co_u32 v36, s25, s48, v36
	s_delay_alu instid0(VALU_DEP_1) | instskip(SKIP_3) | instid1(VALU_DEP_1)
	v_add_co_ci_u32_e64 v37, s25, s49, v37, s25
	global_store_b32 v[36:37], v2, off
	s_or_b32 exec_lo, exec_lo, s27
	v_cmp_lt_u32_e64 s25, v57, v147
	s_and_saveexec_b32 s28, s25
	s_cbranch_execnz .LBB608_481
.LBB608_496:                            ;   in Loop: Header=BB608_392 Depth=2
	s_or_b32 exec_lo, exec_lo, s28
	v_cmp_lt_u32_e64 s27, v58, v147
	s_delay_alu instid0(VALU_DEP_1)
	s_and_saveexec_b32 s29, s27
	s_cbranch_execz .LBB608_482
.LBB608_497:                            ;   in Loop: Header=BB608_392 Depth=2
	ds_load_b32 v148, v78 offset:11264
	s_waitcnt lgkmcnt(0)
	v_lshrrev_b32_e32 v2, s38, v148
	s_delay_alu instid0(VALU_DEP_1) | instskip(NEXT) | instid1(VALU_DEP_1)
	v_and_b32_e32 v2, s39, v2
	v_lshlrev_b32_e32 v2, 2, v2
	ds_load_b32 v2, v2
	s_waitcnt lgkmcnt(0)
	v_add_nc_u32_e32 v2, v2, v58
	s_delay_alu instid0(VALU_DEP_1) | instskip(SKIP_1) | instid1(VALU_DEP_2)
	v_lshlrev_b64 v[36:37], 2, v[2:3]
	v_xor_b32_e32 v2, 0x80000000, v148
	v_add_co_u32 v36, s28, s48, v36
	s_delay_alu instid0(VALU_DEP_1) | instskip(SKIP_3) | instid1(VALU_DEP_1)
	v_add_co_ci_u32_e64 v37, s28, s49, v37, s28
	global_store_b32 v[36:37], v2, off
	s_or_b32 exec_lo, exec_lo, s29
	v_cmp_lt_u32_e64 s28, v59, v147
	s_and_saveexec_b32 s30, s28
	s_cbranch_execnz .LBB608_483
.LBB608_498:                            ;   in Loop: Header=BB608_392 Depth=2
	s_or_b32 exec_lo, exec_lo, s30
	v_cmp_lt_u32_e64 s29, v60, v147
	s_delay_alu instid0(VALU_DEP_1)
	s_and_saveexec_b32 s31, s29
	s_cbranch_execz .LBB608_484
.LBB608_499:                            ;   in Loop: Header=BB608_392 Depth=2
	ds_load_b32 v148, v78 offset:13312
	s_waitcnt lgkmcnt(0)
	v_lshrrev_b32_e32 v2, s38, v148
	s_delay_alu instid0(VALU_DEP_1) | instskip(NEXT) | instid1(VALU_DEP_1)
	v_and_b32_e32 v2, s39, v2
	v_lshlrev_b32_e32 v2, 2, v2
	ds_load_b32 v2, v2
	s_waitcnt lgkmcnt(0)
	v_add_nc_u32_e32 v2, v2, v60
	s_delay_alu instid0(VALU_DEP_1) | instskip(SKIP_1) | instid1(VALU_DEP_2)
	v_lshlrev_b64 v[36:37], 2, v[2:3]
	v_xor_b32_e32 v2, 0x80000000, v148
	v_add_co_u32 v36, s30, s48, v36
	s_delay_alu instid0(VALU_DEP_1) | instskip(SKIP_3) | instid1(VALU_DEP_1)
	v_add_co_ci_u32_e64 v37, s30, s49, v37, s30
	global_store_b32 v[36:37], v2, off
	s_or_b32 exec_lo, exec_lo, s31
	v_cmp_lt_u32_e64 s30, v61, v147
	s_and_saveexec_b32 s33, s30
	s_cbranch_execnz .LBB608_485
.LBB608_500:                            ;   in Loop: Header=BB608_392 Depth=2
	s_or_b32 exec_lo, exec_lo, s33
	v_cmp_lt_u32_e64 s31, v63, v147
	s_delay_alu instid0(VALU_DEP_1)
	s_and_saveexec_b32 s42, s31
	s_cbranch_execz .LBB608_502
.LBB608_501:                            ;   in Loop: Header=BB608_392 Depth=2
	ds_load_b32 v148, v78 offset:15360
	s_waitcnt lgkmcnt(0)
	v_lshrrev_b32_e32 v2, s38, v148
	s_delay_alu instid0(VALU_DEP_1) | instskip(NEXT) | instid1(VALU_DEP_1)
	v_and_b32_e32 v2, s39, v2
	v_lshlrev_b32_e32 v2, 2, v2
	ds_load_b32 v2, v2
	s_waitcnt lgkmcnt(0)
	v_add_nc_u32_e32 v2, v2, v63
	s_delay_alu instid0(VALU_DEP_1) | instskip(SKIP_1) | instid1(VALU_DEP_2)
	v_lshlrev_b64 v[36:37], 2, v[2:3]
	v_xor_b32_e32 v2, 0x80000000, v148
	v_add_co_u32 v36, s33, s48, v36
	s_delay_alu instid0(VALU_DEP_1)
	v_add_co_ci_u32_e64 v37, s33, s49, v37, s33
	global_store_b32 v[36:37], v2, off
.LBB608_502:                            ;   in Loop: Header=BB608_392 Depth=2
	s_or_b32 exec_lo, exec_lo, s42
	s_lshl_b64 s[42:43], s[34:35], 3
	s_delay_alu instid0(SALU_CYCLE_1) | instskip(NEXT) | instid1(VALU_DEP_1)
	v_add_co_u32 v36, s33, v109, s42
	v_add_co_ci_u32_e64 v37, s33, s43, v110, s33
	v_cmp_lt_u32_e64 s33, v108, v147
	s_delay_alu instid0(VALU_DEP_1) | instskip(NEXT) | instid1(SALU_CYCLE_1)
	s_and_saveexec_b32 s34, s33
	s_xor_b32 s33, exec_lo, s34
	s_cbranch_execz .LBB608_534
; %bb.503:                              ;   in Loop: Header=BB608_392 Depth=2
	global_load_b64 v[34:35], v[36:37], off
	s_or_b32 exec_lo, exec_lo, s33
	s_delay_alu instid0(SALU_CYCLE_1)
	s_mov_b32 s34, exec_lo
	v_cmpx_lt_u32_e64 v111, v147
	s_cbranch_execnz .LBB608_535
.LBB608_504:                            ;   in Loop: Header=BB608_392 Depth=2
	s_or_b32 exec_lo, exec_lo, s34
	s_delay_alu instid0(SALU_CYCLE_1)
	s_mov_b32 s34, exec_lo
	v_cmpx_lt_u32_e64 v112, v147
	s_cbranch_execz .LBB608_536
.LBB608_505:                            ;   in Loop: Header=BB608_392 Depth=2
	global_load_b64 v[30:31], v[36:37], off offset:512
	s_or_b32 exec_lo, exec_lo, s34
	s_delay_alu instid0(SALU_CYCLE_1)
	s_mov_b32 s34, exec_lo
	v_cmpx_lt_u32_e64 v113, v147
	s_cbranch_execnz .LBB608_537
.LBB608_506:                            ;   in Loop: Header=BB608_392 Depth=2
	s_or_b32 exec_lo, exec_lo, s34
	s_delay_alu instid0(SALU_CYCLE_1)
	s_mov_b32 s34, exec_lo
	v_cmpx_lt_u32_e64 v114, v147
	s_cbranch_execz .LBB608_538
.LBB608_507:                            ;   in Loop: Header=BB608_392 Depth=2
	global_load_b64 v[26:27], v[36:37], off offset:1024
	s_or_b32 exec_lo, exec_lo, s34
	s_delay_alu instid0(SALU_CYCLE_1)
	s_mov_b32 s34, exec_lo
	v_cmpx_lt_u32_e64 v115, v147
	s_cbranch_execnz .LBB608_539
.LBB608_508:                            ;   in Loop: Header=BB608_392 Depth=2
	s_or_b32 exec_lo, exec_lo, s34
	s_delay_alu instid0(SALU_CYCLE_1)
	s_mov_b32 s34, exec_lo
	v_cmpx_lt_u32_e64 v116, v147
	s_cbranch_execz .LBB608_540
.LBB608_509:                            ;   in Loop: Header=BB608_392 Depth=2
	global_load_b64 v[22:23], v[36:37], off offset:1536
	s_or_b32 exec_lo, exec_lo, s34
	s_delay_alu instid0(SALU_CYCLE_1)
	s_mov_b32 s34, exec_lo
	v_cmpx_lt_u32_e64 v117, v147
	s_cbranch_execnz .LBB608_541
.LBB608_510:                            ;   in Loop: Header=BB608_392 Depth=2
	s_or_b32 exec_lo, exec_lo, s34
	s_delay_alu instid0(SALU_CYCLE_1)
	s_mov_b32 s34, exec_lo
	v_cmpx_lt_u32_e64 v118, v147
	s_cbranch_execz .LBB608_542
.LBB608_511:                            ;   in Loop: Header=BB608_392 Depth=2
	global_load_b64 v[18:19], v[36:37], off offset:2048
	s_or_b32 exec_lo, exec_lo, s34
	s_delay_alu instid0(SALU_CYCLE_1)
	s_mov_b32 s34, exec_lo
	v_cmpx_lt_u32_e64 v119, v147
	s_cbranch_execnz .LBB608_543
.LBB608_512:                            ;   in Loop: Header=BB608_392 Depth=2
	s_or_b32 exec_lo, exec_lo, s34
	s_delay_alu instid0(SALU_CYCLE_1)
	s_mov_b32 s34, exec_lo
	v_cmpx_lt_u32_e64 v120, v147
	s_cbranch_execz .LBB608_544
.LBB608_513:                            ;   in Loop: Header=BB608_392 Depth=2
	global_load_b64 v[14:15], v[36:37], off offset:2560
	s_or_b32 exec_lo, exec_lo, s34
	s_delay_alu instid0(SALU_CYCLE_1)
	s_mov_b32 s34, exec_lo
	v_cmpx_lt_u32_e64 v121, v147
	s_cbranch_execnz .LBB608_545
.LBB608_514:                            ;   in Loop: Header=BB608_392 Depth=2
	s_or_b32 exec_lo, exec_lo, s34
	s_delay_alu instid0(SALU_CYCLE_1)
	s_mov_b32 s34, exec_lo
	v_cmpx_lt_u32_e64 v122, v147
	s_cbranch_execz .LBB608_546
.LBB608_515:                            ;   in Loop: Header=BB608_392 Depth=2
	global_load_b64 v[10:11], v[36:37], off offset:3072
	s_or_b32 exec_lo, exec_lo, s34
	s_delay_alu instid0(SALU_CYCLE_1)
	s_mov_b32 s34, exec_lo
	v_cmpx_lt_u32_e64 v123, v147
	s_cbranch_execnz .LBB608_547
.LBB608_516:                            ;   in Loop: Header=BB608_392 Depth=2
	s_or_b32 exec_lo, exec_lo, s34
	s_delay_alu instid0(SALU_CYCLE_1)
	s_mov_b32 s34, exec_lo
	v_cmpx_lt_u32_e64 v124, v147
	s_cbranch_execz .LBB608_548
.LBB608_517:                            ;   in Loop: Header=BB608_392 Depth=2
	global_load_b64 v[6:7], v[36:37], off offset:3584
	s_or_b32 exec_lo, exec_lo, s34
	s_delay_alu instid0(SALU_CYCLE_1)
	s_mov_b32 s34, exec_lo
	v_cmpx_lt_u32_e64 v125, v147
	s_cbranch_execnz .LBB608_549
.LBB608_518:                            ;   in Loop: Header=BB608_392 Depth=2
	s_or_b32 exec_lo, exec_lo, s34
	s_and_saveexec_b32 s33, vcc_lo
	s_cbranch_execz .LBB608_550
.LBB608_519:                            ;   in Loop: Header=BB608_392 Depth=2
	v_add_nc_u32_e32 v2, v70, v72
	ds_load_b32 v2, v2 offset:1024
	s_waitcnt lgkmcnt(0)
	v_lshrrev_b32_e32 v2, s38, v2
	s_delay_alu instid0(VALU_DEP_1)
	v_and_b32_e32 v146, s39, v2
	s_or_b32 exec_lo, exec_lo, s33
	s_and_saveexec_b32 s33, s16
	s_cbranch_execnz .LBB608_551
.LBB608_520:                            ;   in Loop: Header=BB608_392 Depth=2
	s_or_b32 exec_lo, exec_lo, s33
	s_and_saveexec_b32 s33, s17
	s_cbranch_execz .LBB608_552
.LBB608_521:                            ;   in Loop: Header=BB608_392 Depth=2
	ds_load_b32 v2, v78 offset:2048
	s_waitcnt lgkmcnt(0)
	v_lshrrev_b32_e32 v2, s38, v2
	s_delay_alu instid0(VALU_DEP_1)
	v_and_b32_e32 v144, s39, v2
	s_or_b32 exec_lo, exec_lo, s33
	s_and_saveexec_b32 s33, s18
	s_cbranch_execnz .LBB608_553
.LBB608_522:                            ;   in Loop: Header=BB608_392 Depth=2
	s_or_b32 exec_lo, exec_lo, s33
	s_and_saveexec_b32 s33, s19
	s_cbranch_execz .LBB608_554
.LBB608_523:                            ;   in Loop: Header=BB608_392 Depth=2
	ds_load_b32 v2, v78 offset:4096
	s_waitcnt lgkmcnt(0)
	v_lshrrev_b32_e32 v2, s38, v2
	s_delay_alu instid0(VALU_DEP_1)
	v_and_b32_e32 v142, s39, v2
	s_or_b32 exec_lo, exec_lo, s33
	s_and_saveexec_b32 s33, s20
	s_cbranch_execnz .LBB608_555
.LBB608_524:                            ;   in Loop: Header=BB608_392 Depth=2
	s_or_b32 exec_lo, exec_lo, s33
	s_and_saveexec_b32 s33, s21
	s_cbranch_execz .LBB608_556
.LBB608_525:                            ;   in Loop: Header=BB608_392 Depth=2
	ds_load_b32 v2, v78 offset:6144
	s_waitcnt lgkmcnt(0)
	v_lshrrev_b32_e32 v2, s38, v2
	s_delay_alu instid0(VALU_DEP_1)
	v_and_b32_e32 v140, s39, v2
	s_or_b32 exec_lo, exec_lo, s33
	s_and_saveexec_b32 s33, s22
	s_cbranch_execnz .LBB608_557
.LBB608_526:                            ;   in Loop: Header=BB608_392 Depth=2
	s_or_b32 exec_lo, exec_lo, s33
	s_and_saveexec_b32 s33, s23
	s_cbranch_execz .LBB608_558
.LBB608_527:                            ;   in Loop: Header=BB608_392 Depth=2
	ds_load_b32 v2, v78 offset:8192
	s_waitcnt lgkmcnt(0)
	v_lshrrev_b32_e32 v2, s38, v2
	s_delay_alu instid0(VALU_DEP_1)
	v_and_b32_e32 v138, s39, v2
	s_or_b32 exec_lo, exec_lo, s33
	s_and_saveexec_b32 s33, s24
	s_cbranch_execnz .LBB608_559
.LBB608_528:                            ;   in Loop: Header=BB608_392 Depth=2
	s_or_b32 exec_lo, exec_lo, s33
	s_and_saveexec_b32 s33, s25
	s_cbranch_execz .LBB608_560
.LBB608_529:                            ;   in Loop: Header=BB608_392 Depth=2
	ds_load_b32 v2, v78 offset:10240
	s_waitcnt lgkmcnt(0)
	v_lshrrev_b32_e32 v2, s38, v2
	s_delay_alu instid0(VALU_DEP_1)
	v_and_b32_e32 v136, s39, v2
	s_or_b32 exec_lo, exec_lo, s33
	s_and_saveexec_b32 s33, s27
	s_cbranch_execnz .LBB608_561
.LBB608_530:                            ;   in Loop: Header=BB608_392 Depth=2
	s_or_b32 exec_lo, exec_lo, s33
	s_and_saveexec_b32 s33, s28
	s_cbranch_execz .LBB608_562
.LBB608_531:                            ;   in Loop: Header=BB608_392 Depth=2
	ds_load_b32 v2, v78 offset:12288
	s_waitcnt lgkmcnt(0)
	v_lshrrev_b32_e32 v2, s38, v2
	s_delay_alu instid0(VALU_DEP_1)
	v_and_b32_e32 v134, s39, v2
	s_or_b32 exec_lo, exec_lo, s33
	s_and_saveexec_b32 s33, s29
	s_cbranch_execnz .LBB608_563
.LBB608_532:                            ;   in Loop: Header=BB608_392 Depth=2
	s_or_b32 exec_lo, exec_lo, s33
	s_and_saveexec_b32 s33, s30
	s_cbranch_execz .LBB608_564
.LBB608_533:                            ;   in Loop: Header=BB608_392 Depth=2
	ds_load_b32 v2, v78 offset:14336
	s_waitcnt lgkmcnt(0)
	v_lshrrev_b32_e32 v2, s38, v2
	s_delay_alu instid0(VALU_DEP_1)
	v_and_b32_e32 v132, s39, v2
	s_or_b32 exec_lo, exec_lo, s33
	s_and_saveexec_b32 s33, s31
	s_cbranch_execnz .LBB608_565
	s_branch .LBB608_566
.LBB608_534:                            ;   in Loop: Header=BB608_392 Depth=2
	s_or_b32 exec_lo, exec_lo, s33
	s_delay_alu instid0(SALU_CYCLE_1)
	s_mov_b32 s34, exec_lo
	v_cmpx_lt_u32_e64 v111, v147
	s_cbranch_execz .LBB608_504
.LBB608_535:                            ;   in Loop: Header=BB608_392 Depth=2
	global_load_b64 v[32:33], v[36:37], off offset:256
	s_or_b32 exec_lo, exec_lo, s34
	s_delay_alu instid0(SALU_CYCLE_1)
	s_mov_b32 s34, exec_lo
	v_cmpx_lt_u32_e64 v112, v147
	s_cbranch_execnz .LBB608_505
.LBB608_536:                            ;   in Loop: Header=BB608_392 Depth=2
	s_or_b32 exec_lo, exec_lo, s34
	s_delay_alu instid0(SALU_CYCLE_1)
	s_mov_b32 s34, exec_lo
	v_cmpx_lt_u32_e64 v113, v147
	s_cbranch_execz .LBB608_506
.LBB608_537:                            ;   in Loop: Header=BB608_392 Depth=2
	global_load_b64 v[28:29], v[36:37], off offset:768
	s_or_b32 exec_lo, exec_lo, s34
	s_delay_alu instid0(SALU_CYCLE_1)
	s_mov_b32 s34, exec_lo
	v_cmpx_lt_u32_e64 v114, v147
	s_cbranch_execnz .LBB608_507
.LBB608_538:                            ;   in Loop: Header=BB608_392 Depth=2
	s_or_b32 exec_lo, exec_lo, s34
	s_delay_alu instid0(SALU_CYCLE_1)
	s_mov_b32 s34, exec_lo
	v_cmpx_lt_u32_e64 v115, v147
	s_cbranch_execz .LBB608_508
.LBB608_539:                            ;   in Loop: Header=BB608_392 Depth=2
	global_load_b64 v[24:25], v[36:37], off offset:1280
	s_or_b32 exec_lo, exec_lo, s34
	s_delay_alu instid0(SALU_CYCLE_1)
	s_mov_b32 s34, exec_lo
	v_cmpx_lt_u32_e64 v116, v147
	s_cbranch_execnz .LBB608_509
.LBB608_540:                            ;   in Loop: Header=BB608_392 Depth=2
	s_or_b32 exec_lo, exec_lo, s34
	s_delay_alu instid0(SALU_CYCLE_1)
	s_mov_b32 s34, exec_lo
	v_cmpx_lt_u32_e64 v117, v147
	s_cbranch_execz .LBB608_510
.LBB608_541:                            ;   in Loop: Header=BB608_392 Depth=2
	global_load_b64 v[20:21], v[36:37], off offset:1792
	s_or_b32 exec_lo, exec_lo, s34
	s_delay_alu instid0(SALU_CYCLE_1)
	s_mov_b32 s34, exec_lo
	v_cmpx_lt_u32_e64 v118, v147
	s_cbranch_execnz .LBB608_511
.LBB608_542:                            ;   in Loop: Header=BB608_392 Depth=2
	s_or_b32 exec_lo, exec_lo, s34
	s_delay_alu instid0(SALU_CYCLE_1)
	s_mov_b32 s34, exec_lo
	v_cmpx_lt_u32_e64 v119, v147
	s_cbranch_execz .LBB608_512
.LBB608_543:                            ;   in Loop: Header=BB608_392 Depth=2
	global_load_b64 v[16:17], v[36:37], off offset:2304
	s_or_b32 exec_lo, exec_lo, s34
	s_delay_alu instid0(SALU_CYCLE_1)
	s_mov_b32 s34, exec_lo
	v_cmpx_lt_u32_e64 v120, v147
	s_cbranch_execnz .LBB608_513
.LBB608_544:                            ;   in Loop: Header=BB608_392 Depth=2
	s_or_b32 exec_lo, exec_lo, s34
	s_delay_alu instid0(SALU_CYCLE_1)
	s_mov_b32 s34, exec_lo
	v_cmpx_lt_u32_e64 v121, v147
	s_cbranch_execz .LBB608_514
.LBB608_545:                            ;   in Loop: Header=BB608_392 Depth=2
	global_load_b64 v[12:13], v[36:37], off offset:2816
	s_or_b32 exec_lo, exec_lo, s34
	s_delay_alu instid0(SALU_CYCLE_1)
	s_mov_b32 s34, exec_lo
	v_cmpx_lt_u32_e64 v122, v147
	s_cbranch_execnz .LBB608_515
.LBB608_546:                            ;   in Loop: Header=BB608_392 Depth=2
	s_or_b32 exec_lo, exec_lo, s34
	s_delay_alu instid0(SALU_CYCLE_1)
	s_mov_b32 s34, exec_lo
	v_cmpx_lt_u32_e64 v123, v147
	s_cbranch_execz .LBB608_516
.LBB608_547:                            ;   in Loop: Header=BB608_392 Depth=2
	global_load_b64 v[8:9], v[36:37], off offset:3328
	s_or_b32 exec_lo, exec_lo, s34
	s_delay_alu instid0(SALU_CYCLE_1)
	s_mov_b32 s34, exec_lo
	v_cmpx_lt_u32_e64 v124, v147
	s_cbranch_execnz .LBB608_517
.LBB608_548:                            ;   in Loop: Header=BB608_392 Depth=2
	s_or_b32 exec_lo, exec_lo, s34
	s_delay_alu instid0(SALU_CYCLE_1)
	s_mov_b32 s34, exec_lo
	v_cmpx_lt_u32_e64 v125, v147
	s_cbranch_execz .LBB608_518
.LBB608_549:                            ;   in Loop: Header=BB608_392 Depth=2
	global_load_b64 v[4:5], v[36:37], off offset:3840
	s_or_b32 exec_lo, exec_lo, s34
	s_and_saveexec_b32 s33, vcc_lo
	s_cbranch_execnz .LBB608_519
.LBB608_550:                            ;   in Loop: Header=BB608_392 Depth=2
	s_or_b32 exec_lo, exec_lo, s33
	s_and_saveexec_b32 s33, s16
	s_cbranch_execz .LBB608_520
.LBB608_551:                            ;   in Loop: Header=BB608_392 Depth=2
	ds_load_b32 v2, v78 offset:1024
	s_waitcnt lgkmcnt(0)
	v_lshrrev_b32_e32 v2, s38, v2
	s_delay_alu instid0(VALU_DEP_1)
	v_and_b32_e32 v145, s39, v2
	s_or_b32 exec_lo, exec_lo, s33
	s_and_saveexec_b32 s33, s17
	s_cbranch_execnz .LBB608_521
.LBB608_552:                            ;   in Loop: Header=BB608_392 Depth=2
	s_or_b32 exec_lo, exec_lo, s33
	s_and_saveexec_b32 s33, s18
	s_cbranch_execz .LBB608_522
.LBB608_553:                            ;   in Loop: Header=BB608_392 Depth=2
	ds_load_b32 v2, v78 offset:3072
	s_waitcnt lgkmcnt(0)
	v_lshrrev_b32_e32 v2, s38, v2
	s_delay_alu instid0(VALU_DEP_1)
	v_and_b32_e32 v143, s39, v2
	s_or_b32 exec_lo, exec_lo, s33
	s_and_saveexec_b32 s33, s19
	s_cbranch_execnz .LBB608_523
.LBB608_554:                            ;   in Loop: Header=BB608_392 Depth=2
	s_or_b32 exec_lo, exec_lo, s33
	s_and_saveexec_b32 s33, s20
	s_cbranch_execz .LBB608_524
.LBB608_555:                            ;   in Loop: Header=BB608_392 Depth=2
	ds_load_b32 v2, v78 offset:5120
	s_waitcnt lgkmcnt(0)
	v_lshrrev_b32_e32 v2, s38, v2
	s_delay_alu instid0(VALU_DEP_1)
	v_and_b32_e32 v141, s39, v2
	s_or_b32 exec_lo, exec_lo, s33
	s_and_saveexec_b32 s33, s21
	s_cbranch_execnz .LBB608_525
.LBB608_556:                            ;   in Loop: Header=BB608_392 Depth=2
	s_or_b32 exec_lo, exec_lo, s33
	s_and_saveexec_b32 s33, s22
	s_cbranch_execz .LBB608_526
.LBB608_557:                            ;   in Loop: Header=BB608_392 Depth=2
	ds_load_b32 v2, v78 offset:7168
	s_waitcnt lgkmcnt(0)
	v_lshrrev_b32_e32 v2, s38, v2
	s_delay_alu instid0(VALU_DEP_1)
	v_and_b32_e32 v139, s39, v2
	s_or_b32 exec_lo, exec_lo, s33
	s_and_saveexec_b32 s33, s23
	s_cbranch_execnz .LBB608_527
.LBB608_558:                            ;   in Loop: Header=BB608_392 Depth=2
	s_or_b32 exec_lo, exec_lo, s33
	s_and_saveexec_b32 s33, s24
	s_cbranch_execz .LBB608_528
.LBB608_559:                            ;   in Loop: Header=BB608_392 Depth=2
	ds_load_b32 v2, v78 offset:9216
	s_waitcnt lgkmcnt(0)
	v_lshrrev_b32_e32 v2, s38, v2
	s_delay_alu instid0(VALU_DEP_1)
	v_and_b32_e32 v137, s39, v2
	s_or_b32 exec_lo, exec_lo, s33
	s_and_saveexec_b32 s33, s25
	s_cbranch_execnz .LBB608_529
.LBB608_560:                            ;   in Loop: Header=BB608_392 Depth=2
	s_or_b32 exec_lo, exec_lo, s33
	s_and_saveexec_b32 s33, s27
	s_cbranch_execz .LBB608_530
.LBB608_561:                            ;   in Loop: Header=BB608_392 Depth=2
	ds_load_b32 v2, v78 offset:11264
	s_waitcnt lgkmcnt(0)
	v_lshrrev_b32_e32 v2, s38, v2
	s_delay_alu instid0(VALU_DEP_1)
	v_and_b32_e32 v135, s39, v2
	s_or_b32 exec_lo, exec_lo, s33
	s_and_saveexec_b32 s33, s28
	s_cbranch_execnz .LBB608_531
.LBB608_562:                            ;   in Loop: Header=BB608_392 Depth=2
	s_or_b32 exec_lo, exec_lo, s33
	s_and_saveexec_b32 s33, s29
	s_cbranch_execz .LBB608_532
.LBB608_563:                            ;   in Loop: Header=BB608_392 Depth=2
	ds_load_b32 v2, v78 offset:13312
	s_waitcnt lgkmcnt(0)
	v_lshrrev_b32_e32 v2, s38, v2
	s_delay_alu instid0(VALU_DEP_1)
	v_and_b32_e32 v133, s39, v2
	s_or_b32 exec_lo, exec_lo, s33
	s_and_saveexec_b32 s33, s30
	s_cbranch_execnz .LBB608_533
.LBB608_564:                            ;   in Loop: Header=BB608_392 Depth=2
	s_or_b32 exec_lo, exec_lo, s33
	s_and_saveexec_b32 s33, s31
	s_cbranch_execz .LBB608_566
.LBB608_565:                            ;   in Loop: Header=BB608_392 Depth=2
	ds_load_b32 v2, v78 offset:15360
	s_waitcnt lgkmcnt(0)
	v_lshrrev_b32_e32 v2, s38, v2
	s_delay_alu instid0(VALU_DEP_1)
	v_and_b32_e32 v131, s39, v2
.LBB608_566:                            ;   in Loop: Header=BB608_392 Depth=2
	s_or_b32 exec_lo, exec_lo, s33
	v_lshlrev_b32_e32 v2, 3, v170
	v_lshlrev_b32_e32 v36, 3, v166
	s_waitcnt vmcnt(0)
	s_waitcnt_vscnt null, 0x0
	s_barrier
	buffer_gl0_inv
	ds_store_b64 v2, v[34:35] offset:1024
	v_lshlrev_b32_e32 v2, 3, v162
	v_lshlrev_b32_e32 v37, 3, v158
	;; [unrolled: 1-line block ×4, first 2 shown]
	ds_store_b64 v36, v[32:33] offset:1024
	ds_store_b64 v2, v[30:31] offset:1024
	;; [unrolled: 1-line block ×5, first 2 shown]
	v_lshlrev_b32_e32 v2, 3, v154
	v_lshlrev_b32_e32 v36, 3, v153
	;; [unrolled: 1-line block ×5, first 2 shown]
	ds_store_b64 v2, v[22:23] offset:1024
	ds_store_b64 v36, v[20:21] offset:1024
	ds_store_b64 v37, v[18:19] offset:1024
	ds_store_b64 v147, v[16:17] offset:1024
	ds_store_b64 v148, v[14:15] offset:1024
	v_lshlrev_b32_e32 v2, 3, v40
	v_lshlrev_b32_e32 v36, 3, v39
	;; [unrolled: 1-line block ×5, first 2 shown]
	ds_store_b64 v2, v[12:13] offset:1024
	ds_store_b64 v36, v[10:11] offset:1024
	;; [unrolled: 1-line block ×5, first 2 shown]
	s_waitcnt lgkmcnt(0)
	s_barrier
	buffer_gl0_inv
	s_and_saveexec_b32 s33, vcc_lo
	s_cbranch_execz .LBB608_582
; %bb.567:                              ;   in Loop: Header=BB608_392 Depth=2
	v_lshlrev_b32_e32 v2, 2, v146
	ds_load_b32 v2, v2
	ds_load_b64 v[36:37], v79 offset:1024
	s_waitcnt lgkmcnt(1)
	v_add_nc_u32_e32 v2, v2, v1
	s_delay_alu instid0(VALU_DEP_1) | instskip(NEXT) | instid1(VALU_DEP_1)
	v_lshlrev_b64 v[39:40], 3, v[2:3]
	v_add_co_u32 v39, vcc_lo, s54, v39
	s_delay_alu instid0(VALU_DEP_2)
	v_add_co_ci_u32_e32 v40, vcc_lo, s55, v40, vcc_lo
	s_waitcnt lgkmcnt(0)
	global_store_b64 v[39:40], v[36:37], off
	s_or_b32 exec_lo, exec_lo, s33
	s_and_saveexec_b32 s33, s16
	s_cbranch_execnz .LBB608_583
.LBB608_568:                            ;   in Loop: Header=BB608_392 Depth=2
	s_or_b32 exec_lo, exec_lo, s33
	s_and_saveexec_b32 s16, s17
	s_cbranch_execz .LBB608_584
.LBB608_569:                            ;   in Loop: Header=BB608_392 Depth=2
	v_lshlrev_b32_e32 v2, 2, v144
	v_add_nc_u32_e32 v36, v78, v44
	ds_load_b32 v2, v2
	ds_load_b64 v[36:37], v36 offset:4096
	s_waitcnt lgkmcnt(1)
	v_add_nc_u32_e32 v2, v2, v46
	s_delay_alu instid0(VALU_DEP_1) | instskip(NEXT) | instid1(VALU_DEP_1)
	v_lshlrev_b64 v[39:40], 3, v[2:3]
	v_add_co_u32 v39, vcc_lo, s54, v39
	s_delay_alu instid0(VALU_DEP_2)
	v_add_co_ci_u32_e32 v40, vcc_lo, s55, v40, vcc_lo
	s_waitcnt lgkmcnt(0)
	global_store_b64 v[39:40], v[36:37], off
	s_or_b32 exec_lo, exec_lo, s16
	s_and_saveexec_b32 s16, s18
	s_cbranch_execnz .LBB608_585
.LBB608_570:                            ;   in Loop: Header=BB608_392 Depth=2
	s_or_b32 exec_lo, exec_lo, s16
	s_and_saveexec_b32 s16, s19
	s_cbranch_execz .LBB608_586
.LBB608_571:                            ;   in Loop: Header=BB608_392 Depth=2
	v_lshlrev_b32_e32 v2, 2, v142
	v_add_nc_u32_e32 v36, v78, v44
	ds_load_b32 v2, v2
	ds_load_b64 v[36:37], v36 offset:8192
	s_waitcnt lgkmcnt(1)
	v_add_nc_u32_e32 v2, v2, v51
	s_delay_alu instid0(VALU_DEP_1) | instskip(NEXT) | instid1(VALU_DEP_1)
	v_lshlrev_b64 v[39:40], 3, v[2:3]
	v_add_co_u32 v39, vcc_lo, s54, v39
	s_delay_alu instid0(VALU_DEP_2)
	v_add_co_ci_u32_e32 v40, vcc_lo, s55, v40, vcc_lo
	s_waitcnt lgkmcnt(0)
	global_store_b64 v[39:40], v[36:37], off
	s_or_b32 exec_lo, exec_lo, s16
	s_and_saveexec_b32 s16, s20
	s_cbranch_execnz .LBB608_587
.LBB608_572:                            ;   in Loop: Header=BB608_392 Depth=2
	s_or_b32 exec_lo, exec_lo, s16
	s_and_saveexec_b32 s16, s21
	s_cbranch_execz .LBB608_588
.LBB608_573:                            ;   in Loop: Header=BB608_392 Depth=2
	v_lshlrev_b32_e32 v2, 2, v140
	v_add_nc_u32_e32 v36, v78, v44
	ds_load_b32 v2, v2
	ds_load_b64 v[36:37], v36 offset:12288
	s_waitcnt lgkmcnt(1)
	v_add_nc_u32_e32 v2, v2, v53
	s_delay_alu instid0(VALU_DEP_1) | instskip(NEXT) | instid1(VALU_DEP_1)
	v_lshlrev_b64 v[39:40], 3, v[2:3]
	v_add_co_u32 v39, vcc_lo, s54, v39
	s_delay_alu instid0(VALU_DEP_2)
	v_add_co_ci_u32_e32 v40, vcc_lo, s55, v40, vcc_lo
	s_waitcnt lgkmcnt(0)
	global_store_b64 v[39:40], v[36:37], off
	s_or_b32 exec_lo, exec_lo, s16
	s_and_saveexec_b32 s16, s22
	s_cbranch_execnz .LBB608_589
.LBB608_574:                            ;   in Loop: Header=BB608_392 Depth=2
	s_or_b32 exec_lo, exec_lo, s16
	s_and_saveexec_b32 s16, s23
	s_cbranch_execz .LBB608_590
.LBB608_575:                            ;   in Loop: Header=BB608_392 Depth=2
	v_lshlrev_b32_e32 v2, 2, v138
	v_add_nc_u32_e32 v36, v78, v44
	ds_load_b32 v2, v2
	ds_load_b64 v[36:37], v36 offset:16384
	s_waitcnt lgkmcnt(1)
	v_add_nc_u32_e32 v2, v2, v55
	s_delay_alu instid0(VALU_DEP_1) | instskip(NEXT) | instid1(VALU_DEP_1)
	v_lshlrev_b64 v[39:40], 3, v[2:3]
	v_add_co_u32 v39, vcc_lo, s54, v39
	s_delay_alu instid0(VALU_DEP_2)
	v_add_co_ci_u32_e32 v40, vcc_lo, s55, v40, vcc_lo
	s_waitcnt lgkmcnt(0)
	global_store_b64 v[39:40], v[36:37], off
	s_or_b32 exec_lo, exec_lo, s16
	s_and_saveexec_b32 s16, s24
	s_cbranch_execnz .LBB608_591
.LBB608_576:                            ;   in Loop: Header=BB608_392 Depth=2
	s_or_b32 exec_lo, exec_lo, s16
	s_and_saveexec_b32 s16, s25
	s_cbranch_execz .LBB608_592
.LBB608_577:                            ;   in Loop: Header=BB608_392 Depth=2
	v_lshlrev_b32_e32 v2, 2, v136
	v_add_nc_u32_e32 v36, v78, v44
	ds_load_b32 v2, v2
	ds_load_b64 v[36:37], v36 offset:20480
	s_waitcnt lgkmcnt(1)
	v_add_nc_u32_e32 v2, v2, v57
	s_delay_alu instid0(VALU_DEP_1) | instskip(NEXT) | instid1(VALU_DEP_1)
	v_lshlrev_b64 v[39:40], 3, v[2:3]
	v_add_co_u32 v39, vcc_lo, s54, v39
	s_delay_alu instid0(VALU_DEP_2)
	v_add_co_ci_u32_e32 v40, vcc_lo, s55, v40, vcc_lo
	s_waitcnt lgkmcnt(0)
	global_store_b64 v[39:40], v[36:37], off
	s_or_b32 exec_lo, exec_lo, s16
	s_and_saveexec_b32 s16, s27
	s_cbranch_execnz .LBB608_593
.LBB608_578:                            ;   in Loop: Header=BB608_392 Depth=2
	s_or_b32 exec_lo, exec_lo, s16
	s_and_saveexec_b32 s16, s28
	s_cbranch_execz .LBB608_594
.LBB608_579:                            ;   in Loop: Header=BB608_392 Depth=2
	v_lshlrev_b32_e32 v2, 2, v134
	v_add_nc_u32_e32 v36, v78, v44
	ds_load_b32 v2, v2
	ds_load_b64 v[36:37], v36 offset:24576
	s_waitcnt lgkmcnt(1)
	v_add_nc_u32_e32 v2, v2, v59
	s_delay_alu instid0(VALU_DEP_1) | instskip(NEXT) | instid1(VALU_DEP_1)
	v_lshlrev_b64 v[39:40], 3, v[2:3]
	v_add_co_u32 v39, vcc_lo, s54, v39
	s_delay_alu instid0(VALU_DEP_2)
	v_add_co_ci_u32_e32 v40, vcc_lo, s55, v40, vcc_lo
	s_waitcnt lgkmcnt(0)
	global_store_b64 v[39:40], v[36:37], off
	s_or_b32 exec_lo, exec_lo, s16
	s_and_saveexec_b32 s16, s29
	s_cbranch_execnz .LBB608_595
.LBB608_580:                            ;   in Loop: Header=BB608_392 Depth=2
	s_or_b32 exec_lo, exec_lo, s16
	s_and_saveexec_b32 s16, s30
	s_cbranch_execz .LBB608_596
.LBB608_581:                            ;   in Loop: Header=BB608_392 Depth=2
	v_lshlrev_b32_e32 v2, 2, v132
	v_add_nc_u32_e32 v36, v78, v44
	ds_load_b32 v2, v2
	ds_load_b64 v[36:37], v36 offset:28672
	s_waitcnt lgkmcnt(1)
	v_add_nc_u32_e32 v2, v2, v61
	s_delay_alu instid0(VALU_DEP_1) | instskip(NEXT) | instid1(VALU_DEP_1)
	v_lshlrev_b64 v[39:40], 3, v[2:3]
	v_add_co_u32 v39, vcc_lo, s54, v39
	s_delay_alu instid0(VALU_DEP_2)
	v_add_co_ci_u32_e32 v40, vcc_lo, s55, v40, vcc_lo
	s_waitcnt lgkmcnt(0)
	global_store_b64 v[39:40], v[36:37], off
	s_or_b32 exec_lo, exec_lo, s16
	s_and_saveexec_b32 s16, s31
	s_cbranch_execnz .LBB608_597
	s_branch .LBB608_598
.LBB608_582:                            ;   in Loop: Header=BB608_392 Depth=2
	s_or_b32 exec_lo, exec_lo, s33
	s_and_saveexec_b32 s33, s16
	s_cbranch_execz .LBB608_568
.LBB608_583:                            ;   in Loop: Header=BB608_392 Depth=2
	v_lshlrev_b32_e32 v2, 2, v145
	v_add_nc_u32_e32 v36, v78, v44
	ds_load_b32 v2, v2
	ds_load_b64 v[36:37], v36 offset:2048
	s_waitcnt lgkmcnt(1)
	v_add_nc_u32_e32 v2, v2, v45
	s_delay_alu instid0(VALU_DEP_1) | instskip(NEXT) | instid1(VALU_DEP_1)
	v_lshlrev_b64 v[39:40], 3, v[2:3]
	v_add_co_u32 v39, vcc_lo, s54, v39
	s_delay_alu instid0(VALU_DEP_2)
	v_add_co_ci_u32_e32 v40, vcc_lo, s55, v40, vcc_lo
	s_waitcnt lgkmcnt(0)
	global_store_b64 v[39:40], v[36:37], off
	s_or_b32 exec_lo, exec_lo, s33
	s_and_saveexec_b32 s16, s17
	s_cbranch_execnz .LBB608_569
.LBB608_584:                            ;   in Loop: Header=BB608_392 Depth=2
	s_or_b32 exec_lo, exec_lo, s16
	s_and_saveexec_b32 s16, s18
	s_cbranch_execz .LBB608_570
.LBB608_585:                            ;   in Loop: Header=BB608_392 Depth=2
	v_lshlrev_b32_e32 v2, 2, v143
	v_add_nc_u32_e32 v36, v78, v44
	ds_load_b32 v2, v2
	ds_load_b64 v[36:37], v36 offset:6144
	s_waitcnt lgkmcnt(1)
	v_add_nc_u32_e32 v2, v2, v47
	s_delay_alu instid0(VALU_DEP_1) | instskip(NEXT) | instid1(VALU_DEP_1)
	v_lshlrev_b64 v[39:40], 3, v[2:3]
	v_add_co_u32 v39, vcc_lo, s54, v39
	s_delay_alu instid0(VALU_DEP_2)
	v_add_co_ci_u32_e32 v40, vcc_lo, s55, v40, vcc_lo
	s_waitcnt lgkmcnt(0)
	global_store_b64 v[39:40], v[36:37], off
	s_or_b32 exec_lo, exec_lo, s16
	s_and_saveexec_b32 s16, s19
	s_cbranch_execnz .LBB608_571
.LBB608_586:                            ;   in Loop: Header=BB608_392 Depth=2
	s_or_b32 exec_lo, exec_lo, s16
	s_and_saveexec_b32 s16, s20
	s_cbranch_execz .LBB608_572
.LBB608_587:                            ;   in Loop: Header=BB608_392 Depth=2
	v_lshlrev_b32_e32 v2, 2, v141
	v_add_nc_u32_e32 v36, v78, v44
	ds_load_b32 v2, v2
	ds_load_b64 v[36:37], v36 offset:10240
	s_waitcnt lgkmcnt(1)
	v_add_nc_u32_e32 v2, v2, v52
	s_delay_alu instid0(VALU_DEP_1) | instskip(NEXT) | instid1(VALU_DEP_1)
	v_lshlrev_b64 v[39:40], 3, v[2:3]
	v_add_co_u32 v39, vcc_lo, s54, v39
	s_delay_alu instid0(VALU_DEP_2)
	v_add_co_ci_u32_e32 v40, vcc_lo, s55, v40, vcc_lo
	s_waitcnt lgkmcnt(0)
	global_store_b64 v[39:40], v[36:37], off
	s_or_b32 exec_lo, exec_lo, s16
	s_and_saveexec_b32 s16, s21
	s_cbranch_execnz .LBB608_573
.LBB608_588:                            ;   in Loop: Header=BB608_392 Depth=2
	s_or_b32 exec_lo, exec_lo, s16
	s_and_saveexec_b32 s16, s22
	s_cbranch_execz .LBB608_574
.LBB608_589:                            ;   in Loop: Header=BB608_392 Depth=2
	v_lshlrev_b32_e32 v2, 2, v139
	v_add_nc_u32_e32 v36, v78, v44
	ds_load_b32 v2, v2
	ds_load_b64 v[36:37], v36 offset:14336
	s_waitcnt lgkmcnt(1)
	v_add_nc_u32_e32 v2, v2, v54
	s_delay_alu instid0(VALU_DEP_1) | instskip(NEXT) | instid1(VALU_DEP_1)
	v_lshlrev_b64 v[39:40], 3, v[2:3]
	v_add_co_u32 v39, vcc_lo, s54, v39
	s_delay_alu instid0(VALU_DEP_2)
	v_add_co_ci_u32_e32 v40, vcc_lo, s55, v40, vcc_lo
	s_waitcnt lgkmcnt(0)
	global_store_b64 v[39:40], v[36:37], off
	s_or_b32 exec_lo, exec_lo, s16
	s_and_saveexec_b32 s16, s23
	s_cbranch_execnz .LBB608_575
.LBB608_590:                            ;   in Loop: Header=BB608_392 Depth=2
	s_or_b32 exec_lo, exec_lo, s16
	s_and_saveexec_b32 s16, s24
	s_cbranch_execz .LBB608_576
.LBB608_591:                            ;   in Loop: Header=BB608_392 Depth=2
	v_lshlrev_b32_e32 v2, 2, v137
	v_add_nc_u32_e32 v36, v78, v44
	ds_load_b32 v2, v2
	ds_load_b64 v[36:37], v36 offset:18432
	s_waitcnt lgkmcnt(1)
	v_add_nc_u32_e32 v2, v2, v56
	s_delay_alu instid0(VALU_DEP_1) | instskip(NEXT) | instid1(VALU_DEP_1)
	v_lshlrev_b64 v[39:40], 3, v[2:3]
	v_add_co_u32 v39, vcc_lo, s54, v39
	s_delay_alu instid0(VALU_DEP_2)
	v_add_co_ci_u32_e32 v40, vcc_lo, s55, v40, vcc_lo
	s_waitcnt lgkmcnt(0)
	global_store_b64 v[39:40], v[36:37], off
	s_or_b32 exec_lo, exec_lo, s16
	s_and_saveexec_b32 s16, s25
	s_cbranch_execnz .LBB608_577
.LBB608_592:                            ;   in Loop: Header=BB608_392 Depth=2
	s_or_b32 exec_lo, exec_lo, s16
	s_and_saveexec_b32 s16, s27
	s_cbranch_execz .LBB608_578
.LBB608_593:                            ;   in Loop: Header=BB608_392 Depth=2
	v_lshlrev_b32_e32 v2, 2, v135
	v_add_nc_u32_e32 v36, v78, v44
	ds_load_b32 v2, v2
	ds_load_b64 v[36:37], v36 offset:22528
	s_waitcnt lgkmcnt(1)
	v_add_nc_u32_e32 v2, v2, v58
	s_delay_alu instid0(VALU_DEP_1) | instskip(NEXT) | instid1(VALU_DEP_1)
	v_lshlrev_b64 v[39:40], 3, v[2:3]
	v_add_co_u32 v39, vcc_lo, s54, v39
	s_delay_alu instid0(VALU_DEP_2)
	v_add_co_ci_u32_e32 v40, vcc_lo, s55, v40, vcc_lo
	s_waitcnt lgkmcnt(0)
	global_store_b64 v[39:40], v[36:37], off
	s_or_b32 exec_lo, exec_lo, s16
	s_and_saveexec_b32 s16, s28
	s_cbranch_execnz .LBB608_579
.LBB608_594:                            ;   in Loop: Header=BB608_392 Depth=2
	s_or_b32 exec_lo, exec_lo, s16
	s_and_saveexec_b32 s16, s29
	s_cbranch_execz .LBB608_580
.LBB608_595:                            ;   in Loop: Header=BB608_392 Depth=2
	v_lshlrev_b32_e32 v2, 2, v133
	v_add_nc_u32_e32 v36, v78, v44
	ds_load_b32 v2, v2
	ds_load_b64 v[36:37], v36 offset:26624
	s_waitcnt lgkmcnt(1)
	v_add_nc_u32_e32 v2, v2, v60
	s_delay_alu instid0(VALU_DEP_1) | instskip(NEXT) | instid1(VALU_DEP_1)
	v_lshlrev_b64 v[39:40], 3, v[2:3]
	v_add_co_u32 v39, vcc_lo, s54, v39
	s_delay_alu instid0(VALU_DEP_2)
	v_add_co_ci_u32_e32 v40, vcc_lo, s55, v40, vcc_lo
	s_waitcnt lgkmcnt(0)
	global_store_b64 v[39:40], v[36:37], off
	s_or_b32 exec_lo, exec_lo, s16
	s_and_saveexec_b32 s16, s30
	s_cbranch_execnz .LBB608_581
.LBB608_596:                            ;   in Loop: Header=BB608_392 Depth=2
	s_or_b32 exec_lo, exec_lo, s16
	s_and_saveexec_b32 s16, s31
	s_cbranch_execz .LBB608_598
.LBB608_597:                            ;   in Loop: Header=BB608_392 Depth=2
	v_lshlrev_b32_e32 v2, 2, v131
	v_add_nc_u32_e32 v36, v78, v44
	ds_load_b32 v2, v2
	ds_load_b64 v[36:37], v36 offset:30720
	s_waitcnt lgkmcnt(1)
	v_add_nc_u32_e32 v2, v2, v63
	s_delay_alu instid0(VALU_DEP_1) | instskip(NEXT) | instid1(VALU_DEP_1)
	v_lshlrev_b64 v[39:40], 3, v[2:3]
	v_add_co_u32 v39, vcc_lo, s54, v39
	s_delay_alu instid0(VALU_DEP_2)
	v_add_co_ci_u32_e32 v40, vcc_lo, s55, v40, vcc_lo
	s_waitcnt lgkmcnt(0)
	global_store_b64 v[39:40], v[36:37], off
.LBB608_598:                            ;   in Loop: Header=BB608_392 Depth=2
	s_or_b32 exec_lo, exec_lo, s16
	s_waitcnt_vscnt null, 0x0
	s_barrier
	buffer_gl0_inv
	s_and_saveexec_b32 s16, s2
	s_cbranch_execz .LBB608_391
; %bb.599:                              ;   in Loop: Header=BB608_392 Depth=2
	ds_load_b32 v2, v44
	s_waitcnt lgkmcnt(0)
	v_add_nc_u32_e32 v2, v2, v38
	ds_store_b32 v44, v2
	s_branch .LBB608_391
.LBB608_600:                            ;   in Loop: Header=BB608_12 Depth=1
	s_waitcnt lgkmcnt(0)
	s_barrier
.LBB608_601:                            ;   in Loop: Header=BB608_12 Depth=1
	s_mov_b32 s0, 0
.LBB608_602:                            ;   in Loop: Header=BB608_12 Depth=1
	s_delay_alu instid0(SALU_CYCLE_1)
	s_and_not1_b32 vcc_lo, exec_lo, s0
	s_cbranch_vccnz .LBB608_11
; %bb.603:                              ;   in Loop: Header=BB608_12 Depth=1
	s_and_b32 vcc_lo, exec_lo, s59
	s_mov_b32 s0, -1
	s_cbranch_vccz .LBB608_897
; %bb.604:                              ;   in Loop: Header=BB608_12 Depth=1
	s_mov_b32 s8, s62
	s_mov_b32 s34, s60
	s_barrier
	buffer_gl0_inv
                                        ; implicit-def: $vgpr20
                                        ; implicit-def: $vgpr2
                                        ; implicit-def: $vgpr6
                                        ; implicit-def: $vgpr7
                                        ; implicit-def: $vgpr8
                                        ; implicit-def: $vgpr9
                                        ; implicit-def: $vgpr10
                                        ; implicit-def: $vgpr11
                                        ; implicit-def: $vgpr12
                                        ; implicit-def: $vgpr13
                                        ; implicit-def: $vgpr14
                                        ; implicit-def: $vgpr15
                                        ; implicit-def: $vgpr16
                                        ; implicit-def: $vgpr17
                                        ; implicit-def: $vgpr18
                                        ; implicit-def: $vgpr19
	s_branch .LBB608_606
.LBB608_605:                            ;   in Loop: Header=BB608_606 Depth=2
	s_or_b32 exec_lo, exec_lo, s0
	s_addk_i32 s8, 0xf000
	s_cmp_ge_u32 s9, s61
	s_mov_b32 s34, s9
	s_cbranch_scc1 .LBB608_676
.LBB608_606:                            ;   Parent Loop BB608_12 Depth=1
                                        ; =>  This Inner Loop Header: Depth=2
	s_add_i32 s9, s34, 0x1000
	s_delay_alu instid0(SALU_CYCLE_1)
	s_cmp_gt_u32 s9, s61
	s_cbranch_scc1 .LBB608_609
; %bb.607:                              ;   in Loop: Header=BB608_606 Depth=2
	s_mov_b32 s1, 0
	s_mov_b32 s0, s34
	s_delay_alu instid0(SALU_CYCLE_1) | instskip(NEXT) | instid1(SALU_CYCLE_1)
	s_lshl_b64 s[10:11], s[0:1], 2
	v_add_co_u32 v4, vcc_lo, v86, s10
	v_add_co_ci_u32_e32 v5, vcc_lo, s11, v87, vcc_lo
	s_movk_i32 s11, 0x1000
	s_waitcnt vmcnt(1)
	s_delay_alu instid0(VALU_DEP_2) | instskip(NEXT) | instid1(VALU_DEP_2)
	v_add_co_u32 v29, vcc_lo, 0x1000, v4
	v_add_co_ci_u32_e32 v30, vcc_lo, 0, v5, vcc_lo
	s_waitcnt vmcnt(0)
	v_add_co_u32 v36, vcc_lo, v4, 0x2000
	v_add_co_ci_u32_e32 v37, vcc_lo, 0, v5, vcc_lo
	v_add_co_u32 v33, vcc_lo, 0x2000, v4
	v_add_co_ci_u32_e32 v34, vcc_lo, 0, v5, vcc_lo
	v_add_co_u32 v38, vcc_lo, 0x3000, v4
	global_load_b32 v26, v[36:37], off
	v_add_co_ci_u32_e32 v39, vcc_lo, 0, v5, vcc_lo
	s_clause 0xd
	global_load_b32 v22, v[4:5], off
	global_load_b32 v23, v[4:5], off offset:1024
	global_load_b32 v24, v[4:5], off offset:2048
	;; [unrolled: 1-line block ×9, first 2 shown]
	global_load_b32 v34, v[38:39], off
	global_load_b32 v35, v[38:39], off offset:1024
	global_load_b32 v29, v[36:37], off offset:-4096
	global_load_b32 v36, v[38:39], off offset:2048
	v_add_co_u32 v4, vcc_lo, 0x3c00, v4
	v_add_co_ci_u32_e32 v5, vcc_lo, 0, v5, vcc_lo
	s_mov_b32 s10, -1
	s_cbranch_execz .LBB608_610
; %bb.608:                              ;   in Loop: Header=BB608_606 Depth=2
                                        ; implicit-def: $vgpr19
                                        ; implicit-def: $vgpr18
                                        ; implicit-def: $vgpr17
                                        ; implicit-def: $vgpr16
                                        ; implicit-def: $vgpr15
                                        ; implicit-def: $vgpr14
                                        ; implicit-def: $vgpr13
                                        ; implicit-def: $vgpr12
                                        ; implicit-def: $vgpr11
                                        ; implicit-def: $vgpr10
                                        ; implicit-def: $vgpr9
                                        ; implicit-def: $vgpr8
                                        ; implicit-def: $vgpr7
                                        ; implicit-def: $vgpr6
                                        ; implicit-def: $vgpr2
                                        ; implicit-def: $vgpr20
	v_mov_b32_e32 v21, s8
	s_and_saveexec_b32 s0, s10
	s_cbranch_execnz .LBB608_629
	s_branch .LBB608_630
.LBB608_609:                            ;   in Loop: Header=BB608_606 Depth=2
	s_mov_b32 s10, 0
                                        ; implicit-def: $sgpr11
                                        ; implicit-def: $vgpr22
                                        ; implicit-def: $vgpr23
                                        ; implicit-def: $vgpr24
                                        ; implicit-def: $vgpr25
                                        ; implicit-def: $vgpr29
                                        ; implicit-def: $vgpr27
                                        ; implicit-def: $vgpr28
                                        ; implicit-def: $vgpr30
                                        ; implicit-def: $vgpr26
                                        ; implicit-def: $vgpr31
                                        ; implicit-def: $vgpr32
                                        ; implicit-def: $vgpr33
                                        ; implicit-def: $vgpr34
                                        ; implicit-def: $vgpr35
                                        ; implicit-def: $vgpr36
                                        ; implicit-def: $vgpr4_vgpr5
.LBB608_610:                            ;   in Loop: Header=BB608_606 Depth=2
	s_lshl_b64 s[0:1], s[34:35], 2
	s_mov_b32 s11, exec_lo
	s_add_u32 s0, s44, s0
	s_addc_u32 s1, s45, s1
	v_cmpx_gt_u32_e64 s8, v1
	s_cbranch_execz .LBB608_662
; %bb.611:                              ;   in Loop: Header=BB608_606 Depth=2
	global_load_b32 v19, v93, s[0:1]
	s_or_b32 exec_lo, exec_lo, s11
	s_delay_alu instid0(SALU_CYCLE_1)
	s_mov_b32 s11, exec_lo
	v_cmpx_gt_u32_e64 s8, v45
	s_cbranch_execnz .LBB608_663
.LBB608_612:                            ;   in Loop: Header=BB608_606 Depth=2
	s_or_b32 exec_lo, exec_lo, s11
	s_delay_alu instid0(SALU_CYCLE_1)
	s_mov_b32 s11, exec_lo
	v_cmpx_gt_u32_e64 s8, v46
	s_cbranch_execz .LBB608_664
.LBB608_613:                            ;   in Loop: Header=BB608_606 Depth=2
	global_load_b32 v17, v93, s[0:1] offset:2048
	s_or_b32 exec_lo, exec_lo, s11
	s_delay_alu instid0(SALU_CYCLE_1)
	s_mov_b32 s11, exec_lo
	v_cmpx_gt_u32_e64 s8, v47
	s_cbranch_execnz .LBB608_665
.LBB608_614:                            ;   in Loop: Header=BB608_606 Depth=2
	s_or_b32 exec_lo, exec_lo, s11
	s_delay_alu instid0(SALU_CYCLE_1)
	s_mov_b32 s11, exec_lo
	v_cmpx_gt_u32_e64 s8, v51
	s_cbranch_execz .LBB608_666
.LBB608_615:                            ;   in Loop: Header=BB608_606 Depth=2
	global_load_b32 v15, v94, s[0:1]
	s_or_b32 exec_lo, exec_lo, s11
	s_delay_alu instid0(SALU_CYCLE_1)
	s_mov_b32 s11, exec_lo
	v_cmpx_gt_u32_e64 s8, v52
	s_cbranch_execnz .LBB608_667
.LBB608_616:                            ;   in Loop: Header=BB608_606 Depth=2
	s_or_b32 exec_lo, exec_lo, s11
	s_delay_alu instid0(SALU_CYCLE_1)
	s_mov_b32 s11, exec_lo
	v_cmpx_gt_u32_e64 s8, v53
	s_cbranch_execz .LBB608_668
.LBB608_617:                            ;   in Loop: Header=BB608_606 Depth=2
	global_load_b32 v13, v96, s[0:1]
	s_or_b32 exec_lo, exec_lo, s11
	s_delay_alu instid0(SALU_CYCLE_1)
	s_mov_b32 s11, exec_lo
	v_cmpx_gt_u32_e64 s8, v54
	s_cbranch_execnz .LBB608_669
.LBB608_618:                            ;   in Loop: Header=BB608_606 Depth=2
	s_or_b32 exec_lo, exec_lo, s11
	s_delay_alu instid0(SALU_CYCLE_1)
	s_mov_b32 s11, exec_lo
	v_cmpx_gt_u32_e64 s8, v55
	s_cbranch_execz .LBB608_670
.LBB608_619:                            ;   in Loop: Header=BB608_606 Depth=2
	global_load_b32 v11, v98, s[0:1]
	s_or_b32 exec_lo, exec_lo, s11
	s_delay_alu instid0(SALU_CYCLE_1)
	s_mov_b32 s11, exec_lo
	v_cmpx_gt_u32_e64 s8, v56
	s_cbranch_execnz .LBB608_671
.LBB608_620:                            ;   in Loop: Header=BB608_606 Depth=2
	s_or_b32 exec_lo, exec_lo, s11
	s_delay_alu instid0(SALU_CYCLE_1)
	s_mov_b32 s11, exec_lo
	v_cmpx_gt_u32_e64 s8, v57
	s_cbranch_execz .LBB608_672
.LBB608_621:                            ;   in Loop: Header=BB608_606 Depth=2
	global_load_b32 v9, v100, s[0:1]
	s_or_b32 exec_lo, exec_lo, s11
	s_delay_alu instid0(SALU_CYCLE_1)
	s_mov_b32 s11, exec_lo
	v_cmpx_gt_u32_e64 s8, v58
	s_cbranch_execnz .LBB608_673
.LBB608_622:                            ;   in Loop: Header=BB608_606 Depth=2
	s_or_b32 exec_lo, exec_lo, s11
	s_delay_alu instid0(SALU_CYCLE_1)
	s_mov_b32 s11, exec_lo
	v_cmpx_gt_u32_e64 s8, v59
	s_cbranch_execz .LBB608_674
.LBB608_623:                            ;   in Loop: Header=BB608_606 Depth=2
	global_load_b32 v7, v102, s[0:1]
	s_or_b32 exec_lo, exec_lo, s11
	s_delay_alu instid0(SALU_CYCLE_1)
	s_mov_b32 s11, exec_lo
	v_cmpx_gt_u32_e64 s8, v60
	s_cbranch_execnz .LBB608_675
.LBB608_624:                            ;   in Loop: Header=BB608_606 Depth=2
	s_or_b32 exec_lo, exec_lo, s11
	s_delay_alu instid0(SALU_CYCLE_1)
	s_mov_b32 s11, exec_lo
	v_cmpx_gt_u32_e64 s8, v61
	s_cbranch_execz .LBB608_626
.LBB608_625:                            ;   in Loop: Header=BB608_606 Depth=2
	global_load_b32 v2, v104, s[0:1]
.LBB608_626:                            ;   in Loop: Header=BB608_606 Depth=2
	s_or_b32 exec_lo, exec_lo, s11
	s_delay_alu instid0(SALU_CYCLE_1)
	s_mov_b32 s12, exec_lo
                                        ; implicit-def: $sgpr11
                                        ; implicit-def: $vgpr4_vgpr5
	v_cmpx_gt_u32_e64 s8, v63
; %bb.627:                              ;   in Loop: Header=BB608_606 Depth=2
	v_add_co_u32 v4, s0, s0, v105
	s_delay_alu instid0(VALU_DEP_1)
	v_add_co_ci_u32_e64 v5, null, s1, 0, s0
	s_sub_i32 s11, s61, s34
	s_or_b32 s10, s10, exec_lo
                                        ; implicit-def: $vgpr20
; %bb.628:                              ;   in Loop: Header=BB608_606 Depth=2
	s_or_b32 exec_lo, exec_lo, s12
	s_waitcnt vmcnt(0)
	v_dual_mov_b32 v22, v19 :: v_dual_mov_b32 v23, v18
	v_dual_mov_b32 v24, v17 :: v_dual_mov_b32 v25, v16
	v_dual_mov_b32 v29, v15 :: v_dual_mov_b32 v28, v13
	v_dual_mov_b32 v27, v14 :: v_dual_mov_b32 v30, v12
	v_dual_mov_b32 v26, v11 :: v_dual_mov_b32 v31, v10
	v_dual_mov_b32 v32, v9 :: v_dual_mov_b32 v33, v8
	v_dual_mov_b32 v34, v7 :: v_dual_mov_b32 v35, v6
	v_dual_mov_b32 v36, v2 :: v_dual_mov_b32 v21, s8
	s_and_saveexec_b32 s0, s10
	s_cbranch_execz .LBB608_630
.LBB608_629:                            ;   in Loop: Header=BB608_606 Depth=2
	global_load_b32 v20, v[4:5], off
	s_waitcnt vmcnt(1)
	v_dual_mov_b32 v21, s11 :: v_dual_mov_b32 v2, v36
	v_dual_mov_b32 v6, v35 :: v_dual_mov_b32 v7, v34
	;; [unrolled: 1-line block ×8, first 2 shown]
.LBB608_630:                            ;   in Loop: Header=BB608_606 Depth=2
	s_or_b32 exec_lo, exec_lo, s0
	s_delay_alu instid0(SALU_CYCLE_1)
	s_mov_b32 s0, exec_lo
	v_cmpx_lt_u32_e64 v1, v21
	s_cbranch_execz .LBB608_646
; %bb.631:                              ;   in Loop: Header=BB608_606 Depth=2
	v_xor_b32_e32 v4, 0x80000000, v19
	v_lshlrev_b32_e32 v5, 2, v48
	s_delay_alu instid0(VALU_DEP_2) | instskip(NEXT) | instid1(VALU_DEP_1)
	v_lshrrev_b32_e32 v4, s57, v4
	v_and_b32_e32 v4, s39, v4
	s_delay_alu instid0(VALU_DEP_1) | instskip(SKIP_2) | instid1(SALU_CYCLE_1)
	v_lshl_or_b32 v4, v4, 4, v5
	ds_add_u32 v4, v92
	s_or_b32 exec_lo, exec_lo, s0
	s_mov_b32 s0, exec_lo
	v_cmpx_lt_u32_e64 v45, v21
	s_cbranch_execnz .LBB608_647
.LBB608_632:                            ;   in Loop: Header=BB608_606 Depth=2
	s_or_b32 exec_lo, exec_lo, s0
	s_delay_alu instid0(SALU_CYCLE_1)
	s_mov_b32 s0, exec_lo
	v_cmpx_lt_u32_e64 v46, v21
	s_cbranch_execz .LBB608_648
.LBB608_633:                            ;   in Loop: Header=BB608_606 Depth=2
	v_xor_b32_e32 v4, 0x80000000, v17
	v_lshlrev_b32_e32 v5, 2, v48
	s_delay_alu instid0(VALU_DEP_2) | instskip(NEXT) | instid1(VALU_DEP_1)
	v_lshrrev_b32_e32 v4, s57, v4
	v_and_b32_e32 v4, s39, v4
	s_delay_alu instid0(VALU_DEP_1) | instskip(SKIP_2) | instid1(SALU_CYCLE_1)
	v_lshl_or_b32 v4, v4, 4, v5
	ds_add_u32 v4, v92
	s_or_b32 exec_lo, exec_lo, s0
	s_mov_b32 s0, exec_lo
	v_cmpx_lt_u32_e64 v47, v21
	s_cbranch_execnz .LBB608_649
.LBB608_634:                            ;   in Loop: Header=BB608_606 Depth=2
	s_or_b32 exec_lo, exec_lo, s0
	s_delay_alu instid0(SALU_CYCLE_1)
	s_mov_b32 s0, exec_lo
	v_cmpx_lt_u32_e64 v51, v21
	s_cbranch_execz .LBB608_650
.LBB608_635:                            ;   in Loop: Header=BB608_606 Depth=2
	v_xor_b32_e32 v4, 0x80000000, v15
	v_lshlrev_b32_e32 v5, 2, v48
	s_delay_alu instid0(VALU_DEP_2) | instskip(NEXT) | instid1(VALU_DEP_1)
	v_lshrrev_b32_e32 v4, s57, v4
	v_and_b32_e32 v4, s39, v4
	s_delay_alu instid0(VALU_DEP_1) | instskip(SKIP_2) | instid1(SALU_CYCLE_1)
	v_lshl_or_b32 v4, v4, 4, v5
	ds_add_u32 v4, v92
	s_or_b32 exec_lo, exec_lo, s0
	s_mov_b32 s0, exec_lo
	v_cmpx_lt_u32_e64 v52, v21
	s_cbranch_execnz .LBB608_651
.LBB608_636:                            ;   in Loop: Header=BB608_606 Depth=2
	s_or_b32 exec_lo, exec_lo, s0
	s_delay_alu instid0(SALU_CYCLE_1)
	s_mov_b32 s0, exec_lo
	v_cmpx_lt_u32_e64 v53, v21
	s_cbranch_execz .LBB608_652
.LBB608_637:                            ;   in Loop: Header=BB608_606 Depth=2
	v_xor_b32_e32 v4, 0x80000000, v13
	v_lshlrev_b32_e32 v5, 2, v48
	s_delay_alu instid0(VALU_DEP_2) | instskip(NEXT) | instid1(VALU_DEP_1)
	v_lshrrev_b32_e32 v4, s57, v4
	v_and_b32_e32 v4, s39, v4
	s_delay_alu instid0(VALU_DEP_1) | instskip(SKIP_2) | instid1(SALU_CYCLE_1)
	v_lshl_or_b32 v4, v4, 4, v5
	ds_add_u32 v4, v92
	s_or_b32 exec_lo, exec_lo, s0
	s_mov_b32 s0, exec_lo
	v_cmpx_lt_u32_e64 v54, v21
	s_cbranch_execnz .LBB608_653
.LBB608_638:                            ;   in Loop: Header=BB608_606 Depth=2
	s_or_b32 exec_lo, exec_lo, s0
	s_delay_alu instid0(SALU_CYCLE_1)
	s_mov_b32 s0, exec_lo
	v_cmpx_lt_u32_e64 v55, v21
	s_cbranch_execz .LBB608_654
.LBB608_639:                            ;   in Loop: Header=BB608_606 Depth=2
	v_xor_b32_e32 v4, 0x80000000, v11
	v_lshlrev_b32_e32 v5, 2, v48
	s_delay_alu instid0(VALU_DEP_2) | instskip(NEXT) | instid1(VALU_DEP_1)
	v_lshrrev_b32_e32 v4, s57, v4
	v_and_b32_e32 v4, s39, v4
	s_delay_alu instid0(VALU_DEP_1) | instskip(SKIP_2) | instid1(SALU_CYCLE_1)
	v_lshl_or_b32 v4, v4, 4, v5
	ds_add_u32 v4, v92
	s_or_b32 exec_lo, exec_lo, s0
	s_mov_b32 s0, exec_lo
	v_cmpx_lt_u32_e64 v56, v21
	s_cbranch_execnz .LBB608_655
.LBB608_640:                            ;   in Loop: Header=BB608_606 Depth=2
	s_or_b32 exec_lo, exec_lo, s0
	s_delay_alu instid0(SALU_CYCLE_1)
	s_mov_b32 s0, exec_lo
	v_cmpx_lt_u32_e64 v57, v21
	s_cbranch_execz .LBB608_656
.LBB608_641:                            ;   in Loop: Header=BB608_606 Depth=2
	v_xor_b32_e32 v4, 0x80000000, v9
	v_lshlrev_b32_e32 v5, 2, v48
	s_delay_alu instid0(VALU_DEP_2) | instskip(NEXT) | instid1(VALU_DEP_1)
	v_lshrrev_b32_e32 v4, s57, v4
	v_and_b32_e32 v4, s39, v4
	s_delay_alu instid0(VALU_DEP_1) | instskip(SKIP_2) | instid1(SALU_CYCLE_1)
	v_lshl_or_b32 v4, v4, 4, v5
	ds_add_u32 v4, v92
	s_or_b32 exec_lo, exec_lo, s0
	s_mov_b32 s0, exec_lo
	v_cmpx_lt_u32_e64 v58, v21
	s_cbranch_execnz .LBB608_657
.LBB608_642:                            ;   in Loop: Header=BB608_606 Depth=2
	s_or_b32 exec_lo, exec_lo, s0
	s_delay_alu instid0(SALU_CYCLE_1)
	s_mov_b32 s0, exec_lo
	v_cmpx_lt_u32_e64 v59, v21
	s_cbranch_execz .LBB608_658
.LBB608_643:                            ;   in Loop: Header=BB608_606 Depth=2
	v_xor_b32_e32 v4, 0x80000000, v7
	v_lshlrev_b32_e32 v5, 2, v48
	s_delay_alu instid0(VALU_DEP_2) | instskip(NEXT) | instid1(VALU_DEP_1)
	v_lshrrev_b32_e32 v4, s57, v4
	v_and_b32_e32 v4, s39, v4
	s_delay_alu instid0(VALU_DEP_1) | instskip(SKIP_2) | instid1(SALU_CYCLE_1)
	v_lshl_or_b32 v4, v4, 4, v5
	ds_add_u32 v4, v92
	s_or_b32 exec_lo, exec_lo, s0
	s_mov_b32 s0, exec_lo
	v_cmpx_lt_u32_e64 v60, v21
	s_cbranch_execnz .LBB608_659
.LBB608_644:                            ;   in Loop: Header=BB608_606 Depth=2
	s_or_b32 exec_lo, exec_lo, s0
	s_delay_alu instid0(SALU_CYCLE_1)
	s_mov_b32 s0, exec_lo
	v_cmpx_lt_u32_e64 v61, v21
	s_cbranch_execz .LBB608_660
.LBB608_645:                            ;   in Loop: Header=BB608_606 Depth=2
	v_xor_b32_e32 v4, 0x80000000, v2
	v_lshlrev_b32_e32 v5, 2, v48
	s_delay_alu instid0(VALU_DEP_2) | instskip(NEXT) | instid1(VALU_DEP_1)
	v_lshrrev_b32_e32 v4, s57, v4
	v_and_b32_e32 v4, s39, v4
	s_delay_alu instid0(VALU_DEP_1) | instskip(SKIP_2) | instid1(SALU_CYCLE_1)
	v_lshl_or_b32 v4, v4, 4, v5
	ds_add_u32 v4, v92
	s_or_b32 exec_lo, exec_lo, s0
	s_mov_b32 s0, exec_lo
	v_cmpx_lt_u32_e64 v63, v21
	s_cbranch_execz .LBB608_605
	s_branch .LBB608_661
.LBB608_646:                            ;   in Loop: Header=BB608_606 Depth=2
	s_or_b32 exec_lo, exec_lo, s0
	s_delay_alu instid0(SALU_CYCLE_1)
	s_mov_b32 s0, exec_lo
	v_cmpx_lt_u32_e64 v45, v21
	s_cbranch_execz .LBB608_632
.LBB608_647:                            ;   in Loop: Header=BB608_606 Depth=2
	v_xor_b32_e32 v4, 0x80000000, v18
	v_lshlrev_b32_e32 v5, 2, v48
	s_delay_alu instid0(VALU_DEP_2) | instskip(NEXT) | instid1(VALU_DEP_1)
	v_lshrrev_b32_e32 v4, s57, v4
	v_and_b32_e32 v4, s39, v4
	s_delay_alu instid0(VALU_DEP_1) | instskip(SKIP_2) | instid1(SALU_CYCLE_1)
	v_lshl_or_b32 v4, v4, 4, v5
	ds_add_u32 v4, v92
	s_or_b32 exec_lo, exec_lo, s0
	s_mov_b32 s0, exec_lo
	v_cmpx_lt_u32_e64 v46, v21
	s_cbranch_execnz .LBB608_633
.LBB608_648:                            ;   in Loop: Header=BB608_606 Depth=2
	s_or_b32 exec_lo, exec_lo, s0
	s_delay_alu instid0(SALU_CYCLE_1)
	s_mov_b32 s0, exec_lo
	v_cmpx_lt_u32_e64 v47, v21
	s_cbranch_execz .LBB608_634
.LBB608_649:                            ;   in Loop: Header=BB608_606 Depth=2
	v_xor_b32_e32 v4, 0x80000000, v16
	v_lshlrev_b32_e32 v5, 2, v48
	s_delay_alu instid0(VALU_DEP_2) | instskip(NEXT) | instid1(VALU_DEP_1)
	v_lshrrev_b32_e32 v4, s57, v4
	v_and_b32_e32 v4, s39, v4
	s_delay_alu instid0(VALU_DEP_1) | instskip(SKIP_2) | instid1(SALU_CYCLE_1)
	v_lshl_or_b32 v4, v4, 4, v5
	ds_add_u32 v4, v92
	s_or_b32 exec_lo, exec_lo, s0
	s_mov_b32 s0, exec_lo
	v_cmpx_lt_u32_e64 v51, v21
	s_cbranch_execnz .LBB608_635
.LBB608_650:                            ;   in Loop: Header=BB608_606 Depth=2
	s_or_b32 exec_lo, exec_lo, s0
	s_delay_alu instid0(SALU_CYCLE_1)
	s_mov_b32 s0, exec_lo
	v_cmpx_lt_u32_e64 v52, v21
	s_cbranch_execz .LBB608_636
.LBB608_651:                            ;   in Loop: Header=BB608_606 Depth=2
	v_xor_b32_e32 v4, 0x80000000, v14
	v_lshlrev_b32_e32 v5, 2, v48
	s_delay_alu instid0(VALU_DEP_2) | instskip(NEXT) | instid1(VALU_DEP_1)
	v_lshrrev_b32_e32 v4, s57, v4
	v_and_b32_e32 v4, s39, v4
	s_delay_alu instid0(VALU_DEP_1) | instskip(SKIP_2) | instid1(SALU_CYCLE_1)
	v_lshl_or_b32 v4, v4, 4, v5
	ds_add_u32 v4, v92
	s_or_b32 exec_lo, exec_lo, s0
	s_mov_b32 s0, exec_lo
	v_cmpx_lt_u32_e64 v53, v21
	s_cbranch_execnz .LBB608_637
.LBB608_652:                            ;   in Loop: Header=BB608_606 Depth=2
	s_or_b32 exec_lo, exec_lo, s0
	s_delay_alu instid0(SALU_CYCLE_1)
	s_mov_b32 s0, exec_lo
	v_cmpx_lt_u32_e64 v54, v21
	s_cbranch_execz .LBB608_638
.LBB608_653:                            ;   in Loop: Header=BB608_606 Depth=2
	v_xor_b32_e32 v4, 0x80000000, v12
	v_lshlrev_b32_e32 v5, 2, v48
	s_delay_alu instid0(VALU_DEP_2) | instskip(NEXT) | instid1(VALU_DEP_1)
	v_lshrrev_b32_e32 v4, s57, v4
	v_and_b32_e32 v4, s39, v4
	s_delay_alu instid0(VALU_DEP_1) | instskip(SKIP_2) | instid1(SALU_CYCLE_1)
	v_lshl_or_b32 v4, v4, 4, v5
	ds_add_u32 v4, v92
	s_or_b32 exec_lo, exec_lo, s0
	s_mov_b32 s0, exec_lo
	v_cmpx_lt_u32_e64 v55, v21
	s_cbranch_execnz .LBB608_639
.LBB608_654:                            ;   in Loop: Header=BB608_606 Depth=2
	s_or_b32 exec_lo, exec_lo, s0
	s_delay_alu instid0(SALU_CYCLE_1)
	s_mov_b32 s0, exec_lo
	v_cmpx_lt_u32_e64 v56, v21
	s_cbranch_execz .LBB608_640
.LBB608_655:                            ;   in Loop: Header=BB608_606 Depth=2
	v_xor_b32_e32 v4, 0x80000000, v10
	v_lshlrev_b32_e32 v5, 2, v48
	s_delay_alu instid0(VALU_DEP_2) | instskip(NEXT) | instid1(VALU_DEP_1)
	v_lshrrev_b32_e32 v4, s57, v4
	v_and_b32_e32 v4, s39, v4
	s_delay_alu instid0(VALU_DEP_1) | instskip(SKIP_2) | instid1(SALU_CYCLE_1)
	v_lshl_or_b32 v4, v4, 4, v5
	ds_add_u32 v4, v92
	s_or_b32 exec_lo, exec_lo, s0
	s_mov_b32 s0, exec_lo
	v_cmpx_lt_u32_e64 v57, v21
	s_cbranch_execnz .LBB608_641
.LBB608_656:                            ;   in Loop: Header=BB608_606 Depth=2
	s_or_b32 exec_lo, exec_lo, s0
	s_delay_alu instid0(SALU_CYCLE_1)
	s_mov_b32 s0, exec_lo
	v_cmpx_lt_u32_e64 v58, v21
	s_cbranch_execz .LBB608_642
.LBB608_657:                            ;   in Loop: Header=BB608_606 Depth=2
	v_xor_b32_e32 v4, 0x80000000, v8
	v_lshlrev_b32_e32 v5, 2, v48
	s_delay_alu instid0(VALU_DEP_2) | instskip(NEXT) | instid1(VALU_DEP_1)
	v_lshrrev_b32_e32 v4, s57, v4
	v_and_b32_e32 v4, s39, v4
	s_delay_alu instid0(VALU_DEP_1) | instskip(SKIP_2) | instid1(SALU_CYCLE_1)
	v_lshl_or_b32 v4, v4, 4, v5
	ds_add_u32 v4, v92
	s_or_b32 exec_lo, exec_lo, s0
	s_mov_b32 s0, exec_lo
	v_cmpx_lt_u32_e64 v59, v21
	s_cbranch_execnz .LBB608_643
.LBB608_658:                            ;   in Loop: Header=BB608_606 Depth=2
	s_or_b32 exec_lo, exec_lo, s0
	s_delay_alu instid0(SALU_CYCLE_1)
	s_mov_b32 s0, exec_lo
	v_cmpx_lt_u32_e64 v60, v21
	s_cbranch_execz .LBB608_644
.LBB608_659:                            ;   in Loop: Header=BB608_606 Depth=2
	v_xor_b32_e32 v4, 0x80000000, v6
	v_lshlrev_b32_e32 v5, 2, v48
	s_delay_alu instid0(VALU_DEP_2) | instskip(NEXT) | instid1(VALU_DEP_1)
	v_lshrrev_b32_e32 v4, s57, v4
	v_and_b32_e32 v4, s39, v4
	s_delay_alu instid0(VALU_DEP_1) | instskip(SKIP_2) | instid1(SALU_CYCLE_1)
	v_lshl_or_b32 v4, v4, 4, v5
	ds_add_u32 v4, v92
	s_or_b32 exec_lo, exec_lo, s0
	s_mov_b32 s0, exec_lo
	v_cmpx_lt_u32_e64 v61, v21
	s_cbranch_execnz .LBB608_645
.LBB608_660:                            ;   in Loop: Header=BB608_606 Depth=2
	s_or_b32 exec_lo, exec_lo, s0
	s_delay_alu instid0(SALU_CYCLE_1)
	s_mov_b32 s0, exec_lo
	v_cmpx_lt_u32_e64 v63, v21
	s_cbranch_execz .LBB608_605
.LBB608_661:                            ;   in Loop: Header=BB608_606 Depth=2
	s_waitcnt vmcnt(0)
	v_xor_b32_e32 v4, 0x80000000, v20
	v_lshlrev_b32_e32 v5, 2, v48
	s_delay_alu instid0(VALU_DEP_2) | instskip(NEXT) | instid1(VALU_DEP_1)
	v_lshrrev_b32_e32 v4, s57, v4
	v_and_b32_e32 v4, s39, v4
	s_delay_alu instid0(VALU_DEP_1)
	v_lshl_or_b32 v4, v4, 4, v5
	ds_add_u32 v4, v92
	s_branch .LBB608_605
.LBB608_662:                            ;   in Loop: Header=BB608_606 Depth=2
	s_or_b32 exec_lo, exec_lo, s11
	s_delay_alu instid0(SALU_CYCLE_1)
	s_mov_b32 s11, exec_lo
	v_cmpx_gt_u32_e64 s8, v45
	s_cbranch_execz .LBB608_612
.LBB608_663:                            ;   in Loop: Header=BB608_606 Depth=2
	global_load_b32 v18, v93, s[0:1] offset:1024
	s_or_b32 exec_lo, exec_lo, s11
	s_delay_alu instid0(SALU_CYCLE_1)
	s_mov_b32 s11, exec_lo
	v_cmpx_gt_u32_e64 s8, v46
	s_cbranch_execnz .LBB608_613
.LBB608_664:                            ;   in Loop: Header=BB608_606 Depth=2
	s_or_b32 exec_lo, exec_lo, s11
	s_delay_alu instid0(SALU_CYCLE_1)
	s_mov_b32 s11, exec_lo
	v_cmpx_gt_u32_e64 s8, v47
	s_cbranch_execz .LBB608_614
.LBB608_665:                            ;   in Loop: Header=BB608_606 Depth=2
	global_load_b32 v16, v93, s[0:1] offset:3072
	s_or_b32 exec_lo, exec_lo, s11
	s_delay_alu instid0(SALU_CYCLE_1)
	s_mov_b32 s11, exec_lo
	v_cmpx_gt_u32_e64 s8, v51
	s_cbranch_execnz .LBB608_615
.LBB608_666:                            ;   in Loop: Header=BB608_606 Depth=2
	s_or_b32 exec_lo, exec_lo, s11
	s_delay_alu instid0(SALU_CYCLE_1)
	s_mov_b32 s11, exec_lo
	v_cmpx_gt_u32_e64 s8, v52
	s_cbranch_execz .LBB608_616
.LBB608_667:                            ;   in Loop: Header=BB608_606 Depth=2
	global_load_b32 v14, v95, s[0:1]
	s_or_b32 exec_lo, exec_lo, s11
	s_delay_alu instid0(SALU_CYCLE_1)
	s_mov_b32 s11, exec_lo
	v_cmpx_gt_u32_e64 s8, v53
	s_cbranch_execnz .LBB608_617
.LBB608_668:                            ;   in Loop: Header=BB608_606 Depth=2
	s_or_b32 exec_lo, exec_lo, s11
	s_delay_alu instid0(SALU_CYCLE_1)
	s_mov_b32 s11, exec_lo
	v_cmpx_gt_u32_e64 s8, v54
	s_cbranch_execz .LBB608_618
.LBB608_669:                            ;   in Loop: Header=BB608_606 Depth=2
	global_load_b32 v12, v97, s[0:1]
	s_or_b32 exec_lo, exec_lo, s11
	s_delay_alu instid0(SALU_CYCLE_1)
	s_mov_b32 s11, exec_lo
	v_cmpx_gt_u32_e64 s8, v55
	s_cbranch_execnz .LBB608_619
.LBB608_670:                            ;   in Loop: Header=BB608_606 Depth=2
	s_or_b32 exec_lo, exec_lo, s11
	s_delay_alu instid0(SALU_CYCLE_1)
	s_mov_b32 s11, exec_lo
	v_cmpx_gt_u32_e64 s8, v56
	s_cbranch_execz .LBB608_620
.LBB608_671:                            ;   in Loop: Header=BB608_606 Depth=2
	global_load_b32 v10, v99, s[0:1]
	s_or_b32 exec_lo, exec_lo, s11
	s_delay_alu instid0(SALU_CYCLE_1)
	s_mov_b32 s11, exec_lo
	v_cmpx_gt_u32_e64 s8, v57
	s_cbranch_execnz .LBB608_621
.LBB608_672:                            ;   in Loop: Header=BB608_606 Depth=2
	s_or_b32 exec_lo, exec_lo, s11
	s_delay_alu instid0(SALU_CYCLE_1)
	s_mov_b32 s11, exec_lo
	v_cmpx_gt_u32_e64 s8, v58
	s_cbranch_execz .LBB608_622
.LBB608_673:                            ;   in Loop: Header=BB608_606 Depth=2
	global_load_b32 v8, v101, s[0:1]
	s_or_b32 exec_lo, exec_lo, s11
	s_delay_alu instid0(SALU_CYCLE_1)
	s_mov_b32 s11, exec_lo
	v_cmpx_gt_u32_e64 s8, v59
	s_cbranch_execnz .LBB608_623
.LBB608_674:                            ;   in Loop: Header=BB608_606 Depth=2
	s_or_b32 exec_lo, exec_lo, s11
	s_delay_alu instid0(SALU_CYCLE_1)
	s_mov_b32 s11, exec_lo
	v_cmpx_gt_u32_e64 s8, v60
	s_cbranch_execz .LBB608_624
.LBB608_675:                            ;   in Loop: Header=BB608_606 Depth=2
	global_load_b32 v6, v103, s[0:1]
	s_or_b32 exec_lo, exec_lo, s11
	s_delay_alu instid0(SALU_CYCLE_1)
	s_mov_b32 s11, exec_lo
	v_cmpx_gt_u32_e64 s8, v61
	s_cbranch_execz .LBB608_626
	s_branch .LBB608_625
.LBB608_676:                            ;   in Loop: Header=BB608_12 Depth=1
	v_mov_b32_e32 v2, 0
	s_waitcnt vmcnt(0) lgkmcnt(0)
	s_barrier
	buffer_gl0_inv
	s_and_saveexec_b32 s0, s2
	s_cbranch_execz .LBB608_678
; %bb.677:                              ;   in Loop: Header=BB608_12 Depth=1
	ds_load_2addr_b64 v[4:7], v64 offset1:1
	s_waitcnt lgkmcnt(0)
	v_add_nc_u32_e32 v2, v5, v4
	s_delay_alu instid0(VALU_DEP_1)
	v_add3_u32 v2, v2, v6, v7
.LBB608_678:                            ;   in Loop: Header=BB608_12 Depth=1
	s_or_b32 exec_lo, exec_lo, s0
	v_and_b32_e32 v4, 15, v106
	s_delay_alu instid0(VALU_DEP_2) | instskip(SKIP_1) | instid1(VALU_DEP_3)
	v_mov_b32_dpp v5, v2 row_shr:1 row_mask:0xf bank_mask:0xf
	v_and_b32_e32 v6, 16, v106
	v_cmp_eq_u32_e64 s0, 0, v4
	v_cmp_lt_u32_e64 s1, 1, v4
	v_cmp_lt_u32_e64 s8, 3, v4
	;; [unrolled: 1-line block ×3, first 2 shown]
	v_cmp_eq_u32_e64 s10, 0, v6
	v_cndmask_b32_e64 v5, v5, 0, s0
	s_delay_alu instid0(VALU_DEP_1) | instskip(NEXT) | instid1(VALU_DEP_1)
	v_add_nc_u32_e32 v2, v5, v2
	v_mov_b32_dpp v5, v2 row_shr:2 row_mask:0xf bank_mask:0xf
	s_delay_alu instid0(VALU_DEP_1) | instskip(NEXT) | instid1(VALU_DEP_1)
	v_cndmask_b32_e64 v5, 0, v5, s1
	v_add_nc_u32_e32 v2, v2, v5
	s_delay_alu instid0(VALU_DEP_1) | instskip(NEXT) | instid1(VALU_DEP_1)
	v_mov_b32_dpp v5, v2 row_shr:4 row_mask:0xf bank_mask:0xf
	v_cndmask_b32_e64 v5, 0, v5, s8
	s_delay_alu instid0(VALU_DEP_1) | instskip(NEXT) | instid1(VALU_DEP_1)
	v_add_nc_u32_e32 v2, v2, v5
	v_mov_b32_dpp v5, v2 row_shr:8 row_mask:0xf bank_mask:0xf
	s_delay_alu instid0(VALU_DEP_1) | instskip(SKIP_1) | instid1(VALU_DEP_2)
	v_cndmask_b32_e64 v4, 0, v5, s9
	v_bfe_i32 v5, v106, 4, 1
	v_add_nc_u32_e32 v2, v2, v4
	ds_swizzle_b32 v4, v2 offset:swizzle(BROADCAST,32,15)
	s_waitcnt lgkmcnt(0)
	v_and_b32_e32 v4, v5, v4
	s_delay_alu instid0(VALU_DEP_1)
	v_add_nc_u32_e32 v4, v2, v4
	s_and_saveexec_b32 s11, s3
	s_cbranch_execz .LBB608_680
; %bb.679:                              ;   in Loop: Header=BB608_12 Depth=1
	ds_store_b32 v65, v4
.LBB608_680:                            ;   in Loop: Header=BB608_12 Depth=1
	s_or_b32 exec_lo, exec_lo, s11
	v_and_b32_e32 v2, 7, v106
	s_waitcnt lgkmcnt(0)
	s_barrier
	buffer_gl0_inv
	s_and_saveexec_b32 s11, s4
	s_cbranch_execz .LBB608_682
; %bb.681:                              ;   in Loop: Header=BB608_12 Depth=1
	ds_load_b32 v5, v66
	v_cmp_ne_u32_e32 vcc_lo, 0, v2
	s_waitcnt lgkmcnt(0)
	v_mov_b32_dpp v6, v5 row_shr:1 row_mask:0xf bank_mask:0xf
	s_delay_alu instid0(VALU_DEP_1) | instskip(SKIP_1) | instid1(VALU_DEP_2)
	v_cndmask_b32_e32 v6, 0, v6, vcc_lo
	v_cmp_lt_u32_e32 vcc_lo, 1, v2
	v_add_nc_u32_e32 v5, v6, v5
	s_delay_alu instid0(VALU_DEP_1) | instskip(NEXT) | instid1(VALU_DEP_1)
	v_mov_b32_dpp v6, v5 row_shr:2 row_mask:0xf bank_mask:0xf
	v_cndmask_b32_e32 v6, 0, v6, vcc_lo
	v_cmp_lt_u32_e32 vcc_lo, 3, v2
	s_delay_alu instid0(VALU_DEP_2) | instskip(NEXT) | instid1(VALU_DEP_1)
	v_add_nc_u32_e32 v5, v5, v6
	v_mov_b32_dpp v6, v5 row_shr:4 row_mask:0xf bank_mask:0xf
	s_delay_alu instid0(VALU_DEP_1) | instskip(NEXT) | instid1(VALU_DEP_1)
	v_cndmask_b32_e32 v6, 0, v6, vcc_lo
	v_add_nc_u32_e32 v5, v5, v6
	ds_store_b32 v66, v5
.LBB608_682:                            ;   in Loop: Header=BB608_12 Depth=1
	s_or_b32 exec_lo, exec_lo, s11
	v_mov_b32_e32 v5, 0
	s_waitcnt lgkmcnt(0)
	s_barrier
	buffer_gl0_inv
	s_and_saveexec_b32 s11, s5
	s_cbranch_execz .LBB608_684
; %bb.683:                              ;   in Loop: Header=BB608_12 Depth=1
	ds_load_b32 v5, v67
.LBB608_684:                            ;   in Loop: Header=BB608_12 Depth=1
	s_or_b32 exec_lo, exec_lo, s11
	v_add_nc_u32_e32 v6, -1, v106
	s_waitcnt lgkmcnt(0)
	v_add_nc_u32_e32 v4, v5, v4
	v_cmp_eq_u32_e64 s11, 0, v106
	s_barrier
	v_cmp_gt_i32_e32 vcc_lo, 0, v6
	buffer_gl0_inv
	v_cndmask_b32_e32 v6, v6, v106, vcc_lo
	s_delay_alu instid0(VALU_DEP_1)
	v_lshlrev_b32_e32 v107, 2, v6
	ds_bpermute_b32 v4, v107, v4
	s_and_saveexec_b32 s12, s2
	s_cbranch_execz .LBB608_686
; %bb.685:                              ;   in Loop: Header=BB608_12 Depth=1
	s_waitcnt lgkmcnt(0)
	v_cndmask_b32_e64 v4, v4, v5, s11
	s_delay_alu instid0(VALU_DEP_1)
	v_add_nc_u32_e32 v4, s60, v4
	ds_store_b32 v44, v4
.LBB608_686:                            ;   in Loop: Header=BB608_12 Depth=1
	s_or_b32 exec_lo, exec_lo, s12
	s_load_b64 s[12:13], s[36:37], 0x0
	v_lshlrev_b32_e32 v5, 3, v106
	v_cmp_lt_u32_e64 s14, 3, v2
	v_or_b32_e32 v108, v106, v68
	s_mov_b32 s40, s62
	s_mov_b32 s34, s60
	v_add_co_u32 v109, vcc_lo, v88, v5
	v_add_co_ci_u32_e32 v110, vcc_lo, 0, v89, vcc_lo
	v_or_b32_e32 v111, 32, v108
	v_or_b32_e32 v112, 64, v108
	v_or_b32_e32 v113, 0x60, v108
	v_or_b32_e32 v114, 0x80, v108
	v_or_b32_e32 v115, 0xa0, v108
	v_or_b32_e32 v116, 0xc0, v108
	v_or_b32_e32 v117, 0xe0, v108
	v_or_b32_e32 v118, 0x100, v108
	v_or_b32_e32 v119, 0x120, v108
	v_or_b32_e32 v120, 0x140, v108
	s_waitcnt lgkmcnt(0)
	s_cmp_lt_u32 s15, s13
	v_or_b32_e32 v121, 0x160, v108
	s_cselect_b32 s13, 14, 20
	v_or_b32_e32 v122, 0x180, v108
	s_add_u32 s16, s36, s13
	s_addc_u32 s17, s37, 0
	s_cmp_lt_u32 s26, s12
	global_load_u16 v4, v3, s[16:17]
	s_cselect_b32 s12, 12, 18
	v_or_b32_e32 v123, 0x1a0, v108
	s_add_u32 s12, s36, s12
	s_addc_u32 s13, s37, 0
	v_or_b32_e32 v124, 0x1c0, v108
	global_load_u16 v6, v3, s[12:13]
	v_cmp_eq_u32_e64 s12, 0, v2
	v_cmp_lt_u32_e64 s13, 1, v2
	v_lshlrev_b32_e32 v2, 2, v106
	v_or_b32_e32 v125, 0x1e0, v108
                                        ; implicit-def: $vgpr8_vgpr9
                                        ; implicit-def: $vgpr10_vgpr11
                                        ; implicit-def: $vgpr12_vgpr13
                                        ; implicit-def: $vgpr14_vgpr15
                                        ; implicit-def: $vgpr16_vgpr17
                                        ; implicit-def: $vgpr18_vgpr19
                                        ; implicit-def: $vgpr20_vgpr21
                                        ; implicit-def: $vgpr22_vgpr23
                                        ; implicit-def: $vgpr24_vgpr25
                                        ; implicit-def: $vgpr26_vgpr27
                                        ; implicit-def: $vgpr28_vgpr29
                                        ; implicit-def: $vgpr30_vgpr31
                                        ; implicit-def: $vgpr32_vgpr33
                                        ; implicit-def: $vgpr34_vgpr35
                                        ; implicit-def: $vgpr131
                                        ; implicit-def: $vgpr132
                                        ; implicit-def: $vgpr133
                                        ; implicit-def: $vgpr134
                                        ; implicit-def: $vgpr135
                                        ; implicit-def: $vgpr136
                                        ; implicit-def: $vgpr137
                                        ; implicit-def: $vgpr138
                                        ; implicit-def: $vgpr139
                                        ; implicit-def: $vgpr140
                                        ; implicit-def: $vgpr141
                                        ; implicit-def: $vgpr142
                                        ; implicit-def: $vgpr143
                                        ; implicit-def: $vgpr144
                                        ; implicit-def: $vgpr145
                                        ; implicit-def: $vgpr146
	s_delay_alu instid0(VALU_DEP_2) | instskip(SKIP_1) | instid1(VALU_DEP_2)
	v_add_co_u32 v126, vcc_lo, v90, v2
	v_add_co_ci_u32_e32 v127, vcc_lo, 0, v91, vcc_lo
	v_add_co_u32 v129, vcc_lo, 0x780, v126
	s_delay_alu instid0(VALU_DEP_2) | instskip(SKIP_3) | instid1(VALU_DEP_1)
	v_add_co_ci_u32_e32 v130, vcc_lo, 0, v127, vcc_lo
	s_waitcnt vmcnt(1)
	v_mad_u32_u24 v7, v69, v4, v0
	s_waitcnt vmcnt(0)
	v_mad_u64_u32 v[4:5], null, v7, v6, v[1:2]
                                        ; implicit-def: $vgpr6_vgpr7
	s_delay_alu instid0(VALU_DEP_1)
	v_lshrrev_b32_e32 v128, 5, v4
                                        ; implicit-def: $vgpr4_vgpr5
	s_branch .LBB608_688
.LBB608_687:                            ;   in Loop: Header=BB608_688 Depth=2
	s_or_b32 exec_lo, exec_lo, s16
	s_addk_i32 s40, 0xf000
	s_cmp_lt_u32 s41, s61
	s_mov_b32 s34, s41
	s_cbranch_scc0 .LBB608_896
.LBB608_688:                            ;   Parent Loop BB608_12 Depth=1
                                        ; =>  This Inner Loop Header: Depth=2
	s_add_i32 s41, s34, 0x1000
	s_delay_alu instid0(SALU_CYCLE_1)
	s_cmp_gt_u32 s41, s61
	s_cbranch_scc1 .LBB608_691
; %bb.689:                              ;   in Loop: Header=BB608_688 Depth=2
	s_mov_b32 s17, 0
	s_mov_b32 s16, s34
	s_delay_alu instid0(SALU_CYCLE_1) | instskip(NEXT) | instid1(SALU_CYCLE_1)
	s_lshl_b64 s[18:19], s[16:17], 2
	v_add_co_u32 v36, vcc_lo, v126, s18
	v_add_co_ci_u32_e32 v37, vcc_lo, s19, v127, vcc_lo
	s_mov_b32 s19, -1
	s_movk_i32 s18, 0x1000
	s_clause 0xe
	global_load_b32 v2, v[36:37], off
	global_load_b32 v148, v[36:37], off offset:128
	global_load_b32 v151, v[36:37], off offset:256
	;; [unrolled: 1-line block ×14, first 2 shown]
	s_cbranch_execz .LBB608_692
; %bb.690:                              ;   in Loop: Header=BB608_688 Depth=2
                                        ; implicit-def: $sgpr20
	v_dual_mov_b32 v36, s20 :: v_dual_mov_b32 v147, s40
	s_and_saveexec_b32 s20, s19
	s_cbranch_execnz .LBB608_723
	s_branch .LBB608_724
.LBB608_691:                            ;   in Loop: Header=BB608_688 Depth=2
	s_mov_b32 s17, -1
	s_mov_b32 s19, 0
                                        ; implicit-def: $sgpr18
                                        ; implicit-def: $vgpr2
                                        ; implicit-def: $vgpr148
                                        ; implicit-def: $vgpr151
                                        ; implicit-def: $vgpr155
                                        ; implicit-def: $vgpr159
                                        ; implicit-def: $vgpr163
                                        ; implicit-def: $vgpr167
                                        ; implicit-def: $vgpr172
                                        ; implicit-def: $vgpr171
                                        ; implicit-def: $vgpr43
                                        ; implicit-def: $vgpr42
                                        ; implicit-def: $vgpr41
                                        ; implicit-def: $vgpr40
                                        ; implicit-def: $vgpr39
                                        ; implicit-def: $vgpr38
.LBB608_692:                            ;   in Loop: Header=BB608_688 Depth=2
	s_lshl_b64 s[16:17], s[34:35], 2
	s_waitcnt vmcnt(13)
	v_bfrev_b32_e32 v148, -2
	v_add_co_u32 v36, vcc_lo, v126, s16
	v_add_co_ci_u32_e32 v37, vcc_lo, s17, v127, vcc_lo
	v_bfrev_b32_e32 v2, -2
	s_mov_b32 s16, exec_lo
	v_cmpx_gt_u32_e64 s40, v108
	s_cbranch_execz .LBB608_694
; %bb.693:                              ;   in Loop: Header=BB608_688 Depth=2
	global_load_b32 v2, v[36:37], off
.LBB608_694:                            ;   in Loop: Header=BB608_688 Depth=2
	s_or_b32 exec_lo, exec_lo, s16
	s_delay_alu instid0(SALU_CYCLE_1)
	s_mov_b32 s16, exec_lo
	v_cmpx_gt_u32_e64 s40, v111
	s_cbranch_execz .LBB608_696
; %bb.695:                              ;   in Loop: Header=BB608_688 Depth=2
	global_load_b32 v148, v[36:37], off offset:128
.LBB608_696:                            ;   in Loop: Header=BB608_688 Depth=2
	s_or_b32 exec_lo, exec_lo, s16
	s_waitcnt vmcnt(11)
	v_bfrev_b32_e32 v155, -2
	v_bfrev_b32_e32 v151, -2
	s_mov_b32 s16, exec_lo
	v_cmpx_gt_u32_e64 s40, v112
	s_cbranch_execz .LBB608_698
; %bb.697:                              ;   in Loop: Header=BB608_688 Depth=2
	global_load_b32 v151, v[36:37], off offset:256
.LBB608_698:                            ;   in Loop: Header=BB608_688 Depth=2
	s_or_b32 exec_lo, exec_lo, s16
	s_delay_alu instid0(SALU_CYCLE_1)
	s_mov_b32 s16, exec_lo
	v_cmpx_gt_u32_e64 s40, v113
	s_cbranch_execz .LBB608_700
; %bb.699:                              ;   in Loop: Header=BB608_688 Depth=2
	global_load_b32 v155, v[36:37], off offset:384
.LBB608_700:                            ;   in Loop: Header=BB608_688 Depth=2
	s_or_b32 exec_lo, exec_lo, s16
	s_waitcnt vmcnt(9)
	v_bfrev_b32_e32 v163, -2
	v_bfrev_b32_e32 v159, -2
	s_mov_b32 s16, exec_lo
	v_cmpx_gt_u32_e64 s40, v114
	s_cbranch_execz .LBB608_702
; %bb.701:                              ;   in Loop: Header=BB608_688 Depth=2
	global_load_b32 v159, v[36:37], off offset:512
.LBB608_702:                            ;   in Loop: Header=BB608_688 Depth=2
	;; [unrolled: 18-line block ×6, first 2 shown]
	s_or_b32 exec_lo, exec_lo, s16
	s_delay_alu instid0(SALU_CYCLE_1)
	s_mov_b32 s16, exec_lo
	v_cmpx_gt_u32_e64 s40, v123
	s_cbranch_execz .LBB608_720
; %bb.719:                              ;   in Loop: Header=BB608_688 Depth=2
	global_load_b32 v39, v[36:37], off offset:1664
.LBB608_720:                            ;   in Loop: Header=BB608_688 Depth=2
	s_or_b32 exec_lo, exec_lo, s16
	s_waitcnt vmcnt(0)
	v_bfrev_b32_e32 v38, -2
	s_mov_b32 s16, exec_lo
	v_cmpx_gt_u32_e64 s40, v124
	s_cbranch_execz .LBB608_722
; %bb.721:                              ;   in Loop: Header=BB608_688 Depth=2
	global_load_b32 v38, v[36:37], off offset:1792
.LBB608_722:                            ;   in Loop: Header=BB608_688 Depth=2
	s_or_b32 exec_lo, exec_lo, s16
	v_cmp_gt_u32_e64 s19, s40, v125
	s_sub_i32 s18, s61, s34
	s_brev_b32 s20, -2
	s_mov_b64 s[16:17], s[34:35]
	v_dual_mov_b32 v36, s20 :: v_dual_mov_b32 v147, s40
	s_and_saveexec_b32 s20, s19
	s_cbranch_execz .LBB608_724
.LBB608_723:                            ;   in Loop: Header=BB608_688 Depth=2
	s_lshl_b64 s[16:17], s[16:17], 2
	v_mov_b32_e32 v147, s18
	v_add_co_u32 v36, vcc_lo, v129, s16
	v_add_co_ci_u32_e32 v37, vcc_lo, s17, v130, vcc_lo
	global_load_b32 v36, v[36:37], off
.LBB608_724:                            ;   in Loop: Header=BB608_688 Depth=2
	s_or_b32 exec_lo, exec_lo, s20
	s_waitcnt vmcnt(14)
	v_xor_b32_e32 v2, 0x80000000, v2
	ds_store_b32 v70, v3 offset:1056
	ds_store_2addr_b32 v71, v3, v3 offset0:1 offset1:2
	ds_store_2addr_b32 v71, v3, v3 offset0:3 offset1:4
	;; [unrolled: 1-line block ×4, first 2 shown]
	s_waitcnt vmcnt(0) lgkmcnt(0)
	s_barrier
	v_lshrrev_b32_e32 v37, s57, v2
	buffer_gl0_inv
	; wave barrier
	v_and_b32_e32 v150, s39, v37
	s_delay_alu instid0(VALU_DEP_1)
	v_and_b32_e32 v37, 1, v150
	v_lshlrev_b32_e32 v149, 30, v150
	v_lshlrev_b32_e32 v152, 29, v150
	;; [unrolled: 1-line block ×4, first 2 shown]
	v_add_co_u32 v37, s16, v37, -1
	s_delay_alu instid0(VALU_DEP_1)
	v_cndmask_b32_e64 v154, 0, 1, s16
	v_not_b32_e32 v160, v149
	v_cmp_gt_i32_e64 s16, 0, v149
	v_not_b32_e32 v149, v152
	v_lshlrev_b32_e32 v157, 26, v150
	v_cmp_ne_u32_e32 vcc_lo, 0, v154
	v_ashrrev_i32_e32 v160, 31, v160
	v_lshlrev_b32_e32 v158, 25, v150
	v_ashrrev_i32_e32 v149, 31, v149
	v_lshlrev_b32_e32 v154, 24, v150
	v_xor_b32_e32 v37, vcc_lo, v37
	v_cmp_gt_i32_e32 vcc_lo, 0, v152
	v_not_b32_e32 v152, v153
	v_xor_b32_e32 v160, s16, v160
	v_cmp_gt_i32_e64 s16, 0, v153
	v_and_b32_e32 v37, exec_lo, v37
	v_not_b32_e32 v153, v156
	v_ashrrev_i32_e32 v152, 31, v152
	v_xor_b32_e32 v149, vcc_lo, v149
	v_cmp_gt_i32_e32 vcc_lo, 0, v156
	v_and_b32_e32 v37, v37, v160
	v_not_b32_e32 v156, v157
	v_ashrrev_i32_e32 v153, 31, v153
	v_xor_b32_e32 v152, s16, v152
	v_cmp_gt_i32_e64 s16, 0, v157
	v_and_b32_e32 v37, v37, v149
	v_not_b32_e32 v149, v158
	v_ashrrev_i32_e32 v156, 31, v156
	v_xor_b32_e32 v153, vcc_lo, v153
	v_cmp_gt_i32_e32 vcc_lo, 0, v158
	v_and_b32_e32 v37, v37, v152
	v_not_b32_e32 v152, v154
	v_ashrrev_i32_e32 v149, 31, v149
	v_xor_b32_e32 v156, s16, v156
	v_cmp_gt_i32_e64 s16, 0, v154
	v_and_b32_e32 v37, v37, v153
	v_ashrrev_i32_e32 v152, 31, v152
	v_xor_b32_e32 v149, vcc_lo, v149
	v_mad_u32_u24 v150, v150, 9, v128
	s_delay_alu instid0(VALU_DEP_4) | instskip(NEXT) | instid1(VALU_DEP_4)
	v_and_b32_e32 v37, v37, v156
	v_xor_b32_e32 v152, s16, v152
	s_delay_alu instid0(VALU_DEP_3) | instskip(NEXT) | instid1(VALU_DEP_3)
	v_lshl_add_u32 v150, v150, 2, 0x420
	v_and_b32_e32 v37, v37, v149
	s_delay_alu instid0(VALU_DEP_1) | instskip(NEXT) | instid1(VALU_DEP_1)
	v_and_b32_e32 v37, v37, v152
	v_mbcnt_lo_u32_b32 v149, v37, 0
	v_cmp_ne_u32_e64 s16, 0, v37
	s_delay_alu instid0(VALU_DEP_2) | instskip(NEXT) | instid1(VALU_DEP_2)
	v_cmp_eq_u32_e32 vcc_lo, 0, v149
	s_and_b32 s17, s16, vcc_lo
	s_delay_alu instid0(SALU_CYCLE_1)
	s_and_saveexec_b32 s16, s17
	s_cbranch_execz .LBB608_726
; %bb.725:                              ;   in Loop: Header=BB608_688 Depth=2
	v_bcnt_u32_b32 v37, v37, 0
	ds_store_b32 v150, v37
.LBB608_726:                            ;   in Loop: Header=BB608_688 Depth=2
	s_or_b32 exec_lo, exec_lo, s16
	v_xor_b32_e32 v148, 0x80000000, v148
	; wave barrier
	s_delay_alu instid0(VALU_DEP_1) | instskip(NEXT) | instid1(VALU_DEP_1)
	v_lshrrev_b32_e32 v37, s57, v148
	v_and_b32_e32 v37, s39, v37
	s_delay_alu instid0(VALU_DEP_1)
	v_and_b32_e32 v152, 1, v37
	v_lshlrev_b32_e32 v153, 30, v37
	v_lshlrev_b32_e32 v154, 29, v37
	;; [unrolled: 1-line block ×4, first 2 shown]
	v_add_co_u32 v152, s16, v152, -1
	s_delay_alu instid0(VALU_DEP_1)
	v_cndmask_b32_e64 v157, 0, 1, s16
	v_not_b32_e32 v162, v153
	v_cmp_gt_i32_e64 s16, 0, v153
	v_not_b32_e32 v153, v154
	v_lshlrev_b32_e32 v160, 26, v37
	v_cmp_ne_u32_e32 vcc_lo, 0, v157
	v_ashrrev_i32_e32 v162, 31, v162
	v_lshlrev_b32_e32 v161, 25, v37
	v_ashrrev_i32_e32 v153, 31, v153
	v_lshlrev_b32_e32 v157, 24, v37
	v_xor_b32_e32 v152, vcc_lo, v152
	v_cmp_gt_i32_e32 vcc_lo, 0, v154
	v_not_b32_e32 v154, v156
	v_xor_b32_e32 v162, s16, v162
	v_cmp_gt_i32_e64 s16, 0, v156
	v_and_b32_e32 v152, exec_lo, v152
	v_not_b32_e32 v156, v158
	v_ashrrev_i32_e32 v154, 31, v154
	v_xor_b32_e32 v153, vcc_lo, v153
	v_cmp_gt_i32_e32 vcc_lo, 0, v158
	v_and_b32_e32 v152, v152, v162
	v_not_b32_e32 v158, v160
	v_ashrrev_i32_e32 v156, 31, v156
	v_xor_b32_e32 v154, s16, v154
	v_cmp_gt_i32_e64 s16, 0, v160
	v_and_b32_e32 v152, v152, v153
	v_not_b32_e32 v153, v161
	v_ashrrev_i32_e32 v158, 31, v158
	v_xor_b32_e32 v156, vcc_lo, v156
	v_cmp_gt_i32_e32 vcc_lo, 0, v161
	v_and_b32_e32 v152, v152, v154
	v_not_b32_e32 v154, v157
	v_ashrrev_i32_e32 v153, 31, v153
	v_xor_b32_e32 v158, s16, v158
	v_mul_u32_u24_e32 v37, 9, v37
	v_and_b32_e32 v152, v152, v156
	v_cmp_gt_i32_e64 s16, 0, v157
	v_ashrrev_i32_e32 v154, 31, v154
	v_xor_b32_e32 v153, vcc_lo, v153
	v_add_lshl_u32 v156, v37, v128, 2
	v_and_b32_e32 v152, v152, v158
	s_delay_alu instid0(VALU_DEP_4) | instskip(NEXT) | instid1(VALU_DEP_3)
	v_xor_b32_e32 v37, s16, v154
	v_add_nc_u32_e32 v154, 0x420, v156
	s_delay_alu instid0(VALU_DEP_3) | instskip(SKIP_2) | instid1(VALU_DEP_1)
	v_and_b32_e32 v153, v152, v153
	ds_load_b32 v152, v156 offset:1056
	; wave barrier
	v_and_b32_e32 v37, v153, v37
	v_mbcnt_lo_u32_b32 v153, v37, 0
	v_cmp_ne_u32_e64 s16, 0, v37
	s_delay_alu instid0(VALU_DEP_2) | instskip(NEXT) | instid1(VALU_DEP_2)
	v_cmp_eq_u32_e32 vcc_lo, 0, v153
	s_and_b32 s17, s16, vcc_lo
	s_delay_alu instid0(SALU_CYCLE_1)
	s_and_saveexec_b32 s16, s17
	s_cbranch_execz .LBB608_728
; %bb.727:                              ;   in Loop: Header=BB608_688 Depth=2
	s_waitcnt lgkmcnt(0)
	v_bcnt_u32_b32 v37, v37, v152
	ds_store_b32 v154, v37
.LBB608_728:                            ;   in Loop: Header=BB608_688 Depth=2
	s_or_b32 exec_lo, exec_lo, s16
	v_xor_b32_e32 v151, 0x80000000, v151
	; wave barrier
	s_delay_alu instid0(VALU_DEP_1) | instskip(NEXT) | instid1(VALU_DEP_1)
	v_lshrrev_b32_e32 v37, s57, v151
	v_and_b32_e32 v37, s39, v37
	s_delay_alu instid0(VALU_DEP_1)
	v_and_b32_e32 v156, 1, v37
	v_lshlrev_b32_e32 v157, 30, v37
	v_lshlrev_b32_e32 v158, 29, v37
	;; [unrolled: 1-line block ×4, first 2 shown]
	v_add_co_u32 v156, s16, v156, -1
	s_delay_alu instid0(VALU_DEP_1)
	v_cndmask_b32_e64 v161, 0, 1, s16
	v_not_b32_e32 v166, v157
	v_cmp_gt_i32_e64 s16, 0, v157
	v_not_b32_e32 v157, v158
	v_lshlrev_b32_e32 v164, 26, v37
	v_cmp_ne_u32_e32 vcc_lo, 0, v161
	v_ashrrev_i32_e32 v166, 31, v166
	v_lshlrev_b32_e32 v165, 25, v37
	v_ashrrev_i32_e32 v157, 31, v157
	v_lshlrev_b32_e32 v161, 24, v37
	v_xor_b32_e32 v156, vcc_lo, v156
	v_cmp_gt_i32_e32 vcc_lo, 0, v158
	v_not_b32_e32 v158, v160
	v_xor_b32_e32 v166, s16, v166
	v_cmp_gt_i32_e64 s16, 0, v160
	v_and_b32_e32 v156, exec_lo, v156
	v_not_b32_e32 v160, v162
	v_ashrrev_i32_e32 v158, 31, v158
	v_xor_b32_e32 v157, vcc_lo, v157
	v_cmp_gt_i32_e32 vcc_lo, 0, v162
	v_and_b32_e32 v156, v156, v166
	v_not_b32_e32 v162, v164
	v_ashrrev_i32_e32 v160, 31, v160
	v_xor_b32_e32 v158, s16, v158
	v_cmp_gt_i32_e64 s16, 0, v164
	v_and_b32_e32 v156, v156, v157
	v_not_b32_e32 v157, v165
	v_ashrrev_i32_e32 v162, 31, v162
	v_xor_b32_e32 v160, vcc_lo, v160
	v_cmp_gt_i32_e32 vcc_lo, 0, v165
	v_and_b32_e32 v156, v156, v158
	v_not_b32_e32 v158, v161
	v_ashrrev_i32_e32 v157, 31, v157
	v_xor_b32_e32 v162, s16, v162
	v_mul_u32_u24_e32 v37, 9, v37
	v_and_b32_e32 v156, v156, v160
	v_cmp_gt_i32_e64 s16, 0, v161
	v_ashrrev_i32_e32 v158, 31, v158
	v_xor_b32_e32 v157, vcc_lo, v157
	v_add_lshl_u32 v160, v37, v128, 2
	v_and_b32_e32 v156, v156, v162
	s_delay_alu instid0(VALU_DEP_4) | instskip(NEXT) | instid1(VALU_DEP_3)
	v_xor_b32_e32 v37, s16, v158
	v_add_nc_u32_e32 v158, 0x420, v160
	s_delay_alu instid0(VALU_DEP_3) | instskip(SKIP_2) | instid1(VALU_DEP_1)
	v_and_b32_e32 v157, v156, v157
	ds_load_b32 v156, v160 offset:1056
	; wave barrier
	v_and_b32_e32 v37, v157, v37
	v_mbcnt_lo_u32_b32 v157, v37, 0
	v_cmp_ne_u32_e64 s16, 0, v37
	s_delay_alu instid0(VALU_DEP_2) | instskip(NEXT) | instid1(VALU_DEP_2)
	v_cmp_eq_u32_e32 vcc_lo, 0, v157
	s_and_b32 s17, s16, vcc_lo
	s_delay_alu instid0(SALU_CYCLE_1)
	s_and_saveexec_b32 s16, s17
	s_cbranch_execz .LBB608_730
; %bb.729:                              ;   in Loop: Header=BB608_688 Depth=2
	s_waitcnt lgkmcnt(0)
	v_bcnt_u32_b32 v37, v37, v156
	ds_store_b32 v158, v37
.LBB608_730:                            ;   in Loop: Header=BB608_688 Depth=2
	s_or_b32 exec_lo, exec_lo, s16
	v_xor_b32_e32 v155, 0x80000000, v155
	; wave barrier
	s_delay_alu instid0(VALU_DEP_1) | instskip(NEXT) | instid1(VALU_DEP_1)
	v_lshrrev_b32_e32 v37, s57, v155
	v_and_b32_e32 v37, s39, v37
	s_delay_alu instid0(VALU_DEP_1)
	v_and_b32_e32 v160, 1, v37
	v_lshlrev_b32_e32 v161, 30, v37
	v_lshlrev_b32_e32 v162, 29, v37
	;; [unrolled: 1-line block ×4, first 2 shown]
	v_add_co_u32 v160, s16, v160, -1
	s_delay_alu instid0(VALU_DEP_1)
	v_cndmask_b32_e64 v165, 0, 1, s16
	v_not_b32_e32 v170, v161
	v_cmp_gt_i32_e64 s16, 0, v161
	v_not_b32_e32 v161, v162
	v_lshlrev_b32_e32 v168, 26, v37
	v_cmp_ne_u32_e32 vcc_lo, 0, v165
	v_ashrrev_i32_e32 v170, 31, v170
	v_lshlrev_b32_e32 v169, 25, v37
	v_ashrrev_i32_e32 v161, 31, v161
	v_lshlrev_b32_e32 v165, 24, v37
	v_xor_b32_e32 v160, vcc_lo, v160
	v_cmp_gt_i32_e32 vcc_lo, 0, v162
	v_not_b32_e32 v162, v164
	v_xor_b32_e32 v170, s16, v170
	v_cmp_gt_i32_e64 s16, 0, v164
	v_and_b32_e32 v160, exec_lo, v160
	v_not_b32_e32 v164, v166
	v_ashrrev_i32_e32 v162, 31, v162
	v_xor_b32_e32 v161, vcc_lo, v161
	v_cmp_gt_i32_e32 vcc_lo, 0, v166
	v_and_b32_e32 v160, v160, v170
	v_not_b32_e32 v166, v168
	v_ashrrev_i32_e32 v164, 31, v164
	v_xor_b32_e32 v162, s16, v162
	v_cmp_gt_i32_e64 s16, 0, v168
	v_and_b32_e32 v160, v160, v161
	v_not_b32_e32 v161, v169
	v_ashrrev_i32_e32 v166, 31, v166
	v_xor_b32_e32 v164, vcc_lo, v164
	v_cmp_gt_i32_e32 vcc_lo, 0, v169
	v_and_b32_e32 v160, v160, v162
	v_not_b32_e32 v162, v165
	v_ashrrev_i32_e32 v161, 31, v161
	v_xor_b32_e32 v166, s16, v166
	v_mul_u32_u24_e32 v37, 9, v37
	v_and_b32_e32 v160, v160, v164
	v_cmp_gt_i32_e64 s16, 0, v165
	v_ashrrev_i32_e32 v162, 31, v162
	v_xor_b32_e32 v161, vcc_lo, v161
	v_add_lshl_u32 v164, v37, v128, 2
	v_and_b32_e32 v160, v160, v166
	s_delay_alu instid0(VALU_DEP_4) | instskip(NEXT) | instid1(VALU_DEP_3)
	v_xor_b32_e32 v37, s16, v162
	v_add_nc_u32_e32 v162, 0x420, v164
	s_delay_alu instid0(VALU_DEP_3) | instskip(SKIP_2) | instid1(VALU_DEP_1)
	v_and_b32_e32 v161, v160, v161
	ds_load_b32 v160, v164 offset:1056
	; wave barrier
	v_and_b32_e32 v37, v161, v37
	v_mbcnt_lo_u32_b32 v161, v37, 0
	v_cmp_ne_u32_e64 s16, 0, v37
	s_delay_alu instid0(VALU_DEP_2) | instskip(NEXT) | instid1(VALU_DEP_2)
	v_cmp_eq_u32_e32 vcc_lo, 0, v161
	s_and_b32 s17, s16, vcc_lo
	s_delay_alu instid0(SALU_CYCLE_1)
	s_and_saveexec_b32 s16, s17
	s_cbranch_execz .LBB608_732
; %bb.731:                              ;   in Loop: Header=BB608_688 Depth=2
	s_waitcnt lgkmcnt(0)
	v_bcnt_u32_b32 v37, v37, v160
	ds_store_b32 v162, v37
.LBB608_732:                            ;   in Loop: Header=BB608_688 Depth=2
	s_or_b32 exec_lo, exec_lo, s16
	v_xor_b32_e32 v159, 0x80000000, v159
	; wave barrier
	s_delay_alu instid0(VALU_DEP_1) | instskip(NEXT) | instid1(VALU_DEP_1)
	v_lshrrev_b32_e32 v37, s57, v159
	v_and_b32_e32 v37, s39, v37
	s_delay_alu instid0(VALU_DEP_1)
	v_and_b32_e32 v164, 1, v37
	v_lshlrev_b32_e32 v165, 30, v37
	v_lshlrev_b32_e32 v166, 29, v37
	;; [unrolled: 1-line block ×4, first 2 shown]
	v_add_co_u32 v164, s16, v164, -1
	s_delay_alu instid0(VALU_DEP_1)
	v_cndmask_b32_e64 v169, 0, 1, s16
	v_not_b32_e32 v175, v165
	v_cmp_gt_i32_e64 s16, 0, v165
	v_not_b32_e32 v165, v166
	v_lshlrev_b32_e32 v173, 26, v37
	v_cmp_ne_u32_e32 vcc_lo, 0, v169
	v_ashrrev_i32_e32 v175, 31, v175
	v_lshlrev_b32_e32 v174, 25, v37
	v_ashrrev_i32_e32 v165, 31, v165
	v_lshlrev_b32_e32 v169, 24, v37
	v_xor_b32_e32 v164, vcc_lo, v164
	v_cmp_gt_i32_e32 vcc_lo, 0, v166
	v_not_b32_e32 v166, v168
	v_xor_b32_e32 v175, s16, v175
	v_cmp_gt_i32_e64 s16, 0, v168
	v_and_b32_e32 v164, exec_lo, v164
	v_not_b32_e32 v168, v170
	v_ashrrev_i32_e32 v166, 31, v166
	v_xor_b32_e32 v165, vcc_lo, v165
	v_cmp_gt_i32_e32 vcc_lo, 0, v170
	v_and_b32_e32 v164, v164, v175
	v_not_b32_e32 v170, v173
	v_ashrrev_i32_e32 v168, 31, v168
	v_xor_b32_e32 v166, s16, v166
	v_cmp_gt_i32_e64 s16, 0, v173
	v_and_b32_e32 v164, v164, v165
	v_not_b32_e32 v165, v174
	v_ashrrev_i32_e32 v170, 31, v170
	v_xor_b32_e32 v168, vcc_lo, v168
	v_cmp_gt_i32_e32 vcc_lo, 0, v174
	v_and_b32_e32 v164, v164, v166
	v_not_b32_e32 v166, v169
	v_ashrrev_i32_e32 v165, 31, v165
	v_xor_b32_e32 v170, s16, v170
	v_mul_u32_u24_e32 v37, 9, v37
	v_and_b32_e32 v164, v164, v168
	v_cmp_gt_i32_e64 s16, 0, v169
	v_ashrrev_i32_e32 v166, 31, v166
	v_xor_b32_e32 v165, vcc_lo, v165
	v_add_lshl_u32 v168, v37, v128, 2
	v_and_b32_e32 v164, v164, v170
	s_delay_alu instid0(VALU_DEP_4) | instskip(NEXT) | instid1(VALU_DEP_3)
	v_xor_b32_e32 v37, s16, v166
	v_add_nc_u32_e32 v166, 0x420, v168
	s_delay_alu instid0(VALU_DEP_3) | instskip(SKIP_2) | instid1(VALU_DEP_1)
	v_and_b32_e32 v165, v164, v165
	ds_load_b32 v164, v168 offset:1056
	; wave barrier
	v_and_b32_e32 v37, v165, v37
	v_mbcnt_lo_u32_b32 v165, v37, 0
	v_cmp_ne_u32_e64 s16, 0, v37
	s_delay_alu instid0(VALU_DEP_2) | instskip(NEXT) | instid1(VALU_DEP_2)
	v_cmp_eq_u32_e32 vcc_lo, 0, v165
	s_and_b32 s17, s16, vcc_lo
	s_delay_alu instid0(SALU_CYCLE_1)
	s_and_saveexec_b32 s16, s17
	s_cbranch_execz .LBB608_734
; %bb.733:                              ;   in Loop: Header=BB608_688 Depth=2
	s_waitcnt lgkmcnt(0)
	v_bcnt_u32_b32 v37, v37, v164
	ds_store_b32 v166, v37
.LBB608_734:                            ;   in Loop: Header=BB608_688 Depth=2
	s_or_b32 exec_lo, exec_lo, s16
	v_xor_b32_e32 v163, 0x80000000, v163
	; wave barrier
	s_delay_alu instid0(VALU_DEP_1) | instskip(NEXT) | instid1(VALU_DEP_1)
	v_lshrrev_b32_e32 v37, s57, v163
	v_and_b32_e32 v37, s39, v37
	s_delay_alu instid0(VALU_DEP_1)
	v_and_b32_e32 v168, 1, v37
	v_lshlrev_b32_e32 v169, 30, v37
	v_lshlrev_b32_e32 v170, 29, v37
	;; [unrolled: 1-line block ×4, first 2 shown]
	v_add_co_u32 v168, s16, v168, -1
	s_delay_alu instid0(VALU_DEP_1)
	v_cndmask_b32_e64 v174, 0, 1, s16
	v_not_b32_e32 v178, v169
	v_cmp_gt_i32_e64 s16, 0, v169
	v_not_b32_e32 v169, v170
	v_lshlrev_b32_e32 v176, 26, v37
	v_cmp_ne_u32_e32 vcc_lo, 0, v174
	v_ashrrev_i32_e32 v178, 31, v178
	v_lshlrev_b32_e32 v177, 25, v37
	v_ashrrev_i32_e32 v169, 31, v169
	v_lshlrev_b32_e32 v174, 24, v37
	v_xor_b32_e32 v168, vcc_lo, v168
	v_cmp_gt_i32_e32 vcc_lo, 0, v170
	v_not_b32_e32 v170, v173
	v_xor_b32_e32 v178, s16, v178
	v_cmp_gt_i32_e64 s16, 0, v173
	v_and_b32_e32 v168, exec_lo, v168
	v_not_b32_e32 v173, v175
	v_ashrrev_i32_e32 v170, 31, v170
	v_xor_b32_e32 v169, vcc_lo, v169
	v_cmp_gt_i32_e32 vcc_lo, 0, v175
	v_and_b32_e32 v168, v168, v178
	v_not_b32_e32 v175, v176
	v_ashrrev_i32_e32 v173, 31, v173
	v_xor_b32_e32 v170, s16, v170
	v_cmp_gt_i32_e64 s16, 0, v176
	v_and_b32_e32 v168, v168, v169
	v_not_b32_e32 v169, v177
	v_ashrrev_i32_e32 v175, 31, v175
	v_xor_b32_e32 v173, vcc_lo, v173
	v_cmp_gt_i32_e32 vcc_lo, 0, v177
	v_and_b32_e32 v168, v168, v170
	v_not_b32_e32 v170, v174
	v_ashrrev_i32_e32 v169, 31, v169
	v_xor_b32_e32 v175, s16, v175
	v_mul_u32_u24_e32 v37, 9, v37
	v_and_b32_e32 v168, v168, v173
	v_cmp_gt_i32_e64 s16, 0, v174
	v_ashrrev_i32_e32 v170, 31, v170
	v_xor_b32_e32 v169, vcc_lo, v169
	v_add_lshl_u32 v173, v37, v128, 2
	v_and_b32_e32 v168, v168, v175
	s_delay_alu instid0(VALU_DEP_4) | instskip(NEXT) | instid1(VALU_DEP_3)
	v_xor_b32_e32 v37, s16, v170
	v_add_nc_u32_e32 v170, 0x420, v173
	s_delay_alu instid0(VALU_DEP_3) | instskip(SKIP_2) | instid1(VALU_DEP_1)
	v_and_b32_e32 v169, v168, v169
	ds_load_b32 v168, v173 offset:1056
	; wave barrier
	v_and_b32_e32 v37, v169, v37
	v_mbcnt_lo_u32_b32 v169, v37, 0
	v_cmp_ne_u32_e64 s16, 0, v37
	s_delay_alu instid0(VALU_DEP_2) | instskip(NEXT) | instid1(VALU_DEP_2)
	v_cmp_eq_u32_e32 vcc_lo, 0, v169
	s_and_b32 s17, s16, vcc_lo
	s_delay_alu instid0(SALU_CYCLE_1)
	s_and_saveexec_b32 s16, s17
	s_cbranch_execz .LBB608_736
; %bb.735:                              ;   in Loop: Header=BB608_688 Depth=2
	s_waitcnt lgkmcnt(0)
	v_bcnt_u32_b32 v37, v37, v168
	ds_store_b32 v170, v37
.LBB608_736:                            ;   in Loop: Header=BB608_688 Depth=2
	s_or_b32 exec_lo, exec_lo, s16
	v_xor_b32_e32 v167, 0x80000000, v167
	; wave barrier
	s_delay_alu instid0(VALU_DEP_1) | instskip(NEXT) | instid1(VALU_DEP_1)
	v_lshrrev_b32_e32 v37, s57, v167
	v_and_b32_e32 v37, s39, v37
	s_delay_alu instid0(VALU_DEP_1)
	v_and_b32_e32 v173, 1, v37
	v_lshlrev_b32_e32 v174, 30, v37
	v_lshlrev_b32_e32 v175, 29, v37
	;; [unrolled: 1-line block ×4, first 2 shown]
	v_add_co_u32 v173, s16, v173, -1
	s_delay_alu instid0(VALU_DEP_1)
	v_cndmask_b32_e64 v177, 0, 1, s16
	v_not_b32_e32 v181, v174
	v_cmp_gt_i32_e64 s16, 0, v174
	v_not_b32_e32 v174, v175
	v_lshlrev_b32_e32 v179, 26, v37
	v_cmp_ne_u32_e32 vcc_lo, 0, v177
	v_ashrrev_i32_e32 v181, 31, v181
	v_lshlrev_b32_e32 v180, 25, v37
	v_ashrrev_i32_e32 v174, 31, v174
	v_lshlrev_b32_e32 v177, 24, v37
	v_xor_b32_e32 v173, vcc_lo, v173
	v_cmp_gt_i32_e32 vcc_lo, 0, v175
	v_not_b32_e32 v175, v176
	v_xor_b32_e32 v181, s16, v181
	v_cmp_gt_i32_e64 s16, 0, v176
	v_and_b32_e32 v173, exec_lo, v173
	v_not_b32_e32 v176, v178
	v_ashrrev_i32_e32 v175, 31, v175
	v_xor_b32_e32 v174, vcc_lo, v174
	v_cmp_gt_i32_e32 vcc_lo, 0, v178
	v_and_b32_e32 v173, v173, v181
	v_not_b32_e32 v178, v179
	v_ashrrev_i32_e32 v176, 31, v176
	v_xor_b32_e32 v175, s16, v175
	v_cmp_gt_i32_e64 s16, 0, v179
	v_and_b32_e32 v173, v173, v174
	v_not_b32_e32 v174, v180
	v_ashrrev_i32_e32 v178, 31, v178
	v_xor_b32_e32 v176, vcc_lo, v176
	v_cmp_gt_i32_e32 vcc_lo, 0, v180
	v_and_b32_e32 v173, v173, v175
	v_not_b32_e32 v175, v177
	v_ashrrev_i32_e32 v174, 31, v174
	v_xor_b32_e32 v178, s16, v178
	v_mul_u32_u24_e32 v37, 9, v37
	v_and_b32_e32 v173, v173, v176
	v_cmp_gt_i32_e64 s16, 0, v177
	v_ashrrev_i32_e32 v175, 31, v175
	v_xor_b32_e32 v174, vcc_lo, v174
	v_add_lshl_u32 v176, v37, v128, 2
	v_and_b32_e32 v173, v173, v178
	s_delay_alu instid0(VALU_DEP_4) | instskip(NEXT) | instid1(VALU_DEP_3)
	v_xor_b32_e32 v37, s16, v175
	v_add_nc_u32_e32 v175, 0x420, v176
	s_delay_alu instid0(VALU_DEP_3) | instskip(SKIP_2) | instid1(VALU_DEP_1)
	v_and_b32_e32 v174, v173, v174
	ds_load_b32 v173, v176 offset:1056
	; wave barrier
	v_and_b32_e32 v37, v174, v37
	v_mbcnt_lo_u32_b32 v174, v37, 0
	v_cmp_ne_u32_e64 s16, 0, v37
	s_delay_alu instid0(VALU_DEP_2) | instskip(NEXT) | instid1(VALU_DEP_2)
	v_cmp_eq_u32_e32 vcc_lo, 0, v174
	s_and_b32 s17, s16, vcc_lo
	s_delay_alu instid0(SALU_CYCLE_1)
	s_and_saveexec_b32 s16, s17
	s_cbranch_execz .LBB608_738
; %bb.737:                              ;   in Loop: Header=BB608_688 Depth=2
	s_waitcnt lgkmcnt(0)
	v_bcnt_u32_b32 v37, v37, v173
	ds_store_b32 v175, v37
.LBB608_738:                            ;   in Loop: Header=BB608_688 Depth=2
	s_or_b32 exec_lo, exec_lo, s16
	v_xor_b32_e32 v172, 0x80000000, v172
	; wave barrier
	s_delay_alu instid0(VALU_DEP_1) | instskip(NEXT) | instid1(VALU_DEP_1)
	v_lshrrev_b32_e32 v37, s57, v172
	v_and_b32_e32 v37, s39, v37
	s_delay_alu instid0(VALU_DEP_1)
	v_and_b32_e32 v176, 1, v37
	v_lshlrev_b32_e32 v177, 30, v37
	v_lshlrev_b32_e32 v178, 29, v37
	;; [unrolled: 1-line block ×4, first 2 shown]
	v_add_co_u32 v176, s16, v176, -1
	s_delay_alu instid0(VALU_DEP_1)
	v_cndmask_b32_e64 v180, 0, 1, s16
	v_not_b32_e32 v184, v177
	v_cmp_gt_i32_e64 s16, 0, v177
	v_not_b32_e32 v177, v178
	v_lshlrev_b32_e32 v182, 26, v37
	v_cmp_ne_u32_e32 vcc_lo, 0, v180
	v_ashrrev_i32_e32 v184, 31, v184
	v_lshlrev_b32_e32 v183, 25, v37
	v_ashrrev_i32_e32 v177, 31, v177
	v_lshlrev_b32_e32 v180, 24, v37
	v_xor_b32_e32 v176, vcc_lo, v176
	v_cmp_gt_i32_e32 vcc_lo, 0, v178
	v_not_b32_e32 v178, v179
	v_xor_b32_e32 v184, s16, v184
	v_cmp_gt_i32_e64 s16, 0, v179
	v_and_b32_e32 v176, exec_lo, v176
	v_not_b32_e32 v179, v181
	v_ashrrev_i32_e32 v178, 31, v178
	v_xor_b32_e32 v177, vcc_lo, v177
	v_cmp_gt_i32_e32 vcc_lo, 0, v181
	v_and_b32_e32 v176, v176, v184
	v_not_b32_e32 v181, v182
	v_ashrrev_i32_e32 v179, 31, v179
	v_xor_b32_e32 v178, s16, v178
	v_cmp_gt_i32_e64 s16, 0, v182
	v_and_b32_e32 v176, v176, v177
	v_not_b32_e32 v177, v183
	v_ashrrev_i32_e32 v181, 31, v181
	v_xor_b32_e32 v179, vcc_lo, v179
	v_cmp_gt_i32_e32 vcc_lo, 0, v183
	v_and_b32_e32 v176, v176, v178
	v_not_b32_e32 v178, v180
	v_ashrrev_i32_e32 v177, 31, v177
	v_xor_b32_e32 v181, s16, v181
	v_mul_u32_u24_e32 v37, 9, v37
	v_and_b32_e32 v176, v176, v179
	v_cmp_gt_i32_e64 s16, 0, v180
	v_ashrrev_i32_e32 v178, 31, v178
	v_xor_b32_e32 v177, vcc_lo, v177
	v_add_lshl_u32 v179, v37, v128, 2
	v_and_b32_e32 v176, v176, v181
	s_delay_alu instid0(VALU_DEP_4) | instskip(NEXT) | instid1(VALU_DEP_3)
	v_xor_b32_e32 v37, s16, v178
	v_add_nc_u32_e32 v178, 0x420, v179
	s_delay_alu instid0(VALU_DEP_3) | instskip(SKIP_2) | instid1(VALU_DEP_1)
	v_and_b32_e32 v177, v176, v177
	ds_load_b32 v176, v179 offset:1056
	; wave barrier
	v_and_b32_e32 v37, v177, v37
	v_mbcnt_lo_u32_b32 v177, v37, 0
	v_cmp_ne_u32_e64 s16, 0, v37
	s_delay_alu instid0(VALU_DEP_2) | instskip(NEXT) | instid1(VALU_DEP_2)
	v_cmp_eq_u32_e32 vcc_lo, 0, v177
	s_and_b32 s17, s16, vcc_lo
	s_delay_alu instid0(SALU_CYCLE_1)
	s_and_saveexec_b32 s16, s17
	s_cbranch_execz .LBB608_740
; %bb.739:                              ;   in Loop: Header=BB608_688 Depth=2
	s_waitcnt lgkmcnt(0)
	v_bcnt_u32_b32 v37, v37, v176
	ds_store_b32 v178, v37
.LBB608_740:                            ;   in Loop: Header=BB608_688 Depth=2
	s_or_b32 exec_lo, exec_lo, s16
	v_xor_b32_e32 v171, 0x80000000, v171
	; wave barrier
	s_delay_alu instid0(VALU_DEP_1) | instskip(NEXT) | instid1(VALU_DEP_1)
	v_lshrrev_b32_e32 v37, s57, v171
	v_and_b32_e32 v37, s39, v37
	s_delay_alu instid0(VALU_DEP_1)
	v_and_b32_e32 v179, 1, v37
	v_lshlrev_b32_e32 v180, 30, v37
	v_lshlrev_b32_e32 v181, 29, v37
	;; [unrolled: 1-line block ×4, first 2 shown]
	v_add_co_u32 v179, s16, v179, -1
	s_delay_alu instid0(VALU_DEP_1)
	v_cndmask_b32_e64 v183, 0, 1, s16
	v_not_b32_e32 v187, v180
	v_cmp_gt_i32_e64 s16, 0, v180
	v_not_b32_e32 v180, v181
	v_lshlrev_b32_e32 v185, 26, v37
	v_cmp_ne_u32_e32 vcc_lo, 0, v183
	v_ashrrev_i32_e32 v187, 31, v187
	v_lshlrev_b32_e32 v186, 25, v37
	v_ashrrev_i32_e32 v180, 31, v180
	v_lshlrev_b32_e32 v183, 24, v37
	v_xor_b32_e32 v179, vcc_lo, v179
	v_cmp_gt_i32_e32 vcc_lo, 0, v181
	v_not_b32_e32 v181, v182
	v_xor_b32_e32 v187, s16, v187
	v_cmp_gt_i32_e64 s16, 0, v182
	v_and_b32_e32 v179, exec_lo, v179
	v_not_b32_e32 v182, v184
	v_ashrrev_i32_e32 v181, 31, v181
	v_xor_b32_e32 v180, vcc_lo, v180
	v_cmp_gt_i32_e32 vcc_lo, 0, v184
	v_and_b32_e32 v179, v179, v187
	v_not_b32_e32 v184, v185
	v_ashrrev_i32_e32 v182, 31, v182
	v_xor_b32_e32 v181, s16, v181
	v_cmp_gt_i32_e64 s16, 0, v185
	v_and_b32_e32 v179, v179, v180
	v_not_b32_e32 v180, v186
	v_ashrrev_i32_e32 v184, 31, v184
	v_xor_b32_e32 v182, vcc_lo, v182
	v_cmp_gt_i32_e32 vcc_lo, 0, v186
	v_and_b32_e32 v179, v179, v181
	v_not_b32_e32 v181, v183
	v_ashrrev_i32_e32 v180, 31, v180
	v_xor_b32_e32 v184, s16, v184
	v_mul_u32_u24_e32 v37, 9, v37
	v_and_b32_e32 v179, v179, v182
	v_cmp_gt_i32_e64 s16, 0, v183
	v_ashrrev_i32_e32 v181, 31, v181
	v_xor_b32_e32 v180, vcc_lo, v180
	v_add_lshl_u32 v182, v37, v128, 2
	v_and_b32_e32 v179, v179, v184
	s_delay_alu instid0(VALU_DEP_4) | instskip(NEXT) | instid1(VALU_DEP_2)
	v_xor_b32_e32 v37, s16, v181
	v_and_b32_e32 v179, v179, v180
	ds_load_b32 v180, v182 offset:1056
	v_add_nc_u32_e32 v182, 0x420, v182
	; wave barrier
	v_and_b32_e32 v37, v179, v37
	s_delay_alu instid0(VALU_DEP_1) | instskip(SKIP_1) | instid1(VALU_DEP_2)
	v_mbcnt_lo_u32_b32 v181, v37, 0
	v_cmp_ne_u32_e64 s16, 0, v37
	v_cmp_eq_u32_e32 vcc_lo, 0, v181
	s_delay_alu instid0(VALU_DEP_2) | instskip(NEXT) | instid1(SALU_CYCLE_1)
	s_and_b32 s17, s16, vcc_lo
	s_and_saveexec_b32 s16, s17
	s_cbranch_execz .LBB608_742
; %bb.741:                              ;   in Loop: Header=BB608_688 Depth=2
	s_waitcnt lgkmcnt(0)
	v_bcnt_u32_b32 v37, v37, v180
	ds_store_b32 v182, v37
.LBB608_742:                            ;   in Loop: Header=BB608_688 Depth=2
	s_or_b32 exec_lo, exec_lo, s16
	v_xor_b32_e32 v179, 0x80000000, v43
	; wave barrier
	s_delay_alu instid0(VALU_DEP_1) | instskip(NEXT) | instid1(VALU_DEP_1)
	v_lshrrev_b32_e32 v37, s57, v179
	v_and_b32_e32 v37, s39, v37
	s_delay_alu instid0(VALU_DEP_1)
	v_and_b32_e32 v43, 1, v37
	v_lshlrev_b32_e32 v183, 30, v37
	v_lshlrev_b32_e32 v184, 29, v37
	;; [unrolled: 1-line block ×4, first 2 shown]
	v_add_co_u32 v43, s16, v43, -1
	s_delay_alu instid0(VALU_DEP_1)
	v_cndmask_b32_e64 v186, 0, 1, s16
	v_not_b32_e32 v190, v183
	v_cmp_gt_i32_e64 s16, 0, v183
	v_not_b32_e32 v183, v184
	v_lshlrev_b32_e32 v188, 26, v37
	v_cmp_ne_u32_e32 vcc_lo, 0, v186
	v_ashrrev_i32_e32 v190, 31, v190
	v_lshlrev_b32_e32 v189, 25, v37
	v_ashrrev_i32_e32 v183, 31, v183
	v_lshlrev_b32_e32 v186, 24, v37
	v_xor_b32_e32 v43, vcc_lo, v43
	v_cmp_gt_i32_e32 vcc_lo, 0, v184
	v_not_b32_e32 v184, v185
	v_xor_b32_e32 v190, s16, v190
	v_cmp_gt_i32_e64 s16, 0, v185
	v_and_b32_e32 v43, exec_lo, v43
	v_not_b32_e32 v185, v187
	v_ashrrev_i32_e32 v184, 31, v184
	v_xor_b32_e32 v183, vcc_lo, v183
	v_cmp_gt_i32_e32 vcc_lo, 0, v187
	v_and_b32_e32 v43, v43, v190
	v_not_b32_e32 v187, v188
	v_ashrrev_i32_e32 v185, 31, v185
	v_xor_b32_e32 v184, s16, v184
	v_cmp_gt_i32_e64 s16, 0, v188
	v_and_b32_e32 v43, v43, v183
	v_not_b32_e32 v183, v189
	v_ashrrev_i32_e32 v187, 31, v187
	v_xor_b32_e32 v185, vcc_lo, v185
	v_cmp_gt_i32_e32 vcc_lo, 0, v189
	v_and_b32_e32 v43, v43, v184
	v_not_b32_e32 v184, v186
	v_ashrrev_i32_e32 v183, 31, v183
	v_xor_b32_e32 v187, s16, v187
	v_mul_u32_u24_e32 v37, 9, v37
	v_and_b32_e32 v43, v43, v185
	v_cmp_gt_i32_e64 s16, 0, v186
	v_ashrrev_i32_e32 v184, 31, v184
	v_xor_b32_e32 v183, vcc_lo, v183
	v_add_lshl_u32 v186, v37, v128, 2
	v_and_b32_e32 v43, v43, v187
	s_delay_alu instid0(VALU_DEP_4) | instskip(SKIP_3) | instid1(VALU_DEP_2)
	v_xor_b32_e32 v37, s16, v184
	ds_load_b32 v184, v186 offset:1056
	v_and_b32_e32 v43, v43, v183
	v_add_nc_u32_e32 v186, 0x420, v186
	; wave barrier
	v_and_b32_e32 v37, v43, v37
	s_delay_alu instid0(VALU_DEP_1) | instskip(SKIP_1) | instid1(VALU_DEP_2)
	v_mbcnt_lo_u32_b32 v185, v37, 0
	v_cmp_ne_u32_e64 s16, 0, v37
	v_cmp_eq_u32_e32 vcc_lo, 0, v185
	s_delay_alu instid0(VALU_DEP_2) | instskip(NEXT) | instid1(SALU_CYCLE_1)
	s_and_b32 s17, s16, vcc_lo
	s_and_saveexec_b32 s16, s17
	s_cbranch_execz .LBB608_744
; %bb.743:                              ;   in Loop: Header=BB608_688 Depth=2
	s_waitcnt lgkmcnt(0)
	v_bcnt_u32_b32 v37, v37, v184
	ds_store_b32 v186, v37
.LBB608_744:                            ;   in Loop: Header=BB608_688 Depth=2
	s_or_b32 exec_lo, exec_lo, s16
	v_xor_b32_e32 v183, 0x80000000, v42
	; wave barrier
	s_delay_alu instid0(VALU_DEP_1) | instskip(NEXT) | instid1(VALU_DEP_1)
	v_lshrrev_b32_e32 v37, s57, v183
	v_and_b32_e32 v37, s39, v37
	s_delay_alu instid0(VALU_DEP_1)
	v_and_b32_e32 v42, 1, v37
	v_lshlrev_b32_e32 v43, 30, v37
	v_lshlrev_b32_e32 v187, 29, v37
	;; [unrolled: 1-line block ×4, first 2 shown]
	v_add_co_u32 v42, s16, v42, -1
	s_delay_alu instid0(VALU_DEP_1)
	v_cndmask_b32_e64 v189, 0, 1, s16
	v_not_b32_e32 v193, v43
	v_cmp_gt_i32_e64 s16, 0, v43
	v_not_b32_e32 v43, v187
	v_lshlrev_b32_e32 v191, 26, v37
	v_cmp_ne_u32_e32 vcc_lo, 0, v189
	v_ashrrev_i32_e32 v193, 31, v193
	v_lshlrev_b32_e32 v192, 25, v37
	v_ashrrev_i32_e32 v43, 31, v43
	v_lshlrev_b32_e32 v189, 24, v37
	v_xor_b32_e32 v42, vcc_lo, v42
	v_cmp_gt_i32_e32 vcc_lo, 0, v187
	v_not_b32_e32 v187, v188
	v_xor_b32_e32 v193, s16, v193
	v_cmp_gt_i32_e64 s16, 0, v188
	v_and_b32_e32 v42, exec_lo, v42
	v_not_b32_e32 v188, v190
	v_ashrrev_i32_e32 v187, 31, v187
	v_xor_b32_e32 v43, vcc_lo, v43
	v_cmp_gt_i32_e32 vcc_lo, 0, v190
	v_and_b32_e32 v42, v42, v193
	v_not_b32_e32 v190, v191
	v_ashrrev_i32_e32 v188, 31, v188
	v_xor_b32_e32 v187, s16, v187
	v_cmp_gt_i32_e64 s16, 0, v191
	v_and_b32_e32 v42, v42, v43
	v_not_b32_e32 v43, v192
	v_ashrrev_i32_e32 v190, 31, v190
	v_xor_b32_e32 v188, vcc_lo, v188
	v_cmp_gt_i32_e32 vcc_lo, 0, v192
	v_and_b32_e32 v42, v42, v187
	v_not_b32_e32 v187, v189
	v_ashrrev_i32_e32 v43, 31, v43
	v_xor_b32_e32 v190, s16, v190
	v_mul_u32_u24_e32 v37, 9, v37
	v_and_b32_e32 v42, v42, v188
	v_cmp_gt_i32_e64 s16, 0, v189
	v_ashrrev_i32_e32 v187, 31, v187
	v_xor_b32_e32 v43, vcc_lo, v43
	s_delay_alu instid0(VALU_DEP_4) | instskip(SKIP_1) | instid1(VALU_DEP_4)
	v_and_b32_e32 v42, v42, v190
	v_add_lshl_u32 v190, v37, v128, 2
	v_xor_b32_e32 v37, s16, v187
	s_delay_alu instid0(VALU_DEP_3) | instskip(SKIP_3) | instid1(VALU_DEP_1)
	v_and_b32_e32 v42, v42, v43
	ds_load_b32 v188, v190 offset:1056
	v_add_nc_u32_e32 v190, 0x420, v190
	; wave barrier
	v_and_b32_e32 v37, v42, v37
	v_mbcnt_lo_u32_b32 v189, v37, 0
	v_cmp_ne_u32_e64 s16, 0, v37
	s_delay_alu instid0(VALU_DEP_2) | instskip(NEXT) | instid1(VALU_DEP_2)
	v_cmp_eq_u32_e32 vcc_lo, 0, v189
	s_and_b32 s17, s16, vcc_lo
	s_delay_alu instid0(SALU_CYCLE_1)
	s_and_saveexec_b32 s16, s17
	s_cbranch_execz .LBB608_746
; %bb.745:                              ;   in Loop: Header=BB608_688 Depth=2
	s_waitcnt lgkmcnt(0)
	v_bcnt_u32_b32 v37, v37, v188
	ds_store_b32 v190, v37
.LBB608_746:                            ;   in Loop: Header=BB608_688 Depth=2
	s_or_b32 exec_lo, exec_lo, s16
	v_xor_b32_e32 v187, 0x80000000, v41
	; wave barrier
	s_delay_alu instid0(VALU_DEP_1) | instskip(NEXT) | instid1(VALU_DEP_1)
	v_lshrrev_b32_e32 v37, s57, v187
	v_and_b32_e32 v37, s39, v37
	s_delay_alu instid0(VALU_DEP_1)
	v_and_b32_e32 v41, 1, v37
	v_lshlrev_b32_e32 v42, 30, v37
	v_lshlrev_b32_e32 v43, 29, v37
	;; [unrolled: 1-line block ×4, first 2 shown]
	v_add_co_u32 v41, s16, v41, -1
	s_delay_alu instid0(VALU_DEP_1)
	v_cndmask_b32_e64 v192, 0, 1, s16
	v_not_b32_e32 v196, v42
	v_cmp_gt_i32_e64 s16, 0, v42
	v_not_b32_e32 v42, v43
	v_lshlrev_b32_e32 v194, 26, v37
	v_cmp_ne_u32_e32 vcc_lo, 0, v192
	v_ashrrev_i32_e32 v196, 31, v196
	v_lshlrev_b32_e32 v195, 25, v37
	v_ashrrev_i32_e32 v42, 31, v42
	v_lshlrev_b32_e32 v192, 24, v37
	v_xor_b32_e32 v41, vcc_lo, v41
	v_cmp_gt_i32_e32 vcc_lo, 0, v43
	v_not_b32_e32 v43, v191
	v_xor_b32_e32 v196, s16, v196
	v_cmp_gt_i32_e64 s16, 0, v191
	v_and_b32_e32 v41, exec_lo, v41
	v_not_b32_e32 v191, v193
	v_ashrrev_i32_e32 v43, 31, v43
	v_xor_b32_e32 v42, vcc_lo, v42
	v_cmp_gt_i32_e32 vcc_lo, 0, v193
	v_and_b32_e32 v41, v41, v196
	v_not_b32_e32 v193, v194
	v_ashrrev_i32_e32 v191, 31, v191
	v_xor_b32_e32 v43, s16, v43
	v_cmp_gt_i32_e64 s16, 0, v194
	v_and_b32_e32 v41, v41, v42
	v_not_b32_e32 v42, v195
	v_ashrrev_i32_e32 v193, 31, v193
	v_xor_b32_e32 v191, vcc_lo, v191
	v_cmp_gt_i32_e32 vcc_lo, 0, v195
	v_and_b32_e32 v41, v41, v43
	v_not_b32_e32 v43, v192
	v_ashrrev_i32_e32 v42, 31, v42
	v_xor_b32_e32 v193, s16, v193
	v_mul_u32_u24_e32 v37, 9, v37
	v_and_b32_e32 v41, v41, v191
	v_cmp_gt_i32_e64 s16, 0, v192
	v_ashrrev_i32_e32 v43, 31, v43
	v_xor_b32_e32 v42, vcc_lo, v42
	v_add_lshl_u32 v191, v37, v128, 2
	v_and_b32_e32 v41, v41, v193
	s_delay_alu instid0(VALU_DEP_4) | instskip(SKIP_3) | instid1(VALU_DEP_2)
	v_xor_b32_e32 v37, s16, v43
	ds_load_b32 v192, v191 offset:1056
	v_and_b32_e32 v41, v41, v42
	v_add_nc_u32_e32 v194, 0x420, v191
	; wave barrier
	v_and_b32_e32 v37, v41, v37
	s_delay_alu instid0(VALU_DEP_1) | instskip(SKIP_1) | instid1(VALU_DEP_2)
	v_mbcnt_lo_u32_b32 v193, v37, 0
	v_cmp_ne_u32_e64 s16, 0, v37
	v_cmp_eq_u32_e32 vcc_lo, 0, v193
	s_delay_alu instid0(VALU_DEP_2) | instskip(NEXT) | instid1(SALU_CYCLE_1)
	s_and_b32 s17, s16, vcc_lo
	s_and_saveexec_b32 s16, s17
	s_cbranch_execz .LBB608_748
; %bb.747:                              ;   in Loop: Header=BB608_688 Depth=2
	s_waitcnt lgkmcnt(0)
	v_bcnt_u32_b32 v37, v37, v192
	ds_store_b32 v194, v37
.LBB608_748:                            ;   in Loop: Header=BB608_688 Depth=2
	s_or_b32 exec_lo, exec_lo, s16
	v_xor_b32_e32 v191, 0x80000000, v40
	; wave barrier
	s_delay_alu instid0(VALU_DEP_1) | instskip(NEXT) | instid1(VALU_DEP_1)
	v_lshrrev_b32_e32 v37, s57, v191
	v_and_b32_e32 v37, s39, v37
	s_delay_alu instid0(VALU_DEP_1)
	v_and_b32_e32 v40, 1, v37
	v_lshlrev_b32_e32 v41, 30, v37
	v_lshlrev_b32_e32 v42, 29, v37
	;; [unrolled: 1-line block ×4, first 2 shown]
	v_add_co_u32 v40, s16, v40, -1
	s_delay_alu instid0(VALU_DEP_1)
	v_cndmask_b32_e64 v195, 0, 1, s16
	v_not_b32_e32 v199, v41
	v_cmp_gt_i32_e64 s16, 0, v41
	v_not_b32_e32 v41, v42
	v_lshlrev_b32_e32 v197, 26, v37
	v_cmp_ne_u32_e32 vcc_lo, 0, v195
	v_ashrrev_i32_e32 v199, 31, v199
	v_lshlrev_b32_e32 v198, 25, v37
	v_ashrrev_i32_e32 v41, 31, v41
	v_lshlrev_b32_e32 v195, 24, v37
	v_xor_b32_e32 v40, vcc_lo, v40
	v_cmp_gt_i32_e32 vcc_lo, 0, v42
	v_not_b32_e32 v42, v43
	v_xor_b32_e32 v199, s16, v199
	v_cmp_gt_i32_e64 s16, 0, v43
	v_and_b32_e32 v40, exec_lo, v40
	v_not_b32_e32 v43, v196
	v_ashrrev_i32_e32 v42, 31, v42
	v_xor_b32_e32 v41, vcc_lo, v41
	v_cmp_gt_i32_e32 vcc_lo, 0, v196
	v_and_b32_e32 v40, v40, v199
	v_not_b32_e32 v196, v197
	v_ashrrev_i32_e32 v43, 31, v43
	v_xor_b32_e32 v42, s16, v42
	v_cmp_gt_i32_e64 s16, 0, v197
	v_and_b32_e32 v40, v40, v41
	v_not_b32_e32 v41, v198
	v_ashrrev_i32_e32 v196, 31, v196
	v_xor_b32_e32 v43, vcc_lo, v43
	v_cmp_gt_i32_e32 vcc_lo, 0, v198
	v_and_b32_e32 v40, v40, v42
	v_not_b32_e32 v42, v195
	v_ashrrev_i32_e32 v41, 31, v41
	v_xor_b32_e32 v196, s16, v196
	v_mul_u32_u24_e32 v37, 9, v37
	v_and_b32_e32 v40, v40, v43
	v_cmp_gt_i32_e64 s16, 0, v195
	v_ashrrev_i32_e32 v42, 31, v42
	v_xor_b32_e32 v41, vcc_lo, v41
	v_add_lshl_u32 v43, v37, v128, 2
	v_and_b32_e32 v40, v40, v196
	s_delay_alu instid0(VALU_DEP_4) | instskip(SKIP_3) | instid1(VALU_DEP_2)
	v_xor_b32_e32 v37, s16, v42
	ds_load_b32 v196, v43 offset:1056
	v_and_b32_e32 v40, v40, v41
	v_add_nc_u32_e32 v198, 0x420, v43
	; wave barrier
	v_and_b32_e32 v37, v40, v37
	s_delay_alu instid0(VALU_DEP_1) | instskip(SKIP_1) | instid1(VALU_DEP_2)
	v_mbcnt_lo_u32_b32 v197, v37, 0
	v_cmp_ne_u32_e64 s16, 0, v37
	v_cmp_eq_u32_e32 vcc_lo, 0, v197
	s_delay_alu instid0(VALU_DEP_2) | instskip(NEXT) | instid1(SALU_CYCLE_1)
	s_and_b32 s17, s16, vcc_lo
	s_and_saveexec_b32 s16, s17
	s_cbranch_execz .LBB608_750
; %bb.749:                              ;   in Loop: Header=BB608_688 Depth=2
	s_waitcnt lgkmcnt(0)
	v_bcnt_u32_b32 v37, v37, v196
	ds_store_b32 v198, v37
.LBB608_750:                            ;   in Loop: Header=BB608_688 Depth=2
	s_or_b32 exec_lo, exec_lo, s16
	v_xor_b32_e32 v195, 0x80000000, v39
	; wave barrier
	s_delay_alu instid0(VALU_DEP_1) | instskip(NEXT) | instid1(VALU_DEP_1)
	v_lshrrev_b32_e32 v37, s57, v195
	v_and_b32_e32 v37, s39, v37
	s_delay_alu instid0(VALU_DEP_1)
	v_and_b32_e32 v39, 1, v37
	v_lshlrev_b32_e32 v40, 30, v37
	v_lshlrev_b32_e32 v41, 29, v37
	;; [unrolled: 1-line block ×4, first 2 shown]
	v_add_co_u32 v39, s16, v39, -1
	s_delay_alu instid0(VALU_DEP_1)
	v_cndmask_b32_e64 v43, 0, 1, s16
	v_not_b32_e32 v202, v40
	v_cmp_gt_i32_e64 s16, 0, v40
	v_not_b32_e32 v40, v41
	v_lshlrev_b32_e32 v200, 26, v37
	v_cmp_ne_u32_e32 vcc_lo, 0, v43
	v_ashrrev_i32_e32 v202, 31, v202
	v_lshlrev_b32_e32 v201, 25, v37
	v_ashrrev_i32_e32 v40, 31, v40
	v_lshlrev_b32_e32 v43, 24, v37
	v_xor_b32_e32 v39, vcc_lo, v39
	v_cmp_gt_i32_e32 vcc_lo, 0, v41
	v_not_b32_e32 v41, v42
	v_xor_b32_e32 v202, s16, v202
	v_cmp_gt_i32_e64 s16, 0, v42
	v_and_b32_e32 v39, exec_lo, v39
	v_not_b32_e32 v42, v199
	v_ashrrev_i32_e32 v41, 31, v41
	v_xor_b32_e32 v40, vcc_lo, v40
	v_cmp_gt_i32_e32 vcc_lo, 0, v199
	v_and_b32_e32 v39, v39, v202
	v_not_b32_e32 v199, v200
	v_ashrrev_i32_e32 v42, 31, v42
	v_xor_b32_e32 v41, s16, v41
	v_cmp_gt_i32_e64 s16, 0, v200
	v_and_b32_e32 v39, v39, v40
	v_not_b32_e32 v40, v201
	v_ashrrev_i32_e32 v199, 31, v199
	v_xor_b32_e32 v42, vcc_lo, v42
	v_cmp_gt_i32_e32 vcc_lo, 0, v201
	v_and_b32_e32 v39, v39, v41
	v_not_b32_e32 v41, v43
	v_ashrrev_i32_e32 v40, 31, v40
	v_xor_b32_e32 v199, s16, v199
	v_mul_u32_u24_e32 v37, 9, v37
	v_and_b32_e32 v39, v39, v42
	v_cmp_gt_i32_e64 s16, 0, v43
	v_ashrrev_i32_e32 v41, 31, v41
	v_xor_b32_e32 v40, vcc_lo, v40
	v_add_lshl_u32 v42, v37, v128, 2
	v_and_b32_e32 v39, v39, v199
	s_delay_alu instid0(VALU_DEP_4) | instskip(SKIP_3) | instid1(VALU_DEP_2)
	v_xor_b32_e32 v37, s16, v41
	ds_load_b32 v200, v42 offset:1056
	v_and_b32_e32 v39, v39, v40
	v_add_nc_u32_e32 v202, 0x420, v42
	; wave barrier
	v_and_b32_e32 v37, v39, v37
	s_delay_alu instid0(VALU_DEP_1) | instskip(SKIP_1) | instid1(VALU_DEP_2)
	v_mbcnt_lo_u32_b32 v201, v37, 0
	v_cmp_ne_u32_e64 s16, 0, v37
	v_cmp_eq_u32_e32 vcc_lo, 0, v201
	s_delay_alu instid0(VALU_DEP_2) | instskip(NEXT) | instid1(SALU_CYCLE_1)
	s_and_b32 s17, s16, vcc_lo
	s_and_saveexec_b32 s16, s17
	s_cbranch_execz .LBB608_752
; %bb.751:                              ;   in Loop: Header=BB608_688 Depth=2
	s_waitcnt lgkmcnt(0)
	v_bcnt_u32_b32 v37, v37, v200
	ds_store_b32 v202, v37
.LBB608_752:                            ;   in Loop: Header=BB608_688 Depth=2
	s_or_b32 exec_lo, exec_lo, s16
	v_xor_b32_e32 v199, 0x80000000, v38
	; wave barrier
	s_delay_alu instid0(VALU_DEP_1) | instskip(NEXT) | instid1(VALU_DEP_1)
	v_lshrrev_b32_e32 v37, s57, v199
	v_and_b32_e32 v37, s39, v37
	s_delay_alu instid0(VALU_DEP_1)
	v_and_b32_e32 v38, 1, v37
	v_lshlrev_b32_e32 v39, 30, v37
	v_lshlrev_b32_e32 v40, 29, v37
	;; [unrolled: 1-line block ×4, first 2 shown]
	v_add_co_u32 v38, s16, v38, -1
	s_delay_alu instid0(VALU_DEP_1)
	v_cndmask_b32_e64 v42, 0, 1, s16
	v_not_b32_e32 v205, v39
	v_cmp_gt_i32_e64 s16, 0, v39
	v_not_b32_e32 v39, v40
	v_lshlrev_b32_e32 v203, 26, v37
	v_cmp_ne_u32_e32 vcc_lo, 0, v42
	v_ashrrev_i32_e32 v205, 31, v205
	v_lshlrev_b32_e32 v204, 25, v37
	v_ashrrev_i32_e32 v39, 31, v39
	v_lshlrev_b32_e32 v42, 24, v37
	v_xor_b32_e32 v38, vcc_lo, v38
	v_cmp_gt_i32_e32 vcc_lo, 0, v40
	v_not_b32_e32 v40, v41
	v_xor_b32_e32 v205, s16, v205
	v_cmp_gt_i32_e64 s16, 0, v41
	v_and_b32_e32 v38, exec_lo, v38
	v_not_b32_e32 v41, v43
	v_ashrrev_i32_e32 v40, 31, v40
	v_xor_b32_e32 v39, vcc_lo, v39
	v_cmp_gt_i32_e32 vcc_lo, 0, v43
	v_and_b32_e32 v38, v38, v205
	v_not_b32_e32 v43, v203
	v_ashrrev_i32_e32 v41, 31, v41
	v_xor_b32_e32 v40, s16, v40
	v_cmp_gt_i32_e64 s16, 0, v203
	v_and_b32_e32 v38, v38, v39
	v_not_b32_e32 v39, v204
	v_ashrrev_i32_e32 v43, 31, v43
	v_xor_b32_e32 v41, vcc_lo, v41
	v_cmp_gt_i32_e32 vcc_lo, 0, v204
	v_and_b32_e32 v38, v38, v40
	v_not_b32_e32 v40, v42
	v_ashrrev_i32_e32 v39, 31, v39
	v_xor_b32_e32 v43, s16, v43
	v_mul_u32_u24_e32 v37, 9, v37
	v_and_b32_e32 v38, v38, v41
	v_cmp_gt_i32_e64 s16, 0, v42
	v_ashrrev_i32_e32 v40, 31, v40
	v_xor_b32_e32 v39, vcc_lo, v39
	v_add_lshl_u32 v41, v37, v128, 2
	v_and_b32_e32 v38, v38, v43
	s_delay_alu instid0(VALU_DEP_4) | instskip(SKIP_3) | instid1(VALU_DEP_2)
	v_xor_b32_e32 v37, s16, v40
	ds_load_b32 v204, v41 offset:1056
	v_and_b32_e32 v38, v38, v39
	v_add_nc_u32_e32 v206, 0x420, v41
	; wave barrier
	v_and_b32_e32 v37, v38, v37
	s_delay_alu instid0(VALU_DEP_1) | instskip(SKIP_1) | instid1(VALU_DEP_2)
	v_mbcnt_lo_u32_b32 v205, v37, 0
	v_cmp_ne_u32_e64 s16, 0, v37
	v_cmp_eq_u32_e32 vcc_lo, 0, v205
	s_delay_alu instid0(VALU_DEP_2) | instskip(NEXT) | instid1(SALU_CYCLE_1)
	s_and_b32 s17, s16, vcc_lo
	s_and_saveexec_b32 s16, s17
	s_cbranch_execz .LBB608_754
; %bb.753:                              ;   in Loop: Header=BB608_688 Depth=2
	s_waitcnt lgkmcnt(0)
	v_bcnt_u32_b32 v37, v37, v204
	ds_store_b32 v206, v37
.LBB608_754:                            ;   in Loop: Header=BB608_688 Depth=2
	s_or_b32 exec_lo, exec_lo, s16
	v_xor_b32_e32 v203, 0x80000000, v36
	; wave barrier
	s_delay_alu instid0(VALU_DEP_1) | instskip(NEXT) | instid1(VALU_DEP_1)
	v_lshrrev_b32_e32 v36, s57, v203
	v_and_b32_e32 v36, s39, v36
	s_delay_alu instid0(VALU_DEP_1)
	v_and_b32_e32 v37, 1, v36
	v_lshlrev_b32_e32 v38, 30, v36
	v_lshlrev_b32_e32 v39, 29, v36
	;; [unrolled: 1-line block ×4, first 2 shown]
	v_add_co_u32 v37, s16, v37, -1
	s_delay_alu instid0(VALU_DEP_1)
	v_cndmask_b32_e64 v41, 0, 1, s16
	v_not_b32_e32 v208, v38
	v_cmp_gt_i32_e64 s16, 0, v38
	v_not_b32_e32 v38, v39
	v_lshlrev_b32_e32 v43, 26, v36
	v_cmp_ne_u32_e32 vcc_lo, 0, v41
	v_ashrrev_i32_e32 v208, 31, v208
	v_lshlrev_b32_e32 v207, 25, v36
	v_ashrrev_i32_e32 v38, 31, v38
	v_lshlrev_b32_e32 v41, 24, v36
	v_xor_b32_e32 v37, vcc_lo, v37
	v_cmp_gt_i32_e32 vcc_lo, 0, v39
	v_not_b32_e32 v39, v40
	v_xor_b32_e32 v208, s16, v208
	v_cmp_gt_i32_e64 s16, 0, v40
	v_and_b32_e32 v37, exec_lo, v37
	v_not_b32_e32 v40, v42
	v_ashrrev_i32_e32 v39, 31, v39
	v_xor_b32_e32 v38, vcc_lo, v38
	v_cmp_gt_i32_e32 vcc_lo, 0, v42
	v_and_b32_e32 v37, v37, v208
	v_not_b32_e32 v42, v43
	v_ashrrev_i32_e32 v40, 31, v40
	v_xor_b32_e32 v39, s16, v39
	v_cmp_gt_i32_e64 s16, 0, v43
	v_and_b32_e32 v37, v37, v38
	v_not_b32_e32 v38, v207
	v_ashrrev_i32_e32 v42, 31, v42
	v_xor_b32_e32 v40, vcc_lo, v40
	v_cmp_gt_i32_e32 vcc_lo, 0, v207
	v_and_b32_e32 v37, v37, v39
	v_not_b32_e32 v39, v41
	v_ashrrev_i32_e32 v38, 31, v38
	v_xor_b32_e32 v42, s16, v42
	v_mul_u32_u24_e32 v36, 9, v36
	v_and_b32_e32 v37, v37, v40
	v_cmp_gt_i32_e64 s16, 0, v41
	v_ashrrev_i32_e32 v39, 31, v39
	v_xor_b32_e32 v38, vcc_lo, v38
	v_add_lshl_u32 v40, v36, v128, 2
	v_and_b32_e32 v37, v37, v42
	s_delay_alu instid0(VALU_DEP_4) | instskip(SKIP_3) | instid1(VALU_DEP_2)
	v_xor_b32_e32 v36, s16, v39
	ds_load_b32 v207, v40 offset:1056
	v_and_b32_e32 v37, v37, v38
	v_add_nc_u32_e32 v209, 0x420, v40
	; wave barrier
	v_and_b32_e32 v36, v37, v36
	s_delay_alu instid0(VALU_DEP_1) | instskip(SKIP_1) | instid1(VALU_DEP_2)
	v_mbcnt_lo_u32_b32 v208, v36, 0
	v_cmp_ne_u32_e64 s16, 0, v36
	v_cmp_eq_u32_e32 vcc_lo, 0, v208
	s_delay_alu instid0(VALU_DEP_2) | instskip(NEXT) | instid1(SALU_CYCLE_1)
	s_and_b32 s17, s16, vcc_lo
	s_and_saveexec_b32 s16, s17
	s_cbranch_execz .LBB608_756
; %bb.755:                              ;   in Loop: Header=BB608_688 Depth=2
	s_waitcnt lgkmcnt(0)
	v_bcnt_u32_b32 v36, v36, v207
	ds_store_b32 v209, v36
.LBB608_756:                            ;   in Loop: Header=BB608_688 Depth=2
	s_or_b32 exec_lo, exec_lo, s16
	; wave barrier
	s_waitcnt lgkmcnt(0)
	s_barrier
	buffer_gl0_inv
	ds_load_b32 v210, v70 offset:1056
	ds_load_2addr_b32 v[42:43], v71 offset0:1 offset1:2
	ds_load_2addr_b32 v[40:41], v71 offset0:3 offset1:4
	;; [unrolled: 1-line block ×4, first 2 shown]
	s_waitcnt lgkmcnt(3)
	v_add3_u32 v211, v42, v210, v43
	s_waitcnt lgkmcnt(2)
	s_delay_alu instid0(VALU_DEP_1) | instskip(SKIP_1) | instid1(VALU_DEP_1)
	v_add3_u32 v211, v211, v40, v41
	s_waitcnt lgkmcnt(1)
	v_add3_u32 v211, v211, v36, v37
	s_waitcnt lgkmcnt(0)
	s_delay_alu instid0(VALU_DEP_1) | instskip(NEXT) | instid1(VALU_DEP_1)
	v_add3_u32 v39, v211, v38, v39
	v_mov_b32_dpp v211, v39 row_shr:1 row_mask:0xf bank_mask:0xf
	s_delay_alu instid0(VALU_DEP_1) | instskip(NEXT) | instid1(VALU_DEP_1)
	v_cndmask_b32_e64 v211, v211, 0, s0
	v_add_nc_u32_e32 v39, v211, v39
	s_delay_alu instid0(VALU_DEP_1) | instskip(NEXT) | instid1(VALU_DEP_1)
	v_mov_b32_dpp v211, v39 row_shr:2 row_mask:0xf bank_mask:0xf
	v_cndmask_b32_e64 v211, 0, v211, s1
	s_delay_alu instid0(VALU_DEP_1) | instskip(NEXT) | instid1(VALU_DEP_1)
	v_add_nc_u32_e32 v39, v39, v211
	v_mov_b32_dpp v211, v39 row_shr:4 row_mask:0xf bank_mask:0xf
	s_delay_alu instid0(VALU_DEP_1) | instskip(NEXT) | instid1(VALU_DEP_1)
	v_cndmask_b32_e64 v211, 0, v211, s8
	v_add_nc_u32_e32 v39, v39, v211
	s_delay_alu instid0(VALU_DEP_1) | instskip(NEXT) | instid1(VALU_DEP_1)
	v_mov_b32_dpp v211, v39 row_shr:8 row_mask:0xf bank_mask:0xf
	v_cndmask_b32_e64 v211, 0, v211, s9
	s_delay_alu instid0(VALU_DEP_1) | instskip(SKIP_3) | instid1(VALU_DEP_1)
	v_add_nc_u32_e32 v39, v39, v211
	ds_swizzle_b32 v211, v39 offset:swizzle(BROADCAST,32,15)
	s_waitcnt lgkmcnt(0)
	v_cndmask_b32_e64 v211, v211, 0, s10
	v_add_nc_u32_e32 v39, v39, v211
	s_and_saveexec_b32 s16, s3
	s_cbranch_execz .LBB608_758
; %bb.757:                              ;   in Loop: Header=BB608_688 Depth=2
	ds_store_b32 v62, v39 offset:1024
.LBB608_758:                            ;   in Loop: Header=BB608_688 Depth=2
	s_or_b32 exec_lo, exec_lo, s16
	s_waitcnt lgkmcnt(0)
	s_barrier
	buffer_gl0_inv
	s_and_saveexec_b32 s16, s4
	s_cbranch_execz .LBB608_760
; %bb.759:                              ;   in Loop: Header=BB608_688 Depth=2
	v_add_nc_u32_e32 v211, v70, v72
	ds_load_b32 v212, v211 offset:1024
	s_waitcnt lgkmcnt(0)
	v_mov_b32_dpp v213, v212 row_shr:1 row_mask:0xf bank_mask:0xf
	s_delay_alu instid0(VALU_DEP_1) | instskip(NEXT) | instid1(VALU_DEP_1)
	v_cndmask_b32_e64 v213, v213, 0, s12
	v_add_nc_u32_e32 v212, v213, v212
	s_delay_alu instid0(VALU_DEP_1) | instskip(NEXT) | instid1(VALU_DEP_1)
	v_mov_b32_dpp v213, v212 row_shr:2 row_mask:0xf bank_mask:0xf
	v_cndmask_b32_e64 v213, 0, v213, s13
	s_delay_alu instid0(VALU_DEP_1) | instskip(NEXT) | instid1(VALU_DEP_1)
	v_add_nc_u32_e32 v212, v212, v213
	v_mov_b32_dpp v213, v212 row_shr:4 row_mask:0xf bank_mask:0xf
	s_delay_alu instid0(VALU_DEP_1) | instskip(NEXT) | instid1(VALU_DEP_1)
	v_cndmask_b32_e64 v213, 0, v213, s14
	v_add_nc_u32_e32 v212, v212, v213
	ds_store_b32 v211, v212 offset:1024
.LBB608_760:                            ;   in Loop: Header=BB608_688 Depth=2
	s_or_b32 exec_lo, exec_lo, s16
	v_mov_b32_e32 v211, 0
	s_waitcnt lgkmcnt(0)
	s_barrier
	buffer_gl0_inv
	s_and_saveexec_b32 s16, s5
	s_cbranch_execz .LBB608_762
; %bb.761:                              ;   in Loop: Header=BB608_688 Depth=2
	ds_load_b32 v211, v62 offset:1020
.LBB608_762:                            ;   in Loop: Header=BB608_688 Depth=2
	s_or_b32 exec_lo, exec_lo, s16
	s_waitcnt lgkmcnt(0)
	v_add_nc_u32_e32 v39, v211, v39
	ds_bpermute_b32 v39, v107, v39
	s_waitcnt lgkmcnt(0)
	v_cndmask_b32_e64 v39, v39, v211, s11
	s_delay_alu instid0(VALU_DEP_1) | instskip(NEXT) | instid1(VALU_DEP_1)
	v_cndmask_b32_e64 v39, v39, 0, s6
	v_add_nc_u32_e32 v210, v39, v210
	s_delay_alu instid0(VALU_DEP_1) | instskip(NEXT) | instid1(VALU_DEP_1)
	v_add_nc_u32_e32 v42, v210, v42
	v_add_nc_u32_e32 v43, v42, v43
	s_delay_alu instid0(VALU_DEP_1) | instskip(NEXT) | instid1(VALU_DEP_1)
	v_add_nc_u32_e32 v40, v43, v40
	;; [unrolled: 3-line block ×3, first 2 shown]
	v_add_nc_u32_e32 v37, v36, v37
	s_delay_alu instid0(VALU_DEP_1)
	v_add_nc_u32_e32 v38, v37, v38
	ds_store_b32 v70, v39 offset:1056
	ds_store_2addr_b32 v71, v210, v42 offset0:1 offset1:2
	ds_store_2addr_b32 v71, v43, v40 offset0:3 offset1:4
	;; [unrolled: 1-line block ×4, first 2 shown]
	v_mov_b32_e32 v38, 0x1000
	s_waitcnt lgkmcnt(0)
	s_barrier
	buffer_gl0_inv
	ds_load_b32 v39, v154
	ds_load_b32 v40, v158
	;; [unrolled: 1-line block ×16, first 2 shown]
	ds_load_b32 v158, v70 offset:1056
	s_and_saveexec_b32 s16, s7
	s_cbranch_execz .LBB608_764
; %bb.763:                              ;   in Loop: Header=BB608_688 Depth=2
	ds_load_b32 v38, v73 offset:1056
.LBB608_764:                            ;   in Loop: Header=BB608_688 Depth=2
	s_or_b32 exec_lo, exec_lo, s16
	s_waitcnt lgkmcnt(0)
	s_barrier
	buffer_gl0_inv
	s_and_saveexec_b32 s16, s2
	s_cbranch_execz .LBB608_766
; %bb.765:                              ;   in Loop: Header=BB608_688 Depth=2
	ds_load_b32 v162, v44
	s_waitcnt lgkmcnt(0)
	v_sub_nc_u32_e32 v158, v162, v158
	ds_store_b32 v44, v158
.LBB608_766:                            ;   in Loop: Header=BB608_688 Depth=2
	s_or_b32 exec_lo, exec_lo, s16
	v_add_nc_u32_e32 v170, v150, v149
	v_add3_u32 v166, v153, v152, v39
	v_add3_u32 v162, v157, v156, v40
	;; [unrolled: 1-line block ×5, first 2 shown]
	v_lshlrev_b32_e32 v160, 2, v170
	v_add3_u32 v43, v201, v200, v36
	v_lshlrev_b32_e32 v36, 2, v166
	v_add3_u32 v154, v174, v173, v175
	v_add3_u32 v153, v177, v176, v178
	ds_store_b32 v160, v2 offset:1024
	v_lshlrev_b32_e32 v2, 2, v162
	ds_store_b32 v36, v148 offset:1024
	v_lshlrev_b32_e32 v36, 2, v156
	v_add3_u32 v152, v181, v180, v182
	v_add3_u32 v42, v205, v204, v37
	v_lshlrev_b32_e32 v37, 2, v158
	v_add3_u32 v150, v185, v184, v186
	v_lshlrev_b32_e32 v160, 2, v157
	v_add3_u32 v149, v189, v188, v190
	v_add3_u32 v40, v193, v192, v194
	ds_store_b32 v2, v151 offset:1024
	ds_store_b32 v37, v155 offset:1024
	;; [unrolled: 1-line block ×3, first 2 shown]
	v_lshlrev_b32_e32 v2, 2, v154
	ds_store_b32 v36, v163 offset:1024
	v_lshlrev_b32_e32 v36, 2, v153
	v_lshlrev_b32_e32 v37, 2, v152
	;; [unrolled: 1-line block ×3, first 2 shown]
	v_add3_u32 v39, v197, v196, v198
	v_add3_u32 v41, v208, v207, v41
	ds_store_b32 v2, v167 offset:1024
	v_lshlrev_b32_e32 v2, 2, v149
	ds_store_b32 v36, v172 offset:1024
	ds_store_b32 v37, v171 offset:1024
	;; [unrolled: 1-line block ×3, first 2 shown]
	v_lshlrev_b32_e32 v36, 2, v40
	v_cmp_lt_u32_e32 vcc_lo, v1, v147
	v_lshlrev_b32_e32 v37, 2, v43
	ds_store_b32 v2, v183 offset:1024
	v_lshlrev_b32_e32 v2, 2, v39
	ds_store_b32 v36, v187 offset:1024
	v_lshlrev_b32_e32 v36, 2, v41
	v_lshlrev_b32_e32 v148, 2, v42
	ds_store_b32 v2, v191 offset:1024
	ds_store_b32 v37, v195 offset:1024
	;; [unrolled: 1-line block ×4, first 2 shown]
	s_waitcnt lgkmcnt(0)
	s_barrier
	buffer_gl0_inv
	s_and_saveexec_b32 s17, vcc_lo
	s_cbranch_execz .LBB608_782
; %bb.767:                              ;   in Loop: Header=BB608_688 Depth=2
	v_add_nc_u32_e32 v2, v70, v72
	ds_load_b32 v148, v2 offset:1024
	s_waitcnt lgkmcnt(0)
	v_lshrrev_b32_e32 v2, s57, v148
	s_delay_alu instid0(VALU_DEP_1) | instskip(NEXT) | instid1(VALU_DEP_1)
	v_and_b32_e32 v2, s39, v2
	v_lshlrev_b32_e32 v2, 2, v2
	ds_load_b32 v2, v2
	s_waitcnt lgkmcnt(0)
	v_add_nc_u32_e32 v2, v2, v1
	s_delay_alu instid0(VALU_DEP_1) | instskip(SKIP_1) | instid1(VALU_DEP_2)
	v_lshlrev_b64 v[36:37], 2, v[2:3]
	v_xor_b32_e32 v2, 0x80000000, v148
	v_add_co_u32 v36, s16, s46, v36
	s_delay_alu instid0(VALU_DEP_1) | instskip(SKIP_3) | instid1(VALU_DEP_1)
	v_add_co_ci_u32_e64 v37, s16, s47, v37, s16
	global_store_b32 v[36:37], v2, off
	s_or_b32 exec_lo, exec_lo, s17
	v_cmp_lt_u32_e64 s16, v45, v147
	s_and_saveexec_b32 s18, s16
	s_cbranch_execnz .LBB608_783
.LBB608_768:                            ;   in Loop: Header=BB608_688 Depth=2
	s_or_b32 exec_lo, exec_lo, s18
	v_cmp_lt_u32_e64 s17, v46, v147
	s_delay_alu instid0(VALU_DEP_1)
	s_and_saveexec_b32 s19, s17
	s_cbranch_execz .LBB608_784
.LBB608_769:                            ;   in Loop: Header=BB608_688 Depth=2
	ds_load_b32 v148, v78 offset:2048
	s_waitcnt lgkmcnt(0)
	v_lshrrev_b32_e32 v2, s57, v148
	s_delay_alu instid0(VALU_DEP_1) | instskip(NEXT) | instid1(VALU_DEP_1)
	v_and_b32_e32 v2, s39, v2
	v_lshlrev_b32_e32 v2, 2, v2
	ds_load_b32 v2, v2
	s_waitcnt lgkmcnt(0)
	v_add_nc_u32_e32 v2, v2, v46
	s_delay_alu instid0(VALU_DEP_1) | instskip(SKIP_1) | instid1(VALU_DEP_2)
	v_lshlrev_b64 v[36:37], 2, v[2:3]
	v_xor_b32_e32 v2, 0x80000000, v148
	v_add_co_u32 v36, s18, s46, v36
	s_delay_alu instid0(VALU_DEP_1) | instskip(SKIP_3) | instid1(VALU_DEP_1)
	v_add_co_ci_u32_e64 v37, s18, s47, v37, s18
	global_store_b32 v[36:37], v2, off
	s_or_b32 exec_lo, exec_lo, s19
	v_cmp_lt_u32_e64 s18, v47, v147
	s_and_saveexec_b32 s20, s18
	s_cbranch_execnz .LBB608_785
.LBB608_770:                            ;   in Loop: Header=BB608_688 Depth=2
	s_or_b32 exec_lo, exec_lo, s20
	v_cmp_lt_u32_e64 s19, v51, v147
	s_delay_alu instid0(VALU_DEP_1)
	s_and_saveexec_b32 s21, s19
	s_cbranch_execz .LBB608_786
.LBB608_771:                            ;   in Loop: Header=BB608_688 Depth=2
	ds_load_b32 v148, v78 offset:4096
	s_waitcnt lgkmcnt(0)
	v_lshrrev_b32_e32 v2, s57, v148
	s_delay_alu instid0(VALU_DEP_1) | instskip(NEXT) | instid1(VALU_DEP_1)
	v_and_b32_e32 v2, s39, v2
	v_lshlrev_b32_e32 v2, 2, v2
	ds_load_b32 v2, v2
	s_waitcnt lgkmcnt(0)
	v_add_nc_u32_e32 v2, v2, v51
	s_delay_alu instid0(VALU_DEP_1) | instskip(SKIP_1) | instid1(VALU_DEP_2)
	v_lshlrev_b64 v[36:37], 2, v[2:3]
	v_xor_b32_e32 v2, 0x80000000, v148
	v_add_co_u32 v36, s20, s46, v36
	s_delay_alu instid0(VALU_DEP_1) | instskip(SKIP_3) | instid1(VALU_DEP_1)
	v_add_co_ci_u32_e64 v37, s20, s47, v37, s20
	global_store_b32 v[36:37], v2, off
	s_or_b32 exec_lo, exec_lo, s21
	v_cmp_lt_u32_e64 s20, v52, v147
	s_and_saveexec_b32 s22, s20
	s_cbranch_execnz .LBB608_787
.LBB608_772:                            ;   in Loop: Header=BB608_688 Depth=2
	s_or_b32 exec_lo, exec_lo, s22
	v_cmp_lt_u32_e64 s21, v53, v147
	s_delay_alu instid0(VALU_DEP_1)
	s_and_saveexec_b32 s23, s21
	s_cbranch_execz .LBB608_788
.LBB608_773:                            ;   in Loop: Header=BB608_688 Depth=2
	ds_load_b32 v148, v78 offset:6144
	s_waitcnt lgkmcnt(0)
	v_lshrrev_b32_e32 v2, s57, v148
	s_delay_alu instid0(VALU_DEP_1) | instskip(NEXT) | instid1(VALU_DEP_1)
	v_and_b32_e32 v2, s39, v2
	v_lshlrev_b32_e32 v2, 2, v2
	ds_load_b32 v2, v2
	s_waitcnt lgkmcnt(0)
	v_add_nc_u32_e32 v2, v2, v53
	s_delay_alu instid0(VALU_DEP_1) | instskip(SKIP_1) | instid1(VALU_DEP_2)
	v_lshlrev_b64 v[36:37], 2, v[2:3]
	v_xor_b32_e32 v2, 0x80000000, v148
	v_add_co_u32 v36, s22, s46, v36
	s_delay_alu instid0(VALU_DEP_1) | instskip(SKIP_3) | instid1(VALU_DEP_1)
	v_add_co_ci_u32_e64 v37, s22, s47, v37, s22
	global_store_b32 v[36:37], v2, off
	s_or_b32 exec_lo, exec_lo, s23
	v_cmp_lt_u32_e64 s22, v54, v147
	s_and_saveexec_b32 s24, s22
	s_cbranch_execnz .LBB608_789
.LBB608_774:                            ;   in Loop: Header=BB608_688 Depth=2
	s_or_b32 exec_lo, exec_lo, s24
	v_cmp_lt_u32_e64 s23, v55, v147
	s_delay_alu instid0(VALU_DEP_1)
	s_and_saveexec_b32 s25, s23
	s_cbranch_execz .LBB608_790
.LBB608_775:                            ;   in Loop: Header=BB608_688 Depth=2
	ds_load_b32 v148, v78 offset:8192
	s_waitcnt lgkmcnt(0)
	v_lshrrev_b32_e32 v2, s57, v148
	s_delay_alu instid0(VALU_DEP_1) | instskip(NEXT) | instid1(VALU_DEP_1)
	v_and_b32_e32 v2, s39, v2
	v_lshlrev_b32_e32 v2, 2, v2
	ds_load_b32 v2, v2
	s_waitcnt lgkmcnt(0)
	v_add_nc_u32_e32 v2, v2, v55
	s_delay_alu instid0(VALU_DEP_1) | instskip(SKIP_1) | instid1(VALU_DEP_2)
	v_lshlrev_b64 v[36:37], 2, v[2:3]
	v_xor_b32_e32 v2, 0x80000000, v148
	v_add_co_u32 v36, s24, s46, v36
	s_delay_alu instid0(VALU_DEP_1) | instskip(SKIP_3) | instid1(VALU_DEP_1)
	v_add_co_ci_u32_e64 v37, s24, s47, v37, s24
	global_store_b32 v[36:37], v2, off
	s_or_b32 exec_lo, exec_lo, s25
	v_cmp_lt_u32_e64 s24, v56, v147
	s_and_saveexec_b32 s27, s24
	s_cbranch_execnz .LBB608_791
.LBB608_776:                            ;   in Loop: Header=BB608_688 Depth=2
	s_or_b32 exec_lo, exec_lo, s27
	v_cmp_lt_u32_e64 s25, v57, v147
	s_delay_alu instid0(VALU_DEP_1)
	s_and_saveexec_b32 s28, s25
	s_cbranch_execz .LBB608_792
.LBB608_777:                            ;   in Loop: Header=BB608_688 Depth=2
	ds_load_b32 v148, v78 offset:10240
	s_waitcnt lgkmcnt(0)
	v_lshrrev_b32_e32 v2, s57, v148
	s_delay_alu instid0(VALU_DEP_1) | instskip(NEXT) | instid1(VALU_DEP_1)
	v_and_b32_e32 v2, s39, v2
	v_lshlrev_b32_e32 v2, 2, v2
	ds_load_b32 v2, v2
	s_waitcnt lgkmcnt(0)
	v_add_nc_u32_e32 v2, v2, v57
	s_delay_alu instid0(VALU_DEP_1) | instskip(SKIP_1) | instid1(VALU_DEP_2)
	v_lshlrev_b64 v[36:37], 2, v[2:3]
	v_xor_b32_e32 v2, 0x80000000, v148
	v_add_co_u32 v36, s27, s46, v36
	s_delay_alu instid0(VALU_DEP_1) | instskip(SKIP_3) | instid1(VALU_DEP_1)
	v_add_co_ci_u32_e64 v37, s27, s47, v37, s27
	global_store_b32 v[36:37], v2, off
	s_or_b32 exec_lo, exec_lo, s28
	v_cmp_lt_u32_e64 s27, v58, v147
	s_and_saveexec_b32 s29, s27
	s_cbranch_execnz .LBB608_793
.LBB608_778:                            ;   in Loop: Header=BB608_688 Depth=2
	s_or_b32 exec_lo, exec_lo, s29
	v_cmp_lt_u32_e64 s28, v59, v147
	s_delay_alu instid0(VALU_DEP_1)
	s_and_saveexec_b32 s30, s28
	s_cbranch_execz .LBB608_794
.LBB608_779:                            ;   in Loop: Header=BB608_688 Depth=2
	ds_load_b32 v148, v78 offset:12288
	s_waitcnt lgkmcnt(0)
	v_lshrrev_b32_e32 v2, s57, v148
	s_delay_alu instid0(VALU_DEP_1) | instskip(NEXT) | instid1(VALU_DEP_1)
	v_and_b32_e32 v2, s39, v2
	v_lshlrev_b32_e32 v2, 2, v2
	ds_load_b32 v2, v2
	s_waitcnt lgkmcnt(0)
	v_add_nc_u32_e32 v2, v2, v59
	s_delay_alu instid0(VALU_DEP_1) | instskip(SKIP_1) | instid1(VALU_DEP_2)
	v_lshlrev_b64 v[36:37], 2, v[2:3]
	v_xor_b32_e32 v2, 0x80000000, v148
	v_add_co_u32 v36, s29, s46, v36
	s_delay_alu instid0(VALU_DEP_1) | instskip(SKIP_3) | instid1(VALU_DEP_1)
	v_add_co_ci_u32_e64 v37, s29, s47, v37, s29
	global_store_b32 v[36:37], v2, off
	s_or_b32 exec_lo, exec_lo, s30
	v_cmp_lt_u32_e64 s29, v60, v147
	s_and_saveexec_b32 s31, s29
	s_cbranch_execnz .LBB608_795
.LBB608_780:                            ;   in Loop: Header=BB608_688 Depth=2
	s_or_b32 exec_lo, exec_lo, s31
	v_cmp_lt_u32_e64 s30, v61, v147
	s_delay_alu instid0(VALU_DEP_1)
	s_and_saveexec_b32 s33, s30
	s_cbranch_execz .LBB608_796
.LBB608_781:                            ;   in Loop: Header=BB608_688 Depth=2
	ds_load_b32 v148, v78 offset:14336
	s_waitcnt lgkmcnt(0)
	v_lshrrev_b32_e32 v2, s57, v148
	s_delay_alu instid0(VALU_DEP_1) | instskip(NEXT) | instid1(VALU_DEP_1)
	v_and_b32_e32 v2, s39, v2
	v_lshlrev_b32_e32 v2, 2, v2
	ds_load_b32 v2, v2
	s_waitcnt lgkmcnt(0)
	v_add_nc_u32_e32 v2, v2, v61
	s_delay_alu instid0(VALU_DEP_1) | instskip(SKIP_1) | instid1(VALU_DEP_2)
	v_lshlrev_b64 v[36:37], 2, v[2:3]
	v_xor_b32_e32 v2, 0x80000000, v148
	v_add_co_u32 v36, s31, s46, v36
	s_delay_alu instid0(VALU_DEP_1) | instskip(SKIP_3) | instid1(VALU_DEP_1)
	v_add_co_ci_u32_e64 v37, s31, s47, v37, s31
	global_store_b32 v[36:37], v2, off
	s_or_b32 exec_lo, exec_lo, s33
	v_cmp_lt_u32_e64 s31, v63, v147
	s_and_saveexec_b32 s42, s31
	s_cbranch_execnz .LBB608_797
	s_branch .LBB608_798
.LBB608_782:                            ;   in Loop: Header=BB608_688 Depth=2
	s_or_b32 exec_lo, exec_lo, s17
	v_cmp_lt_u32_e64 s16, v45, v147
	s_delay_alu instid0(VALU_DEP_1)
	s_and_saveexec_b32 s18, s16
	s_cbranch_execz .LBB608_768
.LBB608_783:                            ;   in Loop: Header=BB608_688 Depth=2
	ds_load_b32 v148, v78 offset:1024
	s_waitcnt lgkmcnt(0)
	v_lshrrev_b32_e32 v2, s57, v148
	s_delay_alu instid0(VALU_DEP_1) | instskip(NEXT) | instid1(VALU_DEP_1)
	v_and_b32_e32 v2, s39, v2
	v_lshlrev_b32_e32 v2, 2, v2
	ds_load_b32 v2, v2
	s_waitcnt lgkmcnt(0)
	v_add_nc_u32_e32 v2, v2, v45
	s_delay_alu instid0(VALU_DEP_1) | instskip(SKIP_1) | instid1(VALU_DEP_2)
	v_lshlrev_b64 v[36:37], 2, v[2:3]
	v_xor_b32_e32 v2, 0x80000000, v148
	v_add_co_u32 v36, s17, s46, v36
	s_delay_alu instid0(VALU_DEP_1) | instskip(SKIP_3) | instid1(VALU_DEP_1)
	v_add_co_ci_u32_e64 v37, s17, s47, v37, s17
	global_store_b32 v[36:37], v2, off
	s_or_b32 exec_lo, exec_lo, s18
	v_cmp_lt_u32_e64 s17, v46, v147
	s_and_saveexec_b32 s19, s17
	s_cbranch_execnz .LBB608_769
.LBB608_784:                            ;   in Loop: Header=BB608_688 Depth=2
	s_or_b32 exec_lo, exec_lo, s19
	v_cmp_lt_u32_e64 s18, v47, v147
	s_delay_alu instid0(VALU_DEP_1)
	s_and_saveexec_b32 s20, s18
	s_cbranch_execz .LBB608_770
.LBB608_785:                            ;   in Loop: Header=BB608_688 Depth=2
	ds_load_b32 v148, v78 offset:3072
	s_waitcnt lgkmcnt(0)
	v_lshrrev_b32_e32 v2, s57, v148
	s_delay_alu instid0(VALU_DEP_1) | instskip(NEXT) | instid1(VALU_DEP_1)
	v_and_b32_e32 v2, s39, v2
	v_lshlrev_b32_e32 v2, 2, v2
	ds_load_b32 v2, v2
	s_waitcnt lgkmcnt(0)
	v_add_nc_u32_e32 v2, v2, v47
	s_delay_alu instid0(VALU_DEP_1) | instskip(SKIP_1) | instid1(VALU_DEP_2)
	v_lshlrev_b64 v[36:37], 2, v[2:3]
	v_xor_b32_e32 v2, 0x80000000, v148
	v_add_co_u32 v36, s19, s46, v36
	s_delay_alu instid0(VALU_DEP_1) | instskip(SKIP_3) | instid1(VALU_DEP_1)
	v_add_co_ci_u32_e64 v37, s19, s47, v37, s19
	global_store_b32 v[36:37], v2, off
	s_or_b32 exec_lo, exec_lo, s20
	v_cmp_lt_u32_e64 s19, v51, v147
	s_and_saveexec_b32 s21, s19
	s_cbranch_execnz .LBB608_771
.LBB608_786:                            ;   in Loop: Header=BB608_688 Depth=2
	s_or_b32 exec_lo, exec_lo, s21
	v_cmp_lt_u32_e64 s20, v52, v147
	s_delay_alu instid0(VALU_DEP_1)
	s_and_saveexec_b32 s22, s20
	s_cbranch_execz .LBB608_772
.LBB608_787:                            ;   in Loop: Header=BB608_688 Depth=2
	ds_load_b32 v148, v78 offset:5120
	s_waitcnt lgkmcnt(0)
	v_lshrrev_b32_e32 v2, s57, v148
	s_delay_alu instid0(VALU_DEP_1) | instskip(NEXT) | instid1(VALU_DEP_1)
	v_and_b32_e32 v2, s39, v2
	v_lshlrev_b32_e32 v2, 2, v2
	ds_load_b32 v2, v2
	s_waitcnt lgkmcnt(0)
	v_add_nc_u32_e32 v2, v2, v52
	s_delay_alu instid0(VALU_DEP_1) | instskip(SKIP_1) | instid1(VALU_DEP_2)
	v_lshlrev_b64 v[36:37], 2, v[2:3]
	v_xor_b32_e32 v2, 0x80000000, v148
	v_add_co_u32 v36, s21, s46, v36
	s_delay_alu instid0(VALU_DEP_1) | instskip(SKIP_3) | instid1(VALU_DEP_1)
	v_add_co_ci_u32_e64 v37, s21, s47, v37, s21
	global_store_b32 v[36:37], v2, off
	s_or_b32 exec_lo, exec_lo, s22
	v_cmp_lt_u32_e64 s21, v53, v147
	s_and_saveexec_b32 s23, s21
	s_cbranch_execnz .LBB608_773
.LBB608_788:                            ;   in Loop: Header=BB608_688 Depth=2
	s_or_b32 exec_lo, exec_lo, s23
	v_cmp_lt_u32_e64 s22, v54, v147
	s_delay_alu instid0(VALU_DEP_1)
	s_and_saveexec_b32 s24, s22
	s_cbranch_execz .LBB608_774
.LBB608_789:                            ;   in Loop: Header=BB608_688 Depth=2
	ds_load_b32 v148, v78 offset:7168
	s_waitcnt lgkmcnt(0)
	v_lshrrev_b32_e32 v2, s57, v148
	s_delay_alu instid0(VALU_DEP_1) | instskip(NEXT) | instid1(VALU_DEP_1)
	v_and_b32_e32 v2, s39, v2
	v_lshlrev_b32_e32 v2, 2, v2
	ds_load_b32 v2, v2
	s_waitcnt lgkmcnt(0)
	v_add_nc_u32_e32 v2, v2, v54
	s_delay_alu instid0(VALU_DEP_1) | instskip(SKIP_1) | instid1(VALU_DEP_2)
	v_lshlrev_b64 v[36:37], 2, v[2:3]
	v_xor_b32_e32 v2, 0x80000000, v148
	v_add_co_u32 v36, s23, s46, v36
	s_delay_alu instid0(VALU_DEP_1) | instskip(SKIP_3) | instid1(VALU_DEP_1)
	v_add_co_ci_u32_e64 v37, s23, s47, v37, s23
	global_store_b32 v[36:37], v2, off
	s_or_b32 exec_lo, exec_lo, s24
	v_cmp_lt_u32_e64 s23, v55, v147
	s_and_saveexec_b32 s25, s23
	s_cbranch_execnz .LBB608_775
.LBB608_790:                            ;   in Loop: Header=BB608_688 Depth=2
	s_or_b32 exec_lo, exec_lo, s25
	v_cmp_lt_u32_e64 s24, v56, v147
	s_delay_alu instid0(VALU_DEP_1)
	s_and_saveexec_b32 s27, s24
	s_cbranch_execz .LBB608_776
.LBB608_791:                            ;   in Loop: Header=BB608_688 Depth=2
	ds_load_b32 v148, v78 offset:9216
	s_waitcnt lgkmcnt(0)
	v_lshrrev_b32_e32 v2, s57, v148
	s_delay_alu instid0(VALU_DEP_1) | instskip(NEXT) | instid1(VALU_DEP_1)
	v_and_b32_e32 v2, s39, v2
	v_lshlrev_b32_e32 v2, 2, v2
	ds_load_b32 v2, v2
	s_waitcnt lgkmcnt(0)
	v_add_nc_u32_e32 v2, v2, v56
	s_delay_alu instid0(VALU_DEP_1) | instskip(SKIP_1) | instid1(VALU_DEP_2)
	v_lshlrev_b64 v[36:37], 2, v[2:3]
	v_xor_b32_e32 v2, 0x80000000, v148
	v_add_co_u32 v36, s25, s46, v36
	s_delay_alu instid0(VALU_DEP_1) | instskip(SKIP_3) | instid1(VALU_DEP_1)
	v_add_co_ci_u32_e64 v37, s25, s47, v37, s25
	global_store_b32 v[36:37], v2, off
	s_or_b32 exec_lo, exec_lo, s27
	v_cmp_lt_u32_e64 s25, v57, v147
	s_and_saveexec_b32 s28, s25
	s_cbranch_execnz .LBB608_777
.LBB608_792:                            ;   in Loop: Header=BB608_688 Depth=2
	s_or_b32 exec_lo, exec_lo, s28
	v_cmp_lt_u32_e64 s27, v58, v147
	s_delay_alu instid0(VALU_DEP_1)
	s_and_saveexec_b32 s29, s27
	s_cbranch_execz .LBB608_778
.LBB608_793:                            ;   in Loop: Header=BB608_688 Depth=2
	ds_load_b32 v148, v78 offset:11264
	s_waitcnt lgkmcnt(0)
	v_lshrrev_b32_e32 v2, s57, v148
	s_delay_alu instid0(VALU_DEP_1) | instskip(NEXT) | instid1(VALU_DEP_1)
	v_and_b32_e32 v2, s39, v2
	v_lshlrev_b32_e32 v2, 2, v2
	ds_load_b32 v2, v2
	s_waitcnt lgkmcnt(0)
	v_add_nc_u32_e32 v2, v2, v58
	s_delay_alu instid0(VALU_DEP_1) | instskip(SKIP_1) | instid1(VALU_DEP_2)
	v_lshlrev_b64 v[36:37], 2, v[2:3]
	v_xor_b32_e32 v2, 0x80000000, v148
	v_add_co_u32 v36, s28, s46, v36
	s_delay_alu instid0(VALU_DEP_1) | instskip(SKIP_3) | instid1(VALU_DEP_1)
	v_add_co_ci_u32_e64 v37, s28, s47, v37, s28
	global_store_b32 v[36:37], v2, off
	s_or_b32 exec_lo, exec_lo, s29
	v_cmp_lt_u32_e64 s28, v59, v147
	s_and_saveexec_b32 s30, s28
	s_cbranch_execnz .LBB608_779
.LBB608_794:                            ;   in Loop: Header=BB608_688 Depth=2
	s_or_b32 exec_lo, exec_lo, s30
	v_cmp_lt_u32_e64 s29, v60, v147
	s_delay_alu instid0(VALU_DEP_1)
	s_and_saveexec_b32 s31, s29
	s_cbranch_execz .LBB608_780
.LBB608_795:                            ;   in Loop: Header=BB608_688 Depth=2
	ds_load_b32 v148, v78 offset:13312
	s_waitcnt lgkmcnt(0)
	v_lshrrev_b32_e32 v2, s57, v148
	s_delay_alu instid0(VALU_DEP_1) | instskip(NEXT) | instid1(VALU_DEP_1)
	v_and_b32_e32 v2, s39, v2
	v_lshlrev_b32_e32 v2, 2, v2
	ds_load_b32 v2, v2
	s_waitcnt lgkmcnt(0)
	v_add_nc_u32_e32 v2, v2, v60
	s_delay_alu instid0(VALU_DEP_1) | instskip(SKIP_1) | instid1(VALU_DEP_2)
	v_lshlrev_b64 v[36:37], 2, v[2:3]
	v_xor_b32_e32 v2, 0x80000000, v148
	v_add_co_u32 v36, s30, s46, v36
	s_delay_alu instid0(VALU_DEP_1) | instskip(SKIP_3) | instid1(VALU_DEP_1)
	v_add_co_ci_u32_e64 v37, s30, s47, v37, s30
	global_store_b32 v[36:37], v2, off
	s_or_b32 exec_lo, exec_lo, s31
	v_cmp_lt_u32_e64 s30, v61, v147
	s_and_saveexec_b32 s33, s30
	s_cbranch_execnz .LBB608_781
.LBB608_796:                            ;   in Loop: Header=BB608_688 Depth=2
	s_or_b32 exec_lo, exec_lo, s33
	v_cmp_lt_u32_e64 s31, v63, v147
	s_delay_alu instid0(VALU_DEP_1)
	s_and_saveexec_b32 s42, s31
	s_cbranch_execz .LBB608_798
.LBB608_797:                            ;   in Loop: Header=BB608_688 Depth=2
	ds_load_b32 v148, v78 offset:15360
	s_waitcnt lgkmcnt(0)
	v_lshrrev_b32_e32 v2, s57, v148
	s_delay_alu instid0(VALU_DEP_1) | instskip(NEXT) | instid1(VALU_DEP_1)
	v_and_b32_e32 v2, s39, v2
	v_lshlrev_b32_e32 v2, 2, v2
	ds_load_b32 v2, v2
	s_waitcnt lgkmcnt(0)
	v_add_nc_u32_e32 v2, v2, v63
	s_delay_alu instid0(VALU_DEP_1) | instskip(SKIP_1) | instid1(VALU_DEP_2)
	v_lshlrev_b64 v[36:37], 2, v[2:3]
	v_xor_b32_e32 v2, 0x80000000, v148
	v_add_co_u32 v36, s33, s46, v36
	s_delay_alu instid0(VALU_DEP_1)
	v_add_co_ci_u32_e64 v37, s33, s47, v37, s33
	global_store_b32 v[36:37], v2, off
.LBB608_798:                            ;   in Loop: Header=BB608_688 Depth=2
	s_or_b32 exec_lo, exec_lo, s42
	s_lshl_b64 s[42:43], s[34:35], 3
	s_delay_alu instid0(SALU_CYCLE_1) | instskip(NEXT) | instid1(VALU_DEP_1)
	v_add_co_u32 v36, s33, v109, s42
	v_add_co_ci_u32_e64 v37, s33, s43, v110, s33
	v_cmp_lt_u32_e64 s33, v108, v147
	s_delay_alu instid0(VALU_DEP_1) | instskip(NEXT) | instid1(SALU_CYCLE_1)
	s_and_saveexec_b32 s34, s33
	s_xor_b32 s33, exec_lo, s34
	s_cbranch_execz .LBB608_830
; %bb.799:                              ;   in Loop: Header=BB608_688 Depth=2
	global_load_b64 v[34:35], v[36:37], off
	s_or_b32 exec_lo, exec_lo, s33
	s_delay_alu instid0(SALU_CYCLE_1)
	s_mov_b32 s34, exec_lo
	v_cmpx_lt_u32_e64 v111, v147
	s_cbranch_execnz .LBB608_831
.LBB608_800:                            ;   in Loop: Header=BB608_688 Depth=2
	s_or_b32 exec_lo, exec_lo, s34
	s_delay_alu instid0(SALU_CYCLE_1)
	s_mov_b32 s34, exec_lo
	v_cmpx_lt_u32_e64 v112, v147
	s_cbranch_execz .LBB608_832
.LBB608_801:                            ;   in Loop: Header=BB608_688 Depth=2
	global_load_b64 v[30:31], v[36:37], off offset:512
	s_or_b32 exec_lo, exec_lo, s34
	s_delay_alu instid0(SALU_CYCLE_1)
	s_mov_b32 s34, exec_lo
	v_cmpx_lt_u32_e64 v113, v147
	s_cbranch_execnz .LBB608_833
.LBB608_802:                            ;   in Loop: Header=BB608_688 Depth=2
	s_or_b32 exec_lo, exec_lo, s34
	s_delay_alu instid0(SALU_CYCLE_1)
	s_mov_b32 s34, exec_lo
	v_cmpx_lt_u32_e64 v114, v147
	s_cbranch_execz .LBB608_834
.LBB608_803:                            ;   in Loop: Header=BB608_688 Depth=2
	global_load_b64 v[26:27], v[36:37], off offset:1024
	s_or_b32 exec_lo, exec_lo, s34
	s_delay_alu instid0(SALU_CYCLE_1)
	s_mov_b32 s34, exec_lo
	v_cmpx_lt_u32_e64 v115, v147
	s_cbranch_execnz .LBB608_835
.LBB608_804:                            ;   in Loop: Header=BB608_688 Depth=2
	s_or_b32 exec_lo, exec_lo, s34
	s_delay_alu instid0(SALU_CYCLE_1)
	s_mov_b32 s34, exec_lo
	v_cmpx_lt_u32_e64 v116, v147
	s_cbranch_execz .LBB608_836
.LBB608_805:                            ;   in Loop: Header=BB608_688 Depth=2
	global_load_b64 v[22:23], v[36:37], off offset:1536
	s_or_b32 exec_lo, exec_lo, s34
	s_delay_alu instid0(SALU_CYCLE_1)
	s_mov_b32 s34, exec_lo
	v_cmpx_lt_u32_e64 v117, v147
	s_cbranch_execnz .LBB608_837
.LBB608_806:                            ;   in Loop: Header=BB608_688 Depth=2
	s_or_b32 exec_lo, exec_lo, s34
	s_delay_alu instid0(SALU_CYCLE_1)
	s_mov_b32 s34, exec_lo
	v_cmpx_lt_u32_e64 v118, v147
	s_cbranch_execz .LBB608_838
.LBB608_807:                            ;   in Loop: Header=BB608_688 Depth=2
	global_load_b64 v[18:19], v[36:37], off offset:2048
	s_or_b32 exec_lo, exec_lo, s34
	s_delay_alu instid0(SALU_CYCLE_1)
	s_mov_b32 s34, exec_lo
	v_cmpx_lt_u32_e64 v119, v147
	s_cbranch_execnz .LBB608_839
.LBB608_808:                            ;   in Loop: Header=BB608_688 Depth=2
	s_or_b32 exec_lo, exec_lo, s34
	s_delay_alu instid0(SALU_CYCLE_1)
	s_mov_b32 s34, exec_lo
	v_cmpx_lt_u32_e64 v120, v147
	s_cbranch_execz .LBB608_840
.LBB608_809:                            ;   in Loop: Header=BB608_688 Depth=2
	global_load_b64 v[14:15], v[36:37], off offset:2560
	s_or_b32 exec_lo, exec_lo, s34
	s_delay_alu instid0(SALU_CYCLE_1)
	s_mov_b32 s34, exec_lo
	v_cmpx_lt_u32_e64 v121, v147
	s_cbranch_execnz .LBB608_841
.LBB608_810:                            ;   in Loop: Header=BB608_688 Depth=2
	s_or_b32 exec_lo, exec_lo, s34
	s_delay_alu instid0(SALU_CYCLE_1)
	s_mov_b32 s34, exec_lo
	v_cmpx_lt_u32_e64 v122, v147
	s_cbranch_execz .LBB608_842
.LBB608_811:                            ;   in Loop: Header=BB608_688 Depth=2
	global_load_b64 v[10:11], v[36:37], off offset:3072
	s_or_b32 exec_lo, exec_lo, s34
	s_delay_alu instid0(SALU_CYCLE_1)
	s_mov_b32 s34, exec_lo
	v_cmpx_lt_u32_e64 v123, v147
	s_cbranch_execnz .LBB608_843
.LBB608_812:                            ;   in Loop: Header=BB608_688 Depth=2
	s_or_b32 exec_lo, exec_lo, s34
	s_delay_alu instid0(SALU_CYCLE_1)
	s_mov_b32 s34, exec_lo
	v_cmpx_lt_u32_e64 v124, v147
	s_cbranch_execz .LBB608_844
.LBB608_813:                            ;   in Loop: Header=BB608_688 Depth=2
	global_load_b64 v[6:7], v[36:37], off offset:3584
	s_or_b32 exec_lo, exec_lo, s34
	s_delay_alu instid0(SALU_CYCLE_1)
	s_mov_b32 s34, exec_lo
	v_cmpx_lt_u32_e64 v125, v147
	s_cbranch_execnz .LBB608_845
.LBB608_814:                            ;   in Loop: Header=BB608_688 Depth=2
	s_or_b32 exec_lo, exec_lo, s34
	s_and_saveexec_b32 s33, vcc_lo
	s_cbranch_execz .LBB608_846
.LBB608_815:                            ;   in Loop: Header=BB608_688 Depth=2
	v_add_nc_u32_e32 v2, v70, v72
	ds_load_b32 v2, v2 offset:1024
	s_waitcnt lgkmcnt(0)
	v_lshrrev_b32_e32 v2, s57, v2
	s_delay_alu instid0(VALU_DEP_1)
	v_and_b32_e32 v146, s39, v2
	s_or_b32 exec_lo, exec_lo, s33
	s_and_saveexec_b32 s33, s16
	s_cbranch_execnz .LBB608_847
.LBB608_816:                            ;   in Loop: Header=BB608_688 Depth=2
	s_or_b32 exec_lo, exec_lo, s33
	s_and_saveexec_b32 s33, s17
	s_cbranch_execz .LBB608_848
.LBB608_817:                            ;   in Loop: Header=BB608_688 Depth=2
	ds_load_b32 v2, v78 offset:2048
	s_waitcnt lgkmcnt(0)
	v_lshrrev_b32_e32 v2, s57, v2
	s_delay_alu instid0(VALU_DEP_1)
	v_and_b32_e32 v144, s39, v2
	s_or_b32 exec_lo, exec_lo, s33
	s_and_saveexec_b32 s33, s18
	s_cbranch_execnz .LBB608_849
.LBB608_818:                            ;   in Loop: Header=BB608_688 Depth=2
	s_or_b32 exec_lo, exec_lo, s33
	s_and_saveexec_b32 s33, s19
	s_cbranch_execz .LBB608_850
.LBB608_819:                            ;   in Loop: Header=BB608_688 Depth=2
	ds_load_b32 v2, v78 offset:4096
	s_waitcnt lgkmcnt(0)
	v_lshrrev_b32_e32 v2, s57, v2
	s_delay_alu instid0(VALU_DEP_1)
	v_and_b32_e32 v142, s39, v2
	s_or_b32 exec_lo, exec_lo, s33
	s_and_saveexec_b32 s33, s20
	s_cbranch_execnz .LBB608_851
.LBB608_820:                            ;   in Loop: Header=BB608_688 Depth=2
	s_or_b32 exec_lo, exec_lo, s33
	s_and_saveexec_b32 s33, s21
	s_cbranch_execz .LBB608_852
.LBB608_821:                            ;   in Loop: Header=BB608_688 Depth=2
	ds_load_b32 v2, v78 offset:6144
	s_waitcnt lgkmcnt(0)
	v_lshrrev_b32_e32 v2, s57, v2
	s_delay_alu instid0(VALU_DEP_1)
	v_and_b32_e32 v140, s39, v2
	s_or_b32 exec_lo, exec_lo, s33
	s_and_saveexec_b32 s33, s22
	s_cbranch_execnz .LBB608_853
.LBB608_822:                            ;   in Loop: Header=BB608_688 Depth=2
	s_or_b32 exec_lo, exec_lo, s33
	s_and_saveexec_b32 s33, s23
	s_cbranch_execz .LBB608_854
.LBB608_823:                            ;   in Loop: Header=BB608_688 Depth=2
	ds_load_b32 v2, v78 offset:8192
	s_waitcnt lgkmcnt(0)
	v_lshrrev_b32_e32 v2, s57, v2
	s_delay_alu instid0(VALU_DEP_1)
	v_and_b32_e32 v138, s39, v2
	s_or_b32 exec_lo, exec_lo, s33
	s_and_saveexec_b32 s33, s24
	s_cbranch_execnz .LBB608_855
.LBB608_824:                            ;   in Loop: Header=BB608_688 Depth=2
	s_or_b32 exec_lo, exec_lo, s33
	s_and_saveexec_b32 s33, s25
	s_cbranch_execz .LBB608_856
.LBB608_825:                            ;   in Loop: Header=BB608_688 Depth=2
	ds_load_b32 v2, v78 offset:10240
	s_waitcnt lgkmcnt(0)
	v_lshrrev_b32_e32 v2, s57, v2
	s_delay_alu instid0(VALU_DEP_1)
	v_and_b32_e32 v136, s39, v2
	s_or_b32 exec_lo, exec_lo, s33
	s_and_saveexec_b32 s33, s27
	s_cbranch_execnz .LBB608_857
.LBB608_826:                            ;   in Loop: Header=BB608_688 Depth=2
	s_or_b32 exec_lo, exec_lo, s33
	s_and_saveexec_b32 s33, s28
	s_cbranch_execz .LBB608_858
.LBB608_827:                            ;   in Loop: Header=BB608_688 Depth=2
	ds_load_b32 v2, v78 offset:12288
	s_waitcnt lgkmcnt(0)
	v_lshrrev_b32_e32 v2, s57, v2
	s_delay_alu instid0(VALU_DEP_1)
	v_and_b32_e32 v134, s39, v2
	s_or_b32 exec_lo, exec_lo, s33
	s_and_saveexec_b32 s33, s29
	s_cbranch_execnz .LBB608_859
.LBB608_828:                            ;   in Loop: Header=BB608_688 Depth=2
	s_or_b32 exec_lo, exec_lo, s33
	s_and_saveexec_b32 s33, s30
	s_cbranch_execz .LBB608_860
.LBB608_829:                            ;   in Loop: Header=BB608_688 Depth=2
	ds_load_b32 v2, v78 offset:14336
	s_waitcnt lgkmcnt(0)
	v_lshrrev_b32_e32 v2, s57, v2
	s_delay_alu instid0(VALU_DEP_1)
	v_and_b32_e32 v132, s39, v2
	s_or_b32 exec_lo, exec_lo, s33
	s_and_saveexec_b32 s33, s31
	s_cbranch_execnz .LBB608_861
	s_branch .LBB608_862
.LBB608_830:                            ;   in Loop: Header=BB608_688 Depth=2
	s_or_b32 exec_lo, exec_lo, s33
	s_delay_alu instid0(SALU_CYCLE_1)
	s_mov_b32 s34, exec_lo
	v_cmpx_lt_u32_e64 v111, v147
	s_cbranch_execz .LBB608_800
.LBB608_831:                            ;   in Loop: Header=BB608_688 Depth=2
	global_load_b64 v[32:33], v[36:37], off offset:256
	s_or_b32 exec_lo, exec_lo, s34
	s_delay_alu instid0(SALU_CYCLE_1)
	s_mov_b32 s34, exec_lo
	v_cmpx_lt_u32_e64 v112, v147
	s_cbranch_execnz .LBB608_801
.LBB608_832:                            ;   in Loop: Header=BB608_688 Depth=2
	s_or_b32 exec_lo, exec_lo, s34
	s_delay_alu instid0(SALU_CYCLE_1)
	s_mov_b32 s34, exec_lo
	v_cmpx_lt_u32_e64 v113, v147
	s_cbranch_execz .LBB608_802
.LBB608_833:                            ;   in Loop: Header=BB608_688 Depth=2
	global_load_b64 v[28:29], v[36:37], off offset:768
	s_or_b32 exec_lo, exec_lo, s34
	s_delay_alu instid0(SALU_CYCLE_1)
	s_mov_b32 s34, exec_lo
	v_cmpx_lt_u32_e64 v114, v147
	s_cbranch_execnz .LBB608_803
.LBB608_834:                            ;   in Loop: Header=BB608_688 Depth=2
	s_or_b32 exec_lo, exec_lo, s34
	s_delay_alu instid0(SALU_CYCLE_1)
	s_mov_b32 s34, exec_lo
	v_cmpx_lt_u32_e64 v115, v147
	s_cbranch_execz .LBB608_804
.LBB608_835:                            ;   in Loop: Header=BB608_688 Depth=2
	global_load_b64 v[24:25], v[36:37], off offset:1280
	s_or_b32 exec_lo, exec_lo, s34
	s_delay_alu instid0(SALU_CYCLE_1)
	s_mov_b32 s34, exec_lo
	v_cmpx_lt_u32_e64 v116, v147
	s_cbranch_execnz .LBB608_805
.LBB608_836:                            ;   in Loop: Header=BB608_688 Depth=2
	s_or_b32 exec_lo, exec_lo, s34
	s_delay_alu instid0(SALU_CYCLE_1)
	s_mov_b32 s34, exec_lo
	v_cmpx_lt_u32_e64 v117, v147
	s_cbranch_execz .LBB608_806
.LBB608_837:                            ;   in Loop: Header=BB608_688 Depth=2
	global_load_b64 v[20:21], v[36:37], off offset:1792
	s_or_b32 exec_lo, exec_lo, s34
	s_delay_alu instid0(SALU_CYCLE_1)
	s_mov_b32 s34, exec_lo
	v_cmpx_lt_u32_e64 v118, v147
	s_cbranch_execnz .LBB608_807
.LBB608_838:                            ;   in Loop: Header=BB608_688 Depth=2
	s_or_b32 exec_lo, exec_lo, s34
	s_delay_alu instid0(SALU_CYCLE_1)
	s_mov_b32 s34, exec_lo
	v_cmpx_lt_u32_e64 v119, v147
	s_cbranch_execz .LBB608_808
.LBB608_839:                            ;   in Loop: Header=BB608_688 Depth=2
	global_load_b64 v[16:17], v[36:37], off offset:2304
	s_or_b32 exec_lo, exec_lo, s34
	s_delay_alu instid0(SALU_CYCLE_1)
	s_mov_b32 s34, exec_lo
	v_cmpx_lt_u32_e64 v120, v147
	s_cbranch_execnz .LBB608_809
.LBB608_840:                            ;   in Loop: Header=BB608_688 Depth=2
	s_or_b32 exec_lo, exec_lo, s34
	s_delay_alu instid0(SALU_CYCLE_1)
	s_mov_b32 s34, exec_lo
	v_cmpx_lt_u32_e64 v121, v147
	s_cbranch_execz .LBB608_810
.LBB608_841:                            ;   in Loop: Header=BB608_688 Depth=2
	global_load_b64 v[12:13], v[36:37], off offset:2816
	s_or_b32 exec_lo, exec_lo, s34
	s_delay_alu instid0(SALU_CYCLE_1)
	s_mov_b32 s34, exec_lo
	v_cmpx_lt_u32_e64 v122, v147
	s_cbranch_execnz .LBB608_811
.LBB608_842:                            ;   in Loop: Header=BB608_688 Depth=2
	s_or_b32 exec_lo, exec_lo, s34
	s_delay_alu instid0(SALU_CYCLE_1)
	s_mov_b32 s34, exec_lo
	v_cmpx_lt_u32_e64 v123, v147
	s_cbranch_execz .LBB608_812
.LBB608_843:                            ;   in Loop: Header=BB608_688 Depth=2
	global_load_b64 v[8:9], v[36:37], off offset:3328
	s_or_b32 exec_lo, exec_lo, s34
	s_delay_alu instid0(SALU_CYCLE_1)
	s_mov_b32 s34, exec_lo
	v_cmpx_lt_u32_e64 v124, v147
	s_cbranch_execnz .LBB608_813
.LBB608_844:                            ;   in Loop: Header=BB608_688 Depth=2
	s_or_b32 exec_lo, exec_lo, s34
	s_delay_alu instid0(SALU_CYCLE_1)
	s_mov_b32 s34, exec_lo
	v_cmpx_lt_u32_e64 v125, v147
	s_cbranch_execz .LBB608_814
.LBB608_845:                            ;   in Loop: Header=BB608_688 Depth=2
	global_load_b64 v[4:5], v[36:37], off offset:3840
	s_or_b32 exec_lo, exec_lo, s34
	s_and_saveexec_b32 s33, vcc_lo
	s_cbranch_execnz .LBB608_815
.LBB608_846:                            ;   in Loop: Header=BB608_688 Depth=2
	s_or_b32 exec_lo, exec_lo, s33
	s_and_saveexec_b32 s33, s16
	s_cbranch_execz .LBB608_816
.LBB608_847:                            ;   in Loop: Header=BB608_688 Depth=2
	ds_load_b32 v2, v78 offset:1024
	s_waitcnt lgkmcnt(0)
	v_lshrrev_b32_e32 v2, s57, v2
	s_delay_alu instid0(VALU_DEP_1)
	v_and_b32_e32 v145, s39, v2
	s_or_b32 exec_lo, exec_lo, s33
	s_and_saveexec_b32 s33, s17
	s_cbranch_execnz .LBB608_817
.LBB608_848:                            ;   in Loop: Header=BB608_688 Depth=2
	s_or_b32 exec_lo, exec_lo, s33
	s_and_saveexec_b32 s33, s18
	s_cbranch_execz .LBB608_818
.LBB608_849:                            ;   in Loop: Header=BB608_688 Depth=2
	ds_load_b32 v2, v78 offset:3072
	s_waitcnt lgkmcnt(0)
	v_lshrrev_b32_e32 v2, s57, v2
	s_delay_alu instid0(VALU_DEP_1)
	v_and_b32_e32 v143, s39, v2
	s_or_b32 exec_lo, exec_lo, s33
	s_and_saveexec_b32 s33, s19
	s_cbranch_execnz .LBB608_819
.LBB608_850:                            ;   in Loop: Header=BB608_688 Depth=2
	s_or_b32 exec_lo, exec_lo, s33
	s_and_saveexec_b32 s33, s20
	s_cbranch_execz .LBB608_820
.LBB608_851:                            ;   in Loop: Header=BB608_688 Depth=2
	ds_load_b32 v2, v78 offset:5120
	s_waitcnt lgkmcnt(0)
	v_lshrrev_b32_e32 v2, s57, v2
	s_delay_alu instid0(VALU_DEP_1)
	v_and_b32_e32 v141, s39, v2
	s_or_b32 exec_lo, exec_lo, s33
	s_and_saveexec_b32 s33, s21
	s_cbranch_execnz .LBB608_821
.LBB608_852:                            ;   in Loop: Header=BB608_688 Depth=2
	s_or_b32 exec_lo, exec_lo, s33
	s_and_saveexec_b32 s33, s22
	s_cbranch_execz .LBB608_822
.LBB608_853:                            ;   in Loop: Header=BB608_688 Depth=2
	ds_load_b32 v2, v78 offset:7168
	s_waitcnt lgkmcnt(0)
	v_lshrrev_b32_e32 v2, s57, v2
	s_delay_alu instid0(VALU_DEP_1)
	v_and_b32_e32 v139, s39, v2
	s_or_b32 exec_lo, exec_lo, s33
	s_and_saveexec_b32 s33, s23
	s_cbranch_execnz .LBB608_823
.LBB608_854:                            ;   in Loop: Header=BB608_688 Depth=2
	s_or_b32 exec_lo, exec_lo, s33
	s_and_saveexec_b32 s33, s24
	s_cbranch_execz .LBB608_824
.LBB608_855:                            ;   in Loop: Header=BB608_688 Depth=2
	ds_load_b32 v2, v78 offset:9216
	s_waitcnt lgkmcnt(0)
	v_lshrrev_b32_e32 v2, s57, v2
	s_delay_alu instid0(VALU_DEP_1)
	v_and_b32_e32 v137, s39, v2
	s_or_b32 exec_lo, exec_lo, s33
	s_and_saveexec_b32 s33, s25
	s_cbranch_execnz .LBB608_825
.LBB608_856:                            ;   in Loop: Header=BB608_688 Depth=2
	s_or_b32 exec_lo, exec_lo, s33
	s_and_saveexec_b32 s33, s27
	s_cbranch_execz .LBB608_826
.LBB608_857:                            ;   in Loop: Header=BB608_688 Depth=2
	ds_load_b32 v2, v78 offset:11264
	s_waitcnt lgkmcnt(0)
	v_lshrrev_b32_e32 v2, s57, v2
	s_delay_alu instid0(VALU_DEP_1)
	v_and_b32_e32 v135, s39, v2
	s_or_b32 exec_lo, exec_lo, s33
	s_and_saveexec_b32 s33, s28
	s_cbranch_execnz .LBB608_827
.LBB608_858:                            ;   in Loop: Header=BB608_688 Depth=2
	s_or_b32 exec_lo, exec_lo, s33
	s_and_saveexec_b32 s33, s29
	s_cbranch_execz .LBB608_828
.LBB608_859:                            ;   in Loop: Header=BB608_688 Depth=2
	ds_load_b32 v2, v78 offset:13312
	s_waitcnt lgkmcnt(0)
	v_lshrrev_b32_e32 v2, s57, v2
	s_delay_alu instid0(VALU_DEP_1)
	v_and_b32_e32 v133, s39, v2
	s_or_b32 exec_lo, exec_lo, s33
	s_and_saveexec_b32 s33, s30
	s_cbranch_execnz .LBB608_829
.LBB608_860:                            ;   in Loop: Header=BB608_688 Depth=2
	s_or_b32 exec_lo, exec_lo, s33
	s_and_saveexec_b32 s33, s31
	s_cbranch_execz .LBB608_862
.LBB608_861:                            ;   in Loop: Header=BB608_688 Depth=2
	ds_load_b32 v2, v78 offset:15360
	s_waitcnt lgkmcnt(0)
	v_lshrrev_b32_e32 v2, s57, v2
	s_delay_alu instid0(VALU_DEP_1)
	v_and_b32_e32 v131, s39, v2
.LBB608_862:                            ;   in Loop: Header=BB608_688 Depth=2
	s_or_b32 exec_lo, exec_lo, s33
	v_lshlrev_b32_e32 v2, 3, v170
	v_lshlrev_b32_e32 v36, 3, v166
	s_waitcnt vmcnt(0)
	s_waitcnt_vscnt null, 0x0
	s_barrier
	buffer_gl0_inv
	ds_store_b64 v2, v[34:35] offset:1024
	v_lshlrev_b32_e32 v2, 3, v162
	v_lshlrev_b32_e32 v37, 3, v158
	;; [unrolled: 1-line block ×4, first 2 shown]
	ds_store_b64 v36, v[32:33] offset:1024
	ds_store_b64 v2, v[30:31] offset:1024
	;; [unrolled: 1-line block ×5, first 2 shown]
	v_lshlrev_b32_e32 v2, 3, v154
	v_lshlrev_b32_e32 v36, 3, v153
	;; [unrolled: 1-line block ×5, first 2 shown]
	ds_store_b64 v2, v[22:23] offset:1024
	ds_store_b64 v36, v[20:21] offset:1024
	;; [unrolled: 1-line block ×5, first 2 shown]
	v_lshlrev_b32_e32 v2, 3, v40
	v_lshlrev_b32_e32 v36, 3, v39
	;; [unrolled: 1-line block ×5, first 2 shown]
	ds_store_b64 v2, v[12:13] offset:1024
	ds_store_b64 v36, v[10:11] offset:1024
	;; [unrolled: 1-line block ×5, first 2 shown]
	s_waitcnt lgkmcnt(0)
	s_barrier
	buffer_gl0_inv
	s_and_saveexec_b32 s33, vcc_lo
	s_cbranch_execz .LBB608_878
; %bb.863:                              ;   in Loop: Header=BB608_688 Depth=2
	v_lshlrev_b32_e32 v2, 2, v146
	ds_load_b32 v2, v2
	ds_load_b64 v[36:37], v79 offset:1024
	s_waitcnt lgkmcnt(1)
	v_add_nc_u32_e32 v2, v2, v1
	s_delay_alu instid0(VALU_DEP_1) | instskip(NEXT) | instid1(VALU_DEP_1)
	v_lshlrev_b64 v[39:40], 3, v[2:3]
	v_add_co_u32 v39, vcc_lo, s52, v39
	s_delay_alu instid0(VALU_DEP_2)
	v_add_co_ci_u32_e32 v40, vcc_lo, s53, v40, vcc_lo
	s_waitcnt lgkmcnt(0)
	global_store_b64 v[39:40], v[36:37], off
	s_or_b32 exec_lo, exec_lo, s33
	s_and_saveexec_b32 s33, s16
	s_cbranch_execnz .LBB608_879
.LBB608_864:                            ;   in Loop: Header=BB608_688 Depth=2
	s_or_b32 exec_lo, exec_lo, s33
	s_and_saveexec_b32 s16, s17
	s_cbranch_execz .LBB608_880
.LBB608_865:                            ;   in Loop: Header=BB608_688 Depth=2
	v_lshlrev_b32_e32 v2, 2, v144
	v_add_nc_u32_e32 v36, v78, v44
	ds_load_b32 v2, v2
	ds_load_b64 v[36:37], v36 offset:4096
	s_waitcnt lgkmcnt(1)
	v_add_nc_u32_e32 v2, v2, v46
	s_delay_alu instid0(VALU_DEP_1) | instskip(NEXT) | instid1(VALU_DEP_1)
	v_lshlrev_b64 v[39:40], 3, v[2:3]
	v_add_co_u32 v39, vcc_lo, s52, v39
	s_delay_alu instid0(VALU_DEP_2)
	v_add_co_ci_u32_e32 v40, vcc_lo, s53, v40, vcc_lo
	s_waitcnt lgkmcnt(0)
	global_store_b64 v[39:40], v[36:37], off
	s_or_b32 exec_lo, exec_lo, s16
	s_and_saveexec_b32 s16, s18
	s_cbranch_execnz .LBB608_881
.LBB608_866:                            ;   in Loop: Header=BB608_688 Depth=2
	s_or_b32 exec_lo, exec_lo, s16
	s_and_saveexec_b32 s16, s19
	s_cbranch_execz .LBB608_882
.LBB608_867:                            ;   in Loop: Header=BB608_688 Depth=2
	v_lshlrev_b32_e32 v2, 2, v142
	v_add_nc_u32_e32 v36, v78, v44
	ds_load_b32 v2, v2
	ds_load_b64 v[36:37], v36 offset:8192
	s_waitcnt lgkmcnt(1)
	v_add_nc_u32_e32 v2, v2, v51
	s_delay_alu instid0(VALU_DEP_1) | instskip(NEXT) | instid1(VALU_DEP_1)
	v_lshlrev_b64 v[39:40], 3, v[2:3]
	v_add_co_u32 v39, vcc_lo, s52, v39
	s_delay_alu instid0(VALU_DEP_2)
	v_add_co_ci_u32_e32 v40, vcc_lo, s53, v40, vcc_lo
	s_waitcnt lgkmcnt(0)
	global_store_b64 v[39:40], v[36:37], off
	s_or_b32 exec_lo, exec_lo, s16
	s_and_saveexec_b32 s16, s20
	s_cbranch_execnz .LBB608_883
.LBB608_868:                            ;   in Loop: Header=BB608_688 Depth=2
	s_or_b32 exec_lo, exec_lo, s16
	s_and_saveexec_b32 s16, s21
	s_cbranch_execz .LBB608_884
.LBB608_869:                            ;   in Loop: Header=BB608_688 Depth=2
	v_lshlrev_b32_e32 v2, 2, v140
	v_add_nc_u32_e32 v36, v78, v44
	ds_load_b32 v2, v2
	ds_load_b64 v[36:37], v36 offset:12288
	s_waitcnt lgkmcnt(1)
	v_add_nc_u32_e32 v2, v2, v53
	s_delay_alu instid0(VALU_DEP_1) | instskip(NEXT) | instid1(VALU_DEP_1)
	v_lshlrev_b64 v[39:40], 3, v[2:3]
	v_add_co_u32 v39, vcc_lo, s52, v39
	s_delay_alu instid0(VALU_DEP_2)
	v_add_co_ci_u32_e32 v40, vcc_lo, s53, v40, vcc_lo
	s_waitcnt lgkmcnt(0)
	global_store_b64 v[39:40], v[36:37], off
	s_or_b32 exec_lo, exec_lo, s16
	s_and_saveexec_b32 s16, s22
	s_cbranch_execnz .LBB608_885
.LBB608_870:                            ;   in Loop: Header=BB608_688 Depth=2
	s_or_b32 exec_lo, exec_lo, s16
	s_and_saveexec_b32 s16, s23
	s_cbranch_execz .LBB608_886
.LBB608_871:                            ;   in Loop: Header=BB608_688 Depth=2
	v_lshlrev_b32_e32 v2, 2, v138
	v_add_nc_u32_e32 v36, v78, v44
	ds_load_b32 v2, v2
	ds_load_b64 v[36:37], v36 offset:16384
	s_waitcnt lgkmcnt(1)
	v_add_nc_u32_e32 v2, v2, v55
	s_delay_alu instid0(VALU_DEP_1) | instskip(NEXT) | instid1(VALU_DEP_1)
	v_lshlrev_b64 v[39:40], 3, v[2:3]
	v_add_co_u32 v39, vcc_lo, s52, v39
	s_delay_alu instid0(VALU_DEP_2)
	v_add_co_ci_u32_e32 v40, vcc_lo, s53, v40, vcc_lo
	s_waitcnt lgkmcnt(0)
	global_store_b64 v[39:40], v[36:37], off
	s_or_b32 exec_lo, exec_lo, s16
	s_and_saveexec_b32 s16, s24
	s_cbranch_execnz .LBB608_887
.LBB608_872:                            ;   in Loop: Header=BB608_688 Depth=2
	s_or_b32 exec_lo, exec_lo, s16
	s_and_saveexec_b32 s16, s25
	s_cbranch_execz .LBB608_888
.LBB608_873:                            ;   in Loop: Header=BB608_688 Depth=2
	v_lshlrev_b32_e32 v2, 2, v136
	v_add_nc_u32_e32 v36, v78, v44
	ds_load_b32 v2, v2
	ds_load_b64 v[36:37], v36 offset:20480
	s_waitcnt lgkmcnt(1)
	v_add_nc_u32_e32 v2, v2, v57
	s_delay_alu instid0(VALU_DEP_1) | instskip(NEXT) | instid1(VALU_DEP_1)
	v_lshlrev_b64 v[39:40], 3, v[2:3]
	v_add_co_u32 v39, vcc_lo, s52, v39
	s_delay_alu instid0(VALU_DEP_2)
	v_add_co_ci_u32_e32 v40, vcc_lo, s53, v40, vcc_lo
	s_waitcnt lgkmcnt(0)
	global_store_b64 v[39:40], v[36:37], off
	s_or_b32 exec_lo, exec_lo, s16
	s_and_saveexec_b32 s16, s27
	s_cbranch_execnz .LBB608_889
.LBB608_874:                            ;   in Loop: Header=BB608_688 Depth=2
	s_or_b32 exec_lo, exec_lo, s16
	s_and_saveexec_b32 s16, s28
	s_cbranch_execz .LBB608_890
.LBB608_875:                            ;   in Loop: Header=BB608_688 Depth=2
	v_lshlrev_b32_e32 v2, 2, v134
	v_add_nc_u32_e32 v36, v78, v44
	ds_load_b32 v2, v2
	ds_load_b64 v[36:37], v36 offset:24576
	s_waitcnt lgkmcnt(1)
	v_add_nc_u32_e32 v2, v2, v59
	s_delay_alu instid0(VALU_DEP_1) | instskip(NEXT) | instid1(VALU_DEP_1)
	v_lshlrev_b64 v[39:40], 3, v[2:3]
	v_add_co_u32 v39, vcc_lo, s52, v39
	s_delay_alu instid0(VALU_DEP_2)
	v_add_co_ci_u32_e32 v40, vcc_lo, s53, v40, vcc_lo
	s_waitcnt lgkmcnt(0)
	global_store_b64 v[39:40], v[36:37], off
	s_or_b32 exec_lo, exec_lo, s16
	s_and_saveexec_b32 s16, s29
	s_cbranch_execnz .LBB608_891
.LBB608_876:                            ;   in Loop: Header=BB608_688 Depth=2
	s_or_b32 exec_lo, exec_lo, s16
	s_and_saveexec_b32 s16, s30
	s_cbranch_execz .LBB608_892
.LBB608_877:                            ;   in Loop: Header=BB608_688 Depth=2
	v_lshlrev_b32_e32 v2, 2, v132
	v_add_nc_u32_e32 v36, v78, v44
	ds_load_b32 v2, v2
	ds_load_b64 v[36:37], v36 offset:28672
	s_waitcnt lgkmcnt(1)
	v_add_nc_u32_e32 v2, v2, v61
	s_delay_alu instid0(VALU_DEP_1) | instskip(NEXT) | instid1(VALU_DEP_1)
	v_lshlrev_b64 v[39:40], 3, v[2:3]
	v_add_co_u32 v39, vcc_lo, s52, v39
	s_delay_alu instid0(VALU_DEP_2)
	v_add_co_ci_u32_e32 v40, vcc_lo, s53, v40, vcc_lo
	s_waitcnt lgkmcnt(0)
	global_store_b64 v[39:40], v[36:37], off
	s_or_b32 exec_lo, exec_lo, s16
	s_and_saveexec_b32 s16, s31
	s_cbranch_execnz .LBB608_893
	s_branch .LBB608_894
.LBB608_878:                            ;   in Loop: Header=BB608_688 Depth=2
	s_or_b32 exec_lo, exec_lo, s33
	s_and_saveexec_b32 s33, s16
	s_cbranch_execz .LBB608_864
.LBB608_879:                            ;   in Loop: Header=BB608_688 Depth=2
	v_lshlrev_b32_e32 v2, 2, v145
	v_add_nc_u32_e32 v36, v78, v44
	ds_load_b32 v2, v2
	ds_load_b64 v[36:37], v36 offset:2048
	s_waitcnt lgkmcnt(1)
	v_add_nc_u32_e32 v2, v2, v45
	s_delay_alu instid0(VALU_DEP_1) | instskip(NEXT) | instid1(VALU_DEP_1)
	v_lshlrev_b64 v[39:40], 3, v[2:3]
	v_add_co_u32 v39, vcc_lo, s52, v39
	s_delay_alu instid0(VALU_DEP_2)
	v_add_co_ci_u32_e32 v40, vcc_lo, s53, v40, vcc_lo
	s_waitcnt lgkmcnt(0)
	global_store_b64 v[39:40], v[36:37], off
	s_or_b32 exec_lo, exec_lo, s33
	s_and_saveexec_b32 s16, s17
	s_cbranch_execnz .LBB608_865
.LBB608_880:                            ;   in Loop: Header=BB608_688 Depth=2
	s_or_b32 exec_lo, exec_lo, s16
	s_and_saveexec_b32 s16, s18
	s_cbranch_execz .LBB608_866
.LBB608_881:                            ;   in Loop: Header=BB608_688 Depth=2
	v_lshlrev_b32_e32 v2, 2, v143
	v_add_nc_u32_e32 v36, v78, v44
	ds_load_b32 v2, v2
	ds_load_b64 v[36:37], v36 offset:6144
	s_waitcnt lgkmcnt(1)
	v_add_nc_u32_e32 v2, v2, v47
	s_delay_alu instid0(VALU_DEP_1) | instskip(NEXT) | instid1(VALU_DEP_1)
	v_lshlrev_b64 v[39:40], 3, v[2:3]
	v_add_co_u32 v39, vcc_lo, s52, v39
	s_delay_alu instid0(VALU_DEP_2)
	v_add_co_ci_u32_e32 v40, vcc_lo, s53, v40, vcc_lo
	s_waitcnt lgkmcnt(0)
	global_store_b64 v[39:40], v[36:37], off
	s_or_b32 exec_lo, exec_lo, s16
	s_and_saveexec_b32 s16, s19
	s_cbranch_execnz .LBB608_867
.LBB608_882:                            ;   in Loop: Header=BB608_688 Depth=2
	s_or_b32 exec_lo, exec_lo, s16
	s_and_saveexec_b32 s16, s20
	s_cbranch_execz .LBB608_868
.LBB608_883:                            ;   in Loop: Header=BB608_688 Depth=2
	v_lshlrev_b32_e32 v2, 2, v141
	v_add_nc_u32_e32 v36, v78, v44
	ds_load_b32 v2, v2
	ds_load_b64 v[36:37], v36 offset:10240
	s_waitcnt lgkmcnt(1)
	v_add_nc_u32_e32 v2, v2, v52
	s_delay_alu instid0(VALU_DEP_1) | instskip(NEXT) | instid1(VALU_DEP_1)
	v_lshlrev_b64 v[39:40], 3, v[2:3]
	v_add_co_u32 v39, vcc_lo, s52, v39
	s_delay_alu instid0(VALU_DEP_2)
	v_add_co_ci_u32_e32 v40, vcc_lo, s53, v40, vcc_lo
	s_waitcnt lgkmcnt(0)
	global_store_b64 v[39:40], v[36:37], off
	s_or_b32 exec_lo, exec_lo, s16
	s_and_saveexec_b32 s16, s21
	s_cbranch_execnz .LBB608_869
.LBB608_884:                            ;   in Loop: Header=BB608_688 Depth=2
	s_or_b32 exec_lo, exec_lo, s16
	s_and_saveexec_b32 s16, s22
	s_cbranch_execz .LBB608_870
.LBB608_885:                            ;   in Loop: Header=BB608_688 Depth=2
	v_lshlrev_b32_e32 v2, 2, v139
	v_add_nc_u32_e32 v36, v78, v44
	ds_load_b32 v2, v2
	ds_load_b64 v[36:37], v36 offset:14336
	s_waitcnt lgkmcnt(1)
	v_add_nc_u32_e32 v2, v2, v54
	s_delay_alu instid0(VALU_DEP_1) | instskip(NEXT) | instid1(VALU_DEP_1)
	v_lshlrev_b64 v[39:40], 3, v[2:3]
	v_add_co_u32 v39, vcc_lo, s52, v39
	s_delay_alu instid0(VALU_DEP_2)
	v_add_co_ci_u32_e32 v40, vcc_lo, s53, v40, vcc_lo
	s_waitcnt lgkmcnt(0)
	global_store_b64 v[39:40], v[36:37], off
	s_or_b32 exec_lo, exec_lo, s16
	s_and_saveexec_b32 s16, s23
	s_cbranch_execnz .LBB608_871
.LBB608_886:                            ;   in Loop: Header=BB608_688 Depth=2
	s_or_b32 exec_lo, exec_lo, s16
	s_and_saveexec_b32 s16, s24
	s_cbranch_execz .LBB608_872
.LBB608_887:                            ;   in Loop: Header=BB608_688 Depth=2
	v_lshlrev_b32_e32 v2, 2, v137
	v_add_nc_u32_e32 v36, v78, v44
	ds_load_b32 v2, v2
	ds_load_b64 v[36:37], v36 offset:18432
	s_waitcnt lgkmcnt(1)
	v_add_nc_u32_e32 v2, v2, v56
	s_delay_alu instid0(VALU_DEP_1) | instskip(NEXT) | instid1(VALU_DEP_1)
	v_lshlrev_b64 v[39:40], 3, v[2:3]
	v_add_co_u32 v39, vcc_lo, s52, v39
	s_delay_alu instid0(VALU_DEP_2)
	v_add_co_ci_u32_e32 v40, vcc_lo, s53, v40, vcc_lo
	s_waitcnt lgkmcnt(0)
	global_store_b64 v[39:40], v[36:37], off
	s_or_b32 exec_lo, exec_lo, s16
	s_and_saveexec_b32 s16, s25
	s_cbranch_execnz .LBB608_873
.LBB608_888:                            ;   in Loop: Header=BB608_688 Depth=2
	s_or_b32 exec_lo, exec_lo, s16
	s_and_saveexec_b32 s16, s27
	s_cbranch_execz .LBB608_874
.LBB608_889:                            ;   in Loop: Header=BB608_688 Depth=2
	v_lshlrev_b32_e32 v2, 2, v135
	v_add_nc_u32_e32 v36, v78, v44
	ds_load_b32 v2, v2
	ds_load_b64 v[36:37], v36 offset:22528
	s_waitcnt lgkmcnt(1)
	v_add_nc_u32_e32 v2, v2, v58
	s_delay_alu instid0(VALU_DEP_1) | instskip(NEXT) | instid1(VALU_DEP_1)
	v_lshlrev_b64 v[39:40], 3, v[2:3]
	v_add_co_u32 v39, vcc_lo, s52, v39
	s_delay_alu instid0(VALU_DEP_2)
	v_add_co_ci_u32_e32 v40, vcc_lo, s53, v40, vcc_lo
	s_waitcnt lgkmcnt(0)
	global_store_b64 v[39:40], v[36:37], off
	s_or_b32 exec_lo, exec_lo, s16
	s_and_saveexec_b32 s16, s28
	s_cbranch_execnz .LBB608_875
.LBB608_890:                            ;   in Loop: Header=BB608_688 Depth=2
	s_or_b32 exec_lo, exec_lo, s16
	s_and_saveexec_b32 s16, s29
	s_cbranch_execz .LBB608_876
.LBB608_891:                            ;   in Loop: Header=BB608_688 Depth=2
	v_lshlrev_b32_e32 v2, 2, v133
	v_add_nc_u32_e32 v36, v78, v44
	ds_load_b32 v2, v2
	ds_load_b64 v[36:37], v36 offset:26624
	s_waitcnt lgkmcnt(1)
	v_add_nc_u32_e32 v2, v2, v60
	s_delay_alu instid0(VALU_DEP_1) | instskip(NEXT) | instid1(VALU_DEP_1)
	v_lshlrev_b64 v[39:40], 3, v[2:3]
	v_add_co_u32 v39, vcc_lo, s52, v39
	s_delay_alu instid0(VALU_DEP_2)
	v_add_co_ci_u32_e32 v40, vcc_lo, s53, v40, vcc_lo
	s_waitcnt lgkmcnt(0)
	global_store_b64 v[39:40], v[36:37], off
	s_or_b32 exec_lo, exec_lo, s16
	s_and_saveexec_b32 s16, s30
	s_cbranch_execnz .LBB608_877
.LBB608_892:                            ;   in Loop: Header=BB608_688 Depth=2
	s_or_b32 exec_lo, exec_lo, s16
	s_and_saveexec_b32 s16, s31
	s_cbranch_execz .LBB608_894
.LBB608_893:                            ;   in Loop: Header=BB608_688 Depth=2
	v_lshlrev_b32_e32 v2, 2, v131
	v_add_nc_u32_e32 v36, v78, v44
	ds_load_b32 v2, v2
	ds_load_b64 v[36:37], v36 offset:30720
	s_waitcnt lgkmcnt(1)
	v_add_nc_u32_e32 v2, v2, v63
	s_delay_alu instid0(VALU_DEP_1) | instskip(NEXT) | instid1(VALU_DEP_1)
	v_lshlrev_b64 v[39:40], 3, v[2:3]
	v_add_co_u32 v39, vcc_lo, s52, v39
	s_delay_alu instid0(VALU_DEP_2)
	v_add_co_ci_u32_e32 v40, vcc_lo, s53, v40, vcc_lo
	s_waitcnt lgkmcnt(0)
	global_store_b64 v[39:40], v[36:37], off
.LBB608_894:                            ;   in Loop: Header=BB608_688 Depth=2
	s_or_b32 exec_lo, exec_lo, s16
	s_waitcnt_vscnt null, 0x0
	s_barrier
	buffer_gl0_inv
	s_and_saveexec_b32 s16, s2
	s_cbranch_execz .LBB608_687
; %bb.895:                              ;   in Loop: Header=BB608_688 Depth=2
	ds_load_b32 v2, v44
	s_waitcnt lgkmcnt(0)
	v_add_nc_u32_e32 v2, v2, v38
	ds_store_b32 v44, v2
	s_branch .LBB608_687
.LBB608_896:                            ;   in Loop: Header=BB608_12 Depth=1
	s_waitcnt lgkmcnt(0)
	s_mov_b32 s0, 0
	s_barrier
.LBB608_897:                            ;   in Loop: Header=BB608_12 Depth=1
	s_and_b32 vcc_lo, exec_lo, s0
	s_cbranch_vccz .LBB608_11
; %bb.898:                              ;   in Loop: Header=BB608_12 Depth=1
	s_mov_b32 s8, s62
	s_mov_b32 s34, s60
	s_barrier
	buffer_gl0_inv
                                        ; implicit-def: $vgpr20
                                        ; implicit-def: $vgpr2
                                        ; implicit-def: $vgpr6
                                        ; implicit-def: $vgpr7
                                        ; implicit-def: $vgpr8
                                        ; implicit-def: $vgpr9
                                        ; implicit-def: $vgpr10
                                        ; implicit-def: $vgpr11
                                        ; implicit-def: $vgpr12
                                        ; implicit-def: $vgpr13
                                        ; implicit-def: $vgpr14
                                        ; implicit-def: $vgpr15
                                        ; implicit-def: $vgpr16
                                        ; implicit-def: $vgpr17
                                        ; implicit-def: $vgpr18
                                        ; implicit-def: $vgpr19
	s_branch .LBB608_900
.LBB608_899:                            ;   in Loop: Header=BB608_900 Depth=2
	s_or_b32 exec_lo, exec_lo, s0
	s_addk_i32 s8, 0xf000
	s_cmp_ge_u32 s9, s61
	s_mov_b32 s34, s9
	s_cbranch_scc1 .LBB608_970
.LBB608_900:                            ;   Parent Loop BB608_12 Depth=1
                                        ; =>  This Inner Loop Header: Depth=2
	s_add_i32 s9, s34, 0x1000
	s_delay_alu instid0(SALU_CYCLE_1)
	s_cmp_gt_u32 s9, s61
	s_cbranch_scc1 .LBB608_903
; %bb.901:                              ;   in Loop: Header=BB608_900 Depth=2
	s_mov_b32 s1, 0
	s_mov_b32 s0, s34
	s_delay_alu instid0(SALU_CYCLE_1) | instskip(NEXT) | instid1(SALU_CYCLE_1)
	s_lshl_b64 s[10:11], s[0:1], 2
	v_add_co_u32 v4, vcc_lo, v86, s10
	v_add_co_ci_u32_e32 v5, vcc_lo, s11, v87, vcc_lo
	s_movk_i32 s11, 0x1000
	s_waitcnt vmcnt(1)
	s_delay_alu instid0(VALU_DEP_2) | instskip(NEXT) | instid1(VALU_DEP_2)
	v_add_co_u32 v29, vcc_lo, 0x1000, v4
	v_add_co_ci_u32_e32 v30, vcc_lo, 0, v5, vcc_lo
	s_waitcnt vmcnt(0)
	v_add_co_u32 v36, vcc_lo, v4, 0x2000
	v_add_co_ci_u32_e32 v37, vcc_lo, 0, v5, vcc_lo
	v_add_co_u32 v33, vcc_lo, 0x2000, v4
	v_add_co_ci_u32_e32 v34, vcc_lo, 0, v5, vcc_lo
	v_add_co_u32 v38, vcc_lo, 0x3000, v4
	global_load_b32 v26, v[36:37], off
	v_add_co_ci_u32_e32 v39, vcc_lo, 0, v5, vcc_lo
	s_clause 0xd
	global_load_b32 v22, v[4:5], off
	global_load_b32 v23, v[4:5], off offset:1024
	global_load_b32 v24, v[4:5], off offset:2048
	;; [unrolled: 1-line block ×9, first 2 shown]
	global_load_b32 v34, v[38:39], off
	global_load_b32 v35, v[38:39], off offset:1024
	global_load_b32 v29, v[36:37], off offset:-4096
	global_load_b32 v36, v[38:39], off offset:2048
	v_add_co_u32 v4, vcc_lo, 0x3c00, v4
	v_add_co_ci_u32_e32 v5, vcc_lo, 0, v5, vcc_lo
	s_mov_b32 s10, -1
	s_cbranch_execz .LBB608_904
; %bb.902:                              ;   in Loop: Header=BB608_900 Depth=2
                                        ; implicit-def: $vgpr19
                                        ; implicit-def: $vgpr18
                                        ; implicit-def: $vgpr17
                                        ; implicit-def: $vgpr16
                                        ; implicit-def: $vgpr15
                                        ; implicit-def: $vgpr14
                                        ; implicit-def: $vgpr13
                                        ; implicit-def: $vgpr12
                                        ; implicit-def: $vgpr11
                                        ; implicit-def: $vgpr10
                                        ; implicit-def: $vgpr9
                                        ; implicit-def: $vgpr8
                                        ; implicit-def: $vgpr7
                                        ; implicit-def: $vgpr6
                                        ; implicit-def: $vgpr2
                                        ; implicit-def: $vgpr20
	v_mov_b32_e32 v21, s8
	s_and_saveexec_b32 s0, s10
	s_cbranch_execnz .LBB608_923
	s_branch .LBB608_924
.LBB608_903:                            ;   in Loop: Header=BB608_900 Depth=2
	s_mov_b32 s10, 0
                                        ; implicit-def: $sgpr11
                                        ; implicit-def: $vgpr22
                                        ; implicit-def: $vgpr23
                                        ; implicit-def: $vgpr24
                                        ; implicit-def: $vgpr25
                                        ; implicit-def: $vgpr29
                                        ; implicit-def: $vgpr27
                                        ; implicit-def: $vgpr28
                                        ; implicit-def: $vgpr30
                                        ; implicit-def: $vgpr26
                                        ; implicit-def: $vgpr31
                                        ; implicit-def: $vgpr32
                                        ; implicit-def: $vgpr33
                                        ; implicit-def: $vgpr34
                                        ; implicit-def: $vgpr35
                                        ; implicit-def: $vgpr36
                                        ; implicit-def: $vgpr4_vgpr5
.LBB608_904:                            ;   in Loop: Header=BB608_900 Depth=2
	s_lshl_b64 s[0:1], s[34:35], 2
	s_mov_b32 s11, exec_lo
	s_add_u32 s0, s44, s0
	s_addc_u32 s1, s45, s1
	v_cmpx_gt_u32_e64 s8, v1
	s_cbranch_execz .LBB608_956
; %bb.905:                              ;   in Loop: Header=BB608_900 Depth=2
	global_load_b32 v19, v93, s[0:1]
	s_or_b32 exec_lo, exec_lo, s11
	s_delay_alu instid0(SALU_CYCLE_1)
	s_mov_b32 s11, exec_lo
	v_cmpx_gt_u32_e64 s8, v45
	s_cbranch_execnz .LBB608_957
.LBB608_906:                            ;   in Loop: Header=BB608_900 Depth=2
	s_or_b32 exec_lo, exec_lo, s11
	s_delay_alu instid0(SALU_CYCLE_1)
	s_mov_b32 s11, exec_lo
	v_cmpx_gt_u32_e64 s8, v46
	s_cbranch_execz .LBB608_958
.LBB608_907:                            ;   in Loop: Header=BB608_900 Depth=2
	global_load_b32 v17, v93, s[0:1] offset:2048
	s_or_b32 exec_lo, exec_lo, s11
	s_delay_alu instid0(SALU_CYCLE_1)
	s_mov_b32 s11, exec_lo
	v_cmpx_gt_u32_e64 s8, v47
	s_cbranch_execnz .LBB608_959
.LBB608_908:                            ;   in Loop: Header=BB608_900 Depth=2
	s_or_b32 exec_lo, exec_lo, s11
	s_delay_alu instid0(SALU_CYCLE_1)
	s_mov_b32 s11, exec_lo
	v_cmpx_gt_u32_e64 s8, v51
	s_cbranch_execz .LBB608_960
.LBB608_909:                            ;   in Loop: Header=BB608_900 Depth=2
	global_load_b32 v15, v94, s[0:1]
	s_or_b32 exec_lo, exec_lo, s11
	s_delay_alu instid0(SALU_CYCLE_1)
	s_mov_b32 s11, exec_lo
	v_cmpx_gt_u32_e64 s8, v52
	s_cbranch_execnz .LBB608_961
.LBB608_910:                            ;   in Loop: Header=BB608_900 Depth=2
	s_or_b32 exec_lo, exec_lo, s11
	s_delay_alu instid0(SALU_CYCLE_1)
	s_mov_b32 s11, exec_lo
	v_cmpx_gt_u32_e64 s8, v53
	s_cbranch_execz .LBB608_962
.LBB608_911:                            ;   in Loop: Header=BB608_900 Depth=2
	global_load_b32 v13, v96, s[0:1]
	s_or_b32 exec_lo, exec_lo, s11
	s_delay_alu instid0(SALU_CYCLE_1)
	s_mov_b32 s11, exec_lo
	v_cmpx_gt_u32_e64 s8, v54
	s_cbranch_execnz .LBB608_963
.LBB608_912:                            ;   in Loop: Header=BB608_900 Depth=2
	s_or_b32 exec_lo, exec_lo, s11
	s_delay_alu instid0(SALU_CYCLE_1)
	s_mov_b32 s11, exec_lo
	v_cmpx_gt_u32_e64 s8, v55
	s_cbranch_execz .LBB608_964
.LBB608_913:                            ;   in Loop: Header=BB608_900 Depth=2
	global_load_b32 v11, v98, s[0:1]
	s_or_b32 exec_lo, exec_lo, s11
	s_delay_alu instid0(SALU_CYCLE_1)
	s_mov_b32 s11, exec_lo
	v_cmpx_gt_u32_e64 s8, v56
	s_cbranch_execnz .LBB608_965
.LBB608_914:                            ;   in Loop: Header=BB608_900 Depth=2
	s_or_b32 exec_lo, exec_lo, s11
	s_delay_alu instid0(SALU_CYCLE_1)
	s_mov_b32 s11, exec_lo
	v_cmpx_gt_u32_e64 s8, v57
	s_cbranch_execz .LBB608_966
.LBB608_915:                            ;   in Loop: Header=BB608_900 Depth=2
	global_load_b32 v9, v100, s[0:1]
	s_or_b32 exec_lo, exec_lo, s11
	s_delay_alu instid0(SALU_CYCLE_1)
	s_mov_b32 s11, exec_lo
	v_cmpx_gt_u32_e64 s8, v58
	s_cbranch_execnz .LBB608_967
.LBB608_916:                            ;   in Loop: Header=BB608_900 Depth=2
	s_or_b32 exec_lo, exec_lo, s11
	s_delay_alu instid0(SALU_CYCLE_1)
	s_mov_b32 s11, exec_lo
	v_cmpx_gt_u32_e64 s8, v59
	s_cbranch_execz .LBB608_968
.LBB608_917:                            ;   in Loop: Header=BB608_900 Depth=2
	global_load_b32 v7, v102, s[0:1]
	s_or_b32 exec_lo, exec_lo, s11
	s_delay_alu instid0(SALU_CYCLE_1)
	s_mov_b32 s11, exec_lo
	v_cmpx_gt_u32_e64 s8, v60
	s_cbranch_execnz .LBB608_969
.LBB608_918:                            ;   in Loop: Header=BB608_900 Depth=2
	s_or_b32 exec_lo, exec_lo, s11
	s_delay_alu instid0(SALU_CYCLE_1)
	s_mov_b32 s11, exec_lo
	v_cmpx_gt_u32_e64 s8, v61
	s_cbranch_execz .LBB608_920
.LBB608_919:                            ;   in Loop: Header=BB608_900 Depth=2
	global_load_b32 v2, v104, s[0:1]
.LBB608_920:                            ;   in Loop: Header=BB608_900 Depth=2
	s_or_b32 exec_lo, exec_lo, s11
	s_delay_alu instid0(SALU_CYCLE_1)
	s_mov_b32 s12, exec_lo
                                        ; implicit-def: $sgpr11
                                        ; implicit-def: $vgpr4_vgpr5
	v_cmpx_gt_u32_e64 s8, v63
; %bb.921:                              ;   in Loop: Header=BB608_900 Depth=2
	v_add_co_u32 v4, s0, s0, v105
	s_delay_alu instid0(VALU_DEP_1)
	v_add_co_ci_u32_e64 v5, null, s1, 0, s0
	s_sub_i32 s11, s61, s34
	s_or_b32 s10, s10, exec_lo
                                        ; implicit-def: $vgpr20
; %bb.922:                              ;   in Loop: Header=BB608_900 Depth=2
	s_or_b32 exec_lo, exec_lo, s12
	s_waitcnt vmcnt(0)
	v_dual_mov_b32 v22, v19 :: v_dual_mov_b32 v23, v18
	v_dual_mov_b32 v24, v17 :: v_dual_mov_b32 v25, v16
	;; [unrolled: 1-line block ×8, first 2 shown]
	s_and_saveexec_b32 s0, s10
	s_cbranch_execz .LBB608_924
.LBB608_923:                            ;   in Loop: Header=BB608_900 Depth=2
	global_load_b32 v20, v[4:5], off
	s_waitcnt vmcnt(1)
	v_dual_mov_b32 v21, s11 :: v_dual_mov_b32 v2, v36
	v_dual_mov_b32 v6, v35 :: v_dual_mov_b32 v7, v34
	;; [unrolled: 1-line block ×8, first 2 shown]
.LBB608_924:                            ;   in Loop: Header=BB608_900 Depth=2
	s_or_b32 exec_lo, exec_lo, s0
	v_lshlrev_b32_e32 v4, 2, v48
	s_mov_b32 s0, exec_lo
	v_cmpx_lt_u32_e64 v1, v21
	s_cbranch_execz .LBB608_940
; %bb.925:                              ;   in Loop: Header=BB608_900 Depth=2
	v_xor_b32_e32 v5, 0x80000000, v19
	s_delay_alu instid0(VALU_DEP_1) | instskip(NEXT) | instid1(VALU_DEP_1)
	v_lshrrev_b32_e32 v5, s57, v5
	v_and_b32_e32 v5, s39, v5
	s_delay_alu instid0(VALU_DEP_1) | instskip(SKIP_2) | instid1(SALU_CYCLE_1)
	v_lshl_or_b32 v5, v5, 4, v4
	ds_add_u32 v5, v92
	s_or_b32 exec_lo, exec_lo, s0
	s_mov_b32 s0, exec_lo
	v_cmpx_lt_u32_e64 v45, v21
	s_cbranch_execnz .LBB608_941
.LBB608_926:                            ;   in Loop: Header=BB608_900 Depth=2
	s_or_b32 exec_lo, exec_lo, s0
	s_delay_alu instid0(SALU_CYCLE_1)
	s_mov_b32 s0, exec_lo
	v_cmpx_lt_u32_e64 v46, v21
	s_cbranch_execz .LBB608_942
.LBB608_927:                            ;   in Loop: Header=BB608_900 Depth=2
	v_xor_b32_e32 v5, 0x80000000, v17
	s_delay_alu instid0(VALU_DEP_1) | instskip(NEXT) | instid1(VALU_DEP_1)
	v_lshrrev_b32_e32 v5, s57, v5
	v_and_b32_e32 v5, s39, v5
	s_delay_alu instid0(VALU_DEP_1) | instskip(SKIP_2) | instid1(SALU_CYCLE_1)
	v_lshl_or_b32 v5, v5, 4, v4
	ds_add_u32 v5, v92
	s_or_b32 exec_lo, exec_lo, s0
	s_mov_b32 s0, exec_lo
	v_cmpx_lt_u32_e64 v47, v21
	s_cbranch_execnz .LBB608_943
.LBB608_928:                            ;   in Loop: Header=BB608_900 Depth=2
	s_or_b32 exec_lo, exec_lo, s0
	s_delay_alu instid0(SALU_CYCLE_1)
	s_mov_b32 s0, exec_lo
	v_cmpx_lt_u32_e64 v51, v21
	s_cbranch_execz .LBB608_944
.LBB608_929:                            ;   in Loop: Header=BB608_900 Depth=2
	v_xor_b32_e32 v5, 0x80000000, v15
	s_delay_alu instid0(VALU_DEP_1) | instskip(NEXT) | instid1(VALU_DEP_1)
	v_lshrrev_b32_e32 v5, s57, v5
	v_and_b32_e32 v5, s39, v5
	s_delay_alu instid0(VALU_DEP_1) | instskip(SKIP_2) | instid1(SALU_CYCLE_1)
	v_lshl_or_b32 v5, v5, 4, v4
	ds_add_u32 v5, v92
	s_or_b32 exec_lo, exec_lo, s0
	s_mov_b32 s0, exec_lo
	v_cmpx_lt_u32_e64 v52, v21
	s_cbranch_execnz .LBB608_945
.LBB608_930:                            ;   in Loop: Header=BB608_900 Depth=2
	s_or_b32 exec_lo, exec_lo, s0
	s_delay_alu instid0(SALU_CYCLE_1)
	s_mov_b32 s0, exec_lo
	v_cmpx_lt_u32_e64 v53, v21
	s_cbranch_execz .LBB608_946
.LBB608_931:                            ;   in Loop: Header=BB608_900 Depth=2
	v_xor_b32_e32 v5, 0x80000000, v13
	s_delay_alu instid0(VALU_DEP_1) | instskip(NEXT) | instid1(VALU_DEP_1)
	v_lshrrev_b32_e32 v5, s57, v5
	v_and_b32_e32 v5, s39, v5
	s_delay_alu instid0(VALU_DEP_1) | instskip(SKIP_2) | instid1(SALU_CYCLE_1)
	v_lshl_or_b32 v5, v5, 4, v4
	ds_add_u32 v5, v92
	s_or_b32 exec_lo, exec_lo, s0
	s_mov_b32 s0, exec_lo
	v_cmpx_lt_u32_e64 v54, v21
	s_cbranch_execnz .LBB608_947
.LBB608_932:                            ;   in Loop: Header=BB608_900 Depth=2
	s_or_b32 exec_lo, exec_lo, s0
	s_delay_alu instid0(SALU_CYCLE_1)
	s_mov_b32 s0, exec_lo
	v_cmpx_lt_u32_e64 v55, v21
	s_cbranch_execz .LBB608_948
.LBB608_933:                            ;   in Loop: Header=BB608_900 Depth=2
	v_xor_b32_e32 v5, 0x80000000, v11
	s_delay_alu instid0(VALU_DEP_1) | instskip(NEXT) | instid1(VALU_DEP_1)
	v_lshrrev_b32_e32 v5, s57, v5
	v_and_b32_e32 v5, s39, v5
	s_delay_alu instid0(VALU_DEP_1) | instskip(SKIP_2) | instid1(SALU_CYCLE_1)
	v_lshl_or_b32 v5, v5, 4, v4
	ds_add_u32 v5, v92
	s_or_b32 exec_lo, exec_lo, s0
	s_mov_b32 s0, exec_lo
	v_cmpx_lt_u32_e64 v56, v21
	s_cbranch_execnz .LBB608_949
.LBB608_934:                            ;   in Loop: Header=BB608_900 Depth=2
	s_or_b32 exec_lo, exec_lo, s0
	s_delay_alu instid0(SALU_CYCLE_1)
	s_mov_b32 s0, exec_lo
	v_cmpx_lt_u32_e64 v57, v21
	s_cbranch_execz .LBB608_950
.LBB608_935:                            ;   in Loop: Header=BB608_900 Depth=2
	v_xor_b32_e32 v5, 0x80000000, v9
	s_delay_alu instid0(VALU_DEP_1) | instskip(NEXT) | instid1(VALU_DEP_1)
	v_lshrrev_b32_e32 v5, s57, v5
	v_and_b32_e32 v5, s39, v5
	s_delay_alu instid0(VALU_DEP_1) | instskip(SKIP_2) | instid1(SALU_CYCLE_1)
	v_lshl_or_b32 v5, v5, 4, v4
	ds_add_u32 v5, v92
	s_or_b32 exec_lo, exec_lo, s0
	s_mov_b32 s0, exec_lo
	v_cmpx_lt_u32_e64 v58, v21
	s_cbranch_execnz .LBB608_951
.LBB608_936:                            ;   in Loop: Header=BB608_900 Depth=2
	s_or_b32 exec_lo, exec_lo, s0
	s_delay_alu instid0(SALU_CYCLE_1)
	s_mov_b32 s0, exec_lo
	v_cmpx_lt_u32_e64 v59, v21
	s_cbranch_execz .LBB608_952
.LBB608_937:                            ;   in Loop: Header=BB608_900 Depth=2
	v_xor_b32_e32 v5, 0x80000000, v7
	s_delay_alu instid0(VALU_DEP_1) | instskip(NEXT) | instid1(VALU_DEP_1)
	v_lshrrev_b32_e32 v5, s57, v5
	v_and_b32_e32 v5, s39, v5
	s_delay_alu instid0(VALU_DEP_1) | instskip(SKIP_2) | instid1(SALU_CYCLE_1)
	v_lshl_or_b32 v5, v5, 4, v4
	ds_add_u32 v5, v92
	s_or_b32 exec_lo, exec_lo, s0
	s_mov_b32 s0, exec_lo
	v_cmpx_lt_u32_e64 v60, v21
	s_cbranch_execnz .LBB608_953
.LBB608_938:                            ;   in Loop: Header=BB608_900 Depth=2
	s_or_b32 exec_lo, exec_lo, s0
	s_delay_alu instid0(SALU_CYCLE_1)
	s_mov_b32 s0, exec_lo
	v_cmpx_lt_u32_e64 v61, v21
	s_cbranch_execz .LBB608_954
.LBB608_939:                            ;   in Loop: Header=BB608_900 Depth=2
	v_xor_b32_e32 v5, 0x80000000, v2
	s_delay_alu instid0(VALU_DEP_1) | instskip(NEXT) | instid1(VALU_DEP_1)
	v_lshrrev_b32_e32 v5, s57, v5
	v_and_b32_e32 v5, s39, v5
	s_delay_alu instid0(VALU_DEP_1) | instskip(SKIP_2) | instid1(SALU_CYCLE_1)
	v_lshl_or_b32 v5, v5, 4, v4
	ds_add_u32 v5, v92
	s_or_b32 exec_lo, exec_lo, s0
	s_mov_b32 s0, exec_lo
	v_cmpx_lt_u32_e64 v63, v21
	s_cbranch_execz .LBB608_899
	s_branch .LBB608_955
.LBB608_940:                            ;   in Loop: Header=BB608_900 Depth=2
	s_or_b32 exec_lo, exec_lo, s0
	s_delay_alu instid0(SALU_CYCLE_1)
	s_mov_b32 s0, exec_lo
	v_cmpx_lt_u32_e64 v45, v21
	s_cbranch_execz .LBB608_926
.LBB608_941:                            ;   in Loop: Header=BB608_900 Depth=2
	v_xor_b32_e32 v5, 0x80000000, v18
	s_delay_alu instid0(VALU_DEP_1) | instskip(NEXT) | instid1(VALU_DEP_1)
	v_lshrrev_b32_e32 v5, s57, v5
	v_and_b32_e32 v5, s39, v5
	s_delay_alu instid0(VALU_DEP_1) | instskip(SKIP_2) | instid1(SALU_CYCLE_1)
	v_lshl_or_b32 v5, v5, 4, v4
	ds_add_u32 v5, v92
	s_or_b32 exec_lo, exec_lo, s0
	s_mov_b32 s0, exec_lo
	v_cmpx_lt_u32_e64 v46, v21
	s_cbranch_execnz .LBB608_927
.LBB608_942:                            ;   in Loop: Header=BB608_900 Depth=2
	s_or_b32 exec_lo, exec_lo, s0
	s_delay_alu instid0(SALU_CYCLE_1)
	s_mov_b32 s0, exec_lo
	v_cmpx_lt_u32_e64 v47, v21
	s_cbranch_execz .LBB608_928
.LBB608_943:                            ;   in Loop: Header=BB608_900 Depth=2
	v_xor_b32_e32 v5, 0x80000000, v16
	s_delay_alu instid0(VALU_DEP_1) | instskip(NEXT) | instid1(VALU_DEP_1)
	v_lshrrev_b32_e32 v5, s57, v5
	v_and_b32_e32 v5, s39, v5
	s_delay_alu instid0(VALU_DEP_1) | instskip(SKIP_2) | instid1(SALU_CYCLE_1)
	v_lshl_or_b32 v5, v5, 4, v4
	ds_add_u32 v5, v92
	s_or_b32 exec_lo, exec_lo, s0
	s_mov_b32 s0, exec_lo
	v_cmpx_lt_u32_e64 v51, v21
	s_cbranch_execnz .LBB608_929
.LBB608_944:                            ;   in Loop: Header=BB608_900 Depth=2
	s_or_b32 exec_lo, exec_lo, s0
	s_delay_alu instid0(SALU_CYCLE_1)
	s_mov_b32 s0, exec_lo
	v_cmpx_lt_u32_e64 v52, v21
	s_cbranch_execz .LBB608_930
.LBB608_945:                            ;   in Loop: Header=BB608_900 Depth=2
	v_xor_b32_e32 v5, 0x80000000, v14
	s_delay_alu instid0(VALU_DEP_1) | instskip(NEXT) | instid1(VALU_DEP_1)
	v_lshrrev_b32_e32 v5, s57, v5
	v_and_b32_e32 v5, s39, v5
	s_delay_alu instid0(VALU_DEP_1) | instskip(SKIP_2) | instid1(SALU_CYCLE_1)
	v_lshl_or_b32 v5, v5, 4, v4
	ds_add_u32 v5, v92
	s_or_b32 exec_lo, exec_lo, s0
	s_mov_b32 s0, exec_lo
	v_cmpx_lt_u32_e64 v53, v21
	s_cbranch_execnz .LBB608_931
.LBB608_946:                            ;   in Loop: Header=BB608_900 Depth=2
	s_or_b32 exec_lo, exec_lo, s0
	s_delay_alu instid0(SALU_CYCLE_1)
	s_mov_b32 s0, exec_lo
	v_cmpx_lt_u32_e64 v54, v21
	s_cbranch_execz .LBB608_932
.LBB608_947:                            ;   in Loop: Header=BB608_900 Depth=2
	v_xor_b32_e32 v5, 0x80000000, v12
	s_delay_alu instid0(VALU_DEP_1) | instskip(NEXT) | instid1(VALU_DEP_1)
	v_lshrrev_b32_e32 v5, s57, v5
	v_and_b32_e32 v5, s39, v5
	s_delay_alu instid0(VALU_DEP_1) | instskip(SKIP_2) | instid1(SALU_CYCLE_1)
	v_lshl_or_b32 v5, v5, 4, v4
	ds_add_u32 v5, v92
	s_or_b32 exec_lo, exec_lo, s0
	s_mov_b32 s0, exec_lo
	v_cmpx_lt_u32_e64 v55, v21
	s_cbranch_execnz .LBB608_933
.LBB608_948:                            ;   in Loop: Header=BB608_900 Depth=2
	s_or_b32 exec_lo, exec_lo, s0
	s_delay_alu instid0(SALU_CYCLE_1)
	s_mov_b32 s0, exec_lo
	v_cmpx_lt_u32_e64 v56, v21
	s_cbranch_execz .LBB608_934
.LBB608_949:                            ;   in Loop: Header=BB608_900 Depth=2
	v_xor_b32_e32 v5, 0x80000000, v10
	s_delay_alu instid0(VALU_DEP_1) | instskip(NEXT) | instid1(VALU_DEP_1)
	v_lshrrev_b32_e32 v5, s57, v5
	v_and_b32_e32 v5, s39, v5
	s_delay_alu instid0(VALU_DEP_1) | instskip(SKIP_2) | instid1(SALU_CYCLE_1)
	v_lshl_or_b32 v5, v5, 4, v4
	ds_add_u32 v5, v92
	s_or_b32 exec_lo, exec_lo, s0
	s_mov_b32 s0, exec_lo
	v_cmpx_lt_u32_e64 v57, v21
	s_cbranch_execnz .LBB608_935
.LBB608_950:                            ;   in Loop: Header=BB608_900 Depth=2
	s_or_b32 exec_lo, exec_lo, s0
	s_delay_alu instid0(SALU_CYCLE_1)
	s_mov_b32 s0, exec_lo
	v_cmpx_lt_u32_e64 v58, v21
	s_cbranch_execz .LBB608_936
.LBB608_951:                            ;   in Loop: Header=BB608_900 Depth=2
	v_xor_b32_e32 v5, 0x80000000, v8
	s_delay_alu instid0(VALU_DEP_1) | instskip(NEXT) | instid1(VALU_DEP_1)
	v_lshrrev_b32_e32 v5, s57, v5
	v_and_b32_e32 v5, s39, v5
	s_delay_alu instid0(VALU_DEP_1) | instskip(SKIP_2) | instid1(SALU_CYCLE_1)
	v_lshl_or_b32 v5, v5, 4, v4
	ds_add_u32 v5, v92
	s_or_b32 exec_lo, exec_lo, s0
	s_mov_b32 s0, exec_lo
	v_cmpx_lt_u32_e64 v59, v21
	s_cbranch_execnz .LBB608_937
.LBB608_952:                            ;   in Loop: Header=BB608_900 Depth=2
	s_or_b32 exec_lo, exec_lo, s0
	s_delay_alu instid0(SALU_CYCLE_1)
	s_mov_b32 s0, exec_lo
	v_cmpx_lt_u32_e64 v60, v21
	s_cbranch_execz .LBB608_938
.LBB608_953:                            ;   in Loop: Header=BB608_900 Depth=2
	v_xor_b32_e32 v5, 0x80000000, v6
	s_delay_alu instid0(VALU_DEP_1) | instskip(NEXT) | instid1(VALU_DEP_1)
	v_lshrrev_b32_e32 v5, s57, v5
	v_and_b32_e32 v5, s39, v5
	s_delay_alu instid0(VALU_DEP_1) | instskip(SKIP_2) | instid1(SALU_CYCLE_1)
	v_lshl_or_b32 v5, v5, 4, v4
	ds_add_u32 v5, v92
	s_or_b32 exec_lo, exec_lo, s0
	s_mov_b32 s0, exec_lo
	v_cmpx_lt_u32_e64 v61, v21
	s_cbranch_execnz .LBB608_939
.LBB608_954:                            ;   in Loop: Header=BB608_900 Depth=2
	s_or_b32 exec_lo, exec_lo, s0
	s_delay_alu instid0(SALU_CYCLE_1)
	s_mov_b32 s0, exec_lo
	v_cmpx_lt_u32_e64 v63, v21
	s_cbranch_execz .LBB608_899
.LBB608_955:                            ;   in Loop: Header=BB608_900 Depth=2
	s_waitcnt vmcnt(0)
	v_xor_b32_e32 v5, 0x80000000, v20
	s_delay_alu instid0(VALU_DEP_1) | instskip(NEXT) | instid1(VALU_DEP_1)
	v_lshrrev_b32_e32 v5, s57, v5
	v_and_b32_e32 v5, s39, v5
	s_delay_alu instid0(VALU_DEP_1)
	v_lshl_or_b32 v4, v5, 4, v4
	ds_add_u32 v4, v92
	s_branch .LBB608_899
.LBB608_956:                            ;   in Loop: Header=BB608_900 Depth=2
	s_or_b32 exec_lo, exec_lo, s11
	s_delay_alu instid0(SALU_CYCLE_1)
	s_mov_b32 s11, exec_lo
	v_cmpx_gt_u32_e64 s8, v45
	s_cbranch_execz .LBB608_906
.LBB608_957:                            ;   in Loop: Header=BB608_900 Depth=2
	global_load_b32 v18, v93, s[0:1] offset:1024
	s_or_b32 exec_lo, exec_lo, s11
	s_delay_alu instid0(SALU_CYCLE_1)
	s_mov_b32 s11, exec_lo
	v_cmpx_gt_u32_e64 s8, v46
	s_cbranch_execnz .LBB608_907
.LBB608_958:                            ;   in Loop: Header=BB608_900 Depth=2
	s_or_b32 exec_lo, exec_lo, s11
	s_delay_alu instid0(SALU_CYCLE_1)
	s_mov_b32 s11, exec_lo
	v_cmpx_gt_u32_e64 s8, v47
	s_cbranch_execz .LBB608_908
.LBB608_959:                            ;   in Loop: Header=BB608_900 Depth=2
	global_load_b32 v16, v93, s[0:1] offset:3072
	s_or_b32 exec_lo, exec_lo, s11
	s_delay_alu instid0(SALU_CYCLE_1)
	s_mov_b32 s11, exec_lo
	v_cmpx_gt_u32_e64 s8, v51
	s_cbranch_execnz .LBB608_909
.LBB608_960:                            ;   in Loop: Header=BB608_900 Depth=2
	s_or_b32 exec_lo, exec_lo, s11
	s_delay_alu instid0(SALU_CYCLE_1)
	s_mov_b32 s11, exec_lo
	v_cmpx_gt_u32_e64 s8, v52
	s_cbranch_execz .LBB608_910
.LBB608_961:                            ;   in Loop: Header=BB608_900 Depth=2
	global_load_b32 v14, v95, s[0:1]
	s_or_b32 exec_lo, exec_lo, s11
	s_delay_alu instid0(SALU_CYCLE_1)
	s_mov_b32 s11, exec_lo
	v_cmpx_gt_u32_e64 s8, v53
	s_cbranch_execnz .LBB608_911
.LBB608_962:                            ;   in Loop: Header=BB608_900 Depth=2
	s_or_b32 exec_lo, exec_lo, s11
	s_delay_alu instid0(SALU_CYCLE_1)
	s_mov_b32 s11, exec_lo
	v_cmpx_gt_u32_e64 s8, v54
	s_cbranch_execz .LBB608_912
.LBB608_963:                            ;   in Loop: Header=BB608_900 Depth=2
	global_load_b32 v12, v97, s[0:1]
	s_or_b32 exec_lo, exec_lo, s11
	s_delay_alu instid0(SALU_CYCLE_1)
	s_mov_b32 s11, exec_lo
	v_cmpx_gt_u32_e64 s8, v55
	s_cbranch_execnz .LBB608_913
.LBB608_964:                            ;   in Loop: Header=BB608_900 Depth=2
	s_or_b32 exec_lo, exec_lo, s11
	s_delay_alu instid0(SALU_CYCLE_1)
	s_mov_b32 s11, exec_lo
	v_cmpx_gt_u32_e64 s8, v56
	s_cbranch_execz .LBB608_914
.LBB608_965:                            ;   in Loop: Header=BB608_900 Depth=2
	global_load_b32 v10, v99, s[0:1]
	s_or_b32 exec_lo, exec_lo, s11
	s_delay_alu instid0(SALU_CYCLE_1)
	s_mov_b32 s11, exec_lo
	v_cmpx_gt_u32_e64 s8, v57
	s_cbranch_execnz .LBB608_915
.LBB608_966:                            ;   in Loop: Header=BB608_900 Depth=2
	s_or_b32 exec_lo, exec_lo, s11
	s_delay_alu instid0(SALU_CYCLE_1)
	s_mov_b32 s11, exec_lo
	v_cmpx_gt_u32_e64 s8, v58
	s_cbranch_execz .LBB608_916
.LBB608_967:                            ;   in Loop: Header=BB608_900 Depth=2
	global_load_b32 v8, v101, s[0:1]
	s_or_b32 exec_lo, exec_lo, s11
	s_delay_alu instid0(SALU_CYCLE_1)
	s_mov_b32 s11, exec_lo
	v_cmpx_gt_u32_e64 s8, v59
	s_cbranch_execnz .LBB608_917
.LBB608_968:                            ;   in Loop: Header=BB608_900 Depth=2
	s_or_b32 exec_lo, exec_lo, s11
	s_delay_alu instid0(SALU_CYCLE_1)
	s_mov_b32 s11, exec_lo
	v_cmpx_gt_u32_e64 s8, v60
	s_cbranch_execz .LBB608_918
.LBB608_969:                            ;   in Loop: Header=BB608_900 Depth=2
	global_load_b32 v6, v103, s[0:1]
	s_or_b32 exec_lo, exec_lo, s11
	s_delay_alu instid0(SALU_CYCLE_1)
	s_mov_b32 s11, exec_lo
	v_cmpx_gt_u32_e64 s8, v61
	s_cbranch_execz .LBB608_920
	s_branch .LBB608_919
.LBB608_970:                            ;   in Loop: Header=BB608_12 Depth=1
	v_mov_b32_e32 v2, 0
	s_waitcnt vmcnt(0) lgkmcnt(0)
	s_barrier
	buffer_gl0_inv
	s_and_saveexec_b32 s0, s2
	s_cbranch_execz .LBB608_972
; %bb.971:                              ;   in Loop: Header=BB608_12 Depth=1
	ds_load_2addr_b64 v[4:7], v64 offset1:1
	s_waitcnt lgkmcnt(0)
	v_add_nc_u32_e32 v2, v5, v4
	s_delay_alu instid0(VALU_DEP_1)
	v_add3_u32 v2, v2, v6, v7
.LBB608_972:                            ;   in Loop: Header=BB608_12 Depth=1
	s_or_b32 exec_lo, exec_lo, s0
	v_and_b32_e32 v4, 15, v106
	s_delay_alu instid0(VALU_DEP_2) | instskip(SKIP_1) | instid1(VALU_DEP_3)
	v_mov_b32_dpp v5, v2 row_shr:1 row_mask:0xf bank_mask:0xf
	v_and_b32_e32 v6, 16, v106
	v_cmp_eq_u32_e64 s0, 0, v4
	v_cmp_lt_u32_e64 s1, 1, v4
	v_cmp_lt_u32_e64 s8, 3, v4
	;; [unrolled: 1-line block ×3, first 2 shown]
	v_cmp_eq_u32_e64 s10, 0, v6
	v_cndmask_b32_e64 v5, v5, 0, s0
	s_delay_alu instid0(VALU_DEP_1) | instskip(NEXT) | instid1(VALU_DEP_1)
	v_add_nc_u32_e32 v2, v5, v2
	v_mov_b32_dpp v5, v2 row_shr:2 row_mask:0xf bank_mask:0xf
	s_delay_alu instid0(VALU_DEP_1) | instskip(NEXT) | instid1(VALU_DEP_1)
	v_cndmask_b32_e64 v5, 0, v5, s1
	v_add_nc_u32_e32 v2, v2, v5
	s_delay_alu instid0(VALU_DEP_1) | instskip(NEXT) | instid1(VALU_DEP_1)
	v_mov_b32_dpp v5, v2 row_shr:4 row_mask:0xf bank_mask:0xf
	v_cndmask_b32_e64 v5, 0, v5, s8
	s_delay_alu instid0(VALU_DEP_1) | instskip(NEXT) | instid1(VALU_DEP_1)
	v_add_nc_u32_e32 v2, v2, v5
	v_mov_b32_dpp v5, v2 row_shr:8 row_mask:0xf bank_mask:0xf
	s_delay_alu instid0(VALU_DEP_1) | instskip(SKIP_1) | instid1(VALU_DEP_2)
	v_cndmask_b32_e64 v4, 0, v5, s9
	v_bfe_i32 v5, v106, 4, 1
	v_add_nc_u32_e32 v2, v2, v4
	ds_swizzle_b32 v4, v2 offset:swizzle(BROADCAST,32,15)
	s_waitcnt lgkmcnt(0)
	v_and_b32_e32 v4, v5, v4
	s_delay_alu instid0(VALU_DEP_1)
	v_add_nc_u32_e32 v4, v2, v4
	s_and_saveexec_b32 s11, s3
	s_cbranch_execz .LBB608_974
; %bb.973:                              ;   in Loop: Header=BB608_12 Depth=1
	ds_store_b32 v65, v4
.LBB608_974:                            ;   in Loop: Header=BB608_12 Depth=1
	s_or_b32 exec_lo, exec_lo, s11
	v_and_b32_e32 v2, 7, v106
	s_waitcnt lgkmcnt(0)
	s_barrier
	buffer_gl0_inv
	s_and_saveexec_b32 s11, s4
	s_cbranch_execz .LBB608_976
; %bb.975:                              ;   in Loop: Header=BB608_12 Depth=1
	ds_load_b32 v5, v66
	v_cmp_ne_u32_e32 vcc_lo, 0, v2
	s_waitcnt lgkmcnt(0)
	v_mov_b32_dpp v6, v5 row_shr:1 row_mask:0xf bank_mask:0xf
	s_delay_alu instid0(VALU_DEP_1) | instskip(SKIP_1) | instid1(VALU_DEP_2)
	v_cndmask_b32_e32 v6, 0, v6, vcc_lo
	v_cmp_lt_u32_e32 vcc_lo, 1, v2
	v_add_nc_u32_e32 v5, v6, v5
	s_delay_alu instid0(VALU_DEP_1) | instskip(NEXT) | instid1(VALU_DEP_1)
	v_mov_b32_dpp v6, v5 row_shr:2 row_mask:0xf bank_mask:0xf
	v_cndmask_b32_e32 v6, 0, v6, vcc_lo
	v_cmp_lt_u32_e32 vcc_lo, 3, v2
	s_delay_alu instid0(VALU_DEP_2) | instskip(NEXT) | instid1(VALU_DEP_1)
	v_add_nc_u32_e32 v5, v5, v6
	v_mov_b32_dpp v6, v5 row_shr:4 row_mask:0xf bank_mask:0xf
	s_delay_alu instid0(VALU_DEP_1) | instskip(NEXT) | instid1(VALU_DEP_1)
	v_cndmask_b32_e32 v6, 0, v6, vcc_lo
	v_add_nc_u32_e32 v5, v5, v6
	ds_store_b32 v66, v5
.LBB608_976:                            ;   in Loop: Header=BB608_12 Depth=1
	s_or_b32 exec_lo, exec_lo, s11
	v_mov_b32_e32 v5, 0
	s_waitcnt lgkmcnt(0)
	s_barrier
	buffer_gl0_inv
	s_and_saveexec_b32 s11, s5
	s_cbranch_execz .LBB608_978
; %bb.977:                              ;   in Loop: Header=BB608_12 Depth=1
	ds_load_b32 v5, v67
.LBB608_978:                            ;   in Loop: Header=BB608_12 Depth=1
	s_or_b32 exec_lo, exec_lo, s11
	v_add_nc_u32_e32 v6, -1, v106
	s_waitcnt lgkmcnt(0)
	v_add_nc_u32_e32 v4, v5, v4
	v_cmp_eq_u32_e64 s11, 0, v106
	s_barrier
	v_cmp_gt_i32_e32 vcc_lo, 0, v6
	buffer_gl0_inv
	v_cndmask_b32_e32 v6, v6, v106, vcc_lo
	s_delay_alu instid0(VALU_DEP_1)
	v_lshlrev_b32_e32 v107, 2, v6
	ds_bpermute_b32 v4, v107, v4
	s_and_saveexec_b32 s12, s2
	s_cbranch_execz .LBB608_980
; %bb.979:                              ;   in Loop: Header=BB608_12 Depth=1
	s_waitcnt lgkmcnt(0)
	v_cndmask_b32_e64 v4, v4, v5, s11
	s_delay_alu instid0(VALU_DEP_1)
	v_add_nc_u32_e32 v4, s60, v4
	ds_store_b32 v44, v4
.LBB608_980:                            ;   in Loop: Header=BB608_12 Depth=1
	s_or_b32 exec_lo, exec_lo, s12
	s_load_b64 s[12:13], s[36:37], 0x0
	v_lshlrev_b32_e32 v5, 3, v106
	v_cmp_lt_u32_e64 s14, 3, v2
	v_or_b32_e32 v108, v106, v68
	s_mov_b32 s40, s62
	s_mov_b32 s34, s60
	v_add_co_u32 v109, vcc_lo, v88, v5
	v_add_co_ci_u32_e32 v110, vcc_lo, 0, v89, vcc_lo
	v_or_b32_e32 v111, 32, v108
	v_or_b32_e32 v112, 64, v108
	;; [unrolled: 1-line block ×10, first 2 shown]
	s_waitcnt lgkmcnt(0)
	s_cmp_lt_u32 s15, s13
	v_or_b32_e32 v121, 0x160, v108
	s_cselect_b32 s13, 14, 20
	v_or_b32_e32 v122, 0x180, v108
	s_add_u32 s16, s36, s13
	s_addc_u32 s17, s37, 0
	s_cmp_lt_u32 s26, s12
	global_load_u16 v4, v3, s[16:17]
	s_cselect_b32 s12, 12, 18
	v_or_b32_e32 v123, 0x1a0, v108
	s_add_u32 s12, s36, s12
	s_addc_u32 s13, s37, 0
	v_or_b32_e32 v124, 0x1c0, v108
	global_load_u16 v6, v3, s[12:13]
	v_cmp_eq_u32_e64 s12, 0, v2
	v_cmp_lt_u32_e64 s13, 1, v2
	v_lshlrev_b32_e32 v2, 2, v106
	v_or_b32_e32 v125, 0x1e0, v108
                                        ; implicit-def: $vgpr8_vgpr9
                                        ; implicit-def: $vgpr10_vgpr11
                                        ; implicit-def: $vgpr12_vgpr13
                                        ; implicit-def: $vgpr14_vgpr15
                                        ; implicit-def: $vgpr16_vgpr17
                                        ; implicit-def: $vgpr18_vgpr19
                                        ; implicit-def: $vgpr20_vgpr21
                                        ; implicit-def: $vgpr22_vgpr23
                                        ; implicit-def: $vgpr24_vgpr25
                                        ; implicit-def: $vgpr26_vgpr27
                                        ; implicit-def: $vgpr28_vgpr29
                                        ; implicit-def: $vgpr30_vgpr31
                                        ; implicit-def: $vgpr32_vgpr33
                                        ; implicit-def: $vgpr34_vgpr35
                                        ; implicit-def: $vgpr131
                                        ; implicit-def: $vgpr132
                                        ; implicit-def: $vgpr133
                                        ; implicit-def: $vgpr134
                                        ; implicit-def: $vgpr135
                                        ; implicit-def: $vgpr136
                                        ; implicit-def: $vgpr137
                                        ; implicit-def: $vgpr138
                                        ; implicit-def: $vgpr139
                                        ; implicit-def: $vgpr140
                                        ; implicit-def: $vgpr141
                                        ; implicit-def: $vgpr142
                                        ; implicit-def: $vgpr143
                                        ; implicit-def: $vgpr144
                                        ; implicit-def: $vgpr145
                                        ; implicit-def: $vgpr146
	s_delay_alu instid0(VALU_DEP_2) | instskip(SKIP_1) | instid1(VALU_DEP_2)
	v_add_co_u32 v126, vcc_lo, v90, v2
	v_add_co_ci_u32_e32 v127, vcc_lo, 0, v91, vcc_lo
	v_add_co_u32 v129, vcc_lo, 0x780, v126
	s_delay_alu instid0(VALU_DEP_2) | instskip(SKIP_3) | instid1(VALU_DEP_1)
	v_add_co_ci_u32_e32 v130, vcc_lo, 0, v127, vcc_lo
	s_waitcnt vmcnt(1)
	v_mad_u32_u24 v7, v69, v4, v0
	s_waitcnt vmcnt(0)
	v_mad_u64_u32 v[4:5], null, v7, v6, v[1:2]
                                        ; implicit-def: $vgpr6_vgpr7
	s_delay_alu instid0(VALU_DEP_1)
	v_lshrrev_b32_e32 v128, 5, v4
                                        ; implicit-def: $vgpr4_vgpr5
	s_branch .LBB608_982
.LBB608_981:                            ;   in Loop: Header=BB608_982 Depth=2
	s_or_b32 exec_lo, exec_lo, s16
	s_addk_i32 s40, 0xf000
	s_cmp_lt_u32 s41, s61
	s_mov_b32 s34, s41
	s_cbranch_scc0 .LBB608_10
.LBB608_982:                            ;   Parent Loop BB608_12 Depth=1
                                        ; =>  This Inner Loop Header: Depth=2
	s_add_i32 s41, s34, 0x1000
	s_delay_alu instid0(SALU_CYCLE_1)
	s_cmp_gt_u32 s41, s61
	s_cbranch_scc1 .LBB608_985
; %bb.983:                              ;   in Loop: Header=BB608_982 Depth=2
	s_mov_b32 s17, 0
	s_mov_b32 s16, s34
	s_delay_alu instid0(SALU_CYCLE_1) | instskip(NEXT) | instid1(SALU_CYCLE_1)
	s_lshl_b64 s[18:19], s[16:17], 2
	v_add_co_u32 v36, vcc_lo, v126, s18
	v_add_co_ci_u32_e32 v37, vcc_lo, s19, v127, vcc_lo
	s_mov_b32 s19, -1
	s_movk_i32 s18, 0x1000
	s_clause 0xe
	global_load_b32 v2, v[36:37], off
	global_load_b32 v148, v[36:37], off offset:128
	global_load_b32 v151, v[36:37], off offset:256
	;; [unrolled: 1-line block ×14, first 2 shown]
	s_cbranch_execz .LBB608_986
; %bb.984:                              ;   in Loop: Header=BB608_982 Depth=2
                                        ; implicit-def: $sgpr20
	v_dual_mov_b32 v36, s20 :: v_dual_mov_b32 v147, s40
	s_and_saveexec_b32 s20, s19
	s_cbranch_execnz .LBB608_1017
	s_branch .LBB608_1018
.LBB608_985:                            ;   in Loop: Header=BB608_982 Depth=2
	s_mov_b32 s17, -1
	s_mov_b32 s19, 0
                                        ; implicit-def: $sgpr18
                                        ; implicit-def: $vgpr2
                                        ; implicit-def: $vgpr148
                                        ; implicit-def: $vgpr151
                                        ; implicit-def: $vgpr155
                                        ; implicit-def: $vgpr159
                                        ; implicit-def: $vgpr163
                                        ; implicit-def: $vgpr167
                                        ; implicit-def: $vgpr172
                                        ; implicit-def: $vgpr171
                                        ; implicit-def: $vgpr43
                                        ; implicit-def: $vgpr42
                                        ; implicit-def: $vgpr41
                                        ; implicit-def: $vgpr40
                                        ; implicit-def: $vgpr39
                                        ; implicit-def: $vgpr38
.LBB608_986:                            ;   in Loop: Header=BB608_982 Depth=2
	s_lshl_b64 s[16:17], s[34:35], 2
	s_waitcnt vmcnt(13)
	v_bfrev_b32_e32 v148, -2
	v_add_co_u32 v36, vcc_lo, v126, s16
	v_add_co_ci_u32_e32 v37, vcc_lo, s17, v127, vcc_lo
	v_bfrev_b32_e32 v2, -2
	s_mov_b32 s16, exec_lo
	v_cmpx_gt_u32_e64 s40, v108
	s_cbranch_execz .LBB608_988
; %bb.987:                              ;   in Loop: Header=BB608_982 Depth=2
	global_load_b32 v2, v[36:37], off
.LBB608_988:                            ;   in Loop: Header=BB608_982 Depth=2
	s_or_b32 exec_lo, exec_lo, s16
	s_delay_alu instid0(SALU_CYCLE_1)
	s_mov_b32 s16, exec_lo
	v_cmpx_gt_u32_e64 s40, v111
	s_cbranch_execz .LBB608_990
; %bb.989:                              ;   in Loop: Header=BB608_982 Depth=2
	global_load_b32 v148, v[36:37], off offset:128
.LBB608_990:                            ;   in Loop: Header=BB608_982 Depth=2
	s_or_b32 exec_lo, exec_lo, s16
	s_waitcnt vmcnt(11)
	v_bfrev_b32_e32 v155, -2
	v_bfrev_b32_e32 v151, -2
	s_mov_b32 s16, exec_lo
	v_cmpx_gt_u32_e64 s40, v112
	s_cbranch_execz .LBB608_992
; %bb.991:                              ;   in Loop: Header=BB608_982 Depth=2
	global_load_b32 v151, v[36:37], off offset:256
.LBB608_992:                            ;   in Loop: Header=BB608_982 Depth=2
	s_or_b32 exec_lo, exec_lo, s16
	s_delay_alu instid0(SALU_CYCLE_1)
	s_mov_b32 s16, exec_lo
	v_cmpx_gt_u32_e64 s40, v113
	s_cbranch_execz .LBB608_994
; %bb.993:                              ;   in Loop: Header=BB608_982 Depth=2
	global_load_b32 v155, v[36:37], off offset:384
.LBB608_994:                            ;   in Loop: Header=BB608_982 Depth=2
	s_or_b32 exec_lo, exec_lo, s16
	s_waitcnt vmcnt(9)
	v_bfrev_b32_e32 v163, -2
	v_bfrev_b32_e32 v159, -2
	s_mov_b32 s16, exec_lo
	v_cmpx_gt_u32_e64 s40, v114
	s_cbranch_execz .LBB608_996
; %bb.995:                              ;   in Loop: Header=BB608_982 Depth=2
	global_load_b32 v159, v[36:37], off offset:512
.LBB608_996:                            ;   in Loop: Header=BB608_982 Depth=2
	s_or_b32 exec_lo, exec_lo, s16
	s_delay_alu instid0(SALU_CYCLE_1)
	s_mov_b32 s16, exec_lo
	v_cmpx_gt_u32_e64 s40, v115
	s_cbranch_execz .LBB608_998
; %bb.997:                              ;   in Loop: Header=BB608_982 Depth=2
	global_load_b32 v163, v[36:37], off offset:640
.LBB608_998:                            ;   in Loop: Header=BB608_982 Depth=2
	s_or_b32 exec_lo, exec_lo, s16
	s_waitcnt vmcnt(7)
	v_bfrev_b32_e32 v172, -2
	v_bfrev_b32_e32 v167, -2
	s_mov_b32 s16, exec_lo
	v_cmpx_gt_u32_e64 s40, v116
	s_cbranch_execz .LBB608_1000
; %bb.999:                              ;   in Loop: Header=BB608_982 Depth=2
	global_load_b32 v167, v[36:37], off offset:768
.LBB608_1000:                           ;   in Loop: Header=BB608_982 Depth=2
	s_or_b32 exec_lo, exec_lo, s16
	s_delay_alu instid0(SALU_CYCLE_1)
	s_mov_b32 s16, exec_lo
	v_cmpx_gt_u32_e64 s40, v117
	s_cbranch_execz .LBB608_1002
; %bb.1001:                             ;   in Loop: Header=BB608_982 Depth=2
	global_load_b32 v172, v[36:37], off offset:896
.LBB608_1002:                           ;   in Loop: Header=BB608_982 Depth=2
	s_or_b32 exec_lo, exec_lo, s16
	s_waitcnt vmcnt(5)
	v_bfrev_b32_e32 v43, -2
	v_bfrev_b32_e32 v171, -2
	s_mov_b32 s16, exec_lo
	v_cmpx_gt_u32_e64 s40, v118
	s_cbranch_execz .LBB608_1004
; %bb.1003:                             ;   in Loop: Header=BB608_982 Depth=2
	global_load_b32 v171, v[36:37], off offset:1024
.LBB608_1004:                           ;   in Loop: Header=BB608_982 Depth=2
	s_or_b32 exec_lo, exec_lo, s16
	s_delay_alu instid0(SALU_CYCLE_1)
	s_mov_b32 s16, exec_lo
	v_cmpx_gt_u32_e64 s40, v119
	s_cbranch_execz .LBB608_1006
; %bb.1005:                             ;   in Loop: Header=BB608_982 Depth=2
	global_load_b32 v43, v[36:37], off offset:1152
.LBB608_1006:                           ;   in Loop: Header=BB608_982 Depth=2
	s_or_b32 exec_lo, exec_lo, s16
	s_waitcnt vmcnt(3)
	v_bfrev_b32_e32 v41, -2
	v_bfrev_b32_e32 v42, -2
	s_mov_b32 s16, exec_lo
	v_cmpx_gt_u32_e64 s40, v120
	s_cbranch_execz .LBB608_1008
; %bb.1007:                             ;   in Loop: Header=BB608_982 Depth=2
	global_load_b32 v42, v[36:37], off offset:1280
.LBB608_1008:                           ;   in Loop: Header=BB608_982 Depth=2
	;; [unrolled: 18-line block ×3, first 2 shown]
	s_or_b32 exec_lo, exec_lo, s16
	s_delay_alu instid0(SALU_CYCLE_1)
	s_mov_b32 s16, exec_lo
	v_cmpx_gt_u32_e64 s40, v123
	s_cbranch_execz .LBB608_1014
; %bb.1013:                             ;   in Loop: Header=BB608_982 Depth=2
	global_load_b32 v39, v[36:37], off offset:1664
.LBB608_1014:                           ;   in Loop: Header=BB608_982 Depth=2
	s_or_b32 exec_lo, exec_lo, s16
	s_waitcnt vmcnt(0)
	v_bfrev_b32_e32 v38, -2
	s_mov_b32 s16, exec_lo
	v_cmpx_gt_u32_e64 s40, v124
	s_cbranch_execz .LBB608_1016
; %bb.1015:                             ;   in Loop: Header=BB608_982 Depth=2
	global_load_b32 v38, v[36:37], off offset:1792
.LBB608_1016:                           ;   in Loop: Header=BB608_982 Depth=2
	s_or_b32 exec_lo, exec_lo, s16
	v_cmp_gt_u32_e64 s19, s40, v125
	s_sub_i32 s18, s61, s34
	s_brev_b32 s20, -2
	s_mov_b64 s[16:17], s[34:35]
	v_dual_mov_b32 v36, s20 :: v_dual_mov_b32 v147, s40
	s_and_saveexec_b32 s20, s19
	s_cbranch_execz .LBB608_1018
.LBB608_1017:                           ;   in Loop: Header=BB608_982 Depth=2
	s_lshl_b64 s[16:17], s[16:17], 2
	v_mov_b32_e32 v147, s18
	v_add_co_u32 v36, vcc_lo, v129, s16
	v_add_co_ci_u32_e32 v37, vcc_lo, s17, v130, vcc_lo
	global_load_b32 v36, v[36:37], off
.LBB608_1018:                           ;   in Loop: Header=BB608_982 Depth=2
	s_or_b32 exec_lo, exec_lo, s20
	s_waitcnt vmcnt(14)
	v_xor_b32_e32 v2, 0x80000000, v2
	ds_store_b32 v70, v3 offset:1056
	ds_store_2addr_b32 v71, v3, v3 offset0:1 offset1:2
	ds_store_2addr_b32 v71, v3, v3 offset0:3 offset1:4
	;; [unrolled: 1-line block ×4, first 2 shown]
	s_waitcnt vmcnt(0) lgkmcnt(0)
	s_barrier
	v_lshrrev_b32_e32 v37, s57, v2
	buffer_gl0_inv
	; wave barrier
	v_and_b32_e32 v150, s39, v37
	s_delay_alu instid0(VALU_DEP_1)
	v_and_b32_e32 v37, 1, v150
	v_lshlrev_b32_e32 v149, 30, v150
	v_lshlrev_b32_e32 v152, 29, v150
	;; [unrolled: 1-line block ×4, first 2 shown]
	v_add_co_u32 v37, s16, v37, -1
	s_delay_alu instid0(VALU_DEP_1)
	v_cndmask_b32_e64 v154, 0, 1, s16
	v_not_b32_e32 v160, v149
	v_cmp_gt_i32_e64 s16, 0, v149
	v_not_b32_e32 v149, v152
	v_lshlrev_b32_e32 v157, 26, v150
	v_cmp_ne_u32_e32 vcc_lo, 0, v154
	v_ashrrev_i32_e32 v160, 31, v160
	v_lshlrev_b32_e32 v158, 25, v150
	v_ashrrev_i32_e32 v149, 31, v149
	v_lshlrev_b32_e32 v154, 24, v150
	v_xor_b32_e32 v37, vcc_lo, v37
	v_cmp_gt_i32_e32 vcc_lo, 0, v152
	v_not_b32_e32 v152, v153
	v_xor_b32_e32 v160, s16, v160
	v_cmp_gt_i32_e64 s16, 0, v153
	v_and_b32_e32 v37, exec_lo, v37
	v_not_b32_e32 v153, v156
	v_ashrrev_i32_e32 v152, 31, v152
	v_xor_b32_e32 v149, vcc_lo, v149
	v_cmp_gt_i32_e32 vcc_lo, 0, v156
	v_and_b32_e32 v37, v37, v160
	v_not_b32_e32 v156, v157
	v_ashrrev_i32_e32 v153, 31, v153
	v_xor_b32_e32 v152, s16, v152
	v_cmp_gt_i32_e64 s16, 0, v157
	v_and_b32_e32 v37, v37, v149
	v_not_b32_e32 v149, v158
	v_ashrrev_i32_e32 v156, 31, v156
	v_xor_b32_e32 v153, vcc_lo, v153
	v_cmp_gt_i32_e32 vcc_lo, 0, v158
	v_and_b32_e32 v37, v37, v152
	v_not_b32_e32 v152, v154
	v_ashrrev_i32_e32 v149, 31, v149
	v_xor_b32_e32 v156, s16, v156
	v_cmp_gt_i32_e64 s16, 0, v154
	v_and_b32_e32 v37, v37, v153
	v_ashrrev_i32_e32 v152, 31, v152
	v_xor_b32_e32 v149, vcc_lo, v149
	v_mad_u32_u24 v150, v150, 9, v128
	s_delay_alu instid0(VALU_DEP_4) | instskip(NEXT) | instid1(VALU_DEP_4)
	v_and_b32_e32 v37, v37, v156
	v_xor_b32_e32 v152, s16, v152
	s_delay_alu instid0(VALU_DEP_3) | instskip(NEXT) | instid1(VALU_DEP_3)
	v_lshl_add_u32 v150, v150, 2, 0x420
	v_and_b32_e32 v37, v37, v149
	s_delay_alu instid0(VALU_DEP_1) | instskip(NEXT) | instid1(VALU_DEP_1)
	v_and_b32_e32 v37, v37, v152
	v_mbcnt_lo_u32_b32 v149, v37, 0
	v_cmp_ne_u32_e64 s16, 0, v37
	s_delay_alu instid0(VALU_DEP_2) | instskip(NEXT) | instid1(VALU_DEP_2)
	v_cmp_eq_u32_e32 vcc_lo, 0, v149
	s_and_b32 s17, s16, vcc_lo
	s_delay_alu instid0(SALU_CYCLE_1)
	s_and_saveexec_b32 s16, s17
	s_cbranch_execz .LBB608_1020
; %bb.1019:                             ;   in Loop: Header=BB608_982 Depth=2
	v_bcnt_u32_b32 v37, v37, 0
	ds_store_b32 v150, v37
.LBB608_1020:                           ;   in Loop: Header=BB608_982 Depth=2
	s_or_b32 exec_lo, exec_lo, s16
	v_xor_b32_e32 v148, 0x80000000, v148
	; wave barrier
	s_delay_alu instid0(VALU_DEP_1) | instskip(NEXT) | instid1(VALU_DEP_1)
	v_lshrrev_b32_e32 v37, s57, v148
	v_and_b32_e32 v37, s39, v37
	s_delay_alu instid0(VALU_DEP_1)
	v_and_b32_e32 v152, 1, v37
	v_lshlrev_b32_e32 v153, 30, v37
	v_lshlrev_b32_e32 v154, 29, v37
	;; [unrolled: 1-line block ×4, first 2 shown]
	v_add_co_u32 v152, s16, v152, -1
	s_delay_alu instid0(VALU_DEP_1)
	v_cndmask_b32_e64 v157, 0, 1, s16
	v_not_b32_e32 v162, v153
	v_cmp_gt_i32_e64 s16, 0, v153
	v_not_b32_e32 v153, v154
	v_lshlrev_b32_e32 v160, 26, v37
	v_cmp_ne_u32_e32 vcc_lo, 0, v157
	v_ashrrev_i32_e32 v162, 31, v162
	v_lshlrev_b32_e32 v161, 25, v37
	v_ashrrev_i32_e32 v153, 31, v153
	v_lshlrev_b32_e32 v157, 24, v37
	v_xor_b32_e32 v152, vcc_lo, v152
	v_cmp_gt_i32_e32 vcc_lo, 0, v154
	v_not_b32_e32 v154, v156
	v_xor_b32_e32 v162, s16, v162
	v_cmp_gt_i32_e64 s16, 0, v156
	v_and_b32_e32 v152, exec_lo, v152
	v_not_b32_e32 v156, v158
	v_ashrrev_i32_e32 v154, 31, v154
	v_xor_b32_e32 v153, vcc_lo, v153
	v_cmp_gt_i32_e32 vcc_lo, 0, v158
	v_and_b32_e32 v152, v152, v162
	v_not_b32_e32 v158, v160
	v_ashrrev_i32_e32 v156, 31, v156
	v_xor_b32_e32 v154, s16, v154
	v_cmp_gt_i32_e64 s16, 0, v160
	v_and_b32_e32 v152, v152, v153
	v_not_b32_e32 v153, v161
	v_ashrrev_i32_e32 v158, 31, v158
	v_xor_b32_e32 v156, vcc_lo, v156
	v_cmp_gt_i32_e32 vcc_lo, 0, v161
	v_and_b32_e32 v152, v152, v154
	v_not_b32_e32 v154, v157
	v_ashrrev_i32_e32 v153, 31, v153
	v_xor_b32_e32 v158, s16, v158
	v_mul_u32_u24_e32 v37, 9, v37
	v_and_b32_e32 v152, v152, v156
	v_cmp_gt_i32_e64 s16, 0, v157
	v_ashrrev_i32_e32 v154, 31, v154
	v_xor_b32_e32 v153, vcc_lo, v153
	v_add_lshl_u32 v156, v37, v128, 2
	v_and_b32_e32 v152, v152, v158
	s_delay_alu instid0(VALU_DEP_4) | instskip(NEXT) | instid1(VALU_DEP_3)
	v_xor_b32_e32 v37, s16, v154
	v_add_nc_u32_e32 v154, 0x420, v156
	s_delay_alu instid0(VALU_DEP_3) | instskip(SKIP_2) | instid1(VALU_DEP_1)
	v_and_b32_e32 v153, v152, v153
	ds_load_b32 v152, v156 offset:1056
	; wave barrier
	v_and_b32_e32 v37, v153, v37
	v_mbcnt_lo_u32_b32 v153, v37, 0
	v_cmp_ne_u32_e64 s16, 0, v37
	s_delay_alu instid0(VALU_DEP_2) | instskip(NEXT) | instid1(VALU_DEP_2)
	v_cmp_eq_u32_e32 vcc_lo, 0, v153
	s_and_b32 s17, s16, vcc_lo
	s_delay_alu instid0(SALU_CYCLE_1)
	s_and_saveexec_b32 s16, s17
	s_cbranch_execz .LBB608_1022
; %bb.1021:                             ;   in Loop: Header=BB608_982 Depth=2
	s_waitcnt lgkmcnt(0)
	v_bcnt_u32_b32 v37, v37, v152
	ds_store_b32 v154, v37
.LBB608_1022:                           ;   in Loop: Header=BB608_982 Depth=2
	s_or_b32 exec_lo, exec_lo, s16
	v_xor_b32_e32 v151, 0x80000000, v151
	; wave barrier
	s_delay_alu instid0(VALU_DEP_1) | instskip(NEXT) | instid1(VALU_DEP_1)
	v_lshrrev_b32_e32 v37, s57, v151
	v_and_b32_e32 v37, s39, v37
	s_delay_alu instid0(VALU_DEP_1)
	v_and_b32_e32 v156, 1, v37
	v_lshlrev_b32_e32 v157, 30, v37
	v_lshlrev_b32_e32 v158, 29, v37
	;; [unrolled: 1-line block ×4, first 2 shown]
	v_add_co_u32 v156, s16, v156, -1
	s_delay_alu instid0(VALU_DEP_1)
	v_cndmask_b32_e64 v161, 0, 1, s16
	v_not_b32_e32 v166, v157
	v_cmp_gt_i32_e64 s16, 0, v157
	v_not_b32_e32 v157, v158
	v_lshlrev_b32_e32 v164, 26, v37
	v_cmp_ne_u32_e32 vcc_lo, 0, v161
	v_ashrrev_i32_e32 v166, 31, v166
	v_lshlrev_b32_e32 v165, 25, v37
	v_ashrrev_i32_e32 v157, 31, v157
	v_lshlrev_b32_e32 v161, 24, v37
	v_xor_b32_e32 v156, vcc_lo, v156
	v_cmp_gt_i32_e32 vcc_lo, 0, v158
	v_not_b32_e32 v158, v160
	v_xor_b32_e32 v166, s16, v166
	v_cmp_gt_i32_e64 s16, 0, v160
	v_and_b32_e32 v156, exec_lo, v156
	v_not_b32_e32 v160, v162
	v_ashrrev_i32_e32 v158, 31, v158
	v_xor_b32_e32 v157, vcc_lo, v157
	v_cmp_gt_i32_e32 vcc_lo, 0, v162
	v_and_b32_e32 v156, v156, v166
	v_not_b32_e32 v162, v164
	v_ashrrev_i32_e32 v160, 31, v160
	v_xor_b32_e32 v158, s16, v158
	v_cmp_gt_i32_e64 s16, 0, v164
	v_and_b32_e32 v156, v156, v157
	v_not_b32_e32 v157, v165
	v_ashrrev_i32_e32 v162, 31, v162
	v_xor_b32_e32 v160, vcc_lo, v160
	v_cmp_gt_i32_e32 vcc_lo, 0, v165
	v_and_b32_e32 v156, v156, v158
	v_not_b32_e32 v158, v161
	v_ashrrev_i32_e32 v157, 31, v157
	v_xor_b32_e32 v162, s16, v162
	v_mul_u32_u24_e32 v37, 9, v37
	v_and_b32_e32 v156, v156, v160
	v_cmp_gt_i32_e64 s16, 0, v161
	v_ashrrev_i32_e32 v158, 31, v158
	v_xor_b32_e32 v157, vcc_lo, v157
	v_add_lshl_u32 v160, v37, v128, 2
	v_and_b32_e32 v156, v156, v162
	s_delay_alu instid0(VALU_DEP_4) | instskip(NEXT) | instid1(VALU_DEP_3)
	v_xor_b32_e32 v37, s16, v158
	v_add_nc_u32_e32 v158, 0x420, v160
	s_delay_alu instid0(VALU_DEP_3) | instskip(SKIP_2) | instid1(VALU_DEP_1)
	v_and_b32_e32 v157, v156, v157
	ds_load_b32 v156, v160 offset:1056
	; wave barrier
	v_and_b32_e32 v37, v157, v37
	v_mbcnt_lo_u32_b32 v157, v37, 0
	v_cmp_ne_u32_e64 s16, 0, v37
	s_delay_alu instid0(VALU_DEP_2) | instskip(NEXT) | instid1(VALU_DEP_2)
	v_cmp_eq_u32_e32 vcc_lo, 0, v157
	s_and_b32 s17, s16, vcc_lo
	s_delay_alu instid0(SALU_CYCLE_1)
	s_and_saveexec_b32 s16, s17
	s_cbranch_execz .LBB608_1024
; %bb.1023:                             ;   in Loop: Header=BB608_982 Depth=2
	s_waitcnt lgkmcnt(0)
	v_bcnt_u32_b32 v37, v37, v156
	ds_store_b32 v158, v37
.LBB608_1024:                           ;   in Loop: Header=BB608_982 Depth=2
	s_or_b32 exec_lo, exec_lo, s16
	v_xor_b32_e32 v155, 0x80000000, v155
	; wave barrier
	s_delay_alu instid0(VALU_DEP_1) | instskip(NEXT) | instid1(VALU_DEP_1)
	v_lshrrev_b32_e32 v37, s57, v155
	v_and_b32_e32 v37, s39, v37
	s_delay_alu instid0(VALU_DEP_1)
	v_and_b32_e32 v160, 1, v37
	v_lshlrev_b32_e32 v161, 30, v37
	v_lshlrev_b32_e32 v162, 29, v37
	;; [unrolled: 1-line block ×4, first 2 shown]
	v_add_co_u32 v160, s16, v160, -1
	s_delay_alu instid0(VALU_DEP_1)
	v_cndmask_b32_e64 v165, 0, 1, s16
	v_not_b32_e32 v170, v161
	v_cmp_gt_i32_e64 s16, 0, v161
	v_not_b32_e32 v161, v162
	v_lshlrev_b32_e32 v168, 26, v37
	v_cmp_ne_u32_e32 vcc_lo, 0, v165
	v_ashrrev_i32_e32 v170, 31, v170
	v_lshlrev_b32_e32 v169, 25, v37
	v_ashrrev_i32_e32 v161, 31, v161
	v_lshlrev_b32_e32 v165, 24, v37
	v_xor_b32_e32 v160, vcc_lo, v160
	v_cmp_gt_i32_e32 vcc_lo, 0, v162
	v_not_b32_e32 v162, v164
	v_xor_b32_e32 v170, s16, v170
	v_cmp_gt_i32_e64 s16, 0, v164
	v_and_b32_e32 v160, exec_lo, v160
	v_not_b32_e32 v164, v166
	v_ashrrev_i32_e32 v162, 31, v162
	v_xor_b32_e32 v161, vcc_lo, v161
	v_cmp_gt_i32_e32 vcc_lo, 0, v166
	v_and_b32_e32 v160, v160, v170
	v_not_b32_e32 v166, v168
	v_ashrrev_i32_e32 v164, 31, v164
	v_xor_b32_e32 v162, s16, v162
	v_cmp_gt_i32_e64 s16, 0, v168
	v_and_b32_e32 v160, v160, v161
	v_not_b32_e32 v161, v169
	v_ashrrev_i32_e32 v166, 31, v166
	v_xor_b32_e32 v164, vcc_lo, v164
	v_cmp_gt_i32_e32 vcc_lo, 0, v169
	v_and_b32_e32 v160, v160, v162
	v_not_b32_e32 v162, v165
	v_ashrrev_i32_e32 v161, 31, v161
	v_xor_b32_e32 v166, s16, v166
	v_mul_u32_u24_e32 v37, 9, v37
	v_and_b32_e32 v160, v160, v164
	v_cmp_gt_i32_e64 s16, 0, v165
	v_ashrrev_i32_e32 v162, 31, v162
	v_xor_b32_e32 v161, vcc_lo, v161
	v_add_lshl_u32 v164, v37, v128, 2
	v_and_b32_e32 v160, v160, v166
	s_delay_alu instid0(VALU_DEP_4) | instskip(NEXT) | instid1(VALU_DEP_3)
	v_xor_b32_e32 v37, s16, v162
	v_add_nc_u32_e32 v162, 0x420, v164
	s_delay_alu instid0(VALU_DEP_3) | instskip(SKIP_2) | instid1(VALU_DEP_1)
	v_and_b32_e32 v161, v160, v161
	ds_load_b32 v160, v164 offset:1056
	; wave barrier
	v_and_b32_e32 v37, v161, v37
	v_mbcnt_lo_u32_b32 v161, v37, 0
	v_cmp_ne_u32_e64 s16, 0, v37
	s_delay_alu instid0(VALU_DEP_2) | instskip(NEXT) | instid1(VALU_DEP_2)
	v_cmp_eq_u32_e32 vcc_lo, 0, v161
	s_and_b32 s17, s16, vcc_lo
	s_delay_alu instid0(SALU_CYCLE_1)
	s_and_saveexec_b32 s16, s17
	s_cbranch_execz .LBB608_1026
; %bb.1025:                             ;   in Loop: Header=BB608_982 Depth=2
	s_waitcnt lgkmcnt(0)
	v_bcnt_u32_b32 v37, v37, v160
	ds_store_b32 v162, v37
.LBB608_1026:                           ;   in Loop: Header=BB608_982 Depth=2
	s_or_b32 exec_lo, exec_lo, s16
	v_xor_b32_e32 v159, 0x80000000, v159
	; wave barrier
	s_delay_alu instid0(VALU_DEP_1) | instskip(NEXT) | instid1(VALU_DEP_1)
	v_lshrrev_b32_e32 v37, s57, v159
	v_and_b32_e32 v37, s39, v37
	s_delay_alu instid0(VALU_DEP_1)
	v_and_b32_e32 v164, 1, v37
	v_lshlrev_b32_e32 v165, 30, v37
	v_lshlrev_b32_e32 v166, 29, v37
	;; [unrolled: 1-line block ×4, first 2 shown]
	v_add_co_u32 v164, s16, v164, -1
	s_delay_alu instid0(VALU_DEP_1)
	v_cndmask_b32_e64 v169, 0, 1, s16
	v_not_b32_e32 v175, v165
	v_cmp_gt_i32_e64 s16, 0, v165
	v_not_b32_e32 v165, v166
	v_lshlrev_b32_e32 v173, 26, v37
	v_cmp_ne_u32_e32 vcc_lo, 0, v169
	v_ashrrev_i32_e32 v175, 31, v175
	v_lshlrev_b32_e32 v174, 25, v37
	v_ashrrev_i32_e32 v165, 31, v165
	v_lshlrev_b32_e32 v169, 24, v37
	v_xor_b32_e32 v164, vcc_lo, v164
	v_cmp_gt_i32_e32 vcc_lo, 0, v166
	v_not_b32_e32 v166, v168
	v_xor_b32_e32 v175, s16, v175
	v_cmp_gt_i32_e64 s16, 0, v168
	v_and_b32_e32 v164, exec_lo, v164
	v_not_b32_e32 v168, v170
	v_ashrrev_i32_e32 v166, 31, v166
	v_xor_b32_e32 v165, vcc_lo, v165
	v_cmp_gt_i32_e32 vcc_lo, 0, v170
	v_and_b32_e32 v164, v164, v175
	v_not_b32_e32 v170, v173
	v_ashrrev_i32_e32 v168, 31, v168
	v_xor_b32_e32 v166, s16, v166
	v_cmp_gt_i32_e64 s16, 0, v173
	v_and_b32_e32 v164, v164, v165
	v_not_b32_e32 v165, v174
	v_ashrrev_i32_e32 v170, 31, v170
	v_xor_b32_e32 v168, vcc_lo, v168
	v_cmp_gt_i32_e32 vcc_lo, 0, v174
	v_and_b32_e32 v164, v164, v166
	v_not_b32_e32 v166, v169
	v_ashrrev_i32_e32 v165, 31, v165
	v_xor_b32_e32 v170, s16, v170
	v_mul_u32_u24_e32 v37, 9, v37
	v_and_b32_e32 v164, v164, v168
	v_cmp_gt_i32_e64 s16, 0, v169
	v_ashrrev_i32_e32 v166, 31, v166
	v_xor_b32_e32 v165, vcc_lo, v165
	v_add_lshl_u32 v168, v37, v128, 2
	v_and_b32_e32 v164, v164, v170
	s_delay_alu instid0(VALU_DEP_4) | instskip(NEXT) | instid1(VALU_DEP_3)
	v_xor_b32_e32 v37, s16, v166
	v_add_nc_u32_e32 v166, 0x420, v168
	s_delay_alu instid0(VALU_DEP_3) | instskip(SKIP_2) | instid1(VALU_DEP_1)
	v_and_b32_e32 v165, v164, v165
	ds_load_b32 v164, v168 offset:1056
	; wave barrier
	v_and_b32_e32 v37, v165, v37
	v_mbcnt_lo_u32_b32 v165, v37, 0
	v_cmp_ne_u32_e64 s16, 0, v37
	s_delay_alu instid0(VALU_DEP_2) | instskip(NEXT) | instid1(VALU_DEP_2)
	v_cmp_eq_u32_e32 vcc_lo, 0, v165
	s_and_b32 s17, s16, vcc_lo
	s_delay_alu instid0(SALU_CYCLE_1)
	s_and_saveexec_b32 s16, s17
	s_cbranch_execz .LBB608_1028
; %bb.1027:                             ;   in Loop: Header=BB608_982 Depth=2
	s_waitcnt lgkmcnt(0)
	v_bcnt_u32_b32 v37, v37, v164
	ds_store_b32 v166, v37
.LBB608_1028:                           ;   in Loop: Header=BB608_982 Depth=2
	s_or_b32 exec_lo, exec_lo, s16
	v_xor_b32_e32 v163, 0x80000000, v163
	; wave barrier
	s_delay_alu instid0(VALU_DEP_1) | instskip(NEXT) | instid1(VALU_DEP_1)
	v_lshrrev_b32_e32 v37, s57, v163
	v_and_b32_e32 v37, s39, v37
	s_delay_alu instid0(VALU_DEP_1)
	v_and_b32_e32 v168, 1, v37
	v_lshlrev_b32_e32 v169, 30, v37
	v_lshlrev_b32_e32 v170, 29, v37
	;; [unrolled: 1-line block ×4, first 2 shown]
	v_add_co_u32 v168, s16, v168, -1
	s_delay_alu instid0(VALU_DEP_1)
	v_cndmask_b32_e64 v174, 0, 1, s16
	v_not_b32_e32 v178, v169
	v_cmp_gt_i32_e64 s16, 0, v169
	v_not_b32_e32 v169, v170
	v_lshlrev_b32_e32 v176, 26, v37
	v_cmp_ne_u32_e32 vcc_lo, 0, v174
	v_ashrrev_i32_e32 v178, 31, v178
	v_lshlrev_b32_e32 v177, 25, v37
	v_ashrrev_i32_e32 v169, 31, v169
	v_lshlrev_b32_e32 v174, 24, v37
	v_xor_b32_e32 v168, vcc_lo, v168
	v_cmp_gt_i32_e32 vcc_lo, 0, v170
	v_not_b32_e32 v170, v173
	v_xor_b32_e32 v178, s16, v178
	v_cmp_gt_i32_e64 s16, 0, v173
	v_and_b32_e32 v168, exec_lo, v168
	v_not_b32_e32 v173, v175
	v_ashrrev_i32_e32 v170, 31, v170
	v_xor_b32_e32 v169, vcc_lo, v169
	v_cmp_gt_i32_e32 vcc_lo, 0, v175
	v_and_b32_e32 v168, v168, v178
	v_not_b32_e32 v175, v176
	v_ashrrev_i32_e32 v173, 31, v173
	v_xor_b32_e32 v170, s16, v170
	v_cmp_gt_i32_e64 s16, 0, v176
	v_and_b32_e32 v168, v168, v169
	v_not_b32_e32 v169, v177
	v_ashrrev_i32_e32 v175, 31, v175
	v_xor_b32_e32 v173, vcc_lo, v173
	v_cmp_gt_i32_e32 vcc_lo, 0, v177
	v_and_b32_e32 v168, v168, v170
	v_not_b32_e32 v170, v174
	v_ashrrev_i32_e32 v169, 31, v169
	v_xor_b32_e32 v175, s16, v175
	v_mul_u32_u24_e32 v37, 9, v37
	v_and_b32_e32 v168, v168, v173
	v_cmp_gt_i32_e64 s16, 0, v174
	v_ashrrev_i32_e32 v170, 31, v170
	v_xor_b32_e32 v169, vcc_lo, v169
	v_add_lshl_u32 v173, v37, v128, 2
	v_and_b32_e32 v168, v168, v175
	s_delay_alu instid0(VALU_DEP_4) | instskip(NEXT) | instid1(VALU_DEP_3)
	v_xor_b32_e32 v37, s16, v170
	v_add_nc_u32_e32 v170, 0x420, v173
	s_delay_alu instid0(VALU_DEP_3) | instskip(SKIP_2) | instid1(VALU_DEP_1)
	v_and_b32_e32 v169, v168, v169
	ds_load_b32 v168, v173 offset:1056
	; wave barrier
	v_and_b32_e32 v37, v169, v37
	v_mbcnt_lo_u32_b32 v169, v37, 0
	v_cmp_ne_u32_e64 s16, 0, v37
	s_delay_alu instid0(VALU_DEP_2) | instskip(NEXT) | instid1(VALU_DEP_2)
	v_cmp_eq_u32_e32 vcc_lo, 0, v169
	s_and_b32 s17, s16, vcc_lo
	s_delay_alu instid0(SALU_CYCLE_1)
	s_and_saveexec_b32 s16, s17
	s_cbranch_execz .LBB608_1030
; %bb.1029:                             ;   in Loop: Header=BB608_982 Depth=2
	s_waitcnt lgkmcnt(0)
	v_bcnt_u32_b32 v37, v37, v168
	ds_store_b32 v170, v37
.LBB608_1030:                           ;   in Loop: Header=BB608_982 Depth=2
	s_or_b32 exec_lo, exec_lo, s16
	v_xor_b32_e32 v167, 0x80000000, v167
	; wave barrier
	s_delay_alu instid0(VALU_DEP_1) | instskip(NEXT) | instid1(VALU_DEP_1)
	v_lshrrev_b32_e32 v37, s57, v167
	v_and_b32_e32 v37, s39, v37
	s_delay_alu instid0(VALU_DEP_1)
	v_and_b32_e32 v173, 1, v37
	v_lshlrev_b32_e32 v174, 30, v37
	v_lshlrev_b32_e32 v175, 29, v37
	;; [unrolled: 1-line block ×4, first 2 shown]
	v_add_co_u32 v173, s16, v173, -1
	s_delay_alu instid0(VALU_DEP_1)
	v_cndmask_b32_e64 v177, 0, 1, s16
	v_not_b32_e32 v181, v174
	v_cmp_gt_i32_e64 s16, 0, v174
	v_not_b32_e32 v174, v175
	v_lshlrev_b32_e32 v179, 26, v37
	v_cmp_ne_u32_e32 vcc_lo, 0, v177
	v_ashrrev_i32_e32 v181, 31, v181
	v_lshlrev_b32_e32 v180, 25, v37
	v_ashrrev_i32_e32 v174, 31, v174
	v_lshlrev_b32_e32 v177, 24, v37
	v_xor_b32_e32 v173, vcc_lo, v173
	v_cmp_gt_i32_e32 vcc_lo, 0, v175
	v_not_b32_e32 v175, v176
	v_xor_b32_e32 v181, s16, v181
	v_cmp_gt_i32_e64 s16, 0, v176
	v_and_b32_e32 v173, exec_lo, v173
	v_not_b32_e32 v176, v178
	v_ashrrev_i32_e32 v175, 31, v175
	v_xor_b32_e32 v174, vcc_lo, v174
	v_cmp_gt_i32_e32 vcc_lo, 0, v178
	v_and_b32_e32 v173, v173, v181
	v_not_b32_e32 v178, v179
	v_ashrrev_i32_e32 v176, 31, v176
	v_xor_b32_e32 v175, s16, v175
	v_cmp_gt_i32_e64 s16, 0, v179
	v_and_b32_e32 v173, v173, v174
	v_not_b32_e32 v174, v180
	v_ashrrev_i32_e32 v178, 31, v178
	v_xor_b32_e32 v176, vcc_lo, v176
	v_cmp_gt_i32_e32 vcc_lo, 0, v180
	v_and_b32_e32 v173, v173, v175
	v_not_b32_e32 v175, v177
	v_ashrrev_i32_e32 v174, 31, v174
	v_xor_b32_e32 v178, s16, v178
	v_mul_u32_u24_e32 v37, 9, v37
	v_and_b32_e32 v173, v173, v176
	v_cmp_gt_i32_e64 s16, 0, v177
	v_ashrrev_i32_e32 v175, 31, v175
	v_xor_b32_e32 v174, vcc_lo, v174
	v_add_lshl_u32 v176, v37, v128, 2
	v_and_b32_e32 v173, v173, v178
	s_delay_alu instid0(VALU_DEP_4) | instskip(NEXT) | instid1(VALU_DEP_3)
	v_xor_b32_e32 v37, s16, v175
	v_add_nc_u32_e32 v175, 0x420, v176
	s_delay_alu instid0(VALU_DEP_3) | instskip(SKIP_2) | instid1(VALU_DEP_1)
	v_and_b32_e32 v174, v173, v174
	ds_load_b32 v173, v176 offset:1056
	; wave barrier
	v_and_b32_e32 v37, v174, v37
	v_mbcnt_lo_u32_b32 v174, v37, 0
	v_cmp_ne_u32_e64 s16, 0, v37
	s_delay_alu instid0(VALU_DEP_2) | instskip(NEXT) | instid1(VALU_DEP_2)
	v_cmp_eq_u32_e32 vcc_lo, 0, v174
	s_and_b32 s17, s16, vcc_lo
	s_delay_alu instid0(SALU_CYCLE_1)
	s_and_saveexec_b32 s16, s17
	s_cbranch_execz .LBB608_1032
; %bb.1031:                             ;   in Loop: Header=BB608_982 Depth=2
	s_waitcnt lgkmcnt(0)
	v_bcnt_u32_b32 v37, v37, v173
	ds_store_b32 v175, v37
.LBB608_1032:                           ;   in Loop: Header=BB608_982 Depth=2
	s_or_b32 exec_lo, exec_lo, s16
	v_xor_b32_e32 v172, 0x80000000, v172
	; wave barrier
	s_delay_alu instid0(VALU_DEP_1) | instskip(NEXT) | instid1(VALU_DEP_1)
	v_lshrrev_b32_e32 v37, s57, v172
	v_and_b32_e32 v37, s39, v37
	s_delay_alu instid0(VALU_DEP_1)
	v_and_b32_e32 v176, 1, v37
	v_lshlrev_b32_e32 v177, 30, v37
	v_lshlrev_b32_e32 v178, 29, v37
	;; [unrolled: 1-line block ×4, first 2 shown]
	v_add_co_u32 v176, s16, v176, -1
	s_delay_alu instid0(VALU_DEP_1)
	v_cndmask_b32_e64 v180, 0, 1, s16
	v_not_b32_e32 v184, v177
	v_cmp_gt_i32_e64 s16, 0, v177
	v_not_b32_e32 v177, v178
	v_lshlrev_b32_e32 v182, 26, v37
	v_cmp_ne_u32_e32 vcc_lo, 0, v180
	v_ashrrev_i32_e32 v184, 31, v184
	v_lshlrev_b32_e32 v183, 25, v37
	v_ashrrev_i32_e32 v177, 31, v177
	v_lshlrev_b32_e32 v180, 24, v37
	v_xor_b32_e32 v176, vcc_lo, v176
	v_cmp_gt_i32_e32 vcc_lo, 0, v178
	v_not_b32_e32 v178, v179
	v_xor_b32_e32 v184, s16, v184
	v_cmp_gt_i32_e64 s16, 0, v179
	v_and_b32_e32 v176, exec_lo, v176
	v_not_b32_e32 v179, v181
	v_ashrrev_i32_e32 v178, 31, v178
	v_xor_b32_e32 v177, vcc_lo, v177
	v_cmp_gt_i32_e32 vcc_lo, 0, v181
	v_and_b32_e32 v176, v176, v184
	v_not_b32_e32 v181, v182
	v_ashrrev_i32_e32 v179, 31, v179
	v_xor_b32_e32 v178, s16, v178
	v_cmp_gt_i32_e64 s16, 0, v182
	v_and_b32_e32 v176, v176, v177
	v_not_b32_e32 v177, v183
	v_ashrrev_i32_e32 v181, 31, v181
	v_xor_b32_e32 v179, vcc_lo, v179
	v_cmp_gt_i32_e32 vcc_lo, 0, v183
	v_and_b32_e32 v176, v176, v178
	v_not_b32_e32 v178, v180
	v_ashrrev_i32_e32 v177, 31, v177
	v_xor_b32_e32 v181, s16, v181
	v_mul_u32_u24_e32 v37, 9, v37
	v_and_b32_e32 v176, v176, v179
	v_cmp_gt_i32_e64 s16, 0, v180
	v_ashrrev_i32_e32 v178, 31, v178
	v_xor_b32_e32 v177, vcc_lo, v177
	v_add_lshl_u32 v179, v37, v128, 2
	v_and_b32_e32 v176, v176, v181
	s_delay_alu instid0(VALU_DEP_4) | instskip(NEXT) | instid1(VALU_DEP_3)
	v_xor_b32_e32 v37, s16, v178
	v_add_nc_u32_e32 v178, 0x420, v179
	s_delay_alu instid0(VALU_DEP_3) | instskip(SKIP_2) | instid1(VALU_DEP_1)
	v_and_b32_e32 v177, v176, v177
	ds_load_b32 v176, v179 offset:1056
	; wave barrier
	v_and_b32_e32 v37, v177, v37
	v_mbcnt_lo_u32_b32 v177, v37, 0
	v_cmp_ne_u32_e64 s16, 0, v37
	s_delay_alu instid0(VALU_DEP_2) | instskip(NEXT) | instid1(VALU_DEP_2)
	v_cmp_eq_u32_e32 vcc_lo, 0, v177
	s_and_b32 s17, s16, vcc_lo
	s_delay_alu instid0(SALU_CYCLE_1)
	s_and_saveexec_b32 s16, s17
	s_cbranch_execz .LBB608_1034
; %bb.1033:                             ;   in Loop: Header=BB608_982 Depth=2
	s_waitcnt lgkmcnt(0)
	v_bcnt_u32_b32 v37, v37, v176
	ds_store_b32 v178, v37
.LBB608_1034:                           ;   in Loop: Header=BB608_982 Depth=2
	s_or_b32 exec_lo, exec_lo, s16
	v_xor_b32_e32 v171, 0x80000000, v171
	; wave barrier
	s_delay_alu instid0(VALU_DEP_1) | instskip(NEXT) | instid1(VALU_DEP_1)
	v_lshrrev_b32_e32 v37, s57, v171
	v_and_b32_e32 v37, s39, v37
	s_delay_alu instid0(VALU_DEP_1)
	v_and_b32_e32 v179, 1, v37
	v_lshlrev_b32_e32 v180, 30, v37
	v_lshlrev_b32_e32 v181, 29, v37
	;; [unrolled: 1-line block ×4, first 2 shown]
	v_add_co_u32 v179, s16, v179, -1
	s_delay_alu instid0(VALU_DEP_1)
	v_cndmask_b32_e64 v183, 0, 1, s16
	v_not_b32_e32 v187, v180
	v_cmp_gt_i32_e64 s16, 0, v180
	v_not_b32_e32 v180, v181
	v_lshlrev_b32_e32 v185, 26, v37
	v_cmp_ne_u32_e32 vcc_lo, 0, v183
	v_ashrrev_i32_e32 v187, 31, v187
	v_lshlrev_b32_e32 v186, 25, v37
	v_ashrrev_i32_e32 v180, 31, v180
	v_lshlrev_b32_e32 v183, 24, v37
	v_xor_b32_e32 v179, vcc_lo, v179
	v_cmp_gt_i32_e32 vcc_lo, 0, v181
	v_not_b32_e32 v181, v182
	v_xor_b32_e32 v187, s16, v187
	v_cmp_gt_i32_e64 s16, 0, v182
	v_and_b32_e32 v179, exec_lo, v179
	v_not_b32_e32 v182, v184
	v_ashrrev_i32_e32 v181, 31, v181
	v_xor_b32_e32 v180, vcc_lo, v180
	v_cmp_gt_i32_e32 vcc_lo, 0, v184
	v_and_b32_e32 v179, v179, v187
	v_not_b32_e32 v184, v185
	v_ashrrev_i32_e32 v182, 31, v182
	v_xor_b32_e32 v181, s16, v181
	v_cmp_gt_i32_e64 s16, 0, v185
	v_and_b32_e32 v179, v179, v180
	v_not_b32_e32 v180, v186
	v_ashrrev_i32_e32 v184, 31, v184
	v_xor_b32_e32 v182, vcc_lo, v182
	v_cmp_gt_i32_e32 vcc_lo, 0, v186
	v_and_b32_e32 v179, v179, v181
	v_not_b32_e32 v181, v183
	v_ashrrev_i32_e32 v180, 31, v180
	v_xor_b32_e32 v184, s16, v184
	v_mul_u32_u24_e32 v37, 9, v37
	v_and_b32_e32 v179, v179, v182
	v_cmp_gt_i32_e64 s16, 0, v183
	v_ashrrev_i32_e32 v181, 31, v181
	v_xor_b32_e32 v180, vcc_lo, v180
	v_add_lshl_u32 v182, v37, v128, 2
	v_and_b32_e32 v179, v179, v184
	s_delay_alu instid0(VALU_DEP_4) | instskip(NEXT) | instid1(VALU_DEP_2)
	v_xor_b32_e32 v37, s16, v181
	v_and_b32_e32 v179, v179, v180
	ds_load_b32 v180, v182 offset:1056
	v_add_nc_u32_e32 v182, 0x420, v182
	; wave barrier
	v_and_b32_e32 v37, v179, v37
	s_delay_alu instid0(VALU_DEP_1) | instskip(SKIP_1) | instid1(VALU_DEP_2)
	v_mbcnt_lo_u32_b32 v181, v37, 0
	v_cmp_ne_u32_e64 s16, 0, v37
	v_cmp_eq_u32_e32 vcc_lo, 0, v181
	s_delay_alu instid0(VALU_DEP_2) | instskip(NEXT) | instid1(SALU_CYCLE_1)
	s_and_b32 s17, s16, vcc_lo
	s_and_saveexec_b32 s16, s17
	s_cbranch_execz .LBB608_1036
; %bb.1035:                             ;   in Loop: Header=BB608_982 Depth=2
	s_waitcnt lgkmcnt(0)
	v_bcnt_u32_b32 v37, v37, v180
	ds_store_b32 v182, v37
.LBB608_1036:                           ;   in Loop: Header=BB608_982 Depth=2
	s_or_b32 exec_lo, exec_lo, s16
	v_xor_b32_e32 v179, 0x80000000, v43
	; wave barrier
	s_delay_alu instid0(VALU_DEP_1) | instskip(NEXT) | instid1(VALU_DEP_1)
	v_lshrrev_b32_e32 v37, s57, v179
	v_and_b32_e32 v37, s39, v37
	s_delay_alu instid0(VALU_DEP_1)
	v_and_b32_e32 v43, 1, v37
	v_lshlrev_b32_e32 v183, 30, v37
	v_lshlrev_b32_e32 v184, 29, v37
	v_lshlrev_b32_e32 v185, 28, v37
	v_lshlrev_b32_e32 v187, 27, v37
	v_add_co_u32 v43, s16, v43, -1
	s_delay_alu instid0(VALU_DEP_1)
	v_cndmask_b32_e64 v186, 0, 1, s16
	v_not_b32_e32 v190, v183
	v_cmp_gt_i32_e64 s16, 0, v183
	v_not_b32_e32 v183, v184
	v_lshlrev_b32_e32 v188, 26, v37
	v_cmp_ne_u32_e32 vcc_lo, 0, v186
	v_ashrrev_i32_e32 v190, 31, v190
	v_lshlrev_b32_e32 v189, 25, v37
	v_ashrrev_i32_e32 v183, 31, v183
	v_lshlrev_b32_e32 v186, 24, v37
	v_xor_b32_e32 v43, vcc_lo, v43
	v_cmp_gt_i32_e32 vcc_lo, 0, v184
	v_not_b32_e32 v184, v185
	v_xor_b32_e32 v190, s16, v190
	v_cmp_gt_i32_e64 s16, 0, v185
	v_and_b32_e32 v43, exec_lo, v43
	v_not_b32_e32 v185, v187
	v_ashrrev_i32_e32 v184, 31, v184
	v_xor_b32_e32 v183, vcc_lo, v183
	v_cmp_gt_i32_e32 vcc_lo, 0, v187
	v_and_b32_e32 v43, v43, v190
	v_not_b32_e32 v187, v188
	v_ashrrev_i32_e32 v185, 31, v185
	v_xor_b32_e32 v184, s16, v184
	v_cmp_gt_i32_e64 s16, 0, v188
	v_and_b32_e32 v43, v43, v183
	v_not_b32_e32 v183, v189
	v_ashrrev_i32_e32 v187, 31, v187
	v_xor_b32_e32 v185, vcc_lo, v185
	v_cmp_gt_i32_e32 vcc_lo, 0, v189
	v_and_b32_e32 v43, v43, v184
	v_not_b32_e32 v184, v186
	v_ashrrev_i32_e32 v183, 31, v183
	v_xor_b32_e32 v187, s16, v187
	v_mul_u32_u24_e32 v37, 9, v37
	v_and_b32_e32 v43, v43, v185
	v_cmp_gt_i32_e64 s16, 0, v186
	v_ashrrev_i32_e32 v184, 31, v184
	v_xor_b32_e32 v183, vcc_lo, v183
	v_add_lshl_u32 v186, v37, v128, 2
	v_and_b32_e32 v43, v43, v187
	s_delay_alu instid0(VALU_DEP_4) | instskip(SKIP_3) | instid1(VALU_DEP_2)
	v_xor_b32_e32 v37, s16, v184
	ds_load_b32 v184, v186 offset:1056
	v_and_b32_e32 v43, v43, v183
	v_add_nc_u32_e32 v186, 0x420, v186
	; wave barrier
	v_and_b32_e32 v37, v43, v37
	s_delay_alu instid0(VALU_DEP_1) | instskip(SKIP_1) | instid1(VALU_DEP_2)
	v_mbcnt_lo_u32_b32 v185, v37, 0
	v_cmp_ne_u32_e64 s16, 0, v37
	v_cmp_eq_u32_e32 vcc_lo, 0, v185
	s_delay_alu instid0(VALU_DEP_2) | instskip(NEXT) | instid1(SALU_CYCLE_1)
	s_and_b32 s17, s16, vcc_lo
	s_and_saveexec_b32 s16, s17
	s_cbranch_execz .LBB608_1038
; %bb.1037:                             ;   in Loop: Header=BB608_982 Depth=2
	s_waitcnt lgkmcnt(0)
	v_bcnt_u32_b32 v37, v37, v184
	ds_store_b32 v186, v37
.LBB608_1038:                           ;   in Loop: Header=BB608_982 Depth=2
	s_or_b32 exec_lo, exec_lo, s16
	v_xor_b32_e32 v183, 0x80000000, v42
	; wave barrier
	s_delay_alu instid0(VALU_DEP_1) | instskip(NEXT) | instid1(VALU_DEP_1)
	v_lshrrev_b32_e32 v37, s57, v183
	v_and_b32_e32 v37, s39, v37
	s_delay_alu instid0(VALU_DEP_1)
	v_and_b32_e32 v42, 1, v37
	v_lshlrev_b32_e32 v43, 30, v37
	v_lshlrev_b32_e32 v187, 29, v37
	;; [unrolled: 1-line block ×4, first 2 shown]
	v_add_co_u32 v42, s16, v42, -1
	s_delay_alu instid0(VALU_DEP_1)
	v_cndmask_b32_e64 v189, 0, 1, s16
	v_not_b32_e32 v193, v43
	v_cmp_gt_i32_e64 s16, 0, v43
	v_not_b32_e32 v43, v187
	v_lshlrev_b32_e32 v191, 26, v37
	v_cmp_ne_u32_e32 vcc_lo, 0, v189
	v_ashrrev_i32_e32 v193, 31, v193
	v_lshlrev_b32_e32 v192, 25, v37
	v_ashrrev_i32_e32 v43, 31, v43
	v_lshlrev_b32_e32 v189, 24, v37
	v_xor_b32_e32 v42, vcc_lo, v42
	v_cmp_gt_i32_e32 vcc_lo, 0, v187
	v_not_b32_e32 v187, v188
	v_xor_b32_e32 v193, s16, v193
	v_cmp_gt_i32_e64 s16, 0, v188
	v_and_b32_e32 v42, exec_lo, v42
	v_not_b32_e32 v188, v190
	v_ashrrev_i32_e32 v187, 31, v187
	v_xor_b32_e32 v43, vcc_lo, v43
	v_cmp_gt_i32_e32 vcc_lo, 0, v190
	v_and_b32_e32 v42, v42, v193
	v_not_b32_e32 v190, v191
	v_ashrrev_i32_e32 v188, 31, v188
	v_xor_b32_e32 v187, s16, v187
	v_cmp_gt_i32_e64 s16, 0, v191
	v_and_b32_e32 v42, v42, v43
	v_not_b32_e32 v43, v192
	v_ashrrev_i32_e32 v190, 31, v190
	v_xor_b32_e32 v188, vcc_lo, v188
	v_cmp_gt_i32_e32 vcc_lo, 0, v192
	v_and_b32_e32 v42, v42, v187
	v_not_b32_e32 v187, v189
	v_ashrrev_i32_e32 v43, 31, v43
	v_xor_b32_e32 v190, s16, v190
	v_mul_u32_u24_e32 v37, 9, v37
	v_and_b32_e32 v42, v42, v188
	v_cmp_gt_i32_e64 s16, 0, v189
	v_ashrrev_i32_e32 v187, 31, v187
	v_xor_b32_e32 v43, vcc_lo, v43
	v_add_lshl_u32 v188, v37, v128, 2
	v_and_b32_e32 v42, v42, v190
	s_delay_alu instid0(VALU_DEP_4) | instskip(SKIP_3) | instid1(VALU_DEP_2)
	v_xor_b32_e32 v37, s16, v187
	ds_load_b32 v189, v188 offset:1056
	v_and_b32_e32 v42, v42, v43
	v_add_nc_u32_e32 v191, 0x420, v188
	; wave barrier
	v_and_b32_e32 v37, v42, v37
	s_delay_alu instid0(VALU_DEP_1) | instskip(SKIP_1) | instid1(VALU_DEP_2)
	v_mbcnt_lo_u32_b32 v190, v37, 0
	v_cmp_ne_u32_e64 s16, 0, v37
	v_cmp_eq_u32_e32 vcc_lo, 0, v190
	s_delay_alu instid0(VALU_DEP_2) | instskip(NEXT) | instid1(SALU_CYCLE_1)
	s_and_b32 s17, s16, vcc_lo
	s_and_saveexec_b32 s16, s17
	s_cbranch_execz .LBB608_1040
; %bb.1039:                             ;   in Loop: Header=BB608_982 Depth=2
	s_waitcnt lgkmcnt(0)
	v_bcnt_u32_b32 v37, v37, v189
	ds_store_b32 v191, v37
.LBB608_1040:                           ;   in Loop: Header=BB608_982 Depth=2
	s_or_b32 exec_lo, exec_lo, s16
	v_xor_b32_e32 v187, 0x80000000, v41
	; wave barrier
	s_delay_alu instid0(VALU_DEP_1) | instskip(NEXT) | instid1(VALU_DEP_1)
	v_lshrrev_b32_e32 v37, s57, v187
	v_and_b32_e32 v37, s39, v37
	s_delay_alu instid0(VALU_DEP_1)
	v_and_b32_e32 v41, 1, v37
	v_lshlrev_b32_e32 v42, 30, v37
	v_lshlrev_b32_e32 v43, 29, v37
	;; [unrolled: 1-line block ×4, first 2 shown]
	v_add_co_u32 v41, s16, v41, -1
	s_delay_alu instid0(VALU_DEP_1)
	v_cndmask_b32_e64 v192, 0, 1, s16
	v_not_b32_e32 v196, v42
	v_cmp_gt_i32_e64 s16, 0, v42
	v_not_b32_e32 v42, v43
	v_lshlrev_b32_e32 v194, 26, v37
	v_cmp_ne_u32_e32 vcc_lo, 0, v192
	v_ashrrev_i32_e32 v196, 31, v196
	v_lshlrev_b32_e32 v195, 25, v37
	v_ashrrev_i32_e32 v42, 31, v42
	v_lshlrev_b32_e32 v192, 24, v37
	v_xor_b32_e32 v41, vcc_lo, v41
	v_cmp_gt_i32_e32 vcc_lo, 0, v43
	v_not_b32_e32 v43, v188
	v_xor_b32_e32 v196, s16, v196
	v_cmp_gt_i32_e64 s16, 0, v188
	v_and_b32_e32 v41, exec_lo, v41
	v_not_b32_e32 v188, v193
	v_ashrrev_i32_e32 v43, 31, v43
	v_xor_b32_e32 v42, vcc_lo, v42
	v_cmp_gt_i32_e32 vcc_lo, 0, v193
	v_and_b32_e32 v41, v41, v196
	v_not_b32_e32 v193, v194
	v_ashrrev_i32_e32 v188, 31, v188
	v_xor_b32_e32 v43, s16, v43
	v_cmp_gt_i32_e64 s16, 0, v194
	v_and_b32_e32 v41, v41, v42
	v_not_b32_e32 v42, v195
	v_ashrrev_i32_e32 v193, 31, v193
	v_xor_b32_e32 v188, vcc_lo, v188
	v_cmp_gt_i32_e32 vcc_lo, 0, v195
	v_and_b32_e32 v41, v41, v43
	v_not_b32_e32 v43, v192
	v_ashrrev_i32_e32 v42, 31, v42
	v_xor_b32_e32 v193, s16, v193
	v_mul_u32_u24_e32 v37, 9, v37
	v_and_b32_e32 v41, v41, v188
	v_cmp_gt_i32_e64 s16, 0, v192
	v_ashrrev_i32_e32 v43, 31, v43
	v_xor_b32_e32 v42, vcc_lo, v42
	v_add_lshl_u32 v188, v37, v128, 2
	v_and_b32_e32 v41, v41, v193
	s_delay_alu instid0(VALU_DEP_4) | instskip(SKIP_3) | instid1(VALU_DEP_2)
	v_xor_b32_e32 v37, s16, v43
	ds_load_b32 v193, v188 offset:1056
	v_and_b32_e32 v41, v41, v42
	v_add_nc_u32_e32 v195, 0x420, v188
	; wave barrier
	v_and_b32_e32 v37, v41, v37
	s_delay_alu instid0(VALU_DEP_1) | instskip(SKIP_1) | instid1(VALU_DEP_2)
	v_mbcnt_lo_u32_b32 v194, v37, 0
	v_cmp_ne_u32_e64 s16, 0, v37
	v_cmp_eq_u32_e32 vcc_lo, 0, v194
	s_delay_alu instid0(VALU_DEP_2) | instskip(NEXT) | instid1(SALU_CYCLE_1)
	s_and_b32 s17, s16, vcc_lo
	s_and_saveexec_b32 s16, s17
	s_cbranch_execz .LBB608_1042
; %bb.1041:                             ;   in Loop: Header=BB608_982 Depth=2
	s_waitcnt lgkmcnt(0)
	v_bcnt_u32_b32 v37, v37, v193
	ds_store_b32 v195, v37
.LBB608_1042:                           ;   in Loop: Header=BB608_982 Depth=2
	s_or_b32 exec_lo, exec_lo, s16
	v_xor_b32_e32 v192, 0x80000000, v40
	; wave barrier
	s_delay_alu instid0(VALU_DEP_1) | instskip(NEXT) | instid1(VALU_DEP_1)
	v_lshrrev_b32_e32 v37, s57, v192
	v_and_b32_e32 v37, s39, v37
	s_delay_alu instid0(VALU_DEP_1)
	v_and_b32_e32 v40, 1, v37
	v_lshlrev_b32_e32 v41, 30, v37
	v_lshlrev_b32_e32 v42, 29, v37
	;; [unrolled: 1-line block ×4, first 2 shown]
	v_add_co_u32 v40, s16, v40, -1
	s_delay_alu instid0(VALU_DEP_1)
	v_cndmask_b32_e64 v188, 0, 1, s16
	v_not_b32_e32 v199, v41
	v_cmp_gt_i32_e64 s16, 0, v41
	v_not_b32_e32 v41, v42
	v_lshlrev_b32_e32 v197, 26, v37
	v_cmp_ne_u32_e32 vcc_lo, 0, v188
	v_ashrrev_i32_e32 v199, 31, v199
	v_lshlrev_b32_e32 v198, 25, v37
	v_ashrrev_i32_e32 v41, 31, v41
	v_lshlrev_b32_e32 v188, 24, v37
	v_xor_b32_e32 v40, vcc_lo, v40
	v_cmp_gt_i32_e32 vcc_lo, 0, v42
	v_not_b32_e32 v42, v43
	v_xor_b32_e32 v199, s16, v199
	v_cmp_gt_i32_e64 s16, 0, v43
	v_and_b32_e32 v40, exec_lo, v40
	v_not_b32_e32 v43, v196
	v_ashrrev_i32_e32 v42, 31, v42
	v_xor_b32_e32 v41, vcc_lo, v41
	v_cmp_gt_i32_e32 vcc_lo, 0, v196
	v_and_b32_e32 v40, v40, v199
	v_not_b32_e32 v196, v197
	v_ashrrev_i32_e32 v43, 31, v43
	v_xor_b32_e32 v42, s16, v42
	v_cmp_gt_i32_e64 s16, 0, v197
	v_and_b32_e32 v40, v40, v41
	v_not_b32_e32 v41, v198
	v_ashrrev_i32_e32 v196, 31, v196
	v_xor_b32_e32 v43, vcc_lo, v43
	v_cmp_gt_i32_e32 vcc_lo, 0, v198
	v_and_b32_e32 v40, v40, v42
	v_not_b32_e32 v42, v188
	v_ashrrev_i32_e32 v41, 31, v41
	v_xor_b32_e32 v196, s16, v196
	v_mul_u32_u24_e32 v37, 9, v37
	v_and_b32_e32 v40, v40, v43
	v_cmp_gt_i32_e64 s16, 0, v188
	v_ashrrev_i32_e32 v42, 31, v42
	v_xor_b32_e32 v41, vcc_lo, v41
	v_add_lshl_u32 v43, v37, v128, 2
	v_and_b32_e32 v40, v40, v196
	s_delay_alu instid0(VALU_DEP_4) | instskip(SKIP_3) | instid1(VALU_DEP_2)
	v_xor_b32_e32 v37, s16, v42
	ds_load_b32 v197, v43 offset:1056
	v_and_b32_e32 v40, v40, v41
	v_add_nc_u32_e32 v199, 0x420, v43
	; wave barrier
	v_and_b32_e32 v37, v40, v37
	s_delay_alu instid0(VALU_DEP_1) | instskip(SKIP_1) | instid1(VALU_DEP_2)
	v_mbcnt_lo_u32_b32 v198, v37, 0
	v_cmp_ne_u32_e64 s16, 0, v37
	v_cmp_eq_u32_e32 vcc_lo, 0, v198
	s_delay_alu instid0(VALU_DEP_2) | instskip(NEXT) | instid1(SALU_CYCLE_1)
	s_and_b32 s17, s16, vcc_lo
	s_and_saveexec_b32 s16, s17
	s_cbranch_execz .LBB608_1044
; %bb.1043:                             ;   in Loop: Header=BB608_982 Depth=2
	s_waitcnt lgkmcnt(0)
	v_bcnt_u32_b32 v37, v37, v197
	ds_store_b32 v199, v37
.LBB608_1044:                           ;   in Loop: Header=BB608_982 Depth=2
	s_or_b32 exec_lo, exec_lo, s16
	v_xor_b32_e32 v196, 0x80000000, v39
	; wave barrier
	s_delay_alu instid0(VALU_DEP_1) | instskip(NEXT) | instid1(VALU_DEP_1)
	v_lshrrev_b32_e32 v37, s57, v196
	v_and_b32_e32 v37, s39, v37
	s_delay_alu instid0(VALU_DEP_1)
	v_and_b32_e32 v39, 1, v37
	v_lshlrev_b32_e32 v40, 30, v37
	v_lshlrev_b32_e32 v41, 29, v37
	;; [unrolled: 1-line block ×4, first 2 shown]
	v_add_co_u32 v39, s16, v39, -1
	s_delay_alu instid0(VALU_DEP_1)
	v_cndmask_b32_e64 v43, 0, 1, s16
	v_not_b32_e32 v202, v40
	v_cmp_gt_i32_e64 s16, 0, v40
	v_not_b32_e32 v40, v41
	v_lshlrev_b32_e32 v200, 26, v37
	v_cmp_ne_u32_e32 vcc_lo, 0, v43
	v_ashrrev_i32_e32 v202, 31, v202
	v_lshlrev_b32_e32 v201, 25, v37
	v_ashrrev_i32_e32 v40, 31, v40
	v_lshlrev_b32_e32 v43, 24, v37
	v_xor_b32_e32 v39, vcc_lo, v39
	v_cmp_gt_i32_e32 vcc_lo, 0, v41
	v_not_b32_e32 v41, v42
	v_xor_b32_e32 v202, s16, v202
	v_cmp_gt_i32_e64 s16, 0, v42
	v_and_b32_e32 v39, exec_lo, v39
	v_not_b32_e32 v42, v188
	v_ashrrev_i32_e32 v41, 31, v41
	v_xor_b32_e32 v40, vcc_lo, v40
	v_cmp_gt_i32_e32 vcc_lo, 0, v188
	v_and_b32_e32 v39, v39, v202
	v_not_b32_e32 v188, v200
	v_ashrrev_i32_e32 v42, 31, v42
	v_xor_b32_e32 v41, s16, v41
	v_cmp_gt_i32_e64 s16, 0, v200
	v_and_b32_e32 v39, v39, v40
	v_not_b32_e32 v40, v201
	v_ashrrev_i32_e32 v188, 31, v188
	v_xor_b32_e32 v42, vcc_lo, v42
	v_cmp_gt_i32_e32 vcc_lo, 0, v201
	v_and_b32_e32 v39, v39, v41
	v_not_b32_e32 v41, v43
	v_ashrrev_i32_e32 v40, 31, v40
	v_xor_b32_e32 v188, s16, v188
	v_mul_u32_u24_e32 v37, 9, v37
	v_and_b32_e32 v39, v39, v42
	v_cmp_gt_i32_e64 s16, 0, v43
	v_ashrrev_i32_e32 v41, 31, v41
	v_xor_b32_e32 v40, vcc_lo, v40
	v_add_lshl_u32 v42, v37, v128, 2
	v_and_b32_e32 v39, v39, v188
	s_delay_alu instid0(VALU_DEP_4) | instskip(SKIP_3) | instid1(VALU_DEP_2)
	v_xor_b32_e32 v37, s16, v41
	ds_load_b32 v201, v42 offset:1056
	v_and_b32_e32 v39, v39, v40
	v_add_nc_u32_e32 v203, 0x420, v42
	; wave barrier
	v_and_b32_e32 v37, v39, v37
	s_delay_alu instid0(VALU_DEP_1) | instskip(SKIP_1) | instid1(VALU_DEP_2)
	v_mbcnt_lo_u32_b32 v202, v37, 0
	v_cmp_ne_u32_e64 s16, 0, v37
	v_cmp_eq_u32_e32 vcc_lo, 0, v202
	s_delay_alu instid0(VALU_DEP_2) | instskip(NEXT) | instid1(SALU_CYCLE_1)
	s_and_b32 s17, s16, vcc_lo
	s_and_saveexec_b32 s16, s17
	s_cbranch_execz .LBB608_1046
; %bb.1045:                             ;   in Loop: Header=BB608_982 Depth=2
	s_waitcnt lgkmcnt(0)
	v_bcnt_u32_b32 v37, v37, v201
	ds_store_b32 v203, v37
.LBB608_1046:                           ;   in Loop: Header=BB608_982 Depth=2
	s_or_b32 exec_lo, exec_lo, s16
	v_xor_b32_e32 v200, 0x80000000, v38
	; wave barrier
	s_delay_alu instid0(VALU_DEP_1) | instskip(NEXT) | instid1(VALU_DEP_1)
	v_lshrrev_b32_e32 v37, s57, v200
	v_and_b32_e32 v37, s39, v37
	s_delay_alu instid0(VALU_DEP_1)
	v_and_b32_e32 v38, 1, v37
	v_lshlrev_b32_e32 v39, 30, v37
	v_lshlrev_b32_e32 v40, 29, v37
	;; [unrolled: 1-line block ×4, first 2 shown]
	v_add_co_u32 v38, s16, v38, -1
	s_delay_alu instid0(VALU_DEP_1)
	v_cndmask_b32_e64 v42, 0, 1, s16
	v_not_b32_e32 v205, v39
	v_cmp_gt_i32_e64 s16, 0, v39
	v_not_b32_e32 v39, v40
	v_lshlrev_b32_e32 v188, 26, v37
	v_cmp_ne_u32_e32 vcc_lo, 0, v42
	v_ashrrev_i32_e32 v205, 31, v205
	v_lshlrev_b32_e32 v204, 25, v37
	v_ashrrev_i32_e32 v39, 31, v39
	v_lshlrev_b32_e32 v42, 24, v37
	v_xor_b32_e32 v38, vcc_lo, v38
	v_cmp_gt_i32_e32 vcc_lo, 0, v40
	v_not_b32_e32 v40, v41
	v_xor_b32_e32 v205, s16, v205
	v_cmp_gt_i32_e64 s16, 0, v41
	v_and_b32_e32 v38, exec_lo, v38
	v_not_b32_e32 v41, v43
	v_ashrrev_i32_e32 v40, 31, v40
	v_xor_b32_e32 v39, vcc_lo, v39
	v_cmp_gt_i32_e32 vcc_lo, 0, v43
	v_and_b32_e32 v38, v38, v205
	v_not_b32_e32 v43, v188
	v_ashrrev_i32_e32 v41, 31, v41
	v_xor_b32_e32 v40, s16, v40
	v_cmp_gt_i32_e64 s16, 0, v188
	v_and_b32_e32 v38, v38, v39
	v_not_b32_e32 v39, v204
	v_ashrrev_i32_e32 v43, 31, v43
	v_xor_b32_e32 v41, vcc_lo, v41
	v_cmp_gt_i32_e32 vcc_lo, 0, v204
	v_and_b32_e32 v38, v38, v40
	v_not_b32_e32 v40, v42
	v_ashrrev_i32_e32 v39, 31, v39
	v_xor_b32_e32 v43, s16, v43
	v_mul_u32_u24_e32 v37, 9, v37
	v_and_b32_e32 v38, v38, v41
	v_cmp_gt_i32_e64 s16, 0, v42
	v_ashrrev_i32_e32 v40, 31, v40
	v_xor_b32_e32 v39, vcc_lo, v39
	v_add_lshl_u32 v41, v37, v128, 2
	v_and_b32_e32 v38, v38, v43
	s_delay_alu instid0(VALU_DEP_4) | instskip(SKIP_3) | instid1(VALU_DEP_2)
	v_xor_b32_e32 v37, s16, v40
	ds_load_b32 v205, v41 offset:1056
	v_and_b32_e32 v38, v38, v39
	v_add_nc_u32_e32 v207, 0x420, v41
	; wave barrier
	v_and_b32_e32 v37, v38, v37
	s_delay_alu instid0(VALU_DEP_1) | instskip(SKIP_1) | instid1(VALU_DEP_2)
	v_mbcnt_lo_u32_b32 v206, v37, 0
	v_cmp_ne_u32_e64 s16, 0, v37
	v_cmp_eq_u32_e32 vcc_lo, 0, v206
	s_delay_alu instid0(VALU_DEP_2) | instskip(NEXT) | instid1(SALU_CYCLE_1)
	s_and_b32 s17, s16, vcc_lo
	s_and_saveexec_b32 s16, s17
	s_cbranch_execz .LBB608_1048
; %bb.1047:                             ;   in Loop: Header=BB608_982 Depth=2
	s_waitcnt lgkmcnt(0)
	v_bcnt_u32_b32 v37, v37, v205
	ds_store_b32 v207, v37
.LBB608_1048:                           ;   in Loop: Header=BB608_982 Depth=2
	s_or_b32 exec_lo, exec_lo, s16
	v_xor_b32_e32 v204, 0x80000000, v36
	; wave barrier
	s_delay_alu instid0(VALU_DEP_1) | instskip(NEXT) | instid1(VALU_DEP_1)
	v_lshrrev_b32_e32 v36, s57, v204
	v_and_b32_e32 v36, s39, v36
	s_delay_alu instid0(VALU_DEP_1)
	v_and_b32_e32 v37, 1, v36
	v_lshlrev_b32_e32 v38, 30, v36
	v_lshlrev_b32_e32 v39, 29, v36
	;; [unrolled: 1-line block ×4, first 2 shown]
	v_add_co_u32 v37, s16, v37, -1
	s_delay_alu instid0(VALU_DEP_1)
	v_cndmask_b32_e64 v41, 0, 1, s16
	v_not_b32_e32 v208, v38
	v_cmp_gt_i32_e64 s16, 0, v38
	v_not_b32_e32 v38, v39
	v_lshlrev_b32_e32 v43, 26, v36
	v_cmp_ne_u32_e32 vcc_lo, 0, v41
	v_ashrrev_i32_e32 v208, 31, v208
	v_lshlrev_b32_e32 v188, 25, v36
	v_ashrrev_i32_e32 v38, 31, v38
	v_lshlrev_b32_e32 v41, 24, v36
	v_xor_b32_e32 v37, vcc_lo, v37
	v_cmp_gt_i32_e32 vcc_lo, 0, v39
	v_not_b32_e32 v39, v40
	v_xor_b32_e32 v208, s16, v208
	v_cmp_gt_i32_e64 s16, 0, v40
	v_and_b32_e32 v37, exec_lo, v37
	v_not_b32_e32 v40, v42
	v_ashrrev_i32_e32 v39, 31, v39
	v_xor_b32_e32 v38, vcc_lo, v38
	v_cmp_gt_i32_e32 vcc_lo, 0, v42
	v_and_b32_e32 v37, v37, v208
	v_not_b32_e32 v42, v43
	v_ashrrev_i32_e32 v40, 31, v40
	v_xor_b32_e32 v39, s16, v39
	v_cmp_gt_i32_e64 s16, 0, v43
	v_and_b32_e32 v37, v37, v38
	v_not_b32_e32 v38, v188
	v_ashrrev_i32_e32 v42, 31, v42
	v_xor_b32_e32 v40, vcc_lo, v40
	v_cmp_gt_i32_e32 vcc_lo, 0, v188
	v_and_b32_e32 v37, v37, v39
	v_not_b32_e32 v39, v41
	v_ashrrev_i32_e32 v38, 31, v38
	v_xor_b32_e32 v42, s16, v42
	v_mul_u32_u24_e32 v36, 9, v36
	v_and_b32_e32 v37, v37, v40
	v_cmp_gt_i32_e64 s16, 0, v41
	v_ashrrev_i32_e32 v39, 31, v39
	v_xor_b32_e32 v38, vcc_lo, v38
	v_add_lshl_u32 v40, v36, v128, 2
	v_and_b32_e32 v37, v37, v42
	s_delay_alu instid0(VALU_DEP_4) | instskip(SKIP_3) | instid1(VALU_DEP_2)
	v_xor_b32_e32 v36, s16, v39
	ds_load_b32 v208, v40 offset:1056
	v_and_b32_e32 v37, v37, v38
	v_add_nc_u32_e32 v210, 0x420, v40
	; wave barrier
	v_and_b32_e32 v36, v37, v36
	s_delay_alu instid0(VALU_DEP_1) | instskip(SKIP_1) | instid1(VALU_DEP_2)
	v_mbcnt_lo_u32_b32 v209, v36, 0
	v_cmp_ne_u32_e64 s16, 0, v36
	v_cmp_eq_u32_e32 vcc_lo, 0, v209
	s_delay_alu instid0(VALU_DEP_2) | instskip(NEXT) | instid1(SALU_CYCLE_1)
	s_and_b32 s17, s16, vcc_lo
	s_and_saveexec_b32 s16, s17
	s_cbranch_execz .LBB608_1050
; %bb.1049:                             ;   in Loop: Header=BB608_982 Depth=2
	s_waitcnt lgkmcnt(0)
	v_bcnt_u32_b32 v36, v36, v208
	ds_store_b32 v210, v36
.LBB608_1050:                           ;   in Loop: Header=BB608_982 Depth=2
	s_or_b32 exec_lo, exec_lo, s16
	; wave barrier
	s_waitcnt lgkmcnt(0)
	s_barrier
	buffer_gl0_inv
	ds_load_b32 v211, v70 offset:1056
	ds_load_2addr_b32 v[42:43], v71 offset0:1 offset1:2
	ds_load_2addr_b32 v[40:41], v71 offset0:3 offset1:4
	;; [unrolled: 1-line block ×4, first 2 shown]
	s_waitcnt lgkmcnt(3)
	v_add3_u32 v188, v42, v211, v43
	s_waitcnt lgkmcnt(2)
	s_delay_alu instid0(VALU_DEP_1) | instskip(SKIP_1) | instid1(VALU_DEP_1)
	v_add3_u32 v188, v188, v40, v41
	s_waitcnt lgkmcnt(1)
	v_add3_u32 v188, v188, v36, v37
	s_waitcnt lgkmcnt(0)
	s_delay_alu instid0(VALU_DEP_1) | instskip(NEXT) | instid1(VALU_DEP_1)
	v_add3_u32 v39, v188, v38, v39
	v_mov_b32_dpp v188, v39 row_shr:1 row_mask:0xf bank_mask:0xf
	s_delay_alu instid0(VALU_DEP_1) | instskip(NEXT) | instid1(VALU_DEP_1)
	v_cndmask_b32_e64 v188, v188, 0, s0
	v_add_nc_u32_e32 v39, v188, v39
	s_delay_alu instid0(VALU_DEP_1) | instskip(NEXT) | instid1(VALU_DEP_1)
	v_mov_b32_dpp v188, v39 row_shr:2 row_mask:0xf bank_mask:0xf
	v_cndmask_b32_e64 v188, 0, v188, s1
	s_delay_alu instid0(VALU_DEP_1) | instskip(NEXT) | instid1(VALU_DEP_1)
	v_add_nc_u32_e32 v39, v39, v188
	v_mov_b32_dpp v188, v39 row_shr:4 row_mask:0xf bank_mask:0xf
	s_delay_alu instid0(VALU_DEP_1) | instskip(NEXT) | instid1(VALU_DEP_1)
	v_cndmask_b32_e64 v188, 0, v188, s8
	v_add_nc_u32_e32 v39, v39, v188
	s_delay_alu instid0(VALU_DEP_1) | instskip(NEXT) | instid1(VALU_DEP_1)
	v_mov_b32_dpp v188, v39 row_shr:8 row_mask:0xf bank_mask:0xf
	v_cndmask_b32_e64 v188, 0, v188, s9
	s_delay_alu instid0(VALU_DEP_1) | instskip(SKIP_3) | instid1(VALU_DEP_1)
	v_add_nc_u32_e32 v39, v39, v188
	ds_swizzle_b32 v188, v39 offset:swizzle(BROADCAST,32,15)
	s_waitcnt lgkmcnt(0)
	v_cndmask_b32_e64 v188, v188, 0, s10
	v_add_nc_u32_e32 v39, v39, v188
	s_and_saveexec_b32 s16, s3
	s_cbranch_execz .LBB608_1052
; %bb.1051:                             ;   in Loop: Header=BB608_982 Depth=2
	ds_store_b32 v62, v39 offset:1024
.LBB608_1052:                           ;   in Loop: Header=BB608_982 Depth=2
	s_or_b32 exec_lo, exec_lo, s16
	v_add_nc_u32_e32 v188, v70, v72
	s_waitcnt lgkmcnt(0)
	s_barrier
	buffer_gl0_inv
	s_and_saveexec_b32 s16, s4
	s_cbranch_execz .LBB608_1054
; %bb.1053:                             ;   in Loop: Header=BB608_982 Depth=2
	ds_load_b32 v212, v188 offset:1024
	s_waitcnt lgkmcnt(0)
	v_mov_b32_dpp v213, v212 row_shr:1 row_mask:0xf bank_mask:0xf
	s_delay_alu instid0(VALU_DEP_1) | instskip(NEXT) | instid1(VALU_DEP_1)
	v_cndmask_b32_e64 v213, v213, 0, s12
	v_add_nc_u32_e32 v212, v213, v212
	s_delay_alu instid0(VALU_DEP_1) | instskip(NEXT) | instid1(VALU_DEP_1)
	v_mov_b32_dpp v213, v212 row_shr:2 row_mask:0xf bank_mask:0xf
	v_cndmask_b32_e64 v213, 0, v213, s13
	s_delay_alu instid0(VALU_DEP_1) | instskip(NEXT) | instid1(VALU_DEP_1)
	v_add_nc_u32_e32 v212, v212, v213
	v_mov_b32_dpp v213, v212 row_shr:4 row_mask:0xf bank_mask:0xf
	s_delay_alu instid0(VALU_DEP_1) | instskip(NEXT) | instid1(VALU_DEP_1)
	v_cndmask_b32_e64 v213, 0, v213, s14
	v_add_nc_u32_e32 v212, v212, v213
	ds_store_b32 v188, v212 offset:1024
.LBB608_1054:                           ;   in Loop: Header=BB608_982 Depth=2
	s_or_b32 exec_lo, exec_lo, s16
	v_mov_b32_e32 v212, 0
	s_waitcnt lgkmcnt(0)
	s_barrier
	buffer_gl0_inv
	s_and_saveexec_b32 s16, s5
	s_cbranch_execz .LBB608_1056
; %bb.1055:                             ;   in Loop: Header=BB608_982 Depth=2
	ds_load_b32 v212, v62 offset:1020
.LBB608_1056:                           ;   in Loop: Header=BB608_982 Depth=2
	s_or_b32 exec_lo, exec_lo, s16
	s_waitcnt lgkmcnt(0)
	v_add_nc_u32_e32 v39, v212, v39
	ds_bpermute_b32 v39, v107, v39
	s_waitcnt lgkmcnt(0)
	v_cndmask_b32_e64 v39, v39, v212, s11
	s_delay_alu instid0(VALU_DEP_1) | instskip(NEXT) | instid1(VALU_DEP_1)
	v_cndmask_b32_e64 v39, v39, 0, s6
	v_add_nc_u32_e32 v211, v39, v211
	s_delay_alu instid0(VALU_DEP_1) | instskip(NEXT) | instid1(VALU_DEP_1)
	v_add_nc_u32_e32 v42, v211, v42
	v_add_nc_u32_e32 v43, v42, v43
	s_delay_alu instid0(VALU_DEP_1) | instskip(NEXT) | instid1(VALU_DEP_1)
	v_add_nc_u32_e32 v40, v43, v40
	;; [unrolled: 3-line block ×3, first 2 shown]
	v_add_nc_u32_e32 v37, v36, v37
	s_delay_alu instid0(VALU_DEP_1)
	v_add_nc_u32_e32 v38, v37, v38
	ds_store_b32 v70, v39 offset:1056
	ds_store_2addr_b32 v71, v211, v42 offset0:1 offset1:2
	ds_store_2addr_b32 v71, v43, v40 offset0:3 offset1:4
	;; [unrolled: 1-line block ×4, first 2 shown]
	v_mov_b32_e32 v38, 0x1000
	s_waitcnt lgkmcnt(0)
	s_barrier
	buffer_gl0_inv
	ds_load_b32 v39, v154
	ds_load_b32 v40, v158
	;; [unrolled: 1-line block ×16, first 2 shown]
	ds_load_b32 v158, v70 offset:1056
	s_and_saveexec_b32 s16, s7
	s_cbranch_execz .LBB608_1058
; %bb.1057:                             ;   in Loop: Header=BB608_982 Depth=2
	ds_load_b32 v38, v73 offset:1056
.LBB608_1058:                           ;   in Loop: Header=BB608_982 Depth=2
	s_or_b32 exec_lo, exec_lo, s16
	s_waitcnt lgkmcnt(0)
	s_barrier
	buffer_gl0_inv
	s_and_saveexec_b32 s16, s2
	s_cbranch_execz .LBB608_1060
; %bb.1059:                             ;   in Loop: Header=BB608_982 Depth=2
	ds_load_b32 v162, v44
	s_waitcnt lgkmcnt(0)
	v_sub_nc_u32_e32 v158, v162, v158
	ds_store_b32 v44, v158
.LBB608_1060:                           ;   in Loop: Header=BB608_982 Depth=2
	s_or_b32 exec_lo, exec_lo, s16
	v_add_nc_u32_e32 v170, v150, v149
	v_add3_u32 v166, v153, v152, v39
	v_add3_u32 v162, v157, v156, v40
	;; [unrolled: 1-line block ×5, first 2 shown]
	v_lshlrev_b32_e32 v160, 2, v170
	v_add3_u32 v43, v202, v201, v36
	v_lshlrev_b32_e32 v36, 2, v166
	v_add3_u32 v154, v174, v173, v175
	v_add3_u32 v153, v177, v176, v178
	ds_store_b32 v160, v2 offset:1024
	v_lshlrev_b32_e32 v2, 2, v162
	ds_store_b32 v36, v148 offset:1024
	v_lshlrev_b32_e32 v36, 2, v156
	v_add3_u32 v152, v181, v180, v182
	v_add3_u32 v42, v206, v205, v37
	v_lshlrev_b32_e32 v37, 2, v158
	v_add3_u32 v150, v185, v184, v186
	v_lshlrev_b32_e32 v160, 2, v157
	v_add3_u32 v149, v190, v189, v191
	v_add3_u32 v40, v194, v193, v195
	ds_store_b32 v2, v151 offset:1024
	ds_store_b32 v37, v155 offset:1024
	;; [unrolled: 1-line block ×3, first 2 shown]
	v_lshlrev_b32_e32 v2, 2, v154
	ds_store_b32 v36, v163 offset:1024
	v_lshlrev_b32_e32 v36, 2, v153
	v_lshlrev_b32_e32 v37, 2, v152
	;; [unrolled: 1-line block ×3, first 2 shown]
	v_add3_u32 v39, v198, v197, v199
	v_add3_u32 v41, v209, v208, v41
	ds_store_b32 v2, v167 offset:1024
	v_lshlrev_b32_e32 v2, 2, v149
	ds_store_b32 v36, v172 offset:1024
	ds_store_b32 v37, v171 offset:1024
	;; [unrolled: 1-line block ×3, first 2 shown]
	v_lshlrev_b32_e32 v36, 2, v40
	v_cmp_lt_u32_e32 vcc_lo, v1, v147
	v_lshlrev_b32_e32 v37, 2, v43
	ds_store_b32 v2, v183 offset:1024
	v_lshlrev_b32_e32 v2, 2, v39
	ds_store_b32 v36, v187 offset:1024
	v_lshlrev_b32_e32 v36, 2, v41
	v_lshlrev_b32_e32 v148, 2, v42
	ds_store_b32 v2, v192 offset:1024
	ds_store_b32 v37, v196 offset:1024
	;; [unrolled: 1-line block ×4, first 2 shown]
	s_waitcnt lgkmcnt(0)
	s_barrier
	buffer_gl0_inv
	s_and_saveexec_b32 s17, vcc_lo
	s_cbranch_execz .LBB608_1076
; %bb.1061:                             ;   in Loop: Header=BB608_982 Depth=2
	ds_load_b32 v148, v188 offset:1024
	s_waitcnt lgkmcnt(0)
	v_lshrrev_b32_e32 v2, s57, v148
	s_delay_alu instid0(VALU_DEP_1) | instskip(NEXT) | instid1(VALU_DEP_1)
	v_and_b32_e32 v2, s39, v2
	v_lshlrev_b32_e32 v2, 2, v2
	ds_load_b32 v2, v2
	s_waitcnt lgkmcnt(0)
	v_add_nc_u32_e32 v2, v2, v1
	s_delay_alu instid0(VALU_DEP_1) | instskip(SKIP_1) | instid1(VALU_DEP_2)
	v_lshlrev_b64 v[36:37], 2, v[2:3]
	v_xor_b32_e32 v2, 0x80000000, v148
	v_add_co_u32 v36, s16, s48, v36
	s_delay_alu instid0(VALU_DEP_1) | instskip(SKIP_3) | instid1(VALU_DEP_1)
	v_add_co_ci_u32_e64 v37, s16, s49, v37, s16
	global_store_b32 v[36:37], v2, off
	s_or_b32 exec_lo, exec_lo, s17
	v_cmp_lt_u32_e64 s16, v45, v147
	s_and_saveexec_b32 s18, s16
	s_cbranch_execnz .LBB608_1077
.LBB608_1062:                           ;   in Loop: Header=BB608_982 Depth=2
	s_or_b32 exec_lo, exec_lo, s18
	v_cmp_lt_u32_e64 s17, v46, v147
	s_delay_alu instid0(VALU_DEP_1)
	s_and_saveexec_b32 s19, s17
	s_cbranch_execz .LBB608_1078
.LBB608_1063:                           ;   in Loop: Header=BB608_982 Depth=2
	ds_load_b32 v148, v78 offset:2048
	s_waitcnt lgkmcnt(0)
	v_lshrrev_b32_e32 v2, s57, v148
	s_delay_alu instid0(VALU_DEP_1) | instskip(NEXT) | instid1(VALU_DEP_1)
	v_and_b32_e32 v2, s39, v2
	v_lshlrev_b32_e32 v2, 2, v2
	ds_load_b32 v2, v2
	s_waitcnt lgkmcnt(0)
	v_add_nc_u32_e32 v2, v2, v46
	s_delay_alu instid0(VALU_DEP_1) | instskip(SKIP_1) | instid1(VALU_DEP_2)
	v_lshlrev_b64 v[36:37], 2, v[2:3]
	v_xor_b32_e32 v2, 0x80000000, v148
	v_add_co_u32 v36, s18, s48, v36
	s_delay_alu instid0(VALU_DEP_1) | instskip(SKIP_3) | instid1(VALU_DEP_1)
	v_add_co_ci_u32_e64 v37, s18, s49, v37, s18
	global_store_b32 v[36:37], v2, off
	s_or_b32 exec_lo, exec_lo, s19
	v_cmp_lt_u32_e64 s18, v47, v147
	s_and_saveexec_b32 s20, s18
	s_cbranch_execnz .LBB608_1079
.LBB608_1064:                           ;   in Loop: Header=BB608_982 Depth=2
	s_or_b32 exec_lo, exec_lo, s20
	v_cmp_lt_u32_e64 s19, v51, v147
	s_delay_alu instid0(VALU_DEP_1)
	s_and_saveexec_b32 s21, s19
	s_cbranch_execz .LBB608_1080
.LBB608_1065:                           ;   in Loop: Header=BB608_982 Depth=2
	ds_load_b32 v148, v78 offset:4096
	s_waitcnt lgkmcnt(0)
	v_lshrrev_b32_e32 v2, s57, v148
	s_delay_alu instid0(VALU_DEP_1) | instskip(NEXT) | instid1(VALU_DEP_1)
	v_and_b32_e32 v2, s39, v2
	v_lshlrev_b32_e32 v2, 2, v2
	ds_load_b32 v2, v2
	s_waitcnt lgkmcnt(0)
	v_add_nc_u32_e32 v2, v2, v51
	s_delay_alu instid0(VALU_DEP_1) | instskip(SKIP_1) | instid1(VALU_DEP_2)
	v_lshlrev_b64 v[36:37], 2, v[2:3]
	v_xor_b32_e32 v2, 0x80000000, v148
	v_add_co_u32 v36, s20, s48, v36
	s_delay_alu instid0(VALU_DEP_1) | instskip(SKIP_3) | instid1(VALU_DEP_1)
	v_add_co_ci_u32_e64 v37, s20, s49, v37, s20
	global_store_b32 v[36:37], v2, off
	s_or_b32 exec_lo, exec_lo, s21
	v_cmp_lt_u32_e64 s20, v52, v147
	s_and_saveexec_b32 s22, s20
	s_cbranch_execnz .LBB608_1081
.LBB608_1066:                           ;   in Loop: Header=BB608_982 Depth=2
	s_or_b32 exec_lo, exec_lo, s22
	v_cmp_lt_u32_e64 s21, v53, v147
	s_delay_alu instid0(VALU_DEP_1)
	s_and_saveexec_b32 s23, s21
	s_cbranch_execz .LBB608_1082
.LBB608_1067:                           ;   in Loop: Header=BB608_982 Depth=2
	ds_load_b32 v148, v78 offset:6144
	s_waitcnt lgkmcnt(0)
	v_lshrrev_b32_e32 v2, s57, v148
	s_delay_alu instid0(VALU_DEP_1) | instskip(NEXT) | instid1(VALU_DEP_1)
	v_and_b32_e32 v2, s39, v2
	v_lshlrev_b32_e32 v2, 2, v2
	ds_load_b32 v2, v2
	s_waitcnt lgkmcnt(0)
	v_add_nc_u32_e32 v2, v2, v53
	s_delay_alu instid0(VALU_DEP_1) | instskip(SKIP_1) | instid1(VALU_DEP_2)
	v_lshlrev_b64 v[36:37], 2, v[2:3]
	v_xor_b32_e32 v2, 0x80000000, v148
	v_add_co_u32 v36, s22, s48, v36
	s_delay_alu instid0(VALU_DEP_1) | instskip(SKIP_3) | instid1(VALU_DEP_1)
	v_add_co_ci_u32_e64 v37, s22, s49, v37, s22
	global_store_b32 v[36:37], v2, off
	s_or_b32 exec_lo, exec_lo, s23
	v_cmp_lt_u32_e64 s22, v54, v147
	s_and_saveexec_b32 s24, s22
	s_cbranch_execnz .LBB608_1083
.LBB608_1068:                           ;   in Loop: Header=BB608_982 Depth=2
	s_or_b32 exec_lo, exec_lo, s24
	v_cmp_lt_u32_e64 s23, v55, v147
	s_delay_alu instid0(VALU_DEP_1)
	s_and_saveexec_b32 s25, s23
	s_cbranch_execz .LBB608_1084
.LBB608_1069:                           ;   in Loop: Header=BB608_982 Depth=2
	ds_load_b32 v148, v78 offset:8192
	s_waitcnt lgkmcnt(0)
	v_lshrrev_b32_e32 v2, s57, v148
	s_delay_alu instid0(VALU_DEP_1) | instskip(NEXT) | instid1(VALU_DEP_1)
	v_and_b32_e32 v2, s39, v2
	v_lshlrev_b32_e32 v2, 2, v2
	ds_load_b32 v2, v2
	s_waitcnt lgkmcnt(0)
	v_add_nc_u32_e32 v2, v2, v55
	s_delay_alu instid0(VALU_DEP_1) | instskip(SKIP_1) | instid1(VALU_DEP_2)
	v_lshlrev_b64 v[36:37], 2, v[2:3]
	v_xor_b32_e32 v2, 0x80000000, v148
	v_add_co_u32 v36, s24, s48, v36
	s_delay_alu instid0(VALU_DEP_1) | instskip(SKIP_3) | instid1(VALU_DEP_1)
	v_add_co_ci_u32_e64 v37, s24, s49, v37, s24
	global_store_b32 v[36:37], v2, off
	s_or_b32 exec_lo, exec_lo, s25
	v_cmp_lt_u32_e64 s24, v56, v147
	s_and_saveexec_b32 s27, s24
	s_cbranch_execnz .LBB608_1085
.LBB608_1070:                           ;   in Loop: Header=BB608_982 Depth=2
	s_or_b32 exec_lo, exec_lo, s27
	v_cmp_lt_u32_e64 s25, v57, v147
	s_delay_alu instid0(VALU_DEP_1)
	s_and_saveexec_b32 s28, s25
	s_cbranch_execz .LBB608_1086
.LBB608_1071:                           ;   in Loop: Header=BB608_982 Depth=2
	ds_load_b32 v148, v78 offset:10240
	s_waitcnt lgkmcnt(0)
	v_lshrrev_b32_e32 v2, s57, v148
	s_delay_alu instid0(VALU_DEP_1) | instskip(NEXT) | instid1(VALU_DEP_1)
	v_and_b32_e32 v2, s39, v2
	v_lshlrev_b32_e32 v2, 2, v2
	ds_load_b32 v2, v2
	s_waitcnt lgkmcnt(0)
	v_add_nc_u32_e32 v2, v2, v57
	s_delay_alu instid0(VALU_DEP_1) | instskip(SKIP_1) | instid1(VALU_DEP_2)
	v_lshlrev_b64 v[36:37], 2, v[2:3]
	v_xor_b32_e32 v2, 0x80000000, v148
	v_add_co_u32 v36, s27, s48, v36
	s_delay_alu instid0(VALU_DEP_1) | instskip(SKIP_3) | instid1(VALU_DEP_1)
	v_add_co_ci_u32_e64 v37, s27, s49, v37, s27
	global_store_b32 v[36:37], v2, off
	s_or_b32 exec_lo, exec_lo, s28
	v_cmp_lt_u32_e64 s27, v58, v147
	s_and_saveexec_b32 s29, s27
	s_cbranch_execnz .LBB608_1087
.LBB608_1072:                           ;   in Loop: Header=BB608_982 Depth=2
	s_or_b32 exec_lo, exec_lo, s29
	v_cmp_lt_u32_e64 s28, v59, v147
	s_delay_alu instid0(VALU_DEP_1)
	s_and_saveexec_b32 s30, s28
	s_cbranch_execz .LBB608_1088
.LBB608_1073:                           ;   in Loop: Header=BB608_982 Depth=2
	ds_load_b32 v148, v78 offset:12288
	s_waitcnt lgkmcnt(0)
	v_lshrrev_b32_e32 v2, s57, v148
	s_delay_alu instid0(VALU_DEP_1) | instskip(NEXT) | instid1(VALU_DEP_1)
	v_and_b32_e32 v2, s39, v2
	v_lshlrev_b32_e32 v2, 2, v2
	ds_load_b32 v2, v2
	s_waitcnt lgkmcnt(0)
	v_add_nc_u32_e32 v2, v2, v59
	s_delay_alu instid0(VALU_DEP_1) | instskip(SKIP_1) | instid1(VALU_DEP_2)
	v_lshlrev_b64 v[36:37], 2, v[2:3]
	v_xor_b32_e32 v2, 0x80000000, v148
	v_add_co_u32 v36, s29, s48, v36
	s_delay_alu instid0(VALU_DEP_1) | instskip(SKIP_3) | instid1(VALU_DEP_1)
	v_add_co_ci_u32_e64 v37, s29, s49, v37, s29
	global_store_b32 v[36:37], v2, off
	s_or_b32 exec_lo, exec_lo, s30
	v_cmp_lt_u32_e64 s29, v60, v147
	s_and_saveexec_b32 s31, s29
	s_cbranch_execnz .LBB608_1089
.LBB608_1074:                           ;   in Loop: Header=BB608_982 Depth=2
	s_or_b32 exec_lo, exec_lo, s31
	v_cmp_lt_u32_e64 s30, v61, v147
	s_delay_alu instid0(VALU_DEP_1)
	s_and_saveexec_b32 s33, s30
	s_cbranch_execz .LBB608_1090
.LBB608_1075:                           ;   in Loop: Header=BB608_982 Depth=2
	ds_load_b32 v148, v78 offset:14336
	s_waitcnt lgkmcnt(0)
	v_lshrrev_b32_e32 v2, s57, v148
	s_delay_alu instid0(VALU_DEP_1) | instskip(NEXT) | instid1(VALU_DEP_1)
	v_and_b32_e32 v2, s39, v2
	v_lshlrev_b32_e32 v2, 2, v2
	ds_load_b32 v2, v2
	s_waitcnt lgkmcnt(0)
	v_add_nc_u32_e32 v2, v2, v61
	s_delay_alu instid0(VALU_DEP_1) | instskip(SKIP_1) | instid1(VALU_DEP_2)
	v_lshlrev_b64 v[36:37], 2, v[2:3]
	v_xor_b32_e32 v2, 0x80000000, v148
	v_add_co_u32 v36, s31, s48, v36
	s_delay_alu instid0(VALU_DEP_1) | instskip(SKIP_3) | instid1(VALU_DEP_1)
	v_add_co_ci_u32_e64 v37, s31, s49, v37, s31
	global_store_b32 v[36:37], v2, off
	s_or_b32 exec_lo, exec_lo, s33
	v_cmp_lt_u32_e64 s31, v63, v147
	s_and_saveexec_b32 s42, s31
	s_cbranch_execnz .LBB608_1091
	s_branch .LBB608_1092
.LBB608_1076:                           ;   in Loop: Header=BB608_982 Depth=2
	s_or_b32 exec_lo, exec_lo, s17
	v_cmp_lt_u32_e64 s16, v45, v147
	s_delay_alu instid0(VALU_DEP_1)
	s_and_saveexec_b32 s18, s16
	s_cbranch_execz .LBB608_1062
.LBB608_1077:                           ;   in Loop: Header=BB608_982 Depth=2
	ds_load_b32 v148, v78 offset:1024
	s_waitcnt lgkmcnt(0)
	v_lshrrev_b32_e32 v2, s57, v148
	s_delay_alu instid0(VALU_DEP_1) | instskip(NEXT) | instid1(VALU_DEP_1)
	v_and_b32_e32 v2, s39, v2
	v_lshlrev_b32_e32 v2, 2, v2
	ds_load_b32 v2, v2
	s_waitcnt lgkmcnt(0)
	v_add_nc_u32_e32 v2, v2, v45
	s_delay_alu instid0(VALU_DEP_1) | instskip(SKIP_1) | instid1(VALU_DEP_2)
	v_lshlrev_b64 v[36:37], 2, v[2:3]
	v_xor_b32_e32 v2, 0x80000000, v148
	v_add_co_u32 v36, s17, s48, v36
	s_delay_alu instid0(VALU_DEP_1) | instskip(SKIP_3) | instid1(VALU_DEP_1)
	v_add_co_ci_u32_e64 v37, s17, s49, v37, s17
	global_store_b32 v[36:37], v2, off
	s_or_b32 exec_lo, exec_lo, s18
	v_cmp_lt_u32_e64 s17, v46, v147
	s_and_saveexec_b32 s19, s17
	s_cbranch_execnz .LBB608_1063
.LBB608_1078:                           ;   in Loop: Header=BB608_982 Depth=2
	s_or_b32 exec_lo, exec_lo, s19
	v_cmp_lt_u32_e64 s18, v47, v147
	s_delay_alu instid0(VALU_DEP_1)
	s_and_saveexec_b32 s20, s18
	s_cbranch_execz .LBB608_1064
.LBB608_1079:                           ;   in Loop: Header=BB608_982 Depth=2
	ds_load_b32 v148, v78 offset:3072
	s_waitcnt lgkmcnt(0)
	v_lshrrev_b32_e32 v2, s57, v148
	s_delay_alu instid0(VALU_DEP_1) | instskip(NEXT) | instid1(VALU_DEP_1)
	v_and_b32_e32 v2, s39, v2
	v_lshlrev_b32_e32 v2, 2, v2
	ds_load_b32 v2, v2
	s_waitcnt lgkmcnt(0)
	v_add_nc_u32_e32 v2, v2, v47
	s_delay_alu instid0(VALU_DEP_1) | instskip(SKIP_1) | instid1(VALU_DEP_2)
	v_lshlrev_b64 v[36:37], 2, v[2:3]
	v_xor_b32_e32 v2, 0x80000000, v148
	v_add_co_u32 v36, s19, s48, v36
	s_delay_alu instid0(VALU_DEP_1) | instskip(SKIP_3) | instid1(VALU_DEP_1)
	v_add_co_ci_u32_e64 v37, s19, s49, v37, s19
	global_store_b32 v[36:37], v2, off
	s_or_b32 exec_lo, exec_lo, s20
	v_cmp_lt_u32_e64 s19, v51, v147
	s_and_saveexec_b32 s21, s19
	s_cbranch_execnz .LBB608_1065
.LBB608_1080:                           ;   in Loop: Header=BB608_982 Depth=2
	s_or_b32 exec_lo, exec_lo, s21
	v_cmp_lt_u32_e64 s20, v52, v147
	s_delay_alu instid0(VALU_DEP_1)
	s_and_saveexec_b32 s22, s20
	s_cbranch_execz .LBB608_1066
.LBB608_1081:                           ;   in Loop: Header=BB608_982 Depth=2
	ds_load_b32 v148, v78 offset:5120
	s_waitcnt lgkmcnt(0)
	v_lshrrev_b32_e32 v2, s57, v148
	s_delay_alu instid0(VALU_DEP_1) | instskip(NEXT) | instid1(VALU_DEP_1)
	v_and_b32_e32 v2, s39, v2
	v_lshlrev_b32_e32 v2, 2, v2
	ds_load_b32 v2, v2
	s_waitcnt lgkmcnt(0)
	v_add_nc_u32_e32 v2, v2, v52
	s_delay_alu instid0(VALU_DEP_1) | instskip(SKIP_1) | instid1(VALU_DEP_2)
	v_lshlrev_b64 v[36:37], 2, v[2:3]
	v_xor_b32_e32 v2, 0x80000000, v148
	v_add_co_u32 v36, s21, s48, v36
	s_delay_alu instid0(VALU_DEP_1) | instskip(SKIP_3) | instid1(VALU_DEP_1)
	v_add_co_ci_u32_e64 v37, s21, s49, v37, s21
	global_store_b32 v[36:37], v2, off
	s_or_b32 exec_lo, exec_lo, s22
	v_cmp_lt_u32_e64 s21, v53, v147
	s_and_saveexec_b32 s23, s21
	s_cbranch_execnz .LBB608_1067
.LBB608_1082:                           ;   in Loop: Header=BB608_982 Depth=2
	s_or_b32 exec_lo, exec_lo, s23
	v_cmp_lt_u32_e64 s22, v54, v147
	s_delay_alu instid0(VALU_DEP_1)
	s_and_saveexec_b32 s24, s22
	s_cbranch_execz .LBB608_1068
.LBB608_1083:                           ;   in Loop: Header=BB608_982 Depth=2
	ds_load_b32 v148, v78 offset:7168
	s_waitcnt lgkmcnt(0)
	v_lshrrev_b32_e32 v2, s57, v148
	s_delay_alu instid0(VALU_DEP_1) | instskip(NEXT) | instid1(VALU_DEP_1)
	v_and_b32_e32 v2, s39, v2
	v_lshlrev_b32_e32 v2, 2, v2
	ds_load_b32 v2, v2
	s_waitcnt lgkmcnt(0)
	v_add_nc_u32_e32 v2, v2, v54
	s_delay_alu instid0(VALU_DEP_1) | instskip(SKIP_1) | instid1(VALU_DEP_2)
	v_lshlrev_b64 v[36:37], 2, v[2:3]
	v_xor_b32_e32 v2, 0x80000000, v148
	v_add_co_u32 v36, s23, s48, v36
	s_delay_alu instid0(VALU_DEP_1) | instskip(SKIP_3) | instid1(VALU_DEP_1)
	v_add_co_ci_u32_e64 v37, s23, s49, v37, s23
	global_store_b32 v[36:37], v2, off
	s_or_b32 exec_lo, exec_lo, s24
	v_cmp_lt_u32_e64 s23, v55, v147
	s_and_saveexec_b32 s25, s23
	s_cbranch_execnz .LBB608_1069
.LBB608_1084:                           ;   in Loop: Header=BB608_982 Depth=2
	s_or_b32 exec_lo, exec_lo, s25
	v_cmp_lt_u32_e64 s24, v56, v147
	s_delay_alu instid0(VALU_DEP_1)
	s_and_saveexec_b32 s27, s24
	s_cbranch_execz .LBB608_1070
.LBB608_1085:                           ;   in Loop: Header=BB608_982 Depth=2
	ds_load_b32 v148, v78 offset:9216
	s_waitcnt lgkmcnt(0)
	v_lshrrev_b32_e32 v2, s57, v148
	s_delay_alu instid0(VALU_DEP_1) | instskip(NEXT) | instid1(VALU_DEP_1)
	v_and_b32_e32 v2, s39, v2
	v_lshlrev_b32_e32 v2, 2, v2
	ds_load_b32 v2, v2
	s_waitcnt lgkmcnt(0)
	v_add_nc_u32_e32 v2, v2, v56
	s_delay_alu instid0(VALU_DEP_1) | instskip(SKIP_1) | instid1(VALU_DEP_2)
	v_lshlrev_b64 v[36:37], 2, v[2:3]
	v_xor_b32_e32 v2, 0x80000000, v148
	v_add_co_u32 v36, s25, s48, v36
	s_delay_alu instid0(VALU_DEP_1) | instskip(SKIP_3) | instid1(VALU_DEP_1)
	v_add_co_ci_u32_e64 v37, s25, s49, v37, s25
	global_store_b32 v[36:37], v2, off
	s_or_b32 exec_lo, exec_lo, s27
	v_cmp_lt_u32_e64 s25, v57, v147
	s_and_saveexec_b32 s28, s25
	s_cbranch_execnz .LBB608_1071
.LBB608_1086:                           ;   in Loop: Header=BB608_982 Depth=2
	s_or_b32 exec_lo, exec_lo, s28
	v_cmp_lt_u32_e64 s27, v58, v147
	s_delay_alu instid0(VALU_DEP_1)
	s_and_saveexec_b32 s29, s27
	s_cbranch_execz .LBB608_1072
.LBB608_1087:                           ;   in Loop: Header=BB608_982 Depth=2
	ds_load_b32 v148, v78 offset:11264
	s_waitcnt lgkmcnt(0)
	v_lshrrev_b32_e32 v2, s57, v148
	s_delay_alu instid0(VALU_DEP_1) | instskip(NEXT) | instid1(VALU_DEP_1)
	v_and_b32_e32 v2, s39, v2
	v_lshlrev_b32_e32 v2, 2, v2
	ds_load_b32 v2, v2
	s_waitcnt lgkmcnt(0)
	v_add_nc_u32_e32 v2, v2, v58
	s_delay_alu instid0(VALU_DEP_1) | instskip(SKIP_1) | instid1(VALU_DEP_2)
	v_lshlrev_b64 v[36:37], 2, v[2:3]
	v_xor_b32_e32 v2, 0x80000000, v148
	v_add_co_u32 v36, s28, s48, v36
	s_delay_alu instid0(VALU_DEP_1) | instskip(SKIP_3) | instid1(VALU_DEP_1)
	v_add_co_ci_u32_e64 v37, s28, s49, v37, s28
	global_store_b32 v[36:37], v2, off
	s_or_b32 exec_lo, exec_lo, s29
	v_cmp_lt_u32_e64 s28, v59, v147
	s_and_saveexec_b32 s30, s28
	s_cbranch_execnz .LBB608_1073
.LBB608_1088:                           ;   in Loop: Header=BB608_982 Depth=2
	s_or_b32 exec_lo, exec_lo, s30
	v_cmp_lt_u32_e64 s29, v60, v147
	s_delay_alu instid0(VALU_DEP_1)
	s_and_saveexec_b32 s31, s29
	s_cbranch_execz .LBB608_1074
.LBB608_1089:                           ;   in Loop: Header=BB608_982 Depth=2
	ds_load_b32 v148, v78 offset:13312
	s_waitcnt lgkmcnt(0)
	v_lshrrev_b32_e32 v2, s57, v148
	s_delay_alu instid0(VALU_DEP_1) | instskip(NEXT) | instid1(VALU_DEP_1)
	v_and_b32_e32 v2, s39, v2
	v_lshlrev_b32_e32 v2, 2, v2
	ds_load_b32 v2, v2
	s_waitcnt lgkmcnt(0)
	v_add_nc_u32_e32 v2, v2, v60
	s_delay_alu instid0(VALU_DEP_1) | instskip(SKIP_1) | instid1(VALU_DEP_2)
	v_lshlrev_b64 v[36:37], 2, v[2:3]
	v_xor_b32_e32 v2, 0x80000000, v148
	v_add_co_u32 v36, s30, s48, v36
	s_delay_alu instid0(VALU_DEP_1) | instskip(SKIP_3) | instid1(VALU_DEP_1)
	v_add_co_ci_u32_e64 v37, s30, s49, v37, s30
	global_store_b32 v[36:37], v2, off
	s_or_b32 exec_lo, exec_lo, s31
	v_cmp_lt_u32_e64 s30, v61, v147
	s_and_saveexec_b32 s33, s30
	s_cbranch_execnz .LBB608_1075
.LBB608_1090:                           ;   in Loop: Header=BB608_982 Depth=2
	s_or_b32 exec_lo, exec_lo, s33
	v_cmp_lt_u32_e64 s31, v63, v147
	s_delay_alu instid0(VALU_DEP_1)
	s_and_saveexec_b32 s42, s31
	s_cbranch_execz .LBB608_1092
.LBB608_1091:                           ;   in Loop: Header=BB608_982 Depth=2
	ds_load_b32 v148, v78 offset:15360
	s_waitcnt lgkmcnt(0)
	v_lshrrev_b32_e32 v2, s57, v148
	s_delay_alu instid0(VALU_DEP_1) | instskip(NEXT) | instid1(VALU_DEP_1)
	v_and_b32_e32 v2, s39, v2
	v_lshlrev_b32_e32 v2, 2, v2
	ds_load_b32 v2, v2
	s_waitcnt lgkmcnt(0)
	v_add_nc_u32_e32 v2, v2, v63
	s_delay_alu instid0(VALU_DEP_1) | instskip(SKIP_1) | instid1(VALU_DEP_2)
	v_lshlrev_b64 v[36:37], 2, v[2:3]
	v_xor_b32_e32 v2, 0x80000000, v148
	v_add_co_u32 v36, s33, s48, v36
	s_delay_alu instid0(VALU_DEP_1)
	v_add_co_ci_u32_e64 v37, s33, s49, v37, s33
	global_store_b32 v[36:37], v2, off
.LBB608_1092:                           ;   in Loop: Header=BB608_982 Depth=2
	s_or_b32 exec_lo, exec_lo, s42
	s_lshl_b64 s[42:43], s[34:35], 3
	s_delay_alu instid0(SALU_CYCLE_1) | instskip(NEXT) | instid1(VALU_DEP_1)
	v_add_co_u32 v36, s33, v109, s42
	v_add_co_ci_u32_e64 v37, s33, s43, v110, s33
	v_cmp_lt_u32_e64 s33, v108, v147
	s_delay_alu instid0(VALU_DEP_1) | instskip(NEXT) | instid1(SALU_CYCLE_1)
	s_and_saveexec_b32 s34, s33
	s_xor_b32 s33, exec_lo, s34
	s_cbranch_execz .LBB608_1124
; %bb.1093:                             ;   in Loop: Header=BB608_982 Depth=2
	global_load_b64 v[34:35], v[36:37], off
	s_or_b32 exec_lo, exec_lo, s33
	s_delay_alu instid0(SALU_CYCLE_1)
	s_mov_b32 s34, exec_lo
	v_cmpx_lt_u32_e64 v111, v147
	s_cbranch_execnz .LBB608_1125
.LBB608_1094:                           ;   in Loop: Header=BB608_982 Depth=2
	s_or_b32 exec_lo, exec_lo, s34
	s_delay_alu instid0(SALU_CYCLE_1)
	s_mov_b32 s34, exec_lo
	v_cmpx_lt_u32_e64 v112, v147
	s_cbranch_execz .LBB608_1126
.LBB608_1095:                           ;   in Loop: Header=BB608_982 Depth=2
	global_load_b64 v[30:31], v[36:37], off offset:512
	s_or_b32 exec_lo, exec_lo, s34
	s_delay_alu instid0(SALU_CYCLE_1)
	s_mov_b32 s34, exec_lo
	v_cmpx_lt_u32_e64 v113, v147
	s_cbranch_execnz .LBB608_1127
.LBB608_1096:                           ;   in Loop: Header=BB608_982 Depth=2
	s_or_b32 exec_lo, exec_lo, s34
	s_delay_alu instid0(SALU_CYCLE_1)
	s_mov_b32 s34, exec_lo
	v_cmpx_lt_u32_e64 v114, v147
	s_cbranch_execz .LBB608_1128
.LBB608_1097:                           ;   in Loop: Header=BB608_982 Depth=2
	global_load_b64 v[26:27], v[36:37], off offset:1024
	s_or_b32 exec_lo, exec_lo, s34
	s_delay_alu instid0(SALU_CYCLE_1)
	s_mov_b32 s34, exec_lo
	v_cmpx_lt_u32_e64 v115, v147
	s_cbranch_execnz .LBB608_1129
.LBB608_1098:                           ;   in Loop: Header=BB608_982 Depth=2
	s_or_b32 exec_lo, exec_lo, s34
	s_delay_alu instid0(SALU_CYCLE_1)
	s_mov_b32 s34, exec_lo
	v_cmpx_lt_u32_e64 v116, v147
	s_cbranch_execz .LBB608_1130
.LBB608_1099:                           ;   in Loop: Header=BB608_982 Depth=2
	global_load_b64 v[22:23], v[36:37], off offset:1536
	s_or_b32 exec_lo, exec_lo, s34
	s_delay_alu instid0(SALU_CYCLE_1)
	s_mov_b32 s34, exec_lo
	v_cmpx_lt_u32_e64 v117, v147
	s_cbranch_execnz .LBB608_1131
.LBB608_1100:                           ;   in Loop: Header=BB608_982 Depth=2
	s_or_b32 exec_lo, exec_lo, s34
	s_delay_alu instid0(SALU_CYCLE_1)
	s_mov_b32 s34, exec_lo
	v_cmpx_lt_u32_e64 v118, v147
	s_cbranch_execz .LBB608_1132
.LBB608_1101:                           ;   in Loop: Header=BB608_982 Depth=2
	global_load_b64 v[18:19], v[36:37], off offset:2048
	s_or_b32 exec_lo, exec_lo, s34
	s_delay_alu instid0(SALU_CYCLE_1)
	s_mov_b32 s34, exec_lo
	v_cmpx_lt_u32_e64 v119, v147
	s_cbranch_execnz .LBB608_1133
.LBB608_1102:                           ;   in Loop: Header=BB608_982 Depth=2
	s_or_b32 exec_lo, exec_lo, s34
	s_delay_alu instid0(SALU_CYCLE_1)
	s_mov_b32 s34, exec_lo
	v_cmpx_lt_u32_e64 v120, v147
	s_cbranch_execz .LBB608_1134
.LBB608_1103:                           ;   in Loop: Header=BB608_982 Depth=2
	global_load_b64 v[14:15], v[36:37], off offset:2560
	s_or_b32 exec_lo, exec_lo, s34
	s_delay_alu instid0(SALU_CYCLE_1)
	s_mov_b32 s34, exec_lo
	v_cmpx_lt_u32_e64 v121, v147
	s_cbranch_execnz .LBB608_1135
.LBB608_1104:                           ;   in Loop: Header=BB608_982 Depth=2
	s_or_b32 exec_lo, exec_lo, s34
	s_delay_alu instid0(SALU_CYCLE_1)
	s_mov_b32 s34, exec_lo
	v_cmpx_lt_u32_e64 v122, v147
	s_cbranch_execz .LBB608_1136
.LBB608_1105:                           ;   in Loop: Header=BB608_982 Depth=2
	global_load_b64 v[10:11], v[36:37], off offset:3072
	s_or_b32 exec_lo, exec_lo, s34
	s_delay_alu instid0(SALU_CYCLE_1)
	s_mov_b32 s34, exec_lo
	v_cmpx_lt_u32_e64 v123, v147
	s_cbranch_execnz .LBB608_1137
.LBB608_1106:                           ;   in Loop: Header=BB608_982 Depth=2
	s_or_b32 exec_lo, exec_lo, s34
	s_delay_alu instid0(SALU_CYCLE_1)
	s_mov_b32 s34, exec_lo
	v_cmpx_lt_u32_e64 v124, v147
	s_cbranch_execz .LBB608_1138
.LBB608_1107:                           ;   in Loop: Header=BB608_982 Depth=2
	global_load_b64 v[6:7], v[36:37], off offset:3584
	s_or_b32 exec_lo, exec_lo, s34
	s_delay_alu instid0(SALU_CYCLE_1)
	s_mov_b32 s34, exec_lo
	v_cmpx_lt_u32_e64 v125, v147
	s_cbranch_execnz .LBB608_1139
.LBB608_1108:                           ;   in Loop: Header=BB608_982 Depth=2
	s_or_b32 exec_lo, exec_lo, s34
	s_and_saveexec_b32 s33, vcc_lo
	s_cbranch_execz .LBB608_1140
.LBB608_1109:                           ;   in Loop: Header=BB608_982 Depth=2
	ds_load_b32 v2, v188 offset:1024
	s_waitcnt lgkmcnt(0)
	v_lshrrev_b32_e32 v2, s57, v2
	s_delay_alu instid0(VALU_DEP_1)
	v_and_b32_e32 v146, s39, v2
	s_or_b32 exec_lo, exec_lo, s33
	s_and_saveexec_b32 s33, s16
	s_cbranch_execnz .LBB608_1141
.LBB608_1110:                           ;   in Loop: Header=BB608_982 Depth=2
	s_or_b32 exec_lo, exec_lo, s33
	s_and_saveexec_b32 s33, s17
	s_cbranch_execz .LBB608_1142
.LBB608_1111:                           ;   in Loop: Header=BB608_982 Depth=2
	ds_load_b32 v2, v78 offset:2048
	s_waitcnt lgkmcnt(0)
	v_lshrrev_b32_e32 v2, s57, v2
	s_delay_alu instid0(VALU_DEP_1)
	v_and_b32_e32 v144, s39, v2
	s_or_b32 exec_lo, exec_lo, s33
	s_and_saveexec_b32 s33, s18
	s_cbranch_execnz .LBB608_1143
.LBB608_1112:                           ;   in Loop: Header=BB608_982 Depth=2
	s_or_b32 exec_lo, exec_lo, s33
	s_and_saveexec_b32 s33, s19
	s_cbranch_execz .LBB608_1144
.LBB608_1113:                           ;   in Loop: Header=BB608_982 Depth=2
	ds_load_b32 v2, v78 offset:4096
	s_waitcnt lgkmcnt(0)
	v_lshrrev_b32_e32 v2, s57, v2
	s_delay_alu instid0(VALU_DEP_1)
	v_and_b32_e32 v142, s39, v2
	s_or_b32 exec_lo, exec_lo, s33
	s_and_saveexec_b32 s33, s20
	s_cbranch_execnz .LBB608_1145
.LBB608_1114:                           ;   in Loop: Header=BB608_982 Depth=2
	s_or_b32 exec_lo, exec_lo, s33
	s_and_saveexec_b32 s33, s21
	s_cbranch_execz .LBB608_1146
.LBB608_1115:                           ;   in Loop: Header=BB608_982 Depth=2
	ds_load_b32 v2, v78 offset:6144
	s_waitcnt lgkmcnt(0)
	v_lshrrev_b32_e32 v2, s57, v2
	s_delay_alu instid0(VALU_DEP_1)
	v_and_b32_e32 v140, s39, v2
	s_or_b32 exec_lo, exec_lo, s33
	s_and_saveexec_b32 s33, s22
	s_cbranch_execnz .LBB608_1147
.LBB608_1116:                           ;   in Loop: Header=BB608_982 Depth=2
	s_or_b32 exec_lo, exec_lo, s33
	s_and_saveexec_b32 s33, s23
	s_cbranch_execz .LBB608_1148
.LBB608_1117:                           ;   in Loop: Header=BB608_982 Depth=2
	ds_load_b32 v2, v78 offset:8192
	s_waitcnt lgkmcnt(0)
	v_lshrrev_b32_e32 v2, s57, v2
	s_delay_alu instid0(VALU_DEP_1)
	v_and_b32_e32 v138, s39, v2
	s_or_b32 exec_lo, exec_lo, s33
	s_and_saveexec_b32 s33, s24
	s_cbranch_execnz .LBB608_1149
.LBB608_1118:                           ;   in Loop: Header=BB608_982 Depth=2
	s_or_b32 exec_lo, exec_lo, s33
	s_and_saveexec_b32 s33, s25
	s_cbranch_execz .LBB608_1150
.LBB608_1119:                           ;   in Loop: Header=BB608_982 Depth=2
	ds_load_b32 v2, v78 offset:10240
	s_waitcnt lgkmcnt(0)
	v_lshrrev_b32_e32 v2, s57, v2
	s_delay_alu instid0(VALU_DEP_1)
	v_and_b32_e32 v136, s39, v2
	s_or_b32 exec_lo, exec_lo, s33
	s_and_saveexec_b32 s33, s27
	s_cbranch_execnz .LBB608_1151
.LBB608_1120:                           ;   in Loop: Header=BB608_982 Depth=2
	s_or_b32 exec_lo, exec_lo, s33
	s_and_saveexec_b32 s33, s28
	s_cbranch_execz .LBB608_1152
.LBB608_1121:                           ;   in Loop: Header=BB608_982 Depth=2
	ds_load_b32 v2, v78 offset:12288
	s_waitcnt lgkmcnt(0)
	v_lshrrev_b32_e32 v2, s57, v2
	s_delay_alu instid0(VALU_DEP_1)
	v_and_b32_e32 v134, s39, v2
	s_or_b32 exec_lo, exec_lo, s33
	s_and_saveexec_b32 s33, s29
	s_cbranch_execnz .LBB608_1153
.LBB608_1122:                           ;   in Loop: Header=BB608_982 Depth=2
	s_or_b32 exec_lo, exec_lo, s33
	s_and_saveexec_b32 s33, s30
	s_cbranch_execz .LBB608_1154
.LBB608_1123:                           ;   in Loop: Header=BB608_982 Depth=2
	ds_load_b32 v2, v78 offset:14336
	s_waitcnt lgkmcnt(0)
	v_lshrrev_b32_e32 v2, s57, v2
	s_delay_alu instid0(VALU_DEP_1)
	v_and_b32_e32 v132, s39, v2
	s_or_b32 exec_lo, exec_lo, s33
	s_and_saveexec_b32 s33, s31
	s_cbranch_execnz .LBB608_1155
	s_branch .LBB608_1156
.LBB608_1124:                           ;   in Loop: Header=BB608_982 Depth=2
	s_or_b32 exec_lo, exec_lo, s33
	s_delay_alu instid0(SALU_CYCLE_1)
	s_mov_b32 s34, exec_lo
	v_cmpx_lt_u32_e64 v111, v147
	s_cbranch_execz .LBB608_1094
.LBB608_1125:                           ;   in Loop: Header=BB608_982 Depth=2
	global_load_b64 v[32:33], v[36:37], off offset:256
	s_or_b32 exec_lo, exec_lo, s34
	s_delay_alu instid0(SALU_CYCLE_1)
	s_mov_b32 s34, exec_lo
	v_cmpx_lt_u32_e64 v112, v147
	s_cbranch_execnz .LBB608_1095
.LBB608_1126:                           ;   in Loop: Header=BB608_982 Depth=2
	s_or_b32 exec_lo, exec_lo, s34
	s_delay_alu instid0(SALU_CYCLE_1)
	s_mov_b32 s34, exec_lo
	v_cmpx_lt_u32_e64 v113, v147
	s_cbranch_execz .LBB608_1096
.LBB608_1127:                           ;   in Loop: Header=BB608_982 Depth=2
	global_load_b64 v[28:29], v[36:37], off offset:768
	s_or_b32 exec_lo, exec_lo, s34
	s_delay_alu instid0(SALU_CYCLE_1)
	s_mov_b32 s34, exec_lo
	v_cmpx_lt_u32_e64 v114, v147
	s_cbranch_execnz .LBB608_1097
.LBB608_1128:                           ;   in Loop: Header=BB608_982 Depth=2
	s_or_b32 exec_lo, exec_lo, s34
	s_delay_alu instid0(SALU_CYCLE_1)
	s_mov_b32 s34, exec_lo
	v_cmpx_lt_u32_e64 v115, v147
	s_cbranch_execz .LBB608_1098
.LBB608_1129:                           ;   in Loop: Header=BB608_982 Depth=2
	global_load_b64 v[24:25], v[36:37], off offset:1280
	s_or_b32 exec_lo, exec_lo, s34
	s_delay_alu instid0(SALU_CYCLE_1)
	s_mov_b32 s34, exec_lo
	v_cmpx_lt_u32_e64 v116, v147
	s_cbranch_execnz .LBB608_1099
.LBB608_1130:                           ;   in Loop: Header=BB608_982 Depth=2
	s_or_b32 exec_lo, exec_lo, s34
	s_delay_alu instid0(SALU_CYCLE_1)
	s_mov_b32 s34, exec_lo
	v_cmpx_lt_u32_e64 v117, v147
	s_cbranch_execz .LBB608_1100
.LBB608_1131:                           ;   in Loop: Header=BB608_982 Depth=2
	global_load_b64 v[20:21], v[36:37], off offset:1792
	s_or_b32 exec_lo, exec_lo, s34
	s_delay_alu instid0(SALU_CYCLE_1)
	s_mov_b32 s34, exec_lo
	v_cmpx_lt_u32_e64 v118, v147
	s_cbranch_execnz .LBB608_1101
.LBB608_1132:                           ;   in Loop: Header=BB608_982 Depth=2
	s_or_b32 exec_lo, exec_lo, s34
	s_delay_alu instid0(SALU_CYCLE_1)
	s_mov_b32 s34, exec_lo
	v_cmpx_lt_u32_e64 v119, v147
	s_cbranch_execz .LBB608_1102
.LBB608_1133:                           ;   in Loop: Header=BB608_982 Depth=2
	global_load_b64 v[16:17], v[36:37], off offset:2304
	s_or_b32 exec_lo, exec_lo, s34
	s_delay_alu instid0(SALU_CYCLE_1)
	s_mov_b32 s34, exec_lo
	v_cmpx_lt_u32_e64 v120, v147
	s_cbranch_execnz .LBB608_1103
.LBB608_1134:                           ;   in Loop: Header=BB608_982 Depth=2
	s_or_b32 exec_lo, exec_lo, s34
	s_delay_alu instid0(SALU_CYCLE_1)
	s_mov_b32 s34, exec_lo
	v_cmpx_lt_u32_e64 v121, v147
	s_cbranch_execz .LBB608_1104
.LBB608_1135:                           ;   in Loop: Header=BB608_982 Depth=2
	global_load_b64 v[12:13], v[36:37], off offset:2816
	s_or_b32 exec_lo, exec_lo, s34
	s_delay_alu instid0(SALU_CYCLE_1)
	s_mov_b32 s34, exec_lo
	v_cmpx_lt_u32_e64 v122, v147
	s_cbranch_execnz .LBB608_1105
.LBB608_1136:                           ;   in Loop: Header=BB608_982 Depth=2
	s_or_b32 exec_lo, exec_lo, s34
	s_delay_alu instid0(SALU_CYCLE_1)
	s_mov_b32 s34, exec_lo
	v_cmpx_lt_u32_e64 v123, v147
	s_cbranch_execz .LBB608_1106
.LBB608_1137:                           ;   in Loop: Header=BB608_982 Depth=2
	global_load_b64 v[8:9], v[36:37], off offset:3328
	s_or_b32 exec_lo, exec_lo, s34
	s_delay_alu instid0(SALU_CYCLE_1)
	s_mov_b32 s34, exec_lo
	v_cmpx_lt_u32_e64 v124, v147
	s_cbranch_execnz .LBB608_1107
.LBB608_1138:                           ;   in Loop: Header=BB608_982 Depth=2
	s_or_b32 exec_lo, exec_lo, s34
	s_delay_alu instid0(SALU_CYCLE_1)
	s_mov_b32 s34, exec_lo
	v_cmpx_lt_u32_e64 v125, v147
	s_cbranch_execz .LBB608_1108
.LBB608_1139:                           ;   in Loop: Header=BB608_982 Depth=2
	global_load_b64 v[4:5], v[36:37], off offset:3840
	s_or_b32 exec_lo, exec_lo, s34
	s_and_saveexec_b32 s33, vcc_lo
	s_cbranch_execnz .LBB608_1109
.LBB608_1140:                           ;   in Loop: Header=BB608_982 Depth=2
	s_or_b32 exec_lo, exec_lo, s33
	s_and_saveexec_b32 s33, s16
	s_cbranch_execz .LBB608_1110
.LBB608_1141:                           ;   in Loop: Header=BB608_982 Depth=2
	ds_load_b32 v2, v78 offset:1024
	s_waitcnt lgkmcnt(0)
	v_lshrrev_b32_e32 v2, s57, v2
	s_delay_alu instid0(VALU_DEP_1)
	v_and_b32_e32 v145, s39, v2
	s_or_b32 exec_lo, exec_lo, s33
	s_and_saveexec_b32 s33, s17
	s_cbranch_execnz .LBB608_1111
.LBB608_1142:                           ;   in Loop: Header=BB608_982 Depth=2
	s_or_b32 exec_lo, exec_lo, s33
	s_and_saveexec_b32 s33, s18
	s_cbranch_execz .LBB608_1112
.LBB608_1143:                           ;   in Loop: Header=BB608_982 Depth=2
	ds_load_b32 v2, v78 offset:3072
	s_waitcnt lgkmcnt(0)
	v_lshrrev_b32_e32 v2, s57, v2
	s_delay_alu instid0(VALU_DEP_1)
	v_and_b32_e32 v143, s39, v2
	s_or_b32 exec_lo, exec_lo, s33
	s_and_saveexec_b32 s33, s19
	s_cbranch_execnz .LBB608_1113
.LBB608_1144:                           ;   in Loop: Header=BB608_982 Depth=2
	s_or_b32 exec_lo, exec_lo, s33
	s_and_saveexec_b32 s33, s20
	s_cbranch_execz .LBB608_1114
.LBB608_1145:                           ;   in Loop: Header=BB608_982 Depth=2
	ds_load_b32 v2, v78 offset:5120
	s_waitcnt lgkmcnt(0)
	v_lshrrev_b32_e32 v2, s57, v2
	s_delay_alu instid0(VALU_DEP_1)
	v_and_b32_e32 v141, s39, v2
	s_or_b32 exec_lo, exec_lo, s33
	s_and_saveexec_b32 s33, s21
	s_cbranch_execnz .LBB608_1115
.LBB608_1146:                           ;   in Loop: Header=BB608_982 Depth=2
	s_or_b32 exec_lo, exec_lo, s33
	s_and_saveexec_b32 s33, s22
	s_cbranch_execz .LBB608_1116
.LBB608_1147:                           ;   in Loop: Header=BB608_982 Depth=2
	ds_load_b32 v2, v78 offset:7168
	s_waitcnt lgkmcnt(0)
	v_lshrrev_b32_e32 v2, s57, v2
	s_delay_alu instid0(VALU_DEP_1)
	v_and_b32_e32 v139, s39, v2
	s_or_b32 exec_lo, exec_lo, s33
	s_and_saveexec_b32 s33, s23
	s_cbranch_execnz .LBB608_1117
.LBB608_1148:                           ;   in Loop: Header=BB608_982 Depth=2
	s_or_b32 exec_lo, exec_lo, s33
	s_and_saveexec_b32 s33, s24
	s_cbranch_execz .LBB608_1118
.LBB608_1149:                           ;   in Loop: Header=BB608_982 Depth=2
	ds_load_b32 v2, v78 offset:9216
	s_waitcnt lgkmcnt(0)
	v_lshrrev_b32_e32 v2, s57, v2
	s_delay_alu instid0(VALU_DEP_1)
	v_and_b32_e32 v137, s39, v2
	s_or_b32 exec_lo, exec_lo, s33
	s_and_saveexec_b32 s33, s25
	s_cbranch_execnz .LBB608_1119
.LBB608_1150:                           ;   in Loop: Header=BB608_982 Depth=2
	s_or_b32 exec_lo, exec_lo, s33
	s_and_saveexec_b32 s33, s27
	s_cbranch_execz .LBB608_1120
.LBB608_1151:                           ;   in Loop: Header=BB608_982 Depth=2
	ds_load_b32 v2, v78 offset:11264
	s_waitcnt lgkmcnt(0)
	v_lshrrev_b32_e32 v2, s57, v2
	s_delay_alu instid0(VALU_DEP_1)
	v_and_b32_e32 v135, s39, v2
	s_or_b32 exec_lo, exec_lo, s33
	s_and_saveexec_b32 s33, s28
	s_cbranch_execnz .LBB608_1121
.LBB608_1152:                           ;   in Loop: Header=BB608_982 Depth=2
	s_or_b32 exec_lo, exec_lo, s33
	s_and_saveexec_b32 s33, s29
	s_cbranch_execz .LBB608_1122
.LBB608_1153:                           ;   in Loop: Header=BB608_982 Depth=2
	ds_load_b32 v2, v78 offset:13312
	s_waitcnt lgkmcnt(0)
	v_lshrrev_b32_e32 v2, s57, v2
	s_delay_alu instid0(VALU_DEP_1)
	v_and_b32_e32 v133, s39, v2
	s_or_b32 exec_lo, exec_lo, s33
	s_and_saveexec_b32 s33, s30
	s_cbranch_execnz .LBB608_1123
.LBB608_1154:                           ;   in Loop: Header=BB608_982 Depth=2
	s_or_b32 exec_lo, exec_lo, s33
	s_and_saveexec_b32 s33, s31
	s_cbranch_execz .LBB608_1156
.LBB608_1155:                           ;   in Loop: Header=BB608_982 Depth=2
	ds_load_b32 v2, v78 offset:15360
	s_waitcnt lgkmcnt(0)
	v_lshrrev_b32_e32 v2, s57, v2
	s_delay_alu instid0(VALU_DEP_1)
	v_and_b32_e32 v131, s39, v2
.LBB608_1156:                           ;   in Loop: Header=BB608_982 Depth=2
	s_or_b32 exec_lo, exec_lo, s33
	v_lshlrev_b32_e32 v2, 3, v170
	v_lshlrev_b32_e32 v36, 3, v166
	s_waitcnt vmcnt(0)
	s_waitcnt_vscnt null, 0x0
	s_barrier
	buffer_gl0_inv
	ds_store_b64 v2, v[34:35] offset:1024
	v_lshlrev_b32_e32 v2, 3, v162
	v_lshlrev_b32_e32 v37, 3, v158
	;; [unrolled: 1-line block ×4, first 2 shown]
	ds_store_b64 v36, v[32:33] offset:1024
	ds_store_b64 v2, v[30:31] offset:1024
	ds_store_b64 v37, v[28:29] offset:1024
	ds_store_b64 v147, v[26:27] offset:1024
	ds_store_b64 v148, v[24:25] offset:1024
	v_lshlrev_b32_e32 v2, 3, v154
	v_lshlrev_b32_e32 v36, 3, v153
	v_lshlrev_b32_e32 v37, 3, v152
	v_lshlrev_b32_e32 v147, 3, v150
	v_lshlrev_b32_e32 v148, 3, v149
	ds_store_b64 v2, v[22:23] offset:1024
	ds_store_b64 v36, v[20:21] offset:1024
	;; [unrolled: 1-line block ×5, first 2 shown]
	v_lshlrev_b32_e32 v2, 3, v40
	v_lshlrev_b32_e32 v36, 3, v39
	;; [unrolled: 1-line block ×5, first 2 shown]
	ds_store_b64 v2, v[12:13] offset:1024
	ds_store_b64 v36, v[10:11] offset:1024
	;; [unrolled: 1-line block ×5, first 2 shown]
	s_waitcnt lgkmcnt(0)
	s_barrier
	buffer_gl0_inv
	s_and_saveexec_b32 s33, vcc_lo
	s_cbranch_execz .LBB608_1172
; %bb.1157:                             ;   in Loop: Header=BB608_982 Depth=2
	v_lshlrev_b32_e32 v2, 2, v146
	ds_load_b32 v2, v2
	ds_load_b64 v[36:37], v79 offset:1024
	s_waitcnt lgkmcnt(1)
	v_add_nc_u32_e32 v2, v2, v1
	s_delay_alu instid0(VALU_DEP_1) | instskip(NEXT) | instid1(VALU_DEP_1)
	v_lshlrev_b64 v[39:40], 3, v[2:3]
	v_add_co_u32 v39, vcc_lo, s54, v39
	s_delay_alu instid0(VALU_DEP_2)
	v_add_co_ci_u32_e32 v40, vcc_lo, s55, v40, vcc_lo
	s_waitcnt lgkmcnt(0)
	global_store_b64 v[39:40], v[36:37], off
	s_or_b32 exec_lo, exec_lo, s33
	v_add_nc_u32_e32 v36, v78, v44
	s_and_saveexec_b32 s33, s16
	s_cbranch_execnz .LBB608_1173
.LBB608_1158:                           ;   in Loop: Header=BB608_982 Depth=2
	s_or_b32 exec_lo, exec_lo, s33
	s_and_saveexec_b32 s16, s17
	s_cbranch_execz .LBB608_1174
.LBB608_1159:                           ;   in Loop: Header=BB608_982 Depth=2
	v_lshlrev_b32_e32 v2, 2, v144
	ds_load_b32 v2, v2
	ds_load_b64 v[39:40], v36 offset:4096
	s_waitcnt lgkmcnt(1)
	v_add_nc_u32_e32 v2, v2, v46
	s_delay_alu instid0(VALU_DEP_1) | instskip(NEXT) | instid1(VALU_DEP_1)
	v_lshlrev_b64 v[41:42], 3, v[2:3]
	v_add_co_u32 v41, vcc_lo, s54, v41
	s_delay_alu instid0(VALU_DEP_2)
	v_add_co_ci_u32_e32 v42, vcc_lo, s55, v42, vcc_lo
	s_waitcnt lgkmcnt(0)
	global_store_b64 v[41:42], v[39:40], off
	s_or_b32 exec_lo, exec_lo, s16
	s_and_saveexec_b32 s16, s18
	s_cbranch_execnz .LBB608_1175
.LBB608_1160:                           ;   in Loop: Header=BB608_982 Depth=2
	s_or_b32 exec_lo, exec_lo, s16
	s_and_saveexec_b32 s16, s19
	s_cbranch_execz .LBB608_1176
.LBB608_1161:                           ;   in Loop: Header=BB608_982 Depth=2
	v_lshlrev_b32_e32 v2, 2, v142
	ds_load_b32 v2, v2
	ds_load_b64 v[39:40], v36 offset:8192
	s_waitcnt lgkmcnt(1)
	v_add_nc_u32_e32 v2, v2, v51
	s_delay_alu instid0(VALU_DEP_1) | instskip(NEXT) | instid1(VALU_DEP_1)
	v_lshlrev_b64 v[41:42], 3, v[2:3]
	v_add_co_u32 v41, vcc_lo, s54, v41
	s_delay_alu instid0(VALU_DEP_2)
	v_add_co_ci_u32_e32 v42, vcc_lo, s55, v42, vcc_lo
	s_waitcnt lgkmcnt(0)
	global_store_b64 v[41:42], v[39:40], off
	s_or_b32 exec_lo, exec_lo, s16
	s_and_saveexec_b32 s16, s20
	s_cbranch_execnz .LBB608_1177
.LBB608_1162:                           ;   in Loop: Header=BB608_982 Depth=2
	s_or_b32 exec_lo, exec_lo, s16
	s_and_saveexec_b32 s16, s21
	s_cbranch_execz .LBB608_1178
.LBB608_1163:                           ;   in Loop: Header=BB608_982 Depth=2
	v_lshlrev_b32_e32 v2, 2, v140
	ds_load_b32 v2, v2
	ds_load_b64 v[39:40], v36 offset:12288
	s_waitcnt lgkmcnt(1)
	v_add_nc_u32_e32 v2, v2, v53
	s_delay_alu instid0(VALU_DEP_1) | instskip(NEXT) | instid1(VALU_DEP_1)
	v_lshlrev_b64 v[41:42], 3, v[2:3]
	v_add_co_u32 v41, vcc_lo, s54, v41
	s_delay_alu instid0(VALU_DEP_2)
	v_add_co_ci_u32_e32 v42, vcc_lo, s55, v42, vcc_lo
	s_waitcnt lgkmcnt(0)
	global_store_b64 v[41:42], v[39:40], off
	s_or_b32 exec_lo, exec_lo, s16
	s_and_saveexec_b32 s16, s22
	s_cbranch_execnz .LBB608_1179
.LBB608_1164:                           ;   in Loop: Header=BB608_982 Depth=2
	s_or_b32 exec_lo, exec_lo, s16
	s_and_saveexec_b32 s16, s23
	s_cbranch_execz .LBB608_1180
.LBB608_1165:                           ;   in Loop: Header=BB608_982 Depth=2
	v_lshlrev_b32_e32 v2, 2, v138
	ds_load_b32 v2, v2
	ds_load_b64 v[39:40], v36 offset:16384
	s_waitcnt lgkmcnt(1)
	v_add_nc_u32_e32 v2, v2, v55
	s_delay_alu instid0(VALU_DEP_1) | instskip(NEXT) | instid1(VALU_DEP_1)
	v_lshlrev_b64 v[41:42], 3, v[2:3]
	v_add_co_u32 v41, vcc_lo, s54, v41
	s_delay_alu instid0(VALU_DEP_2)
	v_add_co_ci_u32_e32 v42, vcc_lo, s55, v42, vcc_lo
	s_waitcnt lgkmcnt(0)
	global_store_b64 v[41:42], v[39:40], off
	s_or_b32 exec_lo, exec_lo, s16
	s_and_saveexec_b32 s16, s24
	s_cbranch_execnz .LBB608_1181
.LBB608_1166:                           ;   in Loop: Header=BB608_982 Depth=2
	s_or_b32 exec_lo, exec_lo, s16
	s_and_saveexec_b32 s16, s25
	s_cbranch_execz .LBB608_1182
.LBB608_1167:                           ;   in Loop: Header=BB608_982 Depth=2
	v_lshlrev_b32_e32 v2, 2, v136
	ds_load_b32 v2, v2
	ds_load_b64 v[39:40], v36 offset:20480
	s_waitcnt lgkmcnt(1)
	v_add_nc_u32_e32 v2, v2, v57
	s_delay_alu instid0(VALU_DEP_1) | instskip(NEXT) | instid1(VALU_DEP_1)
	v_lshlrev_b64 v[41:42], 3, v[2:3]
	v_add_co_u32 v41, vcc_lo, s54, v41
	s_delay_alu instid0(VALU_DEP_2)
	v_add_co_ci_u32_e32 v42, vcc_lo, s55, v42, vcc_lo
	s_waitcnt lgkmcnt(0)
	global_store_b64 v[41:42], v[39:40], off
	s_or_b32 exec_lo, exec_lo, s16
	s_and_saveexec_b32 s16, s27
	s_cbranch_execnz .LBB608_1183
.LBB608_1168:                           ;   in Loop: Header=BB608_982 Depth=2
	s_or_b32 exec_lo, exec_lo, s16
	s_and_saveexec_b32 s16, s28
	s_cbranch_execz .LBB608_1184
.LBB608_1169:                           ;   in Loop: Header=BB608_982 Depth=2
	v_lshlrev_b32_e32 v2, 2, v134
	ds_load_b32 v2, v2
	ds_load_b64 v[39:40], v36 offset:24576
	s_waitcnt lgkmcnt(1)
	v_add_nc_u32_e32 v2, v2, v59
	s_delay_alu instid0(VALU_DEP_1) | instskip(NEXT) | instid1(VALU_DEP_1)
	v_lshlrev_b64 v[41:42], 3, v[2:3]
	v_add_co_u32 v41, vcc_lo, s54, v41
	s_delay_alu instid0(VALU_DEP_2)
	v_add_co_ci_u32_e32 v42, vcc_lo, s55, v42, vcc_lo
	s_waitcnt lgkmcnt(0)
	global_store_b64 v[41:42], v[39:40], off
	s_or_b32 exec_lo, exec_lo, s16
	s_and_saveexec_b32 s16, s29
	s_cbranch_execnz .LBB608_1185
.LBB608_1170:                           ;   in Loop: Header=BB608_982 Depth=2
	s_or_b32 exec_lo, exec_lo, s16
	s_and_saveexec_b32 s16, s30
	s_cbranch_execz .LBB608_1186
.LBB608_1171:                           ;   in Loop: Header=BB608_982 Depth=2
	v_lshlrev_b32_e32 v2, 2, v132
	ds_load_b32 v2, v2
	ds_load_b64 v[39:40], v36 offset:28672
	s_waitcnt lgkmcnt(1)
	v_add_nc_u32_e32 v2, v2, v61
	s_delay_alu instid0(VALU_DEP_1) | instskip(NEXT) | instid1(VALU_DEP_1)
	v_lshlrev_b64 v[41:42], 3, v[2:3]
	v_add_co_u32 v41, vcc_lo, s54, v41
	s_delay_alu instid0(VALU_DEP_2)
	v_add_co_ci_u32_e32 v42, vcc_lo, s55, v42, vcc_lo
	s_waitcnt lgkmcnt(0)
	global_store_b64 v[41:42], v[39:40], off
	s_or_b32 exec_lo, exec_lo, s16
	s_and_saveexec_b32 s16, s31
	s_cbranch_execnz .LBB608_1187
	s_branch .LBB608_1188
.LBB608_1172:                           ;   in Loop: Header=BB608_982 Depth=2
	s_or_b32 exec_lo, exec_lo, s33
	v_add_nc_u32_e32 v36, v78, v44
	s_and_saveexec_b32 s33, s16
	s_cbranch_execz .LBB608_1158
.LBB608_1173:                           ;   in Loop: Header=BB608_982 Depth=2
	v_lshlrev_b32_e32 v2, 2, v145
	ds_load_b32 v2, v2
	ds_load_b64 v[39:40], v36 offset:2048
	s_waitcnt lgkmcnt(1)
	v_add_nc_u32_e32 v2, v2, v45
	s_delay_alu instid0(VALU_DEP_1) | instskip(NEXT) | instid1(VALU_DEP_1)
	v_lshlrev_b64 v[41:42], 3, v[2:3]
	v_add_co_u32 v41, vcc_lo, s54, v41
	s_delay_alu instid0(VALU_DEP_2)
	v_add_co_ci_u32_e32 v42, vcc_lo, s55, v42, vcc_lo
	s_waitcnt lgkmcnt(0)
	global_store_b64 v[41:42], v[39:40], off
	s_or_b32 exec_lo, exec_lo, s33
	s_and_saveexec_b32 s16, s17
	s_cbranch_execnz .LBB608_1159
.LBB608_1174:                           ;   in Loop: Header=BB608_982 Depth=2
	s_or_b32 exec_lo, exec_lo, s16
	s_and_saveexec_b32 s16, s18
	s_cbranch_execz .LBB608_1160
.LBB608_1175:                           ;   in Loop: Header=BB608_982 Depth=2
	v_lshlrev_b32_e32 v2, 2, v143
	ds_load_b32 v2, v2
	ds_load_b64 v[39:40], v36 offset:6144
	s_waitcnt lgkmcnt(1)
	v_add_nc_u32_e32 v2, v2, v47
	s_delay_alu instid0(VALU_DEP_1) | instskip(NEXT) | instid1(VALU_DEP_1)
	v_lshlrev_b64 v[41:42], 3, v[2:3]
	v_add_co_u32 v41, vcc_lo, s54, v41
	s_delay_alu instid0(VALU_DEP_2)
	v_add_co_ci_u32_e32 v42, vcc_lo, s55, v42, vcc_lo
	s_waitcnt lgkmcnt(0)
	global_store_b64 v[41:42], v[39:40], off
	s_or_b32 exec_lo, exec_lo, s16
	s_and_saveexec_b32 s16, s19
	s_cbranch_execnz .LBB608_1161
.LBB608_1176:                           ;   in Loop: Header=BB608_982 Depth=2
	s_or_b32 exec_lo, exec_lo, s16
	s_and_saveexec_b32 s16, s20
	s_cbranch_execz .LBB608_1162
.LBB608_1177:                           ;   in Loop: Header=BB608_982 Depth=2
	v_lshlrev_b32_e32 v2, 2, v141
	ds_load_b32 v2, v2
	ds_load_b64 v[39:40], v36 offset:10240
	s_waitcnt lgkmcnt(1)
	v_add_nc_u32_e32 v2, v2, v52
	s_delay_alu instid0(VALU_DEP_1) | instskip(NEXT) | instid1(VALU_DEP_1)
	v_lshlrev_b64 v[41:42], 3, v[2:3]
	v_add_co_u32 v41, vcc_lo, s54, v41
	s_delay_alu instid0(VALU_DEP_2)
	v_add_co_ci_u32_e32 v42, vcc_lo, s55, v42, vcc_lo
	s_waitcnt lgkmcnt(0)
	global_store_b64 v[41:42], v[39:40], off
	s_or_b32 exec_lo, exec_lo, s16
	s_and_saveexec_b32 s16, s21
	s_cbranch_execnz .LBB608_1163
.LBB608_1178:                           ;   in Loop: Header=BB608_982 Depth=2
	s_or_b32 exec_lo, exec_lo, s16
	s_and_saveexec_b32 s16, s22
	s_cbranch_execz .LBB608_1164
.LBB608_1179:                           ;   in Loop: Header=BB608_982 Depth=2
	v_lshlrev_b32_e32 v2, 2, v139
	ds_load_b32 v2, v2
	ds_load_b64 v[39:40], v36 offset:14336
	s_waitcnt lgkmcnt(1)
	v_add_nc_u32_e32 v2, v2, v54
	s_delay_alu instid0(VALU_DEP_1) | instskip(NEXT) | instid1(VALU_DEP_1)
	v_lshlrev_b64 v[41:42], 3, v[2:3]
	v_add_co_u32 v41, vcc_lo, s54, v41
	s_delay_alu instid0(VALU_DEP_2)
	v_add_co_ci_u32_e32 v42, vcc_lo, s55, v42, vcc_lo
	s_waitcnt lgkmcnt(0)
	global_store_b64 v[41:42], v[39:40], off
	s_or_b32 exec_lo, exec_lo, s16
	s_and_saveexec_b32 s16, s23
	s_cbranch_execnz .LBB608_1165
.LBB608_1180:                           ;   in Loop: Header=BB608_982 Depth=2
	s_or_b32 exec_lo, exec_lo, s16
	s_and_saveexec_b32 s16, s24
	s_cbranch_execz .LBB608_1166
.LBB608_1181:                           ;   in Loop: Header=BB608_982 Depth=2
	v_lshlrev_b32_e32 v2, 2, v137
	ds_load_b32 v2, v2
	ds_load_b64 v[39:40], v36 offset:18432
	s_waitcnt lgkmcnt(1)
	v_add_nc_u32_e32 v2, v2, v56
	s_delay_alu instid0(VALU_DEP_1) | instskip(NEXT) | instid1(VALU_DEP_1)
	v_lshlrev_b64 v[41:42], 3, v[2:3]
	v_add_co_u32 v41, vcc_lo, s54, v41
	s_delay_alu instid0(VALU_DEP_2)
	v_add_co_ci_u32_e32 v42, vcc_lo, s55, v42, vcc_lo
	s_waitcnt lgkmcnt(0)
	global_store_b64 v[41:42], v[39:40], off
	s_or_b32 exec_lo, exec_lo, s16
	s_and_saveexec_b32 s16, s25
	s_cbranch_execnz .LBB608_1167
.LBB608_1182:                           ;   in Loop: Header=BB608_982 Depth=2
	s_or_b32 exec_lo, exec_lo, s16
	s_and_saveexec_b32 s16, s27
	s_cbranch_execz .LBB608_1168
.LBB608_1183:                           ;   in Loop: Header=BB608_982 Depth=2
	v_lshlrev_b32_e32 v2, 2, v135
	ds_load_b32 v2, v2
	ds_load_b64 v[39:40], v36 offset:22528
	s_waitcnt lgkmcnt(1)
	v_add_nc_u32_e32 v2, v2, v58
	s_delay_alu instid0(VALU_DEP_1) | instskip(NEXT) | instid1(VALU_DEP_1)
	v_lshlrev_b64 v[41:42], 3, v[2:3]
	v_add_co_u32 v41, vcc_lo, s54, v41
	s_delay_alu instid0(VALU_DEP_2)
	v_add_co_ci_u32_e32 v42, vcc_lo, s55, v42, vcc_lo
	s_waitcnt lgkmcnt(0)
	global_store_b64 v[41:42], v[39:40], off
	s_or_b32 exec_lo, exec_lo, s16
	s_and_saveexec_b32 s16, s28
	s_cbranch_execnz .LBB608_1169
.LBB608_1184:                           ;   in Loop: Header=BB608_982 Depth=2
	s_or_b32 exec_lo, exec_lo, s16
	s_and_saveexec_b32 s16, s29
	s_cbranch_execz .LBB608_1170
.LBB608_1185:                           ;   in Loop: Header=BB608_982 Depth=2
	v_lshlrev_b32_e32 v2, 2, v133
	ds_load_b32 v2, v2
	ds_load_b64 v[39:40], v36 offset:26624
	s_waitcnt lgkmcnt(1)
	v_add_nc_u32_e32 v2, v2, v60
	s_delay_alu instid0(VALU_DEP_1) | instskip(NEXT) | instid1(VALU_DEP_1)
	v_lshlrev_b64 v[41:42], 3, v[2:3]
	v_add_co_u32 v41, vcc_lo, s54, v41
	s_delay_alu instid0(VALU_DEP_2)
	v_add_co_ci_u32_e32 v42, vcc_lo, s55, v42, vcc_lo
	s_waitcnt lgkmcnt(0)
	global_store_b64 v[41:42], v[39:40], off
	s_or_b32 exec_lo, exec_lo, s16
	s_and_saveexec_b32 s16, s30
	s_cbranch_execnz .LBB608_1171
.LBB608_1186:                           ;   in Loop: Header=BB608_982 Depth=2
	s_or_b32 exec_lo, exec_lo, s16
	s_and_saveexec_b32 s16, s31
	s_cbranch_execz .LBB608_1188
.LBB608_1187:                           ;   in Loop: Header=BB608_982 Depth=2
	v_lshlrev_b32_e32 v2, 2, v131
	ds_load_b32 v2, v2
	ds_load_b64 v[36:37], v36 offset:30720
	s_waitcnt lgkmcnt(1)
	v_add_nc_u32_e32 v2, v2, v63
	s_delay_alu instid0(VALU_DEP_1) | instskip(NEXT) | instid1(VALU_DEP_1)
	v_lshlrev_b64 v[39:40], 3, v[2:3]
	v_add_co_u32 v39, vcc_lo, s54, v39
	s_delay_alu instid0(VALU_DEP_2)
	v_add_co_ci_u32_e32 v40, vcc_lo, s55, v40, vcc_lo
	s_waitcnt lgkmcnt(0)
	global_store_b64 v[39:40], v[36:37], off
.LBB608_1188:                           ;   in Loop: Header=BB608_982 Depth=2
	s_or_b32 exec_lo, exec_lo, s16
	s_waitcnt_vscnt null, 0x0
	s_barrier
	buffer_gl0_inv
	s_and_saveexec_b32 s16, s2
	s_cbranch_execz .LBB608_981
; %bb.1189:                             ;   in Loop: Header=BB608_982 Depth=2
	ds_load_b32 v2, v44
	s_waitcnt lgkmcnt(0)
	v_add_nc_u32_e32 v2, v2, v38
	ds_store_b32 v44, v2
	s_branch .LBB608_981
.LBB608_1190:
	s_endpgm
	.section	.rodata,"a",@progbits
	.p2align	6, 0x0
	.amdhsa_kernel _ZN7rocprim17ROCPRIM_400000_NS6detail17trampoline_kernelINS0_14default_configENS1_36segmented_radix_sort_config_selectorIilEEZNS1_25segmented_radix_sort_implIS3_Lb0EPKiPiPKlPlN2at6native12_GLOBAL__N_18offset_tEEE10hipError_tPvRmT1_PNSt15iterator_traitsISK_E10value_typeET2_T3_PNSL_ISQ_E10value_typeET4_jRbjT5_SW_jjP12ihipStream_tbEUlT_E_NS1_11comp_targetILNS1_3genE9ELNS1_11target_archE1100ELNS1_3gpuE3ELNS1_3repE0EEENS1_30default_config_static_selectorELNS0_4arch9wavefront6targetE0EEEvSK_
		.amdhsa_group_segment_fixed_size 33824
		.amdhsa_private_segment_fixed_size 352
		.amdhsa_kernarg_size 352
		.amdhsa_user_sgpr_count 14
		.amdhsa_user_sgpr_dispatch_ptr 0
		.amdhsa_user_sgpr_queue_ptr 0
		.amdhsa_user_sgpr_kernarg_segment_ptr 1
		.amdhsa_user_sgpr_dispatch_id 0
		.amdhsa_user_sgpr_private_segment_size 0
		.amdhsa_wavefront_size32 1
		.amdhsa_uses_dynamic_stack 0
		.amdhsa_enable_private_segment 1
		.amdhsa_system_sgpr_workgroup_id_x 1
		.amdhsa_system_sgpr_workgroup_id_y 1
		.amdhsa_system_sgpr_workgroup_id_z 0
		.amdhsa_system_sgpr_workgroup_info 0
		.amdhsa_system_vgpr_workitem_id 2
		.amdhsa_next_free_vgpr 248
		.amdhsa_next_free_sgpr 63
		.amdhsa_reserve_vcc 1
		.amdhsa_float_round_mode_32 0
		.amdhsa_float_round_mode_16_64 0
		.amdhsa_float_denorm_mode_32 3
		.amdhsa_float_denorm_mode_16_64 3
		.amdhsa_dx10_clamp 1
		.amdhsa_ieee_mode 1
		.amdhsa_fp16_overflow 0
		.amdhsa_workgroup_processor_mode 1
		.amdhsa_memory_ordered 1
		.amdhsa_forward_progress 0
		.amdhsa_shared_vgpr_count 0
		.amdhsa_exception_fp_ieee_invalid_op 0
		.amdhsa_exception_fp_denorm_src 0
		.amdhsa_exception_fp_ieee_div_zero 0
		.amdhsa_exception_fp_ieee_overflow 0
		.amdhsa_exception_fp_ieee_underflow 0
		.amdhsa_exception_fp_ieee_inexact 0
		.amdhsa_exception_int_div_zero 0
	.end_amdhsa_kernel
	.section	.text._ZN7rocprim17ROCPRIM_400000_NS6detail17trampoline_kernelINS0_14default_configENS1_36segmented_radix_sort_config_selectorIilEEZNS1_25segmented_radix_sort_implIS3_Lb0EPKiPiPKlPlN2at6native12_GLOBAL__N_18offset_tEEE10hipError_tPvRmT1_PNSt15iterator_traitsISK_E10value_typeET2_T3_PNSL_ISQ_E10value_typeET4_jRbjT5_SW_jjP12ihipStream_tbEUlT_E_NS1_11comp_targetILNS1_3genE9ELNS1_11target_archE1100ELNS1_3gpuE3ELNS1_3repE0EEENS1_30default_config_static_selectorELNS0_4arch9wavefront6targetE0EEEvSK_,"axG",@progbits,_ZN7rocprim17ROCPRIM_400000_NS6detail17trampoline_kernelINS0_14default_configENS1_36segmented_radix_sort_config_selectorIilEEZNS1_25segmented_radix_sort_implIS3_Lb0EPKiPiPKlPlN2at6native12_GLOBAL__N_18offset_tEEE10hipError_tPvRmT1_PNSt15iterator_traitsISK_E10value_typeET2_T3_PNSL_ISQ_E10value_typeET4_jRbjT5_SW_jjP12ihipStream_tbEUlT_E_NS1_11comp_targetILNS1_3genE9ELNS1_11target_archE1100ELNS1_3gpuE3ELNS1_3repE0EEENS1_30default_config_static_selectorELNS0_4arch9wavefront6targetE0EEEvSK_,comdat
.Lfunc_end608:
	.size	_ZN7rocprim17ROCPRIM_400000_NS6detail17trampoline_kernelINS0_14default_configENS1_36segmented_radix_sort_config_selectorIilEEZNS1_25segmented_radix_sort_implIS3_Lb0EPKiPiPKlPlN2at6native12_GLOBAL__N_18offset_tEEE10hipError_tPvRmT1_PNSt15iterator_traitsISK_E10value_typeET2_T3_PNSL_ISQ_E10value_typeET4_jRbjT5_SW_jjP12ihipStream_tbEUlT_E_NS1_11comp_targetILNS1_3genE9ELNS1_11target_archE1100ELNS1_3gpuE3ELNS1_3repE0EEENS1_30default_config_static_selectorELNS0_4arch9wavefront6targetE0EEEvSK_, .Lfunc_end608-_ZN7rocprim17ROCPRIM_400000_NS6detail17trampoline_kernelINS0_14default_configENS1_36segmented_radix_sort_config_selectorIilEEZNS1_25segmented_radix_sort_implIS3_Lb0EPKiPiPKlPlN2at6native12_GLOBAL__N_18offset_tEEE10hipError_tPvRmT1_PNSt15iterator_traitsISK_E10value_typeET2_T3_PNSL_ISQ_E10value_typeET4_jRbjT5_SW_jjP12ihipStream_tbEUlT_E_NS1_11comp_targetILNS1_3genE9ELNS1_11target_archE1100ELNS1_3gpuE3ELNS1_3repE0EEENS1_30default_config_static_selectorELNS0_4arch9wavefront6targetE0EEEvSK_
                                        ; -- End function
	.section	.AMDGPU.csdata,"",@progbits
; Kernel info:
; codeLenInByte = 68028
; NumSgprs: 65
; NumVgprs: 248
; ScratchSize: 352
; MemoryBound: 0
; FloatMode: 240
; IeeeMode: 1
; LDSByteSize: 33824 bytes/workgroup (compile time only)
; SGPRBlocks: 8
; VGPRBlocks: 30
; NumSGPRsForWavesPerEU: 65
; NumVGPRsForWavesPerEU: 248
; Occupancy: 5
; WaveLimiterHint : 1
; COMPUTE_PGM_RSRC2:SCRATCH_EN: 1
; COMPUTE_PGM_RSRC2:USER_SGPR: 14
; COMPUTE_PGM_RSRC2:TRAP_HANDLER: 0
; COMPUTE_PGM_RSRC2:TGID_X_EN: 1
; COMPUTE_PGM_RSRC2:TGID_Y_EN: 1
; COMPUTE_PGM_RSRC2:TGID_Z_EN: 0
; COMPUTE_PGM_RSRC2:TIDIG_COMP_CNT: 2
	.section	.text._ZN7rocprim17ROCPRIM_400000_NS6detail17trampoline_kernelINS0_14default_configENS1_36segmented_radix_sort_config_selectorIilEEZNS1_25segmented_radix_sort_implIS3_Lb0EPKiPiPKlPlN2at6native12_GLOBAL__N_18offset_tEEE10hipError_tPvRmT1_PNSt15iterator_traitsISK_E10value_typeET2_T3_PNSL_ISQ_E10value_typeET4_jRbjT5_SW_jjP12ihipStream_tbEUlT_E_NS1_11comp_targetILNS1_3genE8ELNS1_11target_archE1030ELNS1_3gpuE2ELNS1_3repE0EEENS1_30default_config_static_selectorELNS0_4arch9wavefront6targetE0EEEvSK_,"axG",@progbits,_ZN7rocprim17ROCPRIM_400000_NS6detail17trampoline_kernelINS0_14default_configENS1_36segmented_radix_sort_config_selectorIilEEZNS1_25segmented_radix_sort_implIS3_Lb0EPKiPiPKlPlN2at6native12_GLOBAL__N_18offset_tEEE10hipError_tPvRmT1_PNSt15iterator_traitsISK_E10value_typeET2_T3_PNSL_ISQ_E10value_typeET4_jRbjT5_SW_jjP12ihipStream_tbEUlT_E_NS1_11comp_targetILNS1_3genE8ELNS1_11target_archE1030ELNS1_3gpuE2ELNS1_3repE0EEENS1_30default_config_static_selectorELNS0_4arch9wavefront6targetE0EEEvSK_,comdat
	.globl	_ZN7rocprim17ROCPRIM_400000_NS6detail17trampoline_kernelINS0_14default_configENS1_36segmented_radix_sort_config_selectorIilEEZNS1_25segmented_radix_sort_implIS3_Lb0EPKiPiPKlPlN2at6native12_GLOBAL__N_18offset_tEEE10hipError_tPvRmT1_PNSt15iterator_traitsISK_E10value_typeET2_T3_PNSL_ISQ_E10value_typeET4_jRbjT5_SW_jjP12ihipStream_tbEUlT_E_NS1_11comp_targetILNS1_3genE8ELNS1_11target_archE1030ELNS1_3gpuE2ELNS1_3repE0EEENS1_30default_config_static_selectorELNS0_4arch9wavefront6targetE0EEEvSK_ ; -- Begin function _ZN7rocprim17ROCPRIM_400000_NS6detail17trampoline_kernelINS0_14default_configENS1_36segmented_radix_sort_config_selectorIilEEZNS1_25segmented_radix_sort_implIS3_Lb0EPKiPiPKlPlN2at6native12_GLOBAL__N_18offset_tEEE10hipError_tPvRmT1_PNSt15iterator_traitsISK_E10value_typeET2_T3_PNSL_ISQ_E10value_typeET4_jRbjT5_SW_jjP12ihipStream_tbEUlT_E_NS1_11comp_targetILNS1_3genE8ELNS1_11target_archE1030ELNS1_3gpuE2ELNS1_3repE0EEENS1_30default_config_static_selectorELNS0_4arch9wavefront6targetE0EEEvSK_
	.p2align	8
	.type	_ZN7rocprim17ROCPRIM_400000_NS6detail17trampoline_kernelINS0_14default_configENS1_36segmented_radix_sort_config_selectorIilEEZNS1_25segmented_radix_sort_implIS3_Lb0EPKiPiPKlPlN2at6native12_GLOBAL__N_18offset_tEEE10hipError_tPvRmT1_PNSt15iterator_traitsISK_E10value_typeET2_T3_PNSL_ISQ_E10value_typeET4_jRbjT5_SW_jjP12ihipStream_tbEUlT_E_NS1_11comp_targetILNS1_3genE8ELNS1_11target_archE1030ELNS1_3gpuE2ELNS1_3repE0EEENS1_30default_config_static_selectorELNS0_4arch9wavefront6targetE0EEEvSK_,@function
_ZN7rocprim17ROCPRIM_400000_NS6detail17trampoline_kernelINS0_14default_configENS1_36segmented_radix_sort_config_selectorIilEEZNS1_25segmented_radix_sort_implIS3_Lb0EPKiPiPKlPlN2at6native12_GLOBAL__N_18offset_tEEE10hipError_tPvRmT1_PNSt15iterator_traitsISK_E10value_typeET2_T3_PNSL_ISQ_E10value_typeET4_jRbjT5_SW_jjP12ihipStream_tbEUlT_E_NS1_11comp_targetILNS1_3genE8ELNS1_11target_archE1030ELNS1_3gpuE2ELNS1_3repE0EEENS1_30default_config_static_selectorELNS0_4arch9wavefront6targetE0EEEvSK_: ; @_ZN7rocprim17ROCPRIM_400000_NS6detail17trampoline_kernelINS0_14default_configENS1_36segmented_radix_sort_config_selectorIilEEZNS1_25segmented_radix_sort_implIS3_Lb0EPKiPiPKlPlN2at6native12_GLOBAL__N_18offset_tEEE10hipError_tPvRmT1_PNSt15iterator_traitsISK_E10value_typeET2_T3_PNSL_ISQ_E10value_typeET4_jRbjT5_SW_jjP12ihipStream_tbEUlT_E_NS1_11comp_targetILNS1_3genE8ELNS1_11target_archE1030ELNS1_3gpuE2ELNS1_3repE0EEENS1_30default_config_static_selectorELNS0_4arch9wavefront6targetE0EEEvSK_
; %bb.0:
	.section	.rodata,"a",@progbits
	.p2align	6, 0x0
	.amdhsa_kernel _ZN7rocprim17ROCPRIM_400000_NS6detail17trampoline_kernelINS0_14default_configENS1_36segmented_radix_sort_config_selectorIilEEZNS1_25segmented_radix_sort_implIS3_Lb0EPKiPiPKlPlN2at6native12_GLOBAL__N_18offset_tEEE10hipError_tPvRmT1_PNSt15iterator_traitsISK_E10value_typeET2_T3_PNSL_ISQ_E10value_typeET4_jRbjT5_SW_jjP12ihipStream_tbEUlT_E_NS1_11comp_targetILNS1_3genE8ELNS1_11target_archE1030ELNS1_3gpuE2ELNS1_3repE0EEENS1_30default_config_static_selectorELNS0_4arch9wavefront6targetE0EEEvSK_
		.amdhsa_group_segment_fixed_size 0
		.amdhsa_private_segment_fixed_size 0
		.amdhsa_kernarg_size 96
		.amdhsa_user_sgpr_count 15
		.amdhsa_user_sgpr_dispatch_ptr 0
		.amdhsa_user_sgpr_queue_ptr 0
		.amdhsa_user_sgpr_kernarg_segment_ptr 1
		.amdhsa_user_sgpr_dispatch_id 0
		.amdhsa_user_sgpr_private_segment_size 0
		.amdhsa_wavefront_size32 1
		.amdhsa_uses_dynamic_stack 0
		.amdhsa_enable_private_segment 0
		.amdhsa_system_sgpr_workgroup_id_x 1
		.amdhsa_system_sgpr_workgroup_id_y 0
		.amdhsa_system_sgpr_workgroup_id_z 0
		.amdhsa_system_sgpr_workgroup_info 0
		.amdhsa_system_vgpr_workitem_id 0
		.amdhsa_next_free_vgpr 1
		.amdhsa_next_free_sgpr 1
		.amdhsa_reserve_vcc 0
		.amdhsa_float_round_mode_32 0
		.amdhsa_float_round_mode_16_64 0
		.amdhsa_float_denorm_mode_32 3
		.amdhsa_float_denorm_mode_16_64 3
		.amdhsa_dx10_clamp 1
		.amdhsa_ieee_mode 1
		.amdhsa_fp16_overflow 0
		.amdhsa_workgroup_processor_mode 1
		.amdhsa_memory_ordered 1
		.amdhsa_forward_progress 0
		.amdhsa_shared_vgpr_count 0
		.amdhsa_exception_fp_ieee_invalid_op 0
		.amdhsa_exception_fp_denorm_src 0
		.amdhsa_exception_fp_ieee_div_zero 0
		.amdhsa_exception_fp_ieee_overflow 0
		.amdhsa_exception_fp_ieee_underflow 0
		.amdhsa_exception_fp_ieee_inexact 0
		.amdhsa_exception_int_div_zero 0
	.end_amdhsa_kernel
	.section	.text._ZN7rocprim17ROCPRIM_400000_NS6detail17trampoline_kernelINS0_14default_configENS1_36segmented_radix_sort_config_selectorIilEEZNS1_25segmented_radix_sort_implIS3_Lb0EPKiPiPKlPlN2at6native12_GLOBAL__N_18offset_tEEE10hipError_tPvRmT1_PNSt15iterator_traitsISK_E10value_typeET2_T3_PNSL_ISQ_E10value_typeET4_jRbjT5_SW_jjP12ihipStream_tbEUlT_E_NS1_11comp_targetILNS1_3genE8ELNS1_11target_archE1030ELNS1_3gpuE2ELNS1_3repE0EEENS1_30default_config_static_selectorELNS0_4arch9wavefront6targetE0EEEvSK_,"axG",@progbits,_ZN7rocprim17ROCPRIM_400000_NS6detail17trampoline_kernelINS0_14default_configENS1_36segmented_radix_sort_config_selectorIilEEZNS1_25segmented_radix_sort_implIS3_Lb0EPKiPiPKlPlN2at6native12_GLOBAL__N_18offset_tEEE10hipError_tPvRmT1_PNSt15iterator_traitsISK_E10value_typeET2_T3_PNSL_ISQ_E10value_typeET4_jRbjT5_SW_jjP12ihipStream_tbEUlT_E_NS1_11comp_targetILNS1_3genE8ELNS1_11target_archE1030ELNS1_3gpuE2ELNS1_3repE0EEENS1_30default_config_static_selectorELNS0_4arch9wavefront6targetE0EEEvSK_,comdat
.Lfunc_end609:
	.size	_ZN7rocprim17ROCPRIM_400000_NS6detail17trampoline_kernelINS0_14default_configENS1_36segmented_radix_sort_config_selectorIilEEZNS1_25segmented_radix_sort_implIS3_Lb0EPKiPiPKlPlN2at6native12_GLOBAL__N_18offset_tEEE10hipError_tPvRmT1_PNSt15iterator_traitsISK_E10value_typeET2_T3_PNSL_ISQ_E10value_typeET4_jRbjT5_SW_jjP12ihipStream_tbEUlT_E_NS1_11comp_targetILNS1_3genE8ELNS1_11target_archE1030ELNS1_3gpuE2ELNS1_3repE0EEENS1_30default_config_static_selectorELNS0_4arch9wavefront6targetE0EEEvSK_, .Lfunc_end609-_ZN7rocprim17ROCPRIM_400000_NS6detail17trampoline_kernelINS0_14default_configENS1_36segmented_radix_sort_config_selectorIilEEZNS1_25segmented_radix_sort_implIS3_Lb0EPKiPiPKlPlN2at6native12_GLOBAL__N_18offset_tEEE10hipError_tPvRmT1_PNSt15iterator_traitsISK_E10value_typeET2_T3_PNSL_ISQ_E10value_typeET4_jRbjT5_SW_jjP12ihipStream_tbEUlT_E_NS1_11comp_targetILNS1_3genE8ELNS1_11target_archE1030ELNS1_3gpuE2ELNS1_3repE0EEENS1_30default_config_static_selectorELNS0_4arch9wavefront6targetE0EEEvSK_
                                        ; -- End function
	.section	.AMDGPU.csdata,"",@progbits
; Kernel info:
; codeLenInByte = 0
; NumSgprs: 0
; NumVgprs: 0
; ScratchSize: 0
; MemoryBound: 0
; FloatMode: 240
; IeeeMode: 1
; LDSByteSize: 0 bytes/workgroup (compile time only)
; SGPRBlocks: 0
; VGPRBlocks: 0
; NumSGPRsForWavesPerEU: 1
; NumVGPRsForWavesPerEU: 1
; Occupancy: 16
; WaveLimiterHint : 0
; COMPUTE_PGM_RSRC2:SCRATCH_EN: 0
; COMPUTE_PGM_RSRC2:USER_SGPR: 15
; COMPUTE_PGM_RSRC2:TRAP_HANDLER: 0
; COMPUTE_PGM_RSRC2:TGID_X_EN: 1
; COMPUTE_PGM_RSRC2:TGID_Y_EN: 0
; COMPUTE_PGM_RSRC2:TGID_Z_EN: 0
; COMPUTE_PGM_RSRC2:TIDIG_COMP_CNT: 0
	.section	.text._ZN7rocprim17ROCPRIM_400000_NS6detail17trampoline_kernelINS0_14default_configENS1_36segmented_radix_sort_config_selectorIilEEZNS1_25segmented_radix_sort_implIS3_Lb0EPKiPiPKlPlN2at6native12_GLOBAL__N_18offset_tEEE10hipError_tPvRmT1_PNSt15iterator_traitsISK_E10value_typeET2_T3_PNSL_ISQ_E10value_typeET4_jRbjT5_SW_jjP12ihipStream_tbEUlT_E0_NS1_11comp_targetILNS1_3genE0ELNS1_11target_archE4294967295ELNS1_3gpuE0ELNS1_3repE0EEENS1_60segmented_radix_sort_warp_sort_medium_config_static_selectorELNS0_4arch9wavefront6targetE0EEEvSK_,"axG",@progbits,_ZN7rocprim17ROCPRIM_400000_NS6detail17trampoline_kernelINS0_14default_configENS1_36segmented_radix_sort_config_selectorIilEEZNS1_25segmented_radix_sort_implIS3_Lb0EPKiPiPKlPlN2at6native12_GLOBAL__N_18offset_tEEE10hipError_tPvRmT1_PNSt15iterator_traitsISK_E10value_typeET2_T3_PNSL_ISQ_E10value_typeET4_jRbjT5_SW_jjP12ihipStream_tbEUlT_E0_NS1_11comp_targetILNS1_3genE0ELNS1_11target_archE4294967295ELNS1_3gpuE0ELNS1_3repE0EEENS1_60segmented_radix_sort_warp_sort_medium_config_static_selectorELNS0_4arch9wavefront6targetE0EEEvSK_,comdat
	.globl	_ZN7rocprim17ROCPRIM_400000_NS6detail17trampoline_kernelINS0_14default_configENS1_36segmented_radix_sort_config_selectorIilEEZNS1_25segmented_radix_sort_implIS3_Lb0EPKiPiPKlPlN2at6native12_GLOBAL__N_18offset_tEEE10hipError_tPvRmT1_PNSt15iterator_traitsISK_E10value_typeET2_T3_PNSL_ISQ_E10value_typeET4_jRbjT5_SW_jjP12ihipStream_tbEUlT_E0_NS1_11comp_targetILNS1_3genE0ELNS1_11target_archE4294967295ELNS1_3gpuE0ELNS1_3repE0EEENS1_60segmented_radix_sort_warp_sort_medium_config_static_selectorELNS0_4arch9wavefront6targetE0EEEvSK_ ; -- Begin function _ZN7rocprim17ROCPRIM_400000_NS6detail17trampoline_kernelINS0_14default_configENS1_36segmented_radix_sort_config_selectorIilEEZNS1_25segmented_radix_sort_implIS3_Lb0EPKiPiPKlPlN2at6native12_GLOBAL__N_18offset_tEEE10hipError_tPvRmT1_PNSt15iterator_traitsISK_E10value_typeET2_T3_PNSL_ISQ_E10value_typeET4_jRbjT5_SW_jjP12ihipStream_tbEUlT_E0_NS1_11comp_targetILNS1_3genE0ELNS1_11target_archE4294967295ELNS1_3gpuE0ELNS1_3repE0EEENS1_60segmented_radix_sort_warp_sort_medium_config_static_selectorELNS0_4arch9wavefront6targetE0EEEvSK_
	.p2align	8
	.type	_ZN7rocprim17ROCPRIM_400000_NS6detail17trampoline_kernelINS0_14default_configENS1_36segmented_radix_sort_config_selectorIilEEZNS1_25segmented_radix_sort_implIS3_Lb0EPKiPiPKlPlN2at6native12_GLOBAL__N_18offset_tEEE10hipError_tPvRmT1_PNSt15iterator_traitsISK_E10value_typeET2_T3_PNSL_ISQ_E10value_typeET4_jRbjT5_SW_jjP12ihipStream_tbEUlT_E0_NS1_11comp_targetILNS1_3genE0ELNS1_11target_archE4294967295ELNS1_3gpuE0ELNS1_3repE0EEENS1_60segmented_radix_sort_warp_sort_medium_config_static_selectorELNS0_4arch9wavefront6targetE0EEEvSK_,@function
_ZN7rocprim17ROCPRIM_400000_NS6detail17trampoline_kernelINS0_14default_configENS1_36segmented_radix_sort_config_selectorIilEEZNS1_25segmented_radix_sort_implIS3_Lb0EPKiPiPKlPlN2at6native12_GLOBAL__N_18offset_tEEE10hipError_tPvRmT1_PNSt15iterator_traitsISK_E10value_typeET2_T3_PNSL_ISQ_E10value_typeET4_jRbjT5_SW_jjP12ihipStream_tbEUlT_E0_NS1_11comp_targetILNS1_3genE0ELNS1_11target_archE4294967295ELNS1_3gpuE0ELNS1_3repE0EEENS1_60segmented_radix_sort_warp_sort_medium_config_static_selectorELNS0_4arch9wavefront6targetE0EEEvSK_: ; @_ZN7rocprim17ROCPRIM_400000_NS6detail17trampoline_kernelINS0_14default_configENS1_36segmented_radix_sort_config_selectorIilEEZNS1_25segmented_radix_sort_implIS3_Lb0EPKiPiPKlPlN2at6native12_GLOBAL__N_18offset_tEEE10hipError_tPvRmT1_PNSt15iterator_traitsISK_E10value_typeET2_T3_PNSL_ISQ_E10value_typeET4_jRbjT5_SW_jjP12ihipStream_tbEUlT_E0_NS1_11comp_targetILNS1_3genE0ELNS1_11target_archE4294967295ELNS1_3gpuE0ELNS1_3repE0EEENS1_60segmented_radix_sort_warp_sort_medium_config_static_selectorELNS0_4arch9wavefront6targetE0EEEvSK_
; %bb.0:
	.section	.rodata,"a",@progbits
	.p2align	6, 0x0
	.amdhsa_kernel _ZN7rocprim17ROCPRIM_400000_NS6detail17trampoline_kernelINS0_14default_configENS1_36segmented_radix_sort_config_selectorIilEEZNS1_25segmented_radix_sort_implIS3_Lb0EPKiPiPKlPlN2at6native12_GLOBAL__N_18offset_tEEE10hipError_tPvRmT1_PNSt15iterator_traitsISK_E10value_typeET2_T3_PNSL_ISQ_E10value_typeET4_jRbjT5_SW_jjP12ihipStream_tbEUlT_E0_NS1_11comp_targetILNS1_3genE0ELNS1_11target_archE4294967295ELNS1_3gpuE0ELNS1_3repE0EEENS1_60segmented_radix_sort_warp_sort_medium_config_static_selectorELNS0_4arch9wavefront6targetE0EEEvSK_
		.amdhsa_group_segment_fixed_size 0
		.amdhsa_private_segment_fixed_size 0
		.amdhsa_kernarg_size 88
		.amdhsa_user_sgpr_count 15
		.amdhsa_user_sgpr_dispatch_ptr 0
		.amdhsa_user_sgpr_queue_ptr 0
		.amdhsa_user_sgpr_kernarg_segment_ptr 1
		.amdhsa_user_sgpr_dispatch_id 0
		.amdhsa_user_sgpr_private_segment_size 0
		.amdhsa_wavefront_size32 1
		.amdhsa_uses_dynamic_stack 0
		.amdhsa_enable_private_segment 0
		.amdhsa_system_sgpr_workgroup_id_x 1
		.amdhsa_system_sgpr_workgroup_id_y 0
		.amdhsa_system_sgpr_workgroup_id_z 0
		.amdhsa_system_sgpr_workgroup_info 0
		.amdhsa_system_vgpr_workitem_id 0
		.amdhsa_next_free_vgpr 1
		.amdhsa_next_free_sgpr 1
		.amdhsa_reserve_vcc 0
		.amdhsa_float_round_mode_32 0
		.amdhsa_float_round_mode_16_64 0
		.amdhsa_float_denorm_mode_32 3
		.amdhsa_float_denorm_mode_16_64 3
		.amdhsa_dx10_clamp 1
		.amdhsa_ieee_mode 1
		.amdhsa_fp16_overflow 0
		.amdhsa_workgroup_processor_mode 1
		.amdhsa_memory_ordered 1
		.amdhsa_forward_progress 0
		.amdhsa_shared_vgpr_count 0
		.amdhsa_exception_fp_ieee_invalid_op 0
		.amdhsa_exception_fp_denorm_src 0
		.amdhsa_exception_fp_ieee_div_zero 0
		.amdhsa_exception_fp_ieee_overflow 0
		.amdhsa_exception_fp_ieee_underflow 0
		.amdhsa_exception_fp_ieee_inexact 0
		.amdhsa_exception_int_div_zero 0
	.end_amdhsa_kernel
	.section	.text._ZN7rocprim17ROCPRIM_400000_NS6detail17trampoline_kernelINS0_14default_configENS1_36segmented_radix_sort_config_selectorIilEEZNS1_25segmented_radix_sort_implIS3_Lb0EPKiPiPKlPlN2at6native12_GLOBAL__N_18offset_tEEE10hipError_tPvRmT1_PNSt15iterator_traitsISK_E10value_typeET2_T3_PNSL_ISQ_E10value_typeET4_jRbjT5_SW_jjP12ihipStream_tbEUlT_E0_NS1_11comp_targetILNS1_3genE0ELNS1_11target_archE4294967295ELNS1_3gpuE0ELNS1_3repE0EEENS1_60segmented_radix_sort_warp_sort_medium_config_static_selectorELNS0_4arch9wavefront6targetE0EEEvSK_,"axG",@progbits,_ZN7rocprim17ROCPRIM_400000_NS6detail17trampoline_kernelINS0_14default_configENS1_36segmented_radix_sort_config_selectorIilEEZNS1_25segmented_radix_sort_implIS3_Lb0EPKiPiPKlPlN2at6native12_GLOBAL__N_18offset_tEEE10hipError_tPvRmT1_PNSt15iterator_traitsISK_E10value_typeET2_T3_PNSL_ISQ_E10value_typeET4_jRbjT5_SW_jjP12ihipStream_tbEUlT_E0_NS1_11comp_targetILNS1_3genE0ELNS1_11target_archE4294967295ELNS1_3gpuE0ELNS1_3repE0EEENS1_60segmented_radix_sort_warp_sort_medium_config_static_selectorELNS0_4arch9wavefront6targetE0EEEvSK_,comdat
.Lfunc_end610:
	.size	_ZN7rocprim17ROCPRIM_400000_NS6detail17trampoline_kernelINS0_14default_configENS1_36segmented_radix_sort_config_selectorIilEEZNS1_25segmented_radix_sort_implIS3_Lb0EPKiPiPKlPlN2at6native12_GLOBAL__N_18offset_tEEE10hipError_tPvRmT1_PNSt15iterator_traitsISK_E10value_typeET2_T3_PNSL_ISQ_E10value_typeET4_jRbjT5_SW_jjP12ihipStream_tbEUlT_E0_NS1_11comp_targetILNS1_3genE0ELNS1_11target_archE4294967295ELNS1_3gpuE0ELNS1_3repE0EEENS1_60segmented_radix_sort_warp_sort_medium_config_static_selectorELNS0_4arch9wavefront6targetE0EEEvSK_, .Lfunc_end610-_ZN7rocprim17ROCPRIM_400000_NS6detail17trampoline_kernelINS0_14default_configENS1_36segmented_radix_sort_config_selectorIilEEZNS1_25segmented_radix_sort_implIS3_Lb0EPKiPiPKlPlN2at6native12_GLOBAL__N_18offset_tEEE10hipError_tPvRmT1_PNSt15iterator_traitsISK_E10value_typeET2_T3_PNSL_ISQ_E10value_typeET4_jRbjT5_SW_jjP12ihipStream_tbEUlT_E0_NS1_11comp_targetILNS1_3genE0ELNS1_11target_archE4294967295ELNS1_3gpuE0ELNS1_3repE0EEENS1_60segmented_radix_sort_warp_sort_medium_config_static_selectorELNS0_4arch9wavefront6targetE0EEEvSK_
                                        ; -- End function
	.section	.AMDGPU.csdata,"",@progbits
; Kernel info:
; codeLenInByte = 0
; NumSgprs: 0
; NumVgprs: 0
; ScratchSize: 0
; MemoryBound: 0
; FloatMode: 240
; IeeeMode: 1
; LDSByteSize: 0 bytes/workgroup (compile time only)
; SGPRBlocks: 0
; VGPRBlocks: 0
; NumSGPRsForWavesPerEU: 1
; NumVGPRsForWavesPerEU: 1
; Occupancy: 16
; WaveLimiterHint : 0
; COMPUTE_PGM_RSRC2:SCRATCH_EN: 0
; COMPUTE_PGM_RSRC2:USER_SGPR: 15
; COMPUTE_PGM_RSRC2:TRAP_HANDLER: 0
; COMPUTE_PGM_RSRC2:TGID_X_EN: 1
; COMPUTE_PGM_RSRC2:TGID_Y_EN: 0
; COMPUTE_PGM_RSRC2:TGID_Z_EN: 0
; COMPUTE_PGM_RSRC2:TIDIG_COMP_CNT: 0
	.section	.text._ZN7rocprim17ROCPRIM_400000_NS6detail17trampoline_kernelINS0_14default_configENS1_36segmented_radix_sort_config_selectorIilEEZNS1_25segmented_radix_sort_implIS3_Lb0EPKiPiPKlPlN2at6native12_GLOBAL__N_18offset_tEEE10hipError_tPvRmT1_PNSt15iterator_traitsISK_E10value_typeET2_T3_PNSL_ISQ_E10value_typeET4_jRbjT5_SW_jjP12ihipStream_tbEUlT_E0_NS1_11comp_targetILNS1_3genE5ELNS1_11target_archE942ELNS1_3gpuE9ELNS1_3repE0EEENS1_60segmented_radix_sort_warp_sort_medium_config_static_selectorELNS0_4arch9wavefront6targetE0EEEvSK_,"axG",@progbits,_ZN7rocprim17ROCPRIM_400000_NS6detail17trampoline_kernelINS0_14default_configENS1_36segmented_radix_sort_config_selectorIilEEZNS1_25segmented_radix_sort_implIS3_Lb0EPKiPiPKlPlN2at6native12_GLOBAL__N_18offset_tEEE10hipError_tPvRmT1_PNSt15iterator_traitsISK_E10value_typeET2_T3_PNSL_ISQ_E10value_typeET4_jRbjT5_SW_jjP12ihipStream_tbEUlT_E0_NS1_11comp_targetILNS1_3genE5ELNS1_11target_archE942ELNS1_3gpuE9ELNS1_3repE0EEENS1_60segmented_radix_sort_warp_sort_medium_config_static_selectorELNS0_4arch9wavefront6targetE0EEEvSK_,comdat
	.globl	_ZN7rocprim17ROCPRIM_400000_NS6detail17trampoline_kernelINS0_14default_configENS1_36segmented_radix_sort_config_selectorIilEEZNS1_25segmented_radix_sort_implIS3_Lb0EPKiPiPKlPlN2at6native12_GLOBAL__N_18offset_tEEE10hipError_tPvRmT1_PNSt15iterator_traitsISK_E10value_typeET2_T3_PNSL_ISQ_E10value_typeET4_jRbjT5_SW_jjP12ihipStream_tbEUlT_E0_NS1_11comp_targetILNS1_3genE5ELNS1_11target_archE942ELNS1_3gpuE9ELNS1_3repE0EEENS1_60segmented_radix_sort_warp_sort_medium_config_static_selectorELNS0_4arch9wavefront6targetE0EEEvSK_ ; -- Begin function _ZN7rocprim17ROCPRIM_400000_NS6detail17trampoline_kernelINS0_14default_configENS1_36segmented_radix_sort_config_selectorIilEEZNS1_25segmented_radix_sort_implIS3_Lb0EPKiPiPKlPlN2at6native12_GLOBAL__N_18offset_tEEE10hipError_tPvRmT1_PNSt15iterator_traitsISK_E10value_typeET2_T3_PNSL_ISQ_E10value_typeET4_jRbjT5_SW_jjP12ihipStream_tbEUlT_E0_NS1_11comp_targetILNS1_3genE5ELNS1_11target_archE942ELNS1_3gpuE9ELNS1_3repE0EEENS1_60segmented_radix_sort_warp_sort_medium_config_static_selectorELNS0_4arch9wavefront6targetE0EEEvSK_
	.p2align	8
	.type	_ZN7rocprim17ROCPRIM_400000_NS6detail17trampoline_kernelINS0_14default_configENS1_36segmented_radix_sort_config_selectorIilEEZNS1_25segmented_radix_sort_implIS3_Lb0EPKiPiPKlPlN2at6native12_GLOBAL__N_18offset_tEEE10hipError_tPvRmT1_PNSt15iterator_traitsISK_E10value_typeET2_T3_PNSL_ISQ_E10value_typeET4_jRbjT5_SW_jjP12ihipStream_tbEUlT_E0_NS1_11comp_targetILNS1_3genE5ELNS1_11target_archE942ELNS1_3gpuE9ELNS1_3repE0EEENS1_60segmented_radix_sort_warp_sort_medium_config_static_selectorELNS0_4arch9wavefront6targetE0EEEvSK_,@function
_ZN7rocprim17ROCPRIM_400000_NS6detail17trampoline_kernelINS0_14default_configENS1_36segmented_radix_sort_config_selectorIilEEZNS1_25segmented_radix_sort_implIS3_Lb0EPKiPiPKlPlN2at6native12_GLOBAL__N_18offset_tEEE10hipError_tPvRmT1_PNSt15iterator_traitsISK_E10value_typeET2_T3_PNSL_ISQ_E10value_typeET4_jRbjT5_SW_jjP12ihipStream_tbEUlT_E0_NS1_11comp_targetILNS1_3genE5ELNS1_11target_archE942ELNS1_3gpuE9ELNS1_3repE0EEENS1_60segmented_radix_sort_warp_sort_medium_config_static_selectorELNS0_4arch9wavefront6targetE0EEEvSK_: ; @_ZN7rocprim17ROCPRIM_400000_NS6detail17trampoline_kernelINS0_14default_configENS1_36segmented_radix_sort_config_selectorIilEEZNS1_25segmented_radix_sort_implIS3_Lb0EPKiPiPKlPlN2at6native12_GLOBAL__N_18offset_tEEE10hipError_tPvRmT1_PNSt15iterator_traitsISK_E10value_typeET2_T3_PNSL_ISQ_E10value_typeET4_jRbjT5_SW_jjP12ihipStream_tbEUlT_E0_NS1_11comp_targetILNS1_3genE5ELNS1_11target_archE942ELNS1_3gpuE9ELNS1_3repE0EEENS1_60segmented_radix_sort_warp_sort_medium_config_static_selectorELNS0_4arch9wavefront6targetE0EEEvSK_
; %bb.0:
	.section	.rodata,"a",@progbits
	.p2align	6, 0x0
	.amdhsa_kernel _ZN7rocprim17ROCPRIM_400000_NS6detail17trampoline_kernelINS0_14default_configENS1_36segmented_radix_sort_config_selectorIilEEZNS1_25segmented_radix_sort_implIS3_Lb0EPKiPiPKlPlN2at6native12_GLOBAL__N_18offset_tEEE10hipError_tPvRmT1_PNSt15iterator_traitsISK_E10value_typeET2_T3_PNSL_ISQ_E10value_typeET4_jRbjT5_SW_jjP12ihipStream_tbEUlT_E0_NS1_11comp_targetILNS1_3genE5ELNS1_11target_archE942ELNS1_3gpuE9ELNS1_3repE0EEENS1_60segmented_radix_sort_warp_sort_medium_config_static_selectorELNS0_4arch9wavefront6targetE0EEEvSK_
		.amdhsa_group_segment_fixed_size 0
		.amdhsa_private_segment_fixed_size 0
		.amdhsa_kernarg_size 88
		.amdhsa_user_sgpr_count 15
		.amdhsa_user_sgpr_dispatch_ptr 0
		.amdhsa_user_sgpr_queue_ptr 0
		.amdhsa_user_sgpr_kernarg_segment_ptr 1
		.amdhsa_user_sgpr_dispatch_id 0
		.amdhsa_user_sgpr_private_segment_size 0
		.amdhsa_wavefront_size32 1
		.amdhsa_uses_dynamic_stack 0
		.amdhsa_enable_private_segment 0
		.amdhsa_system_sgpr_workgroup_id_x 1
		.amdhsa_system_sgpr_workgroup_id_y 0
		.amdhsa_system_sgpr_workgroup_id_z 0
		.amdhsa_system_sgpr_workgroup_info 0
		.amdhsa_system_vgpr_workitem_id 0
		.amdhsa_next_free_vgpr 1
		.amdhsa_next_free_sgpr 1
		.amdhsa_reserve_vcc 0
		.amdhsa_float_round_mode_32 0
		.amdhsa_float_round_mode_16_64 0
		.amdhsa_float_denorm_mode_32 3
		.amdhsa_float_denorm_mode_16_64 3
		.amdhsa_dx10_clamp 1
		.amdhsa_ieee_mode 1
		.amdhsa_fp16_overflow 0
		.amdhsa_workgroup_processor_mode 1
		.amdhsa_memory_ordered 1
		.amdhsa_forward_progress 0
		.amdhsa_shared_vgpr_count 0
		.amdhsa_exception_fp_ieee_invalid_op 0
		.amdhsa_exception_fp_denorm_src 0
		.amdhsa_exception_fp_ieee_div_zero 0
		.amdhsa_exception_fp_ieee_overflow 0
		.amdhsa_exception_fp_ieee_underflow 0
		.amdhsa_exception_fp_ieee_inexact 0
		.amdhsa_exception_int_div_zero 0
	.end_amdhsa_kernel
	.section	.text._ZN7rocprim17ROCPRIM_400000_NS6detail17trampoline_kernelINS0_14default_configENS1_36segmented_radix_sort_config_selectorIilEEZNS1_25segmented_radix_sort_implIS3_Lb0EPKiPiPKlPlN2at6native12_GLOBAL__N_18offset_tEEE10hipError_tPvRmT1_PNSt15iterator_traitsISK_E10value_typeET2_T3_PNSL_ISQ_E10value_typeET4_jRbjT5_SW_jjP12ihipStream_tbEUlT_E0_NS1_11comp_targetILNS1_3genE5ELNS1_11target_archE942ELNS1_3gpuE9ELNS1_3repE0EEENS1_60segmented_radix_sort_warp_sort_medium_config_static_selectorELNS0_4arch9wavefront6targetE0EEEvSK_,"axG",@progbits,_ZN7rocprim17ROCPRIM_400000_NS6detail17trampoline_kernelINS0_14default_configENS1_36segmented_radix_sort_config_selectorIilEEZNS1_25segmented_radix_sort_implIS3_Lb0EPKiPiPKlPlN2at6native12_GLOBAL__N_18offset_tEEE10hipError_tPvRmT1_PNSt15iterator_traitsISK_E10value_typeET2_T3_PNSL_ISQ_E10value_typeET4_jRbjT5_SW_jjP12ihipStream_tbEUlT_E0_NS1_11comp_targetILNS1_3genE5ELNS1_11target_archE942ELNS1_3gpuE9ELNS1_3repE0EEENS1_60segmented_radix_sort_warp_sort_medium_config_static_selectorELNS0_4arch9wavefront6targetE0EEEvSK_,comdat
.Lfunc_end611:
	.size	_ZN7rocprim17ROCPRIM_400000_NS6detail17trampoline_kernelINS0_14default_configENS1_36segmented_radix_sort_config_selectorIilEEZNS1_25segmented_radix_sort_implIS3_Lb0EPKiPiPKlPlN2at6native12_GLOBAL__N_18offset_tEEE10hipError_tPvRmT1_PNSt15iterator_traitsISK_E10value_typeET2_T3_PNSL_ISQ_E10value_typeET4_jRbjT5_SW_jjP12ihipStream_tbEUlT_E0_NS1_11comp_targetILNS1_3genE5ELNS1_11target_archE942ELNS1_3gpuE9ELNS1_3repE0EEENS1_60segmented_radix_sort_warp_sort_medium_config_static_selectorELNS0_4arch9wavefront6targetE0EEEvSK_, .Lfunc_end611-_ZN7rocprim17ROCPRIM_400000_NS6detail17trampoline_kernelINS0_14default_configENS1_36segmented_radix_sort_config_selectorIilEEZNS1_25segmented_radix_sort_implIS3_Lb0EPKiPiPKlPlN2at6native12_GLOBAL__N_18offset_tEEE10hipError_tPvRmT1_PNSt15iterator_traitsISK_E10value_typeET2_T3_PNSL_ISQ_E10value_typeET4_jRbjT5_SW_jjP12ihipStream_tbEUlT_E0_NS1_11comp_targetILNS1_3genE5ELNS1_11target_archE942ELNS1_3gpuE9ELNS1_3repE0EEENS1_60segmented_radix_sort_warp_sort_medium_config_static_selectorELNS0_4arch9wavefront6targetE0EEEvSK_
                                        ; -- End function
	.section	.AMDGPU.csdata,"",@progbits
; Kernel info:
; codeLenInByte = 0
; NumSgprs: 0
; NumVgprs: 0
; ScratchSize: 0
; MemoryBound: 0
; FloatMode: 240
; IeeeMode: 1
; LDSByteSize: 0 bytes/workgroup (compile time only)
; SGPRBlocks: 0
; VGPRBlocks: 0
; NumSGPRsForWavesPerEU: 1
; NumVGPRsForWavesPerEU: 1
; Occupancy: 16
; WaveLimiterHint : 0
; COMPUTE_PGM_RSRC2:SCRATCH_EN: 0
; COMPUTE_PGM_RSRC2:USER_SGPR: 15
; COMPUTE_PGM_RSRC2:TRAP_HANDLER: 0
; COMPUTE_PGM_RSRC2:TGID_X_EN: 1
; COMPUTE_PGM_RSRC2:TGID_Y_EN: 0
; COMPUTE_PGM_RSRC2:TGID_Z_EN: 0
; COMPUTE_PGM_RSRC2:TIDIG_COMP_CNT: 0
	.section	.text._ZN7rocprim17ROCPRIM_400000_NS6detail17trampoline_kernelINS0_14default_configENS1_36segmented_radix_sort_config_selectorIilEEZNS1_25segmented_radix_sort_implIS3_Lb0EPKiPiPKlPlN2at6native12_GLOBAL__N_18offset_tEEE10hipError_tPvRmT1_PNSt15iterator_traitsISK_E10value_typeET2_T3_PNSL_ISQ_E10value_typeET4_jRbjT5_SW_jjP12ihipStream_tbEUlT_E0_NS1_11comp_targetILNS1_3genE4ELNS1_11target_archE910ELNS1_3gpuE8ELNS1_3repE0EEENS1_60segmented_radix_sort_warp_sort_medium_config_static_selectorELNS0_4arch9wavefront6targetE0EEEvSK_,"axG",@progbits,_ZN7rocprim17ROCPRIM_400000_NS6detail17trampoline_kernelINS0_14default_configENS1_36segmented_radix_sort_config_selectorIilEEZNS1_25segmented_radix_sort_implIS3_Lb0EPKiPiPKlPlN2at6native12_GLOBAL__N_18offset_tEEE10hipError_tPvRmT1_PNSt15iterator_traitsISK_E10value_typeET2_T3_PNSL_ISQ_E10value_typeET4_jRbjT5_SW_jjP12ihipStream_tbEUlT_E0_NS1_11comp_targetILNS1_3genE4ELNS1_11target_archE910ELNS1_3gpuE8ELNS1_3repE0EEENS1_60segmented_radix_sort_warp_sort_medium_config_static_selectorELNS0_4arch9wavefront6targetE0EEEvSK_,comdat
	.globl	_ZN7rocprim17ROCPRIM_400000_NS6detail17trampoline_kernelINS0_14default_configENS1_36segmented_radix_sort_config_selectorIilEEZNS1_25segmented_radix_sort_implIS3_Lb0EPKiPiPKlPlN2at6native12_GLOBAL__N_18offset_tEEE10hipError_tPvRmT1_PNSt15iterator_traitsISK_E10value_typeET2_T3_PNSL_ISQ_E10value_typeET4_jRbjT5_SW_jjP12ihipStream_tbEUlT_E0_NS1_11comp_targetILNS1_3genE4ELNS1_11target_archE910ELNS1_3gpuE8ELNS1_3repE0EEENS1_60segmented_radix_sort_warp_sort_medium_config_static_selectorELNS0_4arch9wavefront6targetE0EEEvSK_ ; -- Begin function _ZN7rocprim17ROCPRIM_400000_NS6detail17trampoline_kernelINS0_14default_configENS1_36segmented_radix_sort_config_selectorIilEEZNS1_25segmented_radix_sort_implIS3_Lb0EPKiPiPKlPlN2at6native12_GLOBAL__N_18offset_tEEE10hipError_tPvRmT1_PNSt15iterator_traitsISK_E10value_typeET2_T3_PNSL_ISQ_E10value_typeET4_jRbjT5_SW_jjP12ihipStream_tbEUlT_E0_NS1_11comp_targetILNS1_3genE4ELNS1_11target_archE910ELNS1_3gpuE8ELNS1_3repE0EEENS1_60segmented_radix_sort_warp_sort_medium_config_static_selectorELNS0_4arch9wavefront6targetE0EEEvSK_
	.p2align	8
	.type	_ZN7rocprim17ROCPRIM_400000_NS6detail17trampoline_kernelINS0_14default_configENS1_36segmented_radix_sort_config_selectorIilEEZNS1_25segmented_radix_sort_implIS3_Lb0EPKiPiPKlPlN2at6native12_GLOBAL__N_18offset_tEEE10hipError_tPvRmT1_PNSt15iterator_traitsISK_E10value_typeET2_T3_PNSL_ISQ_E10value_typeET4_jRbjT5_SW_jjP12ihipStream_tbEUlT_E0_NS1_11comp_targetILNS1_3genE4ELNS1_11target_archE910ELNS1_3gpuE8ELNS1_3repE0EEENS1_60segmented_radix_sort_warp_sort_medium_config_static_selectorELNS0_4arch9wavefront6targetE0EEEvSK_,@function
_ZN7rocprim17ROCPRIM_400000_NS6detail17trampoline_kernelINS0_14default_configENS1_36segmented_radix_sort_config_selectorIilEEZNS1_25segmented_radix_sort_implIS3_Lb0EPKiPiPKlPlN2at6native12_GLOBAL__N_18offset_tEEE10hipError_tPvRmT1_PNSt15iterator_traitsISK_E10value_typeET2_T3_PNSL_ISQ_E10value_typeET4_jRbjT5_SW_jjP12ihipStream_tbEUlT_E0_NS1_11comp_targetILNS1_3genE4ELNS1_11target_archE910ELNS1_3gpuE8ELNS1_3repE0EEENS1_60segmented_radix_sort_warp_sort_medium_config_static_selectorELNS0_4arch9wavefront6targetE0EEEvSK_: ; @_ZN7rocprim17ROCPRIM_400000_NS6detail17trampoline_kernelINS0_14default_configENS1_36segmented_radix_sort_config_selectorIilEEZNS1_25segmented_radix_sort_implIS3_Lb0EPKiPiPKlPlN2at6native12_GLOBAL__N_18offset_tEEE10hipError_tPvRmT1_PNSt15iterator_traitsISK_E10value_typeET2_T3_PNSL_ISQ_E10value_typeET4_jRbjT5_SW_jjP12ihipStream_tbEUlT_E0_NS1_11comp_targetILNS1_3genE4ELNS1_11target_archE910ELNS1_3gpuE8ELNS1_3repE0EEENS1_60segmented_radix_sort_warp_sort_medium_config_static_selectorELNS0_4arch9wavefront6targetE0EEEvSK_
; %bb.0:
	.section	.rodata,"a",@progbits
	.p2align	6, 0x0
	.amdhsa_kernel _ZN7rocprim17ROCPRIM_400000_NS6detail17trampoline_kernelINS0_14default_configENS1_36segmented_radix_sort_config_selectorIilEEZNS1_25segmented_radix_sort_implIS3_Lb0EPKiPiPKlPlN2at6native12_GLOBAL__N_18offset_tEEE10hipError_tPvRmT1_PNSt15iterator_traitsISK_E10value_typeET2_T3_PNSL_ISQ_E10value_typeET4_jRbjT5_SW_jjP12ihipStream_tbEUlT_E0_NS1_11comp_targetILNS1_3genE4ELNS1_11target_archE910ELNS1_3gpuE8ELNS1_3repE0EEENS1_60segmented_radix_sort_warp_sort_medium_config_static_selectorELNS0_4arch9wavefront6targetE0EEEvSK_
		.amdhsa_group_segment_fixed_size 0
		.amdhsa_private_segment_fixed_size 0
		.amdhsa_kernarg_size 88
		.amdhsa_user_sgpr_count 15
		.amdhsa_user_sgpr_dispatch_ptr 0
		.amdhsa_user_sgpr_queue_ptr 0
		.amdhsa_user_sgpr_kernarg_segment_ptr 1
		.amdhsa_user_sgpr_dispatch_id 0
		.amdhsa_user_sgpr_private_segment_size 0
		.amdhsa_wavefront_size32 1
		.amdhsa_uses_dynamic_stack 0
		.amdhsa_enable_private_segment 0
		.amdhsa_system_sgpr_workgroup_id_x 1
		.amdhsa_system_sgpr_workgroup_id_y 0
		.amdhsa_system_sgpr_workgroup_id_z 0
		.amdhsa_system_sgpr_workgroup_info 0
		.amdhsa_system_vgpr_workitem_id 0
		.amdhsa_next_free_vgpr 1
		.amdhsa_next_free_sgpr 1
		.amdhsa_reserve_vcc 0
		.amdhsa_float_round_mode_32 0
		.amdhsa_float_round_mode_16_64 0
		.amdhsa_float_denorm_mode_32 3
		.amdhsa_float_denorm_mode_16_64 3
		.amdhsa_dx10_clamp 1
		.amdhsa_ieee_mode 1
		.amdhsa_fp16_overflow 0
		.amdhsa_workgroup_processor_mode 1
		.amdhsa_memory_ordered 1
		.amdhsa_forward_progress 0
		.amdhsa_shared_vgpr_count 0
		.amdhsa_exception_fp_ieee_invalid_op 0
		.amdhsa_exception_fp_denorm_src 0
		.amdhsa_exception_fp_ieee_div_zero 0
		.amdhsa_exception_fp_ieee_overflow 0
		.amdhsa_exception_fp_ieee_underflow 0
		.amdhsa_exception_fp_ieee_inexact 0
		.amdhsa_exception_int_div_zero 0
	.end_amdhsa_kernel
	.section	.text._ZN7rocprim17ROCPRIM_400000_NS6detail17trampoline_kernelINS0_14default_configENS1_36segmented_radix_sort_config_selectorIilEEZNS1_25segmented_radix_sort_implIS3_Lb0EPKiPiPKlPlN2at6native12_GLOBAL__N_18offset_tEEE10hipError_tPvRmT1_PNSt15iterator_traitsISK_E10value_typeET2_T3_PNSL_ISQ_E10value_typeET4_jRbjT5_SW_jjP12ihipStream_tbEUlT_E0_NS1_11comp_targetILNS1_3genE4ELNS1_11target_archE910ELNS1_3gpuE8ELNS1_3repE0EEENS1_60segmented_radix_sort_warp_sort_medium_config_static_selectorELNS0_4arch9wavefront6targetE0EEEvSK_,"axG",@progbits,_ZN7rocprim17ROCPRIM_400000_NS6detail17trampoline_kernelINS0_14default_configENS1_36segmented_radix_sort_config_selectorIilEEZNS1_25segmented_radix_sort_implIS3_Lb0EPKiPiPKlPlN2at6native12_GLOBAL__N_18offset_tEEE10hipError_tPvRmT1_PNSt15iterator_traitsISK_E10value_typeET2_T3_PNSL_ISQ_E10value_typeET4_jRbjT5_SW_jjP12ihipStream_tbEUlT_E0_NS1_11comp_targetILNS1_3genE4ELNS1_11target_archE910ELNS1_3gpuE8ELNS1_3repE0EEENS1_60segmented_radix_sort_warp_sort_medium_config_static_selectorELNS0_4arch9wavefront6targetE0EEEvSK_,comdat
.Lfunc_end612:
	.size	_ZN7rocprim17ROCPRIM_400000_NS6detail17trampoline_kernelINS0_14default_configENS1_36segmented_radix_sort_config_selectorIilEEZNS1_25segmented_radix_sort_implIS3_Lb0EPKiPiPKlPlN2at6native12_GLOBAL__N_18offset_tEEE10hipError_tPvRmT1_PNSt15iterator_traitsISK_E10value_typeET2_T3_PNSL_ISQ_E10value_typeET4_jRbjT5_SW_jjP12ihipStream_tbEUlT_E0_NS1_11comp_targetILNS1_3genE4ELNS1_11target_archE910ELNS1_3gpuE8ELNS1_3repE0EEENS1_60segmented_radix_sort_warp_sort_medium_config_static_selectorELNS0_4arch9wavefront6targetE0EEEvSK_, .Lfunc_end612-_ZN7rocprim17ROCPRIM_400000_NS6detail17trampoline_kernelINS0_14default_configENS1_36segmented_radix_sort_config_selectorIilEEZNS1_25segmented_radix_sort_implIS3_Lb0EPKiPiPKlPlN2at6native12_GLOBAL__N_18offset_tEEE10hipError_tPvRmT1_PNSt15iterator_traitsISK_E10value_typeET2_T3_PNSL_ISQ_E10value_typeET4_jRbjT5_SW_jjP12ihipStream_tbEUlT_E0_NS1_11comp_targetILNS1_3genE4ELNS1_11target_archE910ELNS1_3gpuE8ELNS1_3repE0EEENS1_60segmented_radix_sort_warp_sort_medium_config_static_selectorELNS0_4arch9wavefront6targetE0EEEvSK_
                                        ; -- End function
	.section	.AMDGPU.csdata,"",@progbits
; Kernel info:
; codeLenInByte = 0
; NumSgprs: 0
; NumVgprs: 0
; ScratchSize: 0
; MemoryBound: 0
; FloatMode: 240
; IeeeMode: 1
; LDSByteSize: 0 bytes/workgroup (compile time only)
; SGPRBlocks: 0
; VGPRBlocks: 0
; NumSGPRsForWavesPerEU: 1
; NumVGPRsForWavesPerEU: 1
; Occupancy: 16
; WaveLimiterHint : 0
; COMPUTE_PGM_RSRC2:SCRATCH_EN: 0
; COMPUTE_PGM_RSRC2:USER_SGPR: 15
; COMPUTE_PGM_RSRC2:TRAP_HANDLER: 0
; COMPUTE_PGM_RSRC2:TGID_X_EN: 1
; COMPUTE_PGM_RSRC2:TGID_Y_EN: 0
; COMPUTE_PGM_RSRC2:TGID_Z_EN: 0
; COMPUTE_PGM_RSRC2:TIDIG_COMP_CNT: 0
	.section	.text._ZN7rocprim17ROCPRIM_400000_NS6detail17trampoline_kernelINS0_14default_configENS1_36segmented_radix_sort_config_selectorIilEEZNS1_25segmented_radix_sort_implIS3_Lb0EPKiPiPKlPlN2at6native12_GLOBAL__N_18offset_tEEE10hipError_tPvRmT1_PNSt15iterator_traitsISK_E10value_typeET2_T3_PNSL_ISQ_E10value_typeET4_jRbjT5_SW_jjP12ihipStream_tbEUlT_E0_NS1_11comp_targetILNS1_3genE3ELNS1_11target_archE908ELNS1_3gpuE7ELNS1_3repE0EEENS1_60segmented_radix_sort_warp_sort_medium_config_static_selectorELNS0_4arch9wavefront6targetE0EEEvSK_,"axG",@progbits,_ZN7rocprim17ROCPRIM_400000_NS6detail17trampoline_kernelINS0_14default_configENS1_36segmented_radix_sort_config_selectorIilEEZNS1_25segmented_radix_sort_implIS3_Lb0EPKiPiPKlPlN2at6native12_GLOBAL__N_18offset_tEEE10hipError_tPvRmT1_PNSt15iterator_traitsISK_E10value_typeET2_T3_PNSL_ISQ_E10value_typeET4_jRbjT5_SW_jjP12ihipStream_tbEUlT_E0_NS1_11comp_targetILNS1_3genE3ELNS1_11target_archE908ELNS1_3gpuE7ELNS1_3repE0EEENS1_60segmented_radix_sort_warp_sort_medium_config_static_selectorELNS0_4arch9wavefront6targetE0EEEvSK_,comdat
	.globl	_ZN7rocprim17ROCPRIM_400000_NS6detail17trampoline_kernelINS0_14default_configENS1_36segmented_radix_sort_config_selectorIilEEZNS1_25segmented_radix_sort_implIS3_Lb0EPKiPiPKlPlN2at6native12_GLOBAL__N_18offset_tEEE10hipError_tPvRmT1_PNSt15iterator_traitsISK_E10value_typeET2_T3_PNSL_ISQ_E10value_typeET4_jRbjT5_SW_jjP12ihipStream_tbEUlT_E0_NS1_11comp_targetILNS1_3genE3ELNS1_11target_archE908ELNS1_3gpuE7ELNS1_3repE0EEENS1_60segmented_radix_sort_warp_sort_medium_config_static_selectorELNS0_4arch9wavefront6targetE0EEEvSK_ ; -- Begin function _ZN7rocprim17ROCPRIM_400000_NS6detail17trampoline_kernelINS0_14default_configENS1_36segmented_radix_sort_config_selectorIilEEZNS1_25segmented_radix_sort_implIS3_Lb0EPKiPiPKlPlN2at6native12_GLOBAL__N_18offset_tEEE10hipError_tPvRmT1_PNSt15iterator_traitsISK_E10value_typeET2_T3_PNSL_ISQ_E10value_typeET4_jRbjT5_SW_jjP12ihipStream_tbEUlT_E0_NS1_11comp_targetILNS1_3genE3ELNS1_11target_archE908ELNS1_3gpuE7ELNS1_3repE0EEENS1_60segmented_radix_sort_warp_sort_medium_config_static_selectorELNS0_4arch9wavefront6targetE0EEEvSK_
	.p2align	8
	.type	_ZN7rocprim17ROCPRIM_400000_NS6detail17trampoline_kernelINS0_14default_configENS1_36segmented_radix_sort_config_selectorIilEEZNS1_25segmented_radix_sort_implIS3_Lb0EPKiPiPKlPlN2at6native12_GLOBAL__N_18offset_tEEE10hipError_tPvRmT1_PNSt15iterator_traitsISK_E10value_typeET2_T3_PNSL_ISQ_E10value_typeET4_jRbjT5_SW_jjP12ihipStream_tbEUlT_E0_NS1_11comp_targetILNS1_3genE3ELNS1_11target_archE908ELNS1_3gpuE7ELNS1_3repE0EEENS1_60segmented_radix_sort_warp_sort_medium_config_static_selectorELNS0_4arch9wavefront6targetE0EEEvSK_,@function
_ZN7rocprim17ROCPRIM_400000_NS6detail17trampoline_kernelINS0_14default_configENS1_36segmented_radix_sort_config_selectorIilEEZNS1_25segmented_radix_sort_implIS3_Lb0EPKiPiPKlPlN2at6native12_GLOBAL__N_18offset_tEEE10hipError_tPvRmT1_PNSt15iterator_traitsISK_E10value_typeET2_T3_PNSL_ISQ_E10value_typeET4_jRbjT5_SW_jjP12ihipStream_tbEUlT_E0_NS1_11comp_targetILNS1_3genE3ELNS1_11target_archE908ELNS1_3gpuE7ELNS1_3repE0EEENS1_60segmented_radix_sort_warp_sort_medium_config_static_selectorELNS0_4arch9wavefront6targetE0EEEvSK_: ; @_ZN7rocprim17ROCPRIM_400000_NS6detail17trampoline_kernelINS0_14default_configENS1_36segmented_radix_sort_config_selectorIilEEZNS1_25segmented_radix_sort_implIS3_Lb0EPKiPiPKlPlN2at6native12_GLOBAL__N_18offset_tEEE10hipError_tPvRmT1_PNSt15iterator_traitsISK_E10value_typeET2_T3_PNSL_ISQ_E10value_typeET4_jRbjT5_SW_jjP12ihipStream_tbEUlT_E0_NS1_11comp_targetILNS1_3genE3ELNS1_11target_archE908ELNS1_3gpuE7ELNS1_3repE0EEENS1_60segmented_radix_sort_warp_sort_medium_config_static_selectorELNS0_4arch9wavefront6targetE0EEEvSK_
; %bb.0:
	.section	.rodata,"a",@progbits
	.p2align	6, 0x0
	.amdhsa_kernel _ZN7rocprim17ROCPRIM_400000_NS6detail17trampoline_kernelINS0_14default_configENS1_36segmented_radix_sort_config_selectorIilEEZNS1_25segmented_radix_sort_implIS3_Lb0EPKiPiPKlPlN2at6native12_GLOBAL__N_18offset_tEEE10hipError_tPvRmT1_PNSt15iterator_traitsISK_E10value_typeET2_T3_PNSL_ISQ_E10value_typeET4_jRbjT5_SW_jjP12ihipStream_tbEUlT_E0_NS1_11comp_targetILNS1_3genE3ELNS1_11target_archE908ELNS1_3gpuE7ELNS1_3repE0EEENS1_60segmented_radix_sort_warp_sort_medium_config_static_selectorELNS0_4arch9wavefront6targetE0EEEvSK_
		.amdhsa_group_segment_fixed_size 0
		.amdhsa_private_segment_fixed_size 0
		.amdhsa_kernarg_size 88
		.amdhsa_user_sgpr_count 15
		.amdhsa_user_sgpr_dispatch_ptr 0
		.amdhsa_user_sgpr_queue_ptr 0
		.amdhsa_user_sgpr_kernarg_segment_ptr 1
		.amdhsa_user_sgpr_dispatch_id 0
		.amdhsa_user_sgpr_private_segment_size 0
		.amdhsa_wavefront_size32 1
		.amdhsa_uses_dynamic_stack 0
		.amdhsa_enable_private_segment 0
		.amdhsa_system_sgpr_workgroup_id_x 1
		.amdhsa_system_sgpr_workgroup_id_y 0
		.amdhsa_system_sgpr_workgroup_id_z 0
		.amdhsa_system_sgpr_workgroup_info 0
		.amdhsa_system_vgpr_workitem_id 0
		.amdhsa_next_free_vgpr 1
		.amdhsa_next_free_sgpr 1
		.amdhsa_reserve_vcc 0
		.amdhsa_float_round_mode_32 0
		.amdhsa_float_round_mode_16_64 0
		.amdhsa_float_denorm_mode_32 3
		.amdhsa_float_denorm_mode_16_64 3
		.amdhsa_dx10_clamp 1
		.amdhsa_ieee_mode 1
		.amdhsa_fp16_overflow 0
		.amdhsa_workgroup_processor_mode 1
		.amdhsa_memory_ordered 1
		.amdhsa_forward_progress 0
		.amdhsa_shared_vgpr_count 0
		.amdhsa_exception_fp_ieee_invalid_op 0
		.amdhsa_exception_fp_denorm_src 0
		.amdhsa_exception_fp_ieee_div_zero 0
		.amdhsa_exception_fp_ieee_overflow 0
		.amdhsa_exception_fp_ieee_underflow 0
		.amdhsa_exception_fp_ieee_inexact 0
		.amdhsa_exception_int_div_zero 0
	.end_amdhsa_kernel
	.section	.text._ZN7rocprim17ROCPRIM_400000_NS6detail17trampoline_kernelINS0_14default_configENS1_36segmented_radix_sort_config_selectorIilEEZNS1_25segmented_radix_sort_implIS3_Lb0EPKiPiPKlPlN2at6native12_GLOBAL__N_18offset_tEEE10hipError_tPvRmT1_PNSt15iterator_traitsISK_E10value_typeET2_T3_PNSL_ISQ_E10value_typeET4_jRbjT5_SW_jjP12ihipStream_tbEUlT_E0_NS1_11comp_targetILNS1_3genE3ELNS1_11target_archE908ELNS1_3gpuE7ELNS1_3repE0EEENS1_60segmented_radix_sort_warp_sort_medium_config_static_selectorELNS0_4arch9wavefront6targetE0EEEvSK_,"axG",@progbits,_ZN7rocprim17ROCPRIM_400000_NS6detail17trampoline_kernelINS0_14default_configENS1_36segmented_radix_sort_config_selectorIilEEZNS1_25segmented_radix_sort_implIS3_Lb0EPKiPiPKlPlN2at6native12_GLOBAL__N_18offset_tEEE10hipError_tPvRmT1_PNSt15iterator_traitsISK_E10value_typeET2_T3_PNSL_ISQ_E10value_typeET4_jRbjT5_SW_jjP12ihipStream_tbEUlT_E0_NS1_11comp_targetILNS1_3genE3ELNS1_11target_archE908ELNS1_3gpuE7ELNS1_3repE0EEENS1_60segmented_radix_sort_warp_sort_medium_config_static_selectorELNS0_4arch9wavefront6targetE0EEEvSK_,comdat
.Lfunc_end613:
	.size	_ZN7rocprim17ROCPRIM_400000_NS6detail17trampoline_kernelINS0_14default_configENS1_36segmented_radix_sort_config_selectorIilEEZNS1_25segmented_radix_sort_implIS3_Lb0EPKiPiPKlPlN2at6native12_GLOBAL__N_18offset_tEEE10hipError_tPvRmT1_PNSt15iterator_traitsISK_E10value_typeET2_T3_PNSL_ISQ_E10value_typeET4_jRbjT5_SW_jjP12ihipStream_tbEUlT_E0_NS1_11comp_targetILNS1_3genE3ELNS1_11target_archE908ELNS1_3gpuE7ELNS1_3repE0EEENS1_60segmented_radix_sort_warp_sort_medium_config_static_selectorELNS0_4arch9wavefront6targetE0EEEvSK_, .Lfunc_end613-_ZN7rocprim17ROCPRIM_400000_NS6detail17trampoline_kernelINS0_14default_configENS1_36segmented_radix_sort_config_selectorIilEEZNS1_25segmented_radix_sort_implIS3_Lb0EPKiPiPKlPlN2at6native12_GLOBAL__N_18offset_tEEE10hipError_tPvRmT1_PNSt15iterator_traitsISK_E10value_typeET2_T3_PNSL_ISQ_E10value_typeET4_jRbjT5_SW_jjP12ihipStream_tbEUlT_E0_NS1_11comp_targetILNS1_3genE3ELNS1_11target_archE908ELNS1_3gpuE7ELNS1_3repE0EEENS1_60segmented_radix_sort_warp_sort_medium_config_static_selectorELNS0_4arch9wavefront6targetE0EEEvSK_
                                        ; -- End function
	.section	.AMDGPU.csdata,"",@progbits
; Kernel info:
; codeLenInByte = 0
; NumSgprs: 0
; NumVgprs: 0
; ScratchSize: 0
; MemoryBound: 0
; FloatMode: 240
; IeeeMode: 1
; LDSByteSize: 0 bytes/workgroup (compile time only)
; SGPRBlocks: 0
; VGPRBlocks: 0
; NumSGPRsForWavesPerEU: 1
; NumVGPRsForWavesPerEU: 1
; Occupancy: 16
; WaveLimiterHint : 0
; COMPUTE_PGM_RSRC2:SCRATCH_EN: 0
; COMPUTE_PGM_RSRC2:USER_SGPR: 15
; COMPUTE_PGM_RSRC2:TRAP_HANDLER: 0
; COMPUTE_PGM_RSRC2:TGID_X_EN: 1
; COMPUTE_PGM_RSRC2:TGID_Y_EN: 0
; COMPUTE_PGM_RSRC2:TGID_Z_EN: 0
; COMPUTE_PGM_RSRC2:TIDIG_COMP_CNT: 0
	.section	.text._ZN7rocprim17ROCPRIM_400000_NS6detail17trampoline_kernelINS0_14default_configENS1_36segmented_radix_sort_config_selectorIilEEZNS1_25segmented_radix_sort_implIS3_Lb0EPKiPiPKlPlN2at6native12_GLOBAL__N_18offset_tEEE10hipError_tPvRmT1_PNSt15iterator_traitsISK_E10value_typeET2_T3_PNSL_ISQ_E10value_typeET4_jRbjT5_SW_jjP12ihipStream_tbEUlT_E0_NS1_11comp_targetILNS1_3genE2ELNS1_11target_archE906ELNS1_3gpuE6ELNS1_3repE0EEENS1_60segmented_radix_sort_warp_sort_medium_config_static_selectorELNS0_4arch9wavefront6targetE0EEEvSK_,"axG",@progbits,_ZN7rocprim17ROCPRIM_400000_NS6detail17trampoline_kernelINS0_14default_configENS1_36segmented_radix_sort_config_selectorIilEEZNS1_25segmented_radix_sort_implIS3_Lb0EPKiPiPKlPlN2at6native12_GLOBAL__N_18offset_tEEE10hipError_tPvRmT1_PNSt15iterator_traitsISK_E10value_typeET2_T3_PNSL_ISQ_E10value_typeET4_jRbjT5_SW_jjP12ihipStream_tbEUlT_E0_NS1_11comp_targetILNS1_3genE2ELNS1_11target_archE906ELNS1_3gpuE6ELNS1_3repE0EEENS1_60segmented_radix_sort_warp_sort_medium_config_static_selectorELNS0_4arch9wavefront6targetE0EEEvSK_,comdat
	.globl	_ZN7rocprim17ROCPRIM_400000_NS6detail17trampoline_kernelINS0_14default_configENS1_36segmented_radix_sort_config_selectorIilEEZNS1_25segmented_radix_sort_implIS3_Lb0EPKiPiPKlPlN2at6native12_GLOBAL__N_18offset_tEEE10hipError_tPvRmT1_PNSt15iterator_traitsISK_E10value_typeET2_T3_PNSL_ISQ_E10value_typeET4_jRbjT5_SW_jjP12ihipStream_tbEUlT_E0_NS1_11comp_targetILNS1_3genE2ELNS1_11target_archE906ELNS1_3gpuE6ELNS1_3repE0EEENS1_60segmented_radix_sort_warp_sort_medium_config_static_selectorELNS0_4arch9wavefront6targetE0EEEvSK_ ; -- Begin function _ZN7rocprim17ROCPRIM_400000_NS6detail17trampoline_kernelINS0_14default_configENS1_36segmented_radix_sort_config_selectorIilEEZNS1_25segmented_radix_sort_implIS3_Lb0EPKiPiPKlPlN2at6native12_GLOBAL__N_18offset_tEEE10hipError_tPvRmT1_PNSt15iterator_traitsISK_E10value_typeET2_T3_PNSL_ISQ_E10value_typeET4_jRbjT5_SW_jjP12ihipStream_tbEUlT_E0_NS1_11comp_targetILNS1_3genE2ELNS1_11target_archE906ELNS1_3gpuE6ELNS1_3repE0EEENS1_60segmented_radix_sort_warp_sort_medium_config_static_selectorELNS0_4arch9wavefront6targetE0EEEvSK_
	.p2align	8
	.type	_ZN7rocprim17ROCPRIM_400000_NS6detail17trampoline_kernelINS0_14default_configENS1_36segmented_radix_sort_config_selectorIilEEZNS1_25segmented_radix_sort_implIS3_Lb0EPKiPiPKlPlN2at6native12_GLOBAL__N_18offset_tEEE10hipError_tPvRmT1_PNSt15iterator_traitsISK_E10value_typeET2_T3_PNSL_ISQ_E10value_typeET4_jRbjT5_SW_jjP12ihipStream_tbEUlT_E0_NS1_11comp_targetILNS1_3genE2ELNS1_11target_archE906ELNS1_3gpuE6ELNS1_3repE0EEENS1_60segmented_radix_sort_warp_sort_medium_config_static_selectorELNS0_4arch9wavefront6targetE0EEEvSK_,@function
_ZN7rocprim17ROCPRIM_400000_NS6detail17trampoline_kernelINS0_14default_configENS1_36segmented_radix_sort_config_selectorIilEEZNS1_25segmented_radix_sort_implIS3_Lb0EPKiPiPKlPlN2at6native12_GLOBAL__N_18offset_tEEE10hipError_tPvRmT1_PNSt15iterator_traitsISK_E10value_typeET2_T3_PNSL_ISQ_E10value_typeET4_jRbjT5_SW_jjP12ihipStream_tbEUlT_E0_NS1_11comp_targetILNS1_3genE2ELNS1_11target_archE906ELNS1_3gpuE6ELNS1_3repE0EEENS1_60segmented_radix_sort_warp_sort_medium_config_static_selectorELNS0_4arch9wavefront6targetE0EEEvSK_: ; @_ZN7rocprim17ROCPRIM_400000_NS6detail17trampoline_kernelINS0_14default_configENS1_36segmented_radix_sort_config_selectorIilEEZNS1_25segmented_radix_sort_implIS3_Lb0EPKiPiPKlPlN2at6native12_GLOBAL__N_18offset_tEEE10hipError_tPvRmT1_PNSt15iterator_traitsISK_E10value_typeET2_T3_PNSL_ISQ_E10value_typeET4_jRbjT5_SW_jjP12ihipStream_tbEUlT_E0_NS1_11comp_targetILNS1_3genE2ELNS1_11target_archE906ELNS1_3gpuE6ELNS1_3repE0EEENS1_60segmented_radix_sort_warp_sort_medium_config_static_selectorELNS0_4arch9wavefront6targetE0EEEvSK_
; %bb.0:
	.section	.rodata,"a",@progbits
	.p2align	6, 0x0
	.amdhsa_kernel _ZN7rocprim17ROCPRIM_400000_NS6detail17trampoline_kernelINS0_14default_configENS1_36segmented_radix_sort_config_selectorIilEEZNS1_25segmented_radix_sort_implIS3_Lb0EPKiPiPKlPlN2at6native12_GLOBAL__N_18offset_tEEE10hipError_tPvRmT1_PNSt15iterator_traitsISK_E10value_typeET2_T3_PNSL_ISQ_E10value_typeET4_jRbjT5_SW_jjP12ihipStream_tbEUlT_E0_NS1_11comp_targetILNS1_3genE2ELNS1_11target_archE906ELNS1_3gpuE6ELNS1_3repE0EEENS1_60segmented_radix_sort_warp_sort_medium_config_static_selectorELNS0_4arch9wavefront6targetE0EEEvSK_
		.amdhsa_group_segment_fixed_size 0
		.amdhsa_private_segment_fixed_size 0
		.amdhsa_kernarg_size 88
		.amdhsa_user_sgpr_count 15
		.amdhsa_user_sgpr_dispatch_ptr 0
		.amdhsa_user_sgpr_queue_ptr 0
		.amdhsa_user_sgpr_kernarg_segment_ptr 1
		.amdhsa_user_sgpr_dispatch_id 0
		.amdhsa_user_sgpr_private_segment_size 0
		.amdhsa_wavefront_size32 1
		.amdhsa_uses_dynamic_stack 0
		.amdhsa_enable_private_segment 0
		.amdhsa_system_sgpr_workgroup_id_x 1
		.amdhsa_system_sgpr_workgroup_id_y 0
		.amdhsa_system_sgpr_workgroup_id_z 0
		.amdhsa_system_sgpr_workgroup_info 0
		.amdhsa_system_vgpr_workitem_id 0
		.amdhsa_next_free_vgpr 1
		.amdhsa_next_free_sgpr 1
		.amdhsa_reserve_vcc 0
		.amdhsa_float_round_mode_32 0
		.amdhsa_float_round_mode_16_64 0
		.amdhsa_float_denorm_mode_32 3
		.amdhsa_float_denorm_mode_16_64 3
		.amdhsa_dx10_clamp 1
		.amdhsa_ieee_mode 1
		.amdhsa_fp16_overflow 0
		.amdhsa_workgroup_processor_mode 1
		.amdhsa_memory_ordered 1
		.amdhsa_forward_progress 0
		.amdhsa_shared_vgpr_count 0
		.amdhsa_exception_fp_ieee_invalid_op 0
		.amdhsa_exception_fp_denorm_src 0
		.amdhsa_exception_fp_ieee_div_zero 0
		.amdhsa_exception_fp_ieee_overflow 0
		.amdhsa_exception_fp_ieee_underflow 0
		.amdhsa_exception_fp_ieee_inexact 0
		.amdhsa_exception_int_div_zero 0
	.end_amdhsa_kernel
	.section	.text._ZN7rocprim17ROCPRIM_400000_NS6detail17trampoline_kernelINS0_14default_configENS1_36segmented_radix_sort_config_selectorIilEEZNS1_25segmented_radix_sort_implIS3_Lb0EPKiPiPKlPlN2at6native12_GLOBAL__N_18offset_tEEE10hipError_tPvRmT1_PNSt15iterator_traitsISK_E10value_typeET2_T3_PNSL_ISQ_E10value_typeET4_jRbjT5_SW_jjP12ihipStream_tbEUlT_E0_NS1_11comp_targetILNS1_3genE2ELNS1_11target_archE906ELNS1_3gpuE6ELNS1_3repE0EEENS1_60segmented_radix_sort_warp_sort_medium_config_static_selectorELNS0_4arch9wavefront6targetE0EEEvSK_,"axG",@progbits,_ZN7rocprim17ROCPRIM_400000_NS6detail17trampoline_kernelINS0_14default_configENS1_36segmented_radix_sort_config_selectorIilEEZNS1_25segmented_radix_sort_implIS3_Lb0EPKiPiPKlPlN2at6native12_GLOBAL__N_18offset_tEEE10hipError_tPvRmT1_PNSt15iterator_traitsISK_E10value_typeET2_T3_PNSL_ISQ_E10value_typeET4_jRbjT5_SW_jjP12ihipStream_tbEUlT_E0_NS1_11comp_targetILNS1_3genE2ELNS1_11target_archE906ELNS1_3gpuE6ELNS1_3repE0EEENS1_60segmented_radix_sort_warp_sort_medium_config_static_selectorELNS0_4arch9wavefront6targetE0EEEvSK_,comdat
.Lfunc_end614:
	.size	_ZN7rocprim17ROCPRIM_400000_NS6detail17trampoline_kernelINS0_14default_configENS1_36segmented_radix_sort_config_selectorIilEEZNS1_25segmented_radix_sort_implIS3_Lb0EPKiPiPKlPlN2at6native12_GLOBAL__N_18offset_tEEE10hipError_tPvRmT1_PNSt15iterator_traitsISK_E10value_typeET2_T3_PNSL_ISQ_E10value_typeET4_jRbjT5_SW_jjP12ihipStream_tbEUlT_E0_NS1_11comp_targetILNS1_3genE2ELNS1_11target_archE906ELNS1_3gpuE6ELNS1_3repE0EEENS1_60segmented_radix_sort_warp_sort_medium_config_static_selectorELNS0_4arch9wavefront6targetE0EEEvSK_, .Lfunc_end614-_ZN7rocprim17ROCPRIM_400000_NS6detail17trampoline_kernelINS0_14default_configENS1_36segmented_radix_sort_config_selectorIilEEZNS1_25segmented_radix_sort_implIS3_Lb0EPKiPiPKlPlN2at6native12_GLOBAL__N_18offset_tEEE10hipError_tPvRmT1_PNSt15iterator_traitsISK_E10value_typeET2_T3_PNSL_ISQ_E10value_typeET4_jRbjT5_SW_jjP12ihipStream_tbEUlT_E0_NS1_11comp_targetILNS1_3genE2ELNS1_11target_archE906ELNS1_3gpuE6ELNS1_3repE0EEENS1_60segmented_radix_sort_warp_sort_medium_config_static_selectorELNS0_4arch9wavefront6targetE0EEEvSK_
                                        ; -- End function
	.section	.AMDGPU.csdata,"",@progbits
; Kernel info:
; codeLenInByte = 0
; NumSgprs: 0
; NumVgprs: 0
; ScratchSize: 0
; MemoryBound: 0
; FloatMode: 240
; IeeeMode: 1
; LDSByteSize: 0 bytes/workgroup (compile time only)
; SGPRBlocks: 0
; VGPRBlocks: 0
; NumSGPRsForWavesPerEU: 1
; NumVGPRsForWavesPerEU: 1
; Occupancy: 16
; WaveLimiterHint : 0
; COMPUTE_PGM_RSRC2:SCRATCH_EN: 0
; COMPUTE_PGM_RSRC2:USER_SGPR: 15
; COMPUTE_PGM_RSRC2:TRAP_HANDLER: 0
; COMPUTE_PGM_RSRC2:TGID_X_EN: 1
; COMPUTE_PGM_RSRC2:TGID_Y_EN: 0
; COMPUTE_PGM_RSRC2:TGID_Z_EN: 0
; COMPUTE_PGM_RSRC2:TIDIG_COMP_CNT: 0
	.section	.text._ZN7rocprim17ROCPRIM_400000_NS6detail17trampoline_kernelINS0_14default_configENS1_36segmented_radix_sort_config_selectorIilEEZNS1_25segmented_radix_sort_implIS3_Lb0EPKiPiPKlPlN2at6native12_GLOBAL__N_18offset_tEEE10hipError_tPvRmT1_PNSt15iterator_traitsISK_E10value_typeET2_T3_PNSL_ISQ_E10value_typeET4_jRbjT5_SW_jjP12ihipStream_tbEUlT_E0_NS1_11comp_targetILNS1_3genE10ELNS1_11target_archE1201ELNS1_3gpuE5ELNS1_3repE0EEENS1_60segmented_radix_sort_warp_sort_medium_config_static_selectorELNS0_4arch9wavefront6targetE0EEEvSK_,"axG",@progbits,_ZN7rocprim17ROCPRIM_400000_NS6detail17trampoline_kernelINS0_14default_configENS1_36segmented_radix_sort_config_selectorIilEEZNS1_25segmented_radix_sort_implIS3_Lb0EPKiPiPKlPlN2at6native12_GLOBAL__N_18offset_tEEE10hipError_tPvRmT1_PNSt15iterator_traitsISK_E10value_typeET2_T3_PNSL_ISQ_E10value_typeET4_jRbjT5_SW_jjP12ihipStream_tbEUlT_E0_NS1_11comp_targetILNS1_3genE10ELNS1_11target_archE1201ELNS1_3gpuE5ELNS1_3repE0EEENS1_60segmented_radix_sort_warp_sort_medium_config_static_selectorELNS0_4arch9wavefront6targetE0EEEvSK_,comdat
	.globl	_ZN7rocprim17ROCPRIM_400000_NS6detail17trampoline_kernelINS0_14default_configENS1_36segmented_radix_sort_config_selectorIilEEZNS1_25segmented_radix_sort_implIS3_Lb0EPKiPiPKlPlN2at6native12_GLOBAL__N_18offset_tEEE10hipError_tPvRmT1_PNSt15iterator_traitsISK_E10value_typeET2_T3_PNSL_ISQ_E10value_typeET4_jRbjT5_SW_jjP12ihipStream_tbEUlT_E0_NS1_11comp_targetILNS1_3genE10ELNS1_11target_archE1201ELNS1_3gpuE5ELNS1_3repE0EEENS1_60segmented_radix_sort_warp_sort_medium_config_static_selectorELNS0_4arch9wavefront6targetE0EEEvSK_ ; -- Begin function _ZN7rocprim17ROCPRIM_400000_NS6detail17trampoline_kernelINS0_14default_configENS1_36segmented_radix_sort_config_selectorIilEEZNS1_25segmented_radix_sort_implIS3_Lb0EPKiPiPKlPlN2at6native12_GLOBAL__N_18offset_tEEE10hipError_tPvRmT1_PNSt15iterator_traitsISK_E10value_typeET2_T3_PNSL_ISQ_E10value_typeET4_jRbjT5_SW_jjP12ihipStream_tbEUlT_E0_NS1_11comp_targetILNS1_3genE10ELNS1_11target_archE1201ELNS1_3gpuE5ELNS1_3repE0EEENS1_60segmented_radix_sort_warp_sort_medium_config_static_selectorELNS0_4arch9wavefront6targetE0EEEvSK_
	.p2align	8
	.type	_ZN7rocprim17ROCPRIM_400000_NS6detail17trampoline_kernelINS0_14default_configENS1_36segmented_radix_sort_config_selectorIilEEZNS1_25segmented_radix_sort_implIS3_Lb0EPKiPiPKlPlN2at6native12_GLOBAL__N_18offset_tEEE10hipError_tPvRmT1_PNSt15iterator_traitsISK_E10value_typeET2_T3_PNSL_ISQ_E10value_typeET4_jRbjT5_SW_jjP12ihipStream_tbEUlT_E0_NS1_11comp_targetILNS1_3genE10ELNS1_11target_archE1201ELNS1_3gpuE5ELNS1_3repE0EEENS1_60segmented_radix_sort_warp_sort_medium_config_static_selectorELNS0_4arch9wavefront6targetE0EEEvSK_,@function
_ZN7rocprim17ROCPRIM_400000_NS6detail17trampoline_kernelINS0_14default_configENS1_36segmented_radix_sort_config_selectorIilEEZNS1_25segmented_radix_sort_implIS3_Lb0EPKiPiPKlPlN2at6native12_GLOBAL__N_18offset_tEEE10hipError_tPvRmT1_PNSt15iterator_traitsISK_E10value_typeET2_T3_PNSL_ISQ_E10value_typeET4_jRbjT5_SW_jjP12ihipStream_tbEUlT_E0_NS1_11comp_targetILNS1_3genE10ELNS1_11target_archE1201ELNS1_3gpuE5ELNS1_3repE0EEENS1_60segmented_radix_sort_warp_sort_medium_config_static_selectorELNS0_4arch9wavefront6targetE0EEEvSK_: ; @_ZN7rocprim17ROCPRIM_400000_NS6detail17trampoline_kernelINS0_14default_configENS1_36segmented_radix_sort_config_selectorIilEEZNS1_25segmented_radix_sort_implIS3_Lb0EPKiPiPKlPlN2at6native12_GLOBAL__N_18offset_tEEE10hipError_tPvRmT1_PNSt15iterator_traitsISK_E10value_typeET2_T3_PNSL_ISQ_E10value_typeET4_jRbjT5_SW_jjP12ihipStream_tbEUlT_E0_NS1_11comp_targetILNS1_3genE10ELNS1_11target_archE1201ELNS1_3gpuE5ELNS1_3repE0EEENS1_60segmented_radix_sort_warp_sort_medium_config_static_selectorELNS0_4arch9wavefront6targetE0EEEvSK_
; %bb.0:
	.section	.rodata,"a",@progbits
	.p2align	6, 0x0
	.amdhsa_kernel _ZN7rocprim17ROCPRIM_400000_NS6detail17trampoline_kernelINS0_14default_configENS1_36segmented_radix_sort_config_selectorIilEEZNS1_25segmented_radix_sort_implIS3_Lb0EPKiPiPKlPlN2at6native12_GLOBAL__N_18offset_tEEE10hipError_tPvRmT1_PNSt15iterator_traitsISK_E10value_typeET2_T3_PNSL_ISQ_E10value_typeET4_jRbjT5_SW_jjP12ihipStream_tbEUlT_E0_NS1_11comp_targetILNS1_3genE10ELNS1_11target_archE1201ELNS1_3gpuE5ELNS1_3repE0EEENS1_60segmented_radix_sort_warp_sort_medium_config_static_selectorELNS0_4arch9wavefront6targetE0EEEvSK_
		.amdhsa_group_segment_fixed_size 0
		.amdhsa_private_segment_fixed_size 0
		.amdhsa_kernarg_size 88
		.amdhsa_user_sgpr_count 15
		.amdhsa_user_sgpr_dispatch_ptr 0
		.amdhsa_user_sgpr_queue_ptr 0
		.amdhsa_user_sgpr_kernarg_segment_ptr 1
		.amdhsa_user_sgpr_dispatch_id 0
		.amdhsa_user_sgpr_private_segment_size 0
		.amdhsa_wavefront_size32 1
		.amdhsa_uses_dynamic_stack 0
		.amdhsa_enable_private_segment 0
		.amdhsa_system_sgpr_workgroup_id_x 1
		.amdhsa_system_sgpr_workgroup_id_y 0
		.amdhsa_system_sgpr_workgroup_id_z 0
		.amdhsa_system_sgpr_workgroup_info 0
		.amdhsa_system_vgpr_workitem_id 0
		.amdhsa_next_free_vgpr 1
		.amdhsa_next_free_sgpr 1
		.amdhsa_reserve_vcc 0
		.amdhsa_float_round_mode_32 0
		.amdhsa_float_round_mode_16_64 0
		.amdhsa_float_denorm_mode_32 3
		.amdhsa_float_denorm_mode_16_64 3
		.amdhsa_dx10_clamp 1
		.amdhsa_ieee_mode 1
		.amdhsa_fp16_overflow 0
		.amdhsa_workgroup_processor_mode 1
		.amdhsa_memory_ordered 1
		.amdhsa_forward_progress 0
		.amdhsa_shared_vgpr_count 0
		.amdhsa_exception_fp_ieee_invalid_op 0
		.amdhsa_exception_fp_denorm_src 0
		.amdhsa_exception_fp_ieee_div_zero 0
		.amdhsa_exception_fp_ieee_overflow 0
		.amdhsa_exception_fp_ieee_underflow 0
		.amdhsa_exception_fp_ieee_inexact 0
		.amdhsa_exception_int_div_zero 0
	.end_amdhsa_kernel
	.section	.text._ZN7rocprim17ROCPRIM_400000_NS6detail17trampoline_kernelINS0_14default_configENS1_36segmented_radix_sort_config_selectorIilEEZNS1_25segmented_radix_sort_implIS3_Lb0EPKiPiPKlPlN2at6native12_GLOBAL__N_18offset_tEEE10hipError_tPvRmT1_PNSt15iterator_traitsISK_E10value_typeET2_T3_PNSL_ISQ_E10value_typeET4_jRbjT5_SW_jjP12ihipStream_tbEUlT_E0_NS1_11comp_targetILNS1_3genE10ELNS1_11target_archE1201ELNS1_3gpuE5ELNS1_3repE0EEENS1_60segmented_radix_sort_warp_sort_medium_config_static_selectorELNS0_4arch9wavefront6targetE0EEEvSK_,"axG",@progbits,_ZN7rocprim17ROCPRIM_400000_NS6detail17trampoline_kernelINS0_14default_configENS1_36segmented_radix_sort_config_selectorIilEEZNS1_25segmented_radix_sort_implIS3_Lb0EPKiPiPKlPlN2at6native12_GLOBAL__N_18offset_tEEE10hipError_tPvRmT1_PNSt15iterator_traitsISK_E10value_typeET2_T3_PNSL_ISQ_E10value_typeET4_jRbjT5_SW_jjP12ihipStream_tbEUlT_E0_NS1_11comp_targetILNS1_3genE10ELNS1_11target_archE1201ELNS1_3gpuE5ELNS1_3repE0EEENS1_60segmented_radix_sort_warp_sort_medium_config_static_selectorELNS0_4arch9wavefront6targetE0EEEvSK_,comdat
.Lfunc_end615:
	.size	_ZN7rocprim17ROCPRIM_400000_NS6detail17trampoline_kernelINS0_14default_configENS1_36segmented_radix_sort_config_selectorIilEEZNS1_25segmented_radix_sort_implIS3_Lb0EPKiPiPKlPlN2at6native12_GLOBAL__N_18offset_tEEE10hipError_tPvRmT1_PNSt15iterator_traitsISK_E10value_typeET2_T3_PNSL_ISQ_E10value_typeET4_jRbjT5_SW_jjP12ihipStream_tbEUlT_E0_NS1_11comp_targetILNS1_3genE10ELNS1_11target_archE1201ELNS1_3gpuE5ELNS1_3repE0EEENS1_60segmented_radix_sort_warp_sort_medium_config_static_selectorELNS0_4arch9wavefront6targetE0EEEvSK_, .Lfunc_end615-_ZN7rocprim17ROCPRIM_400000_NS6detail17trampoline_kernelINS0_14default_configENS1_36segmented_radix_sort_config_selectorIilEEZNS1_25segmented_radix_sort_implIS3_Lb0EPKiPiPKlPlN2at6native12_GLOBAL__N_18offset_tEEE10hipError_tPvRmT1_PNSt15iterator_traitsISK_E10value_typeET2_T3_PNSL_ISQ_E10value_typeET4_jRbjT5_SW_jjP12ihipStream_tbEUlT_E0_NS1_11comp_targetILNS1_3genE10ELNS1_11target_archE1201ELNS1_3gpuE5ELNS1_3repE0EEENS1_60segmented_radix_sort_warp_sort_medium_config_static_selectorELNS0_4arch9wavefront6targetE0EEEvSK_
                                        ; -- End function
	.section	.AMDGPU.csdata,"",@progbits
; Kernel info:
; codeLenInByte = 0
; NumSgprs: 0
; NumVgprs: 0
; ScratchSize: 0
; MemoryBound: 0
; FloatMode: 240
; IeeeMode: 1
; LDSByteSize: 0 bytes/workgroup (compile time only)
; SGPRBlocks: 0
; VGPRBlocks: 0
; NumSGPRsForWavesPerEU: 1
; NumVGPRsForWavesPerEU: 1
; Occupancy: 16
; WaveLimiterHint : 0
; COMPUTE_PGM_RSRC2:SCRATCH_EN: 0
; COMPUTE_PGM_RSRC2:USER_SGPR: 15
; COMPUTE_PGM_RSRC2:TRAP_HANDLER: 0
; COMPUTE_PGM_RSRC2:TGID_X_EN: 1
; COMPUTE_PGM_RSRC2:TGID_Y_EN: 0
; COMPUTE_PGM_RSRC2:TGID_Z_EN: 0
; COMPUTE_PGM_RSRC2:TIDIG_COMP_CNT: 0
	.section	.text._ZN7rocprim17ROCPRIM_400000_NS6detail17trampoline_kernelINS0_14default_configENS1_36segmented_radix_sort_config_selectorIilEEZNS1_25segmented_radix_sort_implIS3_Lb0EPKiPiPKlPlN2at6native12_GLOBAL__N_18offset_tEEE10hipError_tPvRmT1_PNSt15iterator_traitsISK_E10value_typeET2_T3_PNSL_ISQ_E10value_typeET4_jRbjT5_SW_jjP12ihipStream_tbEUlT_E0_NS1_11comp_targetILNS1_3genE10ELNS1_11target_archE1200ELNS1_3gpuE4ELNS1_3repE0EEENS1_60segmented_radix_sort_warp_sort_medium_config_static_selectorELNS0_4arch9wavefront6targetE0EEEvSK_,"axG",@progbits,_ZN7rocprim17ROCPRIM_400000_NS6detail17trampoline_kernelINS0_14default_configENS1_36segmented_radix_sort_config_selectorIilEEZNS1_25segmented_radix_sort_implIS3_Lb0EPKiPiPKlPlN2at6native12_GLOBAL__N_18offset_tEEE10hipError_tPvRmT1_PNSt15iterator_traitsISK_E10value_typeET2_T3_PNSL_ISQ_E10value_typeET4_jRbjT5_SW_jjP12ihipStream_tbEUlT_E0_NS1_11comp_targetILNS1_3genE10ELNS1_11target_archE1200ELNS1_3gpuE4ELNS1_3repE0EEENS1_60segmented_radix_sort_warp_sort_medium_config_static_selectorELNS0_4arch9wavefront6targetE0EEEvSK_,comdat
	.globl	_ZN7rocprim17ROCPRIM_400000_NS6detail17trampoline_kernelINS0_14default_configENS1_36segmented_radix_sort_config_selectorIilEEZNS1_25segmented_radix_sort_implIS3_Lb0EPKiPiPKlPlN2at6native12_GLOBAL__N_18offset_tEEE10hipError_tPvRmT1_PNSt15iterator_traitsISK_E10value_typeET2_T3_PNSL_ISQ_E10value_typeET4_jRbjT5_SW_jjP12ihipStream_tbEUlT_E0_NS1_11comp_targetILNS1_3genE10ELNS1_11target_archE1200ELNS1_3gpuE4ELNS1_3repE0EEENS1_60segmented_radix_sort_warp_sort_medium_config_static_selectorELNS0_4arch9wavefront6targetE0EEEvSK_ ; -- Begin function _ZN7rocprim17ROCPRIM_400000_NS6detail17trampoline_kernelINS0_14default_configENS1_36segmented_radix_sort_config_selectorIilEEZNS1_25segmented_radix_sort_implIS3_Lb0EPKiPiPKlPlN2at6native12_GLOBAL__N_18offset_tEEE10hipError_tPvRmT1_PNSt15iterator_traitsISK_E10value_typeET2_T3_PNSL_ISQ_E10value_typeET4_jRbjT5_SW_jjP12ihipStream_tbEUlT_E0_NS1_11comp_targetILNS1_3genE10ELNS1_11target_archE1200ELNS1_3gpuE4ELNS1_3repE0EEENS1_60segmented_radix_sort_warp_sort_medium_config_static_selectorELNS0_4arch9wavefront6targetE0EEEvSK_
	.p2align	8
	.type	_ZN7rocprim17ROCPRIM_400000_NS6detail17trampoline_kernelINS0_14default_configENS1_36segmented_radix_sort_config_selectorIilEEZNS1_25segmented_radix_sort_implIS3_Lb0EPKiPiPKlPlN2at6native12_GLOBAL__N_18offset_tEEE10hipError_tPvRmT1_PNSt15iterator_traitsISK_E10value_typeET2_T3_PNSL_ISQ_E10value_typeET4_jRbjT5_SW_jjP12ihipStream_tbEUlT_E0_NS1_11comp_targetILNS1_3genE10ELNS1_11target_archE1200ELNS1_3gpuE4ELNS1_3repE0EEENS1_60segmented_radix_sort_warp_sort_medium_config_static_selectorELNS0_4arch9wavefront6targetE0EEEvSK_,@function
_ZN7rocprim17ROCPRIM_400000_NS6detail17trampoline_kernelINS0_14default_configENS1_36segmented_radix_sort_config_selectorIilEEZNS1_25segmented_radix_sort_implIS3_Lb0EPKiPiPKlPlN2at6native12_GLOBAL__N_18offset_tEEE10hipError_tPvRmT1_PNSt15iterator_traitsISK_E10value_typeET2_T3_PNSL_ISQ_E10value_typeET4_jRbjT5_SW_jjP12ihipStream_tbEUlT_E0_NS1_11comp_targetILNS1_3genE10ELNS1_11target_archE1200ELNS1_3gpuE4ELNS1_3repE0EEENS1_60segmented_radix_sort_warp_sort_medium_config_static_selectorELNS0_4arch9wavefront6targetE0EEEvSK_: ; @_ZN7rocprim17ROCPRIM_400000_NS6detail17trampoline_kernelINS0_14default_configENS1_36segmented_radix_sort_config_selectorIilEEZNS1_25segmented_radix_sort_implIS3_Lb0EPKiPiPKlPlN2at6native12_GLOBAL__N_18offset_tEEE10hipError_tPvRmT1_PNSt15iterator_traitsISK_E10value_typeET2_T3_PNSL_ISQ_E10value_typeET4_jRbjT5_SW_jjP12ihipStream_tbEUlT_E0_NS1_11comp_targetILNS1_3genE10ELNS1_11target_archE1200ELNS1_3gpuE4ELNS1_3repE0EEENS1_60segmented_radix_sort_warp_sort_medium_config_static_selectorELNS0_4arch9wavefront6targetE0EEEvSK_
; %bb.0:
	.section	.rodata,"a",@progbits
	.p2align	6, 0x0
	.amdhsa_kernel _ZN7rocprim17ROCPRIM_400000_NS6detail17trampoline_kernelINS0_14default_configENS1_36segmented_radix_sort_config_selectorIilEEZNS1_25segmented_radix_sort_implIS3_Lb0EPKiPiPKlPlN2at6native12_GLOBAL__N_18offset_tEEE10hipError_tPvRmT1_PNSt15iterator_traitsISK_E10value_typeET2_T3_PNSL_ISQ_E10value_typeET4_jRbjT5_SW_jjP12ihipStream_tbEUlT_E0_NS1_11comp_targetILNS1_3genE10ELNS1_11target_archE1200ELNS1_3gpuE4ELNS1_3repE0EEENS1_60segmented_radix_sort_warp_sort_medium_config_static_selectorELNS0_4arch9wavefront6targetE0EEEvSK_
		.amdhsa_group_segment_fixed_size 0
		.amdhsa_private_segment_fixed_size 0
		.amdhsa_kernarg_size 88
		.amdhsa_user_sgpr_count 15
		.amdhsa_user_sgpr_dispatch_ptr 0
		.amdhsa_user_sgpr_queue_ptr 0
		.amdhsa_user_sgpr_kernarg_segment_ptr 1
		.amdhsa_user_sgpr_dispatch_id 0
		.amdhsa_user_sgpr_private_segment_size 0
		.amdhsa_wavefront_size32 1
		.amdhsa_uses_dynamic_stack 0
		.amdhsa_enable_private_segment 0
		.amdhsa_system_sgpr_workgroup_id_x 1
		.amdhsa_system_sgpr_workgroup_id_y 0
		.amdhsa_system_sgpr_workgroup_id_z 0
		.amdhsa_system_sgpr_workgroup_info 0
		.amdhsa_system_vgpr_workitem_id 0
		.amdhsa_next_free_vgpr 1
		.amdhsa_next_free_sgpr 1
		.amdhsa_reserve_vcc 0
		.amdhsa_float_round_mode_32 0
		.amdhsa_float_round_mode_16_64 0
		.amdhsa_float_denorm_mode_32 3
		.amdhsa_float_denorm_mode_16_64 3
		.amdhsa_dx10_clamp 1
		.amdhsa_ieee_mode 1
		.amdhsa_fp16_overflow 0
		.amdhsa_workgroup_processor_mode 1
		.amdhsa_memory_ordered 1
		.amdhsa_forward_progress 0
		.amdhsa_shared_vgpr_count 0
		.amdhsa_exception_fp_ieee_invalid_op 0
		.amdhsa_exception_fp_denorm_src 0
		.amdhsa_exception_fp_ieee_div_zero 0
		.amdhsa_exception_fp_ieee_overflow 0
		.amdhsa_exception_fp_ieee_underflow 0
		.amdhsa_exception_fp_ieee_inexact 0
		.amdhsa_exception_int_div_zero 0
	.end_amdhsa_kernel
	.section	.text._ZN7rocprim17ROCPRIM_400000_NS6detail17trampoline_kernelINS0_14default_configENS1_36segmented_radix_sort_config_selectorIilEEZNS1_25segmented_radix_sort_implIS3_Lb0EPKiPiPKlPlN2at6native12_GLOBAL__N_18offset_tEEE10hipError_tPvRmT1_PNSt15iterator_traitsISK_E10value_typeET2_T3_PNSL_ISQ_E10value_typeET4_jRbjT5_SW_jjP12ihipStream_tbEUlT_E0_NS1_11comp_targetILNS1_3genE10ELNS1_11target_archE1200ELNS1_3gpuE4ELNS1_3repE0EEENS1_60segmented_radix_sort_warp_sort_medium_config_static_selectorELNS0_4arch9wavefront6targetE0EEEvSK_,"axG",@progbits,_ZN7rocprim17ROCPRIM_400000_NS6detail17trampoline_kernelINS0_14default_configENS1_36segmented_radix_sort_config_selectorIilEEZNS1_25segmented_radix_sort_implIS3_Lb0EPKiPiPKlPlN2at6native12_GLOBAL__N_18offset_tEEE10hipError_tPvRmT1_PNSt15iterator_traitsISK_E10value_typeET2_T3_PNSL_ISQ_E10value_typeET4_jRbjT5_SW_jjP12ihipStream_tbEUlT_E0_NS1_11comp_targetILNS1_3genE10ELNS1_11target_archE1200ELNS1_3gpuE4ELNS1_3repE0EEENS1_60segmented_radix_sort_warp_sort_medium_config_static_selectorELNS0_4arch9wavefront6targetE0EEEvSK_,comdat
.Lfunc_end616:
	.size	_ZN7rocprim17ROCPRIM_400000_NS6detail17trampoline_kernelINS0_14default_configENS1_36segmented_radix_sort_config_selectorIilEEZNS1_25segmented_radix_sort_implIS3_Lb0EPKiPiPKlPlN2at6native12_GLOBAL__N_18offset_tEEE10hipError_tPvRmT1_PNSt15iterator_traitsISK_E10value_typeET2_T3_PNSL_ISQ_E10value_typeET4_jRbjT5_SW_jjP12ihipStream_tbEUlT_E0_NS1_11comp_targetILNS1_3genE10ELNS1_11target_archE1200ELNS1_3gpuE4ELNS1_3repE0EEENS1_60segmented_radix_sort_warp_sort_medium_config_static_selectorELNS0_4arch9wavefront6targetE0EEEvSK_, .Lfunc_end616-_ZN7rocprim17ROCPRIM_400000_NS6detail17trampoline_kernelINS0_14default_configENS1_36segmented_radix_sort_config_selectorIilEEZNS1_25segmented_radix_sort_implIS3_Lb0EPKiPiPKlPlN2at6native12_GLOBAL__N_18offset_tEEE10hipError_tPvRmT1_PNSt15iterator_traitsISK_E10value_typeET2_T3_PNSL_ISQ_E10value_typeET4_jRbjT5_SW_jjP12ihipStream_tbEUlT_E0_NS1_11comp_targetILNS1_3genE10ELNS1_11target_archE1200ELNS1_3gpuE4ELNS1_3repE0EEENS1_60segmented_radix_sort_warp_sort_medium_config_static_selectorELNS0_4arch9wavefront6targetE0EEEvSK_
                                        ; -- End function
	.section	.AMDGPU.csdata,"",@progbits
; Kernel info:
; codeLenInByte = 0
; NumSgprs: 0
; NumVgprs: 0
; ScratchSize: 0
; MemoryBound: 0
; FloatMode: 240
; IeeeMode: 1
; LDSByteSize: 0 bytes/workgroup (compile time only)
; SGPRBlocks: 0
; VGPRBlocks: 0
; NumSGPRsForWavesPerEU: 1
; NumVGPRsForWavesPerEU: 1
; Occupancy: 16
; WaveLimiterHint : 0
; COMPUTE_PGM_RSRC2:SCRATCH_EN: 0
; COMPUTE_PGM_RSRC2:USER_SGPR: 15
; COMPUTE_PGM_RSRC2:TRAP_HANDLER: 0
; COMPUTE_PGM_RSRC2:TGID_X_EN: 1
; COMPUTE_PGM_RSRC2:TGID_Y_EN: 0
; COMPUTE_PGM_RSRC2:TGID_Z_EN: 0
; COMPUTE_PGM_RSRC2:TIDIG_COMP_CNT: 0
	.text
	.p2align	2                               ; -- Begin function _ZN7rocprim17ROCPRIM_400000_NS6detail26segmented_warp_sort_helperINS1_20WarpSortHelperConfigILj16ELj8ELj256EEEilLi256ELb0EvE4sortIPKiPiPKlPlEEvT_T0_T1_T2_jjjjRNS5_12storage_typeE
	.type	_ZN7rocprim17ROCPRIM_400000_NS6detail26segmented_warp_sort_helperINS1_20WarpSortHelperConfigILj16ELj8ELj256EEEilLi256ELb0EvE4sortIPKiPiPKlPlEEvT_T0_T1_T2_jjjjRNS5_12storage_typeE,@function
_ZN7rocprim17ROCPRIM_400000_NS6detail26segmented_warp_sort_helperINS1_20WarpSortHelperConfigILj16ELj8ELj256EEEilLi256ELb0EvE4sortIPKiPiPKlPlEEvT_T0_T1_T2_jjjjRNS5_12storage_typeE: ; @_ZN7rocprim17ROCPRIM_400000_NS6detail26segmented_warp_sort_helperINS1_20WarpSortHelperConfigILj16ELj8ELj256EEEilLi256ELb0EvE4sortIPKiPiPKlPlEEvT_T0_T1_T2_jjjjRNS5_12storage_typeE
; %bb.0:
	s_waitcnt vmcnt(0) expcnt(0) lgkmcnt(0)
	v_mov_b32_e32 v12, v9
	v_mbcnt_lo_u32_b32 v9, -1, 0
	s_brev_b32 s0, -2
	s_delay_alu instid0(SALU_CYCLE_1)
	s_mov_b32 s1, s0
	s_mov_b32 s2, s0
	;; [unrolled: 1-line block ×7, first 2 shown]
	s_delay_alu instid0(SALU_CYCLE_1) | instskip(SKIP_2) | instid1(VALU_DEP_3)
	v_dual_mov_b32 v27, s7 :: v_dual_lshlrev_b32 v82, 3, v9
	v_dual_mov_b32 v9, 0 :: v_dual_mov_b32 v26, s6
	v_sub_nc_u32_e32 v12, v12, v8
	v_and_b32_e32 v83, 0x78, v82
	v_mov_b32_e32 v25, s5
	s_delay_alu instid0(VALU_DEP_4) | instskip(SKIP_1) | instid1(VALU_DEP_4)
	v_lshlrev_b64 v[54:55], 2, v[8:9]
	v_dual_mov_b32 v24, s4 :: v_dual_mov_b32 v23, s3
	v_lshlrev_b32_e32 v80, 2, v83
	v_dual_mov_b32 v22, s2 :: v_dual_mov_b32 v21, s1
	s_delay_alu instid0(VALU_DEP_4) | instskip(SKIP_2) | instid1(VALU_DEP_3)
	v_add_co_u32 v0, vcc_lo, v0, v54
	v_add_co_ci_u32_e32 v1, vcc_lo, v1, v55, vcc_lo
	v_mov_b32_e32 v20, s0
	v_add_co_u32 v0, vcc_lo, v0, v80
	s_delay_alu instid0(VALU_DEP_3)
	v_add_co_ci_u32_e32 v1, vcc_lo, 0, v1, vcc_lo
	v_cmp_lt_u32_e32 vcc_lo, v83, v12
	s_and_saveexec_b32 s0, vcc_lo
	s_cbranch_execz .LBB617_2
; %bb.1:
	flat_load_b32 v20, v[0:1]
	v_bfrev_b32_e32 v21, -2
	s_delay_alu instid0(VALU_DEP_1)
	v_mov_b32_e32 v22, v21
	v_mov_b32_e32 v23, v21
	;; [unrolled: 1-line block ×6, first 2 shown]
.LBB617_2:
	s_or_b32 exec_lo, exec_lo, s0
	v_or_b32_e32 v13, 1, v83
	s_delay_alu instid0(VALU_DEP_1) | instskip(NEXT) | instid1(VALU_DEP_1)
	v_cmp_lt_u32_e64 s0, v13, v12
	s_and_saveexec_b32 s1, s0
	s_cbranch_execz .LBB617_4
; %bb.3:
	flat_load_b32 v21, v[0:1] offset:4
.LBB617_4:
	s_or_b32 exec_lo, exec_lo, s1
	v_or_b32_e32 v13, 2, v83
	s_delay_alu instid0(VALU_DEP_1) | instskip(NEXT) | instid1(VALU_DEP_1)
	v_cmp_lt_u32_e64 s1, v13, v12
	s_and_saveexec_b32 s2, s1
	s_cbranch_execz .LBB617_6
; %bb.5:
	flat_load_b32 v22, v[0:1] offset:8
.LBB617_6:
	;; [unrolled: 9-line block ×7, first 2 shown]
	s_or_b32 exec_lo, exec_lo, s7
	v_lshlrev_b64 v[0:1], 3, v[8:9]
	v_lshlrev_b32_e32 v81, 3, v83
	; wave barrier
	s_delay_alu instid0(VALU_DEP_2) | instskip(NEXT) | instid1(VALU_DEP_1)
	v_add_co_u32 v4, s7, v4, v0
	v_add_co_ci_u32_e64 v5, s7, v5, v1, s7
	s_delay_alu instid0(VALU_DEP_2) | instskip(NEXT) | instid1(VALU_DEP_1)
	v_add_co_u32 v8, s7, v4, v81
	v_add_co_ci_u32_e64 v9, s7, 0, v5, s7
                                        ; implicit-def: $vgpr4_vgpr5
	s_and_saveexec_b32 s7, vcc_lo
	s_cbranch_execnz .LBB617_235
; %bb.17:
	s_or_b32 exec_lo, exec_lo, s7
	s_and_saveexec_b32 s7, s0
                                        ; implicit-def: $vgpr32_vgpr33_vgpr34_vgpr35
	s_cbranch_execnz .LBB617_236
.LBB617_18:
	s_or_b32 exec_lo, exec_lo, s7
                                        ; implicit-def: $vgpr64_vgpr65
	s_and_saveexec_b32 s7, s1
	s_cbranch_execnz .LBB617_237
.LBB617_19:
	s_or_b32 exec_lo, exec_lo, s7
	s_and_saveexec_b32 s7, s2
                                        ; implicit-def: $vgpr50_vgpr51_vgpr52_vgpr53
	s_cbranch_execnz .LBB617_238
.LBB617_20:
	s_or_b32 exec_lo, exec_lo, s7
                                        ; implicit-def: $vgpr66_vgpr67
	s_and_saveexec_b32 s7, s3
	s_cbranch_execnz .LBB617_239
.LBB617_21:
	s_or_b32 exec_lo, exec_lo, s7
	s_and_saveexec_b32 s7, s4
                                        ; implicit-def: $vgpr48_vgpr49_vgpr50_vgpr51
	s_cbranch_execnz .LBB617_240
.LBB617_22:
	s_or_b32 exec_lo, exec_lo, s7
                                        ; implicit-def: $vgpr48_vgpr49
	s_and_saveexec_b32 s7, s5
	s_cbranch_execnz .LBB617_241
.LBB617_23:
	s_or_b32 exec_lo, exec_lo, s7
	s_and_saveexec_b32 s7, s6
                                        ; implicit-def: $vgpr36_vgpr37_vgpr38_vgpr39
	s_cbranch_execz .LBB617_25
.LBB617_24:
	flat_load_b64 v[38:39], v[8:9] offset:56
.LBB617_25:
	s_or_b32 exec_lo, exec_lo, s7
	v_cmp_ne_u32_e64 s7, 0, v10
	v_cmp_ne_u32_e64 s10, 32, v11
	v_bfe_u32 v9, v31, 10, 10
	v_bfe_u32 v28, v31, 20, 10
	v_and_b32_e32 v8, 0x3ff, v31
	s_delay_alu instid0(VALU_DEP_4) | instskip(NEXT) | instid1(SALU_CYCLE_1)
	s_or_b32 s7, s7, s10
	; wave barrier
                                        ; implicit-def: $vgpr12_vgpr13_vgpr14_vgpr15_vgpr16_vgpr17_vgpr18_vgpr19
	s_and_saveexec_b32 s10, s7
	s_delay_alu instid0(SALU_CYCLE_1)
	s_xor_b32 s21, exec_lo, s10
	s_cbranch_execz .LBB617_121
; %bb.26:
	s_load_b64 s[10:11], s[8:9], 0x0
	v_mov_b32_e32 v12, 0
	v_lshlrev_b32_e64 v11, v11, -1
	v_lshlrev_b32_e64 v10, v10, -1
	s_delay_alu instid0(VALU_DEP_1) | instskip(SKIP_3) | instid1(SALU_CYCLE_1)
	v_xor_b32_e32 v84, v11, v10
	s_waitcnt lgkmcnt(0)
	s_cmp_lt_u32 s13, s11
	s_cselect_b32 s7, 14, 20
	s_add_u32 s14, s8, s7
	s_addc_u32 s15, s9, 0
	s_cmp_lt_u32 s12, s10
	global_load_u16 v13, v12, s[14:15]
	s_cselect_b32 s7, 12, 18
	s_delay_alu instid0(SALU_CYCLE_1)
	s_add_u32 s10, s8, s7
	s_addc_u32 s11, s9, 0
	global_load_u16 v12, v12, s[10:11]
	s_mov_b32 s11, exec_lo
	s_waitcnt vmcnt(1)
	v_mad_u32_u24 v9, v28, v13, v9
	s_waitcnt vmcnt(0)
	s_delay_alu instid0(VALU_DEP_1)
	v_mul_lo_u32 v9, v9, v12
	v_dual_mov_b32 v12, v20 :: v_dual_mov_b32 v15, v23
	v_dual_mov_b32 v13, v21 :: v_dual_mov_b32 v14, v22
	;; [unrolled: 1-line block ×3, first 2 shown]
	v_mov_b32_e32 v19, v27
	v_add_lshl_u32 v85, v9, v8, 3
	v_mov_b32_e32 v18, v26
	s_delay_alu instid0(VALU_DEP_2)
	v_cmpx_gt_u32_e32 0x800, v85
	s_cbranch_execz .LBB617_80
; %bb.27:
	v_dual_mov_b32 v69, v35 :: v_dual_and_b32 v16, v21, v84
	v_dual_mov_b32 v8, v20 :: v_dual_mov_b32 v9, v21
	v_dual_mov_b32 v68, v34 :: v_dual_and_b32 v17, v20, v84
	v_dual_mov_b32 v10, v22 :: v_dual_mov_b32 v11, v23
	v_dual_mov_b32 v12, v24 :: v_dual_mov_b32 v13, v25
	;; [unrolled: 1-line block ×3, first 2 shown]
	v_mov_b32_e32 v86, v20
	s_mov_b32 s10, exec_lo
	v_cmpx_gt_u32_e64 v17, v16
; %bb.28:
	v_dual_mov_b32 v8, v21 :: v_dual_mov_b32 v9, v20
	v_dual_mov_b32 v10, v22 :: v_dual_mov_b32 v11, v23
	;; [unrolled: 1-line block ×7, first 2 shown]
; %bb.29:
	s_or_b32 exec_lo, exec_lo, s10
	v_dual_mov_b32 v71, v53 :: v_dual_and_b32 v16, v11, v84
	v_dual_mov_b32 v29, v15 :: v_dual_mov_b32 v28, v14
	v_dual_mov_b32 v70, v52 :: v_dual_and_b32 v17, v10, v84
	v_dual_mov_b32 v27, v13 :: v_dual_mov_b32 v26, v12
	v_dual_mov_b32 v25, v11 :: v_dual_mov_b32 v24, v10
	;; [unrolled: 1-line block ×3, first 2 shown]
	v_mov_b32_e32 v20, v11
	s_mov_b32 s10, exec_lo
	v_cmpx_gt_u32_e64 v17, v16
; %bb.30:
	v_dual_mov_b32 v22, v8 :: v_dual_mov_b32 v23, v9
	v_dual_mov_b32 v24, v11 :: v_dual_mov_b32 v25, v10
	;; [unrolled: 1-line block ×6, first 2 shown]
	v_mov_b32_e32 v20, v10
	v_mov_b32_e32 v10, v11
; %bb.31:
	s_or_b32 exec_lo, exec_lo, s10
	v_dual_mov_b32 v8, v66 :: v_dual_and_b32 v11, v27, v84
	v_dual_mov_b32 v37, v29 :: v_dual_mov_b32 v36, v28
	v_dual_mov_b32 v9, v67 :: v_dual_and_b32 v12, v26, v84
	v_dual_mov_b32 v35, v27 :: v_dual_mov_b32 v34, v26
	v_dual_mov_b32 v33, v25 :: v_dual_mov_b32 v32, v24
	;; [unrolled: 1-line block ×3, first 2 shown]
	v_mov_b32_e32 v52, v27
	s_mov_b32 s10, exec_lo
	v_cmpx_gt_u32_e64 v12, v11
; %bb.32:
	v_dual_mov_b32 v30, v22 :: v_dual_mov_b32 v31, v23
	v_dual_mov_b32 v32, v24 :: v_dual_mov_b32 v33, v25
	;; [unrolled: 1-line block ×6, first 2 shown]
	v_mov_b32_e32 v52, v26
	v_mov_b32_e32 v26, v27
; %bb.33:
	s_or_b32 exec_lo, exec_lo, s10
	v_dual_mov_b32 v22, v48 :: v_dual_and_b32 v11, v37, v84
	v_dual_mov_b32 v12, v30 :: v_dual_mov_b32 v13, v31
	v_dual_mov_b32 v23, v49 :: v_dual_and_b32 v24, v36, v84
	v_dual_mov_b32 v14, v32 :: v_dual_mov_b32 v15, v33
	v_dual_mov_b32 v16, v34 :: v_dual_mov_b32 v17, v35
	;; [unrolled: 1-line block ×3, first 2 shown]
	v_mov_b32_e32 v53, v37
	s_mov_b32 s10, exec_lo
	v_cmpx_gt_u32_e64 v24, v11
; %bb.34:
	v_dual_mov_b32 v12, v30 :: v_dual_mov_b32 v13, v31
	v_dual_mov_b32 v14, v32 :: v_dual_mov_b32 v15, v33
	;; [unrolled: 1-line block ×7, first 2 shown]
; %bb.35:
	s_or_b32 exec_lo, exec_lo, s10
	v_dual_mov_b32 v24, v64 :: v_dual_and_b32 v11, v10, v84
	v_dual_mov_b32 v32, v10 :: v_dual_and_b32 v27, v21, v84
	v_mov_b32_e32 v25, v65
	s_delay_alu instid0(VALU_DEP_2) | instskip(NEXT) | instid1(VALU_DEP_1)
	v_cmp_gt_u32_e64 s7, v27, v11
	s_and_saveexec_b32 s10, s7
	s_delay_alu instid0(SALU_CYCLE_1)
	s_xor_b32 s7, exec_lo, s10
; %bb.36:
	v_dual_mov_b32 v13, v10 :: v_dual_mov_b32 v14, v21
	v_dual_mov_b32 v24, v68 :: v_dual_mov_b32 v25, v69
	;; [unrolled: 1-line block ×4, first 2 shown]
; %bb.37:
	s_or_b32 exec_lo, exec_lo, s7
	v_dual_mov_b32 v28, v70 :: v_dual_and_b32 v11, v20, v84
	v_dual_mov_b32 v29, v71 :: v_dual_and_b32 v10, v26, v84
	v_mov_b32_e32 v35, v26
	s_mov_b32 s10, exec_lo
	s_delay_alu instid0(VALU_DEP_2)
	v_cmpx_gt_u32_e64 v11, v10
; %bb.38:
	v_dual_mov_b32 v15, v26 :: v_dual_mov_b32 v16, v20
	v_dual_mov_b32 v29, v9 :: v_dual_mov_b32 v28, v8
	v_dual_mov_b32 v8, v70 :: v_dual_mov_b32 v9, v71
	v_dual_mov_b32 v35, v20 :: v_dual_mov_b32 v20, v26
; %bb.39:
	s_or_b32 exec_lo, exec_lo, s10
	v_dual_mov_b32 v10, v50 :: v_dual_and_b32 v27, v52, v84
	v_dual_mov_b32 v11, v51 :: v_dual_and_b32 v26, v36, v84
	v_mov_b32_e32 v37, v36
	s_mov_b32 s10, exec_lo
	s_delay_alu instid0(VALU_DEP_2)
	v_cmpx_gt_u32_e64 v27, v26
; %bb.40:
	v_dual_mov_b32 v17, v36 :: v_dual_mov_b32 v10, v22
	v_dual_mov_b32 v18, v52 :: v_dual_mov_b32 v11, v23
	v_dual_mov_b32 v22, v50 :: v_dual_mov_b32 v23, v51
	v_mov_b32_e32 v37, v52
	v_mov_b32_e32 v52, v36
; %bb.41:
	s_or_b32 exec_lo, exec_lo, s10
	v_dual_mov_b32 v26, v68 :: v_dual_and_b32 v31, v86, v84
	v_and_b32_e32 v30, v21, v84
	v_dual_mov_b32 v27, v69 :: v_dual_mov_b32 v34, v86
	s_mov_b32 s10, exec_lo
	s_delay_alu instid0(VALU_DEP_2)
	v_cmpx_gt_u32_e64 v31, v30
; %bb.42:
	v_dual_mov_b32 v12, v21 :: v_dual_mov_b32 v13, v86
	v_dual_mov_b32 v27, v5 :: v_dual_mov_b32 v26, v4
	;; [unrolled: 1-line block ×4, first 2 shown]
; %bb.43:
	s_or_b32 exec_lo, exec_lo, s10
	v_and_b32_e32 v33, v20, v84
	v_dual_mov_b32 v31, v29 :: v_dual_and_b32 v36, v32, v84
	v_mov_b32_e32 v30, v28
	s_delay_alu instid0(VALU_DEP_2) | instskip(SKIP_1) | instid1(VALU_DEP_2)
	v_cmp_gt_u32_e64 s7, v36, v33
	v_mov_b32_e32 v36, v20
	s_and_saveexec_b32 s10, s7
; %bb.44:
	v_dual_mov_b32 v14, v20 :: v_dual_mov_b32 v31, v25
	v_mov_b32_e32 v30, v24
	v_dual_mov_b32 v24, v28 :: v_dual_mov_b32 v25, v29
	v_mov_b32_e32 v15, v32
	v_mov_b32_e32 v36, v32
	;; [unrolled: 1-line block ×3, first 2 shown]
; %bb.45:
	s_or_b32 exec_lo, exec_lo, s10
	v_dual_mov_b32 v29, v9 :: v_dual_and_b32 v20, v52, v84
	v_dual_mov_b32 v28, v8 :: v_dual_and_b32 v33, v35, v84
	v_mov_b32_e32 v48, v52
	s_mov_b32 s10, exec_lo
	s_delay_alu instid0(VALU_DEP_2)
	v_cmpx_gt_u32_e64 v33, v20
; %bb.46:
	v_dual_mov_b32 v16, v52 :: v_dual_mov_b32 v17, v35
	v_dual_mov_b32 v29, v11 :: v_dual_mov_b32 v28, v10
	;; [unrolled: 1-line block ×4, first 2 shown]
; %bb.47:
	s_or_b32 exec_lo, exec_lo, s10
	v_and_b32_e32 v20, v53, v84
	v_dual_mov_b32 v8, v22 :: v_dual_and_b32 v33, v37, v84
	v_mov_b32_e32 v9, v23
	s_delay_alu instid0(VALU_DEP_2) | instskip(SKIP_1) | instid1(VALU_DEP_2)
	v_cmp_gt_u32_e64 s7, v33, v20
	v_mov_b32_e32 v20, v53
	s_and_saveexec_b32 s10, s7
; %bb.48:
	v_dual_mov_b32 v19, v37 :: v_dual_mov_b32 v8, v38
	v_dual_mov_b32 v18, v53 :: v_dual_mov_b32 v9, v39
	;; [unrolled: 1-line block ×3, first 2 shown]
	v_mov_b32_e32 v20, v37
	v_mov_b32_e32 v37, v53
; %bb.49:
	s_or_b32 exec_lo, exec_lo, s10
	v_and_b32_e32 v33, v32, v84
	v_dual_mov_b32 v22, v24 :: v_dual_and_b32 v49, v21, v84
	v_mov_b32_e32 v23, v25
	s_delay_alu instid0(VALU_DEP_2) | instskip(SKIP_1) | instid1(VALU_DEP_2)
	v_cmp_gt_u32_e64 s7, v49, v33
	v_mov_b32_e32 v49, v32
	s_and_saveexec_b32 s10, s7
; %bb.50:
	v_dual_mov_b32 v13, v32 :: v_dual_mov_b32 v14, v21
	v_dual_mov_b32 v22, v26 :: v_dual_mov_b32 v23, v27
	;; [unrolled: 1-line block ×3, first 2 shown]
	v_mov_b32_e32 v49, v21
	v_mov_b32_e32 v21, v32
; %bb.51:
	s_or_b32 exec_lo, exec_lo, s10
	v_mov_b32_e32 v33, v31
	v_and_b32_e32 v24, v35, v84
	v_dual_mov_b32 v32, v30 :: v_dual_and_b32 v25, v36, v84
	v_mov_b32_e32 v50, v35
	s_mov_b32 s10, exec_lo
	s_delay_alu instid0(VALU_DEP_2)
	v_cmpx_gt_u32_e64 v25, v24
; %bb.52:
	v_dual_mov_b32 v15, v35 :: v_dual_mov_b32 v16, v36
	v_dual_mov_b32 v33, v29 :: v_dual_mov_b32 v32, v28
	;; [unrolled: 1-line block ×3, first 2 shown]
	v_mov_b32_e32 v50, v36
	v_mov_b32_e32 v36, v35
; %bb.53:
	s_or_b32 exec_lo, exec_lo, s10
	v_dual_mov_b32 v25, v11 :: v_dual_and_b32 v30, v37, v84
	v_dual_mov_b32 v24, v10 :: v_dual_and_b32 v31, v48, v84
	v_mov_b32_e32 v52, v37
	s_mov_b32 s10, exec_lo
	s_delay_alu instid0(VALU_DEP_2)
	v_cmpx_gt_u32_e64 v31, v30
; %bb.54:
	v_dual_mov_b32 v17, v37 :: v_dual_mov_b32 v18, v48
	v_dual_mov_b32 v25, v9 :: v_dual_mov_b32 v24, v8
	;; [unrolled: 1-line block ×3, first 2 shown]
	v_mov_b32_e32 v52, v48
	v_mov_b32_e32 v48, v37
; %bb.55:
	s_or_b32 exec_lo, exec_lo, s10
	v_mov_b32_e32 v10, v26
	v_dual_mov_b32 v11, v27 :: v_dual_and_b32 v30, v21, v84
	v_and_b32_e32 v31, v34, v84
	v_mov_b32_e32 v35, v34
	s_mov_b32 s10, exec_lo
	s_delay_alu instid0(VALU_DEP_2)
	v_cmpx_gt_u32_e64 v31, v30
; %bb.56:
	v_dual_mov_b32 v12, v21 :: v_dual_mov_b32 v13, v34
	v_dual_mov_b32 v11, v5 :: v_dual_mov_b32 v10, v4
	;; [unrolled: 1-line block ×3, first 2 shown]
	v_mov_b32_e32 v35, v21
	v_mov_b32_e32 v21, v34
; %bb.57:
	s_or_b32 exec_lo, exec_lo, s10
	v_dual_mov_b32 v30, v32 :: v_dual_and_b32 v27, v49, v84
	v_dual_mov_b32 v31, v33 :: v_dual_and_b32 v26, v36, v84
	v_mov_b32_e32 v37, v36
	s_mov_b32 s10, exec_lo
	s_delay_alu instid0(VALU_DEP_2)
	v_cmpx_gt_u32_e64 v27, v26
; %bb.58:
	v_dual_mov_b32 v14, v36 :: v_dual_mov_b32 v15, v49
	v_dual_mov_b32 v31, v23 :: v_dual_mov_b32 v30, v22
	;; [unrolled: 1-line block ×3, first 2 shown]
	v_mov_b32_e32 v37, v49
	v_mov_b32_e32 v49, v36
; %bb.59:
	s_or_b32 exec_lo, exec_lo, s10
	v_dual_mov_b32 v26, v28 :: v_dual_and_b32 v33, v50, v84
	v_dual_mov_b32 v27, v29 :: v_dual_and_b32 v32, v48, v84
	v_mov_b32_e32 v36, v48
	s_mov_b32 s10, exec_lo
	s_delay_alu instid0(VALU_DEP_2)
	v_cmpx_gt_u32_e64 v33, v32
; %bb.60:
	v_dual_mov_b32 v16, v48 :: v_dual_mov_b32 v17, v50
	v_dual_mov_b32 v27, v25 :: v_dual_mov_b32 v26, v24
	;; [unrolled: 1-line block ×3, first 2 shown]
	v_mov_b32_e32 v36, v50
	v_mov_b32_e32 v50, v48
; %bb.61:
	s_or_b32 exec_lo, exec_lo, s10
	v_dual_mov_b32 v29, v9 :: v_dual_and_b32 v32, v20, v84
	v_and_b32_e32 v33, v52, v84
	v_mov_b32_e32 v28, v8
	v_mov_b32_e32 v34, v20
	s_mov_b32 s10, exec_lo
	s_delay_alu instid0(VALU_DEP_3)
	v_cmpx_gt_u32_e64 v33, v32
; %bb.62:
	v_dual_mov_b32 v19, v52 :: v_dual_mov_b32 v28, v38
	v_dual_mov_b32 v18, v20 :: v_dual_mov_b32 v29, v39
	v_dual_mov_b32 v39, v9 :: v_dual_mov_b32 v38, v8
	v_mov_b32_e32 v34, v52
	v_mov_b32_e32 v52, v20
; %bb.63:
	s_or_b32 exec_lo, exec_lo, s10
	v_mov_b32_e32 v8, v22
	v_dual_mov_b32 v9, v23 :: v_dual_and_b32 v20, v49, v84
	v_and_b32_e32 v32, v21, v84
	v_mov_b32_e32 v48, v49
	s_mov_b32 s10, exec_lo
	s_delay_alu instid0(VALU_DEP_2)
	v_cmpx_gt_u32_e64 v32, v20
; %bb.64:
	v_dual_mov_b32 v13, v49 :: v_dual_mov_b32 v8, v10
	v_dual_mov_b32 v14, v21 :: v_dual_mov_b32 v9, v11
	;; [unrolled: 1-line block ×3, first 2 shown]
	v_mov_b32_e32 v48, v21
	v_mov_b32_e32 v21, v49
; %bb.65:
	s_or_b32 exec_lo, exec_lo, s10
	v_dual_mov_b32 v33, v31 :: v_dual_and_b32 v20, v50, v84
	v_dual_mov_b32 v49, v50 :: v_dual_and_b32 v22, v37, v84
	v_mov_b32_e32 v32, v30
	s_mov_b32 s10, exec_lo
	s_delay_alu instid0(VALU_DEP_2)
	v_cmpx_gt_u32_e64 v22, v20
; %bb.66:
	v_dual_mov_b32 v15, v50 :: v_dual_mov_b32 v16, v37
	v_dual_mov_b32 v33, v27 :: v_dual_mov_b32 v32, v26
	;; [unrolled: 1-line block ×3, first 2 shown]
	v_mov_b32_e32 v49, v37
	v_mov_b32_e32 v37, v50
; %bb.67:
	s_or_b32 exec_lo, exec_lo, s10
	v_dual_mov_b32 v51, v25 :: v_dual_and_b32 v20, v52, v84
	v_and_b32_e32 v22, v36, v84
	v_mov_b32_e32 v50, v24
	v_mov_b32_e32 v30, v52
	s_mov_b32 s10, exec_lo
	s_delay_alu instid0(VALU_DEP_3)
	v_cmpx_gt_u32_e64 v22, v20
; %bb.68:
	v_dual_mov_b32 v18, v36 :: v_dual_mov_b32 v51, v29
	v_dual_mov_b32 v50, v28 :: v_dual_mov_b32 v29, v25
	v_mov_b32_e32 v17, v52
	v_mov_b32_e32 v28, v24
	;; [unrolled: 1-line block ×4, first 2 shown]
; %bb.69:
	s_or_b32 exec_lo, exec_lo, s10
	v_dual_mov_b32 v23, v11 :: v_dual_and_b32 v20, v21, v84
	v_and_b32_e32 v24, v35, v84
	v_mov_b32_e32 v22, v10
	s_delay_alu instid0(VALU_DEP_2) | instskip(SKIP_1) | instid1(VALU_DEP_2)
	v_cmp_gt_u32_e64 s7, v24, v20
	v_mov_b32_e32 v20, v35
	s_and_saveexec_b32 s10, s7
; %bb.70:
	v_dual_mov_b32 v12, v21 :: v_dual_mov_b32 v13, v35
	v_dual_mov_b32 v23, v5 :: v_dual_mov_b32 v22, v4
	;; [unrolled: 1-line block ×4, first 2 shown]
; %bb.71:
	s_or_b32 exec_lo, exec_lo, s10
	v_and_b32_e32 v24, v37, v84
	v_and_b32_e32 v25, v48, v84
	v_dual_mov_b32 v10, v32 :: v_dual_mov_b32 v11, v33
	v_mov_b32_e32 v31, v37
	s_mov_b32 s10, exec_lo
	s_delay_alu instid0(VALU_DEP_3)
	v_cmpx_gt_u32_e64 v25, v24
; %bb.72:
	v_dual_mov_b32 v14, v37 :: v_dual_mov_b32 v15, v48
	v_dual_mov_b32 v11, v9 :: v_dual_mov_b32 v10, v8
	;; [unrolled: 1-line block ×4, first 2 shown]
; %bb.73:
	s_or_b32 exec_lo, exec_lo, s10
	v_and_b32_e32 v32, v36, v84
	v_dual_mov_b32 v24, v26 :: v_dual_and_b32 v33, v49, v84
	v_mov_b32_e32 v25, v27
	s_delay_alu instid0(VALU_DEP_2) | instskip(SKIP_1) | instid1(VALU_DEP_2)
	v_cmp_gt_u32_e64 s7, v33, v32
	v_mov_b32_e32 v32, v36
	s_and_saveexec_b32 s10, s7
; %bb.74:
	v_dual_mov_b32 v16, v36 :: v_dual_mov_b32 v17, v49
	v_dual_mov_b32 v24, v50 :: v_dual_mov_b32 v25, v51
	;; [unrolled: 1-line block ×4, first 2 shown]
; %bb.75:
	s_or_b32 exec_lo, exec_lo, s10
	v_dual_mov_b32 v26, v28 :: v_dual_and_b32 v35, v34, v84
	v_and_b32_e32 v33, v30, v84
	v_mov_b32_e32 v27, v29
	s_mov_b32 s10, exec_lo
	s_delay_alu instid0(VALU_DEP_2)
	v_cmpx_gt_u32_e64 v33, v35
; %bb.76:
	v_dual_mov_b32 v26, v38 :: v_dual_mov_b32 v27, v39
	v_dual_mov_b32 v39, v29 :: v_dual_mov_b32 v18, v34
	v_mov_b32_e32 v33, v35
	v_dual_mov_b32 v19, v30 :: v_dual_mov_b32 v38, v28
	v_mov_b32_e32 v30, v34
; %bb.77:
	s_or_b32 exec_lo, exec_lo, s10
	v_and_b32_e32 v28, v48, v84
	v_and_b32_e32 v29, v21, v84
	s_delay_alu instid0(VALU_DEP_1) | instskip(SKIP_2) | instid1(VALU_DEP_3)
	v_cmp_gt_u32_e64 s7, v29, v28
	v_and_b32_e32 v28, v49, v84
	v_and_b32_e32 v29, v31, v84
	v_cndmask_b32_e64 v13, v13, v48, s7
	v_cndmask_b32_e64 v65, v9, v23, s7
	s_delay_alu instid0(VALU_DEP_3)
	v_cmp_gt_u32_e64 s10, v29, v28
	v_cndmask_b32_e64 v64, v8, v22, s7
	v_cndmask_b32_e64 v35, v23, v9, s7
	;; [unrolled: 1-line block ×5, first 2 shown]
	v_dual_mov_b32 v49, v27 :: v_dual_mov_b32 v48, v26
	v_cndmask_b32_e64 v53, v11, v25, s10
	v_cndmask_b32_e64 v52, v10, v24, s10
	v_and_b32_e32 v8, v32, v84
	v_cndmask_b32_e64 v67, v25, v11, s10
	v_cndmask_b32_e64 v66, v24, v10, s10
	;; [unrolled: 1-line block ×3, first 2 shown]
	s_mov_b32 s10, exec_lo
	v_cmpx_gt_u32_e64 v8, v33
; %bb.78:
	v_dual_mov_b32 v17, v30 :: v_dual_mov_b32 v18, v32
	v_dual_mov_b32 v48, v50 :: v_dual_mov_b32 v49, v51
	;; [unrolled: 1-line block ×3, first 2 shown]
; %bb.79:
	s_or_b32 exec_lo, exec_lo, s10
.LBB617_80:
	s_delay_alu instid0(SALU_CYCLE_1) | instskip(SKIP_4) | instid1(VALU_DEP_4)
	s_or_b32 exec_lo, exec_lo, s11
	v_dual_mov_b32 v21, v13 :: v_dual_and_b32 v8, 0xffffff00, v85
	v_or_b32_e32 v10, 8, v82
	v_and_b32_e32 v25, 8, v82
	v_and_b32_e32 v26, 0xf0, v82
	v_sub_nc_u32_e64 v11, 0x800, v8 clamp
	v_dual_mov_b32 v30, v15 :: v_dual_lshlrev_b32 v9, 2, v8
	s_mov_b32 s10, exec_lo
	v_mov_b32_e32 v29, v14
	s_delay_alu instid0(VALU_DEP_3) | instskip(NEXT) | instid1(VALU_DEP_3)
	v_min_u32_e32 v23, v11, v10
	v_add_nc_u32_e32 v8, v9, v9
	v_lshl_or_b32 v22, v82, 2, v9
	v_min_u32_e32 v27, v11, v25
	s_delay_alu instid0(VALU_DEP_4) | instskip(NEXT) | instid1(VALU_DEP_4)
	v_add_nc_u32_e32 v10, 8, v23
	v_lshl_add_u32 v31, v82, 3, v8
	v_sub_nc_u32_e32 v32, v23, v26
	s_delay_alu instid0(VALU_DEP_3) | instskip(NEXT) | instid1(VALU_DEP_3)
	v_min_u32_e32 v24, v11, v10
	v_add_nc_u32_e32 v10, 0x2000, v31
	v_add_nc_u32_e32 v25, 0x2010, v31
	;; [unrolled: 1-line block ×4, first 2 shown]
	v_sub_nc_u32_e32 v28, v24, v23
	ds_store_2addr_b64 v10, v[4:5], v[34:35] offset1:1
	ds_store_2addr_b64 v25, v[64:65], v[52:53] offset1:1
	;; [unrolled: 1-line block ×3, first 2 shown]
	ds_store_2addr_b64 v22, v[16:17], v[18:19] offset0:2 offset1:3
	v_lshl_or_b32 v20, v26, 2, v9
	ds_store_2addr_b64 v33, v[66:67], v[50:51] offset1:1
	ds_store_2addr_b64 v31, v[48:49], v[38:39] offset1:1
	v_sub_nc_u32_e64 v25, v27, v28 clamp
	v_min_u32_e32 v28, v27, v32
	; wave barrier
	s_delay_alu instid0(VALU_DEP_1)
	v_cmpx_lt_u32_e64 v25, v28
	s_cbranch_execz .LBB617_84
; %bb.81:
	v_lshlrev_b32_e32 v21, 2, v23
	v_lshlrev_b32_e32 v29, 2, v27
	s_mov_b32 s11, 0
	s_delay_alu instid0(VALU_DEP_1)
	v_add3_u32 v21, v9, v21, v29
	.p2align	6
.LBB617_82:                             ; =>This Inner Loop Header: Depth=1
	v_add_nc_u32_e32 v29, v28, v25
	s_delay_alu instid0(VALU_DEP_1) | instskip(NEXT) | instid1(VALU_DEP_1)
	v_lshrrev_b32_e32 v29, 1, v29
	v_not_b32_e32 v30, v29
	v_lshl_add_u32 v31, v29, 2, v20
	v_add_nc_u32_e32 v32, 1, v29
	s_delay_alu instid0(VALU_DEP_3)
	v_lshl_add_u32 v30, v30, 2, v21
	ds_load_b32 v31, v31
	ds_load_b32 v30, v30
	s_waitcnt lgkmcnt(1)
	v_and_b32_e32 v31, v31, v84
	s_waitcnt lgkmcnt(0)
	v_and_b32_e32 v30, v30, v84
	s_delay_alu instid0(VALU_DEP_1) | instskip(NEXT) | instid1(VALU_DEP_1)
	v_cmp_gt_u32_e64 s7, v31, v30
	v_cndmask_b32_e64 v28, v28, v29, s7
	v_cndmask_b32_e64 v25, v32, v25, s7
	s_delay_alu instid0(VALU_DEP_1) | instskip(NEXT) | instid1(VALU_DEP_1)
	v_cmp_ge_u32_e64 s7, v25, v28
	s_or_b32 s11, s7, s11
	s_delay_alu instid0(SALU_CYCLE_1)
	s_and_not1_b32 exec_lo, exec_lo, s11
	s_cbranch_execnz .LBB617_82
; %bb.83:
	s_or_b32 exec_lo, exec_lo, s11
.LBB617_84:
	s_delay_alu instid0(SALU_CYCLE_1) | instskip(SKIP_2) | instid1(VALU_DEP_2)
	s_or_b32 exec_lo, exec_lo, s10
	v_add_nc_u32_e32 v21, v23, v27
	v_add_nc_u32_e32 v26, v25, v26
	v_sub_nc_u32_e32 v21, v21, v25
	s_delay_alu instid0(VALU_DEP_2) | instskip(NEXT) | instid1(VALU_DEP_2)
	v_cmp_le_u32_e64 s7, v26, v23
	v_cmp_le_u32_e64 s10, v21, v24
	s_delay_alu instid0(VALU_DEP_1) | instskip(NEXT) | instid1(SALU_CYCLE_1)
	s_or_b32 s7, s7, s10
	s_and_saveexec_b32 s22, s7
	s_cbranch_execz .LBB617_90
; %bb.85:
	v_cmp_lt_u32_e64 s7, v26, v23
                                        ; implicit-def: $vgpr12
	s_delay_alu instid0(VALU_DEP_1)
	s_and_saveexec_b32 s10, s7
	s_cbranch_execz .LBB617_87
; %bb.86:
	v_lshl_add_u32 v4, v25, 2, v20
	ds_load_b32 v12, v4
.LBB617_87:
	s_or_b32 exec_lo, exec_lo, s10
	v_cmp_ge_u32_e64 s10, v21, v24
	s_mov_b32 s14, exec_lo
                                        ; implicit-def: $vgpr13
	v_cmpx_lt_u32_e64 v21, v24
	s_cbranch_execz .LBB617_89
; %bb.88:
	v_lshl_add_u32 v4, v21, 2, v9
	ds_load_b32 v13, v4
.LBB617_89:
	s_or_b32 exec_lo, exec_lo, s14
	s_waitcnt lgkmcnt(0)
	v_and_b32_e32 v4, v13, v84
	v_and_b32_e32 v5, v12, v84
	s_delay_alu instid0(VALU_DEP_1) | instskip(NEXT) | instid1(VALU_DEP_1)
	v_cmp_le_u32_e64 s11, v5, v4
	s_and_b32 s7, s7, s11
	s_delay_alu instid0(SALU_CYCLE_1) | instskip(NEXT) | instid1(SALU_CYCLE_1)
	s_or_b32 s7, s10, s7
	v_cndmask_b32_e64 v4, v21, v26, s7
	v_cndmask_b32_e64 v5, v24, v23, s7
	s_delay_alu instid0(VALU_DEP_2) | instskip(NEXT) | instid1(VALU_DEP_2)
	v_add_nc_u32_e32 v14, 1, v4
	v_add_nc_u32_e32 v5, -1, v5
	v_lshl_add_u32 v4, v4, 3, v8
	s_delay_alu instid0(VALU_DEP_2) | instskip(NEXT) | instid1(VALU_DEP_1)
	v_min_u32_e32 v5, v14, v5
	v_lshl_add_u32 v5, v5, 2, v9
	ds_load_b32 v5, v5
	s_waitcnt lgkmcnt(0)
	v_cndmask_b32_e64 v15, v5, v13, s7
	v_cndmask_b32_e64 v16, v12, v5, s7
	;; [unrolled: 1-line block ×5, first 2 shown]
	v_and_b32_e32 v17, v15, v84
	v_and_b32_e32 v18, v16, v84
	v_cmp_lt_u32_e64 s10, v5, v23
	v_cmp_ge_u32_e64 s14, v14, v24
	s_delay_alu instid0(VALU_DEP_3) | instskip(NEXT) | instid1(VALU_DEP_1)
	v_cmp_le_u32_e64 s11, v18, v17
	s_and_b32 s10, s10, s11
	s_delay_alu instid0(VALU_DEP_2) | instid1(SALU_CYCLE_1)
	s_or_b32 s10, s14, s10
	s_delay_alu instid0(SALU_CYCLE_1) | instskip(SKIP_2) | instid1(VALU_DEP_3)
	v_cndmask_b32_e64 v17, v14, v5, s10
	v_cndmask_b32_e64 v18, v24, v23, s10
	;; [unrolled: 1-line block ×3, first 2 shown]
	v_add_nc_u32_e32 v19, 1, v17
	s_delay_alu instid0(VALU_DEP_3) | instskip(SKIP_1) | instid1(VALU_DEP_3)
	v_add_nc_u32_e32 v18, -1, v18
	v_lshl_add_u32 v17, v17, 3, v8
	v_cndmask_b32_e64 v5, v5, v19, s10
	s_delay_alu instid0(VALU_DEP_3) | instskip(SKIP_1) | instid1(VALU_DEP_3)
	v_min_u32_e32 v18, v19, v18
	v_cndmask_b32_e64 v14, v19, v14, s10
	v_cmp_lt_u32_e64 s11, v5, v23
	s_delay_alu instid0(VALU_DEP_3) | instskip(NEXT) | instid1(VALU_DEP_3)
	v_lshl_add_u32 v18, v18, 2, v9
	v_cmp_ge_u32_e64 s15, v14, v24
	ds_load_b32 v18, v18
	s_waitcnt lgkmcnt(0)
	v_cndmask_b32_e64 v20, v18, v15, s10
	v_cndmask_b32_e64 v18, v16, v18, s10
	s_delay_alu instid0(VALU_DEP_2) | instskip(NEXT) | instid1(VALU_DEP_2)
	v_and_b32_e32 v21, v20, v84
	v_and_b32_e32 v25, v18, v84
	s_delay_alu instid0(VALU_DEP_1) | instskip(NEXT) | instid1(VALU_DEP_1)
	v_cmp_le_u32_e64 s14, v25, v21
	s_and_b32 s11, s11, s14
	s_delay_alu instid0(SALU_CYCLE_1) | instskip(NEXT) | instid1(SALU_CYCLE_1)
	s_or_b32 s11, s15, s11
	v_cndmask_b32_e64 v19, v14, v5, s11
	v_cndmask_b32_e64 v21, v24, v23, s11
	s_delay_alu instid0(VALU_DEP_2) | instskip(NEXT) | instid1(VALU_DEP_2)
	v_add_nc_u32_e32 v25, 1, v19
	v_add_nc_u32_e32 v21, -1, v21
	v_lshl_add_u32 v19, v19, 3, v8
	s_delay_alu instid0(VALU_DEP_3) | instskip(NEXT) | instid1(VALU_DEP_3)
	v_cndmask_b32_e64 v5, v5, v25, s11
	v_min_u32_e32 v21, v25, v21
	v_cndmask_b32_e64 v14, v25, v14, s11
	s_delay_alu instid0(VALU_DEP_3) | instskip(NEXT) | instid1(VALU_DEP_3)
	v_cmp_lt_u32_e64 s14, v5, v23
	v_lshl_add_u32 v21, v21, 2, v9
	s_delay_alu instid0(VALU_DEP_3) | instskip(SKIP_4) | instid1(VALU_DEP_2)
	v_cmp_ge_u32_e64 s16, v14, v24
	ds_load_b32 v21, v21
	s_waitcnt lgkmcnt(0)
	v_cndmask_b32_e64 v26, v21, v20, s11
	v_cndmask_b32_e64 v21, v18, v21, s11
	v_and_b32_e32 v27, v26, v84
	s_delay_alu instid0(VALU_DEP_2) | instskip(NEXT) | instid1(VALU_DEP_1)
	v_and_b32_e32 v28, v21, v84
	v_cmp_le_u32_e64 s15, v28, v27
	s_delay_alu instid0(VALU_DEP_1) | instskip(NEXT) | instid1(SALU_CYCLE_1)
	s_and_b32 s14, s14, s15
	s_or_b32 s14, s16, s14
	s_delay_alu instid0(SALU_CYCLE_1) | instskip(SKIP_2) | instid1(VALU_DEP_3)
	v_cndmask_b32_e64 v25, v14, v5, s14
	v_cndmask_b32_e64 v27, v24, v23, s14
	;; [unrolled: 1-line block ×3, first 2 shown]
	v_add_nc_u32_e32 v28, 1, v25
	s_delay_alu instid0(VALU_DEP_3) | instskip(NEXT) | instid1(VALU_DEP_2)
	v_add_nc_u32_e32 v27, -1, v27
	v_cndmask_b32_e64 v5, v5, v28, s14
	s_delay_alu instid0(VALU_DEP_2) | instskip(SKIP_1) | instid1(VALU_DEP_3)
	v_min_u32_e32 v27, v28, v27
	v_cndmask_b32_e64 v14, v28, v14, s14
	v_cmp_lt_u32_e64 s15, v5, v23
	s_delay_alu instid0(VALU_DEP_3) | instskip(NEXT) | instid1(VALU_DEP_3)
	v_lshl_add_u32 v27, v27, 2, v9
	v_cmp_ge_u32_e64 s17, v14, v24
	ds_load_b32 v27, v27
	s_waitcnt lgkmcnt(0)
	v_cndmask_b32_e64 v29, v27, v26, s14
	v_cndmask_b32_e64 v27, v21, v27, s14
	s_delay_alu instid0(VALU_DEP_2) | instskip(NEXT) | instid1(VALU_DEP_2)
	v_and_b32_e32 v30, v29, v84
	v_and_b32_e32 v31, v27, v84
	s_delay_alu instid0(VALU_DEP_1) | instskip(NEXT) | instid1(VALU_DEP_1)
	v_cmp_le_u32_e64 s16, v31, v30
	s_and_b32 s15, s15, s16
	s_delay_alu instid0(SALU_CYCLE_1) | instskip(NEXT) | instid1(SALU_CYCLE_1)
	s_or_b32 s15, s17, s15
	v_cndmask_b32_e64 v28, v14, v5, s15
	v_cndmask_b32_e64 v30, v24, v23, s15
	v_cndmask_b32_e64 v16, v29, v27, s15
	s_delay_alu instid0(VALU_DEP_3) | instskip(NEXT) | instid1(VALU_DEP_3)
	v_add_nc_u32_e32 v31, 1, v28
	v_add_nc_u32_e32 v30, -1, v30
	s_delay_alu instid0(VALU_DEP_2) | instskip(NEXT) | instid1(VALU_DEP_2)
	v_cndmask_b32_e64 v5, v5, v31, s15
	v_min_u32_e32 v30, v31, v30
	v_cndmask_b32_e64 v14, v31, v14, s15
	s_delay_alu instid0(VALU_DEP_3) | instskip(NEXT) | instid1(VALU_DEP_3)
	v_cmp_lt_u32_e64 s16, v5, v23
	v_lshl_add_u32 v30, v30, 2, v9
	s_delay_alu instid0(VALU_DEP_3) | instskip(SKIP_4) | instid1(VALU_DEP_2)
	v_cmp_ge_u32_e64 s18, v14, v24
	ds_load_b32 v30, v30
	s_waitcnt lgkmcnt(0)
	v_cndmask_b32_e64 v32, v30, v29, s15
	v_cndmask_b32_e64 v30, v27, v30, s15
	v_and_b32_e32 v33, v32, v84
	s_delay_alu instid0(VALU_DEP_2) | instskip(NEXT) | instid1(VALU_DEP_1)
	v_and_b32_e32 v34, v30, v84
	v_cmp_le_u32_e64 s17, v34, v33
	s_delay_alu instid0(VALU_DEP_1) | instskip(NEXT) | instid1(SALU_CYCLE_1)
	s_and_b32 s16, s16, s17
	s_or_b32 s16, s18, s16
	s_delay_alu instid0(SALU_CYCLE_1) | instskip(SKIP_1) | instid1(VALU_DEP_2)
	v_cndmask_b32_e64 v31, v14, v5, s16
	v_cndmask_b32_e64 v33, v24, v23, s16
	v_add_nc_u32_e32 v34, 1, v31
	s_delay_alu instid0(VALU_DEP_2) | instskip(NEXT) | instid1(VALU_DEP_2)
	v_add_nc_u32_e32 v33, -1, v33
	v_cndmask_b32_e64 v5, v5, v34, s16
	s_delay_alu instid0(VALU_DEP_2) | instskip(SKIP_1) | instid1(VALU_DEP_3)
	v_min_u32_e32 v33, v34, v33
	v_cndmask_b32_e64 v14, v34, v14, s16
	v_cmp_lt_u32_e64 s17, v5, v23
	s_delay_alu instid0(VALU_DEP_3) | instskip(NEXT) | instid1(VALU_DEP_3)
	v_lshl_add_u32 v33, v33, 2, v9
	v_cmp_ge_u32_e64 s19, v14, v24
	ds_load_b32 v33, v33
	s_waitcnt lgkmcnt(0)
	v_cndmask_b32_e64 v36, v33, v32, s16
	v_cndmask_b32_e64 v33, v30, v33, s16
	s_delay_alu instid0(VALU_DEP_2) | instskip(NEXT) | instid1(VALU_DEP_2)
	v_and_b32_e32 v35, v36, v84
	v_and_b32_e32 v37, v33, v84
	s_delay_alu instid0(VALU_DEP_1) | instskip(NEXT) | instid1(VALU_DEP_1)
	v_cmp_le_u32_e64 s18, v37, v35
	s_and_b32 s17, s17, s18
	s_delay_alu instid0(SALU_CYCLE_1) | instskip(NEXT) | instid1(SALU_CYCLE_1)
	s_or_b32 s17, s19, s17
	v_cndmask_b32_e64 v37, v14, v5, s17
	v_cndmask_b32_e64 v34, v24, v23, s17
	s_delay_alu instid0(VALU_DEP_2) | instskip(NEXT) | instid1(VALU_DEP_2)
	v_add_nc_u32_e32 v35, 1, v37
	v_add_nc_u32_e32 v34, -1, v34
	s_delay_alu instid0(VALU_DEP_2) | instskip(NEXT) | instid1(VALU_DEP_2)
	v_cndmask_b32_e64 v38, v5, v35, s17
	v_min_u32_e32 v34, v35, v34
	v_cndmask_b32_e64 v14, v35, v14, s17
	s_delay_alu instid0(VALU_DEP_3) | instskip(NEXT) | instid1(VALU_DEP_3)
	v_cmp_lt_u32_e64 s18, v38, v23
	v_lshl_add_u32 v34, v34, 2, v9
	s_delay_alu instid0(VALU_DEP_3)
	v_cmp_ge_u32_e64 s20, v14, v24
	v_lshl_add_u32 v23, v31, 3, v8
	v_lshl_add_u32 v24, v37, 3, v8
	ds_load_b32 v34, v34
	s_waitcnt lgkmcnt(0)
	v_cndmask_b32_e64 v68, v34, v36, s17
	v_cndmask_b32_e64 v69, v33, v34, s17
	s_delay_alu instid0(VALU_DEP_2) | instskip(NEXT) | instid1(VALU_DEP_2)
	v_and_b32_e32 v5, v68, v84
	v_and_b32_e32 v34, v69, v84
	s_delay_alu instid0(VALU_DEP_1)
	v_cmp_le_u32_e64 s19, v34, v5
	ds_load_b64 v[4:5], v4 offset:8192
	ds_load_b64 v[34:35], v17 offset:8192
	v_lshl_add_u32 v17, v25, 3, v8
	ds_load_b64 v[64:65], v19 offset:8192
	v_lshl_add_u32 v19, v28, 3, v8
	s_and_b32 s18, s18, s19
	s_delay_alu instid0(SALU_CYCLE_1) | instskip(NEXT) | instid1(SALU_CYCLE_1)
	s_or_b32 s18, s20, s18
	v_cndmask_b32_e64 v14, v14, v38, s18
	s_delay_alu instid0(VALU_DEP_1)
	v_lshl_add_u32 v14, v14, 3, v8
	ds_load_b64 v[52:53], v17 offset:8192
	ds_load_b64 v[66:67], v19 offset:8192
	;; [unrolled: 1-line block ×5, first 2 shown]
	v_cndmask_b32_e64 v14, v20, v18, s11
	v_cndmask_b32_e64 v17, v32, v30, s16
	;; [unrolled: 1-line block ×4, first 2 shown]
.LBB617_90:
	s_or_b32 exec_lo, exec_lo, s22
	v_and_b32_e32 v25, 0xe0, v82
	v_and_b32_e32 v23, 24, v82
	s_mov_b32 s10, exec_lo
	; wave barrier
	s_delay_alu instid0(VALU_DEP_2) | instskip(NEXT) | instid1(VALU_DEP_2)
	v_or_b32_e32 v20, 16, v25
	v_min_u32_e32 v26, v11, v23
	s_waitcnt lgkmcnt(6)
	ds_store_2addr_b64 v10, v[4:5], v[34:35] offset1:1
	s_waitcnt lgkmcnt(5)
	ds_store_2addr_b64 v10, v[64:65], v[52:53] offset0:2 offset1:3
	ds_store_2addr_b64 v22, v[12:13], v[14:15] offset1:1
	ds_store_2addr_b64 v22, v[16:17], v[18:19] offset0:2 offset1:3
	s_waitcnt lgkmcnt(6)
	ds_store_2addr_b64 v10, v[66:67], v[50:51] offset0:4 offset1:5
	s_waitcnt lgkmcnt(5)
	ds_store_2addr_b64 v10, v[48:49], v[38:39] offset0:6 offset1:7
	v_min_u32_e32 v20, v11, v20
	; wave barrier
	s_delay_alu instid0(VALU_DEP_1) | instskip(SKIP_1) | instid1(VALU_DEP_2)
	v_add_nc_u32_e32 v21, 16, v20
	v_sub_nc_u32_e32 v23, v20, v25
	v_min_u32_e32 v21, v11, v21
	s_delay_alu instid0(VALU_DEP_2) | instskip(NEXT) | instid1(VALU_DEP_2)
	v_min_u32_e32 v27, v26, v23
	v_sub_nc_u32_e32 v24, v21, v20
	s_delay_alu instid0(VALU_DEP_1) | instskip(SKIP_1) | instid1(VALU_DEP_2)
	v_sub_nc_u32_e64 v23, v26, v24 clamp
	v_lshl_add_u32 v24, v25, 2, v9
	v_cmpx_lt_u32_e64 v23, v27
	s_cbranch_execz .LBB617_94
; %bb.91:
	v_lshlrev_b32_e32 v28, 2, v20
	v_lshlrev_b32_e32 v29, 2, v26
	s_mov_b32 s11, 0
	s_delay_alu instid0(VALU_DEP_1)
	v_add3_u32 v28, v9, v28, v29
	.p2align	6
.LBB617_92:                             ; =>This Inner Loop Header: Depth=1
	v_add_nc_u32_e32 v29, v27, v23
	s_delay_alu instid0(VALU_DEP_1) | instskip(NEXT) | instid1(VALU_DEP_1)
	v_lshrrev_b32_e32 v29, 1, v29
	v_not_b32_e32 v30, v29
	v_lshl_add_u32 v31, v29, 2, v24
	v_add_nc_u32_e32 v32, 1, v29
	s_delay_alu instid0(VALU_DEP_3)
	v_lshl_add_u32 v30, v30, 2, v28
	ds_load_b32 v31, v31
	ds_load_b32 v30, v30
	s_waitcnt lgkmcnt(1)
	v_and_b32_e32 v31, v31, v84
	s_waitcnt lgkmcnt(0)
	v_and_b32_e32 v30, v30, v84
	s_delay_alu instid0(VALU_DEP_1) | instskip(NEXT) | instid1(VALU_DEP_1)
	v_cmp_gt_u32_e64 s7, v31, v30
	v_cndmask_b32_e64 v27, v27, v29, s7
	v_cndmask_b32_e64 v23, v32, v23, s7
	s_delay_alu instid0(VALU_DEP_1) | instskip(NEXT) | instid1(VALU_DEP_1)
	v_cmp_ge_u32_e64 s7, v23, v27
	s_or_b32 s11, s7, s11
	s_delay_alu instid0(SALU_CYCLE_1)
	s_and_not1_b32 exec_lo, exec_lo, s11
	s_cbranch_execnz .LBB617_92
; %bb.93:
	s_or_b32 exec_lo, exec_lo, s11
.LBB617_94:
	s_delay_alu instid0(SALU_CYCLE_1) | instskip(SKIP_2) | instid1(VALU_DEP_2)
	s_or_b32 exec_lo, exec_lo, s10
	v_add_nc_u32_e32 v27, v20, v26
	v_add_nc_u32_e32 v26, v23, v25
	v_sub_nc_u32_e32 v25, v27, v23
	s_delay_alu instid0(VALU_DEP_2) | instskip(NEXT) | instid1(VALU_DEP_2)
	v_cmp_le_u32_e64 s7, v26, v20
	v_cmp_le_u32_e64 s10, v25, v21
	s_delay_alu instid0(VALU_DEP_1) | instskip(NEXT) | instid1(SALU_CYCLE_1)
	s_or_b32 s7, s7, s10
	s_and_saveexec_b32 s22, s7
	s_cbranch_execz .LBB617_100
; %bb.95:
	v_cmp_lt_u32_e64 s7, v26, v20
                                        ; implicit-def: $vgpr12
	s_delay_alu instid0(VALU_DEP_1)
	s_and_saveexec_b32 s10, s7
	s_cbranch_execz .LBB617_97
; %bb.96:
	v_lshl_add_u32 v4, v23, 2, v24
	ds_load_b32 v12, v4
.LBB617_97:
	s_or_b32 exec_lo, exec_lo, s10
	v_cmp_ge_u32_e64 s10, v25, v21
	s_mov_b32 s14, exec_lo
                                        ; implicit-def: $vgpr13
	v_cmpx_lt_u32_e64 v25, v21
	s_cbranch_execz .LBB617_99
; %bb.98:
	v_lshl_add_u32 v4, v25, 2, v9
	ds_load_b32 v13, v4
.LBB617_99:
	s_or_b32 exec_lo, exec_lo, s14
	s_waitcnt lgkmcnt(0)
	v_and_b32_e32 v4, v13, v84
	v_and_b32_e32 v5, v12, v84
	s_delay_alu instid0(VALU_DEP_1) | instskip(NEXT) | instid1(VALU_DEP_1)
	v_cmp_le_u32_e64 s11, v5, v4
	s_and_b32 s7, s7, s11
	s_delay_alu instid0(SALU_CYCLE_1) | instskip(NEXT) | instid1(SALU_CYCLE_1)
	s_or_b32 s7, s10, s7
	v_cndmask_b32_e64 v4, v25, v26, s7
	v_cndmask_b32_e64 v5, v21, v20, s7
	s_delay_alu instid0(VALU_DEP_2) | instskip(NEXT) | instid1(VALU_DEP_2)
	v_add_nc_u32_e32 v14, 1, v4
	v_add_nc_u32_e32 v5, -1, v5
	v_lshl_add_u32 v4, v4, 3, v8
	s_delay_alu instid0(VALU_DEP_2) | instskip(NEXT) | instid1(VALU_DEP_1)
	v_min_u32_e32 v5, v14, v5
	v_lshl_add_u32 v5, v5, 2, v9
	ds_load_b32 v5, v5
	s_waitcnt lgkmcnt(0)
	v_cndmask_b32_e64 v15, v5, v13, s7
	v_cndmask_b32_e64 v16, v12, v5, s7
	;; [unrolled: 1-line block ×5, first 2 shown]
	v_and_b32_e32 v17, v15, v84
	v_and_b32_e32 v18, v16, v84
	v_cmp_lt_u32_e64 s10, v5, v20
	v_cmp_ge_u32_e64 s14, v14, v21
	s_delay_alu instid0(VALU_DEP_3) | instskip(NEXT) | instid1(VALU_DEP_1)
	v_cmp_le_u32_e64 s11, v18, v17
	s_and_b32 s10, s10, s11
	s_delay_alu instid0(VALU_DEP_2) | instid1(SALU_CYCLE_1)
	s_or_b32 s10, s14, s10
	s_delay_alu instid0(SALU_CYCLE_1) | instskip(SKIP_2) | instid1(VALU_DEP_3)
	v_cndmask_b32_e64 v17, v14, v5, s10
	v_cndmask_b32_e64 v18, v21, v20, s10
	;; [unrolled: 1-line block ×3, first 2 shown]
	v_add_nc_u32_e32 v19, 1, v17
	s_delay_alu instid0(VALU_DEP_3) | instskip(SKIP_1) | instid1(VALU_DEP_3)
	v_add_nc_u32_e32 v18, -1, v18
	v_lshl_add_u32 v17, v17, 3, v8
	v_cndmask_b32_e64 v5, v5, v19, s10
	s_delay_alu instid0(VALU_DEP_3) | instskip(SKIP_1) | instid1(VALU_DEP_3)
	v_min_u32_e32 v18, v19, v18
	v_cndmask_b32_e64 v14, v19, v14, s10
	v_cmp_lt_u32_e64 s11, v5, v20
	s_delay_alu instid0(VALU_DEP_3) | instskip(NEXT) | instid1(VALU_DEP_3)
	v_lshl_add_u32 v18, v18, 2, v9
	v_cmp_ge_u32_e64 s15, v14, v21
	ds_load_b32 v18, v18
	s_waitcnt lgkmcnt(0)
	v_cndmask_b32_e64 v23, v18, v15, s10
	v_cndmask_b32_e64 v18, v16, v18, s10
	s_delay_alu instid0(VALU_DEP_2) | instskip(NEXT) | instid1(VALU_DEP_2)
	v_and_b32_e32 v24, v23, v84
	v_and_b32_e32 v25, v18, v84
	s_delay_alu instid0(VALU_DEP_1) | instskip(NEXT) | instid1(VALU_DEP_1)
	v_cmp_le_u32_e64 s14, v25, v24
	s_and_b32 s11, s11, s14
	s_delay_alu instid0(SALU_CYCLE_1) | instskip(NEXT) | instid1(SALU_CYCLE_1)
	s_or_b32 s11, s15, s11
	v_cndmask_b32_e64 v19, v14, v5, s11
	v_cndmask_b32_e64 v24, v21, v20, s11
	s_delay_alu instid0(VALU_DEP_2) | instskip(NEXT) | instid1(VALU_DEP_2)
	v_add_nc_u32_e32 v25, 1, v19
	v_add_nc_u32_e32 v24, -1, v24
	v_lshl_add_u32 v19, v19, 3, v8
	s_delay_alu instid0(VALU_DEP_3) | instskip(NEXT) | instid1(VALU_DEP_3)
	v_cndmask_b32_e64 v5, v5, v25, s11
	v_min_u32_e32 v24, v25, v24
	v_cndmask_b32_e64 v14, v25, v14, s11
	s_delay_alu instid0(VALU_DEP_3) | instskip(NEXT) | instid1(VALU_DEP_3)
	v_cmp_lt_u32_e64 s14, v5, v20
	v_lshl_add_u32 v24, v24, 2, v9
	s_delay_alu instid0(VALU_DEP_3) | instskip(SKIP_4) | instid1(VALU_DEP_2)
	v_cmp_ge_u32_e64 s16, v14, v21
	ds_load_b32 v24, v24
	s_waitcnt lgkmcnt(0)
	v_cndmask_b32_e64 v26, v24, v23, s11
	v_cndmask_b32_e64 v24, v18, v24, s11
	v_and_b32_e32 v27, v26, v84
	s_delay_alu instid0(VALU_DEP_2) | instskip(NEXT) | instid1(VALU_DEP_1)
	v_and_b32_e32 v28, v24, v84
	v_cmp_le_u32_e64 s15, v28, v27
	s_delay_alu instid0(VALU_DEP_1) | instskip(NEXT) | instid1(SALU_CYCLE_1)
	s_and_b32 s14, s14, s15
	s_or_b32 s14, s16, s14
	s_delay_alu instid0(SALU_CYCLE_1) | instskip(SKIP_2) | instid1(VALU_DEP_3)
	v_cndmask_b32_e64 v25, v14, v5, s14
	v_cndmask_b32_e64 v27, v21, v20, s14
	;; [unrolled: 1-line block ×3, first 2 shown]
	v_add_nc_u32_e32 v28, 1, v25
	s_delay_alu instid0(VALU_DEP_3) | instskip(NEXT) | instid1(VALU_DEP_2)
	v_add_nc_u32_e32 v27, -1, v27
	v_cndmask_b32_e64 v5, v5, v28, s14
	s_delay_alu instid0(VALU_DEP_2) | instskip(SKIP_1) | instid1(VALU_DEP_3)
	v_min_u32_e32 v27, v28, v27
	v_cndmask_b32_e64 v14, v28, v14, s14
	v_cmp_lt_u32_e64 s15, v5, v20
	s_delay_alu instid0(VALU_DEP_3) | instskip(NEXT) | instid1(VALU_DEP_3)
	v_lshl_add_u32 v27, v27, 2, v9
	v_cmp_ge_u32_e64 s17, v14, v21
	ds_load_b32 v27, v27
	s_waitcnt lgkmcnt(0)
	v_cndmask_b32_e64 v29, v27, v26, s14
	v_cndmask_b32_e64 v27, v24, v27, s14
	s_delay_alu instid0(VALU_DEP_2) | instskip(NEXT) | instid1(VALU_DEP_2)
	v_and_b32_e32 v30, v29, v84
	v_and_b32_e32 v31, v27, v84
	s_delay_alu instid0(VALU_DEP_1) | instskip(NEXT) | instid1(VALU_DEP_1)
	v_cmp_le_u32_e64 s16, v31, v30
	s_and_b32 s15, s15, s16
	s_delay_alu instid0(SALU_CYCLE_1) | instskip(NEXT) | instid1(SALU_CYCLE_1)
	s_or_b32 s15, s17, s15
	v_cndmask_b32_e64 v28, v14, v5, s15
	v_cndmask_b32_e64 v30, v21, v20, s15
	;; [unrolled: 1-line block ×3, first 2 shown]
	s_delay_alu instid0(VALU_DEP_3) | instskip(NEXT) | instid1(VALU_DEP_3)
	v_add_nc_u32_e32 v31, 1, v28
	v_add_nc_u32_e32 v30, -1, v30
	s_delay_alu instid0(VALU_DEP_2) | instskip(NEXT) | instid1(VALU_DEP_2)
	v_cndmask_b32_e64 v5, v5, v31, s15
	v_min_u32_e32 v30, v31, v30
	v_cndmask_b32_e64 v14, v31, v14, s15
	s_delay_alu instid0(VALU_DEP_3) | instskip(NEXT) | instid1(VALU_DEP_3)
	v_cmp_lt_u32_e64 s16, v5, v20
	v_lshl_add_u32 v30, v30, 2, v9
	s_delay_alu instid0(VALU_DEP_3) | instskip(SKIP_4) | instid1(VALU_DEP_2)
	v_cmp_ge_u32_e64 s18, v14, v21
	ds_load_b32 v30, v30
	s_waitcnt lgkmcnt(0)
	v_cndmask_b32_e64 v32, v30, v29, s15
	v_cndmask_b32_e64 v30, v27, v30, s15
	v_and_b32_e32 v33, v32, v84
	s_delay_alu instid0(VALU_DEP_2) | instskip(NEXT) | instid1(VALU_DEP_1)
	v_and_b32_e32 v34, v30, v84
	v_cmp_le_u32_e64 s17, v34, v33
	s_delay_alu instid0(VALU_DEP_1) | instskip(NEXT) | instid1(SALU_CYCLE_1)
	s_and_b32 s16, s16, s17
	s_or_b32 s16, s18, s16
	s_delay_alu instid0(SALU_CYCLE_1) | instskip(SKIP_1) | instid1(VALU_DEP_2)
	v_cndmask_b32_e64 v31, v14, v5, s16
	v_cndmask_b32_e64 v33, v21, v20, s16
	v_add_nc_u32_e32 v34, 1, v31
	s_delay_alu instid0(VALU_DEP_2) | instskip(NEXT) | instid1(VALU_DEP_2)
	v_add_nc_u32_e32 v33, -1, v33
	v_cndmask_b32_e64 v5, v5, v34, s16
	s_delay_alu instid0(VALU_DEP_2) | instskip(SKIP_1) | instid1(VALU_DEP_3)
	v_min_u32_e32 v33, v34, v33
	v_cndmask_b32_e64 v14, v34, v14, s16
	v_cmp_lt_u32_e64 s17, v5, v20
	s_delay_alu instid0(VALU_DEP_3) | instskip(NEXT) | instid1(VALU_DEP_3)
	v_lshl_add_u32 v33, v33, 2, v9
	v_cmp_ge_u32_e64 s19, v14, v21
	ds_load_b32 v33, v33
	s_waitcnt lgkmcnt(0)
	v_cndmask_b32_e64 v36, v33, v32, s16
	v_cndmask_b32_e64 v33, v30, v33, s16
	s_delay_alu instid0(VALU_DEP_2) | instskip(NEXT) | instid1(VALU_DEP_2)
	v_and_b32_e32 v35, v36, v84
	v_and_b32_e32 v37, v33, v84
	s_delay_alu instid0(VALU_DEP_1) | instskip(NEXT) | instid1(VALU_DEP_1)
	v_cmp_le_u32_e64 s18, v37, v35
	s_and_b32 s17, s17, s18
	s_delay_alu instid0(SALU_CYCLE_1) | instskip(NEXT) | instid1(SALU_CYCLE_1)
	s_or_b32 s17, s19, s17
	v_cndmask_b32_e64 v37, v14, v5, s17
	v_cndmask_b32_e64 v34, v21, v20, s17
	s_delay_alu instid0(VALU_DEP_2) | instskip(NEXT) | instid1(VALU_DEP_2)
	v_add_nc_u32_e32 v35, 1, v37
	v_add_nc_u32_e32 v34, -1, v34
	s_delay_alu instid0(VALU_DEP_2) | instskip(NEXT) | instid1(VALU_DEP_2)
	v_cndmask_b32_e64 v38, v5, v35, s17
	v_min_u32_e32 v34, v35, v34
	v_cndmask_b32_e64 v14, v35, v14, s17
	s_delay_alu instid0(VALU_DEP_3) | instskip(NEXT) | instid1(VALU_DEP_3)
	v_cmp_lt_u32_e64 s18, v38, v20
	v_lshl_add_u32 v34, v34, 2, v9
	s_delay_alu instid0(VALU_DEP_3)
	v_cmp_ge_u32_e64 s20, v14, v21
	v_lshl_add_u32 v20, v31, 3, v8
	v_lshl_add_u32 v21, v37, 3, v8
	ds_load_b32 v34, v34
	s_waitcnt lgkmcnt(0)
	v_cndmask_b32_e64 v68, v34, v36, s17
	v_cndmask_b32_e64 v69, v33, v34, s17
	s_delay_alu instid0(VALU_DEP_2) | instskip(NEXT) | instid1(VALU_DEP_2)
	v_and_b32_e32 v5, v68, v84
	v_and_b32_e32 v34, v69, v84
	s_delay_alu instid0(VALU_DEP_1)
	v_cmp_le_u32_e64 s19, v34, v5
	ds_load_b64 v[4:5], v4 offset:8192
	ds_load_b64 v[34:35], v17 offset:8192
	v_lshl_add_u32 v17, v25, 3, v8
	ds_load_b64 v[64:65], v19 offset:8192
	v_lshl_add_u32 v19, v28, 3, v8
	s_and_b32 s18, s18, s19
	s_delay_alu instid0(SALU_CYCLE_1) | instskip(NEXT) | instid1(SALU_CYCLE_1)
	s_or_b32 s18, s20, s18
	v_cndmask_b32_e64 v14, v14, v38, s18
	s_delay_alu instid0(VALU_DEP_1)
	v_lshl_add_u32 v14, v14, 3, v8
	ds_load_b64 v[52:53], v17 offset:8192
	ds_load_b64 v[66:67], v19 offset:8192
	ds_load_b64 v[50:51], v20 offset:8192
	ds_load_b64 v[48:49], v21 offset:8192
	ds_load_b64 v[38:39], v14 offset:8192
	v_cndmask_b32_e64 v14, v23, v18, s11
	v_cndmask_b32_e64 v17, v32, v30, s16
	;; [unrolled: 1-line block ×4, first 2 shown]
.LBB617_100:
	s_or_b32 exec_lo, exec_lo, s22
	v_and_b32_e32 v25, 0xc0, v82
	v_and_b32_e32 v23, 56, v82
	s_mov_b32 s10, exec_lo
	; wave barrier
	s_delay_alu instid0(VALU_DEP_2) | instskip(NEXT) | instid1(VALU_DEP_2)
	v_or_b32_e32 v20, 32, v25
	v_min_u32_e32 v26, v11, v23
	s_waitcnt lgkmcnt(6)
	ds_store_2addr_b64 v10, v[4:5], v[34:35] offset1:1
	s_waitcnt lgkmcnt(5)
	ds_store_2addr_b64 v10, v[64:65], v[52:53] offset0:2 offset1:3
	ds_store_2addr_b64 v22, v[12:13], v[14:15] offset1:1
	ds_store_2addr_b64 v22, v[16:17], v[18:19] offset0:2 offset1:3
	s_waitcnt lgkmcnt(6)
	ds_store_2addr_b64 v10, v[66:67], v[50:51] offset0:4 offset1:5
	s_waitcnt lgkmcnt(5)
	ds_store_2addr_b64 v10, v[48:49], v[38:39] offset0:6 offset1:7
	v_min_u32_e32 v20, v11, v20
	; wave barrier
	s_delay_alu instid0(VALU_DEP_1) | instskip(SKIP_1) | instid1(VALU_DEP_2)
	v_add_nc_u32_e32 v21, 32, v20
	v_sub_nc_u32_e32 v23, v20, v25
	v_min_u32_e32 v21, v11, v21
	s_delay_alu instid0(VALU_DEP_2) | instskip(NEXT) | instid1(VALU_DEP_2)
	v_min_u32_e32 v27, v26, v23
	v_sub_nc_u32_e32 v24, v21, v20
	s_delay_alu instid0(VALU_DEP_1) | instskip(SKIP_1) | instid1(VALU_DEP_2)
	v_sub_nc_u32_e64 v23, v26, v24 clamp
	v_lshl_add_u32 v24, v25, 2, v9
	v_cmpx_lt_u32_e64 v23, v27
	s_cbranch_execz .LBB617_104
; %bb.101:
	v_lshlrev_b32_e32 v28, 2, v20
	v_lshlrev_b32_e32 v29, 2, v26
	s_mov_b32 s11, 0
	s_delay_alu instid0(VALU_DEP_1)
	v_add3_u32 v28, v9, v28, v29
	.p2align	6
.LBB617_102:                            ; =>This Inner Loop Header: Depth=1
	v_add_nc_u32_e32 v29, v27, v23
	s_delay_alu instid0(VALU_DEP_1) | instskip(NEXT) | instid1(VALU_DEP_1)
	v_lshrrev_b32_e32 v29, 1, v29
	v_not_b32_e32 v30, v29
	v_lshl_add_u32 v31, v29, 2, v24
	v_add_nc_u32_e32 v32, 1, v29
	s_delay_alu instid0(VALU_DEP_3)
	v_lshl_add_u32 v30, v30, 2, v28
	ds_load_b32 v31, v31
	ds_load_b32 v30, v30
	s_waitcnt lgkmcnt(1)
	v_and_b32_e32 v31, v31, v84
	s_waitcnt lgkmcnt(0)
	v_and_b32_e32 v30, v30, v84
	s_delay_alu instid0(VALU_DEP_1) | instskip(NEXT) | instid1(VALU_DEP_1)
	v_cmp_gt_u32_e64 s7, v31, v30
	v_cndmask_b32_e64 v27, v27, v29, s7
	v_cndmask_b32_e64 v23, v32, v23, s7
	s_delay_alu instid0(VALU_DEP_1) | instskip(NEXT) | instid1(VALU_DEP_1)
	v_cmp_ge_u32_e64 s7, v23, v27
	s_or_b32 s11, s7, s11
	s_delay_alu instid0(SALU_CYCLE_1)
	s_and_not1_b32 exec_lo, exec_lo, s11
	s_cbranch_execnz .LBB617_102
; %bb.103:
	s_or_b32 exec_lo, exec_lo, s11
.LBB617_104:
	s_delay_alu instid0(SALU_CYCLE_1) | instskip(SKIP_2) | instid1(VALU_DEP_2)
	s_or_b32 exec_lo, exec_lo, s10
	v_add_nc_u32_e32 v27, v20, v26
	v_add_nc_u32_e32 v26, v23, v25
	v_sub_nc_u32_e32 v25, v27, v23
	s_delay_alu instid0(VALU_DEP_2) | instskip(NEXT) | instid1(VALU_DEP_2)
	v_cmp_le_u32_e64 s7, v26, v20
	v_cmp_le_u32_e64 s10, v25, v21
	s_delay_alu instid0(VALU_DEP_1) | instskip(NEXT) | instid1(SALU_CYCLE_1)
	s_or_b32 s7, s7, s10
	s_and_saveexec_b32 s22, s7
	s_cbranch_execz .LBB617_110
; %bb.105:
	v_cmp_lt_u32_e64 s7, v26, v20
                                        ; implicit-def: $vgpr12
	s_delay_alu instid0(VALU_DEP_1)
	s_and_saveexec_b32 s10, s7
	s_cbranch_execz .LBB617_107
; %bb.106:
	v_lshl_add_u32 v4, v23, 2, v24
	ds_load_b32 v12, v4
.LBB617_107:
	s_or_b32 exec_lo, exec_lo, s10
	v_cmp_ge_u32_e64 s10, v25, v21
	s_mov_b32 s14, exec_lo
                                        ; implicit-def: $vgpr13
	v_cmpx_lt_u32_e64 v25, v21
	s_cbranch_execz .LBB617_109
; %bb.108:
	v_lshl_add_u32 v4, v25, 2, v9
	ds_load_b32 v13, v4
.LBB617_109:
	s_or_b32 exec_lo, exec_lo, s14
	s_waitcnt lgkmcnt(0)
	v_and_b32_e32 v4, v13, v84
	v_and_b32_e32 v5, v12, v84
	s_delay_alu instid0(VALU_DEP_1) | instskip(NEXT) | instid1(VALU_DEP_1)
	v_cmp_le_u32_e64 s11, v5, v4
	s_and_b32 s7, s7, s11
	s_delay_alu instid0(SALU_CYCLE_1) | instskip(NEXT) | instid1(SALU_CYCLE_1)
	s_or_b32 s7, s10, s7
	v_cndmask_b32_e64 v4, v25, v26, s7
	v_cndmask_b32_e64 v5, v21, v20, s7
	s_delay_alu instid0(VALU_DEP_2) | instskip(NEXT) | instid1(VALU_DEP_2)
	v_add_nc_u32_e32 v14, 1, v4
	v_add_nc_u32_e32 v5, -1, v5
	v_lshl_add_u32 v4, v4, 3, v8
	s_delay_alu instid0(VALU_DEP_2) | instskip(NEXT) | instid1(VALU_DEP_1)
	v_min_u32_e32 v5, v14, v5
	v_lshl_add_u32 v5, v5, 2, v9
	ds_load_b32 v5, v5
	s_waitcnt lgkmcnt(0)
	v_cndmask_b32_e64 v15, v5, v13, s7
	v_cndmask_b32_e64 v16, v12, v5, s7
	;; [unrolled: 1-line block ×5, first 2 shown]
	v_and_b32_e32 v17, v15, v84
	v_and_b32_e32 v18, v16, v84
	v_cmp_lt_u32_e64 s10, v5, v20
	v_cmp_ge_u32_e64 s14, v14, v21
	s_delay_alu instid0(VALU_DEP_3) | instskip(NEXT) | instid1(VALU_DEP_1)
	v_cmp_le_u32_e64 s11, v18, v17
	s_and_b32 s10, s10, s11
	s_delay_alu instid0(VALU_DEP_2) | instid1(SALU_CYCLE_1)
	s_or_b32 s10, s14, s10
	s_delay_alu instid0(SALU_CYCLE_1) | instskip(SKIP_2) | instid1(VALU_DEP_3)
	v_cndmask_b32_e64 v17, v14, v5, s10
	v_cndmask_b32_e64 v18, v21, v20, s10
	;; [unrolled: 1-line block ×3, first 2 shown]
	v_add_nc_u32_e32 v19, 1, v17
	s_delay_alu instid0(VALU_DEP_3) | instskip(SKIP_1) | instid1(VALU_DEP_3)
	v_add_nc_u32_e32 v18, -1, v18
	v_lshl_add_u32 v17, v17, 3, v8
	v_cndmask_b32_e64 v5, v5, v19, s10
	s_delay_alu instid0(VALU_DEP_3) | instskip(SKIP_1) | instid1(VALU_DEP_3)
	v_min_u32_e32 v18, v19, v18
	v_cndmask_b32_e64 v14, v19, v14, s10
	v_cmp_lt_u32_e64 s11, v5, v20
	s_delay_alu instid0(VALU_DEP_3) | instskip(NEXT) | instid1(VALU_DEP_3)
	v_lshl_add_u32 v18, v18, 2, v9
	v_cmp_ge_u32_e64 s15, v14, v21
	ds_load_b32 v18, v18
	s_waitcnt lgkmcnt(0)
	v_cndmask_b32_e64 v23, v18, v15, s10
	v_cndmask_b32_e64 v18, v16, v18, s10
	s_delay_alu instid0(VALU_DEP_2) | instskip(NEXT) | instid1(VALU_DEP_2)
	v_and_b32_e32 v24, v23, v84
	v_and_b32_e32 v25, v18, v84
	s_delay_alu instid0(VALU_DEP_1) | instskip(NEXT) | instid1(VALU_DEP_1)
	v_cmp_le_u32_e64 s14, v25, v24
	s_and_b32 s11, s11, s14
	s_delay_alu instid0(SALU_CYCLE_1) | instskip(NEXT) | instid1(SALU_CYCLE_1)
	s_or_b32 s11, s15, s11
	v_cndmask_b32_e64 v19, v14, v5, s11
	v_cndmask_b32_e64 v24, v21, v20, s11
	s_delay_alu instid0(VALU_DEP_2) | instskip(NEXT) | instid1(VALU_DEP_2)
	v_add_nc_u32_e32 v25, 1, v19
	v_add_nc_u32_e32 v24, -1, v24
	v_lshl_add_u32 v19, v19, 3, v8
	s_delay_alu instid0(VALU_DEP_3) | instskip(NEXT) | instid1(VALU_DEP_3)
	v_cndmask_b32_e64 v5, v5, v25, s11
	v_min_u32_e32 v24, v25, v24
	v_cndmask_b32_e64 v14, v25, v14, s11
	s_delay_alu instid0(VALU_DEP_3) | instskip(NEXT) | instid1(VALU_DEP_3)
	v_cmp_lt_u32_e64 s14, v5, v20
	v_lshl_add_u32 v24, v24, 2, v9
	s_delay_alu instid0(VALU_DEP_3) | instskip(SKIP_4) | instid1(VALU_DEP_2)
	v_cmp_ge_u32_e64 s16, v14, v21
	ds_load_b32 v24, v24
	s_waitcnt lgkmcnt(0)
	v_cndmask_b32_e64 v26, v24, v23, s11
	v_cndmask_b32_e64 v24, v18, v24, s11
	v_and_b32_e32 v27, v26, v84
	s_delay_alu instid0(VALU_DEP_2) | instskip(NEXT) | instid1(VALU_DEP_1)
	v_and_b32_e32 v28, v24, v84
	v_cmp_le_u32_e64 s15, v28, v27
	s_delay_alu instid0(VALU_DEP_1) | instskip(NEXT) | instid1(SALU_CYCLE_1)
	s_and_b32 s14, s14, s15
	s_or_b32 s14, s16, s14
	s_delay_alu instid0(SALU_CYCLE_1) | instskip(SKIP_2) | instid1(VALU_DEP_3)
	v_cndmask_b32_e64 v25, v14, v5, s14
	v_cndmask_b32_e64 v27, v21, v20, s14
	;; [unrolled: 1-line block ×3, first 2 shown]
	v_add_nc_u32_e32 v28, 1, v25
	s_delay_alu instid0(VALU_DEP_3) | instskip(NEXT) | instid1(VALU_DEP_2)
	v_add_nc_u32_e32 v27, -1, v27
	v_cndmask_b32_e64 v5, v5, v28, s14
	s_delay_alu instid0(VALU_DEP_2) | instskip(SKIP_1) | instid1(VALU_DEP_3)
	v_min_u32_e32 v27, v28, v27
	v_cndmask_b32_e64 v14, v28, v14, s14
	v_cmp_lt_u32_e64 s15, v5, v20
	s_delay_alu instid0(VALU_DEP_3) | instskip(NEXT) | instid1(VALU_DEP_3)
	v_lshl_add_u32 v27, v27, 2, v9
	v_cmp_ge_u32_e64 s17, v14, v21
	ds_load_b32 v27, v27
	s_waitcnt lgkmcnt(0)
	v_cndmask_b32_e64 v29, v27, v26, s14
	v_cndmask_b32_e64 v27, v24, v27, s14
	s_delay_alu instid0(VALU_DEP_2) | instskip(NEXT) | instid1(VALU_DEP_2)
	v_and_b32_e32 v30, v29, v84
	v_and_b32_e32 v31, v27, v84
	s_delay_alu instid0(VALU_DEP_1) | instskip(NEXT) | instid1(VALU_DEP_1)
	v_cmp_le_u32_e64 s16, v31, v30
	s_and_b32 s15, s15, s16
	s_delay_alu instid0(SALU_CYCLE_1) | instskip(NEXT) | instid1(SALU_CYCLE_1)
	s_or_b32 s15, s17, s15
	v_cndmask_b32_e64 v28, v14, v5, s15
	v_cndmask_b32_e64 v30, v21, v20, s15
	;; [unrolled: 1-line block ×3, first 2 shown]
	s_delay_alu instid0(VALU_DEP_3) | instskip(NEXT) | instid1(VALU_DEP_3)
	v_add_nc_u32_e32 v31, 1, v28
	v_add_nc_u32_e32 v30, -1, v30
	s_delay_alu instid0(VALU_DEP_2) | instskip(NEXT) | instid1(VALU_DEP_2)
	v_cndmask_b32_e64 v5, v5, v31, s15
	v_min_u32_e32 v30, v31, v30
	v_cndmask_b32_e64 v14, v31, v14, s15
	s_delay_alu instid0(VALU_DEP_3) | instskip(NEXT) | instid1(VALU_DEP_3)
	v_cmp_lt_u32_e64 s16, v5, v20
	v_lshl_add_u32 v30, v30, 2, v9
	s_delay_alu instid0(VALU_DEP_3) | instskip(SKIP_4) | instid1(VALU_DEP_2)
	v_cmp_ge_u32_e64 s18, v14, v21
	ds_load_b32 v30, v30
	s_waitcnt lgkmcnt(0)
	v_cndmask_b32_e64 v32, v30, v29, s15
	v_cndmask_b32_e64 v30, v27, v30, s15
	v_and_b32_e32 v33, v32, v84
	s_delay_alu instid0(VALU_DEP_2) | instskip(NEXT) | instid1(VALU_DEP_1)
	v_and_b32_e32 v34, v30, v84
	v_cmp_le_u32_e64 s17, v34, v33
	s_delay_alu instid0(VALU_DEP_1) | instskip(NEXT) | instid1(SALU_CYCLE_1)
	s_and_b32 s16, s16, s17
	s_or_b32 s16, s18, s16
	s_delay_alu instid0(SALU_CYCLE_1) | instskip(SKIP_1) | instid1(VALU_DEP_2)
	v_cndmask_b32_e64 v31, v14, v5, s16
	v_cndmask_b32_e64 v33, v21, v20, s16
	v_add_nc_u32_e32 v34, 1, v31
	s_delay_alu instid0(VALU_DEP_2) | instskip(NEXT) | instid1(VALU_DEP_2)
	v_add_nc_u32_e32 v33, -1, v33
	v_cndmask_b32_e64 v5, v5, v34, s16
	s_delay_alu instid0(VALU_DEP_2) | instskip(SKIP_1) | instid1(VALU_DEP_3)
	v_min_u32_e32 v33, v34, v33
	v_cndmask_b32_e64 v14, v34, v14, s16
	v_cmp_lt_u32_e64 s17, v5, v20
	s_delay_alu instid0(VALU_DEP_3) | instskip(NEXT) | instid1(VALU_DEP_3)
	v_lshl_add_u32 v33, v33, 2, v9
	v_cmp_ge_u32_e64 s19, v14, v21
	ds_load_b32 v33, v33
	s_waitcnt lgkmcnt(0)
	v_cndmask_b32_e64 v36, v33, v32, s16
	v_cndmask_b32_e64 v33, v30, v33, s16
	s_delay_alu instid0(VALU_DEP_2) | instskip(NEXT) | instid1(VALU_DEP_2)
	v_and_b32_e32 v35, v36, v84
	v_and_b32_e32 v37, v33, v84
	s_delay_alu instid0(VALU_DEP_1) | instskip(NEXT) | instid1(VALU_DEP_1)
	v_cmp_le_u32_e64 s18, v37, v35
	s_and_b32 s17, s17, s18
	s_delay_alu instid0(SALU_CYCLE_1) | instskip(NEXT) | instid1(SALU_CYCLE_1)
	s_or_b32 s17, s19, s17
	v_cndmask_b32_e64 v37, v14, v5, s17
	v_cndmask_b32_e64 v34, v21, v20, s17
	s_delay_alu instid0(VALU_DEP_2) | instskip(NEXT) | instid1(VALU_DEP_2)
	v_add_nc_u32_e32 v35, 1, v37
	v_add_nc_u32_e32 v34, -1, v34
	s_delay_alu instid0(VALU_DEP_2) | instskip(NEXT) | instid1(VALU_DEP_2)
	v_cndmask_b32_e64 v38, v5, v35, s17
	v_min_u32_e32 v34, v35, v34
	v_cndmask_b32_e64 v14, v35, v14, s17
	s_delay_alu instid0(VALU_DEP_3) | instskip(NEXT) | instid1(VALU_DEP_3)
	v_cmp_lt_u32_e64 s18, v38, v20
	v_lshl_add_u32 v34, v34, 2, v9
	s_delay_alu instid0(VALU_DEP_3)
	v_cmp_ge_u32_e64 s20, v14, v21
	v_lshl_add_u32 v20, v31, 3, v8
	v_lshl_add_u32 v21, v37, 3, v8
	ds_load_b32 v34, v34
	s_waitcnt lgkmcnt(0)
	v_cndmask_b32_e64 v68, v34, v36, s17
	v_cndmask_b32_e64 v69, v33, v34, s17
	s_delay_alu instid0(VALU_DEP_2) | instskip(NEXT) | instid1(VALU_DEP_2)
	v_and_b32_e32 v5, v68, v84
	v_and_b32_e32 v34, v69, v84
	s_delay_alu instid0(VALU_DEP_1)
	v_cmp_le_u32_e64 s19, v34, v5
	ds_load_b64 v[4:5], v4 offset:8192
	ds_load_b64 v[34:35], v17 offset:8192
	v_lshl_add_u32 v17, v25, 3, v8
	ds_load_b64 v[64:65], v19 offset:8192
	v_lshl_add_u32 v19, v28, 3, v8
	s_and_b32 s18, s18, s19
	s_delay_alu instid0(SALU_CYCLE_1) | instskip(NEXT) | instid1(SALU_CYCLE_1)
	s_or_b32 s18, s20, s18
	v_cndmask_b32_e64 v14, v14, v38, s18
	s_delay_alu instid0(VALU_DEP_1)
	v_lshl_add_u32 v14, v14, 3, v8
	ds_load_b64 v[52:53], v17 offset:8192
	ds_load_b64 v[66:67], v19 offset:8192
	;; [unrolled: 1-line block ×5, first 2 shown]
	v_cndmask_b32_e64 v14, v23, v18, s11
	v_cndmask_b32_e64 v17, v32, v30, s16
	v_cndmask_b32_e64 v18, v36, v33, s17
	v_cndmask_b32_e64 v19, v68, v69, s18
.LBB617_110:
	s_or_b32 exec_lo, exec_lo, s22
	v_and_b32_e32 v23, 0x80, v82
	v_min_u32_e32 v24, v11, v83
	; wave barrier
	s_waitcnt lgkmcnt(6)
	ds_store_2addr_b64 v10, v[4:5], v[34:35] offset1:1
	s_waitcnt lgkmcnt(5)
	ds_store_2addr_b64 v10, v[64:65], v[52:53] offset0:2 offset1:3
	ds_store_2addr_b64 v22, v[12:13], v[14:15] offset1:1
	ds_store_2addr_b64 v22, v[16:17], v[18:19] offset0:2 offset1:3
	v_or_b32_e32 v20, 64, v23
	v_lshl_add_u32 v22, v23, 2, v9
	s_mov_b32 s10, exec_lo
	s_waitcnt lgkmcnt(6)
	ds_store_2addr_b64 v10, v[66:67], v[50:51] offset0:4 offset1:5
	s_waitcnt lgkmcnt(5)
	ds_store_2addr_b64 v10, v[48:49], v[38:39] offset0:6 offset1:7
	v_min_u32_e32 v21, v11, v20
	; wave barrier
	s_delay_alu instid0(VALU_DEP_1) | instskip(NEXT) | instid1(VALU_DEP_1)
	v_add_nc_u32_e32 v20, 64, v21
	v_min_u32_e32 v20, v11, v20
	v_sub_nc_u32_e32 v11, v21, v23
	s_delay_alu instid0(VALU_DEP_2) | instskip(NEXT) | instid1(VALU_DEP_2)
	v_sub_nc_u32_e32 v26, v20, v21
	v_min_u32_e32 v25, v24, v11
	s_delay_alu instid0(VALU_DEP_2) | instskip(NEXT) | instid1(VALU_DEP_1)
	v_sub_nc_u32_e64 v11, v24, v26 clamp
	v_cmpx_lt_u32_e64 v11, v25
	s_cbranch_execz .LBB617_114
; %bb.111:
	v_lshlrev_b32_e32 v10, 2, v21
	v_lshlrev_b32_e32 v26, 2, v24
	s_mov_b32 s11, 0
	s_delay_alu instid0(VALU_DEP_1)
	v_add3_u32 v10, v9, v10, v26
	.p2align	6
.LBB617_112:                            ; =>This Inner Loop Header: Depth=1
	v_add_nc_u32_e32 v26, v25, v11
	s_delay_alu instid0(VALU_DEP_1) | instskip(NEXT) | instid1(VALU_DEP_1)
	v_lshrrev_b32_e32 v26, 1, v26
	v_not_b32_e32 v27, v26
	v_lshl_add_u32 v28, v26, 2, v22
	v_add_nc_u32_e32 v29, 1, v26
	s_delay_alu instid0(VALU_DEP_3)
	v_lshl_add_u32 v27, v27, 2, v10
	ds_load_b32 v28, v28
	ds_load_b32 v27, v27
	s_waitcnt lgkmcnt(1)
	v_and_b32_e32 v28, v28, v84
	s_waitcnt lgkmcnt(0)
	v_and_b32_e32 v27, v27, v84
	s_delay_alu instid0(VALU_DEP_1) | instskip(NEXT) | instid1(VALU_DEP_1)
	v_cmp_gt_u32_e64 s7, v28, v27
	v_cndmask_b32_e64 v25, v25, v26, s7
	v_cndmask_b32_e64 v11, v29, v11, s7
	s_delay_alu instid0(VALU_DEP_1) | instskip(NEXT) | instid1(VALU_DEP_1)
	v_cmp_ge_u32_e64 s7, v11, v25
	s_or_b32 s11, s7, s11
	s_delay_alu instid0(SALU_CYCLE_1)
	s_and_not1_b32 exec_lo, exec_lo, s11
	s_cbranch_execnz .LBB617_112
; %bb.113:
	s_or_b32 exec_lo, exec_lo, s11
.LBB617_114:
	s_delay_alu instid0(SALU_CYCLE_1) | instskip(SKIP_2) | instid1(VALU_DEP_2)
	s_or_b32 exec_lo, exec_lo, s10
	v_add_nc_u32_e32 v10, v21, v24
	v_add_nc_u32_e32 v24, v11, v23
	v_sub_nc_u32_e32 v23, v10, v11
	s_delay_alu instid0(VALU_DEP_2) | instskip(NEXT) | instid1(VALU_DEP_2)
	v_cmp_le_u32_e64 s7, v24, v21
	v_cmp_le_u32_e64 s10, v23, v20
	s_delay_alu instid0(VALU_DEP_1) | instskip(NEXT) | instid1(SALU_CYCLE_1)
	s_or_b32 s7, s7, s10
	s_and_saveexec_b32 s22, s7
	s_cbranch_execz .LBB617_120
; %bb.115:
	v_cmp_lt_u32_e64 s7, v24, v21
                                        ; implicit-def: $vgpr10
	s_delay_alu instid0(VALU_DEP_1)
	s_and_saveexec_b32 s10, s7
	s_cbranch_execz .LBB617_117
; %bb.116:
	v_lshl_add_u32 v4, v11, 2, v22
	ds_load_b32 v10, v4
.LBB617_117:
	s_or_b32 exec_lo, exec_lo, s10
	v_cmp_ge_u32_e64 s10, v23, v20
	s_mov_b32 s14, exec_lo
                                        ; implicit-def: $vgpr11
	v_cmpx_lt_u32_e64 v23, v20
	s_cbranch_execz .LBB617_119
; %bb.118:
	v_lshl_add_u32 v4, v23, 2, v9
	ds_load_b32 v11, v4
.LBB617_119:
	s_or_b32 exec_lo, exec_lo, s14
	s_waitcnt lgkmcnt(0)
	v_and_b32_e32 v4, v11, v84
	v_and_b32_e32 v5, v10, v84
	s_delay_alu instid0(VALU_DEP_1) | instskip(NEXT) | instid1(VALU_DEP_1)
	v_cmp_le_u32_e64 s11, v5, v4
	s_and_b32 s7, s7, s11
	s_delay_alu instid0(SALU_CYCLE_1) | instskip(NEXT) | instid1(SALU_CYCLE_1)
	s_or_b32 s7, s10, s7
	v_cndmask_b32_e64 v4, v23, v24, s7
	v_cndmask_b32_e64 v5, v20, v21, s7
	s_delay_alu instid0(VALU_DEP_2) | instskip(NEXT) | instid1(VALU_DEP_2)
	v_add_nc_u32_e32 v12, 1, v4
	v_add_nc_u32_e32 v5, -1, v5
	v_lshl_add_u32 v4, v4, 3, v8
	s_delay_alu instid0(VALU_DEP_2) | instskip(NEXT) | instid1(VALU_DEP_1)
	v_min_u32_e32 v5, v12, v5
	v_lshl_add_u32 v5, v5, 2, v9
	ds_load_b32 v5, v5
	s_waitcnt lgkmcnt(0)
	v_cndmask_b32_e64 v13, v5, v11, s7
	v_cndmask_b32_e64 v14, v10, v5, s7
	;; [unrolled: 1-line block ×4, first 2 shown]
	s_delay_alu instid0(VALU_DEP_4) | instskip(NEXT) | instid1(VALU_DEP_4)
	v_and_b32_e32 v15, v13, v84
	v_and_b32_e32 v16, v14, v84
	s_delay_alu instid0(VALU_DEP_4) | instskip(NEXT) | instid1(VALU_DEP_4)
	v_cmp_lt_u32_e64 s10, v5, v21
	v_cmp_ge_u32_e64 s14, v12, v20
	s_delay_alu instid0(VALU_DEP_3) | instskip(NEXT) | instid1(VALU_DEP_1)
	v_cmp_le_u32_e64 s11, v16, v15
	s_and_b32 s10, s10, s11
	s_delay_alu instid0(VALU_DEP_2) | instid1(SALU_CYCLE_1)
	s_or_b32 s10, s14, s10
	s_delay_alu instid0(SALU_CYCLE_1) | instskip(SKIP_1) | instid1(VALU_DEP_2)
	v_cndmask_b32_e64 v15, v12, v5, s10
	v_cndmask_b32_e64 v16, v20, v21, s10
	v_add_nc_u32_e32 v17, 1, v15
	s_delay_alu instid0(VALU_DEP_2) | instskip(SKIP_1) | instid1(VALU_DEP_3)
	v_add_nc_u32_e32 v16, -1, v16
	v_lshl_add_u32 v15, v15, 3, v8
	v_cndmask_b32_e64 v5, v5, v17, s10
	s_delay_alu instid0(VALU_DEP_3) | instskip(SKIP_1) | instid1(VALU_DEP_3)
	v_min_u32_e32 v16, v17, v16
	v_cndmask_b32_e64 v12, v17, v12, s10
	v_cmp_lt_u32_e64 s11, v5, v21
	s_delay_alu instid0(VALU_DEP_3) | instskip(NEXT) | instid1(VALU_DEP_3)
	v_lshl_add_u32 v16, v16, 2, v9
	v_cmp_ge_u32_e64 s15, v12, v20
	ds_load_b32 v16, v16
	s_waitcnt lgkmcnt(0)
	v_cndmask_b32_e64 v18, v16, v13, s10
	v_cndmask_b32_e64 v16, v14, v16, s10
	;; [unrolled: 1-line block ×3, first 2 shown]
	s_delay_alu instid0(VALU_DEP_3) | instskip(NEXT) | instid1(VALU_DEP_3)
	v_and_b32_e32 v19, v18, v84
	v_and_b32_e32 v22, v16, v84
	s_delay_alu instid0(VALU_DEP_1) | instskip(NEXT) | instid1(VALU_DEP_1)
	v_cmp_le_u32_e64 s14, v22, v19
	s_and_b32 s11, s11, s14
	s_delay_alu instid0(SALU_CYCLE_1) | instskip(NEXT) | instid1(SALU_CYCLE_1)
	s_or_b32 s11, s15, s11
	v_cndmask_b32_e64 v17, v12, v5, s11
	v_cndmask_b32_e64 v19, v20, v21, s11
	;; [unrolled: 1-line block ×3, first 2 shown]
	s_delay_alu instid0(VALU_DEP_3) | instskip(NEXT) | instid1(VALU_DEP_3)
	v_add_nc_u32_e32 v22, 1, v17
	v_add_nc_u32_e32 v19, -1, v19
	v_lshl_add_u32 v17, v17, 3, v8
	s_delay_alu instid0(VALU_DEP_3) | instskip(NEXT) | instid1(VALU_DEP_3)
	v_cndmask_b32_e64 v5, v5, v22, s11
	v_min_u32_e32 v19, v22, v19
	v_cndmask_b32_e64 v12, v22, v12, s11
	s_delay_alu instid0(VALU_DEP_3) | instskip(NEXT) | instid1(VALU_DEP_3)
	v_cmp_lt_u32_e64 s14, v5, v21
	v_lshl_add_u32 v19, v19, 2, v9
	s_delay_alu instid0(VALU_DEP_3) | instskip(SKIP_4) | instid1(VALU_DEP_2)
	v_cmp_ge_u32_e64 s16, v12, v20
	ds_load_b32 v19, v19
	s_waitcnt lgkmcnt(0)
	v_cndmask_b32_e64 v23, v19, v18, s11
	v_cndmask_b32_e64 v19, v16, v19, s11
	v_and_b32_e32 v24, v23, v84
	s_delay_alu instid0(VALU_DEP_2) | instskip(NEXT) | instid1(VALU_DEP_1)
	v_and_b32_e32 v25, v19, v84
	v_cmp_le_u32_e64 s15, v25, v24
	s_delay_alu instid0(VALU_DEP_1) | instskip(NEXT) | instid1(SALU_CYCLE_1)
	s_and_b32 s14, s14, s15
	s_or_b32 s14, s16, s14
	s_delay_alu instid0(SALU_CYCLE_1) | instskip(SKIP_1) | instid1(VALU_DEP_2)
	v_cndmask_b32_e64 v22, v12, v5, s14
	v_cndmask_b32_e64 v24, v20, v21, s14
	v_add_nc_u32_e32 v25, 1, v22
	s_delay_alu instid0(VALU_DEP_2) | instskip(NEXT) | instid1(VALU_DEP_2)
	v_add_nc_u32_e32 v24, -1, v24
	v_cndmask_b32_e64 v5, v5, v25, s14
	s_delay_alu instid0(VALU_DEP_2) | instskip(SKIP_1) | instid1(VALU_DEP_3)
	v_min_u32_e32 v24, v25, v24
	v_cndmask_b32_e64 v12, v25, v12, s14
	v_cmp_lt_u32_e64 s15, v5, v21
	s_delay_alu instid0(VALU_DEP_3) | instskip(NEXT) | instid1(VALU_DEP_3)
	v_lshl_add_u32 v24, v24, 2, v9
	v_cmp_ge_u32_e64 s17, v12, v20
	ds_load_b32 v24, v24
	s_waitcnt lgkmcnt(0)
	v_cndmask_b32_e64 v26, v24, v23, s14
	v_cndmask_b32_e64 v24, v19, v24, s14
	s_delay_alu instid0(VALU_DEP_2) | instskip(NEXT) | instid1(VALU_DEP_2)
	v_and_b32_e32 v27, v26, v84
	v_and_b32_e32 v28, v24, v84
	s_delay_alu instid0(VALU_DEP_1) | instskip(NEXT) | instid1(VALU_DEP_1)
	v_cmp_le_u32_e64 s16, v28, v27
	s_and_b32 s15, s15, s16
	s_delay_alu instid0(SALU_CYCLE_1) | instskip(NEXT) | instid1(SALU_CYCLE_1)
	s_or_b32 s15, s17, s15
	v_cndmask_b32_e64 v25, v12, v5, s15
	v_cndmask_b32_e64 v27, v20, v21, s15
	;; [unrolled: 1-line block ×3, first 2 shown]
	s_delay_alu instid0(VALU_DEP_3) | instskip(NEXT) | instid1(VALU_DEP_3)
	v_add_nc_u32_e32 v28, 1, v25
	v_add_nc_u32_e32 v27, -1, v27
	s_delay_alu instid0(VALU_DEP_2) | instskip(NEXT) | instid1(VALU_DEP_2)
	v_cndmask_b32_e64 v5, v5, v28, s15
	v_min_u32_e32 v27, v28, v27
	v_cndmask_b32_e64 v12, v28, v12, s15
	s_delay_alu instid0(VALU_DEP_3) | instskip(NEXT) | instid1(VALU_DEP_3)
	v_cmp_lt_u32_e64 s16, v5, v21
	v_lshl_add_u32 v27, v27, 2, v9
	s_delay_alu instid0(VALU_DEP_3) | instskip(SKIP_4) | instid1(VALU_DEP_2)
	v_cmp_ge_u32_e64 s18, v12, v20
	ds_load_b32 v27, v27
	s_waitcnt lgkmcnt(0)
	v_cndmask_b32_e64 v29, v27, v26, s15
	v_cndmask_b32_e64 v27, v24, v27, s15
	v_and_b32_e32 v30, v29, v84
	s_delay_alu instid0(VALU_DEP_2) | instskip(NEXT) | instid1(VALU_DEP_1)
	v_and_b32_e32 v31, v27, v84
	v_cmp_le_u32_e64 s17, v31, v30
	s_delay_alu instid0(VALU_DEP_1) | instskip(NEXT) | instid1(SALU_CYCLE_1)
	s_and_b32 s16, s16, s17
	s_or_b32 s16, s18, s16
	s_delay_alu instid0(SALU_CYCLE_1) | instskip(SKIP_1) | instid1(VALU_DEP_2)
	v_cndmask_b32_e64 v28, v12, v5, s16
	v_cndmask_b32_e64 v30, v20, v21, s16
	v_add_nc_u32_e32 v31, 1, v28
	s_delay_alu instid0(VALU_DEP_2) | instskip(NEXT) | instid1(VALU_DEP_2)
	v_add_nc_u32_e32 v30, -1, v30
	v_cndmask_b32_e64 v5, v5, v31, s16
	s_delay_alu instid0(VALU_DEP_2) | instskip(SKIP_1) | instid1(VALU_DEP_3)
	v_min_u32_e32 v30, v31, v30
	v_cndmask_b32_e64 v12, v31, v12, s16
	v_cmp_lt_u32_e64 s17, v5, v21
	s_delay_alu instid0(VALU_DEP_3) | instskip(NEXT) | instid1(VALU_DEP_3)
	v_lshl_add_u32 v30, v30, 2, v9
	v_cmp_ge_u32_e64 s19, v12, v20
	ds_load_b32 v30, v30
	s_waitcnt lgkmcnt(0)
	v_cndmask_b32_e64 v32, v30, v29, s16
	v_cndmask_b32_e64 v30, v27, v30, s16
	s_delay_alu instid0(VALU_DEP_2) | instskip(NEXT) | instid1(VALU_DEP_2)
	v_and_b32_e32 v33, v32, v84
	v_and_b32_e32 v34, v30, v84
	s_delay_alu instid0(VALU_DEP_1) | instskip(NEXT) | instid1(VALU_DEP_1)
	v_cmp_le_u32_e64 s18, v34, v33
	s_and_b32 s17, s17, s18
	s_delay_alu instid0(SALU_CYCLE_1) | instskip(NEXT) | instid1(SALU_CYCLE_1)
	s_or_b32 s17, s19, s17
	v_cndmask_b32_e64 v31, v12, v5, s17
	v_cndmask_b32_e64 v33, v20, v21, s17
	;; [unrolled: 1-line block ×3, first 2 shown]
	s_delay_alu instid0(VALU_DEP_3) | instskip(NEXT) | instid1(VALU_DEP_3)
	v_add_nc_u32_e32 v34, 1, v31
	v_add_nc_u32_e32 v33, -1, v33
	s_delay_alu instid0(VALU_DEP_2) | instskip(NEXT) | instid1(VALU_DEP_2)
	v_cndmask_b32_e64 v36, v5, v34, s17
	v_min_u32_e32 v33, v34, v33
	v_cndmask_b32_e64 v12, v34, v12, s17
	s_delay_alu instid0(VALU_DEP_3) | instskip(NEXT) | instid1(VALU_DEP_3)
	v_cmp_lt_u32_e64 s18, v36, v21
	v_lshl_add_u32 v9, v33, 2, v9
	s_delay_alu instid0(VALU_DEP_3)
	v_cmp_ge_u32_e64 s20, v12, v20
	v_lshl_add_u32 v20, v28, 3, v8
	v_lshl_add_u32 v21, v31, 3, v8
	ds_load_b32 v9, v9
	s_waitcnt lgkmcnt(0)
	v_cndmask_b32_e64 v33, v9, v32, s17
	v_cndmask_b32_e64 v9, v30, v9, s17
	s_delay_alu instid0(VALU_DEP_2) | instskip(NEXT) | instid1(VALU_DEP_2)
	v_and_b32_e32 v5, v33, v84
	v_and_b32_e32 v35, v9, v84
	s_delay_alu instid0(VALU_DEP_1)
	v_cmp_le_u32_e64 s19, v35, v5
	ds_load_b64 v[4:5], v4 offset:8192
	ds_load_b64 v[34:35], v15 offset:8192
	v_lshl_add_u32 v15, v22, 3, v8
	ds_load_b64 v[64:65], v17 offset:8192
	v_lshl_add_u32 v17, v25, 3, v8
	s_and_b32 s18, s18, s19
	s_delay_alu instid0(SALU_CYCLE_1) | instskip(NEXT) | instid1(SALU_CYCLE_1)
	s_or_b32 s18, s20, s18
	v_cndmask_b32_e64 v12, v12, v36, s18
	s_delay_alu instid0(VALU_DEP_1)
	v_lshl_add_u32 v8, v12, 3, v8
	ds_load_b64 v[52:53], v15 offset:8192
	ds_load_b64 v[66:67], v17 offset:8192
	;; [unrolled: 1-line block ×5, first 2 shown]
	v_cndmask_b32_e64 v12, v11, v10, s7
	v_cndmask_b32_e64 v15, v23, v19, s14
	;; [unrolled: 1-line block ×4, first 2 shown]
.LBB617_120:
	s_or_b32 exec_lo, exec_lo, s22
	; wave barrier
	s_waitcnt lgkmcnt(0)
	s_waitcnt_vscnt null, 0x0
	s_barrier
                                        ; implicit-def: $vgpr82
                                        ; implicit-def: $vgpr20_vgpr21_vgpr22_vgpr23_vgpr24_vgpr25_vgpr26_vgpr27
                                        ; implicit-def: $vgpr83
                                        ; implicit-def: $vgpr9
                                        ; implicit-def: $vgpr28
                                        ; implicit-def: $vgpr8
.LBB617_121:
	s_and_not1_saveexec_b32 s17, s21
	s_cbranch_execz .LBB617_217
; %bb.122:
	s_load_b64 s[10:11], s[8:9], 0x0
	v_mov_b32_e32 v10, 0
	s_waitcnt vmcnt(0) lgkmcnt(0)
	v_dual_mov_b32 v12, v20 :: v_dual_mov_b32 v15, v23
	v_dual_mov_b32 v13, v21 :: v_dual_mov_b32 v14, v22
	;; [unrolled: 1-line block ×4, first 2 shown]
	s_cmp_lt_u32 s13, s11
	s_cselect_b32 s7, 14, 20
	s_delay_alu instid0(SALU_CYCLE_1) | instskip(SKIP_4) | instid1(SALU_CYCLE_1)
	s_add_u32 s14, s8, s7
	s_addc_u32 s15, s9, 0
	s_cmp_lt_u32 s12, s10
	global_load_u16 v11, v10, s[14:15]
	s_cselect_b32 s7, 12, 18
	s_add_u32 s8, s8, s7
	s_addc_u32 s9, s9, 0
	global_load_u16 v10, v10, s[8:9]
	s_mov_b32 s9, exec_lo
	s_waitcnt vmcnt(1)
	v_mad_u32_u24 v9, v28, v11, v9
	s_waitcnt vmcnt(0)
	s_delay_alu instid0(VALU_DEP_1) | instskip(NEXT) | instid1(VALU_DEP_1)
	v_mul_lo_u32 v9, v9, v10
	v_add_lshl_u32 v84, v9, v8, 3
	s_delay_alu instid0(VALU_DEP_1)
	v_cmpx_gt_u32_e32 0x800, v84
	s_cbranch_execz .LBB617_176
; %bb.123:
	v_dual_mov_b32 v8, v20 :: v_dual_mov_b32 v9, v21
	v_dual_mov_b32 v69, v35 :: v_dual_mov_b32 v68, v34
	v_dual_mov_b32 v10, v22 :: v_dual_mov_b32 v11, v23
	v_dual_mov_b32 v12, v24 :: v_dual_mov_b32 v13, v25
	v_dual_mov_b32 v14, v26 :: v_dual_mov_b32 v15, v27
	v_mov_b32_e32 v85, v20
	s_mov_b32 s8, exec_lo
	v_cmpx_gt_i32_e64 v20, v21
; %bb.124:
	v_dual_mov_b32 v8, v21 :: v_dual_mov_b32 v9, v20
	v_dual_mov_b32 v10, v22 :: v_dual_mov_b32 v11, v23
	v_dual_mov_b32 v12, v24 :: v_dual_mov_b32 v13, v25
	v_dual_mov_b32 v14, v26 :: v_dual_mov_b32 v15, v27
	v_dual_mov_b32 v69, v5 :: v_dual_mov_b32 v68, v4
	v_dual_mov_b32 v4, v34 :: v_dual_mov_b32 v5, v35
	v_mov_b32_e32 v85, v21
	v_mov_b32_e32 v21, v20
; %bb.125:
	s_or_b32 exec_lo, exec_lo, s8
	v_dual_mov_b32 v29, v15 :: v_dual_mov_b32 v28, v14
	v_dual_mov_b32 v71, v53 :: v_dual_mov_b32 v70, v52
	v_dual_mov_b32 v27, v13 :: v_dual_mov_b32 v26, v12
	v_dual_mov_b32 v25, v11 :: v_dual_mov_b32 v24, v10
	v_dual_mov_b32 v23, v9 :: v_dual_mov_b32 v22, v8
	v_mov_b32_e32 v20, v11
	s_mov_b32 s8, exec_lo
	v_cmpx_gt_i32_e64 v10, v11
; %bb.126:
	v_dual_mov_b32 v22, v8 :: v_dual_mov_b32 v23, v9
	v_dual_mov_b32 v24, v11 :: v_dual_mov_b32 v25, v10
	v_dual_mov_b32 v26, v12 :: v_dual_mov_b32 v27, v13
	v_dual_mov_b32 v28, v14 :: v_dual_mov_b32 v29, v15
	v_dual_mov_b32 v71, v65 :: v_dual_mov_b32 v70, v64
	v_dual_mov_b32 v65, v53 :: v_dual_mov_b32 v64, v52
	v_mov_b32_e32 v20, v10
	v_mov_b32_e32 v10, v11
; %bb.127:
	s_or_b32 exec_lo, exec_lo, s8
	;; [unrolled: 19-line block ×3, first 2 shown]
	v_dual_mov_b32 v12, v30 :: v_dual_mov_b32 v13, v31
	v_dual_mov_b32 v22, v48 :: v_dual_mov_b32 v23, v49
	;; [unrolled: 1-line block ×5, first 2 shown]
	v_mov_b32_e32 v53, v37
	s_mov_b32 s8, exec_lo
	v_cmpx_gt_i32_e64 v36, v37
; %bb.130:
	v_dual_mov_b32 v12, v30 :: v_dual_mov_b32 v13, v31
	v_dual_mov_b32 v14, v32 :: v_dual_mov_b32 v15, v33
	;; [unrolled: 1-line block ×7, first 2 shown]
; %bb.131:
	s_or_b32 exec_lo, exec_lo, s8
	v_cmp_gt_i32_e64 s7, v21, v10
	v_dual_mov_b32 v24, v64 :: v_dual_mov_b32 v25, v65
	v_mov_b32_e32 v32, v10
	s_delay_alu instid0(VALU_DEP_3) | instskip(NEXT) | instid1(SALU_CYCLE_1)
	s_and_saveexec_b32 s8, s7
	s_xor_b32 s7, exec_lo, s8
; %bb.132:
	v_dual_mov_b32 v13, v10 :: v_dual_mov_b32 v14, v21
	v_dual_mov_b32 v24, v68 :: v_dual_mov_b32 v25, v69
	;; [unrolled: 1-line block ×4, first 2 shown]
; %bb.133:
	s_or_b32 exec_lo, exec_lo, s7
	v_dual_mov_b32 v28, v70 :: v_dual_mov_b32 v29, v71
	v_mov_b32_e32 v35, v26
	s_mov_b32 s8, exec_lo
	v_cmpx_gt_i32_e64 v20, v26
; %bb.134:
	v_dual_mov_b32 v15, v26 :: v_dual_mov_b32 v16, v20
	v_dual_mov_b32 v29, v9 :: v_dual_mov_b32 v28, v8
	;; [unrolled: 1-line block ×4, first 2 shown]
; %bb.135:
	s_or_b32 exec_lo, exec_lo, s8
	v_dual_mov_b32 v10, v50 :: v_dual_mov_b32 v11, v51
	v_mov_b32_e32 v37, v36
	s_mov_b32 s8, exec_lo
	v_cmpx_gt_i32_e64 v52, v36
; %bb.136:
	v_dual_mov_b32 v17, v36 :: v_dual_mov_b32 v10, v22
	v_dual_mov_b32 v18, v52 :: v_dual_mov_b32 v11, v23
	;; [unrolled: 1-line block ×3, first 2 shown]
	v_mov_b32_e32 v37, v52
	v_mov_b32_e32 v52, v36
; %bb.137:
	s_or_b32 exec_lo, exec_lo, s8
	v_dual_mov_b32 v26, v68 :: v_dual_mov_b32 v27, v69
	v_mov_b32_e32 v34, v85
	s_mov_b32 s8, exec_lo
	v_cmpx_gt_i32_e64 v85, v21
; %bb.138:
	v_mov_b32_e32 v27, v5
	v_dual_mov_b32 v13, v85 :: v_dual_mov_b32 v26, v4
	v_mov_b32_e32 v4, v68
	v_mov_b32_e32 v12, v21
	;; [unrolled: 1-line block ×5, first 2 shown]
; %bb.139:
	s_or_b32 exec_lo, exec_lo, s8
	v_dual_mov_b32 v31, v29 :: v_dual_mov_b32 v30, v28
	v_mov_b32_e32 v36, v20
	s_mov_b32 s8, exec_lo
	v_cmpx_gt_i32_e64 v32, v20
; %bb.140:
	v_dual_mov_b32 v14, v20 :: v_dual_mov_b32 v31, v25
	v_mov_b32_e32 v30, v24
	v_dual_mov_b32 v24, v28 :: v_dual_mov_b32 v25, v29
	v_mov_b32_e32 v15, v32
	v_mov_b32_e32 v36, v32
	v_mov_b32_e32 v32, v20
; %bb.141:
	s_or_b32 exec_lo, exec_lo, s8
	v_dual_mov_b32 v29, v9 :: v_dual_mov_b32 v28, v8
	v_mov_b32_e32 v48, v52
	s_mov_b32 s8, exec_lo
	v_cmpx_gt_i32_e64 v35, v52
; %bb.142:
	v_dual_mov_b32 v16, v52 :: v_dual_mov_b32 v17, v35
	v_dual_mov_b32 v29, v11 :: v_dual_mov_b32 v28, v10
	;; [unrolled: 1-line block ×4, first 2 shown]
; %bb.143:
	s_or_b32 exec_lo, exec_lo, s8
	v_dual_mov_b32 v8, v22 :: v_dual_mov_b32 v9, v23
	v_mov_b32_e32 v20, v53
	s_mov_b32 s8, exec_lo
	v_cmpx_gt_i32_e64 v37, v53
; %bb.144:
	v_dual_mov_b32 v19, v37 :: v_dual_mov_b32 v8, v38
	v_dual_mov_b32 v18, v53 :: v_dual_mov_b32 v9, v39
	v_dual_mov_b32 v39, v23 :: v_dual_mov_b32 v38, v22
	v_mov_b32_e32 v20, v37
	v_mov_b32_e32 v37, v53
; %bb.145:
	s_or_b32 exec_lo, exec_lo, s8
	v_dual_mov_b32 v22, v24 :: v_dual_mov_b32 v23, v25
	v_mov_b32_e32 v49, v32
	s_mov_b32 s8, exec_lo
	v_cmpx_gt_i32_e64 v21, v32
; %bb.146:
	v_dual_mov_b32 v13, v32 :: v_dual_mov_b32 v14, v21
	v_dual_mov_b32 v22, v26 :: v_dual_mov_b32 v23, v27
	v_dual_mov_b32 v27, v25 :: v_dual_mov_b32 v26, v24
	v_mov_b32_e32 v49, v21
	v_mov_b32_e32 v21, v32
	;; [unrolled: 12-line block ×5, first 2 shown]
; %bb.153:
	s_or_b32 exec_lo, exec_lo, s8
	v_dual_mov_b32 v30, v32 :: v_dual_mov_b32 v31, v33
	v_mov_b32_e32 v34, v36
	s_mov_b32 s8, exec_lo
	v_cmpx_gt_i32_e64 v49, v36
; %bb.154:
	v_dual_mov_b32 v14, v36 :: v_dual_mov_b32 v15, v49
	v_dual_mov_b32 v31, v23 :: v_dual_mov_b32 v30, v22
	;; [unrolled: 1-line block ×4, first 2 shown]
; %bb.155:
	s_or_b32 exec_lo, exec_lo, s8
	v_dual_mov_b32 v26, v28 :: v_dual_mov_b32 v27, v29
	v_mov_b32_e32 v36, v48
	s_mov_b32 s8, exec_lo
	v_cmpx_gt_i32_e64 v50, v48
; %bb.156:
	v_dual_mov_b32 v16, v48 :: v_dual_mov_b32 v17, v50
	v_dual_mov_b32 v27, v25 :: v_dual_mov_b32 v26, v24
	v_dual_mov_b32 v24, v28 :: v_dual_mov_b32 v25, v29
	v_mov_b32_e32 v36, v50
	v_mov_b32_e32 v50, v48
; %bb.157:
	s_or_b32 exec_lo, exec_lo, s8
	v_dual_mov_b32 v29, v9 :: v_dual_mov_b32 v28, v8
	v_mov_b32_e32 v37, v20
	s_mov_b32 s8, exec_lo
	v_cmpx_gt_i32_e64 v52, v20
; %bb.158:
	v_dual_mov_b32 v19, v52 :: v_dual_mov_b32 v28, v38
	v_dual_mov_b32 v18, v20 :: v_dual_mov_b32 v29, v39
	v_dual_mov_b32 v39, v9 :: v_dual_mov_b32 v38, v8
	v_mov_b32_e32 v37, v52
	v_mov_b32_e32 v52, v20
	;; [unrolled: 12-line block ×3, first 2 shown]
; %bb.161:
	s_or_b32 exec_lo, exec_lo, s8
	v_dual_mov_b32 v33, v31 :: v_dual_mov_b32 v32, v30
	v_mov_b32_e32 v49, v50
	s_mov_b32 s8, exec_lo
	v_cmpx_gt_i32_e64 v34, v50
; %bb.162:
	v_dual_mov_b32 v16, v34 :: v_dual_mov_b32 v33, v27
	v_mov_b32_e32 v32, v26
	v_dual_mov_b32 v26, v30 :: v_dual_mov_b32 v27, v31
	v_mov_b32_e32 v15, v50
	v_mov_b32_e32 v49, v34
	;; [unrolled: 1-line block ×3, first 2 shown]
; %bb.163:
	s_or_b32 exec_lo, exec_lo, s8
	v_dual_mov_b32 v51, v25 :: v_dual_mov_b32 v50, v24
	v_mov_b32_e32 v30, v52
	s_mov_b32 s8, exec_lo
	v_cmpx_gt_i32_e64 v36, v52
; %bb.164:
	v_dual_mov_b32 v18, v36 :: v_dual_mov_b32 v51, v29
	v_dual_mov_b32 v50, v28 :: v_dual_mov_b32 v29, v25
	v_mov_b32_e32 v17, v52
	v_mov_b32_e32 v28, v24
	;; [unrolled: 1-line block ×4, first 2 shown]
; %bb.165:
	s_or_b32 exec_lo, exec_lo, s8
	v_dual_mov_b32 v23, v11 :: v_dual_mov_b32 v22, v10
	v_mov_b32_e32 v20, v35
	s_mov_b32 s8, exec_lo
	v_cmpx_gt_i32_e64 v35, v21
; %bb.166:
	v_dual_mov_b32 v12, v21 :: v_dual_mov_b32 v13, v35
	v_dual_mov_b32 v23, v5 :: v_dual_mov_b32 v22, v4
	v_dual_mov_b32 v4, v10 :: v_dual_mov_b32 v5, v11
	v_dual_mov_b32 v20, v21 :: v_dual_mov_b32 v21, v35
; %bb.167:
	s_or_b32 exec_lo, exec_lo, s8
	v_dual_mov_b32 v10, v32 :: v_dual_mov_b32 v11, v33
	v_mov_b32_e32 v31, v34
	s_mov_b32 s8, exec_lo
	v_cmpx_gt_i32_e64 v48, v34
; %bb.168:
	v_dual_mov_b32 v14, v34 :: v_dual_mov_b32 v15, v48
	v_dual_mov_b32 v11, v9 :: v_dual_mov_b32 v10, v8
	v_dual_mov_b32 v8, v32 :: v_dual_mov_b32 v9, v33
	v_dual_mov_b32 v31, v48 :: v_dual_mov_b32 v48, v34
	;; [unrolled: 11-line block ×3, first 2 shown]
; %bb.171:
	s_or_b32 exec_lo, exec_lo, s8
	v_dual_mov_b32 v26, v28 :: v_dual_mov_b32 v27, v29
	s_mov_b32 s8, exec_lo
	v_cmpx_gt_i32_e64 v30, v37
; %bb.172:
	v_dual_mov_b32 v18, v37 :: v_dual_mov_b32 v19, v30
	v_dual_mov_b32 v26, v38 :: v_dual_mov_b32 v27, v39
	;; [unrolled: 1-line block ×3, first 2 shown]
	v_mov_b32_e32 v30, v37
; %bb.173:
	s_or_b32 exec_lo, exec_lo, s8
	v_cmp_gt_i32_e64 s7, v21, v48
	v_cmp_gt_i32_e64 s8, v31, v49
	s_delay_alu instid0(VALU_DEP_2)
	v_cndmask_b32_e64 v65, v9, v23, s7
	v_cndmask_b32_e64 v64, v8, v22, s7
	;; [unrolled: 1-line block ×12, first 2 shown]
	v_dual_mov_b32 v49, v27 :: v_dual_mov_b32 v48, v26
	s_mov_b32 s8, exec_lo
	v_cmpx_gt_i32_e64 v32, v30
; %bb.174:
	v_dual_mov_b32 v17, v30 :: v_dual_mov_b32 v18, v32
	v_dual_mov_b32 v48, v50 :: v_dual_mov_b32 v49, v51
	;; [unrolled: 1-line block ×3, first 2 shown]
; %bb.175:
	s_or_b32 exec_lo, exec_lo, s8
.LBB617_176:
	s_delay_alu instid0(SALU_CYCLE_1) | instskip(SKIP_4) | instid1(VALU_DEP_4)
	s_or_b32 exec_lo, exec_lo, s9
	v_dual_mov_b32 v21, v13 :: v_dual_and_b32 v8, 0xffffff00, v84
	v_or_b32_e32 v10, 8, v82
	v_and_b32_e32 v25, 8, v82
	v_and_b32_e32 v26, 0xf0, v82
	v_sub_nc_u32_e64 v11, 0x800, v8 clamp
	v_dual_mov_b32 v30, v15 :: v_dual_lshlrev_b32 v9, 2, v8
	s_mov_b32 s8, exec_lo
	v_mov_b32_e32 v29, v14
	s_delay_alu instid0(VALU_DEP_3) | instskip(NEXT) | instid1(VALU_DEP_3)
	v_min_u32_e32 v23, v11, v10
	v_add_nc_u32_e32 v8, v9, v9
	v_lshl_or_b32 v22, v82, 2, v9
	v_min_u32_e32 v27, v11, v25
	s_delay_alu instid0(VALU_DEP_4) | instskip(NEXT) | instid1(VALU_DEP_4)
	v_add_nc_u32_e32 v10, 8, v23
	v_lshl_add_u32 v31, v82, 3, v8
	v_sub_nc_u32_e32 v32, v23, v26
	s_delay_alu instid0(VALU_DEP_3) | instskip(NEXT) | instid1(VALU_DEP_3)
	v_min_u32_e32 v24, v11, v10
	v_add_nc_u32_e32 v10, 0x2000, v31
	v_add_nc_u32_e32 v25, 0x2010, v31
	;; [unrolled: 1-line block ×4, first 2 shown]
	v_sub_nc_u32_e32 v28, v24, v23
	ds_store_2addr_b64 v10, v[4:5], v[34:35] offset1:1
	ds_store_2addr_b64 v25, v[64:65], v[52:53] offset1:1
	;; [unrolled: 1-line block ×3, first 2 shown]
	ds_store_2addr_b64 v22, v[16:17], v[18:19] offset0:2 offset1:3
	v_lshl_or_b32 v20, v26, 2, v9
	ds_store_2addr_b64 v33, v[66:67], v[50:51] offset1:1
	ds_store_2addr_b64 v31, v[48:49], v[38:39] offset1:1
	v_sub_nc_u32_e64 v25, v27, v28 clamp
	v_min_u32_e32 v28, v27, v32
	; wave barrier
	s_delay_alu instid0(VALU_DEP_1)
	v_cmpx_lt_u32_e64 v25, v28
	s_cbranch_execz .LBB617_180
; %bb.177:
	v_lshlrev_b32_e32 v21, 2, v23
	v_lshlrev_b32_e32 v29, 2, v27
	s_mov_b32 s9, 0
	s_delay_alu instid0(VALU_DEP_1)
	v_add3_u32 v21, v9, v21, v29
	.p2align	6
.LBB617_178:                            ; =>This Inner Loop Header: Depth=1
	v_add_nc_u32_e32 v29, v28, v25
	s_delay_alu instid0(VALU_DEP_1) | instskip(NEXT) | instid1(VALU_DEP_1)
	v_lshrrev_b32_e32 v29, 1, v29
	v_not_b32_e32 v30, v29
	v_lshl_add_u32 v31, v29, 2, v20
	v_add_nc_u32_e32 v32, 1, v29
	s_delay_alu instid0(VALU_DEP_3) | instskip(SKIP_4) | instid1(VALU_DEP_1)
	v_lshl_add_u32 v30, v30, 2, v21
	ds_load_b32 v31, v31
	ds_load_b32 v30, v30
	s_waitcnt lgkmcnt(0)
	v_cmp_gt_i32_e64 s7, v31, v30
	v_cndmask_b32_e64 v28, v28, v29, s7
	v_cndmask_b32_e64 v25, v32, v25, s7
	s_delay_alu instid0(VALU_DEP_1) | instskip(NEXT) | instid1(VALU_DEP_1)
	v_cmp_ge_u32_e64 s7, v25, v28
	s_or_b32 s9, s7, s9
	s_delay_alu instid0(SALU_CYCLE_1)
	s_and_not1_b32 exec_lo, exec_lo, s9
	s_cbranch_execnz .LBB617_178
; %bb.179:
	s_or_b32 exec_lo, exec_lo, s9
.LBB617_180:
	s_delay_alu instid0(SALU_CYCLE_1) | instskip(SKIP_2) | instid1(VALU_DEP_2)
	s_or_b32 exec_lo, exec_lo, s8
	v_add_nc_u32_e32 v21, v23, v27
	v_add_nc_u32_e32 v26, v25, v26
	v_sub_nc_u32_e32 v21, v21, v25
	s_delay_alu instid0(VALU_DEP_2) | instskip(NEXT) | instid1(VALU_DEP_2)
	v_cmp_le_u32_e64 s7, v26, v23
	v_cmp_le_u32_e64 s8, v21, v24
	s_delay_alu instid0(VALU_DEP_1) | instskip(NEXT) | instid1(SALU_CYCLE_1)
	s_or_b32 s7, s7, s8
	s_and_saveexec_b32 s18, s7
	s_cbranch_execz .LBB617_186
; %bb.181:
	v_cmp_lt_u32_e64 s7, v26, v23
                                        ; implicit-def: $vgpr12
	s_delay_alu instid0(VALU_DEP_1)
	s_and_saveexec_b32 s8, s7
	s_cbranch_execz .LBB617_183
; %bb.182:
	v_lshl_add_u32 v4, v25, 2, v20
	ds_load_b32 v12, v4
.LBB617_183:
	s_or_b32 exec_lo, exec_lo, s8
	v_cmp_ge_u32_e64 s8, v21, v24
	s_mov_b32 s10, exec_lo
                                        ; implicit-def: $vgpr13
	v_cmpx_lt_u32_e64 v21, v24
	s_cbranch_execz .LBB617_185
; %bb.184:
	v_lshl_add_u32 v4, v21, 2, v9
	ds_load_b32 v13, v4
.LBB617_185:
	s_or_b32 exec_lo, exec_lo, s10
	s_waitcnt lgkmcnt(0)
	v_cmp_le_i32_e64 s9, v12, v13
	s_delay_alu instid0(VALU_DEP_1) | instskip(NEXT) | instid1(SALU_CYCLE_1)
	s_and_b32 s7, s7, s9
	s_or_b32 s7, s8, s7
	s_delay_alu instid0(SALU_CYCLE_1) | instskip(SKIP_1) | instid1(VALU_DEP_2)
	v_cndmask_b32_e64 v4, v21, v26, s7
	v_cndmask_b32_e64 v5, v24, v23, s7
	v_add_nc_u32_e32 v14, 1, v4
	s_delay_alu instid0(VALU_DEP_2) | instskip(SKIP_1) | instid1(VALU_DEP_3)
	v_add_nc_u32_e32 v5, -1, v5
	v_lshl_add_u32 v4, v4, 3, v8
	v_cndmask_b32_e64 v15, v26, v14, s7
	s_delay_alu instid0(VALU_DEP_3) | instskip(NEXT) | instid1(VALU_DEP_2)
	v_min_u32_e32 v5, v14, v5
	v_cmp_lt_u32_e64 s8, v15, v23
	s_delay_alu instid0(VALU_DEP_2)
	v_lshl_add_u32 v5, v5, 2, v9
	ds_load_b32 v5, v5
	s_waitcnt lgkmcnt(0)
	v_cndmask_b32_e64 v16, v5, v13, s7
	v_cndmask_b32_e64 v17, v12, v5, s7
	;; [unrolled: 1-line block ×4, first 2 shown]
	s_delay_alu instid0(VALU_DEP_3) | instskip(NEXT) | instid1(VALU_DEP_3)
	v_cmp_le_i32_e64 s9, v17, v16
	v_cmp_ge_u32_e64 s10, v5, v24
	s_delay_alu instid0(VALU_DEP_2)
	s_and_b32 s8, s8, s9
	s_delay_alu instid0(VALU_DEP_1) | instid1(SALU_CYCLE_1)
	s_or_b32 s8, s10, s8
	s_delay_alu instid0(SALU_CYCLE_1) | instskip(SKIP_2) | instid1(VALU_DEP_3)
	v_cndmask_b32_e64 v14, v5, v15, s8
	v_cndmask_b32_e64 v18, v24, v23, s8
	;; [unrolled: 1-line block ×3, first 2 shown]
	v_add_nc_u32_e32 v19, 1, v14
	s_delay_alu instid0(VALU_DEP_3) | instskip(SKIP_1) | instid1(VALU_DEP_3)
	v_add_nc_u32_e32 v18, -1, v18
	v_lshl_add_u32 v14, v14, 3, v8
	v_cndmask_b32_e64 v15, v15, v19, s8
	s_delay_alu instid0(VALU_DEP_3) | instskip(SKIP_1) | instid1(VALU_DEP_3)
	v_min_u32_e32 v18, v19, v18
	v_cndmask_b32_e64 v5, v19, v5, s8
	v_cmp_lt_u32_e64 s9, v15, v23
	s_delay_alu instid0(VALU_DEP_3) | instskip(NEXT) | instid1(VALU_DEP_3)
	v_lshl_add_u32 v18, v18, 2, v9
	v_cmp_ge_u32_e64 s11, v5, v24
	ds_load_b32 v18, v18
	s_waitcnt lgkmcnt(0)
	v_cndmask_b32_e64 v20, v18, v16, s8
	v_cndmask_b32_e64 v18, v17, v18, s8
	s_delay_alu instid0(VALU_DEP_1) | instskip(NEXT) | instid1(VALU_DEP_1)
	v_cmp_le_i32_e64 s10, v18, v20
	s_and_b32 s9, s9, s10
	s_delay_alu instid0(SALU_CYCLE_1) | instskip(NEXT) | instid1(SALU_CYCLE_1)
	s_or_b32 s9, s11, s9
	v_cndmask_b32_e64 v19, v5, v15, s9
	v_cndmask_b32_e64 v21, v24, v23, s9
	s_delay_alu instid0(VALU_DEP_2) | instskip(NEXT) | instid1(VALU_DEP_2)
	v_add_nc_u32_e32 v25, 1, v19
	v_add_nc_u32_e32 v21, -1, v21
	v_lshl_add_u32 v19, v19, 3, v8
	s_delay_alu instid0(VALU_DEP_3) | instskip(NEXT) | instid1(VALU_DEP_3)
	v_cndmask_b32_e64 v15, v15, v25, s9
	v_min_u32_e32 v21, v25, v21
	v_cndmask_b32_e64 v5, v25, v5, s9
	s_delay_alu instid0(VALU_DEP_3) | instskip(NEXT) | instid1(VALU_DEP_3)
	v_cmp_lt_u32_e64 s10, v15, v23
	v_lshl_add_u32 v21, v21, 2, v9
	s_delay_alu instid0(VALU_DEP_3) | instskip(SKIP_4) | instid1(VALU_DEP_1)
	v_cmp_ge_u32_e64 s12, v5, v24
	ds_load_b32 v21, v21
	s_waitcnt lgkmcnt(0)
	v_cndmask_b32_e64 v26, v21, v20, s9
	v_cndmask_b32_e64 v21, v18, v21, s9
	v_cmp_le_i32_e64 s11, v21, v26
	s_delay_alu instid0(VALU_DEP_1) | instskip(NEXT) | instid1(SALU_CYCLE_1)
	s_and_b32 s10, s10, s11
	s_or_b32 s10, s12, s10
	s_delay_alu instid0(SALU_CYCLE_1) | instskip(SKIP_1) | instid1(VALU_DEP_2)
	v_cndmask_b32_e64 v25, v5, v15, s10
	v_cndmask_b32_e64 v27, v24, v23, s10
	v_add_nc_u32_e32 v28, 1, v25
	s_delay_alu instid0(VALU_DEP_2) | instskip(NEXT) | instid1(VALU_DEP_2)
	v_add_nc_u32_e32 v27, -1, v27
	v_cndmask_b32_e64 v15, v15, v28, s10
	s_delay_alu instid0(VALU_DEP_2) | instskip(SKIP_1) | instid1(VALU_DEP_3)
	v_min_u32_e32 v27, v28, v27
	v_cndmask_b32_e64 v5, v28, v5, s10
	v_cmp_lt_u32_e64 s11, v15, v23
	s_delay_alu instid0(VALU_DEP_3) | instskip(NEXT) | instid1(VALU_DEP_3)
	v_lshl_add_u32 v27, v27, 2, v9
	v_cmp_ge_u32_e64 s13, v5, v24
	ds_load_b32 v27, v27
	s_waitcnt lgkmcnt(0)
	v_cndmask_b32_e64 v29, v27, v26, s10
	v_cndmask_b32_e64 v27, v21, v27, s10
	s_delay_alu instid0(VALU_DEP_1) | instskip(NEXT) | instid1(VALU_DEP_1)
	v_cmp_le_i32_e64 s12, v27, v29
	s_and_b32 s11, s11, s12
	s_delay_alu instid0(SALU_CYCLE_1) | instskip(NEXT) | instid1(SALU_CYCLE_1)
	s_or_b32 s11, s13, s11
	v_cndmask_b32_e64 v28, v5, v15, s11
	v_cndmask_b32_e64 v30, v24, v23, s11
	;; [unrolled: 1-line block ×3, first 2 shown]
	s_delay_alu instid0(VALU_DEP_3) | instskip(NEXT) | instid1(VALU_DEP_3)
	v_add_nc_u32_e32 v31, 1, v28
	v_add_nc_u32_e32 v30, -1, v30
	s_delay_alu instid0(VALU_DEP_2) | instskip(NEXT) | instid1(VALU_DEP_2)
	v_cndmask_b32_e64 v15, v15, v31, s11
	v_min_u32_e32 v30, v31, v30
	v_cndmask_b32_e64 v5, v31, v5, s11
	s_delay_alu instid0(VALU_DEP_3) | instskip(NEXT) | instid1(VALU_DEP_3)
	v_cmp_lt_u32_e64 s12, v15, v23
	v_lshl_add_u32 v30, v30, 2, v9
	s_delay_alu instid0(VALU_DEP_3) | instskip(SKIP_4) | instid1(VALU_DEP_1)
	v_cmp_ge_u32_e64 s14, v5, v24
	ds_load_b32 v30, v30
	s_waitcnt lgkmcnt(0)
	v_cndmask_b32_e64 v32, v30, v29, s11
	v_cndmask_b32_e64 v30, v27, v30, s11
	v_cmp_le_i32_e64 s13, v30, v32
	s_delay_alu instid0(VALU_DEP_1) | instskip(NEXT) | instid1(SALU_CYCLE_1)
	s_and_b32 s12, s12, s13
	s_or_b32 s12, s14, s12
	s_delay_alu instid0(SALU_CYCLE_1) | instskip(SKIP_2) | instid1(VALU_DEP_3)
	v_cndmask_b32_e64 v31, v5, v15, s12
	v_cndmask_b32_e64 v33, v24, v23, s12
	;; [unrolled: 1-line block ×3, first 2 shown]
	v_add_nc_u32_e32 v34, 1, v31
	s_delay_alu instid0(VALU_DEP_3) | instskip(NEXT) | instid1(VALU_DEP_2)
	v_add_nc_u32_e32 v33, -1, v33
	v_cndmask_b32_e64 v15, v15, v34, s12
	s_delay_alu instid0(VALU_DEP_2) | instskip(SKIP_1) | instid1(VALU_DEP_3)
	v_min_u32_e32 v33, v34, v33
	v_cndmask_b32_e64 v5, v34, v5, s12
	v_cmp_lt_u32_e64 s13, v15, v23
	s_delay_alu instid0(VALU_DEP_3) | instskip(NEXT) | instid1(VALU_DEP_3)
	v_lshl_add_u32 v33, v33, 2, v9
	v_cmp_ge_u32_e64 s15, v5, v24
	ds_load_b32 v33, v33
	s_waitcnt lgkmcnt(0)
	v_cndmask_b32_e64 v36, v33, v32, s12
	v_cndmask_b32_e64 v33, v30, v33, s12
	s_delay_alu instid0(VALU_DEP_1) | instskip(NEXT) | instid1(VALU_DEP_1)
	v_cmp_le_i32_e64 s14, v33, v36
	s_and_b32 s13, s13, s14
	s_delay_alu instid0(SALU_CYCLE_1) | instskip(NEXT) | instid1(SALU_CYCLE_1)
	s_or_b32 s13, s15, s13
	v_cndmask_b32_e64 v37, v5, v15, s13
	v_cndmask_b32_e64 v34, v24, v23, s13
	s_delay_alu instid0(VALU_DEP_2) | instskip(NEXT) | instid1(VALU_DEP_2)
	v_add_nc_u32_e32 v35, 1, v37
	v_add_nc_u32_e32 v34, -1, v34
	s_delay_alu instid0(VALU_DEP_2) | instskip(NEXT) | instid1(VALU_DEP_2)
	v_cndmask_b32_e64 v15, v15, v35, s13
	v_min_u32_e32 v34, v35, v34
	v_cndmask_b32_e64 v38, v35, v5, s13
	s_delay_alu instid0(VALU_DEP_3) | instskip(NEXT) | instid1(VALU_DEP_3)
	v_cmp_lt_u32_e64 s14, v15, v23
	v_lshl_add_u32 v34, v34, 2, v9
	s_delay_alu instid0(VALU_DEP_3)
	v_cmp_ge_u32_e64 s16, v38, v24
	v_lshl_add_u32 v23, v31, 3, v8
	v_lshl_add_u32 v24, v37, 3, v8
	ds_load_b32 v34, v34
	s_waitcnt lgkmcnt(0)
	v_cndmask_b32_e64 v68, v34, v36, s13
	v_cndmask_b32_e64 v69, v33, v34, s13
	ds_load_b64 v[4:5], v4 offset:8192
	ds_load_b64 v[34:35], v14 offset:8192
	;; [unrolled: 1-line block ×3, first 2 shown]
	v_lshl_add_u32 v19, v28, 3, v8
	v_cmp_le_i32_e64 s15, v69, v68
	s_delay_alu instid0(VALU_DEP_1) | instskip(NEXT) | instid1(SALU_CYCLE_1)
	s_and_b32 s14, s14, s15
	s_or_b32 s14, s16, s14
	s_delay_alu instid0(SALU_CYCLE_1) | instskip(SKIP_1) | instid1(VALU_DEP_2)
	v_cndmask_b32_e64 v14, v38, v15, s14
	v_lshl_add_u32 v15, v25, 3, v8
	v_lshl_add_u32 v14, v14, 3, v8
	ds_load_b64 v[52:53], v15 offset:8192
	ds_load_b64 v[66:67], v19 offset:8192
	;; [unrolled: 1-line block ×5, first 2 shown]
	v_cndmask_b32_e64 v14, v20, v18, s9
	v_cndmask_b32_e64 v15, v26, v21, s10
	;; [unrolled: 1-line block ×4, first 2 shown]
.LBB617_186:
	s_or_b32 exec_lo, exec_lo, s18
	v_and_b32_e32 v25, 0xe0, v82
	v_and_b32_e32 v23, 24, v82
	s_mov_b32 s8, exec_lo
	; wave barrier
	s_delay_alu instid0(VALU_DEP_2) | instskip(NEXT) | instid1(VALU_DEP_2)
	v_or_b32_e32 v20, 16, v25
	v_min_u32_e32 v26, v11, v23
	s_waitcnt lgkmcnt(6)
	ds_store_2addr_b64 v10, v[4:5], v[34:35] offset1:1
	s_waitcnt lgkmcnt(5)
	ds_store_2addr_b64 v10, v[64:65], v[52:53] offset0:2 offset1:3
	ds_store_2addr_b64 v22, v[12:13], v[14:15] offset1:1
	ds_store_2addr_b64 v22, v[16:17], v[18:19] offset0:2 offset1:3
	s_waitcnt lgkmcnt(6)
	ds_store_2addr_b64 v10, v[66:67], v[50:51] offset0:4 offset1:5
	s_waitcnt lgkmcnt(5)
	ds_store_2addr_b64 v10, v[48:49], v[38:39] offset0:6 offset1:7
	v_min_u32_e32 v20, v11, v20
	; wave barrier
	s_delay_alu instid0(VALU_DEP_1) | instskip(SKIP_1) | instid1(VALU_DEP_2)
	v_add_nc_u32_e32 v21, 16, v20
	v_sub_nc_u32_e32 v23, v20, v25
	v_min_u32_e32 v21, v11, v21
	s_delay_alu instid0(VALU_DEP_2) | instskip(NEXT) | instid1(VALU_DEP_2)
	v_min_u32_e32 v27, v26, v23
	v_sub_nc_u32_e32 v24, v21, v20
	s_delay_alu instid0(VALU_DEP_1) | instskip(SKIP_1) | instid1(VALU_DEP_2)
	v_sub_nc_u32_e64 v23, v26, v24 clamp
	v_lshl_add_u32 v24, v25, 2, v9
	v_cmpx_lt_u32_e64 v23, v27
	s_cbranch_execz .LBB617_190
; %bb.187:
	v_lshlrev_b32_e32 v28, 2, v20
	v_lshlrev_b32_e32 v29, 2, v26
	s_mov_b32 s9, 0
	s_delay_alu instid0(VALU_DEP_1)
	v_add3_u32 v28, v9, v28, v29
	.p2align	6
.LBB617_188:                            ; =>This Inner Loop Header: Depth=1
	v_add_nc_u32_e32 v29, v27, v23
	s_delay_alu instid0(VALU_DEP_1) | instskip(NEXT) | instid1(VALU_DEP_1)
	v_lshrrev_b32_e32 v29, 1, v29
	v_not_b32_e32 v30, v29
	v_lshl_add_u32 v31, v29, 2, v24
	v_add_nc_u32_e32 v32, 1, v29
	s_delay_alu instid0(VALU_DEP_3) | instskip(SKIP_4) | instid1(VALU_DEP_1)
	v_lshl_add_u32 v30, v30, 2, v28
	ds_load_b32 v31, v31
	ds_load_b32 v30, v30
	s_waitcnt lgkmcnt(0)
	v_cmp_gt_i32_e64 s7, v31, v30
	v_cndmask_b32_e64 v27, v27, v29, s7
	v_cndmask_b32_e64 v23, v32, v23, s7
	s_delay_alu instid0(VALU_DEP_1) | instskip(NEXT) | instid1(VALU_DEP_1)
	v_cmp_ge_u32_e64 s7, v23, v27
	s_or_b32 s9, s7, s9
	s_delay_alu instid0(SALU_CYCLE_1)
	s_and_not1_b32 exec_lo, exec_lo, s9
	s_cbranch_execnz .LBB617_188
; %bb.189:
	s_or_b32 exec_lo, exec_lo, s9
.LBB617_190:
	s_delay_alu instid0(SALU_CYCLE_1) | instskip(SKIP_2) | instid1(VALU_DEP_2)
	s_or_b32 exec_lo, exec_lo, s8
	v_add_nc_u32_e32 v27, v20, v26
	v_add_nc_u32_e32 v26, v23, v25
	v_sub_nc_u32_e32 v25, v27, v23
	s_delay_alu instid0(VALU_DEP_2) | instskip(NEXT) | instid1(VALU_DEP_2)
	v_cmp_le_u32_e64 s7, v26, v20
	v_cmp_le_u32_e64 s8, v25, v21
	s_delay_alu instid0(VALU_DEP_1) | instskip(NEXT) | instid1(SALU_CYCLE_1)
	s_or_b32 s7, s7, s8
	s_and_saveexec_b32 s18, s7
	s_cbranch_execz .LBB617_196
; %bb.191:
	v_cmp_lt_u32_e64 s7, v26, v20
                                        ; implicit-def: $vgpr12
	s_delay_alu instid0(VALU_DEP_1)
	s_and_saveexec_b32 s8, s7
	s_cbranch_execz .LBB617_193
; %bb.192:
	v_lshl_add_u32 v4, v23, 2, v24
	ds_load_b32 v12, v4
.LBB617_193:
	s_or_b32 exec_lo, exec_lo, s8
	v_cmp_ge_u32_e64 s8, v25, v21
	s_mov_b32 s10, exec_lo
                                        ; implicit-def: $vgpr13
	v_cmpx_lt_u32_e64 v25, v21
	s_cbranch_execz .LBB617_195
; %bb.194:
	v_lshl_add_u32 v4, v25, 2, v9
	ds_load_b32 v13, v4
.LBB617_195:
	s_or_b32 exec_lo, exec_lo, s10
	s_waitcnt lgkmcnt(0)
	v_cmp_le_i32_e64 s9, v12, v13
	s_delay_alu instid0(VALU_DEP_1) | instskip(NEXT) | instid1(SALU_CYCLE_1)
	s_and_b32 s7, s7, s9
	s_or_b32 s7, s8, s7
	s_delay_alu instid0(SALU_CYCLE_1) | instskip(SKIP_1) | instid1(VALU_DEP_2)
	v_cndmask_b32_e64 v4, v25, v26, s7
	v_cndmask_b32_e64 v5, v21, v20, s7
	v_add_nc_u32_e32 v14, 1, v4
	s_delay_alu instid0(VALU_DEP_2) | instskip(SKIP_1) | instid1(VALU_DEP_3)
	v_add_nc_u32_e32 v5, -1, v5
	v_lshl_add_u32 v4, v4, 3, v8
	v_cndmask_b32_e64 v15, v26, v14, s7
	s_delay_alu instid0(VALU_DEP_3) | instskip(NEXT) | instid1(VALU_DEP_2)
	v_min_u32_e32 v5, v14, v5
	v_cmp_lt_u32_e64 s8, v15, v20
	s_delay_alu instid0(VALU_DEP_2)
	v_lshl_add_u32 v5, v5, 2, v9
	ds_load_b32 v5, v5
	s_waitcnt lgkmcnt(0)
	v_cndmask_b32_e64 v16, v5, v13, s7
	v_cndmask_b32_e64 v17, v12, v5, s7
	;; [unrolled: 1-line block ×4, first 2 shown]
	s_delay_alu instid0(VALU_DEP_3) | instskip(NEXT) | instid1(VALU_DEP_3)
	v_cmp_le_i32_e64 s9, v17, v16
	v_cmp_ge_u32_e64 s10, v5, v21
	s_delay_alu instid0(VALU_DEP_2)
	s_and_b32 s8, s8, s9
	s_delay_alu instid0(VALU_DEP_1) | instid1(SALU_CYCLE_1)
	s_or_b32 s8, s10, s8
	s_delay_alu instid0(SALU_CYCLE_1) | instskip(SKIP_2) | instid1(VALU_DEP_3)
	v_cndmask_b32_e64 v14, v5, v15, s8
	v_cndmask_b32_e64 v18, v21, v20, s8
	;; [unrolled: 1-line block ×3, first 2 shown]
	v_add_nc_u32_e32 v19, 1, v14
	s_delay_alu instid0(VALU_DEP_3) | instskip(SKIP_1) | instid1(VALU_DEP_3)
	v_add_nc_u32_e32 v18, -1, v18
	v_lshl_add_u32 v14, v14, 3, v8
	v_cndmask_b32_e64 v15, v15, v19, s8
	s_delay_alu instid0(VALU_DEP_3) | instskip(SKIP_1) | instid1(VALU_DEP_3)
	v_min_u32_e32 v18, v19, v18
	v_cndmask_b32_e64 v5, v19, v5, s8
	v_cmp_lt_u32_e64 s9, v15, v20
	s_delay_alu instid0(VALU_DEP_3) | instskip(NEXT) | instid1(VALU_DEP_3)
	v_lshl_add_u32 v18, v18, 2, v9
	v_cmp_ge_u32_e64 s11, v5, v21
	ds_load_b32 v18, v18
	s_waitcnt lgkmcnt(0)
	v_cndmask_b32_e64 v23, v18, v16, s8
	v_cndmask_b32_e64 v18, v17, v18, s8
	s_delay_alu instid0(VALU_DEP_1) | instskip(NEXT) | instid1(VALU_DEP_1)
	v_cmp_le_i32_e64 s10, v18, v23
	s_and_b32 s9, s9, s10
	s_delay_alu instid0(SALU_CYCLE_1) | instskip(NEXT) | instid1(SALU_CYCLE_1)
	s_or_b32 s9, s11, s9
	v_cndmask_b32_e64 v19, v5, v15, s9
	v_cndmask_b32_e64 v24, v21, v20, s9
	s_delay_alu instid0(VALU_DEP_2) | instskip(NEXT) | instid1(VALU_DEP_2)
	v_add_nc_u32_e32 v25, 1, v19
	v_add_nc_u32_e32 v24, -1, v24
	v_lshl_add_u32 v19, v19, 3, v8
	s_delay_alu instid0(VALU_DEP_3) | instskip(NEXT) | instid1(VALU_DEP_3)
	v_cndmask_b32_e64 v15, v15, v25, s9
	v_min_u32_e32 v24, v25, v24
	v_cndmask_b32_e64 v5, v25, v5, s9
	s_delay_alu instid0(VALU_DEP_3) | instskip(NEXT) | instid1(VALU_DEP_3)
	v_cmp_lt_u32_e64 s10, v15, v20
	v_lshl_add_u32 v24, v24, 2, v9
	s_delay_alu instid0(VALU_DEP_3) | instskip(SKIP_4) | instid1(VALU_DEP_1)
	v_cmp_ge_u32_e64 s12, v5, v21
	ds_load_b32 v24, v24
	s_waitcnt lgkmcnt(0)
	v_cndmask_b32_e64 v26, v24, v23, s9
	v_cndmask_b32_e64 v24, v18, v24, s9
	v_cmp_le_i32_e64 s11, v24, v26
	s_delay_alu instid0(VALU_DEP_1) | instskip(NEXT) | instid1(SALU_CYCLE_1)
	s_and_b32 s10, s10, s11
	s_or_b32 s10, s12, s10
	s_delay_alu instid0(SALU_CYCLE_1) | instskip(SKIP_1) | instid1(VALU_DEP_2)
	v_cndmask_b32_e64 v25, v5, v15, s10
	v_cndmask_b32_e64 v27, v21, v20, s10
	v_add_nc_u32_e32 v28, 1, v25
	s_delay_alu instid0(VALU_DEP_2) | instskip(NEXT) | instid1(VALU_DEP_2)
	v_add_nc_u32_e32 v27, -1, v27
	v_cndmask_b32_e64 v15, v15, v28, s10
	s_delay_alu instid0(VALU_DEP_2) | instskip(SKIP_1) | instid1(VALU_DEP_3)
	v_min_u32_e32 v27, v28, v27
	v_cndmask_b32_e64 v5, v28, v5, s10
	v_cmp_lt_u32_e64 s11, v15, v20
	s_delay_alu instid0(VALU_DEP_3) | instskip(NEXT) | instid1(VALU_DEP_3)
	v_lshl_add_u32 v27, v27, 2, v9
	v_cmp_ge_u32_e64 s13, v5, v21
	ds_load_b32 v27, v27
	s_waitcnt lgkmcnt(0)
	v_cndmask_b32_e64 v29, v27, v26, s10
	v_cndmask_b32_e64 v27, v24, v27, s10
	s_delay_alu instid0(VALU_DEP_1) | instskip(NEXT) | instid1(VALU_DEP_1)
	v_cmp_le_i32_e64 s12, v27, v29
	s_and_b32 s11, s11, s12
	s_delay_alu instid0(SALU_CYCLE_1) | instskip(NEXT) | instid1(SALU_CYCLE_1)
	s_or_b32 s11, s13, s11
	v_cndmask_b32_e64 v28, v5, v15, s11
	v_cndmask_b32_e64 v30, v21, v20, s11
	;; [unrolled: 1-line block ×3, first 2 shown]
	s_delay_alu instid0(VALU_DEP_3) | instskip(NEXT) | instid1(VALU_DEP_3)
	v_add_nc_u32_e32 v31, 1, v28
	v_add_nc_u32_e32 v30, -1, v30
	s_delay_alu instid0(VALU_DEP_2) | instskip(NEXT) | instid1(VALU_DEP_2)
	v_cndmask_b32_e64 v15, v15, v31, s11
	v_min_u32_e32 v30, v31, v30
	v_cndmask_b32_e64 v5, v31, v5, s11
	s_delay_alu instid0(VALU_DEP_3) | instskip(NEXT) | instid1(VALU_DEP_3)
	v_cmp_lt_u32_e64 s12, v15, v20
	v_lshl_add_u32 v30, v30, 2, v9
	s_delay_alu instid0(VALU_DEP_3) | instskip(SKIP_4) | instid1(VALU_DEP_1)
	v_cmp_ge_u32_e64 s14, v5, v21
	ds_load_b32 v30, v30
	s_waitcnt lgkmcnt(0)
	v_cndmask_b32_e64 v32, v30, v29, s11
	v_cndmask_b32_e64 v30, v27, v30, s11
	v_cmp_le_i32_e64 s13, v30, v32
	s_delay_alu instid0(VALU_DEP_1) | instskip(NEXT) | instid1(SALU_CYCLE_1)
	s_and_b32 s12, s12, s13
	s_or_b32 s12, s14, s12
	s_delay_alu instid0(SALU_CYCLE_1) | instskip(SKIP_2) | instid1(VALU_DEP_3)
	v_cndmask_b32_e64 v31, v5, v15, s12
	v_cndmask_b32_e64 v33, v21, v20, s12
	;; [unrolled: 1-line block ×3, first 2 shown]
	v_add_nc_u32_e32 v34, 1, v31
	s_delay_alu instid0(VALU_DEP_3) | instskip(NEXT) | instid1(VALU_DEP_2)
	v_add_nc_u32_e32 v33, -1, v33
	v_cndmask_b32_e64 v15, v15, v34, s12
	s_delay_alu instid0(VALU_DEP_2) | instskip(SKIP_1) | instid1(VALU_DEP_3)
	v_min_u32_e32 v33, v34, v33
	v_cndmask_b32_e64 v5, v34, v5, s12
	v_cmp_lt_u32_e64 s13, v15, v20
	s_delay_alu instid0(VALU_DEP_3) | instskip(NEXT) | instid1(VALU_DEP_3)
	v_lshl_add_u32 v33, v33, 2, v9
	v_cmp_ge_u32_e64 s15, v5, v21
	ds_load_b32 v33, v33
	s_waitcnt lgkmcnt(0)
	v_cndmask_b32_e64 v36, v33, v32, s12
	v_cndmask_b32_e64 v33, v30, v33, s12
	s_delay_alu instid0(VALU_DEP_1) | instskip(NEXT) | instid1(VALU_DEP_1)
	v_cmp_le_i32_e64 s14, v33, v36
	s_and_b32 s13, s13, s14
	s_delay_alu instid0(SALU_CYCLE_1) | instskip(NEXT) | instid1(SALU_CYCLE_1)
	s_or_b32 s13, s15, s13
	v_cndmask_b32_e64 v37, v5, v15, s13
	v_cndmask_b32_e64 v34, v21, v20, s13
	s_delay_alu instid0(VALU_DEP_2) | instskip(NEXT) | instid1(VALU_DEP_2)
	v_add_nc_u32_e32 v35, 1, v37
	v_add_nc_u32_e32 v34, -1, v34
	s_delay_alu instid0(VALU_DEP_2) | instskip(NEXT) | instid1(VALU_DEP_2)
	v_cndmask_b32_e64 v15, v15, v35, s13
	v_min_u32_e32 v34, v35, v34
	v_cndmask_b32_e64 v38, v35, v5, s13
	s_delay_alu instid0(VALU_DEP_3) | instskip(NEXT) | instid1(VALU_DEP_3)
	v_cmp_lt_u32_e64 s14, v15, v20
	v_lshl_add_u32 v34, v34, 2, v9
	s_delay_alu instid0(VALU_DEP_3)
	v_cmp_ge_u32_e64 s16, v38, v21
	v_lshl_add_u32 v20, v31, 3, v8
	v_lshl_add_u32 v21, v37, 3, v8
	ds_load_b32 v34, v34
	s_waitcnt lgkmcnt(0)
	v_cndmask_b32_e64 v68, v34, v36, s13
	v_cndmask_b32_e64 v69, v33, v34, s13
	ds_load_b64 v[4:5], v4 offset:8192
	ds_load_b64 v[34:35], v14 offset:8192
	;; [unrolled: 1-line block ×3, first 2 shown]
	v_lshl_add_u32 v19, v28, 3, v8
	v_cmp_le_i32_e64 s15, v69, v68
	s_delay_alu instid0(VALU_DEP_1) | instskip(NEXT) | instid1(SALU_CYCLE_1)
	s_and_b32 s14, s14, s15
	s_or_b32 s14, s16, s14
	s_delay_alu instid0(SALU_CYCLE_1) | instskip(SKIP_1) | instid1(VALU_DEP_2)
	v_cndmask_b32_e64 v14, v38, v15, s14
	v_lshl_add_u32 v15, v25, 3, v8
	v_lshl_add_u32 v14, v14, 3, v8
	ds_load_b64 v[52:53], v15 offset:8192
	ds_load_b64 v[66:67], v19 offset:8192
	;; [unrolled: 1-line block ×5, first 2 shown]
	v_cndmask_b32_e64 v14, v23, v18, s9
	v_cndmask_b32_e64 v15, v26, v24, s10
	;; [unrolled: 1-line block ×4, first 2 shown]
.LBB617_196:
	s_or_b32 exec_lo, exec_lo, s18
	v_and_b32_e32 v25, 0xc0, v82
	v_and_b32_e32 v23, 56, v82
	s_mov_b32 s8, exec_lo
	; wave barrier
	s_delay_alu instid0(VALU_DEP_2) | instskip(NEXT) | instid1(VALU_DEP_2)
	v_or_b32_e32 v20, 32, v25
	v_min_u32_e32 v26, v11, v23
	s_waitcnt lgkmcnt(6)
	ds_store_2addr_b64 v10, v[4:5], v[34:35] offset1:1
	s_waitcnt lgkmcnt(5)
	ds_store_2addr_b64 v10, v[64:65], v[52:53] offset0:2 offset1:3
	ds_store_2addr_b64 v22, v[12:13], v[14:15] offset1:1
	ds_store_2addr_b64 v22, v[16:17], v[18:19] offset0:2 offset1:3
	s_waitcnt lgkmcnt(6)
	ds_store_2addr_b64 v10, v[66:67], v[50:51] offset0:4 offset1:5
	s_waitcnt lgkmcnt(5)
	ds_store_2addr_b64 v10, v[48:49], v[38:39] offset0:6 offset1:7
	v_min_u32_e32 v20, v11, v20
	; wave barrier
	s_delay_alu instid0(VALU_DEP_1) | instskip(SKIP_1) | instid1(VALU_DEP_2)
	v_add_nc_u32_e32 v21, 32, v20
	v_sub_nc_u32_e32 v23, v20, v25
	v_min_u32_e32 v21, v11, v21
	s_delay_alu instid0(VALU_DEP_2) | instskip(NEXT) | instid1(VALU_DEP_2)
	v_min_u32_e32 v27, v26, v23
	v_sub_nc_u32_e32 v24, v21, v20
	s_delay_alu instid0(VALU_DEP_1) | instskip(SKIP_1) | instid1(VALU_DEP_2)
	v_sub_nc_u32_e64 v23, v26, v24 clamp
	v_lshl_add_u32 v24, v25, 2, v9
	v_cmpx_lt_u32_e64 v23, v27
	s_cbranch_execz .LBB617_200
; %bb.197:
	v_lshlrev_b32_e32 v28, 2, v20
	v_lshlrev_b32_e32 v29, 2, v26
	s_mov_b32 s9, 0
	s_delay_alu instid0(VALU_DEP_1)
	v_add3_u32 v28, v9, v28, v29
	.p2align	6
.LBB617_198:                            ; =>This Inner Loop Header: Depth=1
	v_add_nc_u32_e32 v29, v27, v23
	s_delay_alu instid0(VALU_DEP_1) | instskip(NEXT) | instid1(VALU_DEP_1)
	v_lshrrev_b32_e32 v29, 1, v29
	v_not_b32_e32 v30, v29
	v_lshl_add_u32 v31, v29, 2, v24
	v_add_nc_u32_e32 v32, 1, v29
	s_delay_alu instid0(VALU_DEP_3) | instskip(SKIP_4) | instid1(VALU_DEP_1)
	v_lshl_add_u32 v30, v30, 2, v28
	ds_load_b32 v31, v31
	ds_load_b32 v30, v30
	s_waitcnt lgkmcnt(0)
	v_cmp_gt_i32_e64 s7, v31, v30
	v_cndmask_b32_e64 v27, v27, v29, s7
	v_cndmask_b32_e64 v23, v32, v23, s7
	s_delay_alu instid0(VALU_DEP_1) | instskip(NEXT) | instid1(VALU_DEP_1)
	v_cmp_ge_u32_e64 s7, v23, v27
	s_or_b32 s9, s7, s9
	s_delay_alu instid0(SALU_CYCLE_1)
	s_and_not1_b32 exec_lo, exec_lo, s9
	s_cbranch_execnz .LBB617_198
; %bb.199:
	s_or_b32 exec_lo, exec_lo, s9
.LBB617_200:
	s_delay_alu instid0(SALU_CYCLE_1) | instskip(SKIP_2) | instid1(VALU_DEP_2)
	s_or_b32 exec_lo, exec_lo, s8
	v_add_nc_u32_e32 v27, v20, v26
	v_add_nc_u32_e32 v26, v23, v25
	v_sub_nc_u32_e32 v25, v27, v23
	s_delay_alu instid0(VALU_DEP_2) | instskip(NEXT) | instid1(VALU_DEP_2)
	v_cmp_le_u32_e64 s7, v26, v20
	v_cmp_le_u32_e64 s8, v25, v21
	s_delay_alu instid0(VALU_DEP_1) | instskip(NEXT) | instid1(SALU_CYCLE_1)
	s_or_b32 s7, s7, s8
	s_and_saveexec_b32 s18, s7
	s_cbranch_execz .LBB617_206
; %bb.201:
	v_cmp_lt_u32_e64 s7, v26, v20
                                        ; implicit-def: $vgpr12
	s_delay_alu instid0(VALU_DEP_1)
	s_and_saveexec_b32 s8, s7
	s_cbranch_execz .LBB617_203
; %bb.202:
	v_lshl_add_u32 v4, v23, 2, v24
	ds_load_b32 v12, v4
.LBB617_203:
	s_or_b32 exec_lo, exec_lo, s8
	v_cmp_ge_u32_e64 s8, v25, v21
	s_mov_b32 s10, exec_lo
                                        ; implicit-def: $vgpr13
	v_cmpx_lt_u32_e64 v25, v21
	s_cbranch_execz .LBB617_205
; %bb.204:
	v_lshl_add_u32 v4, v25, 2, v9
	ds_load_b32 v13, v4
.LBB617_205:
	s_or_b32 exec_lo, exec_lo, s10
	s_waitcnt lgkmcnt(0)
	v_cmp_le_i32_e64 s9, v12, v13
	s_delay_alu instid0(VALU_DEP_1) | instskip(NEXT) | instid1(SALU_CYCLE_1)
	s_and_b32 s7, s7, s9
	s_or_b32 s7, s8, s7
	s_delay_alu instid0(SALU_CYCLE_1) | instskip(SKIP_1) | instid1(VALU_DEP_2)
	v_cndmask_b32_e64 v4, v25, v26, s7
	v_cndmask_b32_e64 v5, v21, v20, s7
	v_add_nc_u32_e32 v14, 1, v4
	s_delay_alu instid0(VALU_DEP_2) | instskip(SKIP_1) | instid1(VALU_DEP_3)
	v_add_nc_u32_e32 v5, -1, v5
	v_lshl_add_u32 v4, v4, 3, v8
	v_cndmask_b32_e64 v15, v26, v14, s7
	s_delay_alu instid0(VALU_DEP_3) | instskip(NEXT) | instid1(VALU_DEP_2)
	v_min_u32_e32 v5, v14, v5
	v_cmp_lt_u32_e64 s8, v15, v20
	s_delay_alu instid0(VALU_DEP_2)
	v_lshl_add_u32 v5, v5, 2, v9
	ds_load_b32 v5, v5
	s_waitcnt lgkmcnt(0)
	v_cndmask_b32_e64 v16, v5, v13, s7
	v_cndmask_b32_e64 v17, v12, v5, s7
	;; [unrolled: 1-line block ×4, first 2 shown]
	s_delay_alu instid0(VALU_DEP_3) | instskip(NEXT) | instid1(VALU_DEP_3)
	v_cmp_le_i32_e64 s9, v17, v16
	v_cmp_ge_u32_e64 s10, v5, v21
	s_delay_alu instid0(VALU_DEP_2)
	s_and_b32 s8, s8, s9
	s_delay_alu instid0(VALU_DEP_1) | instid1(SALU_CYCLE_1)
	s_or_b32 s8, s10, s8
	s_delay_alu instid0(SALU_CYCLE_1) | instskip(SKIP_2) | instid1(VALU_DEP_3)
	v_cndmask_b32_e64 v14, v5, v15, s8
	v_cndmask_b32_e64 v18, v21, v20, s8
	v_cndmask_b32_e64 v13, v16, v17, s8
	v_add_nc_u32_e32 v19, 1, v14
	s_delay_alu instid0(VALU_DEP_3) | instskip(SKIP_1) | instid1(VALU_DEP_3)
	v_add_nc_u32_e32 v18, -1, v18
	v_lshl_add_u32 v14, v14, 3, v8
	v_cndmask_b32_e64 v15, v15, v19, s8
	s_delay_alu instid0(VALU_DEP_3) | instskip(SKIP_1) | instid1(VALU_DEP_3)
	v_min_u32_e32 v18, v19, v18
	v_cndmask_b32_e64 v5, v19, v5, s8
	v_cmp_lt_u32_e64 s9, v15, v20
	s_delay_alu instid0(VALU_DEP_3) | instskip(NEXT) | instid1(VALU_DEP_3)
	v_lshl_add_u32 v18, v18, 2, v9
	v_cmp_ge_u32_e64 s11, v5, v21
	ds_load_b32 v18, v18
	s_waitcnt lgkmcnt(0)
	v_cndmask_b32_e64 v23, v18, v16, s8
	v_cndmask_b32_e64 v18, v17, v18, s8
	s_delay_alu instid0(VALU_DEP_1) | instskip(NEXT) | instid1(VALU_DEP_1)
	v_cmp_le_i32_e64 s10, v18, v23
	s_and_b32 s9, s9, s10
	s_delay_alu instid0(SALU_CYCLE_1) | instskip(NEXT) | instid1(SALU_CYCLE_1)
	s_or_b32 s9, s11, s9
	v_cndmask_b32_e64 v19, v5, v15, s9
	v_cndmask_b32_e64 v24, v21, v20, s9
	s_delay_alu instid0(VALU_DEP_2) | instskip(NEXT) | instid1(VALU_DEP_2)
	v_add_nc_u32_e32 v25, 1, v19
	v_add_nc_u32_e32 v24, -1, v24
	v_lshl_add_u32 v19, v19, 3, v8
	s_delay_alu instid0(VALU_DEP_3) | instskip(NEXT) | instid1(VALU_DEP_3)
	v_cndmask_b32_e64 v15, v15, v25, s9
	v_min_u32_e32 v24, v25, v24
	v_cndmask_b32_e64 v5, v25, v5, s9
	s_delay_alu instid0(VALU_DEP_3) | instskip(NEXT) | instid1(VALU_DEP_3)
	v_cmp_lt_u32_e64 s10, v15, v20
	v_lshl_add_u32 v24, v24, 2, v9
	s_delay_alu instid0(VALU_DEP_3) | instskip(SKIP_4) | instid1(VALU_DEP_1)
	v_cmp_ge_u32_e64 s12, v5, v21
	ds_load_b32 v24, v24
	s_waitcnt lgkmcnt(0)
	v_cndmask_b32_e64 v26, v24, v23, s9
	v_cndmask_b32_e64 v24, v18, v24, s9
	v_cmp_le_i32_e64 s11, v24, v26
	s_delay_alu instid0(VALU_DEP_1) | instskip(NEXT) | instid1(SALU_CYCLE_1)
	s_and_b32 s10, s10, s11
	s_or_b32 s10, s12, s10
	s_delay_alu instid0(SALU_CYCLE_1) | instskip(SKIP_1) | instid1(VALU_DEP_2)
	v_cndmask_b32_e64 v25, v5, v15, s10
	v_cndmask_b32_e64 v27, v21, v20, s10
	v_add_nc_u32_e32 v28, 1, v25
	s_delay_alu instid0(VALU_DEP_2) | instskip(NEXT) | instid1(VALU_DEP_2)
	v_add_nc_u32_e32 v27, -1, v27
	v_cndmask_b32_e64 v15, v15, v28, s10
	s_delay_alu instid0(VALU_DEP_2) | instskip(SKIP_1) | instid1(VALU_DEP_3)
	v_min_u32_e32 v27, v28, v27
	v_cndmask_b32_e64 v5, v28, v5, s10
	v_cmp_lt_u32_e64 s11, v15, v20
	s_delay_alu instid0(VALU_DEP_3) | instskip(NEXT) | instid1(VALU_DEP_3)
	v_lshl_add_u32 v27, v27, 2, v9
	v_cmp_ge_u32_e64 s13, v5, v21
	ds_load_b32 v27, v27
	s_waitcnt lgkmcnt(0)
	v_cndmask_b32_e64 v29, v27, v26, s10
	v_cndmask_b32_e64 v27, v24, v27, s10
	s_delay_alu instid0(VALU_DEP_1) | instskip(NEXT) | instid1(VALU_DEP_1)
	v_cmp_le_i32_e64 s12, v27, v29
	s_and_b32 s11, s11, s12
	s_delay_alu instid0(SALU_CYCLE_1) | instskip(NEXT) | instid1(SALU_CYCLE_1)
	s_or_b32 s11, s13, s11
	v_cndmask_b32_e64 v28, v5, v15, s11
	v_cndmask_b32_e64 v30, v21, v20, s11
	;; [unrolled: 1-line block ×3, first 2 shown]
	s_delay_alu instid0(VALU_DEP_3) | instskip(NEXT) | instid1(VALU_DEP_3)
	v_add_nc_u32_e32 v31, 1, v28
	v_add_nc_u32_e32 v30, -1, v30
	s_delay_alu instid0(VALU_DEP_2) | instskip(NEXT) | instid1(VALU_DEP_2)
	v_cndmask_b32_e64 v15, v15, v31, s11
	v_min_u32_e32 v30, v31, v30
	v_cndmask_b32_e64 v5, v31, v5, s11
	s_delay_alu instid0(VALU_DEP_3) | instskip(NEXT) | instid1(VALU_DEP_3)
	v_cmp_lt_u32_e64 s12, v15, v20
	v_lshl_add_u32 v30, v30, 2, v9
	s_delay_alu instid0(VALU_DEP_3) | instskip(SKIP_4) | instid1(VALU_DEP_1)
	v_cmp_ge_u32_e64 s14, v5, v21
	ds_load_b32 v30, v30
	s_waitcnt lgkmcnt(0)
	v_cndmask_b32_e64 v32, v30, v29, s11
	v_cndmask_b32_e64 v30, v27, v30, s11
	v_cmp_le_i32_e64 s13, v30, v32
	s_delay_alu instid0(VALU_DEP_1) | instskip(NEXT) | instid1(SALU_CYCLE_1)
	s_and_b32 s12, s12, s13
	s_or_b32 s12, s14, s12
	s_delay_alu instid0(SALU_CYCLE_1) | instskip(SKIP_2) | instid1(VALU_DEP_3)
	v_cndmask_b32_e64 v31, v5, v15, s12
	v_cndmask_b32_e64 v33, v21, v20, s12
	;; [unrolled: 1-line block ×3, first 2 shown]
	v_add_nc_u32_e32 v34, 1, v31
	s_delay_alu instid0(VALU_DEP_3) | instskip(NEXT) | instid1(VALU_DEP_2)
	v_add_nc_u32_e32 v33, -1, v33
	v_cndmask_b32_e64 v15, v15, v34, s12
	s_delay_alu instid0(VALU_DEP_2) | instskip(SKIP_1) | instid1(VALU_DEP_3)
	v_min_u32_e32 v33, v34, v33
	v_cndmask_b32_e64 v5, v34, v5, s12
	v_cmp_lt_u32_e64 s13, v15, v20
	s_delay_alu instid0(VALU_DEP_3) | instskip(NEXT) | instid1(VALU_DEP_3)
	v_lshl_add_u32 v33, v33, 2, v9
	v_cmp_ge_u32_e64 s15, v5, v21
	ds_load_b32 v33, v33
	s_waitcnt lgkmcnt(0)
	v_cndmask_b32_e64 v36, v33, v32, s12
	v_cndmask_b32_e64 v33, v30, v33, s12
	s_delay_alu instid0(VALU_DEP_1) | instskip(NEXT) | instid1(VALU_DEP_1)
	v_cmp_le_i32_e64 s14, v33, v36
	s_and_b32 s13, s13, s14
	s_delay_alu instid0(SALU_CYCLE_1) | instskip(NEXT) | instid1(SALU_CYCLE_1)
	s_or_b32 s13, s15, s13
	v_cndmask_b32_e64 v37, v5, v15, s13
	v_cndmask_b32_e64 v34, v21, v20, s13
	s_delay_alu instid0(VALU_DEP_2) | instskip(NEXT) | instid1(VALU_DEP_2)
	v_add_nc_u32_e32 v35, 1, v37
	v_add_nc_u32_e32 v34, -1, v34
	s_delay_alu instid0(VALU_DEP_2) | instskip(NEXT) | instid1(VALU_DEP_2)
	v_cndmask_b32_e64 v15, v15, v35, s13
	v_min_u32_e32 v34, v35, v34
	v_cndmask_b32_e64 v38, v35, v5, s13
	s_delay_alu instid0(VALU_DEP_3) | instskip(NEXT) | instid1(VALU_DEP_3)
	v_cmp_lt_u32_e64 s14, v15, v20
	v_lshl_add_u32 v34, v34, 2, v9
	s_delay_alu instid0(VALU_DEP_3)
	v_cmp_ge_u32_e64 s16, v38, v21
	v_lshl_add_u32 v20, v31, 3, v8
	v_lshl_add_u32 v21, v37, 3, v8
	ds_load_b32 v34, v34
	s_waitcnt lgkmcnt(0)
	v_cndmask_b32_e64 v68, v34, v36, s13
	v_cndmask_b32_e64 v69, v33, v34, s13
	ds_load_b64 v[4:5], v4 offset:8192
	ds_load_b64 v[34:35], v14 offset:8192
	;; [unrolled: 1-line block ×3, first 2 shown]
	v_lshl_add_u32 v19, v28, 3, v8
	v_cmp_le_i32_e64 s15, v69, v68
	s_delay_alu instid0(VALU_DEP_1) | instskip(NEXT) | instid1(SALU_CYCLE_1)
	s_and_b32 s14, s14, s15
	s_or_b32 s14, s16, s14
	s_delay_alu instid0(SALU_CYCLE_1) | instskip(SKIP_1) | instid1(VALU_DEP_2)
	v_cndmask_b32_e64 v14, v38, v15, s14
	v_lshl_add_u32 v15, v25, 3, v8
	v_lshl_add_u32 v14, v14, 3, v8
	ds_load_b64 v[52:53], v15 offset:8192
	ds_load_b64 v[66:67], v19 offset:8192
	;; [unrolled: 1-line block ×5, first 2 shown]
	v_cndmask_b32_e64 v14, v23, v18, s9
	v_cndmask_b32_e64 v15, v26, v24, s10
	;; [unrolled: 1-line block ×4, first 2 shown]
.LBB617_206:
	s_or_b32 exec_lo, exec_lo, s18
	v_and_b32_e32 v23, 0x80, v82
	v_min_u32_e32 v24, v11, v83
	; wave barrier
	s_waitcnt lgkmcnt(6)
	ds_store_2addr_b64 v10, v[4:5], v[34:35] offset1:1
	s_waitcnt lgkmcnt(5)
	ds_store_2addr_b64 v10, v[64:65], v[52:53] offset0:2 offset1:3
	ds_store_2addr_b64 v22, v[12:13], v[14:15] offset1:1
	ds_store_2addr_b64 v22, v[16:17], v[18:19] offset0:2 offset1:3
	v_or_b32_e32 v20, 64, v23
	v_lshl_add_u32 v22, v23, 2, v9
	s_mov_b32 s8, exec_lo
	s_waitcnt lgkmcnt(6)
	ds_store_2addr_b64 v10, v[66:67], v[50:51] offset0:4 offset1:5
	s_waitcnt lgkmcnt(5)
	ds_store_2addr_b64 v10, v[48:49], v[38:39] offset0:6 offset1:7
	v_min_u32_e32 v21, v11, v20
	; wave barrier
	s_delay_alu instid0(VALU_DEP_1) | instskip(NEXT) | instid1(VALU_DEP_1)
	v_add_nc_u32_e32 v20, 64, v21
	v_min_u32_e32 v20, v11, v20
	v_sub_nc_u32_e32 v11, v21, v23
	s_delay_alu instid0(VALU_DEP_2) | instskip(NEXT) | instid1(VALU_DEP_2)
	v_sub_nc_u32_e32 v26, v20, v21
	v_min_u32_e32 v25, v24, v11
	s_delay_alu instid0(VALU_DEP_2) | instskip(NEXT) | instid1(VALU_DEP_1)
	v_sub_nc_u32_e64 v11, v24, v26 clamp
	v_cmpx_lt_u32_e64 v11, v25
	s_cbranch_execz .LBB617_210
; %bb.207:
	v_lshlrev_b32_e32 v10, 2, v21
	v_lshlrev_b32_e32 v26, 2, v24
	s_mov_b32 s9, 0
	s_delay_alu instid0(VALU_DEP_1)
	v_add3_u32 v10, v9, v10, v26
	.p2align	6
.LBB617_208:                            ; =>This Inner Loop Header: Depth=1
	v_add_nc_u32_e32 v26, v25, v11
	s_delay_alu instid0(VALU_DEP_1) | instskip(NEXT) | instid1(VALU_DEP_1)
	v_lshrrev_b32_e32 v26, 1, v26
	v_not_b32_e32 v27, v26
	v_lshl_add_u32 v28, v26, 2, v22
	v_add_nc_u32_e32 v29, 1, v26
	s_delay_alu instid0(VALU_DEP_3) | instskip(SKIP_4) | instid1(VALU_DEP_1)
	v_lshl_add_u32 v27, v27, 2, v10
	ds_load_b32 v28, v28
	ds_load_b32 v27, v27
	s_waitcnt lgkmcnt(0)
	v_cmp_gt_i32_e64 s7, v28, v27
	v_cndmask_b32_e64 v25, v25, v26, s7
	v_cndmask_b32_e64 v11, v29, v11, s7
	s_delay_alu instid0(VALU_DEP_1) | instskip(NEXT) | instid1(VALU_DEP_1)
	v_cmp_ge_u32_e64 s7, v11, v25
	s_or_b32 s9, s7, s9
	s_delay_alu instid0(SALU_CYCLE_1)
	s_and_not1_b32 exec_lo, exec_lo, s9
	s_cbranch_execnz .LBB617_208
; %bb.209:
	s_or_b32 exec_lo, exec_lo, s9
.LBB617_210:
	s_delay_alu instid0(SALU_CYCLE_1) | instskip(SKIP_2) | instid1(VALU_DEP_2)
	s_or_b32 exec_lo, exec_lo, s8
	v_add_nc_u32_e32 v10, v21, v24
	v_add_nc_u32_e32 v24, v11, v23
	v_sub_nc_u32_e32 v23, v10, v11
	s_delay_alu instid0(VALU_DEP_2) | instskip(NEXT) | instid1(VALU_DEP_2)
	v_cmp_le_u32_e64 s7, v24, v21
	v_cmp_le_u32_e64 s8, v23, v20
	s_delay_alu instid0(VALU_DEP_1) | instskip(NEXT) | instid1(SALU_CYCLE_1)
	s_or_b32 s7, s7, s8
	s_and_saveexec_b32 s18, s7
	s_cbranch_execz .LBB617_216
; %bb.211:
	v_cmp_lt_u32_e64 s7, v24, v21
                                        ; implicit-def: $vgpr10
	s_delay_alu instid0(VALU_DEP_1)
	s_and_saveexec_b32 s8, s7
	s_cbranch_execz .LBB617_213
; %bb.212:
	v_lshl_add_u32 v4, v11, 2, v22
	ds_load_b32 v10, v4
.LBB617_213:
	s_or_b32 exec_lo, exec_lo, s8
	v_cmp_ge_u32_e64 s8, v23, v20
	s_mov_b32 s10, exec_lo
                                        ; implicit-def: $vgpr11
	v_cmpx_lt_u32_e64 v23, v20
	s_cbranch_execz .LBB617_215
; %bb.214:
	v_lshl_add_u32 v4, v23, 2, v9
	ds_load_b32 v11, v4
.LBB617_215:
	s_or_b32 exec_lo, exec_lo, s10
	s_waitcnt lgkmcnt(0)
	v_cmp_le_i32_e64 s9, v10, v11
	s_delay_alu instid0(VALU_DEP_1) | instskip(NEXT) | instid1(SALU_CYCLE_1)
	s_and_b32 s7, s7, s9
	s_or_b32 s7, s8, s7
	s_delay_alu instid0(SALU_CYCLE_1) | instskip(SKIP_1) | instid1(VALU_DEP_2)
	v_cndmask_b32_e64 v4, v23, v24, s7
	v_cndmask_b32_e64 v5, v20, v21, s7
	v_add_nc_u32_e32 v12, 1, v4
	s_delay_alu instid0(VALU_DEP_2) | instskip(SKIP_1) | instid1(VALU_DEP_3)
	v_add_nc_u32_e32 v5, -1, v5
	v_lshl_add_u32 v4, v4, 3, v8
	v_cndmask_b32_e64 v13, v24, v12, s7
	s_delay_alu instid0(VALU_DEP_3) | instskip(NEXT) | instid1(VALU_DEP_2)
	v_min_u32_e32 v5, v12, v5
	v_cmp_lt_u32_e64 s8, v13, v21
	s_delay_alu instid0(VALU_DEP_2)
	v_lshl_add_u32 v5, v5, 2, v9
	ds_load_b32 v5, v5
	s_waitcnt lgkmcnt(0)
	v_cndmask_b32_e64 v14, v5, v11, s7
	v_cndmask_b32_e64 v15, v10, v5, s7
	;; [unrolled: 1-line block ×3, first 2 shown]
	s_delay_alu instid0(VALU_DEP_2) | instskip(NEXT) | instid1(VALU_DEP_2)
	v_cmp_le_i32_e64 s9, v15, v14
	v_cmp_ge_u32_e64 s10, v5, v20
	s_delay_alu instid0(VALU_DEP_2)
	s_and_b32 s8, s8, s9
	s_delay_alu instid0(VALU_DEP_1) | instid1(SALU_CYCLE_1)
	s_or_b32 s8, s10, s8
	s_delay_alu instid0(SALU_CYCLE_1) | instskip(SKIP_1) | instid1(VALU_DEP_2)
	v_cndmask_b32_e64 v12, v5, v13, s8
	v_cndmask_b32_e64 v16, v20, v21, s8
	v_add_nc_u32_e32 v17, 1, v12
	s_delay_alu instid0(VALU_DEP_2) | instskip(SKIP_1) | instid1(VALU_DEP_3)
	v_add_nc_u32_e32 v16, -1, v16
	v_lshl_add_u32 v12, v12, 3, v8
	v_cndmask_b32_e64 v13, v13, v17, s8
	s_delay_alu instid0(VALU_DEP_3) | instskip(SKIP_1) | instid1(VALU_DEP_3)
	v_min_u32_e32 v16, v17, v16
	v_cndmask_b32_e64 v5, v17, v5, s8
	v_cmp_lt_u32_e64 s9, v13, v21
	s_delay_alu instid0(VALU_DEP_3) | instskip(NEXT) | instid1(VALU_DEP_3)
	v_lshl_add_u32 v16, v16, 2, v9
	v_cmp_ge_u32_e64 s11, v5, v20
	ds_load_b32 v16, v16
	s_waitcnt lgkmcnt(0)
	v_cndmask_b32_e64 v18, v16, v14, s8
	v_cndmask_b32_e64 v16, v15, v16, s8
	s_delay_alu instid0(VALU_DEP_1) | instskip(NEXT) | instid1(VALU_DEP_1)
	v_cmp_le_i32_e64 s10, v16, v18
	s_and_b32 s9, s9, s10
	s_delay_alu instid0(SALU_CYCLE_1) | instskip(NEXT) | instid1(SALU_CYCLE_1)
	s_or_b32 s9, s11, s9
	v_cndmask_b32_e64 v17, v5, v13, s9
	v_cndmask_b32_e64 v19, v20, v21, s9
	s_delay_alu instid0(VALU_DEP_2) | instskip(NEXT) | instid1(VALU_DEP_2)
	v_add_nc_u32_e32 v22, 1, v17
	v_add_nc_u32_e32 v19, -1, v19
	v_lshl_add_u32 v17, v17, 3, v8
	s_delay_alu instid0(VALU_DEP_3) | instskip(NEXT) | instid1(VALU_DEP_3)
	v_cndmask_b32_e64 v13, v13, v22, s9
	v_min_u32_e32 v19, v22, v19
	v_cndmask_b32_e64 v5, v22, v5, s9
	s_delay_alu instid0(VALU_DEP_3) | instskip(NEXT) | instid1(VALU_DEP_3)
	v_cmp_lt_u32_e64 s10, v13, v21
	v_lshl_add_u32 v19, v19, 2, v9
	s_delay_alu instid0(VALU_DEP_3) | instskip(SKIP_4) | instid1(VALU_DEP_1)
	v_cmp_ge_u32_e64 s12, v5, v20
	ds_load_b32 v19, v19
	s_waitcnt lgkmcnt(0)
	v_cndmask_b32_e64 v23, v19, v18, s9
	v_cndmask_b32_e64 v19, v16, v19, s9
	v_cmp_le_i32_e64 s11, v19, v23
	s_delay_alu instid0(VALU_DEP_1) | instskip(NEXT) | instid1(SALU_CYCLE_1)
	s_and_b32 s10, s10, s11
	s_or_b32 s10, s12, s10
	s_delay_alu instid0(SALU_CYCLE_1) | instskip(SKIP_1) | instid1(VALU_DEP_2)
	v_cndmask_b32_e64 v22, v5, v13, s10
	v_cndmask_b32_e64 v24, v20, v21, s10
	v_add_nc_u32_e32 v25, 1, v22
	s_delay_alu instid0(VALU_DEP_2) | instskip(NEXT) | instid1(VALU_DEP_2)
	v_add_nc_u32_e32 v24, -1, v24
	v_cndmask_b32_e64 v13, v13, v25, s10
	s_delay_alu instid0(VALU_DEP_2) | instskip(SKIP_1) | instid1(VALU_DEP_3)
	v_min_u32_e32 v24, v25, v24
	v_cndmask_b32_e64 v5, v25, v5, s10
	v_cmp_lt_u32_e64 s11, v13, v21
	s_delay_alu instid0(VALU_DEP_3) | instskip(NEXT) | instid1(VALU_DEP_3)
	v_lshl_add_u32 v24, v24, 2, v9
	v_cmp_ge_u32_e64 s13, v5, v20
	ds_load_b32 v24, v24
	s_waitcnt lgkmcnt(0)
	v_cndmask_b32_e64 v26, v24, v23, s10
	v_cndmask_b32_e64 v24, v19, v24, s10
	s_delay_alu instid0(VALU_DEP_1) | instskip(NEXT) | instid1(VALU_DEP_1)
	v_cmp_le_i32_e64 s12, v24, v26
	s_and_b32 s11, s11, s12
	s_delay_alu instid0(SALU_CYCLE_1) | instskip(NEXT) | instid1(SALU_CYCLE_1)
	s_or_b32 s11, s13, s11
	v_cndmask_b32_e64 v25, v5, v13, s11
	v_cndmask_b32_e64 v27, v20, v21, s11
	s_delay_alu instid0(VALU_DEP_2) | instskip(NEXT) | instid1(VALU_DEP_2)
	v_add_nc_u32_e32 v28, 1, v25
	v_add_nc_u32_e32 v27, -1, v27
	s_delay_alu instid0(VALU_DEP_2) | instskip(NEXT) | instid1(VALU_DEP_2)
	v_cndmask_b32_e64 v13, v13, v28, s11
	v_min_u32_e32 v27, v28, v27
	v_cndmask_b32_e64 v5, v28, v5, s11
	s_delay_alu instid0(VALU_DEP_3) | instskip(NEXT) | instid1(VALU_DEP_3)
	v_cmp_lt_u32_e64 s12, v13, v21
	v_lshl_add_u32 v27, v27, 2, v9
	s_delay_alu instid0(VALU_DEP_3) | instskip(SKIP_4) | instid1(VALU_DEP_1)
	v_cmp_ge_u32_e64 s14, v5, v20
	ds_load_b32 v27, v27
	s_waitcnt lgkmcnt(0)
	v_cndmask_b32_e64 v29, v27, v26, s11
	v_cndmask_b32_e64 v27, v24, v27, s11
	v_cmp_le_i32_e64 s13, v27, v29
	s_delay_alu instid0(VALU_DEP_1) | instskip(NEXT) | instid1(SALU_CYCLE_1)
	s_and_b32 s12, s12, s13
	s_or_b32 s12, s14, s12
	s_delay_alu instid0(SALU_CYCLE_1) | instskip(SKIP_1) | instid1(VALU_DEP_2)
	v_cndmask_b32_e64 v28, v5, v13, s12
	v_cndmask_b32_e64 v30, v20, v21, s12
	v_add_nc_u32_e32 v31, 1, v28
	s_delay_alu instid0(VALU_DEP_2) | instskip(NEXT) | instid1(VALU_DEP_2)
	v_add_nc_u32_e32 v30, -1, v30
	v_cndmask_b32_e64 v13, v13, v31, s12
	s_delay_alu instid0(VALU_DEP_2) | instskip(SKIP_1) | instid1(VALU_DEP_3)
	v_min_u32_e32 v30, v31, v30
	v_cndmask_b32_e64 v5, v31, v5, s12
	v_cmp_lt_u32_e64 s13, v13, v21
	s_delay_alu instid0(VALU_DEP_3) | instskip(NEXT) | instid1(VALU_DEP_3)
	v_lshl_add_u32 v30, v30, 2, v9
	v_cmp_ge_u32_e64 s15, v5, v20
	ds_load_b32 v30, v30
	s_waitcnt lgkmcnt(0)
	v_cndmask_b32_e64 v32, v30, v29, s12
	v_cndmask_b32_e64 v30, v27, v30, s12
	s_delay_alu instid0(VALU_DEP_1) | instskip(NEXT) | instid1(VALU_DEP_1)
	v_cmp_le_i32_e64 s14, v30, v32
	s_and_b32 s13, s13, s14
	s_delay_alu instid0(SALU_CYCLE_1) | instskip(NEXT) | instid1(SALU_CYCLE_1)
	s_or_b32 s13, s15, s13
	v_cndmask_b32_e64 v31, v5, v13, s13
	v_cndmask_b32_e64 v33, v20, v21, s13
	s_delay_alu instid0(VALU_DEP_2) | instskip(NEXT) | instid1(VALU_DEP_2)
	v_add_nc_u32_e32 v34, 1, v31
	v_add_nc_u32_e32 v33, -1, v33
	s_delay_alu instid0(VALU_DEP_2) | instskip(NEXT) | instid1(VALU_DEP_2)
	v_cndmask_b32_e64 v13, v13, v34, s13
	v_min_u32_e32 v33, v34, v33
	v_cndmask_b32_e64 v36, v34, v5, s13
	s_delay_alu instid0(VALU_DEP_3) | instskip(NEXT) | instid1(VALU_DEP_3)
	v_cmp_lt_u32_e64 s14, v13, v21
	v_lshl_add_u32 v9, v33, 2, v9
	s_delay_alu instid0(VALU_DEP_3)
	v_cmp_ge_u32_e64 s16, v36, v20
	v_lshl_add_u32 v20, v28, 3, v8
	v_lshl_add_u32 v21, v31, 3, v8
	ds_load_b32 v9, v9
	ds_load_b64 v[4:5], v4 offset:8192
	ds_load_b64 v[34:35], v12 offset:8192
	;; [unrolled: 1-line block ×3, first 2 shown]
	v_lshl_add_u32 v17, v25, 3, v8
	s_waitcnt lgkmcnt(3)
	v_cndmask_b32_e64 v33, v9, v32, s13
	v_cndmask_b32_e64 v9, v30, v9, s13
	s_delay_alu instid0(VALU_DEP_1) | instskip(NEXT) | instid1(VALU_DEP_1)
	v_cmp_le_i32_e64 s15, v9, v33
	s_and_b32 s14, s14, s15
	s_delay_alu instid0(SALU_CYCLE_1) | instskip(NEXT) | instid1(SALU_CYCLE_1)
	s_or_b32 s14, s16, s14
	v_cndmask_b32_e64 v12, v36, v13, s14
	v_lshl_add_u32 v13, v22, 3, v8
	s_delay_alu instid0(VALU_DEP_2)
	v_lshl_add_u32 v8, v12, 3, v8
	ds_load_b64 v[52:53], v13 offset:8192
	ds_load_b64 v[66:67], v17 offset:8192
	;; [unrolled: 1-line block ×5, first 2 shown]
	v_cndmask_b32_e64 v12, v11, v10, s7
	v_cndmask_b32_e64 v13, v14, v15, s8
	;; [unrolled: 1-line block ×8, first 2 shown]
.LBB617_216:
	s_or_b32 exec_lo, exec_lo, s18
	; wave barrier
	s_waitcnt lgkmcnt(0)
	s_waitcnt_vscnt null, 0x0
	s_barrier
.LBB617_217:
	s_or_b32 exec_lo, exec_lo, s17
	v_add_co_u32 v2, s7, v2, v54
	s_delay_alu instid0(VALU_DEP_1) | instskip(SKIP_4) | instid1(VALU_DEP_1)
	v_add_co_ci_u32_e64 v3, s7, v3, v55, s7
	s_waitcnt vmcnt(0) lgkmcnt(0)
	s_waitcnt_vscnt null, 0x0
	buffer_gl0_inv
	v_add_co_u32 v2, s7, v2, v80
	v_add_co_ci_u32_e64 v3, s7, 0, v3, s7
	; wave barrier
	s_and_saveexec_b32 s7, vcc_lo
	s_cbranch_execnz .LBB617_242
; %bb.218:
	s_or_b32 exec_lo, exec_lo, s7
	s_and_saveexec_b32 s7, s0
	s_cbranch_execnz .LBB617_243
.LBB617_219:
	s_or_b32 exec_lo, exec_lo, s7
	s_and_saveexec_b32 s7, s1
	s_cbranch_execnz .LBB617_244
.LBB617_220:
	s_or_b32 exec_lo, exec_lo, s7
	s_and_saveexec_b32 s7, s2
	s_cbranch_execnz .LBB617_245
.LBB617_221:
	s_or_b32 exec_lo, exec_lo, s7
	s_and_saveexec_b32 s7, s3
	s_cbranch_execnz .LBB617_246
.LBB617_222:
	s_or_b32 exec_lo, exec_lo, s7
	s_and_saveexec_b32 s7, s4
	s_cbranch_execnz .LBB617_247
.LBB617_223:
	s_or_b32 exec_lo, exec_lo, s7
	s_and_saveexec_b32 s7, s5
	s_cbranch_execnz .LBB617_248
.LBB617_224:
	s_or_b32 exec_lo, exec_lo, s7
	s_and_saveexec_b32 s7, s6
	s_cbranch_execz .LBB617_226
.LBB617_225:
	flat_store_b32 v[2:3], v19 offset:28
.LBB617_226:
	s_or_b32 exec_lo, exec_lo, s7
	v_add_co_u32 v0, s7, v6, v0
	s_delay_alu instid0(VALU_DEP_1) | instskip(NEXT) | instid1(VALU_DEP_2)
	v_add_co_ci_u32_e64 v1, s7, v7, v1, s7
	v_add_co_u32 v0, s7, v0, v81
	s_delay_alu instid0(VALU_DEP_1)
	v_add_co_ci_u32_e64 v1, s7, 0, v1, s7
	; wave barrier
	s_and_saveexec_b32 s7, vcc_lo
	s_cbranch_execnz .LBB617_249
; %bb.227:
	s_or_b32 exec_lo, exec_lo, s7
	s_and_saveexec_b32 s7, s0
	s_cbranch_execnz .LBB617_250
.LBB617_228:
	s_or_b32 exec_lo, exec_lo, s7
	s_and_saveexec_b32 s0, s1
	s_cbranch_execnz .LBB617_251
.LBB617_229:
	s_or_b32 exec_lo, exec_lo, s0
	s_and_saveexec_b32 s0, s2
	s_cbranch_execnz .LBB617_252
.LBB617_230:
	s_or_b32 exec_lo, exec_lo, s0
	s_and_saveexec_b32 s0, s3
	s_cbranch_execnz .LBB617_253
.LBB617_231:
	s_or_b32 exec_lo, exec_lo, s0
	s_and_saveexec_b32 s0, s4
	s_cbranch_execnz .LBB617_254
.LBB617_232:
	s_or_b32 exec_lo, exec_lo, s0
	s_and_saveexec_b32 s0, s5
	s_cbranch_execnz .LBB617_255
.LBB617_233:
	s_or_b32 exec_lo, exec_lo, s0
	s_and_saveexec_b32 s0, s6
	s_cbranch_execnz .LBB617_256
.LBB617_234:
	s_or_b32 exec_lo, exec_lo, s0
	s_waitcnt lgkmcnt(0)
	s_setpc_b64 s[30:31]
.LBB617_235:
	flat_load_b64 v[4:5], v[8:9]
	s_or_b32 exec_lo, exec_lo, s7
	s_and_saveexec_b32 s7, s0
                                        ; implicit-def: $vgpr32_vgpr33_vgpr34_vgpr35
	s_cbranch_execz .LBB617_18
.LBB617_236:
	flat_load_b64 v[34:35], v[8:9] offset:8
	s_or_b32 exec_lo, exec_lo, s7
                                        ; implicit-def: $vgpr64_vgpr65
	s_and_saveexec_b32 s7, s1
	s_cbranch_execz .LBB617_19
.LBB617_237:
	flat_load_b64 v[64:65], v[8:9] offset:16
	s_or_b32 exec_lo, exec_lo, s7
	s_and_saveexec_b32 s7, s2
                                        ; implicit-def: $vgpr50_vgpr51_vgpr52_vgpr53
	s_cbranch_execz .LBB617_20
.LBB617_238:
	flat_load_b64 v[52:53], v[8:9] offset:24
	s_or_b32 exec_lo, exec_lo, s7
                                        ; implicit-def: $vgpr66_vgpr67
	s_and_saveexec_b32 s7, s3
	s_cbranch_execz .LBB617_21
.LBB617_239:
	flat_load_b64 v[66:67], v[8:9] offset:32
	s_or_b32 exec_lo, exec_lo, s7
	s_and_saveexec_b32 s7, s4
                                        ; implicit-def: $vgpr48_vgpr49_vgpr50_vgpr51
	s_cbranch_execz .LBB617_22
.LBB617_240:
	flat_load_b64 v[50:51], v[8:9] offset:40
	s_or_b32 exec_lo, exec_lo, s7
                                        ; implicit-def: $vgpr48_vgpr49
	s_and_saveexec_b32 s7, s5
	s_cbranch_execz .LBB617_23
.LBB617_241:
	flat_load_b64 v[48:49], v[8:9] offset:48
	s_or_b32 exec_lo, exec_lo, s7
	s_and_saveexec_b32 s7, s6
                                        ; implicit-def: $vgpr36_vgpr37_vgpr38_vgpr39
	s_cbranch_execnz .LBB617_24
	s_branch .LBB617_25
.LBB617_242:
	flat_store_b32 v[2:3], v12
	s_or_b32 exec_lo, exec_lo, s7
	s_and_saveexec_b32 s7, s0
	s_cbranch_execz .LBB617_219
.LBB617_243:
	flat_store_b32 v[2:3], v13 offset:4
	s_or_b32 exec_lo, exec_lo, s7
	s_and_saveexec_b32 s7, s1
	s_cbranch_execz .LBB617_220
.LBB617_244:
	flat_store_b32 v[2:3], v14 offset:8
	s_or_b32 exec_lo, exec_lo, s7
	s_and_saveexec_b32 s7, s2
	s_cbranch_execz .LBB617_221
.LBB617_245:
	flat_store_b32 v[2:3], v15 offset:12
	s_or_b32 exec_lo, exec_lo, s7
	s_and_saveexec_b32 s7, s3
	s_cbranch_execz .LBB617_222
.LBB617_246:
	flat_store_b32 v[2:3], v16 offset:16
	s_or_b32 exec_lo, exec_lo, s7
	s_and_saveexec_b32 s7, s4
	s_cbranch_execz .LBB617_223
.LBB617_247:
	flat_store_b32 v[2:3], v17 offset:20
	s_or_b32 exec_lo, exec_lo, s7
	s_and_saveexec_b32 s7, s5
	s_cbranch_execz .LBB617_224
.LBB617_248:
	flat_store_b32 v[2:3], v18 offset:24
	s_or_b32 exec_lo, exec_lo, s7
	s_and_saveexec_b32 s7, s6
	s_cbranch_execnz .LBB617_225
	s_branch .LBB617_226
.LBB617_249:
	flat_store_b64 v[0:1], v[4:5]
	s_or_b32 exec_lo, exec_lo, s7
	s_and_saveexec_b32 s7, s0
	s_cbranch_execz .LBB617_228
.LBB617_250:
	flat_store_b64 v[0:1], v[34:35] offset:8
	s_or_b32 exec_lo, exec_lo, s7
	s_and_saveexec_b32 s0, s1
	s_cbranch_execz .LBB617_229
.LBB617_251:
	flat_store_b64 v[0:1], v[64:65] offset:16
	s_or_b32 exec_lo, exec_lo, s0
	s_and_saveexec_b32 s0, s2
	s_cbranch_execz .LBB617_230
.LBB617_252:
	flat_store_b64 v[0:1], v[52:53] offset:24
	s_or_b32 exec_lo, exec_lo, s0
	s_and_saveexec_b32 s0, s3
	s_cbranch_execz .LBB617_231
.LBB617_253:
	flat_store_b64 v[0:1], v[66:67] offset:32
	s_or_b32 exec_lo, exec_lo, s0
	s_and_saveexec_b32 s0, s4
	s_cbranch_execz .LBB617_232
.LBB617_254:
	flat_store_b64 v[0:1], v[50:51] offset:40
	s_or_b32 exec_lo, exec_lo, s0
	s_and_saveexec_b32 s0, s5
	s_cbranch_execz .LBB617_233
.LBB617_255:
	flat_store_b64 v[0:1], v[48:49] offset:48
	s_or_b32 exec_lo, exec_lo, s0
	s_and_saveexec_b32 s0, s6
	s_cbranch_execz .LBB617_234
.LBB617_256:
	flat_store_b64 v[0:1], v[38:39] offset:56
	s_or_b32 exec_lo, exec_lo, s0
	s_waitcnt lgkmcnt(0)
	s_setpc_b64 s[30:31]
.Lfunc_end617:
	.size	_ZN7rocprim17ROCPRIM_400000_NS6detail26segmented_warp_sort_helperINS1_20WarpSortHelperConfigILj16ELj8ELj256EEEilLi256ELb0EvE4sortIPKiPiPKlPlEEvT_T0_T1_T2_jjjjRNS5_12storage_typeE, .Lfunc_end617-_ZN7rocprim17ROCPRIM_400000_NS6detail26segmented_warp_sort_helperINS1_20WarpSortHelperConfigILj16ELj8ELj256EEEilLi256ELb0EvE4sortIPKiPiPKlPlEEvT_T0_T1_T2_jjjjRNS5_12storage_typeE
                                        ; -- End function
	.section	.AMDGPU.csdata,"",@progbits
; Function info:
; codeLenInByte = 19344
; NumSgprs: 34
; NumVgprs: 87
; ScratchSize: 0
; MemoryBound: 0
	.section	.text._ZN7rocprim17ROCPRIM_400000_NS6detail17trampoline_kernelINS0_14default_configENS1_36segmented_radix_sort_config_selectorIilEEZNS1_25segmented_radix_sort_implIS3_Lb0EPKiPiPKlPlN2at6native12_GLOBAL__N_18offset_tEEE10hipError_tPvRmT1_PNSt15iterator_traitsISK_E10value_typeET2_T3_PNSL_ISQ_E10value_typeET4_jRbjT5_SW_jjP12ihipStream_tbEUlT_E0_NS1_11comp_targetILNS1_3genE9ELNS1_11target_archE1100ELNS1_3gpuE3ELNS1_3repE0EEENS1_60segmented_radix_sort_warp_sort_medium_config_static_selectorELNS0_4arch9wavefront6targetE0EEEvSK_,"axG",@progbits,_ZN7rocprim17ROCPRIM_400000_NS6detail17trampoline_kernelINS0_14default_configENS1_36segmented_radix_sort_config_selectorIilEEZNS1_25segmented_radix_sort_implIS3_Lb0EPKiPiPKlPlN2at6native12_GLOBAL__N_18offset_tEEE10hipError_tPvRmT1_PNSt15iterator_traitsISK_E10value_typeET2_T3_PNSL_ISQ_E10value_typeET4_jRbjT5_SW_jjP12ihipStream_tbEUlT_E0_NS1_11comp_targetILNS1_3genE9ELNS1_11target_archE1100ELNS1_3gpuE3ELNS1_3repE0EEENS1_60segmented_radix_sort_warp_sort_medium_config_static_selectorELNS0_4arch9wavefront6targetE0EEEvSK_,comdat
	.globl	_ZN7rocprim17ROCPRIM_400000_NS6detail17trampoline_kernelINS0_14default_configENS1_36segmented_radix_sort_config_selectorIilEEZNS1_25segmented_radix_sort_implIS3_Lb0EPKiPiPKlPlN2at6native12_GLOBAL__N_18offset_tEEE10hipError_tPvRmT1_PNSt15iterator_traitsISK_E10value_typeET2_T3_PNSL_ISQ_E10value_typeET4_jRbjT5_SW_jjP12ihipStream_tbEUlT_E0_NS1_11comp_targetILNS1_3genE9ELNS1_11target_archE1100ELNS1_3gpuE3ELNS1_3repE0EEENS1_60segmented_radix_sort_warp_sort_medium_config_static_selectorELNS0_4arch9wavefront6targetE0EEEvSK_ ; -- Begin function _ZN7rocprim17ROCPRIM_400000_NS6detail17trampoline_kernelINS0_14default_configENS1_36segmented_radix_sort_config_selectorIilEEZNS1_25segmented_radix_sort_implIS3_Lb0EPKiPiPKlPlN2at6native12_GLOBAL__N_18offset_tEEE10hipError_tPvRmT1_PNSt15iterator_traitsISK_E10value_typeET2_T3_PNSL_ISQ_E10value_typeET4_jRbjT5_SW_jjP12ihipStream_tbEUlT_E0_NS1_11comp_targetILNS1_3genE9ELNS1_11target_archE1100ELNS1_3gpuE3ELNS1_3repE0EEENS1_60segmented_radix_sort_warp_sort_medium_config_static_selectorELNS0_4arch9wavefront6targetE0EEEvSK_
	.p2align	8
	.type	_ZN7rocprim17ROCPRIM_400000_NS6detail17trampoline_kernelINS0_14default_configENS1_36segmented_radix_sort_config_selectorIilEEZNS1_25segmented_radix_sort_implIS3_Lb0EPKiPiPKlPlN2at6native12_GLOBAL__N_18offset_tEEE10hipError_tPvRmT1_PNSt15iterator_traitsISK_E10value_typeET2_T3_PNSL_ISQ_E10value_typeET4_jRbjT5_SW_jjP12ihipStream_tbEUlT_E0_NS1_11comp_targetILNS1_3genE9ELNS1_11target_archE1100ELNS1_3gpuE3ELNS1_3repE0EEENS1_60segmented_radix_sort_warp_sort_medium_config_static_selectorELNS0_4arch9wavefront6targetE0EEEvSK_,@function
_ZN7rocprim17ROCPRIM_400000_NS6detail17trampoline_kernelINS0_14default_configENS1_36segmented_radix_sort_config_selectorIilEEZNS1_25segmented_radix_sort_implIS3_Lb0EPKiPiPKlPlN2at6native12_GLOBAL__N_18offset_tEEE10hipError_tPvRmT1_PNSt15iterator_traitsISK_E10value_typeET2_T3_PNSL_ISQ_E10value_typeET4_jRbjT5_SW_jjP12ihipStream_tbEUlT_E0_NS1_11comp_targetILNS1_3genE9ELNS1_11target_archE1100ELNS1_3gpuE3ELNS1_3repE0EEENS1_60segmented_radix_sort_warp_sort_medium_config_static_selectorELNS0_4arch9wavefront6targetE0EEEvSK_: ; @_ZN7rocprim17ROCPRIM_400000_NS6detail17trampoline_kernelINS0_14default_configENS1_36segmented_radix_sort_config_selectorIilEEZNS1_25segmented_radix_sort_implIS3_Lb0EPKiPiPKlPlN2at6native12_GLOBAL__N_18offset_tEEE10hipError_tPvRmT1_PNSt15iterator_traitsISK_E10value_typeET2_T3_PNSL_ISQ_E10value_typeET4_jRbjT5_SW_jjP12ihipStream_tbEUlT_E0_NS1_11comp_targetILNS1_3genE9ELNS1_11target_archE1100ELNS1_3gpuE3ELNS1_3repE0EEENS1_60segmented_radix_sort_warp_sort_medium_config_static_selectorELNS0_4arch9wavefront6targetE0EEEvSK_
; %bb.0:
	s_load_b32 s2, s[0:1], 0x64
	v_bfe_u32 v1, v0, 10, 10
	v_bfe_u32 v2, v0, 20, 10
	s_mov_b32 s32, 0
	s_waitcnt lgkmcnt(0)
	s_lshr_b32 s3, s2, 16
	s_and_b32 s2, s2, 0xffff
	v_mad_u32_u24 v4, v2, s3, v1
	v_and_b32_e32 v1, 0x3ff, v0
	s_load_b32 s3, s[0:1], 0x34
	s_delay_alu instid0(VALU_DEP_1) | instskip(SKIP_1) | instid1(VALU_DEP_1)
	v_mad_u64_u32 v[2:3], null, v4, s2, v[1:2]
	s_mov_b32 s2, exec_lo
	v_lshrrev_b32_e32 v1, 4, v2
	s_delay_alu instid0(VALU_DEP_1) | instskip(SKIP_1) | instid1(VALU_DEP_1)
	v_lshl_add_u32 v1, s14, 4, v1
	s_waitcnt lgkmcnt(0)
	v_cmpx_gt_u32_e64 s3, v1
	s_cbranch_execz .LBB618_6
; %bb.1:
	s_clause 0x1
	s_load_b64 s[2:3], s[0:1], 0x38
	s_load_b128 s[4:7], s[0:1], 0x40
	v_mov_b32_e32 v2, 0
	s_delay_alu instid0(VALU_DEP_1) | instskip(SKIP_1) | instid1(VALU_DEP_1)
	v_lshlrev_b64 v[1:2], 2, v[1:2]
	s_waitcnt lgkmcnt(0)
	v_add_co_u32 v1, vcc_lo, s2, v1
	s_delay_alu instid0(VALU_DEP_2) | instskip(SKIP_4) | instid1(VALU_DEP_2)
	v_add_co_ci_u32_e32 v2, vcc_lo, s3, v2, vcc_lo
	global_load_b32 v1, v[1:2], off
	s_waitcnt vmcnt(0)
	v_add_nc_u32_e32 v2, s5, v1
	v_add_nc_u32_e32 v1, s7, v1
	v_mul_lo_u32 v40, v2, s4
	s_delay_alu instid0(VALU_DEP_2) | instskip(NEXT) | instid1(VALU_DEP_1)
	v_mul_lo_u32 v41, v1, s6
	v_cmp_gt_u32_e32 vcc_lo, v41, v40
	s_and_b32 exec_lo, exec_lo, vcc_lo
	s_cbranch_execz .LBB618_6
; %bb.2:
	s_clause 0x3
	s_load_b32 s2, s[0:1], 0x30
	s_load_b128 s[24:27], s[0:1], 0x20
	s_load_b256 s[36:43], s[0:1], 0x0
	s_load_b64 s[28:29], s[0:1], 0x50
	s_waitcnt lgkmcnt(0)
	s_bitcmp0_b32 s2, 0
	s_mov_b32 s2, -1
	s_cbranch_scc0 .LBB618_4
; %bb.3:
	v_mov_b32_e32 v31, v0
	v_dual_mov_b32 v42, v0 :: v_dual_mov_b32 v1, s37
	v_mov_b32_e32 v0, s36
	v_dual_mov_b32 v2, s38 :: v_dual_mov_b32 v3, s39
	v_dual_mov_b32 v4, s42 :: v_dual_mov_b32 v5, s43
	;; [unrolled: 1-line block ×5, first 2 shown]
	s_add_u32 s8, s0, 0x58
	s_addc_u32 s9, s1, 0
	s_mov_b32 s12, s14
	s_mov_b32 s13, s15
	s_getpc_b64 s[2:3]
	s_add_u32 s2, s2, _ZN7rocprim17ROCPRIM_400000_NS6detail26segmented_warp_sort_helperINS1_20WarpSortHelperConfigILj16ELj8ELj256EEEilLi256ELb0EvE4sortIPKiPiPKlPlEEvT_T0_T1_T2_jjjjRNS5_12storage_typeE@rel32@lo+4
	s_addc_u32 s3, s3, _ZN7rocprim17ROCPRIM_400000_NS6detail26segmented_warp_sort_helperINS1_20WarpSortHelperConfigILj16ELj8ELj256EEEilLi256ELb0EvE4sortIPKiPiPKlPlEEvT_T0_T1_T2_jjjjRNS5_12storage_typeE@rel32@hi+12
	s_mov_b64 s[24:25], s[0:1]
	s_mov_b32 s23, s15
	s_mov_b32 s33, s14
	s_swappc_b64 s[30:31], s[2:3]
	v_mov_b32_e32 v0, v42
	s_mov_b32 s14, s33
	s_mov_b32 s15, s23
	s_mov_b64 s[0:1], s[24:25]
	s_mov_b32 s2, 0
.LBB618_4:
	s_delay_alu instid0(SALU_CYCLE_1)
	s_and_not1_b32 vcc_lo, exec_lo, s2
	s_cbranch_vccnz .LBB618_6
; %bb.5:
	v_dual_mov_b32 v31, v0 :: v_dual_mov_b32 v0, s36
	v_dual_mov_b32 v1, s37 :: v_dual_mov_b32 v2, s40
	;; [unrolled: 1-line block ×6, first 2 shown]
	v_mov_b32_e32 v11, s29
	s_add_u32 s8, s0, 0x58
	s_addc_u32 s9, s1, 0
	s_mov_b32 s12, s14
	s_mov_b32 s13, s15
	s_getpc_b64 s[0:1]
	s_add_u32 s0, s0, _ZN7rocprim17ROCPRIM_400000_NS6detail26segmented_warp_sort_helperINS1_20WarpSortHelperConfigILj16ELj8ELj256EEEilLi256ELb0EvE4sortIPKiPiPKlPlEEvT_T0_T1_T2_jjjjRNS5_12storage_typeE@rel32@lo+4
	s_addc_u32 s1, s1, _ZN7rocprim17ROCPRIM_400000_NS6detail26segmented_warp_sort_helperINS1_20WarpSortHelperConfigILj16ELj8ELj256EEEilLi256ELb0EvE4sortIPKiPiPKlPlEEvT_T0_T1_T2_jjjjRNS5_12storage_typeE@rel32@hi+12
	s_delay_alu instid0(SALU_CYCLE_1)
	s_swappc_b64 s[30:31], s[0:1]
.LBB618_6:
	s_endpgm
	.section	.rodata,"a",@progbits
	.p2align	6, 0x0
	.amdhsa_kernel _ZN7rocprim17ROCPRIM_400000_NS6detail17trampoline_kernelINS0_14default_configENS1_36segmented_radix_sort_config_selectorIilEEZNS1_25segmented_radix_sort_implIS3_Lb0EPKiPiPKlPlN2at6native12_GLOBAL__N_18offset_tEEE10hipError_tPvRmT1_PNSt15iterator_traitsISK_E10value_typeET2_T3_PNSL_ISQ_E10value_typeET4_jRbjT5_SW_jjP12ihipStream_tbEUlT_E0_NS1_11comp_targetILNS1_3genE9ELNS1_11target_archE1100ELNS1_3gpuE3ELNS1_3repE0EEENS1_60segmented_radix_sort_warp_sort_medium_config_static_selectorELNS0_4arch9wavefront6targetE0EEEvSK_
		.amdhsa_group_segment_fixed_size 24576
		.amdhsa_private_segment_fixed_size 0
		.amdhsa_kernarg_size 344
		.amdhsa_user_sgpr_count 14
		.amdhsa_user_sgpr_dispatch_ptr 0
		.amdhsa_user_sgpr_queue_ptr 0
		.amdhsa_user_sgpr_kernarg_segment_ptr 1
		.amdhsa_user_sgpr_dispatch_id 0
		.amdhsa_user_sgpr_private_segment_size 0
		.amdhsa_wavefront_size32 1
		.amdhsa_uses_dynamic_stack 0
		.amdhsa_enable_private_segment 0
		.amdhsa_system_sgpr_workgroup_id_x 1
		.amdhsa_system_sgpr_workgroup_id_y 1
		.amdhsa_system_sgpr_workgroup_id_z 0
		.amdhsa_system_sgpr_workgroup_info 0
		.amdhsa_system_vgpr_workitem_id 2
		.amdhsa_next_free_vgpr 87
		.amdhsa_next_free_sgpr 44
		.amdhsa_reserve_vcc 1
		.amdhsa_float_round_mode_32 0
		.amdhsa_float_round_mode_16_64 0
		.amdhsa_float_denorm_mode_32 3
		.amdhsa_float_denorm_mode_16_64 3
		.amdhsa_dx10_clamp 1
		.amdhsa_ieee_mode 1
		.amdhsa_fp16_overflow 0
		.amdhsa_workgroup_processor_mode 1
		.amdhsa_memory_ordered 1
		.amdhsa_forward_progress 0
		.amdhsa_shared_vgpr_count 0
		.amdhsa_exception_fp_ieee_invalid_op 0
		.amdhsa_exception_fp_denorm_src 0
		.amdhsa_exception_fp_ieee_div_zero 0
		.amdhsa_exception_fp_ieee_overflow 0
		.amdhsa_exception_fp_ieee_underflow 0
		.amdhsa_exception_fp_ieee_inexact 0
		.amdhsa_exception_int_div_zero 0
	.end_amdhsa_kernel
	.section	.text._ZN7rocprim17ROCPRIM_400000_NS6detail17trampoline_kernelINS0_14default_configENS1_36segmented_radix_sort_config_selectorIilEEZNS1_25segmented_radix_sort_implIS3_Lb0EPKiPiPKlPlN2at6native12_GLOBAL__N_18offset_tEEE10hipError_tPvRmT1_PNSt15iterator_traitsISK_E10value_typeET2_T3_PNSL_ISQ_E10value_typeET4_jRbjT5_SW_jjP12ihipStream_tbEUlT_E0_NS1_11comp_targetILNS1_3genE9ELNS1_11target_archE1100ELNS1_3gpuE3ELNS1_3repE0EEENS1_60segmented_radix_sort_warp_sort_medium_config_static_selectorELNS0_4arch9wavefront6targetE0EEEvSK_,"axG",@progbits,_ZN7rocprim17ROCPRIM_400000_NS6detail17trampoline_kernelINS0_14default_configENS1_36segmented_radix_sort_config_selectorIilEEZNS1_25segmented_radix_sort_implIS3_Lb0EPKiPiPKlPlN2at6native12_GLOBAL__N_18offset_tEEE10hipError_tPvRmT1_PNSt15iterator_traitsISK_E10value_typeET2_T3_PNSL_ISQ_E10value_typeET4_jRbjT5_SW_jjP12ihipStream_tbEUlT_E0_NS1_11comp_targetILNS1_3genE9ELNS1_11target_archE1100ELNS1_3gpuE3ELNS1_3repE0EEENS1_60segmented_radix_sort_warp_sort_medium_config_static_selectorELNS0_4arch9wavefront6targetE0EEEvSK_,comdat
.Lfunc_end618:
	.size	_ZN7rocprim17ROCPRIM_400000_NS6detail17trampoline_kernelINS0_14default_configENS1_36segmented_radix_sort_config_selectorIilEEZNS1_25segmented_radix_sort_implIS3_Lb0EPKiPiPKlPlN2at6native12_GLOBAL__N_18offset_tEEE10hipError_tPvRmT1_PNSt15iterator_traitsISK_E10value_typeET2_T3_PNSL_ISQ_E10value_typeET4_jRbjT5_SW_jjP12ihipStream_tbEUlT_E0_NS1_11comp_targetILNS1_3genE9ELNS1_11target_archE1100ELNS1_3gpuE3ELNS1_3repE0EEENS1_60segmented_radix_sort_warp_sort_medium_config_static_selectorELNS0_4arch9wavefront6targetE0EEEvSK_, .Lfunc_end618-_ZN7rocprim17ROCPRIM_400000_NS6detail17trampoline_kernelINS0_14default_configENS1_36segmented_radix_sort_config_selectorIilEEZNS1_25segmented_radix_sort_implIS3_Lb0EPKiPiPKlPlN2at6native12_GLOBAL__N_18offset_tEEE10hipError_tPvRmT1_PNSt15iterator_traitsISK_E10value_typeET2_T3_PNSL_ISQ_E10value_typeET4_jRbjT5_SW_jjP12ihipStream_tbEUlT_E0_NS1_11comp_targetILNS1_3genE9ELNS1_11target_archE1100ELNS1_3gpuE3ELNS1_3repE0EEENS1_60segmented_radix_sort_warp_sort_medium_config_static_selectorELNS0_4arch9wavefront6targetE0EEEvSK_
                                        ; -- End function
	.section	.AMDGPU.csdata,"",@progbits
; Kernel info:
; codeLenInByte = 524
; NumSgprs: 46
; NumVgprs: 87
; ScratchSize: 0
; MemoryBound: 0
; FloatMode: 240
; IeeeMode: 1
; LDSByteSize: 24576 bytes/workgroup (compile time only)
; SGPRBlocks: 5
; VGPRBlocks: 10
; NumSGPRsForWavesPerEU: 46
; NumVGPRsForWavesPerEU: 87
; Occupancy: 10
; WaveLimiterHint : 0
; COMPUTE_PGM_RSRC2:SCRATCH_EN: 0
; COMPUTE_PGM_RSRC2:USER_SGPR: 14
; COMPUTE_PGM_RSRC2:TRAP_HANDLER: 0
; COMPUTE_PGM_RSRC2:TGID_X_EN: 1
; COMPUTE_PGM_RSRC2:TGID_Y_EN: 1
; COMPUTE_PGM_RSRC2:TGID_Z_EN: 0
; COMPUTE_PGM_RSRC2:TIDIG_COMP_CNT: 2
	.section	.text._ZN7rocprim17ROCPRIM_400000_NS6detail17trampoline_kernelINS0_14default_configENS1_36segmented_radix_sort_config_selectorIilEEZNS1_25segmented_radix_sort_implIS3_Lb0EPKiPiPKlPlN2at6native12_GLOBAL__N_18offset_tEEE10hipError_tPvRmT1_PNSt15iterator_traitsISK_E10value_typeET2_T3_PNSL_ISQ_E10value_typeET4_jRbjT5_SW_jjP12ihipStream_tbEUlT_E0_NS1_11comp_targetILNS1_3genE8ELNS1_11target_archE1030ELNS1_3gpuE2ELNS1_3repE0EEENS1_60segmented_radix_sort_warp_sort_medium_config_static_selectorELNS0_4arch9wavefront6targetE0EEEvSK_,"axG",@progbits,_ZN7rocprim17ROCPRIM_400000_NS6detail17trampoline_kernelINS0_14default_configENS1_36segmented_radix_sort_config_selectorIilEEZNS1_25segmented_radix_sort_implIS3_Lb0EPKiPiPKlPlN2at6native12_GLOBAL__N_18offset_tEEE10hipError_tPvRmT1_PNSt15iterator_traitsISK_E10value_typeET2_T3_PNSL_ISQ_E10value_typeET4_jRbjT5_SW_jjP12ihipStream_tbEUlT_E0_NS1_11comp_targetILNS1_3genE8ELNS1_11target_archE1030ELNS1_3gpuE2ELNS1_3repE0EEENS1_60segmented_radix_sort_warp_sort_medium_config_static_selectorELNS0_4arch9wavefront6targetE0EEEvSK_,comdat
	.globl	_ZN7rocprim17ROCPRIM_400000_NS6detail17trampoline_kernelINS0_14default_configENS1_36segmented_radix_sort_config_selectorIilEEZNS1_25segmented_radix_sort_implIS3_Lb0EPKiPiPKlPlN2at6native12_GLOBAL__N_18offset_tEEE10hipError_tPvRmT1_PNSt15iterator_traitsISK_E10value_typeET2_T3_PNSL_ISQ_E10value_typeET4_jRbjT5_SW_jjP12ihipStream_tbEUlT_E0_NS1_11comp_targetILNS1_3genE8ELNS1_11target_archE1030ELNS1_3gpuE2ELNS1_3repE0EEENS1_60segmented_radix_sort_warp_sort_medium_config_static_selectorELNS0_4arch9wavefront6targetE0EEEvSK_ ; -- Begin function _ZN7rocprim17ROCPRIM_400000_NS6detail17trampoline_kernelINS0_14default_configENS1_36segmented_radix_sort_config_selectorIilEEZNS1_25segmented_radix_sort_implIS3_Lb0EPKiPiPKlPlN2at6native12_GLOBAL__N_18offset_tEEE10hipError_tPvRmT1_PNSt15iterator_traitsISK_E10value_typeET2_T3_PNSL_ISQ_E10value_typeET4_jRbjT5_SW_jjP12ihipStream_tbEUlT_E0_NS1_11comp_targetILNS1_3genE8ELNS1_11target_archE1030ELNS1_3gpuE2ELNS1_3repE0EEENS1_60segmented_radix_sort_warp_sort_medium_config_static_selectorELNS0_4arch9wavefront6targetE0EEEvSK_
	.p2align	8
	.type	_ZN7rocprim17ROCPRIM_400000_NS6detail17trampoline_kernelINS0_14default_configENS1_36segmented_radix_sort_config_selectorIilEEZNS1_25segmented_radix_sort_implIS3_Lb0EPKiPiPKlPlN2at6native12_GLOBAL__N_18offset_tEEE10hipError_tPvRmT1_PNSt15iterator_traitsISK_E10value_typeET2_T3_PNSL_ISQ_E10value_typeET4_jRbjT5_SW_jjP12ihipStream_tbEUlT_E0_NS1_11comp_targetILNS1_3genE8ELNS1_11target_archE1030ELNS1_3gpuE2ELNS1_3repE0EEENS1_60segmented_radix_sort_warp_sort_medium_config_static_selectorELNS0_4arch9wavefront6targetE0EEEvSK_,@function
_ZN7rocprim17ROCPRIM_400000_NS6detail17trampoline_kernelINS0_14default_configENS1_36segmented_radix_sort_config_selectorIilEEZNS1_25segmented_radix_sort_implIS3_Lb0EPKiPiPKlPlN2at6native12_GLOBAL__N_18offset_tEEE10hipError_tPvRmT1_PNSt15iterator_traitsISK_E10value_typeET2_T3_PNSL_ISQ_E10value_typeET4_jRbjT5_SW_jjP12ihipStream_tbEUlT_E0_NS1_11comp_targetILNS1_3genE8ELNS1_11target_archE1030ELNS1_3gpuE2ELNS1_3repE0EEENS1_60segmented_radix_sort_warp_sort_medium_config_static_selectorELNS0_4arch9wavefront6targetE0EEEvSK_: ; @_ZN7rocprim17ROCPRIM_400000_NS6detail17trampoline_kernelINS0_14default_configENS1_36segmented_radix_sort_config_selectorIilEEZNS1_25segmented_radix_sort_implIS3_Lb0EPKiPiPKlPlN2at6native12_GLOBAL__N_18offset_tEEE10hipError_tPvRmT1_PNSt15iterator_traitsISK_E10value_typeET2_T3_PNSL_ISQ_E10value_typeET4_jRbjT5_SW_jjP12ihipStream_tbEUlT_E0_NS1_11comp_targetILNS1_3genE8ELNS1_11target_archE1030ELNS1_3gpuE2ELNS1_3repE0EEENS1_60segmented_radix_sort_warp_sort_medium_config_static_selectorELNS0_4arch9wavefront6targetE0EEEvSK_
; %bb.0:
	.section	.rodata,"a",@progbits
	.p2align	6, 0x0
	.amdhsa_kernel _ZN7rocprim17ROCPRIM_400000_NS6detail17trampoline_kernelINS0_14default_configENS1_36segmented_radix_sort_config_selectorIilEEZNS1_25segmented_radix_sort_implIS3_Lb0EPKiPiPKlPlN2at6native12_GLOBAL__N_18offset_tEEE10hipError_tPvRmT1_PNSt15iterator_traitsISK_E10value_typeET2_T3_PNSL_ISQ_E10value_typeET4_jRbjT5_SW_jjP12ihipStream_tbEUlT_E0_NS1_11comp_targetILNS1_3genE8ELNS1_11target_archE1030ELNS1_3gpuE2ELNS1_3repE0EEENS1_60segmented_radix_sort_warp_sort_medium_config_static_selectorELNS0_4arch9wavefront6targetE0EEEvSK_
		.amdhsa_group_segment_fixed_size 0
		.amdhsa_private_segment_fixed_size 0
		.amdhsa_kernarg_size 88
		.amdhsa_user_sgpr_count 15
		.amdhsa_user_sgpr_dispatch_ptr 0
		.amdhsa_user_sgpr_queue_ptr 0
		.amdhsa_user_sgpr_kernarg_segment_ptr 1
		.amdhsa_user_sgpr_dispatch_id 0
		.amdhsa_user_sgpr_private_segment_size 0
		.amdhsa_wavefront_size32 1
		.amdhsa_uses_dynamic_stack 0
		.amdhsa_enable_private_segment 0
		.amdhsa_system_sgpr_workgroup_id_x 1
		.amdhsa_system_sgpr_workgroup_id_y 0
		.amdhsa_system_sgpr_workgroup_id_z 0
		.amdhsa_system_sgpr_workgroup_info 0
		.amdhsa_system_vgpr_workitem_id 0
		.amdhsa_next_free_vgpr 1
		.amdhsa_next_free_sgpr 1
		.amdhsa_reserve_vcc 0
		.amdhsa_float_round_mode_32 0
		.amdhsa_float_round_mode_16_64 0
		.amdhsa_float_denorm_mode_32 3
		.amdhsa_float_denorm_mode_16_64 3
		.amdhsa_dx10_clamp 1
		.amdhsa_ieee_mode 1
		.amdhsa_fp16_overflow 0
		.amdhsa_workgroup_processor_mode 1
		.amdhsa_memory_ordered 1
		.amdhsa_forward_progress 0
		.amdhsa_shared_vgpr_count 0
		.amdhsa_exception_fp_ieee_invalid_op 0
		.amdhsa_exception_fp_denorm_src 0
		.amdhsa_exception_fp_ieee_div_zero 0
		.amdhsa_exception_fp_ieee_overflow 0
		.amdhsa_exception_fp_ieee_underflow 0
		.amdhsa_exception_fp_ieee_inexact 0
		.amdhsa_exception_int_div_zero 0
	.end_amdhsa_kernel
	.section	.text._ZN7rocprim17ROCPRIM_400000_NS6detail17trampoline_kernelINS0_14default_configENS1_36segmented_radix_sort_config_selectorIilEEZNS1_25segmented_radix_sort_implIS3_Lb0EPKiPiPKlPlN2at6native12_GLOBAL__N_18offset_tEEE10hipError_tPvRmT1_PNSt15iterator_traitsISK_E10value_typeET2_T3_PNSL_ISQ_E10value_typeET4_jRbjT5_SW_jjP12ihipStream_tbEUlT_E0_NS1_11comp_targetILNS1_3genE8ELNS1_11target_archE1030ELNS1_3gpuE2ELNS1_3repE0EEENS1_60segmented_radix_sort_warp_sort_medium_config_static_selectorELNS0_4arch9wavefront6targetE0EEEvSK_,"axG",@progbits,_ZN7rocprim17ROCPRIM_400000_NS6detail17trampoline_kernelINS0_14default_configENS1_36segmented_radix_sort_config_selectorIilEEZNS1_25segmented_radix_sort_implIS3_Lb0EPKiPiPKlPlN2at6native12_GLOBAL__N_18offset_tEEE10hipError_tPvRmT1_PNSt15iterator_traitsISK_E10value_typeET2_T3_PNSL_ISQ_E10value_typeET4_jRbjT5_SW_jjP12ihipStream_tbEUlT_E0_NS1_11comp_targetILNS1_3genE8ELNS1_11target_archE1030ELNS1_3gpuE2ELNS1_3repE0EEENS1_60segmented_radix_sort_warp_sort_medium_config_static_selectorELNS0_4arch9wavefront6targetE0EEEvSK_,comdat
.Lfunc_end619:
	.size	_ZN7rocprim17ROCPRIM_400000_NS6detail17trampoline_kernelINS0_14default_configENS1_36segmented_radix_sort_config_selectorIilEEZNS1_25segmented_radix_sort_implIS3_Lb0EPKiPiPKlPlN2at6native12_GLOBAL__N_18offset_tEEE10hipError_tPvRmT1_PNSt15iterator_traitsISK_E10value_typeET2_T3_PNSL_ISQ_E10value_typeET4_jRbjT5_SW_jjP12ihipStream_tbEUlT_E0_NS1_11comp_targetILNS1_3genE8ELNS1_11target_archE1030ELNS1_3gpuE2ELNS1_3repE0EEENS1_60segmented_radix_sort_warp_sort_medium_config_static_selectorELNS0_4arch9wavefront6targetE0EEEvSK_, .Lfunc_end619-_ZN7rocprim17ROCPRIM_400000_NS6detail17trampoline_kernelINS0_14default_configENS1_36segmented_radix_sort_config_selectorIilEEZNS1_25segmented_radix_sort_implIS3_Lb0EPKiPiPKlPlN2at6native12_GLOBAL__N_18offset_tEEE10hipError_tPvRmT1_PNSt15iterator_traitsISK_E10value_typeET2_T3_PNSL_ISQ_E10value_typeET4_jRbjT5_SW_jjP12ihipStream_tbEUlT_E0_NS1_11comp_targetILNS1_3genE8ELNS1_11target_archE1030ELNS1_3gpuE2ELNS1_3repE0EEENS1_60segmented_radix_sort_warp_sort_medium_config_static_selectorELNS0_4arch9wavefront6targetE0EEEvSK_
                                        ; -- End function
	.section	.AMDGPU.csdata,"",@progbits
; Kernel info:
; codeLenInByte = 0
; NumSgprs: 0
; NumVgprs: 0
; ScratchSize: 0
; MemoryBound: 0
; FloatMode: 240
; IeeeMode: 1
; LDSByteSize: 0 bytes/workgroup (compile time only)
; SGPRBlocks: 0
; VGPRBlocks: 0
; NumSGPRsForWavesPerEU: 1
; NumVGPRsForWavesPerEU: 1
; Occupancy: 16
; WaveLimiterHint : 0
; COMPUTE_PGM_RSRC2:SCRATCH_EN: 0
; COMPUTE_PGM_RSRC2:USER_SGPR: 15
; COMPUTE_PGM_RSRC2:TRAP_HANDLER: 0
; COMPUTE_PGM_RSRC2:TGID_X_EN: 1
; COMPUTE_PGM_RSRC2:TGID_Y_EN: 0
; COMPUTE_PGM_RSRC2:TGID_Z_EN: 0
; COMPUTE_PGM_RSRC2:TIDIG_COMP_CNT: 0
	.section	.text._ZN7rocprim17ROCPRIM_400000_NS6detail17trampoline_kernelINS0_14default_configENS1_36segmented_radix_sort_config_selectorIilEEZNS1_25segmented_radix_sort_implIS3_Lb0EPKiPiPKlPlN2at6native12_GLOBAL__N_18offset_tEEE10hipError_tPvRmT1_PNSt15iterator_traitsISK_E10value_typeET2_T3_PNSL_ISQ_E10value_typeET4_jRbjT5_SW_jjP12ihipStream_tbEUlT_E1_NS1_11comp_targetILNS1_3genE0ELNS1_11target_archE4294967295ELNS1_3gpuE0ELNS1_3repE0EEENS1_59segmented_radix_sort_warp_sort_small_config_static_selectorELNS0_4arch9wavefront6targetE0EEEvSK_,"axG",@progbits,_ZN7rocprim17ROCPRIM_400000_NS6detail17trampoline_kernelINS0_14default_configENS1_36segmented_radix_sort_config_selectorIilEEZNS1_25segmented_radix_sort_implIS3_Lb0EPKiPiPKlPlN2at6native12_GLOBAL__N_18offset_tEEE10hipError_tPvRmT1_PNSt15iterator_traitsISK_E10value_typeET2_T3_PNSL_ISQ_E10value_typeET4_jRbjT5_SW_jjP12ihipStream_tbEUlT_E1_NS1_11comp_targetILNS1_3genE0ELNS1_11target_archE4294967295ELNS1_3gpuE0ELNS1_3repE0EEENS1_59segmented_radix_sort_warp_sort_small_config_static_selectorELNS0_4arch9wavefront6targetE0EEEvSK_,comdat
	.globl	_ZN7rocprim17ROCPRIM_400000_NS6detail17trampoline_kernelINS0_14default_configENS1_36segmented_radix_sort_config_selectorIilEEZNS1_25segmented_radix_sort_implIS3_Lb0EPKiPiPKlPlN2at6native12_GLOBAL__N_18offset_tEEE10hipError_tPvRmT1_PNSt15iterator_traitsISK_E10value_typeET2_T3_PNSL_ISQ_E10value_typeET4_jRbjT5_SW_jjP12ihipStream_tbEUlT_E1_NS1_11comp_targetILNS1_3genE0ELNS1_11target_archE4294967295ELNS1_3gpuE0ELNS1_3repE0EEENS1_59segmented_radix_sort_warp_sort_small_config_static_selectorELNS0_4arch9wavefront6targetE0EEEvSK_ ; -- Begin function _ZN7rocprim17ROCPRIM_400000_NS6detail17trampoline_kernelINS0_14default_configENS1_36segmented_radix_sort_config_selectorIilEEZNS1_25segmented_radix_sort_implIS3_Lb0EPKiPiPKlPlN2at6native12_GLOBAL__N_18offset_tEEE10hipError_tPvRmT1_PNSt15iterator_traitsISK_E10value_typeET2_T3_PNSL_ISQ_E10value_typeET4_jRbjT5_SW_jjP12ihipStream_tbEUlT_E1_NS1_11comp_targetILNS1_3genE0ELNS1_11target_archE4294967295ELNS1_3gpuE0ELNS1_3repE0EEENS1_59segmented_radix_sort_warp_sort_small_config_static_selectorELNS0_4arch9wavefront6targetE0EEEvSK_
	.p2align	8
	.type	_ZN7rocprim17ROCPRIM_400000_NS6detail17trampoline_kernelINS0_14default_configENS1_36segmented_radix_sort_config_selectorIilEEZNS1_25segmented_radix_sort_implIS3_Lb0EPKiPiPKlPlN2at6native12_GLOBAL__N_18offset_tEEE10hipError_tPvRmT1_PNSt15iterator_traitsISK_E10value_typeET2_T3_PNSL_ISQ_E10value_typeET4_jRbjT5_SW_jjP12ihipStream_tbEUlT_E1_NS1_11comp_targetILNS1_3genE0ELNS1_11target_archE4294967295ELNS1_3gpuE0ELNS1_3repE0EEENS1_59segmented_radix_sort_warp_sort_small_config_static_selectorELNS0_4arch9wavefront6targetE0EEEvSK_,@function
_ZN7rocprim17ROCPRIM_400000_NS6detail17trampoline_kernelINS0_14default_configENS1_36segmented_radix_sort_config_selectorIilEEZNS1_25segmented_radix_sort_implIS3_Lb0EPKiPiPKlPlN2at6native12_GLOBAL__N_18offset_tEEE10hipError_tPvRmT1_PNSt15iterator_traitsISK_E10value_typeET2_T3_PNSL_ISQ_E10value_typeET4_jRbjT5_SW_jjP12ihipStream_tbEUlT_E1_NS1_11comp_targetILNS1_3genE0ELNS1_11target_archE4294967295ELNS1_3gpuE0ELNS1_3repE0EEENS1_59segmented_radix_sort_warp_sort_small_config_static_selectorELNS0_4arch9wavefront6targetE0EEEvSK_: ; @_ZN7rocprim17ROCPRIM_400000_NS6detail17trampoline_kernelINS0_14default_configENS1_36segmented_radix_sort_config_selectorIilEEZNS1_25segmented_radix_sort_implIS3_Lb0EPKiPiPKlPlN2at6native12_GLOBAL__N_18offset_tEEE10hipError_tPvRmT1_PNSt15iterator_traitsISK_E10value_typeET2_T3_PNSL_ISQ_E10value_typeET4_jRbjT5_SW_jjP12ihipStream_tbEUlT_E1_NS1_11comp_targetILNS1_3genE0ELNS1_11target_archE4294967295ELNS1_3gpuE0ELNS1_3repE0EEENS1_59segmented_radix_sort_warp_sort_small_config_static_selectorELNS0_4arch9wavefront6targetE0EEEvSK_
; %bb.0:
	.section	.rodata,"a",@progbits
	.p2align	6, 0x0
	.amdhsa_kernel _ZN7rocprim17ROCPRIM_400000_NS6detail17trampoline_kernelINS0_14default_configENS1_36segmented_radix_sort_config_selectorIilEEZNS1_25segmented_radix_sort_implIS3_Lb0EPKiPiPKlPlN2at6native12_GLOBAL__N_18offset_tEEE10hipError_tPvRmT1_PNSt15iterator_traitsISK_E10value_typeET2_T3_PNSL_ISQ_E10value_typeET4_jRbjT5_SW_jjP12ihipStream_tbEUlT_E1_NS1_11comp_targetILNS1_3genE0ELNS1_11target_archE4294967295ELNS1_3gpuE0ELNS1_3repE0EEENS1_59segmented_radix_sort_warp_sort_small_config_static_selectorELNS0_4arch9wavefront6targetE0EEEvSK_
		.amdhsa_group_segment_fixed_size 0
		.amdhsa_private_segment_fixed_size 0
		.amdhsa_kernarg_size 88
		.amdhsa_user_sgpr_count 15
		.amdhsa_user_sgpr_dispatch_ptr 0
		.amdhsa_user_sgpr_queue_ptr 0
		.amdhsa_user_sgpr_kernarg_segment_ptr 1
		.amdhsa_user_sgpr_dispatch_id 0
		.amdhsa_user_sgpr_private_segment_size 0
		.amdhsa_wavefront_size32 1
		.amdhsa_uses_dynamic_stack 0
		.amdhsa_enable_private_segment 0
		.amdhsa_system_sgpr_workgroup_id_x 1
		.amdhsa_system_sgpr_workgroup_id_y 0
		.amdhsa_system_sgpr_workgroup_id_z 0
		.amdhsa_system_sgpr_workgroup_info 0
		.amdhsa_system_vgpr_workitem_id 0
		.amdhsa_next_free_vgpr 1
		.amdhsa_next_free_sgpr 1
		.amdhsa_reserve_vcc 0
		.amdhsa_float_round_mode_32 0
		.amdhsa_float_round_mode_16_64 0
		.amdhsa_float_denorm_mode_32 3
		.amdhsa_float_denorm_mode_16_64 3
		.amdhsa_dx10_clamp 1
		.amdhsa_ieee_mode 1
		.amdhsa_fp16_overflow 0
		.amdhsa_workgroup_processor_mode 1
		.amdhsa_memory_ordered 1
		.amdhsa_forward_progress 0
		.amdhsa_shared_vgpr_count 0
		.amdhsa_exception_fp_ieee_invalid_op 0
		.amdhsa_exception_fp_denorm_src 0
		.amdhsa_exception_fp_ieee_div_zero 0
		.amdhsa_exception_fp_ieee_overflow 0
		.amdhsa_exception_fp_ieee_underflow 0
		.amdhsa_exception_fp_ieee_inexact 0
		.amdhsa_exception_int_div_zero 0
	.end_amdhsa_kernel
	.section	.text._ZN7rocprim17ROCPRIM_400000_NS6detail17trampoline_kernelINS0_14default_configENS1_36segmented_radix_sort_config_selectorIilEEZNS1_25segmented_radix_sort_implIS3_Lb0EPKiPiPKlPlN2at6native12_GLOBAL__N_18offset_tEEE10hipError_tPvRmT1_PNSt15iterator_traitsISK_E10value_typeET2_T3_PNSL_ISQ_E10value_typeET4_jRbjT5_SW_jjP12ihipStream_tbEUlT_E1_NS1_11comp_targetILNS1_3genE0ELNS1_11target_archE4294967295ELNS1_3gpuE0ELNS1_3repE0EEENS1_59segmented_radix_sort_warp_sort_small_config_static_selectorELNS0_4arch9wavefront6targetE0EEEvSK_,"axG",@progbits,_ZN7rocprim17ROCPRIM_400000_NS6detail17trampoline_kernelINS0_14default_configENS1_36segmented_radix_sort_config_selectorIilEEZNS1_25segmented_radix_sort_implIS3_Lb0EPKiPiPKlPlN2at6native12_GLOBAL__N_18offset_tEEE10hipError_tPvRmT1_PNSt15iterator_traitsISK_E10value_typeET2_T3_PNSL_ISQ_E10value_typeET4_jRbjT5_SW_jjP12ihipStream_tbEUlT_E1_NS1_11comp_targetILNS1_3genE0ELNS1_11target_archE4294967295ELNS1_3gpuE0ELNS1_3repE0EEENS1_59segmented_radix_sort_warp_sort_small_config_static_selectorELNS0_4arch9wavefront6targetE0EEEvSK_,comdat
.Lfunc_end620:
	.size	_ZN7rocprim17ROCPRIM_400000_NS6detail17trampoline_kernelINS0_14default_configENS1_36segmented_radix_sort_config_selectorIilEEZNS1_25segmented_radix_sort_implIS3_Lb0EPKiPiPKlPlN2at6native12_GLOBAL__N_18offset_tEEE10hipError_tPvRmT1_PNSt15iterator_traitsISK_E10value_typeET2_T3_PNSL_ISQ_E10value_typeET4_jRbjT5_SW_jjP12ihipStream_tbEUlT_E1_NS1_11comp_targetILNS1_3genE0ELNS1_11target_archE4294967295ELNS1_3gpuE0ELNS1_3repE0EEENS1_59segmented_radix_sort_warp_sort_small_config_static_selectorELNS0_4arch9wavefront6targetE0EEEvSK_, .Lfunc_end620-_ZN7rocprim17ROCPRIM_400000_NS6detail17trampoline_kernelINS0_14default_configENS1_36segmented_radix_sort_config_selectorIilEEZNS1_25segmented_radix_sort_implIS3_Lb0EPKiPiPKlPlN2at6native12_GLOBAL__N_18offset_tEEE10hipError_tPvRmT1_PNSt15iterator_traitsISK_E10value_typeET2_T3_PNSL_ISQ_E10value_typeET4_jRbjT5_SW_jjP12ihipStream_tbEUlT_E1_NS1_11comp_targetILNS1_3genE0ELNS1_11target_archE4294967295ELNS1_3gpuE0ELNS1_3repE0EEENS1_59segmented_radix_sort_warp_sort_small_config_static_selectorELNS0_4arch9wavefront6targetE0EEEvSK_
                                        ; -- End function
	.section	.AMDGPU.csdata,"",@progbits
; Kernel info:
; codeLenInByte = 0
; NumSgprs: 0
; NumVgprs: 0
; ScratchSize: 0
; MemoryBound: 0
; FloatMode: 240
; IeeeMode: 1
; LDSByteSize: 0 bytes/workgroup (compile time only)
; SGPRBlocks: 0
; VGPRBlocks: 0
; NumSGPRsForWavesPerEU: 1
; NumVGPRsForWavesPerEU: 1
; Occupancy: 16
; WaveLimiterHint : 0
; COMPUTE_PGM_RSRC2:SCRATCH_EN: 0
; COMPUTE_PGM_RSRC2:USER_SGPR: 15
; COMPUTE_PGM_RSRC2:TRAP_HANDLER: 0
; COMPUTE_PGM_RSRC2:TGID_X_EN: 1
; COMPUTE_PGM_RSRC2:TGID_Y_EN: 0
; COMPUTE_PGM_RSRC2:TGID_Z_EN: 0
; COMPUTE_PGM_RSRC2:TIDIG_COMP_CNT: 0
	.section	.text._ZN7rocprim17ROCPRIM_400000_NS6detail17trampoline_kernelINS0_14default_configENS1_36segmented_radix_sort_config_selectorIilEEZNS1_25segmented_radix_sort_implIS3_Lb0EPKiPiPKlPlN2at6native12_GLOBAL__N_18offset_tEEE10hipError_tPvRmT1_PNSt15iterator_traitsISK_E10value_typeET2_T3_PNSL_ISQ_E10value_typeET4_jRbjT5_SW_jjP12ihipStream_tbEUlT_E1_NS1_11comp_targetILNS1_3genE5ELNS1_11target_archE942ELNS1_3gpuE9ELNS1_3repE0EEENS1_59segmented_radix_sort_warp_sort_small_config_static_selectorELNS0_4arch9wavefront6targetE0EEEvSK_,"axG",@progbits,_ZN7rocprim17ROCPRIM_400000_NS6detail17trampoline_kernelINS0_14default_configENS1_36segmented_radix_sort_config_selectorIilEEZNS1_25segmented_radix_sort_implIS3_Lb0EPKiPiPKlPlN2at6native12_GLOBAL__N_18offset_tEEE10hipError_tPvRmT1_PNSt15iterator_traitsISK_E10value_typeET2_T3_PNSL_ISQ_E10value_typeET4_jRbjT5_SW_jjP12ihipStream_tbEUlT_E1_NS1_11comp_targetILNS1_3genE5ELNS1_11target_archE942ELNS1_3gpuE9ELNS1_3repE0EEENS1_59segmented_radix_sort_warp_sort_small_config_static_selectorELNS0_4arch9wavefront6targetE0EEEvSK_,comdat
	.globl	_ZN7rocprim17ROCPRIM_400000_NS6detail17trampoline_kernelINS0_14default_configENS1_36segmented_radix_sort_config_selectorIilEEZNS1_25segmented_radix_sort_implIS3_Lb0EPKiPiPKlPlN2at6native12_GLOBAL__N_18offset_tEEE10hipError_tPvRmT1_PNSt15iterator_traitsISK_E10value_typeET2_T3_PNSL_ISQ_E10value_typeET4_jRbjT5_SW_jjP12ihipStream_tbEUlT_E1_NS1_11comp_targetILNS1_3genE5ELNS1_11target_archE942ELNS1_3gpuE9ELNS1_3repE0EEENS1_59segmented_radix_sort_warp_sort_small_config_static_selectorELNS0_4arch9wavefront6targetE0EEEvSK_ ; -- Begin function _ZN7rocprim17ROCPRIM_400000_NS6detail17trampoline_kernelINS0_14default_configENS1_36segmented_radix_sort_config_selectorIilEEZNS1_25segmented_radix_sort_implIS3_Lb0EPKiPiPKlPlN2at6native12_GLOBAL__N_18offset_tEEE10hipError_tPvRmT1_PNSt15iterator_traitsISK_E10value_typeET2_T3_PNSL_ISQ_E10value_typeET4_jRbjT5_SW_jjP12ihipStream_tbEUlT_E1_NS1_11comp_targetILNS1_3genE5ELNS1_11target_archE942ELNS1_3gpuE9ELNS1_3repE0EEENS1_59segmented_radix_sort_warp_sort_small_config_static_selectorELNS0_4arch9wavefront6targetE0EEEvSK_
	.p2align	8
	.type	_ZN7rocprim17ROCPRIM_400000_NS6detail17trampoline_kernelINS0_14default_configENS1_36segmented_radix_sort_config_selectorIilEEZNS1_25segmented_radix_sort_implIS3_Lb0EPKiPiPKlPlN2at6native12_GLOBAL__N_18offset_tEEE10hipError_tPvRmT1_PNSt15iterator_traitsISK_E10value_typeET2_T3_PNSL_ISQ_E10value_typeET4_jRbjT5_SW_jjP12ihipStream_tbEUlT_E1_NS1_11comp_targetILNS1_3genE5ELNS1_11target_archE942ELNS1_3gpuE9ELNS1_3repE0EEENS1_59segmented_radix_sort_warp_sort_small_config_static_selectorELNS0_4arch9wavefront6targetE0EEEvSK_,@function
_ZN7rocprim17ROCPRIM_400000_NS6detail17trampoline_kernelINS0_14default_configENS1_36segmented_radix_sort_config_selectorIilEEZNS1_25segmented_radix_sort_implIS3_Lb0EPKiPiPKlPlN2at6native12_GLOBAL__N_18offset_tEEE10hipError_tPvRmT1_PNSt15iterator_traitsISK_E10value_typeET2_T3_PNSL_ISQ_E10value_typeET4_jRbjT5_SW_jjP12ihipStream_tbEUlT_E1_NS1_11comp_targetILNS1_3genE5ELNS1_11target_archE942ELNS1_3gpuE9ELNS1_3repE0EEENS1_59segmented_radix_sort_warp_sort_small_config_static_selectorELNS0_4arch9wavefront6targetE0EEEvSK_: ; @_ZN7rocprim17ROCPRIM_400000_NS6detail17trampoline_kernelINS0_14default_configENS1_36segmented_radix_sort_config_selectorIilEEZNS1_25segmented_radix_sort_implIS3_Lb0EPKiPiPKlPlN2at6native12_GLOBAL__N_18offset_tEEE10hipError_tPvRmT1_PNSt15iterator_traitsISK_E10value_typeET2_T3_PNSL_ISQ_E10value_typeET4_jRbjT5_SW_jjP12ihipStream_tbEUlT_E1_NS1_11comp_targetILNS1_3genE5ELNS1_11target_archE942ELNS1_3gpuE9ELNS1_3repE0EEENS1_59segmented_radix_sort_warp_sort_small_config_static_selectorELNS0_4arch9wavefront6targetE0EEEvSK_
; %bb.0:
	.section	.rodata,"a",@progbits
	.p2align	6, 0x0
	.amdhsa_kernel _ZN7rocprim17ROCPRIM_400000_NS6detail17trampoline_kernelINS0_14default_configENS1_36segmented_radix_sort_config_selectorIilEEZNS1_25segmented_radix_sort_implIS3_Lb0EPKiPiPKlPlN2at6native12_GLOBAL__N_18offset_tEEE10hipError_tPvRmT1_PNSt15iterator_traitsISK_E10value_typeET2_T3_PNSL_ISQ_E10value_typeET4_jRbjT5_SW_jjP12ihipStream_tbEUlT_E1_NS1_11comp_targetILNS1_3genE5ELNS1_11target_archE942ELNS1_3gpuE9ELNS1_3repE0EEENS1_59segmented_radix_sort_warp_sort_small_config_static_selectorELNS0_4arch9wavefront6targetE0EEEvSK_
		.amdhsa_group_segment_fixed_size 0
		.amdhsa_private_segment_fixed_size 0
		.amdhsa_kernarg_size 88
		.amdhsa_user_sgpr_count 15
		.amdhsa_user_sgpr_dispatch_ptr 0
		.amdhsa_user_sgpr_queue_ptr 0
		.amdhsa_user_sgpr_kernarg_segment_ptr 1
		.amdhsa_user_sgpr_dispatch_id 0
		.amdhsa_user_sgpr_private_segment_size 0
		.amdhsa_wavefront_size32 1
		.amdhsa_uses_dynamic_stack 0
		.amdhsa_enable_private_segment 0
		.amdhsa_system_sgpr_workgroup_id_x 1
		.amdhsa_system_sgpr_workgroup_id_y 0
		.amdhsa_system_sgpr_workgroup_id_z 0
		.amdhsa_system_sgpr_workgroup_info 0
		.amdhsa_system_vgpr_workitem_id 0
		.amdhsa_next_free_vgpr 1
		.amdhsa_next_free_sgpr 1
		.amdhsa_reserve_vcc 0
		.amdhsa_float_round_mode_32 0
		.amdhsa_float_round_mode_16_64 0
		.amdhsa_float_denorm_mode_32 3
		.amdhsa_float_denorm_mode_16_64 3
		.amdhsa_dx10_clamp 1
		.amdhsa_ieee_mode 1
		.amdhsa_fp16_overflow 0
		.amdhsa_workgroup_processor_mode 1
		.amdhsa_memory_ordered 1
		.amdhsa_forward_progress 0
		.amdhsa_shared_vgpr_count 0
		.amdhsa_exception_fp_ieee_invalid_op 0
		.amdhsa_exception_fp_denorm_src 0
		.amdhsa_exception_fp_ieee_div_zero 0
		.amdhsa_exception_fp_ieee_overflow 0
		.amdhsa_exception_fp_ieee_underflow 0
		.amdhsa_exception_fp_ieee_inexact 0
		.amdhsa_exception_int_div_zero 0
	.end_amdhsa_kernel
	.section	.text._ZN7rocprim17ROCPRIM_400000_NS6detail17trampoline_kernelINS0_14default_configENS1_36segmented_radix_sort_config_selectorIilEEZNS1_25segmented_radix_sort_implIS3_Lb0EPKiPiPKlPlN2at6native12_GLOBAL__N_18offset_tEEE10hipError_tPvRmT1_PNSt15iterator_traitsISK_E10value_typeET2_T3_PNSL_ISQ_E10value_typeET4_jRbjT5_SW_jjP12ihipStream_tbEUlT_E1_NS1_11comp_targetILNS1_3genE5ELNS1_11target_archE942ELNS1_3gpuE9ELNS1_3repE0EEENS1_59segmented_radix_sort_warp_sort_small_config_static_selectorELNS0_4arch9wavefront6targetE0EEEvSK_,"axG",@progbits,_ZN7rocprim17ROCPRIM_400000_NS6detail17trampoline_kernelINS0_14default_configENS1_36segmented_radix_sort_config_selectorIilEEZNS1_25segmented_radix_sort_implIS3_Lb0EPKiPiPKlPlN2at6native12_GLOBAL__N_18offset_tEEE10hipError_tPvRmT1_PNSt15iterator_traitsISK_E10value_typeET2_T3_PNSL_ISQ_E10value_typeET4_jRbjT5_SW_jjP12ihipStream_tbEUlT_E1_NS1_11comp_targetILNS1_3genE5ELNS1_11target_archE942ELNS1_3gpuE9ELNS1_3repE0EEENS1_59segmented_radix_sort_warp_sort_small_config_static_selectorELNS0_4arch9wavefront6targetE0EEEvSK_,comdat
.Lfunc_end621:
	.size	_ZN7rocprim17ROCPRIM_400000_NS6detail17trampoline_kernelINS0_14default_configENS1_36segmented_radix_sort_config_selectorIilEEZNS1_25segmented_radix_sort_implIS3_Lb0EPKiPiPKlPlN2at6native12_GLOBAL__N_18offset_tEEE10hipError_tPvRmT1_PNSt15iterator_traitsISK_E10value_typeET2_T3_PNSL_ISQ_E10value_typeET4_jRbjT5_SW_jjP12ihipStream_tbEUlT_E1_NS1_11comp_targetILNS1_3genE5ELNS1_11target_archE942ELNS1_3gpuE9ELNS1_3repE0EEENS1_59segmented_radix_sort_warp_sort_small_config_static_selectorELNS0_4arch9wavefront6targetE0EEEvSK_, .Lfunc_end621-_ZN7rocprim17ROCPRIM_400000_NS6detail17trampoline_kernelINS0_14default_configENS1_36segmented_radix_sort_config_selectorIilEEZNS1_25segmented_radix_sort_implIS3_Lb0EPKiPiPKlPlN2at6native12_GLOBAL__N_18offset_tEEE10hipError_tPvRmT1_PNSt15iterator_traitsISK_E10value_typeET2_T3_PNSL_ISQ_E10value_typeET4_jRbjT5_SW_jjP12ihipStream_tbEUlT_E1_NS1_11comp_targetILNS1_3genE5ELNS1_11target_archE942ELNS1_3gpuE9ELNS1_3repE0EEENS1_59segmented_radix_sort_warp_sort_small_config_static_selectorELNS0_4arch9wavefront6targetE0EEEvSK_
                                        ; -- End function
	.section	.AMDGPU.csdata,"",@progbits
; Kernel info:
; codeLenInByte = 0
; NumSgprs: 0
; NumVgprs: 0
; ScratchSize: 0
; MemoryBound: 0
; FloatMode: 240
; IeeeMode: 1
; LDSByteSize: 0 bytes/workgroup (compile time only)
; SGPRBlocks: 0
; VGPRBlocks: 0
; NumSGPRsForWavesPerEU: 1
; NumVGPRsForWavesPerEU: 1
; Occupancy: 16
; WaveLimiterHint : 0
; COMPUTE_PGM_RSRC2:SCRATCH_EN: 0
; COMPUTE_PGM_RSRC2:USER_SGPR: 15
; COMPUTE_PGM_RSRC2:TRAP_HANDLER: 0
; COMPUTE_PGM_RSRC2:TGID_X_EN: 1
; COMPUTE_PGM_RSRC2:TGID_Y_EN: 0
; COMPUTE_PGM_RSRC2:TGID_Z_EN: 0
; COMPUTE_PGM_RSRC2:TIDIG_COMP_CNT: 0
	.section	.text._ZN7rocprim17ROCPRIM_400000_NS6detail17trampoline_kernelINS0_14default_configENS1_36segmented_radix_sort_config_selectorIilEEZNS1_25segmented_radix_sort_implIS3_Lb0EPKiPiPKlPlN2at6native12_GLOBAL__N_18offset_tEEE10hipError_tPvRmT1_PNSt15iterator_traitsISK_E10value_typeET2_T3_PNSL_ISQ_E10value_typeET4_jRbjT5_SW_jjP12ihipStream_tbEUlT_E1_NS1_11comp_targetILNS1_3genE4ELNS1_11target_archE910ELNS1_3gpuE8ELNS1_3repE0EEENS1_59segmented_radix_sort_warp_sort_small_config_static_selectorELNS0_4arch9wavefront6targetE0EEEvSK_,"axG",@progbits,_ZN7rocprim17ROCPRIM_400000_NS6detail17trampoline_kernelINS0_14default_configENS1_36segmented_radix_sort_config_selectorIilEEZNS1_25segmented_radix_sort_implIS3_Lb0EPKiPiPKlPlN2at6native12_GLOBAL__N_18offset_tEEE10hipError_tPvRmT1_PNSt15iterator_traitsISK_E10value_typeET2_T3_PNSL_ISQ_E10value_typeET4_jRbjT5_SW_jjP12ihipStream_tbEUlT_E1_NS1_11comp_targetILNS1_3genE4ELNS1_11target_archE910ELNS1_3gpuE8ELNS1_3repE0EEENS1_59segmented_radix_sort_warp_sort_small_config_static_selectorELNS0_4arch9wavefront6targetE0EEEvSK_,comdat
	.globl	_ZN7rocprim17ROCPRIM_400000_NS6detail17trampoline_kernelINS0_14default_configENS1_36segmented_radix_sort_config_selectorIilEEZNS1_25segmented_radix_sort_implIS3_Lb0EPKiPiPKlPlN2at6native12_GLOBAL__N_18offset_tEEE10hipError_tPvRmT1_PNSt15iterator_traitsISK_E10value_typeET2_T3_PNSL_ISQ_E10value_typeET4_jRbjT5_SW_jjP12ihipStream_tbEUlT_E1_NS1_11comp_targetILNS1_3genE4ELNS1_11target_archE910ELNS1_3gpuE8ELNS1_3repE0EEENS1_59segmented_radix_sort_warp_sort_small_config_static_selectorELNS0_4arch9wavefront6targetE0EEEvSK_ ; -- Begin function _ZN7rocprim17ROCPRIM_400000_NS6detail17trampoline_kernelINS0_14default_configENS1_36segmented_radix_sort_config_selectorIilEEZNS1_25segmented_radix_sort_implIS3_Lb0EPKiPiPKlPlN2at6native12_GLOBAL__N_18offset_tEEE10hipError_tPvRmT1_PNSt15iterator_traitsISK_E10value_typeET2_T3_PNSL_ISQ_E10value_typeET4_jRbjT5_SW_jjP12ihipStream_tbEUlT_E1_NS1_11comp_targetILNS1_3genE4ELNS1_11target_archE910ELNS1_3gpuE8ELNS1_3repE0EEENS1_59segmented_radix_sort_warp_sort_small_config_static_selectorELNS0_4arch9wavefront6targetE0EEEvSK_
	.p2align	8
	.type	_ZN7rocprim17ROCPRIM_400000_NS6detail17trampoline_kernelINS0_14default_configENS1_36segmented_radix_sort_config_selectorIilEEZNS1_25segmented_radix_sort_implIS3_Lb0EPKiPiPKlPlN2at6native12_GLOBAL__N_18offset_tEEE10hipError_tPvRmT1_PNSt15iterator_traitsISK_E10value_typeET2_T3_PNSL_ISQ_E10value_typeET4_jRbjT5_SW_jjP12ihipStream_tbEUlT_E1_NS1_11comp_targetILNS1_3genE4ELNS1_11target_archE910ELNS1_3gpuE8ELNS1_3repE0EEENS1_59segmented_radix_sort_warp_sort_small_config_static_selectorELNS0_4arch9wavefront6targetE0EEEvSK_,@function
_ZN7rocprim17ROCPRIM_400000_NS6detail17trampoline_kernelINS0_14default_configENS1_36segmented_radix_sort_config_selectorIilEEZNS1_25segmented_radix_sort_implIS3_Lb0EPKiPiPKlPlN2at6native12_GLOBAL__N_18offset_tEEE10hipError_tPvRmT1_PNSt15iterator_traitsISK_E10value_typeET2_T3_PNSL_ISQ_E10value_typeET4_jRbjT5_SW_jjP12ihipStream_tbEUlT_E1_NS1_11comp_targetILNS1_3genE4ELNS1_11target_archE910ELNS1_3gpuE8ELNS1_3repE0EEENS1_59segmented_radix_sort_warp_sort_small_config_static_selectorELNS0_4arch9wavefront6targetE0EEEvSK_: ; @_ZN7rocprim17ROCPRIM_400000_NS6detail17trampoline_kernelINS0_14default_configENS1_36segmented_radix_sort_config_selectorIilEEZNS1_25segmented_radix_sort_implIS3_Lb0EPKiPiPKlPlN2at6native12_GLOBAL__N_18offset_tEEE10hipError_tPvRmT1_PNSt15iterator_traitsISK_E10value_typeET2_T3_PNSL_ISQ_E10value_typeET4_jRbjT5_SW_jjP12ihipStream_tbEUlT_E1_NS1_11comp_targetILNS1_3genE4ELNS1_11target_archE910ELNS1_3gpuE8ELNS1_3repE0EEENS1_59segmented_radix_sort_warp_sort_small_config_static_selectorELNS0_4arch9wavefront6targetE0EEEvSK_
; %bb.0:
	.section	.rodata,"a",@progbits
	.p2align	6, 0x0
	.amdhsa_kernel _ZN7rocprim17ROCPRIM_400000_NS6detail17trampoline_kernelINS0_14default_configENS1_36segmented_radix_sort_config_selectorIilEEZNS1_25segmented_radix_sort_implIS3_Lb0EPKiPiPKlPlN2at6native12_GLOBAL__N_18offset_tEEE10hipError_tPvRmT1_PNSt15iterator_traitsISK_E10value_typeET2_T3_PNSL_ISQ_E10value_typeET4_jRbjT5_SW_jjP12ihipStream_tbEUlT_E1_NS1_11comp_targetILNS1_3genE4ELNS1_11target_archE910ELNS1_3gpuE8ELNS1_3repE0EEENS1_59segmented_radix_sort_warp_sort_small_config_static_selectorELNS0_4arch9wavefront6targetE0EEEvSK_
		.amdhsa_group_segment_fixed_size 0
		.amdhsa_private_segment_fixed_size 0
		.amdhsa_kernarg_size 88
		.amdhsa_user_sgpr_count 15
		.amdhsa_user_sgpr_dispatch_ptr 0
		.amdhsa_user_sgpr_queue_ptr 0
		.amdhsa_user_sgpr_kernarg_segment_ptr 1
		.amdhsa_user_sgpr_dispatch_id 0
		.amdhsa_user_sgpr_private_segment_size 0
		.amdhsa_wavefront_size32 1
		.amdhsa_uses_dynamic_stack 0
		.amdhsa_enable_private_segment 0
		.amdhsa_system_sgpr_workgroup_id_x 1
		.amdhsa_system_sgpr_workgroup_id_y 0
		.amdhsa_system_sgpr_workgroup_id_z 0
		.amdhsa_system_sgpr_workgroup_info 0
		.amdhsa_system_vgpr_workitem_id 0
		.amdhsa_next_free_vgpr 1
		.amdhsa_next_free_sgpr 1
		.amdhsa_reserve_vcc 0
		.amdhsa_float_round_mode_32 0
		.amdhsa_float_round_mode_16_64 0
		.amdhsa_float_denorm_mode_32 3
		.amdhsa_float_denorm_mode_16_64 3
		.amdhsa_dx10_clamp 1
		.amdhsa_ieee_mode 1
		.amdhsa_fp16_overflow 0
		.amdhsa_workgroup_processor_mode 1
		.amdhsa_memory_ordered 1
		.amdhsa_forward_progress 0
		.amdhsa_shared_vgpr_count 0
		.amdhsa_exception_fp_ieee_invalid_op 0
		.amdhsa_exception_fp_denorm_src 0
		.amdhsa_exception_fp_ieee_div_zero 0
		.amdhsa_exception_fp_ieee_overflow 0
		.amdhsa_exception_fp_ieee_underflow 0
		.amdhsa_exception_fp_ieee_inexact 0
		.amdhsa_exception_int_div_zero 0
	.end_amdhsa_kernel
	.section	.text._ZN7rocprim17ROCPRIM_400000_NS6detail17trampoline_kernelINS0_14default_configENS1_36segmented_radix_sort_config_selectorIilEEZNS1_25segmented_radix_sort_implIS3_Lb0EPKiPiPKlPlN2at6native12_GLOBAL__N_18offset_tEEE10hipError_tPvRmT1_PNSt15iterator_traitsISK_E10value_typeET2_T3_PNSL_ISQ_E10value_typeET4_jRbjT5_SW_jjP12ihipStream_tbEUlT_E1_NS1_11comp_targetILNS1_3genE4ELNS1_11target_archE910ELNS1_3gpuE8ELNS1_3repE0EEENS1_59segmented_radix_sort_warp_sort_small_config_static_selectorELNS0_4arch9wavefront6targetE0EEEvSK_,"axG",@progbits,_ZN7rocprim17ROCPRIM_400000_NS6detail17trampoline_kernelINS0_14default_configENS1_36segmented_radix_sort_config_selectorIilEEZNS1_25segmented_radix_sort_implIS3_Lb0EPKiPiPKlPlN2at6native12_GLOBAL__N_18offset_tEEE10hipError_tPvRmT1_PNSt15iterator_traitsISK_E10value_typeET2_T3_PNSL_ISQ_E10value_typeET4_jRbjT5_SW_jjP12ihipStream_tbEUlT_E1_NS1_11comp_targetILNS1_3genE4ELNS1_11target_archE910ELNS1_3gpuE8ELNS1_3repE0EEENS1_59segmented_radix_sort_warp_sort_small_config_static_selectorELNS0_4arch9wavefront6targetE0EEEvSK_,comdat
.Lfunc_end622:
	.size	_ZN7rocprim17ROCPRIM_400000_NS6detail17trampoline_kernelINS0_14default_configENS1_36segmented_radix_sort_config_selectorIilEEZNS1_25segmented_radix_sort_implIS3_Lb0EPKiPiPKlPlN2at6native12_GLOBAL__N_18offset_tEEE10hipError_tPvRmT1_PNSt15iterator_traitsISK_E10value_typeET2_T3_PNSL_ISQ_E10value_typeET4_jRbjT5_SW_jjP12ihipStream_tbEUlT_E1_NS1_11comp_targetILNS1_3genE4ELNS1_11target_archE910ELNS1_3gpuE8ELNS1_3repE0EEENS1_59segmented_radix_sort_warp_sort_small_config_static_selectorELNS0_4arch9wavefront6targetE0EEEvSK_, .Lfunc_end622-_ZN7rocprim17ROCPRIM_400000_NS6detail17trampoline_kernelINS0_14default_configENS1_36segmented_radix_sort_config_selectorIilEEZNS1_25segmented_radix_sort_implIS3_Lb0EPKiPiPKlPlN2at6native12_GLOBAL__N_18offset_tEEE10hipError_tPvRmT1_PNSt15iterator_traitsISK_E10value_typeET2_T3_PNSL_ISQ_E10value_typeET4_jRbjT5_SW_jjP12ihipStream_tbEUlT_E1_NS1_11comp_targetILNS1_3genE4ELNS1_11target_archE910ELNS1_3gpuE8ELNS1_3repE0EEENS1_59segmented_radix_sort_warp_sort_small_config_static_selectorELNS0_4arch9wavefront6targetE0EEEvSK_
                                        ; -- End function
	.section	.AMDGPU.csdata,"",@progbits
; Kernel info:
; codeLenInByte = 0
; NumSgprs: 0
; NumVgprs: 0
; ScratchSize: 0
; MemoryBound: 0
; FloatMode: 240
; IeeeMode: 1
; LDSByteSize: 0 bytes/workgroup (compile time only)
; SGPRBlocks: 0
; VGPRBlocks: 0
; NumSGPRsForWavesPerEU: 1
; NumVGPRsForWavesPerEU: 1
; Occupancy: 16
; WaveLimiterHint : 0
; COMPUTE_PGM_RSRC2:SCRATCH_EN: 0
; COMPUTE_PGM_RSRC2:USER_SGPR: 15
; COMPUTE_PGM_RSRC2:TRAP_HANDLER: 0
; COMPUTE_PGM_RSRC2:TGID_X_EN: 1
; COMPUTE_PGM_RSRC2:TGID_Y_EN: 0
; COMPUTE_PGM_RSRC2:TGID_Z_EN: 0
; COMPUTE_PGM_RSRC2:TIDIG_COMP_CNT: 0
	.section	.text._ZN7rocprim17ROCPRIM_400000_NS6detail17trampoline_kernelINS0_14default_configENS1_36segmented_radix_sort_config_selectorIilEEZNS1_25segmented_radix_sort_implIS3_Lb0EPKiPiPKlPlN2at6native12_GLOBAL__N_18offset_tEEE10hipError_tPvRmT1_PNSt15iterator_traitsISK_E10value_typeET2_T3_PNSL_ISQ_E10value_typeET4_jRbjT5_SW_jjP12ihipStream_tbEUlT_E1_NS1_11comp_targetILNS1_3genE3ELNS1_11target_archE908ELNS1_3gpuE7ELNS1_3repE0EEENS1_59segmented_radix_sort_warp_sort_small_config_static_selectorELNS0_4arch9wavefront6targetE0EEEvSK_,"axG",@progbits,_ZN7rocprim17ROCPRIM_400000_NS6detail17trampoline_kernelINS0_14default_configENS1_36segmented_radix_sort_config_selectorIilEEZNS1_25segmented_radix_sort_implIS3_Lb0EPKiPiPKlPlN2at6native12_GLOBAL__N_18offset_tEEE10hipError_tPvRmT1_PNSt15iterator_traitsISK_E10value_typeET2_T3_PNSL_ISQ_E10value_typeET4_jRbjT5_SW_jjP12ihipStream_tbEUlT_E1_NS1_11comp_targetILNS1_3genE3ELNS1_11target_archE908ELNS1_3gpuE7ELNS1_3repE0EEENS1_59segmented_radix_sort_warp_sort_small_config_static_selectorELNS0_4arch9wavefront6targetE0EEEvSK_,comdat
	.globl	_ZN7rocprim17ROCPRIM_400000_NS6detail17trampoline_kernelINS0_14default_configENS1_36segmented_radix_sort_config_selectorIilEEZNS1_25segmented_radix_sort_implIS3_Lb0EPKiPiPKlPlN2at6native12_GLOBAL__N_18offset_tEEE10hipError_tPvRmT1_PNSt15iterator_traitsISK_E10value_typeET2_T3_PNSL_ISQ_E10value_typeET4_jRbjT5_SW_jjP12ihipStream_tbEUlT_E1_NS1_11comp_targetILNS1_3genE3ELNS1_11target_archE908ELNS1_3gpuE7ELNS1_3repE0EEENS1_59segmented_radix_sort_warp_sort_small_config_static_selectorELNS0_4arch9wavefront6targetE0EEEvSK_ ; -- Begin function _ZN7rocprim17ROCPRIM_400000_NS6detail17trampoline_kernelINS0_14default_configENS1_36segmented_radix_sort_config_selectorIilEEZNS1_25segmented_radix_sort_implIS3_Lb0EPKiPiPKlPlN2at6native12_GLOBAL__N_18offset_tEEE10hipError_tPvRmT1_PNSt15iterator_traitsISK_E10value_typeET2_T3_PNSL_ISQ_E10value_typeET4_jRbjT5_SW_jjP12ihipStream_tbEUlT_E1_NS1_11comp_targetILNS1_3genE3ELNS1_11target_archE908ELNS1_3gpuE7ELNS1_3repE0EEENS1_59segmented_radix_sort_warp_sort_small_config_static_selectorELNS0_4arch9wavefront6targetE0EEEvSK_
	.p2align	8
	.type	_ZN7rocprim17ROCPRIM_400000_NS6detail17trampoline_kernelINS0_14default_configENS1_36segmented_radix_sort_config_selectorIilEEZNS1_25segmented_radix_sort_implIS3_Lb0EPKiPiPKlPlN2at6native12_GLOBAL__N_18offset_tEEE10hipError_tPvRmT1_PNSt15iterator_traitsISK_E10value_typeET2_T3_PNSL_ISQ_E10value_typeET4_jRbjT5_SW_jjP12ihipStream_tbEUlT_E1_NS1_11comp_targetILNS1_3genE3ELNS1_11target_archE908ELNS1_3gpuE7ELNS1_3repE0EEENS1_59segmented_radix_sort_warp_sort_small_config_static_selectorELNS0_4arch9wavefront6targetE0EEEvSK_,@function
_ZN7rocprim17ROCPRIM_400000_NS6detail17trampoline_kernelINS0_14default_configENS1_36segmented_radix_sort_config_selectorIilEEZNS1_25segmented_radix_sort_implIS3_Lb0EPKiPiPKlPlN2at6native12_GLOBAL__N_18offset_tEEE10hipError_tPvRmT1_PNSt15iterator_traitsISK_E10value_typeET2_T3_PNSL_ISQ_E10value_typeET4_jRbjT5_SW_jjP12ihipStream_tbEUlT_E1_NS1_11comp_targetILNS1_3genE3ELNS1_11target_archE908ELNS1_3gpuE7ELNS1_3repE0EEENS1_59segmented_radix_sort_warp_sort_small_config_static_selectorELNS0_4arch9wavefront6targetE0EEEvSK_: ; @_ZN7rocprim17ROCPRIM_400000_NS6detail17trampoline_kernelINS0_14default_configENS1_36segmented_radix_sort_config_selectorIilEEZNS1_25segmented_radix_sort_implIS3_Lb0EPKiPiPKlPlN2at6native12_GLOBAL__N_18offset_tEEE10hipError_tPvRmT1_PNSt15iterator_traitsISK_E10value_typeET2_T3_PNSL_ISQ_E10value_typeET4_jRbjT5_SW_jjP12ihipStream_tbEUlT_E1_NS1_11comp_targetILNS1_3genE3ELNS1_11target_archE908ELNS1_3gpuE7ELNS1_3repE0EEENS1_59segmented_radix_sort_warp_sort_small_config_static_selectorELNS0_4arch9wavefront6targetE0EEEvSK_
; %bb.0:
	.section	.rodata,"a",@progbits
	.p2align	6, 0x0
	.amdhsa_kernel _ZN7rocprim17ROCPRIM_400000_NS6detail17trampoline_kernelINS0_14default_configENS1_36segmented_radix_sort_config_selectorIilEEZNS1_25segmented_radix_sort_implIS3_Lb0EPKiPiPKlPlN2at6native12_GLOBAL__N_18offset_tEEE10hipError_tPvRmT1_PNSt15iterator_traitsISK_E10value_typeET2_T3_PNSL_ISQ_E10value_typeET4_jRbjT5_SW_jjP12ihipStream_tbEUlT_E1_NS1_11comp_targetILNS1_3genE3ELNS1_11target_archE908ELNS1_3gpuE7ELNS1_3repE0EEENS1_59segmented_radix_sort_warp_sort_small_config_static_selectorELNS0_4arch9wavefront6targetE0EEEvSK_
		.amdhsa_group_segment_fixed_size 0
		.amdhsa_private_segment_fixed_size 0
		.amdhsa_kernarg_size 88
		.amdhsa_user_sgpr_count 15
		.amdhsa_user_sgpr_dispatch_ptr 0
		.amdhsa_user_sgpr_queue_ptr 0
		.amdhsa_user_sgpr_kernarg_segment_ptr 1
		.amdhsa_user_sgpr_dispatch_id 0
		.amdhsa_user_sgpr_private_segment_size 0
		.amdhsa_wavefront_size32 1
		.amdhsa_uses_dynamic_stack 0
		.amdhsa_enable_private_segment 0
		.amdhsa_system_sgpr_workgroup_id_x 1
		.amdhsa_system_sgpr_workgroup_id_y 0
		.amdhsa_system_sgpr_workgroup_id_z 0
		.amdhsa_system_sgpr_workgroup_info 0
		.amdhsa_system_vgpr_workitem_id 0
		.amdhsa_next_free_vgpr 1
		.amdhsa_next_free_sgpr 1
		.amdhsa_reserve_vcc 0
		.amdhsa_float_round_mode_32 0
		.amdhsa_float_round_mode_16_64 0
		.amdhsa_float_denorm_mode_32 3
		.amdhsa_float_denorm_mode_16_64 3
		.amdhsa_dx10_clamp 1
		.amdhsa_ieee_mode 1
		.amdhsa_fp16_overflow 0
		.amdhsa_workgroup_processor_mode 1
		.amdhsa_memory_ordered 1
		.amdhsa_forward_progress 0
		.amdhsa_shared_vgpr_count 0
		.amdhsa_exception_fp_ieee_invalid_op 0
		.amdhsa_exception_fp_denorm_src 0
		.amdhsa_exception_fp_ieee_div_zero 0
		.amdhsa_exception_fp_ieee_overflow 0
		.amdhsa_exception_fp_ieee_underflow 0
		.amdhsa_exception_fp_ieee_inexact 0
		.amdhsa_exception_int_div_zero 0
	.end_amdhsa_kernel
	.section	.text._ZN7rocprim17ROCPRIM_400000_NS6detail17trampoline_kernelINS0_14default_configENS1_36segmented_radix_sort_config_selectorIilEEZNS1_25segmented_radix_sort_implIS3_Lb0EPKiPiPKlPlN2at6native12_GLOBAL__N_18offset_tEEE10hipError_tPvRmT1_PNSt15iterator_traitsISK_E10value_typeET2_T3_PNSL_ISQ_E10value_typeET4_jRbjT5_SW_jjP12ihipStream_tbEUlT_E1_NS1_11comp_targetILNS1_3genE3ELNS1_11target_archE908ELNS1_3gpuE7ELNS1_3repE0EEENS1_59segmented_radix_sort_warp_sort_small_config_static_selectorELNS0_4arch9wavefront6targetE0EEEvSK_,"axG",@progbits,_ZN7rocprim17ROCPRIM_400000_NS6detail17trampoline_kernelINS0_14default_configENS1_36segmented_radix_sort_config_selectorIilEEZNS1_25segmented_radix_sort_implIS3_Lb0EPKiPiPKlPlN2at6native12_GLOBAL__N_18offset_tEEE10hipError_tPvRmT1_PNSt15iterator_traitsISK_E10value_typeET2_T3_PNSL_ISQ_E10value_typeET4_jRbjT5_SW_jjP12ihipStream_tbEUlT_E1_NS1_11comp_targetILNS1_3genE3ELNS1_11target_archE908ELNS1_3gpuE7ELNS1_3repE0EEENS1_59segmented_radix_sort_warp_sort_small_config_static_selectorELNS0_4arch9wavefront6targetE0EEEvSK_,comdat
.Lfunc_end623:
	.size	_ZN7rocprim17ROCPRIM_400000_NS6detail17trampoline_kernelINS0_14default_configENS1_36segmented_radix_sort_config_selectorIilEEZNS1_25segmented_radix_sort_implIS3_Lb0EPKiPiPKlPlN2at6native12_GLOBAL__N_18offset_tEEE10hipError_tPvRmT1_PNSt15iterator_traitsISK_E10value_typeET2_T3_PNSL_ISQ_E10value_typeET4_jRbjT5_SW_jjP12ihipStream_tbEUlT_E1_NS1_11comp_targetILNS1_3genE3ELNS1_11target_archE908ELNS1_3gpuE7ELNS1_3repE0EEENS1_59segmented_radix_sort_warp_sort_small_config_static_selectorELNS0_4arch9wavefront6targetE0EEEvSK_, .Lfunc_end623-_ZN7rocprim17ROCPRIM_400000_NS6detail17trampoline_kernelINS0_14default_configENS1_36segmented_radix_sort_config_selectorIilEEZNS1_25segmented_radix_sort_implIS3_Lb0EPKiPiPKlPlN2at6native12_GLOBAL__N_18offset_tEEE10hipError_tPvRmT1_PNSt15iterator_traitsISK_E10value_typeET2_T3_PNSL_ISQ_E10value_typeET4_jRbjT5_SW_jjP12ihipStream_tbEUlT_E1_NS1_11comp_targetILNS1_3genE3ELNS1_11target_archE908ELNS1_3gpuE7ELNS1_3repE0EEENS1_59segmented_radix_sort_warp_sort_small_config_static_selectorELNS0_4arch9wavefront6targetE0EEEvSK_
                                        ; -- End function
	.section	.AMDGPU.csdata,"",@progbits
; Kernel info:
; codeLenInByte = 0
; NumSgprs: 0
; NumVgprs: 0
; ScratchSize: 0
; MemoryBound: 0
; FloatMode: 240
; IeeeMode: 1
; LDSByteSize: 0 bytes/workgroup (compile time only)
; SGPRBlocks: 0
; VGPRBlocks: 0
; NumSGPRsForWavesPerEU: 1
; NumVGPRsForWavesPerEU: 1
; Occupancy: 16
; WaveLimiterHint : 0
; COMPUTE_PGM_RSRC2:SCRATCH_EN: 0
; COMPUTE_PGM_RSRC2:USER_SGPR: 15
; COMPUTE_PGM_RSRC2:TRAP_HANDLER: 0
; COMPUTE_PGM_RSRC2:TGID_X_EN: 1
; COMPUTE_PGM_RSRC2:TGID_Y_EN: 0
; COMPUTE_PGM_RSRC2:TGID_Z_EN: 0
; COMPUTE_PGM_RSRC2:TIDIG_COMP_CNT: 0
	.section	.text._ZN7rocprim17ROCPRIM_400000_NS6detail17trampoline_kernelINS0_14default_configENS1_36segmented_radix_sort_config_selectorIilEEZNS1_25segmented_radix_sort_implIS3_Lb0EPKiPiPKlPlN2at6native12_GLOBAL__N_18offset_tEEE10hipError_tPvRmT1_PNSt15iterator_traitsISK_E10value_typeET2_T3_PNSL_ISQ_E10value_typeET4_jRbjT5_SW_jjP12ihipStream_tbEUlT_E1_NS1_11comp_targetILNS1_3genE2ELNS1_11target_archE906ELNS1_3gpuE6ELNS1_3repE0EEENS1_59segmented_radix_sort_warp_sort_small_config_static_selectorELNS0_4arch9wavefront6targetE0EEEvSK_,"axG",@progbits,_ZN7rocprim17ROCPRIM_400000_NS6detail17trampoline_kernelINS0_14default_configENS1_36segmented_radix_sort_config_selectorIilEEZNS1_25segmented_radix_sort_implIS3_Lb0EPKiPiPKlPlN2at6native12_GLOBAL__N_18offset_tEEE10hipError_tPvRmT1_PNSt15iterator_traitsISK_E10value_typeET2_T3_PNSL_ISQ_E10value_typeET4_jRbjT5_SW_jjP12ihipStream_tbEUlT_E1_NS1_11comp_targetILNS1_3genE2ELNS1_11target_archE906ELNS1_3gpuE6ELNS1_3repE0EEENS1_59segmented_radix_sort_warp_sort_small_config_static_selectorELNS0_4arch9wavefront6targetE0EEEvSK_,comdat
	.globl	_ZN7rocprim17ROCPRIM_400000_NS6detail17trampoline_kernelINS0_14default_configENS1_36segmented_radix_sort_config_selectorIilEEZNS1_25segmented_radix_sort_implIS3_Lb0EPKiPiPKlPlN2at6native12_GLOBAL__N_18offset_tEEE10hipError_tPvRmT1_PNSt15iterator_traitsISK_E10value_typeET2_T3_PNSL_ISQ_E10value_typeET4_jRbjT5_SW_jjP12ihipStream_tbEUlT_E1_NS1_11comp_targetILNS1_3genE2ELNS1_11target_archE906ELNS1_3gpuE6ELNS1_3repE0EEENS1_59segmented_radix_sort_warp_sort_small_config_static_selectorELNS0_4arch9wavefront6targetE0EEEvSK_ ; -- Begin function _ZN7rocprim17ROCPRIM_400000_NS6detail17trampoline_kernelINS0_14default_configENS1_36segmented_radix_sort_config_selectorIilEEZNS1_25segmented_radix_sort_implIS3_Lb0EPKiPiPKlPlN2at6native12_GLOBAL__N_18offset_tEEE10hipError_tPvRmT1_PNSt15iterator_traitsISK_E10value_typeET2_T3_PNSL_ISQ_E10value_typeET4_jRbjT5_SW_jjP12ihipStream_tbEUlT_E1_NS1_11comp_targetILNS1_3genE2ELNS1_11target_archE906ELNS1_3gpuE6ELNS1_3repE0EEENS1_59segmented_radix_sort_warp_sort_small_config_static_selectorELNS0_4arch9wavefront6targetE0EEEvSK_
	.p2align	8
	.type	_ZN7rocprim17ROCPRIM_400000_NS6detail17trampoline_kernelINS0_14default_configENS1_36segmented_radix_sort_config_selectorIilEEZNS1_25segmented_radix_sort_implIS3_Lb0EPKiPiPKlPlN2at6native12_GLOBAL__N_18offset_tEEE10hipError_tPvRmT1_PNSt15iterator_traitsISK_E10value_typeET2_T3_PNSL_ISQ_E10value_typeET4_jRbjT5_SW_jjP12ihipStream_tbEUlT_E1_NS1_11comp_targetILNS1_3genE2ELNS1_11target_archE906ELNS1_3gpuE6ELNS1_3repE0EEENS1_59segmented_radix_sort_warp_sort_small_config_static_selectorELNS0_4arch9wavefront6targetE0EEEvSK_,@function
_ZN7rocprim17ROCPRIM_400000_NS6detail17trampoline_kernelINS0_14default_configENS1_36segmented_radix_sort_config_selectorIilEEZNS1_25segmented_radix_sort_implIS3_Lb0EPKiPiPKlPlN2at6native12_GLOBAL__N_18offset_tEEE10hipError_tPvRmT1_PNSt15iterator_traitsISK_E10value_typeET2_T3_PNSL_ISQ_E10value_typeET4_jRbjT5_SW_jjP12ihipStream_tbEUlT_E1_NS1_11comp_targetILNS1_3genE2ELNS1_11target_archE906ELNS1_3gpuE6ELNS1_3repE0EEENS1_59segmented_radix_sort_warp_sort_small_config_static_selectorELNS0_4arch9wavefront6targetE0EEEvSK_: ; @_ZN7rocprim17ROCPRIM_400000_NS6detail17trampoline_kernelINS0_14default_configENS1_36segmented_radix_sort_config_selectorIilEEZNS1_25segmented_radix_sort_implIS3_Lb0EPKiPiPKlPlN2at6native12_GLOBAL__N_18offset_tEEE10hipError_tPvRmT1_PNSt15iterator_traitsISK_E10value_typeET2_T3_PNSL_ISQ_E10value_typeET4_jRbjT5_SW_jjP12ihipStream_tbEUlT_E1_NS1_11comp_targetILNS1_3genE2ELNS1_11target_archE906ELNS1_3gpuE6ELNS1_3repE0EEENS1_59segmented_radix_sort_warp_sort_small_config_static_selectorELNS0_4arch9wavefront6targetE0EEEvSK_
; %bb.0:
	.section	.rodata,"a",@progbits
	.p2align	6, 0x0
	.amdhsa_kernel _ZN7rocprim17ROCPRIM_400000_NS6detail17trampoline_kernelINS0_14default_configENS1_36segmented_radix_sort_config_selectorIilEEZNS1_25segmented_radix_sort_implIS3_Lb0EPKiPiPKlPlN2at6native12_GLOBAL__N_18offset_tEEE10hipError_tPvRmT1_PNSt15iterator_traitsISK_E10value_typeET2_T3_PNSL_ISQ_E10value_typeET4_jRbjT5_SW_jjP12ihipStream_tbEUlT_E1_NS1_11comp_targetILNS1_3genE2ELNS1_11target_archE906ELNS1_3gpuE6ELNS1_3repE0EEENS1_59segmented_radix_sort_warp_sort_small_config_static_selectorELNS0_4arch9wavefront6targetE0EEEvSK_
		.amdhsa_group_segment_fixed_size 0
		.amdhsa_private_segment_fixed_size 0
		.amdhsa_kernarg_size 88
		.amdhsa_user_sgpr_count 15
		.amdhsa_user_sgpr_dispatch_ptr 0
		.amdhsa_user_sgpr_queue_ptr 0
		.amdhsa_user_sgpr_kernarg_segment_ptr 1
		.amdhsa_user_sgpr_dispatch_id 0
		.amdhsa_user_sgpr_private_segment_size 0
		.amdhsa_wavefront_size32 1
		.amdhsa_uses_dynamic_stack 0
		.amdhsa_enable_private_segment 0
		.amdhsa_system_sgpr_workgroup_id_x 1
		.amdhsa_system_sgpr_workgroup_id_y 0
		.amdhsa_system_sgpr_workgroup_id_z 0
		.amdhsa_system_sgpr_workgroup_info 0
		.amdhsa_system_vgpr_workitem_id 0
		.amdhsa_next_free_vgpr 1
		.amdhsa_next_free_sgpr 1
		.amdhsa_reserve_vcc 0
		.amdhsa_float_round_mode_32 0
		.amdhsa_float_round_mode_16_64 0
		.amdhsa_float_denorm_mode_32 3
		.amdhsa_float_denorm_mode_16_64 3
		.amdhsa_dx10_clamp 1
		.amdhsa_ieee_mode 1
		.amdhsa_fp16_overflow 0
		.amdhsa_workgroup_processor_mode 1
		.amdhsa_memory_ordered 1
		.amdhsa_forward_progress 0
		.amdhsa_shared_vgpr_count 0
		.amdhsa_exception_fp_ieee_invalid_op 0
		.amdhsa_exception_fp_denorm_src 0
		.amdhsa_exception_fp_ieee_div_zero 0
		.amdhsa_exception_fp_ieee_overflow 0
		.amdhsa_exception_fp_ieee_underflow 0
		.amdhsa_exception_fp_ieee_inexact 0
		.amdhsa_exception_int_div_zero 0
	.end_amdhsa_kernel
	.section	.text._ZN7rocprim17ROCPRIM_400000_NS6detail17trampoline_kernelINS0_14default_configENS1_36segmented_radix_sort_config_selectorIilEEZNS1_25segmented_radix_sort_implIS3_Lb0EPKiPiPKlPlN2at6native12_GLOBAL__N_18offset_tEEE10hipError_tPvRmT1_PNSt15iterator_traitsISK_E10value_typeET2_T3_PNSL_ISQ_E10value_typeET4_jRbjT5_SW_jjP12ihipStream_tbEUlT_E1_NS1_11comp_targetILNS1_3genE2ELNS1_11target_archE906ELNS1_3gpuE6ELNS1_3repE0EEENS1_59segmented_radix_sort_warp_sort_small_config_static_selectorELNS0_4arch9wavefront6targetE0EEEvSK_,"axG",@progbits,_ZN7rocprim17ROCPRIM_400000_NS6detail17trampoline_kernelINS0_14default_configENS1_36segmented_radix_sort_config_selectorIilEEZNS1_25segmented_radix_sort_implIS3_Lb0EPKiPiPKlPlN2at6native12_GLOBAL__N_18offset_tEEE10hipError_tPvRmT1_PNSt15iterator_traitsISK_E10value_typeET2_T3_PNSL_ISQ_E10value_typeET4_jRbjT5_SW_jjP12ihipStream_tbEUlT_E1_NS1_11comp_targetILNS1_3genE2ELNS1_11target_archE906ELNS1_3gpuE6ELNS1_3repE0EEENS1_59segmented_radix_sort_warp_sort_small_config_static_selectorELNS0_4arch9wavefront6targetE0EEEvSK_,comdat
.Lfunc_end624:
	.size	_ZN7rocprim17ROCPRIM_400000_NS6detail17trampoline_kernelINS0_14default_configENS1_36segmented_radix_sort_config_selectorIilEEZNS1_25segmented_radix_sort_implIS3_Lb0EPKiPiPKlPlN2at6native12_GLOBAL__N_18offset_tEEE10hipError_tPvRmT1_PNSt15iterator_traitsISK_E10value_typeET2_T3_PNSL_ISQ_E10value_typeET4_jRbjT5_SW_jjP12ihipStream_tbEUlT_E1_NS1_11comp_targetILNS1_3genE2ELNS1_11target_archE906ELNS1_3gpuE6ELNS1_3repE0EEENS1_59segmented_radix_sort_warp_sort_small_config_static_selectorELNS0_4arch9wavefront6targetE0EEEvSK_, .Lfunc_end624-_ZN7rocprim17ROCPRIM_400000_NS6detail17trampoline_kernelINS0_14default_configENS1_36segmented_radix_sort_config_selectorIilEEZNS1_25segmented_radix_sort_implIS3_Lb0EPKiPiPKlPlN2at6native12_GLOBAL__N_18offset_tEEE10hipError_tPvRmT1_PNSt15iterator_traitsISK_E10value_typeET2_T3_PNSL_ISQ_E10value_typeET4_jRbjT5_SW_jjP12ihipStream_tbEUlT_E1_NS1_11comp_targetILNS1_3genE2ELNS1_11target_archE906ELNS1_3gpuE6ELNS1_3repE0EEENS1_59segmented_radix_sort_warp_sort_small_config_static_selectorELNS0_4arch9wavefront6targetE0EEEvSK_
                                        ; -- End function
	.section	.AMDGPU.csdata,"",@progbits
; Kernel info:
; codeLenInByte = 0
; NumSgprs: 0
; NumVgprs: 0
; ScratchSize: 0
; MemoryBound: 0
; FloatMode: 240
; IeeeMode: 1
; LDSByteSize: 0 bytes/workgroup (compile time only)
; SGPRBlocks: 0
; VGPRBlocks: 0
; NumSGPRsForWavesPerEU: 1
; NumVGPRsForWavesPerEU: 1
; Occupancy: 16
; WaveLimiterHint : 0
; COMPUTE_PGM_RSRC2:SCRATCH_EN: 0
; COMPUTE_PGM_RSRC2:USER_SGPR: 15
; COMPUTE_PGM_RSRC2:TRAP_HANDLER: 0
; COMPUTE_PGM_RSRC2:TGID_X_EN: 1
; COMPUTE_PGM_RSRC2:TGID_Y_EN: 0
; COMPUTE_PGM_RSRC2:TGID_Z_EN: 0
; COMPUTE_PGM_RSRC2:TIDIG_COMP_CNT: 0
	.section	.text._ZN7rocprim17ROCPRIM_400000_NS6detail17trampoline_kernelINS0_14default_configENS1_36segmented_radix_sort_config_selectorIilEEZNS1_25segmented_radix_sort_implIS3_Lb0EPKiPiPKlPlN2at6native12_GLOBAL__N_18offset_tEEE10hipError_tPvRmT1_PNSt15iterator_traitsISK_E10value_typeET2_T3_PNSL_ISQ_E10value_typeET4_jRbjT5_SW_jjP12ihipStream_tbEUlT_E1_NS1_11comp_targetILNS1_3genE10ELNS1_11target_archE1201ELNS1_3gpuE5ELNS1_3repE0EEENS1_59segmented_radix_sort_warp_sort_small_config_static_selectorELNS0_4arch9wavefront6targetE0EEEvSK_,"axG",@progbits,_ZN7rocprim17ROCPRIM_400000_NS6detail17trampoline_kernelINS0_14default_configENS1_36segmented_radix_sort_config_selectorIilEEZNS1_25segmented_radix_sort_implIS3_Lb0EPKiPiPKlPlN2at6native12_GLOBAL__N_18offset_tEEE10hipError_tPvRmT1_PNSt15iterator_traitsISK_E10value_typeET2_T3_PNSL_ISQ_E10value_typeET4_jRbjT5_SW_jjP12ihipStream_tbEUlT_E1_NS1_11comp_targetILNS1_3genE10ELNS1_11target_archE1201ELNS1_3gpuE5ELNS1_3repE0EEENS1_59segmented_radix_sort_warp_sort_small_config_static_selectorELNS0_4arch9wavefront6targetE0EEEvSK_,comdat
	.globl	_ZN7rocprim17ROCPRIM_400000_NS6detail17trampoline_kernelINS0_14default_configENS1_36segmented_radix_sort_config_selectorIilEEZNS1_25segmented_radix_sort_implIS3_Lb0EPKiPiPKlPlN2at6native12_GLOBAL__N_18offset_tEEE10hipError_tPvRmT1_PNSt15iterator_traitsISK_E10value_typeET2_T3_PNSL_ISQ_E10value_typeET4_jRbjT5_SW_jjP12ihipStream_tbEUlT_E1_NS1_11comp_targetILNS1_3genE10ELNS1_11target_archE1201ELNS1_3gpuE5ELNS1_3repE0EEENS1_59segmented_radix_sort_warp_sort_small_config_static_selectorELNS0_4arch9wavefront6targetE0EEEvSK_ ; -- Begin function _ZN7rocprim17ROCPRIM_400000_NS6detail17trampoline_kernelINS0_14default_configENS1_36segmented_radix_sort_config_selectorIilEEZNS1_25segmented_radix_sort_implIS3_Lb0EPKiPiPKlPlN2at6native12_GLOBAL__N_18offset_tEEE10hipError_tPvRmT1_PNSt15iterator_traitsISK_E10value_typeET2_T3_PNSL_ISQ_E10value_typeET4_jRbjT5_SW_jjP12ihipStream_tbEUlT_E1_NS1_11comp_targetILNS1_3genE10ELNS1_11target_archE1201ELNS1_3gpuE5ELNS1_3repE0EEENS1_59segmented_radix_sort_warp_sort_small_config_static_selectorELNS0_4arch9wavefront6targetE0EEEvSK_
	.p2align	8
	.type	_ZN7rocprim17ROCPRIM_400000_NS6detail17trampoline_kernelINS0_14default_configENS1_36segmented_radix_sort_config_selectorIilEEZNS1_25segmented_radix_sort_implIS3_Lb0EPKiPiPKlPlN2at6native12_GLOBAL__N_18offset_tEEE10hipError_tPvRmT1_PNSt15iterator_traitsISK_E10value_typeET2_T3_PNSL_ISQ_E10value_typeET4_jRbjT5_SW_jjP12ihipStream_tbEUlT_E1_NS1_11comp_targetILNS1_3genE10ELNS1_11target_archE1201ELNS1_3gpuE5ELNS1_3repE0EEENS1_59segmented_radix_sort_warp_sort_small_config_static_selectorELNS0_4arch9wavefront6targetE0EEEvSK_,@function
_ZN7rocprim17ROCPRIM_400000_NS6detail17trampoline_kernelINS0_14default_configENS1_36segmented_radix_sort_config_selectorIilEEZNS1_25segmented_radix_sort_implIS3_Lb0EPKiPiPKlPlN2at6native12_GLOBAL__N_18offset_tEEE10hipError_tPvRmT1_PNSt15iterator_traitsISK_E10value_typeET2_T3_PNSL_ISQ_E10value_typeET4_jRbjT5_SW_jjP12ihipStream_tbEUlT_E1_NS1_11comp_targetILNS1_3genE10ELNS1_11target_archE1201ELNS1_3gpuE5ELNS1_3repE0EEENS1_59segmented_radix_sort_warp_sort_small_config_static_selectorELNS0_4arch9wavefront6targetE0EEEvSK_: ; @_ZN7rocprim17ROCPRIM_400000_NS6detail17trampoline_kernelINS0_14default_configENS1_36segmented_radix_sort_config_selectorIilEEZNS1_25segmented_radix_sort_implIS3_Lb0EPKiPiPKlPlN2at6native12_GLOBAL__N_18offset_tEEE10hipError_tPvRmT1_PNSt15iterator_traitsISK_E10value_typeET2_T3_PNSL_ISQ_E10value_typeET4_jRbjT5_SW_jjP12ihipStream_tbEUlT_E1_NS1_11comp_targetILNS1_3genE10ELNS1_11target_archE1201ELNS1_3gpuE5ELNS1_3repE0EEENS1_59segmented_radix_sort_warp_sort_small_config_static_selectorELNS0_4arch9wavefront6targetE0EEEvSK_
; %bb.0:
	.section	.rodata,"a",@progbits
	.p2align	6, 0x0
	.amdhsa_kernel _ZN7rocprim17ROCPRIM_400000_NS6detail17trampoline_kernelINS0_14default_configENS1_36segmented_radix_sort_config_selectorIilEEZNS1_25segmented_radix_sort_implIS3_Lb0EPKiPiPKlPlN2at6native12_GLOBAL__N_18offset_tEEE10hipError_tPvRmT1_PNSt15iterator_traitsISK_E10value_typeET2_T3_PNSL_ISQ_E10value_typeET4_jRbjT5_SW_jjP12ihipStream_tbEUlT_E1_NS1_11comp_targetILNS1_3genE10ELNS1_11target_archE1201ELNS1_3gpuE5ELNS1_3repE0EEENS1_59segmented_radix_sort_warp_sort_small_config_static_selectorELNS0_4arch9wavefront6targetE0EEEvSK_
		.amdhsa_group_segment_fixed_size 0
		.amdhsa_private_segment_fixed_size 0
		.amdhsa_kernarg_size 88
		.amdhsa_user_sgpr_count 15
		.amdhsa_user_sgpr_dispatch_ptr 0
		.amdhsa_user_sgpr_queue_ptr 0
		.amdhsa_user_sgpr_kernarg_segment_ptr 1
		.amdhsa_user_sgpr_dispatch_id 0
		.amdhsa_user_sgpr_private_segment_size 0
		.amdhsa_wavefront_size32 1
		.amdhsa_uses_dynamic_stack 0
		.amdhsa_enable_private_segment 0
		.amdhsa_system_sgpr_workgroup_id_x 1
		.amdhsa_system_sgpr_workgroup_id_y 0
		.amdhsa_system_sgpr_workgroup_id_z 0
		.amdhsa_system_sgpr_workgroup_info 0
		.amdhsa_system_vgpr_workitem_id 0
		.amdhsa_next_free_vgpr 1
		.amdhsa_next_free_sgpr 1
		.amdhsa_reserve_vcc 0
		.amdhsa_float_round_mode_32 0
		.amdhsa_float_round_mode_16_64 0
		.amdhsa_float_denorm_mode_32 3
		.amdhsa_float_denorm_mode_16_64 3
		.amdhsa_dx10_clamp 1
		.amdhsa_ieee_mode 1
		.amdhsa_fp16_overflow 0
		.amdhsa_workgroup_processor_mode 1
		.amdhsa_memory_ordered 1
		.amdhsa_forward_progress 0
		.amdhsa_shared_vgpr_count 0
		.amdhsa_exception_fp_ieee_invalid_op 0
		.amdhsa_exception_fp_denorm_src 0
		.amdhsa_exception_fp_ieee_div_zero 0
		.amdhsa_exception_fp_ieee_overflow 0
		.amdhsa_exception_fp_ieee_underflow 0
		.amdhsa_exception_fp_ieee_inexact 0
		.amdhsa_exception_int_div_zero 0
	.end_amdhsa_kernel
	.section	.text._ZN7rocprim17ROCPRIM_400000_NS6detail17trampoline_kernelINS0_14default_configENS1_36segmented_radix_sort_config_selectorIilEEZNS1_25segmented_radix_sort_implIS3_Lb0EPKiPiPKlPlN2at6native12_GLOBAL__N_18offset_tEEE10hipError_tPvRmT1_PNSt15iterator_traitsISK_E10value_typeET2_T3_PNSL_ISQ_E10value_typeET4_jRbjT5_SW_jjP12ihipStream_tbEUlT_E1_NS1_11comp_targetILNS1_3genE10ELNS1_11target_archE1201ELNS1_3gpuE5ELNS1_3repE0EEENS1_59segmented_radix_sort_warp_sort_small_config_static_selectorELNS0_4arch9wavefront6targetE0EEEvSK_,"axG",@progbits,_ZN7rocprim17ROCPRIM_400000_NS6detail17trampoline_kernelINS0_14default_configENS1_36segmented_radix_sort_config_selectorIilEEZNS1_25segmented_radix_sort_implIS3_Lb0EPKiPiPKlPlN2at6native12_GLOBAL__N_18offset_tEEE10hipError_tPvRmT1_PNSt15iterator_traitsISK_E10value_typeET2_T3_PNSL_ISQ_E10value_typeET4_jRbjT5_SW_jjP12ihipStream_tbEUlT_E1_NS1_11comp_targetILNS1_3genE10ELNS1_11target_archE1201ELNS1_3gpuE5ELNS1_3repE0EEENS1_59segmented_radix_sort_warp_sort_small_config_static_selectorELNS0_4arch9wavefront6targetE0EEEvSK_,comdat
.Lfunc_end625:
	.size	_ZN7rocprim17ROCPRIM_400000_NS6detail17trampoline_kernelINS0_14default_configENS1_36segmented_radix_sort_config_selectorIilEEZNS1_25segmented_radix_sort_implIS3_Lb0EPKiPiPKlPlN2at6native12_GLOBAL__N_18offset_tEEE10hipError_tPvRmT1_PNSt15iterator_traitsISK_E10value_typeET2_T3_PNSL_ISQ_E10value_typeET4_jRbjT5_SW_jjP12ihipStream_tbEUlT_E1_NS1_11comp_targetILNS1_3genE10ELNS1_11target_archE1201ELNS1_3gpuE5ELNS1_3repE0EEENS1_59segmented_radix_sort_warp_sort_small_config_static_selectorELNS0_4arch9wavefront6targetE0EEEvSK_, .Lfunc_end625-_ZN7rocprim17ROCPRIM_400000_NS6detail17trampoline_kernelINS0_14default_configENS1_36segmented_radix_sort_config_selectorIilEEZNS1_25segmented_radix_sort_implIS3_Lb0EPKiPiPKlPlN2at6native12_GLOBAL__N_18offset_tEEE10hipError_tPvRmT1_PNSt15iterator_traitsISK_E10value_typeET2_T3_PNSL_ISQ_E10value_typeET4_jRbjT5_SW_jjP12ihipStream_tbEUlT_E1_NS1_11comp_targetILNS1_3genE10ELNS1_11target_archE1201ELNS1_3gpuE5ELNS1_3repE0EEENS1_59segmented_radix_sort_warp_sort_small_config_static_selectorELNS0_4arch9wavefront6targetE0EEEvSK_
                                        ; -- End function
	.section	.AMDGPU.csdata,"",@progbits
; Kernel info:
; codeLenInByte = 0
; NumSgprs: 0
; NumVgprs: 0
; ScratchSize: 0
; MemoryBound: 0
; FloatMode: 240
; IeeeMode: 1
; LDSByteSize: 0 bytes/workgroup (compile time only)
; SGPRBlocks: 0
; VGPRBlocks: 0
; NumSGPRsForWavesPerEU: 1
; NumVGPRsForWavesPerEU: 1
; Occupancy: 16
; WaveLimiterHint : 0
; COMPUTE_PGM_RSRC2:SCRATCH_EN: 0
; COMPUTE_PGM_RSRC2:USER_SGPR: 15
; COMPUTE_PGM_RSRC2:TRAP_HANDLER: 0
; COMPUTE_PGM_RSRC2:TGID_X_EN: 1
; COMPUTE_PGM_RSRC2:TGID_Y_EN: 0
; COMPUTE_PGM_RSRC2:TGID_Z_EN: 0
; COMPUTE_PGM_RSRC2:TIDIG_COMP_CNT: 0
	.section	.text._ZN7rocprim17ROCPRIM_400000_NS6detail17trampoline_kernelINS0_14default_configENS1_36segmented_radix_sort_config_selectorIilEEZNS1_25segmented_radix_sort_implIS3_Lb0EPKiPiPKlPlN2at6native12_GLOBAL__N_18offset_tEEE10hipError_tPvRmT1_PNSt15iterator_traitsISK_E10value_typeET2_T3_PNSL_ISQ_E10value_typeET4_jRbjT5_SW_jjP12ihipStream_tbEUlT_E1_NS1_11comp_targetILNS1_3genE10ELNS1_11target_archE1200ELNS1_3gpuE4ELNS1_3repE0EEENS1_59segmented_radix_sort_warp_sort_small_config_static_selectorELNS0_4arch9wavefront6targetE0EEEvSK_,"axG",@progbits,_ZN7rocprim17ROCPRIM_400000_NS6detail17trampoline_kernelINS0_14default_configENS1_36segmented_radix_sort_config_selectorIilEEZNS1_25segmented_radix_sort_implIS3_Lb0EPKiPiPKlPlN2at6native12_GLOBAL__N_18offset_tEEE10hipError_tPvRmT1_PNSt15iterator_traitsISK_E10value_typeET2_T3_PNSL_ISQ_E10value_typeET4_jRbjT5_SW_jjP12ihipStream_tbEUlT_E1_NS1_11comp_targetILNS1_3genE10ELNS1_11target_archE1200ELNS1_3gpuE4ELNS1_3repE0EEENS1_59segmented_radix_sort_warp_sort_small_config_static_selectorELNS0_4arch9wavefront6targetE0EEEvSK_,comdat
	.globl	_ZN7rocprim17ROCPRIM_400000_NS6detail17trampoline_kernelINS0_14default_configENS1_36segmented_radix_sort_config_selectorIilEEZNS1_25segmented_radix_sort_implIS3_Lb0EPKiPiPKlPlN2at6native12_GLOBAL__N_18offset_tEEE10hipError_tPvRmT1_PNSt15iterator_traitsISK_E10value_typeET2_T3_PNSL_ISQ_E10value_typeET4_jRbjT5_SW_jjP12ihipStream_tbEUlT_E1_NS1_11comp_targetILNS1_3genE10ELNS1_11target_archE1200ELNS1_3gpuE4ELNS1_3repE0EEENS1_59segmented_radix_sort_warp_sort_small_config_static_selectorELNS0_4arch9wavefront6targetE0EEEvSK_ ; -- Begin function _ZN7rocprim17ROCPRIM_400000_NS6detail17trampoline_kernelINS0_14default_configENS1_36segmented_radix_sort_config_selectorIilEEZNS1_25segmented_radix_sort_implIS3_Lb0EPKiPiPKlPlN2at6native12_GLOBAL__N_18offset_tEEE10hipError_tPvRmT1_PNSt15iterator_traitsISK_E10value_typeET2_T3_PNSL_ISQ_E10value_typeET4_jRbjT5_SW_jjP12ihipStream_tbEUlT_E1_NS1_11comp_targetILNS1_3genE10ELNS1_11target_archE1200ELNS1_3gpuE4ELNS1_3repE0EEENS1_59segmented_radix_sort_warp_sort_small_config_static_selectorELNS0_4arch9wavefront6targetE0EEEvSK_
	.p2align	8
	.type	_ZN7rocprim17ROCPRIM_400000_NS6detail17trampoline_kernelINS0_14default_configENS1_36segmented_radix_sort_config_selectorIilEEZNS1_25segmented_radix_sort_implIS3_Lb0EPKiPiPKlPlN2at6native12_GLOBAL__N_18offset_tEEE10hipError_tPvRmT1_PNSt15iterator_traitsISK_E10value_typeET2_T3_PNSL_ISQ_E10value_typeET4_jRbjT5_SW_jjP12ihipStream_tbEUlT_E1_NS1_11comp_targetILNS1_3genE10ELNS1_11target_archE1200ELNS1_3gpuE4ELNS1_3repE0EEENS1_59segmented_radix_sort_warp_sort_small_config_static_selectorELNS0_4arch9wavefront6targetE0EEEvSK_,@function
_ZN7rocprim17ROCPRIM_400000_NS6detail17trampoline_kernelINS0_14default_configENS1_36segmented_radix_sort_config_selectorIilEEZNS1_25segmented_radix_sort_implIS3_Lb0EPKiPiPKlPlN2at6native12_GLOBAL__N_18offset_tEEE10hipError_tPvRmT1_PNSt15iterator_traitsISK_E10value_typeET2_T3_PNSL_ISQ_E10value_typeET4_jRbjT5_SW_jjP12ihipStream_tbEUlT_E1_NS1_11comp_targetILNS1_3genE10ELNS1_11target_archE1200ELNS1_3gpuE4ELNS1_3repE0EEENS1_59segmented_radix_sort_warp_sort_small_config_static_selectorELNS0_4arch9wavefront6targetE0EEEvSK_: ; @_ZN7rocprim17ROCPRIM_400000_NS6detail17trampoline_kernelINS0_14default_configENS1_36segmented_radix_sort_config_selectorIilEEZNS1_25segmented_radix_sort_implIS3_Lb0EPKiPiPKlPlN2at6native12_GLOBAL__N_18offset_tEEE10hipError_tPvRmT1_PNSt15iterator_traitsISK_E10value_typeET2_T3_PNSL_ISQ_E10value_typeET4_jRbjT5_SW_jjP12ihipStream_tbEUlT_E1_NS1_11comp_targetILNS1_3genE10ELNS1_11target_archE1200ELNS1_3gpuE4ELNS1_3repE0EEENS1_59segmented_radix_sort_warp_sort_small_config_static_selectorELNS0_4arch9wavefront6targetE0EEEvSK_
; %bb.0:
	.section	.rodata,"a",@progbits
	.p2align	6, 0x0
	.amdhsa_kernel _ZN7rocprim17ROCPRIM_400000_NS6detail17trampoline_kernelINS0_14default_configENS1_36segmented_radix_sort_config_selectorIilEEZNS1_25segmented_radix_sort_implIS3_Lb0EPKiPiPKlPlN2at6native12_GLOBAL__N_18offset_tEEE10hipError_tPvRmT1_PNSt15iterator_traitsISK_E10value_typeET2_T3_PNSL_ISQ_E10value_typeET4_jRbjT5_SW_jjP12ihipStream_tbEUlT_E1_NS1_11comp_targetILNS1_3genE10ELNS1_11target_archE1200ELNS1_3gpuE4ELNS1_3repE0EEENS1_59segmented_radix_sort_warp_sort_small_config_static_selectorELNS0_4arch9wavefront6targetE0EEEvSK_
		.amdhsa_group_segment_fixed_size 0
		.amdhsa_private_segment_fixed_size 0
		.amdhsa_kernarg_size 88
		.amdhsa_user_sgpr_count 15
		.amdhsa_user_sgpr_dispatch_ptr 0
		.amdhsa_user_sgpr_queue_ptr 0
		.amdhsa_user_sgpr_kernarg_segment_ptr 1
		.amdhsa_user_sgpr_dispatch_id 0
		.amdhsa_user_sgpr_private_segment_size 0
		.amdhsa_wavefront_size32 1
		.amdhsa_uses_dynamic_stack 0
		.amdhsa_enable_private_segment 0
		.amdhsa_system_sgpr_workgroup_id_x 1
		.amdhsa_system_sgpr_workgroup_id_y 0
		.amdhsa_system_sgpr_workgroup_id_z 0
		.amdhsa_system_sgpr_workgroup_info 0
		.amdhsa_system_vgpr_workitem_id 0
		.amdhsa_next_free_vgpr 1
		.amdhsa_next_free_sgpr 1
		.amdhsa_reserve_vcc 0
		.amdhsa_float_round_mode_32 0
		.amdhsa_float_round_mode_16_64 0
		.amdhsa_float_denorm_mode_32 3
		.amdhsa_float_denorm_mode_16_64 3
		.amdhsa_dx10_clamp 1
		.amdhsa_ieee_mode 1
		.amdhsa_fp16_overflow 0
		.amdhsa_workgroup_processor_mode 1
		.amdhsa_memory_ordered 1
		.amdhsa_forward_progress 0
		.amdhsa_shared_vgpr_count 0
		.amdhsa_exception_fp_ieee_invalid_op 0
		.amdhsa_exception_fp_denorm_src 0
		.amdhsa_exception_fp_ieee_div_zero 0
		.amdhsa_exception_fp_ieee_overflow 0
		.amdhsa_exception_fp_ieee_underflow 0
		.amdhsa_exception_fp_ieee_inexact 0
		.amdhsa_exception_int_div_zero 0
	.end_amdhsa_kernel
	.section	.text._ZN7rocprim17ROCPRIM_400000_NS6detail17trampoline_kernelINS0_14default_configENS1_36segmented_radix_sort_config_selectorIilEEZNS1_25segmented_radix_sort_implIS3_Lb0EPKiPiPKlPlN2at6native12_GLOBAL__N_18offset_tEEE10hipError_tPvRmT1_PNSt15iterator_traitsISK_E10value_typeET2_T3_PNSL_ISQ_E10value_typeET4_jRbjT5_SW_jjP12ihipStream_tbEUlT_E1_NS1_11comp_targetILNS1_3genE10ELNS1_11target_archE1200ELNS1_3gpuE4ELNS1_3repE0EEENS1_59segmented_radix_sort_warp_sort_small_config_static_selectorELNS0_4arch9wavefront6targetE0EEEvSK_,"axG",@progbits,_ZN7rocprim17ROCPRIM_400000_NS6detail17trampoline_kernelINS0_14default_configENS1_36segmented_radix_sort_config_selectorIilEEZNS1_25segmented_radix_sort_implIS3_Lb0EPKiPiPKlPlN2at6native12_GLOBAL__N_18offset_tEEE10hipError_tPvRmT1_PNSt15iterator_traitsISK_E10value_typeET2_T3_PNSL_ISQ_E10value_typeET4_jRbjT5_SW_jjP12ihipStream_tbEUlT_E1_NS1_11comp_targetILNS1_3genE10ELNS1_11target_archE1200ELNS1_3gpuE4ELNS1_3repE0EEENS1_59segmented_radix_sort_warp_sort_small_config_static_selectorELNS0_4arch9wavefront6targetE0EEEvSK_,comdat
.Lfunc_end626:
	.size	_ZN7rocprim17ROCPRIM_400000_NS6detail17trampoline_kernelINS0_14default_configENS1_36segmented_radix_sort_config_selectorIilEEZNS1_25segmented_radix_sort_implIS3_Lb0EPKiPiPKlPlN2at6native12_GLOBAL__N_18offset_tEEE10hipError_tPvRmT1_PNSt15iterator_traitsISK_E10value_typeET2_T3_PNSL_ISQ_E10value_typeET4_jRbjT5_SW_jjP12ihipStream_tbEUlT_E1_NS1_11comp_targetILNS1_3genE10ELNS1_11target_archE1200ELNS1_3gpuE4ELNS1_3repE0EEENS1_59segmented_radix_sort_warp_sort_small_config_static_selectorELNS0_4arch9wavefront6targetE0EEEvSK_, .Lfunc_end626-_ZN7rocprim17ROCPRIM_400000_NS6detail17trampoline_kernelINS0_14default_configENS1_36segmented_radix_sort_config_selectorIilEEZNS1_25segmented_radix_sort_implIS3_Lb0EPKiPiPKlPlN2at6native12_GLOBAL__N_18offset_tEEE10hipError_tPvRmT1_PNSt15iterator_traitsISK_E10value_typeET2_T3_PNSL_ISQ_E10value_typeET4_jRbjT5_SW_jjP12ihipStream_tbEUlT_E1_NS1_11comp_targetILNS1_3genE10ELNS1_11target_archE1200ELNS1_3gpuE4ELNS1_3repE0EEENS1_59segmented_radix_sort_warp_sort_small_config_static_selectorELNS0_4arch9wavefront6targetE0EEEvSK_
                                        ; -- End function
	.section	.AMDGPU.csdata,"",@progbits
; Kernel info:
; codeLenInByte = 0
; NumSgprs: 0
; NumVgprs: 0
; ScratchSize: 0
; MemoryBound: 0
; FloatMode: 240
; IeeeMode: 1
; LDSByteSize: 0 bytes/workgroup (compile time only)
; SGPRBlocks: 0
; VGPRBlocks: 0
; NumSGPRsForWavesPerEU: 1
; NumVGPRsForWavesPerEU: 1
; Occupancy: 16
; WaveLimiterHint : 0
; COMPUTE_PGM_RSRC2:SCRATCH_EN: 0
; COMPUTE_PGM_RSRC2:USER_SGPR: 15
; COMPUTE_PGM_RSRC2:TRAP_HANDLER: 0
; COMPUTE_PGM_RSRC2:TGID_X_EN: 1
; COMPUTE_PGM_RSRC2:TGID_Y_EN: 0
; COMPUTE_PGM_RSRC2:TGID_Z_EN: 0
; COMPUTE_PGM_RSRC2:TIDIG_COMP_CNT: 0
	.text
	.p2align	2                               ; -- Begin function _ZN7rocprim17ROCPRIM_400000_NS6detail26segmented_warp_sort_helperINS1_20WarpSortHelperConfigILj8ELj4ELj256EEEilLi256ELb0EvE4sortIPKiPiPKlPlEEvT_T0_T1_T2_jjjjRNS5_12storage_typeE
	.type	_ZN7rocprim17ROCPRIM_400000_NS6detail26segmented_warp_sort_helperINS1_20WarpSortHelperConfigILj8ELj4ELj256EEEilLi256ELb0EvE4sortIPKiPiPKlPlEEvT_T0_T1_T2_jjjjRNS5_12storage_typeE,@function
_ZN7rocprim17ROCPRIM_400000_NS6detail26segmented_warp_sort_helperINS1_20WarpSortHelperConfigILj8ELj4ELj256EEEilLi256ELb0EvE4sortIPKiPiPKlPlEEvT_T0_T1_T2_jjjjRNS5_12storage_typeE: ; @_ZN7rocprim17ROCPRIM_400000_NS6detail26segmented_warp_sort_helperINS1_20WarpSortHelperConfigILj8ELj4ELj256EEEilLi256ELb0EvE4sortIPKiPiPKlPlEEvT_T0_T1_T2_jjjjRNS5_12storage_typeE
; %bb.0:
	s_waitcnt vmcnt(0) expcnt(0) lgkmcnt(0)
	v_mov_b32_e32 v14, v9
	v_mbcnt_lo_u32_b32 v9, -1, 0
	v_bfrev_b32_e32 v81, -2
	v_bfrev_b32_e32 v80, -2
	s_delay_alu instid0(VALU_DEP_3) | instskip(SKIP_2) | instid1(VALU_DEP_3)
	v_lshlrev_b32_e32 v87, 2, v9
	v_mov_b32_e32 v9, 0
	v_sub_nc_u32_e32 v14, v14, v8
	v_and_b32_e32 v96, 28, v87
	s_delay_alu instid0(VALU_DEP_3) | instskip(NEXT) | instid1(VALU_DEP_2)
	v_lshlrev_b64 v[84:85], 2, v[8:9]
	v_lshlrev_b32_e32 v30, 2, v96
	s_delay_alu instid0(VALU_DEP_2) | instskip(NEXT) | instid1(VALU_DEP_3)
	v_add_co_u32 v0, vcc_lo, v0, v84
	v_add_co_ci_u32_e32 v1, vcc_lo, v1, v85, vcc_lo
	s_delay_alu instid0(VALU_DEP_2) | instskip(NEXT) | instid1(VALU_DEP_2)
	v_add_co_u32 v0, vcc_lo, v0, v30
	v_add_co_ci_u32_e32 v1, vcc_lo, 0, v1, vcc_lo
	v_cmp_lt_u32_e32 vcc_lo, v96, v14
	s_and_saveexec_b32 s0, vcc_lo
	s_cbranch_execz .LBB627_2
; %bb.1:
	flat_load_b32 v80, v[0:1]
.LBB627_2:
	s_or_b32 exec_lo, exec_lo, s0
	v_or_b32_e32 v15, 1, v96
	s_delay_alu instid0(VALU_DEP_1) | instskip(NEXT) | instid1(VALU_DEP_1)
	v_cmp_lt_u32_e64 s0, v15, v14
	s_and_saveexec_b32 s1, s0
	s_cbranch_execz .LBB627_4
; %bb.3:
	flat_load_b32 v81, v[0:1] offset:4
.LBB627_4:
	s_or_b32 exec_lo, exec_lo, s1
	v_or_b32_e32 v15, 2, v96
	v_bfrev_b32_e32 v83, -2
	v_bfrev_b32_e32 v82, -2
	s_delay_alu instid0(VALU_DEP_3) | instskip(NEXT) | instid1(VALU_DEP_1)
	v_cmp_lt_u32_e64 s1, v15, v14
	s_and_saveexec_b32 s2, s1
	s_cbranch_execz .LBB627_6
; %bb.5:
	flat_load_b32 v82, v[0:1] offset:8
.LBB627_6:
	s_or_b32 exec_lo, exec_lo, s2
	v_or_b32_e32 v15, 3, v96
	s_delay_alu instid0(VALU_DEP_1) | instskip(NEXT) | instid1(VALU_DEP_1)
	v_cmp_lt_u32_e64 s2, v15, v14
	s_and_saveexec_b32 s3, s2
	s_cbranch_execz .LBB627_8
; %bb.7:
	flat_load_b32 v83, v[0:1] offset:12
.LBB627_8:
	s_or_b32 exec_lo, exec_lo, s3
	v_lshlrev_b64 v[0:1], 3, v[8:9]
	v_lshlrev_b32_e32 v86, 3, v96
	; wave barrier
                                        ; implicit-def: $vgpr14_vgpr15
	s_delay_alu instid0(VALU_DEP_2) | instskip(NEXT) | instid1(VALU_DEP_1)
	v_add_co_u32 v4, s3, v4, v0
	v_add_co_ci_u32_e64 v5, s3, v5, v1, s3
	s_delay_alu instid0(VALU_DEP_2) | instskip(NEXT) | instid1(VALU_DEP_1)
	v_add_co_u32 v4, s3, v4, v86
	v_add_co_ci_u32_e64 v5, s3, 0, v5, s3
	s_and_saveexec_b32 s3, vcc_lo
	s_cbranch_execz .LBB627_10
; %bb.9:
	flat_load_b64 v[14:15], v[4:5]
.LBB627_10:
	s_or_b32 exec_lo, exec_lo, s3
	s_and_saveexec_b32 s3, s0
                                        ; implicit-def: $vgpr32_vgpr33_vgpr34_vgpr35_vgpr36_vgpr37_vgpr38_vgpr39
                                        ; implicit-def: $vgpr22_vgpr23_vgpr24_vgpr25_vgpr26_vgpr27_vgpr28_vgpr29
	s_cbranch_execz .LBB627_98
; %bb.11:
	flat_load_b64 v[16:17], v[4:5] offset:8
                                        ; implicit-def: $vgpr32_vgpr33_vgpr34_vgpr35_vgpr36_vgpr37_vgpr38_vgpr39
                                        ; implicit-def: $vgpr22_vgpr23_vgpr24_vgpr25_vgpr26_vgpr27_vgpr28_vgpr29
	s_or_b32 exec_lo, exec_lo, s3
                                        ; implicit-def: $vgpr18_vgpr19
	s_and_saveexec_b32 s3, s1
	s_cbranch_execnz .LBB627_99
.LBB627_12:
	s_or_b32 exec_lo, exec_lo, s3
	s_and_saveexec_b32 s3, s2
	s_cbranch_execz .LBB627_14
.LBB627_13:
	flat_load_b64 v[28:29], v[4:5] offset:24
	s_waitcnt vmcnt(0) lgkmcnt(0)
	v_dual_mov_b32 v20, v28 :: v_dual_mov_b32 v21, v29
.LBB627_14:
	s_or_b32 exec_lo, exec_lo, s3
	v_cmp_ne_u32_e64 s3, 0, v10
	v_cmp_ne_u32_e64 s4, 32, v11
	v_bfe_u32 v8, v31, 10, 10
	v_bfe_u32 v9, v31, 20, 10
	v_and_b32_e32 v4, 0x3ff, v31
	s_delay_alu instid0(VALU_DEP_4) | instskip(NEXT) | instid1(SALU_CYCLE_1)
	s_or_b32 s3, s3, s4
	; wave barrier
	s_and_saveexec_b32 s4, s3
	s_delay_alu instid0(SALU_CYCLE_1)
	s_xor_b32 s11, exec_lo, s4
	s_cbranch_execz .LBB627_58
; %bb.15:
	s_load_b64 s[4:5], s[8:9], 0x0
	v_mov_b32_e32 v5, 0
	s_waitcnt lgkmcnt(0)
	s_cmp_lt_u32 s13, s5
	s_cselect_b32 s3, 14, 20
	s_delay_alu instid0(SALU_CYCLE_1) | instskip(SKIP_4) | instid1(SALU_CYCLE_1)
	s_add_u32 s6, s8, s3
	s_addc_u32 s7, s9, 0
	s_cmp_lt_u32 s12, s4
	global_load_u16 v22, v5, s[6:7]
	s_cselect_b32 s3, 12, 18
	s_add_u32 s4, s8, s3
	s_addc_u32 s5, s9, 0
	global_load_u16 v5, v5, s[4:5]
	s_mov_b32 s5, exec_lo
	s_waitcnt vmcnt(1)
	v_mad_u32_u24 v8, v9, v22, v8
	v_lshlrev_b32_e64 v9, v10, -1
	s_waitcnt vmcnt(0)
	s_delay_alu instid0(VALU_DEP_2) | instskip(SKIP_1) | instid1(VALU_DEP_1)
	v_mul_lo_u32 v5, v8, v5
	v_lshlrev_b32_e64 v8, v11, -1
	v_xor_b32_e32 v31, v8, v9
	s_delay_alu instid0(VALU_DEP_3) | instskip(NEXT) | instid1(VALU_DEP_1)
	v_add_lshl_u32 v10, v5, v4, 2
	v_cmpx_gt_u32_e32 0x400, v10
	s_cbranch_execz .LBB627_27
; %bb.16:
	s_delay_alu instid0(VALU_DEP_3) | instskip(SKIP_4) | instid1(VALU_DEP_3)
	v_and_b32_e32 v4, v81, v31
	v_dual_mov_b32 v8, v82 :: v_dual_and_b32 v5, v80, v31
	v_and_b32_e32 v18, v83, v31
	v_and_b32_e32 v34, v82, v31
	s_mov_b32 s6, exec_lo
	v_cmp_gt_u32_e64 s3, v5, v4
	s_delay_alu instid0(VALU_DEP_1)
	v_cndmask_b32_e64 v5, v17, v15, s3
	v_cndmask_b32_e64 v4, v16, v14, s3
	;; [unrolled: 1-line block ×4, first 2 shown]
	v_cmpx_gt_u32_e64 v34, v18
; %bb.17:
	v_dual_mov_b32 v14, v36 :: v_dual_mov_b32 v15, v37
	v_dual_mov_b32 v34, v18 :: v_dual_mov_b32 v37, v29
	v_mov_b32_e32 v36, v28
	v_dual_mov_b32 v8, v83 :: v_dual_mov_b32 v83, v82
	s_delay_alu instid0(VALU_DEP_4)
	v_dual_mov_b32 v29, v15 :: v_dual_mov_b32 v28, v14
; %bb.18:
	s_or_b32 exec_lo, exec_lo, s6
	v_cndmask_b32_e64 v35, v81, v80, s3
                                        ; implicit-def: $vgpr33
	s_delay_alu instid0(VALU_DEP_1) | instskip(NEXT) | instid1(VALU_DEP_1)
	v_and_b32_e32 v32, v35, v31
	v_cmp_le_i32_e64 s4, v32, v34
	s_delay_alu instid0(VALU_DEP_1) | instskip(NEXT) | instid1(SALU_CYCLE_1)
	s_and_saveexec_b32 s6, s4
	s_xor_b32 s4, exec_lo, s6
                                        ; implicit-def: $vgpr48_vgpr49_vgpr50_vgpr51_vgpr52_vgpr53_vgpr54_vgpr55
                                        ; implicit-def: $vgpr64_vgpr65_vgpr66_vgpr67_vgpr68_vgpr69_vgpr70_vgpr71
                                        ; implicit-def: $vgpr14_vgpr15_vgpr16_vgpr17_vgpr18_vgpr19_vgpr20_vgpr21
; %bb.19:
	v_dual_mov_b32 v50, v4 :: v_dual_mov_b32 v67, v5
	v_dual_mov_b32 v4, v36 :: v_dual_mov_b32 v5, v37
	;; [unrolled: 1-line block ×3, first 2 shown]
	v_and_b32_e32 v33, v8, v31
                                        ; implicit-def: $vgpr36_vgpr37
                                        ; implicit-def: $vgpr34
                                        ; implicit-def: $vgpr22_vgpr23_vgpr24_vgpr25_vgpr26_vgpr27_vgpr28_vgpr29
; %bb.20:
	s_or_saveexec_b32 s4, s4
	v_mov_b32_e32 v18, v35
	s_xor_b32 exec_lo, exec_lo, s4
; %bb.21:
	v_dual_mov_b32 v50, v36 :: v_dual_mov_b32 v67, v37
	v_dual_mov_b32 v20, v28 :: v_dual_mov_b32 v21, v29
	v_mov_b32_e32 v33, v32
	v_mov_b32_e32 v18, v8
	;; [unrolled: 1-line block ×4, first 2 shown]
; %bb.22:
	s_or_b32 exec_lo, exec_lo, s4
	v_cndmask_b32_e64 v19, v80, v81, s3
	v_and_b32_e32 v22, v83, v31
	s_mov_b32 s6, exec_lo
	s_delay_alu instid0(VALU_DEP_2) | instskip(NEXT) | instid1(VALU_DEP_1)
	v_and_b32_e32 v14, v19, v31
	v_cmp_gt_i32_e64 s3, v14, v32
	s_delay_alu instid0(VALU_DEP_1)
	v_cndmask_b32_e64 v17, v67, v11, s3
	v_cndmask_b32_e64 v16, v50, v9, s3
	;; [unrolled: 1-line block ×3, first 2 shown]
	v_mov_b32_e32 v11, v8
	v_cndmask_b32_e64 v14, v9, v50, s3
	v_cmpx_gt_u32_e64 v33, v22
; %bb.23:
	v_dual_mov_b32 v24, v5 :: v_dual_mov_b32 v23, v4
	v_dual_mov_b32 v11, v83 :: v_dual_mov_b32 v4, v20
	v_mov_b32_e32 v83, v8
	s_delay_alu instid0(VALU_DEP_3)
	v_dual_mov_b32 v5, v21 :: v_dual_mov_b32 v20, v23
	v_mov_b32_e32 v33, v22
	v_mov_b32_e32 v21, v24
; %bb.24:
	s_or_b32 exec_lo, exec_lo, s6
	v_cndmask_b32_e64 v81, v18, v19, s3
	v_dual_mov_b32 v9, v5 :: v_dual_mov_b32 v8, v4
	v_mov_b32_e32 v82, v11
	s_mov_b32 s6, exec_lo
	s_delay_alu instid0(VALU_DEP_3) | instskip(NEXT) | instid1(VALU_DEP_1)
	v_and_b32_e32 v22, v81, v31
	v_cmpx_gt_i32_e64 v22, v33
; %bb.25:
	v_dual_mov_b32 v8, v16 :: v_dual_mov_b32 v9, v17
	v_dual_mov_b32 v17, v5 :: v_dual_mov_b32 v16, v4
	v_dual_mov_b32 v82, v81 :: v_dual_mov_b32 v81, v11
; %bb.26:
	s_or_b32 exec_lo, exec_lo, s6
	v_cndmask_b32_e64 v80, v19, v18, s3
	v_dual_mov_b32 v19, v9 :: v_dual_mov_b32 v18, v8
.LBB627_27:
	s_or_b32 exec_lo, exec_lo, s5
	v_dual_mov_b32 v11, 0 :: v_dual_and_b32 v10, 0xffffff80, v10
	v_or_b32_e32 v22, 4, v87
	s_mov_b32 s4, exec_lo
	s_delay_alu instid0(VALU_DEP_2) | instskip(NEXT) | instid1(VALU_DEP_3)
	v_sub_nc_u32_e64 v26, 0x400, v10 clamp
	v_lshlrev_b64 v[4:5], 2, v[10:11]
	v_lshlrev_b64 v[8:9], 3, v[10:11]
	s_delay_alu instid0(VALU_DEP_3) | instskip(NEXT) | instid1(VALU_DEP_3)
	v_min_u32_e32 v27, v26, v22
	v_add_co_u32 v24, s3, v12, v4
	s_delay_alu instid0(VALU_DEP_1) | instskip(NEXT) | instid1(VALU_DEP_4)
	v_add_co_ci_u32_e64 v25, s3, v13, v5, s3
	v_add_co_u32 v4, s3, v12, v8
	s_delay_alu instid0(VALU_DEP_1) | instskip(SKIP_1) | instid1(VALU_DEP_3)
	v_add_co_ci_u32_e64 v5, s3, v13, v9, s3
	v_add_nc_u32_e32 v8, 4, v27
	v_add_co_u32 v22, s3, 0x1000, v4
	s_delay_alu instid0(VALU_DEP_1)
	v_add_co_ci_u32_e64 v23, s3, 0, v5, s3
	v_and_b32_e32 v4, 4, v87
	v_and_b32_e32 v12, 0x78, v87
	v_min_u32_e32 v28, v26, v8
	v_lshlrev_b32_e32 v5, 3, v87
	v_lshlrev_b32_e32 v8, 2, v87
	v_min_u32_e32 v13, v26, v4
	v_sub_nc_u32_e32 v9, v27, v12
	v_sub_nc_u32_e32 v10, v28, v27
	v_add_co_u32 v4, s3, v22, v5
	s_delay_alu instid0(VALU_DEP_1) | instskip(SKIP_1) | instid1(VALU_DEP_4)
	v_add_co_ci_u32_e64 v5, s3, 0, v23, s3
	v_add_co_u32 v8, s3, v24, v8
	v_sub_nc_u32_e64 v29, v13, v10 clamp
	v_min_u32_e32 v32, v13, v9
	v_add_co_ci_u32_e64 v9, s3, 0, v25, s3
	s_clause 0x2
	flat_store_b128 v[4:5], v[14:17]
	flat_store_b128 v[8:9], v[80:83]
	flat_store_b128 v[4:5], v[18:21] offset:16
	; wave barrier
	v_cmpx_lt_u32_e64 v29, v32
	s_cbranch_execz .LBB627_31
; %bb.28:
	v_lshlrev_b32_e32 v10, 2, v12
	v_lshlrev_b32_e32 v35, 2, v27
	s_mov_b32 s5, 0
	s_delay_alu instid0(VALU_DEP_2) | instskip(NEXT) | instid1(VALU_DEP_1)
	v_add_co_u32 v33, s3, v24, v10
	v_add_co_ci_u32_e64 v34, s3, 0, v25, s3
	s_delay_alu instid0(VALU_DEP_3) | instskip(NEXT) | instid1(VALU_DEP_1)
	v_add_co_u32 v35, s3, v24, v35
	v_add_co_ci_u32_e64 v36, s3, 0, v25, s3
	s_set_inst_prefetch_distance 0x1
	.p2align	6
.LBB627_29:                             ; =>This Inner Loop Header: Depth=1
	v_add_nc_u32_e32 v10, v32, v29
	v_mov_b32_e32 v38, v11
	s_delay_alu instid0(VALU_DEP_2) | instskip(NEXT) | instid1(VALU_DEP_1)
	v_lshrrev_b32_e32 v10, 1, v10
	v_xad_u32 v37, v10, -1, v13
	v_lshlrev_b64 v[48:49], 2, v[10:11]
	s_delay_alu instid0(VALU_DEP_2) | instskip(NEXT) | instid1(VALU_DEP_2)
	v_lshlrev_b64 v[37:38], 2, v[37:38]
	v_add_co_u32 v48, s3, v33, v48
	s_delay_alu instid0(VALU_DEP_1) | instskip(NEXT) | instid1(VALU_DEP_3)
	v_add_co_ci_u32_e64 v49, s3, v34, v49, s3
	v_add_co_u32 v37, s3, v35, v37
	s_delay_alu instid0(VALU_DEP_1)
	v_add_co_ci_u32_e64 v38, s3, v36, v38, s3
	s_clause 0x1
	flat_load_b32 v39, v[48:49]
	flat_load_b32 v37, v[37:38]
	s_waitcnt vmcnt(1) lgkmcnt(1)
	v_and_b32_e32 v38, v39, v31
	s_waitcnt vmcnt(0) lgkmcnt(0)
	v_and_b32_e32 v37, v37, v31
	v_add_nc_u32_e32 v39, 1, v10
	s_delay_alu instid0(VALU_DEP_2) | instskip(NEXT) | instid1(VALU_DEP_1)
	v_cmp_gt_u32_e64 s3, v38, v37
	v_cndmask_b32_e64 v32, v32, v10, s3
	s_delay_alu instid0(VALU_DEP_3) | instskip(NEXT) | instid1(VALU_DEP_1)
	v_cndmask_b32_e64 v29, v39, v29, s3
	v_cmp_ge_u32_e64 s3, v29, v32
	s_delay_alu instid0(VALU_DEP_1) | instskip(NEXT) | instid1(SALU_CYCLE_1)
	s_or_b32 s5, s3, s5
	s_and_not1_b32 exec_lo, exec_lo, s5
	s_cbranch_execnz .LBB627_29
; %bb.30:
	s_set_inst_prefetch_distance 0x2
	s_or_b32 exec_lo, exec_lo, s5
.LBB627_31:
	s_delay_alu instid0(SALU_CYCLE_1) | instskip(SKIP_2) | instid1(VALU_DEP_2)
	s_or_b32 exec_lo, exec_lo, s4
	v_add_nc_u32_e32 v10, v27, v13
	v_add_nc_u32_e32 v12, v29, v12
	v_sub_nc_u32_e32 v10, v10, v29
	s_delay_alu instid0(VALU_DEP_2) | instskip(NEXT) | instid1(VALU_DEP_2)
	v_cmp_le_u32_e64 s3, v12, v27
	v_cmp_le_u32_e64 s4, v10, v28
	s_delay_alu instid0(VALU_DEP_1) | instskip(NEXT) | instid1(SALU_CYCLE_1)
	s_or_b32 s3, s3, s4
	s_and_saveexec_b32 s14, s3
	s_cbranch_execz .LBB627_37
; %bb.32:
	v_cmp_lt_u32_e64 s3, v12, v27
                                        ; implicit-def: $vgpr13
	s_delay_alu instid0(VALU_DEP_1)
	s_and_saveexec_b32 s5, s3
	s_cbranch_execz .LBB627_34
; %bb.33:
	v_mov_b32_e32 v13, 0
	s_delay_alu instid0(VALU_DEP_1) | instskip(NEXT) | instid1(VALU_DEP_1)
	v_lshlrev_b64 v[13:14], 2, v[12:13]
	v_add_co_u32 v13, s4, v24, v13
	s_delay_alu instid0(VALU_DEP_1)
	v_add_co_ci_u32_e64 v14, s4, v25, v14, s4
	flat_load_b32 v13, v[13:14]
.LBB627_34:
	s_or_b32 exec_lo, exec_lo, s5
	v_cmp_ge_u32_e64 s4, v10, v28
	s_mov_b32 s6, exec_lo
                                        ; implicit-def: $vgpr11
	v_cmpx_lt_u32_e64 v10, v28
	s_cbranch_execz .LBB627_36
; %bb.35:
	v_mov_b32_e32 v11, 0
	s_delay_alu instid0(VALU_DEP_1) | instskip(NEXT) | instid1(VALU_DEP_1)
	v_lshlrev_b64 v[14:15], 2, v[10:11]
	v_add_co_u32 v14, s5, v24, v14
	s_delay_alu instid0(VALU_DEP_1)
	v_add_co_ci_u32_e64 v15, s5, v25, v15, s5
	flat_load_b32 v11, v[14:15]
.LBB627_36:
	s_or_b32 exec_lo, exec_lo, s6
	s_waitcnt vmcnt(0) lgkmcnt(0)
	v_and_b32_e32 v14, v11, v31
	v_and_b32_e32 v15, v13, v31
	s_delay_alu instid0(VALU_DEP_1) | instskip(SKIP_1) | instid1(VALU_DEP_2)
	v_cmp_le_u32_e64 s5, v15, v14
	v_mov_b32_e32 v15, 0
	s_and_b32 s3, s3, s5
	s_delay_alu instid0(SALU_CYCLE_1) | instskip(NEXT) | instid1(SALU_CYCLE_1)
	s_or_b32 s3, s4, s3
	v_cndmask_b32_e64 v14, v10, v12, s3
	v_cndmask_b32_e64 v16, v28, v27, s3
	v_cndmask_b32_e64 v80, v11, v13, s3
	s_delay_alu instid0(VALU_DEP_3) | instskip(NEXT) | instid1(VALU_DEP_3)
	v_add_nc_u32_e32 v20, 1, v14
	v_add_nc_u32_e32 v18, -1, v16
	v_lshlrev_b64 v[16:17], 3, v[14:15]
	s_delay_alu instid0(VALU_DEP_3) | instskip(NEXT) | instid1(VALU_DEP_3)
	v_cndmask_b32_e64 v12, v12, v20, s3
	v_min_u32_e32 v14, v20, v18
	v_cndmask_b32_e64 v10, v20, v10, s3
	s_delay_alu instid0(VALU_DEP_2) | instskip(NEXT) | instid1(VALU_DEP_2)
	v_lshlrev_b64 v[18:19], 2, v[14:15]
	v_cmp_ge_u32_e64 s6, v10, v28
	s_delay_alu instid0(VALU_DEP_2) | instskip(NEXT) | instid1(VALU_DEP_1)
	v_add_co_u32 v18, s4, v24, v18
	v_add_co_ci_u32_e64 v19, s4, v25, v19, s4
	v_cmp_lt_u32_e64 s4, v12, v27
	flat_load_b32 v14, v[18:19]
	s_waitcnt vmcnt(0) lgkmcnt(0)
	v_cndmask_b32_e64 v29, v14, v11, s3
	v_cndmask_b32_e64 v34, v13, v14, s3
	s_delay_alu instid0(VALU_DEP_2) | instskip(NEXT) | instid1(VALU_DEP_2)
	v_and_b32_e32 v14, v29, v31
	v_and_b32_e32 v18, v34, v31
	s_delay_alu instid0(VALU_DEP_1) | instskip(NEXT) | instid1(VALU_DEP_1)
	v_cmp_le_u32_e64 s5, v18, v14
	s_and_b32 s4, s4, s5
	s_delay_alu instid0(SALU_CYCLE_1) | instskip(NEXT) | instid1(SALU_CYCLE_1)
	s_or_b32 s4, s6, s4
	v_cndmask_b32_e64 v14, v10, v12, s4
	v_cndmask_b32_e64 v18, v28, v27, s4
	v_cndmask_b32_e64 v81, v29, v34, s4
	s_delay_alu instid0(VALU_DEP_3) | instskip(NEXT) | instid1(VALU_DEP_3)
	v_add_nc_u32_e32 v32, 1, v14
	v_add_nc_u32_e32 v20, -1, v18
	v_lshlrev_b64 v[18:19], 3, v[14:15]
	s_delay_alu instid0(VALU_DEP_3) | instskip(NEXT) | instid1(VALU_DEP_3)
	v_cndmask_b32_e64 v12, v12, v32, s4
	v_min_u32_e32 v14, v32, v20
	v_cndmask_b32_e64 v10, v32, v10, s4
	s_delay_alu instid0(VALU_DEP_2) | instskip(NEXT) | instid1(VALU_DEP_2)
	v_lshlrev_b64 v[20:21], 2, v[14:15]
	v_cmp_ge_u32_e64 s7, v10, v28
	s_delay_alu instid0(VALU_DEP_2) | instskip(NEXT) | instid1(VALU_DEP_1)
	v_add_co_u32 v20, s5, v24, v20
	v_add_co_ci_u32_e64 v21, s5, v25, v21, s5
	v_cmp_lt_u32_e64 s5, v12, v27
	flat_load_b32 v14, v[20:21]
	s_waitcnt vmcnt(0) lgkmcnt(0)
	v_cndmask_b32_e64 v35, v14, v29, s4
	v_cndmask_b32_e64 v36, v34, v14, s4
	s_delay_alu instid0(VALU_DEP_2) | instskip(NEXT) | instid1(VALU_DEP_2)
	v_and_b32_e32 v14, v35, v31
	v_and_b32_e32 v20, v36, v31
	s_delay_alu instid0(VALU_DEP_1) | instskip(NEXT) | instid1(VALU_DEP_1)
	v_cmp_le_u32_e64 s6, v20, v14
	;; [unrolled: 30-line block ×3, first 2 shown]
	s_and_b32 s7, s6, s7
	v_add_co_u32 v16, s6, v22, v16
	s_delay_alu instid0(VALU_DEP_1)
	v_add_co_ci_u32_e64 v17, s6, v23, v17, s6
	s_or_b32 s6, s10, s7
	v_add_co_u32 v18, s7, v22, v18
	v_cndmask_b32_e64 v14, v10, v12, s6
	v_add_co_ci_u32_e64 v19, s7, v23, v19, s7
	v_add_co_u32 v20, s7, v22, v20
	s_delay_alu instid0(VALU_DEP_3) | instskip(SKIP_2) | instid1(VALU_DEP_3)
	v_lshlrev_b64 v[14:15], 3, v[14:15]
	v_add_co_ci_u32_e64 v21, s7, v23, v21, s7
	v_cndmask_b32_e64 v83, v32, v33, s6
	v_add_co_u32 v27, s7, v22, v14
	s_delay_alu instid0(VALU_DEP_1)
	v_add_co_ci_u32_e64 v28, s7, v23, v15, s7
	s_clause 0x3
	flat_load_b64 v[14:15], v[16:17]
	flat_load_b64 v[16:17], v[18:19]
	;; [unrolled: 1-line block ×4, first 2 shown]
.LBB627_37:
	s_or_b32 exec_lo, exec_lo, s14
	v_and_b32_e32 v12, 0x70, v87
	v_and_b32_e32 v11, 12, v87
	s_mov_b32 s4, exec_lo
	; wave barrier
	s_delay_alu instid0(VALU_DEP_2) | instskip(NEXT) | instid1(VALU_DEP_2)
	v_or_b32_e32 v10, 8, v12
	v_min_u32_e32 v13, v26, v11
	s_waitcnt vmcnt(2) lgkmcnt(2)
	s_clause 0x1
	flat_store_b128 v[4:5], v[14:17]
	flat_store_b128 v[8:9], v[80:83]
	s_waitcnt vmcnt(0) lgkmcnt(2)
	flat_store_b128 v[4:5], v[18:21] offset:16
	; wave barrier
	v_min_u32_e32 v27, v26, v10
	s_delay_alu instid0(VALU_DEP_1) | instskip(NEXT) | instid1(VALU_DEP_1)
	v_add_nc_u32_e32 v10, 8, v27
	v_min_u32_e32 v28, v26, v10
	v_sub_nc_u32_e32 v10, v27, v12
	s_delay_alu instid0(VALU_DEP_2) | instskip(NEXT) | instid1(VALU_DEP_2)
	v_sub_nc_u32_e32 v11, v28, v27
	v_min_u32_e32 v32, v13, v10
	s_delay_alu instid0(VALU_DEP_2) | instskip(NEXT) | instid1(VALU_DEP_1)
	v_sub_nc_u32_e64 v29, v13, v11 clamp
	v_cmpx_lt_u32_e64 v29, v32
	s_cbranch_execz .LBB627_41
; %bb.38:
	v_lshlrev_b32_e32 v10, 2, v12
	v_lshlrev_b32_e32 v11, 2, v27
	s_mov_b32 s5, 0
	s_delay_alu instid0(VALU_DEP_2) | instskip(NEXT) | instid1(VALU_DEP_1)
	v_add_co_u32 v33, s3, v24, v10
	v_add_co_ci_u32_e64 v34, s3, 0, v25, s3
	s_delay_alu instid0(VALU_DEP_3)
	v_add_co_u32 v35, s3, v24, v11
	v_mov_b32_e32 v11, 0
	v_add_co_ci_u32_e64 v36, s3, 0, v25, s3
	s_set_inst_prefetch_distance 0x1
	.p2align	6
.LBB627_39:                             ; =>This Inner Loop Header: Depth=1
	v_add_nc_u32_e32 v10, v32, v29
	s_delay_alu instid0(VALU_DEP_3) | instskip(NEXT) | instid1(VALU_DEP_2)
	v_mov_b32_e32 v38, v11
	v_lshrrev_b32_e32 v10, 1, v10
	s_delay_alu instid0(VALU_DEP_1) | instskip(SKIP_1) | instid1(VALU_DEP_2)
	v_xad_u32 v37, v10, -1, v13
	v_lshlrev_b64 v[48:49], 2, v[10:11]
	v_lshlrev_b64 v[37:38], 2, v[37:38]
	s_delay_alu instid0(VALU_DEP_2) | instskip(NEXT) | instid1(VALU_DEP_1)
	v_add_co_u32 v48, s3, v33, v48
	v_add_co_ci_u32_e64 v49, s3, v34, v49, s3
	s_delay_alu instid0(VALU_DEP_3) | instskip(NEXT) | instid1(VALU_DEP_1)
	v_add_co_u32 v37, s3, v35, v37
	v_add_co_ci_u32_e64 v38, s3, v36, v38, s3
	s_clause 0x1
	flat_load_b32 v39, v[48:49]
	flat_load_b32 v37, v[37:38]
	s_waitcnt vmcnt(1) lgkmcnt(1)
	v_and_b32_e32 v38, v39, v31
	s_waitcnt vmcnt(0) lgkmcnt(0)
	v_and_b32_e32 v37, v37, v31
	v_add_nc_u32_e32 v39, 1, v10
	s_delay_alu instid0(VALU_DEP_2) | instskip(NEXT) | instid1(VALU_DEP_1)
	v_cmp_gt_u32_e64 s3, v38, v37
	v_cndmask_b32_e64 v32, v32, v10, s3
	s_delay_alu instid0(VALU_DEP_3) | instskip(NEXT) | instid1(VALU_DEP_1)
	v_cndmask_b32_e64 v29, v39, v29, s3
	v_cmp_ge_u32_e64 s3, v29, v32
	s_delay_alu instid0(VALU_DEP_1) | instskip(NEXT) | instid1(SALU_CYCLE_1)
	s_or_b32 s5, s3, s5
	s_and_not1_b32 exec_lo, exec_lo, s5
	s_cbranch_execnz .LBB627_39
; %bb.40:
	s_set_inst_prefetch_distance 0x2
	s_or_b32 exec_lo, exec_lo, s5
.LBB627_41:
	s_delay_alu instid0(SALU_CYCLE_1) | instskip(SKIP_2) | instid1(VALU_DEP_2)
	s_or_b32 exec_lo, exec_lo, s4
	v_add_nc_u32_e32 v10, v27, v13
	v_add_nc_u32_e32 v12, v29, v12
	v_sub_nc_u32_e32 v10, v10, v29
	s_delay_alu instid0(VALU_DEP_2) | instskip(NEXT) | instid1(VALU_DEP_2)
	v_cmp_le_u32_e64 s3, v12, v27
	v_cmp_le_u32_e64 s4, v10, v28
	s_delay_alu instid0(VALU_DEP_1) | instskip(NEXT) | instid1(SALU_CYCLE_1)
	s_or_b32 s3, s3, s4
	s_and_saveexec_b32 s14, s3
	s_cbranch_execz .LBB627_47
; %bb.42:
	v_cmp_lt_u32_e64 s3, v12, v27
                                        ; implicit-def: $vgpr13
	s_delay_alu instid0(VALU_DEP_1)
	s_and_saveexec_b32 s5, s3
	s_cbranch_execz .LBB627_44
; %bb.43:
	v_mov_b32_e32 v13, 0
	s_delay_alu instid0(VALU_DEP_1) | instskip(NEXT) | instid1(VALU_DEP_1)
	v_lshlrev_b64 v[13:14], 2, v[12:13]
	v_add_co_u32 v13, s4, v24, v13
	s_delay_alu instid0(VALU_DEP_1)
	v_add_co_ci_u32_e64 v14, s4, v25, v14, s4
	flat_load_b32 v13, v[13:14]
.LBB627_44:
	s_or_b32 exec_lo, exec_lo, s5
	v_cmp_ge_u32_e64 s4, v10, v28
	s_mov_b32 s6, exec_lo
                                        ; implicit-def: $vgpr11
	v_cmpx_lt_u32_e64 v10, v28
	s_cbranch_execz .LBB627_46
; %bb.45:
	v_mov_b32_e32 v11, 0
	s_delay_alu instid0(VALU_DEP_1) | instskip(NEXT) | instid1(VALU_DEP_1)
	v_lshlrev_b64 v[14:15], 2, v[10:11]
	v_add_co_u32 v14, s5, v24, v14
	s_delay_alu instid0(VALU_DEP_1)
	v_add_co_ci_u32_e64 v15, s5, v25, v15, s5
	flat_load_b32 v11, v[14:15]
.LBB627_46:
	s_or_b32 exec_lo, exec_lo, s6
	s_waitcnt vmcnt(0) lgkmcnt(0)
	v_and_b32_e32 v14, v11, v31
	v_and_b32_e32 v15, v13, v31
	s_delay_alu instid0(VALU_DEP_1) | instskip(SKIP_1) | instid1(VALU_DEP_2)
	v_cmp_le_u32_e64 s5, v15, v14
	v_mov_b32_e32 v15, 0
	s_and_b32 s3, s3, s5
	s_delay_alu instid0(SALU_CYCLE_1) | instskip(NEXT) | instid1(SALU_CYCLE_1)
	s_or_b32 s3, s4, s3
	v_cndmask_b32_e64 v14, v10, v12, s3
	v_cndmask_b32_e64 v16, v28, v27, s3
	v_cndmask_b32_e64 v80, v11, v13, s3
	s_delay_alu instid0(VALU_DEP_3) | instskip(NEXT) | instid1(VALU_DEP_3)
	v_add_nc_u32_e32 v20, 1, v14
	v_add_nc_u32_e32 v18, -1, v16
	v_lshlrev_b64 v[16:17], 3, v[14:15]
	s_delay_alu instid0(VALU_DEP_3) | instskip(NEXT) | instid1(VALU_DEP_3)
	v_cndmask_b32_e64 v12, v12, v20, s3
	v_min_u32_e32 v14, v20, v18
	v_cndmask_b32_e64 v10, v20, v10, s3
	s_delay_alu instid0(VALU_DEP_2) | instskip(NEXT) | instid1(VALU_DEP_2)
	v_lshlrev_b64 v[18:19], 2, v[14:15]
	v_cmp_ge_u32_e64 s6, v10, v28
	s_delay_alu instid0(VALU_DEP_2) | instskip(NEXT) | instid1(VALU_DEP_1)
	v_add_co_u32 v18, s4, v24, v18
	v_add_co_ci_u32_e64 v19, s4, v25, v19, s4
	v_cmp_lt_u32_e64 s4, v12, v27
	flat_load_b32 v14, v[18:19]
	s_waitcnt vmcnt(0) lgkmcnt(0)
	v_cndmask_b32_e64 v29, v14, v11, s3
	v_cndmask_b32_e64 v34, v13, v14, s3
	s_delay_alu instid0(VALU_DEP_2) | instskip(NEXT) | instid1(VALU_DEP_2)
	v_and_b32_e32 v14, v29, v31
	v_and_b32_e32 v18, v34, v31
	s_delay_alu instid0(VALU_DEP_1) | instskip(NEXT) | instid1(VALU_DEP_1)
	v_cmp_le_u32_e64 s5, v18, v14
	s_and_b32 s4, s4, s5
	s_delay_alu instid0(SALU_CYCLE_1) | instskip(NEXT) | instid1(SALU_CYCLE_1)
	s_or_b32 s4, s6, s4
	v_cndmask_b32_e64 v14, v10, v12, s4
	v_cndmask_b32_e64 v18, v28, v27, s4
	v_cndmask_b32_e64 v81, v29, v34, s4
	s_delay_alu instid0(VALU_DEP_3) | instskip(NEXT) | instid1(VALU_DEP_3)
	v_add_nc_u32_e32 v32, 1, v14
	v_add_nc_u32_e32 v20, -1, v18
	v_lshlrev_b64 v[18:19], 3, v[14:15]
	s_delay_alu instid0(VALU_DEP_3) | instskip(NEXT) | instid1(VALU_DEP_3)
	v_cndmask_b32_e64 v12, v12, v32, s4
	v_min_u32_e32 v14, v32, v20
	v_cndmask_b32_e64 v10, v32, v10, s4
	s_delay_alu instid0(VALU_DEP_2) | instskip(NEXT) | instid1(VALU_DEP_2)
	v_lshlrev_b64 v[20:21], 2, v[14:15]
	v_cmp_ge_u32_e64 s7, v10, v28
	s_delay_alu instid0(VALU_DEP_2) | instskip(NEXT) | instid1(VALU_DEP_1)
	v_add_co_u32 v20, s5, v24, v20
	v_add_co_ci_u32_e64 v21, s5, v25, v21, s5
	v_cmp_lt_u32_e64 s5, v12, v27
	flat_load_b32 v14, v[20:21]
	s_waitcnt vmcnt(0) lgkmcnt(0)
	v_cndmask_b32_e64 v35, v14, v29, s4
	v_cndmask_b32_e64 v36, v34, v14, s4
	s_delay_alu instid0(VALU_DEP_2) | instskip(NEXT) | instid1(VALU_DEP_2)
	v_and_b32_e32 v14, v35, v31
	v_and_b32_e32 v20, v36, v31
	s_delay_alu instid0(VALU_DEP_1) | instskip(NEXT) | instid1(VALU_DEP_1)
	v_cmp_le_u32_e64 s6, v20, v14
	;; [unrolled: 30-line block ×3, first 2 shown]
	s_and_b32 s7, s6, s7
	v_add_co_u32 v16, s6, v22, v16
	s_delay_alu instid0(VALU_DEP_1)
	v_add_co_ci_u32_e64 v17, s6, v23, v17, s6
	s_or_b32 s6, s10, s7
	v_add_co_u32 v18, s7, v22, v18
	v_cndmask_b32_e64 v14, v10, v12, s6
	v_add_co_ci_u32_e64 v19, s7, v23, v19, s7
	v_add_co_u32 v20, s7, v22, v20
	s_delay_alu instid0(VALU_DEP_3) | instskip(SKIP_2) | instid1(VALU_DEP_3)
	v_lshlrev_b64 v[14:15], 3, v[14:15]
	v_add_co_ci_u32_e64 v21, s7, v23, v21, s7
	v_cndmask_b32_e64 v83, v32, v33, s6
	v_add_co_u32 v27, s7, v22, v14
	s_delay_alu instid0(VALU_DEP_1)
	v_add_co_ci_u32_e64 v28, s7, v23, v15, s7
	s_clause 0x3
	flat_load_b64 v[14:15], v[16:17]
	flat_load_b64 v[16:17], v[18:19]
	;; [unrolled: 1-line block ×4, first 2 shown]
.LBB627_47:
	s_or_b32 exec_lo, exec_lo, s14
	v_and_b32_e32 v12, 0x60, v87
	v_min_u32_e32 v13, v26, v96
	s_mov_b32 s4, exec_lo
	; wave barrier
	s_delay_alu instid0(VALU_DEP_2)
	v_or_b32_e32 v10, 16, v12
	s_waitcnt vmcnt(2) lgkmcnt(2)
	s_clause 0x1
	flat_store_b128 v[4:5], v[14:17]
	flat_store_b128 v[8:9], v[80:83]
	s_waitcnt vmcnt(0) lgkmcnt(2)
	flat_store_b128 v[4:5], v[18:21] offset:16
	; wave barrier
	v_min_u32_e32 v10, v26, v10
	s_delay_alu instid0(VALU_DEP_1) | instskip(NEXT) | instid1(VALU_DEP_1)
	v_add_nc_u32_e32 v11, 16, v10
	v_min_u32_e32 v11, v26, v11
	v_sub_nc_u32_e32 v26, v10, v12
	s_delay_alu instid0(VALU_DEP_2) | instskip(NEXT) | instid1(VALU_DEP_2)
	v_sub_nc_u32_e32 v28, v11, v10
	v_min_u32_e32 v27, v13, v26
	s_delay_alu instid0(VALU_DEP_2) | instskip(NEXT) | instid1(VALU_DEP_1)
	v_sub_nc_u32_e64 v26, v13, v28 clamp
	v_cmpx_lt_u32_e64 v26, v27
	s_cbranch_execz .LBB627_51
; %bb.48:
	v_lshlrev_b32_e32 v4, 2, v12
	v_lshlrev_b32_e32 v5, 2, v10
	s_mov_b32 s5, 0
	s_delay_alu instid0(VALU_DEP_2) | instskip(NEXT) | instid1(VALU_DEP_1)
	v_add_co_u32 v8, s3, v24, v4
	v_add_co_ci_u32_e64 v9, s3, 0, v25, s3
	s_delay_alu instid0(VALU_DEP_3)
	v_add_co_u32 v28, s3, v24, v5
	v_mov_b32_e32 v5, 0
	v_add_co_ci_u32_e64 v29, s3, 0, v25, s3
	s_set_inst_prefetch_distance 0x1
	.p2align	6
.LBB627_49:                             ; =>This Inner Loop Header: Depth=1
	s_delay_alu instid0(VALU_DEP_2) | instskip(NEXT) | instid1(VALU_DEP_1)
	v_dual_mov_b32 v33, v5 :: v_dual_add_nc_u32 v4, v27, v26
	v_lshrrev_b32_e32 v4, 1, v4
	s_delay_alu instid0(VALU_DEP_1) | instskip(SKIP_1) | instid1(VALU_DEP_2)
	v_xad_u32 v32, v4, -1, v13
	v_lshlrev_b64 v[34:35], 2, v[4:5]
	v_lshlrev_b64 v[32:33], 2, v[32:33]
	s_delay_alu instid0(VALU_DEP_2) | instskip(NEXT) | instid1(VALU_DEP_1)
	v_add_co_u32 v34, s3, v8, v34
	v_add_co_ci_u32_e64 v35, s3, v9, v35, s3
	s_delay_alu instid0(VALU_DEP_3) | instskip(NEXT) | instid1(VALU_DEP_1)
	v_add_co_u32 v32, s3, v28, v32
	v_add_co_ci_u32_e64 v33, s3, v29, v33, s3
	s_clause 0x1
	flat_load_b32 v34, v[34:35]
	flat_load_b32 v32, v[32:33]
	s_waitcnt vmcnt(1) lgkmcnt(1)
	v_and_b32_e32 v33, v34, v31
	s_waitcnt vmcnt(0) lgkmcnt(0)
	v_and_b32_e32 v32, v32, v31
	v_add_nc_u32_e32 v34, 1, v4
	s_delay_alu instid0(VALU_DEP_2) | instskip(NEXT) | instid1(VALU_DEP_1)
	v_cmp_gt_u32_e64 s3, v33, v32
	v_cndmask_b32_e64 v27, v27, v4, s3
	s_delay_alu instid0(VALU_DEP_3) | instskip(NEXT) | instid1(VALU_DEP_1)
	v_cndmask_b32_e64 v26, v34, v26, s3
	v_cmp_ge_u32_e64 s3, v26, v27
	s_delay_alu instid0(VALU_DEP_1) | instskip(NEXT) | instid1(SALU_CYCLE_1)
	s_or_b32 s5, s3, s5
	s_and_not1_b32 exec_lo, exec_lo, s5
	s_cbranch_execnz .LBB627_49
; %bb.50:
	s_set_inst_prefetch_distance 0x2
	s_or_b32 exec_lo, exec_lo, s5
.LBB627_51:
	s_delay_alu instid0(SALU_CYCLE_1) | instskip(SKIP_2) | instid1(VALU_DEP_2)
	s_or_b32 exec_lo, exec_lo, s4
	v_add_nc_u32_e32 v4, v10, v13
	v_add_nc_u32_e32 v8, v26, v12
	v_sub_nc_u32_e32 v4, v4, v26
	s_delay_alu instid0(VALU_DEP_2) | instskip(NEXT) | instid1(VALU_DEP_2)
	v_cmp_le_u32_e64 s3, v8, v10
	v_cmp_le_u32_e64 s4, v4, v11
	s_delay_alu instid0(VALU_DEP_1) | instskip(NEXT) | instid1(SALU_CYCLE_1)
	s_or_b32 s3, s3, s4
	s_and_saveexec_b32 s14, s3
	s_cbranch_execz .LBB627_57
; %bb.52:
	v_cmp_lt_u32_e64 s3, v8, v10
                                        ; implicit-def: $vgpr9
	s_delay_alu instid0(VALU_DEP_1)
	s_and_saveexec_b32 s5, s3
	s_cbranch_execz .LBB627_54
; %bb.53:
	v_mov_b32_e32 v9, 0
	s_delay_alu instid0(VALU_DEP_1) | instskip(NEXT) | instid1(VALU_DEP_1)
	v_lshlrev_b64 v[12:13], 2, v[8:9]
	v_add_co_u32 v12, s4, v24, v12
	s_delay_alu instid0(VALU_DEP_1)
	v_add_co_ci_u32_e64 v13, s4, v25, v13, s4
	flat_load_b32 v9, v[12:13]
.LBB627_54:
	s_or_b32 exec_lo, exec_lo, s5
	v_cmp_ge_u32_e64 s4, v4, v11
	s_mov_b32 s6, exec_lo
                                        ; implicit-def: $vgpr5
	v_cmpx_lt_u32_e64 v4, v11
	s_cbranch_execz .LBB627_56
; %bb.55:
	v_mov_b32_e32 v5, 0
	s_delay_alu instid0(VALU_DEP_1) | instskip(NEXT) | instid1(VALU_DEP_1)
	v_lshlrev_b64 v[12:13], 2, v[4:5]
	v_add_co_u32 v12, s5, v24, v12
	s_delay_alu instid0(VALU_DEP_1)
	v_add_co_ci_u32_e64 v13, s5, v25, v13, s5
	flat_load_b32 v5, v[12:13]
.LBB627_56:
	s_or_b32 exec_lo, exec_lo, s6
	s_waitcnt vmcnt(0) lgkmcnt(0)
	v_and_b32_e32 v12, v5, v31
	v_and_b32_e32 v13, v9, v31
	s_delay_alu instid0(VALU_DEP_1) | instskip(SKIP_1) | instid1(VALU_DEP_2)
	v_cmp_le_u32_e64 s5, v13, v12
	v_mov_b32_e32 v13, 0
	s_and_b32 s3, s3, s5
	s_delay_alu instid0(SALU_CYCLE_1) | instskip(NEXT) | instid1(SALU_CYCLE_1)
	s_or_b32 s3, s4, s3
	v_cndmask_b32_e64 v12, v4, v8, s3
	v_cndmask_b32_e64 v14, v11, v10, s3
	v_cndmask_b32_e64 v80, v5, v9, s3
	s_delay_alu instid0(VALU_DEP_3) | instskip(NEXT) | instid1(VALU_DEP_3)
	v_add_nc_u32_e32 v18, 1, v12
	v_add_nc_u32_e32 v16, -1, v14
	v_lshlrev_b64 v[14:15], 3, v[12:13]
	s_delay_alu instid0(VALU_DEP_3) | instskip(NEXT) | instid1(VALU_DEP_3)
	v_cndmask_b32_e64 v8, v8, v18, s3
	v_min_u32_e32 v12, v18, v16
	v_cndmask_b32_e64 v4, v18, v4, s3
	s_delay_alu instid0(VALU_DEP_2) | instskip(NEXT) | instid1(VALU_DEP_2)
	v_lshlrev_b64 v[16:17], 2, v[12:13]
	v_cmp_ge_u32_e64 s6, v4, v11
	s_delay_alu instid0(VALU_DEP_2) | instskip(NEXT) | instid1(VALU_DEP_1)
	v_add_co_u32 v16, s4, v24, v16
	v_add_co_ci_u32_e64 v17, s4, v25, v17, s4
	v_cmp_lt_u32_e64 s4, v8, v10
	flat_load_b32 v12, v[16:17]
	s_waitcnt vmcnt(0) lgkmcnt(0)
	v_cndmask_b32_e64 v26, v12, v5, s3
	v_cndmask_b32_e64 v27, v9, v12, s3
	s_delay_alu instid0(VALU_DEP_2) | instskip(NEXT) | instid1(VALU_DEP_2)
	v_and_b32_e32 v12, v26, v31
	v_and_b32_e32 v16, v27, v31
	s_delay_alu instid0(VALU_DEP_1) | instskip(NEXT) | instid1(VALU_DEP_1)
	v_cmp_le_u32_e64 s5, v16, v12
	s_and_b32 s4, s4, s5
	s_delay_alu instid0(SALU_CYCLE_1) | instskip(NEXT) | instid1(SALU_CYCLE_1)
	s_or_b32 s4, s6, s4
	v_cndmask_b32_e64 v12, v4, v8, s4
	v_cndmask_b32_e64 v16, v11, v10, s4
	v_cndmask_b32_e64 v81, v26, v27, s4
	s_delay_alu instid0(VALU_DEP_3) | instskip(NEXT) | instid1(VALU_DEP_3)
	v_add_nc_u32_e32 v20, 1, v12
	v_add_nc_u32_e32 v18, -1, v16
	v_lshlrev_b64 v[16:17], 3, v[12:13]
	s_delay_alu instid0(VALU_DEP_3) | instskip(NEXT) | instid1(VALU_DEP_3)
	v_cndmask_b32_e64 v8, v8, v20, s4
	v_min_u32_e32 v12, v20, v18
	v_cndmask_b32_e64 v4, v20, v4, s4
	s_delay_alu instid0(VALU_DEP_2) | instskip(NEXT) | instid1(VALU_DEP_2)
	v_lshlrev_b64 v[18:19], 2, v[12:13]
	v_cmp_ge_u32_e64 s7, v4, v11
	s_delay_alu instid0(VALU_DEP_2) | instskip(NEXT) | instid1(VALU_DEP_1)
	v_add_co_u32 v18, s5, v24, v18
	v_add_co_ci_u32_e64 v19, s5, v25, v19, s5
	v_cmp_lt_u32_e64 s5, v8, v10
	flat_load_b32 v12, v[18:19]
	s_waitcnt vmcnt(0) lgkmcnt(0)
	v_cndmask_b32_e64 v28, v12, v26, s4
	v_cndmask_b32_e64 v29, v27, v12, s4
	s_delay_alu instid0(VALU_DEP_2) | instskip(NEXT) | instid1(VALU_DEP_2)
	v_and_b32_e32 v12, v28, v31
	v_and_b32_e32 v18, v29, v31
	s_delay_alu instid0(VALU_DEP_1) | instskip(NEXT) | instid1(VALU_DEP_1)
	v_cmp_le_u32_e64 s6, v18, v12
	;; [unrolled: 30-line block ×3, first 2 shown]
	s_and_b32 s7, s6, s7
	v_add_co_u32 v10, s6, v22, v14
	s_delay_alu instid0(VALU_DEP_1)
	v_add_co_ci_u32_e64 v11, s6, v23, v15, s6
	s_or_b32 s6, s10, s7
	v_add_co_u32 v16, s7, v22, v16
	v_cndmask_b32_e64 v12, v4, v8, s6
	v_add_co_ci_u32_e64 v17, s7, v23, v17, s7
	v_add_co_u32 v18, s7, v22, v18
	s_delay_alu instid0(VALU_DEP_3) | instskip(SKIP_2) | instid1(VALU_DEP_3)
	v_lshlrev_b64 v[12:13], 3, v[12:13]
	v_add_co_ci_u32_e64 v19, s7, v23, v19, s7
	v_cndmask_b32_e64 v83, v24, v25, s6
	v_add_co_u32 v12, s7, v22, v12
	s_delay_alu instid0(VALU_DEP_1)
	v_add_co_ci_u32_e64 v13, s7, v23, v13, s7
	s_clause 0x3
	flat_load_b64 v[14:15], v[10:11]
	flat_load_b64 v[16:17], v[16:17]
	;; [unrolled: 1-line block ×4, first 2 shown]
.LBB627_57:
	s_or_b32 exec_lo, exec_lo, s14
	; wave barrier
	s_waitcnt vmcnt(0) lgkmcnt(0)
	s_waitcnt_vscnt null, 0x0
	s_barrier
                                        ; implicit-def: $vgpr87
                                        ; implicit-def: $vgpr12
                                        ; implicit-def: $vgpr13
                                        ; implicit-def: $vgpr96
                                        ; implicit-def: $vgpr8
                                        ; implicit-def: $vgpr9
                                        ; implicit-def: $vgpr4
                                        ; implicit-def: $vgpr32_vgpr33_vgpr34_vgpr35_vgpr36_vgpr37_vgpr38_vgpr39
                                        ; implicit-def: $vgpr22_vgpr23_vgpr24_vgpr25_vgpr26_vgpr27_vgpr28_vgpr29
.LBB627_58:
	s_and_not1_saveexec_b32 s10, s11
	s_cbranch_execz .LBB627_94
; %bb.59:
	s_load_b64 s[4:5], s[8:9], 0x0
	v_mov_b32_e32 v5, 0
	s_waitcnt lgkmcnt(0)
	s_cmp_lt_u32 s13, s5
	s_cselect_b32 s3, 14, 20
	s_delay_alu instid0(SALU_CYCLE_1) | instskip(SKIP_4) | instid1(SALU_CYCLE_1)
	s_add_u32 s6, s8, s3
	s_addc_u32 s7, s9, 0
	s_cmp_lt_u32 s12, s4
	global_load_u16 v10, v5, s[6:7]
	s_cselect_b32 s3, 12, 18
	s_add_u32 s4, s8, s3
	s_addc_u32 s5, s9, 0
	global_load_u16 v11, v5, s[4:5]
	s_mov_b32 s6, exec_lo
	s_waitcnt vmcnt(1)
	v_mad_u32_u24 v8, v9, v10, v8
	s_waitcnt vmcnt(0)
	s_delay_alu instid0(VALU_DEP_1) | instskip(NEXT) | instid1(VALU_DEP_1)
	v_mul_lo_u32 v8, v8, v11
	v_add_lshl_u32 v4, v8, v4, 2
	s_delay_alu instid0(VALU_DEP_1)
	v_cmpx_gt_u32_e32 0x400, v4
	s_cbranch_execz .LBB627_63
; %bb.60:
	v_cmp_gt_i32_e64 s3, v80, v81
	v_max_i32_e32 v18, v80, v81
	v_cmp_gt_i32_e64 s4, v82, v83
	v_min_i32_e32 v11, v82, v83
	v_min_i32_e32 v8, v80, v81
	v_cndmask_b32_e64 v19, v14, v16, s3
	v_cndmask_b32_e64 v20, v15, v17, s3
	;; [unrolled: 1-line block ×5, first 2 shown]
	v_cmp_gt_i32_e64 s5, v18, v11
	v_max_i32_e32 v9, v82, v83
	v_cndmask_b32_e64 v23, v28, v36, s4
	v_cndmask_b32_e64 v16, v37, v29, s4
	;; [unrolled: 1-line block ×3, first 2 shown]
	v_min_i32_e32 v10, v18, v11
	v_cmp_lt_i32_e64 s3, v11, v8
	v_max_i32_e32 v11, v18, v11
	v_cndmask_b32_e64 v22, v14, v17, s5
	v_cmp_gt_i32_e64 s4, v18, v9
	v_cndmask_b32_e64 v25, v17, v14, s5
	v_cndmask_b32_e64 v21, v15, v16, s5
	;; [unrolled: 1-line block ×13, first 2 shown]
	v_mov_b32_e32 v82, v22
	s_mov_b32 s7, exec_lo
	v_cmpx_gt_i32_e64 v81, v22
; %bb.61:
	s_delay_alu instid0(VALU_DEP_3) | instskip(SKIP_2) | instid1(VALU_DEP_3)
	v_dual_mov_b32 v24, v19 :: v_dual_mov_b32 v23, v18
	v_dual_mov_b32 v19, v17 :: v_dual_mov_b32 v18, v16
	;; [unrolled: 1-line block ×4, first 2 shown]
; %bb.62:
	s_or_b32 exec_lo, exec_lo, s7
	v_cndmask_b32_e64 v80, v8, v10, s3
	v_cndmask_b32_e64 v83, v9, v11, s4
.LBB627_63:
	s_or_b32 exec_lo, exec_lo, s6
	v_and_b32_e32 v4, 0xffffff80, v4
	v_or_b32_e32 v10, 4, v87
	s_mov_b32 s4, exec_lo
	s_delay_alu instid0(VALU_DEP_2) | instskip(SKIP_2) | instid1(VALU_DEP_2)
	v_lshlrev_b64 v[8:9], 2, v[4:5]
	v_sub_nc_u32_e64 v26, 0x400, v4 clamp
	v_lshlrev_b64 v[4:5], 3, v[4:5]
	v_min_u32_e32 v27, v26, v10
	s_delay_alu instid0(VALU_DEP_4) | instskip(NEXT) | instid1(VALU_DEP_1)
	v_add_co_u32 v24, s3, v12, v8
	v_add_co_ci_u32_e64 v25, s3, v13, v9, s3
	s_delay_alu instid0(VALU_DEP_4) | instskip(NEXT) | instid1(VALU_DEP_1)
	v_add_co_u32 v4, s3, v12, v4
	v_add_co_ci_u32_e64 v5, s3, v13, v5, s3
	v_add_nc_u32_e32 v8, 4, v27
	s_delay_alu instid0(VALU_DEP_3) | instskip(NEXT) | instid1(VALU_DEP_1)
	v_add_co_u32 v22, s3, 0x1000, v4
	v_add_co_ci_u32_e64 v23, s3, 0, v5, s3
	v_and_b32_e32 v4, 4, v87
	v_and_b32_e32 v12, 0x78, v87
	v_min_u32_e32 v28, v26, v8
	v_lshlrev_b32_e32 v5, 3, v87
	v_lshlrev_b32_e32 v8, 2, v87
	v_min_u32_e32 v13, v26, v4
	v_sub_nc_u32_e32 v9, v27, v12
	v_sub_nc_u32_e32 v10, v28, v27
	v_add_co_u32 v4, s3, v22, v5
	s_delay_alu instid0(VALU_DEP_1) | instskip(SKIP_1) | instid1(VALU_DEP_4)
	v_add_co_ci_u32_e64 v5, s3, 0, v23, s3
	v_add_co_u32 v8, s3, v24, v8
	v_sub_nc_u32_e64 v29, v13, v10 clamp
	v_min_u32_e32 v31, v13, v9
	v_add_co_ci_u32_e64 v9, s3, 0, v25, s3
	s_clause 0x2
	flat_store_b128 v[4:5], v[14:17]
	flat_store_b128 v[8:9], v[80:83]
	flat_store_b128 v[4:5], v[18:21] offset:16
	; wave barrier
	v_cmpx_lt_u32_e64 v29, v31
	s_cbranch_execz .LBB627_67
; %bb.64:
	v_lshlrev_b32_e32 v10, 2, v12
	v_lshlrev_b32_e32 v11, 2, v27
	s_mov_b32 s5, 0
	s_delay_alu instid0(VALU_DEP_2) | instskip(NEXT) | instid1(VALU_DEP_1)
	v_add_co_u32 v32, s3, v24, v10
	v_add_co_ci_u32_e64 v33, s3, 0, v25, s3
	s_delay_alu instid0(VALU_DEP_3)
	v_add_co_u32 v34, s3, v24, v11
	v_mov_b32_e32 v11, 0
	v_add_co_ci_u32_e64 v35, s3, 0, v25, s3
	s_set_inst_prefetch_distance 0x1
	.p2align	6
.LBB627_65:                             ; =>This Inner Loop Header: Depth=1
	v_add_nc_u32_e32 v10, v31, v29
	s_delay_alu instid0(VALU_DEP_3) | instskip(NEXT) | instid1(VALU_DEP_2)
	v_mov_b32_e32 v37, v11
	v_lshrrev_b32_e32 v10, 1, v10
	s_delay_alu instid0(VALU_DEP_1) | instskip(SKIP_1) | instid1(VALU_DEP_2)
	v_xad_u32 v36, v10, -1, v13
	v_lshlrev_b64 v[38:39], 2, v[10:11]
	v_lshlrev_b64 v[36:37], 2, v[36:37]
	s_delay_alu instid0(VALU_DEP_2) | instskip(NEXT) | instid1(VALU_DEP_1)
	v_add_co_u32 v38, s3, v32, v38
	v_add_co_ci_u32_e64 v39, s3, v33, v39, s3
	s_delay_alu instid0(VALU_DEP_3) | instskip(NEXT) | instid1(VALU_DEP_1)
	v_add_co_u32 v36, s3, v34, v36
	v_add_co_ci_u32_e64 v37, s3, v35, v37, s3
	s_clause 0x1
	flat_load_b32 v38, v[38:39]
	flat_load_b32 v36, v[36:37]
	v_add_nc_u32_e32 v37, 1, v10
	s_waitcnt vmcnt(0) lgkmcnt(0)
	v_cmp_gt_i32_e64 s3, v38, v36
	s_delay_alu instid0(VALU_DEP_1) | instskip(NEXT) | instid1(VALU_DEP_3)
	v_cndmask_b32_e64 v31, v31, v10, s3
	v_cndmask_b32_e64 v29, v37, v29, s3
	s_delay_alu instid0(VALU_DEP_1) | instskip(NEXT) | instid1(VALU_DEP_1)
	v_cmp_ge_u32_e64 s3, v29, v31
	s_or_b32 s5, s3, s5
	s_delay_alu instid0(SALU_CYCLE_1)
	s_and_not1_b32 exec_lo, exec_lo, s5
	s_cbranch_execnz .LBB627_65
; %bb.66:
	s_set_inst_prefetch_distance 0x2
	s_or_b32 exec_lo, exec_lo, s5
.LBB627_67:
	s_delay_alu instid0(SALU_CYCLE_1) | instskip(SKIP_2) | instid1(VALU_DEP_2)
	s_or_b32 exec_lo, exec_lo, s4
	v_add_nc_u32_e32 v10, v27, v13
	v_add_nc_u32_e32 v12, v29, v12
	v_sub_nc_u32_e32 v10, v10, v29
	s_delay_alu instid0(VALU_DEP_2) | instskip(NEXT) | instid1(VALU_DEP_2)
	v_cmp_le_u32_e64 s3, v12, v27
	v_cmp_le_u32_e64 s4, v10, v28
	s_delay_alu instid0(VALU_DEP_1) | instskip(NEXT) | instid1(SALU_CYCLE_1)
	s_or_b32 s3, s3, s4
	s_and_saveexec_b32 s9, s3
	s_cbranch_execz .LBB627_73
; %bb.68:
	v_cmp_lt_u32_e64 s3, v12, v27
                                        ; implicit-def: $vgpr13
	s_delay_alu instid0(VALU_DEP_1)
	s_and_saveexec_b32 s5, s3
	s_cbranch_execz .LBB627_70
; %bb.69:
	v_mov_b32_e32 v13, 0
	s_delay_alu instid0(VALU_DEP_1) | instskip(NEXT) | instid1(VALU_DEP_1)
	v_lshlrev_b64 v[13:14], 2, v[12:13]
	v_add_co_u32 v13, s4, v24, v13
	s_delay_alu instid0(VALU_DEP_1)
	v_add_co_ci_u32_e64 v14, s4, v25, v14, s4
	flat_load_b32 v13, v[13:14]
.LBB627_70:
	s_or_b32 exec_lo, exec_lo, s5
	v_cmp_ge_u32_e64 s4, v10, v28
	s_mov_b32 s6, exec_lo
                                        ; implicit-def: $vgpr11
	v_cmpx_lt_u32_e64 v10, v28
	s_cbranch_execz .LBB627_72
; %bb.71:
	v_mov_b32_e32 v11, 0
	s_delay_alu instid0(VALU_DEP_1) | instskip(NEXT) | instid1(VALU_DEP_1)
	v_lshlrev_b64 v[14:15], 2, v[10:11]
	v_add_co_u32 v14, s5, v24, v14
	s_delay_alu instid0(VALU_DEP_1)
	v_add_co_ci_u32_e64 v15, s5, v25, v15, s5
	flat_load_b32 v11, v[14:15]
.LBB627_72:
	s_or_b32 exec_lo, exec_lo, s6
	s_waitcnt vmcnt(0) lgkmcnt(0)
	v_cmp_le_i32_e64 s5, v13, v11
	s_delay_alu instid0(VALU_DEP_1) | instskip(NEXT) | instid1(SALU_CYCLE_1)
	s_and_b32 s3, s3, s5
	s_or_b32 s3, s4, s3
	s_delay_alu instid0(SALU_CYCLE_1) | instskip(SKIP_3) | instid1(VALU_DEP_4)
	v_cndmask_b32_e64 v14, v10, v12, s3
	v_cndmask_b32_e64 v16, v28, v27, s3
	v_mov_b32_e32 v15, 0
	v_cndmask_b32_e64 v80, v11, v13, s3
	v_add_nc_u32_e32 v20, 1, v14
	s_delay_alu instid0(VALU_DEP_4) | instskip(NEXT) | instid1(VALU_DEP_4)
	v_add_nc_u32_e32 v18, -1, v16
	v_lshlrev_b64 v[16:17], 3, v[14:15]
	s_delay_alu instid0(VALU_DEP_3) | instskip(NEXT) | instid1(VALU_DEP_3)
	v_cndmask_b32_e64 v12, v12, v20, s3
	v_min_u32_e32 v14, v20, v18
	v_cndmask_b32_e64 v10, v20, v10, s3
	s_delay_alu instid0(VALU_DEP_2) | instskip(NEXT) | instid1(VALU_DEP_2)
	v_lshlrev_b64 v[18:19], 2, v[14:15]
	v_cmp_ge_u32_e64 s6, v10, v28
	s_delay_alu instid0(VALU_DEP_2) | instskip(NEXT) | instid1(VALU_DEP_1)
	v_add_co_u32 v18, s4, v24, v18
	v_add_co_ci_u32_e64 v19, s4, v25, v19, s4
	v_cmp_lt_u32_e64 s4, v12, v27
	flat_load_b32 v14, v[18:19]
	s_waitcnt vmcnt(0) lgkmcnt(0)
	v_cndmask_b32_e64 v29, v14, v11, s3
	v_cndmask_b32_e64 v33, v13, v14, s3
	s_delay_alu instid0(VALU_DEP_1) | instskip(NEXT) | instid1(VALU_DEP_1)
	v_cmp_le_i32_e64 s5, v33, v29
	s_and_b32 s4, s4, s5
	s_delay_alu instid0(SALU_CYCLE_1) | instskip(NEXT) | instid1(SALU_CYCLE_1)
	s_or_b32 s4, s6, s4
	v_cndmask_b32_e64 v14, v10, v12, s4
	v_cndmask_b32_e64 v18, v28, v27, s4
	;; [unrolled: 1-line block ×3, first 2 shown]
	s_delay_alu instid0(VALU_DEP_3) | instskip(NEXT) | instid1(VALU_DEP_3)
	v_add_nc_u32_e32 v31, 1, v14
	v_add_nc_u32_e32 v20, -1, v18
	v_lshlrev_b64 v[18:19], 3, v[14:15]
	s_delay_alu instid0(VALU_DEP_3) | instskip(NEXT) | instid1(VALU_DEP_3)
	v_cndmask_b32_e64 v12, v12, v31, s4
	v_min_u32_e32 v14, v31, v20
	v_cndmask_b32_e64 v10, v31, v10, s4
	s_delay_alu instid0(VALU_DEP_2) | instskip(NEXT) | instid1(VALU_DEP_2)
	v_lshlrev_b64 v[20:21], 2, v[14:15]
	v_cmp_ge_u32_e64 s7, v10, v28
	s_delay_alu instid0(VALU_DEP_2) | instskip(NEXT) | instid1(VALU_DEP_1)
	v_add_co_u32 v20, s5, v24, v20
	v_add_co_ci_u32_e64 v21, s5, v25, v21, s5
	v_cmp_lt_u32_e64 s5, v12, v27
	flat_load_b32 v14, v[20:21]
	s_waitcnt vmcnt(0) lgkmcnt(0)
	v_cndmask_b32_e64 v34, v14, v29, s4
	v_cndmask_b32_e64 v35, v33, v14, s4
	s_delay_alu instid0(VALU_DEP_1) | instskip(NEXT) | instid1(VALU_DEP_1)
	v_cmp_le_i32_e64 s6, v35, v34
	s_and_b32 s5, s5, s6
	s_delay_alu instid0(SALU_CYCLE_1) | instskip(NEXT) | instid1(SALU_CYCLE_1)
	s_or_b32 s5, s7, s5
	v_cndmask_b32_e64 v14, v10, v12, s5
	v_cndmask_b32_e64 v20, v28, v27, s5
	;; [unrolled: 1-line block ×3, first 2 shown]
	s_delay_alu instid0(VALU_DEP_3) | instskip(NEXT) | instid1(VALU_DEP_3)
	v_add_nc_u32_e32 v36, 1, v14
	v_add_nc_u32_e32 v31, -1, v20
	v_lshlrev_b64 v[20:21], 3, v[14:15]
	s_delay_alu instid0(VALU_DEP_3) | instskip(NEXT) | instid1(VALU_DEP_3)
	v_cndmask_b32_e64 v12, v12, v36, s5
	v_min_u32_e32 v14, v36, v31
	v_cndmask_b32_e64 v10, v36, v10, s5
	s_delay_alu instid0(VALU_DEP_2) | instskip(NEXT) | instid1(VALU_DEP_2)
	v_lshlrev_b64 v[31:32], 2, v[14:15]
	v_cmp_ge_u32_e64 s8, v10, v28
	s_delay_alu instid0(VALU_DEP_2) | instskip(NEXT) | instid1(VALU_DEP_1)
	v_add_co_u32 v31, s6, v24, v31
	v_add_co_ci_u32_e64 v32, s6, v25, v32, s6
	v_cmp_lt_u32_e64 s6, v12, v27
	flat_load_b32 v14, v[31:32]
	s_waitcnt vmcnt(0) lgkmcnt(0)
	v_cndmask_b32_e64 v31, v14, v34, s5
	v_cndmask_b32_e64 v32, v35, v14, s5
	s_delay_alu instid0(VALU_DEP_1) | instskip(NEXT) | instid1(VALU_DEP_1)
	v_cmp_le_i32_e64 s7, v32, v31
	s_and_b32 s7, s6, s7
	v_add_co_u32 v16, s6, v22, v16
	s_delay_alu instid0(VALU_DEP_1)
	v_add_co_ci_u32_e64 v17, s6, v23, v17, s6
	s_or_b32 s6, s8, s7
	v_add_co_u32 v18, s7, v22, v18
	v_cndmask_b32_e64 v14, v10, v12, s6
	v_add_co_ci_u32_e64 v19, s7, v23, v19, s7
	v_add_co_u32 v20, s7, v22, v20
	s_delay_alu instid0(VALU_DEP_3) | instskip(SKIP_2) | instid1(VALU_DEP_3)
	v_lshlrev_b64 v[14:15], 3, v[14:15]
	v_add_co_ci_u32_e64 v21, s7, v23, v21, s7
	v_cndmask_b32_e64 v83, v31, v32, s6
	v_add_co_u32 v27, s7, v22, v14
	s_delay_alu instid0(VALU_DEP_1)
	v_add_co_ci_u32_e64 v28, s7, v23, v15, s7
	s_clause 0x3
	flat_load_b64 v[14:15], v[16:17]
	flat_load_b64 v[16:17], v[18:19]
	;; [unrolled: 1-line block ×4, first 2 shown]
.LBB627_73:
	s_or_b32 exec_lo, exec_lo, s9
	v_and_b32_e32 v12, 0x70, v87
	v_and_b32_e32 v11, 12, v87
	s_mov_b32 s4, exec_lo
	; wave barrier
	s_delay_alu instid0(VALU_DEP_2) | instskip(NEXT) | instid1(VALU_DEP_2)
	v_or_b32_e32 v10, 8, v12
	v_min_u32_e32 v13, v26, v11
	s_waitcnt vmcnt(2) lgkmcnt(2)
	s_clause 0x1
	flat_store_b128 v[4:5], v[14:17]
	flat_store_b128 v[8:9], v[80:83]
	s_waitcnt vmcnt(0) lgkmcnt(2)
	flat_store_b128 v[4:5], v[18:21] offset:16
	; wave barrier
	v_min_u32_e32 v27, v26, v10
	s_delay_alu instid0(VALU_DEP_1) | instskip(NEXT) | instid1(VALU_DEP_1)
	v_add_nc_u32_e32 v10, 8, v27
	v_min_u32_e32 v28, v26, v10
	v_sub_nc_u32_e32 v10, v27, v12
	s_delay_alu instid0(VALU_DEP_2) | instskip(NEXT) | instid1(VALU_DEP_2)
	v_sub_nc_u32_e32 v11, v28, v27
	v_min_u32_e32 v31, v13, v10
	s_delay_alu instid0(VALU_DEP_2) | instskip(NEXT) | instid1(VALU_DEP_1)
	v_sub_nc_u32_e64 v29, v13, v11 clamp
	v_cmpx_lt_u32_e64 v29, v31
	s_cbranch_execz .LBB627_77
; %bb.74:
	v_lshlrev_b32_e32 v10, 2, v12
	v_lshlrev_b32_e32 v11, 2, v27
	s_mov_b32 s5, 0
	s_delay_alu instid0(VALU_DEP_2) | instskip(NEXT) | instid1(VALU_DEP_1)
	v_add_co_u32 v32, s3, v24, v10
	v_add_co_ci_u32_e64 v33, s3, 0, v25, s3
	s_delay_alu instid0(VALU_DEP_3)
	v_add_co_u32 v34, s3, v24, v11
	v_mov_b32_e32 v11, 0
	v_add_co_ci_u32_e64 v35, s3, 0, v25, s3
	s_set_inst_prefetch_distance 0x1
	.p2align	6
.LBB627_75:                             ; =>This Inner Loop Header: Depth=1
	v_add_nc_u32_e32 v10, v31, v29
	s_delay_alu instid0(VALU_DEP_3) | instskip(NEXT) | instid1(VALU_DEP_2)
	v_mov_b32_e32 v37, v11
	v_lshrrev_b32_e32 v10, 1, v10
	s_delay_alu instid0(VALU_DEP_1) | instskip(SKIP_1) | instid1(VALU_DEP_2)
	v_xad_u32 v36, v10, -1, v13
	v_lshlrev_b64 v[38:39], 2, v[10:11]
	v_lshlrev_b64 v[36:37], 2, v[36:37]
	s_delay_alu instid0(VALU_DEP_2) | instskip(NEXT) | instid1(VALU_DEP_1)
	v_add_co_u32 v38, s3, v32, v38
	v_add_co_ci_u32_e64 v39, s3, v33, v39, s3
	s_delay_alu instid0(VALU_DEP_3) | instskip(NEXT) | instid1(VALU_DEP_1)
	v_add_co_u32 v36, s3, v34, v36
	v_add_co_ci_u32_e64 v37, s3, v35, v37, s3
	s_clause 0x1
	flat_load_b32 v38, v[38:39]
	flat_load_b32 v36, v[36:37]
	v_add_nc_u32_e32 v37, 1, v10
	s_waitcnt vmcnt(0) lgkmcnt(0)
	v_cmp_gt_i32_e64 s3, v38, v36
	s_delay_alu instid0(VALU_DEP_1) | instskip(NEXT) | instid1(VALU_DEP_3)
	v_cndmask_b32_e64 v31, v31, v10, s3
	v_cndmask_b32_e64 v29, v37, v29, s3
	s_delay_alu instid0(VALU_DEP_1) | instskip(NEXT) | instid1(VALU_DEP_1)
	v_cmp_ge_u32_e64 s3, v29, v31
	s_or_b32 s5, s3, s5
	s_delay_alu instid0(SALU_CYCLE_1)
	s_and_not1_b32 exec_lo, exec_lo, s5
	s_cbranch_execnz .LBB627_75
; %bb.76:
	s_set_inst_prefetch_distance 0x2
	s_or_b32 exec_lo, exec_lo, s5
.LBB627_77:
	s_delay_alu instid0(SALU_CYCLE_1) | instskip(SKIP_2) | instid1(VALU_DEP_2)
	s_or_b32 exec_lo, exec_lo, s4
	v_add_nc_u32_e32 v10, v27, v13
	v_add_nc_u32_e32 v12, v29, v12
	v_sub_nc_u32_e32 v10, v10, v29
	s_delay_alu instid0(VALU_DEP_2) | instskip(NEXT) | instid1(VALU_DEP_2)
	v_cmp_le_u32_e64 s3, v12, v27
	v_cmp_le_u32_e64 s4, v10, v28
	s_delay_alu instid0(VALU_DEP_1) | instskip(NEXT) | instid1(SALU_CYCLE_1)
	s_or_b32 s3, s3, s4
	s_and_saveexec_b32 s9, s3
	s_cbranch_execz .LBB627_83
; %bb.78:
	v_cmp_lt_u32_e64 s3, v12, v27
                                        ; implicit-def: $vgpr13
	s_delay_alu instid0(VALU_DEP_1)
	s_and_saveexec_b32 s5, s3
	s_cbranch_execz .LBB627_80
; %bb.79:
	v_mov_b32_e32 v13, 0
	s_delay_alu instid0(VALU_DEP_1) | instskip(NEXT) | instid1(VALU_DEP_1)
	v_lshlrev_b64 v[13:14], 2, v[12:13]
	v_add_co_u32 v13, s4, v24, v13
	s_delay_alu instid0(VALU_DEP_1)
	v_add_co_ci_u32_e64 v14, s4, v25, v14, s4
	flat_load_b32 v13, v[13:14]
.LBB627_80:
	s_or_b32 exec_lo, exec_lo, s5
	v_cmp_ge_u32_e64 s4, v10, v28
	s_mov_b32 s6, exec_lo
                                        ; implicit-def: $vgpr11
	v_cmpx_lt_u32_e64 v10, v28
	s_cbranch_execz .LBB627_82
; %bb.81:
	v_mov_b32_e32 v11, 0
	s_delay_alu instid0(VALU_DEP_1) | instskip(NEXT) | instid1(VALU_DEP_1)
	v_lshlrev_b64 v[14:15], 2, v[10:11]
	v_add_co_u32 v14, s5, v24, v14
	s_delay_alu instid0(VALU_DEP_1)
	v_add_co_ci_u32_e64 v15, s5, v25, v15, s5
	flat_load_b32 v11, v[14:15]
.LBB627_82:
	s_or_b32 exec_lo, exec_lo, s6
	s_waitcnt vmcnt(0) lgkmcnt(0)
	v_cmp_le_i32_e64 s5, v13, v11
	s_delay_alu instid0(VALU_DEP_1) | instskip(NEXT) | instid1(SALU_CYCLE_1)
	s_and_b32 s3, s3, s5
	s_or_b32 s3, s4, s3
	s_delay_alu instid0(SALU_CYCLE_1) | instskip(SKIP_3) | instid1(VALU_DEP_4)
	v_cndmask_b32_e64 v14, v10, v12, s3
	v_cndmask_b32_e64 v16, v28, v27, s3
	v_mov_b32_e32 v15, 0
	v_cndmask_b32_e64 v80, v11, v13, s3
	v_add_nc_u32_e32 v20, 1, v14
	s_delay_alu instid0(VALU_DEP_4) | instskip(NEXT) | instid1(VALU_DEP_4)
	v_add_nc_u32_e32 v18, -1, v16
	v_lshlrev_b64 v[16:17], 3, v[14:15]
	s_delay_alu instid0(VALU_DEP_3) | instskip(NEXT) | instid1(VALU_DEP_3)
	v_cndmask_b32_e64 v12, v12, v20, s3
	v_min_u32_e32 v14, v20, v18
	v_cndmask_b32_e64 v10, v20, v10, s3
	s_delay_alu instid0(VALU_DEP_2) | instskip(NEXT) | instid1(VALU_DEP_2)
	v_lshlrev_b64 v[18:19], 2, v[14:15]
	v_cmp_ge_u32_e64 s6, v10, v28
	s_delay_alu instid0(VALU_DEP_2) | instskip(NEXT) | instid1(VALU_DEP_1)
	v_add_co_u32 v18, s4, v24, v18
	v_add_co_ci_u32_e64 v19, s4, v25, v19, s4
	v_cmp_lt_u32_e64 s4, v12, v27
	flat_load_b32 v14, v[18:19]
	s_waitcnt vmcnt(0) lgkmcnt(0)
	v_cndmask_b32_e64 v29, v14, v11, s3
	v_cndmask_b32_e64 v33, v13, v14, s3
	s_delay_alu instid0(VALU_DEP_1) | instskip(NEXT) | instid1(VALU_DEP_1)
	v_cmp_le_i32_e64 s5, v33, v29
	s_and_b32 s4, s4, s5
	s_delay_alu instid0(SALU_CYCLE_1) | instskip(NEXT) | instid1(SALU_CYCLE_1)
	s_or_b32 s4, s6, s4
	v_cndmask_b32_e64 v14, v10, v12, s4
	v_cndmask_b32_e64 v18, v28, v27, s4
	;; [unrolled: 1-line block ×3, first 2 shown]
	s_delay_alu instid0(VALU_DEP_3) | instskip(NEXT) | instid1(VALU_DEP_3)
	v_add_nc_u32_e32 v31, 1, v14
	v_add_nc_u32_e32 v20, -1, v18
	v_lshlrev_b64 v[18:19], 3, v[14:15]
	s_delay_alu instid0(VALU_DEP_3) | instskip(NEXT) | instid1(VALU_DEP_3)
	v_cndmask_b32_e64 v12, v12, v31, s4
	v_min_u32_e32 v14, v31, v20
	v_cndmask_b32_e64 v10, v31, v10, s4
	s_delay_alu instid0(VALU_DEP_2) | instskip(NEXT) | instid1(VALU_DEP_2)
	v_lshlrev_b64 v[20:21], 2, v[14:15]
	v_cmp_ge_u32_e64 s7, v10, v28
	s_delay_alu instid0(VALU_DEP_2) | instskip(NEXT) | instid1(VALU_DEP_1)
	v_add_co_u32 v20, s5, v24, v20
	v_add_co_ci_u32_e64 v21, s5, v25, v21, s5
	v_cmp_lt_u32_e64 s5, v12, v27
	flat_load_b32 v14, v[20:21]
	s_waitcnt vmcnt(0) lgkmcnt(0)
	v_cndmask_b32_e64 v34, v14, v29, s4
	v_cndmask_b32_e64 v35, v33, v14, s4
	s_delay_alu instid0(VALU_DEP_1) | instskip(NEXT) | instid1(VALU_DEP_1)
	v_cmp_le_i32_e64 s6, v35, v34
	s_and_b32 s5, s5, s6
	s_delay_alu instid0(SALU_CYCLE_1) | instskip(NEXT) | instid1(SALU_CYCLE_1)
	s_or_b32 s5, s7, s5
	v_cndmask_b32_e64 v14, v10, v12, s5
	v_cndmask_b32_e64 v20, v28, v27, s5
	;; [unrolled: 1-line block ×3, first 2 shown]
	s_delay_alu instid0(VALU_DEP_3) | instskip(NEXT) | instid1(VALU_DEP_3)
	v_add_nc_u32_e32 v36, 1, v14
	v_add_nc_u32_e32 v31, -1, v20
	v_lshlrev_b64 v[20:21], 3, v[14:15]
	s_delay_alu instid0(VALU_DEP_3) | instskip(NEXT) | instid1(VALU_DEP_3)
	v_cndmask_b32_e64 v12, v12, v36, s5
	v_min_u32_e32 v14, v36, v31
	v_cndmask_b32_e64 v10, v36, v10, s5
	s_delay_alu instid0(VALU_DEP_2) | instskip(NEXT) | instid1(VALU_DEP_2)
	v_lshlrev_b64 v[31:32], 2, v[14:15]
	v_cmp_ge_u32_e64 s8, v10, v28
	s_delay_alu instid0(VALU_DEP_2) | instskip(NEXT) | instid1(VALU_DEP_1)
	v_add_co_u32 v31, s6, v24, v31
	v_add_co_ci_u32_e64 v32, s6, v25, v32, s6
	v_cmp_lt_u32_e64 s6, v12, v27
	flat_load_b32 v14, v[31:32]
	s_waitcnt vmcnt(0) lgkmcnt(0)
	v_cndmask_b32_e64 v31, v14, v34, s5
	v_cndmask_b32_e64 v32, v35, v14, s5
	s_delay_alu instid0(VALU_DEP_1) | instskip(NEXT) | instid1(VALU_DEP_1)
	v_cmp_le_i32_e64 s7, v32, v31
	s_and_b32 s7, s6, s7
	v_add_co_u32 v16, s6, v22, v16
	s_delay_alu instid0(VALU_DEP_1)
	v_add_co_ci_u32_e64 v17, s6, v23, v17, s6
	s_or_b32 s6, s8, s7
	v_add_co_u32 v18, s7, v22, v18
	v_cndmask_b32_e64 v14, v10, v12, s6
	v_add_co_ci_u32_e64 v19, s7, v23, v19, s7
	v_add_co_u32 v20, s7, v22, v20
	s_delay_alu instid0(VALU_DEP_3) | instskip(SKIP_2) | instid1(VALU_DEP_3)
	v_lshlrev_b64 v[14:15], 3, v[14:15]
	v_add_co_ci_u32_e64 v21, s7, v23, v21, s7
	v_cndmask_b32_e64 v83, v31, v32, s6
	v_add_co_u32 v27, s7, v22, v14
	s_delay_alu instid0(VALU_DEP_1)
	v_add_co_ci_u32_e64 v28, s7, v23, v15, s7
	s_clause 0x3
	flat_load_b64 v[14:15], v[16:17]
	flat_load_b64 v[16:17], v[18:19]
	;; [unrolled: 1-line block ×4, first 2 shown]
.LBB627_83:
	s_or_b32 exec_lo, exec_lo, s9
	v_and_b32_e32 v12, 0x60, v87
	v_min_u32_e32 v13, v26, v96
	s_mov_b32 s4, exec_lo
	; wave barrier
	s_delay_alu instid0(VALU_DEP_2)
	v_or_b32_e32 v10, 16, v12
	s_waitcnt vmcnt(2) lgkmcnt(2)
	s_clause 0x1
	flat_store_b128 v[4:5], v[14:17]
	flat_store_b128 v[8:9], v[80:83]
	s_waitcnt vmcnt(0) lgkmcnt(2)
	flat_store_b128 v[4:5], v[18:21] offset:16
	; wave barrier
	v_min_u32_e32 v10, v26, v10
	s_delay_alu instid0(VALU_DEP_1) | instskip(NEXT) | instid1(VALU_DEP_1)
	v_add_nc_u32_e32 v11, 16, v10
	v_min_u32_e32 v11, v26, v11
	v_sub_nc_u32_e32 v26, v10, v12
	s_delay_alu instid0(VALU_DEP_2) | instskip(NEXT) | instid1(VALU_DEP_2)
	v_sub_nc_u32_e32 v28, v11, v10
	v_min_u32_e32 v27, v13, v26
	s_delay_alu instid0(VALU_DEP_2) | instskip(NEXT) | instid1(VALU_DEP_1)
	v_sub_nc_u32_e64 v26, v13, v28 clamp
	v_cmpx_lt_u32_e64 v26, v27
	s_cbranch_execz .LBB627_87
; %bb.84:
	v_lshlrev_b32_e32 v4, 2, v12
	v_lshlrev_b32_e32 v5, 2, v10
	s_mov_b32 s5, 0
	s_delay_alu instid0(VALU_DEP_2) | instskip(NEXT) | instid1(VALU_DEP_1)
	v_add_co_u32 v8, s3, v24, v4
	v_add_co_ci_u32_e64 v9, s3, 0, v25, s3
	s_delay_alu instid0(VALU_DEP_3)
	v_add_co_u32 v28, s3, v24, v5
	v_mov_b32_e32 v5, 0
	v_add_co_ci_u32_e64 v29, s3, 0, v25, s3
	s_set_inst_prefetch_distance 0x1
	.p2align	6
.LBB627_85:                             ; =>This Inner Loop Header: Depth=1
	v_add_nc_u32_e32 v4, v27, v26
	s_delay_alu instid0(VALU_DEP_3) | instskip(NEXT) | instid1(VALU_DEP_2)
	v_mov_b32_e32 v32, v5
	v_lshrrev_b32_e32 v4, 1, v4
	s_delay_alu instid0(VALU_DEP_1) | instskip(SKIP_1) | instid1(VALU_DEP_2)
	v_xad_u32 v31, v4, -1, v13
	v_lshlrev_b64 v[33:34], 2, v[4:5]
	v_lshlrev_b64 v[31:32], 2, v[31:32]
	s_delay_alu instid0(VALU_DEP_2) | instskip(NEXT) | instid1(VALU_DEP_1)
	v_add_co_u32 v33, s3, v8, v33
	v_add_co_ci_u32_e64 v34, s3, v9, v34, s3
	s_delay_alu instid0(VALU_DEP_3) | instskip(NEXT) | instid1(VALU_DEP_1)
	v_add_co_u32 v31, s3, v28, v31
	v_add_co_ci_u32_e64 v32, s3, v29, v32, s3
	s_clause 0x1
	flat_load_b32 v33, v[33:34]
	flat_load_b32 v31, v[31:32]
	v_add_nc_u32_e32 v32, 1, v4
	s_waitcnt vmcnt(0) lgkmcnt(0)
	v_cmp_gt_i32_e64 s3, v33, v31
	s_delay_alu instid0(VALU_DEP_1) | instskip(NEXT) | instid1(VALU_DEP_3)
	v_cndmask_b32_e64 v27, v27, v4, s3
	v_cndmask_b32_e64 v26, v32, v26, s3
	s_delay_alu instid0(VALU_DEP_1) | instskip(NEXT) | instid1(VALU_DEP_1)
	v_cmp_ge_u32_e64 s3, v26, v27
	s_or_b32 s5, s3, s5
	s_delay_alu instid0(SALU_CYCLE_1)
	s_and_not1_b32 exec_lo, exec_lo, s5
	s_cbranch_execnz .LBB627_85
; %bb.86:
	s_set_inst_prefetch_distance 0x2
	s_or_b32 exec_lo, exec_lo, s5
.LBB627_87:
	s_delay_alu instid0(SALU_CYCLE_1) | instskip(SKIP_2) | instid1(VALU_DEP_2)
	s_or_b32 exec_lo, exec_lo, s4
	v_add_nc_u32_e32 v4, v10, v13
	v_add_nc_u32_e32 v8, v26, v12
	v_sub_nc_u32_e32 v4, v4, v26
	s_delay_alu instid0(VALU_DEP_2) | instskip(NEXT) | instid1(VALU_DEP_2)
	v_cmp_le_u32_e64 s3, v8, v10
	v_cmp_le_u32_e64 s4, v4, v11
	s_delay_alu instid0(VALU_DEP_1) | instskip(NEXT) | instid1(SALU_CYCLE_1)
	s_or_b32 s3, s3, s4
	s_and_saveexec_b32 s9, s3
	s_cbranch_execz .LBB627_93
; %bb.88:
	v_cmp_lt_u32_e64 s3, v8, v10
                                        ; implicit-def: $vgpr9
	s_delay_alu instid0(VALU_DEP_1)
	s_and_saveexec_b32 s5, s3
	s_cbranch_execz .LBB627_90
; %bb.89:
	v_mov_b32_e32 v9, 0
	s_delay_alu instid0(VALU_DEP_1) | instskip(NEXT) | instid1(VALU_DEP_1)
	v_lshlrev_b64 v[12:13], 2, v[8:9]
	v_add_co_u32 v12, s4, v24, v12
	s_delay_alu instid0(VALU_DEP_1)
	v_add_co_ci_u32_e64 v13, s4, v25, v13, s4
	flat_load_b32 v9, v[12:13]
.LBB627_90:
	s_or_b32 exec_lo, exec_lo, s5
	v_cmp_ge_u32_e64 s4, v4, v11
	s_mov_b32 s6, exec_lo
                                        ; implicit-def: $vgpr5
	v_cmpx_lt_u32_e64 v4, v11
	s_cbranch_execz .LBB627_92
; %bb.91:
	v_mov_b32_e32 v5, 0
	s_delay_alu instid0(VALU_DEP_1) | instskip(NEXT) | instid1(VALU_DEP_1)
	v_lshlrev_b64 v[12:13], 2, v[4:5]
	v_add_co_u32 v12, s5, v24, v12
	s_delay_alu instid0(VALU_DEP_1)
	v_add_co_ci_u32_e64 v13, s5, v25, v13, s5
	flat_load_b32 v5, v[12:13]
.LBB627_92:
	s_or_b32 exec_lo, exec_lo, s6
	s_waitcnt vmcnt(0) lgkmcnt(0)
	v_cmp_le_i32_e64 s5, v9, v5
	s_delay_alu instid0(VALU_DEP_1) | instskip(NEXT) | instid1(SALU_CYCLE_1)
	s_and_b32 s3, s3, s5
	s_or_b32 s3, s4, s3
	s_delay_alu instid0(SALU_CYCLE_1) | instskip(SKIP_3) | instid1(VALU_DEP_4)
	v_cndmask_b32_e64 v12, v4, v8, s3
	v_cndmask_b32_e64 v14, v11, v10, s3
	v_mov_b32_e32 v13, 0
	v_cndmask_b32_e64 v80, v5, v9, s3
	v_add_nc_u32_e32 v18, 1, v12
	s_delay_alu instid0(VALU_DEP_4) | instskip(NEXT) | instid1(VALU_DEP_4)
	v_add_nc_u32_e32 v16, -1, v14
	v_lshlrev_b64 v[14:15], 3, v[12:13]
	s_delay_alu instid0(VALU_DEP_3) | instskip(NEXT) | instid1(VALU_DEP_3)
	v_cndmask_b32_e64 v8, v8, v18, s3
	v_min_u32_e32 v12, v18, v16
	v_cndmask_b32_e64 v4, v18, v4, s3
	s_delay_alu instid0(VALU_DEP_2) | instskip(NEXT) | instid1(VALU_DEP_2)
	v_lshlrev_b64 v[16:17], 2, v[12:13]
	v_cmp_ge_u32_e64 s6, v4, v11
	s_delay_alu instid0(VALU_DEP_2) | instskip(NEXT) | instid1(VALU_DEP_1)
	v_add_co_u32 v16, s4, v24, v16
	v_add_co_ci_u32_e64 v17, s4, v25, v17, s4
	v_cmp_lt_u32_e64 s4, v8, v10
	flat_load_b32 v12, v[16:17]
	s_waitcnt vmcnt(0) lgkmcnt(0)
	v_cndmask_b32_e64 v26, v12, v5, s3
	v_cndmask_b32_e64 v27, v9, v12, s3
	s_delay_alu instid0(VALU_DEP_1) | instskip(NEXT) | instid1(VALU_DEP_1)
	v_cmp_le_i32_e64 s5, v27, v26
	s_and_b32 s4, s4, s5
	s_delay_alu instid0(SALU_CYCLE_1) | instskip(NEXT) | instid1(SALU_CYCLE_1)
	s_or_b32 s4, s6, s4
	v_cndmask_b32_e64 v12, v4, v8, s4
	v_cndmask_b32_e64 v16, v11, v10, s4
	;; [unrolled: 1-line block ×3, first 2 shown]
	s_delay_alu instid0(VALU_DEP_3) | instskip(NEXT) | instid1(VALU_DEP_3)
	v_add_nc_u32_e32 v20, 1, v12
	v_add_nc_u32_e32 v18, -1, v16
	v_lshlrev_b64 v[16:17], 3, v[12:13]
	s_delay_alu instid0(VALU_DEP_3) | instskip(NEXT) | instid1(VALU_DEP_3)
	v_cndmask_b32_e64 v8, v8, v20, s4
	v_min_u32_e32 v12, v20, v18
	v_cndmask_b32_e64 v4, v20, v4, s4
	s_delay_alu instid0(VALU_DEP_2) | instskip(NEXT) | instid1(VALU_DEP_2)
	v_lshlrev_b64 v[18:19], 2, v[12:13]
	v_cmp_ge_u32_e64 s7, v4, v11
	s_delay_alu instid0(VALU_DEP_2) | instskip(NEXT) | instid1(VALU_DEP_1)
	v_add_co_u32 v18, s5, v24, v18
	v_add_co_ci_u32_e64 v19, s5, v25, v19, s5
	v_cmp_lt_u32_e64 s5, v8, v10
	flat_load_b32 v12, v[18:19]
	s_waitcnt vmcnt(0) lgkmcnt(0)
	v_cndmask_b32_e64 v28, v12, v26, s4
	v_cndmask_b32_e64 v29, v27, v12, s4
	s_delay_alu instid0(VALU_DEP_1) | instskip(NEXT) | instid1(VALU_DEP_1)
	v_cmp_le_i32_e64 s6, v29, v28
	s_and_b32 s5, s5, s6
	s_delay_alu instid0(SALU_CYCLE_1) | instskip(NEXT) | instid1(SALU_CYCLE_1)
	s_or_b32 s5, s7, s5
	v_cndmask_b32_e64 v12, v4, v8, s5
	v_cndmask_b32_e64 v18, v11, v10, s5
	;; [unrolled: 1-line block ×3, first 2 shown]
	s_delay_alu instid0(VALU_DEP_3) | instskip(NEXT) | instid1(VALU_DEP_3)
	v_add_nc_u32_e32 v31, 1, v12
	v_add_nc_u32_e32 v20, -1, v18
	v_lshlrev_b64 v[18:19], 3, v[12:13]
	s_delay_alu instid0(VALU_DEP_3) | instskip(NEXT) | instid1(VALU_DEP_3)
	v_cndmask_b32_e64 v8, v8, v31, s5
	v_min_u32_e32 v12, v31, v20
	v_cndmask_b32_e64 v4, v31, v4, s5
	s_delay_alu instid0(VALU_DEP_2) | instskip(NEXT) | instid1(VALU_DEP_2)
	v_lshlrev_b64 v[20:21], 2, v[12:13]
	v_cmp_ge_u32_e64 s8, v4, v11
	s_delay_alu instid0(VALU_DEP_2) | instskip(NEXT) | instid1(VALU_DEP_1)
	v_add_co_u32 v20, s6, v24, v20
	v_add_co_ci_u32_e64 v21, s6, v25, v21, s6
	v_cmp_lt_u32_e64 s6, v8, v10
	flat_load_b32 v12, v[20:21]
	s_waitcnt vmcnt(0) lgkmcnt(0)
	v_cndmask_b32_e64 v24, v12, v28, s5
	v_cndmask_b32_e64 v25, v29, v12, s5
	s_delay_alu instid0(VALU_DEP_1) | instskip(NEXT) | instid1(VALU_DEP_1)
	v_cmp_le_i32_e64 s7, v25, v24
	s_and_b32 s7, s6, s7
	v_add_co_u32 v10, s6, v22, v14
	s_delay_alu instid0(VALU_DEP_1)
	v_add_co_ci_u32_e64 v11, s6, v23, v15, s6
	s_or_b32 s6, s8, s7
	v_add_co_u32 v16, s7, v22, v16
	v_cndmask_b32_e64 v12, v4, v8, s6
	v_add_co_ci_u32_e64 v17, s7, v23, v17, s7
	v_add_co_u32 v18, s7, v22, v18
	s_delay_alu instid0(VALU_DEP_3) | instskip(SKIP_2) | instid1(VALU_DEP_3)
	v_lshlrev_b64 v[12:13], 3, v[12:13]
	v_add_co_ci_u32_e64 v19, s7, v23, v19, s7
	v_cndmask_b32_e64 v83, v24, v25, s6
	v_add_co_u32 v12, s7, v22, v12
	s_delay_alu instid0(VALU_DEP_1)
	v_add_co_ci_u32_e64 v13, s7, v23, v13, s7
	s_clause 0x3
	flat_load_b64 v[14:15], v[10:11]
	flat_load_b64 v[16:17], v[16:17]
	;; [unrolled: 1-line block ×4, first 2 shown]
.LBB627_93:
	s_or_b32 exec_lo, exec_lo, s9
	; wave barrier
	s_waitcnt vmcnt(0) lgkmcnt(0)
	s_waitcnt_vscnt null, 0x0
	s_barrier
.LBB627_94:
	s_or_b32 exec_lo, exec_lo, s10
	v_add_co_u32 v2, s3, v2, v84
	s_delay_alu instid0(VALU_DEP_1) | instskip(SKIP_4) | instid1(VALU_DEP_1)
	v_add_co_ci_u32_e64 v3, s3, v3, v85, s3
	s_waitcnt vmcnt(0) lgkmcnt(0)
	s_waitcnt_vscnt null, 0x0
	buffer_gl0_inv
	v_add_co_u32 v2, s3, v2, v30
	v_add_co_ci_u32_e64 v3, s3, 0, v3, s3
	; wave barrier
	s_and_saveexec_b32 s3, vcc_lo
	s_cbranch_execz .LBB627_100
; %bb.95:
	flat_store_b32 v[2:3], v80
	s_or_b32 exec_lo, exec_lo, s3
	s_and_saveexec_b32 s3, s0
	s_cbranch_execnz .LBB627_101
.LBB627_96:
	s_or_b32 exec_lo, exec_lo, s3
	s_and_saveexec_b32 s3, s1
	s_cbranch_execz .LBB627_102
.LBB627_97:
	flat_store_b32 v[2:3], v82 offset:8
	s_or_b32 exec_lo, exec_lo, s3
	s_and_saveexec_b32 s3, s2
	s_cbranch_execnz .LBB627_103
	s_branch .LBB627_104
.LBB627_98:
	s_or_b32 exec_lo, exec_lo, s3
                                        ; implicit-def: $vgpr18_vgpr19
	s_and_saveexec_b32 s3, s1
	s_cbranch_execz .LBB627_12
.LBB627_99:
	flat_load_b64 v[36:37], v[4:5] offset:16
	s_waitcnt vmcnt(0) lgkmcnt(0)
	v_dual_mov_b32 v18, v36 :: v_dual_mov_b32 v19, v37
	s_or_b32 exec_lo, exec_lo, s3
	s_and_saveexec_b32 s3, s2
	s_cbranch_execnz .LBB627_13
	s_branch .LBB627_14
.LBB627_100:
	s_or_b32 exec_lo, exec_lo, s3
	s_and_saveexec_b32 s3, s0
	s_cbranch_execz .LBB627_96
.LBB627_101:
	flat_store_b32 v[2:3], v81 offset:4
	s_or_b32 exec_lo, exec_lo, s3
	s_and_saveexec_b32 s3, s1
	s_cbranch_execnz .LBB627_97
.LBB627_102:
	s_or_b32 exec_lo, exec_lo, s3
	s_and_saveexec_b32 s3, s2
	s_cbranch_execz .LBB627_104
.LBB627_103:
	flat_store_b32 v[2:3], v83 offset:12
.LBB627_104:
	s_or_b32 exec_lo, exec_lo, s3
	v_add_co_u32 v0, s3, v6, v0
	s_delay_alu instid0(VALU_DEP_1) | instskip(NEXT) | instid1(VALU_DEP_2)
	v_add_co_ci_u32_e64 v1, s3, v7, v1, s3
	v_add_co_u32 v0, s3, v0, v86
	s_delay_alu instid0(VALU_DEP_1)
	v_add_co_ci_u32_e64 v1, s3, 0, v1, s3
	; wave barrier
	s_and_saveexec_b32 s3, vcc_lo
	s_cbranch_execz .LBB627_109
; %bb.105:
	flat_store_b64 v[0:1], v[14:15]
	s_or_b32 exec_lo, exec_lo, s3
	s_and_saveexec_b32 s3, s0
	s_cbranch_execnz .LBB627_110
.LBB627_106:
	s_or_b32 exec_lo, exec_lo, s3
	s_and_saveexec_b32 s0, s1
	s_cbranch_execz .LBB627_111
.LBB627_107:
	flat_store_b64 v[0:1], v[18:19] offset:16
	s_or_b32 exec_lo, exec_lo, s0
	s_and_saveexec_b32 s0, s2
	s_cbranch_execnz .LBB627_112
.LBB627_108:
	s_or_b32 exec_lo, exec_lo, s0
	s_waitcnt lgkmcnt(0)
	s_setpc_b64 s[30:31]
.LBB627_109:
	s_or_b32 exec_lo, exec_lo, s3
	s_and_saveexec_b32 s3, s0
	s_cbranch_execz .LBB627_106
.LBB627_110:
	flat_store_b64 v[0:1], v[16:17] offset:8
	s_or_b32 exec_lo, exec_lo, s3
	s_and_saveexec_b32 s0, s1
	s_cbranch_execnz .LBB627_107
.LBB627_111:
	s_or_b32 exec_lo, exec_lo, s0
	s_and_saveexec_b32 s0, s2
	s_cbranch_execz .LBB627_108
.LBB627_112:
	flat_store_b64 v[0:1], v[20:21] offset:24
	s_or_b32 exec_lo, exec_lo, s0
	s_waitcnt lgkmcnt(0)
	s_setpc_b64 s[30:31]
.Lfunc_end627:
	.size	_ZN7rocprim17ROCPRIM_400000_NS6detail26segmented_warp_sort_helperINS1_20WarpSortHelperConfigILj8ELj4ELj256EEEilLi256ELb0EvE4sortIPKiPiPKlPlEEvT_T0_T1_T2_jjjjRNS5_12storage_typeE, .Lfunc_end627-_ZN7rocprim17ROCPRIM_400000_NS6detail26segmented_warp_sort_helperINS1_20WarpSortHelperConfigILj8ELj4ELj256EEEilLi256ELb0EvE4sortIPKiPiPKlPlEEvT_T0_T1_T2_jjjjRNS5_12storage_typeE
                                        ; -- End function
	.section	.AMDGPU.csdata,"",@progbits
; Function info:
; codeLenInByte = 9652
; NumSgprs: 34
; NumVgprs: 97
; ScratchSize: 0
; MemoryBound: 1
	.section	.text._ZN7rocprim17ROCPRIM_400000_NS6detail17trampoline_kernelINS0_14default_configENS1_36segmented_radix_sort_config_selectorIilEEZNS1_25segmented_radix_sort_implIS3_Lb0EPKiPiPKlPlN2at6native12_GLOBAL__N_18offset_tEEE10hipError_tPvRmT1_PNSt15iterator_traitsISK_E10value_typeET2_T3_PNSL_ISQ_E10value_typeET4_jRbjT5_SW_jjP12ihipStream_tbEUlT_E1_NS1_11comp_targetILNS1_3genE9ELNS1_11target_archE1100ELNS1_3gpuE3ELNS1_3repE0EEENS1_59segmented_radix_sort_warp_sort_small_config_static_selectorELNS0_4arch9wavefront6targetE0EEEvSK_,"axG",@progbits,_ZN7rocprim17ROCPRIM_400000_NS6detail17trampoline_kernelINS0_14default_configENS1_36segmented_radix_sort_config_selectorIilEEZNS1_25segmented_radix_sort_implIS3_Lb0EPKiPiPKlPlN2at6native12_GLOBAL__N_18offset_tEEE10hipError_tPvRmT1_PNSt15iterator_traitsISK_E10value_typeET2_T3_PNSL_ISQ_E10value_typeET4_jRbjT5_SW_jjP12ihipStream_tbEUlT_E1_NS1_11comp_targetILNS1_3genE9ELNS1_11target_archE1100ELNS1_3gpuE3ELNS1_3repE0EEENS1_59segmented_radix_sort_warp_sort_small_config_static_selectorELNS0_4arch9wavefront6targetE0EEEvSK_,comdat
	.globl	_ZN7rocprim17ROCPRIM_400000_NS6detail17trampoline_kernelINS0_14default_configENS1_36segmented_radix_sort_config_selectorIilEEZNS1_25segmented_radix_sort_implIS3_Lb0EPKiPiPKlPlN2at6native12_GLOBAL__N_18offset_tEEE10hipError_tPvRmT1_PNSt15iterator_traitsISK_E10value_typeET2_T3_PNSL_ISQ_E10value_typeET4_jRbjT5_SW_jjP12ihipStream_tbEUlT_E1_NS1_11comp_targetILNS1_3genE9ELNS1_11target_archE1100ELNS1_3gpuE3ELNS1_3repE0EEENS1_59segmented_radix_sort_warp_sort_small_config_static_selectorELNS0_4arch9wavefront6targetE0EEEvSK_ ; -- Begin function _ZN7rocprim17ROCPRIM_400000_NS6detail17trampoline_kernelINS0_14default_configENS1_36segmented_radix_sort_config_selectorIilEEZNS1_25segmented_radix_sort_implIS3_Lb0EPKiPiPKlPlN2at6native12_GLOBAL__N_18offset_tEEE10hipError_tPvRmT1_PNSt15iterator_traitsISK_E10value_typeET2_T3_PNSL_ISQ_E10value_typeET4_jRbjT5_SW_jjP12ihipStream_tbEUlT_E1_NS1_11comp_targetILNS1_3genE9ELNS1_11target_archE1100ELNS1_3gpuE3ELNS1_3repE0EEENS1_59segmented_radix_sort_warp_sort_small_config_static_selectorELNS0_4arch9wavefront6targetE0EEEvSK_
	.p2align	8
	.type	_ZN7rocprim17ROCPRIM_400000_NS6detail17trampoline_kernelINS0_14default_configENS1_36segmented_radix_sort_config_selectorIilEEZNS1_25segmented_radix_sort_implIS3_Lb0EPKiPiPKlPlN2at6native12_GLOBAL__N_18offset_tEEE10hipError_tPvRmT1_PNSt15iterator_traitsISK_E10value_typeET2_T3_PNSL_ISQ_E10value_typeET4_jRbjT5_SW_jjP12ihipStream_tbEUlT_E1_NS1_11comp_targetILNS1_3genE9ELNS1_11target_archE1100ELNS1_3gpuE3ELNS1_3repE0EEENS1_59segmented_radix_sort_warp_sort_small_config_static_selectorELNS0_4arch9wavefront6targetE0EEEvSK_,@function
_ZN7rocprim17ROCPRIM_400000_NS6detail17trampoline_kernelINS0_14default_configENS1_36segmented_radix_sort_config_selectorIilEEZNS1_25segmented_radix_sort_implIS3_Lb0EPKiPiPKlPlN2at6native12_GLOBAL__N_18offset_tEEE10hipError_tPvRmT1_PNSt15iterator_traitsISK_E10value_typeET2_T3_PNSL_ISQ_E10value_typeET4_jRbjT5_SW_jjP12ihipStream_tbEUlT_E1_NS1_11comp_targetILNS1_3genE9ELNS1_11target_archE1100ELNS1_3gpuE3ELNS1_3repE0EEENS1_59segmented_radix_sort_warp_sort_small_config_static_selectorELNS0_4arch9wavefront6targetE0EEEvSK_: ; @_ZN7rocprim17ROCPRIM_400000_NS6detail17trampoline_kernelINS0_14default_configENS1_36segmented_radix_sort_config_selectorIilEEZNS1_25segmented_radix_sort_implIS3_Lb0EPKiPiPKlPlN2at6native12_GLOBAL__N_18offset_tEEE10hipError_tPvRmT1_PNSt15iterator_traitsISK_E10value_typeET2_T3_PNSL_ISQ_E10value_typeET4_jRbjT5_SW_jjP12ihipStream_tbEUlT_E1_NS1_11comp_targetILNS1_3genE9ELNS1_11target_archE1100ELNS1_3gpuE3ELNS1_3repE0EEENS1_59segmented_radix_sort_warp_sort_small_config_static_selectorELNS0_4arch9wavefront6targetE0EEEvSK_
; %bb.0:
	s_load_b32 s2, s[0:1], 0x64
	v_bfe_u32 v1, v0, 10, 10
	v_bfe_u32 v2, v0, 20, 10
	s_mov_b32 s12, s14
	s_mov_b32 s32, 0
	s_waitcnt lgkmcnt(0)
	s_lshr_b32 s3, s2, 16
	s_and_b32 s2, s2, 0xffff
	v_mad_u32_u24 v4, v2, s3, v1
	v_and_b32_e32 v1, 0x3ff, v0
	s_load_b32 s3, s[0:1], 0x34
	s_delay_alu instid0(VALU_DEP_1) | instskip(SKIP_1) | instid1(VALU_DEP_1)
	v_mad_u64_u32 v[2:3], null, v4, s2, v[1:2]
	s_mov_b32 s2, exec_lo
	v_lshrrev_b32_e32 v1, 3, v2
	s_delay_alu instid0(VALU_DEP_1) | instskip(SKIP_1) | instid1(VALU_DEP_1)
	v_lshl_add_u32 v1, s12, 5, v1
	s_waitcnt lgkmcnt(0)
	v_cmpx_gt_u32_e64 s3, v1
	s_cbranch_execz .LBB628_6
; %bb.1:
	s_clause 0x1
	s_load_b64 s[2:3], s[0:1], 0x38
	s_load_b128 s[4:7], s[0:1], 0x40
	v_mov_b32_e32 v2, 0
	s_delay_alu instid0(VALU_DEP_1) | instskip(SKIP_1) | instid1(VALU_DEP_1)
	v_lshlrev_b64 v[1:2], 2, v[1:2]
	s_waitcnt lgkmcnt(0)
	v_sub_co_u32 v1, vcc_lo, s2, v1
	s_delay_alu instid0(VALU_DEP_2) | instskip(SKIP_4) | instid1(VALU_DEP_2)
	v_sub_co_ci_u32_e32 v2, vcc_lo, s3, v2, vcc_lo
	global_load_b32 v1, v[1:2], off offset:-4
	s_waitcnt vmcnt(0)
	v_add_nc_u32_e32 v2, s5, v1
	v_add_nc_u32_e32 v1, s7, v1
	v_mul_lo_u32 v40, v2, s4
	s_delay_alu instid0(VALU_DEP_2) | instskip(NEXT) | instid1(VALU_DEP_1)
	v_mul_lo_u32 v41, v1, s6
	v_cmp_gt_u32_e32 vcc_lo, v41, v40
	s_and_b32 exec_lo, exec_lo, vcc_lo
	s_cbranch_execz .LBB628_6
; %bb.2:
	s_clause 0x3
	s_load_b32 s2, s[0:1], 0x30
	s_load_b128 s[24:27], s[0:1], 0x20
	s_load_b256 s[16:23], s[0:1], 0x0
	s_load_b64 s[28:29], s[0:1], 0x50
	s_waitcnt lgkmcnt(0)
	s_bitcmp0_b32 s2, 0
	s_mov_b32 s2, -1
	s_cbranch_scc0 .LBB628_4
; %bb.3:
	s_mov_b64 s[2:3], src_shared_base
	v_mov_b32_e32 v31, v0
	v_dual_mov_b32 v42, v0 :: v_dual_mov_b32 v1, s17
	v_mov_b32_e32 v0, s16
	v_dual_mov_b32 v2, s18 :: v_dual_mov_b32 v3, s19
	v_dual_mov_b32 v4, s22 :: v_dual_mov_b32 v5, s23
	;; [unrolled: 1-line block ×6, first 2 shown]
	s_add_u32 s8, s0, 0x58
	s_addc_u32 s9, s1, 0
	s_mov_b32 s13, s15
	s_getpc_b64 s[4:5]
	s_add_u32 s4, s4, _ZN7rocprim17ROCPRIM_400000_NS6detail26segmented_warp_sort_helperINS1_20WarpSortHelperConfigILj8ELj4ELj256EEEilLi256ELb0EvE4sortIPKiPiPKlPlEEvT_T0_T1_T2_jjjjRNS5_12storage_typeE@rel32@lo+4
	s_addc_u32 s5, s5, _ZN7rocprim17ROCPRIM_400000_NS6detail26segmented_warp_sort_helperINS1_20WarpSortHelperConfigILj8ELj4ELj256EEEilLi256ELb0EvE4sortIPKiPiPKlPlEEvT_T0_T1_T2_jjjjRNS5_12storage_typeE@rel32@hi+12
	s_mov_b64 s[18:19], s[0:1]
	s_swappc_b64 s[30:31], s[4:5]
	v_mov_b32_e32 v0, v42
	s_mov_b64 s[0:1], s[18:19]
	s_mov_b32 s2, 0
.LBB628_4:
	s_delay_alu instid0(SALU_CYCLE_1)
	s_and_not1_b32 vcc_lo, exec_lo, s2
	s_cbranch_vccnz .LBB628_6
; %bb.5:
	s_add_u32 s8, s0, 0x58
	s_addc_u32 s9, s1, 0
	s_mov_b64 s[0:1], src_shared_base
	v_dual_mov_b32 v31, v0 :: v_dual_mov_b32 v0, s16
	v_dual_mov_b32 v1, s17 :: v_dual_mov_b32 v2, s20
	;; [unrolled: 1-line block ×7, first 2 shown]
	v_mov_b32_e32 v13, s1
	s_mov_b32 s13, s15
	s_getpc_b64 s[2:3]
	s_add_u32 s2, s2, _ZN7rocprim17ROCPRIM_400000_NS6detail26segmented_warp_sort_helperINS1_20WarpSortHelperConfigILj8ELj4ELj256EEEilLi256ELb0EvE4sortIPKiPiPKlPlEEvT_T0_T1_T2_jjjjRNS5_12storage_typeE@rel32@lo+4
	s_addc_u32 s3, s3, _ZN7rocprim17ROCPRIM_400000_NS6detail26segmented_warp_sort_helperINS1_20WarpSortHelperConfigILj8ELj4ELj256EEEilLi256ELb0EvE4sortIPKiPiPKlPlEEvT_T0_T1_T2_jjjjRNS5_12storage_typeE@rel32@hi+12
	s_delay_alu instid0(SALU_CYCLE_1)
	s_swappc_b64 s[30:31], s[2:3]
.LBB628_6:
	s_endpgm
	.section	.rodata,"a",@progbits
	.p2align	6, 0x0
	.amdhsa_kernel _ZN7rocprim17ROCPRIM_400000_NS6detail17trampoline_kernelINS0_14default_configENS1_36segmented_radix_sort_config_selectorIilEEZNS1_25segmented_radix_sort_implIS3_Lb0EPKiPiPKlPlN2at6native12_GLOBAL__N_18offset_tEEE10hipError_tPvRmT1_PNSt15iterator_traitsISK_E10value_typeET2_T3_PNSL_ISQ_E10value_typeET4_jRbjT5_SW_jjP12ihipStream_tbEUlT_E1_NS1_11comp_targetILNS1_3genE9ELNS1_11target_archE1100ELNS1_3gpuE3ELNS1_3repE0EEENS1_59segmented_radix_sort_warp_sort_small_config_static_selectorELNS0_4arch9wavefront6targetE0EEEvSK_
		.amdhsa_group_segment_fixed_size 12288
		.amdhsa_private_segment_fixed_size 0
		.amdhsa_kernarg_size 344
		.amdhsa_user_sgpr_count 14
		.amdhsa_user_sgpr_dispatch_ptr 0
		.amdhsa_user_sgpr_queue_ptr 0
		.amdhsa_user_sgpr_kernarg_segment_ptr 1
		.amdhsa_user_sgpr_dispatch_id 0
		.amdhsa_user_sgpr_private_segment_size 0
		.amdhsa_wavefront_size32 1
		.amdhsa_uses_dynamic_stack 0
		.amdhsa_enable_private_segment 0
		.amdhsa_system_sgpr_workgroup_id_x 1
		.amdhsa_system_sgpr_workgroup_id_y 1
		.amdhsa_system_sgpr_workgroup_id_z 0
		.amdhsa_system_sgpr_workgroup_info 0
		.amdhsa_system_vgpr_workitem_id 2
		.amdhsa_next_free_vgpr 97
		.amdhsa_next_free_sgpr 33
		.amdhsa_reserve_vcc 1
		.amdhsa_float_round_mode_32 0
		.amdhsa_float_round_mode_16_64 0
		.amdhsa_float_denorm_mode_32 3
		.amdhsa_float_denorm_mode_16_64 3
		.amdhsa_dx10_clamp 1
		.amdhsa_ieee_mode 1
		.amdhsa_fp16_overflow 0
		.amdhsa_workgroup_processor_mode 1
		.amdhsa_memory_ordered 1
		.amdhsa_forward_progress 0
		.amdhsa_shared_vgpr_count 0
		.amdhsa_exception_fp_ieee_invalid_op 0
		.amdhsa_exception_fp_denorm_src 0
		.amdhsa_exception_fp_ieee_div_zero 0
		.amdhsa_exception_fp_ieee_overflow 0
		.amdhsa_exception_fp_ieee_underflow 0
		.amdhsa_exception_fp_ieee_inexact 0
		.amdhsa_exception_int_div_zero 0
	.end_amdhsa_kernel
	.section	.text._ZN7rocprim17ROCPRIM_400000_NS6detail17trampoline_kernelINS0_14default_configENS1_36segmented_radix_sort_config_selectorIilEEZNS1_25segmented_radix_sort_implIS3_Lb0EPKiPiPKlPlN2at6native12_GLOBAL__N_18offset_tEEE10hipError_tPvRmT1_PNSt15iterator_traitsISK_E10value_typeET2_T3_PNSL_ISQ_E10value_typeET4_jRbjT5_SW_jjP12ihipStream_tbEUlT_E1_NS1_11comp_targetILNS1_3genE9ELNS1_11target_archE1100ELNS1_3gpuE3ELNS1_3repE0EEENS1_59segmented_radix_sort_warp_sort_small_config_static_selectorELNS0_4arch9wavefront6targetE0EEEvSK_,"axG",@progbits,_ZN7rocprim17ROCPRIM_400000_NS6detail17trampoline_kernelINS0_14default_configENS1_36segmented_radix_sort_config_selectorIilEEZNS1_25segmented_radix_sort_implIS3_Lb0EPKiPiPKlPlN2at6native12_GLOBAL__N_18offset_tEEE10hipError_tPvRmT1_PNSt15iterator_traitsISK_E10value_typeET2_T3_PNSL_ISQ_E10value_typeET4_jRbjT5_SW_jjP12ihipStream_tbEUlT_E1_NS1_11comp_targetILNS1_3genE9ELNS1_11target_archE1100ELNS1_3gpuE3ELNS1_3repE0EEENS1_59segmented_radix_sort_warp_sort_small_config_static_selectorELNS0_4arch9wavefront6targetE0EEEvSK_,comdat
.Lfunc_end628:
	.size	_ZN7rocprim17ROCPRIM_400000_NS6detail17trampoline_kernelINS0_14default_configENS1_36segmented_radix_sort_config_selectorIilEEZNS1_25segmented_radix_sort_implIS3_Lb0EPKiPiPKlPlN2at6native12_GLOBAL__N_18offset_tEEE10hipError_tPvRmT1_PNSt15iterator_traitsISK_E10value_typeET2_T3_PNSL_ISQ_E10value_typeET4_jRbjT5_SW_jjP12ihipStream_tbEUlT_E1_NS1_11comp_targetILNS1_3genE9ELNS1_11target_archE1100ELNS1_3gpuE3ELNS1_3repE0EEENS1_59segmented_radix_sort_warp_sort_small_config_static_selectorELNS0_4arch9wavefront6targetE0EEEvSK_, .Lfunc_end628-_ZN7rocprim17ROCPRIM_400000_NS6detail17trampoline_kernelINS0_14default_configENS1_36segmented_radix_sort_config_selectorIilEEZNS1_25segmented_radix_sort_implIS3_Lb0EPKiPiPKlPlN2at6native12_GLOBAL__N_18offset_tEEE10hipError_tPvRmT1_PNSt15iterator_traitsISK_E10value_typeET2_T3_PNSL_ISQ_E10value_typeET4_jRbjT5_SW_jjP12ihipStream_tbEUlT_E1_NS1_11comp_targetILNS1_3genE9ELNS1_11target_archE1100ELNS1_3gpuE3ELNS1_3repE0EEENS1_59segmented_radix_sort_warp_sort_small_config_static_selectorELNS0_4arch9wavefront6targetE0EEEvSK_
                                        ; -- End function
	.section	.AMDGPU.csdata,"",@progbits
; Kernel info:
; codeLenInByte = 528
; NumSgprs: 35
; NumVgprs: 97
; ScratchSize: 0
; MemoryBound: 0
; FloatMode: 240
; IeeeMode: 1
; LDSByteSize: 12288 bytes/workgroup (compile time only)
; SGPRBlocks: 4
; VGPRBlocks: 12
; NumSGPRsForWavesPerEU: 35
; NumVGPRsForWavesPerEU: 97
; Occupancy: 12
; WaveLimiterHint : 0
; COMPUTE_PGM_RSRC2:SCRATCH_EN: 0
; COMPUTE_PGM_RSRC2:USER_SGPR: 14
; COMPUTE_PGM_RSRC2:TRAP_HANDLER: 0
; COMPUTE_PGM_RSRC2:TGID_X_EN: 1
; COMPUTE_PGM_RSRC2:TGID_Y_EN: 1
; COMPUTE_PGM_RSRC2:TGID_Z_EN: 0
; COMPUTE_PGM_RSRC2:TIDIG_COMP_CNT: 2
	.section	.text._ZN7rocprim17ROCPRIM_400000_NS6detail17trampoline_kernelINS0_14default_configENS1_36segmented_radix_sort_config_selectorIilEEZNS1_25segmented_radix_sort_implIS3_Lb0EPKiPiPKlPlN2at6native12_GLOBAL__N_18offset_tEEE10hipError_tPvRmT1_PNSt15iterator_traitsISK_E10value_typeET2_T3_PNSL_ISQ_E10value_typeET4_jRbjT5_SW_jjP12ihipStream_tbEUlT_E1_NS1_11comp_targetILNS1_3genE8ELNS1_11target_archE1030ELNS1_3gpuE2ELNS1_3repE0EEENS1_59segmented_radix_sort_warp_sort_small_config_static_selectorELNS0_4arch9wavefront6targetE0EEEvSK_,"axG",@progbits,_ZN7rocprim17ROCPRIM_400000_NS6detail17trampoline_kernelINS0_14default_configENS1_36segmented_radix_sort_config_selectorIilEEZNS1_25segmented_radix_sort_implIS3_Lb0EPKiPiPKlPlN2at6native12_GLOBAL__N_18offset_tEEE10hipError_tPvRmT1_PNSt15iterator_traitsISK_E10value_typeET2_T3_PNSL_ISQ_E10value_typeET4_jRbjT5_SW_jjP12ihipStream_tbEUlT_E1_NS1_11comp_targetILNS1_3genE8ELNS1_11target_archE1030ELNS1_3gpuE2ELNS1_3repE0EEENS1_59segmented_radix_sort_warp_sort_small_config_static_selectorELNS0_4arch9wavefront6targetE0EEEvSK_,comdat
	.globl	_ZN7rocprim17ROCPRIM_400000_NS6detail17trampoline_kernelINS0_14default_configENS1_36segmented_radix_sort_config_selectorIilEEZNS1_25segmented_radix_sort_implIS3_Lb0EPKiPiPKlPlN2at6native12_GLOBAL__N_18offset_tEEE10hipError_tPvRmT1_PNSt15iterator_traitsISK_E10value_typeET2_T3_PNSL_ISQ_E10value_typeET4_jRbjT5_SW_jjP12ihipStream_tbEUlT_E1_NS1_11comp_targetILNS1_3genE8ELNS1_11target_archE1030ELNS1_3gpuE2ELNS1_3repE0EEENS1_59segmented_radix_sort_warp_sort_small_config_static_selectorELNS0_4arch9wavefront6targetE0EEEvSK_ ; -- Begin function _ZN7rocprim17ROCPRIM_400000_NS6detail17trampoline_kernelINS0_14default_configENS1_36segmented_radix_sort_config_selectorIilEEZNS1_25segmented_radix_sort_implIS3_Lb0EPKiPiPKlPlN2at6native12_GLOBAL__N_18offset_tEEE10hipError_tPvRmT1_PNSt15iterator_traitsISK_E10value_typeET2_T3_PNSL_ISQ_E10value_typeET4_jRbjT5_SW_jjP12ihipStream_tbEUlT_E1_NS1_11comp_targetILNS1_3genE8ELNS1_11target_archE1030ELNS1_3gpuE2ELNS1_3repE0EEENS1_59segmented_radix_sort_warp_sort_small_config_static_selectorELNS0_4arch9wavefront6targetE0EEEvSK_
	.p2align	8
	.type	_ZN7rocprim17ROCPRIM_400000_NS6detail17trampoline_kernelINS0_14default_configENS1_36segmented_radix_sort_config_selectorIilEEZNS1_25segmented_radix_sort_implIS3_Lb0EPKiPiPKlPlN2at6native12_GLOBAL__N_18offset_tEEE10hipError_tPvRmT1_PNSt15iterator_traitsISK_E10value_typeET2_T3_PNSL_ISQ_E10value_typeET4_jRbjT5_SW_jjP12ihipStream_tbEUlT_E1_NS1_11comp_targetILNS1_3genE8ELNS1_11target_archE1030ELNS1_3gpuE2ELNS1_3repE0EEENS1_59segmented_radix_sort_warp_sort_small_config_static_selectorELNS0_4arch9wavefront6targetE0EEEvSK_,@function
_ZN7rocprim17ROCPRIM_400000_NS6detail17trampoline_kernelINS0_14default_configENS1_36segmented_radix_sort_config_selectorIilEEZNS1_25segmented_radix_sort_implIS3_Lb0EPKiPiPKlPlN2at6native12_GLOBAL__N_18offset_tEEE10hipError_tPvRmT1_PNSt15iterator_traitsISK_E10value_typeET2_T3_PNSL_ISQ_E10value_typeET4_jRbjT5_SW_jjP12ihipStream_tbEUlT_E1_NS1_11comp_targetILNS1_3genE8ELNS1_11target_archE1030ELNS1_3gpuE2ELNS1_3repE0EEENS1_59segmented_radix_sort_warp_sort_small_config_static_selectorELNS0_4arch9wavefront6targetE0EEEvSK_: ; @_ZN7rocprim17ROCPRIM_400000_NS6detail17trampoline_kernelINS0_14default_configENS1_36segmented_radix_sort_config_selectorIilEEZNS1_25segmented_radix_sort_implIS3_Lb0EPKiPiPKlPlN2at6native12_GLOBAL__N_18offset_tEEE10hipError_tPvRmT1_PNSt15iterator_traitsISK_E10value_typeET2_T3_PNSL_ISQ_E10value_typeET4_jRbjT5_SW_jjP12ihipStream_tbEUlT_E1_NS1_11comp_targetILNS1_3genE8ELNS1_11target_archE1030ELNS1_3gpuE2ELNS1_3repE0EEENS1_59segmented_radix_sort_warp_sort_small_config_static_selectorELNS0_4arch9wavefront6targetE0EEEvSK_
; %bb.0:
	.section	.rodata,"a",@progbits
	.p2align	6, 0x0
	.amdhsa_kernel _ZN7rocprim17ROCPRIM_400000_NS6detail17trampoline_kernelINS0_14default_configENS1_36segmented_radix_sort_config_selectorIilEEZNS1_25segmented_radix_sort_implIS3_Lb0EPKiPiPKlPlN2at6native12_GLOBAL__N_18offset_tEEE10hipError_tPvRmT1_PNSt15iterator_traitsISK_E10value_typeET2_T3_PNSL_ISQ_E10value_typeET4_jRbjT5_SW_jjP12ihipStream_tbEUlT_E1_NS1_11comp_targetILNS1_3genE8ELNS1_11target_archE1030ELNS1_3gpuE2ELNS1_3repE0EEENS1_59segmented_radix_sort_warp_sort_small_config_static_selectorELNS0_4arch9wavefront6targetE0EEEvSK_
		.amdhsa_group_segment_fixed_size 0
		.amdhsa_private_segment_fixed_size 0
		.amdhsa_kernarg_size 88
		.amdhsa_user_sgpr_count 15
		.amdhsa_user_sgpr_dispatch_ptr 0
		.amdhsa_user_sgpr_queue_ptr 0
		.amdhsa_user_sgpr_kernarg_segment_ptr 1
		.amdhsa_user_sgpr_dispatch_id 0
		.amdhsa_user_sgpr_private_segment_size 0
		.amdhsa_wavefront_size32 1
		.amdhsa_uses_dynamic_stack 0
		.amdhsa_enable_private_segment 0
		.amdhsa_system_sgpr_workgroup_id_x 1
		.amdhsa_system_sgpr_workgroup_id_y 0
		.amdhsa_system_sgpr_workgroup_id_z 0
		.amdhsa_system_sgpr_workgroup_info 0
		.amdhsa_system_vgpr_workitem_id 0
		.amdhsa_next_free_vgpr 1
		.amdhsa_next_free_sgpr 1
		.amdhsa_reserve_vcc 0
		.amdhsa_float_round_mode_32 0
		.amdhsa_float_round_mode_16_64 0
		.amdhsa_float_denorm_mode_32 3
		.amdhsa_float_denorm_mode_16_64 3
		.amdhsa_dx10_clamp 1
		.amdhsa_ieee_mode 1
		.amdhsa_fp16_overflow 0
		.amdhsa_workgroup_processor_mode 1
		.amdhsa_memory_ordered 1
		.amdhsa_forward_progress 0
		.amdhsa_shared_vgpr_count 0
		.amdhsa_exception_fp_ieee_invalid_op 0
		.amdhsa_exception_fp_denorm_src 0
		.amdhsa_exception_fp_ieee_div_zero 0
		.amdhsa_exception_fp_ieee_overflow 0
		.amdhsa_exception_fp_ieee_underflow 0
		.amdhsa_exception_fp_ieee_inexact 0
		.amdhsa_exception_int_div_zero 0
	.end_amdhsa_kernel
	.section	.text._ZN7rocprim17ROCPRIM_400000_NS6detail17trampoline_kernelINS0_14default_configENS1_36segmented_radix_sort_config_selectorIilEEZNS1_25segmented_radix_sort_implIS3_Lb0EPKiPiPKlPlN2at6native12_GLOBAL__N_18offset_tEEE10hipError_tPvRmT1_PNSt15iterator_traitsISK_E10value_typeET2_T3_PNSL_ISQ_E10value_typeET4_jRbjT5_SW_jjP12ihipStream_tbEUlT_E1_NS1_11comp_targetILNS1_3genE8ELNS1_11target_archE1030ELNS1_3gpuE2ELNS1_3repE0EEENS1_59segmented_radix_sort_warp_sort_small_config_static_selectorELNS0_4arch9wavefront6targetE0EEEvSK_,"axG",@progbits,_ZN7rocprim17ROCPRIM_400000_NS6detail17trampoline_kernelINS0_14default_configENS1_36segmented_radix_sort_config_selectorIilEEZNS1_25segmented_radix_sort_implIS3_Lb0EPKiPiPKlPlN2at6native12_GLOBAL__N_18offset_tEEE10hipError_tPvRmT1_PNSt15iterator_traitsISK_E10value_typeET2_T3_PNSL_ISQ_E10value_typeET4_jRbjT5_SW_jjP12ihipStream_tbEUlT_E1_NS1_11comp_targetILNS1_3genE8ELNS1_11target_archE1030ELNS1_3gpuE2ELNS1_3repE0EEENS1_59segmented_radix_sort_warp_sort_small_config_static_selectorELNS0_4arch9wavefront6targetE0EEEvSK_,comdat
.Lfunc_end629:
	.size	_ZN7rocprim17ROCPRIM_400000_NS6detail17trampoline_kernelINS0_14default_configENS1_36segmented_radix_sort_config_selectorIilEEZNS1_25segmented_radix_sort_implIS3_Lb0EPKiPiPKlPlN2at6native12_GLOBAL__N_18offset_tEEE10hipError_tPvRmT1_PNSt15iterator_traitsISK_E10value_typeET2_T3_PNSL_ISQ_E10value_typeET4_jRbjT5_SW_jjP12ihipStream_tbEUlT_E1_NS1_11comp_targetILNS1_3genE8ELNS1_11target_archE1030ELNS1_3gpuE2ELNS1_3repE0EEENS1_59segmented_radix_sort_warp_sort_small_config_static_selectorELNS0_4arch9wavefront6targetE0EEEvSK_, .Lfunc_end629-_ZN7rocprim17ROCPRIM_400000_NS6detail17trampoline_kernelINS0_14default_configENS1_36segmented_radix_sort_config_selectorIilEEZNS1_25segmented_radix_sort_implIS3_Lb0EPKiPiPKlPlN2at6native12_GLOBAL__N_18offset_tEEE10hipError_tPvRmT1_PNSt15iterator_traitsISK_E10value_typeET2_T3_PNSL_ISQ_E10value_typeET4_jRbjT5_SW_jjP12ihipStream_tbEUlT_E1_NS1_11comp_targetILNS1_3genE8ELNS1_11target_archE1030ELNS1_3gpuE2ELNS1_3repE0EEENS1_59segmented_radix_sort_warp_sort_small_config_static_selectorELNS0_4arch9wavefront6targetE0EEEvSK_
                                        ; -- End function
	.section	.AMDGPU.csdata,"",@progbits
; Kernel info:
; codeLenInByte = 0
; NumSgprs: 0
; NumVgprs: 0
; ScratchSize: 0
; MemoryBound: 0
; FloatMode: 240
; IeeeMode: 1
; LDSByteSize: 0 bytes/workgroup (compile time only)
; SGPRBlocks: 0
; VGPRBlocks: 0
; NumSGPRsForWavesPerEU: 1
; NumVGPRsForWavesPerEU: 1
; Occupancy: 16
; WaveLimiterHint : 0
; COMPUTE_PGM_RSRC2:SCRATCH_EN: 0
; COMPUTE_PGM_RSRC2:USER_SGPR: 15
; COMPUTE_PGM_RSRC2:TRAP_HANDLER: 0
; COMPUTE_PGM_RSRC2:TGID_X_EN: 1
; COMPUTE_PGM_RSRC2:TGID_Y_EN: 0
; COMPUTE_PGM_RSRC2:TGID_Z_EN: 0
; COMPUTE_PGM_RSRC2:TIDIG_COMP_CNT: 0
	.section	.text._ZN7rocprim17ROCPRIM_400000_NS6detail17trampoline_kernelINS0_14default_configENS1_36segmented_radix_sort_config_selectorIilEEZNS1_25segmented_radix_sort_implIS3_Lb0EPKiPiPKlPlN2at6native12_GLOBAL__N_18offset_tEEE10hipError_tPvRmT1_PNSt15iterator_traitsISK_E10value_typeET2_T3_PNSL_ISQ_E10value_typeET4_jRbjT5_SW_jjP12ihipStream_tbEUlT_E2_NS1_11comp_targetILNS1_3genE0ELNS1_11target_archE4294967295ELNS1_3gpuE0ELNS1_3repE0EEENS1_30default_config_static_selectorELNS0_4arch9wavefront6targetE0EEEvSK_,"axG",@progbits,_ZN7rocprim17ROCPRIM_400000_NS6detail17trampoline_kernelINS0_14default_configENS1_36segmented_radix_sort_config_selectorIilEEZNS1_25segmented_radix_sort_implIS3_Lb0EPKiPiPKlPlN2at6native12_GLOBAL__N_18offset_tEEE10hipError_tPvRmT1_PNSt15iterator_traitsISK_E10value_typeET2_T3_PNSL_ISQ_E10value_typeET4_jRbjT5_SW_jjP12ihipStream_tbEUlT_E2_NS1_11comp_targetILNS1_3genE0ELNS1_11target_archE4294967295ELNS1_3gpuE0ELNS1_3repE0EEENS1_30default_config_static_selectorELNS0_4arch9wavefront6targetE0EEEvSK_,comdat
	.globl	_ZN7rocprim17ROCPRIM_400000_NS6detail17trampoline_kernelINS0_14default_configENS1_36segmented_radix_sort_config_selectorIilEEZNS1_25segmented_radix_sort_implIS3_Lb0EPKiPiPKlPlN2at6native12_GLOBAL__N_18offset_tEEE10hipError_tPvRmT1_PNSt15iterator_traitsISK_E10value_typeET2_T3_PNSL_ISQ_E10value_typeET4_jRbjT5_SW_jjP12ihipStream_tbEUlT_E2_NS1_11comp_targetILNS1_3genE0ELNS1_11target_archE4294967295ELNS1_3gpuE0ELNS1_3repE0EEENS1_30default_config_static_selectorELNS0_4arch9wavefront6targetE0EEEvSK_ ; -- Begin function _ZN7rocprim17ROCPRIM_400000_NS6detail17trampoline_kernelINS0_14default_configENS1_36segmented_radix_sort_config_selectorIilEEZNS1_25segmented_radix_sort_implIS3_Lb0EPKiPiPKlPlN2at6native12_GLOBAL__N_18offset_tEEE10hipError_tPvRmT1_PNSt15iterator_traitsISK_E10value_typeET2_T3_PNSL_ISQ_E10value_typeET4_jRbjT5_SW_jjP12ihipStream_tbEUlT_E2_NS1_11comp_targetILNS1_3genE0ELNS1_11target_archE4294967295ELNS1_3gpuE0ELNS1_3repE0EEENS1_30default_config_static_selectorELNS0_4arch9wavefront6targetE0EEEvSK_
	.p2align	8
	.type	_ZN7rocprim17ROCPRIM_400000_NS6detail17trampoline_kernelINS0_14default_configENS1_36segmented_radix_sort_config_selectorIilEEZNS1_25segmented_radix_sort_implIS3_Lb0EPKiPiPKlPlN2at6native12_GLOBAL__N_18offset_tEEE10hipError_tPvRmT1_PNSt15iterator_traitsISK_E10value_typeET2_T3_PNSL_ISQ_E10value_typeET4_jRbjT5_SW_jjP12ihipStream_tbEUlT_E2_NS1_11comp_targetILNS1_3genE0ELNS1_11target_archE4294967295ELNS1_3gpuE0ELNS1_3repE0EEENS1_30default_config_static_selectorELNS0_4arch9wavefront6targetE0EEEvSK_,@function
_ZN7rocprim17ROCPRIM_400000_NS6detail17trampoline_kernelINS0_14default_configENS1_36segmented_radix_sort_config_selectorIilEEZNS1_25segmented_radix_sort_implIS3_Lb0EPKiPiPKlPlN2at6native12_GLOBAL__N_18offset_tEEE10hipError_tPvRmT1_PNSt15iterator_traitsISK_E10value_typeET2_T3_PNSL_ISQ_E10value_typeET4_jRbjT5_SW_jjP12ihipStream_tbEUlT_E2_NS1_11comp_targetILNS1_3genE0ELNS1_11target_archE4294967295ELNS1_3gpuE0ELNS1_3repE0EEENS1_30default_config_static_selectorELNS0_4arch9wavefront6targetE0EEEvSK_: ; @_ZN7rocprim17ROCPRIM_400000_NS6detail17trampoline_kernelINS0_14default_configENS1_36segmented_radix_sort_config_selectorIilEEZNS1_25segmented_radix_sort_implIS3_Lb0EPKiPiPKlPlN2at6native12_GLOBAL__N_18offset_tEEE10hipError_tPvRmT1_PNSt15iterator_traitsISK_E10value_typeET2_T3_PNSL_ISQ_E10value_typeET4_jRbjT5_SW_jjP12ihipStream_tbEUlT_E2_NS1_11comp_targetILNS1_3genE0ELNS1_11target_archE4294967295ELNS1_3gpuE0ELNS1_3repE0EEENS1_30default_config_static_selectorELNS0_4arch9wavefront6targetE0EEEvSK_
; %bb.0:
	.section	.rodata,"a",@progbits
	.p2align	6, 0x0
	.amdhsa_kernel _ZN7rocprim17ROCPRIM_400000_NS6detail17trampoline_kernelINS0_14default_configENS1_36segmented_radix_sort_config_selectorIilEEZNS1_25segmented_radix_sort_implIS3_Lb0EPKiPiPKlPlN2at6native12_GLOBAL__N_18offset_tEEE10hipError_tPvRmT1_PNSt15iterator_traitsISK_E10value_typeET2_T3_PNSL_ISQ_E10value_typeET4_jRbjT5_SW_jjP12ihipStream_tbEUlT_E2_NS1_11comp_targetILNS1_3genE0ELNS1_11target_archE4294967295ELNS1_3gpuE0ELNS1_3repE0EEENS1_30default_config_static_selectorELNS0_4arch9wavefront6targetE0EEEvSK_
		.amdhsa_group_segment_fixed_size 0
		.amdhsa_private_segment_fixed_size 0
		.amdhsa_kernarg_size 80
		.amdhsa_user_sgpr_count 15
		.amdhsa_user_sgpr_dispatch_ptr 0
		.amdhsa_user_sgpr_queue_ptr 0
		.amdhsa_user_sgpr_kernarg_segment_ptr 1
		.amdhsa_user_sgpr_dispatch_id 0
		.amdhsa_user_sgpr_private_segment_size 0
		.amdhsa_wavefront_size32 1
		.amdhsa_uses_dynamic_stack 0
		.amdhsa_enable_private_segment 0
		.amdhsa_system_sgpr_workgroup_id_x 1
		.amdhsa_system_sgpr_workgroup_id_y 0
		.amdhsa_system_sgpr_workgroup_id_z 0
		.amdhsa_system_sgpr_workgroup_info 0
		.amdhsa_system_vgpr_workitem_id 0
		.amdhsa_next_free_vgpr 1
		.amdhsa_next_free_sgpr 1
		.amdhsa_reserve_vcc 0
		.amdhsa_float_round_mode_32 0
		.amdhsa_float_round_mode_16_64 0
		.amdhsa_float_denorm_mode_32 3
		.amdhsa_float_denorm_mode_16_64 3
		.amdhsa_dx10_clamp 1
		.amdhsa_ieee_mode 1
		.amdhsa_fp16_overflow 0
		.amdhsa_workgroup_processor_mode 1
		.amdhsa_memory_ordered 1
		.amdhsa_forward_progress 0
		.amdhsa_shared_vgpr_count 0
		.amdhsa_exception_fp_ieee_invalid_op 0
		.amdhsa_exception_fp_denorm_src 0
		.amdhsa_exception_fp_ieee_div_zero 0
		.amdhsa_exception_fp_ieee_overflow 0
		.amdhsa_exception_fp_ieee_underflow 0
		.amdhsa_exception_fp_ieee_inexact 0
		.amdhsa_exception_int_div_zero 0
	.end_amdhsa_kernel
	.section	.text._ZN7rocprim17ROCPRIM_400000_NS6detail17trampoline_kernelINS0_14default_configENS1_36segmented_radix_sort_config_selectorIilEEZNS1_25segmented_radix_sort_implIS3_Lb0EPKiPiPKlPlN2at6native12_GLOBAL__N_18offset_tEEE10hipError_tPvRmT1_PNSt15iterator_traitsISK_E10value_typeET2_T3_PNSL_ISQ_E10value_typeET4_jRbjT5_SW_jjP12ihipStream_tbEUlT_E2_NS1_11comp_targetILNS1_3genE0ELNS1_11target_archE4294967295ELNS1_3gpuE0ELNS1_3repE0EEENS1_30default_config_static_selectorELNS0_4arch9wavefront6targetE0EEEvSK_,"axG",@progbits,_ZN7rocprim17ROCPRIM_400000_NS6detail17trampoline_kernelINS0_14default_configENS1_36segmented_radix_sort_config_selectorIilEEZNS1_25segmented_radix_sort_implIS3_Lb0EPKiPiPKlPlN2at6native12_GLOBAL__N_18offset_tEEE10hipError_tPvRmT1_PNSt15iterator_traitsISK_E10value_typeET2_T3_PNSL_ISQ_E10value_typeET4_jRbjT5_SW_jjP12ihipStream_tbEUlT_E2_NS1_11comp_targetILNS1_3genE0ELNS1_11target_archE4294967295ELNS1_3gpuE0ELNS1_3repE0EEENS1_30default_config_static_selectorELNS0_4arch9wavefront6targetE0EEEvSK_,comdat
.Lfunc_end630:
	.size	_ZN7rocprim17ROCPRIM_400000_NS6detail17trampoline_kernelINS0_14default_configENS1_36segmented_radix_sort_config_selectorIilEEZNS1_25segmented_radix_sort_implIS3_Lb0EPKiPiPKlPlN2at6native12_GLOBAL__N_18offset_tEEE10hipError_tPvRmT1_PNSt15iterator_traitsISK_E10value_typeET2_T3_PNSL_ISQ_E10value_typeET4_jRbjT5_SW_jjP12ihipStream_tbEUlT_E2_NS1_11comp_targetILNS1_3genE0ELNS1_11target_archE4294967295ELNS1_3gpuE0ELNS1_3repE0EEENS1_30default_config_static_selectorELNS0_4arch9wavefront6targetE0EEEvSK_, .Lfunc_end630-_ZN7rocprim17ROCPRIM_400000_NS6detail17trampoline_kernelINS0_14default_configENS1_36segmented_radix_sort_config_selectorIilEEZNS1_25segmented_radix_sort_implIS3_Lb0EPKiPiPKlPlN2at6native12_GLOBAL__N_18offset_tEEE10hipError_tPvRmT1_PNSt15iterator_traitsISK_E10value_typeET2_T3_PNSL_ISQ_E10value_typeET4_jRbjT5_SW_jjP12ihipStream_tbEUlT_E2_NS1_11comp_targetILNS1_3genE0ELNS1_11target_archE4294967295ELNS1_3gpuE0ELNS1_3repE0EEENS1_30default_config_static_selectorELNS0_4arch9wavefront6targetE0EEEvSK_
                                        ; -- End function
	.section	.AMDGPU.csdata,"",@progbits
; Kernel info:
; codeLenInByte = 0
; NumSgprs: 0
; NumVgprs: 0
; ScratchSize: 0
; MemoryBound: 0
; FloatMode: 240
; IeeeMode: 1
; LDSByteSize: 0 bytes/workgroup (compile time only)
; SGPRBlocks: 0
; VGPRBlocks: 0
; NumSGPRsForWavesPerEU: 1
; NumVGPRsForWavesPerEU: 1
; Occupancy: 16
; WaveLimiterHint : 0
; COMPUTE_PGM_RSRC2:SCRATCH_EN: 0
; COMPUTE_PGM_RSRC2:USER_SGPR: 15
; COMPUTE_PGM_RSRC2:TRAP_HANDLER: 0
; COMPUTE_PGM_RSRC2:TGID_X_EN: 1
; COMPUTE_PGM_RSRC2:TGID_Y_EN: 0
; COMPUTE_PGM_RSRC2:TGID_Z_EN: 0
; COMPUTE_PGM_RSRC2:TIDIG_COMP_CNT: 0
	.section	.text._ZN7rocprim17ROCPRIM_400000_NS6detail17trampoline_kernelINS0_14default_configENS1_36segmented_radix_sort_config_selectorIilEEZNS1_25segmented_radix_sort_implIS3_Lb0EPKiPiPKlPlN2at6native12_GLOBAL__N_18offset_tEEE10hipError_tPvRmT1_PNSt15iterator_traitsISK_E10value_typeET2_T3_PNSL_ISQ_E10value_typeET4_jRbjT5_SW_jjP12ihipStream_tbEUlT_E2_NS1_11comp_targetILNS1_3genE5ELNS1_11target_archE942ELNS1_3gpuE9ELNS1_3repE0EEENS1_30default_config_static_selectorELNS0_4arch9wavefront6targetE0EEEvSK_,"axG",@progbits,_ZN7rocprim17ROCPRIM_400000_NS6detail17trampoline_kernelINS0_14default_configENS1_36segmented_radix_sort_config_selectorIilEEZNS1_25segmented_radix_sort_implIS3_Lb0EPKiPiPKlPlN2at6native12_GLOBAL__N_18offset_tEEE10hipError_tPvRmT1_PNSt15iterator_traitsISK_E10value_typeET2_T3_PNSL_ISQ_E10value_typeET4_jRbjT5_SW_jjP12ihipStream_tbEUlT_E2_NS1_11comp_targetILNS1_3genE5ELNS1_11target_archE942ELNS1_3gpuE9ELNS1_3repE0EEENS1_30default_config_static_selectorELNS0_4arch9wavefront6targetE0EEEvSK_,comdat
	.globl	_ZN7rocprim17ROCPRIM_400000_NS6detail17trampoline_kernelINS0_14default_configENS1_36segmented_radix_sort_config_selectorIilEEZNS1_25segmented_radix_sort_implIS3_Lb0EPKiPiPKlPlN2at6native12_GLOBAL__N_18offset_tEEE10hipError_tPvRmT1_PNSt15iterator_traitsISK_E10value_typeET2_T3_PNSL_ISQ_E10value_typeET4_jRbjT5_SW_jjP12ihipStream_tbEUlT_E2_NS1_11comp_targetILNS1_3genE5ELNS1_11target_archE942ELNS1_3gpuE9ELNS1_3repE0EEENS1_30default_config_static_selectorELNS0_4arch9wavefront6targetE0EEEvSK_ ; -- Begin function _ZN7rocprim17ROCPRIM_400000_NS6detail17trampoline_kernelINS0_14default_configENS1_36segmented_radix_sort_config_selectorIilEEZNS1_25segmented_radix_sort_implIS3_Lb0EPKiPiPKlPlN2at6native12_GLOBAL__N_18offset_tEEE10hipError_tPvRmT1_PNSt15iterator_traitsISK_E10value_typeET2_T3_PNSL_ISQ_E10value_typeET4_jRbjT5_SW_jjP12ihipStream_tbEUlT_E2_NS1_11comp_targetILNS1_3genE5ELNS1_11target_archE942ELNS1_3gpuE9ELNS1_3repE0EEENS1_30default_config_static_selectorELNS0_4arch9wavefront6targetE0EEEvSK_
	.p2align	8
	.type	_ZN7rocprim17ROCPRIM_400000_NS6detail17trampoline_kernelINS0_14default_configENS1_36segmented_radix_sort_config_selectorIilEEZNS1_25segmented_radix_sort_implIS3_Lb0EPKiPiPKlPlN2at6native12_GLOBAL__N_18offset_tEEE10hipError_tPvRmT1_PNSt15iterator_traitsISK_E10value_typeET2_T3_PNSL_ISQ_E10value_typeET4_jRbjT5_SW_jjP12ihipStream_tbEUlT_E2_NS1_11comp_targetILNS1_3genE5ELNS1_11target_archE942ELNS1_3gpuE9ELNS1_3repE0EEENS1_30default_config_static_selectorELNS0_4arch9wavefront6targetE0EEEvSK_,@function
_ZN7rocprim17ROCPRIM_400000_NS6detail17trampoline_kernelINS0_14default_configENS1_36segmented_radix_sort_config_selectorIilEEZNS1_25segmented_radix_sort_implIS3_Lb0EPKiPiPKlPlN2at6native12_GLOBAL__N_18offset_tEEE10hipError_tPvRmT1_PNSt15iterator_traitsISK_E10value_typeET2_T3_PNSL_ISQ_E10value_typeET4_jRbjT5_SW_jjP12ihipStream_tbEUlT_E2_NS1_11comp_targetILNS1_3genE5ELNS1_11target_archE942ELNS1_3gpuE9ELNS1_3repE0EEENS1_30default_config_static_selectorELNS0_4arch9wavefront6targetE0EEEvSK_: ; @_ZN7rocprim17ROCPRIM_400000_NS6detail17trampoline_kernelINS0_14default_configENS1_36segmented_radix_sort_config_selectorIilEEZNS1_25segmented_radix_sort_implIS3_Lb0EPKiPiPKlPlN2at6native12_GLOBAL__N_18offset_tEEE10hipError_tPvRmT1_PNSt15iterator_traitsISK_E10value_typeET2_T3_PNSL_ISQ_E10value_typeET4_jRbjT5_SW_jjP12ihipStream_tbEUlT_E2_NS1_11comp_targetILNS1_3genE5ELNS1_11target_archE942ELNS1_3gpuE9ELNS1_3repE0EEENS1_30default_config_static_selectorELNS0_4arch9wavefront6targetE0EEEvSK_
; %bb.0:
	.section	.rodata,"a",@progbits
	.p2align	6, 0x0
	.amdhsa_kernel _ZN7rocprim17ROCPRIM_400000_NS6detail17trampoline_kernelINS0_14default_configENS1_36segmented_radix_sort_config_selectorIilEEZNS1_25segmented_radix_sort_implIS3_Lb0EPKiPiPKlPlN2at6native12_GLOBAL__N_18offset_tEEE10hipError_tPvRmT1_PNSt15iterator_traitsISK_E10value_typeET2_T3_PNSL_ISQ_E10value_typeET4_jRbjT5_SW_jjP12ihipStream_tbEUlT_E2_NS1_11comp_targetILNS1_3genE5ELNS1_11target_archE942ELNS1_3gpuE9ELNS1_3repE0EEENS1_30default_config_static_selectorELNS0_4arch9wavefront6targetE0EEEvSK_
		.amdhsa_group_segment_fixed_size 0
		.amdhsa_private_segment_fixed_size 0
		.amdhsa_kernarg_size 80
		.amdhsa_user_sgpr_count 15
		.amdhsa_user_sgpr_dispatch_ptr 0
		.amdhsa_user_sgpr_queue_ptr 0
		.amdhsa_user_sgpr_kernarg_segment_ptr 1
		.amdhsa_user_sgpr_dispatch_id 0
		.amdhsa_user_sgpr_private_segment_size 0
		.amdhsa_wavefront_size32 1
		.amdhsa_uses_dynamic_stack 0
		.amdhsa_enable_private_segment 0
		.amdhsa_system_sgpr_workgroup_id_x 1
		.amdhsa_system_sgpr_workgroup_id_y 0
		.amdhsa_system_sgpr_workgroup_id_z 0
		.amdhsa_system_sgpr_workgroup_info 0
		.amdhsa_system_vgpr_workitem_id 0
		.amdhsa_next_free_vgpr 1
		.amdhsa_next_free_sgpr 1
		.amdhsa_reserve_vcc 0
		.amdhsa_float_round_mode_32 0
		.amdhsa_float_round_mode_16_64 0
		.amdhsa_float_denorm_mode_32 3
		.amdhsa_float_denorm_mode_16_64 3
		.amdhsa_dx10_clamp 1
		.amdhsa_ieee_mode 1
		.amdhsa_fp16_overflow 0
		.amdhsa_workgroup_processor_mode 1
		.amdhsa_memory_ordered 1
		.amdhsa_forward_progress 0
		.amdhsa_shared_vgpr_count 0
		.amdhsa_exception_fp_ieee_invalid_op 0
		.amdhsa_exception_fp_denorm_src 0
		.amdhsa_exception_fp_ieee_div_zero 0
		.amdhsa_exception_fp_ieee_overflow 0
		.amdhsa_exception_fp_ieee_underflow 0
		.amdhsa_exception_fp_ieee_inexact 0
		.amdhsa_exception_int_div_zero 0
	.end_amdhsa_kernel
	.section	.text._ZN7rocprim17ROCPRIM_400000_NS6detail17trampoline_kernelINS0_14default_configENS1_36segmented_radix_sort_config_selectorIilEEZNS1_25segmented_radix_sort_implIS3_Lb0EPKiPiPKlPlN2at6native12_GLOBAL__N_18offset_tEEE10hipError_tPvRmT1_PNSt15iterator_traitsISK_E10value_typeET2_T3_PNSL_ISQ_E10value_typeET4_jRbjT5_SW_jjP12ihipStream_tbEUlT_E2_NS1_11comp_targetILNS1_3genE5ELNS1_11target_archE942ELNS1_3gpuE9ELNS1_3repE0EEENS1_30default_config_static_selectorELNS0_4arch9wavefront6targetE0EEEvSK_,"axG",@progbits,_ZN7rocprim17ROCPRIM_400000_NS6detail17trampoline_kernelINS0_14default_configENS1_36segmented_radix_sort_config_selectorIilEEZNS1_25segmented_radix_sort_implIS3_Lb0EPKiPiPKlPlN2at6native12_GLOBAL__N_18offset_tEEE10hipError_tPvRmT1_PNSt15iterator_traitsISK_E10value_typeET2_T3_PNSL_ISQ_E10value_typeET4_jRbjT5_SW_jjP12ihipStream_tbEUlT_E2_NS1_11comp_targetILNS1_3genE5ELNS1_11target_archE942ELNS1_3gpuE9ELNS1_3repE0EEENS1_30default_config_static_selectorELNS0_4arch9wavefront6targetE0EEEvSK_,comdat
.Lfunc_end631:
	.size	_ZN7rocprim17ROCPRIM_400000_NS6detail17trampoline_kernelINS0_14default_configENS1_36segmented_radix_sort_config_selectorIilEEZNS1_25segmented_radix_sort_implIS3_Lb0EPKiPiPKlPlN2at6native12_GLOBAL__N_18offset_tEEE10hipError_tPvRmT1_PNSt15iterator_traitsISK_E10value_typeET2_T3_PNSL_ISQ_E10value_typeET4_jRbjT5_SW_jjP12ihipStream_tbEUlT_E2_NS1_11comp_targetILNS1_3genE5ELNS1_11target_archE942ELNS1_3gpuE9ELNS1_3repE0EEENS1_30default_config_static_selectorELNS0_4arch9wavefront6targetE0EEEvSK_, .Lfunc_end631-_ZN7rocprim17ROCPRIM_400000_NS6detail17trampoline_kernelINS0_14default_configENS1_36segmented_radix_sort_config_selectorIilEEZNS1_25segmented_radix_sort_implIS3_Lb0EPKiPiPKlPlN2at6native12_GLOBAL__N_18offset_tEEE10hipError_tPvRmT1_PNSt15iterator_traitsISK_E10value_typeET2_T3_PNSL_ISQ_E10value_typeET4_jRbjT5_SW_jjP12ihipStream_tbEUlT_E2_NS1_11comp_targetILNS1_3genE5ELNS1_11target_archE942ELNS1_3gpuE9ELNS1_3repE0EEENS1_30default_config_static_selectorELNS0_4arch9wavefront6targetE0EEEvSK_
                                        ; -- End function
	.section	.AMDGPU.csdata,"",@progbits
; Kernel info:
; codeLenInByte = 0
; NumSgprs: 0
; NumVgprs: 0
; ScratchSize: 0
; MemoryBound: 0
; FloatMode: 240
; IeeeMode: 1
; LDSByteSize: 0 bytes/workgroup (compile time only)
; SGPRBlocks: 0
; VGPRBlocks: 0
; NumSGPRsForWavesPerEU: 1
; NumVGPRsForWavesPerEU: 1
; Occupancy: 16
; WaveLimiterHint : 0
; COMPUTE_PGM_RSRC2:SCRATCH_EN: 0
; COMPUTE_PGM_RSRC2:USER_SGPR: 15
; COMPUTE_PGM_RSRC2:TRAP_HANDLER: 0
; COMPUTE_PGM_RSRC2:TGID_X_EN: 1
; COMPUTE_PGM_RSRC2:TGID_Y_EN: 0
; COMPUTE_PGM_RSRC2:TGID_Z_EN: 0
; COMPUTE_PGM_RSRC2:TIDIG_COMP_CNT: 0
	.section	.text._ZN7rocprim17ROCPRIM_400000_NS6detail17trampoline_kernelINS0_14default_configENS1_36segmented_radix_sort_config_selectorIilEEZNS1_25segmented_radix_sort_implIS3_Lb0EPKiPiPKlPlN2at6native12_GLOBAL__N_18offset_tEEE10hipError_tPvRmT1_PNSt15iterator_traitsISK_E10value_typeET2_T3_PNSL_ISQ_E10value_typeET4_jRbjT5_SW_jjP12ihipStream_tbEUlT_E2_NS1_11comp_targetILNS1_3genE4ELNS1_11target_archE910ELNS1_3gpuE8ELNS1_3repE0EEENS1_30default_config_static_selectorELNS0_4arch9wavefront6targetE0EEEvSK_,"axG",@progbits,_ZN7rocprim17ROCPRIM_400000_NS6detail17trampoline_kernelINS0_14default_configENS1_36segmented_radix_sort_config_selectorIilEEZNS1_25segmented_radix_sort_implIS3_Lb0EPKiPiPKlPlN2at6native12_GLOBAL__N_18offset_tEEE10hipError_tPvRmT1_PNSt15iterator_traitsISK_E10value_typeET2_T3_PNSL_ISQ_E10value_typeET4_jRbjT5_SW_jjP12ihipStream_tbEUlT_E2_NS1_11comp_targetILNS1_3genE4ELNS1_11target_archE910ELNS1_3gpuE8ELNS1_3repE0EEENS1_30default_config_static_selectorELNS0_4arch9wavefront6targetE0EEEvSK_,comdat
	.globl	_ZN7rocprim17ROCPRIM_400000_NS6detail17trampoline_kernelINS0_14default_configENS1_36segmented_radix_sort_config_selectorIilEEZNS1_25segmented_radix_sort_implIS3_Lb0EPKiPiPKlPlN2at6native12_GLOBAL__N_18offset_tEEE10hipError_tPvRmT1_PNSt15iterator_traitsISK_E10value_typeET2_T3_PNSL_ISQ_E10value_typeET4_jRbjT5_SW_jjP12ihipStream_tbEUlT_E2_NS1_11comp_targetILNS1_3genE4ELNS1_11target_archE910ELNS1_3gpuE8ELNS1_3repE0EEENS1_30default_config_static_selectorELNS0_4arch9wavefront6targetE0EEEvSK_ ; -- Begin function _ZN7rocprim17ROCPRIM_400000_NS6detail17trampoline_kernelINS0_14default_configENS1_36segmented_radix_sort_config_selectorIilEEZNS1_25segmented_radix_sort_implIS3_Lb0EPKiPiPKlPlN2at6native12_GLOBAL__N_18offset_tEEE10hipError_tPvRmT1_PNSt15iterator_traitsISK_E10value_typeET2_T3_PNSL_ISQ_E10value_typeET4_jRbjT5_SW_jjP12ihipStream_tbEUlT_E2_NS1_11comp_targetILNS1_3genE4ELNS1_11target_archE910ELNS1_3gpuE8ELNS1_3repE0EEENS1_30default_config_static_selectorELNS0_4arch9wavefront6targetE0EEEvSK_
	.p2align	8
	.type	_ZN7rocprim17ROCPRIM_400000_NS6detail17trampoline_kernelINS0_14default_configENS1_36segmented_radix_sort_config_selectorIilEEZNS1_25segmented_radix_sort_implIS3_Lb0EPKiPiPKlPlN2at6native12_GLOBAL__N_18offset_tEEE10hipError_tPvRmT1_PNSt15iterator_traitsISK_E10value_typeET2_T3_PNSL_ISQ_E10value_typeET4_jRbjT5_SW_jjP12ihipStream_tbEUlT_E2_NS1_11comp_targetILNS1_3genE4ELNS1_11target_archE910ELNS1_3gpuE8ELNS1_3repE0EEENS1_30default_config_static_selectorELNS0_4arch9wavefront6targetE0EEEvSK_,@function
_ZN7rocprim17ROCPRIM_400000_NS6detail17trampoline_kernelINS0_14default_configENS1_36segmented_radix_sort_config_selectorIilEEZNS1_25segmented_radix_sort_implIS3_Lb0EPKiPiPKlPlN2at6native12_GLOBAL__N_18offset_tEEE10hipError_tPvRmT1_PNSt15iterator_traitsISK_E10value_typeET2_T3_PNSL_ISQ_E10value_typeET4_jRbjT5_SW_jjP12ihipStream_tbEUlT_E2_NS1_11comp_targetILNS1_3genE4ELNS1_11target_archE910ELNS1_3gpuE8ELNS1_3repE0EEENS1_30default_config_static_selectorELNS0_4arch9wavefront6targetE0EEEvSK_: ; @_ZN7rocprim17ROCPRIM_400000_NS6detail17trampoline_kernelINS0_14default_configENS1_36segmented_radix_sort_config_selectorIilEEZNS1_25segmented_radix_sort_implIS3_Lb0EPKiPiPKlPlN2at6native12_GLOBAL__N_18offset_tEEE10hipError_tPvRmT1_PNSt15iterator_traitsISK_E10value_typeET2_T3_PNSL_ISQ_E10value_typeET4_jRbjT5_SW_jjP12ihipStream_tbEUlT_E2_NS1_11comp_targetILNS1_3genE4ELNS1_11target_archE910ELNS1_3gpuE8ELNS1_3repE0EEENS1_30default_config_static_selectorELNS0_4arch9wavefront6targetE0EEEvSK_
; %bb.0:
	.section	.rodata,"a",@progbits
	.p2align	6, 0x0
	.amdhsa_kernel _ZN7rocprim17ROCPRIM_400000_NS6detail17trampoline_kernelINS0_14default_configENS1_36segmented_radix_sort_config_selectorIilEEZNS1_25segmented_radix_sort_implIS3_Lb0EPKiPiPKlPlN2at6native12_GLOBAL__N_18offset_tEEE10hipError_tPvRmT1_PNSt15iterator_traitsISK_E10value_typeET2_T3_PNSL_ISQ_E10value_typeET4_jRbjT5_SW_jjP12ihipStream_tbEUlT_E2_NS1_11comp_targetILNS1_3genE4ELNS1_11target_archE910ELNS1_3gpuE8ELNS1_3repE0EEENS1_30default_config_static_selectorELNS0_4arch9wavefront6targetE0EEEvSK_
		.amdhsa_group_segment_fixed_size 0
		.amdhsa_private_segment_fixed_size 0
		.amdhsa_kernarg_size 80
		.amdhsa_user_sgpr_count 15
		.amdhsa_user_sgpr_dispatch_ptr 0
		.amdhsa_user_sgpr_queue_ptr 0
		.amdhsa_user_sgpr_kernarg_segment_ptr 1
		.amdhsa_user_sgpr_dispatch_id 0
		.amdhsa_user_sgpr_private_segment_size 0
		.amdhsa_wavefront_size32 1
		.amdhsa_uses_dynamic_stack 0
		.amdhsa_enable_private_segment 0
		.amdhsa_system_sgpr_workgroup_id_x 1
		.amdhsa_system_sgpr_workgroup_id_y 0
		.amdhsa_system_sgpr_workgroup_id_z 0
		.amdhsa_system_sgpr_workgroup_info 0
		.amdhsa_system_vgpr_workitem_id 0
		.amdhsa_next_free_vgpr 1
		.amdhsa_next_free_sgpr 1
		.amdhsa_reserve_vcc 0
		.amdhsa_float_round_mode_32 0
		.amdhsa_float_round_mode_16_64 0
		.amdhsa_float_denorm_mode_32 3
		.amdhsa_float_denorm_mode_16_64 3
		.amdhsa_dx10_clamp 1
		.amdhsa_ieee_mode 1
		.amdhsa_fp16_overflow 0
		.amdhsa_workgroup_processor_mode 1
		.amdhsa_memory_ordered 1
		.amdhsa_forward_progress 0
		.amdhsa_shared_vgpr_count 0
		.amdhsa_exception_fp_ieee_invalid_op 0
		.amdhsa_exception_fp_denorm_src 0
		.amdhsa_exception_fp_ieee_div_zero 0
		.amdhsa_exception_fp_ieee_overflow 0
		.amdhsa_exception_fp_ieee_underflow 0
		.amdhsa_exception_fp_ieee_inexact 0
		.amdhsa_exception_int_div_zero 0
	.end_amdhsa_kernel
	.section	.text._ZN7rocprim17ROCPRIM_400000_NS6detail17trampoline_kernelINS0_14default_configENS1_36segmented_radix_sort_config_selectorIilEEZNS1_25segmented_radix_sort_implIS3_Lb0EPKiPiPKlPlN2at6native12_GLOBAL__N_18offset_tEEE10hipError_tPvRmT1_PNSt15iterator_traitsISK_E10value_typeET2_T3_PNSL_ISQ_E10value_typeET4_jRbjT5_SW_jjP12ihipStream_tbEUlT_E2_NS1_11comp_targetILNS1_3genE4ELNS1_11target_archE910ELNS1_3gpuE8ELNS1_3repE0EEENS1_30default_config_static_selectorELNS0_4arch9wavefront6targetE0EEEvSK_,"axG",@progbits,_ZN7rocprim17ROCPRIM_400000_NS6detail17trampoline_kernelINS0_14default_configENS1_36segmented_radix_sort_config_selectorIilEEZNS1_25segmented_radix_sort_implIS3_Lb0EPKiPiPKlPlN2at6native12_GLOBAL__N_18offset_tEEE10hipError_tPvRmT1_PNSt15iterator_traitsISK_E10value_typeET2_T3_PNSL_ISQ_E10value_typeET4_jRbjT5_SW_jjP12ihipStream_tbEUlT_E2_NS1_11comp_targetILNS1_3genE4ELNS1_11target_archE910ELNS1_3gpuE8ELNS1_3repE0EEENS1_30default_config_static_selectorELNS0_4arch9wavefront6targetE0EEEvSK_,comdat
.Lfunc_end632:
	.size	_ZN7rocprim17ROCPRIM_400000_NS6detail17trampoline_kernelINS0_14default_configENS1_36segmented_radix_sort_config_selectorIilEEZNS1_25segmented_radix_sort_implIS3_Lb0EPKiPiPKlPlN2at6native12_GLOBAL__N_18offset_tEEE10hipError_tPvRmT1_PNSt15iterator_traitsISK_E10value_typeET2_T3_PNSL_ISQ_E10value_typeET4_jRbjT5_SW_jjP12ihipStream_tbEUlT_E2_NS1_11comp_targetILNS1_3genE4ELNS1_11target_archE910ELNS1_3gpuE8ELNS1_3repE0EEENS1_30default_config_static_selectorELNS0_4arch9wavefront6targetE0EEEvSK_, .Lfunc_end632-_ZN7rocprim17ROCPRIM_400000_NS6detail17trampoline_kernelINS0_14default_configENS1_36segmented_radix_sort_config_selectorIilEEZNS1_25segmented_radix_sort_implIS3_Lb0EPKiPiPKlPlN2at6native12_GLOBAL__N_18offset_tEEE10hipError_tPvRmT1_PNSt15iterator_traitsISK_E10value_typeET2_T3_PNSL_ISQ_E10value_typeET4_jRbjT5_SW_jjP12ihipStream_tbEUlT_E2_NS1_11comp_targetILNS1_3genE4ELNS1_11target_archE910ELNS1_3gpuE8ELNS1_3repE0EEENS1_30default_config_static_selectorELNS0_4arch9wavefront6targetE0EEEvSK_
                                        ; -- End function
	.section	.AMDGPU.csdata,"",@progbits
; Kernel info:
; codeLenInByte = 0
; NumSgprs: 0
; NumVgprs: 0
; ScratchSize: 0
; MemoryBound: 0
; FloatMode: 240
; IeeeMode: 1
; LDSByteSize: 0 bytes/workgroup (compile time only)
; SGPRBlocks: 0
; VGPRBlocks: 0
; NumSGPRsForWavesPerEU: 1
; NumVGPRsForWavesPerEU: 1
; Occupancy: 16
; WaveLimiterHint : 0
; COMPUTE_PGM_RSRC2:SCRATCH_EN: 0
; COMPUTE_PGM_RSRC2:USER_SGPR: 15
; COMPUTE_PGM_RSRC2:TRAP_HANDLER: 0
; COMPUTE_PGM_RSRC2:TGID_X_EN: 1
; COMPUTE_PGM_RSRC2:TGID_Y_EN: 0
; COMPUTE_PGM_RSRC2:TGID_Z_EN: 0
; COMPUTE_PGM_RSRC2:TIDIG_COMP_CNT: 0
	.section	.text._ZN7rocprim17ROCPRIM_400000_NS6detail17trampoline_kernelINS0_14default_configENS1_36segmented_radix_sort_config_selectorIilEEZNS1_25segmented_radix_sort_implIS3_Lb0EPKiPiPKlPlN2at6native12_GLOBAL__N_18offset_tEEE10hipError_tPvRmT1_PNSt15iterator_traitsISK_E10value_typeET2_T3_PNSL_ISQ_E10value_typeET4_jRbjT5_SW_jjP12ihipStream_tbEUlT_E2_NS1_11comp_targetILNS1_3genE3ELNS1_11target_archE908ELNS1_3gpuE7ELNS1_3repE0EEENS1_30default_config_static_selectorELNS0_4arch9wavefront6targetE0EEEvSK_,"axG",@progbits,_ZN7rocprim17ROCPRIM_400000_NS6detail17trampoline_kernelINS0_14default_configENS1_36segmented_radix_sort_config_selectorIilEEZNS1_25segmented_radix_sort_implIS3_Lb0EPKiPiPKlPlN2at6native12_GLOBAL__N_18offset_tEEE10hipError_tPvRmT1_PNSt15iterator_traitsISK_E10value_typeET2_T3_PNSL_ISQ_E10value_typeET4_jRbjT5_SW_jjP12ihipStream_tbEUlT_E2_NS1_11comp_targetILNS1_3genE3ELNS1_11target_archE908ELNS1_3gpuE7ELNS1_3repE0EEENS1_30default_config_static_selectorELNS0_4arch9wavefront6targetE0EEEvSK_,comdat
	.globl	_ZN7rocprim17ROCPRIM_400000_NS6detail17trampoline_kernelINS0_14default_configENS1_36segmented_radix_sort_config_selectorIilEEZNS1_25segmented_radix_sort_implIS3_Lb0EPKiPiPKlPlN2at6native12_GLOBAL__N_18offset_tEEE10hipError_tPvRmT1_PNSt15iterator_traitsISK_E10value_typeET2_T3_PNSL_ISQ_E10value_typeET4_jRbjT5_SW_jjP12ihipStream_tbEUlT_E2_NS1_11comp_targetILNS1_3genE3ELNS1_11target_archE908ELNS1_3gpuE7ELNS1_3repE0EEENS1_30default_config_static_selectorELNS0_4arch9wavefront6targetE0EEEvSK_ ; -- Begin function _ZN7rocprim17ROCPRIM_400000_NS6detail17trampoline_kernelINS0_14default_configENS1_36segmented_radix_sort_config_selectorIilEEZNS1_25segmented_radix_sort_implIS3_Lb0EPKiPiPKlPlN2at6native12_GLOBAL__N_18offset_tEEE10hipError_tPvRmT1_PNSt15iterator_traitsISK_E10value_typeET2_T3_PNSL_ISQ_E10value_typeET4_jRbjT5_SW_jjP12ihipStream_tbEUlT_E2_NS1_11comp_targetILNS1_3genE3ELNS1_11target_archE908ELNS1_3gpuE7ELNS1_3repE0EEENS1_30default_config_static_selectorELNS0_4arch9wavefront6targetE0EEEvSK_
	.p2align	8
	.type	_ZN7rocprim17ROCPRIM_400000_NS6detail17trampoline_kernelINS0_14default_configENS1_36segmented_radix_sort_config_selectorIilEEZNS1_25segmented_radix_sort_implIS3_Lb0EPKiPiPKlPlN2at6native12_GLOBAL__N_18offset_tEEE10hipError_tPvRmT1_PNSt15iterator_traitsISK_E10value_typeET2_T3_PNSL_ISQ_E10value_typeET4_jRbjT5_SW_jjP12ihipStream_tbEUlT_E2_NS1_11comp_targetILNS1_3genE3ELNS1_11target_archE908ELNS1_3gpuE7ELNS1_3repE0EEENS1_30default_config_static_selectorELNS0_4arch9wavefront6targetE0EEEvSK_,@function
_ZN7rocprim17ROCPRIM_400000_NS6detail17trampoline_kernelINS0_14default_configENS1_36segmented_radix_sort_config_selectorIilEEZNS1_25segmented_radix_sort_implIS3_Lb0EPKiPiPKlPlN2at6native12_GLOBAL__N_18offset_tEEE10hipError_tPvRmT1_PNSt15iterator_traitsISK_E10value_typeET2_T3_PNSL_ISQ_E10value_typeET4_jRbjT5_SW_jjP12ihipStream_tbEUlT_E2_NS1_11comp_targetILNS1_3genE3ELNS1_11target_archE908ELNS1_3gpuE7ELNS1_3repE0EEENS1_30default_config_static_selectorELNS0_4arch9wavefront6targetE0EEEvSK_: ; @_ZN7rocprim17ROCPRIM_400000_NS6detail17trampoline_kernelINS0_14default_configENS1_36segmented_radix_sort_config_selectorIilEEZNS1_25segmented_radix_sort_implIS3_Lb0EPKiPiPKlPlN2at6native12_GLOBAL__N_18offset_tEEE10hipError_tPvRmT1_PNSt15iterator_traitsISK_E10value_typeET2_T3_PNSL_ISQ_E10value_typeET4_jRbjT5_SW_jjP12ihipStream_tbEUlT_E2_NS1_11comp_targetILNS1_3genE3ELNS1_11target_archE908ELNS1_3gpuE7ELNS1_3repE0EEENS1_30default_config_static_selectorELNS0_4arch9wavefront6targetE0EEEvSK_
; %bb.0:
	.section	.rodata,"a",@progbits
	.p2align	6, 0x0
	.amdhsa_kernel _ZN7rocprim17ROCPRIM_400000_NS6detail17trampoline_kernelINS0_14default_configENS1_36segmented_radix_sort_config_selectorIilEEZNS1_25segmented_radix_sort_implIS3_Lb0EPKiPiPKlPlN2at6native12_GLOBAL__N_18offset_tEEE10hipError_tPvRmT1_PNSt15iterator_traitsISK_E10value_typeET2_T3_PNSL_ISQ_E10value_typeET4_jRbjT5_SW_jjP12ihipStream_tbEUlT_E2_NS1_11comp_targetILNS1_3genE3ELNS1_11target_archE908ELNS1_3gpuE7ELNS1_3repE0EEENS1_30default_config_static_selectorELNS0_4arch9wavefront6targetE0EEEvSK_
		.amdhsa_group_segment_fixed_size 0
		.amdhsa_private_segment_fixed_size 0
		.amdhsa_kernarg_size 80
		.amdhsa_user_sgpr_count 15
		.amdhsa_user_sgpr_dispatch_ptr 0
		.amdhsa_user_sgpr_queue_ptr 0
		.amdhsa_user_sgpr_kernarg_segment_ptr 1
		.amdhsa_user_sgpr_dispatch_id 0
		.amdhsa_user_sgpr_private_segment_size 0
		.amdhsa_wavefront_size32 1
		.amdhsa_uses_dynamic_stack 0
		.amdhsa_enable_private_segment 0
		.amdhsa_system_sgpr_workgroup_id_x 1
		.amdhsa_system_sgpr_workgroup_id_y 0
		.amdhsa_system_sgpr_workgroup_id_z 0
		.amdhsa_system_sgpr_workgroup_info 0
		.amdhsa_system_vgpr_workitem_id 0
		.amdhsa_next_free_vgpr 1
		.amdhsa_next_free_sgpr 1
		.amdhsa_reserve_vcc 0
		.amdhsa_float_round_mode_32 0
		.amdhsa_float_round_mode_16_64 0
		.amdhsa_float_denorm_mode_32 3
		.amdhsa_float_denorm_mode_16_64 3
		.amdhsa_dx10_clamp 1
		.amdhsa_ieee_mode 1
		.amdhsa_fp16_overflow 0
		.amdhsa_workgroup_processor_mode 1
		.amdhsa_memory_ordered 1
		.amdhsa_forward_progress 0
		.amdhsa_shared_vgpr_count 0
		.amdhsa_exception_fp_ieee_invalid_op 0
		.amdhsa_exception_fp_denorm_src 0
		.amdhsa_exception_fp_ieee_div_zero 0
		.amdhsa_exception_fp_ieee_overflow 0
		.amdhsa_exception_fp_ieee_underflow 0
		.amdhsa_exception_fp_ieee_inexact 0
		.amdhsa_exception_int_div_zero 0
	.end_amdhsa_kernel
	.section	.text._ZN7rocprim17ROCPRIM_400000_NS6detail17trampoline_kernelINS0_14default_configENS1_36segmented_radix_sort_config_selectorIilEEZNS1_25segmented_radix_sort_implIS3_Lb0EPKiPiPKlPlN2at6native12_GLOBAL__N_18offset_tEEE10hipError_tPvRmT1_PNSt15iterator_traitsISK_E10value_typeET2_T3_PNSL_ISQ_E10value_typeET4_jRbjT5_SW_jjP12ihipStream_tbEUlT_E2_NS1_11comp_targetILNS1_3genE3ELNS1_11target_archE908ELNS1_3gpuE7ELNS1_3repE0EEENS1_30default_config_static_selectorELNS0_4arch9wavefront6targetE0EEEvSK_,"axG",@progbits,_ZN7rocprim17ROCPRIM_400000_NS6detail17trampoline_kernelINS0_14default_configENS1_36segmented_radix_sort_config_selectorIilEEZNS1_25segmented_radix_sort_implIS3_Lb0EPKiPiPKlPlN2at6native12_GLOBAL__N_18offset_tEEE10hipError_tPvRmT1_PNSt15iterator_traitsISK_E10value_typeET2_T3_PNSL_ISQ_E10value_typeET4_jRbjT5_SW_jjP12ihipStream_tbEUlT_E2_NS1_11comp_targetILNS1_3genE3ELNS1_11target_archE908ELNS1_3gpuE7ELNS1_3repE0EEENS1_30default_config_static_selectorELNS0_4arch9wavefront6targetE0EEEvSK_,comdat
.Lfunc_end633:
	.size	_ZN7rocprim17ROCPRIM_400000_NS6detail17trampoline_kernelINS0_14default_configENS1_36segmented_radix_sort_config_selectorIilEEZNS1_25segmented_radix_sort_implIS3_Lb0EPKiPiPKlPlN2at6native12_GLOBAL__N_18offset_tEEE10hipError_tPvRmT1_PNSt15iterator_traitsISK_E10value_typeET2_T3_PNSL_ISQ_E10value_typeET4_jRbjT5_SW_jjP12ihipStream_tbEUlT_E2_NS1_11comp_targetILNS1_3genE3ELNS1_11target_archE908ELNS1_3gpuE7ELNS1_3repE0EEENS1_30default_config_static_selectorELNS0_4arch9wavefront6targetE0EEEvSK_, .Lfunc_end633-_ZN7rocprim17ROCPRIM_400000_NS6detail17trampoline_kernelINS0_14default_configENS1_36segmented_radix_sort_config_selectorIilEEZNS1_25segmented_radix_sort_implIS3_Lb0EPKiPiPKlPlN2at6native12_GLOBAL__N_18offset_tEEE10hipError_tPvRmT1_PNSt15iterator_traitsISK_E10value_typeET2_T3_PNSL_ISQ_E10value_typeET4_jRbjT5_SW_jjP12ihipStream_tbEUlT_E2_NS1_11comp_targetILNS1_3genE3ELNS1_11target_archE908ELNS1_3gpuE7ELNS1_3repE0EEENS1_30default_config_static_selectorELNS0_4arch9wavefront6targetE0EEEvSK_
                                        ; -- End function
	.section	.AMDGPU.csdata,"",@progbits
; Kernel info:
; codeLenInByte = 0
; NumSgprs: 0
; NumVgprs: 0
; ScratchSize: 0
; MemoryBound: 0
; FloatMode: 240
; IeeeMode: 1
; LDSByteSize: 0 bytes/workgroup (compile time only)
; SGPRBlocks: 0
; VGPRBlocks: 0
; NumSGPRsForWavesPerEU: 1
; NumVGPRsForWavesPerEU: 1
; Occupancy: 16
; WaveLimiterHint : 0
; COMPUTE_PGM_RSRC2:SCRATCH_EN: 0
; COMPUTE_PGM_RSRC2:USER_SGPR: 15
; COMPUTE_PGM_RSRC2:TRAP_HANDLER: 0
; COMPUTE_PGM_RSRC2:TGID_X_EN: 1
; COMPUTE_PGM_RSRC2:TGID_Y_EN: 0
; COMPUTE_PGM_RSRC2:TGID_Z_EN: 0
; COMPUTE_PGM_RSRC2:TIDIG_COMP_CNT: 0
	.section	.text._ZN7rocprim17ROCPRIM_400000_NS6detail17trampoline_kernelINS0_14default_configENS1_36segmented_radix_sort_config_selectorIilEEZNS1_25segmented_radix_sort_implIS3_Lb0EPKiPiPKlPlN2at6native12_GLOBAL__N_18offset_tEEE10hipError_tPvRmT1_PNSt15iterator_traitsISK_E10value_typeET2_T3_PNSL_ISQ_E10value_typeET4_jRbjT5_SW_jjP12ihipStream_tbEUlT_E2_NS1_11comp_targetILNS1_3genE2ELNS1_11target_archE906ELNS1_3gpuE6ELNS1_3repE0EEENS1_30default_config_static_selectorELNS0_4arch9wavefront6targetE0EEEvSK_,"axG",@progbits,_ZN7rocprim17ROCPRIM_400000_NS6detail17trampoline_kernelINS0_14default_configENS1_36segmented_radix_sort_config_selectorIilEEZNS1_25segmented_radix_sort_implIS3_Lb0EPKiPiPKlPlN2at6native12_GLOBAL__N_18offset_tEEE10hipError_tPvRmT1_PNSt15iterator_traitsISK_E10value_typeET2_T3_PNSL_ISQ_E10value_typeET4_jRbjT5_SW_jjP12ihipStream_tbEUlT_E2_NS1_11comp_targetILNS1_3genE2ELNS1_11target_archE906ELNS1_3gpuE6ELNS1_3repE0EEENS1_30default_config_static_selectorELNS0_4arch9wavefront6targetE0EEEvSK_,comdat
	.globl	_ZN7rocprim17ROCPRIM_400000_NS6detail17trampoline_kernelINS0_14default_configENS1_36segmented_radix_sort_config_selectorIilEEZNS1_25segmented_radix_sort_implIS3_Lb0EPKiPiPKlPlN2at6native12_GLOBAL__N_18offset_tEEE10hipError_tPvRmT1_PNSt15iterator_traitsISK_E10value_typeET2_T3_PNSL_ISQ_E10value_typeET4_jRbjT5_SW_jjP12ihipStream_tbEUlT_E2_NS1_11comp_targetILNS1_3genE2ELNS1_11target_archE906ELNS1_3gpuE6ELNS1_3repE0EEENS1_30default_config_static_selectorELNS0_4arch9wavefront6targetE0EEEvSK_ ; -- Begin function _ZN7rocprim17ROCPRIM_400000_NS6detail17trampoline_kernelINS0_14default_configENS1_36segmented_radix_sort_config_selectorIilEEZNS1_25segmented_radix_sort_implIS3_Lb0EPKiPiPKlPlN2at6native12_GLOBAL__N_18offset_tEEE10hipError_tPvRmT1_PNSt15iterator_traitsISK_E10value_typeET2_T3_PNSL_ISQ_E10value_typeET4_jRbjT5_SW_jjP12ihipStream_tbEUlT_E2_NS1_11comp_targetILNS1_3genE2ELNS1_11target_archE906ELNS1_3gpuE6ELNS1_3repE0EEENS1_30default_config_static_selectorELNS0_4arch9wavefront6targetE0EEEvSK_
	.p2align	8
	.type	_ZN7rocprim17ROCPRIM_400000_NS6detail17trampoline_kernelINS0_14default_configENS1_36segmented_radix_sort_config_selectorIilEEZNS1_25segmented_radix_sort_implIS3_Lb0EPKiPiPKlPlN2at6native12_GLOBAL__N_18offset_tEEE10hipError_tPvRmT1_PNSt15iterator_traitsISK_E10value_typeET2_T3_PNSL_ISQ_E10value_typeET4_jRbjT5_SW_jjP12ihipStream_tbEUlT_E2_NS1_11comp_targetILNS1_3genE2ELNS1_11target_archE906ELNS1_3gpuE6ELNS1_3repE0EEENS1_30default_config_static_selectorELNS0_4arch9wavefront6targetE0EEEvSK_,@function
_ZN7rocprim17ROCPRIM_400000_NS6detail17trampoline_kernelINS0_14default_configENS1_36segmented_radix_sort_config_selectorIilEEZNS1_25segmented_radix_sort_implIS3_Lb0EPKiPiPKlPlN2at6native12_GLOBAL__N_18offset_tEEE10hipError_tPvRmT1_PNSt15iterator_traitsISK_E10value_typeET2_T3_PNSL_ISQ_E10value_typeET4_jRbjT5_SW_jjP12ihipStream_tbEUlT_E2_NS1_11comp_targetILNS1_3genE2ELNS1_11target_archE906ELNS1_3gpuE6ELNS1_3repE0EEENS1_30default_config_static_selectorELNS0_4arch9wavefront6targetE0EEEvSK_: ; @_ZN7rocprim17ROCPRIM_400000_NS6detail17trampoline_kernelINS0_14default_configENS1_36segmented_radix_sort_config_selectorIilEEZNS1_25segmented_radix_sort_implIS3_Lb0EPKiPiPKlPlN2at6native12_GLOBAL__N_18offset_tEEE10hipError_tPvRmT1_PNSt15iterator_traitsISK_E10value_typeET2_T3_PNSL_ISQ_E10value_typeET4_jRbjT5_SW_jjP12ihipStream_tbEUlT_E2_NS1_11comp_targetILNS1_3genE2ELNS1_11target_archE906ELNS1_3gpuE6ELNS1_3repE0EEENS1_30default_config_static_selectorELNS0_4arch9wavefront6targetE0EEEvSK_
; %bb.0:
	.section	.rodata,"a",@progbits
	.p2align	6, 0x0
	.amdhsa_kernel _ZN7rocprim17ROCPRIM_400000_NS6detail17trampoline_kernelINS0_14default_configENS1_36segmented_radix_sort_config_selectorIilEEZNS1_25segmented_radix_sort_implIS3_Lb0EPKiPiPKlPlN2at6native12_GLOBAL__N_18offset_tEEE10hipError_tPvRmT1_PNSt15iterator_traitsISK_E10value_typeET2_T3_PNSL_ISQ_E10value_typeET4_jRbjT5_SW_jjP12ihipStream_tbEUlT_E2_NS1_11comp_targetILNS1_3genE2ELNS1_11target_archE906ELNS1_3gpuE6ELNS1_3repE0EEENS1_30default_config_static_selectorELNS0_4arch9wavefront6targetE0EEEvSK_
		.amdhsa_group_segment_fixed_size 0
		.amdhsa_private_segment_fixed_size 0
		.amdhsa_kernarg_size 80
		.amdhsa_user_sgpr_count 15
		.amdhsa_user_sgpr_dispatch_ptr 0
		.amdhsa_user_sgpr_queue_ptr 0
		.amdhsa_user_sgpr_kernarg_segment_ptr 1
		.amdhsa_user_sgpr_dispatch_id 0
		.amdhsa_user_sgpr_private_segment_size 0
		.amdhsa_wavefront_size32 1
		.amdhsa_uses_dynamic_stack 0
		.amdhsa_enable_private_segment 0
		.amdhsa_system_sgpr_workgroup_id_x 1
		.amdhsa_system_sgpr_workgroup_id_y 0
		.amdhsa_system_sgpr_workgroup_id_z 0
		.amdhsa_system_sgpr_workgroup_info 0
		.amdhsa_system_vgpr_workitem_id 0
		.amdhsa_next_free_vgpr 1
		.amdhsa_next_free_sgpr 1
		.amdhsa_reserve_vcc 0
		.amdhsa_float_round_mode_32 0
		.amdhsa_float_round_mode_16_64 0
		.amdhsa_float_denorm_mode_32 3
		.amdhsa_float_denorm_mode_16_64 3
		.amdhsa_dx10_clamp 1
		.amdhsa_ieee_mode 1
		.amdhsa_fp16_overflow 0
		.amdhsa_workgroup_processor_mode 1
		.amdhsa_memory_ordered 1
		.amdhsa_forward_progress 0
		.amdhsa_shared_vgpr_count 0
		.amdhsa_exception_fp_ieee_invalid_op 0
		.amdhsa_exception_fp_denorm_src 0
		.amdhsa_exception_fp_ieee_div_zero 0
		.amdhsa_exception_fp_ieee_overflow 0
		.amdhsa_exception_fp_ieee_underflow 0
		.amdhsa_exception_fp_ieee_inexact 0
		.amdhsa_exception_int_div_zero 0
	.end_amdhsa_kernel
	.section	.text._ZN7rocprim17ROCPRIM_400000_NS6detail17trampoline_kernelINS0_14default_configENS1_36segmented_radix_sort_config_selectorIilEEZNS1_25segmented_radix_sort_implIS3_Lb0EPKiPiPKlPlN2at6native12_GLOBAL__N_18offset_tEEE10hipError_tPvRmT1_PNSt15iterator_traitsISK_E10value_typeET2_T3_PNSL_ISQ_E10value_typeET4_jRbjT5_SW_jjP12ihipStream_tbEUlT_E2_NS1_11comp_targetILNS1_3genE2ELNS1_11target_archE906ELNS1_3gpuE6ELNS1_3repE0EEENS1_30default_config_static_selectorELNS0_4arch9wavefront6targetE0EEEvSK_,"axG",@progbits,_ZN7rocprim17ROCPRIM_400000_NS6detail17trampoline_kernelINS0_14default_configENS1_36segmented_radix_sort_config_selectorIilEEZNS1_25segmented_radix_sort_implIS3_Lb0EPKiPiPKlPlN2at6native12_GLOBAL__N_18offset_tEEE10hipError_tPvRmT1_PNSt15iterator_traitsISK_E10value_typeET2_T3_PNSL_ISQ_E10value_typeET4_jRbjT5_SW_jjP12ihipStream_tbEUlT_E2_NS1_11comp_targetILNS1_3genE2ELNS1_11target_archE906ELNS1_3gpuE6ELNS1_3repE0EEENS1_30default_config_static_selectorELNS0_4arch9wavefront6targetE0EEEvSK_,comdat
.Lfunc_end634:
	.size	_ZN7rocprim17ROCPRIM_400000_NS6detail17trampoline_kernelINS0_14default_configENS1_36segmented_radix_sort_config_selectorIilEEZNS1_25segmented_radix_sort_implIS3_Lb0EPKiPiPKlPlN2at6native12_GLOBAL__N_18offset_tEEE10hipError_tPvRmT1_PNSt15iterator_traitsISK_E10value_typeET2_T3_PNSL_ISQ_E10value_typeET4_jRbjT5_SW_jjP12ihipStream_tbEUlT_E2_NS1_11comp_targetILNS1_3genE2ELNS1_11target_archE906ELNS1_3gpuE6ELNS1_3repE0EEENS1_30default_config_static_selectorELNS0_4arch9wavefront6targetE0EEEvSK_, .Lfunc_end634-_ZN7rocprim17ROCPRIM_400000_NS6detail17trampoline_kernelINS0_14default_configENS1_36segmented_radix_sort_config_selectorIilEEZNS1_25segmented_radix_sort_implIS3_Lb0EPKiPiPKlPlN2at6native12_GLOBAL__N_18offset_tEEE10hipError_tPvRmT1_PNSt15iterator_traitsISK_E10value_typeET2_T3_PNSL_ISQ_E10value_typeET4_jRbjT5_SW_jjP12ihipStream_tbEUlT_E2_NS1_11comp_targetILNS1_3genE2ELNS1_11target_archE906ELNS1_3gpuE6ELNS1_3repE0EEENS1_30default_config_static_selectorELNS0_4arch9wavefront6targetE0EEEvSK_
                                        ; -- End function
	.section	.AMDGPU.csdata,"",@progbits
; Kernel info:
; codeLenInByte = 0
; NumSgprs: 0
; NumVgprs: 0
; ScratchSize: 0
; MemoryBound: 0
; FloatMode: 240
; IeeeMode: 1
; LDSByteSize: 0 bytes/workgroup (compile time only)
; SGPRBlocks: 0
; VGPRBlocks: 0
; NumSGPRsForWavesPerEU: 1
; NumVGPRsForWavesPerEU: 1
; Occupancy: 16
; WaveLimiterHint : 0
; COMPUTE_PGM_RSRC2:SCRATCH_EN: 0
; COMPUTE_PGM_RSRC2:USER_SGPR: 15
; COMPUTE_PGM_RSRC2:TRAP_HANDLER: 0
; COMPUTE_PGM_RSRC2:TGID_X_EN: 1
; COMPUTE_PGM_RSRC2:TGID_Y_EN: 0
; COMPUTE_PGM_RSRC2:TGID_Z_EN: 0
; COMPUTE_PGM_RSRC2:TIDIG_COMP_CNT: 0
	.section	.text._ZN7rocprim17ROCPRIM_400000_NS6detail17trampoline_kernelINS0_14default_configENS1_36segmented_radix_sort_config_selectorIilEEZNS1_25segmented_radix_sort_implIS3_Lb0EPKiPiPKlPlN2at6native12_GLOBAL__N_18offset_tEEE10hipError_tPvRmT1_PNSt15iterator_traitsISK_E10value_typeET2_T3_PNSL_ISQ_E10value_typeET4_jRbjT5_SW_jjP12ihipStream_tbEUlT_E2_NS1_11comp_targetILNS1_3genE10ELNS1_11target_archE1201ELNS1_3gpuE5ELNS1_3repE0EEENS1_30default_config_static_selectorELNS0_4arch9wavefront6targetE0EEEvSK_,"axG",@progbits,_ZN7rocprim17ROCPRIM_400000_NS6detail17trampoline_kernelINS0_14default_configENS1_36segmented_radix_sort_config_selectorIilEEZNS1_25segmented_radix_sort_implIS3_Lb0EPKiPiPKlPlN2at6native12_GLOBAL__N_18offset_tEEE10hipError_tPvRmT1_PNSt15iterator_traitsISK_E10value_typeET2_T3_PNSL_ISQ_E10value_typeET4_jRbjT5_SW_jjP12ihipStream_tbEUlT_E2_NS1_11comp_targetILNS1_3genE10ELNS1_11target_archE1201ELNS1_3gpuE5ELNS1_3repE0EEENS1_30default_config_static_selectorELNS0_4arch9wavefront6targetE0EEEvSK_,comdat
	.globl	_ZN7rocprim17ROCPRIM_400000_NS6detail17trampoline_kernelINS0_14default_configENS1_36segmented_radix_sort_config_selectorIilEEZNS1_25segmented_radix_sort_implIS3_Lb0EPKiPiPKlPlN2at6native12_GLOBAL__N_18offset_tEEE10hipError_tPvRmT1_PNSt15iterator_traitsISK_E10value_typeET2_T3_PNSL_ISQ_E10value_typeET4_jRbjT5_SW_jjP12ihipStream_tbEUlT_E2_NS1_11comp_targetILNS1_3genE10ELNS1_11target_archE1201ELNS1_3gpuE5ELNS1_3repE0EEENS1_30default_config_static_selectorELNS0_4arch9wavefront6targetE0EEEvSK_ ; -- Begin function _ZN7rocprim17ROCPRIM_400000_NS6detail17trampoline_kernelINS0_14default_configENS1_36segmented_radix_sort_config_selectorIilEEZNS1_25segmented_radix_sort_implIS3_Lb0EPKiPiPKlPlN2at6native12_GLOBAL__N_18offset_tEEE10hipError_tPvRmT1_PNSt15iterator_traitsISK_E10value_typeET2_T3_PNSL_ISQ_E10value_typeET4_jRbjT5_SW_jjP12ihipStream_tbEUlT_E2_NS1_11comp_targetILNS1_3genE10ELNS1_11target_archE1201ELNS1_3gpuE5ELNS1_3repE0EEENS1_30default_config_static_selectorELNS0_4arch9wavefront6targetE0EEEvSK_
	.p2align	8
	.type	_ZN7rocprim17ROCPRIM_400000_NS6detail17trampoline_kernelINS0_14default_configENS1_36segmented_radix_sort_config_selectorIilEEZNS1_25segmented_radix_sort_implIS3_Lb0EPKiPiPKlPlN2at6native12_GLOBAL__N_18offset_tEEE10hipError_tPvRmT1_PNSt15iterator_traitsISK_E10value_typeET2_T3_PNSL_ISQ_E10value_typeET4_jRbjT5_SW_jjP12ihipStream_tbEUlT_E2_NS1_11comp_targetILNS1_3genE10ELNS1_11target_archE1201ELNS1_3gpuE5ELNS1_3repE0EEENS1_30default_config_static_selectorELNS0_4arch9wavefront6targetE0EEEvSK_,@function
_ZN7rocprim17ROCPRIM_400000_NS6detail17trampoline_kernelINS0_14default_configENS1_36segmented_radix_sort_config_selectorIilEEZNS1_25segmented_radix_sort_implIS3_Lb0EPKiPiPKlPlN2at6native12_GLOBAL__N_18offset_tEEE10hipError_tPvRmT1_PNSt15iterator_traitsISK_E10value_typeET2_T3_PNSL_ISQ_E10value_typeET4_jRbjT5_SW_jjP12ihipStream_tbEUlT_E2_NS1_11comp_targetILNS1_3genE10ELNS1_11target_archE1201ELNS1_3gpuE5ELNS1_3repE0EEENS1_30default_config_static_selectorELNS0_4arch9wavefront6targetE0EEEvSK_: ; @_ZN7rocprim17ROCPRIM_400000_NS6detail17trampoline_kernelINS0_14default_configENS1_36segmented_radix_sort_config_selectorIilEEZNS1_25segmented_radix_sort_implIS3_Lb0EPKiPiPKlPlN2at6native12_GLOBAL__N_18offset_tEEE10hipError_tPvRmT1_PNSt15iterator_traitsISK_E10value_typeET2_T3_PNSL_ISQ_E10value_typeET4_jRbjT5_SW_jjP12ihipStream_tbEUlT_E2_NS1_11comp_targetILNS1_3genE10ELNS1_11target_archE1201ELNS1_3gpuE5ELNS1_3repE0EEENS1_30default_config_static_selectorELNS0_4arch9wavefront6targetE0EEEvSK_
; %bb.0:
	.section	.rodata,"a",@progbits
	.p2align	6, 0x0
	.amdhsa_kernel _ZN7rocprim17ROCPRIM_400000_NS6detail17trampoline_kernelINS0_14default_configENS1_36segmented_radix_sort_config_selectorIilEEZNS1_25segmented_radix_sort_implIS3_Lb0EPKiPiPKlPlN2at6native12_GLOBAL__N_18offset_tEEE10hipError_tPvRmT1_PNSt15iterator_traitsISK_E10value_typeET2_T3_PNSL_ISQ_E10value_typeET4_jRbjT5_SW_jjP12ihipStream_tbEUlT_E2_NS1_11comp_targetILNS1_3genE10ELNS1_11target_archE1201ELNS1_3gpuE5ELNS1_3repE0EEENS1_30default_config_static_selectorELNS0_4arch9wavefront6targetE0EEEvSK_
		.amdhsa_group_segment_fixed_size 0
		.amdhsa_private_segment_fixed_size 0
		.amdhsa_kernarg_size 80
		.amdhsa_user_sgpr_count 15
		.amdhsa_user_sgpr_dispatch_ptr 0
		.amdhsa_user_sgpr_queue_ptr 0
		.amdhsa_user_sgpr_kernarg_segment_ptr 1
		.amdhsa_user_sgpr_dispatch_id 0
		.amdhsa_user_sgpr_private_segment_size 0
		.amdhsa_wavefront_size32 1
		.amdhsa_uses_dynamic_stack 0
		.amdhsa_enable_private_segment 0
		.amdhsa_system_sgpr_workgroup_id_x 1
		.amdhsa_system_sgpr_workgroup_id_y 0
		.amdhsa_system_sgpr_workgroup_id_z 0
		.amdhsa_system_sgpr_workgroup_info 0
		.amdhsa_system_vgpr_workitem_id 0
		.amdhsa_next_free_vgpr 1
		.amdhsa_next_free_sgpr 1
		.amdhsa_reserve_vcc 0
		.amdhsa_float_round_mode_32 0
		.amdhsa_float_round_mode_16_64 0
		.amdhsa_float_denorm_mode_32 3
		.amdhsa_float_denorm_mode_16_64 3
		.amdhsa_dx10_clamp 1
		.amdhsa_ieee_mode 1
		.amdhsa_fp16_overflow 0
		.amdhsa_workgroup_processor_mode 1
		.amdhsa_memory_ordered 1
		.amdhsa_forward_progress 0
		.amdhsa_shared_vgpr_count 0
		.amdhsa_exception_fp_ieee_invalid_op 0
		.amdhsa_exception_fp_denorm_src 0
		.amdhsa_exception_fp_ieee_div_zero 0
		.amdhsa_exception_fp_ieee_overflow 0
		.amdhsa_exception_fp_ieee_underflow 0
		.amdhsa_exception_fp_ieee_inexact 0
		.amdhsa_exception_int_div_zero 0
	.end_amdhsa_kernel
	.section	.text._ZN7rocprim17ROCPRIM_400000_NS6detail17trampoline_kernelINS0_14default_configENS1_36segmented_radix_sort_config_selectorIilEEZNS1_25segmented_radix_sort_implIS3_Lb0EPKiPiPKlPlN2at6native12_GLOBAL__N_18offset_tEEE10hipError_tPvRmT1_PNSt15iterator_traitsISK_E10value_typeET2_T3_PNSL_ISQ_E10value_typeET4_jRbjT5_SW_jjP12ihipStream_tbEUlT_E2_NS1_11comp_targetILNS1_3genE10ELNS1_11target_archE1201ELNS1_3gpuE5ELNS1_3repE0EEENS1_30default_config_static_selectorELNS0_4arch9wavefront6targetE0EEEvSK_,"axG",@progbits,_ZN7rocprim17ROCPRIM_400000_NS6detail17trampoline_kernelINS0_14default_configENS1_36segmented_radix_sort_config_selectorIilEEZNS1_25segmented_radix_sort_implIS3_Lb0EPKiPiPKlPlN2at6native12_GLOBAL__N_18offset_tEEE10hipError_tPvRmT1_PNSt15iterator_traitsISK_E10value_typeET2_T3_PNSL_ISQ_E10value_typeET4_jRbjT5_SW_jjP12ihipStream_tbEUlT_E2_NS1_11comp_targetILNS1_3genE10ELNS1_11target_archE1201ELNS1_3gpuE5ELNS1_3repE0EEENS1_30default_config_static_selectorELNS0_4arch9wavefront6targetE0EEEvSK_,comdat
.Lfunc_end635:
	.size	_ZN7rocprim17ROCPRIM_400000_NS6detail17trampoline_kernelINS0_14default_configENS1_36segmented_radix_sort_config_selectorIilEEZNS1_25segmented_radix_sort_implIS3_Lb0EPKiPiPKlPlN2at6native12_GLOBAL__N_18offset_tEEE10hipError_tPvRmT1_PNSt15iterator_traitsISK_E10value_typeET2_T3_PNSL_ISQ_E10value_typeET4_jRbjT5_SW_jjP12ihipStream_tbEUlT_E2_NS1_11comp_targetILNS1_3genE10ELNS1_11target_archE1201ELNS1_3gpuE5ELNS1_3repE0EEENS1_30default_config_static_selectorELNS0_4arch9wavefront6targetE0EEEvSK_, .Lfunc_end635-_ZN7rocprim17ROCPRIM_400000_NS6detail17trampoline_kernelINS0_14default_configENS1_36segmented_radix_sort_config_selectorIilEEZNS1_25segmented_radix_sort_implIS3_Lb0EPKiPiPKlPlN2at6native12_GLOBAL__N_18offset_tEEE10hipError_tPvRmT1_PNSt15iterator_traitsISK_E10value_typeET2_T3_PNSL_ISQ_E10value_typeET4_jRbjT5_SW_jjP12ihipStream_tbEUlT_E2_NS1_11comp_targetILNS1_3genE10ELNS1_11target_archE1201ELNS1_3gpuE5ELNS1_3repE0EEENS1_30default_config_static_selectorELNS0_4arch9wavefront6targetE0EEEvSK_
                                        ; -- End function
	.section	.AMDGPU.csdata,"",@progbits
; Kernel info:
; codeLenInByte = 0
; NumSgprs: 0
; NumVgprs: 0
; ScratchSize: 0
; MemoryBound: 0
; FloatMode: 240
; IeeeMode: 1
; LDSByteSize: 0 bytes/workgroup (compile time only)
; SGPRBlocks: 0
; VGPRBlocks: 0
; NumSGPRsForWavesPerEU: 1
; NumVGPRsForWavesPerEU: 1
; Occupancy: 16
; WaveLimiterHint : 0
; COMPUTE_PGM_RSRC2:SCRATCH_EN: 0
; COMPUTE_PGM_RSRC2:USER_SGPR: 15
; COMPUTE_PGM_RSRC2:TRAP_HANDLER: 0
; COMPUTE_PGM_RSRC2:TGID_X_EN: 1
; COMPUTE_PGM_RSRC2:TGID_Y_EN: 0
; COMPUTE_PGM_RSRC2:TGID_Z_EN: 0
; COMPUTE_PGM_RSRC2:TIDIG_COMP_CNT: 0
	.section	.text._ZN7rocprim17ROCPRIM_400000_NS6detail17trampoline_kernelINS0_14default_configENS1_36segmented_radix_sort_config_selectorIilEEZNS1_25segmented_radix_sort_implIS3_Lb0EPKiPiPKlPlN2at6native12_GLOBAL__N_18offset_tEEE10hipError_tPvRmT1_PNSt15iterator_traitsISK_E10value_typeET2_T3_PNSL_ISQ_E10value_typeET4_jRbjT5_SW_jjP12ihipStream_tbEUlT_E2_NS1_11comp_targetILNS1_3genE10ELNS1_11target_archE1200ELNS1_3gpuE4ELNS1_3repE0EEENS1_30default_config_static_selectorELNS0_4arch9wavefront6targetE0EEEvSK_,"axG",@progbits,_ZN7rocprim17ROCPRIM_400000_NS6detail17trampoline_kernelINS0_14default_configENS1_36segmented_radix_sort_config_selectorIilEEZNS1_25segmented_radix_sort_implIS3_Lb0EPKiPiPKlPlN2at6native12_GLOBAL__N_18offset_tEEE10hipError_tPvRmT1_PNSt15iterator_traitsISK_E10value_typeET2_T3_PNSL_ISQ_E10value_typeET4_jRbjT5_SW_jjP12ihipStream_tbEUlT_E2_NS1_11comp_targetILNS1_3genE10ELNS1_11target_archE1200ELNS1_3gpuE4ELNS1_3repE0EEENS1_30default_config_static_selectorELNS0_4arch9wavefront6targetE0EEEvSK_,comdat
	.globl	_ZN7rocprim17ROCPRIM_400000_NS6detail17trampoline_kernelINS0_14default_configENS1_36segmented_radix_sort_config_selectorIilEEZNS1_25segmented_radix_sort_implIS3_Lb0EPKiPiPKlPlN2at6native12_GLOBAL__N_18offset_tEEE10hipError_tPvRmT1_PNSt15iterator_traitsISK_E10value_typeET2_T3_PNSL_ISQ_E10value_typeET4_jRbjT5_SW_jjP12ihipStream_tbEUlT_E2_NS1_11comp_targetILNS1_3genE10ELNS1_11target_archE1200ELNS1_3gpuE4ELNS1_3repE0EEENS1_30default_config_static_selectorELNS0_4arch9wavefront6targetE0EEEvSK_ ; -- Begin function _ZN7rocprim17ROCPRIM_400000_NS6detail17trampoline_kernelINS0_14default_configENS1_36segmented_radix_sort_config_selectorIilEEZNS1_25segmented_radix_sort_implIS3_Lb0EPKiPiPKlPlN2at6native12_GLOBAL__N_18offset_tEEE10hipError_tPvRmT1_PNSt15iterator_traitsISK_E10value_typeET2_T3_PNSL_ISQ_E10value_typeET4_jRbjT5_SW_jjP12ihipStream_tbEUlT_E2_NS1_11comp_targetILNS1_3genE10ELNS1_11target_archE1200ELNS1_3gpuE4ELNS1_3repE0EEENS1_30default_config_static_selectorELNS0_4arch9wavefront6targetE0EEEvSK_
	.p2align	8
	.type	_ZN7rocprim17ROCPRIM_400000_NS6detail17trampoline_kernelINS0_14default_configENS1_36segmented_radix_sort_config_selectorIilEEZNS1_25segmented_radix_sort_implIS3_Lb0EPKiPiPKlPlN2at6native12_GLOBAL__N_18offset_tEEE10hipError_tPvRmT1_PNSt15iterator_traitsISK_E10value_typeET2_T3_PNSL_ISQ_E10value_typeET4_jRbjT5_SW_jjP12ihipStream_tbEUlT_E2_NS1_11comp_targetILNS1_3genE10ELNS1_11target_archE1200ELNS1_3gpuE4ELNS1_3repE0EEENS1_30default_config_static_selectorELNS0_4arch9wavefront6targetE0EEEvSK_,@function
_ZN7rocprim17ROCPRIM_400000_NS6detail17trampoline_kernelINS0_14default_configENS1_36segmented_radix_sort_config_selectorIilEEZNS1_25segmented_radix_sort_implIS3_Lb0EPKiPiPKlPlN2at6native12_GLOBAL__N_18offset_tEEE10hipError_tPvRmT1_PNSt15iterator_traitsISK_E10value_typeET2_T3_PNSL_ISQ_E10value_typeET4_jRbjT5_SW_jjP12ihipStream_tbEUlT_E2_NS1_11comp_targetILNS1_3genE10ELNS1_11target_archE1200ELNS1_3gpuE4ELNS1_3repE0EEENS1_30default_config_static_selectorELNS0_4arch9wavefront6targetE0EEEvSK_: ; @_ZN7rocprim17ROCPRIM_400000_NS6detail17trampoline_kernelINS0_14default_configENS1_36segmented_radix_sort_config_selectorIilEEZNS1_25segmented_radix_sort_implIS3_Lb0EPKiPiPKlPlN2at6native12_GLOBAL__N_18offset_tEEE10hipError_tPvRmT1_PNSt15iterator_traitsISK_E10value_typeET2_T3_PNSL_ISQ_E10value_typeET4_jRbjT5_SW_jjP12ihipStream_tbEUlT_E2_NS1_11comp_targetILNS1_3genE10ELNS1_11target_archE1200ELNS1_3gpuE4ELNS1_3repE0EEENS1_30default_config_static_selectorELNS0_4arch9wavefront6targetE0EEEvSK_
; %bb.0:
	.section	.rodata,"a",@progbits
	.p2align	6, 0x0
	.amdhsa_kernel _ZN7rocprim17ROCPRIM_400000_NS6detail17trampoline_kernelINS0_14default_configENS1_36segmented_radix_sort_config_selectorIilEEZNS1_25segmented_radix_sort_implIS3_Lb0EPKiPiPKlPlN2at6native12_GLOBAL__N_18offset_tEEE10hipError_tPvRmT1_PNSt15iterator_traitsISK_E10value_typeET2_T3_PNSL_ISQ_E10value_typeET4_jRbjT5_SW_jjP12ihipStream_tbEUlT_E2_NS1_11comp_targetILNS1_3genE10ELNS1_11target_archE1200ELNS1_3gpuE4ELNS1_3repE0EEENS1_30default_config_static_selectorELNS0_4arch9wavefront6targetE0EEEvSK_
		.amdhsa_group_segment_fixed_size 0
		.amdhsa_private_segment_fixed_size 0
		.amdhsa_kernarg_size 80
		.amdhsa_user_sgpr_count 15
		.amdhsa_user_sgpr_dispatch_ptr 0
		.amdhsa_user_sgpr_queue_ptr 0
		.amdhsa_user_sgpr_kernarg_segment_ptr 1
		.amdhsa_user_sgpr_dispatch_id 0
		.amdhsa_user_sgpr_private_segment_size 0
		.amdhsa_wavefront_size32 1
		.amdhsa_uses_dynamic_stack 0
		.amdhsa_enable_private_segment 0
		.amdhsa_system_sgpr_workgroup_id_x 1
		.amdhsa_system_sgpr_workgroup_id_y 0
		.amdhsa_system_sgpr_workgroup_id_z 0
		.amdhsa_system_sgpr_workgroup_info 0
		.amdhsa_system_vgpr_workitem_id 0
		.amdhsa_next_free_vgpr 1
		.amdhsa_next_free_sgpr 1
		.amdhsa_reserve_vcc 0
		.amdhsa_float_round_mode_32 0
		.amdhsa_float_round_mode_16_64 0
		.amdhsa_float_denorm_mode_32 3
		.amdhsa_float_denorm_mode_16_64 3
		.amdhsa_dx10_clamp 1
		.amdhsa_ieee_mode 1
		.amdhsa_fp16_overflow 0
		.amdhsa_workgroup_processor_mode 1
		.amdhsa_memory_ordered 1
		.amdhsa_forward_progress 0
		.amdhsa_shared_vgpr_count 0
		.amdhsa_exception_fp_ieee_invalid_op 0
		.amdhsa_exception_fp_denorm_src 0
		.amdhsa_exception_fp_ieee_div_zero 0
		.amdhsa_exception_fp_ieee_overflow 0
		.amdhsa_exception_fp_ieee_underflow 0
		.amdhsa_exception_fp_ieee_inexact 0
		.amdhsa_exception_int_div_zero 0
	.end_amdhsa_kernel
	.section	.text._ZN7rocprim17ROCPRIM_400000_NS6detail17trampoline_kernelINS0_14default_configENS1_36segmented_radix_sort_config_selectorIilEEZNS1_25segmented_radix_sort_implIS3_Lb0EPKiPiPKlPlN2at6native12_GLOBAL__N_18offset_tEEE10hipError_tPvRmT1_PNSt15iterator_traitsISK_E10value_typeET2_T3_PNSL_ISQ_E10value_typeET4_jRbjT5_SW_jjP12ihipStream_tbEUlT_E2_NS1_11comp_targetILNS1_3genE10ELNS1_11target_archE1200ELNS1_3gpuE4ELNS1_3repE0EEENS1_30default_config_static_selectorELNS0_4arch9wavefront6targetE0EEEvSK_,"axG",@progbits,_ZN7rocprim17ROCPRIM_400000_NS6detail17trampoline_kernelINS0_14default_configENS1_36segmented_radix_sort_config_selectorIilEEZNS1_25segmented_radix_sort_implIS3_Lb0EPKiPiPKlPlN2at6native12_GLOBAL__N_18offset_tEEE10hipError_tPvRmT1_PNSt15iterator_traitsISK_E10value_typeET2_T3_PNSL_ISQ_E10value_typeET4_jRbjT5_SW_jjP12ihipStream_tbEUlT_E2_NS1_11comp_targetILNS1_3genE10ELNS1_11target_archE1200ELNS1_3gpuE4ELNS1_3repE0EEENS1_30default_config_static_selectorELNS0_4arch9wavefront6targetE0EEEvSK_,comdat
.Lfunc_end636:
	.size	_ZN7rocprim17ROCPRIM_400000_NS6detail17trampoline_kernelINS0_14default_configENS1_36segmented_radix_sort_config_selectorIilEEZNS1_25segmented_radix_sort_implIS3_Lb0EPKiPiPKlPlN2at6native12_GLOBAL__N_18offset_tEEE10hipError_tPvRmT1_PNSt15iterator_traitsISK_E10value_typeET2_T3_PNSL_ISQ_E10value_typeET4_jRbjT5_SW_jjP12ihipStream_tbEUlT_E2_NS1_11comp_targetILNS1_3genE10ELNS1_11target_archE1200ELNS1_3gpuE4ELNS1_3repE0EEENS1_30default_config_static_selectorELNS0_4arch9wavefront6targetE0EEEvSK_, .Lfunc_end636-_ZN7rocprim17ROCPRIM_400000_NS6detail17trampoline_kernelINS0_14default_configENS1_36segmented_radix_sort_config_selectorIilEEZNS1_25segmented_radix_sort_implIS3_Lb0EPKiPiPKlPlN2at6native12_GLOBAL__N_18offset_tEEE10hipError_tPvRmT1_PNSt15iterator_traitsISK_E10value_typeET2_T3_PNSL_ISQ_E10value_typeET4_jRbjT5_SW_jjP12ihipStream_tbEUlT_E2_NS1_11comp_targetILNS1_3genE10ELNS1_11target_archE1200ELNS1_3gpuE4ELNS1_3repE0EEENS1_30default_config_static_selectorELNS0_4arch9wavefront6targetE0EEEvSK_
                                        ; -- End function
	.section	.AMDGPU.csdata,"",@progbits
; Kernel info:
; codeLenInByte = 0
; NumSgprs: 0
; NumVgprs: 0
; ScratchSize: 0
; MemoryBound: 0
; FloatMode: 240
; IeeeMode: 1
; LDSByteSize: 0 bytes/workgroup (compile time only)
; SGPRBlocks: 0
; VGPRBlocks: 0
; NumSGPRsForWavesPerEU: 1
; NumVGPRsForWavesPerEU: 1
; Occupancy: 16
; WaveLimiterHint : 0
; COMPUTE_PGM_RSRC2:SCRATCH_EN: 0
; COMPUTE_PGM_RSRC2:USER_SGPR: 15
; COMPUTE_PGM_RSRC2:TRAP_HANDLER: 0
; COMPUTE_PGM_RSRC2:TGID_X_EN: 1
; COMPUTE_PGM_RSRC2:TGID_Y_EN: 0
; COMPUTE_PGM_RSRC2:TGID_Z_EN: 0
; COMPUTE_PGM_RSRC2:TIDIG_COMP_CNT: 0
	.section	.text._ZN7rocprim17ROCPRIM_400000_NS6detail17trampoline_kernelINS0_14default_configENS1_36segmented_radix_sort_config_selectorIilEEZNS1_25segmented_radix_sort_implIS3_Lb0EPKiPiPKlPlN2at6native12_GLOBAL__N_18offset_tEEE10hipError_tPvRmT1_PNSt15iterator_traitsISK_E10value_typeET2_T3_PNSL_ISQ_E10value_typeET4_jRbjT5_SW_jjP12ihipStream_tbEUlT_E2_NS1_11comp_targetILNS1_3genE9ELNS1_11target_archE1100ELNS1_3gpuE3ELNS1_3repE0EEENS1_30default_config_static_selectorELNS0_4arch9wavefront6targetE0EEEvSK_,"axG",@progbits,_ZN7rocprim17ROCPRIM_400000_NS6detail17trampoline_kernelINS0_14default_configENS1_36segmented_radix_sort_config_selectorIilEEZNS1_25segmented_radix_sort_implIS3_Lb0EPKiPiPKlPlN2at6native12_GLOBAL__N_18offset_tEEE10hipError_tPvRmT1_PNSt15iterator_traitsISK_E10value_typeET2_T3_PNSL_ISQ_E10value_typeET4_jRbjT5_SW_jjP12ihipStream_tbEUlT_E2_NS1_11comp_targetILNS1_3genE9ELNS1_11target_archE1100ELNS1_3gpuE3ELNS1_3repE0EEENS1_30default_config_static_selectorELNS0_4arch9wavefront6targetE0EEEvSK_,comdat
	.globl	_ZN7rocprim17ROCPRIM_400000_NS6detail17trampoline_kernelINS0_14default_configENS1_36segmented_radix_sort_config_selectorIilEEZNS1_25segmented_radix_sort_implIS3_Lb0EPKiPiPKlPlN2at6native12_GLOBAL__N_18offset_tEEE10hipError_tPvRmT1_PNSt15iterator_traitsISK_E10value_typeET2_T3_PNSL_ISQ_E10value_typeET4_jRbjT5_SW_jjP12ihipStream_tbEUlT_E2_NS1_11comp_targetILNS1_3genE9ELNS1_11target_archE1100ELNS1_3gpuE3ELNS1_3repE0EEENS1_30default_config_static_selectorELNS0_4arch9wavefront6targetE0EEEvSK_ ; -- Begin function _ZN7rocprim17ROCPRIM_400000_NS6detail17trampoline_kernelINS0_14default_configENS1_36segmented_radix_sort_config_selectorIilEEZNS1_25segmented_radix_sort_implIS3_Lb0EPKiPiPKlPlN2at6native12_GLOBAL__N_18offset_tEEE10hipError_tPvRmT1_PNSt15iterator_traitsISK_E10value_typeET2_T3_PNSL_ISQ_E10value_typeET4_jRbjT5_SW_jjP12ihipStream_tbEUlT_E2_NS1_11comp_targetILNS1_3genE9ELNS1_11target_archE1100ELNS1_3gpuE3ELNS1_3repE0EEENS1_30default_config_static_selectorELNS0_4arch9wavefront6targetE0EEEvSK_
	.p2align	8
	.type	_ZN7rocprim17ROCPRIM_400000_NS6detail17trampoline_kernelINS0_14default_configENS1_36segmented_radix_sort_config_selectorIilEEZNS1_25segmented_radix_sort_implIS3_Lb0EPKiPiPKlPlN2at6native12_GLOBAL__N_18offset_tEEE10hipError_tPvRmT1_PNSt15iterator_traitsISK_E10value_typeET2_T3_PNSL_ISQ_E10value_typeET4_jRbjT5_SW_jjP12ihipStream_tbEUlT_E2_NS1_11comp_targetILNS1_3genE9ELNS1_11target_archE1100ELNS1_3gpuE3ELNS1_3repE0EEENS1_30default_config_static_selectorELNS0_4arch9wavefront6targetE0EEEvSK_,@function
_ZN7rocprim17ROCPRIM_400000_NS6detail17trampoline_kernelINS0_14default_configENS1_36segmented_radix_sort_config_selectorIilEEZNS1_25segmented_radix_sort_implIS3_Lb0EPKiPiPKlPlN2at6native12_GLOBAL__N_18offset_tEEE10hipError_tPvRmT1_PNSt15iterator_traitsISK_E10value_typeET2_T3_PNSL_ISQ_E10value_typeET4_jRbjT5_SW_jjP12ihipStream_tbEUlT_E2_NS1_11comp_targetILNS1_3genE9ELNS1_11target_archE1100ELNS1_3gpuE3ELNS1_3repE0EEENS1_30default_config_static_selectorELNS0_4arch9wavefront6targetE0EEEvSK_: ; @_ZN7rocprim17ROCPRIM_400000_NS6detail17trampoline_kernelINS0_14default_configENS1_36segmented_radix_sort_config_selectorIilEEZNS1_25segmented_radix_sort_implIS3_Lb0EPKiPiPKlPlN2at6native12_GLOBAL__N_18offset_tEEE10hipError_tPvRmT1_PNSt15iterator_traitsISK_E10value_typeET2_T3_PNSL_ISQ_E10value_typeET4_jRbjT5_SW_jjP12ihipStream_tbEUlT_E2_NS1_11comp_targetILNS1_3genE9ELNS1_11target_archE1100ELNS1_3gpuE3ELNS1_3repE0EEENS1_30default_config_static_selectorELNS0_4arch9wavefront6targetE0EEEvSK_
; %bb.0:
	s_load_b128 s[4:7], s[0:1], 0x34
	s_mov_b32 s32, 0
	s_waitcnt lgkmcnt(0)
	s_add_i32 s60, s5, s14
	s_add_i32 s61, s7, s14
	s_mul_i32 s60, s60, s4
	s_mul_i32 s61, s61, s6
	s_delay_alu instid0(SALU_CYCLE_1)
	s_cmp_le_u32 s61, s60
	s_cbranch_scc1 .LBB637_1198
; %bb.1:
	s_clause 0x3
	s_load_b32 s2, s[0:1], 0x30
	s_load_b128 s[52:55], s[0:1], 0x20
	s_load_b128 s[56:59], s[0:1], 0x44
	s_load_b256 s[44:51], s[0:1], 0x0
	s_waitcnt lgkmcnt(0)
	s_bitcmp1_b32 s2, 0
	s_mov_b32 s2, -1
	s_cselect_b32 s59, -1, 0
	s_sub_i32 s62, s61, s60
	s_delay_alu instid0(SALU_CYCLE_1)
	s_cmpk_lt_u32 s62, 0x1001
	s_cbranch_scc0 .LBB637_15
; %bb.2:
	s_cmp_lt_u32 s62, 33
	s_cbranch_scc0 .LBB637_9
; %bb.3:
	s_load_b32 s2, s[0:1], 0x5c
	v_bfe_u32 v1, v0, 10, 10
	v_bfe_u32 v2, v0, 20, 10
	s_mov_b32 s18, exec_lo
	s_waitcnt lgkmcnt(0)
	s_lshr_b32 s3, s2, 16
	s_and_b32 s2, s2, 0xffff
	v_mad_u32_u24 v4, v2, s3, v1
	v_and_b32_e32 v1, 0x3ff, v0
	s_delay_alu instid0(VALU_DEP_1) | instskip(NEXT) | instid1(VALU_DEP_1)
	v_mad_u64_u32 v[2:3], null, v4, s2, v[1:2]
	v_cmpx_gt_u32_e32 8, v2
	s_cbranch_execz .LBB637_8
; %bb.4:
	v_cndmask_b32_e64 v1, 0, 1, s59
	s_and_b32 s2, s56, 1
	s_delay_alu instid0(VALU_DEP_1) | instid1(SALU_CYCLE_1)
	v_cmp_ne_u32_e32 vcc_lo, s2, v1
	s_mov_b32 s2, -1
	s_cbranch_vccnz .LBB637_6
; %bb.5:
	s_mov_b64 s[2:3], src_shared_base
	v_mov_b32_e32 v31, v0
	v_dual_mov_b32 v40, v0 :: v_dual_mov_b32 v1, s45
	v_mov_b32_e32 v0, s44
	v_dual_mov_b32 v2, s48 :: v_dual_mov_b32 v3, s49
	v_dual_mov_b32 v4, s50 :: v_dual_mov_b32 v5, s51
	;; [unrolled: 1-line block ×6, first 2 shown]
	s_add_u32 s8, s0, 0x50
	s_addc_u32 s9, s1, 0
	s_mov_b32 s12, s14
	s_mov_b32 s13, s15
	s_getpc_b64 s[4:5]
	s_add_u32 s4, s4, _ZN7rocprim17ROCPRIM_400000_NS6detail26segmented_warp_sort_helperINS1_20WarpSortHelperConfigILj8ELj4ELj256EEEilLi256ELb0EvE4sortIPKiPiPKlPlEEvT_T0_T1_T2_jjjjRNS5_12storage_typeE@rel32@lo+4
	s_addc_u32 s5, s5, _ZN7rocprim17ROCPRIM_400000_NS6detail26segmented_warp_sort_helperINS1_20WarpSortHelperConfigILj8ELj4ELj256EEEilLi256ELb0EvE4sortIPKiPiPKlPlEEvT_T0_T1_T2_jjjjRNS5_12storage_typeE@rel32@hi+12
	s_mov_b64 s[16:17], s[0:1]
	s_mov_b32 s19, s14
	s_swappc_b64 s[30:31], s[4:5]
	v_mov_b32_e32 v0, v40
	s_mov_b32 s14, s19
	s_mov_b64 s[0:1], s[16:17]
	s_mov_b32 s2, 0
.LBB637_6:
	s_delay_alu instid0(SALU_CYCLE_1)
	s_and_not1_b32 vcc_lo, exec_lo, s2
	s_cbranch_vccnz .LBB637_8
; %bb.7:
	s_mov_b64 s[2:3], src_shared_base
	v_mov_b32_e32 v31, v0
	v_dual_mov_b32 v40, v0 :: v_dual_mov_b32 v1, s45
	v_mov_b32_e32 v0, s44
	v_dual_mov_b32 v2, s46 :: v_dual_mov_b32 v3, s47
	v_dual_mov_b32 v4, s50 :: v_dual_mov_b32 v5, s51
	;; [unrolled: 1-line block ×6, first 2 shown]
	s_add_u32 s8, s0, 0x50
	s_addc_u32 s9, s1, 0
	s_mov_b32 s12, s14
	s_mov_b32 s13, s15
	s_getpc_b64 s[4:5]
	s_add_u32 s4, s4, _ZN7rocprim17ROCPRIM_400000_NS6detail26segmented_warp_sort_helperINS1_20WarpSortHelperConfigILj8ELj4ELj256EEEilLi256ELb0EvE4sortIPKiPiPKlPlEEvT_T0_T1_T2_jjjjRNS5_12storage_typeE@rel32@lo+4
	s_addc_u32 s5, s5, _ZN7rocprim17ROCPRIM_400000_NS6detail26segmented_warp_sort_helperINS1_20WarpSortHelperConfigILj8ELj4ELj256EEEilLi256ELb0EvE4sortIPKiPiPKlPlEEvT_T0_T1_T2_jjjjRNS5_12storage_typeE@rel32@hi+12
	s_mov_b64 s[16:17], s[0:1]
	s_mov_b32 s19, s14
	s_swappc_b64 s[30:31], s[4:5]
	v_mov_b32_e32 v0, v40
	s_mov_b32 s14, s19
	s_mov_b64 s[0:1], s[16:17]
.LBB637_8:
	s_or_b32 exec_lo, exec_lo, s18
	s_mov_b32 s2, 0
.LBB637_9:
	s_delay_alu instid0(SALU_CYCLE_1)
	s_and_not1_b32 vcc_lo, exec_lo, s2
	s_cbranch_vccnz .LBB637_14
; %bb.10:
	v_cndmask_b32_e64 v1, 0, 1, s59
	s_and_b32 s2, s56, 1
	s_delay_alu instid0(VALU_DEP_1) | instid1(SALU_CYCLE_1)
	v_cmp_ne_u32_e32 vcc_lo, s2, v1
	s_mov_b32 s2, -1
	s_cbranch_vccnz .LBB637_12
; %bb.11:
	s_mov_b64 s[2:3], src_shared_base
	v_mov_b32_e32 v31, v0
	v_dual_mov_b32 v40, v0 :: v_dual_mov_b32 v1, s45
	v_mov_b32_e32 v0, s44
	v_dual_mov_b32 v2, s48 :: v_dual_mov_b32 v3, s49
	v_dual_mov_b32 v4, s50 :: v_dual_mov_b32 v5, s51
	;; [unrolled: 1-line block ×6, first 2 shown]
	s_add_u32 s8, s0, 0x50
	s_addc_u32 s9, s1, 0
	s_mov_b32 s12, s14
	s_mov_b32 s13, s15
	s_getpc_b64 s[4:5]
	s_add_u32 s4, s4, _ZN7rocprim17ROCPRIM_400000_NS6detail40segmented_radix_sort_single_block_helperIilLj256ELj16ELb0EE4sortIPKiPiPKlPlEEbT_T0_T1_T2_jjjjRNS3_12storage_typeE@rel32@lo+4
	s_addc_u32 s5, s5, _ZN7rocprim17ROCPRIM_400000_NS6detail40segmented_radix_sort_single_block_helperIilLj256ELj16ELb0EE4sortIPKiPiPKlPlEEbT_T0_T1_T2_jjjjRNS3_12storage_typeE@rel32@hi+12
	s_mov_b64 s[26:27], s[0:1]
	s_mov_b32 s28, s15
	s_mov_b32 s29, s14
	s_swappc_b64 s[30:31], s[4:5]
	v_mov_b32_e32 v0, v40
	s_mov_b32 s14, s29
	s_mov_b32 s15, s28
	s_mov_b64 s[0:1], s[26:27]
	s_mov_b32 s2, 0
.LBB637_12:
	s_delay_alu instid0(SALU_CYCLE_1)
	s_and_not1_b32 vcc_lo, exec_lo, s2
	s_cbranch_vccnz .LBB637_14
; %bb.13:
	s_mov_b64 s[2:3], src_shared_base
	v_mov_b32_e32 v31, v0
	v_dual_mov_b32 v40, v0 :: v_dual_mov_b32 v1, s45
	v_mov_b32_e32 v0, s44
	v_dual_mov_b32 v2, s46 :: v_dual_mov_b32 v3, s47
	v_dual_mov_b32 v4, s50 :: v_dual_mov_b32 v5, s51
	;; [unrolled: 1-line block ×6, first 2 shown]
	s_add_u32 s8, s0, 0x50
	s_addc_u32 s9, s1, 0
	s_mov_b32 s12, s14
	s_mov_b32 s13, s15
	s_getpc_b64 s[4:5]
	s_add_u32 s4, s4, _ZN7rocprim17ROCPRIM_400000_NS6detail40segmented_radix_sort_single_block_helperIilLj256ELj16ELb0EE4sortIPKiPiPKlPlEEbT_T0_T1_T2_jjjjRNS3_12storage_typeE@rel32@lo+4
	s_addc_u32 s5, s5, _ZN7rocprim17ROCPRIM_400000_NS6detail40segmented_radix_sort_single_block_helperIilLj256ELj16ELb0EE4sortIPKiPiPKlPlEEbT_T0_T1_T2_jjjjRNS3_12storage_typeE@rel32@hi+12
	s_mov_b64 s[26:27], s[0:1]
	s_mov_b32 s29, s15
	s_mov_b32 s28, s14
	s_swappc_b64 s[30:31], s[4:5]
	v_mov_b32_e32 v0, v40
	s_mov_b32 s14, s28
	s_mov_b32 s15, s29
	s_mov_b64 s[0:1], s[26:27]
.LBB637_14:
	s_mov_b32 s2, 0
.LBB637_15:
	s_delay_alu instid0(SALU_CYCLE_1)
	s_and_not1_b32 vcc_lo, exec_lo, s2
	s_cbranch_vccnz .LBB637_1198
; %bb.16:
	s_cmp_ge_u32 s57, s58
	s_cbranch_scc1 .LBB637_1198
; %bb.17:
	v_dual_mov_b32 v92, 1 :: v_dual_and_b32 v1, 0x3ff, v0
	v_mov_b32_e32 v3, 0
	v_bfe_u32 v69, v0, 20, 10
	v_bfe_u32 v0, v0, 10, 10
	s_delay_alu instid0(VALU_DEP_4)
	v_lshlrev_b32_e32 v44, 2, v1
	v_lshrrev_b32_e32 v2, 3, v1
	v_or_b32_e32 v4, 31, v1
	v_lshlrev_b32_e32 v5, 5, v1
	v_or_b32_e32 v51, 0x400, v1
	v_or_b32_e32 v52, 0x500, v1
	v_and_b32_e32 v62, 28, v2
	v_lshlrev_b32_e32 v2, 4, v1
	v_cmp_eq_u32_e64 s3, v4, v1
	v_add_nc_u32_e32 v4, 1, v1
	v_sub_nc_u32_e32 v72, 0, v5
	v_or_b32_e32 v53, 0x600, v1
	v_and_b32_e32 v68, 0xe00, v2
	v_mul_u32_u24_e32 v2, 9, v1
	v_or_b32_e32 v54, 0x700, v1
	v_or_b32_e32 v55, 0x800, v1
	;; [unrolled: 1-line block ×3, first 2 shown]
	v_lshlrev_b32_e32 v5, 3, v68
	v_lshl_add_u32 v71, v2, 2, 0x420
	v_mul_u32_u24_e32 v2, 9, v4
	v_or_b32_e32 v57, 0xa00, v1
	v_or_b32_e32 v58, 0xb00, v1
	v_add_co_u32 v74, s8, s54, v5
	s_delay_alu instid0(VALU_DEP_4) | instskip(SKIP_4) | instid1(VALU_DEP_4)
	v_lshlrev_b32_e32 v73, 2, v2
	v_lshlrev_b32_e32 v2, 2, v68
	v_add_co_ci_u32_e64 v75, null, s55, 0, s8
	v_or_b32_e32 v59, 0xc00, v1
	v_or_b32_e32 v60, 0xd00, v1
	v_add_co_u32 v76, s8, s48, v2
	s_delay_alu instid0(VALU_DEP_1) | instskip(SKIP_1) | instid1(VALU_DEP_1)
	v_add_co_ci_u32_e64 v77, null, s49, 0, s8
	v_add_co_u32 v80, s8, s46, v44
	v_add_co_ci_u32_e64 v81, null, s47, 0, s8
	v_add_co_u32 v82, s8, s52, v5
	s_delay_alu instid0(VALU_DEP_1) | instskip(SKIP_1) | instid1(VALU_DEP_1)
	v_add_co_ci_u32_e64 v83, null, s53, 0, s8
	v_add_co_u32 v84, s8, s46, v2
	v_add_co_ci_u32_e64 v85, null, s47, 0, s8
	v_add_co_u32 v86, s8, s44, v44
	v_or_b32_e32 v61, 0xe00, v1
	v_or_b32_e32 v63, 0xf00, v1
	v_mad_u32_u24 v64, v1, 12, v44
	v_add_co_ci_u32_e64 v87, null, s45, 0, s8
	v_add_co_u32 v88, s8, s50, v5
	v_add_co_u32 v49, s2, s48, v44
	v_add_co_ci_u32_e64 v89, null, s51, 0, s8
	v_add_co_u32 v90, s8, s44, v2
	v_or_b32_e32 v45, 0x100, v1
	v_or_b32_e32 v46, 0x200, v1
	;; [unrolled: 1-line block ×3, first 2 shown]
	v_and_b32_e32 v48, 3, v1
	v_add_co_ci_u32_e64 v50, null, s49, 0, s2
	v_cmp_gt_u32_e64 s2, 0x100, v1
	v_or_b32_e32 v65, 0x8400, v62
	v_cmp_gt_u32_e64 s4, 8, v1
	v_add_nc_u32_e32 v66, 0x8400, v44
	v_cmp_lt_u32_e64 s5, 31, v1
	v_add_nc_u32_e32 v67, 0x83fc, v62
	v_mad_u32_u24 v70, v1, 20, v64
	v_cmp_eq_u32_e64 s6, 0, v1
	v_cmp_ne_u32_e64 s7, 0x100, v4
	v_add_nc_u32_e32 v78, 0x400, v44
	v_lshlrev_b32_e32 v79, 3, v1
	v_add_co_ci_u32_e64 v91, null, s45, 0, s8
	v_lshlrev_b32_e32 v93, 2, v1
	v_lshlrev_b32_e32 v94, 2, v51
	;; [unrolled: 1-line block ×13, first 2 shown]
	v_mbcnt_lo_u32_b32 v106, -1, 0
	s_add_u32 s36, s0, 0x50
	s_mov_b32 s35, 0
	s_addc_u32 s37, s1, 0
	s_mov_b32 s38, s57
	s_branch .LBB637_20
.LBB637_18:                             ;   in Loop: Header=BB637_20 Depth=1
	s_waitcnt lgkmcnt(0)
	s_barrier
.LBB637_19:                             ;   in Loop: Header=BB637_20 Depth=1
	s_add_i32 s38, s38, 8
	buffer_gl0_inv
	s_cmp_ge_u32 s38, s58
	s_cbranch_scc1 .LBB637_1198
.LBB637_20:                             ; =>This Loop Header: Depth=1
                                        ;     Child Loop BB637_24 Depth 2
                                        ;     Child Loop BB637_106 Depth 2
	;; [unrolled: 1-line block ×8, first 2 shown]
	s_sub_i32 s0, s58, s38
	s_xor_b32 s59, s59, -1
	s_min_u32 s0, s0, 8
	ds_store_2addr_stride64_b32 v44, v3, v3 offset1:4
	s_lshl_b32 s0, -1, s0
	ds_store_2addr_stride64_b32 v44, v3, v3 offset0:8 offset1:12
	s_not_b32 s39, s0
	s_cmp_lg_u32 s38, s57
	s_mov_b32 s0, -1
	s_waitcnt lgkmcnt(0)
	s_waitcnt_vscnt null, 0x0
	s_cbranch_scc0 .LBB637_610
; %bb.21:                               ;   in Loop: Header=BB637_20 Depth=1
	s_and_b32 vcc_lo, exec_lo, s59
	s_cbranch_vccz .LBB637_315
; %bb.22:                               ;   in Loop: Header=BB637_20 Depth=1
	s_mov_b32 s8, s62
	s_mov_b32 s34, s60
	s_barrier
	buffer_gl0_inv
                                        ; implicit-def: $vgpr20
                                        ; implicit-def: $vgpr2
                                        ; implicit-def: $vgpr6
                                        ; implicit-def: $vgpr7
                                        ; implicit-def: $vgpr8
                                        ; implicit-def: $vgpr9
                                        ; implicit-def: $vgpr10
                                        ; implicit-def: $vgpr11
                                        ; implicit-def: $vgpr12
                                        ; implicit-def: $vgpr13
                                        ; implicit-def: $vgpr14
                                        ; implicit-def: $vgpr15
                                        ; implicit-def: $vgpr16
                                        ; implicit-def: $vgpr17
                                        ; implicit-def: $vgpr18
                                        ; implicit-def: $vgpr19
	s_branch .LBB637_24
.LBB637_23:                             ;   in Loop: Header=BB637_24 Depth=2
	s_or_b32 exec_lo, exec_lo, s0
	s_addk_i32 s8, 0xf000
	s_cmp_ge_u32 s9, s61
	s_mov_b32 s34, s9
	s_cbranch_scc1 .LBB637_94
.LBB637_24:                             ;   Parent Loop BB637_20 Depth=1
                                        ; =>  This Inner Loop Header: Depth=2
	s_add_i32 s9, s34, 0x1000
	s_delay_alu instid0(SALU_CYCLE_1)
	s_cmp_gt_u32 s9, s61
	s_cbranch_scc1 .LBB637_27
; %bb.25:                               ;   in Loop: Header=BB637_24 Depth=2
	s_mov_b32 s1, 0
	s_mov_b32 s0, s34
	s_delay_alu instid0(SALU_CYCLE_1) | instskip(NEXT) | instid1(SALU_CYCLE_1)
	s_lshl_b64 s[10:11], s[0:1], 2
	v_add_co_u32 v4, vcc_lo, v49, s10
	v_add_co_ci_u32_e32 v5, vcc_lo, s11, v50, vcc_lo
	s_movk_i32 s11, 0x1000
	s_waitcnt vmcnt(1)
	s_delay_alu instid0(VALU_DEP_2) | instskip(NEXT) | instid1(VALU_DEP_2)
	v_add_co_u32 v29, vcc_lo, 0x1000, v4
	v_add_co_ci_u32_e32 v30, vcc_lo, 0, v5, vcc_lo
	s_waitcnt vmcnt(0)
	v_add_co_u32 v36, vcc_lo, v4, 0x2000
	v_add_co_ci_u32_e32 v37, vcc_lo, 0, v5, vcc_lo
	v_add_co_u32 v33, vcc_lo, 0x2000, v4
	v_add_co_ci_u32_e32 v34, vcc_lo, 0, v5, vcc_lo
	v_add_co_u32 v38, vcc_lo, 0x3000, v4
	global_load_b32 v26, v[36:37], off
	v_add_co_ci_u32_e32 v39, vcc_lo, 0, v5, vcc_lo
	s_clause 0xd
	global_load_b32 v22, v[4:5], off
	global_load_b32 v23, v[4:5], off offset:1024
	global_load_b32 v24, v[4:5], off offset:2048
	;; [unrolled: 1-line block ×9, first 2 shown]
	global_load_b32 v34, v[38:39], off
	global_load_b32 v35, v[38:39], off offset:1024
	global_load_b32 v29, v[36:37], off offset:-4096
	global_load_b32 v36, v[38:39], off offset:2048
	v_add_co_u32 v4, vcc_lo, 0x3c00, v4
	v_add_co_ci_u32_e32 v5, vcc_lo, 0, v5, vcc_lo
	s_mov_b32 s10, -1
	s_cbranch_execz .LBB637_28
; %bb.26:                               ;   in Loop: Header=BB637_24 Depth=2
                                        ; implicit-def: $vgpr19
                                        ; implicit-def: $vgpr18
                                        ; implicit-def: $vgpr17
                                        ; implicit-def: $vgpr16
                                        ; implicit-def: $vgpr15
                                        ; implicit-def: $vgpr14
                                        ; implicit-def: $vgpr13
                                        ; implicit-def: $vgpr12
                                        ; implicit-def: $vgpr11
                                        ; implicit-def: $vgpr10
                                        ; implicit-def: $vgpr9
                                        ; implicit-def: $vgpr8
                                        ; implicit-def: $vgpr7
                                        ; implicit-def: $vgpr6
                                        ; implicit-def: $vgpr2
                                        ; implicit-def: $vgpr20
	v_mov_b32_e32 v21, s8
	s_and_saveexec_b32 s0, s10
	s_cbranch_execnz .LBB637_47
	s_branch .LBB637_48
.LBB637_27:                             ;   in Loop: Header=BB637_24 Depth=2
	s_mov_b32 s10, 0
                                        ; implicit-def: $sgpr11
                                        ; implicit-def: $vgpr22
                                        ; implicit-def: $vgpr23
                                        ; implicit-def: $vgpr24
                                        ; implicit-def: $vgpr25
                                        ; implicit-def: $vgpr29
                                        ; implicit-def: $vgpr27
                                        ; implicit-def: $vgpr28
                                        ; implicit-def: $vgpr30
                                        ; implicit-def: $vgpr26
                                        ; implicit-def: $vgpr31
                                        ; implicit-def: $vgpr32
                                        ; implicit-def: $vgpr33
                                        ; implicit-def: $vgpr34
                                        ; implicit-def: $vgpr35
                                        ; implicit-def: $vgpr36
                                        ; implicit-def: $vgpr4_vgpr5
.LBB637_28:                             ;   in Loop: Header=BB637_24 Depth=2
	s_lshl_b64 s[0:1], s[34:35], 2
	s_mov_b32 s11, exec_lo
	s_add_u32 s0, s48, s0
	s_addc_u32 s1, s49, s1
	v_cmpx_gt_u32_e64 s8, v1
	s_cbranch_execz .LBB637_80
; %bb.29:                               ;   in Loop: Header=BB637_24 Depth=2
	global_load_b32 v19, v93, s[0:1]
	s_or_b32 exec_lo, exec_lo, s11
	s_delay_alu instid0(SALU_CYCLE_1)
	s_mov_b32 s11, exec_lo
	v_cmpx_gt_u32_e64 s8, v45
	s_cbranch_execnz .LBB637_81
.LBB637_30:                             ;   in Loop: Header=BB637_24 Depth=2
	s_or_b32 exec_lo, exec_lo, s11
	s_delay_alu instid0(SALU_CYCLE_1)
	s_mov_b32 s11, exec_lo
	v_cmpx_gt_u32_e64 s8, v46
	s_cbranch_execz .LBB637_82
.LBB637_31:                             ;   in Loop: Header=BB637_24 Depth=2
	global_load_b32 v17, v93, s[0:1] offset:2048
	s_or_b32 exec_lo, exec_lo, s11
	s_delay_alu instid0(SALU_CYCLE_1)
	s_mov_b32 s11, exec_lo
	v_cmpx_gt_u32_e64 s8, v47
	s_cbranch_execnz .LBB637_83
.LBB637_32:                             ;   in Loop: Header=BB637_24 Depth=2
	s_or_b32 exec_lo, exec_lo, s11
	s_delay_alu instid0(SALU_CYCLE_1)
	s_mov_b32 s11, exec_lo
	v_cmpx_gt_u32_e64 s8, v51
	s_cbranch_execz .LBB637_84
.LBB637_33:                             ;   in Loop: Header=BB637_24 Depth=2
	global_load_b32 v15, v94, s[0:1]
	s_or_b32 exec_lo, exec_lo, s11
	s_delay_alu instid0(SALU_CYCLE_1)
	s_mov_b32 s11, exec_lo
	v_cmpx_gt_u32_e64 s8, v52
	s_cbranch_execnz .LBB637_85
.LBB637_34:                             ;   in Loop: Header=BB637_24 Depth=2
	s_or_b32 exec_lo, exec_lo, s11
	s_delay_alu instid0(SALU_CYCLE_1)
	s_mov_b32 s11, exec_lo
	v_cmpx_gt_u32_e64 s8, v53
	s_cbranch_execz .LBB637_86
.LBB637_35:                             ;   in Loop: Header=BB637_24 Depth=2
	global_load_b32 v13, v96, s[0:1]
	s_or_b32 exec_lo, exec_lo, s11
	s_delay_alu instid0(SALU_CYCLE_1)
	s_mov_b32 s11, exec_lo
	v_cmpx_gt_u32_e64 s8, v54
	s_cbranch_execnz .LBB637_87
.LBB637_36:                             ;   in Loop: Header=BB637_24 Depth=2
	s_or_b32 exec_lo, exec_lo, s11
	s_delay_alu instid0(SALU_CYCLE_1)
	s_mov_b32 s11, exec_lo
	v_cmpx_gt_u32_e64 s8, v55
	s_cbranch_execz .LBB637_88
.LBB637_37:                             ;   in Loop: Header=BB637_24 Depth=2
	global_load_b32 v11, v98, s[0:1]
	s_or_b32 exec_lo, exec_lo, s11
	s_delay_alu instid0(SALU_CYCLE_1)
	s_mov_b32 s11, exec_lo
	v_cmpx_gt_u32_e64 s8, v56
	s_cbranch_execnz .LBB637_89
.LBB637_38:                             ;   in Loop: Header=BB637_24 Depth=2
	s_or_b32 exec_lo, exec_lo, s11
	s_delay_alu instid0(SALU_CYCLE_1)
	s_mov_b32 s11, exec_lo
	v_cmpx_gt_u32_e64 s8, v57
	s_cbranch_execz .LBB637_90
.LBB637_39:                             ;   in Loop: Header=BB637_24 Depth=2
	global_load_b32 v9, v100, s[0:1]
	s_or_b32 exec_lo, exec_lo, s11
	s_delay_alu instid0(SALU_CYCLE_1)
	s_mov_b32 s11, exec_lo
	v_cmpx_gt_u32_e64 s8, v58
	s_cbranch_execnz .LBB637_91
.LBB637_40:                             ;   in Loop: Header=BB637_24 Depth=2
	s_or_b32 exec_lo, exec_lo, s11
	s_delay_alu instid0(SALU_CYCLE_1)
	s_mov_b32 s11, exec_lo
	v_cmpx_gt_u32_e64 s8, v59
	s_cbranch_execz .LBB637_92
.LBB637_41:                             ;   in Loop: Header=BB637_24 Depth=2
	global_load_b32 v7, v102, s[0:1]
	s_or_b32 exec_lo, exec_lo, s11
	s_delay_alu instid0(SALU_CYCLE_1)
	s_mov_b32 s11, exec_lo
	v_cmpx_gt_u32_e64 s8, v60
	s_cbranch_execnz .LBB637_93
.LBB637_42:                             ;   in Loop: Header=BB637_24 Depth=2
	s_or_b32 exec_lo, exec_lo, s11
	s_delay_alu instid0(SALU_CYCLE_1)
	s_mov_b32 s11, exec_lo
	v_cmpx_gt_u32_e64 s8, v61
	s_cbranch_execz .LBB637_44
.LBB637_43:                             ;   in Loop: Header=BB637_24 Depth=2
	global_load_b32 v2, v104, s[0:1]
.LBB637_44:                             ;   in Loop: Header=BB637_24 Depth=2
	s_or_b32 exec_lo, exec_lo, s11
	s_delay_alu instid0(SALU_CYCLE_1)
	s_mov_b32 s12, exec_lo
                                        ; implicit-def: $sgpr11
                                        ; implicit-def: $vgpr4_vgpr5
	v_cmpx_gt_u32_e64 s8, v63
; %bb.45:                               ;   in Loop: Header=BB637_24 Depth=2
	v_add_co_u32 v4, s0, s0, v105
	s_delay_alu instid0(VALU_DEP_1)
	v_add_co_ci_u32_e64 v5, null, s1, 0, s0
	s_sub_i32 s11, s61, s34
	s_or_b32 s10, s10, exec_lo
                                        ; implicit-def: $vgpr20
; %bb.46:                               ;   in Loop: Header=BB637_24 Depth=2
	s_or_b32 exec_lo, exec_lo, s12
	s_waitcnt vmcnt(0)
	v_dual_mov_b32 v22, v19 :: v_dual_mov_b32 v23, v18
	v_dual_mov_b32 v24, v17 :: v_dual_mov_b32 v25, v16
	;; [unrolled: 1-line block ×8, first 2 shown]
	s_and_saveexec_b32 s0, s10
	s_cbranch_execz .LBB637_48
.LBB637_47:                             ;   in Loop: Header=BB637_24 Depth=2
	global_load_b32 v20, v[4:5], off
	s_waitcnt vmcnt(1)
	v_dual_mov_b32 v21, s11 :: v_dual_mov_b32 v2, v36
	v_dual_mov_b32 v6, v35 :: v_dual_mov_b32 v7, v34
	;; [unrolled: 1-line block ×8, first 2 shown]
.LBB637_48:                             ;   in Loop: Header=BB637_24 Depth=2
	s_or_b32 exec_lo, exec_lo, s0
	s_delay_alu instid0(SALU_CYCLE_1)
	s_mov_b32 s0, exec_lo
	v_cmpx_lt_u32_e64 v1, v21
	s_cbranch_execz .LBB637_64
; %bb.49:                               ;   in Loop: Header=BB637_24 Depth=2
	v_xor_b32_e32 v4, 0x80000000, v19
	v_lshlrev_b32_e32 v5, 2, v48
	s_delay_alu instid0(VALU_DEP_2) | instskip(NEXT) | instid1(VALU_DEP_1)
	v_lshrrev_b32_e32 v4, s38, v4
	v_and_b32_e32 v4, s39, v4
	s_delay_alu instid0(VALU_DEP_1) | instskip(SKIP_2) | instid1(SALU_CYCLE_1)
	v_lshl_or_b32 v4, v4, 4, v5
	ds_add_u32 v4, v92
	s_or_b32 exec_lo, exec_lo, s0
	s_mov_b32 s0, exec_lo
	v_cmpx_lt_u32_e64 v45, v21
	s_cbranch_execnz .LBB637_65
.LBB637_50:                             ;   in Loop: Header=BB637_24 Depth=2
	s_or_b32 exec_lo, exec_lo, s0
	s_delay_alu instid0(SALU_CYCLE_1)
	s_mov_b32 s0, exec_lo
	v_cmpx_lt_u32_e64 v46, v21
	s_cbranch_execz .LBB637_66
.LBB637_51:                             ;   in Loop: Header=BB637_24 Depth=2
	v_xor_b32_e32 v4, 0x80000000, v17
	v_lshlrev_b32_e32 v5, 2, v48
	s_delay_alu instid0(VALU_DEP_2) | instskip(NEXT) | instid1(VALU_DEP_1)
	v_lshrrev_b32_e32 v4, s38, v4
	v_and_b32_e32 v4, s39, v4
	s_delay_alu instid0(VALU_DEP_1) | instskip(SKIP_2) | instid1(SALU_CYCLE_1)
	v_lshl_or_b32 v4, v4, 4, v5
	ds_add_u32 v4, v92
	s_or_b32 exec_lo, exec_lo, s0
	s_mov_b32 s0, exec_lo
	v_cmpx_lt_u32_e64 v47, v21
	s_cbranch_execnz .LBB637_67
.LBB637_52:                             ;   in Loop: Header=BB637_24 Depth=2
	s_or_b32 exec_lo, exec_lo, s0
	s_delay_alu instid0(SALU_CYCLE_1)
	s_mov_b32 s0, exec_lo
	v_cmpx_lt_u32_e64 v51, v21
	s_cbranch_execz .LBB637_68
.LBB637_53:                             ;   in Loop: Header=BB637_24 Depth=2
	v_xor_b32_e32 v4, 0x80000000, v15
	v_lshlrev_b32_e32 v5, 2, v48
	s_delay_alu instid0(VALU_DEP_2) | instskip(NEXT) | instid1(VALU_DEP_1)
	v_lshrrev_b32_e32 v4, s38, v4
	v_and_b32_e32 v4, s39, v4
	s_delay_alu instid0(VALU_DEP_1) | instskip(SKIP_2) | instid1(SALU_CYCLE_1)
	v_lshl_or_b32 v4, v4, 4, v5
	ds_add_u32 v4, v92
	s_or_b32 exec_lo, exec_lo, s0
	s_mov_b32 s0, exec_lo
	v_cmpx_lt_u32_e64 v52, v21
	s_cbranch_execnz .LBB637_69
.LBB637_54:                             ;   in Loop: Header=BB637_24 Depth=2
	s_or_b32 exec_lo, exec_lo, s0
	s_delay_alu instid0(SALU_CYCLE_1)
	s_mov_b32 s0, exec_lo
	v_cmpx_lt_u32_e64 v53, v21
	s_cbranch_execz .LBB637_70
.LBB637_55:                             ;   in Loop: Header=BB637_24 Depth=2
	v_xor_b32_e32 v4, 0x80000000, v13
	v_lshlrev_b32_e32 v5, 2, v48
	s_delay_alu instid0(VALU_DEP_2) | instskip(NEXT) | instid1(VALU_DEP_1)
	v_lshrrev_b32_e32 v4, s38, v4
	v_and_b32_e32 v4, s39, v4
	s_delay_alu instid0(VALU_DEP_1) | instskip(SKIP_2) | instid1(SALU_CYCLE_1)
	v_lshl_or_b32 v4, v4, 4, v5
	ds_add_u32 v4, v92
	s_or_b32 exec_lo, exec_lo, s0
	s_mov_b32 s0, exec_lo
	v_cmpx_lt_u32_e64 v54, v21
	s_cbranch_execnz .LBB637_71
.LBB637_56:                             ;   in Loop: Header=BB637_24 Depth=2
	s_or_b32 exec_lo, exec_lo, s0
	s_delay_alu instid0(SALU_CYCLE_1)
	s_mov_b32 s0, exec_lo
	v_cmpx_lt_u32_e64 v55, v21
	s_cbranch_execz .LBB637_72
.LBB637_57:                             ;   in Loop: Header=BB637_24 Depth=2
	v_xor_b32_e32 v4, 0x80000000, v11
	v_lshlrev_b32_e32 v5, 2, v48
	s_delay_alu instid0(VALU_DEP_2) | instskip(NEXT) | instid1(VALU_DEP_1)
	v_lshrrev_b32_e32 v4, s38, v4
	v_and_b32_e32 v4, s39, v4
	s_delay_alu instid0(VALU_DEP_1) | instskip(SKIP_2) | instid1(SALU_CYCLE_1)
	v_lshl_or_b32 v4, v4, 4, v5
	ds_add_u32 v4, v92
	s_or_b32 exec_lo, exec_lo, s0
	s_mov_b32 s0, exec_lo
	v_cmpx_lt_u32_e64 v56, v21
	s_cbranch_execnz .LBB637_73
.LBB637_58:                             ;   in Loop: Header=BB637_24 Depth=2
	s_or_b32 exec_lo, exec_lo, s0
	s_delay_alu instid0(SALU_CYCLE_1)
	s_mov_b32 s0, exec_lo
	v_cmpx_lt_u32_e64 v57, v21
	s_cbranch_execz .LBB637_74
.LBB637_59:                             ;   in Loop: Header=BB637_24 Depth=2
	v_xor_b32_e32 v4, 0x80000000, v9
	v_lshlrev_b32_e32 v5, 2, v48
	s_delay_alu instid0(VALU_DEP_2) | instskip(NEXT) | instid1(VALU_DEP_1)
	v_lshrrev_b32_e32 v4, s38, v4
	v_and_b32_e32 v4, s39, v4
	s_delay_alu instid0(VALU_DEP_1) | instskip(SKIP_2) | instid1(SALU_CYCLE_1)
	v_lshl_or_b32 v4, v4, 4, v5
	ds_add_u32 v4, v92
	s_or_b32 exec_lo, exec_lo, s0
	s_mov_b32 s0, exec_lo
	v_cmpx_lt_u32_e64 v58, v21
	s_cbranch_execnz .LBB637_75
.LBB637_60:                             ;   in Loop: Header=BB637_24 Depth=2
	s_or_b32 exec_lo, exec_lo, s0
	s_delay_alu instid0(SALU_CYCLE_1)
	s_mov_b32 s0, exec_lo
	v_cmpx_lt_u32_e64 v59, v21
	s_cbranch_execz .LBB637_76
.LBB637_61:                             ;   in Loop: Header=BB637_24 Depth=2
	v_xor_b32_e32 v4, 0x80000000, v7
	v_lshlrev_b32_e32 v5, 2, v48
	s_delay_alu instid0(VALU_DEP_2) | instskip(NEXT) | instid1(VALU_DEP_1)
	v_lshrrev_b32_e32 v4, s38, v4
	v_and_b32_e32 v4, s39, v4
	s_delay_alu instid0(VALU_DEP_1) | instskip(SKIP_2) | instid1(SALU_CYCLE_1)
	v_lshl_or_b32 v4, v4, 4, v5
	ds_add_u32 v4, v92
	s_or_b32 exec_lo, exec_lo, s0
	s_mov_b32 s0, exec_lo
	v_cmpx_lt_u32_e64 v60, v21
	s_cbranch_execnz .LBB637_77
.LBB637_62:                             ;   in Loop: Header=BB637_24 Depth=2
	s_or_b32 exec_lo, exec_lo, s0
	s_delay_alu instid0(SALU_CYCLE_1)
	s_mov_b32 s0, exec_lo
	v_cmpx_lt_u32_e64 v61, v21
	s_cbranch_execz .LBB637_78
.LBB637_63:                             ;   in Loop: Header=BB637_24 Depth=2
	v_xor_b32_e32 v4, 0x80000000, v2
	v_lshlrev_b32_e32 v5, 2, v48
	s_delay_alu instid0(VALU_DEP_2) | instskip(NEXT) | instid1(VALU_DEP_1)
	v_lshrrev_b32_e32 v4, s38, v4
	v_and_b32_e32 v4, s39, v4
	s_delay_alu instid0(VALU_DEP_1) | instskip(SKIP_2) | instid1(SALU_CYCLE_1)
	v_lshl_or_b32 v4, v4, 4, v5
	ds_add_u32 v4, v92
	s_or_b32 exec_lo, exec_lo, s0
	s_mov_b32 s0, exec_lo
	v_cmpx_lt_u32_e64 v63, v21
	s_cbranch_execz .LBB637_23
	s_branch .LBB637_79
.LBB637_64:                             ;   in Loop: Header=BB637_24 Depth=2
	s_or_b32 exec_lo, exec_lo, s0
	s_delay_alu instid0(SALU_CYCLE_1)
	s_mov_b32 s0, exec_lo
	v_cmpx_lt_u32_e64 v45, v21
	s_cbranch_execz .LBB637_50
.LBB637_65:                             ;   in Loop: Header=BB637_24 Depth=2
	v_xor_b32_e32 v4, 0x80000000, v18
	v_lshlrev_b32_e32 v5, 2, v48
	s_delay_alu instid0(VALU_DEP_2) | instskip(NEXT) | instid1(VALU_DEP_1)
	v_lshrrev_b32_e32 v4, s38, v4
	v_and_b32_e32 v4, s39, v4
	s_delay_alu instid0(VALU_DEP_1) | instskip(SKIP_2) | instid1(SALU_CYCLE_1)
	v_lshl_or_b32 v4, v4, 4, v5
	ds_add_u32 v4, v92
	s_or_b32 exec_lo, exec_lo, s0
	s_mov_b32 s0, exec_lo
	v_cmpx_lt_u32_e64 v46, v21
	s_cbranch_execnz .LBB637_51
.LBB637_66:                             ;   in Loop: Header=BB637_24 Depth=2
	s_or_b32 exec_lo, exec_lo, s0
	s_delay_alu instid0(SALU_CYCLE_1)
	s_mov_b32 s0, exec_lo
	v_cmpx_lt_u32_e64 v47, v21
	s_cbranch_execz .LBB637_52
.LBB637_67:                             ;   in Loop: Header=BB637_24 Depth=2
	v_xor_b32_e32 v4, 0x80000000, v16
	v_lshlrev_b32_e32 v5, 2, v48
	s_delay_alu instid0(VALU_DEP_2) | instskip(NEXT) | instid1(VALU_DEP_1)
	v_lshrrev_b32_e32 v4, s38, v4
	v_and_b32_e32 v4, s39, v4
	s_delay_alu instid0(VALU_DEP_1) | instskip(SKIP_2) | instid1(SALU_CYCLE_1)
	v_lshl_or_b32 v4, v4, 4, v5
	ds_add_u32 v4, v92
	s_or_b32 exec_lo, exec_lo, s0
	s_mov_b32 s0, exec_lo
	v_cmpx_lt_u32_e64 v51, v21
	s_cbranch_execnz .LBB637_53
.LBB637_68:                             ;   in Loop: Header=BB637_24 Depth=2
	s_or_b32 exec_lo, exec_lo, s0
	s_delay_alu instid0(SALU_CYCLE_1)
	s_mov_b32 s0, exec_lo
	v_cmpx_lt_u32_e64 v52, v21
	s_cbranch_execz .LBB637_54
.LBB637_69:                             ;   in Loop: Header=BB637_24 Depth=2
	v_xor_b32_e32 v4, 0x80000000, v14
	v_lshlrev_b32_e32 v5, 2, v48
	s_delay_alu instid0(VALU_DEP_2) | instskip(NEXT) | instid1(VALU_DEP_1)
	v_lshrrev_b32_e32 v4, s38, v4
	v_and_b32_e32 v4, s39, v4
	s_delay_alu instid0(VALU_DEP_1) | instskip(SKIP_2) | instid1(SALU_CYCLE_1)
	v_lshl_or_b32 v4, v4, 4, v5
	ds_add_u32 v4, v92
	s_or_b32 exec_lo, exec_lo, s0
	s_mov_b32 s0, exec_lo
	v_cmpx_lt_u32_e64 v53, v21
	s_cbranch_execnz .LBB637_55
.LBB637_70:                             ;   in Loop: Header=BB637_24 Depth=2
	s_or_b32 exec_lo, exec_lo, s0
	s_delay_alu instid0(SALU_CYCLE_1)
	s_mov_b32 s0, exec_lo
	v_cmpx_lt_u32_e64 v54, v21
	s_cbranch_execz .LBB637_56
.LBB637_71:                             ;   in Loop: Header=BB637_24 Depth=2
	v_xor_b32_e32 v4, 0x80000000, v12
	v_lshlrev_b32_e32 v5, 2, v48
	s_delay_alu instid0(VALU_DEP_2) | instskip(NEXT) | instid1(VALU_DEP_1)
	v_lshrrev_b32_e32 v4, s38, v4
	v_and_b32_e32 v4, s39, v4
	s_delay_alu instid0(VALU_DEP_1) | instskip(SKIP_2) | instid1(SALU_CYCLE_1)
	v_lshl_or_b32 v4, v4, 4, v5
	ds_add_u32 v4, v92
	s_or_b32 exec_lo, exec_lo, s0
	s_mov_b32 s0, exec_lo
	v_cmpx_lt_u32_e64 v55, v21
	s_cbranch_execnz .LBB637_57
.LBB637_72:                             ;   in Loop: Header=BB637_24 Depth=2
	s_or_b32 exec_lo, exec_lo, s0
	s_delay_alu instid0(SALU_CYCLE_1)
	s_mov_b32 s0, exec_lo
	v_cmpx_lt_u32_e64 v56, v21
	s_cbranch_execz .LBB637_58
.LBB637_73:                             ;   in Loop: Header=BB637_24 Depth=2
	v_xor_b32_e32 v4, 0x80000000, v10
	v_lshlrev_b32_e32 v5, 2, v48
	s_delay_alu instid0(VALU_DEP_2) | instskip(NEXT) | instid1(VALU_DEP_1)
	v_lshrrev_b32_e32 v4, s38, v4
	v_and_b32_e32 v4, s39, v4
	s_delay_alu instid0(VALU_DEP_1) | instskip(SKIP_2) | instid1(SALU_CYCLE_1)
	v_lshl_or_b32 v4, v4, 4, v5
	ds_add_u32 v4, v92
	s_or_b32 exec_lo, exec_lo, s0
	s_mov_b32 s0, exec_lo
	v_cmpx_lt_u32_e64 v57, v21
	s_cbranch_execnz .LBB637_59
.LBB637_74:                             ;   in Loop: Header=BB637_24 Depth=2
	s_or_b32 exec_lo, exec_lo, s0
	s_delay_alu instid0(SALU_CYCLE_1)
	s_mov_b32 s0, exec_lo
	v_cmpx_lt_u32_e64 v58, v21
	s_cbranch_execz .LBB637_60
.LBB637_75:                             ;   in Loop: Header=BB637_24 Depth=2
	v_xor_b32_e32 v4, 0x80000000, v8
	v_lshlrev_b32_e32 v5, 2, v48
	s_delay_alu instid0(VALU_DEP_2) | instskip(NEXT) | instid1(VALU_DEP_1)
	v_lshrrev_b32_e32 v4, s38, v4
	v_and_b32_e32 v4, s39, v4
	s_delay_alu instid0(VALU_DEP_1) | instskip(SKIP_2) | instid1(SALU_CYCLE_1)
	v_lshl_or_b32 v4, v4, 4, v5
	ds_add_u32 v4, v92
	s_or_b32 exec_lo, exec_lo, s0
	s_mov_b32 s0, exec_lo
	v_cmpx_lt_u32_e64 v59, v21
	s_cbranch_execnz .LBB637_61
.LBB637_76:                             ;   in Loop: Header=BB637_24 Depth=2
	s_or_b32 exec_lo, exec_lo, s0
	s_delay_alu instid0(SALU_CYCLE_1)
	s_mov_b32 s0, exec_lo
	v_cmpx_lt_u32_e64 v60, v21
	s_cbranch_execz .LBB637_62
.LBB637_77:                             ;   in Loop: Header=BB637_24 Depth=2
	v_xor_b32_e32 v4, 0x80000000, v6
	v_lshlrev_b32_e32 v5, 2, v48
	s_delay_alu instid0(VALU_DEP_2) | instskip(NEXT) | instid1(VALU_DEP_1)
	v_lshrrev_b32_e32 v4, s38, v4
	v_and_b32_e32 v4, s39, v4
	s_delay_alu instid0(VALU_DEP_1) | instskip(SKIP_2) | instid1(SALU_CYCLE_1)
	v_lshl_or_b32 v4, v4, 4, v5
	ds_add_u32 v4, v92
	s_or_b32 exec_lo, exec_lo, s0
	s_mov_b32 s0, exec_lo
	v_cmpx_lt_u32_e64 v61, v21
	s_cbranch_execnz .LBB637_63
.LBB637_78:                             ;   in Loop: Header=BB637_24 Depth=2
	s_or_b32 exec_lo, exec_lo, s0
	s_delay_alu instid0(SALU_CYCLE_1)
	s_mov_b32 s0, exec_lo
	v_cmpx_lt_u32_e64 v63, v21
	s_cbranch_execz .LBB637_23
.LBB637_79:                             ;   in Loop: Header=BB637_24 Depth=2
	s_waitcnt vmcnt(0)
	v_xor_b32_e32 v4, 0x80000000, v20
	v_lshlrev_b32_e32 v5, 2, v48
	s_delay_alu instid0(VALU_DEP_2) | instskip(NEXT) | instid1(VALU_DEP_1)
	v_lshrrev_b32_e32 v4, s38, v4
	v_and_b32_e32 v4, s39, v4
	s_delay_alu instid0(VALU_DEP_1)
	v_lshl_or_b32 v4, v4, 4, v5
	ds_add_u32 v4, v92
	s_branch .LBB637_23
.LBB637_80:                             ;   in Loop: Header=BB637_24 Depth=2
	s_or_b32 exec_lo, exec_lo, s11
	s_delay_alu instid0(SALU_CYCLE_1)
	s_mov_b32 s11, exec_lo
	v_cmpx_gt_u32_e64 s8, v45
	s_cbranch_execz .LBB637_30
.LBB637_81:                             ;   in Loop: Header=BB637_24 Depth=2
	global_load_b32 v18, v93, s[0:1] offset:1024
	s_or_b32 exec_lo, exec_lo, s11
	s_delay_alu instid0(SALU_CYCLE_1)
	s_mov_b32 s11, exec_lo
	v_cmpx_gt_u32_e64 s8, v46
	s_cbranch_execnz .LBB637_31
.LBB637_82:                             ;   in Loop: Header=BB637_24 Depth=2
	s_or_b32 exec_lo, exec_lo, s11
	s_delay_alu instid0(SALU_CYCLE_1)
	s_mov_b32 s11, exec_lo
	v_cmpx_gt_u32_e64 s8, v47
	s_cbranch_execz .LBB637_32
.LBB637_83:                             ;   in Loop: Header=BB637_24 Depth=2
	global_load_b32 v16, v93, s[0:1] offset:3072
	s_or_b32 exec_lo, exec_lo, s11
	s_delay_alu instid0(SALU_CYCLE_1)
	s_mov_b32 s11, exec_lo
	v_cmpx_gt_u32_e64 s8, v51
	s_cbranch_execnz .LBB637_33
.LBB637_84:                             ;   in Loop: Header=BB637_24 Depth=2
	s_or_b32 exec_lo, exec_lo, s11
	s_delay_alu instid0(SALU_CYCLE_1)
	s_mov_b32 s11, exec_lo
	v_cmpx_gt_u32_e64 s8, v52
	s_cbranch_execz .LBB637_34
.LBB637_85:                             ;   in Loop: Header=BB637_24 Depth=2
	global_load_b32 v14, v95, s[0:1]
	s_or_b32 exec_lo, exec_lo, s11
	s_delay_alu instid0(SALU_CYCLE_1)
	s_mov_b32 s11, exec_lo
	v_cmpx_gt_u32_e64 s8, v53
	s_cbranch_execnz .LBB637_35
.LBB637_86:                             ;   in Loop: Header=BB637_24 Depth=2
	s_or_b32 exec_lo, exec_lo, s11
	s_delay_alu instid0(SALU_CYCLE_1)
	s_mov_b32 s11, exec_lo
	v_cmpx_gt_u32_e64 s8, v54
	s_cbranch_execz .LBB637_36
.LBB637_87:                             ;   in Loop: Header=BB637_24 Depth=2
	global_load_b32 v12, v97, s[0:1]
	s_or_b32 exec_lo, exec_lo, s11
	s_delay_alu instid0(SALU_CYCLE_1)
	s_mov_b32 s11, exec_lo
	v_cmpx_gt_u32_e64 s8, v55
	s_cbranch_execnz .LBB637_37
.LBB637_88:                             ;   in Loop: Header=BB637_24 Depth=2
	s_or_b32 exec_lo, exec_lo, s11
	s_delay_alu instid0(SALU_CYCLE_1)
	s_mov_b32 s11, exec_lo
	v_cmpx_gt_u32_e64 s8, v56
	s_cbranch_execz .LBB637_38
.LBB637_89:                             ;   in Loop: Header=BB637_24 Depth=2
	global_load_b32 v10, v99, s[0:1]
	s_or_b32 exec_lo, exec_lo, s11
	s_delay_alu instid0(SALU_CYCLE_1)
	s_mov_b32 s11, exec_lo
	v_cmpx_gt_u32_e64 s8, v57
	s_cbranch_execnz .LBB637_39
.LBB637_90:                             ;   in Loop: Header=BB637_24 Depth=2
	s_or_b32 exec_lo, exec_lo, s11
	s_delay_alu instid0(SALU_CYCLE_1)
	s_mov_b32 s11, exec_lo
	v_cmpx_gt_u32_e64 s8, v58
	s_cbranch_execz .LBB637_40
.LBB637_91:                             ;   in Loop: Header=BB637_24 Depth=2
	global_load_b32 v8, v101, s[0:1]
	s_or_b32 exec_lo, exec_lo, s11
	s_delay_alu instid0(SALU_CYCLE_1)
	s_mov_b32 s11, exec_lo
	v_cmpx_gt_u32_e64 s8, v59
	s_cbranch_execnz .LBB637_41
.LBB637_92:                             ;   in Loop: Header=BB637_24 Depth=2
	s_or_b32 exec_lo, exec_lo, s11
	s_delay_alu instid0(SALU_CYCLE_1)
	s_mov_b32 s11, exec_lo
	v_cmpx_gt_u32_e64 s8, v60
	s_cbranch_execz .LBB637_42
.LBB637_93:                             ;   in Loop: Header=BB637_24 Depth=2
	global_load_b32 v6, v103, s[0:1]
	s_or_b32 exec_lo, exec_lo, s11
	s_delay_alu instid0(SALU_CYCLE_1)
	s_mov_b32 s11, exec_lo
	v_cmpx_gt_u32_e64 s8, v61
	s_cbranch_execz .LBB637_44
	s_branch .LBB637_43
.LBB637_94:                             ;   in Loop: Header=BB637_20 Depth=1
	v_mov_b32_e32 v2, 0
	s_waitcnt vmcnt(0) lgkmcnt(0)
	s_barrier
	buffer_gl0_inv
	s_and_saveexec_b32 s0, s2
	s_cbranch_execz .LBB637_96
; %bb.95:                               ;   in Loop: Header=BB637_20 Depth=1
	ds_load_2addr_b64 v[4:7], v64 offset1:1
	s_waitcnt lgkmcnt(0)
	v_add_nc_u32_e32 v2, v5, v4
	s_delay_alu instid0(VALU_DEP_1)
	v_add3_u32 v2, v2, v6, v7
.LBB637_96:                             ;   in Loop: Header=BB637_20 Depth=1
	s_or_b32 exec_lo, exec_lo, s0
	v_and_b32_e32 v4, 15, v106
	s_delay_alu instid0(VALU_DEP_2) | instskip(SKIP_1) | instid1(VALU_DEP_3)
	v_mov_b32_dpp v5, v2 row_shr:1 row_mask:0xf bank_mask:0xf
	v_and_b32_e32 v6, 16, v106
	v_cmp_eq_u32_e64 s0, 0, v4
	v_cmp_lt_u32_e64 s1, 1, v4
	v_cmp_lt_u32_e64 s8, 3, v4
	;; [unrolled: 1-line block ×3, first 2 shown]
	v_cmp_eq_u32_e64 s10, 0, v6
	v_cndmask_b32_e64 v5, v5, 0, s0
	s_delay_alu instid0(VALU_DEP_1) | instskip(NEXT) | instid1(VALU_DEP_1)
	v_add_nc_u32_e32 v2, v5, v2
	v_mov_b32_dpp v5, v2 row_shr:2 row_mask:0xf bank_mask:0xf
	s_delay_alu instid0(VALU_DEP_1) | instskip(NEXT) | instid1(VALU_DEP_1)
	v_cndmask_b32_e64 v5, 0, v5, s1
	v_add_nc_u32_e32 v2, v2, v5
	s_delay_alu instid0(VALU_DEP_1) | instskip(NEXT) | instid1(VALU_DEP_1)
	v_mov_b32_dpp v5, v2 row_shr:4 row_mask:0xf bank_mask:0xf
	v_cndmask_b32_e64 v5, 0, v5, s8
	s_delay_alu instid0(VALU_DEP_1) | instskip(NEXT) | instid1(VALU_DEP_1)
	v_add_nc_u32_e32 v2, v2, v5
	v_mov_b32_dpp v5, v2 row_shr:8 row_mask:0xf bank_mask:0xf
	s_delay_alu instid0(VALU_DEP_1) | instskip(SKIP_1) | instid1(VALU_DEP_2)
	v_cndmask_b32_e64 v4, 0, v5, s9
	v_bfe_i32 v5, v106, 4, 1
	v_add_nc_u32_e32 v2, v2, v4
	ds_swizzle_b32 v4, v2 offset:swizzle(BROADCAST,32,15)
	s_waitcnt lgkmcnt(0)
	v_and_b32_e32 v4, v5, v4
	s_delay_alu instid0(VALU_DEP_1)
	v_add_nc_u32_e32 v4, v2, v4
	s_and_saveexec_b32 s11, s3
	s_cbranch_execz .LBB637_98
; %bb.97:                               ;   in Loop: Header=BB637_20 Depth=1
	ds_store_b32 v65, v4
.LBB637_98:                             ;   in Loop: Header=BB637_20 Depth=1
	s_or_b32 exec_lo, exec_lo, s11
	v_and_b32_e32 v2, 7, v106
	s_waitcnt lgkmcnt(0)
	s_barrier
	buffer_gl0_inv
	s_and_saveexec_b32 s11, s4
	s_cbranch_execz .LBB637_100
; %bb.99:                               ;   in Loop: Header=BB637_20 Depth=1
	ds_load_b32 v5, v66
	v_cmp_ne_u32_e32 vcc_lo, 0, v2
	s_waitcnt lgkmcnt(0)
	v_mov_b32_dpp v6, v5 row_shr:1 row_mask:0xf bank_mask:0xf
	s_delay_alu instid0(VALU_DEP_1) | instskip(SKIP_1) | instid1(VALU_DEP_2)
	v_cndmask_b32_e32 v6, 0, v6, vcc_lo
	v_cmp_lt_u32_e32 vcc_lo, 1, v2
	v_add_nc_u32_e32 v5, v6, v5
	s_delay_alu instid0(VALU_DEP_1) | instskip(NEXT) | instid1(VALU_DEP_1)
	v_mov_b32_dpp v6, v5 row_shr:2 row_mask:0xf bank_mask:0xf
	v_cndmask_b32_e32 v6, 0, v6, vcc_lo
	v_cmp_lt_u32_e32 vcc_lo, 3, v2
	s_delay_alu instid0(VALU_DEP_2) | instskip(NEXT) | instid1(VALU_DEP_1)
	v_add_nc_u32_e32 v5, v5, v6
	v_mov_b32_dpp v6, v5 row_shr:4 row_mask:0xf bank_mask:0xf
	s_delay_alu instid0(VALU_DEP_1) | instskip(NEXT) | instid1(VALU_DEP_1)
	v_cndmask_b32_e32 v6, 0, v6, vcc_lo
	v_add_nc_u32_e32 v5, v5, v6
	ds_store_b32 v66, v5
.LBB637_100:                            ;   in Loop: Header=BB637_20 Depth=1
	s_or_b32 exec_lo, exec_lo, s11
	v_mov_b32_e32 v5, 0
	s_waitcnt lgkmcnt(0)
	s_barrier
	buffer_gl0_inv
	s_and_saveexec_b32 s11, s5
	s_cbranch_execz .LBB637_102
; %bb.101:                              ;   in Loop: Header=BB637_20 Depth=1
	ds_load_b32 v5, v67
.LBB637_102:                            ;   in Loop: Header=BB637_20 Depth=1
	s_or_b32 exec_lo, exec_lo, s11
	v_add_nc_u32_e32 v6, -1, v106
	s_waitcnt lgkmcnt(0)
	v_add_nc_u32_e32 v4, v5, v4
	v_cmp_eq_u32_e64 s11, 0, v106
	s_barrier
	v_cmp_gt_i32_e32 vcc_lo, 0, v6
	buffer_gl0_inv
	v_cndmask_b32_e32 v6, v6, v106, vcc_lo
	s_delay_alu instid0(VALU_DEP_1)
	v_lshlrev_b32_e32 v107, 2, v6
	ds_bpermute_b32 v4, v107, v4
	s_and_saveexec_b32 s12, s2
	s_cbranch_execz .LBB637_104
; %bb.103:                              ;   in Loop: Header=BB637_20 Depth=1
	s_waitcnt lgkmcnt(0)
	v_cndmask_b32_e64 v4, v4, v5, s11
	s_delay_alu instid0(VALU_DEP_1)
	v_add_nc_u32_e32 v4, s60, v4
	ds_store_b32 v44, v4
.LBB637_104:                            ;   in Loop: Header=BB637_20 Depth=1
	s_or_b32 exec_lo, exec_lo, s12
	s_clause 0x1
	s_load_b32 s12, s[36:37], 0x4
	s_load_b32 s17, s[36:37], 0xc
	v_lshlrev_b32_e32 v5, 3, v106
	v_cmp_lt_u32_e64 s16, 3, v2
	v_or_b32_e32 v108, v106, v68
	s_mov_b32 s40, s62
	s_mov_b32 s34, s60
	v_add_co_u32 v109, vcc_lo, v74, v5
	v_add_co_ci_u32_e32 v110, vcc_lo, 0, v75, vcc_lo
	v_or_b32_e32 v111, 32, v108
	v_or_b32_e32 v112, 64, v108
	;; [unrolled: 1-line block ×9, first 2 shown]
	s_waitcnt lgkmcnt(0)
	s_cmp_lt_u32 s15, s12
	v_or_b32_e32 v120, 0x140, v108
	s_cselect_b32 s12, 14, 20
	v_or_b32_e32 v121, 0x160, v108
	s_add_u32 s12, s36, s12
	s_addc_u32 s13, s37, 0
	s_and_b32 s17, s17, 0xffff
	global_load_u16 v4, v3, s[12:13]
	v_cmp_eq_u32_e64 s12, 0, v2
	v_cmp_lt_u32_e64 s13, 1, v2
	v_lshlrev_b32_e32 v2, 2, v106
	v_or_b32_e32 v122, 0x180, v108
	v_or_b32_e32 v123, 0x1a0, v108
	;; [unrolled: 1-line block ×4, first 2 shown]
	v_add_co_u32 v126, vcc_lo, v76, v2
	v_add_co_ci_u32_e32 v127, vcc_lo, 0, v77, vcc_lo
                                        ; implicit-def: $vgpr8_vgpr9
                                        ; implicit-def: $vgpr10_vgpr11
                                        ; implicit-def: $vgpr12_vgpr13
                                        ; implicit-def: $vgpr14_vgpr15
                                        ; implicit-def: $vgpr16_vgpr17
                                        ; implicit-def: $vgpr18_vgpr19
                                        ; implicit-def: $vgpr20_vgpr21
                                        ; implicit-def: $vgpr22_vgpr23
                                        ; implicit-def: $vgpr24_vgpr25
                                        ; implicit-def: $vgpr26_vgpr27
                                        ; implicit-def: $vgpr28_vgpr29
                                        ; implicit-def: $vgpr30_vgpr31
                                        ; implicit-def: $vgpr32_vgpr33
                                        ; implicit-def: $vgpr34_vgpr35
                                        ; implicit-def: $vgpr131
                                        ; implicit-def: $vgpr132
                                        ; implicit-def: $vgpr133
                                        ; implicit-def: $vgpr134
                                        ; implicit-def: $vgpr135
                                        ; implicit-def: $vgpr136
                                        ; implicit-def: $vgpr137
                                        ; implicit-def: $vgpr138
                                        ; implicit-def: $vgpr139
                                        ; implicit-def: $vgpr140
                                        ; implicit-def: $vgpr141
                                        ; implicit-def: $vgpr142
                                        ; implicit-def: $vgpr143
                                        ; implicit-def: $vgpr144
                                        ; implicit-def: $vgpr145
                                        ; implicit-def: $vgpr146
	s_delay_alu instid0(VALU_DEP_2) | instskip(NEXT) | instid1(VALU_DEP_2)
	v_add_co_u32 v129, vcc_lo, 0x780, v126
	v_add_co_ci_u32_e32 v130, vcc_lo, 0, v127, vcc_lo
	s_waitcnt vmcnt(0)
	v_mad_u32_u24 v6, v69, v4, v0
	s_delay_alu instid0(VALU_DEP_1) | instskip(NEXT) | instid1(VALU_DEP_1)
	v_mad_u64_u32 v[4:5], null, v6, s17, v[1:2]
                                        ; implicit-def: $vgpr6_vgpr7
	v_lshrrev_b32_e32 v128, 5, v4
                                        ; implicit-def: $vgpr4_vgpr5
	s_branch .LBB637_106
.LBB637_105:                            ;   in Loop: Header=BB637_106 Depth=2
	s_or_b32 exec_lo, exec_lo, s17
	s_addk_i32 s40, 0xf000
	s_cmp_lt_u32 s41, s61
	s_mov_b32 s34, s41
	s_cbranch_scc0 .LBB637_314
.LBB637_106:                            ;   Parent Loop BB637_20 Depth=1
                                        ; =>  This Inner Loop Header: Depth=2
	s_add_i32 s41, s34, 0x1000
	s_delay_alu instid0(SALU_CYCLE_1)
	s_cmp_gt_u32 s41, s61
	s_cbranch_scc1 .LBB637_109
; %bb.107:                              ;   in Loop: Header=BB637_106 Depth=2
	s_mov_b32 s19, 0
	s_mov_b32 s18, s34
	s_movk_i32 s17, 0x1000
	s_lshl_b64 s[20:21], s[18:19], 2
	s_delay_alu instid0(SALU_CYCLE_1)
	v_add_co_u32 v36, vcc_lo, v126, s20
	v_add_co_ci_u32_e32 v37, vcc_lo, s21, v127, vcc_lo
	s_mov_b32 s20, -1
	s_clause 0xe
	global_load_b32 v2, v[36:37], off
	global_load_b32 v148, v[36:37], off offset:128
	global_load_b32 v151, v[36:37], off offset:256
	;; [unrolled: 1-line block ×14, first 2 shown]
	s_cbranch_execz .LBB637_110
; %bb.108:                              ;   in Loop: Header=BB637_106 Depth=2
                                        ; implicit-def: $sgpr21
	v_dual_mov_b32 v36, s21 :: v_dual_mov_b32 v147, s40
	s_and_saveexec_b32 s21, s20
	s_cbranch_execnz .LBB637_141
	s_branch .LBB637_142
.LBB637_109:                            ;   in Loop: Header=BB637_106 Depth=2
	s_mov_b32 s19, -1
	s_mov_b32 s20, 0
                                        ; implicit-def: $sgpr17
                                        ; implicit-def: $vgpr2
                                        ; implicit-def: $vgpr148
                                        ; implicit-def: $vgpr151
                                        ; implicit-def: $vgpr155
                                        ; implicit-def: $vgpr159
                                        ; implicit-def: $vgpr163
                                        ; implicit-def: $vgpr167
                                        ; implicit-def: $vgpr172
                                        ; implicit-def: $vgpr171
                                        ; implicit-def: $vgpr43
                                        ; implicit-def: $vgpr42
                                        ; implicit-def: $vgpr41
                                        ; implicit-def: $vgpr40
                                        ; implicit-def: $vgpr39
                                        ; implicit-def: $vgpr38
.LBB637_110:                            ;   in Loop: Header=BB637_106 Depth=2
	s_lshl_b64 s[18:19], s[34:35], 2
	s_waitcnt vmcnt(13)
	v_bfrev_b32_e32 v148, -2
	v_add_co_u32 v36, vcc_lo, v126, s18
	v_add_co_ci_u32_e32 v37, vcc_lo, s19, v127, vcc_lo
	v_bfrev_b32_e32 v2, -2
	s_mov_b32 s17, exec_lo
	v_cmpx_gt_u32_e64 s40, v108
	s_cbranch_execz .LBB637_112
; %bb.111:                              ;   in Loop: Header=BB637_106 Depth=2
	global_load_b32 v2, v[36:37], off
.LBB637_112:                            ;   in Loop: Header=BB637_106 Depth=2
	s_or_b32 exec_lo, exec_lo, s17
	s_delay_alu instid0(SALU_CYCLE_1)
	s_mov_b32 s17, exec_lo
	v_cmpx_gt_u32_e64 s40, v111
	s_cbranch_execz .LBB637_114
; %bb.113:                              ;   in Loop: Header=BB637_106 Depth=2
	global_load_b32 v148, v[36:37], off offset:128
.LBB637_114:                            ;   in Loop: Header=BB637_106 Depth=2
	s_or_b32 exec_lo, exec_lo, s17
	s_waitcnt vmcnt(11)
	v_bfrev_b32_e32 v155, -2
	v_bfrev_b32_e32 v151, -2
	s_mov_b32 s17, exec_lo
	v_cmpx_gt_u32_e64 s40, v112
	s_cbranch_execz .LBB637_116
; %bb.115:                              ;   in Loop: Header=BB637_106 Depth=2
	global_load_b32 v151, v[36:37], off offset:256
.LBB637_116:                            ;   in Loop: Header=BB637_106 Depth=2
	s_or_b32 exec_lo, exec_lo, s17
	s_delay_alu instid0(SALU_CYCLE_1)
	s_mov_b32 s17, exec_lo
	v_cmpx_gt_u32_e64 s40, v113
	s_cbranch_execz .LBB637_118
; %bb.117:                              ;   in Loop: Header=BB637_106 Depth=2
	global_load_b32 v155, v[36:37], off offset:384
.LBB637_118:                            ;   in Loop: Header=BB637_106 Depth=2
	s_or_b32 exec_lo, exec_lo, s17
	s_waitcnt vmcnt(9)
	v_bfrev_b32_e32 v163, -2
	v_bfrev_b32_e32 v159, -2
	s_mov_b32 s17, exec_lo
	v_cmpx_gt_u32_e64 s40, v114
	s_cbranch_execz .LBB637_120
; %bb.119:                              ;   in Loop: Header=BB637_106 Depth=2
	global_load_b32 v159, v[36:37], off offset:512
.LBB637_120:                            ;   in Loop: Header=BB637_106 Depth=2
	;; [unrolled: 18-line block ×6, first 2 shown]
	s_or_b32 exec_lo, exec_lo, s17
	s_delay_alu instid0(SALU_CYCLE_1)
	s_mov_b32 s17, exec_lo
	v_cmpx_gt_u32_e64 s40, v123
	s_cbranch_execz .LBB637_138
; %bb.137:                              ;   in Loop: Header=BB637_106 Depth=2
	global_load_b32 v39, v[36:37], off offset:1664
.LBB637_138:                            ;   in Loop: Header=BB637_106 Depth=2
	s_or_b32 exec_lo, exec_lo, s17
	s_waitcnt vmcnt(0)
	v_bfrev_b32_e32 v38, -2
	s_mov_b32 s17, exec_lo
	v_cmpx_gt_u32_e64 s40, v124
	s_cbranch_execz .LBB637_140
; %bb.139:                              ;   in Loop: Header=BB637_106 Depth=2
	global_load_b32 v38, v[36:37], off offset:1792
.LBB637_140:                            ;   in Loop: Header=BB637_106 Depth=2
	s_or_b32 exec_lo, exec_lo, s17
	v_cmp_gt_u32_e64 s20, s40, v125
	s_sub_i32 s17, s61, s34
	s_brev_b32 s21, -2
	s_mov_b64 s[18:19], s[34:35]
	v_dual_mov_b32 v36, s21 :: v_dual_mov_b32 v147, s40
	s_and_saveexec_b32 s21, s20
	s_cbranch_execz .LBB637_142
.LBB637_141:                            ;   in Loop: Header=BB637_106 Depth=2
	s_lshl_b64 s[18:19], s[18:19], 2
	v_mov_b32_e32 v147, s17
	v_add_co_u32 v36, vcc_lo, v129, s18
	v_add_co_ci_u32_e32 v37, vcc_lo, s19, v130, vcc_lo
	global_load_b32 v36, v[36:37], off
.LBB637_142:                            ;   in Loop: Header=BB637_106 Depth=2
	s_or_b32 exec_lo, exec_lo, s21
	s_waitcnt vmcnt(14)
	v_xor_b32_e32 v2, 0x80000000, v2
	ds_store_b32 v70, v3 offset:1056
	ds_store_2addr_b32 v71, v3, v3 offset0:1 offset1:2
	ds_store_2addr_b32 v71, v3, v3 offset0:3 offset1:4
	;; [unrolled: 1-line block ×4, first 2 shown]
	s_waitcnt vmcnt(0) lgkmcnt(0)
	s_barrier
	v_lshrrev_b32_e32 v37, s38, v2
	buffer_gl0_inv
	; wave barrier
	v_and_b32_e32 v150, s39, v37
	s_delay_alu instid0(VALU_DEP_1)
	v_and_b32_e32 v37, 1, v150
	v_lshlrev_b32_e32 v149, 30, v150
	v_lshlrev_b32_e32 v152, 29, v150
	;; [unrolled: 1-line block ×4, first 2 shown]
	v_add_co_u32 v37, s17, v37, -1
	s_delay_alu instid0(VALU_DEP_1)
	v_cndmask_b32_e64 v154, 0, 1, s17
	v_not_b32_e32 v160, v149
	v_cmp_gt_i32_e64 s17, 0, v149
	v_not_b32_e32 v149, v152
	v_lshlrev_b32_e32 v157, 26, v150
	v_cmp_ne_u32_e32 vcc_lo, 0, v154
	v_ashrrev_i32_e32 v160, 31, v160
	v_lshlrev_b32_e32 v158, 25, v150
	v_ashrrev_i32_e32 v149, 31, v149
	v_lshlrev_b32_e32 v154, 24, v150
	v_xor_b32_e32 v37, vcc_lo, v37
	v_cmp_gt_i32_e32 vcc_lo, 0, v152
	v_not_b32_e32 v152, v153
	v_xor_b32_e32 v160, s17, v160
	v_cmp_gt_i32_e64 s17, 0, v153
	v_and_b32_e32 v37, exec_lo, v37
	v_not_b32_e32 v153, v156
	v_ashrrev_i32_e32 v152, 31, v152
	v_xor_b32_e32 v149, vcc_lo, v149
	v_cmp_gt_i32_e32 vcc_lo, 0, v156
	v_and_b32_e32 v37, v37, v160
	v_not_b32_e32 v156, v157
	v_ashrrev_i32_e32 v153, 31, v153
	v_xor_b32_e32 v152, s17, v152
	v_cmp_gt_i32_e64 s17, 0, v157
	v_and_b32_e32 v37, v37, v149
	v_not_b32_e32 v149, v158
	v_ashrrev_i32_e32 v156, 31, v156
	v_xor_b32_e32 v153, vcc_lo, v153
	v_cmp_gt_i32_e32 vcc_lo, 0, v158
	v_and_b32_e32 v37, v37, v152
	v_not_b32_e32 v152, v154
	v_ashrrev_i32_e32 v149, 31, v149
	v_xor_b32_e32 v156, s17, v156
	v_cmp_gt_i32_e64 s17, 0, v154
	v_and_b32_e32 v37, v37, v153
	v_ashrrev_i32_e32 v152, 31, v152
	v_xor_b32_e32 v149, vcc_lo, v149
	v_mad_u32_u24 v150, v150, 9, v128
	s_delay_alu instid0(VALU_DEP_4) | instskip(NEXT) | instid1(VALU_DEP_4)
	v_and_b32_e32 v37, v37, v156
	v_xor_b32_e32 v152, s17, v152
	s_delay_alu instid0(VALU_DEP_3) | instskip(NEXT) | instid1(VALU_DEP_3)
	v_lshl_add_u32 v150, v150, 2, 0x420
	v_and_b32_e32 v37, v37, v149
	s_delay_alu instid0(VALU_DEP_1) | instskip(NEXT) | instid1(VALU_DEP_1)
	v_and_b32_e32 v37, v37, v152
	v_mbcnt_lo_u32_b32 v149, v37, 0
	v_cmp_ne_u32_e64 s17, 0, v37
	s_delay_alu instid0(VALU_DEP_2) | instskip(NEXT) | instid1(VALU_DEP_2)
	v_cmp_eq_u32_e32 vcc_lo, 0, v149
	s_and_b32 s18, s17, vcc_lo
	s_delay_alu instid0(SALU_CYCLE_1)
	s_and_saveexec_b32 s17, s18
	s_cbranch_execz .LBB637_144
; %bb.143:                              ;   in Loop: Header=BB637_106 Depth=2
	v_bcnt_u32_b32 v37, v37, 0
	ds_store_b32 v150, v37
.LBB637_144:                            ;   in Loop: Header=BB637_106 Depth=2
	s_or_b32 exec_lo, exec_lo, s17
	v_xor_b32_e32 v148, 0x80000000, v148
	; wave barrier
	s_delay_alu instid0(VALU_DEP_1) | instskip(NEXT) | instid1(VALU_DEP_1)
	v_lshrrev_b32_e32 v37, s38, v148
	v_and_b32_e32 v37, s39, v37
	s_delay_alu instid0(VALU_DEP_1)
	v_and_b32_e32 v152, 1, v37
	v_lshlrev_b32_e32 v153, 30, v37
	v_lshlrev_b32_e32 v154, 29, v37
	;; [unrolled: 1-line block ×4, first 2 shown]
	v_add_co_u32 v152, s17, v152, -1
	s_delay_alu instid0(VALU_DEP_1)
	v_cndmask_b32_e64 v157, 0, 1, s17
	v_not_b32_e32 v162, v153
	v_cmp_gt_i32_e64 s17, 0, v153
	v_not_b32_e32 v153, v154
	v_lshlrev_b32_e32 v160, 26, v37
	v_cmp_ne_u32_e32 vcc_lo, 0, v157
	v_ashrrev_i32_e32 v162, 31, v162
	v_lshlrev_b32_e32 v161, 25, v37
	v_ashrrev_i32_e32 v153, 31, v153
	v_lshlrev_b32_e32 v157, 24, v37
	v_xor_b32_e32 v152, vcc_lo, v152
	v_cmp_gt_i32_e32 vcc_lo, 0, v154
	v_not_b32_e32 v154, v156
	v_xor_b32_e32 v162, s17, v162
	v_cmp_gt_i32_e64 s17, 0, v156
	v_and_b32_e32 v152, exec_lo, v152
	v_not_b32_e32 v156, v158
	v_ashrrev_i32_e32 v154, 31, v154
	v_xor_b32_e32 v153, vcc_lo, v153
	v_cmp_gt_i32_e32 vcc_lo, 0, v158
	v_and_b32_e32 v152, v152, v162
	v_not_b32_e32 v158, v160
	v_ashrrev_i32_e32 v156, 31, v156
	v_xor_b32_e32 v154, s17, v154
	v_cmp_gt_i32_e64 s17, 0, v160
	v_and_b32_e32 v152, v152, v153
	v_not_b32_e32 v153, v161
	v_ashrrev_i32_e32 v158, 31, v158
	v_xor_b32_e32 v156, vcc_lo, v156
	v_cmp_gt_i32_e32 vcc_lo, 0, v161
	v_and_b32_e32 v152, v152, v154
	v_not_b32_e32 v154, v157
	v_ashrrev_i32_e32 v153, 31, v153
	v_xor_b32_e32 v158, s17, v158
	v_mul_u32_u24_e32 v37, 9, v37
	v_and_b32_e32 v152, v152, v156
	v_cmp_gt_i32_e64 s17, 0, v157
	v_ashrrev_i32_e32 v154, 31, v154
	v_xor_b32_e32 v153, vcc_lo, v153
	v_add_lshl_u32 v156, v37, v128, 2
	v_and_b32_e32 v152, v152, v158
	s_delay_alu instid0(VALU_DEP_4) | instskip(NEXT) | instid1(VALU_DEP_3)
	v_xor_b32_e32 v37, s17, v154
	v_add_nc_u32_e32 v154, 0x420, v156
	s_delay_alu instid0(VALU_DEP_3) | instskip(SKIP_2) | instid1(VALU_DEP_1)
	v_and_b32_e32 v153, v152, v153
	ds_load_b32 v152, v156 offset:1056
	; wave barrier
	v_and_b32_e32 v37, v153, v37
	v_mbcnt_lo_u32_b32 v153, v37, 0
	v_cmp_ne_u32_e64 s17, 0, v37
	s_delay_alu instid0(VALU_DEP_2) | instskip(NEXT) | instid1(VALU_DEP_2)
	v_cmp_eq_u32_e32 vcc_lo, 0, v153
	s_and_b32 s18, s17, vcc_lo
	s_delay_alu instid0(SALU_CYCLE_1)
	s_and_saveexec_b32 s17, s18
	s_cbranch_execz .LBB637_146
; %bb.145:                              ;   in Loop: Header=BB637_106 Depth=2
	s_waitcnt lgkmcnt(0)
	v_bcnt_u32_b32 v37, v37, v152
	ds_store_b32 v154, v37
.LBB637_146:                            ;   in Loop: Header=BB637_106 Depth=2
	s_or_b32 exec_lo, exec_lo, s17
	v_xor_b32_e32 v151, 0x80000000, v151
	; wave barrier
	s_delay_alu instid0(VALU_DEP_1) | instskip(NEXT) | instid1(VALU_DEP_1)
	v_lshrrev_b32_e32 v37, s38, v151
	v_and_b32_e32 v37, s39, v37
	s_delay_alu instid0(VALU_DEP_1)
	v_and_b32_e32 v156, 1, v37
	v_lshlrev_b32_e32 v157, 30, v37
	v_lshlrev_b32_e32 v158, 29, v37
	v_lshlrev_b32_e32 v160, 28, v37
	v_lshlrev_b32_e32 v162, 27, v37
	v_add_co_u32 v156, s17, v156, -1
	s_delay_alu instid0(VALU_DEP_1)
	v_cndmask_b32_e64 v161, 0, 1, s17
	v_not_b32_e32 v166, v157
	v_cmp_gt_i32_e64 s17, 0, v157
	v_not_b32_e32 v157, v158
	v_lshlrev_b32_e32 v164, 26, v37
	v_cmp_ne_u32_e32 vcc_lo, 0, v161
	v_ashrrev_i32_e32 v166, 31, v166
	v_lshlrev_b32_e32 v165, 25, v37
	v_ashrrev_i32_e32 v157, 31, v157
	v_lshlrev_b32_e32 v161, 24, v37
	v_xor_b32_e32 v156, vcc_lo, v156
	v_cmp_gt_i32_e32 vcc_lo, 0, v158
	v_not_b32_e32 v158, v160
	v_xor_b32_e32 v166, s17, v166
	v_cmp_gt_i32_e64 s17, 0, v160
	v_and_b32_e32 v156, exec_lo, v156
	v_not_b32_e32 v160, v162
	v_ashrrev_i32_e32 v158, 31, v158
	v_xor_b32_e32 v157, vcc_lo, v157
	v_cmp_gt_i32_e32 vcc_lo, 0, v162
	v_and_b32_e32 v156, v156, v166
	v_not_b32_e32 v162, v164
	v_ashrrev_i32_e32 v160, 31, v160
	v_xor_b32_e32 v158, s17, v158
	v_cmp_gt_i32_e64 s17, 0, v164
	v_and_b32_e32 v156, v156, v157
	v_not_b32_e32 v157, v165
	v_ashrrev_i32_e32 v162, 31, v162
	v_xor_b32_e32 v160, vcc_lo, v160
	v_cmp_gt_i32_e32 vcc_lo, 0, v165
	v_and_b32_e32 v156, v156, v158
	v_not_b32_e32 v158, v161
	v_ashrrev_i32_e32 v157, 31, v157
	v_xor_b32_e32 v162, s17, v162
	v_mul_u32_u24_e32 v37, 9, v37
	v_and_b32_e32 v156, v156, v160
	v_cmp_gt_i32_e64 s17, 0, v161
	v_ashrrev_i32_e32 v158, 31, v158
	v_xor_b32_e32 v157, vcc_lo, v157
	v_add_lshl_u32 v160, v37, v128, 2
	v_and_b32_e32 v156, v156, v162
	s_delay_alu instid0(VALU_DEP_4) | instskip(NEXT) | instid1(VALU_DEP_3)
	v_xor_b32_e32 v37, s17, v158
	v_add_nc_u32_e32 v158, 0x420, v160
	s_delay_alu instid0(VALU_DEP_3) | instskip(SKIP_2) | instid1(VALU_DEP_1)
	v_and_b32_e32 v157, v156, v157
	ds_load_b32 v156, v160 offset:1056
	; wave barrier
	v_and_b32_e32 v37, v157, v37
	v_mbcnt_lo_u32_b32 v157, v37, 0
	v_cmp_ne_u32_e64 s17, 0, v37
	s_delay_alu instid0(VALU_DEP_2) | instskip(NEXT) | instid1(VALU_DEP_2)
	v_cmp_eq_u32_e32 vcc_lo, 0, v157
	s_and_b32 s18, s17, vcc_lo
	s_delay_alu instid0(SALU_CYCLE_1)
	s_and_saveexec_b32 s17, s18
	s_cbranch_execz .LBB637_148
; %bb.147:                              ;   in Loop: Header=BB637_106 Depth=2
	s_waitcnt lgkmcnt(0)
	v_bcnt_u32_b32 v37, v37, v156
	ds_store_b32 v158, v37
.LBB637_148:                            ;   in Loop: Header=BB637_106 Depth=2
	s_or_b32 exec_lo, exec_lo, s17
	v_xor_b32_e32 v155, 0x80000000, v155
	; wave barrier
	s_delay_alu instid0(VALU_DEP_1) | instskip(NEXT) | instid1(VALU_DEP_1)
	v_lshrrev_b32_e32 v37, s38, v155
	v_and_b32_e32 v37, s39, v37
	s_delay_alu instid0(VALU_DEP_1)
	v_and_b32_e32 v160, 1, v37
	v_lshlrev_b32_e32 v161, 30, v37
	v_lshlrev_b32_e32 v162, 29, v37
	v_lshlrev_b32_e32 v164, 28, v37
	v_lshlrev_b32_e32 v166, 27, v37
	v_add_co_u32 v160, s17, v160, -1
	s_delay_alu instid0(VALU_DEP_1)
	v_cndmask_b32_e64 v165, 0, 1, s17
	v_not_b32_e32 v170, v161
	v_cmp_gt_i32_e64 s17, 0, v161
	v_not_b32_e32 v161, v162
	v_lshlrev_b32_e32 v168, 26, v37
	v_cmp_ne_u32_e32 vcc_lo, 0, v165
	v_ashrrev_i32_e32 v170, 31, v170
	v_lshlrev_b32_e32 v169, 25, v37
	v_ashrrev_i32_e32 v161, 31, v161
	v_lshlrev_b32_e32 v165, 24, v37
	v_xor_b32_e32 v160, vcc_lo, v160
	v_cmp_gt_i32_e32 vcc_lo, 0, v162
	v_not_b32_e32 v162, v164
	v_xor_b32_e32 v170, s17, v170
	v_cmp_gt_i32_e64 s17, 0, v164
	v_and_b32_e32 v160, exec_lo, v160
	v_not_b32_e32 v164, v166
	v_ashrrev_i32_e32 v162, 31, v162
	v_xor_b32_e32 v161, vcc_lo, v161
	v_cmp_gt_i32_e32 vcc_lo, 0, v166
	v_and_b32_e32 v160, v160, v170
	v_not_b32_e32 v166, v168
	v_ashrrev_i32_e32 v164, 31, v164
	v_xor_b32_e32 v162, s17, v162
	v_cmp_gt_i32_e64 s17, 0, v168
	v_and_b32_e32 v160, v160, v161
	v_not_b32_e32 v161, v169
	v_ashrrev_i32_e32 v166, 31, v166
	v_xor_b32_e32 v164, vcc_lo, v164
	v_cmp_gt_i32_e32 vcc_lo, 0, v169
	v_and_b32_e32 v160, v160, v162
	v_not_b32_e32 v162, v165
	v_ashrrev_i32_e32 v161, 31, v161
	v_xor_b32_e32 v166, s17, v166
	v_mul_u32_u24_e32 v37, 9, v37
	v_and_b32_e32 v160, v160, v164
	v_cmp_gt_i32_e64 s17, 0, v165
	v_ashrrev_i32_e32 v162, 31, v162
	v_xor_b32_e32 v161, vcc_lo, v161
	v_add_lshl_u32 v164, v37, v128, 2
	v_and_b32_e32 v160, v160, v166
	s_delay_alu instid0(VALU_DEP_4) | instskip(NEXT) | instid1(VALU_DEP_3)
	v_xor_b32_e32 v37, s17, v162
	v_add_nc_u32_e32 v162, 0x420, v164
	s_delay_alu instid0(VALU_DEP_3) | instskip(SKIP_2) | instid1(VALU_DEP_1)
	v_and_b32_e32 v161, v160, v161
	ds_load_b32 v160, v164 offset:1056
	; wave barrier
	v_and_b32_e32 v37, v161, v37
	v_mbcnt_lo_u32_b32 v161, v37, 0
	v_cmp_ne_u32_e64 s17, 0, v37
	s_delay_alu instid0(VALU_DEP_2) | instskip(NEXT) | instid1(VALU_DEP_2)
	v_cmp_eq_u32_e32 vcc_lo, 0, v161
	s_and_b32 s18, s17, vcc_lo
	s_delay_alu instid0(SALU_CYCLE_1)
	s_and_saveexec_b32 s17, s18
	s_cbranch_execz .LBB637_150
; %bb.149:                              ;   in Loop: Header=BB637_106 Depth=2
	s_waitcnt lgkmcnt(0)
	v_bcnt_u32_b32 v37, v37, v160
	ds_store_b32 v162, v37
.LBB637_150:                            ;   in Loop: Header=BB637_106 Depth=2
	s_or_b32 exec_lo, exec_lo, s17
	v_xor_b32_e32 v159, 0x80000000, v159
	; wave barrier
	s_delay_alu instid0(VALU_DEP_1) | instskip(NEXT) | instid1(VALU_DEP_1)
	v_lshrrev_b32_e32 v37, s38, v159
	v_and_b32_e32 v37, s39, v37
	s_delay_alu instid0(VALU_DEP_1)
	v_and_b32_e32 v164, 1, v37
	v_lshlrev_b32_e32 v165, 30, v37
	v_lshlrev_b32_e32 v166, 29, v37
	;; [unrolled: 1-line block ×4, first 2 shown]
	v_add_co_u32 v164, s17, v164, -1
	s_delay_alu instid0(VALU_DEP_1)
	v_cndmask_b32_e64 v169, 0, 1, s17
	v_not_b32_e32 v175, v165
	v_cmp_gt_i32_e64 s17, 0, v165
	v_not_b32_e32 v165, v166
	v_lshlrev_b32_e32 v173, 26, v37
	v_cmp_ne_u32_e32 vcc_lo, 0, v169
	v_ashrrev_i32_e32 v175, 31, v175
	v_lshlrev_b32_e32 v174, 25, v37
	v_ashrrev_i32_e32 v165, 31, v165
	v_lshlrev_b32_e32 v169, 24, v37
	v_xor_b32_e32 v164, vcc_lo, v164
	v_cmp_gt_i32_e32 vcc_lo, 0, v166
	v_not_b32_e32 v166, v168
	v_xor_b32_e32 v175, s17, v175
	v_cmp_gt_i32_e64 s17, 0, v168
	v_and_b32_e32 v164, exec_lo, v164
	v_not_b32_e32 v168, v170
	v_ashrrev_i32_e32 v166, 31, v166
	v_xor_b32_e32 v165, vcc_lo, v165
	v_cmp_gt_i32_e32 vcc_lo, 0, v170
	v_and_b32_e32 v164, v164, v175
	v_not_b32_e32 v170, v173
	v_ashrrev_i32_e32 v168, 31, v168
	v_xor_b32_e32 v166, s17, v166
	v_cmp_gt_i32_e64 s17, 0, v173
	v_and_b32_e32 v164, v164, v165
	v_not_b32_e32 v165, v174
	v_ashrrev_i32_e32 v170, 31, v170
	v_xor_b32_e32 v168, vcc_lo, v168
	v_cmp_gt_i32_e32 vcc_lo, 0, v174
	v_and_b32_e32 v164, v164, v166
	v_not_b32_e32 v166, v169
	v_ashrrev_i32_e32 v165, 31, v165
	v_xor_b32_e32 v170, s17, v170
	v_mul_u32_u24_e32 v37, 9, v37
	v_and_b32_e32 v164, v164, v168
	v_cmp_gt_i32_e64 s17, 0, v169
	v_ashrrev_i32_e32 v166, 31, v166
	v_xor_b32_e32 v165, vcc_lo, v165
	v_add_lshl_u32 v168, v37, v128, 2
	v_and_b32_e32 v164, v164, v170
	s_delay_alu instid0(VALU_DEP_4) | instskip(NEXT) | instid1(VALU_DEP_3)
	v_xor_b32_e32 v37, s17, v166
	v_add_nc_u32_e32 v166, 0x420, v168
	s_delay_alu instid0(VALU_DEP_3) | instskip(SKIP_2) | instid1(VALU_DEP_1)
	v_and_b32_e32 v165, v164, v165
	ds_load_b32 v164, v168 offset:1056
	; wave barrier
	v_and_b32_e32 v37, v165, v37
	v_mbcnt_lo_u32_b32 v165, v37, 0
	v_cmp_ne_u32_e64 s17, 0, v37
	s_delay_alu instid0(VALU_DEP_2) | instskip(NEXT) | instid1(VALU_DEP_2)
	v_cmp_eq_u32_e32 vcc_lo, 0, v165
	s_and_b32 s18, s17, vcc_lo
	s_delay_alu instid0(SALU_CYCLE_1)
	s_and_saveexec_b32 s17, s18
	s_cbranch_execz .LBB637_152
; %bb.151:                              ;   in Loop: Header=BB637_106 Depth=2
	s_waitcnt lgkmcnt(0)
	v_bcnt_u32_b32 v37, v37, v164
	ds_store_b32 v166, v37
.LBB637_152:                            ;   in Loop: Header=BB637_106 Depth=2
	s_or_b32 exec_lo, exec_lo, s17
	v_xor_b32_e32 v163, 0x80000000, v163
	; wave barrier
	s_delay_alu instid0(VALU_DEP_1) | instskip(NEXT) | instid1(VALU_DEP_1)
	v_lshrrev_b32_e32 v37, s38, v163
	v_and_b32_e32 v37, s39, v37
	s_delay_alu instid0(VALU_DEP_1)
	v_and_b32_e32 v168, 1, v37
	v_lshlrev_b32_e32 v169, 30, v37
	v_lshlrev_b32_e32 v170, 29, v37
	;; [unrolled: 1-line block ×4, first 2 shown]
	v_add_co_u32 v168, s17, v168, -1
	s_delay_alu instid0(VALU_DEP_1)
	v_cndmask_b32_e64 v174, 0, 1, s17
	v_not_b32_e32 v178, v169
	v_cmp_gt_i32_e64 s17, 0, v169
	v_not_b32_e32 v169, v170
	v_lshlrev_b32_e32 v176, 26, v37
	v_cmp_ne_u32_e32 vcc_lo, 0, v174
	v_ashrrev_i32_e32 v178, 31, v178
	v_lshlrev_b32_e32 v177, 25, v37
	v_ashrrev_i32_e32 v169, 31, v169
	v_lshlrev_b32_e32 v174, 24, v37
	v_xor_b32_e32 v168, vcc_lo, v168
	v_cmp_gt_i32_e32 vcc_lo, 0, v170
	v_not_b32_e32 v170, v173
	v_xor_b32_e32 v178, s17, v178
	v_cmp_gt_i32_e64 s17, 0, v173
	v_and_b32_e32 v168, exec_lo, v168
	v_not_b32_e32 v173, v175
	v_ashrrev_i32_e32 v170, 31, v170
	v_xor_b32_e32 v169, vcc_lo, v169
	v_cmp_gt_i32_e32 vcc_lo, 0, v175
	v_and_b32_e32 v168, v168, v178
	v_not_b32_e32 v175, v176
	v_ashrrev_i32_e32 v173, 31, v173
	v_xor_b32_e32 v170, s17, v170
	v_cmp_gt_i32_e64 s17, 0, v176
	v_and_b32_e32 v168, v168, v169
	v_not_b32_e32 v169, v177
	v_ashrrev_i32_e32 v175, 31, v175
	v_xor_b32_e32 v173, vcc_lo, v173
	v_cmp_gt_i32_e32 vcc_lo, 0, v177
	v_and_b32_e32 v168, v168, v170
	v_not_b32_e32 v170, v174
	v_ashrrev_i32_e32 v169, 31, v169
	v_xor_b32_e32 v175, s17, v175
	v_mul_u32_u24_e32 v37, 9, v37
	v_and_b32_e32 v168, v168, v173
	v_cmp_gt_i32_e64 s17, 0, v174
	v_ashrrev_i32_e32 v170, 31, v170
	v_xor_b32_e32 v169, vcc_lo, v169
	v_add_lshl_u32 v173, v37, v128, 2
	v_and_b32_e32 v168, v168, v175
	s_delay_alu instid0(VALU_DEP_4) | instskip(NEXT) | instid1(VALU_DEP_3)
	v_xor_b32_e32 v37, s17, v170
	v_add_nc_u32_e32 v170, 0x420, v173
	s_delay_alu instid0(VALU_DEP_3) | instskip(SKIP_2) | instid1(VALU_DEP_1)
	v_and_b32_e32 v169, v168, v169
	ds_load_b32 v168, v173 offset:1056
	; wave barrier
	v_and_b32_e32 v37, v169, v37
	v_mbcnt_lo_u32_b32 v169, v37, 0
	v_cmp_ne_u32_e64 s17, 0, v37
	s_delay_alu instid0(VALU_DEP_2) | instskip(NEXT) | instid1(VALU_DEP_2)
	v_cmp_eq_u32_e32 vcc_lo, 0, v169
	s_and_b32 s18, s17, vcc_lo
	s_delay_alu instid0(SALU_CYCLE_1)
	s_and_saveexec_b32 s17, s18
	s_cbranch_execz .LBB637_154
; %bb.153:                              ;   in Loop: Header=BB637_106 Depth=2
	s_waitcnt lgkmcnt(0)
	v_bcnt_u32_b32 v37, v37, v168
	ds_store_b32 v170, v37
.LBB637_154:                            ;   in Loop: Header=BB637_106 Depth=2
	s_or_b32 exec_lo, exec_lo, s17
	v_xor_b32_e32 v167, 0x80000000, v167
	; wave barrier
	s_delay_alu instid0(VALU_DEP_1) | instskip(NEXT) | instid1(VALU_DEP_1)
	v_lshrrev_b32_e32 v37, s38, v167
	v_and_b32_e32 v37, s39, v37
	s_delay_alu instid0(VALU_DEP_1)
	v_and_b32_e32 v173, 1, v37
	v_lshlrev_b32_e32 v174, 30, v37
	v_lshlrev_b32_e32 v175, 29, v37
	;; [unrolled: 1-line block ×4, first 2 shown]
	v_add_co_u32 v173, s17, v173, -1
	s_delay_alu instid0(VALU_DEP_1)
	v_cndmask_b32_e64 v177, 0, 1, s17
	v_not_b32_e32 v181, v174
	v_cmp_gt_i32_e64 s17, 0, v174
	v_not_b32_e32 v174, v175
	v_lshlrev_b32_e32 v179, 26, v37
	v_cmp_ne_u32_e32 vcc_lo, 0, v177
	v_ashrrev_i32_e32 v181, 31, v181
	v_lshlrev_b32_e32 v180, 25, v37
	v_ashrrev_i32_e32 v174, 31, v174
	v_lshlrev_b32_e32 v177, 24, v37
	v_xor_b32_e32 v173, vcc_lo, v173
	v_cmp_gt_i32_e32 vcc_lo, 0, v175
	v_not_b32_e32 v175, v176
	v_xor_b32_e32 v181, s17, v181
	v_cmp_gt_i32_e64 s17, 0, v176
	v_and_b32_e32 v173, exec_lo, v173
	v_not_b32_e32 v176, v178
	v_ashrrev_i32_e32 v175, 31, v175
	v_xor_b32_e32 v174, vcc_lo, v174
	v_cmp_gt_i32_e32 vcc_lo, 0, v178
	v_and_b32_e32 v173, v173, v181
	v_not_b32_e32 v178, v179
	v_ashrrev_i32_e32 v176, 31, v176
	v_xor_b32_e32 v175, s17, v175
	v_cmp_gt_i32_e64 s17, 0, v179
	v_and_b32_e32 v173, v173, v174
	v_not_b32_e32 v174, v180
	v_ashrrev_i32_e32 v178, 31, v178
	v_xor_b32_e32 v176, vcc_lo, v176
	v_cmp_gt_i32_e32 vcc_lo, 0, v180
	v_and_b32_e32 v173, v173, v175
	v_not_b32_e32 v175, v177
	v_ashrrev_i32_e32 v174, 31, v174
	v_xor_b32_e32 v178, s17, v178
	v_mul_u32_u24_e32 v37, 9, v37
	v_and_b32_e32 v173, v173, v176
	v_cmp_gt_i32_e64 s17, 0, v177
	v_ashrrev_i32_e32 v175, 31, v175
	v_xor_b32_e32 v174, vcc_lo, v174
	v_add_lshl_u32 v176, v37, v128, 2
	v_and_b32_e32 v173, v173, v178
	s_delay_alu instid0(VALU_DEP_4) | instskip(NEXT) | instid1(VALU_DEP_3)
	v_xor_b32_e32 v37, s17, v175
	v_add_nc_u32_e32 v175, 0x420, v176
	s_delay_alu instid0(VALU_DEP_3) | instskip(SKIP_2) | instid1(VALU_DEP_1)
	v_and_b32_e32 v174, v173, v174
	ds_load_b32 v173, v176 offset:1056
	; wave barrier
	v_and_b32_e32 v37, v174, v37
	v_mbcnt_lo_u32_b32 v174, v37, 0
	v_cmp_ne_u32_e64 s17, 0, v37
	s_delay_alu instid0(VALU_DEP_2) | instskip(NEXT) | instid1(VALU_DEP_2)
	v_cmp_eq_u32_e32 vcc_lo, 0, v174
	s_and_b32 s18, s17, vcc_lo
	s_delay_alu instid0(SALU_CYCLE_1)
	s_and_saveexec_b32 s17, s18
	s_cbranch_execz .LBB637_156
; %bb.155:                              ;   in Loop: Header=BB637_106 Depth=2
	s_waitcnt lgkmcnt(0)
	v_bcnt_u32_b32 v37, v37, v173
	ds_store_b32 v175, v37
.LBB637_156:                            ;   in Loop: Header=BB637_106 Depth=2
	s_or_b32 exec_lo, exec_lo, s17
	v_xor_b32_e32 v172, 0x80000000, v172
	; wave barrier
	s_delay_alu instid0(VALU_DEP_1) | instskip(NEXT) | instid1(VALU_DEP_1)
	v_lshrrev_b32_e32 v37, s38, v172
	v_and_b32_e32 v37, s39, v37
	s_delay_alu instid0(VALU_DEP_1)
	v_and_b32_e32 v176, 1, v37
	v_lshlrev_b32_e32 v177, 30, v37
	v_lshlrev_b32_e32 v178, 29, v37
	;; [unrolled: 1-line block ×4, first 2 shown]
	v_add_co_u32 v176, s17, v176, -1
	s_delay_alu instid0(VALU_DEP_1)
	v_cndmask_b32_e64 v180, 0, 1, s17
	v_not_b32_e32 v184, v177
	v_cmp_gt_i32_e64 s17, 0, v177
	v_not_b32_e32 v177, v178
	v_lshlrev_b32_e32 v182, 26, v37
	v_cmp_ne_u32_e32 vcc_lo, 0, v180
	v_ashrrev_i32_e32 v184, 31, v184
	v_lshlrev_b32_e32 v183, 25, v37
	v_ashrrev_i32_e32 v177, 31, v177
	v_lshlrev_b32_e32 v180, 24, v37
	v_xor_b32_e32 v176, vcc_lo, v176
	v_cmp_gt_i32_e32 vcc_lo, 0, v178
	v_not_b32_e32 v178, v179
	v_xor_b32_e32 v184, s17, v184
	v_cmp_gt_i32_e64 s17, 0, v179
	v_and_b32_e32 v176, exec_lo, v176
	v_not_b32_e32 v179, v181
	v_ashrrev_i32_e32 v178, 31, v178
	v_xor_b32_e32 v177, vcc_lo, v177
	v_cmp_gt_i32_e32 vcc_lo, 0, v181
	v_and_b32_e32 v176, v176, v184
	v_not_b32_e32 v181, v182
	v_ashrrev_i32_e32 v179, 31, v179
	v_xor_b32_e32 v178, s17, v178
	v_cmp_gt_i32_e64 s17, 0, v182
	v_and_b32_e32 v176, v176, v177
	v_not_b32_e32 v177, v183
	v_ashrrev_i32_e32 v181, 31, v181
	v_xor_b32_e32 v179, vcc_lo, v179
	v_cmp_gt_i32_e32 vcc_lo, 0, v183
	v_and_b32_e32 v176, v176, v178
	v_not_b32_e32 v178, v180
	v_ashrrev_i32_e32 v177, 31, v177
	v_xor_b32_e32 v181, s17, v181
	v_mul_u32_u24_e32 v37, 9, v37
	v_and_b32_e32 v176, v176, v179
	v_cmp_gt_i32_e64 s17, 0, v180
	v_ashrrev_i32_e32 v178, 31, v178
	v_xor_b32_e32 v177, vcc_lo, v177
	v_add_lshl_u32 v179, v37, v128, 2
	v_and_b32_e32 v176, v176, v181
	s_delay_alu instid0(VALU_DEP_4) | instskip(NEXT) | instid1(VALU_DEP_3)
	v_xor_b32_e32 v37, s17, v178
	v_add_nc_u32_e32 v178, 0x420, v179
	s_delay_alu instid0(VALU_DEP_3) | instskip(SKIP_2) | instid1(VALU_DEP_1)
	v_and_b32_e32 v177, v176, v177
	ds_load_b32 v176, v179 offset:1056
	; wave barrier
	v_and_b32_e32 v37, v177, v37
	v_mbcnt_lo_u32_b32 v177, v37, 0
	v_cmp_ne_u32_e64 s17, 0, v37
	s_delay_alu instid0(VALU_DEP_2) | instskip(NEXT) | instid1(VALU_DEP_2)
	v_cmp_eq_u32_e32 vcc_lo, 0, v177
	s_and_b32 s18, s17, vcc_lo
	s_delay_alu instid0(SALU_CYCLE_1)
	s_and_saveexec_b32 s17, s18
	s_cbranch_execz .LBB637_158
; %bb.157:                              ;   in Loop: Header=BB637_106 Depth=2
	s_waitcnt lgkmcnt(0)
	v_bcnt_u32_b32 v37, v37, v176
	ds_store_b32 v178, v37
.LBB637_158:                            ;   in Loop: Header=BB637_106 Depth=2
	s_or_b32 exec_lo, exec_lo, s17
	v_xor_b32_e32 v171, 0x80000000, v171
	; wave barrier
	s_delay_alu instid0(VALU_DEP_1) | instskip(NEXT) | instid1(VALU_DEP_1)
	v_lshrrev_b32_e32 v37, s38, v171
	v_and_b32_e32 v37, s39, v37
	s_delay_alu instid0(VALU_DEP_1)
	v_and_b32_e32 v179, 1, v37
	v_lshlrev_b32_e32 v180, 30, v37
	v_lshlrev_b32_e32 v181, 29, v37
	;; [unrolled: 1-line block ×4, first 2 shown]
	v_add_co_u32 v179, s17, v179, -1
	s_delay_alu instid0(VALU_DEP_1)
	v_cndmask_b32_e64 v183, 0, 1, s17
	v_not_b32_e32 v187, v180
	v_cmp_gt_i32_e64 s17, 0, v180
	v_not_b32_e32 v180, v181
	v_lshlrev_b32_e32 v185, 26, v37
	v_cmp_ne_u32_e32 vcc_lo, 0, v183
	v_ashrrev_i32_e32 v187, 31, v187
	v_lshlrev_b32_e32 v186, 25, v37
	v_ashrrev_i32_e32 v180, 31, v180
	v_lshlrev_b32_e32 v183, 24, v37
	v_xor_b32_e32 v179, vcc_lo, v179
	v_cmp_gt_i32_e32 vcc_lo, 0, v181
	v_not_b32_e32 v181, v182
	v_xor_b32_e32 v187, s17, v187
	v_cmp_gt_i32_e64 s17, 0, v182
	v_and_b32_e32 v179, exec_lo, v179
	v_not_b32_e32 v182, v184
	v_ashrrev_i32_e32 v181, 31, v181
	v_xor_b32_e32 v180, vcc_lo, v180
	v_cmp_gt_i32_e32 vcc_lo, 0, v184
	v_and_b32_e32 v179, v179, v187
	v_not_b32_e32 v184, v185
	v_ashrrev_i32_e32 v182, 31, v182
	v_xor_b32_e32 v181, s17, v181
	v_cmp_gt_i32_e64 s17, 0, v185
	v_and_b32_e32 v179, v179, v180
	v_not_b32_e32 v180, v186
	v_ashrrev_i32_e32 v184, 31, v184
	v_xor_b32_e32 v182, vcc_lo, v182
	v_cmp_gt_i32_e32 vcc_lo, 0, v186
	v_and_b32_e32 v179, v179, v181
	v_not_b32_e32 v181, v183
	v_ashrrev_i32_e32 v180, 31, v180
	v_xor_b32_e32 v184, s17, v184
	v_mul_u32_u24_e32 v37, 9, v37
	v_and_b32_e32 v179, v179, v182
	v_cmp_gt_i32_e64 s17, 0, v183
	v_ashrrev_i32_e32 v181, 31, v181
	v_xor_b32_e32 v180, vcc_lo, v180
	v_add_lshl_u32 v182, v37, v128, 2
	v_and_b32_e32 v179, v179, v184
	s_delay_alu instid0(VALU_DEP_4) | instskip(NEXT) | instid1(VALU_DEP_2)
	v_xor_b32_e32 v37, s17, v181
	v_and_b32_e32 v179, v179, v180
	ds_load_b32 v180, v182 offset:1056
	v_add_nc_u32_e32 v182, 0x420, v182
	; wave barrier
	v_and_b32_e32 v37, v179, v37
	s_delay_alu instid0(VALU_DEP_1) | instskip(SKIP_1) | instid1(VALU_DEP_2)
	v_mbcnt_lo_u32_b32 v181, v37, 0
	v_cmp_ne_u32_e64 s17, 0, v37
	v_cmp_eq_u32_e32 vcc_lo, 0, v181
	s_delay_alu instid0(VALU_DEP_2) | instskip(NEXT) | instid1(SALU_CYCLE_1)
	s_and_b32 s18, s17, vcc_lo
	s_and_saveexec_b32 s17, s18
	s_cbranch_execz .LBB637_160
; %bb.159:                              ;   in Loop: Header=BB637_106 Depth=2
	s_waitcnt lgkmcnt(0)
	v_bcnt_u32_b32 v37, v37, v180
	ds_store_b32 v182, v37
.LBB637_160:                            ;   in Loop: Header=BB637_106 Depth=2
	s_or_b32 exec_lo, exec_lo, s17
	v_xor_b32_e32 v179, 0x80000000, v43
	; wave barrier
	s_delay_alu instid0(VALU_DEP_1) | instskip(NEXT) | instid1(VALU_DEP_1)
	v_lshrrev_b32_e32 v37, s38, v179
	v_and_b32_e32 v37, s39, v37
	s_delay_alu instid0(VALU_DEP_1)
	v_and_b32_e32 v43, 1, v37
	v_lshlrev_b32_e32 v183, 30, v37
	v_lshlrev_b32_e32 v184, 29, v37
	;; [unrolled: 1-line block ×4, first 2 shown]
	v_add_co_u32 v43, s17, v43, -1
	s_delay_alu instid0(VALU_DEP_1)
	v_cndmask_b32_e64 v186, 0, 1, s17
	v_not_b32_e32 v190, v183
	v_cmp_gt_i32_e64 s17, 0, v183
	v_not_b32_e32 v183, v184
	v_lshlrev_b32_e32 v188, 26, v37
	v_cmp_ne_u32_e32 vcc_lo, 0, v186
	v_ashrrev_i32_e32 v190, 31, v190
	v_lshlrev_b32_e32 v189, 25, v37
	v_ashrrev_i32_e32 v183, 31, v183
	v_lshlrev_b32_e32 v186, 24, v37
	v_xor_b32_e32 v43, vcc_lo, v43
	v_cmp_gt_i32_e32 vcc_lo, 0, v184
	v_not_b32_e32 v184, v185
	v_xor_b32_e32 v190, s17, v190
	v_cmp_gt_i32_e64 s17, 0, v185
	v_and_b32_e32 v43, exec_lo, v43
	v_not_b32_e32 v185, v187
	v_ashrrev_i32_e32 v184, 31, v184
	v_xor_b32_e32 v183, vcc_lo, v183
	v_cmp_gt_i32_e32 vcc_lo, 0, v187
	v_and_b32_e32 v43, v43, v190
	v_not_b32_e32 v187, v188
	v_ashrrev_i32_e32 v185, 31, v185
	v_xor_b32_e32 v184, s17, v184
	v_cmp_gt_i32_e64 s17, 0, v188
	v_and_b32_e32 v43, v43, v183
	v_not_b32_e32 v183, v189
	v_ashrrev_i32_e32 v187, 31, v187
	v_xor_b32_e32 v185, vcc_lo, v185
	v_cmp_gt_i32_e32 vcc_lo, 0, v189
	v_and_b32_e32 v43, v43, v184
	v_not_b32_e32 v184, v186
	v_ashrrev_i32_e32 v183, 31, v183
	v_xor_b32_e32 v187, s17, v187
	v_mul_u32_u24_e32 v37, 9, v37
	v_and_b32_e32 v43, v43, v185
	v_cmp_gt_i32_e64 s17, 0, v186
	v_ashrrev_i32_e32 v184, 31, v184
	v_xor_b32_e32 v183, vcc_lo, v183
	v_add_lshl_u32 v186, v37, v128, 2
	v_and_b32_e32 v43, v43, v187
	s_delay_alu instid0(VALU_DEP_4) | instskip(SKIP_3) | instid1(VALU_DEP_2)
	v_xor_b32_e32 v37, s17, v184
	ds_load_b32 v184, v186 offset:1056
	v_and_b32_e32 v43, v43, v183
	v_add_nc_u32_e32 v186, 0x420, v186
	; wave barrier
	v_and_b32_e32 v37, v43, v37
	s_delay_alu instid0(VALU_DEP_1) | instskip(SKIP_1) | instid1(VALU_DEP_2)
	v_mbcnt_lo_u32_b32 v185, v37, 0
	v_cmp_ne_u32_e64 s17, 0, v37
	v_cmp_eq_u32_e32 vcc_lo, 0, v185
	s_delay_alu instid0(VALU_DEP_2) | instskip(NEXT) | instid1(SALU_CYCLE_1)
	s_and_b32 s18, s17, vcc_lo
	s_and_saveexec_b32 s17, s18
	s_cbranch_execz .LBB637_162
; %bb.161:                              ;   in Loop: Header=BB637_106 Depth=2
	s_waitcnt lgkmcnt(0)
	v_bcnt_u32_b32 v37, v37, v184
	ds_store_b32 v186, v37
.LBB637_162:                            ;   in Loop: Header=BB637_106 Depth=2
	s_or_b32 exec_lo, exec_lo, s17
	v_xor_b32_e32 v183, 0x80000000, v42
	; wave barrier
	s_delay_alu instid0(VALU_DEP_1) | instskip(NEXT) | instid1(VALU_DEP_1)
	v_lshrrev_b32_e32 v37, s38, v183
	v_and_b32_e32 v37, s39, v37
	s_delay_alu instid0(VALU_DEP_1)
	v_and_b32_e32 v42, 1, v37
	v_lshlrev_b32_e32 v43, 30, v37
	v_lshlrev_b32_e32 v187, 29, v37
	;; [unrolled: 1-line block ×4, first 2 shown]
	v_add_co_u32 v42, s17, v42, -1
	s_delay_alu instid0(VALU_DEP_1)
	v_cndmask_b32_e64 v189, 0, 1, s17
	v_not_b32_e32 v193, v43
	v_cmp_gt_i32_e64 s17, 0, v43
	v_not_b32_e32 v43, v187
	v_lshlrev_b32_e32 v191, 26, v37
	v_cmp_ne_u32_e32 vcc_lo, 0, v189
	v_ashrrev_i32_e32 v193, 31, v193
	v_lshlrev_b32_e32 v192, 25, v37
	v_ashrrev_i32_e32 v43, 31, v43
	v_lshlrev_b32_e32 v189, 24, v37
	v_xor_b32_e32 v42, vcc_lo, v42
	v_cmp_gt_i32_e32 vcc_lo, 0, v187
	v_not_b32_e32 v187, v188
	v_xor_b32_e32 v193, s17, v193
	v_cmp_gt_i32_e64 s17, 0, v188
	v_and_b32_e32 v42, exec_lo, v42
	v_not_b32_e32 v188, v190
	v_ashrrev_i32_e32 v187, 31, v187
	v_xor_b32_e32 v43, vcc_lo, v43
	v_cmp_gt_i32_e32 vcc_lo, 0, v190
	v_and_b32_e32 v42, v42, v193
	v_not_b32_e32 v190, v191
	v_ashrrev_i32_e32 v188, 31, v188
	v_xor_b32_e32 v187, s17, v187
	v_cmp_gt_i32_e64 s17, 0, v191
	v_and_b32_e32 v42, v42, v43
	v_not_b32_e32 v43, v192
	v_ashrrev_i32_e32 v190, 31, v190
	v_xor_b32_e32 v188, vcc_lo, v188
	v_cmp_gt_i32_e32 vcc_lo, 0, v192
	v_and_b32_e32 v42, v42, v187
	v_not_b32_e32 v187, v189
	v_ashrrev_i32_e32 v43, 31, v43
	v_xor_b32_e32 v190, s17, v190
	v_mul_u32_u24_e32 v37, 9, v37
	v_and_b32_e32 v42, v42, v188
	v_cmp_gt_i32_e64 s17, 0, v189
	v_ashrrev_i32_e32 v187, 31, v187
	v_xor_b32_e32 v43, vcc_lo, v43
	s_delay_alu instid0(VALU_DEP_4) | instskip(SKIP_1) | instid1(VALU_DEP_4)
	v_and_b32_e32 v42, v42, v190
	v_add_lshl_u32 v190, v37, v128, 2
	v_xor_b32_e32 v37, s17, v187
	s_delay_alu instid0(VALU_DEP_3) | instskip(SKIP_3) | instid1(VALU_DEP_1)
	v_and_b32_e32 v42, v42, v43
	ds_load_b32 v188, v190 offset:1056
	v_add_nc_u32_e32 v190, 0x420, v190
	; wave barrier
	v_and_b32_e32 v37, v42, v37
	v_mbcnt_lo_u32_b32 v189, v37, 0
	v_cmp_ne_u32_e64 s17, 0, v37
	s_delay_alu instid0(VALU_DEP_2) | instskip(NEXT) | instid1(VALU_DEP_2)
	v_cmp_eq_u32_e32 vcc_lo, 0, v189
	s_and_b32 s18, s17, vcc_lo
	s_delay_alu instid0(SALU_CYCLE_1)
	s_and_saveexec_b32 s17, s18
	s_cbranch_execz .LBB637_164
; %bb.163:                              ;   in Loop: Header=BB637_106 Depth=2
	s_waitcnt lgkmcnt(0)
	v_bcnt_u32_b32 v37, v37, v188
	ds_store_b32 v190, v37
.LBB637_164:                            ;   in Loop: Header=BB637_106 Depth=2
	s_or_b32 exec_lo, exec_lo, s17
	v_xor_b32_e32 v187, 0x80000000, v41
	; wave barrier
	s_delay_alu instid0(VALU_DEP_1) | instskip(NEXT) | instid1(VALU_DEP_1)
	v_lshrrev_b32_e32 v37, s38, v187
	v_and_b32_e32 v37, s39, v37
	s_delay_alu instid0(VALU_DEP_1)
	v_and_b32_e32 v41, 1, v37
	v_lshlrev_b32_e32 v42, 30, v37
	v_lshlrev_b32_e32 v43, 29, v37
	;; [unrolled: 1-line block ×4, first 2 shown]
	v_add_co_u32 v41, s17, v41, -1
	s_delay_alu instid0(VALU_DEP_1)
	v_cndmask_b32_e64 v192, 0, 1, s17
	v_not_b32_e32 v196, v42
	v_cmp_gt_i32_e64 s17, 0, v42
	v_not_b32_e32 v42, v43
	v_lshlrev_b32_e32 v194, 26, v37
	v_cmp_ne_u32_e32 vcc_lo, 0, v192
	v_ashrrev_i32_e32 v196, 31, v196
	v_lshlrev_b32_e32 v195, 25, v37
	v_ashrrev_i32_e32 v42, 31, v42
	v_lshlrev_b32_e32 v192, 24, v37
	v_xor_b32_e32 v41, vcc_lo, v41
	v_cmp_gt_i32_e32 vcc_lo, 0, v43
	v_not_b32_e32 v43, v191
	v_xor_b32_e32 v196, s17, v196
	v_cmp_gt_i32_e64 s17, 0, v191
	v_and_b32_e32 v41, exec_lo, v41
	v_not_b32_e32 v191, v193
	v_ashrrev_i32_e32 v43, 31, v43
	v_xor_b32_e32 v42, vcc_lo, v42
	v_cmp_gt_i32_e32 vcc_lo, 0, v193
	v_and_b32_e32 v41, v41, v196
	v_not_b32_e32 v193, v194
	v_ashrrev_i32_e32 v191, 31, v191
	v_xor_b32_e32 v43, s17, v43
	v_cmp_gt_i32_e64 s17, 0, v194
	v_and_b32_e32 v41, v41, v42
	v_not_b32_e32 v42, v195
	v_ashrrev_i32_e32 v193, 31, v193
	v_xor_b32_e32 v191, vcc_lo, v191
	v_cmp_gt_i32_e32 vcc_lo, 0, v195
	v_and_b32_e32 v41, v41, v43
	v_not_b32_e32 v43, v192
	v_ashrrev_i32_e32 v42, 31, v42
	v_xor_b32_e32 v193, s17, v193
	v_mul_u32_u24_e32 v37, 9, v37
	v_and_b32_e32 v41, v41, v191
	v_cmp_gt_i32_e64 s17, 0, v192
	v_ashrrev_i32_e32 v43, 31, v43
	v_xor_b32_e32 v42, vcc_lo, v42
	v_add_lshl_u32 v191, v37, v128, 2
	v_and_b32_e32 v41, v41, v193
	s_delay_alu instid0(VALU_DEP_4) | instskip(SKIP_3) | instid1(VALU_DEP_2)
	v_xor_b32_e32 v37, s17, v43
	ds_load_b32 v192, v191 offset:1056
	v_and_b32_e32 v41, v41, v42
	v_add_nc_u32_e32 v194, 0x420, v191
	; wave barrier
	v_and_b32_e32 v37, v41, v37
	s_delay_alu instid0(VALU_DEP_1) | instskip(SKIP_1) | instid1(VALU_DEP_2)
	v_mbcnt_lo_u32_b32 v193, v37, 0
	v_cmp_ne_u32_e64 s17, 0, v37
	v_cmp_eq_u32_e32 vcc_lo, 0, v193
	s_delay_alu instid0(VALU_DEP_2) | instskip(NEXT) | instid1(SALU_CYCLE_1)
	s_and_b32 s18, s17, vcc_lo
	s_and_saveexec_b32 s17, s18
	s_cbranch_execz .LBB637_166
; %bb.165:                              ;   in Loop: Header=BB637_106 Depth=2
	s_waitcnt lgkmcnt(0)
	v_bcnt_u32_b32 v37, v37, v192
	ds_store_b32 v194, v37
.LBB637_166:                            ;   in Loop: Header=BB637_106 Depth=2
	s_or_b32 exec_lo, exec_lo, s17
	v_xor_b32_e32 v191, 0x80000000, v40
	; wave barrier
	s_delay_alu instid0(VALU_DEP_1) | instskip(NEXT) | instid1(VALU_DEP_1)
	v_lshrrev_b32_e32 v37, s38, v191
	v_and_b32_e32 v37, s39, v37
	s_delay_alu instid0(VALU_DEP_1)
	v_and_b32_e32 v40, 1, v37
	v_lshlrev_b32_e32 v41, 30, v37
	v_lshlrev_b32_e32 v42, 29, v37
	;; [unrolled: 1-line block ×4, first 2 shown]
	v_add_co_u32 v40, s17, v40, -1
	s_delay_alu instid0(VALU_DEP_1)
	v_cndmask_b32_e64 v195, 0, 1, s17
	v_not_b32_e32 v199, v41
	v_cmp_gt_i32_e64 s17, 0, v41
	v_not_b32_e32 v41, v42
	v_lshlrev_b32_e32 v197, 26, v37
	v_cmp_ne_u32_e32 vcc_lo, 0, v195
	v_ashrrev_i32_e32 v199, 31, v199
	v_lshlrev_b32_e32 v198, 25, v37
	v_ashrrev_i32_e32 v41, 31, v41
	v_lshlrev_b32_e32 v195, 24, v37
	v_xor_b32_e32 v40, vcc_lo, v40
	v_cmp_gt_i32_e32 vcc_lo, 0, v42
	v_not_b32_e32 v42, v43
	v_xor_b32_e32 v199, s17, v199
	v_cmp_gt_i32_e64 s17, 0, v43
	v_and_b32_e32 v40, exec_lo, v40
	v_not_b32_e32 v43, v196
	v_ashrrev_i32_e32 v42, 31, v42
	v_xor_b32_e32 v41, vcc_lo, v41
	v_cmp_gt_i32_e32 vcc_lo, 0, v196
	v_and_b32_e32 v40, v40, v199
	v_not_b32_e32 v196, v197
	v_ashrrev_i32_e32 v43, 31, v43
	v_xor_b32_e32 v42, s17, v42
	v_cmp_gt_i32_e64 s17, 0, v197
	v_and_b32_e32 v40, v40, v41
	v_not_b32_e32 v41, v198
	v_ashrrev_i32_e32 v196, 31, v196
	v_xor_b32_e32 v43, vcc_lo, v43
	v_cmp_gt_i32_e32 vcc_lo, 0, v198
	v_and_b32_e32 v40, v40, v42
	v_not_b32_e32 v42, v195
	v_ashrrev_i32_e32 v41, 31, v41
	v_xor_b32_e32 v196, s17, v196
	v_mul_u32_u24_e32 v37, 9, v37
	v_and_b32_e32 v40, v40, v43
	v_cmp_gt_i32_e64 s17, 0, v195
	v_ashrrev_i32_e32 v42, 31, v42
	v_xor_b32_e32 v41, vcc_lo, v41
	v_add_lshl_u32 v43, v37, v128, 2
	v_and_b32_e32 v40, v40, v196
	s_delay_alu instid0(VALU_DEP_4) | instskip(SKIP_3) | instid1(VALU_DEP_2)
	v_xor_b32_e32 v37, s17, v42
	ds_load_b32 v196, v43 offset:1056
	v_and_b32_e32 v40, v40, v41
	v_add_nc_u32_e32 v198, 0x420, v43
	; wave barrier
	v_and_b32_e32 v37, v40, v37
	s_delay_alu instid0(VALU_DEP_1) | instskip(SKIP_1) | instid1(VALU_DEP_2)
	v_mbcnt_lo_u32_b32 v197, v37, 0
	v_cmp_ne_u32_e64 s17, 0, v37
	v_cmp_eq_u32_e32 vcc_lo, 0, v197
	s_delay_alu instid0(VALU_DEP_2) | instskip(NEXT) | instid1(SALU_CYCLE_1)
	s_and_b32 s18, s17, vcc_lo
	s_and_saveexec_b32 s17, s18
	s_cbranch_execz .LBB637_168
; %bb.167:                              ;   in Loop: Header=BB637_106 Depth=2
	s_waitcnt lgkmcnt(0)
	v_bcnt_u32_b32 v37, v37, v196
	ds_store_b32 v198, v37
.LBB637_168:                            ;   in Loop: Header=BB637_106 Depth=2
	s_or_b32 exec_lo, exec_lo, s17
	v_xor_b32_e32 v195, 0x80000000, v39
	; wave barrier
	s_delay_alu instid0(VALU_DEP_1) | instskip(NEXT) | instid1(VALU_DEP_1)
	v_lshrrev_b32_e32 v37, s38, v195
	v_and_b32_e32 v37, s39, v37
	s_delay_alu instid0(VALU_DEP_1)
	v_and_b32_e32 v39, 1, v37
	v_lshlrev_b32_e32 v40, 30, v37
	v_lshlrev_b32_e32 v41, 29, v37
	;; [unrolled: 1-line block ×4, first 2 shown]
	v_add_co_u32 v39, s17, v39, -1
	s_delay_alu instid0(VALU_DEP_1)
	v_cndmask_b32_e64 v43, 0, 1, s17
	v_not_b32_e32 v202, v40
	v_cmp_gt_i32_e64 s17, 0, v40
	v_not_b32_e32 v40, v41
	v_lshlrev_b32_e32 v200, 26, v37
	v_cmp_ne_u32_e32 vcc_lo, 0, v43
	v_ashrrev_i32_e32 v202, 31, v202
	v_lshlrev_b32_e32 v201, 25, v37
	v_ashrrev_i32_e32 v40, 31, v40
	v_lshlrev_b32_e32 v43, 24, v37
	v_xor_b32_e32 v39, vcc_lo, v39
	v_cmp_gt_i32_e32 vcc_lo, 0, v41
	v_not_b32_e32 v41, v42
	v_xor_b32_e32 v202, s17, v202
	v_cmp_gt_i32_e64 s17, 0, v42
	v_and_b32_e32 v39, exec_lo, v39
	v_not_b32_e32 v42, v199
	v_ashrrev_i32_e32 v41, 31, v41
	v_xor_b32_e32 v40, vcc_lo, v40
	v_cmp_gt_i32_e32 vcc_lo, 0, v199
	v_and_b32_e32 v39, v39, v202
	v_not_b32_e32 v199, v200
	v_ashrrev_i32_e32 v42, 31, v42
	v_xor_b32_e32 v41, s17, v41
	v_cmp_gt_i32_e64 s17, 0, v200
	v_and_b32_e32 v39, v39, v40
	v_not_b32_e32 v40, v201
	v_ashrrev_i32_e32 v199, 31, v199
	v_xor_b32_e32 v42, vcc_lo, v42
	v_cmp_gt_i32_e32 vcc_lo, 0, v201
	v_and_b32_e32 v39, v39, v41
	v_not_b32_e32 v41, v43
	v_ashrrev_i32_e32 v40, 31, v40
	v_xor_b32_e32 v199, s17, v199
	v_mul_u32_u24_e32 v37, 9, v37
	v_and_b32_e32 v39, v39, v42
	v_cmp_gt_i32_e64 s17, 0, v43
	v_ashrrev_i32_e32 v41, 31, v41
	v_xor_b32_e32 v40, vcc_lo, v40
	v_add_lshl_u32 v42, v37, v128, 2
	v_and_b32_e32 v39, v39, v199
	s_delay_alu instid0(VALU_DEP_4) | instskip(SKIP_3) | instid1(VALU_DEP_2)
	v_xor_b32_e32 v37, s17, v41
	ds_load_b32 v200, v42 offset:1056
	v_and_b32_e32 v39, v39, v40
	v_add_nc_u32_e32 v202, 0x420, v42
	; wave barrier
	v_and_b32_e32 v37, v39, v37
	s_delay_alu instid0(VALU_DEP_1) | instskip(SKIP_1) | instid1(VALU_DEP_2)
	v_mbcnt_lo_u32_b32 v201, v37, 0
	v_cmp_ne_u32_e64 s17, 0, v37
	v_cmp_eq_u32_e32 vcc_lo, 0, v201
	s_delay_alu instid0(VALU_DEP_2) | instskip(NEXT) | instid1(SALU_CYCLE_1)
	s_and_b32 s18, s17, vcc_lo
	s_and_saveexec_b32 s17, s18
	s_cbranch_execz .LBB637_170
; %bb.169:                              ;   in Loop: Header=BB637_106 Depth=2
	s_waitcnt lgkmcnt(0)
	v_bcnt_u32_b32 v37, v37, v200
	ds_store_b32 v202, v37
.LBB637_170:                            ;   in Loop: Header=BB637_106 Depth=2
	s_or_b32 exec_lo, exec_lo, s17
	v_xor_b32_e32 v199, 0x80000000, v38
	; wave barrier
	s_delay_alu instid0(VALU_DEP_1) | instskip(NEXT) | instid1(VALU_DEP_1)
	v_lshrrev_b32_e32 v37, s38, v199
	v_and_b32_e32 v37, s39, v37
	s_delay_alu instid0(VALU_DEP_1)
	v_and_b32_e32 v38, 1, v37
	v_lshlrev_b32_e32 v39, 30, v37
	v_lshlrev_b32_e32 v40, 29, v37
	;; [unrolled: 1-line block ×4, first 2 shown]
	v_add_co_u32 v38, s17, v38, -1
	s_delay_alu instid0(VALU_DEP_1)
	v_cndmask_b32_e64 v42, 0, 1, s17
	v_not_b32_e32 v205, v39
	v_cmp_gt_i32_e64 s17, 0, v39
	v_not_b32_e32 v39, v40
	v_lshlrev_b32_e32 v203, 26, v37
	v_cmp_ne_u32_e32 vcc_lo, 0, v42
	v_ashrrev_i32_e32 v205, 31, v205
	v_lshlrev_b32_e32 v204, 25, v37
	v_ashrrev_i32_e32 v39, 31, v39
	v_lshlrev_b32_e32 v42, 24, v37
	v_xor_b32_e32 v38, vcc_lo, v38
	v_cmp_gt_i32_e32 vcc_lo, 0, v40
	v_not_b32_e32 v40, v41
	v_xor_b32_e32 v205, s17, v205
	v_cmp_gt_i32_e64 s17, 0, v41
	v_and_b32_e32 v38, exec_lo, v38
	v_not_b32_e32 v41, v43
	v_ashrrev_i32_e32 v40, 31, v40
	v_xor_b32_e32 v39, vcc_lo, v39
	v_cmp_gt_i32_e32 vcc_lo, 0, v43
	v_and_b32_e32 v38, v38, v205
	v_not_b32_e32 v43, v203
	v_ashrrev_i32_e32 v41, 31, v41
	v_xor_b32_e32 v40, s17, v40
	v_cmp_gt_i32_e64 s17, 0, v203
	v_and_b32_e32 v38, v38, v39
	v_not_b32_e32 v39, v204
	v_ashrrev_i32_e32 v43, 31, v43
	v_xor_b32_e32 v41, vcc_lo, v41
	v_cmp_gt_i32_e32 vcc_lo, 0, v204
	v_and_b32_e32 v38, v38, v40
	v_not_b32_e32 v40, v42
	v_ashrrev_i32_e32 v39, 31, v39
	v_xor_b32_e32 v43, s17, v43
	v_mul_u32_u24_e32 v37, 9, v37
	v_and_b32_e32 v38, v38, v41
	v_cmp_gt_i32_e64 s17, 0, v42
	v_ashrrev_i32_e32 v40, 31, v40
	v_xor_b32_e32 v39, vcc_lo, v39
	v_add_lshl_u32 v41, v37, v128, 2
	v_and_b32_e32 v38, v38, v43
	s_delay_alu instid0(VALU_DEP_4) | instskip(SKIP_3) | instid1(VALU_DEP_2)
	v_xor_b32_e32 v37, s17, v40
	ds_load_b32 v204, v41 offset:1056
	v_and_b32_e32 v38, v38, v39
	v_add_nc_u32_e32 v206, 0x420, v41
	; wave barrier
	v_and_b32_e32 v37, v38, v37
	s_delay_alu instid0(VALU_DEP_1) | instskip(SKIP_1) | instid1(VALU_DEP_2)
	v_mbcnt_lo_u32_b32 v205, v37, 0
	v_cmp_ne_u32_e64 s17, 0, v37
	v_cmp_eq_u32_e32 vcc_lo, 0, v205
	s_delay_alu instid0(VALU_DEP_2) | instskip(NEXT) | instid1(SALU_CYCLE_1)
	s_and_b32 s18, s17, vcc_lo
	s_and_saveexec_b32 s17, s18
	s_cbranch_execz .LBB637_172
; %bb.171:                              ;   in Loop: Header=BB637_106 Depth=2
	s_waitcnt lgkmcnt(0)
	v_bcnt_u32_b32 v37, v37, v204
	ds_store_b32 v206, v37
.LBB637_172:                            ;   in Loop: Header=BB637_106 Depth=2
	s_or_b32 exec_lo, exec_lo, s17
	v_xor_b32_e32 v203, 0x80000000, v36
	; wave barrier
	s_delay_alu instid0(VALU_DEP_1) | instskip(NEXT) | instid1(VALU_DEP_1)
	v_lshrrev_b32_e32 v36, s38, v203
	v_and_b32_e32 v36, s39, v36
	s_delay_alu instid0(VALU_DEP_1)
	v_and_b32_e32 v37, 1, v36
	v_lshlrev_b32_e32 v38, 30, v36
	v_lshlrev_b32_e32 v39, 29, v36
	v_lshlrev_b32_e32 v40, 28, v36
	v_lshlrev_b32_e32 v42, 27, v36
	v_add_co_u32 v37, s17, v37, -1
	s_delay_alu instid0(VALU_DEP_1)
	v_cndmask_b32_e64 v41, 0, 1, s17
	v_not_b32_e32 v208, v38
	v_cmp_gt_i32_e64 s17, 0, v38
	v_not_b32_e32 v38, v39
	v_lshlrev_b32_e32 v43, 26, v36
	v_cmp_ne_u32_e32 vcc_lo, 0, v41
	v_ashrrev_i32_e32 v208, 31, v208
	v_lshlrev_b32_e32 v207, 25, v36
	v_ashrrev_i32_e32 v38, 31, v38
	v_lshlrev_b32_e32 v41, 24, v36
	v_xor_b32_e32 v37, vcc_lo, v37
	v_cmp_gt_i32_e32 vcc_lo, 0, v39
	v_not_b32_e32 v39, v40
	v_xor_b32_e32 v208, s17, v208
	v_cmp_gt_i32_e64 s17, 0, v40
	v_and_b32_e32 v37, exec_lo, v37
	v_not_b32_e32 v40, v42
	v_ashrrev_i32_e32 v39, 31, v39
	v_xor_b32_e32 v38, vcc_lo, v38
	v_cmp_gt_i32_e32 vcc_lo, 0, v42
	v_and_b32_e32 v37, v37, v208
	v_not_b32_e32 v42, v43
	v_ashrrev_i32_e32 v40, 31, v40
	v_xor_b32_e32 v39, s17, v39
	v_cmp_gt_i32_e64 s17, 0, v43
	v_and_b32_e32 v37, v37, v38
	v_not_b32_e32 v38, v207
	v_ashrrev_i32_e32 v42, 31, v42
	v_xor_b32_e32 v40, vcc_lo, v40
	v_cmp_gt_i32_e32 vcc_lo, 0, v207
	v_and_b32_e32 v37, v37, v39
	v_not_b32_e32 v39, v41
	v_ashrrev_i32_e32 v38, 31, v38
	v_xor_b32_e32 v42, s17, v42
	v_mul_u32_u24_e32 v36, 9, v36
	v_and_b32_e32 v37, v37, v40
	v_cmp_gt_i32_e64 s17, 0, v41
	v_ashrrev_i32_e32 v39, 31, v39
	v_xor_b32_e32 v38, vcc_lo, v38
	v_add_lshl_u32 v40, v36, v128, 2
	v_and_b32_e32 v37, v37, v42
	s_delay_alu instid0(VALU_DEP_4) | instskip(SKIP_3) | instid1(VALU_DEP_2)
	v_xor_b32_e32 v36, s17, v39
	ds_load_b32 v207, v40 offset:1056
	v_and_b32_e32 v37, v37, v38
	v_add_nc_u32_e32 v209, 0x420, v40
	; wave barrier
	v_and_b32_e32 v36, v37, v36
	s_delay_alu instid0(VALU_DEP_1) | instskip(SKIP_1) | instid1(VALU_DEP_2)
	v_mbcnt_lo_u32_b32 v208, v36, 0
	v_cmp_ne_u32_e64 s17, 0, v36
	v_cmp_eq_u32_e32 vcc_lo, 0, v208
	s_delay_alu instid0(VALU_DEP_2) | instskip(NEXT) | instid1(SALU_CYCLE_1)
	s_and_b32 s18, s17, vcc_lo
	s_and_saveexec_b32 s17, s18
	s_cbranch_execz .LBB637_174
; %bb.173:                              ;   in Loop: Header=BB637_106 Depth=2
	s_waitcnt lgkmcnt(0)
	v_bcnt_u32_b32 v36, v36, v207
	ds_store_b32 v209, v36
.LBB637_174:                            ;   in Loop: Header=BB637_106 Depth=2
	s_or_b32 exec_lo, exec_lo, s17
	; wave barrier
	s_waitcnt lgkmcnt(0)
	s_barrier
	buffer_gl0_inv
	ds_load_b32 v210, v70 offset:1056
	ds_load_2addr_b32 v[42:43], v71 offset0:1 offset1:2
	ds_load_2addr_b32 v[40:41], v71 offset0:3 offset1:4
	;; [unrolled: 1-line block ×4, first 2 shown]
	s_waitcnt lgkmcnt(3)
	v_add3_u32 v211, v42, v210, v43
	s_waitcnt lgkmcnt(2)
	s_delay_alu instid0(VALU_DEP_1) | instskip(SKIP_1) | instid1(VALU_DEP_1)
	v_add3_u32 v211, v211, v40, v41
	s_waitcnt lgkmcnt(1)
	v_add3_u32 v211, v211, v36, v37
	s_waitcnt lgkmcnt(0)
	s_delay_alu instid0(VALU_DEP_1) | instskip(NEXT) | instid1(VALU_DEP_1)
	v_add3_u32 v39, v211, v38, v39
	v_mov_b32_dpp v211, v39 row_shr:1 row_mask:0xf bank_mask:0xf
	s_delay_alu instid0(VALU_DEP_1) | instskip(NEXT) | instid1(VALU_DEP_1)
	v_cndmask_b32_e64 v211, v211, 0, s0
	v_add_nc_u32_e32 v39, v211, v39
	s_delay_alu instid0(VALU_DEP_1) | instskip(NEXT) | instid1(VALU_DEP_1)
	v_mov_b32_dpp v211, v39 row_shr:2 row_mask:0xf bank_mask:0xf
	v_cndmask_b32_e64 v211, 0, v211, s1
	s_delay_alu instid0(VALU_DEP_1) | instskip(NEXT) | instid1(VALU_DEP_1)
	v_add_nc_u32_e32 v39, v39, v211
	v_mov_b32_dpp v211, v39 row_shr:4 row_mask:0xf bank_mask:0xf
	s_delay_alu instid0(VALU_DEP_1) | instskip(NEXT) | instid1(VALU_DEP_1)
	v_cndmask_b32_e64 v211, 0, v211, s8
	v_add_nc_u32_e32 v39, v39, v211
	s_delay_alu instid0(VALU_DEP_1) | instskip(NEXT) | instid1(VALU_DEP_1)
	v_mov_b32_dpp v211, v39 row_shr:8 row_mask:0xf bank_mask:0xf
	v_cndmask_b32_e64 v211, 0, v211, s9
	s_delay_alu instid0(VALU_DEP_1) | instskip(SKIP_3) | instid1(VALU_DEP_1)
	v_add_nc_u32_e32 v39, v39, v211
	ds_swizzle_b32 v211, v39 offset:swizzle(BROADCAST,32,15)
	s_waitcnt lgkmcnt(0)
	v_cndmask_b32_e64 v211, v211, 0, s10
	v_add_nc_u32_e32 v39, v39, v211
	s_and_saveexec_b32 s17, s3
	s_cbranch_execz .LBB637_176
; %bb.175:                              ;   in Loop: Header=BB637_106 Depth=2
	ds_store_b32 v62, v39 offset:1024
.LBB637_176:                            ;   in Loop: Header=BB637_106 Depth=2
	s_or_b32 exec_lo, exec_lo, s17
	s_waitcnt lgkmcnt(0)
	s_barrier
	buffer_gl0_inv
	s_and_saveexec_b32 s17, s4
	s_cbranch_execz .LBB637_178
; %bb.177:                              ;   in Loop: Header=BB637_106 Depth=2
	v_add_nc_u32_e32 v211, v70, v72
	ds_load_b32 v212, v211 offset:1024
	s_waitcnt lgkmcnt(0)
	v_mov_b32_dpp v213, v212 row_shr:1 row_mask:0xf bank_mask:0xf
	s_delay_alu instid0(VALU_DEP_1) | instskip(NEXT) | instid1(VALU_DEP_1)
	v_cndmask_b32_e64 v213, v213, 0, s12
	v_add_nc_u32_e32 v212, v213, v212
	s_delay_alu instid0(VALU_DEP_1) | instskip(NEXT) | instid1(VALU_DEP_1)
	v_mov_b32_dpp v213, v212 row_shr:2 row_mask:0xf bank_mask:0xf
	v_cndmask_b32_e64 v213, 0, v213, s13
	s_delay_alu instid0(VALU_DEP_1) | instskip(NEXT) | instid1(VALU_DEP_1)
	v_add_nc_u32_e32 v212, v212, v213
	v_mov_b32_dpp v213, v212 row_shr:4 row_mask:0xf bank_mask:0xf
	s_delay_alu instid0(VALU_DEP_1) | instskip(NEXT) | instid1(VALU_DEP_1)
	v_cndmask_b32_e64 v213, 0, v213, s16
	v_add_nc_u32_e32 v212, v212, v213
	ds_store_b32 v211, v212 offset:1024
.LBB637_178:                            ;   in Loop: Header=BB637_106 Depth=2
	s_or_b32 exec_lo, exec_lo, s17
	v_mov_b32_e32 v211, 0
	s_waitcnt lgkmcnt(0)
	s_barrier
	buffer_gl0_inv
	s_and_saveexec_b32 s17, s5
	s_cbranch_execz .LBB637_180
; %bb.179:                              ;   in Loop: Header=BB637_106 Depth=2
	ds_load_b32 v211, v62 offset:1020
.LBB637_180:                            ;   in Loop: Header=BB637_106 Depth=2
	s_or_b32 exec_lo, exec_lo, s17
	s_waitcnt lgkmcnt(0)
	v_add_nc_u32_e32 v39, v211, v39
	ds_bpermute_b32 v39, v107, v39
	s_waitcnt lgkmcnt(0)
	v_cndmask_b32_e64 v39, v39, v211, s11
	s_delay_alu instid0(VALU_DEP_1) | instskip(NEXT) | instid1(VALU_DEP_1)
	v_cndmask_b32_e64 v39, v39, 0, s6
	v_add_nc_u32_e32 v210, v39, v210
	s_delay_alu instid0(VALU_DEP_1) | instskip(NEXT) | instid1(VALU_DEP_1)
	v_add_nc_u32_e32 v42, v210, v42
	v_add_nc_u32_e32 v43, v42, v43
	s_delay_alu instid0(VALU_DEP_1) | instskip(NEXT) | instid1(VALU_DEP_1)
	v_add_nc_u32_e32 v40, v43, v40
	;; [unrolled: 3-line block ×3, first 2 shown]
	v_add_nc_u32_e32 v37, v36, v37
	s_delay_alu instid0(VALU_DEP_1)
	v_add_nc_u32_e32 v38, v37, v38
	ds_store_b32 v70, v39 offset:1056
	ds_store_2addr_b32 v71, v210, v42 offset0:1 offset1:2
	ds_store_2addr_b32 v71, v43, v40 offset0:3 offset1:4
	;; [unrolled: 1-line block ×4, first 2 shown]
	v_mov_b32_e32 v38, 0x1000
	s_waitcnt lgkmcnt(0)
	s_barrier
	buffer_gl0_inv
	ds_load_b32 v39, v154
	ds_load_b32 v40, v158
	;; [unrolled: 1-line block ×16, first 2 shown]
	ds_load_b32 v158, v70 offset:1056
	s_and_saveexec_b32 s17, s7
	s_cbranch_execz .LBB637_182
; %bb.181:                              ;   in Loop: Header=BB637_106 Depth=2
	ds_load_b32 v38, v73 offset:1056
.LBB637_182:                            ;   in Loop: Header=BB637_106 Depth=2
	s_or_b32 exec_lo, exec_lo, s17
	s_waitcnt lgkmcnt(0)
	s_barrier
	buffer_gl0_inv
	s_and_saveexec_b32 s17, s2
	s_cbranch_execz .LBB637_184
; %bb.183:                              ;   in Loop: Header=BB637_106 Depth=2
	ds_load_b32 v162, v44
	s_waitcnt lgkmcnt(0)
	v_sub_nc_u32_e32 v158, v162, v158
	ds_store_b32 v44, v158
.LBB637_184:                            ;   in Loop: Header=BB637_106 Depth=2
	s_or_b32 exec_lo, exec_lo, s17
	v_add_nc_u32_e32 v170, v150, v149
	v_add3_u32 v166, v153, v152, v39
	v_add3_u32 v162, v157, v156, v40
	;; [unrolled: 1-line block ×5, first 2 shown]
	v_lshlrev_b32_e32 v160, 2, v170
	v_add3_u32 v43, v201, v200, v36
	v_lshlrev_b32_e32 v36, 2, v166
	v_add3_u32 v154, v174, v173, v175
	v_add3_u32 v153, v177, v176, v178
	ds_store_b32 v160, v2 offset:1024
	v_lshlrev_b32_e32 v2, 2, v162
	ds_store_b32 v36, v148 offset:1024
	v_lshlrev_b32_e32 v36, 2, v156
	v_add3_u32 v152, v181, v180, v182
	v_add3_u32 v42, v205, v204, v37
	v_lshlrev_b32_e32 v37, 2, v158
	v_add3_u32 v150, v185, v184, v186
	v_lshlrev_b32_e32 v160, 2, v157
	v_add3_u32 v149, v189, v188, v190
	v_add3_u32 v40, v193, v192, v194
	ds_store_b32 v2, v151 offset:1024
	ds_store_b32 v37, v155 offset:1024
	;; [unrolled: 1-line block ×3, first 2 shown]
	v_lshlrev_b32_e32 v2, 2, v154
	ds_store_b32 v36, v163 offset:1024
	v_lshlrev_b32_e32 v36, 2, v153
	v_lshlrev_b32_e32 v37, 2, v152
	;; [unrolled: 1-line block ×3, first 2 shown]
	v_add3_u32 v39, v197, v196, v198
	v_add3_u32 v41, v208, v207, v41
	ds_store_b32 v2, v167 offset:1024
	v_lshlrev_b32_e32 v2, 2, v149
	ds_store_b32 v36, v172 offset:1024
	ds_store_b32 v37, v171 offset:1024
	;; [unrolled: 1-line block ×3, first 2 shown]
	v_lshlrev_b32_e32 v36, 2, v40
	v_cmp_lt_u32_e32 vcc_lo, v1, v147
	v_lshlrev_b32_e32 v37, 2, v43
	ds_store_b32 v2, v183 offset:1024
	v_lshlrev_b32_e32 v2, 2, v39
	ds_store_b32 v36, v187 offset:1024
	v_lshlrev_b32_e32 v36, 2, v41
	v_lshlrev_b32_e32 v148, 2, v42
	ds_store_b32 v2, v191 offset:1024
	ds_store_b32 v37, v195 offset:1024
	;; [unrolled: 1-line block ×4, first 2 shown]
	s_waitcnt lgkmcnt(0)
	s_barrier
	buffer_gl0_inv
	s_and_saveexec_b32 s18, vcc_lo
	s_cbranch_execz .LBB637_200
; %bb.185:                              ;   in Loop: Header=BB637_106 Depth=2
	v_add_nc_u32_e32 v2, v70, v72
	ds_load_b32 v148, v2 offset:1024
	s_waitcnt lgkmcnt(0)
	v_lshrrev_b32_e32 v2, s38, v148
	s_delay_alu instid0(VALU_DEP_1) | instskip(NEXT) | instid1(VALU_DEP_1)
	v_and_b32_e32 v2, s39, v2
	v_lshlrev_b32_e32 v2, 2, v2
	ds_load_b32 v2, v2
	s_waitcnt lgkmcnt(0)
	v_add_nc_u32_e32 v2, v2, v1
	s_delay_alu instid0(VALU_DEP_1) | instskip(SKIP_1) | instid1(VALU_DEP_2)
	v_lshlrev_b64 v[36:37], 2, v[2:3]
	v_xor_b32_e32 v2, 0x80000000, v148
	v_add_co_u32 v36, s17, s46, v36
	s_delay_alu instid0(VALU_DEP_1) | instskip(SKIP_3) | instid1(VALU_DEP_1)
	v_add_co_ci_u32_e64 v37, s17, s47, v37, s17
	global_store_b32 v[36:37], v2, off
	s_or_b32 exec_lo, exec_lo, s18
	v_cmp_lt_u32_e64 s17, v45, v147
	s_and_saveexec_b32 s19, s17
	s_cbranch_execnz .LBB637_201
.LBB637_186:                            ;   in Loop: Header=BB637_106 Depth=2
	s_or_b32 exec_lo, exec_lo, s19
	v_cmp_lt_u32_e64 s18, v46, v147
	s_delay_alu instid0(VALU_DEP_1)
	s_and_saveexec_b32 s20, s18
	s_cbranch_execz .LBB637_202
.LBB637_187:                            ;   in Loop: Header=BB637_106 Depth=2
	ds_load_b32 v148, v78 offset:2048
	s_waitcnt lgkmcnt(0)
	v_lshrrev_b32_e32 v2, s38, v148
	s_delay_alu instid0(VALU_DEP_1) | instskip(NEXT) | instid1(VALU_DEP_1)
	v_and_b32_e32 v2, s39, v2
	v_lshlrev_b32_e32 v2, 2, v2
	ds_load_b32 v2, v2
	s_waitcnt lgkmcnt(0)
	v_add_nc_u32_e32 v2, v2, v46
	s_delay_alu instid0(VALU_DEP_1) | instskip(SKIP_1) | instid1(VALU_DEP_2)
	v_lshlrev_b64 v[36:37], 2, v[2:3]
	v_xor_b32_e32 v2, 0x80000000, v148
	v_add_co_u32 v36, s19, s46, v36
	s_delay_alu instid0(VALU_DEP_1) | instskip(SKIP_3) | instid1(VALU_DEP_1)
	v_add_co_ci_u32_e64 v37, s19, s47, v37, s19
	global_store_b32 v[36:37], v2, off
	s_or_b32 exec_lo, exec_lo, s20
	v_cmp_lt_u32_e64 s19, v47, v147
	s_and_saveexec_b32 s21, s19
	s_cbranch_execnz .LBB637_203
.LBB637_188:                            ;   in Loop: Header=BB637_106 Depth=2
	s_or_b32 exec_lo, exec_lo, s21
	v_cmp_lt_u32_e64 s20, v51, v147
	s_delay_alu instid0(VALU_DEP_1)
	s_and_saveexec_b32 s22, s20
	s_cbranch_execz .LBB637_204
.LBB637_189:                            ;   in Loop: Header=BB637_106 Depth=2
	ds_load_b32 v148, v78 offset:4096
	s_waitcnt lgkmcnt(0)
	v_lshrrev_b32_e32 v2, s38, v148
	s_delay_alu instid0(VALU_DEP_1) | instskip(NEXT) | instid1(VALU_DEP_1)
	v_and_b32_e32 v2, s39, v2
	v_lshlrev_b32_e32 v2, 2, v2
	ds_load_b32 v2, v2
	s_waitcnt lgkmcnt(0)
	v_add_nc_u32_e32 v2, v2, v51
	s_delay_alu instid0(VALU_DEP_1) | instskip(SKIP_1) | instid1(VALU_DEP_2)
	v_lshlrev_b64 v[36:37], 2, v[2:3]
	v_xor_b32_e32 v2, 0x80000000, v148
	v_add_co_u32 v36, s21, s46, v36
	s_delay_alu instid0(VALU_DEP_1) | instskip(SKIP_3) | instid1(VALU_DEP_1)
	v_add_co_ci_u32_e64 v37, s21, s47, v37, s21
	global_store_b32 v[36:37], v2, off
	s_or_b32 exec_lo, exec_lo, s22
	v_cmp_lt_u32_e64 s21, v52, v147
	s_and_saveexec_b32 s23, s21
	s_cbranch_execnz .LBB637_205
.LBB637_190:                            ;   in Loop: Header=BB637_106 Depth=2
	s_or_b32 exec_lo, exec_lo, s23
	v_cmp_lt_u32_e64 s22, v53, v147
	s_delay_alu instid0(VALU_DEP_1)
	s_and_saveexec_b32 s24, s22
	s_cbranch_execz .LBB637_206
.LBB637_191:                            ;   in Loop: Header=BB637_106 Depth=2
	ds_load_b32 v148, v78 offset:6144
	s_waitcnt lgkmcnt(0)
	v_lshrrev_b32_e32 v2, s38, v148
	s_delay_alu instid0(VALU_DEP_1) | instskip(NEXT) | instid1(VALU_DEP_1)
	v_and_b32_e32 v2, s39, v2
	v_lshlrev_b32_e32 v2, 2, v2
	ds_load_b32 v2, v2
	s_waitcnt lgkmcnt(0)
	v_add_nc_u32_e32 v2, v2, v53
	s_delay_alu instid0(VALU_DEP_1) | instskip(SKIP_1) | instid1(VALU_DEP_2)
	v_lshlrev_b64 v[36:37], 2, v[2:3]
	v_xor_b32_e32 v2, 0x80000000, v148
	v_add_co_u32 v36, s23, s46, v36
	s_delay_alu instid0(VALU_DEP_1) | instskip(SKIP_3) | instid1(VALU_DEP_1)
	v_add_co_ci_u32_e64 v37, s23, s47, v37, s23
	global_store_b32 v[36:37], v2, off
	s_or_b32 exec_lo, exec_lo, s24
	v_cmp_lt_u32_e64 s23, v54, v147
	s_and_saveexec_b32 s25, s23
	s_cbranch_execnz .LBB637_207
.LBB637_192:                            ;   in Loop: Header=BB637_106 Depth=2
	s_or_b32 exec_lo, exec_lo, s25
	v_cmp_lt_u32_e64 s24, v55, v147
	s_delay_alu instid0(VALU_DEP_1)
	s_and_saveexec_b32 s26, s24
	s_cbranch_execz .LBB637_208
.LBB637_193:                            ;   in Loop: Header=BB637_106 Depth=2
	ds_load_b32 v148, v78 offset:8192
	s_waitcnt lgkmcnt(0)
	v_lshrrev_b32_e32 v2, s38, v148
	s_delay_alu instid0(VALU_DEP_1) | instskip(NEXT) | instid1(VALU_DEP_1)
	v_and_b32_e32 v2, s39, v2
	v_lshlrev_b32_e32 v2, 2, v2
	ds_load_b32 v2, v2
	s_waitcnt lgkmcnt(0)
	v_add_nc_u32_e32 v2, v2, v55
	s_delay_alu instid0(VALU_DEP_1) | instskip(SKIP_1) | instid1(VALU_DEP_2)
	v_lshlrev_b64 v[36:37], 2, v[2:3]
	v_xor_b32_e32 v2, 0x80000000, v148
	v_add_co_u32 v36, s25, s46, v36
	s_delay_alu instid0(VALU_DEP_1) | instskip(SKIP_3) | instid1(VALU_DEP_1)
	v_add_co_ci_u32_e64 v37, s25, s47, v37, s25
	global_store_b32 v[36:37], v2, off
	s_or_b32 exec_lo, exec_lo, s26
	v_cmp_lt_u32_e64 s25, v56, v147
	s_and_saveexec_b32 s27, s25
	s_cbranch_execnz .LBB637_209
.LBB637_194:                            ;   in Loop: Header=BB637_106 Depth=2
	s_or_b32 exec_lo, exec_lo, s27
	v_cmp_lt_u32_e64 s26, v57, v147
	s_delay_alu instid0(VALU_DEP_1)
	s_and_saveexec_b32 s28, s26
	s_cbranch_execz .LBB637_210
.LBB637_195:                            ;   in Loop: Header=BB637_106 Depth=2
	ds_load_b32 v148, v78 offset:10240
	s_waitcnt lgkmcnt(0)
	v_lshrrev_b32_e32 v2, s38, v148
	s_delay_alu instid0(VALU_DEP_1) | instskip(NEXT) | instid1(VALU_DEP_1)
	v_and_b32_e32 v2, s39, v2
	v_lshlrev_b32_e32 v2, 2, v2
	ds_load_b32 v2, v2
	s_waitcnt lgkmcnt(0)
	v_add_nc_u32_e32 v2, v2, v57
	s_delay_alu instid0(VALU_DEP_1) | instskip(SKIP_1) | instid1(VALU_DEP_2)
	v_lshlrev_b64 v[36:37], 2, v[2:3]
	v_xor_b32_e32 v2, 0x80000000, v148
	v_add_co_u32 v36, s27, s46, v36
	s_delay_alu instid0(VALU_DEP_1) | instskip(SKIP_3) | instid1(VALU_DEP_1)
	v_add_co_ci_u32_e64 v37, s27, s47, v37, s27
	global_store_b32 v[36:37], v2, off
	s_or_b32 exec_lo, exec_lo, s28
	v_cmp_lt_u32_e64 s27, v58, v147
	s_and_saveexec_b32 s29, s27
	s_cbranch_execnz .LBB637_211
.LBB637_196:                            ;   in Loop: Header=BB637_106 Depth=2
	s_or_b32 exec_lo, exec_lo, s29
	v_cmp_lt_u32_e64 s28, v59, v147
	s_delay_alu instid0(VALU_DEP_1)
	s_and_saveexec_b32 s30, s28
	s_cbranch_execz .LBB637_212
.LBB637_197:                            ;   in Loop: Header=BB637_106 Depth=2
	ds_load_b32 v148, v78 offset:12288
	s_waitcnt lgkmcnt(0)
	v_lshrrev_b32_e32 v2, s38, v148
	s_delay_alu instid0(VALU_DEP_1) | instskip(NEXT) | instid1(VALU_DEP_1)
	v_and_b32_e32 v2, s39, v2
	v_lshlrev_b32_e32 v2, 2, v2
	ds_load_b32 v2, v2
	s_waitcnt lgkmcnt(0)
	v_add_nc_u32_e32 v2, v2, v59
	s_delay_alu instid0(VALU_DEP_1) | instskip(SKIP_1) | instid1(VALU_DEP_2)
	v_lshlrev_b64 v[36:37], 2, v[2:3]
	v_xor_b32_e32 v2, 0x80000000, v148
	v_add_co_u32 v36, s29, s46, v36
	s_delay_alu instid0(VALU_DEP_1) | instskip(SKIP_3) | instid1(VALU_DEP_1)
	v_add_co_ci_u32_e64 v37, s29, s47, v37, s29
	global_store_b32 v[36:37], v2, off
	s_or_b32 exec_lo, exec_lo, s30
	v_cmp_lt_u32_e64 s29, v60, v147
	s_and_saveexec_b32 s31, s29
	s_cbranch_execnz .LBB637_213
.LBB637_198:                            ;   in Loop: Header=BB637_106 Depth=2
	s_or_b32 exec_lo, exec_lo, s31
	v_cmp_lt_u32_e64 s30, v61, v147
	s_delay_alu instid0(VALU_DEP_1)
	s_and_saveexec_b32 s33, s30
	s_cbranch_execz .LBB637_214
.LBB637_199:                            ;   in Loop: Header=BB637_106 Depth=2
	ds_load_b32 v148, v78 offset:14336
	s_waitcnt lgkmcnt(0)
	v_lshrrev_b32_e32 v2, s38, v148
	s_delay_alu instid0(VALU_DEP_1) | instskip(NEXT) | instid1(VALU_DEP_1)
	v_and_b32_e32 v2, s39, v2
	v_lshlrev_b32_e32 v2, 2, v2
	ds_load_b32 v2, v2
	s_waitcnt lgkmcnt(0)
	v_add_nc_u32_e32 v2, v2, v61
	s_delay_alu instid0(VALU_DEP_1) | instskip(SKIP_1) | instid1(VALU_DEP_2)
	v_lshlrev_b64 v[36:37], 2, v[2:3]
	v_xor_b32_e32 v2, 0x80000000, v148
	v_add_co_u32 v36, s31, s46, v36
	s_delay_alu instid0(VALU_DEP_1) | instskip(SKIP_3) | instid1(VALU_DEP_1)
	v_add_co_ci_u32_e64 v37, s31, s47, v37, s31
	global_store_b32 v[36:37], v2, off
	s_or_b32 exec_lo, exec_lo, s33
	v_cmp_lt_u32_e64 s31, v63, v147
	s_and_saveexec_b32 s42, s31
	s_cbranch_execnz .LBB637_215
	s_branch .LBB637_216
.LBB637_200:                            ;   in Loop: Header=BB637_106 Depth=2
	s_or_b32 exec_lo, exec_lo, s18
	v_cmp_lt_u32_e64 s17, v45, v147
	s_delay_alu instid0(VALU_DEP_1)
	s_and_saveexec_b32 s19, s17
	s_cbranch_execz .LBB637_186
.LBB637_201:                            ;   in Loop: Header=BB637_106 Depth=2
	ds_load_b32 v148, v78 offset:1024
	s_waitcnt lgkmcnt(0)
	v_lshrrev_b32_e32 v2, s38, v148
	s_delay_alu instid0(VALU_DEP_1) | instskip(NEXT) | instid1(VALU_DEP_1)
	v_and_b32_e32 v2, s39, v2
	v_lshlrev_b32_e32 v2, 2, v2
	ds_load_b32 v2, v2
	s_waitcnt lgkmcnt(0)
	v_add_nc_u32_e32 v2, v2, v45
	s_delay_alu instid0(VALU_DEP_1) | instskip(SKIP_1) | instid1(VALU_DEP_2)
	v_lshlrev_b64 v[36:37], 2, v[2:3]
	v_xor_b32_e32 v2, 0x80000000, v148
	v_add_co_u32 v36, s18, s46, v36
	s_delay_alu instid0(VALU_DEP_1) | instskip(SKIP_3) | instid1(VALU_DEP_1)
	v_add_co_ci_u32_e64 v37, s18, s47, v37, s18
	global_store_b32 v[36:37], v2, off
	s_or_b32 exec_lo, exec_lo, s19
	v_cmp_lt_u32_e64 s18, v46, v147
	s_and_saveexec_b32 s20, s18
	s_cbranch_execnz .LBB637_187
.LBB637_202:                            ;   in Loop: Header=BB637_106 Depth=2
	s_or_b32 exec_lo, exec_lo, s20
	v_cmp_lt_u32_e64 s19, v47, v147
	s_delay_alu instid0(VALU_DEP_1)
	s_and_saveexec_b32 s21, s19
	s_cbranch_execz .LBB637_188
.LBB637_203:                            ;   in Loop: Header=BB637_106 Depth=2
	ds_load_b32 v148, v78 offset:3072
	s_waitcnt lgkmcnt(0)
	v_lshrrev_b32_e32 v2, s38, v148
	s_delay_alu instid0(VALU_DEP_1) | instskip(NEXT) | instid1(VALU_DEP_1)
	v_and_b32_e32 v2, s39, v2
	v_lshlrev_b32_e32 v2, 2, v2
	ds_load_b32 v2, v2
	s_waitcnt lgkmcnt(0)
	v_add_nc_u32_e32 v2, v2, v47
	s_delay_alu instid0(VALU_DEP_1) | instskip(SKIP_1) | instid1(VALU_DEP_2)
	v_lshlrev_b64 v[36:37], 2, v[2:3]
	v_xor_b32_e32 v2, 0x80000000, v148
	v_add_co_u32 v36, s20, s46, v36
	s_delay_alu instid0(VALU_DEP_1) | instskip(SKIP_3) | instid1(VALU_DEP_1)
	v_add_co_ci_u32_e64 v37, s20, s47, v37, s20
	global_store_b32 v[36:37], v2, off
	s_or_b32 exec_lo, exec_lo, s21
	v_cmp_lt_u32_e64 s20, v51, v147
	s_and_saveexec_b32 s22, s20
	s_cbranch_execnz .LBB637_189
.LBB637_204:                            ;   in Loop: Header=BB637_106 Depth=2
	s_or_b32 exec_lo, exec_lo, s22
	v_cmp_lt_u32_e64 s21, v52, v147
	s_delay_alu instid0(VALU_DEP_1)
	s_and_saveexec_b32 s23, s21
	s_cbranch_execz .LBB637_190
.LBB637_205:                            ;   in Loop: Header=BB637_106 Depth=2
	ds_load_b32 v148, v78 offset:5120
	s_waitcnt lgkmcnt(0)
	v_lshrrev_b32_e32 v2, s38, v148
	s_delay_alu instid0(VALU_DEP_1) | instskip(NEXT) | instid1(VALU_DEP_1)
	v_and_b32_e32 v2, s39, v2
	v_lshlrev_b32_e32 v2, 2, v2
	ds_load_b32 v2, v2
	s_waitcnt lgkmcnt(0)
	v_add_nc_u32_e32 v2, v2, v52
	s_delay_alu instid0(VALU_DEP_1) | instskip(SKIP_1) | instid1(VALU_DEP_2)
	v_lshlrev_b64 v[36:37], 2, v[2:3]
	v_xor_b32_e32 v2, 0x80000000, v148
	v_add_co_u32 v36, s22, s46, v36
	s_delay_alu instid0(VALU_DEP_1) | instskip(SKIP_3) | instid1(VALU_DEP_1)
	v_add_co_ci_u32_e64 v37, s22, s47, v37, s22
	global_store_b32 v[36:37], v2, off
	s_or_b32 exec_lo, exec_lo, s23
	v_cmp_lt_u32_e64 s22, v53, v147
	s_and_saveexec_b32 s24, s22
	s_cbranch_execnz .LBB637_191
.LBB637_206:                            ;   in Loop: Header=BB637_106 Depth=2
	s_or_b32 exec_lo, exec_lo, s24
	v_cmp_lt_u32_e64 s23, v54, v147
	s_delay_alu instid0(VALU_DEP_1)
	s_and_saveexec_b32 s25, s23
	s_cbranch_execz .LBB637_192
.LBB637_207:                            ;   in Loop: Header=BB637_106 Depth=2
	ds_load_b32 v148, v78 offset:7168
	s_waitcnt lgkmcnt(0)
	v_lshrrev_b32_e32 v2, s38, v148
	s_delay_alu instid0(VALU_DEP_1) | instskip(NEXT) | instid1(VALU_DEP_1)
	v_and_b32_e32 v2, s39, v2
	v_lshlrev_b32_e32 v2, 2, v2
	ds_load_b32 v2, v2
	s_waitcnt lgkmcnt(0)
	v_add_nc_u32_e32 v2, v2, v54
	s_delay_alu instid0(VALU_DEP_1) | instskip(SKIP_1) | instid1(VALU_DEP_2)
	v_lshlrev_b64 v[36:37], 2, v[2:3]
	v_xor_b32_e32 v2, 0x80000000, v148
	v_add_co_u32 v36, s24, s46, v36
	s_delay_alu instid0(VALU_DEP_1) | instskip(SKIP_3) | instid1(VALU_DEP_1)
	v_add_co_ci_u32_e64 v37, s24, s47, v37, s24
	global_store_b32 v[36:37], v2, off
	s_or_b32 exec_lo, exec_lo, s25
	v_cmp_lt_u32_e64 s24, v55, v147
	s_and_saveexec_b32 s26, s24
	s_cbranch_execnz .LBB637_193
.LBB637_208:                            ;   in Loop: Header=BB637_106 Depth=2
	s_or_b32 exec_lo, exec_lo, s26
	v_cmp_lt_u32_e64 s25, v56, v147
	s_delay_alu instid0(VALU_DEP_1)
	s_and_saveexec_b32 s27, s25
	s_cbranch_execz .LBB637_194
.LBB637_209:                            ;   in Loop: Header=BB637_106 Depth=2
	ds_load_b32 v148, v78 offset:9216
	s_waitcnt lgkmcnt(0)
	v_lshrrev_b32_e32 v2, s38, v148
	s_delay_alu instid0(VALU_DEP_1) | instskip(NEXT) | instid1(VALU_DEP_1)
	v_and_b32_e32 v2, s39, v2
	v_lshlrev_b32_e32 v2, 2, v2
	ds_load_b32 v2, v2
	s_waitcnt lgkmcnt(0)
	v_add_nc_u32_e32 v2, v2, v56
	s_delay_alu instid0(VALU_DEP_1) | instskip(SKIP_1) | instid1(VALU_DEP_2)
	v_lshlrev_b64 v[36:37], 2, v[2:3]
	v_xor_b32_e32 v2, 0x80000000, v148
	v_add_co_u32 v36, s26, s46, v36
	s_delay_alu instid0(VALU_DEP_1) | instskip(SKIP_3) | instid1(VALU_DEP_1)
	v_add_co_ci_u32_e64 v37, s26, s47, v37, s26
	global_store_b32 v[36:37], v2, off
	s_or_b32 exec_lo, exec_lo, s27
	v_cmp_lt_u32_e64 s26, v57, v147
	s_and_saveexec_b32 s28, s26
	s_cbranch_execnz .LBB637_195
.LBB637_210:                            ;   in Loop: Header=BB637_106 Depth=2
	s_or_b32 exec_lo, exec_lo, s28
	v_cmp_lt_u32_e64 s27, v58, v147
	s_delay_alu instid0(VALU_DEP_1)
	s_and_saveexec_b32 s29, s27
	s_cbranch_execz .LBB637_196
.LBB637_211:                            ;   in Loop: Header=BB637_106 Depth=2
	ds_load_b32 v148, v78 offset:11264
	s_waitcnt lgkmcnt(0)
	v_lshrrev_b32_e32 v2, s38, v148
	s_delay_alu instid0(VALU_DEP_1) | instskip(NEXT) | instid1(VALU_DEP_1)
	v_and_b32_e32 v2, s39, v2
	v_lshlrev_b32_e32 v2, 2, v2
	ds_load_b32 v2, v2
	s_waitcnt lgkmcnt(0)
	v_add_nc_u32_e32 v2, v2, v58
	s_delay_alu instid0(VALU_DEP_1) | instskip(SKIP_1) | instid1(VALU_DEP_2)
	v_lshlrev_b64 v[36:37], 2, v[2:3]
	v_xor_b32_e32 v2, 0x80000000, v148
	v_add_co_u32 v36, s28, s46, v36
	s_delay_alu instid0(VALU_DEP_1) | instskip(SKIP_3) | instid1(VALU_DEP_1)
	v_add_co_ci_u32_e64 v37, s28, s47, v37, s28
	global_store_b32 v[36:37], v2, off
	s_or_b32 exec_lo, exec_lo, s29
	v_cmp_lt_u32_e64 s28, v59, v147
	s_and_saveexec_b32 s30, s28
	s_cbranch_execnz .LBB637_197
.LBB637_212:                            ;   in Loop: Header=BB637_106 Depth=2
	s_or_b32 exec_lo, exec_lo, s30
	v_cmp_lt_u32_e64 s29, v60, v147
	s_delay_alu instid0(VALU_DEP_1)
	s_and_saveexec_b32 s31, s29
	s_cbranch_execz .LBB637_198
.LBB637_213:                            ;   in Loop: Header=BB637_106 Depth=2
	ds_load_b32 v148, v78 offset:13312
	s_waitcnt lgkmcnt(0)
	v_lshrrev_b32_e32 v2, s38, v148
	s_delay_alu instid0(VALU_DEP_1) | instskip(NEXT) | instid1(VALU_DEP_1)
	v_and_b32_e32 v2, s39, v2
	v_lshlrev_b32_e32 v2, 2, v2
	ds_load_b32 v2, v2
	s_waitcnt lgkmcnt(0)
	v_add_nc_u32_e32 v2, v2, v60
	s_delay_alu instid0(VALU_DEP_1) | instskip(SKIP_1) | instid1(VALU_DEP_2)
	v_lshlrev_b64 v[36:37], 2, v[2:3]
	v_xor_b32_e32 v2, 0x80000000, v148
	v_add_co_u32 v36, s30, s46, v36
	s_delay_alu instid0(VALU_DEP_1) | instskip(SKIP_3) | instid1(VALU_DEP_1)
	v_add_co_ci_u32_e64 v37, s30, s47, v37, s30
	global_store_b32 v[36:37], v2, off
	s_or_b32 exec_lo, exec_lo, s31
	v_cmp_lt_u32_e64 s30, v61, v147
	s_and_saveexec_b32 s33, s30
	s_cbranch_execnz .LBB637_199
.LBB637_214:                            ;   in Loop: Header=BB637_106 Depth=2
	s_or_b32 exec_lo, exec_lo, s33
	v_cmp_lt_u32_e64 s31, v63, v147
	s_delay_alu instid0(VALU_DEP_1)
	s_and_saveexec_b32 s42, s31
	s_cbranch_execz .LBB637_216
.LBB637_215:                            ;   in Loop: Header=BB637_106 Depth=2
	ds_load_b32 v148, v78 offset:15360
	s_waitcnt lgkmcnt(0)
	v_lshrrev_b32_e32 v2, s38, v148
	s_delay_alu instid0(VALU_DEP_1) | instskip(NEXT) | instid1(VALU_DEP_1)
	v_and_b32_e32 v2, s39, v2
	v_lshlrev_b32_e32 v2, 2, v2
	ds_load_b32 v2, v2
	s_waitcnt lgkmcnt(0)
	v_add_nc_u32_e32 v2, v2, v63
	s_delay_alu instid0(VALU_DEP_1) | instskip(SKIP_1) | instid1(VALU_DEP_2)
	v_lshlrev_b64 v[36:37], 2, v[2:3]
	v_xor_b32_e32 v2, 0x80000000, v148
	v_add_co_u32 v36, s33, s46, v36
	s_delay_alu instid0(VALU_DEP_1)
	v_add_co_ci_u32_e64 v37, s33, s47, v37, s33
	global_store_b32 v[36:37], v2, off
.LBB637_216:                            ;   in Loop: Header=BB637_106 Depth=2
	s_or_b32 exec_lo, exec_lo, s42
	s_lshl_b64 s[42:43], s[34:35], 3
	s_delay_alu instid0(SALU_CYCLE_1) | instskip(NEXT) | instid1(VALU_DEP_1)
	v_add_co_u32 v36, s33, v109, s42
	v_add_co_ci_u32_e64 v37, s33, s43, v110, s33
	v_cmp_lt_u32_e64 s33, v108, v147
	s_delay_alu instid0(VALU_DEP_1) | instskip(NEXT) | instid1(SALU_CYCLE_1)
	s_and_saveexec_b32 s34, s33
	s_xor_b32 s33, exec_lo, s34
	s_cbranch_execz .LBB637_248
; %bb.217:                              ;   in Loop: Header=BB637_106 Depth=2
	global_load_b64 v[34:35], v[36:37], off
	s_or_b32 exec_lo, exec_lo, s33
	s_delay_alu instid0(SALU_CYCLE_1)
	s_mov_b32 s34, exec_lo
	v_cmpx_lt_u32_e64 v111, v147
	s_cbranch_execnz .LBB637_249
.LBB637_218:                            ;   in Loop: Header=BB637_106 Depth=2
	s_or_b32 exec_lo, exec_lo, s34
	s_delay_alu instid0(SALU_CYCLE_1)
	s_mov_b32 s34, exec_lo
	v_cmpx_lt_u32_e64 v112, v147
	s_cbranch_execz .LBB637_250
.LBB637_219:                            ;   in Loop: Header=BB637_106 Depth=2
	global_load_b64 v[30:31], v[36:37], off offset:512
	s_or_b32 exec_lo, exec_lo, s34
	s_delay_alu instid0(SALU_CYCLE_1)
	s_mov_b32 s34, exec_lo
	v_cmpx_lt_u32_e64 v113, v147
	s_cbranch_execnz .LBB637_251
.LBB637_220:                            ;   in Loop: Header=BB637_106 Depth=2
	s_or_b32 exec_lo, exec_lo, s34
	s_delay_alu instid0(SALU_CYCLE_1)
	s_mov_b32 s34, exec_lo
	v_cmpx_lt_u32_e64 v114, v147
	s_cbranch_execz .LBB637_252
.LBB637_221:                            ;   in Loop: Header=BB637_106 Depth=2
	global_load_b64 v[26:27], v[36:37], off offset:1024
	s_or_b32 exec_lo, exec_lo, s34
	s_delay_alu instid0(SALU_CYCLE_1)
	s_mov_b32 s34, exec_lo
	v_cmpx_lt_u32_e64 v115, v147
	s_cbranch_execnz .LBB637_253
.LBB637_222:                            ;   in Loop: Header=BB637_106 Depth=2
	s_or_b32 exec_lo, exec_lo, s34
	s_delay_alu instid0(SALU_CYCLE_1)
	s_mov_b32 s34, exec_lo
	v_cmpx_lt_u32_e64 v116, v147
	s_cbranch_execz .LBB637_254
.LBB637_223:                            ;   in Loop: Header=BB637_106 Depth=2
	global_load_b64 v[22:23], v[36:37], off offset:1536
	s_or_b32 exec_lo, exec_lo, s34
	s_delay_alu instid0(SALU_CYCLE_1)
	s_mov_b32 s34, exec_lo
	v_cmpx_lt_u32_e64 v117, v147
	s_cbranch_execnz .LBB637_255
.LBB637_224:                            ;   in Loop: Header=BB637_106 Depth=2
	s_or_b32 exec_lo, exec_lo, s34
	s_delay_alu instid0(SALU_CYCLE_1)
	s_mov_b32 s34, exec_lo
	v_cmpx_lt_u32_e64 v118, v147
	s_cbranch_execz .LBB637_256
.LBB637_225:                            ;   in Loop: Header=BB637_106 Depth=2
	global_load_b64 v[18:19], v[36:37], off offset:2048
	s_or_b32 exec_lo, exec_lo, s34
	s_delay_alu instid0(SALU_CYCLE_1)
	s_mov_b32 s34, exec_lo
	v_cmpx_lt_u32_e64 v119, v147
	s_cbranch_execnz .LBB637_257
.LBB637_226:                            ;   in Loop: Header=BB637_106 Depth=2
	s_or_b32 exec_lo, exec_lo, s34
	s_delay_alu instid0(SALU_CYCLE_1)
	s_mov_b32 s34, exec_lo
	v_cmpx_lt_u32_e64 v120, v147
	s_cbranch_execz .LBB637_258
.LBB637_227:                            ;   in Loop: Header=BB637_106 Depth=2
	global_load_b64 v[14:15], v[36:37], off offset:2560
	s_or_b32 exec_lo, exec_lo, s34
	s_delay_alu instid0(SALU_CYCLE_1)
	s_mov_b32 s34, exec_lo
	v_cmpx_lt_u32_e64 v121, v147
	s_cbranch_execnz .LBB637_259
.LBB637_228:                            ;   in Loop: Header=BB637_106 Depth=2
	s_or_b32 exec_lo, exec_lo, s34
	s_delay_alu instid0(SALU_CYCLE_1)
	s_mov_b32 s34, exec_lo
	v_cmpx_lt_u32_e64 v122, v147
	s_cbranch_execz .LBB637_260
.LBB637_229:                            ;   in Loop: Header=BB637_106 Depth=2
	global_load_b64 v[10:11], v[36:37], off offset:3072
	s_or_b32 exec_lo, exec_lo, s34
	s_delay_alu instid0(SALU_CYCLE_1)
	s_mov_b32 s34, exec_lo
	v_cmpx_lt_u32_e64 v123, v147
	s_cbranch_execnz .LBB637_261
.LBB637_230:                            ;   in Loop: Header=BB637_106 Depth=2
	s_or_b32 exec_lo, exec_lo, s34
	s_delay_alu instid0(SALU_CYCLE_1)
	s_mov_b32 s34, exec_lo
	v_cmpx_lt_u32_e64 v124, v147
	s_cbranch_execz .LBB637_262
.LBB637_231:                            ;   in Loop: Header=BB637_106 Depth=2
	global_load_b64 v[6:7], v[36:37], off offset:3584
	s_or_b32 exec_lo, exec_lo, s34
	s_delay_alu instid0(SALU_CYCLE_1)
	s_mov_b32 s34, exec_lo
	v_cmpx_lt_u32_e64 v125, v147
	s_cbranch_execnz .LBB637_263
.LBB637_232:                            ;   in Loop: Header=BB637_106 Depth=2
	s_or_b32 exec_lo, exec_lo, s34
	s_and_saveexec_b32 s33, vcc_lo
	s_cbranch_execz .LBB637_264
.LBB637_233:                            ;   in Loop: Header=BB637_106 Depth=2
	v_add_nc_u32_e32 v2, v70, v72
	ds_load_b32 v2, v2 offset:1024
	s_waitcnt lgkmcnt(0)
	v_lshrrev_b32_e32 v2, s38, v2
	s_delay_alu instid0(VALU_DEP_1)
	v_and_b32_e32 v146, s39, v2
	s_or_b32 exec_lo, exec_lo, s33
	s_and_saveexec_b32 s33, s17
	s_cbranch_execnz .LBB637_265
.LBB637_234:                            ;   in Loop: Header=BB637_106 Depth=2
	s_or_b32 exec_lo, exec_lo, s33
	s_and_saveexec_b32 s33, s18
	s_cbranch_execz .LBB637_266
.LBB637_235:                            ;   in Loop: Header=BB637_106 Depth=2
	ds_load_b32 v2, v78 offset:2048
	s_waitcnt lgkmcnt(0)
	v_lshrrev_b32_e32 v2, s38, v2
	s_delay_alu instid0(VALU_DEP_1)
	v_and_b32_e32 v144, s39, v2
	s_or_b32 exec_lo, exec_lo, s33
	s_and_saveexec_b32 s33, s19
	s_cbranch_execnz .LBB637_267
.LBB637_236:                            ;   in Loop: Header=BB637_106 Depth=2
	s_or_b32 exec_lo, exec_lo, s33
	s_and_saveexec_b32 s33, s20
	s_cbranch_execz .LBB637_268
.LBB637_237:                            ;   in Loop: Header=BB637_106 Depth=2
	ds_load_b32 v2, v78 offset:4096
	s_waitcnt lgkmcnt(0)
	v_lshrrev_b32_e32 v2, s38, v2
	s_delay_alu instid0(VALU_DEP_1)
	v_and_b32_e32 v142, s39, v2
	s_or_b32 exec_lo, exec_lo, s33
	s_and_saveexec_b32 s33, s21
	s_cbranch_execnz .LBB637_269
.LBB637_238:                            ;   in Loop: Header=BB637_106 Depth=2
	s_or_b32 exec_lo, exec_lo, s33
	s_and_saveexec_b32 s33, s22
	s_cbranch_execz .LBB637_270
.LBB637_239:                            ;   in Loop: Header=BB637_106 Depth=2
	ds_load_b32 v2, v78 offset:6144
	s_waitcnt lgkmcnt(0)
	v_lshrrev_b32_e32 v2, s38, v2
	s_delay_alu instid0(VALU_DEP_1)
	v_and_b32_e32 v140, s39, v2
	s_or_b32 exec_lo, exec_lo, s33
	s_and_saveexec_b32 s33, s23
	s_cbranch_execnz .LBB637_271
.LBB637_240:                            ;   in Loop: Header=BB637_106 Depth=2
	s_or_b32 exec_lo, exec_lo, s33
	s_and_saveexec_b32 s33, s24
	s_cbranch_execz .LBB637_272
.LBB637_241:                            ;   in Loop: Header=BB637_106 Depth=2
	ds_load_b32 v2, v78 offset:8192
	s_waitcnt lgkmcnt(0)
	v_lshrrev_b32_e32 v2, s38, v2
	s_delay_alu instid0(VALU_DEP_1)
	v_and_b32_e32 v138, s39, v2
	s_or_b32 exec_lo, exec_lo, s33
	s_and_saveexec_b32 s33, s25
	s_cbranch_execnz .LBB637_273
.LBB637_242:                            ;   in Loop: Header=BB637_106 Depth=2
	s_or_b32 exec_lo, exec_lo, s33
	s_and_saveexec_b32 s33, s26
	s_cbranch_execz .LBB637_274
.LBB637_243:                            ;   in Loop: Header=BB637_106 Depth=2
	ds_load_b32 v2, v78 offset:10240
	s_waitcnt lgkmcnt(0)
	v_lshrrev_b32_e32 v2, s38, v2
	s_delay_alu instid0(VALU_DEP_1)
	v_and_b32_e32 v136, s39, v2
	s_or_b32 exec_lo, exec_lo, s33
	s_and_saveexec_b32 s33, s27
	s_cbranch_execnz .LBB637_275
.LBB637_244:                            ;   in Loop: Header=BB637_106 Depth=2
	s_or_b32 exec_lo, exec_lo, s33
	s_and_saveexec_b32 s33, s28
	s_cbranch_execz .LBB637_276
.LBB637_245:                            ;   in Loop: Header=BB637_106 Depth=2
	ds_load_b32 v2, v78 offset:12288
	s_waitcnt lgkmcnt(0)
	v_lshrrev_b32_e32 v2, s38, v2
	s_delay_alu instid0(VALU_DEP_1)
	v_and_b32_e32 v134, s39, v2
	s_or_b32 exec_lo, exec_lo, s33
	s_and_saveexec_b32 s33, s29
	s_cbranch_execnz .LBB637_277
.LBB637_246:                            ;   in Loop: Header=BB637_106 Depth=2
	s_or_b32 exec_lo, exec_lo, s33
	s_and_saveexec_b32 s33, s30
	s_cbranch_execz .LBB637_278
.LBB637_247:                            ;   in Loop: Header=BB637_106 Depth=2
	ds_load_b32 v2, v78 offset:14336
	s_waitcnt lgkmcnt(0)
	v_lshrrev_b32_e32 v2, s38, v2
	s_delay_alu instid0(VALU_DEP_1)
	v_and_b32_e32 v132, s39, v2
	s_or_b32 exec_lo, exec_lo, s33
	s_and_saveexec_b32 s33, s31
	s_cbranch_execnz .LBB637_279
	s_branch .LBB637_280
.LBB637_248:                            ;   in Loop: Header=BB637_106 Depth=2
	s_or_b32 exec_lo, exec_lo, s33
	s_delay_alu instid0(SALU_CYCLE_1)
	s_mov_b32 s34, exec_lo
	v_cmpx_lt_u32_e64 v111, v147
	s_cbranch_execz .LBB637_218
.LBB637_249:                            ;   in Loop: Header=BB637_106 Depth=2
	global_load_b64 v[32:33], v[36:37], off offset:256
	s_or_b32 exec_lo, exec_lo, s34
	s_delay_alu instid0(SALU_CYCLE_1)
	s_mov_b32 s34, exec_lo
	v_cmpx_lt_u32_e64 v112, v147
	s_cbranch_execnz .LBB637_219
.LBB637_250:                            ;   in Loop: Header=BB637_106 Depth=2
	s_or_b32 exec_lo, exec_lo, s34
	s_delay_alu instid0(SALU_CYCLE_1)
	s_mov_b32 s34, exec_lo
	v_cmpx_lt_u32_e64 v113, v147
	s_cbranch_execz .LBB637_220
.LBB637_251:                            ;   in Loop: Header=BB637_106 Depth=2
	global_load_b64 v[28:29], v[36:37], off offset:768
	s_or_b32 exec_lo, exec_lo, s34
	s_delay_alu instid0(SALU_CYCLE_1)
	s_mov_b32 s34, exec_lo
	v_cmpx_lt_u32_e64 v114, v147
	s_cbranch_execnz .LBB637_221
.LBB637_252:                            ;   in Loop: Header=BB637_106 Depth=2
	s_or_b32 exec_lo, exec_lo, s34
	s_delay_alu instid0(SALU_CYCLE_1)
	s_mov_b32 s34, exec_lo
	v_cmpx_lt_u32_e64 v115, v147
	s_cbranch_execz .LBB637_222
.LBB637_253:                            ;   in Loop: Header=BB637_106 Depth=2
	global_load_b64 v[24:25], v[36:37], off offset:1280
	s_or_b32 exec_lo, exec_lo, s34
	s_delay_alu instid0(SALU_CYCLE_1)
	s_mov_b32 s34, exec_lo
	v_cmpx_lt_u32_e64 v116, v147
	s_cbranch_execnz .LBB637_223
.LBB637_254:                            ;   in Loop: Header=BB637_106 Depth=2
	s_or_b32 exec_lo, exec_lo, s34
	s_delay_alu instid0(SALU_CYCLE_1)
	s_mov_b32 s34, exec_lo
	v_cmpx_lt_u32_e64 v117, v147
	s_cbranch_execz .LBB637_224
.LBB637_255:                            ;   in Loop: Header=BB637_106 Depth=2
	global_load_b64 v[20:21], v[36:37], off offset:1792
	s_or_b32 exec_lo, exec_lo, s34
	s_delay_alu instid0(SALU_CYCLE_1)
	s_mov_b32 s34, exec_lo
	v_cmpx_lt_u32_e64 v118, v147
	s_cbranch_execnz .LBB637_225
.LBB637_256:                            ;   in Loop: Header=BB637_106 Depth=2
	s_or_b32 exec_lo, exec_lo, s34
	s_delay_alu instid0(SALU_CYCLE_1)
	s_mov_b32 s34, exec_lo
	v_cmpx_lt_u32_e64 v119, v147
	s_cbranch_execz .LBB637_226
.LBB637_257:                            ;   in Loop: Header=BB637_106 Depth=2
	global_load_b64 v[16:17], v[36:37], off offset:2304
	s_or_b32 exec_lo, exec_lo, s34
	s_delay_alu instid0(SALU_CYCLE_1)
	s_mov_b32 s34, exec_lo
	v_cmpx_lt_u32_e64 v120, v147
	s_cbranch_execnz .LBB637_227
.LBB637_258:                            ;   in Loop: Header=BB637_106 Depth=2
	s_or_b32 exec_lo, exec_lo, s34
	s_delay_alu instid0(SALU_CYCLE_1)
	s_mov_b32 s34, exec_lo
	v_cmpx_lt_u32_e64 v121, v147
	s_cbranch_execz .LBB637_228
.LBB637_259:                            ;   in Loop: Header=BB637_106 Depth=2
	global_load_b64 v[12:13], v[36:37], off offset:2816
	s_or_b32 exec_lo, exec_lo, s34
	s_delay_alu instid0(SALU_CYCLE_1)
	s_mov_b32 s34, exec_lo
	v_cmpx_lt_u32_e64 v122, v147
	s_cbranch_execnz .LBB637_229
.LBB637_260:                            ;   in Loop: Header=BB637_106 Depth=2
	s_or_b32 exec_lo, exec_lo, s34
	s_delay_alu instid0(SALU_CYCLE_1)
	s_mov_b32 s34, exec_lo
	v_cmpx_lt_u32_e64 v123, v147
	s_cbranch_execz .LBB637_230
.LBB637_261:                            ;   in Loop: Header=BB637_106 Depth=2
	global_load_b64 v[8:9], v[36:37], off offset:3328
	s_or_b32 exec_lo, exec_lo, s34
	s_delay_alu instid0(SALU_CYCLE_1)
	s_mov_b32 s34, exec_lo
	v_cmpx_lt_u32_e64 v124, v147
	s_cbranch_execnz .LBB637_231
.LBB637_262:                            ;   in Loop: Header=BB637_106 Depth=2
	s_or_b32 exec_lo, exec_lo, s34
	s_delay_alu instid0(SALU_CYCLE_1)
	s_mov_b32 s34, exec_lo
	v_cmpx_lt_u32_e64 v125, v147
	s_cbranch_execz .LBB637_232
.LBB637_263:                            ;   in Loop: Header=BB637_106 Depth=2
	global_load_b64 v[4:5], v[36:37], off offset:3840
	s_or_b32 exec_lo, exec_lo, s34
	s_and_saveexec_b32 s33, vcc_lo
	s_cbranch_execnz .LBB637_233
.LBB637_264:                            ;   in Loop: Header=BB637_106 Depth=2
	s_or_b32 exec_lo, exec_lo, s33
	s_and_saveexec_b32 s33, s17
	s_cbranch_execz .LBB637_234
.LBB637_265:                            ;   in Loop: Header=BB637_106 Depth=2
	ds_load_b32 v2, v78 offset:1024
	s_waitcnt lgkmcnt(0)
	v_lshrrev_b32_e32 v2, s38, v2
	s_delay_alu instid0(VALU_DEP_1)
	v_and_b32_e32 v145, s39, v2
	s_or_b32 exec_lo, exec_lo, s33
	s_and_saveexec_b32 s33, s18
	s_cbranch_execnz .LBB637_235
.LBB637_266:                            ;   in Loop: Header=BB637_106 Depth=2
	s_or_b32 exec_lo, exec_lo, s33
	s_and_saveexec_b32 s33, s19
	s_cbranch_execz .LBB637_236
.LBB637_267:                            ;   in Loop: Header=BB637_106 Depth=2
	ds_load_b32 v2, v78 offset:3072
	s_waitcnt lgkmcnt(0)
	v_lshrrev_b32_e32 v2, s38, v2
	s_delay_alu instid0(VALU_DEP_1)
	v_and_b32_e32 v143, s39, v2
	s_or_b32 exec_lo, exec_lo, s33
	s_and_saveexec_b32 s33, s20
	s_cbranch_execnz .LBB637_237
.LBB637_268:                            ;   in Loop: Header=BB637_106 Depth=2
	s_or_b32 exec_lo, exec_lo, s33
	s_and_saveexec_b32 s33, s21
	s_cbranch_execz .LBB637_238
.LBB637_269:                            ;   in Loop: Header=BB637_106 Depth=2
	ds_load_b32 v2, v78 offset:5120
	s_waitcnt lgkmcnt(0)
	v_lshrrev_b32_e32 v2, s38, v2
	s_delay_alu instid0(VALU_DEP_1)
	v_and_b32_e32 v141, s39, v2
	s_or_b32 exec_lo, exec_lo, s33
	s_and_saveexec_b32 s33, s22
	s_cbranch_execnz .LBB637_239
.LBB637_270:                            ;   in Loop: Header=BB637_106 Depth=2
	s_or_b32 exec_lo, exec_lo, s33
	s_and_saveexec_b32 s33, s23
	s_cbranch_execz .LBB637_240
.LBB637_271:                            ;   in Loop: Header=BB637_106 Depth=2
	ds_load_b32 v2, v78 offset:7168
	s_waitcnt lgkmcnt(0)
	v_lshrrev_b32_e32 v2, s38, v2
	s_delay_alu instid0(VALU_DEP_1)
	v_and_b32_e32 v139, s39, v2
	s_or_b32 exec_lo, exec_lo, s33
	s_and_saveexec_b32 s33, s24
	s_cbranch_execnz .LBB637_241
.LBB637_272:                            ;   in Loop: Header=BB637_106 Depth=2
	s_or_b32 exec_lo, exec_lo, s33
	s_and_saveexec_b32 s33, s25
	s_cbranch_execz .LBB637_242
.LBB637_273:                            ;   in Loop: Header=BB637_106 Depth=2
	ds_load_b32 v2, v78 offset:9216
	s_waitcnt lgkmcnt(0)
	v_lshrrev_b32_e32 v2, s38, v2
	s_delay_alu instid0(VALU_DEP_1)
	v_and_b32_e32 v137, s39, v2
	s_or_b32 exec_lo, exec_lo, s33
	s_and_saveexec_b32 s33, s26
	s_cbranch_execnz .LBB637_243
.LBB637_274:                            ;   in Loop: Header=BB637_106 Depth=2
	s_or_b32 exec_lo, exec_lo, s33
	s_and_saveexec_b32 s33, s27
	s_cbranch_execz .LBB637_244
.LBB637_275:                            ;   in Loop: Header=BB637_106 Depth=2
	ds_load_b32 v2, v78 offset:11264
	s_waitcnt lgkmcnt(0)
	v_lshrrev_b32_e32 v2, s38, v2
	s_delay_alu instid0(VALU_DEP_1)
	v_and_b32_e32 v135, s39, v2
	s_or_b32 exec_lo, exec_lo, s33
	s_and_saveexec_b32 s33, s28
	s_cbranch_execnz .LBB637_245
.LBB637_276:                            ;   in Loop: Header=BB637_106 Depth=2
	s_or_b32 exec_lo, exec_lo, s33
	s_and_saveexec_b32 s33, s29
	s_cbranch_execz .LBB637_246
.LBB637_277:                            ;   in Loop: Header=BB637_106 Depth=2
	ds_load_b32 v2, v78 offset:13312
	s_waitcnt lgkmcnt(0)
	v_lshrrev_b32_e32 v2, s38, v2
	s_delay_alu instid0(VALU_DEP_1)
	v_and_b32_e32 v133, s39, v2
	s_or_b32 exec_lo, exec_lo, s33
	s_and_saveexec_b32 s33, s30
	s_cbranch_execnz .LBB637_247
.LBB637_278:                            ;   in Loop: Header=BB637_106 Depth=2
	s_or_b32 exec_lo, exec_lo, s33
	s_and_saveexec_b32 s33, s31
	s_cbranch_execz .LBB637_280
.LBB637_279:                            ;   in Loop: Header=BB637_106 Depth=2
	ds_load_b32 v2, v78 offset:15360
	s_waitcnt lgkmcnt(0)
	v_lshrrev_b32_e32 v2, s38, v2
	s_delay_alu instid0(VALU_DEP_1)
	v_and_b32_e32 v131, s39, v2
.LBB637_280:                            ;   in Loop: Header=BB637_106 Depth=2
	s_or_b32 exec_lo, exec_lo, s33
	v_lshlrev_b32_e32 v2, 3, v170
	v_lshlrev_b32_e32 v36, 3, v166
	s_waitcnt vmcnt(0)
	s_waitcnt_vscnt null, 0x0
	s_barrier
	buffer_gl0_inv
	ds_store_b64 v2, v[34:35] offset:1024
	v_lshlrev_b32_e32 v2, 3, v162
	v_lshlrev_b32_e32 v37, 3, v158
	;; [unrolled: 1-line block ×4, first 2 shown]
	ds_store_b64 v36, v[32:33] offset:1024
	ds_store_b64 v2, v[30:31] offset:1024
	;; [unrolled: 1-line block ×5, first 2 shown]
	v_lshlrev_b32_e32 v2, 3, v154
	v_lshlrev_b32_e32 v36, 3, v153
	v_lshlrev_b32_e32 v37, 3, v152
	v_lshlrev_b32_e32 v147, 3, v150
	v_lshlrev_b32_e32 v148, 3, v149
	ds_store_b64 v2, v[22:23] offset:1024
	ds_store_b64 v36, v[20:21] offset:1024
	;; [unrolled: 1-line block ×5, first 2 shown]
	v_lshlrev_b32_e32 v2, 3, v40
	v_lshlrev_b32_e32 v36, 3, v39
	;; [unrolled: 1-line block ×5, first 2 shown]
	ds_store_b64 v2, v[12:13] offset:1024
	ds_store_b64 v36, v[10:11] offset:1024
	;; [unrolled: 1-line block ×5, first 2 shown]
	s_waitcnt lgkmcnt(0)
	s_barrier
	buffer_gl0_inv
	s_and_saveexec_b32 s33, vcc_lo
	s_cbranch_execz .LBB637_296
; %bb.281:                              ;   in Loop: Header=BB637_106 Depth=2
	v_lshlrev_b32_e32 v2, 2, v146
	ds_load_b32 v2, v2
	ds_load_b64 v[36:37], v79 offset:1024
	s_waitcnt lgkmcnt(1)
	v_add_nc_u32_e32 v2, v2, v1
	s_delay_alu instid0(VALU_DEP_1) | instskip(NEXT) | instid1(VALU_DEP_1)
	v_lshlrev_b64 v[39:40], 3, v[2:3]
	v_add_co_u32 v39, vcc_lo, s52, v39
	s_delay_alu instid0(VALU_DEP_2)
	v_add_co_ci_u32_e32 v40, vcc_lo, s53, v40, vcc_lo
	s_waitcnt lgkmcnt(0)
	global_store_b64 v[39:40], v[36:37], off
	s_or_b32 exec_lo, exec_lo, s33
	s_and_saveexec_b32 s33, s17
	s_cbranch_execnz .LBB637_297
.LBB637_282:                            ;   in Loop: Header=BB637_106 Depth=2
	s_or_b32 exec_lo, exec_lo, s33
	s_and_saveexec_b32 s17, s18
	s_cbranch_execz .LBB637_298
.LBB637_283:                            ;   in Loop: Header=BB637_106 Depth=2
	v_lshlrev_b32_e32 v2, 2, v144
	v_add_nc_u32_e32 v36, v78, v44
	ds_load_b32 v2, v2
	ds_load_b64 v[36:37], v36 offset:4096
	s_waitcnt lgkmcnt(1)
	v_add_nc_u32_e32 v2, v2, v46
	s_delay_alu instid0(VALU_DEP_1) | instskip(NEXT) | instid1(VALU_DEP_1)
	v_lshlrev_b64 v[39:40], 3, v[2:3]
	v_add_co_u32 v39, vcc_lo, s52, v39
	s_delay_alu instid0(VALU_DEP_2)
	v_add_co_ci_u32_e32 v40, vcc_lo, s53, v40, vcc_lo
	s_waitcnt lgkmcnt(0)
	global_store_b64 v[39:40], v[36:37], off
	s_or_b32 exec_lo, exec_lo, s17
	s_and_saveexec_b32 s17, s19
	s_cbranch_execnz .LBB637_299
.LBB637_284:                            ;   in Loop: Header=BB637_106 Depth=2
	s_or_b32 exec_lo, exec_lo, s17
	s_and_saveexec_b32 s17, s20
	s_cbranch_execz .LBB637_300
.LBB637_285:                            ;   in Loop: Header=BB637_106 Depth=2
	v_lshlrev_b32_e32 v2, 2, v142
	v_add_nc_u32_e32 v36, v78, v44
	ds_load_b32 v2, v2
	ds_load_b64 v[36:37], v36 offset:8192
	s_waitcnt lgkmcnt(1)
	v_add_nc_u32_e32 v2, v2, v51
	s_delay_alu instid0(VALU_DEP_1) | instskip(NEXT) | instid1(VALU_DEP_1)
	v_lshlrev_b64 v[39:40], 3, v[2:3]
	v_add_co_u32 v39, vcc_lo, s52, v39
	s_delay_alu instid0(VALU_DEP_2)
	v_add_co_ci_u32_e32 v40, vcc_lo, s53, v40, vcc_lo
	s_waitcnt lgkmcnt(0)
	global_store_b64 v[39:40], v[36:37], off
	s_or_b32 exec_lo, exec_lo, s17
	s_and_saveexec_b32 s17, s21
	s_cbranch_execnz .LBB637_301
.LBB637_286:                            ;   in Loop: Header=BB637_106 Depth=2
	s_or_b32 exec_lo, exec_lo, s17
	s_and_saveexec_b32 s17, s22
	s_cbranch_execz .LBB637_302
.LBB637_287:                            ;   in Loop: Header=BB637_106 Depth=2
	v_lshlrev_b32_e32 v2, 2, v140
	v_add_nc_u32_e32 v36, v78, v44
	ds_load_b32 v2, v2
	ds_load_b64 v[36:37], v36 offset:12288
	s_waitcnt lgkmcnt(1)
	v_add_nc_u32_e32 v2, v2, v53
	s_delay_alu instid0(VALU_DEP_1) | instskip(NEXT) | instid1(VALU_DEP_1)
	v_lshlrev_b64 v[39:40], 3, v[2:3]
	v_add_co_u32 v39, vcc_lo, s52, v39
	s_delay_alu instid0(VALU_DEP_2)
	v_add_co_ci_u32_e32 v40, vcc_lo, s53, v40, vcc_lo
	s_waitcnt lgkmcnt(0)
	global_store_b64 v[39:40], v[36:37], off
	s_or_b32 exec_lo, exec_lo, s17
	s_and_saveexec_b32 s17, s23
	s_cbranch_execnz .LBB637_303
.LBB637_288:                            ;   in Loop: Header=BB637_106 Depth=2
	s_or_b32 exec_lo, exec_lo, s17
	s_and_saveexec_b32 s17, s24
	s_cbranch_execz .LBB637_304
.LBB637_289:                            ;   in Loop: Header=BB637_106 Depth=2
	v_lshlrev_b32_e32 v2, 2, v138
	v_add_nc_u32_e32 v36, v78, v44
	ds_load_b32 v2, v2
	ds_load_b64 v[36:37], v36 offset:16384
	s_waitcnt lgkmcnt(1)
	v_add_nc_u32_e32 v2, v2, v55
	s_delay_alu instid0(VALU_DEP_1) | instskip(NEXT) | instid1(VALU_DEP_1)
	v_lshlrev_b64 v[39:40], 3, v[2:3]
	v_add_co_u32 v39, vcc_lo, s52, v39
	s_delay_alu instid0(VALU_DEP_2)
	v_add_co_ci_u32_e32 v40, vcc_lo, s53, v40, vcc_lo
	s_waitcnt lgkmcnt(0)
	global_store_b64 v[39:40], v[36:37], off
	s_or_b32 exec_lo, exec_lo, s17
	s_and_saveexec_b32 s17, s25
	s_cbranch_execnz .LBB637_305
.LBB637_290:                            ;   in Loop: Header=BB637_106 Depth=2
	s_or_b32 exec_lo, exec_lo, s17
	s_and_saveexec_b32 s17, s26
	s_cbranch_execz .LBB637_306
.LBB637_291:                            ;   in Loop: Header=BB637_106 Depth=2
	v_lshlrev_b32_e32 v2, 2, v136
	v_add_nc_u32_e32 v36, v78, v44
	ds_load_b32 v2, v2
	ds_load_b64 v[36:37], v36 offset:20480
	s_waitcnt lgkmcnt(1)
	v_add_nc_u32_e32 v2, v2, v57
	s_delay_alu instid0(VALU_DEP_1) | instskip(NEXT) | instid1(VALU_DEP_1)
	v_lshlrev_b64 v[39:40], 3, v[2:3]
	v_add_co_u32 v39, vcc_lo, s52, v39
	s_delay_alu instid0(VALU_DEP_2)
	v_add_co_ci_u32_e32 v40, vcc_lo, s53, v40, vcc_lo
	s_waitcnt lgkmcnt(0)
	global_store_b64 v[39:40], v[36:37], off
	s_or_b32 exec_lo, exec_lo, s17
	s_and_saveexec_b32 s17, s27
	s_cbranch_execnz .LBB637_307
.LBB637_292:                            ;   in Loop: Header=BB637_106 Depth=2
	s_or_b32 exec_lo, exec_lo, s17
	s_and_saveexec_b32 s17, s28
	s_cbranch_execz .LBB637_308
.LBB637_293:                            ;   in Loop: Header=BB637_106 Depth=2
	v_lshlrev_b32_e32 v2, 2, v134
	v_add_nc_u32_e32 v36, v78, v44
	ds_load_b32 v2, v2
	ds_load_b64 v[36:37], v36 offset:24576
	s_waitcnt lgkmcnt(1)
	v_add_nc_u32_e32 v2, v2, v59
	s_delay_alu instid0(VALU_DEP_1) | instskip(NEXT) | instid1(VALU_DEP_1)
	v_lshlrev_b64 v[39:40], 3, v[2:3]
	v_add_co_u32 v39, vcc_lo, s52, v39
	s_delay_alu instid0(VALU_DEP_2)
	v_add_co_ci_u32_e32 v40, vcc_lo, s53, v40, vcc_lo
	s_waitcnt lgkmcnt(0)
	global_store_b64 v[39:40], v[36:37], off
	s_or_b32 exec_lo, exec_lo, s17
	s_and_saveexec_b32 s17, s29
	s_cbranch_execnz .LBB637_309
.LBB637_294:                            ;   in Loop: Header=BB637_106 Depth=2
	s_or_b32 exec_lo, exec_lo, s17
	s_and_saveexec_b32 s17, s30
	s_cbranch_execz .LBB637_310
.LBB637_295:                            ;   in Loop: Header=BB637_106 Depth=2
	v_lshlrev_b32_e32 v2, 2, v132
	v_add_nc_u32_e32 v36, v78, v44
	ds_load_b32 v2, v2
	ds_load_b64 v[36:37], v36 offset:28672
	s_waitcnt lgkmcnt(1)
	v_add_nc_u32_e32 v2, v2, v61
	s_delay_alu instid0(VALU_DEP_1) | instskip(NEXT) | instid1(VALU_DEP_1)
	v_lshlrev_b64 v[39:40], 3, v[2:3]
	v_add_co_u32 v39, vcc_lo, s52, v39
	s_delay_alu instid0(VALU_DEP_2)
	v_add_co_ci_u32_e32 v40, vcc_lo, s53, v40, vcc_lo
	s_waitcnt lgkmcnt(0)
	global_store_b64 v[39:40], v[36:37], off
	s_or_b32 exec_lo, exec_lo, s17
	s_and_saveexec_b32 s17, s31
	s_cbranch_execnz .LBB637_311
	s_branch .LBB637_312
.LBB637_296:                            ;   in Loop: Header=BB637_106 Depth=2
	s_or_b32 exec_lo, exec_lo, s33
	s_and_saveexec_b32 s33, s17
	s_cbranch_execz .LBB637_282
.LBB637_297:                            ;   in Loop: Header=BB637_106 Depth=2
	v_lshlrev_b32_e32 v2, 2, v145
	v_add_nc_u32_e32 v36, v78, v44
	ds_load_b32 v2, v2
	ds_load_b64 v[36:37], v36 offset:2048
	s_waitcnt lgkmcnt(1)
	v_add_nc_u32_e32 v2, v2, v45
	s_delay_alu instid0(VALU_DEP_1) | instskip(NEXT) | instid1(VALU_DEP_1)
	v_lshlrev_b64 v[39:40], 3, v[2:3]
	v_add_co_u32 v39, vcc_lo, s52, v39
	s_delay_alu instid0(VALU_DEP_2)
	v_add_co_ci_u32_e32 v40, vcc_lo, s53, v40, vcc_lo
	s_waitcnt lgkmcnt(0)
	global_store_b64 v[39:40], v[36:37], off
	s_or_b32 exec_lo, exec_lo, s33
	s_and_saveexec_b32 s17, s18
	s_cbranch_execnz .LBB637_283
.LBB637_298:                            ;   in Loop: Header=BB637_106 Depth=2
	s_or_b32 exec_lo, exec_lo, s17
	s_and_saveexec_b32 s17, s19
	s_cbranch_execz .LBB637_284
.LBB637_299:                            ;   in Loop: Header=BB637_106 Depth=2
	v_lshlrev_b32_e32 v2, 2, v143
	v_add_nc_u32_e32 v36, v78, v44
	ds_load_b32 v2, v2
	ds_load_b64 v[36:37], v36 offset:6144
	s_waitcnt lgkmcnt(1)
	v_add_nc_u32_e32 v2, v2, v47
	s_delay_alu instid0(VALU_DEP_1) | instskip(NEXT) | instid1(VALU_DEP_1)
	v_lshlrev_b64 v[39:40], 3, v[2:3]
	v_add_co_u32 v39, vcc_lo, s52, v39
	s_delay_alu instid0(VALU_DEP_2)
	v_add_co_ci_u32_e32 v40, vcc_lo, s53, v40, vcc_lo
	s_waitcnt lgkmcnt(0)
	global_store_b64 v[39:40], v[36:37], off
	s_or_b32 exec_lo, exec_lo, s17
	s_and_saveexec_b32 s17, s20
	s_cbranch_execnz .LBB637_285
.LBB637_300:                            ;   in Loop: Header=BB637_106 Depth=2
	s_or_b32 exec_lo, exec_lo, s17
	s_and_saveexec_b32 s17, s21
	s_cbranch_execz .LBB637_286
.LBB637_301:                            ;   in Loop: Header=BB637_106 Depth=2
	v_lshlrev_b32_e32 v2, 2, v141
	v_add_nc_u32_e32 v36, v78, v44
	ds_load_b32 v2, v2
	ds_load_b64 v[36:37], v36 offset:10240
	s_waitcnt lgkmcnt(1)
	v_add_nc_u32_e32 v2, v2, v52
	s_delay_alu instid0(VALU_DEP_1) | instskip(NEXT) | instid1(VALU_DEP_1)
	v_lshlrev_b64 v[39:40], 3, v[2:3]
	v_add_co_u32 v39, vcc_lo, s52, v39
	s_delay_alu instid0(VALU_DEP_2)
	v_add_co_ci_u32_e32 v40, vcc_lo, s53, v40, vcc_lo
	s_waitcnt lgkmcnt(0)
	global_store_b64 v[39:40], v[36:37], off
	s_or_b32 exec_lo, exec_lo, s17
	s_and_saveexec_b32 s17, s22
	s_cbranch_execnz .LBB637_287
.LBB637_302:                            ;   in Loop: Header=BB637_106 Depth=2
	s_or_b32 exec_lo, exec_lo, s17
	s_and_saveexec_b32 s17, s23
	s_cbranch_execz .LBB637_288
.LBB637_303:                            ;   in Loop: Header=BB637_106 Depth=2
	v_lshlrev_b32_e32 v2, 2, v139
	v_add_nc_u32_e32 v36, v78, v44
	ds_load_b32 v2, v2
	ds_load_b64 v[36:37], v36 offset:14336
	s_waitcnt lgkmcnt(1)
	v_add_nc_u32_e32 v2, v2, v54
	s_delay_alu instid0(VALU_DEP_1) | instskip(NEXT) | instid1(VALU_DEP_1)
	v_lshlrev_b64 v[39:40], 3, v[2:3]
	v_add_co_u32 v39, vcc_lo, s52, v39
	s_delay_alu instid0(VALU_DEP_2)
	v_add_co_ci_u32_e32 v40, vcc_lo, s53, v40, vcc_lo
	s_waitcnt lgkmcnt(0)
	global_store_b64 v[39:40], v[36:37], off
	s_or_b32 exec_lo, exec_lo, s17
	s_and_saveexec_b32 s17, s24
	s_cbranch_execnz .LBB637_289
.LBB637_304:                            ;   in Loop: Header=BB637_106 Depth=2
	s_or_b32 exec_lo, exec_lo, s17
	s_and_saveexec_b32 s17, s25
	s_cbranch_execz .LBB637_290
.LBB637_305:                            ;   in Loop: Header=BB637_106 Depth=2
	v_lshlrev_b32_e32 v2, 2, v137
	v_add_nc_u32_e32 v36, v78, v44
	ds_load_b32 v2, v2
	ds_load_b64 v[36:37], v36 offset:18432
	s_waitcnt lgkmcnt(1)
	v_add_nc_u32_e32 v2, v2, v56
	s_delay_alu instid0(VALU_DEP_1) | instskip(NEXT) | instid1(VALU_DEP_1)
	v_lshlrev_b64 v[39:40], 3, v[2:3]
	v_add_co_u32 v39, vcc_lo, s52, v39
	s_delay_alu instid0(VALU_DEP_2)
	v_add_co_ci_u32_e32 v40, vcc_lo, s53, v40, vcc_lo
	s_waitcnt lgkmcnt(0)
	global_store_b64 v[39:40], v[36:37], off
	s_or_b32 exec_lo, exec_lo, s17
	s_and_saveexec_b32 s17, s26
	s_cbranch_execnz .LBB637_291
.LBB637_306:                            ;   in Loop: Header=BB637_106 Depth=2
	s_or_b32 exec_lo, exec_lo, s17
	s_and_saveexec_b32 s17, s27
	s_cbranch_execz .LBB637_292
.LBB637_307:                            ;   in Loop: Header=BB637_106 Depth=2
	v_lshlrev_b32_e32 v2, 2, v135
	v_add_nc_u32_e32 v36, v78, v44
	ds_load_b32 v2, v2
	ds_load_b64 v[36:37], v36 offset:22528
	s_waitcnt lgkmcnt(1)
	v_add_nc_u32_e32 v2, v2, v58
	s_delay_alu instid0(VALU_DEP_1) | instskip(NEXT) | instid1(VALU_DEP_1)
	v_lshlrev_b64 v[39:40], 3, v[2:3]
	v_add_co_u32 v39, vcc_lo, s52, v39
	s_delay_alu instid0(VALU_DEP_2)
	v_add_co_ci_u32_e32 v40, vcc_lo, s53, v40, vcc_lo
	s_waitcnt lgkmcnt(0)
	global_store_b64 v[39:40], v[36:37], off
	s_or_b32 exec_lo, exec_lo, s17
	s_and_saveexec_b32 s17, s28
	s_cbranch_execnz .LBB637_293
.LBB637_308:                            ;   in Loop: Header=BB637_106 Depth=2
	s_or_b32 exec_lo, exec_lo, s17
	s_and_saveexec_b32 s17, s29
	s_cbranch_execz .LBB637_294
.LBB637_309:                            ;   in Loop: Header=BB637_106 Depth=2
	v_lshlrev_b32_e32 v2, 2, v133
	v_add_nc_u32_e32 v36, v78, v44
	ds_load_b32 v2, v2
	ds_load_b64 v[36:37], v36 offset:26624
	s_waitcnt lgkmcnt(1)
	v_add_nc_u32_e32 v2, v2, v60
	s_delay_alu instid0(VALU_DEP_1) | instskip(NEXT) | instid1(VALU_DEP_1)
	v_lshlrev_b64 v[39:40], 3, v[2:3]
	v_add_co_u32 v39, vcc_lo, s52, v39
	s_delay_alu instid0(VALU_DEP_2)
	v_add_co_ci_u32_e32 v40, vcc_lo, s53, v40, vcc_lo
	s_waitcnt lgkmcnt(0)
	global_store_b64 v[39:40], v[36:37], off
	s_or_b32 exec_lo, exec_lo, s17
	s_and_saveexec_b32 s17, s30
	s_cbranch_execnz .LBB637_295
.LBB637_310:                            ;   in Loop: Header=BB637_106 Depth=2
	s_or_b32 exec_lo, exec_lo, s17
	s_and_saveexec_b32 s17, s31
	s_cbranch_execz .LBB637_312
.LBB637_311:                            ;   in Loop: Header=BB637_106 Depth=2
	v_lshlrev_b32_e32 v2, 2, v131
	v_add_nc_u32_e32 v36, v78, v44
	ds_load_b32 v2, v2
	ds_load_b64 v[36:37], v36 offset:30720
	s_waitcnt lgkmcnt(1)
	v_add_nc_u32_e32 v2, v2, v63
	s_delay_alu instid0(VALU_DEP_1) | instskip(NEXT) | instid1(VALU_DEP_1)
	v_lshlrev_b64 v[39:40], 3, v[2:3]
	v_add_co_u32 v39, vcc_lo, s52, v39
	s_delay_alu instid0(VALU_DEP_2)
	v_add_co_ci_u32_e32 v40, vcc_lo, s53, v40, vcc_lo
	s_waitcnt lgkmcnt(0)
	global_store_b64 v[39:40], v[36:37], off
.LBB637_312:                            ;   in Loop: Header=BB637_106 Depth=2
	s_or_b32 exec_lo, exec_lo, s17
	s_waitcnt_vscnt null, 0x0
	s_barrier
	buffer_gl0_inv
	s_and_saveexec_b32 s17, s2
	s_cbranch_execz .LBB637_105
; %bb.313:                              ;   in Loop: Header=BB637_106 Depth=2
	ds_load_b32 v2, v44
	s_waitcnt lgkmcnt(0)
	v_add_nc_u32_e32 v2, v2, v38
	ds_store_b32 v44, v2
	s_branch .LBB637_105
.LBB637_314:                            ;   in Loop: Header=BB637_20 Depth=1
	s_waitcnt lgkmcnt(0)
	s_mov_b32 s0, 0
	s_barrier
.LBB637_315:                            ;   in Loop: Header=BB637_20 Depth=1
	s_and_b32 vcc_lo, exec_lo, s0
	s_cbranch_vccz .LBB637_609
; %bb.316:                              ;   in Loop: Header=BB637_20 Depth=1
	s_mov_b32 s8, s62
	s_mov_b32 s34, s60
	s_barrier
	buffer_gl0_inv
                                        ; implicit-def: $vgpr20
                                        ; implicit-def: $vgpr2
                                        ; implicit-def: $vgpr6
                                        ; implicit-def: $vgpr7
                                        ; implicit-def: $vgpr8
                                        ; implicit-def: $vgpr9
                                        ; implicit-def: $vgpr10
                                        ; implicit-def: $vgpr11
                                        ; implicit-def: $vgpr12
                                        ; implicit-def: $vgpr13
                                        ; implicit-def: $vgpr14
                                        ; implicit-def: $vgpr15
                                        ; implicit-def: $vgpr16
                                        ; implicit-def: $vgpr17
                                        ; implicit-def: $vgpr18
                                        ; implicit-def: $vgpr19
	s_branch .LBB637_318
.LBB637_317:                            ;   in Loop: Header=BB637_318 Depth=2
	s_or_b32 exec_lo, exec_lo, s0
	s_addk_i32 s8, 0xf000
	s_cmp_ge_u32 s9, s61
	s_mov_b32 s34, s9
	s_cbranch_scc1 .LBB637_388
.LBB637_318:                            ;   Parent Loop BB637_20 Depth=1
                                        ; =>  This Inner Loop Header: Depth=2
	s_add_i32 s9, s34, 0x1000
	s_delay_alu instid0(SALU_CYCLE_1)
	s_cmp_gt_u32 s9, s61
	s_cbranch_scc1 .LBB637_321
; %bb.319:                              ;   in Loop: Header=BB637_318 Depth=2
	s_mov_b32 s1, 0
	s_mov_b32 s0, s34
	s_delay_alu instid0(SALU_CYCLE_1) | instskip(NEXT) | instid1(SALU_CYCLE_1)
	s_lshl_b64 s[10:11], s[0:1], 2
	v_add_co_u32 v4, vcc_lo, v80, s10
	v_add_co_ci_u32_e32 v5, vcc_lo, s11, v81, vcc_lo
	s_movk_i32 s11, 0x1000
	s_waitcnt vmcnt(1)
	s_delay_alu instid0(VALU_DEP_2) | instskip(NEXT) | instid1(VALU_DEP_2)
	v_add_co_u32 v29, vcc_lo, 0x1000, v4
	v_add_co_ci_u32_e32 v30, vcc_lo, 0, v5, vcc_lo
	s_waitcnt vmcnt(0)
	v_add_co_u32 v36, vcc_lo, v4, 0x2000
	v_add_co_ci_u32_e32 v37, vcc_lo, 0, v5, vcc_lo
	v_add_co_u32 v33, vcc_lo, 0x2000, v4
	v_add_co_ci_u32_e32 v34, vcc_lo, 0, v5, vcc_lo
	v_add_co_u32 v38, vcc_lo, 0x3000, v4
	global_load_b32 v26, v[36:37], off
	v_add_co_ci_u32_e32 v39, vcc_lo, 0, v5, vcc_lo
	s_clause 0xd
	global_load_b32 v22, v[4:5], off
	global_load_b32 v23, v[4:5], off offset:1024
	global_load_b32 v24, v[4:5], off offset:2048
	;; [unrolled: 1-line block ×9, first 2 shown]
	global_load_b32 v34, v[38:39], off
	global_load_b32 v35, v[38:39], off offset:1024
	global_load_b32 v29, v[36:37], off offset:-4096
	global_load_b32 v36, v[38:39], off offset:2048
	v_add_co_u32 v4, vcc_lo, 0x3c00, v4
	v_add_co_ci_u32_e32 v5, vcc_lo, 0, v5, vcc_lo
	s_mov_b32 s10, -1
	s_cbranch_execz .LBB637_322
; %bb.320:                              ;   in Loop: Header=BB637_318 Depth=2
                                        ; implicit-def: $vgpr19
                                        ; implicit-def: $vgpr18
                                        ; implicit-def: $vgpr17
                                        ; implicit-def: $vgpr16
                                        ; implicit-def: $vgpr15
                                        ; implicit-def: $vgpr14
                                        ; implicit-def: $vgpr13
                                        ; implicit-def: $vgpr12
                                        ; implicit-def: $vgpr11
                                        ; implicit-def: $vgpr10
                                        ; implicit-def: $vgpr9
                                        ; implicit-def: $vgpr8
                                        ; implicit-def: $vgpr7
                                        ; implicit-def: $vgpr6
                                        ; implicit-def: $vgpr2
                                        ; implicit-def: $vgpr20
	v_mov_b32_e32 v21, s8
	s_and_saveexec_b32 s0, s10
	s_cbranch_execnz .LBB637_341
	s_branch .LBB637_342
.LBB637_321:                            ;   in Loop: Header=BB637_318 Depth=2
	s_mov_b32 s10, 0
                                        ; implicit-def: $sgpr11
                                        ; implicit-def: $vgpr22
                                        ; implicit-def: $vgpr23
                                        ; implicit-def: $vgpr24
                                        ; implicit-def: $vgpr25
                                        ; implicit-def: $vgpr29
                                        ; implicit-def: $vgpr27
                                        ; implicit-def: $vgpr28
                                        ; implicit-def: $vgpr30
                                        ; implicit-def: $vgpr26
                                        ; implicit-def: $vgpr31
                                        ; implicit-def: $vgpr32
                                        ; implicit-def: $vgpr33
                                        ; implicit-def: $vgpr34
                                        ; implicit-def: $vgpr35
                                        ; implicit-def: $vgpr36
                                        ; implicit-def: $vgpr4_vgpr5
.LBB637_322:                            ;   in Loop: Header=BB637_318 Depth=2
	s_lshl_b64 s[0:1], s[34:35], 2
	s_mov_b32 s11, exec_lo
	s_add_u32 s0, s46, s0
	s_addc_u32 s1, s47, s1
	v_cmpx_gt_u32_e64 s8, v1
	s_cbranch_execz .LBB637_374
; %bb.323:                              ;   in Loop: Header=BB637_318 Depth=2
	global_load_b32 v19, v93, s[0:1]
	s_or_b32 exec_lo, exec_lo, s11
	s_delay_alu instid0(SALU_CYCLE_1)
	s_mov_b32 s11, exec_lo
	v_cmpx_gt_u32_e64 s8, v45
	s_cbranch_execnz .LBB637_375
.LBB637_324:                            ;   in Loop: Header=BB637_318 Depth=2
	s_or_b32 exec_lo, exec_lo, s11
	s_delay_alu instid0(SALU_CYCLE_1)
	s_mov_b32 s11, exec_lo
	v_cmpx_gt_u32_e64 s8, v46
	s_cbranch_execz .LBB637_376
.LBB637_325:                            ;   in Loop: Header=BB637_318 Depth=2
	global_load_b32 v17, v93, s[0:1] offset:2048
	s_or_b32 exec_lo, exec_lo, s11
	s_delay_alu instid0(SALU_CYCLE_1)
	s_mov_b32 s11, exec_lo
	v_cmpx_gt_u32_e64 s8, v47
	s_cbranch_execnz .LBB637_377
.LBB637_326:                            ;   in Loop: Header=BB637_318 Depth=2
	s_or_b32 exec_lo, exec_lo, s11
	s_delay_alu instid0(SALU_CYCLE_1)
	s_mov_b32 s11, exec_lo
	v_cmpx_gt_u32_e64 s8, v51
	s_cbranch_execz .LBB637_378
.LBB637_327:                            ;   in Loop: Header=BB637_318 Depth=2
	global_load_b32 v15, v94, s[0:1]
	s_or_b32 exec_lo, exec_lo, s11
	s_delay_alu instid0(SALU_CYCLE_1)
	s_mov_b32 s11, exec_lo
	v_cmpx_gt_u32_e64 s8, v52
	s_cbranch_execnz .LBB637_379
.LBB637_328:                            ;   in Loop: Header=BB637_318 Depth=2
	s_or_b32 exec_lo, exec_lo, s11
	s_delay_alu instid0(SALU_CYCLE_1)
	s_mov_b32 s11, exec_lo
	v_cmpx_gt_u32_e64 s8, v53
	s_cbranch_execz .LBB637_380
.LBB637_329:                            ;   in Loop: Header=BB637_318 Depth=2
	global_load_b32 v13, v96, s[0:1]
	s_or_b32 exec_lo, exec_lo, s11
	s_delay_alu instid0(SALU_CYCLE_1)
	s_mov_b32 s11, exec_lo
	v_cmpx_gt_u32_e64 s8, v54
	s_cbranch_execnz .LBB637_381
.LBB637_330:                            ;   in Loop: Header=BB637_318 Depth=2
	s_or_b32 exec_lo, exec_lo, s11
	s_delay_alu instid0(SALU_CYCLE_1)
	s_mov_b32 s11, exec_lo
	v_cmpx_gt_u32_e64 s8, v55
	s_cbranch_execz .LBB637_382
.LBB637_331:                            ;   in Loop: Header=BB637_318 Depth=2
	global_load_b32 v11, v98, s[0:1]
	s_or_b32 exec_lo, exec_lo, s11
	s_delay_alu instid0(SALU_CYCLE_1)
	s_mov_b32 s11, exec_lo
	v_cmpx_gt_u32_e64 s8, v56
	s_cbranch_execnz .LBB637_383
.LBB637_332:                            ;   in Loop: Header=BB637_318 Depth=2
	s_or_b32 exec_lo, exec_lo, s11
	s_delay_alu instid0(SALU_CYCLE_1)
	s_mov_b32 s11, exec_lo
	v_cmpx_gt_u32_e64 s8, v57
	s_cbranch_execz .LBB637_384
.LBB637_333:                            ;   in Loop: Header=BB637_318 Depth=2
	global_load_b32 v9, v100, s[0:1]
	s_or_b32 exec_lo, exec_lo, s11
	s_delay_alu instid0(SALU_CYCLE_1)
	s_mov_b32 s11, exec_lo
	v_cmpx_gt_u32_e64 s8, v58
	s_cbranch_execnz .LBB637_385
.LBB637_334:                            ;   in Loop: Header=BB637_318 Depth=2
	s_or_b32 exec_lo, exec_lo, s11
	s_delay_alu instid0(SALU_CYCLE_1)
	s_mov_b32 s11, exec_lo
	v_cmpx_gt_u32_e64 s8, v59
	s_cbranch_execz .LBB637_386
.LBB637_335:                            ;   in Loop: Header=BB637_318 Depth=2
	global_load_b32 v7, v102, s[0:1]
	s_or_b32 exec_lo, exec_lo, s11
	s_delay_alu instid0(SALU_CYCLE_1)
	s_mov_b32 s11, exec_lo
	v_cmpx_gt_u32_e64 s8, v60
	s_cbranch_execnz .LBB637_387
.LBB637_336:                            ;   in Loop: Header=BB637_318 Depth=2
	s_or_b32 exec_lo, exec_lo, s11
	s_delay_alu instid0(SALU_CYCLE_1)
	s_mov_b32 s11, exec_lo
	v_cmpx_gt_u32_e64 s8, v61
	s_cbranch_execz .LBB637_338
.LBB637_337:                            ;   in Loop: Header=BB637_318 Depth=2
	global_load_b32 v2, v104, s[0:1]
.LBB637_338:                            ;   in Loop: Header=BB637_318 Depth=2
	s_or_b32 exec_lo, exec_lo, s11
	s_delay_alu instid0(SALU_CYCLE_1)
	s_mov_b32 s12, exec_lo
                                        ; implicit-def: $sgpr11
                                        ; implicit-def: $vgpr4_vgpr5
	v_cmpx_gt_u32_e64 s8, v63
; %bb.339:                              ;   in Loop: Header=BB637_318 Depth=2
	v_add_co_u32 v4, s0, s0, v105
	s_delay_alu instid0(VALU_DEP_1)
	v_add_co_ci_u32_e64 v5, null, s1, 0, s0
	s_sub_i32 s11, s61, s34
	s_or_b32 s10, s10, exec_lo
                                        ; implicit-def: $vgpr20
; %bb.340:                              ;   in Loop: Header=BB637_318 Depth=2
	s_or_b32 exec_lo, exec_lo, s12
	s_waitcnt vmcnt(0)
	v_dual_mov_b32 v22, v19 :: v_dual_mov_b32 v23, v18
	v_dual_mov_b32 v24, v17 :: v_dual_mov_b32 v25, v16
	;; [unrolled: 1-line block ×8, first 2 shown]
	s_and_saveexec_b32 s0, s10
	s_cbranch_execz .LBB637_342
.LBB637_341:                            ;   in Loop: Header=BB637_318 Depth=2
	global_load_b32 v20, v[4:5], off
	s_waitcnt vmcnt(1)
	v_dual_mov_b32 v21, s11 :: v_dual_mov_b32 v2, v36
	v_dual_mov_b32 v6, v35 :: v_dual_mov_b32 v7, v34
	;; [unrolled: 1-line block ×8, first 2 shown]
.LBB637_342:                            ;   in Loop: Header=BB637_318 Depth=2
	s_or_b32 exec_lo, exec_lo, s0
	s_delay_alu instid0(SALU_CYCLE_1)
	s_mov_b32 s0, exec_lo
	v_cmpx_lt_u32_e64 v1, v21
	s_cbranch_execz .LBB637_358
; %bb.343:                              ;   in Loop: Header=BB637_318 Depth=2
	v_xor_b32_e32 v4, 0x80000000, v19
	v_lshlrev_b32_e32 v5, 2, v48
	s_delay_alu instid0(VALU_DEP_2) | instskip(NEXT) | instid1(VALU_DEP_1)
	v_lshrrev_b32_e32 v4, s38, v4
	v_and_b32_e32 v4, s39, v4
	s_delay_alu instid0(VALU_DEP_1) | instskip(SKIP_2) | instid1(SALU_CYCLE_1)
	v_lshl_or_b32 v4, v4, 4, v5
	ds_add_u32 v4, v92
	s_or_b32 exec_lo, exec_lo, s0
	s_mov_b32 s0, exec_lo
	v_cmpx_lt_u32_e64 v45, v21
	s_cbranch_execnz .LBB637_359
.LBB637_344:                            ;   in Loop: Header=BB637_318 Depth=2
	s_or_b32 exec_lo, exec_lo, s0
	s_delay_alu instid0(SALU_CYCLE_1)
	s_mov_b32 s0, exec_lo
	v_cmpx_lt_u32_e64 v46, v21
	s_cbranch_execz .LBB637_360
.LBB637_345:                            ;   in Loop: Header=BB637_318 Depth=2
	v_xor_b32_e32 v4, 0x80000000, v17
	v_lshlrev_b32_e32 v5, 2, v48
	s_delay_alu instid0(VALU_DEP_2) | instskip(NEXT) | instid1(VALU_DEP_1)
	v_lshrrev_b32_e32 v4, s38, v4
	v_and_b32_e32 v4, s39, v4
	s_delay_alu instid0(VALU_DEP_1) | instskip(SKIP_2) | instid1(SALU_CYCLE_1)
	v_lshl_or_b32 v4, v4, 4, v5
	ds_add_u32 v4, v92
	s_or_b32 exec_lo, exec_lo, s0
	s_mov_b32 s0, exec_lo
	v_cmpx_lt_u32_e64 v47, v21
	s_cbranch_execnz .LBB637_361
.LBB637_346:                            ;   in Loop: Header=BB637_318 Depth=2
	s_or_b32 exec_lo, exec_lo, s0
	s_delay_alu instid0(SALU_CYCLE_1)
	s_mov_b32 s0, exec_lo
	v_cmpx_lt_u32_e64 v51, v21
	s_cbranch_execz .LBB637_362
.LBB637_347:                            ;   in Loop: Header=BB637_318 Depth=2
	v_xor_b32_e32 v4, 0x80000000, v15
	v_lshlrev_b32_e32 v5, 2, v48
	s_delay_alu instid0(VALU_DEP_2) | instskip(NEXT) | instid1(VALU_DEP_1)
	v_lshrrev_b32_e32 v4, s38, v4
	v_and_b32_e32 v4, s39, v4
	s_delay_alu instid0(VALU_DEP_1) | instskip(SKIP_2) | instid1(SALU_CYCLE_1)
	v_lshl_or_b32 v4, v4, 4, v5
	ds_add_u32 v4, v92
	s_or_b32 exec_lo, exec_lo, s0
	s_mov_b32 s0, exec_lo
	v_cmpx_lt_u32_e64 v52, v21
	s_cbranch_execnz .LBB637_363
.LBB637_348:                            ;   in Loop: Header=BB637_318 Depth=2
	s_or_b32 exec_lo, exec_lo, s0
	s_delay_alu instid0(SALU_CYCLE_1)
	s_mov_b32 s0, exec_lo
	v_cmpx_lt_u32_e64 v53, v21
	s_cbranch_execz .LBB637_364
.LBB637_349:                            ;   in Loop: Header=BB637_318 Depth=2
	v_xor_b32_e32 v4, 0x80000000, v13
	v_lshlrev_b32_e32 v5, 2, v48
	s_delay_alu instid0(VALU_DEP_2) | instskip(NEXT) | instid1(VALU_DEP_1)
	v_lshrrev_b32_e32 v4, s38, v4
	v_and_b32_e32 v4, s39, v4
	s_delay_alu instid0(VALU_DEP_1) | instskip(SKIP_2) | instid1(SALU_CYCLE_1)
	v_lshl_or_b32 v4, v4, 4, v5
	ds_add_u32 v4, v92
	s_or_b32 exec_lo, exec_lo, s0
	s_mov_b32 s0, exec_lo
	v_cmpx_lt_u32_e64 v54, v21
	s_cbranch_execnz .LBB637_365
.LBB637_350:                            ;   in Loop: Header=BB637_318 Depth=2
	s_or_b32 exec_lo, exec_lo, s0
	s_delay_alu instid0(SALU_CYCLE_1)
	s_mov_b32 s0, exec_lo
	v_cmpx_lt_u32_e64 v55, v21
	s_cbranch_execz .LBB637_366
.LBB637_351:                            ;   in Loop: Header=BB637_318 Depth=2
	v_xor_b32_e32 v4, 0x80000000, v11
	v_lshlrev_b32_e32 v5, 2, v48
	s_delay_alu instid0(VALU_DEP_2) | instskip(NEXT) | instid1(VALU_DEP_1)
	v_lshrrev_b32_e32 v4, s38, v4
	v_and_b32_e32 v4, s39, v4
	s_delay_alu instid0(VALU_DEP_1) | instskip(SKIP_2) | instid1(SALU_CYCLE_1)
	v_lshl_or_b32 v4, v4, 4, v5
	ds_add_u32 v4, v92
	s_or_b32 exec_lo, exec_lo, s0
	s_mov_b32 s0, exec_lo
	v_cmpx_lt_u32_e64 v56, v21
	s_cbranch_execnz .LBB637_367
.LBB637_352:                            ;   in Loop: Header=BB637_318 Depth=2
	s_or_b32 exec_lo, exec_lo, s0
	s_delay_alu instid0(SALU_CYCLE_1)
	s_mov_b32 s0, exec_lo
	v_cmpx_lt_u32_e64 v57, v21
	s_cbranch_execz .LBB637_368
.LBB637_353:                            ;   in Loop: Header=BB637_318 Depth=2
	v_xor_b32_e32 v4, 0x80000000, v9
	v_lshlrev_b32_e32 v5, 2, v48
	s_delay_alu instid0(VALU_DEP_2) | instskip(NEXT) | instid1(VALU_DEP_1)
	v_lshrrev_b32_e32 v4, s38, v4
	v_and_b32_e32 v4, s39, v4
	s_delay_alu instid0(VALU_DEP_1) | instskip(SKIP_2) | instid1(SALU_CYCLE_1)
	v_lshl_or_b32 v4, v4, 4, v5
	ds_add_u32 v4, v92
	s_or_b32 exec_lo, exec_lo, s0
	s_mov_b32 s0, exec_lo
	v_cmpx_lt_u32_e64 v58, v21
	s_cbranch_execnz .LBB637_369
.LBB637_354:                            ;   in Loop: Header=BB637_318 Depth=2
	s_or_b32 exec_lo, exec_lo, s0
	s_delay_alu instid0(SALU_CYCLE_1)
	s_mov_b32 s0, exec_lo
	v_cmpx_lt_u32_e64 v59, v21
	s_cbranch_execz .LBB637_370
.LBB637_355:                            ;   in Loop: Header=BB637_318 Depth=2
	v_xor_b32_e32 v4, 0x80000000, v7
	v_lshlrev_b32_e32 v5, 2, v48
	s_delay_alu instid0(VALU_DEP_2) | instskip(NEXT) | instid1(VALU_DEP_1)
	v_lshrrev_b32_e32 v4, s38, v4
	v_and_b32_e32 v4, s39, v4
	s_delay_alu instid0(VALU_DEP_1) | instskip(SKIP_2) | instid1(SALU_CYCLE_1)
	v_lshl_or_b32 v4, v4, 4, v5
	ds_add_u32 v4, v92
	s_or_b32 exec_lo, exec_lo, s0
	s_mov_b32 s0, exec_lo
	v_cmpx_lt_u32_e64 v60, v21
	s_cbranch_execnz .LBB637_371
.LBB637_356:                            ;   in Loop: Header=BB637_318 Depth=2
	s_or_b32 exec_lo, exec_lo, s0
	s_delay_alu instid0(SALU_CYCLE_1)
	s_mov_b32 s0, exec_lo
	v_cmpx_lt_u32_e64 v61, v21
	s_cbranch_execz .LBB637_372
.LBB637_357:                            ;   in Loop: Header=BB637_318 Depth=2
	v_xor_b32_e32 v4, 0x80000000, v2
	v_lshlrev_b32_e32 v5, 2, v48
	s_delay_alu instid0(VALU_DEP_2) | instskip(NEXT) | instid1(VALU_DEP_1)
	v_lshrrev_b32_e32 v4, s38, v4
	v_and_b32_e32 v4, s39, v4
	s_delay_alu instid0(VALU_DEP_1) | instskip(SKIP_2) | instid1(SALU_CYCLE_1)
	v_lshl_or_b32 v4, v4, 4, v5
	ds_add_u32 v4, v92
	s_or_b32 exec_lo, exec_lo, s0
	s_mov_b32 s0, exec_lo
	v_cmpx_lt_u32_e64 v63, v21
	s_cbranch_execz .LBB637_317
	s_branch .LBB637_373
.LBB637_358:                            ;   in Loop: Header=BB637_318 Depth=2
	s_or_b32 exec_lo, exec_lo, s0
	s_delay_alu instid0(SALU_CYCLE_1)
	s_mov_b32 s0, exec_lo
	v_cmpx_lt_u32_e64 v45, v21
	s_cbranch_execz .LBB637_344
.LBB637_359:                            ;   in Loop: Header=BB637_318 Depth=2
	v_xor_b32_e32 v4, 0x80000000, v18
	v_lshlrev_b32_e32 v5, 2, v48
	s_delay_alu instid0(VALU_DEP_2) | instskip(NEXT) | instid1(VALU_DEP_1)
	v_lshrrev_b32_e32 v4, s38, v4
	v_and_b32_e32 v4, s39, v4
	s_delay_alu instid0(VALU_DEP_1) | instskip(SKIP_2) | instid1(SALU_CYCLE_1)
	v_lshl_or_b32 v4, v4, 4, v5
	ds_add_u32 v4, v92
	s_or_b32 exec_lo, exec_lo, s0
	s_mov_b32 s0, exec_lo
	v_cmpx_lt_u32_e64 v46, v21
	s_cbranch_execnz .LBB637_345
.LBB637_360:                            ;   in Loop: Header=BB637_318 Depth=2
	s_or_b32 exec_lo, exec_lo, s0
	s_delay_alu instid0(SALU_CYCLE_1)
	s_mov_b32 s0, exec_lo
	v_cmpx_lt_u32_e64 v47, v21
	s_cbranch_execz .LBB637_346
.LBB637_361:                            ;   in Loop: Header=BB637_318 Depth=2
	v_xor_b32_e32 v4, 0x80000000, v16
	v_lshlrev_b32_e32 v5, 2, v48
	s_delay_alu instid0(VALU_DEP_2) | instskip(NEXT) | instid1(VALU_DEP_1)
	v_lshrrev_b32_e32 v4, s38, v4
	v_and_b32_e32 v4, s39, v4
	s_delay_alu instid0(VALU_DEP_1) | instskip(SKIP_2) | instid1(SALU_CYCLE_1)
	v_lshl_or_b32 v4, v4, 4, v5
	ds_add_u32 v4, v92
	s_or_b32 exec_lo, exec_lo, s0
	s_mov_b32 s0, exec_lo
	v_cmpx_lt_u32_e64 v51, v21
	s_cbranch_execnz .LBB637_347
.LBB637_362:                            ;   in Loop: Header=BB637_318 Depth=2
	s_or_b32 exec_lo, exec_lo, s0
	s_delay_alu instid0(SALU_CYCLE_1)
	s_mov_b32 s0, exec_lo
	v_cmpx_lt_u32_e64 v52, v21
	s_cbranch_execz .LBB637_348
.LBB637_363:                            ;   in Loop: Header=BB637_318 Depth=2
	v_xor_b32_e32 v4, 0x80000000, v14
	v_lshlrev_b32_e32 v5, 2, v48
	s_delay_alu instid0(VALU_DEP_2) | instskip(NEXT) | instid1(VALU_DEP_1)
	v_lshrrev_b32_e32 v4, s38, v4
	v_and_b32_e32 v4, s39, v4
	s_delay_alu instid0(VALU_DEP_1) | instskip(SKIP_2) | instid1(SALU_CYCLE_1)
	v_lshl_or_b32 v4, v4, 4, v5
	ds_add_u32 v4, v92
	s_or_b32 exec_lo, exec_lo, s0
	s_mov_b32 s0, exec_lo
	v_cmpx_lt_u32_e64 v53, v21
	s_cbranch_execnz .LBB637_349
.LBB637_364:                            ;   in Loop: Header=BB637_318 Depth=2
	s_or_b32 exec_lo, exec_lo, s0
	s_delay_alu instid0(SALU_CYCLE_1)
	s_mov_b32 s0, exec_lo
	v_cmpx_lt_u32_e64 v54, v21
	s_cbranch_execz .LBB637_350
.LBB637_365:                            ;   in Loop: Header=BB637_318 Depth=2
	v_xor_b32_e32 v4, 0x80000000, v12
	v_lshlrev_b32_e32 v5, 2, v48
	s_delay_alu instid0(VALU_DEP_2) | instskip(NEXT) | instid1(VALU_DEP_1)
	v_lshrrev_b32_e32 v4, s38, v4
	v_and_b32_e32 v4, s39, v4
	s_delay_alu instid0(VALU_DEP_1) | instskip(SKIP_2) | instid1(SALU_CYCLE_1)
	v_lshl_or_b32 v4, v4, 4, v5
	ds_add_u32 v4, v92
	s_or_b32 exec_lo, exec_lo, s0
	s_mov_b32 s0, exec_lo
	v_cmpx_lt_u32_e64 v55, v21
	s_cbranch_execnz .LBB637_351
.LBB637_366:                            ;   in Loop: Header=BB637_318 Depth=2
	s_or_b32 exec_lo, exec_lo, s0
	s_delay_alu instid0(SALU_CYCLE_1)
	s_mov_b32 s0, exec_lo
	v_cmpx_lt_u32_e64 v56, v21
	s_cbranch_execz .LBB637_352
.LBB637_367:                            ;   in Loop: Header=BB637_318 Depth=2
	v_xor_b32_e32 v4, 0x80000000, v10
	v_lshlrev_b32_e32 v5, 2, v48
	s_delay_alu instid0(VALU_DEP_2) | instskip(NEXT) | instid1(VALU_DEP_1)
	v_lshrrev_b32_e32 v4, s38, v4
	v_and_b32_e32 v4, s39, v4
	s_delay_alu instid0(VALU_DEP_1) | instskip(SKIP_2) | instid1(SALU_CYCLE_1)
	v_lshl_or_b32 v4, v4, 4, v5
	ds_add_u32 v4, v92
	s_or_b32 exec_lo, exec_lo, s0
	s_mov_b32 s0, exec_lo
	v_cmpx_lt_u32_e64 v57, v21
	s_cbranch_execnz .LBB637_353
.LBB637_368:                            ;   in Loop: Header=BB637_318 Depth=2
	s_or_b32 exec_lo, exec_lo, s0
	s_delay_alu instid0(SALU_CYCLE_1)
	s_mov_b32 s0, exec_lo
	v_cmpx_lt_u32_e64 v58, v21
	s_cbranch_execz .LBB637_354
.LBB637_369:                            ;   in Loop: Header=BB637_318 Depth=2
	v_xor_b32_e32 v4, 0x80000000, v8
	v_lshlrev_b32_e32 v5, 2, v48
	s_delay_alu instid0(VALU_DEP_2) | instskip(NEXT) | instid1(VALU_DEP_1)
	v_lshrrev_b32_e32 v4, s38, v4
	v_and_b32_e32 v4, s39, v4
	s_delay_alu instid0(VALU_DEP_1) | instskip(SKIP_2) | instid1(SALU_CYCLE_1)
	v_lshl_or_b32 v4, v4, 4, v5
	ds_add_u32 v4, v92
	s_or_b32 exec_lo, exec_lo, s0
	s_mov_b32 s0, exec_lo
	v_cmpx_lt_u32_e64 v59, v21
	s_cbranch_execnz .LBB637_355
.LBB637_370:                            ;   in Loop: Header=BB637_318 Depth=2
	s_or_b32 exec_lo, exec_lo, s0
	s_delay_alu instid0(SALU_CYCLE_1)
	s_mov_b32 s0, exec_lo
	v_cmpx_lt_u32_e64 v60, v21
	s_cbranch_execz .LBB637_356
.LBB637_371:                            ;   in Loop: Header=BB637_318 Depth=2
	v_xor_b32_e32 v4, 0x80000000, v6
	v_lshlrev_b32_e32 v5, 2, v48
	s_delay_alu instid0(VALU_DEP_2) | instskip(NEXT) | instid1(VALU_DEP_1)
	v_lshrrev_b32_e32 v4, s38, v4
	v_and_b32_e32 v4, s39, v4
	s_delay_alu instid0(VALU_DEP_1) | instskip(SKIP_2) | instid1(SALU_CYCLE_1)
	v_lshl_or_b32 v4, v4, 4, v5
	ds_add_u32 v4, v92
	s_or_b32 exec_lo, exec_lo, s0
	s_mov_b32 s0, exec_lo
	v_cmpx_lt_u32_e64 v61, v21
	s_cbranch_execnz .LBB637_357
.LBB637_372:                            ;   in Loop: Header=BB637_318 Depth=2
	s_or_b32 exec_lo, exec_lo, s0
	s_delay_alu instid0(SALU_CYCLE_1)
	s_mov_b32 s0, exec_lo
	v_cmpx_lt_u32_e64 v63, v21
	s_cbranch_execz .LBB637_317
.LBB637_373:                            ;   in Loop: Header=BB637_318 Depth=2
	s_waitcnt vmcnt(0)
	v_xor_b32_e32 v4, 0x80000000, v20
	v_lshlrev_b32_e32 v5, 2, v48
	s_delay_alu instid0(VALU_DEP_2) | instskip(NEXT) | instid1(VALU_DEP_1)
	v_lshrrev_b32_e32 v4, s38, v4
	v_and_b32_e32 v4, s39, v4
	s_delay_alu instid0(VALU_DEP_1)
	v_lshl_or_b32 v4, v4, 4, v5
	ds_add_u32 v4, v92
	s_branch .LBB637_317
.LBB637_374:                            ;   in Loop: Header=BB637_318 Depth=2
	s_or_b32 exec_lo, exec_lo, s11
	s_delay_alu instid0(SALU_CYCLE_1)
	s_mov_b32 s11, exec_lo
	v_cmpx_gt_u32_e64 s8, v45
	s_cbranch_execz .LBB637_324
.LBB637_375:                            ;   in Loop: Header=BB637_318 Depth=2
	global_load_b32 v18, v93, s[0:1] offset:1024
	s_or_b32 exec_lo, exec_lo, s11
	s_delay_alu instid0(SALU_CYCLE_1)
	s_mov_b32 s11, exec_lo
	v_cmpx_gt_u32_e64 s8, v46
	s_cbranch_execnz .LBB637_325
.LBB637_376:                            ;   in Loop: Header=BB637_318 Depth=2
	s_or_b32 exec_lo, exec_lo, s11
	s_delay_alu instid0(SALU_CYCLE_1)
	s_mov_b32 s11, exec_lo
	v_cmpx_gt_u32_e64 s8, v47
	s_cbranch_execz .LBB637_326
.LBB637_377:                            ;   in Loop: Header=BB637_318 Depth=2
	global_load_b32 v16, v93, s[0:1] offset:3072
	s_or_b32 exec_lo, exec_lo, s11
	s_delay_alu instid0(SALU_CYCLE_1)
	s_mov_b32 s11, exec_lo
	v_cmpx_gt_u32_e64 s8, v51
	s_cbranch_execnz .LBB637_327
.LBB637_378:                            ;   in Loop: Header=BB637_318 Depth=2
	s_or_b32 exec_lo, exec_lo, s11
	s_delay_alu instid0(SALU_CYCLE_1)
	s_mov_b32 s11, exec_lo
	v_cmpx_gt_u32_e64 s8, v52
	s_cbranch_execz .LBB637_328
.LBB637_379:                            ;   in Loop: Header=BB637_318 Depth=2
	global_load_b32 v14, v95, s[0:1]
	s_or_b32 exec_lo, exec_lo, s11
	s_delay_alu instid0(SALU_CYCLE_1)
	s_mov_b32 s11, exec_lo
	v_cmpx_gt_u32_e64 s8, v53
	s_cbranch_execnz .LBB637_329
.LBB637_380:                            ;   in Loop: Header=BB637_318 Depth=2
	s_or_b32 exec_lo, exec_lo, s11
	s_delay_alu instid0(SALU_CYCLE_1)
	s_mov_b32 s11, exec_lo
	v_cmpx_gt_u32_e64 s8, v54
	s_cbranch_execz .LBB637_330
.LBB637_381:                            ;   in Loop: Header=BB637_318 Depth=2
	global_load_b32 v12, v97, s[0:1]
	s_or_b32 exec_lo, exec_lo, s11
	s_delay_alu instid0(SALU_CYCLE_1)
	s_mov_b32 s11, exec_lo
	v_cmpx_gt_u32_e64 s8, v55
	s_cbranch_execnz .LBB637_331
.LBB637_382:                            ;   in Loop: Header=BB637_318 Depth=2
	s_or_b32 exec_lo, exec_lo, s11
	s_delay_alu instid0(SALU_CYCLE_1)
	s_mov_b32 s11, exec_lo
	v_cmpx_gt_u32_e64 s8, v56
	s_cbranch_execz .LBB637_332
.LBB637_383:                            ;   in Loop: Header=BB637_318 Depth=2
	global_load_b32 v10, v99, s[0:1]
	s_or_b32 exec_lo, exec_lo, s11
	s_delay_alu instid0(SALU_CYCLE_1)
	s_mov_b32 s11, exec_lo
	v_cmpx_gt_u32_e64 s8, v57
	s_cbranch_execnz .LBB637_333
.LBB637_384:                            ;   in Loop: Header=BB637_318 Depth=2
	s_or_b32 exec_lo, exec_lo, s11
	s_delay_alu instid0(SALU_CYCLE_1)
	s_mov_b32 s11, exec_lo
	v_cmpx_gt_u32_e64 s8, v58
	s_cbranch_execz .LBB637_334
.LBB637_385:                            ;   in Loop: Header=BB637_318 Depth=2
	global_load_b32 v8, v101, s[0:1]
	s_or_b32 exec_lo, exec_lo, s11
	s_delay_alu instid0(SALU_CYCLE_1)
	s_mov_b32 s11, exec_lo
	v_cmpx_gt_u32_e64 s8, v59
	s_cbranch_execnz .LBB637_335
.LBB637_386:                            ;   in Loop: Header=BB637_318 Depth=2
	s_or_b32 exec_lo, exec_lo, s11
	s_delay_alu instid0(SALU_CYCLE_1)
	s_mov_b32 s11, exec_lo
	v_cmpx_gt_u32_e64 s8, v60
	s_cbranch_execz .LBB637_336
.LBB637_387:                            ;   in Loop: Header=BB637_318 Depth=2
	global_load_b32 v6, v103, s[0:1]
	s_or_b32 exec_lo, exec_lo, s11
	s_delay_alu instid0(SALU_CYCLE_1)
	s_mov_b32 s11, exec_lo
	v_cmpx_gt_u32_e64 s8, v61
	s_cbranch_execz .LBB637_338
	s_branch .LBB637_337
.LBB637_388:                            ;   in Loop: Header=BB637_20 Depth=1
	v_mov_b32_e32 v2, 0
	s_waitcnt vmcnt(0) lgkmcnt(0)
	s_barrier
	buffer_gl0_inv
	s_and_saveexec_b32 s0, s2
	s_cbranch_execz .LBB637_390
; %bb.389:                              ;   in Loop: Header=BB637_20 Depth=1
	ds_load_2addr_b64 v[4:7], v64 offset1:1
	s_waitcnt lgkmcnt(0)
	v_add_nc_u32_e32 v2, v5, v4
	s_delay_alu instid0(VALU_DEP_1)
	v_add3_u32 v2, v2, v6, v7
.LBB637_390:                            ;   in Loop: Header=BB637_20 Depth=1
	s_or_b32 exec_lo, exec_lo, s0
	v_and_b32_e32 v4, 15, v106
	s_delay_alu instid0(VALU_DEP_2) | instskip(SKIP_1) | instid1(VALU_DEP_3)
	v_mov_b32_dpp v5, v2 row_shr:1 row_mask:0xf bank_mask:0xf
	v_and_b32_e32 v6, 16, v106
	v_cmp_eq_u32_e64 s0, 0, v4
	v_cmp_lt_u32_e64 s1, 1, v4
	v_cmp_lt_u32_e64 s8, 3, v4
	;; [unrolled: 1-line block ×3, first 2 shown]
	v_cmp_eq_u32_e64 s10, 0, v6
	v_cndmask_b32_e64 v5, v5, 0, s0
	s_delay_alu instid0(VALU_DEP_1) | instskip(NEXT) | instid1(VALU_DEP_1)
	v_add_nc_u32_e32 v2, v5, v2
	v_mov_b32_dpp v5, v2 row_shr:2 row_mask:0xf bank_mask:0xf
	s_delay_alu instid0(VALU_DEP_1) | instskip(NEXT) | instid1(VALU_DEP_1)
	v_cndmask_b32_e64 v5, 0, v5, s1
	v_add_nc_u32_e32 v2, v2, v5
	s_delay_alu instid0(VALU_DEP_1) | instskip(NEXT) | instid1(VALU_DEP_1)
	v_mov_b32_dpp v5, v2 row_shr:4 row_mask:0xf bank_mask:0xf
	v_cndmask_b32_e64 v5, 0, v5, s8
	s_delay_alu instid0(VALU_DEP_1) | instskip(NEXT) | instid1(VALU_DEP_1)
	v_add_nc_u32_e32 v2, v2, v5
	v_mov_b32_dpp v5, v2 row_shr:8 row_mask:0xf bank_mask:0xf
	s_delay_alu instid0(VALU_DEP_1) | instskip(SKIP_1) | instid1(VALU_DEP_2)
	v_cndmask_b32_e64 v4, 0, v5, s9
	v_bfe_i32 v5, v106, 4, 1
	v_add_nc_u32_e32 v2, v2, v4
	ds_swizzle_b32 v4, v2 offset:swizzle(BROADCAST,32,15)
	s_waitcnt lgkmcnt(0)
	v_and_b32_e32 v4, v5, v4
	s_delay_alu instid0(VALU_DEP_1)
	v_add_nc_u32_e32 v4, v2, v4
	s_and_saveexec_b32 s11, s3
	s_cbranch_execz .LBB637_392
; %bb.391:                              ;   in Loop: Header=BB637_20 Depth=1
	ds_store_b32 v65, v4
.LBB637_392:                            ;   in Loop: Header=BB637_20 Depth=1
	s_or_b32 exec_lo, exec_lo, s11
	v_and_b32_e32 v2, 7, v106
	s_waitcnt lgkmcnt(0)
	s_barrier
	buffer_gl0_inv
	s_and_saveexec_b32 s11, s4
	s_cbranch_execz .LBB637_394
; %bb.393:                              ;   in Loop: Header=BB637_20 Depth=1
	ds_load_b32 v5, v66
	v_cmp_ne_u32_e32 vcc_lo, 0, v2
	s_waitcnt lgkmcnt(0)
	v_mov_b32_dpp v6, v5 row_shr:1 row_mask:0xf bank_mask:0xf
	s_delay_alu instid0(VALU_DEP_1) | instskip(SKIP_1) | instid1(VALU_DEP_2)
	v_cndmask_b32_e32 v6, 0, v6, vcc_lo
	v_cmp_lt_u32_e32 vcc_lo, 1, v2
	v_add_nc_u32_e32 v5, v6, v5
	s_delay_alu instid0(VALU_DEP_1) | instskip(NEXT) | instid1(VALU_DEP_1)
	v_mov_b32_dpp v6, v5 row_shr:2 row_mask:0xf bank_mask:0xf
	v_cndmask_b32_e32 v6, 0, v6, vcc_lo
	v_cmp_lt_u32_e32 vcc_lo, 3, v2
	s_delay_alu instid0(VALU_DEP_2) | instskip(NEXT) | instid1(VALU_DEP_1)
	v_add_nc_u32_e32 v5, v5, v6
	v_mov_b32_dpp v6, v5 row_shr:4 row_mask:0xf bank_mask:0xf
	s_delay_alu instid0(VALU_DEP_1) | instskip(NEXT) | instid1(VALU_DEP_1)
	v_cndmask_b32_e32 v6, 0, v6, vcc_lo
	v_add_nc_u32_e32 v5, v5, v6
	ds_store_b32 v66, v5
.LBB637_394:                            ;   in Loop: Header=BB637_20 Depth=1
	s_or_b32 exec_lo, exec_lo, s11
	v_mov_b32_e32 v5, 0
	s_waitcnt lgkmcnt(0)
	s_barrier
	buffer_gl0_inv
	s_and_saveexec_b32 s11, s5
	s_cbranch_execz .LBB637_396
; %bb.395:                              ;   in Loop: Header=BB637_20 Depth=1
	ds_load_b32 v5, v67
.LBB637_396:                            ;   in Loop: Header=BB637_20 Depth=1
	s_or_b32 exec_lo, exec_lo, s11
	v_add_nc_u32_e32 v6, -1, v106
	s_waitcnt lgkmcnt(0)
	v_add_nc_u32_e32 v4, v5, v4
	v_cmp_eq_u32_e64 s11, 0, v106
	s_barrier
	v_cmp_gt_i32_e32 vcc_lo, 0, v6
	buffer_gl0_inv
	v_cndmask_b32_e32 v6, v6, v106, vcc_lo
	s_delay_alu instid0(VALU_DEP_1)
	v_lshlrev_b32_e32 v107, 2, v6
	ds_bpermute_b32 v4, v107, v4
	s_and_saveexec_b32 s12, s2
	s_cbranch_execz .LBB637_398
; %bb.397:                              ;   in Loop: Header=BB637_20 Depth=1
	s_waitcnt lgkmcnt(0)
	v_cndmask_b32_e64 v4, v4, v5, s11
	s_delay_alu instid0(VALU_DEP_1)
	v_add_nc_u32_e32 v4, s60, v4
	ds_store_b32 v44, v4
.LBB637_398:                            ;   in Loop: Header=BB637_20 Depth=1
	s_or_b32 exec_lo, exec_lo, s12
	s_load_b64 s[12:13], s[36:37], 0x0
	v_lshlrev_b32_e32 v5, 3, v106
	v_or_b32_e32 v108, v106, v68
	s_mov_b32 s40, s62
	s_mov_b32 s34, s60
                                        ; implicit-def: $vgpr8_vgpr9
                                        ; implicit-def: $vgpr10_vgpr11
                                        ; implicit-def: $vgpr12_vgpr13
                                        ; implicit-def: $vgpr14_vgpr15
                                        ; implicit-def: $vgpr16_vgpr17
                                        ; implicit-def: $vgpr18_vgpr19
                                        ; implicit-def: $vgpr20_vgpr21
                                        ; implicit-def: $vgpr22_vgpr23
                                        ; implicit-def: $vgpr24_vgpr25
                                        ; implicit-def: $vgpr26_vgpr27
                                        ; implicit-def: $vgpr28_vgpr29
                                        ; implicit-def: $vgpr30_vgpr31
                                        ; implicit-def: $vgpr32_vgpr33
                                        ; implicit-def: $vgpr34_vgpr35
                                        ; implicit-def: $vgpr131
                                        ; implicit-def: $vgpr132
                                        ; implicit-def: $vgpr133
                                        ; implicit-def: $vgpr134
                                        ; implicit-def: $vgpr135
                                        ; implicit-def: $vgpr136
                                        ; implicit-def: $vgpr137
                                        ; implicit-def: $vgpr138
                                        ; implicit-def: $vgpr139
                                        ; implicit-def: $vgpr140
                                        ; implicit-def: $vgpr141
                                        ; implicit-def: $vgpr142
                                        ; implicit-def: $vgpr143
                                        ; implicit-def: $vgpr144
                                        ; implicit-def: $vgpr145
                                        ; implicit-def: $vgpr146
	s_delay_alu instid0(VALU_DEP_2)
	v_add_co_u32 v109, vcc_lo, v82, v5
	v_add_co_ci_u32_e32 v110, vcc_lo, 0, v83, vcc_lo
	v_or_b32_e32 v111, 32, v108
	v_or_b32_e32 v112, 64, v108
	v_or_b32_e32 v113, 0x60, v108
	v_or_b32_e32 v114, 0x80, v108
	v_or_b32_e32 v115, 0xa0, v108
	v_or_b32_e32 v116, 0xc0, v108
	v_or_b32_e32 v117, 0xe0, v108
	v_or_b32_e32 v118, 0x100, v108
	v_or_b32_e32 v119, 0x120, v108
	v_or_b32_e32 v120, 0x140, v108
	s_waitcnt lgkmcnt(0)
	s_cmp_lt_u32 s15, s13
	v_or_b32_e32 v121, 0x160, v108
	s_cselect_b32 s13, 14, 20
	v_or_b32_e32 v122, 0x180, v108
	s_add_u32 s16, s36, s13
	s_addc_u32 s17, s37, 0
	s_cmp_lt_u32 s14, s12
	global_load_u16 v4, v3, s[16:17]
	s_cselect_b32 s12, 12, 18
	v_or_b32_e32 v123, 0x1a0, v108
	s_add_u32 s12, s36, s12
	s_addc_u32 s13, s37, 0
	v_or_b32_e32 v124, 0x1c0, v108
	global_load_u16 v6, v3, s[12:13]
	v_cmp_eq_u32_e64 s12, 0, v2
	v_cmp_lt_u32_e64 s13, 1, v2
	v_cmp_lt_u32_e64 s16, 3, v2
	v_lshlrev_b32_e32 v2, 2, v106
	v_or_b32_e32 v125, 0x1e0, v108
	s_delay_alu instid0(VALU_DEP_2) | instskip(SKIP_1) | instid1(VALU_DEP_2)
	v_add_co_u32 v126, vcc_lo, v84, v2
	v_add_co_ci_u32_e32 v127, vcc_lo, 0, v85, vcc_lo
	v_add_co_u32 v129, vcc_lo, 0x780, v126
	s_delay_alu instid0(VALU_DEP_2) | instskip(SKIP_3) | instid1(VALU_DEP_1)
	v_add_co_ci_u32_e32 v130, vcc_lo, 0, v127, vcc_lo
	s_waitcnt vmcnt(1)
	v_mad_u32_u24 v7, v69, v4, v0
	s_waitcnt vmcnt(0)
	v_mad_u64_u32 v[4:5], null, v7, v6, v[1:2]
                                        ; implicit-def: $vgpr6_vgpr7
	s_delay_alu instid0(VALU_DEP_1)
	v_lshrrev_b32_e32 v128, 5, v4
                                        ; implicit-def: $vgpr4_vgpr5
	s_branch .LBB637_400
.LBB637_399:                            ;   in Loop: Header=BB637_400 Depth=2
	s_or_b32 exec_lo, exec_lo, s17
	s_addk_i32 s40, 0xf000
	s_cmp_lt_u32 s41, s61
	s_mov_b32 s34, s41
	s_cbranch_scc0 .LBB637_608
.LBB637_400:                            ;   Parent Loop BB637_20 Depth=1
                                        ; =>  This Inner Loop Header: Depth=2
	s_add_i32 s41, s34, 0x1000
	s_delay_alu instid0(SALU_CYCLE_1)
	s_cmp_gt_u32 s41, s61
	s_cbranch_scc1 .LBB637_403
; %bb.401:                              ;   in Loop: Header=BB637_400 Depth=2
	s_mov_b32 s19, 0
	s_mov_b32 s18, s34
	s_movk_i32 s17, 0x1000
	s_lshl_b64 s[20:21], s[18:19], 2
	s_delay_alu instid0(SALU_CYCLE_1)
	v_add_co_u32 v36, vcc_lo, v126, s20
	v_add_co_ci_u32_e32 v37, vcc_lo, s21, v127, vcc_lo
	s_mov_b32 s20, -1
	s_clause 0xe
	global_load_b32 v2, v[36:37], off
	global_load_b32 v148, v[36:37], off offset:128
	global_load_b32 v151, v[36:37], off offset:256
	;; [unrolled: 1-line block ×14, first 2 shown]
	s_cbranch_execz .LBB637_404
; %bb.402:                              ;   in Loop: Header=BB637_400 Depth=2
                                        ; implicit-def: $sgpr21
	v_dual_mov_b32 v36, s21 :: v_dual_mov_b32 v147, s40
	s_and_saveexec_b32 s21, s20
	s_cbranch_execnz .LBB637_435
	s_branch .LBB637_436
.LBB637_403:                            ;   in Loop: Header=BB637_400 Depth=2
	s_mov_b32 s19, -1
	s_mov_b32 s20, 0
                                        ; implicit-def: $sgpr17
                                        ; implicit-def: $vgpr2
                                        ; implicit-def: $vgpr148
                                        ; implicit-def: $vgpr151
                                        ; implicit-def: $vgpr155
                                        ; implicit-def: $vgpr159
                                        ; implicit-def: $vgpr163
                                        ; implicit-def: $vgpr167
                                        ; implicit-def: $vgpr172
                                        ; implicit-def: $vgpr171
                                        ; implicit-def: $vgpr43
                                        ; implicit-def: $vgpr42
                                        ; implicit-def: $vgpr41
                                        ; implicit-def: $vgpr40
                                        ; implicit-def: $vgpr39
                                        ; implicit-def: $vgpr38
.LBB637_404:                            ;   in Loop: Header=BB637_400 Depth=2
	s_lshl_b64 s[18:19], s[34:35], 2
	s_waitcnt vmcnt(13)
	v_bfrev_b32_e32 v148, -2
	v_add_co_u32 v36, vcc_lo, v126, s18
	v_add_co_ci_u32_e32 v37, vcc_lo, s19, v127, vcc_lo
	v_bfrev_b32_e32 v2, -2
	s_mov_b32 s17, exec_lo
	v_cmpx_gt_u32_e64 s40, v108
	s_cbranch_execz .LBB637_406
; %bb.405:                              ;   in Loop: Header=BB637_400 Depth=2
	global_load_b32 v2, v[36:37], off
.LBB637_406:                            ;   in Loop: Header=BB637_400 Depth=2
	s_or_b32 exec_lo, exec_lo, s17
	s_delay_alu instid0(SALU_CYCLE_1)
	s_mov_b32 s17, exec_lo
	v_cmpx_gt_u32_e64 s40, v111
	s_cbranch_execz .LBB637_408
; %bb.407:                              ;   in Loop: Header=BB637_400 Depth=2
	global_load_b32 v148, v[36:37], off offset:128
.LBB637_408:                            ;   in Loop: Header=BB637_400 Depth=2
	s_or_b32 exec_lo, exec_lo, s17
	s_waitcnt vmcnt(11)
	v_bfrev_b32_e32 v155, -2
	v_bfrev_b32_e32 v151, -2
	s_mov_b32 s17, exec_lo
	v_cmpx_gt_u32_e64 s40, v112
	s_cbranch_execz .LBB637_410
; %bb.409:                              ;   in Loop: Header=BB637_400 Depth=2
	global_load_b32 v151, v[36:37], off offset:256
.LBB637_410:                            ;   in Loop: Header=BB637_400 Depth=2
	s_or_b32 exec_lo, exec_lo, s17
	s_delay_alu instid0(SALU_CYCLE_1)
	s_mov_b32 s17, exec_lo
	v_cmpx_gt_u32_e64 s40, v113
	s_cbranch_execz .LBB637_412
; %bb.411:                              ;   in Loop: Header=BB637_400 Depth=2
	global_load_b32 v155, v[36:37], off offset:384
.LBB637_412:                            ;   in Loop: Header=BB637_400 Depth=2
	s_or_b32 exec_lo, exec_lo, s17
	s_waitcnt vmcnt(9)
	v_bfrev_b32_e32 v163, -2
	v_bfrev_b32_e32 v159, -2
	s_mov_b32 s17, exec_lo
	v_cmpx_gt_u32_e64 s40, v114
	s_cbranch_execz .LBB637_414
; %bb.413:                              ;   in Loop: Header=BB637_400 Depth=2
	global_load_b32 v159, v[36:37], off offset:512
.LBB637_414:                            ;   in Loop: Header=BB637_400 Depth=2
	;; [unrolled: 18-line block ×6, first 2 shown]
	s_or_b32 exec_lo, exec_lo, s17
	s_delay_alu instid0(SALU_CYCLE_1)
	s_mov_b32 s17, exec_lo
	v_cmpx_gt_u32_e64 s40, v123
	s_cbranch_execz .LBB637_432
; %bb.431:                              ;   in Loop: Header=BB637_400 Depth=2
	global_load_b32 v39, v[36:37], off offset:1664
.LBB637_432:                            ;   in Loop: Header=BB637_400 Depth=2
	s_or_b32 exec_lo, exec_lo, s17
	s_waitcnt vmcnt(0)
	v_bfrev_b32_e32 v38, -2
	s_mov_b32 s17, exec_lo
	v_cmpx_gt_u32_e64 s40, v124
	s_cbranch_execz .LBB637_434
; %bb.433:                              ;   in Loop: Header=BB637_400 Depth=2
	global_load_b32 v38, v[36:37], off offset:1792
.LBB637_434:                            ;   in Loop: Header=BB637_400 Depth=2
	s_or_b32 exec_lo, exec_lo, s17
	v_cmp_gt_u32_e64 s20, s40, v125
	s_sub_i32 s17, s61, s34
	s_brev_b32 s21, -2
	s_mov_b64 s[18:19], s[34:35]
	v_dual_mov_b32 v36, s21 :: v_dual_mov_b32 v147, s40
	s_and_saveexec_b32 s21, s20
	s_cbranch_execz .LBB637_436
.LBB637_435:                            ;   in Loop: Header=BB637_400 Depth=2
	s_lshl_b64 s[18:19], s[18:19], 2
	v_mov_b32_e32 v147, s17
	v_add_co_u32 v36, vcc_lo, v129, s18
	v_add_co_ci_u32_e32 v37, vcc_lo, s19, v130, vcc_lo
	global_load_b32 v36, v[36:37], off
.LBB637_436:                            ;   in Loop: Header=BB637_400 Depth=2
	s_or_b32 exec_lo, exec_lo, s21
	s_waitcnt vmcnt(14)
	v_xor_b32_e32 v2, 0x80000000, v2
	ds_store_b32 v70, v3 offset:1056
	ds_store_2addr_b32 v71, v3, v3 offset0:1 offset1:2
	ds_store_2addr_b32 v71, v3, v3 offset0:3 offset1:4
	;; [unrolled: 1-line block ×4, first 2 shown]
	s_waitcnt vmcnt(0) lgkmcnt(0)
	s_barrier
	v_lshrrev_b32_e32 v37, s38, v2
	buffer_gl0_inv
	; wave barrier
	v_and_b32_e32 v150, s39, v37
	s_delay_alu instid0(VALU_DEP_1)
	v_and_b32_e32 v37, 1, v150
	v_lshlrev_b32_e32 v149, 30, v150
	v_lshlrev_b32_e32 v152, 29, v150
	;; [unrolled: 1-line block ×4, first 2 shown]
	v_add_co_u32 v37, s17, v37, -1
	s_delay_alu instid0(VALU_DEP_1)
	v_cndmask_b32_e64 v154, 0, 1, s17
	v_not_b32_e32 v160, v149
	v_cmp_gt_i32_e64 s17, 0, v149
	v_not_b32_e32 v149, v152
	v_lshlrev_b32_e32 v157, 26, v150
	v_cmp_ne_u32_e32 vcc_lo, 0, v154
	v_ashrrev_i32_e32 v160, 31, v160
	v_lshlrev_b32_e32 v158, 25, v150
	v_ashrrev_i32_e32 v149, 31, v149
	v_lshlrev_b32_e32 v154, 24, v150
	v_xor_b32_e32 v37, vcc_lo, v37
	v_cmp_gt_i32_e32 vcc_lo, 0, v152
	v_not_b32_e32 v152, v153
	v_xor_b32_e32 v160, s17, v160
	v_cmp_gt_i32_e64 s17, 0, v153
	v_and_b32_e32 v37, exec_lo, v37
	v_not_b32_e32 v153, v156
	v_ashrrev_i32_e32 v152, 31, v152
	v_xor_b32_e32 v149, vcc_lo, v149
	v_cmp_gt_i32_e32 vcc_lo, 0, v156
	v_and_b32_e32 v37, v37, v160
	v_not_b32_e32 v156, v157
	v_ashrrev_i32_e32 v153, 31, v153
	v_xor_b32_e32 v152, s17, v152
	v_cmp_gt_i32_e64 s17, 0, v157
	v_and_b32_e32 v37, v37, v149
	v_not_b32_e32 v149, v158
	v_ashrrev_i32_e32 v156, 31, v156
	v_xor_b32_e32 v153, vcc_lo, v153
	v_cmp_gt_i32_e32 vcc_lo, 0, v158
	v_and_b32_e32 v37, v37, v152
	v_not_b32_e32 v152, v154
	v_ashrrev_i32_e32 v149, 31, v149
	v_xor_b32_e32 v156, s17, v156
	v_cmp_gt_i32_e64 s17, 0, v154
	v_and_b32_e32 v37, v37, v153
	v_ashrrev_i32_e32 v152, 31, v152
	v_xor_b32_e32 v149, vcc_lo, v149
	v_mad_u32_u24 v150, v150, 9, v128
	s_delay_alu instid0(VALU_DEP_4) | instskip(NEXT) | instid1(VALU_DEP_4)
	v_and_b32_e32 v37, v37, v156
	v_xor_b32_e32 v152, s17, v152
	s_delay_alu instid0(VALU_DEP_3) | instskip(NEXT) | instid1(VALU_DEP_3)
	v_lshl_add_u32 v150, v150, 2, 0x420
	v_and_b32_e32 v37, v37, v149
	s_delay_alu instid0(VALU_DEP_1) | instskip(NEXT) | instid1(VALU_DEP_1)
	v_and_b32_e32 v37, v37, v152
	v_mbcnt_lo_u32_b32 v149, v37, 0
	v_cmp_ne_u32_e64 s17, 0, v37
	s_delay_alu instid0(VALU_DEP_2) | instskip(NEXT) | instid1(VALU_DEP_2)
	v_cmp_eq_u32_e32 vcc_lo, 0, v149
	s_and_b32 s18, s17, vcc_lo
	s_delay_alu instid0(SALU_CYCLE_1)
	s_and_saveexec_b32 s17, s18
	s_cbranch_execz .LBB637_438
; %bb.437:                              ;   in Loop: Header=BB637_400 Depth=2
	v_bcnt_u32_b32 v37, v37, 0
	ds_store_b32 v150, v37
.LBB637_438:                            ;   in Loop: Header=BB637_400 Depth=2
	s_or_b32 exec_lo, exec_lo, s17
	v_xor_b32_e32 v148, 0x80000000, v148
	; wave barrier
	s_delay_alu instid0(VALU_DEP_1) | instskip(NEXT) | instid1(VALU_DEP_1)
	v_lshrrev_b32_e32 v37, s38, v148
	v_and_b32_e32 v37, s39, v37
	s_delay_alu instid0(VALU_DEP_1)
	v_and_b32_e32 v152, 1, v37
	v_lshlrev_b32_e32 v153, 30, v37
	v_lshlrev_b32_e32 v154, 29, v37
	v_lshlrev_b32_e32 v156, 28, v37
	v_lshlrev_b32_e32 v158, 27, v37
	v_add_co_u32 v152, s17, v152, -1
	s_delay_alu instid0(VALU_DEP_1)
	v_cndmask_b32_e64 v157, 0, 1, s17
	v_not_b32_e32 v162, v153
	v_cmp_gt_i32_e64 s17, 0, v153
	v_not_b32_e32 v153, v154
	v_lshlrev_b32_e32 v160, 26, v37
	v_cmp_ne_u32_e32 vcc_lo, 0, v157
	v_ashrrev_i32_e32 v162, 31, v162
	v_lshlrev_b32_e32 v161, 25, v37
	v_ashrrev_i32_e32 v153, 31, v153
	v_lshlrev_b32_e32 v157, 24, v37
	v_xor_b32_e32 v152, vcc_lo, v152
	v_cmp_gt_i32_e32 vcc_lo, 0, v154
	v_not_b32_e32 v154, v156
	v_xor_b32_e32 v162, s17, v162
	v_cmp_gt_i32_e64 s17, 0, v156
	v_and_b32_e32 v152, exec_lo, v152
	v_not_b32_e32 v156, v158
	v_ashrrev_i32_e32 v154, 31, v154
	v_xor_b32_e32 v153, vcc_lo, v153
	v_cmp_gt_i32_e32 vcc_lo, 0, v158
	v_and_b32_e32 v152, v152, v162
	v_not_b32_e32 v158, v160
	v_ashrrev_i32_e32 v156, 31, v156
	v_xor_b32_e32 v154, s17, v154
	v_cmp_gt_i32_e64 s17, 0, v160
	v_and_b32_e32 v152, v152, v153
	v_not_b32_e32 v153, v161
	v_ashrrev_i32_e32 v158, 31, v158
	v_xor_b32_e32 v156, vcc_lo, v156
	v_cmp_gt_i32_e32 vcc_lo, 0, v161
	v_and_b32_e32 v152, v152, v154
	v_not_b32_e32 v154, v157
	v_ashrrev_i32_e32 v153, 31, v153
	v_xor_b32_e32 v158, s17, v158
	v_mul_u32_u24_e32 v37, 9, v37
	v_and_b32_e32 v152, v152, v156
	v_cmp_gt_i32_e64 s17, 0, v157
	v_ashrrev_i32_e32 v154, 31, v154
	v_xor_b32_e32 v153, vcc_lo, v153
	v_add_lshl_u32 v156, v37, v128, 2
	v_and_b32_e32 v152, v152, v158
	s_delay_alu instid0(VALU_DEP_4) | instskip(NEXT) | instid1(VALU_DEP_3)
	v_xor_b32_e32 v37, s17, v154
	v_add_nc_u32_e32 v154, 0x420, v156
	s_delay_alu instid0(VALU_DEP_3) | instskip(SKIP_2) | instid1(VALU_DEP_1)
	v_and_b32_e32 v153, v152, v153
	ds_load_b32 v152, v156 offset:1056
	; wave barrier
	v_and_b32_e32 v37, v153, v37
	v_mbcnt_lo_u32_b32 v153, v37, 0
	v_cmp_ne_u32_e64 s17, 0, v37
	s_delay_alu instid0(VALU_DEP_2) | instskip(NEXT) | instid1(VALU_DEP_2)
	v_cmp_eq_u32_e32 vcc_lo, 0, v153
	s_and_b32 s18, s17, vcc_lo
	s_delay_alu instid0(SALU_CYCLE_1)
	s_and_saveexec_b32 s17, s18
	s_cbranch_execz .LBB637_440
; %bb.439:                              ;   in Loop: Header=BB637_400 Depth=2
	s_waitcnt lgkmcnt(0)
	v_bcnt_u32_b32 v37, v37, v152
	ds_store_b32 v154, v37
.LBB637_440:                            ;   in Loop: Header=BB637_400 Depth=2
	s_or_b32 exec_lo, exec_lo, s17
	v_xor_b32_e32 v151, 0x80000000, v151
	; wave barrier
	s_delay_alu instid0(VALU_DEP_1) | instskip(NEXT) | instid1(VALU_DEP_1)
	v_lshrrev_b32_e32 v37, s38, v151
	v_and_b32_e32 v37, s39, v37
	s_delay_alu instid0(VALU_DEP_1)
	v_and_b32_e32 v156, 1, v37
	v_lshlrev_b32_e32 v157, 30, v37
	v_lshlrev_b32_e32 v158, 29, v37
	;; [unrolled: 1-line block ×4, first 2 shown]
	v_add_co_u32 v156, s17, v156, -1
	s_delay_alu instid0(VALU_DEP_1)
	v_cndmask_b32_e64 v161, 0, 1, s17
	v_not_b32_e32 v166, v157
	v_cmp_gt_i32_e64 s17, 0, v157
	v_not_b32_e32 v157, v158
	v_lshlrev_b32_e32 v164, 26, v37
	v_cmp_ne_u32_e32 vcc_lo, 0, v161
	v_ashrrev_i32_e32 v166, 31, v166
	v_lshlrev_b32_e32 v165, 25, v37
	v_ashrrev_i32_e32 v157, 31, v157
	v_lshlrev_b32_e32 v161, 24, v37
	v_xor_b32_e32 v156, vcc_lo, v156
	v_cmp_gt_i32_e32 vcc_lo, 0, v158
	v_not_b32_e32 v158, v160
	v_xor_b32_e32 v166, s17, v166
	v_cmp_gt_i32_e64 s17, 0, v160
	v_and_b32_e32 v156, exec_lo, v156
	v_not_b32_e32 v160, v162
	v_ashrrev_i32_e32 v158, 31, v158
	v_xor_b32_e32 v157, vcc_lo, v157
	v_cmp_gt_i32_e32 vcc_lo, 0, v162
	v_and_b32_e32 v156, v156, v166
	v_not_b32_e32 v162, v164
	v_ashrrev_i32_e32 v160, 31, v160
	v_xor_b32_e32 v158, s17, v158
	v_cmp_gt_i32_e64 s17, 0, v164
	v_and_b32_e32 v156, v156, v157
	v_not_b32_e32 v157, v165
	v_ashrrev_i32_e32 v162, 31, v162
	v_xor_b32_e32 v160, vcc_lo, v160
	v_cmp_gt_i32_e32 vcc_lo, 0, v165
	v_and_b32_e32 v156, v156, v158
	v_not_b32_e32 v158, v161
	v_ashrrev_i32_e32 v157, 31, v157
	v_xor_b32_e32 v162, s17, v162
	v_mul_u32_u24_e32 v37, 9, v37
	v_and_b32_e32 v156, v156, v160
	v_cmp_gt_i32_e64 s17, 0, v161
	v_ashrrev_i32_e32 v158, 31, v158
	v_xor_b32_e32 v157, vcc_lo, v157
	v_add_lshl_u32 v160, v37, v128, 2
	v_and_b32_e32 v156, v156, v162
	s_delay_alu instid0(VALU_DEP_4) | instskip(NEXT) | instid1(VALU_DEP_3)
	v_xor_b32_e32 v37, s17, v158
	v_add_nc_u32_e32 v158, 0x420, v160
	s_delay_alu instid0(VALU_DEP_3) | instskip(SKIP_2) | instid1(VALU_DEP_1)
	v_and_b32_e32 v157, v156, v157
	ds_load_b32 v156, v160 offset:1056
	; wave barrier
	v_and_b32_e32 v37, v157, v37
	v_mbcnt_lo_u32_b32 v157, v37, 0
	v_cmp_ne_u32_e64 s17, 0, v37
	s_delay_alu instid0(VALU_DEP_2) | instskip(NEXT) | instid1(VALU_DEP_2)
	v_cmp_eq_u32_e32 vcc_lo, 0, v157
	s_and_b32 s18, s17, vcc_lo
	s_delay_alu instid0(SALU_CYCLE_1)
	s_and_saveexec_b32 s17, s18
	s_cbranch_execz .LBB637_442
; %bb.441:                              ;   in Loop: Header=BB637_400 Depth=2
	s_waitcnt lgkmcnt(0)
	v_bcnt_u32_b32 v37, v37, v156
	ds_store_b32 v158, v37
.LBB637_442:                            ;   in Loop: Header=BB637_400 Depth=2
	s_or_b32 exec_lo, exec_lo, s17
	v_xor_b32_e32 v155, 0x80000000, v155
	; wave barrier
	s_delay_alu instid0(VALU_DEP_1) | instskip(NEXT) | instid1(VALU_DEP_1)
	v_lshrrev_b32_e32 v37, s38, v155
	v_and_b32_e32 v37, s39, v37
	s_delay_alu instid0(VALU_DEP_1)
	v_and_b32_e32 v160, 1, v37
	v_lshlrev_b32_e32 v161, 30, v37
	v_lshlrev_b32_e32 v162, 29, v37
	;; [unrolled: 1-line block ×4, first 2 shown]
	v_add_co_u32 v160, s17, v160, -1
	s_delay_alu instid0(VALU_DEP_1)
	v_cndmask_b32_e64 v165, 0, 1, s17
	v_not_b32_e32 v170, v161
	v_cmp_gt_i32_e64 s17, 0, v161
	v_not_b32_e32 v161, v162
	v_lshlrev_b32_e32 v168, 26, v37
	v_cmp_ne_u32_e32 vcc_lo, 0, v165
	v_ashrrev_i32_e32 v170, 31, v170
	v_lshlrev_b32_e32 v169, 25, v37
	v_ashrrev_i32_e32 v161, 31, v161
	v_lshlrev_b32_e32 v165, 24, v37
	v_xor_b32_e32 v160, vcc_lo, v160
	v_cmp_gt_i32_e32 vcc_lo, 0, v162
	v_not_b32_e32 v162, v164
	v_xor_b32_e32 v170, s17, v170
	v_cmp_gt_i32_e64 s17, 0, v164
	v_and_b32_e32 v160, exec_lo, v160
	v_not_b32_e32 v164, v166
	v_ashrrev_i32_e32 v162, 31, v162
	v_xor_b32_e32 v161, vcc_lo, v161
	v_cmp_gt_i32_e32 vcc_lo, 0, v166
	v_and_b32_e32 v160, v160, v170
	v_not_b32_e32 v166, v168
	v_ashrrev_i32_e32 v164, 31, v164
	v_xor_b32_e32 v162, s17, v162
	v_cmp_gt_i32_e64 s17, 0, v168
	v_and_b32_e32 v160, v160, v161
	v_not_b32_e32 v161, v169
	v_ashrrev_i32_e32 v166, 31, v166
	v_xor_b32_e32 v164, vcc_lo, v164
	v_cmp_gt_i32_e32 vcc_lo, 0, v169
	v_and_b32_e32 v160, v160, v162
	v_not_b32_e32 v162, v165
	v_ashrrev_i32_e32 v161, 31, v161
	v_xor_b32_e32 v166, s17, v166
	v_mul_u32_u24_e32 v37, 9, v37
	v_and_b32_e32 v160, v160, v164
	v_cmp_gt_i32_e64 s17, 0, v165
	v_ashrrev_i32_e32 v162, 31, v162
	v_xor_b32_e32 v161, vcc_lo, v161
	v_add_lshl_u32 v164, v37, v128, 2
	v_and_b32_e32 v160, v160, v166
	s_delay_alu instid0(VALU_DEP_4) | instskip(NEXT) | instid1(VALU_DEP_3)
	v_xor_b32_e32 v37, s17, v162
	v_add_nc_u32_e32 v162, 0x420, v164
	s_delay_alu instid0(VALU_DEP_3) | instskip(SKIP_2) | instid1(VALU_DEP_1)
	v_and_b32_e32 v161, v160, v161
	ds_load_b32 v160, v164 offset:1056
	; wave barrier
	v_and_b32_e32 v37, v161, v37
	v_mbcnt_lo_u32_b32 v161, v37, 0
	v_cmp_ne_u32_e64 s17, 0, v37
	s_delay_alu instid0(VALU_DEP_2) | instskip(NEXT) | instid1(VALU_DEP_2)
	v_cmp_eq_u32_e32 vcc_lo, 0, v161
	s_and_b32 s18, s17, vcc_lo
	s_delay_alu instid0(SALU_CYCLE_1)
	s_and_saveexec_b32 s17, s18
	s_cbranch_execz .LBB637_444
; %bb.443:                              ;   in Loop: Header=BB637_400 Depth=2
	s_waitcnt lgkmcnt(0)
	v_bcnt_u32_b32 v37, v37, v160
	ds_store_b32 v162, v37
.LBB637_444:                            ;   in Loop: Header=BB637_400 Depth=2
	s_or_b32 exec_lo, exec_lo, s17
	v_xor_b32_e32 v159, 0x80000000, v159
	; wave barrier
	s_delay_alu instid0(VALU_DEP_1) | instskip(NEXT) | instid1(VALU_DEP_1)
	v_lshrrev_b32_e32 v37, s38, v159
	v_and_b32_e32 v37, s39, v37
	s_delay_alu instid0(VALU_DEP_1)
	v_and_b32_e32 v164, 1, v37
	v_lshlrev_b32_e32 v165, 30, v37
	v_lshlrev_b32_e32 v166, 29, v37
	;; [unrolled: 1-line block ×4, first 2 shown]
	v_add_co_u32 v164, s17, v164, -1
	s_delay_alu instid0(VALU_DEP_1)
	v_cndmask_b32_e64 v169, 0, 1, s17
	v_not_b32_e32 v175, v165
	v_cmp_gt_i32_e64 s17, 0, v165
	v_not_b32_e32 v165, v166
	v_lshlrev_b32_e32 v173, 26, v37
	v_cmp_ne_u32_e32 vcc_lo, 0, v169
	v_ashrrev_i32_e32 v175, 31, v175
	v_lshlrev_b32_e32 v174, 25, v37
	v_ashrrev_i32_e32 v165, 31, v165
	v_lshlrev_b32_e32 v169, 24, v37
	v_xor_b32_e32 v164, vcc_lo, v164
	v_cmp_gt_i32_e32 vcc_lo, 0, v166
	v_not_b32_e32 v166, v168
	v_xor_b32_e32 v175, s17, v175
	v_cmp_gt_i32_e64 s17, 0, v168
	v_and_b32_e32 v164, exec_lo, v164
	v_not_b32_e32 v168, v170
	v_ashrrev_i32_e32 v166, 31, v166
	v_xor_b32_e32 v165, vcc_lo, v165
	v_cmp_gt_i32_e32 vcc_lo, 0, v170
	v_and_b32_e32 v164, v164, v175
	v_not_b32_e32 v170, v173
	v_ashrrev_i32_e32 v168, 31, v168
	v_xor_b32_e32 v166, s17, v166
	v_cmp_gt_i32_e64 s17, 0, v173
	v_and_b32_e32 v164, v164, v165
	v_not_b32_e32 v165, v174
	v_ashrrev_i32_e32 v170, 31, v170
	v_xor_b32_e32 v168, vcc_lo, v168
	v_cmp_gt_i32_e32 vcc_lo, 0, v174
	v_and_b32_e32 v164, v164, v166
	v_not_b32_e32 v166, v169
	v_ashrrev_i32_e32 v165, 31, v165
	v_xor_b32_e32 v170, s17, v170
	v_mul_u32_u24_e32 v37, 9, v37
	v_and_b32_e32 v164, v164, v168
	v_cmp_gt_i32_e64 s17, 0, v169
	v_ashrrev_i32_e32 v166, 31, v166
	v_xor_b32_e32 v165, vcc_lo, v165
	v_add_lshl_u32 v168, v37, v128, 2
	v_and_b32_e32 v164, v164, v170
	s_delay_alu instid0(VALU_DEP_4) | instskip(NEXT) | instid1(VALU_DEP_3)
	v_xor_b32_e32 v37, s17, v166
	v_add_nc_u32_e32 v166, 0x420, v168
	s_delay_alu instid0(VALU_DEP_3) | instskip(SKIP_2) | instid1(VALU_DEP_1)
	v_and_b32_e32 v165, v164, v165
	ds_load_b32 v164, v168 offset:1056
	; wave barrier
	v_and_b32_e32 v37, v165, v37
	v_mbcnt_lo_u32_b32 v165, v37, 0
	v_cmp_ne_u32_e64 s17, 0, v37
	s_delay_alu instid0(VALU_DEP_2) | instskip(NEXT) | instid1(VALU_DEP_2)
	v_cmp_eq_u32_e32 vcc_lo, 0, v165
	s_and_b32 s18, s17, vcc_lo
	s_delay_alu instid0(SALU_CYCLE_1)
	s_and_saveexec_b32 s17, s18
	s_cbranch_execz .LBB637_446
; %bb.445:                              ;   in Loop: Header=BB637_400 Depth=2
	s_waitcnt lgkmcnt(0)
	v_bcnt_u32_b32 v37, v37, v164
	ds_store_b32 v166, v37
.LBB637_446:                            ;   in Loop: Header=BB637_400 Depth=2
	s_or_b32 exec_lo, exec_lo, s17
	v_xor_b32_e32 v163, 0x80000000, v163
	; wave barrier
	s_delay_alu instid0(VALU_DEP_1) | instskip(NEXT) | instid1(VALU_DEP_1)
	v_lshrrev_b32_e32 v37, s38, v163
	v_and_b32_e32 v37, s39, v37
	s_delay_alu instid0(VALU_DEP_1)
	v_and_b32_e32 v168, 1, v37
	v_lshlrev_b32_e32 v169, 30, v37
	v_lshlrev_b32_e32 v170, 29, v37
	;; [unrolled: 1-line block ×4, first 2 shown]
	v_add_co_u32 v168, s17, v168, -1
	s_delay_alu instid0(VALU_DEP_1)
	v_cndmask_b32_e64 v174, 0, 1, s17
	v_not_b32_e32 v178, v169
	v_cmp_gt_i32_e64 s17, 0, v169
	v_not_b32_e32 v169, v170
	v_lshlrev_b32_e32 v176, 26, v37
	v_cmp_ne_u32_e32 vcc_lo, 0, v174
	v_ashrrev_i32_e32 v178, 31, v178
	v_lshlrev_b32_e32 v177, 25, v37
	v_ashrrev_i32_e32 v169, 31, v169
	v_lshlrev_b32_e32 v174, 24, v37
	v_xor_b32_e32 v168, vcc_lo, v168
	v_cmp_gt_i32_e32 vcc_lo, 0, v170
	v_not_b32_e32 v170, v173
	v_xor_b32_e32 v178, s17, v178
	v_cmp_gt_i32_e64 s17, 0, v173
	v_and_b32_e32 v168, exec_lo, v168
	v_not_b32_e32 v173, v175
	v_ashrrev_i32_e32 v170, 31, v170
	v_xor_b32_e32 v169, vcc_lo, v169
	v_cmp_gt_i32_e32 vcc_lo, 0, v175
	v_and_b32_e32 v168, v168, v178
	v_not_b32_e32 v175, v176
	v_ashrrev_i32_e32 v173, 31, v173
	v_xor_b32_e32 v170, s17, v170
	v_cmp_gt_i32_e64 s17, 0, v176
	v_and_b32_e32 v168, v168, v169
	v_not_b32_e32 v169, v177
	v_ashrrev_i32_e32 v175, 31, v175
	v_xor_b32_e32 v173, vcc_lo, v173
	v_cmp_gt_i32_e32 vcc_lo, 0, v177
	v_and_b32_e32 v168, v168, v170
	v_not_b32_e32 v170, v174
	v_ashrrev_i32_e32 v169, 31, v169
	v_xor_b32_e32 v175, s17, v175
	v_mul_u32_u24_e32 v37, 9, v37
	v_and_b32_e32 v168, v168, v173
	v_cmp_gt_i32_e64 s17, 0, v174
	v_ashrrev_i32_e32 v170, 31, v170
	v_xor_b32_e32 v169, vcc_lo, v169
	v_add_lshl_u32 v173, v37, v128, 2
	v_and_b32_e32 v168, v168, v175
	s_delay_alu instid0(VALU_DEP_4) | instskip(NEXT) | instid1(VALU_DEP_3)
	v_xor_b32_e32 v37, s17, v170
	v_add_nc_u32_e32 v170, 0x420, v173
	s_delay_alu instid0(VALU_DEP_3) | instskip(SKIP_2) | instid1(VALU_DEP_1)
	v_and_b32_e32 v169, v168, v169
	ds_load_b32 v168, v173 offset:1056
	; wave barrier
	v_and_b32_e32 v37, v169, v37
	v_mbcnt_lo_u32_b32 v169, v37, 0
	v_cmp_ne_u32_e64 s17, 0, v37
	s_delay_alu instid0(VALU_DEP_2) | instskip(NEXT) | instid1(VALU_DEP_2)
	v_cmp_eq_u32_e32 vcc_lo, 0, v169
	s_and_b32 s18, s17, vcc_lo
	s_delay_alu instid0(SALU_CYCLE_1)
	s_and_saveexec_b32 s17, s18
	s_cbranch_execz .LBB637_448
; %bb.447:                              ;   in Loop: Header=BB637_400 Depth=2
	s_waitcnt lgkmcnt(0)
	v_bcnt_u32_b32 v37, v37, v168
	ds_store_b32 v170, v37
.LBB637_448:                            ;   in Loop: Header=BB637_400 Depth=2
	s_or_b32 exec_lo, exec_lo, s17
	v_xor_b32_e32 v167, 0x80000000, v167
	; wave barrier
	s_delay_alu instid0(VALU_DEP_1) | instskip(NEXT) | instid1(VALU_DEP_1)
	v_lshrrev_b32_e32 v37, s38, v167
	v_and_b32_e32 v37, s39, v37
	s_delay_alu instid0(VALU_DEP_1)
	v_and_b32_e32 v173, 1, v37
	v_lshlrev_b32_e32 v174, 30, v37
	v_lshlrev_b32_e32 v175, 29, v37
	;; [unrolled: 1-line block ×4, first 2 shown]
	v_add_co_u32 v173, s17, v173, -1
	s_delay_alu instid0(VALU_DEP_1)
	v_cndmask_b32_e64 v177, 0, 1, s17
	v_not_b32_e32 v181, v174
	v_cmp_gt_i32_e64 s17, 0, v174
	v_not_b32_e32 v174, v175
	v_lshlrev_b32_e32 v179, 26, v37
	v_cmp_ne_u32_e32 vcc_lo, 0, v177
	v_ashrrev_i32_e32 v181, 31, v181
	v_lshlrev_b32_e32 v180, 25, v37
	v_ashrrev_i32_e32 v174, 31, v174
	v_lshlrev_b32_e32 v177, 24, v37
	v_xor_b32_e32 v173, vcc_lo, v173
	v_cmp_gt_i32_e32 vcc_lo, 0, v175
	v_not_b32_e32 v175, v176
	v_xor_b32_e32 v181, s17, v181
	v_cmp_gt_i32_e64 s17, 0, v176
	v_and_b32_e32 v173, exec_lo, v173
	v_not_b32_e32 v176, v178
	v_ashrrev_i32_e32 v175, 31, v175
	v_xor_b32_e32 v174, vcc_lo, v174
	v_cmp_gt_i32_e32 vcc_lo, 0, v178
	v_and_b32_e32 v173, v173, v181
	v_not_b32_e32 v178, v179
	v_ashrrev_i32_e32 v176, 31, v176
	v_xor_b32_e32 v175, s17, v175
	v_cmp_gt_i32_e64 s17, 0, v179
	v_and_b32_e32 v173, v173, v174
	v_not_b32_e32 v174, v180
	v_ashrrev_i32_e32 v178, 31, v178
	v_xor_b32_e32 v176, vcc_lo, v176
	v_cmp_gt_i32_e32 vcc_lo, 0, v180
	v_and_b32_e32 v173, v173, v175
	v_not_b32_e32 v175, v177
	v_ashrrev_i32_e32 v174, 31, v174
	v_xor_b32_e32 v178, s17, v178
	v_mul_u32_u24_e32 v37, 9, v37
	v_and_b32_e32 v173, v173, v176
	v_cmp_gt_i32_e64 s17, 0, v177
	v_ashrrev_i32_e32 v175, 31, v175
	v_xor_b32_e32 v174, vcc_lo, v174
	v_add_lshl_u32 v176, v37, v128, 2
	v_and_b32_e32 v173, v173, v178
	s_delay_alu instid0(VALU_DEP_4) | instskip(NEXT) | instid1(VALU_DEP_3)
	v_xor_b32_e32 v37, s17, v175
	v_add_nc_u32_e32 v175, 0x420, v176
	s_delay_alu instid0(VALU_DEP_3) | instskip(SKIP_2) | instid1(VALU_DEP_1)
	v_and_b32_e32 v174, v173, v174
	ds_load_b32 v173, v176 offset:1056
	; wave barrier
	v_and_b32_e32 v37, v174, v37
	v_mbcnt_lo_u32_b32 v174, v37, 0
	v_cmp_ne_u32_e64 s17, 0, v37
	s_delay_alu instid0(VALU_DEP_2) | instskip(NEXT) | instid1(VALU_DEP_2)
	v_cmp_eq_u32_e32 vcc_lo, 0, v174
	s_and_b32 s18, s17, vcc_lo
	s_delay_alu instid0(SALU_CYCLE_1)
	s_and_saveexec_b32 s17, s18
	s_cbranch_execz .LBB637_450
; %bb.449:                              ;   in Loop: Header=BB637_400 Depth=2
	s_waitcnt lgkmcnt(0)
	v_bcnt_u32_b32 v37, v37, v173
	ds_store_b32 v175, v37
.LBB637_450:                            ;   in Loop: Header=BB637_400 Depth=2
	s_or_b32 exec_lo, exec_lo, s17
	v_xor_b32_e32 v172, 0x80000000, v172
	; wave barrier
	s_delay_alu instid0(VALU_DEP_1) | instskip(NEXT) | instid1(VALU_DEP_1)
	v_lshrrev_b32_e32 v37, s38, v172
	v_and_b32_e32 v37, s39, v37
	s_delay_alu instid0(VALU_DEP_1)
	v_and_b32_e32 v176, 1, v37
	v_lshlrev_b32_e32 v177, 30, v37
	v_lshlrev_b32_e32 v178, 29, v37
	;; [unrolled: 1-line block ×4, first 2 shown]
	v_add_co_u32 v176, s17, v176, -1
	s_delay_alu instid0(VALU_DEP_1)
	v_cndmask_b32_e64 v180, 0, 1, s17
	v_not_b32_e32 v184, v177
	v_cmp_gt_i32_e64 s17, 0, v177
	v_not_b32_e32 v177, v178
	v_lshlrev_b32_e32 v182, 26, v37
	v_cmp_ne_u32_e32 vcc_lo, 0, v180
	v_ashrrev_i32_e32 v184, 31, v184
	v_lshlrev_b32_e32 v183, 25, v37
	v_ashrrev_i32_e32 v177, 31, v177
	v_lshlrev_b32_e32 v180, 24, v37
	v_xor_b32_e32 v176, vcc_lo, v176
	v_cmp_gt_i32_e32 vcc_lo, 0, v178
	v_not_b32_e32 v178, v179
	v_xor_b32_e32 v184, s17, v184
	v_cmp_gt_i32_e64 s17, 0, v179
	v_and_b32_e32 v176, exec_lo, v176
	v_not_b32_e32 v179, v181
	v_ashrrev_i32_e32 v178, 31, v178
	v_xor_b32_e32 v177, vcc_lo, v177
	v_cmp_gt_i32_e32 vcc_lo, 0, v181
	v_and_b32_e32 v176, v176, v184
	v_not_b32_e32 v181, v182
	v_ashrrev_i32_e32 v179, 31, v179
	v_xor_b32_e32 v178, s17, v178
	v_cmp_gt_i32_e64 s17, 0, v182
	v_and_b32_e32 v176, v176, v177
	v_not_b32_e32 v177, v183
	v_ashrrev_i32_e32 v181, 31, v181
	v_xor_b32_e32 v179, vcc_lo, v179
	v_cmp_gt_i32_e32 vcc_lo, 0, v183
	v_and_b32_e32 v176, v176, v178
	v_not_b32_e32 v178, v180
	v_ashrrev_i32_e32 v177, 31, v177
	v_xor_b32_e32 v181, s17, v181
	v_mul_u32_u24_e32 v37, 9, v37
	v_and_b32_e32 v176, v176, v179
	v_cmp_gt_i32_e64 s17, 0, v180
	v_ashrrev_i32_e32 v178, 31, v178
	v_xor_b32_e32 v177, vcc_lo, v177
	v_add_lshl_u32 v179, v37, v128, 2
	v_and_b32_e32 v176, v176, v181
	s_delay_alu instid0(VALU_DEP_4) | instskip(NEXT) | instid1(VALU_DEP_3)
	v_xor_b32_e32 v37, s17, v178
	v_add_nc_u32_e32 v178, 0x420, v179
	s_delay_alu instid0(VALU_DEP_3) | instskip(SKIP_2) | instid1(VALU_DEP_1)
	v_and_b32_e32 v177, v176, v177
	ds_load_b32 v176, v179 offset:1056
	; wave barrier
	v_and_b32_e32 v37, v177, v37
	v_mbcnt_lo_u32_b32 v177, v37, 0
	v_cmp_ne_u32_e64 s17, 0, v37
	s_delay_alu instid0(VALU_DEP_2) | instskip(NEXT) | instid1(VALU_DEP_2)
	v_cmp_eq_u32_e32 vcc_lo, 0, v177
	s_and_b32 s18, s17, vcc_lo
	s_delay_alu instid0(SALU_CYCLE_1)
	s_and_saveexec_b32 s17, s18
	s_cbranch_execz .LBB637_452
; %bb.451:                              ;   in Loop: Header=BB637_400 Depth=2
	s_waitcnt lgkmcnt(0)
	v_bcnt_u32_b32 v37, v37, v176
	ds_store_b32 v178, v37
.LBB637_452:                            ;   in Loop: Header=BB637_400 Depth=2
	s_or_b32 exec_lo, exec_lo, s17
	v_xor_b32_e32 v171, 0x80000000, v171
	; wave barrier
	s_delay_alu instid0(VALU_DEP_1) | instskip(NEXT) | instid1(VALU_DEP_1)
	v_lshrrev_b32_e32 v37, s38, v171
	v_and_b32_e32 v37, s39, v37
	s_delay_alu instid0(VALU_DEP_1)
	v_and_b32_e32 v179, 1, v37
	v_lshlrev_b32_e32 v180, 30, v37
	v_lshlrev_b32_e32 v181, 29, v37
	;; [unrolled: 1-line block ×4, first 2 shown]
	v_add_co_u32 v179, s17, v179, -1
	s_delay_alu instid0(VALU_DEP_1)
	v_cndmask_b32_e64 v183, 0, 1, s17
	v_not_b32_e32 v187, v180
	v_cmp_gt_i32_e64 s17, 0, v180
	v_not_b32_e32 v180, v181
	v_lshlrev_b32_e32 v185, 26, v37
	v_cmp_ne_u32_e32 vcc_lo, 0, v183
	v_ashrrev_i32_e32 v187, 31, v187
	v_lshlrev_b32_e32 v186, 25, v37
	v_ashrrev_i32_e32 v180, 31, v180
	v_lshlrev_b32_e32 v183, 24, v37
	v_xor_b32_e32 v179, vcc_lo, v179
	v_cmp_gt_i32_e32 vcc_lo, 0, v181
	v_not_b32_e32 v181, v182
	v_xor_b32_e32 v187, s17, v187
	v_cmp_gt_i32_e64 s17, 0, v182
	v_and_b32_e32 v179, exec_lo, v179
	v_not_b32_e32 v182, v184
	v_ashrrev_i32_e32 v181, 31, v181
	v_xor_b32_e32 v180, vcc_lo, v180
	v_cmp_gt_i32_e32 vcc_lo, 0, v184
	v_and_b32_e32 v179, v179, v187
	v_not_b32_e32 v184, v185
	v_ashrrev_i32_e32 v182, 31, v182
	v_xor_b32_e32 v181, s17, v181
	v_cmp_gt_i32_e64 s17, 0, v185
	v_and_b32_e32 v179, v179, v180
	v_not_b32_e32 v180, v186
	v_ashrrev_i32_e32 v184, 31, v184
	v_xor_b32_e32 v182, vcc_lo, v182
	v_cmp_gt_i32_e32 vcc_lo, 0, v186
	v_and_b32_e32 v179, v179, v181
	v_not_b32_e32 v181, v183
	v_ashrrev_i32_e32 v180, 31, v180
	v_xor_b32_e32 v184, s17, v184
	v_mul_u32_u24_e32 v37, 9, v37
	v_and_b32_e32 v179, v179, v182
	v_cmp_gt_i32_e64 s17, 0, v183
	v_ashrrev_i32_e32 v181, 31, v181
	v_xor_b32_e32 v180, vcc_lo, v180
	v_add_lshl_u32 v182, v37, v128, 2
	v_and_b32_e32 v179, v179, v184
	s_delay_alu instid0(VALU_DEP_4) | instskip(NEXT) | instid1(VALU_DEP_2)
	v_xor_b32_e32 v37, s17, v181
	v_and_b32_e32 v179, v179, v180
	ds_load_b32 v180, v182 offset:1056
	v_add_nc_u32_e32 v182, 0x420, v182
	; wave barrier
	v_and_b32_e32 v37, v179, v37
	s_delay_alu instid0(VALU_DEP_1) | instskip(SKIP_1) | instid1(VALU_DEP_2)
	v_mbcnt_lo_u32_b32 v181, v37, 0
	v_cmp_ne_u32_e64 s17, 0, v37
	v_cmp_eq_u32_e32 vcc_lo, 0, v181
	s_delay_alu instid0(VALU_DEP_2) | instskip(NEXT) | instid1(SALU_CYCLE_1)
	s_and_b32 s18, s17, vcc_lo
	s_and_saveexec_b32 s17, s18
	s_cbranch_execz .LBB637_454
; %bb.453:                              ;   in Loop: Header=BB637_400 Depth=2
	s_waitcnt lgkmcnt(0)
	v_bcnt_u32_b32 v37, v37, v180
	ds_store_b32 v182, v37
.LBB637_454:                            ;   in Loop: Header=BB637_400 Depth=2
	s_or_b32 exec_lo, exec_lo, s17
	v_xor_b32_e32 v179, 0x80000000, v43
	; wave barrier
	s_delay_alu instid0(VALU_DEP_1) | instskip(NEXT) | instid1(VALU_DEP_1)
	v_lshrrev_b32_e32 v37, s38, v179
	v_and_b32_e32 v37, s39, v37
	s_delay_alu instid0(VALU_DEP_1)
	v_and_b32_e32 v43, 1, v37
	v_lshlrev_b32_e32 v183, 30, v37
	v_lshlrev_b32_e32 v184, 29, v37
	;; [unrolled: 1-line block ×4, first 2 shown]
	v_add_co_u32 v43, s17, v43, -1
	s_delay_alu instid0(VALU_DEP_1)
	v_cndmask_b32_e64 v186, 0, 1, s17
	v_not_b32_e32 v190, v183
	v_cmp_gt_i32_e64 s17, 0, v183
	v_not_b32_e32 v183, v184
	v_lshlrev_b32_e32 v188, 26, v37
	v_cmp_ne_u32_e32 vcc_lo, 0, v186
	v_ashrrev_i32_e32 v190, 31, v190
	v_lshlrev_b32_e32 v189, 25, v37
	v_ashrrev_i32_e32 v183, 31, v183
	v_lshlrev_b32_e32 v186, 24, v37
	v_xor_b32_e32 v43, vcc_lo, v43
	v_cmp_gt_i32_e32 vcc_lo, 0, v184
	v_not_b32_e32 v184, v185
	v_xor_b32_e32 v190, s17, v190
	v_cmp_gt_i32_e64 s17, 0, v185
	v_and_b32_e32 v43, exec_lo, v43
	v_not_b32_e32 v185, v187
	v_ashrrev_i32_e32 v184, 31, v184
	v_xor_b32_e32 v183, vcc_lo, v183
	v_cmp_gt_i32_e32 vcc_lo, 0, v187
	v_and_b32_e32 v43, v43, v190
	v_not_b32_e32 v187, v188
	v_ashrrev_i32_e32 v185, 31, v185
	v_xor_b32_e32 v184, s17, v184
	v_cmp_gt_i32_e64 s17, 0, v188
	v_and_b32_e32 v43, v43, v183
	v_not_b32_e32 v183, v189
	v_ashrrev_i32_e32 v187, 31, v187
	v_xor_b32_e32 v185, vcc_lo, v185
	v_cmp_gt_i32_e32 vcc_lo, 0, v189
	v_and_b32_e32 v43, v43, v184
	v_not_b32_e32 v184, v186
	v_ashrrev_i32_e32 v183, 31, v183
	v_xor_b32_e32 v187, s17, v187
	v_mul_u32_u24_e32 v37, 9, v37
	v_and_b32_e32 v43, v43, v185
	v_cmp_gt_i32_e64 s17, 0, v186
	v_ashrrev_i32_e32 v184, 31, v184
	v_xor_b32_e32 v183, vcc_lo, v183
	v_add_lshl_u32 v186, v37, v128, 2
	v_and_b32_e32 v43, v43, v187
	s_delay_alu instid0(VALU_DEP_4) | instskip(SKIP_3) | instid1(VALU_DEP_2)
	v_xor_b32_e32 v37, s17, v184
	ds_load_b32 v184, v186 offset:1056
	v_and_b32_e32 v43, v43, v183
	v_add_nc_u32_e32 v186, 0x420, v186
	; wave barrier
	v_and_b32_e32 v37, v43, v37
	s_delay_alu instid0(VALU_DEP_1) | instskip(SKIP_1) | instid1(VALU_DEP_2)
	v_mbcnt_lo_u32_b32 v185, v37, 0
	v_cmp_ne_u32_e64 s17, 0, v37
	v_cmp_eq_u32_e32 vcc_lo, 0, v185
	s_delay_alu instid0(VALU_DEP_2) | instskip(NEXT) | instid1(SALU_CYCLE_1)
	s_and_b32 s18, s17, vcc_lo
	s_and_saveexec_b32 s17, s18
	s_cbranch_execz .LBB637_456
; %bb.455:                              ;   in Loop: Header=BB637_400 Depth=2
	s_waitcnt lgkmcnt(0)
	v_bcnt_u32_b32 v37, v37, v184
	ds_store_b32 v186, v37
.LBB637_456:                            ;   in Loop: Header=BB637_400 Depth=2
	s_or_b32 exec_lo, exec_lo, s17
	v_xor_b32_e32 v183, 0x80000000, v42
	; wave barrier
	s_delay_alu instid0(VALU_DEP_1) | instskip(NEXT) | instid1(VALU_DEP_1)
	v_lshrrev_b32_e32 v37, s38, v183
	v_and_b32_e32 v37, s39, v37
	s_delay_alu instid0(VALU_DEP_1)
	v_and_b32_e32 v42, 1, v37
	v_lshlrev_b32_e32 v43, 30, v37
	v_lshlrev_b32_e32 v187, 29, v37
	;; [unrolled: 1-line block ×4, first 2 shown]
	v_add_co_u32 v42, s17, v42, -1
	s_delay_alu instid0(VALU_DEP_1)
	v_cndmask_b32_e64 v189, 0, 1, s17
	v_not_b32_e32 v193, v43
	v_cmp_gt_i32_e64 s17, 0, v43
	v_not_b32_e32 v43, v187
	v_lshlrev_b32_e32 v191, 26, v37
	v_cmp_ne_u32_e32 vcc_lo, 0, v189
	v_ashrrev_i32_e32 v193, 31, v193
	v_lshlrev_b32_e32 v192, 25, v37
	v_ashrrev_i32_e32 v43, 31, v43
	v_lshlrev_b32_e32 v189, 24, v37
	v_xor_b32_e32 v42, vcc_lo, v42
	v_cmp_gt_i32_e32 vcc_lo, 0, v187
	v_not_b32_e32 v187, v188
	v_xor_b32_e32 v193, s17, v193
	v_cmp_gt_i32_e64 s17, 0, v188
	v_and_b32_e32 v42, exec_lo, v42
	v_not_b32_e32 v188, v190
	v_ashrrev_i32_e32 v187, 31, v187
	v_xor_b32_e32 v43, vcc_lo, v43
	v_cmp_gt_i32_e32 vcc_lo, 0, v190
	v_and_b32_e32 v42, v42, v193
	v_not_b32_e32 v190, v191
	v_ashrrev_i32_e32 v188, 31, v188
	v_xor_b32_e32 v187, s17, v187
	v_cmp_gt_i32_e64 s17, 0, v191
	v_and_b32_e32 v42, v42, v43
	v_not_b32_e32 v43, v192
	v_ashrrev_i32_e32 v190, 31, v190
	v_xor_b32_e32 v188, vcc_lo, v188
	v_cmp_gt_i32_e32 vcc_lo, 0, v192
	v_and_b32_e32 v42, v42, v187
	v_not_b32_e32 v187, v189
	v_ashrrev_i32_e32 v43, 31, v43
	v_xor_b32_e32 v190, s17, v190
	v_mul_u32_u24_e32 v37, 9, v37
	v_and_b32_e32 v42, v42, v188
	v_cmp_gt_i32_e64 s17, 0, v189
	v_ashrrev_i32_e32 v187, 31, v187
	v_xor_b32_e32 v43, vcc_lo, v43
	s_delay_alu instid0(VALU_DEP_4) | instskip(SKIP_1) | instid1(VALU_DEP_4)
	v_and_b32_e32 v42, v42, v190
	v_add_lshl_u32 v190, v37, v128, 2
	v_xor_b32_e32 v37, s17, v187
	s_delay_alu instid0(VALU_DEP_3) | instskip(SKIP_3) | instid1(VALU_DEP_1)
	v_and_b32_e32 v42, v42, v43
	ds_load_b32 v188, v190 offset:1056
	v_add_nc_u32_e32 v190, 0x420, v190
	; wave barrier
	v_and_b32_e32 v37, v42, v37
	v_mbcnt_lo_u32_b32 v189, v37, 0
	v_cmp_ne_u32_e64 s17, 0, v37
	s_delay_alu instid0(VALU_DEP_2) | instskip(NEXT) | instid1(VALU_DEP_2)
	v_cmp_eq_u32_e32 vcc_lo, 0, v189
	s_and_b32 s18, s17, vcc_lo
	s_delay_alu instid0(SALU_CYCLE_1)
	s_and_saveexec_b32 s17, s18
	s_cbranch_execz .LBB637_458
; %bb.457:                              ;   in Loop: Header=BB637_400 Depth=2
	s_waitcnt lgkmcnt(0)
	v_bcnt_u32_b32 v37, v37, v188
	ds_store_b32 v190, v37
.LBB637_458:                            ;   in Loop: Header=BB637_400 Depth=2
	s_or_b32 exec_lo, exec_lo, s17
	v_xor_b32_e32 v187, 0x80000000, v41
	; wave barrier
	s_delay_alu instid0(VALU_DEP_1) | instskip(NEXT) | instid1(VALU_DEP_1)
	v_lshrrev_b32_e32 v37, s38, v187
	v_and_b32_e32 v37, s39, v37
	s_delay_alu instid0(VALU_DEP_1)
	v_and_b32_e32 v41, 1, v37
	v_lshlrev_b32_e32 v42, 30, v37
	v_lshlrev_b32_e32 v43, 29, v37
	;; [unrolled: 1-line block ×4, first 2 shown]
	v_add_co_u32 v41, s17, v41, -1
	s_delay_alu instid0(VALU_DEP_1)
	v_cndmask_b32_e64 v192, 0, 1, s17
	v_not_b32_e32 v196, v42
	v_cmp_gt_i32_e64 s17, 0, v42
	v_not_b32_e32 v42, v43
	v_lshlrev_b32_e32 v194, 26, v37
	v_cmp_ne_u32_e32 vcc_lo, 0, v192
	v_ashrrev_i32_e32 v196, 31, v196
	v_lshlrev_b32_e32 v195, 25, v37
	v_ashrrev_i32_e32 v42, 31, v42
	v_lshlrev_b32_e32 v192, 24, v37
	v_xor_b32_e32 v41, vcc_lo, v41
	v_cmp_gt_i32_e32 vcc_lo, 0, v43
	v_not_b32_e32 v43, v191
	v_xor_b32_e32 v196, s17, v196
	v_cmp_gt_i32_e64 s17, 0, v191
	v_and_b32_e32 v41, exec_lo, v41
	v_not_b32_e32 v191, v193
	v_ashrrev_i32_e32 v43, 31, v43
	v_xor_b32_e32 v42, vcc_lo, v42
	v_cmp_gt_i32_e32 vcc_lo, 0, v193
	v_and_b32_e32 v41, v41, v196
	v_not_b32_e32 v193, v194
	v_ashrrev_i32_e32 v191, 31, v191
	v_xor_b32_e32 v43, s17, v43
	v_cmp_gt_i32_e64 s17, 0, v194
	v_and_b32_e32 v41, v41, v42
	v_not_b32_e32 v42, v195
	v_ashrrev_i32_e32 v193, 31, v193
	v_xor_b32_e32 v191, vcc_lo, v191
	v_cmp_gt_i32_e32 vcc_lo, 0, v195
	v_and_b32_e32 v41, v41, v43
	v_not_b32_e32 v43, v192
	v_ashrrev_i32_e32 v42, 31, v42
	v_xor_b32_e32 v193, s17, v193
	v_mul_u32_u24_e32 v37, 9, v37
	v_and_b32_e32 v41, v41, v191
	v_cmp_gt_i32_e64 s17, 0, v192
	v_ashrrev_i32_e32 v43, 31, v43
	v_xor_b32_e32 v42, vcc_lo, v42
	v_add_lshl_u32 v191, v37, v128, 2
	v_and_b32_e32 v41, v41, v193
	s_delay_alu instid0(VALU_DEP_4) | instskip(SKIP_3) | instid1(VALU_DEP_2)
	v_xor_b32_e32 v37, s17, v43
	ds_load_b32 v192, v191 offset:1056
	v_and_b32_e32 v41, v41, v42
	v_add_nc_u32_e32 v194, 0x420, v191
	; wave barrier
	v_and_b32_e32 v37, v41, v37
	s_delay_alu instid0(VALU_DEP_1) | instskip(SKIP_1) | instid1(VALU_DEP_2)
	v_mbcnt_lo_u32_b32 v193, v37, 0
	v_cmp_ne_u32_e64 s17, 0, v37
	v_cmp_eq_u32_e32 vcc_lo, 0, v193
	s_delay_alu instid0(VALU_DEP_2) | instskip(NEXT) | instid1(SALU_CYCLE_1)
	s_and_b32 s18, s17, vcc_lo
	s_and_saveexec_b32 s17, s18
	s_cbranch_execz .LBB637_460
; %bb.459:                              ;   in Loop: Header=BB637_400 Depth=2
	s_waitcnt lgkmcnt(0)
	v_bcnt_u32_b32 v37, v37, v192
	ds_store_b32 v194, v37
.LBB637_460:                            ;   in Loop: Header=BB637_400 Depth=2
	s_or_b32 exec_lo, exec_lo, s17
	v_xor_b32_e32 v191, 0x80000000, v40
	; wave barrier
	s_delay_alu instid0(VALU_DEP_1) | instskip(NEXT) | instid1(VALU_DEP_1)
	v_lshrrev_b32_e32 v37, s38, v191
	v_and_b32_e32 v37, s39, v37
	s_delay_alu instid0(VALU_DEP_1)
	v_and_b32_e32 v40, 1, v37
	v_lshlrev_b32_e32 v41, 30, v37
	v_lshlrev_b32_e32 v42, 29, v37
	;; [unrolled: 1-line block ×4, first 2 shown]
	v_add_co_u32 v40, s17, v40, -1
	s_delay_alu instid0(VALU_DEP_1)
	v_cndmask_b32_e64 v195, 0, 1, s17
	v_not_b32_e32 v199, v41
	v_cmp_gt_i32_e64 s17, 0, v41
	v_not_b32_e32 v41, v42
	v_lshlrev_b32_e32 v197, 26, v37
	v_cmp_ne_u32_e32 vcc_lo, 0, v195
	v_ashrrev_i32_e32 v199, 31, v199
	v_lshlrev_b32_e32 v198, 25, v37
	v_ashrrev_i32_e32 v41, 31, v41
	v_lshlrev_b32_e32 v195, 24, v37
	v_xor_b32_e32 v40, vcc_lo, v40
	v_cmp_gt_i32_e32 vcc_lo, 0, v42
	v_not_b32_e32 v42, v43
	v_xor_b32_e32 v199, s17, v199
	v_cmp_gt_i32_e64 s17, 0, v43
	v_and_b32_e32 v40, exec_lo, v40
	v_not_b32_e32 v43, v196
	v_ashrrev_i32_e32 v42, 31, v42
	v_xor_b32_e32 v41, vcc_lo, v41
	v_cmp_gt_i32_e32 vcc_lo, 0, v196
	v_and_b32_e32 v40, v40, v199
	v_not_b32_e32 v196, v197
	v_ashrrev_i32_e32 v43, 31, v43
	v_xor_b32_e32 v42, s17, v42
	v_cmp_gt_i32_e64 s17, 0, v197
	v_and_b32_e32 v40, v40, v41
	v_not_b32_e32 v41, v198
	v_ashrrev_i32_e32 v196, 31, v196
	v_xor_b32_e32 v43, vcc_lo, v43
	v_cmp_gt_i32_e32 vcc_lo, 0, v198
	v_and_b32_e32 v40, v40, v42
	v_not_b32_e32 v42, v195
	v_ashrrev_i32_e32 v41, 31, v41
	v_xor_b32_e32 v196, s17, v196
	v_mul_u32_u24_e32 v37, 9, v37
	v_and_b32_e32 v40, v40, v43
	v_cmp_gt_i32_e64 s17, 0, v195
	v_ashrrev_i32_e32 v42, 31, v42
	v_xor_b32_e32 v41, vcc_lo, v41
	v_add_lshl_u32 v43, v37, v128, 2
	v_and_b32_e32 v40, v40, v196
	s_delay_alu instid0(VALU_DEP_4) | instskip(SKIP_3) | instid1(VALU_DEP_2)
	v_xor_b32_e32 v37, s17, v42
	ds_load_b32 v196, v43 offset:1056
	v_and_b32_e32 v40, v40, v41
	v_add_nc_u32_e32 v198, 0x420, v43
	; wave barrier
	v_and_b32_e32 v37, v40, v37
	s_delay_alu instid0(VALU_DEP_1) | instskip(SKIP_1) | instid1(VALU_DEP_2)
	v_mbcnt_lo_u32_b32 v197, v37, 0
	v_cmp_ne_u32_e64 s17, 0, v37
	v_cmp_eq_u32_e32 vcc_lo, 0, v197
	s_delay_alu instid0(VALU_DEP_2) | instskip(NEXT) | instid1(SALU_CYCLE_1)
	s_and_b32 s18, s17, vcc_lo
	s_and_saveexec_b32 s17, s18
	s_cbranch_execz .LBB637_462
; %bb.461:                              ;   in Loop: Header=BB637_400 Depth=2
	s_waitcnt lgkmcnt(0)
	v_bcnt_u32_b32 v37, v37, v196
	ds_store_b32 v198, v37
.LBB637_462:                            ;   in Loop: Header=BB637_400 Depth=2
	s_or_b32 exec_lo, exec_lo, s17
	v_xor_b32_e32 v195, 0x80000000, v39
	; wave barrier
	s_delay_alu instid0(VALU_DEP_1) | instskip(NEXT) | instid1(VALU_DEP_1)
	v_lshrrev_b32_e32 v37, s38, v195
	v_and_b32_e32 v37, s39, v37
	s_delay_alu instid0(VALU_DEP_1)
	v_and_b32_e32 v39, 1, v37
	v_lshlrev_b32_e32 v40, 30, v37
	v_lshlrev_b32_e32 v41, 29, v37
	;; [unrolled: 1-line block ×4, first 2 shown]
	v_add_co_u32 v39, s17, v39, -1
	s_delay_alu instid0(VALU_DEP_1)
	v_cndmask_b32_e64 v43, 0, 1, s17
	v_not_b32_e32 v202, v40
	v_cmp_gt_i32_e64 s17, 0, v40
	v_not_b32_e32 v40, v41
	v_lshlrev_b32_e32 v200, 26, v37
	v_cmp_ne_u32_e32 vcc_lo, 0, v43
	v_ashrrev_i32_e32 v202, 31, v202
	v_lshlrev_b32_e32 v201, 25, v37
	v_ashrrev_i32_e32 v40, 31, v40
	v_lshlrev_b32_e32 v43, 24, v37
	v_xor_b32_e32 v39, vcc_lo, v39
	v_cmp_gt_i32_e32 vcc_lo, 0, v41
	v_not_b32_e32 v41, v42
	v_xor_b32_e32 v202, s17, v202
	v_cmp_gt_i32_e64 s17, 0, v42
	v_and_b32_e32 v39, exec_lo, v39
	v_not_b32_e32 v42, v199
	v_ashrrev_i32_e32 v41, 31, v41
	v_xor_b32_e32 v40, vcc_lo, v40
	v_cmp_gt_i32_e32 vcc_lo, 0, v199
	v_and_b32_e32 v39, v39, v202
	v_not_b32_e32 v199, v200
	v_ashrrev_i32_e32 v42, 31, v42
	v_xor_b32_e32 v41, s17, v41
	v_cmp_gt_i32_e64 s17, 0, v200
	v_and_b32_e32 v39, v39, v40
	v_not_b32_e32 v40, v201
	v_ashrrev_i32_e32 v199, 31, v199
	v_xor_b32_e32 v42, vcc_lo, v42
	v_cmp_gt_i32_e32 vcc_lo, 0, v201
	v_and_b32_e32 v39, v39, v41
	v_not_b32_e32 v41, v43
	v_ashrrev_i32_e32 v40, 31, v40
	v_xor_b32_e32 v199, s17, v199
	v_mul_u32_u24_e32 v37, 9, v37
	v_and_b32_e32 v39, v39, v42
	v_cmp_gt_i32_e64 s17, 0, v43
	v_ashrrev_i32_e32 v41, 31, v41
	v_xor_b32_e32 v40, vcc_lo, v40
	v_add_lshl_u32 v42, v37, v128, 2
	v_and_b32_e32 v39, v39, v199
	s_delay_alu instid0(VALU_DEP_4) | instskip(SKIP_3) | instid1(VALU_DEP_2)
	v_xor_b32_e32 v37, s17, v41
	ds_load_b32 v200, v42 offset:1056
	v_and_b32_e32 v39, v39, v40
	v_add_nc_u32_e32 v202, 0x420, v42
	; wave barrier
	v_and_b32_e32 v37, v39, v37
	s_delay_alu instid0(VALU_DEP_1) | instskip(SKIP_1) | instid1(VALU_DEP_2)
	v_mbcnt_lo_u32_b32 v201, v37, 0
	v_cmp_ne_u32_e64 s17, 0, v37
	v_cmp_eq_u32_e32 vcc_lo, 0, v201
	s_delay_alu instid0(VALU_DEP_2) | instskip(NEXT) | instid1(SALU_CYCLE_1)
	s_and_b32 s18, s17, vcc_lo
	s_and_saveexec_b32 s17, s18
	s_cbranch_execz .LBB637_464
; %bb.463:                              ;   in Loop: Header=BB637_400 Depth=2
	s_waitcnt lgkmcnt(0)
	v_bcnt_u32_b32 v37, v37, v200
	ds_store_b32 v202, v37
.LBB637_464:                            ;   in Loop: Header=BB637_400 Depth=2
	s_or_b32 exec_lo, exec_lo, s17
	v_xor_b32_e32 v199, 0x80000000, v38
	; wave barrier
	s_delay_alu instid0(VALU_DEP_1) | instskip(NEXT) | instid1(VALU_DEP_1)
	v_lshrrev_b32_e32 v37, s38, v199
	v_and_b32_e32 v37, s39, v37
	s_delay_alu instid0(VALU_DEP_1)
	v_and_b32_e32 v38, 1, v37
	v_lshlrev_b32_e32 v39, 30, v37
	v_lshlrev_b32_e32 v40, 29, v37
	;; [unrolled: 1-line block ×4, first 2 shown]
	v_add_co_u32 v38, s17, v38, -1
	s_delay_alu instid0(VALU_DEP_1)
	v_cndmask_b32_e64 v42, 0, 1, s17
	v_not_b32_e32 v205, v39
	v_cmp_gt_i32_e64 s17, 0, v39
	v_not_b32_e32 v39, v40
	v_lshlrev_b32_e32 v203, 26, v37
	v_cmp_ne_u32_e32 vcc_lo, 0, v42
	v_ashrrev_i32_e32 v205, 31, v205
	v_lshlrev_b32_e32 v204, 25, v37
	v_ashrrev_i32_e32 v39, 31, v39
	v_lshlrev_b32_e32 v42, 24, v37
	v_xor_b32_e32 v38, vcc_lo, v38
	v_cmp_gt_i32_e32 vcc_lo, 0, v40
	v_not_b32_e32 v40, v41
	v_xor_b32_e32 v205, s17, v205
	v_cmp_gt_i32_e64 s17, 0, v41
	v_and_b32_e32 v38, exec_lo, v38
	v_not_b32_e32 v41, v43
	v_ashrrev_i32_e32 v40, 31, v40
	v_xor_b32_e32 v39, vcc_lo, v39
	v_cmp_gt_i32_e32 vcc_lo, 0, v43
	v_and_b32_e32 v38, v38, v205
	v_not_b32_e32 v43, v203
	v_ashrrev_i32_e32 v41, 31, v41
	v_xor_b32_e32 v40, s17, v40
	v_cmp_gt_i32_e64 s17, 0, v203
	v_and_b32_e32 v38, v38, v39
	v_not_b32_e32 v39, v204
	v_ashrrev_i32_e32 v43, 31, v43
	v_xor_b32_e32 v41, vcc_lo, v41
	v_cmp_gt_i32_e32 vcc_lo, 0, v204
	v_and_b32_e32 v38, v38, v40
	v_not_b32_e32 v40, v42
	v_ashrrev_i32_e32 v39, 31, v39
	v_xor_b32_e32 v43, s17, v43
	v_mul_u32_u24_e32 v37, 9, v37
	v_and_b32_e32 v38, v38, v41
	v_cmp_gt_i32_e64 s17, 0, v42
	v_ashrrev_i32_e32 v40, 31, v40
	v_xor_b32_e32 v39, vcc_lo, v39
	v_add_lshl_u32 v41, v37, v128, 2
	v_and_b32_e32 v38, v38, v43
	s_delay_alu instid0(VALU_DEP_4) | instskip(SKIP_3) | instid1(VALU_DEP_2)
	v_xor_b32_e32 v37, s17, v40
	ds_load_b32 v204, v41 offset:1056
	v_and_b32_e32 v38, v38, v39
	v_add_nc_u32_e32 v206, 0x420, v41
	; wave barrier
	v_and_b32_e32 v37, v38, v37
	s_delay_alu instid0(VALU_DEP_1) | instskip(SKIP_1) | instid1(VALU_DEP_2)
	v_mbcnt_lo_u32_b32 v205, v37, 0
	v_cmp_ne_u32_e64 s17, 0, v37
	v_cmp_eq_u32_e32 vcc_lo, 0, v205
	s_delay_alu instid0(VALU_DEP_2) | instskip(NEXT) | instid1(SALU_CYCLE_1)
	s_and_b32 s18, s17, vcc_lo
	s_and_saveexec_b32 s17, s18
	s_cbranch_execz .LBB637_466
; %bb.465:                              ;   in Loop: Header=BB637_400 Depth=2
	s_waitcnt lgkmcnt(0)
	v_bcnt_u32_b32 v37, v37, v204
	ds_store_b32 v206, v37
.LBB637_466:                            ;   in Loop: Header=BB637_400 Depth=2
	s_or_b32 exec_lo, exec_lo, s17
	v_xor_b32_e32 v203, 0x80000000, v36
	; wave barrier
	s_delay_alu instid0(VALU_DEP_1) | instskip(NEXT) | instid1(VALU_DEP_1)
	v_lshrrev_b32_e32 v36, s38, v203
	v_and_b32_e32 v36, s39, v36
	s_delay_alu instid0(VALU_DEP_1)
	v_and_b32_e32 v37, 1, v36
	v_lshlrev_b32_e32 v38, 30, v36
	v_lshlrev_b32_e32 v39, 29, v36
	;; [unrolled: 1-line block ×4, first 2 shown]
	v_add_co_u32 v37, s17, v37, -1
	s_delay_alu instid0(VALU_DEP_1)
	v_cndmask_b32_e64 v41, 0, 1, s17
	v_not_b32_e32 v208, v38
	v_cmp_gt_i32_e64 s17, 0, v38
	v_not_b32_e32 v38, v39
	v_lshlrev_b32_e32 v43, 26, v36
	v_cmp_ne_u32_e32 vcc_lo, 0, v41
	v_ashrrev_i32_e32 v208, 31, v208
	v_lshlrev_b32_e32 v207, 25, v36
	v_ashrrev_i32_e32 v38, 31, v38
	v_lshlrev_b32_e32 v41, 24, v36
	v_xor_b32_e32 v37, vcc_lo, v37
	v_cmp_gt_i32_e32 vcc_lo, 0, v39
	v_not_b32_e32 v39, v40
	v_xor_b32_e32 v208, s17, v208
	v_cmp_gt_i32_e64 s17, 0, v40
	v_and_b32_e32 v37, exec_lo, v37
	v_not_b32_e32 v40, v42
	v_ashrrev_i32_e32 v39, 31, v39
	v_xor_b32_e32 v38, vcc_lo, v38
	v_cmp_gt_i32_e32 vcc_lo, 0, v42
	v_and_b32_e32 v37, v37, v208
	v_not_b32_e32 v42, v43
	v_ashrrev_i32_e32 v40, 31, v40
	v_xor_b32_e32 v39, s17, v39
	v_cmp_gt_i32_e64 s17, 0, v43
	v_and_b32_e32 v37, v37, v38
	v_not_b32_e32 v38, v207
	v_ashrrev_i32_e32 v42, 31, v42
	v_xor_b32_e32 v40, vcc_lo, v40
	v_cmp_gt_i32_e32 vcc_lo, 0, v207
	v_and_b32_e32 v37, v37, v39
	v_not_b32_e32 v39, v41
	v_ashrrev_i32_e32 v38, 31, v38
	v_xor_b32_e32 v42, s17, v42
	v_mul_u32_u24_e32 v36, 9, v36
	v_and_b32_e32 v37, v37, v40
	v_cmp_gt_i32_e64 s17, 0, v41
	v_ashrrev_i32_e32 v39, 31, v39
	v_xor_b32_e32 v38, vcc_lo, v38
	v_add_lshl_u32 v40, v36, v128, 2
	v_and_b32_e32 v37, v37, v42
	s_delay_alu instid0(VALU_DEP_4) | instskip(SKIP_3) | instid1(VALU_DEP_2)
	v_xor_b32_e32 v36, s17, v39
	ds_load_b32 v207, v40 offset:1056
	v_and_b32_e32 v37, v37, v38
	v_add_nc_u32_e32 v209, 0x420, v40
	; wave barrier
	v_and_b32_e32 v36, v37, v36
	s_delay_alu instid0(VALU_DEP_1) | instskip(SKIP_1) | instid1(VALU_DEP_2)
	v_mbcnt_lo_u32_b32 v208, v36, 0
	v_cmp_ne_u32_e64 s17, 0, v36
	v_cmp_eq_u32_e32 vcc_lo, 0, v208
	s_delay_alu instid0(VALU_DEP_2) | instskip(NEXT) | instid1(SALU_CYCLE_1)
	s_and_b32 s18, s17, vcc_lo
	s_and_saveexec_b32 s17, s18
	s_cbranch_execz .LBB637_468
; %bb.467:                              ;   in Loop: Header=BB637_400 Depth=2
	s_waitcnt lgkmcnt(0)
	v_bcnt_u32_b32 v36, v36, v207
	ds_store_b32 v209, v36
.LBB637_468:                            ;   in Loop: Header=BB637_400 Depth=2
	s_or_b32 exec_lo, exec_lo, s17
	; wave barrier
	s_waitcnt lgkmcnt(0)
	s_barrier
	buffer_gl0_inv
	ds_load_b32 v210, v70 offset:1056
	ds_load_2addr_b32 v[42:43], v71 offset0:1 offset1:2
	ds_load_2addr_b32 v[40:41], v71 offset0:3 offset1:4
	;; [unrolled: 1-line block ×4, first 2 shown]
	s_waitcnt lgkmcnt(3)
	v_add3_u32 v211, v42, v210, v43
	s_waitcnt lgkmcnt(2)
	s_delay_alu instid0(VALU_DEP_1) | instskip(SKIP_1) | instid1(VALU_DEP_1)
	v_add3_u32 v211, v211, v40, v41
	s_waitcnt lgkmcnt(1)
	v_add3_u32 v211, v211, v36, v37
	s_waitcnt lgkmcnt(0)
	s_delay_alu instid0(VALU_DEP_1) | instskip(NEXT) | instid1(VALU_DEP_1)
	v_add3_u32 v39, v211, v38, v39
	v_mov_b32_dpp v211, v39 row_shr:1 row_mask:0xf bank_mask:0xf
	s_delay_alu instid0(VALU_DEP_1) | instskip(NEXT) | instid1(VALU_DEP_1)
	v_cndmask_b32_e64 v211, v211, 0, s0
	v_add_nc_u32_e32 v39, v211, v39
	s_delay_alu instid0(VALU_DEP_1) | instskip(NEXT) | instid1(VALU_DEP_1)
	v_mov_b32_dpp v211, v39 row_shr:2 row_mask:0xf bank_mask:0xf
	v_cndmask_b32_e64 v211, 0, v211, s1
	s_delay_alu instid0(VALU_DEP_1) | instskip(NEXT) | instid1(VALU_DEP_1)
	v_add_nc_u32_e32 v39, v39, v211
	v_mov_b32_dpp v211, v39 row_shr:4 row_mask:0xf bank_mask:0xf
	s_delay_alu instid0(VALU_DEP_1) | instskip(NEXT) | instid1(VALU_DEP_1)
	v_cndmask_b32_e64 v211, 0, v211, s8
	v_add_nc_u32_e32 v39, v39, v211
	s_delay_alu instid0(VALU_DEP_1) | instskip(NEXT) | instid1(VALU_DEP_1)
	v_mov_b32_dpp v211, v39 row_shr:8 row_mask:0xf bank_mask:0xf
	v_cndmask_b32_e64 v211, 0, v211, s9
	s_delay_alu instid0(VALU_DEP_1) | instskip(SKIP_3) | instid1(VALU_DEP_1)
	v_add_nc_u32_e32 v39, v39, v211
	ds_swizzle_b32 v211, v39 offset:swizzle(BROADCAST,32,15)
	s_waitcnt lgkmcnt(0)
	v_cndmask_b32_e64 v211, v211, 0, s10
	v_add_nc_u32_e32 v39, v39, v211
	s_and_saveexec_b32 s17, s3
	s_cbranch_execz .LBB637_470
; %bb.469:                              ;   in Loop: Header=BB637_400 Depth=2
	ds_store_b32 v62, v39 offset:1024
.LBB637_470:                            ;   in Loop: Header=BB637_400 Depth=2
	s_or_b32 exec_lo, exec_lo, s17
	s_waitcnt lgkmcnt(0)
	s_barrier
	buffer_gl0_inv
	s_and_saveexec_b32 s17, s4
	s_cbranch_execz .LBB637_472
; %bb.471:                              ;   in Loop: Header=BB637_400 Depth=2
	v_add_nc_u32_e32 v211, v70, v72
	ds_load_b32 v212, v211 offset:1024
	s_waitcnt lgkmcnt(0)
	v_mov_b32_dpp v213, v212 row_shr:1 row_mask:0xf bank_mask:0xf
	s_delay_alu instid0(VALU_DEP_1) | instskip(NEXT) | instid1(VALU_DEP_1)
	v_cndmask_b32_e64 v213, v213, 0, s12
	v_add_nc_u32_e32 v212, v213, v212
	s_delay_alu instid0(VALU_DEP_1) | instskip(NEXT) | instid1(VALU_DEP_1)
	v_mov_b32_dpp v213, v212 row_shr:2 row_mask:0xf bank_mask:0xf
	v_cndmask_b32_e64 v213, 0, v213, s13
	s_delay_alu instid0(VALU_DEP_1) | instskip(NEXT) | instid1(VALU_DEP_1)
	v_add_nc_u32_e32 v212, v212, v213
	v_mov_b32_dpp v213, v212 row_shr:4 row_mask:0xf bank_mask:0xf
	s_delay_alu instid0(VALU_DEP_1) | instskip(NEXT) | instid1(VALU_DEP_1)
	v_cndmask_b32_e64 v213, 0, v213, s16
	v_add_nc_u32_e32 v212, v212, v213
	ds_store_b32 v211, v212 offset:1024
.LBB637_472:                            ;   in Loop: Header=BB637_400 Depth=2
	s_or_b32 exec_lo, exec_lo, s17
	v_mov_b32_e32 v211, 0
	s_waitcnt lgkmcnt(0)
	s_barrier
	buffer_gl0_inv
	s_and_saveexec_b32 s17, s5
	s_cbranch_execz .LBB637_474
; %bb.473:                              ;   in Loop: Header=BB637_400 Depth=2
	ds_load_b32 v211, v62 offset:1020
.LBB637_474:                            ;   in Loop: Header=BB637_400 Depth=2
	s_or_b32 exec_lo, exec_lo, s17
	s_waitcnt lgkmcnt(0)
	v_add_nc_u32_e32 v39, v211, v39
	ds_bpermute_b32 v39, v107, v39
	s_waitcnt lgkmcnt(0)
	v_cndmask_b32_e64 v39, v39, v211, s11
	s_delay_alu instid0(VALU_DEP_1) | instskip(NEXT) | instid1(VALU_DEP_1)
	v_cndmask_b32_e64 v39, v39, 0, s6
	v_add_nc_u32_e32 v210, v39, v210
	s_delay_alu instid0(VALU_DEP_1) | instskip(NEXT) | instid1(VALU_DEP_1)
	v_add_nc_u32_e32 v42, v210, v42
	v_add_nc_u32_e32 v43, v42, v43
	s_delay_alu instid0(VALU_DEP_1) | instskip(NEXT) | instid1(VALU_DEP_1)
	v_add_nc_u32_e32 v40, v43, v40
	;; [unrolled: 3-line block ×3, first 2 shown]
	v_add_nc_u32_e32 v37, v36, v37
	s_delay_alu instid0(VALU_DEP_1)
	v_add_nc_u32_e32 v38, v37, v38
	ds_store_b32 v70, v39 offset:1056
	ds_store_2addr_b32 v71, v210, v42 offset0:1 offset1:2
	ds_store_2addr_b32 v71, v43, v40 offset0:3 offset1:4
	;; [unrolled: 1-line block ×4, first 2 shown]
	v_mov_b32_e32 v38, 0x1000
	s_waitcnt lgkmcnt(0)
	s_barrier
	buffer_gl0_inv
	ds_load_b32 v39, v154
	ds_load_b32 v40, v158
	;; [unrolled: 1-line block ×16, first 2 shown]
	ds_load_b32 v158, v70 offset:1056
	s_and_saveexec_b32 s17, s7
	s_cbranch_execz .LBB637_476
; %bb.475:                              ;   in Loop: Header=BB637_400 Depth=2
	ds_load_b32 v38, v73 offset:1056
.LBB637_476:                            ;   in Loop: Header=BB637_400 Depth=2
	s_or_b32 exec_lo, exec_lo, s17
	s_waitcnt lgkmcnt(0)
	s_barrier
	buffer_gl0_inv
	s_and_saveexec_b32 s17, s2
	s_cbranch_execz .LBB637_478
; %bb.477:                              ;   in Loop: Header=BB637_400 Depth=2
	ds_load_b32 v162, v44
	s_waitcnt lgkmcnt(0)
	v_sub_nc_u32_e32 v158, v162, v158
	ds_store_b32 v44, v158
.LBB637_478:                            ;   in Loop: Header=BB637_400 Depth=2
	s_or_b32 exec_lo, exec_lo, s17
	v_add_nc_u32_e32 v170, v150, v149
	v_add3_u32 v166, v153, v152, v39
	v_add3_u32 v162, v157, v156, v40
	;; [unrolled: 1-line block ×5, first 2 shown]
	v_lshlrev_b32_e32 v160, 2, v170
	v_add3_u32 v43, v201, v200, v36
	v_lshlrev_b32_e32 v36, 2, v166
	v_add3_u32 v154, v174, v173, v175
	v_add3_u32 v153, v177, v176, v178
	ds_store_b32 v160, v2 offset:1024
	v_lshlrev_b32_e32 v2, 2, v162
	ds_store_b32 v36, v148 offset:1024
	v_lshlrev_b32_e32 v36, 2, v156
	v_add3_u32 v152, v181, v180, v182
	v_add3_u32 v42, v205, v204, v37
	v_lshlrev_b32_e32 v37, 2, v158
	v_add3_u32 v150, v185, v184, v186
	v_lshlrev_b32_e32 v160, 2, v157
	v_add3_u32 v149, v189, v188, v190
	v_add3_u32 v40, v193, v192, v194
	ds_store_b32 v2, v151 offset:1024
	ds_store_b32 v37, v155 offset:1024
	;; [unrolled: 1-line block ×3, first 2 shown]
	v_lshlrev_b32_e32 v2, 2, v154
	ds_store_b32 v36, v163 offset:1024
	v_lshlrev_b32_e32 v36, 2, v153
	v_lshlrev_b32_e32 v37, 2, v152
	;; [unrolled: 1-line block ×3, first 2 shown]
	v_add3_u32 v39, v197, v196, v198
	v_add3_u32 v41, v208, v207, v41
	ds_store_b32 v2, v167 offset:1024
	v_lshlrev_b32_e32 v2, 2, v149
	ds_store_b32 v36, v172 offset:1024
	ds_store_b32 v37, v171 offset:1024
	;; [unrolled: 1-line block ×3, first 2 shown]
	v_lshlrev_b32_e32 v36, 2, v40
	v_cmp_lt_u32_e32 vcc_lo, v1, v147
	v_lshlrev_b32_e32 v37, 2, v43
	ds_store_b32 v2, v183 offset:1024
	v_lshlrev_b32_e32 v2, 2, v39
	ds_store_b32 v36, v187 offset:1024
	v_lshlrev_b32_e32 v36, 2, v41
	v_lshlrev_b32_e32 v148, 2, v42
	ds_store_b32 v2, v191 offset:1024
	ds_store_b32 v37, v195 offset:1024
	;; [unrolled: 1-line block ×4, first 2 shown]
	s_waitcnt lgkmcnt(0)
	s_barrier
	buffer_gl0_inv
	s_and_saveexec_b32 s18, vcc_lo
	s_cbranch_execz .LBB637_494
; %bb.479:                              ;   in Loop: Header=BB637_400 Depth=2
	v_add_nc_u32_e32 v2, v70, v72
	ds_load_b32 v148, v2 offset:1024
	s_waitcnt lgkmcnt(0)
	v_lshrrev_b32_e32 v2, s38, v148
	s_delay_alu instid0(VALU_DEP_1) | instskip(NEXT) | instid1(VALU_DEP_1)
	v_and_b32_e32 v2, s39, v2
	v_lshlrev_b32_e32 v2, 2, v2
	ds_load_b32 v2, v2
	s_waitcnt lgkmcnt(0)
	v_add_nc_u32_e32 v2, v2, v1
	s_delay_alu instid0(VALU_DEP_1) | instskip(SKIP_1) | instid1(VALU_DEP_2)
	v_lshlrev_b64 v[36:37], 2, v[2:3]
	v_xor_b32_e32 v2, 0x80000000, v148
	v_add_co_u32 v36, s17, s48, v36
	s_delay_alu instid0(VALU_DEP_1) | instskip(SKIP_3) | instid1(VALU_DEP_1)
	v_add_co_ci_u32_e64 v37, s17, s49, v37, s17
	global_store_b32 v[36:37], v2, off
	s_or_b32 exec_lo, exec_lo, s18
	v_cmp_lt_u32_e64 s17, v45, v147
	s_and_saveexec_b32 s19, s17
	s_cbranch_execnz .LBB637_495
.LBB637_480:                            ;   in Loop: Header=BB637_400 Depth=2
	s_or_b32 exec_lo, exec_lo, s19
	v_cmp_lt_u32_e64 s18, v46, v147
	s_delay_alu instid0(VALU_DEP_1)
	s_and_saveexec_b32 s20, s18
	s_cbranch_execz .LBB637_496
.LBB637_481:                            ;   in Loop: Header=BB637_400 Depth=2
	ds_load_b32 v148, v78 offset:2048
	s_waitcnt lgkmcnt(0)
	v_lshrrev_b32_e32 v2, s38, v148
	s_delay_alu instid0(VALU_DEP_1) | instskip(NEXT) | instid1(VALU_DEP_1)
	v_and_b32_e32 v2, s39, v2
	v_lshlrev_b32_e32 v2, 2, v2
	ds_load_b32 v2, v2
	s_waitcnt lgkmcnt(0)
	v_add_nc_u32_e32 v2, v2, v46
	s_delay_alu instid0(VALU_DEP_1) | instskip(SKIP_1) | instid1(VALU_DEP_2)
	v_lshlrev_b64 v[36:37], 2, v[2:3]
	v_xor_b32_e32 v2, 0x80000000, v148
	v_add_co_u32 v36, s19, s48, v36
	s_delay_alu instid0(VALU_DEP_1) | instskip(SKIP_3) | instid1(VALU_DEP_1)
	v_add_co_ci_u32_e64 v37, s19, s49, v37, s19
	global_store_b32 v[36:37], v2, off
	s_or_b32 exec_lo, exec_lo, s20
	v_cmp_lt_u32_e64 s19, v47, v147
	s_and_saveexec_b32 s21, s19
	s_cbranch_execnz .LBB637_497
.LBB637_482:                            ;   in Loop: Header=BB637_400 Depth=2
	s_or_b32 exec_lo, exec_lo, s21
	v_cmp_lt_u32_e64 s20, v51, v147
	s_delay_alu instid0(VALU_DEP_1)
	s_and_saveexec_b32 s22, s20
	s_cbranch_execz .LBB637_498
.LBB637_483:                            ;   in Loop: Header=BB637_400 Depth=2
	ds_load_b32 v148, v78 offset:4096
	s_waitcnt lgkmcnt(0)
	v_lshrrev_b32_e32 v2, s38, v148
	s_delay_alu instid0(VALU_DEP_1) | instskip(NEXT) | instid1(VALU_DEP_1)
	v_and_b32_e32 v2, s39, v2
	v_lshlrev_b32_e32 v2, 2, v2
	ds_load_b32 v2, v2
	s_waitcnt lgkmcnt(0)
	v_add_nc_u32_e32 v2, v2, v51
	s_delay_alu instid0(VALU_DEP_1) | instskip(SKIP_1) | instid1(VALU_DEP_2)
	v_lshlrev_b64 v[36:37], 2, v[2:3]
	v_xor_b32_e32 v2, 0x80000000, v148
	v_add_co_u32 v36, s21, s48, v36
	s_delay_alu instid0(VALU_DEP_1) | instskip(SKIP_3) | instid1(VALU_DEP_1)
	v_add_co_ci_u32_e64 v37, s21, s49, v37, s21
	global_store_b32 v[36:37], v2, off
	s_or_b32 exec_lo, exec_lo, s22
	v_cmp_lt_u32_e64 s21, v52, v147
	s_and_saveexec_b32 s23, s21
	s_cbranch_execnz .LBB637_499
.LBB637_484:                            ;   in Loop: Header=BB637_400 Depth=2
	s_or_b32 exec_lo, exec_lo, s23
	v_cmp_lt_u32_e64 s22, v53, v147
	s_delay_alu instid0(VALU_DEP_1)
	s_and_saveexec_b32 s24, s22
	s_cbranch_execz .LBB637_500
.LBB637_485:                            ;   in Loop: Header=BB637_400 Depth=2
	ds_load_b32 v148, v78 offset:6144
	s_waitcnt lgkmcnt(0)
	v_lshrrev_b32_e32 v2, s38, v148
	s_delay_alu instid0(VALU_DEP_1) | instskip(NEXT) | instid1(VALU_DEP_1)
	v_and_b32_e32 v2, s39, v2
	v_lshlrev_b32_e32 v2, 2, v2
	ds_load_b32 v2, v2
	s_waitcnt lgkmcnt(0)
	v_add_nc_u32_e32 v2, v2, v53
	s_delay_alu instid0(VALU_DEP_1) | instskip(SKIP_1) | instid1(VALU_DEP_2)
	v_lshlrev_b64 v[36:37], 2, v[2:3]
	v_xor_b32_e32 v2, 0x80000000, v148
	v_add_co_u32 v36, s23, s48, v36
	s_delay_alu instid0(VALU_DEP_1) | instskip(SKIP_3) | instid1(VALU_DEP_1)
	v_add_co_ci_u32_e64 v37, s23, s49, v37, s23
	global_store_b32 v[36:37], v2, off
	s_or_b32 exec_lo, exec_lo, s24
	v_cmp_lt_u32_e64 s23, v54, v147
	s_and_saveexec_b32 s25, s23
	s_cbranch_execnz .LBB637_501
.LBB637_486:                            ;   in Loop: Header=BB637_400 Depth=2
	s_or_b32 exec_lo, exec_lo, s25
	v_cmp_lt_u32_e64 s24, v55, v147
	s_delay_alu instid0(VALU_DEP_1)
	s_and_saveexec_b32 s26, s24
	s_cbranch_execz .LBB637_502
.LBB637_487:                            ;   in Loop: Header=BB637_400 Depth=2
	ds_load_b32 v148, v78 offset:8192
	s_waitcnt lgkmcnt(0)
	v_lshrrev_b32_e32 v2, s38, v148
	s_delay_alu instid0(VALU_DEP_1) | instskip(NEXT) | instid1(VALU_DEP_1)
	v_and_b32_e32 v2, s39, v2
	v_lshlrev_b32_e32 v2, 2, v2
	ds_load_b32 v2, v2
	s_waitcnt lgkmcnt(0)
	v_add_nc_u32_e32 v2, v2, v55
	s_delay_alu instid0(VALU_DEP_1) | instskip(SKIP_1) | instid1(VALU_DEP_2)
	v_lshlrev_b64 v[36:37], 2, v[2:3]
	v_xor_b32_e32 v2, 0x80000000, v148
	v_add_co_u32 v36, s25, s48, v36
	s_delay_alu instid0(VALU_DEP_1) | instskip(SKIP_3) | instid1(VALU_DEP_1)
	v_add_co_ci_u32_e64 v37, s25, s49, v37, s25
	global_store_b32 v[36:37], v2, off
	s_or_b32 exec_lo, exec_lo, s26
	v_cmp_lt_u32_e64 s25, v56, v147
	s_and_saveexec_b32 s27, s25
	s_cbranch_execnz .LBB637_503
.LBB637_488:                            ;   in Loop: Header=BB637_400 Depth=2
	s_or_b32 exec_lo, exec_lo, s27
	v_cmp_lt_u32_e64 s26, v57, v147
	s_delay_alu instid0(VALU_DEP_1)
	s_and_saveexec_b32 s28, s26
	s_cbranch_execz .LBB637_504
.LBB637_489:                            ;   in Loop: Header=BB637_400 Depth=2
	ds_load_b32 v148, v78 offset:10240
	s_waitcnt lgkmcnt(0)
	v_lshrrev_b32_e32 v2, s38, v148
	s_delay_alu instid0(VALU_DEP_1) | instskip(NEXT) | instid1(VALU_DEP_1)
	v_and_b32_e32 v2, s39, v2
	v_lshlrev_b32_e32 v2, 2, v2
	ds_load_b32 v2, v2
	s_waitcnt lgkmcnt(0)
	v_add_nc_u32_e32 v2, v2, v57
	s_delay_alu instid0(VALU_DEP_1) | instskip(SKIP_1) | instid1(VALU_DEP_2)
	v_lshlrev_b64 v[36:37], 2, v[2:3]
	v_xor_b32_e32 v2, 0x80000000, v148
	v_add_co_u32 v36, s27, s48, v36
	s_delay_alu instid0(VALU_DEP_1) | instskip(SKIP_3) | instid1(VALU_DEP_1)
	v_add_co_ci_u32_e64 v37, s27, s49, v37, s27
	global_store_b32 v[36:37], v2, off
	s_or_b32 exec_lo, exec_lo, s28
	v_cmp_lt_u32_e64 s27, v58, v147
	s_and_saveexec_b32 s29, s27
	s_cbranch_execnz .LBB637_505
.LBB637_490:                            ;   in Loop: Header=BB637_400 Depth=2
	s_or_b32 exec_lo, exec_lo, s29
	v_cmp_lt_u32_e64 s28, v59, v147
	s_delay_alu instid0(VALU_DEP_1)
	s_and_saveexec_b32 s30, s28
	s_cbranch_execz .LBB637_506
.LBB637_491:                            ;   in Loop: Header=BB637_400 Depth=2
	ds_load_b32 v148, v78 offset:12288
	s_waitcnt lgkmcnt(0)
	v_lshrrev_b32_e32 v2, s38, v148
	s_delay_alu instid0(VALU_DEP_1) | instskip(NEXT) | instid1(VALU_DEP_1)
	v_and_b32_e32 v2, s39, v2
	v_lshlrev_b32_e32 v2, 2, v2
	ds_load_b32 v2, v2
	s_waitcnt lgkmcnt(0)
	v_add_nc_u32_e32 v2, v2, v59
	s_delay_alu instid0(VALU_DEP_1) | instskip(SKIP_1) | instid1(VALU_DEP_2)
	v_lshlrev_b64 v[36:37], 2, v[2:3]
	v_xor_b32_e32 v2, 0x80000000, v148
	v_add_co_u32 v36, s29, s48, v36
	s_delay_alu instid0(VALU_DEP_1) | instskip(SKIP_3) | instid1(VALU_DEP_1)
	v_add_co_ci_u32_e64 v37, s29, s49, v37, s29
	global_store_b32 v[36:37], v2, off
	s_or_b32 exec_lo, exec_lo, s30
	v_cmp_lt_u32_e64 s29, v60, v147
	s_and_saveexec_b32 s31, s29
	s_cbranch_execnz .LBB637_507
.LBB637_492:                            ;   in Loop: Header=BB637_400 Depth=2
	s_or_b32 exec_lo, exec_lo, s31
	v_cmp_lt_u32_e64 s30, v61, v147
	s_delay_alu instid0(VALU_DEP_1)
	s_and_saveexec_b32 s33, s30
	s_cbranch_execz .LBB637_508
.LBB637_493:                            ;   in Loop: Header=BB637_400 Depth=2
	ds_load_b32 v148, v78 offset:14336
	s_waitcnt lgkmcnt(0)
	v_lshrrev_b32_e32 v2, s38, v148
	s_delay_alu instid0(VALU_DEP_1) | instskip(NEXT) | instid1(VALU_DEP_1)
	v_and_b32_e32 v2, s39, v2
	v_lshlrev_b32_e32 v2, 2, v2
	ds_load_b32 v2, v2
	s_waitcnt lgkmcnt(0)
	v_add_nc_u32_e32 v2, v2, v61
	s_delay_alu instid0(VALU_DEP_1) | instskip(SKIP_1) | instid1(VALU_DEP_2)
	v_lshlrev_b64 v[36:37], 2, v[2:3]
	v_xor_b32_e32 v2, 0x80000000, v148
	v_add_co_u32 v36, s31, s48, v36
	s_delay_alu instid0(VALU_DEP_1) | instskip(SKIP_3) | instid1(VALU_DEP_1)
	v_add_co_ci_u32_e64 v37, s31, s49, v37, s31
	global_store_b32 v[36:37], v2, off
	s_or_b32 exec_lo, exec_lo, s33
	v_cmp_lt_u32_e64 s31, v63, v147
	s_and_saveexec_b32 s42, s31
	s_cbranch_execnz .LBB637_509
	s_branch .LBB637_510
.LBB637_494:                            ;   in Loop: Header=BB637_400 Depth=2
	s_or_b32 exec_lo, exec_lo, s18
	v_cmp_lt_u32_e64 s17, v45, v147
	s_delay_alu instid0(VALU_DEP_1)
	s_and_saveexec_b32 s19, s17
	s_cbranch_execz .LBB637_480
.LBB637_495:                            ;   in Loop: Header=BB637_400 Depth=2
	ds_load_b32 v148, v78 offset:1024
	s_waitcnt lgkmcnt(0)
	v_lshrrev_b32_e32 v2, s38, v148
	s_delay_alu instid0(VALU_DEP_1) | instskip(NEXT) | instid1(VALU_DEP_1)
	v_and_b32_e32 v2, s39, v2
	v_lshlrev_b32_e32 v2, 2, v2
	ds_load_b32 v2, v2
	s_waitcnt lgkmcnt(0)
	v_add_nc_u32_e32 v2, v2, v45
	s_delay_alu instid0(VALU_DEP_1) | instskip(SKIP_1) | instid1(VALU_DEP_2)
	v_lshlrev_b64 v[36:37], 2, v[2:3]
	v_xor_b32_e32 v2, 0x80000000, v148
	v_add_co_u32 v36, s18, s48, v36
	s_delay_alu instid0(VALU_DEP_1) | instskip(SKIP_3) | instid1(VALU_DEP_1)
	v_add_co_ci_u32_e64 v37, s18, s49, v37, s18
	global_store_b32 v[36:37], v2, off
	s_or_b32 exec_lo, exec_lo, s19
	v_cmp_lt_u32_e64 s18, v46, v147
	s_and_saveexec_b32 s20, s18
	s_cbranch_execnz .LBB637_481
.LBB637_496:                            ;   in Loop: Header=BB637_400 Depth=2
	s_or_b32 exec_lo, exec_lo, s20
	v_cmp_lt_u32_e64 s19, v47, v147
	s_delay_alu instid0(VALU_DEP_1)
	s_and_saveexec_b32 s21, s19
	s_cbranch_execz .LBB637_482
.LBB637_497:                            ;   in Loop: Header=BB637_400 Depth=2
	ds_load_b32 v148, v78 offset:3072
	s_waitcnt lgkmcnt(0)
	v_lshrrev_b32_e32 v2, s38, v148
	s_delay_alu instid0(VALU_DEP_1) | instskip(NEXT) | instid1(VALU_DEP_1)
	v_and_b32_e32 v2, s39, v2
	v_lshlrev_b32_e32 v2, 2, v2
	ds_load_b32 v2, v2
	s_waitcnt lgkmcnt(0)
	v_add_nc_u32_e32 v2, v2, v47
	s_delay_alu instid0(VALU_DEP_1) | instskip(SKIP_1) | instid1(VALU_DEP_2)
	v_lshlrev_b64 v[36:37], 2, v[2:3]
	v_xor_b32_e32 v2, 0x80000000, v148
	v_add_co_u32 v36, s20, s48, v36
	s_delay_alu instid0(VALU_DEP_1) | instskip(SKIP_3) | instid1(VALU_DEP_1)
	v_add_co_ci_u32_e64 v37, s20, s49, v37, s20
	global_store_b32 v[36:37], v2, off
	s_or_b32 exec_lo, exec_lo, s21
	v_cmp_lt_u32_e64 s20, v51, v147
	s_and_saveexec_b32 s22, s20
	s_cbranch_execnz .LBB637_483
.LBB637_498:                            ;   in Loop: Header=BB637_400 Depth=2
	s_or_b32 exec_lo, exec_lo, s22
	v_cmp_lt_u32_e64 s21, v52, v147
	s_delay_alu instid0(VALU_DEP_1)
	s_and_saveexec_b32 s23, s21
	s_cbranch_execz .LBB637_484
.LBB637_499:                            ;   in Loop: Header=BB637_400 Depth=2
	ds_load_b32 v148, v78 offset:5120
	s_waitcnt lgkmcnt(0)
	v_lshrrev_b32_e32 v2, s38, v148
	s_delay_alu instid0(VALU_DEP_1) | instskip(NEXT) | instid1(VALU_DEP_1)
	v_and_b32_e32 v2, s39, v2
	v_lshlrev_b32_e32 v2, 2, v2
	ds_load_b32 v2, v2
	s_waitcnt lgkmcnt(0)
	v_add_nc_u32_e32 v2, v2, v52
	s_delay_alu instid0(VALU_DEP_1) | instskip(SKIP_1) | instid1(VALU_DEP_2)
	v_lshlrev_b64 v[36:37], 2, v[2:3]
	v_xor_b32_e32 v2, 0x80000000, v148
	v_add_co_u32 v36, s22, s48, v36
	s_delay_alu instid0(VALU_DEP_1) | instskip(SKIP_3) | instid1(VALU_DEP_1)
	v_add_co_ci_u32_e64 v37, s22, s49, v37, s22
	global_store_b32 v[36:37], v2, off
	s_or_b32 exec_lo, exec_lo, s23
	v_cmp_lt_u32_e64 s22, v53, v147
	s_and_saveexec_b32 s24, s22
	s_cbranch_execnz .LBB637_485
.LBB637_500:                            ;   in Loop: Header=BB637_400 Depth=2
	s_or_b32 exec_lo, exec_lo, s24
	v_cmp_lt_u32_e64 s23, v54, v147
	s_delay_alu instid0(VALU_DEP_1)
	s_and_saveexec_b32 s25, s23
	s_cbranch_execz .LBB637_486
.LBB637_501:                            ;   in Loop: Header=BB637_400 Depth=2
	ds_load_b32 v148, v78 offset:7168
	s_waitcnt lgkmcnt(0)
	v_lshrrev_b32_e32 v2, s38, v148
	s_delay_alu instid0(VALU_DEP_1) | instskip(NEXT) | instid1(VALU_DEP_1)
	v_and_b32_e32 v2, s39, v2
	v_lshlrev_b32_e32 v2, 2, v2
	ds_load_b32 v2, v2
	s_waitcnt lgkmcnt(0)
	v_add_nc_u32_e32 v2, v2, v54
	s_delay_alu instid0(VALU_DEP_1) | instskip(SKIP_1) | instid1(VALU_DEP_2)
	v_lshlrev_b64 v[36:37], 2, v[2:3]
	v_xor_b32_e32 v2, 0x80000000, v148
	v_add_co_u32 v36, s24, s48, v36
	s_delay_alu instid0(VALU_DEP_1) | instskip(SKIP_3) | instid1(VALU_DEP_1)
	v_add_co_ci_u32_e64 v37, s24, s49, v37, s24
	global_store_b32 v[36:37], v2, off
	s_or_b32 exec_lo, exec_lo, s25
	v_cmp_lt_u32_e64 s24, v55, v147
	s_and_saveexec_b32 s26, s24
	s_cbranch_execnz .LBB637_487
.LBB637_502:                            ;   in Loop: Header=BB637_400 Depth=2
	s_or_b32 exec_lo, exec_lo, s26
	v_cmp_lt_u32_e64 s25, v56, v147
	s_delay_alu instid0(VALU_DEP_1)
	s_and_saveexec_b32 s27, s25
	s_cbranch_execz .LBB637_488
.LBB637_503:                            ;   in Loop: Header=BB637_400 Depth=2
	ds_load_b32 v148, v78 offset:9216
	s_waitcnt lgkmcnt(0)
	v_lshrrev_b32_e32 v2, s38, v148
	s_delay_alu instid0(VALU_DEP_1) | instskip(NEXT) | instid1(VALU_DEP_1)
	v_and_b32_e32 v2, s39, v2
	v_lshlrev_b32_e32 v2, 2, v2
	ds_load_b32 v2, v2
	s_waitcnt lgkmcnt(0)
	v_add_nc_u32_e32 v2, v2, v56
	s_delay_alu instid0(VALU_DEP_1) | instskip(SKIP_1) | instid1(VALU_DEP_2)
	v_lshlrev_b64 v[36:37], 2, v[2:3]
	v_xor_b32_e32 v2, 0x80000000, v148
	v_add_co_u32 v36, s26, s48, v36
	s_delay_alu instid0(VALU_DEP_1) | instskip(SKIP_3) | instid1(VALU_DEP_1)
	v_add_co_ci_u32_e64 v37, s26, s49, v37, s26
	global_store_b32 v[36:37], v2, off
	s_or_b32 exec_lo, exec_lo, s27
	v_cmp_lt_u32_e64 s26, v57, v147
	s_and_saveexec_b32 s28, s26
	s_cbranch_execnz .LBB637_489
.LBB637_504:                            ;   in Loop: Header=BB637_400 Depth=2
	s_or_b32 exec_lo, exec_lo, s28
	v_cmp_lt_u32_e64 s27, v58, v147
	s_delay_alu instid0(VALU_DEP_1)
	s_and_saveexec_b32 s29, s27
	s_cbranch_execz .LBB637_490
.LBB637_505:                            ;   in Loop: Header=BB637_400 Depth=2
	ds_load_b32 v148, v78 offset:11264
	s_waitcnt lgkmcnt(0)
	v_lshrrev_b32_e32 v2, s38, v148
	s_delay_alu instid0(VALU_DEP_1) | instskip(NEXT) | instid1(VALU_DEP_1)
	v_and_b32_e32 v2, s39, v2
	v_lshlrev_b32_e32 v2, 2, v2
	ds_load_b32 v2, v2
	s_waitcnt lgkmcnt(0)
	v_add_nc_u32_e32 v2, v2, v58
	s_delay_alu instid0(VALU_DEP_1) | instskip(SKIP_1) | instid1(VALU_DEP_2)
	v_lshlrev_b64 v[36:37], 2, v[2:3]
	v_xor_b32_e32 v2, 0x80000000, v148
	v_add_co_u32 v36, s28, s48, v36
	s_delay_alu instid0(VALU_DEP_1) | instskip(SKIP_3) | instid1(VALU_DEP_1)
	v_add_co_ci_u32_e64 v37, s28, s49, v37, s28
	global_store_b32 v[36:37], v2, off
	s_or_b32 exec_lo, exec_lo, s29
	v_cmp_lt_u32_e64 s28, v59, v147
	s_and_saveexec_b32 s30, s28
	s_cbranch_execnz .LBB637_491
.LBB637_506:                            ;   in Loop: Header=BB637_400 Depth=2
	s_or_b32 exec_lo, exec_lo, s30
	v_cmp_lt_u32_e64 s29, v60, v147
	s_delay_alu instid0(VALU_DEP_1)
	s_and_saveexec_b32 s31, s29
	s_cbranch_execz .LBB637_492
.LBB637_507:                            ;   in Loop: Header=BB637_400 Depth=2
	ds_load_b32 v148, v78 offset:13312
	s_waitcnt lgkmcnt(0)
	v_lshrrev_b32_e32 v2, s38, v148
	s_delay_alu instid0(VALU_DEP_1) | instskip(NEXT) | instid1(VALU_DEP_1)
	v_and_b32_e32 v2, s39, v2
	v_lshlrev_b32_e32 v2, 2, v2
	ds_load_b32 v2, v2
	s_waitcnt lgkmcnt(0)
	v_add_nc_u32_e32 v2, v2, v60
	s_delay_alu instid0(VALU_DEP_1) | instskip(SKIP_1) | instid1(VALU_DEP_2)
	v_lshlrev_b64 v[36:37], 2, v[2:3]
	v_xor_b32_e32 v2, 0x80000000, v148
	v_add_co_u32 v36, s30, s48, v36
	s_delay_alu instid0(VALU_DEP_1) | instskip(SKIP_3) | instid1(VALU_DEP_1)
	v_add_co_ci_u32_e64 v37, s30, s49, v37, s30
	global_store_b32 v[36:37], v2, off
	s_or_b32 exec_lo, exec_lo, s31
	v_cmp_lt_u32_e64 s30, v61, v147
	s_and_saveexec_b32 s33, s30
	s_cbranch_execnz .LBB637_493
.LBB637_508:                            ;   in Loop: Header=BB637_400 Depth=2
	s_or_b32 exec_lo, exec_lo, s33
	v_cmp_lt_u32_e64 s31, v63, v147
	s_delay_alu instid0(VALU_DEP_1)
	s_and_saveexec_b32 s42, s31
	s_cbranch_execz .LBB637_510
.LBB637_509:                            ;   in Loop: Header=BB637_400 Depth=2
	ds_load_b32 v148, v78 offset:15360
	s_waitcnt lgkmcnt(0)
	v_lshrrev_b32_e32 v2, s38, v148
	s_delay_alu instid0(VALU_DEP_1) | instskip(NEXT) | instid1(VALU_DEP_1)
	v_and_b32_e32 v2, s39, v2
	v_lshlrev_b32_e32 v2, 2, v2
	ds_load_b32 v2, v2
	s_waitcnt lgkmcnt(0)
	v_add_nc_u32_e32 v2, v2, v63
	s_delay_alu instid0(VALU_DEP_1) | instskip(SKIP_1) | instid1(VALU_DEP_2)
	v_lshlrev_b64 v[36:37], 2, v[2:3]
	v_xor_b32_e32 v2, 0x80000000, v148
	v_add_co_u32 v36, s33, s48, v36
	s_delay_alu instid0(VALU_DEP_1)
	v_add_co_ci_u32_e64 v37, s33, s49, v37, s33
	global_store_b32 v[36:37], v2, off
.LBB637_510:                            ;   in Loop: Header=BB637_400 Depth=2
	s_or_b32 exec_lo, exec_lo, s42
	s_lshl_b64 s[42:43], s[34:35], 3
	s_delay_alu instid0(SALU_CYCLE_1) | instskip(NEXT) | instid1(VALU_DEP_1)
	v_add_co_u32 v36, s33, v109, s42
	v_add_co_ci_u32_e64 v37, s33, s43, v110, s33
	v_cmp_lt_u32_e64 s33, v108, v147
	s_delay_alu instid0(VALU_DEP_1) | instskip(NEXT) | instid1(SALU_CYCLE_1)
	s_and_saveexec_b32 s34, s33
	s_xor_b32 s33, exec_lo, s34
	s_cbranch_execz .LBB637_542
; %bb.511:                              ;   in Loop: Header=BB637_400 Depth=2
	global_load_b64 v[34:35], v[36:37], off
	s_or_b32 exec_lo, exec_lo, s33
	s_delay_alu instid0(SALU_CYCLE_1)
	s_mov_b32 s34, exec_lo
	v_cmpx_lt_u32_e64 v111, v147
	s_cbranch_execnz .LBB637_543
.LBB637_512:                            ;   in Loop: Header=BB637_400 Depth=2
	s_or_b32 exec_lo, exec_lo, s34
	s_delay_alu instid0(SALU_CYCLE_1)
	s_mov_b32 s34, exec_lo
	v_cmpx_lt_u32_e64 v112, v147
	s_cbranch_execz .LBB637_544
.LBB637_513:                            ;   in Loop: Header=BB637_400 Depth=2
	global_load_b64 v[30:31], v[36:37], off offset:512
	s_or_b32 exec_lo, exec_lo, s34
	s_delay_alu instid0(SALU_CYCLE_1)
	s_mov_b32 s34, exec_lo
	v_cmpx_lt_u32_e64 v113, v147
	s_cbranch_execnz .LBB637_545
.LBB637_514:                            ;   in Loop: Header=BB637_400 Depth=2
	s_or_b32 exec_lo, exec_lo, s34
	s_delay_alu instid0(SALU_CYCLE_1)
	s_mov_b32 s34, exec_lo
	v_cmpx_lt_u32_e64 v114, v147
	s_cbranch_execz .LBB637_546
.LBB637_515:                            ;   in Loop: Header=BB637_400 Depth=2
	global_load_b64 v[26:27], v[36:37], off offset:1024
	s_or_b32 exec_lo, exec_lo, s34
	s_delay_alu instid0(SALU_CYCLE_1)
	s_mov_b32 s34, exec_lo
	v_cmpx_lt_u32_e64 v115, v147
	s_cbranch_execnz .LBB637_547
.LBB637_516:                            ;   in Loop: Header=BB637_400 Depth=2
	s_or_b32 exec_lo, exec_lo, s34
	s_delay_alu instid0(SALU_CYCLE_1)
	s_mov_b32 s34, exec_lo
	v_cmpx_lt_u32_e64 v116, v147
	s_cbranch_execz .LBB637_548
.LBB637_517:                            ;   in Loop: Header=BB637_400 Depth=2
	global_load_b64 v[22:23], v[36:37], off offset:1536
	s_or_b32 exec_lo, exec_lo, s34
	s_delay_alu instid0(SALU_CYCLE_1)
	s_mov_b32 s34, exec_lo
	v_cmpx_lt_u32_e64 v117, v147
	s_cbranch_execnz .LBB637_549
.LBB637_518:                            ;   in Loop: Header=BB637_400 Depth=2
	s_or_b32 exec_lo, exec_lo, s34
	s_delay_alu instid0(SALU_CYCLE_1)
	s_mov_b32 s34, exec_lo
	v_cmpx_lt_u32_e64 v118, v147
	s_cbranch_execz .LBB637_550
.LBB637_519:                            ;   in Loop: Header=BB637_400 Depth=2
	global_load_b64 v[18:19], v[36:37], off offset:2048
	s_or_b32 exec_lo, exec_lo, s34
	s_delay_alu instid0(SALU_CYCLE_1)
	s_mov_b32 s34, exec_lo
	v_cmpx_lt_u32_e64 v119, v147
	s_cbranch_execnz .LBB637_551
.LBB637_520:                            ;   in Loop: Header=BB637_400 Depth=2
	s_or_b32 exec_lo, exec_lo, s34
	s_delay_alu instid0(SALU_CYCLE_1)
	s_mov_b32 s34, exec_lo
	v_cmpx_lt_u32_e64 v120, v147
	s_cbranch_execz .LBB637_552
.LBB637_521:                            ;   in Loop: Header=BB637_400 Depth=2
	global_load_b64 v[14:15], v[36:37], off offset:2560
	s_or_b32 exec_lo, exec_lo, s34
	s_delay_alu instid0(SALU_CYCLE_1)
	s_mov_b32 s34, exec_lo
	v_cmpx_lt_u32_e64 v121, v147
	s_cbranch_execnz .LBB637_553
.LBB637_522:                            ;   in Loop: Header=BB637_400 Depth=2
	s_or_b32 exec_lo, exec_lo, s34
	s_delay_alu instid0(SALU_CYCLE_1)
	s_mov_b32 s34, exec_lo
	v_cmpx_lt_u32_e64 v122, v147
	s_cbranch_execz .LBB637_554
.LBB637_523:                            ;   in Loop: Header=BB637_400 Depth=2
	global_load_b64 v[10:11], v[36:37], off offset:3072
	s_or_b32 exec_lo, exec_lo, s34
	s_delay_alu instid0(SALU_CYCLE_1)
	s_mov_b32 s34, exec_lo
	v_cmpx_lt_u32_e64 v123, v147
	s_cbranch_execnz .LBB637_555
.LBB637_524:                            ;   in Loop: Header=BB637_400 Depth=2
	s_or_b32 exec_lo, exec_lo, s34
	s_delay_alu instid0(SALU_CYCLE_1)
	s_mov_b32 s34, exec_lo
	v_cmpx_lt_u32_e64 v124, v147
	s_cbranch_execz .LBB637_556
.LBB637_525:                            ;   in Loop: Header=BB637_400 Depth=2
	global_load_b64 v[6:7], v[36:37], off offset:3584
	s_or_b32 exec_lo, exec_lo, s34
	s_delay_alu instid0(SALU_CYCLE_1)
	s_mov_b32 s34, exec_lo
	v_cmpx_lt_u32_e64 v125, v147
	s_cbranch_execnz .LBB637_557
.LBB637_526:                            ;   in Loop: Header=BB637_400 Depth=2
	s_or_b32 exec_lo, exec_lo, s34
	s_and_saveexec_b32 s33, vcc_lo
	s_cbranch_execz .LBB637_558
.LBB637_527:                            ;   in Loop: Header=BB637_400 Depth=2
	v_add_nc_u32_e32 v2, v70, v72
	ds_load_b32 v2, v2 offset:1024
	s_waitcnt lgkmcnt(0)
	v_lshrrev_b32_e32 v2, s38, v2
	s_delay_alu instid0(VALU_DEP_1)
	v_and_b32_e32 v146, s39, v2
	s_or_b32 exec_lo, exec_lo, s33
	s_and_saveexec_b32 s33, s17
	s_cbranch_execnz .LBB637_559
.LBB637_528:                            ;   in Loop: Header=BB637_400 Depth=2
	s_or_b32 exec_lo, exec_lo, s33
	s_and_saveexec_b32 s33, s18
	s_cbranch_execz .LBB637_560
.LBB637_529:                            ;   in Loop: Header=BB637_400 Depth=2
	ds_load_b32 v2, v78 offset:2048
	s_waitcnt lgkmcnt(0)
	v_lshrrev_b32_e32 v2, s38, v2
	s_delay_alu instid0(VALU_DEP_1)
	v_and_b32_e32 v144, s39, v2
	s_or_b32 exec_lo, exec_lo, s33
	s_and_saveexec_b32 s33, s19
	s_cbranch_execnz .LBB637_561
.LBB637_530:                            ;   in Loop: Header=BB637_400 Depth=2
	s_or_b32 exec_lo, exec_lo, s33
	s_and_saveexec_b32 s33, s20
	s_cbranch_execz .LBB637_562
.LBB637_531:                            ;   in Loop: Header=BB637_400 Depth=2
	ds_load_b32 v2, v78 offset:4096
	s_waitcnt lgkmcnt(0)
	v_lshrrev_b32_e32 v2, s38, v2
	s_delay_alu instid0(VALU_DEP_1)
	v_and_b32_e32 v142, s39, v2
	s_or_b32 exec_lo, exec_lo, s33
	s_and_saveexec_b32 s33, s21
	s_cbranch_execnz .LBB637_563
.LBB637_532:                            ;   in Loop: Header=BB637_400 Depth=2
	s_or_b32 exec_lo, exec_lo, s33
	s_and_saveexec_b32 s33, s22
	s_cbranch_execz .LBB637_564
.LBB637_533:                            ;   in Loop: Header=BB637_400 Depth=2
	ds_load_b32 v2, v78 offset:6144
	s_waitcnt lgkmcnt(0)
	v_lshrrev_b32_e32 v2, s38, v2
	s_delay_alu instid0(VALU_DEP_1)
	v_and_b32_e32 v140, s39, v2
	s_or_b32 exec_lo, exec_lo, s33
	s_and_saveexec_b32 s33, s23
	s_cbranch_execnz .LBB637_565
.LBB637_534:                            ;   in Loop: Header=BB637_400 Depth=2
	s_or_b32 exec_lo, exec_lo, s33
	s_and_saveexec_b32 s33, s24
	s_cbranch_execz .LBB637_566
.LBB637_535:                            ;   in Loop: Header=BB637_400 Depth=2
	ds_load_b32 v2, v78 offset:8192
	s_waitcnt lgkmcnt(0)
	v_lshrrev_b32_e32 v2, s38, v2
	s_delay_alu instid0(VALU_DEP_1)
	v_and_b32_e32 v138, s39, v2
	s_or_b32 exec_lo, exec_lo, s33
	s_and_saveexec_b32 s33, s25
	s_cbranch_execnz .LBB637_567
.LBB637_536:                            ;   in Loop: Header=BB637_400 Depth=2
	s_or_b32 exec_lo, exec_lo, s33
	s_and_saveexec_b32 s33, s26
	s_cbranch_execz .LBB637_568
.LBB637_537:                            ;   in Loop: Header=BB637_400 Depth=2
	ds_load_b32 v2, v78 offset:10240
	s_waitcnt lgkmcnt(0)
	v_lshrrev_b32_e32 v2, s38, v2
	s_delay_alu instid0(VALU_DEP_1)
	v_and_b32_e32 v136, s39, v2
	s_or_b32 exec_lo, exec_lo, s33
	s_and_saveexec_b32 s33, s27
	s_cbranch_execnz .LBB637_569
.LBB637_538:                            ;   in Loop: Header=BB637_400 Depth=2
	s_or_b32 exec_lo, exec_lo, s33
	s_and_saveexec_b32 s33, s28
	s_cbranch_execz .LBB637_570
.LBB637_539:                            ;   in Loop: Header=BB637_400 Depth=2
	ds_load_b32 v2, v78 offset:12288
	s_waitcnt lgkmcnt(0)
	v_lshrrev_b32_e32 v2, s38, v2
	s_delay_alu instid0(VALU_DEP_1)
	v_and_b32_e32 v134, s39, v2
	s_or_b32 exec_lo, exec_lo, s33
	s_and_saveexec_b32 s33, s29
	s_cbranch_execnz .LBB637_571
.LBB637_540:                            ;   in Loop: Header=BB637_400 Depth=2
	s_or_b32 exec_lo, exec_lo, s33
	s_and_saveexec_b32 s33, s30
	s_cbranch_execz .LBB637_572
.LBB637_541:                            ;   in Loop: Header=BB637_400 Depth=2
	ds_load_b32 v2, v78 offset:14336
	s_waitcnt lgkmcnt(0)
	v_lshrrev_b32_e32 v2, s38, v2
	s_delay_alu instid0(VALU_DEP_1)
	v_and_b32_e32 v132, s39, v2
	s_or_b32 exec_lo, exec_lo, s33
	s_and_saveexec_b32 s33, s31
	s_cbranch_execnz .LBB637_573
	s_branch .LBB637_574
.LBB637_542:                            ;   in Loop: Header=BB637_400 Depth=2
	s_or_b32 exec_lo, exec_lo, s33
	s_delay_alu instid0(SALU_CYCLE_1)
	s_mov_b32 s34, exec_lo
	v_cmpx_lt_u32_e64 v111, v147
	s_cbranch_execz .LBB637_512
.LBB637_543:                            ;   in Loop: Header=BB637_400 Depth=2
	global_load_b64 v[32:33], v[36:37], off offset:256
	s_or_b32 exec_lo, exec_lo, s34
	s_delay_alu instid0(SALU_CYCLE_1)
	s_mov_b32 s34, exec_lo
	v_cmpx_lt_u32_e64 v112, v147
	s_cbranch_execnz .LBB637_513
.LBB637_544:                            ;   in Loop: Header=BB637_400 Depth=2
	s_or_b32 exec_lo, exec_lo, s34
	s_delay_alu instid0(SALU_CYCLE_1)
	s_mov_b32 s34, exec_lo
	v_cmpx_lt_u32_e64 v113, v147
	s_cbranch_execz .LBB637_514
.LBB637_545:                            ;   in Loop: Header=BB637_400 Depth=2
	global_load_b64 v[28:29], v[36:37], off offset:768
	s_or_b32 exec_lo, exec_lo, s34
	s_delay_alu instid0(SALU_CYCLE_1)
	s_mov_b32 s34, exec_lo
	v_cmpx_lt_u32_e64 v114, v147
	s_cbranch_execnz .LBB637_515
.LBB637_546:                            ;   in Loop: Header=BB637_400 Depth=2
	s_or_b32 exec_lo, exec_lo, s34
	s_delay_alu instid0(SALU_CYCLE_1)
	s_mov_b32 s34, exec_lo
	v_cmpx_lt_u32_e64 v115, v147
	s_cbranch_execz .LBB637_516
.LBB637_547:                            ;   in Loop: Header=BB637_400 Depth=2
	global_load_b64 v[24:25], v[36:37], off offset:1280
	s_or_b32 exec_lo, exec_lo, s34
	s_delay_alu instid0(SALU_CYCLE_1)
	s_mov_b32 s34, exec_lo
	v_cmpx_lt_u32_e64 v116, v147
	s_cbranch_execnz .LBB637_517
.LBB637_548:                            ;   in Loop: Header=BB637_400 Depth=2
	s_or_b32 exec_lo, exec_lo, s34
	s_delay_alu instid0(SALU_CYCLE_1)
	s_mov_b32 s34, exec_lo
	v_cmpx_lt_u32_e64 v117, v147
	s_cbranch_execz .LBB637_518
.LBB637_549:                            ;   in Loop: Header=BB637_400 Depth=2
	global_load_b64 v[20:21], v[36:37], off offset:1792
	s_or_b32 exec_lo, exec_lo, s34
	s_delay_alu instid0(SALU_CYCLE_1)
	s_mov_b32 s34, exec_lo
	v_cmpx_lt_u32_e64 v118, v147
	s_cbranch_execnz .LBB637_519
.LBB637_550:                            ;   in Loop: Header=BB637_400 Depth=2
	s_or_b32 exec_lo, exec_lo, s34
	s_delay_alu instid0(SALU_CYCLE_1)
	s_mov_b32 s34, exec_lo
	v_cmpx_lt_u32_e64 v119, v147
	s_cbranch_execz .LBB637_520
.LBB637_551:                            ;   in Loop: Header=BB637_400 Depth=2
	global_load_b64 v[16:17], v[36:37], off offset:2304
	s_or_b32 exec_lo, exec_lo, s34
	s_delay_alu instid0(SALU_CYCLE_1)
	s_mov_b32 s34, exec_lo
	v_cmpx_lt_u32_e64 v120, v147
	s_cbranch_execnz .LBB637_521
.LBB637_552:                            ;   in Loop: Header=BB637_400 Depth=2
	s_or_b32 exec_lo, exec_lo, s34
	s_delay_alu instid0(SALU_CYCLE_1)
	s_mov_b32 s34, exec_lo
	v_cmpx_lt_u32_e64 v121, v147
	s_cbranch_execz .LBB637_522
.LBB637_553:                            ;   in Loop: Header=BB637_400 Depth=2
	global_load_b64 v[12:13], v[36:37], off offset:2816
	s_or_b32 exec_lo, exec_lo, s34
	s_delay_alu instid0(SALU_CYCLE_1)
	s_mov_b32 s34, exec_lo
	v_cmpx_lt_u32_e64 v122, v147
	s_cbranch_execnz .LBB637_523
.LBB637_554:                            ;   in Loop: Header=BB637_400 Depth=2
	s_or_b32 exec_lo, exec_lo, s34
	s_delay_alu instid0(SALU_CYCLE_1)
	s_mov_b32 s34, exec_lo
	v_cmpx_lt_u32_e64 v123, v147
	s_cbranch_execz .LBB637_524
.LBB637_555:                            ;   in Loop: Header=BB637_400 Depth=2
	global_load_b64 v[8:9], v[36:37], off offset:3328
	s_or_b32 exec_lo, exec_lo, s34
	s_delay_alu instid0(SALU_CYCLE_1)
	s_mov_b32 s34, exec_lo
	v_cmpx_lt_u32_e64 v124, v147
	s_cbranch_execnz .LBB637_525
.LBB637_556:                            ;   in Loop: Header=BB637_400 Depth=2
	s_or_b32 exec_lo, exec_lo, s34
	s_delay_alu instid0(SALU_CYCLE_1)
	s_mov_b32 s34, exec_lo
	v_cmpx_lt_u32_e64 v125, v147
	s_cbranch_execz .LBB637_526
.LBB637_557:                            ;   in Loop: Header=BB637_400 Depth=2
	global_load_b64 v[4:5], v[36:37], off offset:3840
	s_or_b32 exec_lo, exec_lo, s34
	s_and_saveexec_b32 s33, vcc_lo
	s_cbranch_execnz .LBB637_527
.LBB637_558:                            ;   in Loop: Header=BB637_400 Depth=2
	s_or_b32 exec_lo, exec_lo, s33
	s_and_saveexec_b32 s33, s17
	s_cbranch_execz .LBB637_528
.LBB637_559:                            ;   in Loop: Header=BB637_400 Depth=2
	ds_load_b32 v2, v78 offset:1024
	s_waitcnt lgkmcnt(0)
	v_lshrrev_b32_e32 v2, s38, v2
	s_delay_alu instid0(VALU_DEP_1)
	v_and_b32_e32 v145, s39, v2
	s_or_b32 exec_lo, exec_lo, s33
	s_and_saveexec_b32 s33, s18
	s_cbranch_execnz .LBB637_529
.LBB637_560:                            ;   in Loop: Header=BB637_400 Depth=2
	s_or_b32 exec_lo, exec_lo, s33
	s_and_saveexec_b32 s33, s19
	s_cbranch_execz .LBB637_530
.LBB637_561:                            ;   in Loop: Header=BB637_400 Depth=2
	ds_load_b32 v2, v78 offset:3072
	s_waitcnt lgkmcnt(0)
	v_lshrrev_b32_e32 v2, s38, v2
	s_delay_alu instid0(VALU_DEP_1)
	v_and_b32_e32 v143, s39, v2
	s_or_b32 exec_lo, exec_lo, s33
	s_and_saveexec_b32 s33, s20
	s_cbranch_execnz .LBB637_531
.LBB637_562:                            ;   in Loop: Header=BB637_400 Depth=2
	s_or_b32 exec_lo, exec_lo, s33
	s_and_saveexec_b32 s33, s21
	s_cbranch_execz .LBB637_532
.LBB637_563:                            ;   in Loop: Header=BB637_400 Depth=2
	ds_load_b32 v2, v78 offset:5120
	s_waitcnt lgkmcnt(0)
	v_lshrrev_b32_e32 v2, s38, v2
	s_delay_alu instid0(VALU_DEP_1)
	v_and_b32_e32 v141, s39, v2
	s_or_b32 exec_lo, exec_lo, s33
	s_and_saveexec_b32 s33, s22
	s_cbranch_execnz .LBB637_533
.LBB637_564:                            ;   in Loop: Header=BB637_400 Depth=2
	s_or_b32 exec_lo, exec_lo, s33
	s_and_saveexec_b32 s33, s23
	s_cbranch_execz .LBB637_534
.LBB637_565:                            ;   in Loop: Header=BB637_400 Depth=2
	ds_load_b32 v2, v78 offset:7168
	s_waitcnt lgkmcnt(0)
	v_lshrrev_b32_e32 v2, s38, v2
	s_delay_alu instid0(VALU_DEP_1)
	v_and_b32_e32 v139, s39, v2
	s_or_b32 exec_lo, exec_lo, s33
	s_and_saveexec_b32 s33, s24
	s_cbranch_execnz .LBB637_535
.LBB637_566:                            ;   in Loop: Header=BB637_400 Depth=2
	s_or_b32 exec_lo, exec_lo, s33
	s_and_saveexec_b32 s33, s25
	s_cbranch_execz .LBB637_536
.LBB637_567:                            ;   in Loop: Header=BB637_400 Depth=2
	ds_load_b32 v2, v78 offset:9216
	s_waitcnt lgkmcnt(0)
	v_lshrrev_b32_e32 v2, s38, v2
	s_delay_alu instid0(VALU_DEP_1)
	v_and_b32_e32 v137, s39, v2
	s_or_b32 exec_lo, exec_lo, s33
	s_and_saveexec_b32 s33, s26
	s_cbranch_execnz .LBB637_537
.LBB637_568:                            ;   in Loop: Header=BB637_400 Depth=2
	s_or_b32 exec_lo, exec_lo, s33
	s_and_saveexec_b32 s33, s27
	s_cbranch_execz .LBB637_538
.LBB637_569:                            ;   in Loop: Header=BB637_400 Depth=2
	ds_load_b32 v2, v78 offset:11264
	s_waitcnt lgkmcnt(0)
	v_lshrrev_b32_e32 v2, s38, v2
	s_delay_alu instid0(VALU_DEP_1)
	v_and_b32_e32 v135, s39, v2
	s_or_b32 exec_lo, exec_lo, s33
	s_and_saveexec_b32 s33, s28
	s_cbranch_execnz .LBB637_539
.LBB637_570:                            ;   in Loop: Header=BB637_400 Depth=2
	s_or_b32 exec_lo, exec_lo, s33
	s_and_saveexec_b32 s33, s29
	s_cbranch_execz .LBB637_540
.LBB637_571:                            ;   in Loop: Header=BB637_400 Depth=2
	ds_load_b32 v2, v78 offset:13312
	s_waitcnt lgkmcnt(0)
	v_lshrrev_b32_e32 v2, s38, v2
	s_delay_alu instid0(VALU_DEP_1)
	v_and_b32_e32 v133, s39, v2
	s_or_b32 exec_lo, exec_lo, s33
	s_and_saveexec_b32 s33, s30
	s_cbranch_execnz .LBB637_541
.LBB637_572:                            ;   in Loop: Header=BB637_400 Depth=2
	s_or_b32 exec_lo, exec_lo, s33
	s_and_saveexec_b32 s33, s31
	s_cbranch_execz .LBB637_574
.LBB637_573:                            ;   in Loop: Header=BB637_400 Depth=2
	ds_load_b32 v2, v78 offset:15360
	s_waitcnt lgkmcnt(0)
	v_lshrrev_b32_e32 v2, s38, v2
	s_delay_alu instid0(VALU_DEP_1)
	v_and_b32_e32 v131, s39, v2
.LBB637_574:                            ;   in Loop: Header=BB637_400 Depth=2
	s_or_b32 exec_lo, exec_lo, s33
	v_lshlrev_b32_e32 v2, 3, v170
	v_lshlrev_b32_e32 v36, 3, v166
	s_waitcnt vmcnt(0)
	s_waitcnt_vscnt null, 0x0
	s_barrier
	buffer_gl0_inv
	ds_store_b64 v2, v[34:35] offset:1024
	v_lshlrev_b32_e32 v2, 3, v162
	v_lshlrev_b32_e32 v37, 3, v158
	;; [unrolled: 1-line block ×4, first 2 shown]
	ds_store_b64 v36, v[32:33] offset:1024
	ds_store_b64 v2, v[30:31] offset:1024
	;; [unrolled: 1-line block ×5, first 2 shown]
	v_lshlrev_b32_e32 v2, 3, v154
	v_lshlrev_b32_e32 v36, 3, v153
	;; [unrolled: 1-line block ×5, first 2 shown]
	ds_store_b64 v2, v[22:23] offset:1024
	ds_store_b64 v36, v[20:21] offset:1024
	;; [unrolled: 1-line block ×5, first 2 shown]
	v_lshlrev_b32_e32 v2, 3, v40
	v_lshlrev_b32_e32 v36, 3, v39
	;; [unrolled: 1-line block ×5, first 2 shown]
	ds_store_b64 v2, v[12:13] offset:1024
	ds_store_b64 v36, v[10:11] offset:1024
	;; [unrolled: 1-line block ×5, first 2 shown]
	s_waitcnt lgkmcnt(0)
	s_barrier
	buffer_gl0_inv
	s_and_saveexec_b32 s33, vcc_lo
	s_cbranch_execz .LBB637_590
; %bb.575:                              ;   in Loop: Header=BB637_400 Depth=2
	v_lshlrev_b32_e32 v2, 2, v146
	ds_load_b32 v2, v2
	ds_load_b64 v[36:37], v79 offset:1024
	s_waitcnt lgkmcnt(1)
	v_add_nc_u32_e32 v2, v2, v1
	s_delay_alu instid0(VALU_DEP_1) | instskip(NEXT) | instid1(VALU_DEP_1)
	v_lshlrev_b64 v[39:40], 3, v[2:3]
	v_add_co_u32 v39, vcc_lo, s54, v39
	s_delay_alu instid0(VALU_DEP_2)
	v_add_co_ci_u32_e32 v40, vcc_lo, s55, v40, vcc_lo
	s_waitcnt lgkmcnt(0)
	global_store_b64 v[39:40], v[36:37], off
	s_or_b32 exec_lo, exec_lo, s33
	s_and_saveexec_b32 s33, s17
	s_cbranch_execnz .LBB637_591
.LBB637_576:                            ;   in Loop: Header=BB637_400 Depth=2
	s_or_b32 exec_lo, exec_lo, s33
	s_and_saveexec_b32 s17, s18
	s_cbranch_execz .LBB637_592
.LBB637_577:                            ;   in Loop: Header=BB637_400 Depth=2
	v_lshlrev_b32_e32 v2, 2, v144
	v_add_nc_u32_e32 v36, v78, v44
	ds_load_b32 v2, v2
	ds_load_b64 v[36:37], v36 offset:4096
	s_waitcnt lgkmcnt(1)
	v_add_nc_u32_e32 v2, v2, v46
	s_delay_alu instid0(VALU_DEP_1) | instskip(NEXT) | instid1(VALU_DEP_1)
	v_lshlrev_b64 v[39:40], 3, v[2:3]
	v_add_co_u32 v39, vcc_lo, s54, v39
	s_delay_alu instid0(VALU_DEP_2)
	v_add_co_ci_u32_e32 v40, vcc_lo, s55, v40, vcc_lo
	s_waitcnt lgkmcnt(0)
	global_store_b64 v[39:40], v[36:37], off
	s_or_b32 exec_lo, exec_lo, s17
	s_and_saveexec_b32 s17, s19
	s_cbranch_execnz .LBB637_593
.LBB637_578:                            ;   in Loop: Header=BB637_400 Depth=2
	s_or_b32 exec_lo, exec_lo, s17
	s_and_saveexec_b32 s17, s20
	s_cbranch_execz .LBB637_594
.LBB637_579:                            ;   in Loop: Header=BB637_400 Depth=2
	v_lshlrev_b32_e32 v2, 2, v142
	v_add_nc_u32_e32 v36, v78, v44
	ds_load_b32 v2, v2
	ds_load_b64 v[36:37], v36 offset:8192
	s_waitcnt lgkmcnt(1)
	v_add_nc_u32_e32 v2, v2, v51
	s_delay_alu instid0(VALU_DEP_1) | instskip(NEXT) | instid1(VALU_DEP_1)
	v_lshlrev_b64 v[39:40], 3, v[2:3]
	v_add_co_u32 v39, vcc_lo, s54, v39
	s_delay_alu instid0(VALU_DEP_2)
	v_add_co_ci_u32_e32 v40, vcc_lo, s55, v40, vcc_lo
	s_waitcnt lgkmcnt(0)
	global_store_b64 v[39:40], v[36:37], off
	s_or_b32 exec_lo, exec_lo, s17
	s_and_saveexec_b32 s17, s21
	s_cbranch_execnz .LBB637_595
.LBB637_580:                            ;   in Loop: Header=BB637_400 Depth=2
	s_or_b32 exec_lo, exec_lo, s17
	s_and_saveexec_b32 s17, s22
	s_cbranch_execz .LBB637_596
.LBB637_581:                            ;   in Loop: Header=BB637_400 Depth=2
	v_lshlrev_b32_e32 v2, 2, v140
	v_add_nc_u32_e32 v36, v78, v44
	ds_load_b32 v2, v2
	ds_load_b64 v[36:37], v36 offset:12288
	s_waitcnt lgkmcnt(1)
	v_add_nc_u32_e32 v2, v2, v53
	s_delay_alu instid0(VALU_DEP_1) | instskip(NEXT) | instid1(VALU_DEP_1)
	v_lshlrev_b64 v[39:40], 3, v[2:3]
	v_add_co_u32 v39, vcc_lo, s54, v39
	s_delay_alu instid0(VALU_DEP_2)
	v_add_co_ci_u32_e32 v40, vcc_lo, s55, v40, vcc_lo
	s_waitcnt lgkmcnt(0)
	global_store_b64 v[39:40], v[36:37], off
	s_or_b32 exec_lo, exec_lo, s17
	s_and_saveexec_b32 s17, s23
	s_cbranch_execnz .LBB637_597
.LBB637_582:                            ;   in Loop: Header=BB637_400 Depth=2
	s_or_b32 exec_lo, exec_lo, s17
	s_and_saveexec_b32 s17, s24
	s_cbranch_execz .LBB637_598
.LBB637_583:                            ;   in Loop: Header=BB637_400 Depth=2
	v_lshlrev_b32_e32 v2, 2, v138
	v_add_nc_u32_e32 v36, v78, v44
	ds_load_b32 v2, v2
	ds_load_b64 v[36:37], v36 offset:16384
	s_waitcnt lgkmcnt(1)
	v_add_nc_u32_e32 v2, v2, v55
	s_delay_alu instid0(VALU_DEP_1) | instskip(NEXT) | instid1(VALU_DEP_1)
	v_lshlrev_b64 v[39:40], 3, v[2:3]
	v_add_co_u32 v39, vcc_lo, s54, v39
	s_delay_alu instid0(VALU_DEP_2)
	v_add_co_ci_u32_e32 v40, vcc_lo, s55, v40, vcc_lo
	s_waitcnt lgkmcnt(0)
	global_store_b64 v[39:40], v[36:37], off
	s_or_b32 exec_lo, exec_lo, s17
	s_and_saveexec_b32 s17, s25
	s_cbranch_execnz .LBB637_599
.LBB637_584:                            ;   in Loop: Header=BB637_400 Depth=2
	s_or_b32 exec_lo, exec_lo, s17
	s_and_saveexec_b32 s17, s26
	s_cbranch_execz .LBB637_600
.LBB637_585:                            ;   in Loop: Header=BB637_400 Depth=2
	v_lshlrev_b32_e32 v2, 2, v136
	v_add_nc_u32_e32 v36, v78, v44
	ds_load_b32 v2, v2
	ds_load_b64 v[36:37], v36 offset:20480
	s_waitcnt lgkmcnt(1)
	v_add_nc_u32_e32 v2, v2, v57
	s_delay_alu instid0(VALU_DEP_1) | instskip(NEXT) | instid1(VALU_DEP_1)
	v_lshlrev_b64 v[39:40], 3, v[2:3]
	v_add_co_u32 v39, vcc_lo, s54, v39
	s_delay_alu instid0(VALU_DEP_2)
	v_add_co_ci_u32_e32 v40, vcc_lo, s55, v40, vcc_lo
	s_waitcnt lgkmcnt(0)
	global_store_b64 v[39:40], v[36:37], off
	s_or_b32 exec_lo, exec_lo, s17
	s_and_saveexec_b32 s17, s27
	s_cbranch_execnz .LBB637_601
.LBB637_586:                            ;   in Loop: Header=BB637_400 Depth=2
	s_or_b32 exec_lo, exec_lo, s17
	s_and_saveexec_b32 s17, s28
	s_cbranch_execz .LBB637_602
.LBB637_587:                            ;   in Loop: Header=BB637_400 Depth=2
	v_lshlrev_b32_e32 v2, 2, v134
	v_add_nc_u32_e32 v36, v78, v44
	ds_load_b32 v2, v2
	ds_load_b64 v[36:37], v36 offset:24576
	s_waitcnt lgkmcnt(1)
	v_add_nc_u32_e32 v2, v2, v59
	s_delay_alu instid0(VALU_DEP_1) | instskip(NEXT) | instid1(VALU_DEP_1)
	v_lshlrev_b64 v[39:40], 3, v[2:3]
	v_add_co_u32 v39, vcc_lo, s54, v39
	s_delay_alu instid0(VALU_DEP_2)
	v_add_co_ci_u32_e32 v40, vcc_lo, s55, v40, vcc_lo
	s_waitcnt lgkmcnt(0)
	global_store_b64 v[39:40], v[36:37], off
	s_or_b32 exec_lo, exec_lo, s17
	s_and_saveexec_b32 s17, s29
	s_cbranch_execnz .LBB637_603
.LBB637_588:                            ;   in Loop: Header=BB637_400 Depth=2
	s_or_b32 exec_lo, exec_lo, s17
	s_and_saveexec_b32 s17, s30
	s_cbranch_execz .LBB637_604
.LBB637_589:                            ;   in Loop: Header=BB637_400 Depth=2
	v_lshlrev_b32_e32 v2, 2, v132
	v_add_nc_u32_e32 v36, v78, v44
	ds_load_b32 v2, v2
	ds_load_b64 v[36:37], v36 offset:28672
	s_waitcnt lgkmcnt(1)
	v_add_nc_u32_e32 v2, v2, v61
	s_delay_alu instid0(VALU_DEP_1) | instskip(NEXT) | instid1(VALU_DEP_1)
	v_lshlrev_b64 v[39:40], 3, v[2:3]
	v_add_co_u32 v39, vcc_lo, s54, v39
	s_delay_alu instid0(VALU_DEP_2)
	v_add_co_ci_u32_e32 v40, vcc_lo, s55, v40, vcc_lo
	s_waitcnt lgkmcnt(0)
	global_store_b64 v[39:40], v[36:37], off
	s_or_b32 exec_lo, exec_lo, s17
	s_and_saveexec_b32 s17, s31
	s_cbranch_execnz .LBB637_605
	s_branch .LBB637_606
.LBB637_590:                            ;   in Loop: Header=BB637_400 Depth=2
	s_or_b32 exec_lo, exec_lo, s33
	s_and_saveexec_b32 s33, s17
	s_cbranch_execz .LBB637_576
.LBB637_591:                            ;   in Loop: Header=BB637_400 Depth=2
	v_lshlrev_b32_e32 v2, 2, v145
	v_add_nc_u32_e32 v36, v78, v44
	ds_load_b32 v2, v2
	ds_load_b64 v[36:37], v36 offset:2048
	s_waitcnt lgkmcnt(1)
	v_add_nc_u32_e32 v2, v2, v45
	s_delay_alu instid0(VALU_DEP_1) | instskip(NEXT) | instid1(VALU_DEP_1)
	v_lshlrev_b64 v[39:40], 3, v[2:3]
	v_add_co_u32 v39, vcc_lo, s54, v39
	s_delay_alu instid0(VALU_DEP_2)
	v_add_co_ci_u32_e32 v40, vcc_lo, s55, v40, vcc_lo
	s_waitcnt lgkmcnt(0)
	global_store_b64 v[39:40], v[36:37], off
	s_or_b32 exec_lo, exec_lo, s33
	s_and_saveexec_b32 s17, s18
	s_cbranch_execnz .LBB637_577
.LBB637_592:                            ;   in Loop: Header=BB637_400 Depth=2
	s_or_b32 exec_lo, exec_lo, s17
	s_and_saveexec_b32 s17, s19
	s_cbranch_execz .LBB637_578
.LBB637_593:                            ;   in Loop: Header=BB637_400 Depth=2
	v_lshlrev_b32_e32 v2, 2, v143
	v_add_nc_u32_e32 v36, v78, v44
	ds_load_b32 v2, v2
	ds_load_b64 v[36:37], v36 offset:6144
	s_waitcnt lgkmcnt(1)
	v_add_nc_u32_e32 v2, v2, v47
	s_delay_alu instid0(VALU_DEP_1) | instskip(NEXT) | instid1(VALU_DEP_1)
	v_lshlrev_b64 v[39:40], 3, v[2:3]
	v_add_co_u32 v39, vcc_lo, s54, v39
	s_delay_alu instid0(VALU_DEP_2)
	v_add_co_ci_u32_e32 v40, vcc_lo, s55, v40, vcc_lo
	s_waitcnt lgkmcnt(0)
	global_store_b64 v[39:40], v[36:37], off
	s_or_b32 exec_lo, exec_lo, s17
	s_and_saveexec_b32 s17, s20
	s_cbranch_execnz .LBB637_579
.LBB637_594:                            ;   in Loop: Header=BB637_400 Depth=2
	s_or_b32 exec_lo, exec_lo, s17
	s_and_saveexec_b32 s17, s21
	s_cbranch_execz .LBB637_580
.LBB637_595:                            ;   in Loop: Header=BB637_400 Depth=2
	v_lshlrev_b32_e32 v2, 2, v141
	v_add_nc_u32_e32 v36, v78, v44
	ds_load_b32 v2, v2
	ds_load_b64 v[36:37], v36 offset:10240
	s_waitcnt lgkmcnt(1)
	v_add_nc_u32_e32 v2, v2, v52
	s_delay_alu instid0(VALU_DEP_1) | instskip(NEXT) | instid1(VALU_DEP_1)
	v_lshlrev_b64 v[39:40], 3, v[2:3]
	v_add_co_u32 v39, vcc_lo, s54, v39
	s_delay_alu instid0(VALU_DEP_2)
	v_add_co_ci_u32_e32 v40, vcc_lo, s55, v40, vcc_lo
	s_waitcnt lgkmcnt(0)
	global_store_b64 v[39:40], v[36:37], off
	s_or_b32 exec_lo, exec_lo, s17
	s_and_saveexec_b32 s17, s22
	s_cbranch_execnz .LBB637_581
.LBB637_596:                            ;   in Loop: Header=BB637_400 Depth=2
	s_or_b32 exec_lo, exec_lo, s17
	s_and_saveexec_b32 s17, s23
	s_cbranch_execz .LBB637_582
.LBB637_597:                            ;   in Loop: Header=BB637_400 Depth=2
	v_lshlrev_b32_e32 v2, 2, v139
	v_add_nc_u32_e32 v36, v78, v44
	ds_load_b32 v2, v2
	ds_load_b64 v[36:37], v36 offset:14336
	s_waitcnt lgkmcnt(1)
	v_add_nc_u32_e32 v2, v2, v54
	s_delay_alu instid0(VALU_DEP_1) | instskip(NEXT) | instid1(VALU_DEP_1)
	v_lshlrev_b64 v[39:40], 3, v[2:3]
	v_add_co_u32 v39, vcc_lo, s54, v39
	s_delay_alu instid0(VALU_DEP_2)
	v_add_co_ci_u32_e32 v40, vcc_lo, s55, v40, vcc_lo
	s_waitcnt lgkmcnt(0)
	global_store_b64 v[39:40], v[36:37], off
	s_or_b32 exec_lo, exec_lo, s17
	s_and_saveexec_b32 s17, s24
	s_cbranch_execnz .LBB637_583
.LBB637_598:                            ;   in Loop: Header=BB637_400 Depth=2
	s_or_b32 exec_lo, exec_lo, s17
	s_and_saveexec_b32 s17, s25
	s_cbranch_execz .LBB637_584
.LBB637_599:                            ;   in Loop: Header=BB637_400 Depth=2
	v_lshlrev_b32_e32 v2, 2, v137
	v_add_nc_u32_e32 v36, v78, v44
	ds_load_b32 v2, v2
	ds_load_b64 v[36:37], v36 offset:18432
	s_waitcnt lgkmcnt(1)
	v_add_nc_u32_e32 v2, v2, v56
	s_delay_alu instid0(VALU_DEP_1) | instskip(NEXT) | instid1(VALU_DEP_1)
	v_lshlrev_b64 v[39:40], 3, v[2:3]
	v_add_co_u32 v39, vcc_lo, s54, v39
	s_delay_alu instid0(VALU_DEP_2)
	v_add_co_ci_u32_e32 v40, vcc_lo, s55, v40, vcc_lo
	s_waitcnt lgkmcnt(0)
	global_store_b64 v[39:40], v[36:37], off
	s_or_b32 exec_lo, exec_lo, s17
	s_and_saveexec_b32 s17, s26
	s_cbranch_execnz .LBB637_585
.LBB637_600:                            ;   in Loop: Header=BB637_400 Depth=2
	s_or_b32 exec_lo, exec_lo, s17
	s_and_saveexec_b32 s17, s27
	s_cbranch_execz .LBB637_586
.LBB637_601:                            ;   in Loop: Header=BB637_400 Depth=2
	v_lshlrev_b32_e32 v2, 2, v135
	v_add_nc_u32_e32 v36, v78, v44
	ds_load_b32 v2, v2
	ds_load_b64 v[36:37], v36 offset:22528
	s_waitcnt lgkmcnt(1)
	v_add_nc_u32_e32 v2, v2, v58
	s_delay_alu instid0(VALU_DEP_1) | instskip(NEXT) | instid1(VALU_DEP_1)
	v_lshlrev_b64 v[39:40], 3, v[2:3]
	v_add_co_u32 v39, vcc_lo, s54, v39
	s_delay_alu instid0(VALU_DEP_2)
	v_add_co_ci_u32_e32 v40, vcc_lo, s55, v40, vcc_lo
	s_waitcnt lgkmcnt(0)
	global_store_b64 v[39:40], v[36:37], off
	s_or_b32 exec_lo, exec_lo, s17
	s_and_saveexec_b32 s17, s28
	s_cbranch_execnz .LBB637_587
.LBB637_602:                            ;   in Loop: Header=BB637_400 Depth=2
	s_or_b32 exec_lo, exec_lo, s17
	s_and_saveexec_b32 s17, s29
	s_cbranch_execz .LBB637_588
.LBB637_603:                            ;   in Loop: Header=BB637_400 Depth=2
	v_lshlrev_b32_e32 v2, 2, v133
	v_add_nc_u32_e32 v36, v78, v44
	ds_load_b32 v2, v2
	ds_load_b64 v[36:37], v36 offset:26624
	s_waitcnt lgkmcnt(1)
	v_add_nc_u32_e32 v2, v2, v60
	s_delay_alu instid0(VALU_DEP_1) | instskip(NEXT) | instid1(VALU_DEP_1)
	v_lshlrev_b64 v[39:40], 3, v[2:3]
	v_add_co_u32 v39, vcc_lo, s54, v39
	s_delay_alu instid0(VALU_DEP_2)
	v_add_co_ci_u32_e32 v40, vcc_lo, s55, v40, vcc_lo
	s_waitcnt lgkmcnt(0)
	global_store_b64 v[39:40], v[36:37], off
	s_or_b32 exec_lo, exec_lo, s17
	s_and_saveexec_b32 s17, s30
	s_cbranch_execnz .LBB637_589
.LBB637_604:                            ;   in Loop: Header=BB637_400 Depth=2
	s_or_b32 exec_lo, exec_lo, s17
	s_and_saveexec_b32 s17, s31
	s_cbranch_execz .LBB637_606
.LBB637_605:                            ;   in Loop: Header=BB637_400 Depth=2
	v_lshlrev_b32_e32 v2, 2, v131
	v_add_nc_u32_e32 v36, v78, v44
	ds_load_b32 v2, v2
	ds_load_b64 v[36:37], v36 offset:30720
	s_waitcnt lgkmcnt(1)
	v_add_nc_u32_e32 v2, v2, v63
	s_delay_alu instid0(VALU_DEP_1) | instskip(NEXT) | instid1(VALU_DEP_1)
	v_lshlrev_b64 v[39:40], 3, v[2:3]
	v_add_co_u32 v39, vcc_lo, s54, v39
	s_delay_alu instid0(VALU_DEP_2)
	v_add_co_ci_u32_e32 v40, vcc_lo, s55, v40, vcc_lo
	s_waitcnt lgkmcnt(0)
	global_store_b64 v[39:40], v[36:37], off
.LBB637_606:                            ;   in Loop: Header=BB637_400 Depth=2
	s_or_b32 exec_lo, exec_lo, s17
	s_waitcnt_vscnt null, 0x0
	s_barrier
	buffer_gl0_inv
	s_and_saveexec_b32 s17, s2
	s_cbranch_execz .LBB637_399
; %bb.607:                              ;   in Loop: Header=BB637_400 Depth=2
	ds_load_b32 v2, v44
	s_waitcnt lgkmcnt(0)
	v_add_nc_u32_e32 v2, v2, v38
	ds_store_b32 v44, v2
	s_branch .LBB637_399
.LBB637_608:                            ;   in Loop: Header=BB637_20 Depth=1
	s_waitcnt lgkmcnt(0)
	s_barrier
.LBB637_609:                            ;   in Loop: Header=BB637_20 Depth=1
	s_mov_b32 s0, 0
.LBB637_610:                            ;   in Loop: Header=BB637_20 Depth=1
	s_delay_alu instid0(SALU_CYCLE_1)
	s_and_not1_b32 vcc_lo, exec_lo, s0
	s_cbranch_vccnz .LBB637_19
; %bb.611:                              ;   in Loop: Header=BB637_20 Depth=1
	s_and_b32 vcc_lo, exec_lo, s59
	s_mov_b32 s0, -1
	s_cbranch_vccz .LBB637_905
; %bb.612:                              ;   in Loop: Header=BB637_20 Depth=1
	s_mov_b32 s8, s62
	s_mov_b32 s34, s60
	s_barrier
	buffer_gl0_inv
                                        ; implicit-def: $vgpr20
                                        ; implicit-def: $vgpr2
                                        ; implicit-def: $vgpr6
                                        ; implicit-def: $vgpr7
                                        ; implicit-def: $vgpr8
                                        ; implicit-def: $vgpr9
                                        ; implicit-def: $vgpr10
                                        ; implicit-def: $vgpr11
                                        ; implicit-def: $vgpr12
                                        ; implicit-def: $vgpr13
                                        ; implicit-def: $vgpr14
                                        ; implicit-def: $vgpr15
                                        ; implicit-def: $vgpr16
                                        ; implicit-def: $vgpr17
                                        ; implicit-def: $vgpr18
                                        ; implicit-def: $vgpr19
	s_branch .LBB637_614
.LBB637_613:                            ;   in Loop: Header=BB637_614 Depth=2
	s_or_b32 exec_lo, exec_lo, s0
	s_addk_i32 s8, 0xf000
	s_cmp_ge_u32 s9, s61
	s_mov_b32 s34, s9
	s_cbranch_scc1 .LBB637_684
.LBB637_614:                            ;   Parent Loop BB637_20 Depth=1
                                        ; =>  This Inner Loop Header: Depth=2
	s_add_i32 s9, s34, 0x1000
	s_delay_alu instid0(SALU_CYCLE_1)
	s_cmp_gt_u32 s9, s61
	s_cbranch_scc1 .LBB637_617
; %bb.615:                              ;   in Loop: Header=BB637_614 Depth=2
	s_mov_b32 s1, 0
	s_mov_b32 s0, s34
	s_delay_alu instid0(SALU_CYCLE_1) | instskip(NEXT) | instid1(SALU_CYCLE_1)
	s_lshl_b64 s[10:11], s[0:1], 2
	v_add_co_u32 v4, vcc_lo, v86, s10
	v_add_co_ci_u32_e32 v5, vcc_lo, s11, v87, vcc_lo
	s_movk_i32 s11, 0x1000
	s_waitcnt vmcnt(1)
	s_delay_alu instid0(VALU_DEP_2) | instskip(NEXT) | instid1(VALU_DEP_2)
	v_add_co_u32 v29, vcc_lo, 0x1000, v4
	v_add_co_ci_u32_e32 v30, vcc_lo, 0, v5, vcc_lo
	s_waitcnt vmcnt(0)
	v_add_co_u32 v36, vcc_lo, v4, 0x2000
	v_add_co_ci_u32_e32 v37, vcc_lo, 0, v5, vcc_lo
	v_add_co_u32 v33, vcc_lo, 0x2000, v4
	v_add_co_ci_u32_e32 v34, vcc_lo, 0, v5, vcc_lo
	v_add_co_u32 v38, vcc_lo, 0x3000, v4
	global_load_b32 v26, v[36:37], off
	v_add_co_ci_u32_e32 v39, vcc_lo, 0, v5, vcc_lo
	s_clause 0xd
	global_load_b32 v22, v[4:5], off
	global_load_b32 v23, v[4:5], off offset:1024
	global_load_b32 v24, v[4:5], off offset:2048
	global_load_b32 v25, v[4:5], off offset:3072
	global_load_b32 v27, v[29:30], off offset:1024
	global_load_b32 v28, v[29:30], off offset:2048
	global_load_b32 v30, v[29:30], off offset:3072
	global_load_b32 v31, v[33:34], off offset:1024
	global_load_b32 v32, v[33:34], off offset:2048
	global_load_b32 v33, v[33:34], off offset:3072
	global_load_b32 v34, v[38:39], off
	global_load_b32 v35, v[38:39], off offset:1024
	global_load_b32 v29, v[36:37], off offset:-4096
	global_load_b32 v36, v[38:39], off offset:2048
	v_add_co_u32 v4, vcc_lo, 0x3c00, v4
	v_add_co_ci_u32_e32 v5, vcc_lo, 0, v5, vcc_lo
	s_mov_b32 s10, -1
	s_cbranch_execz .LBB637_618
; %bb.616:                              ;   in Loop: Header=BB637_614 Depth=2
                                        ; implicit-def: $vgpr19
                                        ; implicit-def: $vgpr18
                                        ; implicit-def: $vgpr17
                                        ; implicit-def: $vgpr16
                                        ; implicit-def: $vgpr15
                                        ; implicit-def: $vgpr14
                                        ; implicit-def: $vgpr13
                                        ; implicit-def: $vgpr12
                                        ; implicit-def: $vgpr11
                                        ; implicit-def: $vgpr10
                                        ; implicit-def: $vgpr9
                                        ; implicit-def: $vgpr8
                                        ; implicit-def: $vgpr7
                                        ; implicit-def: $vgpr6
                                        ; implicit-def: $vgpr2
                                        ; implicit-def: $vgpr20
	v_mov_b32_e32 v21, s8
	s_and_saveexec_b32 s0, s10
	s_cbranch_execnz .LBB637_637
	s_branch .LBB637_638
.LBB637_617:                            ;   in Loop: Header=BB637_614 Depth=2
	s_mov_b32 s10, 0
                                        ; implicit-def: $sgpr11
                                        ; implicit-def: $vgpr22
                                        ; implicit-def: $vgpr23
                                        ; implicit-def: $vgpr24
                                        ; implicit-def: $vgpr25
                                        ; implicit-def: $vgpr29
                                        ; implicit-def: $vgpr27
                                        ; implicit-def: $vgpr28
                                        ; implicit-def: $vgpr30
                                        ; implicit-def: $vgpr26
                                        ; implicit-def: $vgpr31
                                        ; implicit-def: $vgpr32
                                        ; implicit-def: $vgpr33
                                        ; implicit-def: $vgpr34
                                        ; implicit-def: $vgpr35
                                        ; implicit-def: $vgpr36
                                        ; implicit-def: $vgpr4_vgpr5
.LBB637_618:                            ;   in Loop: Header=BB637_614 Depth=2
	s_lshl_b64 s[0:1], s[34:35], 2
	s_mov_b32 s11, exec_lo
	s_add_u32 s0, s44, s0
	s_addc_u32 s1, s45, s1
	v_cmpx_gt_u32_e64 s8, v1
	s_cbranch_execz .LBB637_670
; %bb.619:                              ;   in Loop: Header=BB637_614 Depth=2
	global_load_b32 v19, v93, s[0:1]
	s_or_b32 exec_lo, exec_lo, s11
	s_delay_alu instid0(SALU_CYCLE_1)
	s_mov_b32 s11, exec_lo
	v_cmpx_gt_u32_e64 s8, v45
	s_cbranch_execnz .LBB637_671
.LBB637_620:                            ;   in Loop: Header=BB637_614 Depth=2
	s_or_b32 exec_lo, exec_lo, s11
	s_delay_alu instid0(SALU_CYCLE_1)
	s_mov_b32 s11, exec_lo
	v_cmpx_gt_u32_e64 s8, v46
	s_cbranch_execz .LBB637_672
.LBB637_621:                            ;   in Loop: Header=BB637_614 Depth=2
	global_load_b32 v17, v93, s[0:1] offset:2048
	s_or_b32 exec_lo, exec_lo, s11
	s_delay_alu instid0(SALU_CYCLE_1)
	s_mov_b32 s11, exec_lo
	v_cmpx_gt_u32_e64 s8, v47
	s_cbranch_execnz .LBB637_673
.LBB637_622:                            ;   in Loop: Header=BB637_614 Depth=2
	s_or_b32 exec_lo, exec_lo, s11
	s_delay_alu instid0(SALU_CYCLE_1)
	s_mov_b32 s11, exec_lo
	v_cmpx_gt_u32_e64 s8, v51
	s_cbranch_execz .LBB637_674
.LBB637_623:                            ;   in Loop: Header=BB637_614 Depth=2
	global_load_b32 v15, v94, s[0:1]
	s_or_b32 exec_lo, exec_lo, s11
	s_delay_alu instid0(SALU_CYCLE_1)
	s_mov_b32 s11, exec_lo
	v_cmpx_gt_u32_e64 s8, v52
	s_cbranch_execnz .LBB637_675
.LBB637_624:                            ;   in Loop: Header=BB637_614 Depth=2
	s_or_b32 exec_lo, exec_lo, s11
	s_delay_alu instid0(SALU_CYCLE_1)
	s_mov_b32 s11, exec_lo
	v_cmpx_gt_u32_e64 s8, v53
	s_cbranch_execz .LBB637_676
.LBB637_625:                            ;   in Loop: Header=BB637_614 Depth=2
	global_load_b32 v13, v96, s[0:1]
	s_or_b32 exec_lo, exec_lo, s11
	s_delay_alu instid0(SALU_CYCLE_1)
	s_mov_b32 s11, exec_lo
	v_cmpx_gt_u32_e64 s8, v54
	s_cbranch_execnz .LBB637_677
.LBB637_626:                            ;   in Loop: Header=BB637_614 Depth=2
	s_or_b32 exec_lo, exec_lo, s11
	s_delay_alu instid0(SALU_CYCLE_1)
	s_mov_b32 s11, exec_lo
	v_cmpx_gt_u32_e64 s8, v55
	s_cbranch_execz .LBB637_678
.LBB637_627:                            ;   in Loop: Header=BB637_614 Depth=2
	global_load_b32 v11, v98, s[0:1]
	s_or_b32 exec_lo, exec_lo, s11
	s_delay_alu instid0(SALU_CYCLE_1)
	s_mov_b32 s11, exec_lo
	v_cmpx_gt_u32_e64 s8, v56
	s_cbranch_execnz .LBB637_679
.LBB637_628:                            ;   in Loop: Header=BB637_614 Depth=2
	s_or_b32 exec_lo, exec_lo, s11
	s_delay_alu instid0(SALU_CYCLE_1)
	s_mov_b32 s11, exec_lo
	v_cmpx_gt_u32_e64 s8, v57
	s_cbranch_execz .LBB637_680
.LBB637_629:                            ;   in Loop: Header=BB637_614 Depth=2
	global_load_b32 v9, v100, s[0:1]
	s_or_b32 exec_lo, exec_lo, s11
	s_delay_alu instid0(SALU_CYCLE_1)
	s_mov_b32 s11, exec_lo
	v_cmpx_gt_u32_e64 s8, v58
	s_cbranch_execnz .LBB637_681
.LBB637_630:                            ;   in Loop: Header=BB637_614 Depth=2
	s_or_b32 exec_lo, exec_lo, s11
	s_delay_alu instid0(SALU_CYCLE_1)
	s_mov_b32 s11, exec_lo
	v_cmpx_gt_u32_e64 s8, v59
	s_cbranch_execz .LBB637_682
.LBB637_631:                            ;   in Loop: Header=BB637_614 Depth=2
	global_load_b32 v7, v102, s[0:1]
	s_or_b32 exec_lo, exec_lo, s11
	s_delay_alu instid0(SALU_CYCLE_1)
	s_mov_b32 s11, exec_lo
	v_cmpx_gt_u32_e64 s8, v60
	s_cbranch_execnz .LBB637_683
.LBB637_632:                            ;   in Loop: Header=BB637_614 Depth=2
	s_or_b32 exec_lo, exec_lo, s11
	s_delay_alu instid0(SALU_CYCLE_1)
	s_mov_b32 s11, exec_lo
	v_cmpx_gt_u32_e64 s8, v61
	s_cbranch_execz .LBB637_634
.LBB637_633:                            ;   in Loop: Header=BB637_614 Depth=2
	global_load_b32 v2, v104, s[0:1]
.LBB637_634:                            ;   in Loop: Header=BB637_614 Depth=2
	s_or_b32 exec_lo, exec_lo, s11
	s_delay_alu instid0(SALU_CYCLE_1)
	s_mov_b32 s12, exec_lo
                                        ; implicit-def: $sgpr11
                                        ; implicit-def: $vgpr4_vgpr5
	v_cmpx_gt_u32_e64 s8, v63
; %bb.635:                              ;   in Loop: Header=BB637_614 Depth=2
	v_add_co_u32 v4, s0, s0, v105
	s_delay_alu instid0(VALU_DEP_1)
	v_add_co_ci_u32_e64 v5, null, s1, 0, s0
	s_sub_i32 s11, s61, s34
	s_or_b32 s10, s10, exec_lo
                                        ; implicit-def: $vgpr20
; %bb.636:                              ;   in Loop: Header=BB637_614 Depth=2
	s_or_b32 exec_lo, exec_lo, s12
	s_waitcnt vmcnt(0)
	v_dual_mov_b32 v22, v19 :: v_dual_mov_b32 v23, v18
	v_dual_mov_b32 v24, v17 :: v_dual_mov_b32 v25, v16
	;; [unrolled: 1-line block ×8, first 2 shown]
	s_and_saveexec_b32 s0, s10
	s_cbranch_execz .LBB637_638
.LBB637_637:                            ;   in Loop: Header=BB637_614 Depth=2
	global_load_b32 v20, v[4:5], off
	s_waitcnt vmcnt(1)
	v_dual_mov_b32 v21, s11 :: v_dual_mov_b32 v2, v36
	v_dual_mov_b32 v6, v35 :: v_dual_mov_b32 v7, v34
	;; [unrolled: 1-line block ×8, first 2 shown]
.LBB637_638:                            ;   in Loop: Header=BB637_614 Depth=2
	s_or_b32 exec_lo, exec_lo, s0
	s_delay_alu instid0(SALU_CYCLE_1)
	s_mov_b32 s0, exec_lo
	v_cmpx_lt_u32_e64 v1, v21
	s_cbranch_execz .LBB637_654
; %bb.639:                              ;   in Loop: Header=BB637_614 Depth=2
	v_xor_b32_e32 v4, 0x80000000, v19
	v_lshlrev_b32_e32 v5, 2, v48
	s_delay_alu instid0(VALU_DEP_2) | instskip(NEXT) | instid1(VALU_DEP_1)
	v_lshrrev_b32_e32 v4, s57, v4
	v_and_b32_e32 v4, s39, v4
	s_delay_alu instid0(VALU_DEP_1) | instskip(SKIP_2) | instid1(SALU_CYCLE_1)
	v_lshl_or_b32 v4, v4, 4, v5
	ds_add_u32 v4, v92
	s_or_b32 exec_lo, exec_lo, s0
	s_mov_b32 s0, exec_lo
	v_cmpx_lt_u32_e64 v45, v21
	s_cbranch_execnz .LBB637_655
.LBB637_640:                            ;   in Loop: Header=BB637_614 Depth=2
	s_or_b32 exec_lo, exec_lo, s0
	s_delay_alu instid0(SALU_CYCLE_1)
	s_mov_b32 s0, exec_lo
	v_cmpx_lt_u32_e64 v46, v21
	s_cbranch_execz .LBB637_656
.LBB637_641:                            ;   in Loop: Header=BB637_614 Depth=2
	v_xor_b32_e32 v4, 0x80000000, v17
	v_lshlrev_b32_e32 v5, 2, v48
	s_delay_alu instid0(VALU_DEP_2) | instskip(NEXT) | instid1(VALU_DEP_1)
	v_lshrrev_b32_e32 v4, s57, v4
	v_and_b32_e32 v4, s39, v4
	s_delay_alu instid0(VALU_DEP_1) | instskip(SKIP_2) | instid1(SALU_CYCLE_1)
	v_lshl_or_b32 v4, v4, 4, v5
	ds_add_u32 v4, v92
	s_or_b32 exec_lo, exec_lo, s0
	s_mov_b32 s0, exec_lo
	v_cmpx_lt_u32_e64 v47, v21
	s_cbranch_execnz .LBB637_657
.LBB637_642:                            ;   in Loop: Header=BB637_614 Depth=2
	s_or_b32 exec_lo, exec_lo, s0
	s_delay_alu instid0(SALU_CYCLE_1)
	s_mov_b32 s0, exec_lo
	v_cmpx_lt_u32_e64 v51, v21
	s_cbranch_execz .LBB637_658
.LBB637_643:                            ;   in Loop: Header=BB637_614 Depth=2
	v_xor_b32_e32 v4, 0x80000000, v15
	v_lshlrev_b32_e32 v5, 2, v48
	s_delay_alu instid0(VALU_DEP_2) | instskip(NEXT) | instid1(VALU_DEP_1)
	v_lshrrev_b32_e32 v4, s57, v4
	v_and_b32_e32 v4, s39, v4
	s_delay_alu instid0(VALU_DEP_1) | instskip(SKIP_2) | instid1(SALU_CYCLE_1)
	v_lshl_or_b32 v4, v4, 4, v5
	ds_add_u32 v4, v92
	s_or_b32 exec_lo, exec_lo, s0
	s_mov_b32 s0, exec_lo
	v_cmpx_lt_u32_e64 v52, v21
	s_cbranch_execnz .LBB637_659
.LBB637_644:                            ;   in Loop: Header=BB637_614 Depth=2
	s_or_b32 exec_lo, exec_lo, s0
	s_delay_alu instid0(SALU_CYCLE_1)
	s_mov_b32 s0, exec_lo
	v_cmpx_lt_u32_e64 v53, v21
	s_cbranch_execz .LBB637_660
.LBB637_645:                            ;   in Loop: Header=BB637_614 Depth=2
	v_xor_b32_e32 v4, 0x80000000, v13
	v_lshlrev_b32_e32 v5, 2, v48
	s_delay_alu instid0(VALU_DEP_2) | instskip(NEXT) | instid1(VALU_DEP_1)
	v_lshrrev_b32_e32 v4, s57, v4
	v_and_b32_e32 v4, s39, v4
	s_delay_alu instid0(VALU_DEP_1) | instskip(SKIP_2) | instid1(SALU_CYCLE_1)
	v_lshl_or_b32 v4, v4, 4, v5
	ds_add_u32 v4, v92
	s_or_b32 exec_lo, exec_lo, s0
	s_mov_b32 s0, exec_lo
	v_cmpx_lt_u32_e64 v54, v21
	s_cbranch_execnz .LBB637_661
.LBB637_646:                            ;   in Loop: Header=BB637_614 Depth=2
	s_or_b32 exec_lo, exec_lo, s0
	s_delay_alu instid0(SALU_CYCLE_1)
	s_mov_b32 s0, exec_lo
	v_cmpx_lt_u32_e64 v55, v21
	s_cbranch_execz .LBB637_662
.LBB637_647:                            ;   in Loop: Header=BB637_614 Depth=2
	v_xor_b32_e32 v4, 0x80000000, v11
	v_lshlrev_b32_e32 v5, 2, v48
	s_delay_alu instid0(VALU_DEP_2) | instskip(NEXT) | instid1(VALU_DEP_1)
	v_lshrrev_b32_e32 v4, s57, v4
	v_and_b32_e32 v4, s39, v4
	s_delay_alu instid0(VALU_DEP_1) | instskip(SKIP_2) | instid1(SALU_CYCLE_1)
	v_lshl_or_b32 v4, v4, 4, v5
	ds_add_u32 v4, v92
	s_or_b32 exec_lo, exec_lo, s0
	s_mov_b32 s0, exec_lo
	v_cmpx_lt_u32_e64 v56, v21
	s_cbranch_execnz .LBB637_663
.LBB637_648:                            ;   in Loop: Header=BB637_614 Depth=2
	s_or_b32 exec_lo, exec_lo, s0
	s_delay_alu instid0(SALU_CYCLE_1)
	s_mov_b32 s0, exec_lo
	v_cmpx_lt_u32_e64 v57, v21
	s_cbranch_execz .LBB637_664
.LBB637_649:                            ;   in Loop: Header=BB637_614 Depth=2
	v_xor_b32_e32 v4, 0x80000000, v9
	v_lshlrev_b32_e32 v5, 2, v48
	s_delay_alu instid0(VALU_DEP_2) | instskip(NEXT) | instid1(VALU_DEP_1)
	v_lshrrev_b32_e32 v4, s57, v4
	v_and_b32_e32 v4, s39, v4
	s_delay_alu instid0(VALU_DEP_1) | instskip(SKIP_2) | instid1(SALU_CYCLE_1)
	v_lshl_or_b32 v4, v4, 4, v5
	ds_add_u32 v4, v92
	s_or_b32 exec_lo, exec_lo, s0
	s_mov_b32 s0, exec_lo
	v_cmpx_lt_u32_e64 v58, v21
	s_cbranch_execnz .LBB637_665
.LBB637_650:                            ;   in Loop: Header=BB637_614 Depth=2
	s_or_b32 exec_lo, exec_lo, s0
	s_delay_alu instid0(SALU_CYCLE_1)
	s_mov_b32 s0, exec_lo
	v_cmpx_lt_u32_e64 v59, v21
	s_cbranch_execz .LBB637_666
.LBB637_651:                            ;   in Loop: Header=BB637_614 Depth=2
	v_xor_b32_e32 v4, 0x80000000, v7
	v_lshlrev_b32_e32 v5, 2, v48
	s_delay_alu instid0(VALU_DEP_2) | instskip(NEXT) | instid1(VALU_DEP_1)
	v_lshrrev_b32_e32 v4, s57, v4
	v_and_b32_e32 v4, s39, v4
	s_delay_alu instid0(VALU_DEP_1) | instskip(SKIP_2) | instid1(SALU_CYCLE_1)
	v_lshl_or_b32 v4, v4, 4, v5
	ds_add_u32 v4, v92
	s_or_b32 exec_lo, exec_lo, s0
	s_mov_b32 s0, exec_lo
	v_cmpx_lt_u32_e64 v60, v21
	s_cbranch_execnz .LBB637_667
.LBB637_652:                            ;   in Loop: Header=BB637_614 Depth=2
	s_or_b32 exec_lo, exec_lo, s0
	s_delay_alu instid0(SALU_CYCLE_1)
	s_mov_b32 s0, exec_lo
	v_cmpx_lt_u32_e64 v61, v21
	s_cbranch_execz .LBB637_668
.LBB637_653:                            ;   in Loop: Header=BB637_614 Depth=2
	v_xor_b32_e32 v4, 0x80000000, v2
	v_lshlrev_b32_e32 v5, 2, v48
	s_delay_alu instid0(VALU_DEP_2) | instskip(NEXT) | instid1(VALU_DEP_1)
	v_lshrrev_b32_e32 v4, s57, v4
	v_and_b32_e32 v4, s39, v4
	s_delay_alu instid0(VALU_DEP_1) | instskip(SKIP_2) | instid1(SALU_CYCLE_1)
	v_lshl_or_b32 v4, v4, 4, v5
	ds_add_u32 v4, v92
	s_or_b32 exec_lo, exec_lo, s0
	s_mov_b32 s0, exec_lo
	v_cmpx_lt_u32_e64 v63, v21
	s_cbranch_execz .LBB637_613
	s_branch .LBB637_669
.LBB637_654:                            ;   in Loop: Header=BB637_614 Depth=2
	s_or_b32 exec_lo, exec_lo, s0
	s_delay_alu instid0(SALU_CYCLE_1)
	s_mov_b32 s0, exec_lo
	v_cmpx_lt_u32_e64 v45, v21
	s_cbranch_execz .LBB637_640
.LBB637_655:                            ;   in Loop: Header=BB637_614 Depth=2
	v_xor_b32_e32 v4, 0x80000000, v18
	v_lshlrev_b32_e32 v5, 2, v48
	s_delay_alu instid0(VALU_DEP_2) | instskip(NEXT) | instid1(VALU_DEP_1)
	v_lshrrev_b32_e32 v4, s57, v4
	v_and_b32_e32 v4, s39, v4
	s_delay_alu instid0(VALU_DEP_1) | instskip(SKIP_2) | instid1(SALU_CYCLE_1)
	v_lshl_or_b32 v4, v4, 4, v5
	ds_add_u32 v4, v92
	s_or_b32 exec_lo, exec_lo, s0
	s_mov_b32 s0, exec_lo
	v_cmpx_lt_u32_e64 v46, v21
	s_cbranch_execnz .LBB637_641
.LBB637_656:                            ;   in Loop: Header=BB637_614 Depth=2
	s_or_b32 exec_lo, exec_lo, s0
	s_delay_alu instid0(SALU_CYCLE_1)
	s_mov_b32 s0, exec_lo
	v_cmpx_lt_u32_e64 v47, v21
	s_cbranch_execz .LBB637_642
.LBB637_657:                            ;   in Loop: Header=BB637_614 Depth=2
	v_xor_b32_e32 v4, 0x80000000, v16
	v_lshlrev_b32_e32 v5, 2, v48
	s_delay_alu instid0(VALU_DEP_2) | instskip(NEXT) | instid1(VALU_DEP_1)
	v_lshrrev_b32_e32 v4, s57, v4
	v_and_b32_e32 v4, s39, v4
	s_delay_alu instid0(VALU_DEP_1) | instskip(SKIP_2) | instid1(SALU_CYCLE_1)
	v_lshl_or_b32 v4, v4, 4, v5
	ds_add_u32 v4, v92
	s_or_b32 exec_lo, exec_lo, s0
	s_mov_b32 s0, exec_lo
	v_cmpx_lt_u32_e64 v51, v21
	s_cbranch_execnz .LBB637_643
.LBB637_658:                            ;   in Loop: Header=BB637_614 Depth=2
	s_or_b32 exec_lo, exec_lo, s0
	s_delay_alu instid0(SALU_CYCLE_1)
	s_mov_b32 s0, exec_lo
	v_cmpx_lt_u32_e64 v52, v21
	s_cbranch_execz .LBB637_644
.LBB637_659:                            ;   in Loop: Header=BB637_614 Depth=2
	v_xor_b32_e32 v4, 0x80000000, v14
	v_lshlrev_b32_e32 v5, 2, v48
	s_delay_alu instid0(VALU_DEP_2) | instskip(NEXT) | instid1(VALU_DEP_1)
	v_lshrrev_b32_e32 v4, s57, v4
	v_and_b32_e32 v4, s39, v4
	s_delay_alu instid0(VALU_DEP_1) | instskip(SKIP_2) | instid1(SALU_CYCLE_1)
	v_lshl_or_b32 v4, v4, 4, v5
	ds_add_u32 v4, v92
	s_or_b32 exec_lo, exec_lo, s0
	s_mov_b32 s0, exec_lo
	v_cmpx_lt_u32_e64 v53, v21
	s_cbranch_execnz .LBB637_645
.LBB637_660:                            ;   in Loop: Header=BB637_614 Depth=2
	s_or_b32 exec_lo, exec_lo, s0
	s_delay_alu instid0(SALU_CYCLE_1)
	s_mov_b32 s0, exec_lo
	v_cmpx_lt_u32_e64 v54, v21
	s_cbranch_execz .LBB637_646
.LBB637_661:                            ;   in Loop: Header=BB637_614 Depth=2
	v_xor_b32_e32 v4, 0x80000000, v12
	v_lshlrev_b32_e32 v5, 2, v48
	s_delay_alu instid0(VALU_DEP_2) | instskip(NEXT) | instid1(VALU_DEP_1)
	v_lshrrev_b32_e32 v4, s57, v4
	v_and_b32_e32 v4, s39, v4
	s_delay_alu instid0(VALU_DEP_1) | instskip(SKIP_2) | instid1(SALU_CYCLE_1)
	v_lshl_or_b32 v4, v4, 4, v5
	ds_add_u32 v4, v92
	s_or_b32 exec_lo, exec_lo, s0
	s_mov_b32 s0, exec_lo
	v_cmpx_lt_u32_e64 v55, v21
	s_cbranch_execnz .LBB637_647
.LBB637_662:                            ;   in Loop: Header=BB637_614 Depth=2
	s_or_b32 exec_lo, exec_lo, s0
	s_delay_alu instid0(SALU_CYCLE_1)
	s_mov_b32 s0, exec_lo
	v_cmpx_lt_u32_e64 v56, v21
	s_cbranch_execz .LBB637_648
.LBB637_663:                            ;   in Loop: Header=BB637_614 Depth=2
	v_xor_b32_e32 v4, 0x80000000, v10
	v_lshlrev_b32_e32 v5, 2, v48
	s_delay_alu instid0(VALU_DEP_2) | instskip(NEXT) | instid1(VALU_DEP_1)
	v_lshrrev_b32_e32 v4, s57, v4
	v_and_b32_e32 v4, s39, v4
	s_delay_alu instid0(VALU_DEP_1) | instskip(SKIP_2) | instid1(SALU_CYCLE_1)
	v_lshl_or_b32 v4, v4, 4, v5
	ds_add_u32 v4, v92
	s_or_b32 exec_lo, exec_lo, s0
	s_mov_b32 s0, exec_lo
	v_cmpx_lt_u32_e64 v57, v21
	s_cbranch_execnz .LBB637_649
.LBB637_664:                            ;   in Loop: Header=BB637_614 Depth=2
	s_or_b32 exec_lo, exec_lo, s0
	s_delay_alu instid0(SALU_CYCLE_1)
	s_mov_b32 s0, exec_lo
	v_cmpx_lt_u32_e64 v58, v21
	s_cbranch_execz .LBB637_650
.LBB637_665:                            ;   in Loop: Header=BB637_614 Depth=2
	v_xor_b32_e32 v4, 0x80000000, v8
	v_lshlrev_b32_e32 v5, 2, v48
	s_delay_alu instid0(VALU_DEP_2) | instskip(NEXT) | instid1(VALU_DEP_1)
	v_lshrrev_b32_e32 v4, s57, v4
	v_and_b32_e32 v4, s39, v4
	s_delay_alu instid0(VALU_DEP_1) | instskip(SKIP_2) | instid1(SALU_CYCLE_1)
	v_lshl_or_b32 v4, v4, 4, v5
	ds_add_u32 v4, v92
	s_or_b32 exec_lo, exec_lo, s0
	s_mov_b32 s0, exec_lo
	v_cmpx_lt_u32_e64 v59, v21
	s_cbranch_execnz .LBB637_651
.LBB637_666:                            ;   in Loop: Header=BB637_614 Depth=2
	s_or_b32 exec_lo, exec_lo, s0
	s_delay_alu instid0(SALU_CYCLE_1)
	s_mov_b32 s0, exec_lo
	v_cmpx_lt_u32_e64 v60, v21
	s_cbranch_execz .LBB637_652
.LBB637_667:                            ;   in Loop: Header=BB637_614 Depth=2
	v_xor_b32_e32 v4, 0x80000000, v6
	v_lshlrev_b32_e32 v5, 2, v48
	s_delay_alu instid0(VALU_DEP_2) | instskip(NEXT) | instid1(VALU_DEP_1)
	v_lshrrev_b32_e32 v4, s57, v4
	v_and_b32_e32 v4, s39, v4
	s_delay_alu instid0(VALU_DEP_1) | instskip(SKIP_2) | instid1(SALU_CYCLE_1)
	v_lshl_or_b32 v4, v4, 4, v5
	ds_add_u32 v4, v92
	s_or_b32 exec_lo, exec_lo, s0
	s_mov_b32 s0, exec_lo
	v_cmpx_lt_u32_e64 v61, v21
	s_cbranch_execnz .LBB637_653
.LBB637_668:                            ;   in Loop: Header=BB637_614 Depth=2
	s_or_b32 exec_lo, exec_lo, s0
	s_delay_alu instid0(SALU_CYCLE_1)
	s_mov_b32 s0, exec_lo
	v_cmpx_lt_u32_e64 v63, v21
	s_cbranch_execz .LBB637_613
.LBB637_669:                            ;   in Loop: Header=BB637_614 Depth=2
	s_waitcnt vmcnt(0)
	v_xor_b32_e32 v4, 0x80000000, v20
	v_lshlrev_b32_e32 v5, 2, v48
	s_delay_alu instid0(VALU_DEP_2) | instskip(NEXT) | instid1(VALU_DEP_1)
	v_lshrrev_b32_e32 v4, s57, v4
	v_and_b32_e32 v4, s39, v4
	s_delay_alu instid0(VALU_DEP_1)
	v_lshl_or_b32 v4, v4, 4, v5
	ds_add_u32 v4, v92
	s_branch .LBB637_613
.LBB637_670:                            ;   in Loop: Header=BB637_614 Depth=2
	s_or_b32 exec_lo, exec_lo, s11
	s_delay_alu instid0(SALU_CYCLE_1)
	s_mov_b32 s11, exec_lo
	v_cmpx_gt_u32_e64 s8, v45
	s_cbranch_execz .LBB637_620
.LBB637_671:                            ;   in Loop: Header=BB637_614 Depth=2
	global_load_b32 v18, v93, s[0:1] offset:1024
	s_or_b32 exec_lo, exec_lo, s11
	s_delay_alu instid0(SALU_CYCLE_1)
	s_mov_b32 s11, exec_lo
	v_cmpx_gt_u32_e64 s8, v46
	s_cbranch_execnz .LBB637_621
.LBB637_672:                            ;   in Loop: Header=BB637_614 Depth=2
	s_or_b32 exec_lo, exec_lo, s11
	s_delay_alu instid0(SALU_CYCLE_1)
	s_mov_b32 s11, exec_lo
	v_cmpx_gt_u32_e64 s8, v47
	s_cbranch_execz .LBB637_622
.LBB637_673:                            ;   in Loop: Header=BB637_614 Depth=2
	global_load_b32 v16, v93, s[0:1] offset:3072
	s_or_b32 exec_lo, exec_lo, s11
	s_delay_alu instid0(SALU_CYCLE_1)
	s_mov_b32 s11, exec_lo
	v_cmpx_gt_u32_e64 s8, v51
	s_cbranch_execnz .LBB637_623
.LBB637_674:                            ;   in Loop: Header=BB637_614 Depth=2
	s_or_b32 exec_lo, exec_lo, s11
	s_delay_alu instid0(SALU_CYCLE_1)
	s_mov_b32 s11, exec_lo
	v_cmpx_gt_u32_e64 s8, v52
	s_cbranch_execz .LBB637_624
.LBB637_675:                            ;   in Loop: Header=BB637_614 Depth=2
	global_load_b32 v14, v95, s[0:1]
	s_or_b32 exec_lo, exec_lo, s11
	s_delay_alu instid0(SALU_CYCLE_1)
	s_mov_b32 s11, exec_lo
	v_cmpx_gt_u32_e64 s8, v53
	s_cbranch_execnz .LBB637_625
.LBB637_676:                            ;   in Loop: Header=BB637_614 Depth=2
	s_or_b32 exec_lo, exec_lo, s11
	s_delay_alu instid0(SALU_CYCLE_1)
	s_mov_b32 s11, exec_lo
	v_cmpx_gt_u32_e64 s8, v54
	s_cbranch_execz .LBB637_626
.LBB637_677:                            ;   in Loop: Header=BB637_614 Depth=2
	global_load_b32 v12, v97, s[0:1]
	s_or_b32 exec_lo, exec_lo, s11
	s_delay_alu instid0(SALU_CYCLE_1)
	s_mov_b32 s11, exec_lo
	v_cmpx_gt_u32_e64 s8, v55
	s_cbranch_execnz .LBB637_627
.LBB637_678:                            ;   in Loop: Header=BB637_614 Depth=2
	s_or_b32 exec_lo, exec_lo, s11
	s_delay_alu instid0(SALU_CYCLE_1)
	s_mov_b32 s11, exec_lo
	v_cmpx_gt_u32_e64 s8, v56
	s_cbranch_execz .LBB637_628
.LBB637_679:                            ;   in Loop: Header=BB637_614 Depth=2
	global_load_b32 v10, v99, s[0:1]
	s_or_b32 exec_lo, exec_lo, s11
	s_delay_alu instid0(SALU_CYCLE_1)
	s_mov_b32 s11, exec_lo
	v_cmpx_gt_u32_e64 s8, v57
	s_cbranch_execnz .LBB637_629
.LBB637_680:                            ;   in Loop: Header=BB637_614 Depth=2
	s_or_b32 exec_lo, exec_lo, s11
	s_delay_alu instid0(SALU_CYCLE_1)
	s_mov_b32 s11, exec_lo
	v_cmpx_gt_u32_e64 s8, v58
	s_cbranch_execz .LBB637_630
.LBB637_681:                            ;   in Loop: Header=BB637_614 Depth=2
	global_load_b32 v8, v101, s[0:1]
	s_or_b32 exec_lo, exec_lo, s11
	s_delay_alu instid0(SALU_CYCLE_1)
	s_mov_b32 s11, exec_lo
	v_cmpx_gt_u32_e64 s8, v59
	s_cbranch_execnz .LBB637_631
.LBB637_682:                            ;   in Loop: Header=BB637_614 Depth=2
	s_or_b32 exec_lo, exec_lo, s11
	s_delay_alu instid0(SALU_CYCLE_1)
	s_mov_b32 s11, exec_lo
	v_cmpx_gt_u32_e64 s8, v60
	s_cbranch_execz .LBB637_632
.LBB637_683:                            ;   in Loop: Header=BB637_614 Depth=2
	global_load_b32 v6, v103, s[0:1]
	s_or_b32 exec_lo, exec_lo, s11
	s_delay_alu instid0(SALU_CYCLE_1)
	s_mov_b32 s11, exec_lo
	v_cmpx_gt_u32_e64 s8, v61
	s_cbranch_execz .LBB637_634
	s_branch .LBB637_633
.LBB637_684:                            ;   in Loop: Header=BB637_20 Depth=1
	v_mov_b32_e32 v2, 0
	s_waitcnt vmcnt(0) lgkmcnt(0)
	s_barrier
	buffer_gl0_inv
	s_and_saveexec_b32 s0, s2
	s_cbranch_execz .LBB637_686
; %bb.685:                              ;   in Loop: Header=BB637_20 Depth=1
	ds_load_2addr_b64 v[4:7], v64 offset1:1
	s_waitcnt lgkmcnt(0)
	v_add_nc_u32_e32 v2, v5, v4
	s_delay_alu instid0(VALU_DEP_1)
	v_add3_u32 v2, v2, v6, v7
.LBB637_686:                            ;   in Loop: Header=BB637_20 Depth=1
	s_or_b32 exec_lo, exec_lo, s0
	v_and_b32_e32 v4, 15, v106
	s_delay_alu instid0(VALU_DEP_2) | instskip(SKIP_1) | instid1(VALU_DEP_3)
	v_mov_b32_dpp v5, v2 row_shr:1 row_mask:0xf bank_mask:0xf
	v_and_b32_e32 v6, 16, v106
	v_cmp_eq_u32_e64 s0, 0, v4
	v_cmp_lt_u32_e64 s1, 1, v4
	v_cmp_lt_u32_e64 s8, 3, v4
	;; [unrolled: 1-line block ×3, first 2 shown]
	v_cmp_eq_u32_e64 s10, 0, v6
	v_cndmask_b32_e64 v5, v5, 0, s0
	s_delay_alu instid0(VALU_DEP_1) | instskip(NEXT) | instid1(VALU_DEP_1)
	v_add_nc_u32_e32 v2, v5, v2
	v_mov_b32_dpp v5, v2 row_shr:2 row_mask:0xf bank_mask:0xf
	s_delay_alu instid0(VALU_DEP_1) | instskip(NEXT) | instid1(VALU_DEP_1)
	v_cndmask_b32_e64 v5, 0, v5, s1
	v_add_nc_u32_e32 v2, v2, v5
	s_delay_alu instid0(VALU_DEP_1) | instskip(NEXT) | instid1(VALU_DEP_1)
	v_mov_b32_dpp v5, v2 row_shr:4 row_mask:0xf bank_mask:0xf
	v_cndmask_b32_e64 v5, 0, v5, s8
	s_delay_alu instid0(VALU_DEP_1) | instskip(NEXT) | instid1(VALU_DEP_1)
	v_add_nc_u32_e32 v2, v2, v5
	v_mov_b32_dpp v5, v2 row_shr:8 row_mask:0xf bank_mask:0xf
	s_delay_alu instid0(VALU_DEP_1) | instskip(SKIP_1) | instid1(VALU_DEP_2)
	v_cndmask_b32_e64 v4, 0, v5, s9
	v_bfe_i32 v5, v106, 4, 1
	v_add_nc_u32_e32 v2, v2, v4
	ds_swizzle_b32 v4, v2 offset:swizzle(BROADCAST,32,15)
	s_waitcnt lgkmcnt(0)
	v_and_b32_e32 v4, v5, v4
	s_delay_alu instid0(VALU_DEP_1)
	v_add_nc_u32_e32 v4, v2, v4
	s_and_saveexec_b32 s11, s3
	s_cbranch_execz .LBB637_688
; %bb.687:                              ;   in Loop: Header=BB637_20 Depth=1
	ds_store_b32 v65, v4
.LBB637_688:                            ;   in Loop: Header=BB637_20 Depth=1
	s_or_b32 exec_lo, exec_lo, s11
	v_and_b32_e32 v2, 7, v106
	s_waitcnt lgkmcnt(0)
	s_barrier
	buffer_gl0_inv
	s_and_saveexec_b32 s11, s4
	s_cbranch_execz .LBB637_690
; %bb.689:                              ;   in Loop: Header=BB637_20 Depth=1
	ds_load_b32 v5, v66
	v_cmp_ne_u32_e32 vcc_lo, 0, v2
	s_waitcnt lgkmcnt(0)
	v_mov_b32_dpp v6, v5 row_shr:1 row_mask:0xf bank_mask:0xf
	s_delay_alu instid0(VALU_DEP_1) | instskip(SKIP_1) | instid1(VALU_DEP_2)
	v_cndmask_b32_e32 v6, 0, v6, vcc_lo
	v_cmp_lt_u32_e32 vcc_lo, 1, v2
	v_add_nc_u32_e32 v5, v6, v5
	s_delay_alu instid0(VALU_DEP_1) | instskip(NEXT) | instid1(VALU_DEP_1)
	v_mov_b32_dpp v6, v5 row_shr:2 row_mask:0xf bank_mask:0xf
	v_cndmask_b32_e32 v6, 0, v6, vcc_lo
	v_cmp_lt_u32_e32 vcc_lo, 3, v2
	s_delay_alu instid0(VALU_DEP_2) | instskip(NEXT) | instid1(VALU_DEP_1)
	v_add_nc_u32_e32 v5, v5, v6
	v_mov_b32_dpp v6, v5 row_shr:4 row_mask:0xf bank_mask:0xf
	s_delay_alu instid0(VALU_DEP_1) | instskip(NEXT) | instid1(VALU_DEP_1)
	v_cndmask_b32_e32 v6, 0, v6, vcc_lo
	v_add_nc_u32_e32 v5, v5, v6
	ds_store_b32 v66, v5
.LBB637_690:                            ;   in Loop: Header=BB637_20 Depth=1
	s_or_b32 exec_lo, exec_lo, s11
	v_mov_b32_e32 v5, 0
	s_waitcnt lgkmcnt(0)
	s_barrier
	buffer_gl0_inv
	s_and_saveexec_b32 s11, s5
	s_cbranch_execz .LBB637_692
; %bb.691:                              ;   in Loop: Header=BB637_20 Depth=1
	ds_load_b32 v5, v67
.LBB637_692:                            ;   in Loop: Header=BB637_20 Depth=1
	s_or_b32 exec_lo, exec_lo, s11
	v_add_nc_u32_e32 v6, -1, v106
	s_waitcnt lgkmcnt(0)
	v_add_nc_u32_e32 v4, v5, v4
	v_cmp_eq_u32_e64 s11, 0, v106
	s_barrier
	v_cmp_gt_i32_e32 vcc_lo, 0, v6
	buffer_gl0_inv
	v_cndmask_b32_e32 v6, v6, v106, vcc_lo
	s_delay_alu instid0(VALU_DEP_1)
	v_lshlrev_b32_e32 v107, 2, v6
	ds_bpermute_b32 v4, v107, v4
	s_and_saveexec_b32 s12, s2
	s_cbranch_execz .LBB637_694
; %bb.693:                              ;   in Loop: Header=BB637_20 Depth=1
	s_waitcnt lgkmcnt(0)
	v_cndmask_b32_e64 v4, v4, v5, s11
	s_delay_alu instid0(VALU_DEP_1)
	v_add_nc_u32_e32 v4, s60, v4
	ds_store_b32 v44, v4
.LBB637_694:                            ;   in Loop: Header=BB637_20 Depth=1
	s_or_b32 exec_lo, exec_lo, s12
	s_load_b64 s[12:13], s[36:37], 0x0
	v_lshlrev_b32_e32 v5, 3, v106
	v_or_b32_e32 v108, v106, v68
	s_mov_b32 s40, s62
	s_mov_b32 s34, s60
                                        ; implicit-def: $vgpr8_vgpr9
                                        ; implicit-def: $vgpr10_vgpr11
                                        ; implicit-def: $vgpr12_vgpr13
                                        ; implicit-def: $vgpr14_vgpr15
                                        ; implicit-def: $vgpr16_vgpr17
                                        ; implicit-def: $vgpr18_vgpr19
                                        ; implicit-def: $vgpr20_vgpr21
                                        ; implicit-def: $vgpr22_vgpr23
                                        ; implicit-def: $vgpr24_vgpr25
                                        ; implicit-def: $vgpr26_vgpr27
                                        ; implicit-def: $vgpr28_vgpr29
                                        ; implicit-def: $vgpr30_vgpr31
                                        ; implicit-def: $vgpr32_vgpr33
                                        ; implicit-def: $vgpr34_vgpr35
                                        ; implicit-def: $vgpr131
                                        ; implicit-def: $vgpr132
                                        ; implicit-def: $vgpr133
                                        ; implicit-def: $vgpr134
                                        ; implicit-def: $vgpr135
                                        ; implicit-def: $vgpr136
                                        ; implicit-def: $vgpr137
                                        ; implicit-def: $vgpr138
                                        ; implicit-def: $vgpr139
                                        ; implicit-def: $vgpr140
                                        ; implicit-def: $vgpr141
                                        ; implicit-def: $vgpr142
                                        ; implicit-def: $vgpr143
                                        ; implicit-def: $vgpr144
                                        ; implicit-def: $vgpr145
                                        ; implicit-def: $vgpr146
	s_delay_alu instid0(VALU_DEP_2)
	v_add_co_u32 v109, vcc_lo, v88, v5
	v_add_co_ci_u32_e32 v110, vcc_lo, 0, v89, vcc_lo
	v_or_b32_e32 v111, 32, v108
	v_or_b32_e32 v112, 64, v108
	v_or_b32_e32 v113, 0x60, v108
	v_or_b32_e32 v114, 0x80, v108
	v_or_b32_e32 v115, 0xa0, v108
	v_or_b32_e32 v116, 0xc0, v108
	v_or_b32_e32 v117, 0xe0, v108
	v_or_b32_e32 v118, 0x100, v108
	v_or_b32_e32 v119, 0x120, v108
	v_or_b32_e32 v120, 0x140, v108
	s_waitcnt lgkmcnt(0)
	s_cmp_lt_u32 s15, s13
	v_or_b32_e32 v121, 0x160, v108
	s_cselect_b32 s13, 14, 20
	v_or_b32_e32 v122, 0x180, v108
	s_add_u32 s16, s36, s13
	s_addc_u32 s17, s37, 0
	s_cmp_lt_u32 s14, s12
	global_load_u16 v4, v3, s[16:17]
	s_cselect_b32 s12, 12, 18
	v_or_b32_e32 v123, 0x1a0, v108
	s_add_u32 s12, s36, s12
	s_addc_u32 s13, s37, 0
	v_or_b32_e32 v124, 0x1c0, v108
	global_load_u16 v6, v3, s[12:13]
	v_cmp_eq_u32_e64 s12, 0, v2
	v_cmp_lt_u32_e64 s13, 1, v2
	v_cmp_lt_u32_e64 s16, 3, v2
	v_lshlrev_b32_e32 v2, 2, v106
	v_or_b32_e32 v125, 0x1e0, v108
	s_delay_alu instid0(VALU_DEP_2) | instskip(SKIP_1) | instid1(VALU_DEP_2)
	v_add_co_u32 v126, vcc_lo, v90, v2
	v_add_co_ci_u32_e32 v127, vcc_lo, 0, v91, vcc_lo
	v_add_co_u32 v129, vcc_lo, 0x780, v126
	s_delay_alu instid0(VALU_DEP_2) | instskip(SKIP_3) | instid1(VALU_DEP_1)
	v_add_co_ci_u32_e32 v130, vcc_lo, 0, v127, vcc_lo
	s_waitcnt vmcnt(1)
	v_mad_u32_u24 v7, v69, v4, v0
	s_waitcnt vmcnt(0)
	v_mad_u64_u32 v[4:5], null, v7, v6, v[1:2]
                                        ; implicit-def: $vgpr6_vgpr7
	s_delay_alu instid0(VALU_DEP_1)
	v_lshrrev_b32_e32 v128, 5, v4
                                        ; implicit-def: $vgpr4_vgpr5
	s_branch .LBB637_696
.LBB637_695:                            ;   in Loop: Header=BB637_696 Depth=2
	s_or_b32 exec_lo, exec_lo, s17
	s_addk_i32 s40, 0xf000
	s_cmp_lt_u32 s41, s61
	s_mov_b32 s34, s41
	s_cbranch_scc0 .LBB637_904
.LBB637_696:                            ;   Parent Loop BB637_20 Depth=1
                                        ; =>  This Inner Loop Header: Depth=2
	s_add_i32 s41, s34, 0x1000
	s_delay_alu instid0(SALU_CYCLE_1)
	s_cmp_gt_u32 s41, s61
	s_cbranch_scc1 .LBB637_699
; %bb.697:                              ;   in Loop: Header=BB637_696 Depth=2
	s_mov_b32 s19, 0
	s_mov_b32 s18, s34
	s_movk_i32 s17, 0x1000
	s_lshl_b64 s[20:21], s[18:19], 2
	s_delay_alu instid0(SALU_CYCLE_1)
	v_add_co_u32 v36, vcc_lo, v126, s20
	v_add_co_ci_u32_e32 v37, vcc_lo, s21, v127, vcc_lo
	s_mov_b32 s20, -1
	s_clause 0xe
	global_load_b32 v2, v[36:37], off
	global_load_b32 v148, v[36:37], off offset:128
	global_load_b32 v151, v[36:37], off offset:256
	global_load_b32 v155, v[36:37], off offset:384
	global_load_b32 v159, v[36:37], off offset:512
	global_load_b32 v163, v[36:37], off offset:640
	global_load_b32 v167, v[36:37], off offset:768
	global_load_b32 v172, v[36:37], off offset:896
	global_load_b32 v171, v[36:37], off offset:1024
	global_load_b32 v43, v[36:37], off offset:1152
	global_load_b32 v42, v[36:37], off offset:1280
	global_load_b32 v41, v[36:37], off offset:1408
	global_load_b32 v40, v[36:37], off offset:1536
	global_load_b32 v39, v[36:37], off offset:1664
	global_load_b32 v38, v[36:37], off offset:1792
	s_cbranch_execz .LBB637_700
; %bb.698:                              ;   in Loop: Header=BB637_696 Depth=2
                                        ; implicit-def: $sgpr21
	v_dual_mov_b32 v36, s21 :: v_dual_mov_b32 v147, s40
	s_and_saveexec_b32 s21, s20
	s_cbranch_execnz .LBB637_731
	s_branch .LBB637_732
.LBB637_699:                            ;   in Loop: Header=BB637_696 Depth=2
	s_mov_b32 s19, -1
	s_mov_b32 s20, 0
                                        ; implicit-def: $sgpr17
                                        ; implicit-def: $vgpr2
                                        ; implicit-def: $vgpr148
                                        ; implicit-def: $vgpr151
                                        ; implicit-def: $vgpr155
                                        ; implicit-def: $vgpr159
                                        ; implicit-def: $vgpr163
                                        ; implicit-def: $vgpr167
                                        ; implicit-def: $vgpr172
                                        ; implicit-def: $vgpr171
                                        ; implicit-def: $vgpr43
                                        ; implicit-def: $vgpr42
                                        ; implicit-def: $vgpr41
                                        ; implicit-def: $vgpr40
                                        ; implicit-def: $vgpr39
                                        ; implicit-def: $vgpr38
.LBB637_700:                            ;   in Loop: Header=BB637_696 Depth=2
	s_lshl_b64 s[18:19], s[34:35], 2
	s_waitcnt vmcnt(13)
	v_bfrev_b32_e32 v148, -2
	v_add_co_u32 v36, vcc_lo, v126, s18
	v_add_co_ci_u32_e32 v37, vcc_lo, s19, v127, vcc_lo
	v_bfrev_b32_e32 v2, -2
	s_mov_b32 s17, exec_lo
	v_cmpx_gt_u32_e64 s40, v108
	s_cbranch_execz .LBB637_702
; %bb.701:                              ;   in Loop: Header=BB637_696 Depth=2
	global_load_b32 v2, v[36:37], off
.LBB637_702:                            ;   in Loop: Header=BB637_696 Depth=2
	s_or_b32 exec_lo, exec_lo, s17
	s_delay_alu instid0(SALU_CYCLE_1)
	s_mov_b32 s17, exec_lo
	v_cmpx_gt_u32_e64 s40, v111
	s_cbranch_execz .LBB637_704
; %bb.703:                              ;   in Loop: Header=BB637_696 Depth=2
	global_load_b32 v148, v[36:37], off offset:128
.LBB637_704:                            ;   in Loop: Header=BB637_696 Depth=2
	s_or_b32 exec_lo, exec_lo, s17
	s_waitcnt vmcnt(11)
	v_bfrev_b32_e32 v155, -2
	v_bfrev_b32_e32 v151, -2
	s_mov_b32 s17, exec_lo
	v_cmpx_gt_u32_e64 s40, v112
	s_cbranch_execz .LBB637_706
; %bb.705:                              ;   in Loop: Header=BB637_696 Depth=2
	global_load_b32 v151, v[36:37], off offset:256
.LBB637_706:                            ;   in Loop: Header=BB637_696 Depth=2
	s_or_b32 exec_lo, exec_lo, s17
	s_delay_alu instid0(SALU_CYCLE_1)
	s_mov_b32 s17, exec_lo
	v_cmpx_gt_u32_e64 s40, v113
	s_cbranch_execz .LBB637_708
; %bb.707:                              ;   in Loop: Header=BB637_696 Depth=2
	global_load_b32 v155, v[36:37], off offset:384
.LBB637_708:                            ;   in Loop: Header=BB637_696 Depth=2
	s_or_b32 exec_lo, exec_lo, s17
	s_waitcnt vmcnt(9)
	v_bfrev_b32_e32 v163, -2
	v_bfrev_b32_e32 v159, -2
	s_mov_b32 s17, exec_lo
	v_cmpx_gt_u32_e64 s40, v114
	s_cbranch_execz .LBB637_710
; %bb.709:                              ;   in Loop: Header=BB637_696 Depth=2
	global_load_b32 v159, v[36:37], off offset:512
.LBB637_710:                            ;   in Loop: Header=BB637_696 Depth=2
	;; [unrolled: 18-line block ×6, first 2 shown]
	s_or_b32 exec_lo, exec_lo, s17
	s_delay_alu instid0(SALU_CYCLE_1)
	s_mov_b32 s17, exec_lo
	v_cmpx_gt_u32_e64 s40, v123
	s_cbranch_execz .LBB637_728
; %bb.727:                              ;   in Loop: Header=BB637_696 Depth=2
	global_load_b32 v39, v[36:37], off offset:1664
.LBB637_728:                            ;   in Loop: Header=BB637_696 Depth=2
	s_or_b32 exec_lo, exec_lo, s17
	s_waitcnt vmcnt(0)
	v_bfrev_b32_e32 v38, -2
	s_mov_b32 s17, exec_lo
	v_cmpx_gt_u32_e64 s40, v124
	s_cbranch_execz .LBB637_730
; %bb.729:                              ;   in Loop: Header=BB637_696 Depth=2
	global_load_b32 v38, v[36:37], off offset:1792
.LBB637_730:                            ;   in Loop: Header=BB637_696 Depth=2
	s_or_b32 exec_lo, exec_lo, s17
	v_cmp_gt_u32_e64 s20, s40, v125
	s_sub_i32 s17, s61, s34
	s_brev_b32 s21, -2
	s_mov_b64 s[18:19], s[34:35]
	v_dual_mov_b32 v36, s21 :: v_dual_mov_b32 v147, s40
	s_and_saveexec_b32 s21, s20
	s_cbranch_execz .LBB637_732
.LBB637_731:                            ;   in Loop: Header=BB637_696 Depth=2
	s_lshl_b64 s[18:19], s[18:19], 2
	v_mov_b32_e32 v147, s17
	v_add_co_u32 v36, vcc_lo, v129, s18
	v_add_co_ci_u32_e32 v37, vcc_lo, s19, v130, vcc_lo
	global_load_b32 v36, v[36:37], off
.LBB637_732:                            ;   in Loop: Header=BB637_696 Depth=2
	s_or_b32 exec_lo, exec_lo, s21
	s_waitcnt vmcnt(14)
	v_xor_b32_e32 v2, 0x80000000, v2
	ds_store_b32 v70, v3 offset:1056
	ds_store_2addr_b32 v71, v3, v3 offset0:1 offset1:2
	ds_store_2addr_b32 v71, v3, v3 offset0:3 offset1:4
	;; [unrolled: 1-line block ×4, first 2 shown]
	s_waitcnt vmcnt(0) lgkmcnt(0)
	s_barrier
	v_lshrrev_b32_e32 v37, s57, v2
	buffer_gl0_inv
	; wave barrier
	v_and_b32_e32 v150, s39, v37
	s_delay_alu instid0(VALU_DEP_1)
	v_and_b32_e32 v37, 1, v150
	v_lshlrev_b32_e32 v149, 30, v150
	v_lshlrev_b32_e32 v152, 29, v150
	;; [unrolled: 1-line block ×4, first 2 shown]
	v_add_co_u32 v37, s17, v37, -1
	s_delay_alu instid0(VALU_DEP_1)
	v_cndmask_b32_e64 v154, 0, 1, s17
	v_not_b32_e32 v160, v149
	v_cmp_gt_i32_e64 s17, 0, v149
	v_not_b32_e32 v149, v152
	v_lshlrev_b32_e32 v157, 26, v150
	v_cmp_ne_u32_e32 vcc_lo, 0, v154
	v_ashrrev_i32_e32 v160, 31, v160
	v_lshlrev_b32_e32 v158, 25, v150
	v_ashrrev_i32_e32 v149, 31, v149
	v_lshlrev_b32_e32 v154, 24, v150
	v_xor_b32_e32 v37, vcc_lo, v37
	v_cmp_gt_i32_e32 vcc_lo, 0, v152
	v_not_b32_e32 v152, v153
	v_xor_b32_e32 v160, s17, v160
	v_cmp_gt_i32_e64 s17, 0, v153
	v_and_b32_e32 v37, exec_lo, v37
	v_not_b32_e32 v153, v156
	v_ashrrev_i32_e32 v152, 31, v152
	v_xor_b32_e32 v149, vcc_lo, v149
	v_cmp_gt_i32_e32 vcc_lo, 0, v156
	v_and_b32_e32 v37, v37, v160
	v_not_b32_e32 v156, v157
	v_ashrrev_i32_e32 v153, 31, v153
	v_xor_b32_e32 v152, s17, v152
	v_cmp_gt_i32_e64 s17, 0, v157
	v_and_b32_e32 v37, v37, v149
	v_not_b32_e32 v149, v158
	v_ashrrev_i32_e32 v156, 31, v156
	v_xor_b32_e32 v153, vcc_lo, v153
	v_cmp_gt_i32_e32 vcc_lo, 0, v158
	v_and_b32_e32 v37, v37, v152
	v_not_b32_e32 v152, v154
	v_ashrrev_i32_e32 v149, 31, v149
	v_xor_b32_e32 v156, s17, v156
	v_cmp_gt_i32_e64 s17, 0, v154
	v_and_b32_e32 v37, v37, v153
	v_ashrrev_i32_e32 v152, 31, v152
	v_xor_b32_e32 v149, vcc_lo, v149
	v_mad_u32_u24 v150, v150, 9, v128
	s_delay_alu instid0(VALU_DEP_4) | instskip(NEXT) | instid1(VALU_DEP_4)
	v_and_b32_e32 v37, v37, v156
	v_xor_b32_e32 v152, s17, v152
	s_delay_alu instid0(VALU_DEP_3) | instskip(NEXT) | instid1(VALU_DEP_3)
	v_lshl_add_u32 v150, v150, 2, 0x420
	v_and_b32_e32 v37, v37, v149
	s_delay_alu instid0(VALU_DEP_1) | instskip(NEXT) | instid1(VALU_DEP_1)
	v_and_b32_e32 v37, v37, v152
	v_mbcnt_lo_u32_b32 v149, v37, 0
	v_cmp_ne_u32_e64 s17, 0, v37
	s_delay_alu instid0(VALU_DEP_2) | instskip(NEXT) | instid1(VALU_DEP_2)
	v_cmp_eq_u32_e32 vcc_lo, 0, v149
	s_and_b32 s18, s17, vcc_lo
	s_delay_alu instid0(SALU_CYCLE_1)
	s_and_saveexec_b32 s17, s18
	s_cbranch_execz .LBB637_734
; %bb.733:                              ;   in Loop: Header=BB637_696 Depth=2
	v_bcnt_u32_b32 v37, v37, 0
	ds_store_b32 v150, v37
.LBB637_734:                            ;   in Loop: Header=BB637_696 Depth=2
	s_or_b32 exec_lo, exec_lo, s17
	v_xor_b32_e32 v148, 0x80000000, v148
	; wave barrier
	s_delay_alu instid0(VALU_DEP_1) | instskip(NEXT) | instid1(VALU_DEP_1)
	v_lshrrev_b32_e32 v37, s57, v148
	v_and_b32_e32 v37, s39, v37
	s_delay_alu instid0(VALU_DEP_1)
	v_and_b32_e32 v152, 1, v37
	v_lshlrev_b32_e32 v153, 30, v37
	v_lshlrev_b32_e32 v154, 29, v37
	;; [unrolled: 1-line block ×4, first 2 shown]
	v_add_co_u32 v152, s17, v152, -1
	s_delay_alu instid0(VALU_DEP_1)
	v_cndmask_b32_e64 v157, 0, 1, s17
	v_not_b32_e32 v162, v153
	v_cmp_gt_i32_e64 s17, 0, v153
	v_not_b32_e32 v153, v154
	v_lshlrev_b32_e32 v160, 26, v37
	v_cmp_ne_u32_e32 vcc_lo, 0, v157
	v_ashrrev_i32_e32 v162, 31, v162
	v_lshlrev_b32_e32 v161, 25, v37
	v_ashrrev_i32_e32 v153, 31, v153
	v_lshlrev_b32_e32 v157, 24, v37
	v_xor_b32_e32 v152, vcc_lo, v152
	v_cmp_gt_i32_e32 vcc_lo, 0, v154
	v_not_b32_e32 v154, v156
	v_xor_b32_e32 v162, s17, v162
	v_cmp_gt_i32_e64 s17, 0, v156
	v_and_b32_e32 v152, exec_lo, v152
	v_not_b32_e32 v156, v158
	v_ashrrev_i32_e32 v154, 31, v154
	v_xor_b32_e32 v153, vcc_lo, v153
	v_cmp_gt_i32_e32 vcc_lo, 0, v158
	v_and_b32_e32 v152, v152, v162
	v_not_b32_e32 v158, v160
	v_ashrrev_i32_e32 v156, 31, v156
	v_xor_b32_e32 v154, s17, v154
	v_cmp_gt_i32_e64 s17, 0, v160
	v_and_b32_e32 v152, v152, v153
	v_not_b32_e32 v153, v161
	v_ashrrev_i32_e32 v158, 31, v158
	v_xor_b32_e32 v156, vcc_lo, v156
	v_cmp_gt_i32_e32 vcc_lo, 0, v161
	v_and_b32_e32 v152, v152, v154
	v_not_b32_e32 v154, v157
	v_ashrrev_i32_e32 v153, 31, v153
	v_xor_b32_e32 v158, s17, v158
	v_mul_u32_u24_e32 v37, 9, v37
	v_and_b32_e32 v152, v152, v156
	v_cmp_gt_i32_e64 s17, 0, v157
	v_ashrrev_i32_e32 v154, 31, v154
	v_xor_b32_e32 v153, vcc_lo, v153
	v_add_lshl_u32 v156, v37, v128, 2
	v_and_b32_e32 v152, v152, v158
	s_delay_alu instid0(VALU_DEP_4) | instskip(NEXT) | instid1(VALU_DEP_3)
	v_xor_b32_e32 v37, s17, v154
	v_add_nc_u32_e32 v154, 0x420, v156
	s_delay_alu instid0(VALU_DEP_3) | instskip(SKIP_2) | instid1(VALU_DEP_1)
	v_and_b32_e32 v153, v152, v153
	ds_load_b32 v152, v156 offset:1056
	; wave barrier
	v_and_b32_e32 v37, v153, v37
	v_mbcnt_lo_u32_b32 v153, v37, 0
	v_cmp_ne_u32_e64 s17, 0, v37
	s_delay_alu instid0(VALU_DEP_2) | instskip(NEXT) | instid1(VALU_DEP_2)
	v_cmp_eq_u32_e32 vcc_lo, 0, v153
	s_and_b32 s18, s17, vcc_lo
	s_delay_alu instid0(SALU_CYCLE_1)
	s_and_saveexec_b32 s17, s18
	s_cbranch_execz .LBB637_736
; %bb.735:                              ;   in Loop: Header=BB637_696 Depth=2
	s_waitcnt lgkmcnt(0)
	v_bcnt_u32_b32 v37, v37, v152
	ds_store_b32 v154, v37
.LBB637_736:                            ;   in Loop: Header=BB637_696 Depth=2
	s_or_b32 exec_lo, exec_lo, s17
	v_xor_b32_e32 v151, 0x80000000, v151
	; wave barrier
	s_delay_alu instid0(VALU_DEP_1) | instskip(NEXT) | instid1(VALU_DEP_1)
	v_lshrrev_b32_e32 v37, s57, v151
	v_and_b32_e32 v37, s39, v37
	s_delay_alu instid0(VALU_DEP_1)
	v_and_b32_e32 v156, 1, v37
	v_lshlrev_b32_e32 v157, 30, v37
	v_lshlrev_b32_e32 v158, 29, v37
	;; [unrolled: 1-line block ×4, first 2 shown]
	v_add_co_u32 v156, s17, v156, -1
	s_delay_alu instid0(VALU_DEP_1)
	v_cndmask_b32_e64 v161, 0, 1, s17
	v_not_b32_e32 v166, v157
	v_cmp_gt_i32_e64 s17, 0, v157
	v_not_b32_e32 v157, v158
	v_lshlrev_b32_e32 v164, 26, v37
	v_cmp_ne_u32_e32 vcc_lo, 0, v161
	v_ashrrev_i32_e32 v166, 31, v166
	v_lshlrev_b32_e32 v165, 25, v37
	v_ashrrev_i32_e32 v157, 31, v157
	v_lshlrev_b32_e32 v161, 24, v37
	v_xor_b32_e32 v156, vcc_lo, v156
	v_cmp_gt_i32_e32 vcc_lo, 0, v158
	v_not_b32_e32 v158, v160
	v_xor_b32_e32 v166, s17, v166
	v_cmp_gt_i32_e64 s17, 0, v160
	v_and_b32_e32 v156, exec_lo, v156
	v_not_b32_e32 v160, v162
	v_ashrrev_i32_e32 v158, 31, v158
	v_xor_b32_e32 v157, vcc_lo, v157
	v_cmp_gt_i32_e32 vcc_lo, 0, v162
	v_and_b32_e32 v156, v156, v166
	v_not_b32_e32 v162, v164
	v_ashrrev_i32_e32 v160, 31, v160
	v_xor_b32_e32 v158, s17, v158
	v_cmp_gt_i32_e64 s17, 0, v164
	v_and_b32_e32 v156, v156, v157
	v_not_b32_e32 v157, v165
	v_ashrrev_i32_e32 v162, 31, v162
	v_xor_b32_e32 v160, vcc_lo, v160
	v_cmp_gt_i32_e32 vcc_lo, 0, v165
	v_and_b32_e32 v156, v156, v158
	v_not_b32_e32 v158, v161
	v_ashrrev_i32_e32 v157, 31, v157
	v_xor_b32_e32 v162, s17, v162
	v_mul_u32_u24_e32 v37, 9, v37
	v_and_b32_e32 v156, v156, v160
	v_cmp_gt_i32_e64 s17, 0, v161
	v_ashrrev_i32_e32 v158, 31, v158
	v_xor_b32_e32 v157, vcc_lo, v157
	v_add_lshl_u32 v160, v37, v128, 2
	v_and_b32_e32 v156, v156, v162
	s_delay_alu instid0(VALU_DEP_4) | instskip(NEXT) | instid1(VALU_DEP_3)
	v_xor_b32_e32 v37, s17, v158
	v_add_nc_u32_e32 v158, 0x420, v160
	s_delay_alu instid0(VALU_DEP_3) | instskip(SKIP_2) | instid1(VALU_DEP_1)
	v_and_b32_e32 v157, v156, v157
	ds_load_b32 v156, v160 offset:1056
	; wave barrier
	v_and_b32_e32 v37, v157, v37
	v_mbcnt_lo_u32_b32 v157, v37, 0
	v_cmp_ne_u32_e64 s17, 0, v37
	s_delay_alu instid0(VALU_DEP_2) | instskip(NEXT) | instid1(VALU_DEP_2)
	v_cmp_eq_u32_e32 vcc_lo, 0, v157
	s_and_b32 s18, s17, vcc_lo
	s_delay_alu instid0(SALU_CYCLE_1)
	s_and_saveexec_b32 s17, s18
	s_cbranch_execz .LBB637_738
; %bb.737:                              ;   in Loop: Header=BB637_696 Depth=2
	s_waitcnt lgkmcnt(0)
	v_bcnt_u32_b32 v37, v37, v156
	ds_store_b32 v158, v37
.LBB637_738:                            ;   in Loop: Header=BB637_696 Depth=2
	s_or_b32 exec_lo, exec_lo, s17
	v_xor_b32_e32 v155, 0x80000000, v155
	; wave barrier
	s_delay_alu instid0(VALU_DEP_1) | instskip(NEXT) | instid1(VALU_DEP_1)
	v_lshrrev_b32_e32 v37, s57, v155
	v_and_b32_e32 v37, s39, v37
	s_delay_alu instid0(VALU_DEP_1)
	v_and_b32_e32 v160, 1, v37
	v_lshlrev_b32_e32 v161, 30, v37
	v_lshlrev_b32_e32 v162, 29, v37
	;; [unrolled: 1-line block ×4, first 2 shown]
	v_add_co_u32 v160, s17, v160, -1
	s_delay_alu instid0(VALU_DEP_1)
	v_cndmask_b32_e64 v165, 0, 1, s17
	v_not_b32_e32 v170, v161
	v_cmp_gt_i32_e64 s17, 0, v161
	v_not_b32_e32 v161, v162
	v_lshlrev_b32_e32 v168, 26, v37
	v_cmp_ne_u32_e32 vcc_lo, 0, v165
	v_ashrrev_i32_e32 v170, 31, v170
	v_lshlrev_b32_e32 v169, 25, v37
	v_ashrrev_i32_e32 v161, 31, v161
	v_lshlrev_b32_e32 v165, 24, v37
	v_xor_b32_e32 v160, vcc_lo, v160
	v_cmp_gt_i32_e32 vcc_lo, 0, v162
	v_not_b32_e32 v162, v164
	v_xor_b32_e32 v170, s17, v170
	v_cmp_gt_i32_e64 s17, 0, v164
	v_and_b32_e32 v160, exec_lo, v160
	v_not_b32_e32 v164, v166
	v_ashrrev_i32_e32 v162, 31, v162
	v_xor_b32_e32 v161, vcc_lo, v161
	v_cmp_gt_i32_e32 vcc_lo, 0, v166
	v_and_b32_e32 v160, v160, v170
	v_not_b32_e32 v166, v168
	v_ashrrev_i32_e32 v164, 31, v164
	v_xor_b32_e32 v162, s17, v162
	v_cmp_gt_i32_e64 s17, 0, v168
	v_and_b32_e32 v160, v160, v161
	v_not_b32_e32 v161, v169
	v_ashrrev_i32_e32 v166, 31, v166
	v_xor_b32_e32 v164, vcc_lo, v164
	v_cmp_gt_i32_e32 vcc_lo, 0, v169
	v_and_b32_e32 v160, v160, v162
	v_not_b32_e32 v162, v165
	v_ashrrev_i32_e32 v161, 31, v161
	v_xor_b32_e32 v166, s17, v166
	v_mul_u32_u24_e32 v37, 9, v37
	v_and_b32_e32 v160, v160, v164
	v_cmp_gt_i32_e64 s17, 0, v165
	v_ashrrev_i32_e32 v162, 31, v162
	v_xor_b32_e32 v161, vcc_lo, v161
	v_add_lshl_u32 v164, v37, v128, 2
	v_and_b32_e32 v160, v160, v166
	s_delay_alu instid0(VALU_DEP_4) | instskip(NEXT) | instid1(VALU_DEP_3)
	v_xor_b32_e32 v37, s17, v162
	v_add_nc_u32_e32 v162, 0x420, v164
	s_delay_alu instid0(VALU_DEP_3) | instskip(SKIP_2) | instid1(VALU_DEP_1)
	v_and_b32_e32 v161, v160, v161
	ds_load_b32 v160, v164 offset:1056
	; wave barrier
	v_and_b32_e32 v37, v161, v37
	v_mbcnt_lo_u32_b32 v161, v37, 0
	v_cmp_ne_u32_e64 s17, 0, v37
	s_delay_alu instid0(VALU_DEP_2) | instskip(NEXT) | instid1(VALU_DEP_2)
	v_cmp_eq_u32_e32 vcc_lo, 0, v161
	s_and_b32 s18, s17, vcc_lo
	s_delay_alu instid0(SALU_CYCLE_1)
	s_and_saveexec_b32 s17, s18
	s_cbranch_execz .LBB637_740
; %bb.739:                              ;   in Loop: Header=BB637_696 Depth=2
	s_waitcnt lgkmcnt(0)
	v_bcnt_u32_b32 v37, v37, v160
	ds_store_b32 v162, v37
.LBB637_740:                            ;   in Loop: Header=BB637_696 Depth=2
	s_or_b32 exec_lo, exec_lo, s17
	v_xor_b32_e32 v159, 0x80000000, v159
	; wave barrier
	s_delay_alu instid0(VALU_DEP_1) | instskip(NEXT) | instid1(VALU_DEP_1)
	v_lshrrev_b32_e32 v37, s57, v159
	v_and_b32_e32 v37, s39, v37
	s_delay_alu instid0(VALU_DEP_1)
	v_and_b32_e32 v164, 1, v37
	v_lshlrev_b32_e32 v165, 30, v37
	v_lshlrev_b32_e32 v166, 29, v37
	;; [unrolled: 1-line block ×4, first 2 shown]
	v_add_co_u32 v164, s17, v164, -1
	s_delay_alu instid0(VALU_DEP_1)
	v_cndmask_b32_e64 v169, 0, 1, s17
	v_not_b32_e32 v175, v165
	v_cmp_gt_i32_e64 s17, 0, v165
	v_not_b32_e32 v165, v166
	v_lshlrev_b32_e32 v173, 26, v37
	v_cmp_ne_u32_e32 vcc_lo, 0, v169
	v_ashrrev_i32_e32 v175, 31, v175
	v_lshlrev_b32_e32 v174, 25, v37
	v_ashrrev_i32_e32 v165, 31, v165
	v_lshlrev_b32_e32 v169, 24, v37
	v_xor_b32_e32 v164, vcc_lo, v164
	v_cmp_gt_i32_e32 vcc_lo, 0, v166
	v_not_b32_e32 v166, v168
	v_xor_b32_e32 v175, s17, v175
	v_cmp_gt_i32_e64 s17, 0, v168
	v_and_b32_e32 v164, exec_lo, v164
	v_not_b32_e32 v168, v170
	v_ashrrev_i32_e32 v166, 31, v166
	v_xor_b32_e32 v165, vcc_lo, v165
	v_cmp_gt_i32_e32 vcc_lo, 0, v170
	v_and_b32_e32 v164, v164, v175
	v_not_b32_e32 v170, v173
	v_ashrrev_i32_e32 v168, 31, v168
	v_xor_b32_e32 v166, s17, v166
	v_cmp_gt_i32_e64 s17, 0, v173
	v_and_b32_e32 v164, v164, v165
	v_not_b32_e32 v165, v174
	v_ashrrev_i32_e32 v170, 31, v170
	v_xor_b32_e32 v168, vcc_lo, v168
	v_cmp_gt_i32_e32 vcc_lo, 0, v174
	v_and_b32_e32 v164, v164, v166
	v_not_b32_e32 v166, v169
	v_ashrrev_i32_e32 v165, 31, v165
	v_xor_b32_e32 v170, s17, v170
	v_mul_u32_u24_e32 v37, 9, v37
	v_and_b32_e32 v164, v164, v168
	v_cmp_gt_i32_e64 s17, 0, v169
	v_ashrrev_i32_e32 v166, 31, v166
	v_xor_b32_e32 v165, vcc_lo, v165
	v_add_lshl_u32 v168, v37, v128, 2
	v_and_b32_e32 v164, v164, v170
	s_delay_alu instid0(VALU_DEP_4) | instskip(NEXT) | instid1(VALU_DEP_3)
	v_xor_b32_e32 v37, s17, v166
	v_add_nc_u32_e32 v166, 0x420, v168
	s_delay_alu instid0(VALU_DEP_3) | instskip(SKIP_2) | instid1(VALU_DEP_1)
	v_and_b32_e32 v165, v164, v165
	ds_load_b32 v164, v168 offset:1056
	; wave barrier
	v_and_b32_e32 v37, v165, v37
	v_mbcnt_lo_u32_b32 v165, v37, 0
	v_cmp_ne_u32_e64 s17, 0, v37
	s_delay_alu instid0(VALU_DEP_2) | instskip(NEXT) | instid1(VALU_DEP_2)
	v_cmp_eq_u32_e32 vcc_lo, 0, v165
	s_and_b32 s18, s17, vcc_lo
	s_delay_alu instid0(SALU_CYCLE_1)
	s_and_saveexec_b32 s17, s18
	s_cbranch_execz .LBB637_742
; %bb.741:                              ;   in Loop: Header=BB637_696 Depth=2
	s_waitcnt lgkmcnt(0)
	v_bcnt_u32_b32 v37, v37, v164
	ds_store_b32 v166, v37
.LBB637_742:                            ;   in Loop: Header=BB637_696 Depth=2
	s_or_b32 exec_lo, exec_lo, s17
	v_xor_b32_e32 v163, 0x80000000, v163
	; wave barrier
	s_delay_alu instid0(VALU_DEP_1) | instskip(NEXT) | instid1(VALU_DEP_1)
	v_lshrrev_b32_e32 v37, s57, v163
	v_and_b32_e32 v37, s39, v37
	s_delay_alu instid0(VALU_DEP_1)
	v_and_b32_e32 v168, 1, v37
	v_lshlrev_b32_e32 v169, 30, v37
	v_lshlrev_b32_e32 v170, 29, v37
	;; [unrolled: 1-line block ×4, first 2 shown]
	v_add_co_u32 v168, s17, v168, -1
	s_delay_alu instid0(VALU_DEP_1)
	v_cndmask_b32_e64 v174, 0, 1, s17
	v_not_b32_e32 v178, v169
	v_cmp_gt_i32_e64 s17, 0, v169
	v_not_b32_e32 v169, v170
	v_lshlrev_b32_e32 v176, 26, v37
	v_cmp_ne_u32_e32 vcc_lo, 0, v174
	v_ashrrev_i32_e32 v178, 31, v178
	v_lshlrev_b32_e32 v177, 25, v37
	v_ashrrev_i32_e32 v169, 31, v169
	v_lshlrev_b32_e32 v174, 24, v37
	v_xor_b32_e32 v168, vcc_lo, v168
	v_cmp_gt_i32_e32 vcc_lo, 0, v170
	v_not_b32_e32 v170, v173
	v_xor_b32_e32 v178, s17, v178
	v_cmp_gt_i32_e64 s17, 0, v173
	v_and_b32_e32 v168, exec_lo, v168
	v_not_b32_e32 v173, v175
	v_ashrrev_i32_e32 v170, 31, v170
	v_xor_b32_e32 v169, vcc_lo, v169
	v_cmp_gt_i32_e32 vcc_lo, 0, v175
	v_and_b32_e32 v168, v168, v178
	v_not_b32_e32 v175, v176
	v_ashrrev_i32_e32 v173, 31, v173
	v_xor_b32_e32 v170, s17, v170
	v_cmp_gt_i32_e64 s17, 0, v176
	v_and_b32_e32 v168, v168, v169
	v_not_b32_e32 v169, v177
	v_ashrrev_i32_e32 v175, 31, v175
	v_xor_b32_e32 v173, vcc_lo, v173
	v_cmp_gt_i32_e32 vcc_lo, 0, v177
	v_and_b32_e32 v168, v168, v170
	v_not_b32_e32 v170, v174
	v_ashrrev_i32_e32 v169, 31, v169
	v_xor_b32_e32 v175, s17, v175
	v_mul_u32_u24_e32 v37, 9, v37
	v_and_b32_e32 v168, v168, v173
	v_cmp_gt_i32_e64 s17, 0, v174
	v_ashrrev_i32_e32 v170, 31, v170
	v_xor_b32_e32 v169, vcc_lo, v169
	v_add_lshl_u32 v173, v37, v128, 2
	v_and_b32_e32 v168, v168, v175
	s_delay_alu instid0(VALU_DEP_4) | instskip(NEXT) | instid1(VALU_DEP_3)
	v_xor_b32_e32 v37, s17, v170
	v_add_nc_u32_e32 v170, 0x420, v173
	s_delay_alu instid0(VALU_DEP_3) | instskip(SKIP_2) | instid1(VALU_DEP_1)
	v_and_b32_e32 v169, v168, v169
	ds_load_b32 v168, v173 offset:1056
	; wave barrier
	v_and_b32_e32 v37, v169, v37
	v_mbcnt_lo_u32_b32 v169, v37, 0
	v_cmp_ne_u32_e64 s17, 0, v37
	s_delay_alu instid0(VALU_DEP_2) | instskip(NEXT) | instid1(VALU_DEP_2)
	v_cmp_eq_u32_e32 vcc_lo, 0, v169
	s_and_b32 s18, s17, vcc_lo
	s_delay_alu instid0(SALU_CYCLE_1)
	s_and_saveexec_b32 s17, s18
	s_cbranch_execz .LBB637_744
; %bb.743:                              ;   in Loop: Header=BB637_696 Depth=2
	s_waitcnt lgkmcnt(0)
	v_bcnt_u32_b32 v37, v37, v168
	ds_store_b32 v170, v37
.LBB637_744:                            ;   in Loop: Header=BB637_696 Depth=2
	s_or_b32 exec_lo, exec_lo, s17
	v_xor_b32_e32 v167, 0x80000000, v167
	; wave barrier
	s_delay_alu instid0(VALU_DEP_1) | instskip(NEXT) | instid1(VALU_DEP_1)
	v_lshrrev_b32_e32 v37, s57, v167
	v_and_b32_e32 v37, s39, v37
	s_delay_alu instid0(VALU_DEP_1)
	v_and_b32_e32 v173, 1, v37
	v_lshlrev_b32_e32 v174, 30, v37
	v_lshlrev_b32_e32 v175, 29, v37
	;; [unrolled: 1-line block ×4, first 2 shown]
	v_add_co_u32 v173, s17, v173, -1
	s_delay_alu instid0(VALU_DEP_1)
	v_cndmask_b32_e64 v177, 0, 1, s17
	v_not_b32_e32 v181, v174
	v_cmp_gt_i32_e64 s17, 0, v174
	v_not_b32_e32 v174, v175
	v_lshlrev_b32_e32 v179, 26, v37
	v_cmp_ne_u32_e32 vcc_lo, 0, v177
	v_ashrrev_i32_e32 v181, 31, v181
	v_lshlrev_b32_e32 v180, 25, v37
	v_ashrrev_i32_e32 v174, 31, v174
	v_lshlrev_b32_e32 v177, 24, v37
	v_xor_b32_e32 v173, vcc_lo, v173
	v_cmp_gt_i32_e32 vcc_lo, 0, v175
	v_not_b32_e32 v175, v176
	v_xor_b32_e32 v181, s17, v181
	v_cmp_gt_i32_e64 s17, 0, v176
	v_and_b32_e32 v173, exec_lo, v173
	v_not_b32_e32 v176, v178
	v_ashrrev_i32_e32 v175, 31, v175
	v_xor_b32_e32 v174, vcc_lo, v174
	v_cmp_gt_i32_e32 vcc_lo, 0, v178
	v_and_b32_e32 v173, v173, v181
	v_not_b32_e32 v178, v179
	v_ashrrev_i32_e32 v176, 31, v176
	v_xor_b32_e32 v175, s17, v175
	v_cmp_gt_i32_e64 s17, 0, v179
	v_and_b32_e32 v173, v173, v174
	v_not_b32_e32 v174, v180
	v_ashrrev_i32_e32 v178, 31, v178
	v_xor_b32_e32 v176, vcc_lo, v176
	v_cmp_gt_i32_e32 vcc_lo, 0, v180
	v_and_b32_e32 v173, v173, v175
	v_not_b32_e32 v175, v177
	v_ashrrev_i32_e32 v174, 31, v174
	v_xor_b32_e32 v178, s17, v178
	v_mul_u32_u24_e32 v37, 9, v37
	v_and_b32_e32 v173, v173, v176
	v_cmp_gt_i32_e64 s17, 0, v177
	v_ashrrev_i32_e32 v175, 31, v175
	v_xor_b32_e32 v174, vcc_lo, v174
	v_add_lshl_u32 v176, v37, v128, 2
	v_and_b32_e32 v173, v173, v178
	s_delay_alu instid0(VALU_DEP_4) | instskip(NEXT) | instid1(VALU_DEP_3)
	v_xor_b32_e32 v37, s17, v175
	v_add_nc_u32_e32 v175, 0x420, v176
	s_delay_alu instid0(VALU_DEP_3) | instskip(SKIP_2) | instid1(VALU_DEP_1)
	v_and_b32_e32 v174, v173, v174
	ds_load_b32 v173, v176 offset:1056
	; wave barrier
	v_and_b32_e32 v37, v174, v37
	v_mbcnt_lo_u32_b32 v174, v37, 0
	v_cmp_ne_u32_e64 s17, 0, v37
	s_delay_alu instid0(VALU_DEP_2) | instskip(NEXT) | instid1(VALU_DEP_2)
	v_cmp_eq_u32_e32 vcc_lo, 0, v174
	s_and_b32 s18, s17, vcc_lo
	s_delay_alu instid0(SALU_CYCLE_1)
	s_and_saveexec_b32 s17, s18
	s_cbranch_execz .LBB637_746
; %bb.745:                              ;   in Loop: Header=BB637_696 Depth=2
	s_waitcnt lgkmcnt(0)
	v_bcnt_u32_b32 v37, v37, v173
	ds_store_b32 v175, v37
.LBB637_746:                            ;   in Loop: Header=BB637_696 Depth=2
	s_or_b32 exec_lo, exec_lo, s17
	v_xor_b32_e32 v172, 0x80000000, v172
	; wave barrier
	s_delay_alu instid0(VALU_DEP_1) | instskip(NEXT) | instid1(VALU_DEP_1)
	v_lshrrev_b32_e32 v37, s57, v172
	v_and_b32_e32 v37, s39, v37
	s_delay_alu instid0(VALU_DEP_1)
	v_and_b32_e32 v176, 1, v37
	v_lshlrev_b32_e32 v177, 30, v37
	v_lshlrev_b32_e32 v178, 29, v37
	;; [unrolled: 1-line block ×4, first 2 shown]
	v_add_co_u32 v176, s17, v176, -1
	s_delay_alu instid0(VALU_DEP_1)
	v_cndmask_b32_e64 v180, 0, 1, s17
	v_not_b32_e32 v184, v177
	v_cmp_gt_i32_e64 s17, 0, v177
	v_not_b32_e32 v177, v178
	v_lshlrev_b32_e32 v182, 26, v37
	v_cmp_ne_u32_e32 vcc_lo, 0, v180
	v_ashrrev_i32_e32 v184, 31, v184
	v_lshlrev_b32_e32 v183, 25, v37
	v_ashrrev_i32_e32 v177, 31, v177
	v_lshlrev_b32_e32 v180, 24, v37
	v_xor_b32_e32 v176, vcc_lo, v176
	v_cmp_gt_i32_e32 vcc_lo, 0, v178
	v_not_b32_e32 v178, v179
	v_xor_b32_e32 v184, s17, v184
	v_cmp_gt_i32_e64 s17, 0, v179
	v_and_b32_e32 v176, exec_lo, v176
	v_not_b32_e32 v179, v181
	v_ashrrev_i32_e32 v178, 31, v178
	v_xor_b32_e32 v177, vcc_lo, v177
	v_cmp_gt_i32_e32 vcc_lo, 0, v181
	v_and_b32_e32 v176, v176, v184
	v_not_b32_e32 v181, v182
	v_ashrrev_i32_e32 v179, 31, v179
	v_xor_b32_e32 v178, s17, v178
	v_cmp_gt_i32_e64 s17, 0, v182
	v_and_b32_e32 v176, v176, v177
	v_not_b32_e32 v177, v183
	v_ashrrev_i32_e32 v181, 31, v181
	v_xor_b32_e32 v179, vcc_lo, v179
	v_cmp_gt_i32_e32 vcc_lo, 0, v183
	v_and_b32_e32 v176, v176, v178
	v_not_b32_e32 v178, v180
	v_ashrrev_i32_e32 v177, 31, v177
	v_xor_b32_e32 v181, s17, v181
	v_mul_u32_u24_e32 v37, 9, v37
	v_and_b32_e32 v176, v176, v179
	v_cmp_gt_i32_e64 s17, 0, v180
	v_ashrrev_i32_e32 v178, 31, v178
	v_xor_b32_e32 v177, vcc_lo, v177
	v_add_lshl_u32 v179, v37, v128, 2
	v_and_b32_e32 v176, v176, v181
	s_delay_alu instid0(VALU_DEP_4) | instskip(NEXT) | instid1(VALU_DEP_3)
	v_xor_b32_e32 v37, s17, v178
	v_add_nc_u32_e32 v178, 0x420, v179
	s_delay_alu instid0(VALU_DEP_3) | instskip(SKIP_2) | instid1(VALU_DEP_1)
	v_and_b32_e32 v177, v176, v177
	ds_load_b32 v176, v179 offset:1056
	; wave barrier
	v_and_b32_e32 v37, v177, v37
	v_mbcnt_lo_u32_b32 v177, v37, 0
	v_cmp_ne_u32_e64 s17, 0, v37
	s_delay_alu instid0(VALU_DEP_2) | instskip(NEXT) | instid1(VALU_DEP_2)
	v_cmp_eq_u32_e32 vcc_lo, 0, v177
	s_and_b32 s18, s17, vcc_lo
	s_delay_alu instid0(SALU_CYCLE_1)
	s_and_saveexec_b32 s17, s18
	s_cbranch_execz .LBB637_748
; %bb.747:                              ;   in Loop: Header=BB637_696 Depth=2
	s_waitcnt lgkmcnt(0)
	v_bcnt_u32_b32 v37, v37, v176
	ds_store_b32 v178, v37
.LBB637_748:                            ;   in Loop: Header=BB637_696 Depth=2
	s_or_b32 exec_lo, exec_lo, s17
	v_xor_b32_e32 v171, 0x80000000, v171
	; wave barrier
	s_delay_alu instid0(VALU_DEP_1) | instskip(NEXT) | instid1(VALU_DEP_1)
	v_lshrrev_b32_e32 v37, s57, v171
	v_and_b32_e32 v37, s39, v37
	s_delay_alu instid0(VALU_DEP_1)
	v_and_b32_e32 v179, 1, v37
	v_lshlrev_b32_e32 v180, 30, v37
	v_lshlrev_b32_e32 v181, 29, v37
	;; [unrolled: 1-line block ×4, first 2 shown]
	v_add_co_u32 v179, s17, v179, -1
	s_delay_alu instid0(VALU_DEP_1)
	v_cndmask_b32_e64 v183, 0, 1, s17
	v_not_b32_e32 v187, v180
	v_cmp_gt_i32_e64 s17, 0, v180
	v_not_b32_e32 v180, v181
	v_lshlrev_b32_e32 v185, 26, v37
	v_cmp_ne_u32_e32 vcc_lo, 0, v183
	v_ashrrev_i32_e32 v187, 31, v187
	v_lshlrev_b32_e32 v186, 25, v37
	v_ashrrev_i32_e32 v180, 31, v180
	v_lshlrev_b32_e32 v183, 24, v37
	v_xor_b32_e32 v179, vcc_lo, v179
	v_cmp_gt_i32_e32 vcc_lo, 0, v181
	v_not_b32_e32 v181, v182
	v_xor_b32_e32 v187, s17, v187
	v_cmp_gt_i32_e64 s17, 0, v182
	v_and_b32_e32 v179, exec_lo, v179
	v_not_b32_e32 v182, v184
	v_ashrrev_i32_e32 v181, 31, v181
	v_xor_b32_e32 v180, vcc_lo, v180
	v_cmp_gt_i32_e32 vcc_lo, 0, v184
	v_and_b32_e32 v179, v179, v187
	v_not_b32_e32 v184, v185
	v_ashrrev_i32_e32 v182, 31, v182
	v_xor_b32_e32 v181, s17, v181
	v_cmp_gt_i32_e64 s17, 0, v185
	v_and_b32_e32 v179, v179, v180
	v_not_b32_e32 v180, v186
	v_ashrrev_i32_e32 v184, 31, v184
	v_xor_b32_e32 v182, vcc_lo, v182
	v_cmp_gt_i32_e32 vcc_lo, 0, v186
	v_and_b32_e32 v179, v179, v181
	v_not_b32_e32 v181, v183
	v_ashrrev_i32_e32 v180, 31, v180
	v_xor_b32_e32 v184, s17, v184
	v_mul_u32_u24_e32 v37, 9, v37
	v_and_b32_e32 v179, v179, v182
	v_cmp_gt_i32_e64 s17, 0, v183
	v_ashrrev_i32_e32 v181, 31, v181
	v_xor_b32_e32 v180, vcc_lo, v180
	v_add_lshl_u32 v182, v37, v128, 2
	v_and_b32_e32 v179, v179, v184
	s_delay_alu instid0(VALU_DEP_4) | instskip(NEXT) | instid1(VALU_DEP_2)
	v_xor_b32_e32 v37, s17, v181
	v_and_b32_e32 v179, v179, v180
	ds_load_b32 v180, v182 offset:1056
	v_add_nc_u32_e32 v182, 0x420, v182
	; wave barrier
	v_and_b32_e32 v37, v179, v37
	s_delay_alu instid0(VALU_DEP_1) | instskip(SKIP_1) | instid1(VALU_DEP_2)
	v_mbcnt_lo_u32_b32 v181, v37, 0
	v_cmp_ne_u32_e64 s17, 0, v37
	v_cmp_eq_u32_e32 vcc_lo, 0, v181
	s_delay_alu instid0(VALU_DEP_2) | instskip(NEXT) | instid1(SALU_CYCLE_1)
	s_and_b32 s18, s17, vcc_lo
	s_and_saveexec_b32 s17, s18
	s_cbranch_execz .LBB637_750
; %bb.749:                              ;   in Loop: Header=BB637_696 Depth=2
	s_waitcnt lgkmcnt(0)
	v_bcnt_u32_b32 v37, v37, v180
	ds_store_b32 v182, v37
.LBB637_750:                            ;   in Loop: Header=BB637_696 Depth=2
	s_or_b32 exec_lo, exec_lo, s17
	v_xor_b32_e32 v179, 0x80000000, v43
	; wave barrier
	s_delay_alu instid0(VALU_DEP_1) | instskip(NEXT) | instid1(VALU_DEP_1)
	v_lshrrev_b32_e32 v37, s57, v179
	v_and_b32_e32 v37, s39, v37
	s_delay_alu instid0(VALU_DEP_1)
	v_and_b32_e32 v43, 1, v37
	v_lshlrev_b32_e32 v183, 30, v37
	v_lshlrev_b32_e32 v184, 29, v37
	;; [unrolled: 1-line block ×4, first 2 shown]
	v_add_co_u32 v43, s17, v43, -1
	s_delay_alu instid0(VALU_DEP_1)
	v_cndmask_b32_e64 v186, 0, 1, s17
	v_not_b32_e32 v190, v183
	v_cmp_gt_i32_e64 s17, 0, v183
	v_not_b32_e32 v183, v184
	v_lshlrev_b32_e32 v188, 26, v37
	v_cmp_ne_u32_e32 vcc_lo, 0, v186
	v_ashrrev_i32_e32 v190, 31, v190
	v_lshlrev_b32_e32 v189, 25, v37
	v_ashrrev_i32_e32 v183, 31, v183
	v_lshlrev_b32_e32 v186, 24, v37
	v_xor_b32_e32 v43, vcc_lo, v43
	v_cmp_gt_i32_e32 vcc_lo, 0, v184
	v_not_b32_e32 v184, v185
	v_xor_b32_e32 v190, s17, v190
	v_cmp_gt_i32_e64 s17, 0, v185
	v_and_b32_e32 v43, exec_lo, v43
	v_not_b32_e32 v185, v187
	v_ashrrev_i32_e32 v184, 31, v184
	v_xor_b32_e32 v183, vcc_lo, v183
	v_cmp_gt_i32_e32 vcc_lo, 0, v187
	v_and_b32_e32 v43, v43, v190
	v_not_b32_e32 v187, v188
	v_ashrrev_i32_e32 v185, 31, v185
	v_xor_b32_e32 v184, s17, v184
	v_cmp_gt_i32_e64 s17, 0, v188
	v_and_b32_e32 v43, v43, v183
	v_not_b32_e32 v183, v189
	v_ashrrev_i32_e32 v187, 31, v187
	v_xor_b32_e32 v185, vcc_lo, v185
	v_cmp_gt_i32_e32 vcc_lo, 0, v189
	v_and_b32_e32 v43, v43, v184
	v_not_b32_e32 v184, v186
	v_ashrrev_i32_e32 v183, 31, v183
	v_xor_b32_e32 v187, s17, v187
	v_mul_u32_u24_e32 v37, 9, v37
	v_and_b32_e32 v43, v43, v185
	v_cmp_gt_i32_e64 s17, 0, v186
	v_ashrrev_i32_e32 v184, 31, v184
	v_xor_b32_e32 v183, vcc_lo, v183
	v_add_lshl_u32 v186, v37, v128, 2
	v_and_b32_e32 v43, v43, v187
	s_delay_alu instid0(VALU_DEP_4) | instskip(SKIP_3) | instid1(VALU_DEP_2)
	v_xor_b32_e32 v37, s17, v184
	ds_load_b32 v184, v186 offset:1056
	v_and_b32_e32 v43, v43, v183
	v_add_nc_u32_e32 v186, 0x420, v186
	; wave barrier
	v_and_b32_e32 v37, v43, v37
	s_delay_alu instid0(VALU_DEP_1) | instskip(SKIP_1) | instid1(VALU_DEP_2)
	v_mbcnt_lo_u32_b32 v185, v37, 0
	v_cmp_ne_u32_e64 s17, 0, v37
	v_cmp_eq_u32_e32 vcc_lo, 0, v185
	s_delay_alu instid0(VALU_DEP_2) | instskip(NEXT) | instid1(SALU_CYCLE_1)
	s_and_b32 s18, s17, vcc_lo
	s_and_saveexec_b32 s17, s18
	s_cbranch_execz .LBB637_752
; %bb.751:                              ;   in Loop: Header=BB637_696 Depth=2
	s_waitcnt lgkmcnt(0)
	v_bcnt_u32_b32 v37, v37, v184
	ds_store_b32 v186, v37
.LBB637_752:                            ;   in Loop: Header=BB637_696 Depth=2
	s_or_b32 exec_lo, exec_lo, s17
	v_xor_b32_e32 v183, 0x80000000, v42
	; wave barrier
	s_delay_alu instid0(VALU_DEP_1) | instskip(NEXT) | instid1(VALU_DEP_1)
	v_lshrrev_b32_e32 v37, s57, v183
	v_and_b32_e32 v37, s39, v37
	s_delay_alu instid0(VALU_DEP_1)
	v_and_b32_e32 v42, 1, v37
	v_lshlrev_b32_e32 v43, 30, v37
	v_lshlrev_b32_e32 v187, 29, v37
	v_lshlrev_b32_e32 v188, 28, v37
	v_lshlrev_b32_e32 v190, 27, v37
	v_add_co_u32 v42, s17, v42, -1
	s_delay_alu instid0(VALU_DEP_1)
	v_cndmask_b32_e64 v189, 0, 1, s17
	v_not_b32_e32 v193, v43
	v_cmp_gt_i32_e64 s17, 0, v43
	v_not_b32_e32 v43, v187
	v_lshlrev_b32_e32 v191, 26, v37
	v_cmp_ne_u32_e32 vcc_lo, 0, v189
	v_ashrrev_i32_e32 v193, 31, v193
	v_lshlrev_b32_e32 v192, 25, v37
	v_ashrrev_i32_e32 v43, 31, v43
	v_lshlrev_b32_e32 v189, 24, v37
	v_xor_b32_e32 v42, vcc_lo, v42
	v_cmp_gt_i32_e32 vcc_lo, 0, v187
	v_not_b32_e32 v187, v188
	v_xor_b32_e32 v193, s17, v193
	v_cmp_gt_i32_e64 s17, 0, v188
	v_and_b32_e32 v42, exec_lo, v42
	v_not_b32_e32 v188, v190
	v_ashrrev_i32_e32 v187, 31, v187
	v_xor_b32_e32 v43, vcc_lo, v43
	v_cmp_gt_i32_e32 vcc_lo, 0, v190
	v_and_b32_e32 v42, v42, v193
	v_not_b32_e32 v190, v191
	v_ashrrev_i32_e32 v188, 31, v188
	v_xor_b32_e32 v187, s17, v187
	v_cmp_gt_i32_e64 s17, 0, v191
	v_and_b32_e32 v42, v42, v43
	v_not_b32_e32 v43, v192
	v_ashrrev_i32_e32 v190, 31, v190
	v_xor_b32_e32 v188, vcc_lo, v188
	v_cmp_gt_i32_e32 vcc_lo, 0, v192
	v_and_b32_e32 v42, v42, v187
	v_not_b32_e32 v187, v189
	v_ashrrev_i32_e32 v43, 31, v43
	v_xor_b32_e32 v190, s17, v190
	v_mul_u32_u24_e32 v37, 9, v37
	v_and_b32_e32 v42, v42, v188
	v_cmp_gt_i32_e64 s17, 0, v189
	v_ashrrev_i32_e32 v187, 31, v187
	v_xor_b32_e32 v43, vcc_lo, v43
	s_delay_alu instid0(VALU_DEP_4) | instskip(SKIP_1) | instid1(VALU_DEP_4)
	v_and_b32_e32 v42, v42, v190
	v_add_lshl_u32 v190, v37, v128, 2
	v_xor_b32_e32 v37, s17, v187
	s_delay_alu instid0(VALU_DEP_3) | instskip(SKIP_3) | instid1(VALU_DEP_1)
	v_and_b32_e32 v42, v42, v43
	ds_load_b32 v188, v190 offset:1056
	v_add_nc_u32_e32 v190, 0x420, v190
	; wave barrier
	v_and_b32_e32 v37, v42, v37
	v_mbcnt_lo_u32_b32 v189, v37, 0
	v_cmp_ne_u32_e64 s17, 0, v37
	s_delay_alu instid0(VALU_DEP_2) | instskip(NEXT) | instid1(VALU_DEP_2)
	v_cmp_eq_u32_e32 vcc_lo, 0, v189
	s_and_b32 s18, s17, vcc_lo
	s_delay_alu instid0(SALU_CYCLE_1)
	s_and_saveexec_b32 s17, s18
	s_cbranch_execz .LBB637_754
; %bb.753:                              ;   in Loop: Header=BB637_696 Depth=2
	s_waitcnt lgkmcnt(0)
	v_bcnt_u32_b32 v37, v37, v188
	ds_store_b32 v190, v37
.LBB637_754:                            ;   in Loop: Header=BB637_696 Depth=2
	s_or_b32 exec_lo, exec_lo, s17
	v_xor_b32_e32 v187, 0x80000000, v41
	; wave barrier
	s_delay_alu instid0(VALU_DEP_1) | instskip(NEXT) | instid1(VALU_DEP_1)
	v_lshrrev_b32_e32 v37, s57, v187
	v_and_b32_e32 v37, s39, v37
	s_delay_alu instid0(VALU_DEP_1)
	v_and_b32_e32 v41, 1, v37
	v_lshlrev_b32_e32 v42, 30, v37
	v_lshlrev_b32_e32 v43, 29, v37
	;; [unrolled: 1-line block ×4, first 2 shown]
	v_add_co_u32 v41, s17, v41, -1
	s_delay_alu instid0(VALU_DEP_1)
	v_cndmask_b32_e64 v192, 0, 1, s17
	v_not_b32_e32 v196, v42
	v_cmp_gt_i32_e64 s17, 0, v42
	v_not_b32_e32 v42, v43
	v_lshlrev_b32_e32 v194, 26, v37
	v_cmp_ne_u32_e32 vcc_lo, 0, v192
	v_ashrrev_i32_e32 v196, 31, v196
	v_lshlrev_b32_e32 v195, 25, v37
	v_ashrrev_i32_e32 v42, 31, v42
	v_lshlrev_b32_e32 v192, 24, v37
	v_xor_b32_e32 v41, vcc_lo, v41
	v_cmp_gt_i32_e32 vcc_lo, 0, v43
	v_not_b32_e32 v43, v191
	v_xor_b32_e32 v196, s17, v196
	v_cmp_gt_i32_e64 s17, 0, v191
	v_and_b32_e32 v41, exec_lo, v41
	v_not_b32_e32 v191, v193
	v_ashrrev_i32_e32 v43, 31, v43
	v_xor_b32_e32 v42, vcc_lo, v42
	v_cmp_gt_i32_e32 vcc_lo, 0, v193
	v_and_b32_e32 v41, v41, v196
	v_not_b32_e32 v193, v194
	v_ashrrev_i32_e32 v191, 31, v191
	v_xor_b32_e32 v43, s17, v43
	v_cmp_gt_i32_e64 s17, 0, v194
	v_and_b32_e32 v41, v41, v42
	v_not_b32_e32 v42, v195
	v_ashrrev_i32_e32 v193, 31, v193
	v_xor_b32_e32 v191, vcc_lo, v191
	v_cmp_gt_i32_e32 vcc_lo, 0, v195
	v_and_b32_e32 v41, v41, v43
	v_not_b32_e32 v43, v192
	v_ashrrev_i32_e32 v42, 31, v42
	v_xor_b32_e32 v193, s17, v193
	v_mul_u32_u24_e32 v37, 9, v37
	v_and_b32_e32 v41, v41, v191
	v_cmp_gt_i32_e64 s17, 0, v192
	v_ashrrev_i32_e32 v43, 31, v43
	v_xor_b32_e32 v42, vcc_lo, v42
	v_add_lshl_u32 v191, v37, v128, 2
	v_and_b32_e32 v41, v41, v193
	s_delay_alu instid0(VALU_DEP_4) | instskip(SKIP_3) | instid1(VALU_DEP_2)
	v_xor_b32_e32 v37, s17, v43
	ds_load_b32 v192, v191 offset:1056
	v_and_b32_e32 v41, v41, v42
	v_add_nc_u32_e32 v194, 0x420, v191
	; wave barrier
	v_and_b32_e32 v37, v41, v37
	s_delay_alu instid0(VALU_DEP_1) | instskip(SKIP_1) | instid1(VALU_DEP_2)
	v_mbcnt_lo_u32_b32 v193, v37, 0
	v_cmp_ne_u32_e64 s17, 0, v37
	v_cmp_eq_u32_e32 vcc_lo, 0, v193
	s_delay_alu instid0(VALU_DEP_2) | instskip(NEXT) | instid1(SALU_CYCLE_1)
	s_and_b32 s18, s17, vcc_lo
	s_and_saveexec_b32 s17, s18
	s_cbranch_execz .LBB637_756
; %bb.755:                              ;   in Loop: Header=BB637_696 Depth=2
	s_waitcnt lgkmcnt(0)
	v_bcnt_u32_b32 v37, v37, v192
	ds_store_b32 v194, v37
.LBB637_756:                            ;   in Loop: Header=BB637_696 Depth=2
	s_or_b32 exec_lo, exec_lo, s17
	v_xor_b32_e32 v191, 0x80000000, v40
	; wave barrier
	s_delay_alu instid0(VALU_DEP_1) | instskip(NEXT) | instid1(VALU_DEP_1)
	v_lshrrev_b32_e32 v37, s57, v191
	v_and_b32_e32 v37, s39, v37
	s_delay_alu instid0(VALU_DEP_1)
	v_and_b32_e32 v40, 1, v37
	v_lshlrev_b32_e32 v41, 30, v37
	v_lshlrev_b32_e32 v42, 29, v37
	;; [unrolled: 1-line block ×4, first 2 shown]
	v_add_co_u32 v40, s17, v40, -1
	s_delay_alu instid0(VALU_DEP_1)
	v_cndmask_b32_e64 v195, 0, 1, s17
	v_not_b32_e32 v199, v41
	v_cmp_gt_i32_e64 s17, 0, v41
	v_not_b32_e32 v41, v42
	v_lshlrev_b32_e32 v197, 26, v37
	v_cmp_ne_u32_e32 vcc_lo, 0, v195
	v_ashrrev_i32_e32 v199, 31, v199
	v_lshlrev_b32_e32 v198, 25, v37
	v_ashrrev_i32_e32 v41, 31, v41
	v_lshlrev_b32_e32 v195, 24, v37
	v_xor_b32_e32 v40, vcc_lo, v40
	v_cmp_gt_i32_e32 vcc_lo, 0, v42
	v_not_b32_e32 v42, v43
	v_xor_b32_e32 v199, s17, v199
	v_cmp_gt_i32_e64 s17, 0, v43
	v_and_b32_e32 v40, exec_lo, v40
	v_not_b32_e32 v43, v196
	v_ashrrev_i32_e32 v42, 31, v42
	v_xor_b32_e32 v41, vcc_lo, v41
	v_cmp_gt_i32_e32 vcc_lo, 0, v196
	v_and_b32_e32 v40, v40, v199
	v_not_b32_e32 v196, v197
	v_ashrrev_i32_e32 v43, 31, v43
	v_xor_b32_e32 v42, s17, v42
	v_cmp_gt_i32_e64 s17, 0, v197
	v_and_b32_e32 v40, v40, v41
	v_not_b32_e32 v41, v198
	v_ashrrev_i32_e32 v196, 31, v196
	v_xor_b32_e32 v43, vcc_lo, v43
	v_cmp_gt_i32_e32 vcc_lo, 0, v198
	v_and_b32_e32 v40, v40, v42
	v_not_b32_e32 v42, v195
	v_ashrrev_i32_e32 v41, 31, v41
	v_xor_b32_e32 v196, s17, v196
	v_mul_u32_u24_e32 v37, 9, v37
	v_and_b32_e32 v40, v40, v43
	v_cmp_gt_i32_e64 s17, 0, v195
	v_ashrrev_i32_e32 v42, 31, v42
	v_xor_b32_e32 v41, vcc_lo, v41
	v_add_lshl_u32 v43, v37, v128, 2
	v_and_b32_e32 v40, v40, v196
	s_delay_alu instid0(VALU_DEP_4) | instskip(SKIP_3) | instid1(VALU_DEP_2)
	v_xor_b32_e32 v37, s17, v42
	ds_load_b32 v196, v43 offset:1056
	v_and_b32_e32 v40, v40, v41
	v_add_nc_u32_e32 v198, 0x420, v43
	; wave barrier
	v_and_b32_e32 v37, v40, v37
	s_delay_alu instid0(VALU_DEP_1) | instskip(SKIP_1) | instid1(VALU_DEP_2)
	v_mbcnt_lo_u32_b32 v197, v37, 0
	v_cmp_ne_u32_e64 s17, 0, v37
	v_cmp_eq_u32_e32 vcc_lo, 0, v197
	s_delay_alu instid0(VALU_DEP_2) | instskip(NEXT) | instid1(SALU_CYCLE_1)
	s_and_b32 s18, s17, vcc_lo
	s_and_saveexec_b32 s17, s18
	s_cbranch_execz .LBB637_758
; %bb.757:                              ;   in Loop: Header=BB637_696 Depth=2
	s_waitcnt lgkmcnt(0)
	v_bcnt_u32_b32 v37, v37, v196
	ds_store_b32 v198, v37
.LBB637_758:                            ;   in Loop: Header=BB637_696 Depth=2
	s_or_b32 exec_lo, exec_lo, s17
	v_xor_b32_e32 v195, 0x80000000, v39
	; wave barrier
	s_delay_alu instid0(VALU_DEP_1) | instskip(NEXT) | instid1(VALU_DEP_1)
	v_lshrrev_b32_e32 v37, s57, v195
	v_and_b32_e32 v37, s39, v37
	s_delay_alu instid0(VALU_DEP_1)
	v_and_b32_e32 v39, 1, v37
	v_lshlrev_b32_e32 v40, 30, v37
	v_lshlrev_b32_e32 v41, 29, v37
	v_lshlrev_b32_e32 v42, 28, v37
	v_lshlrev_b32_e32 v199, 27, v37
	v_add_co_u32 v39, s17, v39, -1
	s_delay_alu instid0(VALU_DEP_1)
	v_cndmask_b32_e64 v43, 0, 1, s17
	v_not_b32_e32 v202, v40
	v_cmp_gt_i32_e64 s17, 0, v40
	v_not_b32_e32 v40, v41
	v_lshlrev_b32_e32 v200, 26, v37
	v_cmp_ne_u32_e32 vcc_lo, 0, v43
	v_ashrrev_i32_e32 v202, 31, v202
	v_lshlrev_b32_e32 v201, 25, v37
	v_ashrrev_i32_e32 v40, 31, v40
	v_lshlrev_b32_e32 v43, 24, v37
	v_xor_b32_e32 v39, vcc_lo, v39
	v_cmp_gt_i32_e32 vcc_lo, 0, v41
	v_not_b32_e32 v41, v42
	v_xor_b32_e32 v202, s17, v202
	v_cmp_gt_i32_e64 s17, 0, v42
	v_and_b32_e32 v39, exec_lo, v39
	v_not_b32_e32 v42, v199
	v_ashrrev_i32_e32 v41, 31, v41
	v_xor_b32_e32 v40, vcc_lo, v40
	v_cmp_gt_i32_e32 vcc_lo, 0, v199
	v_and_b32_e32 v39, v39, v202
	v_not_b32_e32 v199, v200
	v_ashrrev_i32_e32 v42, 31, v42
	v_xor_b32_e32 v41, s17, v41
	v_cmp_gt_i32_e64 s17, 0, v200
	v_and_b32_e32 v39, v39, v40
	v_not_b32_e32 v40, v201
	v_ashrrev_i32_e32 v199, 31, v199
	v_xor_b32_e32 v42, vcc_lo, v42
	v_cmp_gt_i32_e32 vcc_lo, 0, v201
	v_and_b32_e32 v39, v39, v41
	v_not_b32_e32 v41, v43
	v_ashrrev_i32_e32 v40, 31, v40
	v_xor_b32_e32 v199, s17, v199
	v_mul_u32_u24_e32 v37, 9, v37
	v_and_b32_e32 v39, v39, v42
	v_cmp_gt_i32_e64 s17, 0, v43
	v_ashrrev_i32_e32 v41, 31, v41
	v_xor_b32_e32 v40, vcc_lo, v40
	v_add_lshl_u32 v42, v37, v128, 2
	v_and_b32_e32 v39, v39, v199
	s_delay_alu instid0(VALU_DEP_4) | instskip(SKIP_3) | instid1(VALU_DEP_2)
	v_xor_b32_e32 v37, s17, v41
	ds_load_b32 v200, v42 offset:1056
	v_and_b32_e32 v39, v39, v40
	v_add_nc_u32_e32 v202, 0x420, v42
	; wave barrier
	v_and_b32_e32 v37, v39, v37
	s_delay_alu instid0(VALU_DEP_1) | instskip(SKIP_1) | instid1(VALU_DEP_2)
	v_mbcnt_lo_u32_b32 v201, v37, 0
	v_cmp_ne_u32_e64 s17, 0, v37
	v_cmp_eq_u32_e32 vcc_lo, 0, v201
	s_delay_alu instid0(VALU_DEP_2) | instskip(NEXT) | instid1(SALU_CYCLE_1)
	s_and_b32 s18, s17, vcc_lo
	s_and_saveexec_b32 s17, s18
	s_cbranch_execz .LBB637_760
; %bb.759:                              ;   in Loop: Header=BB637_696 Depth=2
	s_waitcnt lgkmcnt(0)
	v_bcnt_u32_b32 v37, v37, v200
	ds_store_b32 v202, v37
.LBB637_760:                            ;   in Loop: Header=BB637_696 Depth=2
	s_or_b32 exec_lo, exec_lo, s17
	v_xor_b32_e32 v199, 0x80000000, v38
	; wave barrier
	s_delay_alu instid0(VALU_DEP_1) | instskip(NEXT) | instid1(VALU_DEP_1)
	v_lshrrev_b32_e32 v37, s57, v199
	v_and_b32_e32 v37, s39, v37
	s_delay_alu instid0(VALU_DEP_1)
	v_and_b32_e32 v38, 1, v37
	v_lshlrev_b32_e32 v39, 30, v37
	v_lshlrev_b32_e32 v40, 29, v37
	;; [unrolled: 1-line block ×4, first 2 shown]
	v_add_co_u32 v38, s17, v38, -1
	s_delay_alu instid0(VALU_DEP_1)
	v_cndmask_b32_e64 v42, 0, 1, s17
	v_not_b32_e32 v205, v39
	v_cmp_gt_i32_e64 s17, 0, v39
	v_not_b32_e32 v39, v40
	v_lshlrev_b32_e32 v203, 26, v37
	v_cmp_ne_u32_e32 vcc_lo, 0, v42
	v_ashrrev_i32_e32 v205, 31, v205
	v_lshlrev_b32_e32 v204, 25, v37
	v_ashrrev_i32_e32 v39, 31, v39
	v_lshlrev_b32_e32 v42, 24, v37
	v_xor_b32_e32 v38, vcc_lo, v38
	v_cmp_gt_i32_e32 vcc_lo, 0, v40
	v_not_b32_e32 v40, v41
	v_xor_b32_e32 v205, s17, v205
	v_cmp_gt_i32_e64 s17, 0, v41
	v_and_b32_e32 v38, exec_lo, v38
	v_not_b32_e32 v41, v43
	v_ashrrev_i32_e32 v40, 31, v40
	v_xor_b32_e32 v39, vcc_lo, v39
	v_cmp_gt_i32_e32 vcc_lo, 0, v43
	v_and_b32_e32 v38, v38, v205
	v_not_b32_e32 v43, v203
	v_ashrrev_i32_e32 v41, 31, v41
	v_xor_b32_e32 v40, s17, v40
	v_cmp_gt_i32_e64 s17, 0, v203
	v_and_b32_e32 v38, v38, v39
	v_not_b32_e32 v39, v204
	v_ashrrev_i32_e32 v43, 31, v43
	v_xor_b32_e32 v41, vcc_lo, v41
	v_cmp_gt_i32_e32 vcc_lo, 0, v204
	v_and_b32_e32 v38, v38, v40
	v_not_b32_e32 v40, v42
	v_ashrrev_i32_e32 v39, 31, v39
	v_xor_b32_e32 v43, s17, v43
	v_mul_u32_u24_e32 v37, 9, v37
	v_and_b32_e32 v38, v38, v41
	v_cmp_gt_i32_e64 s17, 0, v42
	v_ashrrev_i32_e32 v40, 31, v40
	v_xor_b32_e32 v39, vcc_lo, v39
	v_add_lshl_u32 v41, v37, v128, 2
	v_and_b32_e32 v38, v38, v43
	s_delay_alu instid0(VALU_DEP_4) | instskip(SKIP_3) | instid1(VALU_DEP_2)
	v_xor_b32_e32 v37, s17, v40
	ds_load_b32 v204, v41 offset:1056
	v_and_b32_e32 v38, v38, v39
	v_add_nc_u32_e32 v206, 0x420, v41
	; wave barrier
	v_and_b32_e32 v37, v38, v37
	s_delay_alu instid0(VALU_DEP_1) | instskip(SKIP_1) | instid1(VALU_DEP_2)
	v_mbcnt_lo_u32_b32 v205, v37, 0
	v_cmp_ne_u32_e64 s17, 0, v37
	v_cmp_eq_u32_e32 vcc_lo, 0, v205
	s_delay_alu instid0(VALU_DEP_2) | instskip(NEXT) | instid1(SALU_CYCLE_1)
	s_and_b32 s18, s17, vcc_lo
	s_and_saveexec_b32 s17, s18
	s_cbranch_execz .LBB637_762
; %bb.761:                              ;   in Loop: Header=BB637_696 Depth=2
	s_waitcnt lgkmcnt(0)
	v_bcnt_u32_b32 v37, v37, v204
	ds_store_b32 v206, v37
.LBB637_762:                            ;   in Loop: Header=BB637_696 Depth=2
	s_or_b32 exec_lo, exec_lo, s17
	v_xor_b32_e32 v203, 0x80000000, v36
	; wave barrier
	s_delay_alu instid0(VALU_DEP_1) | instskip(NEXT) | instid1(VALU_DEP_1)
	v_lshrrev_b32_e32 v36, s57, v203
	v_and_b32_e32 v36, s39, v36
	s_delay_alu instid0(VALU_DEP_1)
	v_and_b32_e32 v37, 1, v36
	v_lshlrev_b32_e32 v38, 30, v36
	v_lshlrev_b32_e32 v39, 29, v36
	;; [unrolled: 1-line block ×4, first 2 shown]
	v_add_co_u32 v37, s17, v37, -1
	s_delay_alu instid0(VALU_DEP_1)
	v_cndmask_b32_e64 v41, 0, 1, s17
	v_not_b32_e32 v208, v38
	v_cmp_gt_i32_e64 s17, 0, v38
	v_not_b32_e32 v38, v39
	v_lshlrev_b32_e32 v43, 26, v36
	v_cmp_ne_u32_e32 vcc_lo, 0, v41
	v_ashrrev_i32_e32 v208, 31, v208
	v_lshlrev_b32_e32 v207, 25, v36
	v_ashrrev_i32_e32 v38, 31, v38
	v_lshlrev_b32_e32 v41, 24, v36
	v_xor_b32_e32 v37, vcc_lo, v37
	v_cmp_gt_i32_e32 vcc_lo, 0, v39
	v_not_b32_e32 v39, v40
	v_xor_b32_e32 v208, s17, v208
	v_cmp_gt_i32_e64 s17, 0, v40
	v_and_b32_e32 v37, exec_lo, v37
	v_not_b32_e32 v40, v42
	v_ashrrev_i32_e32 v39, 31, v39
	v_xor_b32_e32 v38, vcc_lo, v38
	v_cmp_gt_i32_e32 vcc_lo, 0, v42
	v_and_b32_e32 v37, v37, v208
	v_not_b32_e32 v42, v43
	v_ashrrev_i32_e32 v40, 31, v40
	v_xor_b32_e32 v39, s17, v39
	v_cmp_gt_i32_e64 s17, 0, v43
	v_and_b32_e32 v37, v37, v38
	v_not_b32_e32 v38, v207
	v_ashrrev_i32_e32 v42, 31, v42
	v_xor_b32_e32 v40, vcc_lo, v40
	v_cmp_gt_i32_e32 vcc_lo, 0, v207
	v_and_b32_e32 v37, v37, v39
	v_not_b32_e32 v39, v41
	v_ashrrev_i32_e32 v38, 31, v38
	v_xor_b32_e32 v42, s17, v42
	v_mul_u32_u24_e32 v36, 9, v36
	v_and_b32_e32 v37, v37, v40
	v_cmp_gt_i32_e64 s17, 0, v41
	v_ashrrev_i32_e32 v39, 31, v39
	v_xor_b32_e32 v38, vcc_lo, v38
	v_add_lshl_u32 v40, v36, v128, 2
	v_and_b32_e32 v37, v37, v42
	s_delay_alu instid0(VALU_DEP_4) | instskip(SKIP_3) | instid1(VALU_DEP_2)
	v_xor_b32_e32 v36, s17, v39
	ds_load_b32 v207, v40 offset:1056
	v_and_b32_e32 v37, v37, v38
	v_add_nc_u32_e32 v209, 0x420, v40
	; wave barrier
	v_and_b32_e32 v36, v37, v36
	s_delay_alu instid0(VALU_DEP_1) | instskip(SKIP_1) | instid1(VALU_DEP_2)
	v_mbcnt_lo_u32_b32 v208, v36, 0
	v_cmp_ne_u32_e64 s17, 0, v36
	v_cmp_eq_u32_e32 vcc_lo, 0, v208
	s_delay_alu instid0(VALU_DEP_2) | instskip(NEXT) | instid1(SALU_CYCLE_1)
	s_and_b32 s18, s17, vcc_lo
	s_and_saveexec_b32 s17, s18
	s_cbranch_execz .LBB637_764
; %bb.763:                              ;   in Loop: Header=BB637_696 Depth=2
	s_waitcnt lgkmcnt(0)
	v_bcnt_u32_b32 v36, v36, v207
	ds_store_b32 v209, v36
.LBB637_764:                            ;   in Loop: Header=BB637_696 Depth=2
	s_or_b32 exec_lo, exec_lo, s17
	; wave barrier
	s_waitcnt lgkmcnt(0)
	s_barrier
	buffer_gl0_inv
	ds_load_b32 v210, v70 offset:1056
	ds_load_2addr_b32 v[42:43], v71 offset0:1 offset1:2
	ds_load_2addr_b32 v[40:41], v71 offset0:3 offset1:4
	;; [unrolled: 1-line block ×4, first 2 shown]
	s_waitcnt lgkmcnt(3)
	v_add3_u32 v211, v42, v210, v43
	s_waitcnt lgkmcnt(2)
	s_delay_alu instid0(VALU_DEP_1) | instskip(SKIP_1) | instid1(VALU_DEP_1)
	v_add3_u32 v211, v211, v40, v41
	s_waitcnt lgkmcnt(1)
	v_add3_u32 v211, v211, v36, v37
	s_waitcnt lgkmcnt(0)
	s_delay_alu instid0(VALU_DEP_1) | instskip(NEXT) | instid1(VALU_DEP_1)
	v_add3_u32 v39, v211, v38, v39
	v_mov_b32_dpp v211, v39 row_shr:1 row_mask:0xf bank_mask:0xf
	s_delay_alu instid0(VALU_DEP_1) | instskip(NEXT) | instid1(VALU_DEP_1)
	v_cndmask_b32_e64 v211, v211, 0, s0
	v_add_nc_u32_e32 v39, v211, v39
	s_delay_alu instid0(VALU_DEP_1) | instskip(NEXT) | instid1(VALU_DEP_1)
	v_mov_b32_dpp v211, v39 row_shr:2 row_mask:0xf bank_mask:0xf
	v_cndmask_b32_e64 v211, 0, v211, s1
	s_delay_alu instid0(VALU_DEP_1) | instskip(NEXT) | instid1(VALU_DEP_1)
	v_add_nc_u32_e32 v39, v39, v211
	v_mov_b32_dpp v211, v39 row_shr:4 row_mask:0xf bank_mask:0xf
	s_delay_alu instid0(VALU_DEP_1) | instskip(NEXT) | instid1(VALU_DEP_1)
	v_cndmask_b32_e64 v211, 0, v211, s8
	v_add_nc_u32_e32 v39, v39, v211
	s_delay_alu instid0(VALU_DEP_1) | instskip(NEXT) | instid1(VALU_DEP_1)
	v_mov_b32_dpp v211, v39 row_shr:8 row_mask:0xf bank_mask:0xf
	v_cndmask_b32_e64 v211, 0, v211, s9
	s_delay_alu instid0(VALU_DEP_1) | instskip(SKIP_3) | instid1(VALU_DEP_1)
	v_add_nc_u32_e32 v39, v39, v211
	ds_swizzle_b32 v211, v39 offset:swizzle(BROADCAST,32,15)
	s_waitcnt lgkmcnt(0)
	v_cndmask_b32_e64 v211, v211, 0, s10
	v_add_nc_u32_e32 v39, v39, v211
	s_and_saveexec_b32 s17, s3
	s_cbranch_execz .LBB637_766
; %bb.765:                              ;   in Loop: Header=BB637_696 Depth=2
	ds_store_b32 v62, v39 offset:1024
.LBB637_766:                            ;   in Loop: Header=BB637_696 Depth=2
	s_or_b32 exec_lo, exec_lo, s17
	s_waitcnt lgkmcnt(0)
	s_barrier
	buffer_gl0_inv
	s_and_saveexec_b32 s17, s4
	s_cbranch_execz .LBB637_768
; %bb.767:                              ;   in Loop: Header=BB637_696 Depth=2
	v_add_nc_u32_e32 v211, v70, v72
	ds_load_b32 v212, v211 offset:1024
	s_waitcnt lgkmcnt(0)
	v_mov_b32_dpp v213, v212 row_shr:1 row_mask:0xf bank_mask:0xf
	s_delay_alu instid0(VALU_DEP_1) | instskip(NEXT) | instid1(VALU_DEP_1)
	v_cndmask_b32_e64 v213, v213, 0, s12
	v_add_nc_u32_e32 v212, v213, v212
	s_delay_alu instid0(VALU_DEP_1) | instskip(NEXT) | instid1(VALU_DEP_1)
	v_mov_b32_dpp v213, v212 row_shr:2 row_mask:0xf bank_mask:0xf
	v_cndmask_b32_e64 v213, 0, v213, s13
	s_delay_alu instid0(VALU_DEP_1) | instskip(NEXT) | instid1(VALU_DEP_1)
	v_add_nc_u32_e32 v212, v212, v213
	v_mov_b32_dpp v213, v212 row_shr:4 row_mask:0xf bank_mask:0xf
	s_delay_alu instid0(VALU_DEP_1) | instskip(NEXT) | instid1(VALU_DEP_1)
	v_cndmask_b32_e64 v213, 0, v213, s16
	v_add_nc_u32_e32 v212, v212, v213
	ds_store_b32 v211, v212 offset:1024
.LBB637_768:                            ;   in Loop: Header=BB637_696 Depth=2
	s_or_b32 exec_lo, exec_lo, s17
	v_mov_b32_e32 v211, 0
	s_waitcnt lgkmcnt(0)
	s_barrier
	buffer_gl0_inv
	s_and_saveexec_b32 s17, s5
	s_cbranch_execz .LBB637_770
; %bb.769:                              ;   in Loop: Header=BB637_696 Depth=2
	ds_load_b32 v211, v62 offset:1020
.LBB637_770:                            ;   in Loop: Header=BB637_696 Depth=2
	s_or_b32 exec_lo, exec_lo, s17
	s_waitcnt lgkmcnt(0)
	v_add_nc_u32_e32 v39, v211, v39
	ds_bpermute_b32 v39, v107, v39
	s_waitcnt lgkmcnt(0)
	v_cndmask_b32_e64 v39, v39, v211, s11
	s_delay_alu instid0(VALU_DEP_1) | instskip(NEXT) | instid1(VALU_DEP_1)
	v_cndmask_b32_e64 v39, v39, 0, s6
	v_add_nc_u32_e32 v210, v39, v210
	s_delay_alu instid0(VALU_DEP_1) | instskip(NEXT) | instid1(VALU_DEP_1)
	v_add_nc_u32_e32 v42, v210, v42
	v_add_nc_u32_e32 v43, v42, v43
	s_delay_alu instid0(VALU_DEP_1) | instskip(NEXT) | instid1(VALU_DEP_1)
	v_add_nc_u32_e32 v40, v43, v40
	;; [unrolled: 3-line block ×3, first 2 shown]
	v_add_nc_u32_e32 v37, v36, v37
	s_delay_alu instid0(VALU_DEP_1)
	v_add_nc_u32_e32 v38, v37, v38
	ds_store_b32 v70, v39 offset:1056
	ds_store_2addr_b32 v71, v210, v42 offset0:1 offset1:2
	ds_store_2addr_b32 v71, v43, v40 offset0:3 offset1:4
	;; [unrolled: 1-line block ×4, first 2 shown]
	v_mov_b32_e32 v38, 0x1000
	s_waitcnt lgkmcnt(0)
	s_barrier
	buffer_gl0_inv
	ds_load_b32 v39, v154
	ds_load_b32 v40, v158
	;; [unrolled: 1-line block ×16, first 2 shown]
	ds_load_b32 v158, v70 offset:1056
	s_and_saveexec_b32 s17, s7
	s_cbranch_execz .LBB637_772
; %bb.771:                              ;   in Loop: Header=BB637_696 Depth=2
	ds_load_b32 v38, v73 offset:1056
.LBB637_772:                            ;   in Loop: Header=BB637_696 Depth=2
	s_or_b32 exec_lo, exec_lo, s17
	s_waitcnt lgkmcnt(0)
	s_barrier
	buffer_gl0_inv
	s_and_saveexec_b32 s17, s2
	s_cbranch_execz .LBB637_774
; %bb.773:                              ;   in Loop: Header=BB637_696 Depth=2
	ds_load_b32 v162, v44
	s_waitcnt lgkmcnt(0)
	v_sub_nc_u32_e32 v158, v162, v158
	ds_store_b32 v44, v158
.LBB637_774:                            ;   in Loop: Header=BB637_696 Depth=2
	s_or_b32 exec_lo, exec_lo, s17
	v_add_nc_u32_e32 v170, v150, v149
	v_add3_u32 v166, v153, v152, v39
	v_add3_u32 v162, v157, v156, v40
	v_add3_u32 v158, v161, v160, v42
	v_add3_u32 v157, v165, v164, v43
	v_add3_u32 v156, v169, v168, v154
	v_lshlrev_b32_e32 v160, 2, v170
	v_add3_u32 v43, v201, v200, v36
	v_lshlrev_b32_e32 v36, 2, v166
	v_add3_u32 v154, v174, v173, v175
	v_add3_u32 v153, v177, v176, v178
	ds_store_b32 v160, v2 offset:1024
	v_lshlrev_b32_e32 v2, 2, v162
	ds_store_b32 v36, v148 offset:1024
	v_lshlrev_b32_e32 v36, 2, v156
	v_add3_u32 v152, v181, v180, v182
	v_add3_u32 v42, v205, v204, v37
	v_lshlrev_b32_e32 v37, 2, v158
	v_add3_u32 v150, v185, v184, v186
	v_lshlrev_b32_e32 v160, 2, v157
	v_add3_u32 v149, v189, v188, v190
	v_add3_u32 v40, v193, v192, v194
	ds_store_b32 v2, v151 offset:1024
	ds_store_b32 v37, v155 offset:1024
	;; [unrolled: 1-line block ×3, first 2 shown]
	v_lshlrev_b32_e32 v2, 2, v154
	ds_store_b32 v36, v163 offset:1024
	v_lshlrev_b32_e32 v36, 2, v153
	v_lshlrev_b32_e32 v37, 2, v152
	;; [unrolled: 1-line block ×3, first 2 shown]
	v_add3_u32 v39, v197, v196, v198
	v_add3_u32 v41, v208, v207, v41
	ds_store_b32 v2, v167 offset:1024
	v_lshlrev_b32_e32 v2, 2, v149
	ds_store_b32 v36, v172 offset:1024
	ds_store_b32 v37, v171 offset:1024
	;; [unrolled: 1-line block ×3, first 2 shown]
	v_lshlrev_b32_e32 v36, 2, v40
	v_cmp_lt_u32_e32 vcc_lo, v1, v147
	v_lshlrev_b32_e32 v37, 2, v43
	ds_store_b32 v2, v183 offset:1024
	v_lshlrev_b32_e32 v2, 2, v39
	ds_store_b32 v36, v187 offset:1024
	v_lshlrev_b32_e32 v36, 2, v41
	v_lshlrev_b32_e32 v148, 2, v42
	ds_store_b32 v2, v191 offset:1024
	ds_store_b32 v37, v195 offset:1024
	ds_store_b32 v148, v199 offset:1024
	ds_store_b32 v36, v203 offset:1024
	s_waitcnt lgkmcnt(0)
	s_barrier
	buffer_gl0_inv
	s_and_saveexec_b32 s18, vcc_lo
	s_cbranch_execz .LBB637_790
; %bb.775:                              ;   in Loop: Header=BB637_696 Depth=2
	v_add_nc_u32_e32 v2, v70, v72
	ds_load_b32 v148, v2 offset:1024
	s_waitcnt lgkmcnt(0)
	v_lshrrev_b32_e32 v2, s57, v148
	s_delay_alu instid0(VALU_DEP_1) | instskip(NEXT) | instid1(VALU_DEP_1)
	v_and_b32_e32 v2, s39, v2
	v_lshlrev_b32_e32 v2, 2, v2
	ds_load_b32 v2, v2
	s_waitcnt lgkmcnt(0)
	v_add_nc_u32_e32 v2, v2, v1
	s_delay_alu instid0(VALU_DEP_1) | instskip(SKIP_1) | instid1(VALU_DEP_2)
	v_lshlrev_b64 v[36:37], 2, v[2:3]
	v_xor_b32_e32 v2, 0x80000000, v148
	v_add_co_u32 v36, s17, s46, v36
	s_delay_alu instid0(VALU_DEP_1) | instskip(SKIP_3) | instid1(VALU_DEP_1)
	v_add_co_ci_u32_e64 v37, s17, s47, v37, s17
	global_store_b32 v[36:37], v2, off
	s_or_b32 exec_lo, exec_lo, s18
	v_cmp_lt_u32_e64 s17, v45, v147
	s_and_saveexec_b32 s19, s17
	s_cbranch_execnz .LBB637_791
.LBB637_776:                            ;   in Loop: Header=BB637_696 Depth=2
	s_or_b32 exec_lo, exec_lo, s19
	v_cmp_lt_u32_e64 s18, v46, v147
	s_delay_alu instid0(VALU_DEP_1)
	s_and_saveexec_b32 s20, s18
	s_cbranch_execz .LBB637_792
.LBB637_777:                            ;   in Loop: Header=BB637_696 Depth=2
	ds_load_b32 v148, v78 offset:2048
	s_waitcnt lgkmcnt(0)
	v_lshrrev_b32_e32 v2, s57, v148
	s_delay_alu instid0(VALU_DEP_1) | instskip(NEXT) | instid1(VALU_DEP_1)
	v_and_b32_e32 v2, s39, v2
	v_lshlrev_b32_e32 v2, 2, v2
	ds_load_b32 v2, v2
	s_waitcnt lgkmcnt(0)
	v_add_nc_u32_e32 v2, v2, v46
	s_delay_alu instid0(VALU_DEP_1) | instskip(SKIP_1) | instid1(VALU_DEP_2)
	v_lshlrev_b64 v[36:37], 2, v[2:3]
	v_xor_b32_e32 v2, 0x80000000, v148
	v_add_co_u32 v36, s19, s46, v36
	s_delay_alu instid0(VALU_DEP_1) | instskip(SKIP_3) | instid1(VALU_DEP_1)
	v_add_co_ci_u32_e64 v37, s19, s47, v37, s19
	global_store_b32 v[36:37], v2, off
	s_or_b32 exec_lo, exec_lo, s20
	v_cmp_lt_u32_e64 s19, v47, v147
	s_and_saveexec_b32 s21, s19
	s_cbranch_execnz .LBB637_793
.LBB637_778:                            ;   in Loop: Header=BB637_696 Depth=2
	s_or_b32 exec_lo, exec_lo, s21
	v_cmp_lt_u32_e64 s20, v51, v147
	s_delay_alu instid0(VALU_DEP_1)
	s_and_saveexec_b32 s22, s20
	s_cbranch_execz .LBB637_794
.LBB637_779:                            ;   in Loop: Header=BB637_696 Depth=2
	ds_load_b32 v148, v78 offset:4096
	s_waitcnt lgkmcnt(0)
	v_lshrrev_b32_e32 v2, s57, v148
	s_delay_alu instid0(VALU_DEP_1) | instskip(NEXT) | instid1(VALU_DEP_1)
	v_and_b32_e32 v2, s39, v2
	v_lshlrev_b32_e32 v2, 2, v2
	ds_load_b32 v2, v2
	s_waitcnt lgkmcnt(0)
	v_add_nc_u32_e32 v2, v2, v51
	s_delay_alu instid0(VALU_DEP_1) | instskip(SKIP_1) | instid1(VALU_DEP_2)
	v_lshlrev_b64 v[36:37], 2, v[2:3]
	v_xor_b32_e32 v2, 0x80000000, v148
	v_add_co_u32 v36, s21, s46, v36
	s_delay_alu instid0(VALU_DEP_1) | instskip(SKIP_3) | instid1(VALU_DEP_1)
	v_add_co_ci_u32_e64 v37, s21, s47, v37, s21
	global_store_b32 v[36:37], v2, off
	s_or_b32 exec_lo, exec_lo, s22
	v_cmp_lt_u32_e64 s21, v52, v147
	s_and_saveexec_b32 s23, s21
	s_cbranch_execnz .LBB637_795
.LBB637_780:                            ;   in Loop: Header=BB637_696 Depth=2
	s_or_b32 exec_lo, exec_lo, s23
	v_cmp_lt_u32_e64 s22, v53, v147
	s_delay_alu instid0(VALU_DEP_1)
	s_and_saveexec_b32 s24, s22
	s_cbranch_execz .LBB637_796
.LBB637_781:                            ;   in Loop: Header=BB637_696 Depth=2
	ds_load_b32 v148, v78 offset:6144
	s_waitcnt lgkmcnt(0)
	v_lshrrev_b32_e32 v2, s57, v148
	s_delay_alu instid0(VALU_DEP_1) | instskip(NEXT) | instid1(VALU_DEP_1)
	v_and_b32_e32 v2, s39, v2
	v_lshlrev_b32_e32 v2, 2, v2
	ds_load_b32 v2, v2
	s_waitcnt lgkmcnt(0)
	v_add_nc_u32_e32 v2, v2, v53
	s_delay_alu instid0(VALU_DEP_1) | instskip(SKIP_1) | instid1(VALU_DEP_2)
	v_lshlrev_b64 v[36:37], 2, v[2:3]
	v_xor_b32_e32 v2, 0x80000000, v148
	v_add_co_u32 v36, s23, s46, v36
	s_delay_alu instid0(VALU_DEP_1) | instskip(SKIP_3) | instid1(VALU_DEP_1)
	v_add_co_ci_u32_e64 v37, s23, s47, v37, s23
	global_store_b32 v[36:37], v2, off
	s_or_b32 exec_lo, exec_lo, s24
	v_cmp_lt_u32_e64 s23, v54, v147
	s_and_saveexec_b32 s25, s23
	s_cbranch_execnz .LBB637_797
.LBB637_782:                            ;   in Loop: Header=BB637_696 Depth=2
	s_or_b32 exec_lo, exec_lo, s25
	v_cmp_lt_u32_e64 s24, v55, v147
	s_delay_alu instid0(VALU_DEP_1)
	s_and_saveexec_b32 s26, s24
	s_cbranch_execz .LBB637_798
.LBB637_783:                            ;   in Loop: Header=BB637_696 Depth=2
	ds_load_b32 v148, v78 offset:8192
	s_waitcnt lgkmcnt(0)
	v_lshrrev_b32_e32 v2, s57, v148
	s_delay_alu instid0(VALU_DEP_1) | instskip(NEXT) | instid1(VALU_DEP_1)
	v_and_b32_e32 v2, s39, v2
	v_lshlrev_b32_e32 v2, 2, v2
	ds_load_b32 v2, v2
	s_waitcnt lgkmcnt(0)
	v_add_nc_u32_e32 v2, v2, v55
	s_delay_alu instid0(VALU_DEP_1) | instskip(SKIP_1) | instid1(VALU_DEP_2)
	v_lshlrev_b64 v[36:37], 2, v[2:3]
	v_xor_b32_e32 v2, 0x80000000, v148
	v_add_co_u32 v36, s25, s46, v36
	s_delay_alu instid0(VALU_DEP_1) | instskip(SKIP_3) | instid1(VALU_DEP_1)
	v_add_co_ci_u32_e64 v37, s25, s47, v37, s25
	global_store_b32 v[36:37], v2, off
	s_or_b32 exec_lo, exec_lo, s26
	v_cmp_lt_u32_e64 s25, v56, v147
	s_and_saveexec_b32 s27, s25
	s_cbranch_execnz .LBB637_799
.LBB637_784:                            ;   in Loop: Header=BB637_696 Depth=2
	s_or_b32 exec_lo, exec_lo, s27
	v_cmp_lt_u32_e64 s26, v57, v147
	s_delay_alu instid0(VALU_DEP_1)
	s_and_saveexec_b32 s28, s26
	s_cbranch_execz .LBB637_800
.LBB637_785:                            ;   in Loop: Header=BB637_696 Depth=2
	ds_load_b32 v148, v78 offset:10240
	s_waitcnt lgkmcnt(0)
	v_lshrrev_b32_e32 v2, s57, v148
	s_delay_alu instid0(VALU_DEP_1) | instskip(NEXT) | instid1(VALU_DEP_1)
	v_and_b32_e32 v2, s39, v2
	v_lshlrev_b32_e32 v2, 2, v2
	ds_load_b32 v2, v2
	s_waitcnt lgkmcnt(0)
	v_add_nc_u32_e32 v2, v2, v57
	s_delay_alu instid0(VALU_DEP_1) | instskip(SKIP_1) | instid1(VALU_DEP_2)
	v_lshlrev_b64 v[36:37], 2, v[2:3]
	v_xor_b32_e32 v2, 0x80000000, v148
	v_add_co_u32 v36, s27, s46, v36
	s_delay_alu instid0(VALU_DEP_1) | instskip(SKIP_3) | instid1(VALU_DEP_1)
	v_add_co_ci_u32_e64 v37, s27, s47, v37, s27
	global_store_b32 v[36:37], v2, off
	s_or_b32 exec_lo, exec_lo, s28
	v_cmp_lt_u32_e64 s27, v58, v147
	s_and_saveexec_b32 s29, s27
	s_cbranch_execnz .LBB637_801
.LBB637_786:                            ;   in Loop: Header=BB637_696 Depth=2
	s_or_b32 exec_lo, exec_lo, s29
	v_cmp_lt_u32_e64 s28, v59, v147
	s_delay_alu instid0(VALU_DEP_1)
	s_and_saveexec_b32 s30, s28
	s_cbranch_execz .LBB637_802
.LBB637_787:                            ;   in Loop: Header=BB637_696 Depth=2
	ds_load_b32 v148, v78 offset:12288
	s_waitcnt lgkmcnt(0)
	v_lshrrev_b32_e32 v2, s57, v148
	s_delay_alu instid0(VALU_DEP_1) | instskip(NEXT) | instid1(VALU_DEP_1)
	v_and_b32_e32 v2, s39, v2
	v_lshlrev_b32_e32 v2, 2, v2
	ds_load_b32 v2, v2
	s_waitcnt lgkmcnt(0)
	v_add_nc_u32_e32 v2, v2, v59
	s_delay_alu instid0(VALU_DEP_1) | instskip(SKIP_1) | instid1(VALU_DEP_2)
	v_lshlrev_b64 v[36:37], 2, v[2:3]
	v_xor_b32_e32 v2, 0x80000000, v148
	v_add_co_u32 v36, s29, s46, v36
	s_delay_alu instid0(VALU_DEP_1) | instskip(SKIP_3) | instid1(VALU_DEP_1)
	v_add_co_ci_u32_e64 v37, s29, s47, v37, s29
	global_store_b32 v[36:37], v2, off
	s_or_b32 exec_lo, exec_lo, s30
	v_cmp_lt_u32_e64 s29, v60, v147
	s_and_saveexec_b32 s31, s29
	s_cbranch_execnz .LBB637_803
.LBB637_788:                            ;   in Loop: Header=BB637_696 Depth=2
	s_or_b32 exec_lo, exec_lo, s31
	v_cmp_lt_u32_e64 s30, v61, v147
	s_delay_alu instid0(VALU_DEP_1)
	s_and_saveexec_b32 s33, s30
	s_cbranch_execz .LBB637_804
.LBB637_789:                            ;   in Loop: Header=BB637_696 Depth=2
	ds_load_b32 v148, v78 offset:14336
	s_waitcnt lgkmcnt(0)
	v_lshrrev_b32_e32 v2, s57, v148
	s_delay_alu instid0(VALU_DEP_1) | instskip(NEXT) | instid1(VALU_DEP_1)
	v_and_b32_e32 v2, s39, v2
	v_lshlrev_b32_e32 v2, 2, v2
	ds_load_b32 v2, v2
	s_waitcnt lgkmcnt(0)
	v_add_nc_u32_e32 v2, v2, v61
	s_delay_alu instid0(VALU_DEP_1) | instskip(SKIP_1) | instid1(VALU_DEP_2)
	v_lshlrev_b64 v[36:37], 2, v[2:3]
	v_xor_b32_e32 v2, 0x80000000, v148
	v_add_co_u32 v36, s31, s46, v36
	s_delay_alu instid0(VALU_DEP_1) | instskip(SKIP_3) | instid1(VALU_DEP_1)
	v_add_co_ci_u32_e64 v37, s31, s47, v37, s31
	global_store_b32 v[36:37], v2, off
	s_or_b32 exec_lo, exec_lo, s33
	v_cmp_lt_u32_e64 s31, v63, v147
	s_and_saveexec_b32 s42, s31
	s_cbranch_execnz .LBB637_805
	s_branch .LBB637_806
.LBB637_790:                            ;   in Loop: Header=BB637_696 Depth=2
	s_or_b32 exec_lo, exec_lo, s18
	v_cmp_lt_u32_e64 s17, v45, v147
	s_delay_alu instid0(VALU_DEP_1)
	s_and_saveexec_b32 s19, s17
	s_cbranch_execz .LBB637_776
.LBB637_791:                            ;   in Loop: Header=BB637_696 Depth=2
	ds_load_b32 v148, v78 offset:1024
	s_waitcnt lgkmcnt(0)
	v_lshrrev_b32_e32 v2, s57, v148
	s_delay_alu instid0(VALU_DEP_1) | instskip(NEXT) | instid1(VALU_DEP_1)
	v_and_b32_e32 v2, s39, v2
	v_lshlrev_b32_e32 v2, 2, v2
	ds_load_b32 v2, v2
	s_waitcnt lgkmcnt(0)
	v_add_nc_u32_e32 v2, v2, v45
	s_delay_alu instid0(VALU_DEP_1) | instskip(SKIP_1) | instid1(VALU_DEP_2)
	v_lshlrev_b64 v[36:37], 2, v[2:3]
	v_xor_b32_e32 v2, 0x80000000, v148
	v_add_co_u32 v36, s18, s46, v36
	s_delay_alu instid0(VALU_DEP_1) | instskip(SKIP_3) | instid1(VALU_DEP_1)
	v_add_co_ci_u32_e64 v37, s18, s47, v37, s18
	global_store_b32 v[36:37], v2, off
	s_or_b32 exec_lo, exec_lo, s19
	v_cmp_lt_u32_e64 s18, v46, v147
	s_and_saveexec_b32 s20, s18
	s_cbranch_execnz .LBB637_777
.LBB637_792:                            ;   in Loop: Header=BB637_696 Depth=2
	s_or_b32 exec_lo, exec_lo, s20
	v_cmp_lt_u32_e64 s19, v47, v147
	s_delay_alu instid0(VALU_DEP_1)
	s_and_saveexec_b32 s21, s19
	s_cbranch_execz .LBB637_778
.LBB637_793:                            ;   in Loop: Header=BB637_696 Depth=2
	ds_load_b32 v148, v78 offset:3072
	s_waitcnt lgkmcnt(0)
	v_lshrrev_b32_e32 v2, s57, v148
	s_delay_alu instid0(VALU_DEP_1) | instskip(NEXT) | instid1(VALU_DEP_1)
	v_and_b32_e32 v2, s39, v2
	v_lshlrev_b32_e32 v2, 2, v2
	ds_load_b32 v2, v2
	s_waitcnt lgkmcnt(0)
	v_add_nc_u32_e32 v2, v2, v47
	s_delay_alu instid0(VALU_DEP_1) | instskip(SKIP_1) | instid1(VALU_DEP_2)
	v_lshlrev_b64 v[36:37], 2, v[2:3]
	v_xor_b32_e32 v2, 0x80000000, v148
	v_add_co_u32 v36, s20, s46, v36
	s_delay_alu instid0(VALU_DEP_1) | instskip(SKIP_3) | instid1(VALU_DEP_1)
	v_add_co_ci_u32_e64 v37, s20, s47, v37, s20
	global_store_b32 v[36:37], v2, off
	s_or_b32 exec_lo, exec_lo, s21
	v_cmp_lt_u32_e64 s20, v51, v147
	s_and_saveexec_b32 s22, s20
	s_cbranch_execnz .LBB637_779
.LBB637_794:                            ;   in Loop: Header=BB637_696 Depth=2
	s_or_b32 exec_lo, exec_lo, s22
	v_cmp_lt_u32_e64 s21, v52, v147
	s_delay_alu instid0(VALU_DEP_1)
	s_and_saveexec_b32 s23, s21
	s_cbranch_execz .LBB637_780
.LBB637_795:                            ;   in Loop: Header=BB637_696 Depth=2
	ds_load_b32 v148, v78 offset:5120
	s_waitcnt lgkmcnt(0)
	v_lshrrev_b32_e32 v2, s57, v148
	s_delay_alu instid0(VALU_DEP_1) | instskip(NEXT) | instid1(VALU_DEP_1)
	v_and_b32_e32 v2, s39, v2
	v_lshlrev_b32_e32 v2, 2, v2
	ds_load_b32 v2, v2
	s_waitcnt lgkmcnt(0)
	v_add_nc_u32_e32 v2, v2, v52
	s_delay_alu instid0(VALU_DEP_1) | instskip(SKIP_1) | instid1(VALU_DEP_2)
	v_lshlrev_b64 v[36:37], 2, v[2:3]
	v_xor_b32_e32 v2, 0x80000000, v148
	v_add_co_u32 v36, s22, s46, v36
	s_delay_alu instid0(VALU_DEP_1) | instskip(SKIP_3) | instid1(VALU_DEP_1)
	v_add_co_ci_u32_e64 v37, s22, s47, v37, s22
	global_store_b32 v[36:37], v2, off
	s_or_b32 exec_lo, exec_lo, s23
	v_cmp_lt_u32_e64 s22, v53, v147
	s_and_saveexec_b32 s24, s22
	s_cbranch_execnz .LBB637_781
.LBB637_796:                            ;   in Loop: Header=BB637_696 Depth=2
	s_or_b32 exec_lo, exec_lo, s24
	v_cmp_lt_u32_e64 s23, v54, v147
	s_delay_alu instid0(VALU_DEP_1)
	s_and_saveexec_b32 s25, s23
	s_cbranch_execz .LBB637_782
.LBB637_797:                            ;   in Loop: Header=BB637_696 Depth=2
	ds_load_b32 v148, v78 offset:7168
	s_waitcnt lgkmcnt(0)
	v_lshrrev_b32_e32 v2, s57, v148
	s_delay_alu instid0(VALU_DEP_1) | instskip(NEXT) | instid1(VALU_DEP_1)
	v_and_b32_e32 v2, s39, v2
	v_lshlrev_b32_e32 v2, 2, v2
	ds_load_b32 v2, v2
	s_waitcnt lgkmcnt(0)
	v_add_nc_u32_e32 v2, v2, v54
	s_delay_alu instid0(VALU_DEP_1) | instskip(SKIP_1) | instid1(VALU_DEP_2)
	v_lshlrev_b64 v[36:37], 2, v[2:3]
	v_xor_b32_e32 v2, 0x80000000, v148
	v_add_co_u32 v36, s24, s46, v36
	s_delay_alu instid0(VALU_DEP_1) | instskip(SKIP_3) | instid1(VALU_DEP_1)
	v_add_co_ci_u32_e64 v37, s24, s47, v37, s24
	global_store_b32 v[36:37], v2, off
	s_or_b32 exec_lo, exec_lo, s25
	v_cmp_lt_u32_e64 s24, v55, v147
	s_and_saveexec_b32 s26, s24
	s_cbranch_execnz .LBB637_783
.LBB637_798:                            ;   in Loop: Header=BB637_696 Depth=2
	s_or_b32 exec_lo, exec_lo, s26
	v_cmp_lt_u32_e64 s25, v56, v147
	s_delay_alu instid0(VALU_DEP_1)
	s_and_saveexec_b32 s27, s25
	s_cbranch_execz .LBB637_784
.LBB637_799:                            ;   in Loop: Header=BB637_696 Depth=2
	ds_load_b32 v148, v78 offset:9216
	s_waitcnt lgkmcnt(0)
	v_lshrrev_b32_e32 v2, s57, v148
	s_delay_alu instid0(VALU_DEP_1) | instskip(NEXT) | instid1(VALU_DEP_1)
	v_and_b32_e32 v2, s39, v2
	v_lshlrev_b32_e32 v2, 2, v2
	ds_load_b32 v2, v2
	s_waitcnt lgkmcnt(0)
	v_add_nc_u32_e32 v2, v2, v56
	s_delay_alu instid0(VALU_DEP_1) | instskip(SKIP_1) | instid1(VALU_DEP_2)
	v_lshlrev_b64 v[36:37], 2, v[2:3]
	v_xor_b32_e32 v2, 0x80000000, v148
	v_add_co_u32 v36, s26, s46, v36
	s_delay_alu instid0(VALU_DEP_1) | instskip(SKIP_3) | instid1(VALU_DEP_1)
	v_add_co_ci_u32_e64 v37, s26, s47, v37, s26
	global_store_b32 v[36:37], v2, off
	s_or_b32 exec_lo, exec_lo, s27
	v_cmp_lt_u32_e64 s26, v57, v147
	s_and_saveexec_b32 s28, s26
	s_cbranch_execnz .LBB637_785
.LBB637_800:                            ;   in Loop: Header=BB637_696 Depth=2
	s_or_b32 exec_lo, exec_lo, s28
	v_cmp_lt_u32_e64 s27, v58, v147
	s_delay_alu instid0(VALU_DEP_1)
	s_and_saveexec_b32 s29, s27
	s_cbranch_execz .LBB637_786
.LBB637_801:                            ;   in Loop: Header=BB637_696 Depth=2
	ds_load_b32 v148, v78 offset:11264
	s_waitcnt lgkmcnt(0)
	v_lshrrev_b32_e32 v2, s57, v148
	s_delay_alu instid0(VALU_DEP_1) | instskip(NEXT) | instid1(VALU_DEP_1)
	v_and_b32_e32 v2, s39, v2
	v_lshlrev_b32_e32 v2, 2, v2
	ds_load_b32 v2, v2
	s_waitcnt lgkmcnt(0)
	v_add_nc_u32_e32 v2, v2, v58
	s_delay_alu instid0(VALU_DEP_1) | instskip(SKIP_1) | instid1(VALU_DEP_2)
	v_lshlrev_b64 v[36:37], 2, v[2:3]
	v_xor_b32_e32 v2, 0x80000000, v148
	v_add_co_u32 v36, s28, s46, v36
	s_delay_alu instid0(VALU_DEP_1) | instskip(SKIP_3) | instid1(VALU_DEP_1)
	v_add_co_ci_u32_e64 v37, s28, s47, v37, s28
	global_store_b32 v[36:37], v2, off
	s_or_b32 exec_lo, exec_lo, s29
	v_cmp_lt_u32_e64 s28, v59, v147
	s_and_saveexec_b32 s30, s28
	s_cbranch_execnz .LBB637_787
.LBB637_802:                            ;   in Loop: Header=BB637_696 Depth=2
	s_or_b32 exec_lo, exec_lo, s30
	v_cmp_lt_u32_e64 s29, v60, v147
	s_delay_alu instid0(VALU_DEP_1)
	s_and_saveexec_b32 s31, s29
	s_cbranch_execz .LBB637_788
.LBB637_803:                            ;   in Loop: Header=BB637_696 Depth=2
	ds_load_b32 v148, v78 offset:13312
	s_waitcnt lgkmcnt(0)
	v_lshrrev_b32_e32 v2, s57, v148
	s_delay_alu instid0(VALU_DEP_1) | instskip(NEXT) | instid1(VALU_DEP_1)
	v_and_b32_e32 v2, s39, v2
	v_lshlrev_b32_e32 v2, 2, v2
	ds_load_b32 v2, v2
	s_waitcnt lgkmcnt(0)
	v_add_nc_u32_e32 v2, v2, v60
	s_delay_alu instid0(VALU_DEP_1) | instskip(SKIP_1) | instid1(VALU_DEP_2)
	v_lshlrev_b64 v[36:37], 2, v[2:3]
	v_xor_b32_e32 v2, 0x80000000, v148
	v_add_co_u32 v36, s30, s46, v36
	s_delay_alu instid0(VALU_DEP_1) | instskip(SKIP_3) | instid1(VALU_DEP_1)
	v_add_co_ci_u32_e64 v37, s30, s47, v37, s30
	global_store_b32 v[36:37], v2, off
	s_or_b32 exec_lo, exec_lo, s31
	v_cmp_lt_u32_e64 s30, v61, v147
	s_and_saveexec_b32 s33, s30
	s_cbranch_execnz .LBB637_789
.LBB637_804:                            ;   in Loop: Header=BB637_696 Depth=2
	s_or_b32 exec_lo, exec_lo, s33
	v_cmp_lt_u32_e64 s31, v63, v147
	s_delay_alu instid0(VALU_DEP_1)
	s_and_saveexec_b32 s42, s31
	s_cbranch_execz .LBB637_806
.LBB637_805:                            ;   in Loop: Header=BB637_696 Depth=2
	ds_load_b32 v148, v78 offset:15360
	s_waitcnt lgkmcnt(0)
	v_lshrrev_b32_e32 v2, s57, v148
	s_delay_alu instid0(VALU_DEP_1) | instskip(NEXT) | instid1(VALU_DEP_1)
	v_and_b32_e32 v2, s39, v2
	v_lshlrev_b32_e32 v2, 2, v2
	ds_load_b32 v2, v2
	s_waitcnt lgkmcnt(0)
	v_add_nc_u32_e32 v2, v2, v63
	s_delay_alu instid0(VALU_DEP_1) | instskip(SKIP_1) | instid1(VALU_DEP_2)
	v_lshlrev_b64 v[36:37], 2, v[2:3]
	v_xor_b32_e32 v2, 0x80000000, v148
	v_add_co_u32 v36, s33, s46, v36
	s_delay_alu instid0(VALU_DEP_1)
	v_add_co_ci_u32_e64 v37, s33, s47, v37, s33
	global_store_b32 v[36:37], v2, off
.LBB637_806:                            ;   in Loop: Header=BB637_696 Depth=2
	s_or_b32 exec_lo, exec_lo, s42
	s_lshl_b64 s[42:43], s[34:35], 3
	s_delay_alu instid0(SALU_CYCLE_1) | instskip(NEXT) | instid1(VALU_DEP_1)
	v_add_co_u32 v36, s33, v109, s42
	v_add_co_ci_u32_e64 v37, s33, s43, v110, s33
	v_cmp_lt_u32_e64 s33, v108, v147
	s_delay_alu instid0(VALU_DEP_1) | instskip(NEXT) | instid1(SALU_CYCLE_1)
	s_and_saveexec_b32 s34, s33
	s_xor_b32 s33, exec_lo, s34
	s_cbranch_execz .LBB637_838
; %bb.807:                              ;   in Loop: Header=BB637_696 Depth=2
	global_load_b64 v[34:35], v[36:37], off
	s_or_b32 exec_lo, exec_lo, s33
	s_delay_alu instid0(SALU_CYCLE_1)
	s_mov_b32 s34, exec_lo
	v_cmpx_lt_u32_e64 v111, v147
	s_cbranch_execnz .LBB637_839
.LBB637_808:                            ;   in Loop: Header=BB637_696 Depth=2
	s_or_b32 exec_lo, exec_lo, s34
	s_delay_alu instid0(SALU_CYCLE_1)
	s_mov_b32 s34, exec_lo
	v_cmpx_lt_u32_e64 v112, v147
	s_cbranch_execz .LBB637_840
.LBB637_809:                            ;   in Loop: Header=BB637_696 Depth=2
	global_load_b64 v[30:31], v[36:37], off offset:512
	s_or_b32 exec_lo, exec_lo, s34
	s_delay_alu instid0(SALU_CYCLE_1)
	s_mov_b32 s34, exec_lo
	v_cmpx_lt_u32_e64 v113, v147
	s_cbranch_execnz .LBB637_841
.LBB637_810:                            ;   in Loop: Header=BB637_696 Depth=2
	s_or_b32 exec_lo, exec_lo, s34
	s_delay_alu instid0(SALU_CYCLE_1)
	s_mov_b32 s34, exec_lo
	v_cmpx_lt_u32_e64 v114, v147
	s_cbranch_execz .LBB637_842
.LBB637_811:                            ;   in Loop: Header=BB637_696 Depth=2
	global_load_b64 v[26:27], v[36:37], off offset:1024
	s_or_b32 exec_lo, exec_lo, s34
	s_delay_alu instid0(SALU_CYCLE_1)
	s_mov_b32 s34, exec_lo
	v_cmpx_lt_u32_e64 v115, v147
	s_cbranch_execnz .LBB637_843
.LBB637_812:                            ;   in Loop: Header=BB637_696 Depth=2
	s_or_b32 exec_lo, exec_lo, s34
	s_delay_alu instid0(SALU_CYCLE_1)
	s_mov_b32 s34, exec_lo
	v_cmpx_lt_u32_e64 v116, v147
	s_cbranch_execz .LBB637_844
.LBB637_813:                            ;   in Loop: Header=BB637_696 Depth=2
	global_load_b64 v[22:23], v[36:37], off offset:1536
	s_or_b32 exec_lo, exec_lo, s34
	s_delay_alu instid0(SALU_CYCLE_1)
	s_mov_b32 s34, exec_lo
	v_cmpx_lt_u32_e64 v117, v147
	s_cbranch_execnz .LBB637_845
.LBB637_814:                            ;   in Loop: Header=BB637_696 Depth=2
	s_or_b32 exec_lo, exec_lo, s34
	s_delay_alu instid0(SALU_CYCLE_1)
	s_mov_b32 s34, exec_lo
	v_cmpx_lt_u32_e64 v118, v147
	s_cbranch_execz .LBB637_846
.LBB637_815:                            ;   in Loop: Header=BB637_696 Depth=2
	global_load_b64 v[18:19], v[36:37], off offset:2048
	s_or_b32 exec_lo, exec_lo, s34
	s_delay_alu instid0(SALU_CYCLE_1)
	s_mov_b32 s34, exec_lo
	v_cmpx_lt_u32_e64 v119, v147
	s_cbranch_execnz .LBB637_847
.LBB637_816:                            ;   in Loop: Header=BB637_696 Depth=2
	s_or_b32 exec_lo, exec_lo, s34
	s_delay_alu instid0(SALU_CYCLE_1)
	s_mov_b32 s34, exec_lo
	v_cmpx_lt_u32_e64 v120, v147
	s_cbranch_execz .LBB637_848
.LBB637_817:                            ;   in Loop: Header=BB637_696 Depth=2
	global_load_b64 v[14:15], v[36:37], off offset:2560
	s_or_b32 exec_lo, exec_lo, s34
	s_delay_alu instid0(SALU_CYCLE_1)
	s_mov_b32 s34, exec_lo
	v_cmpx_lt_u32_e64 v121, v147
	s_cbranch_execnz .LBB637_849
.LBB637_818:                            ;   in Loop: Header=BB637_696 Depth=2
	s_or_b32 exec_lo, exec_lo, s34
	s_delay_alu instid0(SALU_CYCLE_1)
	s_mov_b32 s34, exec_lo
	v_cmpx_lt_u32_e64 v122, v147
	s_cbranch_execz .LBB637_850
.LBB637_819:                            ;   in Loop: Header=BB637_696 Depth=2
	global_load_b64 v[10:11], v[36:37], off offset:3072
	s_or_b32 exec_lo, exec_lo, s34
	s_delay_alu instid0(SALU_CYCLE_1)
	s_mov_b32 s34, exec_lo
	v_cmpx_lt_u32_e64 v123, v147
	s_cbranch_execnz .LBB637_851
.LBB637_820:                            ;   in Loop: Header=BB637_696 Depth=2
	s_or_b32 exec_lo, exec_lo, s34
	s_delay_alu instid0(SALU_CYCLE_1)
	s_mov_b32 s34, exec_lo
	v_cmpx_lt_u32_e64 v124, v147
	s_cbranch_execz .LBB637_852
.LBB637_821:                            ;   in Loop: Header=BB637_696 Depth=2
	global_load_b64 v[6:7], v[36:37], off offset:3584
	s_or_b32 exec_lo, exec_lo, s34
	s_delay_alu instid0(SALU_CYCLE_1)
	s_mov_b32 s34, exec_lo
	v_cmpx_lt_u32_e64 v125, v147
	s_cbranch_execnz .LBB637_853
.LBB637_822:                            ;   in Loop: Header=BB637_696 Depth=2
	s_or_b32 exec_lo, exec_lo, s34
	s_and_saveexec_b32 s33, vcc_lo
	s_cbranch_execz .LBB637_854
.LBB637_823:                            ;   in Loop: Header=BB637_696 Depth=2
	v_add_nc_u32_e32 v2, v70, v72
	ds_load_b32 v2, v2 offset:1024
	s_waitcnt lgkmcnt(0)
	v_lshrrev_b32_e32 v2, s57, v2
	s_delay_alu instid0(VALU_DEP_1)
	v_and_b32_e32 v146, s39, v2
	s_or_b32 exec_lo, exec_lo, s33
	s_and_saveexec_b32 s33, s17
	s_cbranch_execnz .LBB637_855
.LBB637_824:                            ;   in Loop: Header=BB637_696 Depth=2
	s_or_b32 exec_lo, exec_lo, s33
	s_and_saveexec_b32 s33, s18
	s_cbranch_execz .LBB637_856
.LBB637_825:                            ;   in Loop: Header=BB637_696 Depth=2
	ds_load_b32 v2, v78 offset:2048
	s_waitcnt lgkmcnt(0)
	v_lshrrev_b32_e32 v2, s57, v2
	s_delay_alu instid0(VALU_DEP_1)
	v_and_b32_e32 v144, s39, v2
	s_or_b32 exec_lo, exec_lo, s33
	s_and_saveexec_b32 s33, s19
	s_cbranch_execnz .LBB637_857
.LBB637_826:                            ;   in Loop: Header=BB637_696 Depth=2
	s_or_b32 exec_lo, exec_lo, s33
	s_and_saveexec_b32 s33, s20
	s_cbranch_execz .LBB637_858
.LBB637_827:                            ;   in Loop: Header=BB637_696 Depth=2
	ds_load_b32 v2, v78 offset:4096
	s_waitcnt lgkmcnt(0)
	v_lshrrev_b32_e32 v2, s57, v2
	s_delay_alu instid0(VALU_DEP_1)
	v_and_b32_e32 v142, s39, v2
	s_or_b32 exec_lo, exec_lo, s33
	s_and_saveexec_b32 s33, s21
	s_cbranch_execnz .LBB637_859
.LBB637_828:                            ;   in Loop: Header=BB637_696 Depth=2
	s_or_b32 exec_lo, exec_lo, s33
	s_and_saveexec_b32 s33, s22
	s_cbranch_execz .LBB637_860
.LBB637_829:                            ;   in Loop: Header=BB637_696 Depth=2
	ds_load_b32 v2, v78 offset:6144
	s_waitcnt lgkmcnt(0)
	v_lshrrev_b32_e32 v2, s57, v2
	s_delay_alu instid0(VALU_DEP_1)
	v_and_b32_e32 v140, s39, v2
	s_or_b32 exec_lo, exec_lo, s33
	s_and_saveexec_b32 s33, s23
	s_cbranch_execnz .LBB637_861
.LBB637_830:                            ;   in Loop: Header=BB637_696 Depth=2
	s_or_b32 exec_lo, exec_lo, s33
	s_and_saveexec_b32 s33, s24
	s_cbranch_execz .LBB637_862
.LBB637_831:                            ;   in Loop: Header=BB637_696 Depth=2
	ds_load_b32 v2, v78 offset:8192
	s_waitcnt lgkmcnt(0)
	v_lshrrev_b32_e32 v2, s57, v2
	s_delay_alu instid0(VALU_DEP_1)
	v_and_b32_e32 v138, s39, v2
	s_or_b32 exec_lo, exec_lo, s33
	s_and_saveexec_b32 s33, s25
	s_cbranch_execnz .LBB637_863
.LBB637_832:                            ;   in Loop: Header=BB637_696 Depth=2
	s_or_b32 exec_lo, exec_lo, s33
	s_and_saveexec_b32 s33, s26
	s_cbranch_execz .LBB637_864
.LBB637_833:                            ;   in Loop: Header=BB637_696 Depth=2
	ds_load_b32 v2, v78 offset:10240
	s_waitcnt lgkmcnt(0)
	v_lshrrev_b32_e32 v2, s57, v2
	s_delay_alu instid0(VALU_DEP_1)
	v_and_b32_e32 v136, s39, v2
	s_or_b32 exec_lo, exec_lo, s33
	s_and_saveexec_b32 s33, s27
	s_cbranch_execnz .LBB637_865
.LBB637_834:                            ;   in Loop: Header=BB637_696 Depth=2
	s_or_b32 exec_lo, exec_lo, s33
	s_and_saveexec_b32 s33, s28
	s_cbranch_execz .LBB637_866
.LBB637_835:                            ;   in Loop: Header=BB637_696 Depth=2
	ds_load_b32 v2, v78 offset:12288
	s_waitcnt lgkmcnt(0)
	v_lshrrev_b32_e32 v2, s57, v2
	s_delay_alu instid0(VALU_DEP_1)
	v_and_b32_e32 v134, s39, v2
	s_or_b32 exec_lo, exec_lo, s33
	s_and_saveexec_b32 s33, s29
	s_cbranch_execnz .LBB637_867
.LBB637_836:                            ;   in Loop: Header=BB637_696 Depth=2
	s_or_b32 exec_lo, exec_lo, s33
	s_and_saveexec_b32 s33, s30
	s_cbranch_execz .LBB637_868
.LBB637_837:                            ;   in Loop: Header=BB637_696 Depth=2
	ds_load_b32 v2, v78 offset:14336
	s_waitcnt lgkmcnt(0)
	v_lshrrev_b32_e32 v2, s57, v2
	s_delay_alu instid0(VALU_DEP_1)
	v_and_b32_e32 v132, s39, v2
	s_or_b32 exec_lo, exec_lo, s33
	s_and_saveexec_b32 s33, s31
	s_cbranch_execnz .LBB637_869
	s_branch .LBB637_870
.LBB637_838:                            ;   in Loop: Header=BB637_696 Depth=2
	s_or_b32 exec_lo, exec_lo, s33
	s_delay_alu instid0(SALU_CYCLE_1)
	s_mov_b32 s34, exec_lo
	v_cmpx_lt_u32_e64 v111, v147
	s_cbranch_execz .LBB637_808
.LBB637_839:                            ;   in Loop: Header=BB637_696 Depth=2
	global_load_b64 v[32:33], v[36:37], off offset:256
	s_or_b32 exec_lo, exec_lo, s34
	s_delay_alu instid0(SALU_CYCLE_1)
	s_mov_b32 s34, exec_lo
	v_cmpx_lt_u32_e64 v112, v147
	s_cbranch_execnz .LBB637_809
.LBB637_840:                            ;   in Loop: Header=BB637_696 Depth=2
	s_or_b32 exec_lo, exec_lo, s34
	s_delay_alu instid0(SALU_CYCLE_1)
	s_mov_b32 s34, exec_lo
	v_cmpx_lt_u32_e64 v113, v147
	s_cbranch_execz .LBB637_810
.LBB637_841:                            ;   in Loop: Header=BB637_696 Depth=2
	global_load_b64 v[28:29], v[36:37], off offset:768
	s_or_b32 exec_lo, exec_lo, s34
	s_delay_alu instid0(SALU_CYCLE_1)
	s_mov_b32 s34, exec_lo
	v_cmpx_lt_u32_e64 v114, v147
	s_cbranch_execnz .LBB637_811
.LBB637_842:                            ;   in Loop: Header=BB637_696 Depth=2
	s_or_b32 exec_lo, exec_lo, s34
	s_delay_alu instid0(SALU_CYCLE_1)
	s_mov_b32 s34, exec_lo
	v_cmpx_lt_u32_e64 v115, v147
	s_cbranch_execz .LBB637_812
.LBB637_843:                            ;   in Loop: Header=BB637_696 Depth=2
	global_load_b64 v[24:25], v[36:37], off offset:1280
	s_or_b32 exec_lo, exec_lo, s34
	s_delay_alu instid0(SALU_CYCLE_1)
	s_mov_b32 s34, exec_lo
	v_cmpx_lt_u32_e64 v116, v147
	s_cbranch_execnz .LBB637_813
.LBB637_844:                            ;   in Loop: Header=BB637_696 Depth=2
	s_or_b32 exec_lo, exec_lo, s34
	s_delay_alu instid0(SALU_CYCLE_1)
	s_mov_b32 s34, exec_lo
	v_cmpx_lt_u32_e64 v117, v147
	s_cbranch_execz .LBB637_814
.LBB637_845:                            ;   in Loop: Header=BB637_696 Depth=2
	global_load_b64 v[20:21], v[36:37], off offset:1792
	s_or_b32 exec_lo, exec_lo, s34
	s_delay_alu instid0(SALU_CYCLE_1)
	s_mov_b32 s34, exec_lo
	v_cmpx_lt_u32_e64 v118, v147
	s_cbranch_execnz .LBB637_815
.LBB637_846:                            ;   in Loop: Header=BB637_696 Depth=2
	s_or_b32 exec_lo, exec_lo, s34
	s_delay_alu instid0(SALU_CYCLE_1)
	s_mov_b32 s34, exec_lo
	v_cmpx_lt_u32_e64 v119, v147
	s_cbranch_execz .LBB637_816
.LBB637_847:                            ;   in Loop: Header=BB637_696 Depth=2
	global_load_b64 v[16:17], v[36:37], off offset:2304
	s_or_b32 exec_lo, exec_lo, s34
	s_delay_alu instid0(SALU_CYCLE_1)
	s_mov_b32 s34, exec_lo
	v_cmpx_lt_u32_e64 v120, v147
	s_cbranch_execnz .LBB637_817
.LBB637_848:                            ;   in Loop: Header=BB637_696 Depth=2
	s_or_b32 exec_lo, exec_lo, s34
	s_delay_alu instid0(SALU_CYCLE_1)
	s_mov_b32 s34, exec_lo
	v_cmpx_lt_u32_e64 v121, v147
	s_cbranch_execz .LBB637_818
.LBB637_849:                            ;   in Loop: Header=BB637_696 Depth=2
	global_load_b64 v[12:13], v[36:37], off offset:2816
	s_or_b32 exec_lo, exec_lo, s34
	s_delay_alu instid0(SALU_CYCLE_1)
	s_mov_b32 s34, exec_lo
	v_cmpx_lt_u32_e64 v122, v147
	s_cbranch_execnz .LBB637_819
.LBB637_850:                            ;   in Loop: Header=BB637_696 Depth=2
	s_or_b32 exec_lo, exec_lo, s34
	s_delay_alu instid0(SALU_CYCLE_1)
	s_mov_b32 s34, exec_lo
	v_cmpx_lt_u32_e64 v123, v147
	s_cbranch_execz .LBB637_820
.LBB637_851:                            ;   in Loop: Header=BB637_696 Depth=2
	global_load_b64 v[8:9], v[36:37], off offset:3328
	s_or_b32 exec_lo, exec_lo, s34
	s_delay_alu instid0(SALU_CYCLE_1)
	s_mov_b32 s34, exec_lo
	v_cmpx_lt_u32_e64 v124, v147
	s_cbranch_execnz .LBB637_821
.LBB637_852:                            ;   in Loop: Header=BB637_696 Depth=2
	s_or_b32 exec_lo, exec_lo, s34
	s_delay_alu instid0(SALU_CYCLE_1)
	s_mov_b32 s34, exec_lo
	v_cmpx_lt_u32_e64 v125, v147
	s_cbranch_execz .LBB637_822
.LBB637_853:                            ;   in Loop: Header=BB637_696 Depth=2
	global_load_b64 v[4:5], v[36:37], off offset:3840
	s_or_b32 exec_lo, exec_lo, s34
	s_and_saveexec_b32 s33, vcc_lo
	s_cbranch_execnz .LBB637_823
.LBB637_854:                            ;   in Loop: Header=BB637_696 Depth=2
	s_or_b32 exec_lo, exec_lo, s33
	s_and_saveexec_b32 s33, s17
	s_cbranch_execz .LBB637_824
.LBB637_855:                            ;   in Loop: Header=BB637_696 Depth=2
	ds_load_b32 v2, v78 offset:1024
	s_waitcnt lgkmcnt(0)
	v_lshrrev_b32_e32 v2, s57, v2
	s_delay_alu instid0(VALU_DEP_1)
	v_and_b32_e32 v145, s39, v2
	s_or_b32 exec_lo, exec_lo, s33
	s_and_saveexec_b32 s33, s18
	s_cbranch_execnz .LBB637_825
.LBB637_856:                            ;   in Loop: Header=BB637_696 Depth=2
	s_or_b32 exec_lo, exec_lo, s33
	s_and_saveexec_b32 s33, s19
	s_cbranch_execz .LBB637_826
.LBB637_857:                            ;   in Loop: Header=BB637_696 Depth=2
	ds_load_b32 v2, v78 offset:3072
	s_waitcnt lgkmcnt(0)
	v_lshrrev_b32_e32 v2, s57, v2
	s_delay_alu instid0(VALU_DEP_1)
	v_and_b32_e32 v143, s39, v2
	s_or_b32 exec_lo, exec_lo, s33
	s_and_saveexec_b32 s33, s20
	s_cbranch_execnz .LBB637_827
.LBB637_858:                            ;   in Loop: Header=BB637_696 Depth=2
	s_or_b32 exec_lo, exec_lo, s33
	s_and_saveexec_b32 s33, s21
	s_cbranch_execz .LBB637_828
.LBB637_859:                            ;   in Loop: Header=BB637_696 Depth=2
	ds_load_b32 v2, v78 offset:5120
	s_waitcnt lgkmcnt(0)
	v_lshrrev_b32_e32 v2, s57, v2
	s_delay_alu instid0(VALU_DEP_1)
	v_and_b32_e32 v141, s39, v2
	s_or_b32 exec_lo, exec_lo, s33
	s_and_saveexec_b32 s33, s22
	s_cbranch_execnz .LBB637_829
.LBB637_860:                            ;   in Loop: Header=BB637_696 Depth=2
	s_or_b32 exec_lo, exec_lo, s33
	s_and_saveexec_b32 s33, s23
	s_cbranch_execz .LBB637_830
.LBB637_861:                            ;   in Loop: Header=BB637_696 Depth=2
	ds_load_b32 v2, v78 offset:7168
	s_waitcnt lgkmcnt(0)
	v_lshrrev_b32_e32 v2, s57, v2
	s_delay_alu instid0(VALU_DEP_1)
	v_and_b32_e32 v139, s39, v2
	s_or_b32 exec_lo, exec_lo, s33
	s_and_saveexec_b32 s33, s24
	s_cbranch_execnz .LBB637_831
.LBB637_862:                            ;   in Loop: Header=BB637_696 Depth=2
	s_or_b32 exec_lo, exec_lo, s33
	s_and_saveexec_b32 s33, s25
	s_cbranch_execz .LBB637_832
.LBB637_863:                            ;   in Loop: Header=BB637_696 Depth=2
	ds_load_b32 v2, v78 offset:9216
	s_waitcnt lgkmcnt(0)
	v_lshrrev_b32_e32 v2, s57, v2
	s_delay_alu instid0(VALU_DEP_1)
	v_and_b32_e32 v137, s39, v2
	s_or_b32 exec_lo, exec_lo, s33
	s_and_saveexec_b32 s33, s26
	s_cbranch_execnz .LBB637_833
.LBB637_864:                            ;   in Loop: Header=BB637_696 Depth=2
	s_or_b32 exec_lo, exec_lo, s33
	s_and_saveexec_b32 s33, s27
	s_cbranch_execz .LBB637_834
.LBB637_865:                            ;   in Loop: Header=BB637_696 Depth=2
	ds_load_b32 v2, v78 offset:11264
	s_waitcnt lgkmcnt(0)
	v_lshrrev_b32_e32 v2, s57, v2
	s_delay_alu instid0(VALU_DEP_1)
	v_and_b32_e32 v135, s39, v2
	s_or_b32 exec_lo, exec_lo, s33
	s_and_saveexec_b32 s33, s28
	s_cbranch_execnz .LBB637_835
.LBB637_866:                            ;   in Loop: Header=BB637_696 Depth=2
	s_or_b32 exec_lo, exec_lo, s33
	s_and_saveexec_b32 s33, s29
	s_cbranch_execz .LBB637_836
.LBB637_867:                            ;   in Loop: Header=BB637_696 Depth=2
	ds_load_b32 v2, v78 offset:13312
	s_waitcnt lgkmcnt(0)
	v_lshrrev_b32_e32 v2, s57, v2
	s_delay_alu instid0(VALU_DEP_1)
	v_and_b32_e32 v133, s39, v2
	s_or_b32 exec_lo, exec_lo, s33
	s_and_saveexec_b32 s33, s30
	s_cbranch_execnz .LBB637_837
.LBB637_868:                            ;   in Loop: Header=BB637_696 Depth=2
	s_or_b32 exec_lo, exec_lo, s33
	s_and_saveexec_b32 s33, s31
	s_cbranch_execz .LBB637_870
.LBB637_869:                            ;   in Loop: Header=BB637_696 Depth=2
	ds_load_b32 v2, v78 offset:15360
	s_waitcnt lgkmcnt(0)
	v_lshrrev_b32_e32 v2, s57, v2
	s_delay_alu instid0(VALU_DEP_1)
	v_and_b32_e32 v131, s39, v2
.LBB637_870:                            ;   in Loop: Header=BB637_696 Depth=2
	s_or_b32 exec_lo, exec_lo, s33
	v_lshlrev_b32_e32 v2, 3, v170
	v_lshlrev_b32_e32 v36, 3, v166
	s_waitcnt vmcnt(0)
	s_waitcnt_vscnt null, 0x0
	s_barrier
	buffer_gl0_inv
	ds_store_b64 v2, v[34:35] offset:1024
	v_lshlrev_b32_e32 v2, 3, v162
	v_lshlrev_b32_e32 v37, 3, v158
	v_lshlrev_b32_e32 v147, 3, v157
	v_lshlrev_b32_e32 v148, 3, v156
	ds_store_b64 v36, v[32:33] offset:1024
	ds_store_b64 v2, v[30:31] offset:1024
	;; [unrolled: 1-line block ×5, first 2 shown]
	v_lshlrev_b32_e32 v2, 3, v154
	v_lshlrev_b32_e32 v36, 3, v153
	;; [unrolled: 1-line block ×5, first 2 shown]
	ds_store_b64 v2, v[22:23] offset:1024
	ds_store_b64 v36, v[20:21] offset:1024
	;; [unrolled: 1-line block ×5, first 2 shown]
	v_lshlrev_b32_e32 v2, 3, v40
	v_lshlrev_b32_e32 v36, 3, v39
	;; [unrolled: 1-line block ×5, first 2 shown]
	ds_store_b64 v2, v[12:13] offset:1024
	ds_store_b64 v36, v[10:11] offset:1024
	;; [unrolled: 1-line block ×5, first 2 shown]
	s_waitcnt lgkmcnt(0)
	s_barrier
	buffer_gl0_inv
	s_and_saveexec_b32 s33, vcc_lo
	s_cbranch_execz .LBB637_886
; %bb.871:                              ;   in Loop: Header=BB637_696 Depth=2
	v_lshlrev_b32_e32 v2, 2, v146
	ds_load_b32 v2, v2
	ds_load_b64 v[36:37], v79 offset:1024
	s_waitcnt lgkmcnt(1)
	v_add_nc_u32_e32 v2, v2, v1
	s_delay_alu instid0(VALU_DEP_1) | instskip(NEXT) | instid1(VALU_DEP_1)
	v_lshlrev_b64 v[39:40], 3, v[2:3]
	v_add_co_u32 v39, vcc_lo, s52, v39
	s_delay_alu instid0(VALU_DEP_2)
	v_add_co_ci_u32_e32 v40, vcc_lo, s53, v40, vcc_lo
	s_waitcnt lgkmcnt(0)
	global_store_b64 v[39:40], v[36:37], off
	s_or_b32 exec_lo, exec_lo, s33
	s_and_saveexec_b32 s33, s17
	s_cbranch_execnz .LBB637_887
.LBB637_872:                            ;   in Loop: Header=BB637_696 Depth=2
	s_or_b32 exec_lo, exec_lo, s33
	s_and_saveexec_b32 s17, s18
	s_cbranch_execz .LBB637_888
.LBB637_873:                            ;   in Loop: Header=BB637_696 Depth=2
	v_lshlrev_b32_e32 v2, 2, v144
	v_add_nc_u32_e32 v36, v78, v44
	ds_load_b32 v2, v2
	ds_load_b64 v[36:37], v36 offset:4096
	s_waitcnt lgkmcnt(1)
	v_add_nc_u32_e32 v2, v2, v46
	s_delay_alu instid0(VALU_DEP_1) | instskip(NEXT) | instid1(VALU_DEP_1)
	v_lshlrev_b64 v[39:40], 3, v[2:3]
	v_add_co_u32 v39, vcc_lo, s52, v39
	s_delay_alu instid0(VALU_DEP_2)
	v_add_co_ci_u32_e32 v40, vcc_lo, s53, v40, vcc_lo
	s_waitcnt lgkmcnt(0)
	global_store_b64 v[39:40], v[36:37], off
	s_or_b32 exec_lo, exec_lo, s17
	s_and_saveexec_b32 s17, s19
	s_cbranch_execnz .LBB637_889
.LBB637_874:                            ;   in Loop: Header=BB637_696 Depth=2
	s_or_b32 exec_lo, exec_lo, s17
	s_and_saveexec_b32 s17, s20
	s_cbranch_execz .LBB637_890
.LBB637_875:                            ;   in Loop: Header=BB637_696 Depth=2
	v_lshlrev_b32_e32 v2, 2, v142
	v_add_nc_u32_e32 v36, v78, v44
	ds_load_b32 v2, v2
	ds_load_b64 v[36:37], v36 offset:8192
	s_waitcnt lgkmcnt(1)
	v_add_nc_u32_e32 v2, v2, v51
	s_delay_alu instid0(VALU_DEP_1) | instskip(NEXT) | instid1(VALU_DEP_1)
	v_lshlrev_b64 v[39:40], 3, v[2:3]
	v_add_co_u32 v39, vcc_lo, s52, v39
	s_delay_alu instid0(VALU_DEP_2)
	v_add_co_ci_u32_e32 v40, vcc_lo, s53, v40, vcc_lo
	s_waitcnt lgkmcnt(0)
	global_store_b64 v[39:40], v[36:37], off
	s_or_b32 exec_lo, exec_lo, s17
	s_and_saveexec_b32 s17, s21
	s_cbranch_execnz .LBB637_891
.LBB637_876:                            ;   in Loop: Header=BB637_696 Depth=2
	s_or_b32 exec_lo, exec_lo, s17
	s_and_saveexec_b32 s17, s22
	s_cbranch_execz .LBB637_892
.LBB637_877:                            ;   in Loop: Header=BB637_696 Depth=2
	v_lshlrev_b32_e32 v2, 2, v140
	v_add_nc_u32_e32 v36, v78, v44
	ds_load_b32 v2, v2
	ds_load_b64 v[36:37], v36 offset:12288
	s_waitcnt lgkmcnt(1)
	v_add_nc_u32_e32 v2, v2, v53
	s_delay_alu instid0(VALU_DEP_1) | instskip(NEXT) | instid1(VALU_DEP_1)
	v_lshlrev_b64 v[39:40], 3, v[2:3]
	v_add_co_u32 v39, vcc_lo, s52, v39
	s_delay_alu instid0(VALU_DEP_2)
	v_add_co_ci_u32_e32 v40, vcc_lo, s53, v40, vcc_lo
	s_waitcnt lgkmcnt(0)
	global_store_b64 v[39:40], v[36:37], off
	s_or_b32 exec_lo, exec_lo, s17
	s_and_saveexec_b32 s17, s23
	s_cbranch_execnz .LBB637_893
.LBB637_878:                            ;   in Loop: Header=BB637_696 Depth=2
	s_or_b32 exec_lo, exec_lo, s17
	s_and_saveexec_b32 s17, s24
	s_cbranch_execz .LBB637_894
.LBB637_879:                            ;   in Loop: Header=BB637_696 Depth=2
	v_lshlrev_b32_e32 v2, 2, v138
	v_add_nc_u32_e32 v36, v78, v44
	ds_load_b32 v2, v2
	ds_load_b64 v[36:37], v36 offset:16384
	s_waitcnt lgkmcnt(1)
	v_add_nc_u32_e32 v2, v2, v55
	s_delay_alu instid0(VALU_DEP_1) | instskip(NEXT) | instid1(VALU_DEP_1)
	v_lshlrev_b64 v[39:40], 3, v[2:3]
	v_add_co_u32 v39, vcc_lo, s52, v39
	s_delay_alu instid0(VALU_DEP_2)
	v_add_co_ci_u32_e32 v40, vcc_lo, s53, v40, vcc_lo
	s_waitcnt lgkmcnt(0)
	global_store_b64 v[39:40], v[36:37], off
	s_or_b32 exec_lo, exec_lo, s17
	s_and_saveexec_b32 s17, s25
	s_cbranch_execnz .LBB637_895
.LBB637_880:                            ;   in Loop: Header=BB637_696 Depth=2
	s_or_b32 exec_lo, exec_lo, s17
	s_and_saveexec_b32 s17, s26
	s_cbranch_execz .LBB637_896
.LBB637_881:                            ;   in Loop: Header=BB637_696 Depth=2
	v_lshlrev_b32_e32 v2, 2, v136
	v_add_nc_u32_e32 v36, v78, v44
	ds_load_b32 v2, v2
	ds_load_b64 v[36:37], v36 offset:20480
	s_waitcnt lgkmcnt(1)
	v_add_nc_u32_e32 v2, v2, v57
	s_delay_alu instid0(VALU_DEP_1) | instskip(NEXT) | instid1(VALU_DEP_1)
	v_lshlrev_b64 v[39:40], 3, v[2:3]
	v_add_co_u32 v39, vcc_lo, s52, v39
	s_delay_alu instid0(VALU_DEP_2)
	v_add_co_ci_u32_e32 v40, vcc_lo, s53, v40, vcc_lo
	s_waitcnt lgkmcnt(0)
	global_store_b64 v[39:40], v[36:37], off
	s_or_b32 exec_lo, exec_lo, s17
	s_and_saveexec_b32 s17, s27
	s_cbranch_execnz .LBB637_897
.LBB637_882:                            ;   in Loop: Header=BB637_696 Depth=2
	s_or_b32 exec_lo, exec_lo, s17
	s_and_saveexec_b32 s17, s28
	s_cbranch_execz .LBB637_898
.LBB637_883:                            ;   in Loop: Header=BB637_696 Depth=2
	v_lshlrev_b32_e32 v2, 2, v134
	v_add_nc_u32_e32 v36, v78, v44
	ds_load_b32 v2, v2
	ds_load_b64 v[36:37], v36 offset:24576
	s_waitcnt lgkmcnt(1)
	v_add_nc_u32_e32 v2, v2, v59
	s_delay_alu instid0(VALU_DEP_1) | instskip(NEXT) | instid1(VALU_DEP_1)
	v_lshlrev_b64 v[39:40], 3, v[2:3]
	v_add_co_u32 v39, vcc_lo, s52, v39
	s_delay_alu instid0(VALU_DEP_2)
	v_add_co_ci_u32_e32 v40, vcc_lo, s53, v40, vcc_lo
	s_waitcnt lgkmcnt(0)
	global_store_b64 v[39:40], v[36:37], off
	s_or_b32 exec_lo, exec_lo, s17
	s_and_saveexec_b32 s17, s29
	s_cbranch_execnz .LBB637_899
.LBB637_884:                            ;   in Loop: Header=BB637_696 Depth=2
	s_or_b32 exec_lo, exec_lo, s17
	s_and_saveexec_b32 s17, s30
	s_cbranch_execz .LBB637_900
.LBB637_885:                            ;   in Loop: Header=BB637_696 Depth=2
	v_lshlrev_b32_e32 v2, 2, v132
	v_add_nc_u32_e32 v36, v78, v44
	ds_load_b32 v2, v2
	ds_load_b64 v[36:37], v36 offset:28672
	s_waitcnt lgkmcnt(1)
	v_add_nc_u32_e32 v2, v2, v61
	s_delay_alu instid0(VALU_DEP_1) | instskip(NEXT) | instid1(VALU_DEP_1)
	v_lshlrev_b64 v[39:40], 3, v[2:3]
	v_add_co_u32 v39, vcc_lo, s52, v39
	s_delay_alu instid0(VALU_DEP_2)
	v_add_co_ci_u32_e32 v40, vcc_lo, s53, v40, vcc_lo
	s_waitcnt lgkmcnt(0)
	global_store_b64 v[39:40], v[36:37], off
	s_or_b32 exec_lo, exec_lo, s17
	s_and_saveexec_b32 s17, s31
	s_cbranch_execnz .LBB637_901
	s_branch .LBB637_902
.LBB637_886:                            ;   in Loop: Header=BB637_696 Depth=2
	s_or_b32 exec_lo, exec_lo, s33
	s_and_saveexec_b32 s33, s17
	s_cbranch_execz .LBB637_872
.LBB637_887:                            ;   in Loop: Header=BB637_696 Depth=2
	v_lshlrev_b32_e32 v2, 2, v145
	v_add_nc_u32_e32 v36, v78, v44
	ds_load_b32 v2, v2
	ds_load_b64 v[36:37], v36 offset:2048
	s_waitcnt lgkmcnt(1)
	v_add_nc_u32_e32 v2, v2, v45
	s_delay_alu instid0(VALU_DEP_1) | instskip(NEXT) | instid1(VALU_DEP_1)
	v_lshlrev_b64 v[39:40], 3, v[2:3]
	v_add_co_u32 v39, vcc_lo, s52, v39
	s_delay_alu instid0(VALU_DEP_2)
	v_add_co_ci_u32_e32 v40, vcc_lo, s53, v40, vcc_lo
	s_waitcnt lgkmcnt(0)
	global_store_b64 v[39:40], v[36:37], off
	s_or_b32 exec_lo, exec_lo, s33
	s_and_saveexec_b32 s17, s18
	s_cbranch_execnz .LBB637_873
.LBB637_888:                            ;   in Loop: Header=BB637_696 Depth=2
	s_or_b32 exec_lo, exec_lo, s17
	s_and_saveexec_b32 s17, s19
	s_cbranch_execz .LBB637_874
.LBB637_889:                            ;   in Loop: Header=BB637_696 Depth=2
	v_lshlrev_b32_e32 v2, 2, v143
	v_add_nc_u32_e32 v36, v78, v44
	ds_load_b32 v2, v2
	ds_load_b64 v[36:37], v36 offset:6144
	s_waitcnt lgkmcnt(1)
	v_add_nc_u32_e32 v2, v2, v47
	s_delay_alu instid0(VALU_DEP_1) | instskip(NEXT) | instid1(VALU_DEP_1)
	v_lshlrev_b64 v[39:40], 3, v[2:3]
	v_add_co_u32 v39, vcc_lo, s52, v39
	s_delay_alu instid0(VALU_DEP_2)
	v_add_co_ci_u32_e32 v40, vcc_lo, s53, v40, vcc_lo
	s_waitcnt lgkmcnt(0)
	global_store_b64 v[39:40], v[36:37], off
	s_or_b32 exec_lo, exec_lo, s17
	s_and_saveexec_b32 s17, s20
	s_cbranch_execnz .LBB637_875
.LBB637_890:                            ;   in Loop: Header=BB637_696 Depth=2
	s_or_b32 exec_lo, exec_lo, s17
	s_and_saveexec_b32 s17, s21
	s_cbranch_execz .LBB637_876
.LBB637_891:                            ;   in Loop: Header=BB637_696 Depth=2
	v_lshlrev_b32_e32 v2, 2, v141
	v_add_nc_u32_e32 v36, v78, v44
	ds_load_b32 v2, v2
	ds_load_b64 v[36:37], v36 offset:10240
	s_waitcnt lgkmcnt(1)
	v_add_nc_u32_e32 v2, v2, v52
	s_delay_alu instid0(VALU_DEP_1) | instskip(NEXT) | instid1(VALU_DEP_1)
	v_lshlrev_b64 v[39:40], 3, v[2:3]
	v_add_co_u32 v39, vcc_lo, s52, v39
	s_delay_alu instid0(VALU_DEP_2)
	v_add_co_ci_u32_e32 v40, vcc_lo, s53, v40, vcc_lo
	s_waitcnt lgkmcnt(0)
	global_store_b64 v[39:40], v[36:37], off
	s_or_b32 exec_lo, exec_lo, s17
	s_and_saveexec_b32 s17, s22
	s_cbranch_execnz .LBB637_877
.LBB637_892:                            ;   in Loop: Header=BB637_696 Depth=2
	s_or_b32 exec_lo, exec_lo, s17
	s_and_saveexec_b32 s17, s23
	s_cbranch_execz .LBB637_878
.LBB637_893:                            ;   in Loop: Header=BB637_696 Depth=2
	v_lshlrev_b32_e32 v2, 2, v139
	v_add_nc_u32_e32 v36, v78, v44
	ds_load_b32 v2, v2
	ds_load_b64 v[36:37], v36 offset:14336
	s_waitcnt lgkmcnt(1)
	v_add_nc_u32_e32 v2, v2, v54
	s_delay_alu instid0(VALU_DEP_1) | instskip(NEXT) | instid1(VALU_DEP_1)
	v_lshlrev_b64 v[39:40], 3, v[2:3]
	v_add_co_u32 v39, vcc_lo, s52, v39
	s_delay_alu instid0(VALU_DEP_2)
	v_add_co_ci_u32_e32 v40, vcc_lo, s53, v40, vcc_lo
	s_waitcnt lgkmcnt(0)
	global_store_b64 v[39:40], v[36:37], off
	s_or_b32 exec_lo, exec_lo, s17
	s_and_saveexec_b32 s17, s24
	s_cbranch_execnz .LBB637_879
.LBB637_894:                            ;   in Loop: Header=BB637_696 Depth=2
	s_or_b32 exec_lo, exec_lo, s17
	s_and_saveexec_b32 s17, s25
	s_cbranch_execz .LBB637_880
.LBB637_895:                            ;   in Loop: Header=BB637_696 Depth=2
	v_lshlrev_b32_e32 v2, 2, v137
	v_add_nc_u32_e32 v36, v78, v44
	ds_load_b32 v2, v2
	ds_load_b64 v[36:37], v36 offset:18432
	s_waitcnt lgkmcnt(1)
	v_add_nc_u32_e32 v2, v2, v56
	s_delay_alu instid0(VALU_DEP_1) | instskip(NEXT) | instid1(VALU_DEP_1)
	v_lshlrev_b64 v[39:40], 3, v[2:3]
	v_add_co_u32 v39, vcc_lo, s52, v39
	s_delay_alu instid0(VALU_DEP_2)
	v_add_co_ci_u32_e32 v40, vcc_lo, s53, v40, vcc_lo
	s_waitcnt lgkmcnt(0)
	global_store_b64 v[39:40], v[36:37], off
	s_or_b32 exec_lo, exec_lo, s17
	s_and_saveexec_b32 s17, s26
	s_cbranch_execnz .LBB637_881
.LBB637_896:                            ;   in Loop: Header=BB637_696 Depth=2
	s_or_b32 exec_lo, exec_lo, s17
	s_and_saveexec_b32 s17, s27
	s_cbranch_execz .LBB637_882
.LBB637_897:                            ;   in Loop: Header=BB637_696 Depth=2
	v_lshlrev_b32_e32 v2, 2, v135
	v_add_nc_u32_e32 v36, v78, v44
	ds_load_b32 v2, v2
	ds_load_b64 v[36:37], v36 offset:22528
	s_waitcnt lgkmcnt(1)
	v_add_nc_u32_e32 v2, v2, v58
	s_delay_alu instid0(VALU_DEP_1) | instskip(NEXT) | instid1(VALU_DEP_1)
	v_lshlrev_b64 v[39:40], 3, v[2:3]
	v_add_co_u32 v39, vcc_lo, s52, v39
	s_delay_alu instid0(VALU_DEP_2)
	v_add_co_ci_u32_e32 v40, vcc_lo, s53, v40, vcc_lo
	s_waitcnt lgkmcnt(0)
	global_store_b64 v[39:40], v[36:37], off
	s_or_b32 exec_lo, exec_lo, s17
	s_and_saveexec_b32 s17, s28
	s_cbranch_execnz .LBB637_883
.LBB637_898:                            ;   in Loop: Header=BB637_696 Depth=2
	s_or_b32 exec_lo, exec_lo, s17
	s_and_saveexec_b32 s17, s29
	s_cbranch_execz .LBB637_884
.LBB637_899:                            ;   in Loop: Header=BB637_696 Depth=2
	v_lshlrev_b32_e32 v2, 2, v133
	v_add_nc_u32_e32 v36, v78, v44
	ds_load_b32 v2, v2
	ds_load_b64 v[36:37], v36 offset:26624
	s_waitcnt lgkmcnt(1)
	v_add_nc_u32_e32 v2, v2, v60
	s_delay_alu instid0(VALU_DEP_1) | instskip(NEXT) | instid1(VALU_DEP_1)
	v_lshlrev_b64 v[39:40], 3, v[2:3]
	v_add_co_u32 v39, vcc_lo, s52, v39
	s_delay_alu instid0(VALU_DEP_2)
	v_add_co_ci_u32_e32 v40, vcc_lo, s53, v40, vcc_lo
	s_waitcnt lgkmcnt(0)
	global_store_b64 v[39:40], v[36:37], off
	s_or_b32 exec_lo, exec_lo, s17
	s_and_saveexec_b32 s17, s30
	s_cbranch_execnz .LBB637_885
.LBB637_900:                            ;   in Loop: Header=BB637_696 Depth=2
	s_or_b32 exec_lo, exec_lo, s17
	s_and_saveexec_b32 s17, s31
	s_cbranch_execz .LBB637_902
.LBB637_901:                            ;   in Loop: Header=BB637_696 Depth=2
	v_lshlrev_b32_e32 v2, 2, v131
	v_add_nc_u32_e32 v36, v78, v44
	ds_load_b32 v2, v2
	ds_load_b64 v[36:37], v36 offset:30720
	s_waitcnt lgkmcnt(1)
	v_add_nc_u32_e32 v2, v2, v63
	s_delay_alu instid0(VALU_DEP_1) | instskip(NEXT) | instid1(VALU_DEP_1)
	v_lshlrev_b64 v[39:40], 3, v[2:3]
	v_add_co_u32 v39, vcc_lo, s52, v39
	s_delay_alu instid0(VALU_DEP_2)
	v_add_co_ci_u32_e32 v40, vcc_lo, s53, v40, vcc_lo
	s_waitcnt lgkmcnt(0)
	global_store_b64 v[39:40], v[36:37], off
.LBB637_902:                            ;   in Loop: Header=BB637_696 Depth=2
	s_or_b32 exec_lo, exec_lo, s17
	s_waitcnt_vscnt null, 0x0
	s_barrier
	buffer_gl0_inv
	s_and_saveexec_b32 s17, s2
	s_cbranch_execz .LBB637_695
; %bb.903:                              ;   in Loop: Header=BB637_696 Depth=2
	ds_load_b32 v2, v44
	s_waitcnt lgkmcnt(0)
	v_add_nc_u32_e32 v2, v2, v38
	ds_store_b32 v44, v2
	s_branch .LBB637_695
.LBB637_904:                            ;   in Loop: Header=BB637_20 Depth=1
	s_waitcnt lgkmcnt(0)
	s_mov_b32 s0, 0
	s_barrier
.LBB637_905:                            ;   in Loop: Header=BB637_20 Depth=1
	s_and_b32 vcc_lo, exec_lo, s0
	s_cbranch_vccz .LBB637_19
; %bb.906:                              ;   in Loop: Header=BB637_20 Depth=1
	s_mov_b32 s8, s62
	s_mov_b32 s34, s60
	s_barrier
	buffer_gl0_inv
                                        ; implicit-def: $vgpr20
                                        ; implicit-def: $vgpr2
                                        ; implicit-def: $vgpr6
                                        ; implicit-def: $vgpr7
                                        ; implicit-def: $vgpr8
                                        ; implicit-def: $vgpr9
                                        ; implicit-def: $vgpr10
                                        ; implicit-def: $vgpr11
                                        ; implicit-def: $vgpr12
                                        ; implicit-def: $vgpr13
                                        ; implicit-def: $vgpr14
                                        ; implicit-def: $vgpr15
                                        ; implicit-def: $vgpr16
                                        ; implicit-def: $vgpr17
                                        ; implicit-def: $vgpr18
                                        ; implicit-def: $vgpr19
	s_branch .LBB637_908
.LBB637_907:                            ;   in Loop: Header=BB637_908 Depth=2
	s_or_b32 exec_lo, exec_lo, s0
	s_addk_i32 s8, 0xf000
	s_cmp_ge_u32 s9, s61
	s_mov_b32 s34, s9
	s_cbranch_scc1 .LBB637_978
.LBB637_908:                            ;   Parent Loop BB637_20 Depth=1
                                        ; =>  This Inner Loop Header: Depth=2
	s_add_i32 s9, s34, 0x1000
	s_delay_alu instid0(SALU_CYCLE_1)
	s_cmp_gt_u32 s9, s61
	s_cbranch_scc1 .LBB637_911
; %bb.909:                              ;   in Loop: Header=BB637_908 Depth=2
	s_mov_b32 s1, 0
	s_mov_b32 s0, s34
	s_delay_alu instid0(SALU_CYCLE_1) | instskip(NEXT) | instid1(SALU_CYCLE_1)
	s_lshl_b64 s[10:11], s[0:1], 2
	v_add_co_u32 v4, vcc_lo, v86, s10
	v_add_co_ci_u32_e32 v5, vcc_lo, s11, v87, vcc_lo
	s_movk_i32 s11, 0x1000
	s_waitcnt vmcnt(1)
	s_delay_alu instid0(VALU_DEP_2) | instskip(NEXT) | instid1(VALU_DEP_2)
	v_add_co_u32 v29, vcc_lo, 0x1000, v4
	v_add_co_ci_u32_e32 v30, vcc_lo, 0, v5, vcc_lo
	s_waitcnt vmcnt(0)
	v_add_co_u32 v36, vcc_lo, v4, 0x2000
	v_add_co_ci_u32_e32 v37, vcc_lo, 0, v5, vcc_lo
	v_add_co_u32 v33, vcc_lo, 0x2000, v4
	v_add_co_ci_u32_e32 v34, vcc_lo, 0, v5, vcc_lo
	v_add_co_u32 v38, vcc_lo, 0x3000, v4
	global_load_b32 v26, v[36:37], off
	v_add_co_ci_u32_e32 v39, vcc_lo, 0, v5, vcc_lo
	s_clause 0xd
	global_load_b32 v22, v[4:5], off
	global_load_b32 v23, v[4:5], off offset:1024
	global_load_b32 v24, v[4:5], off offset:2048
	;; [unrolled: 1-line block ×9, first 2 shown]
	global_load_b32 v34, v[38:39], off
	global_load_b32 v35, v[38:39], off offset:1024
	global_load_b32 v29, v[36:37], off offset:-4096
	global_load_b32 v36, v[38:39], off offset:2048
	v_add_co_u32 v4, vcc_lo, 0x3c00, v4
	v_add_co_ci_u32_e32 v5, vcc_lo, 0, v5, vcc_lo
	s_mov_b32 s10, -1
	s_cbranch_execz .LBB637_912
; %bb.910:                              ;   in Loop: Header=BB637_908 Depth=2
                                        ; implicit-def: $vgpr19
                                        ; implicit-def: $vgpr18
                                        ; implicit-def: $vgpr17
                                        ; implicit-def: $vgpr16
                                        ; implicit-def: $vgpr15
                                        ; implicit-def: $vgpr14
                                        ; implicit-def: $vgpr13
                                        ; implicit-def: $vgpr12
                                        ; implicit-def: $vgpr11
                                        ; implicit-def: $vgpr10
                                        ; implicit-def: $vgpr9
                                        ; implicit-def: $vgpr8
                                        ; implicit-def: $vgpr7
                                        ; implicit-def: $vgpr6
                                        ; implicit-def: $vgpr2
                                        ; implicit-def: $vgpr20
	v_mov_b32_e32 v21, s8
	s_and_saveexec_b32 s0, s10
	s_cbranch_execnz .LBB637_931
	s_branch .LBB637_932
.LBB637_911:                            ;   in Loop: Header=BB637_908 Depth=2
	s_mov_b32 s10, 0
                                        ; implicit-def: $sgpr11
                                        ; implicit-def: $vgpr22
                                        ; implicit-def: $vgpr23
                                        ; implicit-def: $vgpr24
                                        ; implicit-def: $vgpr25
                                        ; implicit-def: $vgpr29
                                        ; implicit-def: $vgpr27
                                        ; implicit-def: $vgpr28
                                        ; implicit-def: $vgpr30
                                        ; implicit-def: $vgpr26
                                        ; implicit-def: $vgpr31
                                        ; implicit-def: $vgpr32
                                        ; implicit-def: $vgpr33
                                        ; implicit-def: $vgpr34
                                        ; implicit-def: $vgpr35
                                        ; implicit-def: $vgpr36
                                        ; implicit-def: $vgpr4_vgpr5
.LBB637_912:                            ;   in Loop: Header=BB637_908 Depth=2
	s_lshl_b64 s[0:1], s[34:35], 2
	s_mov_b32 s11, exec_lo
	s_add_u32 s0, s44, s0
	s_addc_u32 s1, s45, s1
	v_cmpx_gt_u32_e64 s8, v1
	s_cbranch_execz .LBB637_964
; %bb.913:                              ;   in Loop: Header=BB637_908 Depth=2
	global_load_b32 v19, v93, s[0:1]
	s_or_b32 exec_lo, exec_lo, s11
	s_delay_alu instid0(SALU_CYCLE_1)
	s_mov_b32 s11, exec_lo
	v_cmpx_gt_u32_e64 s8, v45
	s_cbranch_execnz .LBB637_965
.LBB637_914:                            ;   in Loop: Header=BB637_908 Depth=2
	s_or_b32 exec_lo, exec_lo, s11
	s_delay_alu instid0(SALU_CYCLE_1)
	s_mov_b32 s11, exec_lo
	v_cmpx_gt_u32_e64 s8, v46
	s_cbranch_execz .LBB637_966
.LBB637_915:                            ;   in Loop: Header=BB637_908 Depth=2
	global_load_b32 v17, v93, s[0:1] offset:2048
	s_or_b32 exec_lo, exec_lo, s11
	s_delay_alu instid0(SALU_CYCLE_1)
	s_mov_b32 s11, exec_lo
	v_cmpx_gt_u32_e64 s8, v47
	s_cbranch_execnz .LBB637_967
.LBB637_916:                            ;   in Loop: Header=BB637_908 Depth=2
	s_or_b32 exec_lo, exec_lo, s11
	s_delay_alu instid0(SALU_CYCLE_1)
	s_mov_b32 s11, exec_lo
	v_cmpx_gt_u32_e64 s8, v51
	s_cbranch_execz .LBB637_968
.LBB637_917:                            ;   in Loop: Header=BB637_908 Depth=2
	global_load_b32 v15, v94, s[0:1]
	s_or_b32 exec_lo, exec_lo, s11
	s_delay_alu instid0(SALU_CYCLE_1)
	s_mov_b32 s11, exec_lo
	v_cmpx_gt_u32_e64 s8, v52
	s_cbranch_execnz .LBB637_969
.LBB637_918:                            ;   in Loop: Header=BB637_908 Depth=2
	s_or_b32 exec_lo, exec_lo, s11
	s_delay_alu instid0(SALU_CYCLE_1)
	s_mov_b32 s11, exec_lo
	v_cmpx_gt_u32_e64 s8, v53
	s_cbranch_execz .LBB637_970
.LBB637_919:                            ;   in Loop: Header=BB637_908 Depth=2
	global_load_b32 v13, v96, s[0:1]
	s_or_b32 exec_lo, exec_lo, s11
	s_delay_alu instid0(SALU_CYCLE_1)
	s_mov_b32 s11, exec_lo
	v_cmpx_gt_u32_e64 s8, v54
	s_cbranch_execnz .LBB637_971
.LBB637_920:                            ;   in Loop: Header=BB637_908 Depth=2
	s_or_b32 exec_lo, exec_lo, s11
	s_delay_alu instid0(SALU_CYCLE_1)
	s_mov_b32 s11, exec_lo
	v_cmpx_gt_u32_e64 s8, v55
	s_cbranch_execz .LBB637_972
.LBB637_921:                            ;   in Loop: Header=BB637_908 Depth=2
	global_load_b32 v11, v98, s[0:1]
	s_or_b32 exec_lo, exec_lo, s11
	s_delay_alu instid0(SALU_CYCLE_1)
	s_mov_b32 s11, exec_lo
	v_cmpx_gt_u32_e64 s8, v56
	s_cbranch_execnz .LBB637_973
.LBB637_922:                            ;   in Loop: Header=BB637_908 Depth=2
	s_or_b32 exec_lo, exec_lo, s11
	s_delay_alu instid0(SALU_CYCLE_1)
	s_mov_b32 s11, exec_lo
	v_cmpx_gt_u32_e64 s8, v57
	s_cbranch_execz .LBB637_974
.LBB637_923:                            ;   in Loop: Header=BB637_908 Depth=2
	global_load_b32 v9, v100, s[0:1]
	s_or_b32 exec_lo, exec_lo, s11
	s_delay_alu instid0(SALU_CYCLE_1)
	s_mov_b32 s11, exec_lo
	v_cmpx_gt_u32_e64 s8, v58
	s_cbranch_execnz .LBB637_975
.LBB637_924:                            ;   in Loop: Header=BB637_908 Depth=2
	s_or_b32 exec_lo, exec_lo, s11
	s_delay_alu instid0(SALU_CYCLE_1)
	s_mov_b32 s11, exec_lo
	v_cmpx_gt_u32_e64 s8, v59
	s_cbranch_execz .LBB637_976
.LBB637_925:                            ;   in Loop: Header=BB637_908 Depth=2
	global_load_b32 v7, v102, s[0:1]
	s_or_b32 exec_lo, exec_lo, s11
	s_delay_alu instid0(SALU_CYCLE_1)
	s_mov_b32 s11, exec_lo
	v_cmpx_gt_u32_e64 s8, v60
	s_cbranch_execnz .LBB637_977
.LBB637_926:                            ;   in Loop: Header=BB637_908 Depth=2
	s_or_b32 exec_lo, exec_lo, s11
	s_delay_alu instid0(SALU_CYCLE_1)
	s_mov_b32 s11, exec_lo
	v_cmpx_gt_u32_e64 s8, v61
	s_cbranch_execz .LBB637_928
.LBB637_927:                            ;   in Loop: Header=BB637_908 Depth=2
	global_load_b32 v2, v104, s[0:1]
.LBB637_928:                            ;   in Loop: Header=BB637_908 Depth=2
	s_or_b32 exec_lo, exec_lo, s11
	s_delay_alu instid0(SALU_CYCLE_1)
	s_mov_b32 s12, exec_lo
                                        ; implicit-def: $sgpr11
                                        ; implicit-def: $vgpr4_vgpr5
	v_cmpx_gt_u32_e64 s8, v63
; %bb.929:                              ;   in Loop: Header=BB637_908 Depth=2
	v_add_co_u32 v4, s0, s0, v105
	s_delay_alu instid0(VALU_DEP_1)
	v_add_co_ci_u32_e64 v5, null, s1, 0, s0
	s_sub_i32 s11, s61, s34
	s_or_b32 s10, s10, exec_lo
                                        ; implicit-def: $vgpr20
; %bb.930:                              ;   in Loop: Header=BB637_908 Depth=2
	s_or_b32 exec_lo, exec_lo, s12
	s_waitcnt vmcnt(0)
	v_dual_mov_b32 v22, v19 :: v_dual_mov_b32 v23, v18
	v_dual_mov_b32 v24, v17 :: v_dual_mov_b32 v25, v16
	;; [unrolled: 1-line block ×8, first 2 shown]
	s_and_saveexec_b32 s0, s10
	s_cbranch_execz .LBB637_932
.LBB637_931:                            ;   in Loop: Header=BB637_908 Depth=2
	global_load_b32 v20, v[4:5], off
	s_waitcnt vmcnt(1)
	v_dual_mov_b32 v21, s11 :: v_dual_mov_b32 v2, v36
	v_dual_mov_b32 v6, v35 :: v_dual_mov_b32 v7, v34
	;; [unrolled: 1-line block ×8, first 2 shown]
.LBB637_932:                            ;   in Loop: Header=BB637_908 Depth=2
	s_or_b32 exec_lo, exec_lo, s0
	v_lshlrev_b32_e32 v4, 2, v48
	s_mov_b32 s0, exec_lo
	v_cmpx_lt_u32_e64 v1, v21
	s_cbranch_execz .LBB637_948
; %bb.933:                              ;   in Loop: Header=BB637_908 Depth=2
	v_xor_b32_e32 v5, 0x80000000, v19
	s_delay_alu instid0(VALU_DEP_1) | instskip(NEXT) | instid1(VALU_DEP_1)
	v_lshrrev_b32_e32 v5, s57, v5
	v_and_b32_e32 v5, s39, v5
	s_delay_alu instid0(VALU_DEP_1) | instskip(SKIP_2) | instid1(SALU_CYCLE_1)
	v_lshl_or_b32 v5, v5, 4, v4
	ds_add_u32 v5, v92
	s_or_b32 exec_lo, exec_lo, s0
	s_mov_b32 s0, exec_lo
	v_cmpx_lt_u32_e64 v45, v21
	s_cbranch_execnz .LBB637_949
.LBB637_934:                            ;   in Loop: Header=BB637_908 Depth=2
	s_or_b32 exec_lo, exec_lo, s0
	s_delay_alu instid0(SALU_CYCLE_1)
	s_mov_b32 s0, exec_lo
	v_cmpx_lt_u32_e64 v46, v21
	s_cbranch_execz .LBB637_950
.LBB637_935:                            ;   in Loop: Header=BB637_908 Depth=2
	v_xor_b32_e32 v5, 0x80000000, v17
	s_delay_alu instid0(VALU_DEP_1) | instskip(NEXT) | instid1(VALU_DEP_1)
	v_lshrrev_b32_e32 v5, s57, v5
	v_and_b32_e32 v5, s39, v5
	s_delay_alu instid0(VALU_DEP_1) | instskip(SKIP_2) | instid1(SALU_CYCLE_1)
	v_lshl_or_b32 v5, v5, 4, v4
	ds_add_u32 v5, v92
	s_or_b32 exec_lo, exec_lo, s0
	s_mov_b32 s0, exec_lo
	v_cmpx_lt_u32_e64 v47, v21
	s_cbranch_execnz .LBB637_951
.LBB637_936:                            ;   in Loop: Header=BB637_908 Depth=2
	s_or_b32 exec_lo, exec_lo, s0
	s_delay_alu instid0(SALU_CYCLE_1)
	s_mov_b32 s0, exec_lo
	v_cmpx_lt_u32_e64 v51, v21
	s_cbranch_execz .LBB637_952
.LBB637_937:                            ;   in Loop: Header=BB637_908 Depth=2
	v_xor_b32_e32 v5, 0x80000000, v15
	s_delay_alu instid0(VALU_DEP_1) | instskip(NEXT) | instid1(VALU_DEP_1)
	v_lshrrev_b32_e32 v5, s57, v5
	v_and_b32_e32 v5, s39, v5
	s_delay_alu instid0(VALU_DEP_1) | instskip(SKIP_2) | instid1(SALU_CYCLE_1)
	v_lshl_or_b32 v5, v5, 4, v4
	ds_add_u32 v5, v92
	s_or_b32 exec_lo, exec_lo, s0
	s_mov_b32 s0, exec_lo
	v_cmpx_lt_u32_e64 v52, v21
	s_cbranch_execnz .LBB637_953
.LBB637_938:                            ;   in Loop: Header=BB637_908 Depth=2
	s_or_b32 exec_lo, exec_lo, s0
	s_delay_alu instid0(SALU_CYCLE_1)
	s_mov_b32 s0, exec_lo
	v_cmpx_lt_u32_e64 v53, v21
	s_cbranch_execz .LBB637_954
.LBB637_939:                            ;   in Loop: Header=BB637_908 Depth=2
	v_xor_b32_e32 v5, 0x80000000, v13
	s_delay_alu instid0(VALU_DEP_1) | instskip(NEXT) | instid1(VALU_DEP_1)
	v_lshrrev_b32_e32 v5, s57, v5
	v_and_b32_e32 v5, s39, v5
	s_delay_alu instid0(VALU_DEP_1) | instskip(SKIP_2) | instid1(SALU_CYCLE_1)
	v_lshl_or_b32 v5, v5, 4, v4
	ds_add_u32 v5, v92
	s_or_b32 exec_lo, exec_lo, s0
	s_mov_b32 s0, exec_lo
	v_cmpx_lt_u32_e64 v54, v21
	s_cbranch_execnz .LBB637_955
.LBB637_940:                            ;   in Loop: Header=BB637_908 Depth=2
	s_or_b32 exec_lo, exec_lo, s0
	s_delay_alu instid0(SALU_CYCLE_1)
	s_mov_b32 s0, exec_lo
	v_cmpx_lt_u32_e64 v55, v21
	s_cbranch_execz .LBB637_956
.LBB637_941:                            ;   in Loop: Header=BB637_908 Depth=2
	v_xor_b32_e32 v5, 0x80000000, v11
	s_delay_alu instid0(VALU_DEP_1) | instskip(NEXT) | instid1(VALU_DEP_1)
	v_lshrrev_b32_e32 v5, s57, v5
	v_and_b32_e32 v5, s39, v5
	s_delay_alu instid0(VALU_DEP_1) | instskip(SKIP_2) | instid1(SALU_CYCLE_1)
	v_lshl_or_b32 v5, v5, 4, v4
	ds_add_u32 v5, v92
	s_or_b32 exec_lo, exec_lo, s0
	s_mov_b32 s0, exec_lo
	v_cmpx_lt_u32_e64 v56, v21
	s_cbranch_execnz .LBB637_957
.LBB637_942:                            ;   in Loop: Header=BB637_908 Depth=2
	s_or_b32 exec_lo, exec_lo, s0
	s_delay_alu instid0(SALU_CYCLE_1)
	s_mov_b32 s0, exec_lo
	v_cmpx_lt_u32_e64 v57, v21
	s_cbranch_execz .LBB637_958
.LBB637_943:                            ;   in Loop: Header=BB637_908 Depth=2
	v_xor_b32_e32 v5, 0x80000000, v9
	s_delay_alu instid0(VALU_DEP_1) | instskip(NEXT) | instid1(VALU_DEP_1)
	v_lshrrev_b32_e32 v5, s57, v5
	v_and_b32_e32 v5, s39, v5
	s_delay_alu instid0(VALU_DEP_1) | instskip(SKIP_2) | instid1(SALU_CYCLE_1)
	v_lshl_or_b32 v5, v5, 4, v4
	ds_add_u32 v5, v92
	s_or_b32 exec_lo, exec_lo, s0
	s_mov_b32 s0, exec_lo
	v_cmpx_lt_u32_e64 v58, v21
	s_cbranch_execnz .LBB637_959
.LBB637_944:                            ;   in Loop: Header=BB637_908 Depth=2
	s_or_b32 exec_lo, exec_lo, s0
	s_delay_alu instid0(SALU_CYCLE_1)
	s_mov_b32 s0, exec_lo
	v_cmpx_lt_u32_e64 v59, v21
	s_cbranch_execz .LBB637_960
.LBB637_945:                            ;   in Loop: Header=BB637_908 Depth=2
	v_xor_b32_e32 v5, 0x80000000, v7
	s_delay_alu instid0(VALU_DEP_1) | instskip(NEXT) | instid1(VALU_DEP_1)
	v_lshrrev_b32_e32 v5, s57, v5
	v_and_b32_e32 v5, s39, v5
	s_delay_alu instid0(VALU_DEP_1) | instskip(SKIP_2) | instid1(SALU_CYCLE_1)
	v_lshl_or_b32 v5, v5, 4, v4
	ds_add_u32 v5, v92
	s_or_b32 exec_lo, exec_lo, s0
	s_mov_b32 s0, exec_lo
	v_cmpx_lt_u32_e64 v60, v21
	s_cbranch_execnz .LBB637_961
.LBB637_946:                            ;   in Loop: Header=BB637_908 Depth=2
	s_or_b32 exec_lo, exec_lo, s0
	s_delay_alu instid0(SALU_CYCLE_1)
	s_mov_b32 s0, exec_lo
	v_cmpx_lt_u32_e64 v61, v21
	s_cbranch_execz .LBB637_962
.LBB637_947:                            ;   in Loop: Header=BB637_908 Depth=2
	v_xor_b32_e32 v5, 0x80000000, v2
	s_delay_alu instid0(VALU_DEP_1) | instskip(NEXT) | instid1(VALU_DEP_1)
	v_lshrrev_b32_e32 v5, s57, v5
	v_and_b32_e32 v5, s39, v5
	s_delay_alu instid0(VALU_DEP_1) | instskip(SKIP_2) | instid1(SALU_CYCLE_1)
	v_lshl_or_b32 v5, v5, 4, v4
	ds_add_u32 v5, v92
	s_or_b32 exec_lo, exec_lo, s0
	s_mov_b32 s0, exec_lo
	v_cmpx_lt_u32_e64 v63, v21
	s_cbranch_execz .LBB637_907
	s_branch .LBB637_963
.LBB637_948:                            ;   in Loop: Header=BB637_908 Depth=2
	s_or_b32 exec_lo, exec_lo, s0
	s_delay_alu instid0(SALU_CYCLE_1)
	s_mov_b32 s0, exec_lo
	v_cmpx_lt_u32_e64 v45, v21
	s_cbranch_execz .LBB637_934
.LBB637_949:                            ;   in Loop: Header=BB637_908 Depth=2
	v_xor_b32_e32 v5, 0x80000000, v18
	s_delay_alu instid0(VALU_DEP_1) | instskip(NEXT) | instid1(VALU_DEP_1)
	v_lshrrev_b32_e32 v5, s57, v5
	v_and_b32_e32 v5, s39, v5
	s_delay_alu instid0(VALU_DEP_1) | instskip(SKIP_2) | instid1(SALU_CYCLE_1)
	v_lshl_or_b32 v5, v5, 4, v4
	ds_add_u32 v5, v92
	s_or_b32 exec_lo, exec_lo, s0
	s_mov_b32 s0, exec_lo
	v_cmpx_lt_u32_e64 v46, v21
	s_cbranch_execnz .LBB637_935
.LBB637_950:                            ;   in Loop: Header=BB637_908 Depth=2
	s_or_b32 exec_lo, exec_lo, s0
	s_delay_alu instid0(SALU_CYCLE_1)
	s_mov_b32 s0, exec_lo
	v_cmpx_lt_u32_e64 v47, v21
	s_cbranch_execz .LBB637_936
.LBB637_951:                            ;   in Loop: Header=BB637_908 Depth=2
	v_xor_b32_e32 v5, 0x80000000, v16
	s_delay_alu instid0(VALU_DEP_1) | instskip(NEXT) | instid1(VALU_DEP_1)
	v_lshrrev_b32_e32 v5, s57, v5
	v_and_b32_e32 v5, s39, v5
	s_delay_alu instid0(VALU_DEP_1) | instskip(SKIP_2) | instid1(SALU_CYCLE_1)
	v_lshl_or_b32 v5, v5, 4, v4
	ds_add_u32 v5, v92
	s_or_b32 exec_lo, exec_lo, s0
	s_mov_b32 s0, exec_lo
	v_cmpx_lt_u32_e64 v51, v21
	s_cbranch_execnz .LBB637_937
.LBB637_952:                            ;   in Loop: Header=BB637_908 Depth=2
	s_or_b32 exec_lo, exec_lo, s0
	s_delay_alu instid0(SALU_CYCLE_1)
	s_mov_b32 s0, exec_lo
	v_cmpx_lt_u32_e64 v52, v21
	s_cbranch_execz .LBB637_938
.LBB637_953:                            ;   in Loop: Header=BB637_908 Depth=2
	v_xor_b32_e32 v5, 0x80000000, v14
	s_delay_alu instid0(VALU_DEP_1) | instskip(NEXT) | instid1(VALU_DEP_1)
	v_lshrrev_b32_e32 v5, s57, v5
	v_and_b32_e32 v5, s39, v5
	s_delay_alu instid0(VALU_DEP_1) | instskip(SKIP_2) | instid1(SALU_CYCLE_1)
	v_lshl_or_b32 v5, v5, 4, v4
	ds_add_u32 v5, v92
	s_or_b32 exec_lo, exec_lo, s0
	s_mov_b32 s0, exec_lo
	v_cmpx_lt_u32_e64 v53, v21
	s_cbranch_execnz .LBB637_939
.LBB637_954:                            ;   in Loop: Header=BB637_908 Depth=2
	s_or_b32 exec_lo, exec_lo, s0
	s_delay_alu instid0(SALU_CYCLE_1)
	s_mov_b32 s0, exec_lo
	v_cmpx_lt_u32_e64 v54, v21
	s_cbranch_execz .LBB637_940
.LBB637_955:                            ;   in Loop: Header=BB637_908 Depth=2
	v_xor_b32_e32 v5, 0x80000000, v12
	s_delay_alu instid0(VALU_DEP_1) | instskip(NEXT) | instid1(VALU_DEP_1)
	v_lshrrev_b32_e32 v5, s57, v5
	v_and_b32_e32 v5, s39, v5
	s_delay_alu instid0(VALU_DEP_1) | instskip(SKIP_2) | instid1(SALU_CYCLE_1)
	v_lshl_or_b32 v5, v5, 4, v4
	ds_add_u32 v5, v92
	s_or_b32 exec_lo, exec_lo, s0
	s_mov_b32 s0, exec_lo
	v_cmpx_lt_u32_e64 v55, v21
	s_cbranch_execnz .LBB637_941
.LBB637_956:                            ;   in Loop: Header=BB637_908 Depth=2
	s_or_b32 exec_lo, exec_lo, s0
	s_delay_alu instid0(SALU_CYCLE_1)
	s_mov_b32 s0, exec_lo
	v_cmpx_lt_u32_e64 v56, v21
	s_cbranch_execz .LBB637_942
.LBB637_957:                            ;   in Loop: Header=BB637_908 Depth=2
	v_xor_b32_e32 v5, 0x80000000, v10
	s_delay_alu instid0(VALU_DEP_1) | instskip(NEXT) | instid1(VALU_DEP_1)
	v_lshrrev_b32_e32 v5, s57, v5
	v_and_b32_e32 v5, s39, v5
	s_delay_alu instid0(VALU_DEP_1) | instskip(SKIP_2) | instid1(SALU_CYCLE_1)
	v_lshl_or_b32 v5, v5, 4, v4
	ds_add_u32 v5, v92
	s_or_b32 exec_lo, exec_lo, s0
	s_mov_b32 s0, exec_lo
	v_cmpx_lt_u32_e64 v57, v21
	s_cbranch_execnz .LBB637_943
.LBB637_958:                            ;   in Loop: Header=BB637_908 Depth=2
	s_or_b32 exec_lo, exec_lo, s0
	s_delay_alu instid0(SALU_CYCLE_1)
	s_mov_b32 s0, exec_lo
	v_cmpx_lt_u32_e64 v58, v21
	s_cbranch_execz .LBB637_944
.LBB637_959:                            ;   in Loop: Header=BB637_908 Depth=2
	v_xor_b32_e32 v5, 0x80000000, v8
	s_delay_alu instid0(VALU_DEP_1) | instskip(NEXT) | instid1(VALU_DEP_1)
	v_lshrrev_b32_e32 v5, s57, v5
	v_and_b32_e32 v5, s39, v5
	s_delay_alu instid0(VALU_DEP_1) | instskip(SKIP_2) | instid1(SALU_CYCLE_1)
	v_lshl_or_b32 v5, v5, 4, v4
	ds_add_u32 v5, v92
	s_or_b32 exec_lo, exec_lo, s0
	s_mov_b32 s0, exec_lo
	v_cmpx_lt_u32_e64 v59, v21
	s_cbranch_execnz .LBB637_945
.LBB637_960:                            ;   in Loop: Header=BB637_908 Depth=2
	s_or_b32 exec_lo, exec_lo, s0
	s_delay_alu instid0(SALU_CYCLE_1)
	s_mov_b32 s0, exec_lo
	v_cmpx_lt_u32_e64 v60, v21
	s_cbranch_execz .LBB637_946
.LBB637_961:                            ;   in Loop: Header=BB637_908 Depth=2
	v_xor_b32_e32 v5, 0x80000000, v6
	s_delay_alu instid0(VALU_DEP_1) | instskip(NEXT) | instid1(VALU_DEP_1)
	v_lshrrev_b32_e32 v5, s57, v5
	v_and_b32_e32 v5, s39, v5
	s_delay_alu instid0(VALU_DEP_1) | instskip(SKIP_2) | instid1(SALU_CYCLE_1)
	v_lshl_or_b32 v5, v5, 4, v4
	ds_add_u32 v5, v92
	s_or_b32 exec_lo, exec_lo, s0
	s_mov_b32 s0, exec_lo
	v_cmpx_lt_u32_e64 v61, v21
	s_cbranch_execnz .LBB637_947
.LBB637_962:                            ;   in Loop: Header=BB637_908 Depth=2
	s_or_b32 exec_lo, exec_lo, s0
	s_delay_alu instid0(SALU_CYCLE_1)
	s_mov_b32 s0, exec_lo
	v_cmpx_lt_u32_e64 v63, v21
	s_cbranch_execz .LBB637_907
.LBB637_963:                            ;   in Loop: Header=BB637_908 Depth=2
	s_waitcnt vmcnt(0)
	v_xor_b32_e32 v5, 0x80000000, v20
	s_delay_alu instid0(VALU_DEP_1) | instskip(NEXT) | instid1(VALU_DEP_1)
	v_lshrrev_b32_e32 v5, s57, v5
	v_and_b32_e32 v5, s39, v5
	s_delay_alu instid0(VALU_DEP_1)
	v_lshl_or_b32 v4, v5, 4, v4
	ds_add_u32 v4, v92
	s_branch .LBB637_907
.LBB637_964:                            ;   in Loop: Header=BB637_908 Depth=2
	s_or_b32 exec_lo, exec_lo, s11
	s_delay_alu instid0(SALU_CYCLE_1)
	s_mov_b32 s11, exec_lo
	v_cmpx_gt_u32_e64 s8, v45
	s_cbranch_execz .LBB637_914
.LBB637_965:                            ;   in Loop: Header=BB637_908 Depth=2
	global_load_b32 v18, v93, s[0:1] offset:1024
	s_or_b32 exec_lo, exec_lo, s11
	s_delay_alu instid0(SALU_CYCLE_1)
	s_mov_b32 s11, exec_lo
	v_cmpx_gt_u32_e64 s8, v46
	s_cbranch_execnz .LBB637_915
.LBB637_966:                            ;   in Loop: Header=BB637_908 Depth=2
	s_or_b32 exec_lo, exec_lo, s11
	s_delay_alu instid0(SALU_CYCLE_1)
	s_mov_b32 s11, exec_lo
	v_cmpx_gt_u32_e64 s8, v47
	s_cbranch_execz .LBB637_916
.LBB637_967:                            ;   in Loop: Header=BB637_908 Depth=2
	global_load_b32 v16, v93, s[0:1] offset:3072
	s_or_b32 exec_lo, exec_lo, s11
	s_delay_alu instid0(SALU_CYCLE_1)
	s_mov_b32 s11, exec_lo
	v_cmpx_gt_u32_e64 s8, v51
	s_cbranch_execnz .LBB637_917
.LBB637_968:                            ;   in Loop: Header=BB637_908 Depth=2
	s_or_b32 exec_lo, exec_lo, s11
	s_delay_alu instid0(SALU_CYCLE_1)
	s_mov_b32 s11, exec_lo
	v_cmpx_gt_u32_e64 s8, v52
	s_cbranch_execz .LBB637_918
.LBB637_969:                            ;   in Loop: Header=BB637_908 Depth=2
	global_load_b32 v14, v95, s[0:1]
	s_or_b32 exec_lo, exec_lo, s11
	s_delay_alu instid0(SALU_CYCLE_1)
	s_mov_b32 s11, exec_lo
	v_cmpx_gt_u32_e64 s8, v53
	s_cbranch_execnz .LBB637_919
.LBB637_970:                            ;   in Loop: Header=BB637_908 Depth=2
	s_or_b32 exec_lo, exec_lo, s11
	s_delay_alu instid0(SALU_CYCLE_1)
	s_mov_b32 s11, exec_lo
	v_cmpx_gt_u32_e64 s8, v54
	s_cbranch_execz .LBB637_920
.LBB637_971:                            ;   in Loop: Header=BB637_908 Depth=2
	global_load_b32 v12, v97, s[0:1]
	s_or_b32 exec_lo, exec_lo, s11
	s_delay_alu instid0(SALU_CYCLE_1)
	s_mov_b32 s11, exec_lo
	v_cmpx_gt_u32_e64 s8, v55
	s_cbranch_execnz .LBB637_921
.LBB637_972:                            ;   in Loop: Header=BB637_908 Depth=2
	s_or_b32 exec_lo, exec_lo, s11
	s_delay_alu instid0(SALU_CYCLE_1)
	s_mov_b32 s11, exec_lo
	v_cmpx_gt_u32_e64 s8, v56
	s_cbranch_execz .LBB637_922
.LBB637_973:                            ;   in Loop: Header=BB637_908 Depth=2
	global_load_b32 v10, v99, s[0:1]
	s_or_b32 exec_lo, exec_lo, s11
	s_delay_alu instid0(SALU_CYCLE_1)
	s_mov_b32 s11, exec_lo
	v_cmpx_gt_u32_e64 s8, v57
	s_cbranch_execnz .LBB637_923
.LBB637_974:                            ;   in Loop: Header=BB637_908 Depth=2
	s_or_b32 exec_lo, exec_lo, s11
	s_delay_alu instid0(SALU_CYCLE_1)
	s_mov_b32 s11, exec_lo
	v_cmpx_gt_u32_e64 s8, v58
	s_cbranch_execz .LBB637_924
.LBB637_975:                            ;   in Loop: Header=BB637_908 Depth=2
	global_load_b32 v8, v101, s[0:1]
	s_or_b32 exec_lo, exec_lo, s11
	s_delay_alu instid0(SALU_CYCLE_1)
	s_mov_b32 s11, exec_lo
	v_cmpx_gt_u32_e64 s8, v59
	s_cbranch_execnz .LBB637_925
.LBB637_976:                            ;   in Loop: Header=BB637_908 Depth=2
	s_or_b32 exec_lo, exec_lo, s11
	s_delay_alu instid0(SALU_CYCLE_1)
	s_mov_b32 s11, exec_lo
	v_cmpx_gt_u32_e64 s8, v60
	s_cbranch_execz .LBB637_926
.LBB637_977:                            ;   in Loop: Header=BB637_908 Depth=2
	global_load_b32 v6, v103, s[0:1]
	s_or_b32 exec_lo, exec_lo, s11
	s_delay_alu instid0(SALU_CYCLE_1)
	s_mov_b32 s11, exec_lo
	v_cmpx_gt_u32_e64 s8, v61
	s_cbranch_execz .LBB637_928
	s_branch .LBB637_927
.LBB637_978:                            ;   in Loop: Header=BB637_20 Depth=1
	v_mov_b32_e32 v2, 0
	s_waitcnt vmcnt(0) lgkmcnt(0)
	s_barrier
	buffer_gl0_inv
	s_and_saveexec_b32 s0, s2
	s_cbranch_execz .LBB637_980
; %bb.979:                              ;   in Loop: Header=BB637_20 Depth=1
	ds_load_2addr_b64 v[4:7], v64 offset1:1
	s_waitcnt lgkmcnt(0)
	v_add_nc_u32_e32 v2, v5, v4
	s_delay_alu instid0(VALU_DEP_1)
	v_add3_u32 v2, v2, v6, v7
.LBB637_980:                            ;   in Loop: Header=BB637_20 Depth=1
	s_or_b32 exec_lo, exec_lo, s0
	v_and_b32_e32 v4, 15, v106
	s_delay_alu instid0(VALU_DEP_2) | instskip(SKIP_1) | instid1(VALU_DEP_3)
	v_mov_b32_dpp v5, v2 row_shr:1 row_mask:0xf bank_mask:0xf
	v_and_b32_e32 v6, 16, v106
	v_cmp_eq_u32_e64 s0, 0, v4
	v_cmp_lt_u32_e64 s1, 1, v4
	v_cmp_lt_u32_e64 s8, 3, v4
	v_cmp_lt_u32_e64 s9, 7, v4
	v_cmp_eq_u32_e64 s10, 0, v6
	v_cndmask_b32_e64 v5, v5, 0, s0
	s_delay_alu instid0(VALU_DEP_1) | instskip(NEXT) | instid1(VALU_DEP_1)
	v_add_nc_u32_e32 v2, v5, v2
	v_mov_b32_dpp v5, v2 row_shr:2 row_mask:0xf bank_mask:0xf
	s_delay_alu instid0(VALU_DEP_1) | instskip(NEXT) | instid1(VALU_DEP_1)
	v_cndmask_b32_e64 v5, 0, v5, s1
	v_add_nc_u32_e32 v2, v2, v5
	s_delay_alu instid0(VALU_DEP_1) | instskip(NEXT) | instid1(VALU_DEP_1)
	v_mov_b32_dpp v5, v2 row_shr:4 row_mask:0xf bank_mask:0xf
	v_cndmask_b32_e64 v5, 0, v5, s8
	s_delay_alu instid0(VALU_DEP_1) | instskip(NEXT) | instid1(VALU_DEP_1)
	v_add_nc_u32_e32 v2, v2, v5
	v_mov_b32_dpp v5, v2 row_shr:8 row_mask:0xf bank_mask:0xf
	s_delay_alu instid0(VALU_DEP_1) | instskip(SKIP_1) | instid1(VALU_DEP_2)
	v_cndmask_b32_e64 v4, 0, v5, s9
	v_bfe_i32 v5, v106, 4, 1
	v_add_nc_u32_e32 v2, v2, v4
	ds_swizzle_b32 v4, v2 offset:swizzle(BROADCAST,32,15)
	s_waitcnt lgkmcnt(0)
	v_and_b32_e32 v4, v5, v4
	s_delay_alu instid0(VALU_DEP_1)
	v_add_nc_u32_e32 v4, v2, v4
	s_and_saveexec_b32 s11, s3
	s_cbranch_execz .LBB637_982
; %bb.981:                              ;   in Loop: Header=BB637_20 Depth=1
	ds_store_b32 v65, v4
.LBB637_982:                            ;   in Loop: Header=BB637_20 Depth=1
	s_or_b32 exec_lo, exec_lo, s11
	v_and_b32_e32 v2, 7, v106
	s_waitcnt lgkmcnt(0)
	s_barrier
	buffer_gl0_inv
	s_and_saveexec_b32 s11, s4
	s_cbranch_execz .LBB637_984
; %bb.983:                              ;   in Loop: Header=BB637_20 Depth=1
	ds_load_b32 v5, v66
	v_cmp_ne_u32_e32 vcc_lo, 0, v2
	s_waitcnt lgkmcnt(0)
	v_mov_b32_dpp v6, v5 row_shr:1 row_mask:0xf bank_mask:0xf
	s_delay_alu instid0(VALU_DEP_1) | instskip(SKIP_1) | instid1(VALU_DEP_2)
	v_cndmask_b32_e32 v6, 0, v6, vcc_lo
	v_cmp_lt_u32_e32 vcc_lo, 1, v2
	v_add_nc_u32_e32 v5, v6, v5
	s_delay_alu instid0(VALU_DEP_1) | instskip(NEXT) | instid1(VALU_DEP_1)
	v_mov_b32_dpp v6, v5 row_shr:2 row_mask:0xf bank_mask:0xf
	v_cndmask_b32_e32 v6, 0, v6, vcc_lo
	v_cmp_lt_u32_e32 vcc_lo, 3, v2
	s_delay_alu instid0(VALU_DEP_2) | instskip(NEXT) | instid1(VALU_DEP_1)
	v_add_nc_u32_e32 v5, v5, v6
	v_mov_b32_dpp v6, v5 row_shr:4 row_mask:0xf bank_mask:0xf
	s_delay_alu instid0(VALU_DEP_1) | instskip(NEXT) | instid1(VALU_DEP_1)
	v_cndmask_b32_e32 v6, 0, v6, vcc_lo
	v_add_nc_u32_e32 v5, v5, v6
	ds_store_b32 v66, v5
.LBB637_984:                            ;   in Loop: Header=BB637_20 Depth=1
	s_or_b32 exec_lo, exec_lo, s11
	v_mov_b32_e32 v5, 0
	s_waitcnt lgkmcnt(0)
	s_barrier
	buffer_gl0_inv
	s_and_saveexec_b32 s11, s5
	s_cbranch_execz .LBB637_986
; %bb.985:                              ;   in Loop: Header=BB637_20 Depth=1
	ds_load_b32 v5, v67
.LBB637_986:                            ;   in Loop: Header=BB637_20 Depth=1
	s_or_b32 exec_lo, exec_lo, s11
	v_add_nc_u32_e32 v6, -1, v106
	s_waitcnt lgkmcnt(0)
	v_add_nc_u32_e32 v4, v5, v4
	v_cmp_eq_u32_e64 s11, 0, v106
	s_barrier
	v_cmp_gt_i32_e32 vcc_lo, 0, v6
	buffer_gl0_inv
	v_cndmask_b32_e32 v6, v6, v106, vcc_lo
	s_delay_alu instid0(VALU_DEP_1)
	v_lshlrev_b32_e32 v107, 2, v6
	ds_bpermute_b32 v4, v107, v4
	s_and_saveexec_b32 s12, s2
	s_cbranch_execz .LBB637_988
; %bb.987:                              ;   in Loop: Header=BB637_20 Depth=1
	s_waitcnt lgkmcnt(0)
	v_cndmask_b32_e64 v4, v4, v5, s11
	s_delay_alu instid0(VALU_DEP_1)
	v_add_nc_u32_e32 v4, s60, v4
	ds_store_b32 v44, v4
.LBB637_988:                            ;   in Loop: Header=BB637_20 Depth=1
	s_or_b32 exec_lo, exec_lo, s12
	s_load_b64 s[12:13], s[36:37], 0x0
	v_lshlrev_b32_e32 v5, 3, v106
	v_or_b32_e32 v108, v106, v68
	s_mov_b32 s40, s62
	s_mov_b32 s34, s60
                                        ; implicit-def: $vgpr8_vgpr9
                                        ; implicit-def: $vgpr10_vgpr11
                                        ; implicit-def: $vgpr12_vgpr13
                                        ; implicit-def: $vgpr14_vgpr15
                                        ; implicit-def: $vgpr16_vgpr17
                                        ; implicit-def: $vgpr18_vgpr19
                                        ; implicit-def: $vgpr20_vgpr21
                                        ; implicit-def: $vgpr22_vgpr23
                                        ; implicit-def: $vgpr24_vgpr25
                                        ; implicit-def: $vgpr26_vgpr27
                                        ; implicit-def: $vgpr28_vgpr29
                                        ; implicit-def: $vgpr30_vgpr31
                                        ; implicit-def: $vgpr32_vgpr33
                                        ; implicit-def: $vgpr34_vgpr35
                                        ; implicit-def: $vgpr131
                                        ; implicit-def: $vgpr132
                                        ; implicit-def: $vgpr133
                                        ; implicit-def: $vgpr134
                                        ; implicit-def: $vgpr135
                                        ; implicit-def: $vgpr136
                                        ; implicit-def: $vgpr137
                                        ; implicit-def: $vgpr138
                                        ; implicit-def: $vgpr139
                                        ; implicit-def: $vgpr140
                                        ; implicit-def: $vgpr141
                                        ; implicit-def: $vgpr142
                                        ; implicit-def: $vgpr143
                                        ; implicit-def: $vgpr144
                                        ; implicit-def: $vgpr145
                                        ; implicit-def: $vgpr146
	s_delay_alu instid0(VALU_DEP_2)
	v_add_co_u32 v109, vcc_lo, v88, v5
	v_add_co_ci_u32_e32 v110, vcc_lo, 0, v89, vcc_lo
	v_or_b32_e32 v111, 32, v108
	v_or_b32_e32 v112, 64, v108
	v_or_b32_e32 v113, 0x60, v108
	v_or_b32_e32 v114, 0x80, v108
	v_or_b32_e32 v115, 0xa0, v108
	v_or_b32_e32 v116, 0xc0, v108
	v_or_b32_e32 v117, 0xe0, v108
	v_or_b32_e32 v118, 0x100, v108
	v_or_b32_e32 v119, 0x120, v108
	v_or_b32_e32 v120, 0x140, v108
	s_waitcnt lgkmcnt(0)
	s_cmp_lt_u32 s15, s13
	v_or_b32_e32 v121, 0x160, v108
	s_cselect_b32 s13, 14, 20
	v_or_b32_e32 v122, 0x180, v108
	s_add_u32 s16, s36, s13
	s_addc_u32 s17, s37, 0
	s_cmp_lt_u32 s14, s12
	global_load_u16 v4, v3, s[16:17]
	s_cselect_b32 s12, 12, 18
	v_or_b32_e32 v123, 0x1a0, v108
	s_add_u32 s12, s36, s12
	s_addc_u32 s13, s37, 0
	v_or_b32_e32 v124, 0x1c0, v108
	global_load_u16 v6, v3, s[12:13]
	v_cmp_eq_u32_e64 s12, 0, v2
	v_cmp_lt_u32_e64 s13, 1, v2
	v_cmp_lt_u32_e64 s16, 3, v2
	v_lshlrev_b32_e32 v2, 2, v106
	v_or_b32_e32 v125, 0x1e0, v108
	s_delay_alu instid0(VALU_DEP_2) | instskip(SKIP_1) | instid1(VALU_DEP_2)
	v_add_co_u32 v126, vcc_lo, v90, v2
	v_add_co_ci_u32_e32 v127, vcc_lo, 0, v91, vcc_lo
	v_add_co_u32 v129, vcc_lo, 0x780, v126
	s_delay_alu instid0(VALU_DEP_2) | instskip(SKIP_3) | instid1(VALU_DEP_1)
	v_add_co_ci_u32_e32 v130, vcc_lo, 0, v127, vcc_lo
	s_waitcnt vmcnt(1)
	v_mad_u32_u24 v7, v69, v4, v0
	s_waitcnt vmcnt(0)
	v_mad_u64_u32 v[4:5], null, v7, v6, v[1:2]
                                        ; implicit-def: $vgpr6_vgpr7
	s_delay_alu instid0(VALU_DEP_1)
	v_lshrrev_b32_e32 v128, 5, v4
                                        ; implicit-def: $vgpr4_vgpr5
	s_branch .LBB637_990
.LBB637_989:                            ;   in Loop: Header=BB637_990 Depth=2
	s_or_b32 exec_lo, exec_lo, s17
	s_addk_i32 s40, 0xf000
	s_cmp_lt_u32 s41, s61
	s_mov_b32 s34, s41
	s_cbranch_scc0 .LBB637_18
.LBB637_990:                            ;   Parent Loop BB637_20 Depth=1
                                        ; =>  This Inner Loop Header: Depth=2
	s_add_i32 s41, s34, 0x1000
	s_delay_alu instid0(SALU_CYCLE_1)
	s_cmp_gt_u32 s41, s61
	s_cbranch_scc1 .LBB637_993
; %bb.991:                              ;   in Loop: Header=BB637_990 Depth=2
	s_mov_b32 s19, 0
	s_mov_b32 s18, s34
	s_movk_i32 s17, 0x1000
	s_lshl_b64 s[20:21], s[18:19], 2
	s_delay_alu instid0(SALU_CYCLE_1)
	v_add_co_u32 v36, vcc_lo, v126, s20
	v_add_co_ci_u32_e32 v37, vcc_lo, s21, v127, vcc_lo
	s_mov_b32 s20, -1
	s_clause 0xe
	global_load_b32 v2, v[36:37], off
	global_load_b32 v148, v[36:37], off offset:128
	global_load_b32 v151, v[36:37], off offset:256
	;; [unrolled: 1-line block ×14, first 2 shown]
	s_cbranch_execz .LBB637_994
; %bb.992:                              ;   in Loop: Header=BB637_990 Depth=2
                                        ; implicit-def: $sgpr21
	v_dual_mov_b32 v36, s21 :: v_dual_mov_b32 v147, s40
	s_and_saveexec_b32 s21, s20
	s_cbranch_execnz .LBB637_1025
	s_branch .LBB637_1026
.LBB637_993:                            ;   in Loop: Header=BB637_990 Depth=2
	s_mov_b32 s19, -1
	s_mov_b32 s20, 0
                                        ; implicit-def: $sgpr17
                                        ; implicit-def: $vgpr2
                                        ; implicit-def: $vgpr148
                                        ; implicit-def: $vgpr151
                                        ; implicit-def: $vgpr155
                                        ; implicit-def: $vgpr159
                                        ; implicit-def: $vgpr163
                                        ; implicit-def: $vgpr167
                                        ; implicit-def: $vgpr172
                                        ; implicit-def: $vgpr171
                                        ; implicit-def: $vgpr43
                                        ; implicit-def: $vgpr42
                                        ; implicit-def: $vgpr41
                                        ; implicit-def: $vgpr40
                                        ; implicit-def: $vgpr39
                                        ; implicit-def: $vgpr38
.LBB637_994:                            ;   in Loop: Header=BB637_990 Depth=2
	s_lshl_b64 s[18:19], s[34:35], 2
	s_waitcnt vmcnt(13)
	v_bfrev_b32_e32 v148, -2
	v_add_co_u32 v36, vcc_lo, v126, s18
	v_add_co_ci_u32_e32 v37, vcc_lo, s19, v127, vcc_lo
	v_bfrev_b32_e32 v2, -2
	s_mov_b32 s17, exec_lo
	v_cmpx_gt_u32_e64 s40, v108
	s_cbranch_execz .LBB637_996
; %bb.995:                              ;   in Loop: Header=BB637_990 Depth=2
	global_load_b32 v2, v[36:37], off
.LBB637_996:                            ;   in Loop: Header=BB637_990 Depth=2
	s_or_b32 exec_lo, exec_lo, s17
	s_delay_alu instid0(SALU_CYCLE_1)
	s_mov_b32 s17, exec_lo
	v_cmpx_gt_u32_e64 s40, v111
	s_cbranch_execz .LBB637_998
; %bb.997:                              ;   in Loop: Header=BB637_990 Depth=2
	global_load_b32 v148, v[36:37], off offset:128
.LBB637_998:                            ;   in Loop: Header=BB637_990 Depth=2
	s_or_b32 exec_lo, exec_lo, s17
	s_waitcnt vmcnt(11)
	v_bfrev_b32_e32 v155, -2
	v_bfrev_b32_e32 v151, -2
	s_mov_b32 s17, exec_lo
	v_cmpx_gt_u32_e64 s40, v112
	s_cbranch_execz .LBB637_1000
; %bb.999:                              ;   in Loop: Header=BB637_990 Depth=2
	global_load_b32 v151, v[36:37], off offset:256
.LBB637_1000:                           ;   in Loop: Header=BB637_990 Depth=2
	s_or_b32 exec_lo, exec_lo, s17
	s_delay_alu instid0(SALU_CYCLE_1)
	s_mov_b32 s17, exec_lo
	v_cmpx_gt_u32_e64 s40, v113
	s_cbranch_execz .LBB637_1002
; %bb.1001:                             ;   in Loop: Header=BB637_990 Depth=2
	global_load_b32 v155, v[36:37], off offset:384
.LBB637_1002:                           ;   in Loop: Header=BB637_990 Depth=2
	s_or_b32 exec_lo, exec_lo, s17
	s_waitcnt vmcnt(9)
	v_bfrev_b32_e32 v163, -2
	v_bfrev_b32_e32 v159, -2
	s_mov_b32 s17, exec_lo
	v_cmpx_gt_u32_e64 s40, v114
	s_cbranch_execz .LBB637_1004
; %bb.1003:                             ;   in Loop: Header=BB637_990 Depth=2
	global_load_b32 v159, v[36:37], off offset:512
.LBB637_1004:                           ;   in Loop: Header=BB637_990 Depth=2
	s_or_b32 exec_lo, exec_lo, s17
	s_delay_alu instid0(SALU_CYCLE_1)
	s_mov_b32 s17, exec_lo
	v_cmpx_gt_u32_e64 s40, v115
	s_cbranch_execz .LBB637_1006
; %bb.1005:                             ;   in Loop: Header=BB637_990 Depth=2
	global_load_b32 v163, v[36:37], off offset:640
.LBB637_1006:                           ;   in Loop: Header=BB637_990 Depth=2
	s_or_b32 exec_lo, exec_lo, s17
	s_waitcnt vmcnt(7)
	v_bfrev_b32_e32 v172, -2
	v_bfrev_b32_e32 v167, -2
	s_mov_b32 s17, exec_lo
	v_cmpx_gt_u32_e64 s40, v116
	s_cbranch_execz .LBB637_1008
; %bb.1007:                             ;   in Loop: Header=BB637_990 Depth=2
	global_load_b32 v167, v[36:37], off offset:768
.LBB637_1008:                           ;   in Loop: Header=BB637_990 Depth=2
	;; [unrolled: 18-line block ×5, first 2 shown]
	s_or_b32 exec_lo, exec_lo, s17
	s_delay_alu instid0(SALU_CYCLE_1)
	s_mov_b32 s17, exec_lo
	v_cmpx_gt_u32_e64 s40, v123
	s_cbranch_execz .LBB637_1022
; %bb.1021:                             ;   in Loop: Header=BB637_990 Depth=2
	global_load_b32 v39, v[36:37], off offset:1664
.LBB637_1022:                           ;   in Loop: Header=BB637_990 Depth=2
	s_or_b32 exec_lo, exec_lo, s17
	s_waitcnt vmcnt(0)
	v_bfrev_b32_e32 v38, -2
	s_mov_b32 s17, exec_lo
	v_cmpx_gt_u32_e64 s40, v124
	s_cbranch_execz .LBB637_1024
; %bb.1023:                             ;   in Loop: Header=BB637_990 Depth=2
	global_load_b32 v38, v[36:37], off offset:1792
.LBB637_1024:                           ;   in Loop: Header=BB637_990 Depth=2
	s_or_b32 exec_lo, exec_lo, s17
	v_cmp_gt_u32_e64 s20, s40, v125
	s_sub_i32 s17, s61, s34
	s_brev_b32 s21, -2
	s_mov_b64 s[18:19], s[34:35]
	v_dual_mov_b32 v36, s21 :: v_dual_mov_b32 v147, s40
	s_and_saveexec_b32 s21, s20
	s_cbranch_execz .LBB637_1026
.LBB637_1025:                           ;   in Loop: Header=BB637_990 Depth=2
	s_lshl_b64 s[18:19], s[18:19], 2
	v_mov_b32_e32 v147, s17
	v_add_co_u32 v36, vcc_lo, v129, s18
	v_add_co_ci_u32_e32 v37, vcc_lo, s19, v130, vcc_lo
	global_load_b32 v36, v[36:37], off
.LBB637_1026:                           ;   in Loop: Header=BB637_990 Depth=2
	s_or_b32 exec_lo, exec_lo, s21
	s_waitcnt vmcnt(14)
	v_xor_b32_e32 v2, 0x80000000, v2
	ds_store_b32 v70, v3 offset:1056
	ds_store_2addr_b32 v71, v3, v3 offset0:1 offset1:2
	ds_store_2addr_b32 v71, v3, v3 offset0:3 offset1:4
	;; [unrolled: 1-line block ×4, first 2 shown]
	s_waitcnt vmcnt(0) lgkmcnt(0)
	s_barrier
	v_lshrrev_b32_e32 v37, s57, v2
	buffer_gl0_inv
	; wave barrier
	v_and_b32_e32 v150, s39, v37
	s_delay_alu instid0(VALU_DEP_1)
	v_and_b32_e32 v37, 1, v150
	v_lshlrev_b32_e32 v149, 30, v150
	v_lshlrev_b32_e32 v152, 29, v150
	;; [unrolled: 1-line block ×4, first 2 shown]
	v_add_co_u32 v37, s17, v37, -1
	s_delay_alu instid0(VALU_DEP_1)
	v_cndmask_b32_e64 v154, 0, 1, s17
	v_not_b32_e32 v160, v149
	v_cmp_gt_i32_e64 s17, 0, v149
	v_not_b32_e32 v149, v152
	v_lshlrev_b32_e32 v157, 26, v150
	v_cmp_ne_u32_e32 vcc_lo, 0, v154
	v_ashrrev_i32_e32 v160, 31, v160
	v_lshlrev_b32_e32 v158, 25, v150
	v_ashrrev_i32_e32 v149, 31, v149
	v_lshlrev_b32_e32 v154, 24, v150
	v_xor_b32_e32 v37, vcc_lo, v37
	v_cmp_gt_i32_e32 vcc_lo, 0, v152
	v_not_b32_e32 v152, v153
	v_xor_b32_e32 v160, s17, v160
	v_cmp_gt_i32_e64 s17, 0, v153
	v_and_b32_e32 v37, exec_lo, v37
	v_not_b32_e32 v153, v156
	v_ashrrev_i32_e32 v152, 31, v152
	v_xor_b32_e32 v149, vcc_lo, v149
	v_cmp_gt_i32_e32 vcc_lo, 0, v156
	v_and_b32_e32 v37, v37, v160
	v_not_b32_e32 v156, v157
	v_ashrrev_i32_e32 v153, 31, v153
	v_xor_b32_e32 v152, s17, v152
	v_cmp_gt_i32_e64 s17, 0, v157
	v_and_b32_e32 v37, v37, v149
	v_not_b32_e32 v149, v158
	v_ashrrev_i32_e32 v156, 31, v156
	v_xor_b32_e32 v153, vcc_lo, v153
	v_cmp_gt_i32_e32 vcc_lo, 0, v158
	v_and_b32_e32 v37, v37, v152
	v_not_b32_e32 v152, v154
	v_ashrrev_i32_e32 v149, 31, v149
	v_xor_b32_e32 v156, s17, v156
	v_cmp_gt_i32_e64 s17, 0, v154
	v_and_b32_e32 v37, v37, v153
	v_ashrrev_i32_e32 v152, 31, v152
	v_xor_b32_e32 v149, vcc_lo, v149
	v_mad_u32_u24 v150, v150, 9, v128
	s_delay_alu instid0(VALU_DEP_4) | instskip(NEXT) | instid1(VALU_DEP_4)
	v_and_b32_e32 v37, v37, v156
	v_xor_b32_e32 v152, s17, v152
	s_delay_alu instid0(VALU_DEP_3) | instskip(NEXT) | instid1(VALU_DEP_3)
	v_lshl_add_u32 v150, v150, 2, 0x420
	v_and_b32_e32 v37, v37, v149
	s_delay_alu instid0(VALU_DEP_1) | instskip(NEXT) | instid1(VALU_DEP_1)
	v_and_b32_e32 v37, v37, v152
	v_mbcnt_lo_u32_b32 v149, v37, 0
	v_cmp_ne_u32_e64 s17, 0, v37
	s_delay_alu instid0(VALU_DEP_2) | instskip(NEXT) | instid1(VALU_DEP_2)
	v_cmp_eq_u32_e32 vcc_lo, 0, v149
	s_and_b32 s18, s17, vcc_lo
	s_delay_alu instid0(SALU_CYCLE_1)
	s_and_saveexec_b32 s17, s18
	s_cbranch_execz .LBB637_1028
; %bb.1027:                             ;   in Loop: Header=BB637_990 Depth=2
	v_bcnt_u32_b32 v37, v37, 0
	ds_store_b32 v150, v37
.LBB637_1028:                           ;   in Loop: Header=BB637_990 Depth=2
	s_or_b32 exec_lo, exec_lo, s17
	v_xor_b32_e32 v148, 0x80000000, v148
	; wave barrier
	s_delay_alu instid0(VALU_DEP_1) | instskip(NEXT) | instid1(VALU_DEP_1)
	v_lshrrev_b32_e32 v37, s57, v148
	v_and_b32_e32 v37, s39, v37
	s_delay_alu instid0(VALU_DEP_1)
	v_and_b32_e32 v152, 1, v37
	v_lshlrev_b32_e32 v153, 30, v37
	v_lshlrev_b32_e32 v154, 29, v37
	;; [unrolled: 1-line block ×4, first 2 shown]
	v_add_co_u32 v152, s17, v152, -1
	s_delay_alu instid0(VALU_DEP_1)
	v_cndmask_b32_e64 v157, 0, 1, s17
	v_not_b32_e32 v162, v153
	v_cmp_gt_i32_e64 s17, 0, v153
	v_not_b32_e32 v153, v154
	v_lshlrev_b32_e32 v160, 26, v37
	v_cmp_ne_u32_e32 vcc_lo, 0, v157
	v_ashrrev_i32_e32 v162, 31, v162
	v_lshlrev_b32_e32 v161, 25, v37
	v_ashrrev_i32_e32 v153, 31, v153
	v_lshlrev_b32_e32 v157, 24, v37
	v_xor_b32_e32 v152, vcc_lo, v152
	v_cmp_gt_i32_e32 vcc_lo, 0, v154
	v_not_b32_e32 v154, v156
	v_xor_b32_e32 v162, s17, v162
	v_cmp_gt_i32_e64 s17, 0, v156
	v_and_b32_e32 v152, exec_lo, v152
	v_not_b32_e32 v156, v158
	v_ashrrev_i32_e32 v154, 31, v154
	v_xor_b32_e32 v153, vcc_lo, v153
	v_cmp_gt_i32_e32 vcc_lo, 0, v158
	v_and_b32_e32 v152, v152, v162
	v_not_b32_e32 v158, v160
	v_ashrrev_i32_e32 v156, 31, v156
	v_xor_b32_e32 v154, s17, v154
	v_cmp_gt_i32_e64 s17, 0, v160
	v_and_b32_e32 v152, v152, v153
	v_not_b32_e32 v153, v161
	v_ashrrev_i32_e32 v158, 31, v158
	v_xor_b32_e32 v156, vcc_lo, v156
	v_cmp_gt_i32_e32 vcc_lo, 0, v161
	v_and_b32_e32 v152, v152, v154
	v_not_b32_e32 v154, v157
	v_ashrrev_i32_e32 v153, 31, v153
	v_xor_b32_e32 v158, s17, v158
	v_mul_u32_u24_e32 v37, 9, v37
	v_and_b32_e32 v152, v152, v156
	v_cmp_gt_i32_e64 s17, 0, v157
	v_ashrrev_i32_e32 v154, 31, v154
	v_xor_b32_e32 v153, vcc_lo, v153
	v_add_lshl_u32 v156, v37, v128, 2
	v_and_b32_e32 v152, v152, v158
	s_delay_alu instid0(VALU_DEP_4) | instskip(NEXT) | instid1(VALU_DEP_3)
	v_xor_b32_e32 v37, s17, v154
	v_add_nc_u32_e32 v154, 0x420, v156
	s_delay_alu instid0(VALU_DEP_3) | instskip(SKIP_2) | instid1(VALU_DEP_1)
	v_and_b32_e32 v153, v152, v153
	ds_load_b32 v152, v156 offset:1056
	; wave barrier
	v_and_b32_e32 v37, v153, v37
	v_mbcnt_lo_u32_b32 v153, v37, 0
	v_cmp_ne_u32_e64 s17, 0, v37
	s_delay_alu instid0(VALU_DEP_2) | instskip(NEXT) | instid1(VALU_DEP_2)
	v_cmp_eq_u32_e32 vcc_lo, 0, v153
	s_and_b32 s18, s17, vcc_lo
	s_delay_alu instid0(SALU_CYCLE_1)
	s_and_saveexec_b32 s17, s18
	s_cbranch_execz .LBB637_1030
; %bb.1029:                             ;   in Loop: Header=BB637_990 Depth=2
	s_waitcnt lgkmcnt(0)
	v_bcnt_u32_b32 v37, v37, v152
	ds_store_b32 v154, v37
.LBB637_1030:                           ;   in Loop: Header=BB637_990 Depth=2
	s_or_b32 exec_lo, exec_lo, s17
	v_xor_b32_e32 v151, 0x80000000, v151
	; wave barrier
	s_delay_alu instid0(VALU_DEP_1) | instskip(NEXT) | instid1(VALU_DEP_1)
	v_lshrrev_b32_e32 v37, s57, v151
	v_and_b32_e32 v37, s39, v37
	s_delay_alu instid0(VALU_DEP_1)
	v_and_b32_e32 v156, 1, v37
	v_lshlrev_b32_e32 v157, 30, v37
	v_lshlrev_b32_e32 v158, 29, v37
	;; [unrolled: 1-line block ×4, first 2 shown]
	v_add_co_u32 v156, s17, v156, -1
	s_delay_alu instid0(VALU_DEP_1)
	v_cndmask_b32_e64 v161, 0, 1, s17
	v_not_b32_e32 v166, v157
	v_cmp_gt_i32_e64 s17, 0, v157
	v_not_b32_e32 v157, v158
	v_lshlrev_b32_e32 v164, 26, v37
	v_cmp_ne_u32_e32 vcc_lo, 0, v161
	v_ashrrev_i32_e32 v166, 31, v166
	v_lshlrev_b32_e32 v165, 25, v37
	v_ashrrev_i32_e32 v157, 31, v157
	v_lshlrev_b32_e32 v161, 24, v37
	v_xor_b32_e32 v156, vcc_lo, v156
	v_cmp_gt_i32_e32 vcc_lo, 0, v158
	v_not_b32_e32 v158, v160
	v_xor_b32_e32 v166, s17, v166
	v_cmp_gt_i32_e64 s17, 0, v160
	v_and_b32_e32 v156, exec_lo, v156
	v_not_b32_e32 v160, v162
	v_ashrrev_i32_e32 v158, 31, v158
	v_xor_b32_e32 v157, vcc_lo, v157
	v_cmp_gt_i32_e32 vcc_lo, 0, v162
	v_and_b32_e32 v156, v156, v166
	v_not_b32_e32 v162, v164
	v_ashrrev_i32_e32 v160, 31, v160
	v_xor_b32_e32 v158, s17, v158
	v_cmp_gt_i32_e64 s17, 0, v164
	v_and_b32_e32 v156, v156, v157
	v_not_b32_e32 v157, v165
	v_ashrrev_i32_e32 v162, 31, v162
	v_xor_b32_e32 v160, vcc_lo, v160
	v_cmp_gt_i32_e32 vcc_lo, 0, v165
	v_and_b32_e32 v156, v156, v158
	v_not_b32_e32 v158, v161
	v_ashrrev_i32_e32 v157, 31, v157
	v_xor_b32_e32 v162, s17, v162
	v_mul_u32_u24_e32 v37, 9, v37
	v_and_b32_e32 v156, v156, v160
	v_cmp_gt_i32_e64 s17, 0, v161
	v_ashrrev_i32_e32 v158, 31, v158
	v_xor_b32_e32 v157, vcc_lo, v157
	v_add_lshl_u32 v160, v37, v128, 2
	v_and_b32_e32 v156, v156, v162
	s_delay_alu instid0(VALU_DEP_4) | instskip(NEXT) | instid1(VALU_DEP_3)
	v_xor_b32_e32 v37, s17, v158
	v_add_nc_u32_e32 v158, 0x420, v160
	s_delay_alu instid0(VALU_DEP_3) | instskip(SKIP_2) | instid1(VALU_DEP_1)
	v_and_b32_e32 v157, v156, v157
	ds_load_b32 v156, v160 offset:1056
	; wave barrier
	v_and_b32_e32 v37, v157, v37
	v_mbcnt_lo_u32_b32 v157, v37, 0
	v_cmp_ne_u32_e64 s17, 0, v37
	s_delay_alu instid0(VALU_DEP_2) | instskip(NEXT) | instid1(VALU_DEP_2)
	v_cmp_eq_u32_e32 vcc_lo, 0, v157
	s_and_b32 s18, s17, vcc_lo
	s_delay_alu instid0(SALU_CYCLE_1)
	s_and_saveexec_b32 s17, s18
	s_cbranch_execz .LBB637_1032
; %bb.1031:                             ;   in Loop: Header=BB637_990 Depth=2
	s_waitcnt lgkmcnt(0)
	v_bcnt_u32_b32 v37, v37, v156
	ds_store_b32 v158, v37
.LBB637_1032:                           ;   in Loop: Header=BB637_990 Depth=2
	s_or_b32 exec_lo, exec_lo, s17
	v_xor_b32_e32 v155, 0x80000000, v155
	; wave barrier
	s_delay_alu instid0(VALU_DEP_1) | instskip(NEXT) | instid1(VALU_DEP_1)
	v_lshrrev_b32_e32 v37, s57, v155
	v_and_b32_e32 v37, s39, v37
	s_delay_alu instid0(VALU_DEP_1)
	v_and_b32_e32 v160, 1, v37
	v_lshlrev_b32_e32 v161, 30, v37
	v_lshlrev_b32_e32 v162, 29, v37
	;; [unrolled: 1-line block ×4, first 2 shown]
	v_add_co_u32 v160, s17, v160, -1
	s_delay_alu instid0(VALU_DEP_1)
	v_cndmask_b32_e64 v165, 0, 1, s17
	v_not_b32_e32 v170, v161
	v_cmp_gt_i32_e64 s17, 0, v161
	v_not_b32_e32 v161, v162
	v_lshlrev_b32_e32 v168, 26, v37
	v_cmp_ne_u32_e32 vcc_lo, 0, v165
	v_ashrrev_i32_e32 v170, 31, v170
	v_lshlrev_b32_e32 v169, 25, v37
	v_ashrrev_i32_e32 v161, 31, v161
	v_lshlrev_b32_e32 v165, 24, v37
	v_xor_b32_e32 v160, vcc_lo, v160
	v_cmp_gt_i32_e32 vcc_lo, 0, v162
	v_not_b32_e32 v162, v164
	v_xor_b32_e32 v170, s17, v170
	v_cmp_gt_i32_e64 s17, 0, v164
	v_and_b32_e32 v160, exec_lo, v160
	v_not_b32_e32 v164, v166
	v_ashrrev_i32_e32 v162, 31, v162
	v_xor_b32_e32 v161, vcc_lo, v161
	v_cmp_gt_i32_e32 vcc_lo, 0, v166
	v_and_b32_e32 v160, v160, v170
	v_not_b32_e32 v166, v168
	v_ashrrev_i32_e32 v164, 31, v164
	v_xor_b32_e32 v162, s17, v162
	v_cmp_gt_i32_e64 s17, 0, v168
	v_and_b32_e32 v160, v160, v161
	v_not_b32_e32 v161, v169
	v_ashrrev_i32_e32 v166, 31, v166
	v_xor_b32_e32 v164, vcc_lo, v164
	v_cmp_gt_i32_e32 vcc_lo, 0, v169
	v_and_b32_e32 v160, v160, v162
	v_not_b32_e32 v162, v165
	v_ashrrev_i32_e32 v161, 31, v161
	v_xor_b32_e32 v166, s17, v166
	v_mul_u32_u24_e32 v37, 9, v37
	v_and_b32_e32 v160, v160, v164
	v_cmp_gt_i32_e64 s17, 0, v165
	v_ashrrev_i32_e32 v162, 31, v162
	v_xor_b32_e32 v161, vcc_lo, v161
	v_add_lshl_u32 v164, v37, v128, 2
	v_and_b32_e32 v160, v160, v166
	s_delay_alu instid0(VALU_DEP_4) | instskip(NEXT) | instid1(VALU_DEP_3)
	v_xor_b32_e32 v37, s17, v162
	v_add_nc_u32_e32 v162, 0x420, v164
	s_delay_alu instid0(VALU_DEP_3) | instskip(SKIP_2) | instid1(VALU_DEP_1)
	v_and_b32_e32 v161, v160, v161
	ds_load_b32 v160, v164 offset:1056
	; wave barrier
	v_and_b32_e32 v37, v161, v37
	v_mbcnt_lo_u32_b32 v161, v37, 0
	v_cmp_ne_u32_e64 s17, 0, v37
	s_delay_alu instid0(VALU_DEP_2) | instskip(NEXT) | instid1(VALU_DEP_2)
	v_cmp_eq_u32_e32 vcc_lo, 0, v161
	s_and_b32 s18, s17, vcc_lo
	s_delay_alu instid0(SALU_CYCLE_1)
	s_and_saveexec_b32 s17, s18
	s_cbranch_execz .LBB637_1034
; %bb.1033:                             ;   in Loop: Header=BB637_990 Depth=2
	s_waitcnt lgkmcnt(0)
	v_bcnt_u32_b32 v37, v37, v160
	ds_store_b32 v162, v37
.LBB637_1034:                           ;   in Loop: Header=BB637_990 Depth=2
	s_or_b32 exec_lo, exec_lo, s17
	v_xor_b32_e32 v159, 0x80000000, v159
	; wave barrier
	s_delay_alu instid0(VALU_DEP_1) | instskip(NEXT) | instid1(VALU_DEP_1)
	v_lshrrev_b32_e32 v37, s57, v159
	v_and_b32_e32 v37, s39, v37
	s_delay_alu instid0(VALU_DEP_1)
	v_and_b32_e32 v164, 1, v37
	v_lshlrev_b32_e32 v165, 30, v37
	v_lshlrev_b32_e32 v166, 29, v37
	;; [unrolled: 1-line block ×4, first 2 shown]
	v_add_co_u32 v164, s17, v164, -1
	s_delay_alu instid0(VALU_DEP_1)
	v_cndmask_b32_e64 v169, 0, 1, s17
	v_not_b32_e32 v175, v165
	v_cmp_gt_i32_e64 s17, 0, v165
	v_not_b32_e32 v165, v166
	v_lshlrev_b32_e32 v173, 26, v37
	v_cmp_ne_u32_e32 vcc_lo, 0, v169
	v_ashrrev_i32_e32 v175, 31, v175
	v_lshlrev_b32_e32 v174, 25, v37
	v_ashrrev_i32_e32 v165, 31, v165
	v_lshlrev_b32_e32 v169, 24, v37
	v_xor_b32_e32 v164, vcc_lo, v164
	v_cmp_gt_i32_e32 vcc_lo, 0, v166
	v_not_b32_e32 v166, v168
	v_xor_b32_e32 v175, s17, v175
	v_cmp_gt_i32_e64 s17, 0, v168
	v_and_b32_e32 v164, exec_lo, v164
	v_not_b32_e32 v168, v170
	v_ashrrev_i32_e32 v166, 31, v166
	v_xor_b32_e32 v165, vcc_lo, v165
	v_cmp_gt_i32_e32 vcc_lo, 0, v170
	v_and_b32_e32 v164, v164, v175
	v_not_b32_e32 v170, v173
	v_ashrrev_i32_e32 v168, 31, v168
	v_xor_b32_e32 v166, s17, v166
	v_cmp_gt_i32_e64 s17, 0, v173
	v_and_b32_e32 v164, v164, v165
	v_not_b32_e32 v165, v174
	v_ashrrev_i32_e32 v170, 31, v170
	v_xor_b32_e32 v168, vcc_lo, v168
	v_cmp_gt_i32_e32 vcc_lo, 0, v174
	v_and_b32_e32 v164, v164, v166
	v_not_b32_e32 v166, v169
	v_ashrrev_i32_e32 v165, 31, v165
	v_xor_b32_e32 v170, s17, v170
	v_mul_u32_u24_e32 v37, 9, v37
	v_and_b32_e32 v164, v164, v168
	v_cmp_gt_i32_e64 s17, 0, v169
	v_ashrrev_i32_e32 v166, 31, v166
	v_xor_b32_e32 v165, vcc_lo, v165
	v_add_lshl_u32 v168, v37, v128, 2
	v_and_b32_e32 v164, v164, v170
	s_delay_alu instid0(VALU_DEP_4) | instskip(NEXT) | instid1(VALU_DEP_3)
	v_xor_b32_e32 v37, s17, v166
	v_add_nc_u32_e32 v166, 0x420, v168
	s_delay_alu instid0(VALU_DEP_3) | instskip(SKIP_2) | instid1(VALU_DEP_1)
	v_and_b32_e32 v165, v164, v165
	ds_load_b32 v164, v168 offset:1056
	; wave barrier
	v_and_b32_e32 v37, v165, v37
	v_mbcnt_lo_u32_b32 v165, v37, 0
	v_cmp_ne_u32_e64 s17, 0, v37
	s_delay_alu instid0(VALU_DEP_2) | instskip(NEXT) | instid1(VALU_DEP_2)
	v_cmp_eq_u32_e32 vcc_lo, 0, v165
	s_and_b32 s18, s17, vcc_lo
	s_delay_alu instid0(SALU_CYCLE_1)
	s_and_saveexec_b32 s17, s18
	s_cbranch_execz .LBB637_1036
; %bb.1035:                             ;   in Loop: Header=BB637_990 Depth=2
	s_waitcnt lgkmcnt(0)
	v_bcnt_u32_b32 v37, v37, v164
	ds_store_b32 v166, v37
.LBB637_1036:                           ;   in Loop: Header=BB637_990 Depth=2
	s_or_b32 exec_lo, exec_lo, s17
	v_xor_b32_e32 v163, 0x80000000, v163
	; wave barrier
	s_delay_alu instid0(VALU_DEP_1) | instskip(NEXT) | instid1(VALU_DEP_1)
	v_lshrrev_b32_e32 v37, s57, v163
	v_and_b32_e32 v37, s39, v37
	s_delay_alu instid0(VALU_DEP_1)
	v_and_b32_e32 v168, 1, v37
	v_lshlrev_b32_e32 v169, 30, v37
	v_lshlrev_b32_e32 v170, 29, v37
	;; [unrolled: 1-line block ×4, first 2 shown]
	v_add_co_u32 v168, s17, v168, -1
	s_delay_alu instid0(VALU_DEP_1)
	v_cndmask_b32_e64 v174, 0, 1, s17
	v_not_b32_e32 v178, v169
	v_cmp_gt_i32_e64 s17, 0, v169
	v_not_b32_e32 v169, v170
	v_lshlrev_b32_e32 v176, 26, v37
	v_cmp_ne_u32_e32 vcc_lo, 0, v174
	v_ashrrev_i32_e32 v178, 31, v178
	v_lshlrev_b32_e32 v177, 25, v37
	v_ashrrev_i32_e32 v169, 31, v169
	v_lshlrev_b32_e32 v174, 24, v37
	v_xor_b32_e32 v168, vcc_lo, v168
	v_cmp_gt_i32_e32 vcc_lo, 0, v170
	v_not_b32_e32 v170, v173
	v_xor_b32_e32 v178, s17, v178
	v_cmp_gt_i32_e64 s17, 0, v173
	v_and_b32_e32 v168, exec_lo, v168
	v_not_b32_e32 v173, v175
	v_ashrrev_i32_e32 v170, 31, v170
	v_xor_b32_e32 v169, vcc_lo, v169
	v_cmp_gt_i32_e32 vcc_lo, 0, v175
	v_and_b32_e32 v168, v168, v178
	v_not_b32_e32 v175, v176
	v_ashrrev_i32_e32 v173, 31, v173
	v_xor_b32_e32 v170, s17, v170
	v_cmp_gt_i32_e64 s17, 0, v176
	v_and_b32_e32 v168, v168, v169
	v_not_b32_e32 v169, v177
	v_ashrrev_i32_e32 v175, 31, v175
	v_xor_b32_e32 v173, vcc_lo, v173
	v_cmp_gt_i32_e32 vcc_lo, 0, v177
	v_and_b32_e32 v168, v168, v170
	v_not_b32_e32 v170, v174
	v_ashrrev_i32_e32 v169, 31, v169
	v_xor_b32_e32 v175, s17, v175
	v_mul_u32_u24_e32 v37, 9, v37
	v_and_b32_e32 v168, v168, v173
	v_cmp_gt_i32_e64 s17, 0, v174
	v_ashrrev_i32_e32 v170, 31, v170
	v_xor_b32_e32 v169, vcc_lo, v169
	v_add_lshl_u32 v173, v37, v128, 2
	v_and_b32_e32 v168, v168, v175
	s_delay_alu instid0(VALU_DEP_4) | instskip(NEXT) | instid1(VALU_DEP_3)
	v_xor_b32_e32 v37, s17, v170
	v_add_nc_u32_e32 v170, 0x420, v173
	s_delay_alu instid0(VALU_DEP_3) | instskip(SKIP_2) | instid1(VALU_DEP_1)
	v_and_b32_e32 v169, v168, v169
	ds_load_b32 v168, v173 offset:1056
	; wave barrier
	v_and_b32_e32 v37, v169, v37
	v_mbcnt_lo_u32_b32 v169, v37, 0
	v_cmp_ne_u32_e64 s17, 0, v37
	s_delay_alu instid0(VALU_DEP_2) | instskip(NEXT) | instid1(VALU_DEP_2)
	v_cmp_eq_u32_e32 vcc_lo, 0, v169
	s_and_b32 s18, s17, vcc_lo
	s_delay_alu instid0(SALU_CYCLE_1)
	s_and_saveexec_b32 s17, s18
	s_cbranch_execz .LBB637_1038
; %bb.1037:                             ;   in Loop: Header=BB637_990 Depth=2
	s_waitcnt lgkmcnt(0)
	v_bcnt_u32_b32 v37, v37, v168
	ds_store_b32 v170, v37
.LBB637_1038:                           ;   in Loop: Header=BB637_990 Depth=2
	s_or_b32 exec_lo, exec_lo, s17
	v_xor_b32_e32 v167, 0x80000000, v167
	; wave barrier
	s_delay_alu instid0(VALU_DEP_1) | instskip(NEXT) | instid1(VALU_DEP_1)
	v_lshrrev_b32_e32 v37, s57, v167
	v_and_b32_e32 v37, s39, v37
	s_delay_alu instid0(VALU_DEP_1)
	v_and_b32_e32 v173, 1, v37
	v_lshlrev_b32_e32 v174, 30, v37
	v_lshlrev_b32_e32 v175, 29, v37
	;; [unrolled: 1-line block ×4, first 2 shown]
	v_add_co_u32 v173, s17, v173, -1
	s_delay_alu instid0(VALU_DEP_1)
	v_cndmask_b32_e64 v177, 0, 1, s17
	v_not_b32_e32 v181, v174
	v_cmp_gt_i32_e64 s17, 0, v174
	v_not_b32_e32 v174, v175
	v_lshlrev_b32_e32 v179, 26, v37
	v_cmp_ne_u32_e32 vcc_lo, 0, v177
	v_ashrrev_i32_e32 v181, 31, v181
	v_lshlrev_b32_e32 v180, 25, v37
	v_ashrrev_i32_e32 v174, 31, v174
	v_lshlrev_b32_e32 v177, 24, v37
	v_xor_b32_e32 v173, vcc_lo, v173
	v_cmp_gt_i32_e32 vcc_lo, 0, v175
	v_not_b32_e32 v175, v176
	v_xor_b32_e32 v181, s17, v181
	v_cmp_gt_i32_e64 s17, 0, v176
	v_and_b32_e32 v173, exec_lo, v173
	v_not_b32_e32 v176, v178
	v_ashrrev_i32_e32 v175, 31, v175
	v_xor_b32_e32 v174, vcc_lo, v174
	v_cmp_gt_i32_e32 vcc_lo, 0, v178
	v_and_b32_e32 v173, v173, v181
	v_not_b32_e32 v178, v179
	v_ashrrev_i32_e32 v176, 31, v176
	v_xor_b32_e32 v175, s17, v175
	v_cmp_gt_i32_e64 s17, 0, v179
	v_and_b32_e32 v173, v173, v174
	v_not_b32_e32 v174, v180
	v_ashrrev_i32_e32 v178, 31, v178
	v_xor_b32_e32 v176, vcc_lo, v176
	v_cmp_gt_i32_e32 vcc_lo, 0, v180
	v_and_b32_e32 v173, v173, v175
	v_not_b32_e32 v175, v177
	v_ashrrev_i32_e32 v174, 31, v174
	v_xor_b32_e32 v178, s17, v178
	v_mul_u32_u24_e32 v37, 9, v37
	v_and_b32_e32 v173, v173, v176
	v_cmp_gt_i32_e64 s17, 0, v177
	v_ashrrev_i32_e32 v175, 31, v175
	v_xor_b32_e32 v174, vcc_lo, v174
	v_add_lshl_u32 v176, v37, v128, 2
	v_and_b32_e32 v173, v173, v178
	s_delay_alu instid0(VALU_DEP_4) | instskip(NEXT) | instid1(VALU_DEP_3)
	v_xor_b32_e32 v37, s17, v175
	v_add_nc_u32_e32 v175, 0x420, v176
	s_delay_alu instid0(VALU_DEP_3) | instskip(SKIP_2) | instid1(VALU_DEP_1)
	v_and_b32_e32 v174, v173, v174
	ds_load_b32 v173, v176 offset:1056
	; wave barrier
	v_and_b32_e32 v37, v174, v37
	v_mbcnt_lo_u32_b32 v174, v37, 0
	v_cmp_ne_u32_e64 s17, 0, v37
	s_delay_alu instid0(VALU_DEP_2) | instskip(NEXT) | instid1(VALU_DEP_2)
	v_cmp_eq_u32_e32 vcc_lo, 0, v174
	s_and_b32 s18, s17, vcc_lo
	s_delay_alu instid0(SALU_CYCLE_1)
	s_and_saveexec_b32 s17, s18
	s_cbranch_execz .LBB637_1040
; %bb.1039:                             ;   in Loop: Header=BB637_990 Depth=2
	s_waitcnt lgkmcnt(0)
	v_bcnt_u32_b32 v37, v37, v173
	ds_store_b32 v175, v37
.LBB637_1040:                           ;   in Loop: Header=BB637_990 Depth=2
	s_or_b32 exec_lo, exec_lo, s17
	v_xor_b32_e32 v172, 0x80000000, v172
	; wave barrier
	s_delay_alu instid0(VALU_DEP_1) | instskip(NEXT) | instid1(VALU_DEP_1)
	v_lshrrev_b32_e32 v37, s57, v172
	v_and_b32_e32 v37, s39, v37
	s_delay_alu instid0(VALU_DEP_1)
	v_and_b32_e32 v176, 1, v37
	v_lshlrev_b32_e32 v177, 30, v37
	v_lshlrev_b32_e32 v178, 29, v37
	;; [unrolled: 1-line block ×4, first 2 shown]
	v_add_co_u32 v176, s17, v176, -1
	s_delay_alu instid0(VALU_DEP_1)
	v_cndmask_b32_e64 v180, 0, 1, s17
	v_not_b32_e32 v184, v177
	v_cmp_gt_i32_e64 s17, 0, v177
	v_not_b32_e32 v177, v178
	v_lshlrev_b32_e32 v182, 26, v37
	v_cmp_ne_u32_e32 vcc_lo, 0, v180
	v_ashrrev_i32_e32 v184, 31, v184
	v_lshlrev_b32_e32 v183, 25, v37
	v_ashrrev_i32_e32 v177, 31, v177
	v_lshlrev_b32_e32 v180, 24, v37
	v_xor_b32_e32 v176, vcc_lo, v176
	v_cmp_gt_i32_e32 vcc_lo, 0, v178
	v_not_b32_e32 v178, v179
	v_xor_b32_e32 v184, s17, v184
	v_cmp_gt_i32_e64 s17, 0, v179
	v_and_b32_e32 v176, exec_lo, v176
	v_not_b32_e32 v179, v181
	v_ashrrev_i32_e32 v178, 31, v178
	v_xor_b32_e32 v177, vcc_lo, v177
	v_cmp_gt_i32_e32 vcc_lo, 0, v181
	v_and_b32_e32 v176, v176, v184
	v_not_b32_e32 v181, v182
	v_ashrrev_i32_e32 v179, 31, v179
	v_xor_b32_e32 v178, s17, v178
	v_cmp_gt_i32_e64 s17, 0, v182
	v_and_b32_e32 v176, v176, v177
	v_not_b32_e32 v177, v183
	v_ashrrev_i32_e32 v181, 31, v181
	v_xor_b32_e32 v179, vcc_lo, v179
	v_cmp_gt_i32_e32 vcc_lo, 0, v183
	v_and_b32_e32 v176, v176, v178
	v_not_b32_e32 v178, v180
	v_ashrrev_i32_e32 v177, 31, v177
	v_xor_b32_e32 v181, s17, v181
	v_mul_u32_u24_e32 v37, 9, v37
	v_and_b32_e32 v176, v176, v179
	v_cmp_gt_i32_e64 s17, 0, v180
	v_ashrrev_i32_e32 v178, 31, v178
	v_xor_b32_e32 v177, vcc_lo, v177
	v_add_lshl_u32 v179, v37, v128, 2
	v_and_b32_e32 v176, v176, v181
	s_delay_alu instid0(VALU_DEP_4) | instskip(NEXT) | instid1(VALU_DEP_3)
	v_xor_b32_e32 v37, s17, v178
	v_add_nc_u32_e32 v178, 0x420, v179
	s_delay_alu instid0(VALU_DEP_3) | instskip(SKIP_2) | instid1(VALU_DEP_1)
	v_and_b32_e32 v177, v176, v177
	ds_load_b32 v176, v179 offset:1056
	; wave barrier
	v_and_b32_e32 v37, v177, v37
	v_mbcnt_lo_u32_b32 v177, v37, 0
	v_cmp_ne_u32_e64 s17, 0, v37
	s_delay_alu instid0(VALU_DEP_2) | instskip(NEXT) | instid1(VALU_DEP_2)
	v_cmp_eq_u32_e32 vcc_lo, 0, v177
	s_and_b32 s18, s17, vcc_lo
	s_delay_alu instid0(SALU_CYCLE_1)
	s_and_saveexec_b32 s17, s18
	s_cbranch_execz .LBB637_1042
; %bb.1041:                             ;   in Loop: Header=BB637_990 Depth=2
	s_waitcnt lgkmcnt(0)
	v_bcnt_u32_b32 v37, v37, v176
	ds_store_b32 v178, v37
.LBB637_1042:                           ;   in Loop: Header=BB637_990 Depth=2
	s_or_b32 exec_lo, exec_lo, s17
	v_xor_b32_e32 v171, 0x80000000, v171
	; wave barrier
	s_delay_alu instid0(VALU_DEP_1) | instskip(NEXT) | instid1(VALU_DEP_1)
	v_lshrrev_b32_e32 v37, s57, v171
	v_and_b32_e32 v37, s39, v37
	s_delay_alu instid0(VALU_DEP_1)
	v_and_b32_e32 v179, 1, v37
	v_lshlrev_b32_e32 v180, 30, v37
	v_lshlrev_b32_e32 v181, 29, v37
	;; [unrolled: 1-line block ×4, first 2 shown]
	v_add_co_u32 v179, s17, v179, -1
	s_delay_alu instid0(VALU_DEP_1)
	v_cndmask_b32_e64 v183, 0, 1, s17
	v_not_b32_e32 v187, v180
	v_cmp_gt_i32_e64 s17, 0, v180
	v_not_b32_e32 v180, v181
	v_lshlrev_b32_e32 v185, 26, v37
	v_cmp_ne_u32_e32 vcc_lo, 0, v183
	v_ashrrev_i32_e32 v187, 31, v187
	v_lshlrev_b32_e32 v186, 25, v37
	v_ashrrev_i32_e32 v180, 31, v180
	v_lshlrev_b32_e32 v183, 24, v37
	v_xor_b32_e32 v179, vcc_lo, v179
	v_cmp_gt_i32_e32 vcc_lo, 0, v181
	v_not_b32_e32 v181, v182
	v_xor_b32_e32 v187, s17, v187
	v_cmp_gt_i32_e64 s17, 0, v182
	v_and_b32_e32 v179, exec_lo, v179
	v_not_b32_e32 v182, v184
	v_ashrrev_i32_e32 v181, 31, v181
	v_xor_b32_e32 v180, vcc_lo, v180
	v_cmp_gt_i32_e32 vcc_lo, 0, v184
	v_and_b32_e32 v179, v179, v187
	v_not_b32_e32 v184, v185
	v_ashrrev_i32_e32 v182, 31, v182
	v_xor_b32_e32 v181, s17, v181
	v_cmp_gt_i32_e64 s17, 0, v185
	v_and_b32_e32 v179, v179, v180
	v_not_b32_e32 v180, v186
	v_ashrrev_i32_e32 v184, 31, v184
	v_xor_b32_e32 v182, vcc_lo, v182
	v_cmp_gt_i32_e32 vcc_lo, 0, v186
	v_and_b32_e32 v179, v179, v181
	v_not_b32_e32 v181, v183
	v_ashrrev_i32_e32 v180, 31, v180
	v_xor_b32_e32 v184, s17, v184
	v_mul_u32_u24_e32 v37, 9, v37
	v_and_b32_e32 v179, v179, v182
	v_cmp_gt_i32_e64 s17, 0, v183
	v_ashrrev_i32_e32 v181, 31, v181
	v_xor_b32_e32 v180, vcc_lo, v180
	v_add_lshl_u32 v182, v37, v128, 2
	v_and_b32_e32 v179, v179, v184
	s_delay_alu instid0(VALU_DEP_4) | instskip(NEXT) | instid1(VALU_DEP_2)
	v_xor_b32_e32 v37, s17, v181
	v_and_b32_e32 v179, v179, v180
	ds_load_b32 v180, v182 offset:1056
	v_add_nc_u32_e32 v182, 0x420, v182
	; wave barrier
	v_and_b32_e32 v37, v179, v37
	s_delay_alu instid0(VALU_DEP_1) | instskip(SKIP_1) | instid1(VALU_DEP_2)
	v_mbcnt_lo_u32_b32 v181, v37, 0
	v_cmp_ne_u32_e64 s17, 0, v37
	v_cmp_eq_u32_e32 vcc_lo, 0, v181
	s_delay_alu instid0(VALU_DEP_2) | instskip(NEXT) | instid1(SALU_CYCLE_1)
	s_and_b32 s18, s17, vcc_lo
	s_and_saveexec_b32 s17, s18
	s_cbranch_execz .LBB637_1044
; %bb.1043:                             ;   in Loop: Header=BB637_990 Depth=2
	s_waitcnt lgkmcnt(0)
	v_bcnt_u32_b32 v37, v37, v180
	ds_store_b32 v182, v37
.LBB637_1044:                           ;   in Loop: Header=BB637_990 Depth=2
	s_or_b32 exec_lo, exec_lo, s17
	v_xor_b32_e32 v179, 0x80000000, v43
	; wave barrier
	s_delay_alu instid0(VALU_DEP_1) | instskip(NEXT) | instid1(VALU_DEP_1)
	v_lshrrev_b32_e32 v37, s57, v179
	v_and_b32_e32 v37, s39, v37
	s_delay_alu instid0(VALU_DEP_1)
	v_and_b32_e32 v43, 1, v37
	v_lshlrev_b32_e32 v183, 30, v37
	v_lshlrev_b32_e32 v184, 29, v37
	;; [unrolled: 1-line block ×4, first 2 shown]
	v_add_co_u32 v43, s17, v43, -1
	s_delay_alu instid0(VALU_DEP_1)
	v_cndmask_b32_e64 v186, 0, 1, s17
	v_not_b32_e32 v190, v183
	v_cmp_gt_i32_e64 s17, 0, v183
	v_not_b32_e32 v183, v184
	v_lshlrev_b32_e32 v188, 26, v37
	v_cmp_ne_u32_e32 vcc_lo, 0, v186
	v_ashrrev_i32_e32 v190, 31, v190
	v_lshlrev_b32_e32 v189, 25, v37
	v_ashrrev_i32_e32 v183, 31, v183
	v_lshlrev_b32_e32 v186, 24, v37
	v_xor_b32_e32 v43, vcc_lo, v43
	v_cmp_gt_i32_e32 vcc_lo, 0, v184
	v_not_b32_e32 v184, v185
	v_xor_b32_e32 v190, s17, v190
	v_cmp_gt_i32_e64 s17, 0, v185
	v_and_b32_e32 v43, exec_lo, v43
	v_not_b32_e32 v185, v187
	v_ashrrev_i32_e32 v184, 31, v184
	v_xor_b32_e32 v183, vcc_lo, v183
	v_cmp_gt_i32_e32 vcc_lo, 0, v187
	v_and_b32_e32 v43, v43, v190
	v_not_b32_e32 v187, v188
	v_ashrrev_i32_e32 v185, 31, v185
	v_xor_b32_e32 v184, s17, v184
	v_cmp_gt_i32_e64 s17, 0, v188
	v_and_b32_e32 v43, v43, v183
	v_not_b32_e32 v183, v189
	v_ashrrev_i32_e32 v187, 31, v187
	v_xor_b32_e32 v185, vcc_lo, v185
	v_cmp_gt_i32_e32 vcc_lo, 0, v189
	v_and_b32_e32 v43, v43, v184
	v_not_b32_e32 v184, v186
	v_ashrrev_i32_e32 v183, 31, v183
	v_xor_b32_e32 v187, s17, v187
	v_mul_u32_u24_e32 v37, 9, v37
	v_and_b32_e32 v43, v43, v185
	v_cmp_gt_i32_e64 s17, 0, v186
	v_ashrrev_i32_e32 v184, 31, v184
	v_xor_b32_e32 v183, vcc_lo, v183
	v_add_lshl_u32 v186, v37, v128, 2
	v_and_b32_e32 v43, v43, v187
	s_delay_alu instid0(VALU_DEP_4) | instskip(SKIP_3) | instid1(VALU_DEP_2)
	v_xor_b32_e32 v37, s17, v184
	ds_load_b32 v184, v186 offset:1056
	v_and_b32_e32 v43, v43, v183
	v_add_nc_u32_e32 v186, 0x420, v186
	; wave barrier
	v_and_b32_e32 v37, v43, v37
	s_delay_alu instid0(VALU_DEP_1) | instskip(SKIP_1) | instid1(VALU_DEP_2)
	v_mbcnt_lo_u32_b32 v185, v37, 0
	v_cmp_ne_u32_e64 s17, 0, v37
	v_cmp_eq_u32_e32 vcc_lo, 0, v185
	s_delay_alu instid0(VALU_DEP_2) | instskip(NEXT) | instid1(SALU_CYCLE_1)
	s_and_b32 s18, s17, vcc_lo
	s_and_saveexec_b32 s17, s18
	s_cbranch_execz .LBB637_1046
; %bb.1045:                             ;   in Loop: Header=BB637_990 Depth=2
	s_waitcnt lgkmcnt(0)
	v_bcnt_u32_b32 v37, v37, v184
	ds_store_b32 v186, v37
.LBB637_1046:                           ;   in Loop: Header=BB637_990 Depth=2
	s_or_b32 exec_lo, exec_lo, s17
	v_xor_b32_e32 v183, 0x80000000, v42
	; wave barrier
	s_delay_alu instid0(VALU_DEP_1) | instskip(NEXT) | instid1(VALU_DEP_1)
	v_lshrrev_b32_e32 v37, s57, v183
	v_and_b32_e32 v37, s39, v37
	s_delay_alu instid0(VALU_DEP_1)
	v_and_b32_e32 v42, 1, v37
	v_lshlrev_b32_e32 v43, 30, v37
	v_lshlrev_b32_e32 v187, 29, v37
	;; [unrolled: 1-line block ×4, first 2 shown]
	v_add_co_u32 v42, s17, v42, -1
	s_delay_alu instid0(VALU_DEP_1)
	v_cndmask_b32_e64 v189, 0, 1, s17
	v_not_b32_e32 v193, v43
	v_cmp_gt_i32_e64 s17, 0, v43
	v_not_b32_e32 v43, v187
	v_lshlrev_b32_e32 v191, 26, v37
	v_cmp_ne_u32_e32 vcc_lo, 0, v189
	v_ashrrev_i32_e32 v193, 31, v193
	v_lshlrev_b32_e32 v192, 25, v37
	v_ashrrev_i32_e32 v43, 31, v43
	v_lshlrev_b32_e32 v189, 24, v37
	v_xor_b32_e32 v42, vcc_lo, v42
	v_cmp_gt_i32_e32 vcc_lo, 0, v187
	v_not_b32_e32 v187, v188
	v_xor_b32_e32 v193, s17, v193
	v_cmp_gt_i32_e64 s17, 0, v188
	v_and_b32_e32 v42, exec_lo, v42
	v_not_b32_e32 v188, v190
	v_ashrrev_i32_e32 v187, 31, v187
	v_xor_b32_e32 v43, vcc_lo, v43
	v_cmp_gt_i32_e32 vcc_lo, 0, v190
	v_and_b32_e32 v42, v42, v193
	v_not_b32_e32 v190, v191
	v_ashrrev_i32_e32 v188, 31, v188
	v_xor_b32_e32 v187, s17, v187
	v_cmp_gt_i32_e64 s17, 0, v191
	v_and_b32_e32 v42, v42, v43
	v_not_b32_e32 v43, v192
	v_ashrrev_i32_e32 v190, 31, v190
	v_xor_b32_e32 v188, vcc_lo, v188
	v_cmp_gt_i32_e32 vcc_lo, 0, v192
	v_and_b32_e32 v42, v42, v187
	v_not_b32_e32 v187, v189
	v_ashrrev_i32_e32 v43, 31, v43
	v_xor_b32_e32 v190, s17, v190
	v_mul_u32_u24_e32 v37, 9, v37
	v_and_b32_e32 v42, v42, v188
	v_cmp_gt_i32_e64 s17, 0, v189
	v_ashrrev_i32_e32 v187, 31, v187
	v_xor_b32_e32 v43, vcc_lo, v43
	v_add_lshl_u32 v188, v37, v128, 2
	v_and_b32_e32 v42, v42, v190
	s_delay_alu instid0(VALU_DEP_4) | instskip(SKIP_3) | instid1(VALU_DEP_2)
	v_xor_b32_e32 v37, s17, v187
	ds_load_b32 v189, v188 offset:1056
	v_and_b32_e32 v42, v42, v43
	v_add_nc_u32_e32 v191, 0x420, v188
	; wave barrier
	v_and_b32_e32 v37, v42, v37
	s_delay_alu instid0(VALU_DEP_1) | instskip(SKIP_1) | instid1(VALU_DEP_2)
	v_mbcnt_lo_u32_b32 v190, v37, 0
	v_cmp_ne_u32_e64 s17, 0, v37
	v_cmp_eq_u32_e32 vcc_lo, 0, v190
	s_delay_alu instid0(VALU_DEP_2) | instskip(NEXT) | instid1(SALU_CYCLE_1)
	s_and_b32 s18, s17, vcc_lo
	s_and_saveexec_b32 s17, s18
	s_cbranch_execz .LBB637_1048
; %bb.1047:                             ;   in Loop: Header=BB637_990 Depth=2
	s_waitcnt lgkmcnt(0)
	v_bcnt_u32_b32 v37, v37, v189
	ds_store_b32 v191, v37
.LBB637_1048:                           ;   in Loop: Header=BB637_990 Depth=2
	s_or_b32 exec_lo, exec_lo, s17
	v_xor_b32_e32 v187, 0x80000000, v41
	; wave barrier
	s_delay_alu instid0(VALU_DEP_1) | instskip(NEXT) | instid1(VALU_DEP_1)
	v_lshrrev_b32_e32 v37, s57, v187
	v_and_b32_e32 v37, s39, v37
	s_delay_alu instid0(VALU_DEP_1)
	v_and_b32_e32 v41, 1, v37
	v_lshlrev_b32_e32 v42, 30, v37
	v_lshlrev_b32_e32 v43, 29, v37
	;; [unrolled: 1-line block ×4, first 2 shown]
	v_add_co_u32 v41, s17, v41, -1
	s_delay_alu instid0(VALU_DEP_1)
	v_cndmask_b32_e64 v192, 0, 1, s17
	v_not_b32_e32 v196, v42
	v_cmp_gt_i32_e64 s17, 0, v42
	v_not_b32_e32 v42, v43
	v_lshlrev_b32_e32 v194, 26, v37
	v_cmp_ne_u32_e32 vcc_lo, 0, v192
	v_ashrrev_i32_e32 v196, 31, v196
	v_lshlrev_b32_e32 v195, 25, v37
	v_ashrrev_i32_e32 v42, 31, v42
	v_lshlrev_b32_e32 v192, 24, v37
	v_xor_b32_e32 v41, vcc_lo, v41
	v_cmp_gt_i32_e32 vcc_lo, 0, v43
	v_not_b32_e32 v43, v188
	v_xor_b32_e32 v196, s17, v196
	v_cmp_gt_i32_e64 s17, 0, v188
	v_and_b32_e32 v41, exec_lo, v41
	v_not_b32_e32 v188, v193
	v_ashrrev_i32_e32 v43, 31, v43
	v_xor_b32_e32 v42, vcc_lo, v42
	v_cmp_gt_i32_e32 vcc_lo, 0, v193
	v_and_b32_e32 v41, v41, v196
	v_not_b32_e32 v193, v194
	v_ashrrev_i32_e32 v188, 31, v188
	v_xor_b32_e32 v43, s17, v43
	v_cmp_gt_i32_e64 s17, 0, v194
	v_and_b32_e32 v41, v41, v42
	v_not_b32_e32 v42, v195
	v_ashrrev_i32_e32 v193, 31, v193
	v_xor_b32_e32 v188, vcc_lo, v188
	v_cmp_gt_i32_e32 vcc_lo, 0, v195
	v_and_b32_e32 v41, v41, v43
	v_not_b32_e32 v43, v192
	v_ashrrev_i32_e32 v42, 31, v42
	v_xor_b32_e32 v193, s17, v193
	v_mul_u32_u24_e32 v37, 9, v37
	v_and_b32_e32 v41, v41, v188
	v_cmp_gt_i32_e64 s17, 0, v192
	v_ashrrev_i32_e32 v43, 31, v43
	v_xor_b32_e32 v42, vcc_lo, v42
	v_add_lshl_u32 v188, v37, v128, 2
	v_and_b32_e32 v41, v41, v193
	s_delay_alu instid0(VALU_DEP_4) | instskip(SKIP_3) | instid1(VALU_DEP_2)
	v_xor_b32_e32 v37, s17, v43
	ds_load_b32 v193, v188 offset:1056
	v_and_b32_e32 v41, v41, v42
	v_add_nc_u32_e32 v195, 0x420, v188
	; wave barrier
	v_and_b32_e32 v37, v41, v37
	s_delay_alu instid0(VALU_DEP_1) | instskip(SKIP_1) | instid1(VALU_DEP_2)
	v_mbcnt_lo_u32_b32 v194, v37, 0
	v_cmp_ne_u32_e64 s17, 0, v37
	v_cmp_eq_u32_e32 vcc_lo, 0, v194
	s_delay_alu instid0(VALU_DEP_2) | instskip(NEXT) | instid1(SALU_CYCLE_1)
	s_and_b32 s18, s17, vcc_lo
	s_and_saveexec_b32 s17, s18
	s_cbranch_execz .LBB637_1050
; %bb.1049:                             ;   in Loop: Header=BB637_990 Depth=2
	s_waitcnt lgkmcnt(0)
	v_bcnt_u32_b32 v37, v37, v193
	ds_store_b32 v195, v37
.LBB637_1050:                           ;   in Loop: Header=BB637_990 Depth=2
	s_or_b32 exec_lo, exec_lo, s17
	v_xor_b32_e32 v192, 0x80000000, v40
	; wave barrier
	s_delay_alu instid0(VALU_DEP_1) | instskip(NEXT) | instid1(VALU_DEP_1)
	v_lshrrev_b32_e32 v37, s57, v192
	v_and_b32_e32 v37, s39, v37
	s_delay_alu instid0(VALU_DEP_1)
	v_and_b32_e32 v40, 1, v37
	v_lshlrev_b32_e32 v41, 30, v37
	v_lshlrev_b32_e32 v42, 29, v37
	;; [unrolled: 1-line block ×4, first 2 shown]
	v_add_co_u32 v40, s17, v40, -1
	s_delay_alu instid0(VALU_DEP_1)
	v_cndmask_b32_e64 v188, 0, 1, s17
	v_not_b32_e32 v199, v41
	v_cmp_gt_i32_e64 s17, 0, v41
	v_not_b32_e32 v41, v42
	v_lshlrev_b32_e32 v197, 26, v37
	v_cmp_ne_u32_e32 vcc_lo, 0, v188
	v_ashrrev_i32_e32 v199, 31, v199
	v_lshlrev_b32_e32 v198, 25, v37
	v_ashrrev_i32_e32 v41, 31, v41
	v_lshlrev_b32_e32 v188, 24, v37
	v_xor_b32_e32 v40, vcc_lo, v40
	v_cmp_gt_i32_e32 vcc_lo, 0, v42
	v_not_b32_e32 v42, v43
	v_xor_b32_e32 v199, s17, v199
	v_cmp_gt_i32_e64 s17, 0, v43
	v_and_b32_e32 v40, exec_lo, v40
	v_not_b32_e32 v43, v196
	v_ashrrev_i32_e32 v42, 31, v42
	v_xor_b32_e32 v41, vcc_lo, v41
	v_cmp_gt_i32_e32 vcc_lo, 0, v196
	v_and_b32_e32 v40, v40, v199
	v_not_b32_e32 v196, v197
	v_ashrrev_i32_e32 v43, 31, v43
	v_xor_b32_e32 v42, s17, v42
	v_cmp_gt_i32_e64 s17, 0, v197
	v_and_b32_e32 v40, v40, v41
	v_not_b32_e32 v41, v198
	v_ashrrev_i32_e32 v196, 31, v196
	v_xor_b32_e32 v43, vcc_lo, v43
	v_cmp_gt_i32_e32 vcc_lo, 0, v198
	v_and_b32_e32 v40, v40, v42
	v_not_b32_e32 v42, v188
	v_ashrrev_i32_e32 v41, 31, v41
	v_xor_b32_e32 v196, s17, v196
	v_mul_u32_u24_e32 v37, 9, v37
	v_and_b32_e32 v40, v40, v43
	v_cmp_gt_i32_e64 s17, 0, v188
	v_ashrrev_i32_e32 v42, 31, v42
	v_xor_b32_e32 v41, vcc_lo, v41
	v_add_lshl_u32 v43, v37, v128, 2
	v_and_b32_e32 v40, v40, v196
	s_delay_alu instid0(VALU_DEP_4) | instskip(SKIP_3) | instid1(VALU_DEP_2)
	v_xor_b32_e32 v37, s17, v42
	ds_load_b32 v197, v43 offset:1056
	v_and_b32_e32 v40, v40, v41
	v_add_nc_u32_e32 v199, 0x420, v43
	; wave barrier
	v_and_b32_e32 v37, v40, v37
	s_delay_alu instid0(VALU_DEP_1) | instskip(SKIP_1) | instid1(VALU_DEP_2)
	v_mbcnt_lo_u32_b32 v198, v37, 0
	v_cmp_ne_u32_e64 s17, 0, v37
	v_cmp_eq_u32_e32 vcc_lo, 0, v198
	s_delay_alu instid0(VALU_DEP_2) | instskip(NEXT) | instid1(SALU_CYCLE_1)
	s_and_b32 s18, s17, vcc_lo
	s_and_saveexec_b32 s17, s18
	s_cbranch_execz .LBB637_1052
; %bb.1051:                             ;   in Loop: Header=BB637_990 Depth=2
	s_waitcnt lgkmcnt(0)
	v_bcnt_u32_b32 v37, v37, v197
	ds_store_b32 v199, v37
.LBB637_1052:                           ;   in Loop: Header=BB637_990 Depth=2
	s_or_b32 exec_lo, exec_lo, s17
	v_xor_b32_e32 v196, 0x80000000, v39
	; wave barrier
	s_delay_alu instid0(VALU_DEP_1) | instskip(NEXT) | instid1(VALU_DEP_1)
	v_lshrrev_b32_e32 v37, s57, v196
	v_and_b32_e32 v37, s39, v37
	s_delay_alu instid0(VALU_DEP_1)
	v_and_b32_e32 v39, 1, v37
	v_lshlrev_b32_e32 v40, 30, v37
	v_lshlrev_b32_e32 v41, 29, v37
	;; [unrolled: 1-line block ×4, first 2 shown]
	v_add_co_u32 v39, s17, v39, -1
	s_delay_alu instid0(VALU_DEP_1)
	v_cndmask_b32_e64 v43, 0, 1, s17
	v_not_b32_e32 v202, v40
	v_cmp_gt_i32_e64 s17, 0, v40
	v_not_b32_e32 v40, v41
	v_lshlrev_b32_e32 v200, 26, v37
	v_cmp_ne_u32_e32 vcc_lo, 0, v43
	v_ashrrev_i32_e32 v202, 31, v202
	v_lshlrev_b32_e32 v201, 25, v37
	v_ashrrev_i32_e32 v40, 31, v40
	v_lshlrev_b32_e32 v43, 24, v37
	v_xor_b32_e32 v39, vcc_lo, v39
	v_cmp_gt_i32_e32 vcc_lo, 0, v41
	v_not_b32_e32 v41, v42
	v_xor_b32_e32 v202, s17, v202
	v_cmp_gt_i32_e64 s17, 0, v42
	v_and_b32_e32 v39, exec_lo, v39
	v_not_b32_e32 v42, v188
	v_ashrrev_i32_e32 v41, 31, v41
	v_xor_b32_e32 v40, vcc_lo, v40
	v_cmp_gt_i32_e32 vcc_lo, 0, v188
	v_and_b32_e32 v39, v39, v202
	v_not_b32_e32 v188, v200
	v_ashrrev_i32_e32 v42, 31, v42
	v_xor_b32_e32 v41, s17, v41
	v_cmp_gt_i32_e64 s17, 0, v200
	v_and_b32_e32 v39, v39, v40
	v_not_b32_e32 v40, v201
	v_ashrrev_i32_e32 v188, 31, v188
	v_xor_b32_e32 v42, vcc_lo, v42
	v_cmp_gt_i32_e32 vcc_lo, 0, v201
	v_and_b32_e32 v39, v39, v41
	v_not_b32_e32 v41, v43
	v_ashrrev_i32_e32 v40, 31, v40
	v_xor_b32_e32 v188, s17, v188
	v_mul_u32_u24_e32 v37, 9, v37
	v_and_b32_e32 v39, v39, v42
	v_cmp_gt_i32_e64 s17, 0, v43
	v_ashrrev_i32_e32 v41, 31, v41
	v_xor_b32_e32 v40, vcc_lo, v40
	v_add_lshl_u32 v42, v37, v128, 2
	v_and_b32_e32 v39, v39, v188
	s_delay_alu instid0(VALU_DEP_4) | instskip(SKIP_3) | instid1(VALU_DEP_2)
	v_xor_b32_e32 v37, s17, v41
	ds_load_b32 v201, v42 offset:1056
	v_and_b32_e32 v39, v39, v40
	v_add_nc_u32_e32 v203, 0x420, v42
	; wave barrier
	v_and_b32_e32 v37, v39, v37
	s_delay_alu instid0(VALU_DEP_1) | instskip(SKIP_1) | instid1(VALU_DEP_2)
	v_mbcnt_lo_u32_b32 v202, v37, 0
	v_cmp_ne_u32_e64 s17, 0, v37
	v_cmp_eq_u32_e32 vcc_lo, 0, v202
	s_delay_alu instid0(VALU_DEP_2) | instskip(NEXT) | instid1(SALU_CYCLE_1)
	s_and_b32 s18, s17, vcc_lo
	s_and_saveexec_b32 s17, s18
	s_cbranch_execz .LBB637_1054
; %bb.1053:                             ;   in Loop: Header=BB637_990 Depth=2
	s_waitcnt lgkmcnt(0)
	v_bcnt_u32_b32 v37, v37, v201
	ds_store_b32 v203, v37
.LBB637_1054:                           ;   in Loop: Header=BB637_990 Depth=2
	s_or_b32 exec_lo, exec_lo, s17
	v_xor_b32_e32 v200, 0x80000000, v38
	; wave barrier
	s_delay_alu instid0(VALU_DEP_1) | instskip(NEXT) | instid1(VALU_DEP_1)
	v_lshrrev_b32_e32 v37, s57, v200
	v_and_b32_e32 v37, s39, v37
	s_delay_alu instid0(VALU_DEP_1)
	v_and_b32_e32 v38, 1, v37
	v_lshlrev_b32_e32 v39, 30, v37
	v_lshlrev_b32_e32 v40, 29, v37
	;; [unrolled: 1-line block ×4, first 2 shown]
	v_add_co_u32 v38, s17, v38, -1
	s_delay_alu instid0(VALU_DEP_1)
	v_cndmask_b32_e64 v42, 0, 1, s17
	v_not_b32_e32 v205, v39
	v_cmp_gt_i32_e64 s17, 0, v39
	v_not_b32_e32 v39, v40
	v_lshlrev_b32_e32 v188, 26, v37
	v_cmp_ne_u32_e32 vcc_lo, 0, v42
	v_ashrrev_i32_e32 v205, 31, v205
	v_lshlrev_b32_e32 v204, 25, v37
	v_ashrrev_i32_e32 v39, 31, v39
	v_lshlrev_b32_e32 v42, 24, v37
	v_xor_b32_e32 v38, vcc_lo, v38
	v_cmp_gt_i32_e32 vcc_lo, 0, v40
	v_not_b32_e32 v40, v41
	v_xor_b32_e32 v205, s17, v205
	v_cmp_gt_i32_e64 s17, 0, v41
	v_and_b32_e32 v38, exec_lo, v38
	v_not_b32_e32 v41, v43
	v_ashrrev_i32_e32 v40, 31, v40
	v_xor_b32_e32 v39, vcc_lo, v39
	v_cmp_gt_i32_e32 vcc_lo, 0, v43
	v_and_b32_e32 v38, v38, v205
	v_not_b32_e32 v43, v188
	v_ashrrev_i32_e32 v41, 31, v41
	v_xor_b32_e32 v40, s17, v40
	v_cmp_gt_i32_e64 s17, 0, v188
	v_and_b32_e32 v38, v38, v39
	v_not_b32_e32 v39, v204
	v_ashrrev_i32_e32 v43, 31, v43
	v_xor_b32_e32 v41, vcc_lo, v41
	v_cmp_gt_i32_e32 vcc_lo, 0, v204
	v_and_b32_e32 v38, v38, v40
	v_not_b32_e32 v40, v42
	v_ashrrev_i32_e32 v39, 31, v39
	v_xor_b32_e32 v43, s17, v43
	v_mul_u32_u24_e32 v37, 9, v37
	v_and_b32_e32 v38, v38, v41
	v_cmp_gt_i32_e64 s17, 0, v42
	v_ashrrev_i32_e32 v40, 31, v40
	v_xor_b32_e32 v39, vcc_lo, v39
	v_add_lshl_u32 v41, v37, v128, 2
	v_and_b32_e32 v38, v38, v43
	s_delay_alu instid0(VALU_DEP_4) | instskip(SKIP_3) | instid1(VALU_DEP_2)
	v_xor_b32_e32 v37, s17, v40
	ds_load_b32 v205, v41 offset:1056
	v_and_b32_e32 v38, v38, v39
	v_add_nc_u32_e32 v207, 0x420, v41
	; wave barrier
	v_and_b32_e32 v37, v38, v37
	s_delay_alu instid0(VALU_DEP_1) | instskip(SKIP_1) | instid1(VALU_DEP_2)
	v_mbcnt_lo_u32_b32 v206, v37, 0
	v_cmp_ne_u32_e64 s17, 0, v37
	v_cmp_eq_u32_e32 vcc_lo, 0, v206
	s_delay_alu instid0(VALU_DEP_2) | instskip(NEXT) | instid1(SALU_CYCLE_1)
	s_and_b32 s18, s17, vcc_lo
	s_and_saveexec_b32 s17, s18
	s_cbranch_execz .LBB637_1056
; %bb.1055:                             ;   in Loop: Header=BB637_990 Depth=2
	s_waitcnt lgkmcnt(0)
	v_bcnt_u32_b32 v37, v37, v205
	ds_store_b32 v207, v37
.LBB637_1056:                           ;   in Loop: Header=BB637_990 Depth=2
	s_or_b32 exec_lo, exec_lo, s17
	v_xor_b32_e32 v204, 0x80000000, v36
	; wave barrier
	s_delay_alu instid0(VALU_DEP_1) | instskip(NEXT) | instid1(VALU_DEP_1)
	v_lshrrev_b32_e32 v36, s57, v204
	v_and_b32_e32 v36, s39, v36
	s_delay_alu instid0(VALU_DEP_1)
	v_and_b32_e32 v37, 1, v36
	v_lshlrev_b32_e32 v38, 30, v36
	v_lshlrev_b32_e32 v39, 29, v36
	;; [unrolled: 1-line block ×4, first 2 shown]
	v_add_co_u32 v37, s17, v37, -1
	s_delay_alu instid0(VALU_DEP_1)
	v_cndmask_b32_e64 v41, 0, 1, s17
	v_not_b32_e32 v208, v38
	v_cmp_gt_i32_e64 s17, 0, v38
	v_not_b32_e32 v38, v39
	v_lshlrev_b32_e32 v43, 26, v36
	v_cmp_ne_u32_e32 vcc_lo, 0, v41
	v_ashrrev_i32_e32 v208, 31, v208
	v_lshlrev_b32_e32 v188, 25, v36
	v_ashrrev_i32_e32 v38, 31, v38
	v_lshlrev_b32_e32 v41, 24, v36
	v_xor_b32_e32 v37, vcc_lo, v37
	v_cmp_gt_i32_e32 vcc_lo, 0, v39
	v_not_b32_e32 v39, v40
	v_xor_b32_e32 v208, s17, v208
	v_cmp_gt_i32_e64 s17, 0, v40
	v_and_b32_e32 v37, exec_lo, v37
	v_not_b32_e32 v40, v42
	v_ashrrev_i32_e32 v39, 31, v39
	v_xor_b32_e32 v38, vcc_lo, v38
	v_cmp_gt_i32_e32 vcc_lo, 0, v42
	v_and_b32_e32 v37, v37, v208
	v_not_b32_e32 v42, v43
	v_ashrrev_i32_e32 v40, 31, v40
	v_xor_b32_e32 v39, s17, v39
	v_cmp_gt_i32_e64 s17, 0, v43
	v_and_b32_e32 v37, v37, v38
	v_not_b32_e32 v38, v188
	v_ashrrev_i32_e32 v42, 31, v42
	v_xor_b32_e32 v40, vcc_lo, v40
	v_cmp_gt_i32_e32 vcc_lo, 0, v188
	v_and_b32_e32 v37, v37, v39
	v_not_b32_e32 v39, v41
	v_ashrrev_i32_e32 v38, 31, v38
	v_xor_b32_e32 v42, s17, v42
	v_mul_u32_u24_e32 v36, 9, v36
	v_and_b32_e32 v37, v37, v40
	v_cmp_gt_i32_e64 s17, 0, v41
	v_ashrrev_i32_e32 v39, 31, v39
	v_xor_b32_e32 v38, vcc_lo, v38
	v_add_lshl_u32 v40, v36, v128, 2
	v_and_b32_e32 v37, v37, v42
	s_delay_alu instid0(VALU_DEP_4) | instskip(SKIP_3) | instid1(VALU_DEP_2)
	v_xor_b32_e32 v36, s17, v39
	ds_load_b32 v208, v40 offset:1056
	v_and_b32_e32 v37, v37, v38
	v_add_nc_u32_e32 v210, 0x420, v40
	; wave barrier
	v_and_b32_e32 v36, v37, v36
	s_delay_alu instid0(VALU_DEP_1) | instskip(SKIP_1) | instid1(VALU_DEP_2)
	v_mbcnt_lo_u32_b32 v209, v36, 0
	v_cmp_ne_u32_e64 s17, 0, v36
	v_cmp_eq_u32_e32 vcc_lo, 0, v209
	s_delay_alu instid0(VALU_DEP_2) | instskip(NEXT) | instid1(SALU_CYCLE_1)
	s_and_b32 s18, s17, vcc_lo
	s_and_saveexec_b32 s17, s18
	s_cbranch_execz .LBB637_1058
; %bb.1057:                             ;   in Loop: Header=BB637_990 Depth=2
	s_waitcnt lgkmcnt(0)
	v_bcnt_u32_b32 v36, v36, v208
	ds_store_b32 v210, v36
.LBB637_1058:                           ;   in Loop: Header=BB637_990 Depth=2
	s_or_b32 exec_lo, exec_lo, s17
	; wave barrier
	s_waitcnt lgkmcnt(0)
	s_barrier
	buffer_gl0_inv
	ds_load_b32 v211, v70 offset:1056
	ds_load_2addr_b32 v[42:43], v71 offset0:1 offset1:2
	ds_load_2addr_b32 v[40:41], v71 offset0:3 offset1:4
	ds_load_2addr_b32 v[36:37], v71 offset0:5 offset1:6
	ds_load_2addr_b32 v[38:39], v71 offset0:7 offset1:8
	s_waitcnt lgkmcnt(3)
	v_add3_u32 v188, v42, v211, v43
	s_waitcnt lgkmcnt(2)
	s_delay_alu instid0(VALU_DEP_1) | instskip(SKIP_1) | instid1(VALU_DEP_1)
	v_add3_u32 v188, v188, v40, v41
	s_waitcnt lgkmcnt(1)
	v_add3_u32 v188, v188, v36, v37
	s_waitcnt lgkmcnt(0)
	s_delay_alu instid0(VALU_DEP_1) | instskip(NEXT) | instid1(VALU_DEP_1)
	v_add3_u32 v39, v188, v38, v39
	v_mov_b32_dpp v188, v39 row_shr:1 row_mask:0xf bank_mask:0xf
	s_delay_alu instid0(VALU_DEP_1) | instskip(NEXT) | instid1(VALU_DEP_1)
	v_cndmask_b32_e64 v188, v188, 0, s0
	v_add_nc_u32_e32 v39, v188, v39
	s_delay_alu instid0(VALU_DEP_1) | instskip(NEXT) | instid1(VALU_DEP_1)
	v_mov_b32_dpp v188, v39 row_shr:2 row_mask:0xf bank_mask:0xf
	v_cndmask_b32_e64 v188, 0, v188, s1
	s_delay_alu instid0(VALU_DEP_1) | instskip(NEXT) | instid1(VALU_DEP_1)
	v_add_nc_u32_e32 v39, v39, v188
	v_mov_b32_dpp v188, v39 row_shr:4 row_mask:0xf bank_mask:0xf
	s_delay_alu instid0(VALU_DEP_1) | instskip(NEXT) | instid1(VALU_DEP_1)
	v_cndmask_b32_e64 v188, 0, v188, s8
	v_add_nc_u32_e32 v39, v39, v188
	s_delay_alu instid0(VALU_DEP_1) | instskip(NEXT) | instid1(VALU_DEP_1)
	v_mov_b32_dpp v188, v39 row_shr:8 row_mask:0xf bank_mask:0xf
	v_cndmask_b32_e64 v188, 0, v188, s9
	s_delay_alu instid0(VALU_DEP_1) | instskip(SKIP_3) | instid1(VALU_DEP_1)
	v_add_nc_u32_e32 v39, v39, v188
	ds_swizzle_b32 v188, v39 offset:swizzle(BROADCAST,32,15)
	s_waitcnt lgkmcnt(0)
	v_cndmask_b32_e64 v188, v188, 0, s10
	v_add_nc_u32_e32 v39, v39, v188
	s_and_saveexec_b32 s17, s3
	s_cbranch_execz .LBB637_1060
; %bb.1059:                             ;   in Loop: Header=BB637_990 Depth=2
	ds_store_b32 v62, v39 offset:1024
.LBB637_1060:                           ;   in Loop: Header=BB637_990 Depth=2
	s_or_b32 exec_lo, exec_lo, s17
	v_add_nc_u32_e32 v188, v70, v72
	s_waitcnt lgkmcnt(0)
	s_barrier
	buffer_gl0_inv
	s_and_saveexec_b32 s17, s4
	s_cbranch_execz .LBB637_1062
; %bb.1061:                             ;   in Loop: Header=BB637_990 Depth=2
	ds_load_b32 v212, v188 offset:1024
	s_waitcnt lgkmcnt(0)
	v_mov_b32_dpp v213, v212 row_shr:1 row_mask:0xf bank_mask:0xf
	s_delay_alu instid0(VALU_DEP_1) | instskip(NEXT) | instid1(VALU_DEP_1)
	v_cndmask_b32_e64 v213, v213, 0, s12
	v_add_nc_u32_e32 v212, v213, v212
	s_delay_alu instid0(VALU_DEP_1) | instskip(NEXT) | instid1(VALU_DEP_1)
	v_mov_b32_dpp v213, v212 row_shr:2 row_mask:0xf bank_mask:0xf
	v_cndmask_b32_e64 v213, 0, v213, s13
	s_delay_alu instid0(VALU_DEP_1) | instskip(NEXT) | instid1(VALU_DEP_1)
	v_add_nc_u32_e32 v212, v212, v213
	v_mov_b32_dpp v213, v212 row_shr:4 row_mask:0xf bank_mask:0xf
	s_delay_alu instid0(VALU_DEP_1) | instskip(NEXT) | instid1(VALU_DEP_1)
	v_cndmask_b32_e64 v213, 0, v213, s16
	v_add_nc_u32_e32 v212, v212, v213
	ds_store_b32 v188, v212 offset:1024
.LBB637_1062:                           ;   in Loop: Header=BB637_990 Depth=2
	s_or_b32 exec_lo, exec_lo, s17
	v_mov_b32_e32 v212, 0
	s_waitcnt lgkmcnt(0)
	s_barrier
	buffer_gl0_inv
	s_and_saveexec_b32 s17, s5
	s_cbranch_execz .LBB637_1064
; %bb.1063:                             ;   in Loop: Header=BB637_990 Depth=2
	ds_load_b32 v212, v62 offset:1020
.LBB637_1064:                           ;   in Loop: Header=BB637_990 Depth=2
	s_or_b32 exec_lo, exec_lo, s17
	s_waitcnt lgkmcnt(0)
	v_add_nc_u32_e32 v39, v212, v39
	ds_bpermute_b32 v39, v107, v39
	s_waitcnt lgkmcnt(0)
	v_cndmask_b32_e64 v39, v39, v212, s11
	s_delay_alu instid0(VALU_DEP_1) | instskip(NEXT) | instid1(VALU_DEP_1)
	v_cndmask_b32_e64 v39, v39, 0, s6
	v_add_nc_u32_e32 v211, v39, v211
	s_delay_alu instid0(VALU_DEP_1) | instskip(NEXT) | instid1(VALU_DEP_1)
	v_add_nc_u32_e32 v42, v211, v42
	v_add_nc_u32_e32 v43, v42, v43
	s_delay_alu instid0(VALU_DEP_1) | instskip(NEXT) | instid1(VALU_DEP_1)
	v_add_nc_u32_e32 v40, v43, v40
	;; [unrolled: 3-line block ×3, first 2 shown]
	v_add_nc_u32_e32 v37, v36, v37
	s_delay_alu instid0(VALU_DEP_1)
	v_add_nc_u32_e32 v38, v37, v38
	ds_store_b32 v70, v39 offset:1056
	ds_store_2addr_b32 v71, v211, v42 offset0:1 offset1:2
	ds_store_2addr_b32 v71, v43, v40 offset0:3 offset1:4
	;; [unrolled: 1-line block ×4, first 2 shown]
	v_mov_b32_e32 v38, 0x1000
	s_waitcnt lgkmcnt(0)
	s_barrier
	buffer_gl0_inv
	ds_load_b32 v39, v154
	ds_load_b32 v40, v158
	;; [unrolled: 1-line block ×16, first 2 shown]
	ds_load_b32 v158, v70 offset:1056
	s_and_saveexec_b32 s17, s7
	s_cbranch_execz .LBB637_1066
; %bb.1065:                             ;   in Loop: Header=BB637_990 Depth=2
	ds_load_b32 v38, v73 offset:1056
.LBB637_1066:                           ;   in Loop: Header=BB637_990 Depth=2
	s_or_b32 exec_lo, exec_lo, s17
	s_waitcnt lgkmcnt(0)
	s_barrier
	buffer_gl0_inv
	s_and_saveexec_b32 s17, s2
	s_cbranch_execz .LBB637_1068
; %bb.1067:                             ;   in Loop: Header=BB637_990 Depth=2
	ds_load_b32 v162, v44
	s_waitcnt lgkmcnt(0)
	v_sub_nc_u32_e32 v158, v162, v158
	ds_store_b32 v44, v158
.LBB637_1068:                           ;   in Loop: Header=BB637_990 Depth=2
	s_or_b32 exec_lo, exec_lo, s17
	v_add_nc_u32_e32 v170, v150, v149
	v_add3_u32 v166, v153, v152, v39
	v_add3_u32 v162, v157, v156, v40
	;; [unrolled: 1-line block ×5, first 2 shown]
	v_lshlrev_b32_e32 v160, 2, v170
	v_add3_u32 v43, v202, v201, v36
	v_lshlrev_b32_e32 v36, 2, v166
	v_add3_u32 v154, v174, v173, v175
	v_add3_u32 v153, v177, v176, v178
	ds_store_b32 v160, v2 offset:1024
	v_lshlrev_b32_e32 v2, 2, v162
	ds_store_b32 v36, v148 offset:1024
	v_lshlrev_b32_e32 v36, 2, v156
	v_add3_u32 v152, v181, v180, v182
	v_add3_u32 v42, v206, v205, v37
	v_lshlrev_b32_e32 v37, 2, v158
	v_add3_u32 v150, v185, v184, v186
	v_lshlrev_b32_e32 v160, 2, v157
	v_add3_u32 v149, v190, v189, v191
	v_add3_u32 v40, v194, v193, v195
	ds_store_b32 v2, v151 offset:1024
	ds_store_b32 v37, v155 offset:1024
	;; [unrolled: 1-line block ×3, first 2 shown]
	v_lshlrev_b32_e32 v2, 2, v154
	ds_store_b32 v36, v163 offset:1024
	v_lshlrev_b32_e32 v36, 2, v153
	v_lshlrev_b32_e32 v37, 2, v152
	;; [unrolled: 1-line block ×3, first 2 shown]
	v_add3_u32 v39, v198, v197, v199
	v_add3_u32 v41, v209, v208, v41
	ds_store_b32 v2, v167 offset:1024
	v_lshlrev_b32_e32 v2, 2, v149
	ds_store_b32 v36, v172 offset:1024
	ds_store_b32 v37, v171 offset:1024
	;; [unrolled: 1-line block ×3, first 2 shown]
	v_lshlrev_b32_e32 v36, 2, v40
	v_cmp_lt_u32_e32 vcc_lo, v1, v147
	v_lshlrev_b32_e32 v37, 2, v43
	ds_store_b32 v2, v183 offset:1024
	v_lshlrev_b32_e32 v2, 2, v39
	ds_store_b32 v36, v187 offset:1024
	v_lshlrev_b32_e32 v36, 2, v41
	v_lshlrev_b32_e32 v148, 2, v42
	ds_store_b32 v2, v192 offset:1024
	ds_store_b32 v37, v196 offset:1024
	;; [unrolled: 1-line block ×4, first 2 shown]
	s_waitcnt lgkmcnt(0)
	s_barrier
	buffer_gl0_inv
	s_and_saveexec_b32 s18, vcc_lo
	s_cbranch_execz .LBB637_1084
; %bb.1069:                             ;   in Loop: Header=BB637_990 Depth=2
	ds_load_b32 v148, v188 offset:1024
	s_waitcnt lgkmcnt(0)
	v_lshrrev_b32_e32 v2, s57, v148
	s_delay_alu instid0(VALU_DEP_1) | instskip(NEXT) | instid1(VALU_DEP_1)
	v_and_b32_e32 v2, s39, v2
	v_lshlrev_b32_e32 v2, 2, v2
	ds_load_b32 v2, v2
	s_waitcnt lgkmcnt(0)
	v_add_nc_u32_e32 v2, v2, v1
	s_delay_alu instid0(VALU_DEP_1) | instskip(SKIP_1) | instid1(VALU_DEP_2)
	v_lshlrev_b64 v[36:37], 2, v[2:3]
	v_xor_b32_e32 v2, 0x80000000, v148
	v_add_co_u32 v36, s17, s48, v36
	s_delay_alu instid0(VALU_DEP_1) | instskip(SKIP_3) | instid1(VALU_DEP_1)
	v_add_co_ci_u32_e64 v37, s17, s49, v37, s17
	global_store_b32 v[36:37], v2, off
	s_or_b32 exec_lo, exec_lo, s18
	v_cmp_lt_u32_e64 s17, v45, v147
	s_and_saveexec_b32 s19, s17
	s_cbranch_execnz .LBB637_1085
.LBB637_1070:                           ;   in Loop: Header=BB637_990 Depth=2
	s_or_b32 exec_lo, exec_lo, s19
	v_cmp_lt_u32_e64 s18, v46, v147
	s_delay_alu instid0(VALU_DEP_1)
	s_and_saveexec_b32 s20, s18
	s_cbranch_execz .LBB637_1086
.LBB637_1071:                           ;   in Loop: Header=BB637_990 Depth=2
	ds_load_b32 v148, v78 offset:2048
	s_waitcnt lgkmcnt(0)
	v_lshrrev_b32_e32 v2, s57, v148
	s_delay_alu instid0(VALU_DEP_1) | instskip(NEXT) | instid1(VALU_DEP_1)
	v_and_b32_e32 v2, s39, v2
	v_lshlrev_b32_e32 v2, 2, v2
	ds_load_b32 v2, v2
	s_waitcnt lgkmcnt(0)
	v_add_nc_u32_e32 v2, v2, v46
	s_delay_alu instid0(VALU_DEP_1) | instskip(SKIP_1) | instid1(VALU_DEP_2)
	v_lshlrev_b64 v[36:37], 2, v[2:3]
	v_xor_b32_e32 v2, 0x80000000, v148
	v_add_co_u32 v36, s19, s48, v36
	s_delay_alu instid0(VALU_DEP_1) | instskip(SKIP_3) | instid1(VALU_DEP_1)
	v_add_co_ci_u32_e64 v37, s19, s49, v37, s19
	global_store_b32 v[36:37], v2, off
	s_or_b32 exec_lo, exec_lo, s20
	v_cmp_lt_u32_e64 s19, v47, v147
	s_and_saveexec_b32 s21, s19
	s_cbranch_execnz .LBB637_1087
.LBB637_1072:                           ;   in Loop: Header=BB637_990 Depth=2
	s_or_b32 exec_lo, exec_lo, s21
	v_cmp_lt_u32_e64 s20, v51, v147
	s_delay_alu instid0(VALU_DEP_1)
	s_and_saveexec_b32 s22, s20
	s_cbranch_execz .LBB637_1088
.LBB637_1073:                           ;   in Loop: Header=BB637_990 Depth=2
	ds_load_b32 v148, v78 offset:4096
	s_waitcnt lgkmcnt(0)
	v_lshrrev_b32_e32 v2, s57, v148
	s_delay_alu instid0(VALU_DEP_1) | instskip(NEXT) | instid1(VALU_DEP_1)
	v_and_b32_e32 v2, s39, v2
	v_lshlrev_b32_e32 v2, 2, v2
	ds_load_b32 v2, v2
	s_waitcnt lgkmcnt(0)
	v_add_nc_u32_e32 v2, v2, v51
	s_delay_alu instid0(VALU_DEP_1) | instskip(SKIP_1) | instid1(VALU_DEP_2)
	v_lshlrev_b64 v[36:37], 2, v[2:3]
	v_xor_b32_e32 v2, 0x80000000, v148
	v_add_co_u32 v36, s21, s48, v36
	s_delay_alu instid0(VALU_DEP_1) | instskip(SKIP_3) | instid1(VALU_DEP_1)
	v_add_co_ci_u32_e64 v37, s21, s49, v37, s21
	global_store_b32 v[36:37], v2, off
	s_or_b32 exec_lo, exec_lo, s22
	v_cmp_lt_u32_e64 s21, v52, v147
	s_and_saveexec_b32 s23, s21
	s_cbranch_execnz .LBB637_1089
.LBB637_1074:                           ;   in Loop: Header=BB637_990 Depth=2
	s_or_b32 exec_lo, exec_lo, s23
	v_cmp_lt_u32_e64 s22, v53, v147
	s_delay_alu instid0(VALU_DEP_1)
	s_and_saveexec_b32 s24, s22
	s_cbranch_execz .LBB637_1090
.LBB637_1075:                           ;   in Loop: Header=BB637_990 Depth=2
	ds_load_b32 v148, v78 offset:6144
	s_waitcnt lgkmcnt(0)
	v_lshrrev_b32_e32 v2, s57, v148
	s_delay_alu instid0(VALU_DEP_1) | instskip(NEXT) | instid1(VALU_DEP_1)
	v_and_b32_e32 v2, s39, v2
	v_lshlrev_b32_e32 v2, 2, v2
	ds_load_b32 v2, v2
	s_waitcnt lgkmcnt(0)
	v_add_nc_u32_e32 v2, v2, v53
	s_delay_alu instid0(VALU_DEP_1) | instskip(SKIP_1) | instid1(VALU_DEP_2)
	v_lshlrev_b64 v[36:37], 2, v[2:3]
	v_xor_b32_e32 v2, 0x80000000, v148
	v_add_co_u32 v36, s23, s48, v36
	s_delay_alu instid0(VALU_DEP_1) | instskip(SKIP_3) | instid1(VALU_DEP_1)
	v_add_co_ci_u32_e64 v37, s23, s49, v37, s23
	global_store_b32 v[36:37], v2, off
	s_or_b32 exec_lo, exec_lo, s24
	v_cmp_lt_u32_e64 s23, v54, v147
	s_and_saveexec_b32 s25, s23
	s_cbranch_execnz .LBB637_1091
.LBB637_1076:                           ;   in Loop: Header=BB637_990 Depth=2
	s_or_b32 exec_lo, exec_lo, s25
	v_cmp_lt_u32_e64 s24, v55, v147
	s_delay_alu instid0(VALU_DEP_1)
	s_and_saveexec_b32 s26, s24
	s_cbranch_execz .LBB637_1092
.LBB637_1077:                           ;   in Loop: Header=BB637_990 Depth=2
	ds_load_b32 v148, v78 offset:8192
	s_waitcnt lgkmcnt(0)
	v_lshrrev_b32_e32 v2, s57, v148
	s_delay_alu instid0(VALU_DEP_1) | instskip(NEXT) | instid1(VALU_DEP_1)
	v_and_b32_e32 v2, s39, v2
	v_lshlrev_b32_e32 v2, 2, v2
	ds_load_b32 v2, v2
	s_waitcnt lgkmcnt(0)
	v_add_nc_u32_e32 v2, v2, v55
	s_delay_alu instid0(VALU_DEP_1) | instskip(SKIP_1) | instid1(VALU_DEP_2)
	v_lshlrev_b64 v[36:37], 2, v[2:3]
	v_xor_b32_e32 v2, 0x80000000, v148
	v_add_co_u32 v36, s25, s48, v36
	s_delay_alu instid0(VALU_DEP_1) | instskip(SKIP_3) | instid1(VALU_DEP_1)
	v_add_co_ci_u32_e64 v37, s25, s49, v37, s25
	global_store_b32 v[36:37], v2, off
	s_or_b32 exec_lo, exec_lo, s26
	v_cmp_lt_u32_e64 s25, v56, v147
	s_and_saveexec_b32 s27, s25
	s_cbranch_execnz .LBB637_1093
.LBB637_1078:                           ;   in Loop: Header=BB637_990 Depth=2
	s_or_b32 exec_lo, exec_lo, s27
	v_cmp_lt_u32_e64 s26, v57, v147
	s_delay_alu instid0(VALU_DEP_1)
	s_and_saveexec_b32 s28, s26
	s_cbranch_execz .LBB637_1094
.LBB637_1079:                           ;   in Loop: Header=BB637_990 Depth=2
	ds_load_b32 v148, v78 offset:10240
	s_waitcnt lgkmcnt(0)
	v_lshrrev_b32_e32 v2, s57, v148
	s_delay_alu instid0(VALU_DEP_1) | instskip(NEXT) | instid1(VALU_DEP_1)
	v_and_b32_e32 v2, s39, v2
	v_lshlrev_b32_e32 v2, 2, v2
	ds_load_b32 v2, v2
	s_waitcnt lgkmcnt(0)
	v_add_nc_u32_e32 v2, v2, v57
	s_delay_alu instid0(VALU_DEP_1) | instskip(SKIP_1) | instid1(VALU_DEP_2)
	v_lshlrev_b64 v[36:37], 2, v[2:3]
	v_xor_b32_e32 v2, 0x80000000, v148
	v_add_co_u32 v36, s27, s48, v36
	s_delay_alu instid0(VALU_DEP_1) | instskip(SKIP_3) | instid1(VALU_DEP_1)
	v_add_co_ci_u32_e64 v37, s27, s49, v37, s27
	global_store_b32 v[36:37], v2, off
	s_or_b32 exec_lo, exec_lo, s28
	v_cmp_lt_u32_e64 s27, v58, v147
	s_and_saveexec_b32 s29, s27
	s_cbranch_execnz .LBB637_1095
.LBB637_1080:                           ;   in Loop: Header=BB637_990 Depth=2
	s_or_b32 exec_lo, exec_lo, s29
	v_cmp_lt_u32_e64 s28, v59, v147
	s_delay_alu instid0(VALU_DEP_1)
	s_and_saveexec_b32 s30, s28
	s_cbranch_execz .LBB637_1096
.LBB637_1081:                           ;   in Loop: Header=BB637_990 Depth=2
	ds_load_b32 v148, v78 offset:12288
	s_waitcnt lgkmcnt(0)
	v_lshrrev_b32_e32 v2, s57, v148
	s_delay_alu instid0(VALU_DEP_1) | instskip(NEXT) | instid1(VALU_DEP_1)
	v_and_b32_e32 v2, s39, v2
	v_lshlrev_b32_e32 v2, 2, v2
	ds_load_b32 v2, v2
	s_waitcnt lgkmcnt(0)
	v_add_nc_u32_e32 v2, v2, v59
	s_delay_alu instid0(VALU_DEP_1) | instskip(SKIP_1) | instid1(VALU_DEP_2)
	v_lshlrev_b64 v[36:37], 2, v[2:3]
	v_xor_b32_e32 v2, 0x80000000, v148
	v_add_co_u32 v36, s29, s48, v36
	s_delay_alu instid0(VALU_DEP_1) | instskip(SKIP_3) | instid1(VALU_DEP_1)
	v_add_co_ci_u32_e64 v37, s29, s49, v37, s29
	global_store_b32 v[36:37], v2, off
	s_or_b32 exec_lo, exec_lo, s30
	v_cmp_lt_u32_e64 s29, v60, v147
	s_and_saveexec_b32 s31, s29
	s_cbranch_execnz .LBB637_1097
.LBB637_1082:                           ;   in Loop: Header=BB637_990 Depth=2
	s_or_b32 exec_lo, exec_lo, s31
	v_cmp_lt_u32_e64 s30, v61, v147
	s_delay_alu instid0(VALU_DEP_1)
	s_and_saveexec_b32 s33, s30
	s_cbranch_execz .LBB637_1098
.LBB637_1083:                           ;   in Loop: Header=BB637_990 Depth=2
	ds_load_b32 v148, v78 offset:14336
	s_waitcnt lgkmcnt(0)
	v_lshrrev_b32_e32 v2, s57, v148
	s_delay_alu instid0(VALU_DEP_1) | instskip(NEXT) | instid1(VALU_DEP_1)
	v_and_b32_e32 v2, s39, v2
	v_lshlrev_b32_e32 v2, 2, v2
	ds_load_b32 v2, v2
	s_waitcnt lgkmcnt(0)
	v_add_nc_u32_e32 v2, v2, v61
	s_delay_alu instid0(VALU_DEP_1) | instskip(SKIP_1) | instid1(VALU_DEP_2)
	v_lshlrev_b64 v[36:37], 2, v[2:3]
	v_xor_b32_e32 v2, 0x80000000, v148
	v_add_co_u32 v36, s31, s48, v36
	s_delay_alu instid0(VALU_DEP_1) | instskip(SKIP_3) | instid1(VALU_DEP_1)
	v_add_co_ci_u32_e64 v37, s31, s49, v37, s31
	global_store_b32 v[36:37], v2, off
	s_or_b32 exec_lo, exec_lo, s33
	v_cmp_lt_u32_e64 s31, v63, v147
	s_and_saveexec_b32 s42, s31
	s_cbranch_execnz .LBB637_1099
	s_branch .LBB637_1100
.LBB637_1084:                           ;   in Loop: Header=BB637_990 Depth=2
	s_or_b32 exec_lo, exec_lo, s18
	v_cmp_lt_u32_e64 s17, v45, v147
	s_delay_alu instid0(VALU_DEP_1)
	s_and_saveexec_b32 s19, s17
	s_cbranch_execz .LBB637_1070
.LBB637_1085:                           ;   in Loop: Header=BB637_990 Depth=2
	ds_load_b32 v148, v78 offset:1024
	s_waitcnt lgkmcnt(0)
	v_lshrrev_b32_e32 v2, s57, v148
	s_delay_alu instid0(VALU_DEP_1) | instskip(NEXT) | instid1(VALU_DEP_1)
	v_and_b32_e32 v2, s39, v2
	v_lshlrev_b32_e32 v2, 2, v2
	ds_load_b32 v2, v2
	s_waitcnt lgkmcnt(0)
	v_add_nc_u32_e32 v2, v2, v45
	s_delay_alu instid0(VALU_DEP_1) | instskip(SKIP_1) | instid1(VALU_DEP_2)
	v_lshlrev_b64 v[36:37], 2, v[2:3]
	v_xor_b32_e32 v2, 0x80000000, v148
	v_add_co_u32 v36, s18, s48, v36
	s_delay_alu instid0(VALU_DEP_1) | instskip(SKIP_3) | instid1(VALU_DEP_1)
	v_add_co_ci_u32_e64 v37, s18, s49, v37, s18
	global_store_b32 v[36:37], v2, off
	s_or_b32 exec_lo, exec_lo, s19
	v_cmp_lt_u32_e64 s18, v46, v147
	s_and_saveexec_b32 s20, s18
	s_cbranch_execnz .LBB637_1071
.LBB637_1086:                           ;   in Loop: Header=BB637_990 Depth=2
	s_or_b32 exec_lo, exec_lo, s20
	v_cmp_lt_u32_e64 s19, v47, v147
	s_delay_alu instid0(VALU_DEP_1)
	s_and_saveexec_b32 s21, s19
	s_cbranch_execz .LBB637_1072
.LBB637_1087:                           ;   in Loop: Header=BB637_990 Depth=2
	ds_load_b32 v148, v78 offset:3072
	s_waitcnt lgkmcnt(0)
	v_lshrrev_b32_e32 v2, s57, v148
	s_delay_alu instid0(VALU_DEP_1) | instskip(NEXT) | instid1(VALU_DEP_1)
	v_and_b32_e32 v2, s39, v2
	v_lshlrev_b32_e32 v2, 2, v2
	ds_load_b32 v2, v2
	s_waitcnt lgkmcnt(0)
	v_add_nc_u32_e32 v2, v2, v47
	s_delay_alu instid0(VALU_DEP_1) | instskip(SKIP_1) | instid1(VALU_DEP_2)
	v_lshlrev_b64 v[36:37], 2, v[2:3]
	v_xor_b32_e32 v2, 0x80000000, v148
	v_add_co_u32 v36, s20, s48, v36
	s_delay_alu instid0(VALU_DEP_1) | instskip(SKIP_3) | instid1(VALU_DEP_1)
	v_add_co_ci_u32_e64 v37, s20, s49, v37, s20
	global_store_b32 v[36:37], v2, off
	s_or_b32 exec_lo, exec_lo, s21
	v_cmp_lt_u32_e64 s20, v51, v147
	s_and_saveexec_b32 s22, s20
	s_cbranch_execnz .LBB637_1073
.LBB637_1088:                           ;   in Loop: Header=BB637_990 Depth=2
	s_or_b32 exec_lo, exec_lo, s22
	v_cmp_lt_u32_e64 s21, v52, v147
	s_delay_alu instid0(VALU_DEP_1)
	s_and_saveexec_b32 s23, s21
	s_cbranch_execz .LBB637_1074
.LBB637_1089:                           ;   in Loop: Header=BB637_990 Depth=2
	ds_load_b32 v148, v78 offset:5120
	s_waitcnt lgkmcnt(0)
	v_lshrrev_b32_e32 v2, s57, v148
	s_delay_alu instid0(VALU_DEP_1) | instskip(NEXT) | instid1(VALU_DEP_1)
	v_and_b32_e32 v2, s39, v2
	v_lshlrev_b32_e32 v2, 2, v2
	ds_load_b32 v2, v2
	s_waitcnt lgkmcnt(0)
	v_add_nc_u32_e32 v2, v2, v52
	s_delay_alu instid0(VALU_DEP_1) | instskip(SKIP_1) | instid1(VALU_DEP_2)
	v_lshlrev_b64 v[36:37], 2, v[2:3]
	v_xor_b32_e32 v2, 0x80000000, v148
	v_add_co_u32 v36, s22, s48, v36
	s_delay_alu instid0(VALU_DEP_1) | instskip(SKIP_3) | instid1(VALU_DEP_1)
	v_add_co_ci_u32_e64 v37, s22, s49, v37, s22
	global_store_b32 v[36:37], v2, off
	s_or_b32 exec_lo, exec_lo, s23
	v_cmp_lt_u32_e64 s22, v53, v147
	s_and_saveexec_b32 s24, s22
	s_cbranch_execnz .LBB637_1075
.LBB637_1090:                           ;   in Loop: Header=BB637_990 Depth=2
	s_or_b32 exec_lo, exec_lo, s24
	v_cmp_lt_u32_e64 s23, v54, v147
	s_delay_alu instid0(VALU_DEP_1)
	s_and_saveexec_b32 s25, s23
	s_cbranch_execz .LBB637_1076
.LBB637_1091:                           ;   in Loop: Header=BB637_990 Depth=2
	ds_load_b32 v148, v78 offset:7168
	s_waitcnt lgkmcnt(0)
	v_lshrrev_b32_e32 v2, s57, v148
	s_delay_alu instid0(VALU_DEP_1) | instskip(NEXT) | instid1(VALU_DEP_1)
	v_and_b32_e32 v2, s39, v2
	v_lshlrev_b32_e32 v2, 2, v2
	ds_load_b32 v2, v2
	s_waitcnt lgkmcnt(0)
	v_add_nc_u32_e32 v2, v2, v54
	s_delay_alu instid0(VALU_DEP_1) | instskip(SKIP_1) | instid1(VALU_DEP_2)
	v_lshlrev_b64 v[36:37], 2, v[2:3]
	v_xor_b32_e32 v2, 0x80000000, v148
	v_add_co_u32 v36, s24, s48, v36
	s_delay_alu instid0(VALU_DEP_1) | instskip(SKIP_3) | instid1(VALU_DEP_1)
	v_add_co_ci_u32_e64 v37, s24, s49, v37, s24
	global_store_b32 v[36:37], v2, off
	s_or_b32 exec_lo, exec_lo, s25
	v_cmp_lt_u32_e64 s24, v55, v147
	s_and_saveexec_b32 s26, s24
	s_cbranch_execnz .LBB637_1077
.LBB637_1092:                           ;   in Loop: Header=BB637_990 Depth=2
	s_or_b32 exec_lo, exec_lo, s26
	v_cmp_lt_u32_e64 s25, v56, v147
	s_delay_alu instid0(VALU_DEP_1)
	s_and_saveexec_b32 s27, s25
	s_cbranch_execz .LBB637_1078
.LBB637_1093:                           ;   in Loop: Header=BB637_990 Depth=2
	ds_load_b32 v148, v78 offset:9216
	s_waitcnt lgkmcnt(0)
	v_lshrrev_b32_e32 v2, s57, v148
	s_delay_alu instid0(VALU_DEP_1) | instskip(NEXT) | instid1(VALU_DEP_1)
	v_and_b32_e32 v2, s39, v2
	v_lshlrev_b32_e32 v2, 2, v2
	ds_load_b32 v2, v2
	s_waitcnt lgkmcnt(0)
	v_add_nc_u32_e32 v2, v2, v56
	s_delay_alu instid0(VALU_DEP_1) | instskip(SKIP_1) | instid1(VALU_DEP_2)
	v_lshlrev_b64 v[36:37], 2, v[2:3]
	v_xor_b32_e32 v2, 0x80000000, v148
	v_add_co_u32 v36, s26, s48, v36
	s_delay_alu instid0(VALU_DEP_1) | instskip(SKIP_3) | instid1(VALU_DEP_1)
	v_add_co_ci_u32_e64 v37, s26, s49, v37, s26
	global_store_b32 v[36:37], v2, off
	s_or_b32 exec_lo, exec_lo, s27
	v_cmp_lt_u32_e64 s26, v57, v147
	s_and_saveexec_b32 s28, s26
	s_cbranch_execnz .LBB637_1079
.LBB637_1094:                           ;   in Loop: Header=BB637_990 Depth=2
	s_or_b32 exec_lo, exec_lo, s28
	v_cmp_lt_u32_e64 s27, v58, v147
	s_delay_alu instid0(VALU_DEP_1)
	s_and_saveexec_b32 s29, s27
	s_cbranch_execz .LBB637_1080
.LBB637_1095:                           ;   in Loop: Header=BB637_990 Depth=2
	ds_load_b32 v148, v78 offset:11264
	s_waitcnt lgkmcnt(0)
	v_lshrrev_b32_e32 v2, s57, v148
	s_delay_alu instid0(VALU_DEP_1) | instskip(NEXT) | instid1(VALU_DEP_1)
	v_and_b32_e32 v2, s39, v2
	v_lshlrev_b32_e32 v2, 2, v2
	ds_load_b32 v2, v2
	s_waitcnt lgkmcnt(0)
	v_add_nc_u32_e32 v2, v2, v58
	s_delay_alu instid0(VALU_DEP_1) | instskip(SKIP_1) | instid1(VALU_DEP_2)
	v_lshlrev_b64 v[36:37], 2, v[2:3]
	v_xor_b32_e32 v2, 0x80000000, v148
	v_add_co_u32 v36, s28, s48, v36
	s_delay_alu instid0(VALU_DEP_1) | instskip(SKIP_3) | instid1(VALU_DEP_1)
	v_add_co_ci_u32_e64 v37, s28, s49, v37, s28
	global_store_b32 v[36:37], v2, off
	s_or_b32 exec_lo, exec_lo, s29
	v_cmp_lt_u32_e64 s28, v59, v147
	s_and_saveexec_b32 s30, s28
	s_cbranch_execnz .LBB637_1081
.LBB637_1096:                           ;   in Loop: Header=BB637_990 Depth=2
	s_or_b32 exec_lo, exec_lo, s30
	v_cmp_lt_u32_e64 s29, v60, v147
	s_delay_alu instid0(VALU_DEP_1)
	s_and_saveexec_b32 s31, s29
	s_cbranch_execz .LBB637_1082
.LBB637_1097:                           ;   in Loop: Header=BB637_990 Depth=2
	ds_load_b32 v148, v78 offset:13312
	s_waitcnt lgkmcnt(0)
	v_lshrrev_b32_e32 v2, s57, v148
	s_delay_alu instid0(VALU_DEP_1) | instskip(NEXT) | instid1(VALU_DEP_1)
	v_and_b32_e32 v2, s39, v2
	v_lshlrev_b32_e32 v2, 2, v2
	ds_load_b32 v2, v2
	s_waitcnt lgkmcnt(0)
	v_add_nc_u32_e32 v2, v2, v60
	s_delay_alu instid0(VALU_DEP_1) | instskip(SKIP_1) | instid1(VALU_DEP_2)
	v_lshlrev_b64 v[36:37], 2, v[2:3]
	v_xor_b32_e32 v2, 0x80000000, v148
	v_add_co_u32 v36, s30, s48, v36
	s_delay_alu instid0(VALU_DEP_1) | instskip(SKIP_3) | instid1(VALU_DEP_1)
	v_add_co_ci_u32_e64 v37, s30, s49, v37, s30
	global_store_b32 v[36:37], v2, off
	s_or_b32 exec_lo, exec_lo, s31
	v_cmp_lt_u32_e64 s30, v61, v147
	s_and_saveexec_b32 s33, s30
	s_cbranch_execnz .LBB637_1083
.LBB637_1098:                           ;   in Loop: Header=BB637_990 Depth=2
	s_or_b32 exec_lo, exec_lo, s33
	v_cmp_lt_u32_e64 s31, v63, v147
	s_delay_alu instid0(VALU_DEP_1)
	s_and_saveexec_b32 s42, s31
	s_cbranch_execz .LBB637_1100
.LBB637_1099:                           ;   in Loop: Header=BB637_990 Depth=2
	ds_load_b32 v148, v78 offset:15360
	s_waitcnt lgkmcnt(0)
	v_lshrrev_b32_e32 v2, s57, v148
	s_delay_alu instid0(VALU_DEP_1) | instskip(NEXT) | instid1(VALU_DEP_1)
	v_and_b32_e32 v2, s39, v2
	v_lshlrev_b32_e32 v2, 2, v2
	ds_load_b32 v2, v2
	s_waitcnt lgkmcnt(0)
	v_add_nc_u32_e32 v2, v2, v63
	s_delay_alu instid0(VALU_DEP_1) | instskip(SKIP_1) | instid1(VALU_DEP_2)
	v_lshlrev_b64 v[36:37], 2, v[2:3]
	v_xor_b32_e32 v2, 0x80000000, v148
	v_add_co_u32 v36, s33, s48, v36
	s_delay_alu instid0(VALU_DEP_1)
	v_add_co_ci_u32_e64 v37, s33, s49, v37, s33
	global_store_b32 v[36:37], v2, off
.LBB637_1100:                           ;   in Loop: Header=BB637_990 Depth=2
	s_or_b32 exec_lo, exec_lo, s42
	s_lshl_b64 s[42:43], s[34:35], 3
	s_delay_alu instid0(SALU_CYCLE_1) | instskip(NEXT) | instid1(VALU_DEP_1)
	v_add_co_u32 v36, s33, v109, s42
	v_add_co_ci_u32_e64 v37, s33, s43, v110, s33
	v_cmp_lt_u32_e64 s33, v108, v147
	s_delay_alu instid0(VALU_DEP_1) | instskip(NEXT) | instid1(SALU_CYCLE_1)
	s_and_saveexec_b32 s34, s33
	s_xor_b32 s33, exec_lo, s34
	s_cbranch_execz .LBB637_1132
; %bb.1101:                             ;   in Loop: Header=BB637_990 Depth=2
	global_load_b64 v[34:35], v[36:37], off
	s_or_b32 exec_lo, exec_lo, s33
	s_delay_alu instid0(SALU_CYCLE_1)
	s_mov_b32 s34, exec_lo
	v_cmpx_lt_u32_e64 v111, v147
	s_cbranch_execnz .LBB637_1133
.LBB637_1102:                           ;   in Loop: Header=BB637_990 Depth=2
	s_or_b32 exec_lo, exec_lo, s34
	s_delay_alu instid0(SALU_CYCLE_1)
	s_mov_b32 s34, exec_lo
	v_cmpx_lt_u32_e64 v112, v147
	s_cbranch_execz .LBB637_1134
.LBB637_1103:                           ;   in Loop: Header=BB637_990 Depth=2
	global_load_b64 v[30:31], v[36:37], off offset:512
	s_or_b32 exec_lo, exec_lo, s34
	s_delay_alu instid0(SALU_CYCLE_1)
	s_mov_b32 s34, exec_lo
	v_cmpx_lt_u32_e64 v113, v147
	s_cbranch_execnz .LBB637_1135
.LBB637_1104:                           ;   in Loop: Header=BB637_990 Depth=2
	s_or_b32 exec_lo, exec_lo, s34
	s_delay_alu instid0(SALU_CYCLE_1)
	s_mov_b32 s34, exec_lo
	v_cmpx_lt_u32_e64 v114, v147
	s_cbranch_execz .LBB637_1136
.LBB637_1105:                           ;   in Loop: Header=BB637_990 Depth=2
	global_load_b64 v[26:27], v[36:37], off offset:1024
	s_or_b32 exec_lo, exec_lo, s34
	s_delay_alu instid0(SALU_CYCLE_1)
	s_mov_b32 s34, exec_lo
	v_cmpx_lt_u32_e64 v115, v147
	s_cbranch_execnz .LBB637_1137
.LBB637_1106:                           ;   in Loop: Header=BB637_990 Depth=2
	s_or_b32 exec_lo, exec_lo, s34
	s_delay_alu instid0(SALU_CYCLE_1)
	s_mov_b32 s34, exec_lo
	v_cmpx_lt_u32_e64 v116, v147
	s_cbranch_execz .LBB637_1138
.LBB637_1107:                           ;   in Loop: Header=BB637_990 Depth=2
	global_load_b64 v[22:23], v[36:37], off offset:1536
	s_or_b32 exec_lo, exec_lo, s34
	s_delay_alu instid0(SALU_CYCLE_1)
	s_mov_b32 s34, exec_lo
	v_cmpx_lt_u32_e64 v117, v147
	s_cbranch_execnz .LBB637_1139
.LBB637_1108:                           ;   in Loop: Header=BB637_990 Depth=2
	s_or_b32 exec_lo, exec_lo, s34
	s_delay_alu instid0(SALU_CYCLE_1)
	s_mov_b32 s34, exec_lo
	v_cmpx_lt_u32_e64 v118, v147
	s_cbranch_execz .LBB637_1140
.LBB637_1109:                           ;   in Loop: Header=BB637_990 Depth=2
	global_load_b64 v[18:19], v[36:37], off offset:2048
	s_or_b32 exec_lo, exec_lo, s34
	s_delay_alu instid0(SALU_CYCLE_1)
	s_mov_b32 s34, exec_lo
	v_cmpx_lt_u32_e64 v119, v147
	s_cbranch_execnz .LBB637_1141
.LBB637_1110:                           ;   in Loop: Header=BB637_990 Depth=2
	s_or_b32 exec_lo, exec_lo, s34
	s_delay_alu instid0(SALU_CYCLE_1)
	s_mov_b32 s34, exec_lo
	v_cmpx_lt_u32_e64 v120, v147
	s_cbranch_execz .LBB637_1142
.LBB637_1111:                           ;   in Loop: Header=BB637_990 Depth=2
	global_load_b64 v[14:15], v[36:37], off offset:2560
	s_or_b32 exec_lo, exec_lo, s34
	s_delay_alu instid0(SALU_CYCLE_1)
	s_mov_b32 s34, exec_lo
	v_cmpx_lt_u32_e64 v121, v147
	s_cbranch_execnz .LBB637_1143
.LBB637_1112:                           ;   in Loop: Header=BB637_990 Depth=2
	s_or_b32 exec_lo, exec_lo, s34
	s_delay_alu instid0(SALU_CYCLE_1)
	s_mov_b32 s34, exec_lo
	v_cmpx_lt_u32_e64 v122, v147
	s_cbranch_execz .LBB637_1144
.LBB637_1113:                           ;   in Loop: Header=BB637_990 Depth=2
	global_load_b64 v[10:11], v[36:37], off offset:3072
	s_or_b32 exec_lo, exec_lo, s34
	s_delay_alu instid0(SALU_CYCLE_1)
	s_mov_b32 s34, exec_lo
	v_cmpx_lt_u32_e64 v123, v147
	s_cbranch_execnz .LBB637_1145
.LBB637_1114:                           ;   in Loop: Header=BB637_990 Depth=2
	s_or_b32 exec_lo, exec_lo, s34
	s_delay_alu instid0(SALU_CYCLE_1)
	s_mov_b32 s34, exec_lo
	v_cmpx_lt_u32_e64 v124, v147
	s_cbranch_execz .LBB637_1146
.LBB637_1115:                           ;   in Loop: Header=BB637_990 Depth=2
	global_load_b64 v[6:7], v[36:37], off offset:3584
	s_or_b32 exec_lo, exec_lo, s34
	s_delay_alu instid0(SALU_CYCLE_1)
	s_mov_b32 s34, exec_lo
	v_cmpx_lt_u32_e64 v125, v147
	s_cbranch_execnz .LBB637_1147
.LBB637_1116:                           ;   in Loop: Header=BB637_990 Depth=2
	s_or_b32 exec_lo, exec_lo, s34
	s_and_saveexec_b32 s33, vcc_lo
	s_cbranch_execz .LBB637_1148
.LBB637_1117:                           ;   in Loop: Header=BB637_990 Depth=2
	ds_load_b32 v2, v188 offset:1024
	s_waitcnt lgkmcnt(0)
	v_lshrrev_b32_e32 v2, s57, v2
	s_delay_alu instid0(VALU_DEP_1)
	v_and_b32_e32 v146, s39, v2
	s_or_b32 exec_lo, exec_lo, s33
	s_and_saveexec_b32 s33, s17
	s_cbranch_execnz .LBB637_1149
.LBB637_1118:                           ;   in Loop: Header=BB637_990 Depth=2
	s_or_b32 exec_lo, exec_lo, s33
	s_and_saveexec_b32 s33, s18
	s_cbranch_execz .LBB637_1150
.LBB637_1119:                           ;   in Loop: Header=BB637_990 Depth=2
	ds_load_b32 v2, v78 offset:2048
	s_waitcnt lgkmcnt(0)
	v_lshrrev_b32_e32 v2, s57, v2
	s_delay_alu instid0(VALU_DEP_1)
	v_and_b32_e32 v144, s39, v2
	s_or_b32 exec_lo, exec_lo, s33
	s_and_saveexec_b32 s33, s19
	s_cbranch_execnz .LBB637_1151
.LBB637_1120:                           ;   in Loop: Header=BB637_990 Depth=2
	s_or_b32 exec_lo, exec_lo, s33
	s_and_saveexec_b32 s33, s20
	s_cbranch_execz .LBB637_1152
.LBB637_1121:                           ;   in Loop: Header=BB637_990 Depth=2
	ds_load_b32 v2, v78 offset:4096
	s_waitcnt lgkmcnt(0)
	v_lshrrev_b32_e32 v2, s57, v2
	s_delay_alu instid0(VALU_DEP_1)
	v_and_b32_e32 v142, s39, v2
	s_or_b32 exec_lo, exec_lo, s33
	s_and_saveexec_b32 s33, s21
	s_cbranch_execnz .LBB637_1153
.LBB637_1122:                           ;   in Loop: Header=BB637_990 Depth=2
	s_or_b32 exec_lo, exec_lo, s33
	s_and_saveexec_b32 s33, s22
	s_cbranch_execz .LBB637_1154
.LBB637_1123:                           ;   in Loop: Header=BB637_990 Depth=2
	ds_load_b32 v2, v78 offset:6144
	s_waitcnt lgkmcnt(0)
	v_lshrrev_b32_e32 v2, s57, v2
	s_delay_alu instid0(VALU_DEP_1)
	v_and_b32_e32 v140, s39, v2
	s_or_b32 exec_lo, exec_lo, s33
	s_and_saveexec_b32 s33, s23
	s_cbranch_execnz .LBB637_1155
.LBB637_1124:                           ;   in Loop: Header=BB637_990 Depth=2
	s_or_b32 exec_lo, exec_lo, s33
	s_and_saveexec_b32 s33, s24
	s_cbranch_execz .LBB637_1156
.LBB637_1125:                           ;   in Loop: Header=BB637_990 Depth=2
	ds_load_b32 v2, v78 offset:8192
	s_waitcnt lgkmcnt(0)
	v_lshrrev_b32_e32 v2, s57, v2
	s_delay_alu instid0(VALU_DEP_1)
	v_and_b32_e32 v138, s39, v2
	s_or_b32 exec_lo, exec_lo, s33
	s_and_saveexec_b32 s33, s25
	s_cbranch_execnz .LBB637_1157
.LBB637_1126:                           ;   in Loop: Header=BB637_990 Depth=2
	s_or_b32 exec_lo, exec_lo, s33
	s_and_saveexec_b32 s33, s26
	s_cbranch_execz .LBB637_1158
.LBB637_1127:                           ;   in Loop: Header=BB637_990 Depth=2
	ds_load_b32 v2, v78 offset:10240
	s_waitcnt lgkmcnt(0)
	v_lshrrev_b32_e32 v2, s57, v2
	s_delay_alu instid0(VALU_DEP_1)
	v_and_b32_e32 v136, s39, v2
	s_or_b32 exec_lo, exec_lo, s33
	s_and_saveexec_b32 s33, s27
	s_cbranch_execnz .LBB637_1159
.LBB637_1128:                           ;   in Loop: Header=BB637_990 Depth=2
	s_or_b32 exec_lo, exec_lo, s33
	s_and_saveexec_b32 s33, s28
	s_cbranch_execz .LBB637_1160
.LBB637_1129:                           ;   in Loop: Header=BB637_990 Depth=2
	ds_load_b32 v2, v78 offset:12288
	s_waitcnt lgkmcnt(0)
	v_lshrrev_b32_e32 v2, s57, v2
	s_delay_alu instid0(VALU_DEP_1)
	v_and_b32_e32 v134, s39, v2
	s_or_b32 exec_lo, exec_lo, s33
	s_and_saveexec_b32 s33, s29
	s_cbranch_execnz .LBB637_1161
.LBB637_1130:                           ;   in Loop: Header=BB637_990 Depth=2
	s_or_b32 exec_lo, exec_lo, s33
	s_and_saveexec_b32 s33, s30
	s_cbranch_execz .LBB637_1162
.LBB637_1131:                           ;   in Loop: Header=BB637_990 Depth=2
	ds_load_b32 v2, v78 offset:14336
	s_waitcnt lgkmcnt(0)
	v_lshrrev_b32_e32 v2, s57, v2
	s_delay_alu instid0(VALU_DEP_1)
	v_and_b32_e32 v132, s39, v2
	s_or_b32 exec_lo, exec_lo, s33
	s_and_saveexec_b32 s33, s31
	s_cbranch_execnz .LBB637_1163
	s_branch .LBB637_1164
.LBB637_1132:                           ;   in Loop: Header=BB637_990 Depth=2
	s_or_b32 exec_lo, exec_lo, s33
	s_delay_alu instid0(SALU_CYCLE_1)
	s_mov_b32 s34, exec_lo
	v_cmpx_lt_u32_e64 v111, v147
	s_cbranch_execz .LBB637_1102
.LBB637_1133:                           ;   in Loop: Header=BB637_990 Depth=2
	global_load_b64 v[32:33], v[36:37], off offset:256
	s_or_b32 exec_lo, exec_lo, s34
	s_delay_alu instid0(SALU_CYCLE_1)
	s_mov_b32 s34, exec_lo
	v_cmpx_lt_u32_e64 v112, v147
	s_cbranch_execnz .LBB637_1103
.LBB637_1134:                           ;   in Loop: Header=BB637_990 Depth=2
	s_or_b32 exec_lo, exec_lo, s34
	s_delay_alu instid0(SALU_CYCLE_1)
	s_mov_b32 s34, exec_lo
	v_cmpx_lt_u32_e64 v113, v147
	s_cbranch_execz .LBB637_1104
.LBB637_1135:                           ;   in Loop: Header=BB637_990 Depth=2
	global_load_b64 v[28:29], v[36:37], off offset:768
	s_or_b32 exec_lo, exec_lo, s34
	s_delay_alu instid0(SALU_CYCLE_1)
	s_mov_b32 s34, exec_lo
	v_cmpx_lt_u32_e64 v114, v147
	s_cbranch_execnz .LBB637_1105
.LBB637_1136:                           ;   in Loop: Header=BB637_990 Depth=2
	s_or_b32 exec_lo, exec_lo, s34
	s_delay_alu instid0(SALU_CYCLE_1)
	s_mov_b32 s34, exec_lo
	v_cmpx_lt_u32_e64 v115, v147
	s_cbranch_execz .LBB637_1106
.LBB637_1137:                           ;   in Loop: Header=BB637_990 Depth=2
	global_load_b64 v[24:25], v[36:37], off offset:1280
	s_or_b32 exec_lo, exec_lo, s34
	s_delay_alu instid0(SALU_CYCLE_1)
	s_mov_b32 s34, exec_lo
	v_cmpx_lt_u32_e64 v116, v147
	s_cbranch_execnz .LBB637_1107
.LBB637_1138:                           ;   in Loop: Header=BB637_990 Depth=2
	s_or_b32 exec_lo, exec_lo, s34
	s_delay_alu instid0(SALU_CYCLE_1)
	s_mov_b32 s34, exec_lo
	v_cmpx_lt_u32_e64 v117, v147
	s_cbranch_execz .LBB637_1108
.LBB637_1139:                           ;   in Loop: Header=BB637_990 Depth=2
	global_load_b64 v[20:21], v[36:37], off offset:1792
	s_or_b32 exec_lo, exec_lo, s34
	s_delay_alu instid0(SALU_CYCLE_1)
	s_mov_b32 s34, exec_lo
	v_cmpx_lt_u32_e64 v118, v147
	s_cbranch_execnz .LBB637_1109
.LBB637_1140:                           ;   in Loop: Header=BB637_990 Depth=2
	s_or_b32 exec_lo, exec_lo, s34
	s_delay_alu instid0(SALU_CYCLE_1)
	s_mov_b32 s34, exec_lo
	v_cmpx_lt_u32_e64 v119, v147
	s_cbranch_execz .LBB637_1110
.LBB637_1141:                           ;   in Loop: Header=BB637_990 Depth=2
	global_load_b64 v[16:17], v[36:37], off offset:2304
	s_or_b32 exec_lo, exec_lo, s34
	s_delay_alu instid0(SALU_CYCLE_1)
	s_mov_b32 s34, exec_lo
	v_cmpx_lt_u32_e64 v120, v147
	s_cbranch_execnz .LBB637_1111
.LBB637_1142:                           ;   in Loop: Header=BB637_990 Depth=2
	s_or_b32 exec_lo, exec_lo, s34
	s_delay_alu instid0(SALU_CYCLE_1)
	s_mov_b32 s34, exec_lo
	v_cmpx_lt_u32_e64 v121, v147
	s_cbranch_execz .LBB637_1112
.LBB637_1143:                           ;   in Loop: Header=BB637_990 Depth=2
	global_load_b64 v[12:13], v[36:37], off offset:2816
	s_or_b32 exec_lo, exec_lo, s34
	s_delay_alu instid0(SALU_CYCLE_1)
	s_mov_b32 s34, exec_lo
	v_cmpx_lt_u32_e64 v122, v147
	s_cbranch_execnz .LBB637_1113
.LBB637_1144:                           ;   in Loop: Header=BB637_990 Depth=2
	s_or_b32 exec_lo, exec_lo, s34
	s_delay_alu instid0(SALU_CYCLE_1)
	s_mov_b32 s34, exec_lo
	v_cmpx_lt_u32_e64 v123, v147
	s_cbranch_execz .LBB637_1114
.LBB637_1145:                           ;   in Loop: Header=BB637_990 Depth=2
	global_load_b64 v[8:9], v[36:37], off offset:3328
	s_or_b32 exec_lo, exec_lo, s34
	s_delay_alu instid0(SALU_CYCLE_1)
	s_mov_b32 s34, exec_lo
	v_cmpx_lt_u32_e64 v124, v147
	s_cbranch_execnz .LBB637_1115
.LBB637_1146:                           ;   in Loop: Header=BB637_990 Depth=2
	s_or_b32 exec_lo, exec_lo, s34
	s_delay_alu instid0(SALU_CYCLE_1)
	s_mov_b32 s34, exec_lo
	v_cmpx_lt_u32_e64 v125, v147
	s_cbranch_execz .LBB637_1116
.LBB637_1147:                           ;   in Loop: Header=BB637_990 Depth=2
	global_load_b64 v[4:5], v[36:37], off offset:3840
	s_or_b32 exec_lo, exec_lo, s34
	s_and_saveexec_b32 s33, vcc_lo
	s_cbranch_execnz .LBB637_1117
.LBB637_1148:                           ;   in Loop: Header=BB637_990 Depth=2
	s_or_b32 exec_lo, exec_lo, s33
	s_and_saveexec_b32 s33, s17
	s_cbranch_execz .LBB637_1118
.LBB637_1149:                           ;   in Loop: Header=BB637_990 Depth=2
	ds_load_b32 v2, v78 offset:1024
	s_waitcnt lgkmcnt(0)
	v_lshrrev_b32_e32 v2, s57, v2
	s_delay_alu instid0(VALU_DEP_1)
	v_and_b32_e32 v145, s39, v2
	s_or_b32 exec_lo, exec_lo, s33
	s_and_saveexec_b32 s33, s18
	s_cbranch_execnz .LBB637_1119
.LBB637_1150:                           ;   in Loop: Header=BB637_990 Depth=2
	s_or_b32 exec_lo, exec_lo, s33
	s_and_saveexec_b32 s33, s19
	s_cbranch_execz .LBB637_1120
.LBB637_1151:                           ;   in Loop: Header=BB637_990 Depth=2
	ds_load_b32 v2, v78 offset:3072
	s_waitcnt lgkmcnt(0)
	v_lshrrev_b32_e32 v2, s57, v2
	s_delay_alu instid0(VALU_DEP_1)
	v_and_b32_e32 v143, s39, v2
	s_or_b32 exec_lo, exec_lo, s33
	s_and_saveexec_b32 s33, s20
	s_cbranch_execnz .LBB637_1121
.LBB637_1152:                           ;   in Loop: Header=BB637_990 Depth=2
	s_or_b32 exec_lo, exec_lo, s33
	s_and_saveexec_b32 s33, s21
	s_cbranch_execz .LBB637_1122
.LBB637_1153:                           ;   in Loop: Header=BB637_990 Depth=2
	ds_load_b32 v2, v78 offset:5120
	s_waitcnt lgkmcnt(0)
	v_lshrrev_b32_e32 v2, s57, v2
	s_delay_alu instid0(VALU_DEP_1)
	v_and_b32_e32 v141, s39, v2
	s_or_b32 exec_lo, exec_lo, s33
	s_and_saveexec_b32 s33, s22
	s_cbranch_execnz .LBB637_1123
.LBB637_1154:                           ;   in Loop: Header=BB637_990 Depth=2
	s_or_b32 exec_lo, exec_lo, s33
	s_and_saveexec_b32 s33, s23
	s_cbranch_execz .LBB637_1124
.LBB637_1155:                           ;   in Loop: Header=BB637_990 Depth=2
	ds_load_b32 v2, v78 offset:7168
	s_waitcnt lgkmcnt(0)
	v_lshrrev_b32_e32 v2, s57, v2
	s_delay_alu instid0(VALU_DEP_1)
	v_and_b32_e32 v139, s39, v2
	s_or_b32 exec_lo, exec_lo, s33
	s_and_saveexec_b32 s33, s24
	s_cbranch_execnz .LBB637_1125
.LBB637_1156:                           ;   in Loop: Header=BB637_990 Depth=2
	s_or_b32 exec_lo, exec_lo, s33
	s_and_saveexec_b32 s33, s25
	s_cbranch_execz .LBB637_1126
.LBB637_1157:                           ;   in Loop: Header=BB637_990 Depth=2
	ds_load_b32 v2, v78 offset:9216
	s_waitcnt lgkmcnt(0)
	v_lshrrev_b32_e32 v2, s57, v2
	s_delay_alu instid0(VALU_DEP_1)
	v_and_b32_e32 v137, s39, v2
	s_or_b32 exec_lo, exec_lo, s33
	s_and_saveexec_b32 s33, s26
	s_cbranch_execnz .LBB637_1127
.LBB637_1158:                           ;   in Loop: Header=BB637_990 Depth=2
	s_or_b32 exec_lo, exec_lo, s33
	s_and_saveexec_b32 s33, s27
	s_cbranch_execz .LBB637_1128
.LBB637_1159:                           ;   in Loop: Header=BB637_990 Depth=2
	ds_load_b32 v2, v78 offset:11264
	s_waitcnt lgkmcnt(0)
	v_lshrrev_b32_e32 v2, s57, v2
	s_delay_alu instid0(VALU_DEP_1)
	v_and_b32_e32 v135, s39, v2
	s_or_b32 exec_lo, exec_lo, s33
	s_and_saveexec_b32 s33, s28
	s_cbranch_execnz .LBB637_1129
.LBB637_1160:                           ;   in Loop: Header=BB637_990 Depth=2
	s_or_b32 exec_lo, exec_lo, s33
	s_and_saveexec_b32 s33, s29
	s_cbranch_execz .LBB637_1130
.LBB637_1161:                           ;   in Loop: Header=BB637_990 Depth=2
	ds_load_b32 v2, v78 offset:13312
	s_waitcnt lgkmcnt(0)
	v_lshrrev_b32_e32 v2, s57, v2
	s_delay_alu instid0(VALU_DEP_1)
	v_and_b32_e32 v133, s39, v2
	s_or_b32 exec_lo, exec_lo, s33
	s_and_saveexec_b32 s33, s30
	s_cbranch_execnz .LBB637_1131
.LBB637_1162:                           ;   in Loop: Header=BB637_990 Depth=2
	s_or_b32 exec_lo, exec_lo, s33
	s_and_saveexec_b32 s33, s31
	s_cbranch_execz .LBB637_1164
.LBB637_1163:                           ;   in Loop: Header=BB637_990 Depth=2
	ds_load_b32 v2, v78 offset:15360
	s_waitcnt lgkmcnt(0)
	v_lshrrev_b32_e32 v2, s57, v2
	s_delay_alu instid0(VALU_DEP_1)
	v_and_b32_e32 v131, s39, v2
.LBB637_1164:                           ;   in Loop: Header=BB637_990 Depth=2
	s_or_b32 exec_lo, exec_lo, s33
	v_lshlrev_b32_e32 v2, 3, v170
	v_lshlrev_b32_e32 v36, 3, v166
	s_waitcnt vmcnt(0)
	s_waitcnt_vscnt null, 0x0
	s_barrier
	buffer_gl0_inv
	ds_store_b64 v2, v[34:35] offset:1024
	v_lshlrev_b32_e32 v2, 3, v162
	v_lshlrev_b32_e32 v37, 3, v158
	;; [unrolled: 1-line block ×4, first 2 shown]
	ds_store_b64 v36, v[32:33] offset:1024
	ds_store_b64 v2, v[30:31] offset:1024
	;; [unrolled: 1-line block ×5, first 2 shown]
	v_lshlrev_b32_e32 v2, 3, v154
	v_lshlrev_b32_e32 v36, 3, v153
	;; [unrolled: 1-line block ×5, first 2 shown]
	ds_store_b64 v2, v[22:23] offset:1024
	ds_store_b64 v36, v[20:21] offset:1024
	ds_store_b64 v37, v[18:19] offset:1024
	ds_store_b64 v147, v[16:17] offset:1024
	ds_store_b64 v148, v[14:15] offset:1024
	v_lshlrev_b32_e32 v2, 3, v40
	v_lshlrev_b32_e32 v36, 3, v39
	;; [unrolled: 1-line block ×5, first 2 shown]
	ds_store_b64 v2, v[12:13] offset:1024
	ds_store_b64 v36, v[10:11] offset:1024
	;; [unrolled: 1-line block ×5, first 2 shown]
	s_waitcnt lgkmcnt(0)
	s_barrier
	buffer_gl0_inv
	s_and_saveexec_b32 s33, vcc_lo
	s_cbranch_execz .LBB637_1180
; %bb.1165:                             ;   in Loop: Header=BB637_990 Depth=2
	v_lshlrev_b32_e32 v2, 2, v146
	ds_load_b32 v2, v2
	ds_load_b64 v[36:37], v79 offset:1024
	s_waitcnt lgkmcnt(1)
	v_add_nc_u32_e32 v2, v2, v1
	s_delay_alu instid0(VALU_DEP_1) | instskip(NEXT) | instid1(VALU_DEP_1)
	v_lshlrev_b64 v[39:40], 3, v[2:3]
	v_add_co_u32 v39, vcc_lo, s54, v39
	s_delay_alu instid0(VALU_DEP_2)
	v_add_co_ci_u32_e32 v40, vcc_lo, s55, v40, vcc_lo
	s_waitcnt lgkmcnt(0)
	global_store_b64 v[39:40], v[36:37], off
	s_or_b32 exec_lo, exec_lo, s33
	v_add_nc_u32_e32 v36, v78, v44
	s_and_saveexec_b32 s33, s17
	s_cbranch_execnz .LBB637_1181
.LBB637_1166:                           ;   in Loop: Header=BB637_990 Depth=2
	s_or_b32 exec_lo, exec_lo, s33
	s_and_saveexec_b32 s17, s18
	s_cbranch_execz .LBB637_1182
.LBB637_1167:                           ;   in Loop: Header=BB637_990 Depth=2
	v_lshlrev_b32_e32 v2, 2, v144
	ds_load_b32 v2, v2
	ds_load_b64 v[39:40], v36 offset:4096
	s_waitcnt lgkmcnt(1)
	v_add_nc_u32_e32 v2, v2, v46
	s_delay_alu instid0(VALU_DEP_1) | instskip(NEXT) | instid1(VALU_DEP_1)
	v_lshlrev_b64 v[41:42], 3, v[2:3]
	v_add_co_u32 v41, vcc_lo, s54, v41
	s_delay_alu instid0(VALU_DEP_2)
	v_add_co_ci_u32_e32 v42, vcc_lo, s55, v42, vcc_lo
	s_waitcnt lgkmcnt(0)
	global_store_b64 v[41:42], v[39:40], off
	s_or_b32 exec_lo, exec_lo, s17
	s_and_saveexec_b32 s17, s19
	s_cbranch_execnz .LBB637_1183
.LBB637_1168:                           ;   in Loop: Header=BB637_990 Depth=2
	s_or_b32 exec_lo, exec_lo, s17
	s_and_saveexec_b32 s17, s20
	s_cbranch_execz .LBB637_1184
.LBB637_1169:                           ;   in Loop: Header=BB637_990 Depth=2
	v_lshlrev_b32_e32 v2, 2, v142
	ds_load_b32 v2, v2
	ds_load_b64 v[39:40], v36 offset:8192
	s_waitcnt lgkmcnt(1)
	v_add_nc_u32_e32 v2, v2, v51
	s_delay_alu instid0(VALU_DEP_1) | instskip(NEXT) | instid1(VALU_DEP_1)
	v_lshlrev_b64 v[41:42], 3, v[2:3]
	v_add_co_u32 v41, vcc_lo, s54, v41
	s_delay_alu instid0(VALU_DEP_2)
	v_add_co_ci_u32_e32 v42, vcc_lo, s55, v42, vcc_lo
	s_waitcnt lgkmcnt(0)
	global_store_b64 v[41:42], v[39:40], off
	s_or_b32 exec_lo, exec_lo, s17
	s_and_saveexec_b32 s17, s21
	s_cbranch_execnz .LBB637_1185
.LBB637_1170:                           ;   in Loop: Header=BB637_990 Depth=2
	s_or_b32 exec_lo, exec_lo, s17
	s_and_saveexec_b32 s17, s22
	s_cbranch_execz .LBB637_1186
.LBB637_1171:                           ;   in Loop: Header=BB637_990 Depth=2
	v_lshlrev_b32_e32 v2, 2, v140
	ds_load_b32 v2, v2
	ds_load_b64 v[39:40], v36 offset:12288
	s_waitcnt lgkmcnt(1)
	v_add_nc_u32_e32 v2, v2, v53
	s_delay_alu instid0(VALU_DEP_1) | instskip(NEXT) | instid1(VALU_DEP_1)
	v_lshlrev_b64 v[41:42], 3, v[2:3]
	v_add_co_u32 v41, vcc_lo, s54, v41
	s_delay_alu instid0(VALU_DEP_2)
	v_add_co_ci_u32_e32 v42, vcc_lo, s55, v42, vcc_lo
	s_waitcnt lgkmcnt(0)
	global_store_b64 v[41:42], v[39:40], off
	s_or_b32 exec_lo, exec_lo, s17
	s_and_saveexec_b32 s17, s23
	s_cbranch_execnz .LBB637_1187
.LBB637_1172:                           ;   in Loop: Header=BB637_990 Depth=2
	s_or_b32 exec_lo, exec_lo, s17
	s_and_saveexec_b32 s17, s24
	s_cbranch_execz .LBB637_1188
.LBB637_1173:                           ;   in Loop: Header=BB637_990 Depth=2
	v_lshlrev_b32_e32 v2, 2, v138
	ds_load_b32 v2, v2
	ds_load_b64 v[39:40], v36 offset:16384
	s_waitcnt lgkmcnt(1)
	v_add_nc_u32_e32 v2, v2, v55
	s_delay_alu instid0(VALU_DEP_1) | instskip(NEXT) | instid1(VALU_DEP_1)
	v_lshlrev_b64 v[41:42], 3, v[2:3]
	v_add_co_u32 v41, vcc_lo, s54, v41
	s_delay_alu instid0(VALU_DEP_2)
	v_add_co_ci_u32_e32 v42, vcc_lo, s55, v42, vcc_lo
	s_waitcnt lgkmcnt(0)
	global_store_b64 v[41:42], v[39:40], off
	s_or_b32 exec_lo, exec_lo, s17
	s_and_saveexec_b32 s17, s25
	s_cbranch_execnz .LBB637_1189
.LBB637_1174:                           ;   in Loop: Header=BB637_990 Depth=2
	s_or_b32 exec_lo, exec_lo, s17
	s_and_saveexec_b32 s17, s26
	s_cbranch_execz .LBB637_1190
.LBB637_1175:                           ;   in Loop: Header=BB637_990 Depth=2
	v_lshlrev_b32_e32 v2, 2, v136
	ds_load_b32 v2, v2
	ds_load_b64 v[39:40], v36 offset:20480
	s_waitcnt lgkmcnt(1)
	v_add_nc_u32_e32 v2, v2, v57
	s_delay_alu instid0(VALU_DEP_1) | instskip(NEXT) | instid1(VALU_DEP_1)
	v_lshlrev_b64 v[41:42], 3, v[2:3]
	v_add_co_u32 v41, vcc_lo, s54, v41
	s_delay_alu instid0(VALU_DEP_2)
	v_add_co_ci_u32_e32 v42, vcc_lo, s55, v42, vcc_lo
	s_waitcnt lgkmcnt(0)
	global_store_b64 v[41:42], v[39:40], off
	s_or_b32 exec_lo, exec_lo, s17
	s_and_saveexec_b32 s17, s27
	s_cbranch_execnz .LBB637_1191
.LBB637_1176:                           ;   in Loop: Header=BB637_990 Depth=2
	s_or_b32 exec_lo, exec_lo, s17
	s_and_saveexec_b32 s17, s28
	s_cbranch_execz .LBB637_1192
.LBB637_1177:                           ;   in Loop: Header=BB637_990 Depth=2
	v_lshlrev_b32_e32 v2, 2, v134
	ds_load_b32 v2, v2
	ds_load_b64 v[39:40], v36 offset:24576
	s_waitcnt lgkmcnt(1)
	v_add_nc_u32_e32 v2, v2, v59
	s_delay_alu instid0(VALU_DEP_1) | instskip(NEXT) | instid1(VALU_DEP_1)
	v_lshlrev_b64 v[41:42], 3, v[2:3]
	v_add_co_u32 v41, vcc_lo, s54, v41
	s_delay_alu instid0(VALU_DEP_2)
	v_add_co_ci_u32_e32 v42, vcc_lo, s55, v42, vcc_lo
	s_waitcnt lgkmcnt(0)
	global_store_b64 v[41:42], v[39:40], off
	s_or_b32 exec_lo, exec_lo, s17
	s_and_saveexec_b32 s17, s29
	s_cbranch_execnz .LBB637_1193
.LBB637_1178:                           ;   in Loop: Header=BB637_990 Depth=2
	s_or_b32 exec_lo, exec_lo, s17
	s_and_saveexec_b32 s17, s30
	s_cbranch_execz .LBB637_1194
.LBB637_1179:                           ;   in Loop: Header=BB637_990 Depth=2
	v_lshlrev_b32_e32 v2, 2, v132
	ds_load_b32 v2, v2
	ds_load_b64 v[39:40], v36 offset:28672
	s_waitcnt lgkmcnt(1)
	v_add_nc_u32_e32 v2, v2, v61
	s_delay_alu instid0(VALU_DEP_1) | instskip(NEXT) | instid1(VALU_DEP_1)
	v_lshlrev_b64 v[41:42], 3, v[2:3]
	v_add_co_u32 v41, vcc_lo, s54, v41
	s_delay_alu instid0(VALU_DEP_2)
	v_add_co_ci_u32_e32 v42, vcc_lo, s55, v42, vcc_lo
	s_waitcnt lgkmcnt(0)
	global_store_b64 v[41:42], v[39:40], off
	s_or_b32 exec_lo, exec_lo, s17
	s_and_saveexec_b32 s17, s31
	s_cbranch_execnz .LBB637_1195
	s_branch .LBB637_1196
.LBB637_1180:                           ;   in Loop: Header=BB637_990 Depth=2
	s_or_b32 exec_lo, exec_lo, s33
	v_add_nc_u32_e32 v36, v78, v44
	s_and_saveexec_b32 s33, s17
	s_cbranch_execz .LBB637_1166
.LBB637_1181:                           ;   in Loop: Header=BB637_990 Depth=2
	v_lshlrev_b32_e32 v2, 2, v145
	ds_load_b32 v2, v2
	ds_load_b64 v[39:40], v36 offset:2048
	s_waitcnt lgkmcnt(1)
	v_add_nc_u32_e32 v2, v2, v45
	s_delay_alu instid0(VALU_DEP_1) | instskip(NEXT) | instid1(VALU_DEP_1)
	v_lshlrev_b64 v[41:42], 3, v[2:3]
	v_add_co_u32 v41, vcc_lo, s54, v41
	s_delay_alu instid0(VALU_DEP_2)
	v_add_co_ci_u32_e32 v42, vcc_lo, s55, v42, vcc_lo
	s_waitcnt lgkmcnt(0)
	global_store_b64 v[41:42], v[39:40], off
	s_or_b32 exec_lo, exec_lo, s33
	s_and_saveexec_b32 s17, s18
	s_cbranch_execnz .LBB637_1167
.LBB637_1182:                           ;   in Loop: Header=BB637_990 Depth=2
	s_or_b32 exec_lo, exec_lo, s17
	s_and_saveexec_b32 s17, s19
	s_cbranch_execz .LBB637_1168
.LBB637_1183:                           ;   in Loop: Header=BB637_990 Depth=2
	v_lshlrev_b32_e32 v2, 2, v143
	ds_load_b32 v2, v2
	ds_load_b64 v[39:40], v36 offset:6144
	s_waitcnt lgkmcnt(1)
	v_add_nc_u32_e32 v2, v2, v47
	s_delay_alu instid0(VALU_DEP_1) | instskip(NEXT) | instid1(VALU_DEP_1)
	v_lshlrev_b64 v[41:42], 3, v[2:3]
	v_add_co_u32 v41, vcc_lo, s54, v41
	s_delay_alu instid0(VALU_DEP_2)
	v_add_co_ci_u32_e32 v42, vcc_lo, s55, v42, vcc_lo
	s_waitcnt lgkmcnt(0)
	global_store_b64 v[41:42], v[39:40], off
	s_or_b32 exec_lo, exec_lo, s17
	s_and_saveexec_b32 s17, s20
	s_cbranch_execnz .LBB637_1169
.LBB637_1184:                           ;   in Loop: Header=BB637_990 Depth=2
	s_or_b32 exec_lo, exec_lo, s17
	s_and_saveexec_b32 s17, s21
	s_cbranch_execz .LBB637_1170
.LBB637_1185:                           ;   in Loop: Header=BB637_990 Depth=2
	v_lshlrev_b32_e32 v2, 2, v141
	ds_load_b32 v2, v2
	ds_load_b64 v[39:40], v36 offset:10240
	s_waitcnt lgkmcnt(1)
	v_add_nc_u32_e32 v2, v2, v52
	s_delay_alu instid0(VALU_DEP_1) | instskip(NEXT) | instid1(VALU_DEP_1)
	v_lshlrev_b64 v[41:42], 3, v[2:3]
	v_add_co_u32 v41, vcc_lo, s54, v41
	s_delay_alu instid0(VALU_DEP_2)
	v_add_co_ci_u32_e32 v42, vcc_lo, s55, v42, vcc_lo
	s_waitcnt lgkmcnt(0)
	global_store_b64 v[41:42], v[39:40], off
	s_or_b32 exec_lo, exec_lo, s17
	s_and_saveexec_b32 s17, s22
	s_cbranch_execnz .LBB637_1171
.LBB637_1186:                           ;   in Loop: Header=BB637_990 Depth=2
	s_or_b32 exec_lo, exec_lo, s17
	s_and_saveexec_b32 s17, s23
	s_cbranch_execz .LBB637_1172
.LBB637_1187:                           ;   in Loop: Header=BB637_990 Depth=2
	v_lshlrev_b32_e32 v2, 2, v139
	ds_load_b32 v2, v2
	ds_load_b64 v[39:40], v36 offset:14336
	s_waitcnt lgkmcnt(1)
	v_add_nc_u32_e32 v2, v2, v54
	s_delay_alu instid0(VALU_DEP_1) | instskip(NEXT) | instid1(VALU_DEP_1)
	v_lshlrev_b64 v[41:42], 3, v[2:3]
	v_add_co_u32 v41, vcc_lo, s54, v41
	s_delay_alu instid0(VALU_DEP_2)
	v_add_co_ci_u32_e32 v42, vcc_lo, s55, v42, vcc_lo
	s_waitcnt lgkmcnt(0)
	global_store_b64 v[41:42], v[39:40], off
	s_or_b32 exec_lo, exec_lo, s17
	s_and_saveexec_b32 s17, s24
	s_cbranch_execnz .LBB637_1173
.LBB637_1188:                           ;   in Loop: Header=BB637_990 Depth=2
	s_or_b32 exec_lo, exec_lo, s17
	s_and_saveexec_b32 s17, s25
	s_cbranch_execz .LBB637_1174
.LBB637_1189:                           ;   in Loop: Header=BB637_990 Depth=2
	v_lshlrev_b32_e32 v2, 2, v137
	ds_load_b32 v2, v2
	ds_load_b64 v[39:40], v36 offset:18432
	s_waitcnt lgkmcnt(1)
	v_add_nc_u32_e32 v2, v2, v56
	s_delay_alu instid0(VALU_DEP_1) | instskip(NEXT) | instid1(VALU_DEP_1)
	v_lshlrev_b64 v[41:42], 3, v[2:3]
	v_add_co_u32 v41, vcc_lo, s54, v41
	s_delay_alu instid0(VALU_DEP_2)
	v_add_co_ci_u32_e32 v42, vcc_lo, s55, v42, vcc_lo
	s_waitcnt lgkmcnt(0)
	global_store_b64 v[41:42], v[39:40], off
	s_or_b32 exec_lo, exec_lo, s17
	s_and_saveexec_b32 s17, s26
	s_cbranch_execnz .LBB637_1175
.LBB637_1190:                           ;   in Loop: Header=BB637_990 Depth=2
	s_or_b32 exec_lo, exec_lo, s17
	s_and_saveexec_b32 s17, s27
	s_cbranch_execz .LBB637_1176
.LBB637_1191:                           ;   in Loop: Header=BB637_990 Depth=2
	v_lshlrev_b32_e32 v2, 2, v135
	ds_load_b32 v2, v2
	ds_load_b64 v[39:40], v36 offset:22528
	s_waitcnt lgkmcnt(1)
	v_add_nc_u32_e32 v2, v2, v58
	s_delay_alu instid0(VALU_DEP_1) | instskip(NEXT) | instid1(VALU_DEP_1)
	v_lshlrev_b64 v[41:42], 3, v[2:3]
	v_add_co_u32 v41, vcc_lo, s54, v41
	s_delay_alu instid0(VALU_DEP_2)
	v_add_co_ci_u32_e32 v42, vcc_lo, s55, v42, vcc_lo
	s_waitcnt lgkmcnt(0)
	global_store_b64 v[41:42], v[39:40], off
	s_or_b32 exec_lo, exec_lo, s17
	s_and_saveexec_b32 s17, s28
	s_cbranch_execnz .LBB637_1177
.LBB637_1192:                           ;   in Loop: Header=BB637_990 Depth=2
	s_or_b32 exec_lo, exec_lo, s17
	s_and_saveexec_b32 s17, s29
	s_cbranch_execz .LBB637_1178
.LBB637_1193:                           ;   in Loop: Header=BB637_990 Depth=2
	v_lshlrev_b32_e32 v2, 2, v133
	ds_load_b32 v2, v2
	ds_load_b64 v[39:40], v36 offset:26624
	s_waitcnt lgkmcnt(1)
	v_add_nc_u32_e32 v2, v2, v60
	s_delay_alu instid0(VALU_DEP_1) | instskip(NEXT) | instid1(VALU_DEP_1)
	v_lshlrev_b64 v[41:42], 3, v[2:3]
	v_add_co_u32 v41, vcc_lo, s54, v41
	s_delay_alu instid0(VALU_DEP_2)
	v_add_co_ci_u32_e32 v42, vcc_lo, s55, v42, vcc_lo
	s_waitcnt lgkmcnt(0)
	global_store_b64 v[41:42], v[39:40], off
	s_or_b32 exec_lo, exec_lo, s17
	s_and_saveexec_b32 s17, s30
	s_cbranch_execnz .LBB637_1179
.LBB637_1194:                           ;   in Loop: Header=BB637_990 Depth=2
	s_or_b32 exec_lo, exec_lo, s17
	s_and_saveexec_b32 s17, s31
	s_cbranch_execz .LBB637_1196
.LBB637_1195:                           ;   in Loop: Header=BB637_990 Depth=2
	v_lshlrev_b32_e32 v2, 2, v131
	ds_load_b32 v2, v2
	ds_load_b64 v[36:37], v36 offset:30720
	s_waitcnt lgkmcnt(1)
	v_add_nc_u32_e32 v2, v2, v63
	s_delay_alu instid0(VALU_DEP_1) | instskip(NEXT) | instid1(VALU_DEP_1)
	v_lshlrev_b64 v[39:40], 3, v[2:3]
	v_add_co_u32 v39, vcc_lo, s54, v39
	s_delay_alu instid0(VALU_DEP_2)
	v_add_co_ci_u32_e32 v40, vcc_lo, s55, v40, vcc_lo
	s_waitcnt lgkmcnt(0)
	global_store_b64 v[39:40], v[36:37], off
.LBB637_1196:                           ;   in Loop: Header=BB637_990 Depth=2
	s_or_b32 exec_lo, exec_lo, s17
	s_waitcnt_vscnt null, 0x0
	s_barrier
	buffer_gl0_inv
	s_and_saveexec_b32 s17, s2
	s_cbranch_execz .LBB637_989
; %bb.1197:                             ;   in Loop: Header=BB637_990 Depth=2
	ds_load_b32 v2, v44
	s_waitcnt lgkmcnt(0)
	v_add_nc_u32_e32 v2, v2, v38
	ds_store_b32 v44, v2
	s_branch .LBB637_989
.LBB637_1198:
	s_endpgm
	.section	.rodata,"a",@progbits
	.p2align	6, 0x0
	.amdhsa_kernel _ZN7rocprim17ROCPRIM_400000_NS6detail17trampoline_kernelINS0_14default_configENS1_36segmented_radix_sort_config_selectorIilEEZNS1_25segmented_radix_sort_implIS3_Lb0EPKiPiPKlPlN2at6native12_GLOBAL__N_18offset_tEEE10hipError_tPvRmT1_PNSt15iterator_traitsISK_E10value_typeET2_T3_PNSL_ISQ_E10value_typeET4_jRbjT5_SW_jjP12ihipStream_tbEUlT_E2_NS1_11comp_targetILNS1_3genE9ELNS1_11target_archE1100ELNS1_3gpuE3ELNS1_3repE0EEENS1_30default_config_static_selectorELNS0_4arch9wavefront6targetE0EEEvSK_
		.amdhsa_group_segment_fixed_size 33824
		.amdhsa_private_segment_fixed_size 352
		.amdhsa_kernarg_size 336
		.amdhsa_user_sgpr_count 14
		.amdhsa_user_sgpr_dispatch_ptr 0
		.amdhsa_user_sgpr_queue_ptr 0
		.amdhsa_user_sgpr_kernarg_segment_ptr 1
		.amdhsa_user_sgpr_dispatch_id 0
		.amdhsa_user_sgpr_private_segment_size 0
		.amdhsa_wavefront_size32 1
		.amdhsa_uses_dynamic_stack 0
		.amdhsa_enable_private_segment 1
		.amdhsa_system_sgpr_workgroup_id_x 1
		.amdhsa_system_sgpr_workgroup_id_y 1
		.amdhsa_system_sgpr_workgroup_id_z 0
		.amdhsa_system_sgpr_workgroup_info 0
		.amdhsa_system_vgpr_workitem_id 2
		.amdhsa_next_free_vgpr 248
		.amdhsa_next_free_sgpr 63
		.amdhsa_reserve_vcc 1
		.amdhsa_float_round_mode_32 0
		.amdhsa_float_round_mode_16_64 0
		.amdhsa_float_denorm_mode_32 3
		.amdhsa_float_denorm_mode_16_64 3
		.amdhsa_dx10_clamp 1
		.amdhsa_ieee_mode 1
		.amdhsa_fp16_overflow 0
		.amdhsa_workgroup_processor_mode 1
		.amdhsa_memory_ordered 1
		.amdhsa_forward_progress 0
		.amdhsa_shared_vgpr_count 0
		.amdhsa_exception_fp_ieee_invalid_op 0
		.amdhsa_exception_fp_denorm_src 0
		.amdhsa_exception_fp_ieee_div_zero 0
		.amdhsa_exception_fp_ieee_overflow 0
		.amdhsa_exception_fp_ieee_underflow 0
		.amdhsa_exception_fp_ieee_inexact 0
		.amdhsa_exception_int_div_zero 0
	.end_amdhsa_kernel
	.section	.text._ZN7rocprim17ROCPRIM_400000_NS6detail17trampoline_kernelINS0_14default_configENS1_36segmented_radix_sort_config_selectorIilEEZNS1_25segmented_radix_sort_implIS3_Lb0EPKiPiPKlPlN2at6native12_GLOBAL__N_18offset_tEEE10hipError_tPvRmT1_PNSt15iterator_traitsISK_E10value_typeET2_T3_PNSL_ISQ_E10value_typeET4_jRbjT5_SW_jjP12ihipStream_tbEUlT_E2_NS1_11comp_targetILNS1_3genE9ELNS1_11target_archE1100ELNS1_3gpuE3ELNS1_3repE0EEENS1_30default_config_static_selectorELNS0_4arch9wavefront6targetE0EEEvSK_,"axG",@progbits,_ZN7rocprim17ROCPRIM_400000_NS6detail17trampoline_kernelINS0_14default_configENS1_36segmented_radix_sort_config_selectorIilEEZNS1_25segmented_radix_sort_implIS3_Lb0EPKiPiPKlPlN2at6native12_GLOBAL__N_18offset_tEEE10hipError_tPvRmT1_PNSt15iterator_traitsISK_E10value_typeET2_T3_PNSL_ISQ_E10value_typeET4_jRbjT5_SW_jjP12ihipStream_tbEUlT_E2_NS1_11comp_targetILNS1_3genE9ELNS1_11target_archE1100ELNS1_3gpuE3ELNS1_3repE0EEENS1_30default_config_static_selectorELNS0_4arch9wavefront6targetE0EEEvSK_,comdat
.Lfunc_end637:
	.size	_ZN7rocprim17ROCPRIM_400000_NS6detail17trampoline_kernelINS0_14default_configENS1_36segmented_radix_sort_config_selectorIilEEZNS1_25segmented_radix_sort_implIS3_Lb0EPKiPiPKlPlN2at6native12_GLOBAL__N_18offset_tEEE10hipError_tPvRmT1_PNSt15iterator_traitsISK_E10value_typeET2_T3_PNSL_ISQ_E10value_typeET4_jRbjT5_SW_jjP12ihipStream_tbEUlT_E2_NS1_11comp_targetILNS1_3genE9ELNS1_11target_archE1100ELNS1_3gpuE3ELNS1_3repE0EEENS1_30default_config_static_selectorELNS0_4arch9wavefront6targetE0EEEvSK_, .Lfunc_end637-_ZN7rocprim17ROCPRIM_400000_NS6detail17trampoline_kernelINS0_14default_configENS1_36segmented_radix_sort_config_selectorIilEEZNS1_25segmented_radix_sort_implIS3_Lb0EPKiPiPKlPlN2at6native12_GLOBAL__N_18offset_tEEE10hipError_tPvRmT1_PNSt15iterator_traitsISK_E10value_typeET2_T3_PNSL_ISQ_E10value_typeET4_jRbjT5_SW_jjP12ihipStream_tbEUlT_E2_NS1_11comp_targetILNS1_3genE9ELNS1_11target_archE1100ELNS1_3gpuE3ELNS1_3repE0EEENS1_30default_config_static_selectorELNS0_4arch9wavefront6targetE0EEEvSK_
                                        ; -- End function
	.section	.AMDGPU.csdata,"",@progbits
; Kernel info:
; codeLenInByte = 68428
; NumSgprs: 65
; NumVgprs: 248
; ScratchSize: 352
; MemoryBound: 0
; FloatMode: 240
; IeeeMode: 1
; LDSByteSize: 33824 bytes/workgroup (compile time only)
; SGPRBlocks: 8
; VGPRBlocks: 30
; NumSGPRsForWavesPerEU: 65
; NumVGPRsForWavesPerEU: 248
; Occupancy: 5
; WaveLimiterHint : 1
; COMPUTE_PGM_RSRC2:SCRATCH_EN: 1
; COMPUTE_PGM_RSRC2:USER_SGPR: 14
; COMPUTE_PGM_RSRC2:TRAP_HANDLER: 0
; COMPUTE_PGM_RSRC2:TGID_X_EN: 1
; COMPUTE_PGM_RSRC2:TGID_Y_EN: 1
; COMPUTE_PGM_RSRC2:TGID_Z_EN: 0
; COMPUTE_PGM_RSRC2:TIDIG_COMP_CNT: 2
	.section	.text._ZN7rocprim17ROCPRIM_400000_NS6detail17trampoline_kernelINS0_14default_configENS1_36segmented_radix_sort_config_selectorIilEEZNS1_25segmented_radix_sort_implIS3_Lb0EPKiPiPKlPlN2at6native12_GLOBAL__N_18offset_tEEE10hipError_tPvRmT1_PNSt15iterator_traitsISK_E10value_typeET2_T3_PNSL_ISQ_E10value_typeET4_jRbjT5_SW_jjP12ihipStream_tbEUlT_E2_NS1_11comp_targetILNS1_3genE8ELNS1_11target_archE1030ELNS1_3gpuE2ELNS1_3repE0EEENS1_30default_config_static_selectorELNS0_4arch9wavefront6targetE0EEEvSK_,"axG",@progbits,_ZN7rocprim17ROCPRIM_400000_NS6detail17trampoline_kernelINS0_14default_configENS1_36segmented_radix_sort_config_selectorIilEEZNS1_25segmented_radix_sort_implIS3_Lb0EPKiPiPKlPlN2at6native12_GLOBAL__N_18offset_tEEE10hipError_tPvRmT1_PNSt15iterator_traitsISK_E10value_typeET2_T3_PNSL_ISQ_E10value_typeET4_jRbjT5_SW_jjP12ihipStream_tbEUlT_E2_NS1_11comp_targetILNS1_3genE8ELNS1_11target_archE1030ELNS1_3gpuE2ELNS1_3repE0EEENS1_30default_config_static_selectorELNS0_4arch9wavefront6targetE0EEEvSK_,comdat
	.globl	_ZN7rocprim17ROCPRIM_400000_NS6detail17trampoline_kernelINS0_14default_configENS1_36segmented_radix_sort_config_selectorIilEEZNS1_25segmented_radix_sort_implIS3_Lb0EPKiPiPKlPlN2at6native12_GLOBAL__N_18offset_tEEE10hipError_tPvRmT1_PNSt15iterator_traitsISK_E10value_typeET2_T3_PNSL_ISQ_E10value_typeET4_jRbjT5_SW_jjP12ihipStream_tbEUlT_E2_NS1_11comp_targetILNS1_3genE8ELNS1_11target_archE1030ELNS1_3gpuE2ELNS1_3repE0EEENS1_30default_config_static_selectorELNS0_4arch9wavefront6targetE0EEEvSK_ ; -- Begin function _ZN7rocprim17ROCPRIM_400000_NS6detail17trampoline_kernelINS0_14default_configENS1_36segmented_radix_sort_config_selectorIilEEZNS1_25segmented_radix_sort_implIS3_Lb0EPKiPiPKlPlN2at6native12_GLOBAL__N_18offset_tEEE10hipError_tPvRmT1_PNSt15iterator_traitsISK_E10value_typeET2_T3_PNSL_ISQ_E10value_typeET4_jRbjT5_SW_jjP12ihipStream_tbEUlT_E2_NS1_11comp_targetILNS1_3genE8ELNS1_11target_archE1030ELNS1_3gpuE2ELNS1_3repE0EEENS1_30default_config_static_selectorELNS0_4arch9wavefront6targetE0EEEvSK_
	.p2align	8
	.type	_ZN7rocprim17ROCPRIM_400000_NS6detail17trampoline_kernelINS0_14default_configENS1_36segmented_radix_sort_config_selectorIilEEZNS1_25segmented_radix_sort_implIS3_Lb0EPKiPiPKlPlN2at6native12_GLOBAL__N_18offset_tEEE10hipError_tPvRmT1_PNSt15iterator_traitsISK_E10value_typeET2_T3_PNSL_ISQ_E10value_typeET4_jRbjT5_SW_jjP12ihipStream_tbEUlT_E2_NS1_11comp_targetILNS1_3genE8ELNS1_11target_archE1030ELNS1_3gpuE2ELNS1_3repE0EEENS1_30default_config_static_selectorELNS0_4arch9wavefront6targetE0EEEvSK_,@function
_ZN7rocprim17ROCPRIM_400000_NS6detail17trampoline_kernelINS0_14default_configENS1_36segmented_radix_sort_config_selectorIilEEZNS1_25segmented_radix_sort_implIS3_Lb0EPKiPiPKlPlN2at6native12_GLOBAL__N_18offset_tEEE10hipError_tPvRmT1_PNSt15iterator_traitsISK_E10value_typeET2_T3_PNSL_ISQ_E10value_typeET4_jRbjT5_SW_jjP12ihipStream_tbEUlT_E2_NS1_11comp_targetILNS1_3genE8ELNS1_11target_archE1030ELNS1_3gpuE2ELNS1_3repE0EEENS1_30default_config_static_selectorELNS0_4arch9wavefront6targetE0EEEvSK_: ; @_ZN7rocprim17ROCPRIM_400000_NS6detail17trampoline_kernelINS0_14default_configENS1_36segmented_radix_sort_config_selectorIilEEZNS1_25segmented_radix_sort_implIS3_Lb0EPKiPiPKlPlN2at6native12_GLOBAL__N_18offset_tEEE10hipError_tPvRmT1_PNSt15iterator_traitsISK_E10value_typeET2_T3_PNSL_ISQ_E10value_typeET4_jRbjT5_SW_jjP12ihipStream_tbEUlT_E2_NS1_11comp_targetILNS1_3genE8ELNS1_11target_archE1030ELNS1_3gpuE2ELNS1_3repE0EEENS1_30default_config_static_selectorELNS0_4arch9wavefront6targetE0EEEvSK_
; %bb.0:
	.section	.rodata,"a",@progbits
	.p2align	6, 0x0
	.amdhsa_kernel _ZN7rocprim17ROCPRIM_400000_NS6detail17trampoline_kernelINS0_14default_configENS1_36segmented_radix_sort_config_selectorIilEEZNS1_25segmented_radix_sort_implIS3_Lb0EPKiPiPKlPlN2at6native12_GLOBAL__N_18offset_tEEE10hipError_tPvRmT1_PNSt15iterator_traitsISK_E10value_typeET2_T3_PNSL_ISQ_E10value_typeET4_jRbjT5_SW_jjP12ihipStream_tbEUlT_E2_NS1_11comp_targetILNS1_3genE8ELNS1_11target_archE1030ELNS1_3gpuE2ELNS1_3repE0EEENS1_30default_config_static_selectorELNS0_4arch9wavefront6targetE0EEEvSK_
		.amdhsa_group_segment_fixed_size 0
		.amdhsa_private_segment_fixed_size 0
		.amdhsa_kernarg_size 80
		.amdhsa_user_sgpr_count 15
		.amdhsa_user_sgpr_dispatch_ptr 0
		.amdhsa_user_sgpr_queue_ptr 0
		.amdhsa_user_sgpr_kernarg_segment_ptr 1
		.amdhsa_user_sgpr_dispatch_id 0
		.amdhsa_user_sgpr_private_segment_size 0
		.amdhsa_wavefront_size32 1
		.amdhsa_uses_dynamic_stack 0
		.amdhsa_enable_private_segment 0
		.amdhsa_system_sgpr_workgroup_id_x 1
		.amdhsa_system_sgpr_workgroup_id_y 0
		.amdhsa_system_sgpr_workgroup_id_z 0
		.amdhsa_system_sgpr_workgroup_info 0
		.amdhsa_system_vgpr_workitem_id 0
		.amdhsa_next_free_vgpr 1
		.amdhsa_next_free_sgpr 1
		.amdhsa_reserve_vcc 0
		.amdhsa_float_round_mode_32 0
		.amdhsa_float_round_mode_16_64 0
		.amdhsa_float_denorm_mode_32 3
		.amdhsa_float_denorm_mode_16_64 3
		.amdhsa_dx10_clamp 1
		.amdhsa_ieee_mode 1
		.amdhsa_fp16_overflow 0
		.amdhsa_workgroup_processor_mode 1
		.amdhsa_memory_ordered 1
		.amdhsa_forward_progress 0
		.amdhsa_shared_vgpr_count 0
		.amdhsa_exception_fp_ieee_invalid_op 0
		.amdhsa_exception_fp_denorm_src 0
		.amdhsa_exception_fp_ieee_div_zero 0
		.amdhsa_exception_fp_ieee_overflow 0
		.amdhsa_exception_fp_ieee_underflow 0
		.amdhsa_exception_fp_ieee_inexact 0
		.amdhsa_exception_int_div_zero 0
	.end_amdhsa_kernel
	.section	.text._ZN7rocprim17ROCPRIM_400000_NS6detail17trampoline_kernelINS0_14default_configENS1_36segmented_radix_sort_config_selectorIilEEZNS1_25segmented_radix_sort_implIS3_Lb0EPKiPiPKlPlN2at6native12_GLOBAL__N_18offset_tEEE10hipError_tPvRmT1_PNSt15iterator_traitsISK_E10value_typeET2_T3_PNSL_ISQ_E10value_typeET4_jRbjT5_SW_jjP12ihipStream_tbEUlT_E2_NS1_11comp_targetILNS1_3genE8ELNS1_11target_archE1030ELNS1_3gpuE2ELNS1_3repE0EEENS1_30default_config_static_selectorELNS0_4arch9wavefront6targetE0EEEvSK_,"axG",@progbits,_ZN7rocprim17ROCPRIM_400000_NS6detail17trampoline_kernelINS0_14default_configENS1_36segmented_radix_sort_config_selectorIilEEZNS1_25segmented_radix_sort_implIS3_Lb0EPKiPiPKlPlN2at6native12_GLOBAL__N_18offset_tEEE10hipError_tPvRmT1_PNSt15iterator_traitsISK_E10value_typeET2_T3_PNSL_ISQ_E10value_typeET4_jRbjT5_SW_jjP12ihipStream_tbEUlT_E2_NS1_11comp_targetILNS1_3genE8ELNS1_11target_archE1030ELNS1_3gpuE2ELNS1_3repE0EEENS1_30default_config_static_selectorELNS0_4arch9wavefront6targetE0EEEvSK_,comdat
.Lfunc_end638:
	.size	_ZN7rocprim17ROCPRIM_400000_NS6detail17trampoline_kernelINS0_14default_configENS1_36segmented_radix_sort_config_selectorIilEEZNS1_25segmented_radix_sort_implIS3_Lb0EPKiPiPKlPlN2at6native12_GLOBAL__N_18offset_tEEE10hipError_tPvRmT1_PNSt15iterator_traitsISK_E10value_typeET2_T3_PNSL_ISQ_E10value_typeET4_jRbjT5_SW_jjP12ihipStream_tbEUlT_E2_NS1_11comp_targetILNS1_3genE8ELNS1_11target_archE1030ELNS1_3gpuE2ELNS1_3repE0EEENS1_30default_config_static_selectorELNS0_4arch9wavefront6targetE0EEEvSK_, .Lfunc_end638-_ZN7rocprim17ROCPRIM_400000_NS6detail17trampoline_kernelINS0_14default_configENS1_36segmented_radix_sort_config_selectorIilEEZNS1_25segmented_radix_sort_implIS3_Lb0EPKiPiPKlPlN2at6native12_GLOBAL__N_18offset_tEEE10hipError_tPvRmT1_PNSt15iterator_traitsISK_E10value_typeET2_T3_PNSL_ISQ_E10value_typeET4_jRbjT5_SW_jjP12ihipStream_tbEUlT_E2_NS1_11comp_targetILNS1_3genE8ELNS1_11target_archE1030ELNS1_3gpuE2ELNS1_3repE0EEENS1_30default_config_static_selectorELNS0_4arch9wavefront6targetE0EEEvSK_
                                        ; -- End function
	.section	.AMDGPU.csdata,"",@progbits
; Kernel info:
; codeLenInByte = 0
; NumSgprs: 0
; NumVgprs: 0
; ScratchSize: 0
; MemoryBound: 0
; FloatMode: 240
; IeeeMode: 1
; LDSByteSize: 0 bytes/workgroup (compile time only)
; SGPRBlocks: 0
; VGPRBlocks: 0
; NumSGPRsForWavesPerEU: 1
; NumVGPRsForWavesPerEU: 1
; Occupancy: 16
; WaveLimiterHint : 0
; COMPUTE_PGM_RSRC2:SCRATCH_EN: 0
; COMPUTE_PGM_RSRC2:USER_SGPR: 15
; COMPUTE_PGM_RSRC2:TRAP_HANDLER: 0
; COMPUTE_PGM_RSRC2:TGID_X_EN: 1
; COMPUTE_PGM_RSRC2:TGID_Y_EN: 0
; COMPUTE_PGM_RSRC2:TGID_Z_EN: 0
; COMPUTE_PGM_RSRC2:TIDIG_COMP_CNT: 0
	.section	.text._ZN2at6native12_GLOBAL__N_123sort_postprocess_kernelIlEEvPKT_PS3_PlPK15HIP_vector_typeIiLj2EEii,"axG",@progbits,_ZN2at6native12_GLOBAL__N_123sort_postprocess_kernelIlEEvPKT_PS3_PlPK15HIP_vector_typeIiLj2EEii,comdat
	.globl	_ZN2at6native12_GLOBAL__N_123sort_postprocess_kernelIlEEvPKT_PS3_PlPK15HIP_vector_typeIiLj2EEii ; -- Begin function _ZN2at6native12_GLOBAL__N_123sort_postprocess_kernelIlEEvPKT_PS3_PlPK15HIP_vector_typeIiLj2EEii
	.p2align	8
	.type	_ZN2at6native12_GLOBAL__N_123sort_postprocess_kernelIlEEvPKT_PS3_PlPK15HIP_vector_typeIiLj2EEii,@function
_ZN2at6native12_GLOBAL__N_123sort_postprocess_kernelIlEEvPKT_PS3_PlPK15HIP_vector_typeIiLj2EEii: ; @_ZN2at6native12_GLOBAL__N_123sort_postprocess_kernelIlEEvPKT_PS3_PlPK15HIP_vector_typeIiLj2EEii
; %bb.0:
	s_clause 0x1
	s_load_b32 s2, s[0:1], 0x34
	s_load_b64 s[6:7], s[0:1], 0x20
	v_mov_b32_e32 v1, 0
	s_add_u32 s4, s0, 40
	s_addc_u32 s5, s1, 0
	s_waitcnt lgkmcnt(0)
	s_and_b32 s13, s2, 0xffff
	s_mul_i32 s2, s7, s6
	v_mad_u64_u32 v[2:3], null, s13, s15, v[0:1]
	s_ashr_i32 s3, s2, 31
	s_mov_b32 s6, exec_lo
	s_delay_alu instid0(VALU_DEP_1)
	v_cmpx_gt_i64_e64 s[2:3], v[2:3]
	s_cbranch_execz .LBB639_3
; %bb.1:
	s_abs_i32 s12, s7
	s_load_b32 s14, s[4:5], 0x0
	v_cvt_f32_u32_e32 v0, s12
	s_sub_i32 s4, 0, s12
	s_delay_alu instid0(VALU_DEP_1) | instskip(SKIP_2) | instid1(VALU_DEP_1)
	v_rcp_iflag_f32_e32 v0, v0
	s_waitcnt_depctr 0xfff
	v_mul_f32_e32 v0, 0x4f7ffffe, v0
	v_cvt_u32_f32_e32 v0, v0
	s_delay_alu instid0(VALU_DEP_1) | instskip(SKIP_4) | instid1(VALU_DEP_1)
	v_mul_lo_u32 v1, s4, v0
	s_load_b256 s[4:11], s[0:1], 0x0
	s_waitcnt lgkmcnt(0)
	s_mul_i32 s1, s14, s13
	s_mov_b32 s13, 0
	v_mul_hi_u32 v1, v0, v1
	s_delay_alu instid0(VALU_DEP_1)
	v_add_nc_u32_e32 v0, v0, v1
.LBB639_2:                              ; =>This Inner Loop Header: Depth=1
	v_sub_nc_u32_e32 v1, 0, v2
	v_ashrrev_i32_e32 v5, 31, v2
	s_delay_alu instid0(VALU_DEP_2) | instskip(NEXT) | instid1(VALU_DEP_1)
	v_max_i32_e32 v1, v2, v1
	v_mul_hi_u32 v4, v1, v0
	s_delay_alu instid0(VALU_DEP_1) | instskip(NEXT) | instid1(VALU_DEP_1)
	v_mul_lo_u32 v4, v4, s12
	v_sub_nc_u32_e32 v1, v1, v4
	s_delay_alu instid0(VALU_DEP_1) | instskip(SKIP_1) | instid1(VALU_DEP_2)
	v_subrev_nc_u32_e32 v4, s12, v1
	v_cmp_le_u32_e32 vcc_lo, s12, v1
	v_dual_cndmask_b32 v1, v1, v4 :: v_dual_add_nc_u32 v6, v2, v5
	s_delay_alu instid0(VALU_DEP_1) | instskip(SKIP_1) | instid1(VALU_DEP_2)
	v_subrev_nc_u32_e32 v4, s12, v1
	v_cmp_le_u32_e32 vcc_lo, s12, v1
	v_cndmask_b32_e32 v1, v1, v4, vcc_lo
	s_delay_alu instid0(VALU_DEP_1) | instskip(NEXT) | instid1(VALU_DEP_1)
	v_xor_b32_e32 v1, v1, v5
	v_sub_nc_u32_e32 v4, v6, v1
	v_sub_nc_u32_e32 v6, v1, v5
	s_delay_alu instid0(VALU_DEP_2) | instskip(NEXT) | instid1(VALU_DEP_2)
	v_ashrrev_i32_e32 v5, 31, v4
	v_ashrrev_i32_e32 v7, 31, v6
	s_delay_alu instid0(VALU_DEP_2) | instskip(NEXT) | instid1(VALU_DEP_2)
	v_lshlrev_b64 v[4:5], 3, v[4:5]
	v_lshlrev_b64 v[6:7], 3, v[6:7]
	s_delay_alu instid0(VALU_DEP_2) | instskip(NEXT) | instid1(VALU_DEP_3)
	v_add_co_u32 v1, vcc_lo, s10, v4
	v_add_co_ci_u32_e32 v9, vcc_lo, s11, v5, vcc_lo
	s_delay_alu instid0(VALU_DEP_2) | instskip(NEXT) | instid1(VALU_DEP_2)
	v_add_co_u32 v8, vcc_lo, v1, v6
	v_add_co_ci_u32_e32 v9, vcc_lo, v9, v7, vcc_lo
	v_add_co_u32 v1, vcc_lo, s4, v4
	v_add_co_ci_u32_e32 v14, vcc_lo, s5, v5, vcc_lo
	global_load_b32 v8, v[8:9], off offset:4
	v_add_co_u32 v10, vcc_lo, s8, v4
	v_add_co_ci_u32_e32 v11, vcc_lo, s9, v5, vcc_lo
	s_delay_alu instid0(VALU_DEP_2) | instskip(NEXT) | instid1(VALU_DEP_2)
	v_add_co_u32 v10, vcc_lo, v10, v6
	v_add_co_ci_u32_e32 v11, vcc_lo, v11, v7, vcc_lo
	s_waitcnt vmcnt(0)
	v_ashrrev_i32_e32 v9, 31, v8
	s_delay_alu instid0(VALU_DEP_1)
	v_lshlrev_b64 v[12:13], 3, v[8:9]
	global_store_b64 v[10:11], v[8:9], off
	v_add_co_u32 v12, vcc_lo, v1, v12
	v_add_co_ci_u32_e32 v13, vcc_lo, v14, v13, vcc_lo
	v_add_co_u32 v2, vcc_lo, v2, s1
	v_add_co_ci_u32_e32 v3, vcc_lo, 0, v3, vcc_lo
	global_load_b64 v[8:9], v[12:13], off
	v_add_co_u32 v1, vcc_lo, s6, v4
	v_add_co_ci_u32_e32 v5, vcc_lo, s7, v5, vcc_lo
	v_cmp_le_i64_e32 vcc_lo, s[2:3], v[2:3]
	s_delay_alu instid0(VALU_DEP_3) | instskip(NEXT) | instid1(VALU_DEP_1)
	v_add_co_u32 v4, s0, v1, v6
	v_add_co_ci_u32_e64 v5, s0, v5, v7, s0
	s_or_b32 s13, vcc_lo, s13
	s_waitcnt vmcnt(0)
	global_store_b64 v[4:5], v[8:9], off
	s_and_not1_b32 exec_lo, exec_lo, s13
	s_cbranch_execnz .LBB639_2
.LBB639_3:
	s_nop 0
	s_sendmsg sendmsg(MSG_DEALLOC_VGPRS)
	s_endpgm
	.section	.rodata,"a",@progbits
	.p2align	6, 0x0
	.amdhsa_kernel _ZN2at6native12_GLOBAL__N_123sort_postprocess_kernelIlEEvPKT_PS3_PlPK15HIP_vector_typeIiLj2EEii
		.amdhsa_group_segment_fixed_size 0
		.amdhsa_private_segment_fixed_size 0
		.amdhsa_kernarg_size 296
		.amdhsa_user_sgpr_count 15
		.amdhsa_user_sgpr_dispatch_ptr 0
		.amdhsa_user_sgpr_queue_ptr 0
		.amdhsa_user_sgpr_kernarg_segment_ptr 1
		.amdhsa_user_sgpr_dispatch_id 0
		.amdhsa_user_sgpr_private_segment_size 0
		.amdhsa_wavefront_size32 1
		.amdhsa_uses_dynamic_stack 0
		.amdhsa_enable_private_segment 0
		.amdhsa_system_sgpr_workgroup_id_x 1
		.amdhsa_system_sgpr_workgroup_id_y 0
		.amdhsa_system_sgpr_workgroup_id_z 0
		.amdhsa_system_sgpr_workgroup_info 0
		.amdhsa_system_vgpr_workitem_id 0
		.amdhsa_next_free_vgpr 15
		.amdhsa_next_free_sgpr 16
		.amdhsa_reserve_vcc 1
		.amdhsa_float_round_mode_32 0
		.amdhsa_float_round_mode_16_64 0
		.amdhsa_float_denorm_mode_32 3
		.amdhsa_float_denorm_mode_16_64 3
		.amdhsa_dx10_clamp 1
		.amdhsa_ieee_mode 1
		.amdhsa_fp16_overflow 0
		.amdhsa_workgroup_processor_mode 1
		.amdhsa_memory_ordered 1
		.amdhsa_forward_progress 0
		.amdhsa_shared_vgpr_count 0
		.amdhsa_exception_fp_ieee_invalid_op 0
		.amdhsa_exception_fp_denorm_src 0
		.amdhsa_exception_fp_ieee_div_zero 0
		.amdhsa_exception_fp_ieee_overflow 0
		.amdhsa_exception_fp_ieee_underflow 0
		.amdhsa_exception_fp_ieee_inexact 0
		.amdhsa_exception_int_div_zero 0
	.end_amdhsa_kernel
	.section	.text._ZN2at6native12_GLOBAL__N_123sort_postprocess_kernelIlEEvPKT_PS3_PlPK15HIP_vector_typeIiLj2EEii,"axG",@progbits,_ZN2at6native12_GLOBAL__N_123sort_postprocess_kernelIlEEvPKT_PS3_PlPK15HIP_vector_typeIiLj2EEii,comdat
.Lfunc_end639:
	.size	_ZN2at6native12_GLOBAL__N_123sort_postprocess_kernelIlEEvPKT_PS3_PlPK15HIP_vector_typeIiLj2EEii, .Lfunc_end639-_ZN2at6native12_GLOBAL__N_123sort_postprocess_kernelIlEEvPKT_PS3_PlPK15HIP_vector_typeIiLj2EEii
                                        ; -- End function
	.section	.AMDGPU.csdata,"",@progbits
; Kernel info:
; codeLenInByte = 508
; NumSgprs: 18
; NumVgprs: 15
; ScratchSize: 0
; MemoryBound: 0
; FloatMode: 240
; IeeeMode: 1
; LDSByteSize: 0 bytes/workgroup (compile time only)
; SGPRBlocks: 2
; VGPRBlocks: 1
; NumSGPRsForWavesPerEU: 18
; NumVGPRsForWavesPerEU: 15
; Occupancy: 16
; WaveLimiterHint : 1
; COMPUTE_PGM_RSRC2:SCRATCH_EN: 0
; COMPUTE_PGM_RSRC2:USER_SGPR: 15
; COMPUTE_PGM_RSRC2:TRAP_HANDLER: 0
; COMPUTE_PGM_RSRC2:TGID_X_EN: 1
; COMPUTE_PGM_RSRC2:TGID_Y_EN: 0
; COMPUTE_PGM_RSRC2:TGID_Z_EN: 0
; COMPUTE_PGM_RSRC2:TIDIG_COMP_CNT: 0
	.section	.text._ZN7rocprim17ROCPRIM_400000_NS6detail17trampoline_kernelINS0_13select_configILj256ELj13ELNS0_17block_load_methodE3ELS4_3ELS4_3ELNS0_20block_scan_algorithmE0ELj4294967295EEENS1_25partition_config_selectorILNS1_17partition_subalgoE4EjNS0_10empty_typeEbEEZZNS1_14partition_implILS8_4ELb0ES6_15HIP_vector_typeIjLj2EENS0_17counting_iteratorIjlEEPS9_SG_NS0_5tupleIJPjSI_NS0_16reverse_iteratorISI_EEEEENSH_IJSG_SG_SG_EEES9_SI_JZNS1_25segmented_radix_sort_implINS0_14default_configELb1EPKlPlSQ_SR_N2at6native12_GLOBAL__N_18offset_tEEE10hipError_tPvRmT1_PNSt15iterator_traitsISZ_E10value_typeET2_T3_PNS10_IS15_E10value_typeET4_jRbjT5_S1B_jjP12ihipStream_tbEUljE_ZNSN_ISO_Lb1ESQ_SR_SQ_SR_SV_EESW_SX_SY_SZ_S13_S14_S15_S18_S19_jS1A_jS1B_S1B_jjS1D_bEUljE0_EEESW_SX_SY_S15_S19_S1B_T6_T7_T9_mT8_S1D_bDpT10_ENKUlT_T0_E_clISt17integral_constantIbLb0EES1R_EEDaS1M_S1N_EUlS1M_E_NS1_11comp_targetILNS1_3genE0ELNS1_11target_archE4294967295ELNS1_3gpuE0ELNS1_3repE0EEENS1_30default_config_static_selectorELNS0_4arch9wavefront6targetE0EEEvSZ_,"axG",@progbits,_ZN7rocprim17ROCPRIM_400000_NS6detail17trampoline_kernelINS0_13select_configILj256ELj13ELNS0_17block_load_methodE3ELS4_3ELS4_3ELNS0_20block_scan_algorithmE0ELj4294967295EEENS1_25partition_config_selectorILNS1_17partition_subalgoE4EjNS0_10empty_typeEbEEZZNS1_14partition_implILS8_4ELb0ES6_15HIP_vector_typeIjLj2EENS0_17counting_iteratorIjlEEPS9_SG_NS0_5tupleIJPjSI_NS0_16reverse_iteratorISI_EEEEENSH_IJSG_SG_SG_EEES9_SI_JZNS1_25segmented_radix_sort_implINS0_14default_configELb1EPKlPlSQ_SR_N2at6native12_GLOBAL__N_18offset_tEEE10hipError_tPvRmT1_PNSt15iterator_traitsISZ_E10value_typeET2_T3_PNS10_IS15_E10value_typeET4_jRbjT5_S1B_jjP12ihipStream_tbEUljE_ZNSN_ISO_Lb1ESQ_SR_SQ_SR_SV_EESW_SX_SY_SZ_S13_S14_S15_S18_S19_jS1A_jS1B_S1B_jjS1D_bEUljE0_EEESW_SX_SY_S15_S19_S1B_T6_T7_T9_mT8_S1D_bDpT10_ENKUlT_T0_E_clISt17integral_constantIbLb0EES1R_EEDaS1M_S1N_EUlS1M_E_NS1_11comp_targetILNS1_3genE0ELNS1_11target_archE4294967295ELNS1_3gpuE0ELNS1_3repE0EEENS1_30default_config_static_selectorELNS0_4arch9wavefront6targetE0EEEvSZ_,comdat
	.globl	_ZN7rocprim17ROCPRIM_400000_NS6detail17trampoline_kernelINS0_13select_configILj256ELj13ELNS0_17block_load_methodE3ELS4_3ELS4_3ELNS0_20block_scan_algorithmE0ELj4294967295EEENS1_25partition_config_selectorILNS1_17partition_subalgoE4EjNS0_10empty_typeEbEEZZNS1_14partition_implILS8_4ELb0ES6_15HIP_vector_typeIjLj2EENS0_17counting_iteratorIjlEEPS9_SG_NS0_5tupleIJPjSI_NS0_16reverse_iteratorISI_EEEEENSH_IJSG_SG_SG_EEES9_SI_JZNS1_25segmented_radix_sort_implINS0_14default_configELb1EPKlPlSQ_SR_N2at6native12_GLOBAL__N_18offset_tEEE10hipError_tPvRmT1_PNSt15iterator_traitsISZ_E10value_typeET2_T3_PNS10_IS15_E10value_typeET4_jRbjT5_S1B_jjP12ihipStream_tbEUljE_ZNSN_ISO_Lb1ESQ_SR_SQ_SR_SV_EESW_SX_SY_SZ_S13_S14_S15_S18_S19_jS1A_jS1B_S1B_jjS1D_bEUljE0_EEESW_SX_SY_S15_S19_S1B_T6_T7_T9_mT8_S1D_bDpT10_ENKUlT_T0_E_clISt17integral_constantIbLb0EES1R_EEDaS1M_S1N_EUlS1M_E_NS1_11comp_targetILNS1_3genE0ELNS1_11target_archE4294967295ELNS1_3gpuE0ELNS1_3repE0EEENS1_30default_config_static_selectorELNS0_4arch9wavefront6targetE0EEEvSZ_ ; -- Begin function _ZN7rocprim17ROCPRIM_400000_NS6detail17trampoline_kernelINS0_13select_configILj256ELj13ELNS0_17block_load_methodE3ELS4_3ELS4_3ELNS0_20block_scan_algorithmE0ELj4294967295EEENS1_25partition_config_selectorILNS1_17partition_subalgoE4EjNS0_10empty_typeEbEEZZNS1_14partition_implILS8_4ELb0ES6_15HIP_vector_typeIjLj2EENS0_17counting_iteratorIjlEEPS9_SG_NS0_5tupleIJPjSI_NS0_16reverse_iteratorISI_EEEEENSH_IJSG_SG_SG_EEES9_SI_JZNS1_25segmented_radix_sort_implINS0_14default_configELb1EPKlPlSQ_SR_N2at6native12_GLOBAL__N_18offset_tEEE10hipError_tPvRmT1_PNSt15iterator_traitsISZ_E10value_typeET2_T3_PNS10_IS15_E10value_typeET4_jRbjT5_S1B_jjP12ihipStream_tbEUljE_ZNSN_ISO_Lb1ESQ_SR_SQ_SR_SV_EESW_SX_SY_SZ_S13_S14_S15_S18_S19_jS1A_jS1B_S1B_jjS1D_bEUljE0_EEESW_SX_SY_S15_S19_S1B_T6_T7_T9_mT8_S1D_bDpT10_ENKUlT_T0_E_clISt17integral_constantIbLb0EES1R_EEDaS1M_S1N_EUlS1M_E_NS1_11comp_targetILNS1_3genE0ELNS1_11target_archE4294967295ELNS1_3gpuE0ELNS1_3repE0EEENS1_30default_config_static_selectorELNS0_4arch9wavefront6targetE0EEEvSZ_
	.p2align	8
	.type	_ZN7rocprim17ROCPRIM_400000_NS6detail17trampoline_kernelINS0_13select_configILj256ELj13ELNS0_17block_load_methodE3ELS4_3ELS4_3ELNS0_20block_scan_algorithmE0ELj4294967295EEENS1_25partition_config_selectorILNS1_17partition_subalgoE4EjNS0_10empty_typeEbEEZZNS1_14partition_implILS8_4ELb0ES6_15HIP_vector_typeIjLj2EENS0_17counting_iteratorIjlEEPS9_SG_NS0_5tupleIJPjSI_NS0_16reverse_iteratorISI_EEEEENSH_IJSG_SG_SG_EEES9_SI_JZNS1_25segmented_radix_sort_implINS0_14default_configELb1EPKlPlSQ_SR_N2at6native12_GLOBAL__N_18offset_tEEE10hipError_tPvRmT1_PNSt15iterator_traitsISZ_E10value_typeET2_T3_PNS10_IS15_E10value_typeET4_jRbjT5_S1B_jjP12ihipStream_tbEUljE_ZNSN_ISO_Lb1ESQ_SR_SQ_SR_SV_EESW_SX_SY_SZ_S13_S14_S15_S18_S19_jS1A_jS1B_S1B_jjS1D_bEUljE0_EEESW_SX_SY_S15_S19_S1B_T6_T7_T9_mT8_S1D_bDpT10_ENKUlT_T0_E_clISt17integral_constantIbLb0EES1R_EEDaS1M_S1N_EUlS1M_E_NS1_11comp_targetILNS1_3genE0ELNS1_11target_archE4294967295ELNS1_3gpuE0ELNS1_3repE0EEENS1_30default_config_static_selectorELNS0_4arch9wavefront6targetE0EEEvSZ_,@function
_ZN7rocprim17ROCPRIM_400000_NS6detail17trampoline_kernelINS0_13select_configILj256ELj13ELNS0_17block_load_methodE3ELS4_3ELS4_3ELNS0_20block_scan_algorithmE0ELj4294967295EEENS1_25partition_config_selectorILNS1_17partition_subalgoE4EjNS0_10empty_typeEbEEZZNS1_14partition_implILS8_4ELb0ES6_15HIP_vector_typeIjLj2EENS0_17counting_iteratorIjlEEPS9_SG_NS0_5tupleIJPjSI_NS0_16reverse_iteratorISI_EEEEENSH_IJSG_SG_SG_EEES9_SI_JZNS1_25segmented_radix_sort_implINS0_14default_configELb1EPKlPlSQ_SR_N2at6native12_GLOBAL__N_18offset_tEEE10hipError_tPvRmT1_PNSt15iterator_traitsISZ_E10value_typeET2_T3_PNS10_IS15_E10value_typeET4_jRbjT5_S1B_jjP12ihipStream_tbEUljE_ZNSN_ISO_Lb1ESQ_SR_SQ_SR_SV_EESW_SX_SY_SZ_S13_S14_S15_S18_S19_jS1A_jS1B_S1B_jjS1D_bEUljE0_EEESW_SX_SY_S15_S19_S1B_T6_T7_T9_mT8_S1D_bDpT10_ENKUlT_T0_E_clISt17integral_constantIbLb0EES1R_EEDaS1M_S1N_EUlS1M_E_NS1_11comp_targetILNS1_3genE0ELNS1_11target_archE4294967295ELNS1_3gpuE0ELNS1_3repE0EEENS1_30default_config_static_selectorELNS0_4arch9wavefront6targetE0EEEvSZ_: ; @_ZN7rocprim17ROCPRIM_400000_NS6detail17trampoline_kernelINS0_13select_configILj256ELj13ELNS0_17block_load_methodE3ELS4_3ELS4_3ELNS0_20block_scan_algorithmE0ELj4294967295EEENS1_25partition_config_selectorILNS1_17partition_subalgoE4EjNS0_10empty_typeEbEEZZNS1_14partition_implILS8_4ELb0ES6_15HIP_vector_typeIjLj2EENS0_17counting_iteratorIjlEEPS9_SG_NS0_5tupleIJPjSI_NS0_16reverse_iteratorISI_EEEEENSH_IJSG_SG_SG_EEES9_SI_JZNS1_25segmented_radix_sort_implINS0_14default_configELb1EPKlPlSQ_SR_N2at6native12_GLOBAL__N_18offset_tEEE10hipError_tPvRmT1_PNSt15iterator_traitsISZ_E10value_typeET2_T3_PNS10_IS15_E10value_typeET4_jRbjT5_S1B_jjP12ihipStream_tbEUljE_ZNSN_ISO_Lb1ESQ_SR_SQ_SR_SV_EESW_SX_SY_SZ_S13_S14_S15_S18_S19_jS1A_jS1B_S1B_jjS1D_bEUljE0_EEESW_SX_SY_S15_S19_S1B_T6_T7_T9_mT8_S1D_bDpT10_ENKUlT_T0_E_clISt17integral_constantIbLb0EES1R_EEDaS1M_S1N_EUlS1M_E_NS1_11comp_targetILNS1_3genE0ELNS1_11target_archE4294967295ELNS1_3gpuE0ELNS1_3repE0EEENS1_30default_config_static_selectorELNS0_4arch9wavefront6targetE0EEEvSZ_
; %bb.0:
	.section	.rodata,"a",@progbits
	.p2align	6, 0x0
	.amdhsa_kernel _ZN7rocprim17ROCPRIM_400000_NS6detail17trampoline_kernelINS0_13select_configILj256ELj13ELNS0_17block_load_methodE3ELS4_3ELS4_3ELNS0_20block_scan_algorithmE0ELj4294967295EEENS1_25partition_config_selectorILNS1_17partition_subalgoE4EjNS0_10empty_typeEbEEZZNS1_14partition_implILS8_4ELb0ES6_15HIP_vector_typeIjLj2EENS0_17counting_iteratorIjlEEPS9_SG_NS0_5tupleIJPjSI_NS0_16reverse_iteratorISI_EEEEENSH_IJSG_SG_SG_EEES9_SI_JZNS1_25segmented_radix_sort_implINS0_14default_configELb1EPKlPlSQ_SR_N2at6native12_GLOBAL__N_18offset_tEEE10hipError_tPvRmT1_PNSt15iterator_traitsISZ_E10value_typeET2_T3_PNS10_IS15_E10value_typeET4_jRbjT5_S1B_jjP12ihipStream_tbEUljE_ZNSN_ISO_Lb1ESQ_SR_SQ_SR_SV_EESW_SX_SY_SZ_S13_S14_S15_S18_S19_jS1A_jS1B_S1B_jjS1D_bEUljE0_EEESW_SX_SY_S15_S19_S1B_T6_T7_T9_mT8_S1D_bDpT10_ENKUlT_T0_E_clISt17integral_constantIbLb0EES1R_EEDaS1M_S1N_EUlS1M_E_NS1_11comp_targetILNS1_3genE0ELNS1_11target_archE4294967295ELNS1_3gpuE0ELNS1_3repE0EEENS1_30default_config_static_selectorELNS0_4arch9wavefront6targetE0EEEvSZ_
		.amdhsa_group_segment_fixed_size 0
		.amdhsa_private_segment_fixed_size 0
		.amdhsa_kernarg_size 176
		.amdhsa_user_sgpr_count 15
		.amdhsa_user_sgpr_dispatch_ptr 0
		.amdhsa_user_sgpr_queue_ptr 0
		.amdhsa_user_sgpr_kernarg_segment_ptr 1
		.amdhsa_user_sgpr_dispatch_id 0
		.amdhsa_user_sgpr_private_segment_size 0
		.amdhsa_wavefront_size32 1
		.amdhsa_uses_dynamic_stack 0
		.amdhsa_enable_private_segment 0
		.amdhsa_system_sgpr_workgroup_id_x 1
		.amdhsa_system_sgpr_workgroup_id_y 0
		.amdhsa_system_sgpr_workgroup_id_z 0
		.amdhsa_system_sgpr_workgroup_info 0
		.amdhsa_system_vgpr_workitem_id 0
		.amdhsa_next_free_vgpr 1
		.amdhsa_next_free_sgpr 1
		.amdhsa_reserve_vcc 0
		.amdhsa_float_round_mode_32 0
		.amdhsa_float_round_mode_16_64 0
		.amdhsa_float_denorm_mode_32 3
		.amdhsa_float_denorm_mode_16_64 3
		.amdhsa_dx10_clamp 1
		.amdhsa_ieee_mode 1
		.amdhsa_fp16_overflow 0
		.amdhsa_workgroup_processor_mode 1
		.amdhsa_memory_ordered 1
		.amdhsa_forward_progress 0
		.amdhsa_shared_vgpr_count 0
		.amdhsa_exception_fp_ieee_invalid_op 0
		.amdhsa_exception_fp_denorm_src 0
		.amdhsa_exception_fp_ieee_div_zero 0
		.amdhsa_exception_fp_ieee_overflow 0
		.amdhsa_exception_fp_ieee_underflow 0
		.amdhsa_exception_fp_ieee_inexact 0
		.amdhsa_exception_int_div_zero 0
	.end_amdhsa_kernel
	.section	.text._ZN7rocprim17ROCPRIM_400000_NS6detail17trampoline_kernelINS0_13select_configILj256ELj13ELNS0_17block_load_methodE3ELS4_3ELS4_3ELNS0_20block_scan_algorithmE0ELj4294967295EEENS1_25partition_config_selectorILNS1_17partition_subalgoE4EjNS0_10empty_typeEbEEZZNS1_14partition_implILS8_4ELb0ES6_15HIP_vector_typeIjLj2EENS0_17counting_iteratorIjlEEPS9_SG_NS0_5tupleIJPjSI_NS0_16reverse_iteratorISI_EEEEENSH_IJSG_SG_SG_EEES9_SI_JZNS1_25segmented_radix_sort_implINS0_14default_configELb1EPKlPlSQ_SR_N2at6native12_GLOBAL__N_18offset_tEEE10hipError_tPvRmT1_PNSt15iterator_traitsISZ_E10value_typeET2_T3_PNS10_IS15_E10value_typeET4_jRbjT5_S1B_jjP12ihipStream_tbEUljE_ZNSN_ISO_Lb1ESQ_SR_SQ_SR_SV_EESW_SX_SY_SZ_S13_S14_S15_S18_S19_jS1A_jS1B_S1B_jjS1D_bEUljE0_EEESW_SX_SY_S15_S19_S1B_T6_T7_T9_mT8_S1D_bDpT10_ENKUlT_T0_E_clISt17integral_constantIbLb0EES1R_EEDaS1M_S1N_EUlS1M_E_NS1_11comp_targetILNS1_3genE0ELNS1_11target_archE4294967295ELNS1_3gpuE0ELNS1_3repE0EEENS1_30default_config_static_selectorELNS0_4arch9wavefront6targetE0EEEvSZ_,"axG",@progbits,_ZN7rocprim17ROCPRIM_400000_NS6detail17trampoline_kernelINS0_13select_configILj256ELj13ELNS0_17block_load_methodE3ELS4_3ELS4_3ELNS0_20block_scan_algorithmE0ELj4294967295EEENS1_25partition_config_selectorILNS1_17partition_subalgoE4EjNS0_10empty_typeEbEEZZNS1_14partition_implILS8_4ELb0ES6_15HIP_vector_typeIjLj2EENS0_17counting_iteratorIjlEEPS9_SG_NS0_5tupleIJPjSI_NS0_16reverse_iteratorISI_EEEEENSH_IJSG_SG_SG_EEES9_SI_JZNS1_25segmented_radix_sort_implINS0_14default_configELb1EPKlPlSQ_SR_N2at6native12_GLOBAL__N_18offset_tEEE10hipError_tPvRmT1_PNSt15iterator_traitsISZ_E10value_typeET2_T3_PNS10_IS15_E10value_typeET4_jRbjT5_S1B_jjP12ihipStream_tbEUljE_ZNSN_ISO_Lb1ESQ_SR_SQ_SR_SV_EESW_SX_SY_SZ_S13_S14_S15_S18_S19_jS1A_jS1B_S1B_jjS1D_bEUljE0_EEESW_SX_SY_S15_S19_S1B_T6_T7_T9_mT8_S1D_bDpT10_ENKUlT_T0_E_clISt17integral_constantIbLb0EES1R_EEDaS1M_S1N_EUlS1M_E_NS1_11comp_targetILNS1_3genE0ELNS1_11target_archE4294967295ELNS1_3gpuE0ELNS1_3repE0EEENS1_30default_config_static_selectorELNS0_4arch9wavefront6targetE0EEEvSZ_,comdat
.Lfunc_end640:
	.size	_ZN7rocprim17ROCPRIM_400000_NS6detail17trampoline_kernelINS0_13select_configILj256ELj13ELNS0_17block_load_methodE3ELS4_3ELS4_3ELNS0_20block_scan_algorithmE0ELj4294967295EEENS1_25partition_config_selectorILNS1_17partition_subalgoE4EjNS0_10empty_typeEbEEZZNS1_14partition_implILS8_4ELb0ES6_15HIP_vector_typeIjLj2EENS0_17counting_iteratorIjlEEPS9_SG_NS0_5tupleIJPjSI_NS0_16reverse_iteratorISI_EEEEENSH_IJSG_SG_SG_EEES9_SI_JZNS1_25segmented_radix_sort_implINS0_14default_configELb1EPKlPlSQ_SR_N2at6native12_GLOBAL__N_18offset_tEEE10hipError_tPvRmT1_PNSt15iterator_traitsISZ_E10value_typeET2_T3_PNS10_IS15_E10value_typeET4_jRbjT5_S1B_jjP12ihipStream_tbEUljE_ZNSN_ISO_Lb1ESQ_SR_SQ_SR_SV_EESW_SX_SY_SZ_S13_S14_S15_S18_S19_jS1A_jS1B_S1B_jjS1D_bEUljE0_EEESW_SX_SY_S15_S19_S1B_T6_T7_T9_mT8_S1D_bDpT10_ENKUlT_T0_E_clISt17integral_constantIbLb0EES1R_EEDaS1M_S1N_EUlS1M_E_NS1_11comp_targetILNS1_3genE0ELNS1_11target_archE4294967295ELNS1_3gpuE0ELNS1_3repE0EEENS1_30default_config_static_selectorELNS0_4arch9wavefront6targetE0EEEvSZ_, .Lfunc_end640-_ZN7rocprim17ROCPRIM_400000_NS6detail17trampoline_kernelINS0_13select_configILj256ELj13ELNS0_17block_load_methodE3ELS4_3ELS4_3ELNS0_20block_scan_algorithmE0ELj4294967295EEENS1_25partition_config_selectorILNS1_17partition_subalgoE4EjNS0_10empty_typeEbEEZZNS1_14partition_implILS8_4ELb0ES6_15HIP_vector_typeIjLj2EENS0_17counting_iteratorIjlEEPS9_SG_NS0_5tupleIJPjSI_NS0_16reverse_iteratorISI_EEEEENSH_IJSG_SG_SG_EEES9_SI_JZNS1_25segmented_radix_sort_implINS0_14default_configELb1EPKlPlSQ_SR_N2at6native12_GLOBAL__N_18offset_tEEE10hipError_tPvRmT1_PNSt15iterator_traitsISZ_E10value_typeET2_T3_PNS10_IS15_E10value_typeET4_jRbjT5_S1B_jjP12ihipStream_tbEUljE_ZNSN_ISO_Lb1ESQ_SR_SQ_SR_SV_EESW_SX_SY_SZ_S13_S14_S15_S18_S19_jS1A_jS1B_S1B_jjS1D_bEUljE0_EEESW_SX_SY_S15_S19_S1B_T6_T7_T9_mT8_S1D_bDpT10_ENKUlT_T0_E_clISt17integral_constantIbLb0EES1R_EEDaS1M_S1N_EUlS1M_E_NS1_11comp_targetILNS1_3genE0ELNS1_11target_archE4294967295ELNS1_3gpuE0ELNS1_3repE0EEENS1_30default_config_static_selectorELNS0_4arch9wavefront6targetE0EEEvSZ_
                                        ; -- End function
	.section	.AMDGPU.csdata,"",@progbits
; Kernel info:
; codeLenInByte = 0
; NumSgprs: 0
; NumVgprs: 0
; ScratchSize: 0
; MemoryBound: 0
; FloatMode: 240
; IeeeMode: 1
; LDSByteSize: 0 bytes/workgroup (compile time only)
; SGPRBlocks: 0
; VGPRBlocks: 0
; NumSGPRsForWavesPerEU: 1
; NumVGPRsForWavesPerEU: 1
; Occupancy: 16
; WaveLimiterHint : 0
; COMPUTE_PGM_RSRC2:SCRATCH_EN: 0
; COMPUTE_PGM_RSRC2:USER_SGPR: 15
; COMPUTE_PGM_RSRC2:TRAP_HANDLER: 0
; COMPUTE_PGM_RSRC2:TGID_X_EN: 1
; COMPUTE_PGM_RSRC2:TGID_Y_EN: 0
; COMPUTE_PGM_RSRC2:TGID_Z_EN: 0
; COMPUTE_PGM_RSRC2:TIDIG_COMP_CNT: 0
	.section	.text._ZN7rocprim17ROCPRIM_400000_NS6detail17trampoline_kernelINS0_13select_configILj256ELj13ELNS0_17block_load_methodE3ELS4_3ELS4_3ELNS0_20block_scan_algorithmE0ELj4294967295EEENS1_25partition_config_selectorILNS1_17partition_subalgoE4EjNS0_10empty_typeEbEEZZNS1_14partition_implILS8_4ELb0ES6_15HIP_vector_typeIjLj2EENS0_17counting_iteratorIjlEEPS9_SG_NS0_5tupleIJPjSI_NS0_16reverse_iteratorISI_EEEEENSH_IJSG_SG_SG_EEES9_SI_JZNS1_25segmented_radix_sort_implINS0_14default_configELb1EPKlPlSQ_SR_N2at6native12_GLOBAL__N_18offset_tEEE10hipError_tPvRmT1_PNSt15iterator_traitsISZ_E10value_typeET2_T3_PNS10_IS15_E10value_typeET4_jRbjT5_S1B_jjP12ihipStream_tbEUljE_ZNSN_ISO_Lb1ESQ_SR_SQ_SR_SV_EESW_SX_SY_SZ_S13_S14_S15_S18_S19_jS1A_jS1B_S1B_jjS1D_bEUljE0_EEESW_SX_SY_S15_S19_S1B_T6_T7_T9_mT8_S1D_bDpT10_ENKUlT_T0_E_clISt17integral_constantIbLb0EES1R_EEDaS1M_S1N_EUlS1M_E_NS1_11comp_targetILNS1_3genE5ELNS1_11target_archE942ELNS1_3gpuE9ELNS1_3repE0EEENS1_30default_config_static_selectorELNS0_4arch9wavefront6targetE0EEEvSZ_,"axG",@progbits,_ZN7rocprim17ROCPRIM_400000_NS6detail17trampoline_kernelINS0_13select_configILj256ELj13ELNS0_17block_load_methodE3ELS4_3ELS4_3ELNS0_20block_scan_algorithmE0ELj4294967295EEENS1_25partition_config_selectorILNS1_17partition_subalgoE4EjNS0_10empty_typeEbEEZZNS1_14partition_implILS8_4ELb0ES6_15HIP_vector_typeIjLj2EENS0_17counting_iteratorIjlEEPS9_SG_NS0_5tupleIJPjSI_NS0_16reverse_iteratorISI_EEEEENSH_IJSG_SG_SG_EEES9_SI_JZNS1_25segmented_radix_sort_implINS0_14default_configELb1EPKlPlSQ_SR_N2at6native12_GLOBAL__N_18offset_tEEE10hipError_tPvRmT1_PNSt15iterator_traitsISZ_E10value_typeET2_T3_PNS10_IS15_E10value_typeET4_jRbjT5_S1B_jjP12ihipStream_tbEUljE_ZNSN_ISO_Lb1ESQ_SR_SQ_SR_SV_EESW_SX_SY_SZ_S13_S14_S15_S18_S19_jS1A_jS1B_S1B_jjS1D_bEUljE0_EEESW_SX_SY_S15_S19_S1B_T6_T7_T9_mT8_S1D_bDpT10_ENKUlT_T0_E_clISt17integral_constantIbLb0EES1R_EEDaS1M_S1N_EUlS1M_E_NS1_11comp_targetILNS1_3genE5ELNS1_11target_archE942ELNS1_3gpuE9ELNS1_3repE0EEENS1_30default_config_static_selectorELNS0_4arch9wavefront6targetE0EEEvSZ_,comdat
	.globl	_ZN7rocprim17ROCPRIM_400000_NS6detail17trampoline_kernelINS0_13select_configILj256ELj13ELNS0_17block_load_methodE3ELS4_3ELS4_3ELNS0_20block_scan_algorithmE0ELj4294967295EEENS1_25partition_config_selectorILNS1_17partition_subalgoE4EjNS0_10empty_typeEbEEZZNS1_14partition_implILS8_4ELb0ES6_15HIP_vector_typeIjLj2EENS0_17counting_iteratorIjlEEPS9_SG_NS0_5tupleIJPjSI_NS0_16reverse_iteratorISI_EEEEENSH_IJSG_SG_SG_EEES9_SI_JZNS1_25segmented_radix_sort_implINS0_14default_configELb1EPKlPlSQ_SR_N2at6native12_GLOBAL__N_18offset_tEEE10hipError_tPvRmT1_PNSt15iterator_traitsISZ_E10value_typeET2_T3_PNS10_IS15_E10value_typeET4_jRbjT5_S1B_jjP12ihipStream_tbEUljE_ZNSN_ISO_Lb1ESQ_SR_SQ_SR_SV_EESW_SX_SY_SZ_S13_S14_S15_S18_S19_jS1A_jS1B_S1B_jjS1D_bEUljE0_EEESW_SX_SY_S15_S19_S1B_T6_T7_T9_mT8_S1D_bDpT10_ENKUlT_T0_E_clISt17integral_constantIbLb0EES1R_EEDaS1M_S1N_EUlS1M_E_NS1_11comp_targetILNS1_3genE5ELNS1_11target_archE942ELNS1_3gpuE9ELNS1_3repE0EEENS1_30default_config_static_selectorELNS0_4arch9wavefront6targetE0EEEvSZ_ ; -- Begin function _ZN7rocprim17ROCPRIM_400000_NS6detail17trampoline_kernelINS0_13select_configILj256ELj13ELNS0_17block_load_methodE3ELS4_3ELS4_3ELNS0_20block_scan_algorithmE0ELj4294967295EEENS1_25partition_config_selectorILNS1_17partition_subalgoE4EjNS0_10empty_typeEbEEZZNS1_14partition_implILS8_4ELb0ES6_15HIP_vector_typeIjLj2EENS0_17counting_iteratorIjlEEPS9_SG_NS0_5tupleIJPjSI_NS0_16reverse_iteratorISI_EEEEENSH_IJSG_SG_SG_EEES9_SI_JZNS1_25segmented_radix_sort_implINS0_14default_configELb1EPKlPlSQ_SR_N2at6native12_GLOBAL__N_18offset_tEEE10hipError_tPvRmT1_PNSt15iterator_traitsISZ_E10value_typeET2_T3_PNS10_IS15_E10value_typeET4_jRbjT5_S1B_jjP12ihipStream_tbEUljE_ZNSN_ISO_Lb1ESQ_SR_SQ_SR_SV_EESW_SX_SY_SZ_S13_S14_S15_S18_S19_jS1A_jS1B_S1B_jjS1D_bEUljE0_EEESW_SX_SY_S15_S19_S1B_T6_T7_T9_mT8_S1D_bDpT10_ENKUlT_T0_E_clISt17integral_constantIbLb0EES1R_EEDaS1M_S1N_EUlS1M_E_NS1_11comp_targetILNS1_3genE5ELNS1_11target_archE942ELNS1_3gpuE9ELNS1_3repE0EEENS1_30default_config_static_selectorELNS0_4arch9wavefront6targetE0EEEvSZ_
	.p2align	8
	.type	_ZN7rocprim17ROCPRIM_400000_NS6detail17trampoline_kernelINS0_13select_configILj256ELj13ELNS0_17block_load_methodE3ELS4_3ELS4_3ELNS0_20block_scan_algorithmE0ELj4294967295EEENS1_25partition_config_selectorILNS1_17partition_subalgoE4EjNS0_10empty_typeEbEEZZNS1_14partition_implILS8_4ELb0ES6_15HIP_vector_typeIjLj2EENS0_17counting_iteratorIjlEEPS9_SG_NS0_5tupleIJPjSI_NS0_16reverse_iteratorISI_EEEEENSH_IJSG_SG_SG_EEES9_SI_JZNS1_25segmented_radix_sort_implINS0_14default_configELb1EPKlPlSQ_SR_N2at6native12_GLOBAL__N_18offset_tEEE10hipError_tPvRmT1_PNSt15iterator_traitsISZ_E10value_typeET2_T3_PNS10_IS15_E10value_typeET4_jRbjT5_S1B_jjP12ihipStream_tbEUljE_ZNSN_ISO_Lb1ESQ_SR_SQ_SR_SV_EESW_SX_SY_SZ_S13_S14_S15_S18_S19_jS1A_jS1B_S1B_jjS1D_bEUljE0_EEESW_SX_SY_S15_S19_S1B_T6_T7_T9_mT8_S1D_bDpT10_ENKUlT_T0_E_clISt17integral_constantIbLb0EES1R_EEDaS1M_S1N_EUlS1M_E_NS1_11comp_targetILNS1_3genE5ELNS1_11target_archE942ELNS1_3gpuE9ELNS1_3repE0EEENS1_30default_config_static_selectorELNS0_4arch9wavefront6targetE0EEEvSZ_,@function
_ZN7rocprim17ROCPRIM_400000_NS6detail17trampoline_kernelINS0_13select_configILj256ELj13ELNS0_17block_load_methodE3ELS4_3ELS4_3ELNS0_20block_scan_algorithmE0ELj4294967295EEENS1_25partition_config_selectorILNS1_17partition_subalgoE4EjNS0_10empty_typeEbEEZZNS1_14partition_implILS8_4ELb0ES6_15HIP_vector_typeIjLj2EENS0_17counting_iteratorIjlEEPS9_SG_NS0_5tupleIJPjSI_NS0_16reverse_iteratorISI_EEEEENSH_IJSG_SG_SG_EEES9_SI_JZNS1_25segmented_radix_sort_implINS0_14default_configELb1EPKlPlSQ_SR_N2at6native12_GLOBAL__N_18offset_tEEE10hipError_tPvRmT1_PNSt15iterator_traitsISZ_E10value_typeET2_T3_PNS10_IS15_E10value_typeET4_jRbjT5_S1B_jjP12ihipStream_tbEUljE_ZNSN_ISO_Lb1ESQ_SR_SQ_SR_SV_EESW_SX_SY_SZ_S13_S14_S15_S18_S19_jS1A_jS1B_S1B_jjS1D_bEUljE0_EEESW_SX_SY_S15_S19_S1B_T6_T7_T9_mT8_S1D_bDpT10_ENKUlT_T0_E_clISt17integral_constantIbLb0EES1R_EEDaS1M_S1N_EUlS1M_E_NS1_11comp_targetILNS1_3genE5ELNS1_11target_archE942ELNS1_3gpuE9ELNS1_3repE0EEENS1_30default_config_static_selectorELNS0_4arch9wavefront6targetE0EEEvSZ_: ; @_ZN7rocprim17ROCPRIM_400000_NS6detail17trampoline_kernelINS0_13select_configILj256ELj13ELNS0_17block_load_methodE3ELS4_3ELS4_3ELNS0_20block_scan_algorithmE0ELj4294967295EEENS1_25partition_config_selectorILNS1_17partition_subalgoE4EjNS0_10empty_typeEbEEZZNS1_14partition_implILS8_4ELb0ES6_15HIP_vector_typeIjLj2EENS0_17counting_iteratorIjlEEPS9_SG_NS0_5tupleIJPjSI_NS0_16reverse_iteratorISI_EEEEENSH_IJSG_SG_SG_EEES9_SI_JZNS1_25segmented_radix_sort_implINS0_14default_configELb1EPKlPlSQ_SR_N2at6native12_GLOBAL__N_18offset_tEEE10hipError_tPvRmT1_PNSt15iterator_traitsISZ_E10value_typeET2_T3_PNS10_IS15_E10value_typeET4_jRbjT5_S1B_jjP12ihipStream_tbEUljE_ZNSN_ISO_Lb1ESQ_SR_SQ_SR_SV_EESW_SX_SY_SZ_S13_S14_S15_S18_S19_jS1A_jS1B_S1B_jjS1D_bEUljE0_EEESW_SX_SY_S15_S19_S1B_T6_T7_T9_mT8_S1D_bDpT10_ENKUlT_T0_E_clISt17integral_constantIbLb0EES1R_EEDaS1M_S1N_EUlS1M_E_NS1_11comp_targetILNS1_3genE5ELNS1_11target_archE942ELNS1_3gpuE9ELNS1_3repE0EEENS1_30default_config_static_selectorELNS0_4arch9wavefront6targetE0EEEvSZ_
; %bb.0:
	.section	.rodata,"a",@progbits
	.p2align	6, 0x0
	.amdhsa_kernel _ZN7rocprim17ROCPRIM_400000_NS6detail17trampoline_kernelINS0_13select_configILj256ELj13ELNS0_17block_load_methodE3ELS4_3ELS4_3ELNS0_20block_scan_algorithmE0ELj4294967295EEENS1_25partition_config_selectorILNS1_17partition_subalgoE4EjNS0_10empty_typeEbEEZZNS1_14partition_implILS8_4ELb0ES6_15HIP_vector_typeIjLj2EENS0_17counting_iteratorIjlEEPS9_SG_NS0_5tupleIJPjSI_NS0_16reverse_iteratorISI_EEEEENSH_IJSG_SG_SG_EEES9_SI_JZNS1_25segmented_radix_sort_implINS0_14default_configELb1EPKlPlSQ_SR_N2at6native12_GLOBAL__N_18offset_tEEE10hipError_tPvRmT1_PNSt15iterator_traitsISZ_E10value_typeET2_T3_PNS10_IS15_E10value_typeET4_jRbjT5_S1B_jjP12ihipStream_tbEUljE_ZNSN_ISO_Lb1ESQ_SR_SQ_SR_SV_EESW_SX_SY_SZ_S13_S14_S15_S18_S19_jS1A_jS1B_S1B_jjS1D_bEUljE0_EEESW_SX_SY_S15_S19_S1B_T6_T7_T9_mT8_S1D_bDpT10_ENKUlT_T0_E_clISt17integral_constantIbLb0EES1R_EEDaS1M_S1N_EUlS1M_E_NS1_11comp_targetILNS1_3genE5ELNS1_11target_archE942ELNS1_3gpuE9ELNS1_3repE0EEENS1_30default_config_static_selectorELNS0_4arch9wavefront6targetE0EEEvSZ_
		.amdhsa_group_segment_fixed_size 0
		.amdhsa_private_segment_fixed_size 0
		.amdhsa_kernarg_size 176
		.amdhsa_user_sgpr_count 15
		.amdhsa_user_sgpr_dispatch_ptr 0
		.amdhsa_user_sgpr_queue_ptr 0
		.amdhsa_user_sgpr_kernarg_segment_ptr 1
		.amdhsa_user_sgpr_dispatch_id 0
		.amdhsa_user_sgpr_private_segment_size 0
		.amdhsa_wavefront_size32 1
		.amdhsa_uses_dynamic_stack 0
		.amdhsa_enable_private_segment 0
		.amdhsa_system_sgpr_workgroup_id_x 1
		.amdhsa_system_sgpr_workgroup_id_y 0
		.amdhsa_system_sgpr_workgroup_id_z 0
		.amdhsa_system_sgpr_workgroup_info 0
		.amdhsa_system_vgpr_workitem_id 0
		.amdhsa_next_free_vgpr 1
		.amdhsa_next_free_sgpr 1
		.amdhsa_reserve_vcc 0
		.amdhsa_float_round_mode_32 0
		.amdhsa_float_round_mode_16_64 0
		.amdhsa_float_denorm_mode_32 3
		.amdhsa_float_denorm_mode_16_64 3
		.amdhsa_dx10_clamp 1
		.amdhsa_ieee_mode 1
		.amdhsa_fp16_overflow 0
		.amdhsa_workgroup_processor_mode 1
		.amdhsa_memory_ordered 1
		.amdhsa_forward_progress 0
		.amdhsa_shared_vgpr_count 0
		.amdhsa_exception_fp_ieee_invalid_op 0
		.amdhsa_exception_fp_denorm_src 0
		.amdhsa_exception_fp_ieee_div_zero 0
		.amdhsa_exception_fp_ieee_overflow 0
		.amdhsa_exception_fp_ieee_underflow 0
		.amdhsa_exception_fp_ieee_inexact 0
		.amdhsa_exception_int_div_zero 0
	.end_amdhsa_kernel
	.section	.text._ZN7rocprim17ROCPRIM_400000_NS6detail17trampoline_kernelINS0_13select_configILj256ELj13ELNS0_17block_load_methodE3ELS4_3ELS4_3ELNS0_20block_scan_algorithmE0ELj4294967295EEENS1_25partition_config_selectorILNS1_17partition_subalgoE4EjNS0_10empty_typeEbEEZZNS1_14partition_implILS8_4ELb0ES6_15HIP_vector_typeIjLj2EENS0_17counting_iteratorIjlEEPS9_SG_NS0_5tupleIJPjSI_NS0_16reverse_iteratorISI_EEEEENSH_IJSG_SG_SG_EEES9_SI_JZNS1_25segmented_radix_sort_implINS0_14default_configELb1EPKlPlSQ_SR_N2at6native12_GLOBAL__N_18offset_tEEE10hipError_tPvRmT1_PNSt15iterator_traitsISZ_E10value_typeET2_T3_PNS10_IS15_E10value_typeET4_jRbjT5_S1B_jjP12ihipStream_tbEUljE_ZNSN_ISO_Lb1ESQ_SR_SQ_SR_SV_EESW_SX_SY_SZ_S13_S14_S15_S18_S19_jS1A_jS1B_S1B_jjS1D_bEUljE0_EEESW_SX_SY_S15_S19_S1B_T6_T7_T9_mT8_S1D_bDpT10_ENKUlT_T0_E_clISt17integral_constantIbLb0EES1R_EEDaS1M_S1N_EUlS1M_E_NS1_11comp_targetILNS1_3genE5ELNS1_11target_archE942ELNS1_3gpuE9ELNS1_3repE0EEENS1_30default_config_static_selectorELNS0_4arch9wavefront6targetE0EEEvSZ_,"axG",@progbits,_ZN7rocprim17ROCPRIM_400000_NS6detail17trampoline_kernelINS0_13select_configILj256ELj13ELNS0_17block_load_methodE3ELS4_3ELS4_3ELNS0_20block_scan_algorithmE0ELj4294967295EEENS1_25partition_config_selectorILNS1_17partition_subalgoE4EjNS0_10empty_typeEbEEZZNS1_14partition_implILS8_4ELb0ES6_15HIP_vector_typeIjLj2EENS0_17counting_iteratorIjlEEPS9_SG_NS0_5tupleIJPjSI_NS0_16reverse_iteratorISI_EEEEENSH_IJSG_SG_SG_EEES9_SI_JZNS1_25segmented_radix_sort_implINS0_14default_configELb1EPKlPlSQ_SR_N2at6native12_GLOBAL__N_18offset_tEEE10hipError_tPvRmT1_PNSt15iterator_traitsISZ_E10value_typeET2_T3_PNS10_IS15_E10value_typeET4_jRbjT5_S1B_jjP12ihipStream_tbEUljE_ZNSN_ISO_Lb1ESQ_SR_SQ_SR_SV_EESW_SX_SY_SZ_S13_S14_S15_S18_S19_jS1A_jS1B_S1B_jjS1D_bEUljE0_EEESW_SX_SY_S15_S19_S1B_T6_T7_T9_mT8_S1D_bDpT10_ENKUlT_T0_E_clISt17integral_constantIbLb0EES1R_EEDaS1M_S1N_EUlS1M_E_NS1_11comp_targetILNS1_3genE5ELNS1_11target_archE942ELNS1_3gpuE9ELNS1_3repE0EEENS1_30default_config_static_selectorELNS0_4arch9wavefront6targetE0EEEvSZ_,comdat
.Lfunc_end641:
	.size	_ZN7rocprim17ROCPRIM_400000_NS6detail17trampoline_kernelINS0_13select_configILj256ELj13ELNS0_17block_load_methodE3ELS4_3ELS4_3ELNS0_20block_scan_algorithmE0ELj4294967295EEENS1_25partition_config_selectorILNS1_17partition_subalgoE4EjNS0_10empty_typeEbEEZZNS1_14partition_implILS8_4ELb0ES6_15HIP_vector_typeIjLj2EENS0_17counting_iteratorIjlEEPS9_SG_NS0_5tupleIJPjSI_NS0_16reverse_iteratorISI_EEEEENSH_IJSG_SG_SG_EEES9_SI_JZNS1_25segmented_radix_sort_implINS0_14default_configELb1EPKlPlSQ_SR_N2at6native12_GLOBAL__N_18offset_tEEE10hipError_tPvRmT1_PNSt15iterator_traitsISZ_E10value_typeET2_T3_PNS10_IS15_E10value_typeET4_jRbjT5_S1B_jjP12ihipStream_tbEUljE_ZNSN_ISO_Lb1ESQ_SR_SQ_SR_SV_EESW_SX_SY_SZ_S13_S14_S15_S18_S19_jS1A_jS1B_S1B_jjS1D_bEUljE0_EEESW_SX_SY_S15_S19_S1B_T6_T7_T9_mT8_S1D_bDpT10_ENKUlT_T0_E_clISt17integral_constantIbLb0EES1R_EEDaS1M_S1N_EUlS1M_E_NS1_11comp_targetILNS1_3genE5ELNS1_11target_archE942ELNS1_3gpuE9ELNS1_3repE0EEENS1_30default_config_static_selectorELNS0_4arch9wavefront6targetE0EEEvSZ_, .Lfunc_end641-_ZN7rocprim17ROCPRIM_400000_NS6detail17trampoline_kernelINS0_13select_configILj256ELj13ELNS0_17block_load_methodE3ELS4_3ELS4_3ELNS0_20block_scan_algorithmE0ELj4294967295EEENS1_25partition_config_selectorILNS1_17partition_subalgoE4EjNS0_10empty_typeEbEEZZNS1_14partition_implILS8_4ELb0ES6_15HIP_vector_typeIjLj2EENS0_17counting_iteratorIjlEEPS9_SG_NS0_5tupleIJPjSI_NS0_16reverse_iteratorISI_EEEEENSH_IJSG_SG_SG_EEES9_SI_JZNS1_25segmented_radix_sort_implINS0_14default_configELb1EPKlPlSQ_SR_N2at6native12_GLOBAL__N_18offset_tEEE10hipError_tPvRmT1_PNSt15iterator_traitsISZ_E10value_typeET2_T3_PNS10_IS15_E10value_typeET4_jRbjT5_S1B_jjP12ihipStream_tbEUljE_ZNSN_ISO_Lb1ESQ_SR_SQ_SR_SV_EESW_SX_SY_SZ_S13_S14_S15_S18_S19_jS1A_jS1B_S1B_jjS1D_bEUljE0_EEESW_SX_SY_S15_S19_S1B_T6_T7_T9_mT8_S1D_bDpT10_ENKUlT_T0_E_clISt17integral_constantIbLb0EES1R_EEDaS1M_S1N_EUlS1M_E_NS1_11comp_targetILNS1_3genE5ELNS1_11target_archE942ELNS1_3gpuE9ELNS1_3repE0EEENS1_30default_config_static_selectorELNS0_4arch9wavefront6targetE0EEEvSZ_
                                        ; -- End function
	.section	.AMDGPU.csdata,"",@progbits
; Kernel info:
; codeLenInByte = 0
; NumSgprs: 0
; NumVgprs: 0
; ScratchSize: 0
; MemoryBound: 0
; FloatMode: 240
; IeeeMode: 1
; LDSByteSize: 0 bytes/workgroup (compile time only)
; SGPRBlocks: 0
; VGPRBlocks: 0
; NumSGPRsForWavesPerEU: 1
; NumVGPRsForWavesPerEU: 1
; Occupancy: 16
; WaveLimiterHint : 0
; COMPUTE_PGM_RSRC2:SCRATCH_EN: 0
; COMPUTE_PGM_RSRC2:USER_SGPR: 15
; COMPUTE_PGM_RSRC2:TRAP_HANDLER: 0
; COMPUTE_PGM_RSRC2:TGID_X_EN: 1
; COMPUTE_PGM_RSRC2:TGID_Y_EN: 0
; COMPUTE_PGM_RSRC2:TGID_Z_EN: 0
; COMPUTE_PGM_RSRC2:TIDIG_COMP_CNT: 0
	.section	.text._ZN7rocprim17ROCPRIM_400000_NS6detail17trampoline_kernelINS0_13select_configILj256ELj13ELNS0_17block_load_methodE3ELS4_3ELS4_3ELNS0_20block_scan_algorithmE0ELj4294967295EEENS1_25partition_config_selectorILNS1_17partition_subalgoE4EjNS0_10empty_typeEbEEZZNS1_14partition_implILS8_4ELb0ES6_15HIP_vector_typeIjLj2EENS0_17counting_iteratorIjlEEPS9_SG_NS0_5tupleIJPjSI_NS0_16reverse_iteratorISI_EEEEENSH_IJSG_SG_SG_EEES9_SI_JZNS1_25segmented_radix_sort_implINS0_14default_configELb1EPKlPlSQ_SR_N2at6native12_GLOBAL__N_18offset_tEEE10hipError_tPvRmT1_PNSt15iterator_traitsISZ_E10value_typeET2_T3_PNS10_IS15_E10value_typeET4_jRbjT5_S1B_jjP12ihipStream_tbEUljE_ZNSN_ISO_Lb1ESQ_SR_SQ_SR_SV_EESW_SX_SY_SZ_S13_S14_S15_S18_S19_jS1A_jS1B_S1B_jjS1D_bEUljE0_EEESW_SX_SY_S15_S19_S1B_T6_T7_T9_mT8_S1D_bDpT10_ENKUlT_T0_E_clISt17integral_constantIbLb0EES1R_EEDaS1M_S1N_EUlS1M_E_NS1_11comp_targetILNS1_3genE4ELNS1_11target_archE910ELNS1_3gpuE8ELNS1_3repE0EEENS1_30default_config_static_selectorELNS0_4arch9wavefront6targetE0EEEvSZ_,"axG",@progbits,_ZN7rocprim17ROCPRIM_400000_NS6detail17trampoline_kernelINS0_13select_configILj256ELj13ELNS0_17block_load_methodE3ELS4_3ELS4_3ELNS0_20block_scan_algorithmE0ELj4294967295EEENS1_25partition_config_selectorILNS1_17partition_subalgoE4EjNS0_10empty_typeEbEEZZNS1_14partition_implILS8_4ELb0ES6_15HIP_vector_typeIjLj2EENS0_17counting_iteratorIjlEEPS9_SG_NS0_5tupleIJPjSI_NS0_16reverse_iteratorISI_EEEEENSH_IJSG_SG_SG_EEES9_SI_JZNS1_25segmented_radix_sort_implINS0_14default_configELb1EPKlPlSQ_SR_N2at6native12_GLOBAL__N_18offset_tEEE10hipError_tPvRmT1_PNSt15iterator_traitsISZ_E10value_typeET2_T3_PNS10_IS15_E10value_typeET4_jRbjT5_S1B_jjP12ihipStream_tbEUljE_ZNSN_ISO_Lb1ESQ_SR_SQ_SR_SV_EESW_SX_SY_SZ_S13_S14_S15_S18_S19_jS1A_jS1B_S1B_jjS1D_bEUljE0_EEESW_SX_SY_S15_S19_S1B_T6_T7_T9_mT8_S1D_bDpT10_ENKUlT_T0_E_clISt17integral_constantIbLb0EES1R_EEDaS1M_S1N_EUlS1M_E_NS1_11comp_targetILNS1_3genE4ELNS1_11target_archE910ELNS1_3gpuE8ELNS1_3repE0EEENS1_30default_config_static_selectorELNS0_4arch9wavefront6targetE0EEEvSZ_,comdat
	.globl	_ZN7rocprim17ROCPRIM_400000_NS6detail17trampoline_kernelINS0_13select_configILj256ELj13ELNS0_17block_load_methodE3ELS4_3ELS4_3ELNS0_20block_scan_algorithmE0ELj4294967295EEENS1_25partition_config_selectorILNS1_17partition_subalgoE4EjNS0_10empty_typeEbEEZZNS1_14partition_implILS8_4ELb0ES6_15HIP_vector_typeIjLj2EENS0_17counting_iteratorIjlEEPS9_SG_NS0_5tupleIJPjSI_NS0_16reverse_iteratorISI_EEEEENSH_IJSG_SG_SG_EEES9_SI_JZNS1_25segmented_radix_sort_implINS0_14default_configELb1EPKlPlSQ_SR_N2at6native12_GLOBAL__N_18offset_tEEE10hipError_tPvRmT1_PNSt15iterator_traitsISZ_E10value_typeET2_T3_PNS10_IS15_E10value_typeET4_jRbjT5_S1B_jjP12ihipStream_tbEUljE_ZNSN_ISO_Lb1ESQ_SR_SQ_SR_SV_EESW_SX_SY_SZ_S13_S14_S15_S18_S19_jS1A_jS1B_S1B_jjS1D_bEUljE0_EEESW_SX_SY_S15_S19_S1B_T6_T7_T9_mT8_S1D_bDpT10_ENKUlT_T0_E_clISt17integral_constantIbLb0EES1R_EEDaS1M_S1N_EUlS1M_E_NS1_11comp_targetILNS1_3genE4ELNS1_11target_archE910ELNS1_3gpuE8ELNS1_3repE0EEENS1_30default_config_static_selectorELNS0_4arch9wavefront6targetE0EEEvSZ_ ; -- Begin function _ZN7rocprim17ROCPRIM_400000_NS6detail17trampoline_kernelINS0_13select_configILj256ELj13ELNS0_17block_load_methodE3ELS4_3ELS4_3ELNS0_20block_scan_algorithmE0ELj4294967295EEENS1_25partition_config_selectorILNS1_17partition_subalgoE4EjNS0_10empty_typeEbEEZZNS1_14partition_implILS8_4ELb0ES6_15HIP_vector_typeIjLj2EENS0_17counting_iteratorIjlEEPS9_SG_NS0_5tupleIJPjSI_NS0_16reverse_iteratorISI_EEEEENSH_IJSG_SG_SG_EEES9_SI_JZNS1_25segmented_radix_sort_implINS0_14default_configELb1EPKlPlSQ_SR_N2at6native12_GLOBAL__N_18offset_tEEE10hipError_tPvRmT1_PNSt15iterator_traitsISZ_E10value_typeET2_T3_PNS10_IS15_E10value_typeET4_jRbjT5_S1B_jjP12ihipStream_tbEUljE_ZNSN_ISO_Lb1ESQ_SR_SQ_SR_SV_EESW_SX_SY_SZ_S13_S14_S15_S18_S19_jS1A_jS1B_S1B_jjS1D_bEUljE0_EEESW_SX_SY_S15_S19_S1B_T6_T7_T9_mT8_S1D_bDpT10_ENKUlT_T0_E_clISt17integral_constantIbLb0EES1R_EEDaS1M_S1N_EUlS1M_E_NS1_11comp_targetILNS1_3genE4ELNS1_11target_archE910ELNS1_3gpuE8ELNS1_3repE0EEENS1_30default_config_static_selectorELNS0_4arch9wavefront6targetE0EEEvSZ_
	.p2align	8
	.type	_ZN7rocprim17ROCPRIM_400000_NS6detail17trampoline_kernelINS0_13select_configILj256ELj13ELNS0_17block_load_methodE3ELS4_3ELS4_3ELNS0_20block_scan_algorithmE0ELj4294967295EEENS1_25partition_config_selectorILNS1_17partition_subalgoE4EjNS0_10empty_typeEbEEZZNS1_14partition_implILS8_4ELb0ES6_15HIP_vector_typeIjLj2EENS0_17counting_iteratorIjlEEPS9_SG_NS0_5tupleIJPjSI_NS0_16reverse_iteratorISI_EEEEENSH_IJSG_SG_SG_EEES9_SI_JZNS1_25segmented_radix_sort_implINS0_14default_configELb1EPKlPlSQ_SR_N2at6native12_GLOBAL__N_18offset_tEEE10hipError_tPvRmT1_PNSt15iterator_traitsISZ_E10value_typeET2_T3_PNS10_IS15_E10value_typeET4_jRbjT5_S1B_jjP12ihipStream_tbEUljE_ZNSN_ISO_Lb1ESQ_SR_SQ_SR_SV_EESW_SX_SY_SZ_S13_S14_S15_S18_S19_jS1A_jS1B_S1B_jjS1D_bEUljE0_EEESW_SX_SY_S15_S19_S1B_T6_T7_T9_mT8_S1D_bDpT10_ENKUlT_T0_E_clISt17integral_constantIbLb0EES1R_EEDaS1M_S1N_EUlS1M_E_NS1_11comp_targetILNS1_3genE4ELNS1_11target_archE910ELNS1_3gpuE8ELNS1_3repE0EEENS1_30default_config_static_selectorELNS0_4arch9wavefront6targetE0EEEvSZ_,@function
_ZN7rocprim17ROCPRIM_400000_NS6detail17trampoline_kernelINS0_13select_configILj256ELj13ELNS0_17block_load_methodE3ELS4_3ELS4_3ELNS0_20block_scan_algorithmE0ELj4294967295EEENS1_25partition_config_selectorILNS1_17partition_subalgoE4EjNS0_10empty_typeEbEEZZNS1_14partition_implILS8_4ELb0ES6_15HIP_vector_typeIjLj2EENS0_17counting_iteratorIjlEEPS9_SG_NS0_5tupleIJPjSI_NS0_16reverse_iteratorISI_EEEEENSH_IJSG_SG_SG_EEES9_SI_JZNS1_25segmented_radix_sort_implINS0_14default_configELb1EPKlPlSQ_SR_N2at6native12_GLOBAL__N_18offset_tEEE10hipError_tPvRmT1_PNSt15iterator_traitsISZ_E10value_typeET2_T3_PNS10_IS15_E10value_typeET4_jRbjT5_S1B_jjP12ihipStream_tbEUljE_ZNSN_ISO_Lb1ESQ_SR_SQ_SR_SV_EESW_SX_SY_SZ_S13_S14_S15_S18_S19_jS1A_jS1B_S1B_jjS1D_bEUljE0_EEESW_SX_SY_S15_S19_S1B_T6_T7_T9_mT8_S1D_bDpT10_ENKUlT_T0_E_clISt17integral_constantIbLb0EES1R_EEDaS1M_S1N_EUlS1M_E_NS1_11comp_targetILNS1_3genE4ELNS1_11target_archE910ELNS1_3gpuE8ELNS1_3repE0EEENS1_30default_config_static_selectorELNS0_4arch9wavefront6targetE0EEEvSZ_: ; @_ZN7rocprim17ROCPRIM_400000_NS6detail17trampoline_kernelINS0_13select_configILj256ELj13ELNS0_17block_load_methodE3ELS4_3ELS4_3ELNS0_20block_scan_algorithmE0ELj4294967295EEENS1_25partition_config_selectorILNS1_17partition_subalgoE4EjNS0_10empty_typeEbEEZZNS1_14partition_implILS8_4ELb0ES6_15HIP_vector_typeIjLj2EENS0_17counting_iteratorIjlEEPS9_SG_NS0_5tupleIJPjSI_NS0_16reverse_iteratorISI_EEEEENSH_IJSG_SG_SG_EEES9_SI_JZNS1_25segmented_radix_sort_implINS0_14default_configELb1EPKlPlSQ_SR_N2at6native12_GLOBAL__N_18offset_tEEE10hipError_tPvRmT1_PNSt15iterator_traitsISZ_E10value_typeET2_T3_PNS10_IS15_E10value_typeET4_jRbjT5_S1B_jjP12ihipStream_tbEUljE_ZNSN_ISO_Lb1ESQ_SR_SQ_SR_SV_EESW_SX_SY_SZ_S13_S14_S15_S18_S19_jS1A_jS1B_S1B_jjS1D_bEUljE0_EEESW_SX_SY_S15_S19_S1B_T6_T7_T9_mT8_S1D_bDpT10_ENKUlT_T0_E_clISt17integral_constantIbLb0EES1R_EEDaS1M_S1N_EUlS1M_E_NS1_11comp_targetILNS1_3genE4ELNS1_11target_archE910ELNS1_3gpuE8ELNS1_3repE0EEENS1_30default_config_static_selectorELNS0_4arch9wavefront6targetE0EEEvSZ_
; %bb.0:
	.section	.rodata,"a",@progbits
	.p2align	6, 0x0
	.amdhsa_kernel _ZN7rocprim17ROCPRIM_400000_NS6detail17trampoline_kernelINS0_13select_configILj256ELj13ELNS0_17block_load_methodE3ELS4_3ELS4_3ELNS0_20block_scan_algorithmE0ELj4294967295EEENS1_25partition_config_selectorILNS1_17partition_subalgoE4EjNS0_10empty_typeEbEEZZNS1_14partition_implILS8_4ELb0ES6_15HIP_vector_typeIjLj2EENS0_17counting_iteratorIjlEEPS9_SG_NS0_5tupleIJPjSI_NS0_16reverse_iteratorISI_EEEEENSH_IJSG_SG_SG_EEES9_SI_JZNS1_25segmented_radix_sort_implINS0_14default_configELb1EPKlPlSQ_SR_N2at6native12_GLOBAL__N_18offset_tEEE10hipError_tPvRmT1_PNSt15iterator_traitsISZ_E10value_typeET2_T3_PNS10_IS15_E10value_typeET4_jRbjT5_S1B_jjP12ihipStream_tbEUljE_ZNSN_ISO_Lb1ESQ_SR_SQ_SR_SV_EESW_SX_SY_SZ_S13_S14_S15_S18_S19_jS1A_jS1B_S1B_jjS1D_bEUljE0_EEESW_SX_SY_S15_S19_S1B_T6_T7_T9_mT8_S1D_bDpT10_ENKUlT_T0_E_clISt17integral_constantIbLb0EES1R_EEDaS1M_S1N_EUlS1M_E_NS1_11comp_targetILNS1_3genE4ELNS1_11target_archE910ELNS1_3gpuE8ELNS1_3repE0EEENS1_30default_config_static_selectorELNS0_4arch9wavefront6targetE0EEEvSZ_
		.amdhsa_group_segment_fixed_size 0
		.amdhsa_private_segment_fixed_size 0
		.amdhsa_kernarg_size 176
		.amdhsa_user_sgpr_count 15
		.amdhsa_user_sgpr_dispatch_ptr 0
		.amdhsa_user_sgpr_queue_ptr 0
		.amdhsa_user_sgpr_kernarg_segment_ptr 1
		.amdhsa_user_sgpr_dispatch_id 0
		.amdhsa_user_sgpr_private_segment_size 0
		.amdhsa_wavefront_size32 1
		.amdhsa_uses_dynamic_stack 0
		.amdhsa_enable_private_segment 0
		.amdhsa_system_sgpr_workgroup_id_x 1
		.amdhsa_system_sgpr_workgroup_id_y 0
		.amdhsa_system_sgpr_workgroup_id_z 0
		.amdhsa_system_sgpr_workgroup_info 0
		.amdhsa_system_vgpr_workitem_id 0
		.amdhsa_next_free_vgpr 1
		.amdhsa_next_free_sgpr 1
		.amdhsa_reserve_vcc 0
		.amdhsa_float_round_mode_32 0
		.amdhsa_float_round_mode_16_64 0
		.amdhsa_float_denorm_mode_32 3
		.amdhsa_float_denorm_mode_16_64 3
		.amdhsa_dx10_clamp 1
		.amdhsa_ieee_mode 1
		.amdhsa_fp16_overflow 0
		.amdhsa_workgroup_processor_mode 1
		.amdhsa_memory_ordered 1
		.amdhsa_forward_progress 0
		.amdhsa_shared_vgpr_count 0
		.amdhsa_exception_fp_ieee_invalid_op 0
		.amdhsa_exception_fp_denorm_src 0
		.amdhsa_exception_fp_ieee_div_zero 0
		.amdhsa_exception_fp_ieee_overflow 0
		.amdhsa_exception_fp_ieee_underflow 0
		.amdhsa_exception_fp_ieee_inexact 0
		.amdhsa_exception_int_div_zero 0
	.end_amdhsa_kernel
	.section	.text._ZN7rocprim17ROCPRIM_400000_NS6detail17trampoline_kernelINS0_13select_configILj256ELj13ELNS0_17block_load_methodE3ELS4_3ELS4_3ELNS0_20block_scan_algorithmE0ELj4294967295EEENS1_25partition_config_selectorILNS1_17partition_subalgoE4EjNS0_10empty_typeEbEEZZNS1_14partition_implILS8_4ELb0ES6_15HIP_vector_typeIjLj2EENS0_17counting_iteratorIjlEEPS9_SG_NS0_5tupleIJPjSI_NS0_16reverse_iteratorISI_EEEEENSH_IJSG_SG_SG_EEES9_SI_JZNS1_25segmented_radix_sort_implINS0_14default_configELb1EPKlPlSQ_SR_N2at6native12_GLOBAL__N_18offset_tEEE10hipError_tPvRmT1_PNSt15iterator_traitsISZ_E10value_typeET2_T3_PNS10_IS15_E10value_typeET4_jRbjT5_S1B_jjP12ihipStream_tbEUljE_ZNSN_ISO_Lb1ESQ_SR_SQ_SR_SV_EESW_SX_SY_SZ_S13_S14_S15_S18_S19_jS1A_jS1B_S1B_jjS1D_bEUljE0_EEESW_SX_SY_S15_S19_S1B_T6_T7_T9_mT8_S1D_bDpT10_ENKUlT_T0_E_clISt17integral_constantIbLb0EES1R_EEDaS1M_S1N_EUlS1M_E_NS1_11comp_targetILNS1_3genE4ELNS1_11target_archE910ELNS1_3gpuE8ELNS1_3repE0EEENS1_30default_config_static_selectorELNS0_4arch9wavefront6targetE0EEEvSZ_,"axG",@progbits,_ZN7rocprim17ROCPRIM_400000_NS6detail17trampoline_kernelINS0_13select_configILj256ELj13ELNS0_17block_load_methodE3ELS4_3ELS4_3ELNS0_20block_scan_algorithmE0ELj4294967295EEENS1_25partition_config_selectorILNS1_17partition_subalgoE4EjNS0_10empty_typeEbEEZZNS1_14partition_implILS8_4ELb0ES6_15HIP_vector_typeIjLj2EENS0_17counting_iteratorIjlEEPS9_SG_NS0_5tupleIJPjSI_NS0_16reverse_iteratorISI_EEEEENSH_IJSG_SG_SG_EEES9_SI_JZNS1_25segmented_radix_sort_implINS0_14default_configELb1EPKlPlSQ_SR_N2at6native12_GLOBAL__N_18offset_tEEE10hipError_tPvRmT1_PNSt15iterator_traitsISZ_E10value_typeET2_T3_PNS10_IS15_E10value_typeET4_jRbjT5_S1B_jjP12ihipStream_tbEUljE_ZNSN_ISO_Lb1ESQ_SR_SQ_SR_SV_EESW_SX_SY_SZ_S13_S14_S15_S18_S19_jS1A_jS1B_S1B_jjS1D_bEUljE0_EEESW_SX_SY_S15_S19_S1B_T6_T7_T9_mT8_S1D_bDpT10_ENKUlT_T0_E_clISt17integral_constantIbLb0EES1R_EEDaS1M_S1N_EUlS1M_E_NS1_11comp_targetILNS1_3genE4ELNS1_11target_archE910ELNS1_3gpuE8ELNS1_3repE0EEENS1_30default_config_static_selectorELNS0_4arch9wavefront6targetE0EEEvSZ_,comdat
.Lfunc_end642:
	.size	_ZN7rocprim17ROCPRIM_400000_NS6detail17trampoline_kernelINS0_13select_configILj256ELj13ELNS0_17block_load_methodE3ELS4_3ELS4_3ELNS0_20block_scan_algorithmE0ELj4294967295EEENS1_25partition_config_selectorILNS1_17partition_subalgoE4EjNS0_10empty_typeEbEEZZNS1_14partition_implILS8_4ELb0ES6_15HIP_vector_typeIjLj2EENS0_17counting_iteratorIjlEEPS9_SG_NS0_5tupleIJPjSI_NS0_16reverse_iteratorISI_EEEEENSH_IJSG_SG_SG_EEES9_SI_JZNS1_25segmented_radix_sort_implINS0_14default_configELb1EPKlPlSQ_SR_N2at6native12_GLOBAL__N_18offset_tEEE10hipError_tPvRmT1_PNSt15iterator_traitsISZ_E10value_typeET2_T3_PNS10_IS15_E10value_typeET4_jRbjT5_S1B_jjP12ihipStream_tbEUljE_ZNSN_ISO_Lb1ESQ_SR_SQ_SR_SV_EESW_SX_SY_SZ_S13_S14_S15_S18_S19_jS1A_jS1B_S1B_jjS1D_bEUljE0_EEESW_SX_SY_S15_S19_S1B_T6_T7_T9_mT8_S1D_bDpT10_ENKUlT_T0_E_clISt17integral_constantIbLb0EES1R_EEDaS1M_S1N_EUlS1M_E_NS1_11comp_targetILNS1_3genE4ELNS1_11target_archE910ELNS1_3gpuE8ELNS1_3repE0EEENS1_30default_config_static_selectorELNS0_4arch9wavefront6targetE0EEEvSZ_, .Lfunc_end642-_ZN7rocprim17ROCPRIM_400000_NS6detail17trampoline_kernelINS0_13select_configILj256ELj13ELNS0_17block_load_methodE3ELS4_3ELS4_3ELNS0_20block_scan_algorithmE0ELj4294967295EEENS1_25partition_config_selectorILNS1_17partition_subalgoE4EjNS0_10empty_typeEbEEZZNS1_14partition_implILS8_4ELb0ES6_15HIP_vector_typeIjLj2EENS0_17counting_iteratorIjlEEPS9_SG_NS0_5tupleIJPjSI_NS0_16reverse_iteratorISI_EEEEENSH_IJSG_SG_SG_EEES9_SI_JZNS1_25segmented_radix_sort_implINS0_14default_configELb1EPKlPlSQ_SR_N2at6native12_GLOBAL__N_18offset_tEEE10hipError_tPvRmT1_PNSt15iterator_traitsISZ_E10value_typeET2_T3_PNS10_IS15_E10value_typeET4_jRbjT5_S1B_jjP12ihipStream_tbEUljE_ZNSN_ISO_Lb1ESQ_SR_SQ_SR_SV_EESW_SX_SY_SZ_S13_S14_S15_S18_S19_jS1A_jS1B_S1B_jjS1D_bEUljE0_EEESW_SX_SY_S15_S19_S1B_T6_T7_T9_mT8_S1D_bDpT10_ENKUlT_T0_E_clISt17integral_constantIbLb0EES1R_EEDaS1M_S1N_EUlS1M_E_NS1_11comp_targetILNS1_3genE4ELNS1_11target_archE910ELNS1_3gpuE8ELNS1_3repE0EEENS1_30default_config_static_selectorELNS0_4arch9wavefront6targetE0EEEvSZ_
                                        ; -- End function
	.section	.AMDGPU.csdata,"",@progbits
; Kernel info:
; codeLenInByte = 0
; NumSgprs: 0
; NumVgprs: 0
; ScratchSize: 0
; MemoryBound: 0
; FloatMode: 240
; IeeeMode: 1
; LDSByteSize: 0 bytes/workgroup (compile time only)
; SGPRBlocks: 0
; VGPRBlocks: 0
; NumSGPRsForWavesPerEU: 1
; NumVGPRsForWavesPerEU: 1
; Occupancy: 16
; WaveLimiterHint : 0
; COMPUTE_PGM_RSRC2:SCRATCH_EN: 0
; COMPUTE_PGM_RSRC2:USER_SGPR: 15
; COMPUTE_PGM_RSRC2:TRAP_HANDLER: 0
; COMPUTE_PGM_RSRC2:TGID_X_EN: 1
; COMPUTE_PGM_RSRC2:TGID_Y_EN: 0
; COMPUTE_PGM_RSRC2:TGID_Z_EN: 0
; COMPUTE_PGM_RSRC2:TIDIG_COMP_CNT: 0
	.section	.text._ZN7rocprim17ROCPRIM_400000_NS6detail17trampoline_kernelINS0_13select_configILj256ELj13ELNS0_17block_load_methodE3ELS4_3ELS4_3ELNS0_20block_scan_algorithmE0ELj4294967295EEENS1_25partition_config_selectorILNS1_17partition_subalgoE4EjNS0_10empty_typeEbEEZZNS1_14partition_implILS8_4ELb0ES6_15HIP_vector_typeIjLj2EENS0_17counting_iteratorIjlEEPS9_SG_NS0_5tupleIJPjSI_NS0_16reverse_iteratorISI_EEEEENSH_IJSG_SG_SG_EEES9_SI_JZNS1_25segmented_radix_sort_implINS0_14default_configELb1EPKlPlSQ_SR_N2at6native12_GLOBAL__N_18offset_tEEE10hipError_tPvRmT1_PNSt15iterator_traitsISZ_E10value_typeET2_T3_PNS10_IS15_E10value_typeET4_jRbjT5_S1B_jjP12ihipStream_tbEUljE_ZNSN_ISO_Lb1ESQ_SR_SQ_SR_SV_EESW_SX_SY_SZ_S13_S14_S15_S18_S19_jS1A_jS1B_S1B_jjS1D_bEUljE0_EEESW_SX_SY_S15_S19_S1B_T6_T7_T9_mT8_S1D_bDpT10_ENKUlT_T0_E_clISt17integral_constantIbLb0EES1R_EEDaS1M_S1N_EUlS1M_E_NS1_11comp_targetILNS1_3genE3ELNS1_11target_archE908ELNS1_3gpuE7ELNS1_3repE0EEENS1_30default_config_static_selectorELNS0_4arch9wavefront6targetE0EEEvSZ_,"axG",@progbits,_ZN7rocprim17ROCPRIM_400000_NS6detail17trampoline_kernelINS0_13select_configILj256ELj13ELNS0_17block_load_methodE3ELS4_3ELS4_3ELNS0_20block_scan_algorithmE0ELj4294967295EEENS1_25partition_config_selectorILNS1_17partition_subalgoE4EjNS0_10empty_typeEbEEZZNS1_14partition_implILS8_4ELb0ES6_15HIP_vector_typeIjLj2EENS0_17counting_iteratorIjlEEPS9_SG_NS0_5tupleIJPjSI_NS0_16reverse_iteratorISI_EEEEENSH_IJSG_SG_SG_EEES9_SI_JZNS1_25segmented_radix_sort_implINS0_14default_configELb1EPKlPlSQ_SR_N2at6native12_GLOBAL__N_18offset_tEEE10hipError_tPvRmT1_PNSt15iterator_traitsISZ_E10value_typeET2_T3_PNS10_IS15_E10value_typeET4_jRbjT5_S1B_jjP12ihipStream_tbEUljE_ZNSN_ISO_Lb1ESQ_SR_SQ_SR_SV_EESW_SX_SY_SZ_S13_S14_S15_S18_S19_jS1A_jS1B_S1B_jjS1D_bEUljE0_EEESW_SX_SY_S15_S19_S1B_T6_T7_T9_mT8_S1D_bDpT10_ENKUlT_T0_E_clISt17integral_constantIbLb0EES1R_EEDaS1M_S1N_EUlS1M_E_NS1_11comp_targetILNS1_3genE3ELNS1_11target_archE908ELNS1_3gpuE7ELNS1_3repE0EEENS1_30default_config_static_selectorELNS0_4arch9wavefront6targetE0EEEvSZ_,comdat
	.globl	_ZN7rocprim17ROCPRIM_400000_NS6detail17trampoline_kernelINS0_13select_configILj256ELj13ELNS0_17block_load_methodE3ELS4_3ELS4_3ELNS0_20block_scan_algorithmE0ELj4294967295EEENS1_25partition_config_selectorILNS1_17partition_subalgoE4EjNS0_10empty_typeEbEEZZNS1_14partition_implILS8_4ELb0ES6_15HIP_vector_typeIjLj2EENS0_17counting_iteratorIjlEEPS9_SG_NS0_5tupleIJPjSI_NS0_16reverse_iteratorISI_EEEEENSH_IJSG_SG_SG_EEES9_SI_JZNS1_25segmented_radix_sort_implINS0_14default_configELb1EPKlPlSQ_SR_N2at6native12_GLOBAL__N_18offset_tEEE10hipError_tPvRmT1_PNSt15iterator_traitsISZ_E10value_typeET2_T3_PNS10_IS15_E10value_typeET4_jRbjT5_S1B_jjP12ihipStream_tbEUljE_ZNSN_ISO_Lb1ESQ_SR_SQ_SR_SV_EESW_SX_SY_SZ_S13_S14_S15_S18_S19_jS1A_jS1B_S1B_jjS1D_bEUljE0_EEESW_SX_SY_S15_S19_S1B_T6_T7_T9_mT8_S1D_bDpT10_ENKUlT_T0_E_clISt17integral_constantIbLb0EES1R_EEDaS1M_S1N_EUlS1M_E_NS1_11comp_targetILNS1_3genE3ELNS1_11target_archE908ELNS1_3gpuE7ELNS1_3repE0EEENS1_30default_config_static_selectorELNS0_4arch9wavefront6targetE0EEEvSZ_ ; -- Begin function _ZN7rocprim17ROCPRIM_400000_NS6detail17trampoline_kernelINS0_13select_configILj256ELj13ELNS0_17block_load_methodE3ELS4_3ELS4_3ELNS0_20block_scan_algorithmE0ELj4294967295EEENS1_25partition_config_selectorILNS1_17partition_subalgoE4EjNS0_10empty_typeEbEEZZNS1_14partition_implILS8_4ELb0ES6_15HIP_vector_typeIjLj2EENS0_17counting_iteratorIjlEEPS9_SG_NS0_5tupleIJPjSI_NS0_16reverse_iteratorISI_EEEEENSH_IJSG_SG_SG_EEES9_SI_JZNS1_25segmented_radix_sort_implINS0_14default_configELb1EPKlPlSQ_SR_N2at6native12_GLOBAL__N_18offset_tEEE10hipError_tPvRmT1_PNSt15iterator_traitsISZ_E10value_typeET2_T3_PNS10_IS15_E10value_typeET4_jRbjT5_S1B_jjP12ihipStream_tbEUljE_ZNSN_ISO_Lb1ESQ_SR_SQ_SR_SV_EESW_SX_SY_SZ_S13_S14_S15_S18_S19_jS1A_jS1B_S1B_jjS1D_bEUljE0_EEESW_SX_SY_S15_S19_S1B_T6_T7_T9_mT8_S1D_bDpT10_ENKUlT_T0_E_clISt17integral_constantIbLb0EES1R_EEDaS1M_S1N_EUlS1M_E_NS1_11comp_targetILNS1_3genE3ELNS1_11target_archE908ELNS1_3gpuE7ELNS1_3repE0EEENS1_30default_config_static_selectorELNS0_4arch9wavefront6targetE0EEEvSZ_
	.p2align	8
	.type	_ZN7rocprim17ROCPRIM_400000_NS6detail17trampoline_kernelINS0_13select_configILj256ELj13ELNS0_17block_load_methodE3ELS4_3ELS4_3ELNS0_20block_scan_algorithmE0ELj4294967295EEENS1_25partition_config_selectorILNS1_17partition_subalgoE4EjNS0_10empty_typeEbEEZZNS1_14partition_implILS8_4ELb0ES6_15HIP_vector_typeIjLj2EENS0_17counting_iteratorIjlEEPS9_SG_NS0_5tupleIJPjSI_NS0_16reverse_iteratorISI_EEEEENSH_IJSG_SG_SG_EEES9_SI_JZNS1_25segmented_radix_sort_implINS0_14default_configELb1EPKlPlSQ_SR_N2at6native12_GLOBAL__N_18offset_tEEE10hipError_tPvRmT1_PNSt15iterator_traitsISZ_E10value_typeET2_T3_PNS10_IS15_E10value_typeET4_jRbjT5_S1B_jjP12ihipStream_tbEUljE_ZNSN_ISO_Lb1ESQ_SR_SQ_SR_SV_EESW_SX_SY_SZ_S13_S14_S15_S18_S19_jS1A_jS1B_S1B_jjS1D_bEUljE0_EEESW_SX_SY_S15_S19_S1B_T6_T7_T9_mT8_S1D_bDpT10_ENKUlT_T0_E_clISt17integral_constantIbLb0EES1R_EEDaS1M_S1N_EUlS1M_E_NS1_11comp_targetILNS1_3genE3ELNS1_11target_archE908ELNS1_3gpuE7ELNS1_3repE0EEENS1_30default_config_static_selectorELNS0_4arch9wavefront6targetE0EEEvSZ_,@function
_ZN7rocprim17ROCPRIM_400000_NS6detail17trampoline_kernelINS0_13select_configILj256ELj13ELNS0_17block_load_methodE3ELS4_3ELS4_3ELNS0_20block_scan_algorithmE0ELj4294967295EEENS1_25partition_config_selectorILNS1_17partition_subalgoE4EjNS0_10empty_typeEbEEZZNS1_14partition_implILS8_4ELb0ES6_15HIP_vector_typeIjLj2EENS0_17counting_iteratorIjlEEPS9_SG_NS0_5tupleIJPjSI_NS0_16reverse_iteratorISI_EEEEENSH_IJSG_SG_SG_EEES9_SI_JZNS1_25segmented_radix_sort_implINS0_14default_configELb1EPKlPlSQ_SR_N2at6native12_GLOBAL__N_18offset_tEEE10hipError_tPvRmT1_PNSt15iterator_traitsISZ_E10value_typeET2_T3_PNS10_IS15_E10value_typeET4_jRbjT5_S1B_jjP12ihipStream_tbEUljE_ZNSN_ISO_Lb1ESQ_SR_SQ_SR_SV_EESW_SX_SY_SZ_S13_S14_S15_S18_S19_jS1A_jS1B_S1B_jjS1D_bEUljE0_EEESW_SX_SY_S15_S19_S1B_T6_T7_T9_mT8_S1D_bDpT10_ENKUlT_T0_E_clISt17integral_constantIbLb0EES1R_EEDaS1M_S1N_EUlS1M_E_NS1_11comp_targetILNS1_3genE3ELNS1_11target_archE908ELNS1_3gpuE7ELNS1_3repE0EEENS1_30default_config_static_selectorELNS0_4arch9wavefront6targetE0EEEvSZ_: ; @_ZN7rocprim17ROCPRIM_400000_NS6detail17trampoline_kernelINS0_13select_configILj256ELj13ELNS0_17block_load_methodE3ELS4_3ELS4_3ELNS0_20block_scan_algorithmE0ELj4294967295EEENS1_25partition_config_selectorILNS1_17partition_subalgoE4EjNS0_10empty_typeEbEEZZNS1_14partition_implILS8_4ELb0ES6_15HIP_vector_typeIjLj2EENS0_17counting_iteratorIjlEEPS9_SG_NS0_5tupleIJPjSI_NS0_16reverse_iteratorISI_EEEEENSH_IJSG_SG_SG_EEES9_SI_JZNS1_25segmented_radix_sort_implINS0_14default_configELb1EPKlPlSQ_SR_N2at6native12_GLOBAL__N_18offset_tEEE10hipError_tPvRmT1_PNSt15iterator_traitsISZ_E10value_typeET2_T3_PNS10_IS15_E10value_typeET4_jRbjT5_S1B_jjP12ihipStream_tbEUljE_ZNSN_ISO_Lb1ESQ_SR_SQ_SR_SV_EESW_SX_SY_SZ_S13_S14_S15_S18_S19_jS1A_jS1B_S1B_jjS1D_bEUljE0_EEESW_SX_SY_S15_S19_S1B_T6_T7_T9_mT8_S1D_bDpT10_ENKUlT_T0_E_clISt17integral_constantIbLb0EES1R_EEDaS1M_S1N_EUlS1M_E_NS1_11comp_targetILNS1_3genE3ELNS1_11target_archE908ELNS1_3gpuE7ELNS1_3repE0EEENS1_30default_config_static_selectorELNS0_4arch9wavefront6targetE0EEEvSZ_
; %bb.0:
	.section	.rodata,"a",@progbits
	.p2align	6, 0x0
	.amdhsa_kernel _ZN7rocprim17ROCPRIM_400000_NS6detail17trampoline_kernelINS0_13select_configILj256ELj13ELNS0_17block_load_methodE3ELS4_3ELS4_3ELNS0_20block_scan_algorithmE0ELj4294967295EEENS1_25partition_config_selectorILNS1_17partition_subalgoE4EjNS0_10empty_typeEbEEZZNS1_14partition_implILS8_4ELb0ES6_15HIP_vector_typeIjLj2EENS0_17counting_iteratorIjlEEPS9_SG_NS0_5tupleIJPjSI_NS0_16reverse_iteratorISI_EEEEENSH_IJSG_SG_SG_EEES9_SI_JZNS1_25segmented_radix_sort_implINS0_14default_configELb1EPKlPlSQ_SR_N2at6native12_GLOBAL__N_18offset_tEEE10hipError_tPvRmT1_PNSt15iterator_traitsISZ_E10value_typeET2_T3_PNS10_IS15_E10value_typeET4_jRbjT5_S1B_jjP12ihipStream_tbEUljE_ZNSN_ISO_Lb1ESQ_SR_SQ_SR_SV_EESW_SX_SY_SZ_S13_S14_S15_S18_S19_jS1A_jS1B_S1B_jjS1D_bEUljE0_EEESW_SX_SY_S15_S19_S1B_T6_T7_T9_mT8_S1D_bDpT10_ENKUlT_T0_E_clISt17integral_constantIbLb0EES1R_EEDaS1M_S1N_EUlS1M_E_NS1_11comp_targetILNS1_3genE3ELNS1_11target_archE908ELNS1_3gpuE7ELNS1_3repE0EEENS1_30default_config_static_selectorELNS0_4arch9wavefront6targetE0EEEvSZ_
		.amdhsa_group_segment_fixed_size 0
		.amdhsa_private_segment_fixed_size 0
		.amdhsa_kernarg_size 176
		.amdhsa_user_sgpr_count 15
		.amdhsa_user_sgpr_dispatch_ptr 0
		.amdhsa_user_sgpr_queue_ptr 0
		.amdhsa_user_sgpr_kernarg_segment_ptr 1
		.amdhsa_user_sgpr_dispatch_id 0
		.amdhsa_user_sgpr_private_segment_size 0
		.amdhsa_wavefront_size32 1
		.amdhsa_uses_dynamic_stack 0
		.amdhsa_enable_private_segment 0
		.amdhsa_system_sgpr_workgroup_id_x 1
		.amdhsa_system_sgpr_workgroup_id_y 0
		.amdhsa_system_sgpr_workgroup_id_z 0
		.amdhsa_system_sgpr_workgroup_info 0
		.amdhsa_system_vgpr_workitem_id 0
		.amdhsa_next_free_vgpr 1
		.amdhsa_next_free_sgpr 1
		.amdhsa_reserve_vcc 0
		.amdhsa_float_round_mode_32 0
		.amdhsa_float_round_mode_16_64 0
		.amdhsa_float_denorm_mode_32 3
		.amdhsa_float_denorm_mode_16_64 3
		.amdhsa_dx10_clamp 1
		.amdhsa_ieee_mode 1
		.amdhsa_fp16_overflow 0
		.amdhsa_workgroup_processor_mode 1
		.amdhsa_memory_ordered 1
		.amdhsa_forward_progress 0
		.amdhsa_shared_vgpr_count 0
		.amdhsa_exception_fp_ieee_invalid_op 0
		.amdhsa_exception_fp_denorm_src 0
		.amdhsa_exception_fp_ieee_div_zero 0
		.amdhsa_exception_fp_ieee_overflow 0
		.amdhsa_exception_fp_ieee_underflow 0
		.amdhsa_exception_fp_ieee_inexact 0
		.amdhsa_exception_int_div_zero 0
	.end_amdhsa_kernel
	.section	.text._ZN7rocprim17ROCPRIM_400000_NS6detail17trampoline_kernelINS0_13select_configILj256ELj13ELNS0_17block_load_methodE3ELS4_3ELS4_3ELNS0_20block_scan_algorithmE0ELj4294967295EEENS1_25partition_config_selectorILNS1_17partition_subalgoE4EjNS0_10empty_typeEbEEZZNS1_14partition_implILS8_4ELb0ES6_15HIP_vector_typeIjLj2EENS0_17counting_iteratorIjlEEPS9_SG_NS0_5tupleIJPjSI_NS0_16reverse_iteratorISI_EEEEENSH_IJSG_SG_SG_EEES9_SI_JZNS1_25segmented_radix_sort_implINS0_14default_configELb1EPKlPlSQ_SR_N2at6native12_GLOBAL__N_18offset_tEEE10hipError_tPvRmT1_PNSt15iterator_traitsISZ_E10value_typeET2_T3_PNS10_IS15_E10value_typeET4_jRbjT5_S1B_jjP12ihipStream_tbEUljE_ZNSN_ISO_Lb1ESQ_SR_SQ_SR_SV_EESW_SX_SY_SZ_S13_S14_S15_S18_S19_jS1A_jS1B_S1B_jjS1D_bEUljE0_EEESW_SX_SY_S15_S19_S1B_T6_T7_T9_mT8_S1D_bDpT10_ENKUlT_T0_E_clISt17integral_constantIbLb0EES1R_EEDaS1M_S1N_EUlS1M_E_NS1_11comp_targetILNS1_3genE3ELNS1_11target_archE908ELNS1_3gpuE7ELNS1_3repE0EEENS1_30default_config_static_selectorELNS0_4arch9wavefront6targetE0EEEvSZ_,"axG",@progbits,_ZN7rocprim17ROCPRIM_400000_NS6detail17trampoline_kernelINS0_13select_configILj256ELj13ELNS0_17block_load_methodE3ELS4_3ELS4_3ELNS0_20block_scan_algorithmE0ELj4294967295EEENS1_25partition_config_selectorILNS1_17partition_subalgoE4EjNS0_10empty_typeEbEEZZNS1_14partition_implILS8_4ELb0ES6_15HIP_vector_typeIjLj2EENS0_17counting_iteratorIjlEEPS9_SG_NS0_5tupleIJPjSI_NS0_16reverse_iteratorISI_EEEEENSH_IJSG_SG_SG_EEES9_SI_JZNS1_25segmented_radix_sort_implINS0_14default_configELb1EPKlPlSQ_SR_N2at6native12_GLOBAL__N_18offset_tEEE10hipError_tPvRmT1_PNSt15iterator_traitsISZ_E10value_typeET2_T3_PNS10_IS15_E10value_typeET4_jRbjT5_S1B_jjP12ihipStream_tbEUljE_ZNSN_ISO_Lb1ESQ_SR_SQ_SR_SV_EESW_SX_SY_SZ_S13_S14_S15_S18_S19_jS1A_jS1B_S1B_jjS1D_bEUljE0_EEESW_SX_SY_S15_S19_S1B_T6_T7_T9_mT8_S1D_bDpT10_ENKUlT_T0_E_clISt17integral_constantIbLb0EES1R_EEDaS1M_S1N_EUlS1M_E_NS1_11comp_targetILNS1_3genE3ELNS1_11target_archE908ELNS1_3gpuE7ELNS1_3repE0EEENS1_30default_config_static_selectorELNS0_4arch9wavefront6targetE0EEEvSZ_,comdat
.Lfunc_end643:
	.size	_ZN7rocprim17ROCPRIM_400000_NS6detail17trampoline_kernelINS0_13select_configILj256ELj13ELNS0_17block_load_methodE3ELS4_3ELS4_3ELNS0_20block_scan_algorithmE0ELj4294967295EEENS1_25partition_config_selectorILNS1_17partition_subalgoE4EjNS0_10empty_typeEbEEZZNS1_14partition_implILS8_4ELb0ES6_15HIP_vector_typeIjLj2EENS0_17counting_iteratorIjlEEPS9_SG_NS0_5tupleIJPjSI_NS0_16reverse_iteratorISI_EEEEENSH_IJSG_SG_SG_EEES9_SI_JZNS1_25segmented_radix_sort_implINS0_14default_configELb1EPKlPlSQ_SR_N2at6native12_GLOBAL__N_18offset_tEEE10hipError_tPvRmT1_PNSt15iterator_traitsISZ_E10value_typeET2_T3_PNS10_IS15_E10value_typeET4_jRbjT5_S1B_jjP12ihipStream_tbEUljE_ZNSN_ISO_Lb1ESQ_SR_SQ_SR_SV_EESW_SX_SY_SZ_S13_S14_S15_S18_S19_jS1A_jS1B_S1B_jjS1D_bEUljE0_EEESW_SX_SY_S15_S19_S1B_T6_T7_T9_mT8_S1D_bDpT10_ENKUlT_T0_E_clISt17integral_constantIbLb0EES1R_EEDaS1M_S1N_EUlS1M_E_NS1_11comp_targetILNS1_3genE3ELNS1_11target_archE908ELNS1_3gpuE7ELNS1_3repE0EEENS1_30default_config_static_selectorELNS0_4arch9wavefront6targetE0EEEvSZ_, .Lfunc_end643-_ZN7rocprim17ROCPRIM_400000_NS6detail17trampoline_kernelINS0_13select_configILj256ELj13ELNS0_17block_load_methodE3ELS4_3ELS4_3ELNS0_20block_scan_algorithmE0ELj4294967295EEENS1_25partition_config_selectorILNS1_17partition_subalgoE4EjNS0_10empty_typeEbEEZZNS1_14partition_implILS8_4ELb0ES6_15HIP_vector_typeIjLj2EENS0_17counting_iteratorIjlEEPS9_SG_NS0_5tupleIJPjSI_NS0_16reverse_iteratorISI_EEEEENSH_IJSG_SG_SG_EEES9_SI_JZNS1_25segmented_radix_sort_implINS0_14default_configELb1EPKlPlSQ_SR_N2at6native12_GLOBAL__N_18offset_tEEE10hipError_tPvRmT1_PNSt15iterator_traitsISZ_E10value_typeET2_T3_PNS10_IS15_E10value_typeET4_jRbjT5_S1B_jjP12ihipStream_tbEUljE_ZNSN_ISO_Lb1ESQ_SR_SQ_SR_SV_EESW_SX_SY_SZ_S13_S14_S15_S18_S19_jS1A_jS1B_S1B_jjS1D_bEUljE0_EEESW_SX_SY_S15_S19_S1B_T6_T7_T9_mT8_S1D_bDpT10_ENKUlT_T0_E_clISt17integral_constantIbLb0EES1R_EEDaS1M_S1N_EUlS1M_E_NS1_11comp_targetILNS1_3genE3ELNS1_11target_archE908ELNS1_3gpuE7ELNS1_3repE0EEENS1_30default_config_static_selectorELNS0_4arch9wavefront6targetE0EEEvSZ_
                                        ; -- End function
	.section	.AMDGPU.csdata,"",@progbits
; Kernel info:
; codeLenInByte = 0
; NumSgprs: 0
; NumVgprs: 0
; ScratchSize: 0
; MemoryBound: 0
; FloatMode: 240
; IeeeMode: 1
; LDSByteSize: 0 bytes/workgroup (compile time only)
; SGPRBlocks: 0
; VGPRBlocks: 0
; NumSGPRsForWavesPerEU: 1
; NumVGPRsForWavesPerEU: 1
; Occupancy: 16
; WaveLimiterHint : 0
; COMPUTE_PGM_RSRC2:SCRATCH_EN: 0
; COMPUTE_PGM_RSRC2:USER_SGPR: 15
; COMPUTE_PGM_RSRC2:TRAP_HANDLER: 0
; COMPUTE_PGM_RSRC2:TGID_X_EN: 1
; COMPUTE_PGM_RSRC2:TGID_Y_EN: 0
; COMPUTE_PGM_RSRC2:TGID_Z_EN: 0
; COMPUTE_PGM_RSRC2:TIDIG_COMP_CNT: 0
	.section	.text._ZN7rocprim17ROCPRIM_400000_NS6detail17trampoline_kernelINS0_13select_configILj256ELj13ELNS0_17block_load_methodE3ELS4_3ELS4_3ELNS0_20block_scan_algorithmE0ELj4294967295EEENS1_25partition_config_selectorILNS1_17partition_subalgoE4EjNS0_10empty_typeEbEEZZNS1_14partition_implILS8_4ELb0ES6_15HIP_vector_typeIjLj2EENS0_17counting_iteratorIjlEEPS9_SG_NS0_5tupleIJPjSI_NS0_16reverse_iteratorISI_EEEEENSH_IJSG_SG_SG_EEES9_SI_JZNS1_25segmented_radix_sort_implINS0_14default_configELb1EPKlPlSQ_SR_N2at6native12_GLOBAL__N_18offset_tEEE10hipError_tPvRmT1_PNSt15iterator_traitsISZ_E10value_typeET2_T3_PNS10_IS15_E10value_typeET4_jRbjT5_S1B_jjP12ihipStream_tbEUljE_ZNSN_ISO_Lb1ESQ_SR_SQ_SR_SV_EESW_SX_SY_SZ_S13_S14_S15_S18_S19_jS1A_jS1B_S1B_jjS1D_bEUljE0_EEESW_SX_SY_S15_S19_S1B_T6_T7_T9_mT8_S1D_bDpT10_ENKUlT_T0_E_clISt17integral_constantIbLb0EES1R_EEDaS1M_S1N_EUlS1M_E_NS1_11comp_targetILNS1_3genE2ELNS1_11target_archE906ELNS1_3gpuE6ELNS1_3repE0EEENS1_30default_config_static_selectorELNS0_4arch9wavefront6targetE0EEEvSZ_,"axG",@progbits,_ZN7rocprim17ROCPRIM_400000_NS6detail17trampoline_kernelINS0_13select_configILj256ELj13ELNS0_17block_load_methodE3ELS4_3ELS4_3ELNS0_20block_scan_algorithmE0ELj4294967295EEENS1_25partition_config_selectorILNS1_17partition_subalgoE4EjNS0_10empty_typeEbEEZZNS1_14partition_implILS8_4ELb0ES6_15HIP_vector_typeIjLj2EENS0_17counting_iteratorIjlEEPS9_SG_NS0_5tupleIJPjSI_NS0_16reverse_iteratorISI_EEEEENSH_IJSG_SG_SG_EEES9_SI_JZNS1_25segmented_radix_sort_implINS0_14default_configELb1EPKlPlSQ_SR_N2at6native12_GLOBAL__N_18offset_tEEE10hipError_tPvRmT1_PNSt15iterator_traitsISZ_E10value_typeET2_T3_PNS10_IS15_E10value_typeET4_jRbjT5_S1B_jjP12ihipStream_tbEUljE_ZNSN_ISO_Lb1ESQ_SR_SQ_SR_SV_EESW_SX_SY_SZ_S13_S14_S15_S18_S19_jS1A_jS1B_S1B_jjS1D_bEUljE0_EEESW_SX_SY_S15_S19_S1B_T6_T7_T9_mT8_S1D_bDpT10_ENKUlT_T0_E_clISt17integral_constantIbLb0EES1R_EEDaS1M_S1N_EUlS1M_E_NS1_11comp_targetILNS1_3genE2ELNS1_11target_archE906ELNS1_3gpuE6ELNS1_3repE0EEENS1_30default_config_static_selectorELNS0_4arch9wavefront6targetE0EEEvSZ_,comdat
	.globl	_ZN7rocprim17ROCPRIM_400000_NS6detail17trampoline_kernelINS0_13select_configILj256ELj13ELNS0_17block_load_methodE3ELS4_3ELS4_3ELNS0_20block_scan_algorithmE0ELj4294967295EEENS1_25partition_config_selectorILNS1_17partition_subalgoE4EjNS0_10empty_typeEbEEZZNS1_14partition_implILS8_4ELb0ES6_15HIP_vector_typeIjLj2EENS0_17counting_iteratorIjlEEPS9_SG_NS0_5tupleIJPjSI_NS0_16reverse_iteratorISI_EEEEENSH_IJSG_SG_SG_EEES9_SI_JZNS1_25segmented_radix_sort_implINS0_14default_configELb1EPKlPlSQ_SR_N2at6native12_GLOBAL__N_18offset_tEEE10hipError_tPvRmT1_PNSt15iterator_traitsISZ_E10value_typeET2_T3_PNS10_IS15_E10value_typeET4_jRbjT5_S1B_jjP12ihipStream_tbEUljE_ZNSN_ISO_Lb1ESQ_SR_SQ_SR_SV_EESW_SX_SY_SZ_S13_S14_S15_S18_S19_jS1A_jS1B_S1B_jjS1D_bEUljE0_EEESW_SX_SY_S15_S19_S1B_T6_T7_T9_mT8_S1D_bDpT10_ENKUlT_T0_E_clISt17integral_constantIbLb0EES1R_EEDaS1M_S1N_EUlS1M_E_NS1_11comp_targetILNS1_3genE2ELNS1_11target_archE906ELNS1_3gpuE6ELNS1_3repE0EEENS1_30default_config_static_selectorELNS0_4arch9wavefront6targetE0EEEvSZ_ ; -- Begin function _ZN7rocprim17ROCPRIM_400000_NS6detail17trampoline_kernelINS0_13select_configILj256ELj13ELNS0_17block_load_methodE3ELS4_3ELS4_3ELNS0_20block_scan_algorithmE0ELj4294967295EEENS1_25partition_config_selectorILNS1_17partition_subalgoE4EjNS0_10empty_typeEbEEZZNS1_14partition_implILS8_4ELb0ES6_15HIP_vector_typeIjLj2EENS0_17counting_iteratorIjlEEPS9_SG_NS0_5tupleIJPjSI_NS0_16reverse_iteratorISI_EEEEENSH_IJSG_SG_SG_EEES9_SI_JZNS1_25segmented_radix_sort_implINS0_14default_configELb1EPKlPlSQ_SR_N2at6native12_GLOBAL__N_18offset_tEEE10hipError_tPvRmT1_PNSt15iterator_traitsISZ_E10value_typeET2_T3_PNS10_IS15_E10value_typeET4_jRbjT5_S1B_jjP12ihipStream_tbEUljE_ZNSN_ISO_Lb1ESQ_SR_SQ_SR_SV_EESW_SX_SY_SZ_S13_S14_S15_S18_S19_jS1A_jS1B_S1B_jjS1D_bEUljE0_EEESW_SX_SY_S15_S19_S1B_T6_T7_T9_mT8_S1D_bDpT10_ENKUlT_T0_E_clISt17integral_constantIbLb0EES1R_EEDaS1M_S1N_EUlS1M_E_NS1_11comp_targetILNS1_3genE2ELNS1_11target_archE906ELNS1_3gpuE6ELNS1_3repE0EEENS1_30default_config_static_selectorELNS0_4arch9wavefront6targetE0EEEvSZ_
	.p2align	8
	.type	_ZN7rocprim17ROCPRIM_400000_NS6detail17trampoline_kernelINS0_13select_configILj256ELj13ELNS0_17block_load_methodE3ELS4_3ELS4_3ELNS0_20block_scan_algorithmE0ELj4294967295EEENS1_25partition_config_selectorILNS1_17partition_subalgoE4EjNS0_10empty_typeEbEEZZNS1_14partition_implILS8_4ELb0ES6_15HIP_vector_typeIjLj2EENS0_17counting_iteratorIjlEEPS9_SG_NS0_5tupleIJPjSI_NS0_16reverse_iteratorISI_EEEEENSH_IJSG_SG_SG_EEES9_SI_JZNS1_25segmented_radix_sort_implINS0_14default_configELb1EPKlPlSQ_SR_N2at6native12_GLOBAL__N_18offset_tEEE10hipError_tPvRmT1_PNSt15iterator_traitsISZ_E10value_typeET2_T3_PNS10_IS15_E10value_typeET4_jRbjT5_S1B_jjP12ihipStream_tbEUljE_ZNSN_ISO_Lb1ESQ_SR_SQ_SR_SV_EESW_SX_SY_SZ_S13_S14_S15_S18_S19_jS1A_jS1B_S1B_jjS1D_bEUljE0_EEESW_SX_SY_S15_S19_S1B_T6_T7_T9_mT8_S1D_bDpT10_ENKUlT_T0_E_clISt17integral_constantIbLb0EES1R_EEDaS1M_S1N_EUlS1M_E_NS1_11comp_targetILNS1_3genE2ELNS1_11target_archE906ELNS1_3gpuE6ELNS1_3repE0EEENS1_30default_config_static_selectorELNS0_4arch9wavefront6targetE0EEEvSZ_,@function
_ZN7rocprim17ROCPRIM_400000_NS6detail17trampoline_kernelINS0_13select_configILj256ELj13ELNS0_17block_load_methodE3ELS4_3ELS4_3ELNS0_20block_scan_algorithmE0ELj4294967295EEENS1_25partition_config_selectorILNS1_17partition_subalgoE4EjNS0_10empty_typeEbEEZZNS1_14partition_implILS8_4ELb0ES6_15HIP_vector_typeIjLj2EENS0_17counting_iteratorIjlEEPS9_SG_NS0_5tupleIJPjSI_NS0_16reverse_iteratorISI_EEEEENSH_IJSG_SG_SG_EEES9_SI_JZNS1_25segmented_radix_sort_implINS0_14default_configELb1EPKlPlSQ_SR_N2at6native12_GLOBAL__N_18offset_tEEE10hipError_tPvRmT1_PNSt15iterator_traitsISZ_E10value_typeET2_T3_PNS10_IS15_E10value_typeET4_jRbjT5_S1B_jjP12ihipStream_tbEUljE_ZNSN_ISO_Lb1ESQ_SR_SQ_SR_SV_EESW_SX_SY_SZ_S13_S14_S15_S18_S19_jS1A_jS1B_S1B_jjS1D_bEUljE0_EEESW_SX_SY_S15_S19_S1B_T6_T7_T9_mT8_S1D_bDpT10_ENKUlT_T0_E_clISt17integral_constantIbLb0EES1R_EEDaS1M_S1N_EUlS1M_E_NS1_11comp_targetILNS1_3genE2ELNS1_11target_archE906ELNS1_3gpuE6ELNS1_3repE0EEENS1_30default_config_static_selectorELNS0_4arch9wavefront6targetE0EEEvSZ_: ; @_ZN7rocprim17ROCPRIM_400000_NS6detail17trampoline_kernelINS0_13select_configILj256ELj13ELNS0_17block_load_methodE3ELS4_3ELS4_3ELNS0_20block_scan_algorithmE0ELj4294967295EEENS1_25partition_config_selectorILNS1_17partition_subalgoE4EjNS0_10empty_typeEbEEZZNS1_14partition_implILS8_4ELb0ES6_15HIP_vector_typeIjLj2EENS0_17counting_iteratorIjlEEPS9_SG_NS0_5tupleIJPjSI_NS0_16reverse_iteratorISI_EEEEENSH_IJSG_SG_SG_EEES9_SI_JZNS1_25segmented_radix_sort_implINS0_14default_configELb1EPKlPlSQ_SR_N2at6native12_GLOBAL__N_18offset_tEEE10hipError_tPvRmT1_PNSt15iterator_traitsISZ_E10value_typeET2_T3_PNS10_IS15_E10value_typeET4_jRbjT5_S1B_jjP12ihipStream_tbEUljE_ZNSN_ISO_Lb1ESQ_SR_SQ_SR_SV_EESW_SX_SY_SZ_S13_S14_S15_S18_S19_jS1A_jS1B_S1B_jjS1D_bEUljE0_EEESW_SX_SY_S15_S19_S1B_T6_T7_T9_mT8_S1D_bDpT10_ENKUlT_T0_E_clISt17integral_constantIbLb0EES1R_EEDaS1M_S1N_EUlS1M_E_NS1_11comp_targetILNS1_3genE2ELNS1_11target_archE906ELNS1_3gpuE6ELNS1_3repE0EEENS1_30default_config_static_selectorELNS0_4arch9wavefront6targetE0EEEvSZ_
; %bb.0:
	.section	.rodata,"a",@progbits
	.p2align	6, 0x0
	.amdhsa_kernel _ZN7rocprim17ROCPRIM_400000_NS6detail17trampoline_kernelINS0_13select_configILj256ELj13ELNS0_17block_load_methodE3ELS4_3ELS4_3ELNS0_20block_scan_algorithmE0ELj4294967295EEENS1_25partition_config_selectorILNS1_17partition_subalgoE4EjNS0_10empty_typeEbEEZZNS1_14partition_implILS8_4ELb0ES6_15HIP_vector_typeIjLj2EENS0_17counting_iteratorIjlEEPS9_SG_NS0_5tupleIJPjSI_NS0_16reverse_iteratorISI_EEEEENSH_IJSG_SG_SG_EEES9_SI_JZNS1_25segmented_radix_sort_implINS0_14default_configELb1EPKlPlSQ_SR_N2at6native12_GLOBAL__N_18offset_tEEE10hipError_tPvRmT1_PNSt15iterator_traitsISZ_E10value_typeET2_T3_PNS10_IS15_E10value_typeET4_jRbjT5_S1B_jjP12ihipStream_tbEUljE_ZNSN_ISO_Lb1ESQ_SR_SQ_SR_SV_EESW_SX_SY_SZ_S13_S14_S15_S18_S19_jS1A_jS1B_S1B_jjS1D_bEUljE0_EEESW_SX_SY_S15_S19_S1B_T6_T7_T9_mT8_S1D_bDpT10_ENKUlT_T0_E_clISt17integral_constantIbLb0EES1R_EEDaS1M_S1N_EUlS1M_E_NS1_11comp_targetILNS1_3genE2ELNS1_11target_archE906ELNS1_3gpuE6ELNS1_3repE0EEENS1_30default_config_static_selectorELNS0_4arch9wavefront6targetE0EEEvSZ_
		.amdhsa_group_segment_fixed_size 0
		.amdhsa_private_segment_fixed_size 0
		.amdhsa_kernarg_size 176
		.amdhsa_user_sgpr_count 15
		.amdhsa_user_sgpr_dispatch_ptr 0
		.amdhsa_user_sgpr_queue_ptr 0
		.amdhsa_user_sgpr_kernarg_segment_ptr 1
		.amdhsa_user_sgpr_dispatch_id 0
		.amdhsa_user_sgpr_private_segment_size 0
		.amdhsa_wavefront_size32 1
		.amdhsa_uses_dynamic_stack 0
		.amdhsa_enable_private_segment 0
		.amdhsa_system_sgpr_workgroup_id_x 1
		.amdhsa_system_sgpr_workgroup_id_y 0
		.amdhsa_system_sgpr_workgroup_id_z 0
		.amdhsa_system_sgpr_workgroup_info 0
		.amdhsa_system_vgpr_workitem_id 0
		.amdhsa_next_free_vgpr 1
		.amdhsa_next_free_sgpr 1
		.amdhsa_reserve_vcc 0
		.amdhsa_float_round_mode_32 0
		.amdhsa_float_round_mode_16_64 0
		.amdhsa_float_denorm_mode_32 3
		.amdhsa_float_denorm_mode_16_64 3
		.amdhsa_dx10_clamp 1
		.amdhsa_ieee_mode 1
		.amdhsa_fp16_overflow 0
		.amdhsa_workgroup_processor_mode 1
		.amdhsa_memory_ordered 1
		.amdhsa_forward_progress 0
		.amdhsa_shared_vgpr_count 0
		.amdhsa_exception_fp_ieee_invalid_op 0
		.amdhsa_exception_fp_denorm_src 0
		.amdhsa_exception_fp_ieee_div_zero 0
		.amdhsa_exception_fp_ieee_overflow 0
		.amdhsa_exception_fp_ieee_underflow 0
		.amdhsa_exception_fp_ieee_inexact 0
		.amdhsa_exception_int_div_zero 0
	.end_amdhsa_kernel
	.section	.text._ZN7rocprim17ROCPRIM_400000_NS6detail17trampoline_kernelINS0_13select_configILj256ELj13ELNS0_17block_load_methodE3ELS4_3ELS4_3ELNS0_20block_scan_algorithmE0ELj4294967295EEENS1_25partition_config_selectorILNS1_17partition_subalgoE4EjNS0_10empty_typeEbEEZZNS1_14partition_implILS8_4ELb0ES6_15HIP_vector_typeIjLj2EENS0_17counting_iteratorIjlEEPS9_SG_NS0_5tupleIJPjSI_NS0_16reverse_iteratorISI_EEEEENSH_IJSG_SG_SG_EEES9_SI_JZNS1_25segmented_radix_sort_implINS0_14default_configELb1EPKlPlSQ_SR_N2at6native12_GLOBAL__N_18offset_tEEE10hipError_tPvRmT1_PNSt15iterator_traitsISZ_E10value_typeET2_T3_PNS10_IS15_E10value_typeET4_jRbjT5_S1B_jjP12ihipStream_tbEUljE_ZNSN_ISO_Lb1ESQ_SR_SQ_SR_SV_EESW_SX_SY_SZ_S13_S14_S15_S18_S19_jS1A_jS1B_S1B_jjS1D_bEUljE0_EEESW_SX_SY_S15_S19_S1B_T6_T7_T9_mT8_S1D_bDpT10_ENKUlT_T0_E_clISt17integral_constantIbLb0EES1R_EEDaS1M_S1N_EUlS1M_E_NS1_11comp_targetILNS1_3genE2ELNS1_11target_archE906ELNS1_3gpuE6ELNS1_3repE0EEENS1_30default_config_static_selectorELNS0_4arch9wavefront6targetE0EEEvSZ_,"axG",@progbits,_ZN7rocprim17ROCPRIM_400000_NS6detail17trampoline_kernelINS0_13select_configILj256ELj13ELNS0_17block_load_methodE3ELS4_3ELS4_3ELNS0_20block_scan_algorithmE0ELj4294967295EEENS1_25partition_config_selectorILNS1_17partition_subalgoE4EjNS0_10empty_typeEbEEZZNS1_14partition_implILS8_4ELb0ES6_15HIP_vector_typeIjLj2EENS0_17counting_iteratorIjlEEPS9_SG_NS0_5tupleIJPjSI_NS0_16reverse_iteratorISI_EEEEENSH_IJSG_SG_SG_EEES9_SI_JZNS1_25segmented_radix_sort_implINS0_14default_configELb1EPKlPlSQ_SR_N2at6native12_GLOBAL__N_18offset_tEEE10hipError_tPvRmT1_PNSt15iterator_traitsISZ_E10value_typeET2_T3_PNS10_IS15_E10value_typeET4_jRbjT5_S1B_jjP12ihipStream_tbEUljE_ZNSN_ISO_Lb1ESQ_SR_SQ_SR_SV_EESW_SX_SY_SZ_S13_S14_S15_S18_S19_jS1A_jS1B_S1B_jjS1D_bEUljE0_EEESW_SX_SY_S15_S19_S1B_T6_T7_T9_mT8_S1D_bDpT10_ENKUlT_T0_E_clISt17integral_constantIbLb0EES1R_EEDaS1M_S1N_EUlS1M_E_NS1_11comp_targetILNS1_3genE2ELNS1_11target_archE906ELNS1_3gpuE6ELNS1_3repE0EEENS1_30default_config_static_selectorELNS0_4arch9wavefront6targetE0EEEvSZ_,comdat
.Lfunc_end644:
	.size	_ZN7rocprim17ROCPRIM_400000_NS6detail17trampoline_kernelINS0_13select_configILj256ELj13ELNS0_17block_load_methodE3ELS4_3ELS4_3ELNS0_20block_scan_algorithmE0ELj4294967295EEENS1_25partition_config_selectorILNS1_17partition_subalgoE4EjNS0_10empty_typeEbEEZZNS1_14partition_implILS8_4ELb0ES6_15HIP_vector_typeIjLj2EENS0_17counting_iteratorIjlEEPS9_SG_NS0_5tupleIJPjSI_NS0_16reverse_iteratorISI_EEEEENSH_IJSG_SG_SG_EEES9_SI_JZNS1_25segmented_radix_sort_implINS0_14default_configELb1EPKlPlSQ_SR_N2at6native12_GLOBAL__N_18offset_tEEE10hipError_tPvRmT1_PNSt15iterator_traitsISZ_E10value_typeET2_T3_PNS10_IS15_E10value_typeET4_jRbjT5_S1B_jjP12ihipStream_tbEUljE_ZNSN_ISO_Lb1ESQ_SR_SQ_SR_SV_EESW_SX_SY_SZ_S13_S14_S15_S18_S19_jS1A_jS1B_S1B_jjS1D_bEUljE0_EEESW_SX_SY_S15_S19_S1B_T6_T7_T9_mT8_S1D_bDpT10_ENKUlT_T0_E_clISt17integral_constantIbLb0EES1R_EEDaS1M_S1N_EUlS1M_E_NS1_11comp_targetILNS1_3genE2ELNS1_11target_archE906ELNS1_3gpuE6ELNS1_3repE0EEENS1_30default_config_static_selectorELNS0_4arch9wavefront6targetE0EEEvSZ_, .Lfunc_end644-_ZN7rocprim17ROCPRIM_400000_NS6detail17trampoline_kernelINS0_13select_configILj256ELj13ELNS0_17block_load_methodE3ELS4_3ELS4_3ELNS0_20block_scan_algorithmE0ELj4294967295EEENS1_25partition_config_selectorILNS1_17partition_subalgoE4EjNS0_10empty_typeEbEEZZNS1_14partition_implILS8_4ELb0ES6_15HIP_vector_typeIjLj2EENS0_17counting_iteratorIjlEEPS9_SG_NS0_5tupleIJPjSI_NS0_16reverse_iteratorISI_EEEEENSH_IJSG_SG_SG_EEES9_SI_JZNS1_25segmented_radix_sort_implINS0_14default_configELb1EPKlPlSQ_SR_N2at6native12_GLOBAL__N_18offset_tEEE10hipError_tPvRmT1_PNSt15iterator_traitsISZ_E10value_typeET2_T3_PNS10_IS15_E10value_typeET4_jRbjT5_S1B_jjP12ihipStream_tbEUljE_ZNSN_ISO_Lb1ESQ_SR_SQ_SR_SV_EESW_SX_SY_SZ_S13_S14_S15_S18_S19_jS1A_jS1B_S1B_jjS1D_bEUljE0_EEESW_SX_SY_S15_S19_S1B_T6_T7_T9_mT8_S1D_bDpT10_ENKUlT_T0_E_clISt17integral_constantIbLb0EES1R_EEDaS1M_S1N_EUlS1M_E_NS1_11comp_targetILNS1_3genE2ELNS1_11target_archE906ELNS1_3gpuE6ELNS1_3repE0EEENS1_30default_config_static_selectorELNS0_4arch9wavefront6targetE0EEEvSZ_
                                        ; -- End function
	.section	.AMDGPU.csdata,"",@progbits
; Kernel info:
; codeLenInByte = 0
; NumSgprs: 0
; NumVgprs: 0
; ScratchSize: 0
; MemoryBound: 0
; FloatMode: 240
; IeeeMode: 1
; LDSByteSize: 0 bytes/workgroup (compile time only)
; SGPRBlocks: 0
; VGPRBlocks: 0
; NumSGPRsForWavesPerEU: 1
; NumVGPRsForWavesPerEU: 1
; Occupancy: 16
; WaveLimiterHint : 0
; COMPUTE_PGM_RSRC2:SCRATCH_EN: 0
; COMPUTE_PGM_RSRC2:USER_SGPR: 15
; COMPUTE_PGM_RSRC2:TRAP_HANDLER: 0
; COMPUTE_PGM_RSRC2:TGID_X_EN: 1
; COMPUTE_PGM_RSRC2:TGID_Y_EN: 0
; COMPUTE_PGM_RSRC2:TGID_Z_EN: 0
; COMPUTE_PGM_RSRC2:TIDIG_COMP_CNT: 0
	.section	.text._ZN7rocprim17ROCPRIM_400000_NS6detail17trampoline_kernelINS0_13select_configILj256ELj13ELNS0_17block_load_methodE3ELS4_3ELS4_3ELNS0_20block_scan_algorithmE0ELj4294967295EEENS1_25partition_config_selectorILNS1_17partition_subalgoE4EjNS0_10empty_typeEbEEZZNS1_14partition_implILS8_4ELb0ES6_15HIP_vector_typeIjLj2EENS0_17counting_iteratorIjlEEPS9_SG_NS0_5tupleIJPjSI_NS0_16reverse_iteratorISI_EEEEENSH_IJSG_SG_SG_EEES9_SI_JZNS1_25segmented_radix_sort_implINS0_14default_configELb1EPKlPlSQ_SR_N2at6native12_GLOBAL__N_18offset_tEEE10hipError_tPvRmT1_PNSt15iterator_traitsISZ_E10value_typeET2_T3_PNS10_IS15_E10value_typeET4_jRbjT5_S1B_jjP12ihipStream_tbEUljE_ZNSN_ISO_Lb1ESQ_SR_SQ_SR_SV_EESW_SX_SY_SZ_S13_S14_S15_S18_S19_jS1A_jS1B_S1B_jjS1D_bEUljE0_EEESW_SX_SY_S15_S19_S1B_T6_T7_T9_mT8_S1D_bDpT10_ENKUlT_T0_E_clISt17integral_constantIbLb0EES1R_EEDaS1M_S1N_EUlS1M_E_NS1_11comp_targetILNS1_3genE10ELNS1_11target_archE1200ELNS1_3gpuE4ELNS1_3repE0EEENS1_30default_config_static_selectorELNS0_4arch9wavefront6targetE0EEEvSZ_,"axG",@progbits,_ZN7rocprim17ROCPRIM_400000_NS6detail17trampoline_kernelINS0_13select_configILj256ELj13ELNS0_17block_load_methodE3ELS4_3ELS4_3ELNS0_20block_scan_algorithmE0ELj4294967295EEENS1_25partition_config_selectorILNS1_17partition_subalgoE4EjNS0_10empty_typeEbEEZZNS1_14partition_implILS8_4ELb0ES6_15HIP_vector_typeIjLj2EENS0_17counting_iteratorIjlEEPS9_SG_NS0_5tupleIJPjSI_NS0_16reverse_iteratorISI_EEEEENSH_IJSG_SG_SG_EEES9_SI_JZNS1_25segmented_radix_sort_implINS0_14default_configELb1EPKlPlSQ_SR_N2at6native12_GLOBAL__N_18offset_tEEE10hipError_tPvRmT1_PNSt15iterator_traitsISZ_E10value_typeET2_T3_PNS10_IS15_E10value_typeET4_jRbjT5_S1B_jjP12ihipStream_tbEUljE_ZNSN_ISO_Lb1ESQ_SR_SQ_SR_SV_EESW_SX_SY_SZ_S13_S14_S15_S18_S19_jS1A_jS1B_S1B_jjS1D_bEUljE0_EEESW_SX_SY_S15_S19_S1B_T6_T7_T9_mT8_S1D_bDpT10_ENKUlT_T0_E_clISt17integral_constantIbLb0EES1R_EEDaS1M_S1N_EUlS1M_E_NS1_11comp_targetILNS1_3genE10ELNS1_11target_archE1200ELNS1_3gpuE4ELNS1_3repE0EEENS1_30default_config_static_selectorELNS0_4arch9wavefront6targetE0EEEvSZ_,comdat
	.globl	_ZN7rocprim17ROCPRIM_400000_NS6detail17trampoline_kernelINS0_13select_configILj256ELj13ELNS0_17block_load_methodE3ELS4_3ELS4_3ELNS0_20block_scan_algorithmE0ELj4294967295EEENS1_25partition_config_selectorILNS1_17partition_subalgoE4EjNS0_10empty_typeEbEEZZNS1_14partition_implILS8_4ELb0ES6_15HIP_vector_typeIjLj2EENS0_17counting_iteratorIjlEEPS9_SG_NS0_5tupleIJPjSI_NS0_16reverse_iteratorISI_EEEEENSH_IJSG_SG_SG_EEES9_SI_JZNS1_25segmented_radix_sort_implINS0_14default_configELb1EPKlPlSQ_SR_N2at6native12_GLOBAL__N_18offset_tEEE10hipError_tPvRmT1_PNSt15iterator_traitsISZ_E10value_typeET2_T3_PNS10_IS15_E10value_typeET4_jRbjT5_S1B_jjP12ihipStream_tbEUljE_ZNSN_ISO_Lb1ESQ_SR_SQ_SR_SV_EESW_SX_SY_SZ_S13_S14_S15_S18_S19_jS1A_jS1B_S1B_jjS1D_bEUljE0_EEESW_SX_SY_S15_S19_S1B_T6_T7_T9_mT8_S1D_bDpT10_ENKUlT_T0_E_clISt17integral_constantIbLb0EES1R_EEDaS1M_S1N_EUlS1M_E_NS1_11comp_targetILNS1_3genE10ELNS1_11target_archE1200ELNS1_3gpuE4ELNS1_3repE0EEENS1_30default_config_static_selectorELNS0_4arch9wavefront6targetE0EEEvSZ_ ; -- Begin function _ZN7rocprim17ROCPRIM_400000_NS6detail17trampoline_kernelINS0_13select_configILj256ELj13ELNS0_17block_load_methodE3ELS4_3ELS4_3ELNS0_20block_scan_algorithmE0ELj4294967295EEENS1_25partition_config_selectorILNS1_17partition_subalgoE4EjNS0_10empty_typeEbEEZZNS1_14partition_implILS8_4ELb0ES6_15HIP_vector_typeIjLj2EENS0_17counting_iteratorIjlEEPS9_SG_NS0_5tupleIJPjSI_NS0_16reverse_iteratorISI_EEEEENSH_IJSG_SG_SG_EEES9_SI_JZNS1_25segmented_radix_sort_implINS0_14default_configELb1EPKlPlSQ_SR_N2at6native12_GLOBAL__N_18offset_tEEE10hipError_tPvRmT1_PNSt15iterator_traitsISZ_E10value_typeET2_T3_PNS10_IS15_E10value_typeET4_jRbjT5_S1B_jjP12ihipStream_tbEUljE_ZNSN_ISO_Lb1ESQ_SR_SQ_SR_SV_EESW_SX_SY_SZ_S13_S14_S15_S18_S19_jS1A_jS1B_S1B_jjS1D_bEUljE0_EEESW_SX_SY_S15_S19_S1B_T6_T7_T9_mT8_S1D_bDpT10_ENKUlT_T0_E_clISt17integral_constantIbLb0EES1R_EEDaS1M_S1N_EUlS1M_E_NS1_11comp_targetILNS1_3genE10ELNS1_11target_archE1200ELNS1_3gpuE4ELNS1_3repE0EEENS1_30default_config_static_selectorELNS0_4arch9wavefront6targetE0EEEvSZ_
	.p2align	8
	.type	_ZN7rocprim17ROCPRIM_400000_NS6detail17trampoline_kernelINS0_13select_configILj256ELj13ELNS0_17block_load_methodE3ELS4_3ELS4_3ELNS0_20block_scan_algorithmE0ELj4294967295EEENS1_25partition_config_selectorILNS1_17partition_subalgoE4EjNS0_10empty_typeEbEEZZNS1_14partition_implILS8_4ELb0ES6_15HIP_vector_typeIjLj2EENS0_17counting_iteratorIjlEEPS9_SG_NS0_5tupleIJPjSI_NS0_16reverse_iteratorISI_EEEEENSH_IJSG_SG_SG_EEES9_SI_JZNS1_25segmented_radix_sort_implINS0_14default_configELb1EPKlPlSQ_SR_N2at6native12_GLOBAL__N_18offset_tEEE10hipError_tPvRmT1_PNSt15iterator_traitsISZ_E10value_typeET2_T3_PNS10_IS15_E10value_typeET4_jRbjT5_S1B_jjP12ihipStream_tbEUljE_ZNSN_ISO_Lb1ESQ_SR_SQ_SR_SV_EESW_SX_SY_SZ_S13_S14_S15_S18_S19_jS1A_jS1B_S1B_jjS1D_bEUljE0_EEESW_SX_SY_S15_S19_S1B_T6_T7_T9_mT8_S1D_bDpT10_ENKUlT_T0_E_clISt17integral_constantIbLb0EES1R_EEDaS1M_S1N_EUlS1M_E_NS1_11comp_targetILNS1_3genE10ELNS1_11target_archE1200ELNS1_3gpuE4ELNS1_3repE0EEENS1_30default_config_static_selectorELNS0_4arch9wavefront6targetE0EEEvSZ_,@function
_ZN7rocprim17ROCPRIM_400000_NS6detail17trampoline_kernelINS0_13select_configILj256ELj13ELNS0_17block_load_methodE3ELS4_3ELS4_3ELNS0_20block_scan_algorithmE0ELj4294967295EEENS1_25partition_config_selectorILNS1_17partition_subalgoE4EjNS0_10empty_typeEbEEZZNS1_14partition_implILS8_4ELb0ES6_15HIP_vector_typeIjLj2EENS0_17counting_iteratorIjlEEPS9_SG_NS0_5tupleIJPjSI_NS0_16reverse_iteratorISI_EEEEENSH_IJSG_SG_SG_EEES9_SI_JZNS1_25segmented_radix_sort_implINS0_14default_configELb1EPKlPlSQ_SR_N2at6native12_GLOBAL__N_18offset_tEEE10hipError_tPvRmT1_PNSt15iterator_traitsISZ_E10value_typeET2_T3_PNS10_IS15_E10value_typeET4_jRbjT5_S1B_jjP12ihipStream_tbEUljE_ZNSN_ISO_Lb1ESQ_SR_SQ_SR_SV_EESW_SX_SY_SZ_S13_S14_S15_S18_S19_jS1A_jS1B_S1B_jjS1D_bEUljE0_EEESW_SX_SY_S15_S19_S1B_T6_T7_T9_mT8_S1D_bDpT10_ENKUlT_T0_E_clISt17integral_constantIbLb0EES1R_EEDaS1M_S1N_EUlS1M_E_NS1_11comp_targetILNS1_3genE10ELNS1_11target_archE1200ELNS1_3gpuE4ELNS1_3repE0EEENS1_30default_config_static_selectorELNS0_4arch9wavefront6targetE0EEEvSZ_: ; @_ZN7rocprim17ROCPRIM_400000_NS6detail17trampoline_kernelINS0_13select_configILj256ELj13ELNS0_17block_load_methodE3ELS4_3ELS4_3ELNS0_20block_scan_algorithmE0ELj4294967295EEENS1_25partition_config_selectorILNS1_17partition_subalgoE4EjNS0_10empty_typeEbEEZZNS1_14partition_implILS8_4ELb0ES6_15HIP_vector_typeIjLj2EENS0_17counting_iteratorIjlEEPS9_SG_NS0_5tupleIJPjSI_NS0_16reverse_iteratorISI_EEEEENSH_IJSG_SG_SG_EEES9_SI_JZNS1_25segmented_radix_sort_implINS0_14default_configELb1EPKlPlSQ_SR_N2at6native12_GLOBAL__N_18offset_tEEE10hipError_tPvRmT1_PNSt15iterator_traitsISZ_E10value_typeET2_T3_PNS10_IS15_E10value_typeET4_jRbjT5_S1B_jjP12ihipStream_tbEUljE_ZNSN_ISO_Lb1ESQ_SR_SQ_SR_SV_EESW_SX_SY_SZ_S13_S14_S15_S18_S19_jS1A_jS1B_S1B_jjS1D_bEUljE0_EEESW_SX_SY_S15_S19_S1B_T6_T7_T9_mT8_S1D_bDpT10_ENKUlT_T0_E_clISt17integral_constantIbLb0EES1R_EEDaS1M_S1N_EUlS1M_E_NS1_11comp_targetILNS1_3genE10ELNS1_11target_archE1200ELNS1_3gpuE4ELNS1_3repE0EEENS1_30default_config_static_selectorELNS0_4arch9wavefront6targetE0EEEvSZ_
; %bb.0:
	.section	.rodata,"a",@progbits
	.p2align	6, 0x0
	.amdhsa_kernel _ZN7rocprim17ROCPRIM_400000_NS6detail17trampoline_kernelINS0_13select_configILj256ELj13ELNS0_17block_load_methodE3ELS4_3ELS4_3ELNS0_20block_scan_algorithmE0ELj4294967295EEENS1_25partition_config_selectorILNS1_17partition_subalgoE4EjNS0_10empty_typeEbEEZZNS1_14partition_implILS8_4ELb0ES6_15HIP_vector_typeIjLj2EENS0_17counting_iteratorIjlEEPS9_SG_NS0_5tupleIJPjSI_NS0_16reverse_iteratorISI_EEEEENSH_IJSG_SG_SG_EEES9_SI_JZNS1_25segmented_radix_sort_implINS0_14default_configELb1EPKlPlSQ_SR_N2at6native12_GLOBAL__N_18offset_tEEE10hipError_tPvRmT1_PNSt15iterator_traitsISZ_E10value_typeET2_T3_PNS10_IS15_E10value_typeET4_jRbjT5_S1B_jjP12ihipStream_tbEUljE_ZNSN_ISO_Lb1ESQ_SR_SQ_SR_SV_EESW_SX_SY_SZ_S13_S14_S15_S18_S19_jS1A_jS1B_S1B_jjS1D_bEUljE0_EEESW_SX_SY_S15_S19_S1B_T6_T7_T9_mT8_S1D_bDpT10_ENKUlT_T0_E_clISt17integral_constantIbLb0EES1R_EEDaS1M_S1N_EUlS1M_E_NS1_11comp_targetILNS1_3genE10ELNS1_11target_archE1200ELNS1_3gpuE4ELNS1_3repE0EEENS1_30default_config_static_selectorELNS0_4arch9wavefront6targetE0EEEvSZ_
		.amdhsa_group_segment_fixed_size 0
		.amdhsa_private_segment_fixed_size 0
		.amdhsa_kernarg_size 176
		.amdhsa_user_sgpr_count 15
		.amdhsa_user_sgpr_dispatch_ptr 0
		.amdhsa_user_sgpr_queue_ptr 0
		.amdhsa_user_sgpr_kernarg_segment_ptr 1
		.amdhsa_user_sgpr_dispatch_id 0
		.amdhsa_user_sgpr_private_segment_size 0
		.amdhsa_wavefront_size32 1
		.amdhsa_uses_dynamic_stack 0
		.amdhsa_enable_private_segment 0
		.amdhsa_system_sgpr_workgroup_id_x 1
		.amdhsa_system_sgpr_workgroup_id_y 0
		.amdhsa_system_sgpr_workgroup_id_z 0
		.amdhsa_system_sgpr_workgroup_info 0
		.amdhsa_system_vgpr_workitem_id 0
		.amdhsa_next_free_vgpr 1
		.amdhsa_next_free_sgpr 1
		.amdhsa_reserve_vcc 0
		.amdhsa_float_round_mode_32 0
		.amdhsa_float_round_mode_16_64 0
		.amdhsa_float_denorm_mode_32 3
		.amdhsa_float_denorm_mode_16_64 3
		.amdhsa_dx10_clamp 1
		.amdhsa_ieee_mode 1
		.amdhsa_fp16_overflow 0
		.amdhsa_workgroup_processor_mode 1
		.amdhsa_memory_ordered 1
		.amdhsa_forward_progress 0
		.amdhsa_shared_vgpr_count 0
		.amdhsa_exception_fp_ieee_invalid_op 0
		.amdhsa_exception_fp_denorm_src 0
		.amdhsa_exception_fp_ieee_div_zero 0
		.amdhsa_exception_fp_ieee_overflow 0
		.amdhsa_exception_fp_ieee_underflow 0
		.amdhsa_exception_fp_ieee_inexact 0
		.amdhsa_exception_int_div_zero 0
	.end_amdhsa_kernel
	.section	.text._ZN7rocprim17ROCPRIM_400000_NS6detail17trampoline_kernelINS0_13select_configILj256ELj13ELNS0_17block_load_methodE3ELS4_3ELS4_3ELNS0_20block_scan_algorithmE0ELj4294967295EEENS1_25partition_config_selectorILNS1_17partition_subalgoE4EjNS0_10empty_typeEbEEZZNS1_14partition_implILS8_4ELb0ES6_15HIP_vector_typeIjLj2EENS0_17counting_iteratorIjlEEPS9_SG_NS0_5tupleIJPjSI_NS0_16reverse_iteratorISI_EEEEENSH_IJSG_SG_SG_EEES9_SI_JZNS1_25segmented_radix_sort_implINS0_14default_configELb1EPKlPlSQ_SR_N2at6native12_GLOBAL__N_18offset_tEEE10hipError_tPvRmT1_PNSt15iterator_traitsISZ_E10value_typeET2_T3_PNS10_IS15_E10value_typeET4_jRbjT5_S1B_jjP12ihipStream_tbEUljE_ZNSN_ISO_Lb1ESQ_SR_SQ_SR_SV_EESW_SX_SY_SZ_S13_S14_S15_S18_S19_jS1A_jS1B_S1B_jjS1D_bEUljE0_EEESW_SX_SY_S15_S19_S1B_T6_T7_T9_mT8_S1D_bDpT10_ENKUlT_T0_E_clISt17integral_constantIbLb0EES1R_EEDaS1M_S1N_EUlS1M_E_NS1_11comp_targetILNS1_3genE10ELNS1_11target_archE1200ELNS1_3gpuE4ELNS1_3repE0EEENS1_30default_config_static_selectorELNS0_4arch9wavefront6targetE0EEEvSZ_,"axG",@progbits,_ZN7rocprim17ROCPRIM_400000_NS6detail17trampoline_kernelINS0_13select_configILj256ELj13ELNS0_17block_load_methodE3ELS4_3ELS4_3ELNS0_20block_scan_algorithmE0ELj4294967295EEENS1_25partition_config_selectorILNS1_17partition_subalgoE4EjNS0_10empty_typeEbEEZZNS1_14partition_implILS8_4ELb0ES6_15HIP_vector_typeIjLj2EENS0_17counting_iteratorIjlEEPS9_SG_NS0_5tupleIJPjSI_NS0_16reverse_iteratorISI_EEEEENSH_IJSG_SG_SG_EEES9_SI_JZNS1_25segmented_radix_sort_implINS0_14default_configELb1EPKlPlSQ_SR_N2at6native12_GLOBAL__N_18offset_tEEE10hipError_tPvRmT1_PNSt15iterator_traitsISZ_E10value_typeET2_T3_PNS10_IS15_E10value_typeET4_jRbjT5_S1B_jjP12ihipStream_tbEUljE_ZNSN_ISO_Lb1ESQ_SR_SQ_SR_SV_EESW_SX_SY_SZ_S13_S14_S15_S18_S19_jS1A_jS1B_S1B_jjS1D_bEUljE0_EEESW_SX_SY_S15_S19_S1B_T6_T7_T9_mT8_S1D_bDpT10_ENKUlT_T0_E_clISt17integral_constantIbLb0EES1R_EEDaS1M_S1N_EUlS1M_E_NS1_11comp_targetILNS1_3genE10ELNS1_11target_archE1200ELNS1_3gpuE4ELNS1_3repE0EEENS1_30default_config_static_selectorELNS0_4arch9wavefront6targetE0EEEvSZ_,comdat
.Lfunc_end645:
	.size	_ZN7rocprim17ROCPRIM_400000_NS6detail17trampoline_kernelINS0_13select_configILj256ELj13ELNS0_17block_load_methodE3ELS4_3ELS4_3ELNS0_20block_scan_algorithmE0ELj4294967295EEENS1_25partition_config_selectorILNS1_17partition_subalgoE4EjNS0_10empty_typeEbEEZZNS1_14partition_implILS8_4ELb0ES6_15HIP_vector_typeIjLj2EENS0_17counting_iteratorIjlEEPS9_SG_NS0_5tupleIJPjSI_NS0_16reverse_iteratorISI_EEEEENSH_IJSG_SG_SG_EEES9_SI_JZNS1_25segmented_radix_sort_implINS0_14default_configELb1EPKlPlSQ_SR_N2at6native12_GLOBAL__N_18offset_tEEE10hipError_tPvRmT1_PNSt15iterator_traitsISZ_E10value_typeET2_T3_PNS10_IS15_E10value_typeET4_jRbjT5_S1B_jjP12ihipStream_tbEUljE_ZNSN_ISO_Lb1ESQ_SR_SQ_SR_SV_EESW_SX_SY_SZ_S13_S14_S15_S18_S19_jS1A_jS1B_S1B_jjS1D_bEUljE0_EEESW_SX_SY_S15_S19_S1B_T6_T7_T9_mT8_S1D_bDpT10_ENKUlT_T0_E_clISt17integral_constantIbLb0EES1R_EEDaS1M_S1N_EUlS1M_E_NS1_11comp_targetILNS1_3genE10ELNS1_11target_archE1200ELNS1_3gpuE4ELNS1_3repE0EEENS1_30default_config_static_selectorELNS0_4arch9wavefront6targetE0EEEvSZ_, .Lfunc_end645-_ZN7rocprim17ROCPRIM_400000_NS6detail17trampoline_kernelINS0_13select_configILj256ELj13ELNS0_17block_load_methodE3ELS4_3ELS4_3ELNS0_20block_scan_algorithmE0ELj4294967295EEENS1_25partition_config_selectorILNS1_17partition_subalgoE4EjNS0_10empty_typeEbEEZZNS1_14partition_implILS8_4ELb0ES6_15HIP_vector_typeIjLj2EENS0_17counting_iteratorIjlEEPS9_SG_NS0_5tupleIJPjSI_NS0_16reverse_iteratorISI_EEEEENSH_IJSG_SG_SG_EEES9_SI_JZNS1_25segmented_radix_sort_implINS0_14default_configELb1EPKlPlSQ_SR_N2at6native12_GLOBAL__N_18offset_tEEE10hipError_tPvRmT1_PNSt15iterator_traitsISZ_E10value_typeET2_T3_PNS10_IS15_E10value_typeET4_jRbjT5_S1B_jjP12ihipStream_tbEUljE_ZNSN_ISO_Lb1ESQ_SR_SQ_SR_SV_EESW_SX_SY_SZ_S13_S14_S15_S18_S19_jS1A_jS1B_S1B_jjS1D_bEUljE0_EEESW_SX_SY_S15_S19_S1B_T6_T7_T9_mT8_S1D_bDpT10_ENKUlT_T0_E_clISt17integral_constantIbLb0EES1R_EEDaS1M_S1N_EUlS1M_E_NS1_11comp_targetILNS1_3genE10ELNS1_11target_archE1200ELNS1_3gpuE4ELNS1_3repE0EEENS1_30default_config_static_selectorELNS0_4arch9wavefront6targetE0EEEvSZ_
                                        ; -- End function
	.section	.AMDGPU.csdata,"",@progbits
; Kernel info:
; codeLenInByte = 0
; NumSgprs: 0
; NumVgprs: 0
; ScratchSize: 0
; MemoryBound: 0
; FloatMode: 240
; IeeeMode: 1
; LDSByteSize: 0 bytes/workgroup (compile time only)
; SGPRBlocks: 0
; VGPRBlocks: 0
; NumSGPRsForWavesPerEU: 1
; NumVGPRsForWavesPerEU: 1
; Occupancy: 16
; WaveLimiterHint : 0
; COMPUTE_PGM_RSRC2:SCRATCH_EN: 0
; COMPUTE_PGM_RSRC2:USER_SGPR: 15
; COMPUTE_PGM_RSRC2:TRAP_HANDLER: 0
; COMPUTE_PGM_RSRC2:TGID_X_EN: 1
; COMPUTE_PGM_RSRC2:TGID_Y_EN: 0
; COMPUTE_PGM_RSRC2:TGID_Z_EN: 0
; COMPUTE_PGM_RSRC2:TIDIG_COMP_CNT: 0
	.section	.text._ZN7rocprim17ROCPRIM_400000_NS6detail17trampoline_kernelINS0_13select_configILj256ELj13ELNS0_17block_load_methodE3ELS4_3ELS4_3ELNS0_20block_scan_algorithmE0ELj4294967295EEENS1_25partition_config_selectorILNS1_17partition_subalgoE4EjNS0_10empty_typeEbEEZZNS1_14partition_implILS8_4ELb0ES6_15HIP_vector_typeIjLj2EENS0_17counting_iteratorIjlEEPS9_SG_NS0_5tupleIJPjSI_NS0_16reverse_iteratorISI_EEEEENSH_IJSG_SG_SG_EEES9_SI_JZNS1_25segmented_radix_sort_implINS0_14default_configELb1EPKlPlSQ_SR_N2at6native12_GLOBAL__N_18offset_tEEE10hipError_tPvRmT1_PNSt15iterator_traitsISZ_E10value_typeET2_T3_PNS10_IS15_E10value_typeET4_jRbjT5_S1B_jjP12ihipStream_tbEUljE_ZNSN_ISO_Lb1ESQ_SR_SQ_SR_SV_EESW_SX_SY_SZ_S13_S14_S15_S18_S19_jS1A_jS1B_S1B_jjS1D_bEUljE0_EEESW_SX_SY_S15_S19_S1B_T6_T7_T9_mT8_S1D_bDpT10_ENKUlT_T0_E_clISt17integral_constantIbLb0EES1R_EEDaS1M_S1N_EUlS1M_E_NS1_11comp_targetILNS1_3genE9ELNS1_11target_archE1100ELNS1_3gpuE3ELNS1_3repE0EEENS1_30default_config_static_selectorELNS0_4arch9wavefront6targetE0EEEvSZ_,"axG",@progbits,_ZN7rocprim17ROCPRIM_400000_NS6detail17trampoline_kernelINS0_13select_configILj256ELj13ELNS0_17block_load_methodE3ELS4_3ELS4_3ELNS0_20block_scan_algorithmE0ELj4294967295EEENS1_25partition_config_selectorILNS1_17partition_subalgoE4EjNS0_10empty_typeEbEEZZNS1_14partition_implILS8_4ELb0ES6_15HIP_vector_typeIjLj2EENS0_17counting_iteratorIjlEEPS9_SG_NS0_5tupleIJPjSI_NS0_16reverse_iteratorISI_EEEEENSH_IJSG_SG_SG_EEES9_SI_JZNS1_25segmented_radix_sort_implINS0_14default_configELb1EPKlPlSQ_SR_N2at6native12_GLOBAL__N_18offset_tEEE10hipError_tPvRmT1_PNSt15iterator_traitsISZ_E10value_typeET2_T3_PNS10_IS15_E10value_typeET4_jRbjT5_S1B_jjP12ihipStream_tbEUljE_ZNSN_ISO_Lb1ESQ_SR_SQ_SR_SV_EESW_SX_SY_SZ_S13_S14_S15_S18_S19_jS1A_jS1B_S1B_jjS1D_bEUljE0_EEESW_SX_SY_S15_S19_S1B_T6_T7_T9_mT8_S1D_bDpT10_ENKUlT_T0_E_clISt17integral_constantIbLb0EES1R_EEDaS1M_S1N_EUlS1M_E_NS1_11comp_targetILNS1_3genE9ELNS1_11target_archE1100ELNS1_3gpuE3ELNS1_3repE0EEENS1_30default_config_static_selectorELNS0_4arch9wavefront6targetE0EEEvSZ_,comdat
	.globl	_ZN7rocprim17ROCPRIM_400000_NS6detail17trampoline_kernelINS0_13select_configILj256ELj13ELNS0_17block_load_methodE3ELS4_3ELS4_3ELNS0_20block_scan_algorithmE0ELj4294967295EEENS1_25partition_config_selectorILNS1_17partition_subalgoE4EjNS0_10empty_typeEbEEZZNS1_14partition_implILS8_4ELb0ES6_15HIP_vector_typeIjLj2EENS0_17counting_iteratorIjlEEPS9_SG_NS0_5tupleIJPjSI_NS0_16reverse_iteratorISI_EEEEENSH_IJSG_SG_SG_EEES9_SI_JZNS1_25segmented_radix_sort_implINS0_14default_configELb1EPKlPlSQ_SR_N2at6native12_GLOBAL__N_18offset_tEEE10hipError_tPvRmT1_PNSt15iterator_traitsISZ_E10value_typeET2_T3_PNS10_IS15_E10value_typeET4_jRbjT5_S1B_jjP12ihipStream_tbEUljE_ZNSN_ISO_Lb1ESQ_SR_SQ_SR_SV_EESW_SX_SY_SZ_S13_S14_S15_S18_S19_jS1A_jS1B_S1B_jjS1D_bEUljE0_EEESW_SX_SY_S15_S19_S1B_T6_T7_T9_mT8_S1D_bDpT10_ENKUlT_T0_E_clISt17integral_constantIbLb0EES1R_EEDaS1M_S1N_EUlS1M_E_NS1_11comp_targetILNS1_3genE9ELNS1_11target_archE1100ELNS1_3gpuE3ELNS1_3repE0EEENS1_30default_config_static_selectorELNS0_4arch9wavefront6targetE0EEEvSZ_ ; -- Begin function _ZN7rocprim17ROCPRIM_400000_NS6detail17trampoline_kernelINS0_13select_configILj256ELj13ELNS0_17block_load_methodE3ELS4_3ELS4_3ELNS0_20block_scan_algorithmE0ELj4294967295EEENS1_25partition_config_selectorILNS1_17partition_subalgoE4EjNS0_10empty_typeEbEEZZNS1_14partition_implILS8_4ELb0ES6_15HIP_vector_typeIjLj2EENS0_17counting_iteratorIjlEEPS9_SG_NS0_5tupleIJPjSI_NS0_16reverse_iteratorISI_EEEEENSH_IJSG_SG_SG_EEES9_SI_JZNS1_25segmented_radix_sort_implINS0_14default_configELb1EPKlPlSQ_SR_N2at6native12_GLOBAL__N_18offset_tEEE10hipError_tPvRmT1_PNSt15iterator_traitsISZ_E10value_typeET2_T3_PNS10_IS15_E10value_typeET4_jRbjT5_S1B_jjP12ihipStream_tbEUljE_ZNSN_ISO_Lb1ESQ_SR_SQ_SR_SV_EESW_SX_SY_SZ_S13_S14_S15_S18_S19_jS1A_jS1B_S1B_jjS1D_bEUljE0_EEESW_SX_SY_S15_S19_S1B_T6_T7_T9_mT8_S1D_bDpT10_ENKUlT_T0_E_clISt17integral_constantIbLb0EES1R_EEDaS1M_S1N_EUlS1M_E_NS1_11comp_targetILNS1_3genE9ELNS1_11target_archE1100ELNS1_3gpuE3ELNS1_3repE0EEENS1_30default_config_static_selectorELNS0_4arch9wavefront6targetE0EEEvSZ_
	.p2align	8
	.type	_ZN7rocprim17ROCPRIM_400000_NS6detail17trampoline_kernelINS0_13select_configILj256ELj13ELNS0_17block_load_methodE3ELS4_3ELS4_3ELNS0_20block_scan_algorithmE0ELj4294967295EEENS1_25partition_config_selectorILNS1_17partition_subalgoE4EjNS0_10empty_typeEbEEZZNS1_14partition_implILS8_4ELb0ES6_15HIP_vector_typeIjLj2EENS0_17counting_iteratorIjlEEPS9_SG_NS0_5tupleIJPjSI_NS0_16reverse_iteratorISI_EEEEENSH_IJSG_SG_SG_EEES9_SI_JZNS1_25segmented_radix_sort_implINS0_14default_configELb1EPKlPlSQ_SR_N2at6native12_GLOBAL__N_18offset_tEEE10hipError_tPvRmT1_PNSt15iterator_traitsISZ_E10value_typeET2_T3_PNS10_IS15_E10value_typeET4_jRbjT5_S1B_jjP12ihipStream_tbEUljE_ZNSN_ISO_Lb1ESQ_SR_SQ_SR_SV_EESW_SX_SY_SZ_S13_S14_S15_S18_S19_jS1A_jS1B_S1B_jjS1D_bEUljE0_EEESW_SX_SY_S15_S19_S1B_T6_T7_T9_mT8_S1D_bDpT10_ENKUlT_T0_E_clISt17integral_constantIbLb0EES1R_EEDaS1M_S1N_EUlS1M_E_NS1_11comp_targetILNS1_3genE9ELNS1_11target_archE1100ELNS1_3gpuE3ELNS1_3repE0EEENS1_30default_config_static_selectorELNS0_4arch9wavefront6targetE0EEEvSZ_,@function
_ZN7rocprim17ROCPRIM_400000_NS6detail17trampoline_kernelINS0_13select_configILj256ELj13ELNS0_17block_load_methodE3ELS4_3ELS4_3ELNS0_20block_scan_algorithmE0ELj4294967295EEENS1_25partition_config_selectorILNS1_17partition_subalgoE4EjNS0_10empty_typeEbEEZZNS1_14partition_implILS8_4ELb0ES6_15HIP_vector_typeIjLj2EENS0_17counting_iteratorIjlEEPS9_SG_NS0_5tupleIJPjSI_NS0_16reverse_iteratorISI_EEEEENSH_IJSG_SG_SG_EEES9_SI_JZNS1_25segmented_radix_sort_implINS0_14default_configELb1EPKlPlSQ_SR_N2at6native12_GLOBAL__N_18offset_tEEE10hipError_tPvRmT1_PNSt15iterator_traitsISZ_E10value_typeET2_T3_PNS10_IS15_E10value_typeET4_jRbjT5_S1B_jjP12ihipStream_tbEUljE_ZNSN_ISO_Lb1ESQ_SR_SQ_SR_SV_EESW_SX_SY_SZ_S13_S14_S15_S18_S19_jS1A_jS1B_S1B_jjS1D_bEUljE0_EEESW_SX_SY_S15_S19_S1B_T6_T7_T9_mT8_S1D_bDpT10_ENKUlT_T0_E_clISt17integral_constantIbLb0EES1R_EEDaS1M_S1N_EUlS1M_E_NS1_11comp_targetILNS1_3genE9ELNS1_11target_archE1100ELNS1_3gpuE3ELNS1_3repE0EEENS1_30default_config_static_selectorELNS0_4arch9wavefront6targetE0EEEvSZ_: ; @_ZN7rocprim17ROCPRIM_400000_NS6detail17trampoline_kernelINS0_13select_configILj256ELj13ELNS0_17block_load_methodE3ELS4_3ELS4_3ELNS0_20block_scan_algorithmE0ELj4294967295EEENS1_25partition_config_selectorILNS1_17partition_subalgoE4EjNS0_10empty_typeEbEEZZNS1_14partition_implILS8_4ELb0ES6_15HIP_vector_typeIjLj2EENS0_17counting_iteratorIjlEEPS9_SG_NS0_5tupleIJPjSI_NS0_16reverse_iteratorISI_EEEEENSH_IJSG_SG_SG_EEES9_SI_JZNS1_25segmented_radix_sort_implINS0_14default_configELb1EPKlPlSQ_SR_N2at6native12_GLOBAL__N_18offset_tEEE10hipError_tPvRmT1_PNSt15iterator_traitsISZ_E10value_typeET2_T3_PNS10_IS15_E10value_typeET4_jRbjT5_S1B_jjP12ihipStream_tbEUljE_ZNSN_ISO_Lb1ESQ_SR_SQ_SR_SV_EESW_SX_SY_SZ_S13_S14_S15_S18_S19_jS1A_jS1B_S1B_jjS1D_bEUljE0_EEESW_SX_SY_S15_S19_S1B_T6_T7_T9_mT8_S1D_bDpT10_ENKUlT_T0_E_clISt17integral_constantIbLb0EES1R_EEDaS1M_S1N_EUlS1M_E_NS1_11comp_targetILNS1_3genE9ELNS1_11target_archE1100ELNS1_3gpuE3ELNS1_3repE0EEENS1_30default_config_static_selectorELNS0_4arch9wavefront6targetE0EEEvSZ_
; %bb.0:
	s_clause 0x6
	s_load_b32 s5, s[0:1], 0x80
	s_load_b64 s[34:35], s[0:1], 0x10
	s_load_b64 s[2:3], s[0:1], 0x68
	s_load_b32 s8, s[0:1], 0x8
	s_load_b128 s[24:27], s[0:1], 0x58
	s_load_b64 s[40:41], s[0:1], 0xa8
	s_load_b256 s[16:23], s[0:1], 0x88
	s_mul_i32 s33, s15, 0xd00
	s_waitcnt lgkmcnt(0)
	s_mul_i32 s4, s5, 0xd00
	s_add_i32 s5, s5, -1
	s_add_u32 s6, s34, s4
	s_addc_u32 s7, s35, 0
	s_load_b128 s[28:31], s[26:27], 0x0
	s_cmp_eq_u32 s15, s5
	v_cmp_lt_u64_e64 s3, s[6:7], s[2:3]
	s_cselect_b32 s14, -1, 0
	s_cmp_lg_u32 s15, s5
	s_cselect_b32 s5, -1, 0
	s_add_i32 s6, s8, s33
	s_delay_alu instid0(VALU_DEP_1) | instskip(SKIP_4) | instid1(VALU_DEP_1)
	s_or_b32 s3, s5, s3
	s_add_i32 s6, s6, s34
	s_and_b32 vcc_lo, exec_lo, s3
	v_add_nc_u32_e32 v1, s6, v0
	s_mov_b32 s5, -1
	v_add_nc_u32_e32 v2, 0x100, v1
	v_add_nc_u32_e32 v3, 0x200, v1
	;; [unrolled: 1-line block ×12, first 2 shown]
	s_cbranch_vccz .LBB646_2
; %bb.1:
	v_lshlrev_b32_e32 v14, 2, v0
	s_mov_b32 s5, 0
	ds_store_2addr_stride64_b32 v14, v1, v2 offset1:4
	ds_store_2addr_stride64_b32 v14, v3, v4 offset0:8 offset1:12
	ds_store_2addr_stride64_b32 v14, v5, v6 offset0:16 offset1:20
	;; [unrolled: 1-line block ×5, first 2 shown]
	ds_store_b32 v14, v13 offset:12288
	s_waitcnt lgkmcnt(0)
	s_barrier
.LBB646_2:
	s_and_not1_b32 vcc_lo, exec_lo, s5
	s_add_i32 s4, s4, s34
	s_cbranch_vccnz .LBB646_4
; %bb.3:
	v_lshlrev_b32_e32 v14, 2, v0
	ds_store_2addr_stride64_b32 v14, v1, v2 offset1:4
	ds_store_2addr_stride64_b32 v14, v3, v4 offset0:8 offset1:12
	ds_store_2addr_stride64_b32 v14, v5, v6 offset0:16 offset1:20
	;; [unrolled: 1-line block ×5, first 2 shown]
	ds_store_b32 v14, v13 offset:12288
	s_waitcnt lgkmcnt(0)
	s_barrier
.LBB646_4:
	v_mul_u32_u24_e32 v28, 13, v0
	s_clause 0x1
	s_load_b128 s[36:39], s[0:1], 0x28
	s_load_b64 s[26:27], s[0:1], 0x38
	s_waitcnt lgkmcnt(0)
	buffer_gl0_inv
	v_cndmask_b32_e64 v26, 0, 1, s3
	s_sub_i32 s44, s2, s4
	v_lshlrev_b32_e32 v1, 2, v28
	s_and_not1_b32 vcc_lo, exec_lo, s3
	ds_load_2addr_b32 v[16:17], v1 offset1:1
	ds_load_2addr_b32 v[14:15], v1 offset0:2 offset1:3
	ds_load_2addr_b32 v[12:13], v1 offset0:4 offset1:5
	;; [unrolled: 1-line block ×5, first 2 shown]
	ds_load_b32 v27, v1 offset:48
	s_waitcnt lgkmcnt(0)
	s_barrier
	buffer_gl0_inv
	s_cbranch_vccnz .LBB646_32
; %bb.5:
	v_add_nc_u32_e32 v1, s17, v16
	v_add_nc_u32_e32 v2, s19, v16
	s_mov_b32 s46, 0
	s_mov_b32 s45, 0
	s_mov_b32 s3, exec_lo
	v_mul_lo_u32 v1, v1, s16
	v_mul_lo_u32 v2, v2, s18
	s_delay_alu instid0(VALU_DEP_1) | instskip(NEXT) | instid1(VALU_DEP_1)
	v_sub_nc_u32_e32 v1, v1, v2
	v_cmp_lt_u32_e32 vcc_lo, s20, v1
	v_cmpx_ge_u32_e64 s20, v1
; %bb.6:
	v_add_nc_u32_e32 v1, s22, v16
	v_add_nc_u32_e32 v2, s40, v16
	s_delay_alu instid0(VALU_DEP_2) | instskip(NEXT) | instid1(VALU_DEP_2)
	v_mul_lo_u32 v1, v1, s21
	v_mul_lo_u32 v2, v2, s23
	s_delay_alu instid0(VALU_DEP_1) | instskip(NEXT) | instid1(VALU_DEP_1)
	v_sub_nc_u32_e32 v1, v1, v2
	v_cmp_lt_u32_e64 s2, s41, v1
	s_delay_alu instid0(VALU_DEP_1)
	s_and_b32 s45, s2, exec_lo
; %bb.7:
	s_or_b32 exec_lo, exec_lo, s3
	v_add_nc_u32_e32 v1, s17, v17
	v_add_nc_u32_e32 v2, s19, v17
	s_mov_b32 s4, exec_lo
	s_delay_alu instid0(VALU_DEP_2) | instskip(NEXT) | instid1(VALU_DEP_2)
	v_mul_lo_u32 v1, v1, s16
	v_mul_lo_u32 v2, v2, s18
	s_delay_alu instid0(VALU_DEP_1) | instskip(NEXT) | instid1(VALU_DEP_1)
	v_sub_nc_u32_e32 v1, v1, v2
	v_cmp_lt_u32_e64 s2, s20, v1
	v_cmpx_ge_u32_e64 s20, v1
; %bb.8:
	v_add_nc_u32_e32 v1, s22, v17
	v_add_nc_u32_e32 v2, s40, v17
	s_delay_alu instid0(VALU_DEP_2) | instskip(NEXT) | instid1(VALU_DEP_2)
	v_mul_lo_u32 v1, v1, s21
	v_mul_lo_u32 v2, v2, s23
	s_delay_alu instid0(VALU_DEP_1) | instskip(NEXT) | instid1(VALU_DEP_1)
	v_sub_nc_u32_e32 v1, v1, v2
	v_cmp_lt_u32_e64 s3, s41, v1
	s_delay_alu instid0(VALU_DEP_1)
	s_and_b32 s46, s3, exec_lo
; %bb.9:
	s_or_b32 exec_lo, exec_lo, s4
	v_add_nc_u32_e32 v1, s17, v14
	v_add_nc_u32_e32 v2, s19, v14
	s_mov_b32 s48, 0
	s_mov_b32 s47, 0
	s_mov_b32 s5, exec_lo
	v_mul_lo_u32 v1, v1, s16
	v_mul_lo_u32 v2, v2, s18
	s_delay_alu instid0(VALU_DEP_1) | instskip(NEXT) | instid1(VALU_DEP_1)
	v_sub_nc_u32_e32 v1, v1, v2
	v_cmp_lt_u32_e64 s3, s20, v1
	v_cmpx_ge_u32_e64 s20, v1
; %bb.10:
	v_add_nc_u32_e32 v1, s22, v14
	v_add_nc_u32_e32 v2, s40, v14
	s_delay_alu instid0(VALU_DEP_2) | instskip(NEXT) | instid1(VALU_DEP_2)
	v_mul_lo_u32 v1, v1, s21
	v_mul_lo_u32 v2, v2, s23
	s_delay_alu instid0(VALU_DEP_1) | instskip(NEXT) | instid1(VALU_DEP_1)
	v_sub_nc_u32_e32 v1, v1, v2
	v_cmp_lt_u32_e64 s4, s41, v1
	s_delay_alu instid0(VALU_DEP_1)
	s_and_b32 s47, s4, exec_lo
; %bb.11:
	s_or_b32 exec_lo, exec_lo, s5
	v_add_nc_u32_e32 v1, s17, v15
	v_add_nc_u32_e32 v2, s19, v15
	s_mov_b32 s6, exec_lo
	s_delay_alu instid0(VALU_DEP_2) | instskip(NEXT) | instid1(VALU_DEP_2)
	v_mul_lo_u32 v1, v1, s16
	v_mul_lo_u32 v2, v2, s18
	s_delay_alu instid0(VALU_DEP_1) | instskip(NEXT) | instid1(VALU_DEP_1)
	v_sub_nc_u32_e32 v1, v1, v2
	v_cmp_lt_u32_e64 s4, s20, v1
	v_cmpx_ge_u32_e64 s20, v1
; %bb.12:
	v_add_nc_u32_e32 v1, s22, v15
	v_add_nc_u32_e32 v2, s40, v15
	s_delay_alu instid0(VALU_DEP_2) | instskip(NEXT) | instid1(VALU_DEP_2)
	v_mul_lo_u32 v1, v1, s21
	v_mul_lo_u32 v2, v2, s23
	s_delay_alu instid0(VALU_DEP_1) | instskip(NEXT) | instid1(VALU_DEP_1)
	v_sub_nc_u32_e32 v1, v1, v2
	v_cmp_lt_u32_e64 s5, s41, v1
	s_delay_alu instid0(VALU_DEP_1)
	s_and_b32 s48, s5, exec_lo
; %bb.13:
	s_or_b32 exec_lo, exec_lo, s6
	v_add_nc_u32_e32 v1, s17, v12
	v_add_nc_u32_e32 v2, s19, v12
	s_mov_b32 s50, 0
	s_mov_b32 s49, 0
	s_mov_b32 s7, exec_lo
	v_mul_lo_u32 v1, v1, s16
	v_mul_lo_u32 v2, v2, s18
	s_delay_alu instid0(VALU_DEP_1) | instskip(NEXT) | instid1(VALU_DEP_1)
	v_sub_nc_u32_e32 v1, v1, v2
	v_cmp_lt_u32_e64 s5, s20, v1
	v_cmpx_ge_u32_e64 s20, v1
; %bb.14:
	v_add_nc_u32_e32 v1, s22, v12
	v_add_nc_u32_e32 v2, s40, v12
	s_delay_alu instid0(VALU_DEP_2) | instskip(NEXT) | instid1(VALU_DEP_2)
	v_mul_lo_u32 v1, v1, s21
	v_mul_lo_u32 v2, v2, s23
	s_delay_alu instid0(VALU_DEP_1) | instskip(NEXT) | instid1(VALU_DEP_1)
	v_sub_nc_u32_e32 v1, v1, v2
	v_cmp_lt_u32_e64 s6, s41, v1
	s_delay_alu instid0(VALU_DEP_1)
	s_and_b32 s49, s6, exec_lo
; %bb.15:
	s_or_b32 exec_lo, exec_lo, s7
	v_add_nc_u32_e32 v1, s17, v13
	v_add_nc_u32_e32 v2, s19, v13
	s_mov_b32 s8, exec_lo
	s_delay_alu instid0(VALU_DEP_2) | instskip(NEXT) | instid1(VALU_DEP_2)
	v_mul_lo_u32 v1, v1, s16
	v_mul_lo_u32 v2, v2, s18
	s_delay_alu instid0(VALU_DEP_1) | instskip(NEXT) | instid1(VALU_DEP_1)
	v_sub_nc_u32_e32 v1, v1, v2
	v_cmp_lt_u32_e64 s6, s20, v1
	v_cmpx_ge_u32_e64 s20, v1
; %bb.16:
	v_add_nc_u32_e32 v1, s22, v13
	v_add_nc_u32_e32 v2, s40, v13
	s_delay_alu instid0(VALU_DEP_2) | instskip(NEXT) | instid1(VALU_DEP_2)
	v_mul_lo_u32 v1, v1, s21
	v_mul_lo_u32 v2, v2, s23
	s_delay_alu instid0(VALU_DEP_1) | instskip(NEXT) | instid1(VALU_DEP_1)
	v_sub_nc_u32_e32 v1, v1, v2
	v_cmp_lt_u32_e64 s7, s41, v1
	s_delay_alu instid0(VALU_DEP_1)
	s_and_b32 s50, s7, exec_lo
; %bb.17:
	s_or_b32 exec_lo, exec_lo, s8
	v_add_nc_u32_e32 v1, s17, v10
	v_add_nc_u32_e32 v2, s19, v10
	s_mov_b32 s52, 0
	s_mov_b32 s51, 0
	s_mov_b32 s9, exec_lo
	v_mul_lo_u32 v1, v1, s16
	v_mul_lo_u32 v2, v2, s18
	s_delay_alu instid0(VALU_DEP_1) | instskip(NEXT) | instid1(VALU_DEP_1)
	v_sub_nc_u32_e32 v1, v1, v2
	v_cmp_lt_u32_e64 s7, s20, v1
	v_cmpx_ge_u32_e64 s20, v1
; %bb.18:
	v_add_nc_u32_e32 v1, s22, v10
	v_add_nc_u32_e32 v2, s40, v10
	s_delay_alu instid0(VALU_DEP_2) | instskip(NEXT) | instid1(VALU_DEP_2)
	v_mul_lo_u32 v1, v1, s21
	v_mul_lo_u32 v2, v2, s23
	s_delay_alu instid0(VALU_DEP_1) | instskip(NEXT) | instid1(VALU_DEP_1)
	v_sub_nc_u32_e32 v1, v1, v2
	v_cmp_lt_u32_e64 s8, s41, v1
	s_delay_alu instid0(VALU_DEP_1)
	s_and_b32 s51, s8, exec_lo
; %bb.19:
	s_or_b32 exec_lo, exec_lo, s9
	v_add_nc_u32_e32 v1, s17, v11
	v_add_nc_u32_e32 v2, s19, v11
	s_mov_b32 s10, exec_lo
	s_delay_alu instid0(VALU_DEP_2) | instskip(NEXT) | instid1(VALU_DEP_2)
	v_mul_lo_u32 v1, v1, s16
	v_mul_lo_u32 v2, v2, s18
	s_delay_alu instid0(VALU_DEP_1) | instskip(NEXT) | instid1(VALU_DEP_1)
	v_sub_nc_u32_e32 v1, v1, v2
	v_cmp_lt_u32_e64 s8, s20, v1
	v_cmpx_ge_u32_e64 s20, v1
; %bb.20:
	v_add_nc_u32_e32 v1, s22, v11
	v_add_nc_u32_e32 v2, s40, v11
	s_delay_alu instid0(VALU_DEP_2) | instskip(NEXT) | instid1(VALU_DEP_2)
	v_mul_lo_u32 v1, v1, s21
	v_mul_lo_u32 v2, v2, s23
	s_delay_alu instid0(VALU_DEP_1) | instskip(NEXT) | instid1(VALU_DEP_1)
	v_sub_nc_u32_e32 v1, v1, v2
	v_cmp_lt_u32_e64 s9, s41, v1
	s_delay_alu instid0(VALU_DEP_1)
	s_and_b32 s52, s9, exec_lo
; %bb.21:
	s_or_b32 exec_lo, exec_lo, s10
	v_add_nc_u32_e32 v1, s17, v8
	v_add_nc_u32_e32 v2, s19, v8
	s_mov_b32 s55, 0
	s_mov_b32 s54, 0
	s_mov_b32 s11, exec_lo
	v_mul_lo_u32 v1, v1, s16
	v_mul_lo_u32 v2, v2, s18
	s_delay_alu instid0(VALU_DEP_1) | instskip(NEXT) | instid1(VALU_DEP_1)
	v_sub_nc_u32_e32 v1, v1, v2
	v_cmp_lt_u32_e64 s9, s20, v1
	v_cmpx_ge_u32_e64 s20, v1
; %bb.22:
	v_add_nc_u32_e32 v1, s22, v8
	v_add_nc_u32_e32 v2, s40, v8
	s_delay_alu instid0(VALU_DEP_2) | instskip(NEXT) | instid1(VALU_DEP_2)
	v_mul_lo_u32 v1, v1, s21
	v_mul_lo_u32 v2, v2, s23
	s_delay_alu instid0(VALU_DEP_1) | instskip(NEXT) | instid1(VALU_DEP_1)
	v_sub_nc_u32_e32 v1, v1, v2
	v_cmp_lt_u32_e64 s10, s41, v1
	s_delay_alu instid0(VALU_DEP_1)
	s_and_b32 s54, s10, exec_lo
; %bb.23:
	s_or_b32 exec_lo, exec_lo, s11
	v_add_nc_u32_e32 v1, s17, v9
	v_add_nc_u32_e32 v2, s19, v9
	s_mov_b32 s12, exec_lo
	s_delay_alu instid0(VALU_DEP_2) | instskip(NEXT) | instid1(VALU_DEP_2)
	v_mul_lo_u32 v1, v1, s16
	v_mul_lo_u32 v2, v2, s18
	s_delay_alu instid0(VALU_DEP_1) | instskip(NEXT) | instid1(VALU_DEP_1)
	v_sub_nc_u32_e32 v1, v1, v2
	v_cmp_lt_u32_e64 s10, s20, v1
	v_cmpx_ge_u32_e64 s20, v1
; %bb.24:
	v_add_nc_u32_e32 v1, s22, v9
	v_add_nc_u32_e32 v2, s40, v9
	s_delay_alu instid0(VALU_DEP_2) | instskip(NEXT) | instid1(VALU_DEP_2)
	v_mul_lo_u32 v1, v1, s21
	v_mul_lo_u32 v2, v2, s23
	s_delay_alu instid0(VALU_DEP_1) | instskip(NEXT) | instid1(VALU_DEP_1)
	v_sub_nc_u32_e32 v1, v1, v2
	v_cmp_lt_u32_e64 s11, s41, v1
	s_delay_alu instid0(VALU_DEP_1)
	s_and_b32 s55, s11, exec_lo
; %bb.25:
	s_or_b32 exec_lo, exec_lo, s12
	v_add_nc_u32_e32 v1, s17, v6
	v_add_nc_u32_e32 v2, s19, v6
	s_mov_b32 s56, 0
	s_mov_b32 s57, 0
	s_mov_b32 s13, exec_lo
	v_mul_lo_u32 v1, v1, s16
	v_mul_lo_u32 v2, v2, s18
	s_delay_alu instid0(VALU_DEP_1) | instskip(NEXT) | instid1(VALU_DEP_1)
	v_sub_nc_u32_e32 v1, v1, v2
	v_cmp_lt_u32_e64 s11, s20, v1
	v_cmpx_ge_u32_e64 s20, v1
; %bb.26:
	v_add_nc_u32_e32 v1, s22, v6
	v_add_nc_u32_e32 v2, s40, v6
	s_delay_alu instid0(VALU_DEP_2) | instskip(NEXT) | instid1(VALU_DEP_2)
	v_mul_lo_u32 v1, v1, s21
	v_mul_lo_u32 v2, v2, s23
	s_delay_alu instid0(VALU_DEP_1) | instskip(NEXT) | instid1(VALU_DEP_1)
	v_sub_nc_u32_e32 v1, v1, v2
	v_cmp_lt_u32_e64 s12, s41, v1
	s_delay_alu instid0(VALU_DEP_1)
	s_and_b32 s57, s12, exec_lo
; %bb.27:
	s_or_b32 exec_lo, exec_lo, s13
	v_add_nc_u32_e32 v1, s17, v7
	v_add_nc_u32_e32 v2, s19, v7
	s_mov_b32 s42, exec_lo
	s_delay_alu instid0(VALU_DEP_2) | instskip(NEXT) | instid1(VALU_DEP_2)
	v_mul_lo_u32 v1, v1, s16
	v_mul_lo_u32 v2, v2, s18
	s_delay_alu instid0(VALU_DEP_1) | instskip(NEXT) | instid1(VALU_DEP_1)
	v_sub_nc_u32_e32 v1, v1, v2
	v_cmp_lt_u32_e64 s12, s20, v1
	v_cmpx_ge_u32_e64 s20, v1
; %bb.28:
	v_add_nc_u32_e32 v1, s22, v7
	v_add_nc_u32_e32 v2, s40, v7
	s_delay_alu instid0(VALU_DEP_2) | instskip(NEXT) | instid1(VALU_DEP_2)
	v_mul_lo_u32 v1, v1, s21
	v_mul_lo_u32 v2, v2, s23
	s_delay_alu instid0(VALU_DEP_1) | instskip(NEXT) | instid1(VALU_DEP_1)
	v_sub_nc_u32_e32 v1, v1, v2
	v_cmp_lt_u32_e64 s13, s41, v1
	s_delay_alu instid0(VALU_DEP_1)
	s_and_b32 s56, s13, exec_lo
; %bb.29:
	s_or_b32 exec_lo, exec_lo, s42
	v_add_nc_u32_e32 v1, s17, v27
	v_add_nc_u32_e32 v2, s19, v27
	s_mov_b32 s42, -1
	s_mov_b32 s53, 0
	s_mov_b32 s43, 0
	v_mul_lo_u32 v1, v1, s16
	v_mul_lo_u32 v2, v2, s18
	s_mov_b32 s58, exec_lo
	s_delay_alu instid0(VALU_DEP_1) | instskip(NEXT) | instid1(VALU_DEP_1)
	v_sub_nc_u32_e32 v1, v1, v2
	v_cmpx_ge_u32_e64 s20, v1
; %bb.30:
	v_add_nc_u32_e32 v1, s22, v27
	v_add_nc_u32_e32 v2, s40, v27
	s_xor_b32 s42, exec_lo, -1
	s_delay_alu instid0(VALU_DEP_2) | instskip(NEXT) | instid1(VALU_DEP_2)
	v_mul_lo_u32 v1, v1, s21
	v_mul_lo_u32 v2, v2, s23
	s_delay_alu instid0(VALU_DEP_1) | instskip(NEXT) | instid1(VALU_DEP_1)
	v_sub_nc_u32_e32 v1, v1, v2
	v_cmp_lt_u32_e64 s13, s41, v1
	s_delay_alu instid0(VALU_DEP_1)
	s_and_b32 s43, s13, exec_lo
; %bb.31:
	s_or_b32 exec_lo, exec_lo, s58
	v_cndmask_b32_e64 v48, 0, 1, s57
	v_cndmask_b32_e64 v51, 0, 1, s12
	;; [unrolled: 1-line block ×22, first 2 shown]
	v_cndmask_b32_e64 v29, 0, 1, vcc_lo
	v_cndmask_b32_e64 v52, 0, 1, s56
	s_load_b64 s[4:5], s[0:1], 0x78
	s_and_b32 vcc_lo, exec_lo, s53
	s_add_i32 s3, s44, 0xd00
	s_cbranch_vccnz .LBB646_33
	s_branch .LBB646_86
.LBB646_32:
                                        ; implicit-def: $sgpr42
                                        ; implicit-def: $sgpr43
                                        ; implicit-def: $vgpr52
                                        ; implicit-def: $vgpr48
                                        ; implicit-def: $vgpr47
                                        ; implicit-def: $vgpr45
                                        ; implicit-def: $vgpr43
                                        ; implicit-def: $vgpr40
                                        ; implicit-def: $vgpr39
                                        ; implicit-def: $vgpr37
                                        ; implicit-def: $vgpr35
                                        ; implicit-def: $vgpr29
                                        ; implicit-def: $vgpr33
                                        ; implicit-def: $vgpr31
                                        ; implicit-def: $vgpr32
                                        ; implicit-def: $vgpr38
                                        ; implicit-def: $vgpr41
                                        ; implicit-def: $vgpr42
                                        ; implicit-def: $vgpr44
                                        ; implicit-def: $vgpr46
                                        ; implicit-def: $vgpr49
                                        ; implicit-def: $vgpr50
                                        ; implicit-def: $vgpr51
                                        ; implicit-def: $vgpr30
                                        ; implicit-def: $vgpr34
                                        ; implicit-def: $vgpr36
	s_load_b64 s[4:5], s[0:1], 0x78
	s_add_i32 s3, s44, 0xd00
	s_cbranch_execz .LBB646_86
.LBB646_33:
	v_dual_mov_b32 v30, 0 :: v_dual_mov_b32 v29, 0
	s_mov_b32 s2, 0
	s_mov_b32 s1, exec_lo
	v_cmpx_gt_u32_e64 s3, v28
	s_cbranch_execz .LBB646_37
; %bb.34:
	v_add_nc_u32_e32 v1, s17, v16
	v_add_nc_u32_e32 v2, s19, v16
	s_mov_b32 s6, exec_lo
	s_delay_alu instid0(VALU_DEP_2) | instskip(NEXT) | instid1(VALU_DEP_2)
	v_mul_lo_u32 v1, v1, s16
	v_mul_lo_u32 v2, v2, s18
	s_delay_alu instid0(VALU_DEP_1) | instskip(NEXT) | instid1(VALU_DEP_1)
	v_sub_nc_u32_e32 v1, v1, v2
	v_cmp_lt_u32_e32 vcc_lo, s20, v1
	v_cmpx_ge_u32_e64 s20, v1
; %bb.35:
	v_add_nc_u32_e32 v1, s22, v16
	v_add_nc_u32_e32 v2, s40, v16
	s_delay_alu instid0(VALU_DEP_2) | instskip(NEXT) | instid1(VALU_DEP_2)
	v_mul_lo_u32 v1, v1, s21
	v_mul_lo_u32 v2, v2, s23
	s_delay_alu instid0(VALU_DEP_1) | instskip(NEXT) | instid1(VALU_DEP_1)
	v_sub_nc_u32_e32 v1, v1, v2
	v_cmp_lt_u32_e64 s0, s41, v1
	s_delay_alu instid0(VALU_DEP_1)
	s_and_b32 s2, s0, exec_lo
; %bb.36:
	s_or_b32 exec_lo, exec_lo, s6
	v_cndmask_b32_e64 v29, 0, 1, vcc_lo
	v_cndmask_b32_e64 v30, 0, 1, s2
.LBB646_37:
	s_or_b32 exec_lo, exec_lo, s1
	v_dual_mov_b32 v34, 0 :: v_dual_add_nc_u32 v1, 1, v28
	v_mov_b32_e32 v33, 0
	s_mov_b32 s2, 0
	s_mov_b32 s1, exec_lo
	s_delay_alu instid0(VALU_DEP_2)
	v_cmpx_gt_u32_e64 s3, v1
	s_cbranch_execz .LBB646_41
; %bb.38:
	v_add_nc_u32_e32 v1, s17, v17
	v_add_nc_u32_e32 v2, s19, v17
	s_mov_b32 s6, exec_lo
	s_delay_alu instid0(VALU_DEP_2) | instskip(NEXT) | instid1(VALU_DEP_2)
	v_mul_lo_u32 v1, v1, s16
	v_mul_lo_u32 v2, v2, s18
	s_delay_alu instid0(VALU_DEP_1) | instskip(NEXT) | instid1(VALU_DEP_1)
	v_sub_nc_u32_e32 v1, v1, v2
	v_cmp_lt_u32_e32 vcc_lo, s20, v1
	v_cmpx_ge_u32_e64 s20, v1
; %bb.39:
	v_add_nc_u32_e32 v1, s22, v17
	v_add_nc_u32_e32 v2, s40, v17
	s_delay_alu instid0(VALU_DEP_2) | instskip(NEXT) | instid1(VALU_DEP_2)
	v_mul_lo_u32 v1, v1, s21
	v_mul_lo_u32 v2, v2, s23
	s_delay_alu instid0(VALU_DEP_1) | instskip(NEXT) | instid1(VALU_DEP_1)
	v_sub_nc_u32_e32 v1, v1, v2
	v_cmp_lt_u32_e64 s0, s41, v1
	s_delay_alu instid0(VALU_DEP_1)
	s_and_b32 s2, s0, exec_lo
; %bb.40:
	s_or_b32 exec_lo, exec_lo, s6
	v_cndmask_b32_e64 v33, 0, 1, vcc_lo
	v_cndmask_b32_e64 v34, 0, 1, s2
.LBB646_41:
	s_or_b32 exec_lo, exec_lo, s1
	v_dual_mov_b32 v36, 0 :: v_dual_add_nc_u32 v1, 2, v28
	v_mov_b32_e32 v31, 0
	s_mov_b32 s2, 0
	s_mov_b32 s1, exec_lo
	s_delay_alu instid0(VALU_DEP_2)
	;; [unrolled: 35-line block ×4, first 2 shown]
	v_cmpx_gt_u32_e64 s3, v1
	s_cbranch_execz .LBB646_53
; %bb.50:
	v_add_nc_u32_e32 v1, s17, v12
	v_add_nc_u32_e32 v2, s19, v12
	s_mov_b32 s6, exec_lo
	s_delay_alu instid0(VALU_DEP_2) | instskip(NEXT) | instid1(VALU_DEP_2)
	v_mul_lo_u32 v1, v1, s16
	v_mul_lo_u32 v2, v2, s18
	s_delay_alu instid0(VALU_DEP_1) | instskip(NEXT) | instid1(VALU_DEP_1)
	v_sub_nc_u32_e32 v1, v1, v2
	v_cmp_lt_u32_e32 vcc_lo, s20, v1
	v_cmpx_ge_u32_e64 s20, v1
; %bb.51:
	v_add_nc_u32_e32 v1, s22, v12
	v_add_nc_u32_e32 v2, s40, v12
	s_delay_alu instid0(VALU_DEP_2) | instskip(NEXT) | instid1(VALU_DEP_2)
	v_mul_lo_u32 v1, v1, s21
	v_mul_lo_u32 v2, v2, s23
	s_delay_alu instid0(VALU_DEP_1) | instskip(NEXT) | instid1(VALU_DEP_1)
	v_sub_nc_u32_e32 v1, v1, v2
	v_cmp_lt_u32_e64 s0, s41, v1
	s_delay_alu instid0(VALU_DEP_1)
	s_and_b32 s2, s0, exec_lo
; %bb.52:
	s_or_b32 exec_lo, exec_lo, s6
	v_cndmask_b32_e64 v38, 0, 1, vcc_lo
	v_cndmask_b32_e64 v37, 0, 1, s2
.LBB646_53:
	s_or_b32 exec_lo, exec_lo, s1
	v_add_nc_u32_e32 v1, 5, v28
	v_mov_b32_e32 v39, 0
	v_mov_b32_e32 v41, 0
	s_mov_b32 s2, 0
	s_mov_b32 s1, exec_lo
	v_cmpx_gt_u32_e64 s3, v1
	s_cbranch_execz .LBB646_57
; %bb.54:
	v_add_nc_u32_e32 v1, s17, v13
	v_add_nc_u32_e32 v2, s19, v13
	s_mov_b32 s6, exec_lo
	s_delay_alu instid0(VALU_DEP_2) | instskip(NEXT) | instid1(VALU_DEP_2)
	v_mul_lo_u32 v1, v1, s16
	v_mul_lo_u32 v2, v2, s18
	s_delay_alu instid0(VALU_DEP_1) | instskip(NEXT) | instid1(VALU_DEP_1)
	v_sub_nc_u32_e32 v1, v1, v2
	v_cmp_lt_u32_e32 vcc_lo, s20, v1
	v_cmpx_ge_u32_e64 s20, v1
; %bb.55:
	v_add_nc_u32_e32 v1, s22, v13
	v_add_nc_u32_e32 v2, s40, v13
	s_delay_alu instid0(VALU_DEP_2) | instskip(NEXT) | instid1(VALU_DEP_2)
	v_mul_lo_u32 v1, v1, s21
	v_mul_lo_u32 v2, v2, s23
	s_delay_alu instid0(VALU_DEP_1) | instskip(NEXT) | instid1(VALU_DEP_1)
	v_sub_nc_u32_e32 v1, v1, v2
	v_cmp_lt_u32_e64 s0, s41, v1
	s_delay_alu instid0(VALU_DEP_1)
	s_and_b32 s2, s0, exec_lo
; %bb.56:
	s_or_b32 exec_lo, exec_lo, s6
	v_cndmask_b32_e64 v41, 0, 1, vcc_lo
	v_cndmask_b32_e64 v39, 0, 1, s2
.LBB646_57:
	s_or_b32 exec_lo, exec_lo, s1
	v_dual_mov_b32 v40, 0 :: v_dual_add_nc_u32 v1, 6, v28
	v_mov_b32_e32 v42, 0
	s_mov_b32 s2, 0
	s_mov_b32 s1, exec_lo
	s_delay_alu instid0(VALU_DEP_2)
	v_cmpx_gt_u32_e64 s3, v1
	s_cbranch_execz .LBB646_61
; %bb.58:
	v_add_nc_u32_e32 v1, s17, v10
	v_add_nc_u32_e32 v2, s19, v10
	s_mov_b32 s6, exec_lo
	s_delay_alu instid0(VALU_DEP_2) | instskip(NEXT) | instid1(VALU_DEP_2)
	v_mul_lo_u32 v1, v1, s16
	v_mul_lo_u32 v2, v2, s18
	s_delay_alu instid0(VALU_DEP_1) | instskip(NEXT) | instid1(VALU_DEP_1)
	v_sub_nc_u32_e32 v1, v1, v2
	v_cmp_lt_u32_e32 vcc_lo, s20, v1
	v_cmpx_ge_u32_e64 s20, v1
; %bb.59:
	v_add_nc_u32_e32 v1, s22, v10
	v_add_nc_u32_e32 v2, s40, v10
	s_delay_alu instid0(VALU_DEP_2) | instskip(NEXT) | instid1(VALU_DEP_2)
	v_mul_lo_u32 v1, v1, s21
	v_mul_lo_u32 v2, v2, s23
	s_delay_alu instid0(VALU_DEP_1) | instskip(NEXT) | instid1(VALU_DEP_1)
	v_sub_nc_u32_e32 v1, v1, v2
	v_cmp_lt_u32_e64 s0, s41, v1
	s_delay_alu instid0(VALU_DEP_1)
	s_and_b32 s2, s0, exec_lo
; %bb.60:
	s_or_b32 exec_lo, exec_lo, s6
	v_cndmask_b32_e64 v42, 0, 1, vcc_lo
	v_cndmask_b32_e64 v40, 0, 1, s2
.LBB646_61:
	s_or_b32 exec_lo, exec_lo, s1
	v_dual_mov_b32 v44, 0 :: v_dual_add_nc_u32 v1, 7, v28
	v_mov_b32_e32 v43, 0
	s_mov_b32 s2, 0
	s_mov_b32 s1, exec_lo
	s_delay_alu instid0(VALU_DEP_2)
	;; [unrolled: 35-line block ×3, first 2 shown]
	v_cmpx_gt_u32_e64 s3, v1
	s_cbranch_execz .LBB646_69
; %bb.66:
	v_add_nc_u32_e32 v1, s17, v8
	v_add_nc_u32_e32 v2, s19, v8
	s_mov_b32 s6, exec_lo
	s_delay_alu instid0(VALU_DEP_2) | instskip(NEXT) | instid1(VALU_DEP_2)
	v_mul_lo_u32 v1, v1, s16
	v_mul_lo_u32 v2, v2, s18
	s_delay_alu instid0(VALU_DEP_1) | instskip(NEXT) | instid1(VALU_DEP_1)
	v_sub_nc_u32_e32 v1, v1, v2
	v_cmp_lt_u32_e32 vcc_lo, s20, v1
	v_cmpx_ge_u32_e64 s20, v1
; %bb.67:
	v_add_nc_u32_e32 v1, s22, v8
	v_add_nc_u32_e32 v2, s40, v8
	s_delay_alu instid0(VALU_DEP_2) | instskip(NEXT) | instid1(VALU_DEP_2)
	v_mul_lo_u32 v1, v1, s21
	v_mul_lo_u32 v2, v2, s23
	s_delay_alu instid0(VALU_DEP_1) | instskip(NEXT) | instid1(VALU_DEP_1)
	v_sub_nc_u32_e32 v1, v1, v2
	v_cmp_lt_u32_e64 s0, s41, v1
	s_delay_alu instid0(VALU_DEP_1)
	s_and_b32 s2, s0, exec_lo
; %bb.68:
	s_or_b32 exec_lo, exec_lo, s6
	v_cndmask_b32_e64 v46, 0, 1, vcc_lo
	v_cndmask_b32_e64 v45, 0, 1, s2
.LBB646_69:
	s_or_b32 exec_lo, exec_lo, s1
	v_add_nc_u32_e32 v1, 9, v28
	v_mov_b32_e32 v47, 0
	v_mov_b32_e32 v49, 0
	s_mov_b32 s2, 0
	s_mov_b32 s1, exec_lo
	v_cmpx_gt_u32_e64 s3, v1
	s_cbranch_execz .LBB646_73
; %bb.70:
	v_add_nc_u32_e32 v1, s17, v9
	v_add_nc_u32_e32 v2, s19, v9
	s_mov_b32 s6, exec_lo
	s_delay_alu instid0(VALU_DEP_2) | instskip(NEXT) | instid1(VALU_DEP_2)
	v_mul_lo_u32 v1, v1, s16
	v_mul_lo_u32 v2, v2, s18
	s_delay_alu instid0(VALU_DEP_1) | instskip(NEXT) | instid1(VALU_DEP_1)
	v_sub_nc_u32_e32 v1, v1, v2
	v_cmp_lt_u32_e32 vcc_lo, s20, v1
	v_cmpx_ge_u32_e64 s20, v1
; %bb.71:
	v_add_nc_u32_e32 v1, s22, v9
	v_add_nc_u32_e32 v2, s40, v9
	s_delay_alu instid0(VALU_DEP_2) | instskip(NEXT) | instid1(VALU_DEP_2)
	v_mul_lo_u32 v1, v1, s21
	v_mul_lo_u32 v2, v2, s23
	s_delay_alu instid0(VALU_DEP_1) | instskip(NEXT) | instid1(VALU_DEP_1)
	v_sub_nc_u32_e32 v1, v1, v2
	v_cmp_lt_u32_e64 s0, s41, v1
	s_delay_alu instid0(VALU_DEP_1)
	s_and_b32 s2, s0, exec_lo
; %bb.72:
	s_or_b32 exec_lo, exec_lo, s6
	v_cndmask_b32_e64 v49, 0, 1, vcc_lo
	v_cndmask_b32_e64 v47, 0, 1, s2
.LBB646_73:
	s_or_b32 exec_lo, exec_lo, s1
	v_dual_mov_b32 v48, 0 :: v_dual_add_nc_u32 v1, 10, v28
	v_mov_b32_e32 v50, 0
	s_mov_b32 s2, 0
	s_mov_b32 s1, exec_lo
	s_delay_alu instid0(VALU_DEP_2)
	v_cmpx_gt_u32_e64 s3, v1
	s_cbranch_execz .LBB646_77
; %bb.74:
	v_add_nc_u32_e32 v1, s17, v6
	v_add_nc_u32_e32 v2, s19, v6
	s_mov_b32 s6, exec_lo
	s_delay_alu instid0(VALU_DEP_2) | instskip(NEXT) | instid1(VALU_DEP_2)
	v_mul_lo_u32 v1, v1, s16
	v_mul_lo_u32 v2, v2, s18
	s_delay_alu instid0(VALU_DEP_1) | instskip(NEXT) | instid1(VALU_DEP_1)
	v_sub_nc_u32_e32 v1, v1, v2
	v_cmp_lt_u32_e32 vcc_lo, s20, v1
	v_cmpx_ge_u32_e64 s20, v1
; %bb.75:
	v_add_nc_u32_e32 v1, s22, v6
	v_add_nc_u32_e32 v2, s40, v6
	s_delay_alu instid0(VALU_DEP_2) | instskip(NEXT) | instid1(VALU_DEP_2)
	v_mul_lo_u32 v1, v1, s21
	v_mul_lo_u32 v2, v2, s23
	s_delay_alu instid0(VALU_DEP_1) | instskip(NEXT) | instid1(VALU_DEP_1)
	v_sub_nc_u32_e32 v1, v1, v2
	v_cmp_lt_u32_e64 s0, s41, v1
	s_delay_alu instid0(VALU_DEP_1)
	s_and_b32 s2, s0, exec_lo
; %bb.76:
	s_or_b32 exec_lo, exec_lo, s6
	v_cndmask_b32_e64 v50, 0, 1, vcc_lo
	v_cndmask_b32_e64 v48, 0, 1, s2
.LBB646_77:
	s_or_b32 exec_lo, exec_lo, s1
	v_dual_mov_b32 v52, 0 :: v_dual_add_nc_u32 v1, 11, v28
	v_mov_b32_e32 v51, 0
	s_mov_b32 s2, 0
	s_mov_b32 s1, exec_lo
	s_delay_alu instid0(VALU_DEP_2)
	v_cmpx_gt_u32_e64 s3, v1
	s_cbranch_execz .LBB646_81
; %bb.78:
	v_add_nc_u32_e32 v1, s17, v7
	v_add_nc_u32_e32 v2, s19, v7
	s_mov_b32 s6, exec_lo
	s_delay_alu instid0(VALU_DEP_2) | instskip(NEXT) | instid1(VALU_DEP_2)
	v_mul_lo_u32 v1, v1, s16
	v_mul_lo_u32 v2, v2, s18
	s_delay_alu instid0(VALU_DEP_1) | instskip(NEXT) | instid1(VALU_DEP_1)
	v_sub_nc_u32_e32 v1, v1, v2
	v_cmp_lt_u32_e32 vcc_lo, s20, v1
	v_cmpx_ge_u32_e64 s20, v1
; %bb.79:
	v_add_nc_u32_e32 v1, s22, v7
	v_add_nc_u32_e32 v2, s40, v7
	s_delay_alu instid0(VALU_DEP_2) | instskip(NEXT) | instid1(VALU_DEP_2)
	v_mul_lo_u32 v1, v1, s21
	v_mul_lo_u32 v2, v2, s23
	s_delay_alu instid0(VALU_DEP_1) | instskip(NEXT) | instid1(VALU_DEP_1)
	v_sub_nc_u32_e32 v1, v1, v2
	v_cmp_lt_u32_e64 s0, s41, v1
	s_delay_alu instid0(VALU_DEP_1)
	s_and_b32 s2, s0, exec_lo
; %bb.80:
	s_or_b32 exec_lo, exec_lo, s6
	v_cndmask_b32_e64 v51, 0, 1, vcc_lo
	v_cndmask_b32_e64 v52, 0, 1, s2
.LBB646_81:
	s_or_b32 exec_lo, exec_lo, s1
	v_add_nc_u32_e32 v1, 12, v28
	s_mov_b32 s42, 0
	s_mov_b32 s43, 0
	s_mov_b32 s0, exec_lo
	s_delay_alu instid0(VALU_DEP_1)
	v_cmpx_gt_u32_e64 s3, v1
	s_cbranch_execz .LBB646_85
; %bb.82:
	v_add_nc_u32_e32 v1, s17, v27
	v_add_nc_u32_e32 v2, s19, v27
	s_mov_b32 s2, -1
	s_mov_b32 s6, 0
	s_mov_b32 s1, exec_lo
	v_mul_lo_u32 v1, v1, s16
	v_mul_lo_u32 v2, v2, s18
	s_delay_alu instid0(VALU_DEP_1) | instskip(NEXT) | instid1(VALU_DEP_1)
	v_sub_nc_u32_e32 v1, v1, v2
	v_cmpx_ge_u32_e64 s20, v1
; %bb.83:
	v_add_nc_u32_e32 v1, s22, v27
	v_add_nc_u32_e32 v2, s40, v27
	s_xor_b32 s2, exec_lo, -1
	s_delay_alu instid0(VALU_DEP_2) | instskip(NEXT) | instid1(VALU_DEP_2)
	v_mul_lo_u32 v1, v1, s21
	v_mul_lo_u32 v2, v2, s23
	s_delay_alu instid0(VALU_DEP_1) | instskip(NEXT) | instid1(VALU_DEP_1)
	v_sub_nc_u32_e32 v1, v1, v2
	v_cmp_lt_u32_e32 vcc_lo, s41, v1
	s_and_b32 s6, vcc_lo, exec_lo
; %bb.84:
	s_or_b32 exec_lo, exec_lo, s1
	s_delay_alu instid0(SALU_CYCLE_1)
	s_and_b32 s43, s6, exec_lo
	s_and_b32 s42, s2, exec_lo
.LBB646_85:
	s_or_b32 exec_lo, exec_lo, s0
.LBB646_86:
	v_and_b32_e32 v75, 0xff, v29
	v_and_b32_e32 v76, 0xff, v30
	;; [unrolled: 1-line block ×10, first 2 shown]
	v_add3_u32 v1, v71, v73, v75
	v_add3_u32 v2, v72, v74, v76
	v_and_b32_e32 v65, 0xff, v41
	v_and_b32_e32 v66, 0xff, v39
	v_and_b32_e32 v61, 0xff, v42
	v_and_b32_e32 v62, 0xff, v40
	v_add3_u32 v1, v1, v69, v67
	v_add3_u32 v2, v2, v70, v68
	v_and_b32_e32 v63, 0xff, v44
	v_and_b32_e32 v64, 0xff, v43
	v_and_b32_e32 v59, 0xff, v46
	v_and_b32_e32 v60, 0xff, v45
	;; [unrolled: 6-line block ×3, first 2 shown]
	v_add3_u32 v1, v1, v63, v59
	v_add3_u32 v2, v2, v64, v60
	v_mbcnt_lo_u32_b32 v77, -1, 0
	v_and_b32_e32 v53, 0xff, v51
	v_and_b32_e32 v54, 0xff, v52
	v_cndmask_b32_e64 v3, 0, 1, s43
	v_add3_u32 v1, v1, v57, v55
	v_cndmask_b32_e64 v4, 0, 1, s42
	v_add3_u32 v2, v2, v58, v56
	v_and_b32_e32 v81, 15, v77
	v_and_b32_e32 v80, 16, v77
	v_lshrrev_b32_e32 v78, 5, v0
	v_add3_u32 v82, v1, v53, v4
	v_add3_u32 v83, v2, v54, v3
	v_cmp_eq_u32_e64 s1, 0, v81
	v_cmp_lt_u32_e64 s0, 1, v81
	v_cmp_lt_u32_e64 s2, 3, v81
	v_cmp_lt_u32_e32 vcc_lo, 7, v81
	v_or_b32_e32 v79, 31, v0
	s_cmp_lg_u32 s15, 0
	s_mov_b32 s6, -1
	s_cbranch_scc0 .LBB646_114
; %bb.87:
	v_mov_b32_dpp v1, v83 row_shr:1 row_mask:0xf bank_mask:0xf
	v_mov_b32_dpp v2, v82 row_shr:1 row_mask:0xf bank_mask:0xf
	s_delay_alu instid0(VALU_DEP_2) | instskip(NEXT) | instid1(VALU_DEP_1)
	v_add_nc_u32_e32 v1, v1, v83
	v_cndmask_b32_e64 v1, v1, v83, s1
	s_delay_alu instid0(VALU_DEP_1) | instskip(NEXT) | instid1(VALU_DEP_1)
	v_mov_b32_dpp v3, v1 row_shr:2 row_mask:0xf bank_mask:0xf
	v_add_nc_u32_e32 v3, v1, v3
	s_delay_alu instid0(VALU_DEP_1) | instskip(NEXT) | instid1(VALU_DEP_1)
	v_cndmask_b32_e64 v1, v1, v3, s0
	v_mov_b32_dpp v3, v1 row_shr:4 row_mask:0xf bank_mask:0xf
	s_delay_alu instid0(VALU_DEP_1) | instskip(NEXT) | instid1(VALU_DEP_1)
	v_add_nc_u32_e32 v3, v1, v3
	v_cndmask_b32_e64 v1, v1, v3, s2
	s_delay_alu instid0(VALU_DEP_1) | instskip(NEXT) | instid1(VALU_DEP_1)
	v_mov_b32_dpp v3, v1 row_shr:8 row_mask:0xf bank_mask:0xf
	v_add_nc_u32_e32 v3, v1, v3
	s_delay_alu instid0(VALU_DEP_1) | instskip(NEXT) | instid1(VALU_DEP_1)
	v_dual_cndmask_b32 v1, v1, v3 :: v_dual_add_nc_u32 v2, v2, v82
	v_cndmask_b32_e64 v2, v2, v82, s1
	s_delay_alu instid0(VALU_DEP_1) | instskip(NEXT) | instid1(VALU_DEP_1)
	v_mov_b32_dpp v4, v2 row_shr:2 row_mask:0xf bank_mask:0xf
	v_add_nc_u32_e32 v4, v2, v4
	s_delay_alu instid0(VALU_DEP_1) | instskip(NEXT) | instid1(VALU_DEP_1)
	v_cndmask_b32_e64 v2, v2, v4, s0
	v_mov_b32_dpp v4, v2 row_shr:4 row_mask:0xf bank_mask:0xf
	s_delay_alu instid0(VALU_DEP_1) | instskip(NEXT) | instid1(VALU_DEP_1)
	v_add_nc_u32_e32 v4, v2, v4
	v_cndmask_b32_e64 v2, v2, v4, s2
	s_mov_b32 s2, exec_lo
	s_delay_alu instid0(VALU_DEP_1) | instskip(NEXT) | instid1(VALU_DEP_1)
	v_mov_b32_dpp v4, v2 row_shr:8 row_mask:0xf bank_mask:0xf
	v_add_nc_u32_e32 v4, v2, v4
	s_delay_alu instid0(VALU_DEP_1)
	v_cndmask_b32_e32 v3, v2, v4, vcc_lo
	ds_swizzle_b32 v2, v1 offset:swizzle(BROADCAST,32,15)
	v_cmp_eq_u32_e32 vcc_lo, 0, v80
	s_waitcnt lgkmcnt(0)
	v_add_nc_u32_e32 v2, v1, v2
	ds_swizzle_b32 v4, v3 offset:swizzle(BROADCAST,32,15)
	v_cndmask_b32_e32 v2, v2, v1, vcc_lo
	s_waitcnt lgkmcnt(0)
	v_add_nc_u32_e32 v4, v3, v4
	s_delay_alu instid0(VALU_DEP_1)
	v_cndmask_b32_e32 v1, v4, v3, vcc_lo
	v_cmpx_eq_u32_e64 v79, v0
	s_cbranch_execz .LBB646_89
; %bb.88:
	v_lshlrev_b32_e32 v3, 3, v78
	ds_store_b64 v3, v[1:2]
.LBB646_89:
	s_or_b32 exec_lo, exec_lo, s2
	s_delay_alu instid0(SALU_CYCLE_1)
	s_mov_b32 s2, exec_lo
	s_waitcnt lgkmcnt(0)
	s_barrier
	buffer_gl0_inv
	v_cmpx_gt_u32_e32 8, v0
	s_cbranch_execz .LBB646_91
; %bb.90:
	v_lshlrev_b32_e32 v5, 3, v0
	ds_load_b64 v[3:4], v5
	s_waitcnt lgkmcnt(0)
	v_mov_b32_dpp v18, v3 row_shr:1 row_mask:0xf bank_mask:0xf
	v_mov_b32_dpp v19, v4 row_shr:1 row_mask:0xf bank_mask:0xf
	s_delay_alu instid0(VALU_DEP_2) | instskip(SKIP_1) | instid1(VALU_DEP_3)
	v_add_nc_u32_e32 v18, v18, v3
	v_and_b32_e32 v20, 7, v77
	v_add_nc_u32_e32 v19, v19, v4
	s_delay_alu instid0(VALU_DEP_2) | instskip(NEXT) | instid1(VALU_DEP_2)
	v_cmp_eq_u32_e32 vcc_lo, 0, v20
	v_dual_cndmask_b32 v4, v19, v4 :: v_dual_cndmask_b32 v3, v18, v3
	v_cmp_lt_u32_e32 vcc_lo, 1, v20
	s_delay_alu instid0(VALU_DEP_2) | instskip(NEXT) | instid1(VALU_DEP_3)
	v_mov_b32_dpp v19, v4 row_shr:2 row_mask:0xf bank_mask:0xf
	v_mov_b32_dpp v18, v3 row_shr:2 row_mask:0xf bank_mask:0xf
	s_delay_alu instid0(VALU_DEP_2) | instskip(NEXT) | instid1(VALU_DEP_2)
	v_add_nc_u32_e32 v19, v4, v19
	v_add_nc_u32_e32 v18, v3, v18
	s_delay_alu instid0(VALU_DEP_1) | instskip(SKIP_1) | instid1(VALU_DEP_2)
	v_dual_cndmask_b32 v4, v4, v19 :: v_dual_cndmask_b32 v3, v3, v18
	v_cmp_lt_u32_e32 vcc_lo, 3, v20
	v_mov_b32_dpp v19, v4 row_shr:4 row_mask:0xf bank_mask:0xf
	s_delay_alu instid0(VALU_DEP_3) | instskip(NEXT) | instid1(VALU_DEP_1)
	v_mov_b32_dpp v18, v3 row_shr:4 row_mask:0xf bank_mask:0xf
	v_dual_cndmask_b32 v19, 0, v19 :: v_dual_cndmask_b32 v18, 0, v18
	s_delay_alu instid0(VALU_DEP_1) | instskip(NEXT) | instid1(VALU_DEP_2)
	v_add_nc_u32_e32 v4, v19, v4
	v_add_nc_u32_e32 v3, v18, v3
	ds_store_b64 v5, v[3:4]
.LBB646_91:
	s_or_b32 exec_lo, exec_lo, s2
	v_cmp_gt_u32_e32 vcc_lo, 32, v0
	v_cmp_lt_u32_e64 s2, 31, v0
	s_waitcnt lgkmcnt(0)
	s_barrier
	buffer_gl0_inv
                                        ; implicit-def: $vgpr19
	s_and_saveexec_b32 s6, s2
	s_delay_alu instid0(SALU_CYCLE_1)
	s_xor_b32 s2, exec_lo, s6
	s_cbranch_execz .LBB646_93
; %bb.92:
	v_lshl_add_u32 v3, v78, 3, -8
	ds_load_b64 v[18:19], v3
	s_waitcnt lgkmcnt(0)
	v_add_nc_u32_e32 v2, v19, v2
	v_add_nc_u32_e32 v1, v18, v1
.LBB646_93:
	s_and_not1_saveexec_b32 s2, s2
; %bb.94:
                                        ; implicit-def: $vgpr18
; %bb.95:
	s_delay_alu instid0(SALU_CYCLE_1) | instskip(SKIP_1) | instid1(VALU_DEP_1)
	s_or_b32 exec_lo, exec_lo, s2
	v_add_nc_u32_e32 v3, -1, v77
	v_cmp_gt_i32_e64 s2, 0, v3
	s_delay_alu instid0(VALU_DEP_1) | instskip(SKIP_1) | instid1(VALU_DEP_2)
	v_cndmask_b32_e64 v3, v3, v77, s2
	v_cmp_eq_u32_e64 s2, 0, v77
	v_lshlrev_b32_e32 v3, 2, v3
	ds_bpermute_b32 v84, v3, v1
	ds_bpermute_b32 v85, v3, v2
	s_and_saveexec_b32 s6, vcc_lo
	s_cbranch_execz .LBB646_113
; %bb.96:
	v_mov_b32_e32 v4, 0
	ds_load_b64 v[1:2], v4 offset:56
	s_waitcnt lgkmcnt(0)
	v_readfirstlane_b32 s7, v2
	s_and_saveexec_b32 s8, s2
	s_cbranch_execz .LBB646_98
; %bb.97:
	s_add_i32 s10, s15, 32
	s_mov_b32 s11, 0
	v_mov_b32_e32 v3, 1
	s_lshl_b64 s[12:13], s[10:11], 4
	s_mov_b32 s16, s11
	s_add_u32 s12, s4, s12
	s_addc_u32 s13, s5, s13
	s_and_b32 s17, s7, 0xff000000
	s_and_b32 s19, s7, 0xff0000
	s_mov_b32 s18, s11
	v_dual_mov_b32 v21, s13 :: v_dual_mov_b32 v20, s12
	s_or_b64 s[16:17], s[18:19], s[16:17]
	s_and_b32 s19, s7, 0xff00
	s_delay_alu instid0(SALU_CYCLE_1) | instskip(SKIP_1) | instid1(SALU_CYCLE_1)
	s_or_b64 s[16:17], s[16:17], s[18:19]
	s_and_b32 s19, s7, 0xff
	s_or_b64 s[10:11], s[16:17], s[18:19]
	s_delay_alu instid0(SALU_CYCLE_1)
	v_mov_b32_e32 v2, s11
	;;#ASMSTART
	global_store_dwordx4 v[20:21], v[1:4] off	
s_waitcnt vmcnt(0)
	;;#ASMEND
.LBB646_98:
	s_or_b32 exec_lo, exec_lo, s8
	v_xad_u32 v20, v77, -1, s15
	s_mov_b32 s9, 0
	s_mov_b32 s8, exec_lo
	s_delay_alu instid0(VALU_DEP_1) | instskip(NEXT) | instid1(VALU_DEP_1)
	v_add_nc_u32_e32 v3, 32, v20
	v_lshlrev_b64 v[2:3], 4, v[3:4]
	s_delay_alu instid0(VALU_DEP_1) | instskip(NEXT) | instid1(VALU_DEP_2)
	v_add_co_u32 v21, vcc_lo, s4, v2
	v_add_co_ci_u32_e32 v22, vcc_lo, s5, v3, vcc_lo
	;;#ASMSTART
	global_load_dwordx4 v[2:5], v[21:22] off glc	
s_waitcnt vmcnt(0)
	;;#ASMEND
	v_and_b32_e32 v5, 0xff, v3
	v_and_b32_e32 v23, 0xff00, v3
	v_or3_b32 v2, v2, 0, 0
	v_and_b32_e32 v24, 0xff000000, v3
	v_and_b32_e32 v3, 0xff0000, v3
	s_delay_alu instid0(VALU_DEP_4) | instskip(SKIP_2) | instid1(VALU_DEP_3)
	v_or3_b32 v5, 0, v5, v23
	v_and_b32_e32 v23, 0xff, v4
	v_or3_b32 v2, v2, 0, 0
	v_or3_b32 v3, v5, v3, v24
	s_delay_alu instid0(VALU_DEP_3)
	v_cmpx_eq_u16_e32 0, v23
	s_cbranch_execz .LBB646_101
.LBB646_99:                             ; =>This Inner Loop Header: Depth=1
	;;#ASMSTART
	global_load_dwordx4 v[2:5], v[21:22] off glc	
s_waitcnt vmcnt(0)
	;;#ASMEND
	v_and_b32_e32 v5, 0xff, v4
	s_delay_alu instid0(VALU_DEP_1) | instskip(SKIP_1) | instid1(SALU_CYCLE_1)
	v_cmp_ne_u16_e32 vcc_lo, 0, v5
	s_or_b32 s9, vcc_lo, s9
	s_and_not1_b32 exec_lo, exec_lo, s9
	s_cbranch_execnz .LBB646_99
; %bb.100:
	s_or_b32 exec_lo, exec_lo, s9
.LBB646_101:
	s_delay_alu instid0(SALU_CYCLE_1)
	s_or_b32 exec_lo, exec_lo, s8
	v_cmp_ne_u32_e32 vcc_lo, 31, v77
	v_lshlrev_b32_e64 v87, v77, -1
	v_add_nc_u32_e32 v91, 4, v77
	v_add_nc_u32_e32 v93, 8, v77
	;; [unrolled: 1-line block ×3, first 2 shown]
	v_add_co_ci_u32_e32 v5, vcc_lo, 0, v77, vcc_lo
	s_delay_alu instid0(VALU_DEP_1)
	v_lshlrev_b32_e32 v86, 2, v5
	ds_bpermute_b32 v21, v86, v3
	ds_bpermute_b32 v5, v86, v2
	s_waitcnt lgkmcnt(1)
	v_add_nc_u32_e32 v21, v21, v3
	v_and_b32_e32 v22, 0xff, v4
	s_waitcnt lgkmcnt(0)
	v_add_nc_u32_e32 v5, v5, v2
	s_delay_alu instid0(VALU_DEP_2) | instskip(SKIP_2) | instid1(VALU_DEP_2)
	v_cmp_eq_u16_e32 vcc_lo, 2, v22
	v_and_or_b32 v22, vcc_lo, v87, 0x80000000
	v_cmp_gt_u32_e32 vcc_lo, 30, v77
	v_ctz_i32_b32_e32 v22, v22
	v_cndmask_b32_e64 v23, 0, 1, vcc_lo
	s_delay_alu instid0(VALU_DEP_2) | instskip(NEXT) | instid1(VALU_DEP_2)
	v_cmp_lt_u32_e32 vcc_lo, v77, v22
	v_dual_cndmask_b32 v2, v2, v5 :: v_dual_lshlrev_b32 v23, 1, v23
	s_delay_alu instid0(VALU_DEP_1)
	v_add_lshl_u32 v88, v23, v77, 2
	v_cndmask_b32_e32 v3, v3, v21, vcc_lo
	v_cmp_gt_u32_e32 vcc_lo, 28, v77
	ds_bpermute_b32 v5, v88, v2
	ds_bpermute_b32 v21, v88, v3
	v_cndmask_b32_e64 v23, 0, 1, vcc_lo
	s_waitcnt lgkmcnt(1)
	v_add_nc_u32_e32 v5, v2, v5
	v_add_nc_u32_e32 v89, 2, v77
	s_waitcnt lgkmcnt(0)
	v_add_nc_u32_e32 v21, v3, v21
	s_delay_alu instid0(VALU_DEP_2) | instskip(SKIP_1) | instid1(VALU_DEP_3)
	v_cmp_gt_u32_e32 vcc_lo, v89, v22
	v_dual_cndmask_b32 v2, v5, v2 :: v_dual_lshlrev_b32 v23, 2, v23
	v_cndmask_b32_e32 v3, v21, v3, vcc_lo
	v_cmp_gt_u32_e32 vcc_lo, 24, v77
	s_delay_alu instid0(VALU_DEP_3)
	v_add_lshl_u32 v90, v23, v77, 2
	v_cndmask_b32_e64 v23, 0, 1, vcc_lo
	v_cmp_gt_u32_e32 vcc_lo, v91, v22
	ds_bpermute_b32 v5, v90, v2
	ds_bpermute_b32 v21, v90, v3
	v_lshlrev_b32_e32 v23, 3, v23
	s_delay_alu instid0(VALU_DEP_1) | instskip(SKIP_3) | instid1(VALU_DEP_1)
	v_add_lshl_u32 v92, v23, v77, 2
	s_waitcnt lgkmcnt(1)
	v_add_nc_u32_e32 v5, v2, v5
	s_waitcnt lgkmcnt(0)
	v_dual_cndmask_b32 v2, v5, v2 :: v_dual_add_nc_u32 v21, v3, v21
	s_delay_alu instid0(VALU_DEP_1)
	v_cndmask_b32_e32 v3, v21, v3, vcc_lo
	v_cmp_gt_u32_e32 vcc_lo, 16, v77
	ds_bpermute_b32 v5, v92, v2
	ds_bpermute_b32 v21, v92, v3
	v_cndmask_b32_e64 v23, 0, 1, vcc_lo
	v_cmp_gt_u32_e32 vcc_lo, v93, v22
	s_delay_alu instid0(VALU_DEP_2) | instskip(NEXT) | instid1(VALU_DEP_1)
	v_lshlrev_b32_e32 v23, 4, v23
	v_add_lshl_u32 v94, v23, v77, 2
	s_waitcnt lgkmcnt(1)
	v_add_nc_u32_e32 v5, v2, v5
	s_waitcnt lgkmcnt(0)
	s_delay_alu instid0(VALU_DEP_1) | instskip(NEXT) | instid1(VALU_DEP_1)
	v_dual_cndmask_b32 v2, v5, v2 :: v_dual_add_nc_u32 v21, v3, v21
	v_cndmask_b32_e32 v3, v21, v3, vcc_lo
	v_cmp_le_u32_e32 vcc_lo, v95, v22
	ds_bpermute_b32 v5, v94, v2
	ds_bpermute_b32 v21, v94, v3
	s_waitcnt lgkmcnt(1)
	v_cndmask_b32_e32 v5, 0, v5, vcc_lo
	s_waitcnt lgkmcnt(0)
	s_delay_alu instid0(VALU_DEP_1) | instskip(NEXT) | instid1(VALU_DEP_1)
	v_dual_cndmask_b32 v21, 0, v21 :: v_dual_add_nc_u32 v2, v5, v2
	v_add_nc_u32_e32 v3, v21, v3
	v_mov_b32_e32 v21, 0
	s_branch .LBB646_103
.LBB646_102:                            ;   in Loop: Header=BB646_103 Depth=1
	s_or_b32 exec_lo, exec_lo, s8
	ds_bpermute_b32 v5, v86, v2
	ds_bpermute_b32 v24, v86, v3
	v_subrev_nc_u32_e32 v20, 32, v20
	s_waitcnt lgkmcnt(1)
	v_add_nc_u32_e32 v5, v5, v2
	v_and_b32_e32 v25, 0xff, v4
	s_waitcnt lgkmcnt(0)
	v_add_nc_u32_e32 v24, v24, v3
	s_delay_alu instid0(VALU_DEP_2) | instskip(SKIP_1) | instid1(VALU_DEP_1)
	v_cmp_eq_u16_e32 vcc_lo, 2, v25
	v_and_or_b32 v25, vcc_lo, v87, 0x80000000
	v_ctz_i32_b32_e32 v25, v25
	s_delay_alu instid0(VALU_DEP_1)
	v_cmp_lt_u32_e32 vcc_lo, v77, v25
	v_cndmask_b32_e32 v2, v2, v5, vcc_lo
	ds_bpermute_b32 v5, v88, v2
	s_waitcnt lgkmcnt(0)
	v_add_nc_u32_e32 v5, v2, v5
	v_cndmask_b32_e32 v3, v3, v24, vcc_lo
	v_cmp_gt_u32_e32 vcc_lo, v89, v25
	s_delay_alu instid0(VALU_DEP_3)
	v_cndmask_b32_e32 v2, v5, v2, vcc_lo
	ds_bpermute_b32 v24, v88, v3
	ds_bpermute_b32 v5, v90, v2
	s_waitcnt lgkmcnt(1)
	v_add_nc_u32_e32 v24, v3, v24
	s_waitcnt lgkmcnt(0)
	v_add_nc_u32_e32 v5, v2, v5
	s_delay_alu instid0(VALU_DEP_2) | instskip(SKIP_1) | instid1(VALU_DEP_3)
	v_cndmask_b32_e32 v3, v24, v3, vcc_lo
	v_cmp_gt_u32_e32 vcc_lo, v91, v25
	v_cndmask_b32_e32 v2, v5, v2, vcc_lo
	ds_bpermute_b32 v24, v90, v3
	ds_bpermute_b32 v5, v92, v2
	s_waitcnt lgkmcnt(1)
	v_add_nc_u32_e32 v24, v3, v24
	s_waitcnt lgkmcnt(0)
	v_add_nc_u32_e32 v5, v2, v5
	s_delay_alu instid0(VALU_DEP_2) | instskip(SKIP_1) | instid1(VALU_DEP_3)
	v_cndmask_b32_e32 v3, v24, v3, vcc_lo
	v_cmp_gt_u32_e32 vcc_lo, v93, v25
	v_cndmask_b32_e32 v2, v5, v2, vcc_lo
	ds_bpermute_b32 v24, v92, v3
	ds_bpermute_b32 v5, v94, v2
	s_waitcnt lgkmcnt(1)
	v_add_nc_u32_e32 v24, v3, v24
	s_delay_alu instid0(VALU_DEP_1) | instskip(SKIP_4) | instid1(VALU_DEP_1)
	v_cndmask_b32_e32 v3, v24, v3, vcc_lo
	v_cmp_le_u32_e32 vcc_lo, v95, v25
	ds_bpermute_b32 v24, v94, v3
	s_waitcnt lgkmcnt(1)
	v_cndmask_b32_e32 v5, 0, v5, vcc_lo
	v_add3_u32 v2, v2, v22, v5
	s_waitcnt lgkmcnt(0)
	v_cndmask_b32_e32 v24, 0, v24, vcc_lo
	s_delay_alu instid0(VALU_DEP_1)
	v_add3_u32 v3, v3, v23, v24
.LBB646_103:                            ; =>This Loop Header: Depth=1
                                        ;     Child Loop BB646_106 Depth 2
	s_delay_alu instid0(VALU_DEP_1) | instskip(SKIP_1) | instid1(VALU_DEP_2)
	v_dual_mov_b32 v23, v3 :: v_dual_and_b32 v4, 0xff, v4
	v_mov_b32_e32 v22, v2
	v_cmp_ne_u16_e32 vcc_lo, 2, v4
	v_cndmask_b32_e64 v4, 0, 1, vcc_lo
	;;#ASMSTART
	;;#ASMEND
	s_delay_alu instid0(VALU_DEP_1)
	v_cmp_ne_u32_e32 vcc_lo, 0, v4
	s_cmp_lg_u32 vcc_lo, exec_lo
	s_cbranch_scc1 .LBB646_108
; %bb.104:                              ;   in Loop: Header=BB646_103 Depth=1
	v_lshlrev_b64 v[2:3], 4, v[20:21]
	s_mov_b32 s8, exec_lo
	s_delay_alu instid0(VALU_DEP_1) | instskip(NEXT) | instid1(VALU_DEP_2)
	v_add_co_u32 v24, vcc_lo, s4, v2
	v_add_co_ci_u32_e32 v25, vcc_lo, s5, v3, vcc_lo
	;;#ASMSTART
	global_load_dwordx4 v[2:5], v[24:25] off glc	
s_waitcnt vmcnt(0)
	;;#ASMEND
	v_and_b32_e32 v5, 0xff, v3
	v_and_b32_e32 v96, 0xff00, v3
	v_or3_b32 v2, v2, 0, 0
	v_and_b32_e32 v97, 0xff000000, v3
	v_and_b32_e32 v3, 0xff0000, v3
	s_delay_alu instid0(VALU_DEP_4) | instskip(SKIP_2) | instid1(VALU_DEP_3)
	v_or3_b32 v5, 0, v5, v96
	v_and_b32_e32 v96, 0xff, v4
	v_or3_b32 v2, v2, 0, 0
	v_or3_b32 v3, v5, v3, v97
	s_delay_alu instid0(VALU_DEP_3)
	v_cmpx_eq_u16_e32 0, v96
	s_cbranch_execz .LBB646_102
; %bb.105:                              ;   in Loop: Header=BB646_103 Depth=1
	s_mov_b32 s9, 0
.LBB646_106:                            ;   Parent Loop BB646_103 Depth=1
                                        ; =>  This Inner Loop Header: Depth=2
	;;#ASMSTART
	global_load_dwordx4 v[2:5], v[24:25] off glc	
s_waitcnt vmcnt(0)
	;;#ASMEND
	v_and_b32_e32 v5, 0xff, v4
	s_delay_alu instid0(VALU_DEP_1) | instskip(SKIP_1) | instid1(SALU_CYCLE_1)
	v_cmp_ne_u16_e32 vcc_lo, 0, v5
	s_or_b32 s9, vcc_lo, s9
	s_and_not1_b32 exec_lo, exec_lo, s9
	s_cbranch_execnz .LBB646_106
; %bb.107:                              ;   in Loop: Header=BB646_103 Depth=1
	s_or_b32 exec_lo, exec_lo, s9
	s_branch .LBB646_102
.LBB646_108:                            ;   in Loop: Header=BB646_103 Depth=1
                                        ; implicit-def: $vgpr4
                                        ; implicit-def: $vgpr2_vgpr3
	s_cbranch_execz .LBB646_103
; %bb.109:
	s_and_saveexec_b32 s8, s2
	s_cbranch_execnz .LBB646_352
; %bb.110:
	s_or_b32 exec_lo, exec_lo, s8
	s_and_saveexec_b32 s8, s2
	s_cbranch_execnz .LBB646_353
.LBB646_111:
	s_or_b32 exec_lo, exec_lo, s8
	v_cmp_eq_u32_e32 vcc_lo, 0, v0
	s_and_b32 exec_lo, exec_lo, vcc_lo
	s_cbranch_execz .LBB646_113
.LBB646_112:
	v_mov_b32_e32 v1, 0
	ds_store_b64 v1, v[22:23] offset:56
.LBB646_113:
	s_or_b32 exec_lo, exec_lo, s6
	v_cmp_eq_u32_e32 vcc_lo, 0, v0
	v_mov_b32_e32 v1, 0
	s_waitcnt lgkmcnt(0)
	s_barrier
	buffer_gl0_inv
	v_add_nc_u32_e64 v3, 0x3400, 0
	ds_load_b64 v[20:21], v1 offset:56
	s_waitcnt lgkmcnt(0)
	s_barrier
	buffer_gl0_inv
	ds_load_2addr_b32 v[1:2], v3 offset1:2
	ds_load_2addr_b32 v[3:4], v3 offset0:4 offset1:6
	v_cndmask_b32_e64 v5, v84, v18, s2
	v_cndmask_b32_e64 v18, v85, v19, s2
	s_delay_alu instid0(VALU_DEP_2) | instskip(NEXT) | instid1(VALU_DEP_1)
	v_add_nc_u32_e32 v19, v20, v5
	v_dual_cndmask_b32 v20, v19, v20 :: v_dual_add_nc_u32 v5, v21, v18
	s_delay_alu instid0(VALU_DEP_1)
	v_cndmask_b32_e32 v5, v5, v21, vcc_lo
	s_branch .LBB646_124
.LBB646_114:
                                        ; implicit-def: $vgpr5
                                        ; implicit-def: $vgpr3
                                        ; implicit-def: $vgpr1
                                        ; implicit-def: $vgpr20_vgpr21
	s_and_b32 vcc_lo, exec_lo, s6
	s_cbranch_vccz .LBB646_124
; %bb.115:
	s_waitcnt lgkmcnt(0)
	v_mov_b32_dpp v2, v83 row_shr:1 row_mask:0xf bank_mask:0xf
	v_cmp_lt_u32_e32 vcc_lo, 3, v81
	v_mov_b32_dpp v1, v82 row_shr:1 row_mask:0xf bank_mask:0xf
	s_delay_alu instid0(VALU_DEP_3) | instskip(NEXT) | instid1(VALU_DEP_1)
	v_add_nc_u32_e32 v2, v2, v83
	v_cndmask_b32_e64 v2, v2, v83, s1
	s_delay_alu instid0(VALU_DEP_1) | instskip(NEXT) | instid1(VALU_DEP_1)
	v_mov_b32_dpp v4, v2 row_shr:2 row_mask:0xf bank_mask:0xf
	v_add_nc_u32_e32 v4, v2, v4
	s_delay_alu instid0(VALU_DEP_1) | instskip(NEXT) | instid1(VALU_DEP_1)
	v_cndmask_b32_e64 v2, v2, v4, s0
	v_mov_b32_dpp v4, v2 row_shr:4 row_mask:0xf bank_mask:0xf
	s_delay_alu instid0(VALU_DEP_1) | instskip(NEXT) | instid1(VALU_DEP_1)
	v_add_nc_u32_e32 v4, v2, v4
	v_dual_cndmask_b32 v2, v2, v4 :: v_dual_add_nc_u32 v1, v1, v82
	s_delay_alu instid0(VALU_DEP_1) | instskip(NEXT) | instid1(VALU_DEP_2)
	v_cndmask_b32_e64 v1, v1, v82, s1
	v_mov_b32_dpp v4, v2 row_shr:8 row_mask:0xf bank_mask:0xf
	s_delay_alu instid0(VALU_DEP_2) | instskip(NEXT) | instid1(VALU_DEP_2)
	v_mov_b32_dpp v3, v1 row_shr:2 row_mask:0xf bank_mask:0xf
	v_add_nc_u32_e32 v4, v2, v4
	s_delay_alu instid0(VALU_DEP_2) | instskip(NEXT) | instid1(VALU_DEP_1)
	v_add_nc_u32_e32 v3, v1, v3
	v_cndmask_b32_e64 v1, v1, v3, s0
	s_mov_b32 s0, exec_lo
	s_delay_alu instid0(VALU_DEP_1) | instskip(NEXT) | instid1(VALU_DEP_1)
	v_mov_b32_dpp v3, v1 row_shr:4 row_mask:0xf bank_mask:0xf
	v_add_nc_u32_e32 v3, v1, v3
	s_delay_alu instid0(VALU_DEP_1) | instskip(SKIP_1) | instid1(VALU_DEP_2)
	v_cndmask_b32_e32 v1, v1, v3, vcc_lo
	v_cmp_lt_u32_e32 vcc_lo, 7, v81
	v_mov_b32_dpp v3, v1 row_shr:8 row_mask:0xf bank_mask:0xf
	s_delay_alu instid0(VALU_DEP_1) | instskip(NEXT) | instid1(VALU_DEP_1)
	v_dual_cndmask_b32 v2, v2, v4 :: v_dual_add_nc_u32 v3, v1, v3
	v_cndmask_b32_e32 v1, v1, v3, vcc_lo
	ds_swizzle_b32 v3, v2 offset:swizzle(BROADCAST,32,15)
	v_cmp_eq_u32_e32 vcc_lo, 0, v80
	ds_swizzle_b32 v4, v1 offset:swizzle(BROADCAST,32,15)
	s_waitcnt lgkmcnt(1)
	v_add_nc_u32_e32 v3, v2, v3
	s_waitcnt lgkmcnt(0)
	v_add_nc_u32_e32 v4, v1, v4
	s_delay_alu instid0(VALU_DEP_1)
	v_dual_cndmask_b32 v2, v3, v2 :: v_dual_cndmask_b32 v1, v4, v1
	v_cmpx_eq_u32_e64 v79, v0
	s_cbranch_execz .LBB646_117
; %bb.116:
	v_lshlrev_b32_e32 v3, 3, v78
	ds_store_b64 v3, v[1:2]
.LBB646_117:
	s_or_b32 exec_lo, exec_lo, s0
	s_delay_alu instid0(SALU_CYCLE_1)
	s_mov_b32 s0, exec_lo
	s_waitcnt lgkmcnt(0)
	s_barrier
	buffer_gl0_inv
	v_cmpx_gt_u32_e32 8, v0
	s_cbranch_execz .LBB646_119
; %bb.118:
	v_lshlrev_b32_e32 v5, 3, v0
	ds_load_b64 v[3:4], v5
	s_waitcnt lgkmcnt(0)
	v_mov_b32_dpp v18, v3 row_shr:1 row_mask:0xf bank_mask:0xf
	v_mov_b32_dpp v19, v4 row_shr:1 row_mask:0xf bank_mask:0xf
	s_delay_alu instid0(VALU_DEP_2) | instskip(SKIP_1) | instid1(VALU_DEP_3)
	v_add_nc_u32_e32 v18, v18, v3
	v_and_b32_e32 v20, 7, v77
	v_add_nc_u32_e32 v19, v19, v4
	s_delay_alu instid0(VALU_DEP_2) | instskip(NEXT) | instid1(VALU_DEP_2)
	v_cmp_eq_u32_e32 vcc_lo, 0, v20
	v_dual_cndmask_b32 v4, v19, v4 :: v_dual_cndmask_b32 v3, v18, v3
	v_cmp_lt_u32_e32 vcc_lo, 1, v20
	s_delay_alu instid0(VALU_DEP_2) | instskip(NEXT) | instid1(VALU_DEP_3)
	v_mov_b32_dpp v19, v4 row_shr:2 row_mask:0xf bank_mask:0xf
	v_mov_b32_dpp v18, v3 row_shr:2 row_mask:0xf bank_mask:0xf
	s_delay_alu instid0(VALU_DEP_2) | instskip(NEXT) | instid1(VALU_DEP_2)
	v_add_nc_u32_e32 v19, v4, v19
	v_add_nc_u32_e32 v18, v3, v18
	s_delay_alu instid0(VALU_DEP_1) | instskip(SKIP_1) | instid1(VALU_DEP_2)
	v_dual_cndmask_b32 v4, v4, v19 :: v_dual_cndmask_b32 v3, v3, v18
	v_cmp_lt_u32_e32 vcc_lo, 3, v20
	v_mov_b32_dpp v19, v4 row_shr:4 row_mask:0xf bank_mask:0xf
	s_delay_alu instid0(VALU_DEP_3) | instskip(NEXT) | instid1(VALU_DEP_1)
	v_mov_b32_dpp v18, v3 row_shr:4 row_mask:0xf bank_mask:0xf
	v_dual_cndmask_b32 v19, 0, v19 :: v_dual_cndmask_b32 v18, 0, v18
	s_delay_alu instid0(VALU_DEP_1) | instskip(NEXT) | instid1(VALU_DEP_2)
	v_add_nc_u32_e32 v4, v19, v4
	v_add_nc_u32_e32 v3, v18, v3
	ds_store_b64 v5, v[3:4]
.LBB646_119:
	s_or_b32 exec_lo, exec_lo, s0
	v_dual_mov_b32 v3, 0 :: v_dual_mov_b32 v18, 0
	v_mov_b32_e32 v19, 0
	s_mov_b32 s0, exec_lo
	s_waitcnt lgkmcnt(0)
	s_barrier
	buffer_gl0_inv
	v_cmpx_lt_u32_e32 31, v0
	s_cbranch_execz .LBB646_121
; %bb.120:
	v_lshl_add_u32 v4, v78, 3, -8
	ds_load_b64 v[18:19], v4
.LBB646_121:
	s_or_b32 exec_lo, exec_lo, s0
	v_add_nc_u32_e32 v4, -1, v77
	s_waitcnt lgkmcnt(0)
	v_add_nc_u32_e32 v20, v19, v2
	v_add_nc_u32_e32 v5, v18, v1
	ds_load_b64 v[1:2], v3 offset:56
	v_cmp_gt_i32_e32 vcc_lo, 0, v4
	v_cndmask_b32_e32 v4, v4, v77, vcc_lo
	v_cmp_eq_u32_e32 vcc_lo, 0, v0
	s_delay_alu instid0(VALU_DEP_2)
	v_lshlrev_b32_e32 v4, 2, v4
	ds_bpermute_b32 v5, v4, v5
	ds_bpermute_b32 v20, v4, v20
	s_waitcnt lgkmcnt(2)
	v_readfirstlane_b32 s1, v2
	s_and_saveexec_b32 s0, vcc_lo
	s_cbranch_execz .LBB646_123
; %bb.122:
	s_mov_b32 s6, 0
	s_add_u32 s4, s4, 0x200
	s_addc_u32 s5, s5, 0
	s_and_b32 s7, s1, 0xff000000
	s_and_b32 s9, s1, 0xff0000
	s_mov_b32 s8, s6
	v_mov_b32_e32 v22, s5
	s_or_b64 s[8:9], s[8:9], s[6:7]
	s_and_b32 s7, s1, 0xff00
	v_dual_mov_b32 v4, 0 :: v_dual_mov_b32 v21, s4
	s_or_b64 s[8:9], s[8:9], s[6:7]
	s_and_b32 s7, s1, 0xff
	v_mov_b32_e32 v3, 2
	s_or_b64 s[6:7], s[8:9], s[6:7]
	s_delay_alu instid0(SALU_CYCLE_1)
	v_mov_b32_e32 v2, s7
	;;#ASMSTART
	global_store_dwordx4 v[21:22], v[1:4] off	
s_waitcnt vmcnt(0)
	;;#ASMEND
.LBB646_123:
	s_or_b32 exec_lo, exec_lo, s0
	v_cmp_eq_u32_e64 s0, 0, v77
	v_dual_mov_b32 v3, 0 :: v_dual_mov_b32 v2, s1
	s_waitcnt lgkmcnt(0)
	s_barrier
	s_delay_alu instid0(VALU_DEP_2)
	v_cndmask_b32_e64 v4, v5, v18, s0
	v_cndmask_b32_e64 v5, v20, v19, s0
	buffer_gl0_inv
	v_cndmask_b32_e64 v20, v4, 0, vcc_lo
	v_cndmask_b32_e64 v5, v5, 0, vcc_lo
	v_mov_b32_e32 v4, 0
.LBB646_124:
	v_and_b32_e32 v30, 1, v30
	v_and_b32_e32 v34, 1, v34
	;; [unrolled: 1-line block ×4, first 2 shown]
	s_waitcnt lgkmcnt(0)
	v_add_co_u32 v18, s0, s28, v3
	v_cmp_eq_u32_e32 vcc_lo, 1, v30
	v_add_nc_u32_e32 v22, v5, v76
	v_sub_nc_u32_e32 v5, v5, v4
	v_add_co_ci_u32_e64 v19, null, s29, 0, s0
	s_mov_b32 s2, -1
	s_delay_alu instid0(VALU_DEP_3) | instskip(SKIP_3) | instid1(VALU_DEP_3)
	v_add_nc_u32_e32 v24, v22, v72
	v_sub_nc_u32_e32 v22, v22, v4
	v_add_nc_u32_e32 v5, v5, v1
	v_sub_co_u32 v72, s0, s30, v1
	v_add_nc_u32_e32 v22, v22, v1
	v_add_nc_u32_e32 v21, v20, v75
	v_sub_nc_u32_e32 v20, v20, v3
	s_delay_alu instid0(VALU_DEP_2)
	v_add_nc_u32_e32 v23, v21, v71
	v_add_nc_u32_e32 v71, v24, v74
	v_lshlrev_b32_e32 v74, 1, v1
	v_sub_nc_u32_e32 v21, v21, v3
	v_add_nc_u32_e32 v75, v20, v5
	v_sub_nc_u32_e32 v24, v24, v4
	s_delay_alu instid0(VALU_DEP_4) | instskip(NEXT) | instid1(VALU_DEP_4)
	v_add3_u32 v28, v74, v2, v28
	v_add_nc_u32_e32 v76, v22, v21
	s_delay_alu instid0(VALU_DEP_3) | instskip(NEXT) | instid1(VALU_DEP_3)
	v_add_nc_u32_e32 v24, v24, v1
	v_sub_nc_u32_e32 v75, v28, v75
	s_delay_alu instid0(VALU_DEP_3) | instskip(NEXT) | instid1(VALU_DEP_1)
	v_sub_nc_u32_e32 v76, v28, v76
	v_dual_cndmask_b32 v5, v75, v5 :: v_dual_add_nc_u32 v30, 1, v76
	v_cmp_eq_u32_e32 vcc_lo, 1, v34
	s_delay_alu instid0(VALU_DEP_2) | instskip(SKIP_1) | instid1(VALU_DEP_4)
	v_cndmask_b32_e32 v22, v30, v22, vcc_lo
	v_cmp_eq_u32_e32 vcc_lo, 1, v29
	v_cndmask_b32_e32 v5, v5, v20, vcc_lo
	v_and_b32_e32 v20, 1, v36
	v_cmp_eq_u32_e32 vcc_lo, 1, v33
	s_delay_alu instid0(VALU_DEP_3) | instskip(SKIP_1) | instid1(VALU_DEP_4)
	v_lshlrev_b32_e32 v5, 2, v5
	v_cndmask_b32_e32 v21, v22, v21, vcc_lo
	v_cmp_eq_u32_e32 vcc_lo, 1, v20
	v_add_nc_u32_e32 v25, v23, v73
	v_sub_nc_u32_e32 v23, v23, v3
	v_and_b32_e32 v22, 1, v31
	v_sub_co_ci_u32_e64 v73, null, s31, 0, s0
	v_and_b32_e32 v31, 1, v32
	s_delay_alu instid0(VALU_DEP_4) | instskip(NEXT) | instid1(VALU_DEP_1)
	v_add_nc_u32_e32 v77, v24, v23
	v_sub_nc_u32_e32 v75, v28, v77
	s_delay_alu instid0(VALU_DEP_1) | instskip(NEXT) | instid1(VALU_DEP_1)
	v_add_nc_u32_e32 v29, 2, v75
	v_cndmask_b32_e32 v20, v29, v24, vcc_lo
	v_sub_nc_u32_e32 v24, v71, v4
	v_cmp_eq_u32_e32 vcc_lo, 1, v22
	v_add_nc_u32_e32 v69, v25, v69
	v_lshlrev_b32_e32 v29, 2, v21
	ds_store_b32 v5, v16
	ds_store_b32 v29, v17
	v_cndmask_b32_e32 v22, v20, v23, vcc_lo
	v_sub_nc_u32_e32 v23, v25, v3
	v_add_nc_u32_e32 v24, v24, v1
	v_add_co_u32 v20, vcc_lo, v72, v4
	s_delay_alu instid0(VALU_DEP_4) | instskip(SKIP_1) | instid1(VALU_DEP_4)
	v_lshlrev_b32_e32 v5, 2, v22
	v_and_b32_e32 v22, 1, v35
	v_add_nc_u32_e32 v25, v23, v24
	v_add_co_ci_u32_e32 v21, vcc_lo, 0, v73, vcc_lo
	ds_store_b32 v5, v14
	v_cmp_eq_u32_e32 vcc_lo, 1, v22
	v_sub_nc_u32_e32 v17, v28, v25
	v_sub_nc_u32_e32 v29, v69, v3
	v_add_nc_u32_e32 v67, v69, v67
	s_delay_alu instid0(VALU_DEP_3) | instskip(NEXT) | instid1(VALU_DEP_2)
	v_add_nc_u32_e32 v17, 3, v17
	v_sub_nc_u32_e32 v30, v67, v3
	s_delay_alu instid0(VALU_DEP_2) | instskip(SKIP_2) | instid1(VALU_DEP_3)
	v_cndmask_b32_e32 v17, v17, v24, vcc_lo
	v_cmp_eq_u32_e32 vcc_lo, 1, v31
	v_and_b32_e32 v24, 1, v39
	v_cndmask_b32_e32 v14, v17, v23, vcc_lo
	v_add_nc_u32_e32 v70, v71, v70
	v_and_b32_e32 v23, 1, v38
	s_delay_alu instid0(VALU_DEP_3) | instskip(NEXT) | instid1(VALU_DEP_3)
	v_lshlrev_b32_e32 v14, 2, v14
	v_add_nc_u32_e32 v68, v70, v68
	v_sub_nc_u32_e32 v16, v70, v4
	ds_store_b32 v14, v15
	v_sub_nc_u32_e32 v25, v68, v4
	v_add_nc_u32_e32 v16, v16, v1
	s_delay_alu instid0(VALU_DEP_2) | instskip(NEXT) | instid1(VALU_DEP_2)
	v_add_nc_u32_e32 v25, v25, v1
	v_add_nc_u32_e32 v32, v29, v16
	s_delay_alu instid0(VALU_DEP_2) | instskip(NEXT) | instid1(VALU_DEP_2)
	v_add_nc_u32_e32 v22, v30, v25
	v_sub_nc_u32_e32 v5, v28, v32
	s_delay_alu instid0(VALU_DEP_2) | instskip(SKIP_1) | instid1(VALU_DEP_3)
	v_sub_nc_u32_e32 v17, v28, v22
	v_and_b32_e32 v22, 1, v37
	v_add_nc_u32_e32 v5, 4, v5
	s_delay_alu instid0(VALU_DEP_3) | instskip(NEXT) | instid1(VALU_DEP_3)
	v_add_nc_u32_e32 v17, 5, v17
	v_cmp_eq_u32_e32 vcc_lo, 1, v22
	s_delay_alu instid0(VALU_DEP_3)
	v_cndmask_b32_e32 v5, v5, v16, vcc_lo
	v_cmp_eq_u32_e32 vcc_lo, 1, v24
	v_and_b32_e32 v16, 1, v41
	v_cndmask_b32_e32 v17, v17, v25, vcc_lo
	v_cmp_eq_u32_e32 vcc_lo, 1, v23
	v_cndmask_b32_e32 v5, v5, v29, vcc_lo
	s_delay_alu instid0(VALU_DEP_4) | instskip(SKIP_1) | instid1(VALU_DEP_3)
	v_cmp_eq_u32_e32 vcc_lo, 1, v16
	v_add_nc_u32_e32 v66, v68, v66
	v_dual_cndmask_b32 v16, v17, v30 :: v_dual_lshlrev_b32 v5, 2, v5
	s_delay_alu instid0(VALU_DEP_2) | instskip(SKIP_1) | instid1(VALU_DEP_3)
	v_sub_nc_u32_e32 v22, v66, v4
	v_add_nc_u32_e32 v62, v66, v62
	v_lshlrev_b32_e32 v16, 2, v16
	ds_store_b32 v5, v12
	ds_store_b32 v16, v13
	v_and_b32_e32 v12, 1, v40
	v_add_nc_u32_e32 v22, v22, v1
	v_add_nc_u32_e32 v64, v62, v64
	v_sub_nc_u32_e32 v17, v62, v4
	v_and_b32_e32 v16, 1, v43
	v_cmp_eq_u32_e32 vcc_lo, 1, v12
	v_add_nc_u32_e32 v65, v67, v65
	v_sub_nc_u32_e32 v15, v64, v4
	v_add_nc_u32_e32 v17, v17, v1
	s_delay_alu instid0(VALU_DEP_3) | instskip(NEXT) | instid1(VALU_DEP_3)
	v_sub_nc_u32_e32 v23, v65, v3
	v_add_nc_u32_e32 v15, v15, v1
	s_delay_alu instid0(VALU_DEP_2) | instskip(NEXT) | instid1(VALU_DEP_1)
	v_add_nc_u32_e32 v24, v23, v22
	v_sub_nc_u32_e32 v14, v28, v24
	v_and_b32_e32 v24, 1, v48
	s_delay_alu instid0(VALU_DEP_2) | instskip(SKIP_1) | instid1(VALU_DEP_2)
	v_add_nc_u32_e32 v13, 6, v14
	v_and_b32_e32 v14, 1, v42
	v_cndmask_b32_e32 v12, v13, v22, vcc_lo
	v_add_nc_u32_e32 v61, v65, v61
	s_delay_alu instid0(VALU_DEP_3) | instskip(SKIP_1) | instid1(VALU_DEP_3)
	v_cmp_eq_u32_e32 vcc_lo, 1, v14
	v_and_b32_e32 v22, 1, v44
	v_sub_nc_u32_e32 v25, v61, v3
	v_add_nc_u32_e32 v63, v61, v63
	v_cndmask_b32_e32 v12, v12, v23, vcc_lo
	v_cmp_eq_u32_e32 vcc_lo, 1, v16
	v_and_b32_e32 v23, 1, v46
	v_add_nc_u32_e32 v5, v25, v17
	v_sub_nc_u32_e32 v13, v63, v3
	v_lshlrev_b32_e32 v12, 2, v12
	v_add_nc_u32_e32 v59, v63, v59
	s_delay_alu instid0(VALU_DEP_4) | instskip(NEXT) | instid1(VALU_DEP_4)
	v_sub_nc_u32_e32 v5, v28, v5
	v_add_nc_u32_e32 v14, v13, v15
	s_delay_alu instid0(VALU_DEP_3) | instskip(NEXT) | instid1(VALU_DEP_3)
	v_add_nc_u32_e32 v57, v59, v57
	v_add_nc_u32_e32 v5, 7, v5
	s_delay_alu instid0(VALU_DEP_3) | instskip(NEXT) | instid1(VALU_DEP_3)
	v_sub_nc_u32_e32 v14, v28, v14
	v_add_nc_u32_e32 v55, v57, v55
	s_delay_alu instid0(VALU_DEP_3)
	v_cndmask_b32_e32 v5, v5, v17, vcc_lo
	v_cmp_eq_u32_e32 vcc_lo, 1, v22
	v_and_b32_e32 v17, 1, v45
	v_add_nc_u32_e32 v14, 8, v14
	v_sub_nc_u32_e32 v22, v59, v3
	v_add_nc_u32_e32 v53, v55, v53
	v_cndmask_b32_e32 v5, v5, v25, vcc_lo
	v_cmp_eq_u32_e32 vcc_lo, 1, v17
	v_sub_nc_u32_e32 v17, v55, v3
	v_and_b32_e32 v25, 1, v52
	s_delay_alu instid0(VALU_DEP_4)
	v_dual_cndmask_b32 v14, v14, v15 :: v_dual_lshlrev_b32 v5, 2, v5
	v_cmp_eq_u32_e32 vcc_lo, 1, v23
	v_add_nc_u32_e32 v60, v64, v60
	ds_store_b32 v12, v10
	ds_store_b32 v5, v11
	v_and_b32_e32 v11, 1, v49
	v_cndmask_b32_e32 v5, v14, v13, vcc_lo
	v_sub_nc_u32_e32 v16, v60, v4
	v_add_nc_u32_e32 v58, v60, v58
	v_and_b32_e32 v13, 1, v47
	s_delay_alu instid0(VALU_DEP_4) | instskip(NEXT) | instid1(VALU_DEP_4)
	v_lshlrev_b32_e32 v5, 2, v5
	v_add_nc_u32_e32 v16, v16, v1
	s_delay_alu instid0(VALU_DEP_4) | instskip(SKIP_2) | instid1(VALU_DEP_4)
	v_add_nc_u32_e32 v56, v58, v56
	v_sub_nc_u32_e32 v12, v58, v4
	v_cmp_eq_u32_e32 vcc_lo, 1, v13
	v_add_nc_u32_e32 v15, v22, v16
	s_delay_alu instid0(VALU_DEP_4) | instskip(NEXT) | instid1(VALU_DEP_4)
	v_sub_nc_u32_e32 v14, v56, v4
	v_add_nc_u32_e32 v12, v12, v1
	v_add_nc_u32_e32 v54, v56, v54
	s_delay_alu instid0(VALU_DEP_4) | instskip(SKIP_2) | instid1(VALU_DEP_4)
	v_sub_nc_u32_e32 v10, v28, v15
	v_sub_nc_u32_e32 v15, v57, v3
	v_add_nc_u32_e32 v14, v14, v1
	v_sub_nc_u32_e32 v23, v54, v4
	v_sub_nc_u32_e32 v3, v53, v3
	v_add_nc_u32_e32 v10, 9, v10
	v_add_nc_u32_e32 v13, v15, v12
	s_delay_alu instid0(VALU_DEP_2) | instskip(SKIP_2) | instid1(VALU_DEP_4)
	v_dual_cndmask_b32 v10, v10, v16 :: v_dual_add_nc_u32 v23, v23, v1
	v_add_nc_u32_e32 v16, v17, v14
	v_cmp_eq_u32_e32 vcc_lo, 1, v11
	v_sub_nc_u32_e32 v11, v28, v13
	v_and_b32_e32 v13, 1, v50
	s_delay_alu instid0(VALU_DEP_4) | instskip(NEXT) | instid1(VALU_DEP_3)
	v_sub_nc_u32_e32 v16, v28, v16
	v_dual_cndmask_b32 v10, v10, v22 :: v_dual_add_nc_u32 v11, 10, v11
	v_cmp_eq_u32_e32 vcc_lo, 1, v24
	v_add_nc_u32_e32 v22, v3, v23
	s_delay_alu instid0(VALU_DEP_4) | instskip(NEXT) | instid1(VALU_DEP_4)
	v_add_nc_u32_e32 v16, 11, v16
	v_dual_cndmask_b32 v11, v11, v12 :: v_dual_lshlrev_b32 v10, 2, v10
	v_cmp_eq_u32_e32 vcc_lo, 1, v25
	s_delay_alu instid0(VALU_DEP_4) | instskip(SKIP_3) | instid1(VALU_DEP_4)
	v_sub_nc_u32_e32 v22, v28, v22
	v_and_b32_e32 v12, 1, v51
	v_cndmask_b32_e32 v14, v16, v14, vcc_lo
	v_cmp_eq_u32_e32 vcc_lo, 1, v13
	v_dual_cndmask_b32 v11, v11, v15 :: v_dual_add_nc_u32 v16, 12, v22
	s_delay_alu instid0(VALU_DEP_4) | instskip(NEXT) | instid1(VALU_DEP_2)
	v_cmp_eq_u32_e32 vcc_lo, 1, v12
	v_cndmask_b32_e64 v13, v16, v23, s43
	s_delay_alu instid0(VALU_DEP_3) | instskip(NEXT) | instid1(VALU_DEP_2)
	v_dual_cndmask_b32 v12, v14, v17 :: v_dual_lshlrev_b32 v11, 2, v11
	v_cndmask_b32_e64 v3, v13, v3, s42
	s_delay_alu instid0(VALU_DEP_2)
	v_lshlrev_b32_e32 v12, 2, v12
	ds_store_b32 v5, v8
	ds_store_b32 v10, v9
	;; [unrolled: 1-line block ×4, first 2 shown]
	v_lshlrev_b32_e32 v3, 2, v3
	v_add_co_u32 v5, s0, v2, v74
	s_delay_alu instid0(VALU_DEP_1) | instskip(SKIP_4) | instid1(VALU_DEP_2)
	v_add_co_ci_u32_e64 v6, null, 0, 0, s0
	ds_store_b32 v3, v27
	v_add_co_u32 v3, vcc_lo, v5, v20
	v_add_co_ci_u32_e32 v5, vcc_lo, v6, v21, vcc_lo
	s_add_u32 s0, s34, s33
	v_add_co_u32 v3, vcc_lo, v3, v18
	s_delay_alu instid0(VALU_DEP_2) | instskip(SKIP_1) | instid1(VALU_DEP_2)
	v_add_co_ci_u32_e32 v5, vcc_lo, v5, v19, vcc_lo
	s_addc_u32 s1, s35, 0
	v_sub_co_u32 v3, vcc_lo, s0, v3
	s_delay_alu instid0(VALU_DEP_2)
	v_sub_co_ci_u32_e32 v9, vcc_lo, s1, v5, vcc_lo
	v_lshlrev_b64 v[5:6], 2, v[20:21]
	v_lshlrev_b64 v[7:8], 2, v[18:19]
	v_add_nc_u32_e32 v10, v1, v2
	s_add_u32 s1, s26, -4
	s_waitcnt lgkmcnt(0)
	s_barrier
	v_add_co_u32 v5, vcc_lo, s38, v5
	v_add_co_ci_u32_e32 v6, vcc_lo, s39, v6, vcc_lo
	v_cmp_ne_u32_e32 vcc_lo, 1, v26
	v_add_co_u32 v7, s0, s36, v7
	s_delay_alu instid0(VALU_DEP_1)
	v_add_co_ci_u32_e64 v8, s0, s37, v8, s0
	s_addc_u32 s0, s27, -1
	buffer_gl0_inv
	s_cbranch_vccz .LBB646_128
; %bb.125:
	s_and_b32 vcc_lo, exec_lo, s2
	s_cbranch_vccnz .LBB646_233
.LBB646_126:
	v_cmp_eq_u32_e32 vcc_lo, 0, v0
	s_and_b32 s0, vcc_lo, s14
	s_delay_alu instid0(SALU_CYCLE_1)
	s_and_saveexec_b32 s1, s0
	s_cbranch_execnz .LBB646_351
.LBB646_127:
	s_nop 0
	s_sendmsg sendmsg(MSG_DEALLOC_VGPRS)
	s_endpgm
.LBB646_128:
	s_mov_b32 s2, exec_lo
	v_cmpx_le_u32_e64 v1, v0
	s_xor_b32 s2, exec_lo, s2
	s_cbranch_execz .LBB646_134
; %bb.129:
	s_mov_b32 s4, exec_lo
	v_cmpx_le_u32_e64 v10, v0
	s_xor_b32 s4, exec_lo, s4
	s_cbranch_execz .LBB646_131
; %bb.130:
	v_lshlrev_b32_e32 v11, 2, v0
	ds_load_b32 v13, v11
	v_add_co_u32 v11, vcc_lo, v3, v0
	v_add_co_ci_u32_e32 v12, vcc_lo, 0, v9, vcc_lo
	s_delay_alu instid0(VALU_DEP_1) | instskip(NEXT) | instid1(VALU_DEP_1)
	v_lshlrev_b64 v[11:12], 2, v[11:12]
	v_sub_co_u32 v11, vcc_lo, s26, v11
	s_delay_alu instid0(VALU_DEP_2)
	v_sub_co_ci_u32_e32 v12, vcc_lo, s27, v12, vcc_lo
	s_waitcnt lgkmcnt(0)
	global_store_b32 v[11:12], v13, off offset:-4
.LBB646_131:
	s_and_not1_saveexec_b32 s4, s4
	s_cbranch_execz .LBB646_133
; %bb.132:
	v_lshlrev_b32_e32 v11, 2, v0
	v_readfirstlane_b32 s6, v5
	v_readfirstlane_b32 s7, v6
	ds_load_b32 v12, v11
	s_waitcnt lgkmcnt(0)
	global_store_b32 v11, v12, s[6:7]
.LBB646_133:
	s_or_b32 exec_lo, exec_lo, s4
.LBB646_134:
	s_and_not1_saveexec_b32 s2, s2
	s_cbranch_execz .LBB646_136
; %bb.135:
	v_lshlrev_b32_e32 v11, 2, v0
	v_readfirstlane_b32 s4, v7
	v_readfirstlane_b32 s5, v8
	ds_load_b32 v12, v11
	s_waitcnt lgkmcnt(0)
	global_store_b32 v11, v12, s[4:5]
.LBB646_136:
	s_or_b32 exec_lo, exec_lo, s2
	v_or_b32_e32 v11, 0x100, v0
	s_mov_b32 s2, exec_lo
	s_delay_alu instid0(VALU_DEP_1)
	v_cmpx_le_u32_e64 v1, v11
	s_xor_b32 s2, exec_lo, s2
	s_cbranch_execz .LBB646_142
; %bb.137:
	s_mov_b32 s4, exec_lo
	v_cmpx_le_u32_e64 v10, v11
	s_xor_b32 s4, exec_lo, s4
	s_cbranch_execz .LBB646_139
; %bb.138:
	v_lshlrev_b32_e32 v11, 2, v0
	ds_load_b32 v13, v11 offset:1024
	v_add_co_u32 v11, vcc_lo, v3, v0
	v_add_co_ci_u32_e32 v12, vcc_lo, 0, v9, vcc_lo
	s_delay_alu instid0(VALU_DEP_1) | instskip(NEXT) | instid1(VALU_DEP_1)
	v_lshlrev_b64 v[11:12], 2, v[11:12]
	v_sub_co_u32 v11, vcc_lo, s1, v11
	s_delay_alu instid0(VALU_DEP_2)
	v_sub_co_ci_u32_e32 v12, vcc_lo, s0, v12, vcc_lo
	s_waitcnt lgkmcnt(0)
	global_store_b32 v[11:12], v13, off offset:-1024
.LBB646_139:
	s_and_not1_saveexec_b32 s4, s4
	s_cbranch_execz .LBB646_141
; %bb.140:
	v_lshlrev_b32_e32 v11, 2, v0
	v_readfirstlane_b32 s6, v5
	v_readfirstlane_b32 s7, v6
	ds_load_b32 v12, v11 offset:1024
	s_waitcnt lgkmcnt(0)
	global_store_b32 v11, v12, s[6:7] offset:1024
.LBB646_141:
	s_or_b32 exec_lo, exec_lo, s4
.LBB646_142:
	s_and_not1_saveexec_b32 s2, s2
	s_cbranch_execz .LBB646_144
; %bb.143:
	v_lshlrev_b32_e32 v11, 2, v0
	v_readfirstlane_b32 s4, v7
	v_readfirstlane_b32 s5, v8
	ds_load_b32 v12, v11 offset:1024
	s_waitcnt lgkmcnt(0)
	global_store_b32 v11, v12, s[4:5] offset:1024
.LBB646_144:
	s_or_b32 exec_lo, exec_lo, s2
	v_or_b32_e32 v11, 0x200, v0
	s_mov_b32 s2, exec_lo
	s_delay_alu instid0(VALU_DEP_1)
	v_cmpx_le_u32_e64 v1, v11
	s_xor_b32 s2, exec_lo, s2
	s_cbranch_execz .LBB646_150
; %bb.145:
	s_mov_b32 s4, exec_lo
	v_cmpx_le_u32_e64 v10, v11
	s_xor_b32 s4, exec_lo, s4
	s_cbranch_execz .LBB646_147
; %bb.146:
	v_lshlrev_b32_e32 v11, 2, v0
	ds_load_b32 v13, v11 offset:2048
	v_add_co_u32 v11, vcc_lo, v3, v0
	v_add_co_ci_u32_e32 v12, vcc_lo, 0, v9, vcc_lo
	s_delay_alu instid0(VALU_DEP_1) | instskip(NEXT) | instid1(VALU_DEP_1)
	v_lshlrev_b64 v[11:12], 2, v[11:12]
	v_sub_co_u32 v11, vcc_lo, s1, v11
	s_delay_alu instid0(VALU_DEP_2)
	v_sub_co_ci_u32_e32 v12, vcc_lo, s0, v12, vcc_lo
	s_waitcnt lgkmcnt(0)
	global_store_b32 v[11:12], v13, off offset:-2048
.LBB646_147:
	s_and_not1_saveexec_b32 s4, s4
	s_cbranch_execz .LBB646_149
; %bb.148:
	v_lshlrev_b32_e32 v11, 2, v0
	v_readfirstlane_b32 s6, v5
	v_readfirstlane_b32 s7, v6
	ds_load_b32 v12, v11 offset:2048
	s_waitcnt lgkmcnt(0)
	global_store_b32 v11, v12, s[6:7] offset:2048
.LBB646_149:
	s_or_b32 exec_lo, exec_lo, s4
.LBB646_150:
	s_and_not1_saveexec_b32 s2, s2
	s_cbranch_execz .LBB646_152
; %bb.151:
	v_lshlrev_b32_e32 v11, 2, v0
	v_readfirstlane_b32 s4, v7
	v_readfirstlane_b32 s5, v8
	ds_load_b32 v12, v11 offset:2048
	s_waitcnt lgkmcnt(0)
	global_store_b32 v11, v12, s[4:5] offset:2048
.LBB646_152:
	;; [unrolled: 47-line block ×3, first 2 shown]
	s_or_b32 exec_lo, exec_lo, s2
	v_or_b32_e32 v11, 0x400, v0
	s_mov_b32 s2, exec_lo
	s_delay_alu instid0(VALU_DEP_1)
	v_cmpx_le_u32_e64 v1, v11
	s_xor_b32 s2, exec_lo, s2
	s_cbranch_execz .LBB646_166
; %bb.161:
	s_mov_b32 s4, exec_lo
	v_cmpx_le_u32_e64 v10, v11
	s_xor_b32 s4, exec_lo, s4
	s_cbranch_execz .LBB646_163
; %bb.162:
	v_lshlrev_b32_e32 v11, 2, v0
	ds_load_b32 v13, v11 offset:4096
	v_add_co_u32 v11, vcc_lo, v3, v0
	v_add_co_ci_u32_e32 v12, vcc_lo, 0, v9, vcc_lo
	s_delay_alu instid0(VALU_DEP_1) | instskip(NEXT) | instid1(VALU_DEP_1)
	v_lshlrev_b64 v[11:12], 2, v[11:12]
	v_sub_co_u32 v11, vcc_lo, s1, v11
	s_delay_alu instid0(VALU_DEP_2)
	v_sub_co_ci_u32_e32 v12, vcc_lo, s0, v12, vcc_lo
	s_waitcnt lgkmcnt(0)
	global_store_b32 v[11:12], v13, off offset:-4096
                                        ; implicit-def: $vgpr11
.LBB646_163:
	s_and_not1_saveexec_b32 s4, s4
	s_cbranch_execz .LBB646_165
; %bb.164:
	v_lshlrev_b32_e32 v12, 2, v0
	v_lshlrev_b32_e32 v11, 2, v11
	v_readfirstlane_b32 s6, v5
	v_readfirstlane_b32 s7, v6
	ds_load_b32 v12, v12 offset:4096
	s_waitcnt lgkmcnt(0)
	global_store_b32 v11, v12, s[6:7]
.LBB646_165:
	s_or_b32 exec_lo, exec_lo, s4
                                        ; implicit-def: $vgpr11
.LBB646_166:
	s_and_not1_saveexec_b32 s2, s2
	s_cbranch_execz .LBB646_168
; %bb.167:
	v_lshlrev_b32_e32 v12, 2, v0
	v_lshlrev_b32_e32 v11, 2, v11
	v_readfirstlane_b32 s4, v7
	v_readfirstlane_b32 s5, v8
	ds_load_b32 v12, v12 offset:4096
	s_waitcnt lgkmcnt(0)
	global_store_b32 v11, v12, s[4:5]
.LBB646_168:
	s_or_b32 exec_lo, exec_lo, s2
	v_or_b32_e32 v11, 0x500, v0
	s_mov_b32 s2, exec_lo
	s_delay_alu instid0(VALU_DEP_1)
	v_cmpx_le_u32_e64 v1, v11
	s_xor_b32 s2, exec_lo, s2
	s_cbranch_execz .LBB646_174
; %bb.169:
	s_mov_b32 s4, exec_lo
	v_cmpx_le_u32_e64 v10, v11
	s_xor_b32 s4, exec_lo, s4
	s_cbranch_execz .LBB646_171
; %bb.170:
	v_lshlrev_b32_e32 v12, 2, v0
	v_add_co_u32 v11, vcc_lo, v3, v11
	ds_load_b32 v13, v12 offset:5120
	v_add_co_ci_u32_e32 v12, vcc_lo, 0, v9, vcc_lo
	s_delay_alu instid0(VALU_DEP_1) | instskip(NEXT) | instid1(VALU_DEP_1)
	v_lshlrev_b64 v[11:12], 2, v[11:12]
	v_sub_co_u32 v11, vcc_lo, s1, v11
	s_delay_alu instid0(VALU_DEP_2)
	v_sub_co_ci_u32_e32 v12, vcc_lo, s0, v12, vcc_lo
	s_waitcnt lgkmcnt(0)
	global_store_b32 v[11:12], v13, off
                                        ; implicit-def: $vgpr11
.LBB646_171:
	s_and_not1_saveexec_b32 s4, s4
	s_cbranch_execz .LBB646_173
; %bb.172:
	v_lshlrev_b32_e32 v12, 2, v0
	v_lshlrev_b32_e32 v11, 2, v11
	v_readfirstlane_b32 s6, v5
	v_readfirstlane_b32 s7, v6
	ds_load_b32 v12, v12 offset:5120
	s_waitcnt lgkmcnt(0)
	global_store_b32 v11, v12, s[6:7]
.LBB646_173:
	s_or_b32 exec_lo, exec_lo, s4
                                        ; implicit-def: $vgpr11
.LBB646_174:
	s_and_not1_saveexec_b32 s2, s2
	s_cbranch_execz .LBB646_176
; %bb.175:
	v_lshlrev_b32_e32 v12, 2, v0
	v_lshlrev_b32_e32 v11, 2, v11
	v_readfirstlane_b32 s4, v7
	v_readfirstlane_b32 s5, v8
	ds_load_b32 v12, v12 offset:5120
	s_waitcnt lgkmcnt(0)
	global_store_b32 v11, v12, s[4:5]
.LBB646_176:
	s_or_b32 exec_lo, exec_lo, s2
	v_or_b32_e32 v11, 0x600, v0
	s_mov_b32 s2, exec_lo
	s_delay_alu instid0(VALU_DEP_1)
	v_cmpx_le_u32_e64 v1, v11
	s_xor_b32 s2, exec_lo, s2
	s_cbranch_execz .LBB646_182
; %bb.177:
	s_mov_b32 s4, exec_lo
	v_cmpx_le_u32_e64 v10, v11
	s_xor_b32 s4, exec_lo, s4
	s_cbranch_execz .LBB646_179
; %bb.178:
	v_lshlrev_b32_e32 v12, 2, v0
	v_add_co_u32 v11, vcc_lo, v3, v11
	ds_load_b32 v13, v12 offset:6144
	v_add_co_ci_u32_e32 v12, vcc_lo, 0, v9, vcc_lo
	s_delay_alu instid0(VALU_DEP_1) | instskip(NEXT) | instid1(VALU_DEP_1)
	v_lshlrev_b64 v[11:12], 2, v[11:12]
	v_sub_co_u32 v11, vcc_lo, s1, v11
	s_delay_alu instid0(VALU_DEP_2)
	v_sub_co_ci_u32_e32 v12, vcc_lo, s0, v12, vcc_lo
	s_waitcnt lgkmcnt(0)
	global_store_b32 v[11:12], v13, off
                                        ; implicit-def: $vgpr11
.LBB646_179:
	s_and_not1_saveexec_b32 s4, s4
	s_cbranch_execz .LBB646_181
; %bb.180:
	v_lshlrev_b32_e32 v12, 2, v0
	v_lshlrev_b32_e32 v11, 2, v11
	v_readfirstlane_b32 s6, v5
	v_readfirstlane_b32 s7, v6
	ds_load_b32 v12, v12 offset:6144
	s_waitcnt lgkmcnt(0)
	global_store_b32 v11, v12, s[6:7]
.LBB646_181:
	s_or_b32 exec_lo, exec_lo, s4
                                        ; implicit-def: $vgpr11
.LBB646_182:
	;; [unrolled: 51-line block ×8, first 2 shown]
	s_and_not1_saveexec_b32 s2, s2
	s_cbranch_execz .LBB646_232
; %bb.231:
	v_lshlrev_b32_e32 v12, 2, v0
	v_lshlrev_b32_e32 v11, 2, v11
	v_readfirstlane_b32 s4, v7
	v_readfirstlane_b32 s5, v8
	ds_load_b32 v12, v12 offset:12288
	s_waitcnt lgkmcnt(0)
	global_store_b32 v11, v12, s[4:5]
.LBB646_232:
	s_or_b32 exec_lo, exec_lo, s2
	s_branch .LBB646_126
.LBB646_233:
	s_mov_b32 s2, exec_lo
	v_cmpx_gt_u32_e64 s3, v0
	s_cbranch_execz .LBB646_242
; %bb.234:
	s_mov_b32 s4, exec_lo
	v_cmpx_le_u32_e64 v1, v0
	s_xor_b32 s4, exec_lo, s4
	s_cbranch_execz .LBB646_240
; %bb.235:
	s_mov_b32 s5, exec_lo
	v_cmpx_le_u32_e64 v10, v0
	s_xor_b32 s5, exec_lo, s5
	s_cbranch_execz .LBB646_237
; %bb.236:
	v_lshlrev_b32_e32 v11, 2, v0
	ds_load_b32 v13, v11
	v_add_co_u32 v11, vcc_lo, v3, v0
	v_add_co_ci_u32_e32 v12, vcc_lo, 0, v9, vcc_lo
	s_delay_alu instid0(VALU_DEP_1) | instskip(NEXT) | instid1(VALU_DEP_1)
	v_lshlrev_b64 v[11:12], 2, v[11:12]
	v_sub_co_u32 v11, vcc_lo, s26, v11
	s_delay_alu instid0(VALU_DEP_2)
	v_sub_co_ci_u32_e32 v12, vcc_lo, s27, v12, vcc_lo
	s_waitcnt lgkmcnt(0)
	global_store_b32 v[11:12], v13, off offset:-4
.LBB646_237:
	s_and_not1_saveexec_b32 s5, s5
	s_cbranch_execz .LBB646_239
; %bb.238:
	v_lshlrev_b32_e32 v11, 2, v0
	v_readfirstlane_b32 s6, v5
	v_readfirstlane_b32 s7, v6
	ds_load_b32 v12, v11
	s_waitcnt lgkmcnt(0)
	global_store_b32 v11, v12, s[6:7]
.LBB646_239:
	s_or_b32 exec_lo, exec_lo, s5
.LBB646_240:
	s_and_not1_saveexec_b32 s4, s4
	s_cbranch_execz .LBB646_242
; %bb.241:
	v_lshlrev_b32_e32 v11, 2, v0
	v_readfirstlane_b32 s4, v7
	v_readfirstlane_b32 s5, v8
	ds_load_b32 v12, v11
	s_waitcnt lgkmcnt(0)
	global_store_b32 v11, v12, s[4:5]
.LBB646_242:
	s_or_b32 exec_lo, exec_lo, s2
	v_or_b32_e32 v11, 0x100, v0
	s_mov_b32 s2, exec_lo
	s_delay_alu instid0(VALU_DEP_1)
	v_cmpx_gt_u32_e64 s3, v11
	s_cbranch_execz .LBB646_251
; %bb.243:
	s_mov_b32 s4, exec_lo
	v_cmpx_le_u32_e64 v1, v11
	s_xor_b32 s4, exec_lo, s4
	s_cbranch_execz .LBB646_249
; %bb.244:
	s_mov_b32 s5, exec_lo
	v_cmpx_le_u32_e64 v10, v11
	s_xor_b32 s5, exec_lo, s5
	s_cbranch_execz .LBB646_246
; %bb.245:
	v_lshlrev_b32_e32 v11, 2, v0
	ds_load_b32 v13, v11 offset:1024
	v_add_co_u32 v11, vcc_lo, v3, v0
	v_add_co_ci_u32_e32 v12, vcc_lo, 0, v9, vcc_lo
	s_delay_alu instid0(VALU_DEP_1) | instskip(NEXT) | instid1(VALU_DEP_1)
	v_lshlrev_b64 v[11:12], 2, v[11:12]
	v_sub_co_u32 v11, vcc_lo, s1, v11
	s_delay_alu instid0(VALU_DEP_2)
	v_sub_co_ci_u32_e32 v12, vcc_lo, s0, v12, vcc_lo
	s_waitcnt lgkmcnt(0)
	global_store_b32 v[11:12], v13, off offset:-1024
.LBB646_246:
	s_and_not1_saveexec_b32 s5, s5
	s_cbranch_execz .LBB646_248
; %bb.247:
	v_lshlrev_b32_e32 v11, 2, v0
	v_readfirstlane_b32 s6, v5
	v_readfirstlane_b32 s7, v6
	ds_load_b32 v12, v11 offset:1024
	s_waitcnt lgkmcnt(0)
	global_store_b32 v11, v12, s[6:7] offset:1024
.LBB646_248:
	s_or_b32 exec_lo, exec_lo, s5
.LBB646_249:
	s_and_not1_saveexec_b32 s4, s4
	s_cbranch_execz .LBB646_251
; %bb.250:
	v_lshlrev_b32_e32 v11, 2, v0
	v_readfirstlane_b32 s4, v7
	v_readfirstlane_b32 s5, v8
	ds_load_b32 v12, v11 offset:1024
	s_waitcnt lgkmcnt(0)
	global_store_b32 v11, v12, s[4:5] offset:1024
.LBB646_251:
	s_or_b32 exec_lo, exec_lo, s2
	v_or_b32_e32 v11, 0x200, v0
	s_mov_b32 s2, exec_lo
	s_delay_alu instid0(VALU_DEP_1)
	v_cmpx_gt_u32_e64 s3, v11
	s_cbranch_execz .LBB646_260
; %bb.252:
	s_mov_b32 s4, exec_lo
	v_cmpx_le_u32_e64 v1, v11
	s_xor_b32 s4, exec_lo, s4
	s_cbranch_execz .LBB646_258
; %bb.253:
	s_mov_b32 s5, exec_lo
	v_cmpx_le_u32_e64 v10, v11
	s_xor_b32 s5, exec_lo, s5
	s_cbranch_execz .LBB646_255
; %bb.254:
	v_lshlrev_b32_e32 v11, 2, v0
	ds_load_b32 v13, v11 offset:2048
	v_add_co_u32 v11, vcc_lo, v3, v0
	v_add_co_ci_u32_e32 v12, vcc_lo, 0, v9, vcc_lo
	s_delay_alu instid0(VALU_DEP_1) | instskip(NEXT) | instid1(VALU_DEP_1)
	v_lshlrev_b64 v[11:12], 2, v[11:12]
	v_sub_co_u32 v11, vcc_lo, s1, v11
	s_delay_alu instid0(VALU_DEP_2)
	v_sub_co_ci_u32_e32 v12, vcc_lo, s0, v12, vcc_lo
	s_waitcnt lgkmcnt(0)
	global_store_b32 v[11:12], v13, off offset:-2048
.LBB646_255:
	s_and_not1_saveexec_b32 s5, s5
	s_cbranch_execz .LBB646_257
; %bb.256:
	v_lshlrev_b32_e32 v11, 2, v0
	v_readfirstlane_b32 s6, v5
	v_readfirstlane_b32 s7, v6
	ds_load_b32 v12, v11 offset:2048
	s_waitcnt lgkmcnt(0)
	global_store_b32 v11, v12, s[6:7] offset:2048
.LBB646_257:
	s_or_b32 exec_lo, exec_lo, s5
.LBB646_258:
	s_and_not1_saveexec_b32 s4, s4
	s_cbranch_execz .LBB646_260
; %bb.259:
	v_lshlrev_b32_e32 v11, 2, v0
	v_readfirstlane_b32 s4, v7
	v_readfirstlane_b32 s5, v8
	ds_load_b32 v12, v11 offset:2048
	s_waitcnt lgkmcnt(0)
	global_store_b32 v11, v12, s[4:5] offset:2048
.LBB646_260:
	;; [unrolled: 51-line block ×3, first 2 shown]
	s_or_b32 exec_lo, exec_lo, s2
	v_or_b32_e32 v11, 0x400, v0
	s_mov_b32 s2, exec_lo
	s_delay_alu instid0(VALU_DEP_1)
	v_cmpx_gt_u32_e64 s3, v11
	s_cbranch_execz .LBB646_278
; %bb.270:
	s_mov_b32 s4, exec_lo
	v_cmpx_le_u32_e64 v1, v11
	s_xor_b32 s4, exec_lo, s4
	s_cbranch_execz .LBB646_276
; %bb.271:
	s_mov_b32 s5, exec_lo
	v_cmpx_le_u32_e64 v10, v11
	s_xor_b32 s5, exec_lo, s5
	s_cbranch_execz .LBB646_273
; %bb.272:
	v_lshlrev_b32_e32 v11, 2, v0
	ds_load_b32 v13, v11 offset:4096
	v_add_co_u32 v11, vcc_lo, v3, v0
	v_add_co_ci_u32_e32 v12, vcc_lo, 0, v9, vcc_lo
	s_delay_alu instid0(VALU_DEP_1) | instskip(NEXT) | instid1(VALU_DEP_1)
	v_lshlrev_b64 v[11:12], 2, v[11:12]
	v_sub_co_u32 v11, vcc_lo, s1, v11
	s_delay_alu instid0(VALU_DEP_2)
	v_sub_co_ci_u32_e32 v12, vcc_lo, s0, v12, vcc_lo
	s_waitcnt lgkmcnt(0)
	global_store_b32 v[11:12], v13, off offset:-4096
                                        ; implicit-def: $vgpr11
.LBB646_273:
	s_and_not1_saveexec_b32 s5, s5
	s_cbranch_execz .LBB646_275
; %bb.274:
	v_lshlrev_b32_e32 v12, 2, v0
	v_lshlrev_b32_e32 v11, 2, v11
	v_readfirstlane_b32 s6, v5
	v_readfirstlane_b32 s7, v6
	ds_load_b32 v12, v12 offset:4096
	s_waitcnt lgkmcnt(0)
	global_store_b32 v11, v12, s[6:7]
.LBB646_275:
	s_or_b32 exec_lo, exec_lo, s5
                                        ; implicit-def: $vgpr11
.LBB646_276:
	s_and_not1_saveexec_b32 s4, s4
	s_cbranch_execz .LBB646_278
; %bb.277:
	v_lshlrev_b32_e32 v12, 2, v0
	v_lshlrev_b32_e32 v11, 2, v11
	v_readfirstlane_b32 s4, v7
	v_readfirstlane_b32 s5, v8
	ds_load_b32 v12, v12 offset:4096
	s_waitcnt lgkmcnt(0)
	global_store_b32 v11, v12, s[4:5]
.LBB646_278:
	s_or_b32 exec_lo, exec_lo, s2
	v_or_b32_e32 v11, 0x500, v0
	s_mov_b32 s2, exec_lo
	s_delay_alu instid0(VALU_DEP_1)
	v_cmpx_gt_u32_e64 s3, v11
	s_cbranch_execz .LBB646_287
; %bb.279:
	s_mov_b32 s4, exec_lo
	v_cmpx_le_u32_e64 v1, v11
	s_xor_b32 s4, exec_lo, s4
	s_cbranch_execz .LBB646_285
; %bb.280:
	s_mov_b32 s5, exec_lo
	v_cmpx_le_u32_e64 v10, v11
	s_xor_b32 s5, exec_lo, s5
	s_cbranch_execz .LBB646_282
; %bb.281:
	v_lshlrev_b32_e32 v12, 2, v0
	v_add_co_u32 v11, vcc_lo, v3, v11
	ds_load_b32 v13, v12 offset:5120
	v_add_co_ci_u32_e32 v12, vcc_lo, 0, v9, vcc_lo
	s_delay_alu instid0(VALU_DEP_1) | instskip(NEXT) | instid1(VALU_DEP_1)
	v_lshlrev_b64 v[11:12], 2, v[11:12]
	v_sub_co_u32 v11, vcc_lo, s1, v11
	s_delay_alu instid0(VALU_DEP_2)
	v_sub_co_ci_u32_e32 v12, vcc_lo, s0, v12, vcc_lo
	s_waitcnt lgkmcnt(0)
	global_store_b32 v[11:12], v13, off
                                        ; implicit-def: $vgpr11
.LBB646_282:
	s_and_not1_saveexec_b32 s5, s5
	s_cbranch_execz .LBB646_284
; %bb.283:
	v_lshlrev_b32_e32 v12, 2, v0
	v_lshlrev_b32_e32 v11, 2, v11
	v_readfirstlane_b32 s6, v5
	v_readfirstlane_b32 s7, v6
	ds_load_b32 v12, v12 offset:5120
	s_waitcnt lgkmcnt(0)
	global_store_b32 v11, v12, s[6:7]
.LBB646_284:
	s_or_b32 exec_lo, exec_lo, s5
                                        ; implicit-def: $vgpr11
.LBB646_285:
	s_and_not1_saveexec_b32 s4, s4
	s_cbranch_execz .LBB646_287
; %bb.286:
	v_lshlrev_b32_e32 v12, 2, v0
	v_lshlrev_b32_e32 v11, 2, v11
	v_readfirstlane_b32 s4, v7
	v_readfirstlane_b32 s5, v8
	ds_load_b32 v12, v12 offset:5120
	s_waitcnt lgkmcnt(0)
	global_store_b32 v11, v12, s[4:5]
.LBB646_287:
	s_or_b32 exec_lo, exec_lo, s2
	v_or_b32_e32 v11, 0x600, v0
	s_mov_b32 s2, exec_lo
	s_delay_alu instid0(VALU_DEP_1)
	v_cmpx_gt_u32_e64 s3, v11
	s_cbranch_execz .LBB646_296
; %bb.288:
	s_mov_b32 s4, exec_lo
	v_cmpx_le_u32_e64 v1, v11
	s_xor_b32 s4, exec_lo, s4
	s_cbranch_execz .LBB646_294
; %bb.289:
	s_mov_b32 s5, exec_lo
	v_cmpx_le_u32_e64 v10, v11
	s_xor_b32 s5, exec_lo, s5
	s_cbranch_execz .LBB646_291
; %bb.290:
	v_lshlrev_b32_e32 v12, 2, v0
	v_add_co_u32 v11, vcc_lo, v3, v11
	ds_load_b32 v13, v12 offset:6144
	v_add_co_ci_u32_e32 v12, vcc_lo, 0, v9, vcc_lo
	s_delay_alu instid0(VALU_DEP_1) | instskip(NEXT) | instid1(VALU_DEP_1)
	v_lshlrev_b64 v[11:12], 2, v[11:12]
	v_sub_co_u32 v11, vcc_lo, s1, v11
	s_delay_alu instid0(VALU_DEP_2)
	v_sub_co_ci_u32_e32 v12, vcc_lo, s0, v12, vcc_lo
	s_waitcnt lgkmcnt(0)
	global_store_b32 v[11:12], v13, off
                                        ; implicit-def: $vgpr11
.LBB646_291:
	s_and_not1_saveexec_b32 s5, s5
	s_cbranch_execz .LBB646_293
; %bb.292:
	v_lshlrev_b32_e32 v12, 2, v0
	v_lshlrev_b32_e32 v11, 2, v11
	v_readfirstlane_b32 s6, v5
	v_readfirstlane_b32 s7, v6
	ds_load_b32 v12, v12 offset:6144
	s_waitcnt lgkmcnt(0)
	global_store_b32 v11, v12, s[6:7]
.LBB646_293:
	s_or_b32 exec_lo, exec_lo, s5
                                        ; implicit-def: $vgpr11
.LBB646_294:
	s_and_not1_saveexec_b32 s4, s4
	s_cbranch_execz .LBB646_296
; %bb.295:
	v_lshlrev_b32_e32 v12, 2, v0
	v_lshlrev_b32_e32 v11, 2, v11
	v_readfirstlane_b32 s4, v7
	v_readfirstlane_b32 s5, v8
	ds_load_b32 v12, v12 offset:6144
	s_waitcnt lgkmcnt(0)
	global_store_b32 v11, v12, s[4:5]
.LBB646_296:
	;; [unrolled: 55-line block ×7, first 2 shown]
	s_or_b32 exec_lo, exec_lo, s2
	v_or_b32_e32 v11, 0xc00, v0
	s_mov_b32 s2, exec_lo
	s_delay_alu instid0(VALU_DEP_1)
	v_cmpx_gt_u32_e64 s3, v11
	s_cbranch_execz .LBB646_350
; %bb.342:
	s_mov_b32 s3, exec_lo
	v_cmpx_le_u32_e64 v1, v11
	s_xor_b32 s3, exec_lo, s3
	s_cbranch_execz .LBB646_348
; %bb.343:
	s_mov_b32 s4, exec_lo
	v_cmpx_le_u32_e64 v10, v11
	s_xor_b32 s4, exec_lo, s4
	s_cbranch_execz .LBB646_345
; %bb.344:
	v_lshlrev_b32_e32 v5, 2, v0
	ds_load_b32 v7, v5 offset:12288
	v_add_co_u32 v5, vcc_lo, v3, v11
	v_add_co_ci_u32_e32 v6, vcc_lo, 0, v9, vcc_lo
                                        ; implicit-def: $vgpr11
	s_delay_alu instid0(VALU_DEP_1) | instskip(NEXT) | instid1(VALU_DEP_1)
	v_lshlrev_b64 v[5:6], 2, v[5:6]
	v_sub_co_u32 v5, vcc_lo, s1, v5
	s_delay_alu instid0(VALU_DEP_2)
	v_sub_co_ci_u32_e32 v6, vcc_lo, s0, v6, vcc_lo
	s_waitcnt lgkmcnt(0)
	global_store_b32 v[5:6], v7, off
                                        ; implicit-def: $vgpr5_vgpr6
.LBB646_345:
	s_and_not1_saveexec_b32 s0, s4
	s_cbranch_execz .LBB646_347
; %bb.346:
	v_lshlrev_b32_e32 v3, 2, v0
	v_lshlrev_b32_e32 v7, 2, v11
	v_readfirstlane_b32 s4, v5
	v_readfirstlane_b32 s5, v6
	ds_load_b32 v3, v3 offset:12288
	s_waitcnt lgkmcnt(0)
	global_store_b32 v7, v3, s[4:5]
.LBB646_347:
	s_or_b32 exec_lo, exec_lo, s0
                                        ; implicit-def: $vgpr11
                                        ; implicit-def: $vgpr7_vgpr8
.LBB646_348:
	s_and_not1_saveexec_b32 s0, s3
	s_cbranch_execz .LBB646_350
; %bb.349:
	v_lshlrev_b32_e32 v3, 2, v0
	v_lshlrev_b32_e32 v5, 2, v11
	v_readfirstlane_b32 s0, v7
	v_readfirstlane_b32 s1, v8
	ds_load_b32 v3, v3 offset:12288
	s_waitcnt lgkmcnt(0)
	global_store_b32 v5, v3, s[0:1]
.LBB646_350:
	s_or_b32 exec_lo, exec_lo, s2
	v_cmp_eq_u32_e32 vcc_lo, 0, v0
	s_and_b32 s0, vcc_lo, s14
	s_delay_alu instid0(SALU_CYCLE_1)
	s_and_saveexec_b32 s1, s0
	s_cbranch_execz .LBB646_127
.LBB646_351:
	v_add_co_u32 v2, s0, s30, v2
	s_delay_alu instid0(VALU_DEP_1) | instskip(SKIP_2) | instid1(VALU_DEP_4)
	v_add_co_ci_u32_e64 v3, null, s31, 0, s0
	v_add_co_u32 v0, vcc_lo, v18, v1
	v_add_co_ci_u32_e32 v1, vcc_lo, 0, v19, vcc_lo
	v_add_co_u32 v2, vcc_lo, v2, v4
	v_mov_b32_e32 v5, 0
	v_add_co_ci_u32_e32 v3, vcc_lo, 0, v3, vcc_lo
	global_store_b128 v5, v[0:3], s[24:25]
	s_nop 0
	s_sendmsg sendmsg(MSG_DEALLOC_VGPRS)
	s_endpgm
.LBB646_352:
	v_add_nc_u32_e32 v3, s7, v23
	s_add_i32 s10, s15, 32
	s_mov_b32 s11, 0
	v_dual_mov_b32 v5, 0 :: v_dual_add_nc_u32 v2, v22, v1
	s_lshl_b64 s[10:11], s[10:11], 4
	v_and_b32_e32 v20, 0xff0000, v3
	s_add_u32 s10, s4, s10
	s_addc_u32 s11, s5, s11
	v_and_b32_e32 v4, 0xff000000, v3
	s_delay_alu instid0(VALU_DEP_1) | instskip(SKIP_2) | instid1(VALU_DEP_1)
	v_or_b32_e32 v20, v20, v4
	v_dual_mov_b32 v4, 2 :: v_dual_and_b32 v21, 0xff00, v3
	v_and_b32_e32 v3, 0xff, v3
	v_or3_b32 v3, v20, v21, v3
	v_dual_mov_b32 v21, s11 :: v_dual_mov_b32 v20, s10
	;;#ASMSTART
	global_store_dwordx4 v[20:21], v[2:5] off	
s_waitcnt vmcnt(0)
	;;#ASMEND
	s_or_b32 exec_lo, exec_lo, s8
	s_and_saveexec_b32 s8, s2
	s_cbranch_execz .LBB646_111
.LBB646_353:
	v_mov_b32_e32 v2, s7
	v_add_nc_u32_e64 v3, 0x3400, 0
	ds_store_2addr_b32 v3, v1, v2 offset1:2
	ds_store_2addr_b32 v3, v22, v23 offset0:4 offset1:6
	s_or_b32 exec_lo, exec_lo, s8
	v_cmp_eq_u32_e32 vcc_lo, 0, v0
	s_and_b32 exec_lo, exec_lo, vcc_lo
	s_cbranch_execnz .LBB646_112
	s_branch .LBB646_113
	.section	.rodata,"a",@progbits
	.p2align	6, 0x0
	.amdhsa_kernel _ZN7rocprim17ROCPRIM_400000_NS6detail17trampoline_kernelINS0_13select_configILj256ELj13ELNS0_17block_load_methodE3ELS4_3ELS4_3ELNS0_20block_scan_algorithmE0ELj4294967295EEENS1_25partition_config_selectorILNS1_17partition_subalgoE4EjNS0_10empty_typeEbEEZZNS1_14partition_implILS8_4ELb0ES6_15HIP_vector_typeIjLj2EENS0_17counting_iteratorIjlEEPS9_SG_NS0_5tupleIJPjSI_NS0_16reverse_iteratorISI_EEEEENSH_IJSG_SG_SG_EEES9_SI_JZNS1_25segmented_radix_sort_implINS0_14default_configELb1EPKlPlSQ_SR_N2at6native12_GLOBAL__N_18offset_tEEE10hipError_tPvRmT1_PNSt15iterator_traitsISZ_E10value_typeET2_T3_PNS10_IS15_E10value_typeET4_jRbjT5_S1B_jjP12ihipStream_tbEUljE_ZNSN_ISO_Lb1ESQ_SR_SQ_SR_SV_EESW_SX_SY_SZ_S13_S14_S15_S18_S19_jS1A_jS1B_S1B_jjS1D_bEUljE0_EEESW_SX_SY_S15_S19_S1B_T6_T7_T9_mT8_S1D_bDpT10_ENKUlT_T0_E_clISt17integral_constantIbLb0EES1R_EEDaS1M_S1N_EUlS1M_E_NS1_11comp_targetILNS1_3genE9ELNS1_11target_archE1100ELNS1_3gpuE3ELNS1_3repE0EEENS1_30default_config_static_selectorELNS0_4arch9wavefront6targetE0EEEvSZ_
		.amdhsa_group_segment_fixed_size 13340
		.amdhsa_private_segment_fixed_size 0
		.amdhsa_kernarg_size 176
		.amdhsa_user_sgpr_count 15
		.amdhsa_user_sgpr_dispatch_ptr 0
		.amdhsa_user_sgpr_queue_ptr 0
		.amdhsa_user_sgpr_kernarg_segment_ptr 1
		.amdhsa_user_sgpr_dispatch_id 0
		.amdhsa_user_sgpr_private_segment_size 0
		.amdhsa_wavefront_size32 1
		.amdhsa_uses_dynamic_stack 0
		.amdhsa_enable_private_segment 0
		.amdhsa_system_sgpr_workgroup_id_x 1
		.amdhsa_system_sgpr_workgroup_id_y 0
		.amdhsa_system_sgpr_workgroup_id_z 0
		.amdhsa_system_sgpr_workgroup_info 0
		.amdhsa_system_vgpr_workitem_id 0
		.amdhsa_next_free_vgpr 98
		.amdhsa_next_free_sgpr 59
		.amdhsa_reserve_vcc 1
		.amdhsa_float_round_mode_32 0
		.amdhsa_float_round_mode_16_64 0
		.amdhsa_float_denorm_mode_32 3
		.amdhsa_float_denorm_mode_16_64 3
		.amdhsa_dx10_clamp 1
		.amdhsa_ieee_mode 1
		.amdhsa_fp16_overflow 0
		.amdhsa_workgroup_processor_mode 1
		.amdhsa_memory_ordered 1
		.amdhsa_forward_progress 0
		.amdhsa_shared_vgpr_count 0
		.amdhsa_exception_fp_ieee_invalid_op 0
		.amdhsa_exception_fp_denorm_src 0
		.amdhsa_exception_fp_ieee_div_zero 0
		.amdhsa_exception_fp_ieee_overflow 0
		.amdhsa_exception_fp_ieee_underflow 0
		.amdhsa_exception_fp_ieee_inexact 0
		.amdhsa_exception_int_div_zero 0
	.end_amdhsa_kernel
	.section	.text._ZN7rocprim17ROCPRIM_400000_NS6detail17trampoline_kernelINS0_13select_configILj256ELj13ELNS0_17block_load_methodE3ELS4_3ELS4_3ELNS0_20block_scan_algorithmE0ELj4294967295EEENS1_25partition_config_selectorILNS1_17partition_subalgoE4EjNS0_10empty_typeEbEEZZNS1_14partition_implILS8_4ELb0ES6_15HIP_vector_typeIjLj2EENS0_17counting_iteratorIjlEEPS9_SG_NS0_5tupleIJPjSI_NS0_16reverse_iteratorISI_EEEEENSH_IJSG_SG_SG_EEES9_SI_JZNS1_25segmented_radix_sort_implINS0_14default_configELb1EPKlPlSQ_SR_N2at6native12_GLOBAL__N_18offset_tEEE10hipError_tPvRmT1_PNSt15iterator_traitsISZ_E10value_typeET2_T3_PNS10_IS15_E10value_typeET4_jRbjT5_S1B_jjP12ihipStream_tbEUljE_ZNSN_ISO_Lb1ESQ_SR_SQ_SR_SV_EESW_SX_SY_SZ_S13_S14_S15_S18_S19_jS1A_jS1B_S1B_jjS1D_bEUljE0_EEESW_SX_SY_S15_S19_S1B_T6_T7_T9_mT8_S1D_bDpT10_ENKUlT_T0_E_clISt17integral_constantIbLb0EES1R_EEDaS1M_S1N_EUlS1M_E_NS1_11comp_targetILNS1_3genE9ELNS1_11target_archE1100ELNS1_3gpuE3ELNS1_3repE0EEENS1_30default_config_static_selectorELNS0_4arch9wavefront6targetE0EEEvSZ_,"axG",@progbits,_ZN7rocprim17ROCPRIM_400000_NS6detail17trampoline_kernelINS0_13select_configILj256ELj13ELNS0_17block_load_methodE3ELS4_3ELS4_3ELNS0_20block_scan_algorithmE0ELj4294967295EEENS1_25partition_config_selectorILNS1_17partition_subalgoE4EjNS0_10empty_typeEbEEZZNS1_14partition_implILS8_4ELb0ES6_15HIP_vector_typeIjLj2EENS0_17counting_iteratorIjlEEPS9_SG_NS0_5tupleIJPjSI_NS0_16reverse_iteratorISI_EEEEENSH_IJSG_SG_SG_EEES9_SI_JZNS1_25segmented_radix_sort_implINS0_14default_configELb1EPKlPlSQ_SR_N2at6native12_GLOBAL__N_18offset_tEEE10hipError_tPvRmT1_PNSt15iterator_traitsISZ_E10value_typeET2_T3_PNS10_IS15_E10value_typeET4_jRbjT5_S1B_jjP12ihipStream_tbEUljE_ZNSN_ISO_Lb1ESQ_SR_SQ_SR_SV_EESW_SX_SY_SZ_S13_S14_S15_S18_S19_jS1A_jS1B_S1B_jjS1D_bEUljE0_EEESW_SX_SY_S15_S19_S1B_T6_T7_T9_mT8_S1D_bDpT10_ENKUlT_T0_E_clISt17integral_constantIbLb0EES1R_EEDaS1M_S1N_EUlS1M_E_NS1_11comp_targetILNS1_3genE9ELNS1_11target_archE1100ELNS1_3gpuE3ELNS1_3repE0EEENS1_30default_config_static_selectorELNS0_4arch9wavefront6targetE0EEEvSZ_,comdat
.Lfunc_end646:
	.size	_ZN7rocprim17ROCPRIM_400000_NS6detail17trampoline_kernelINS0_13select_configILj256ELj13ELNS0_17block_load_methodE3ELS4_3ELS4_3ELNS0_20block_scan_algorithmE0ELj4294967295EEENS1_25partition_config_selectorILNS1_17partition_subalgoE4EjNS0_10empty_typeEbEEZZNS1_14partition_implILS8_4ELb0ES6_15HIP_vector_typeIjLj2EENS0_17counting_iteratorIjlEEPS9_SG_NS0_5tupleIJPjSI_NS0_16reverse_iteratorISI_EEEEENSH_IJSG_SG_SG_EEES9_SI_JZNS1_25segmented_radix_sort_implINS0_14default_configELb1EPKlPlSQ_SR_N2at6native12_GLOBAL__N_18offset_tEEE10hipError_tPvRmT1_PNSt15iterator_traitsISZ_E10value_typeET2_T3_PNS10_IS15_E10value_typeET4_jRbjT5_S1B_jjP12ihipStream_tbEUljE_ZNSN_ISO_Lb1ESQ_SR_SQ_SR_SV_EESW_SX_SY_SZ_S13_S14_S15_S18_S19_jS1A_jS1B_S1B_jjS1D_bEUljE0_EEESW_SX_SY_S15_S19_S1B_T6_T7_T9_mT8_S1D_bDpT10_ENKUlT_T0_E_clISt17integral_constantIbLb0EES1R_EEDaS1M_S1N_EUlS1M_E_NS1_11comp_targetILNS1_3genE9ELNS1_11target_archE1100ELNS1_3gpuE3ELNS1_3repE0EEENS1_30default_config_static_selectorELNS0_4arch9wavefront6targetE0EEEvSZ_, .Lfunc_end646-_ZN7rocprim17ROCPRIM_400000_NS6detail17trampoline_kernelINS0_13select_configILj256ELj13ELNS0_17block_load_methodE3ELS4_3ELS4_3ELNS0_20block_scan_algorithmE0ELj4294967295EEENS1_25partition_config_selectorILNS1_17partition_subalgoE4EjNS0_10empty_typeEbEEZZNS1_14partition_implILS8_4ELb0ES6_15HIP_vector_typeIjLj2EENS0_17counting_iteratorIjlEEPS9_SG_NS0_5tupleIJPjSI_NS0_16reverse_iteratorISI_EEEEENSH_IJSG_SG_SG_EEES9_SI_JZNS1_25segmented_radix_sort_implINS0_14default_configELb1EPKlPlSQ_SR_N2at6native12_GLOBAL__N_18offset_tEEE10hipError_tPvRmT1_PNSt15iterator_traitsISZ_E10value_typeET2_T3_PNS10_IS15_E10value_typeET4_jRbjT5_S1B_jjP12ihipStream_tbEUljE_ZNSN_ISO_Lb1ESQ_SR_SQ_SR_SV_EESW_SX_SY_SZ_S13_S14_S15_S18_S19_jS1A_jS1B_S1B_jjS1D_bEUljE0_EEESW_SX_SY_S15_S19_S1B_T6_T7_T9_mT8_S1D_bDpT10_ENKUlT_T0_E_clISt17integral_constantIbLb0EES1R_EEDaS1M_S1N_EUlS1M_E_NS1_11comp_targetILNS1_3genE9ELNS1_11target_archE1100ELNS1_3gpuE3ELNS1_3repE0EEENS1_30default_config_static_selectorELNS0_4arch9wavefront6targetE0EEEvSZ_
                                        ; -- End function
	.section	.AMDGPU.csdata,"",@progbits
; Kernel info:
; codeLenInByte = 14984
; NumSgprs: 61
; NumVgprs: 98
; ScratchSize: 0
; MemoryBound: 0
; FloatMode: 240
; IeeeMode: 1
; LDSByteSize: 13340 bytes/workgroup (compile time only)
; SGPRBlocks: 7
; VGPRBlocks: 12
; NumSGPRsForWavesPerEU: 61
; NumVGPRsForWavesPerEU: 98
; Occupancy: 12
; WaveLimiterHint : 1
; COMPUTE_PGM_RSRC2:SCRATCH_EN: 0
; COMPUTE_PGM_RSRC2:USER_SGPR: 15
; COMPUTE_PGM_RSRC2:TRAP_HANDLER: 0
; COMPUTE_PGM_RSRC2:TGID_X_EN: 1
; COMPUTE_PGM_RSRC2:TGID_Y_EN: 0
; COMPUTE_PGM_RSRC2:TGID_Z_EN: 0
; COMPUTE_PGM_RSRC2:TIDIG_COMP_CNT: 0
	.section	.text._ZN7rocprim17ROCPRIM_400000_NS6detail17trampoline_kernelINS0_13select_configILj256ELj13ELNS0_17block_load_methodE3ELS4_3ELS4_3ELNS0_20block_scan_algorithmE0ELj4294967295EEENS1_25partition_config_selectorILNS1_17partition_subalgoE4EjNS0_10empty_typeEbEEZZNS1_14partition_implILS8_4ELb0ES6_15HIP_vector_typeIjLj2EENS0_17counting_iteratorIjlEEPS9_SG_NS0_5tupleIJPjSI_NS0_16reverse_iteratorISI_EEEEENSH_IJSG_SG_SG_EEES9_SI_JZNS1_25segmented_radix_sort_implINS0_14default_configELb1EPKlPlSQ_SR_N2at6native12_GLOBAL__N_18offset_tEEE10hipError_tPvRmT1_PNSt15iterator_traitsISZ_E10value_typeET2_T3_PNS10_IS15_E10value_typeET4_jRbjT5_S1B_jjP12ihipStream_tbEUljE_ZNSN_ISO_Lb1ESQ_SR_SQ_SR_SV_EESW_SX_SY_SZ_S13_S14_S15_S18_S19_jS1A_jS1B_S1B_jjS1D_bEUljE0_EEESW_SX_SY_S15_S19_S1B_T6_T7_T9_mT8_S1D_bDpT10_ENKUlT_T0_E_clISt17integral_constantIbLb0EES1R_EEDaS1M_S1N_EUlS1M_E_NS1_11comp_targetILNS1_3genE8ELNS1_11target_archE1030ELNS1_3gpuE2ELNS1_3repE0EEENS1_30default_config_static_selectorELNS0_4arch9wavefront6targetE0EEEvSZ_,"axG",@progbits,_ZN7rocprim17ROCPRIM_400000_NS6detail17trampoline_kernelINS0_13select_configILj256ELj13ELNS0_17block_load_methodE3ELS4_3ELS4_3ELNS0_20block_scan_algorithmE0ELj4294967295EEENS1_25partition_config_selectorILNS1_17partition_subalgoE4EjNS0_10empty_typeEbEEZZNS1_14partition_implILS8_4ELb0ES6_15HIP_vector_typeIjLj2EENS0_17counting_iteratorIjlEEPS9_SG_NS0_5tupleIJPjSI_NS0_16reverse_iteratorISI_EEEEENSH_IJSG_SG_SG_EEES9_SI_JZNS1_25segmented_radix_sort_implINS0_14default_configELb1EPKlPlSQ_SR_N2at6native12_GLOBAL__N_18offset_tEEE10hipError_tPvRmT1_PNSt15iterator_traitsISZ_E10value_typeET2_T3_PNS10_IS15_E10value_typeET4_jRbjT5_S1B_jjP12ihipStream_tbEUljE_ZNSN_ISO_Lb1ESQ_SR_SQ_SR_SV_EESW_SX_SY_SZ_S13_S14_S15_S18_S19_jS1A_jS1B_S1B_jjS1D_bEUljE0_EEESW_SX_SY_S15_S19_S1B_T6_T7_T9_mT8_S1D_bDpT10_ENKUlT_T0_E_clISt17integral_constantIbLb0EES1R_EEDaS1M_S1N_EUlS1M_E_NS1_11comp_targetILNS1_3genE8ELNS1_11target_archE1030ELNS1_3gpuE2ELNS1_3repE0EEENS1_30default_config_static_selectorELNS0_4arch9wavefront6targetE0EEEvSZ_,comdat
	.globl	_ZN7rocprim17ROCPRIM_400000_NS6detail17trampoline_kernelINS0_13select_configILj256ELj13ELNS0_17block_load_methodE3ELS4_3ELS4_3ELNS0_20block_scan_algorithmE0ELj4294967295EEENS1_25partition_config_selectorILNS1_17partition_subalgoE4EjNS0_10empty_typeEbEEZZNS1_14partition_implILS8_4ELb0ES6_15HIP_vector_typeIjLj2EENS0_17counting_iteratorIjlEEPS9_SG_NS0_5tupleIJPjSI_NS0_16reverse_iteratorISI_EEEEENSH_IJSG_SG_SG_EEES9_SI_JZNS1_25segmented_radix_sort_implINS0_14default_configELb1EPKlPlSQ_SR_N2at6native12_GLOBAL__N_18offset_tEEE10hipError_tPvRmT1_PNSt15iterator_traitsISZ_E10value_typeET2_T3_PNS10_IS15_E10value_typeET4_jRbjT5_S1B_jjP12ihipStream_tbEUljE_ZNSN_ISO_Lb1ESQ_SR_SQ_SR_SV_EESW_SX_SY_SZ_S13_S14_S15_S18_S19_jS1A_jS1B_S1B_jjS1D_bEUljE0_EEESW_SX_SY_S15_S19_S1B_T6_T7_T9_mT8_S1D_bDpT10_ENKUlT_T0_E_clISt17integral_constantIbLb0EES1R_EEDaS1M_S1N_EUlS1M_E_NS1_11comp_targetILNS1_3genE8ELNS1_11target_archE1030ELNS1_3gpuE2ELNS1_3repE0EEENS1_30default_config_static_selectorELNS0_4arch9wavefront6targetE0EEEvSZ_ ; -- Begin function _ZN7rocprim17ROCPRIM_400000_NS6detail17trampoline_kernelINS0_13select_configILj256ELj13ELNS0_17block_load_methodE3ELS4_3ELS4_3ELNS0_20block_scan_algorithmE0ELj4294967295EEENS1_25partition_config_selectorILNS1_17partition_subalgoE4EjNS0_10empty_typeEbEEZZNS1_14partition_implILS8_4ELb0ES6_15HIP_vector_typeIjLj2EENS0_17counting_iteratorIjlEEPS9_SG_NS0_5tupleIJPjSI_NS0_16reverse_iteratorISI_EEEEENSH_IJSG_SG_SG_EEES9_SI_JZNS1_25segmented_radix_sort_implINS0_14default_configELb1EPKlPlSQ_SR_N2at6native12_GLOBAL__N_18offset_tEEE10hipError_tPvRmT1_PNSt15iterator_traitsISZ_E10value_typeET2_T3_PNS10_IS15_E10value_typeET4_jRbjT5_S1B_jjP12ihipStream_tbEUljE_ZNSN_ISO_Lb1ESQ_SR_SQ_SR_SV_EESW_SX_SY_SZ_S13_S14_S15_S18_S19_jS1A_jS1B_S1B_jjS1D_bEUljE0_EEESW_SX_SY_S15_S19_S1B_T6_T7_T9_mT8_S1D_bDpT10_ENKUlT_T0_E_clISt17integral_constantIbLb0EES1R_EEDaS1M_S1N_EUlS1M_E_NS1_11comp_targetILNS1_3genE8ELNS1_11target_archE1030ELNS1_3gpuE2ELNS1_3repE0EEENS1_30default_config_static_selectorELNS0_4arch9wavefront6targetE0EEEvSZ_
	.p2align	8
	.type	_ZN7rocprim17ROCPRIM_400000_NS6detail17trampoline_kernelINS0_13select_configILj256ELj13ELNS0_17block_load_methodE3ELS4_3ELS4_3ELNS0_20block_scan_algorithmE0ELj4294967295EEENS1_25partition_config_selectorILNS1_17partition_subalgoE4EjNS0_10empty_typeEbEEZZNS1_14partition_implILS8_4ELb0ES6_15HIP_vector_typeIjLj2EENS0_17counting_iteratorIjlEEPS9_SG_NS0_5tupleIJPjSI_NS0_16reverse_iteratorISI_EEEEENSH_IJSG_SG_SG_EEES9_SI_JZNS1_25segmented_radix_sort_implINS0_14default_configELb1EPKlPlSQ_SR_N2at6native12_GLOBAL__N_18offset_tEEE10hipError_tPvRmT1_PNSt15iterator_traitsISZ_E10value_typeET2_T3_PNS10_IS15_E10value_typeET4_jRbjT5_S1B_jjP12ihipStream_tbEUljE_ZNSN_ISO_Lb1ESQ_SR_SQ_SR_SV_EESW_SX_SY_SZ_S13_S14_S15_S18_S19_jS1A_jS1B_S1B_jjS1D_bEUljE0_EEESW_SX_SY_S15_S19_S1B_T6_T7_T9_mT8_S1D_bDpT10_ENKUlT_T0_E_clISt17integral_constantIbLb0EES1R_EEDaS1M_S1N_EUlS1M_E_NS1_11comp_targetILNS1_3genE8ELNS1_11target_archE1030ELNS1_3gpuE2ELNS1_3repE0EEENS1_30default_config_static_selectorELNS0_4arch9wavefront6targetE0EEEvSZ_,@function
_ZN7rocprim17ROCPRIM_400000_NS6detail17trampoline_kernelINS0_13select_configILj256ELj13ELNS0_17block_load_methodE3ELS4_3ELS4_3ELNS0_20block_scan_algorithmE0ELj4294967295EEENS1_25partition_config_selectorILNS1_17partition_subalgoE4EjNS0_10empty_typeEbEEZZNS1_14partition_implILS8_4ELb0ES6_15HIP_vector_typeIjLj2EENS0_17counting_iteratorIjlEEPS9_SG_NS0_5tupleIJPjSI_NS0_16reverse_iteratorISI_EEEEENSH_IJSG_SG_SG_EEES9_SI_JZNS1_25segmented_radix_sort_implINS0_14default_configELb1EPKlPlSQ_SR_N2at6native12_GLOBAL__N_18offset_tEEE10hipError_tPvRmT1_PNSt15iterator_traitsISZ_E10value_typeET2_T3_PNS10_IS15_E10value_typeET4_jRbjT5_S1B_jjP12ihipStream_tbEUljE_ZNSN_ISO_Lb1ESQ_SR_SQ_SR_SV_EESW_SX_SY_SZ_S13_S14_S15_S18_S19_jS1A_jS1B_S1B_jjS1D_bEUljE0_EEESW_SX_SY_S15_S19_S1B_T6_T7_T9_mT8_S1D_bDpT10_ENKUlT_T0_E_clISt17integral_constantIbLb0EES1R_EEDaS1M_S1N_EUlS1M_E_NS1_11comp_targetILNS1_3genE8ELNS1_11target_archE1030ELNS1_3gpuE2ELNS1_3repE0EEENS1_30default_config_static_selectorELNS0_4arch9wavefront6targetE0EEEvSZ_: ; @_ZN7rocprim17ROCPRIM_400000_NS6detail17trampoline_kernelINS0_13select_configILj256ELj13ELNS0_17block_load_methodE3ELS4_3ELS4_3ELNS0_20block_scan_algorithmE0ELj4294967295EEENS1_25partition_config_selectorILNS1_17partition_subalgoE4EjNS0_10empty_typeEbEEZZNS1_14partition_implILS8_4ELb0ES6_15HIP_vector_typeIjLj2EENS0_17counting_iteratorIjlEEPS9_SG_NS0_5tupleIJPjSI_NS0_16reverse_iteratorISI_EEEEENSH_IJSG_SG_SG_EEES9_SI_JZNS1_25segmented_radix_sort_implINS0_14default_configELb1EPKlPlSQ_SR_N2at6native12_GLOBAL__N_18offset_tEEE10hipError_tPvRmT1_PNSt15iterator_traitsISZ_E10value_typeET2_T3_PNS10_IS15_E10value_typeET4_jRbjT5_S1B_jjP12ihipStream_tbEUljE_ZNSN_ISO_Lb1ESQ_SR_SQ_SR_SV_EESW_SX_SY_SZ_S13_S14_S15_S18_S19_jS1A_jS1B_S1B_jjS1D_bEUljE0_EEESW_SX_SY_S15_S19_S1B_T6_T7_T9_mT8_S1D_bDpT10_ENKUlT_T0_E_clISt17integral_constantIbLb0EES1R_EEDaS1M_S1N_EUlS1M_E_NS1_11comp_targetILNS1_3genE8ELNS1_11target_archE1030ELNS1_3gpuE2ELNS1_3repE0EEENS1_30default_config_static_selectorELNS0_4arch9wavefront6targetE0EEEvSZ_
; %bb.0:
	.section	.rodata,"a",@progbits
	.p2align	6, 0x0
	.amdhsa_kernel _ZN7rocprim17ROCPRIM_400000_NS6detail17trampoline_kernelINS0_13select_configILj256ELj13ELNS0_17block_load_methodE3ELS4_3ELS4_3ELNS0_20block_scan_algorithmE0ELj4294967295EEENS1_25partition_config_selectorILNS1_17partition_subalgoE4EjNS0_10empty_typeEbEEZZNS1_14partition_implILS8_4ELb0ES6_15HIP_vector_typeIjLj2EENS0_17counting_iteratorIjlEEPS9_SG_NS0_5tupleIJPjSI_NS0_16reverse_iteratorISI_EEEEENSH_IJSG_SG_SG_EEES9_SI_JZNS1_25segmented_radix_sort_implINS0_14default_configELb1EPKlPlSQ_SR_N2at6native12_GLOBAL__N_18offset_tEEE10hipError_tPvRmT1_PNSt15iterator_traitsISZ_E10value_typeET2_T3_PNS10_IS15_E10value_typeET4_jRbjT5_S1B_jjP12ihipStream_tbEUljE_ZNSN_ISO_Lb1ESQ_SR_SQ_SR_SV_EESW_SX_SY_SZ_S13_S14_S15_S18_S19_jS1A_jS1B_S1B_jjS1D_bEUljE0_EEESW_SX_SY_S15_S19_S1B_T6_T7_T9_mT8_S1D_bDpT10_ENKUlT_T0_E_clISt17integral_constantIbLb0EES1R_EEDaS1M_S1N_EUlS1M_E_NS1_11comp_targetILNS1_3genE8ELNS1_11target_archE1030ELNS1_3gpuE2ELNS1_3repE0EEENS1_30default_config_static_selectorELNS0_4arch9wavefront6targetE0EEEvSZ_
		.amdhsa_group_segment_fixed_size 0
		.amdhsa_private_segment_fixed_size 0
		.amdhsa_kernarg_size 176
		.amdhsa_user_sgpr_count 15
		.amdhsa_user_sgpr_dispatch_ptr 0
		.amdhsa_user_sgpr_queue_ptr 0
		.amdhsa_user_sgpr_kernarg_segment_ptr 1
		.amdhsa_user_sgpr_dispatch_id 0
		.amdhsa_user_sgpr_private_segment_size 0
		.amdhsa_wavefront_size32 1
		.amdhsa_uses_dynamic_stack 0
		.amdhsa_enable_private_segment 0
		.amdhsa_system_sgpr_workgroup_id_x 1
		.amdhsa_system_sgpr_workgroup_id_y 0
		.amdhsa_system_sgpr_workgroup_id_z 0
		.amdhsa_system_sgpr_workgroup_info 0
		.amdhsa_system_vgpr_workitem_id 0
		.amdhsa_next_free_vgpr 1
		.amdhsa_next_free_sgpr 1
		.amdhsa_reserve_vcc 0
		.amdhsa_float_round_mode_32 0
		.amdhsa_float_round_mode_16_64 0
		.amdhsa_float_denorm_mode_32 3
		.amdhsa_float_denorm_mode_16_64 3
		.amdhsa_dx10_clamp 1
		.amdhsa_ieee_mode 1
		.amdhsa_fp16_overflow 0
		.amdhsa_workgroup_processor_mode 1
		.amdhsa_memory_ordered 1
		.amdhsa_forward_progress 0
		.amdhsa_shared_vgpr_count 0
		.amdhsa_exception_fp_ieee_invalid_op 0
		.amdhsa_exception_fp_denorm_src 0
		.amdhsa_exception_fp_ieee_div_zero 0
		.amdhsa_exception_fp_ieee_overflow 0
		.amdhsa_exception_fp_ieee_underflow 0
		.amdhsa_exception_fp_ieee_inexact 0
		.amdhsa_exception_int_div_zero 0
	.end_amdhsa_kernel
	.section	.text._ZN7rocprim17ROCPRIM_400000_NS6detail17trampoline_kernelINS0_13select_configILj256ELj13ELNS0_17block_load_methodE3ELS4_3ELS4_3ELNS0_20block_scan_algorithmE0ELj4294967295EEENS1_25partition_config_selectorILNS1_17partition_subalgoE4EjNS0_10empty_typeEbEEZZNS1_14partition_implILS8_4ELb0ES6_15HIP_vector_typeIjLj2EENS0_17counting_iteratorIjlEEPS9_SG_NS0_5tupleIJPjSI_NS0_16reverse_iteratorISI_EEEEENSH_IJSG_SG_SG_EEES9_SI_JZNS1_25segmented_radix_sort_implINS0_14default_configELb1EPKlPlSQ_SR_N2at6native12_GLOBAL__N_18offset_tEEE10hipError_tPvRmT1_PNSt15iterator_traitsISZ_E10value_typeET2_T3_PNS10_IS15_E10value_typeET4_jRbjT5_S1B_jjP12ihipStream_tbEUljE_ZNSN_ISO_Lb1ESQ_SR_SQ_SR_SV_EESW_SX_SY_SZ_S13_S14_S15_S18_S19_jS1A_jS1B_S1B_jjS1D_bEUljE0_EEESW_SX_SY_S15_S19_S1B_T6_T7_T9_mT8_S1D_bDpT10_ENKUlT_T0_E_clISt17integral_constantIbLb0EES1R_EEDaS1M_S1N_EUlS1M_E_NS1_11comp_targetILNS1_3genE8ELNS1_11target_archE1030ELNS1_3gpuE2ELNS1_3repE0EEENS1_30default_config_static_selectorELNS0_4arch9wavefront6targetE0EEEvSZ_,"axG",@progbits,_ZN7rocprim17ROCPRIM_400000_NS6detail17trampoline_kernelINS0_13select_configILj256ELj13ELNS0_17block_load_methodE3ELS4_3ELS4_3ELNS0_20block_scan_algorithmE0ELj4294967295EEENS1_25partition_config_selectorILNS1_17partition_subalgoE4EjNS0_10empty_typeEbEEZZNS1_14partition_implILS8_4ELb0ES6_15HIP_vector_typeIjLj2EENS0_17counting_iteratorIjlEEPS9_SG_NS0_5tupleIJPjSI_NS0_16reverse_iteratorISI_EEEEENSH_IJSG_SG_SG_EEES9_SI_JZNS1_25segmented_radix_sort_implINS0_14default_configELb1EPKlPlSQ_SR_N2at6native12_GLOBAL__N_18offset_tEEE10hipError_tPvRmT1_PNSt15iterator_traitsISZ_E10value_typeET2_T3_PNS10_IS15_E10value_typeET4_jRbjT5_S1B_jjP12ihipStream_tbEUljE_ZNSN_ISO_Lb1ESQ_SR_SQ_SR_SV_EESW_SX_SY_SZ_S13_S14_S15_S18_S19_jS1A_jS1B_S1B_jjS1D_bEUljE0_EEESW_SX_SY_S15_S19_S1B_T6_T7_T9_mT8_S1D_bDpT10_ENKUlT_T0_E_clISt17integral_constantIbLb0EES1R_EEDaS1M_S1N_EUlS1M_E_NS1_11comp_targetILNS1_3genE8ELNS1_11target_archE1030ELNS1_3gpuE2ELNS1_3repE0EEENS1_30default_config_static_selectorELNS0_4arch9wavefront6targetE0EEEvSZ_,comdat
.Lfunc_end647:
	.size	_ZN7rocprim17ROCPRIM_400000_NS6detail17trampoline_kernelINS0_13select_configILj256ELj13ELNS0_17block_load_methodE3ELS4_3ELS4_3ELNS0_20block_scan_algorithmE0ELj4294967295EEENS1_25partition_config_selectorILNS1_17partition_subalgoE4EjNS0_10empty_typeEbEEZZNS1_14partition_implILS8_4ELb0ES6_15HIP_vector_typeIjLj2EENS0_17counting_iteratorIjlEEPS9_SG_NS0_5tupleIJPjSI_NS0_16reverse_iteratorISI_EEEEENSH_IJSG_SG_SG_EEES9_SI_JZNS1_25segmented_radix_sort_implINS0_14default_configELb1EPKlPlSQ_SR_N2at6native12_GLOBAL__N_18offset_tEEE10hipError_tPvRmT1_PNSt15iterator_traitsISZ_E10value_typeET2_T3_PNS10_IS15_E10value_typeET4_jRbjT5_S1B_jjP12ihipStream_tbEUljE_ZNSN_ISO_Lb1ESQ_SR_SQ_SR_SV_EESW_SX_SY_SZ_S13_S14_S15_S18_S19_jS1A_jS1B_S1B_jjS1D_bEUljE0_EEESW_SX_SY_S15_S19_S1B_T6_T7_T9_mT8_S1D_bDpT10_ENKUlT_T0_E_clISt17integral_constantIbLb0EES1R_EEDaS1M_S1N_EUlS1M_E_NS1_11comp_targetILNS1_3genE8ELNS1_11target_archE1030ELNS1_3gpuE2ELNS1_3repE0EEENS1_30default_config_static_selectorELNS0_4arch9wavefront6targetE0EEEvSZ_, .Lfunc_end647-_ZN7rocprim17ROCPRIM_400000_NS6detail17trampoline_kernelINS0_13select_configILj256ELj13ELNS0_17block_load_methodE3ELS4_3ELS4_3ELNS0_20block_scan_algorithmE0ELj4294967295EEENS1_25partition_config_selectorILNS1_17partition_subalgoE4EjNS0_10empty_typeEbEEZZNS1_14partition_implILS8_4ELb0ES6_15HIP_vector_typeIjLj2EENS0_17counting_iteratorIjlEEPS9_SG_NS0_5tupleIJPjSI_NS0_16reverse_iteratorISI_EEEEENSH_IJSG_SG_SG_EEES9_SI_JZNS1_25segmented_radix_sort_implINS0_14default_configELb1EPKlPlSQ_SR_N2at6native12_GLOBAL__N_18offset_tEEE10hipError_tPvRmT1_PNSt15iterator_traitsISZ_E10value_typeET2_T3_PNS10_IS15_E10value_typeET4_jRbjT5_S1B_jjP12ihipStream_tbEUljE_ZNSN_ISO_Lb1ESQ_SR_SQ_SR_SV_EESW_SX_SY_SZ_S13_S14_S15_S18_S19_jS1A_jS1B_S1B_jjS1D_bEUljE0_EEESW_SX_SY_S15_S19_S1B_T6_T7_T9_mT8_S1D_bDpT10_ENKUlT_T0_E_clISt17integral_constantIbLb0EES1R_EEDaS1M_S1N_EUlS1M_E_NS1_11comp_targetILNS1_3genE8ELNS1_11target_archE1030ELNS1_3gpuE2ELNS1_3repE0EEENS1_30default_config_static_selectorELNS0_4arch9wavefront6targetE0EEEvSZ_
                                        ; -- End function
	.section	.AMDGPU.csdata,"",@progbits
; Kernel info:
; codeLenInByte = 0
; NumSgprs: 0
; NumVgprs: 0
; ScratchSize: 0
; MemoryBound: 0
; FloatMode: 240
; IeeeMode: 1
; LDSByteSize: 0 bytes/workgroup (compile time only)
; SGPRBlocks: 0
; VGPRBlocks: 0
; NumSGPRsForWavesPerEU: 1
; NumVGPRsForWavesPerEU: 1
; Occupancy: 16
; WaveLimiterHint : 0
; COMPUTE_PGM_RSRC2:SCRATCH_EN: 0
; COMPUTE_PGM_RSRC2:USER_SGPR: 15
; COMPUTE_PGM_RSRC2:TRAP_HANDLER: 0
; COMPUTE_PGM_RSRC2:TGID_X_EN: 1
; COMPUTE_PGM_RSRC2:TGID_Y_EN: 0
; COMPUTE_PGM_RSRC2:TGID_Z_EN: 0
; COMPUTE_PGM_RSRC2:TIDIG_COMP_CNT: 0
	.section	.text._ZN7rocprim17ROCPRIM_400000_NS6detail17trampoline_kernelINS0_13select_configILj256ELj13ELNS0_17block_load_methodE3ELS4_3ELS4_3ELNS0_20block_scan_algorithmE0ELj4294967295EEENS1_25partition_config_selectorILNS1_17partition_subalgoE4EjNS0_10empty_typeEbEEZZNS1_14partition_implILS8_4ELb0ES6_15HIP_vector_typeIjLj2EENS0_17counting_iteratorIjlEEPS9_SG_NS0_5tupleIJPjSI_NS0_16reverse_iteratorISI_EEEEENSH_IJSG_SG_SG_EEES9_SI_JZNS1_25segmented_radix_sort_implINS0_14default_configELb1EPKlPlSQ_SR_N2at6native12_GLOBAL__N_18offset_tEEE10hipError_tPvRmT1_PNSt15iterator_traitsISZ_E10value_typeET2_T3_PNS10_IS15_E10value_typeET4_jRbjT5_S1B_jjP12ihipStream_tbEUljE_ZNSN_ISO_Lb1ESQ_SR_SQ_SR_SV_EESW_SX_SY_SZ_S13_S14_S15_S18_S19_jS1A_jS1B_S1B_jjS1D_bEUljE0_EEESW_SX_SY_S15_S19_S1B_T6_T7_T9_mT8_S1D_bDpT10_ENKUlT_T0_E_clISt17integral_constantIbLb1EES1R_EEDaS1M_S1N_EUlS1M_E_NS1_11comp_targetILNS1_3genE0ELNS1_11target_archE4294967295ELNS1_3gpuE0ELNS1_3repE0EEENS1_30default_config_static_selectorELNS0_4arch9wavefront6targetE0EEEvSZ_,"axG",@progbits,_ZN7rocprim17ROCPRIM_400000_NS6detail17trampoline_kernelINS0_13select_configILj256ELj13ELNS0_17block_load_methodE3ELS4_3ELS4_3ELNS0_20block_scan_algorithmE0ELj4294967295EEENS1_25partition_config_selectorILNS1_17partition_subalgoE4EjNS0_10empty_typeEbEEZZNS1_14partition_implILS8_4ELb0ES6_15HIP_vector_typeIjLj2EENS0_17counting_iteratorIjlEEPS9_SG_NS0_5tupleIJPjSI_NS0_16reverse_iteratorISI_EEEEENSH_IJSG_SG_SG_EEES9_SI_JZNS1_25segmented_radix_sort_implINS0_14default_configELb1EPKlPlSQ_SR_N2at6native12_GLOBAL__N_18offset_tEEE10hipError_tPvRmT1_PNSt15iterator_traitsISZ_E10value_typeET2_T3_PNS10_IS15_E10value_typeET4_jRbjT5_S1B_jjP12ihipStream_tbEUljE_ZNSN_ISO_Lb1ESQ_SR_SQ_SR_SV_EESW_SX_SY_SZ_S13_S14_S15_S18_S19_jS1A_jS1B_S1B_jjS1D_bEUljE0_EEESW_SX_SY_S15_S19_S1B_T6_T7_T9_mT8_S1D_bDpT10_ENKUlT_T0_E_clISt17integral_constantIbLb1EES1R_EEDaS1M_S1N_EUlS1M_E_NS1_11comp_targetILNS1_3genE0ELNS1_11target_archE4294967295ELNS1_3gpuE0ELNS1_3repE0EEENS1_30default_config_static_selectorELNS0_4arch9wavefront6targetE0EEEvSZ_,comdat
	.globl	_ZN7rocprim17ROCPRIM_400000_NS6detail17trampoline_kernelINS0_13select_configILj256ELj13ELNS0_17block_load_methodE3ELS4_3ELS4_3ELNS0_20block_scan_algorithmE0ELj4294967295EEENS1_25partition_config_selectorILNS1_17partition_subalgoE4EjNS0_10empty_typeEbEEZZNS1_14partition_implILS8_4ELb0ES6_15HIP_vector_typeIjLj2EENS0_17counting_iteratorIjlEEPS9_SG_NS0_5tupleIJPjSI_NS0_16reverse_iteratorISI_EEEEENSH_IJSG_SG_SG_EEES9_SI_JZNS1_25segmented_radix_sort_implINS0_14default_configELb1EPKlPlSQ_SR_N2at6native12_GLOBAL__N_18offset_tEEE10hipError_tPvRmT1_PNSt15iterator_traitsISZ_E10value_typeET2_T3_PNS10_IS15_E10value_typeET4_jRbjT5_S1B_jjP12ihipStream_tbEUljE_ZNSN_ISO_Lb1ESQ_SR_SQ_SR_SV_EESW_SX_SY_SZ_S13_S14_S15_S18_S19_jS1A_jS1B_S1B_jjS1D_bEUljE0_EEESW_SX_SY_S15_S19_S1B_T6_T7_T9_mT8_S1D_bDpT10_ENKUlT_T0_E_clISt17integral_constantIbLb1EES1R_EEDaS1M_S1N_EUlS1M_E_NS1_11comp_targetILNS1_3genE0ELNS1_11target_archE4294967295ELNS1_3gpuE0ELNS1_3repE0EEENS1_30default_config_static_selectorELNS0_4arch9wavefront6targetE0EEEvSZ_ ; -- Begin function _ZN7rocprim17ROCPRIM_400000_NS6detail17trampoline_kernelINS0_13select_configILj256ELj13ELNS0_17block_load_methodE3ELS4_3ELS4_3ELNS0_20block_scan_algorithmE0ELj4294967295EEENS1_25partition_config_selectorILNS1_17partition_subalgoE4EjNS0_10empty_typeEbEEZZNS1_14partition_implILS8_4ELb0ES6_15HIP_vector_typeIjLj2EENS0_17counting_iteratorIjlEEPS9_SG_NS0_5tupleIJPjSI_NS0_16reverse_iteratorISI_EEEEENSH_IJSG_SG_SG_EEES9_SI_JZNS1_25segmented_radix_sort_implINS0_14default_configELb1EPKlPlSQ_SR_N2at6native12_GLOBAL__N_18offset_tEEE10hipError_tPvRmT1_PNSt15iterator_traitsISZ_E10value_typeET2_T3_PNS10_IS15_E10value_typeET4_jRbjT5_S1B_jjP12ihipStream_tbEUljE_ZNSN_ISO_Lb1ESQ_SR_SQ_SR_SV_EESW_SX_SY_SZ_S13_S14_S15_S18_S19_jS1A_jS1B_S1B_jjS1D_bEUljE0_EEESW_SX_SY_S15_S19_S1B_T6_T7_T9_mT8_S1D_bDpT10_ENKUlT_T0_E_clISt17integral_constantIbLb1EES1R_EEDaS1M_S1N_EUlS1M_E_NS1_11comp_targetILNS1_3genE0ELNS1_11target_archE4294967295ELNS1_3gpuE0ELNS1_3repE0EEENS1_30default_config_static_selectorELNS0_4arch9wavefront6targetE0EEEvSZ_
	.p2align	8
	.type	_ZN7rocprim17ROCPRIM_400000_NS6detail17trampoline_kernelINS0_13select_configILj256ELj13ELNS0_17block_load_methodE3ELS4_3ELS4_3ELNS0_20block_scan_algorithmE0ELj4294967295EEENS1_25partition_config_selectorILNS1_17partition_subalgoE4EjNS0_10empty_typeEbEEZZNS1_14partition_implILS8_4ELb0ES6_15HIP_vector_typeIjLj2EENS0_17counting_iteratorIjlEEPS9_SG_NS0_5tupleIJPjSI_NS0_16reverse_iteratorISI_EEEEENSH_IJSG_SG_SG_EEES9_SI_JZNS1_25segmented_radix_sort_implINS0_14default_configELb1EPKlPlSQ_SR_N2at6native12_GLOBAL__N_18offset_tEEE10hipError_tPvRmT1_PNSt15iterator_traitsISZ_E10value_typeET2_T3_PNS10_IS15_E10value_typeET4_jRbjT5_S1B_jjP12ihipStream_tbEUljE_ZNSN_ISO_Lb1ESQ_SR_SQ_SR_SV_EESW_SX_SY_SZ_S13_S14_S15_S18_S19_jS1A_jS1B_S1B_jjS1D_bEUljE0_EEESW_SX_SY_S15_S19_S1B_T6_T7_T9_mT8_S1D_bDpT10_ENKUlT_T0_E_clISt17integral_constantIbLb1EES1R_EEDaS1M_S1N_EUlS1M_E_NS1_11comp_targetILNS1_3genE0ELNS1_11target_archE4294967295ELNS1_3gpuE0ELNS1_3repE0EEENS1_30default_config_static_selectorELNS0_4arch9wavefront6targetE0EEEvSZ_,@function
_ZN7rocprim17ROCPRIM_400000_NS6detail17trampoline_kernelINS0_13select_configILj256ELj13ELNS0_17block_load_methodE3ELS4_3ELS4_3ELNS0_20block_scan_algorithmE0ELj4294967295EEENS1_25partition_config_selectorILNS1_17partition_subalgoE4EjNS0_10empty_typeEbEEZZNS1_14partition_implILS8_4ELb0ES6_15HIP_vector_typeIjLj2EENS0_17counting_iteratorIjlEEPS9_SG_NS0_5tupleIJPjSI_NS0_16reverse_iteratorISI_EEEEENSH_IJSG_SG_SG_EEES9_SI_JZNS1_25segmented_radix_sort_implINS0_14default_configELb1EPKlPlSQ_SR_N2at6native12_GLOBAL__N_18offset_tEEE10hipError_tPvRmT1_PNSt15iterator_traitsISZ_E10value_typeET2_T3_PNS10_IS15_E10value_typeET4_jRbjT5_S1B_jjP12ihipStream_tbEUljE_ZNSN_ISO_Lb1ESQ_SR_SQ_SR_SV_EESW_SX_SY_SZ_S13_S14_S15_S18_S19_jS1A_jS1B_S1B_jjS1D_bEUljE0_EEESW_SX_SY_S15_S19_S1B_T6_T7_T9_mT8_S1D_bDpT10_ENKUlT_T0_E_clISt17integral_constantIbLb1EES1R_EEDaS1M_S1N_EUlS1M_E_NS1_11comp_targetILNS1_3genE0ELNS1_11target_archE4294967295ELNS1_3gpuE0ELNS1_3repE0EEENS1_30default_config_static_selectorELNS0_4arch9wavefront6targetE0EEEvSZ_: ; @_ZN7rocprim17ROCPRIM_400000_NS6detail17trampoline_kernelINS0_13select_configILj256ELj13ELNS0_17block_load_methodE3ELS4_3ELS4_3ELNS0_20block_scan_algorithmE0ELj4294967295EEENS1_25partition_config_selectorILNS1_17partition_subalgoE4EjNS0_10empty_typeEbEEZZNS1_14partition_implILS8_4ELb0ES6_15HIP_vector_typeIjLj2EENS0_17counting_iteratorIjlEEPS9_SG_NS0_5tupleIJPjSI_NS0_16reverse_iteratorISI_EEEEENSH_IJSG_SG_SG_EEES9_SI_JZNS1_25segmented_radix_sort_implINS0_14default_configELb1EPKlPlSQ_SR_N2at6native12_GLOBAL__N_18offset_tEEE10hipError_tPvRmT1_PNSt15iterator_traitsISZ_E10value_typeET2_T3_PNS10_IS15_E10value_typeET4_jRbjT5_S1B_jjP12ihipStream_tbEUljE_ZNSN_ISO_Lb1ESQ_SR_SQ_SR_SV_EESW_SX_SY_SZ_S13_S14_S15_S18_S19_jS1A_jS1B_S1B_jjS1D_bEUljE0_EEESW_SX_SY_S15_S19_S1B_T6_T7_T9_mT8_S1D_bDpT10_ENKUlT_T0_E_clISt17integral_constantIbLb1EES1R_EEDaS1M_S1N_EUlS1M_E_NS1_11comp_targetILNS1_3genE0ELNS1_11target_archE4294967295ELNS1_3gpuE0ELNS1_3repE0EEENS1_30default_config_static_selectorELNS0_4arch9wavefront6targetE0EEEvSZ_
; %bb.0:
	.section	.rodata,"a",@progbits
	.p2align	6, 0x0
	.amdhsa_kernel _ZN7rocprim17ROCPRIM_400000_NS6detail17trampoline_kernelINS0_13select_configILj256ELj13ELNS0_17block_load_methodE3ELS4_3ELS4_3ELNS0_20block_scan_algorithmE0ELj4294967295EEENS1_25partition_config_selectorILNS1_17partition_subalgoE4EjNS0_10empty_typeEbEEZZNS1_14partition_implILS8_4ELb0ES6_15HIP_vector_typeIjLj2EENS0_17counting_iteratorIjlEEPS9_SG_NS0_5tupleIJPjSI_NS0_16reverse_iteratorISI_EEEEENSH_IJSG_SG_SG_EEES9_SI_JZNS1_25segmented_radix_sort_implINS0_14default_configELb1EPKlPlSQ_SR_N2at6native12_GLOBAL__N_18offset_tEEE10hipError_tPvRmT1_PNSt15iterator_traitsISZ_E10value_typeET2_T3_PNS10_IS15_E10value_typeET4_jRbjT5_S1B_jjP12ihipStream_tbEUljE_ZNSN_ISO_Lb1ESQ_SR_SQ_SR_SV_EESW_SX_SY_SZ_S13_S14_S15_S18_S19_jS1A_jS1B_S1B_jjS1D_bEUljE0_EEESW_SX_SY_S15_S19_S1B_T6_T7_T9_mT8_S1D_bDpT10_ENKUlT_T0_E_clISt17integral_constantIbLb1EES1R_EEDaS1M_S1N_EUlS1M_E_NS1_11comp_targetILNS1_3genE0ELNS1_11target_archE4294967295ELNS1_3gpuE0ELNS1_3repE0EEENS1_30default_config_static_selectorELNS0_4arch9wavefront6targetE0EEEvSZ_
		.amdhsa_group_segment_fixed_size 0
		.amdhsa_private_segment_fixed_size 0
		.amdhsa_kernarg_size 184
		.amdhsa_user_sgpr_count 15
		.amdhsa_user_sgpr_dispatch_ptr 0
		.amdhsa_user_sgpr_queue_ptr 0
		.amdhsa_user_sgpr_kernarg_segment_ptr 1
		.amdhsa_user_sgpr_dispatch_id 0
		.amdhsa_user_sgpr_private_segment_size 0
		.amdhsa_wavefront_size32 1
		.amdhsa_uses_dynamic_stack 0
		.amdhsa_enable_private_segment 0
		.amdhsa_system_sgpr_workgroup_id_x 1
		.amdhsa_system_sgpr_workgroup_id_y 0
		.amdhsa_system_sgpr_workgroup_id_z 0
		.amdhsa_system_sgpr_workgroup_info 0
		.amdhsa_system_vgpr_workitem_id 0
		.amdhsa_next_free_vgpr 1
		.amdhsa_next_free_sgpr 1
		.amdhsa_reserve_vcc 0
		.amdhsa_float_round_mode_32 0
		.amdhsa_float_round_mode_16_64 0
		.amdhsa_float_denorm_mode_32 3
		.amdhsa_float_denorm_mode_16_64 3
		.amdhsa_dx10_clamp 1
		.amdhsa_ieee_mode 1
		.amdhsa_fp16_overflow 0
		.amdhsa_workgroup_processor_mode 1
		.amdhsa_memory_ordered 1
		.amdhsa_forward_progress 0
		.amdhsa_shared_vgpr_count 0
		.amdhsa_exception_fp_ieee_invalid_op 0
		.amdhsa_exception_fp_denorm_src 0
		.amdhsa_exception_fp_ieee_div_zero 0
		.amdhsa_exception_fp_ieee_overflow 0
		.amdhsa_exception_fp_ieee_underflow 0
		.amdhsa_exception_fp_ieee_inexact 0
		.amdhsa_exception_int_div_zero 0
	.end_amdhsa_kernel
	.section	.text._ZN7rocprim17ROCPRIM_400000_NS6detail17trampoline_kernelINS0_13select_configILj256ELj13ELNS0_17block_load_methodE3ELS4_3ELS4_3ELNS0_20block_scan_algorithmE0ELj4294967295EEENS1_25partition_config_selectorILNS1_17partition_subalgoE4EjNS0_10empty_typeEbEEZZNS1_14partition_implILS8_4ELb0ES6_15HIP_vector_typeIjLj2EENS0_17counting_iteratorIjlEEPS9_SG_NS0_5tupleIJPjSI_NS0_16reverse_iteratorISI_EEEEENSH_IJSG_SG_SG_EEES9_SI_JZNS1_25segmented_radix_sort_implINS0_14default_configELb1EPKlPlSQ_SR_N2at6native12_GLOBAL__N_18offset_tEEE10hipError_tPvRmT1_PNSt15iterator_traitsISZ_E10value_typeET2_T3_PNS10_IS15_E10value_typeET4_jRbjT5_S1B_jjP12ihipStream_tbEUljE_ZNSN_ISO_Lb1ESQ_SR_SQ_SR_SV_EESW_SX_SY_SZ_S13_S14_S15_S18_S19_jS1A_jS1B_S1B_jjS1D_bEUljE0_EEESW_SX_SY_S15_S19_S1B_T6_T7_T9_mT8_S1D_bDpT10_ENKUlT_T0_E_clISt17integral_constantIbLb1EES1R_EEDaS1M_S1N_EUlS1M_E_NS1_11comp_targetILNS1_3genE0ELNS1_11target_archE4294967295ELNS1_3gpuE0ELNS1_3repE0EEENS1_30default_config_static_selectorELNS0_4arch9wavefront6targetE0EEEvSZ_,"axG",@progbits,_ZN7rocprim17ROCPRIM_400000_NS6detail17trampoline_kernelINS0_13select_configILj256ELj13ELNS0_17block_load_methodE3ELS4_3ELS4_3ELNS0_20block_scan_algorithmE0ELj4294967295EEENS1_25partition_config_selectorILNS1_17partition_subalgoE4EjNS0_10empty_typeEbEEZZNS1_14partition_implILS8_4ELb0ES6_15HIP_vector_typeIjLj2EENS0_17counting_iteratorIjlEEPS9_SG_NS0_5tupleIJPjSI_NS0_16reverse_iteratorISI_EEEEENSH_IJSG_SG_SG_EEES9_SI_JZNS1_25segmented_radix_sort_implINS0_14default_configELb1EPKlPlSQ_SR_N2at6native12_GLOBAL__N_18offset_tEEE10hipError_tPvRmT1_PNSt15iterator_traitsISZ_E10value_typeET2_T3_PNS10_IS15_E10value_typeET4_jRbjT5_S1B_jjP12ihipStream_tbEUljE_ZNSN_ISO_Lb1ESQ_SR_SQ_SR_SV_EESW_SX_SY_SZ_S13_S14_S15_S18_S19_jS1A_jS1B_S1B_jjS1D_bEUljE0_EEESW_SX_SY_S15_S19_S1B_T6_T7_T9_mT8_S1D_bDpT10_ENKUlT_T0_E_clISt17integral_constantIbLb1EES1R_EEDaS1M_S1N_EUlS1M_E_NS1_11comp_targetILNS1_3genE0ELNS1_11target_archE4294967295ELNS1_3gpuE0ELNS1_3repE0EEENS1_30default_config_static_selectorELNS0_4arch9wavefront6targetE0EEEvSZ_,comdat
.Lfunc_end648:
	.size	_ZN7rocprim17ROCPRIM_400000_NS6detail17trampoline_kernelINS0_13select_configILj256ELj13ELNS0_17block_load_methodE3ELS4_3ELS4_3ELNS0_20block_scan_algorithmE0ELj4294967295EEENS1_25partition_config_selectorILNS1_17partition_subalgoE4EjNS0_10empty_typeEbEEZZNS1_14partition_implILS8_4ELb0ES6_15HIP_vector_typeIjLj2EENS0_17counting_iteratorIjlEEPS9_SG_NS0_5tupleIJPjSI_NS0_16reverse_iteratorISI_EEEEENSH_IJSG_SG_SG_EEES9_SI_JZNS1_25segmented_radix_sort_implINS0_14default_configELb1EPKlPlSQ_SR_N2at6native12_GLOBAL__N_18offset_tEEE10hipError_tPvRmT1_PNSt15iterator_traitsISZ_E10value_typeET2_T3_PNS10_IS15_E10value_typeET4_jRbjT5_S1B_jjP12ihipStream_tbEUljE_ZNSN_ISO_Lb1ESQ_SR_SQ_SR_SV_EESW_SX_SY_SZ_S13_S14_S15_S18_S19_jS1A_jS1B_S1B_jjS1D_bEUljE0_EEESW_SX_SY_S15_S19_S1B_T6_T7_T9_mT8_S1D_bDpT10_ENKUlT_T0_E_clISt17integral_constantIbLb1EES1R_EEDaS1M_S1N_EUlS1M_E_NS1_11comp_targetILNS1_3genE0ELNS1_11target_archE4294967295ELNS1_3gpuE0ELNS1_3repE0EEENS1_30default_config_static_selectorELNS0_4arch9wavefront6targetE0EEEvSZ_, .Lfunc_end648-_ZN7rocprim17ROCPRIM_400000_NS6detail17trampoline_kernelINS0_13select_configILj256ELj13ELNS0_17block_load_methodE3ELS4_3ELS4_3ELNS0_20block_scan_algorithmE0ELj4294967295EEENS1_25partition_config_selectorILNS1_17partition_subalgoE4EjNS0_10empty_typeEbEEZZNS1_14partition_implILS8_4ELb0ES6_15HIP_vector_typeIjLj2EENS0_17counting_iteratorIjlEEPS9_SG_NS0_5tupleIJPjSI_NS0_16reverse_iteratorISI_EEEEENSH_IJSG_SG_SG_EEES9_SI_JZNS1_25segmented_radix_sort_implINS0_14default_configELb1EPKlPlSQ_SR_N2at6native12_GLOBAL__N_18offset_tEEE10hipError_tPvRmT1_PNSt15iterator_traitsISZ_E10value_typeET2_T3_PNS10_IS15_E10value_typeET4_jRbjT5_S1B_jjP12ihipStream_tbEUljE_ZNSN_ISO_Lb1ESQ_SR_SQ_SR_SV_EESW_SX_SY_SZ_S13_S14_S15_S18_S19_jS1A_jS1B_S1B_jjS1D_bEUljE0_EEESW_SX_SY_S15_S19_S1B_T6_T7_T9_mT8_S1D_bDpT10_ENKUlT_T0_E_clISt17integral_constantIbLb1EES1R_EEDaS1M_S1N_EUlS1M_E_NS1_11comp_targetILNS1_3genE0ELNS1_11target_archE4294967295ELNS1_3gpuE0ELNS1_3repE0EEENS1_30default_config_static_selectorELNS0_4arch9wavefront6targetE0EEEvSZ_
                                        ; -- End function
	.section	.AMDGPU.csdata,"",@progbits
; Kernel info:
; codeLenInByte = 0
; NumSgprs: 0
; NumVgprs: 0
; ScratchSize: 0
; MemoryBound: 0
; FloatMode: 240
; IeeeMode: 1
; LDSByteSize: 0 bytes/workgroup (compile time only)
; SGPRBlocks: 0
; VGPRBlocks: 0
; NumSGPRsForWavesPerEU: 1
; NumVGPRsForWavesPerEU: 1
; Occupancy: 16
; WaveLimiterHint : 0
; COMPUTE_PGM_RSRC2:SCRATCH_EN: 0
; COMPUTE_PGM_RSRC2:USER_SGPR: 15
; COMPUTE_PGM_RSRC2:TRAP_HANDLER: 0
; COMPUTE_PGM_RSRC2:TGID_X_EN: 1
; COMPUTE_PGM_RSRC2:TGID_Y_EN: 0
; COMPUTE_PGM_RSRC2:TGID_Z_EN: 0
; COMPUTE_PGM_RSRC2:TIDIG_COMP_CNT: 0
	.section	.text._ZN7rocprim17ROCPRIM_400000_NS6detail17trampoline_kernelINS0_13select_configILj256ELj13ELNS0_17block_load_methodE3ELS4_3ELS4_3ELNS0_20block_scan_algorithmE0ELj4294967295EEENS1_25partition_config_selectorILNS1_17partition_subalgoE4EjNS0_10empty_typeEbEEZZNS1_14partition_implILS8_4ELb0ES6_15HIP_vector_typeIjLj2EENS0_17counting_iteratorIjlEEPS9_SG_NS0_5tupleIJPjSI_NS0_16reverse_iteratorISI_EEEEENSH_IJSG_SG_SG_EEES9_SI_JZNS1_25segmented_radix_sort_implINS0_14default_configELb1EPKlPlSQ_SR_N2at6native12_GLOBAL__N_18offset_tEEE10hipError_tPvRmT1_PNSt15iterator_traitsISZ_E10value_typeET2_T3_PNS10_IS15_E10value_typeET4_jRbjT5_S1B_jjP12ihipStream_tbEUljE_ZNSN_ISO_Lb1ESQ_SR_SQ_SR_SV_EESW_SX_SY_SZ_S13_S14_S15_S18_S19_jS1A_jS1B_S1B_jjS1D_bEUljE0_EEESW_SX_SY_S15_S19_S1B_T6_T7_T9_mT8_S1D_bDpT10_ENKUlT_T0_E_clISt17integral_constantIbLb1EES1R_EEDaS1M_S1N_EUlS1M_E_NS1_11comp_targetILNS1_3genE5ELNS1_11target_archE942ELNS1_3gpuE9ELNS1_3repE0EEENS1_30default_config_static_selectorELNS0_4arch9wavefront6targetE0EEEvSZ_,"axG",@progbits,_ZN7rocprim17ROCPRIM_400000_NS6detail17trampoline_kernelINS0_13select_configILj256ELj13ELNS0_17block_load_methodE3ELS4_3ELS4_3ELNS0_20block_scan_algorithmE0ELj4294967295EEENS1_25partition_config_selectorILNS1_17partition_subalgoE4EjNS0_10empty_typeEbEEZZNS1_14partition_implILS8_4ELb0ES6_15HIP_vector_typeIjLj2EENS0_17counting_iteratorIjlEEPS9_SG_NS0_5tupleIJPjSI_NS0_16reverse_iteratorISI_EEEEENSH_IJSG_SG_SG_EEES9_SI_JZNS1_25segmented_radix_sort_implINS0_14default_configELb1EPKlPlSQ_SR_N2at6native12_GLOBAL__N_18offset_tEEE10hipError_tPvRmT1_PNSt15iterator_traitsISZ_E10value_typeET2_T3_PNS10_IS15_E10value_typeET4_jRbjT5_S1B_jjP12ihipStream_tbEUljE_ZNSN_ISO_Lb1ESQ_SR_SQ_SR_SV_EESW_SX_SY_SZ_S13_S14_S15_S18_S19_jS1A_jS1B_S1B_jjS1D_bEUljE0_EEESW_SX_SY_S15_S19_S1B_T6_T7_T9_mT8_S1D_bDpT10_ENKUlT_T0_E_clISt17integral_constantIbLb1EES1R_EEDaS1M_S1N_EUlS1M_E_NS1_11comp_targetILNS1_3genE5ELNS1_11target_archE942ELNS1_3gpuE9ELNS1_3repE0EEENS1_30default_config_static_selectorELNS0_4arch9wavefront6targetE0EEEvSZ_,comdat
	.globl	_ZN7rocprim17ROCPRIM_400000_NS6detail17trampoline_kernelINS0_13select_configILj256ELj13ELNS0_17block_load_methodE3ELS4_3ELS4_3ELNS0_20block_scan_algorithmE0ELj4294967295EEENS1_25partition_config_selectorILNS1_17partition_subalgoE4EjNS0_10empty_typeEbEEZZNS1_14partition_implILS8_4ELb0ES6_15HIP_vector_typeIjLj2EENS0_17counting_iteratorIjlEEPS9_SG_NS0_5tupleIJPjSI_NS0_16reverse_iteratorISI_EEEEENSH_IJSG_SG_SG_EEES9_SI_JZNS1_25segmented_radix_sort_implINS0_14default_configELb1EPKlPlSQ_SR_N2at6native12_GLOBAL__N_18offset_tEEE10hipError_tPvRmT1_PNSt15iterator_traitsISZ_E10value_typeET2_T3_PNS10_IS15_E10value_typeET4_jRbjT5_S1B_jjP12ihipStream_tbEUljE_ZNSN_ISO_Lb1ESQ_SR_SQ_SR_SV_EESW_SX_SY_SZ_S13_S14_S15_S18_S19_jS1A_jS1B_S1B_jjS1D_bEUljE0_EEESW_SX_SY_S15_S19_S1B_T6_T7_T9_mT8_S1D_bDpT10_ENKUlT_T0_E_clISt17integral_constantIbLb1EES1R_EEDaS1M_S1N_EUlS1M_E_NS1_11comp_targetILNS1_3genE5ELNS1_11target_archE942ELNS1_3gpuE9ELNS1_3repE0EEENS1_30default_config_static_selectorELNS0_4arch9wavefront6targetE0EEEvSZ_ ; -- Begin function _ZN7rocprim17ROCPRIM_400000_NS6detail17trampoline_kernelINS0_13select_configILj256ELj13ELNS0_17block_load_methodE3ELS4_3ELS4_3ELNS0_20block_scan_algorithmE0ELj4294967295EEENS1_25partition_config_selectorILNS1_17partition_subalgoE4EjNS0_10empty_typeEbEEZZNS1_14partition_implILS8_4ELb0ES6_15HIP_vector_typeIjLj2EENS0_17counting_iteratorIjlEEPS9_SG_NS0_5tupleIJPjSI_NS0_16reverse_iteratorISI_EEEEENSH_IJSG_SG_SG_EEES9_SI_JZNS1_25segmented_radix_sort_implINS0_14default_configELb1EPKlPlSQ_SR_N2at6native12_GLOBAL__N_18offset_tEEE10hipError_tPvRmT1_PNSt15iterator_traitsISZ_E10value_typeET2_T3_PNS10_IS15_E10value_typeET4_jRbjT5_S1B_jjP12ihipStream_tbEUljE_ZNSN_ISO_Lb1ESQ_SR_SQ_SR_SV_EESW_SX_SY_SZ_S13_S14_S15_S18_S19_jS1A_jS1B_S1B_jjS1D_bEUljE0_EEESW_SX_SY_S15_S19_S1B_T6_T7_T9_mT8_S1D_bDpT10_ENKUlT_T0_E_clISt17integral_constantIbLb1EES1R_EEDaS1M_S1N_EUlS1M_E_NS1_11comp_targetILNS1_3genE5ELNS1_11target_archE942ELNS1_3gpuE9ELNS1_3repE0EEENS1_30default_config_static_selectorELNS0_4arch9wavefront6targetE0EEEvSZ_
	.p2align	8
	.type	_ZN7rocprim17ROCPRIM_400000_NS6detail17trampoline_kernelINS0_13select_configILj256ELj13ELNS0_17block_load_methodE3ELS4_3ELS4_3ELNS0_20block_scan_algorithmE0ELj4294967295EEENS1_25partition_config_selectorILNS1_17partition_subalgoE4EjNS0_10empty_typeEbEEZZNS1_14partition_implILS8_4ELb0ES6_15HIP_vector_typeIjLj2EENS0_17counting_iteratorIjlEEPS9_SG_NS0_5tupleIJPjSI_NS0_16reverse_iteratorISI_EEEEENSH_IJSG_SG_SG_EEES9_SI_JZNS1_25segmented_radix_sort_implINS0_14default_configELb1EPKlPlSQ_SR_N2at6native12_GLOBAL__N_18offset_tEEE10hipError_tPvRmT1_PNSt15iterator_traitsISZ_E10value_typeET2_T3_PNS10_IS15_E10value_typeET4_jRbjT5_S1B_jjP12ihipStream_tbEUljE_ZNSN_ISO_Lb1ESQ_SR_SQ_SR_SV_EESW_SX_SY_SZ_S13_S14_S15_S18_S19_jS1A_jS1B_S1B_jjS1D_bEUljE0_EEESW_SX_SY_S15_S19_S1B_T6_T7_T9_mT8_S1D_bDpT10_ENKUlT_T0_E_clISt17integral_constantIbLb1EES1R_EEDaS1M_S1N_EUlS1M_E_NS1_11comp_targetILNS1_3genE5ELNS1_11target_archE942ELNS1_3gpuE9ELNS1_3repE0EEENS1_30default_config_static_selectorELNS0_4arch9wavefront6targetE0EEEvSZ_,@function
_ZN7rocprim17ROCPRIM_400000_NS6detail17trampoline_kernelINS0_13select_configILj256ELj13ELNS0_17block_load_methodE3ELS4_3ELS4_3ELNS0_20block_scan_algorithmE0ELj4294967295EEENS1_25partition_config_selectorILNS1_17partition_subalgoE4EjNS0_10empty_typeEbEEZZNS1_14partition_implILS8_4ELb0ES6_15HIP_vector_typeIjLj2EENS0_17counting_iteratorIjlEEPS9_SG_NS0_5tupleIJPjSI_NS0_16reverse_iteratorISI_EEEEENSH_IJSG_SG_SG_EEES9_SI_JZNS1_25segmented_radix_sort_implINS0_14default_configELb1EPKlPlSQ_SR_N2at6native12_GLOBAL__N_18offset_tEEE10hipError_tPvRmT1_PNSt15iterator_traitsISZ_E10value_typeET2_T3_PNS10_IS15_E10value_typeET4_jRbjT5_S1B_jjP12ihipStream_tbEUljE_ZNSN_ISO_Lb1ESQ_SR_SQ_SR_SV_EESW_SX_SY_SZ_S13_S14_S15_S18_S19_jS1A_jS1B_S1B_jjS1D_bEUljE0_EEESW_SX_SY_S15_S19_S1B_T6_T7_T9_mT8_S1D_bDpT10_ENKUlT_T0_E_clISt17integral_constantIbLb1EES1R_EEDaS1M_S1N_EUlS1M_E_NS1_11comp_targetILNS1_3genE5ELNS1_11target_archE942ELNS1_3gpuE9ELNS1_3repE0EEENS1_30default_config_static_selectorELNS0_4arch9wavefront6targetE0EEEvSZ_: ; @_ZN7rocprim17ROCPRIM_400000_NS6detail17trampoline_kernelINS0_13select_configILj256ELj13ELNS0_17block_load_methodE3ELS4_3ELS4_3ELNS0_20block_scan_algorithmE0ELj4294967295EEENS1_25partition_config_selectorILNS1_17partition_subalgoE4EjNS0_10empty_typeEbEEZZNS1_14partition_implILS8_4ELb0ES6_15HIP_vector_typeIjLj2EENS0_17counting_iteratorIjlEEPS9_SG_NS0_5tupleIJPjSI_NS0_16reverse_iteratorISI_EEEEENSH_IJSG_SG_SG_EEES9_SI_JZNS1_25segmented_radix_sort_implINS0_14default_configELb1EPKlPlSQ_SR_N2at6native12_GLOBAL__N_18offset_tEEE10hipError_tPvRmT1_PNSt15iterator_traitsISZ_E10value_typeET2_T3_PNS10_IS15_E10value_typeET4_jRbjT5_S1B_jjP12ihipStream_tbEUljE_ZNSN_ISO_Lb1ESQ_SR_SQ_SR_SV_EESW_SX_SY_SZ_S13_S14_S15_S18_S19_jS1A_jS1B_S1B_jjS1D_bEUljE0_EEESW_SX_SY_S15_S19_S1B_T6_T7_T9_mT8_S1D_bDpT10_ENKUlT_T0_E_clISt17integral_constantIbLb1EES1R_EEDaS1M_S1N_EUlS1M_E_NS1_11comp_targetILNS1_3genE5ELNS1_11target_archE942ELNS1_3gpuE9ELNS1_3repE0EEENS1_30default_config_static_selectorELNS0_4arch9wavefront6targetE0EEEvSZ_
; %bb.0:
	.section	.rodata,"a",@progbits
	.p2align	6, 0x0
	.amdhsa_kernel _ZN7rocprim17ROCPRIM_400000_NS6detail17trampoline_kernelINS0_13select_configILj256ELj13ELNS0_17block_load_methodE3ELS4_3ELS4_3ELNS0_20block_scan_algorithmE0ELj4294967295EEENS1_25partition_config_selectorILNS1_17partition_subalgoE4EjNS0_10empty_typeEbEEZZNS1_14partition_implILS8_4ELb0ES6_15HIP_vector_typeIjLj2EENS0_17counting_iteratorIjlEEPS9_SG_NS0_5tupleIJPjSI_NS0_16reverse_iteratorISI_EEEEENSH_IJSG_SG_SG_EEES9_SI_JZNS1_25segmented_radix_sort_implINS0_14default_configELb1EPKlPlSQ_SR_N2at6native12_GLOBAL__N_18offset_tEEE10hipError_tPvRmT1_PNSt15iterator_traitsISZ_E10value_typeET2_T3_PNS10_IS15_E10value_typeET4_jRbjT5_S1B_jjP12ihipStream_tbEUljE_ZNSN_ISO_Lb1ESQ_SR_SQ_SR_SV_EESW_SX_SY_SZ_S13_S14_S15_S18_S19_jS1A_jS1B_S1B_jjS1D_bEUljE0_EEESW_SX_SY_S15_S19_S1B_T6_T7_T9_mT8_S1D_bDpT10_ENKUlT_T0_E_clISt17integral_constantIbLb1EES1R_EEDaS1M_S1N_EUlS1M_E_NS1_11comp_targetILNS1_3genE5ELNS1_11target_archE942ELNS1_3gpuE9ELNS1_3repE0EEENS1_30default_config_static_selectorELNS0_4arch9wavefront6targetE0EEEvSZ_
		.amdhsa_group_segment_fixed_size 0
		.amdhsa_private_segment_fixed_size 0
		.amdhsa_kernarg_size 184
		.amdhsa_user_sgpr_count 15
		.amdhsa_user_sgpr_dispatch_ptr 0
		.amdhsa_user_sgpr_queue_ptr 0
		.amdhsa_user_sgpr_kernarg_segment_ptr 1
		.amdhsa_user_sgpr_dispatch_id 0
		.amdhsa_user_sgpr_private_segment_size 0
		.amdhsa_wavefront_size32 1
		.amdhsa_uses_dynamic_stack 0
		.amdhsa_enable_private_segment 0
		.amdhsa_system_sgpr_workgroup_id_x 1
		.amdhsa_system_sgpr_workgroup_id_y 0
		.amdhsa_system_sgpr_workgroup_id_z 0
		.amdhsa_system_sgpr_workgroup_info 0
		.amdhsa_system_vgpr_workitem_id 0
		.amdhsa_next_free_vgpr 1
		.amdhsa_next_free_sgpr 1
		.amdhsa_reserve_vcc 0
		.amdhsa_float_round_mode_32 0
		.amdhsa_float_round_mode_16_64 0
		.amdhsa_float_denorm_mode_32 3
		.amdhsa_float_denorm_mode_16_64 3
		.amdhsa_dx10_clamp 1
		.amdhsa_ieee_mode 1
		.amdhsa_fp16_overflow 0
		.amdhsa_workgroup_processor_mode 1
		.amdhsa_memory_ordered 1
		.amdhsa_forward_progress 0
		.amdhsa_shared_vgpr_count 0
		.amdhsa_exception_fp_ieee_invalid_op 0
		.amdhsa_exception_fp_denorm_src 0
		.amdhsa_exception_fp_ieee_div_zero 0
		.amdhsa_exception_fp_ieee_overflow 0
		.amdhsa_exception_fp_ieee_underflow 0
		.amdhsa_exception_fp_ieee_inexact 0
		.amdhsa_exception_int_div_zero 0
	.end_amdhsa_kernel
	.section	.text._ZN7rocprim17ROCPRIM_400000_NS6detail17trampoline_kernelINS0_13select_configILj256ELj13ELNS0_17block_load_methodE3ELS4_3ELS4_3ELNS0_20block_scan_algorithmE0ELj4294967295EEENS1_25partition_config_selectorILNS1_17partition_subalgoE4EjNS0_10empty_typeEbEEZZNS1_14partition_implILS8_4ELb0ES6_15HIP_vector_typeIjLj2EENS0_17counting_iteratorIjlEEPS9_SG_NS0_5tupleIJPjSI_NS0_16reverse_iteratorISI_EEEEENSH_IJSG_SG_SG_EEES9_SI_JZNS1_25segmented_radix_sort_implINS0_14default_configELb1EPKlPlSQ_SR_N2at6native12_GLOBAL__N_18offset_tEEE10hipError_tPvRmT1_PNSt15iterator_traitsISZ_E10value_typeET2_T3_PNS10_IS15_E10value_typeET4_jRbjT5_S1B_jjP12ihipStream_tbEUljE_ZNSN_ISO_Lb1ESQ_SR_SQ_SR_SV_EESW_SX_SY_SZ_S13_S14_S15_S18_S19_jS1A_jS1B_S1B_jjS1D_bEUljE0_EEESW_SX_SY_S15_S19_S1B_T6_T7_T9_mT8_S1D_bDpT10_ENKUlT_T0_E_clISt17integral_constantIbLb1EES1R_EEDaS1M_S1N_EUlS1M_E_NS1_11comp_targetILNS1_3genE5ELNS1_11target_archE942ELNS1_3gpuE9ELNS1_3repE0EEENS1_30default_config_static_selectorELNS0_4arch9wavefront6targetE0EEEvSZ_,"axG",@progbits,_ZN7rocprim17ROCPRIM_400000_NS6detail17trampoline_kernelINS0_13select_configILj256ELj13ELNS0_17block_load_methodE3ELS4_3ELS4_3ELNS0_20block_scan_algorithmE0ELj4294967295EEENS1_25partition_config_selectorILNS1_17partition_subalgoE4EjNS0_10empty_typeEbEEZZNS1_14partition_implILS8_4ELb0ES6_15HIP_vector_typeIjLj2EENS0_17counting_iteratorIjlEEPS9_SG_NS0_5tupleIJPjSI_NS0_16reverse_iteratorISI_EEEEENSH_IJSG_SG_SG_EEES9_SI_JZNS1_25segmented_radix_sort_implINS0_14default_configELb1EPKlPlSQ_SR_N2at6native12_GLOBAL__N_18offset_tEEE10hipError_tPvRmT1_PNSt15iterator_traitsISZ_E10value_typeET2_T3_PNS10_IS15_E10value_typeET4_jRbjT5_S1B_jjP12ihipStream_tbEUljE_ZNSN_ISO_Lb1ESQ_SR_SQ_SR_SV_EESW_SX_SY_SZ_S13_S14_S15_S18_S19_jS1A_jS1B_S1B_jjS1D_bEUljE0_EEESW_SX_SY_S15_S19_S1B_T6_T7_T9_mT8_S1D_bDpT10_ENKUlT_T0_E_clISt17integral_constantIbLb1EES1R_EEDaS1M_S1N_EUlS1M_E_NS1_11comp_targetILNS1_3genE5ELNS1_11target_archE942ELNS1_3gpuE9ELNS1_3repE0EEENS1_30default_config_static_selectorELNS0_4arch9wavefront6targetE0EEEvSZ_,comdat
.Lfunc_end649:
	.size	_ZN7rocprim17ROCPRIM_400000_NS6detail17trampoline_kernelINS0_13select_configILj256ELj13ELNS0_17block_load_methodE3ELS4_3ELS4_3ELNS0_20block_scan_algorithmE0ELj4294967295EEENS1_25partition_config_selectorILNS1_17partition_subalgoE4EjNS0_10empty_typeEbEEZZNS1_14partition_implILS8_4ELb0ES6_15HIP_vector_typeIjLj2EENS0_17counting_iteratorIjlEEPS9_SG_NS0_5tupleIJPjSI_NS0_16reverse_iteratorISI_EEEEENSH_IJSG_SG_SG_EEES9_SI_JZNS1_25segmented_radix_sort_implINS0_14default_configELb1EPKlPlSQ_SR_N2at6native12_GLOBAL__N_18offset_tEEE10hipError_tPvRmT1_PNSt15iterator_traitsISZ_E10value_typeET2_T3_PNS10_IS15_E10value_typeET4_jRbjT5_S1B_jjP12ihipStream_tbEUljE_ZNSN_ISO_Lb1ESQ_SR_SQ_SR_SV_EESW_SX_SY_SZ_S13_S14_S15_S18_S19_jS1A_jS1B_S1B_jjS1D_bEUljE0_EEESW_SX_SY_S15_S19_S1B_T6_T7_T9_mT8_S1D_bDpT10_ENKUlT_T0_E_clISt17integral_constantIbLb1EES1R_EEDaS1M_S1N_EUlS1M_E_NS1_11comp_targetILNS1_3genE5ELNS1_11target_archE942ELNS1_3gpuE9ELNS1_3repE0EEENS1_30default_config_static_selectorELNS0_4arch9wavefront6targetE0EEEvSZ_, .Lfunc_end649-_ZN7rocprim17ROCPRIM_400000_NS6detail17trampoline_kernelINS0_13select_configILj256ELj13ELNS0_17block_load_methodE3ELS4_3ELS4_3ELNS0_20block_scan_algorithmE0ELj4294967295EEENS1_25partition_config_selectorILNS1_17partition_subalgoE4EjNS0_10empty_typeEbEEZZNS1_14partition_implILS8_4ELb0ES6_15HIP_vector_typeIjLj2EENS0_17counting_iteratorIjlEEPS9_SG_NS0_5tupleIJPjSI_NS0_16reverse_iteratorISI_EEEEENSH_IJSG_SG_SG_EEES9_SI_JZNS1_25segmented_radix_sort_implINS0_14default_configELb1EPKlPlSQ_SR_N2at6native12_GLOBAL__N_18offset_tEEE10hipError_tPvRmT1_PNSt15iterator_traitsISZ_E10value_typeET2_T3_PNS10_IS15_E10value_typeET4_jRbjT5_S1B_jjP12ihipStream_tbEUljE_ZNSN_ISO_Lb1ESQ_SR_SQ_SR_SV_EESW_SX_SY_SZ_S13_S14_S15_S18_S19_jS1A_jS1B_S1B_jjS1D_bEUljE0_EEESW_SX_SY_S15_S19_S1B_T6_T7_T9_mT8_S1D_bDpT10_ENKUlT_T0_E_clISt17integral_constantIbLb1EES1R_EEDaS1M_S1N_EUlS1M_E_NS1_11comp_targetILNS1_3genE5ELNS1_11target_archE942ELNS1_3gpuE9ELNS1_3repE0EEENS1_30default_config_static_selectorELNS0_4arch9wavefront6targetE0EEEvSZ_
                                        ; -- End function
	.section	.AMDGPU.csdata,"",@progbits
; Kernel info:
; codeLenInByte = 0
; NumSgprs: 0
; NumVgprs: 0
; ScratchSize: 0
; MemoryBound: 0
; FloatMode: 240
; IeeeMode: 1
; LDSByteSize: 0 bytes/workgroup (compile time only)
; SGPRBlocks: 0
; VGPRBlocks: 0
; NumSGPRsForWavesPerEU: 1
; NumVGPRsForWavesPerEU: 1
; Occupancy: 16
; WaveLimiterHint : 0
; COMPUTE_PGM_RSRC2:SCRATCH_EN: 0
; COMPUTE_PGM_RSRC2:USER_SGPR: 15
; COMPUTE_PGM_RSRC2:TRAP_HANDLER: 0
; COMPUTE_PGM_RSRC2:TGID_X_EN: 1
; COMPUTE_PGM_RSRC2:TGID_Y_EN: 0
; COMPUTE_PGM_RSRC2:TGID_Z_EN: 0
; COMPUTE_PGM_RSRC2:TIDIG_COMP_CNT: 0
	.section	.text._ZN7rocprim17ROCPRIM_400000_NS6detail17trampoline_kernelINS0_13select_configILj256ELj13ELNS0_17block_load_methodE3ELS4_3ELS4_3ELNS0_20block_scan_algorithmE0ELj4294967295EEENS1_25partition_config_selectorILNS1_17partition_subalgoE4EjNS0_10empty_typeEbEEZZNS1_14partition_implILS8_4ELb0ES6_15HIP_vector_typeIjLj2EENS0_17counting_iteratorIjlEEPS9_SG_NS0_5tupleIJPjSI_NS0_16reverse_iteratorISI_EEEEENSH_IJSG_SG_SG_EEES9_SI_JZNS1_25segmented_radix_sort_implINS0_14default_configELb1EPKlPlSQ_SR_N2at6native12_GLOBAL__N_18offset_tEEE10hipError_tPvRmT1_PNSt15iterator_traitsISZ_E10value_typeET2_T3_PNS10_IS15_E10value_typeET4_jRbjT5_S1B_jjP12ihipStream_tbEUljE_ZNSN_ISO_Lb1ESQ_SR_SQ_SR_SV_EESW_SX_SY_SZ_S13_S14_S15_S18_S19_jS1A_jS1B_S1B_jjS1D_bEUljE0_EEESW_SX_SY_S15_S19_S1B_T6_T7_T9_mT8_S1D_bDpT10_ENKUlT_T0_E_clISt17integral_constantIbLb1EES1R_EEDaS1M_S1N_EUlS1M_E_NS1_11comp_targetILNS1_3genE4ELNS1_11target_archE910ELNS1_3gpuE8ELNS1_3repE0EEENS1_30default_config_static_selectorELNS0_4arch9wavefront6targetE0EEEvSZ_,"axG",@progbits,_ZN7rocprim17ROCPRIM_400000_NS6detail17trampoline_kernelINS0_13select_configILj256ELj13ELNS0_17block_load_methodE3ELS4_3ELS4_3ELNS0_20block_scan_algorithmE0ELj4294967295EEENS1_25partition_config_selectorILNS1_17partition_subalgoE4EjNS0_10empty_typeEbEEZZNS1_14partition_implILS8_4ELb0ES6_15HIP_vector_typeIjLj2EENS0_17counting_iteratorIjlEEPS9_SG_NS0_5tupleIJPjSI_NS0_16reverse_iteratorISI_EEEEENSH_IJSG_SG_SG_EEES9_SI_JZNS1_25segmented_radix_sort_implINS0_14default_configELb1EPKlPlSQ_SR_N2at6native12_GLOBAL__N_18offset_tEEE10hipError_tPvRmT1_PNSt15iterator_traitsISZ_E10value_typeET2_T3_PNS10_IS15_E10value_typeET4_jRbjT5_S1B_jjP12ihipStream_tbEUljE_ZNSN_ISO_Lb1ESQ_SR_SQ_SR_SV_EESW_SX_SY_SZ_S13_S14_S15_S18_S19_jS1A_jS1B_S1B_jjS1D_bEUljE0_EEESW_SX_SY_S15_S19_S1B_T6_T7_T9_mT8_S1D_bDpT10_ENKUlT_T0_E_clISt17integral_constantIbLb1EES1R_EEDaS1M_S1N_EUlS1M_E_NS1_11comp_targetILNS1_3genE4ELNS1_11target_archE910ELNS1_3gpuE8ELNS1_3repE0EEENS1_30default_config_static_selectorELNS0_4arch9wavefront6targetE0EEEvSZ_,comdat
	.globl	_ZN7rocprim17ROCPRIM_400000_NS6detail17trampoline_kernelINS0_13select_configILj256ELj13ELNS0_17block_load_methodE3ELS4_3ELS4_3ELNS0_20block_scan_algorithmE0ELj4294967295EEENS1_25partition_config_selectorILNS1_17partition_subalgoE4EjNS0_10empty_typeEbEEZZNS1_14partition_implILS8_4ELb0ES6_15HIP_vector_typeIjLj2EENS0_17counting_iteratorIjlEEPS9_SG_NS0_5tupleIJPjSI_NS0_16reverse_iteratorISI_EEEEENSH_IJSG_SG_SG_EEES9_SI_JZNS1_25segmented_radix_sort_implINS0_14default_configELb1EPKlPlSQ_SR_N2at6native12_GLOBAL__N_18offset_tEEE10hipError_tPvRmT1_PNSt15iterator_traitsISZ_E10value_typeET2_T3_PNS10_IS15_E10value_typeET4_jRbjT5_S1B_jjP12ihipStream_tbEUljE_ZNSN_ISO_Lb1ESQ_SR_SQ_SR_SV_EESW_SX_SY_SZ_S13_S14_S15_S18_S19_jS1A_jS1B_S1B_jjS1D_bEUljE0_EEESW_SX_SY_S15_S19_S1B_T6_T7_T9_mT8_S1D_bDpT10_ENKUlT_T0_E_clISt17integral_constantIbLb1EES1R_EEDaS1M_S1N_EUlS1M_E_NS1_11comp_targetILNS1_3genE4ELNS1_11target_archE910ELNS1_3gpuE8ELNS1_3repE0EEENS1_30default_config_static_selectorELNS0_4arch9wavefront6targetE0EEEvSZ_ ; -- Begin function _ZN7rocprim17ROCPRIM_400000_NS6detail17trampoline_kernelINS0_13select_configILj256ELj13ELNS0_17block_load_methodE3ELS4_3ELS4_3ELNS0_20block_scan_algorithmE0ELj4294967295EEENS1_25partition_config_selectorILNS1_17partition_subalgoE4EjNS0_10empty_typeEbEEZZNS1_14partition_implILS8_4ELb0ES6_15HIP_vector_typeIjLj2EENS0_17counting_iteratorIjlEEPS9_SG_NS0_5tupleIJPjSI_NS0_16reverse_iteratorISI_EEEEENSH_IJSG_SG_SG_EEES9_SI_JZNS1_25segmented_radix_sort_implINS0_14default_configELb1EPKlPlSQ_SR_N2at6native12_GLOBAL__N_18offset_tEEE10hipError_tPvRmT1_PNSt15iterator_traitsISZ_E10value_typeET2_T3_PNS10_IS15_E10value_typeET4_jRbjT5_S1B_jjP12ihipStream_tbEUljE_ZNSN_ISO_Lb1ESQ_SR_SQ_SR_SV_EESW_SX_SY_SZ_S13_S14_S15_S18_S19_jS1A_jS1B_S1B_jjS1D_bEUljE0_EEESW_SX_SY_S15_S19_S1B_T6_T7_T9_mT8_S1D_bDpT10_ENKUlT_T0_E_clISt17integral_constantIbLb1EES1R_EEDaS1M_S1N_EUlS1M_E_NS1_11comp_targetILNS1_3genE4ELNS1_11target_archE910ELNS1_3gpuE8ELNS1_3repE0EEENS1_30default_config_static_selectorELNS0_4arch9wavefront6targetE0EEEvSZ_
	.p2align	8
	.type	_ZN7rocprim17ROCPRIM_400000_NS6detail17trampoline_kernelINS0_13select_configILj256ELj13ELNS0_17block_load_methodE3ELS4_3ELS4_3ELNS0_20block_scan_algorithmE0ELj4294967295EEENS1_25partition_config_selectorILNS1_17partition_subalgoE4EjNS0_10empty_typeEbEEZZNS1_14partition_implILS8_4ELb0ES6_15HIP_vector_typeIjLj2EENS0_17counting_iteratorIjlEEPS9_SG_NS0_5tupleIJPjSI_NS0_16reverse_iteratorISI_EEEEENSH_IJSG_SG_SG_EEES9_SI_JZNS1_25segmented_radix_sort_implINS0_14default_configELb1EPKlPlSQ_SR_N2at6native12_GLOBAL__N_18offset_tEEE10hipError_tPvRmT1_PNSt15iterator_traitsISZ_E10value_typeET2_T3_PNS10_IS15_E10value_typeET4_jRbjT5_S1B_jjP12ihipStream_tbEUljE_ZNSN_ISO_Lb1ESQ_SR_SQ_SR_SV_EESW_SX_SY_SZ_S13_S14_S15_S18_S19_jS1A_jS1B_S1B_jjS1D_bEUljE0_EEESW_SX_SY_S15_S19_S1B_T6_T7_T9_mT8_S1D_bDpT10_ENKUlT_T0_E_clISt17integral_constantIbLb1EES1R_EEDaS1M_S1N_EUlS1M_E_NS1_11comp_targetILNS1_3genE4ELNS1_11target_archE910ELNS1_3gpuE8ELNS1_3repE0EEENS1_30default_config_static_selectorELNS0_4arch9wavefront6targetE0EEEvSZ_,@function
_ZN7rocprim17ROCPRIM_400000_NS6detail17trampoline_kernelINS0_13select_configILj256ELj13ELNS0_17block_load_methodE3ELS4_3ELS4_3ELNS0_20block_scan_algorithmE0ELj4294967295EEENS1_25partition_config_selectorILNS1_17partition_subalgoE4EjNS0_10empty_typeEbEEZZNS1_14partition_implILS8_4ELb0ES6_15HIP_vector_typeIjLj2EENS0_17counting_iteratorIjlEEPS9_SG_NS0_5tupleIJPjSI_NS0_16reverse_iteratorISI_EEEEENSH_IJSG_SG_SG_EEES9_SI_JZNS1_25segmented_radix_sort_implINS0_14default_configELb1EPKlPlSQ_SR_N2at6native12_GLOBAL__N_18offset_tEEE10hipError_tPvRmT1_PNSt15iterator_traitsISZ_E10value_typeET2_T3_PNS10_IS15_E10value_typeET4_jRbjT5_S1B_jjP12ihipStream_tbEUljE_ZNSN_ISO_Lb1ESQ_SR_SQ_SR_SV_EESW_SX_SY_SZ_S13_S14_S15_S18_S19_jS1A_jS1B_S1B_jjS1D_bEUljE0_EEESW_SX_SY_S15_S19_S1B_T6_T7_T9_mT8_S1D_bDpT10_ENKUlT_T0_E_clISt17integral_constantIbLb1EES1R_EEDaS1M_S1N_EUlS1M_E_NS1_11comp_targetILNS1_3genE4ELNS1_11target_archE910ELNS1_3gpuE8ELNS1_3repE0EEENS1_30default_config_static_selectorELNS0_4arch9wavefront6targetE0EEEvSZ_: ; @_ZN7rocprim17ROCPRIM_400000_NS6detail17trampoline_kernelINS0_13select_configILj256ELj13ELNS0_17block_load_methodE3ELS4_3ELS4_3ELNS0_20block_scan_algorithmE0ELj4294967295EEENS1_25partition_config_selectorILNS1_17partition_subalgoE4EjNS0_10empty_typeEbEEZZNS1_14partition_implILS8_4ELb0ES6_15HIP_vector_typeIjLj2EENS0_17counting_iteratorIjlEEPS9_SG_NS0_5tupleIJPjSI_NS0_16reverse_iteratorISI_EEEEENSH_IJSG_SG_SG_EEES9_SI_JZNS1_25segmented_radix_sort_implINS0_14default_configELb1EPKlPlSQ_SR_N2at6native12_GLOBAL__N_18offset_tEEE10hipError_tPvRmT1_PNSt15iterator_traitsISZ_E10value_typeET2_T3_PNS10_IS15_E10value_typeET4_jRbjT5_S1B_jjP12ihipStream_tbEUljE_ZNSN_ISO_Lb1ESQ_SR_SQ_SR_SV_EESW_SX_SY_SZ_S13_S14_S15_S18_S19_jS1A_jS1B_S1B_jjS1D_bEUljE0_EEESW_SX_SY_S15_S19_S1B_T6_T7_T9_mT8_S1D_bDpT10_ENKUlT_T0_E_clISt17integral_constantIbLb1EES1R_EEDaS1M_S1N_EUlS1M_E_NS1_11comp_targetILNS1_3genE4ELNS1_11target_archE910ELNS1_3gpuE8ELNS1_3repE0EEENS1_30default_config_static_selectorELNS0_4arch9wavefront6targetE0EEEvSZ_
; %bb.0:
	.section	.rodata,"a",@progbits
	.p2align	6, 0x0
	.amdhsa_kernel _ZN7rocprim17ROCPRIM_400000_NS6detail17trampoline_kernelINS0_13select_configILj256ELj13ELNS0_17block_load_methodE3ELS4_3ELS4_3ELNS0_20block_scan_algorithmE0ELj4294967295EEENS1_25partition_config_selectorILNS1_17partition_subalgoE4EjNS0_10empty_typeEbEEZZNS1_14partition_implILS8_4ELb0ES6_15HIP_vector_typeIjLj2EENS0_17counting_iteratorIjlEEPS9_SG_NS0_5tupleIJPjSI_NS0_16reverse_iteratorISI_EEEEENSH_IJSG_SG_SG_EEES9_SI_JZNS1_25segmented_radix_sort_implINS0_14default_configELb1EPKlPlSQ_SR_N2at6native12_GLOBAL__N_18offset_tEEE10hipError_tPvRmT1_PNSt15iterator_traitsISZ_E10value_typeET2_T3_PNS10_IS15_E10value_typeET4_jRbjT5_S1B_jjP12ihipStream_tbEUljE_ZNSN_ISO_Lb1ESQ_SR_SQ_SR_SV_EESW_SX_SY_SZ_S13_S14_S15_S18_S19_jS1A_jS1B_S1B_jjS1D_bEUljE0_EEESW_SX_SY_S15_S19_S1B_T6_T7_T9_mT8_S1D_bDpT10_ENKUlT_T0_E_clISt17integral_constantIbLb1EES1R_EEDaS1M_S1N_EUlS1M_E_NS1_11comp_targetILNS1_3genE4ELNS1_11target_archE910ELNS1_3gpuE8ELNS1_3repE0EEENS1_30default_config_static_selectorELNS0_4arch9wavefront6targetE0EEEvSZ_
		.amdhsa_group_segment_fixed_size 0
		.amdhsa_private_segment_fixed_size 0
		.amdhsa_kernarg_size 184
		.amdhsa_user_sgpr_count 15
		.amdhsa_user_sgpr_dispatch_ptr 0
		.amdhsa_user_sgpr_queue_ptr 0
		.amdhsa_user_sgpr_kernarg_segment_ptr 1
		.amdhsa_user_sgpr_dispatch_id 0
		.amdhsa_user_sgpr_private_segment_size 0
		.amdhsa_wavefront_size32 1
		.amdhsa_uses_dynamic_stack 0
		.amdhsa_enable_private_segment 0
		.amdhsa_system_sgpr_workgroup_id_x 1
		.amdhsa_system_sgpr_workgroup_id_y 0
		.amdhsa_system_sgpr_workgroup_id_z 0
		.amdhsa_system_sgpr_workgroup_info 0
		.amdhsa_system_vgpr_workitem_id 0
		.amdhsa_next_free_vgpr 1
		.amdhsa_next_free_sgpr 1
		.amdhsa_reserve_vcc 0
		.amdhsa_float_round_mode_32 0
		.amdhsa_float_round_mode_16_64 0
		.amdhsa_float_denorm_mode_32 3
		.amdhsa_float_denorm_mode_16_64 3
		.amdhsa_dx10_clamp 1
		.amdhsa_ieee_mode 1
		.amdhsa_fp16_overflow 0
		.amdhsa_workgroup_processor_mode 1
		.amdhsa_memory_ordered 1
		.amdhsa_forward_progress 0
		.amdhsa_shared_vgpr_count 0
		.amdhsa_exception_fp_ieee_invalid_op 0
		.amdhsa_exception_fp_denorm_src 0
		.amdhsa_exception_fp_ieee_div_zero 0
		.amdhsa_exception_fp_ieee_overflow 0
		.amdhsa_exception_fp_ieee_underflow 0
		.amdhsa_exception_fp_ieee_inexact 0
		.amdhsa_exception_int_div_zero 0
	.end_amdhsa_kernel
	.section	.text._ZN7rocprim17ROCPRIM_400000_NS6detail17trampoline_kernelINS0_13select_configILj256ELj13ELNS0_17block_load_methodE3ELS4_3ELS4_3ELNS0_20block_scan_algorithmE0ELj4294967295EEENS1_25partition_config_selectorILNS1_17partition_subalgoE4EjNS0_10empty_typeEbEEZZNS1_14partition_implILS8_4ELb0ES6_15HIP_vector_typeIjLj2EENS0_17counting_iteratorIjlEEPS9_SG_NS0_5tupleIJPjSI_NS0_16reverse_iteratorISI_EEEEENSH_IJSG_SG_SG_EEES9_SI_JZNS1_25segmented_radix_sort_implINS0_14default_configELb1EPKlPlSQ_SR_N2at6native12_GLOBAL__N_18offset_tEEE10hipError_tPvRmT1_PNSt15iterator_traitsISZ_E10value_typeET2_T3_PNS10_IS15_E10value_typeET4_jRbjT5_S1B_jjP12ihipStream_tbEUljE_ZNSN_ISO_Lb1ESQ_SR_SQ_SR_SV_EESW_SX_SY_SZ_S13_S14_S15_S18_S19_jS1A_jS1B_S1B_jjS1D_bEUljE0_EEESW_SX_SY_S15_S19_S1B_T6_T7_T9_mT8_S1D_bDpT10_ENKUlT_T0_E_clISt17integral_constantIbLb1EES1R_EEDaS1M_S1N_EUlS1M_E_NS1_11comp_targetILNS1_3genE4ELNS1_11target_archE910ELNS1_3gpuE8ELNS1_3repE0EEENS1_30default_config_static_selectorELNS0_4arch9wavefront6targetE0EEEvSZ_,"axG",@progbits,_ZN7rocprim17ROCPRIM_400000_NS6detail17trampoline_kernelINS0_13select_configILj256ELj13ELNS0_17block_load_methodE3ELS4_3ELS4_3ELNS0_20block_scan_algorithmE0ELj4294967295EEENS1_25partition_config_selectorILNS1_17partition_subalgoE4EjNS0_10empty_typeEbEEZZNS1_14partition_implILS8_4ELb0ES6_15HIP_vector_typeIjLj2EENS0_17counting_iteratorIjlEEPS9_SG_NS0_5tupleIJPjSI_NS0_16reverse_iteratorISI_EEEEENSH_IJSG_SG_SG_EEES9_SI_JZNS1_25segmented_radix_sort_implINS0_14default_configELb1EPKlPlSQ_SR_N2at6native12_GLOBAL__N_18offset_tEEE10hipError_tPvRmT1_PNSt15iterator_traitsISZ_E10value_typeET2_T3_PNS10_IS15_E10value_typeET4_jRbjT5_S1B_jjP12ihipStream_tbEUljE_ZNSN_ISO_Lb1ESQ_SR_SQ_SR_SV_EESW_SX_SY_SZ_S13_S14_S15_S18_S19_jS1A_jS1B_S1B_jjS1D_bEUljE0_EEESW_SX_SY_S15_S19_S1B_T6_T7_T9_mT8_S1D_bDpT10_ENKUlT_T0_E_clISt17integral_constantIbLb1EES1R_EEDaS1M_S1N_EUlS1M_E_NS1_11comp_targetILNS1_3genE4ELNS1_11target_archE910ELNS1_3gpuE8ELNS1_3repE0EEENS1_30default_config_static_selectorELNS0_4arch9wavefront6targetE0EEEvSZ_,comdat
.Lfunc_end650:
	.size	_ZN7rocprim17ROCPRIM_400000_NS6detail17trampoline_kernelINS0_13select_configILj256ELj13ELNS0_17block_load_methodE3ELS4_3ELS4_3ELNS0_20block_scan_algorithmE0ELj4294967295EEENS1_25partition_config_selectorILNS1_17partition_subalgoE4EjNS0_10empty_typeEbEEZZNS1_14partition_implILS8_4ELb0ES6_15HIP_vector_typeIjLj2EENS0_17counting_iteratorIjlEEPS9_SG_NS0_5tupleIJPjSI_NS0_16reverse_iteratorISI_EEEEENSH_IJSG_SG_SG_EEES9_SI_JZNS1_25segmented_radix_sort_implINS0_14default_configELb1EPKlPlSQ_SR_N2at6native12_GLOBAL__N_18offset_tEEE10hipError_tPvRmT1_PNSt15iterator_traitsISZ_E10value_typeET2_T3_PNS10_IS15_E10value_typeET4_jRbjT5_S1B_jjP12ihipStream_tbEUljE_ZNSN_ISO_Lb1ESQ_SR_SQ_SR_SV_EESW_SX_SY_SZ_S13_S14_S15_S18_S19_jS1A_jS1B_S1B_jjS1D_bEUljE0_EEESW_SX_SY_S15_S19_S1B_T6_T7_T9_mT8_S1D_bDpT10_ENKUlT_T0_E_clISt17integral_constantIbLb1EES1R_EEDaS1M_S1N_EUlS1M_E_NS1_11comp_targetILNS1_3genE4ELNS1_11target_archE910ELNS1_3gpuE8ELNS1_3repE0EEENS1_30default_config_static_selectorELNS0_4arch9wavefront6targetE0EEEvSZ_, .Lfunc_end650-_ZN7rocprim17ROCPRIM_400000_NS6detail17trampoline_kernelINS0_13select_configILj256ELj13ELNS0_17block_load_methodE3ELS4_3ELS4_3ELNS0_20block_scan_algorithmE0ELj4294967295EEENS1_25partition_config_selectorILNS1_17partition_subalgoE4EjNS0_10empty_typeEbEEZZNS1_14partition_implILS8_4ELb0ES6_15HIP_vector_typeIjLj2EENS0_17counting_iteratorIjlEEPS9_SG_NS0_5tupleIJPjSI_NS0_16reverse_iteratorISI_EEEEENSH_IJSG_SG_SG_EEES9_SI_JZNS1_25segmented_radix_sort_implINS0_14default_configELb1EPKlPlSQ_SR_N2at6native12_GLOBAL__N_18offset_tEEE10hipError_tPvRmT1_PNSt15iterator_traitsISZ_E10value_typeET2_T3_PNS10_IS15_E10value_typeET4_jRbjT5_S1B_jjP12ihipStream_tbEUljE_ZNSN_ISO_Lb1ESQ_SR_SQ_SR_SV_EESW_SX_SY_SZ_S13_S14_S15_S18_S19_jS1A_jS1B_S1B_jjS1D_bEUljE0_EEESW_SX_SY_S15_S19_S1B_T6_T7_T9_mT8_S1D_bDpT10_ENKUlT_T0_E_clISt17integral_constantIbLb1EES1R_EEDaS1M_S1N_EUlS1M_E_NS1_11comp_targetILNS1_3genE4ELNS1_11target_archE910ELNS1_3gpuE8ELNS1_3repE0EEENS1_30default_config_static_selectorELNS0_4arch9wavefront6targetE0EEEvSZ_
                                        ; -- End function
	.section	.AMDGPU.csdata,"",@progbits
; Kernel info:
; codeLenInByte = 0
; NumSgprs: 0
; NumVgprs: 0
; ScratchSize: 0
; MemoryBound: 0
; FloatMode: 240
; IeeeMode: 1
; LDSByteSize: 0 bytes/workgroup (compile time only)
; SGPRBlocks: 0
; VGPRBlocks: 0
; NumSGPRsForWavesPerEU: 1
; NumVGPRsForWavesPerEU: 1
; Occupancy: 16
; WaveLimiterHint : 0
; COMPUTE_PGM_RSRC2:SCRATCH_EN: 0
; COMPUTE_PGM_RSRC2:USER_SGPR: 15
; COMPUTE_PGM_RSRC2:TRAP_HANDLER: 0
; COMPUTE_PGM_RSRC2:TGID_X_EN: 1
; COMPUTE_PGM_RSRC2:TGID_Y_EN: 0
; COMPUTE_PGM_RSRC2:TGID_Z_EN: 0
; COMPUTE_PGM_RSRC2:TIDIG_COMP_CNT: 0
	.section	.text._ZN7rocprim17ROCPRIM_400000_NS6detail17trampoline_kernelINS0_13select_configILj256ELj13ELNS0_17block_load_methodE3ELS4_3ELS4_3ELNS0_20block_scan_algorithmE0ELj4294967295EEENS1_25partition_config_selectorILNS1_17partition_subalgoE4EjNS0_10empty_typeEbEEZZNS1_14partition_implILS8_4ELb0ES6_15HIP_vector_typeIjLj2EENS0_17counting_iteratorIjlEEPS9_SG_NS0_5tupleIJPjSI_NS0_16reverse_iteratorISI_EEEEENSH_IJSG_SG_SG_EEES9_SI_JZNS1_25segmented_radix_sort_implINS0_14default_configELb1EPKlPlSQ_SR_N2at6native12_GLOBAL__N_18offset_tEEE10hipError_tPvRmT1_PNSt15iterator_traitsISZ_E10value_typeET2_T3_PNS10_IS15_E10value_typeET4_jRbjT5_S1B_jjP12ihipStream_tbEUljE_ZNSN_ISO_Lb1ESQ_SR_SQ_SR_SV_EESW_SX_SY_SZ_S13_S14_S15_S18_S19_jS1A_jS1B_S1B_jjS1D_bEUljE0_EEESW_SX_SY_S15_S19_S1B_T6_T7_T9_mT8_S1D_bDpT10_ENKUlT_T0_E_clISt17integral_constantIbLb1EES1R_EEDaS1M_S1N_EUlS1M_E_NS1_11comp_targetILNS1_3genE3ELNS1_11target_archE908ELNS1_3gpuE7ELNS1_3repE0EEENS1_30default_config_static_selectorELNS0_4arch9wavefront6targetE0EEEvSZ_,"axG",@progbits,_ZN7rocprim17ROCPRIM_400000_NS6detail17trampoline_kernelINS0_13select_configILj256ELj13ELNS0_17block_load_methodE3ELS4_3ELS4_3ELNS0_20block_scan_algorithmE0ELj4294967295EEENS1_25partition_config_selectorILNS1_17partition_subalgoE4EjNS0_10empty_typeEbEEZZNS1_14partition_implILS8_4ELb0ES6_15HIP_vector_typeIjLj2EENS0_17counting_iteratorIjlEEPS9_SG_NS0_5tupleIJPjSI_NS0_16reverse_iteratorISI_EEEEENSH_IJSG_SG_SG_EEES9_SI_JZNS1_25segmented_radix_sort_implINS0_14default_configELb1EPKlPlSQ_SR_N2at6native12_GLOBAL__N_18offset_tEEE10hipError_tPvRmT1_PNSt15iterator_traitsISZ_E10value_typeET2_T3_PNS10_IS15_E10value_typeET4_jRbjT5_S1B_jjP12ihipStream_tbEUljE_ZNSN_ISO_Lb1ESQ_SR_SQ_SR_SV_EESW_SX_SY_SZ_S13_S14_S15_S18_S19_jS1A_jS1B_S1B_jjS1D_bEUljE0_EEESW_SX_SY_S15_S19_S1B_T6_T7_T9_mT8_S1D_bDpT10_ENKUlT_T0_E_clISt17integral_constantIbLb1EES1R_EEDaS1M_S1N_EUlS1M_E_NS1_11comp_targetILNS1_3genE3ELNS1_11target_archE908ELNS1_3gpuE7ELNS1_3repE0EEENS1_30default_config_static_selectorELNS0_4arch9wavefront6targetE0EEEvSZ_,comdat
	.globl	_ZN7rocprim17ROCPRIM_400000_NS6detail17trampoline_kernelINS0_13select_configILj256ELj13ELNS0_17block_load_methodE3ELS4_3ELS4_3ELNS0_20block_scan_algorithmE0ELj4294967295EEENS1_25partition_config_selectorILNS1_17partition_subalgoE4EjNS0_10empty_typeEbEEZZNS1_14partition_implILS8_4ELb0ES6_15HIP_vector_typeIjLj2EENS0_17counting_iteratorIjlEEPS9_SG_NS0_5tupleIJPjSI_NS0_16reverse_iteratorISI_EEEEENSH_IJSG_SG_SG_EEES9_SI_JZNS1_25segmented_radix_sort_implINS0_14default_configELb1EPKlPlSQ_SR_N2at6native12_GLOBAL__N_18offset_tEEE10hipError_tPvRmT1_PNSt15iterator_traitsISZ_E10value_typeET2_T3_PNS10_IS15_E10value_typeET4_jRbjT5_S1B_jjP12ihipStream_tbEUljE_ZNSN_ISO_Lb1ESQ_SR_SQ_SR_SV_EESW_SX_SY_SZ_S13_S14_S15_S18_S19_jS1A_jS1B_S1B_jjS1D_bEUljE0_EEESW_SX_SY_S15_S19_S1B_T6_T7_T9_mT8_S1D_bDpT10_ENKUlT_T0_E_clISt17integral_constantIbLb1EES1R_EEDaS1M_S1N_EUlS1M_E_NS1_11comp_targetILNS1_3genE3ELNS1_11target_archE908ELNS1_3gpuE7ELNS1_3repE0EEENS1_30default_config_static_selectorELNS0_4arch9wavefront6targetE0EEEvSZ_ ; -- Begin function _ZN7rocprim17ROCPRIM_400000_NS6detail17trampoline_kernelINS0_13select_configILj256ELj13ELNS0_17block_load_methodE3ELS4_3ELS4_3ELNS0_20block_scan_algorithmE0ELj4294967295EEENS1_25partition_config_selectorILNS1_17partition_subalgoE4EjNS0_10empty_typeEbEEZZNS1_14partition_implILS8_4ELb0ES6_15HIP_vector_typeIjLj2EENS0_17counting_iteratorIjlEEPS9_SG_NS0_5tupleIJPjSI_NS0_16reverse_iteratorISI_EEEEENSH_IJSG_SG_SG_EEES9_SI_JZNS1_25segmented_radix_sort_implINS0_14default_configELb1EPKlPlSQ_SR_N2at6native12_GLOBAL__N_18offset_tEEE10hipError_tPvRmT1_PNSt15iterator_traitsISZ_E10value_typeET2_T3_PNS10_IS15_E10value_typeET4_jRbjT5_S1B_jjP12ihipStream_tbEUljE_ZNSN_ISO_Lb1ESQ_SR_SQ_SR_SV_EESW_SX_SY_SZ_S13_S14_S15_S18_S19_jS1A_jS1B_S1B_jjS1D_bEUljE0_EEESW_SX_SY_S15_S19_S1B_T6_T7_T9_mT8_S1D_bDpT10_ENKUlT_T0_E_clISt17integral_constantIbLb1EES1R_EEDaS1M_S1N_EUlS1M_E_NS1_11comp_targetILNS1_3genE3ELNS1_11target_archE908ELNS1_3gpuE7ELNS1_3repE0EEENS1_30default_config_static_selectorELNS0_4arch9wavefront6targetE0EEEvSZ_
	.p2align	8
	.type	_ZN7rocprim17ROCPRIM_400000_NS6detail17trampoline_kernelINS0_13select_configILj256ELj13ELNS0_17block_load_methodE3ELS4_3ELS4_3ELNS0_20block_scan_algorithmE0ELj4294967295EEENS1_25partition_config_selectorILNS1_17partition_subalgoE4EjNS0_10empty_typeEbEEZZNS1_14partition_implILS8_4ELb0ES6_15HIP_vector_typeIjLj2EENS0_17counting_iteratorIjlEEPS9_SG_NS0_5tupleIJPjSI_NS0_16reverse_iteratorISI_EEEEENSH_IJSG_SG_SG_EEES9_SI_JZNS1_25segmented_radix_sort_implINS0_14default_configELb1EPKlPlSQ_SR_N2at6native12_GLOBAL__N_18offset_tEEE10hipError_tPvRmT1_PNSt15iterator_traitsISZ_E10value_typeET2_T3_PNS10_IS15_E10value_typeET4_jRbjT5_S1B_jjP12ihipStream_tbEUljE_ZNSN_ISO_Lb1ESQ_SR_SQ_SR_SV_EESW_SX_SY_SZ_S13_S14_S15_S18_S19_jS1A_jS1B_S1B_jjS1D_bEUljE0_EEESW_SX_SY_S15_S19_S1B_T6_T7_T9_mT8_S1D_bDpT10_ENKUlT_T0_E_clISt17integral_constantIbLb1EES1R_EEDaS1M_S1N_EUlS1M_E_NS1_11comp_targetILNS1_3genE3ELNS1_11target_archE908ELNS1_3gpuE7ELNS1_3repE0EEENS1_30default_config_static_selectorELNS0_4arch9wavefront6targetE0EEEvSZ_,@function
_ZN7rocprim17ROCPRIM_400000_NS6detail17trampoline_kernelINS0_13select_configILj256ELj13ELNS0_17block_load_methodE3ELS4_3ELS4_3ELNS0_20block_scan_algorithmE0ELj4294967295EEENS1_25partition_config_selectorILNS1_17partition_subalgoE4EjNS0_10empty_typeEbEEZZNS1_14partition_implILS8_4ELb0ES6_15HIP_vector_typeIjLj2EENS0_17counting_iteratorIjlEEPS9_SG_NS0_5tupleIJPjSI_NS0_16reverse_iteratorISI_EEEEENSH_IJSG_SG_SG_EEES9_SI_JZNS1_25segmented_radix_sort_implINS0_14default_configELb1EPKlPlSQ_SR_N2at6native12_GLOBAL__N_18offset_tEEE10hipError_tPvRmT1_PNSt15iterator_traitsISZ_E10value_typeET2_T3_PNS10_IS15_E10value_typeET4_jRbjT5_S1B_jjP12ihipStream_tbEUljE_ZNSN_ISO_Lb1ESQ_SR_SQ_SR_SV_EESW_SX_SY_SZ_S13_S14_S15_S18_S19_jS1A_jS1B_S1B_jjS1D_bEUljE0_EEESW_SX_SY_S15_S19_S1B_T6_T7_T9_mT8_S1D_bDpT10_ENKUlT_T0_E_clISt17integral_constantIbLb1EES1R_EEDaS1M_S1N_EUlS1M_E_NS1_11comp_targetILNS1_3genE3ELNS1_11target_archE908ELNS1_3gpuE7ELNS1_3repE0EEENS1_30default_config_static_selectorELNS0_4arch9wavefront6targetE0EEEvSZ_: ; @_ZN7rocprim17ROCPRIM_400000_NS6detail17trampoline_kernelINS0_13select_configILj256ELj13ELNS0_17block_load_methodE3ELS4_3ELS4_3ELNS0_20block_scan_algorithmE0ELj4294967295EEENS1_25partition_config_selectorILNS1_17partition_subalgoE4EjNS0_10empty_typeEbEEZZNS1_14partition_implILS8_4ELb0ES6_15HIP_vector_typeIjLj2EENS0_17counting_iteratorIjlEEPS9_SG_NS0_5tupleIJPjSI_NS0_16reverse_iteratorISI_EEEEENSH_IJSG_SG_SG_EEES9_SI_JZNS1_25segmented_radix_sort_implINS0_14default_configELb1EPKlPlSQ_SR_N2at6native12_GLOBAL__N_18offset_tEEE10hipError_tPvRmT1_PNSt15iterator_traitsISZ_E10value_typeET2_T3_PNS10_IS15_E10value_typeET4_jRbjT5_S1B_jjP12ihipStream_tbEUljE_ZNSN_ISO_Lb1ESQ_SR_SQ_SR_SV_EESW_SX_SY_SZ_S13_S14_S15_S18_S19_jS1A_jS1B_S1B_jjS1D_bEUljE0_EEESW_SX_SY_S15_S19_S1B_T6_T7_T9_mT8_S1D_bDpT10_ENKUlT_T0_E_clISt17integral_constantIbLb1EES1R_EEDaS1M_S1N_EUlS1M_E_NS1_11comp_targetILNS1_3genE3ELNS1_11target_archE908ELNS1_3gpuE7ELNS1_3repE0EEENS1_30default_config_static_selectorELNS0_4arch9wavefront6targetE0EEEvSZ_
; %bb.0:
	.section	.rodata,"a",@progbits
	.p2align	6, 0x0
	.amdhsa_kernel _ZN7rocprim17ROCPRIM_400000_NS6detail17trampoline_kernelINS0_13select_configILj256ELj13ELNS0_17block_load_methodE3ELS4_3ELS4_3ELNS0_20block_scan_algorithmE0ELj4294967295EEENS1_25partition_config_selectorILNS1_17partition_subalgoE4EjNS0_10empty_typeEbEEZZNS1_14partition_implILS8_4ELb0ES6_15HIP_vector_typeIjLj2EENS0_17counting_iteratorIjlEEPS9_SG_NS0_5tupleIJPjSI_NS0_16reverse_iteratorISI_EEEEENSH_IJSG_SG_SG_EEES9_SI_JZNS1_25segmented_radix_sort_implINS0_14default_configELb1EPKlPlSQ_SR_N2at6native12_GLOBAL__N_18offset_tEEE10hipError_tPvRmT1_PNSt15iterator_traitsISZ_E10value_typeET2_T3_PNS10_IS15_E10value_typeET4_jRbjT5_S1B_jjP12ihipStream_tbEUljE_ZNSN_ISO_Lb1ESQ_SR_SQ_SR_SV_EESW_SX_SY_SZ_S13_S14_S15_S18_S19_jS1A_jS1B_S1B_jjS1D_bEUljE0_EEESW_SX_SY_S15_S19_S1B_T6_T7_T9_mT8_S1D_bDpT10_ENKUlT_T0_E_clISt17integral_constantIbLb1EES1R_EEDaS1M_S1N_EUlS1M_E_NS1_11comp_targetILNS1_3genE3ELNS1_11target_archE908ELNS1_3gpuE7ELNS1_3repE0EEENS1_30default_config_static_selectorELNS0_4arch9wavefront6targetE0EEEvSZ_
		.amdhsa_group_segment_fixed_size 0
		.amdhsa_private_segment_fixed_size 0
		.amdhsa_kernarg_size 184
		.amdhsa_user_sgpr_count 15
		.amdhsa_user_sgpr_dispatch_ptr 0
		.amdhsa_user_sgpr_queue_ptr 0
		.amdhsa_user_sgpr_kernarg_segment_ptr 1
		.amdhsa_user_sgpr_dispatch_id 0
		.amdhsa_user_sgpr_private_segment_size 0
		.amdhsa_wavefront_size32 1
		.amdhsa_uses_dynamic_stack 0
		.amdhsa_enable_private_segment 0
		.amdhsa_system_sgpr_workgroup_id_x 1
		.amdhsa_system_sgpr_workgroup_id_y 0
		.amdhsa_system_sgpr_workgroup_id_z 0
		.amdhsa_system_sgpr_workgroup_info 0
		.amdhsa_system_vgpr_workitem_id 0
		.amdhsa_next_free_vgpr 1
		.amdhsa_next_free_sgpr 1
		.amdhsa_reserve_vcc 0
		.amdhsa_float_round_mode_32 0
		.amdhsa_float_round_mode_16_64 0
		.amdhsa_float_denorm_mode_32 3
		.amdhsa_float_denorm_mode_16_64 3
		.amdhsa_dx10_clamp 1
		.amdhsa_ieee_mode 1
		.amdhsa_fp16_overflow 0
		.amdhsa_workgroup_processor_mode 1
		.amdhsa_memory_ordered 1
		.amdhsa_forward_progress 0
		.amdhsa_shared_vgpr_count 0
		.amdhsa_exception_fp_ieee_invalid_op 0
		.amdhsa_exception_fp_denorm_src 0
		.amdhsa_exception_fp_ieee_div_zero 0
		.amdhsa_exception_fp_ieee_overflow 0
		.amdhsa_exception_fp_ieee_underflow 0
		.amdhsa_exception_fp_ieee_inexact 0
		.amdhsa_exception_int_div_zero 0
	.end_amdhsa_kernel
	.section	.text._ZN7rocprim17ROCPRIM_400000_NS6detail17trampoline_kernelINS0_13select_configILj256ELj13ELNS0_17block_load_methodE3ELS4_3ELS4_3ELNS0_20block_scan_algorithmE0ELj4294967295EEENS1_25partition_config_selectorILNS1_17partition_subalgoE4EjNS0_10empty_typeEbEEZZNS1_14partition_implILS8_4ELb0ES6_15HIP_vector_typeIjLj2EENS0_17counting_iteratorIjlEEPS9_SG_NS0_5tupleIJPjSI_NS0_16reverse_iteratorISI_EEEEENSH_IJSG_SG_SG_EEES9_SI_JZNS1_25segmented_radix_sort_implINS0_14default_configELb1EPKlPlSQ_SR_N2at6native12_GLOBAL__N_18offset_tEEE10hipError_tPvRmT1_PNSt15iterator_traitsISZ_E10value_typeET2_T3_PNS10_IS15_E10value_typeET4_jRbjT5_S1B_jjP12ihipStream_tbEUljE_ZNSN_ISO_Lb1ESQ_SR_SQ_SR_SV_EESW_SX_SY_SZ_S13_S14_S15_S18_S19_jS1A_jS1B_S1B_jjS1D_bEUljE0_EEESW_SX_SY_S15_S19_S1B_T6_T7_T9_mT8_S1D_bDpT10_ENKUlT_T0_E_clISt17integral_constantIbLb1EES1R_EEDaS1M_S1N_EUlS1M_E_NS1_11comp_targetILNS1_3genE3ELNS1_11target_archE908ELNS1_3gpuE7ELNS1_3repE0EEENS1_30default_config_static_selectorELNS0_4arch9wavefront6targetE0EEEvSZ_,"axG",@progbits,_ZN7rocprim17ROCPRIM_400000_NS6detail17trampoline_kernelINS0_13select_configILj256ELj13ELNS0_17block_load_methodE3ELS4_3ELS4_3ELNS0_20block_scan_algorithmE0ELj4294967295EEENS1_25partition_config_selectorILNS1_17partition_subalgoE4EjNS0_10empty_typeEbEEZZNS1_14partition_implILS8_4ELb0ES6_15HIP_vector_typeIjLj2EENS0_17counting_iteratorIjlEEPS9_SG_NS0_5tupleIJPjSI_NS0_16reverse_iteratorISI_EEEEENSH_IJSG_SG_SG_EEES9_SI_JZNS1_25segmented_radix_sort_implINS0_14default_configELb1EPKlPlSQ_SR_N2at6native12_GLOBAL__N_18offset_tEEE10hipError_tPvRmT1_PNSt15iterator_traitsISZ_E10value_typeET2_T3_PNS10_IS15_E10value_typeET4_jRbjT5_S1B_jjP12ihipStream_tbEUljE_ZNSN_ISO_Lb1ESQ_SR_SQ_SR_SV_EESW_SX_SY_SZ_S13_S14_S15_S18_S19_jS1A_jS1B_S1B_jjS1D_bEUljE0_EEESW_SX_SY_S15_S19_S1B_T6_T7_T9_mT8_S1D_bDpT10_ENKUlT_T0_E_clISt17integral_constantIbLb1EES1R_EEDaS1M_S1N_EUlS1M_E_NS1_11comp_targetILNS1_3genE3ELNS1_11target_archE908ELNS1_3gpuE7ELNS1_3repE0EEENS1_30default_config_static_selectorELNS0_4arch9wavefront6targetE0EEEvSZ_,comdat
.Lfunc_end651:
	.size	_ZN7rocprim17ROCPRIM_400000_NS6detail17trampoline_kernelINS0_13select_configILj256ELj13ELNS0_17block_load_methodE3ELS4_3ELS4_3ELNS0_20block_scan_algorithmE0ELj4294967295EEENS1_25partition_config_selectorILNS1_17partition_subalgoE4EjNS0_10empty_typeEbEEZZNS1_14partition_implILS8_4ELb0ES6_15HIP_vector_typeIjLj2EENS0_17counting_iteratorIjlEEPS9_SG_NS0_5tupleIJPjSI_NS0_16reverse_iteratorISI_EEEEENSH_IJSG_SG_SG_EEES9_SI_JZNS1_25segmented_radix_sort_implINS0_14default_configELb1EPKlPlSQ_SR_N2at6native12_GLOBAL__N_18offset_tEEE10hipError_tPvRmT1_PNSt15iterator_traitsISZ_E10value_typeET2_T3_PNS10_IS15_E10value_typeET4_jRbjT5_S1B_jjP12ihipStream_tbEUljE_ZNSN_ISO_Lb1ESQ_SR_SQ_SR_SV_EESW_SX_SY_SZ_S13_S14_S15_S18_S19_jS1A_jS1B_S1B_jjS1D_bEUljE0_EEESW_SX_SY_S15_S19_S1B_T6_T7_T9_mT8_S1D_bDpT10_ENKUlT_T0_E_clISt17integral_constantIbLb1EES1R_EEDaS1M_S1N_EUlS1M_E_NS1_11comp_targetILNS1_3genE3ELNS1_11target_archE908ELNS1_3gpuE7ELNS1_3repE0EEENS1_30default_config_static_selectorELNS0_4arch9wavefront6targetE0EEEvSZ_, .Lfunc_end651-_ZN7rocprim17ROCPRIM_400000_NS6detail17trampoline_kernelINS0_13select_configILj256ELj13ELNS0_17block_load_methodE3ELS4_3ELS4_3ELNS0_20block_scan_algorithmE0ELj4294967295EEENS1_25partition_config_selectorILNS1_17partition_subalgoE4EjNS0_10empty_typeEbEEZZNS1_14partition_implILS8_4ELb0ES6_15HIP_vector_typeIjLj2EENS0_17counting_iteratorIjlEEPS9_SG_NS0_5tupleIJPjSI_NS0_16reverse_iteratorISI_EEEEENSH_IJSG_SG_SG_EEES9_SI_JZNS1_25segmented_radix_sort_implINS0_14default_configELb1EPKlPlSQ_SR_N2at6native12_GLOBAL__N_18offset_tEEE10hipError_tPvRmT1_PNSt15iterator_traitsISZ_E10value_typeET2_T3_PNS10_IS15_E10value_typeET4_jRbjT5_S1B_jjP12ihipStream_tbEUljE_ZNSN_ISO_Lb1ESQ_SR_SQ_SR_SV_EESW_SX_SY_SZ_S13_S14_S15_S18_S19_jS1A_jS1B_S1B_jjS1D_bEUljE0_EEESW_SX_SY_S15_S19_S1B_T6_T7_T9_mT8_S1D_bDpT10_ENKUlT_T0_E_clISt17integral_constantIbLb1EES1R_EEDaS1M_S1N_EUlS1M_E_NS1_11comp_targetILNS1_3genE3ELNS1_11target_archE908ELNS1_3gpuE7ELNS1_3repE0EEENS1_30default_config_static_selectorELNS0_4arch9wavefront6targetE0EEEvSZ_
                                        ; -- End function
	.section	.AMDGPU.csdata,"",@progbits
; Kernel info:
; codeLenInByte = 0
; NumSgprs: 0
; NumVgprs: 0
; ScratchSize: 0
; MemoryBound: 0
; FloatMode: 240
; IeeeMode: 1
; LDSByteSize: 0 bytes/workgroup (compile time only)
; SGPRBlocks: 0
; VGPRBlocks: 0
; NumSGPRsForWavesPerEU: 1
; NumVGPRsForWavesPerEU: 1
; Occupancy: 16
; WaveLimiterHint : 0
; COMPUTE_PGM_RSRC2:SCRATCH_EN: 0
; COMPUTE_PGM_RSRC2:USER_SGPR: 15
; COMPUTE_PGM_RSRC2:TRAP_HANDLER: 0
; COMPUTE_PGM_RSRC2:TGID_X_EN: 1
; COMPUTE_PGM_RSRC2:TGID_Y_EN: 0
; COMPUTE_PGM_RSRC2:TGID_Z_EN: 0
; COMPUTE_PGM_RSRC2:TIDIG_COMP_CNT: 0
	.section	.text._ZN7rocprim17ROCPRIM_400000_NS6detail17trampoline_kernelINS0_13select_configILj256ELj13ELNS0_17block_load_methodE3ELS4_3ELS4_3ELNS0_20block_scan_algorithmE0ELj4294967295EEENS1_25partition_config_selectorILNS1_17partition_subalgoE4EjNS0_10empty_typeEbEEZZNS1_14partition_implILS8_4ELb0ES6_15HIP_vector_typeIjLj2EENS0_17counting_iteratorIjlEEPS9_SG_NS0_5tupleIJPjSI_NS0_16reverse_iteratorISI_EEEEENSH_IJSG_SG_SG_EEES9_SI_JZNS1_25segmented_radix_sort_implINS0_14default_configELb1EPKlPlSQ_SR_N2at6native12_GLOBAL__N_18offset_tEEE10hipError_tPvRmT1_PNSt15iterator_traitsISZ_E10value_typeET2_T3_PNS10_IS15_E10value_typeET4_jRbjT5_S1B_jjP12ihipStream_tbEUljE_ZNSN_ISO_Lb1ESQ_SR_SQ_SR_SV_EESW_SX_SY_SZ_S13_S14_S15_S18_S19_jS1A_jS1B_S1B_jjS1D_bEUljE0_EEESW_SX_SY_S15_S19_S1B_T6_T7_T9_mT8_S1D_bDpT10_ENKUlT_T0_E_clISt17integral_constantIbLb1EES1R_EEDaS1M_S1N_EUlS1M_E_NS1_11comp_targetILNS1_3genE2ELNS1_11target_archE906ELNS1_3gpuE6ELNS1_3repE0EEENS1_30default_config_static_selectorELNS0_4arch9wavefront6targetE0EEEvSZ_,"axG",@progbits,_ZN7rocprim17ROCPRIM_400000_NS6detail17trampoline_kernelINS0_13select_configILj256ELj13ELNS0_17block_load_methodE3ELS4_3ELS4_3ELNS0_20block_scan_algorithmE0ELj4294967295EEENS1_25partition_config_selectorILNS1_17partition_subalgoE4EjNS0_10empty_typeEbEEZZNS1_14partition_implILS8_4ELb0ES6_15HIP_vector_typeIjLj2EENS0_17counting_iteratorIjlEEPS9_SG_NS0_5tupleIJPjSI_NS0_16reverse_iteratorISI_EEEEENSH_IJSG_SG_SG_EEES9_SI_JZNS1_25segmented_radix_sort_implINS0_14default_configELb1EPKlPlSQ_SR_N2at6native12_GLOBAL__N_18offset_tEEE10hipError_tPvRmT1_PNSt15iterator_traitsISZ_E10value_typeET2_T3_PNS10_IS15_E10value_typeET4_jRbjT5_S1B_jjP12ihipStream_tbEUljE_ZNSN_ISO_Lb1ESQ_SR_SQ_SR_SV_EESW_SX_SY_SZ_S13_S14_S15_S18_S19_jS1A_jS1B_S1B_jjS1D_bEUljE0_EEESW_SX_SY_S15_S19_S1B_T6_T7_T9_mT8_S1D_bDpT10_ENKUlT_T0_E_clISt17integral_constantIbLb1EES1R_EEDaS1M_S1N_EUlS1M_E_NS1_11comp_targetILNS1_3genE2ELNS1_11target_archE906ELNS1_3gpuE6ELNS1_3repE0EEENS1_30default_config_static_selectorELNS0_4arch9wavefront6targetE0EEEvSZ_,comdat
	.globl	_ZN7rocprim17ROCPRIM_400000_NS6detail17trampoline_kernelINS0_13select_configILj256ELj13ELNS0_17block_load_methodE3ELS4_3ELS4_3ELNS0_20block_scan_algorithmE0ELj4294967295EEENS1_25partition_config_selectorILNS1_17partition_subalgoE4EjNS0_10empty_typeEbEEZZNS1_14partition_implILS8_4ELb0ES6_15HIP_vector_typeIjLj2EENS0_17counting_iteratorIjlEEPS9_SG_NS0_5tupleIJPjSI_NS0_16reverse_iteratorISI_EEEEENSH_IJSG_SG_SG_EEES9_SI_JZNS1_25segmented_radix_sort_implINS0_14default_configELb1EPKlPlSQ_SR_N2at6native12_GLOBAL__N_18offset_tEEE10hipError_tPvRmT1_PNSt15iterator_traitsISZ_E10value_typeET2_T3_PNS10_IS15_E10value_typeET4_jRbjT5_S1B_jjP12ihipStream_tbEUljE_ZNSN_ISO_Lb1ESQ_SR_SQ_SR_SV_EESW_SX_SY_SZ_S13_S14_S15_S18_S19_jS1A_jS1B_S1B_jjS1D_bEUljE0_EEESW_SX_SY_S15_S19_S1B_T6_T7_T9_mT8_S1D_bDpT10_ENKUlT_T0_E_clISt17integral_constantIbLb1EES1R_EEDaS1M_S1N_EUlS1M_E_NS1_11comp_targetILNS1_3genE2ELNS1_11target_archE906ELNS1_3gpuE6ELNS1_3repE0EEENS1_30default_config_static_selectorELNS0_4arch9wavefront6targetE0EEEvSZ_ ; -- Begin function _ZN7rocprim17ROCPRIM_400000_NS6detail17trampoline_kernelINS0_13select_configILj256ELj13ELNS0_17block_load_methodE3ELS4_3ELS4_3ELNS0_20block_scan_algorithmE0ELj4294967295EEENS1_25partition_config_selectorILNS1_17partition_subalgoE4EjNS0_10empty_typeEbEEZZNS1_14partition_implILS8_4ELb0ES6_15HIP_vector_typeIjLj2EENS0_17counting_iteratorIjlEEPS9_SG_NS0_5tupleIJPjSI_NS0_16reverse_iteratorISI_EEEEENSH_IJSG_SG_SG_EEES9_SI_JZNS1_25segmented_radix_sort_implINS0_14default_configELb1EPKlPlSQ_SR_N2at6native12_GLOBAL__N_18offset_tEEE10hipError_tPvRmT1_PNSt15iterator_traitsISZ_E10value_typeET2_T3_PNS10_IS15_E10value_typeET4_jRbjT5_S1B_jjP12ihipStream_tbEUljE_ZNSN_ISO_Lb1ESQ_SR_SQ_SR_SV_EESW_SX_SY_SZ_S13_S14_S15_S18_S19_jS1A_jS1B_S1B_jjS1D_bEUljE0_EEESW_SX_SY_S15_S19_S1B_T6_T7_T9_mT8_S1D_bDpT10_ENKUlT_T0_E_clISt17integral_constantIbLb1EES1R_EEDaS1M_S1N_EUlS1M_E_NS1_11comp_targetILNS1_3genE2ELNS1_11target_archE906ELNS1_3gpuE6ELNS1_3repE0EEENS1_30default_config_static_selectorELNS0_4arch9wavefront6targetE0EEEvSZ_
	.p2align	8
	.type	_ZN7rocprim17ROCPRIM_400000_NS6detail17trampoline_kernelINS0_13select_configILj256ELj13ELNS0_17block_load_methodE3ELS4_3ELS4_3ELNS0_20block_scan_algorithmE0ELj4294967295EEENS1_25partition_config_selectorILNS1_17partition_subalgoE4EjNS0_10empty_typeEbEEZZNS1_14partition_implILS8_4ELb0ES6_15HIP_vector_typeIjLj2EENS0_17counting_iteratorIjlEEPS9_SG_NS0_5tupleIJPjSI_NS0_16reverse_iteratorISI_EEEEENSH_IJSG_SG_SG_EEES9_SI_JZNS1_25segmented_radix_sort_implINS0_14default_configELb1EPKlPlSQ_SR_N2at6native12_GLOBAL__N_18offset_tEEE10hipError_tPvRmT1_PNSt15iterator_traitsISZ_E10value_typeET2_T3_PNS10_IS15_E10value_typeET4_jRbjT5_S1B_jjP12ihipStream_tbEUljE_ZNSN_ISO_Lb1ESQ_SR_SQ_SR_SV_EESW_SX_SY_SZ_S13_S14_S15_S18_S19_jS1A_jS1B_S1B_jjS1D_bEUljE0_EEESW_SX_SY_S15_S19_S1B_T6_T7_T9_mT8_S1D_bDpT10_ENKUlT_T0_E_clISt17integral_constantIbLb1EES1R_EEDaS1M_S1N_EUlS1M_E_NS1_11comp_targetILNS1_3genE2ELNS1_11target_archE906ELNS1_3gpuE6ELNS1_3repE0EEENS1_30default_config_static_selectorELNS0_4arch9wavefront6targetE0EEEvSZ_,@function
_ZN7rocprim17ROCPRIM_400000_NS6detail17trampoline_kernelINS0_13select_configILj256ELj13ELNS0_17block_load_methodE3ELS4_3ELS4_3ELNS0_20block_scan_algorithmE0ELj4294967295EEENS1_25partition_config_selectorILNS1_17partition_subalgoE4EjNS0_10empty_typeEbEEZZNS1_14partition_implILS8_4ELb0ES6_15HIP_vector_typeIjLj2EENS0_17counting_iteratorIjlEEPS9_SG_NS0_5tupleIJPjSI_NS0_16reverse_iteratorISI_EEEEENSH_IJSG_SG_SG_EEES9_SI_JZNS1_25segmented_radix_sort_implINS0_14default_configELb1EPKlPlSQ_SR_N2at6native12_GLOBAL__N_18offset_tEEE10hipError_tPvRmT1_PNSt15iterator_traitsISZ_E10value_typeET2_T3_PNS10_IS15_E10value_typeET4_jRbjT5_S1B_jjP12ihipStream_tbEUljE_ZNSN_ISO_Lb1ESQ_SR_SQ_SR_SV_EESW_SX_SY_SZ_S13_S14_S15_S18_S19_jS1A_jS1B_S1B_jjS1D_bEUljE0_EEESW_SX_SY_S15_S19_S1B_T6_T7_T9_mT8_S1D_bDpT10_ENKUlT_T0_E_clISt17integral_constantIbLb1EES1R_EEDaS1M_S1N_EUlS1M_E_NS1_11comp_targetILNS1_3genE2ELNS1_11target_archE906ELNS1_3gpuE6ELNS1_3repE0EEENS1_30default_config_static_selectorELNS0_4arch9wavefront6targetE0EEEvSZ_: ; @_ZN7rocprim17ROCPRIM_400000_NS6detail17trampoline_kernelINS0_13select_configILj256ELj13ELNS0_17block_load_methodE3ELS4_3ELS4_3ELNS0_20block_scan_algorithmE0ELj4294967295EEENS1_25partition_config_selectorILNS1_17partition_subalgoE4EjNS0_10empty_typeEbEEZZNS1_14partition_implILS8_4ELb0ES6_15HIP_vector_typeIjLj2EENS0_17counting_iteratorIjlEEPS9_SG_NS0_5tupleIJPjSI_NS0_16reverse_iteratorISI_EEEEENSH_IJSG_SG_SG_EEES9_SI_JZNS1_25segmented_radix_sort_implINS0_14default_configELb1EPKlPlSQ_SR_N2at6native12_GLOBAL__N_18offset_tEEE10hipError_tPvRmT1_PNSt15iterator_traitsISZ_E10value_typeET2_T3_PNS10_IS15_E10value_typeET4_jRbjT5_S1B_jjP12ihipStream_tbEUljE_ZNSN_ISO_Lb1ESQ_SR_SQ_SR_SV_EESW_SX_SY_SZ_S13_S14_S15_S18_S19_jS1A_jS1B_S1B_jjS1D_bEUljE0_EEESW_SX_SY_S15_S19_S1B_T6_T7_T9_mT8_S1D_bDpT10_ENKUlT_T0_E_clISt17integral_constantIbLb1EES1R_EEDaS1M_S1N_EUlS1M_E_NS1_11comp_targetILNS1_3genE2ELNS1_11target_archE906ELNS1_3gpuE6ELNS1_3repE0EEENS1_30default_config_static_selectorELNS0_4arch9wavefront6targetE0EEEvSZ_
; %bb.0:
	.section	.rodata,"a",@progbits
	.p2align	6, 0x0
	.amdhsa_kernel _ZN7rocprim17ROCPRIM_400000_NS6detail17trampoline_kernelINS0_13select_configILj256ELj13ELNS0_17block_load_methodE3ELS4_3ELS4_3ELNS0_20block_scan_algorithmE0ELj4294967295EEENS1_25partition_config_selectorILNS1_17partition_subalgoE4EjNS0_10empty_typeEbEEZZNS1_14partition_implILS8_4ELb0ES6_15HIP_vector_typeIjLj2EENS0_17counting_iteratorIjlEEPS9_SG_NS0_5tupleIJPjSI_NS0_16reverse_iteratorISI_EEEEENSH_IJSG_SG_SG_EEES9_SI_JZNS1_25segmented_radix_sort_implINS0_14default_configELb1EPKlPlSQ_SR_N2at6native12_GLOBAL__N_18offset_tEEE10hipError_tPvRmT1_PNSt15iterator_traitsISZ_E10value_typeET2_T3_PNS10_IS15_E10value_typeET4_jRbjT5_S1B_jjP12ihipStream_tbEUljE_ZNSN_ISO_Lb1ESQ_SR_SQ_SR_SV_EESW_SX_SY_SZ_S13_S14_S15_S18_S19_jS1A_jS1B_S1B_jjS1D_bEUljE0_EEESW_SX_SY_S15_S19_S1B_T6_T7_T9_mT8_S1D_bDpT10_ENKUlT_T0_E_clISt17integral_constantIbLb1EES1R_EEDaS1M_S1N_EUlS1M_E_NS1_11comp_targetILNS1_3genE2ELNS1_11target_archE906ELNS1_3gpuE6ELNS1_3repE0EEENS1_30default_config_static_selectorELNS0_4arch9wavefront6targetE0EEEvSZ_
		.amdhsa_group_segment_fixed_size 0
		.amdhsa_private_segment_fixed_size 0
		.amdhsa_kernarg_size 184
		.amdhsa_user_sgpr_count 15
		.amdhsa_user_sgpr_dispatch_ptr 0
		.amdhsa_user_sgpr_queue_ptr 0
		.amdhsa_user_sgpr_kernarg_segment_ptr 1
		.amdhsa_user_sgpr_dispatch_id 0
		.amdhsa_user_sgpr_private_segment_size 0
		.amdhsa_wavefront_size32 1
		.amdhsa_uses_dynamic_stack 0
		.amdhsa_enable_private_segment 0
		.amdhsa_system_sgpr_workgroup_id_x 1
		.amdhsa_system_sgpr_workgroup_id_y 0
		.amdhsa_system_sgpr_workgroup_id_z 0
		.amdhsa_system_sgpr_workgroup_info 0
		.amdhsa_system_vgpr_workitem_id 0
		.amdhsa_next_free_vgpr 1
		.amdhsa_next_free_sgpr 1
		.amdhsa_reserve_vcc 0
		.amdhsa_float_round_mode_32 0
		.amdhsa_float_round_mode_16_64 0
		.amdhsa_float_denorm_mode_32 3
		.amdhsa_float_denorm_mode_16_64 3
		.amdhsa_dx10_clamp 1
		.amdhsa_ieee_mode 1
		.amdhsa_fp16_overflow 0
		.amdhsa_workgroup_processor_mode 1
		.amdhsa_memory_ordered 1
		.amdhsa_forward_progress 0
		.amdhsa_shared_vgpr_count 0
		.amdhsa_exception_fp_ieee_invalid_op 0
		.amdhsa_exception_fp_denorm_src 0
		.amdhsa_exception_fp_ieee_div_zero 0
		.amdhsa_exception_fp_ieee_overflow 0
		.amdhsa_exception_fp_ieee_underflow 0
		.amdhsa_exception_fp_ieee_inexact 0
		.amdhsa_exception_int_div_zero 0
	.end_amdhsa_kernel
	.section	.text._ZN7rocprim17ROCPRIM_400000_NS6detail17trampoline_kernelINS0_13select_configILj256ELj13ELNS0_17block_load_methodE3ELS4_3ELS4_3ELNS0_20block_scan_algorithmE0ELj4294967295EEENS1_25partition_config_selectorILNS1_17partition_subalgoE4EjNS0_10empty_typeEbEEZZNS1_14partition_implILS8_4ELb0ES6_15HIP_vector_typeIjLj2EENS0_17counting_iteratorIjlEEPS9_SG_NS0_5tupleIJPjSI_NS0_16reverse_iteratorISI_EEEEENSH_IJSG_SG_SG_EEES9_SI_JZNS1_25segmented_radix_sort_implINS0_14default_configELb1EPKlPlSQ_SR_N2at6native12_GLOBAL__N_18offset_tEEE10hipError_tPvRmT1_PNSt15iterator_traitsISZ_E10value_typeET2_T3_PNS10_IS15_E10value_typeET4_jRbjT5_S1B_jjP12ihipStream_tbEUljE_ZNSN_ISO_Lb1ESQ_SR_SQ_SR_SV_EESW_SX_SY_SZ_S13_S14_S15_S18_S19_jS1A_jS1B_S1B_jjS1D_bEUljE0_EEESW_SX_SY_S15_S19_S1B_T6_T7_T9_mT8_S1D_bDpT10_ENKUlT_T0_E_clISt17integral_constantIbLb1EES1R_EEDaS1M_S1N_EUlS1M_E_NS1_11comp_targetILNS1_3genE2ELNS1_11target_archE906ELNS1_3gpuE6ELNS1_3repE0EEENS1_30default_config_static_selectorELNS0_4arch9wavefront6targetE0EEEvSZ_,"axG",@progbits,_ZN7rocprim17ROCPRIM_400000_NS6detail17trampoline_kernelINS0_13select_configILj256ELj13ELNS0_17block_load_methodE3ELS4_3ELS4_3ELNS0_20block_scan_algorithmE0ELj4294967295EEENS1_25partition_config_selectorILNS1_17partition_subalgoE4EjNS0_10empty_typeEbEEZZNS1_14partition_implILS8_4ELb0ES6_15HIP_vector_typeIjLj2EENS0_17counting_iteratorIjlEEPS9_SG_NS0_5tupleIJPjSI_NS0_16reverse_iteratorISI_EEEEENSH_IJSG_SG_SG_EEES9_SI_JZNS1_25segmented_radix_sort_implINS0_14default_configELb1EPKlPlSQ_SR_N2at6native12_GLOBAL__N_18offset_tEEE10hipError_tPvRmT1_PNSt15iterator_traitsISZ_E10value_typeET2_T3_PNS10_IS15_E10value_typeET4_jRbjT5_S1B_jjP12ihipStream_tbEUljE_ZNSN_ISO_Lb1ESQ_SR_SQ_SR_SV_EESW_SX_SY_SZ_S13_S14_S15_S18_S19_jS1A_jS1B_S1B_jjS1D_bEUljE0_EEESW_SX_SY_S15_S19_S1B_T6_T7_T9_mT8_S1D_bDpT10_ENKUlT_T0_E_clISt17integral_constantIbLb1EES1R_EEDaS1M_S1N_EUlS1M_E_NS1_11comp_targetILNS1_3genE2ELNS1_11target_archE906ELNS1_3gpuE6ELNS1_3repE0EEENS1_30default_config_static_selectorELNS0_4arch9wavefront6targetE0EEEvSZ_,comdat
.Lfunc_end652:
	.size	_ZN7rocprim17ROCPRIM_400000_NS6detail17trampoline_kernelINS0_13select_configILj256ELj13ELNS0_17block_load_methodE3ELS4_3ELS4_3ELNS0_20block_scan_algorithmE0ELj4294967295EEENS1_25partition_config_selectorILNS1_17partition_subalgoE4EjNS0_10empty_typeEbEEZZNS1_14partition_implILS8_4ELb0ES6_15HIP_vector_typeIjLj2EENS0_17counting_iteratorIjlEEPS9_SG_NS0_5tupleIJPjSI_NS0_16reverse_iteratorISI_EEEEENSH_IJSG_SG_SG_EEES9_SI_JZNS1_25segmented_radix_sort_implINS0_14default_configELb1EPKlPlSQ_SR_N2at6native12_GLOBAL__N_18offset_tEEE10hipError_tPvRmT1_PNSt15iterator_traitsISZ_E10value_typeET2_T3_PNS10_IS15_E10value_typeET4_jRbjT5_S1B_jjP12ihipStream_tbEUljE_ZNSN_ISO_Lb1ESQ_SR_SQ_SR_SV_EESW_SX_SY_SZ_S13_S14_S15_S18_S19_jS1A_jS1B_S1B_jjS1D_bEUljE0_EEESW_SX_SY_S15_S19_S1B_T6_T7_T9_mT8_S1D_bDpT10_ENKUlT_T0_E_clISt17integral_constantIbLb1EES1R_EEDaS1M_S1N_EUlS1M_E_NS1_11comp_targetILNS1_3genE2ELNS1_11target_archE906ELNS1_3gpuE6ELNS1_3repE0EEENS1_30default_config_static_selectorELNS0_4arch9wavefront6targetE0EEEvSZ_, .Lfunc_end652-_ZN7rocprim17ROCPRIM_400000_NS6detail17trampoline_kernelINS0_13select_configILj256ELj13ELNS0_17block_load_methodE3ELS4_3ELS4_3ELNS0_20block_scan_algorithmE0ELj4294967295EEENS1_25partition_config_selectorILNS1_17partition_subalgoE4EjNS0_10empty_typeEbEEZZNS1_14partition_implILS8_4ELb0ES6_15HIP_vector_typeIjLj2EENS0_17counting_iteratorIjlEEPS9_SG_NS0_5tupleIJPjSI_NS0_16reverse_iteratorISI_EEEEENSH_IJSG_SG_SG_EEES9_SI_JZNS1_25segmented_radix_sort_implINS0_14default_configELb1EPKlPlSQ_SR_N2at6native12_GLOBAL__N_18offset_tEEE10hipError_tPvRmT1_PNSt15iterator_traitsISZ_E10value_typeET2_T3_PNS10_IS15_E10value_typeET4_jRbjT5_S1B_jjP12ihipStream_tbEUljE_ZNSN_ISO_Lb1ESQ_SR_SQ_SR_SV_EESW_SX_SY_SZ_S13_S14_S15_S18_S19_jS1A_jS1B_S1B_jjS1D_bEUljE0_EEESW_SX_SY_S15_S19_S1B_T6_T7_T9_mT8_S1D_bDpT10_ENKUlT_T0_E_clISt17integral_constantIbLb1EES1R_EEDaS1M_S1N_EUlS1M_E_NS1_11comp_targetILNS1_3genE2ELNS1_11target_archE906ELNS1_3gpuE6ELNS1_3repE0EEENS1_30default_config_static_selectorELNS0_4arch9wavefront6targetE0EEEvSZ_
                                        ; -- End function
	.section	.AMDGPU.csdata,"",@progbits
; Kernel info:
; codeLenInByte = 0
; NumSgprs: 0
; NumVgprs: 0
; ScratchSize: 0
; MemoryBound: 0
; FloatMode: 240
; IeeeMode: 1
; LDSByteSize: 0 bytes/workgroup (compile time only)
; SGPRBlocks: 0
; VGPRBlocks: 0
; NumSGPRsForWavesPerEU: 1
; NumVGPRsForWavesPerEU: 1
; Occupancy: 16
; WaveLimiterHint : 0
; COMPUTE_PGM_RSRC2:SCRATCH_EN: 0
; COMPUTE_PGM_RSRC2:USER_SGPR: 15
; COMPUTE_PGM_RSRC2:TRAP_HANDLER: 0
; COMPUTE_PGM_RSRC2:TGID_X_EN: 1
; COMPUTE_PGM_RSRC2:TGID_Y_EN: 0
; COMPUTE_PGM_RSRC2:TGID_Z_EN: 0
; COMPUTE_PGM_RSRC2:TIDIG_COMP_CNT: 0
	.section	.text._ZN7rocprim17ROCPRIM_400000_NS6detail17trampoline_kernelINS0_13select_configILj256ELj13ELNS0_17block_load_methodE3ELS4_3ELS4_3ELNS0_20block_scan_algorithmE0ELj4294967295EEENS1_25partition_config_selectorILNS1_17partition_subalgoE4EjNS0_10empty_typeEbEEZZNS1_14partition_implILS8_4ELb0ES6_15HIP_vector_typeIjLj2EENS0_17counting_iteratorIjlEEPS9_SG_NS0_5tupleIJPjSI_NS0_16reverse_iteratorISI_EEEEENSH_IJSG_SG_SG_EEES9_SI_JZNS1_25segmented_radix_sort_implINS0_14default_configELb1EPKlPlSQ_SR_N2at6native12_GLOBAL__N_18offset_tEEE10hipError_tPvRmT1_PNSt15iterator_traitsISZ_E10value_typeET2_T3_PNS10_IS15_E10value_typeET4_jRbjT5_S1B_jjP12ihipStream_tbEUljE_ZNSN_ISO_Lb1ESQ_SR_SQ_SR_SV_EESW_SX_SY_SZ_S13_S14_S15_S18_S19_jS1A_jS1B_S1B_jjS1D_bEUljE0_EEESW_SX_SY_S15_S19_S1B_T6_T7_T9_mT8_S1D_bDpT10_ENKUlT_T0_E_clISt17integral_constantIbLb1EES1R_EEDaS1M_S1N_EUlS1M_E_NS1_11comp_targetILNS1_3genE10ELNS1_11target_archE1200ELNS1_3gpuE4ELNS1_3repE0EEENS1_30default_config_static_selectorELNS0_4arch9wavefront6targetE0EEEvSZ_,"axG",@progbits,_ZN7rocprim17ROCPRIM_400000_NS6detail17trampoline_kernelINS0_13select_configILj256ELj13ELNS0_17block_load_methodE3ELS4_3ELS4_3ELNS0_20block_scan_algorithmE0ELj4294967295EEENS1_25partition_config_selectorILNS1_17partition_subalgoE4EjNS0_10empty_typeEbEEZZNS1_14partition_implILS8_4ELb0ES6_15HIP_vector_typeIjLj2EENS0_17counting_iteratorIjlEEPS9_SG_NS0_5tupleIJPjSI_NS0_16reverse_iteratorISI_EEEEENSH_IJSG_SG_SG_EEES9_SI_JZNS1_25segmented_radix_sort_implINS0_14default_configELb1EPKlPlSQ_SR_N2at6native12_GLOBAL__N_18offset_tEEE10hipError_tPvRmT1_PNSt15iterator_traitsISZ_E10value_typeET2_T3_PNS10_IS15_E10value_typeET4_jRbjT5_S1B_jjP12ihipStream_tbEUljE_ZNSN_ISO_Lb1ESQ_SR_SQ_SR_SV_EESW_SX_SY_SZ_S13_S14_S15_S18_S19_jS1A_jS1B_S1B_jjS1D_bEUljE0_EEESW_SX_SY_S15_S19_S1B_T6_T7_T9_mT8_S1D_bDpT10_ENKUlT_T0_E_clISt17integral_constantIbLb1EES1R_EEDaS1M_S1N_EUlS1M_E_NS1_11comp_targetILNS1_3genE10ELNS1_11target_archE1200ELNS1_3gpuE4ELNS1_3repE0EEENS1_30default_config_static_selectorELNS0_4arch9wavefront6targetE0EEEvSZ_,comdat
	.globl	_ZN7rocprim17ROCPRIM_400000_NS6detail17trampoline_kernelINS0_13select_configILj256ELj13ELNS0_17block_load_methodE3ELS4_3ELS4_3ELNS0_20block_scan_algorithmE0ELj4294967295EEENS1_25partition_config_selectorILNS1_17partition_subalgoE4EjNS0_10empty_typeEbEEZZNS1_14partition_implILS8_4ELb0ES6_15HIP_vector_typeIjLj2EENS0_17counting_iteratorIjlEEPS9_SG_NS0_5tupleIJPjSI_NS0_16reverse_iteratorISI_EEEEENSH_IJSG_SG_SG_EEES9_SI_JZNS1_25segmented_radix_sort_implINS0_14default_configELb1EPKlPlSQ_SR_N2at6native12_GLOBAL__N_18offset_tEEE10hipError_tPvRmT1_PNSt15iterator_traitsISZ_E10value_typeET2_T3_PNS10_IS15_E10value_typeET4_jRbjT5_S1B_jjP12ihipStream_tbEUljE_ZNSN_ISO_Lb1ESQ_SR_SQ_SR_SV_EESW_SX_SY_SZ_S13_S14_S15_S18_S19_jS1A_jS1B_S1B_jjS1D_bEUljE0_EEESW_SX_SY_S15_S19_S1B_T6_T7_T9_mT8_S1D_bDpT10_ENKUlT_T0_E_clISt17integral_constantIbLb1EES1R_EEDaS1M_S1N_EUlS1M_E_NS1_11comp_targetILNS1_3genE10ELNS1_11target_archE1200ELNS1_3gpuE4ELNS1_3repE0EEENS1_30default_config_static_selectorELNS0_4arch9wavefront6targetE0EEEvSZ_ ; -- Begin function _ZN7rocprim17ROCPRIM_400000_NS6detail17trampoline_kernelINS0_13select_configILj256ELj13ELNS0_17block_load_methodE3ELS4_3ELS4_3ELNS0_20block_scan_algorithmE0ELj4294967295EEENS1_25partition_config_selectorILNS1_17partition_subalgoE4EjNS0_10empty_typeEbEEZZNS1_14partition_implILS8_4ELb0ES6_15HIP_vector_typeIjLj2EENS0_17counting_iteratorIjlEEPS9_SG_NS0_5tupleIJPjSI_NS0_16reverse_iteratorISI_EEEEENSH_IJSG_SG_SG_EEES9_SI_JZNS1_25segmented_radix_sort_implINS0_14default_configELb1EPKlPlSQ_SR_N2at6native12_GLOBAL__N_18offset_tEEE10hipError_tPvRmT1_PNSt15iterator_traitsISZ_E10value_typeET2_T3_PNS10_IS15_E10value_typeET4_jRbjT5_S1B_jjP12ihipStream_tbEUljE_ZNSN_ISO_Lb1ESQ_SR_SQ_SR_SV_EESW_SX_SY_SZ_S13_S14_S15_S18_S19_jS1A_jS1B_S1B_jjS1D_bEUljE0_EEESW_SX_SY_S15_S19_S1B_T6_T7_T9_mT8_S1D_bDpT10_ENKUlT_T0_E_clISt17integral_constantIbLb1EES1R_EEDaS1M_S1N_EUlS1M_E_NS1_11comp_targetILNS1_3genE10ELNS1_11target_archE1200ELNS1_3gpuE4ELNS1_3repE0EEENS1_30default_config_static_selectorELNS0_4arch9wavefront6targetE0EEEvSZ_
	.p2align	8
	.type	_ZN7rocprim17ROCPRIM_400000_NS6detail17trampoline_kernelINS0_13select_configILj256ELj13ELNS0_17block_load_methodE3ELS4_3ELS4_3ELNS0_20block_scan_algorithmE0ELj4294967295EEENS1_25partition_config_selectorILNS1_17partition_subalgoE4EjNS0_10empty_typeEbEEZZNS1_14partition_implILS8_4ELb0ES6_15HIP_vector_typeIjLj2EENS0_17counting_iteratorIjlEEPS9_SG_NS0_5tupleIJPjSI_NS0_16reverse_iteratorISI_EEEEENSH_IJSG_SG_SG_EEES9_SI_JZNS1_25segmented_radix_sort_implINS0_14default_configELb1EPKlPlSQ_SR_N2at6native12_GLOBAL__N_18offset_tEEE10hipError_tPvRmT1_PNSt15iterator_traitsISZ_E10value_typeET2_T3_PNS10_IS15_E10value_typeET4_jRbjT5_S1B_jjP12ihipStream_tbEUljE_ZNSN_ISO_Lb1ESQ_SR_SQ_SR_SV_EESW_SX_SY_SZ_S13_S14_S15_S18_S19_jS1A_jS1B_S1B_jjS1D_bEUljE0_EEESW_SX_SY_S15_S19_S1B_T6_T7_T9_mT8_S1D_bDpT10_ENKUlT_T0_E_clISt17integral_constantIbLb1EES1R_EEDaS1M_S1N_EUlS1M_E_NS1_11comp_targetILNS1_3genE10ELNS1_11target_archE1200ELNS1_3gpuE4ELNS1_3repE0EEENS1_30default_config_static_selectorELNS0_4arch9wavefront6targetE0EEEvSZ_,@function
_ZN7rocprim17ROCPRIM_400000_NS6detail17trampoline_kernelINS0_13select_configILj256ELj13ELNS0_17block_load_methodE3ELS4_3ELS4_3ELNS0_20block_scan_algorithmE0ELj4294967295EEENS1_25partition_config_selectorILNS1_17partition_subalgoE4EjNS0_10empty_typeEbEEZZNS1_14partition_implILS8_4ELb0ES6_15HIP_vector_typeIjLj2EENS0_17counting_iteratorIjlEEPS9_SG_NS0_5tupleIJPjSI_NS0_16reverse_iteratorISI_EEEEENSH_IJSG_SG_SG_EEES9_SI_JZNS1_25segmented_radix_sort_implINS0_14default_configELb1EPKlPlSQ_SR_N2at6native12_GLOBAL__N_18offset_tEEE10hipError_tPvRmT1_PNSt15iterator_traitsISZ_E10value_typeET2_T3_PNS10_IS15_E10value_typeET4_jRbjT5_S1B_jjP12ihipStream_tbEUljE_ZNSN_ISO_Lb1ESQ_SR_SQ_SR_SV_EESW_SX_SY_SZ_S13_S14_S15_S18_S19_jS1A_jS1B_S1B_jjS1D_bEUljE0_EEESW_SX_SY_S15_S19_S1B_T6_T7_T9_mT8_S1D_bDpT10_ENKUlT_T0_E_clISt17integral_constantIbLb1EES1R_EEDaS1M_S1N_EUlS1M_E_NS1_11comp_targetILNS1_3genE10ELNS1_11target_archE1200ELNS1_3gpuE4ELNS1_3repE0EEENS1_30default_config_static_selectorELNS0_4arch9wavefront6targetE0EEEvSZ_: ; @_ZN7rocprim17ROCPRIM_400000_NS6detail17trampoline_kernelINS0_13select_configILj256ELj13ELNS0_17block_load_methodE3ELS4_3ELS4_3ELNS0_20block_scan_algorithmE0ELj4294967295EEENS1_25partition_config_selectorILNS1_17partition_subalgoE4EjNS0_10empty_typeEbEEZZNS1_14partition_implILS8_4ELb0ES6_15HIP_vector_typeIjLj2EENS0_17counting_iteratorIjlEEPS9_SG_NS0_5tupleIJPjSI_NS0_16reverse_iteratorISI_EEEEENSH_IJSG_SG_SG_EEES9_SI_JZNS1_25segmented_radix_sort_implINS0_14default_configELb1EPKlPlSQ_SR_N2at6native12_GLOBAL__N_18offset_tEEE10hipError_tPvRmT1_PNSt15iterator_traitsISZ_E10value_typeET2_T3_PNS10_IS15_E10value_typeET4_jRbjT5_S1B_jjP12ihipStream_tbEUljE_ZNSN_ISO_Lb1ESQ_SR_SQ_SR_SV_EESW_SX_SY_SZ_S13_S14_S15_S18_S19_jS1A_jS1B_S1B_jjS1D_bEUljE0_EEESW_SX_SY_S15_S19_S1B_T6_T7_T9_mT8_S1D_bDpT10_ENKUlT_T0_E_clISt17integral_constantIbLb1EES1R_EEDaS1M_S1N_EUlS1M_E_NS1_11comp_targetILNS1_3genE10ELNS1_11target_archE1200ELNS1_3gpuE4ELNS1_3repE0EEENS1_30default_config_static_selectorELNS0_4arch9wavefront6targetE0EEEvSZ_
; %bb.0:
	.section	.rodata,"a",@progbits
	.p2align	6, 0x0
	.amdhsa_kernel _ZN7rocprim17ROCPRIM_400000_NS6detail17trampoline_kernelINS0_13select_configILj256ELj13ELNS0_17block_load_methodE3ELS4_3ELS4_3ELNS0_20block_scan_algorithmE0ELj4294967295EEENS1_25partition_config_selectorILNS1_17partition_subalgoE4EjNS0_10empty_typeEbEEZZNS1_14partition_implILS8_4ELb0ES6_15HIP_vector_typeIjLj2EENS0_17counting_iteratorIjlEEPS9_SG_NS0_5tupleIJPjSI_NS0_16reverse_iteratorISI_EEEEENSH_IJSG_SG_SG_EEES9_SI_JZNS1_25segmented_radix_sort_implINS0_14default_configELb1EPKlPlSQ_SR_N2at6native12_GLOBAL__N_18offset_tEEE10hipError_tPvRmT1_PNSt15iterator_traitsISZ_E10value_typeET2_T3_PNS10_IS15_E10value_typeET4_jRbjT5_S1B_jjP12ihipStream_tbEUljE_ZNSN_ISO_Lb1ESQ_SR_SQ_SR_SV_EESW_SX_SY_SZ_S13_S14_S15_S18_S19_jS1A_jS1B_S1B_jjS1D_bEUljE0_EEESW_SX_SY_S15_S19_S1B_T6_T7_T9_mT8_S1D_bDpT10_ENKUlT_T0_E_clISt17integral_constantIbLb1EES1R_EEDaS1M_S1N_EUlS1M_E_NS1_11comp_targetILNS1_3genE10ELNS1_11target_archE1200ELNS1_3gpuE4ELNS1_3repE0EEENS1_30default_config_static_selectorELNS0_4arch9wavefront6targetE0EEEvSZ_
		.amdhsa_group_segment_fixed_size 0
		.amdhsa_private_segment_fixed_size 0
		.amdhsa_kernarg_size 184
		.amdhsa_user_sgpr_count 15
		.amdhsa_user_sgpr_dispatch_ptr 0
		.amdhsa_user_sgpr_queue_ptr 0
		.amdhsa_user_sgpr_kernarg_segment_ptr 1
		.amdhsa_user_sgpr_dispatch_id 0
		.amdhsa_user_sgpr_private_segment_size 0
		.amdhsa_wavefront_size32 1
		.amdhsa_uses_dynamic_stack 0
		.amdhsa_enable_private_segment 0
		.amdhsa_system_sgpr_workgroup_id_x 1
		.amdhsa_system_sgpr_workgroup_id_y 0
		.amdhsa_system_sgpr_workgroup_id_z 0
		.amdhsa_system_sgpr_workgroup_info 0
		.amdhsa_system_vgpr_workitem_id 0
		.amdhsa_next_free_vgpr 1
		.amdhsa_next_free_sgpr 1
		.amdhsa_reserve_vcc 0
		.amdhsa_float_round_mode_32 0
		.amdhsa_float_round_mode_16_64 0
		.amdhsa_float_denorm_mode_32 3
		.amdhsa_float_denorm_mode_16_64 3
		.amdhsa_dx10_clamp 1
		.amdhsa_ieee_mode 1
		.amdhsa_fp16_overflow 0
		.amdhsa_workgroup_processor_mode 1
		.amdhsa_memory_ordered 1
		.amdhsa_forward_progress 0
		.amdhsa_shared_vgpr_count 0
		.amdhsa_exception_fp_ieee_invalid_op 0
		.amdhsa_exception_fp_denorm_src 0
		.amdhsa_exception_fp_ieee_div_zero 0
		.amdhsa_exception_fp_ieee_overflow 0
		.amdhsa_exception_fp_ieee_underflow 0
		.amdhsa_exception_fp_ieee_inexact 0
		.amdhsa_exception_int_div_zero 0
	.end_amdhsa_kernel
	.section	.text._ZN7rocprim17ROCPRIM_400000_NS6detail17trampoline_kernelINS0_13select_configILj256ELj13ELNS0_17block_load_methodE3ELS4_3ELS4_3ELNS0_20block_scan_algorithmE0ELj4294967295EEENS1_25partition_config_selectorILNS1_17partition_subalgoE4EjNS0_10empty_typeEbEEZZNS1_14partition_implILS8_4ELb0ES6_15HIP_vector_typeIjLj2EENS0_17counting_iteratorIjlEEPS9_SG_NS0_5tupleIJPjSI_NS0_16reverse_iteratorISI_EEEEENSH_IJSG_SG_SG_EEES9_SI_JZNS1_25segmented_radix_sort_implINS0_14default_configELb1EPKlPlSQ_SR_N2at6native12_GLOBAL__N_18offset_tEEE10hipError_tPvRmT1_PNSt15iterator_traitsISZ_E10value_typeET2_T3_PNS10_IS15_E10value_typeET4_jRbjT5_S1B_jjP12ihipStream_tbEUljE_ZNSN_ISO_Lb1ESQ_SR_SQ_SR_SV_EESW_SX_SY_SZ_S13_S14_S15_S18_S19_jS1A_jS1B_S1B_jjS1D_bEUljE0_EEESW_SX_SY_S15_S19_S1B_T6_T7_T9_mT8_S1D_bDpT10_ENKUlT_T0_E_clISt17integral_constantIbLb1EES1R_EEDaS1M_S1N_EUlS1M_E_NS1_11comp_targetILNS1_3genE10ELNS1_11target_archE1200ELNS1_3gpuE4ELNS1_3repE0EEENS1_30default_config_static_selectorELNS0_4arch9wavefront6targetE0EEEvSZ_,"axG",@progbits,_ZN7rocprim17ROCPRIM_400000_NS6detail17trampoline_kernelINS0_13select_configILj256ELj13ELNS0_17block_load_methodE3ELS4_3ELS4_3ELNS0_20block_scan_algorithmE0ELj4294967295EEENS1_25partition_config_selectorILNS1_17partition_subalgoE4EjNS0_10empty_typeEbEEZZNS1_14partition_implILS8_4ELb0ES6_15HIP_vector_typeIjLj2EENS0_17counting_iteratorIjlEEPS9_SG_NS0_5tupleIJPjSI_NS0_16reverse_iteratorISI_EEEEENSH_IJSG_SG_SG_EEES9_SI_JZNS1_25segmented_radix_sort_implINS0_14default_configELb1EPKlPlSQ_SR_N2at6native12_GLOBAL__N_18offset_tEEE10hipError_tPvRmT1_PNSt15iterator_traitsISZ_E10value_typeET2_T3_PNS10_IS15_E10value_typeET4_jRbjT5_S1B_jjP12ihipStream_tbEUljE_ZNSN_ISO_Lb1ESQ_SR_SQ_SR_SV_EESW_SX_SY_SZ_S13_S14_S15_S18_S19_jS1A_jS1B_S1B_jjS1D_bEUljE0_EEESW_SX_SY_S15_S19_S1B_T6_T7_T9_mT8_S1D_bDpT10_ENKUlT_T0_E_clISt17integral_constantIbLb1EES1R_EEDaS1M_S1N_EUlS1M_E_NS1_11comp_targetILNS1_3genE10ELNS1_11target_archE1200ELNS1_3gpuE4ELNS1_3repE0EEENS1_30default_config_static_selectorELNS0_4arch9wavefront6targetE0EEEvSZ_,comdat
.Lfunc_end653:
	.size	_ZN7rocprim17ROCPRIM_400000_NS6detail17trampoline_kernelINS0_13select_configILj256ELj13ELNS0_17block_load_methodE3ELS4_3ELS4_3ELNS0_20block_scan_algorithmE0ELj4294967295EEENS1_25partition_config_selectorILNS1_17partition_subalgoE4EjNS0_10empty_typeEbEEZZNS1_14partition_implILS8_4ELb0ES6_15HIP_vector_typeIjLj2EENS0_17counting_iteratorIjlEEPS9_SG_NS0_5tupleIJPjSI_NS0_16reverse_iteratorISI_EEEEENSH_IJSG_SG_SG_EEES9_SI_JZNS1_25segmented_radix_sort_implINS0_14default_configELb1EPKlPlSQ_SR_N2at6native12_GLOBAL__N_18offset_tEEE10hipError_tPvRmT1_PNSt15iterator_traitsISZ_E10value_typeET2_T3_PNS10_IS15_E10value_typeET4_jRbjT5_S1B_jjP12ihipStream_tbEUljE_ZNSN_ISO_Lb1ESQ_SR_SQ_SR_SV_EESW_SX_SY_SZ_S13_S14_S15_S18_S19_jS1A_jS1B_S1B_jjS1D_bEUljE0_EEESW_SX_SY_S15_S19_S1B_T6_T7_T9_mT8_S1D_bDpT10_ENKUlT_T0_E_clISt17integral_constantIbLb1EES1R_EEDaS1M_S1N_EUlS1M_E_NS1_11comp_targetILNS1_3genE10ELNS1_11target_archE1200ELNS1_3gpuE4ELNS1_3repE0EEENS1_30default_config_static_selectorELNS0_4arch9wavefront6targetE0EEEvSZ_, .Lfunc_end653-_ZN7rocprim17ROCPRIM_400000_NS6detail17trampoline_kernelINS0_13select_configILj256ELj13ELNS0_17block_load_methodE3ELS4_3ELS4_3ELNS0_20block_scan_algorithmE0ELj4294967295EEENS1_25partition_config_selectorILNS1_17partition_subalgoE4EjNS0_10empty_typeEbEEZZNS1_14partition_implILS8_4ELb0ES6_15HIP_vector_typeIjLj2EENS0_17counting_iteratorIjlEEPS9_SG_NS0_5tupleIJPjSI_NS0_16reverse_iteratorISI_EEEEENSH_IJSG_SG_SG_EEES9_SI_JZNS1_25segmented_radix_sort_implINS0_14default_configELb1EPKlPlSQ_SR_N2at6native12_GLOBAL__N_18offset_tEEE10hipError_tPvRmT1_PNSt15iterator_traitsISZ_E10value_typeET2_T3_PNS10_IS15_E10value_typeET4_jRbjT5_S1B_jjP12ihipStream_tbEUljE_ZNSN_ISO_Lb1ESQ_SR_SQ_SR_SV_EESW_SX_SY_SZ_S13_S14_S15_S18_S19_jS1A_jS1B_S1B_jjS1D_bEUljE0_EEESW_SX_SY_S15_S19_S1B_T6_T7_T9_mT8_S1D_bDpT10_ENKUlT_T0_E_clISt17integral_constantIbLb1EES1R_EEDaS1M_S1N_EUlS1M_E_NS1_11comp_targetILNS1_3genE10ELNS1_11target_archE1200ELNS1_3gpuE4ELNS1_3repE0EEENS1_30default_config_static_selectorELNS0_4arch9wavefront6targetE0EEEvSZ_
                                        ; -- End function
	.section	.AMDGPU.csdata,"",@progbits
; Kernel info:
; codeLenInByte = 0
; NumSgprs: 0
; NumVgprs: 0
; ScratchSize: 0
; MemoryBound: 0
; FloatMode: 240
; IeeeMode: 1
; LDSByteSize: 0 bytes/workgroup (compile time only)
; SGPRBlocks: 0
; VGPRBlocks: 0
; NumSGPRsForWavesPerEU: 1
; NumVGPRsForWavesPerEU: 1
; Occupancy: 16
; WaveLimiterHint : 0
; COMPUTE_PGM_RSRC2:SCRATCH_EN: 0
; COMPUTE_PGM_RSRC2:USER_SGPR: 15
; COMPUTE_PGM_RSRC2:TRAP_HANDLER: 0
; COMPUTE_PGM_RSRC2:TGID_X_EN: 1
; COMPUTE_PGM_RSRC2:TGID_Y_EN: 0
; COMPUTE_PGM_RSRC2:TGID_Z_EN: 0
; COMPUTE_PGM_RSRC2:TIDIG_COMP_CNT: 0
	.section	.text._ZN7rocprim17ROCPRIM_400000_NS6detail17trampoline_kernelINS0_13select_configILj256ELj13ELNS0_17block_load_methodE3ELS4_3ELS4_3ELNS0_20block_scan_algorithmE0ELj4294967295EEENS1_25partition_config_selectorILNS1_17partition_subalgoE4EjNS0_10empty_typeEbEEZZNS1_14partition_implILS8_4ELb0ES6_15HIP_vector_typeIjLj2EENS0_17counting_iteratorIjlEEPS9_SG_NS0_5tupleIJPjSI_NS0_16reverse_iteratorISI_EEEEENSH_IJSG_SG_SG_EEES9_SI_JZNS1_25segmented_radix_sort_implINS0_14default_configELb1EPKlPlSQ_SR_N2at6native12_GLOBAL__N_18offset_tEEE10hipError_tPvRmT1_PNSt15iterator_traitsISZ_E10value_typeET2_T3_PNS10_IS15_E10value_typeET4_jRbjT5_S1B_jjP12ihipStream_tbEUljE_ZNSN_ISO_Lb1ESQ_SR_SQ_SR_SV_EESW_SX_SY_SZ_S13_S14_S15_S18_S19_jS1A_jS1B_S1B_jjS1D_bEUljE0_EEESW_SX_SY_S15_S19_S1B_T6_T7_T9_mT8_S1D_bDpT10_ENKUlT_T0_E_clISt17integral_constantIbLb1EES1R_EEDaS1M_S1N_EUlS1M_E_NS1_11comp_targetILNS1_3genE9ELNS1_11target_archE1100ELNS1_3gpuE3ELNS1_3repE0EEENS1_30default_config_static_selectorELNS0_4arch9wavefront6targetE0EEEvSZ_,"axG",@progbits,_ZN7rocprim17ROCPRIM_400000_NS6detail17trampoline_kernelINS0_13select_configILj256ELj13ELNS0_17block_load_methodE3ELS4_3ELS4_3ELNS0_20block_scan_algorithmE0ELj4294967295EEENS1_25partition_config_selectorILNS1_17partition_subalgoE4EjNS0_10empty_typeEbEEZZNS1_14partition_implILS8_4ELb0ES6_15HIP_vector_typeIjLj2EENS0_17counting_iteratorIjlEEPS9_SG_NS0_5tupleIJPjSI_NS0_16reverse_iteratorISI_EEEEENSH_IJSG_SG_SG_EEES9_SI_JZNS1_25segmented_radix_sort_implINS0_14default_configELb1EPKlPlSQ_SR_N2at6native12_GLOBAL__N_18offset_tEEE10hipError_tPvRmT1_PNSt15iterator_traitsISZ_E10value_typeET2_T3_PNS10_IS15_E10value_typeET4_jRbjT5_S1B_jjP12ihipStream_tbEUljE_ZNSN_ISO_Lb1ESQ_SR_SQ_SR_SV_EESW_SX_SY_SZ_S13_S14_S15_S18_S19_jS1A_jS1B_S1B_jjS1D_bEUljE0_EEESW_SX_SY_S15_S19_S1B_T6_T7_T9_mT8_S1D_bDpT10_ENKUlT_T0_E_clISt17integral_constantIbLb1EES1R_EEDaS1M_S1N_EUlS1M_E_NS1_11comp_targetILNS1_3genE9ELNS1_11target_archE1100ELNS1_3gpuE3ELNS1_3repE0EEENS1_30default_config_static_selectorELNS0_4arch9wavefront6targetE0EEEvSZ_,comdat
	.globl	_ZN7rocprim17ROCPRIM_400000_NS6detail17trampoline_kernelINS0_13select_configILj256ELj13ELNS0_17block_load_methodE3ELS4_3ELS4_3ELNS0_20block_scan_algorithmE0ELj4294967295EEENS1_25partition_config_selectorILNS1_17partition_subalgoE4EjNS0_10empty_typeEbEEZZNS1_14partition_implILS8_4ELb0ES6_15HIP_vector_typeIjLj2EENS0_17counting_iteratorIjlEEPS9_SG_NS0_5tupleIJPjSI_NS0_16reverse_iteratorISI_EEEEENSH_IJSG_SG_SG_EEES9_SI_JZNS1_25segmented_radix_sort_implINS0_14default_configELb1EPKlPlSQ_SR_N2at6native12_GLOBAL__N_18offset_tEEE10hipError_tPvRmT1_PNSt15iterator_traitsISZ_E10value_typeET2_T3_PNS10_IS15_E10value_typeET4_jRbjT5_S1B_jjP12ihipStream_tbEUljE_ZNSN_ISO_Lb1ESQ_SR_SQ_SR_SV_EESW_SX_SY_SZ_S13_S14_S15_S18_S19_jS1A_jS1B_S1B_jjS1D_bEUljE0_EEESW_SX_SY_S15_S19_S1B_T6_T7_T9_mT8_S1D_bDpT10_ENKUlT_T0_E_clISt17integral_constantIbLb1EES1R_EEDaS1M_S1N_EUlS1M_E_NS1_11comp_targetILNS1_3genE9ELNS1_11target_archE1100ELNS1_3gpuE3ELNS1_3repE0EEENS1_30default_config_static_selectorELNS0_4arch9wavefront6targetE0EEEvSZ_ ; -- Begin function _ZN7rocprim17ROCPRIM_400000_NS6detail17trampoline_kernelINS0_13select_configILj256ELj13ELNS0_17block_load_methodE3ELS4_3ELS4_3ELNS0_20block_scan_algorithmE0ELj4294967295EEENS1_25partition_config_selectorILNS1_17partition_subalgoE4EjNS0_10empty_typeEbEEZZNS1_14partition_implILS8_4ELb0ES6_15HIP_vector_typeIjLj2EENS0_17counting_iteratorIjlEEPS9_SG_NS0_5tupleIJPjSI_NS0_16reverse_iteratorISI_EEEEENSH_IJSG_SG_SG_EEES9_SI_JZNS1_25segmented_radix_sort_implINS0_14default_configELb1EPKlPlSQ_SR_N2at6native12_GLOBAL__N_18offset_tEEE10hipError_tPvRmT1_PNSt15iterator_traitsISZ_E10value_typeET2_T3_PNS10_IS15_E10value_typeET4_jRbjT5_S1B_jjP12ihipStream_tbEUljE_ZNSN_ISO_Lb1ESQ_SR_SQ_SR_SV_EESW_SX_SY_SZ_S13_S14_S15_S18_S19_jS1A_jS1B_S1B_jjS1D_bEUljE0_EEESW_SX_SY_S15_S19_S1B_T6_T7_T9_mT8_S1D_bDpT10_ENKUlT_T0_E_clISt17integral_constantIbLb1EES1R_EEDaS1M_S1N_EUlS1M_E_NS1_11comp_targetILNS1_3genE9ELNS1_11target_archE1100ELNS1_3gpuE3ELNS1_3repE0EEENS1_30default_config_static_selectorELNS0_4arch9wavefront6targetE0EEEvSZ_
	.p2align	8
	.type	_ZN7rocprim17ROCPRIM_400000_NS6detail17trampoline_kernelINS0_13select_configILj256ELj13ELNS0_17block_load_methodE3ELS4_3ELS4_3ELNS0_20block_scan_algorithmE0ELj4294967295EEENS1_25partition_config_selectorILNS1_17partition_subalgoE4EjNS0_10empty_typeEbEEZZNS1_14partition_implILS8_4ELb0ES6_15HIP_vector_typeIjLj2EENS0_17counting_iteratorIjlEEPS9_SG_NS0_5tupleIJPjSI_NS0_16reverse_iteratorISI_EEEEENSH_IJSG_SG_SG_EEES9_SI_JZNS1_25segmented_radix_sort_implINS0_14default_configELb1EPKlPlSQ_SR_N2at6native12_GLOBAL__N_18offset_tEEE10hipError_tPvRmT1_PNSt15iterator_traitsISZ_E10value_typeET2_T3_PNS10_IS15_E10value_typeET4_jRbjT5_S1B_jjP12ihipStream_tbEUljE_ZNSN_ISO_Lb1ESQ_SR_SQ_SR_SV_EESW_SX_SY_SZ_S13_S14_S15_S18_S19_jS1A_jS1B_S1B_jjS1D_bEUljE0_EEESW_SX_SY_S15_S19_S1B_T6_T7_T9_mT8_S1D_bDpT10_ENKUlT_T0_E_clISt17integral_constantIbLb1EES1R_EEDaS1M_S1N_EUlS1M_E_NS1_11comp_targetILNS1_3genE9ELNS1_11target_archE1100ELNS1_3gpuE3ELNS1_3repE0EEENS1_30default_config_static_selectorELNS0_4arch9wavefront6targetE0EEEvSZ_,@function
_ZN7rocprim17ROCPRIM_400000_NS6detail17trampoline_kernelINS0_13select_configILj256ELj13ELNS0_17block_load_methodE3ELS4_3ELS4_3ELNS0_20block_scan_algorithmE0ELj4294967295EEENS1_25partition_config_selectorILNS1_17partition_subalgoE4EjNS0_10empty_typeEbEEZZNS1_14partition_implILS8_4ELb0ES6_15HIP_vector_typeIjLj2EENS0_17counting_iteratorIjlEEPS9_SG_NS0_5tupleIJPjSI_NS0_16reverse_iteratorISI_EEEEENSH_IJSG_SG_SG_EEES9_SI_JZNS1_25segmented_radix_sort_implINS0_14default_configELb1EPKlPlSQ_SR_N2at6native12_GLOBAL__N_18offset_tEEE10hipError_tPvRmT1_PNSt15iterator_traitsISZ_E10value_typeET2_T3_PNS10_IS15_E10value_typeET4_jRbjT5_S1B_jjP12ihipStream_tbEUljE_ZNSN_ISO_Lb1ESQ_SR_SQ_SR_SV_EESW_SX_SY_SZ_S13_S14_S15_S18_S19_jS1A_jS1B_S1B_jjS1D_bEUljE0_EEESW_SX_SY_S15_S19_S1B_T6_T7_T9_mT8_S1D_bDpT10_ENKUlT_T0_E_clISt17integral_constantIbLb1EES1R_EEDaS1M_S1N_EUlS1M_E_NS1_11comp_targetILNS1_3genE9ELNS1_11target_archE1100ELNS1_3gpuE3ELNS1_3repE0EEENS1_30default_config_static_selectorELNS0_4arch9wavefront6targetE0EEEvSZ_: ; @_ZN7rocprim17ROCPRIM_400000_NS6detail17trampoline_kernelINS0_13select_configILj256ELj13ELNS0_17block_load_methodE3ELS4_3ELS4_3ELNS0_20block_scan_algorithmE0ELj4294967295EEENS1_25partition_config_selectorILNS1_17partition_subalgoE4EjNS0_10empty_typeEbEEZZNS1_14partition_implILS8_4ELb0ES6_15HIP_vector_typeIjLj2EENS0_17counting_iteratorIjlEEPS9_SG_NS0_5tupleIJPjSI_NS0_16reverse_iteratorISI_EEEEENSH_IJSG_SG_SG_EEES9_SI_JZNS1_25segmented_radix_sort_implINS0_14default_configELb1EPKlPlSQ_SR_N2at6native12_GLOBAL__N_18offset_tEEE10hipError_tPvRmT1_PNSt15iterator_traitsISZ_E10value_typeET2_T3_PNS10_IS15_E10value_typeET4_jRbjT5_S1B_jjP12ihipStream_tbEUljE_ZNSN_ISO_Lb1ESQ_SR_SQ_SR_SV_EESW_SX_SY_SZ_S13_S14_S15_S18_S19_jS1A_jS1B_S1B_jjS1D_bEUljE0_EEESW_SX_SY_S15_S19_S1B_T6_T7_T9_mT8_S1D_bDpT10_ENKUlT_T0_E_clISt17integral_constantIbLb1EES1R_EEDaS1M_S1N_EUlS1M_E_NS1_11comp_targetILNS1_3genE9ELNS1_11target_archE1100ELNS1_3gpuE3ELNS1_3repE0EEENS1_30default_config_static_selectorELNS0_4arch9wavefront6targetE0EEEvSZ_
; %bb.0:
	s_clause 0x7
	s_load_b64 s[34:35], s[0:1], 0x10
	s_load_b128 s[28:31], s[0:1], 0x28
	s_load_b64 s[14:15], s[0:1], 0x38
	s_load_b128 s[24:27], s[0:1], 0x58
	s_load_b64 s[4:5], s[0:1], 0x68
	s_load_b64 s[36:37], s[0:1], 0x78
	;; [unrolled: 1-line block ×3, first 2 shown]
	s_load_b256 s[16:23], s[0:1], 0x90
	v_cmp_eq_u32_e64 s2, 0, v0
	s_delay_alu instid0(VALU_DEP_1)
	s_and_saveexec_b32 s3, s2
	s_cbranch_execz .LBB654_4
; %bb.1:
	s_mov_b32 s7, exec_lo
	s_mov_b32 s6, exec_lo
	v_mbcnt_lo_u32_b32 v1, s7, 0
                                        ; implicit-def: $vgpr2
	s_delay_alu instid0(VALU_DEP_1)
	v_cmpx_eq_u32_e32 0, v1
	s_cbranch_execz .LBB654_3
; %bb.2:
	s_load_b64 s[8:9], s[0:1], 0x88
	s_bcnt1_i32_b32 s7, s7
	s_delay_alu instid0(SALU_CYCLE_1)
	v_dual_mov_b32 v2, 0 :: v_dual_mov_b32 v3, s7
	s_waitcnt lgkmcnt(0)
	global_atomic_add_u32 v2, v2, v3, s[8:9] glc
.LBB654_3:
	s_or_b32 exec_lo, exec_lo, s6
	s_waitcnt vmcnt(0)
	v_readfirstlane_b32 s6, v2
	s_delay_alu instid0(VALU_DEP_1)
	v_dual_mov_b32 v2, 0 :: v_dual_add_nc_u32 v1, s6, v1
	ds_store_b32 v2, v1
.LBB654_4:
	s_or_b32 exec_lo, exec_lo, s3
	v_mov_b32_e32 v1, 0
	s_clause 0x1
	s_load_b32 s3, s[0:1], 0x8
	s_load_b32 s0, s[0:1], 0x80
	s_waitcnt lgkmcnt(0)
	s_barrier
	buffer_gl0_inv
	ds_load_b32 v5, v1
	s_waitcnt lgkmcnt(0)
	s_barrier
	buffer_gl0_inv
	global_load_b128 v[1:4], v1, s[26:27]
	s_add_i32 s3, s3, s34
	s_mul_i32 s1, s0, 0xd00
	s_add_i32 s0, s0, -1
	s_add_u32 s6, s34, s1
	s_addc_u32 s7, s35, 0
	v_mul_lo_u32 v30, 0xd00, v5
	v_readfirstlane_b32 s26, v5
	v_cmp_lt_u64_e64 s5, s[6:7], s[4:5]
	v_cmp_ne_u32_e32 vcc_lo, s0, v5
	s_delay_alu instid0(VALU_DEP_3) | instskip(SKIP_1) | instid1(VALU_DEP_4)
	s_cmp_eq_u32 s26, s0
	s_cselect_b32 s13, -1, 0
	v_add3_u32 v5, v30, s3, v0
	s_delay_alu instid0(VALU_DEP_3) | instskip(SKIP_2) | instid1(VALU_DEP_1)
	s_or_b32 s0, s5, vcc_lo
	s_mov_b32 s3, -1
	s_and_b32 vcc_lo, exec_lo, s0
	v_add_nc_u32_e32 v6, 0x100, v5
	v_add_nc_u32_e32 v7, 0x200, v5
	;; [unrolled: 1-line block ×12, first 2 shown]
	s_cbranch_vccz .LBB654_6
; %bb.5:
	v_lshlrev_b32_e32 v18, 2, v0
	s_mov_b32 s3, 0
	ds_store_2addr_stride64_b32 v18, v5, v6 offset1:4
	ds_store_2addr_stride64_b32 v18, v7, v8 offset0:8 offset1:12
	ds_store_2addr_stride64_b32 v18, v9, v10 offset0:16 offset1:20
	;; [unrolled: 1-line block ×5, first 2 shown]
	ds_store_b32 v18, v17 offset:12288
	s_waitcnt vmcnt(0) lgkmcnt(0)
	s_barrier
.LBB654_6:
	s_and_not1_b32 vcc_lo, exec_lo, s3
	s_add_i32 s1, s1, s34
	s_cbranch_vccnz .LBB654_8
; %bb.7:
	v_lshlrev_b32_e32 v18, 2, v0
	ds_store_2addr_stride64_b32 v18, v5, v6 offset1:4
	ds_store_2addr_stride64_b32 v18, v7, v8 offset0:8 offset1:12
	ds_store_2addr_stride64_b32 v18, v9, v10 offset0:16 offset1:20
	;; [unrolled: 1-line block ×5, first 2 shown]
	ds_store_b32 v18, v17 offset:12288
	s_waitcnt vmcnt(0) lgkmcnt(0)
	s_barrier
.LBB654_8:
	v_mul_u32_u24_e32 v33, 13, v0
	s_waitcnt vmcnt(0)
	buffer_gl0_inv
	v_cndmask_b32_e64 v31, 0, 1, s0
	s_sub_i32 s40, s4, s1
	s_and_not1_b32 vcc_lo, exec_lo, s0
	v_lshlrev_b32_e32 v5, 2, v33
	ds_load_2addr_b32 v[20:21], v5 offset1:1
	ds_load_2addr_b32 v[18:19], v5 offset0:2 offset1:3
	ds_load_2addr_b32 v[16:17], v5 offset0:4 offset1:5
	;; [unrolled: 1-line block ×5, first 2 shown]
	ds_load_b32 v32, v5 offset:48
	s_waitcnt lgkmcnt(0)
	s_barrier
	buffer_gl0_inv
	s_cbranch_vccnz .LBB654_36
; %bb.9:
	v_add_nc_u32_e32 v5, s17, v20
	v_add_nc_u32_e32 v6, s19, v20
	s_mov_b32 s42, 0
	s_mov_b32 s41, 0
	s_mov_b32 s1, exec_lo
	v_mul_lo_u32 v5, v5, s16
	v_mul_lo_u32 v6, v6, s18
	s_delay_alu instid0(VALU_DEP_1) | instskip(NEXT) | instid1(VALU_DEP_1)
	v_sub_nc_u32_e32 v5, v5, v6
	v_cmp_lt_u32_e32 vcc_lo, s20, v5
	v_cmpx_ge_u32_e64 s20, v5
; %bb.10:
	v_add_nc_u32_e32 v5, s22, v20
	v_add_nc_u32_e32 v6, s38, v20
	s_delay_alu instid0(VALU_DEP_2) | instskip(NEXT) | instid1(VALU_DEP_2)
	v_mul_lo_u32 v5, v5, s21
	v_mul_lo_u32 v6, v6, s23
	s_delay_alu instid0(VALU_DEP_1) | instskip(NEXT) | instid1(VALU_DEP_1)
	v_sub_nc_u32_e32 v5, v5, v6
	v_cmp_lt_u32_e64 s0, s39, v5
	s_delay_alu instid0(VALU_DEP_1)
	s_and_b32 s41, s0, exec_lo
; %bb.11:
	s_or_b32 exec_lo, exec_lo, s1
	v_add_nc_u32_e32 v5, s17, v21
	v_add_nc_u32_e32 v6, s19, v21
	s_mov_b32 s3, exec_lo
	s_delay_alu instid0(VALU_DEP_2) | instskip(NEXT) | instid1(VALU_DEP_2)
	v_mul_lo_u32 v5, v5, s16
	v_mul_lo_u32 v6, v6, s18
	s_delay_alu instid0(VALU_DEP_1) | instskip(NEXT) | instid1(VALU_DEP_1)
	v_sub_nc_u32_e32 v5, v5, v6
	v_cmp_lt_u32_e64 s0, s20, v5
	v_cmpx_ge_u32_e64 s20, v5
; %bb.12:
	v_add_nc_u32_e32 v5, s22, v21
	v_add_nc_u32_e32 v6, s38, v21
	s_delay_alu instid0(VALU_DEP_2) | instskip(NEXT) | instid1(VALU_DEP_2)
	v_mul_lo_u32 v5, v5, s21
	v_mul_lo_u32 v6, v6, s23
	s_delay_alu instid0(VALU_DEP_1) | instskip(NEXT) | instid1(VALU_DEP_1)
	v_sub_nc_u32_e32 v5, v5, v6
	v_cmp_lt_u32_e64 s1, s39, v5
	s_delay_alu instid0(VALU_DEP_1)
	s_and_b32 s42, s1, exec_lo
; %bb.13:
	s_or_b32 exec_lo, exec_lo, s3
	v_add_nc_u32_e32 v5, s17, v18
	v_add_nc_u32_e32 v6, s19, v18
	s_mov_b32 s44, 0
	s_mov_b32 s43, 0
	s_mov_b32 s4, exec_lo
	v_mul_lo_u32 v5, v5, s16
	v_mul_lo_u32 v6, v6, s18
	s_delay_alu instid0(VALU_DEP_1) | instskip(NEXT) | instid1(VALU_DEP_1)
	v_sub_nc_u32_e32 v5, v5, v6
	v_cmp_lt_u32_e64 s1, s20, v5
	v_cmpx_ge_u32_e64 s20, v5
; %bb.14:
	v_add_nc_u32_e32 v5, s22, v18
	v_add_nc_u32_e32 v6, s38, v18
	s_delay_alu instid0(VALU_DEP_2) | instskip(NEXT) | instid1(VALU_DEP_2)
	v_mul_lo_u32 v5, v5, s21
	v_mul_lo_u32 v6, v6, s23
	s_delay_alu instid0(VALU_DEP_1) | instskip(NEXT) | instid1(VALU_DEP_1)
	v_sub_nc_u32_e32 v5, v5, v6
	v_cmp_lt_u32_e64 s3, s39, v5
	s_delay_alu instid0(VALU_DEP_1)
	s_and_b32 s43, s3, exec_lo
; %bb.15:
	s_or_b32 exec_lo, exec_lo, s4
	v_add_nc_u32_e32 v5, s17, v19
	v_add_nc_u32_e32 v6, s19, v19
	s_mov_b32 s5, exec_lo
	s_delay_alu instid0(VALU_DEP_2) | instskip(NEXT) | instid1(VALU_DEP_2)
	v_mul_lo_u32 v5, v5, s16
	v_mul_lo_u32 v6, v6, s18
	s_delay_alu instid0(VALU_DEP_1) | instskip(NEXT) | instid1(VALU_DEP_1)
	v_sub_nc_u32_e32 v5, v5, v6
	v_cmp_lt_u32_e64 s3, s20, v5
	v_cmpx_ge_u32_e64 s20, v5
; %bb.16:
	v_add_nc_u32_e32 v5, s22, v19
	v_add_nc_u32_e32 v6, s38, v19
	s_delay_alu instid0(VALU_DEP_2) | instskip(NEXT) | instid1(VALU_DEP_2)
	v_mul_lo_u32 v5, v5, s21
	v_mul_lo_u32 v6, v6, s23
	s_delay_alu instid0(VALU_DEP_1) | instskip(NEXT) | instid1(VALU_DEP_1)
	v_sub_nc_u32_e32 v5, v5, v6
	v_cmp_lt_u32_e64 s4, s39, v5
	s_delay_alu instid0(VALU_DEP_1)
	s_and_b32 s44, s4, exec_lo
; %bb.17:
	s_or_b32 exec_lo, exec_lo, s5
	v_add_nc_u32_e32 v5, s17, v16
	v_add_nc_u32_e32 v6, s19, v16
	s_mov_b32 s46, 0
	s_mov_b32 s45, 0
	s_mov_b32 s6, exec_lo
	v_mul_lo_u32 v5, v5, s16
	v_mul_lo_u32 v6, v6, s18
	s_delay_alu instid0(VALU_DEP_1) | instskip(NEXT) | instid1(VALU_DEP_1)
	v_sub_nc_u32_e32 v5, v5, v6
	v_cmp_lt_u32_e64 s4, s20, v5
	;; [unrolled: 47-line block ×5, first 2 shown]
	v_cmpx_ge_u32_e64 s20, v5
; %bb.30:
	v_add_nc_u32_e32 v5, s22, v10
	v_add_nc_u32_e32 v6, s38, v10
	s_delay_alu instid0(VALU_DEP_2) | instskip(NEXT) | instid1(VALU_DEP_2)
	v_mul_lo_u32 v5, v5, s21
	v_mul_lo_u32 v6, v6, s23
	s_delay_alu instid0(VALU_DEP_1) | instskip(NEXT) | instid1(VALU_DEP_1)
	v_sub_nc_u32_e32 v5, v5, v6
	v_cmp_lt_u32_e64 s11, s39, v5
	s_delay_alu instid0(VALU_DEP_1)
	s_and_b32 s53, s11, exec_lo
; %bb.31:
	s_or_b32 exec_lo, exec_lo, s12
	v_add_nc_u32_e32 v5, s17, v11
	v_add_nc_u32_e32 v6, s19, v11
	s_mov_b32 s27, exec_lo
	s_delay_alu instid0(VALU_DEP_2) | instskip(NEXT) | instid1(VALU_DEP_2)
	v_mul_lo_u32 v5, v5, s16
	v_mul_lo_u32 v6, v6, s18
	s_delay_alu instid0(VALU_DEP_1) | instskip(NEXT) | instid1(VALU_DEP_1)
	v_sub_nc_u32_e32 v5, v5, v6
	v_cmp_lt_u32_e64 s11, s20, v5
	v_cmpx_ge_u32_e64 s20, v5
; %bb.32:
	v_add_nc_u32_e32 v5, s22, v11
	v_add_nc_u32_e32 v6, s38, v11
	s_delay_alu instid0(VALU_DEP_2) | instskip(NEXT) | instid1(VALU_DEP_2)
	v_mul_lo_u32 v5, v5, s21
	v_mul_lo_u32 v6, v6, s23
	s_delay_alu instid0(VALU_DEP_1) | instskip(NEXT) | instid1(VALU_DEP_1)
	v_sub_nc_u32_e32 v5, v5, v6
	v_cmp_lt_u32_e64 s12, s39, v5
	s_delay_alu instid0(VALU_DEP_1)
	s_and_b32 s52, s12, exec_lo
; %bb.33:
	s_or_b32 exec_lo, exec_lo, s27
	v_add_nc_u32_e32 v5, s17, v32
	v_add_nc_u32_e32 v6, s19, v32
	s_mov_b32 s27, -1
	s_mov_b32 s49, 0
	s_mov_b32 s33, 0
	v_mul_lo_u32 v5, v5, s16
	v_mul_lo_u32 v6, v6, s18
	s_mov_b32 s54, exec_lo
	s_delay_alu instid0(VALU_DEP_1) | instskip(NEXT) | instid1(VALU_DEP_1)
	v_sub_nc_u32_e32 v5, v5, v6
	v_cmpx_ge_u32_e64 s20, v5
; %bb.34:
	v_add_nc_u32_e32 v5, s22, v32
	v_add_nc_u32_e32 v6, s38, v32
	s_xor_b32 s27, exec_lo, -1
	s_delay_alu instid0(VALU_DEP_2) | instskip(NEXT) | instid1(VALU_DEP_2)
	v_mul_lo_u32 v5, v5, s21
	v_mul_lo_u32 v6, v6, s23
	s_delay_alu instid0(VALU_DEP_1) | instskip(NEXT) | instid1(VALU_DEP_1)
	v_sub_nc_u32_e32 v5, v5, v6
	v_cmp_lt_u32_e64 s12, s39, v5
	s_delay_alu instid0(VALU_DEP_1)
	s_and_b32 s33, s12, exec_lo
; %bb.35:
	s_or_b32 exec_lo, exec_lo, s54
	v_cndmask_b32_e64 v53, 0, 1, s53
	v_cndmask_b32_e64 v56, 0, 1, s11
	;; [unrolled: 1-line block ×22, first 2 shown]
	v_cndmask_b32_e64 v34, 0, 1, vcc_lo
	v_cndmask_b32_e64 v57, 0, 1, s52
	s_and_b32 vcc_lo, exec_lo, s49
	s_add_i32 s4, s40, 0xd00
	s_cbranch_vccnz .LBB654_37
	s_branch .LBB654_90
.LBB654_36:
                                        ; implicit-def: $sgpr27
                                        ; implicit-def: $sgpr33
                                        ; implicit-def: $vgpr57
                                        ; implicit-def: $vgpr53
                                        ; implicit-def: $vgpr52
                                        ; implicit-def: $vgpr50
                                        ; implicit-def: $vgpr48
                                        ; implicit-def: $vgpr46
                                        ; implicit-def: $vgpr44
                                        ; implicit-def: $vgpr42
                                        ; implicit-def: $vgpr39
                                        ; implicit-def: $vgpr34
                                        ; implicit-def: $vgpr37
                                        ; implicit-def: $vgpr36
                                        ; implicit-def: $vgpr41
                                        ; implicit-def: $vgpr43
                                        ; implicit-def: $vgpr45
                                        ; implicit-def: $vgpr47
                                        ; implicit-def: $vgpr49
                                        ; implicit-def: $vgpr51
                                        ; implicit-def: $vgpr54
                                        ; implicit-def: $vgpr55
                                        ; implicit-def: $vgpr56
                                        ; implicit-def: $vgpr35
                                        ; implicit-def: $vgpr40
                                        ; implicit-def: $vgpr38
	s_add_i32 s4, s40, 0xd00
	s_cbranch_execz .LBB654_90
.LBB654_37:
	v_dual_mov_b32 v35, 0 :: v_dual_mov_b32 v34, 0
	s_mov_b32 s3, 0
	s_mov_b32 s1, exec_lo
	v_cmpx_gt_u32_e64 s4, v33
	s_cbranch_execz .LBB654_41
; %bb.38:
	v_add_nc_u32_e32 v5, s17, v20
	v_add_nc_u32_e32 v6, s19, v20
	s_mov_b32 s5, exec_lo
	s_delay_alu instid0(VALU_DEP_2) | instskip(NEXT) | instid1(VALU_DEP_2)
	v_mul_lo_u32 v5, v5, s16
	v_mul_lo_u32 v6, v6, s18
	s_delay_alu instid0(VALU_DEP_1) | instskip(NEXT) | instid1(VALU_DEP_1)
	v_sub_nc_u32_e32 v5, v5, v6
	v_cmp_lt_u32_e32 vcc_lo, s20, v5
	v_cmpx_ge_u32_e64 s20, v5
; %bb.39:
	v_add_nc_u32_e32 v5, s22, v20
	v_add_nc_u32_e32 v6, s38, v20
	s_delay_alu instid0(VALU_DEP_2) | instskip(NEXT) | instid1(VALU_DEP_2)
	v_mul_lo_u32 v5, v5, s21
	v_mul_lo_u32 v6, v6, s23
	s_delay_alu instid0(VALU_DEP_1) | instskip(NEXT) | instid1(VALU_DEP_1)
	v_sub_nc_u32_e32 v5, v5, v6
	v_cmp_lt_u32_e64 s0, s39, v5
	s_delay_alu instid0(VALU_DEP_1)
	s_and_b32 s3, s0, exec_lo
; %bb.40:
	s_or_b32 exec_lo, exec_lo, s5
	v_cndmask_b32_e64 v34, 0, 1, vcc_lo
	v_cndmask_b32_e64 v35, 0, 1, s3
.LBB654_41:
	s_or_b32 exec_lo, exec_lo, s1
	v_dual_mov_b32 v40, 0 :: v_dual_add_nc_u32 v5, 1, v33
	v_mov_b32_e32 v37, 0
	s_mov_b32 s3, 0
	s_mov_b32 s1, exec_lo
	s_delay_alu instid0(VALU_DEP_2)
	v_cmpx_gt_u32_e64 s4, v5
	s_cbranch_execz .LBB654_45
; %bb.42:
	v_add_nc_u32_e32 v5, s17, v21
	v_add_nc_u32_e32 v6, s19, v21
	s_mov_b32 s5, exec_lo
	s_delay_alu instid0(VALU_DEP_2) | instskip(NEXT) | instid1(VALU_DEP_2)
	v_mul_lo_u32 v5, v5, s16
	v_mul_lo_u32 v6, v6, s18
	s_delay_alu instid0(VALU_DEP_1) | instskip(NEXT) | instid1(VALU_DEP_1)
	v_sub_nc_u32_e32 v5, v5, v6
	v_cmp_lt_u32_e32 vcc_lo, s20, v5
	v_cmpx_ge_u32_e64 s20, v5
; %bb.43:
	v_add_nc_u32_e32 v5, s22, v21
	v_add_nc_u32_e32 v6, s38, v21
	s_delay_alu instid0(VALU_DEP_2) | instskip(NEXT) | instid1(VALU_DEP_2)
	v_mul_lo_u32 v5, v5, s21
	v_mul_lo_u32 v6, v6, s23
	s_delay_alu instid0(VALU_DEP_1) | instskip(NEXT) | instid1(VALU_DEP_1)
	v_sub_nc_u32_e32 v5, v5, v6
	v_cmp_lt_u32_e64 s0, s39, v5
	s_delay_alu instid0(VALU_DEP_1)
	s_and_b32 s3, s0, exec_lo
; %bb.44:
	s_or_b32 exec_lo, exec_lo, s5
	v_cndmask_b32_e64 v37, 0, 1, vcc_lo
	v_cndmask_b32_e64 v40, 0, 1, s3
.LBB654_45:
	s_or_b32 exec_lo, exec_lo, s1
	v_dual_mov_b32 v36, 0 :: v_dual_add_nc_u32 v5, 2, v33
	v_mov_b32_e32 v38, 0
	s_mov_b32 s3, 0
	s_mov_b32 s1, exec_lo
	s_delay_alu instid0(VALU_DEP_2)
	v_cmpx_gt_u32_e64 s4, v5
	s_cbranch_execz .LBB654_49
; %bb.46:
	v_add_nc_u32_e32 v5, s17, v18
	v_add_nc_u32_e32 v6, s19, v18
	s_mov_b32 s5, exec_lo
	s_delay_alu instid0(VALU_DEP_2) | instskip(NEXT) | instid1(VALU_DEP_2)
	v_mul_lo_u32 v5, v5, s16
	v_mul_lo_u32 v6, v6, s18
	s_delay_alu instid0(VALU_DEP_1) | instskip(NEXT) | instid1(VALU_DEP_1)
	v_sub_nc_u32_e32 v5, v5, v6
	v_cmp_lt_u32_e32 vcc_lo, s20, v5
	v_cmpx_ge_u32_e64 s20, v5
; %bb.47:
	v_add_nc_u32_e32 v5, s22, v18
	v_add_nc_u32_e32 v6, s38, v18
	s_delay_alu instid0(VALU_DEP_2) | instskip(NEXT) | instid1(VALU_DEP_2)
	v_mul_lo_u32 v5, v5, s21
	v_mul_lo_u32 v6, v6, s23
	s_delay_alu instid0(VALU_DEP_1) | instskip(NEXT) | instid1(VALU_DEP_1)
	v_sub_nc_u32_e32 v5, v5, v6
	v_cmp_lt_u32_e64 s0, s39, v5
	s_delay_alu instid0(VALU_DEP_1)
	s_and_b32 s3, s0, exec_lo
; %bb.48:
	s_or_b32 exec_lo, exec_lo, s5
	v_cndmask_b32_e64 v36, 0, 1, vcc_lo
	v_cndmask_b32_e64 v38, 0, 1, s3
.LBB654_49:
	s_or_b32 exec_lo, exec_lo, s1
	v_add_nc_u32_e32 v5, 3, v33
	v_mov_b32_e32 v39, 0
	v_mov_b32_e32 v41, 0
	s_mov_b32 s3, 0
	s_mov_b32 s1, exec_lo
	v_cmpx_gt_u32_e64 s4, v5
	s_cbranch_execz .LBB654_53
; %bb.50:
	v_add_nc_u32_e32 v5, s17, v19
	v_add_nc_u32_e32 v6, s19, v19
	s_mov_b32 s5, exec_lo
	s_delay_alu instid0(VALU_DEP_2) | instskip(NEXT) | instid1(VALU_DEP_2)
	v_mul_lo_u32 v5, v5, s16
	v_mul_lo_u32 v6, v6, s18
	s_delay_alu instid0(VALU_DEP_1) | instskip(NEXT) | instid1(VALU_DEP_1)
	v_sub_nc_u32_e32 v5, v5, v6
	v_cmp_lt_u32_e32 vcc_lo, s20, v5
	v_cmpx_ge_u32_e64 s20, v5
; %bb.51:
	v_add_nc_u32_e32 v5, s22, v19
	v_add_nc_u32_e32 v6, s38, v19
	s_delay_alu instid0(VALU_DEP_2) | instskip(NEXT) | instid1(VALU_DEP_2)
	v_mul_lo_u32 v5, v5, s21
	v_mul_lo_u32 v6, v6, s23
	s_delay_alu instid0(VALU_DEP_1) | instskip(NEXT) | instid1(VALU_DEP_1)
	v_sub_nc_u32_e32 v5, v5, v6
	v_cmp_lt_u32_e64 s0, s39, v5
	s_delay_alu instid0(VALU_DEP_1)
	s_and_b32 s3, s0, exec_lo
; %bb.52:
	s_or_b32 exec_lo, exec_lo, s5
	v_cndmask_b32_e64 v41, 0, 1, vcc_lo
	v_cndmask_b32_e64 v39, 0, 1, s3
.LBB654_53:
	s_or_b32 exec_lo, exec_lo, s1
	v_dual_mov_b32 v42, 0 :: v_dual_add_nc_u32 v5, 4, v33
	v_mov_b32_e32 v43, 0
	s_mov_b32 s3, 0
	s_mov_b32 s1, exec_lo
	s_delay_alu instid0(VALU_DEP_2)
	v_cmpx_gt_u32_e64 s4, v5
	s_cbranch_execz .LBB654_57
; %bb.54:
	v_add_nc_u32_e32 v5, s17, v16
	v_add_nc_u32_e32 v6, s19, v16
	s_mov_b32 s5, exec_lo
	s_delay_alu instid0(VALU_DEP_2) | instskip(NEXT) | instid1(VALU_DEP_2)
	v_mul_lo_u32 v5, v5, s16
	v_mul_lo_u32 v6, v6, s18
	s_delay_alu instid0(VALU_DEP_1) | instskip(NEXT) | instid1(VALU_DEP_1)
	v_sub_nc_u32_e32 v5, v5, v6
	v_cmp_lt_u32_e32 vcc_lo, s20, v5
	v_cmpx_ge_u32_e64 s20, v5
; %bb.55:
	v_add_nc_u32_e32 v5, s22, v16
	v_add_nc_u32_e32 v6, s38, v16
	s_delay_alu instid0(VALU_DEP_2) | instskip(NEXT) | instid1(VALU_DEP_2)
	v_mul_lo_u32 v5, v5, s21
	v_mul_lo_u32 v6, v6, s23
	s_delay_alu instid0(VALU_DEP_1) | instskip(NEXT) | instid1(VALU_DEP_1)
	v_sub_nc_u32_e32 v5, v5, v6
	v_cmp_lt_u32_e64 s0, s39, v5
	s_delay_alu instid0(VALU_DEP_1)
	s_and_b32 s3, s0, exec_lo
; %bb.56:
	s_or_b32 exec_lo, exec_lo, s5
	v_cndmask_b32_e64 v43, 0, 1, vcc_lo
	v_cndmask_b32_e64 v42, 0, 1, s3
.LBB654_57:
	s_or_b32 exec_lo, exec_lo, s1
	v_dual_mov_b32 v44, 0 :: v_dual_add_nc_u32 v5, 5, v33
	v_mov_b32_e32 v45, 0
	s_mov_b32 s3, 0
	s_mov_b32 s1, exec_lo
	s_delay_alu instid0(VALU_DEP_2)
	;; [unrolled: 35-line block ×6, first 2 shown]
	v_cmpx_gt_u32_e64 s4, v5
	s_cbranch_execz .LBB654_77
; %bb.74:
	v_add_nc_u32_e32 v5, s17, v13
	v_add_nc_u32_e32 v6, s19, v13
	s_mov_b32 s5, exec_lo
	s_delay_alu instid0(VALU_DEP_2) | instskip(NEXT) | instid1(VALU_DEP_2)
	v_mul_lo_u32 v5, v5, s16
	v_mul_lo_u32 v6, v6, s18
	s_delay_alu instid0(VALU_DEP_1) | instskip(NEXT) | instid1(VALU_DEP_1)
	v_sub_nc_u32_e32 v5, v5, v6
	v_cmp_lt_u32_e32 vcc_lo, s20, v5
	v_cmpx_ge_u32_e64 s20, v5
; %bb.75:
	v_add_nc_u32_e32 v5, s22, v13
	v_add_nc_u32_e32 v6, s38, v13
	s_delay_alu instid0(VALU_DEP_2) | instskip(NEXT) | instid1(VALU_DEP_2)
	v_mul_lo_u32 v5, v5, s21
	v_mul_lo_u32 v6, v6, s23
	s_delay_alu instid0(VALU_DEP_1) | instskip(NEXT) | instid1(VALU_DEP_1)
	v_sub_nc_u32_e32 v5, v5, v6
	v_cmp_lt_u32_e64 s0, s39, v5
	s_delay_alu instid0(VALU_DEP_1)
	s_and_b32 s3, s0, exec_lo
; %bb.76:
	s_or_b32 exec_lo, exec_lo, s5
	v_cndmask_b32_e64 v54, 0, 1, vcc_lo
	v_cndmask_b32_e64 v52, 0, 1, s3
.LBB654_77:
	s_or_b32 exec_lo, exec_lo, s1
	v_add_nc_u32_e32 v5, 10, v33
	v_mov_b32_e32 v53, 0
	v_mov_b32_e32 v55, 0
	s_mov_b32 s3, 0
	s_mov_b32 s1, exec_lo
	v_cmpx_gt_u32_e64 s4, v5
	s_cbranch_execz .LBB654_81
; %bb.78:
	v_add_nc_u32_e32 v5, s17, v10
	v_add_nc_u32_e32 v6, s19, v10
	s_mov_b32 s5, exec_lo
	s_delay_alu instid0(VALU_DEP_2) | instskip(NEXT) | instid1(VALU_DEP_2)
	v_mul_lo_u32 v5, v5, s16
	v_mul_lo_u32 v6, v6, s18
	s_delay_alu instid0(VALU_DEP_1) | instskip(NEXT) | instid1(VALU_DEP_1)
	v_sub_nc_u32_e32 v5, v5, v6
	v_cmp_lt_u32_e32 vcc_lo, s20, v5
	v_cmpx_ge_u32_e64 s20, v5
; %bb.79:
	v_add_nc_u32_e32 v5, s22, v10
	v_add_nc_u32_e32 v6, s38, v10
	s_delay_alu instid0(VALU_DEP_2) | instskip(NEXT) | instid1(VALU_DEP_2)
	v_mul_lo_u32 v5, v5, s21
	v_mul_lo_u32 v6, v6, s23
	s_delay_alu instid0(VALU_DEP_1) | instskip(NEXT) | instid1(VALU_DEP_1)
	v_sub_nc_u32_e32 v5, v5, v6
	v_cmp_lt_u32_e64 s0, s39, v5
	s_delay_alu instid0(VALU_DEP_1)
	s_and_b32 s3, s0, exec_lo
; %bb.80:
	s_or_b32 exec_lo, exec_lo, s5
	v_cndmask_b32_e64 v55, 0, 1, vcc_lo
	v_cndmask_b32_e64 v53, 0, 1, s3
.LBB654_81:
	s_or_b32 exec_lo, exec_lo, s1
	v_dual_mov_b32 v56, 0 :: v_dual_add_nc_u32 v5, 11, v33
	v_mov_b32_e32 v57, 0
	s_mov_b32 s3, 0
	s_mov_b32 s1, exec_lo
	s_delay_alu instid0(VALU_DEP_2)
	v_cmpx_gt_u32_e64 s4, v5
	s_cbranch_execz .LBB654_85
; %bb.82:
	v_add_nc_u32_e32 v5, s17, v11
	v_add_nc_u32_e32 v6, s19, v11
	s_mov_b32 s5, exec_lo
	s_delay_alu instid0(VALU_DEP_2) | instskip(NEXT) | instid1(VALU_DEP_2)
	v_mul_lo_u32 v5, v5, s16
	v_mul_lo_u32 v6, v6, s18
	s_delay_alu instid0(VALU_DEP_1) | instskip(NEXT) | instid1(VALU_DEP_1)
	v_sub_nc_u32_e32 v5, v5, v6
	v_cmp_lt_u32_e32 vcc_lo, s20, v5
	v_cmpx_ge_u32_e64 s20, v5
; %bb.83:
	v_add_nc_u32_e32 v5, s22, v11
	v_add_nc_u32_e32 v6, s38, v11
	s_delay_alu instid0(VALU_DEP_2) | instskip(NEXT) | instid1(VALU_DEP_2)
	v_mul_lo_u32 v5, v5, s21
	v_mul_lo_u32 v6, v6, s23
	s_delay_alu instid0(VALU_DEP_1) | instskip(NEXT) | instid1(VALU_DEP_1)
	v_sub_nc_u32_e32 v5, v5, v6
	v_cmp_lt_u32_e64 s0, s39, v5
	s_delay_alu instid0(VALU_DEP_1)
	s_and_b32 s3, s0, exec_lo
; %bb.84:
	s_or_b32 exec_lo, exec_lo, s5
	v_cndmask_b32_e64 v56, 0, 1, vcc_lo
	v_cndmask_b32_e64 v57, 0, 1, s3
.LBB654_85:
	s_or_b32 exec_lo, exec_lo, s1
	v_add_nc_u32_e32 v5, 12, v33
	s_mov_b32 s27, 0
	s_mov_b32 s33, 0
	s_mov_b32 s0, exec_lo
	s_delay_alu instid0(VALU_DEP_1)
	v_cmpx_gt_u32_e64 s4, v5
	s_cbranch_execz .LBB654_89
; %bb.86:
	v_add_nc_u32_e32 v5, s17, v32
	v_add_nc_u32_e32 v6, s19, v32
	s_mov_b32 s3, -1
	s_mov_b32 s5, 0
	s_mov_b32 s1, exec_lo
	v_mul_lo_u32 v5, v5, s16
	v_mul_lo_u32 v6, v6, s18
	s_delay_alu instid0(VALU_DEP_1) | instskip(NEXT) | instid1(VALU_DEP_1)
	v_sub_nc_u32_e32 v5, v5, v6
	v_cmpx_ge_u32_e64 s20, v5
; %bb.87:
	v_add_nc_u32_e32 v5, s22, v32
	v_add_nc_u32_e32 v6, s38, v32
	s_xor_b32 s3, exec_lo, -1
	s_delay_alu instid0(VALU_DEP_2) | instskip(NEXT) | instid1(VALU_DEP_2)
	v_mul_lo_u32 v5, v5, s21
	v_mul_lo_u32 v6, v6, s23
	s_delay_alu instid0(VALU_DEP_1) | instskip(NEXT) | instid1(VALU_DEP_1)
	v_sub_nc_u32_e32 v5, v5, v6
	v_cmp_lt_u32_e32 vcc_lo, s39, v5
	s_and_b32 s5, vcc_lo, exec_lo
; %bb.88:
	s_or_b32 exec_lo, exec_lo, s1
	s_delay_alu instid0(SALU_CYCLE_1)
	s_and_b32 s33, s5, exec_lo
	s_and_b32 s27, s3, exec_lo
.LBB654_89:
	s_or_b32 exec_lo, exec_lo, s0
.LBB654_90:
	v_and_b32_e32 v80, 0xff, v34
	v_and_b32_e32 v81, 0xff, v35
	v_and_b32_e32 v76, 0xff, v37
	v_and_b32_e32 v77, 0xff, v40
	v_and_b32_e32 v78, 0xff, v36
	v_and_b32_e32 v79, 0xff, v38
	v_and_b32_e32 v74, 0xff, v41
	v_and_b32_e32 v75, 0xff, v39
	v_and_b32_e32 v72, 0xff, v43
	v_and_b32_e32 v73, 0xff, v42
	v_add3_u32 v5, v76, v78, v80
	v_add3_u32 v6, v77, v79, v81
	v_and_b32_e32 v70, 0xff, v45
	v_and_b32_e32 v71, 0xff, v44
	v_and_b32_e32 v64, 0xff, v47
	v_and_b32_e32 v65, 0xff, v46
	v_add3_u32 v5, v5, v74, v72
	v_add3_u32 v6, v6, v75, v73
	v_and_b32_e32 v68, 0xff, v49
	v_and_b32_e32 v69, 0xff, v48
	v_and_b32_e32 v66, 0xff, v51
	v_and_b32_e32 v67, 0xff, v50
	;; [unrolled: 6-line block ×3, first 2 shown]
	v_add3_u32 v5, v5, v68, v66
	v_add3_u32 v6, v6, v69, v67
	v_mbcnt_lo_u32_b32 v82, -1, 0
	v_and_b32_e32 v58, 0xff, v56
	v_and_b32_e32 v59, 0xff, v57
	v_cndmask_b32_e64 v7, 0, 1, s33
	v_add3_u32 v5, v5, v61, v60
	v_cndmask_b32_e64 v8, 0, 1, s27
	v_add3_u32 v6, v6, v62, v63
	v_and_b32_e32 v86, 15, v82
	v_and_b32_e32 v85, 16, v82
	v_lshrrev_b32_e32 v83, 5, v0
	v_add3_u32 v87, v5, v58, v8
	v_add3_u32 v88, v6, v59, v7
	v_cmp_eq_u32_e64 s1, 0, v86
	v_cmp_lt_u32_e64 s0, 1, v86
	v_cmp_lt_u32_e64 s3, 3, v86
	v_cmp_lt_u32_e32 vcc_lo, 7, v86
	v_or_b32_e32 v84, 31, v0
	s_cmp_lg_u32 s26, 0
	s_mov_b32 s5, -1
	s_cbranch_scc0 .LBB654_123
; %bb.91:
	v_mov_b32_dpp v5, v88 row_shr:1 row_mask:0xf bank_mask:0xf
	v_mov_b32_dpp v6, v87 row_shr:1 row_mask:0xf bank_mask:0xf
	s_delay_alu instid0(VALU_DEP_2) | instskip(NEXT) | instid1(VALU_DEP_2)
	v_add_nc_u32_e32 v5, v5, v88
	v_add_nc_u32_e32 v6, v6, v87
	s_delay_alu instid0(VALU_DEP_2) | instskip(NEXT) | instid1(VALU_DEP_2)
	v_cndmask_b32_e64 v5, v5, v88, s1
	v_cndmask_b32_e64 v6, v6, v87, s1
	s_delay_alu instid0(VALU_DEP_2) | instskip(NEXT) | instid1(VALU_DEP_2)
	v_mov_b32_dpp v7, v5 row_shr:2 row_mask:0xf bank_mask:0xf
	v_mov_b32_dpp v8, v6 row_shr:2 row_mask:0xf bank_mask:0xf
	s_delay_alu instid0(VALU_DEP_2) | instskip(NEXT) | instid1(VALU_DEP_1)
	v_add_nc_u32_e32 v7, v5, v7
	v_cndmask_b32_e64 v5, v5, v7, s0
	s_delay_alu instid0(VALU_DEP_1) | instskip(NEXT) | instid1(VALU_DEP_1)
	v_mov_b32_dpp v7, v5 row_shr:4 row_mask:0xf bank_mask:0xf
	v_add_nc_u32_e32 v7, v5, v7
	s_delay_alu instid0(VALU_DEP_1) | instskip(NEXT) | instid1(VALU_DEP_1)
	v_cndmask_b32_e64 v5, v5, v7, s3
	v_mov_b32_dpp v7, v5 row_shr:8 row_mask:0xf bank_mask:0xf
	s_delay_alu instid0(VALU_DEP_1) | instskip(NEXT) | instid1(VALU_DEP_1)
	v_add_nc_u32_e32 v7, v5, v7
	v_dual_cndmask_b32 v5, v5, v7 :: v_dual_add_nc_u32 v8, v6, v8
	s_delay_alu instid0(VALU_DEP_1) | instskip(NEXT) | instid1(VALU_DEP_1)
	v_cndmask_b32_e64 v6, v6, v8, s0
	v_mov_b32_dpp v8, v6 row_shr:4 row_mask:0xf bank_mask:0xf
	s_delay_alu instid0(VALU_DEP_1) | instskip(NEXT) | instid1(VALU_DEP_1)
	v_add_nc_u32_e32 v8, v6, v8
	v_cndmask_b32_e64 v6, v6, v8, s3
	s_mov_b32 s3, exec_lo
	s_delay_alu instid0(VALU_DEP_1) | instskip(NEXT) | instid1(VALU_DEP_1)
	v_mov_b32_dpp v8, v6 row_shr:8 row_mask:0xf bank_mask:0xf
	v_add_nc_u32_e32 v8, v6, v8
	s_delay_alu instid0(VALU_DEP_1)
	v_cndmask_b32_e32 v7, v6, v8, vcc_lo
	ds_swizzle_b32 v6, v5 offset:swizzle(BROADCAST,32,15)
	v_cmp_eq_u32_e32 vcc_lo, 0, v85
	s_waitcnt lgkmcnt(0)
	v_add_nc_u32_e32 v6, v5, v6
	ds_swizzle_b32 v8, v7 offset:swizzle(BROADCAST,32,15)
	v_cndmask_b32_e32 v6, v6, v5, vcc_lo
	s_waitcnt lgkmcnt(0)
	v_add_nc_u32_e32 v8, v7, v8
	s_delay_alu instid0(VALU_DEP_1)
	v_cndmask_b32_e32 v5, v8, v7, vcc_lo
	v_cmpx_eq_u32_e64 v84, v0
	s_cbranch_execz .LBB654_93
; %bb.92:
	v_lshlrev_b32_e32 v7, 3, v83
	ds_store_b64 v7, v[5:6]
.LBB654_93:
	s_or_b32 exec_lo, exec_lo, s3
	s_delay_alu instid0(SALU_CYCLE_1)
	s_mov_b32 s3, exec_lo
	s_waitcnt lgkmcnt(0)
	s_barrier
	buffer_gl0_inv
	v_cmpx_gt_u32_e32 8, v0
	s_cbranch_execz .LBB654_95
; %bb.94:
	v_lshlrev_b32_e32 v9, 3, v0
	ds_load_b64 v[7:8], v9
	s_waitcnt lgkmcnt(0)
	v_mov_b32_dpp v22, v7 row_shr:1 row_mask:0xf bank_mask:0xf
	v_mov_b32_dpp v23, v8 row_shr:1 row_mask:0xf bank_mask:0xf
	s_delay_alu instid0(VALU_DEP_2) | instskip(SKIP_1) | instid1(VALU_DEP_3)
	v_add_nc_u32_e32 v22, v22, v7
	v_and_b32_e32 v24, 7, v82
	v_add_nc_u32_e32 v23, v23, v8
	s_delay_alu instid0(VALU_DEP_2) | instskip(NEXT) | instid1(VALU_DEP_2)
	v_cmp_eq_u32_e32 vcc_lo, 0, v24
	v_dual_cndmask_b32 v8, v23, v8 :: v_dual_cndmask_b32 v7, v22, v7
	v_cmp_lt_u32_e32 vcc_lo, 1, v24
	s_delay_alu instid0(VALU_DEP_2) | instskip(NEXT) | instid1(VALU_DEP_3)
	v_mov_b32_dpp v23, v8 row_shr:2 row_mask:0xf bank_mask:0xf
	v_mov_b32_dpp v22, v7 row_shr:2 row_mask:0xf bank_mask:0xf
	s_delay_alu instid0(VALU_DEP_2) | instskip(NEXT) | instid1(VALU_DEP_2)
	v_add_nc_u32_e32 v23, v8, v23
	v_add_nc_u32_e32 v22, v7, v22
	s_delay_alu instid0(VALU_DEP_1) | instskip(SKIP_1) | instid1(VALU_DEP_2)
	v_dual_cndmask_b32 v8, v8, v23 :: v_dual_cndmask_b32 v7, v7, v22
	v_cmp_lt_u32_e32 vcc_lo, 3, v24
	v_mov_b32_dpp v23, v8 row_shr:4 row_mask:0xf bank_mask:0xf
	s_delay_alu instid0(VALU_DEP_3) | instskip(NEXT) | instid1(VALU_DEP_1)
	v_mov_b32_dpp v22, v7 row_shr:4 row_mask:0xf bank_mask:0xf
	v_dual_cndmask_b32 v23, 0, v23 :: v_dual_cndmask_b32 v22, 0, v22
	s_delay_alu instid0(VALU_DEP_1) | instskip(NEXT) | instid1(VALU_DEP_2)
	v_add_nc_u32_e32 v8, v23, v8
	v_add_nc_u32_e32 v7, v22, v7
	ds_store_b64 v9, v[7:8]
.LBB654_95:
	s_or_b32 exec_lo, exec_lo, s3
	v_cmp_gt_u32_e32 vcc_lo, 32, v0
	v_cmp_lt_u32_e64 s3, 31, v0
	s_waitcnt lgkmcnt(0)
	s_barrier
	buffer_gl0_inv
                                        ; implicit-def: $vgpr23
	s_and_saveexec_b32 s5, s3
	s_delay_alu instid0(SALU_CYCLE_1)
	s_xor_b32 s3, exec_lo, s5
	s_cbranch_execz .LBB654_97
; %bb.96:
	v_lshl_add_u32 v7, v83, 3, -8
	ds_load_b64 v[22:23], v7
	s_waitcnt lgkmcnt(0)
	v_add_nc_u32_e32 v6, v23, v6
	v_add_nc_u32_e32 v5, v22, v5
.LBB654_97:
	s_and_not1_saveexec_b32 s3, s3
; %bb.98:
                                        ; implicit-def: $vgpr22
; %bb.99:
	s_delay_alu instid0(SALU_CYCLE_1) | instskip(SKIP_1) | instid1(VALU_DEP_1)
	s_or_b32 exec_lo, exec_lo, s3
	v_add_nc_u32_e32 v7, -1, v82
	v_cmp_gt_i32_e64 s3, 0, v7
	s_delay_alu instid0(VALU_DEP_1) | instskip(SKIP_1) | instid1(VALU_DEP_2)
	v_cndmask_b32_e64 v7, v7, v82, s3
	v_cmp_eq_u32_e64 s3, 0, v82
	v_lshlrev_b32_e32 v7, 2, v7
	ds_bpermute_b32 v89, v7, v5
	ds_bpermute_b32 v90, v7, v6
	s_and_saveexec_b32 s5, vcc_lo
	s_cbranch_execz .LBB654_122
; %bb.100:
	v_mov_b32_e32 v8, 0
	ds_load_b64 v[5:6], v8 offset:56
	s_waitcnt lgkmcnt(0)
	v_readfirstlane_b32 s6, v6
	s_and_saveexec_b32 s7, s3
	s_cbranch_execz .LBB654_102
; %bb.101:
	s_add_i32 s8, s26, 32
	s_mov_b32 s9, 0
	v_mov_b32_e32 v7, 1
	s_lshl_b64 s[10:11], s[8:9], 4
	s_mov_b32 s16, s9
	s_add_u32 s10, s36, s10
	s_addc_u32 s11, s37, s11
	s_and_b32 s17, s6, 0xff000000
	s_and_b32 s19, s6, 0xff0000
	s_mov_b32 s18, s9
	v_dual_mov_b32 v25, s11 :: v_dual_mov_b32 v24, s10
	s_or_b64 s[16:17], s[18:19], s[16:17]
	s_and_b32 s19, s6, 0xff00
	s_delay_alu instid0(SALU_CYCLE_1) | instskip(SKIP_1) | instid1(SALU_CYCLE_1)
	s_or_b64 s[16:17], s[16:17], s[18:19]
	s_and_b32 s19, s6, 0xff
	s_or_b64 s[8:9], s[16:17], s[18:19]
	s_delay_alu instid0(SALU_CYCLE_1)
	v_mov_b32_e32 v6, s9
	;;#ASMSTART
	global_store_dwordx4 v[24:25], v[5:8] off	
s_waitcnt vmcnt(0)
	;;#ASMEND
.LBB654_102:
	s_or_b32 exec_lo, exec_lo, s7
	v_xad_u32 v24, v82, -1, s26
	s_mov_b32 s8, 0
	s_mov_b32 s7, exec_lo
	s_delay_alu instid0(VALU_DEP_1) | instskip(NEXT) | instid1(VALU_DEP_1)
	v_add_nc_u32_e32 v7, 32, v24
	v_lshlrev_b64 v[6:7], 4, v[7:8]
	s_delay_alu instid0(VALU_DEP_1) | instskip(NEXT) | instid1(VALU_DEP_2)
	v_add_co_u32 v25, vcc_lo, s36, v6
	v_add_co_ci_u32_e32 v26, vcc_lo, s37, v7, vcc_lo
	;;#ASMSTART
	global_load_dwordx4 v[6:9], v[25:26] off glc	
s_waitcnt vmcnt(0)
	;;#ASMEND
	v_and_b32_e32 v9, 0xff, v7
	v_and_b32_e32 v27, 0xff00, v7
	v_or3_b32 v6, v6, 0, 0
	v_and_b32_e32 v28, 0xff000000, v7
	v_and_b32_e32 v7, 0xff0000, v7
	s_delay_alu instid0(VALU_DEP_4) | instskip(SKIP_2) | instid1(VALU_DEP_3)
	v_or3_b32 v9, 0, v9, v27
	v_and_b32_e32 v27, 0xff, v8
	v_or3_b32 v6, v6, 0, 0
	v_or3_b32 v7, v9, v7, v28
	s_delay_alu instid0(VALU_DEP_3)
	v_cmpx_eq_u16_e32 0, v27
	s_cbranch_execz .LBB654_108
; %bb.103:
	s_mov_b32 s9, 1
	.p2align	6
.LBB654_104:                            ; =>This Loop Header: Depth=1
                                        ;     Child Loop BB654_105 Depth 2
	s_delay_alu instid0(SALU_CYCLE_1)
	s_max_u32 s10, s9, 1
.LBB654_105:                            ;   Parent Loop BB654_104 Depth=1
                                        ; =>  This Inner Loop Header: Depth=2
	s_delay_alu instid0(SALU_CYCLE_1)
	s_add_i32 s10, s10, -1
	s_sleep 1
	s_cmp_eq_u32 s10, 0
	s_cbranch_scc0 .LBB654_105
; %bb.106:                              ;   in Loop: Header=BB654_104 Depth=1
	;;#ASMSTART
	global_load_dwordx4 v[6:9], v[25:26] off glc	
s_waitcnt vmcnt(0)
	;;#ASMEND
	v_and_b32_e32 v9, 0xff, v8
	s_cmp_lt_u32 s9, 32
	s_cselect_b32 s10, -1, 0
	s_delay_alu instid0(SALU_CYCLE_1) | instskip(NEXT) | instid1(VALU_DEP_1)
	s_cmp_lg_u32 s10, 0
	v_cmp_ne_u16_e32 vcc_lo, 0, v9
	s_addc_u32 s9, s9, 0
	s_or_b32 s8, vcc_lo, s8
	s_delay_alu instid0(SALU_CYCLE_1)
	s_and_not1_b32 exec_lo, exec_lo, s8
	s_cbranch_execnz .LBB654_104
; %bb.107:
	s_or_b32 exec_lo, exec_lo, s8
.LBB654_108:
	s_delay_alu instid0(SALU_CYCLE_1) | instskip(SKIP_3) | instid1(VALU_DEP_1)
	s_or_b32 exec_lo, exec_lo, s7
	v_cmp_ne_u32_e32 vcc_lo, 31, v82
	v_lshlrev_b32_e64 v92, v82, -1
	v_add_co_ci_u32_e32 v9, vcc_lo, 0, v82, vcc_lo
	v_lshlrev_b32_e32 v91, 2, v9
	ds_bpermute_b32 v25, v91, v7
	ds_bpermute_b32 v9, v91, v6
	s_waitcnt lgkmcnt(1)
	v_add_nc_u32_e32 v25, v25, v7
	v_and_b32_e32 v26, 0xff, v8
	s_waitcnt lgkmcnt(0)
	v_add_nc_u32_e32 v9, v9, v6
	s_delay_alu instid0(VALU_DEP_2) | instskip(SKIP_2) | instid1(VALU_DEP_2)
	v_cmp_eq_u16_e32 vcc_lo, 2, v26
	v_and_or_b32 v26, vcc_lo, v92, 0x80000000
	v_cmp_gt_u32_e32 vcc_lo, 30, v82
	v_ctz_i32_b32_e32 v26, v26
	v_cndmask_b32_e64 v27, 0, 1, vcc_lo
	s_delay_alu instid0(VALU_DEP_2) | instskip(NEXT) | instid1(VALU_DEP_2)
	v_cmp_lt_u32_e32 vcc_lo, v82, v26
	v_dual_cndmask_b32 v6, v6, v9 :: v_dual_lshlrev_b32 v27, 1, v27
	s_delay_alu instid0(VALU_DEP_1)
	v_add_lshl_u32 v93, v27, v82, 2
	v_cndmask_b32_e32 v7, v7, v25, vcc_lo
	v_cmp_gt_u32_e32 vcc_lo, 28, v82
	ds_bpermute_b32 v9, v93, v6
	ds_bpermute_b32 v25, v93, v7
	v_cndmask_b32_e64 v27, 0, 1, vcc_lo
	s_waitcnt lgkmcnt(1)
	v_add_nc_u32_e32 v9, v6, v9
	s_waitcnt lgkmcnt(0)
	v_add_nc_u32_e32 v25, v7, v25
	v_add_nc_u32_e32 v94, 2, v82
	s_delay_alu instid0(VALU_DEP_1) | instskip(NEXT) | instid1(VALU_DEP_3)
	v_cmp_gt_u32_e32 vcc_lo, v94, v26
	v_cndmask_b32_e32 v7, v25, v7, vcc_lo
	v_dual_cndmask_b32 v6, v9, v6 :: v_dual_lshlrev_b32 v27, 2, v27
	v_cmp_gt_u32_e32 vcc_lo, 24, v82
	s_delay_alu instid0(VALU_DEP_2) | instskip(SKIP_4) | instid1(VALU_DEP_1)
	v_add_lshl_u32 v95, v27, v82, 2
	v_cndmask_b32_e64 v27, 0, 1, vcc_lo
	ds_bpermute_b32 v25, v95, v7
	ds_bpermute_b32 v9, v95, v6
	v_lshlrev_b32_e32 v27, 3, v27
	v_add_lshl_u32 v97, v27, v82, 2
	s_waitcnt lgkmcnt(1)
	v_add_nc_u32_e32 v25, v7, v25
	v_add_nc_u32_e32 v96, 4, v82
	s_waitcnt lgkmcnt(0)
	v_add_nc_u32_e32 v9, v6, v9
	s_delay_alu instid0(VALU_DEP_2) | instskip(SKIP_1) | instid1(VALU_DEP_3)
	v_cmp_gt_u32_e32 vcc_lo, v96, v26
	v_cndmask_b32_e32 v7, v25, v7, vcc_lo
	v_cndmask_b32_e32 v6, v9, v6, vcc_lo
	v_cmp_gt_u32_e32 vcc_lo, 16, v82
	ds_bpermute_b32 v25, v97, v7
	ds_bpermute_b32 v9, v97, v6
	v_cndmask_b32_e64 v27, 0, 1, vcc_lo
	s_delay_alu instid0(VALU_DEP_1) | instskip(NEXT) | instid1(VALU_DEP_1)
	v_lshlrev_b32_e32 v27, 4, v27
	v_add_lshl_u32 v99, v27, v82, 2
	s_waitcnt lgkmcnt(1)
	v_add_nc_u32_e32 v25, v7, v25
	v_add_nc_u32_e32 v98, 8, v82
	s_waitcnt lgkmcnt(0)
	v_add_nc_u32_e32 v9, v6, v9
	s_delay_alu instid0(VALU_DEP_2) | instskip(SKIP_1) | instid1(VALU_DEP_3)
	v_cmp_gt_u32_e32 vcc_lo, v98, v26
	v_cndmask_b32_e32 v7, v25, v7, vcc_lo
	v_cndmask_b32_e32 v6, v9, v6, vcc_lo
	ds_bpermute_b32 v25, v99, v7
	ds_bpermute_b32 v9, v99, v6
	v_add_nc_u32_e32 v100, 16, v82
	s_delay_alu instid0(VALU_DEP_1) | instskip(SKIP_2) | instid1(VALU_DEP_1)
	v_cmp_le_u32_e32 vcc_lo, v100, v26
	s_waitcnt lgkmcnt(0)
	v_cndmask_b32_e32 v9, 0, v9, vcc_lo
	v_dual_cndmask_b32 v25, 0, v25 :: v_dual_add_nc_u32 v6, v9, v6
	s_delay_alu instid0(VALU_DEP_1)
	v_add_nc_u32_e32 v7, v25, v7
	v_mov_b32_e32 v25, 0
	s_branch .LBB654_110
.LBB654_109:                            ;   in Loop: Header=BB654_110 Depth=1
	s_or_b32 exec_lo, exec_lo, s7
	ds_bpermute_b32 v9, v91, v6
	ds_bpermute_b32 v28, v91, v7
	v_subrev_nc_u32_e32 v24, 32, v24
	s_waitcnt lgkmcnt(1)
	v_add_nc_u32_e32 v9, v9, v6
	v_and_b32_e32 v29, 0xff, v8
	s_waitcnt lgkmcnt(0)
	v_add_nc_u32_e32 v28, v28, v7
	s_delay_alu instid0(VALU_DEP_2) | instskip(SKIP_1) | instid1(VALU_DEP_1)
	v_cmp_eq_u16_e32 vcc_lo, 2, v29
	v_and_or_b32 v29, vcc_lo, v92, 0x80000000
	v_ctz_i32_b32_e32 v29, v29
	s_delay_alu instid0(VALU_DEP_1)
	v_cmp_lt_u32_e32 vcc_lo, v82, v29
	v_cndmask_b32_e32 v6, v6, v9, vcc_lo
	ds_bpermute_b32 v9, v93, v6
	s_waitcnt lgkmcnt(0)
	v_add_nc_u32_e32 v9, v6, v9
	v_cndmask_b32_e32 v7, v7, v28, vcc_lo
	v_cmp_gt_u32_e32 vcc_lo, v94, v29
	s_delay_alu instid0(VALU_DEP_3)
	v_cndmask_b32_e32 v6, v9, v6, vcc_lo
	ds_bpermute_b32 v28, v93, v7
	ds_bpermute_b32 v9, v95, v6
	s_waitcnt lgkmcnt(1)
	v_add_nc_u32_e32 v28, v7, v28
	s_waitcnt lgkmcnt(0)
	v_add_nc_u32_e32 v9, v6, v9
	s_delay_alu instid0(VALU_DEP_2) | instskip(SKIP_1) | instid1(VALU_DEP_3)
	v_cndmask_b32_e32 v7, v28, v7, vcc_lo
	v_cmp_gt_u32_e32 vcc_lo, v96, v29
	v_cndmask_b32_e32 v6, v9, v6, vcc_lo
	ds_bpermute_b32 v28, v95, v7
	ds_bpermute_b32 v9, v97, v6
	s_waitcnt lgkmcnt(1)
	v_add_nc_u32_e32 v28, v7, v28
	s_waitcnt lgkmcnt(0)
	v_add_nc_u32_e32 v9, v6, v9
	s_delay_alu instid0(VALU_DEP_2) | instskip(SKIP_1) | instid1(VALU_DEP_3)
	v_cndmask_b32_e32 v7, v28, v7, vcc_lo
	v_cmp_gt_u32_e32 vcc_lo, v98, v29
	v_cndmask_b32_e32 v6, v9, v6, vcc_lo
	ds_bpermute_b32 v28, v97, v7
	ds_bpermute_b32 v9, v99, v6
	s_waitcnt lgkmcnt(1)
	v_add_nc_u32_e32 v28, v7, v28
	s_delay_alu instid0(VALU_DEP_1) | instskip(SKIP_4) | instid1(VALU_DEP_1)
	v_cndmask_b32_e32 v7, v28, v7, vcc_lo
	v_cmp_le_u32_e32 vcc_lo, v100, v29
	ds_bpermute_b32 v28, v99, v7
	s_waitcnt lgkmcnt(1)
	v_cndmask_b32_e32 v9, 0, v9, vcc_lo
	v_add3_u32 v6, v6, v26, v9
	s_waitcnt lgkmcnt(0)
	v_cndmask_b32_e32 v28, 0, v28, vcc_lo
	s_delay_alu instid0(VALU_DEP_1)
	v_add3_u32 v7, v7, v27, v28
.LBB654_110:                            ; =>This Loop Header: Depth=1
                                        ;     Child Loop BB654_113 Depth 2
                                        ;       Child Loop BB654_114 Depth 3
	s_delay_alu instid0(VALU_DEP_1) | instskip(SKIP_1) | instid1(VALU_DEP_2)
	v_dual_mov_b32 v27, v7 :: v_dual_and_b32 v8, 0xff, v8
	v_mov_b32_e32 v26, v6
	v_cmp_ne_u16_e32 vcc_lo, 2, v8
	v_cndmask_b32_e64 v8, 0, 1, vcc_lo
	;;#ASMSTART
	;;#ASMEND
	s_delay_alu instid0(VALU_DEP_1)
	v_cmp_ne_u32_e32 vcc_lo, 0, v8
	s_cmp_lg_u32 vcc_lo, exec_lo
	s_cbranch_scc1 .LBB654_117
; %bb.111:                              ;   in Loop: Header=BB654_110 Depth=1
	v_lshlrev_b64 v[6:7], 4, v[24:25]
	s_mov_b32 s7, exec_lo
	s_delay_alu instid0(VALU_DEP_1) | instskip(NEXT) | instid1(VALU_DEP_2)
	v_add_co_u32 v28, vcc_lo, s36, v6
	v_add_co_ci_u32_e32 v29, vcc_lo, s37, v7, vcc_lo
	;;#ASMSTART
	global_load_dwordx4 v[6:9], v[28:29] off glc	
s_waitcnt vmcnt(0)
	;;#ASMEND
	v_and_b32_e32 v9, 0xff, v7
	v_and_b32_e32 v101, 0xff00, v7
	v_or3_b32 v6, v6, 0, 0
	v_and_b32_e32 v102, 0xff000000, v7
	v_and_b32_e32 v7, 0xff0000, v7
	s_delay_alu instid0(VALU_DEP_4) | instskip(SKIP_2) | instid1(VALU_DEP_3)
	v_or3_b32 v9, 0, v9, v101
	v_and_b32_e32 v101, 0xff, v8
	v_or3_b32 v6, v6, 0, 0
	v_or3_b32 v7, v9, v7, v102
	s_delay_alu instid0(VALU_DEP_3)
	v_cmpx_eq_u16_e32 0, v101
	s_cbranch_execz .LBB654_109
; %bb.112:                              ;   in Loop: Header=BB654_110 Depth=1
	s_mov_b32 s9, 1
	s_mov_b32 s8, 0
	.p2align	6
.LBB654_113:                            ;   Parent Loop BB654_110 Depth=1
                                        ; =>  This Loop Header: Depth=2
                                        ;       Child Loop BB654_114 Depth 3
	s_max_u32 s10, s9, 1
.LBB654_114:                            ;   Parent Loop BB654_110 Depth=1
                                        ;     Parent Loop BB654_113 Depth=2
                                        ; =>    This Inner Loop Header: Depth=3
	s_delay_alu instid0(SALU_CYCLE_1)
	s_add_i32 s10, s10, -1
	s_sleep 1
	s_cmp_eq_u32 s10, 0
	s_cbranch_scc0 .LBB654_114
; %bb.115:                              ;   in Loop: Header=BB654_113 Depth=2
	;;#ASMSTART
	global_load_dwordx4 v[6:9], v[28:29] off glc	
s_waitcnt vmcnt(0)
	;;#ASMEND
	v_and_b32_e32 v9, 0xff, v8
	s_cmp_lt_u32 s9, 32
	s_cselect_b32 s10, -1, 0
	s_delay_alu instid0(SALU_CYCLE_1) | instskip(NEXT) | instid1(VALU_DEP_1)
	s_cmp_lg_u32 s10, 0
	v_cmp_ne_u16_e32 vcc_lo, 0, v9
	s_addc_u32 s9, s9, 0
	s_or_b32 s8, vcc_lo, s8
	s_delay_alu instid0(SALU_CYCLE_1)
	s_and_not1_b32 exec_lo, exec_lo, s8
	s_cbranch_execnz .LBB654_113
; %bb.116:                              ;   in Loop: Header=BB654_110 Depth=1
	s_or_b32 exec_lo, exec_lo, s8
	s_branch .LBB654_109
.LBB654_117:                            ;   in Loop: Header=BB654_110 Depth=1
                                        ; implicit-def: $vgpr8
                                        ; implicit-def: $vgpr6_vgpr7
	s_cbranch_execz .LBB654_110
; %bb.118:
	s_and_saveexec_b32 s7, s3
	s_cbranch_execnz .LBB654_361
; %bb.119:
	s_or_b32 exec_lo, exec_lo, s7
	s_and_saveexec_b32 s7, s3
	s_cbranch_execnz .LBB654_362
.LBB654_120:
	s_or_b32 exec_lo, exec_lo, s7
	s_delay_alu instid0(SALU_CYCLE_1)
	s_and_b32 exec_lo, exec_lo, s2
	s_cbranch_execz .LBB654_122
.LBB654_121:
	v_mov_b32_e32 v5, 0
	ds_store_b64 v5, v[26:27] offset:56
.LBB654_122:
	s_or_b32 exec_lo, exec_lo, s5
	s_waitcnt lgkmcnt(1)
	v_cndmask_b32_e64 v22, v89, v22, s3
	v_mov_b32_e32 v5, 0
	s_waitcnt lgkmcnt(0)
	s_barrier
	buffer_gl0_inv
	v_add_nc_u32_e64 v7, 0x3400, 0
	ds_load_b64 v[24:25], v5 offset:56
	s_waitcnt lgkmcnt(0)
	s_barrier
	buffer_gl0_inv
	ds_load_2addr_b32 v[5:6], v7 offset1:2
	ds_load_2addr_b32 v[7:8], v7 offset0:4 offset1:6
	v_cndmask_b32_e64 v9, v90, v23, s3
	v_add_nc_u32_e32 v22, v24, v22
	s_delay_alu instid0(VALU_DEP_2) | instskip(NEXT) | instid1(VALU_DEP_2)
	v_add_nc_u32_e32 v9, v25, v9
	v_cndmask_b32_e64 v22, v22, v24, s2
	s_delay_alu instid0(VALU_DEP_2)
	v_cndmask_b32_e64 v9, v9, v25, s2
	s_branch .LBB654_133
.LBB654_123:
                                        ; implicit-def: $vgpr9
                                        ; implicit-def: $vgpr7
                                        ; implicit-def: $vgpr5
                                        ; implicit-def: $vgpr22_vgpr23
	s_and_b32 vcc_lo, exec_lo, s5
	s_cbranch_vccz .LBB654_133
; %bb.124:
	s_waitcnt lgkmcnt(1)
	v_mov_b32_dpp v6, v88 row_shr:1 row_mask:0xf bank_mask:0xf
	v_cmp_lt_u32_e32 vcc_lo, 3, v86
	v_mov_b32_dpp v5, v87 row_shr:1 row_mask:0xf bank_mask:0xf
	s_delay_alu instid0(VALU_DEP_3) | instskip(NEXT) | instid1(VALU_DEP_1)
	v_add_nc_u32_e32 v6, v6, v88
	v_cndmask_b32_e64 v6, v6, v88, s1
	s_waitcnt lgkmcnt(0)
	s_delay_alu instid0(VALU_DEP_1) | instskip(NEXT) | instid1(VALU_DEP_1)
	v_mov_b32_dpp v8, v6 row_shr:2 row_mask:0xf bank_mask:0xf
	v_add_nc_u32_e32 v8, v6, v8
	s_delay_alu instid0(VALU_DEP_1) | instskip(NEXT) | instid1(VALU_DEP_1)
	v_cndmask_b32_e64 v6, v6, v8, s0
	v_mov_b32_dpp v8, v6 row_shr:4 row_mask:0xf bank_mask:0xf
	s_delay_alu instid0(VALU_DEP_1) | instskip(NEXT) | instid1(VALU_DEP_1)
	v_add_nc_u32_e32 v8, v6, v8
	v_dual_cndmask_b32 v6, v6, v8 :: v_dual_add_nc_u32 v5, v5, v87
	s_delay_alu instid0(VALU_DEP_1) | instskip(NEXT) | instid1(VALU_DEP_2)
	v_cndmask_b32_e64 v5, v5, v87, s1
	v_mov_b32_dpp v8, v6 row_shr:8 row_mask:0xf bank_mask:0xf
	s_delay_alu instid0(VALU_DEP_2) | instskip(NEXT) | instid1(VALU_DEP_2)
	v_mov_b32_dpp v7, v5 row_shr:2 row_mask:0xf bank_mask:0xf
	v_add_nc_u32_e32 v8, v6, v8
	s_delay_alu instid0(VALU_DEP_2) | instskip(NEXT) | instid1(VALU_DEP_1)
	v_add_nc_u32_e32 v7, v5, v7
	v_cndmask_b32_e64 v5, v5, v7, s0
	s_mov_b32 s0, exec_lo
	s_delay_alu instid0(VALU_DEP_1) | instskip(NEXT) | instid1(VALU_DEP_1)
	v_mov_b32_dpp v7, v5 row_shr:4 row_mask:0xf bank_mask:0xf
	v_add_nc_u32_e32 v7, v5, v7
	s_delay_alu instid0(VALU_DEP_1) | instskip(SKIP_1) | instid1(VALU_DEP_2)
	v_cndmask_b32_e32 v5, v5, v7, vcc_lo
	v_cmp_lt_u32_e32 vcc_lo, 7, v86
	v_mov_b32_dpp v7, v5 row_shr:8 row_mask:0xf bank_mask:0xf
	s_delay_alu instid0(VALU_DEP_1) | instskip(NEXT) | instid1(VALU_DEP_1)
	v_dual_cndmask_b32 v6, v6, v8 :: v_dual_add_nc_u32 v7, v5, v7
	v_cndmask_b32_e32 v5, v5, v7, vcc_lo
	ds_swizzle_b32 v7, v6 offset:swizzle(BROADCAST,32,15)
	v_cmp_eq_u32_e32 vcc_lo, 0, v85
	ds_swizzle_b32 v8, v5 offset:swizzle(BROADCAST,32,15)
	s_waitcnt lgkmcnt(1)
	v_add_nc_u32_e32 v7, v6, v7
	s_waitcnt lgkmcnt(0)
	v_add_nc_u32_e32 v8, v5, v8
	s_delay_alu instid0(VALU_DEP_1)
	v_dual_cndmask_b32 v6, v7, v6 :: v_dual_cndmask_b32 v5, v8, v5
	v_cmpx_eq_u32_e64 v84, v0
	s_cbranch_execz .LBB654_126
; %bb.125:
	v_lshlrev_b32_e32 v7, 3, v83
	ds_store_b64 v7, v[5:6]
.LBB654_126:
	s_or_b32 exec_lo, exec_lo, s0
	s_delay_alu instid0(SALU_CYCLE_1)
	s_mov_b32 s0, exec_lo
	s_waitcnt lgkmcnt(0)
	s_barrier
	buffer_gl0_inv
	v_cmpx_gt_u32_e32 8, v0
	s_cbranch_execz .LBB654_128
; %bb.127:
	v_lshlrev_b32_e32 v9, 3, v0
	ds_load_b64 v[7:8], v9
	s_waitcnt lgkmcnt(0)
	v_mov_b32_dpp v22, v7 row_shr:1 row_mask:0xf bank_mask:0xf
	v_mov_b32_dpp v23, v8 row_shr:1 row_mask:0xf bank_mask:0xf
	s_delay_alu instid0(VALU_DEP_2) | instskip(SKIP_1) | instid1(VALU_DEP_3)
	v_add_nc_u32_e32 v22, v22, v7
	v_and_b32_e32 v24, 7, v82
	v_add_nc_u32_e32 v23, v23, v8
	s_delay_alu instid0(VALU_DEP_2) | instskip(NEXT) | instid1(VALU_DEP_2)
	v_cmp_eq_u32_e32 vcc_lo, 0, v24
	v_dual_cndmask_b32 v8, v23, v8 :: v_dual_cndmask_b32 v7, v22, v7
	v_cmp_lt_u32_e32 vcc_lo, 1, v24
	s_delay_alu instid0(VALU_DEP_2) | instskip(NEXT) | instid1(VALU_DEP_3)
	v_mov_b32_dpp v23, v8 row_shr:2 row_mask:0xf bank_mask:0xf
	v_mov_b32_dpp v22, v7 row_shr:2 row_mask:0xf bank_mask:0xf
	s_delay_alu instid0(VALU_DEP_2) | instskip(NEXT) | instid1(VALU_DEP_2)
	v_add_nc_u32_e32 v23, v8, v23
	v_add_nc_u32_e32 v22, v7, v22
	s_delay_alu instid0(VALU_DEP_1) | instskip(SKIP_1) | instid1(VALU_DEP_2)
	v_dual_cndmask_b32 v8, v8, v23 :: v_dual_cndmask_b32 v7, v7, v22
	v_cmp_lt_u32_e32 vcc_lo, 3, v24
	v_mov_b32_dpp v23, v8 row_shr:4 row_mask:0xf bank_mask:0xf
	s_delay_alu instid0(VALU_DEP_3) | instskip(NEXT) | instid1(VALU_DEP_1)
	v_mov_b32_dpp v22, v7 row_shr:4 row_mask:0xf bank_mask:0xf
	v_dual_cndmask_b32 v23, 0, v23 :: v_dual_cndmask_b32 v22, 0, v22
	s_delay_alu instid0(VALU_DEP_1) | instskip(NEXT) | instid1(VALU_DEP_2)
	v_add_nc_u32_e32 v8, v23, v8
	v_add_nc_u32_e32 v7, v22, v7
	ds_store_b64 v9, v[7:8]
.LBB654_128:
	s_or_b32 exec_lo, exec_lo, s0
	v_dual_mov_b32 v7, 0 :: v_dual_mov_b32 v22, 0
	v_mov_b32_e32 v23, 0
	s_mov_b32 s0, exec_lo
	s_waitcnt lgkmcnt(0)
	s_barrier
	buffer_gl0_inv
	v_cmpx_lt_u32_e32 31, v0
	s_cbranch_execz .LBB654_130
; %bb.129:
	v_lshl_add_u32 v8, v83, 3, -8
	ds_load_b64 v[22:23], v8
.LBB654_130:
	s_or_b32 exec_lo, exec_lo, s0
	v_add_nc_u32_e32 v8, -1, v82
	s_waitcnt lgkmcnt(0)
	v_add_nc_u32_e32 v24, v23, v6
	v_add_nc_u32_e32 v9, v22, v5
	ds_load_b64 v[5:6], v7 offset:56
	v_cmp_gt_i32_e32 vcc_lo, 0, v8
	v_cndmask_b32_e32 v8, v8, v82, vcc_lo
	s_delay_alu instid0(VALU_DEP_1)
	v_lshlrev_b32_e32 v8, 2, v8
	ds_bpermute_b32 v9, v8, v9
	ds_bpermute_b32 v24, v8, v24
	s_waitcnt lgkmcnt(2)
	v_readfirstlane_b32 s0, v6
	s_and_saveexec_b32 s1, s2
	s_cbranch_execz .LBB654_132
; %bb.131:
	s_mov_b32 s8, 0
	s_add_u32 s6, s36, 0x200
	s_addc_u32 s7, s37, 0
	s_and_b32 s9, s0, 0xff000000
	s_and_b32 s11, s0, 0xff0000
	s_mov_b32 s10, s8
	v_mov_b32_e32 v26, s7
	s_or_b64 s[10:11], s[10:11], s[8:9]
	s_and_b32 s9, s0, 0xff00
	v_dual_mov_b32 v8, 0 :: v_dual_mov_b32 v25, s6
	s_or_b64 s[10:11], s[10:11], s[8:9]
	s_and_b32 s9, s0, 0xff
	v_mov_b32_e32 v7, 2
	s_or_b64 s[8:9], s[10:11], s[8:9]
	s_delay_alu instid0(SALU_CYCLE_1)
	v_mov_b32_e32 v6, s9
	;;#ASMSTART
	global_store_dwordx4 v[25:26], v[5:8] off	
s_waitcnt vmcnt(0)
	;;#ASMEND
.LBB654_132:
	s_or_b32 exec_lo, exec_lo, s1
	v_cmp_eq_u32_e32 vcc_lo, 0, v82
	v_dual_mov_b32 v7, 0 :: v_dual_mov_b32 v6, s0
	s_waitcnt lgkmcnt(0)
	s_barrier
	v_dual_cndmask_b32 v8, v9, v22 :: v_dual_cndmask_b32 v9, v24, v23
	buffer_gl0_inv
	v_cndmask_b32_e64 v22, v8, 0, s2
	v_cndmask_b32_e64 v9, v9, 0, s2
	v_mov_b32_e32 v8, 0
.LBB654_133:
	s_delay_alu instid0(VALU_DEP_1) | instskip(SKIP_1) | instid1(VALU_DEP_2)
	v_add_nc_u32_e32 v24, v9, v81
	s_waitcnt lgkmcnt(0)
	v_sub_nc_u32_e32 v9, v9, v8
	v_add_co_u32 v1, vcc_lo, v1, v7
	v_and_b32_e32 v35, 1, v35
	v_add_nc_u32_e32 v26, v24, v77
	v_sub_nc_u32_e32 v24, v24, v8
	v_lshlrev_b32_e32 v77, 1, v5
	v_add_nc_u32_e32 v9, v9, v5
	v_add_co_ci_u32_e32 v2, vcc_lo, 0, v2, vcc_lo
	v_add_nc_u32_e32 v28, v26, v79
	s_delay_alu instid0(VALU_DEP_4)
	v_add3_u32 v33, v77, v6, v33
	v_and_b32_e32 v40, 1, v40
	v_and_b32_e32 v37, 1, v37
	;; [unrolled: 1-line block ×3, first 2 shown]
	v_add_nc_u32_e32 v29, v28, v75
	v_sub_nc_u32_e32 v28, v28, v8
	v_sub_co_u32 v75, vcc_lo, v3, v5
	s_add_u32 s1, s14, -4
	s_delay_alu instid0(VALU_DEP_3) | instskip(SKIP_4) | instid1(VALU_DEP_3)
	v_add_nc_u32_e32 v73, v29, v73
	v_sub_nc_u32_e32 v29, v29, v8
	v_add_nc_u32_e32 v28, v28, v5
	v_add_nc_u32_e32 v24, v24, v5
	s_mov_b32 s3, -1
	v_add_nc_u32_e32 v29, v29, v5
	v_add_nc_u32_e32 v23, v22, v80
	v_sub_nc_u32_e32 v22, v22, v7
	s_delay_alu instid0(VALU_DEP_2) | instskip(SKIP_3) | instid1(VALU_DEP_3)
	v_add_nc_u32_e32 v25, v23, v76
	v_sub_nc_u32_e32 v23, v23, v7
	v_subrev_co_ci_u32_e32 v76, vcc_lo, 0, v4, vcc_lo
	v_cmp_eq_u32_e32 vcc_lo, 1, v35
	v_add_nc_u32_e32 v79, v24, v23
	s_delay_alu instid0(VALU_DEP_1) | instskip(NEXT) | instid1(VALU_DEP_1)
	v_sub_nc_u32_e32 v79, v33, v79
	v_add_nc_u32_e32 v79, 1, v79
	v_add_nc_u32_e32 v27, v25, v78
	;; [unrolled: 1-line block ×3, first 2 shown]
	s_delay_alu instid0(VALU_DEP_1) | instskip(NEXT) | instid1(VALU_DEP_1)
	v_sub_nc_u32_e32 v78, v33, v78
	v_dual_cndmask_b32 v9, v78, v9 :: v_dual_and_b32 v34, 1, v34
	v_cmp_eq_u32_e32 vcc_lo, 1, v40
	v_cndmask_b32_e32 v24, v79, v24, vcc_lo
	s_delay_alu instid0(VALU_DEP_3) | instskip(NEXT) | instid1(VALU_DEP_4)
	v_cmp_eq_u32_e32 vcc_lo, 1, v34
	v_cndmask_b32_e32 v9, v9, v22, vcc_lo
	v_sub_nc_u32_e32 v26, v26, v8
	v_cmp_eq_u32_e32 vcc_lo, 1, v37
	v_and_b32_e32 v37, 1, v38
	s_delay_alu instid0(VALU_DEP_4) | instskip(NEXT) | instid1(VALU_DEP_4)
	v_lshlrev_b32_e32 v9, 2, v9
	v_add_nc_u32_e32 v26, v26, v5
	v_cndmask_b32_e32 v24, v24, v23, vcc_lo
	v_sub_nc_u32_e32 v25, v25, v7
	v_add_co_u32 v22, vcc_lo, v75, v8
	v_add_co_ci_u32_e32 v23, vcc_lo, 0, v76, vcc_lo
	s_delay_alu instid0(VALU_DEP_3)
	v_add_nc_u32_e32 v34, v26, v25
	v_cmp_eq_u32_e32 vcc_lo, 1, v37
	v_lshlrev_b32_e32 v24, 2, v24
	ds_store_b32 v9, v20
	v_sub_nc_u32_e32 v34, v33, v34
	ds_store_b32 v24, v21
	v_and_b32_e32 v24, 1, v39
	v_add_nc_u32_e32 v34, 2, v34
	s_delay_alu instid0(VALU_DEP_1) | instskip(SKIP_3) | instid1(VALU_DEP_4)
	v_cndmask_b32_e32 v26, v34, v26, vcc_lo
	v_cmp_eq_u32_e32 vcc_lo, 1, v36
	v_add_nc_u32_e32 v74, v27, v74
	v_sub_nc_u32_e32 v27, v27, v7
	v_cndmask_b32_e32 v25, v26, v25, vcc_lo
	s_delay_alu instid0(VALU_DEP_3) | instskip(NEXT) | instid1(VALU_DEP_3)
	v_sub_nc_u32_e32 v37, v74, v7
	v_add_nc_u32_e32 v34, v27, v28
	v_cmp_eq_u32_e32 vcc_lo, 1, v24
	v_sub_nc_u32_e32 v26, v73, v8
	v_lshlrev_b32_e32 v21, 2, v25
	v_and_b32_e32 v25, 1, v41
	v_sub_nc_u32_e32 v9, v33, v34
	v_add_nc_u32_e32 v20, v37, v29
	v_and_b32_e32 v24, 1, v42
	v_add_nc_u32_e32 v26, v26, v5
	ds_store_b32 v21, v18
	v_add_nc_u32_e32 v9, 3, v9
	v_sub_nc_u32_e32 v20, v33, v20
	s_delay_alu instid0(VALU_DEP_2) | instskip(SKIP_2) | instid1(VALU_DEP_4)
	v_cndmask_b32_e32 v9, v9, v28, vcc_lo
	v_cmp_eq_u32_e32 vcc_lo, 1, v25
	v_add_nc_u32_e32 v72, v74, v72
	v_add_nc_u32_e32 v20, 4, v20
	v_and_b32_e32 v25, 1, v43
	v_cndmask_b32_e32 v9, v9, v27, vcc_lo
	s_delay_alu instid0(VALU_DEP_4)
	v_sub_nc_u32_e32 v28, v72, v7
	v_cmp_eq_u32_e32 vcc_lo, 1, v24
	v_and_b32_e32 v24, 1, v44
	v_add_nc_u32_e32 v70, v72, v70
	v_lshlrev_b32_e32 v9, 2, v9
	v_add_nc_u32_e32 v27, v28, v26
	v_cndmask_b32_e32 v20, v20, v29, vcc_lo
	v_cmp_eq_u32_e32 vcc_lo, 1, v25
	v_and_b32_e32 v25, 1, v45
	v_add_nc_u32_e32 v64, v70, v64
	v_sub_nc_u32_e32 v18, v33, v27
	v_sub_nc_u32_e32 v27, v70, v7
	v_cndmask_b32_e32 v20, v20, v37, vcc_lo
	v_cmp_eq_u32_e32 vcc_lo, 1, v24
	ds_store_b32 v9, v19
	v_add_nc_u32_e32 v18, 5, v18
	v_and_b32_e32 v19, 1, v46
	v_lshlrev_b32_e32 v20, 2, v20
	v_add_nc_u32_e32 v68, v64, v68
	s_delay_alu instid0(VALU_DEP_4)
	v_cndmask_b32_e32 v18, v18, v26, vcc_lo
	v_cmp_eq_u32_e32 vcc_lo, 1, v25
	v_sub_nc_u32_e32 v25, v64, v7
	ds_store_b32 v20, v16
	v_and_b32_e32 v20, 1, v49
	v_add_nc_u32_e32 v66, v68, v66
	v_dual_cndmask_b32 v18, v18, v28 :: v_dual_add_nc_u32 v71, v73, v71
	v_cmp_eq_u32_e32 vcc_lo, 1, v19
	v_and_b32_e32 v19, 1, v48
	s_delay_alu instid0(VALU_DEP_4) | instskip(NEXT) | instid1(VALU_DEP_4)
	v_add_nc_u32_e32 v61, v66, v61
	v_lshlrev_b32_e32 v18, 2, v18
	v_add_nc_u32_e32 v65, v71, v65
	v_sub_nc_u32_e32 v21, v71, v8
	s_delay_alu instid0(VALU_DEP_4)
	v_add_nc_u32_e32 v60, v61, v60
	ds_store_b32 v18, v17
	v_sub_nc_u32_e32 v24, v65, v8
	v_add_nc_u32_e32 v21, v21, v5
	v_add_nc_u32_e32 v69, v65, v69
	v_and_b32_e32 v17, 1, v47
	s_delay_alu instid0(VALU_DEP_4) | instskip(NEXT) | instid1(VALU_DEP_4)
	v_add_nc_u32_e32 v24, v24, v5
	v_add_nc_u32_e32 v26, v27, v21
	s_delay_alu instid0(VALU_DEP_4) | instskip(NEXT) | instid1(VALU_DEP_3)
	v_sub_nc_u32_e32 v18, v69, v8
	v_add_nc_u32_e32 v16, v25, v24
	s_delay_alu instid0(VALU_DEP_3) | instskip(NEXT) | instid1(VALU_DEP_3)
	v_sub_nc_u32_e32 v9, v33, v26
	v_add_nc_u32_e32 v18, v18, v5
	v_sub_nc_u32_e32 v26, v60, v7
	s_delay_alu instid0(VALU_DEP_4) | instskip(NEXT) | instid1(VALU_DEP_4)
	v_sub_nc_u32_e32 v16, v33, v16
	v_add_nc_u32_e32 v9, 6, v9
	s_delay_alu instid0(VALU_DEP_1) | instskip(SKIP_2) | instid1(VALU_DEP_3)
	v_dual_cndmask_b32 v9, v9, v21 :: v_dual_add_nc_u32 v16, 7, v16
	v_cmp_eq_u32_e32 vcc_lo, 1, v19
	v_sub_nc_u32_e32 v21, v68, v7
	v_cndmask_b32_e32 v16, v16, v24, vcc_lo
	v_cmp_eq_u32_e32 vcc_lo, 1, v17
	s_delay_alu instid0(VALU_DEP_3) | instskip(SKIP_3) | instid1(VALU_DEP_4)
	v_add_nc_u32_e32 v17, v21, v18
	v_cndmask_b32_e32 v9, v9, v27, vcc_lo
	v_cmp_eq_u32_e32 vcc_lo, 1, v20
	v_add_nc_u32_e32 v67, v69, v67
	v_sub_nc_u32_e32 v17, v33, v17
	v_sub_nc_u32_e32 v20, v66, v7
	v_lshlrev_b32_e32 v9, 2, v9
	v_cndmask_b32_e32 v16, v16, v25, vcc_lo
	v_sub_nc_u32_e32 v19, v67, v8
	v_add_nc_u32_e32 v62, v67, v62
	v_sub_nc_u32_e32 v25, v61, v7
	ds_store_b32 v9, v14
	v_and_b32_e32 v9, 1, v50
	v_add_nc_u32_e32 v19, v19, v5
	v_add_nc_u32_e32 v14, 8, v17
	v_lshlrev_b32_e32 v16, 2, v16
	v_add_nc_u32_e32 v63, v62, v63
	v_cmp_eq_u32_e32 vcc_lo, 1, v9
	v_add_nc_u32_e32 v17, v20, v19
	ds_store_b32 v16, v15
	v_and_b32_e32 v15, 1, v51
	v_cndmask_b32_e32 v9, v14, v18, vcc_lo
	v_sub_nc_u32_e32 v14, v33, v17
	v_and_b32_e32 v18, 1, v52
	v_sub_nc_u32_e32 v17, v62, v8
	v_and_b32_e32 v16, 1, v54
	v_sub_nc_u32_e32 v24, v63, v8
	v_add_nc_u32_e32 v14, 9, v14
	v_cmp_eq_u32_e32 vcc_lo, 1, v18
	v_add_nc_u32_e32 v17, v17, v5
	v_add_nc_u32_e32 v35, v63, v59
	;; [unrolled: 1-line block ×3, first 2 shown]
	v_cndmask_b32_e32 v14, v14, v19, vcc_lo
	v_cmp_eq_u32_e32 vcc_lo, 1, v15
	v_add_nc_u32_e32 v15, v25, v17
	s_delay_alu instid0(VALU_DEP_4)
	v_add_nc_u32_e32 v18, v26, v24
	v_and_b32_e32 v19, 1, v55
	v_cndmask_b32_e32 v9, v9, v21, vcc_lo
	v_cmp_eq_u32_e32 vcc_lo, 1, v16
	v_sub_nc_u32_e32 v15, v33, v15
	v_sub_nc_u32_e32 v18, v33, v18
	v_and_b32_e32 v21, 1, v57
	v_sub_nc_u32_e32 v16, v35, v8
	v_cndmask_b32_e32 v14, v14, v20, vcc_lo
	v_and_b32_e32 v20, 1, v53
	v_add_nc_u32_e32 v15, 10, v15
	v_add_nc_u32_e32 v18, 11, v18
	;; [unrolled: 1-line block ×3, first 2 shown]
	v_lshlrev_b32_e32 v9, 2, v9
	v_cmp_eq_u32_e32 vcc_lo, 1, v20
	v_dual_cndmask_b32 v15, v15, v17 :: v_dual_lshlrev_b32 v14, 2, v14
	v_cmp_eq_u32_e32 vcc_lo, 1, v21
	v_and_b32_e32 v17, 1, v56
	v_cndmask_b32_e32 v18, v18, v24, vcc_lo
	v_cmp_eq_u32_e32 vcc_lo, 1, v19
	v_cndmask_b32_e32 v15, v15, v25, vcc_lo
	s_delay_alu instid0(VALU_DEP_4) | instskip(NEXT) | instid1(VALU_DEP_2)
	v_cmp_eq_u32_e32 vcc_lo, 1, v17
	v_lshlrev_b32_e32 v15, 2, v15
	v_cndmask_b32_e32 v17, v18, v26, vcc_lo
	v_add_nc_u32_e32 v40, v60, v58
	s_delay_alu instid0(VALU_DEP_2) | instskip(NEXT) | instid1(VALU_DEP_2)
	v_lshlrev_b32_e32 v17, 2, v17
	v_sub_nc_u32_e32 v7, v40, v7
	ds_store_b32 v9, v12
	ds_store_b32 v14, v13
	;; [unrolled: 1-line block ×4, first 2 shown]
	v_add_co_u32 v9, s0, v6, v77
	s_delay_alu instid0(VALU_DEP_1) | instskip(SKIP_1) | instid1(VALU_DEP_3)
	v_add_co_ci_u32_e64 v10, null, 0, 0, s0
	v_add_nc_u32_e32 v27, v7, v16
	v_add_co_u32 v9, vcc_lo, v9, v22
	s_delay_alu instid0(VALU_DEP_3) | instskip(NEXT) | instid1(VALU_DEP_3)
	v_add_co_ci_u32_e32 v10, vcc_lo, v10, v23, vcc_lo
	v_sub_nc_u32_e32 v20, v33, v27
	v_add_co_u32 v11, s0, s34, v30
	s_delay_alu instid0(VALU_DEP_4) | instskip(NEXT) | instid1(VALU_DEP_3)
	v_add_co_u32 v9, vcc_lo, v9, v1
	v_add_nc_u32_e32 v18, 12, v20
	v_add_co_ci_u32_e64 v12, null, s35, 0, s0
	v_add_co_ci_u32_e32 v10, vcc_lo, v10, v2, vcc_lo
	s_delay_alu instid0(VALU_DEP_3) | instskip(SKIP_1) | instid1(VALU_DEP_2)
	v_cndmask_b32_e64 v16, v18, v16, s33
	v_add_nc_u32_e32 v14, v5, v6
	v_cndmask_b32_e64 v7, v16, v7, s27
	s_delay_alu instid0(VALU_DEP_1)
	v_lshlrev_b32_e32 v7, 2, v7
	ds_store_b32 v7, v32
	v_sub_co_u32 v7, vcc_lo, v11, v9
	v_sub_co_ci_u32_e32 v13, vcc_lo, v12, v10, vcc_lo
	v_lshlrev_b64 v[9:10], 2, v[22:23]
	v_lshlrev_b64 v[11:12], 2, v[1:2]
	s_waitcnt lgkmcnt(0)
	s_barrier
	buffer_gl0_inv
	v_add_co_u32 v9, vcc_lo, s30, v9
	v_add_co_ci_u32_e32 v10, vcc_lo, s31, v10, vcc_lo
	v_cmp_ne_u32_e32 vcc_lo, 1, v31
	v_add_co_u32 v11, s0, s28, v11
	s_delay_alu instid0(VALU_DEP_1)
	v_add_co_ci_u32_e64 v12, s0, s29, v12, s0
	s_addc_u32 s0, s15, -1
	s_cbranch_vccz .LBB654_137
; %bb.134:
	s_and_b32 vcc_lo, exec_lo, s3
	s_cbranch_vccnz .LBB654_242
.LBB654_135:
	s_and_b32 s0, s2, s13
	s_delay_alu instid0(SALU_CYCLE_1)
	s_and_saveexec_b32 s1, s0
	s_cbranch_execnz .LBB654_360
.LBB654_136:
	s_nop 0
	s_sendmsg sendmsg(MSG_DEALLOC_VGPRS)
	s_endpgm
.LBB654_137:
	s_mov_b32 s3, exec_lo
	v_cmpx_le_u32_e64 v5, v0
	s_xor_b32 s3, exec_lo, s3
	s_cbranch_execz .LBB654_143
; %bb.138:
	s_mov_b32 s5, exec_lo
	v_cmpx_le_u32_e64 v14, v0
	s_xor_b32 s5, exec_lo, s5
	s_cbranch_execz .LBB654_140
; %bb.139:
	v_lshlrev_b32_e32 v15, 2, v0
	ds_load_b32 v17, v15
	v_add_co_u32 v15, vcc_lo, v7, v0
	v_add_co_ci_u32_e32 v16, vcc_lo, 0, v13, vcc_lo
	s_delay_alu instid0(VALU_DEP_1) | instskip(NEXT) | instid1(VALU_DEP_1)
	v_lshlrev_b64 v[15:16], 2, v[15:16]
	v_sub_co_u32 v15, vcc_lo, s14, v15
	s_delay_alu instid0(VALU_DEP_2)
	v_sub_co_ci_u32_e32 v16, vcc_lo, s15, v16, vcc_lo
	s_waitcnt lgkmcnt(0)
	global_store_b32 v[15:16], v17, off offset:-4
.LBB654_140:
	s_and_not1_saveexec_b32 s5, s5
	s_cbranch_execz .LBB654_142
; %bb.141:
	v_lshlrev_b32_e32 v15, 2, v0
	v_readfirstlane_b32 s6, v9
	v_readfirstlane_b32 s7, v10
	ds_load_b32 v16, v15
	s_waitcnt lgkmcnt(0)
	global_store_b32 v15, v16, s[6:7]
.LBB654_142:
	s_or_b32 exec_lo, exec_lo, s5
.LBB654_143:
	s_and_not1_saveexec_b32 s3, s3
	s_cbranch_execz .LBB654_145
; %bb.144:
	v_lshlrev_b32_e32 v15, 2, v0
	v_readfirstlane_b32 s6, v11
	v_readfirstlane_b32 s7, v12
	ds_load_b32 v16, v15
	s_waitcnt lgkmcnt(0)
	global_store_b32 v15, v16, s[6:7]
.LBB654_145:
	s_or_b32 exec_lo, exec_lo, s3
	v_or_b32_e32 v15, 0x100, v0
	s_mov_b32 s3, exec_lo
	s_delay_alu instid0(VALU_DEP_1)
	v_cmpx_le_u32_e64 v5, v15
	s_xor_b32 s3, exec_lo, s3
	s_cbranch_execz .LBB654_151
; %bb.146:
	s_mov_b32 s5, exec_lo
	v_cmpx_le_u32_e64 v14, v15
	s_xor_b32 s5, exec_lo, s5
	s_cbranch_execz .LBB654_148
; %bb.147:
	v_lshlrev_b32_e32 v15, 2, v0
	ds_load_b32 v17, v15 offset:1024
	v_add_co_u32 v15, vcc_lo, v7, v0
	v_add_co_ci_u32_e32 v16, vcc_lo, 0, v13, vcc_lo
	s_delay_alu instid0(VALU_DEP_1) | instskip(NEXT) | instid1(VALU_DEP_1)
	v_lshlrev_b64 v[15:16], 2, v[15:16]
	v_sub_co_u32 v15, vcc_lo, s1, v15
	s_delay_alu instid0(VALU_DEP_2)
	v_sub_co_ci_u32_e32 v16, vcc_lo, s0, v16, vcc_lo
	s_waitcnt lgkmcnt(0)
	global_store_b32 v[15:16], v17, off offset:-1024
.LBB654_148:
	s_and_not1_saveexec_b32 s5, s5
	s_cbranch_execz .LBB654_150
; %bb.149:
	v_lshlrev_b32_e32 v15, 2, v0
	v_readfirstlane_b32 s6, v9
	v_readfirstlane_b32 s7, v10
	ds_load_b32 v16, v15 offset:1024
	s_waitcnt lgkmcnt(0)
	global_store_b32 v15, v16, s[6:7] offset:1024
.LBB654_150:
	s_or_b32 exec_lo, exec_lo, s5
.LBB654_151:
	s_and_not1_saveexec_b32 s3, s3
	s_cbranch_execz .LBB654_153
; %bb.152:
	v_lshlrev_b32_e32 v15, 2, v0
	v_readfirstlane_b32 s6, v11
	v_readfirstlane_b32 s7, v12
	ds_load_b32 v16, v15 offset:1024
	s_waitcnt lgkmcnt(0)
	global_store_b32 v15, v16, s[6:7] offset:1024
.LBB654_153:
	s_or_b32 exec_lo, exec_lo, s3
	v_or_b32_e32 v15, 0x200, v0
	s_mov_b32 s3, exec_lo
	s_delay_alu instid0(VALU_DEP_1)
	v_cmpx_le_u32_e64 v5, v15
	s_xor_b32 s3, exec_lo, s3
	s_cbranch_execz .LBB654_159
; %bb.154:
	s_mov_b32 s5, exec_lo
	v_cmpx_le_u32_e64 v14, v15
	s_xor_b32 s5, exec_lo, s5
	s_cbranch_execz .LBB654_156
; %bb.155:
	v_lshlrev_b32_e32 v15, 2, v0
	ds_load_b32 v17, v15 offset:2048
	v_add_co_u32 v15, vcc_lo, v7, v0
	v_add_co_ci_u32_e32 v16, vcc_lo, 0, v13, vcc_lo
	s_delay_alu instid0(VALU_DEP_1) | instskip(NEXT) | instid1(VALU_DEP_1)
	v_lshlrev_b64 v[15:16], 2, v[15:16]
	v_sub_co_u32 v15, vcc_lo, s1, v15
	s_delay_alu instid0(VALU_DEP_2)
	v_sub_co_ci_u32_e32 v16, vcc_lo, s0, v16, vcc_lo
	s_waitcnt lgkmcnt(0)
	global_store_b32 v[15:16], v17, off offset:-2048
.LBB654_156:
	s_and_not1_saveexec_b32 s5, s5
	s_cbranch_execz .LBB654_158
; %bb.157:
	v_lshlrev_b32_e32 v15, 2, v0
	v_readfirstlane_b32 s6, v9
	v_readfirstlane_b32 s7, v10
	ds_load_b32 v16, v15 offset:2048
	s_waitcnt lgkmcnt(0)
	global_store_b32 v15, v16, s[6:7] offset:2048
.LBB654_158:
	s_or_b32 exec_lo, exec_lo, s5
.LBB654_159:
	s_and_not1_saveexec_b32 s3, s3
	s_cbranch_execz .LBB654_161
; %bb.160:
	v_lshlrev_b32_e32 v15, 2, v0
	v_readfirstlane_b32 s6, v11
	v_readfirstlane_b32 s7, v12
	ds_load_b32 v16, v15 offset:2048
	s_waitcnt lgkmcnt(0)
	global_store_b32 v15, v16, s[6:7] offset:2048
.LBB654_161:
	;; [unrolled: 47-line block ×3, first 2 shown]
	s_or_b32 exec_lo, exec_lo, s3
	v_or_b32_e32 v15, 0x400, v0
	s_mov_b32 s3, exec_lo
	s_delay_alu instid0(VALU_DEP_1)
	v_cmpx_le_u32_e64 v5, v15
	s_xor_b32 s3, exec_lo, s3
	s_cbranch_execz .LBB654_175
; %bb.170:
	s_mov_b32 s5, exec_lo
	v_cmpx_le_u32_e64 v14, v15
	s_xor_b32 s5, exec_lo, s5
	s_cbranch_execz .LBB654_172
; %bb.171:
	v_lshlrev_b32_e32 v15, 2, v0
	ds_load_b32 v17, v15 offset:4096
	v_add_co_u32 v15, vcc_lo, v7, v0
	v_add_co_ci_u32_e32 v16, vcc_lo, 0, v13, vcc_lo
	s_delay_alu instid0(VALU_DEP_1) | instskip(NEXT) | instid1(VALU_DEP_1)
	v_lshlrev_b64 v[15:16], 2, v[15:16]
	v_sub_co_u32 v15, vcc_lo, s1, v15
	s_delay_alu instid0(VALU_DEP_2)
	v_sub_co_ci_u32_e32 v16, vcc_lo, s0, v16, vcc_lo
	s_waitcnt lgkmcnt(0)
	global_store_b32 v[15:16], v17, off offset:-4096
                                        ; implicit-def: $vgpr15
.LBB654_172:
	s_and_not1_saveexec_b32 s5, s5
	s_cbranch_execz .LBB654_174
; %bb.173:
	v_lshlrev_b32_e32 v16, 2, v0
	v_lshlrev_b32_e32 v15, 2, v15
	v_readfirstlane_b32 s6, v9
	v_readfirstlane_b32 s7, v10
	ds_load_b32 v16, v16 offset:4096
	s_waitcnt lgkmcnt(0)
	global_store_b32 v15, v16, s[6:7]
.LBB654_174:
	s_or_b32 exec_lo, exec_lo, s5
                                        ; implicit-def: $vgpr15
.LBB654_175:
	s_and_not1_saveexec_b32 s3, s3
	s_cbranch_execz .LBB654_177
; %bb.176:
	v_lshlrev_b32_e32 v16, 2, v0
	v_lshlrev_b32_e32 v15, 2, v15
	v_readfirstlane_b32 s6, v11
	v_readfirstlane_b32 s7, v12
	ds_load_b32 v16, v16 offset:4096
	s_waitcnt lgkmcnt(0)
	global_store_b32 v15, v16, s[6:7]
.LBB654_177:
	s_or_b32 exec_lo, exec_lo, s3
	v_or_b32_e32 v15, 0x500, v0
	s_mov_b32 s3, exec_lo
	s_delay_alu instid0(VALU_DEP_1)
	v_cmpx_le_u32_e64 v5, v15
	s_xor_b32 s3, exec_lo, s3
	s_cbranch_execz .LBB654_183
; %bb.178:
	s_mov_b32 s5, exec_lo
	v_cmpx_le_u32_e64 v14, v15
	s_xor_b32 s5, exec_lo, s5
	s_cbranch_execz .LBB654_180
; %bb.179:
	v_lshlrev_b32_e32 v16, 2, v0
	v_add_co_u32 v15, vcc_lo, v7, v15
	ds_load_b32 v17, v16 offset:5120
	v_add_co_ci_u32_e32 v16, vcc_lo, 0, v13, vcc_lo
	s_delay_alu instid0(VALU_DEP_1) | instskip(NEXT) | instid1(VALU_DEP_1)
	v_lshlrev_b64 v[15:16], 2, v[15:16]
	v_sub_co_u32 v15, vcc_lo, s1, v15
	s_delay_alu instid0(VALU_DEP_2)
	v_sub_co_ci_u32_e32 v16, vcc_lo, s0, v16, vcc_lo
	s_waitcnt lgkmcnt(0)
	global_store_b32 v[15:16], v17, off
                                        ; implicit-def: $vgpr15
.LBB654_180:
	s_and_not1_saveexec_b32 s5, s5
	s_cbranch_execz .LBB654_182
; %bb.181:
	v_lshlrev_b32_e32 v16, 2, v0
	v_lshlrev_b32_e32 v15, 2, v15
	v_readfirstlane_b32 s6, v9
	v_readfirstlane_b32 s7, v10
	ds_load_b32 v16, v16 offset:5120
	s_waitcnt lgkmcnt(0)
	global_store_b32 v15, v16, s[6:7]
.LBB654_182:
	s_or_b32 exec_lo, exec_lo, s5
                                        ; implicit-def: $vgpr15
.LBB654_183:
	s_and_not1_saveexec_b32 s3, s3
	s_cbranch_execz .LBB654_185
; %bb.184:
	v_lshlrev_b32_e32 v16, 2, v0
	v_lshlrev_b32_e32 v15, 2, v15
	v_readfirstlane_b32 s6, v11
	v_readfirstlane_b32 s7, v12
	ds_load_b32 v16, v16 offset:5120
	s_waitcnt lgkmcnt(0)
	global_store_b32 v15, v16, s[6:7]
.LBB654_185:
	s_or_b32 exec_lo, exec_lo, s3
	v_or_b32_e32 v15, 0x600, v0
	s_mov_b32 s3, exec_lo
	s_delay_alu instid0(VALU_DEP_1)
	v_cmpx_le_u32_e64 v5, v15
	s_xor_b32 s3, exec_lo, s3
	s_cbranch_execz .LBB654_191
; %bb.186:
	s_mov_b32 s5, exec_lo
	v_cmpx_le_u32_e64 v14, v15
	s_xor_b32 s5, exec_lo, s5
	s_cbranch_execz .LBB654_188
; %bb.187:
	v_lshlrev_b32_e32 v16, 2, v0
	v_add_co_u32 v15, vcc_lo, v7, v15
	ds_load_b32 v17, v16 offset:6144
	v_add_co_ci_u32_e32 v16, vcc_lo, 0, v13, vcc_lo
	s_delay_alu instid0(VALU_DEP_1) | instskip(NEXT) | instid1(VALU_DEP_1)
	v_lshlrev_b64 v[15:16], 2, v[15:16]
	v_sub_co_u32 v15, vcc_lo, s1, v15
	s_delay_alu instid0(VALU_DEP_2)
	v_sub_co_ci_u32_e32 v16, vcc_lo, s0, v16, vcc_lo
	s_waitcnt lgkmcnt(0)
	global_store_b32 v[15:16], v17, off
                                        ; implicit-def: $vgpr15
.LBB654_188:
	s_and_not1_saveexec_b32 s5, s5
	s_cbranch_execz .LBB654_190
; %bb.189:
	v_lshlrev_b32_e32 v16, 2, v0
	v_lshlrev_b32_e32 v15, 2, v15
	v_readfirstlane_b32 s6, v9
	v_readfirstlane_b32 s7, v10
	ds_load_b32 v16, v16 offset:6144
	s_waitcnt lgkmcnt(0)
	global_store_b32 v15, v16, s[6:7]
.LBB654_190:
	s_or_b32 exec_lo, exec_lo, s5
                                        ; implicit-def: $vgpr15
.LBB654_191:
	;; [unrolled: 51-line block ×8, first 2 shown]
	s_and_not1_saveexec_b32 s3, s3
	s_cbranch_execz .LBB654_241
; %bb.240:
	v_lshlrev_b32_e32 v16, 2, v0
	v_lshlrev_b32_e32 v15, 2, v15
	v_readfirstlane_b32 s6, v11
	v_readfirstlane_b32 s7, v12
	ds_load_b32 v16, v16 offset:12288
	s_waitcnt lgkmcnt(0)
	global_store_b32 v15, v16, s[6:7]
.LBB654_241:
	s_or_b32 exec_lo, exec_lo, s3
	s_branch .LBB654_135
.LBB654_242:
	s_mov_b32 s3, exec_lo
	v_cmpx_gt_u32_e64 s4, v0
	s_cbranch_execz .LBB654_251
; %bb.243:
	s_mov_b32 s5, exec_lo
	v_cmpx_le_u32_e64 v5, v0
	s_xor_b32 s5, exec_lo, s5
	s_cbranch_execz .LBB654_249
; %bb.244:
	s_mov_b32 s6, exec_lo
	v_cmpx_le_u32_e64 v14, v0
	s_xor_b32 s6, exec_lo, s6
	s_cbranch_execz .LBB654_246
; %bb.245:
	v_lshlrev_b32_e32 v15, 2, v0
	ds_load_b32 v17, v15
	v_add_co_u32 v15, vcc_lo, v7, v0
	v_add_co_ci_u32_e32 v16, vcc_lo, 0, v13, vcc_lo
	s_delay_alu instid0(VALU_DEP_1) | instskip(NEXT) | instid1(VALU_DEP_1)
	v_lshlrev_b64 v[15:16], 2, v[15:16]
	v_sub_co_u32 v15, vcc_lo, s14, v15
	s_delay_alu instid0(VALU_DEP_2)
	v_sub_co_ci_u32_e32 v16, vcc_lo, s15, v16, vcc_lo
	s_waitcnt lgkmcnt(0)
	global_store_b32 v[15:16], v17, off offset:-4
.LBB654_246:
	s_and_not1_saveexec_b32 s6, s6
	s_cbranch_execz .LBB654_248
; %bb.247:
	v_lshlrev_b32_e32 v15, 2, v0
	v_readfirstlane_b32 s8, v9
	v_readfirstlane_b32 s9, v10
	ds_load_b32 v16, v15
	s_waitcnt lgkmcnt(0)
	global_store_b32 v15, v16, s[8:9]
.LBB654_248:
	s_or_b32 exec_lo, exec_lo, s6
.LBB654_249:
	s_and_not1_saveexec_b32 s5, s5
	s_cbranch_execz .LBB654_251
; %bb.250:
	v_lshlrev_b32_e32 v15, 2, v0
	v_readfirstlane_b32 s6, v11
	v_readfirstlane_b32 s7, v12
	ds_load_b32 v16, v15
	s_waitcnt lgkmcnt(0)
	global_store_b32 v15, v16, s[6:7]
.LBB654_251:
	s_or_b32 exec_lo, exec_lo, s3
	v_or_b32_e32 v15, 0x100, v0
	s_mov_b32 s3, exec_lo
	s_delay_alu instid0(VALU_DEP_1)
	v_cmpx_gt_u32_e64 s4, v15
	s_cbranch_execz .LBB654_260
; %bb.252:
	s_mov_b32 s5, exec_lo
	v_cmpx_le_u32_e64 v5, v15
	s_xor_b32 s5, exec_lo, s5
	s_cbranch_execz .LBB654_258
; %bb.253:
	s_mov_b32 s6, exec_lo
	v_cmpx_le_u32_e64 v14, v15
	s_xor_b32 s6, exec_lo, s6
	s_cbranch_execz .LBB654_255
; %bb.254:
	v_lshlrev_b32_e32 v15, 2, v0
	ds_load_b32 v17, v15 offset:1024
	v_add_co_u32 v15, vcc_lo, v7, v0
	v_add_co_ci_u32_e32 v16, vcc_lo, 0, v13, vcc_lo
	s_delay_alu instid0(VALU_DEP_1) | instskip(NEXT) | instid1(VALU_DEP_1)
	v_lshlrev_b64 v[15:16], 2, v[15:16]
	v_sub_co_u32 v15, vcc_lo, s1, v15
	s_delay_alu instid0(VALU_DEP_2)
	v_sub_co_ci_u32_e32 v16, vcc_lo, s0, v16, vcc_lo
	s_waitcnt lgkmcnt(0)
	global_store_b32 v[15:16], v17, off offset:-1024
.LBB654_255:
	s_and_not1_saveexec_b32 s6, s6
	s_cbranch_execz .LBB654_257
; %bb.256:
	v_lshlrev_b32_e32 v15, 2, v0
	v_readfirstlane_b32 s8, v9
	v_readfirstlane_b32 s9, v10
	ds_load_b32 v16, v15 offset:1024
	s_waitcnt lgkmcnt(0)
	global_store_b32 v15, v16, s[8:9] offset:1024
.LBB654_257:
	s_or_b32 exec_lo, exec_lo, s6
.LBB654_258:
	s_and_not1_saveexec_b32 s5, s5
	s_cbranch_execz .LBB654_260
; %bb.259:
	v_lshlrev_b32_e32 v15, 2, v0
	v_readfirstlane_b32 s6, v11
	v_readfirstlane_b32 s7, v12
	ds_load_b32 v16, v15 offset:1024
	s_waitcnt lgkmcnt(0)
	global_store_b32 v15, v16, s[6:7] offset:1024
.LBB654_260:
	s_or_b32 exec_lo, exec_lo, s3
	v_or_b32_e32 v15, 0x200, v0
	s_mov_b32 s3, exec_lo
	s_delay_alu instid0(VALU_DEP_1)
	v_cmpx_gt_u32_e64 s4, v15
	s_cbranch_execz .LBB654_269
; %bb.261:
	s_mov_b32 s5, exec_lo
	v_cmpx_le_u32_e64 v5, v15
	s_xor_b32 s5, exec_lo, s5
	s_cbranch_execz .LBB654_267
; %bb.262:
	s_mov_b32 s6, exec_lo
	v_cmpx_le_u32_e64 v14, v15
	s_xor_b32 s6, exec_lo, s6
	s_cbranch_execz .LBB654_264
; %bb.263:
	v_lshlrev_b32_e32 v15, 2, v0
	ds_load_b32 v17, v15 offset:2048
	v_add_co_u32 v15, vcc_lo, v7, v0
	v_add_co_ci_u32_e32 v16, vcc_lo, 0, v13, vcc_lo
	s_delay_alu instid0(VALU_DEP_1) | instskip(NEXT) | instid1(VALU_DEP_1)
	v_lshlrev_b64 v[15:16], 2, v[15:16]
	v_sub_co_u32 v15, vcc_lo, s1, v15
	s_delay_alu instid0(VALU_DEP_2)
	v_sub_co_ci_u32_e32 v16, vcc_lo, s0, v16, vcc_lo
	s_waitcnt lgkmcnt(0)
	global_store_b32 v[15:16], v17, off offset:-2048
.LBB654_264:
	s_and_not1_saveexec_b32 s6, s6
	s_cbranch_execz .LBB654_266
; %bb.265:
	v_lshlrev_b32_e32 v15, 2, v0
	v_readfirstlane_b32 s8, v9
	v_readfirstlane_b32 s9, v10
	ds_load_b32 v16, v15 offset:2048
	s_waitcnt lgkmcnt(0)
	global_store_b32 v15, v16, s[8:9] offset:2048
.LBB654_266:
	s_or_b32 exec_lo, exec_lo, s6
.LBB654_267:
	s_and_not1_saveexec_b32 s5, s5
	s_cbranch_execz .LBB654_269
; %bb.268:
	v_lshlrev_b32_e32 v15, 2, v0
	v_readfirstlane_b32 s6, v11
	v_readfirstlane_b32 s7, v12
	ds_load_b32 v16, v15 offset:2048
	s_waitcnt lgkmcnt(0)
	global_store_b32 v15, v16, s[6:7] offset:2048
.LBB654_269:
	;; [unrolled: 51-line block ×3, first 2 shown]
	s_or_b32 exec_lo, exec_lo, s3
	v_or_b32_e32 v15, 0x400, v0
	s_mov_b32 s3, exec_lo
	s_delay_alu instid0(VALU_DEP_1)
	v_cmpx_gt_u32_e64 s4, v15
	s_cbranch_execz .LBB654_287
; %bb.279:
	s_mov_b32 s5, exec_lo
	v_cmpx_le_u32_e64 v5, v15
	s_xor_b32 s5, exec_lo, s5
	s_cbranch_execz .LBB654_285
; %bb.280:
	s_mov_b32 s6, exec_lo
	v_cmpx_le_u32_e64 v14, v15
	s_xor_b32 s6, exec_lo, s6
	s_cbranch_execz .LBB654_282
; %bb.281:
	v_lshlrev_b32_e32 v15, 2, v0
	ds_load_b32 v17, v15 offset:4096
	v_add_co_u32 v15, vcc_lo, v7, v0
	v_add_co_ci_u32_e32 v16, vcc_lo, 0, v13, vcc_lo
	s_delay_alu instid0(VALU_DEP_1) | instskip(NEXT) | instid1(VALU_DEP_1)
	v_lshlrev_b64 v[15:16], 2, v[15:16]
	v_sub_co_u32 v15, vcc_lo, s1, v15
	s_delay_alu instid0(VALU_DEP_2)
	v_sub_co_ci_u32_e32 v16, vcc_lo, s0, v16, vcc_lo
	s_waitcnt lgkmcnt(0)
	global_store_b32 v[15:16], v17, off offset:-4096
                                        ; implicit-def: $vgpr15
.LBB654_282:
	s_and_not1_saveexec_b32 s6, s6
	s_cbranch_execz .LBB654_284
; %bb.283:
	v_lshlrev_b32_e32 v16, 2, v0
	v_lshlrev_b32_e32 v15, 2, v15
	v_readfirstlane_b32 s8, v9
	v_readfirstlane_b32 s9, v10
	ds_load_b32 v16, v16 offset:4096
	s_waitcnt lgkmcnt(0)
	global_store_b32 v15, v16, s[8:9]
.LBB654_284:
	s_or_b32 exec_lo, exec_lo, s6
                                        ; implicit-def: $vgpr15
.LBB654_285:
	s_and_not1_saveexec_b32 s5, s5
	s_cbranch_execz .LBB654_287
; %bb.286:
	v_lshlrev_b32_e32 v16, 2, v0
	v_lshlrev_b32_e32 v15, 2, v15
	v_readfirstlane_b32 s6, v11
	v_readfirstlane_b32 s7, v12
	ds_load_b32 v16, v16 offset:4096
	s_waitcnt lgkmcnt(0)
	global_store_b32 v15, v16, s[6:7]
.LBB654_287:
	s_or_b32 exec_lo, exec_lo, s3
	v_or_b32_e32 v15, 0x500, v0
	s_mov_b32 s3, exec_lo
	s_delay_alu instid0(VALU_DEP_1)
	v_cmpx_gt_u32_e64 s4, v15
	s_cbranch_execz .LBB654_296
; %bb.288:
	s_mov_b32 s5, exec_lo
	v_cmpx_le_u32_e64 v5, v15
	s_xor_b32 s5, exec_lo, s5
	s_cbranch_execz .LBB654_294
; %bb.289:
	s_mov_b32 s6, exec_lo
	v_cmpx_le_u32_e64 v14, v15
	s_xor_b32 s6, exec_lo, s6
	s_cbranch_execz .LBB654_291
; %bb.290:
	v_lshlrev_b32_e32 v16, 2, v0
	v_add_co_u32 v15, vcc_lo, v7, v15
	ds_load_b32 v17, v16 offset:5120
	v_add_co_ci_u32_e32 v16, vcc_lo, 0, v13, vcc_lo
	s_delay_alu instid0(VALU_DEP_1) | instskip(NEXT) | instid1(VALU_DEP_1)
	v_lshlrev_b64 v[15:16], 2, v[15:16]
	v_sub_co_u32 v15, vcc_lo, s1, v15
	s_delay_alu instid0(VALU_DEP_2)
	v_sub_co_ci_u32_e32 v16, vcc_lo, s0, v16, vcc_lo
	s_waitcnt lgkmcnt(0)
	global_store_b32 v[15:16], v17, off
                                        ; implicit-def: $vgpr15
.LBB654_291:
	s_and_not1_saveexec_b32 s6, s6
	s_cbranch_execz .LBB654_293
; %bb.292:
	v_lshlrev_b32_e32 v16, 2, v0
	v_lshlrev_b32_e32 v15, 2, v15
	v_readfirstlane_b32 s8, v9
	v_readfirstlane_b32 s9, v10
	ds_load_b32 v16, v16 offset:5120
	s_waitcnt lgkmcnt(0)
	global_store_b32 v15, v16, s[8:9]
.LBB654_293:
	s_or_b32 exec_lo, exec_lo, s6
                                        ; implicit-def: $vgpr15
.LBB654_294:
	s_and_not1_saveexec_b32 s5, s5
	s_cbranch_execz .LBB654_296
; %bb.295:
	v_lshlrev_b32_e32 v16, 2, v0
	v_lshlrev_b32_e32 v15, 2, v15
	v_readfirstlane_b32 s6, v11
	v_readfirstlane_b32 s7, v12
	ds_load_b32 v16, v16 offset:5120
	s_waitcnt lgkmcnt(0)
	global_store_b32 v15, v16, s[6:7]
.LBB654_296:
	s_or_b32 exec_lo, exec_lo, s3
	v_or_b32_e32 v15, 0x600, v0
	s_mov_b32 s3, exec_lo
	s_delay_alu instid0(VALU_DEP_1)
	v_cmpx_gt_u32_e64 s4, v15
	s_cbranch_execz .LBB654_305
; %bb.297:
	s_mov_b32 s5, exec_lo
	v_cmpx_le_u32_e64 v5, v15
	s_xor_b32 s5, exec_lo, s5
	s_cbranch_execz .LBB654_303
; %bb.298:
	s_mov_b32 s6, exec_lo
	v_cmpx_le_u32_e64 v14, v15
	s_xor_b32 s6, exec_lo, s6
	s_cbranch_execz .LBB654_300
; %bb.299:
	v_lshlrev_b32_e32 v16, 2, v0
	v_add_co_u32 v15, vcc_lo, v7, v15
	ds_load_b32 v17, v16 offset:6144
	v_add_co_ci_u32_e32 v16, vcc_lo, 0, v13, vcc_lo
	s_delay_alu instid0(VALU_DEP_1) | instskip(NEXT) | instid1(VALU_DEP_1)
	v_lshlrev_b64 v[15:16], 2, v[15:16]
	v_sub_co_u32 v15, vcc_lo, s1, v15
	s_delay_alu instid0(VALU_DEP_2)
	v_sub_co_ci_u32_e32 v16, vcc_lo, s0, v16, vcc_lo
	s_waitcnt lgkmcnt(0)
	global_store_b32 v[15:16], v17, off
                                        ; implicit-def: $vgpr15
.LBB654_300:
	s_and_not1_saveexec_b32 s6, s6
	s_cbranch_execz .LBB654_302
; %bb.301:
	v_lshlrev_b32_e32 v16, 2, v0
	v_lshlrev_b32_e32 v15, 2, v15
	v_readfirstlane_b32 s8, v9
	v_readfirstlane_b32 s9, v10
	ds_load_b32 v16, v16 offset:6144
	s_waitcnt lgkmcnt(0)
	global_store_b32 v15, v16, s[8:9]
.LBB654_302:
	s_or_b32 exec_lo, exec_lo, s6
                                        ; implicit-def: $vgpr15
.LBB654_303:
	s_and_not1_saveexec_b32 s5, s5
	s_cbranch_execz .LBB654_305
; %bb.304:
	v_lshlrev_b32_e32 v16, 2, v0
	v_lshlrev_b32_e32 v15, 2, v15
	v_readfirstlane_b32 s6, v11
	v_readfirstlane_b32 s7, v12
	ds_load_b32 v16, v16 offset:6144
	s_waitcnt lgkmcnt(0)
	global_store_b32 v15, v16, s[6:7]
.LBB654_305:
	;; [unrolled: 55-line block ×7, first 2 shown]
	s_or_b32 exec_lo, exec_lo, s3
	v_or_b32_e32 v15, 0xc00, v0
	s_mov_b32 s3, exec_lo
	s_delay_alu instid0(VALU_DEP_1)
	v_cmpx_gt_u32_e64 s4, v15
	s_cbranch_execz .LBB654_359
; %bb.351:
	s_mov_b32 s4, exec_lo
	v_cmpx_le_u32_e64 v5, v15
	s_xor_b32 s4, exec_lo, s4
	s_cbranch_execz .LBB654_357
; %bb.352:
	s_mov_b32 s5, exec_lo
	v_cmpx_le_u32_e64 v14, v15
	s_xor_b32 s5, exec_lo, s5
	s_cbranch_execz .LBB654_354
; %bb.353:
	v_lshlrev_b32_e32 v0, 2, v0
	v_add_co_u32 v9, vcc_lo, v7, v15
	v_add_co_ci_u32_e32 v10, vcc_lo, 0, v13, vcc_lo
	ds_load_b32 v0, v0 offset:12288
                                        ; implicit-def: $vgpr15
	v_lshlrev_b64 v[9:10], 2, v[9:10]
	s_delay_alu instid0(VALU_DEP_1) | instskip(NEXT) | instid1(VALU_DEP_2)
	v_sub_co_u32 v9, vcc_lo, s1, v9
	v_sub_co_ci_u32_e32 v10, vcc_lo, s0, v10, vcc_lo
	s_waitcnt lgkmcnt(0)
	global_store_b32 v[9:10], v0, off
                                        ; implicit-def: $vgpr0
                                        ; implicit-def: $vgpr9_vgpr10
.LBB654_354:
	s_and_not1_saveexec_b32 s0, s5
	s_cbranch_execz .LBB654_356
; %bb.355:
	v_lshlrev_b32_e32 v0, 2, v0
	v_lshlrev_b32_e32 v7, 2, v15
	v_readfirstlane_b32 s6, v9
	v_readfirstlane_b32 s7, v10
	ds_load_b32 v0, v0 offset:12288
	s_waitcnt lgkmcnt(0)
	global_store_b32 v7, v0, s[6:7]
.LBB654_356:
	s_or_b32 exec_lo, exec_lo, s0
                                        ; implicit-def: $vgpr0
                                        ; implicit-def: $vgpr15
                                        ; implicit-def: $vgpr11_vgpr12
.LBB654_357:
	s_and_not1_saveexec_b32 s0, s4
	s_cbranch_execz .LBB654_359
; %bb.358:
	v_lshlrev_b32_e32 v0, 2, v0
	v_lshlrev_b32_e32 v7, 2, v15
	v_readfirstlane_b32 s0, v11
	v_readfirstlane_b32 s1, v12
	ds_load_b32 v0, v0 offset:12288
	s_waitcnt lgkmcnt(0)
	global_store_b32 v7, v0, s[0:1]
.LBB654_359:
	s_or_b32 exec_lo, exec_lo, s3
	s_and_b32 s0, s2, s13
	s_delay_alu instid0(SALU_CYCLE_1)
	s_and_saveexec_b32 s1, s0
	s_cbranch_execz .LBB654_136
.LBB654_360:
	v_add_co_u32 v3, vcc_lo, v3, v6
	v_add_co_ci_u32_e32 v4, vcc_lo, 0, v4, vcc_lo
	v_add_co_u32 v0, vcc_lo, v1, v5
	v_add_co_ci_u32_e32 v1, vcc_lo, 0, v2, vcc_lo
	s_delay_alu instid0(VALU_DEP_4)
	v_add_co_u32 v2, vcc_lo, v3, v8
	v_mov_b32_e32 v7, 0
	v_add_co_ci_u32_e32 v3, vcc_lo, 0, v4, vcc_lo
	global_store_b128 v7, v[0:3], s[24:25]
	s_nop 0
	s_sendmsg sendmsg(MSG_DEALLOC_VGPRS)
	s_endpgm
.LBB654_361:
	v_add_nc_u32_e32 v7, s6, v27
	s_add_i32 s8, s26, 32
	s_mov_b32 s9, 0
	v_dual_mov_b32 v9, 0 :: v_dual_add_nc_u32 v6, v26, v5
	s_lshl_b64 s[8:9], s[8:9], 4
	v_and_b32_e32 v24, 0xff0000, v7
	s_add_u32 s8, s36, s8
	s_addc_u32 s9, s37, s9
	v_and_b32_e32 v8, 0xff000000, v7
	s_delay_alu instid0(VALU_DEP_1) | instskip(SKIP_2) | instid1(VALU_DEP_1)
	v_or_b32_e32 v24, v24, v8
	v_dual_mov_b32 v8, 2 :: v_dual_and_b32 v25, 0xff00, v7
	v_and_b32_e32 v7, 0xff, v7
	v_or3_b32 v7, v24, v25, v7
	v_dual_mov_b32 v25, s9 :: v_dual_mov_b32 v24, s8
	;;#ASMSTART
	global_store_dwordx4 v[24:25], v[6:9] off	
s_waitcnt vmcnt(0)
	;;#ASMEND
	s_or_b32 exec_lo, exec_lo, s7
	s_and_saveexec_b32 s7, s3
	s_cbranch_execz .LBB654_120
.LBB654_362:
	v_mov_b32_e32 v6, s6
	v_add_nc_u32_e64 v7, 0x3400, 0
	ds_store_2addr_b32 v7, v5, v6 offset1:2
	ds_store_2addr_b32 v7, v26, v27 offset0:4 offset1:6
	s_or_b32 exec_lo, exec_lo, s7
	s_delay_alu instid0(SALU_CYCLE_1)
	s_and_b32 exec_lo, exec_lo, s2
	s_cbranch_execnz .LBB654_121
	s_branch .LBB654_122
	.section	.rodata,"a",@progbits
	.p2align	6, 0x0
	.amdhsa_kernel _ZN7rocprim17ROCPRIM_400000_NS6detail17trampoline_kernelINS0_13select_configILj256ELj13ELNS0_17block_load_methodE3ELS4_3ELS4_3ELNS0_20block_scan_algorithmE0ELj4294967295EEENS1_25partition_config_selectorILNS1_17partition_subalgoE4EjNS0_10empty_typeEbEEZZNS1_14partition_implILS8_4ELb0ES6_15HIP_vector_typeIjLj2EENS0_17counting_iteratorIjlEEPS9_SG_NS0_5tupleIJPjSI_NS0_16reverse_iteratorISI_EEEEENSH_IJSG_SG_SG_EEES9_SI_JZNS1_25segmented_radix_sort_implINS0_14default_configELb1EPKlPlSQ_SR_N2at6native12_GLOBAL__N_18offset_tEEE10hipError_tPvRmT1_PNSt15iterator_traitsISZ_E10value_typeET2_T3_PNS10_IS15_E10value_typeET4_jRbjT5_S1B_jjP12ihipStream_tbEUljE_ZNSN_ISO_Lb1ESQ_SR_SQ_SR_SV_EESW_SX_SY_SZ_S13_S14_S15_S18_S19_jS1A_jS1B_S1B_jjS1D_bEUljE0_EEESW_SX_SY_S15_S19_S1B_T6_T7_T9_mT8_S1D_bDpT10_ENKUlT_T0_E_clISt17integral_constantIbLb1EES1R_EEDaS1M_S1N_EUlS1M_E_NS1_11comp_targetILNS1_3genE9ELNS1_11target_archE1100ELNS1_3gpuE3ELNS1_3repE0EEENS1_30default_config_static_selectorELNS0_4arch9wavefront6targetE0EEEvSZ_
		.amdhsa_group_segment_fixed_size 13340
		.amdhsa_private_segment_fixed_size 0
		.amdhsa_kernarg_size 184
		.amdhsa_user_sgpr_count 15
		.amdhsa_user_sgpr_dispatch_ptr 0
		.amdhsa_user_sgpr_queue_ptr 0
		.amdhsa_user_sgpr_kernarg_segment_ptr 1
		.amdhsa_user_sgpr_dispatch_id 0
		.amdhsa_user_sgpr_private_segment_size 0
		.amdhsa_wavefront_size32 1
		.amdhsa_uses_dynamic_stack 0
		.amdhsa_enable_private_segment 0
		.amdhsa_system_sgpr_workgroup_id_x 1
		.amdhsa_system_sgpr_workgroup_id_y 0
		.amdhsa_system_sgpr_workgroup_id_z 0
		.amdhsa_system_sgpr_workgroup_info 0
		.amdhsa_system_vgpr_workitem_id 0
		.amdhsa_next_free_vgpr 103
		.amdhsa_next_free_sgpr 55
		.amdhsa_reserve_vcc 1
		.amdhsa_float_round_mode_32 0
		.amdhsa_float_round_mode_16_64 0
		.amdhsa_float_denorm_mode_32 3
		.amdhsa_float_denorm_mode_16_64 3
		.amdhsa_dx10_clamp 1
		.amdhsa_ieee_mode 1
		.amdhsa_fp16_overflow 0
		.amdhsa_workgroup_processor_mode 1
		.amdhsa_memory_ordered 1
		.amdhsa_forward_progress 0
		.amdhsa_shared_vgpr_count 0
		.amdhsa_exception_fp_ieee_invalid_op 0
		.amdhsa_exception_fp_denorm_src 0
		.amdhsa_exception_fp_ieee_div_zero 0
		.amdhsa_exception_fp_ieee_overflow 0
		.amdhsa_exception_fp_ieee_underflow 0
		.amdhsa_exception_fp_ieee_inexact 0
		.amdhsa_exception_int_div_zero 0
	.end_amdhsa_kernel
	.section	.text._ZN7rocprim17ROCPRIM_400000_NS6detail17trampoline_kernelINS0_13select_configILj256ELj13ELNS0_17block_load_methodE3ELS4_3ELS4_3ELNS0_20block_scan_algorithmE0ELj4294967295EEENS1_25partition_config_selectorILNS1_17partition_subalgoE4EjNS0_10empty_typeEbEEZZNS1_14partition_implILS8_4ELb0ES6_15HIP_vector_typeIjLj2EENS0_17counting_iteratorIjlEEPS9_SG_NS0_5tupleIJPjSI_NS0_16reverse_iteratorISI_EEEEENSH_IJSG_SG_SG_EEES9_SI_JZNS1_25segmented_radix_sort_implINS0_14default_configELb1EPKlPlSQ_SR_N2at6native12_GLOBAL__N_18offset_tEEE10hipError_tPvRmT1_PNSt15iterator_traitsISZ_E10value_typeET2_T3_PNS10_IS15_E10value_typeET4_jRbjT5_S1B_jjP12ihipStream_tbEUljE_ZNSN_ISO_Lb1ESQ_SR_SQ_SR_SV_EESW_SX_SY_SZ_S13_S14_S15_S18_S19_jS1A_jS1B_S1B_jjS1D_bEUljE0_EEESW_SX_SY_S15_S19_S1B_T6_T7_T9_mT8_S1D_bDpT10_ENKUlT_T0_E_clISt17integral_constantIbLb1EES1R_EEDaS1M_S1N_EUlS1M_E_NS1_11comp_targetILNS1_3genE9ELNS1_11target_archE1100ELNS1_3gpuE3ELNS1_3repE0EEENS1_30default_config_static_selectorELNS0_4arch9wavefront6targetE0EEEvSZ_,"axG",@progbits,_ZN7rocprim17ROCPRIM_400000_NS6detail17trampoline_kernelINS0_13select_configILj256ELj13ELNS0_17block_load_methodE3ELS4_3ELS4_3ELNS0_20block_scan_algorithmE0ELj4294967295EEENS1_25partition_config_selectorILNS1_17partition_subalgoE4EjNS0_10empty_typeEbEEZZNS1_14partition_implILS8_4ELb0ES6_15HIP_vector_typeIjLj2EENS0_17counting_iteratorIjlEEPS9_SG_NS0_5tupleIJPjSI_NS0_16reverse_iteratorISI_EEEEENSH_IJSG_SG_SG_EEES9_SI_JZNS1_25segmented_radix_sort_implINS0_14default_configELb1EPKlPlSQ_SR_N2at6native12_GLOBAL__N_18offset_tEEE10hipError_tPvRmT1_PNSt15iterator_traitsISZ_E10value_typeET2_T3_PNS10_IS15_E10value_typeET4_jRbjT5_S1B_jjP12ihipStream_tbEUljE_ZNSN_ISO_Lb1ESQ_SR_SQ_SR_SV_EESW_SX_SY_SZ_S13_S14_S15_S18_S19_jS1A_jS1B_S1B_jjS1D_bEUljE0_EEESW_SX_SY_S15_S19_S1B_T6_T7_T9_mT8_S1D_bDpT10_ENKUlT_T0_E_clISt17integral_constantIbLb1EES1R_EEDaS1M_S1N_EUlS1M_E_NS1_11comp_targetILNS1_3genE9ELNS1_11target_archE1100ELNS1_3gpuE3ELNS1_3repE0EEENS1_30default_config_static_selectorELNS0_4arch9wavefront6targetE0EEEvSZ_,comdat
.Lfunc_end654:
	.size	_ZN7rocprim17ROCPRIM_400000_NS6detail17trampoline_kernelINS0_13select_configILj256ELj13ELNS0_17block_load_methodE3ELS4_3ELS4_3ELNS0_20block_scan_algorithmE0ELj4294967295EEENS1_25partition_config_selectorILNS1_17partition_subalgoE4EjNS0_10empty_typeEbEEZZNS1_14partition_implILS8_4ELb0ES6_15HIP_vector_typeIjLj2EENS0_17counting_iteratorIjlEEPS9_SG_NS0_5tupleIJPjSI_NS0_16reverse_iteratorISI_EEEEENSH_IJSG_SG_SG_EEES9_SI_JZNS1_25segmented_radix_sort_implINS0_14default_configELb1EPKlPlSQ_SR_N2at6native12_GLOBAL__N_18offset_tEEE10hipError_tPvRmT1_PNSt15iterator_traitsISZ_E10value_typeET2_T3_PNS10_IS15_E10value_typeET4_jRbjT5_S1B_jjP12ihipStream_tbEUljE_ZNSN_ISO_Lb1ESQ_SR_SQ_SR_SV_EESW_SX_SY_SZ_S13_S14_S15_S18_S19_jS1A_jS1B_S1B_jjS1D_bEUljE0_EEESW_SX_SY_S15_S19_S1B_T6_T7_T9_mT8_S1D_bDpT10_ENKUlT_T0_E_clISt17integral_constantIbLb1EES1R_EEDaS1M_S1N_EUlS1M_E_NS1_11comp_targetILNS1_3genE9ELNS1_11target_archE1100ELNS1_3gpuE3ELNS1_3repE0EEENS1_30default_config_static_selectorELNS0_4arch9wavefront6targetE0EEEvSZ_, .Lfunc_end654-_ZN7rocprim17ROCPRIM_400000_NS6detail17trampoline_kernelINS0_13select_configILj256ELj13ELNS0_17block_load_methodE3ELS4_3ELS4_3ELNS0_20block_scan_algorithmE0ELj4294967295EEENS1_25partition_config_selectorILNS1_17partition_subalgoE4EjNS0_10empty_typeEbEEZZNS1_14partition_implILS8_4ELb0ES6_15HIP_vector_typeIjLj2EENS0_17counting_iteratorIjlEEPS9_SG_NS0_5tupleIJPjSI_NS0_16reverse_iteratorISI_EEEEENSH_IJSG_SG_SG_EEES9_SI_JZNS1_25segmented_radix_sort_implINS0_14default_configELb1EPKlPlSQ_SR_N2at6native12_GLOBAL__N_18offset_tEEE10hipError_tPvRmT1_PNSt15iterator_traitsISZ_E10value_typeET2_T3_PNS10_IS15_E10value_typeET4_jRbjT5_S1B_jjP12ihipStream_tbEUljE_ZNSN_ISO_Lb1ESQ_SR_SQ_SR_SV_EESW_SX_SY_SZ_S13_S14_S15_S18_S19_jS1A_jS1B_S1B_jjS1D_bEUljE0_EEESW_SX_SY_S15_S19_S1B_T6_T7_T9_mT8_S1D_bDpT10_ENKUlT_T0_E_clISt17integral_constantIbLb1EES1R_EEDaS1M_S1N_EUlS1M_E_NS1_11comp_targetILNS1_3genE9ELNS1_11target_archE1100ELNS1_3gpuE3ELNS1_3repE0EEENS1_30default_config_static_selectorELNS0_4arch9wavefront6targetE0EEEvSZ_
                                        ; -- End function
	.section	.AMDGPU.csdata,"",@progbits
; Kernel info:
; codeLenInByte = 15160
; NumSgprs: 57
; NumVgprs: 103
; ScratchSize: 0
; MemoryBound: 0
; FloatMode: 240
; IeeeMode: 1
; LDSByteSize: 13340 bytes/workgroup (compile time only)
; SGPRBlocks: 7
; VGPRBlocks: 12
; NumSGPRsForWavesPerEU: 57
; NumVGPRsForWavesPerEU: 103
; Occupancy: 12
; WaveLimiterHint : 1
; COMPUTE_PGM_RSRC2:SCRATCH_EN: 0
; COMPUTE_PGM_RSRC2:USER_SGPR: 15
; COMPUTE_PGM_RSRC2:TRAP_HANDLER: 0
; COMPUTE_PGM_RSRC2:TGID_X_EN: 1
; COMPUTE_PGM_RSRC2:TGID_Y_EN: 0
; COMPUTE_PGM_RSRC2:TGID_Z_EN: 0
; COMPUTE_PGM_RSRC2:TIDIG_COMP_CNT: 0
	.section	.text._ZN7rocprim17ROCPRIM_400000_NS6detail17trampoline_kernelINS0_13select_configILj256ELj13ELNS0_17block_load_methodE3ELS4_3ELS4_3ELNS0_20block_scan_algorithmE0ELj4294967295EEENS1_25partition_config_selectorILNS1_17partition_subalgoE4EjNS0_10empty_typeEbEEZZNS1_14partition_implILS8_4ELb0ES6_15HIP_vector_typeIjLj2EENS0_17counting_iteratorIjlEEPS9_SG_NS0_5tupleIJPjSI_NS0_16reverse_iteratorISI_EEEEENSH_IJSG_SG_SG_EEES9_SI_JZNS1_25segmented_radix_sort_implINS0_14default_configELb1EPKlPlSQ_SR_N2at6native12_GLOBAL__N_18offset_tEEE10hipError_tPvRmT1_PNSt15iterator_traitsISZ_E10value_typeET2_T3_PNS10_IS15_E10value_typeET4_jRbjT5_S1B_jjP12ihipStream_tbEUljE_ZNSN_ISO_Lb1ESQ_SR_SQ_SR_SV_EESW_SX_SY_SZ_S13_S14_S15_S18_S19_jS1A_jS1B_S1B_jjS1D_bEUljE0_EEESW_SX_SY_S15_S19_S1B_T6_T7_T9_mT8_S1D_bDpT10_ENKUlT_T0_E_clISt17integral_constantIbLb1EES1R_EEDaS1M_S1N_EUlS1M_E_NS1_11comp_targetILNS1_3genE8ELNS1_11target_archE1030ELNS1_3gpuE2ELNS1_3repE0EEENS1_30default_config_static_selectorELNS0_4arch9wavefront6targetE0EEEvSZ_,"axG",@progbits,_ZN7rocprim17ROCPRIM_400000_NS6detail17trampoline_kernelINS0_13select_configILj256ELj13ELNS0_17block_load_methodE3ELS4_3ELS4_3ELNS0_20block_scan_algorithmE0ELj4294967295EEENS1_25partition_config_selectorILNS1_17partition_subalgoE4EjNS0_10empty_typeEbEEZZNS1_14partition_implILS8_4ELb0ES6_15HIP_vector_typeIjLj2EENS0_17counting_iteratorIjlEEPS9_SG_NS0_5tupleIJPjSI_NS0_16reverse_iteratorISI_EEEEENSH_IJSG_SG_SG_EEES9_SI_JZNS1_25segmented_radix_sort_implINS0_14default_configELb1EPKlPlSQ_SR_N2at6native12_GLOBAL__N_18offset_tEEE10hipError_tPvRmT1_PNSt15iterator_traitsISZ_E10value_typeET2_T3_PNS10_IS15_E10value_typeET4_jRbjT5_S1B_jjP12ihipStream_tbEUljE_ZNSN_ISO_Lb1ESQ_SR_SQ_SR_SV_EESW_SX_SY_SZ_S13_S14_S15_S18_S19_jS1A_jS1B_S1B_jjS1D_bEUljE0_EEESW_SX_SY_S15_S19_S1B_T6_T7_T9_mT8_S1D_bDpT10_ENKUlT_T0_E_clISt17integral_constantIbLb1EES1R_EEDaS1M_S1N_EUlS1M_E_NS1_11comp_targetILNS1_3genE8ELNS1_11target_archE1030ELNS1_3gpuE2ELNS1_3repE0EEENS1_30default_config_static_selectorELNS0_4arch9wavefront6targetE0EEEvSZ_,comdat
	.globl	_ZN7rocprim17ROCPRIM_400000_NS6detail17trampoline_kernelINS0_13select_configILj256ELj13ELNS0_17block_load_methodE3ELS4_3ELS4_3ELNS0_20block_scan_algorithmE0ELj4294967295EEENS1_25partition_config_selectorILNS1_17partition_subalgoE4EjNS0_10empty_typeEbEEZZNS1_14partition_implILS8_4ELb0ES6_15HIP_vector_typeIjLj2EENS0_17counting_iteratorIjlEEPS9_SG_NS0_5tupleIJPjSI_NS0_16reverse_iteratorISI_EEEEENSH_IJSG_SG_SG_EEES9_SI_JZNS1_25segmented_radix_sort_implINS0_14default_configELb1EPKlPlSQ_SR_N2at6native12_GLOBAL__N_18offset_tEEE10hipError_tPvRmT1_PNSt15iterator_traitsISZ_E10value_typeET2_T3_PNS10_IS15_E10value_typeET4_jRbjT5_S1B_jjP12ihipStream_tbEUljE_ZNSN_ISO_Lb1ESQ_SR_SQ_SR_SV_EESW_SX_SY_SZ_S13_S14_S15_S18_S19_jS1A_jS1B_S1B_jjS1D_bEUljE0_EEESW_SX_SY_S15_S19_S1B_T6_T7_T9_mT8_S1D_bDpT10_ENKUlT_T0_E_clISt17integral_constantIbLb1EES1R_EEDaS1M_S1N_EUlS1M_E_NS1_11comp_targetILNS1_3genE8ELNS1_11target_archE1030ELNS1_3gpuE2ELNS1_3repE0EEENS1_30default_config_static_selectorELNS0_4arch9wavefront6targetE0EEEvSZ_ ; -- Begin function _ZN7rocprim17ROCPRIM_400000_NS6detail17trampoline_kernelINS0_13select_configILj256ELj13ELNS0_17block_load_methodE3ELS4_3ELS4_3ELNS0_20block_scan_algorithmE0ELj4294967295EEENS1_25partition_config_selectorILNS1_17partition_subalgoE4EjNS0_10empty_typeEbEEZZNS1_14partition_implILS8_4ELb0ES6_15HIP_vector_typeIjLj2EENS0_17counting_iteratorIjlEEPS9_SG_NS0_5tupleIJPjSI_NS0_16reverse_iteratorISI_EEEEENSH_IJSG_SG_SG_EEES9_SI_JZNS1_25segmented_radix_sort_implINS0_14default_configELb1EPKlPlSQ_SR_N2at6native12_GLOBAL__N_18offset_tEEE10hipError_tPvRmT1_PNSt15iterator_traitsISZ_E10value_typeET2_T3_PNS10_IS15_E10value_typeET4_jRbjT5_S1B_jjP12ihipStream_tbEUljE_ZNSN_ISO_Lb1ESQ_SR_SQ_SR_SV_EESW_SX_SY_SZ_S13_S14_S15_S18_S19_jS1A_jS1B_S1B_jjS1D_bEUljE0_EEESW_SX_SY_S15_S19_S1B_T6_T7_T9_mT8_S1D_bDpT10_ENKUlT_T0_E_clISt17integral_constantIbLb1EES1R_EEDaS1M_S1N_EUlS1M_E_NS1_11comp_targetILNS1_3genE8ELNS1_11target_archE1030ELNS1_3gpuE2ELNS1_3repE0EEENS1_30default_config_static_selectorELNS0_4arch9wavefront6targetE0EEEvSZ_
	.p2align	8
	.type	_ZN7rocprim17ROCPRIM_400000_NS6detail17trampoline_kernelINS0_13select_configILj256ELj13ELNS0_17block_load_methodE3ELS4_3ELS4_3ELNS0_20block_scan_algorithmE0ELj4294967295EEENS1_25partition_config_selectorILNS1_17partition_subalgoE4EjNS0_10empty_typeEbEEZZNS1_14partition_implILS8_4ELb0ES6_15HIP_vector_typeIjLj2EENS0_17counting_iteratorIjlEEPS9_SG_NS0_5tupleIJPjSI_NS0_16reverse_iteratorISI_EEEEENSH_IJSG_SG_SG_EEES9_SI_JZNS1_25segmented_radix_sort_implINS0_14default_configELb1EPKlPlSQ_SR_N2at6native12_GLOBAL__N_18offset_tEEE10hipError_tPvRmT1_PNSt15iterator_traitsISZ_E10value_typeET2_T3_PNS10_IS15_E10value_typeET4_jRbjT5_S1B_jjP12ihipStream_tbEUljE_ZNSN_ISO_Lb1ESQ_SR_SQ_SR_SV_EESW_SX_SY_SZ_S13_S14_S15_S18_S19_jS1A_jS1B_S1B_jjS1D_bEUljE0_EEESW_SX_SY_S15_S19_S1B_T6_T7_T9_mT8_S1D_bDpT10_ENKUlT_T0_E_clISt17integral_constantIbLb1EES1R_EEDaS1M_S1N_EUlS1M_E_NS1_11comp_targetILNS1_3genE8ELNS1_11target_archE1030ELNS1_3gpuE2ELNS1_3repE0EEENS1_30default_config_static_selectorELNS0_4arch9wavefront6targetE0EEEvSZ_,@function
_ZN7rocprim17ROCPRIM_400000_NS6detail17trampoline_kernelINS0_13select_configILj256ELj13ELNS0_17block_load_methodE3ELS4_3ELS4_3ELNS0_20block_scan_algorithmE0ELj4294967295EEENS1_25partition_config_selectorILNS1_17partition_subalgoE4EjNS0_10empty_typeEbEEZZNS1_14partition_implILS8_4ELb0ES6_15HIP_vector_typeIjLj2EENS0_17counting_iteratorIjlEEPS9_SG_NS0_5tupleIJPjSI_NS0_16reverse_iteratorISI_EEEEENSH_IJSG_SG_SG_EEES9_SI_JZNS1_25segmented_radix_sort_implINS0_14default_configELb1EPKlPlSQ_SR_N2at6native12_GLOBAL__N_18offset_tEEE10hipError_tPvRmT1_PNSt15iterator_traitsISZ_E10value_typeET2_T3_PNS10_IS15_E10value_typeET4_jRbjT5_S1B_jjP12ihipStream_tbEUljE_ZNSN_ISO_Lb1ESQ_SR_SQ_SR_SV_EESW_SX_SY_SZ_S13_S14_S15_S18_S19_jS1A_jS1B_S1B_jjS1D_bEUljE0_EEESW_SX_SY_S15_S19_S1B_T6_T7_T9_mT8_S1D_bDpT10_ENKUlT_T0_E_clISt17integral_constantIbLb1EES1R_EEDaS1M_S1N_EUlS1M_E_NS1_11comp_targetILNS1_3genE8ELNS1_11target_archE1030ELNS1_3gpuE2ELNS1_3repE0EEENS1_30default_config_static_selectorELNS0_4arch9wavefront6targetE0EEEvSZ_: ; @_ZN7rocprim17ROCPRIM_400000_NS6detail17trampoline_kernelINS0_13select_configILj256ELj13ELNS0_17block_load_methodE3ELS4_3ELS4_3ELNS0_20block_scan_algorithmE0ELj4294967295EEENS1_25partition_config_selectorILNS1_17partition_subalgoE4EjNS0_10empty_typeEbEEZZNS1_14partition_implILS8_4ELb0ES6_15HIP_vector_typeIjLj2EENS0_17counting_iteratorIjlEEPS9_SG_NS0_5tupleIJPjSI_NS0_16reverse_iteratorISI_EEEEENSH_IJSG_SG_SG_EEES9_SI_JZNS1_25segmented_radix_sort_implINS0_14default_configELb1EPKlPlSQ_SR_N2at6native12_GLOBAL__N_18offset_tEEE10hipError_tPvRmT1_PNSt15iterator_traitsISZ_E10value_typeET2_T3_PNS10_IS15_E10value_typeET4_jRbjT5_S1B_jjP12ihipStream_tbEUljE_ZNSN_ISO_Lb1ESQ_SR_SQ_SR_SV_EESW_SX_SY_SZ_S13_S14_S15_S18_S19_jS1A_jS1B_S1B_jjS1D_bEUljE0_EEESW_SX_SY_S15_S19_S1B_T6_T7_T9_mT8_S1D_bDpT10_ENKUlT_T0_E_clISt17integral_constantIbLb1EES1R_EEDaS1M_S1N_EUlS1M_E_NS1_11comp_targetILNS1_3genE8ELNS1_11target_archE1030ELNS1_3gpuE2ELNS1_3repE0EEENS1_30default_config_static_selectorELNS0_4arch9wavefront6targetE0EEEvSZ_
; %bb.0:
	.section	.rodata,"a",@progbits
	.p2align	6, 0x0
	.amdhsa_kernel _ZN7rocprim17ROCPRIM_400000_NS6detail17trampoline_kernelINS0_13select_configILj256ELj13ELNS0_17block_load_methodE3ELS4_3ELS4_3ELNS0_20block_scan_algorithmE0ELj4294967295EEENS1_25partition_config_selectorILNS1_17partition_subalgoE4EjNS0_10empty_typeEbEEZZNS1_14partition_implILS8_4ELb0ES6_15HIP_vector_typeIjLj2EENS0_17counting_iteratorIjlEEPS9_SG_NS0_5tupleIJPjSI_NS0_16reverse_iteratorISI_EEEEENSH_IJSG_SG_SG_EEES9_SI_JZNS1_25segmented_radix_sort_implINS0_14default_configELb1EPKlPlSQ_SR_N2at6native12_GLOBAL__N_18offset_tEEE10hipError_tPvRmT1_PNSt15iterator_traitsISZ_E10value_typeET2_T3_PNS10_IS15_E10value_typeET4_jRbjT5_S1B_jjP12ihipStream_tbEUljE_ZNSN_ISO_Lb1ESQ_SR_SQ_SR_SV_EESW_SX_SY_SZ_S13_S14_S15_S18_S19_jS1A_jS1B_S1B_jjS1D_bEUljE0_EEESW_SX_SY_S15_S19_S1B_T6_T7_T9_mT8_S1D_bDpT10_ENKUlT_T0_E_clISt17integral_constantIbLb1EES1R_EEDaS1M_S1N_EUlS1M_E_NS1_11comp_targetILNS1_3genE8ELNS1_11target_archE1030ELNS1_3gpuE2ELNS1_3repE0EEENS1_30default_config_static_selectorELNS0_4arch9wavefront6targetE0EEEvSZ_
		.amdhsa_group_segment_fixed_size 0
		.amdhsa_private_segment_fixed_size 0
		.amdhsa_kernarg_size 184
		.amdhsa_user_sgpr_count 15
		.amdhsa_user_sgpr_dispatch_ptr 0
		.amdhsa_user_sgpr_queue_ptr 0
		.amdhsa_user_sgpr_kernarg_segment_ptr 1
		.amdhsa_user_sgpr_dispatch_id 0
		.amdhsa_user_sgpr_private_segment_size 0
		.amdhsa_wavefront_size32 1
		.amdhsa_uses_dynamic_stack 0
		.amdhsa_enable_private_segment 0
		.amdhsa_system_sgpr_workgroup_id_x 1
		.amdhsa_system_sgpr_workgroup_id_y 0
		.amdhsa_system_sgpr_workgroup_id_z 0
		.amdhsa_system_sgpr_workgroup_info 0
		.amdhsa_system_vgpr_workitem_id 0
		.amdhsa_next_free_vgpr 1
		.amdhsa_next_free_sgpr 1
		.amdhsa_reserve_vcc 0
		.amdhsa_float_round_mode_32 0
		.amdhsa_float_round_mode_16_64 0
		.amdhsa_float_denorm_mode_32 3
		.amdhsa_float_denorm_mode_16_64 3
		.amdhsa_dx10_clamp 1
		.amdhsa_ieee_mode 1
		.amdhsa_fp16_overflow 0
		.amdhsa_workgroup_processor_mode 1
		.amdhsa_memory_ordered 1
		.amdhsa_forward_progress 0
		.amdhsa_shared_vgpr_count 0
		.amdhsa_exception_fp_ieee_invalid_op 0
		.amdhsa_exception_fp_denorm_src 0
		.amdhsa_exception_fp_ieee_div_zero 0
		.amdhsa_exception_fp_ieee_overflow 0
		.amdhsa_exception_fp_ieee_underflow 0
		.amdhsa_exception_fp_ieee_inexact 0
		.amdhsa_exception_int_div_zero 0
	.end_amdhsa_kernel
	.section	.text._ZN7rocprim17ROCPRIM_400000_NS6detail17trampoline_kernelINS0_13select_configILj256ELj13ELNS0_17block_load_methodE3ELS4_3ELS4_3ELNS0_20block_scan_algorithmE0ELj4294967295EEENS1_25partition_config_selectorILNS1_17partition_subalgoE4EjNS0_10empty_typeEbEEZZNS1_14partition_implILS8_4ELb0ES6_15HIP_vector_typeIjLj2EENS0_17counting_iteratorIjlEEPS9_SG_NS0_5tupleIJPjSI_NS0_16reverse_iteratorISI_EEEEENSH_IJSG_SG_SG_EEES9_SI_JZNS1_25segmented_radix_sort_implINS0_14default_configELb1EPKlPlSQ_SR_N2at6native12_GLOBAL__N_18offset_tEEE10hipError_tPvRmT1_PNSt15iterator_traitsISZ_E10value_typeET2_T3_PNS10_IS15_E10value_typeET4_jRbjT5_S1B_jjP12ihipStream_tbEUljE_ZNSN_ISO_Lb1ESQ_SR_SQ_SR_SV_EESW_SX_SY_SZ_S13_S14_S15_S18_S19_jS1A_jS1B_S1B_jjS1D_bEUljE0_EEESW_SX_SY_S15_S19_S1B_T6_T7_T9_mT8_S1D_bDpT10_ENKUlT_T0_E_clISt17integral_constantIbLb1EES1R_EEDaS1M_S1N_EUlS1M_E_NS1_11comp_targetILNS1_3genE8ELNS1_11target_archE1030ELNS1_3gpuE2ELNS1_3repE0EEENS1_30default_config_static_selectorELNS0_4arch9wavefront6targetE0EEEvSZ_,"axG",@progbits,_ZN7rocprim17ROCPRIM_400000_NS6detail17trampoline_kernelINS0_13select_configILj256ELj13ELNS0_17block_load_methodE3ELS4_3ELS4_3ELNS0_20block_scan_algorithmE0ELj4294967295EEENS1_25partition_config_selectorILNS1_17partition_subalgoE4EjNS0_10empty_typeEbEEZZNS1_14partition_implILS8_4ELb0ES6_15HIP_vector_typeIjLj2EENS0_17counting_iteratorIjlEEPS9_SG_NS0_5tupleIJPjSI_NS0_16reverse_iteratorISI_EEEEENSH_IJSG_SG_SG_EEES9_SI_JZNS1_25segmented_radix_sort_implINS0_14default_configELb1EPKlPlSQ_SR_N2at6native12_GLOBAL__N_18offset_tEEE10hipError_tPvRmT1_PNSt15iterator_traitsISZ_E10value_typeET2_T3_PNS10_IS15_E10value_typeET4_jRbjT5_S1B_jjP12ihipStream_tbEUljE_ZNSN_ISO_Lb1ESQ_SR_SQ_SR_SV_EESW_SX_SY_SZ_S13_S14_S15_S18_S19_jS1A_jS1B_S1B_jjS1D_bEUljE0_EEESW_SX_SY_S15_S19_S1B_T6_T7_T9_mT8_S1D_bDpT10_ENKUlT_T0_E_clISt17integral_constantIbLb1EES1R_EEDaS1M_S1N_EUlS1M_E_NS1_11comp_targetILNS1_3genE8ELNS1_11target_archE1030ELNS1_3gpuE2ELNS1_3repE0EEENS1_30default_config_static_selectorELNS0_4arch9wavefront6targetE0EEEvSZ_,comdat
.Lfunc_end655:
	.size	_ZN7rocprim17ROCPRIM_400000_NS6detail17trampoline_kernelINS0_13select_configILj256ELj13ELNS0_17block_load_methodE3ELS4_3ELS4_3ELNS0_20block_scan_algorithmE0ELj4294967295EEENS1_25partition_config_selectorILNS1_17partition_subalgoE4EjNS0_10empty_typeEbEEZZNS1_14partition_implILS8_4ELb0ES6_15HIP_vector_typeIjLj2EENS0_17counting_iteratorIjlEEPS9_SG_NS0_5tupleIJPjSI_NS0_16reverse_iteratorISI_EEEEENSH_IJSG_SG_SG_EEES9_SI_JZNS1_25segmented_radix_sort_implINS0_14default_configELb1EPKlPlSQ_SR_N2at6native12_GLOBAL__N_18offset_tEEE10hipError_tPvRmT1_PNSt15iterator_traitsISZ_E10value_typeET2_T3_PNS10_IS15_E10value_typeET4_jRbjT5_S1B_jjP12ihipStream_tbEUljE_ZNSN_ISO_Lb1ESQ_SR_SQ_SR_SV_EESW_SX_SY_SZ_S13_S14_S15_S18_S19_jS1A_jS1B_S1B_jjS1D_bEUljE0_EEESW_SX_SY_S15_S19_S1B_T6_T7_T9_mT8_S1D_bDpT10_ENKUlT_T0_E_clISt17integral_constantIbLb1EES1R_EEDaS1M_S1N_EUlS1M_E_NS1_11comp_targetILNS1_3genE8ELNS1_11target_archE1030ELNS1_3gpuE2ELNS1_3repE0EEENS1_30default_config_static_selectorELNS0_4arch9wavefront6targetE0EEEvSZ_, .Lfunc_end655-_ZN7rocprim17ROCPRIM_400000_NS6detail17trampoline_kernelINS0_13select_configILj256ELj13ELNS0_17block_load_methodE3ELS4_3ELS4_3ELNS0_20block_scan_algorithmE0ELj4294967295EEENS1_25partition_config_selectorILNS1_17partition_subalgoE4EjNS0_10empty_typeEbEEZZNS1_14partition_implILS8_4ELb0ES6_15HIP_vector_typeIjLj2EENS0_17counting_iteratorIjlEEPS9_SG_NS0_5tupleIJPjSI_NS0_16reverse_iteratorISI_EEEEENSH_IJSG_SG_SG_EEES9_SI_JZNS1_25segmented_radix_sort_implINS0_14default_configELb1EPKlPlSQ_SR_N2at6native12_GLOBAL__N_18offset_tEEE10hipError_tPvRmT1_PNSt15iterator_traitsISZ_E10value_typeET2_T3_PNS10_IS15_E10value_typeET4_jRbjT5_S1B_jjP12ihipStream_tbEUljE_ZNSN_ISO_Lb1ESQ_SR_SQ_SR_SV_EESW_SX_SY_SZ_S13_S14_S15_S18_S19_jS1A_jS1B_S1B_jjS1D_bEUljE0_EEESW_SX_SY_S15_S19_S1B_T6_T7_T9_mT8_S1D_bDpT10_ENKUlT_T0_E_clISt17integral_constantIbLb1EES1R_EEDaS1M_S1N_EUlS1M_E_NS1_11comp_targetILNS1_3genE8ELNS1_11target_archE1030ELNS1_3gpuE2ELNS1_3repE0EEENS1_30default_config_static_selectorELNS0_4arch9wavefront6targetE0EEEvSZ_
                                        ; -- End function
	.section	.AMDGPU.csdata,"",@progbits
; Kernel info:
; codeLenInByte = 0
; NumSgprs: 0
; NumVgprs: 0
; ScratchSize: 0
; MemoryBound: 0
; FloatMode: 240
; IeeeMode: 1
; LDSByteSize: 0 bytes/workgroup (compile time only)
; SGPRBlocks: 0
; VGPRBlocks: 0
; NumSGPRsForWavesPerEU: 1
; NumVGPRsForWavesPerEU: 1
; Occupancy: 16
; WaveLimiterHint : 0
; COMPUTE_PGM_RSRC2:SCRATCH_EN: 0
; COMPUTE_PGM_RSRC2:USER_SGPR: 15
; COMPUTE_PGM_RSRC2:TRAP_HANDLER: 0
; COMPUTE_PGM_RSRC2:TGID_X_EN: 1
; COMPUTE_PGM_RSRC2:TGID_Y_EN: 0
; COMPUTE_PGM_RSRC2:TGID_Z_EN: 0
; COMPUTE_PGM_RSRC2:TIDIG_COMP_CNT: 0
	.section	.text._ZN7rocprim17ROCPRIM_400000_NS6detail17trampoline_kernelINS0_13select_configILj256ELj13ELNS0_17block_load_methodE3ELS4_3ELS4_3ELNS0_20block_scan_algorithmE0ELj4294967295EEENS1_25partition_config_selectorILNS1_17partition_subalgoE4EjNS0_10empty_typeEbEEZZNS1_14partition_implILS8_4ELb0ES6_15HIP_vector_typeIjLj2EENS0_17counting_iteratorIjlEEPS9_SG_NS0_5tupleIJPjSI_NS0_16reverse_iteratorISI_EEEEENSH_IJSG_SG_SG_EEES9_SI_JZNS1_25segmented_radix_sort_implINS0_14default_configELb1EPKlPlSQ_SR_N2at6native12_GLOBAL__N_18offset_tEEE10hipError_tPvRmT1_PNSt15iterator_traitsISZ_E10value_typeET2_T3_PNS10_IS15_E10value_typeET4_jRbjT5_S1B_jjP12ihipStream_tbEUljE_ZNSN_ISO_Lb1ESQ_SR_SQ_SR_SV_EESW_SX_SY_SZ_S13_S14_S15_S18_S19_jS1A_jS1B_S1B_jjS1D_bEUljE0_EEESW_SX_SY_S15_S19_S1B_T6_T7_T9_mT8_S1D_bDpT10_ENKUlT_T0_E_clISt17integral_constantIbLb1EES1Q_IbLb0EEEEDaS1M_S1N_EUlS1M_E_NS1_11comp_targetILNS1_3genE0ELNS1_11target_archE4294967295ELNS1_3gpuE0ELNS1_3repE0EEENS1_30default_config_static_selectorELNS0_4arch9wavefront6targetE0EEEvSZ_,"axG",@progbits,_ZN7rocprim17ROCPRIM_400000_NS6detail17trampoline_kernelINS0_13select_configILj256ELj13ELNS0_17block_load_methodE3ELS4_3ELS4_3ELNS0_20block_scan_algorithmE0ELj4294967295EEENS1_25partition_config_selectorILNS1_17partition_subalgoE4EjNS0_10empty_typeEbEEZZNS1_14partition_implILS8_4ELb0ES6_15HIP_vector_typeIjLj2EENS0_17counting_iteratorIjlEEPS9_SG_NS0_5tupleIJPjSI_NS0_16reverse_iteratorISI_EEEEENSH_IJSG_SG_SG_EEES9_SI_JZNS1_25segmented_radix_sort_implINS0_14default_configELb1EPKlPlSQ_SR_N2at6native12_GLOBAL__N_18offset_tEEE10hipError_tPvRmT1_PNSt15iterator_traitsISZ_E10value_typeET2_T3_PNS10_IS15_E10value_typeET4_jRbjT5_S1B_jjP12ihipStream_tbEUljE_ZNSN_ISO_Lb1ESQ_SR_SQ_SR_SV_EESW_SX_SY_SZ_S13_S14_S15_S18_S19_jS1A_jS1B_S1B_jjS1D_bEUljE0_EEESW_SX_SY_S15_S19_S1B_T6_T7_T9_mT8_S1D_bDpT10_ENKUlT_T0_E_clISt17integral_constantIbLb1EES1Q_IbLb0EEEEDaS1M_S1N_EUlS1M_E_NS1_11comp_targetILNS1_3genE0ELNS1_11target_archE4294967295ELNS1_3gpuE0ELNS1_3repE0EEENS1_30default_config_static_selectorELNS0_4arch9wavefront6targetE0EEEvSZ_,comdat
	.globl	_ZN7rocprim17ROCPRIM_400000_NS6detail17trampoline_kernelINS0_13select_configILj256ELj13ELNS0_17block_load_methodE3ELS4_3ELS4_3ELNS0_20block_scan_algorithmE0ELj4294967295EEENS1_25partition_config_selectorILNS1_17partition_subalgoE4EjNS0_10empty_typeEbEEZZNS1_14partition_implILS8_4ELb0ES6_15HIP_vector_typeIjLj2EENS0_17counting_iteratorIjlEEPS9_SG_NS0_5tupleIJPjSI_NS0_16reverse_iteratorISI_EEEEENSH_IJSG_SG_SG_EEES9_SI_JZNS1_25segmented_radix_sort_implINS0_14default_configELb1EPKlPlSQ_SR_N2at6native12_GLOBAL__N_18offset_tEEE10hipError_tPvRmT1_PNSt15iterator_traitsISZ_E10value_typeET2_T3_PNS10_IS15_E10value_typeET4_jRbjT5_S1B_jjP12ihipStream_tbEUljE_ZNSN_ISO_Lb1ESQ_SR_SQ_SR_SV_EESW_SX_SY_SZ_S13_S14_S15_S18_S19_jS1A_jS1B_S1B_jjS1D_bEUljE0_EEESW_SX_SY_S15_S19_S1B_T6_T7_T9_mT8_S1D_bDpT10_ENKUlT_T0_E_clISt17integral_constantIbLb1EES1Q_IbLb0EEEEDaS1M_S1N_EUlS1M_E_NS1_11comp_targetILNS1_3genE0ELNS1_11target_archE4294967295ELNS1_3gpuE0ELNS1_3repE0EEENS1_30default_config_static_selectorELNS0_4arch9wavefront6targetE0EEEvSZ_ ; -- Begin function _ZN7rocprim17ROCPRIM_400000_NS6detail17trampoline_kernelINS0_13select_configILj256ELj13ELNS0_17block_load_methodE3ELS4_3ELS4_3ELNS0_20block_scan_algorithmE0ELj4294967295EEENS1_25partition_config_selectorILNS1_17partition_subalgoE4EjNS0_10empty_typeEbEEZZNS1_14partition_implILS8_4ELb0ES6_15HIP_vector_typeIjLj2EENS0_17counting_iteratorIjlEEPS9_SG_NS0_5tupleIJPjSI_NS0_16reverse_iteratorISI_EEEEENSH_IJSG_SG_SG_EEES9_SI_JZNS1_25segmented_radix_sort_implINS0_14default_configELb1EPKlPlSQ_SR_N2at6native12_GLOBAL__N_18offset_tEEE10hipError_tPvRmT1_PNSt15iterator_traitsISZ_E10value_typeET2_T3_PNS10_IS15_E10value_typeET4_jRbjT5_S1B_jjP12ihipStream_tbEUljE_ZNSN_ISO_Lb1ESQ_SR_SQ_SR_SV_EESW_SX_SY_SZ_S13_S14_S15_S18_S19_jS1A_jS1B_S1B_jjS1D_bEUljE0_EEESW_SX_SY_S15_S19_S1B_T6_T7_T9_mT8_S1D_bDpT10_ENKUlT_T0_E_clISt17integral_constantIbLb1EES1Q_IbLb0EEEEDaS1M_S1N_EUlS1M_E_NS1_11comp_targetILNS1_3genE0ELNS1_11target_archE4294967295ELNS1_3gpuE0ELNS1_3repE0EEENS1_30default_config_static_selectorELNS0_4arch9wavefront6targetE0EEEvSZ_
	.p2align	8
	.type	_ZN7rocprim17ROCPRIM_400000_NS6detail17trampoline_kernelINS0_13select_configILj256ELj13ELNS0_17block_load_methodE3ELS4_3ELS4_3ELNS0_20block_scan_algorithmE0ELj4294967295EEENS1_25partition_config_selectorILNS1_17partition_subalgoE4EjNS0_10empty_typeEbEEZZNS1_14partition_implILS8_4ELb0ES6_15HIP_vector_typeIjLj2EENS0_17counting_iteratorIjlEEPS9_SG_NS0_5tupleIJPjSI_NS0_16reverse_iteratorISI_EEEEENSH_IJSG_SG_SG_EEES9_SI_JZNS1_25segmented_radix_sort_implINS0_14default_configELb1EPKlPlSQ_SR_N2at6native12_GLOBAL__N_18offset_tEEE10hipError_tPvRmT1_PNSt15iterator_traitsISZ_E10value_typeET2_T3_PNS10_IS15_E10value_typeET4_jRbjT5_S1B_jjP12ihipStream_tbEUljE_ZNSN_ISO_Lb1ESQ_SR_SQ_SR_SV_EESW_SX_SY_SZ_S13_S14_S15_S18_S19_jS1A_jS1B_S1B_jjS1D_bEUljE0_EEESW_SX_SY_S15_S19_S1B_T6_T7_T9_mT8_S1D_bDpT10_ENKUlT_T0_E_clISt17integral_constantIbLb1EES1Q_IbLb0EEEEDaS1M_S1N_EUlS1M_E_NS1_11comp_targetILNS1_3genE0ELNS1_11target_archE4294967295ELNS1_3gpuE0ELNS1_3repE0EEENS1_30default_config_static_selectorELNS0_4arch9wavefront6targetE0EEEvSZ_,@function
_ZN7rocprim17ROCPRIM_400000_NS6detail17trampoline_kernelINS0_13select_configILj256ELj13ELNS0_17block_load_methodE3ELS4_3ELS4_3ELNS0_20block_scan_algorithmE0ELj4294967295EEENS1_25partition_config_selectorILNS1_17partition_subalgoE4EjNS0_10empty_typeEbEEZZNS1_14partition_implILS8_4ELb0ES6_15HIP_vector_typeIjLj2EENS0_17counting_iteratorIjlEEPS9_SG_NS0_5tupleIJPjSI_NS0_16reverse_iteratorISI_EEEEENSH_IJSG_SG_SG_EEES9_SI_JZNS1_25segmented_radix_sort_implINS0_14default_configELb1EPKlPlSQ_SR_N2at6native12_GLOBAL__N_18offset_tEEE10hipError_tPvRmT1_PNSt15iterator_traitsISZ_E10value_typeET2_T3_PNS10_IS15_E10value_typeET4_jRbjT5_S1B_jjP12ihipStream_tbEUljE_ZNSN_ISO_Lb1ESQ_SR_SQ_SR_SV_EESW_SX_SY_SZ_S13_S14_S15_S18_S19_jS1A_jS1B_S1B_jjS1D_bEUljE0_EEESW_SX_SY_S15_S19_S1B_T6_T7_T9_mT8_S1D_bDpT10_ENKUlT_T0_E_clISt17integral_constantIbLb1EES1Q_IbLb0EEEEDaS1M_S1N_EUlS1M_E_NS1_11comp_targetILNS1_3genE0ELNS1_11target_archE4294967295ELNS1_3gpuE0ELNS1_3repE0EEENS1_30default_config_static_selectorELNS0_4arch9wavefront6targetE0EEEvSZ_: ; @_ZN7rocprim17ROCPRIM_400000_NS6detail17trampoline_kernelINS0_13select_configILj256ELj13ELNS0_17block_load_methodE3ELS4_3ELS4_3ELNS0_20block_scan_algorithmE0ELj4294967295EEENS1_25partition_config_selectorILNS1_17partition_subalgoE4EjNS0_10empty_typeEbEEZZNS1_14partition_implILS8_4ELb0ES6_15HIP_vector_typeIjLj2EENS0_17counting_iteratorIjlEEPS9_SG_NS0_5tupleIJPjSI_NS0_16reverse_iteratorISI_EEEEENSH_IJSG_SG_SG_EEES9_SI_JZNS1_25segmented_radix_sort_implINS0_14default_configELb1EPKlPlSQ_SR_N2at6native12_GLOBAL__N_18offset_tEEE10hipError_tPvRmT1_PNSt15iterator_traitsISZ_E10value_typeET2_T3_PNS10_IS15_E10value_typeET4_jRbjT5_S1B_jjP12ihipStream_tbEUljE_ZNSN_ISO_Lb1ESQ_SR_SQ_SR_SV_EESW_SX_SY_SZ_S13_S14_S15_S18_S19_jS1A_jS1B_S1B_jjS1D_bEUljE0_EEESW_SX_SY_S15_S19_S1B_T6_T7_T9_mT8_S1D_bDpT10_ENKUlT_T0_E_clISt17integral_constantIbLb1EES1Q_IbLb0EEEEDaS1M_S1N_EUlS1M_E_NS1_11comp_targetILNS1_3genE0ELNS1_11target_archE4294967295ELNS1_3gpuE0ELNS1_3repE0EEENS1_30default_config_static_selectorELNS0_4arch9wavefront6targetE0EEEvSZ_
; %bb.0:
	.section	.rodata,"a",@progbits
	.p2align	6, 0x0
	.amdhsa_kernel _ZN7rocprim17ROCPRIM_400000_NS6detail17trampoline_kernelINS0_13select_configILj256ELj13ELNS0_17block_load_methodE3ELS4_3ELS4_3ELNS0_20block_scan_algorithmE0ELj4294967295EEENS1_25partition_config_selectorILNS1_17partition_subalgoE4EjNS0_10empty_typeEbEEZZNS1_14partition_implILS8_4ELb0ES6_15HIP_vector_typeIjLj2EENS0_17counting_iteratorIjlEEPS9_SG_NS0_5tupleIJPjSI_NS0_16reverse_iteratorISI_EEEEENSH_IJSG_SG_SG_EEES9_SI_JZNS1_25segmented_radix_sort_implINS0_14default_configELb1EPKlPlSQ_SR_N2at6native12_GLOBAL__N_18offset_tEEE10hipError_tPvRmT1_PNSt15iterator_traitsISZ_E10value_typeET2_T3_PNS10_IS15_E10value_typeET4_jRbjT5_S1B_jjP12ihipStream_tbEUljE_ZNSN_ISO_Lb1ESQ_SR_SQ_SR_SV_EESW_SX_SY_SZ_S13_S14_S15_S18_S19_jS1A_jS1B_S1B_jjS1D_bEUljE0_EEESW_SX_SY_S15_S19_S1B_T6_T7_T9_mT8_S1D_bDpT10_ENKUlT_T0_E_clISt17integral_constantIbLb1EES1Q_IbLb0EEEEDaS1M_S1N_EUlS1M_E_NS1_11comp_targetILNS1_3genE0ELNS1_11target_archE4294967295ELNS1_3gpuE0ELNS1_3repE0EEENS1_30default_config_static_selectorELNS0_4arch9wavefront6targetE0EEEvSZ_
		.amdhsa_group_segment_fixed_size 0
		.amdhsa_private_segment_fixed_size 0
		.amdhsa_kernarg_size 176
		.amdhsa_user_sgpr_count 15
		.amdhsa_user_sgpr_dispatch_ptr 0
		.amdhsa_user_sgpr_queue_ptr 0
		.amdhsa_user_sgpr_kernarg_segment_ptr 1
		.amdhsa_user_sgpr_dispatch_id 0
		.amdhsa_user_sgpr_private_segment_size 0
		.amdhsa_wavefront_size32 1
		.amdhsa_uses_dynamic_stack 0
		.amdhsa_enable_private_segment 0
		.amdhsa_system_sgpr_workgroup_id_x 1
		.amdhsa_system_sgpr_workgroup_id_y 0
		.amdhsa_system_sgpr_workgroup_id_z 0
		.amdhsa_system_sgpr_workgroup_info 0
		.amdhsa_system_vgpr_workitem_id 0
		.amdhsa_next_free_vgpr 1
		.amdhsa_next_free_sgpr 1
		.amdhsa_reserve_vcc 0
		.amdhsa_float_round_mode_32 0
		.amdhsa_float_round_mode_16_64 0
		.amdhsa_float_denorm_mode_32 3
		.amdhsa_float_denorm_mode_16_64 3
		.amdhsa_dx10_clamp 1
		.amdhsa_ieee_mode 1
		.amdhsa_fp16_overflow 0
		.amdhsa_workgroup_processor_mode 1
		.amdhsa_memory_ordered 1
		.amdhsa_forward_progress 0
		.amdhsa_shared_vgpr_count 0
		.amdhsa_exception_fp_ieee_invalid_op 0
		.amdhsa_exception_fp_denorm_src 0
		.amdhsa_exception_fp_ieee_div_zero 0
		.amdhsa_exception_fp_ieee_overflow 0
		.amdhsa_exception_fp_ieee_underflow 0
		.amdhsa_exception_fp_ieee_inexact 0
		.amdhsa_exception_int_div_zero 0
	.end_amdhsa_kernel
	.section	.text._ZN7rocprim17ROCPRIM_400000_NS6detail17trampoline_kernelINS0_13select_configILj256ELj13ELNS0_17block_load_methodE3ELS4_3ELS4_3ELNS0_20block_scan_algorithmE0ELj4294967295EEENS1_25partition_config_selectorILNS1_17partition_subalgoE4EjNS0_10empty_typeEbEEZZNS1_14partition_implILS8_4ELb0ES6_15HIP_vector_typeIjLj2EENS0_17counting_iteratorIjlEEPS9_SG_NS0_5tupleIJPjSI_NS0_16reverse_iteratorISI_EEEEENSH_IJSG_SG_SG_EEES9_SI_JZNS1_25segmented_radix_sort_implINS0_14default_configELb1EPKlPlSQ_SR_N2at6native12_GLOBAL__N_18offset_tEEE10hipError_tPvRmT1_PNSt15iterator_traitsISZ_E10value_typeET2_T3_PNS10_IS15_E10value_typeET4_jRbjT5_S1B_jjP12ihipStream_tbEUljE_ZNSN_ISO_Lb1ESQ_SR_SQ_SR_SV_EESW_SX_SY_SZ_S13_S14_S15_S18_S19_jS1A_jS1B_S1B_jjS1D_bEUljE0_EEESW_SX_SY_S15_S19_S1B_T6_T7_T9_mT8_S1D_bDpT10_ENKUlT_T0_E_clISt17integral_constantIbLb1EES1Q_IbLb0EEEEDaS1M_S1N_EUlS1M_E_NS1_11comp_targetILNS1_3genE0ELNS1_11target_archE4294967295ELNS1_3gpuE0ELNS1_3repE0EEENS1_30default_config_static_selectorELNS0_4arch9wavefront6targetE0EEEvSZ_,"axG",@progbits,_ZN7rocprim17ROCPRIM_400000_NS6detail17trampoline_kernelINS0_13select_configILj256ELj13ELNS0_17block_load_methodE3ELS4_3ELS4_3ELNS0_20block_scan_algorithmE0ELj4294967295EEENS1_25partition_config_selectorILNS1_17partition_subalgoE4EjNS0_10empty_typeEbEEZZNS1_14partition_implILS8_4ELb0ES6_15HIP_vector_typeIjLj2EENS0_17counting_iteratorIjlEEPS9_SG_NS0_5tupleIJPjSI_NS0_16reverse_iteratorISI_EEEEENSH_IJSG_SG_SG_EEES9_SI_JZNS1_25segmented_radix_sort_implINS0_14default_configELb1EPKlPlSQ_SR_N2at6native12_GLOBAL__N_18offset_tEEE10hipError_tPvRmT1_PNSt15iterator_traitsISZ_E10value_typeET2_T3_PNS10_IS15_E10value_typeET4_jRbjT5_S1B_jjP12ihipStream_tbEUljE_ZNSN_ISO_Lb1ESQ_SR_SQ_SR_SV_EESW_SX_SY_SZ_S13_S14_S15_S18_S19_jS1A_jS1B_S1B_jjS1D_bEUljE0_EEESW_SX_SY_S15_S19_S1B_T6_T7_T9_mT8_S1D_bDpT10_ENKUlT_T0_E_clISt17integral_constantIbLb1EES1Q_IbLb0EEEEDaS1M_S1N_EUlS1M_E_NS1_11comp_targetILNS1_3genE0ELNS1_11target_archE4294967295ELNS1_3gpuE0ELNS1_3repE0EEENS1_30default_config_static_selectorELNS0_4arch9wavefront6targetE0EEEvSZ_,comdat
.Lfunc_end656:
	.size	_ZN7rocprim17ROCPRIM_400000_NS6detail17trampoline_kernelINS0_13select_configILj256ELj13ELNS0_17block_load_methodE3ELS4_3ELS4_3ELNS0_20block_scan_algorithmE0ELj4294967295EEENS1_25partition_config_selectorILNS1_17partition_subalgoE4EjNS0_10empty_typeEbEEZZNS1_14partition_implILS8_4ELb0ES6_15HIP_vector_typeIjLj2EENS0_17counting_iteratorIjlEEPS9_SG_NS0_5tupleIJPjSI_NS0_16reverse_iteratorISI_EEEEENSH_IJSG_SG_SG_EEES9_SI_JZNS1_25segmented_radix_sort_implINS0_14default_configELb1EPKlPlSQ_SR_N2at6native12_GLOBAL__N_18offset_tEEE10hipError_tPvRmT1_PNSt15iterator_traitsISZ_E10value_typeET2_T3_PNS10_IS15_E10value_typeET4_jRbjT5_S1B_jjP12ihipStream_tbEUljE_ZNSN_ISO_Lb1ESQ_SR_SQ_SR_SV_EESW_SX_SY_SZ_S13_S14_S15_S18_S19_jS1A_jS1B_S1B_jjS1D_bEUljE0_EEESW_SX_SY_S15_S19_S1B_T6_T7_T9_mT8_S1D_bDpT10_ENKUlT_T0_E_clISt17integral_constantIbLb1EES1Q_IbLb0EEEEDaS1M_S1N_EUlS1M_E_NS1_11comp_targetILNS1_3genE0ELNS1_11target_archE4294967295ELNS1_3gpuE0ELNS1_3repE0EEENS1_30default_config_static_selectorELNS0_4arch9wavefront6targetE0EEEvSZ_, .Lfunc_end656-_ZN7rocprim17ROCPRIM_400000_NS6detail17trampoline_kernelINS0_13select_configILj256ELj13ELNS0_17block_load_methodE3ELS4_3ELS4_3ELNS0_20block_scan_algorithmE0ELj4294967295EEENS1_25partition_config_selectorILNS1_17partition_subalgoE4EjNS0_10empty_typeEbEEZZNS1_14partition_implILS8_4ELb0ES6_15HIP_vector_typeIjLj2EENS0_17counting_iteratorIjlEEPS9_SG_NS0_5tupleIJPjSI_NS0_16reverse_iteratorISI_EEEEENSH_IJSG_SG_SG_EEES9_SI_JZNS1_25segmented_radix_sort_implINS0_14default_configELb1EPKlPlSQ_SR_N2at6native12_GLOBAL__N_18offset_tEEE10hipError_tPvRmT1_PNSt15iterator_traitsISZ_E10value_typeET2_T3_PNS10_IS15_E10value_typeET4_jRbjT5_S1B_jjP12ihipStream_tbEUljE_ZNSN_ISO_Lb1ESQ_SR_SQ_SR_SV_EESW_SX_SY_SZ_S13_S14_S15_S18_S19_jS1A_jS1B_S1B_jjS1D_bEUljE0_EEESW_SX_SY_S15_S19_S1B_T6_T7_T9_mT8_S1D_bDpT10_ENKUlT_T0_E_clISt17integral_constantIbLb1EES1Q_IbLb0EEEEDaS1M_S1N_EUlS1M_E_NS1_11comp_targetILNS1_3genE0ELNS1_11target_archE4294967295ELNS1_3gpuE0ELNS1_3repE0EEENS1_30default_config_static_selectorELNS0_4arch9wavefront6targetE0EEEvSZ_
                                        ; -- End function
	.section	.AMDGPU.csdata,"",@progbits
; Kernel info:
; codeLenInByte = 0
; NumSgprs: 0
; NumVgprs: 0
; ScratchSize: 0
; MemoryBound: 0
; FloatMode: 240
; IeeeMode: 1
; LDSByteSize: 0 bytes/workgroup (compile time only)
; SGPRBlocks: 0
; VGPRBlocks: 0
; NumSGPRsForWavesPerEU: 1
; NumVGPRsForWavesPerEU: 1
; Occupancy: 16
; WaveLimiterHint : 0
; COMPUTE_PGM_RSRC2:SCRATCH_EN: 0
; COMPUTE_PGM_RSRC2:USER_SGPR: 15
; COMPUTE_PGM_RSRC2:TRAP_HANDLER: 0
; COMPUTE_PGM_RSRC2:TGID_X_EN: 1
; COMPUTE_PGM_RSRC2:TGID_Y_EN: 0
; COMPUTE_PGM_RSRC2:TGID_Z_EN: 0
; COMPUTE_PGM_RSRC2:TIDIG_COMP_CNT: 0
	.section	.text._ZN7rocprim17ROCPRIM_400000_NS6detail17trampoline_kernelINS0_13select_configILj256ELj13ELNS0_17block_load_methodE3ELS4_3ELS4_3ELNS0_20block_scan_algorithmE0ELj4294967295EEENS1_25partition_config_selectorILNS1_17partition_subalgoE4EjNS0_10empty_typeEbEEZZNS1_14partition_implILS8_4ELb0ES6_15HIP_vector_typeIjLj2EENS0_17counting_iteratorIjlEEPS9_SG_NS0_5tupleIJPjSI_NS0_16reverse_iteratorISI_EEEEENSH_IJSG_SG_SG_EEES9_SI_JZNS1_25segmented_radix_sort_implINS0_14default_configELb1EPKlPlSQ_SR_N2at6native12_GLOBAL__N_18offset_tEEE10hipError_tPvRmT1_PNSt15iterator_traitsISZ_E10value_typeET2_T3_PNS10_IS15_E10value_typeET4_jRbjT5_S1B_jjP12ihipStream_tbEUljE_ZNSN_ISO_Lb1ESQ_SR_SQ_SR_SV_EESW_SX_SY_SZ_S13_S14_S15_S18_S19_jS1A_jS1B_S1B_jjS1D_bEUljE0_EEESW_SX_SY_S15_S19_S1B_T6_T7_T9_mT8_S1D_bDpT10_ENKUlT_T0_E_clISt17integral_constantIbLb1EES1Q_IbLb0EEEEDaS1M_S1N_EUlS1M_E_NS1_11comp_targetILNS1_3genE5ELNS1_11target_archE942ELNS1_3gpuE9ELNS1_3repE0EEENS1_30default_config_static_selectorELNS0_4arch9wavefront6targetE0EEEvSZ_,"axG",@progbits,_ZN7rocprim17ROCPRIM_400000_NS6detail17trampoline_kernelINS0_13select_configILj256ELj13ELNS0_17block_load_methodE3ELS4_3ELS4_3ELNS0_20block_scan_algorithmE0ELj4294967295EEENS1_25partition_config_selectorILNS1_17partition_subalgoE4EjNS0_10empty_typeEbEEZZNS1_14partition_implILS8_4ELb0ES6_15HIP_vector_typeIjLj2EENS0_17counting_iteratorIjlEEPS9_SG_NS0_5tupleIJPjSI_NS0_16reverse_iteratorISI_EEEEENSH_IJSG_SG_SG_EEES9_SI_JZNS1_25segmented_radix_sort_implINS0_14default_configELb1EPKlPlSQ_SR_N2at6native12_GLOBAL__N_18offset_tEEE10hipError_tPvRmT1_PNSt15iterator_traitsISZ_E10value_typeET2_T3_PNS10_IS15_E10value_typeET4_jRbjT5_S1B_jjP12ihipStream_tbEUljE_ZNSN_ISO_Lb1ESQ_SR_SQ_SR_SV_EESW_SX_SY_SZ_S13_S14_S15_S18_S19_jS1A_jS1B_S1B_jjS1D_bEUljE0_EEESW_SX_SY_S15_S19_S1B_T6_T7_T9_mT8_S1D_bDpT10_ENKUlT_T0_E_clISt17integral_constantIbLb1EES1Q_IbLb0EEEEDaS1M_S1N_EUlS1M_E_NS1_11comp_targetILNS1_3genE5ELNS1_11target_archE942ELNS1_3gpuE9ELNS1_3repE0EEENS1_30default_config_static_selectorELNS0_4arch9wavefront6targetE0EEEvSZ_,comdat
	.globl	_ZN7rocprim17ROCPRIM_400000_NS6detail17trampoline_kernelINS0_13select_configILj256ELj13ELNS0_17block_load_methodE3ELS4_3ELS4_3ELNS0_20block_scan_algorithmE0ELj4294967295EEENS1_25partition_config_selectorILNS1_17partition_subalgoE4EjNS0_10empty_typeEbEEZZNS1_14partition_implILS8_4ELb0ES6_15HIP_vector_typeIjLj2EENS0_17counting_iteratorIjlEEPS9_SG_NS0_5tupleIJPjSI_NS0_16reverse_iteratorISI_EEEEENSH_IJSG_SG_SG_EEES9_SI_JZNS1_25segmented_radix_sort_implINS0_14default_configELb1EPKlPlSQ_SR_N2at6native12_GLOBAL__N_18offset_tEEE10hipError_tPvRmT1_PNSt15iterator_traitsISZ_E10value_typeET2_T3_PNS10_IS15_E10value_typeET4_jRbjT5_S1B_jjP12ihipStream_tbEUljE_ZNSN_ISO_Lb1ESQ_SR_SQ_SR_SV_EESW_SX_SY_SZ_S13_S14_S15_S18_S19_jS1A_jS1B_S1B_jjS1D_bEUljE0_EEESW_SX_SY_S15_S19_S1B_T6_T7_T9_mT8_S1D_bDpT10_ENKUlT_T0_E_clISt17integral_constantIbLb1EES1Q_IbLb0EEEEDaS1M_S1N_EUlS1M_E_NS1_11comp_targetILNS1_3genE5ELNS1_11target_archE942ELNS1_3gpuE9ELNS1_3repE0EEENS1_30default_config_static_selectorELNS0_4arch9wavefront6targetE0EEEvSZ_ ; -- Begin function _ZN7rocprim17ROCPRIM_400000_NS6detail17trampoline_kernelINS0_13select_configILj256ELj13ELNS0_17block_load_methodE3ELS4_3ELS4_3ELNS0_20block_scan_algorithmE0ELj4294967295EEENS1_25partition_config_selectorILNS1_17partition_subalgoE4EjNS0_10empty_typeEbEEZZNS1_14partition_implILS8_4ELb0ES6_15HIP_vector_typeIjLj2EENS0_17counting_iteratorIjlEEPS9_SG_NS0_5tupleIJPjSI_NS0_16reverse_iteratorISI_EEEEENSH_IJSG_SG_SG_EEES9_SI_JZNS1_25segmented_radix_sort_implINS0_14default_configELb1EPKlPlSQ_SR_N2at6native12_GLOBAL__N_18offset_tEEE10hipError_tPvRmT1_PNSt15iterator_traitsISZ_E10value_typeET2_T3_PNS10_IS15_E10value_typeET4_jRbjT5_S1B_jjP12ihipStream_tbEUljE_ZNSN_ISO_Lb1ESQ_SR_SQ_SR_SV_EESW_SX_SY_SZ_S13_S14_S15_S18_S19_jS1A_jS1B_S1B_jjS1D_bEUljE0_EEESW_SX_SY_S15_S19_S1B_T6_T7_T9_mT8_S1D_bDpT10_ENKUlT_T0_E_clISt17integral_constantIbLb1EES1Q_IbLb0EEEEDaS1M_S1N_EUlS1M_E_NS1_11comp_targetILNS1_3genE5ELNS1_11target_archE942ELNS1_3gpuE9ELNS1_3repE0EEENS1_30default_config_static_selectorELNS0_4arch9wavefront6targetE0EEEvSZ_
	.p2align	8
	.type	_ZN7rocprim17ROCPRIM_400000_NS6detail17trampoline_kernelINS0_13select_configILj256ELj13ELNS0_17block_load_methodE3ELS4_3ELS4_3ELNS0_20block_scan_algorithmE0ELj4294967295EEENS1_25partition_config_selectorILNS1_17partition_subalgoE4EjNS0_10empty_typeEbEEZZNS1_14partition_implILS8_4ELb0ES6_15HIP_vector_typeIjLj2EENS0_17counting_iteratorIjlEEPS9_SG_NS0_5tupleIJPjSI_NS0_16reverse_iteratorISI_EEEEENSH_IJSG_SG_SG_EEES9_SI_JZNS1_25segmented_radix_sort_implINS0_14default_configELb1EPKlPlSQ_SR_N2at6native12_GLOBAL__N_18offset_tEEE10hipError_tPvRmT1_PNSt15iterator_traitsISZ_E10value_typeET2_T3_PNS10_IS15_E10value_typeET4_jRbjT5_S1B_jjP12ihipStream_tbEUljE_ZNSN_ISO_Lb1ESQ_SR_SQ_SR_SV_EESW_SX_SY_SZ_S13_S14_S15_S18_S19_jS1A_jS1B_S1B_jjS1D_bEUljE0_EEESW_SX_SY_S15_S19_S1B_T6_T7_T9_mT8_S1D_bDpT10_ENKUlT_T0_E_clISt17integral_constantIbLb1EES1Q_IbLb0EEEEDaS1M_S1N_EUlS1M_E_NS1_11comp_targetILNS1_3genE5ELNS1_11target_archE942ELNS1_3gpuE9ELNS1_3repE0EEENS1_30default_config_static_selectorELNS0_4arch9wavefront6targetE0EEEvSZ_,@function
_ZN7rocprim17ROCPRIM_400000_NS6detail17trampoline_kernelINS0_13select_configILj256ELj13ELNS0_17block_load_methodE3ELS4_3ELS4_3ELNS0_20block_scan_algorithmE0ELj4294967295EEENS1_25partition_config_selectorILNS1_17partition_subalgoE4EjNS0_10empty_typeEbEEZZNS1_14partition_implILS8_4ELb0ES6_15HIP_vector_typeIjLj2EENS0_17counting_iteratorIjlEEPS9_SG_NS0_5tupleIJPjSI_NS0_16reverse_iteratorISI_EEEEENSH_IJSG_SG_SG_EEES9_SI_JZNS1_25segmented_radix_sort_implINS0_14default_configELb1EPKlPlSQ_SR_N2at6native12_GLOBAL__N_18offset_tEEE10hipError_tPvRmT1_PNSt15iterator_traitsISZ_E10value_typeET2_T3_PNS10_IS15_E10value_typeET4_jRbjT5_S1B_jjP12ihipStream_tbEUljE_ZNSN_ISO_Lb1ESQ_SR_SQ_SR_SV_EESW_SX_SY_SZ_S13_S14_S15_S18_S19_jS1A_jS1B_S1B_jjS1D_bEUljE0_EEESW_SX_SY_S15_S19_S1B_T6_T7_T9_mT8_S1D_bDpT10_ENKUlT_T0_E_clISt17integral_constantIbLb1EES1Q_IbLb0EEEEDaS1M_S1N_EUlS1M_E_NS1_11comp_targetILNS1_3genE5ELNS1_11target_archE942ELNS1_3gpuE9ELNS1_3repE0EEENS1_30default_config_static_selectorELNS0_4arch9wavefront6targetE0EEEvSZ_: ; @_ZN7rocprim17ROCPRIM_400000_NS6detail17trampoline_kernelINS0_13select_configILj256ELj13ELNS0_17block_load_methodE3ELS4_3ELS4_3ELNS0_20block_scan_algorithmE0ELj4294967295EEENS1_25partition_config_selectorILNS1_17partition_subalgoE4EjNS0_10empty_typeEbEEZZNS1_14partition_implILS8_4ELb0ES6_15HIP_vector_typeIjLj2EENS0_17counting_iteratorIjlEEPS9_SG_NS0_5tupleIJPjSI_NS0_16reverse_iteratorISI_EEEEENSH_IJSG_SG_SG_EEES9_SI_JZNS1_25segmented_radix_sort_implINS0_14default_configELb1EPKlPlSQ_SR_N2at6native12_GLOBAL__N_18offset_tEEE10hipError_tPvRmT1_PNSt15iterator_traitsISZ_E10value_typeET2_T3_PNS10_IS15_E10value_typeET4_jRbjT5_S1B_jjP12ihipStream_tbEUljE_ZNSN_ISO_Lb1ESQ_SR_SQ_SR_SV_EESW_SX_SY_SZ_S13_S14_S15_S18_S19_jS1A_jS1B_S1B_jjS1D_bEUljE0_EEESW_SX_SY_S15_S19_S1B_T6_T7_T9_mT8_S1D_bDpT10_ENKUlT_T0_E_clISt17integral_constantIbLb1EES1Q_IbLb0EEEEDaS1M_S1N_EUlS1M_E_NS1_11comp_targetILNS1_3genE5ELNS1_11target_archE942ELNS1_3gpuE9ELNS1_3repE0EEENS1_30default_config_static_selectorELNS0_4arch9wavefront6targetE0EEEvSZ_
; %bb.0:
	.section	.rodata,"a",@progbits
	.p2align	6, 0x0
	.amdhsa_kernel _ZN7rocprim17ROCPRIM_400000_NS6detail17trampoline_kernelINS0_13select_configILj256ELj13ELNS0_17block_load_methodE3ELS4_3ELS4_3ELNS0_20block_scan_algorithmE0ELj4294967295EEENS1_25partition_config_selectorILNS1_17partition_subalgoE4EjNS0_10empty_typeEbEEZZNS1_14partition_implILS8_4ELb0ES6_15HIP_vector_typeIjLj2EENS0_17counting_iteratorIjlEEPS9_SG_NS0_5tupleIJPjSI_NS0_16reverse_iteratorISI_EEEEENSH_IJSG_SG_SG_EEES9_SI_JZNS1_25segmented_radix_sort_implINS0_14default_configELb1EPKlPlSQ_SR_N2at6native12_GLOBAL__N_18offset_tEEE10hipError_tPvRmT1_PNSt15iterator_traitsISZ_E10value_typeET2_T3_PNS10_IS15_E10value_typeET4_jRbjT5_S1B_jjP12ihipStream_tbEUljE_ZNSN_ISO_Lb1ESQ_SR_SQ_SR_SV_EESW_SX_SY_SZ_S13_S14_S15_S18_S19_jS1A_jS1B_S1B_jjS1D_bEUljE0_EEESW_SX_SY_S15_S19_S1B_T6_T7_T9_mT8_S1D_bDpT10_ENKUlT_T0_E_clISt17integral_constantIbLb1EES1Q_IbLb0EEEEDaS1M_S1N_EUlS1M_E_NS1_11comp_targetILNS1_3genE5ELNS1_11target_archE942ELNS1_3gpuE9ELNS1_3repE0EEENS1_30default_config_static_selectorELNS0_4arch9wavefront6targetE0EEEvSZ_
		.amdhsa_group_segment_fixed_size 0
		.amdhsa_private_segment_fixed_size 0
		.amdhsa_kernarg_size 176
		.amdhsa_user_sgpr_count 15
		.amdhsa_user_sgpr_dispatch_ptr 0
		.amdhsa_user_sgpr_queue_ptr 0
		.amdhsa_user_sgpr_kernarg_segment_ptr 1
		.amdhsa_user_sgpr_dispatch_id 0
		.amdhsa_user_sgpr_private_segment_size 0
		.amdhsa_wavefront_size32 1
		.amdhsa_uses_dynamic_stack 0
		.amdhsa_enable_private_segment 0
		.amdhsa_system_sgpr_workgroup_id_x 1
		.amdhsa_system_sgpr_workgroup_id_y 0
		.amdhsa_system_sgpr_workgroup_id_z 0
		.amdhsa_system_sgpr_workgroup_info 0
		.amdhsa_system_vgpr_workitem_id 0
		.amdhsa_next_free_vgpr 1
		.amdhsa_next_free_sgpr 1
		.amdhsa_reserve_vcc 0
		.amdhsa_float_round_mode_32 0
		.amdhsa_float_round_mode_16_64 0
		.amdhsa_float_denorm_mode_32 3
		.amdhsa_float_denorm_mode_16_64 3
		.amdhsa_dx10_clamp 1
		.amdhsa_ieee_mode 1
		.amdhsa_fp16_overflow 0
		.amdhsa_workgroup_processor_mode 1
		.amdhsa_memory_ordered 1
		.amdhsa_forward_progress 0
		.amdhsa_shared_vgpr_count 0
		.amdhsa_exception_fp_ieee_invalid_op 0
		.amdhsa_exception_fp_denorm_src 0
		.amdhsa_exception_fp_ieee_div_zero 0
		.amdhsa_exception_fp_ieee_overflow 0
		.amdhsa_exception_fp_ieee_underflow 0
		.amdhsa_exception_fp_ieee_inexact 0
		.amdhsa_exception_int_div_zero 0
	.end_amdhsa_kernel
	.section	.text._ZN7rocprim17ROCPRIM_400000_NS6detail17trampoline_kernelINS0_13select_configILj256ELj13ELNS0_17block_load_methodE3ELS4_3ELS4_3ELNS0_20block_scan_algorithmE0ELj4294967295EEENS1_25partition_config_selectorILNS1_17partition_subalgoE4EjNS0_10empty_typeEbEEZZNS1_14partition_implILS8_4ELb0ES6_15HIP_vector_typeIjLj2EENS0_17counting_iteratorIjlEEPS9_SG_NS0_5tupleIJPjSI_NS0_16reverse_iteratorISI_EEEEENSH_IJSG_SG_SG_EEES9_SI_JZNS1_25segmented_radix_sort_implINS0_14default_configELb1EPKlPlSQ_SR_N2at6native12_GLOBAL__N_18offset_tEEE10hipError_tPvRmT1_PNSt15iterator_traitsISZ_E10value_typeET2_T3_PNS10_IS15_E10value_typeET4_jRbjT5_S1B_jjP12ihipStream_tbEUljE_ZNSN_ISO_Lb1ESQ_SR_SQ_SR_SV_EESW_SX_SY_SZ_S13_S14_S15_S18_S19_jS1A_jS1B_S1B_jjS1D_bEUljE0_EEESW_SX_SY_S15_S19_S1B_T6_T7_T9_mT8_S1D_bDpT10_ENKUlT_T0_E_clISt17integral_constantIbLb1EES1Q_IbLb0EEEEDaS1M_S1N_EUlS1M_E_NS1_11comp_targetILNS1_3genE5ELNS1_11target_archE942ELNS1_3gpuE9ELNS1_3repE0EEENS1_30default_config_static_selectorELNS0_4arch9wavefront6targetE0EEEvSZ_,"axG",@progbits,_ZN7rocprim17ROCPRIM_400000_NS6detail17trampoline_kernelINS0_13select_configILj256ELj13ELNS0_17block_load_methodE3ELS4_3ELS4_3ELNS0_20block_scan_algorithmE0ELj4294967295EEENS1_25partition_config_selectorILNS1_17partition_subalgoE4EjNS0_10empty_typeEbEEZZNS1_14partition_implILS8_4ELb0ES6_15HIP_vector_typeIjLj2EENS0_17counting_iteratorIjlEEPS9_SG_NS0_5tupleIJPjSI_NS0_16reverse_iteratorISI_EEEEENSH_IJSG_SG_SG_EEES9_SI_JZNS1_25segmented_radix_sort_implINS0_14default_configELb1EPKlPlSQ_SR_N2at6native12_GLOBAL__N_18offset_tEEE10hipError_tPvRmT1_PNSt15iterator_traitsISZ_E10value_typeET2_T3_PNS10_IS15_E10value_typeET4_jRbjT5_S1B_jjP12ihipStream_tbEUljE_ZNSN_ISO_Lb1ESQ_SR_SQ_SR_SV_EESW_SX_SY_SZ_S13_S14_S15_S18_S19_jS1A_jS1B_S1B_jjS1D_bEUljE0_EEESW_SX_SY_S15_S19_S1B_T6_T7_T9_mT8_S1D_bDpT10_ENKUlT_T0_E_clISt17integral_constantIbLb1EES1Q_IbLb0EEEEDaS1M_S1N_EUlS1M_E_NS1_11comp_targetILNS1_3genE5ELNS1_11target_archE942ELNS1_3gpuE9ELNS1_3repE0EEENS1_30default_config_static_selectorELNS0_4arch9wavefront6targetE0EEEvSZ_,comdat
.Lfunc_end657:
	.size	_ZN7rocprim17ROCPRIM_400000_NS6detail17trampoline_kernelINS0_13select_configILj256ELj13ELNS0_17block_load_methodE3ELS4_3ELS4_3ELNS0_20block_scan_algorithmE0ELj4294967295EEENS1_25partition_config_selectorILNS1_17partition_subalgoE4EjNS0_10empty_typeEbEEZZNS1_14partition_implILS8_4ELb0ES6_15HIP_vector_typeIjLj2EENS0_17counting_iteratorIjlEEPS9_SG_NS0_5tupleIJPjSI_NS0_16reverse_iteratorISI_EEEEENSH_IJSG_SG_SG_EEES9_SI_JZNS1_25segmented_radix_sort_implINS0_14default_configELb1EPKlPlSQ_SR_N2at6native12_GLOBAL__N_18offset_tEEE10hipError_tPvRmT1_PNSt15iterator_traitsISZ_E10value_typeET2_T3_PNS10_IS15_E10value_typeET4_jRbjT5_S1B_jjP12ihipStream_tbEUljE_ZNSN_ISO_Lb1ESQ_SR_SQ_SR_SV_EESW_SX_SY_SZ_S13_S14_S15_S18_S19_jS1A_jS1B_S1B_jjS1D_bEUljE0_EEESW_SX_SY_S15_S19_S1B_T6_T7_T9_mT8_S1D_bDpT10_ENKUlT_T0_E_clISt17integral_constantIbLb1EES1Q_IbLb0EEEEDaS1M_S1N_EUlS1M_E_NS1_11comp_targetILNS1_3genE5ELNS1_11target_archE942ELNS1_3gpuE9ELNS1_3repE0EEENS1_30default_config_static_selectorELNS0_4arch9wavefront6targetE0EEEvSZ_, .Lfunc_end657-_ZN7rocprim17ROCPRIM_400000_NS6detail17trampoline_kernelINS0_13select_configILj256ELj13ELNS0_17block_load_methodE3ELS4_3ELS4_3ELNS0_20block_scan_algorithmE0ELj4294967295EEENS1_25partition_config_selectorILNS1_17partition_subalgoE4EjNS0_10empty_typeEbEEZZNS1_14partition_implILS8_4ELb0ES6_15HIP_vector_typeIjLj2EENS0_17counting_iteratorIjlEEPS9_SG_NS0_5tupleIJPjSI_NS0_16reverse_iteratorISI_EEEEENSH_IJSG_SG_SG_EEES9_SI_JZNS1_25segmented_radix_sort_implINS0_14default_configELb1EPKlPlSQ_SR_N2at6native12_GLOBAL__N_18offset_tEEE10hipError_tPvRmT1_PNSt15iterator_traitsISZ_E10value_typeET2_T3_PNS10_IS15_E10value_typeET4_jRbjT5_S1B_jjP12ihipStream_tbEUljE_ZNSN_ISO_Lb1ESQ_SR_SQ_SR_SV_EESW_SX_SY_SZ_S13_S14_S15_S18_S19_jS1A_jS1B_S1B_jjS1D_bEUljE0_EEESW_SX_SY_S15_S19_S1B_T6_T7_T9_mT8_S1D_bDpT10_ENKUlT_T0_E_clISt17integral_constantIbLb1EES1Q_IbLb0EEEEDaS1M_S1N_EUlS1M_E_NS1_11comp_targetILNS1_3genE5ELNS1_11target_archE942ELNS1_3gpuE9ELNS1_3repE0EEENS1_30default_config_static_selectorELNS0_4arch9wavefront6targetE0EEEvSZ_
                                        ; -- End function
	.section	.AMDGPU.csdata,"",@progbits
; Kernel info:
; codeLenInByte = 0
; NumSgprs: 0
; NumVgprs: 0
; ScratchSize: 0
; MemoryBound: 0
; FloatMode: 240
; IeeeMode: 1
; LDSByteSize: 0 bytes/workgroup (compile time only)
; SGPRBlocks: 0
; VGPRBlocks: 0
; NumSGPRsForWavesPerEU: 1
; NumVGPRsForWavesPerEU: 1
; Occupancy: 16
; WaveLimiterHint : 0
; COMPUTE_PGM_RSRC2:SCRATCH_EN: 0
; COMPUTE_PGM_RSRC2:USER_SGPR: 15
; COMPUTE_PGM_RSRC2:TRAP_HANDLER: 0
; COMPUTE_PGM_RSRC2:TGID_X_EN: 1
; COMPUTE_PGM_RSRC2:TGID_Y_EN: 0
; COMPUTE_PGM_RSRC2:TGID_Z_EN: 0
; COMPUTE_PGM_RSRC2:TIDIG_COMP_CNT: 0
	.section	.text._ZN7rocprim17ROCPRIM_400000_NS6detail17trampoline_kernelINS0_13select_configILj256ELj13ELNS0_17block_load_methodE3ELS4_3ELS4_3ELNS0_20block_scan_algorithmE0ELj4294967295EEENS1_25partition_config_selectorILNS1_17partition_subalgoE4EjNS0_10empty_typeEbEEZZNS1_14partition_implILS8_4ELb0ES6_15HIP_vector_typeIjLj2EENS0_17counting_iteratorIjlEEPS9_SG_NS0_5tupleIJPjSI_NS0_16reverse_iteratorISI_EEEEENSH_IJSG_SG_SG_EEES9_SI_JZNS1_25segmented_radix_sort_implINS0_14default_configELb1EPKlPlSQ_SR_N2at6native12_GLOBAL__N_18offset_tEEE10hipError_tPvRmT1_PNSt15iterator_traitsISZ_E10value_typeET2_T3_PNS10_IS15_E10value_typeET4_jRbjT5_S1B_jjP12ihipStream_tbEUljE_ZNSN_ISO_Lb1ESQ_SR_SQ_SR_SV_EESW_SX_SY_SZ_S13_S14_S15_S18_S19_jS1A_jS1B_S1B_jjS1D_bEUljE0_EEESW_SX_SY_S15_S19_S1B_T6_T7_T9_mT8_S1D_bDpT10_ENKUlT_T0_E_clISt17integral_constantIbLb1EES1Q_IbLb0EEEEDaS1M_S1N_EUlS1M_E_NS1_11comp_targetILNS1_3genE4ELNS1_11target_archE910ELNS1_3gpuE8ELNS1_3repE0EEENS1_30default_config_static_selectorELNS0_4arch9wavefront6targetE0EEEvSZ_,"axG",@progbits,_ZN7rocprim17ROCPRIM_400000_NS6detail17trampoline_kernelINS0_13select_configILj256ELj13ELNS0_17block_load_methodE3ELS4_3ELS4_3ELNS0_20block_scan_algorithmE0ELj4294967295EEENS1_25partition_config_selectorILNS1_17partition_subalgoE4EjNS0_10empty_typeEbEEZZNS1_14partition_implILS8_4ELb0ES6_15HIP_vector_typeIjLj2EENS0_17counting_iteratorIjlEEPS9_SG_NS0_5tupleIJPjSI_NS0_16reverse_iteratorISI_EEEEENSH_IJSG_SG_SG_EEES9_SI_JZNS1_25segmented_radix_sort_implINS0_14default_configELb1EPKlPlSQ_SR_N2at6native12_GLOBAL__N_18offset_tEEE10hipError_tPvRmT1_PNSt15iterator_traitsISZ_E10value_typeET2_T3_PNS10_IS15_E10value_typeET4_jRbjT5_S1B_jjP12ihipStream_tbEUljE_ZNSN_ISO_Lb1ESQ_SR_SQ_SR_SV_EESW_SX_SY_SZ_S13_S14_S15_S18_S19_jS1A_jS1B_S1B_jjS1D_bEUljE0_EEESW_SX_SY_S15_S19_S1B_T6_T7_T9_mT8_S1D_bDpT10_ENKUlT_T0_E_clISt17integral_constantIbLb1EES1Q_IbLb0EEEEDaS1M_S1N_EUlS1M_E_NS1_11comp_targetILNS1_3genE4ELNS1_11target_archE910ELNS1_3gpuE8ELNS1_3repE0EEENS1_30default_config_static_selectorELNS0_4arch9wavefront6targetE0EEEvSZ_,comdat
	.globl	_ZN7rocprim17ROCPRIM_400000_NS6detail17trampoline_kernelINS0_13select_configILj256ELj13ELNS0_17block_load_methodE3ELS4_3ELS4_3ELNS0_20block_scan_algorithmE0ELj4294967295EEENS1_25partition_config_selectorILNS1_17partition_subalgoE4EjNS0_10empty_typeEbEEZZNS1_14partition_implILS8_4ELb0ES6_15HIP_vector_typeIjLj2EENS0_17counting_iteratorIjlEEPS9_SG_NS0_5tupleIJPjSI_NS0_16reverse_iteratorISI_EEEEENSH_IJSG_SG_SG_EEES9_SI_JZNS1_25segmented_radix_sort_implINS0_14default_configELb1EPKlPlSQ_SR_N2at6native12_GLOBAL__N_18offset_tEEE10hipError_tPvRmT1_PNSt15iterator_traitsISZ_E10value_typeET2_T3_PNS10_IS15_E10value_typeET4_jRbjT5_S1B_jjP12ihipStream_tbEUljE_ZNSN_ISO_Lb1ESQ_SR_SQ_SR_SV_EESW_SX_SY_SZ_S13_S14_S15_S18_S19_jS1A_jS1B_S1B_jjS1D_bEUljE0_EEESW_SX_SY_S15_S19_S1B_T6_T7_T9_mT8_S1D_bDpT10_ENKUlT_T0_E_clISt17integral_constantIbLb1EES1Q_IbLb0EEEEDaS1M_S1N_EUlS1M_E_NS1_11comp_targetILNS1_3genE4ELNS1_11target_archE910ELNS1_3gpuE8ELNS1_3repE0EEENS1_30default_config_static_selectorELNS0_4arch9wavefront6targetE0EEEvSZ_ ; -- Begin function _ZN7rocprim17ROCPRIM_400000_NS6detail17trampoline_kernelINS0_13select_configILj256ELj13ELNS0_17block_load_methodE3ELS4_3ELS4_3ELNS0_20block_scan_algorithmE0ELj4294967295EEENS1_25partition_config_selectorILNS1_17partition_subalgoE4EjNS0_10empty_typeEbEEZZNS1_14partition_implILS8_4ELb0ES6_15HIP_vector_typeIjLj2EENS0_17counting_iteratorIjlEEPS9_SG_NS0_5tupleIJPjSI_NS0_16reverse_iteratorISI_EEEEENSH_IJSG_SG_SG_EEES9_SI_JZNS1_25segmented_radix_sort_implINS0_14default_configELb1EPKlPlSQ_SR_N2at6native12_GLOBAL__N_18offset_tEEE10hipError_tPvRmT1_PNSt15iterator_traitsISZ_E10value_typeET2_T3_PNS10_IS15_E10value_typeET4_jRbjT5_S1B_jjP12ihipStream_tbEUljE_ZNSN_ISO_Lb1ESQ_SR_SQ_SR_SV_EESW_SX_SY_SZ_S13_S14_S15_S18_S19_jS1A_jS1B_S1B_jjS1D_bEUljE0_EEESW_SX_SY_S15_S19_S1B_T6_T7_T9_mT8_S1D_bDpT10_ENKUlT_T0_E_clISt17integral_constantIbLb1EES1Q_IbLb0EEEEDaS1M_S1N_EUlS1M_E_NS1_11comp_targetILNS1_3genE4ELNS1_11target_archE910ELNS1_3gpuE8ELNS1_3repE0EEENS1_30default_config_static_selectorELNS0_4arch9wavefront6targetE0EEEvSZ_
	.p2align	8
	.type	_ZN7rocprim17ROCPRIM_400000_NS6detail17trampoline_kernelINS0_13select_configILj256ELj13ELNS0_17block_load_methodE3ELS4_3ELS4_3ELNS0_20block_scan_algorithmE0ELj4294967295EEENS1_25partition_config_selectorILNS1_17partition_subalgoE4EjNS0_10empty_typeEbEEZZNS1_14partition_implILS8_4ELb0ES6_15HIP_vector_typeIjLj2EENS0_17counting_iteratorIjlEEPS9_SG_NS0_5tupleIJPjSI_NS0_16reverse_iteratorISI_EEEEENSH_IJSG_SG_SG_EEES9_SI_JZNS1_25segmented_radix_sort_implINS0_14default_configELb1EPKlPlSQ_SR_N2at6native12_GLOBAL__N_18offset_tEEE10hipError_tPvRmT1_PNSt15iterator_traitsISZ_E10value_typeET2_T3_PNS10_IS15_E10value_typeET4_jRbjT5_S1B_jjP12ihipStream_tbEUljE_ZNSN_ISO_Lb1ESQ_SR_SQ_SR_SV_EESW_SX_SY_SZ_S13_S14_S15_S18_S19_jS1A_jS1B_S1B_jjS1D_bEUljE0_EEESW_SX_SY_S15_S19_S1B_T6_T7_T9_mT8_S1D_bDpT10_ENKUlT_T0_E_clISt17integral_constantIbLb1EES1Q_IbLb0EEEEDaS1M_S1N_EUlS1M_E_NS1_11comp_targetILNS1_3genE4ELNS1_11target_archE910ELNS1_3gpuE8ELNS1_3repE0EEENS1_30default_config_static_selectorELNS0_4arch9wavefront6targetE0EEEvSZ_,@function
_ZN7rocprim17ROCPRIM_400000_NS6detail17trampoline_kernelINS0_13select_configILj256ELj13ELNS0_17block_load_methodE3ELS4_3ELS4_3ELNS0_20block_scan_algorithmE0ELj4294967295EEENS1_25partition_config_selectorILNS1_17partition_subalgoE4EjNS0_10empty_typeEbEEZZNS1_14partition_implILS8_4ELb0ES6_15HIP_vector_typeIjLj2EENS0_17counting_iteratorIjlEEPS9_SG_NS0_5tupleIJPjSI_NS0_16reverse_iteratorISI_EEEEENSH_IJSG_SG_SG_EEES9_SI_JZNS1_25segmented_radix_sort_implINS0_14default_configELb1EPKlPlSQ_SR_N2at6native12_GLOBAL__N_18offset_tEEE10hipError_tPvRmT1_PNSt15iterator_traitsISZ_E10value_typeET2_T3_PNS10_IS15_E10value_typeET4_jRbjT5_S1B_jjP12ihipStream_tbEUljE_ZNSN_ISO_Lb1ESQ_SR_SQ_SR_SV_EESW_SX_SY_SZ_S13_S14_S15_S18_S19_jS1A_jS1B_S1B_jjS1D_bEUljE0_EEESW_SX_SY_S15_S19_S1B_T6_T7_T9_mT8_S1D_bDpT10_ENKUlT_T0_E_clISt17integral_constantIbLb1EES1Q_IbLb0EEEEDaS1M_S1N_EUlS1M_E_NS1_11comp_targetILNS1_3genE4ELNS1_11target_archE910ELNS1_3gpuE8ELNS1_3repE0EEENS1_30default_config_static_selectorELNS0_4arch9wavefront6targetE0EEEvSZ_: ; @_ZN7rocprim17ROCPRIM_400000_NS6detail17trampoline_kernelINS0_13select_configILj256ELj13ELNS0_17block_load_methodE3ELS4_3ELS4_3ELNS0_20block_scan_algorithmE0ELj4294967295EEENS1_25partition_config_selectorILNS1_17partition_subalgoE4EjNS0_10empty_typeEbEEZZNS1_14partition_implILS8_4ELb0ES6_15HIP_vector_typeIjLj2EENS0_17counting_iteratorIjlEEPS9_SG_NS0_5tupleIJPjSI_NS0_16reverse_iteratorISI_EEEEENSH_IJSG_SG_SG_EEES9_SI_JZNS1_25segmented_radix_sort_implINS0_14default_configELb1EPKlPlSQ_SR_N2at6native12_GLOBAL__N_18offset_tEEE10hipError_tPvRmT1_PNSt15iterator_traitsISZ_E10value_typeET2_T3_PNS10_IS15_E10value_typeET4_jRbjT5_S1B_jjP12ihipStream_tbEUljE_ZNSN_ISO_Lb1ESQ_SR_SQ_SR_SV_EESW_SX_SY_SZ_S13_S14_S15_S18_S19_jS1A_jS1B_S1B_jjS1D_bEUljE0_EEESW_SX_SY_S15_S19_S1B_T6_T7_T9_mT8_S1D_bDpT10_ENKUlT_T0_E_clISt17integral_constantIbLb1EES1Q_IbLb0EEEEDaS1M_S1N_EUlS1M_E_NS1_11comp_targetILNS1_3genE4ELNS1_11target_archE910ELNS1_3gpuE8ELNS1_3repE0EEENS1_30default_config_static_selectorELNS0_4arch9wavefront6targetE0EEEvSZ_
; %bb.0:
	.section	.rodata,"a",@progbits
	.p2align	6, 0x0
	.amdhsa_kernel _ZN7rocprim17ROCPRIM_400000_NS6detail17trampoline_kernelINS0_13select_configILj256ELj13ELNS0_17block_load_methodE3ELS4_3ELS4_3ELNS0_20block_scan_algorithmE0ELj4294967295EEENS1_25partition_config_selectorILNS1_17partition_subalgoE4EjNS0_10empty_typeEbEEZZNS1_14partition_implILS8_4ELb0ES6_15HIP_vector_typeIjLj2EENS0_17counting_iteratorIjlEEPS9_SG_NS0_5tupleIJPjSI_NS0_16reverse_iteratorISI_EEEEENSH_IJSG_SG_SG_EEES9_SI_JZNS1_25segmented_radix_sort_implINS0_14default_configELb1EPKlPlSQ_SR_N2at6native12_GLOBAL__N_18offset_tEEE10hipError_tPvRmT1_PNSt15iterator_traitsISZ_E10value_typeET2_T3_PNS10_IS15_E10value_typeET4_jRbjT5_S1B_jjP12ihipStream_tbEUljE_ZNSN_ISO_Lb1ESQ_SR_SQ_SR_SV_EESW_SX_SY_SZ_S13_S14_S15_S18_S19_jS1A_jS1B_S1B_jjS1D_bEUljE0_EEESW_SX_SY_S15_S19_S1B_T6_T7_T9_mT8_S1D_bDpT10_ENKUlT_T0_E_clISt17integral_constantIbLb1EES1Q_IbLb0EEEEDaS1M_S1N_EUlS1M_E_NS1_11comp_targetILNS1_3genE4ELNS1_11target_archE910ELNS1_3gpuE8ELNS1_3repE0EEENS1_30default_config_static_selectorELNS0_4arch9wavefront6targetE0EEEvSZ_
		.amdhsa_group_segment_fixed_size 0
		.amdhsa_private_segment_fixed_size 0
		.amdhsa_kernarg_size 176
		.amdhsa_user_sgpr_count 15
		.amdhsa_user_sgpr_dispatch_ptr 0
		.amdhsa_user_sgpr_queue_ptr 0
		.amdhsa_user_sgpr_kernarg_segment_ptr 1
		.amdhsa_user_sgpr_dispatch_id 0
		.amdhsa_user_sgpr_private_segment_size 0
		.amdhsa_wavefront_size32 1
		.amdhsa_uses_dynamic_stack 0
		.amdhsa_enable_private_segment 0
		.amdhsa_system_sgpr_workgroup_id_x 1
		.amdhsa_system_sgpr_workgroup_id_y 0
		.amdhsa_system_sgpr_workgroup_id_z 0
		.amdhsa_system_sgpr_workgroup_info 0
		.amdhsa_system_vgpr_workitem_id 0
		.amdhsa_next_free_vgpr 1
		.amdhsa_next_free_sgpr 1
		.amdhsa_reserve_vcc 0
		.amdhsa_float_round_mode_32 0
		.amdhsa_float_round_mode_16_64 0
		.amdhsa_float_denorm_mode_32 3
		.amdhsa_float_denorm_mode_16_64 3
		.amdhsa_dx10_clamp 1
		.amdhsa_ieee_mode 1
		.amdhsa_fp16_overflow 0
		.amdhsa_workgroup_processor_mode 1
		.amdhsa_memory_ordered 1
		.amdhsa_forward_progress 0
		.amdhsa_shared_vgpr_count 0
		.amdhsa_exception_fp_ieee_invalid_op 0
		.amdhsa_exception_fp_denorm_src 0
		.amdhsa_exception_fp_ieee_div_zero 0
		.amdhsa_exception_fp_ieee_overflow 0
		.amdhsa_exception_fp_ieee_underflow 0
		.amdhsa_exception_fp_ieee_inexact 0
		.amdhsa_exception_int_div_zero 0
	.end_amdhsa_kernel
	.section	.text._ZN7rocprim17ROCPRIM_400000_NS6detail17trampoline_kernelINS0_13select_configILj256ELj13ELNS0_17block_load_methodE3ELS4_3ELS4_3ELNS0_20block_scan_algorithmE0ELj4294967295EEENS1_25partition_config_selectorILNS1_17partition_subalgoE4EjNS0_10empty_typeEbEEZZNS1_14partition_implILS8_4ELb0ES6_15HIP_vector_typeIjLj2EENS0_17counting_iteratorIjlEEPS9_SG_NS0_5tupleIJPjSI_NS0_16reverse_iteratorISI_EEEEENSH_IJSG_SG_SG_EEES9_SI_JZNS1_25segmented_radix_sort_implINS0_14default_configELb1EPKlPlSQ_SR_N2at6native12_GLOBAL__N_18offset_tEEE10hipError_tPvRmT1_PNSt15iterator_traitsISZ_E10value_typeET2_T3_PNS10_IS15_E10value_typeET4_jRbjT5_S1B_jjP12ihipStream_tbEUljE_ZNSN_ISO_Lb1ESQ_SR_SQ_SR_SV_EESW_SX_SY_SZ_S13_S14_S15_S18_S19_jS1A_jS1B_S1B_jjS1D_bEUljE0_EEESW_SX_SY_S15_S19_S1B_T6_T7_T9_mT8_S1D_bDpT10_ENKUlT_T0_E_clISt17integral_constantIbLb1EES1Q_IbLb0EEEEDaS1M_S1N_EUlS1M_E_NS1_11comp_targetILNS1_3genE4ELNS1_11target_archE910ELNS1_3gpuE8ELNS1_3repE0EEENS1_30default_config_static_selectorELNS0_4arch9wavefront6targetE0EEEvSZ_,"axG",@progbits,_ZN7rocprim17ROCPRIM_400000_NS6detail17trampoline_kernelINS0_13select_configILj256ELj13ELNS0_17block_load_methodE3ELS4_3ELS4_3ELNS0_20block_scan_algorithmE0ELj4294967295EEENS1_25partition_config_selectorILNS1_17partition_subalgoE4EjNS0_10empty_typeEbEEZZNS1_14partition_implILS8_4ELb0ES6_15HIP_vector_typeIjLj2EENS0_17counting_iteratorIjlEEPS9_SG_NS0_5tupleIJPjSI_NS0_16reverse_iteratorISI_EEEEENSH_IJSG_SG_SG_EEES9_SI_JZNS1_25segmented_radix_sort_implINS0_14default_configELb1EPKlPlSQ_SR_N2at6native12_GLOBAL__N_18offset_tEEE10hipError_tPvRmT1_PNSt15iterator_traitsISZ_E10value_typeET2_T3_PNS10_IS15_E10value_typeET4_jRbjT5_S1B_jjP12ihipStream_tbEUljE_ZNSN_ISO_Lb1ESQ_SR_SQ_SR_SV_EESW_SX_SY_SZ_S13_S14_S15_S18_S19_jS1A_jS1B_S1B_jjS1D_bEUljE0_EEESW_SX_SY_S15_S19_S1B_T6_T7_T9_mT8_S1D_bDpT10_ENKUlT_T0_E_clISt17integral_constantIbLb1EES1Q_IbLb0EEEEDaS1M_S1N_EUlS1M_E_NS1_11comp_targetILNS1_3genE4ELNS1_11target_archE910ELNS1_3gpuE8ELNS1_3repE0EEENS1_30default_config_static_selectorELNS0_4arch9wavefront6targetE0EEEvSZ_,comdat
.Lfunc_end658:
	.size	_ZN7rocprim17ROCPRIM_400000_NS6detail17trampoline_kernelINS0_13select_configILj256ELj13ELNS0_17block_load_methodE3ELS4_3ELS4_3ELNS0_20block_scan_algorithmE0ELj4294967295EEENS1_25partition_config_selectorILNS1_17partition_subalgoE4EjNS0_10empty_typeEbEEZZNS1_14partition_implILS8_4ELb0ES6_15HIP_vector_typeIjLj2EENS0_17counting_iteratorIjlEEPS9_SG_NS0_5tupleIJPjSI_NS0_16reverse_iteratorISI_EEEEENSH_IJSG_SG_SG_EEES9_SI_JZNS1_25segmented_radix_sort_implINS0_14default_configELb1EPKlPlSQ_SR_N2at6native12_GLOBAL__N_18offset_tEEE10hipError_tPvRmT1_PNSt15iterator_traitsISZ_E10value_typeET2_T3_PNS10_IS15_E10value_typeET4_jRbjT5_S1B_jjP12ihipStream_tbEUljE_ZNSN_ISO_Lb1ESQ_SR_SQ_SR_SV_EESW_SX_SY_SZ_S13_S14_S15_S18_S19_jS1A_jS1B_S1B_jjS1D_bEUljE0_EEESW_SX_SY_S15_S19_S1B_T6_T7_T9_mT8_S1D_bDpT10_ENKUlT_T0_E_clISt17integral_constantIbLb1EES1Q_IbLb0EEEEDaS1M_S1N_EUlS1M_E_NS1_11comp_targetILNS1_3genE4ELNS1_11target_archE910ELNS1_3gpuE8ELNS1_3repE0EEENS1_30default_config_static_selectorELNS0_4arch9wavefront6targetE0EEEvSZ_, .Lfunc_end658-_ZN7rocprim17ROCPRIM_400000_NS6detail17trampoline_kernelINS0_13select_configILj256ELj13ELNS0_17block_load_methodE3ELS4_3ELS4_3ELNS0_20block_scan_algorithmE0ELj4294967295EEENS1_25partition_config_selectorILNS1_17partition_subalgoE4EjNS0_10empty_typeEbEEZZNS1_14partition_implILS8_4ELb0ES6_15HIP_vector_typeIjLj2EENS0_17counting_iteratorIjlEEPS9_SG_NS0_5tupleIJPjSI_NS0_16reverse_iteratorISI_EEEEENSH_IJSG_SG_SG_EEES9_SI_JZNS1_25segmented_radix_sort_implINS0_14default_configELb1EPKlPlSQ_SR_N2at6native12_GLOBAL__N_18offset_tEEE10hipError_tPvRmT1_PNSt15iterator_traitsISZ_E10value_typeET2_T3_PNS10_IS15_E10value_typeET4_jRbjT5_S1B_jjP12ihipStream_tbEUljE_ZNSN_ISO_Lb1ESQ_SR_SQ_SR_SV_EESW_SX_SY_SZ_S13_S14_S15_S18_S19_jS1A_jS1B_S1B_jjS1D_bEUljE0_EEESW_SX_SY_S15_S19_S1B_T6_T7_T9_mT8_S1D_bDpT10_ENKUlT_T0_E_clISt17integral_constantIbLb1EES1Q_IbLb0EEEEDaS1M_S1N_EUlS1M_E_NS1_11comp_targetILNS1_3genE4ELNS1_11target_archE910ELNS1_3gpuE8ELNS1_3repE0EEENS1_30default_config_static_selectorELNS0_4arch9wavefront6targetE0EEEvSZ_
                                        ; -- End function
	.section	.AMDGPU.csdata,"",@progbits
; Kernel info:
; codeLenInByte = 0
; NumSgprs: 0
; NumVgprs: 0
; ScratchSize: 0
; MemoryBound: 0
; FloatMode: 240
; IeeeMode: 1
; LDSByteSize: 0 bytes/workgroup (compile time only)
; SGPRBlocks: 0
; VGPRBlocks: 0
; NumSGPRsForWavesPerEU: 1
; NumVGPRsForWavesPerEU: 1
; Occupancy: 16
; WaveLimiterHint : 0
; COMPUTE_PGM_RSRC2:SCRATCH_EN: 0
; COMPUTE_PGM_RSRC2:USER_SGPR: 15
; COMPUTE_PGM_RSRC2:TRAP_HANDLER: 0
; COMPUTE_PGM_RSRC2:TGID_X_EN: 1
; COMPUTE_PGM_RSRC2:TGID_Y_EN: 0
; COMPUTE_PGM_RSRC2:TGID_Z_EN: 0
; COMPUTE_PGM_RSRC2:TIDIG_COMP_CNT: 0
	.section	.text._ZN7rocprim17ROCPRIM_400000_NS6detail17trampoline_kernelINS0_13select_configILj256ELj13ELNS0_17block_load_methodE3ELS4_3ELS4_3ELNS0_20block_scan_algorithmE0ELj4294967295EEENS1_25partition_config_selectorILNS1_17partition_subalgoE4EjNS0_10empty_typeEbEEZZNS1_14partition_implILS8_4ELb0ES6_15HIP_vector_typeIjLj2EENS0_17counting_iteratorIjlEEPS9_SG_NS0_5tupleIJPjSI_NS0_16reverse_iteratorISI_EEEEENSH_IJSG_SG_SG_EEES9_SI_JZNS1_25segmented_radix_sort_implINS0_14default_configELb1EPKlPlSQ_SR_N2at6native12_GLOBAL__N_18offset_tEEE10hipError_tPvRmT1_PNSt15iterator_traitsISZ_E10value_typeET2_T3_PNS10_IS15_E10value_typeET4_jRbjT5_S1B_jjP12ihipStream_tbEUljE_ZNSN_ISO_Lb1ESQ_SR_SQ_SR_SV_EESW_SX_SY_SZ_S13_S14_S15_S18_S19_jS1A_jS1B_S1B_jjS1D_bEUljE0_EEESW_SX_SY_S15_S19_S1B_T6_T7_T9_mT8_S1D_bDpT10_ENKUlT_T0_E_clISt17integral_constantIbLb1EES1Q_IbLb0EEEEDaS1M_S1N_EUlS1M_E_NS1_11comp_targetILNS1_3genE3ELNS1_11target_archE908ELNS1_3gpuE7ELNS1_3repE0EEENS1_30default_config_static_selectorELNS0_4arch9wavefront6targetE0EEEvSZ_,"axG",@progbits,_ZN7rocprim17ROCPRIM_400000_NS6detail17trampoline_kernelINS0_13select_configILj256ELj13ELNS0_17block_load_methodE3ELS4_3ELS4_3ELNS0_20block_scan_algorithmE0ELj4294967295EEENS1_25partition_config_selectorILNS1_17partition_subalgoE4EjNS0_10empty_typeEbEEZZNS1_14partition_implILS8_4ELb0ES6_15HIP_vector_typeIjLj2EENS0_17counting_iteratorIjlEEPS9_SG_NS0_5tupleIJPjSI_NS0_16reverse_iteratorISI_EEEEENSH_IJSG_SG_SG_EEES9_SI_JZNS1_25segmented_radix_sort_implINS0_14default_configELb1EPKlPlSQ_SR_N2at6native12_GLOBAL__N_18offset_tEEE10hipError_tPvRmT1_PNSt15iterator_traitsISZ_E10value_typeET2_T3_PNS10_IS15_E10value_typeET4_jRbjT5_S1B_jjP12ihipStream_tbEUljE_ZNSN_ISO_Lb1ESQ_SR_SQ_SR_SV_EESW_SX_SY_SZ_S13_S14_S15_S18_S19_jS1A_jS1B_S1B_jjS1D_bEUljE0_EEESW_SX_SY_S15_S19_S1B_T6_T7_T9_mT8_S1D_bDpT10_ENKUlT_T0_E_clISt17integral_constantIbLb1EES1Q_IbLb0EEEEDaS1M_S1N_EUlS1M_E_NS1_11comp_targetILNS1_3genE3ELNS1_11target_archE908ELNS1_3gpuE7ELNS1_3repE0EEENS1_30default_config_static_selectorELNS0_4arch9wavefront6targetE0EEEvSZ_,comdat
	.globl	_ZN7rocprim17ROCPRIM_400000_NS6detail17trampoline_kernelINS0_13select_configILj256ELj13ELNS0_17block_load_methodE3ELS4_3ELS4_3ELNS0_20block_scan_algorithmE0ELj4294967295EEENS1_25partition_config_selectorILNS1_17partition_subalgoE4EjNS0_10empty_typeEbEEZZNS1_14partition_implILS8_4ELb0ES6_15HIP_vector_typeIjLj2EENS0_17counting_iteratorIjlEEPS9_SG_NS0_5tupleIJPjSI_NS0_16reverse_iteratorISI_EEEEENSH_IJSG_SG_SG_EEES9_SI_JZNS1_25segmented_radix_sort_implINS0_14default_configELb1EPKlPlSQ_SR_N2at6native12_GLOBAL__N_18offset_tEEE10hipError_tPvRmT1_PNSt15iterator_traitsISZ_E10value_typeET2_T3_PNS10_IS15_E10value_typeET4_jRbjT5_S1B_jjP12ihipStream_tbEUljE_ZNSN_ISO_Lb1ESQ_SR_SQ_SR_SV_EESW_SX_SY_SZ_S13_S14_S15_S18_S19_jS1A_jS1B_S1B_jjS1D_bEUljE0_EEESW_SX_SY_S15_S19_S1B_T6_T7_T9_mT8_S1D_bDpT10_ENKUlT_T0_E_clISt17integral_constantIbLb1EES1Q_IbLb0EEEEDaS1M_S1N_EUlS1M_E_NS1_11comp_targetILNS1_3genE3ELNS1_11target_archE908ELNS1_3gpuE7ELNS1_3repE0EEENS1_30default_config_static_selectorELNS0_4arch9wavefront6targetE0EEEvSZ_ ; -- Begin function _ZN7rocprim17ROCPRIM_400000_NS6detail17trampoline_kernelINS0_13select_configILj256ELj13ELNS0_17block_load_methodE3ELS4_3ELS4_3ELNS0_20block_scan_algorithmE0ELj4294967295EEENS1_25partition_config_selectorILNS1_17partition_subalgoE4EjNS0_10empty_typeEbEEZZNS1_14partition_implILS8_4ELb0ES6_15HIP_vector_typeIjLj2EENS0_17counting_iteratorIjlEEPS9_SG_NS0_5tupleIJPjSI_NS0_16reverse_iteratorISI_EEEEENSH_IJSG_SG_SG_EEES9_SI_JZNS1_25segmented_radix_sort_implINS0_14default_configELb1EPKlPlSQ_SR_N2at6native12_GLOBAL__N_18offset_tEEE10hipError_tPvRmT1_PNSt15iterator_traitsISZ_E10value_typeET2_T3_PNS10_IS15_E10value_typeET4_jRbjT5_S1B_jjP12ihipStream_tbEUljE_ZNSN_ISO_Lb1ESQ_SR_SQ_SR_SV_EESW_SX_SY_SZ_S13_S14_S15_S18_S19_jS1A_jS1B_S1B_jjS1D_bEUljE0_EEESW_SX_SY_S15_S19_S1B_T6_T7_T9_mT8_S1D_bDpT10_ENKUlT_T0_E_clISt17integral_constantIbLb1EES1Q_IbLb0EEEEDaS1M_S1N_EUlS1M_E_NS1_11comp_targetILNS1_3genE3ELNS1_11target_archE908ELNS1_3gpuE7ELNS1_3repE0EEENS1_30default_config_static_selectorELNS0_4arch9wavefront6targetE0EEEvSZ_
	.p2align	8
	.type	_ZN7rocprim17ROCPRIM_400000_NS6detail17trampoline_kernelINS0_13select_configILj256ELj13ELNS0_17block_load_methodE3ELS4_3ELS4_3ELNS0_20block_scan_algorithmE0ELj4294967295EEENS1_25partition_config_selectorILNS1_17partition_subalgoE4EjNS0_10empty_typeEbEEZZNS1_14partition_implILS8_4ELb0ES6_15HIP_vector_typeIjLj2EENS0_17counting_iteratorIjlEEPS9_SG_NS0_5tupleIJPjSI_NS0_16reverse_iteratorISI_EEEEENSH_IJSG_SG_SG_EEES9_SI_JZNS1_25segmented_radix_sort_implINS0_14default_configELb1EPKlPlSQ_SR_N2at6native12_GLOBAL__N_18offset_tEEE10hipError_tPvRmT1_PNSt15iterator_traitsISZ_E10value_typeET2_T3_PNS10_IS15_E10value_typeET4_jRbjT5_S1B_jjP12ihipStream_tbEUljE_ZNSN_ISO_Lb1ESQ_SR_SQ_SR_SV_EESW_SX_SY_SZ_S13_S14_S15_S18_S19_jS1A_jS1B_S1B_jjS1D_bEUljE0_EEESW_SX_SY_S15_S19_S1B_T6_T7_T9_mT8_S1D_bDpT10_ENKUlT_T0_E_clISt17integral_constantIbLb1EES1Q_IbLb0EEEEDaS1M_S1N_EUlS1M_E_NS1_11comp_targetILNS1_3genE3ELNS1_11target_archE908ELNS1_3gpuE7ELNS1_3repE0EEENS1_30default_config_static_selectorELNS0_4arch9wavefront6targetE0EEEvSZ_,@function
_ZN7rocprim17ROCPRIM_400000_NS6detail17trampoline_kernelINS0_13select_configILj256ELj13ELNS0_17block_load_methodE3ELS4_3ELS4_3ELNS0_20block_scan_algorithmE0ELj4294967295EEENS1_25partition_config_selectorILNS1_17partition_subalgoE4EjNS0_10empty_typeEbEEZZNS1_14partition_implILS8_4ELb0ES6_15HIP_vector_typeIjLj2EENS0_17counting_iteratorIjlEEPS9_SG_NS0_5tupleIJPjSI_NS0_16reverse_iteratorISI_EEEEENSH_IJSG_SG_SG_EEES9_SI_JZNS1_25segmented_radix_sort_implINS0_14default_configELb1EPKlPlSQ_SR_N2at6native12_GLOBAL__N_18offset_tEEE10hipError_tPvRmT1_PNSt15iterator_traitsISZ_E10value_typeET2_T3_PNS10_IS15_E10value_typeET4_jRbjT5_S1B_jjP12ihipStream_tbEUljE_ZNSN_ISO_Lb1ESQ_SR_SQ_SR_SV_EESW_SX_SY_SZ_S13_S14_S15_S18_S19_jS1A_jS1B_S1B_jjS1D_bEUljE0_EEESW_SX_SY_S15_S19_S1B_T6_T7_T9_mT8_S1D_bDpT10_ENKUlT_T0_E_clISt17integral_constantIbLb1EES1Q_IbLb0EEEEDaS1M_S1N_EUlS1M_E_NS1_11comp_targetILNS1_3genE3ELNS1_11target_archE908ELNS1_3gpuE7ELNS1_3repE0EEENS1_30default_config_static_selectorELNS0_4arch9wavefront6targetE0EEEvSZ_: ; @_ZN7rocprim17ROCPRIM_400000_NS6detail17trampoline_kernelINS0_13select_configILj256ELj13ELNS0_17block_load_methodE3ELS4_3ELS4_3ELNS0_20block_scan_algorithmE0ELj4294967295EEENS1_25partition_config_selectorILNS1_17partition_subalgoE4EjNS0_10empty_typeEbEEZZNS1_14partition_implILS8_4ELb0ES6_15HIP_vector_typeIjLj2EENS0_17counting_iteratorIjlEEPS9_SG_NS0_5tupleIJPjSI_NS0_16reverse_iteratorISI_EEEEENSH_IJSG_SG_SG_EEES9_SI_JZNS1_25segmented_radix_sort_implINS0_14default_configELb1EPKlPlSQ_SR_N2at6native12_GLOBAL__N_18offset_tEEE10hipError_tPvRmT1_PNSt15iterator_traitsISZ_E10value_typeET2_T3_PNS10_IS15_E10value_typeET4_jRbjT5_S1B_jjP12ihipStream_tbEUljE_ZNSN_ISO_Lb1ESQ_SR_SQ_SR_SV_EESW_SX_SY_SZ_S13_S14_S15_S18_S19_jS1A_jS1B_S1B_jjS1D_bEUljE0_EEESW_SX_SY_S15_S19_S1B_T6_T7_T9_mT8_S1D_bDpT10_ENKUlT_T0_E_clISt17integral_constantIbLb1EES1Q_IbLb0EEEEDaS1M_S1N_EUlS1M_E_NS1_11comp_targetILNS1_3genE3ELNS1_11target_archE908ELNS1_3gpuE7ELNS1_3repE0EEENS1_30default_config_static_selectorELNS0_4arch9wavefront6targetE0EEEvSZ_
; %bb.0:
	.section	.rodata,"a",@progbits
	.p2align	6, 0x0
	.amdhsa_kernel _ZN7rocprim17ROCPRIM_400000_NS6detail17trampoline_kernelINS0_13select_configILj256ELj13ELNS0_17block_load_methodE3ELS4_3ELS4_3ELNS0_20block_scan_algorithmE0ELj4294967295EEENS1_25partition_config_selectorILNS1_17partition_subalgoE4EjNS0_10empty_typeEbEEZZNS1_14partition_implILS8_4ELb0ES6_15HIP_vector_typeIjLj2EENS0_17counting_iteratorIjlEEPS9_SG_NS0_5tupleIJPjSI_NS0_16reverse_iteratorISI_EEEEENSH_IJSG_SG_SG_EEES9_SI_JZNS1_25segmented_radix_sort_implINS0_14default_configELb1EPKlPlSQ_SR_N2at6native12_GLOBAL__N_18offset_tEEE10hipError_tPvRmT1_PNSt15iterator_traitsISZ_E10value_typeET2_T3_PNS10_IS15_E10value_typeET4_jRbjT5_S1B_jjP12ihipStream_tbEUljE_ZNSN_ISO_Lb1ESQ_SR_SQ_SR_SV_EESW_SX_SY_SZ_S13_S14_S15_S18_S19_jS1A_jS1B_S1B_jjS1D_bEUljE0_EEESW_SX_SY_S15_S19_S1B_T6_T7_T9_mT8_S1D_bDpT10_ENKUlT_T0_E_clISt17integral_constantIbLb1EES1Q_IbLb0EEEEDaS1M_S1N_EUlS1M_E_NS1_11comp_targetILNS1_3genE3ELNS1_11target_archE908ELNS1_3gpuE7ELNS1_3repE0EEENS1_30default_config_static_selectorELNS0_4arch9wavefront6targetE0EEEvSZ_
		.amdhsa_group_segment_fixed_size 0
		.amdhsa_private_segment_fixed_size 0
		.amdhsa_kernarg_size 176
		.amdhsa_user_sgpr_count 15
		.amdhsa_user_sgpr_dispatch_ptr 0
		.amdhsa_user_sgpr_queue_ptr 0
		.amdhsa_user_sgpr_kernarg_segment_ptr 1
		.amdhsa_user_sgpr_dispatch_id 0
		.amdhsa_user_sgpr_private_segment_size 0
		.amdhsa_wavefront_size32 1
		.amdhsa_uses_dynamic_stack 0
		.amdhsa_enable_private_segment 0
		.amdhsa_system_sgpr_workgroup_id_x 1
		.amdhsa_system_sgpr_workgroup_id_y 0
		.amdhsa_system_sgpr_workgroup_id_z 0
		.amdhsa_system_sgpr_workgroup_info 0
		.amdhsa_system_vgpr_workitem_id 0
		.amdhsa_next_free_vgpr 1
		.amdhsa_next_free_sgpr 1
		.amdhsa_reserve_vcc 0
		.amdhsa_float_round_mode_32 0
		.amdhsa_float_round_mode_16_64 0
		.amdhsa_float_denorm_mode_32 3
		.amdhsa_float_denorm_mode_16_64 3
		.amdhsa_dx10_clamp 1
		.amdhsa_ieee_mode 1
		.amdhsa_fp16_overflow 0
		.amdhsa_workgroup_processor_mode 1
		.amdhsa_memory_ordered 1
		.amdhsa_forward_progress 0
		.amdhsa_shared_vgpr_count 0
		.amdhsa_exception_fp_ieee_invalid_op 0
		.amdhsa_exception_fp_denorm_src 0
		.amdhsa_exception_fp_ieee_div_zero 0
		.amdhsa_exception_fp_ieee_overflow 0
		.amdhsa_exception_fp_ieee_underflow 0
		.amdhsa_exception_fp_ieee_inexact 0
		.amdhsa_exception_int_div_zero 0
	.end_amdhsa_kernel
	.section	.text._ZN7rocprim17ROCPRIM_400000_NS6detail17trampoline_kernelINS0_13select_configILj256ELj13ELNS0_17block_load_methodE3ELS4_3ELS4_3ELNS0_20block_scan_algorithmE0ELj4294967295EEENS1_25partition_config_selectorILNS1_17partition_subalgoE4EjNS0_10empty_typeEbEEZZNS1_14partition_implILS8_4ELb0ES6_15HIP_vector_typeIjLj2EENS0_17counting_iteratorIjlEEPS9_SG_NS0_5tupleIJPjSI_NS0_16reverse_iteratorISI_EEEEENSH_IJSG_SG_SG_EEES9_SI_JZNS1_25segmented_radix_sort_implINS0_14default_configELb1EPKlPlSQ_SR_N2at6native12_GLOBAL__N_18offset_tEEE10hipError_tPvRmT1_PNSt15iterator_traitsISZ_E10value_typeET2_T3_PNS10_IS15_E10value_typeET4_jRbjT5_S1B_jjP12ihipStream_tbEUljE_ZNSN_ISO_Lb1ESQ_SR_SQ_SR_SV_EESW_SX_SY_SZ_S13_S14_S15_S18_S19_jS1A_jS1B_S1B_jjS1D_bEUljE0_EEESW_SX_SY_S15_S19_S1B_T6_T7_T9_mT8_S1D_bDpT10_ENKUlT_T0_E_clISt17integral_constantIbLb1EES1Q_IbLb0EEEEDaS1M_S1N_EUlS1M_E_NS1_11comp_targetILNS1_3genE3ELNS1_11target_archE908ELNS1_3gpuE7ELNS1_3repE0EEENS1_30default_config_static_selectorELNS0_4arch9wavefront6targetE0EEEvSZ_,"axG",@progbits,_ZN7rocprim17ROCPRIM_400000_NS6detail17trampoline_kernelINS0_13select_configILj256ELj13ELNS0_17block_load_methodE3ELS4_3ELS4_3ELNS0_20block_scan_algorithmE0ELj4294967295EEENS1_25partition_config_selectorILNS1_17partition_subalgoE4EjNS0_10empty_typeEbEEZZNS1_14partition_implILS8_4ELb0ES6_15HIP_vector_typeIjLj2EENS0_17counting_iteratorIjlEEPS9_SG_NS0_5tupleIJPjSI_NS0_16reverse_iteratorISI_EEEEENSH_IJSG_SG_SG_EEES9_SI_JZNS1_25segmented_radix_sort_implINS0_14default_configELb1EPKlPlSQ_SR_N2at6native12_GLOBAL__N_18offset_tEEE10hipError_tPvRmT1_PNSt15iterator_traitsISZ_E10value_typeET2_T3_PNS10_IS15_E10value_typeET4_jRbjT5_S1B_jjP12ihipStream_tbEUljE_ZNSN_ISO_Lb1ESQ_SR_SQ_SR_SV_EESW_SX_SY_SZ_S13_S14_S15_S18_S19_jS1A_jS1B_S1B_jjS1D_bEUljE0_EEESW_SX_SY_S15_S19_S1B_T6_T7_T9_mT8_S1D_bDpT10_ENKUlT_T0_E_clISt17integral_constantIbLb1EES1Q_IbLb0EEEEDaS1M_S1N_EUlS1M_E_NS1_11comp_targetILNS1_3genE3ELNS1_11target_archE908ELNS1_3gpuE7ELNS1_3repE0EEENS1_30default_config_static_selectorELNS0_4arch9wavefront6targetE0EEEvSZ_,comdat
.Lfunc_end659:
	.size	_ZN7rocprim17ROCPRIM_400000_NS6detail17trampoline_kernelINS0_13select_configILj256ELj13ELNS0_17block_load_methodE3ELS4_3ELS4_3ELNS0_20block_scan_algorithmE0ELj4294967295EEENS1_25partition_config_selectorILNS1_17partition_subalgoE4EjNS0_10empty_typeEbEEZZNS1_14partition_implILS8_4ELb0ES6_15HIP_vector_typeIjLj2EENS0_17counting_iteratorIjlEEPS9_SG_NS0_5tupleIJPjSI_NS0_16reverse_iteratorISI_EEEEENSH_IJSG_SG_SG_EEES9_SI_JZNS1_25segmented_radix_sort_implINS0_14default_configELb1EPKlPlSQ_SR_N2at6native12_GLOBAL__N_18offset_tEEE10hipError_tPvRmT1_PNSt15iterator_traitsISZ_E10value_typeET2_T3_PNS10_IS15_E10value_typeET4_jRbjT5_S1B_jjP12ihipStream_tbEUljE_ZNSN_ISO_Lb1ESQ_SR_SQ_SR_SV_EESW_SX_SY_SZ_S13_S14_S15_S18_S19_jS1A_jS1B_S1B_jjS1D_bEUljE0_EEESW_SX_SY_S15_S19_S1B_T6_T7_T9_mT8_S1D_bDpT10_ENKUlT_T0_E_clISt17integral_constantIbLb1EES1Q_IbLb0EEEEDaS1M_S1N_EUlS1M_E_NS1_11comp_targetILNS1_3genE3ELNS1_11target_archE908ELNS1_3gpuE7ELNS1_3repE0EEENS1_30default_config_static_selectorELNS0_4arch9wavefront6targetE0EEEvSZ_, .Lfunc_end659-_ZN7rocprim17ROCPRIM_400000_NS6detail17trampoline_kernelINS0_13select_configILj256ELj13ELNS0_17block_load_methodE3ELS4_3ELS4_3ELNS0_20block_scan_algorithmE0ELj4294967295EEENS1_25partition_config_selectorILNS1_17partition_subalgoE4EjNS0_10empty_typeEbEEZZNS1_14partition_implILS8_4ELb0ES6_15HIP_vector_typeIjLj2EENS0_17counting_iteratorIjlEEPS9_SG_NS0_5tupleIJPjSI_NS0_16reverse_iteratorISI_EEEEENSH_IJSG_SG_SG_EEES9_SI_JZNS1_25segmented_radix_sort_implINS0_14default_configELb1EPKlPlSQ_SR_N2at6native12_GLOBAL__N_18offset_tEEE10hipError_tPvRmT1_PNSt15iterator_traitsISZ_E10value_typeET2_T3_PNS10_IS15_E10value_typeET4_jRbjT5_S1B_jjP12ihipStream_tbEUljE_ZNSN_ISO_Lb1ESQ_SR_SQ_SR_SV_EESW_SX_SY_SZ_S13_S14_S15_S18_S19_jS1A_jS1B_S1B_jjS1D_bEUljE0_EEESW_SX_SY_S15_S19_S1B_T6_T7_T9_mT8_S1D_bDpT10_ENKUlT_T0_E_clISt17integral_constantIbLb1EES1Q_IbLb0EEEEDaS1M_S1N_EUlS1M_E_NS1_11comp_targetILNS1_3genE3ELNS1_11target_archE908ELNS1_3gpuE7ELNS1_3repE0EEENS1_30default_config_static_selectorELNS0_4arch9wavefront6targetE0EEEvSZ_
                                        ; -- End function
	.section	.AMDGPU.csdata,"",@progbits
; Kernel info:
; codeLenInByte = 0
; NumSgprs: 0
; NumVgprs: 0
; ScratchSize: 0
; MemoryBound: 0
; FloatMode: 240
; IeeeMode: 1
; LDSByteSize: 0 bytes/workgroup (compile time only)
; SGPRBlocks: 0
; VGPRBlocks: 0
; NumSGPRsForWavesPerEU: 1
; NumVGPRsForWavesPerEU: 1
; Occupancy: 16
; WaveLimiterHint : 0
; COMPUTE_PGM_RSRC2:SCRATCH_EN: 0
; COMPUTE_PGM_RSRC2:USER_SGPR: 15
; COMPUTE_PGM_RSRC2:TRAP_HANDLER: 0
; COMPUTE_PGM_RSRC2:TGID_X_EN: 1
; COMPUTE_PGM_RSRC2:TGID_Y_EN: 0
; COMPUTE_PGM_RSRC2:TGID_Z_EN: 0
; COMPUTE_PGM_RSRC2:TIDIG_COMP_CNT: 0
	.section	.text._ZN7rocprim17ROCPRIM_400000_NS6detail17trampoline_kernelINS0_13select_configILj256ELj13ELNS0_17block_load_methodE3ELS4_3ELS4_3ELNS0_20block_scan_algorithmE0ELj4294967295EEENS1_25partition_config_selectorILNS1_17partition_subalgoE4EjNS0_10empty_typeEbEEZZNS1_14partition_implILS8_4ELb0ES6_15HIP_vector_typeIjLj2EENS0_17counting_iteratorIjlEEPS9_SG_NS0_5tupleIJPjSI_NS0_16reverse_iteratorISI_EEEEENSH_IJSG_SG_SG_EEES9_SI_JZNS1_25segmented_radix_sort_implINS0_14default_configELb1EPKlPlSQ_SR_N2at6native12_GLOBAL__N_18offset_tEEE10hipError_tPvRmT1_PNSt15iterator_traitsISZ_E10value_typeET2_T3_PNS10_IS15_E10value_typeET4_jRbjT5_S1B_jjP12ihipStream_tbEUljE_ZNSN_ISO_Lb1ESQ_SR_SQ_SR_SV_EESW_SX_SY_SZ_S13_S14_S15_S18_S19_jS1A_jS1B_S1B_jjS1D_bEUljE0_EEESW_SX_SY_S15_S19_S1B_T6_T7_T9_mT8_S1D_bDpT10_ENKUlT_T0_E_clISt17integral_constantIbLb1EES1Q_IbLb0EEEEDaS1M_S1N_EUlS1M_E_NS1_11comp_targetILNS1_3genE2ELNS1_11target_archE906ELNS1_3gpuE6ELNS1_3repE0EEENS1_30default_config_static_selectorELNS0_4arch9wavefront6targetE0EEEvSZ_,"axG",@progbits,_ZN7rocprim17ROCPRIM_400000_NS6detail17trampoline_kernelINS0_13select_configILj256ELj13ELNS0_17block_load_methodE3ELS4_3ELS4_3ELNS0_20block_scan_algorithmE0ELj4294967295EEENS1_25partition_config_selectorILNS1_17partition_subalgoE4EjNS0_10empty_typeEbEEZZNS1_14partition_implILS8_4ELb0ES6_15HIP_vector_typeIjLj2EENS0_17counting_iteratorIjlEEPS9_SG_NS0_5tupleIJPjSI_NS0_16reverse_iteratorISI_EEEEENSH_IJSG_SG_SG_EEES9_SI_JZNS1_25segmented_radix_sort_implINS0_14default_configELb1EPKlPlSQ_SR_N2at6native12_GLOBAL__N_18offset_tEEE10hipError_tPvRmT1_PNSt15iterator_traitsISZ_E10value_typeET2_T3_PNS10_IS15_E10value_typeET4_jRbjT5_S1B_jjP12ihipStream_tbEUljE_ZNSN_ISO_Lb1ESQ_SR_SQ_SR_SV_EESW_SX_SY_SZ_S13_S14_S15_S18_S19_jS1A_jS1B_S1B_jjS1D_bEUljE0_EEESW_SX_SY_S15_S19_S1B_T6_T7_T9_mT8_S1D_bDpT10_ENKUlT_T0_E_clISt17integral_constantIbLb1EES1Q_IbLb0EEEEDaS1M_S1N_EUlS1M_E_NS1_11comp_targetILNS1_3genE2ELNS1_11target_archE906ELNS1_3gpuE6ELNS1_3repE0EEENS1_30default_config_static_selectorELNS0_4arch9wavefront6targetE0EEEvSZ_,comdat
	.globl	_ZN7rocprim17ROCPRIM_400000_NS6detail17trampoline_kernelINS0_13select_configILj256ELj13ELNS0_17block_load_methodE3ELS4_3ELS4_3ELNS0_20block_scan_algorithmE0ELj4294967295EEENS1_25partition_config_selectorILNS1_17partition_subalgoE4EjNS0_10empty_typeEbEEZZNS1_14partition_implILS8_4ELb0ES6_15HIP_vector_typeIjLj2EENS0_17counting_iteratorIjlEEPS9_SG_NS0_5tupleIJPjSI_NS0_16reverse_iteratorISI_EEEEENSH_IJSG_SG_SG_EEES9_SI_JZNS1_25segmented_radix_sort_implINS0_14default_configELb1EPKlPlSQ_SR_N2at6native12_GLOBAL__N_18offset_tEEE10hipError_tPvRmT1_PNSt15iterator_traitsISZ_E10value_typeET2_T3_PNS10_IS15_E10value_typeET4_jRbjT5_S1B_jjP12ihipStream_tbEUljE_ZNSN_ISO_Lb1ESQ_SR_SQ_SR_SV_EESW_SX_SY_SZ_S13_S14_S15_S18_S19_jS1A_jS1B_S1B_jjS1D_bEUljE0_EEESW_SX_SY_S15_S19_S1B_T6_T7_T9_mT8_S1D_bDpT10_ENKUlT_T0_E_clISt17integral_constantIbLb1EES1Q_IbLb0EEEEDaS1M_S1N_EUlS1M_E_NS1_11comp_targetILNS1_3genE2ELNS1_11target_archE906ELNS1_3gpuE6ELNS1_3repE0EEENS1_30default_config_static_selectorELNS0_4arch9wavefront6targetE0EEEvSZ_ ; -- Begin function _ZN7rocprim17ROCPRIM_400000_NS6detail17trampoline_kernelINS0_13select_configILj256ELj13ELNS0_17block_load_methodE3ELS4_3ELS4_3ELNS0_20block_scan_algorithmE0ELj4294967295EEENS1_25partition_config_selectorILNS1_17partition_subalgoE4EjNS0_10empty_typeEbEEZZNS1_14partition_implILS8_4ELb0ES6_15HIP_vector_typeIjLj2EENS0_17counting_iteratorIjlEEPS9_SG_NS0_5tupleIJPjSI_NS0_16reverse_iteratorISI_EEEEENSH_IJSG_SG_SG_EEES9_SI_JZNS1_25segmented_radix_sort_implINS0_14default_configELb1EPKlPlSQ_SR_N2at6native12_GLOBAL__N_18offset_tEEE10hipError_tPvRmT1_PNSt15iterator_traitsISZ_E10value_typeET2_T3_PNS10_IS15_E10value_typeET4_jRbjT5_S1B_jjP12ihipStream_tbEUljE_ZNSN_ISO_Lb1ESQ_SR_SQ_SR_SV_EESW_SX_SY_SZ_S13_S14_S15_S18_S19_jS1A_jS1B_S1B_jjS1D_bEUljE0_EEESW_SX_SY_S15_S19_S1B_T6_T7_T9_mT8_S1D_bDpT10_ENKUlT_T0_E_clISt17integral_constantIbLb1EES1Q_IbLb0EEEEDaS1M_S1N_EUlS1M_E_NS1_11comp_targetILNS1_3genE2ELNS1_11target_archE906ELNS1_3gpuE6ELNS1_3repE0EEENS1_30default_config_static_selectorELNS0_4arch9wavefront6targetE0EEEvSZ_
	.p2align	8
	.type	_ZN7rocprim17ROCPRIM_400000_NS6detail17trampoline_kernelINS0_13select_configILj256ELj13ELNS0_17block_load_methodE3ELS4_3ELS4_3ELNS0_20block_scan_algorithmE0ELj4294967295EEENS1_25partition_config_selectorILNS1_17partition_subalgoE4EjNS0_10empty_typeEbEEZZNS1_14partition_implILS8_4ELb0ES6_15HIP_vector_typeIjLj2EENS0_17counting_iteratorIjlEEPS9_SG_NS0_5tupleIJPjSI_NS0_16reverse_iteratorISI_EEEEENSH_IJSG_SG_SG_EEES9_SI_JZNS1_25segmented_radix_sort_implINS0_14default_configELb1EPKlPlSQ_SR_N2at6native12_GLOBAL__N_18offset_tEEE10hipError_tPvRmT1_PNSt15iterator_traitsISZ_E10value_typeET2_T3_PNS10_IS15_E10value_typeET4_jRbjT5_S1B_jjP12ihipStream_tbEUljE_ZNSN_ISO_Lb1ESQ_SR_SQ_SR_SV_EESW_SX_SY_SZ_S13_S14_S15_S18_S19_jS1A_jS1B_S1B_jjS1D_bEUljE0_EEESW_SX_SY_S15_S19_S1B_T6_T7_T9_mT8_S1D_bDpT10_ENKUlT_T0_E_clISt17integral_constantIbLb1EES1Q_IbLb0EEEEDaS1M_S1N_EUlS1M_E_NS1_11comp_targetILNS1_3genE2ELNS1_11target_archE906ELNS1_3gpuE6ELNS1_3repE0EEENS1_30default_config_static_selectorELNS0_4arch9wavefront6targetE0EEEvSZ_,@function
_ZN7rocprim17ROCPRIM_400000_NS6detail17trampoline_kernelINS0_13select_configILj256ELj13ELNS0_17block_load_methodE3ELS4_3ELS4_3ELNS0_20block_scan_algorithmE0ELj4294967295EEENS1_25partition_config_selectorILNS1_17partition_subalgoE4EjNS0_10empty_typeEbEEZZNS1_14partition_implILS8_4ELb0ES6_15HIP_vector_typeIjLj2EENS0_17counting_iteratorIjlEEPS9_SG_NS0_5tupleIJPjSI_NS0_16reverse_iteratorISI_EEEEENSH_IJSG_SG_SG_EEES9_SI_JZNS1_25segmented_radix_sort_implINS0_14default_configELb1EPKlPlSQ_SR_N2at6native12_GLOBAL__N_18offset_tEEE10hipError_tPvRmT1_PNSt15iterator_traitsISZ_E10value_typeET2_T3_PNS10_IS15_E10value_typeET4_jRbjT5_S1B_jjP12ihipStream_tbEUljE_ZNSN_ISO_Lb1ESQ_SR_SQ_SR_SV_EESW_SX_SY_SZ_S13_S14_S15_S18_S19_jS1A_jS1B_S1B_jjS1D_bEUljE0_EEESW_SX_SY_S15_S19_S1B_T6_T7_T9_mT8_S1D_bDpT10_ENKUlT_T0_E_clISt17integral_constantIbLb1EES1Q_IbLb0EEEEDaS1M_S1N_EUlS1M_E_NS1_11comp_targetILNS1_3genE2ELNS1_11target_archE906ELNS1_3gpuE6ELNS1_3repE0EEENS1_30default_config_static_selectorELNS0_4arch9wavefront6targetE0EEEvSZ_: ; @_ZN7rocprim17ROCPRIM_400000_NS6detail17trampoline_kernelINS0_13select_configILj256ELj13ELNS0_17block_load_methodE3ELS4_3ELS4_3ELNS0_20block_scan_algorithmE0ELj4294967295EEENS1_25partition_config_selectorILNS1_17partition_subalgoE4EjNS0_10empty_typeEbEEZZNS1_14partition_implILS8_4ELb0ES6_15HIP_vector_typeIjLj2EENS0_17counting_iteratorIjlEEPS9_SG_NS0_5tupleIJPjSI_NS0_16reverse_iteratorISI_EEEEENSH_IJSG_SG_SG_EEES9_SI_JZNS1_25segmented_radix_sort_implINS0_14default_configELb1EPKlPlSQ_SR_N2at6native12_GLOBAL__N_18offset_tEEE10hipError_tPvRmT1_PNSt15iterator_traitsISZ_E10value_typeET2_T3_PNS10_IS15_E10value_typeET4_jRbjT5_S1B_jjP12ihipStream_tbEUljE_ZNSN_ISO_Lb1ESQ_SR_SQ_SR_SV_EESW_SX_SY_SZ_S13_S14_S15_S18_S19_jS1A_jS1B_S1B_jjS1D_bEUljE0_EEESW_SX_SY_S15_S19_S1B_T6_T7_T9_mT8_S1D_bDpT10_ENKUlT_T0_E_clISt17integral_constantIbLb1EES1Q_IbLb0EEEEDaS1M_S1N_EUlS1M_E_NS1_11comp_targetILNS1_3genE2ELNS1_11target_archE906ELNS1_3gpuE6ELNS1_3repE0EEENS1_30default_config_static_selectorELNS0_4arch9wavefront6targetE0EEEvSZ_
; %bb.0:
	.section	.rodata,"a",@progbits
	.p2align	6, 0x0
	.amdhsa_kernel _ZN7rocprim17ROCPRIM_400000_NS6detail17trampoline_kernelINS0_13select_configILj256ELj13ELNS0_17block_load_methodE3ELS4_3ELS4_3ELNS0_20block_scan_algorithmE0ELj4294967295EEENS1_25partition_config_selectorILNS1_17partition_subalgoE4EjNS0_10empty_typeEbEEZZNS1_14partition_implILS8_4ELb0ES6_15HIP_vector_typeIjLj2EENS0_17counting_iteratorIjlEEPS9_SG_NS0_5tupleIJPjSI_NS0_16reverse_iteratorISI_EEEEENSH_IJSG_SG_SG_EEES9_SI_JZNS1_25segmented_radix_sort_implINS0_14default_configELb1EPKlPlSQ_SR_N2at6native12_GLOBAL__N_18offset_tEEE10hipError_tPvRmT1_PNSt15iterator_traitsISZ_E10value_typeET2_T3_PNS10_IS15_E10value_typeET4_jRbjT5_S1B_jjP12ihipStream_tbEUljE_ZNSN_ISO_Lb1ESQ_SR_SQ_SR_SV_EESW_SX_SY_SZ_S13_S14_S15_S18_S19_jS1A_jS1B_S1B_jjS1D_bEUljE0_EEESW_SX_SY_S15_S19_S1B_T6_T7_T9_mT8_S1D_bDpT10_ENKUlT_T0_E_clISt17integral_constantIbLb1EES1Q_IbLb0EEEEDaS1M_S1N_EUlS1M_E_NS1_11comp_targetILNS1_3genE2ELNS1_11target_archE906ELNS1_3gpuE6ELNS1_3repE0EEENS1_30default_config_static_selectorELNS0_4arch9wavefront6targetE0EEEvSZ_
		.amdhsa_group_segment_fixed_size 0
		.amdhsa_private_segment_fixed_size 0
		.amdhsa_kernarg_size 176
		.amdhsa_user_sgpr_count 15
		.amdhsa_user_sgpr_dispatch_ptr 0
		.amdhsa_user_sgpr_queue_ptr 0
		.amdhsa_user_sgpr_kernarg_segment_ptr 1
		.amdhsa_user_sgpr_dispatch_id 0
		.amdhsa_user_sgpr_private_segment_size 0
		.amdhsa_wavefront_size32 1
		.amdhsa_uses_dynamic_stack 0
		.amdhsa_enable_private_segment 0
		.amdhsa_system_sgpr_workgroup_id_x 1
		.amdhsa_system_sgpr_workgroup_id_y 0
		.amdhsa_system_sgpr_workgroup_id_z 0
		.amdhsa_system_sgpr_workgroup_info 0
		.amdhsa_system_vgpr_workitem_id 0
		.amdhsa_next_free_vgpr 1
		.amdhsa_next_free_sgpr 1
		.amdhsa_reserve_vcc 0
		.amdhsa_float_round_mode_32 0
		.amdhsa_float_round_mode_16_64 0
		.amdhsa_float_denorm_mode_32 3
		.amdhsa_float_denorm_mode_16_64 3
		.amdhsa_dx10_clamp 1
		.amdhsa_ieee_mode 1
		.amdhsa_fp16_overflow 0
		.amdhsa_workgroup_processor_mode 1
		.amdhsa_memory_ordered 1
		.amdhsa_forward_progress 0
		.amdhsa_shared_vgpr_count 0
		.amdhsa_exception_fp_ieee_invalid_op 0
		.amdhsa_exception_fp_denorm_src 0
		.amdhsa_exception_fp_ieee_div_zero 0
		.amdhsa_exception_fp_ieee_overflow 0
		.amdhsa_exception_fp_ieee_underflow 0
		.amdhsa_exception_fp_ieee_inexact 0
		.amdhsa_exception_int_div_zero 0
	.end_amdhsa_kernel
	.section	.text._ZN7rocprim17ROCPRIM_400000_NS6detail17trampoline_kernelINS0_13select_configILj256ELj13ELNS0_17block_load_methodE3ELS4_3ELS4_3ELNS0_20block_scan_algorithmE0ELj4294967295EEENS1_25partition_config_selectorILNS1_17partition_subalgoE4EjNS0_10empty_typeEbEEZZNS1_14partition_implILS8_4ELb0ES6_15HIP_vector_typeIjLj2EENS0_17counting_iteratorIjlEEPS9_SG_NS0_5tupleIJPjSI_NS0_16reverse_iteratorISI_EEEEENSH_IJSG_SG_SG_EEES9_SI_JZNS1_25segmented_radix_sort_implINS0_14default_configELb1EPKlPlSQ_SR_N2at6native12_GLOBAL__N_18offset_tEEE10hipError_tPvRmT1_PNSt15iterator_traitsISZ_E10value_typeET2_T3_PNS10_IS15_E10value_typeET4_jRbjT5_S1B_jjP12ihipStream_tbEUljE_ZNSN_ISO_Lb1ESQ_SR_SQ_SR_SV_EESW_SX_SY_SZ_S13_S14_S15_S18_S19_jS1A_jS1B_S1B_jjS1D_bEUljE0_EEESW_SX_SY_S15_S19_S1B_T6_T7_T9_mT8_S1D_bDpT10_ENKUlT_T0_E_clISt17integral_constantIbLb1EES1Q_IbLb0EEEEDaS1M_S1N_EUlS1M_E_NS1_11comp_targetILNS1_3genE2ELNS1_11target_archE906ELNS1_3gpuE6ELNS1_3repE0EEENS1_30default_config_static_selectorELNS0_4arch9wavefront6targetE0EEEvSZ_,"axG",@progbits,_ZN7rocprim17ROCPRIM_400000_NS6detail17trampoline_kernelINS0_13select_configILj256ELj13ELNS0_17block_load_methodE3ELS4_3ELS4_3ELNS0_20block_scan_algorithmE0ELj4294967295EEENS1_25partition_config_selectorILNS1_17partition_subalgoE4EjNS0_10empty_typeEbEEZZNS1_14partition_implILS8_4ELb0ES6_15HIP_vector_typeIjLj2EENS0_17counting_iteratorIjlEEPS9_SG_NS0_5tupleIJPjSI_NS0_16reverse_iteratorISI_EEEEENSH_IJSG_SG_SG_EEES9_SI_JZNS1_25segmented_radix_sort_implINS0_14default_configELb1EPKlPlSQ_SR_N2at6native12_GLOBAL__N_18offset_tEEE10hipError_tPvRmT1_PNSt15iterator_traitsISZ_E10value_typeET2_T3_PNS10_IS15_E10value_typeET4_jRbjT5_S1B_jjP12ihipStream_tbEUljE_ZNSN_ISO_Lb1ESQ_SR_SQ_SR_SV_EESW_SX_SY_SZ_S13_S14_S15_S18_S19_jS1A_jS1B_S1B_jjS1D_bEUljE0_EEESW_SX_SY_S15_S19_S1B_T6_T7_T9_mT8_S1D_bDpT10_ENKUlT_T0_E_clISt17integral_constantIbLb1EES1Q_IbLb0EEEEDaS1M_S1N_EUlS1M_E_NS1_11comp_targetILNS1_3genE2ELNS1_11target_archE906ELNS1_3gpuE6ELNS1_3repE0EEENS1_30default_config_static_selectorELNS0_4arch9wavefront6targetE0EEEvSZ_,comdat
.Lfunc_end660:
	.size	_ZN7rocprim17ROCPRIM_400000_NS6detail17trampoline_kernelINS0_13select_configILj256ELj13ELNS0_17block_load_methodE3ELS4_3ELS4_3ELNS0_20block_scan_algorithmE0ELj4294967295EEENS1_25partition_config_selectorILNS1_17partition_subalgoE4EjNS0_10empty_typeEbEEZZNS1_14partition_implILS8_4ELb0ES6_15HIP_vector_typeIjLj2EENS0_17counting_iteratorIjlEEPS9_SG_NS0_5tupleIJPjSI_NS0_16reverse_iteratorISI_EEEEENSH_IJSG_SG_SG_EEES9_SI_JZNS1_25segmented_radix_sort_implINS0_14default_configELb1EPKlPlSQ_SR_N2at6native12_GLOBAL__N_18offset_tEEE10hipError_tPvRmT1_PNSt15iterator_traitsISZ_E10value_typeET2_T3_PNS10_IS15_E10value_typeET4_jRbjT5_S1B_jjP12ihipStream_tbEUljE_ZNSN_ISO_Lb1ESQ_SR_SQ_SR_SV_EESW_SX_SY_SZ_S13_S14_S15_S18_S19_jS1A_jS1B_S1B_jjS1D_bEUljE0_EEESW_SX_SY_S15_S19_S1B_T6_T7_T9_mT8_S1D_bDpT10_ENKUlT_T0_E_clISt17integral_constantIbLb1EES1Q_IbLb0EEEEDaS1M_S1N_EUlS1M_E_NS1_11comp_targetILNS1_3genE2ELNS1_11target_archE906ELNS1_3gpuE6ELNS1_3repE0EEENS1_30default_config_static_selectorELNS0_4arch9wavefront6targetE0EEEvSZ_, .Lfunc_end660-_ZN7rocprim17ROCPRIM_400000_NS6detail17trampoline_kernelINS0_13select_configILj256ELj13ELNS0_17block_load_methodE3ELS4_3ELS4_3ELNS0_20block_scan_algorithmE0ELj4294967295EEENS1_25partition_config_selectorILNS1_17partition_subalgoE4EjNS0_10empty_typeEbEEZZNS1_14partition_implILS8_4ELb0ES6_15HIP_vector_typeIjLj2EENS0_17counting_iteratorIjlEEPS9_SG_NS0_5tupleIJPjSI_NS0_16reverse_iteratorISI_EEEEENSH_IJSG_SG_SG_EEES9_SI_JZNS1_25segmented_radix_sort_implINS0_14default_configELb1EPKlPlSQ_SR_N2at6native12_GLOBAL__N_18offset_tEEE10hipError_tPvRmT1_PNSt15iterator_traitsISZ_E10value_typeET2_T3_PNS10_IS15_E10value_typeET4_jRbjT5_S1B_jjP12ihipStream_tbEUljE_ZNSN_ISO_Lb1ESQ_SR_SQ_SR_SV_EESW_SX_SY_SZ_S13_S14_S15_S18_S19_jS1A_jS1B_S1B_jjS1D_bEUljE0_EEESW_SX_SY_S15_S19_S1B_T6_T7_T9_mT8_S1D_bDpT10_ENKUlT_T0_E_clISt17integral_constantIbLb1EES1Q_IbLb0EEEEDaS1M_S1N_EUlS1M_E_NS1_11comp_targetILNS1_3genE2ELNS1_11target_archE906ELNS1_3gpuE6ELNS1_3repE0EEENS1_30default_config_static_selectorELNS0_4arch9wavefront6targetE0EEEvSZ_
                                        ; -- End function
	.section	.AMDGPU.csdata,"",@progbits
; Kernel info:
; codeLenInByte = 0
; NumSgprs: 0
; NumVgprs: 0
; ScratchSize: 0
; MemoryBound: 0
; FloatMode: 240
; IeeeMode: 1
; LDSByteSize: 0 bytes/workgroup (compile time only)
; SGPRBlocks: 0
; VGPRBlocks: 0
; NumSGPRsForWavesPerEU: 1
; NumVGPRsForWavesPerEU: 1
; Occupancy: 16
; WaveLimiterHint : 0
; COMPUTE_PGM_RSRC2:SCRATCH_EN: 0
; COMPUTE_PGM_RSRC2:USER_SGPR: 15
; COMPUTE_PGM_RSRC2:TRAP_HANDLER: 0
; COMPUTE_PGM_RSRC2:TGID_X_EN: 1
; COMPUTE_PGM_RSRC2:TGID_Y_EN: 0
; COMPUTE_PGM_RSRC2:TGID_Z_EN: 0
; COMPUTE_PGM_RSRC2:TIDIG_COMP_CNT: 0
	.section	.text._ZN7rocprim17ROCPRIM_400000_NS6detail17trampoline_kernelINS0_13select_configILj256ELj13ELNS0_17block_load_methodE3ELS4_3ELS4_3ELNS0_20block_scan_algorithmE0ELj4294967295EEENS1_25partition_config_selectorILNS1_17partition_subalgoE4EjNS0_10empty_typeEbEEZZNS1_14partition_implILS8_4ELb0ES6_15HIP_vector_typeIjLj2EENS0_17counting_iteratorIjlEEPS9_SG_NS0_5tupleIJPjSI_NS0_16reverse_iteratorISI_EEEEENSH_IJSG_SG_SG_EEES9_SI_JZNS1_25segmented_radix_sort_implINS0_14default_configELb1EPKlPlSQ_SR_N2at6native12_GLOBAL__N_18offset_tEEE10hipError_tPvRmT1_PNSt15iterator_traitsISZ_E10value_typeET2_T3_PNS10_IS15_E10value_typeET4_jRbjT5_S1B_jjP12ihipStream_tbEUljE_ZNSN_ISO_Lb1ESQ_SR_SQ_SR_SV_EESW_SX_SY_SZ_S13_S14_S15_S18_S19_jS1A_jS1B_S1B_jjS1D_bEUljE0_EEESW_SX_SY_S15_S19_S1B_T6_T7_T9_mT8_S1D_bDpT10_ENKUlT_T0_E_clISt17integral_constantIbLb1EES1Q_IbLb0EEEEDaS1M_S1N_EUlS1M_E_NS1_11comp_targetILNS1_3genE10ELNS1_11target_archE1200ELNS1_3gpuE4ELNS1_3repE0EEENS1_30default_config_static_selectorELNS0_4arch9wavefront6targetE0EEEvSZ_,"axG",@progbits,_ZN7rocprim17ROCPRIM_400000_NS6detail17trampoline_kernelINS0_13select_configILj256ELj13ELNS0_17block_load_methodE3ELS4_3ELS4_3ELNS0_20block_scan_algorithmE0ELj4294967295EEENS1_25partition_config_selectorILNS1_17partition_subalgoE4EjNS0_10empty_typeEbEEZZNS1_14partition_implILS8_4ELb0ES6_15HIP_vector_typeIjLj2EENS0_17counting_iteratorIjlEEPS9_SG_NS0_5tupleIJPjSI_NS0_16reverse_iteratorISI_EEEEENSH_IJSG_SG_SG_EEES9_SI_JZNS1_25segmented_radix_sort_implINS0_14default_configELb1EPKlPlSQ_SR_N2at6native12_GLOBAL__N_18offset_tEEE10hipError_tPvRmT1_PNSt15iterator_traitsISZ_E10value_typeET2_T3_PNS10_IS15_E10value_typeET4_jRbjT5_S1B_jjP12ihipStream_tbEUljE_ZNSN_ISO_Lb1ESQ_SR_SQ_SR_SV_EESW_SX_SY_SZ_S13_S14_S15_S18_S19_jS1A_jS1B_S1B_jjS1D_bEUljE0_EEESW_SX_SY_S15_S19_S1B_T6_T7_T9_mT8_S1D_bDpT10_ENKUlT_T0_E_clISt17integral_constantIbLb1EES1Q_IbLb0EEEEDaS1M_S1N_EUlS1M_E_NS1_11comp_targetILNS1_3genE10ELNS1_11target_archE1200ELNS1_3gpuE4ELNS1_3repE0EEENS1_30default_config_static_selectorELNS0_4arch9wavefront6targetE0EEEvSZ_,comdat
	.globl	_ZN7rocprim17ROCPRIM_400000_NS6detail17trampoline_kernelINS0_13select_configILj256ELj13ELNS0_17block_load_methodE3ELS4_3ELS4_3ELNS0_20block_scan_algorithmE0ELj4294967295EEENS1_25partition_config_selectorILNS1_17partition_subalgoE4EjNS0_10empty_typeEbEEZZNS1_14partition_implILS8_4ELb0ES6_15HIP_vector_typeIjLj2EENS0_17counting_iteratorIjlEEPS9_SG_NS0_5tupleIJPjSI_NS0_16reverse_iteratorISI_EEEEENSH_IJSG_SG_SG_EEES9_SI_JZNS1_25segmented_radix_sort_implINS0_14default_configELb1EPKlPlSQ_SR_N2at6native12_GLOBAL__N_18offset_tEEE10hipError_tPvRmT1_PNSt15iterator_traitsISZ_E10value_typeET2_T3_PNS10_IS15_E10value_typeET4_jRbjT5_S1B_jjP12ihipStream_tbEUljE_ZNSN_ISO_Lb1ESQ_SR_SQ_SR_SV_EESW_SX_SY_SZ_S13_S14_S15_S18_S19_jS1A_jS1B_S1B_jjS1D_bEUljE0_EEESW_SX_SY_S15_S19_S1B_T6_T7_T9_mT8_S1D_bDpT10_ENKUlT_T0_E_clISt17integral_constantIbLb1EES1Q_IbLb0EEEEDaS1M_S1N_EUlS1M_E_NS1_11comp_targetILNS1_3genE10ELNS1_11target_archE1200ELNS1_3gpuE4ELNS1_3repE0EEENS1_30default_config_static_selectorELNS0_4arch9wavefront6targetE0EEEvSZ_ ; -- Begin function _ZN7rocprim17ROCPRIM_400000_NS6detail17trampoline_kernelINS0_13select_configILj256ELj13ELNS0_17block_load_methodE3ELS4_3ELS4_3ELNS0_20block_scan_algorithmE0ELj4294967295EEENS1_25partition_config_selectorILNS1_17partition_subalgoE4EjNS0_10empty_typeEbEEZZNS1_14partition_implILS8_4ELb0ES6_15HIP_vector_typeIjLj2EENS0_17counting_iteratorIjlEEPS9_SG_NS0_5tupleIJPjSI_NS0_16reverse_iteratorISI_EEEEENSH_IJSG_SG_SG_EEES9_SI_JZNS1_25segmented_radix_sort_implINS0_14default_configELb1EPKlPlSQ_SR_N2at6native12_GLOBAL__N_18offset_tEEE10hipError_tPvRmT1_PNSt15iterator_traitsISZ_E10value_typeET2_T3_PNS10_IS15_E10value_typeET4_jRbjT5_S1B_jjP12ihipStream_tbEUljE_ZNSN_ISO_Lb1ESQ_SR_SQ_SR_SV_EESW_SX_SY_SZ_S13_S14_S15_S18_S19_jS1A_jS1B_S1B_jjS1D_bEUljE0_EEESW_SX_SY_S15_S19_S1B_T6_T7_T9_mT8_S1D_bDpT10_ENKUlT_T0_E_clISt17integral_constantIbLb1EES1Q_IbLb0EEEEDaS1M_S1N_EUlS1M_E_NS1_11comp_targetILNS1_3genE10ELNS1_11target_archE1200ELNS1_3gpuE4ELNS1_3repE0EEENS1_30default_config_static_selectorELNS0_4arch9wavefront6targetE0EEEvSZ_
	.p2align	8
	.type	_ZN7rocprim17ROCPRIM_400000_NS6detail17trampoline_kernelINS0_13select_configILj256ELj13ELNS0_17block_load_methodE3ELS4_3ELS4_3ELNS0_20block_scan_algorithmE0ELj4294967295EEENS1_25partition_config_selectorILNS1_17partition_subalgoE4EjNS0_10empty_typeEbEEZZNS1_14partition_implILS8_4ELb0ES6_15HIP_vector_typeIjLj2EENS0_17counting_iteratorIjlEEPS9_SG_NS0_5tupleIJPjSI_NS0_16reverse_iteratorISI_EEEEENSH_IJSG_SG_SG_EEES9_SI_JZNS1_25segmented_radix_sort_implINS0_14default_configELb1EPKlPlSQ_SR_N2at6native12_GLOBAL__N_18offset_tEEE10hipError_tPvRmT1_PNSt15iterator_traitsISZ_E10value_typeET2_T3_PNS10_IS15_E10value_typeET4_jRbjT5_S1B_jjP12ihipStream_tbEUljE_ZNSN_ISO_Lb1ESQ_SR_SQ_SR_SV_EESW_SX_SY_SZ_S13_S14_S15_S18_S19_jS1A_jS1B_S1B_jjS1D_bEUljE0_EEESW_SX_SY_S15_S19_S1B_T6_T7_T9_mT8_S1D_bDpT10_ENKUlT_T0_E_clISt17integral_constantIbLb1EES1Q_IbLb0EEEEDaS1M_S1N_EUlS1M_E_NS1_11comp_targetILNS1_3genE10ELNS1_11target_archE1200ELNS1_3gpuE4ELNS1_3repE0EEENS1_30default_config_static_selectorELNS0_4arch9wavefront6targetE0EEEvSZ_,@function
_ZN7rocprim17ROCPRIM_400000_NS6detail17trampoline_kernelINS0_13select_configILj256ELj13ELNS0_17block_load_methodE3ELS4_3ELS4_3ELNS0_20block_scan_algorithmE0ELj4294967295EEENS1_25partition_config_selectorILNS1_17partition_subalgoE4EjNS0_10empty_typeEbEEZZNS1_14partition_implILS8_4ELb0ES6_15HIP_vector_typeIjLj2EENS0_17counting_iteratorIjlEEPS9_SG_NS0_5tupleIJPjSI_NS0_16reverse_iteratorISI_EEEEENSH_IJSG_SG_SG_EEES9_SI_JZNS1_25segmented_radix_sort_implINS0_14default_configELb1EPKlPlSQ_SR_N2at6native12_GLOBAL__N_18offset_tEEE10hipError_tPvRmT1_PNSt15iterator_traitsISZ_E10value_typeET2_T3_PNS10_IS15_E10value_typeET4_jRbjT5_S1B_jjP12ihipStream_tbEUljE_ZNSN_ISO_Lb1ESQ_SR_SQ_SR_SV_EESW_SX_SY_SZ_S13_S14_S15_S18_S19_jS1A_jS1B_S1B_jjS1D_bEUljE0_EEESW_SX_SY_S15_S19_S1B_T6_T7_T9_mT8_S1D_bDpT10_ENKUlT_T0_E_clISt17integral_constantIbLb1EES1Q_IbLb0EEEEDaS1M_S1N_EUlS1M_E_NS1_11comp_targetILNS1_3genE10ELNS1_11target_archE1200ELNS1_3gpuE4ELNS1_3repE0EEENS1_30default_config_static_selectorELNS0_4arch9wavefront6targetE0EEEvSZ_: ; @_ZN7rocprim17ROCPRIM_400000_NS6detail17trampoline_kernelINS0_13select_configILj256ELj13ELNS0_17block_load_methodE3ELS4_3ELS4_3ELNS0_20block_scan_algorithmE0ELj4294967295EEENS1_25partition_config_selectorILNS1_17partition_subalgoE4EjNS0_10empty_typeEbEEZZNS1_14partition_implILS8_4ELb0ES6_15HIP_vector_typeIjLj2EENS0_17counting_iteratorIjlEEPS9_SG_NS0_5tupleIJPjSI_NS0_16reverse_iteratorISI_EEEEENSH_IJSG_SG_SG_EEES9_SI_JZNS1_25segmented_radix_sort_implINS0_14default_configELb1EPKlPlSQ_SR_N2at6native12_GLOBAL__N_18offset_tEEE10hipError_tPvRmT1_PNSt15iterator_traitsISZ_E10value_typeET2_T3_PNS10_IS15_E10value_typeET4_jRbjT5_S1B_jjP12ihipStream_tbEUljE_ZNSN_ISO_Lb1ESQ_SR_SQ_SR_SV_EESW_SX_SY_SZ_S13_S14_S15_S18_S19_jS1A_jS1B_S1B_jjS1D_bEUljE0_EEESW_SX_SY_S15_S19_S1B_T6_T7_T9_mT8_S1D_bDpT10_ENKUlT_T0_E_clISt17integral_constantIbLb1EES1Q_IbLb0EEEEDaS1M_S1N_EUlS1M_E_NS1_11comp_targetILNS1_3genE10ELNS1_11target_archE1200ELNS1_3gpuE4ELNS1_3repE0EEENS1_30default_config_static_selectorELNS0_4arch9wavefront6targetE0EEEvSZ_
; %bb.0:
	.section	.rodata,"a",@progbits
	.p2align	6, 0x0
	.amdhsa_kernel _ZN7rocprim17ROCPRIM_400000_NS6detail17trampoline_kernelINS0_13select_configILj256ELj13ELNS0_17block_load_methodE3ELS4_3ELS4_3ELNS0_20block_scan_algorithmE0ELj4294967295EEENS1_25partition_config_selectorILNS1_17partition_subalgoE4EjNS0_10empty_typeEbEEZZNS1_14partition_implILS8_4ELb0ES6_15HIP_vector_typeIjLj2EENS0_17counting_iteratorIjlEEPS9_SG_NS0_5tupleIJPjSI_NS0_16reverse_iteratorISI_EEEEENSH_IJSG_SG_SG_EEES9_SI_JZNS1_25segmented_radix_sort_implINS0_14default_configELb1EPKlPlSQ_SR_N2at6native12_GLOBAL__N_18offset_tEEE10hipError_tPvRmT1_PNSt15iterator_traitsISZ_E10value_typeET2_T3_PNS10_IS15_E10value_typeET4_jRbjT5_S1B_jjP12ihipStream_tbEUljE_ZNSN_ISO_Lb1ESQ_SR_SQ_SR_SV_EESW_SX_SY_SZ_S13_S14_S15_S18_S19_jS1A_jS1B_S1B_jjS1D_bEUljE0_EEESW_SX_SY_S15_S19_S1B_T6_T7_T9_mT8_S1D_bDpT10_ENKUlT_T0_E_clISt17integral_constantIbLb1EES1Q_IbLb0EEEEDaS1M_S1N_EUlS1M_E_NS1_11comp_targetILNS1_3genE10ELNS1_11target_archE1200ELNS1_3gpuE4ELNS1_3repE0EEENS1_30default_config_static_selectorELNS0_4arch9wavefront6targetE0EEEvSZ_
		.amdhsa_group_segment_fixed_size 0
		.amdhsa_private_segment_fixed_size 0
		.amdhsa_kernarg_size 176
		.amdhsa_user_sgpr_count 15
		.amdhsa_user_sgpr_dispatch_ptr 0
		.amdhsa_user_sgpr_queue_ptr 0
		.amdhsa_user_sgpr_kernarg_segment_ptr 1
		.amdhsa_user_sgpr_dispatch_id 0
		.amdhsa_user_sgpr_private_segment_size 0
		.amdhsa_wavefront_size32 1
		.amdhsa_uses_dynamic_stack 0
		.amdhsa_enable_private_segment 0
		.amdhsa_system_sgpr_workgroup_id_x 1
		.amdhsa_system_sgpr_workgroup_id_y 0
		.amdhsa_system_sgpr_workgroup_id_z 0
		.amdhsa_system_sgpr_workgroup_info 0
		.amdhsa_system_vgpr_workitem_id 0
		.amdhsa_next_free_vgpr 1
		.amdhsa_next_free_sgpr 1
		.amdhsa_reserve_vcc 0
		.amdhsa_float_round_mode_32 0
		.amdhsa_float_round_mode_16_64 0
		.amdhsa_float_denorm_mode_32 3
		.amdhsa_float_denorm_mode_16_64 3
		.amdhsa_dx10_clamp 1
		.amdhsa_ieee_mode 1
		.amdhsa_fp16_overflow 0
		.amdhsa_workgroup_processor_mode 1
		.amdhsa_memory_ordered 1
		.amdhsa_forward_progress 0
		.amdhsa_shared_vgpr_count 0
		.amdhsa_exception_fp_ieee_invalid_op 0
		.amdhsa_exception_fp_denorm_src 0
		.amdhsa_exception_fp_ieee_div_zero 0
		.amdhsa_exception_fp_ieee_overflow 0
		.amdhsa_exception_fp_ieee_underflow 0
		.amdhsa_exception_fp_ieee_inexact 0
		.amdhsa_exception_int_div_zero 0
	.end_amdhsa_kernel
	.section	.text._ZN7rocprim17ROCPRIM_400000_NS6detail17trampoline_kernelINS0_13select_configILj256ELj13ELNS0_17block_load_methodE3ELS4_3ELS4_3ELNS0_20block_scan_algorithmE0ELj4294967295EEENS1_25partition_config_selectorILNS1_17partition_subalgoE4EjNS0_10empty_typeEbEEZZNS1_14partition_implILS8_4ELb0ES6_15HIP_vector_typeIjLj2EENS0_17counting_iteratorIjlEEPS9_SG_NS0_5tupleIJPjSI_NS0_16reverse_iteratorISI_EEEEENSH_IJSG_SG_SG_EEES9_SI_JZNS1_25segmented_radix_sort_implINS0_14default_configELb1EPKlPlSQ_SR_N2at6native12_GLOBAL__N_18offset_tEEE10hipError_tPvRmT1_PNSt15iterator_traitsISZ_E10value_typeET2_T3_PNS10_IS15_E10value_typeET4_jRbjT5_S1B_jjP12ihipStream_tbEUljE_ZNSN_ISO_Lb1ESQ_SR_SQ_SR_SV_EESW_SX_SY_SZ_S13_S14_S15_S18_S19_jS1A_jS1B_S1B_jjS1D_bEUljE0_EEESW_SX_SY_S15_S19_S1B_T6_T7_T9_mT8_S1D_bDpT10_ENKUlT_T0_E_clISt17integral_constantIbLb1EES1Q_IbLb0EEEEDaS1M_S1N_EUlS1M_E_NS1_11comp_targetILNS1_3genE10ELNS1_11target_archE1200ELNS1_3gpuE4ELNS1_3repE0EEENS1_30default_config_static_selectorELNS0_4arch9wavefront6targetE0EEEvSZ_,"axG",@progbits,_ZN7rocprim17ROCPRIM_400000_NS6detail17trampoline_kernelINS0_13select_configILj256ELj13ELNS0_17block_load_methodE3ELS4_3ELS4_3ELNS0_20block_scan_algorithmE0ELj4294967295EEENS1_25partition_config_selectorILNS1_17partition_subalgoE4EjNS0_10empty_typeEbEEZZNS1_14partition_implILS8_4ELb0ES6_15HIP_vector_typeIjLj2EENS0_17counting_iteratorIjlEEPS9_SG_NS0_5tupleIJPjSI_NS0_16reverse_iteratorISI_EEEEENSH_IJSG_SG_SG_EEES9_SI_JZNS1_25segmented_radix_sort_implINS0_14default_configELb1EPKlPlSQ_SR_N2at6native12_GLOBAL__N_18offset_tEEE10hipError_tPvRmT1_PNSt15iterator_traitsISZ_E10value_typeET2_T3_PNS10_IS15_E10value_typeET4_jRbjT5_S1B_jjP12ihipStream_tbEUljE_ZNSN_ISO_Lb1ESQ_SR_SQ_SR_SV_EESW_SX_SY_SZ_S13_S14_S15_S18_S19_jS1A_jS1B_S1B_jjS1D_bEUljE0_EEESW_SX_SY_S15_S19_S1B_T6_T7_T9_mT8_S1D_bDpT10_ENKUlT_T0_E_clISt17integral_constantIbLb1EES1Q_IbLb0EEEEDaS1M_S1N_EUlS1M_E_NS1_11comp_targetILNS1_3genE10ELNS1_11target_archE1200ELNS1_3gpuE4ELNS1_3repE0EEENS1_30default_config_static_selectorELNS0_4arch9wavefront6targetE0EEEvSZ_,comdat
.Lfunc_end661:
	.size	_ZN7rocprim17ROCPRIM_400000_NS6detail17trampoline_kernelINS0_13select_configILj256ELj13ELNS0_17block_load_methodE3ELS4_3ELS4_3ELNS0_20block_scan_algorithmE0ELj4294967295EEENS1_25partition_config_selectorILNS1_17partition_subalgoE4EjNS0_10empty_typeEbEEZZNS1_14partition_implILS8_4ELb0ES6_15HIP_vector_typeIjLj2EENS0_17counting_iteratorIjlEEPS9_SG_NS0_5tupleIJPjSI_NS0_16reverse_iteratorISI_EEEEENSH_IJSG_SG_SG_EEES9_SI_JZNS1_25segmented_radix_sort_implINS0_14default_configELb1EPKlPlSQ_SR_N2at6native12_GLOBAL__N_18offset_tEEE10hipError_tPvRmT1_PNSt15iterator_traitsISZ_E10value_typeET2_T3_PNS10_IS15_E10value_typeET4_jRbjT5_S1B_jjP12ihipStream_tbEUljE_ZNSN_ISO_Lb1ESQ_SR_SQ_SR_SV_EESW_SX_SY_SZ_S13_S14_S15_S18_S19_jS1A_jS1B_S1B_jjS1D_bEUljE0_EEESW_SX_SY_S15_S19_S1B_T6_T7_T9_mT8_S1D_bDpT10_ENKUlT_T0_E_clISt17integral_constantIbLb1EES1Q_IbLb0EEEEDaS1M_S1N_EUlS1M_E_NS1_11comp_targetILNS1_3genE10ELNS1_11target_archE1200ELNS1_3gpuE4ELNS1_3repE0EEENS1_30default_config_static_selectorELNS0_4arch9wavefront6targetE0EEEvSZ_, .Lfunc_end661-_ZN7rocprim17ROCPRIM_400000_NS6detail17trampoline_kernelINS0_13select_configILj256ELj13ELNS0_17block_load_methodE3ELS4_3ELS4_3ELNS0_20block_scan_algorithmE0ELj4294967295EEENS1_25partition_config_selectorILNS1_17partition_subalgoE4EjNS0_10empty_typeEbEEZZNS1_14partition_implILS8_4ELb0ES6_15HIP_vector_typeIjLj2EENS0_17counting_iteratorIjlEEPS9_SG_NS0_5tupleIJPjSI_NS0_16reverse_iteratorISI_EEEEENSH_IJSG_SG_SG_EEES9_SI_JZNS1_25segmented_radix_sort_implINS0_14default_configELb1EPKlPlSQ_SR_N2at6native12_GLOBAL__N_18offset_tEEE10hipError_tPvRmT1_PNSt15iterator_traitsISZ_E10value_typeET2_T3_PNS10_IS15_E10value_typeET4_jRbjT5_S1B_jjP12ihipStream_tbEUljE_ZNSN_ISO_Lb1ESQ_SR_SQ_SR_SV_EESW_SX_SY_SZ_S13_S14_S15_S18_S19_jS1A_jS1B_S1B_jjS1D_bEUljE0_EEESW_SX_SY_S15_S19_S1B_T6_T7_T9_mT8_S1D_bDpT10_ENKUlT_T0_E_clISt17integral_constantIbLb1EES1Q_IbLb0EEEEDaS1M_S1N_EUlS1M_E_NS1_11comp_targetILNS1_3genE10ELNS1_11target_archE1200ELNS1_3gpuE4ELNS1_3repE0EEENS1_30default_config_static_selectorELNS0_4arch9wavefront6targetE0EEEvSZ_
                                        ; -- End function
	.section	.AMDGPU.csdata,"",@progbits
; Kernel info:
; codeLenInByte = 0
; NumSgprs: 0
; NumVgprs: 0
; ScratchSize: 0
; MemoryBound: 0
; FloatMode: 240
; IeeeMode: 1
; LDSByteSize: 0 bytes/workgroup (compile time only)
; SGPRBlocks: 0
; VGPRBlocks: 0
; NumSGPRsForWavesPerEU: 1
; NumVGPRsForWavesPerEU: 1
; Occupancy: 16
; WaveLimiterHint : 0
; COMPUTE_PGM_RSRC2:SCRATCH_EN: 0
; COMPUTE_PGM_RSRC2:USER_SGPR: 15
; COMPUTE_PGM_RSRC2:TRAP_HANDLER: 0
; COMPUTE_PGM_RSRC2:TGID_X_EN: 1
; COMPUTE_PGM_RSRC2:TGID_Y_EN: 0
; COMPUTE_PGM_RSRC2:TGID_Z_EN: 0
; COMPUTE_PGM_RSRC2:TIDIG_COMP_CNT: 0
	.section	.text._ZN7rocprim17ROCPRIM_400000_NS6detail17trampoline_kernelINS0_13select_configILj256ELj13ELNS0_17block_load_methodE3ELS4_3ELS4_3ELNS0_20block_scan_algorithmE0ELj4294967295EEENS1_25partition_config_selectorILNS1_17partition_subalgoE4EjNS0_10empty_typeEbEEZZNS1_14partition_implILS8_4ELb0ES6_15HIP_vector_typeIjLj2EENS0_17counting_iteratorIjlEEPS9_SG_NS0_5tupleIJPjSI_NS0_16reverse_iteratorISI_EEEEENSH_IJSG_SG_SG_EEES9_SI_JZNS1_25segmented_radix_sort_implINS0_14default_configELb1EPKlPlSQ_SR_N2at6native12_GLOBAL__N_18offset_tEEE10hipError_tPvRmT1_PNSt15iterator_traitsISZ_E10value_typeET2_T3_PNS10_IS15_E10value_typeET4_jRbjT5_S1B_jjP12ihipStream_tbEUljE_ZNSN_ISO_Lb1ESQ_SR_SQ_SR_SV_EESW_SX_SY_SZ_S13_S14_S15_S18_S19_jS1A_jS1B_S1B_jjS1D_bEUljE0_EEESW_SX_SY_S15_S19_S1B_T6_T7_T9_mT8_S1D_bDpT10_ENKUlT_T0_E_clISt17integral_constantIbLb1EES1Q_IbLb0EEEEDaS1M_S1N_EUlS1M_E_NS1_11comp_targetILNS1_3genE9ELNS1_11target_archE1100ELNS1_3gpuE3ELNS1_3repE0EEENS1_30default_config_static_selectorELNS0_4arch9wavefront6targetE0EEEvSZ_,"axG",@progbits,_ZN7rocprim17ROCPRIM_400000_NS6detail17trampoline_kernelINS0_13select_configILj256ELj13ELNS0_17block_load_methodE3ELS4_3ELS4_3ELNS0_20block_scan_algorithmE0ELj4294967295EEENS1_25partition_config_selectorILNS1_17partition_subalgoE4EjNS0_10empty_typeEbEEZZNS1_14partition_implILS8_4ELb0ES6_15HIP_vector_typeIjLj2EENS0_17counting_iteratorIjlEEPS9_SG_NS0_5tupleIJPjSI_NS0_16reverse_iteratorISI_EEEEENSH_IJSG_SG_SG_EEES9_SI_JZNS1_25segmented_radix_sort_implINS0_14default_configELb1EPKlPlSQ_SR_N2at6native12_GLOBAL__N_18offset_tEEE10hipError_tPvRmT1_PNSt15iterator_traitsISZ_E10value_typeET2_T3_PNS10_IS15_E10value_typeET4_jRbjT5_S1B_jjP12ihipStream_tbEUljE_ZNSN_ISO_Lb1ESQ_SR_SQ_SR_SV_EESW_SX_SY_SZ_S13_S14_S15_S18_S19_jS1A_jS1B_S1B_jjS1D_bEUljE0_EEESW_SX_SY_S15_S19_S1B_T6_T7_T9_mT8_S1D_bDpT10_ENKUlT_T0_E_clISt17integral_constantIbLb1EES1Q_IbLb0EEEEDaS1M_S1N_EUlS1M_E_NS1_11comp_targetILNS1_3genE9ELNS1_11target_archE1100ELNS1_3gpuE3ELNS1_3repE0EEENS1_30default_config_static_selectorELNS0_4arch9wavefront6targetE0EEEvSZ_,comdat
	.globl	_ZN7rocprim17ROCPRIM_400000_NS6detail17trampoline_kernelINS0_13select_configILj256ELj13ELNS0_17block_load_methodE3ELS4_3ELS4_3ELNS0_20block_scan_algorithmE0ELj4294967295EEENS1_25partition_config_selectorILNS1_17partition_subalgoE4EjNS0_10empty_typeEbEEZZNS1_14partition_implILS8_4ELb0ES6_15HIP_vector_typeIjLj2EENS0_17counting_iteratorIjlEEPS9_SG_NS0_5tupleIJPjSI_NS0_16reverse_iteratorISI_EEEEENSH_IJSG_SG_SG_EEES9_SI_JZNS1_25segmented_radix_sort_implINS0_14default_configELb1EPKlPlSQ_SR_N2at6native12_GLOBAL__N_18offset_tEEE10hipError_tPvRmT1_PNSt15iterator_traitsISZ_E10value_typeET2_T3_PNS10_IS15_E10value_typeET4_jRbjT5_S1B_jjP12ihipStream_tbEUljE_ZNSN_ISO_Lb1ESQ_SR_SQ_SR_SV_EESW_SX_SY_SZ_S13_S14_S15_S18_S19_jS1A_jS1B_S1B_jjS1D_bEUljE0_EEESW_SX_SY_S15_S19_S1B_T6_T7_T9_mT8_S1D_bDpT10_ENKUlT_T0_E_clISt17integral_constantIbLb1EES1Q_IbLb0EEEEDaS1M_S1N_EUlS1M_E_NS1_11comp_targetILNS1_3genE9ELNS1_11target_archE1100ELNS1_3gpuE3ELNS1_3repE0EEENS1_30default_config_static_selectorELNS0_4arch9wavefront6targetE0EEEvSZ_ ; -- Begin function _ZN7rocprim17ROCPRIM_400000_NS6detail17trampoline_kernelINS0_13select_configILj256ELj13ELNS0_17block_load_methodE3ELS4_3ELS4_3ELNS0_20block_scan_algorithmE0ELj4294967295EEENS1_25partition_config_selectorILNS1_17partition_subalgoE4EjNS0_10empty_typeEbEEZZNS1_14partition_implILS8_4ELb0ES6_15HIP_vector_typeIjLj2EENS0_17counting_iteratorIjlEEPS9_SG_NS0_5tupleIJPjSI_NS0_16reverse_iteratorISI_EEEEENSH_IJSG_SG_SG_EEES9_SI_JZNS1_25segmented_radix_sort_implINS0_14default_configELb1EPKlPlSQ_SR_N2at6native12_GLOBAL__N_18offset_tEEE10hipError_tPvRmT1_PNSt15iterator_traitsISZ_E10value_typeET2_T3_PNS10_IS15_E10value_typeET4_jRbjT5_S1B_jjP12ihipStream_tbEUljE_ZNSN_ISO_Lb1ESQ_SR_SQ_SR_SV_EESW_SX_SY_SZ_S13_S14_S15_S18_S19_jS1A_jS1B_S1B_jjS1D_bEUljE0_EEESW_SX_SY_S15_S19_S1B_T6_T7_T9_mT8_S1D_bDpT10_ENKUlT_T0_E_clISt17integral_constantIbLb1EES1Q_IbLb0EEEEDaS1M_S1N_EUlS1M_E_NS1_11comp_targetILNS1_3genE9ELNS1_11target_archE1100ELNS1_3gpuE3ELNS1_3repE0EEENS1_30default_config_static_selectorELNS0_4arch9wavefront6targetE0EEEvSZ_
	.p2align	8
	.type	_ZN7rocprim17ROCPRIM_400000_NS6detail17trampoline_kernelINS0_13select_configILj256ELj13ELNS0_17block_load_methodE3ELS4_3ELS4_3ELNS0_20block_scan_algorithmE0ELj4294967295EEENS1_25partition_config_selectorILNS1_17partition_subalgoE4EjNS0_10empty_typeEbEEZZNS1_14partition_implILS8_4ELb0ES6_15HIP_vector_typeIjLj2EENS0_17counting_iteratorIjlEEPS9_SG_NS0_5tupleIJPjSI_NS0_16reverse_iteratorISI_EEEEENSH_IJSG_SG_SG_EEES9_SI_JZNS1_25segmented_radix_sort_implINS0_14default_configELb1EPKlPlSQ_SR_N2at6native12_GLOBAL__N_18offset_tEEE10hipError_tPvRmT1_PNSt15iterator_traitsISZ_E10value_typeET2_T3_PNS10_IS15_E10value_typeET4_jRbjT5_S1B_jjP12ihipStream_tbEUljE_ZNSN_ISO_Lb1ESQ_SR_SQ_SR_SV_EESW_SX_SY_SZ_S13_S14_S15_S18_S19_jS1A_jS1B_S1B_jjS1D_bEUljE0_EEESW_SX_SY_S15_S19_S1B_T6_T7_T9_mT8_S1D_bDpT10_ENKUlT_T0_E_clISt17integral_constantIbLb1EES1Q_IbLb0EEEEDaS1M_S1N_EUlS1M_E_NS1_11comp_targetILNS1_3genE9ELNS1_11target_archE1100ELNS1_3gpuE3ELNS1_3repE0EEENS1_30default_config_static_selectorELNS0_4arch9wavefront6targetE0EEEvSZ_,@function
_ZN7rocprim17ROCPRIM_400000_NS6detail17trampoline_kernelINS0_13select_configILj256ELj13ELNS0_17block_load_methodE3ELS4_3ELS4_3ELNS0_20block_scan_algorithmE0ELj4294967295EEENS1_25partition_config_selectorILNS1_17partition_subalgoE4EjNS0_10empty_typeEbEEZZNS1_14partition_implILS8_4ELb0ES6_15HIP_vector_typeIjLj2EENS0_17counting_iteratorIjlEEPS9_SG_NS0_5tupleIJPjSI_NS0_16reverse_iteratorISI_EEEEENSH_IJSG_SG_SG_EEES9_SI_JZNS1_25segmented_radix_sort_implINS0_14default_configELb1EPKlPlSQ_SR_N2at6native12_GLOBAL__N_18offset_tEEE10hipError_tPvRmT1_PNSt15iterator_traitsISZ_E10value_typeET2_T3_PNS10_IS15_E10value_typeET4_jRbjT5_S1B_jjP12ihipStream_tbEUljE_ZNSN_ISO_Lb1ESQ_SR_SQ_SR_SV_EESW_SX_SY_SZ_S13_S14_S15_S18_S19_jS1A_jS1B_S1B_jjS1D_bEUljE0_EEESW_SX_SY_S15_S19_S1B_T6_T7_T9_mT8_S1D_bDpT10_ENKUlT_T0_E_clISt17integral_constantIbLb1EES1Q_IbLb0EEEEDaS1M_S1N_EUlS1M_E_NS1_11comp_targetILNS1_3genE9ELNS1_11target_archE1100ELNS1_3gpuE3ELNS1_3repE0EEENS1_30default_config_static_selectorELNS0_4arch9wavefront6targetE0EEEvSZ_: ; @_ZN7rocprim17ROCPRIM_400000_NS6detail17trampoline_kernelINS0_13select_configILj256ELj13ELNS0_17block_load_methodE3ELS4_3ELS4_3ELNS0_20block_scan_algorithmE0ELj4294967295EEENS1_25partition_config_selectorILNS1_17partition_subalgoE4EjNS0_10empty_typeEbEEZZNS1_14partition_implILS8_4ELb0ES6_15HIP_vector_typeIjLj2EENS0_17counting_iteratorIjlEEPS9_SG_NS0_5tupleIJPjSI_NS0_16reverse_iteratorISI_EEEEENSH_IJSG_SG_SG_EEES9_SI_JZNS1_25segmented_radix_sort_implINS0_14default_configELb1EPKlPlSQ_SR_N2at6native12_GLOBAL__N_18offset_tEEE10hipError_tPvRmT1_PNSt15iterator_traitsISZ_E10value_typeET2_T3_PNS10_IS15_E10value_typeET4_jRbjT5_S1B_jjP12ihipStream_tbEUljE_ZNSN_ISO_Lb1ESQ_SR_SQ_SR_SV_EESW_SX_SY_SZ_S13_S14_S15_S18_S19_jS1A_jS1B_S1B_jjS1D_bEUljE0_EEESW_SX_SY_S15_S19_S1B_T6_T7_T9_mT8_S1D_bDpT10_ENKUlT_T0_E_clISt17integral_constantIbLb1EES1Q_IbLb0EEEEDaS1M_S1N_EUlS1M_E_NS1_11comp_targetILNS1_3genE9ELNS1_11target_archE1100ELNS1_3gpuE3ELNS1_3repE0EEENS1_30default_config_static_selectorELNS0_4arch9wavefront6targetE0EEEvSZ_
; %bb.0:
	s_clause 0x6
	s_load_b32 s5, s[0:1], 0x80
	s_load_b64 s[34:35], s[0:1], 0x10
	s_load_b64 s[2:3], s[0:1], 0x68
	s_load_b32 s8, s[0:1], 0x8
	s_load_b128 s[24:27], s[0:1], 0x58
	s_load_b64 s[40:41], s[0:1], 0xa8
	s_load_b256 s[16:23], s[0:1], 0x88
	s_mul_i32 s33, s15, 0xd00
	s_waitcnt lgkmcnt(0)
	s_mul_i32 s4, s5, 0xd00
	s_add_i32 s5, s5, -1
	s_add_u32 s6, s34, s4
	s_addc_u32 s7, s35, 0
	s_load_b128 s[28:31], s[26:27], 0x0
	s_cmp_eq_u32 s15, s5
	v_cmp_lt_u64_e64 s3, s[6:7], s[2:3]
	s_cselect_b32 s14, -1, 0
	s_cmp_lg_u32 s15, s5
	s_cselect_b32 s5, -1, 0
	s_add_i32 s6, s8, s33
	s_delay_alu instid0(VALU_DEP_1) | instskip(SKIP_4) | instid1(VALU_DEP_1)
	s_or_b32 s3, s5, s3
	s_add_i32 s6, s6, s34
	s_and_b32 vcc_lo, exec_lo, s3
	v_add_nc_u32_e32 v1, s6, v0
	s_mov_b32 s5, -1
	v_add_nc_u32_e32 v2, 0x100, v1
	v_add_nc_u32_e32 v3, 0x200, v1
	;; [unrolled: 1-line block ×12, first 2 shown]
	s_cbranch_vccz .LBB662_2
; %bb.1:
	v_lshlrev_b32_e32 v14, 2, v0
	s_mov_b32 s5, 0
	ds_store_2addr_stride64_b32 v14, v1, v2 offset1:4
	ds_store_2addr_stride64_b32 v14, v3, v4 offset0:8 offset1:12
	ds_store_2addr_stride64_b32 v14, v5, v6 offset0:16 offset1:20
	;; [unrolled: 1-line block ×5, first 2 shown]
	ds_store_b32 v14, v13 offset:12288
	s_waitcnt lgkmcnt(0)
	s_barrier
.LBB662_2:
	s_and_not1_b32 vcc_lo, exec_lo, s5
	s_add_i32 s4, s4, s34
	s_cbranch_vccnz .LBB662_4
; %bb.3:
	v_lshlrev_b32_e32 v14, 2, v0
	ds_store_2addr_stride64_b32 v14, v1, v2 offset1:4
	ds_store_2addr_stride64_b32 v14, v3, v4 offset0:8 offset1:12
	ds_store_2addr_stride64_b32 v14, v5, v6 offset0:16 offset1:20
	ds_store_2addr_stride64_b32 v14, v7, v8 offset0:24 offset1:28
	ds_store_2addr_stride64_b32 v14, v9, v10 offset0:32 offset1:36
	ds_store_2addr_stride64_b32 v14, v11, v12 offset0:40 offset1:44
	ds_store_b32 v14, v13 offset:12288
	s_waitcnt lgkmcnt(0)
	s_barrier
.LBB662_4:
	v_mul_u32_u24_e32 v28, 13, v0
	s_clause 0x1
	s_load_b128 s[36:39], s[0:1], 0x28
	s_load_b64 s[26:27], s[0:1], 0x38
	s_waitcnt lgkmcnt(0)
	buffer_gl0_inv
	v_cndmask_b32_e64 v26, 0, 1, s3
	s_sub_i32 s44, s2, s4
	v_lshlrev_b32_e32 v1, 2, v28
	s_and_not1_b32 vcc_lo, exec_lo, s3
	ds_load_2addr_b32 v[16:17], v1 offset1:1
	ds_load_2addr_b32 v[14:15], v1 offset0:2 offset1:3
	ds_load_2addr_b32 v[12:13], v1 offset0:4 offset1:5
	;; [unrolled: 1-line block ×5, first 2 shown]
	ds_load_b32 v27, v1 offset:48
	s_waitcnt lgkmcnt(0)
	s_barrier
	buffer_gl0_inv
	s_cbranch_vccnz .LBB662_32
; %bb.5:
	v_add_nc_u32_e32 v1, s17, v16
	v_add_nc_u32_e32 v2, s19, v16
	s_mov_b32 s46, 0
	s_mov_b32 s45, 0
	s_mov_b32 s3, exec_lo
	v_mul_lo_u32 v1, v1, s16
	v_mul_lo_u32 v2, v2, s18
	s_delay_alu instid0(VALU_DEP_1) | instskip(NEXT) | instid1(VALU_DEP_1)
	v_sub_nc_u32_e32 v1, v1, v2
	v_cmp_lt_u32_e32 vcc_lo, s20, v1
	v_cmpx_ge_u32_e64 s20, v1
; %bb.6:
	v_add_nc_u32_e32 v1, s22, v16
	v_add_nc_u32_e32 v2, s40, v16
	s_delay_alu instid0(VALU_DEP_2) | instskip(NEXT) | instid1(VALU_DEP_2)
	v_mul_lo_u32 v1, v1, s21
	v_mul_lo_u32 v2, v2, s23
	s_delay_alu instid0(VALU_DEP_1) | instskip(NEXT) | instid1(VALU_DEP_1)
	v_sub_nc_u32_e32 v1, v1, v2
	v_cmp_lt_u32_e64 s2, s41, v1
	s_delay_alu instid0(VALU_DEP_1)
	s_and_b32 s45, s2, exec_lo
; %bb.7:
	s_or_b32 exec_lo, exec_lo, s3
	v_add_nc_u32_e32 v1, s17, v17
	v_add_nc_u32_e32 v2, s19, v17
	s_mov_b32 s4, exec_lo
	s_delay_alu instid0(VALU_DEP_2) | instskip(NEXT) | instid1(VALU_DEP_2)
	v_mul_lo_u32 v1, v1, s16
	v_mul_lo_u32 v2, v2, s18
	s_delay_alu instid0(VALU_DEP_1) | instskip(NEXT) | instid1(VALU_DEP_1)
	v_sub_nc_u32_e32 v1, v1, v2
	v_cmp_lt_u32_e64 s2, s20, v1
	v_cmpx_ge_u32_e64 s20, v1
; %bb.8:
	v_add_nc_u32_e32 v1, s22, v17
	v_add_nc_u32_e32 v2, s40, v17
	s_delay_alu instid0(VALU_DEP_2) | instskip(NEXT) | instid1(VALU_DEP_2)
	v_mul_lo_u32 v1, v1, s21
	v_mul_lo_u32 v2, v2, s23
	s_delay_alu instid0(VALU_DEP_1) | instskip(NEXT) | instid1(VALU_DEP_1)
	v_sub_nc_u32_e32 v1, v1, v2
	v_cmp_lt_u32_e64 s3, s41, v1
	s_delay_alu instid0(VALU_DEP_1)
	s_and_b32 s46, s3, exec_lo
; %bb.9:
	s_or_b32 exec_lo, exec_lo, s4
	v_add_nc_u32_e32 v1, s17, v14
	v_add_nc_u32_e32 v2, s19, v14
	s_mov_b32 s48, 0
	s_mov_b32 s47, 0
	s_mov_b32 s5, exec_lo
	v_mul_lo_u32 v1, v1, s16
	v_mul_lo_u32 v2, v2, s18
	s_delay_alu instid0(VALU_DEP_1) | instskip(NEXT) | instid1(VALU_DEP_1)
	v_sub_nc_u32_e32 v1, v1, v2
	v_cmp_lt_u32_e64 s3, s20, v1
	v_cmpx_ge_u32_e64 s20, v1
; %bb.10:
	v_add_nc_u32_e32 v1, s22, v14
	v_add_nc_u32_e32 v2, s40, v14
	s_delay_alu instid0(VALU_DEP_2) | instskip(NEXT) | instid1(VALU_DEP_2)
	v_mul_lo_u32 v1, v1, s21
	v_mul_lo_u32 v2, v2, s23
	s_delay_alu instid0(VALU_DEP_1) | instskip(NEXT) | instid1(VALU_DEP_1)
	v_sub_nc_u32_e32 v1, v1, v2
	v_cmp_lt_u32_e64 s4, s41, v1
	s_delay_alu instid0(VALU_DEP_1)
	s_and_b32 s47, s4, exec_lo
; %bb.11:
	s_or_b32 exec_lo, exec_lo, s5
	v_add_nc_u32_e32 v1, s17, v15
	v_add_nc_u32_e32 v2, s19, v15
	s_mov_b32 s6, exec_lo
	s_delay_alu instid0(VALU_DEP_2) | instskip(NEXT) | instid1(VALU_DEP_2)
	v_mul_lo_u32 v1, v1, s16
	v_mul_lo_u32 v2, v2, s18
	s_delay_alu instid0(VALU_DEP_1) | instskip(NEXT) | instid1(VALU_DEP_1)
	v_sub_nc_u32_e32 v1, v1, v2
	v_cmp_lt_u32_e64 s4, s20, v1
	v_cmpx_ge_u32_e64 s20, v1
; %bb.12:
	v_add_nc_u32_e32 v1, s22, v15
	v_add_nc_u32_e32 v2, s40, v15
	s_delay_alu instid0(VALU_DEP_2) | instskip(NEXT) | instid1(VALU_DEP_2)
	v_mul_lo_u32 v1, v1, s21
	v_mul_lo_u32 v2, v2, s23
	s_delay_alu instid0(VALU_DEP_1) | instskip(NEXT) | instid1(VALU_DEP_1)
	v_sub_nc_u32_e32 v1, v1, v2
	v_cmp_lt_u32_e64 s5, s41, v1
	s_delay_alu instid0(VALU_DEP_1)
	s_and_b32 s48, s5, exec_lo
; %bb.13:
	s_or_b32 exec_lo, exec_lo, s6
	v_add_nc_u32_e32 v1, s17, v12
	v_add_nc_u32_e32 v2, s19, v12
	s_mov_b32 s50, 0
	s_mov_b32 s49, 0
	s_mov_b32 s7, exec_lo
	v_mul_lo_u32 v1, v1, s16
	v_mul_lo_u32 v2, v2, s18
	s_delay_alu instid0(VALU_DEP_1) | instskip(NEXT) | instid1(VALU_DEP_1)
	v_sub_nc_u32_e32 v1, v1, v2
	v_cmp_lt_u32_e64 s5, s20, v1
	;; [unrolled: 47-line block ×5, first 2 shown]
	v_cmpx_ge_u32_e64 s20, v1
; %bb.26:
	v_add_nc_u32_e32 v1, s22, v6
	v_add_nc_u32_e32 v2, s40, v6
	s_delay_alu instid0(VALU_DEP_2) | instskip(NEXT) | instid1(VALU_DEP_2)
	v_mul_lo_u32 v1, v1, s21
	v_mul_lo_u32 v2, v2, s23
	s_delay_alu instid0(VALU_DEP_1) | instskip(NEXT) | instid1(VALU_DEP_1)
	v_sub_nc_u32_e32 v1, v1, v2
	v_cmp_lt_u32_e64 s12, s41, v1
	s_delay_alu instid0(VALU_DEP_1)
	s_and_b32 s57, s12, exec_lo
; %bb.27:
	s_or_b32 exec_lo, exec_lo, s13
	v_add_nc_u32_e32 v1, s17, v7
	v_add_nc_u32_e32 v2, s19, v7
	s_mov_b32 s42, exec_lo
	s_delay_alu instid0(VALU_DEP_2) | instskip(NEXT) | instid1(VALU_DEP_2)
	v_mul_lo_u32 v1, v1, s16
	v_mul_lo_u32 v2, v2, s18
	s_delay_alu instid0(VALU_DEP_1) | instskip(NEXT) | instid1(VALU_DEP_1)
	v_sub_nc_u32_e32 v1, v1, v2
	v_cmp_lt_u32_e64 s12, s20, v1
	v_cmpx_ge_u32_e64 s20, v1
; %bb.28:
	v_add_nc_u32_e32 v1, s22, v7
	v_add_nc_u32_e32 v2, s40, v7
	s_delay_alu instid0(VALU_DEP_2) | instskip(NEXT) | instid1(VALU_DEP_2)
	v_mul_lo_u32 v1, v1, s21
	v_mul_lo_u32 v2, v2, s23
	s_delay_alu instid0(VALU_DEP_1) | instskip(NEXT) | instid1(VALU_DEP_1)
	v_sub_nc_u32_e32 v1, v1, v2
	v_cmp_lt_u32_e64 s13, s41, v1
	s_delay_alu instid0(VALU_DEP_1)
	s_and_b32 s56, s13, exec_lo
; %bb.29:
	s_or_b32 exec_lo, exec_lo, s42
	v_add_nc_u32_e32 v1, s17, v27
	v_add_nc_u32_e32 v2, s19, v27
	s_mov_b32 s42, -1
	s_mov_b32 s53, 0
	s_mov_b32 s43, 0
	v_mul_lo_u32 v1, v1, s16
	v_mul_lo_u32 v2, v2, s18
	s_mov_b32 s58, exec_lo
	s_delay_alu instid0(VALU_DEP_1) | instskip(NEXT) | instid1(VALU_DEP_1)
	v_sub_nc_u32_e32 v1, v1, v2
	v_cmpx_ge_u32_e64 s20, v1
; %bb.30:
	v_add_nc_u32_e32 v1, s22, v27
	v_add_nc_u32_e32 v2, s40, v27
	s_xor_b32 s42, exec_lo, -1
	s_delay_alu instid0(VALU_DEP_2) | instskip(NEXT) | instid1(VALU_DEP_2)
	v_mul_lo_u32 v1, v1, s21
	v_mul_lo_u32 v2, v2, s23
	s_delay_alu instid0(VALU_DEP_1) | instskip(NEXT) | instid1(VALU_DEP_1)
	v_sub_nc_u32_e32 v1, v1, v2
	v_cmp_lt_u32_e64 s13, s41, v1
	s_delay_alu instid0(VALU_DEP_1)
	s_and_b32 s43, s13, exec_lo
; %bb.31:
	s_or_b32 exec_lo, exec_lo, s58
	v_cndmask_b32_e64 v48, 0, 1, s57
	v_cndmask_b32_e64 v51, 0, 1, s12
	;; [unrolled: 1-line block ×22, first 2 shown]
	v_cndmask_b32_e64 v29, 0, 1, vcc_lo
	v_cndmask_b32_e64 v52, 0, 1, s56
	s_load_b64 s[4:5], s[0:1], 0x78
	s_and_b32 vcc_lo, exec_lo, s53
	s_add_i32 s3, s44, 0xd00
	s_cbranch_vccnz .LBB662_33
	s_branch .LBB662_86
.LBB662_32:
                                        ; implicit-def: $sgpr42
                                        ; implicit-def: $sgpr43
                                        ; implicit-def: $vgpr52
                                        ; implicit-def: $vgpr48
                                        ; implicit-def: $vgpr47
                                        ; implicit-def: $vgpr45
                                        ; implicit-def: $vgpr43
                                        ; implicit-def: $vgpr40
                                        ; implicit-def: $vgpr39
                                        ; implicit-def: $vgpr37
                                        ; implicit-def: $vgpr35
                                        ; implicit-def: $vgpr29
                                        ; implicit-def: $vgpr33
                                        ; implicit-def: $vgpr31
                                        ; implicit-def: $vgpr32
                                        ; implicit-def: $vgpr38
                                        ; implicit-def: $vgpr41
                                        ; implicit-def: $vgpr42
                                        ; implicit-def: $vgpr44
                                        ; implicit-def: $vgpr46
                                        ; implicit-def: $vgpr49
                                        ; implicit-def: $vgpr50
                                        ; implicit-def: $vgpr51
                                        ; implicit-def: $vgpr30
                                        ; implicit-def: $vgpr34
                                        ; implicit-def: $vgpr36
	s_load_b64 s[4:5], s[0:1], 0x78
	s_add_i32 s3, s44, 0xd00
	s_cbranch_execz .LBB662_86
.LBB662_33:
	v_dual_mov_b32 v30, 0 :: v_dual_mov_b32 v29, 0
	s_mov_b32 s2, 0
	s_mov_b32 s1, exec_lo
	v_cmpx_gt_u32_e64 s3, v28
	s_cbranch_execz .LBB662_37
; %bb.34:
	v_add_nc_u32_e32 v1, s17, v16
	v_add_nc_u32_e32 v2, s19, v16
	s_mov_b32 s6, exec_lo
	s_delay_alu instid0(VALU_DEP_2) | instskip(NEXT) | instid1(VALU_DEP_2)
	v_mul_lo_u32 v1, v1, s16
	v_mul_lo_u32 v2, v2, s18
	s_delay_alu instid0(VALU_DEP_1) | instskip(NEXT) | instid1(VALU_DEP_1)
	v_sub_nc_u32_e32 v1, v1, v2
	v_cmp_lt_u32_e32 vcc_lo, s20, v1
	v_cmpx_ge_u32_e64 s20, v1
; %bb.35:
	v_add_nc_u32_e32 v1, s22, v16
	v_add_nc_u32_e32 v2, s40, v16
	s_delay_alu instid0(VALU_DEP_2) | instskip(NEXT) | instid1(VALU_DEP_2)
	v_mul_lo_u32 v1, v1, s21
	v_mul_lo_u32 v2, v2, s23
	s_delay_alu instid0(VALU_DEP_1) | instskip(NEXT) | instid1(VALU_DEP_1)
	v_sub_nc_u32_e32 v1, v1, v2
	v_cmp_lt_u32_e64 s0, s41, v1
	s_delay_alu instid0(VALU_DEP_1)
	s_and_b32 s2, s0, exec_lo
; %bb.36:
	s_or_b32 exec_lo, exec_lo, s6
	v_cndmask_b32_e64 v29, 0, 1, vcc_lo
	v_cndmask_b32_e64 v30, 0, 1, s2
.LBB662_37:
	s_or_b32 exec_lo, exec_lo, s1
	v_dual_mov_b32 v34, 0 :: v_dual_add_nc_u32 v1, 1, v28
	v_mov_b32_e32 v33, 0
	s_mov_b32 s2, 0
	s_mov_b32 s1, exec_lo
	s_delay_alu instid0(VALU_DEP_2)
	v_cmpx_gt_u32_e64 s3, v1
	s_cbranch_execz .LBB662_41
; %bb.38:
	v_add_nc_u32_e32 v1, s17, v17
	v_add_nc_u32_e32 v2, s19, v17
	s_mov_b32 s6, exec_lo
	s_delay_alu instid0(VALU_DEP_2) | instskip(NEXT) | instid1(VALU_DEP_2)
	v_mul_lo_u32 v1, v1, s16
	v_mul_lo_u32 v2, v2, s18
	s_delay_alu instid0(VALU_DEP_1) | instskip(NEXT) | instid1(VALU_DEP_1)
	v_sub_nc_u32_e32 v1, v1, v2
	v_cmp_lt_u32_e32 vcc_lo, s20, v1
	v_cmpx_ge_u32_e64 s20, v1
; %bb.39:
	v_add_nc_u32_e32 v1, s22, v17
	v_add_nc_u32_e32 v2, s40, v17
	s_delay_alu instid0(VALU_DEP_2) | instskip(NEXT) | instid1(VALU_DEP_2)
	v_mul_lo_u32 v1, v1, s21
	v_mul_lo_u32 v2, v2, s23
	s_delay_alu instid0(VALU_DEP_1) | instskip(NEXT) | instid1(VALU_DEP_1)
	v_sub_nc_u32_e32 v1, v1, v2
	v_cmp_lt_u32_e64 s0, s41, v1
	s_delay_alu instid0(VALU_DEP_1)
	s_and_b32 s2, s0, exec_lo
; %bb.40:
	s_or_b32 exec_lo, exec_lo, s6
	v_cndmask_b32_e64 v33, 0, 1, vcc_lo
	v_cndmask_b32_e64 v34, 0, 1, s2
.LBB662_41:
	s_or_b32 exec_lo, exec_lo, s1
	v_dual_mov_b32 v36, 0 :: v_dual_add_nc_u32 v1, 2, v28
	v_mov_b32_e32 v31, 0
	s_mov_b32 s2, 0
	s_mov_b32 s1, exec_lo
	s_delay_alu instid0(VALU_DEP_2)
	;; [unrolled: 35-line block ×4, first 2 shown]
	v_cmpx_gt_u32_e64 s3, v1
	s_cbranch_execz .LBB662_53
; %bb.50:
	v_add_nc_u32_e32 v1, s17, v12
	v_add_nc_u32_e32 v2, s19, v12
	s_mov_b32 s6, exec_lo
	s_delay_alu instid0(VALU_DEP_2) | instskip(NEXT) | instid1(VALU_DEP_2)
	v_mul_lo_u32 v1, v1, s16
	v_mul_lo_u32 v2, v2, s18
	s_delay_alu instid0(VALU_DEP_1) | instskip(NEXT) | instid1(VALU_DEP_1)
	v_sub_nc_u32_e32 v1, v1, v2
	v_cmp_lt_u32_e32 vcc_lo, s20, v1
	v_cmpx_ge_u32_e64 s20, v1
; %bb.51:
	v_add_nc_u32_e32 v1, s22, v12
	v_add_nc_u32_e32 v2, s40, v12
	s_delay_alu instid0(VALU_DEP_2) | instskip(NEXT) | instid1(VALU_DEP_2)
	v_mul_lo_u32 v1, v1, s21
	v_mul_lo_u32 v2, v2, s23
	s_delay_alu instid0(VALU_DEP_1) | instskip(NEXT) | instid1(VALU_DEP_1)
	v_sub_nc_u32_e32 v1, v1, v2
	v_cmp_lt_u32_e64 s0, s41, v1
	s_delay_alu instid0(VALU_DEP_1)
	s_and_b32 s2, s0, exec_lo
; %bb.52:
	s_or_b32 exec_lo, exec_lo, s6
	v_cndmask_b32_e64 v38, 0, 1, vcc_lo
	v_cndmask_b32_e64 v37, 0, 1, s2
.LBB662_53:
	s_or_b32 exec_lo, exec_lo, s1
	v_add_nc_u32_e32 v1, 5, v28
	v_mov_b32_e32 v39, 0
	v_mov_b32_e32 v41, 0
	s_mov_b32 s2, 0
	s_mov_b32 s1, exec_lo
	v_cmpx_gt_u32_e64 s3, v1
	s_cbranch_execz .LBB662_57
; %bb.54:
	v_add_nc_u32_e32 v1, s17, v13
	v_add_nc_u32_e32 v2, s19, v13
	s_mov_b32 s6, exec_lo
	s_delay_alu instid0(VALU_DEP_2) | instskip(NEXT) | instid1(VALU_DEP_2)
	v_mul_lo_u32 v1, v1, s16
	v_mul_lo_u32 v2, v2, s18
	s_delay_alu instid0(VALU_DEP_1) | instskip(NEXT) | instid1(VALU_DEP_1)
	v_sub_nc_u32_e32 v1, v1, v2
	v_cmp_lt_u32_e32 vcc_lo, s20, v1
	v_cmpx_ge_u32_e64 s20, v1
; %bb.55:
	v_add_nc_u32_e32 v1, s22, v13
	v_add_nc_u32_e32 v2, s40, v13
	s_delay_alu instid0(VALU_DEP_2) | instskip(NEXT) | instid1(VALU_DEP_2)
	v_mul_lo_u32 v1, v1, s21
	v_mul_lo_u32 v2, v2, s23
	s_delay_alu instid0(VALU_DEP_1) | instskip(NEXT) | instid1(VALU_DEP_1)
	v_sub_nc_u32_e32 v1, v1, v2
	v_cmp_lt_u32_e64 s0, s41, v1
	s_delay_alu instid0(VALU_DEP_1)
	s_and_b32 s2, s0, exec_lo
; %bb.56:
	s_or_b32 exec_lo, exec_lo, s6
	v_cndmask_b32_e64 v41, 0, 1, vcc_lo
	v_cndmask_b32_e64 v39, 0, 1, s2
.LBB662_57:
	s_or_b32 exec_lo, exec_lo, s1
	v_dual_mov_b32 v40, 0 :: v_dual_add_nc_u32 v1, 6, v28
	v_mov_b32_e32 v42, 0
	s_mov_b32 s2, 0
	s_mov_b32 s1, exec_lo
	s_delay_alu instid0(VALU_DEP_2)
	v_cmpx_gt_u32_e64 s3, v1
	s_cbranch_execz .LBB662_61
; %bb.58:
	v_add_nc_u32_e32 v1, s17, v10
	v_add_nc_u32_e32 v2, s19, v10
	s_mov_b32 s6, exec_lo
	s_delay_alu instid0(VALU_DEP_2) | instskip(NEXT) | instid1(VALU_DEP_2)
	v_mul_lo_u32 v1, v1, s16
	v_mul_lo_u32 v2, v2, s18
	s_delay_alu instid0(VALU_DEP_1) | instskip(NEXT) | instid1(VALU_DEP_1)
	v_sub_nc_u32_e32 v1, v1, v2
	v_cmp_lt_u32_e32 vcc_lo, s20, v1
	v_cmpx_ge_u32_e64 s20, v1
; %bb.59:
	v_add_nc_u32_e32 v1, s22, v10
	v_add_nc_u32_e32 v2, s40, v10
	s_delay_alu instid0(VALU_DEP_2) | instskip(NEXT) | instid1(VALU_DEP_2)
	v_mul_lo_u32 v1, v1, s21
	v_mul_lo_u32 v2, v2, s23
	s_delay_alu instid0(VALU_DEP_1) | instskip(NEXT) | instid1(VALU_DEP_1)
	v_sub_nc_u32_e32 v1, v1, v2
	v_cmp_lt_u32_e64 s0, s41, v1
	s_delay_alu instid0(VALU_DEP_1)
	s_and_b32 s2, s0, exec_lo
; %bb.60:
	s_or_b32 exec_lo, exec_lo, s6
	v_cndmask_b32_e64 v42, 0, 1, vcc_lo
	v_cndmask_b32_e64 v40, 0, 1, s2
.LBB662_61:
	s_or_b32 exec_lo, exec_lo, s1
	v_dual_mov_b32 v44, 0 :: v_dual_add_nc_u32 v1, 7, v28
	v_mov_b32_e32 v43, 0
	s_mov_b32 s2, 0
	s_mov_b32 s1, exec_lo
	s_delay_alu instid0(VALU_DEP_2)
	;; [unrolled: 35-line block ×3, first 2 shown]
	v_cmpx_gt_u32_e64 s3, v1
	s_cbranch_execz .LBB662_69
; %bb.66:
	v_add_nc_u32_e32 v1, s17, v8
	v_add_nc_u32_e32 v2, s19, v8
	s_mov_b32 s6, exec_lo
	s_delay_alu instid0(VALU_DEP_2) | instskip(NEXT) | instid1(VALU_DEP_2)
	v_mul_lo_u32 v1, v1, s16
	v_mul_lo_u32 v2, v2, s18
	s_delay_alu instid0(VALU_DEP_1) | instskip(NEXT) | instid1(VALU_DEP_1)
	v_sub_nc_u32_e32 v1, v1, v2
	v_cmp_lt_u32_e32 vcc_lo, s20, v1
	v_cmpx_ge_u32_e64 s20, v1
; %bb.67:
	v_add_nc_u32_e32 v1, s22, v8
	v_add_nc_u32_e32 v2, s40, v8
	s_delay_alu instid0(VALU_DEP_2) | instskip(NEXT) | instid1(VALU_DEP_2)
	v_mul_lo_u32 v1, v1, s21
	v_mul_lo_u32 v2, v2, s23
	s_delay_alu instid0(VALU_DEP_1) | instskip(NEXT) | instid1(VALU_DEP_1)
	v_sub_nc_u32_e32 v1, v1, v2
	v_cmp_lt_u32_e64 s0, s41, v1
	s_delay_alu instid0(VALU_DEP_1)
	s_and_b32 s2, s0, exec_lo
; %bb.68:
	s_or_b32 exec_lo, exec_lo, s6
	v_cndmask_b32_e64 v46, 0, 1, vcc_lo
	v_cndmask_b32_e64 v45, 0, 1, s2
.LBB662_69:
	s_or_b32 exec_lo, exec_lo, s1
	v_add_nc_u32_e32 v1, 9, v28
	v_mov_b32_e32 v47, 0
	v_mov_b32_e32 v49, 0
	s_mov_b32 s2, 0
	s_mov_b32 s1, exec_lo
	v_cmpx_gt_u32_e64 s3, v1
	s_cbranch_execz .LBB662_73
; %bb.70:
	v_add_nc_u32_e32 v1, s17, v9
	v_add_nc_u32_e32 v2, s19, v9
	s_mov_b32 s6, exec_lo
	s_delay_alu instid0(VALU_DEP_2) | instskip(NEXT) | instid1(VALU_DEP_2)
	v_mul_lo_u32 v1, v1, s16
	v_mul_lo_u32 v2, v2, s18
	s_delay_alu instid0(VALU_DEP_1) | instskip(NEXT) | instid1(VALU_DEP_1)
	v_sub_nc_u32_e32 v1, v1, v2
	v_cmp_lt_u32_e32 vcc_lo, s20, v1
	v_cmpx_ge_u32_e64 s20, v1
; %bb.71:
	v_add_nc_u32_e32 v1, s22, v9
	v_add_nc_u32_e32 v2, s40, v9
	s_delay_alu instid0(VALU_DEP_2) | instskip(NEXT) | instid1(VALU_DEP_2)
	v_mul_lo_u32 v1, v1, s21
	v_mul_lo_u32 v2, v2, s23
	s_delay_alu instid0(VALU_DEP_1) | instskip(NEXT) | instid1(VALU_DEP_1)
	v_sub_nc_u32_e32 v1, v1, v2
	v_cmp_lt_u32_e64 s0, s41, v1
	s_delay_alu instid0(VALU_DEP_1)
	s_and_b32 s2, s0, exec_lo
; %bb.72:
	s_or_b32 exec_lo, exec_lo, s6
	v_cndmask_b32_e64 v49, 0, 1, vcc_lo
	v_cndmask_b32_e64 v47, 0, 1, s2
.LBB662_73:
	s_or_b32 exec_lo, exec_lo, s1
	v_dual_mov_b32 v48, 0 :: v_dual_add_nc_u32 v1, 10, v28
	v_mov_b32_e32 v50, 0
	s_mov_b32 s2, 0
	s_mov_b32 s1, exec_lo
	s_delay_alu instid0(VALU_DEP_2)
	v_cmpx_gt_u32_e64 s3, v1
	s_cbranch_execz .LBB662_77
; %bb.74:
	v_add_nc_u32_e32 v1, s17, v6
	v_add_nc_u32_e32 v2, s19, v6
	s_mov_b32 s6, exec_lo
	s_delay_alu instid0(VALU_DEP_2) | instskip(NEXT) | instid1(VALU_DEP_2)
	v_mul_lo_u32 v1, v1, s16
	v_mul_lo_u32 v2, v2, s18
	s_delay_alu instid0(VALU_DEP_1) | instskip(NEXT) | instid1(VALU_DEP_1)
	v_sub_nc_u32_e32 v1, v1, v2
	v_cmp_lt_u32_e32 vcc_lo, s20, v1
	v_cmpx_ge_u32_e64 s20, v1
; %bb.75:
	v_add_nc_u32_e32 v1, s22, v6
	v_add_nc_u32_e32 v2, s40, v6
	s_delay_alu instid0(VALU_DEP_2) | instskip(NEXT) | instid1(VALU_DEP_2)
	v_mul_lo_u32 v1, v1, s21
	v_mul_lo_u32 v2, v2, s23
	s_delay_alu instid0(VALU_DEP_1) | instskip(NEXT) | instid1(VALU_DEP_1)
	v_sub_nc_u32_e32 v1, v1, v2
	v_cmp_lt_u32_e64 s0, s41, v1
	s_delay_alu instid0(VALU_DEP_1)
	s_and_b32 s2, s0, exec_lo
; %bb.76:
	s_or_b32 exec_lo, exec_lo, s6
	v_cndmask_b32_e64 v50, 0, 1, vcc_lo
	v_cndmask_b32_e64 v48, 0, 1, s2
.LBB662_77:
	s_or_b32 exec_lo, exec_lo, s1
	v_dual_mov_b32 v52, 0 :: v_dual_add_nc_u32 v1, 11, v28
	v_mov_b32_e32 v51, 0
	s_mov_b32 s2, 0
	s_mov_b32 s1, exec_lo
	s_delay_alu instid0(VALU_DEP_2)
	v_cmpx_gt_u32_e64 s3, v1
	s_cbranch_execz .LBB662_81
; %bb.78:
	v_add_nc_u32_e32 v1, s17, v7
	v_add_nc_u32_e32 v2, s19, v7
	s_mov_b32 s6, exec_lo
	s_delay_alu instid0(VALU_DEP_2) | instskip(NEXT) | instid1(VALU_DEP_2)
	v_mul_lo_u32 v1, v1, s16
	v_mul_lo_u32 v2, v2, s18
	s_delay_alu instid0(VALU_DEP_1) | instskip(NEXT) | instid1(VALU_DEP_1)
	v_sub_nc_u32_e32 v1, v1, v2
	v_cmp_lt_u32_e32 vcc_lo, s20, v1
	v_cmpx_ge_u32_e64 s20, v1
; %bb.79:
	v_add_nc_u32_e32 v1, s22, v7
	v_add_nc_u32_e32 v2, s40, v7
	s_delay_alu instid0(VALU_DEP_2) | instskip(NEXT) | instid1(VALU_DEP_2)
	v_mul_lo_u32 v1, v1, s21
	v_mul_lo_u32 v2, v2, s23
	s_delay_alu instid0(VALU_DEP_1) | instskip(NEXT) | instid1(VALU_DEP_1)
	v_sub_nc_u32_e32 v1, v1, v2
	v_cmp_lt_u32_e64 s0, s41, v1
	s_delay_alu instid0(VALU_DEP_1)
	s_and_b32 s2, s0, exec_lo
; %bb.80:
	s_or_b32 exec_lo, exec_lo, s6
	v_cndmask_b32_e64 v51, 0, 1, vcc_lo
	v_cndmask_b32_e64 v52, 0, 1, s2
.LBB662_81:
	s_or_b32 exec_lo, exec_lo, s1
	v_add_nc_u32_e32 v1, 12, v28
	s_mov_b32 s42, 0
	s_mov_b32 s43, 0
	s_mov_b32 s0, exec_lo
	s_delay_alu instid0(VALU_DEP_1)
	v_cmpx_gt_u32_e64 s3, v1
	s_cbranch_execz .LBB662_85
; %bb.82:
	v_add_nc_u32_e32 v1, s17, v27
	v_add_nc_u32_e32 v2, s19, v27
	s_mov_b32 s2, -1
	s_mov_b32 s6, 0
	s_mov_b32 s1, exec_lo
	v_mul_lo_u32 v1, v1, s16
	v_mul_lo_u32 v2, v2, s18
	s_delay_alu instid0(VALU_DEP_1) | instskip(NEXT) | instid1(VALU_DEP_1)
	v_sub_nc_u32_e32 v1, v1, v2
	v_cmpx_ge_u32_e64 s20, v1
; %bb.83:
	v_add_nc_u32_e32 v1, s22, v27
	v_add_nc_u32_e32 v2, s40, v27
	s_xor_b32 s2, exec_lo, -1
	s_delay_alu instid0(VALU_DEP_2) | instskip(NEXT) | instid1(VALU_DEP_2)
	v_mul_lo_u32 v1, v1, s21
	v_mul_lo_u32 v2, v2, s23
	s_delay_alu instid0(VALU_DEP_1) | instskip(NEXT) | instid1(VALU_DEP_1)
	v_sub_nc_u32_e32 v1, v1, v2
	v_cmp_lt_u32_e32 vcc_lo, s41, v1
	s_and_b32 s6, vcc_lo, exec_lo
; %bb.84:
	s_or_b32 exec_lo, exec_lo, s1
	s_delay_alu instid0(SALU_CYCLE_1)
	s_and_b32 s43, s6, exec_lo
	s_and_b32 s42, s2, exec_lo
.LBB662_85:
	s_or_b32 exec_lo, exec_lo, s0
.LBB662_86:
	v_and_b32_e32 v75, 0xff, v29
	v_and_b32_e32 v76, 0xff, v30
	;; [unrolled: 1-line block ×10, first 2 shown]
	v_add3_u32 v1, v71, v73, v75
	v_add3_u32 v2, v72, v74, v76
	v_and_b32_e32 v65, 0xff, v41
	v_and_b32_e32 v66, 0xff, v39
	v_and_b32_e32 v61, 0xff, v42
	v_and_b32_e32 v62, 0xff, v40
	v_add3_u32 v1, v1, v69, v67
	v_add3_u32 v2, v2, v70, v68
	v_and_b32_e32 v63, 0xff, v44
	v_and_b32_e32 v64, 0xff, v43
	v_and_b32_e32 v59, 0xff, v46
	v_and_b32_e32 v60, 0xff, v45
	;; [unrolled: 6-line block ×3, first 2 shown]
	v_add3_u32 v1, v1, v63, v59
	v_add3_u32 v2, v2, v64, v60
	v_mbcnt_lo_u32_b32 v77, -1, 0
	v_and_b32_e32 v53, 0xff, v51
	v_and_b32_e32 v54, 0xff, v52
	v_cndmask_b32_e64 v3, 0, 1, s43
	v_add3_u32 v1, v1, v57, v55
	v_cndmask_b32_e64 v4, 0, 1, s42
	v_add3_u32 v2, v2, v58, v56
	v_and_b32_e32 v81, 15, v77
	v_and_b32_e32 v80, 16, v77
	v_lshrrev_b32_e32 v78, 5, v0
	v_add3_u32 v82, v1, v53, v4
	v_add3_u32 v83, v2, v54, v3
	v_cmp_eq_u32_e64 s1, 0, v81
	v_cmp_lt_u32_e64 s0, 1, v81
	v_cmp_lt_u32_e64 s2, 3, v81
	v_cmp_lt_u32_e32 vcc_lo, 7, v81
	v_or_b32_e32 v79, 31, v0
	s_cmp_lg_u32 s15, 0
	s_mov_b32 s6, -1
	s_cbranch_scc0 .LBB662_119
; %bb.87:
	v_mov_b32_dpp v1, v83 row_shr:1 row_mask:0xf bank_mask:0xf
	v_mov_b32_dpp v2, v82 row_shr:1 row_mask:0xf bank_mask:0xf
	s_delay_alu instid0(VALU_DEP_2) | instskip(NEXT) | instid1(VALU_DEP_1)
	v_add_nc_u32_e32 v1, v1, v83
	v_cndmask_b32_e64 v1, v1, v83, s1
	s_delay_alu instid0(VALU_DEP_1) | instskip(NEXT) | instid1(VALU_DEP_1)
	v_mov_b32_dpp v3, v1 row_shr:2 row_mask:0xf bank_mask:0xf
	v_add_nc_u32_e32 v3, v1, v3
	s_delay_alu instid0(VALU_DEP_1) | instskip(NEXT) | instid1(VALU_DEP_1)
	v_cndmask_b32_e64 v1, v1, v3, s0
	v_mov_b32_dpp v3, v1 row_shr:4 row_mask:0xf bank_mask:0xf
	s_delay_alu instid0(VALU_DEP_1) | instskip(NEXT) | instid1(VALU_DEP_1)
	v_add_nc_u32_e32 v3, v1, v3
	v_cndmask_b32_e64 v1, v1, v3, s2
	s_delay_alu instid0(VALU_DEP_1) | instskip(NEXT) | instid1(VALU_DEP_1)
	v_mov_b32_dpp v3, v1 row_shr:8 row_mask:0xf bank_mask:0xf
	v_add_nc_u32_e32 v3, v1, v3
	s_delay_alu instid0(VALU_DEP_1) | instskip(NEXT) | instid1(VALU_DEP_1)
	v_dual_cndmask_b32 v1, v1, v3 :: v_dual_add_nc_u32 v2, v2, v82
	v_cndmask_b32_e64 v2, v2, v82, s1
	s_delay_alu instid0(VALU_DEP_1) | instskip(NEXT) | instid1(VALU_DEP_1)
	v_mov_b32_dpp v4, v2 row_shr:2 row_mask:0xf bank_mask:0xf
	v_add_nc_u32_e32 v4, v2, v4
	s_delay_alu instid0(VALU_DEP_1) | instskip(NEXT) | instid1(VALU_DEP_1)
	v_cndmask_b32_e64 v2, v2, v4, s0
	v_mov_b32_dpp v4, v2 row_shr:4 row_mask:0xf bank_mask:0xf
	s_delay_alu instid0(VALU_DEP_1) | instskip(NEXT) | instid1(VALU_DEP_1)
	v_add_nc_u32_e32 v4, v2, v4
	v_cndmask_b32_e64 v2, v2, v4, s2
	s_mov_b32 s2, exec_lo
	s_delay_alu instid0(VALU_DEP_1) | instskip(NEXT) | instid1(VALU_DEP_1)
	v_mov_b32_dpp v4, v2 row_shr:8 row_mask:0xf bank_mask:0xf
	v_add_nc_u32_e32 v4, v2, v4
	s_delay_alu instid0(VALU_DEP_1)
	v_cndmask_b32_e32 v3, v2, v4, vcc_lo
	ds_swizzle_b32 v2, v1 offset:swizzle(BROADCAST,32,15)
	v_cmp_eq_u32_e32 vcc_lo, 0, v80
	s_waitcnt lgkmcnt(0)
	v_add_nc_u32_e32 v2, v1, v2
	ds_swizzle_b32 v4, v3 offset:swizzle(BROADCAST,32,15)
	v_cndmask_b32_e32 v2, v2, v1, vcc_lo
	s_waitcnt lgkmcnt(0)
	v_add_nc_u32_e32 v4, v3, v4
	s_delay_alu instid0(VALU_DEP_1)
	v_cndmask_b32_e32 v1, v4, v3, vcc_lo
	v_cmpx_eq_u32_e64 v79, v0
	s_cbranch_execz .LBB662_89
; %bb.88:
	v_lshlrev_b32_e32 v3, 3, v78
	ds_store_b64 v3, v[1:2]
.LBB662_89:
	s_or_b32 exec_lo, exec_lo, s2
	s_delay_alu instid0(SALU_CYCLE_1)
	s_mov_b32 s2, exec_lo
	s_waitcnt lgkmcnt(0)
	s_barrier
	buffer_gl0_inv
	v_cmpx_gt_u32_e32 8, v0
	s_cbranch_execz .LBB662_91
; %bb.90:
	v_lshlrev_b32_e32 v5, 3, v0
	ds_load_b64 v[3:4], v5
	s_waitcnt lgkmcnt(0)
	v_mov_b32_dpp v18, v3 row_shr:1 row_mask:0xf bank_mask:0xf
	v_mov_b32_dpp v19, v4 row_shr:1 row_mask:0xf bank_mask:0xf
	s_delay_alu instid0(VALU_DEP_2) | instskip(SKIP_1) | instid1(VALU_DEP_3)
	v_add_nc_u32_e32 v18, v18, v3
	v_and_b32_e32 v20, 7, v77
	v_add_nc_u32_e32 v19, v19, v4
	s_delay_alu instid0(VALU_DEP_2) | instskip(NEXT) | instid1(VALU_DEP_2)
	v_cmp_eq_u32_e32 vcc_lo, 0, v20
	v_dual_cndmask_b32 v4, v19, v4 :: v_dual_cndmask_b32 v3, v18, v3
	v_cmp_lt_u32_e32 vcc_lo, 1, v20
	s_delay_alu instid0(VALU_DEP_2) | instskip(NEXT) | instid1(VALU_DEP_3)
	v_mov_b32_dpp v19, v4 row_shr:2 row_mask:0xf bank_mask:0xf
	v_mov_b32_dpp v18, v3 row_shr:2 row_mask:0xf bank_mask:0xf
	s_delay_alu instid0(VALU_DEP_2) | instskip(NEXT) | instid1(VALU_DEP_2)
	v_add_nc_u32_e32 v19, v4, v19
	v_add_nc_u32_e32 v18, v3, v18
	s_delay_alu instid0(VALU_DEP_1) | instskip(SKIP_1) | instid1(VALU_DEP_2)
	v_dual_cndmask_b32 v4, v4, v19 :: v_dual_cndmask_b32 v3, v3, v18
	v_cmp_lt_u32_e32 vcc_lo, 3, v20
	v_mov_b32_dpp v19, v4 row_shr:4 row_mask:0xf bank_mask:0xf
	s_delay_alu instid0(VALU_DEP_3) | instskip(NEXT) | instid1(VALU_DEP_1)
	v_mov_b32_dpp v18, v3 row_shr:4 row_mask:0xf bank_mask:0xf
	v_dual_cndmask_b32 v19, 0, v19 :: v_dual_cndmask_b32 v18, 0, v18
	s_delay_alu instid0(VALU_DEP_1) | instskip(NEXT) | instid1(VALU_DEP_2)
	v_add_nc_u32_e32 v4, v19, v4
	v_add_nc_u32_e32 v3, v18, v3
	ds_store_b64 v5, v[3:4]
.LBB662_91:
	s_or_b32 exec_lo, exec_lo, s2
	v_cmp_gt_u32_e32 vcc_lo, 32, v0
	v_cmp_lt_u32_e64 s2, 31, v0
	s_waitcnt lgkmcnt(0)
	s_barrier
	buffer_gl0_inv
                                        ; implicit-def: $vgpr19
	s_and_saveexec_b32 s6, s2
	s_delay_alu instid0(SALU_CYCLE_1)
	s_xor_b32 s2, exec_lo, s6
	s_cbranch_execz .LBB662_93
; %bb.92:
	v_lshl_add_u32 v3, v78, 3, -8
	ds_load_b64 v[18:19], v3
	s_waitcnt lgkmcnt(0)
	v_add_nc_u32_e32 v2, v19, v2
	v_add_nc_u32_e32 v1, v18, v1
.LBB662_93:
	s_and_not1_saveexec_b32 s2, s2
; %bb.94:
                                        ; implicit-def: $vgpr18
; %bb.95:
	s_delay_alu instid0(SALU_CYCLE_1) | instskip(SKIP_1) | instid1(VALU_DEP_1)
	s_or_b32 exec_lo, exec_lo, s2
	v_add_nc_u32_e32 v3, -1, v77
	v_cmp_gt_i32_e64 s2, 0, v3
	s_delay_alu instid0(VALU_DEP_1) | instskip(SKIP_1) | instid1(VALU_DEP_2)
	v_cndmask_b32_e64 v3, v3, v77, s2
	v_cmp_eq_u32_e64 s2, 0, v77
	v_lshlrev_b32_e32 v3, 2, v3
	ds_bpermute_b32 v84, v3, v1
	ds_bpermute_b32 v85, v3, v2
	s_and_saveexec_b32 s6, vcc_lo
	s_cbranch_execz .LBB662_118
; %bb.96:
	v_mov_b32_e32 v4, 0
	ds_load_b64 v[1:2], v4 offset:56
	s_waitcnt lgkmcnt(0)
	v_readfirstlane_b32 s7, v2
	s_and_saveexec_b32 s8, s2
	s_cbranch_execz .LBB662_98
; %bb.97:
	s_add_i32 s10, s15, 32
	s_mov_b32 s11, 0
	v_mov_b32_e32 v3, 1
	s_lshl_b64 s[12:13], s[10:11], 4
	s_mov_b32 s16, s11
	s_add_u32 s12, s4, s12
	s_addc_u32 s13, s5, s13
	s_and_b32 s17, s7, 0xff000000
	s_and_b32 s19, s7, 0xff0000
	s_mov_b32 s18, s11
	v_dual_mov_b32 v21, s13 :: v_dual_mov_b32 v20, s12
	s_or_b64 s[16:17], s[18:19], s[16:17]
	s_and_b32 s19, s7, 0xff00
	s_delay_alu instid0(SALU_CYCLE_1) | instskip(SKIP_1) | instid1(SALU_CYCLE_1)
	s_or_b64 s[16:17], s[16:17], s[18:19]
	s_and_b32 s19, s7, 0xff
	s_or_b64 s[10:11], s[16:17], s[18:19]
	s_delay_alu instid0(SALU_CYCLE_1)
	v_mov_b32_e32 v2, s11
	;;#ASMSTART
	global_store_dwordx4 v[20:21], v[1:4] off	
s_waitcnt vmcnt(0)
	;;#ASMEND
.LBB662_98:
	s_or_b32 exec_lo, exec_lo, s8
	v_xad_u32 v20, v77, -1, s15
	s_mov_b32 s9, 0
	s_mov_b32 s8, exec_lo
	s_delay_alu instid0(VALU_DEP_1) | instskip(NEXT) | instid1(VALU_DEP_1)
	v_add_nc_u32_e32 v3, 32, v20
	v_lshlrev_b64 v[2:3], 4, v[3:4]
	s_delay_alu instid0(VALU_DEP_1) | instskip(NEXT) | instid1(VALU_DEP_2)
	v_add_co_u32 v21, vcc_lo, s4, v2
	v_add_co_ci_u32_e32 v22, vcc_lo, s5, v3, vcc_lo
	;;#ASMSTART
	global_load_dwordx4 v[2:5], v[21:22] off glc	
s_waitcnt vmcnt(0)
	;;#ASMEND
	v_and_b32_e32 v5, 0xff, v3
	v_and_b32_e32 v23, 0xff00, v3
	v_or3_b32 v2, v2, 0, 0
	v_and_b32_e32 v24, 0xff000000, v3
	v_and_b32_e32 v3, 0xff0000, v3
	s_delay_alu instid0(VALU_DEP_4) | instskip(SKIP_2) | instid1(VALU_DEP_3)
	v_or3_b32 v5, 0, v5, v23
	v_and_b32_e32 v23, 0xff, v4
	v_or3_b32 v2, v2, 0, 0
	v_or3_b32 v3, v5, v3, v24
	s_delay_alu instid0(VALU_DEP_3)
	v_cmpx_eq_u16_e32 0, v23
	s_cbranch_execz .LBB662_104
; %bb.99:
	s_mov_b32 s10, 1
	.p2align	6
.LBB662_100:                            ; =>This Loop Header: Depth=1
                                        ;     Child Loop BB662_101 Depth 2
	s_delay_alu instid0(SALU_CYCLE_1)
	s_max_u32 s11, s10, 1
.LBB662_101:                            ;   Parent Loop BB662_100 Depth=1
                                        ; =>  This Inner Loop Header: Depth=2
	s_delay_alu instid0(SALU_CYCLE_1)
	s_add_i32 s11, s11, -1
	s_sleep 1
	s_cmp_eq_u32 s11, 0
	s_cbranch_scc0 .LBB662_101
; %bb.102:                              ;   in Loop: Header=BB662_100 Depth=1
	;;#ASMSTART
	global_load_dwordx4 v[2:5], v[21:22] off glc	
s_waitcnt vmcnt(0)
	;;#ASMEND
	v_and_b32_e32 v5, 0xff, v4
	s_cmp_lt_u32 s10, 32
	s_cselect_b32 s11, -1, 0
	s_delay_alu instid0(SALU_CYCLE_1) | instskip(NEXT) | instid1(VALU_DEP_1)
	s_cmp_lg_u32 s11, 0
	v_cmp_ne_u16_e32 vcc_lo, 0, v5
	s_addc_u32 s10, s10, 0
	s_or_b32 s9, vcc_lo, s9
	s_delay_alu instid0(SALU_CYCLE_1)
	s_and_not1_b32 exec_lo, exec_lo, s9
	s_cbranch_execnz .LBB662_100
; %bb.103:
	s_or_b32 exec_lo, exec_lo, s9
.LBB662_104:
	s_delay_alu instid0(SALU_CYCLE_1)
	s_or_b32 exec_lo, exec_lo, s8
	v_cmp_ne_u32_e32 vcc_lo, 31, v77
	v_lshlrev_b32_e64 v87, v77, -1
	v_add_nc_u32_e32 v91, 4, v77
	v_add_nc_u32_e32 v93, 8, v77
	;; [unrolled: 1-line block ×3, first 2 shown]
	v_add_co_ci_u32_e32 v5, vcc_lo, 0, v77, vcc_lo
	s_delay_alu instid0(VALU_DEP_1)
	v_lshlrev_b32_e32 v86, 2, v5
	ds_bpermute_b32 v21, v86, v3
	ds_bpermute_b32 v5, v86, v2
	s_waitcnt lgkmcnt(1)
	v_add_nc_u32_e32 v21, v21, v3
	v_and_b32_e32 v22, 0xff, v4
	s_waitcnt lgkmcnt(0)
	v_add_nc_u32_e32 v5, v5, v2
	s_delay_alu instid0(VALU_DEP_2) | instskip(SKIP_2) | instid1(VALU_DEP_2)
	v_cmp_eq_u16_e32 vcc_lo, 2, v22
	v_and_or_b32 v22, vcc_lo, v87, 0x80000000
	v_cmp_gt_u32_e32 vcc_lo, 30, v77
	v_ctz_i32_b32_e32 v22, v22
	v_cndmask_b32_e64 v23, 0, 1, vcc_lo
	s_delay_alu instid0(VALU_DEP_2) | instskip(NEXT) | instid1(VALU_DEP_2)
	v_cmp_lt_u32_e32 vcc_lo, v77, v22
	v_dual_cndmask_b32 v2, v2, v5 :: v_dual_lshlrev_b32 v23, 1, v23
	s_delay_alu instid0(VALU_DEP_1)
	v_add_lshl_u32 v88, v23, v77, 2
	v_cndmask_b32_e32 v3, v3, v21, vcc_lo
	v_cmp_gt_u32_e32 vcc_lo, 28, v77
	ds_bpermute_b32 v5, v88, v2
	ds_bpermute_b32 v21, v88, v3
	v_cndmask_b32_e64 v23, 0, 1, vcc_lo
	s_waitcnt lgkmcnt(1)
	v_add_nc_u32_e32 v5, v2, v5
	v_add_nc_u32_e32 v89, 2, v77
	s_waitcnt lgkmcnt(0)
	v_add_nc_u32_e32 v21, v3, v21
	s_delay_alu instid0(VALU_DEP_2) | instskip(SKIP_1) | instid1(VALU_DEP_3)
	v_cmp_gt_u32_e32 vcc_lo, v89, v22
	v_dual_cndmask_b32 v2, v5, v2 :: v_dual_lshlrev_b32 v23, 2, v23
	v_cndmask_b32_e32 v3, v21, v3, vcc_lo
	v_cmp_gt_u32_e32 vcc_lo, 24, v77
	s_delay_alu instid0(VALU_DEP_3)
	v_add_lshl_u32 v90, v23, v77, 2
	v_cndmask_b32_e64 v23, 0, 1, vcc_lo
	v_cmp_gt_u32_e32 vcc_lo, v91, v22
	ds_bpermute_b32 v5, v90, v2
	ds_bpermute_b32 v21, v90, v3
	v_lshlrev_b32_e32 v23, 3, v23
	s_delay_alu instid0(VALU_DEP_1) | instskip(SKIP_3) | instid1(VALU_DEP_1)
	v_add_lshl_u32 v92, v23, v77, 2
	s_waitcnt lgkmcnt(1)
	v_add_nc_u32_e32 v5, v2, v5
	s_waitcnt lgkmcnt(0)
	v_dual_cndmask_b32 v2, v5, v2 :: v_dual_add_nc_u32 v21, v3, v21
	s_delay_alu instid0(VALU_DEP_1)
	v_cndmask_b32_e32 v3, v21, v3, vcc_lo
	v_cmp_gt_u32_e32 vcc_lo, 16, v77
	ds_bpermute_b32 v5, v92, v2
	ds_bpermute_b32 v21, v92, v3
	v_cndmask_b32_e64 v23, 0, 1, vcc_lo
	v_cmp_gt_u32_e32 vcc_lo, v93, v22
	s_delay_alu instid0(VALU_DEP_2) | instskip(NEXT) | instid1(VALU_DEP_1)
	v_lshlrev_b32_e32 v23, 4, v23
	v_add_lshl_u32 v94, v23, v77, 2
	s_waitcnt lgkmcnt(1)
	v_add_nc_u32_e32 v5, v2, v5
	s_waitcnt lgkmcnt(0)
	s_delay_alu instid0(VALU_DEP_1) | instskip(NEXT) | instid1(VALU_DEP_1)
	v_dual_cndmask_b32 v2, v5, v2 :: v_dual_add_nc_u32 v21, v3, v21
	v_cndmask_b32_e32 v3, v21, v3, vcc_lo
	v_cmp_le_u32_e32 vcc_lo, v95, v22
	ds_bpermute_b32 v5, v94, v2
	ds_bpermute_b32 v21, v94, v3
	s_waitcnt lgkmcnt(1)
	v_cndmask_b32_e32 v5, 0, v5, vcc_lo
	s_waitcnt lgkmcnt(0)
	s_delay_alu instid0(VALU_DEP_1) | instskip(NEXT) | instid1(VALU_DEP_1)
	v_dual_cndmask_b32 v21, 0, v21 :: v_dual_add_nc_u32 v2, v5, v2
	v_add_nc_u32_e32 v3, v21, v3
	v_mov_b32_e32 v21, 0
	s_branch .LBB662_106
.LBB662_105:                            ;   in Loop: Header=BB662_106 Depth=1
	s_or_b32 exec_lo, exec_lo, s8
	ds_bpermute_b32 v5, v86, v2
	ds_bpermute_b32 v24, v86, v3
	v_subrev_nc_u32_e32 v20, 32, v20
	s_waitcnt lgkmcnt(1)
	v_add_nc_u32_e32 v5, v5, v2
	v_and_b32_e32 v25, 0xff, v4
	s_waitcnt lgkmcnt(0)
	v_add_nc_u32_e32 v24, v24, v3
	s_delay_alu instid0(VALU_DEP_2) | instskip(SKIP_1) | instid1(VALU_DEP_1)
	v_cmp_eq_u16_e32 vcc_lo, 2, v25
	v_and_or_b32 v25, vcc_lo, v87, 0x80000000
	v_ctz_i32_b32_e32 v25, v25
	s_delay_alu instid0(VALU_DEP_1)
	v_cmp_lt_u32_e32 vcc_lo, v77, v25
	v_cndmask_b32_e32 v2, v2, v5, vcc_lo
	ds_bpermute_b32 v5, v88, v2
	s_waitcnt lgkmcnt(0)
	v_add_nc_u32_e32 v5, v2, v5
	v_cndmask_b32_e32 v3, v3, v24, vcc_lo
	v_cmp_gt_u32_e32 vcc_lo, v89, v25
	s_delay_alu instid0(VALU_DEP_3)
	v_cndmask_b32_e32 v2, v5, v2, vcc_lo
	ds_bpermute_b32 v24, v88, v3
	ds_bpermute_b32 v5, v90, v2
	s_waitcnt lgkmcnt(1)
	v_add_nc_u32_e32 v24, v3, v24
	s_waitcnt lgkmcnt(0)
	v_add_nc_u32_e32 v5, v2, v5
	s_delay_alu instid0(VALU_DEP_2) | instskip(SKIP_1) | instid1(VALU_DEP_3)
	v_cndmask_b32_e32 v3, v24, v3, vcc_lo
	v_cmp_gt_u32_e32 vcc_lo, v91, v25
	v_cndmask_b32_e32 v2, v5, v2, vcc_lo
	ds_bpermute_b32 v24, v90, v3
	ds_bpermute_b32 v5, v92, v2
	s_waitcnt lgkmcnt(1)
	v_add_nc_u32_e32 v24, v3, v24
	s_waitcnt lgkmcnt(0)
	v_add_nc_u32_e32 v5, v2, v5
	s_delay_alu instid0(VALU_DEP_2) | instskip(SKIP_1) | instid1(VALU_DEP_3)
	v_cndmask_b32_e32 v3, v24, v3, vcc_lo
	v_cmp_gt_u32_e32 vcc_lo, v93, v25
	v_cndmask_b32_e32 v2, v5, v2, vcc_lo
	ds_bpermute_b32 v24, v92, v3
	ds_bpermute_b32 v5, v94, v2
	s_waitcnt lgkmcnt(1)
	v_add_nc_u32_e32 v24, v3, v24
	s_delay_alu instid0(VALU_DEP_1) | instskip(SKIP_4) | instid1(VALU_DEP_1)
	v_cndmask_b32_e32 v3, v24, v3, vcc_lo
	v_cmp_le_u32_e32 vcc_lo, v95, v25
	ds_bpermute_b32 v24, v94, v3
	s_waitcnt lgkmcnt(1)
	v_cndmask_b32_e32 v5, 0, v5, vcc_lo
	v_add3_u32 v2, v2, v22, v5
	s_waitcnt lgkmcnt(0)
	v_cndmask_b32_e32 v24, 0, v24, vcc_lo
	s_delay_alu instid0(VALU_DEP_1)
	v_add3_u32 v3, v3, v23, v24
.LBB662_106:                            ; =>This Loop Header: Depth=1
                                        ;     Child Loop BB662_109 Depth 2
                                        ;       Child Loop BB662_110 Depth 3
	s_delay_alu instid0(VALU_DEP_1) | instskip(SKIP_1) | instid1(VALU_DEP_2)
	v_dual_mov_b32 v23, v3 :: v_dual_and_b32 v4, 0xff, v4
	v_mov_b32_e32 v22, v2
	v_cmp_ne_u16_e32 vcc_lo, 2, v4
	v_cndmask_b32_e64 v4, 0, 1, vcc_lo
	;;#ASMSTART
	;;#ASMEND
	s_delay_alu instid0(VALU_DEP_1)
	v_cmp_ne_u32_e32 vcc_lo, 0, v4
	s_cmp_lg_u32 vcc_lo, exec_lo
	s_cbranch_scc1 .LBB662_113
; %bb.107:                              ;   in Loop: Header=BB662_106 Depth=1
	v_lshlrev_b64 v[2:3], 4, v[20:21]
	s_mov_b32 s8, exec_lo
	s_delay_alu instid0(VALU_DEP_1) | instskip(NEXT) | instid1(VALU_DEP_2)
	v_add_co_u32 v24, vcc_lo, s4, v2
	v_add_co_ci_u32_e32 v25, vcc_lo, s5, v3, vcc_lo
	;;#ASMSTART
	global_load_dwordx4 v[2:5], v[24:25] off glc	
s_waitcnt vmcnt(0)
	;;#ASMEND
	v_and_b32_e32 v5, 0xff, v3
	v_and_b32_e32 v96, 0xff00, v3
	v_or3_b32 v2, v2, 0, 0
	v_and_b32_e32 v97, 0xff000000, v3
	v_and_b32_e32 v3, 0xff0000, v3
	s_delay_alu instid0(VALU_DEP_4) | instskip(SKIP_2) | instid1(VALU_DEP_3)
	v_or3_b32 v5, 0, v5, v96
	v_and_b32_e32 v96, 0xff, v4
	v_or3_b32 v2, v2, 0, 0
	v_or3_b32 v3, v5, v3, v97
	s_delay_alu instid0(VALU_DEP_3)
	v_cmpx_eq_u16_e32 0, v96
	s_cbranch_execz .LBB662_105
; %bb.108:                              ;   in Loop: Header=BB662_106 Depth=1
	s_mov_b32 s10, 1
	s_mov_b32 s9, 0
	.p2align	6
.LBB662_109:                            ;   Parent Loop BB662_106 Depth=1
                                        ; =>  This Loop Header: Depth=2
                                        ;       Child Loop BB662_110 Depth 3
	s_max_u32 s11, s10, 1
.LBB662_110:                            ;   Parent Loop BB662_106 Depth=1
                                        ;     Parent Loop BB662_109 Depth=2
                                        ; =>    This Inner Loop Header: Depth=3
	s_delay_alu instid0(SALU_CYCLE_1)
	s_add_i32 s11, s11, -1
	s_sleep 1
	s_cmp_eq_u32 s11, 0
	s_cbranch_scc0 .LBB662_110
; %bb.111:                              ;   in Loop: Header=BB662_109 Depth=2
	;;#ASMSTART
	global_load_dwordx4 v[2:5], v[24:25] off glc	
s_waitcnt vmcnt(0)
	;;#ASMEND
	v_and_b32_e32 v5, 0xff, v4
	s_cmp_lt_u32 s10, 32
	s_cselect_b32 s11, -1, 0
	s_delay_alu instid0(SALU_CYCLE_1) | instskip(NEXT) | instid1(VALU_DEP_1)
	s_cmp_lg_u32 s11, 0
	v_cmp_ne_u16_e32 vcc_lo, 0, v5
	s_addc_u32 s10, s10, 0
	s_or_b32 s9, vcc_lo, s9
	s_delay_alu instid0(SALU_CYCLE_1)
	s_and_not1_b32 exec_lo, exec_lo, s9
	s_cbranch_execnz .LBB662_109
; %bb.112:                              ;   in Loop: Header=BB662_106 Depth=1
	s_or_b32 exec_lo, exec_lo, s9
	s_branch .LBB662_105
.LBB662_113:                            ;   in Loop: Header=BB662_106 Depth=1
                                        ; implicit-def: $vgpr4
                                        ; implicit-def: $vgpr2_vgpr3
	s_cbranch_execz .LBB662_106
; %bb.114:
	s_and_saveexec_b32 s8, s2
	s_cbranch_execnz .LBB662_357
; %bb.115:
	s_or_b32 exec_lo, exec_lo, s8
	s_and_saveexec_b32 s8, s2
	s_cbranch_execnz .LBB662_358
.LBB662_116:
	s_or_b32 exec_lo, exec_lo, s8
	v_cmp_eq_u32_e32 vcc_lo, 0, v0
	s_and_b32 exec_lo, exec_lo, vcc_lo
	s_cbranch_execz .LBB662_118
.LBB662_117:
	v_mov_b32_e32 v1, 0
	ds_store_b64 v1, v[22:23] offset:56
.LBB662_118:
	s_or_b32 exec_lo, exec_lo, s6
	v_cmp_eq_u32_e32 vcc_lo, 0, v0
	v_mov_b32_e32 v1, 0
	s_waitcnt lgkmcnt(0)
	s_barrier
	buffer_gl0_inv
	v_add_nc_u32_e64 v3, 0x3400, 0
	ds_load_b64 v[20:21], v1 offset:56
	s_waitcnt lgkmcnt(0)
	s_barrier
	buffer_gl0_inv
	ds_load_2addr_b32 v[1:2], v3 offset1:2
	ds_load_2addr_b32 v[3:4], v3 offset0:4 offset1:6
	v_cndmask_b32_e64 v5, v84, v18, s2
	v_cndmask_b32_e64 v18, v85, v19, s2
	s_delay_alu instid0(VALU_DEP_2) | instskip(NEXT) | instid1(VALU_DEP_1)
	v_add_nc_u32_e32 v19, v20, v5
	v_dual_cndmask_b32 v20, v19, v20 :: v_dual_add_nc_u32 v5, v21, v18
	s_delay_alu instid0(VALU_DEP_1)
	v_cndmask_b32_e32 v5, v5, v21, vcc_lo
	s_branch .LBB662_129
.LBB662_119:
                                        ; implicit-def: $vgpr5
                                        ; implicit-def: $vgpr3
                                        ; implicit-def: $vgpr1
                                        ; implicit-def: $vgpr20_vgpr21
	s_and_b32 vcc_lo, exec_lo, s6
	s_cbranch_vccz .LBB662_129
; %bb.120:
	s_waitcnt lgkmcnt(0)
	v_mov_b32_dpp v2, v83 row_shr:1 row_mask:0xf bank_mask:0xf
	v_cmp_lt_u32_e32 vcc_lo, 3, v81
	v_mov_b32_dpp v1, v82 row_shr:1 row_mask:0xf bank_mask:0xf
	s_delay_alu instid0(VALU_DEP_3) | instskip(NEXT) | instid1(VALU_DEP_1)
	v_add_nc_u32_e32 v2, v2, v83
	v_cndmask_b32_e64 v2, v2, v83, s1
	s_delay_alu instid0(VALU_DEP_1) | instskip(NEXT) | instid1(VALU_DEP_1)
	v_mov_b32_dpp v4, v2 row_shr:2 row_mask:0xf bank_mask:0xf
	v_add_nc_u32_e32 v4, v2, v4
	s_delay_alu instid0(VALU_DEP_1) | instskip(NEXT) | instid1(VALU_DEP_1)
	v_cndmask_b32_e64 v2, v2, v4, s0
	v_mov_b32_dpp v4, v2 row_shr:4 row_mask:0xf bank_mask:0xf
	s_delay_alu instid0(VALU_DEP_1) | instskip(NEXT) | instid1(VALU_DEP_1)
	v_add_nc_u32_e32 v4, v2, v4
	v_dual_cndmask_b32 v2, v2, v4 :: v_dual_add_nc_u32 v1, v1, v82
	s_delay_alu instid0(VALU_DEP_1) | instskip(NEXT) | instid1(VALU_DEP_2)
	v_cndmask_b32_e64 v1, v1, v82, s1
	v_mov_b32_dpp v4, v2 row_shr:8 row_mask:0xf bank_mask:0xf
	s_delay_alu instid0(VALU_DEP_2) | instskip(NEXT) | instid1(VALU_DEP_2)
	v_mov_b32_dpp v3, v1 row_shr:2 row_mask:0xf bank_mask:0xf
	v_add_nc_u32_e32 v4, v2, v4
	s_delay_alu instid0(VALU_DEP_2) | instskip(NEXT) | instid1(VALU_DEP_1)
	v_add_nc_u32_e32 v3, v1, v3
	v_cndmask_b32_e64 v1, v1, v3, s0
	s_mov_b32 s0, exec_lo
	s_delay_alu instid0(VALU_DEP_1) | instskip(NEXT) | instid1(VALU_DEP_1)
	v_mov_b32_dpp v3, v1 row_shr:4 row_mask:0xf bank_mask:0xf
	v_add_nc_u32_e32 v3, v1, v3
	s_delay_alu instid0(VALU_DEP_1) | instskip(SKIP_1) | instid1(VALU_DEP_2)
	v_cndmask_b32_e32 v1, v1, v3, vcc_lo
	v_cmp_lt_u32_e32 vcc_lo, 7, v81
	v_mov_b32_dpp v3, v1 row_shr:8 row_mask:0xf bank_mask:0xf
	s_delay_alu instid0(VALU_DEP_1) | instskip(NEXT) | instid1(VALU_DEP_1)
	v_dual_cndmask_b32 v2, v2, v4 :: v_dual_add_nc_u32 v3, v1, v3
	v_cndmask_b32_e32 v1, v1, v3, vcc_lo
	ds_swizzle_b32 v3, v2 offset:swizzle(BROADCAST,32,15)
	v_cmp_eq_u32_e32 vcc_lo, 0, v80
	ds_swizzle_b32 v4, v1 offset:swizzle(BROADCAST,32,15)
	s_waitcnt lgkmcnt(1)
	v_add_nc_u32_e32 v3, v2, v3
	s_waitcnt lgkmcnt(0)
	v_add_nc_u32_e32 v4, v1, v4
	s_delay_alu instid0(VALU_DEP_1)
	v_dual_cndmask_b32 v2, v3, v2 :: v_dual_cndmask_b32 v1, v4, v1
	v_cmpx_eq_u32_e64 v79, v0
	s_cbranch_execz .LBB662_122
; %bb.121:
	v_lshlrev_b32_e32 v3, 3, v78
	ds_store_b64 v3, v[1:2]
.LBB662_122:
	s_or_b32 exec_lo, exec_lo, s0
	s_delay_alu instid0(SALU_CYCLE_1)
	s_mov_b32 s0, exec_lo
	s_waitcnt lgkmcnt(0)
	s_barrier
	buffer_gl0_inv
	v_cmpx_gt_u32_e32 8, v0
	s_cbranch_execz .LBB662_124
; %bb.123:
	v_lshlrev_b32_e32 v5, 3, v0
	ds_load_b64 v[3:4], v5
	s_waitcnt lgkmcnt(0)
	v_mov_b32_dpp v18, v3 row_shr:1 row_mask:0xf bank_mask:0xf
	v_mov_b32_dpp v19, v4 row_shr:1 row_mask:0xf bank_mask:0xf
	s_delay_alu instid0(VALU_DEP_2) | instskip(SKIP_1) | instid1(VALU_DEP_3)
	v_add_nc_u32_e32 v18, v18, v3
	v_and_b32_e32 v20, 7, v77
	v_add_nc_u32_e32 v19, v19, v4
	s_delay_alu instid0(VALU_DEP_2) | instskip(NEXT) | instid1(VALU_DEP_2)
	v_cmp_eq_u32_e32 vcc_lo, 0, v20
	v_dual_cndmask_b32 v4, v19, v4 :: v_dual_cndmask_b32 v3, v18, v3
	v_cmp_lt_u32_e32 vcc_lo, 1, v20
	s_delay_alu instid0(VALU_DEP_2) | instskip(NEXT) | instid1(VALU_DEP_3)
	v_mov_b32_dpp v19, v4 row_shr:2 row_mask:0xf bank_mask:0xf
	v_mov_b32_dpp v18, v3 row_shr:2 row_mask:0xf bank_mask:0xf
	s_delay_alu instid0(VALU_DEP_2) | instskip(NEXT) | instid1(VALU_DEP_2)
	v_add_nc_u32_e32 v19, v4, v19
	v_add_nc_u32_e32 v18, v3, v18
	s_delay_alu instid0(VALU_DEP_1) | instskip(SKIP_1) | instid1(VALU_DEP_2)
	v_dual_cndmask_b32 v4, v4, v19 :: v_dual_cndmask_b32 v3, v3, v18
	v_cmp_lt_u32_e32 vcc_lo, 3, v20
	v_mov_b32_dpp v19, v4 row_shr:4 row_mask:0xf bank_mask:0xf
	s_delay_alu instid0(VALU_DEP_3) | instskip(NEXT) | instid1(VALU_DEP_1)
	v_mov_b32_dpp v18, v3 row_shr:4 row_mask:0xf bank_mask:0xf
	v_dual_cndmask_b32 v19, 0, v19 :: v_dual_cndmask_b32 v18, 0, v18
	s_delay_alu instid0(VALU_DEP_1) | instskip(NEXT) | instid1(VALU_DEP_2)
	v_add_nc_u32_e32 v4, v19, v4
	v_add_nc_u32_e32 v3, v18, v3
	ds_store_b64 v5, v[3:4]
.LBB662_124:
	s_or_b32 exec_lo, exec_lo, s0
	v_dual_mov_b32 v3, 0 :: v_dual_mov_b32 v18, 0
	v_mov_b32_e32 v19, 0
	s_mov_b32 s0, exec_lo
	s_waitcnt lgkmcnt(0)
	s_barrier
	buffer_gl0_inv
	v_cmpx_lt_u32_e32 31, v0
	s_cbranch_execz .LBB662_126
; %bb.125:
	v_lshl_add_u32 v4, v78, 3, -8
	ds_load_b64 v[18:19], v4
.LBB662_126:
	s_or_b32 exec_lo, exec_lo, s0
	v_add_nc_u32_e32 v4, -1, v77
	s_waitcnt lgkmcnt(0)
	v_add_nc_u32_e32 v20, v19, v2
	v_add_nc_u32_e32 v5, v18, v1
	ds_load_b64 v[1:2], v3 offset:56
	v_cmp_gt_i32_e32 vcc_lo, 0, v4
	v_cndmask_b32_e32 v4, v4, v77, vcc_lo
	v_cmp_eq_u32_e32 vcc_lo, 0, v0
	s_delay_alu instid0(VALU_DEP_2)
	v_lshlrev_b32_e32 v4, 2, v4
	ds_bpermute_b32 v5, v4, v5
	ds_bpermute_b32 v20, v4, v20
	s_waitcnt lgkmcnt(2)
	v_readfirstlane_b32 s1, v2
	s_and_saveexec_b32 s0, vcc_lo
	s_cbranch_execz .LBB662_128
; %bb.127:
	s_mov_b32 s6, 0
	s_add_u32 s4, s4, 0x200
	s_addc_u32 s5, s5, 0
	s_and_b32 s7, s1, 0xff000000
	s_and_b32 s9, s1, 0xff0000
	s_mov_b32 s8, s6
	v_mov_b32_e32 v22, s5
	s_or_b64 s[8:9], s[8:9], s[6:7]
	s_and_b32 s7, s1, 0xff00
	v_dual_mov_b32 v4, 0 :: v_dual_mov_b32 v21, s4
	s_or_b64 s[8:9], s[8:9], s[6:7]
	s_and_b32 s7, s1, 0xff
	v_mov_b32_e32 v3, 2
	s_or_b64 s[6:7], s[8:9], s[6:7]
	s_delay_alu instid0(SALU_CYCLE_1)
	v_mov_b32_e32 v2, s7
	;;#ASMSTART
	global_store_dwordx4 v[21:22], v[1:4] off	
s_waitcnt vmcnt(0)
	;;#ASMEND
.LBB662_128:
	s_or_b32 exec_lo, exec_lo, s0
	v_cmp_eq_u32_e64 s0, 0, v77
	v_dual_mov_b32 v3, 0 :: v_dual_mov_b32 v2, s1
	s_waitcnt lgkmcnt(0)
	s_barrier
	s_delay_alu instid0(VALU_DEP_2)
	v_cndmask_b32_e64 v4, v5, v18, s0
	v_cndmask_b32_e64 v5, v20, v19, s0
	buffer_gl0_inv
	v_cndmask_b32_e64 v20, v4, 0, vcc_lo
	v_cndmask_b32_e64 v5, v5, 0, vcc_lo
	v_mov_b32_e32 v4, 0
.LBB662_129:
	v_and_b32_e32 v30, 1, v30
	v_and_b32_e32 v34, 1, v34
	;; [unrolled: 1-line block ×4, first 2 shown]
	s_waitcnt lgkmcnt(0)
	v_add_co_u32 v18, s0, s28, v3
	v_cmp_eq_u32_e32 vcc_lo, 1, v30
	v_add_nc_u32_e32 v22, v5, v76
	v_sub_nc_u32_e32 v5, v5, v4
	v_add_co_ci_u32_e64 v19, null, s29, 0, s0
	s_mov_b32 s2, -1
	s_delay_alu instid0(VALU_DEP_3) | instskip(SKIP_3) | instid1(VALU_DEP_3)
	v_add_nc_u32_e32 v24, v22, v72
	v_sub_nc_u32_e32 v22, v22, v4
	v_add_nc_u32_e32 v5, v5, v1
	v_sub_co_u32 v72, s0, s30, v1
	v_add_nc_u32_e32 v22, v22, v1
	v_add_nc_u32_e32 v21, v20, v75
	v_sub_nc_u32_e32 v20, v20, v3
	s_delay_alu instid0(VALU_DEP_2)
	v_add_nc_u32_e32 v23, v21, v71
	v_add_nc_u32_e32 v71, v24, v74
	v_lshlrev_b32_e32 v74, 1, v1
	v_sub_nc_u32_e32 v21, v21, v3
	v_add_nc_u32_e32 v75, v20, v5
	v_sub_nc_u32_e32 v24, v24, v4
	s_delay_alu instid0(VALU_DEP_4) | instskip(NEXT) | instid1(VALU_DEP_4)
	v_add3_u32 v28, v74, v2, v28
	v_add_nc_u32_e32 v76, v22, v21
	s_delay_alu instid0(VALU_DEP_3) | instskip(NEXT) | instid1(VALU_DEP_3)
	v_add_nc_u32_e32 v24, v24, v1
	v_sub_nc_u32_e32 v75, v28, v75
	s_delay_alu instid0(VALU_DEP_3) | instskip(NEXT) | instid1(VALU_DEP_1)
	v_sub_nc_u32_e32 v76, v28, v76
	v_dual_cndmask_b32 v5, v75, v5 :: v_dual_add_nc_u32 v30, 1, v76
	v_cmp_eq_u32_e32 vcc_lo, 1, v34
	s_delay_alu instid0(VALU_DEP_2) | instskip(SKIP_1) | instid1(VALU_DEP_4)
	v_cndmask_b32_e32 v22, v30, v22, vcc_lo
	v_cmp_eq_u32_e32 vcc_lo, 1, v29
	v_cndmask_b32_e32 v5, v5, v20, vcc_lo
	v_and_b32_e32 v20, 1, v36
	v_cmp_eq_u32_e32 vcc_lo, 1, v33
	s_delay_alu instid0(VALU_DEP_3) | instskip(SKIP_1) | instid1(VALU_DEP_4)
	v_lshlrev_b32_e32 v5, 2, v5
	v_cndmask_b32_e32 v21, v22, v21, vcc_lo
	v_cmp_eq_u32_e32 vcc_lo, 1, v20
	v_add_nc_u32_e32 v25, v23, v73
	v_sub_nc_u32_e32 v23, v23, v3
	v_and_b32_e32 v22, 1, v31
	v_sub_co_ci_u32_e64 v73, null, s31, 0, s0
	v_and_b32_e32 v31, 1, v32
	s_delay_alu instid0(VALU_DEP_4) | instskip(NEXT) | instid1(VALU_DEP_1)
	v_add_nc_u32_e32 v77, v24, v23
	v_sub_nc_u32_e32 v75, v28, v77
	s_delay_alu instid0(VALU_DEP_1) | instskip(NEXT) | instid1(VALU_DEP_1)
	v_add_nc_u32_e32 v29, 2, v75
	v_cndmask_b32_e32 v20, v29, v24, vcc_lo
	v_sub_nc_u32_e32 v24, v71, v4
	v_cmp_eq_u32_e32 vcc_lo, 1, v22
	v_add_nc_u32_e32 v69, v25, v69
	v_lshlrev_b32_e32 v29, 2, v21
	ds_store_b32 v5, v16
	ds_store_b32 v29, v17
	v_cndmask_b32_e32 v22, v20, v23, vcc_lo
	v_sub_nc_u32_e32 v23, v25, v3
	v_add_nc_u32_e32 v24, v24, v1
	v_add_co_u32 v20, vcc_lo, v72, v4
	s_delay_alu instid0(VALU_DEP_4) | instskip(SKIP_1) | instid1(VALU_DEP_4)
	v_lshlrev_b32_e32 v5, 2, v22
	v_and_b32_e32 v22, 1, v35
	v_add_nc_u32_e32 v25, v23, v24
	v_add_co_ci_u32_e32 v21, vcc_lo, 0, v73, vcc_lo
	ds_store_b32 v5, v14
	v_cmp_eq_u32_e32 vcc_lo, 1, v22
	v_sub_nc_u32_e32 v17, v28, v25
	v_sub_nc_u32_e32 v29, v69, v3
	v_add_nc_u32_e32 v67, v69, v67
	s_delay_alu instid0(VALU_DEP_3) | instskip(NEXT) | instid1(VALU_DEP_2)
	v_add_nc_u32_e32 v17, 3, v17
	v_sub_nc_u32_e32 v30, v67, v3
	s_delay_alu instid0(VALU_DEP_2) | instskip(SKIP_2) | instid1(VALU_DEP_3)
	v_cndmask_b32_e32 v17, v17, v24, vcc_lo
	v_cmp_eq_u32_e32 vcc_lo, 1, v31
	v_and_b32_e32 v24, 1, v39
	v_cndmask_b32_e32 v14, v17, v23, vcc_lo
	v_add_nc_u32_e32 v70, v71, v70
	v_and_b32_e32 v23, 1, v38
	s_delay_alu instid0(VALU_DEP_3) | instskip(NEXT) | instid1(VALU_DEP_3)
	v_lshlrev_b32_e32 v14, 2, v14
	v_add_nc_u32_e32 v68, v70, v68
	v_sub_nc_u32_e32 v16, v70, v4
	ds_store_b32 v14, v15
	v_sub_nc_u32_e32 v25, v68, v4
	v_add_nc_u32_e32 v16, v16, v1
	s_delay_alu instid0(VALU_DEP_2) | instskip(NEXT) | instid1(VALU_DEP_2)
	v_add_nc_u32_e32 v25, v25, v1
	v_add_nc_u32_e32 v32, v29, v16
	s_delay_alu instid0(VALU_DEP_2) | instskip(NEXT) | instid1(VALU_DEP_2)
	v_add_nc_u32_e32 v22, v30, v25
	v_sub_nc_u32_e32 v5, v28, v32
	s_delay_alu instid0(VALU_DEP_2) | instskip(SKIP_1) | instid1(VALU_DEP_3)
	v_sub_nc_u32_e32 v17, v28, v22
	v_and_b32_e32 v22, 1, v37
	v_add_nc_u32_e32 v5, 4, v5
	s_delay_alu instid0(VALU_DEP_3) | instskip(NEXT) | instid1(VALU_DEP_3)
	v_add_nc_u32_e32 v17, 5, v17
	v_cmp_eq_u32_e32 vcc_lo, 1, v22
	s_delay_alu instid0(VALU_DEP_3)
	v_cndmask_b32_e32 v5, v5, v16, vcc_lo
	v_cmp_eq_u32_e32 vcc_lo, 1, v24
	v_and_b32_e32 v16, 1, v41
	v_cndmask_b32_e32 v17, v17, v25, vcc_lo
	v_cmp_eq_u32_e32 vcc_lo, 1, v23
	v_cndmask_b32_e32 v5, v5, v29, vcc_lo
	s_delay_alu instid0(VALU_DEP_4) | instskip(SKIP_1) | instid1(VALU_DEP_3)
	v_cmp_eq_u32_e32 vcc_lo, 1, v16
	v_add_nc_u32_e32 v66, v68, v66
	v_dual_cndmask_b32 v16, v17, v30 :: v_dual_lshlrev_b32 v5, 2, v5
	s_delay_alu instid0(VALU_DEP_2) | instskip(SKIP_1) | instid1(VALU_DEP_3)
	v_sub_nc_u32_e32 v22, v66, v4
	v_add_nc_u32_e32 v62, v66, v62
	v_lshlrev_b32_e32 v16, 2, v16
	ds_store_b32 v5, v12
	ds_store_b32 v16, v13
	v_and_b32_e32 v12, 1, v40
	v_add_nc_u32_e32 v22, v22, v1
	v_add_nc_u32_e32 v64, v62, v64
	v_sub_nc_u32_e32 v17, v62, v4
	v_and_b32_e32 v16, 1, v43
	v_cmp_eq_u32_e32 vcc_lo, 1, v12
	v_add_nc_u32_e32 v65, v67, v65
	v_sub_nc_u32_e32 v15, v64, v4
	v_add_nc_u32_e32 v17, v17, v1
	s_delay_alu instid0(VALU_DEP_3) | instskip(NEXT) | instid1(VALU_DEP_3)
	v_sub_nc_u32_e32 v23, v65, v3
	v_add_nc_u32_e32 v15, v15, v1
	s_delay_alu instid0(VALU_DEP_2) | instskip(NEXT) | instid1(VALU_DEP_1)
	v_add_nc_u32_e32 v24, v23, v22
	v_sub_nc_u32_e32 v14, v28, v24
	v_and_b32_e32 v24, 1, v48
	s_delay_alu instid0(VALU_DEP_2) | instskip(SKIP_1) | instid1(VALU_DEP_2)
	v_add_nc_u32_e32 v13, 6, v14
	v_and_b32_e32 v14, 1, v42
	v_cndmask_b32_e32 v12, v13, v22, vcc_lo
	v_add_nc_u32_e32 v61, v65, v61
	s_delay_alu instid0(VALU_DEP_3) | instskip(SKIP_1) | instid1(VALU_DEP_3)
	v_cmp_eq_u32_e32 vcc_lo, 1, v14
	v_and_b32_e32 v22, 1, v44
	v_sub_nc_u32_e32 v25, v61, v3
	v_add_nc_u32_e32 v63, v61, v63
	v_cndmask_b32_e32 v12, v12, v23, vcc_lo
	v_cmp_eq_u32_e32 vcc_lo, 1, v16
	v_and_b32_e32 v23, 1, v46
	v_add_nc_u32_e32 v5, v25, v17
	v_sub_nc_u32_e32 v13, v63, v3
	v_lshlrev_b32_e32 v12, 2, v12
	v_add_nc_u32_e32 v59, v63, v59
	s_delay_alu instid0(VALU_DEP_4) | instskip(NEXT) | instid1(VALU_DEP_4)
	v_sub_nc_u32_e32 v5, v28, v5
	v_add_nc_u32_e32 v14, v13, v15
	s_delay_alu instid0(VALU_DEP_3) | instskip(NEXT) | instid1(VALU_DEP_3)
	v_add_nc_u32_e32 v57, v59, v57
	v_add_nc_u32_e32 v5, 7, v5
	s_delay_alu instid0(VALU_DEP_3) | instskip(NEXT) | instid1(VALU_DEP_3)
	v_sub_nc_u32_e32 v14, v28, v14
	v_add_nc_u32_e32 v55, v57, v55
	s_delay_alu instid0(VALU_DEP_3)
	v_cndmask_b32_e32 v5, v5, v17, vcc_lo
	v_cmp_eq_u32_e32 vcc_lo, 1, v22
	v_and_b32_e32 v17, 1, v45
	v_add_nc_u32_e32 v14, 8, v14
	v_sub_nc_u32_e32 v22, v59, v3
	v_add_nc_u32_e32 v53, v55, v53
	v_cndmask_b32_e32 v5, v5, v25, vcc_lo
	v_cmp_eq_u32_e32 vcc_lo, 1, v17
	v_sub_nc_u32_e32 v17, v55, v3
	v_and_b32_e32 v25, 1, v52
	s_delay_alu instid0(VALU_DEP_4)
	v_dual_cndmask_b32 v14, v14, v15 :: v_dual_lshlrev_b32 v5, 2, v5
	v_cmp_eq_u32_e32 vcc_lo, 1, v23
	v_add_nc_u32_e32 v60, v64, v60
	ds_store_b32 v12, v10
	ds_store_b32 v5, v11
	v_and_b32_e32 v11, 1, v49
	v_cndmask_b32_e32 v5, v14, v13, vcc_lo
	v_sub_nc_u32_e32 v16, v60, v4
	v_add_nc_u32_e32 v58, v60, v58
	v_and_b32_e32 v13, 1, v47
	s_delay_alu instid0(VALU_DEP_4) | instskip(NEXT) | instid1(VALU_DEP_4)
	v_lshlrev_b32_e32 v5, 2, v5
	v_add_nc_u32_e32 v16, v16, v1
	s_delay_alu instid0(VALU_DEP_4) | instskip(SKIP_2) | instid1(VALU_DEP_4)
	v_add_nc_u32_e32 v56, v58, v56
	v_sub_nc_u32_e32 v12, v58, v4
	v_cmp_eq_u32_e32 vcc_lo, 1, v13
	v_add_nc_u32_e32 v15, v22, v16
	s_delay_alu instid0(VALU_DEP_4) | instskip(NEXT) | instid1(VALU_DEP_4)
	v_sub_nc_u32_e32 v14, v56, v4
	v_add_nc_u32_e32 v12, v12, v1
	v_add_nc_u32_e32 v54, v56, v54
	s_delay_alu instid0(VALU_DEP_4) | instskip(SKIP_2) | instid1(VALU_DEP_4)
	v_sub_nc_u32_e32 v10, v28, v15
	v_sub_nc_u32_e32 v15, v57, v3
	v_add_nc_u32_e32 v14, v14, v1
	v_sub_nc_u32_e32 v23, v54, v4
	v_sub_nc_u32_e32 v3, v53, v3
	v_add_nc_u32_e32 v10, 9, v10
	v_add_nc_u32_e32 v13, v15, v12
	s_delay_alu instid0(VALU_DEP_2) | instskip(SKIP_2) | instid1(VALU_DEP_4)
	v_dual_cndmask_b32 v10, v10, v16 :: v_dual_add_nc_u32 v23, v23, v1
	v_add_nc_u32_e32 v16, v17, v14
	v_cmp_eq_u32_e32 vcc_lo, 1, v11
	v_sub_nc_u32_e32 v11, v28, v13
	v_and_b32_e32 v13, 1, v50
	s_delay_alu instid0(VALU_DEP_4) | instskip(NEXT) | instid1(VALU_DEP_3)
	v_sub_nc_u32_e32 v16, v28, v16
	v_dual_cndmask_b32 v10, v10, v22 :: v_dual_add_nc_u32 v11, 10, v11
	v_cmp_eq_u32_e32 vcc_lo, 1, v24
	v_add_nc_u32_e32 v22, v3, v23
	s_delay_alu instid0(VALU_DEP_4) | instskip(NEXT) | instid1(VALU_DEP_4)
	v_add_nc_u32_e32 v16, 11, v16
	v_dual_cndmask_b32 v11, v11, v12 :: v_dual_lshlrev_b32 v10, 2, v10
	v_cmp_eq_u32_e32 vcc_lo, 1, v25
	s_delay_alu instid0(VALU_DEP_4) | instskip(SKIP_3) | instid1(VALU_DEP_4)
	v_sub_nc_u32_e32 v22, v28, v22
	v_and_b32_e32 v12, 1, v51
	v_cndmask_b32_e32 v14, v16, v14, vcc_lo
	v_cmp_eq_u32_e32 vcc_lo, 1, v13
	v_dual_cndmask_b32 v11, v11, v15 :: v_dual_add_nc_u32 v16, 12, v22
	s_delay_alu instid0(VALU_DEP_4) | instskip(NEXT) | instid1(VALU_DEP_2)
	v_cmp_eq_u32_e32 vcc_lo, 1, v12
	v_cndmask_b32_e64 v13, v16, v23, s43
	s_delay_alu instid0(VALU_DEP_3) | instskip(NEXT) | instid1(VALU_DEP_2)
	v_dual_cndmask_b32 v12, v14, v17 :: v_dual_lshlrev_b32 v11, 2, v11
	v_cndmask_b32_e64 v3, v13, v3, s42
	s_delay_alu instid0(VALU_DEP_2)
	v_lshlrev_b32_e32 v12, 2, v12
	ds_store_b32 v5, v8
	ds_store_b32 v10, v9
	;; [unrolled: 1-line block ×4, first 2 shown]
	v_lshlrev_b32_e32 v3, 2, v3
	v_add_co_u32 v5, s0, v2, v74
	s_delay_alu instid0(VALU_DEP_1) | instskip(SKIP_4) | instid1(VALU_DEP_2)
	v_add_co_ci_u32_e64 v6, null, 0, 0, s0
	ds_store_b32 v3, v27
	v_add_co_u32 v3, vcc_lo, v5, v20
	v_add_co_ci_u32_e32 v5, vcc_lo, v6, v21, vcc_lo
	s_add_u32 s0, s34, s33
	v_add_co_u32 v3, vcc_lo, v3, v18
	s_delay_alu instid0(VALU_DEP_2) | instskip(SKIP_1) | instid1(VALU_DEP_2)
	v_add_co_ci_u32_e32 v5, vcc_lo, v5, v19, vcc_lo
	s_addc_u32 s1, s35, 0
	v_sub_co_u32 v3, vcc_lo, s0, v3
	s_delay_alu instid0(VALU_DEP_2)
	v_sub_co_ci_u32_e32 v9, vcc_lo, s1, v5, vcc_lo
	v_lshlrev_b64 v[5:6], 2, v[20:21]
	v_lshlrev_b64 v[7:8], 2, v[18:19]
	v_add_nc_u32_e32 v10, v1, v2
	s_add_u32 s1, s26, -4
	s_waitcnt lgkmcnt(0)
	s_barrier
	v_add_co_u32 v5, vcc_lo, s38, v5
	v_add_co_ci_u32_e32 v6, vcc_lo, s39, v6, vcc_lo
	v_cmp_ne_u32_e32 vcc_lo, 1, v26
	v_add_co_u32 v7, s0, s36, v7
	s_delay_alu instid0(VALU_DEP_1)
	v_add_co_ci_u32_e64 v8, s0, s37, v8, s0
	s_addc_u32 s0, s27, -1
	buffer_gl0_inv
	s_cbranch_vccz .LBB662_133
; %bb.130:
	s_and_b32 vcc_lo, exec_lo, s2
	s_cbranch_vccnz .LBB662_238
.LBB662_131:
	v_cmp_eq_u32_e32 vcc_lo, 0, v0
	s_and_b32 s0, vcc_lo, s14
	s_delay_alu instid0(SALU_CYCLE_1)
	s_and_saveexec_b32 s1, s0
	s_cbranch_execnz .LBB662_356
.LBB662_132:
	s_nop 0
	s_sendmsg sendmsg(MSG_DEALLOC_VGPRS)
	s_endpgm
.LBB662_133:
	s_mov_b32 s2, exec_lo
	v_cmpx_le_u32_e64 v1, v0
	s_xor_b32 s2, exec_lo, s2
	s_cbranch_execz .LBB662_139
; %bb.134:
	s_mov_b32 s4, exec_lo
	v_cmpx_le_u32_e64 v10, v0
	s_xor_b32 s4, exec_lo, s4
	s_cbranch_execz .LBB662_136
; %bb.135:
	v_lshlrev_b32_e32 v11, 2, v0
	ds_load_b32 v13, v11
	v_add_co_u32 v11, vcc_lo, v3, v0
	v_add_co_ci_u32_e32 v12, vcc_lo, 0, v9, vcc_lo
	s_delay_alu instid0(VALU_DEP_1) | instskip(NEXT) | instid1(VALU_DEP_1)
	v_lshlrev_b64 v[11:12], 2, v[11:12]
	v_sub_co_u32 v11, vcc_lo, s26, v11
	s_delay_alu instid0(VALU_DEP_2)
	v_sub_co_ci_u32_e32 v12, vcc_lo, s27, v12, vcc_lo
	s_waitcnt lgkmcnt(0)
	global_store_b32 v[11:12], v13, off offset:-4
.LBB662_136:
	s_and_not1_saveexec_b32 s4, s4
	s_cbranch_execz .LBB662_138
; %bb.137:
	v_lshlrev_b32_e32 v11, 2, v0
	v_readfirstlane_b32 s6, v5
	v_readfirstlane_b32 s7, v6
	ds_load_b32 v12, v11
	s_waitcnt lgkmcnt(0)
	global_store_b32 v11, v12, s[6:7]
.LBB662_138:
	s_or_b32 exec_lo, exec_lo, s4
.LBB662_139:
	s_and_not1_saveexec_b32 s2, s2
	s_cbranch_execz .LBB662_141
; %bb.140:
	v_lshlrev_b32_e32 v11, 2, v0
	v_readfirstlane_b32 s4, v7
	v_readfirstlane_b32 s5, v8
	ds_load_b32 v12, v11
	s_waitcnt lgkmcnt(0)
	global_store_b32 v11, v12, s[4:5]
.LBB662_141:
	s_or_b32 exec_lo, exec_lo, s2
	v_or_b32_e32 v11, 0x100, v0
	s_mov_b32 s2, exec_lo
	s_delay_alu instid0(VALU_DEP_1)
	v_cmpx_le_u32_e64 v1, v11
	s_xor_b32 s2, exec_lo, s2
	s_cbranch_execz .LBB662_147
; %bb.142:
	s_mov_b32 s4, exec_lo
	v_cmpx_le_u32_e64 v10, v11
	s_xor_b32 s4, exec_lo, s4
	s_cbranch_execz .LBB662_144
; %bb.143:
	v_lshlrev_b32_e32 v11, 2, v0
	ds_load_b32 v13, v11 offset:1024
	v_add_co_u32 v11, vcc_lo, v3, v0
	v_add_co_ci_u32_e32 v12, vcc_lo, 0, v9, vcc_lo
	s_delay_alu instid0(VALU_DEP_1) | instskip(NEXT) | instid1(VALU_DEP_1)
	v_lshlrev_b64 v[11:12], 2, v[11:12]
	v_sub_co_u32 v11, vcc_lo, s1, v11
	s_delay_alu instid0(VALU_DEP_2)
	v_sub_co_ci_u32_e32 v12, vcc_lo, s0, v12, vcc_lo
	s_waitcnt lgkmcnt(0)
	global_store_b32 v[11:12], v13, off offset:-1024
.LBB662_144:
	s_and_not1_saveexec_b32 s4, s4
	s_cbranch_execz .LBB662_146
; %bb.145:
	v_lshlrev_b32_e32 v11, 2, v0
	v_readfirstlane_b32 s6, v5
	v_readfirstlane_b32 s7, v6
	ds_load_b32 v12, v11 offset:1024
	s_waitcnt lgkmcnt(0)
	global_store_b32 v11, v12, s[6:7] offset:1024
.LBB662_146:
	s_or_b32 exec_lo, exec_lo, s4
.LBB662_147:
	s_and_not1_saveexec_b32 s2, s2
	s_cbranch_execz .LBB662_149
; %bb.148:
	v_lshlrev_b32_e32 v11, 2, v0
	v_readfirstlane_b32 s4, v7
	v_readfirstlane_b32 s5, v8
	ds_load_b32 v12, v11 offset:1024
	s_waitcnt lgkmcnt(0)
	global_store_b32 v11, v12, s[4:5] offset:1024
.LBB662_149:
	s_or_b32 exec_lo, exec_lo, s2
	v_or_b32_e32 v11, 0x200, v0
	s_mov_b32 s2, exec_lo
	s_delay_alu instid0(VALU_DEP_1)
	v_cmpx_le_u32_e64 v1, v11
	s_xor_b32 s2, exec_lo, s2
	s_cbranch_execz .LBB662_155
; %bb.150:
	s_mov_b32 s4, exec_lo
	v_cmpx_le_u32_e64 v10, v11
	s_xor_b32 s4, exec_lo, s4
	s_cbranch_execz .LBB662_152
; %bb.151:
	v_lshlrev_b32_e32 v11, 2, v0
	ds_load_b32 v13, v11 offset:2048
	v_add_co_u32 v11, vcc_lo, v3, v0
	v_add_co_ci_u32_e32 v12, vcc_lo, 0, v9, vcc_lo
	s_delay_alu instid0(VALU_DEP_1) | instskip(NEXT) | instid1(VALU_DEP_1)
	v_lshlrev_b64 v[11:12], 2, v[11:12]
	v_sub_co_u32 v11, vcc_lo, s1, v11
	s_delay_alu instid0(VALU_DEP_2)
	v_sub_co_ci_u32_e32 v12, vcc_lo, s0, v12, vcc_lo
	s_waitcnt lgkmcnt(0)
	global_store_b32 v[11:12], v13, off offset:-2048
.LBB662_152:
	s_and_not1_saveexec_b32 s4, s4
	s_cbranch_execz .LBB662_154
; %bb.153:
	v_lshlrev_b32_e32 v11, 2, v0
	v_readfirstlane_b32 s6, v5
	v_readfirstlane_b32 s7, v6
	ds_load_b32 v12, v11 offset:2048
	s_waitcnt lgkmcnt(0)
	global_store_b32 v11, v12, s[6:7] offset:2048
.LBB662_154:
	s_or_b32 exec_lo, exec_lo, s4
.LBB662_155:
	s_and_not1_saveexec_b32 s2, s2
	s_cbranch_execz .LBB662_157
; %bb.156:
	v_lshlrev_b32_e32 v11, 2, v0
	v_readfirstlane_b32 s4, v7
	v_readfirstlane_b32 s5, v8
	ds_load_b32 v12, v11 offset:2048
	s_waitcnt lgkmcnt(0)
	global_store_b32 v11, v12, s[4:5] offset:2048
.LBB662_157:
	;; [unrolled: 47-line block ×3, first 2 shown]
	s_or_b32 exec_lo, exec_lo, s2
	v_or_b32_e32 v11, 0x400, v0
	s_mov_b32 s2, exec_lo
	s_delay_alu instid0(VALU_DEP_1)
	v_cmpx_le_u32_e64 v1, v11
	s_xor_b32 s2, exec_lo, s2
	s_cbranch_execz .LBB662_171
; %bb.166:
	s_mov_b32 s4, exec_lo
	v_cmpx_le_u32_e64 v10, v11
	s_xor_b32 s4, exec_lo, s4
	s_cbranch_execz .LBB662_168
; %bb.167:
	v_lshlrev_b32_e32 v11, 2, v0
	ds_load_b32 v13, v11 offset:4096
	v_add_co_u32 v11, vcc_lo, v3, v0
	v_add_co_ci_u32_e32 v12, vcc_lo, 0, v9, vcc_lo
	s_delay_alu instid0(VALU_DEP_1) | instskip(NEXT) | instid1(VALU_DEP_1)
	v_lshlrev_b64 v[11:12], 2, v[11:12]
	v_sub_co_u32 v11, vcc_lo, s1, v11
	s_delay_alu instid0(VALU_DEP_2)
	v_sub_co_ci_u32_e32 v12, vcc_lo, s0, v12, vcc_lo
	s_waitcnt lgkmcnt(0)
	global_store_b32 v[11:12], v13, off offset:-4096
                                        ; implicit-def: $vgpr11
.LBB662_168:
	s_and_not1_saveexec_b32 s4, s4
	s_cbranch_execz .LBB662_170
; %bb.169:
	v_lshlrev_b32_e32 v12, 2, v0
	v_lshlrev_b32_e32 v11, 2, v11
	v_readfirstlane_b32 s6, v5
	v_readfirstlane_b32 s7, v6
	ds_load_b32 v12, v12 offset:4096
	s_waitcnt lgkmcnt(0)
	global_store_b32 v11, v12, s[6:7]
.LBB662_170:
	s_or_b32 exec_lo, exec_lo, s4
                                        ; implicit-def: $vgpr11
.LBB662_171:
	s_and_not1_saveexec_b32 s2, s2
	s_cbranch_execz .LBB662_173
; %bb.172:
	v_lshlrev_b32_e32 v12, 2, v0
	v_lshlrev_b32_e32 v11, 2, v11
	v_readfirstlane_b32 s4, v7
	v_readfirstlane_b32 s5, v8
	ds_load_b32 v12, v12 offset:4096
	s_waitcnt lgkmcnt(0)
	global_store_b32 v11, v12, s[4:5]
.LBB662_173:
	s_or_b32 exec_lo, exec_lo, s2
	v_or_b32_e32 v11, 0x500, v0
	s_mov_b32 s2, exec_lo
	s_delay_alu instid0(VALU_DEP_1)
	v_cmpx_le_u32_e64 v1, v11
	s_xor_b32 s2, exec_lo, s2
	s_cbranch_execz .LBB662_179
; %bb.174:
	s_mov_b32 s4, exec_lo
	v_cmpx_le_u32_e64 v10, v11
	s_xor_b32 s4, exec_lo, s4
	s_cbranch_execz .LBB662_176
; %bb.175:
	v_lshlrev_b32_e32 v12, 2, v0
	v_add_co_u32 v11, vcc_lo, v3, v11
	ds_load_b32 v13, v12 offset:5120
	v_add_co_ci_u32_e32 v12, vcc_lo, 0, v9, vcc_lo
	s_delay_alu instid0(VALU_DEP_1) | instskip(NEXT) | instid1(VALU_DEP_1)
	v_lshlrev_b64 v[11:12], 2, v[11:12]
	v_sub_co_u32 v11, vcc_lo, s1, v11
	s_delay_alu instid0(VALU_DEP_2)
	v_sub_co_ci_u32_e32 v12, vcc_lo, s0, v12, vcc_lo
	s_waitcnt lgkmcnt(0)
	global_store_b32 v[11:12], v13, off
                                        ; implicit-def: $vgpr11
.LBB662_176:
	s_and_not1_saveexec_b32 s4, s4
	s_cbranch_execz .LBB662_178
; %bb.177:
	v_lshlrev_b32_e32 v12, 2, v0
	v_lshlrev_b32_e32 v11, 2, v11
	v_readfirstlane_b32 s6, v5
	v_readfirstlane_b32 s7, v6
	ds_load_b32 v12, v12 offset:5120
	s_waitcnt lgkmcnt(0)
	global_store_b32 v11, v12, s[6:7]
.LBB662_178:
	s_or_b32 exec_lo, exec_lo, s4
                                        ; implicit-def: $vgpr11
.LBB662_179:
	s_and_not1_saveexec_b32 s2, s2
	s_cbranch_execz .LBB662_181
; %bb.180:
	v_lshlrev_b32_e32 v12, 2, v0
	v_lshlrev_b32_e32 v11, 2, v11
	v_readfirstlane_b32 s4, v7
	v_readfirstlane_b32 s5, v8
	ds_load_b32 v12, v12 offset:5120
	s_waitcnt lgkmcnt(0)
	global_store_b32 v11, v12, s[4:5]
.LBB662_181:
	s_or_b32 exec_lo, exec_lo, s2
	v_or_b32_e32 v11, 0x600, v0
	s_mov_b32 s2, exec_lo
	s_delay_alu instid0(VALU_DEP_1)
	v_cmpx_le_u32_e64 v1, v11
	s_xor_b32 s2, exec_lo, s2
	s_cbranch_execz .LBB662_187
; %bb.182:
	s_mov_b32 s4, exec_lo
	v_cmpx_le_u32_e64 v10, v11
	s_xor_b32 s4, exec_lo, s4
	s_cbranch_execz .LBB662_184
; %bb.183:
	v_lshlrev_b32_e32 v12, 2, v0
	v_add_co_u32 v11, vcc_lo, v3, v11
	ds_load_b32 v13, v12 offset:6144
	v_add_co_ci_u32_e32 v12, vcc_lo, 0, v9, vcc_lo
	s_delay_alu instid0(VALU_DEP_1) | instskip(NEXT) | instid1(VALU_DEP_1)
	v_lshlrev_b64 v[11:12], 2, v[11:12]
	v_sub_co_u32 v11, vcc_lo, s1, v11
	s_delay_alu instid0(VALU_DEP_2)
	v_sub_co_ci_u32_e32 v12, vcc_lo, s0, v12, vcc_lo
	s_waitcnt lgkmcnt(0)
	global_store_b32 v[11:12], v13, off
                                        ; implicit-def: $vgpr11
.LBB662_184:
	s_and_not1_saveexec_b32 s4, s4
	s_cbranch_execz .LBB662_186
; %bb.185:
	v_lshlrev_b32_e32 v12, 2, v0
	v_lshlrev_b32_e32 v11, 2, v11
	v_readfirstlane_b32 s6, v5
	v_readfirstlane_b32 s7, v6
	ds_load_b32 v12, v12 offset:6144
	s_waitcnt lgkmcnt(0)
	global_store_b32 v11, v12, s[6:7]
.LBB662_186:
	s_or_b32 exec_lo, exec_lo, s4
                                        ; implicit-def: $vgpr11
.LBB662_187:
	;; [unrolled: 51-line block ×8, first 2 shown]
	s_and_not1_saveexec_b32 s2, s2
	s_cbranch_execz .LBB662_237
; %bb.236:
	v_lshlrev_b32_e32 v12, 2, v0
	v_lshlrev_b32_e32 v11, 2, v11
	v_readfirstlane_b32 s4, v7
	v_readfirstlane_b32 s5, v8
	ds_load_b32 v12, v12 offset:12288
	s_waitcnt lgkmcnt(0)
	global_store_b32 v11, v12, s[4:5]
.LBB662_237:
	s_or_b32 exec_lo, exec_lo, s2
	s_branch .LBB662_131
.LBB662_238:
	s_mov_b32 s2, exec_lo
	v_cmpx_gt_u32_e64 s3, v0
	s_cbranch_execz .LBB662_247
; %bb.239:
	s_mov_b32 s4, exec_lo
	v_cmpx_le_u32_e64 v1, v0
	s_xor_b32 s4, exec_lo, s4
	s_cbranch_execz .LBB662_245
; %bb.240:
	s_mov_b32 s5, exec_lo
	v_cmpx_le_u32_e64 v10, v0
	s_xor_b32 s5, exec_lo, s5
	s_cbranch_execz .LBB662_242
; %bb.241:
	v_lshlrev_b32_e32 v11, 2, v0
	ds_load_b32 v13, v11
	v_add_co_u32 v11, vcc_lo, v3, v0
	v_add_co_ci_u32_e32 v12, vcc_lo, 0, v9, vcc_lo
	s_delay_alu instid0(VALU_DEP_1) | instskip(NEXT) | instid1(VALU_DEP_1)
	v_lshlrev_b64 v[11:12], 2, v[11:12]
	v_sub_co_u32 v11, vcc_lo, s26, v11
	s_delay_alu instid0(VALU_DEP_2)
	v_sub_co_ci_u32_e32 v12, vcc_lo, s27, v12, vcc_lo
	s_waitcnt lgkmcnt(0)
	global_store_b32 v[11:12], v13, off offset:-4
.LBB662_242:
	s_and_not1_saveexec_b32 s5, s5
	s_cbranch_execz .LBB662_244
; %bb.243:
	v_lshlrev_b32_e32 v11, 2, v0
	v_readfirstlane_b32 s6, v5
	v_readfirstlane_b32 s7, v6
	ds_load_b32 v12, v11
	s_waitcnt lgkmcnt(0)
	global_store_b32 v11, v12, s[6:7]
.LBB662_244:
	s_or_b32 exec_lo, exec_lo, s5
.LBB662_245:
	s_and_not1_saveexec_b32 s4, s4
	s_cbranch_execz .LBB662_247
; %bb.246:
	v_lshlrev_b32_e32 v11, 2, v0
	v_readfirstlane_b32 s4, v7
	v_readfirstlane_b32 s5, v8
	ds_load_b32 v12, v11
	s_waitcnt lgkmcnt(0)
	global_store_b32 v11, v12, s[4:5]
.LBB662_247:
	s_or_b32 exec_lo, exec_lo, s2
	v_or_b32_e32 v11, 0x100, v0
	s_mov_b32 s2, exec_lo
	s_delay_alu instid0(VALU_DEP_1)
	v_cmpx_gt_u32_e64 s3, v11
	s_cbranch_execz .LBB662_256
; %bb.248:
	s_mov_b32 s4, exec_lo
	v_cmpx_le_u32_e64 v1, v11
	s_xor_b32 s4, exec_lo, s4
	s_cbranch_execz .LBB662_254
; %bb.249:
	s_mov_b32 s5, exec_lo
	v_cmpx_le_u32_e64 v10, v11
	s_xor_b32 s5, exec_lo, s5
	s_cbranch_execz .LBB662_251
; %bb.250:
	v_lshlrev_b32_e32 v11, 2, v0
	ds_load_b32 v13, v11 offset:1024
	v_add_co_u32 v11, vcc_lo, v3, v0
	v_add_co_ci_u32_e32 v12, vcc_lo, 0, v9, vcc_lo
	s_delay_alu instid0(VALU_DEP_1) | instskip(NEXT) | instid1(VALU_DEP_1)
	v_lshlrev_b64 v[11:12], 2, v[11:12]
	v_sub_co_u32 v11, vcc_lo, s1, v11
	s_delay_alu instid0(VALU_DEP_2)
	v_sub_co_ci_u32_e32 v12, vcc_lo, s0, v12, vcc_lo
	s_waitcnt lgkmcnt(0)
	global_store_b32 v[11:12], v13, off offset:-1024
.LBB662_251:
	s_and_not1_saveexec_b32 s5, s5
	s_cbranch_execz .LBB662_253
; %bb.252:
	v_lshlrev_b32_e32 v11, 2, v0
	v_readfirstlane_b32 s6, v5
	v_readfirstlane_b32 s7, v6
	ds_load_b32 v12, v11 offset:1024
	s_waitcnt lgkmcnt(0)
	global_store_b32 v11, v12, s[6:7] offset:1024
.LBB662_253:
	s_or_b32 exec_lo, exec_lo, s5
.LBB662_254:
	s_and_not1_saveexec_b32 s4, s4
	s_cbranch_execz .LBB662_256
; %bb.255:
	v_lshlrev_b32_e32 v11, 2, v0
	v_readfirstlane_b32 s4, v7
	v_readfirstlane_b32 s5, v8
	ds_load_b32 v12, v11 offset:1024
	s_waitcnt lgkmcnt(0)
	global_store_b32 v11, v12, s[4:5] offset:1024
.LBB662_256:
	s_or_b32 exec_lo, exec_lo, s2
	v_or_b32_e32 v11, 0x200, v0
	s_mov_b32 s2, exec_lo
	s_delay_alu instid0(VALU_DEP_1)
	v_cmpx_gt_u32_e64 s3, v11
	s_cbranch_execz .LBB662_265
; %bb.257:
	s_mov_b32 s4, exec_lo
	v_cmpx_le_u32_e64 v1, v11
	s_xor_b32 s4, exec_lo, s4
	s_cbranch_execz .LBB662_263
; %bb.258:
	s_mov_b32 s5, exec_lo
	v_cmpx_le_u32_e64 v10, v11
	s_xor_b32 s5, exec_lo, s5
	s_cbranch_execz .LBB662_260
; %bb.259:
	v_lshlrev_b32_e32 v11, 2, v0
	ds_load_b32 v13, v11 offset:2048
	v_add_co_u32 v11, vcc_lo, v3, v0
	v_add_co_ci_u32_e32 v12, vcc_lo, 0, v9, vcc_lo
	s_delay_alu instid0(VALU_DEP_1) | instskip(NEXT) | instid1(VALU_DEP_1)
	v_lshlrev_b64 v[11:12], 2, v[11:12]
	v_sub_co_u32 v11, vcc_lo, s1, v11
	s_delay_alu instid0(VALU_DEP_2)
	v_sub_co_ci_u32_e32 v12, vcc_lo, s0, v12, vcc_lo
	s_waitcnt lgkmcnt(0)
	global_store_b32 v[11:12], v13, off offset:-2048
.LBB662_260:
	s_and_not1_saveexec_b32 s5, s5
	s_cbranch_execz .LBB662_262
; %bb.261:
	v_lshlrev_b32_e32 v11, 2, v0
	v_readfirstlane_b32 s6, v5
	v_readfirstlane_b32 s7, v6
	ds_load_b32 v12, v11 offset:2048
	s_waitcnt lgkmcnt(0)
	global_store_b32 v11, v12, s[6:7] offset:2048
.LBB662_262:
	s_or_b32 exec_lo, exec_lo, s5
.LBB662_263:
	s_and_not1_saveexec_b32 s4, s4
	s_cbranch_execz .LBB662_265
; %bb.264:
	v_lshlrev_b32_e32 v11, 2, v0
	v_readfirstlane_b32 s4, v7
	v_readfirstlane_b32 s5, v8
	ds_load_b32 v12, v11 offset:2048
	s_waitcnt lgkmcnt(0)
	global_store_b32 v11, v12, s[4:5] offset:2048
.LBB662_265:
	;; [unrolled: 51-line block ×3, first 2 shown]
	s_or_b32 exec_lo, exec_lo, s2
	v_or_b32_e32 v11, 0x400, v0
	s_mov_b32 s2, exec_lo
	s_delay_alu instid0(VALU_DEP_1)
	v_cmpx_gt_u32_e64 s3, v11
	s_cbranch_execz .LBB662_283
; %bb.275:
	s_mov_b32 s4, exec_lo
	v_cmpx_le_u32_e64 v1, v11
	s_xor_b32 s4, exec_lo, s4
	s_cbranch_execz .LBB662_281
; %bb.276:
	s_mov_b32 s5, exec_lo
	v_cmpx_le_u32_e64 v10, v11
	s_xor_b32 s5, exec_lo, s5
	s_cbranch_execz .LBB662_278
; %bb.277:
	v_lshlrev_b32_e32 v11, 2, v0
	ds_load_b32 v13, v11 offset:4096
	v_add_co_u32 v11, vcc_lo, v3, v0
	v_add_co_ci_u32_e32 v12, vcc_lo, 0, v9, vcc_lo
	s_delay_alu instid0(VALU_DEP_1) | instskip(NEXT) | instid1(VALU_DEP_1)
	v_lshlrev_b64 v[11:12], 2, v[11:12]
	v_sub_co_u32 v11, vcc_lo, s1, v11
	s_delay_alu instid0(VALU_DEP_2)
	v_sub_co_ci_u32_e32 v12, vcc_lo, s0, v12, vcc_lo
	s_waitcnt lgkmcnt(0)
	global_store_b32 v[11:12], v13, off offset:-4096
                                        ; implicit-def: $vgpr11
.LBB662_278:
	s_and_not1_saveexec_b32 s5, s5
	s_cbranch_execz .LBB662_280
; %bb.279:
	v_lshlrev_b32_e32 v12, 2, v0
	v_lshlrev_b32_e32 v11, 2, v11
	v_readfirstlane_b32 s6, v5
	v_readfirstlane_b32 s7, v6
	ds_load_b32 v12, v12 offset:4096
	s_waitcnt lgkmcnt(0)
	global_store_b32 v11, v12, s[6:7]
.LBB662_280:
	s_or_b32 exec_lo, exec_lo, s5
                                        ; implicit-def: $vgpr11
.LBB662_281:
	s_and_not1_saveexec_b32 s4, s4
	s_cbranch_execz .LBB662_283
; %bb.282:
	v_lshlrev_b32_e32 v12, 2, v0
	v_lshlrev_b32_e32 v11, 2, v11
	v_readfirstlane_b32 s4, v7
	v_readfirstlane_b32 s5, v8
	ds_load_b32 v12, v12 offset:4096
	s_waitcnt lgkmcnt(0)
	global_store_b32 v11, v12, s[4:5]
.LBB662_283:
	s_or_b32 exec_lo, exec_lo, s2
	v_or_b32_e32 v11, 0x500, v0
	s_mov_b32 s2, exec_lo
	s_delay_alu instid0(VALU_DEP_1)
	v_cmpx_gt_u32_e64 s3, v11
	s_cbranch_execz .LBB662_292
; %bb.284:
	s_mov_b32 s4, exec_lo
	v_cmpx_le_u32_e64 v1, v11
	s_xor_b32 s4, exec_lo, s4
	s_cbranch_execz .LBB662_290
; %bb.285:
	s_mov_b32 s5, exec_lo
	v_cmpx_le_u32_e64 v10, v11
	s_xor_b32 s5, exec_lo, s5
	s_cbranch_execz .LBB662_287
; %bb.286:
	v_lshlrev_b32_e32 v12, 2, v0
	v_add_co_u32 v11, vcc_lo, v3, v11
	ds_load_b32 v13, v12 offset:5120
	v_add_co_ci_u32_e32 v12, vcc_lo, 0, v9, vcc_lo
	s_delay_alu instid0(VALU_DEP_1) | instskip(NEXT) | instid1(VALU_DEP_1)
	v_lshlrev_b64 v[11:12], 2, v[11:12]
	v_sub_co_u32 v11, vcc_lo, s1, v11
	s_delay_alu instid0(VALU_DEP_2)
	v_sub_co_ci_u32_e32 v12, vcc_lo, s0, v12, vcc_lo
	s_waitcnt lgkmcnt(0)
	global_store_b32 v[11:12], v13, off
                                        ; implicit-def: $vgpr11
.LBB662_287:
	s_and_not1_saveexec_b32 s5, s5
	s_cbranch_execz .LBB662_289
; %bb.288:
	v_lshlrev_b32_e32 v12, 2, v0
	v_lshlrev_b32_e32 v11, 2, v11
	v_readfirstlane_b32 s6, v5
	v_readfirstlane_b32 s7, v6
	ds_load_b32 v12, v12 offset:5120
	s_waitcnt lgkmcnt(0)
	global_store_b32 v11, v12, s[6:7]
.LBB662_289:
	s_or_b32 exec_lo, exec_lo, s5
                                        ; implicit-def: $vgpr11
.LBB662_290:
	s_and_not1_saveexec_b32 s4, s4
	s_cbranch_execz .LBB662_292
; %bb.291:
	v_lshlrev_b32_e32 v12, 2, v0
	v_lshlrev_b32_e32 v11, 2, v11
	v_readfirstlane_b32 s4, v7
	v_readfirstlane_b32 s5, v8
	ds_load_b32 v12, v12 offset:5120
	s_waitcnt lgkmcnt(0)
	global_store_b32 v11, v12, s[4:5]
.LBB662_292:
	s_or_b32 exec_lo, exec_lo, s2
	v_or_b32_e32 v11, 0x600, v0
	s_mov_b32 s2, exec_lo
	s_delay_alu instid0(VALU_DEP_1)
	v_cmpx_gt_u32_e64 s3, v11
	s_cbranch_execz .LBB662_301
; %bb.293:
	s_mov_b32 s4, exec_lo
	v_cmpx_le_u32_e64 v1, v11
	s_xor_b32 s4, exec_lo, s4
	s_cbranch_execz .LBB662_299
; %bb.294:
	s_mov_b32 s5, exec_lo
	v_cmpx_le_u32_e64 v10, v11
	s_xor_b32 s5, exec_lo, s5
	s_cbranch_execz .LBB662_296
; %bb.295:
	v_lshlrev_b32_e32 v12, 2, v0
	v_add_co_u32 v11, vcc_lo, v3, v11
	ds_load_b32 v13, v12 offset:6144
	v_add_co_ci_u32_e32 v12, vcc_lo, 0, v9, vcc_lo
	s_delay_alu instid0(VALU_DEP_1) | instskip(NEXT) | instid1(VALU_DEP_1)
	v_lshlrev_b64 v[11:12], 2, v[11:12]
	v_sub_co_u32 v11, vcc_lo, s1, v11
	s_delay_alu instid0(VALU_DEP_2)
	v_sub_co_ci_u32_e32 v12, vcc_lo, s0, v12, vcc_lo
	s_waitcnt lgkmcnt(0)
	global_store_b32 v[11:12], v13, off
                                        ; implicit-def: $vgpr11
.LBB662_296:
	s_and_not1_saveexec_b32 s5, s5
	s_cbranch_execz .LBB662_298
; %bb.297:
	v_lshlrev_b32_e32 v12, 2, v0
	v_lshlrev_b32_e32 v11, 2, v11
	v_readfirstlane_b32 s6, v5
	v_readfirstlane_b32 s7, v6
	ds_load_b32 v12, v12 offset:6144
	s_waitcnt lgkmcnt(0)
	global_store_b32 v11, v12, s[6:7]
.LBB662_298:
	s_or_b32 exec_lo, exec_lo, s5
                                        ; implicit-def: $vgpr11
.LBB662_299:
	s_and_not1_saveexec_b32 s4, s4
	s_cbranch_execz .LBB662_301
; %bb.300:
	v_lshlrev_b32_e32 v12, 2, v0
	v_lshlrev_b32_e32 v11, 2, v11
	v_readfirstlane_b32 s4, v7
	v_readfirstlane_b32 s5, v8
	ds_load_b32 v12, v12 offset:6144
	s_waitcnt lgkmcnt(0)
	global_store_b32 v11, v12, s[4:5]
.LBB662_301:
	;; [unrolled: 55-line block ×7, first 2 shown]
	s_or_b32 exec_lo, exec_lo, s2
	v_or_b32_e32 v11, 0xc00, v0
	s_mov_b32 s2, exec_lo
	s_delay_alu instid0(VALU_DEP_1)
	v_cmpx_gt_u32_e64 s3, v11
	s_cbranch_execz .LBB662_355
; %bb.347:
	s_mov_b32 s3, exec_lo
	v_cmpx_le_u32_e64 v1, v11
	s_xor_b32 s3, exec_lo, s3
	s_cbranch_execz .LBB662_353
; %bb.348:
	s_mov_b32 s4, exec_lo
	v_cmpx_le_u32_e64 v10, v11
	s_xor_b32 s4, exec_lo, s4
	s_cbranch_execz .LBB662_350
; %bb.349:
	v_lshlrev_b32_e32 v5, 2, v0
	ds_load_b32 v7, v5 offset:12288
	v_add_co_u32 v5, vcc_lo, v3, v11
	v_add_co_ci_u32_e32 v6, vcc_lo, 0, v9, vcc_lo
                                        ; implicit-def: $vgpr11
	s_delay_alu instid0(VALU_DEP_1) | instskip(NEXT) | instid1(VALU_DEP_1)
	v_lshlrev_b64 v[5:6], 2, v[5:6]
	v_sub_co_u32 v5, vcc_lo, s1, v5
	s_delay_alu instid0(VALU_DEP_2)
	v_sub_co_ci_u32_e32 v6, vcc_lo, s0, v6, vcc_lo
	s_waitcnt lgkmcnt(0)
	global_store_b32 v[5:6], v7, off
                                        ; implicit-def: $vgpr5_vgpr6
.LBB662_350:
	s_and_not1_saveexec_b32 s0, s4
	s_cbranch_execz .LBB662_352
; %bb.351:
	v_lshlrev_b32_e32 v3, 2, v0
	v_lshlrev_b32_e32 v7, 2, v11
	v_readfirstlane_b32 s4, v5
	v_readfirstlane_b32 s5, v6
	ds_load_b32 v3, v3 offset:12288
	s_waitcnt lgkmcnt(0)
	global_store_b32 v7, v3, s[4:5]
.LBB662_352:
	s_or_b32 exec_lo, exec_lo, s0
                                        ; implicit-def: $vgpr11
                                        ; implicit-def: $vgpr7_vgpr8
.LBB662_353:
	s_and_not1_saveexec_b32 s0, s3
	s_cbranch_execz .LBB662_355
; %bb.354:
	v_lshlrev_b32_e32 v3, 2, v0
	v_lshlrev_b32_e32 v5, 2, v11
	v_readfirstlane_b32 s0, v7
	v_readfirstlane_b32 s1, v8
	ds_load_b32 v3, v3 offset:12288
	s_waitcnt lgkmcnt(0)
	global_store_b32 v5, v3, s[0:1]
.LBB662_355:
	s_or_b32 exec_lo, exec_lo, s2
	v_cmp_eq_u32_e32 vcc_lo, 0, v0
	s_and_b32 s0, vcc_lo, s14
	s_delay_alu instid0(SALU_CYCLE_1)
	s_and_saveexec_b32 s1, s0
	s_cbranch_execz .LBB662_132
.LBB662_356:
	v_add_co_u32 v2, s0, s30, v2
	s_delay_alu instid0(VALU_DEP_1) | instskip(SKIP_2) | instid1(VALU_DEP_4)
	v_add_co_ci_u32_e64 v3, null, s31, 0, s0
	v_add_co_u32 v0, vcc_lo, v18, v1
	v_add_co_ci_u32_e32 v1, vcc_lo, 0, v19, vcc_lo
	v_add_co_u32 v2, vcc_lo, v2, v4
	v_mov_b32_e32 v5, 0
	v_add_co_ci_u32_e32 v3, vcc_lo, 0, v3, vcc_lo
	global_store_b128 v5, v[0:3], s[24:25]
	s_nop 0
	s_sendmsg sendmsg(MSG_DEALLOC_VGPRS)
	s_endpgm
.LBB662_357:
	v_add_nc_u32_e32 v3, s7, v23
	s_add_i32 s10, s15, 32
	s_mov_b32 s11, 0
	v_dual_mov_b32 v5, 0 :: v_dual_add_nc_u32 v2, v22, v1
	s_lshl_b64 s[10:11], s[10:11], 4
	v_and_b32_e32 v20, 0xff0000, v3
	s_add_u32 s10, s4, s10
	s_addc_u32 s11, s5, s11
	v_and_b32_e32 v4, 0xff000000, v3
	s_delay_alu instid0(VALU_DEP_1) | instskip(SKIP_2) | instid1(VALU_DEP_1)
	v_or_b32_e32 v20, v20, v4
	v_dual_mov_b32 v4, 2 :: v_dual_and_b32 v21, 0xff00, v3
	v_and_b32_e32 v3, 0xff, v3
	v_or3_b32 v3, v20, v21, v3
	v_dual_mov_b32 v21, s11 :: v_dual_mov_b32 v20, s10
	;;#ASMSTART
	global_store_dwordx4 v[20:21], v[2:5] off	
s_waitcnt vmcnt(0)
	;;#ASMEND
	s_or_b32 exec_lo, exec_lo, s8
	s_and_saveexec_b32 s8, s2
	s_cbranch_execz .LBB662_116
.LBB662_358:
	v_mov_b32_e32 v2, s7
	v_add_nc_u32_e64 v3, 0x3400, 0
	ds_store_2addr_b32 v3, v1, v2 offset1:2
	ds_store_2addr_b32 v3, v22, v23 offset0:4 offset1:6
	s_or_b32 exec_lo, exec_lo, s8
	v_cmp_eq_u32_e32 vcc_lo, 0, v0
	s_and_b32 exec_lo, exec_lo, vcc_lo
	s_cbranch_execnz .LBB662_117
	s_branch .LBB662_118
	.section	.rodata,"a",@progbits
	.p2align	6, 0x0
	.amdhsa_kernel _ZN7rocprim17ROCPRIM_400000_NS6detail17trampoline_kernelINS0_13select_configILj256ELj13ELNS0_17block_load_methodE3ELS4_3ELS4_3ELNS0_20block_scan_algorithmE0ELj4294967295EEENS1_25partition_config_selectorILNS1_17partition_subalgoE4EjNS0_10empty_typeEbEEZZNS1_14partition_implILS8_4ELb0ES6_15HIP_vector_typeIjLj2EENS0_17counting_iteratorIjlEEPS9_SG_NS0_5tupleIJPjSI_NS0_16reverse_iteratorISI_EEEEENSH_IJSG_SG_SG_EEES9_SI_JZNS1_25segmented_radix_sort_implINS0_14default_configELb1EPKlPlSQ_SR_N2at6native12_GLOBAL__N_18offset_tEEE10hipError_tPvRmT1_PNSt15iterator_traitsISZ_E10value_typeET2_T3_PNS10_IS15_E10value_typeET4_jRbjT5_S1B_jjP12ihipStream_tbEUljE_ZNSN_ISO_Lb1ESQ_SR_SQ_SR_SV_EESW_SX_SY_SZ_S13_S14_S15_S18_S19_jS1A_jS1B_S1B_jjS1D_bEUljE0_EEESW_SX_SY_S15_S19_S1B_T6_T7_T9_mT8_S1D_bDpT10_ENKUlT_T0_E_clISt17integral_constantIbLb1EES1Q_IbLb0EEEEDaS1M_S1N_EUlS1M_E_NS1_11comp_targetILNS1_3genE9ELNS1_11target_archE1100ELNS1_3gpuE3ELNS1_3repE0EEENS1_30default_config_static_selectorELNS0_4arch9wavefront6targetE0EEEvSZ_
		.amdhsa_group_segment_fixed_size 13340
		.amdhsa_private_segment_fixed_size 0
		.amdhsa_kernarg_size 176
		.amdhsa_user_sgpr_count 15
		.amdhsa_user_sgpr_dispatch_ptr 0
		.amdhsa_user_sgpr_queue_ptr 0
		.amdhsa_user_sgpr_kernarg_segment_ptr 1
		.amdhsa_user_sgpr_dispatch_id 0
		.amdhsa_user_sgpr_private_segment_size 0
		.amdhsa_wavefront_size32 1
		.amdhsa_uses_dynamic_stack 0
		.amdhsa_enable_private_segment 0
		.amdhsa_system_sgpr_workgroup_id_x 1
		.amdhsa_system_sgpr_workgroup_id_y 0
		.amdhsa_system_sgpr_workgroup_id_z 0
		.amdhsa_system_sgpr_workgroup_info 0
		.amdhsa_system_vgpr_workitem_id 0
		.amdhsa_next_free_vgpr 98
		.amdhsa_next_free_sgpr 59
		.amdhsa_reserve_vcc 1
		.amdhsa_float_round_mode_32 0
		.amdhsa_float_round_mode_16_64 0
		.amdhsa_float_denorm_mode_32 3
		.amdhsa_float_denorm_mode_16_64 3
		.amdhsa_dx10_clamp 1
		.amdhsa_ieee_mode 1
		.amdhsa_fp16_overflow 0
		.amdhsa_workgroup_processor_mode 1
		.amdhsa_memory_ordered 1
		.amdhsa_forward_progress 0
		.amdhsa_shared_vgpr_count 0
		.amdhsa_exception_fp_ieee_invalid_op 0
		.amdhsa_exception_fp_denorm_src 0
		.amdhsa_exception_fp_ieee_div_zero 0
		.amdhsa_exception_fp_ieee_overflow 0
		.amdhsa_exception_fp_ieee_underflow 0
		.amdhsa_exception_fp_ieee_inexact 0
		.amdhsa_exception_int_div_zero 0
	.end_amdhsa_kernel
	.section	.text._ZN7rocprim17ROCPRIM_400000_NS6detail17trampoline_kernelINS0_13select_configILj256ELj13ELNS0_17block_load_methodE3ELS4_3ELS4_3ELNS0_20block_scan_algorithmE0ELj4294967295EEENS1_25partition_config_selectorILNS1_17partition_subalgoE4EjNS0_10empty_typeEbEEZZNS1_14partition_implILS8_4ELb0ES6_15HIP_vector_typeIjLj2EENS0_17counting_iteratorIjlEEPS9_SG_NS0_5tupleIJPjSI_NS0_16reverse_iteratorISI_EEEEENSH_IJSG_SG_SG_EEES9_SI_JZNS1_25segmented_radix_sort_implINS0_14default_configELb1EPKlPlSQ_SR_N2at6native12_GLOBAL__N_18offset_tEEE10hipError_tPvRmT1_PNSt15iterator_traitsISZ_E10value_typeET2_T3_PNS10_IS15_E10value_typeET4_jRbjT5_S1B_jjP12ihipStream_tbEUljE_ZNSN_ISO_Lb1ESQ_SR_SQ_SR_SV_EESW_SX_SY_SZ_S13_S14_S15_S18_S19_jS1A_jS1B_S1B_jjS1D_bEUljE0_EEESW_SX_SY_S15_S19_S1B_T6_T7_T9_mT8_S1D_bDpT10_ENKUlT_T0_E_clISt17integral_constantIbLb1EES1Q_IbLb0EEEEDaS1M_S1N_EUlS1M_E_NS1_11comp_targetILNS1_3genE9ELNS1_11target_archE1100ELNS1_3gpuE3ELNS1_3repE0EEENS1_30default_config_static_selectorELNS0_4arch9wavefront6targetE0EEEvSZ_,"axG",@progbits,_ZN7rocprim17ROCPRIM_400000_NS6detail17trampoline_kernelINS0_13select_configILj256ELj13ELNS0_17block_load_methodE3ELS4_3ELS4_3ELNS0_20block_scan_algorithmE0ELj4294967295EEENS1_25partition_config_selectorILNS1_17partition_subalgoE4EjNS0_10empty_typeEbEEZZNS1_14partition_implILS8_4ELb0ES6_15HIP_vector_typeIjLj2EENS0_17counting_iteratorIjlEEPS9_SG_NS0_5tupleIJPjSI_NS0_16reverse_iteratorISI_EEEEENSH_IJSG_SG_SG_EEES9_SI_JZNS1_25segmented_radix_sort_implINS0_14default_configELb1EPKlPlSQ_SR_N2at6native12_GLOBAL__N_18offset_tEEE10hipError_tPvRmT1_PNSt15iterator_traitsISZ_E10value_typeET2_T3_PNS10_IS15_E10value_typeET4_jRbjT5_S1B_jjP12ihipStream_tbEUljE_ZNSN_ISO_Lb1ESQ_SR_SQ_SR_SV_EESW_SX_SY_SZ_S13_S14_S15_S18_S19_jS1A_jS1B_S1B_jjS1D_bEUljE0_EEESW_SX_SY_S15_S19_S1B_T6_T7_T9_mT8_S1D_bDpT10_ENKUlT_T0_E_clISt17integral_constantIbLb1EES1Q_IbLb0EEEEDaS1M_S1N_EUlS1M_E_NS1_11comp_targetILNS1_3genE9ELNS1_11target_archE1100ELNS1_3gpuE3ELNS1_3repE0EEENS1_30default_config_static_selectorELNS0_4arch9wavefront6targetE0EEEvSZ_,comdat
.Lfunc_end662:
	.size	_ZN7rocprim17ROCPRIM_400000_NS6detail17trampoline_kernelINS0_13select_configILj256ELj13ELNS0_17block_load_methodE3ELS4_3ELS4_3ELNS0_20block_scan_algorithmE0ELj4294967295EEENS1_25partition_config_selectorILNS1_17partition_subalgoE4EjNS0_10empty_typeEbEEZZNS1_14partition_implILS8_4ELb0ES6_15HIP_vector_typeIjLj2EENS0_17counting_iteratorIjlEEPS9_SG_NS0_5tupleIJPjSI_NS0_16reverse_iteratorISI_EEEEENSH_IJSG_SG_SG_EEES9_SI_JZNS1_25segmented_radix_sort_implINS0_14default_configELb1EPKlPlSQ_SR_N2at6native12_GLOBAL__N_18offset_tEEE10hipError_tPvRmT1_PNSt15iterator_traitsISZ_E10value_typeET2_T3_PNS10_IS15_E10value_typeET4_jRbjT5_S1B_jjP12ihipStream_tbEUljE_ZNSN_ISO_Lb1ESQ_SR_SQ_SR_SV_EESW_SX_SY_SZ_S13_S14_S15_S18_S19_jS1A_jS1B_S1B_jjS1D_bEUljE0_EEESW_SX_SY_S15_S19_S1B_T6_T7_T9_mT8_S1D_bDpT10_ENKUlT_T0_E_clISt17integral_constantIbLb1EES1Q_IbLb0EEEEDaS1M_S1N_EUlS1M_E_NS1_11comp_targetILNS1_3genE9ELNS1_11target_archE1100ELNS1_3gpuE3ELNS1_3repE0EEENS1_30default_config_static_selectorELNS0_4arch9wavefront6targetE0EEEvSZ_, .Lfunc_end662-_ZN7rocprim17ROCPRIM_400000_NS6detail17trampoline_kernelINS0_13select_configILj256ELj13ELNS0_17block_load_methodE3ELS4_3ELS4_3ELNS0_20block_scan_algorithmE0ELj4294967295EEENS1_25partition_config_selectorILNS1_17partition_subalgoE4EjNS0_10empty_typeEbEEZZNS1_14partition_implILS8_4ELb0ES6_15HIP_vector_typeIjLj2EENS0_17counting_iteratorIjlEEPS9_SG_NS0_5tupleIJPjSI_NS0_16reverse_iteratorISI_EEEEENSH_IJSG_SG_SG_EEES9_SI_JZNS1_25segmented_radix_sort_implINS0_14default_configELb1EPKlPlSQ_SR_N2at6native12_GLOBAL__N_18offset_tEEE10hipError_tPvRmT1_PNSt15iterator_traitsISZ_E10value_typeET2_T3_PNS10_IS15_E10value_typeET4_jRbjT5_S1B_jjP12ihipStream_tbEUljE_ZNSN_ISO_Lb1ESQ_SR_SQ_SR_SV_EESW_SX_SY_SZ_S13_S14_S15_S18_S19_jS1A_jS1B_S1B_jjS1D_bEUljE0_EEESW_SX_SY_S15_S19_S1B_T6_T7_T9_mT8_S1D_bDpT10_ENKUlT_T0_E_clISt17integral_constantIbLb1EES1Q_IbLb0EEEEDaS1M_S1N_EUlS1M_E_NS1_11comp_targetILNS1_3genE9ELNS1_11target_archE1100ELNS1_3gpuE3ELNS1_3repE0EEENS1_30default_config_static_selectorELNS0_4arch9wavefront6targetE0EEEvSZ_
                                        ; -- End function
	.section	.AMDGPU.csdata,"",@progbits
; Kernel info:
; codeLenInByte = 15084
; NumSgprs: 61
; NumVgprs: 98
; ScratchSize: 0
; MemoryBound: 0
; FloatMode: 240
; IeeeMode: 1
; LDSByteSize: 13340 bytes/workgroup (compile time only)
; SGPRBlocks: 7
; VGPRBlocks: 12
; NumSGPRsForWavesPerEU: 61
; NumVGPRsForWavesPerEU: 98
; Occupancy: 12
; WaveLimiterHint : 1
; COMPUTE_PGM_RSRC2:SCRATCH_EN: 0
; COMPUTE_PGM_RSRC2:USER_SGPR: 15
; COMPUTE_PGM_RSRC2:TRAP_HANDLER: 0
; COMPUTE_PGM_RSRC2:TGID_X_EN: 1
; COMPUTE_PGM_RSRC2:TGID_Y_EN: 0
; COMPUTE_PGM_RSRC2:TGID_Z_EN: 0
; COMPUTE_PGM_RSRC2:TIDIG_COMP_CNT: 0
	.section	.text._ZN7rocprim17ROCPRIM_400000_NS6detail17trampoline_kernelINS0_13select_configILj256ELj13ELNS0_17block_load_methodE3ELS4_3ELS4_3ELNS0_20block_scan_algorithmE0ELj4294967295EEENS1_25partition_config_selectorILNS1_17partition_subalgoE4EjNS0_10empty_typeEbEEZZNS1_14partition_implILS8_4ELb0ES6_15HIP_vector_typeIjLj2EENS0_17counting_iteratorIjlEEPS9_SG_NS0_5tupleIJPjSI_NS0_16reverse_iteratorISI_EEEEENSH_IJSG_SG_SG_EEES9_SI_JZNS1_25segmented_radix_sort_implINS0_14default_configELb1EPKlPlSQ_SR_N2at6native12_GLOBAL__N_18offset_tEEE10hipError_tPvRmT1_PNSt15iterator_traitsISZ_E10value_typeET2_T3_PNS10_IS15_E10value_typeET4_jRbjT5_S1B_jjP12ihipStream_tbEUljE_ZNSN_ISO_Lb1ESQ_SR_SQ_SR_SV_EESW_SX_SY_SZ_S13_S14_S15_S18_S19_jS1A_jS1B_S1B_jjS1D_bEUljE0_EEESW_SX_SY_S15_S19_S1B_T6_T7_T9_mT8_S1D_bDpT10_ENKUlT_T0_E_clISt17integral_constantIbLb1EES1Q_IbLb0EEEEDaS1M_S1N_EUlS1M_E_NS1_11comp_targetILNS1_3genE8ELNS1_11target_archE1030ELNS1_3gpuE2ELNS1_3repE0EEENS1_30default_config_static_selectorELNS0_4arch9wavefront6targetE0EEEvSZ_,"axG",@progbits,_ZN7rocprim17ROCPRIM_400000_NS6detail17trampoline_kernelINS0_13select_configILj256ELj13ELNS0_17block_load_methodE3ELS4_3ELS4_3ELNS0_20block_scan_algorithmE0ELj4294967295EEENS1_25partition_config_selectorILNS1_17partition_subalgoE4EjNS0_10empty_typeEbEEZZNS1_14partition_implILS8_4ELb0ES6_15HIP_vector_typeIjLj2EENS0_17counting_iteratorIjlEEPS9_SG_NS0_5tupleIJPjSI_NS0_16reverse_iteratorISI_EEEEENSH_IJSG_SG_SG_EEES9_SI_JZNS1_25segmented_radix_sort_implINS0_14default_configELb1EPKlPlSQ_SR_N2at6native12_GLOBAL__N_18offset_tEEE10hipError_tPvRmT1_PNSt15iterator_traitsISZ_E10value_typeET2_T3_PNS10_IS15_E10value_typeET4_jRbjT5_S1B_jjP12ihipStream_tbEUljE_ZNSN_ISO_Lb1ESQ_SR_SQ_SR_SV_EESW_SX_SY_SZ_S13_S14_S15_S18_S19_jS1A_jS1B_S1B_jjS1D_bEUljE0_EEESW_SX_SY_S15_S19_S1B_T6_T7_T9_mT8_S1D_bDpT10_ENKUlT_T0_E_clISt17integral_constantIbLb1EES1Q_IbLb0EEEEDaS1M_S1N_EUlS1M_E_NS1_11comp_targetILNS1_3genE8ELNS1_11target_archE1030ELNS1_3gpuE2ELNS1_3repE0EEENS1_30default_config_static_selectorELNS0_4arch9wavefront6targetE0EEEvSZ_,comdat
	.globl	_ZN7rocprim17ROCPRIM_400000_NS6detail17trampoline_kernelINS0_13select_configILj256ELj13ELNS0_17block_load_methodE3ELS4_3ELS4_3ELNS0_20block_scan_algorithmE0ELj4294967295EEENS1_25partition_config_selectorILNS1_17partition_subalgoE4EjNS0_10empty_typeEbEEZZNS1_14partition_implILS8_4ELb0ES6_15HIP_vector_typeIjLj2EENS0_17counting_iteratorIjlEEPS9_SG_NS0_5tupleIJPjSI_NS0_16reverse_iteratorISI_EEEEENSH_IJSG_SG_SG_EEES9_SI_JZNS1_25segmented_radix_sort_implINS0_14default_configELb1EPKlPlSQ_SR_N2at6native12_GLOBAL__N_18offset_tEEE10hipError_tPvRmT1_PNSt15iterator_traitsISZ_E10value_typeET2_T3_PNS10_IS15_E10value_typeET4_jRbjT5_S1B_jjP12ihipStream_tbEUljE_ZNSN_ISO_Lb1ESQ_SR_SQ_SR_SV_EESW_SX_SY_SZ_S13_S14_S15_S18_S19_jS1A_jS1B_S1B_jjS1D_bEUljE0_EEESW_SX_SY_S15_S19_S1B_T6_T7_T9_mT8_S1D_bDpT10_ENKUlT_T0_E_clISt17integral_constantIbLb1EES1Q_IbLb0EEEEDaS1M_S1N_EUlS1M_E_NS1_11comp_targetILNS1_3genE8ELNS1_11target_archE1030ELNS1_3gpuE2ELNS1_3repE0EEENS1_30default_config_static_selectorELNS0_4arch9wavefront6targetE0EEEvSZ_ ; -- Begin function _ZN7rocprim17ROCPRIM_400000_NS6detail17trampoline_kernelINS0_13select_configILj256ELj13ELNS0_17block_load_methodE3ELS4_3ELS4_3ELNS0_20block_scan_algorithmE0ELj4294967295EEENS1_25partition_config_selectorILNS1_17partition_subalgoE4EjNS0_10empty_typeEbEEZZNS1_14partition_implILS8_4ELb0ES6_15HIP_vector_typeIjLj2EENS0_17counting_iteratorIjlEEPS9_SG_NS0_5tupleIJPjSI_NS0_16reverse_iteratorISI_EEEEENSH_IJSG_SG_SG_EEES9_SI_JZNS1_25segmented_radix_sort_implINS0_14default_configELb1EPKlPlSQ_SR_N2at6native12_GLOBAL__N_18offset_tEEE10hipError_tPvRmT1_PNSt15iterator_traitsISZ_E10value_typeET2_T3_PNS10_IS15_E10value_typeET4_jRbjT5_S1B_jjP12ihipStream_tbEUljE_ZNSN_ISO_Lb1ESQ_SR_SQ_SR_SV_EESW_SX_SY_SZ_S13_S14_S15_S18_S19_jS1A_jS1B_S1B_jjS1D_bEUljE0_EEESW_SX_SY_S15_S19_S1B_T6_T7_T9_mT8_S1D_bDpT10_ENKUlT_T0_E_clISt17integral_constantIbLb1EES1Q_IbLb0EEEEDaS1M_S1N_EUlS1M_E_NS1_11comp_targetILNS1_3genE8ELNS1_11target_archE1030ELNS1_3gpuE2ELNS1_3repE0EEENS1_30default_config_static_selectorELNS0_4arch9wavefront6targetE0EEEvSZ_
	.p2align	8
	.type	_ZN7rocprim17ROCPRIM_400000_NS6detail17trampoline_kernelINS0_13select_configILj256ELj13ELNS0_17block_load_methodE3ELS4_3ELS4_3ELNS0_20block_scan_algorithmE0ELj4294967295EEENS1_25partition_config_selectorILNS1_17partition_subalgoE4EjNS0_10empty_typeEbEEZZNS1_14partition_implILS8_4ELb0ES6_15HIP_vector_typeIjLj2EENS0_17counting_iteratorIjlEEPS9_SG_NS0_5tupleIJPjSI_NS0_16reverse_iteratorISI_EEEEENSH_IJSG_SG_SG_EEES9_SI_JZNS1_25segmented_radix_sort_implINS0_14default_configELb1EPKlPlSQ_SR_N2at6native12_GLOBAL__N_18offset_tEEE10hipError_tPvRmT1_PNSt15iterator_traitsISZ_E10value_typeET2_T3_PNS10_IS15_E10value_typeET4_jRbjT5_S1B_jjP12ihipStream_tbEUljE_ZNSN_ISO_Lb1ESQ_SR_SQ_SR_SV_EESW_SX_SY_SZ_S13_S14_S15_S18_S19_jS1A_jS1B_S1B_jjS1D_bEUljE0_EEESW_SX_SY_S15_S19_S1B_T6_T7_T9_mT8_S1D_bDpT10_ENKUlT_T0_E_clISt17integral_constantIbLb1EES1Q_IbLb0EEEEDaS1M_S1N_EUlS1M_E_NS1_11comp_targetILNS1_3genE8ELNS1_11target_archE1030ELNS1_3gpuE2ELNS1_3repE0EEENS1_30default_config_static_selectorELNS0_4arch9wavefront6targetE0EEEvSZ_,@function
_ZN7rocprim17ROCPRIM_400000_NS6detail17trampoline_kernelINS0_13select_configILj256ELj13ELNS0_17block_load_methodE3ELS4_3ELS4_3ELNS0_20block_scan_algorithmE0ELj4294967295EEENS1_25partition_config_selectorILNS1_17partition_subalgoE4EjNS0_10empty_typeEbEEZZNS1_14partition_implILS8_4ELb0ES6_15HIP_vector_typeIjLj2EENS0_17counting_iteratorIjlEEPS9_SG_NS0_5tupleIJPjSI_NS0_16reverse_iteratorISI_EEEEENSH_IJSG_SG_SG_EEES9_SI_JZNS1_25segmented_radix_sort_implINS0_14default_configELb1EPKlPlSQ_SR_N2at6native12_GLOBAL__N_18offset_tEEE10hipError_tPvRmT1_PNSt15iterator_traitsISZ_E10value_typeET2_T3_PNS10_IS15_E10value_typeET4_jRbjT5_S1B_jjP12ihipStream_tbEUljE_ZNSN_ISO_Lb1ESQ_SR_SQ_SR_SV_EESW_SX_SY_SZ_S13_S14_S15_S18_S19_jS1A_jS1B_S1B_jjS1D_bEUljE0_EEESW_SX_SY_S15_S19_S1B_T6_T7_T9_mT8_S1D_bDpT10_ENKUlT_T0_E_clISt17integral_constantIbLb1EES1Q_IbLb0EEEEDaS1M_S1N_EUlS1M_E_NS1_11comp_targetILNS1_3genE8ELNS1_11target_archE1030ELNS1_3gpuE2ELNS1_3repE0EEENS1_30default_config_static_selectorELNS0_4arch9wavefront6targetE0EEEvSZ_: ; @_ZN7rocprim17ROCPRIM_400000_NS6detail17trampoline_kernelINS0_13select_configILj256ELj13ELNS0_17block_load_methodE3ELS4_3ELS4_3ELNS0_20block_scan_algorithmE0ELj4294967295EEENS1_25partition_config_selectorILNS1_17partition_subalgoE4EjNS0_10empty_typeEbEEZZNS1_14partition_implILS8_4ELb0ES6_15HIP_vector_typeIjLj2EENS0_17counting_iteratorIjlEEPS9_SG_NS0_5tupleIJPjSI_NS0_16reverse_iteratorISI_EEEEENSH_IJSG_SG_SG_EEES9_SI_JZNS1_25segmented_radix_sort_implINS0_14default_configELb1EPKlPlSQ_SR_N2at6native12_GLOBAL__N_18offset_tEEE10hipError_tPvRmT1_PNSt15iterator_traitsISZ_E10value_typeET2_T3_PNS10_IS15_E10value_typeET4_jRbjT5_S1B_jjP12ihipStream_tbEUljE_ZNSN_ISO_Lb1ESQ_SR_SQ_SR_SV_EESW_SX_SY_SZ_S13_S14_S15_S18_S19_jS1A_jS1B_S1B_jjS1D_bEUljE0_EEESW_SX_SY_S15_S19_S1B_T6_T7_T9_mT8_S1D_bDpT10_ENKUlT_T0_E_clISt17integral_constantIbLb1EES1Q_IbLb0EEEEDaS1M_S1N_EUlS1M_E_NS1_11comp_targetILNS1_3genE8ELNS1_11target_archE1030ELNS1_3gpuE2ELNS1_3repE0EEENS1_30default_config_static_selectorELNS0_4arch9wavefront6targetE0EEEvSZ_
; %bb.0:
	.section	.rodata,"a",@progbits
	.p2align	6, 0x0
	.amdhsa_kernel _ZN7rocprim17ROCPRIM_400000_NS6detail17trampoline_kernelINS0_13select_configILj256ELj13ELNS0_17block_load_methodE3ELS4_3ELS4_3ELNS0_20block_scan_algorithmE0ELj4294967295EEENS1_25partition_config_selectorILNS1_17partition_subalgoE4EjNS0_10empty_typeEbEEZZNS1_14partition_implILS8_4ELb0ES6_15HIP_vector_typeIjLj2EENS0_17counting_iteratorIjlEEPS9_SG_NS0_5tupleIJPjSI_NS0_16reverse_iteratorISI_EEEEENSH_IJSG_SG_SG_EEES9_SI_JZNS1_25segmented_radix_sort_implINS0_14default_configELb1EPKlPlSQ_SR_N2at6native12_GLOBAL__N_18offset_tEEE10hipError_tPvRmT1_PNSt15iterator_traitsISZ_E10value_typeET2_T3_PNS10_IS15_E10value_typeET4_jRbjT5_S1B_jjP12ihipStream_tbEUljE_ZNSN_ISO_Lb1ESQ_SR_SQ_SR_SV_EESW_SX_SY_SZ_S13_S14_S15_S18_S19_jS1A_jS1B_S1B_jjS1D_bEUljE0_EEESW_SX_SY_S15_S19_S1B_T6_T7_T9_mT8_S1D_bDpT10_ENKUlT_T0_E_clISt17integral_constantIbLb1EES1Q_IbLb0EEEEDaS1M_S1N_EUlS1M_E_NS1_11comp_targetILNS1_3genE8ELNS1_11target_archE1030ELNS1_3gpuE2ELNS1_3repE0EEENS1_30default_config_static_selectorELNS0_4arch9wavefront6targetE0EEEvSZ_
		.amdhsa_group_segment_fixed_size 0
		.amdhsa_private_segment_fixed_size 0
		.amdhsa_kernarg_size 176
		.amdhsa_user_sgpr_count 15
		.amdhsa_user_sgpr_dispatch_ptr 0
		.amdhsa_user_sgpr_queue_ptr 0
		.amdhsa_user_sgpr_kernarg_segment_ptr 1
		.amdhsa_user_sgpr_dispatch_id 0
		.amdhsa_user_sgpr_private_segment_size 0
		.amdhsa_wavefront_size32 1
		.amdhsa_uses_dynamic_stack 0
		.amdhsa_enable_private_segment 0
		.amdhsa_system_sgpr_workgroup_id_x 1
		.amdhsa_system_sgpr_workgroup_id_y 0
		.amdhsa_system_sgpr_workgroup_id_z 0
		.amdhsa_system_sgpr_workgroup_info 0
		.amdhsa_system_vgpr_workitem_id 0
		.amdhsa_next_free_vgpr 1
		.amdhsa_next_free_sgpr 1
		.amdhsa_reserve_vcc 0
		.amdhsa_float_round_mode_32 0
		.amdhsa_float_round_mode_16_64 0
		.amdhsa_float_denorm_mode_32 3
		.amdhsa_float_denorm_mode_16_64 3
		.amdhsa_dx10_clamp 1
		.amdhsa_ieee_mode 1
		.amdhsa_fp16_overflow 0
		.amdhsa_workgroup_processor_mode 1
		.amdhsa_memory_ordered 1
		.amdhsa_forward_progress 0
		.amdhsa_shared_vgpr_count 0
		.amdhsa_exception_fp_ieee_invalid_op 0
		.amdhsa_exception_fp_denorm_src 0
		.amdhsa_exception_fp_ieee_div_zero 0
		.amdhsa_exception_fp_ieee_overflow 0
		.amdhsa_exception_fp_ieee_underflow 0
		.amdhsa_exception_fp_ieee_inexact 0
		.amdhsa_exception_int_div_zero 0
	.end_amdhsa_kernel
	.section	.text._ZN7rocprim17ROCPRIM_400000_NS6detail17trampoline_kernelINS0_13select_configILj256ELj13ELNS0_17block_load_methodE3ELS4_3ELS4_3ELNS0_20block_scan_algorithmE0ELj4294967295EEENS1_25partition_config_selectorILNS1_17partition_subalgoE4EjNS0_10empty_typeEbEEZZNS1_14partition_implILS8_4ELb0ES6_15HIP_vector_typeIjLj2EENS0_17counting_iteratorIjlEEPS9_SG_NS0_5tupleIJPjSI_NS0_16reverse_iteratorISI_EEEEENSH_IJSG_SG_SG_EEES9_SI_JZNS1_25segmented_radix_sort_implINS0_14default_configELb1EPKlPlSQ_SR_N2at6native12_GLOBAL__N_18offset_tEEE10hipError_tPvRmT1_PNSt15iterator_traitsISZ_E10value_typeET2_T3_PNS10_IS15_E10value_typeET4_jRbjT5_S1B_jjP12ihipStream_tbEUljE_ZNSN_ISO_Lb1ESQ_SR_SQ_SR_SV_EESW_SX_SY_SZ_S13_S14_S15_S18_S19_jS1A_jS1B_S1B_jjS1D_bEUljE0_EEESW_SX_SY_S15_S19_S1B_T6_T7_T9_mT8_S1D_bDpT10_ENKUlT_T0_E_clISt17integral_constantIbLb1EES1Q_IbLb0EEEEDaS1M_S1N_EUlS1M_E_NS1_11comp_targetILNS1_3genE8ELNS1_11target_archE1030ELNS1_3gpuE2ELNS1_3repE0EEENS1_30default_config_static_selectorELNS0_4arch9wavefront6targetE0EEEvSZ_,"axG",@progbits,_ZN7rocprim17ROCPRIM_400000_NS6detail17trampoline_kernelINS0_13select_configILj256ELj13ELNS0_17block_load_methodE3ELS4_3ELS4_3ELNS0_20block_scan_algorithmE0ELj4294967295EEENS1_25partition_config_selectorILNS1_17partition_subalgoE4EjNS0_10empty_typeEbEEZZNS1_14partition_implILS8_4ELb0ES6_15HIP_vector_typeIjLj2EENS0_17counting_iteratorIjlEEPS9_SG_NS0_5tupleIJPjSI_NS0_16reverse_iteratorISI_EEEEENSH_IJSG_SG_SG_EEES9_SI_JZNS1_25segmented_radix_sort_implINS0_14default_configELb1EPKlPlSQ_SR_N2at6native12_GLOBAL__N_18offset_tEEE10hipError_tPvRmT1_PNSt15iterator_traitsISZ_E10value_typeET2_T3_PNS10_IS15_E10value_typeET4_jRbjT5_S1B_jjP12ihipStream_tbEUljE_ZNSN_ISO_Lb1ESQ_SR_SQ_SR_SV_EESW_SX_SY_SZ_S13_S14_S15_S18_S19_jS1A_jS1B_S1B_jjS1D_bEUljE0_EEESW_SX_SY_S15_S19_S1B_T6_T7_T9_mT8_S1D_bDpT10_ENKUlT_T0_E_clISt17integral_constantIbLb1EES1Q_IbLb0EEEEDaS1M_S1N_EUlS1M_E_NS1_11comp_targetILNS1_3genE8ELNS1_11target_archE1030ELNS1_3gpuE2ELNS1_3repE0EEENS1_30default_config_static_selectorELNS0_4arch9wavefront6targetE0EEEvSZ_,comdat
.Lfunc_end663:
	.size	_ZN7rocprim17ROCPRIM_400000_NS6detail17trampoline_kernelINS0_13select_configILj256ELj13ELNS0_17block_load_methodE3ELS4_3ELS4_3ELNS0_20block_scan_algorithmE0ELj4294967295EEENS1_25partition_config_selectorILNS1_17partition_subalgoE4EjNS0_10empty_typeEbEEZZNS1_14partition_implILS8_4ELb0ES6_15HIP_vector_typeIjLj2EENS0_17counting_iteratorIjlEEPS9_SG_NS0_5tupleIJPjSI_NS0_16reverse_iteratorISI_EEEEENSH_IJSG_SG_SG_EEES9_SI_JZNS1_25segmented_radix_sort_implINS0_14default_configELb1EPKlPlSQ_SR_N2at6native12_GLOBAL__N_18offset_tEEE10hipError_tPvRmT1_PNSt15iterator_traitsISZ_E10value_typeET2_T3_PNS10_IS15_E10value_typeET4_jRbjT5_S1B_jjP12ihipStream_tbEUljE_ZNSN_ISO_Lb1ESQ_SR_SQ_SR_SV_EESW_SX_SY_SZ_S13_S14_S15_S18_S19_jS1A_jS1B_S1B_jjS1D_bEUljE0_EEESW_SX_SY_S15_S19_S1B_T6_T7_T9_mT8_S1D_bDpT10_ENKUlT_T0_E_clISt17integral_constantIbLb1EES1Q_IbLb0EEEEDaS1M_S1N_EUlS1M_E_NS1_11comp_targetILNS1_3genE8ELNS1_11target_archE1030ELNS1_3gpuE2ELNS1_3repE0EEENS1_30default_config_static_selectorELNS0_4arch9wavefront6targetE0EEEvSZ_, .Lfunc_end663-_ZN7rocprim17ROCPRIM_400000_NS6detail17trampoline_kernelINS0_13select_configILj256ELj13ELNS0_17block_load_methodE3ELS4_3ELS4_3ELNS0_20block_scan_algorithmE0ELj4294967295EEENS1_25partition_config_selectorILNS1_17partition_subalgoE4EjNS0_10empty_typeEbEEZZNS1_14partition_implILS8_4ELb0ES6_15HIP_vector_typeIjLj2EENS0_17counting_iteratorIjlEEPS9_SG_NS0_5tupleIJPjSI_NS0_16reverse_iteratorISI_EEEEENSH_IJSG_SG_SG_EEES9_SI_JZNS1_25segmented_radix_sort_implINS0_14default_configELb1EPKlPlSQ_SR_N2at6native12_GLOBAL__N_18offset_tEEE10hipError_tPvRmT1_PNSt15iterator_traitsISZ_E10value_typeET2_T3_PNS10_IS15_E10value_typeET4_jRbjT5_S1B_jjP12ihipStream_tbEUljE_ZNSN_ISO_Lb1ESQ_SR_SQ_SR_SV_EESW_SX_SY_SZ_S13_S14_S15_S18_S19_jS1A_jS1B_S1B_jjS1D_bEUljE0_EEESW_SX_SY_S15_S19_S1B_T6_T7_T9_mT8_S1D_bDpT10_ENKUlT_T0_E_clISt17integral_constantIbLb1EES1Q_IbLb0EEEEDaS1M_S1N_EUlS1M_E_NS1_11comp_targetILNS1_3genE8ELNS1_11target_archE1030ELNS1_3gpuE2ELNS1_3repE0EEENS1_30default_config_static_selectorELNS0_4arch9wavefront6targetE0EEEvSZ_
                                        ; -- End function
	.section	.AMDGPU.csdata,"",@progbits
; Kernel info:
; codeLenInByte = 0
; NumSgprs: 0
; NumVgprs: 0
; ScratchSize: 0
; MemoryBound: 0
; FloatMode: 240
; IeeeMode: 1
; LDSByteSize: 0 bytes/workgroup (compile time only)
; SGPRBlocks: 0
; VGPRBlocks: 0
; NumSGPRsForWavesPerEU: 1
; NumVGPRsForWavesPerEU: 1
; Occupancy: 16
; WaveLimiterHint : 0
; COMPUTE_PGM_RSRC2:SCRATCH_EN: 0
; COMPUTE_PGM_RSRC2:USER_SGPR: 15
; COMPUTE_PGM_RSRC2:TRAP_HANDLER: 0
; COMPUTE_PGM_RSRC2:TGID_X_EN: 1
; COMPUTE_PGM_RSRC2:TGID_Y_EN: 0
; COMPUTE_PGM_RSRC2:TGID_Z_EN: 0
; COMPUTE_PGM_RSRC2:TIDIG_COMP_CNT: 0
	.section	.text._ZN7rocprim17ROCPRIM_400000_NS6detail17trampoline_kernelINS0_13select_configILj256ELj13ELNS0_17block_load_methodE3ELS4_3ELS4_3ELNS0_20block_scan_algorithmE0ELj4294967295EEENS1_25partition_config_selectorILNS1_17partition_subalgoE4EjNS0_10empty_typeEbEEZZNS1_14partition_implILS8_4ELb0ES6_15HIP_vector_typeIjLj2EENS0_17counting_iteratorIjlEEPS9_SG_NS0_5tupleIJPjSI_NS0_16reverse_iteratorISI_EEEEENSH_IJSG_SG_SG_EEES9_SI_JZNS1_25segmented_radix_sort_implINS0_14default_configELb1EPKlPlSQ_SR_N2at6native12_GLOBAL__N_18offset_tEEE10hipError_tPvRmT1_PNSt15iterator_traitsISZ_E10value_typeET2_T3_PNS10_IS15_E10value_typeET4_jRbjT5_S1B_jjP12ihipStream_tbEUljE_ZNSN_ISO_Lb1ESQ_SR_SQ_SR_SV_EESW_SX_SY_SZ_S13_S14_S15_S18_S19_jS1A_jS1B_S1B_jjS1D_bEUljE0_EEESW_SX_SY_S15_S19_S1B_T6_T7_T9_mT8_S1D_bDpT10_ENKUlT_T0_E_clISt17integral_constantIbLb0EES1Q_IbLb1EEEEDaS1M_S1N_EUlS1M_E_NS1_11comp_targetILNS1_3genE0ELNS1_11target_archE4294967295ELNS1_3gpuE0ELNS1_3repE0EEENS1_30default_config_static_selectorELNS0_4arch9wavefront6targetE0EEEvSZ_,"axG",@progbits,_ZN7rocprim17ROCPRIM_400000_NS6detail17trampoline_kernelINS0_13select_configILj256ELj13ELNS0_17block_load_methodE3ELS4_3ELS4_3ELNS0_20block_scan_algorithmE0ELj4294967295EEENS1_25partition_config_selectorILNS1_17partition_subalgoE4EjNS0_10empty_typeEbEEZZNS1_14partition_implILS8_4ELb0ES6_15HIP_vector_typeIjLj2EENS0_17counting_iteratorIjlEEPS9_SG_NS0_5tupleIJPjSI_NS0_16reverse_iteratorISI_EEEEENSH_IJSG_SG_SG_EEES9_SI_JZNS1_25segmented_radix_sort_implINS0_14default_configELb1EPKlPlSQ_SR_N2at6native12_GLOBAL__N_18offset_tEEE10hipError_tPvRmT1_PNSt15iterator_traitsISZ_E10value_typeET2_T3_PNS10_IS15_E10value_typeET4_jRbjT5_S1B_jjP12ihipStream_tbEUljE_ZNSN_ISO_Lb1ESQ_SR_SQ_SR_SV_EESW_SX_SY_SZ_S13_S14_S15_S18_S19_jS1A_jS1B_S1B_jjS1D_bEUljE0_EEESW_SX_SY_S15_S19_S1B_T6_T7_T9_mT8_S1D_bDpT10_ENKUlT_T0_E_clISt17integral_constantIbLb0EES1Q_IbLb1EEEEDaS1M_S1N_EUlS1M_E_NS1_11comp_targetILNS1_3genE0ELNS1_11target_archE4294967295ELNS1_3gpuE0ELNS1_3repE0EEENS1_30default_config_static_selectorELNS0_4arch9wavefront6targetE0EEEvSZ_,comdat
	.globl	_ZN7rocprim17ROCPRIM_400000_NS6detail17trampoline_kernelINS0_13select_configILj256ELj13ELNS0_17block_load_methodE3ELS4_3ELS4_3ELNS0_20block_scan_algorithmE0ELj4294967295EEENS1_25partition_config_selectorILNS1_17partition_subalgoE4EjNS0_10empty_typeEbEEZZNS1_14partition_implILS8_4ELb0ES6_15HIP_vector_typeIjLj2EENS0_17counting_iteratorIjlEEPS9_SG_NS0_5tupleIJPjSI_NS0_16reverse_iteratorISI_EEEEENSH_IJSG_SG_SG_EEES9_SI_JZNS1_25segmented_radix_sort_implINS0_14default_configELb1EPKlPlSQ_SR_N2at6native12_GLOBAL__N_18offset_tEEE10hipError_tPvRmT1_PNSt15iterator_traitsISZ_E10value_typeET2_T3_PNS10_IS15_E10value_typeET4_jRbjT5_S1B_jjP12ihipStream_tbEUljE_ZNSN_ISO_Lb1ESQ_SR_SQ_SR_SV_EESW_SX_SY_SZ_S13_S14_S15_S18_S19_jS1A_jS1B_S1B_jjS1D_bEUljE0_EEESW_SX_SY_S15_S19_S1B_T6_T7_T9_mT8_S1D_bDpT10_ENKUlT_T0_E_clISt17integral_constantIbLb0EES1Q_IbLb1EEEEDaS1M_S1N_EUlS1M_E_NS1_11comp_targetILNS1_3genE0ELNS1_11target_archE4294967295ELNS1_3gpuE0ELNS1_3repE0EEENS1_30default_config_static_selectorELNS0_4arch9wavefront6targetE0EEEvSZ_ ; -- Begin function _ZN7rocprim17ROCPRIM_400000_NS6detail17trampoline_kernelINS0_13select_configILj256ELj13ELNS0_17block_load_methodE3ELS4_3ELS4_3ELNS0_20block_scan_algorithmE0ELj4294967295EEENS1_25partition_config_selectorILNS1_17partition_subalgoE4EjNS0_10empty_typeEbEEZZNS1_14partition_implILS8_4ELb0ES6_15HIP_vector_typeIjLj2EENS0_17counting_iteratorIjlEEPS9_SG_NS0_5tupleIJPjSI_NS0_16reverse_iteratorISI_EEEEENSH_IJSG_SG_SG_EEES9_SI_JZNS1_25segmented_radix_sort_implINS0_14default_configELb1EPKlPlSQ_SR_N2at6native12_GLOBAL__N_18offset_tEEE10hipError_tPvRmT1_PNSt15iterator_traitsISZ_E10value_typeET2_T3_PNS10_IS15_E10value_typeET4_jRbjT5_S1B_jjP12ihipStream_tbEUljE_ZNSN_ISO_Lb1ESQ_SR_SQ_SR_SV_EESW_SX_SY_SZ_S13_S14_S15_S18_S19_jS1A_jS1B_S1B_jjS1D_bEUljE0_EEESW_SX_SY_S15_S19_S1B_T6_T7_T9_mT8_S1D_bDpT10_ENKUlT_T0_E_clISt17integral_constantIbLb0EES1Q_IbLb1EEEEDaS1M_S1N_EUlS1M_E_NS1_11comp_targetILNS1_3genE0ELNS1_11target_archE4294967295ELNS1_3gpuE0ELNS1_3repE0EEENS1_30default_config_static_selectorELNS0_4arch9wavefront6targetE0EEEvSZ_
	.p2align	8
	.type	_ZN7rocprim17ROCPRIM_400000_NS6detail17trampoline_kernelINS0_13select_configILj256ELj13ELNS0_17block_load_methodE3ELS4_3ELS4_3ELNS0_20block_scan_algorithmE0ELj4294967295EEENS1_25partition_config_selectorILNS1_17partition_subalgoE4EjNS0_10empty_typeEbEEZZNS1_14partition_implILS8_4ELb0ES6_15HIP_vector_typeIjLj2EENS0_17counting_iteratorIjlEEPS9_SG_NS0_5tupleIJPjSI_NS0_16reverse_iteratorISI_EEEEENSH_IJSG_SG_SG_EEES9_SI_JZNS1_25segmented_radix_sort_implINS0_14default_configELb1EPKlPlSQ_SR_N2at6native12_GLOBAL__N_18offset_tEEE10hipError_tPvRmT1_PNSt15iterator_traitsISZ_E10value_typeET2_T3_PNS10_IS15_E10value_typeET4_jRbjT5_S1B_jjP12ihipStream_tbEUljE_ZNSN_ISO_Lb1ESQ_SR_SQ_SR_SV_EESW_SX_SY_SZ_S13_S14_S15_S18_S19_jS1A_jS1B_S1B_jjS1D_bEUljE0_EEESW_SX_SY_S15_S19_S1B_T6_T7_T9_mT8_S1D_bDpT10_ENKUlT_T0_E_clISt17integral_constantIbLb0EES1Q_IbLb1EEEEDaS1M_S1N_EUlS1M_E_NS1_11comp_targetILNS1_3genE0ELNS1_11target_archE4294967295ELNS1_3gpuE0ELNS1_3repE0EEENS1_30default_config_static_selectorELNS0_4arch9wavefront6targetE0EEEvSZ_,@function
_ZN7rocprim17ROCPRIM_400000_NS6detail17trampoline_kernelINS0_13select_configILj256ELj13ELNS0_17block_load_methodE3ELS4_3ELS4_3ELNS0_20block_scan_algorithmE0ELj4294967295EEENS1_25partition_config_selectorILNS1_17partition_subalgoE4EjNS0_10empty_typeEbEEZZNS1_14partition_implILS8_4ELb0ES6_15HIP_vector_typeIjLj2EENS0_17counting_iteratorIjlEEPS9_SG_NS0_5tupleIJPjSI_NS0_16reverse_iteratorISI_EEEEENSH_IJSG_SG_SG_EEES9_SI_JZNS1_25segmented_radix_sort_implINS0_14default_configELb1EPKlPlSQ_SR_N2at6native12_GLOBAL__N_18offset_tEEE10hipError_tPvRmT1_PNSt15iterator_traitsISZ_E10value_typeET2_T3_PNS10_IS15_E10value_typeET4_jRbjT5_S1B_jjP12ihipStream_tbEUljE_ZNSN_ISO_Lb1ESQ_SR_SQ_SR_SV_EESW_SX_SY_SZ_S13_S14_S15_S18_S19_jS1A_jS1B_S1B_jjS1D_bEUljE0_EEESW_SX_SY_S15_S19_S1B_T6_T7_T9_mT8_S1D_bDpT10_ENKUlT_T0_E_clISt17integral_constantIbLb0EES1Q_IbLb1EEEEDaS1M_S1N_EUlS1M_E_NS1_11comp_targetILNS1_3genE0ELNS1_11target_archE4294967295ELNS1_3gpuE0ELNS1_3repE0EEENS1_30default_config_static_selectorELNS0_4arch9wavefront6targetE0EEEvSZ_: ; @_ZN7rocprim17ROCPRIM_400000_NS6detail17trampoline_kernelINS0_13select_configILj256ELj13ELNS0_17block_load_methodE3ELS4_3ELS4_3ELNS0_20block_scan_algorithmE0ELj4294967295EEENS1_25partition_config_selectorILNS1_17partition_subalgoE4EjNS0_10empty_typeEbEEZZNS1_14partition_implILS8_4ELb0ES6_15HIP_vector_typeIjLj2EENS0_17counting_iteratorIjlEEPS9_SG_NS0_5tupleIJPjSI_NS0_16reverse_iteratorISI_EEEEENSH_IJSG_SG_SG_EEES9_SI_JZNS1_25segmented_radix_sort_implINS0_14default_configELb1EPKlPlSQ_SR_N2at6native12_GLOBAL__N_18offset_tEEE10hipError_tPvRmT1_PNSt15iterator_traitsISZ_E10value_typeET2_T3_PNS10_IS15_E10value_typeET4_jRbjT5_S1B_jjP12ihipStream_tbEUljE_ZNSN_ISO_Lb1ESQ_SR_SQ_SR_SV_EESW_SX_SY_SZ_S13_S14_S15_S18_S19_jS1A_jS1B_S1B_jjS1D_bEUljE0_EEESW_SX_SY_S15_S19_S1B_T6_T7_T9_mT8_S1D_bDpT10_ENKUlT_T0_E_clISt17integral_constantIbLb0EES1Q_IbLb1EEEEDaS1M_S1N_EUlS1M_E_NS1_11comp_targetILNS1_3genE0ELNS1_11target_archE4294967295ELNS1_3gpuE0ELNS1_3repE0EEENS1_30default_config_static_selectorELNS0_4arch9wavefront6targetE0EEEvSZ_
; %bb.0:
	.section	.rodata,"a",@progbits
	.p2align	6, 0x0
	.amdhsa_kernel _ZN7rocprim17ROCPRIM_400000_NS6detail17trampoline_kernelINS0_13select_configILj256ELj13ELNS0_17block_load_methodE3ELS4_3ELS4_3ELNS0_20block_scan_algorithmE0ELj4294967295EEENS1_25partition_config_selectorILNS1_17partition_subalgoE4EjNS0_10empty_typeEbEEZZNS1_14partition_implILS8_4ELb0ES6_15HIP_vector_typeIjLj2EENS0_17counting_iteratorIjlEEPS9_SG_NS0_5tupleIJPjSI_NS0_16reverse_iteratorISI_EEEEENSH_IJSG_SG_SG_EEES9_SI_JZNS1_25segmented_radix_sort_implINS0_14default_configELb1EPKlPlSQ_SR_N2at6native12_GLOBAL__N_18offset_tEEE10hipError_tPvRmT1_PNSt15iterator_traitsISZ_E10value_typeET2_T3_PNS10_IS15_E10value_typeET4_jRbjT5_S1B_jjP12ihipStream_tbEUljE_ZNSN_ISO_Lb1ESQ_SR_SQ_SR_SV_EESW_SX_SY_SZ_S13_S14_S15_S18_S19_jS1A_jS1B_S1B_jjS1D_bEUljE0_EEESW_SX_SY_S15_S19_S1B_T6_T7_T9_mT8_S1D_bDpT10_ENKUlT_T0_E_clISt17integral_constantIbLb0EES1Q_IbLb1EEEEDaS1M_S1N_EUlS1M_E_NS1_11comp_targetILNS1_3genE0ELNS1_11target_archE4294967295ELNS1_3gpuE0ELNS1_3repE0EEENS1_30default_config_static_selectorELNS0_4arch9wavefront6targetE0EEEvSZ_
		.amdhsa_group_segment_fixed_size 0
		.amdhsa_private_segment_fixed_size 0
		.amdhsa_kernarg_size 184
		.amdhsa_user_sgpr_count 15
		.amdhsa_user_sgpr_dispatch_ptr 0
		.amdhsa_user_sgpr_queue_ptr 0
		.amdhsa_user_sgpr_kernarg_segment_ptr 1
		.amdhsa_user_sgpr_dispatch_id 0
		.amdhsa_user_sgpr_private_segment_size 0
		.amdhsa_wavefront_size32 1
		.amdhsa_uses_dynamic_stack 0
		.amdhsa_enable_private_segment 0
		.amdhsa_system_sgpr_workgroup_id_x 1
		.amdhsa_system_sgpr_workgroup_id_y 0
		.amdhsa_system_sgpr_workgroup_id_z 0
		.amdhsa_system_sgpr_workgroup_info 0
		.amdhsa_system_vgpr_workitem_id 0
		.amdhsa_next_free_vgpr 1
		.amdhsa_next_free_sgpr 1
		.amdhsa_reserve_vcc 0
		.amdhsa_float_round_mode_32 0
		.amdhsa_float_round_mode_16_64 0
		.amdhsa_float_denorm_mode_32 3
		.amdhsa_float_denorm_mode_16_64 3
		.amdhsa_dx10_clamp 1
		.amdhsa_ieee_mode 1
		.amdhsa_fp16_overflow 0
		.amdhsa_workgroup_processor_mode 1
		.amdhsa_memory_ordered 1
		.amdhsa_forward_progress 0
		.amdhsa_shared_vgpr_count 0
		.amdhsa_exception_fp_ieee_invalid_op 0
		.amdhsa_exception_fp_denorm_src 0
		.amdhsa_exception_fp_ieee_div_zero 0
		.amdhsa_exception_fp_ieee_overflow 0
		.amdhsa_exception_fp_ieee_underflow 0
		.amdhsa_exception_fp_ieee_inexact 0
		.amdhsa_exception_int_div_zero 0
	.end_amdhsa_kernel
	.section	.text._ZN7rocprim17ROCPRIM_400000_NS6detail17trampoline_kernelINS0_13select_configILj256ELj13ELNS0_17block_load_methodE3ELS4_3ELS4_3ELNS0_20block_scan_algorithmE0ELj4294967295EEENS1_25partition_config_selectorILNS1_17partition_subalgoE4EjNS0_10empty_typeEbEEZZNS1_14partition_implILS8_4ELb0ES6_15HIP_vector_typeIjLj2EENS0_17counting_iteratorIjlEEPS9_SG_NS0_5tupleIJPjSI_NS0_16reverse_iteratorISI_EEEEENSH_IJSG_SG_SG_EEES9_SI_JZNS1_25segmented_radix_sort_implINS0_14default_configELb1EPKlPlSQ_SR_N2at6native12_GLOBAL__N_18offset_tEEE10hipError_tPvRmT1_PNSt15iterator_traitsISZ_E10value_typeET2_T3_PNS10_IS15_E10value_typeET4_jRbjT5_S1B_jjP12ihipStream_tbEUljE_ZNSN_ISO_Lb1ESQ_SR_SQ_SR_SV_EESW_SX_SY_SZ_S13_S14_S15_S18_S19_jS1A_jS1B_S1B_jjS1D_bEUljE0_EEESW_SX_SY_S15_S19_S1B_T6_T7_T9_mT8_S1D_bDpT10_ENKUlT_T0_E_clISt17integral_constantIbLb0EES1Q_IbLb1EEEEDaS1M_S1N_EUlS1M_E_NS1_11comp_targetILNS1_3genE0ELNS1_11target_archE4294967295ELNS1_3gpuE0ELNS1_3repE0EEENS1_30default_config_static_selectorELNS0_4arch9wavefront6targetE0EEEvSZ_,"axG",@progbits,_ZN7rocprim17ROCPRIM_400000_NS6detail17trampoline_kernelINS0_13select_configILj256ELj13ELNS0_17block_load_methodE3ELS4_3ELS4_3ELNS0_20block_scan_algorithmE0ELj4294967295EEENS1_25partition_config_selectorILNS1_17partition_subalgoE4EjNS0_10empty_typeEbEEZZNS1_14partition_implILS8_4ELb0ES6_15HIP_vector_typeIjLj2EENS0_17counting_iteratorIjlEEPS9_SG_NS0_5tupleIJPjSI_NS0_16reverse_iteratorISI_EEEEENSH_IJSG_SG_SG_EEES9_SI_JZNS1_25segmented_radix_sort_implINS0_14default_configELb1EPKlPlSQ_SR_N2at6native12_GLOBAL__N_18offset_tEEE10hipError_tPvRmT1_PNSt15iterator_traitsISZ_E10value_typeET2_T3_PNS10_IS15_E10value_typeET4_jRbjT5_S1B_jjP12ihipStream_tbEUljE_ZNSN_ISO_Lb1ESQ_SR_SQ_SR_SV_EESW_SX_SY_SZ_S13_S14_S15_S18_S19_jS1A_jS1B_S1B_jjS1D_bEUljE0_EEESW_SX_SY_S15_S19_S1B_T6_T7_T9_mT8_S1D_bDpT10_ENKUlT_T0_E_clISt17integral_constantIbLb0EES1Q_IbLb1EEEEDaS1M_S1N_EUlS1M_E_NS1_11comp_targetILNS1_3genE0ELNS1_11target_archE4294967295ELNS1_3gpuE0ELNS1_3repE0EEENS1_30default_config_static_selectorELNS0_4arch9wavefront6targetE0EEEvSZ_,comdat
.Lfunc_end664:
	.size	_ZN7rocprim17ROCPRIM_400000_NS6detail17trampoline_kernelINS0_13select_configILj256ELj13ELNS0_17block_load_methodE3ELS4_3ELS4_3ELNS0_20block_scan_algorithmE0ELj4294967295EEENS1_25partition_config_selectorILNS1_17partition_subalgoE4EjNS0_10empty_typeEbEEZZNS1_14partition_implILS8_4ELb0ES6_15HIP_vector_typeIjLj2EENS0_17counting_iteratorIjlEEPS9_SG_NS0_5tupleIJPjSI_NS0_16reverse_iteratorISI_EEEEENSH_IJSG_SG_SG_EEES9_SI_JZNS1_25segmented_radix_sort_implINS0_14default_configELb1EPKlPlSQ_SR_N2at6native12_GLOBAL__N_18offset_tEEE10hipError_tPvRmT1_PNSt15iterator_traitsISZ_E10value_typeET2_T3_PNS10_IS15_E10value_typeET4_jRbjT5_S1B_jjP12ihipStream_tbEUljE_ZNSN_ISO_Lb1ESQ_SR_SQ_SR_SV_EESW_SX_SY_SZ_S13_S14_S15_S18_S19_jS1A_jS1B_S1B_jjS1D_bEUljE0_EEESW_SX_SY_S15_S19_S1B_T6_T7_T9_mT8_S1D_bDpT10_ENKUlT_T0_E_clISt17integral_constantIbLb0EES1Q_IbLb1EEEEDaS1M_S1N_EUlS1M_E_NS1_11comp_targetILNS1_3genE0ELNS1_11target_archE4294967295ELNS1_3gpuE0ELNS1_3repE0EEENS1_30default_config_static_selectorELNS0_4arch9wavefront6targetE0EEEvSZ_, .Lfunc_end664-_ZN7rocprim17ROCPRIM_400000_NS6detail17trampoline_kernelINS0_13select_configILj256ELj13ELNS0_17block_load_methodE3ELS4_3ELS4_3ELNS0_20block_scan_algorithmE0ELj4294967295EEENS1_25partition_config_selectorILNS1_17partition_subalgoE4EjNS0_10empty_typeEbEEZZNS1_14partition_implILS8_4ELb0ES6_15HIP_vector_typeIjLj2EENS0_17counting_iteratorIjlEEPS9_SG_NS0_5tupleIJPjSI_NS0_16reverse_iteratorISI_EEEEENSH_IJSG_SG_SG_EEES9_SI_JZNS1_25segmented_radix_sort_implINS0_14default_configELb1EPKlPlSQ_SR_N2at6native12_GLOBAL__N_18offset_tEEE10hipError_tPvRmT1_PNSt15iterator_traitsISZ_E10value_typeET2_T3_PNS10_IS15_E10value_typeET4_jRbjT5_S1B_jjP12ihipStream_tbEUljE_ZNSN_ISO_Lb1ESQ_SR_SQ_SR_SV_EESW_SX_SY_SZ_S13_S14_S15_S18_S19_jS1A_jS1B_S1B_jjS1D_bEUljE0_EEESW_SX_SY_S15_S19_S1B_T6_T7_T9_mT8_S1D_bDpT10_ENKUlT_T0_E_clISt17integral_constantIbLb0EES1Q_IbLb1EEEEDaS1M_S1N_EUlS1M_E_NS1_11comp_targetILNS1_3genE0ELNS1_11target_archE4294967295ELNS1_3gpuE0ELNS1_3repE0EEENS1_30default_config_static_selectorELNS0_4arch9wavefront6targetE0EEEvSZ_
                                        ; -- End function
	.section	.AMDGPU.csdata,"",@progbits
; Kernel info:
; codeLenInByte = 0
; NumSgprs: 0
; NumVgprs: 0
; ScratchSize: 0
; MemoryBound: 0
; FloatMode: 240
; IeeeMode: 1
; LDSByteSize: 0 bytes/workgroup (compile time only)
; SGPRBlocks: 0
; VGPRBlocks: 0
; NumSGPRsForWavesPerEU: 1
; NumVGPRsForWavesPerEU: 1
; Occupancy: 16
; WaveLimiterHint : 0
; COMPUTE_PGM_RSRC2:SCRATCH_EN: 0
; COMPUTE_PGM_RSRC2:USER_SGPR: 15
; COMPUTE_PGM_RSRC2:TRAP_HANDLER: 0
; COMPUTE_PGM_RSRC2:TGID_X_EN: 1
; COMPUTE_PGM_RSRC2:TGID_Y_EN: 0
; COMPUTE_PGM_RSRC2:TGID_Z_EN: 0
; COMPUTE_PGM_RSRC2:TIDIG_COMP_CNT: 0
	.section	.text._ZN7rocprim17ROCPRIM_400000_NS6detail17trampoline_kernelINS0_13select_configILj256ELj13ELNS0_17block_load_methodE3ELS4_3ELS4_3ELNS0_20block_scan_algorithmE0ELj4294967295EEENS1_25partition_config_selectorILNS1_17partition_subalgoE4EjNS0_10empty_typeEbEEZZNS1_14partition_implILS8_4ELb0ES6_15HIP_vector_typeIjLj2EENS0_17counting_iteratorIjlEEPS9_SG_NS0_5tupleIJPjSI_NS0_16reverse_iteratorISI_EEEEENSH_IJSG_SG_SG_EEES9_SI_JZNS1_25segmented_radix_sort_implINS0_14default_configELb1EPKlPlSQ_SR_N2at6native12_GLOBAL__N_18offset_tEEE10hipError_tPvRmT1_PNSt15iterator_traitsISZ_E10value_typeET2_T3_PNS10_IS15_E10value_typeET4_jRbjT5_S1B_jjP12ihipStream_tbEUljE_ZNSN_ISO_Lb1ESQ_SR_SQ_SR_SV_EESW_SX_SY_SZ_S13_S14_S15_S18_S19_jS1A_jS1B_S1B_jjS1D_bEUljE0_EEESW_SX_SY_S15_S19_S1B_T6_T7_T9_mT8_S1D_bDpT10_ENKUlT_T0_E_clISt17integral_constantIbLb0EES1Q_IbLb1EEEEDaS1M_S1N_EUlS1M_E_NS1_11comp_targetILNS1_3genE5ELNS1_11target_archE942ELNS1_3gpuE9ELNS1_3repE0EEENS1_30default_config_static_selectorELNS0_4arch9wavefront6targetE0EEEvSZ_,"axG",@progbits,_ZN7rocprim17ROCPRIM_400000_NS6detail17trampoline_kernelINS0_13select_configILj256ELj13ELNS0_17block_load_methodE3ELS4_3ELS4_3ELNS0_20block_scan_algorithmE0ELj4294967295EEENS1_25partition_config_selectorILNS1_17partition_subalgoE4EjNS0_10empty_typeEbEEZZNS1_14partition_implILS8_4ELb0ES6_15HIP_vector_typeIjLj2EENS0_17counting_iteratorIjlEEPS9_SG_NS0_5tupleIJPjSI_NS0_16reverse_iteratorISI_EEEEENSH_IJSG_SG_SG_EEES9_SI_JZNS1_25segmented_radix_sort_implINS0_14default_configELb1EPKlPlSQ_SR_N2at6native12_GLOBAL__N_18offset_tEEE10hipError_tPvRmT1_PNSt15iterator_traitsISZ_E10value_typeET2_T3_PNS10_IS15_E10value_typeET4_jRbjT5_S1B_jjP12ihipStream_tbEUljE_ZNSN_ISO_Lb1ESQ_SR_SQ_SR_SV_EESW_SX_SY_SZ_S13_S14_S15_S18_S19_jS1A_jS1B_S1B_jjS1D_bEUljE0_EEESW_SX_SY_S15_S19_S1B_T6_T7_T9_mT8_S1D_bDpT10_ENKUlT_T0_E_clISt17integral_constantIbLb0EES1Q_IbLb1EEEEDaS1M_S1N_EUlS1M_E_NS1_11comp_targetILNS1_3genE5ELNS1_11target_archE942ELNS1_3gpuE9ELNS1_3repE0EEENS1_30default_config_static_selectorELNS0_4arch9wavefront6targetE0EEEvSZ_,comdat
	.globl	_ZN7rocprim17ROCPRIM_400000_NS6detail17trampoline_kernelINS0_13select_configILj256ELj13ELNS0_17block_load_methodE3ELS4_3ELS4_3ELNS0_20block_scan_algorithmE0ELj4294967295EEENS1_25partition_config_selectorILNS1_17partition_subalgoE4EjNS0_10empty_typeEbEEZZNS1_14partition_implILS8_4ELb0ES6_15HIP_vector_typeIjLj2EENS0_17counting_iteratorIjlEEPS9_SG_NS0_5tupleIJPjSI_NS0_16reverse_iteratorISI_EEEEENSH_IJSG_SG_SG_EEES9_SI_JZNS1_25segmented_radix_sort_implINS0_14default_configELb1EPKlPlSQ_SR_N2at6native12_GLOBAL__N_18offset_tEEE10hipError_tPvRmT1_PNSt15iterator_traitsISZ_E10value_typeET2_T3_PNS10_IS15_E10value_typeET4_jRbjT5_S1B_jjP12ihipStream_tbEUljE_ZNSN_ISO_Lb1ESQ_SR_SQ_SR_SV_EESW_SX_SY_SZ_S13_S14_S15_S18_S19_jS1A_jS1B_S1B_jjS1D_bEUljE0_EEESW_SX_SY_S15_S19_S1B_T6_T7_T9_mT8_S1D_bDpT10_ENKUlT_T0_E_clISt17integral_constantIbLb0EES1Q_IbLb1EEEEDaS1M_S1N_EUlS1M_E_NS1_11comp_targetILNS1_3genE5ELNS1_11target_archE942ELNS1_3gpuE9ELNS1_3repE0EEENS1_30default_config_static_selectorELNS0_4arch9wavefront6targetE0EEEvSZ_ ; -- Begin function _ZN7rocprim17ROCPRIM_400000_NS6detail17trampoline_kernelINS0_13select_configILj256ELj13ELNS0_17block_load_methodE3ELS4_3ELS4_3ELNS0_20block_scan_algorithmE0ELj4294967295EEENS1_25partition_config_selectorILNS1_17partition_subalgoE4EjNS0_10empty_typeEbEEZZNS1_14partition_implILS8_4ELb0ES6_15HIP_vector_typeIjLj2EENS0_17counting_iteratorIjlEEPS9_SG_NS0_5tupleIJPjSI_NS0_16reverse_iteratorISI_EEEEENSH_IJSG_SG_SG_EEES9_SI_JZNS1_25segmented_radix_sort_implINS0_14default_configELb1EPKlPlSQ_SR_N2at6native12_GLOBAL__N_18offset_tEEE10hipError_tPvRmT1_PNSt15iterator_traitsISZ_E10value_typeET2_T3_PNS10_IS15_E10value_typeET4_jRbjT5_S1B_jjP12ihipStream_tbEUljE_ZNSN_ISO_Lb1ESQ_SR_SQ_SR_SV_EESW_SX_SY_SZ_S13_S14_S15_S18_S19_jS1A_jS1B_S1B_jjS1D_bEUljE0_EEESW_SX_SY_S15_S19_S1B_T6_T7_T9_mT8_S1D_bDpT10_ENKUlT_T0_E_clISt17integral_constantIbLb0EES1Q_IbLb1EEEEDaS1M_S1N_EUlS1M_E_NS1_11comp_targetILNS1_3genE5ELNS1_11target_archE942ELNS1_3gpuE9ELNS1_3repE0EEENS1_30default_config_static_selectorELNS0_4arch9wavefront6targetE0EEEvSZ_
	.p2align	8
	.type	_ZN7rocprim17ROCPRIM_400000_NS6detail17trampoline_kernelINS0_13select_configILj256ELj13ELNS0_17block_load_methodE3ELS4_3ELS4_3ELNS0_20block_scan_algorithmE0ELj4294967295EEENS1_25partition_config_selectorILNS1_17partition_subalgoE4EjNS0_10empty_typeEbEEZZNS1_14partition_implILS8_4ELb0ES6_15HIP_vector_typeIjLj2EENS0_17counting_iteratorIjlEEPS9_SG_NS0_5tupleIJPjSI_NS0_16reverse_iteratorISI_EEEEENSH_IJSG_SG_SG_EEES9_SI_JZNS1_25segmented_radix_sort_implINS0_14default_configELb1EPKlPlSQ_SR_N2at6native12_GLOBAL__N_18offset_tEEE10hipError_tPvRmT1_PNSt15iterator_traitsISZ_E10value_typeET2_T3_PNS10_IS15_E10value_typeET4_jRbjT5_S1B_jjP12ihipStream_tbEUljE_ZNSN_ISO_Lb1ESQ_SR_SQ_SR_SV_EESW_SX_SY_SZ_S13_S14_S15_S18_S19_jS1A_jS1B_S1B_jjS1D_bEUljE0_EEESW_SX_SY_S15_S19_S1B_T6_T7_T9_mT8_S1D_bDpT10_ENKUlT_T0_E_clISt17integral_constantIbLb0EES1Q_IbLb1EEEEDaS1M_S1N_EUlS1M_E_NS1_11comp_targetILNS1_3genE5ELNS1_11target_archE942ELNS1_3gpuE9ELNS1_3repE0EEENS1_30default_config_static_selectorELNS0_4arch9wavefront6targetE0EEEvSZ_,@function
_ZN7rocprim17ROCPRIM_400000_NS6detail17trampoline_kernelINS0_13select_configILj256ELj13ELNS0_17block_load_methodE3ELS4_3ELS4_3ELNS0_20block_scan_algorithmE0ELj4294967295EEENS1_25partition_config_selectorILNS1_17partition_subalgoE4EjNS0_10empty_typeEbEEZZNS1_14partition_implILS8_4ELb0ES6_15HIP_vector_typeIjLj2EENS0_17counting_iteratorIjlEEPS9_SG_NS0_5tupleIJPjSI_NS0_16reverse_iteratorISI_EEEEENSH_IJSG_SG_SG_EEES9_SI_JZNS1_25segmented_radix_sort_implINS0_14default_configELb1EPKlPlSQ_SR_N2at6native12_GLOBAL__N_18offset_tEEE10hipError_tPvRmT1_PNSt15iterator_traitsISZ_E10value_typeET2_T3_PNS10_IS15_E10value_typeET4_jRbjT5_S1B_jjP12ihipStream_tbEUljE_ZNSN_ISO_Lb1ESQ_SR_SQ_SR_SV_EESW_SX_SY_SZ_S13_S14_S15_S18_S19_jS1A_jS1B_S1B_jjS1D_bEUljE0_EEESW_SX_SY_S15_S19_S1B_T6_T7_T9_mT8_S1D_bDpT10_ENKUlT_T0_E_clISt17integral_constantIbLb0EES1Q_IbLb1EEEEDaS1M_S1N_EUlS1M_E_NS1_11comp_targetILNS1_3genE5ELNS1_11target_archE942ELNS1_3gpuE9ELNS1_3repE0EEENS1_30default_config_static_selectorELNS0_4arch9wavefront6targetE0EEEvSZ_: ; @_ZN7rocprim17ROCPRIM_400000_NS6detail17trampoline_kernelINS0_13select_configILj256ELj13ELNS0_17block_load_methodE3ELS4_3ELS4_3ELNS0_20block_scan_algorithmE0ELj4294967295EEENS1_25partition_config_selectorILNS1_17partition_subalgoE4EjNS0_10empty_typeEbEEZZNS1_14partition_implILS8_4ELb0ES6_15HIP_vector_typeIjLj2EENS0_17counting_iteratorIjlEEPS9_SG_NS0_5tupleIJPjSI_NS0_16reverse_iteratorISI_EEEEENSH_IJSG_SG_SG_EEES9_SI_JZNS1_25segmented_radix_sort_implINS0_14default_configELb1EPKlPlSQ_SR_N2at6native12_GLOBAL__N_18offset_tEEE10hipError_tPvRmT1_PNSt15iterator_traitsISZ_E10value_typeET2_T3_PNS10_IS15_E10value_typeET4_jRbjT5_S1B_jjP12ihipStream_tbEUljE_ZNSN_ISO_Lb1ESQ_SR_SQ_SR_SV_EESW_SX_SY_SZ_S13_S14_S15_S18_S19_jS1A_jS1B_S1B_jjS1D_bEUljE0_EEESW_SX_SY_S15_S19_S1B_T6_T7_T9_mT8_S1D_bDpT10_ENKUlT_T0_E_clISt17integral_constantIbLb0EES1Q_IbLb1EEEEDaS1M_S1N_EUlS1M_E_NS1_11comp_targetILNS1_3genE5ELNS1_11target_archE942ELNS1_3gpuE9ELNS1_3repE0EEENS1_30default_config_static_selectorELNS0_4arch9wavefront6targetE0EEEvSZ_
; %bb.0:
	.section	.rodata,"a",@progbits
	.p2align	6, 0x0
	.amdhsa_kernel _ZN7rocprim17ROCPRIM_400000_NS6detail17trampoline_kernelINS0_13select_configILj256ELj13ELNS0_17block_load_methodE3ELS4_3ELS4_3ELNS0_20block_scan_algorithmE0ELj4294967295EEENS1_25partition_config_selectorILNS1_17partition_subalgoE4EjNS0_10empty_typeEbEEZZNS1_14partition_implILS8_4ELb0ES6_15HIP_vector_typeIjLj2EENS0_17counting_iteratorIjlEEPS9_SG_NS0_5tupleIJPjSI_NS0_16reverse_iteratorISI_EEEEENSH_IJSG_SG_SG_EEES9_SI_JZNS1_25segmented_radix_sort_implINS0_14default_configELb1EPKlPlSQ_SR_N2at6native12_GLOBAL__N_18offset_tEEE10hipError_tPvRmT1_PNSt15iterator_traitsISZ_E10value_typeET2_T3_PNS10_IS15_E10value_typeET4_jRbjT5_S1B_jjP12ihipStream_tbEUljE_ZNSN_ISO_Lb1ESQ_SR_SQ_SR_SV_EESW_SX_SY_SZ_S13_S14_S15_S18_S19_jS1A_jS1B_S1B_jjS1D_bEUljE0_EEESW_SX_SY_S15_S19_S1B_T6_T7_T9_mT8_S1D_bDpT10_ENKUlT_T0_E_clISt17integral_constantIbLb0EES1Q_IbLb1EEEEDaS1M_S1N_EUlS1M_E_NS1_11comp_targetILNS1_3genE5ELNS1_11target_archE942ELNS1_3gpuE9ELNS1_3repE0EEENS1_30default_config_static_selectorELNS0_4arch9wavefront6targetE0EEEvSZ_
		.amdhsa_group_segment_fixed_size 0
		.amdhsa_private_segment_fixed_size 0
		.amdhsa_kernarg_size 184
		.amdhsa_user_sgpr_count 15
		.amdhsa_user_sgpr_dispatch_ptr 0
		.amdhsa_user_sgpr_queue_ptr 0
		.amdhsa_user_sgpr_kernarg_segment_ptr 1
		.amdhsa_user_sgpr_dispatch_id 0
		.amdhsa_user_sgpr_private_segment_size 0
		.amdhsa_wavefront_size32 1
		.amdhsa_uses_dynamic_stack 0
		.amdhsa_enable_private_segment 0
		.amdhsa_system_sgpr_workgroup_id_x 1
		.amdhsa_system_sgpr_workgroup_id_y 0
		.amdhsa_system_sgpr_workgroup_id_z 0
		.amdhsa_system_sgpr_workgroup_info 0
		.amdhsa_system_vgpr_workitem_id 0
		.amdhsa_next_free_vgpr 1
		.amdhsa_next_free_sgpr 1
		.amdhsa_reserve_vcc 0
		.amdhsa_float_round_mode_32 0
		.amdhsa_float_round_mode_16_64 0
		.amdhsa_float_denorm_mode_32 3
		.amdhsa_float_denorm_mode_16_64 3
		.amdhsa_dx10_clamp 1
		.amdhsa_ieee_mode 1
		.amdhsa_fp16_overflow 0
		.amdhsa_workgroup_processor_mode 1
		.amdhsa_memory_ordered 1
		.amdhsa_forward_progress 0
		.amdhsa_shared_vgpr_count 0
		.amdhsa_exception_fp_ieee_invalid_op 0
		.amdhsa_exception_fp_denorm_src 0
		.amdhsa_exception_fp_ieee_div_zero 0
		.amdhsa_exception_fp_ieee_overflow 0
		.amdhsa_exception_fp_ieee_underflow 0
		.amdhsa_exception_fp_ieee_inexact 0
		.amdhsa_exception_int_div_zero 0
	.end_amdhsa_kernel
	.section	.text._ZN7rocprim17ROCPRIM_400000_NS6detail17trampoline_kernelINS0_13select_configILj256ELj13ELNS0_17block_load_methodE3ELS4_3ELS4_3ELNS0_20block_scan_algorithmE0ELj4294967295EEENS1_25partition_config_selectorILNS1_17partition_subalgoE4EjNS0_10empty_typeEbEEZZNS1_14partition_implILS8_4ELb0ES6_15HIP_vector_typeIjLj2EENS0_17counting_iteratorIjlEEPS9_SG_NS0_5tupleIJPjSI_NS0_16reverse_iteratorISI_EEEEENSH_IJSG_SG_SG_EEES9_SI_JZNS1_25segmented_radix_sort_implINS0_14default_configELb1EPKlPlSQ_SR_N2at6native12_GLOBAL__N_18offset_tEEE10hipError_tPvRmT1_PNSt15iterator_traitsISZ_E10value_typeET2_T3_PNS10_IS15_E10value_typeET4_jRbjT5_S1B_jjP12ihipStream_tbEUljE_ZNSN_ISO_Lb1ESQ_SR_SQ_SR_SV_EESW_SX_SY_SZ_S13_S14_S15_S18_S19_jS1A_jS1B_S1B_jjS1D_bEUljE0_EEESW_SX_SY_S15_S19_S1B_T6_T7_T9_mT8_S1D_bDpT10_ENKUlT_T0_E_clISt17integral_constantIbLb0EES1Q_IbLb1EEEEDaS1M_S1N_EUlS1M_E_NS1_11comp_targetILNS1_3genE5ELNS1_11target_archE942ELNS1_3gpuE9ELNS1_3repE0EEENS1_30default_config_static_selectorELNS0_4arch9wavefront6targetE0EEEvSZ_,"axG",@progbits,_ZN7rocprim17ROCPRIM_400000_NS6detail17trampoline_kernelINS0_13select_configILj256ELj13ELNS0_17block_load_methodE3ELS4_3ELS4_3ELNS0_20block_scan_algorithmE0ELj4294967295EEENS1_25partition_config_selectorILNS1_17partition_subalgoE4EjNS0_10empty_typeEbEEZZNS1_14partition_implILS8_4ELb0ES6_15HIP_vector_typeIjLj2EENS0_17counting_iteratorIjlEEPS9_SG_NS0_5tupleIJPjSI_NS0_16reverse_iteratorISI_EEEEENSH_IJSG_SG_SG_EEES9_SI_JZNS1_25segmented_radix_sort_implINS0_14default_configELb1EPKlPlSQ_SR_N2at6native12_GLOBAL__N_18offset_tEEE10hipError_tPvRmT1_PNSt15iterator_traitsISZ_E10value_typeET2_T3_PNS10_IS15_E10value_typeET4_jRbjT5_S1B_jjP12ihipStream_tbEUljE_ZNSN_ISO_Lb1ESQ_SR_SQ_SR_SV_EESW_SX_SY_SZ_S13_S14_S15_S18_S19_jS1A_jS1B_S1B_jjS1D_bEUljE0_EEESW_SX_SY_S15_S19_S1B_T6_T7_T9_mT8_S1D_bDpT10_ENKUlT_T0_E_clISt17integral_constantIbLb0EES1Q_IbLb1EEEEDaS1M_S1N_EUlS1M_E_NS1_11comp_targetILNS1_3genE5ELNS1_11target_archE942ELNS1_3gpuE9ELNS1_3repE0EEENS1_30default_config_static_selectorELNS0_4arch9wavefront6targetE0EEEvSZ_,comdat
.Lfunc_end665:
	.size	_ZN7rocprim17ROCPRIM_400000_NS6detail17trampoline_kernelINS0_13select_configILj256ELj13ELNS0_17block_load_methodE3ELS4_3ELS4_3ELNS0_20block_scan_algorithmE0ELj4294967295EEENS1_25partition_config_selectorILNS1_17partition_subalgoE4EjNS0_10empty_typeEbEEZZNS1_14partition_implILS8_4ELb0ES6_15HIP_vector_typeIjLj2EENS0_17counting_iteratorIjlEEPS9_SG_NS0_5tupleIJPjSI_NS0_16reverse_iteratorISI_EEEEENSH_IJSG_SG_SG_EEES9_SI_JZNS1_25segmented_radix_sort_implINS0_14default_configELb1EPKlPlSQ_SR_N2at6native12_GLOBAL__N_18offset_tEEE10hipError_tPvRmT1_PNSt15iterator_traitsISZ_E10value_typeET2_T3_PNS10_IS15_E10value_typeET4_jRbjT5_S1B_jjP12ihipStream_tbEUljE_ZNSN_ISO_Lb1ESQ_SR_SQ_SR_SV_EESW_SX_SY_SZ_S13_S14_S15_S18_S19_jS1A_jS1B_S1B_jjS1D_bEUljE0_EEESW_SX_SY_S15_S19_S1B_T6_T7_T9_mT8_S1D_bDpT10_ENKUlT_T0_E_clISt17integral_constantIbLb0EES1Q_IbLb1EEEEDaS1M_S1N_EUlS1M_E_NS1_11comp_targetILNS1_3genE5ELNS1_11target_archE942ELNS1_3gpuE9ELNS1_3repE0EEENS1_30default_config_static_selectorELNS0_4arch9wavefront6targetE0EEEvSZ_, .Lfunc_end665-_ZN7rocprim17ROCPRIM_400000_NS6detail17trampoline_kernelINS0_13select_configILj256ELj13ELNS0_17block_load_methodE3ELS4_3ELS4_3ELNS0_20block_scan_algorithmE0ELj4294967295EEENS1_25partition_config_selectorILNS1_17partition_subalgoE4EjNS0_10empty_typeEbEEZZNS1_14partition_implILS8_4ELb0ES6_15HIP_vector_typeIjLj2EENS0_17counting_iteratorIjlEEPS9_SG_NS0_5tupleIJPjSI_NS0_16reverse_iteratorISI_EEEEENSH_IJSG_SG_SG_EEES9_SI_JZNS1_25segmented_radix_sort_implINS0_14default_configELb1EPKlPlSQ_SR_N2at6native12_GLOBAL__N_18offset_tEEE10hipError_tPvRmT1_PNSt15iterator_traitsISZ_E10value_typeET2_T3_PNS10_IS15_E10value_typeET4_jRbjT5_S1B_jjP12ihipStream_tbEUljE_ZNSN_ISO_Lb1ESQ_SR_SQ_SR_SV_EESW_SX_SY_SZ_S13_S14_S15_S18_S19_jS1A_jS1B_S1B_jjS1D_bEUljE0_EEESW_SX_SY_S15_S19_S1B_T6_T7_T9_mT8_S1D_bDpT10_ENKUlT_T0_E_clISt17integral_constantIbLb0EES1Q_IbLb1EEEEDaS1M_S1N_EUlS1M_E_NS1_11comp_targetILNS1_3genE5ELNS1_11target_archE942ELNS1_3gpuE9ELNS1_3repE0EEENS1_30default_config_static_selectorELNS0_4arch9wavefront6targetE0EEEvSZ_
                                        ; -- End function
	.section	.AMDGPU.csdata,"",@progbits
; Kernel info:
; codeLenInByte = 0
; NumSgprs: 0
; NumVgprs: 0
; ScratchSize: 0
; MemoryBound: 0
; FloatMode: 240
; IeeeMode: 1
; LDSByteSize: 0 bytes/workgroup (compile time only)
; SGPRBlocks: 0
; VGPRBlocks: 0
; NumSGPRsForWavesPerEU: 1
; NumVGPRsForWavesPerEU: 1
; Occupancy: 16
; WaveLimiterHint : 0
; COMPUTE_PGM_RSRC2:SCRATCH_EN: 0
; COMPUTE_PGM_RSRC2:USER_SGPR: 15
; COMPUTE_PGM_RSRC2:TRAP_HANDLER: 0
; COMPUTE_PGM_RSRC2:TGID_X_EN: 1
; COMPUTE_PGM_RSRC2:TGID_Y_EN: 0
; COMPUTE_PGM_RSRC2:TGID_Z_EN: 0
; COMPUTE_PGM_RSRC2:TIDIG_COMP_CNT: 0
	.section	.text._ZN7rocprim17ROCPRIM_400000_NS6detail17trampoline_kernelINS0_13select_configILj256ELj13ELNS0_17block_load_methodE3ELS4_3ELS4_3ELNS0_20block_scan_algorithmE0ELj4294967295EEENS1_25partition_config_selectorILNS1_17partition_subalgoE4EjNS0_10empty_typeEbEEZZNS1_14partition_implILS8_4ELb0ES6_15HIP_vector_typeIjLj2EENS0_17counting_iteratorIjlEEPS9_SG_NS0_5tupleIJPjSI_NS0_16reverse_iteratorISI_EEEEENSH_IJSG_SG_SG_EEES9_SI_JZNS1_25segmented_radix_sort_implINS0_14default_configELb1EPKlPlSQ_SR_N2at6native12_GLOBAL__N_18offset_tEEE10hipError_tPvRmT1_PNSt15iterator_traitsISZ_E10value_typeET2_T3_PNS10_IS15_E10value_typeET4_jRbjT5_S1B_jjP12ihipStream_tbEUljE_ZNSN_ISO_Lb1ESQ_SR_SQ_SR_SV_EESW_SX_SY_SZ_S13_S14_S15_S18_S19_jS1A_jS1B_S1B_jjS1D_bEUljE0_EEESW_SX_SY_S15_S19_S1B_T6_T7_T9_mT8_S1D_bDpT10_ENKUlT_T0_E_clISt17integral_constantIbLb0EES1Q_IbLb1EEEEDaS1M_S1N_EUlS1M_E_NS1_11comp_targetILNS1_3genE4ELNS1_11target_archE910ELNS1_3gpuE8ELNS1_3repE0EEENS1_30default_config_static_selectorELNS0_4arch9wavefront6targetE0EEEvSZ_,"axG",@progbits,_ZN7rocprim17ROCPRIM_400000_NS6detail17trampoline_kernelINS0_13select_configILj256ELj13ELNS0_17block_load_methodE3ELS4_3ELS4_3ELNS0_20block_scan_algorithmE0ELj4294967295EEENS1_25partition_config_selectorILNS1_17partition_subalgoE4EjNS0_10empty_typeEbEEZZNS1_14partition_implILS8_4ELb0ES6_15HIP_vector_typeIjLj2EENS0_17counting_iteratorIjlEEPS9_SG_NS0_5tupleIJPjSI_NS0_16reverse_iteratorISI_EEEEENSH_IJSG_SG_SG_EEES9_SI_JZNS1_25segmented_radix_sort_implINS0_14default_configELb1EPKlPlSQ_SR_N2at6native12_GLOBAL__N_18offset_tEEE10hipError_tPvRmT1_PNSt15iterator_traitsISZ_E10value_typeET2_T3_PNS10_IS15_E10value_typeET4_jRbjT5_S1B_jjP12ihipStream_tbEUljE_ZNSN_ISO_Lb1ESQ_SR_SQ_SR_SV_EESW_SX_SY_SZ_S13_S14_S15_S18_S19_jS1A_jS1B_S1B_jjS1D_bEUljE0_EEESW_SX_SY_S15_S19_S1B_T6_T7_T9_mT8_S1D_bDpT10_ENKUlT_T0_E_clISt17integral_constantIbLb0EES1Q_IbLb1EEEEDaS1M_S1N_EUlS1M_E_NS1_11comp_targetILNS1_3genE4ELNS1_11target_archE910ELNS1_3gpuE8ELNS1_3repE0EEENS1_30default_config_static_selectorELNS0_4arch9wavefront6targetE0EEEvSZ_,comdat
	.globl	_ZN7rocprim17ROCPRIM_400000_NS6detail17trampoline_kernelINS0_13select_configILj256ELj13ELNS0_17block_load_methodE3ELS4_3ELS4_3ELNS0_20block_scan_algorithmE0ELj4294967295EEENS1_25partition_config_selectorILNS1_17partition_subalgoE4EjNS0_10empty_typeEbEEZZNS1_14partition_implILS8_4ELb0ES6_15HIP_vector_typeIjLj2EENS0_17counting_iteratorIjlEEPS9_SG_NS0_5tupleIJPjSI_NS0_16reverse_iteratorISI_EEEEENSH_IJSG_SG_SG_EEES9_SI_JZNS1_25segmented_radix_sort_implINS0_14default_configELb1EPKlPlSQ_SR_N2at6native12_GLOBAL__N_18offset_tEEE10hipError_tPvRmT1_PNSt15iterator_traitsISZ_E10value_typeET2_T3_PNS10_IS15_E10value_typeET4_jRbjT5_S1B_jjP12ihipStream_tbEUljE_ZNSN_ISO_Lb1ESQ_SR_SQ_SR_SV_EESW_SX_SY_SZ_S13_S14_S15_S18_S19_jS1A_jS1B_S1B_jjS1D_bEUljE0_EEESW_SX_SY_S15_S19_S1B_T6_T7_T9_mT8_S1D_bDpT10_ENKUlT_T0_E_clISt17integral_constantIbLb0EES1Q_IbLb1EEEEDaS1M_S1N_EUlS1M_E_NS1_11comp_targetILNS1_3genE4ELNS1_11target_archE910ELNS1_3gpuE8ELNS1_3repE0EEENS1_30default_config_static_selectorELNS0_4arch9wavefront6targetE0EEEvSZ_ ; -- Begin function _ZN7rocprim17ROCPRIM_400000_NS6detail17trampoline_kernelINS0_13select_configILj256ELj13ELNS0_17block_load_methodE3ELS4_3ELS4_3ELNS0_20block_scan_algorithmE0ELj4294967295EEENS1_25partition_config_selectorILNS1_17partition_subalgoE4EjNS0_10empty_typeEbEEZZNS1_14partition_implILS8_4ELb0ES6_15HIP_vector_typeIjLj2EENS0_17counting_iteratorIjlEEPS9_SG_NS0_5tupleIJPjSI_NS0_16reverse_iteratorISI_EEEEENSH_IJSG_SG_SG_EEES9_SI_JZNS1_25segmented_radix_sort_implINS0_14default_configELb1EPKlPlSQ_SR_N2at6native12_GLOBAL__N_18offset_tEEE10hipError_tPvRmT1_PNSt15iterator_traitsISZ_E10value_typeET2_T3_PNS10_IS15_E10value_typeET4_jRbjT5_S1B_jjP12ihipStream_tbEUljE_ZNSN_ISO_Lb1ESQ_SR_SQ_SR_SV_EESW_SX_SY_SZ_S13_S14_S15_S18_S19_jS1A_jS1B_S1B_jjS1D_bEUljE0_EEESW_SX_SY_S15_S19_S1B_T6_T7_T9_mT8_S1D_bDpT10_ENKUlT_T0_E_clISt17integral_constantIbLb0EES1Q_IbLb1EEEEDaS1M_S1N_EUlS1M_E_NS1_11comp_targetILNS1_3genE4ELNS1_11target_archE910ELNS1_3gpuE8ELNS1_3repE0EEENS1_30default_config_static_selectorELNS0_4arch9wavefront6targetE0EEEvSZ_
	.p2align	8
	.type	_ZN7rocprim17ROCPRIM_400000_NS6detail17trampoline_kernelINS0_13select_configILj256ELj13ELNS0_17block_load_methodE3ELS4_3ELS4_3ELNS0_20block_scan_algorithmE0ELj4294967295EEENS1_25partition_config_selectorILNS1_17partition_subalgoE4EjNS0_10empty_typeEbEEZZNS1_14partition_implILS8_4ELb0ES6_15HIP_vector_typeIjLj2EENS0_17counting_iteratorIjlEEPS9_SG_NS0_5tupleIJPjSI_NS0_16reverse_iteratorISI_EEEEENSH_IJSG_SG_SG_EEES9_SI_JZNS1_25segmented_radix_sort_implINS0_14default_configELb1EPKlPlSQ_SR_N2at6native12_GLOBAL__N_18offset_tEEE10hipError_tPvRmT1_PNSt15iterator_traitsISZ_E10value_typeET2_T3_PNS10_IS15_E10value_typeET4_jRbjT5_S1B_jjP12ihipStream_tbEUljE_ZNSN_ISO_Lb1ESQ_SR_SQ_SR_SV_EESW_SX_SY_SZ_S13_S14_S15_S18_S19_jS1A_jS1B_S1B_jjS1D_bEUljE0_EEESW_SX_SY_S15_S19_S1B_T6_T7_T9_mT8_S1D_bDpT10_ENKUlT_T0_E_clISt17integral_constantIbLb0EES1Q_IbLb1EEEEDaS1M_S1N_EUlS1M_E_NS1_11comp_targetILNS1_3genE4ELNS1_11target_archE910ELNS1_3gpuE8ELNS1_3repE0EEENS1_30default_config_static_selectorELNS0_4arch9wavefront6targetE0EEEvSZ_,@function
_ZN7rocprim17ROCPRIM_400000_NS6detail17trampoline_kernelINS0_13select_configILj256ELj13ELNS0_17block_load_methodE3ELS4_3ELS4_3ELNS0_20block_scan_algorithmE0ELj4294967295EEENS1_25partition_config_selectorILNS1_17partition_subalgoE4EjNS0_10empty_typeEbEEZZNS1_14partition_implILS8_4ELb0ES6_15HIP_vector_typeIjLj2EENS0_17counting_iteratorIjlEEPS9_SG_NS0_5tupleIJPjSI_NS0_16reverse_iteratorISI_EEEEENSH_IJSG_SG_SG_EEES9_SI_JZNS1_25segmented_radix_sort_implINS0_14default_configELb1EPKlPlSQ_SR_N2at6native12_GLOBAL__N_18offset_tEEE10hipError_tPvRmT1_PNSt15iterator_traitsISZ_E10value_typeET2_T3_PNS10_IS15_E10value_typeET4_jRbjT5_S1B_jjP12ihipStream_tbEUljE_ZNSN_ISO_Lb1ESQ_SR_SQ_SR_SV_EESW_SX_SY_SZ_S13_S14_S15_S18_S19_jS1A_jS1B_S1B_jjS1D_bEUljE0_EEESW_SX_SY_S15_S19_S1B_T6_T7_T9_mT8_S1D_bDpT10_ENKUlT_T0_E_clISt17integral_constantIbLb0EES1Q_IbLb1EEEEDaS1M_S1N_EUlS1M_E_NS1_11comp_targetILNS1_3genE4ELNS1_11target_archE910ELNS1_3gpuE8ELNS1_3repE0EEENS1_30default_config_static_selectorELNS0_4arch9wavefront6targetE0EEEvSZ_: ; @_ZN7rocprim17ROCPRIM_400000_NS6detail17trampoline_kernelINS0_13select_configILj256ELj13ELNS0_17block_load_methodE3ELS4_3ELS4_3ELNS0_20block_scan_algorithmE0ELj4294967295EEENS1_25partition_config_selectorILNS1_17partition_subalgoE4EjNS0_10empty_typeEbEEZZNS1_14partition_implILS8_4ELb0ES6_15HIP_vector_typeIjLj2EENS0_17counting_iteratorIjlEEPS9_SG_NS0_5tupleIJPjSI_NS0_16reverse_iteratorISI_EEEEENSH_IJSG_SG_SG_EEES9_SI_JZNS1_25segmented_radix_sort_implINS0_14default_configELb1EPKlPlSQ_SR_N2at6native12_GLOBAL__N_18offset_tEEE10hipError_tPvRmT1_PNSt15iterator_traitsISZ_E10value_typeET2_T3_PNS10_IS15_E10value_typeET4_jRbjT5_S1B_jjP12ihipStream_tbEUljE_ZNSN_ISO_Lb1ESQ_SR_SQ_SR_SV_EESW_SX_SY_SZ_S13_S14_S15_S18_S19_jS1A_jS1B_S1B_jjS1D_bEUljE0_EEESW_SX_SY_S15_S19_S1B_T6_T7_T9_mT8_S1D_bDpT10_ENKUlT_T0_E_clISt17integral_constantIbLb0EES1Q_IbLb1EEEEDaS1M_S1N_EUlS1M_E_NS1_11comp_targetILNS1_3genE4ELNS1_11target_archE910ELNS1_3gpuE8ELNS1_3repE0EEENS1_30default_config_static_selectorELNS0_4arch9wavefront6targetE0EEEvSZ_
; %bb.0:
	.section	.rodata,"a",@progbits
	.p2align	6, 0x0
	.amdhsa_kernel _ZN7rocprim17ROCPRIM_400000_NS6detail17trampoline_kernelINS0_13select_configILj256ELj13ELNS0_17block_load_methodE3ELS4_3ELS4_3ELNS0_20block_scan_algorithmE0ELj4294967295EEENS1_25partition_config_selectorILNS1_17partition_subalgoE4EjNS0_10empty_typeEbEEZZNS1_14partition_implILS8_4ELb0ES6_15HIP_vector_typeIjLj2EENS0_17counting_iteratorIjlEEPS9_SG_NS0_5tupleIJPjSI_NS0_16reverse_iteratorISI_EEEEENSH_IJSG_SG_SG_EEES9_SI_JZNS1_25segmented_radix_sort_implINS0_14default_configELb1EPKlPlSQ_SR_N2at6native12_GLOBAL__N_18offset_tEEE10hipError_tPvRmT1_PNSt15iterator_traitsISZ_E10value_typeET2_T3_PNS10_IS15_E10value_typeET4_jRbjT5_S1B_jjP12ihipStream_tbEUljE_ZNSN_ISO_Lb1ESQ_SR_SQ_SR_SV_EESW_SX_SY_SZ_S13_S14_S15_S18_S19_jS1A_jS1B_S1B_jjS1D_bEUljE0_EEESW_SX_SY_S15_S19_S1B_T6_T7_T9_mT8_S1D_bDpT10_ENKUlT_T0_E_clISt17integral_constantIbLb0EES1Q_IbLb1EEEEDaS1M_S1N_EUlS1M_E_NS1_11comp_targetILNS1_3genE4ELNS1_11target_archE910ELNS1_3gpuE8ELNS1_3repE0EEENS1_30default_config_static_selectorELNS0_4arch9wavefront6targetE0EEEvSZ_
		.amdhsa_group_segment_fixed_size 0
		.amdhsa_private_segment_fixed_size 0
		.amdhsa_kernarg_size 184
		.amdhsa_user_sgpr_count 15
		.amdhsa_user_sgpr_dispatch_ptr 0
		.amdhsa_user_sgpr_queue_ptr 0
		.amdhsa_user_sgpr_kernarg_segment_ptr 1
		.amdhsa_user_sgpr_dispatch_id 0
		.amdhsa_user_sgpr_private_segment_size 0
		.amdhsa_wavefront_size32 1
		.amdhsa_uses_dynamic_stack 0
		.amdhsa_enable_private_segment 0
		.amdhsa_system_sgpr_workgroup_id_x 1
		.amdhsa_system_sgpr_workgroup_id_y 0
		.amdhsa_system_sgpr_workgroup_id_z 0
		.amdhsa_system_sgpr_workgroup_info 0
		.amdhsa_system_vgpr_workitem_id 0
		.amdhsa_next_free_vgpr 1
		.amdhsa_next_free_sgpr 1
		.amdhsa_reserve_vcc 0
		.amdhsa_float_round_mode_32 0
		.amdhsa_float_round_mode_16_64 0
		.amdhsa_float_denorm_mode_32 3
		.amdhsa_float_denorm_mode_16_64 3
		.amdhsa_dx10_clamp 1
		.amdhsa_ieee_mode 1
		.amdhsa_fp16_overflow 0
		.amdhsa_workgroup_processor_mode 1
		.amdhsa_memory_ordered 1
		.amdhsa_forward_progress 0
		.amdhsa_shared_vgpr_count 0
		.amdhsa_exception_fp_ieee_invalid_op 0
		.amdhsa_exception_fp_denorm_src 0
		.amdhsa_exception_fp_ieee_div_zero 0
		.amdhsa_exception_fp_ieee_overflow 0
		.amdhsa_exception_fp_ieee_underflow 0
		.amdhsa_exception_fp_ieee_inexact 0
		.amdhsa_exception_int_div_zero 0
	.end_amdhsa_kernel
	.section	.text._ZN7rocprim17ROCPRIM_400000_NS6detail17trampoline_kernelINS0_13select_configILj256ELj13ELNS0_17block_load_methodE3ELS4_3ELS4_3ELNS0_20block_scan_algorithmE0ELj4294967295EEENS1_25partition_config_selectorILNS1_17partition_subalgoE4EjNS0_10empty_typeEbEEZZNS1_14partition_implILS8_4ELb0ES6_15HIP_vector_typeIjLj2EENS0_17counting_iteratorIjlEEPS9_SG_NS0_5tupleIJPjSI_NS0_16reverse_iteratorISI_EEEEENSH_IJSG_SG_SG_EEES9_SI_JZNS1_25segmented_radix_sort_implINS0_14default_configELb1EPKlPlSQ_SR_N2at6native12_GLOBAL__N_18offset_tEEE10hipError_tPvRmT1_PNSt15iterator_traitsISZ_E10value_typeET2_T3_PNS10_IS15_E10value_typeET4_jRbjT5_S1B_jjP12ihipStream_tbEUljE_ZNSN_ISO_Lb1ESQ_SR_SQ_SR_SV_EESW_SX_SY_SZ_S13_S14_S15_S18_S19_jS1A_jS1B_S1B_jjS1D_bEUljE0_EEESW_SX_SY_S15_S19_S1B_T6_T7_T9_mT8_S1D_bDpT10_ENKUlT_T0_E_clISt17integral_constantIbLb0EES1Q_IbLb1EEEEDaS1M_S1N_EUlS1M_E_NS1_11comp_targetILNS1_3genE4ELNS1_11target_archE910ELNS1_3gpuE8ELNS1_3repE0EEENS1_30default_config_static_selectorELNS0_4arch9wavefront6targetE0EEEvSZ_,"axG",@progbits,_ZN7rocprim17ROCPRIM_400000_NS6detail17trampoline_kernelINS0_13select_configILj256ELj13ELNS0_17block_load_methodE3ELS4_3ELS4_3ELNS0_20block_scan_algorithmE0ELj4294967295EEENS1_25partition_config_selectorILNS1_17partition_subalgoE4EjNS0_10empty_typeEbEEZZNS1_14partition_implILS8_4ELb0ES6_15HIP_vector_typeIjLj2EENS0_17counting_iteratorIjlEEPS9_SG_NS0_5tupleIJPjSI_NS0_16reverse_iteratorISI_EEEEENSH_IJSG_SG_SG_EEES9_SI_JZNS1_25segmented_radix_sort_implINS0_14default_configELb1EPKlPlSQ_SR_N2at6native12_GLOBAL__N_18offset_tEEE10hipError_tPvRmT1_PNSt15iterator_traitsISZ_E10value_typeET2_T3_PNS10_IS15_E10value_typeET4_jRbjT5_S1B_jjP12ihipStream_tbEUljE_ZNSN_ISO_Lb1ESQ_SR_SQ_SR_SV_EESW_SX_SY_SZ_S13_S14_S15_S18_S19_jS1A_jS1B_S1B_jjS1D_bEUljE0_EEESW_SX_SY_S15_S19_S1B_T6_T7_T9_mT8_S1D_bDpT10_ENKUlT_T0_E_clISt17integral_constantIbLb0EES1Q_IbLb1EEEEDaS1M_S1N_EUlS1M_E_NS1_11comp_targetILNS1_3genE4ELNS1_11target_archE910ELNS1_3gpuE8ELNS1_3repE0EEENS1_30default_config_static_selectorELNS0_4arch9wavefront6targetE0EEEvSZ_,comdat
.Lfunc_end666:
	.size	_ZN7rocprim17ROCPRIM_400000_NS6detail17trampoline_kernelINS0_13select_configILj256ELj13ELNS0_17block_load_methodE3ELS4_3ELS4_3ELNS0_20block_scan_algorithmE0ELj4294967295EEENS1_25partition_config_selectorILNS1_17partition_subalgoE4EjNS0_10empty_typeEbEEZZNS1_14partition_implILS8_4ELb0ES6_15HIP_vector_typeIjLj2EENS0_17counting_iteratorIjlEEPS9_SG_NS0_5tupleIJPjSI_NS0_16reverse_iteratorISI_EEEEENSH_IJSG_SG_SG_EEES9_SI_JZNS1_25segmented_radix_sort_implINS0_14default_configELb1EPKlPlSQ_SR_N2at6native12_GLOBAL__N_18offset_tEEE10hipError_tPvRmT1_PNSt15iterator_traitsISZ_E10value_typeET2_T3_PNS10_IS15_E10value_typeET4_jRbjT5_S1B_jjP12ihipStream_tbEUljE_ZNSN_ISO_Lb1ESQ_SR_SQ_SR_SV_EESW_SX_SY_SZ_S13_S14_S15_S18_S19_jS1A_jS1B_S1B_jjS1D_bEUljE0_EEESW_SX_SY_S15_S19_S1B_T6_T7_T9_mT8_S1D_bDpT10_ENKUlT_T0_E_clISt17integral_constantIbLb0EES1Q_IbLb1EEEEDaS1M_S1N_EUlS1M_E_NS1_11comp_targetILNS1_3genE4ELNS1_11target_archE910ELNS1_3gpuE8ELNS1_3repE0EEENS1_30default_config_static_selectorELNS0_4arch9wavefront6targetE0EEEvSZ_, .Lfunc_end666-_ZN7rocprim17ROCPRIM_400000_NS6detail17trampoline_kernelINS0_13select_configILj256ELj13ELNS0_17block_load_methodE3ELS4_3ELS4_3ELNS0_20block_scan_algorithmE0ELj4294967295EEENS1_25partition_config_selectorILNS1_17partition_subalgoE4EjNS0_10empty_typeEbEEZZNS1_14partition_implILS8_4ELb0ES6_15HIP_vector_typeIjLj2EENS0_17counting_iteratorIjlEEPS9_SG_NS0_5tupleIJPjSI_NS0_16reverse_iteratorISI_EEEEENSH_IJSG_SG_SG_EEES9_SI_JZNS1_25segmented_radix_sort_implINS0_14default_configELb1EPKlPlSQ_SR_N2at6native12_GLOBAL__N_18offset_tEEE10hipError_tPvRmT1_PNSt15iterator_traitsISZ_E10value_typeET2_T3_PNS10_IS15_E10value_typeET4_jRbjT5_S1B_jjP12ihipStream_tbEUljE_ZNSN_ISO_Lb1ESQ_SR_SQ_SR_SV_EESW_SX_SY_SZ_S13_S14_S15_S18_S19_jS1A_jS1B_S1B_jjS1D_bEUljE0_EEESW_SX_SY_S15_S19_S1B_T6_T7_T9_mT8_S1D_bDpT10_ENKUlT_T0_E_clISt17integral_constantIbLb0EES1Q_IbLb1EEEEDaS1M_S1N_EUlS1M_E_NS1_11comp_targetILNS1_3genE4ELNS1_11target_archE910ELNS1_3gpuE8ELNS1_3repE0EEENS1_30default_config_static_selectorELNS0_4arch9wavefront6targetE0EEEvSZ_
                                        ; -- End function
	.section	.AMDGPU.csdata,"",@progbits
; Kernel info:
; codeLenInByte = 0
; NumSgprs: 0
; NumVgprs: 0
; ScratchSize: 0
; MemoryBound: 0
; FloatMode: 240
; IeeeMode: 1
; LDSByteSize: 0 bytes/workgroup (compile time only)
; SGPRBlocks: 0
; VGPRBlocks: 0
; NumSGPRsForWavesPerEU: 1
; NumVGPRsForWavesPerEU: 1
; Occupancy: 16
; WaveLimiterHint : 0
; COMPUTE_PGM_RSRC2:SCRATCH_EN: 0
; COMPUTE_PGM_RSRC2:USER_SGPR: 15
; COMPUTE_PGM_RSRC2:TRAP_HANDLER: 0
; COMPUTE_PGM_RSRC2:TGID_X_EN: 1
; COMPUTE_PGM_RSRC2:TGID_Y_EN: 0
; COMPUTE_PGM_RSRC2:TGID_Z_EN: 0
; COMPUTE_PGM_RSRC2:TIDIG_COMP_CNT: 0
	.section	.text._ZN7rocprim17ROCPRIM_400000_NS6detail17trampoline_kernelINS0_13select_configILj256ELj13ELNS0_17block_load_methodE3ELS4_3ELS4_3ELNS0_20block_scan_algorithmE0ELj4294967295EEENS1_25partition_config_selectorILNS1_17partition_subalgoE4EjNS0_10empty_typeEbEEZZNS1_14partition_implILS8_4ELb0ES6_15HIP_vector_typeIjLj2EENS0_17counting_iteratorIjlEEPS9_SG_NS0_5tupleIJPjSI_NS0_16reverse_iteratorISI_EEEEENSH_IJSG_SG_SG_EEES9_SI_JZNS1_25segmented_radix_sort_implINS0_14default_configELb1EPKlPlSQ_SR_N2at6native12_GLOBAL__N_18offset_tEEE10hipError_tPvRmT1_PNSt15iterator_traitsISZ_E10value_typeET2_T3_PNS10_IS15_E10value_typeET4_jRbjT5_S1B_jjP12ihipStream_tbEUljE_ZNSN_ISO_Lb1ESQ_SR_SQ_SR_SV_EESW_SX_SY_SZ_S13_S14_S15_S18_S19_jS1A_jS1B_S1B_jjS1D_bEUljE0_EEESW_SX_SY_S15_S19_S1B_T6_T7_T9_mT8_S1D_bDpT10_ENKUlT_T0_E_clISt17integral_constantIbLb0EES1Q_IbLb1EEEEDaS1M_S1N_EUlS1M_E_NS1_11comp_targetILNS1_3genE3ELNS1_11target_archE908ELNS1_3gpuE7ELNS1_3repE0EEENS1_30default_config_static_selectorELNS0_4arch9wavefront6targetE0EEEvSZ_,"axG",@progbits,_ZN7rocprim17ROCPRIM_400000_NS6detail17trampoline_kernelINS0_13select_configILj256ELj13ELNS0_17block_load_methodE3ELS4_3ELS4_3ELNS0_20block_scan_algorithmE0ELj4294967295EEENS1_25partition_config_selectorILNS1_17partition_subalgoE4EjNS0_10empty_typeEbEEZZNS1_14partition_implILS8_4ELb0ES6_15HIP_vector_typeIjLj2EENS0_17counting_iteratorIjlEEPS9_SG_NS0_5tupleIJPjSI_NS0_16reverse_iteratorISI_EEEEENSH_IJSG_SG_SG_EEES9_SI_JZNS1_25segmented_radix_sort_implINS0_14default_configELb1EPKlPlSQ_SR_N2at6native12_GLOBAL__N_18offset_tEEE10hipError_tPvRmT1_PNSt15iterator_traitsISZ_E10value_typeET2_T3_PNS10_IS15_E10value_typeET4_jRbjT5_S1B_jjP12ihipStream_tbEUljE_ZNSN_ISO_Lb1ESQ_SR_SQ_SR_SV_EESW_SX_SY_SZ_S13_S14_S15_S18_S19_jS1A_jS1B_S1B_jjS1D_bEUljE0_EEESW_SX_SY_S15_S19_S1B_T6_T7_T9_mT8_S1D_bDpT10_ENKUlT_T0_E_clISt17integral_constantIbLb0EES1Q_IbLb1EEEEDaS1M_S1N_EUlS1M_E_NS1_11comp_targetILNS1_3genE3ELNS1_11target_archE908ELNS1_3gpuE7ELNS1_3repE0EEENS1_30default_config_static_selectorELNS0_4arch9wavefront6targetE0EEEvSZ_,comdat
	.globl	_ZN7rocprim17ROCPRIM_400000_NS6detail17trampoline_kernelINS0_13select_configILj256ELj13ELNS0_17block_load_methodE3ELS4_3ELS4_3ELNS0_20block_scan_algorithmE0ELj4294967295EEENS1_25partition_config_selectorILNS1_17partition_subalgoE4EjNS0_10empty_typeEbEEZZNS1_14partition_implILS8_4ELb0ES6_15HIP_vector_typeIjLj2EENS0_17counting_iteratorIjlEEPS9_SG_NS0_5tupleIJPjSI_NS0_16reverse_iteratorISI_EEEEENSH_IJSG_SG_SG_EEES9_SI_JZNS1_25segmented_radix_sort_implINS0_14default_configELb1EPKlPlSQ_SR_N2at6native12_GLOBAL__N_18offset_tEEE10hipError_tPvRmT1_PNSt15iterator_traitsISZ_E10value_typeET2_T3_PNS10_IS15_E10value_typeET4_jRbjT5_S1B_jjP12ihipStream_tbEUljE_ZNSN_ISO_Lb1ESQ_SR_SQ_SR_SV_EESW_SX_SY_SZ_S13_S14_S15_S18_S19_jS1A_jS1B_S1B_jjS1D_bEUljE0_EEESW_SX_SY_S15_S19_S1B_T6_T7_T9_mT8_S1D_bDpT10_ENKUlT_T0_E_clISt17integral_constantIbLb0EES1Q_IbLb1EEEEDaS1M_S1N_EUlS1M_E_NS1_11comp_targetILNS1_3genE3ELNS1_11target_archE908ELNS1_3gpuE7ELNS1_3repE0EEENS1_30default_config_static_selectorELNS0_4arch9wavefront6targetE0EEEvSZ_ ; -- Begin function _ZN7rocprim17ROCPRIM_400000_NS6detail17trampoline_kernelINS0_13select_configILj256ELj13ELNS0_17block_load_methodE3ELS4_3ELS4_3ELNS0_20block_scan_algorithmE0ELj4294967295EEENS1_25partition_config_selectorILNS1_17partition_subalgoE4EjNS0_10empty_typeEbEEZZNS1_14partition_implILS8_4ELb0ES6_15HIP_vector_typeIjLj2EENS0_17counting_iteratorIjlEEPS9_SG_NS0_5tupleIJPjSI_NS0_16reverse_iteratorISI_EEEEENSH_IJSG_SG_SG_EEES9_SI_JZNS1_25segmented_radix_sort_implINS0_14default_configELb1EPKlPlSQ_SR_N2at6native12_GLOBAL__N_18offset_tEEE10hipError_tPvRmT1_PNSt15iterator_traitsISZ_E10value_typeET2_T3_PNS10_IS15_E10value_typeET4_jRbjT5_S1B_jjP12ihipStream_tbEUljE_ZNSN_ISO_Lb1ESQ_SR_SQ_SR_SV_EESW_SX_SY_SZ_S13_S14_S15_S18_S19_jS1A_jS1B_S1B_jjS1D_bEUljE0_EEESW_SX_SY_S15_S19_S1B_T6_T7_T9_mT8_S1D_bDpT10_ENKUlT_T0_E_clISt17integral_constantIbLb0EES1Q_IbLb1EEEEDaS1M_S1N_EUlS1M_E_NS1_11comp_targetILNS1_3genE3ELNS1_11target_archE908ELNS1_3gpuE7ELNS1_3repE0EEENS1_30default_config_static_selectorELNS0_4arch9wavefront6targetE0EEEvSZ_
	.p2align	8
	.type	_ZN7rocprim17ROCPRIM_400000_NS6detail17trampoline_kernelINS0_13select_configILj256ELj13ELNS0_17block_load_methodE3ELS4_3ELS4_3ELNS0_20block_scan_algorithmE0ELj4294967295EEENS1_25partition_config_selectorILNS1_17partition_subalgoE4EjNS0_10empty_typeEbEEZZNS1_14partition_implILS8_4ELb0ES6_15HIP_vector_typeIjLj2EENS0_17counting_iteratorIjlEEPS9_SG_NS0_5tupleIJPjSI_NS0_16reverse_iteratorISI_EEEEENSH_IJSG_SG_SG_EEES9_SI_JZNS1_25segmented_radix_sort_implINS0_14default_configELb1EPKlPlSQ_SR_N2at6native12_GLOBAL__N_18offset_tEEE10hipError_tPvRmT1_PNSt15iterator_traitsISZ_E10value_typeET2_T3_PNS10_IS15_E10value_typeET4_jRbjT5_S1B_jjP12ihipStream_tbEUljE_ZNSN_ISO_Lb1ESQ_SR_SQ_SR_SV_EESW_SX_SY_SZ_S13_S14_S15_S18_S19_jS1A_jS1B_S1B_jjS1D_bEUljE0_EEESW_SX_SY_S15_S19_S1B_T6_T7_T9_mT8_S1D_bDpT10_ENKUlT_T0_E_clISt17integral_constantIbLb0EES1Q_IbLb1EEEEDaS1M_S1N_EUlS1M_E_NS1_11comp_targetILNS1_3genE3ELNS1_11target_archE908ELNS1_3gpuE7ELNS1_3repE0EEENS1_30default_config_static_selectorELNS0_4arch9wavefront6targetE0EEEvSZ_,@function
_ZN7rocprim17ROCPRIM_400000_NS6detail17trampoline_kernelINS0_13select_configILj256ELj13ELNS0_17block_load_methodE3ELS4_3ELS4_3ELNS0_20block_scan_algorithmE0ELj4294967295EEENS1_25partition_config_selectorILNS1_17partition_subalgoE4EjNS0_10empty_typeEbEEZZNS1_14partition_implILS8_4ELb0ES6_15HIP_vector_typeIjLj2EENS0_17counting_iteratorIjlEEPS9_SG_NS0_5tupleIJPjSI_NS0_16reverse_iteratorISI_EEEEENSH_IJSG_SG_SG_EEES9_SI_JZNS1_25segmented_radix_sort_implINS0_14default_configELb1EPKlPlSQ_SR_N2at6native12_GLOBAL__N_18offset_tEEE10hipError_tPvRmT1_PNSt15iterator_traitsISZ_E10value_typeET2_T3_PNS10_IS15_E10value_typeET4_jRbjT5_S1B_jjP12ihipStream_tbEUljE_ZNSN_ISO_Lb1ESQ_SR_SQ_SR_SV_EESW_SX_SY_SZ_S13_S14_S15_S18_S19_jS1A_jS1B_S1B_jjS1D_bEUljE0_EEESW_SX_SY_S15_S19_S1B_T6_T7_T9_mT8_S1D_bDpT10_ENKUlT_T0_E_clISt17integral_constantIbLb0EES1Q_IbLb1EEEEDaS1M_S1N_EUlS1M_E_NS1_11comp_targetILNS1_3genE3ELNS1_11target_archE908ELNS1_3gpuE7ELNS1_3repE0EEENS1_30default_config_static_selectorELNS0_4arch9wavefront6targetE0EEEvSZ_: ; @_ZN7rocprim17ROCPRIM_400000_NS6detail17trampoline_kernelINS0_13select_configILj256ELj13ELNS0_17block_load_methodE3ELS4_3ELS4_3ELNS0_20block_scan_algorithmE0ELj4294967295EEENS1_25partition_config_selectorILNS1_17partition_subalgoE4EjNS0_10empty_typeEbEEZZNS1_14partition_implILS8_4ELb0ES6_15HIP_vector_typeIjLj2EENS0_17counting_iteratorIjlEEPS9_SG_NS0_5tupleIJPjSI_NS0_16reverse_iteratorISI_EEEEENSH_IJSG_SG_SG_EEES9_SI_JZNS1_25segmented_radix_sort_implINS0_14default_configELb1EPKlPlSQ_SR_N2at6native12_GLOBAL__N_18offset_tEEE10hipError_tPvRmT1_PNSt15iterator_traitsISZ_E10value_typeET2_T3_PNS10_IS15_E10value_typeET4_jRbjT5_S1B_jjP12ihipStream_tbEUljE_ZNSN_ISO_Lb1ESQ_SR_SQ_SR_SV_EESW_SX_SY_SZ_S13_S14_S15_S18_S19_jS1A_jS1B_S1B_jjS1D_bEUljE0_EEESW_SX_SY_S15_S19_S1B_T6_T7_T9_mT8_S1D_bDpT10_ENKUlT_T0_E_clISt17integral_constantIbLb0EES1Q_IbLb1EEEEDaS1M_S1N_EUlS1M_E_NS1_11comp_targetILNS1_3genE3ELNS1_11target_archE908ELNS1_3gpuE7ELNS1_3repE0EEENS1_30default_config_static_selectorELNS0_4arch9wavefront6targetE0EEEvSZ_
; %bb.0:
	.section	.rodata,"a",@progbits
	.p2align	6, 0x0
	.amdhsa_kernel _ZN7rocprim17ROCPRIM_400000_NS6detail17trampoline_kernelINS0_13select_configILj256ELj13ELNS0_17block_load_methodE3ELS4_3ELS4_3ELNS0_20block_scan_algorithmE0ELj4294967295EEENS1_25partition_config_selectorILNS1_17partition_subalgoE4EjNS0_10empty_typeEbEEZZNS1_14partition_implILS8_4ELb0ES6_15HIP_vector_typeIjLj2EENS0_17counting_iteratorIjlEEPS9_SG_NS0_5tupleIJPjSI_NS0_16reverse_iteratorISI_EEEEENSH_IJSG_SG_SG_EEES9_SI_JZNS1_25segmented_radix_sort_implINS0_14default_configELb1EPKlPlSQ_SR_N2at6native12_GLOBAL__N_18offset_tEEE10hipError_tPvRmT1_PNSt15iterator_traitsISZ_E10value_typeET2_T3_PNS10_IS15_E10value_typeET4_jRbjT5_S1B_jjP12ihipStream_tbEUljE_ZNSN_ISO_Lb1ESQ_SR_SQ_SR_SV_EESW_SX_SY_SZ_S13_S14_S15_S18_S19_jS1A_jS1B_S1B_jjS1D_bEUljE0_EEESW_SX_SY_S15_S19_S1B_T6_T7_T9_mT8_S1D_bDpT10_ENKUlT_T0_E_clISt17integral_constantIbLb0EES1Q_IbLb1EEEEDaS1M_S1N_EUlS1M_E_NS1_11comp_targetILNS1_3genE3ELNS1_11target_archE908ELNS1_3gpuE7ELNS1_3repE0EEENS1_30default_config_static_selectorELNS0_4arch9wavefront6targetE0EEEvSZ_
		.amdhsa_group_segment_fixed_size 0
		.amdhsa_private_segment_fixed_size 0
		.amdhsa_kernarg_size 184
		.amdhsa_user_sgpr_count 15
		.amdhsa_user_sgpr_dispatch_ptr 0
		.amdhsa_user_sgpr_queue_ptr 0
		.amdhsa_user_sgpr_kernarg_segment_ptr 1
		.amdhsa_user_sgpr_dispatch_id 0
		.amdhsa_user_sgpr_private_segment_size 0
		.amdhsa_wavefront_size32 1
		.amdhsa_uses_dynamic_stack 0
		.amdhsa_enable_private_segment 0
		.amdhsa_system_sgpr_workgroup_id_x 1
		.amdhsa_system_sgpr_workgroup_id_y 0
		.amdhsa_system_sgpr_workgroup_id_z 0
		.amdhsa_system_sgpr_workgroup_info 0
		.amdhsa_system_vgpr_workitem_id 0
		.amdhsa_next_free_vgpr 1
		.amdhsa_next_free_sgpr 1
		.amdhsa_reserve_vcc 0
		.amdhsa_float_round_mode_32 0
		.amdhsa_float_round_mode_16_64 0
		.amdhsa_float_denorm_mode_32 3
		.amdhsa_float_denorm_mode_16_64 3
		.amdhsa_dx10_clamp 1
		.amdhsa_ieee_mode 1
		.amdhsa_fp16_overflow 0
		.amdhsa_workgroup_processor_mode 1
		.amdhsa_memory_ordered 1
		.amdhsa_forward_progress 0
		.amdhsa_shared_vgpr_count 0
		.amdhsa_exception_fp_ieee_invalid_op 0
		.amdhsa_exception_fp_denorm_src 0
		.amdhsa_exception_fp_ieee_div_zero 0
		.amdhsa_exception_fp_ieee_overflow 0
		.amdhsa_exception_fp_ieee_underflow 0
		.amdhsa_exception_fp_ieee_inexact 0
		.amdhsa_exception_int_div_zero 0
	.end_amdhsa_kernel
	.section	.text._ZN7rocprim17ROCPRIM_400000_NS6detail17trampoline_kernelINS0_13select_configILj256ELj13ELNS0_17block_load_methodE3ELS4_3ELS4_3ELNS0_20block_scan_algorithmE0ELj4294967295EEENS1_25partition_config_selectorILNS1_17partition_subalgoE4EjNS0_10empty_typeEbEEZZNS1_14partition_implILS8_4ELb0ES6_15HIP_vector_typeIjLj2EENS0_17counting_iteratorIjlEEPS9_SG_NS0_5tupleIJPjSI_NS0_16reverse_iteratorISI_EEEEENSH_IJSG_SG_SG_EEES9_SI_JZNS1_25segmented_radix_sort_implINS0_14default_configELb1EPKlPlSQ_SR_N2at6native12_GLOBAL__N_18offset_tEEE10hipError_tPvRmT1_PNSt15iterator_traitsISZ_E10value_typeET2_T3_PNS10_IS15_E10value_typeET4_jRbjT5_S1B_jjP12ihipStream_tbEUljE_ZNSN_ISO_Lb1ESQ_SR_SQ_SR_SV_EESW_SX_SY_SZ_S13_S14_S15_S18_S19_jS1A_jS1B_S1B_jjS1D_bEUljE0_EEESW_SX_SY_S15_S19_S1B_T6_T7_T9_mT8_S1D_bDpT10_ENKUlT_T0_E_clISt17integral_constantIbLb0EES1Q_IbLb1EEEEDaS1M_S1N_EUlS1M_E_NS1_11comp_targetILNS1_3genE3ELNS1_11target_archE908ELNS1_3gpuE7ELNS1_3repE0EEENS1_30default_config_static_selectorELNS0_4arch9wavefront6targetE0EEEvSZ_,"axG",@progbits,_ZN7rocprim17ROCPRIM_400000_NS6detail17trampoline_kernelINS0_13select_configILj256ELj13ELNS0_17block_load_methodE3ELS4_3ELS4_3ELNS0_20block_scan_algorithmE0ELj4294967295EEENS1_25partition_config_selectorILNS1_17partition_subalgoE4EjNS0_10empty_typeEbEEZZNS1_14partition_implILS8_4ELb0ES6_15HIP_vector_typeIjLj2EENS0_17counting_iteratorIjlEEPS9_SG_NS0_5tupleIJPjSI_NS0_16reverse_iteratorISI_EEEEENSH_IJSG_SG_SG_EEES9_SI_JZNS1_25segmented_radix_sort_implINS0_14default_configELb1EPKlPlSQ_SR_N2at6native12_GLOBAL__N_18offset_tEEE10hipError_tPvRmT1_PNSt15iterator_traitsISZ_E10value_typeET2_T3_PNS10_IS15_E10value_typeET4_jRbjT5_S1B_jjP12ihipStream_tbEUljE_ZNSN_ISO_Lb1ESQ_SR_SQ_SR_SV_EESW_SX_SY_SZ_S13_S14_S15_S18_S19_jS1A_jS1B_S1B_jjS1D_bEUljE0_EEESW_SX_SY_S15_S19_S1B_T6_T7_T9_mT8_S1D_bDpT10_ENKUlT_T0_E_clISt17integral_constantIbLb0EES1Q_IbLb1EEEEDaS1M_S1N_EUlS1M_E_NS1_11comp_targetILNS1_3genE3ELNS1_11target_archE908ELNS1_3gpuE7ELNS1_3repE0EEENS1_30default_config_static_selectorELNS0_4arch9wavefront6targetE0EEEvSZ_,comdat
.Lfunc_end667:
	.size	_ZN7rocprim17ROCPRIM_400000_NS6detail17trampoline_kernelINS0_13select_configILj256ELj13ELNS0_17block_load_methodE3ELS4_3ELS4_3ELNS0_20block_scan_algorithmE0ELj4294967295EEENS1_25partition_config_selectorILNS1_17partition_subalgoE4EjNS0_10empty_typeEbEEZZNS1_14partition_implILS8_4ELb0ES6_15HIP_vector_typeIjLj2EENS0_17counting_iteratorIjlEEPS9_SG_NS0_5tupleIJPjSI_NS0_16reverse_iteratorISI_EEEEENSH_IJSG_SG_SG_EEES9_SI_JZNS1_25segmented_radix_sort_implINS0_14default_configELb1EPKlPlSQ_SR_N2at6native12_GLOBAL__N_18offset_tEEE10hipError_tPvRmT1_PNSt15iterator_traitsISZ_E10value_typeET2_T3_PNS10_IS15_E10value_typeET4_jRbjT5_S1B_jjP12ihipStream_tbEUljE_ZNSN_ISO_Lb1ESQ_SR_SQ_SR_SV_EESW_SX_SY_SZ_S13_S14_S15_S18_S19_jS1A_jS1B_S1B_jjS1D_bEUljE0_EEESW_SX_SY_S15_S19_S1B_T6_T7_T9_mT8_S1D_bDpT10_ENKUlT_T0_E_clISt17integral_constantIbLb0EES1Q_IbLb1EEEEDaS1M_S1N_EUlS1M_E_NS1_11comp_targetILNS1_3genE3ELNS1_11target_archE908ELNS1_3gpuE7ELNS1_3repE0EEENS1_30default_config_static_selectorELNS0_4arch9wavefront6targetE0EEEvSZ_, .Lfunc_end667-_ZN7rocprim17ROCPRIM_400000_NS6detail17trampoline_kernelINS0_13select_configILj256ELj13ELNS0_17block_load_methodE3ELS4_3ELS4_3ELNS0_20block_scan_algorithmE0ELj4294967295EEENS1_25partition_config_selectorILNS1_17partition_subalgoE4EjNS0_10empty_typeEbEEZZNS1_14partition_implILS8_4ELb0ES6_15HIP_vector_typeIjLj2EENS0_17counting_iteratorIjlEEPS9_SG_NS0_5tupleIJPjSI_NS0_16reverse_iteratorISI_EEEEENSH_IJSG_SG_SG_EEES9_SI_JZNS1_25segmented_radix_sort_implINS0_14default_configELb1EPKlPlSQ_SR_N2at6native12_GLOBAL__N_18offset_tEEE10hipError_tPvRmT1_PNSt15iterator_traitsISZ_E10value_typeET2_T3_PNS10_IS15_E10value_typeET4_jRbjT5_S1B_jjP12ihipStream_tbEUljE_ZNSN_ISO_Lb1ESQ_SR_SQ_SR_SV_EESW_SX_SY_SZ_S13_S14_S15_S18_S19_jS1A_jS1B_S1B_jjS1D_bEUljE0_EEESW_SX_SY_S15_S19_S1B_T6_T7_T9_mT8_S1D_bDpT10_ENKUlT_T0_E_clISt17integral_constantIbLb0EES1Q_IbLb1EEEEDaS1M_S1N_EUlS1M_E_NS1_11comp_targetILNS1_3genE3ELNS1_11target_archE908ELNS1_3gpuE7ELNS1_3repE0EEENS1_30default_config_static_selectorELNS0_4arch9wavefront6targetE0EEEvSZ_
                                        ; -- End function
	.section	.AMDGPU.csdata,"",@progbits
; Kernel info:
; codeLenInByte = 0
; NumSgprs: 0
; NumVgprs: 0
; ScratchSize: 0
; MemoryBound: 0
; FloatMode: 240
; IeeeMode: 1
; LDSByteSize: 0 bytes/workgroup (compile time only)
; SGPRBlocks: 0
; VGPRBlocks: 0
; NumSGPRsForWavesPerEU: 1
; NumVGPRsForWavesPerEU: 1
; Occupancy: 16
; WaveLimiterHint : 0
; COMPUTE_PGM_RSRC2:SCRATCH_EN: 0
; COMPUTE_PGM_RSRC2:USER_SGPR: 15
; COMPUTE_PGM_RSRC2:TRAP_HANDLER: 0
; COMPUTE_PGM_RSRC2:TGID_X_EN: 1
; COMPUTE_PGM_RSRC2:TGID_Y_EN: 0
; COMPUTE_PGM_RSRC2:TGID_Z_EN: 0
; COMPUTE_PGM_RSRC2:TIDIG_COMP_CNT: 0
	.section	.text._ZN7rocprim17ROCPRIM_400000_NS6detail17trampoline_kernelINS0_13select_configILj256ELj13ELNS0_17block_load_methodE3ELS4_3ELS4_3ELNS0_20block_scan_algorithmE0ELj4294967295EEENS1_25partition_config_selectorILNS1_17partition_subalgoE4EjNS0_10empty_typeEbEEZZNS1_14partition_implILS8_4ELb0ES6_15HIP_vector_typeIjLj2EENS0_17counting_iteratorIjlEEPS9_SG_NS0_5tupleIJPjSI_NS0_16reverse_iteratorISI_EEEEENSH_IJSG_SG_SG_EEES9_SI_JZNS1_25segmented_radix_sort_implINS0_14default_configELb1EPKlPlSQ_SR_N2at6native12_GLOBAL__N_18offset_tEEE10hipError_tPvRmT1_PNSt15iterator_traitsISZ_E10value_typeET2_T3_PNS10_IS15_E10value_typeET4_jRbjT5_S1B_jjP12ihipStream_tbEUljE_ZNSN_ISO_Lb1ESQ_SR_SQ_SR_SV_EESW_SX_SY_SZ_S13_S14_S15_S18_S19_jS1A_jS1B_S1B_jjS1D_bEUljE0_EEESW_SX_SY_S15_S19_S1B_T6_T7_T9_mT8_S1D_bDpT10_ENKUlT_T0_E_clISt17integral_constantIbLb0EES1Q_IbLb1EEEEDaS1M_S1N_EUlS1M_E_NS1_11comp_targetILNS1_3genE2ELNS1_11target_archE906ELNS1_3gpuE6ELNS1_3repE0EEENS1_30default_config_static_selectorELNS0_4arch9wavefront6targetE0EEEvSZ_,"axG",@progbits,_ZN7rocprim17ROCPRIM_400000_NS6detail17trampoline_kernelINS0_13select_configILj256ELj13ELNS0_17block_load_methodE3ELS4_3ELS4_3ELNS0_20block_scan_algorithmE0ELj4294967295EEENS1_25partition_config_selectorILNS1_17partition_subalgoE4EjNS0_10empty_typeEbEEZZNS1_14partition_implILS8_4ELb0ES6_15HIP_vector_typeIjLj2EENS0_17counting_iteratorIjlEEPS9_SG_NS0_5tupleIJPjSI_NS0_16reverse_iteratorISI_EEEEENSH_IJSG_SG_SG_EEES9_SI_JZNS1_25segmented_radix_sort_implINS0_14default_configELb1EPKlPlSQ_SR_N2at6native12_GLOBAL__N_18offset_tEEE10hipError_tPvRmT1_PNSt15iterator_traitsISZ_E10value_typeET2_T3_PNS10_IS15_E10value_typeET4_jRbjT5_S1B_jjP12ihipStream_tbEUljE_ZNSN_ISO_Lb1ESQ_SR_SQ_SR_SV_EESW_SX_SY_SZ_S13_S14_S15_S18_S19_jS1A_jS1B_S1B_jjS1D_bEUljE0_EEESW_SX_SY_S15_S19_S1B_T6_T7_T9_mT8_S1D_bDpT10_ENKUlT_T0_E_clISt17integral_constantIbLb0EES1Q_IbLb1EEEEDaS1M_S1N_EUlS1M_E_NS1_11comp_targetILNS1_3genE2ELNS1_11target_archE906ELNS1_3gpuE6ELNS1_3repE0EEENS1_30default_config_static_selectorELNS0_4arch9wavefront6targetE0EEEvSZ_,comdat
	.globl	_ZN7rocprim17ROCPRIM_400000_NS6detail17trampoline_kernelINS0_13select_configILj256ELj13ELNS0_17block_load_methodE3ELS4_3ELS4_3ELNS0_20block_scan_algorithmE0ELj4294967295EEENS1_25partition_config_selectorILNS1_17partition_subalgoE4EjNS0_10empty_typeEbEEZZNS1_14partition_implILS8_4ELb0ES6_15HIP_vector_typeIjLj2EENS0_17counting_iteratorIjlEEPS9_SG_NS0_5tupleIJPjSI_NS0_16reverse_iteratorISI_EEEEENSH_IJSG_SG_SG_EEES9_SI_JZNS1_25segmented_radix_sort_implINS0_14default_configELb1EPKlPlSQ_SR_N2at6native12_GLOBAL__N_18offset_tEEE10hipError_tPvRmT1_PNSt15iterator_traitsISZ_E10value_typeET2_T3_PNS10_IS15_E10value_typeET4_jRbjT5_S1B_jjP12ihipStream_tbEUljE_ZNSN_ISO_Lb1ESQ_SR_SQ_SR_SV_EESW_SX_SY_SZ_S13_S14_S15_S18_S19_jS1A_jS1B_S1B_jjS1D_bEUljE0_EEESW_SX_SY_S15_S19_S1B_T6_T7_T9_mT8_S1D_bDpT10_ENKUlT_T0_E_clISt17integral_constantIbLb0EES1Q_IbLb1EEEEDaS1M_S1N_EUlS1M_E_NS1_11comp_targetILNS1_3genE2ELNS1_11target_archE906ELNS1_3gpuE6ELNS1_3repE0EEENS1_30default_config_static_selectorELNS0_4arch9wavefront6targetE0EEEvSZ_ ; -- Begin function _ZN7rocprim17ROCPRIM_400000_NS6detail17trampoline_kernelINS0_13select_configILj256ELj13ELNS0_17block_load_methodE3ELS4_3ELS4_3ELNS0_20block_scan_algorithmE0ELj4294967295EEENS1_25partition_config_selectorILNS1_17partition_subalgoE4EjNS0_10empty_typeEbEEZZNS1_14partition_implILS8_4ELb0ES6_15HIP_vector_typeIjLj2EENS0_17counting_iteratorIjlEEPS9_SG_NS0_5tupleIJPjSI_NS0_16reverse_iteratorISI_EEEEENSH_IJSG_SG_SG_EEES9_SI_JZNS1_25segmented_radix_sort_implINS0_14default_configELb1EPKlPlSQ_SR_N2at6native12_GLOBAL__N_18offset_tEEE10hipError_tPvRmT1_PNSt15iterator_traitsISZ_E10value_typeET2_T3_PNS10_IS15_E10value_typeET4_jRbjT5_S1B_jjP12ihipStream_tbEUljE_ZNSN_ISO_Lb1ESQ_SR_SQ_SR_SV_EESW_SX_SY_SZ_S13_S14_S15_S18_S19_jS1A_jS1B_S1B_jjS1D_bEUljE0_EEESW_SX_SY_S15_S19_S1B_T6_T7_T9_mT8_S1D_bDpT10_ENKUlT_T0_E_clISt17integral_constantIbLb0EES1Q_IbLb1EEEEDaS1M_S1N_EUlS1M_E_NS1_11comp_targetILNS1_3genE2ELNS1_11target_archE906ELNS1_3gpuE6ELNS1_3repE0EEENS1_30default_config_static_selectorELNS0_4arch9wavefront6targetE0EEEvSZ_
	.p2align	8
	.type	_ZN7rocprim17ROCPRIM_400000_NS6detail17trampoline_kernelINS0_13select_configILj256ELj13ELNS0_17block_load_methodE3ELS4_3ELS4_3ELNS0_20block_scan_algorithmE0ELj4294967295EEENS1_25partition_config_selectorILNS1_17partition_subalgoE4EjNS0_10empty_typeEbEEZZNS1_14partition_implILS8_4ELb0ES6_15HIP_vector_typeIjLj2EENS0_17counting_iteratorIjlEEPS9_SG_NS0_5tupleIJPjSI_NS0_16reverse_iteratorISI_EEEEENSH_IJSG_SG_SG_EEES9_SI_JZNS1_25segmented_radix_sort_implINS0_14default_configELb1EPKlPlSQ_SR_N2at6native12_GLOBAL__N_18offset_tEEE10hipError_tPvRmT1_PNSt15iterator_traitsISZ_E10value_typeET2_T3_PNS10_IS15_E10value_typeET4_jRbjT5_S1B_jjP12ihipStream_tbEUljE_ZNSN_ISO_Lb1ESQ_SR_SQ_SR_SV_EESW_SX_SY_SZ_S13_S14_S15_S18_S19_jS1A_jS1B_S1B_jjS1D_bEUljE0_EEESW_SX_SY_S15_S19_S1B_T6_T7_T9_mT8_S1D_bDpT10_ENKUlT_T0_E_clISt17integral_constantIbLb0EES1Q_IbLb1EEEEDaS1M_S1N_EUlS1M_E_NS1_11comp_targetILNS1_3genE2ELNS1_11target_archE906ELNS1_3gpuE6ELNS1_3repE0EEENS1_30default_config_static_selectorELNS0_4arch9wavefront6targetE0EEEvSZ_,@function
_ZN7rocprim17ROCPRIM_400000_NS6detail17trampoline_kernelINS0_13select_configILj256ELj13ELNS0_17block_load_methodE3ELS4_3ELS4_3ELNS0_20block_scan_algorithmE0ELj4294967295EEENS1_25partition_config_selectorILNS1_17partition_subalgoE4EjNS0_10empty_typeEbEEZZNS1_14partition_implILS8_4ELb0ES6_15HIP_vector_typeIjLj2EENS0_17counting_iteratorIjlEEPS9_SG_NS0_5tupleIJPjSI_NS0_16reverse_iteratorISI_EEEEENSH_IJSG_SG_SG_EEES9_SI_JZNS1_25segmented_radix_sort_implINS0_14default_configELb1EPKlPlSQ_SR_N2at6native12_GLOBAL__N_18offset_tEEE10hipError_tPvRmT1_PNSt15iterator_traitsISZ_E10value_typeET2_T3_PNS10_IS15_E10value_typeET4_jRbjT5_S1B_jjP12ihipStream_tbEUljE_ZNSN_ISO_Lb1ESQ_SR_SQ_SR_SV_EESW_SX_SY_SZ_S13_S14_S15_S18_S19_jS1A_jS1B_S1B_jjS1D_bEUljE0_EEESW_SX_SY_S15_S19_S1B_T6_T7_T9_mT8_S1D_bDpT10_ENKUlT_T0_E_clISt17integral_constantIbLb0EES1Q_IbLb1EEEEDaS1M_S1N_EUlS1M_E_NS1_11comp_targetILNS1_3genE2ELNS1_11target_archE906ELNS1_3gpuE6ELNS1_3repE0EEENS1_30default_config_static_selectorELNS0_4arch9wavefront6targetE0EEEvSZ_: ; @_ZN7rocprim17ROCPRIM_400000_NS6detail17trampoline_kernelINS0_13select_configILj256ELj13ELNS0_17block_load_methodE3ELS4_3ELS4_3ELNS0_20block_scan_algorithmE0ELj4294967295EEENS1_25partition_config_selectorILNS1_17partition_subalgoE4EjNS0_10empty_typeEbEEZZNS1_14partition_implILS8_4ELb0ES6_15HIP_vector_typeIjLj2EENS0_17counting_iteratorIjlEEPS9_SG_NS0_5tupleIJPjSI_NS0_16reverse_iteratorISI_EEEEENSH_IJSG_SG_SG_EEES9_SI_JZNS1_25segmented_radix_sort_implINS0_14default_configELb1EPKlPlSQ_SR_N2at6native12_GLOBAL__N_18offset_tEEE10hipError_tPvRmT1_PNSt15iterator_traitsISZ_E10value_typeET2_T3_PNS10_IS15_E10value_typeET4_jRbjT5_S1B_jjP12ihipStream_tbEUljE_ZNSN_ISO_Lb1ESQ_SR_SQ_SR_SV_EESW_SX_SY_SZ_S13_S14_S15_S18_S19_jS1A_jS1B_S1B_jjS1D_bEUljE0_EEESW_SX_SY_S15_S19_S1B_T6_T7_T9_mT8_S1D_bDpT10_ENKUlT_T0_E_clISt17integral_constantIbLb0EES1Q_IbLb1EEEEDaS1M_S1N_EUlS1M_E_NS1_11comp_targetILNS1_3genE2ELNS1_11target_archE906ELNS1_3gpuE6ELNS1_3repE0EEENS1_30default_config_static_selectorELNS0_4arch9wavefront6targetE0EEEvSZ_
; %bb.0:
	.section	.rodata,"a",@progbits
	.p2align	6, 0x0
	.amdhsa_kernel _ZN7rocprim17ROCPRIM_400000_NS6detail17trampoline_kernelINS0_13select_configILj256ELj13ELNS0_17block_load_methodE3ELS4_3ELS4_3ELNS0_20block_scan_algorithmE0ELj4294967295EEENS1_25partition_config_selectorILNS1_17partition_subalgoE4EjNS0_10empty_typeEbEEZZNS1_14partition_implILS8_4ELb0ES6_15HIP_vector_typeIjLj2EENS0_17counting_iteratorIjlEEPS9_SG_NS0_5tupleIJPjSI_NS0_16reverse_iteratorISI_EEEEENSH_IJSG_SG_SG_EEES9_SI_JZNS1_25segmented_radix_sort_implINS0_14default_configELb1EPKlPlSQ_SR_N2at6native12_GLOBAL__N_18offset_tEEE10hipError_tPvRmT1_PNSt15iterator_traitsISZ_E10value_typeET2_T3_PNS10_IS15_E10value_typeET4_jRbjT5_S1B_jjP12ihipStream_tbEUljE_ZNSN_ISO_Lb1ESQ_SR_SQ_SR_SV_EESW_SX_SY_SZ_S13_S14_S15_S18_S19_jS1A_jS1B_S1B_jjS1D_bEUljE0_EEESW_SX_SY_S15_S19_S1B_T6_T7_T9_mT8_S1D_bDpT10_ENKUlT_T0_E_clISt17integral_constantIbLb0EES1Q_IbLb1EEEEDaS1M_S1N_EUlS1M_E_NS1_11comp_targetILNS1_3genE2ELNS1_11target_archE906ELNS1_3gpuE6ELNS1_3repE0EEENS1_30default_config_static_selectorELNS0_4arch9wavefront6targetE0EEEvSZ_
		.amdhsa_group_segment_fixed_size 0
		.amdhsa_private_segment_fixed_size 0
		.amdhsa_kernarg_size 184
		.amdhsa_user_sgpr_count 15
		.amdhsa_user_sgpr_dispatch_ptr 0
		.amdhsa_user_sgpr_queue_ptr 0
		.amdhsa_user_sgpr_kernarg_segment_ptr 1
		.amdhsa_user_sgpr_dispatch_id 0
		.amdhsa_user_sgpr_private_segment_size 0
		.amdhsa_wavefront_size32 1
		.amdhsa_uses_dynamic_stack 0
		.amdhsa_enable_private_segment 0
		.amdhsa_system_sgpr_workgroup_id_x 1
		.amdhsa_system_sgpr_workgroup_id_y 0
		.amdhsa_system_sgpr_workgroup_id_z 0
		.amdhsa_system_sgpr_workgroup_info 0
		.amdhsa_system_vgpr_workitem_id 0
		.amdhsa_next_free_vgpr 1
		.amdhsa_next_free_sgpr 1
		.amdhsa_reserve_vcc 0
		.amdhsa_float_round_mode_32 0
		.amdhsa_float_round_mode_16_64 0
		.amdhsa_float_denorm_mode_32 3
		.amdhsa_float_denorm_mode_16_64 3
		.amdhsa_dx10_clamp 1
		.amdhsa_ieee_mode 1
		.amdhsa_fp16_overflow 0
		.amdhsa_workgroup_processor_mode 1
		.amdhsa_memory_ordered 1
		.amdhsa_forward_progress 0
		.amdhsa_shared_vgpr_count 0
		.amdhsa_exception_fp_ieee_invalid_op 0
		.amdhsa_exception_fp_denorm_src 0
		.amdhsa_exception_fp_ieee_div_zero 0
		.amdhsa_exception_fp_ieee_overflow 0
		.amdhsa_exception_fp_ieee_underflow 0
		.amdhsa_exception_fp_ieee_inexact 0
		.amdhsa_exception_int_div_zero 0
	.end_amdhsa_kernel
	.section	.text._ZN7rocprim17ROCPRIM_400000_NS6detail17trampoline_kernelINS0_13select_configILj256ELj13ELNS0_17block_load_methodE3ELS4_3ELS4_3ELNS0_20block_scan_algorithmE0ELj4294967295EEENS1_25partition_config_selectorILNS1_17partition_subalgoE4EjNS0_10empty_typeEbEEZZNS1_14partition_implILS8_4ELb0ES6_15HIP_vector_typeIjLj2EENS0_17counting_iteratorIjlEEPS9_SG_NS0_5tupleIJPjSI_NS0_16reverse_iteratorISI_EEEEENSH_IJSG_SG_SG_EEES9_SI_JZNS1_25segmented_radix_sort_implINS0_14default_configELb1EPKlPlSQ_SR_N2at6native12_GLOBAL__N_18offset_tEEE10hipError_tPvRmT1_PNSt15iterator_traitsISZ_E10value_typeET2_T3_PNS10_IS15_E10value_typeET4_jRbjT5_S1B_jjP12ihipStream_tbEUljE_ZNSN_ISO_Lb1ESQ_SR_SQ_SR_SV_EESW_SX_SY_SZ_S13_S14_S15_S18_S19_jS1A_jS1B_S1B_jjS1D_bEUljE0_EEESW_SX_SY_S15_S19_S1B_T6_T7_T9_mT8_S1D_bDpT10_ENKUlT_T0_E_clISt17integral_constantIbLb0EES1Q_IbLb1EEEEDaS1M_S1N_EUlS1M_E_NS1_11comp_targetILNS1_3genE2ELNS1_11target_archE906ELNS1_3gpuE6ELNS1_3repE0EEENS1_30default_config_static_selectorELNS0_4arch9wavefront6targetE0EEEvSZ_,"axG",@progbits,_ZN7rocprim17ROCPRIM_400000_NS6detail17trampoline_kernelINS0_13select_configILj256ELj13ELNS0_17block_load_methodE3ELS4_3ELS4_3ELNS0_20block_scan_algorithmE0ELj4294967295EEENS1_25partition_config_selectorILNS1_17partition_subalgoE4EjNS0_10empty_typeEbEEZZNS1_14partition_implILS8_4ELb0ES6_15HIP_vector_typeIjLj2EENS0_17counting_iteratorIjlEEPS9_SG_NS0_5tupleIJPjSI_NS0_16reverse_iteratorISI_EEEEENSH_IJSG_SG_SG_EEES9_SI_JZNS1_25segmented_radix_sort_implINS0_14default_configELb1EPKlPlSQ_SR_N2at6native12_GLOBAL__N_18offset_tEEE10hipError_tPvRmT1_PNSt15iterator_traitsISZ_E10value_typeET2_T3_PNS10_IS15_E10value_typeET4_jRbjT5_S1B_jjP12ihipStream_tbEUljE_ZNSN_ISO_Lb1ESQ_SR_SQ_SR_SV_EESW_SX_SY_SZ_S13_S14_S15_S18_S19_jS1A_jS1B_S1B_jjS1D_bEUljE0_EEESW_SX_SY_S15_S19_S1B_T6_T7_T9_mT8_S1D_bDpT10_ENKUlT_T0_E_clISt17integral_constantIbLb0EES1Q_IbLb1EEEEDaS1M_S1N_EUlS1M_E_NS1_11comp_targetILNS1_3genE2ELNS1_11target_archE906ELNS1_3gpuE6ELNS1_3repE0EEENS1_30default_config_static_selectorELNS0_4arch9wavefront6targetE0EEEvSZ_,comdat
.Lfunc_end668:
	.size	_ZN7rocprim17ROCPRIM_400000_NS6detail17trampoline_kernelINS0_13select_configILj256ELj13ELNS0_17block_load_methodE3ELS4_3ELS4_3ELNS0_20block_scan_algorithmE0ELj4294967295EEENS1_25partition_config_selectorILNS1_17partition_subalgoE4EjNS0_10empty_typeEbEEZZNS1_14partition_implILS8_4ELb0ES6_15HIP_vector_typeIjLj2EENS0_17counting_iteratorIjlEEPS9_SG_NS0_5tupleIJPjSI_NS0_16reverse_iteratorISI_EEEEENSH_IJSG_SG_SG_EEES9_SI_JZNS1_25segmented_radix_sort_implINS0_14default_configELb1EPKlPlSQ_SR_N2at6native12_GLOBAL__N_18offset_tEEE10hipError_tPvRmT1_PNSt15iterator_traitsISZ_E10value_typeET2_T3_PNS10_IS15_E10value_typeET4_jRbjT5_S1B_jjP12ihipStream_tbEUljE_ZNSN_ISO_Lb1ESQ_SR_SQ_SR_SV_EESW_SX_SY_SZ_S13_S14_S15_S18_S19_jS1A_jS1B_S1B_jjS1D_bEUljE0_EEESW_SX_SY_S15_S19_S1B_T6_T7_T9_mT8_S1D_bDpT10_ENKUlT_T0_E_clISt17integral_constantIbLb0EES1Q_IbLb1EEEEDaS1M_S1N_EUlS1M_E_NS1_11comp_targetILNS1_3genE2ELNS1_11target_archE906ELNS1_3gpuE6ELNS1_3repE0EEENS1_30default_config_static_selectorELNS0_4arch9wavefront6targetE0EEEvSZ_, .Lfunc_end668-_ZN7rocprim17ROCPRIM_400000_NS6detail17trampoline_kernelINS0_13select_configILj256ELj13ELNS0_17block_load_methodE3ELS4_3ELS4_3ELNS0_20block_scan_algorithmE0ELj4294967295EEENS1_25partition_config_selectorILNS1_17partition_subalgoE4EjNS0_10empty_typeEbEEZZNS1_14partition_implILS8_4ELb0ES6_15HIP_vector_typeIjLj2EENS0_17counting_iteratorIjlEEPS9_SG_NS0_5tupleIJPjSI_NS0_16reverse_iteratorISI_EEEEENSH_IJSG_SG_SG_EEES9_SI_JZNS1_25segmented_radix_sort_implINS0_14default_configELb1EPKlPlSQ_SR_N2at6native12_GLOBAL__N_18offset_tEEE10hipError_tPvRmT1_PNSt15iterator_traitsISZ_E10value_typeET2_T3_PNS10_IS15_E10value_typeET4_jRbjT5_S1B_jjP12ihipStream_tbEUljE_ZNSN_ISO_Lb1ESQ_SR_SQ_SR_SV_EESW_SX_SY_SZ_S13_S14_S15_S18_S19_jS1A_jS1B_S1B_jjS1D_bEUljE0_EEESW_SX_SY_S15_S19_S1B_T6_T7_T9_mT8_S1D_bDpT10_ENKUlT_T0_E_clISt17integral_constantIbLb0EES1Q_IbLb1EEEEDaS1M_S1N_EUlS1M_E_NS1_11comp_targetILNS1_3genE2ELNS1_11target_archE906ELNS1_3gpuE6ELNS1_3repE0EEENS1_30default_config_static_selectorELNS0_4arch9wavefront6targetE0EEEvSZ_
                                        ; -- End function
	.section	.AMDGPU.csdata,"",@progbits
; Kernel info:
; codeLenInByte = 0
; NumSgprs: 0
; NumVgprs: 0
; ScratchSize: 0
; MemoryBound: 0
; FloatMode: 240
; IeeeMode: 1
; LDSByteSize: 0 bytes/workgroup (compile time only)
; SGPRBlocks: 0
; VGPRBlocks: 0
; NumSGPRsForWavesPerEU: 1
; NumVGPRsForWavesPerEU: 1
; Occupancy: 16
; WaveLimiterHint : 0
; COMPUTE_PGM_RSRC2:SCRATCH_EN: 0
; COMPUTE_PGM_RSRC2:USER_SGPR: 15
; COMPUTE_PGM_RSRC2:TRAP_HANDLER: 0
; COMPUTE_PGM_RSRC2:TGID_X_EN: 1
; COMPUTE_PGM_RSRC2:TGID_Y_EN: 0
; COMPUTE_PGM_RSRC2:TGID_Z_EN: 0
; COMPUTE_PGM_RSRC2:TIDIG_COMP_CNT: 0
	.section	.text._ZN7rocprim17ROCPRIM_400000_NS6detail17trampoline_kernelINS0_13select_configILj256ELj13ELNS0_17block_load_methodE3ELS4_3ELS4_3ELNS0_20block_scan_algorithmE0ELj4294967295EEENS1_25partition_config_selectorILNS1_17partition_subalgoE4EjNS0_10empty_typeEbEEZZNS1_14partition_implILS8_4ELb0ES6_15HIP_vector_typeIjLj2EENS0_17counting_iteratorIjlEEPS9_SG_NS0_5tupleIJPjSI_NS0_16reverse_iteratorISI_EEEEENSH_IJSG_SG_SG_EEES9_SI_JZNS1_25segmented_radix_sort_implINS0_14default_configELb1EPKlPlSQ_SR_N2at6native12_GLOBAL__N_18offset_tEEE10hipError_tPvRmT1_PNSt15iterator_traitsISZ_E10value_typeET2_T3_PNS10_IS15_E10value_typeET4_jRbjT5_S1B_jjP12ihipStream_tbEUljE_ZNSN_ISO_Lb1ESQ_SR_SQ_SR_SV_EESW_SX_SY_SZ_S13_S14_S15_S18_S19_jS1A_jS1B_S1B_jjS1D_bEUljE0_EEESW_SX_SY_S15_S19_S1B_T6_T7_T9_mT8_S1D_bDpT10_ENKUlT_T0_E_clISt17integral_constantIbLb0EES1Q_IbLb1EEEEDaS1M_S1N_EUlS1M_E_NS1_11comp_targetILNS1_3genE10ELNS1_11target_archE1200ELNS1_3gpuE4ELNS1_3repE0EEENS1_30default_config_static_selectorELNS0_4arch9wavefront6targetE0EEEvSZ_,"axG",@progbits,_ZN7rocprim17ROCPRIM_400000_NS6detail17trampoline_kernelINS0_13select_configILj256ELj13ELNS0_17block_load_methodE3ELS4_3ELS4_3ELNS0_20block_scan_algorithmE0ELj4294967295EEENS1_25partition_config_selectorILNS1_17partition_subalgoE4EjNS0_10empty_typeEbEEZZNS1_14partition_implILS8_4ELb0ES6_15HIP_vector_typeIjLj2EENS0_17counting_iteratorIjlEEPS9_SG_NS0_5tupleIJPjSI_NS0_16reverse_iteratorISI_EEEEENSH_IJSG_SG_SG_EEES9_SI_JZNS1_25segmented_radix_sort_implINS0_14default_configELb1EPKlPlSQ_SR_N2at6native12_GLOBAL__N_18offset_tEEE10hipError_tPvRmT1_PNSt15iterator_traitsISZ_E10value_typeET2_T3_PNS10_IS15_E10value_typeET4_jRbjT5_S1B_jjP12ihipStream_tbEUljE_ZNSN_ISO_Lb1ESQ_SR_SQ_SR_SV_EESW_SX_SY_SZ_S13_S14_S15_S18_S19_jS1A_jS1B_S1B_jjS1D_bEUljE0_EEESW_SX_SY_S15_S19_S1B_T6_T7_T9_mT8_S1D_bDpT10_ENKUlT_T0_E_clISt17integral_constantIbLb0EES1Q_IbLb1EEEEDaS1M_S1N_EUlS1M_E_NS1_11comp_targetILNS1_3genE10ELNS1_11target_archE1200ELNS1_3gpuE4ELNS1_3repE0EEENS1_30default_config_static_selectorELNS0_4arch9wavefront6targetE0EEEvSZ_,comdat
	.globl	_ZN7rocprim17ROCPRIM_400000_NS6detail17trampoline_kernelINS0_13select_configILj256ELj13ELNS0_17block_load_methodE3ELS4_3ELS4_3ELNS0_20block_scan_algorithmE0ELj4294967295EEENS1_25partition_config_selectorILNS1_17partition_subalgoE4EjNS0_10empty_typeEbEEZZNS1_14partition_implILS8_4ELb0ES6_15HIP_vector_typeIjLj2EENS0_17counting_iteratorIjlEEPS9_SG_NS0_5tupleIJPjSI_NS0_16reverse_iteratorISI_EEEEENSH_IJSG_SG_SG_EEES9_SI_JZNS1_25segmented_radix_sort_implINS0_14default_configELb1EPKlPlSQ_SR_N2at6native12_GLOBAL__N_18offset_tEEE10hipError_tPvRmT1_PNSt15iterator_traitsISZ_E10value_typeET2_T3_PNS10_IS15_E10value_typeET4_jRbjT5_S1B_jjP12ihipStream_tbEUljE_ZNSN_ISO_Lb1ESQ_SR_SQ_SR_SV_EESW_SX_SY_SZ_S13_S14_S15_S18_S19_jS1A_jS1B_S1B_jjS1D_bEUljE0_EEESW_SX_SY_S15_S19_S1B_T6_T7_T9_mT8_S1D_bDpT10_ENKUlT_T0_E_clISt17integral_constantIbLb0EES1Q_IbLb1EEEEDaS1M_S1N_EUlS1M_E_NS1_11comp_targetILNS1_3genE10ELNS1_11target_archE1200ELNS1_3gpuE4ELNS1_3repE0EEENS1_30default_config_static_selectorELNS0_4arch9wavefront6targetE0EEEvSZ_ ; -- Begin function _ZN7rocprim17ROCPRIM_400000_NS6detail17trampoline_kernelINS0_13select_configILj256ELj13ELNS0_17block_load_methodE3ELS4_3ELS4_3ELNS0_20block_scan_algorithmE0ELj4294967295EEENS1_25partition_config_selectorILNS1_17partition_subalgoE4EjNS0_10empty_typeEbEEZZNS1_14partition_implILS8_4ELb0ES6_15HIP_vector_typeIjLj2EENS0_17counting_iteratorIjlEEPS9_SG_NS0_5tupleIJPjSI_NS0_16reverse_iteratorISI_EEEEENSH_IJSG_SG_SG_EEES9_SI_JZNS1_25segmented_radix_sort_implINS0_14default_configELb1EPKlPlSQ_SR_N2at6native12_GLOBAL__N_18offset_tEEE10hipError_tPvRmT1_PNSt15iterator_traitsISZ_E10value_typeET2_T3_PNS10_IS15_E10value_typeET4_jRbjT5_S1B_jjP12ihipStream_tbEUljE_ZNSN_ISO_Lb1ESQ_SR_SQ_SR_SV_EESW_SX_SY_SZ_S13_S14_S15_S18_S19_jS1A_jS1B_S1B_jjS1D_bEUljE0_EEESW_SX_SY_S15_S19_S1B_T6_T7_T9_mT8_S1D_bDpT10_ENKUlT_T0_E_clISt17integral_constantIbLb0EES1Q_IbLb1EEEEDaS1M_S1N_EUlS1M_E_NS1_11comp_targetILNS1_3genE10ELNS1_11target_archE1200ELNS1_3gpuE4ELNS1_3repE0EEENS1_30default_config_static_selectorELNS0_4arch9wavefront6targetE0EEEvSZ_
	.p2align	8
	.type	_ZN7rocprim17ROCPRIM_400000_NS6detail17trampoline_kernelINS0_13select_configILj256ELj13ELNS0_17block_load_methodE3ELS4_3ELS4_3ELNS0_20block_scan_algorithmE0ELj4294967295EEENS1_25partition_config_selectorILNS1_17partition_subalgoE4EjNS0_10empty_typeEbEEZZNS1_14partition_implILS8_4ELb0ES6_15HIP_vector_typeIjLj2EENS0_17counting_iteratorIjlEEPS9_SG_NS0_5tupleIJPjSI_NS0_16reverse_iteratorISI_EEEEENSH_IJSG_SG_SG_EEES9_SI_JZNS1_25segmented_radix_sort_implINS0_14default_configELb1EPKlPlSQ_SR_N2at6native12_GLOBAL__N_18offset_tEEE10hipError_tPvRmT1_PNSt15iterator_traitsISZ_E10value_typeET2_T3_PNS10_IS15_E10value_typeET4_jRbjT5_S1B_jjP12ihipStream_tbEUljE_ZNSN_ISO_Lb1ESQ_SR_SQ_SR_SV_EESW_SX_SY_SZ_S13_S14_S15_S18_S19_jS1A_jS1B_S1B_jjS1D_bEUljE0_EEESW_SX_SY_S15_S19_S1B_T6_T7_T9_mT8_S1D_bDpT10_ENKUlT_T0_E_clISt17integral_constantIbLb0EES1Q_IbLb1EEEEDaS1M_S1N_EUlS1M_E_NS1_11comp_targetILNS1_3genE10ELNS1_11target_archE1200ELNS1_3gpuE4ELNS1_3repE0EEENS1_30default_config_static_selectorELNS0_4arch9wavefront6targetE0EEEvSZ_,@function
_ZN7rocprim17ROCPRIM_400000_NS6detail17trampoline_kernelINS0_13select_configILj256ELj13ELNS0_17block_load_methodE3ELS4_3ELS4_3ELNS0_20block_scan_algorithmE0ELj4294967295EEENS1_25partition_config_selectorILNS1_17partition_subalgoE4EjNS0_10empty_typeEbEEZZNS1_14partition_implILS8_4ELb0ES6_15HIP_vector_typeIjLj2EENS0_17counting_iteratorIjlEEPS9_SG_NS0_5tupleIJPjSI_NS0_16reverse_iteratorISI_EEEEENSH_IJSG_SG_SG_EEES9_SI_JZNS1_25segmented_radix_sort_implINS0_14default_configELb1EPKlPlSQ_SR_N2at6native12_GLOBAL__N_18offset_tEEE10hipError_tPvRmT1_PNSt15iterator_traitsISZ_E10value_typeET2_T3_PNS10_IS15_E10value_typeET4_jRbjT5_S1B_jjP12ihipStream_tbEUljE_ZNSN_ISO_Lb1ESQ_SR_SQ_SR_SV_EESW_SX_SY_SZ_S13_S14_S15_S18_S19_jS1A_jS1B_S1B_jjS1D_bEUljE0_EEESW_SX_SY_S15_S19_S1B_T6_T7_T9_mT8_S1D_bDpT10_ENKUlT_T0_E_clISt17integral_constantIbLb0EES1Q_IbLb1EEEEDaS1M_S1N_EUlS1M_E_NS1_11comp_targetILNS1_3genE10ELNS1_11target_archE1200ELNS1_3gpuE4ELNS1_3repE0EEENS1_30default_config_static_selectorELNS0_4arch9wavefront6targetE0EEEvSZ_: ; @_ZN7rocprim17ROCPRIM_400000_NS6detail17trampoline_kernelINS0_13select_configILj256ELj13ELNS0_17block_load_methodE3ELS4_3ELS4_3ELNS0_20block_scan_algorithmE0ELj4294967295EEENS1_25partition_config_selectorILNS1_17partition_subalgoE4EjNS0_10empty_typeEbEEZZNS1_14partition_implILS8_4ELb0ES6_15HIP_vector_typeIjLj2EENS0_17counting_iteratorIjlEEPS9_SG_NS0_5tupleIJPjSI_NS0_16reverse_iteratorISI_EEEEENSH_IJSG_SG_SG_EEES9_SI_JZNS1_25segmented_radix_sort_implINS0_14default_configELb1EPKlPlSQ_SR_N2at6native12_GLOBAL__N_18offset_tEEE10hipError_tPvRmT1_PNSt15iterator_traitsISZ_E10value_typeET2_T3_PNS10_IS15_E10value_typeET4_jRbjT5_S1B_jjP12ihipStream_tbEUljE_ZNSN_ISO_Lb1ESQ_SR_SQ_SR_SV_EESW_SX_SY_SZ_S13_S14_S15_S18_S19_jS1A_jS1B_S1B_jjS1D_bEUljE0_EEESW_SX_SY_S15_S19_S1B_T6_T7_T9_mT8_S1D_bDpT10_ENKUlT_T0_E_clISt17integral_constantIbLb0EES1Q_IbLb1EEEEDaS1M_S1N_EUlS1M_E_NS1_11comp_targetILNS1_3genE10ELNS1_11target_archE1200ELNS1_3gpuE4ELNS1_3repE0EEENS1_30default_config_static_selectorELNS0_4arch9wavefront6targetE0EEEvSZ_
; %bb.0:
	.section	.rodata,"a",@progbits
	.p2align	6, 0x0
	.amdhsa_kernel _ZN7rocprim17ROCPRIM_400000_NS6detail17trampoline_kernelINS0_13select_configILj256ELj13ELNS0_17block_load_methodE3ELS4_3ELS4_3ELNS0_20block_scan_algorithmE0ELj4294967295EEENS1_25partition_config_selectorILNS1_17partition_subalgoE4EjNS0_10empty_typeEbEEZZNS1_14partition_implILS8_4ELb0ES6_15HIP_vector_typeIjLj2EENS0_17counting_iteratorIjlEEPS9_SG_NS0_5tupleIJPjSI_NS0_16reverse_iteratorISI_EEEEENSH_IJSG_SG_SG_EEES9_SI_JZNS1_25segmented_radix_sort_implINS0_14default_configELb1EPKlPlSQ_SR_N2at6native12_GLOBAL__N_18offset_tEEE10hipError_tPvRmT1_PNSt15iterator_traitsISZ_E10value_typeET2_T3_PNS10_IS15_E10value_typeET4_jRbjT5_S1B_jjP12ihipStream_tbEUljE_ZNSN_ISO_Lb1ESQ_SR_SQ_SR_SV_EESW_SX_SY_SZ_S13_S14_S15_S18_S19_jS1A_jS1B_S1B_jjS1D_bEUljE0_EEESW_SX_SY_S15_S19_S1B_T6_T7_T9_mT8_S1D_bDpT10_ENKUlT_T0_E_clISt17integral_constantIbLb0EES1Q_IbLb1EEEEDaS1M_S1N_EUlS1M_E_NS1_11comp_targetILNS1_3genE10ELNS1_11target_archE1200ELNS1_3gpuE4ELNS1_3repE0EEENS1_30default_config_static_selectorELNS0_4arch9wavefront6targetE0EEEvSZ_
		.amdhsa_group_segment_fixed_size 0
		.amdhsa_private_segment_fixed_size 0
		.amdhsa_kernarg_size 184
		.amdhsa_user_sgpr_count 15
		.amdhsa_user_sgpr_dispatch_ptr 0
		.amdhsa_user_sgpr_queue_ptr 0
		.amdhsa_user_sgpr_kernarg_segment_ptr 1
		.amdhsa_user_sgpr_dispatch_id 0
		.amdhsa_user_sgpr_private_segment_size 0
		.amdhsa_wavefront_size32 1
		.amdhsa_uses_dynamic_stack 0
		.amdhsa_enable_private_segment 0
		.amdhsa_system_sgpr_workgroup_id_x 1
		.amdhsa_system_sgpr_workgroup_id_y 0
		.amdhsa_system_sgpr_workgroup_id_z 0
		.amdhsa_system_sgpr_workgroup_info 0
		.amdhsa_system_vgpr_workitem_id 0
		.amdhsa_next_free_vgpr 1
		.amdhsa_next_free_sgpr 1
		.amdhsa_reserve_vcc 0
		.amdhsa_float_round_mode_32 0
		.amdhsa_float_round_mode_16_64 0
		.amdhsa_float_denorm_mode_32 3
		.amdhsa_float_denorm_mode_16_64 3
		.amdhsa_dx10_clamp 1
		.amdhsa_ieee_mode 1
		.amdhsa_fp16_overflow 0
		.amdhsa_workgroup_processor_mode 1
		.amdhsa_memory_ordered 1
		.amdhsa_forward_progress 0
		.amdhsa_shared_vgpr_count 0
		.amdhsa_exception_fp_ieee_invalid_op 0
		.amdhsa_exception_fp_denorm_src 0
		.amdhsa_exception_fp_ieee_div_zero 0
		.amdhsa_exception_fp_ieee_overflow 0
		.amdhsa_exception_fp_ieee_underflow 0
		.amdhsa_exception_fp_ieee_inexact 0
		.amdhsa_exception_int_div_zero 0
	.end_amdhsa_kernel
	.section	.text._ZN7rocprim17ROCPRIM_400000_NS6detail17trampoline_kernelINS0_13select_configILj256ELj13ELNS0_17block_load_methodE3ELS4_3ELS4_3ELNS0_20block_scan_algorithmE0ELj4294967295EEENS1_25partition_config_selectorILNS1_17partition_subalgoE4EjNS0_10empty_typeEbEEZZNS1_14partition_implILS8_4ELb0ES6_15HIP_vector_typeIjLj2EENS0_17counting_iteratorIjlEEPS9_SG_NS0_5tupleIJPjSI_NS0_16reverse_iteratorISI_EEEEENSH_IJSG_SG_SG_EEES9_SI_JZNS1_25segmented_radix_sort_implINS0_14default_configELb1EPKlPlSQ_SR_N2at6native12_GLOBAL__N_18offset_tEEE10hipError_tPvRmT1_PNSt15iterator_traitsISZ_E10value_typeET2_T3_PNS10_IS15_E10value_typeET4_jRbjT5_S1B_jjP12ihipStream_tbEUljE_ZNSN_ISO_Lb1ESQ_SR_SQ_SR_SV_EESW_SX_SY_SZ_S13_S14_S15_S18_S19_jS1A_jS1B_S1B_jjS1D_bEUljE0_EEESW_SX_SY_S15_S19_S1B_T6_T7_T9_mT8_S1D_bDpT10_ENKUlT_T0_E_clISt17integral_constantIbLb0EES1Q_IbLb1EEEEDaS1M_S1N_EUlS1M_E_NS1_11comp_targetILNS1_3genE10ELNS1_11target_archE1200ELNS1_3gpuE4ELNS1_3repE0EEENS1_30default_config_static_selectorELNS0_4arch9wavefront6targetE0EEEvSZ_,"axG",@progbits,_ZN7rocprim17ROCPRIM_400000_NS6detail17trampoline_kernelINS0_13select_configILj256ELj13ELNS0_17block_load_methodE3ELS4_3ELS4_3ELNS0_20block_scan_algorithmE0ELj4294967295EEENS1_25partition_config_selectorILNS1_17partition_subalgoE4EjNS0_10empty_typeEbEEZZNS1_14partition_implILS8_4ELb0ES6_15HIP_vector_typeIjLj2EENS0_17counting_iteratorIjlEEPS9_SG_NS0_5tupleIJPjSI_NS0_16reverse_iteratorISI_EEEEENSH_IJSG_SG_SG_EEES9_SI_JZNS1_25segmented_radix_sort_implINS0_14default_configELb1EPKlPlSQ_SR_N2at6native12_GLOBAL__N_18offset_tEEE10hipError_tPvRmT1_PNSt15iterator_traitsISZ_E10value_typeET2_T3_PNS10_IS15_E10value_typeET4_jRbjT5_S1B_jjP12ihipStream_tbEUljE_ZNSN_ISO_Lb1ESQ_SR_SQ_SR_SV_EESW_SX_SY_SZ_S13_S14_S15_S18_S19_jS1A_jS1B_S1B_jjS1D_bEUljE0_EEESW_SX_SY_S15_S19_S1B_T6_T7_T9_mT8_S1D_bDpT10_ENKUlT_T0_E_clISt17integral_constantIbLb0EES1Q_IbLb1EEEEDaS1M_S1N_EUlS1M_E_NS1_11comp_targetILNS1_3genE10ELNS1_11target_archE1200ELNS1_3gpuE4ELNS1_3repE0EEENS1_30default_config_static_selectorELNS0_4arch9wavefront6targetE0EEEvSZ_,comdat
.Lfunc_end669:
	.size	_ZN7rocprim17ROCPRIM_400000_NS6detail17trampoline_kernelINS0_13select_configILj256ELj13ELNS0_17block_load_methodE3ELS4_3ELS4_3ELNS0_20block_scan_algorithmE0ELj4294967295EEENS1_25partition_config_selectorILNS1_17partition_subalgoE4EjNS0_10empty_typeEbEEZZNS1_14partition_implILS8_4ELb0ES6_15HIP_vector_typeIjLj2EENS0_17counting_iteratorIjlEEPS9_SG_NS0_5tupleIJPjSI_NS0_16reverse_iteratorISI_EEEEENSH_IJSG_SG_SG_EEES9_SI_JZNS1_25segmented_radix_sort_implINS0_14default_configELb1EPKlPlSQ_SR_N2at6native12_GLOBAL__N_18offset_tEEE10hipError_tPvRmT1_PNSt15iterator_traitsISZ_E10value_typeET2_T3_PNS10_IS15_E10value_typeET4_jRbjT5_S1B_jjP12ihipStream_tbEUljE_ZNSN_ISO_Lb1ESQ_SR_SQ_SR_SV_EESW_SX_SY_SZ_S13_S14_S15_S18_S19_jS1A_jS1B_S1B_jjS1D_bEUljE0_EEESW_SX_SY_S15_S19_S1B_T6_T7_T9_mT8_S1D_bDpT10_ENKUlT_T0_E_clISt17integral_constantIbLb0EES1Q_IbLb1EEEEDaS1M_S1N_EUlS1M_E_NS1_11comp_targetILNS1_3genE10ELNS1_11target_archE1200ELNS1_3gpuE4ELNS1_3repE0EEENS1_30default_config_static_selectorELNS0_4arch9wavefront6targetE0EEEvSZ_, .Lfunc_end669-_ZN7rocprim17ROCPRIM_400000_NS6detail17trampoline_kernelINS0_13select_configILj256ELj13ELNS0_17block_load_methodE3ELS4_3ELS4_3ELNS0_20block_scan_algorithmE0ELj4294967295EEENS1_25partition_config_selectorILNS1_17partition_subalgoE4EjNS0_10empty_typeEbEEZZNS1_14partition_implILS8_4ELb0ES6_15HIP_vector_typeIjLj2EENS0_17counting_iteratorIjlEEPS9_SG_NS0_5tupleIJPjSI_NS0_16reverse_iteratorISI_EEEEENSH_IJSG_SG_SG_EEES9_SI_JZNS1_25segmented_radix_sort_implINS0_14default_configELb1EPKlPlSQ_SR_N2at6native12_GLOBAL__N_18offset_tEEE10hipError_tPvRmT1_PNSt15iterator_traitsISZ_E10value_typeET2_T3_PNS10_IS15_E10value_typeET4_jRbjT5_S1B_jjP12ihipStream_tbEUljE_ZNSN_ISO_Lb1ESQ_SR_SQ_SR_SV_EESW_SX_SY_SZ_S13_S14_S15_S18_S19_jS1A_jS1B_S1B_jjS1D_bEUljE0_EEESW_SX_SY_S15_S19_S1B_T6_T7_T9_mT8_S1D_bDpT10_ENKUlT_T0_E_clISt17integral_constantIbLb0EES1Q_IbLb1EEEEDaS1M_S1N_EUlS1M_E_NS1_11comp_targetILNS1_3genE10ELNS1_11target_archE1200ELNS1_3gpuE4ELNS1_3repE0EEENS1_30default_config_static_selectorELNS0_4arch9wavefront6targetE0EEEvSZ_
                                        ; -- End function
	.section	.AMDGPU.csdata,"",@progbits
; Kernel info:
; codeLenInByte = 0
; NumSgprs: 0
; NumVgprs: 0
; ScratchSize: 0
; MemoryBound: 0
; FloatMode: 240
; IeeeMode: 1
; LDSByteSize: 0 bytes/workgroup (compile time only)
; SGPRBlocks: 0
; VGPRBlocks: 0
; NumSGPRsForWavesPerEU: 1
; NumVGPRsForWavesPerEU: 1
; Occupancy: 16
; WaveLimiterHint : 0
; COMPUTE_PGM_RSRC2:SCRATCH_EN: 0
; COMPUTE_PGM_RSRC2:USER_SGPR: 15
; COMPUTE_PGM_RSRC2:TRAP_HANDLER: 0
; COMPUTE_PGM_RSRC2:TGID_X_EN: 1
; COMPUTE_PGM_RSRC2:TGID_Y_EN: 0
; COMPUTE_PGM_RSRC2:TGID_Z_EN: 0
; COMPUTE_PGM_RSRC2:TIDIG_COMP_CNT: 0
	.section	.text._ZN7rocprim17ROCPRIM_400000_NS6detail17trampoline_kernelINS0_13select_configILj256ELj13ELNS0_17block_load_methodE3ELS4_3ELS4_3ELNS0_20block_scan_algorithmE0ELj4294967295EEENS1_25partition_config_selectorILNS1_17partition_subalgoE4EjNS0_10empty_typeEbEEZZNS1_14partition_implILS8_4ELb0ES6_15HIP_vector_typeIjLj2EENS0_17counting_iteratorIjlEEPS9_SG_NS0_5tupleIJPjSI_NS0_16reverse_iteratorISI_EEEEENSH_IJSG_SG_SG_EEES9_SI_JZNS1_25segmented_radix_sort_implINS0_14default_configELb1EPKlPlSQ_SR_N2at6native12_GLOBAL__N_18offset_tEEE10hipError_tPvRmT1_PNSt15iterator_traitsISZ_E10value_typeET2_T3_PNS10_IS15_E10value_typeET4_jRbjT5_S1B_jjP12ihipStream_tbEUljE_ZNSN_ISO_Lb1ESQ_SR_SQ_SR_SV_EESW_SX_SY_SZ_S13_S14_S15_S18_S19_jS1A_jS1B_S1B_jjS1D_bEUljE0_EEESW_SX_SY_S15_S19_S1B_T6_T7_T9_mT8_S1D_bDpT10_ENKUlT_T0_E_clISt17integral_constantIbLb0EES1Q_IbLb1EEEEDaS1M_S1N_EUlS1M_E_NS1_11comp_targetILNS1_3genE9ELNS1_11target_archE1100ELNS1_3gpuE3ELNS1_3repE0EEENS1_30default_config_static_selectorELNS0_4arch9wavefront6targetE0EEEvSZ_,"axG",@progbits,_ZN7rocprim17ROCPRIM_400000_NS6detail17trampoline_kernelINS0_13select_configILj256ELj13ELNS0_17block_load_methodE3ELS4_3ELS4_3ELNS0_20block_scan_algorithmE0ELj4294967295EEENS1_25partition_config_selectorILNS1_17partition_subalgoE4EjNS0_10empty_typeEbEEZZNS1_14partition_implILS8_4ELb0ES6_15HIP_vector_typeIjLj2EENS0_17counting_iteratorIjlEEPS9_SG_NS0_5tupleIJPjSI_NS0_16reverse_iteratorISI_EEEEENSH_IJSG_SG_SG_EEES9_SI_JZNS1_25segmented_radix_sort_implINS0_14default_configELb1EPKlPlSQ_SR_N2at6native12_GLOBAL__N_18offset_tEEE10hipError_tPvRmT1_PNSt15iterator_traitsISZ_E10value_typeET2_T3_PNS10_IS15_E10value_typeET4_jRbjT5_S1B_jjP12ihipStream_tbEUljE_ZNSN_ISO_Lb1ESQ_SR_SQ_SR_SV_EESW_SX_SY_SZ_S13_S14_S15_S18_S19_jS1A_jS1B_S1B_jjS1D_bEUljE0_EEESW_SX_SY_S15_S19_S1B_T6_T7_T9_mT8_S1D_bDpT10_ENKUlT_T0_E_clISt17integral_constantIbLb0EES1Q_IbLb1EEEEDaS1M_S1N_EUlS1M_E_NS1_11comp_targetILNS1_3genE9ELNS1_11target_archE1100ELNS1_3gpuE3ELNS1_3repE0EEENS1_30default_config_static_selectorELNS0_4arch9wavefront6targetE0EEEvSZ_,comdat
	.globl	_ZN7rocprim17ROCPRIM_400000_NS6detail17trampoline_kernelINS0_13select_configILj256ELj13ELNS0_17block_load_methodE3ELS4_3ELS4_3ELNS0_20block_scan_algorithmE0ELj4294967295EEENS1_25partition_config_selectorILNS1_17partition_subalgoE4EjNS0_10empty_typeEbEEZZNS1_14partition_implILS8_4ELb0ES6_15HIP_vector_typeIjLj2EENS0_17counting_iteratorIjlEEPS9_SG_NS0_5tupleIJPjSI_NS0_16reverse_iteratorISI_EEEEENSH_IJSG_SG_SG_EEES9_SI_JZNS1_25segmented_radix_sort_implINS0_14default_configELb1EPKlPlSQ_SR_N2at6native12_GLOBAL__N_18offset_tEEE10hipError_tPvRmT1_PNSt15iterator_traitsISZ_E10value_typeET2_T3_PNS10_IS15_E10value_typeET4_jRbjT5_S1B_jjP12ihipStream_tbEUljE_ZNSN_ISO_Lb1ESQ_SR_SQ_SR_SV_EESW_SX_SY_SZ_S13_S14_S15_S18_S19_jS1A_jS1B_S1B_jjS1D_bEUljE0_EEESW_SX_SY_S15_S19_S1B_T6_T7_T9_mT8_S1D_bDpT10_ENKUlT_T0_E_clISt17integral_constantIbLb0EES1Q_IbLb1EEEEDaS1M_S1N_EUlS1M_E_NS1_11comp_targetILNS1_3genE9ELNS1_11target_archE1100ELNS1_3gpuE3ELNS1_3repE0EEENS1_30default_config_static_selectorELNS0_4arch9wavefront6targetE0EEEvSZ_ ; -- Begin function _ZN7rocprim17ROCPRIM_400000_NS6detail17trampoline_kernelINS0_13select_configILj256ELj13ELNS0_17block_load_methodE3ELS4_3ELS4_3ELNS0_20block_scan_algorithmE0ELj4294967295EEENS1_25partition_config_selectorILNS1_17partition_subalgoE4EjNS0_10empty_typeEbEEZZNS1_14partition_implILS8_4ELb0ES6_15HIP_vector_typeIjLj2EENS0_17counting_iteratorIjlEEPS9_SG_NS0_5tupleIJPjSI_NS0_16reverse_iteratorISI_EEEEENSH_IJSG_SG_SG_EEES9_SI_JZNS1_25segmented_radix_sort_implINS0_14default_configELb1EPKlPlSQ_SR_N2at6native12_GLOBAL__N_18offset_tEEE10hipError_tPvRmT1_PNSt15iterator_traitsISZ_E10value_typeET2_T3_PNS10_IS15_E10value_typeET4_jRbjT5_S1B_jjP12ihipStream_tbEUljE_ZNSN_ISO_Lb1ESQ_SR_SQ_SR_SV_EESW_SX_SY_SZ_S13_S14_S15_S18_S19_jS1A_jS1B_S1B_jjS1D_bEUljE0_EEESW_SX_SY_S15_S19_S1B_T6_T7_T9_mT8_S1D_bDpT10_ENKUlT_T0_E_clISt17integral_constantIbLb0EES1Q_IbLb1EEEEDaS1M_S1N_EUlS1M_E_NS1_11comp_targetILNS1_3genE9ELNS1_11target_archE1100ELNS1_3gpuE3ELNS1_3repE0EEENS1_30default_config_static_selectorELNS0_4arch9wavefront6targetE0EEEvSZ_
	.p2align	8
	.type	_ZN7rocprim17ROCPRIM_400000_NS6detail17trampoline_kernelINS0_13select_configILj256ELj13ELNS0_17block_load_methodE3ELS4_3ELS4_3ELNS0_20block_scan_algorithmE0ELj4294967295EEENS1_25partition_config_selectorILNS1_17partition_subalgoE4EjNS0_10empty_typeEbEEZZNS1_14partition_implILS8_4ELb0ES6_15HIP_vector_typeIjLj2EENS0_17counting_iteratorIjlEEPS9_SG_NS0_5tupleIJPjSI_NS0_16reverse_iteratorISI_EEEEENSH_IJSG_SG_SG_EEES9_SI_JZNS1_25segmented_radix_sort_implINS0_14default_configELb1EPKlPlSQ_SR_N2at6native12_GLOBAL__N_18offset_tEEE10hipError_tPvRmT1_PNSt15iterator_traitsISZ_E10value_typeET2_T3_PNS10_IS15_E10value_typeET4_jRbjT5_S1B_jjP12ihipStream_tbEUljE_ZNSN_ISO_Lb1ESQ_SR_SQ_SR_SV_EESW_SX_SY_SZ_S13_S14_S15_S18_S19_jS1A_jS1B_S1B_jjS1D_bEUljE0_EEESW_SX_SY_S15_S19_S1B_T6_T7_T9_mT8_S1D_bDpT10_ENKUlT_T0_E_clISt17integral_constantIbLb0EES1Q_IbLb1EEEEDaS1M_S1N_EUlS1M_E_NS1_11comp_targetILNS1_3genE9ELNS1_11target_archE1100ELNS1_3gpuE3ELNS1_3repE0EEENS1_30default_config_static_selectorELNS0_4arch9wavefront6targetE0EEEvSZ_,@function
_ZN7rocprim17ROCPRIM_400000_NS6detail17trampoline_kernelINS0_13select_configILj256ELj13ELNS0_17block_load_methodE3ELS4_3ELS4_3ELNS0_20block_scan_algorithmE0ELj4294967295EEENS1_25partition_config_selectorILNS1_17partition_subalgoE4EjNS0_10empty_typeEbEEZZNS1_14partition_implILS8_4ELb0ES6_15HIP_vector_typeIjLj2EENS0_17counting_iteratorIjlEEPS9_SG_NS0_5tupleIJPjSI_NS0_16reverse_iteratorISI_EEEEENSH_IJSG_SG_SG_EEES9_SI_JZNS1_25segmented_radix_sort_implINS0_14default_configELb1EPKlPlSQ_SR_N2at6native12_GLOBAL__N_18offset_tEEE10hipError_tPvRmT1_PNSt15iterator_traitsISZ_E10value_typeET2_T3_PNS10_IS15_E10value_typeET4_jRbjT5_S1B_jjP12ihipStream_tbEUljE_ZNSN_ISO_Lb1ESQ_SR_SQ_SR_SV_EESW_SX_SY_SZ_S13_S14_S15_S18_S19_jS1A_jS1B_S1B_jjS1D_bEUljE0_EEESW_SX_SY_S15_S19_S1B_T6_T7_T9_mT8_S1D_bDpT10_ENKUlT_T0_E_clISt17integral_constantIbLb0EES1Q_IbLb1EEEEDaS1M_S1N_EUlS1M_E_NS1_11comp_targetILNS1_3genE9ELNS1_11target_archE1100ELNS1_3gpuE3ELNS1_3repE0EEENS1_30default_config_static_selectorELNS0_4arch9wavefront6targetE0EEEvSZ_: ; @_ZN7rocprim17ROCPRIM_400000_NS6detail17trampoline_kernelINS0_13select_configILj256ELj13ELNS0_17block_load_methodE3ELS4_3ELS4_3ELNS0_20block_scan_algorithmE0ELj4294967295EEENS1_25partition_config_selectorILNS1_17partition_subalgoE4EjNS0_10empty_typeEbEEZZNS1_14partition_implILS8_4ELb0ES6_15HIP_vector_typeIjLj2EENS0_17counting_iteratorIjlEEPS9_SG_NS0_5tupleIJPjSI_NS0_16reverse_iteratorISI_EEEEENSH_IJSG_SG_SG_EEES9_SI_JZNS1_25segmented_radix_sort_implINS0_14default_configELb1EPKlPlSQ_SR_N2at6native12_GLOBAL__N_18offset_tEEE10hipError_tPvRmT1_PNSt15iterator_traitsISZ_E10value_typeET2_T3_PNS10_IS15_E10value_typeET4_jRbjT5_S1B_jjP12ihipStream_tbEUljE_ZNSN_ISO_Lb1ESQ_SR_SQ_SR_SV_EESW_SX_SY_SZ_S13_S14_S15_S18_S19_jS1A_jS1B_S1B_jjS1D_bEUljE0_EEESW_SX_SY_S15_S19_S1B_T6_T7_T9_mT8_S1D_bDpT10_ENKUlT_T0_E_clISt17integral_constantIbLb0EES1Q_IbLb1EEEEDaS1M_S1N_EUlS1M_E_NS1_11comp_targetILNS1_3genE9ELNS1_11target_archE1100ELNS1_3gpuE3ELNS1_3repE0EEENS1_30default_config_static_selectorELNS0_4arch9wavefront6targetE0EEEvSZ_
; %bb.0:
	s_clause 0x7
	s_load_b64 s[34:35], s[0:1], 0x10
	s_load_b128 s[28:31], s[0:1], 0x28
	s_load_b64 s[14:15], s[0:1], 0x38
	s_load_b128 s[24:27], s[0:1], 0x58
	s_load_b64 s[4:5], s[0:1], 0x68
	s_load_b64 s[36:37], s[0:1], 0x78
	;; [unrolled: 1-line block ×3, first 2 shown]
	s_load_b256 s[16:23], s[0:1], 0x90
	v_cmp_eq_u32_e64 s2, 0, v0
	s_delay_alu instid0(VALU_DEP_1)
	s_and_saveexec_b32 s3, s2
	s_cbranch_execz .LBB670_4
; %bb.1:
	s_mov_b32 s7, exec_lo
	s_mov_b32 s6, exec_lo
	v_mbcnt_lo_u32_b32 v1, s7, 0
                                        ; implicit-def: $vgpr2
	s_delay_alu instid0(VALU_DEP_1)
	v_cmpx_eq_u32_e32 0, v1
	s_cbranch_execz .LBB670_3
; %bb.2:
	s_load_b64 s[8:9], s[0:1], 0x88
	s_bcnt1_i32_b32 s7, s7
	s_delay_alu instid0(SALU_CYCLE_1)
	v_dual_mov_b32 v2, 0 :: v_dual_mov_b32 v3, s7
	s_waitcnt lgkmcnt(0)
	global_atomic_add_u32 v2, v2, v3, s[8:9] glc
.LBB670_3:
	s_or_b32 exec_lo, exec_lo, s6
	s_waitcnt vmcnt(0)
	v_readfirstlane_b32 s6, v2
	s_delay_alu instid0(VALU_DEP_1)
	v_dual_mov_b32 v2, 0 :: v_dual_add_nc_u32 v1, s6, v1
	ds_store_b32 v2, v1
.LBB670_4:
	s_or_b32 exec_lo, exec_lo, s3
	v_mov_b32_e32 v1, 0
	s_clause 0x1
	s_load_b32 s3, s[0:1], 0x8
	s_load_b32 s0, s[0:1], 0x80
	s_waitcnt lgkmcnt(0)
	s_barrier
	buffer_gl0_inv
	ds_load_b32 v5, v1
	s_waitcnt lgkmcnt(0)
	s_barrier
	buffer_gl0_inv
	global_load_b128 v[1:4], v1, s[26:27]
	s_add_i32 s3, s3, s34
	s_mul_i32 s1, s0, 0xd00
	s_add_i32 s0, s0, -1
	s_add_u32 s6, s34, s1
	s_addc_u32 s7, s35, 0
	v_mul_lo_u32 v30, 0xd00, v5
	v_readfirstlane_b32 s26, v5
	v_cmp_lt_u64_e64 s5, s[6:7], s[4:5]
	v_cmp_ne_u32_e32 vcc_lo, s0, v5
	s_delay_alu instid0(VALU_DEP_3) | instskip(SKIP_1) | instid1(VALU_DEP_4)
	s_cmp_eq_u32 s26, s0
	s_cselect_b32 s13, -1, 0
	v_add3_u32 v5, v30, s3, v0
	s_delay_alu instid0(VALU_DEP_3) | instskip(SKIP_2) | instid1(VALU_DEP_1)
	s_or_b32 s0, s5, vcc_lo
	s_mov_b32 s3, -1
	s_and_b32 vcc_lo, exec_lo, s0
	v_add_nc_u32_e32 v6, 0x100, v5
	v_add_nc_u32_e32 v7, 0x200, v5
	;; [unrolled: 1-line block ×12, first 2 shown]
	s_cbranch_vccz .LBB670_6
; %bb.5:
	v_lshlrev_b32_e32 v18, 2, v0
	s_mov_b32 s3, 0
	ds_store_2addr_stride64_b32 v18, v5, v6 offset1:4
	ds_store_2addr_stride64_b32 v18, v7, v8 offset0:8 offset1:12
	ds_store_2addr_stride64_b32 v18, v9, v10 offset0:16 offset1:20
	;; [unrolled: 1-line block ×5, first 2 shown]
	ds_store_b32 v18, v17 offset:12288
	s_waitcnt vmcnt(0) lgkmcnt(0)
	s_barrier
.LBB670_6:
	s_and_not1_b32 vcc_lo, exec_lo, s3
	s_add_i32 s1, s1, s34
	s_cbranch_vccnz .LBB670_8
; %bb.7:
	v_lshlrev_b32_e32 v18, 2, v0
	ds_store_2addr_stride64_b32 v18, v5, v6 offset1:4
	ds_store_2addr_stride64_b32 v18, v7, v8 offset0:8 offset1:12
	ds_store_2addr_stride64_b32 v18, v9, v10 offset0:16 offset1:20
	ds_store_2addr_stride64_b32 v18, v11, v12 offset0:24 offset1:28
	ds_store_2addr_stride64_b32 v18, v13, v14 offset0:32 offset1:36
	ds_store_2addr_stride64_b32 v18, v15, v16 offset0:40 offset1:44
	ds_store_b32 v18, v17 offset:12288
	s_waitcnt vmcnt(0) lgkmcnt(0)
	s_barrier
.LBB670_8:
	v_mul_u32_u24_e32 v33, 13, v0
	s_waitcnt vmcnt(0)
	buffer_gl0_inv
	v_cndmask_b32_e64 v31, 0, 1, s0
	s_sub_i32 s40, s4, s1
	s_and_not1_b32 vcc_lo, exec_lo, s0
	v_lshlrev_b32_e32 v5, 2, v33
	ds_load_2addr_b32 v[20:21], v5 offset1:1
	ds_load_2addr_b32 v[18:19], v5 offset0:2 offset1:3
	ds_load_2addr_b32 v[16:17], v5 offset0:4 offset1:5
	;; [unrolled: 1-line block ×5, first 2 shown]
	ds_load_b32 v32, v5 offset:48
	s_waitcnt lgkmcnt(0)
	s_barrier
	buffer_gl0_inv
	s_cbranch_vccnz .LBB670_36
; %bb.9:
	v_add_nc_u32_e32 v5, s17, v20
	v_add_nc_u32_e32 v6, s19, v20
	s_mov_b32 s42, 0
	s_mov_b32 s41, 0
	s_mov_b32 s1, exec_lo
	v_mul_lo_u32 v5, v5, s16
	v_mul_lo_u32 v6, v6, s18
	s_delay_alu instid0(VALU_DEP_1) | instskip(NEXT) | instid1(VALU_DEP_1)
	v_sub_nc_u32_e32 v5, v5, v6
	v_cmp_lt_u32_e32 vcc_lo, s20, v5
	v_cmpx_ge_u32_e64 s20, v5
; %bb.10:
	v_add_nc_u32_e32 v5, s22, v20
	v_add_nc_u32_e32 v6, s38, v20
	s_delay_alu instid0(VALU_DEP_2) | instskip(NEXT) | instid1(VALU_DEP_2)
	v_mul_lo_u32 v5, v5, s21
	v_mul_lo_u32 v6, v6, s23
	s_delay_alu instid0(VALU_DEP_1) | instskip(NEXT) | instid1(VALU_DEP_1)
	v_sub_nc_u32_e32 v5, v5, v6
	v_cmp_lt_u32_e64 s0, s39, v5
	s_delay_alu instid0(VALU_DEP_1)
	s_and_b32 s41, s0, exec_lo
; %bb.11:
	s_or_b32 exec_lo, exec_lo, s1
	v_add_nc_u32_e32 v5, s17, v21
	v_add_nc_u32_e32 v6, s19, v21
	s_mov_b32 s3, exec_lo
	s_delay_alu instid0(VALU_DEP_2) | instskip(NEXT) | instid1(VALU_DEP_2)
	v_mul_lo_u32 v5, v5, s16
	v_mul_lo_u32 v6, v6, s18
	s_delay_alu instid0(VALU_DEP_1) | instskip(NEXT) | instid1(VALU_DEP_1)
	v_sub_nc_u32_e32 v5, v5, v6
	v_cmp_lt_u32_e64 s0, s20, v5
	v_cmpx_ge_u32_e64 s20, v5
; %bb.12:
	v_add_nc_u32_e32 v5, s22, v21
	v_add_nc_u32_e32 v6, s38, v21
	s_delay_alu instid0(VALU_DEP_2) | instskip(NEXT) | instid1(VALU_DEP_2)
	v_mul_lo_u32 v5, v5, s21
	v_mul_lo_u32 v6, v6, s23
	s_delay_alu instid0(VALU_DEP_1) | instskip(NEXT) | instid1(VALU_DEP_1)
	v_sub_nc_u32_e32 v5, v5, v6
	v_cmp_lt_u32_e64 s1, s39, v5
	s_delay_alu instid0(VALU_DEP_1)
	s_and_b32 s42, s1, exec_lo
; %bb.13:
	s_or_b32 exec_lo, exec_lo, s3
	v_add_nc_u32_e32 v5, s17, v18
	v_add_nc_u32_e32 v6, s19, v18
	s_mov_b32 s44, 0
	s_mov_b32 s43, 0
	s_mov_b32 s4, exec_lo
	v_mul_lo_u32 v5, v5, s16
	v_mul_lo_u32 v6, v6, s18
	s_delay_alu instid0(VALU_DEP_1) | instskip(NEXT) | instid1(VALU_DEP_1)
	v_sub_nc_u32_e32 v5, v5, v6
	v_cmp_lt_u32_e64 s1, s20, v5
	v_cmpx_ge_u32_e64 s20, v5
; %bb.14:
	v_add_nc_u32_e32 v5, s22, v18
	v_add_nc_u32_e32 v6, s38, v18
	s_delay_alu instid0(VALU_DEP_2) | instskip(NEXT) | instid1(VALU_DEP_2)
	v_mul_lo_u32 v5, v5, s21
	v_mul_lo_u32 v6, v6, s23
	s_delay_alu instid0(VALU_DEP_1) | instskip(NEXT) | instid1(VALU_DEP_1)
	v_sub_nc_u32_e32 v5, v5, v6
	v_cmp_lt_u32_e64 s3, s39, v5
	s_delay_alu instid0(VALU_DEP_1)
	s_and_b32 s43, s3, exec_lo
; %bb.15:
	s_or_b32 exec_lo, exec_lo, s4
	v_add_nc_u32_e32 v5, s17, v19
	v_add_nc_u32_e32 v6, s19, v19
	s_mov_b32 s5, exec_lo
	s_delay_alu instid0(VALU_DEP_2) | instskip(NEXT) | instid1(VALU_DEP_2)
	v_mul_lo_u32 v5, v5, s16
	v_mul_lo_u32 v6, v6, s18
	s_delay_alu instid0(VALU_DEP_1) | instskip(NEXT) | instid1(VALU_DEP_1)
	v_sub_nc_u32_e32 v5, v5, v6
	v_cmp_lt_u32_e64 s3, s20, v5
	v_cmpx_ge_u32_e64 s20, v5
; %bb.16:
	v_add_nc_u32_e32 v5, s22, v19
	v_add_nc_u32_e32 v6, s38, v19
	s_delay_alu instid0(VALU_DEP_2) | instskip(NEXT) | instid1(VALU_DEP_2)
	v_mul_lo_u32 v5, v5, s21
	v_mul_lo_u32 v6, v6, s23
	s_delay_alu instid0(VALU_DEP_1) | instskip(NEXT) | instid1(VALU_DEP_1)
	v_sub_nc_u32_e32 v5, v5, v6
	v_cmp_lt_u32_e64 s4, s39, v5
	s_delay_alu instid0(VALU_DEP_1)
	s_and_b32 s44, s4, exec_lo
; %bb.17:
	s_or_b32 exec_lo, exec_lo, s5
	v_add_nc_u32_e32 v5, s17, v16
	v_add_nc_u32_e32 v6, s19, v16
	s_mov_b32 s46, 0
	s_mov_b32 s45, 0
	s_mov_b32 s6, exec_lo
	v_mul_lo_u32 v5, v5, s16
	v_mul_lo_u32 v6, v6, s18
	s_delay_alu instid0(VALU_DEP_1) | instskip(NEXT) | instid1(VALU_DEP_1)
	v_sub_nc_u32_e32 v5, v5, v6
	v_cmp_lt_u32_e64 s4, s20, v5
	;; [unrolled: 47-line block ×5, first 2 shown]
	v_cmpx_ge_u32_e64 s20, v5
; %bb.30:
	v_add_nc_u32_e32 v5, s22, v10
	v_add_nc_u32_e32 v6, s38, v10
	s_delay_alu instid0(VALU_DEP_2) | instskip(NEXT) | instid1(VALU_DEP_2)
	v_mul_lo_u32 v5, v5, s21
	v_mul_lo_u32 v6, v6, s23
	s_delay_alu instid0(VALU_DEP_1) | instskip(NEXT) | instid1(VALU_DEP_1)
	v_sub_nc_u32_e32 v5, v5, v6
	v_cmp_lt_u32_e64 s11, s39, v5
	s_delay_alu instid0(VALU_DEP_1)
	s_and_b32 s53, s11, exec_lo
; %bb.31:
	s_or_b32 exec_lo, exec_lo, s12
	v_add_nc_u32_e32 v5, s17, v11
	v_add_nc_u32_e32 v6, s19, v11
	s_mov_b32 s27, exec_lo
	s_delay_alu instid0(VALU_DEP_2) | instskip(NEXT) | instid1(VALU_DEP_2)
	v_mul_lo_u32 v5, v5, s16
	v_mul_lo_u32 v6, v6, s18
	s_delay_alu instid0(VALU_DEP_1) | instskip(NEXT) | instid1(VALU_DEP_1)
	v_sub_nc_u32_e32 v5, v5, v6
	v_cmp_lt_u32_e64 s11, s20, v5
	v_cmpx_ge_u32_e64 s20, v5
; %bb.32:
	v_add_nc_u32_e32 v5, s22, v11
	v_add_nc_u32_e32 v6, s38, v11
	s_delay_alu instid0(VALU_DEP_2) | instskip(NEXT) | instid1(VALU_DEP_2)
	v_mul_lo_u32 v5, v5, s21
	v_mul_lo_u32 v6, v6, s23
	s_delay_alu instid0(VALU_DEP_1) | instskip(NEXT) | instid1(VALU_DEP_1)
	v_sub_nc_u32_e32 v5, v5, v6
	v_cmp_lt_u32_e64 s12, s39, v5
	s_delay_alu instid0(VALU_DEP_1)
	s_and_b32 s52, s12, exec_lo
; %bb.33:
	s_or_b32 exec_lo, exec_lo, s27
	v_add_nc_u32_e32 v5, s17, v32
	v_add_nc_u32_e32 v6, s19, v32
	s_mov_b32 s27, -1
	s_mov_b32 s49, 0
	s_mov_b32 s33, 0
	v_mul_lo_u32 v5, v5, s16
	v_mul_lo_u32 v6, v6, s18
	s_mov_b32 s54, exec_lo
	s_delay_alu instid0(VALU_DEP_1) | instskip(NEXT) | instid1(VALU_DEP_1)
	v_sub_nc_u32_e32 v5, v5, v6
	v_cmpx_ge_u32_e64 s20, v5
; %bb.34:
	v_add_nc_u32_e32 v5, s22, v32
	v_add_nc_u32_e32 v6, s38, v32
	s_xor_b32 s27, exec_lo, -1
	s_delay_alu instid0(VALU_DEP_2) | instskip(NEXT) | instid1(VALU_DEP_2)
	v_mul_lo_u32 v5, v5, s21
	v_mul_lo_u32 v6, v6, s23
	s_delay_alu instid0(VALU_DEP_1) | instskip(NEXT) | instid1(VALU_DEP_1)
	v_sub_nc_u32_e32 v5, v5, v6
	v_cmp_lt_u32_e64 s12, s39, v5
	s_delay_alu instid0(VALU_DEP_1)
	s_and_b32 s33, s12, exec_lo
; %bb.35:
	s_or_b32 exec_lo, exec_lo, s54
	v_cndmask_b32_e64 v53, 0, 1, s53
	v_cndmask_b32_e64 v56, 0, 1, s11
	v_cndmask_b32_e64 v52, 0, 1, s51
	v_cndmask_b32_e64 v55, 0, 1, s10
	v_cndmask_b32_e64 v50, 0, 1, s50
	v_cndmask_b32_e64 v54, 0, 1, s9
	v_cndmask_b32_e64 v48, 0, 1, s48
	v_cndmask_b32_e64 v51, 0, 1, s8
	v_cndmask_b32_e64 v46, 0, 1, s47
	v_cndmask_b32_e64 v49, 0, 1, s7
	v_cndmask_b32_e64 v44, 0, 1, s46
	v_cndmask_b32_e64 v47, 0, 1, s6
	v_cndmask_b32_e64 v42, 0, 1, s45
	v_cndmask_b32_e64 v45, 0, 1, s5
	v_cndmask_b32_e64 v39, 0, 1, s44
	v_cndmask_b32_e64 v43, 0, 1, s4
	v_cndmask_b32_e64 v38, 0, 1, s43
	v_cndmask_b32_e64 v41, 0, 1, s3
	v_cndmask_b32_e64 v40, 0, 1, s42
	v_cndmask_b32_e64 v36, 0, 1, s1
	v_cndmask_b32_e64 v35, 0, 1, s41
	v_cndmask_b32_e64 v37, 0, 1, s0
	v_cndmask_b32_e64 v34, 0, 1, vcc_lo
	v_cndmask_b32_e64 v57, 0, 1, s52
	s_and_b32 vcc_lo, exec_lo, s49
	s_add_i32 s4, s40, 0xd00
	s_cbranch_vccnz .LBB670_37
	s_branch .LBB670_90
.LBB670_36:
                                        ; implicit-def: $sgpr27
                                        ; implicit-def: $sgpr33
                                        ; implicit-def: $vgpr57
                                        ; implicit-def: $vgpr53
                                        ; implicit-def: $vgpr52
                                        ; implicit-def: $vgpr50
                                        ; implicit-def: $vgpr48
                                        ; implicit-def: $vgpr46
                                        ; implicit-def: $vgpr44
                                        ; implicit-def: $vgpr42
                                        ; implicit-def: $vgpr39
                                        ; implicit-def: $vgpr34
                                        ; implicit-def: $vgpr37
                                        ; implicit-def: $vgpr36
                                        ; implicit-def: $vgpr41
                                        ; implicit-def: $vgpr43
                                        ; implicit-def: $vgpr45
                                        ; implicit-def: $vgpr47
                                        ; implicit-def: $vgpr49
                                        ; implicit-def: $vgpr51
                                        ; implicit-def: $vgpr54
                                        ; implicit-def: $vgpr55
                                        ; implicit-def: $vgpr56
                                        ; implicit-def: $vgpr35
                                        ; implicit-def: $vgpr40
                                        ; implicit-def: $vgpr38
	s_add_i32 s4, s40, 0xd00
	s_cbranch_execz .LBB670_90
.LBB670_37:
	v_dual_mov_b32 v35, 0 :: v_dual_mov_b32 v34, 0
	s_mov_b32 s3, 0
	s_mov_b32 s1, exec_lo
	v_cmpx_gt_u32_e64 s4, v33
	s_cbranch_execz .LBB670_41
; %bb.38:
	v_add_nc_u32_e32 v5, s17, v20
	v_add_nc_u32_e32 v6, s19, v20
	s_mov_b32 s5, exec_lo
	s_delay_alu instid0(VALU_DEP_2) | instskip(NEXT) | instid1(VALU_DEP_2)
	v_mul_lo_u32 v5, v5, s16
	v_mul_lo_u32 v6, v6, s18
	s_delay_alu instid0(VALU_DEP_1) | instskip(NEXT) | instid1(VALU_DEP_1)
	v_sub_nc_u32_e32 v5, v5, v6
	v_cmp_lt_u32_e32 vcc_lo, s20, v5
	v_cmpx_ge_u32_e64 s20, v5
; %bb.39:
	v_add_nc_u32_e32 v5, s22, v20
	v_add_nc_u32_e32 v6, s38, v20
	s_delay_alu instid0(VALU_DEP_2) | instskip(NEXT) | instid1(VALU_DEP_2)
	v_mul_lo_u32 v5, v5, s21
	v_mul_lo_u32 v6, v6, s23
	s_delay_alu instid0(VALU_DEP_1) | instskip(NEXT) | instid1(VALU_DEP_1)
	v_sub_nc_u32_e32 v5, v5, v6
	v_cmp_lt_u32_e64 s0, s39, v5
	s_delay_alu instid0(VALU_DEP_1)
	s_and_b32 s3, s0, exec_lo
; %bb.40:
	s_or_b32 exec_lo, exec_lo, s5
	v_cndmask_b32_e64 v34, 0, 1, vcc_lo
	v_cndmask_b32_e64 v35, 0, 1, s3
.LBB670_41:
	s_or_b32 exec_lo, exec_lo, s1
	v_dual_mov_b32 v40, 0 :: v_dual_add_nc_u32 v5, 1, v33
	v_mov_b32_e32 v37, 0
	s_mov_b32 s3, 0
	s_mov_b32 s1, exec_lo
	s_delay_alu instid0(VALU_DEP_2)
	v_cmpx_gt_u32_e64 s4, v5
	s_cbranch_execz .LBB670_45
; %bb.42:
	v_add_nc_u32_e32 v5, s17, v21
	v_add_nc_u32_e32 v6, s19, v21
	s_mov_b32 s5, exec_lo
	s_delay_alu instid0(VALU_DEP_2) | instskip(NEXT) | instid1(VALU_DEP_2)
	v_mul_lo_u32 v5, v5, s16
	v_mul_lo_u32 v6, v6, s18
	s_delay_alu instid0(VALU_DEP_1) | instskip(NEXT) | instid1(VALU_DEP_1)
	v_sub_nc_u32_e32 v5, v5, v6
	v_cmp_lt_u32_e32 vcc_lo, s20, v5
	v_cmpx_ge_u32_e64 s20, v5
; %bb.43:
	v_add_nc_u32_e32 v5, s22, v21
	v_add_nc_u32_e32 v6, s38, v21
	s_delay_alu instid0(VALU_DEP_2) | instskip(NEXT) | instid1(VALU_DEP_2)
	v_mul_lo_u32 v5, v5, s21
	v_mul_lo_u32 v6, v6, s23
	s_delay_alu instid0(VALU_DEP_1) | instskip(NEXT) | instid1(VALU_DEP_1)
	v_sub_nc_u32_e32 v5, v5, v6
	v_cmp_lt_u32_e64 s0, s39, v5
	s_delay_alu instid0(VALU_DEP_1)
	s_and_b32 s3, s0, exec_lo
; %bb.44:
	s_or_b32 exec_lo, exec_lo, s5
	v_cndmask_b32_e64 v37, 0, 1, vcc_lo
	v_cndmask_b32_e64 v40, 0, 1, s3
.LBB670_45:
	s_or_b32 exec_lo, exec_lo, s1
	v_dual_mov_b32 v36, 0 :: v_dual_add_nc_u32 v5, 2, v33
	v_mov_b32_e32 v38, 0
	s_mov_b32 s3, 0
	s_mov_b32 s1, exec_lo
	s_delay_alu instid0(VALU_DEP_2)
	v_cmpx_gt_u32_e64 s4, v5
	s_cbranch_execz .LBB670_49
; %bb.46:
	v_add_nc_u32_e32 v5, s17, v18
	v_add_nc_u32_e32 v6, s19, v18
	s_mov_b32 s5, exec_lo
	s_delay_alu instid0(VALU_DEP_2) | instskip(NEXT) | instid1(VALU_DEP_2)
	v_mul_lo_u32 v5, v5, s16
	v_mul_lo_u32 v6, v6, s18
	s_delay_alu instid0(VALU_DEP_1) | instskip(NEXT) | instid1(VALU_DEP_1)
	v_sub_nc_u32_e32 v5, v5, v6
	v_cmp_lt_u32_e32 vcc_lo, s20, v5
	v_cmpx_ge_u32_e64 s20, v5
; %bb.47:
	v_add_nc_u32_e32 v5, s22, v18
	v_add_nc_u32_e32 v6, s38, v18
	s_delay_alu instid0(VALU_DEP_2) | instskip(NEXT) | instid1(VALU_DEP_2)
	v_mul_lo_u32 v5, v5, s21
	v_mul_lo_u32 v6, v6, s23
	s_delay_alu instid0(VALU_DEP_1) | instskip(NEXT) | instid1(VALU_DEP_1)
	v_sub_nc_u32_e32 v5, v5, v6
	v_cmp_lt_u32_e64 s0, s39, v5
	s_delay_alu instid0(VALU_DEP_1)
	s_and_b32 s3, s0, exec_lo
; %bb.48:
	s_or_b32 exec_lo, exec_lo, s5
	v_cndmask_b32_e64 v36, 0, 1, vcc_lo
	v_cndmask_b32_e64 v38, 0, 1, s3
.LBB670_49:
	s_or_b32 exec_lo, exec_lo, s1
	v_add_nc_u32_e32 v5, 3, v33
	v_mov_b32_e32 v39, 0
	v_mov_b32_e32 v41, 0
	s_mov_b32 s3, 0
	s_mov_b32 s1, exec_lo
	v_cmpx_gt_u32_e64 s4, v5
	s_cbranch_execz .LBB670_53
; %bb.50:
	v_add_nc_u32_e32 v5, s17, v19
	v_add_nc_u32_e32 v6, s19, v19
	s_mov_b32 s5, exec_lo
	s_delay_alu instid0(VALU_DEP_2) | instskip(NEXT) | instid1(VALU_DEP_2)
	v_mul_lo_u32 v5, v5, s16
	v_mul_lo_u32 v6, v6, s18
	s_delay_alu instid0(VALU_DEP_1) | instskip(NEXT) | instid1(VALU_DEP_1)
	v_sub_nc_u32_e32 v5, v5, v6
	v_cmp_lt_u32_e32 vcc_lo, s20, v5
	v_cmpx_ge_u32_e64 s20, v5
; %bb.51:
	v_add_nc_u32_e32 v5, s22, v19
	v_add_nc_u32_e32 v6, s38, v19
	s_delay_alu instid0(VALU_DEP_2) | instskip(NEXT) | instid1(VALU_DEP_2)
	v_mul_lo_u32 v5, v5, s21
	v_mul_lo_u32 v6, v6, s23
	s_delay_alu instid0(VALU_DEP_1) | instskip(NEXT) | instid1(VALU_DEP_1)
	v_sub_nc_u32_e32 v5, v5, v6
	v_cmp_lt_u32_e64 s0, s39, v5
	s_delay_alu instid0(VALU_DEP_1)
	s_and_b32 s3, s0, exec_lo
; %bb.52:
	s_or_b32 exec_lo, exec_lo, s5
	v_cndmask_b32_e64 v41, 0, 1, vcc_lo
	v_cndmask_b32_e64 v39, 0, 1, s3
.LBB670_53:
	s_or_b32 exec_lo, exec_lo, s1
	v_dual_mov_b32 v42, 0 :: v_dual_add_nc_u32 v5, 4, v33
	v_mov_b32_e32 v43, 0
	s_mov_b32 s3, 0
	s_mov_b32 s1, exec_lo
	s_delay_alu instid0(VALU_DEP_2)
	v_cmpx_gt_u32_e64 s4, v5
	s_cbranch_execz .LBB670_57
; %bb.54:
	v_add_nc_u32_e32 v5, s17, v16
	v_add_nc_u32_e32 v6, s19, v16
	s_mov_b32 s5, exec_lo
	s_delay_alu instid0(VALU_DEP_2) | instskip(NEXT) | instid1(VALU_DEP_2)
	v_mul_lo_u32 v5, v5, s16
	v_mul_lo_u32 v6, v6, s18
	s_delay_alu instid0(VALU_DEP_1) | instskip(NEXT) | instid1(VALU_DEP_1)
	v_sub_nc_u32_e32 v5, v5, v6
	v_cmp_lt_u32_e32 vcc_lo, s20, v5
	v_cmpx_ge_u32_e64 s20, v5
; %bb.55:
	v_add_nc_u32_e32 v5, s22, v16
	v_add_nc_u32_e32 v6, s38, v16
	s_delay_alu instid0(VALU_DEP_2) | instskip(NEXT) | instid1(VALU_DEP_2)
	v_mul_lo_u32 v5, v5, s21
	v_mul_lo_u32 v6, v6, s23
	s_delay_alu instid0(VALU_DEP_1) | instskip(NEXT) | instid1(VALU_DEP_1)
	v_sub_nc_u32_e32 v5, v5, v6
	v_cmp_lt_u32_e64 s0, s39, v5
	s_delay_alu instid0(VALU_DEP_1)
	s_and_b32 s3, s0, exec_lo
; %bb.56:
	s_or_b32 exec_lo, exec_lo, s5
	v_cndmask_b32_e64 v43, 0, 1, vcc_lo
	v_cndmask_b32_e64 v42, 0, 1, s3
.LBB670_57:
	s_or_b32 exec_lo, exec_lo, s1
	v_dual_mov_b32 v44, 0 :: v_dual_add_nc_u32 v5, 5, v33
	v_mov_b32_e32 v45, 0
	s_mov_b32 s3, 0
	s_mov_b32 s1, exec_lo
	s_delay_alu instid0(VALU_DEP_2)
	;; [unrolled: 35-line block ×6, first 2 shown]
	v_cmpx_gt_u32_e64 s4, v5
	s_cbranch_execz .LBB670_77
; %bb.74:
	v_add_nc_u32_e32 v5, s17, v13
	v_add_nc_u32_e32 v6, s19, v13
	s_mov_b32 s5, exec_lo
	s_delay_alu instid0(VALU_DEP_2) | instskip(NEXT) | instid1(VALU_DEP_2)
	v_mul_lo_u32 v5, v5, s16
	v_mul_lo_u32 v6, v6, s18
	s_delay_alu instid0(VALU_DEP_1) | instskip(NEXT) | instid1(VALU_DEP_1)
	v_sub_nc_u32_e32 v5, v5, v6
	v_cmp_lt_u32_e32 vcc_lo, s20, v5
	v_cmpx_ge_u32_e64 s20, v5
; %bb.75:
	v_add_nc_u32_e32 v5, s22, v13
	v_add_nc_u32_e32 v6, s38, v13
	s_delay_alu instid0(VALU_DEP_2) | instskip(NEXT) | instid1(VALU_DEP_2)
	v_mul_lo_u32 v5, v5, s21
	v_mul_lo_u32 v6, v6, s23
	s_delay_alu instid0(VALU_DEP_1) | instskip(NEXT) | instid1(VALU_DEP_1)
	v_sub_nc_u32_e32 v5, v5, v6
	v_cmp_lt_u32_e64 s0, s39, v5
	s_delay_alu instid0(VALU_DEP_1)
	s_and_b32 s3, s0, exec_lo
; %bb.76:
	s_or_b32 exec_lo, exec_lo, s5
	v_cndmask_b32_e64 v54, 0, 1, vcc_lo
	v_cndmask_b32_e64 v52, 0, 1, s3
.LBB670_77:
	s_or_b32 exec_lo, exec_lo, s1
	v_add_nc_u32_e32 v5, 10, v33
	v_mov_b32_e32 v53, 0
	v_mov_b32_e32 v55, 0
	s_mov_b32 s3, 0
	s_mov_b32 s1, exec_lo
	v_cmpx_gt_u32_e64 s4, v5
	s_cbranch_execz .LBB670_81
; %bb.78:
	v_add_nc_u32_e32 v5, s17, v10
	v_add_nc_u32_e32 v6, s19, v10
	s_mov_b32 s5, exec_lo
	s_delay_alu instid0(VALU_DEP_2) | instskip(NEXT) | instid1(VALU_DEP_2)
	v_mul_lo_u32 v5, v5, s16
	v_mul_lo_u32 v6, v6, s18
	s_delay_alu instid0(VALU_DEP_1) | instskip(NEXT) | instid1(VALU_DEP_1)
	v_sub_nc_u32_e32 v5, v5, v6
	v_cmp_lt_u32_e32 vcc_lo, s20, v5
	v_cmpx_ge_u32_e64 s20, v5
; %bb.79:
	v_add_nc_u32_e32 v5, s22, v10
	v_add_nc_u32_e32 v6, s38, v10
	s_delay_alu instid0(VALU_DEP_2) | instskip(NEXT) | instid1(VALU_DEP_2)
	v_mul_lo_u32 v5, v5, s21
	v_mul_lo_u32 v6, v6, s23
	s_delay_alu instid0(VALU_DEP_1) | instskip(NEXT) | instid1(VALU_DEP_1)
	v_sub_nc_u32_e32 v5, v5, v6
	v_cmp_lt_u32_e64 s0, s39, v5
	s_delay_alu instid0(VALU_DEP_1)
	s_and_b32 s3, s0, exec_lo
; %bb.80:
	s_or_b32 exec_lo, exec_lo, s5
	v_cndmask_b32_e64 v55, 0, 1, vcc_lo
	v_cndmask_b32_e64 v53, 0, 1, s3
.LBB670_81:
	s_or_b32 exec_lo, exec_lo, s1
	v_dual_mov_b32 v56, 0 :: v_dual_add_nc_u32 v5, 11, v33
	v_mov_b32_e32 v57, 0
	s_mov_b32 s3, 0
	s_mov_b32 s1, exec_lo
	s_delay_alu instid0(VALU_DEP_2)
	v_cmpx_gt_u32_e64 s4, v5
	s_cbranch_execz .LBB670_85
; %bb.82:
	v_add_nc_u32_e32 v5, s17, v11
	v_add_nc_u32_e32 v6, s19, v11
	s_mov_b32 s5, exec_lo
	s_delay_alu instid0(VALU_DEP_2) | instskip(NEXT) | instid1(VALU_DEP_2)
	v_mul_lo_u32 v5, v5, s16
	v_mul_lo_u32 v6, v6, s18
	s_delay_alu instid0(VALU_DEP_1) | instskip(NEXT) | instid1(VALU_DEP_1)
	v_sub_nc_u32_e32 v5, v5, v6
	v_cmp_lt_u32_e32 vcc_lo, s20, v5
	v_cmpx_ge_u32_e64 s20, v5
; %bb.83:
	v_add_nc_u32_e32 v5, s22, v11
	v_add_nc_u32_e32 v6, s38, v11
	s_delay_alu instid0(VALU_DEP_2) | instskip(NEXT) | instid1(VALU_DEP_2)
	v_mul_lo_u32 v5, v5, s21
	v_mul_lo_u32 v6, v6, s23
	s_delay_alu instid0(VALU_DEP_1) | instskip(NEXT) | instid1(VALU_DEP_1)
	v_sub_nc_u32_e32 v5, v5, v6
	v_cmp_lt_u32_e64 s0, s39, v5
	s_delay_alu instid0(VALU_DEP_1)
	s_and_b32 s3, s0, exec_lo
; %bb.84:
	s_or_b32 exec_lo, exec_lo, s5
	v_cndmask_b32_e64 v56, 0, 1, vcc_lo
	v_cndmask_b32_e64 v57, 0, 1, s3
.LBB670_85:
	s_or_b32 exec_lo, exec_lo, s1
	v_add_nc_u32_e32 v5, 12, v33
	s_mov_b32 s27, 0
	s_mov_b32 s33, 0
	s_mov_b32 s0, exec_lo
	s_delay_alu instid0(VALU_DEP_1)
	v_cmpx_gt_u32_e64 s4, v5
	s_cbranch_execz .LBB670_89
; %bb.86:
	v_add_nc_u32_e32 v5, s17, v32
	v_add_nc_u32_e32 v6, s19, v32
	s_mov_b32 s3, -1
	s_mov_b32 s5, 0
	s_mov_b32 s1, exec_lo
	v_mul_lo_u32 v5, v5, s16
	v_mul_lo_u32 v6, v6, s18
	s_delay_alu instid0(VALU_DEP_1) | instskip(NEXT) | instid1(VALU_DEP_1)
	v_sub_nc_u32_e32 v5, v5, v6
	v_cmpx_ge_u32_e64 s20, v5
; %bb.87:
	v_add_nc_u32_e32 v5, s22, v32
	v_add_nc_u32_e32 v6, s38, v32
	s_xor_b32 s3, exec_lo, -1
	s_delay_alu instid0(VALU_DEP_2) | instskip(NEXT) | instid1(VALU_DEP_2)
	v_mul_lo_u32 v5, v5, s21
	v_mul_lo_u32 v6, v6, s23
	s_delay_alu instid0(VALU_DEP_1) | instskip(NEXT) | instid1(VALU_DEP_1)
	v_sub_nc_u32_e32 v5, v5, v6
	v_cmp_lt_u32_e32 vcc_lo, s39, v5
	s_and_b32 s5, vcc_lo, exec_lo
; %bb.88:
	s_or_b32 exec_lo, exec_lo, s1
	s_delay_alu instid0(SALU_CYCLE_1)
	s_and_b32 s33, s5, exec_lo
	s_and_b32 s27, s3, exec_lo
.LBB670_89:
	s_or_b32 exec_lo, exec_lo, s0
.LBB670_90:
	v_and_b32_e32 v80, 0xff, v34
	v_and_b32_e32 v81, 0xff, v35
	;; [unrolled: 1-line block ×10, first 2 shown]
	v_add3_u32 v5, v76, v78, v80
	v_add3_u32 v6, v77, v79, v81
	v_and_b32_e32 v70, 0xff, v45
	v_and_b32_e32 v71, 0xff, v44
	v_and_b32_e32 v64, 0xff, v47
	v_and_b32_e32 v65, 0xff, v46
	v_add3_u32 v5, v5, v74, v72
	v_add3_u32 v6, v6, v75, v73
	v_and_b32_e32 v68, 0xff, v49
	v_and_b32_e32 v69, 0xff, v48
	v_and_b32_e32 v66, 0xff, v51
	v_and_b32_e32 v67, 0xff, v50
	;; [unrolled: 6-line block ×3, first 2 shown]
	v_add3_u32 v5, v5, v68, v66
	v_add3_u32 v6, v6, v69, v67
	v_mbcnt_lo_u32_b32 v82, -1, 0
	v_and_b32_e32 v58, 0xff, v56
	v_and_b32_e32 v59, 0xff, v57
	v_cndmask_b32_e64 v7, 0, 1, s33
	v_add3_u32 v5, v5, v61, v60
	v_cndmask_b32_e64 v8, 0, 1, s27
	v_add3_u32 v6, v6, v62, v63
	v_and_b32_e32 v86, 15, v82
	v_and_b32_e32 v85, 16, v82
	v_lshrrev_b32_e32 v83, 5, v0
	v_add3_u32 v87, v5, v58, v8
	v_add3_u32 v88, v6, v59, v7
	v_cmp_eq_u32_e64 s1, 0, v86
	v_cmp_lt_u32_e64 s0, 1, v86
	v_cmp_lt_u32_e64 s3, 3, v86
	v_cmp_lt_u32_e32 vcc_lo, 7, v86
	v_or_b32_e32 v84, 31, v0
	s_cmp_lg_u32 s26, 0
	s_mov_b32 s5, -1
	s_cbranch_scc0 .LBB670_118
; %bb.91:
	v_mov_b32_dpp v5, v88 row_shr:1 row_mask:0xf bank_mask:0xf
	v_mov_b32_dpp v6, v87 row_shr:1 row_mask:0xf bank_mask:0xf
	s_delay_alu instid0(VALU_DEP_2) | instskip(NEXT) | instid1(VALU_DEP_2)
	v_add_nc_u32_e32 v5, v5, v88
	v_add_nc_u32_e32 v6, v6, v87
	s_delay_alu instid0(VALU_DEP_2) | instskip(NEXT) | instid1(VALU_DEP_2)
	v_cndmask_b32_e64 v5, v5, v88, s1
	v_cndmask_b32_e64 v6, v6, v87, s1
	s_delay_alu instid0(VALU_DEP_2) | instskip(NEXT) | instid1(VALU_DEP_2)
	v_mov_b32_dpp v7, v5 row_shr:2 row_mask:0xf bank_mask:0xf
	v_mov_b32_dpp v8, v6 row_shr:2 row_mask:0xf bank_mask:0xf
	s_delay_alu instid0(VALU_DEP_2) | instskip(NEXT) | instid1(VALU_DEP_1)
	v_add_nc_u32_e32 v7, v5, v7
	v_cndmask_b32_e64 v5, v5, v7, s0
	s_delay_alu instid0(VALU_DEP_1) | instskip(NEXT) | instid1(VALU_DEP_1)
	v_mov_b32_dpp v7, v5 row_shr:4 row_mask:0xf bank_mask:0xf
	v_add_nc_u32_e32 v7, v5, v7
	s_delay_alu instid0(VALU_DEP_1) | instskip(NEXT) | instid1(VALU_DEP_1)
	v_cndmask_b32_e64 v5, v5, v7, s3
	v_mov_b32_dpp v7, v5 row_shr:8 row_mask:0xf bank_mask:0xf
	s_delay_alu instid0(VALU_DEP_1) | instskip(NEXT) | instid1(VALU_DEP_1)
	v_add_nc_u32_e32 v7, v5, v7
	v_dual_cndmask_b32 v5, v5, v7 :: v_dual_add_nc_u32 v8, v6, v8
	s_delay_alu instid0(VALU_DEP_1) | instskip(NEXT) | instid1(VALU_DEP_1)
	v_cndmask_b32_e64 v6, v6, v8, s0
	v_mov_b32_dpp v8, v6 row_shr:4 row_mask:0xf bank_mask:0xf
	s_delay_alu instid0(VALU_DEP_1) | instskip(NEXT) | instid1(VALU_DEP_1)
	v_add_nc_u32_e32 v8, v6, v8
	v_cndmask_b32_e64 v6, v6, v8, s3
	s_mov_b32 s3, exec_lo
	s_delay_alu instid0(VALU_DEP_1) | instskip(NEXT) | instid1(VALU_DEP_1)
	v_mov_b32_dpp v8, v6 row_shr:8 row_mask:0xf bank_mask:0xf
	v_add_nc_u32_e32 v8, v6, v8
	s_delay_alu instid0(VALU_DEP_1)
	v_cndmask_b32_e32 v7, v6, v8, vcc_lo
	ds_swizzle_b32 v6, v5 offset:swizzle(BROADCAST,32,15)
	v_cmp_eq_u32_e32 vcc_lo, 0, v85
	s_waitcnt lgkmcnt(0)
	v_add_nc_u32_e32 v6, v5, v6
	ds_swizzle_b32 v8, v7 offset:swizzle(BROADCAST,32,15)
	v_cndmask_b32_e32 v6, v6, v5, vcc_lo
	s_waitcnt lgkmcnt(0)
	v_add_nc_u32_e32 v8, v7, v8
	s_delay_alu instid0(VALU_DEP_1)
	v_cndmask_b32_e32 v5, v8, v7, vcc_lo
	v_cmpx_eq_u32_e64 v84, v0
	s_cbranch_execz .LBB670_93
; %bb.92:
	v_lshlrev_b32_e32 v7, 3, v83
	ds_store_b64 v7, v[5:6]
.LBB670_93:
	s_or_b32 exec_lo, exec_lo, s3
	s_delay_alu instid0(SALU_CYCLE_1)
	s_mov_b32 s3, exec_lo
	s_waitcnt lgkmcnt(0)
	s_barrier
	buffer_gl0_inv
	v_cmpx_gt_u32_e32 8, v0
	s_cbranch_execz .LBB670_95
; %bb.94:
	v_lshlrev_b32_e32 v9, 3, v0
	ds_load_b64 v[7:8], v9
	s_waitcnt lgkmcnt(0)
	v_mov_b32_dpp v22, v7 row_shr:1 row_mask:0xf bank_mask:0xf
	v_mov_b32_dpp v23, v8 row_shr:1 row_mask:0xf bank_mask:0xf
	s_delay_alu instid0(VALU_DEP_2) | instskip(SKIP_1) | instid1(VALU_DEP_3)
	v_add_nc_u32_e32 v22, v22, v7
	v_and_b32_e32 v24, 7, v82
	v_add_nc_u32_e32 v23, v23, v8
	s_delay_alu instid0(VALU_DEP_2) | instskip(NEXT) | instid1(VALU_DEP_2)
	v_cmp_eq_u32_e32 vcc_lo, 0, v24
	v_dual_cndmask_b32 v8, v23, v8 :: v_dual_cndmask_b32 v7, v22, v7
	v_cmp_lt_u32_e32 vcc_lo, 1, v24
	s_delay_alu instid0(VALU_DEP_2) | instskip(NEXT) | instid1(VALU_DEP_3)
	v_mov_b32_dpp v23, v8 row_shr:2 row_mask:0xf bank_mask:0xf
	v_mov_b32_dpp v22, v7 row_shr:2 row_mask:0xf bank_mask:0xf
	s_delay_alu instid0(VALU_DEP_2) | instskip(NEXT) | instid1(VALU_DEP_2)
	v_add_nc_u32_e32 v23, v8, v23
	v_add_nc_u32_e32 v22, v7, v22
	s_delay_alu instid0(VALU_DEP_1) | instskip(SKIP_1) | instid1(VALU_DEP_2)
	v_dual_cndmask_b32 v8, v8, v23 :: v_dual_cndmask_b32 v7, v7, v22
	v_cmp_lt_u32_e32 vcc_lo, 3, v24
	v_mov_b32_dpp v23, v8 row_shr:4 row_mask:0xf bank_mask:0xf
	s_delay_alu instid0(VALU_DEP_3) | instskip(NEXT) | instid1(VALU_DEP_1)
	v_mov_b32_dpp v22, v7 row_shr:4 row_mask:0xf bank_mask:0xf
	v_dual_cndmask_b32 v23, 0, v23 :: v_dual_cndmask_b32 v22, 0, v22
	s_delay_alu instid0(VALU_DEP_1) | instskip(NEXT) | instid1(VALU_DEP_2)
	v_add_nc_u32_e32 v8, v23, v8
	v_add_nc_u32_e32 v7, v22, v7
	ds_store_b64 v9, v[7:8]
.LBB670_95:
	s_or_b32 exec_lo, exec_lo, s3
	v_cmp_gt_u32_e32 vcc_lo, 32, v0
	v_cmp_lt_u32_e64 s3, 31, v0
	s_waitcnt lgkmcnt(0)
	s_barrier
	buffer_gl0_inv
                                        ; implicit-def: $vgpr23
	s_and_saveexec_b32 s5, s3
	s_delay_alu instid0(SALU_CYCLE_1)
	s_xor_b32 s3, exec_lo, s5
	s_cbranch_execz .LBB670_97
; %bb.96:
	v_lshl_add_u32 v7, v83, 3, -8
	ds_load_b64 v[22:23], v7
	s_waitcnt lgkmcnt(0)
	v_add_nc_u32_e32 v6, v23, v6
	v_add_nc_u32_e32 v5, v22, v5
.LBB670_97:
	s_and_not1_saveexec_b32 s3, s3
; %bb.98:
                                        ; implicit-def: $vgpr22
; %bb.99:
	s_delay_alu instid0(SALU_CYCLE_1) | instskip(SKIP_1) | instid1(VALU_DEP_1)
	s_or_b32 exec_lo, exec_lo, s3
	v_add_nc_u32_e32 v7, -1, v82
	v_cmp_gt_i32_e64 s3, 0, v7
	s_delay_alu instid0(VALU_DEP_1) | instskip(SKIP_1) | instid1(VALU_DEP_2)
	v_cndmask_b32_e64 v7, v7, v82, s3
	v_cmp_eq_u32_e64 s3, 0, v82
	v_lshlrev_b32_e32 v7, 2, v7
	ds_bpermute_b32 v89, v7, v5
	ds_bpermute_b32 v90, v7, v6
	s_and_saveexec_b32 s5, vcc_lo
	s_cbranch_execz .LBB670_117
; %bb.100:
	v_mov_b32_e32 v8, 0
	ds_load_b64 v[5:6], v8 offset:56
	s_waitcnt lgkmcnt(0)
	v_readfirstlane_b32 s6, v6
	s_and_saveexec_b32 s7, s3
	s_cbranch_execz .LBB670_102
; %bb.101:
	s_add_i32 s8, s26, 32
	s_mov_b32 s9, 0
	v_mov_b32_e32 v7, 1
	s_lshl_b64 s[10:11], s[8:9], 4
	s_mov_b32 s16, s9
	s_add_u32 s10, s36, s10
	s_addc_u32 s11, s37, s11
	s_and_b32 s17, s6, 0xff000000
	s_and_b32 s19, s6, 0xff0000
	s_mov_b32 s18, s9
	v_dual_mov_b32 v25, s11 :: v_dual_mov_b32 v24, s10
	s_or_b64 s[16:17], s[18:19], s[16:17]
	s_and_b32 s19, s6, 0xff00
	s_delay_alu instid0(SALU_CYCLE_1) | instskip(SKIP_1) | instid1(SALU_CYCLE_1)
	s_or_b64 s[16:17], s[16:17], s[18:19]
	s_and_b32 s19, s6, 0xff
	s_or_b64 s[8:9], s[16:17], s[18:19]
	s_delay_alu instid0(SALU_CYCLE_1)
	v_mov_b32_e32 v6, s9
	;;#ASMSTART
	global_store_dwordx4 v[24:25], v[5:8] off	
s_waitcnt vmcnt(0)
	;;#ASMEND
.LBB670_102:
	s_or_b32 exec_lo, exec_lo, s7
	v_xad_u32 v24, v82, -1, s26
	s_mov_b32 s8, 0
	s_mov_b32 s7, exec_lo
	s_delay_alu instid0(VALU_DEP_1) | instskip(NEXT) | instid1(VALU_DEP_1)
	v_add_nc_u32_e32 v7, 32, v24
	v_lshlrev_b64 v[6:7], 4, v[7:8]
	s_delay_alu instid0(VALU_DEP_1) | instskip(NEXT) | instid1(VALU_DEP_2)
	v_add_co_u32 v25, vcc_lo, s36, v6
	v_add_co_ci_u32_e32 v26, vcc_lo, s37, v7, vcc_lo
	;;#ASMSTART
	global_load_dwordx4 v[6:9], v[25:26] off glc	
s_waitcnt vmcnt(0)
	;;#ASMEND
	v_and_b32_e32 v9, 0xff, v7
	v_and_b32_e32 v27, 0xff00, v7
	v_or3_b32 v6, v6, 0, 0
	v_and_b32_e32 v28, 0xff000000, v7
	v_and_b32_e32 v7, 0xff0000, v7
	s_delay_alu instid0(VALU_DEP_4) | instskip(SKIP_2) | instid1(VALU_DEP_3)
	v_or3_b32 v9, 0, v9, v27
	v_and_b32_e32 v27, 0xff, v8
	v_or3_b32 v6, v6, 0, 0
	v_or3_b32 v7, v9, v7, v28
	s_delay_alu instid0(VALU_DEP_3)
	v_cmpx_eq_u16_e32 0, v27
	s_cbranch_execz .LBB670_105
.LBB670_103:                            ; =>This Inner Loop Header: Depth=1
	;;#ASMSTART
	global_load_dwordx4 v[6:9], v[25:26] off glc	
s_waitcnt vmcnt(0)
	;;#ASMEND
	v_and_b32_e32 v9, 0xff, v8
	s_delay_alu instid0(VALU_DEP_1) | instskip(SKIP_1) | instid1(SALU_CYCLE_1)
	v_cmp_ne_u16_e32 vcc_lo, 0, v9
	s_or_b32 s8, vcc_lo, s8
	s_and_not1_b32 exec_lo, exec_lo, s8
	s_cbranch_execnz .LBB670_103
; %bb.104:
	s_or_b32 exec_lo, exec_lo, s8
.LBB670_105:
	s_delay_alu instid0(SALU_CYCLE_1) | instskip(SKIP_3) | instid1(VALU_DEP_1)
	s_or_b32 exec_lo, exec_lo, s7
	v_cmp_ne_u32_e32 vcc_lo, 31, v82
	v_lshlrev_b32_e64 v92, v82, -1
	v_add_co_ci_u32_e32 v9, vcc_lo, 0, v82, vcc_lo
	v_lshlrev_b32_e32 v91, 2, v9
	ds_bpermute_b32 v25, v91, v7
	ds_bpermute_b32 v9, v91, v6
	s_waitcnt lgkmcnt(1)
	v_add_nc_u32_e32 v25, v25, v7
	v_and_b32_e32 v26, 0xff, v8
	s_waitcnt lgkmcnt(0)
	v_add_nc_u32_e32 v9, v9, v6
	s_delay_alu instid0(VALU_DEP_2) | instskip(SKIP_2) | instid1(VALU_DEP_2)
	v_cmp_eq_u16_e32 vcc_lo, 2, v26
	v_and_or_b32 v26, vcc_lo, v92, 0x80000000
	v_cmp_gt_u32_e32 vcc_lo, 30, v82
	v_ctz_i32_b32_e32 v26, v26
	v_cndmask_b32_e64 v27, 0, 1, vcc_lo
	s_delay_alu instid0(VALU_DEP_2) | instskip(NEXT) | instid1(VALU_DEP_2)
	v_cmp_lt_u32_e32 vcc_lo, v82, v26
	v_dual_cndmask_b32 v6, v6, v9 :: v_dual_lshlrev_b32 v27, 1, v27
	s_delay_alu instid0(VALU_DEP_1)
	v_add_lshl_u32 v93, v27, v82, 2
	v_cndmask_b32_e32 v7, v7, v25, vcc_lo
	v_cmp_gt_u32_e32 vcc_lo, 28, v82
	ds_bpermute_b32 v9, v93, v6
	ds_bpermute_b32 v25, v93, v7
	v_cndmask_b32_e64 v27, 0, 1, vcc_lo
	s_waitcnt lgkmcnt(1)
	v_add_nc_u32_e32 v9, v6, v9
	s_waitcnt lgkmcnt(0)
	v_add_nc_u32_e32 v25, v7, v25
	v_add_nc_u32_e32 v94, 2, v82
	s_delay_alu instid0(VALU_DEP_1) | instskip(NEXT) | instid1(VALU_DEP_3)
	v_cmp_gt_u32_e32 vcc_lo, v94, v26
	v_cndmask_b32_e32 v7, v25, v7, vcc_lo
	v_dual_cndmask_b32 v6, v9, v6 :: v_dual_lshlrev_b32 v27, 2, v27
	v_cmp_gt_u32_e32 vcc_lo, 24, v82
	s_delay_alu instid0(VALU_DEP_2) | instskip(SKIP_4) | instid1(VALU_DEP_1)
	v_add_lshl_u32 v95, v27, v82, 2
	v_cndmask_b32_e64 v27, 0, 1, vcc_lo
	ds_bpermute_b32 v25, v95, v7
	ds_bpermute_b32 v9, v95, v6
	v_lshlrev_b32_e32 v27, 3, v27
	v_add_lshl_u32 v97, v27, v82, 2
	s_waitcnt lgkmcnt(1)
	v_add_nc_u32_e32 v25, v7, v25
	v_add_nc_u32_e32 v96, 4, v82
	s_waitcnt lgkmcnt(0)
	v_add_nc_u32_e32 v9, v6, v9
	s_delay_alu instid0(VALU_DEP_2) | instskip(SKIP_1) | instid1(VALU_DEP_3)
	v_cmp_gt_u32_e32 vcc_lo, v96, v26
	v_cndmask_b32_e32 v7, v25, v7, vcc_lo
	v_cndmask_b32_e32 v6, v9, v6, vcc_lo
	v_cmp_gt_u32_e32 vcc_lo, 16, v82
	ds_bpermute_b32 v25, v97, v7
	ds_bpermute_b32 v9, v97, v6
	v_cndmask_b32_e64 v27, 0, 1, vcc_lo
	s_delay_alu instid0(VALU_DEP_1) | instskip(NEXT) | instid1(VALU_DEP_1)
	v_lshlrev_b32_e32 v27, 4, v27
	v_add_lshl_u32 v99, v27, v82, 2
	s_waitcnt lgkmcnt(1)
	v_add_nc_u32_e32 v25, v7, v25
	v_add_nc_u32_e32 v98, 8, v82
	s_waitcnt lgkmcnt(0)
	v_add_nc_u32_e32 v9, v6, v9
	s_delay_alu instid0(VALU_DEP_2) | instskip(SKIP_1) | instid1(VALU_DEP_3)
	v_cmp_gt_u32_e32 vcc_lo, v98, v26
	v_cndmask_b32_e32 v7, v25, v7, vcc_lo
	v_cndmask_b32_e32 v6, v9, v6, vcc_lo
	ds_bpermute_b32 v25, v99, v7
	ds_bpermute_b32 v9, v99, v6
	v_add_nc_u32_e32 v100, 16, v82
	s_delay_alu instid0(VALU_DEP_1) | instskip(SKIP_2) | instid1(VALU_DEP_1)
	v_cmp_le_u32_e32 vcc_lo, v100, v26
	s_waitcnt lgkmcnt(0)
	v_cndmask_b32_e32 v9, 0, v9, vcc_lo
	v_dual_cndmask_b32 v25, 0, v25 :: v_dual_add_nc_u32 v6, v9, v6
	s_delay_alu instid0(VALU_DEP_1)
	v_add_nc_u32_e32 v7, v25, v7
	v_mov_b32_e32 v25, 0
	s_branch .LBB670_107
.LBB670_106:                            ;   in Loop: Header=BB670_107 Depth=1
	s_or_b32 exec_lo, exec_lo, s7
	ds_bpermute_b32 v9, v91, v6
	ds_bpermute_b32 v28, v91, v7
	v_subrev_nc_u32_e32 v24, 32, v24
	s_waitcnt lgkmcnt(1)
	v_add_nc_u32_e32 v9, v9, v6
	v_and_b32_e32 v29, 0xff, v8
	s_waitcnt lgkmcnt(0)
	v_add_nc_u32_e32 v28, v28, v7
	s_delay_alu instid0(VALU_DEP_2) | instskip(SKIP_1) | instid1(VALU_DEP_1)
	v_cmp_eq_u16_e32 vcc_lo, 2, v29
	v_and_or_b32 v29, vcc_lo, v92, 0x80000000
	v_ctz_i32_b32_e32 v29, v29
	s_delay_alu instid0(VALU_DEP_1)
	v_cmp_lt_u32_e32 vcc_lo, v82, v29
	v_cndmask_b32_e32 v6, v6, v9, vcc_lo
	ds_bpermute_b32 v9, v93, v6
	s_waitcnt lgkmcnt(0)
	v_add_nc_u32_e32 v9, v6, v9
	v_cndmask_b32_e32 v7, v7, v28, vcc_lo
	v_cmp_gt_u32_e32 vcc_lo, v94, v29
	s_delay_alu instid0(VALU_DEP_3)
	v_cndmask_b32_e32 v6, v9, v6, vcc_lo
	ds_bpermute_b32 v28, v93, v7
	ds_bpermute_b32 v9, v95, v6
	s_waitcnt lgkmcnt(1)
	v_add_nc_u32_e32 v28, v7, v28
	s_waitcnt lgkmcnt(0)
	v_add_nc_u32_e32 v9, v6, v9
	s_delay_alu instid0(VALU_DEP_2) | instskip(SKIP_1) | instid1(VALU_DEP_3)
	v_cndmask_b32_e32 v7, v28, v7, vcc_lo
	v_cmp_gt_u32_e32 vcc_lo, v96, v29
	v_cndmask_b32_e32 v6, v9, v6, vcc_lo
	ds_bpermute_b32 v28, v95, v7
	ds_bpermute_b32 v9, v97, v6
	s_waitcnt lgkmcnt(1)
	v_add_nc_u32_e32 v28, v7, v28
	s_waitcnt lgkmcnt(0)
	v_add_nc_u32_e32 v9, v6, v9
	s_delay_alu instid0(VALU_DEP_2) | instskip(SKIP_1) | instid1(VALU_DEP_3)
	v_cndmask_b32_e32 v7, v28, v7, vcc_lo
	v_cmp_gt_u32_e32 vcc_lo, v98, v29
	v_cndmask_b32_e32 v6, v9, v6, vcc_lo
	ds_bpermute_b32 v28, v97, v7
	ds_bpermute_b32 v9, v99, v6
	s_waitcnt lgkmcnt(1)
	v_add_nc_u32_e32 v28, v7, v28
	s_delay_alu instid0(VALU_DEP_1) | instskip(SKIP_4) | instid1(VALU_DEP_1)
	v_cndmask_b32_e32 v7, v28, v7, vcc_lo
	v_cmp_le_u32_e32 vcc_lo, v100, v29
	ds_bpermute_b32 v28, v99, v7
	s_waitcnt lgkmcnt(1)
	v_cndmask_b32_e32 v9, 0, v9, vcc_lo
	v_add3_u32 v6, v6, v26, v9
	s_waitcnt lgkmcnt(0)
	v_cndmask_b32_e32 v28, 0, v28, vcc_lo
	s_delay_alu instid0(VALU_DEP_1)
	v_add3_u32 v7, v7, v27, v28
.LBB670_107:                            ; =>This Loop Header: Depth=1
                                        ;     Child Loop BB670_110 Depth 2
	s_delay_alu instid0(VALU_DEP_1) | instskip(SKIP_1) | instid1(VALU_DEP_2)
	v_dual_mov_b32 v27, v7 :: v_dual_and_b32 v8, 0xff, v8
	v_mov_b32_e32 v26, v6
	v_cmp_ne_u16_e32 vcc_lo, 2, v8
	v_cndmask_b32_e64 v8, 0, 1, vcc_lo
	;;#ASMSTART
	;;#ASMEND
	s_delay_alu instid0(VALU_DEP_1)
	v_cmp_ne_u32_e32 vcc_lo, 0, v8
	s_cmp_lg_u32 vcc_lo, exec_lo
	s_cbranch_scc1 .LBB670_112
; %bb.108:                              ;   in Loop: Header=BB670_107 Depth=1
	v_lshlrev_b64 v[6:7], 4, v[24:25]
	s_mov_b32 s7, exec_lo
	s_delay_alu instid0(VALU_DEP_1) | instskip(NEXT) | instid1(VALU_DEP_2)
	v_add_co_u32 v28, vcc_lo, s36, v6
	v_add_co_ci_u32_e32 v29, vcc_lo, s37, v7, vcc_lo
	;;#ASMSTART
	global_load_dwordx4 v[6:9], v[28:29] off glc	
s_waitcnt vmcnt(0)
	;;#ASMEND
	v_and_b32_e32 v9, 0xff, v7
	v_and_b32_e32 v101, 0xff00, v7
	v_or3_b32 v6, v6, 0, 0
	v_and_b32_e32 v102, 0xff000000, v7
	v_and_b32_e32 v7, 0xff0000, v7
	s_delay_alu instid0(VALU_DEP_4) | instskip(SKIP_2) | instid1(VALU_DEP_3)
	v_or3_b32 v9, 0, v9, v101
	v_and_b32_e32 v101, 0xff, v8
	v_or3_b32 v6, v6, 0, 0
	v_or3_b32 v7, v9, v7, v102
	s_delay_alu instid0(VALU_DEP_3)
	v_cmpx_eq_u16_e32 0, v101
	s_cbranch_execz .LBB670_106
; %bb.109:                              ;   in Loop: Header=BB670_107 Depth=1
	s_mov_b32 s8, 0
.LBB670_110:                            ;   Parent Loop BB670_107 Depth=1
                                        ; =>  This Inner Loop Header: Depth=2
	;;#ASMSTART
	global_load_dwordx4 v[6:9], v[28:29] off glc	
s_waitcnt vmcnt(0)
	;;#ASMEND
	v_and_b32_e32 v9, 0xff, v8
	s_delay_alu instid0(VALU_DEP_1) | instskip(SKIP_1) | instid1(SALU_CYCLE_1)
	v_cmp_ne_u16_e32 vcc_lo, 0, v9
	s_or_b32 s8, vcc_lo, s8
	s_and_not1_b32 exec_lo, exec_lo, s8
	s_cbranch_execnz .LBB670_110
; %bb.111:                              ;   in Loop: Header=BB670_107 Depth=1
	s_or_b32 exec_lo, exec_lo, s8
	s_branch .LBB670_106
.LBB670_112:                            ;   in Loop: Header=BB670_107 Depth=1
                                        ; implicit-def: $vgpr8
                                        ; implicit-def: $vgpr6_vgpr7
	s_cbranch_execz .LBB670_107
; %bb.113:
	s_and_saveexec_b32 s7, s3
	s_cbranch_execnz .LBB670_356
; %bb.114:
	s_or_b32 exec_lo, exec_lo, s7
	s_and_saveexec_b32 s7, s3
	s_cbranch_execnz .LBB670_357
.LBB670_115:
	s_or_b32 exec_lo, exec_lo, s7
	s_delay_alu instid0(SALU_CYCLE_1)
	s_and_b32 exec_lo, exec_lo, s2
	s_cbranch_execz .LBB670_117
.LBB670_116:
	v_mov_b32_e32 v5, 0
	ds_store_b64 v5, v[26:27] offset:56
.LBB670_117:
	s_or_b32 exec_lo, exec_lo, s5
	s_waitcnt lgkmcnt(1)
	v_cndmask_b32_e64 v22, v89, v22, s3
	v_mov_b32_e32 v5, 0
	s_waitcnt lgkmcnt(0)
	s_barrier
	buffer_gl0_inv
	v_add_nc_u32_e64 v7, 0x3400, 0
	ds_load_b64 v[24:25], v5 offset:56
	s_waitcnt lgkmcnt(0)
	s_barrier
	buffer_gl0_inv
	ds_load_2addr_b32 v[5:6], v7 offset1:2
	ds_load_2addr_b32 v[7:8], v7 offset0:4 offset1:6
	v_cndmask_b32_e64 v9, v90, v23, s3
	v_add_nc_u32_e32 v22, v24, v22
	s_delay_alu instid0(VALU_DEP_2) | instskip(NEXT) | instid1(VALU_DEP_2)
	v_add_nc_u32_e32 v9, v25, v9
	v_cndmask_b32_e64 v22, v22, v24, s2
	s_delay_alu instid0(VALU_DEP_2)
	v_cndmask_b32_e64 v9, v9, v25, s2
	s_branch .LBB670_128
.LBB670_118:
                                        ; implicit-def: $vgpr9
                                        ; implicit-def: $vgpr7
                                        ; implicit-def: $vgpr5
                                        ; implicit-def: $vgpr22_vgpr23
	s_and_b32 vcc_lo, exec_lo, s5
	s_cbranch_vccz .LBB670_128
; %bb.119:
	s_waitcnt lgkmcnt(1)
	v_mov_b32_dpp v6, v88 row_shr:1 row_mask:0xf bank_mask:0xf
	v_cmp_lt_u32_e32 vcc_lo, 3, v86
	v_mov_b32_dpp v5, v87 row_shr:1 row_mask:0xf bank_mask:0xf
	s_delay_alu instid0(VALU_DEP_3) | instskip(NEXT) | instid1(VALU_DEP_1)
	v_add_nc_u32_e32 v6, v6, v88
	v_cndmask_b32_e64 v6, v6, v88, s1
	s_waitcnt lgkmcnt(0)
	s_delay_alu instid0(VALU_DEP_1) | instskip(NEXT) | instid1(VALU_DEP_1)
	v_mov_b32_dpp v8, v6 row_shr:2 row_mask:0xf bank_mask:0xf
	v_add_nc_u32_e32 v8, v6, v8
	s_delay_alu instid0(VALU_DEP_1) | instskip(NEXT) | instid1(VALU_DEP_1)
	v_cndmask_b32_e64 v6, v6, v8, s0
	v_mov_b32_dpp v8, v6 row_shr:4 row_mask:0xf bank_mask:0xf
	s_delay_alu instid0(VALU_DEP_1) | instskip(NEXT) | instid1(VALU_DEP_1)
	v_add_nc_u32_e32 v8, v6, v8
	v_dual_cndmask_b32 v6, v6, v8 :: v_dual_add_nc_u32 v5, v5, v87
	s_delay_alu instid0(VALU_DEP_1) | instskip(NEXT) | instid1(VALU_DEP_2)
	v_cndmask_b32_e64 v5, v5, v87, s1
	v_mov_b32_dpp v8, v6 row_shr:8 row_mask:0xf bank_mask:0xf
	s_delay_alu instid0(VALU_DEP_2) | instskip(NEXT) | instid1(VALU_DEP_2)
	v_mov_b32_dpp v7, v5 row_shr:2 row_mask:0xf bank_mask:0xf
	v_add_nc_u32_e32 v8, v6, v8
	s_delay_alu instid0(VALU_DEP_2) | instskip(NEXT) | instid1(VALU_DEP_1)
	v_add_nc_u32_e32 v7, v5, v7
	v_cndmask_b32_e64 v5, v5, v7, s0
	s_mov_b32 s0, exec_lo
	s_delay_alu instid0(VALU_DEP_1) | instskip(NEXT) | instid1(VALU_DEP_1)
	v_mov_b32_dpp v7, v5 row_shr:4 row_mask:0xf bank_mask:0xf
	v_add_nc_u32_e32 v7, v5, v7
	s_delay_alu instid0(VALU_DEP_1) | instskip(SKIP_1) | instid1(VALU_DEP_2)
	v_cndmask_b32_e32 v5, v5, v7, vcc_lo
	v_cmp_lt_u32_e32 vcc_lo, 7, v86
	v_mov_b32_dpp v7, v5 row_shr:8 row_mask:0xf bank_mask:0xf
	s_delay_alu instid0(VALU_DEP_1) | instskip(NEXT) | instid1(VALU_DEP_1)
	v_dual_cndmask_b32 v6, v6, v8 :: v_dual_add_nc_u32 v7, v5, v7
	v_cndmask_b32_e32 v5, v5, v7, vcc_lo
	ds_swizzle_b32 v7, v6 offset:swizzle(BROADCAST,32,15)
	v_cmp_eq_u32_e32 vcc_lo, 0, v85
	ds_swizzle_b32 v8, v5 offset:swizzle(BROADCAST,32,15)
	s_waitcnt lgkmcnt(1)
	v_add_nc_u32_e32 v7, v6, v7
	s_waitcnt lgkmcnt(0)
	v_add_nc_u32_e32 v8, v5, v8
	s_delay_alu instid0(VALU_DEP_1)
	v_dual_cndmask_b32 v6, v7, v6 :: v_dual_cndmask_b32 v5, v8, v5
	v_cmpx_eq_u32_e64 v84, v0
	s_cbranch_execz .LBB670_121
; %bb.120:
	v_lshlrev_b32_e32 v7, 3, v83
	ds_store_b64 v7, v[5:6]
.LBB670_121:
	s_or_b32 exec_lo, exec_lo, s0
	s_delay_alu instid0(SALU_CYCLE_1)
	s_mov_b32 s0, exec_lo
	s_waitcnt lgkmcnt(0)
	s_barrier
	buffer_gl0_inv
	v_cmpx_gt_u32_e32 8, v0
	s_cbranch_execz .LBB670_123
; %bb.122:
	v_lshlrev_b32_e32 v9, 3, v0
	ds_load_b64 v[7:8], v9
	s_waitcnt lgkmcnt(0)
	v_mov_b32_dpp v22, v7 row_shr:1 row_mask:0xf bank_mask:0xf
	v_mov_b32_dpp v23, v8 row_shr:1 row_mask:0xf bank_mask:0xf
	s_delay_alu instid0(VALU_DEP_2) | instskip(SKIP_1) | instid1(VALU_DEP_3)
	v_add_nc_u32_e32 v22, v22, v7
	v_and_b32_e32 v24, 7, v82
	v_add_nc_u32_e32 v23, v23, v8
	s_delay_alu instid0(VALU_DEP_2) | instskip(NEXT) | instid1(VALU_DEP_2)
	v_cmp_eq_u32_e32 vcc_lo, 0, v24
	v_dual_cndmask_b32 v8, v23, v8 :: v_dual_cndmask_b32 v7, v22, v7
	v_cmp_lt_u32_e32 vcc_lo, 1, v24
	s_delay_alu instid0(VALU_DEP_2) | instskip(NEXT) | instid1(VALU_DEP_3)
	v_mov_b32_dpp v23, v8 row_shr:2 row_mask:0xf bank_mask:0xf
	v_mov_b32_dpp v22, v7 row_shr:2 row_mask:0xf bank_mask:0xf
	s_delay_alu instid0(VALU_DEP_2) | instskip(NEXT) | instid1(VALU_DEP_2)
	v_add_nc_u32_e32 v23, v8, v23
	v_add_nc_u32_e32 v22, v7, v22
	s_delay_alu instid0(VALU_DEP_1) | instskip(SKIP_1) | instid1(VALU_DEP_2)
	v_dual_cndmask_b32 v8, v8, v23 :: v_dual_cndmask_b32 v7, v7, v22
	v_cmp_lt_u32_e32 vcc_lo, 3, v24
	v_mov_b32_dpp v23, v8 row_shr:4 row_mask:0xf bank_mask:0xf
	s_delay_alu instid0(VALU_DEP_3) | instskip(NEXT) | instid1(VALU_DEP_1)
	v_mov_b32_dpp v22, v7 row_shr:4 row_mask:0xf bank_mask:0xf
	v_dual_cndmask_b32 v23, 0, v23 :: v_dual_cndmask_b32 v22, 0, v22
	s_delay_alu instid0(VALU_DEP_1) | instskip(NEXT) | instid1(VALU_DEP_2)
	v_add_nc_u32_e32 v8, v23, v8
	v_add_nc_u32_e32 v7, v22, v7
	ds_store_b64 v9, v[7:8]
.LBB670_123:
	s_or_b32 exec_lo, exec_lo, s0
	v_dual_mov_b32 v7, 0 :: v_dual_mov_b32 v22, 0
	v_mov_b32_e32 v23, 0
	s_mov_b32 s0, exec_lo
	s_waitcnt lgkmcnt(0)
	s_barrier
	buffer_gl0_inv
	v_cmpx_lt_u32_e32 31, v0
	s_cbranch_execz .LBB670_125
; %bb.124:
	v_lshl_add_u32 v8, v83, 3, -8
	ds_load_b64 v[22:23], v8
.LBB670_125:
	s_or_b32 exec_lo, exec_lo, s0
	v_add_nc_u32_e32 v8, -1, v82
	s_waitcnt lgkmcnt(0)
	v_add_nc_u32_e32 v24, v23, v6
	v_add_nc_u32_e32 v9, v22, v5
	ds_load_b64 v[5:6], v7 offset:56
	v_cmp_gt_i32_e32 vcc_lo, 0, v8
	v_cndmask_b32_e32 v8, v8, v82, vcc_lo
	s_delay_alu instid0(VALU_DEP_1)
	v_lshlrev_b32_e32 v8, 2, v8
	ds_bpermute_b32 v9, v8, v9
	ds_bpermute_b32 v24, v8, v24
	s_waitcnt lgkmcnt(2)
	v_readfirstlane_b32 s0, v6
	s_and_saveexec_b32 s1, s2
	s_cbranch_execz .LBB670_127
; %bb.126:
	s_mov_b32 s8, 0
	s_add_u32 s6, s36, 0x200
	s_addc_u32 s7, s37, 0
	s_and_b32 s9, s0, 0xff000000
	s_and_b32 s11, s0, 0xff0000
	s_mov_b32 s10, s8
	v_mov_b32_e32 v26, s7
	s_or_b64 s[10:11], s[10:11], s[8:9]
	s_and_b32 s9, s0, 0xff00
	v_dual_mov_b32 v8, 0 :: v_dual_mov_b32 v25, s6
	s_or_b64 s[10:11], s[10:11], s[8:9]
	s_and_b32 s9, s0, 0xff
	v_mov_b32_e32 v7, 2
	s_or_b64 s[8:9], s[10:11], s[8:9]
	s_delay_alu instid0(SALU_CYCLE_1)
	v_mov_b32_e32 v6, s9
	;;#ASMSTART
	global_store_dwordx4 v[25:26], v[5:8] off	
s_waitcnt vmcnt(0)
	;;#ASMEND
.LBB670_127:
	s_or_b32 exec_lo, exec_lo, s1
	v_cmp_eq_u32_e32 vcc_lo, 0, v82
	v_dual_mov_b32 v7, 0 :: v_dual_mov_b32 v6, s0
	s_waitcnt lgkmcnt(0)
	s_barrier
	v_dual_cndmask_b32 v8, v9, v22 :: v_dual_cndmask_b32 v9, v24, v23
	buffer_gl0_inv
	v_cndmask_b32_e64 v22, v8, 0, s2
	v_cndmask_b32_e64 v9, v9, 0, s2
	v_mov_b32_e32 v8, 0
.LBB670_128:
	s_delay_alu instid0(VALU_DEP_1) | instskip(SKIP_1) | instid1(VALU_DEP_2)
	v_add_nc_u32_e32 v24, v9, v81
	s_waitcnt lgkmcnt(0)
	v_sub_nc_u32_e32 v9, v9, v8
	v_add_co_u32 v1, vcc_lo, v1, v7
	v_and_b32_e32 v35, 1, v35
	v_add_nc_u32_e32 v26, v24, v77
	v_sub_nc_u32_e32 v24, v24, v8
	v_lshlrev_b32_e32 v77, 1, v5
	v_add_nc_u32_e32 v9, v9, v5
	v_add_co_ci_u32_e32 v2, vcc_lo, 0, v2, vcc_lo
	v_add_nc_u32_e32 v28, v26, v79
	s_delay_alu instid0(VALU_DEP_4)
	v_add3_u32 v33, v77, v6, v33
	v_and_b32_e32 v40, 1, v40
	v_and_b32_e32 v37, 1, v37
	;; [unrolled: 1-line block ×3, first 2 shown]
	v_add_nc_u32_e32 v29, v28, v75
	v_sub_nc_u32_e32 v28, v28, v8
	v_sub_co_u32 v75, vcc_lo, v3, v5
	s_add_u32 s1, s14, -4
	s_delay_alu instid0(VALU_DEP_3) | instskip(SKIP_4) | instid1(VALU_DEP_3)
	v_add_nc_u32_e32 v73, v29, v73
	v_sub_nc_u32_e32 v29, v29, v8
	v_add_nc_u32_e32 v28, v28, v5
	v_add_nc_u32_e32 v24, v24, v5
	s_mov_b32 s3, -1
	v_add_nc_u32_e32 v29, v29, v5
	v_add_nc_u32_e32 v23, v22, v80
	v_sub_nc_u32_e32 v22, v22, v7
	s_delay_alu instid0(VALU_DEP_2) | instskip(SKIP_3) | instid1(VALU_DEP_3)
	v_add_nc_u32_e32 v25, v23, v76
	v_sub_nc_u32_e32 v23, v23, v7
	v_subrev_co_ci_u32_e32 v76, vcc_lo, 0, v4, vcc_lo
	v_cmp_eq_u32_e32 vcc_lo, 1, v35
	v_add_nc_u32_e32 v79, v24, v23
	s_delay_alu instid0(VALU_DEP_1) | instskip(NEXT) | instid1(VALU_DEP_1)
	v_sub_nc_u32_e32 v79, v33, v79
	v_add_nc_u32_e32 v79, 1, v79
	v_add_nc_u32_e32 v27, v25, v78
	;; [unrolled: 1-line block ×3, first 2 shown]
	s_delay_alu instid0(VALU_DEP_1) | instskip(NEXT) | instid1(VALU_DEP_1)
	v_sub_nc_u32_e32 v78, v33, v78
	v_dual_cndmask_b32 v9, v78, v9 :: v_dual_and_b32 v34, 1, v34
	v_cmp_eq_u32_e32 vcc_lo, 1, v40
	v_cndmask_b32_e32 v24, v79, v24, vcc_lo
	s_delay_alu instid0(VALU_DEP_3) | instskip(NEXT) | instid1(VALU_DEP_4)
	v_cmp_eq_u32_e32 vcc_lo, 1, v34
	v_cndmask_b32_e32 v9, v9, v22, vcc_lo
	v_sub_nc_u32_e32 v26, v26, v8
	v_cmp_eq_u32_e32 vcc_lo, 1, v37
	v_and_b32_e32 v37, 1, v38
	s_delay_alu instid0(VALU_DEP_4) | instskip(NEXT) | instid1(VALU_DEP_4)
	v_lshlrev_b32_e32 v9, 2, v9
	v_add_nc_u32_e32 v26, v26, v5
	v_cndmask_b32_e32 v24, v24, v23, vcc_lo
	v_sub_nc_u32_e32 v25, v25, v7
	v_add_co_u32 v22, vcc_lo, v75, v8
	v_add_co_ci_u32_e32 v23, vcc_lo, 0, v76, vcc_lo
	s_delay_alu instid0(VALU_DEP_3)
	v_add_nc_u32_e32 v34, v26, v25
	v_cmp_eq_u32_e32 vcc_lo, 1, v37
	v_lshlrev_b32_e32 v24, 2, v24
	ds_store_b32 v9, v20
	v_sub_nc_u32_e32 v34, v33, v34
	ds_store_b32 v24, v21
	v_and_b32_e32 v24, 1, v39
	v_add_nc_u32_e32 v34, 2, v34
	s_delay_alu instid0(VALU_DEP_1) | instskip(SKIP_3) | instid1(VALU_DEP_4)
	v_cndmask_b32_e32 v26, v34, v26, vcc_lo
	v_cmp_eq_u32_e32 vcc_lo, 1, v36
	v_add_nc_u32_e32 v74, v27, v74
	v_sub_nc_u32_e32 v27, v27, v7
	v_cndmask_b32_e32 v25, v26, v25, vcc_lo
	s_delay_alu instid0(VALU_DEP_3) | instskip(NEXT) | instid1(VALU_DEP_3)
	v_sub_nc_u32_e32 v37, v74, v7
	v_add_nc_u32_e32 v34, v27, v28
	v_cmp_eq_u32_e32 vcc_lo, 1, v24
	v_sub_nc_u32_e32 v26, v73, v8
	v_lshlrev_b32_e32 v21, 2, v25
	v_and_b32_e32 v25, 1, v41
	v_sub_nc_u32_e32 v9, v33, v34
	v_add_nc_u32_e32 v20, v37, v29
	v_and_b32_e32 v24, 1, v42
	v_add_nc_u32_e32 v26, v26, v5
	ds_store_b32 v21, v18
	v_add_nc_u32_e32 v9, 3, v9
	v_sub_nc_u32_e32 v20, v33, v20
	s_delay_alu instid0(VALU_DEP_2) | instskip(SKIP_2) | instid1(VALU_DEP_4)
	v_cndmask_b32_e32 v9, v9, v28, vcc_lo
	v_cmp_eq_u32_e32 vcc_lo, 1, v25
	v_add_nc_u32_e32 v72, v74, v72
	v_add_nc_u32_e32 v20, 4, v20
	v_and_b32_e32 v25, 1, v43
	v_cndmask_b32_e32 v9, v9, v27, vcc_lo
	s_delay_alu instid0(VALU_DEP_4)
	v_sub_nc_u32_e32 v28, v72, v7
	v_cmp_eq_u32_e32 vcc_lo, 1, v24
	v_and_b32_e32 v24, 1, v44
	v_add_nc_u32_e32 v70, v72, v70
	v_lshlrev_b32_e32 v9, 2, v9
	v_add_nc_u32_e32 v27, v28, v26
	v_cndmask_b32_e32 v20, v20, v29, vcc_lo
	v_cmp_eq_u32_e32 vcc_lo, 1, v25
	v_and_b32_e32 v25, 1, v45
	v_add_nc_u32_e32 v64, v70, v64
	v_sub_nc_u32_e32 v18, v33, v27
	v_sub_nc_u32_e32 v27, v70, v7
	v_cndmask_b32_e32 v20, v20, v37, vcc_lo
	v_cmp_eq_u32_e32 vcc_lo, 1, v24
	ds_store_b32 v9, v19
	v_add_nc_u32_e32 v18, 5, v18
	v_and_b32_e32 v19, 1, v46
	v_lshlrev_b32_e32 v20, 2, v20
	v_add_nc_u32_e32 v68, v64, v68
	s_delay_alu instid0(VALU_DEP_4)
	v_cndmask_b32_e32 v18, v18, v26, vcc_lo
	v_cmp_eq_u32_e32 vcc_lo, 1, v25
	v_sub_nc_u32_e32 v25, v64, v7
	ds_store_b32 v20, v16
	v_and_b32_e32 v20, 1, v49
	v_add_nc_u32_e32 v66, v68, v66
	v_dual_cndmask_b32 v18, v18, v28 :: v_dual_add_nc_u32 v71, v73, v71
	v_cmp_eq_u32_e32 vcc_lo, 1, v19
	v_and_b32_e32 v19, 1, v48
	s_delay_alu instid0(VALU_DEP_4) | instskip(NEXT) | instid1(VALU_DEP_4)
	v_add_nc_u32_e32 v61, v66, v61
	v_lshlrev_b32_e32 v18, 2, v18
	v_add_nc_u32_e32 v65, v71, v65
	v_sub_nc_u32_e32 v21, v71, v8
	s_delay_alu instid0(VALU_DEP_4)
	v_add_nc_u32_e32 v60, v61, v60
	ds_store_b32 v18, v17
	v_sub_nc_u32_e32 v24, v65, v8
	v_add_nc_u32_e32 v21, v21, v5
	v_add_nc_u32_e32 v69, v65, v69
	v_and_b32_e32 v17, 1, v47
	s_delay_alu instid0(VALU_DEP_4) | instskip(NEXT) | instid1(VALU_DEP_4)
	v_add_nc_u32_e32 v24, v24, v5
	v_add_nc_u32_e32 v26, v27, v21
	s_delay_alu instid0(VALU_DEP_4) | instskip(NEXT) | instid1(VALU_DEP_3)
	v_sub_nc_u32_e32 v18, v69, v8
	v_add_nc_u32_e32 v16, v25, v24
	s_delay_alu instid0(VALU_DEP_3) | instskip(NEXT) | instid1(VALU_DEP_3)
	v_sub_nc_u32_e32 v9, v33, v26
	v_add_nc_u32_e32 v18, v18, v5
	v_sub_nc_u32_e32 v26, v60, v7
	s_delay_alu instid0(VALU_DEP_4) | instskip(NEXT) | instid1(VALU_DEP_4)
	v_sub_nc_u32_e32 v16, v33, v16
	v_add_nc_u32_e32 v9, 6, v9
	s_delay_alu instid0(VALU_DEP_1) | instskip(SKIP_2) | instid1(VALU_DEP_3)
	v_dual_cndmask_b32 v9, v9, v21 :: v_dual_add_nc_u32 v16, 7, v16
	v_cmp_eq_u32_e32 vcc_lo, 1, v19
	v_sub_nc_u32_e32 v21, v68, v7
	v_cndmask_b32_e32 v16, v16, v24, vcc_lo
	v_cmp_eq_u32_e32 vcc_lo, 1, v17
	s_delay_alu instid0(VALU_DEP_3) | instskip(SKIP_3) | instid1(VALU_DEP_4)
	v_add_nc_u32_e32 v17, v21, v18
	v_cndmask_b32_e32 v9, v9, v27, vcc_lo
	v_cmp_eq_u32_e32 vcc_lo, 1, v20
	v_add_nc_u32_e32 v67, v69, v67
	v_sub_nc_u32_e32 v17, v33, v17
	v_sub_nc_u32_e32 v20, v66, v7
	v_lshlrev_b32_e32 v9, 2, v9
	v_cndmask_b32_e32 v16, v16, v25, vcc_lo
	v_sub_nc_u32_e32 v19, v67, v8
	v_add_nc_u32_e32 v62, v67, v62
	v_sub_nc_u32_e32 v25, v61, v7
	ds_store_b32 v9, v14
	v_and_b32_e32 v9, 1, v50
	v_add_nc_u32_e32 v19, v19, v5
	v_add_nc_u32_e32 v14, 8, v17
	v_lshlrev_b32_e32 v16, 2, v16
	v_add_nc_u32_e32 v63, v62, v63
	v_cmp_eq_u32_e32 vcc_lo, 1, v9
	v_add_nc_u32_e32 v17, v20, v19
	ds_store_b32 v16, v15
	v_and_b32_e32 v15, 1, v51
	v_cndmask_b32_e32 v9, v14, v18, vcc_lo
	v_sub_nc_u32_e32 v14, v33, v17
	v_and_b32_e32 v18, 1, v52
	v_sub_nc_u32_e32 v17, v62, v8
	v_and_b32_e32 v16, 1, v54
	v_sub_nc_u32_e32 v24, v63, v8
	v_add_nc_u32_e32 v14, 9, v14
	v_cmp_eq_u32_e32 vcc_lo, 1, v18
	v_add_nc_u32_e32 v17, v17, v5
	v_add_nc_u32_e32 v35, v63, v59
	;; [unrolled: 1-line block ×3, first 2 shown]
	v_cndmask_b32_e32 v14, v14, v19, vcc_lo
	v_cmp_eq_u32_e32 vcc_lo, 1, v15
	v_add_nc_u32_e32 v15, v25, v17
	s_delay_alu instid0(VALU_DEP_4)
	v_add_nc_u32_e32 v18, v26, v24
	v_and_b32_e32 v19, 1, v55
	v_cndmask_b32_e32 v9, v9, v21, vcc_lo
	v_cmp_eq_u32_e32 vcc_lo, 1, v16
	v_sub_nc_u32_e32 v15, v33, v15
	v_sub_nc_u32_e32 v18, v33, v18
	v_and_b32_e32 v21, 1, v57
	v_sub_nc_u32_e32 v16, v35, v8
	v_cndmask_b32_e32 v14, v14, v20, vcc_lo
	v_and_b32_e32 v20, 1, v53
	v_add_nc_u32_e32 v15, 10, v15
	v_add_nc_u32_e32 v18, 11, v18
	;; [unrolled: 1-line block ×3, first 2 shown]
	v_lshlrev_b32_e32 v9, 2, v9
	v_cmp_eq_u32_e32 vcc_lo, 1, v20
	v_dual_cndmask_b32 v15, v15, v17 :: v_dual_lshlrev_b32 v14, 2, v14
	v_cmp_eq_u32_e32 vcc_lo, 1, v21
	v_and_b32_e32 v17, 1, v56
	v_cndmask_b32_e32 v18, v18, v24, vcc_lo
	v_cmp_eq_u32_e32 vcc_lo, 1, v19
	v_cndmask_b32_e32 v15, v15, v25, vcc_lo
	s_delay_alu instid0(VALU_DEP_4) | instskip(NEXT) | instid1(VALU_DEP_2)
	v_cmp_eq_u32_e32 vcc_lo, 1, v17
	v_lshlrev_b32_e32 v15, 2, v15
	v_cndmask_b32_e32 v17, v18, v26, vcc_lo
	v_add_nc_u32_e32 v40, v60, v58
	s_delay_alu instid0(VALU_DEP_2) | instskip(NEXT) | instid1(VALU_DEP_2)
	v_lshlrev_b32_e32 v17, 2, v17
	v_sub_nc_u32_e32 v7, v40, v7
	ds_store_b32 v9, v12
	ds_store_b32 v14, v13
	ds_store_b32 v15, v10
	ds_store_b32 v17, v11
	v_add_co_u32 v9, s0, v6, v77
	s_delay_alu instid0(VALU_DEP_1) | instskip(SKIP_1) | instid1(VALU_DEP_3)
	v_add_co_ci_u32_e64 v10, null, 0, 0, s0
	v_add_nc_u32_e32 v27, v7, v16
	v_add_co_u32 v9, vcc_lo, v9, v22
	s_delay_alu instid0(VALU_DEP_3) | instskip(NEXT) | instid1(VALU_DEP_3)
	v_add_co_ci_u32_e32 v10, vcc_lo, v10, v23, vcc_lo
	v_sub_nc_u32_e32 v20, v33, v27
	v_add_co_u32 v11, s0, s34, v30
	s_delay_alu instid0(VALU_DEP_4) | instskip(NEXT) | instid1(VALU_DEP_3)
	v_add_co_u32 v9, vcc_lo, v9, v1
	v_add_nc_u32_e32 v18, 12, v20
	v_add_co_ci_u32_e64 v12, null, s35, 0, s0
	v_add_co_ci_u32_e32 v10, vcc_lo, v10, v2, vcc_lo
	s_delay_alu instid0(VALU_DEP_3) | instskip(SKIP_1) | instid1(VALU_DEP_2)
	v_cndmask_b32_e64 v16, v18, v16, s33
	v_add_nc_u32_e32 v14, v5, v6
	v_cndmask_b32_e64 v7, v16, v7, s27
	s_delay_alu instid0(VALU_DEP_1)
	v_lshlrev_b32_e32 v7, 2, v7
	ds_store_b32 v7, v32
	v_sub_co_u32 v7, vcc_lo, v11, v9
	v_sub_co_ci_u32_e32 v13, vcc_lo, v12, v10, vcc_lo
	v_lshlrev_b64 v[9:10], 2, v[22:23]
	v_lshlrev_b64 v[11:12], 2, v[1:2]
	s_waitcnt lgkmcnt(0)
	s_barrier
	buffer_gl0_inv
	v_add_co_u32 v9, vcc_lo, s30, v9
	v_add_co_ci_u32_e32 v10, vcc_lo, s31, v10, vcc_lo
	v_cmp_ne_u32_e32 vcc_lo, 1, v31
	v_add_co_u32 v11, s0, s28, v11
	s_delay_alu instid0(VALU_DEP_1)
	v_add_co_ci_u32_e64 v12, s0, s29, v12, s0
	s_addc_u32 s0, s15, -1
	s_cbranch_vccz .LBB670_132
; %bb.129:
	s_and_b32 vcc_lo, exec_lo, s3
	s_cbranch_vccnz .LBB670_237
.LBB670_130:
	s_and_b32 s0, s2, s13
	s_delay_alu instid0(SALU_CYCLE_1)
	s_and_saveexec_b32 s1, s0
	s_cbranch_execnz .LBB670_355
.LBB670_131:
	s_nop 0
	s_sendmsg sendmsg(MSG_DEALLOC_VGPRS)
	s_endpgm
.LBB670_132:
	s_mov_b32 s3, exec_lo
	v_cmpx_le_u32_e64 v5, v0
	s_xor_b32 s3, exec_lo, s3
	s_cbranch_execz .LBB670_138
; %bb.133:
	s_mov_b32 s5, exec_lo
	v_cmpx_le_u32_e64 v14, v0
	s_xor_b32 s5, exec_lo, s5
	s_cbranch_execz .LBB670_135
; %bb.134:
	v_lshlrev_b32_e32 v15, 2, v0
	ds_load_b32 v17, v15
	v_add_co_u32 v15, vcc_lo, v7, v0
	v_add_co_ci_u32_e32 v16, vcc_lo, 0, v13, vcc_lo
	s_delay_alu instid0(VALU_DEP_1) | instskip(NEXT) | instid1(VALU_DEP_1)
	v_lshlrev_b64 v[15:16], 2, v[15:16]
	v_sub_co_u32 v15, vcc_lo, s14, v15
	s_delay_alu instid0(VALU_DEP_2)
	v_sub_co_ci_u32_e32 v16, vcc_lo, s15, v16, vcc_lo
	s_waitcnt lgkmcnt(0)
	global_store_b32 v[15:16], v17, off offset:-4
.LBB670_135:
	s_and_not1_saveexec_b32 s5, s5
	s_cbranch_execz .LBB670_137
; %bb.136:
	v_lshlrev_b32_e32 v15, 2, v0
	v_readfirstlane_b32 s6, v9
	v_readfirstlane_b32 s7, v10
	ds_load_b32 v16, v15
	s_waitcnt lgkmcnt(0)
	global_store_b32 v15, v16, s[6:7]
.LBB670_137:
	s_or_b32 exec_lo, exec_lo, s5
.LBB670_138:
	s_and_not1_saveexec_b32 s3, s3
	s_cbranch_execz .LBB670_140
; %bb.139:
	v_lshlrev_b32_e32 v15, 2, v0
	v_readfirstlane_b32 s6, v11
	v_readfirstlane_b32 s7, v12
	ds_load_b32 v16, v15
	s_waitcnt lgkmcnt(0)
	global_store_b32 v15, v16, s[6:7]
.LBB670_140:
	s_or_b32 exec_lo, exec_lo, s3
	v_or_b32_e32 v15, 0x100, v0
	s_mov_b32 s3, exec_lo
	s_delay_alu instid0(VALU_DEP_1)
	v_cmpx_le_u32_e64 v5, v15
	s_xor_b32 s3, exec_lo, s3
	s_cbranch_execz .LBB670_146
; %bb.141:
	s_mov_b32 s5, exec_lo
	v_cmpx_le_u32_e64 v14, v15
	s_xor_b32 s5, exec_lo, s5
	s_cbranch_execz .LBB670_143
; %bb.142:
	v_lshlrev_b32_e32 v15, 2, v0
	ds_load_b32 v17, v15 offset:1024
	v_add_co_u32 v15, vcc_lo, v7, v0
	v_add_co_ci_u32_e32 v16, vcc_lo, 0, v13, vcc_lo
	s_delay_alu instid0(VALU_DEP_1) | instskip(NEXT) | instid1(VALU_DEP_1)
	v_lshlrev_b64 v[15:16], 2, v[15:16]
	v_sub_co_u32 v15, vcc_lo, s1, v15
	s_delay_alu instid0(VALU_DEP_2)
	v_sub_co_ci_u32_e32 v16, vcc_lo, s0, v16, vcc_lo
	s_waitcnt lgkmcnt(0)
	global_store_b32 v[15:16], v17, off offset:-1024
.LBB670_143:
	s_and_not1_saveexec_b32 s5, s5
	s_cbranch_execz .LBB670_145
; %bb.144:
	v_lshlrev_b32_e32 v15, 2, v0
	v_readfirstlane_b32 s6, v9
	v_readfirstlane_b32 s7, v10
	ds_load_b32 v16, v15 offset:1024
	s_waitcnt lgkmcnt(0)
	global_store_b32 v15, v16, s[6:7] offset:1024
.LBB670_145:
	s_or_b32 exec_lo, exec_lo, s5
.LBB670_146:
	s_and_not1_saveexec_b32 s3, s3
	s_cbranch_execz .LBB670_148
; %bb.147:
	v_lshlrev_b32_e32 v15, 2, v0
	v_readfirstlane_b32 s6, v11
	v_readfirstlane_b32 s7, v12
	ds_load_b32 v16, v15 offset:1024
	s_waitcnt lgkmcnt(0)
	global_store_b32 v15, v16, s[6:7] offset:1024
.LBB670_148:
	s_or_b32 exec_lo, exec_lo, s3
	v_or_b32_e32 v15, 0x200, v0
	s_mov_b32 s3, exec_lo
	s_delay_alu instid0(VALU_DEP_1)
	v_cmpx_le_u32_e64 v5, v15
	s_xor_b32 s3, exec_lo, s3
	s_cbranch_execz .LBB670_154
; %bb.149:
	s_mov_b32 s5, exec_lo
	v_cmpx_le_u32_e64 v14, v15
	s_xor_b32 s5, exec_lo, s5
	s_cbranch_execz .LBB670_151
; %bb.150:
	v_lshlrev_b32_e32 v15, 2, v0
	ds_load_b32 v17, v15 offset:2048
	v_add_co_u32 v15, vcc_lo, v7, v0
	v_add_co_ci_u32_e32 v16, vcc_lo, 0, v13, vcc_lo
	s_delay_alu instid0(VALU_DEP_1) | instskip(NEXT) | instid1(VALU_DEP_1)
	v_lshlrev_b64 v[15:16], 2, v[15:16]
	v_sub_co_u32 v15, vcc_lo, s1, v15
	s_delay_alu instid0(VALU_DEP_2)
	v_sub_co_ci_u32_e32 v16, vcc_lo, s0, v16, vcc_lo
	s_waitcnt lgkmcnt(0)
	global_store_b32 v[15:16], v17, off offset:-2048
.LBB670_151:
	s_and_not1_saveexec_b32 s5, s5
	s_cbranch_execz .LBB670_153
; %bb.152:
	v_lshlrev_b32_e32 v15, 2, v0
	v_readfirstlane_b32 s6, v9
	v_readfirstlane_b32 s7, v10
	ds_load_b32 v16, v15 offset:2048
	s_waitcnt lgkmcnt(0)
	global_store_b32 v15, v16, s[6:7] offset:2048
.LBB670_153:
	s_or_b32 exec_lo, exec_lo, s5
.LBB670_154:
	s_and_not1_saveexec_b32 s3, s3
	s_cbranch_execz .LBB670_156
; %bb.155:
	v_lshlrev_b32_e32 v15, 2, v0
	v_readfirstlane_b32 s6, v11
	v_readfirstlane_b32 s7, v12
	ds_load_b32 v16, v15 offset:2048
	s_waitcnt lgkmcnt(0)
	global_store_b32 v15, v16, s[6:7] offset:2048
.LBB670_156:
	;; [unrolled: 47-line block ×3, first 2 shown]
	s_or_b32 exec_lo, exec_lo, s3
	v_or_b32_e32 v15, 0x400, v0
	s_mov_b32 s3, exec_lo
	s_delay_alu instid0(VALU_DEP_1)
	v_cmpx_le_u32_e64 v5, v15
	s_xor_b32 s3, exec_lo, s3
	s_cbranch_execz .LBB670_170
; %bb.165:
	s_mov_b32 s5, exec_lo
	v_cmpx_le_u32_e64 v14, v15
	s_xor_b32 s5, exec_lo, s5
	s_cbranch_execz .LBB670_167
; %bb.166:
	v_lshlrev_b32_e32 v15, 2, v0
	ds_load_b32 v17, v15 offset:4096
	v_add_co_u32 v15, vcc_lo, v7, v0
	v_add_co_ci_u32_e32 v16, vcc_lo, 0, v13, vcc_lo
	s_delay_alu instid0(VALU_DEP_1) | instskip(NEXT) | instid1(VALU_DEP_1)
	v_lshlrev_b64 v[15:16], 2, v[15:16]
	v_sub_co_u32 v15, vcc_lo, s1, v15
	s_delay_alu instid0(VALU_DEP_2)
	v_sub_co_ci_u32_e32 v16, vcc_lo, s0, v16, vcc_lo
	s_waitcnt lgkmcnt(0)
	global_store_b32 v[15:16], v17, off offset:-4096
                                        ; implicit-def: $vgpr15
.LBB670_167:
	s_and_not1_saveexec_b32 s5, s5
	s_cbranch_execz .LBB670_169
; %bb.168:
	v_lshlrev_b32_e32 v16, 2, v0
	v_lshlrev_b32_e32 v15, 2, v15
	v_readfirstlane_b32 s6, v9
	v_readfirstlane_b32 s7, v10
	ds_load_b32 v16, v16 offset:4096
	s_waitcnt lgkmcnt(0)
	global_store_b32 v15, v16, s[6:7]
.LBB670_169:
	s_or_b32 exec_lo, exec_lo, s5
                                        ; implicit-def: $vgpr15
.LBB670_170:
	s_and_not1_saveexec_b32 s3, s3
	s_cbranch_execz .LBB670_172
; %bb.171:
	v_lshlrev_b32_e32 v16, 2, v0
	v_lshlrev_b32_e32 v15, 2, v15
	v_readfirstlane_b32 s6, v11
	v_readfirstlane_b32 s7, v12
	ds_load_b32 v16, v16 offset:4096
	s_waitcnt lgkmcnt(0)
	global_store_b32 v15, v16, s[6:7]
.LBB670_172:
	s_or_b32 exec_lo, exec_lo, s3
	v_or_b32_e32 v15, 0x500, v0
	s_mov_b32 s3, exec_lo
	s_delay_alu instid0(VALU_DEP_1)
	v_cmpx_le_u32_e64 v5, v15
	s_xor_b32 s3, exec_lo, s3
	s_cbranch_execz .LBB670_178
; %bb.173:
	s_mov_b32 s5, exec_lo
	v_cmpx_le_u32_e64 v14, v15
	s_xor_b32 s5, exec_lo, s5
	s_cbranch_execz .LBB670_175
; %bb.174:
	v_lshlrev_b32_e32 v16, 2, v0
	v_add_co_u32 v15, vcc_lo, v7, v15
	ds_load_b32 v17, v16 offset:5120
	v_add_co_ci_u32_e32 v16, vcc_lo, 0, v13, vcc_lo
	s_delay_alu instid0(VALU_DEP_1) | instskip(NEXT) | instid1(VALU_DEP_1)
	v_lshlrev_b64 v[15:16], 2, v[15:16]
	v_sub_co_u32 v15, vcc_lo, s1, v15
	s_delay_alu instid0(VALU_DEP_2)
	v_sub_co_ci_u32_e32 v16, vcc_lo, s0, v16, vcc_lo
	s_waitcnt lgkmcnt(0)
	global_store_b32 v[15:16], v17, off
                                        ; implicit-def: $vgpr15
.LBB670_175:
	s_and_not1_saveexec_b32 s5, s5
	s_cbranch_execz .LBB670_177
; %bb.176:
	v_lshlrev_b32_e32 v16, 2, v0
	v_lshlrev_b32_e32 v15, 2, v15
	v_readfirstlane_b32 s6, v9
	v_readfirstlane_b32 s7, v10
	ds_load_b32 v16, v16 offset:5120
	s_waitcnt lgkmcnt(0)
	global_store_b32 v15, v16, s[6:7]
.LBB670_177:
	s_or_b32 exec_lo, exec_lo, s5
                                        ; implicit-def: $vgpr15
.LBB670_178:
	s_and_not1_saveexec_b32 s3, s3
	s_cbranch_execz .LBB670_180
; %bb.179:
	v_lshlrev_b32_e32 v16, 2, v0
	v_lshlrev_b32_e32 v15, 2, v15
	v_readfirstlane_b32 s6, v11
	v_readfirstlane_b32 s7, v12
	ds_load_b32 v16, v16 offset:5120
	s_waitcnt lgkmcnt(0)
	global_store_b32 v15, v16, s[6:7]
.LBB670_180:
	s_or_b32 exec_lo, exec_lo, s3
	v_or_b32_e32 v15, 0x600, v0
	s_mov_b32 s3, exec_lo
	s_delay_alu instid0(VALU_DEP_1)
	v_cmpx_le_u32_e64 v5, v15
	s_xor_b32 s3, exec_lo, s3
	s_cbranch_execz .LBB670_186
; %bb.181:
	s_mov_b32 s5, exec_lo
	v_cmpx_le_u32_e64 v14, v15
	s_xor_b32 s5, exec_lo, s5
	s_cbranch_execz .LBB670_183
; %bb.182:
	v_lshlrev_b32_e32 v16, 2, v0
	v_add_co_u32 v15, vcc_lo, v7, v15
	ds_load_b32 v17, v16 offset:6144
	v_add_co_ci_u32_e32 v16, vcc_lo, 0, v13, vcc_lo
	s_delay_alu instid0(VALU_DEP_1) | instskip(NEXT) | instid1(VALU_DEP_1)
	v_lshlrev_b64 v[15:16], 2, v[15:16]
	v_sub_co_u32 v15, vcc_lo, s1, v15
	s_delay_alu instid0(VALU_DEP_2)
	v_sub_co_ci_u32_e32 v16, vcc_lo, s0, v16, vcc_lo
	s_waitcnt lgkmcnt(0)
	global_store_b32 v[15:16], v17, off
                                        ; implicit-def: $vgpr15
.LBB670_183:
	s_and_not1_saveexec_b32 s5, s5
	s_cbranch_execz .LBB670_185
; %bb.184:
	v_lshlrev_b32_e32 v16, 2, v0
	v_lshlrev_b32_e32 v15, 2, v15
	v_readfirstlane_b32 s6, v9
	v_readfirstlane_b32 s7, v10
	ds_load_b32 v16, v16 offset:6144
	s_waitcnt lgkmcnt(0)
	global_store_b32 v15, v16, s[6:7]
.LBB670_185:
	s_or_b32 exec_lo, exec_lo, s5
                                        ; implicit-def: $vgpr15
.LBB670_186:
	;; [unrolled: 51-line block ×8, first 2 shown]
	s_and_not1_saveexec_b32 s3, s3
	s_cbranch_execz .LBB670_236
; %bb.235:
	v_lshlrev_b32_e32 v16, 2, v0
	v_lshlrev_b32_e32 v15, 2, v15
	v_readfirstlane_b32 s6, v11
	v_readfirstlane_b32 s7, v12
	ds_load_b32 v16, v16 offset:12288
	s_waitcnt lgkmcnt(0)
	global_store_b32 v15, v16, s[6:7]
.LBB670_236:
	s_or_b32 exec_lo, exec_lo, s3
	s_branch .LBB670_130
.LBB670_237:
	s_mov_b32 s3, exec_lo
	v_cmpx_gt_u32_e64 s4, v0
	s_cbranch_execz .LBB670_246
; %bb.238:
	s_mov_b32 s5, exec_lo
	v_cmpx_le_u32_e64 v5, v0
	s_xor_b32 s5, exec_lo, s5
	s_cbranch_execz .LBB670_244
; %bb.239:
	s_mov_b32 s6, exec_lo
	v_cmpx_le_u32_e64 v14, v0
	s_xor_b32 s6, exec_lo, s6
	s_cbranch_execz .LBB670_241
; %bb.240:
	v_lshlrev_b32_e32 v15, 2, v0
	ds_load_b32 v17, v15
	v_add_co_u32 v15, vcc_lo, v7, v0
	v_add_co_ci_u32_e32 v16, vcc_lo, 0, v13, vcc_lo
	s_delay_alu instid0(VALU_DEP_1) | instskip(NEXT) | instid1(VALU_DEP_1)
	v_lshlrev_b64 v[15:16], 2, v[15:16]
	v_sub_co_u32 v15, vcc_lo, s14, v15
	s_delay_alu instid0(VALU_DEP_2)
	v_sub_co_ci_u32_e32 v16, vcc_lo, s15, v16, vcc_lo
	s_waitcnt lgkmcnt(0)
	global_store_b32 v[15:16], v17, off offset:-4
.LBB670_241:
	s_and_not1_saveexec_b32 s6, s6
	s_cbranch_execz .LBB670_243
; %bb.242:
	v_lshlrev_b32_e32 v15, 2, v0
	v_readfirstlane_b32 s8, v9
	v_readfirstlane_b32 s9, v10
	ds_load_b32 v16, v15
	s_waitcnt lgkmcnt(0)
	global_store_b32 v15, v16, s[8:9]
.LBB670_243:
	s_or_b32 exec_lo, exec_lo, s6
.LBB670_244:
	s_and_not1_saveexec_b32 s5, s5
	s_cbranch_execz .LBB670_246
; %bb.245:
	v_lshlrev_b32_e32 v15, 2, v0
	v_readfirstlane_b32 s6, v11
	v_readfirstlane_b32 s7, v12
	ds_load_b32 v16, v15
	s_waitcnt lgkmcnt(0)
	global_store_b32 v15, v16, s[6:7]
.LBB670_246:
	s_or_b32 exec_lo, exec_lo, s3
	v_or_b32_e32 v15, 0x100, v0
	s_mov_b32 s3, exec_lo
	s_delay_alu instid0(VALU_DEP_1)
	v_cmpx_gt_u32_e64 s4, v15
	s_cbranch_execz .LBB670_255
; %bb.247:
	s_mov_b32 s5, exec_lo
	v_cmpx_le_u32_e64 v5, v15
	s_xor_b32 s5, exec_lo, s5
	s_cbranch_execz .LBB670_253
; %bb.248:
	s_mov_b32 s6, exec_lo
	v_cmpx_le_u32_e64 v14, v15
	s_xor_b32 s6, exec_lo, s6
	s_cbranch_execz .LBB670_250
; %bb.249:
	v_lshlrev_b32_e32 v15, 2, v0
	ds_load_b32 v17, v15 offset:1024
	v_add_co_u32 v15, vcc_lo, v7, v0
	v_add_co_ci_u32_e32 v16, vcc_lo, 0, v13, vcc_lo
	s_delay_alu instid0(VALU_DEP_1) | instskip(NEXT) | instid1(VALU_DEP_1)
	v_lshlrev_b64 v[15:16], 2, v[15:16]
	v_sub_co_u32 v15, vcc_lo, s1, v15
	s_delay_alu instid0(VALU_DEP_2)
	v_sub_co_ci_u32_e32 v16, vcc_lo, s0, v16, vcc_lo
	s_waitcnt lgkmcnt(0)
	global_store_b32 v[15:16], v17, off offset:-1024
.LBB670_250:
	s_and_not1_saveexec_b32 s6, s6
	s_cbranch_execz .LBB670_252
; %bb.251:
	v_lshlrev_b32_e32 v15, 2, v0
	v_readfirstlane_b32 s8, v9
	v_readfirstlane_b32 s9, v10
	ds_load_b32 v16, v15 offset:1024
	s_waitcnt lgkmcnt(0)
	global_store_b32 v15, v16, s[8:9] offset:1024
.LBB670_252:
	s_or_b32 exec_lo, exec_lo, s6
.LBB670_253:
	s_and_not1_saveexec_b32 s5, s5
	s_cbranch_execz .LBB670_255
; %bb.254:
	v_lshlrev_b32_e32 v15, 2, v0
	v_readfirstlane_b32 s6, v11
	v_readfirstlane_b32 s7, v12
	ds_load_b32 v16, v15 offset:1024
	s_waitcnt lgkmcnt(0)
	global_store_b32 v15, v16, s[6:7] offset:1024
.LBB670_255:
	s_or_b32 exec_lo, exec_lo, s3
	v_or_b32_e32 v15, 0x200, v0
	s_mov_b32 s3, exec_lo
	s_delay_alu instid0(VALU_DEP_1)
	v_cmpx_gt_u32_e64 s4, v15
	s_cbranch_execz .LBB670_264
; %bb.256:
	s_mov_b32 s5, exec_lo
	v_cmpx_le_u32_e64 v5, v15
	s_xor_b32 s5, exec_lo, s5
	s_cbranch_execz .LBB670_262
; %bb.257:
	s_mov_b32 s6, exec_lo
	v_cmpx_le_u32_e64 v14, v15
	s_xor_b32 s6, exec_lo, s6
	s_cbranch_execz .LBB670_259
; %bb.258:
	v_lshlrev_b32_e32 v15, 2, v0
	ds_load_b32 v17, v15 offset:2048
	v_add_co_u32 v15, vcc_lo, v7, v0
	v_add_co_ci_u32_e32 v16, vcc_lo, 0, v13, vcc_lo
	s_delay_alu instid0(VALU_DEP_1) | instskip(NEXT) | instid1(VALU_DEP_1)
	v_lshlrev_b64 v[15:16], 2, v[15:16]
	v_sub_co_u32 v15, vcc_lo, s1, v15
	s_delay_alu instid0(VALU_DEP_2)
	v_sub_co_ci_u32_e32 v16, vcc_lo, s0, v16, vcc_lo
	s_waitcnt lgkmcnt(0)
	global_store_b32 v[15:16], v17, off offset:-2048
.LBB670_259:
	s_and_not1_saveexec_b32 s6, s6
	s_cbranch_execz .LBB670_261
; %bb.260:
	v_lshlrev_b32_e32 v15, 2, v0
	v_readfirstlane_b32 s8, v9
	v_readfirstlane_b32 s9, v10
	ds_load_b32 v16, v15 offset:2048
	s_waitcnt lgkmcnt(0)
	global_store_b32 v15, v16, s[8:9] offset:2048
.LBB670_261:
	s_or_b32 exec_lo, exec_lo, s6
.LBB670_262:
	s_and_not1_saveexec_b32 s5, s5
	s_cbranch_execz .LBB670_264
; %bb.263:
	v_lshlrev_b32_e32 v15, 2, v0
	v_readfirstlane_b32 s6, v11
	v_readfirstlane_b32 s7, v12
	ds_load_b32 v16, v15 offset:2048
	s_waitcnt lgkmcnt(0)
	global_store_b32 v15, v16, s[6:7] offset:2048
.LBB670_264:
	;; [unrolled: 51-line block ×3, first 2 shown]
	s_or_b32 exec_lo, exec_lo, s3
	v_or_b32_e32 v15, 0x400, v0
	s_mov_b32 s3, exec_lo
	s_delay_alu instid0(VALU_DEP_1)
	v_cmpx_gt_u32_e64 s4, v15
	s_cbranch_execz .LBB670_282
; %bb.274:
	s_mov_b32 s5, exec_lo
	v_cmpx_le_u32_e64 v5, v15
	s_xor_b32 s5, exec_lo, s5
	s_cbranch_execz .LBB670_280
; %bb.275:
	s_mov_b32 s6, exec_lo
	v_cmpx_le_u32_e64 v14, v15
	s_xor_b32 s6, exec_lo, s6
	s_cbranch_execz .LBB670_277
; %bb.276:
	v_lshlrev_b32_e32 v15, 2, v0
	ds_load_b32 v17, v15 offset:4096
	v_add_co_u32 v15, vcc_lo, v7, v0
	v_add_co_ci_u32_e32 v16, vcc_lo, 0, v13, vcc_lo
	s_delay_alu instid0(VALU_DEP_1) | instskip(NEXT) | instid1(VALU_DEP_1)
	v_lshlrev_b64 v[15:16], 2, v[15:16]
	v_sub_co_u32 v15, vcc_lo, s1, v15
	s_delay_alu instid0(VALU_DEP_2)
	v_sub_co_ci_u32_e32 v16, vcc_lo, s0, v16, vcc_lo
	s_waitcnt lgkmcnt(0)
	global_store_b32 v[15:16], v17, off offset:-4096
                                        ; implicit-def: $vgpr15
.LBB670_277:
	s_and_not1_saveexec_b32 s6, s6
	s_cbranch_execz .LBB670_279
; %bb.278:
	v_lshlrev_b32_e32 v16, 2, v0
	v_lshlrev_b32_e32 v15, 2, v15
	v_readfirstlane_b32 s8, v9
	v_readfirstlane_b32 s9, v10
	ds_load_b32 v16, v16 offset:4096
	s_waitcnt lgkmcnt(0)
	global_store_b32 v15, v16, s[8:9]
.LBB670_279:
	s_or_b32 exec_lo, exec_lo, s6
                                        ; implicit-def: $vgpr15
.LBB670_280:
	s_and_not1_saveexec_b32 s5, s5
	s_cbranch_execz .LBB670_282
; %bb.281:
	v_lshlrev_b32_e32 v16, 2, v0
	v_lshlrev_b32_e32 v15, 2, v15
	v_readfirstlane_b32 s6, v11
	v_readfirstlane_b32 s7, v12
	ds_load_b32 v16, v16 offset:4096
	s_waitcnt lgkmcnt(0)
	global_store_b32 v15, v16, s[6:7]
.LBB670_282:
	s_or_b32 exec_lo, exec_lo, s3
	v_or_b32_e32 v15, 0x500, v0
	s_mov_b32 s3, exec_lo
	s_delay_alu instid0(VALU_DEP_1)
	v_cmpx_gt_u32_e64 s4, v15
	s_cbranch_execz .LBB670_291
; %bb.283:
	s_mov_b32 s5, exec_lo
	v_cmpx_le_u32_e64 v5, v15
	s_xor_b32 s5, exec_lo, s5
	s_cbranch_execz .LBB670_289
; %bb.284:
	s_mov_b32 s6, exec_lo
	v_cmpx_le_u32_e64 v14, v15
	s_xor_b32 s6, exec_lo, s6
	s_cbranch_execz .LBB670_286
; %bb.285:
	v_lshlrev_b32_e32 v16, 2, v0
	v_add_co_u32 v15, vcc_lo, v7, v15
	ds_load_b32 v17, v16 offset:5120
	v_add_co_ci_u32_e32 v16, vcc_lo, 0, v13, vcc_lo
	s_delay_alu instid0(VALU_DEP_1) | instskip(NEXT) | instid1(VALU_DEP_1)
	v_lshlrev_b64 v[15:16], 2, v[15:16]
	v_sub_co_u32 v15, vcc_lo, s1, v15
	s_delay_alu instid0(VALU_DEP_2)
	v_sub_co_ci_u32_e32 v16, vcc_lo, s0, v16, vcc_lo
	s_waitcnt lgkmcnt(0)
	global_store_b32 v[15:16], v17, off
                                        ; implicit-def: $vgpr15
.LBB670_286:
	s_and_not1_saveexec_b32 s6, s6
	s_cbranch_execz .LBB670_288
; %bb.287:
	v_lshlrev_b32_e32 v16, 2, v0
	v_lshlrev_b32_e32 v15, 2, v15
	v_readfirstlane_b32 s8, v9
	v_readfirstlane_b32 s9, v10
	ds_load_b32 v16, v16 offset:5120
	s_waitcnt lgkmcnt(0)
	global_store_b32 v15, v16, s[8:9]
.LBB670_288:
	s_or_b32 exec_lo, exec_lo, s6
                                        ; implicit-def: $vgpr15
.LBB670_289:
	s_and_not1_saveexec_b32 s5, s5
	s_cbranch_execz .LBB670_291
; %bb.290:
	v_lshlrev_b32_e32 v16, 2, v0
	v_lshlrev_b32_e32 v15, 2, v15
	v_readfirstlane_b32 s6, v11
	v_readfirstlane_b32 s7, v12
	ds_load_b32 v16, v16 offset:5120
	s_waitcnt lgkmcnt(0)
	global_store_b32 v15, v16, s[6:7]
.LBB670_291:
	s_or_b32 exec_lo, exec_lo, s3
	v_or_b32_e32 v15, 0x600, v0
	s_mov_b32 s3, exec_lo
	s_delay_alu instid0(VALU_DEP_1)
	v_cmpx_gt_u32_e64 s4, v15
	s_cbranch_execz .LBB670_300
; %bb.292:
	s_mov_b32 s5, exec_lo
	v_cmpx_le_u32_e64 v5, v15
	s_xor_b32 s5, exec_lo, s5
	s_cbranch_execz .LBB670_298
; %bb.293:
	s_mov_b32 s6, exec_lo
	v_cmpx_le_u32_e64 v14, v15
	s_xor_b32 s6, exec_lo, s6
	s_cbranch_execz .LBB670_295
; %bb.294:
	v_lshlrev_b32_e32 v16, 2, v0
	v_add_co_u32 v15, vcc_lo, v7, v15
	ds_load_b32 v17, v16 offset:6144
	v_add_co_ci_u32_e32 v16, vcc_lo, 0, v13, vcc_lo
	s_delay_alu instid0(VALU_DEP_1) | instskip(NEXT) | instid1(VALU_DEP_1)
	v_lshlrev_b64 v[15:16], 2, v[15:16]
	v_sub_co_u32 v15, vcc_lo, s1, v15
	s_delay_alu instid0(VALU_DEP_2)
	v_sub_co_ci_u32_e32 v16, vcc_lo, s0, v16, vcc_lo
	s_waitcnt lgkmcnt(0)
	global_store_b32 v[15:16], v17, off
                                        ; implicit-def: $vgpr15
.LBB670_295:
	s_and_not1_saveexec_b32 s6, s6
	s_cbranch_execz .LBB670_297
; %bb.296:
	v_lshlrev_b32_e32 v16, 2, v0
	v_lshlrev_b32_e32 v15, 2, v15
	v_readfirstlane_b32 s8, v9
	v_readfirstlane_b32 s9, v10
	ds_load_b32 v16, v16 offset:6144
	s_waitcnt lgkmcnt(0)
	global_store_b32 v15, v16, s[8:9]
.LBB670_297:
	s_or_b32 exec_lo, exec_lo, s6
                                        ; implicit-def: $vgpr15
.LBB670_298:
	s_and_not1_saveexec_b32 s5, s5
	s_cbranch_execz .LBB670_300
; %bb.299:
	v_lshlrev_b32_e32 v16, 2, v0
	v_lshlrev_b32_e32 v15, 2, v15
	v_readfirstlane_b32 s6, v11
	v_readfirstlane_b32 s7, v12
	ds_load_b32 v16, v16 offset:6144
	s_waitcnt lgkmcnt(0)
	global_store_b32 v15, v16, s[6:7]
.LBB670_300:
	;; [unrolled: 55-line block ×7, first 2 shown]
	s_or_b32 exec_lo, exec_lo, s3
	v_or_b32_e32 v15, 0xc00, v0
	s_mov_b32 s3, exec_lo
	s_delay_alu instid0(VALU_DEP_1)
	v_cmpx_gt_u32_e64 s4, v15
	s_cbranch_execz .LBB670_354
; %bb.346:
	s_mov_b32 s4, exec_lo
	v_cmpx_le_u32_e64 v5, v15
	s_xor_b32 s4, exec_lo, s4
	s_cbranch_execz .LBB670_352
; %bb.347:
	s_mov_b32 s5, exec_lo
	v_cmpx_le_u32_e64 v14, v15
	s_xor_b32 s5, exec_lo, s5
	s_cbranch_execz .LBB670_349
; %bb.348:
	v_lshlrev_b32_e32 v0, 2, v0
	v_add_co_u32 v9, vcc_lo, v7, v15
	v_add_co_ci_u32_e32 v10, vcc_lo, 0, v13, vcc_lo
	ds_load_b32 v0, v0 offset:12288
                                        ; implicit-def: $vgpr15
	v_lshlrev_b64 v[9:10], 2, v[9:10]
	s_delay_alu instid0(VALU_DEP_1) | instskip(NEXT) | instid1(VALU_DEP_2)
	v_sub_co_u32 v9, vcc_lo, s1, v9
	v_sub_co_ci_u32_e32 v10, vcc_lo, s0, v10, vcc_lo
	s_waitcnt lgkmcnt(0)
	global_store_b32 v[9:10], v0, off
                                        ; implicit-def: $vgpr0
                                        ; implicit-def: $vgpr9_vgpr10
.LBB670_349:
	s_and_not1_saveexec_b32 s0, s5
	s_cbranch_execz .LBB670_351
; %bb.350:
	v_lshlrev_b32_e32 v0, 2, v0
	v_lshlrev_b32_e32 v7, 2, v15
	v_readfirstlane_b32 s6, v9
	v_readfirstlane_b32 s7, v10
	ds_load_b32 v0, v0 offset:12288
	s_waitcnt lgkmcnt(0)
	global_store_b32 v7, v0, s[6:7]
.LBB670_351:
	s_or_b32 exec_lo, exec_lo, s0
                                        ; implicit-def: $vgpr0
                                        ; implicit-def: $vgpr15
                                        ; implicit-def: $vgpr11_vgpr12
.LBB670_352:
	s_and_not1_saveexec_b32 s0, s4
	s_cbranch_execz .LBB670_354
; %bb.353:
	v_lshlrev_b32_e32 v0, 2, v0
	v_lshlrev_b32_e32 v7, 2, v15
	v_readfirstlane_b32 s0, v11
	v_readfirstlane_b32 s1, v12
	ds_load_b32 v0, v0 offset:12288
	s_waitcnt lgkmcnt(0)
	global_store_b32 v7, v0, s[0:1]
.LBB670_354:
	s_or_b32 exec_lo, exec_lo, s3
	s_and_b32 s0, s2, s13
	s_delay_alu instid0(SALU_CYCLE_1)
	s_and_saveexec_b32 s1, s0
	s_cbranch_execz .LBB670_131
.LBB670_355:
	v_add_co_u32 v3, vcc_lo, v3, v6
	v_add_co_ci_u32_e32 v4, vcc_lo, 0, v4, vcc_lo
	v_add_co_u32 v0, vcc_lo, v1, v5
	v_add_co_ci_u32_e32 v1, vcc_lo, 0, v2, vcc_lo
	s_delay_alu instid0(VALU_DEP_4)
	v_add_co_u32 v2, vcc_lo, v3, v8
	v_mov_b32_e32 v7, 0
	v_add_co_ci_u32_e32 v3, vcc_lo, 0, v4, vcc_lo
	global_store_b128 v7, v[0:3], s[24:25]
	s_nop 0
	s_sendmsg sendmsg(MSG_DEALLOC_VGPRS)
	s_endpgm
.LBB670_356:
	v_add_nc_u32_e32 v7, s6, v27
	s_add_i32 s8, s26, 32
	s_mov_b32 s9, 0
	v_dual_mov_b32 v9, 0 :: v_dual_add_nc_u32 v6, v26, v5
	s_lshl_b64 s[8:9], s[8:9], 4
	v_and_b32_e32 v24, 0xff0000, v7
	s_add_u32 s8, s36, s8
	s_addc_u32 s9, s37, s9
	v_and_b32_e32 v8, 0xff000000, v7
	s_delay_alu instid0(VALU_DEP_1) | instskip(SKIP_2) | instid1(VALU_DEP_1)
	v_or_b32_e32 v24, v24, v8
	v_dual_mov_b32 v8, 2 :: v_dual_and_b32 v25, 0xff00, v7
	v_and_b32_e32 v7, 0xff, v7
	v_or3_b32 v7, v24, v25, v7
	v_dual_mov_b32 v25, s9 :: v_dual_mov_b32 v24, s8
	;;#ASMSTART
	global_store_dwordx4 v[24:25], v[6:9] off	
s_waitcnt vmcnt(0)
	;;#ASMEND
	s_or_b32 exec_lo, exec_lo, s7
	s_and_saveexec_b32 s7, s3
	s_cbranch_execz .LBB670_115
.LBB670_357:
	v_mov_b32_e32 v6, s6
	v_add_nc_u32_e64 v7, 0x3400, 0
	ds_store_2addr_b32 v7, v5, v6 offset1:2
	ds_store_2addr_b32 v7, v26, v27 offset0:4 offset1:6
	s_or_b32 exec_lo, exec_lo, s7
	s_delay_alu instid0(SALU_CYCLE_1)
	s_and_b32 exec_lo, exec_lo, s2
	s_cbranch_execnz .LBB670_116
	s_branch .LBB670_117
	.section	.rodata,"a",@progbits
	.p2align	6, 0x0
	.amdhsa_kernel _ZN7rocprim17ROCPRIM_400000_NS6detail17trampoline_kernelINS0_13select_configILj256ELj13ELNS0_17block_load_methodE3ELS4_3ELS4_3ELNS0_20block_scan_algorithmE0ELj4294967295EEENS1_25partition_config_selectorILNS1_17partition_subalgoE4EjNS0_10empty_typeEbEEZZNS1_14partition_implILS8_4ELb0ES6_15HIP_vector_typeIjLj2EENS0_17counting_iteratorIjlEEPS9_SG_NS0_5tupleIJPjSI_NS0_16reverse_iteratorISI_EEEEENSH_IJSG_SG_SG_EEES9_SI_JZNS1_25segmented_radix_sort_implINS0_14default_configELb1EPKlPlSQ_SR_N2at6native12_GLOBAL__N_18offset_tEEE10hipError_tPvRmT1_PNSt15iterator_traitsISZ_E10value_typeET2_T3_PNS10_IS15_E10value_typeET4_jRbjT5_S1B_jjP12ihipStream_tbEUljE_ZNSN_ISO_Lb1ESQ_SR_SQ_SR_SV_EESW_SX_SY_SZ_S13_S14_S15_S18_S19_jS1A_jS1B_S1B_jjS1D_bEUljE0_EEESW_SX_SY_S15_S19_S1B_T6_T7_T9_mT8_S1D_bDpT10_ENKUlT_T0_E_clISt17integral_constantIbLb0EES1Q_IbLb1EEEEDaS1M_S1N_EUlS1M_E_NS1_11comp_targetILNS1_3genE9ELNS1_11target_archE1100ELNS1_3gpuE3ELNS1_3repE0EEENS1_30default_config_static_selectorELNS0_4arch9wavefront6targetE0EEEvSZ_
		.amdhsa_group_segment_fixed_size 13340
		.amdhsa_private_segment_fixed_size 0
		.amdhsa_kernarg_size 184
		.amdhsa_user_sgpr_count 15
		.amdhsa_user_sgpr_dispatch_ptr 0
		.amdhsa_user_sgpr_queue_ptr 0
		.amdhsa_user_sgpr_kernarg_segment_ptr 1
		.amdhsa_user_sgpr_dispatch_id 0
		.amdhsa_user_sgpr_private_segment_size 0
		.amdhsa_wavefront_size32 1
		.amdhsa_uses_dynamic_stack 0
		.amdhsa_enable_private_segment 0
		.amdhsa_system_sgpr_workgroup_id_x 1
		.amdhsa_system_sgpr_workgroup_id_y 0
		.amdhsa_system_sgpr_workgroup_id_z 0
		.amdhsa_system_sgpr_workgroup_info 0
		.amdhsa_system_vgpr_workitem_id 0
		.amdhsa_next_free_vgpr 103
		.amdhsa_next_free_sgpr 55
		.amdhsa_reserve_vcc 1
		.amdhsa_float_round_mode_32 0
		.amdhsa_float_round_mode_16_64 0
		.amdhsa_float_denorm_mode_32 3
		.amdhsa_float_denorm_mode_16_64 3
		.amdhsa_dx10_clamp 1
		.amdhsa_ieee_mode 1
		.amdhsa_fp16_overflow 0
		.amdhsa_workgroup_processor_mode 1
		.amdhsa_memory_ordered 1
		.amdhsa_forward_progress 0
		.amdhsa_shared_vgpr_count 0
		.amdhsa_exception_fp_ieee_invalid_op 0
		.amdhsa_exception_fp_denorm_src 0
		.amdhsa_exception_fp_ieee_div_zero 0
		.amdhsa_exception_fp_ieee_overflow 0
		.amdhsa_exception_fp_ieee_underflow 0
		.amdhsa_exception_fp_ieee_inexact 0
		.amdhsa_exception_int_div_zero 0
	.end_amdhsa_kernel
	.section	.text._ZN7rocprim17ROCPRIM_400000_NS6detail17trampoline_kernelINS0_13select_configILj256ELj13ELNS0_17block_load_methodE3ELS4_3ELS4_3ELNS0_20block_scan_algorithmE0ELj4294967295EEENS1_25partition_config_selectorILNS1_17partition_subalgoE4EjNS0_10empty_typeEbEEZZNS1_14partition_implILS8_4ELb0ES6_15HIP_vector_typeIjLj2EENS0_17counting_iteratorIjlEEPS9_SG_NS0_5tupleIJPjSI_NS0_16reverse_iteratorISI_EEEEENSH_IJSG_SG_SG_EEES9_SI_JZNS1_25segmented_radix_sort_implINS0_14default_configELb1EPKlPlSQ_SR_N2at6native12_GLOBAL__N_18offset_tEEE10hipError_tPvRmT1_PNSt15iterator_traitsISZ_E10value_typeET2_T3_PNS10_IS15_E10value_typeET4_jRbjT5_S1B_jjP12ihipStream_tbEUljE_ZNSN_ISO_Lb1ESQ_SR_SQ_SR_SV_EESW_SX_SY_SZ_S13_S14_S15_S18_S19_jS1A_jS1B_S1B_jjS1D_bEUljE0_EEESW_SX_SY_S15_S19_S1B_T6_T7_T9_mT8_S1D_bDpT10_ENKUlT_T0_E_clISt17integral_constantIbLb0EES1Q_IbLb1EEEEDaS1M_S1N_EUlS1M_E_NS1_11comp_targetILNS1_3genE9ELNS1_11target_archE1100ELNS1_3gpuE3ELNS1_3repE0EEENS1_30default_config_static_selectorELNS0_4arch9wavefront6targetE0EEEvSZ_,"axG",@progbits,_ZN7rocprim17ROCPRIM_400000_NS6detail17trampoline_kernelINS0_13select_configILj256ELj13ELNS0_17block_load_methodE3ELS4_3ELS4_3ELNS0_20block_scan_algorithmE0ELj4294967295EEENS1_25partition_config_selectorILNS1_17partition_subalgoE4EjNS0_10empty_typeEbEEZZNS1_14partition_implILS8_4ELb0ES6_15HIP_vector_typeIjLj2EENS0_17counting_iteratorIjlEEPS9_SG_NS0_5tupleIJPjSI_NS0_16reverse_iteratorISI_EEEEENSH_IJSG_SG_SG_EEES9_SI_JZNS1_25segmented_radix_sort_implINS0_14default_configELb1EPKlPlSQ_SR_N2at6native12_GLOBAL__N_18offset_tEEE10hipError_tPvRmT1_PNSt15iterator_traitsISZ_E10value_typeET2_T3_PNS10_IS15_E10value_typeET4_jRbjT5_S1B_jjP12ihipStream_tbEUljE_ZNSN_ISO_Lb1ESQ_SR_SQ_SR_SV_EESW_SX_SY_SZ_S13_S14_S15_S18_S19_jS1A_jS1B_S1B_jjS1D_bEUljE0_EEESW_SX_SY_S15_S19_S1B_T6_T7_T9_mT8_S1D_bDpT10_ENKUlT_T0_E_clISt17integral_constantIbLb0EES1Q_IbLb1EEEEDaS1M_S1N_EUlS1M_E_NS1_11comp_targetILNS1_3genE9ELNS1_11target_archE1100ELNS1_3gpuE3ELNS1_3repE0EEENS1_30default_config_static_selectorELNS0_4arch9wavefront6targetE0EEEvSZ_,comdat
.Lfunc_end670:
	.size	_ZN7rocprim17ROCPRIM_400000_NS6detail17trampoline_kernelINS0_13select_configILj256ELj13ELNS0_17block_load_methodE3ELS4_3ELS4_3ELNS0_20block_scan_algorithmE0ELj4294967295EEENS1_25partition_config_selectorILNS1_17partition_subalgoE4EjNS0_10empty_typeEbEEZZNS1_14partition_implILS8_4ELb0ES6_15HIP_vector_typeIjLj2EENS0_17counting_iteratorIjlEEPS9_SG_NS0_5tupleIJPjSI_NS0_16reverse_iteratorISI_EEEEENSH_IJSG_SG_SG_EEES9_SI_JZNS1_25segmented_radix_sort_implINS0_14default_configELb1EPKlPlSQ_SR_N2at6native12_GLOBAL__N_18offset_tEEE10hipError_tPvRmT1_PNSt15iterator_traitsISZ_E10value_typeET2_T3_PNS10_IS15_E10value_typeET4_jRbjT5_S1B_jjP12ihipStream_tbEUljE_ZNSN_ISO_Lb1ESQ_SR_SQ_SR_SV_EESW_SX_SY_SZ_S13_S14_S15_S18_S19_jS1A_jS1B_S1B_jjS1D_bEUljE0_EEESW_SX_SY_S15_S19_S1B_T6_T7_T9_mT8_S1D_bDpT10_ENKUlT_T0_E_clISt17integral_constantIbLb0EES1Q_IbLb1EEEEDaS1M_S1N_EUlS1M_E_NS1_11comp_targetILNS1_3genE9ELNS1_11target_archE1100ELNS1_3gpuE3ELNS1_3repE0EEENS1_30default_config_static_selectorELNS0_4arch9wavefront6targetE0EEEvSZ_, .Lfunc_end670-_ZN7rocprim17ROCPRIM_400000_NS6detail17trampoline_kernelINS0_13select_configILj256ELj13ELNS0_17block_load_methodE3ELS4_3ELS4_3ELNS0_20block_scan_algorithmE0ELj4294967295EEENS1_25partition_config_selectorILNS1_17partition_subalgoE4EjNS0_10empty_typeEbEEZZNS1_14partition_implILS8_4ELb0ES6_15HIP_vector_typeIjLj2EENS0_17counting_iteratorIjlEEPS9_SG_NS0_5tupleIJPjSI_NS0_16reverse_iteratorISI_EEEEENSH_IJSG_SG_SG_EEES9_SI_JZNS1_25segmented_radix_sort_implINS0_14default_configELb1EPKlPlSQ_SR_N2at6native12_GLOBAL__N_18offset_tEEE10hipError_tPvRmT1_PNSt15iterator_traitsISZ_E10value_typeET2_T3_PNS10_IS15_E10value_typeET4_jRbjT5_S1B_jjP12ihipStream_tbEUljE_ZNSN_ISO_Lb1ESQ_SR_SQ_SR_SV_EESW_SX_SY_SZ_S13_S14_S15_S18_S19_jS1A_jS1B_S1B_jjS1D_bEUljE0_EEESW_SX_SY_S15_S19_S1B_T6_T7_T9_mT8_S1D_bDpT10_ENKUlT_T0_E_clISt17integral_constantIbLb0EES1Q_IbLb1EEEEDaS1M_S1N_EUlS1M_E_NS1_11comp_targetILNS1_3genE9ELNS1_11target_archE1100ELNS1_3gpuE3ELNS1_3repE0EEENS1_30default_config_static_selectorELNS0_4arch9wavefront6targetE0EEEvSZ_
                                        ; -- End function
	.section	.AMDGPU.csdata,"",@progbits
; Kernel info:
; codeLenInByte = 15060
; NumSgprs: 57
; NumVgprs: 103
; ScratchSize: 0
; MemoryBound: 0
; FloatMode: 240
; IeeeMode: 1
; LDSByteSize: 13340 bytes/workgroup (compile time only)
; SGPRBlocks: 7
; VGPRBlocks: 12
; NumSGPRsForWavesPerEU: 57
; NumVGPRsForWavesPerEU: 103
; Occupancy: 12
; WaveLimiterHint : 1
; COMPUTE_PGM_RSRC2:SCRATCH_EN: 0
; COMPUTE_PGM_RSRC2:USER_SGPR: 15
; COMPUTE_PGM_RSRC2:TRAP_HANDLER: 0
; COMPUTE_PGM_RSRC2:TGID_X_EN: 1
; COMPUTE_PGM_RSRC2:TGID_Y_EN: 0
; COMPUTE_PGM_RSRC2:TGID_Z_EN: 0
; COMPUTE_PGM_RSRC2:TIDIG_COMP_CNT: 0
	.section	.text._ZN7rocprim17ROCPRIM_400000_NS6detail17trampoline_kernelINS0_13select_configILj256ELj13ELNS0_17block_load_methodE3ELS4_3ELS4_3ELNS0_20block_scan_algorithmE0ELj4294967295EEENS1_25partition_config_selectorILNS1_17partition_subalgoE4EjNS0_10empty_typeEbEEZZNS1_14partition_implILS8_4ELb0ES6_15HIP_vector_typeIjLj2EENS0_17counting_iteratorIjlEEPS9_SG_NS0_5tupleIJPjSI_NS0_16reverse_iteratorISI_EEEEENSH_IJSG_SG_SG_EEES9_SI_JZNS1_25segmented_radix_sort_implINS0_14default_configELb1EPKlPlSQ_SR_N2at6native12_GLOBAL__N_18offset_tEEE10hipError_tPvRmT1_PNSt15iterator_traitsISZ_E10value_typeET2_T3_PNS10_IS15_E10value_typeET4_jRbjT5_S1B_jjP12ihipStream_tbEUljE_ZNSN_ISO_Lb1ESQ_SR_SQ_SR_SV_EESW_SX_SY_SZ_S13_S14_S15_S18_S19_jS1A_jS1B_S1B_jjS1D_bEUljE0_EEESW_SX_SY_S15_S19_S1B_T6_T7_T9_mT8_S1D_bDpT10_ENKUlT_T0_E_clISt17integral_constantIbLb0EES1Q_IbLb1EEEEDaS1M_S1N_EUlS1M_E_NS1_11comp_targetILNS1_3genE8ELNS1_11target_archE1030ELNS1_3gpuE2ELNS1_3repE0EEENS1_30default_config_static_selectorELNS0_4arch9wavefront6targetE0EEEvSZ_,"axG",@progbits,_ZN7rocprim17ROCPRIM_400000_NS6detail17trampoline_kernelINS0_13select_configILj256ELj13ELNS0_17block_load_methodE3ELS4_3ELS4_3ELNS0_20block_scan_algorithmE0ELj4294967295EEENS1_25partition_config_selectorILNS1_17partition_subalgoE4EjNS0_10empty_typeEbEEZZNS1_14partition_implILS8_4ELb0ES6_15HIP_vector_typeIjLj2EENS0_17counting_iteratorIjlEEPS9_SG_NS0_5tupleIJPjSI_NS0_16reverse_iteratorISI_EEEEENSH_IJSG_SG_SG_EEES9_SI_JZNS1_25segmented_radix_sort_implINS0_14default_configELb1EPKlPlSQ_SR_N2at6native12_GLOBAL__N_18offset_tEEE10hipError_tPvRmT1_PNSt15iterator_traitsISZ_E10value_typeET2_T3_PNS10_IS15_E10value_typeET4_jRbjT5_S1B_jjP12ihipStream_tbEUljE_ZNSN_ISO_Lb1ESQ_SR_SQ_SR_SV_EESW_SX_SY_SZ_S13_S14_S15_S18_S19_jS1A_jS1B_S1B_jjS1D_bEUljE0_EEESW_SX_SY_S15_S19_S1B_T6_T7_T9_mT8_S1D_bDpT10_ENKUlT_T0_E_clISt17integral_constantIbLb0EES1Q_IbLb1EEEEDaS1M_S1N_EUlS1M_E_NS1_11comp_targetILNS1_3genE8ELNS1_11target_archE1030ELNS1_3gpuE2ELNS1_3repE0EEENS1_30default_config_static_selectorELNS0_4arch9wavefront6targetE0EEEvSZ_,comdat
	.globl	_ZN7rocprim17ROCPRIM_400000_NS6detail17trampoline_kernelINS0_13select_configILj256ELj13ELNS0_17block_load_methodE3ELS4_3ELS4_3ELNS0_20block_scan_algorithmE0ELj4294967295EEENS1_25partition_config_selectorILNS1_17partition_subalgoE4EjNS0_10empty_typeEbEEZZNS1_14partition_implILS8_4ELb0ES6_15HIP_vector_typeIjLj2EENS0_17counting_iteratorIjlEEPS9_SG_NS0_5tupleIJPjSI_NS0_16reverse_iteratorISI_EEEEENSH_IJSG_SG_SG_EEES9_SI_JZNS1_25segmented_radix_sort_implINS0_14default_configELb1EPKlPlSQ_SR_N2at6native12_GLOBAL__N_18offset_tEEE10hipError_tPvRmT1_PNSt15iterator_traitsISZ_E10value_typeET2_T3_PNS10_IS15_E10value_typeET4_jRbjT5_S1B_jjP12ihipStream_tbEUljE_ZNSN_ISO_Lb1ESQ_SR_SQ_SR_SV_EESW_SX_SY_SZ_S13_S14_S15_S18_S19_jS1A_jS1B_S1B_jjS1D_bEUljE0_EEESW_SX_SY_S15_S19_S1B_T6_T7_T9_mT8_S1D_bDpT10_ENKUlT_T0_E_clISt17integral_constantIbLb0EES1Q_IbLb1EEEEDaS1M_S1N_EUlS1M_E_NS1_11comp_targetILNS1_3genE8ELNS1_11target_archE1030ELNS1_3gpuE2ELNS1_3repE0EEENS1_30default_config_static_selectorELNS0_4arch9wavefront6targetE0EEEvSZ_ ; -- Begin function _ZN7rocprim17ROCPRIM_400000_NS6detail17trampoline_kernelINS0_13select_configILj256ELj13ELNS0_17block_load_methodE3ELS4_3ELS4_3ELNS0_20block_scan_algorithmE0ELj4294967295EEENS1_25partition_config_selectorILNS1_17partition_subalgoE4EjNS0_10empty_typeEbEEZZNS1_14partition_implILS8_4ELb0ES6_15HIP_vector_typeIjLj2EENS0_17counting_iteratorIjlEEPS9_SG_NS0_5tupleIJPjSI_NS0_16reverse_iteratorISI_EEEEENSH_IJSG_SG_SG_EEES9_SI_JZNS1_25segmented_radix_sort_implINS0_14default_configELb1EPKlPlSQ_SR_N2at6native12_GLOBAL__N_18offset_tEEE10hipError_tPvRmT1_PNSt15iterator_traitsISZ_E10value_typeET2_T3_PNS10_IS15_E10value_typeET4_jRbjT5_S1B_jjP12ihipStream_tbEUljE_ZNSN_ISO_Lb1ESQ_SR_SQ_SR_SV_EESW_SX_SY_SZ_S13_S14_S15_S18_S19_jS1A_jS1B_S1B_jjS1D_bEUljE0_EEESW_SX_SY_S15_S19_S1B_T6_T7_T9_mT8_S1D_bDpT10_ENKUlT_T0_E_clISt17integral_constantIbLb0EES1Q_IbLb1EEEEDaS1M_S1N_EUlS1M_E_NS1_11comp_targetILNS1_3genE8ELNS1_11target_archE1030ELNS1_3gpuE2ELNS1_3repE0EEENS1_30default_config_static_selectorELNS0_4arch9wavefront6targetE0EEEvSZ_
	.p2align	8
	.type	_ZN7rocprim17ROCPRIM_400000_NS6detail17trampoline_kernelINS0_13select_configILj256ELj13ELNS0_17block_load_methodE3ELS4_3ELS4_3ELNS0_20block_scan_algorithmE0ELj4294967295EEENS1_25partition_config_selectorILNS1_17partition_subalgoE4EjNS0_10empty_typeEbEEZZNS1_14partition_implILS8_4ELb0ES6_15HIP_vector_typeIjLj2EENS0_17counting_iteratorIjlEEPS9_SG_NS0_5tupleIJPjSI_NS0_16reverse_iteratorISI_EEEEENSH_IJSG_SG_SG_EEES9_SI_JZNS1_25segmented_radix_sort_implINS0_14default_configELb1EPKlPlSQ_SR_N2at6native12_GLOBAL__N_18offset_tEEE10hipError_tPvRmT1_PNSt15iterator_traitsISZ_E10value_typeET2_T3_PNS10_IS15_E10value_typeET4_jRbjT5_S1B_jjP12ihipStream_tbEUljE_ZNSN_ISO_Lb1ESQ_SR_SQ_SR_SV_EESW_SX_SY_SZ_S13_S14_S15_S18_S19_jS1A_jS1B_S1B_jjS1D_bEUljE0_EEESW_SX_SY_S15_S19_S1B_T6_T7_T9_mT8_S1D_bDpT10_ENKUlT_T0_E_clISt17integral_constantIbLb0EES1Q_IbLb1EEEEDaS1M_S1N_EUlS1M_E_NS1_11comp_targetILNS1_3genE8ELNS1_11target_archE1030ELNS1_3gpuE2ELNS1_3repE0EEENS1_30default_config_static_selectorELNS0_4arch9wavefront6targetE0EEEvSZ_,@function
_ZN7rocprim17ROCPRIM_400000_NS6detail17trampoline_kernelINS0_13select_configILj256ELj13ELNS0_17block_load_methodE3ELS4_3ELS4_3ELNS0_20block_scan_algorithmE0ELj4294967295EEENS1_25partition_config_selectorILNS1_17partition_subalgoE4EjNS0_10empty_typeEbEEZZNS1_14partition_implILS8_4ELb0ES6_15HIP_vector_typeIjLj2EENS0_17counting_iteratorIjlEEPS9_SG_NS0_5tupleIJPjSI_NS0_16reverse_iteratorISI_EEEEENSH_IJSG_SG_SG_EEES9_SI_JZNS1_25segmented_radix_sort_implINS0_14default_configELb1EPKlPlSQ_SR_N2at6native12_GLOBAL__N_18offset_tEEE10hipError_tPvRmT1_PNSt15iterator_traitsISZ_E10value_typeET2_T3_PNS10_IS15_E10value_typeET4_jRbjT5_S1B_jjP12ihipStream_tbEUljE_ZNSN_ISO_Lb1ESQ_SR_SQ_SR_SV_EESW_SX_SY_SZ_S13_S14_S15_S18_S19_jS1A_jS1B_S1B_jjS1D_bEUljE0_EEESW_SX_SY_S15_S19_S1B_T6_T7_T9_mT8_S1D_bDpT10_ENKUlT_T0_E_clISt17integral_constantIbLb0EES1Q_IbLb1EEEEDaS1M_S1N_EUlS1M_E_NS1_11comp_targetILNS1_3genE8ELNS1_11target_archE1030ELNS1_3gpuE2ELNS1_3repE0EEENS1_30default_config_static_selectorELNS0_4arch9wavefront6targetE0EEEvSZ_: ; @_ZN7rocprim17ROCPRIM_400000_NS6detail17trampoline_kernelINS0_13select_configILj256ELj13ELNS0_17block_load_methodE3ELS4_3ELS4_3ELNS0_20block_scan_algorithmE0ELj4294967295EEENS1_25partition_config_selectorILNS1_17partition_subalgoE4EjNS0_10empty_typeEbEEZZNS1_14partition_implILS8_4ELb0ES6_15HIP_vector_typeIjLj2EENS0_17counting_iteratorIjlEEPS9_SG_NS0_5tupleIJPjSI_NS0_16reverse_iteratorISI_EEEEENSH_IJSG_SG_SG_EEES9_SI_JZNS1_25segmented_radix_sort_implINS0_14default_configELb1EPKlPlSQ_SR_N2at6native12_GLOBAL__N_18offset_tEEE10hipError_tPvRmT1_PNSt15iterator_traitsISZ_E10value_typeET2_T3_PNS10_IS15_E10value_typeET4_jRbjT5_S1B_jjP12ihipStream_tbEUljE_ZNSN_ISO_Lb1ESQ_SR_SQ_SR_SV_EESW_SX_SY_SZ_S13_S14_S15_S18_S19_jS1A_jS1B_S1B_jjS1D_bEUljE0_EEESW_SX_SY_S15_S19_S1B_T6_T7_T9_mT8_S1D_bDpT10_ENKUlT_T0_E_clISt17integral_constantIbLb0EES1Q_IbLb1EEEEDaS1M_S1N_EUlS1M_E_NS1_11comp_targetILNS1_3genE8ELNS1_11target_archE1030ELNS1_3gpuE2ELNS1_3repE0EEENS1_30default_config_static_selectorELNS0_4arch9wavefront6targetE0EEEvSZ_
; %bb.0:
	.section	.rodata,"a",@progbits
	.p2align	6, 0x0
	.amdhsa_kernel _ZN7rocprim17ROCPRIM_400000_NS6detail17trampoline_kernelINS0_13select_configILj256ELj13ELNS0_17block_load_methodE3ELS4_3ELS4_3ELNS0_20block_scan_algorithmE0ELj4294967295EEENS1_25partition_config_selectorILNS1_17partition_subalgoE4EjNS0_10empty_typeEbEEZZNS1_14partition_implILS8_4ELb0ES6_15HIP_vector_typeIjLj2EENS0_17counting_iteratorIjlEEPS9_SG_NS0_5tupleIJPjSI_NS0_16reverse_iteratorISI_EEEEENSH_IJSG_SG_SG_EEES9_SI_JZNS1_25segmented_radix_sort_implINS0_14default_configELb1EPKlPlSQ_SR_N2at6native12_GLOBAL__N_18offset_tEEE10hipError_tPvRmT1_PNSt15iterator_traitsISZ_E10value_typeET2_T3_PNS10_IS15_E10value_typeET4_jRbjT5_S1B_jjP12ihipStream_tbEUljE_ZNSN_ISO_Lb1ESQ_SR_SQ_SR_SV_EESW_SX_SY_SZ_S13_S14_S15_S18_S19_jS1A_jS1B_S1B_jjS1D_bEUljE0_EEESW_SX_SY_S15_S19_S1B_T6_T7_T9_mT8_S1D_bDpT10_ENKUlT_T0_E_clISt17integral_constantIbLb0EES1Q_IbLb1EEEEDaS1M_S1N_EUlS1M_E_NS1_11comp_targetILNS1_3genE8ELNS1_11target_archE1030ELNS1_3gpuE2ELNS1_3repE0EEENS1_30default_config_static_selectorELNS0_4arch9wavefront6targetE0EEEvSZ_
		.amdhsa_group_segment_fixed_size 0
		.amdhsa_private_segment_fixed_size 0
		.amdhsa_kernarg_size 184
		.amdhsa_user_sgpr_count 15
		.amdhsa_user_sgpr_dispatch_ptr 0
		.amdhsa_user_sgpr_queue_ptr 0
		.amdhsa_user_sgpr_kernarg_segment_ptr 1
		.amdhsa_user_sgpr_dispatch_id 0
		.amdhsa_user_sgpr_private_segment_size 0
		.amdhsa_wavefront_size32 1
		.amdhsa_uses_dynamic_stack 0
		.amdhsa_enable_private_segment 0
		.amdhsa_system_sgpr_workgroup_id_x 1
		.amdhsa_system_sgpr_workgroup_id_y 0
		.amdhsa_system_sgpr_workgroup_id_z 0
		.amdhsa_system_sgpr_workgroup_info 0
		.amdhsa_system_vgpr_workitem_id 0
		.amdhsa_next_free_vgpr 1
		.amdhsa_next_free_sgpr 1
		.amdhsa_reserve_vcc 0
		.amdhsa_float_round_mode_32 0
		.amdhsa_float_round_mode_16_64 0
		.amdhsa_float_denorm_mode_32 3
		.amdhsa_float_denorm_mode_16_64 3
		.amdhsa_dx10_clamp 1
		.amdhsa_ieee_mode 1
		.amdhsa_fp16_overflow 0
		.amdhsa_workgroup_processor_mode 1
		.amdhsa_memory_ordered 1
		.amdhsa_forward_progress 0
		.amdhsa_shared_vgpr_count 0
		.amdhsa_exception_fp_ieee_invalid_op 0
		.amdhsa_exception_fp_denorm_src 0
		.amdhsa_exception_fp_ieee_div_zero 0
		.amdhsa_exception_fp_ieee_overflow 0
		.amdhsa_exception_fp_ieee_underflow 0
		.amdhsa_exception_fp_ieee_inexact 0
		.amdhsa_exception_int_div_zero 0
	.end_amdhsa_kernel
	.section	.text._ZN7rocprim17ROCPRIM_400000_NS6detail17trampoline_kernelINS0_13select_configILj256ELj13ELNS0_17block_load_methodE3ELS4_3ELS4_3ELNS0_20block_scan_algorithmE0ELj4294967295EEENS1_25partition_config_selectorILNS1_17partition_subalgoE4EjNS0_10empty_typeEbEEZZNS1_14partition_implILS8_4ELb0ES6_15HIP_vector_typeIjLj2EENS0_17counting_iteratorIjlEEPS9_SG_NS0_5tupleIJPjSI_NS0_16reverse_iteratorISI_EEEEENSH_IJSG_SG_SG_EEES9_SI_JZNS1_25segmented_radix_sort_implINS0_14default_configELb1EPKlPlSQ_SR_N2at6native12_GLOBAL__N_18offset_tEEE10hipError_tPvRmT1_PNSt15iterator_traitsISZ_E10value_typeET2_T3_PNS10_IS15_E10value_typeET4_jRbjT5_S1B_jjP12ihipStream_tbEUljE_ZNSN_ISO_Lb1ESQ_SR_SQ_SR_SV_EESW_SX_SY_SZ_S13_S14_S15_S18_S19_jS1A_jS1B_S1B_jjS1D_bEUljE0_EEESW_SX_SY_S15_S19_S1B_T6_T7_T9_mT8_S1D_bDpT10_ENKUlT_T0_E_clISt17integral_constantIbLb0EES1Q_IbLb1EEEEDaS1M_S1N_EUlS1M_E_NS1_11comp_targetILNS1_3genE8ELNS1_11target_archE1030ELNS1_3gpuE2ELNS1_3repE0EEENS1_30default_config_static_selectorELNS0_4arch9wavefront6targetE0EEEvSZ_,"axG",@progbits,_ZN7rocprim17ROCPRIM_400000_NS6detail17trampoline_kernelINS0_13select_configILj256ELj13ELNS0_17block_load_methodE3ELS4_3ELS4_3ELNS0_20block_scan_algorithmE0ELj4294967295EEENS1_25partition_config_selectorILNS1_17partition_subalgoE4EjNS0_10empty_typeEbEEZZNS1_14partition_implILS8_4ELb0ES6_15HIP_vector_typeIjLj2EENS0_17counting_iteratorIjlEEPS9_SG_NS0_5tupleIJPjSI_NS0_16reverse_iteratorISI_EEEEENSH_IJSG_SG_SG_EEES9_SI_JZNS1_25segmented_radix_sort_implINS0_14default_configELb1EPKlPlSQ_SR_N2at6native12_GLOBAL__N_18offset_tEEE10hipError_tPvRmT1_PNSt15iterator_traitsISZ_E10value_typeET2_T3_PNS10_IS15_E10value_typeET4_jRbjT5_S1B_jjP12ihipStream_tbEUljE_ZNSN_ISO_Lb1ESQ_SR_SQ_SR_SV_EESW_SX_SY_SZ_S13_S14_S15_S18_S19_jS1A_jS1B_S1B_jjS1D_bEUljE0_EEESW_SX_SY_S15_S19_S1B_T6_T7_T9_mT8_S1D_bDpT10_ENKUlT_T0_E_clISt17integral_constantIbLb0EES1Q_IbLb1EEEEDaS1M_S1N_EUlS1M_E_NS1_11comp_targetILNS1_3genE8ELNS1_11target_archE1030ELNS1_3gpuE2ELNS1_3repE0EEENS1_30default_config_static_selectorELNS0_4arch9wavefront6targetE0EEEvSZ_,comdat
.Lfunc_end671:
	.size	_ZN7rocprim17ROCPRIM_400000_NS6detail17trampoline_kernelINS0_13select_configILj256ELj13ELNS0_17block_load_methodE3ELS4_3ELS4_3ELNS0_20block_scan_algorithmE0ELj4294967295EEENS1_25partition_config_selectorILNS1_17partition_subalgoE4EjNS0_10empty_typeEbEEZZNS1_14partition_implILS8_4ELb0ES6_15HIP_vector_typeIjLj2EENS0_17counting_iteratorIjlEEPS9_SG_NS0_5tupleIJPjSI_NS0_16reverse_iteratorISI_EEEEENSH_IJSG_SG_SG_EEES9_SI_JZNS1_25segmented_radix_sort_implINS0_14default_configELb1EPKlPlSQ_SR_N2at6native12_GLOBAL__N_18offset_tEEE10hipError_tPvRmT1_PNSt15iterator_traitsISZ_E10value_typeET2_T3_PNS10_IS15_E10value_typeET4_jRbjT5_S1B_jjP12ihipStream_tbEUljE_ZNSN_ISO_Lb1ESQ_SR_SQ_SR_SV_EESW_SX_SY_SZ_S13_S14_S15_S18_S19_jS1A_jS1B_S1B_jjS1D_bEUljE0_EEESW_SX_SY_S15_S19_S1B_T6_T7_T9_mT8_S1D_bDpT10_ENKUlT_T0_E_clISt17integral_constantIbLb0EES1Q_IbLb1EEEEDaS1M_S1N_EUlS1M_E_NS1_11comp_targetILNS1_3genE8ELNS1_11target_archE1030ELNS1_3gpuE2ELNS1_3repE0EEENS1_30default_config_static_selectorELNS0_4arch9wavefront6targetE0EEEvSZ_, .Lfunc_end671-_ZN7rocprim17ROCPRIM_400000_NS6detail17trampoline_kernelINS0_13select_configILj256ELj13ELNS0_17block_load_methodE3ELS4_3ELS4_3ELNS0_20block_scan_algorithmE0ELj4294967295EEENS1_25partition_config_selectorILNS1_17partition_subalgoE4EjNS0_10empty_typeEbEEZZNS1_14partition_implILS8_4ELb0ES6_15HIP_vector_typeIjLj2EENS0_17counting_iteratorIjlEEPS9_SG_NS0_5tupleIJPjSI_NS0_16reverse_iteratorISI_EEEEENSH_IJSG_SG_SG_EEES9_SI_JZNS1_25segmented_radix_sort_implINS0_14default_configELb1EPKlPlSQ_SR_N2at6native12_GLOBAL__N_18offset_tEEE10hipError_tPvRmT1_PNSt15iterator_traitsISZ_E10value_typeET2_T3_PNS10_IS15_E10value_typeET4_jRbjT5_S1B_jjP12ihipStream_tbEUljE_ZNSN_ISO_Lb1ESQ_SR_SQ_SR_SV_EESW_SX_SY_SZ_S13_S14_S15_S18_S19_jS1A_jS1B_S1B_jjS1D_bEUljE0_EEESW_SX_SY_S15_S19_S1B_T6_T7_T9_mT8_S1D_bDpT10_ENKUlT_T0_E_clISt17integral_constantIbLb0EES1Q_IbLb1EEEEDaS1M_S1N_EUlS1M_E_NS1_11comp_targetILNS1_3genE8ELNS1_11target_archE1030ELNS1_3gpuE2ELNS1_3repE0EEENS1_30default_config_static_selectorELNS0_4arch9wavefront6targetE0EEEvSZ_
                                        ; -- End function
	.section	.AMDGPU.csdata,"",@progbits
; Kernel info:
; codeLenInByte = 0
; NumSgprs: 0
; NumVgprs: 0
; ScratchSize: 0
; MemoryBound: 0
; FloatMode: 240
; IeeeMode: 1
; LDSByteSize: 0 bytes/workgroup (compile time only)
; SGPRBlocks: 0
; VGPRBlocks: 0
; NumSGPRsForWavesPerEU: 1
; NumVGPRsForWavesPerEU: 1
; Occupancy: 16
; WaveLimiterHint : 0
; COMPUTE_PGM_RSRC2:SCRATCH_EN: 0
; COMPUTE_PGM_RSRC2:USER_SGPR: 15
; COMPUTE_PGM_RSRC2:TRAP_HANDLER: 0
; COMPUTE_PGM_RSRC2:TGID_X_EN: 1
; COMPUTE_PGM_RSRC2:TGID_Y_EN: 0
; COMPUTE_PGM_RSRC2:TGID_Z_EN: 0
; COMPUTE_PGM_RSRC2:TIDIG_COMP_CNT: 0
	.section	.text._ZN7rocprim17ROCPRIM_400000_NS6detail17trampoline_kernelINS0_13select_configILj256ELj13ELNS0_17block_load_methodE3ELS4_3ELS4_3ELNS0_20block_scan_algorithmE0ELj4294967295EEENS1_25partition_config_selectorILNS1_17partition_subalgoE3EjNS0_10empty_typeEbEEZZNS1_14partition_implILS8_3ELb0ES6_jNS0_17counting_iteratorIjlEEPS9_SE_NS0_5tupleIJPjSE_EEENSF_IJSE_SE_EEES9_SG_JZNS1_25segmented_radix_sort_implINS0_14default_configELb1EPKlPlSM_SN_N2at6native12_GLOBAL__N_18offset_tEEE10hipError_tPvRmT1_PNSt15iterator_traitsISV_E10value_typeET2_T3_PNSW_IS11_E10value_typeET4_jRbjT5_S17_jjP12ihipStream_tbEUljE_EEESS_ST_SU_S11_S15_S17_T6_T7_T9_mT8_S19_bDpT10_ENKUlT_T0_E_clISt17integral_constantIbLb0EES1M_EEDaS1H_S1I_EUlS1H_E_NS1_11comp_targetILNS1_3genE0ELNS1_11target_archE4294967295ELNS1_3gpuE0ELNS1_3repE0EEENS1_30default_config_static_selectorELNS0_4arch9wavefront6targetE0EEEvSV_,"axG",@progbits,_ZN7rocprim17ROCPRIM_400000_NS6detail17trampoline_kernelINS0_13select_configILj256ELj13ELNS0_17block_load_methodE3ELS4_3ELS4_3ELNS0_20block_scan_algorithmE0ELj4294967295EEENS1_25partition_config_selectorILNS1_17partition_subalgoE3EjNS0_10empty_typeEbEEZZNS1_14partition_implILS8_3ELb0ES6_jNS0_17counting_iteratorIjlEEPS9_SE_NS0_5tupleIJPjSE_EEENSF_IJSE_SE_EEES9_SG_JZNS1_25segmented_radix_sort_implINS0_14default_configELb1EPKlPlSM_SN_N2at6native12_GLOBAL__N_18offset_tEEE10hipError_tPvRmT1_PNSt15iterator_traitsISV_E10value_typeET2_T3_PNSW_IS11_E10value_typeET4_jRbjT5_S17_jjP12ihipStream_tbEUljE_EEESS_ST_SU_S11_S15_S17_T6_T7_T9_mT8_S19_bDpT10_ENKUlT_T0_E_clISt17integral_constantIbLb0EES1M_EEDaS1H_S1I_EUlS1H_E_NS1_11comp_targetILNS1_3genE0ELNS1_11target_archE4294967295ELNS1_3gpuE0ELNS1_3repE0EEENS1_30default_config_static_selectorELNS0_4arch9wavefront6targetE0EEEvSV_,comdat
	.globl	_ZN7rocprim17ROCPRIM_400000_NS6detail17trampoline_kernelINS0_13select_configILj256ELj13ELNS0_17block_load_methodE3ELS4_3ELS4_3ELNS0_20block_scan_algorithmE0ELj4294967295EEENS1_25partition_config_selectorILNS1_17partition_subalgoE3EjNS0_10empty_typeEbEEZZNS1_14partition_implILS8_3ELb0ES6_jNS0_17counting_iteratorIjlEEPS9_SE_NS0_5tupleIJPjSE_EEENSF_IJSE_SE_EEES9_SG_JZNS1_25segmented_radix_sort_implINS0_14default_configELb1EPKlPlSM_SN_N2at6native12_GLOBAL__N_18offset_tEEE10hipError_tPvRmT1_PNSt15iterator_traitsISV_E10value_typeET2_T3_PNSW_IS11_E10value_typeET4_jRbjT5_S17_jjP12ihipStream_tbEUljE_EEESS_ST_SU_S11_S15_S17_T6_T7_T9_mT8_S19_bDpT10_ENKUlT_T0_E_clISt17integral_constantIbLb0EES1M_EEDaS1H_S1I_EUlS1H_E_NS1_11comp_targetILNS1_3genE0ELNS1_11target_archE4294967295ELNS1_3gpuE0ELNS1_3repE0EEENS1_30default_config_static_selectorELNS0_4arch9wavefront6targetE0EEEvSV_ ; -- Begin function _ZN7rocprim17ROCPRIM_400000_NS6detail17trampoline_kernelINS0_13select_configILj256ELj13ELNS0_17block_load_methodE3ELS4_3ELS4_3ELNS0_20block_scan_algorithmE0ELj4294967295EEENS1_25partition_config_selectorILNS1_17partition_subalgoE3EjNS0_10empty_typeEbEEZZNS1_14partition_implILS8_3ELb0ES6_jNS0_17counting_iteratorIjlEEPS9_SE_NS0_5tupleIJPjSE_EEENSF_IJSE_SE_EEES9_SG_JZNS1_25segmented_radix_sort_implINS0_14default_configELb1EPKlPlSM_SN_N2at6native12_GLOBAL__N_18offset_tEEE10hipError_tPvRmT1_PNSt15iterator_traitsISV_E10value_typeET2_T3_PNSW_IS11_E10value_typeET4_jRbjT5_S17_jjP12ihipStream_tbEUljE_EEESS_ST_SU_S11_S15_S17_T6_T7_T9_mT8_S19_bDpT10_ENKUlT_T0_E_clISt17integral_constantIbLb0EES1M_EEDaS1H_S1I_EUlS1H_E_NS1_11comp_targetILNS1_3genE0ELNS1_11target_archE4294967295ELNS1_3gpuE0ELNS1_3repE0EEENS1_30default_config_static_selectorELNS0_4arch9wavefront6targetE0EEEvSV_
	.p2align	8
	.type	_ZN7rocprim17ROCPRIM_400000_NS6detail17trampoline_kernelINS0_13select_configILj256ELj13ELNS0_17block_load_methodE3ELS4_3ELS4_3ELNS0_20block_scan_algorithmE0ELj4294967295EEENS1_25partition_config_selectorILNS1_17partition_subalgoE3EjNS0_10empty_typeEbEEZZNS1_14partition_implILS8_3ELb0ES6_jNS0_17counting_iteratorIjlEEPS9_SE_NS0_5tupleIJPjSE_EEENSF_IJSE_SE_EEES9_SG_JZNS1_25segmented_radix_sort_implINS0_14default_configELb1EPKlPlSM_SN_N2at6native12_GLOBAL__N_18offset_tEEE10hipError_tPvRmT1_PNSt15iterator_traitsISV_E10value_typeET2_T3_PNSW_IS11_E10value_typeET4_jRbjT5_S17_jjP12ihipStream_tbEUljE_EEESS_ST_SU_S11_S15_S17_T6_T7_T9_mT8_S19_bDpT10_ENKUlT_T0_E_clISt17integral_constantIbLb0EES1M_EEDaS1H_S1I_EUlS1H_E_NS1_11comp_targetILNS1_3genE0ELNS1_11target_archE4294967295ELNS1_3gpuE0ELNS1_3repE0EEENS1_30default_config_static_selectorELNS0_4arch9wavefront6targetE0EEEvSV_,@function
_ZN7rocprim17ROCPRIM_400000_NS6detail17trampoline_kernelINS0_13select_configILj256ELj13ELNS0_17block_load_methodE3ELS4_3ELS4_3ELNS0_20block_scan_algorithmE0ELj4294967295EEENS1_25partition_config_selectorILNS1_17partition_subalgoE3EjNS0_10empty_typeEbEEZZNS1_14partition_implILS8_3ELb0ES6_jNS0_17counting_iteratorIjlEEPS9_SE_NS0_5tupleIJPjSE_EEENSF_IJSE_SE_EEES9_SG_JZNS1_25segmented_radix_sort_implINS0_14default_configELb1EPKlPlSM_SN_N2at6native12_GLOBAL__N_18offset_tEEE10hipError_tPvRmT1_PNSt15iterator_traitsISV_E10value_typeET2_T3_PNSW_IS11_E10value_typeET4_jRbjT5_S17_jjP12ihipStream_tbEUljE_EEESS_ST_SU_S11_S15_S17_T6_T7_T9_mT8_S19_bDpT10_ENKUlT_T0_E_clISt17integral_constantIbLb0EES1M_EEDaS1H_S1I_EUlS1H_E_NS1_11comp_targetILNS1_3genE0ELNS1_11target_archE4294967295ELNS1_3gpuE0ELNS1_3repE0EEENS1_30default_config_static_selectorELNS0_4arch9wavefront6targetE0EEEvSV_: ; @_ZN7rocprim17ROCPRIM_400000_NS6detail17trampoline_kernelINS0_13select_configILj256ELj13ELNS0_17block_load_methodE3ELS4_3ELS4_3ELNS0_20block_scan_algorithmE0ELj4294967295EEENS1_25partition_config_selectorILNS1_17partition_subalgoE3EjNS0_10empty_typeEbEEZZNS1_14partition_implILS8_3ELb0ES6_jNS0_17counting_iteratorIjlEEPS9_SE_NS0_5tupleIJPjSE_EEENSF_IJSE_SE_EEES9_SG_JZNS1_25segmented_radix_sort_implINS0_14default_configELb1EPKlPlSM_SN_N2at6native12_GLOBAL__N_18offset_tEEE10hipError_tPvRmT1_PNSt15iterator_traitsISV_E10value_typeET2_T3_PNSW_IS11_E10value_typeET4_jRbjT5_S17_jjP12ihipStream_tbEUljE_EEESS_ST_SU_S11_S15_S17_T6_T7_T9_mT8_S19_bDpT10_ENKUlT_T0_E_clISt17integral_constantIbLb0EES1M_EEDaS1H_S1I_EUlS1H_E_NS1_11comp_targetILNS1_3genE0ELNS1_11target_archE4294967295ELNS1_3gpuE0ELNS1_3repE0EEENS1_30default_config_static_selectorELNS0_4arch9wavefront6targetE0EEEvSV_
; %bb.0:
	.section	.rodata,"a",@progbits
	.p2align	6, 0x0
	.amdhsa_kernel _ZN7rocprim17ROCPRIM_400000_NS6detail17trampoline_kernelINS0_13select_configILj256ELj13ELNS0_17block_load_methodE3ELS4_3ELS4_3ELNS0_20block_scan_algorithmE0ELj4294967295EEENS1_25partition_config_selectorILNS1_17partition_subalgoE3EjNS0_10empty_typeEbEEZZNS1_14partition_implILS8_3ELb0ES6_jNS0_17counting_iteratorIjlEEPS9_SE_NS0_5tupleIJPjSE_EEENSF_IJSE_SE_EEES9_SG_JZNS1_25segmented_radix_sort_implINS0_14default_configELb1EPKlPlSM_SN_N2at6native12_GLOBAL__N_18offset_tEEE10hipError_tPvRmT1_PNSt15iterator_traitsISV_E10value_typeET2_T3_PNSW_IS11_E10value_typeET4_jRbjT5_S17_jjP12ihipStream_tbEUljE_EEESS_ST_SU_S11_S15_S17_T6_T7_T9_mT8_S19_bDpT10_ENKUlT_T0_E_clISt17integral_constantIbLb0EES1M_EEDaS1H_S1I_EUlS1H_E_NS1_11comp_targetILNS1_3genE0ELNS1_11target_archE4294967295ELNS1_3gpuE0ELNS1_3repE0EEENS1_30default_config_static_selectorELNS0_4arch9wavefront6targetE0EEEvSV_
		.amdhsa_group_segment_fixed_size 0
		.amdhsa_private_segment_fixed_size 0
		.amdhsa_kernarg_size 144
		.amdhsa_user_sgpr_count 15
		.amdhsa_user_sgpr_dispatch_ptr 0
		.amdhsa_user_sgpr_queue_ptr 0
		.amdhsa_user_sgpr_kernarg_segment_ptr 1
		.amdhsa_user_sgpr_dispatch_id 0
		.amdhsa_user_sgpr_private_segment_size 0
		.amdhsa_wavefront_size32 1
		.amdhsa_uses_dynamic_stack 0
		.amdhsa_enable_private_segment 0
		.amdhsa_system_sgpr_workgroup_id_x 1
		.amdhsa_system_sgpr_workgroup_id_y 0
		.amdhsa_system_sgpr_workgroup_id_z 0
		.amdhsa_system_sgpr_workgroup_info 0
		.amdhsa_system_vgpr_workitem_id 0
		.amdhsa_next_free_vgpr 1
		.amdhsa_next_free_sgpr 1
		.amdhsa_reserve_vcc 0
		.amdhsa_float_round_mode_32 0
		.amdhsa_float_round_mode_16_64 0
		.amdhsa_float_denorm_mode_32 3
		.amdhsa_float_denorm_mode_16_64 3
		.amdhsa_dx10_clamp 1
		.amdhsa_ieee_mode 1
		.amdhsa_fp16_overflow 0
		.amdhsa_workgroup_processor_mode 1
		.amdhsa_memory_ordered 1
		.amdhsa_forward_progress 0
		.amdhsa_shared_vgpr_count 0
		.amdhsa_exception_fp_ieee_invalid_op 0
		.amdhsa_exception_fp_denorm_src 0
		.amdhsa_exception_fp_ieee_div_zero 0
		.amdhsa_exception_fp_ieee_overflow 0
		.amdhsa_exception_fp_ieee_underflow 0
		.amdhsa_exception_fp_ieee_inexact 0
		.amdhsa_exception_int_div_zero 0
	.end_amdhsa_kernel
	.section	.text._ZN7rocprim17ROCPRIM_400000_NS6detail17trampoline_kernelINS0_13select_configILj256ELj13ELNS0_17block_load_methodE3ELS4_3ELS4_3ELNS0_20block_scan_algorithmE0ELj4294967295EEENS1_25partition_config_selectorILNS1_17partition_subalgoE3EjNS0_10empty_typeEbEEZZNS1_14partition_implILS8_3ELb0ES6_jNS0_17counting_iteratorIjlEEPS9_SE_NS0_5tupleIJPjSE_EEENSF_IJSE_SE_EEES9_SG_JZNS1_25segmented_radix_sort_implINS0_14default_configELb1EPKlPlSM_SN_N2at6native12_GLOBAL__N_18offset_tEEE10hipError_tPvRmT1_PNSt15iterator_traitsISV_E10value_typeET2_T3_PNSW_IS11_E10value_typeET4_jRbjT5_S17_jjP12ihipStream_tbEUljE_EEESS_ST_SU_S11_S15_S17_T6_T7_T9_mT8_S19_bDpT10_ENKUlT_T0_E_clISt17integral_constantIbLb0EES1M_EEDaS1H_S1I_EUlS1H_E_NS1_11comp_targetILNS1_3genE0ELNS1_11target_archE4294967295ELNS1_3gpuE0ELNS1_3repE0EEENS1_30default_config_static_selectorELNS0_4arch9wavefront6targetE0EEEvSV_,"axG",@progbits,_ZN7rocprim17ROCPRIM_400000_NS6detail17trampoline_kernelINS0_13select_configILj256ELj13ELNS0_17block_load_methodE3ELS4_3ELS4_3ELNS0_20block_scan_algorithmE0ELj4294967295EEENS1_25partition_config_selectorILNS1_17partition_subalgoE3EjNS0_10empty_typeEbEEZZNS1_14partition_implILS8_3ELb0ES6_jNS0_17counting_iteratorIjlEEPS9_SE_NS0_5tupleIJPjSE_EEENSF_IJSE_SE_EEES9_SG_JZNS1_25segmented_radix_sort_implINS0_14default_configELb1EPKlPlSM_SN_N2at6native12_GLOBAL__N_18offset_tEEE10hipError_tPvRmT1_PNSt15iterator_traitsISV_E10value_typeET2_T3_PNSW_IS11_E10value_typeET4_jRbjT5_S17_jjP12ihipStream_tbEUljE_EEESS_ST_SU_S11_S15_S17_T6_T7_T9_mT8_S19_bDpT10_ENKUlT_T0_E_clISt17integral_constantIbLb0EES1M_EEDaS1H_S1I_EUlS1H_E_NS1_11comp_targetILNS1_3genE0ELNS1_11target_archE4294967295ELNS1_3gpuE0ELNS1_3repE0EEENS1_30default_config_static_selectorELNS0_4arch9wavefront6targetE0EEEvSV_,comdat
.Lfunc_end672:
	.size	_ZN7rocprim17ROCPRIM_400000_NS6detail17trampoline_kernelINS0_13select_configILj256ELj13ELNS0_17block_load_methodE3ELS4_3ELS4_3ELNS0_20block_scan_algorithmE0ELj4294967295EEENS1_25partition_config_selectorILNS1_17partition_subalgoE3EjNS0_10empty_typeEbEEZZNS1_14partition_implILS8_3ELb0ES6_jNS0_17counting_iteratorIjlEEPS9_SE_NS0_5tupleIJPjSE_EEENSF_IJSE_SE_EEES9_SG_JZNS1_25segmented_radix_sort_implINS0_14default_configELb1EPKlPlSM_SN_N2at6native12_GLOBAL__N_18offset_tEEE10hipError_tPvRmT1_PNSt15iterator_traitsISV_E10value_typeET2_T3_PNSW_IS11_E10value_typeET4_jRbjT5_S17_jjP12ihipStream_tbEUljE_EEESS_ST_SU_S11_S15_S17_T6_T7_T9_mT8_S19_bDpT10_ENKUlT_T0_E_clISt17integral_constantIbLb0EES1M_EEDaS1H_S1I_EUlS1H_E_NS1_11comp_targetILNS1_3genE0ELNS1_11target_archE4294967295ELNS1_3gpuE0ELNS1_3repE0EEENS1_30default_config_static_selectorELNS0_4arch9wavefront6targetE0EEEvSV_, .Lfunc_end672-_ZN7rocprim17ROCPRIM_400000_NS6detail17trampoline_kernelINS0_13select_configILj256ELj13ELNS0_17block_load_methodE3ELS4_3ELS4_3ELNS0_20block_scan_algorithmE0ELj4294967295EEENS1_25partition_config_selectorILNS1_17partition_subalgoE3EjNS0_10empty_typeEbEEZZNS1_14partition_implILS8_3ELb0ES6_jNS0_17counting_iteratorIjlEEPS9_SE_NS0_5tupleIJPjSE_EEENSF_IJSE_SE_EEES9_SG_JZNS1_25segmented_radix_sort_implINS0_14default_configELb1EPKlPlSM_SN_N2at6native12_GLOBAL__N_18offset_tEEE10hipError_tPvRmT1_PNSt15iterator_traitsISV_E10value_typeET2_T3_PNSW_IS11_E10value_typeET4_jRbjT5_S17_jjP12ihipStream_tbEUljE_EEESS_ST_SU_S11_S15_S17_T6_T7_T9_mT8_S19_bDpT10_ENKUlT_T0_E_clISt17integral_constantIbLb0EES1M_EEDaS1H_S1I_EUlS1H_E_NS1_11comp_targetILNS1_3genE0ELNS1_11target_archE4294967295ELNS1_3gpuE0ELNS1_3repE0EEENS1_30default_config_static_selectorELNS0_4arch9wavefront6targetE0EEEvSV_
                                        ; -- End function
	.section	.AMDGPU.csdata,"",@progbits
; Kernel info:
; codeLenInByte = 0
; NumSgprs: 0
; NumVgprs: 0
; ScratchSize: 0
; MemoryBound: 0
; FloatMode: 240
; IeeeMode: 1
; LDSByteSize: 0 bytes/workgroup (compile time only)
; SGPRBlocks: 0
; VGPRBlocks: 0
; NumSGPRsForWavesPerEU: 1
; NumVGPRsForWavesPerEU: 1
; Occupancy: 16
; WaveLimiterHint : 0
; COMPUTE_PGM_RSRC2:SCRATCH_EN: 0
; COMPUTE_PGM_RSRC2:USER_SGPR: 15
; COMPUTE_PGM_RSRC2:TRAP_HANDLER: 0
; COMPUTE_PGM_RSRC2:TGID_X_EN: 1
; COMPUTE_PGM_RSRC2:TGID_Y_EN: 0
; COMPUTE_PGM_RSRC2:TGID_Z_EN: 0
; COMPUTE_PGM_RSRC2:TIDIG_COMP_CNT: 0
	.section	.text._ZN7rocprim17ROCPRIM_400000_NS6detail17trampoline_kernelINS0_13select_configILj256ELj13ELNS0_17block_load_methodE3ELS4_3ELS4_3ELNS0_20block_scan_algorithmE0ELj4294967295EEENS1_25partition_config_selectorILNS1_17partition_subalgoE3EjNS0_10empty_typeEbEEZZNS1_14partition_implILS8_3ELb0ES6_jNS0_17counting_iteratorIjlEEPS9_SE_NS0_5tupleIJPjSE_EEENSF_IJSE_SE_EEES9_SG_JZNS1_25segmented_radix_sort_implINS0_14default_configELb1EPKlPlSM_SN_N2at6native12_GLOBAL__N_18offset_tEEE10hipError_tPvRmT1_PNSt15iterator_traitsISV_E10value_typeET2_T3_PNSW_IS11_E10value_typeET4_jRbjT5_S17_jjP12ihipStream_tbEUljE_EEESS_ST_SU_S11_S15_S17_T6_T7_T9_mT8_S19_bDpT10_ENKUlT_T0_E_clISt17integral_constantIbLb0EES1M_EEDaS1H_S1I_EUlS1H_E_NS1_11comp_targetILNS1_3genE5ELNS1_11target_archE942ELNS1_3gpuE9ELNS1_3repE0EEENS1_30default_config_static_selectorELNS0_4arch9wavefront6targetE0EEEvSV_,"axG",@progbits,_ZN7rocprim17ROCPRIM_400000_NS6detail17trampoline_kernelINS0_13select_configILj256ELj13ELNS0_17block_load_methodE3ELS4_3ELS4_3ELNS0_20block_scan_algorithmE0ELj4294967295EEENS1_25partition_config_selectorILNS1_17partition_subalgoE3EjNS0_10empty_typeEbEEZZNS1_14partition_implILS8_3ELb0ES6_jNS0_17counting_iteratorIjlEEPS9_SE_NS0_5tupleIJPjSE_EEENSF_IJSE_SE_EEES9_SG_JZNS1_25segmented_radix_sort_implINS0_14default_configELb1EPKlPlSM_SN_N2at6native12_GLOBAL__N_18offset_tEEE10hipError_tPvRmT1_PNSt15iterator_traitsISV_E10value_typeET2_T3_PNSW_IS11_E10value_typeET4_jRbjT5_S17_jjP12ihipStream_tbEUljE_EEESS_ST_SU_S11_S15_S17_T6_T7_T9_mT8_S19_bDpT10_ENKUlT_T0_E_clISt17integral_constantIbLb0EES1M_EEDaS1H_S1I_EUlS1H_E_NS1_11comp_targetILNS1_3genE5ELNS1_11target_archE942ELNS1_3gpuE9ELNS1_3repE0EEENS1_30default_config_static_selectorELNS0_4arch9wavefront6targetE0EEEvSV_,comdat
	.globl	_ZN7rocprim17ROCPRIM_400000_NS6detail17trampoline_kernelINS0_13select_configILj256ELj13ELNS0_17block_load_methodE3ELS4_3ELS4_3ELNS0_20block_scan_algorithmE0ELj4294967295EEENS1_25partition_config_selectorILNS1_17partition_subalgoE3EjNS0_10empty_typeEbEEZZNS1_14partition_implILS8_3ELb0ES6_jNS0_17counting_iteratorIjlEEPS9_SE_NS0_5tupleIJPjSE_EEENSF_IJSE_SE_EEES9_SG_JZNS1_25segmented_radix_sort_implINS0_14default_configELb1EPKlPlSM_SN_N2at6native12_GLOBAL__N_18offset_tEEE10hipError_tPvRmT1_PNSt15iterator_traitsISV_E10value_typeET2_T3_PNSW_IS11_E10value_typeET4_jRbjT5_S17_jjP12ihipStream_tbEUljE_EEESS_ST_SU_S11_S15_S17_T6_T7_T9_mT8_S19_bDpT10_ENKUlT_T0_E_clISt17integral_constantIbLb0EES1M_EEDaS1H_S1I_EUlS1H_E_NS1_11comp_targetILNS1_3genE5ELNS1_11target_archE942ELNS1_3gpuE9ELNS1_3repE0EEENS1_30default_config_static_selectorELNS0_4arch9wavefront6targetE0EEEvSV_ ; -- Begin function _ZN7rocprim17ROCPRIM_400000_NS6detail17trampoline_kernelINS0_13select_configILj256ELj13ELNS0_17block_load_methodE3ELS4_3ELS4_3ELNS0_20block_scan_algorithmE0ELj4294967295EEENS1_25partition_config_selectorILNS1_17partition_subalgoE3EjNS0_10empty_typeEbEEZZNS1_14partition_implILS8_3ELb0ES6_jNS0_17counting_iteratorIjlEEPS9_SE_NS0_5tupleIJPjSE_EEENSF_IJSE_SE_EEES9_SG_JZNS1_25segmented_radix_sort_implINS0_14default_configELb1EPKlPlSM_SN_N2at6native12_GLOBAL__N_18offset_tEEE10hipError_tPvRmT1_PNSt15iterator_traitsISV_E10value_typeET2_T3_PNSW_IS11_E10value_typeET4_jRbjT5_S17_jjP12ihipStream_tbEUljE_EEESS_ST_SU_S11_S15_S17_T6_T7_T9_mT8_S19_bDpT10_ENKUlT_T0_E_clISt17integral_constantIbLb0EES1M_EEDaS1H_S1I_EUlS1H_E_NS1_11comp_targetILNS1_3genE5ELNS1_11target_archE942ELNS1_3gpuE9ELNS1_3repE0EEENS1_30default_config_static_selectorELNS0_4arch9wavefront6targetE0EEEvSV_
	.p2align	8
	.type	_ZN7rocprim17ROCPRIM_400000_NS6detail17trampoline_kernelINS0_13select_configILj256ELj13ELNS0_17block_load_methodE3ELS4_3ELS4_3ELNS0_20block_scan_algorithmE0ELj4294967295EEENS1_25partition_config_selectorILNS1_17partition_subalgoE3EjNS0_10empty_typeEbEEZZNS1_14partition_implILS8_3ELb0ES6_jNS0_17counting_iteratorIjlEEPS9_SE_NS0_5tupleIJPjSE_EEENSF_IJSE_SE_EEES9_SG_JZNS1_25segmented_radix_sort_implINS0_14default_configELb1EPKlPlSM_SN_N2at6native12_GLOBAL__N_18offset_tEEE10hipError_tPvRmT1_PNSt15iterator_traitsISV_E10value_typeET2_T3_PNSW_IS11_E10value_typeET4_jRbjT5_S17_jjP12ihipStream_tbEUljE_EEESS_ST_SU_S11_S15_S17_T6_T7_T9_mT8_S19_bDpT10_ENKUlT_T0_E_clISt17integral_constantIbLb0EES1M_EEDaS1H_S1I_EUlS1H_E_NS1_11comp_targetILNS1_3genE5ELNS1_11target_archE942ELNS1_3gpuE9ELNS1_3repE0EEENS1_30default_config_static_selectorELNS0_4arch9wavefront6targetE0EEEvSV_,@function
_ZN7rocprim17ROCPRIM_400000_NS6detail17trampoline_kernelINS0_13select_configILj256ELj13ELNS0_17block_load_methodE3ELS4_3ELS4_3ELNS0_20block_scan_algorithmE0ELj4294967295EEENS1_25partition_config_selectorILNS1_17partition_subalgoE3EjNS0_10empty_typeEbEEZZNS1_14partition_implILS8_3ELb0ES6_jNS0_17counting_iteratorIjlEEPS9_SE_NS0_5tupleIJPjSE_EEENSF_IJSE_SE_EEES9_SG_JZNS1_25segmented_radix_sort_implINS0_14default_configELb1EPKlPlSM_SN_N2at6native12_GLOBAL__N_18offset_tEEE10hipError_tPvRmT1_PNSt15iterator_traitsISV_E10value_typeET2_T3_PNSW_IS11_E10value_typeET4_jRbjT5_S17_jjP12ihipStream_tbEUljE_EEESS_ST_SU_S11_S15_S17_T6_T7_T9_mT8_S19_bDpT10_ENKUlT_T0_E_clISt17integral_constantIbLb0EES1M_EEDaS1H_S1I_EUlS1H_E_NS1_11comp_targetILNS1_3genE5ELNS1_11target_archE942ELNS1_3gpuE9ELNS1_3repE0EEENS1_30default_config_static_selectorELNS0_4arch9wavefront6targetE0EEEvSV_: ; @_ZN7rocprim17ROCPRIM_400000_NS6detail17trampoline_kernelINS0_13select_configILj256ELj13ELNS0_17block_load_methodE3ELS4_3ELS4_3ELNS0_20block_scan_algorithmE0ELj4294967295EEENS1_25partition_config_selectorILNS1_17partition_subalgoE3EjNS0_10empty_typeEbEEZZNS1_14partition_implILS8_3ELb0ES6_jNS0_17counting_iteratorIjlEEPS9_SE_NS0_5tupleIJPjSE_EEENSF_IJSE_SE_EEES9_SG_JZNS1_25segmented_radix_sort_implINS0_14default_configELb1EPKlPlSM_SN_N2at6native12_GLOBAL__N_18offset_tEEE10hipError_tPvRmT1_PNSt15iterator_traitsISV_E10value_typeET2_T3_PNSW_IS11_E10value_typeET4_jRbjT5_S17_jjP12ihipStream_tbEUljE_EEESS_ST_SU_S11_S15_S17_T6_T7_T9_mT8_S19_bDpT10_ENKUlT_T0_E_clISt17integral_constantIbLb0EES1M_EEDaS1H_S1I_EUlS1H_E_NS1_11comp_targetILNS1_3genE5ELNS1_11target_archE942ELNS1_3gpuE9ELNS1_3repE0EEENS1_30default_config_static_selectorELNS0_4arch9wavefront6targetE0EEEvSV_
; %bb.0:
	.section	.rodata,"a",@progbits
	.p2align	6, 0x0
	.amdhsa_kernel _ZN7rocprim17ROCPRIM_400000_NS6detail17trampoline_kernelINS0_13select_configILj256ELj13ELNS0_17block_load_methodE3ELS4_3ELS4_3ELNS0_20block_scan_algorithmE0ELj4294967295EEENS1_25partition_config_selectorILNS1_17partition_subalgoE3EjNS0_10empty_typeEbEEZZNS1_14partition_implILS8_3ELb0ES6_jNS0_17counting_iteratorIjlEEPS9_SE_NS0_5tupleIJPjSE_EEENSF_IJSE_SE_EEES9_SG_JZNS1_25segmented_radix_sort_implINS0_14default_configELb1EPKlPlSM_SN_N2at6native12_GLOBAL__N_18offset_tEEE10hipError_tPvRmT1_PNSt15iterator_traitsISV_E10value_typeET2_T3_PNSW_IS11_E10value_typeET4_jRbjT5_S17_jjP12ihipStream_tbEUljE_EEESS_ST_SU_S11_S15_S17_T6_T7_T9_mT8_S19_bDpT10_ENKUlT_T0_E_clISt17integral_constantIbLb0EES1M_EEDaS1H_S1I_EUlS1H_E_NS1_11comp_targetILNS1_3genE5ELNS1_11target_archE942ELNS1_3gpuE9ELNS1_3repE0EEENS1_30default_config_static_selectorELNS0_4arch9wavefront6targetE0EEEvSV_
		.amdhsa_group_segment_fixed_size 0
		.amdhsa_private_segment_fixed_size 0
		.amdhsa_kernarg_size 144
		.amdhsa_user_sgpr_count 15
		.amdhsa_user_sgpr_dispatch_ptr 0
		.amdhsa_user_sgpr_queue_ptr 0
		.amdhsa_user_sgpr_kernarg_segment_ptr 1
		.amdhsa_user_sgpr_dispatch_id 0
		.amdhsa_user_sgpr_private_segment_size 0
		.amdhsa_wavefront_size32 1
		.amdhsa_uses_dynamic_stack 0
		.amdhsa_enable_private_segment 0
		.amdhsa_system_sgpr_workgroup_id_x 1
		.amdhsa_system_sgpr_workgroup_id_y 0
		.amdhsa_system_sgpr_workgroup_id_z 0
		.amdhsa_system_sgpr_workgroup_info 0
		.amdhsa_system_vgpr_workitem_id 0
		.amdhsa_next_free_vgpr 1
		.amdhsa_next_free_sgpr 1
		.amdhsa_reserve_vcc 0
		.amdhsa_float_round_mode_32 0
		.amdhsa_float_round_mode_16_64 0
		.amdhsa_float_denorm_mode_32 3
		.amdhsa_float_denorm_mode_16_64 3
		.amdhsa_dx10_clamp 1
		.amdhsa_ieee_mode 1
		.amdhsa_fp16_overflow 0
		.amdhsa_workgroup_processor_mode 1
		.amdhsa_memory_ordered 1
		.amdhsa_forward_progress 0
		.amdhsa_shared_vgpr_count 0
		.amdhsa_exception_fp_ieee_invalid_op 0
		.amdhsa_exception_fp_denorm_src 0
		.amdhsa_exception_fp_ieee_div_zero 0
		.amdhsa_exception_fp_ieee_overflow 0
		.amdhsa_exception_fp_ieee_underflow 0
		.amdhsa_exception_fp_ieee_inexact 0
		.amdhsa_exception_int_div_zero 0
	.end_amdhsa_kernel
	.section	.text._ZN7rocprim17ROCPRIM_400000_NS6detail17trampoline_kernelINS0_13select_configILj256ELj13ELNS0_17block_load_methodE3ELS4_3ELS4_3ELNS0_20block_scan_algorithmE0ELj4294967295EEENS1_25partition_config_selectorILNS1_17partition_subalgoE3EjNS0_10empty_typeEbEEZZNS1_14partition_implILS8_3ELb0ES6_jNS0_17counting_iteratorIjlEEPS9_SE_NS0_5tupleIJPjSE_EEENSF_IJSE_SE_EEES9_SG_JZNS1_25segmented_radix_sort_implINS0_14default_configELb1EPKlPlSM_SN_N2at6native12_GLOBAL__N_18offset_tEEE10hipError_tPvRmT1_PNSt15iterator_traitsISV_E10value_typeET2_T3_PNSW_IS11_E10value_typeET4_jRbjT5_S17_jjP12ihipStream_tbEUljE_EEESS_ST_SU_S11_S15_S17_T6_T7_T9_mT8_S19_bDpT10_ENKUlT_T0_E_clISt17integral_constantIbLb0EES1M_EEDaS1H_S1I_EUlS1H_E_NS1_11comp_targetILNS1_3genE5ELNS1_11target_archE942ELNS1_3gpuE9ELNS1_3repE0EEENS1_30default_config_static_selectorELNS0_4arch9wavefront6targetE0EEEvSV_,"axG",@progbits,_ZN7rocprim17ROCPRIM_400000_NS6detail17trampoline_kernelINS0_13select_configILj256ELj13ELNS0_17block_load_methodE3ELS4_3ELS4_3ELNS0_20block_scan_algorithmE0ELj4294967295EEENS1_25partition_config_selectorILNS1_17partition_subalgoE3EjNS0_10empty_typeEbEEZZNS1_14partition_implILS8_3ELb0ES6_jNS0_17counting_iteratorIjlEEPS9_SE_NS0_5tupleIJPjSE_EEENSF_IJSE_SE_EEES9_SG_JZNS1_25segmented_radix_sort_implINS0_14default_configELb1EPKlPlSM_SN_N2at6native12_GLOBAL__N_18offset_tEEE10hipError_tPvRmT1_PNSt15iterator_traitsISV_E10value_typeET2_T3_PNSW_IS11_E10value_typeET4_jRbjT5_S17_jjP12ihipStream_tbEUljE_EEESS_ST_SU_S11_S15_S17_T6_T7_T9_mT8_S19_bDpT10_ENKUlT_T0_E_clISt17integral_constantIbLb0EES1M_EEDaS1H_S1I_EUlS1H_E_NS1_11comp_targetILNS1_3genE5ELNS1_11target_archE942ELNS1_3gpuE9ELNS1_3repE0EEENS1_30default_config_static_selectorELNS0_4arch9wavefront6targetE0EEEvSV_,comdat
.Lfunc_end673:
	.size	_ZN7rocprim17ROCPRIM_400000_NS6detail17trampoline_kernelINS0_13select_configILj256ELj13ELNS0_17block_load_methodE3ELS4_3ELS4_3ELNS0_20block_scan_algorithmE0ELj4294967295EEENS1_25partition_config_selectorILNS1_17partition_subalgoE3EjNS0_10empty_typeEbEEZZNS1_14partition_implILS8_3ELb0ES6_jNS0_17counting_iteratorIjlEEPS9_SE_NS0_5tupleIJPjSE_EEENSF_IJSE_SE_EEES9_SG_JZNS1_25segmented_radix_sort_implINS0_14default_configELb1EPKlPlSM_SN_N2at6native12_GLOBAL__N_18offset_tEEE10hipError_tPvRmT1_PNSt15iterator_traitsISV_E10value_typeET2_T3_PNSW_IS11_E10value_typeET4_jRbjT5_S17_jjP12ihipStream_tbEUljE_EEESS_ST_SU_S11_S15_S17_T6_T7_T9_mT8_S19_bDpT10_ENKUlT_T0_E_clISt17integral_constantIbLb0EES1M_EEDaS1H_S1I_EUlS1H_E_NS1_11comp_targetILNS1_3genE5ELNS1_11target_archE942ELNS1_3gpuE9ELNS1_3repE0EEENS1_30default_config_static_selectorELNS0_4arch9wavefront6targetE0EEEvSV_, .Lfunc_end673-_ZN7rocprim17ROCPRIM_400000_NS6detail17trampoline_kernelINS0_13select_configILj256ELj13ELNS0_17block_load_methodE3ELS4_3ELS4_3ELNS0_20block_scan_algorithmE0ELj4294967295EEENS1_25partition_config_selectorILNS1_17partition_subalgoE3EjNS0_10empty_typeEbEEZZNS1_14partition_implILS8_3ELb0ES6_jNS0_17counting_iteratorIjlEEPS9_SE_NS0_5tupleIJPjSE_EEENSF_IJSE_SE_EEES9_SG_JZNS1_25segmented_radix_sort_implINS0_14default_configELb1EPKlPlSM_SN_N2at6native12_GLOBAL__N_18offset_tEEE10hipError_tPvRmT1_PNSt15iterator_traitsISV_E10value_typeET2_T3_PNSW_IS11_E10value_typeET4_jRbjT5_S17_jjP12ihipStream_tbEUljE_EEESS_ST_SU_S11_S15_S17_T6_T7_T9_mT8_S19_bDpT10_ENKUlT_T0_E_clISt17integral_constantIbLb0EES1M_EEDaS1H_S1I_EUlS1H_E_NS1_11comp_targetILNS1_3genE5ELNS1_11target_archE942ELNS1_3gpuE9ELNS1_3repE0EEENS1_30default_config_static_selectorELNS0_4arch9wavefront6targetE0EEEvSV_
                                        ; -- End function
	.section	.AMDGPU.csdata,"",@progbits
; Kernel info:
; codeLenInByte = 0
; NumSgprs: 0
; NumVgprs: 0
; ScratchSize: 0
; MemoryBound: 0
; FloatMode: 240
; IeeeMode: 1
; LDSByteSize: 0 bytes/workgroup (compile time only)
; SGPRBlocks: 0
; VGPRBlocks: 0
; NumSGPRsForWavesPerEU: 1
; NumVGPRsForWavesPerEU: 1
; Occupancy: 16
; WaveLimiterHint : 0
; COMPUTE_PGM_RSRC2:SCRATCH_EN: 0
; COMPUTE_PGM_RSRC2:USER_SGPR: 15
; COMPUTE_PGM_RSRC2:TRAP_HANDLER: 0
; COMPUTE_PGM_RSRC2:TGID_X_EN: 1
; COMPUTE_PGM_RSRC2:TGID_Y_EN: 0
; COMPUTE_PGM_RSRC2:TGID_Z_EN: 0
; COMPUTE_PGM_RSRC2:TIDIG_COMP_CNT: 0
	.section	.text._ZN7rocprim17ROCPRIM_400000_NS6detail17trampoline_kernelINS0_13select_configILj256ELj13ELNS0_17block_load_methodE3ELS4_3ELS4_3ELNS0_20block_scan_algorithmE0ELj4294967295EEENS1_25partition_config_selectorILNS1_17partition_subalgoE3EjNS0_10empty_typeEbEEZZNS1_14partition_implILS8_3ELb0ES6_jNS0_17counting_iteratorIjlEEPS9_SE_NS0_5tupleIJPjSE_EEENSF_IJSE_SE_EEES9_SG_JZNS1_25segmented_radix_sort_implINS0_14default_configELb1EPKlPlSM_SN_N2at6native12_GLOBAL__N_18offset_tEEE10hipError_tPvRmT1_PNSt15iterator_traitsISV_E10value_typeET2_T3_PNSW_IS11_E10value_typeET4_jRbjT5_S17_jjP12ihipStream_tbEUljE_EEESS_ST_SU_S11_S15_S17_T6_T7_T9_mT8_S19_bDpT10_ENKUlT_T0_E_clISt17integral_constantIbLb0EES1M_EEDaS1H_S1I_EUlS1H_E_NS1_11comp_targetILNS1_3genE4ELNS1_11target_archE910ELNS1_3gpuE8ELNS1_3repE0EEENS1_30default_config_static_selectorELNS0_4arch9wavefront6targetE0EEEvSV_,"axG",@progbits,_ZN7rocprim17ROCPRIM_400000_NS6detail17trampoline_kernelINS0_13select_configILj256ELj13ELNS0_17block_load_methodE3ELS4_3ELS4_3ELNS0_20block_scan_algorithmE0ELj4294967295EEENS1_25partition_config_selectorILNS1_17partition_subalgoE3EjNS0_10empty_typeEbEEZZNS1_14partition_implILS8_3ELb0ES6_jNS0_17counting_iteratorIjlEEPS9_SE_NS0_5tupleIJPjSE_EEENSF_IJSE_SE_EEES9_SG_JZNS1_25segmented_radix_sort_implINS0_14default_configELb1EPKlPlSM_SN_N2at6native12_GLOBAL__N_18offset_tEEE10hipError_tPvRmT1_PNSt15iterator_traitsISV_E10value_typeET2_T3_PNSW_IS11_E10value_typeET4_jRbjT5_S17_jjP12ihipStream_tbEUljE_EEESS_ST_SU_S11_S15_S17_T6_T7_T9_mT8_S19_bDpT10_ENKUlT_T0_E_clISt17integral_constantIbLb0EES1M_EEDaS1H_S1I_EUlS1H_E_NS1_11comp_targetILNS1_3genE4ELNS1_11target_archE910ELNS1_3gpuE8ELNS1_3repE0EEENS1_30default_config_static_selectorELNS0_4arch9wavefront6targetE0EEEvSV_,comdat
	.globl	_ZN7rocprim17ROCPRIM_400000_NS6detail17trampoline_kernelINS0_13select_configILj256ELj13ELNS0_17block_load_methodE3ELS4_3ELS4_3ELNS0_20block_scan_algorithmE0ELj4294967295EEENS1_25partition_config_selectorILNS1_17partition_subalgoE3EjNS0_10empty_typeEbEEZZNS1_14partition_implILS8_3ELb0ES6_jNS0_17counting_iteratorIjlEEPS9_SE_NS0_5tupleIJPjSE_EEENSF_IJSE_SE_EEES9_SG_JZNS1_25segmented_radix_sort_implINS0_14default_configELb1EPKlPlSM_SN_N2at6native12_GLOBAL__N_18offset_tEEE10hipError_tPvRmT1_PNSt15iterator_traitsISV_E10value_typeET2_T3_PNSW_IS11_E10value_typeET4_jRbjT5_S17_jjP12ihipStream_tbEUljE_EEESS_ST_SU_S11_S15_S17_T6_T7_T9_mT8_S19_bDpT10_ENKUlT_T0_E_clISt17integral_constantIbLb0EES1M_EEDaS1H_S1I_EUlS1H_E_NS1_11comp_targetILNS1_3genE4ELNS1_11target_archE910ELNS1_3gpuE8ELNS1_3repE0EEENS1_30default_config_static_selectorELNS0_4arch9wavefront6targetE0EEEvSV_ ; -- Begin function _ZN7rocprim17ROCPRIM_400000_NS6detail17trampoline_kernelINS0_13select_configILj256ELj13ELNS0_17block_load_methodE3ELS4_3ELS4_3ELNS0_20block_scan_algorithmE0ELj4294967295EEENS1_25partition_config_selectorILNS1_17partition_subalgoE3EjNS0_10empty_typeEbEEZZNS1_14partition_implILS8_3ELb0ES6_jNS0_17counting_iteratorIjlEEPS9_SE_NS0_5tupleIJPjSE_EEENSF_IJSE_SE_EEES9_SG_JZNS1_25segmented_radix_sort_implINS0_14default_configELb1EPKlPlSM_SN_N2at6native12_GLOBAL__N_18offset_tEEE10hipError_tPvRmT1_PNSt15iterator_traitsISV_E10value_typeET2_T3_PNSW_IS11_E10value_typeET4_jRbjT5_S17_jjP12ihipStream_tbEUljE_EEESS_ST_SU_S11_S15_S17_T6_T7_T9_mT8_S19_bDpT10_ENKUlT_T0_E_clISt17integral_constantIbLb0EES1M_EEDaS1H_S1I_EUlS1H_E_NS1_11comp_targetILNS1_3genE4ELNS1_11target_archE910ELNS1_3gpuE8ELNS1_3repE0EEENS1_30default_config_static_selectorELNS0_4arch9wavefront6targetE0EEEvSV_
	.p2align	8
	.type	_ZN7rocprim17ROCPRIM_400000_NS6detail17trampoline_kernelINS0_13select_configILj256ELj13ELNS0_17block_load_methodE3ELS4_3ELS4_3ELNS0_20block_scan_algorithmE0ELj4294967295EEENS1_25partition_config_selectorILNS1_17partition_subalgoE3EjNS0_10empty_typeEbEEZZNS1_14partition_implILS8_3ELb0ES6_jNS0_17counting_iteratorIjlEEPS9_SE_NS0_5tupleIJPjSE_EEENSF_IJSE_SE_EEES9_SG_JZNS1_25segmented_radix_sort_implINS0_14default_configELb1EPKlPlSM_SN_N2at6native12_GLOBAL__N_18offset_tEEE10hipError_tPvRmT1_PNSt15iterator_traitsISV_E10value_typeET2_T3_PNSW_IS11_E10value_typeET4_jRbjT5_S17_jjP12ihipStream_tbEUljE_EEESS_ST_SU_S11_S15_S17_T6_T7_T9_mT8_S19_bDpT10_ENKUlT_T0_E_clISt17integral_constantIbLb0EES1M_EEDaS1H_S1I_EUlS1H_E_NS1_11comp_targetILNS1_3genE4ELNS1_11target_archE910ELNS1_3gpuE8ELNS1_3repE0EEENS1_30default_config_static_selectorELNS0_4arch9wavefront6targetE0EEEvSV_,@function
_ZN7rocprim17ROCPRIM_400000_NS6detail17trampoline_kernelINS0_13select_configILj256ELj13ELNS0_17block_load_methodE3ELS4_3ELS4_3ELNS0_20block_scan_algorithmE0ELj4294967295EEENS1_25partition_config_selectorILNS1_17partition_subalgoE3EjNS0_10empty_typeEbEEZZNS1_14partition_implILS8_3ELb0ES6_jNS0_17counting_iteratorIjlEEPS9_SE_NS0_5tupleIJPjSE_EEENSF_IJSE_SE_EEES9_SG_JZNS1_25segmented_radix_sort_implINS0_14default_configELb1EPKlPlSM_SN_N2at6native12_GLOBAL__N_18offset_tEEE10hipError_tPvRmT1_PNSt15iterator_traitsISV_E10value_typeET2_T3_PNSW_IS11_E10value_typeET4_jRbjT5_S17_jjP12ihipStream_tbEUljE_EEESS_ST_SU_S11_S15_S17_T6_T7_T9_mT8_S19_bDpT10_ENKUlT_T0_E_clISt17integral_constantIbLb0EES1M_EEDaS1H_S1I_EUlS1H_E_NS1_11comp_targetILNS1_3genE4ELNS1_11target_archE910ELNS1_3gpuE8ELNS1_3repE0EEENS1_30default_config_static_selectorELNS0_4arch9wavefront6targetE0EEEvSV_: ; @_ZN7rocprim17ROCPRIM_400000_NS6detail17trampoline_kernelINS0_13select_configILj256ELj13ELNS0_17block_load_methodE3ELS4_3ELS4_3ELNS0_20block_scan_algorithmE0ELj4294967295EEENS1_25partition_config_selectorILNS1_17partition_subalgoE3EjNS0_10empty_typeEbEEZZNS1_14partition_implILS8_3ELb0ES6_jNS0_17counting_iteratorIjlEEPS9_SE_NS0_5tupleIJPjSE_EEENSF_IJSE_SE_EEES9_SG_JZNS1_25segmented_radix_sort_implINS0_14default_configELb1EPKlPlSM_SN_N2at6native12_GLOBAL__N_18offset_tEEE10hipError_tPvRmT1_PNSt15iterator_traitsISV_E10value_typeET2_T3_PNSW_IS11_E10value_typeET4_jRbjT5_S17_jjP12ihipStream_tbEUljE_EEESS_ST_SU_S11_S15_S17_T6_T7_T9_mT8_S19_bDpT10_ENKUlT_T0_E_clISt17integral_constantIbLb0EES1M_EEDaS1H_S1I_EUlS1H_E_NS1_11comp_targetILNS1_3genE4ELNS1_11target_archE910ELNS1_3gpuE8ELNS1_3repE0EEENS1_30default_config_static_selectorELNS0_4arch9wavefront6targetE0EEEvSV_
; %bb.0:
	.section	.rodata,"a",@progbits
	.p2align	6, 0x0
	.amdhsa_kernel _ZN7rocprim17ROCPRIM_400000_NS6detail17trampoline_kernelINS0_13select_configILj256ELj13ELNS0_17block_load_methodE3ELS4_3ELS4_3ELNS0_20block_scan_algorithmE0ELj4294967295EEENS1_25partition_config_selectorILNS1_17partition_subalgoE3EjNS0_10empty_typeEbEEZZNS1_14partition_implILS8_3ELb0ES6_jNS0_17counting_iteratorIjlEEPS9_SE_NS0_5tupleIJPjSE_EEENSF_IJSE_SE_EEES9_SG_JZNS1_25segmented_radix_sort_implINS0_14default_configELb1EPKlPlSM_SN_N2at6native12_GLOBAL__N_18offset_tEEE10hipError_tPvRmT1_PNSt15iterator_traitsISV_E10value_typeET2_T3_PNSW_IS11_E10value_typeET4_jRbjT5_S17_jjP12ihipStream_tbEUljE_EEESS_ST_SU_S11_S15_S17_T6_T7_T9_mT8_S19_bDpT10_ENKUlT_T0_E_clISt17integral_constantIbLb0EES1M_EEDaS1H_S1I_EUlS1H_E_NS1_11comp_targetILNS1_3genE4ELNS1_11target_archE910ELNS1_3gpuE8ELNS1_3repE0EEENS1_30default_config_static_selectorELNS0_4arch9wavefront6targetE0EEEvSV_
		.amdhsa_group_segment_fixed_size 0
		.amdhsa_private_segment_fixed_size 0
		.amdhsa_kernarg_size 144
		.amdhsa_user_sgpr_count 15
		.amdhsa_user_sgpr_dispatch_ptr 0
		.amdhsa_user_sgpr_queue_ptr 0
		.amdhsa_user_sgpr_kernarg_segment_ptr 1
		.amdhsa_user_sgpr_dispatch_id 0
		.amdhsa_user_sgpr_private_segment_size 0
		.amdhsa_wavefront_size32 1
		.amdhsa_uses_dynamic_stack 0
		.amdhsa_enable_private_segment 0
		.amdhsa_system_sgpr_workgroup_id_x 1
		.amdhsa_system_sgpr_workgroup_id_y 0
		.amdhsa_system_sgpr_workgroup_id_z 0
		.amdhsa_system_sgpr_workgroup_info 0
		.amdhsa_system_vgpr_workitem_id 0
		.amdhsa_next_free_vgpr 1
		.amdhsa_next_free_sgpr 1
		.amdhsa_reserve_vcc 0
		.amdhsa_float_round_mode_32 0
		.amdhsa_float_round_mode_16_64 0
		.amdhsa_float_denorm_mode_32 3
		.amdhsa_float_denorm_mode_16_64 3
		.amdhsa_dx10_clamp 1
		.amdhsa_ieee_mode 1
		.amdhsa_fp16_overflow 0
		.amdhsa_workgroup_processor_mode 1
		.amdhsa_memory_ordered 1
		.amdhsa_forward_progress 0
		.amdhsa_shared_vgpr_count 0
		.amdhsa_exception_fp_ieee_invalid_op 0
		.amdhsa_exception_fp_denorm_src 0
		.amdhsa_exception_fp_ieee_div_zero 0
		.amdhsa_exception_fp_ieee_overflow 0
		.amdhsa_exception_fp_ieee_underflow 0
		.amdhsa_exception_fp_ieee_inexact 0
		.amdhsa_exception_int_div_zero 0
	.end_amdhsa_kernel
	.section	.text._ZN7rocprim17ROCPRIM_400000_NS6detail17trampoline_kernelINS0_13select_configILj256ELj13ELNS0_17block_load_methodE3ELS4_3ELS4_3ELNS0_20block_scan_algorithmE0ELj4294967295EEENS1_25partition_config_selectorILNS1_17partition_subalgoE3EjNS0_10empty_typeEbEEZZNS1_14partition_implILS8_3ELb0ES6_jNS0_17counting_iteratorIjlEEPS9_SE_NS0_5tupleIJPjSE_EEENSF_IJSE_SE_EEES9_SG_JZNS1_25segmented_radix_sort_implINS0_14default_configELb1EPKlPlSM_SN_N2at6native12_GLOBAL__N_18offset_tEEE10hipError_tPvRmT1_PNSt15iterator_traitsISV_E10value_typeET2_T3_PNSW_IS11_E10value_typeET4_jRbjT5_S17_jjP12ihipStream_tbEUljE_EEESS_ST_SU_S11_S15_S17_T6_T7_T9_mT8_S19_bDpT10_ENKUlT_T0_E_clISt17integral_constantIbLb0EES1M_EEDaS1H_S1I_EUlS1H_E_NS1_11comp_targetILNS1_3genE4ELNS1_11target_archE910ELNS1_3gpuE8ELNS1_3repE0EEENS1_30default_config_static_selectorELNS0_4arch9wavefront6targetE0EEEvSV_,"axG",@progbits,_ZN7rocprim17ROCPRIM_400000_NS6detail17trampoline_kernelINS0_13select_configILj256ELj13ELNS0_17block_load_methodE3ELS4_3ELS4_3ELNS0_20block_scan_algorithmE0ELj4294967295EEENS1_25partition_config_selectorILNS1_17partition_subalgoE3EjNS0_10empty_typeEbEEZZNS1_14partition_implILS8_3ELb0ES6_jNS0_17counting_iteratorIjlEEPS9_SE_NS0_5tupleIJPjSE_EEENSF_IJSE_SE_EEES9_SG_JZNS1_25segmented_radix_sort_implINS0_14default_configELb1EPKlPlSM_SN_N2at6native12_GLOBAL__N_18offset_tEEE10hipError_tPvRmT1_PNSt15iterator_traitsISV_E10value_typeET2_T3_PNSW_IS11_E10value_typeET4_jRbjT5_S17_jjP12ihipStream_tbEUljE_EEESS_ST_SU_S11_S15_S17_T6_T7_T9_mT8_S19_bDpT10_ENKUlT_T0_E_clISt17integral_constantIbLb0EES1M_EEDaS1H_S1I_EUlS1H_E_NS1_11comp_targetILNS1_3genE4ELNS1_11target_archE910ELNS1_3gpuE8ELNS1_3repE0EEENS1_30default_config_static_selectorELNS0_4arch9wavefront6targetE0EEEvSV_,comdat
.Lfunc_end674:
	.size	_ZN7rocprim17ROCPRIM_400000_NS6detail17trampoline_kernelINS0_13select_configILj256ELj13ELNS0_17block_load_methodE3ELS4_3ELS4_3ELNS0_20block_scan_algorithmE0ELj4294967295EEENS1_25partition_config_selectorILNS1_17partition_subalgoE3EjNS0_10empty_typeEbEEZZNS1_14partition_implILS8_3ELb0ES6_jNS0_17counting_iteratorIjlEEPS9_SE_NS0_5tupleIJPjSE_EEENSF_IJSE_SE_EEES9_SG_JZNS1_25segmented_radix_sort_implINS0_14default_configELb1EPKlPlSM_SN_N2at6native12_GLOBAL__N_18offset_tEEE10hipError_tPvRmT1_PNSt15iterator_traitsISV_E10value_typeET2_T3_PNSW_IS11_E10value_typeET4_jRbjT5_S17_jjP12ihipStream_tbEUljE_EEESS_ST_SU_S11_S15_S17_T6_T7_T9_mT8_S19_bDpT10_ENKUlT_T0_E_clISt17integral_constantIbLb0EES1M_EEDaS1H_S1I_EUlS1H_E_NS1_11comp_targetILNS1_3genE4ELNS1_11target_archE910ELNS1_3gpuE8ELNS1_3repE0EEENS1_30default_config_static_selectorELNS0_4arch9wavefront6targetE0EEEvSV_, .Lfunc_end674-_ZN7rocprim17ROCPRIM_400000_NS6detail17trampoline_kernelINS0_13select_configILj256ELj13ELNS0_17block_load_methodE3ELS4_3ELS4_3ELNS0_20block_scan_algorithmE0ELj4294967295EEENS1_25partition_config_selectorILNS1_17partition_subalgoE3EjNS0_10empty_typeEbEEZZNS1_14partition_implILS8_3ELb0ES6_jNS0_17counting_iteratorIjlEEPS9_SE_NS0_5tupleIJPjSE_EEENSF_IJSE_SE_EEES9_SG_JZNS1_25segmented_radix_sort_implINS0_14default_configELb1EPKlPlSM_SN_N2at6native12_GLOBAL__N_18offset_tEEE10hipError_tPvRmT1_PNSt15iterator_traitsISV_E10value_typeET2_T3_PNSW_IS11_E10value_typeET4_jRbjT5_S17_jjP12ihipStream_tbEUljE_EEESS_ST_SU_S11_S15_S17_T6_T7_T9_mT8_S19_bDpT10_ENKUlT_T0_E_clISt17integral_constantIbLb0EES1M_EEDaS1H_S1I_EUlS1H_E_NS1_11comp_targetILNS1_3genE4ELNS1_11target_archE910ELNS1_3gpuE8ELNS1_3repE0EEENS1_30default_config_static_selectorELNS0_4arch9wavefront6targetE0EEEvSV_
                                        ; -- End function
	.section	.AMDGPU.csdata,"",@progbits
; Kernel info:
; codeLenInByte = 0
; NumSgprs: 0
; NumVgprs: 0
; ScratchSize: 0
; MemoryBound: 0
; FloatMode: 240
; IeeeMode: 1
; LDSByteSize: 0 bytes/workgroup (compile time only)
; SGPRBlocks: 0
; VGPRBlocks: 0
; NumSGPRsForWavesPerEU: 1
; NumVGPRsForWavesPerEU: 1
; Occupancy: 16
; WaveLimiterHint : 0
; COMPUTE_PGM_RSRC2:SCRATCH_EN: 0
; COMPUTE_PGM_RSRC2:USER_SGPR: 15
; COMPUTE_PGM_RSRC2:TRAP_HANDLER: 0
; COMPUTE_PGM_RSRC2:TGID_X_EN: 1
; COMPUTE_PGM_RSRC2:TGID_Y_EN: 0
; COMPUTE_PGM_RSRC2:TGID_Z_EN: 0
; COMPUTE_PGM_RSRC2:TIDIG_COMP_CNT: 0
	.section	.text._ZN7rocprim17ROCPRIM_400000_NS6detail17trampoline_kernelINS0_13select_configILj256ELj13ELNS0_17block_load_methodE3ELS4_3ELS4_3ELNS0_20block_scan_algorithmE0ELj4294967295EEENS1_25partition_config_selectorILNS1_17partition_subalgoE3EjNS0_10empty_typeEbEEZZNS1_14partition_implILS8_3ELb0ES6_jNS0_17counting_iteratorIjlEEPS9_SE_NS0_5tupleIJPjSE_EEENSF_IJSE_SE_EEES9_SG_JZNS1_25segmented_radix_sort_implINS0_14default_configELb1EPKlPlSM_SN_N2at6native12_GLOBAL__N_18offset_tEEE10hipError_tPvRmT1_PNSt15iterator_traitsISV_E10value_typeET2_T3_PNSW_IS11_E10value_typeET4_jRbjT5_S17_jjP12ihipStream_tbEUljE_EEESS_ST_SU_S11_S15_S17_T6_T7_T9_mT8_S19_bDpT10_ENKUlT_T0_E_clISt17integral_constantIbLb0EES1M_EEDaS1H_S1I_EUlS1H_E_NS1_11comp_targetILNS1_3genE3ELNS1_11target_archE908ELNS1_3gpuE7ELNS1_3repE0EEENS1_30default_config_static_selectorELNS0_4arch9wavefront6targetE0EEEvSV_,"axG",@progbits,_ZN7rocprim17ROCPRIM_400000_NS6detail17trampoline_kernelINS0_13select_configILj256ELj13ELNS0_17block_load_methodE3ELS4_3ELS4_3ELNS0_20block_scan_algorithmE0ELj4294967295EEENS1_25partition_config_selectorILNS1_17partition_subalgoE3EjNS0_10empty_typeEbEEZZNS1_14partition_implILS8_3ELb0ES6_jNS0_17counting_iteratorIjlEEPS9_SE_NS0_5tupleIJPjSE_EEENSF_IJSE_SE_EEES9_SG_JZNS1_25segmented_radix_sort_implINS0_14default_configELb1EPKlPlSM_SN_N2at6native12_GLOBAL__N_18offset_tEEE10hipError_tPvRmT1_PNSt15iterator_traitsISV_E10value_typeET2_T3_PNSW_IS11_E10value_typeET4_jRbjT5_S17_jjP12ihipStream_tbEUljE_EEESS_ST_SU_S11_S15_S17_T6_T7_T9_mT8_S19_bDpT10_ENKUlT_T0_E_clISt17integral_constantIbLb0EES1M_EEDaS1H_S1I_EUlS1H_E_NS1_11comp_targetILNS1_3genE3ELNS1_11target_archE908ELNS1_3gpuE7ELNS1_3repE0EEENS1_30default_config_static_selectorELNS0_4arch9wavefront6targetE0EEEvSV_,comdat
	.globl	_ZN7rocprim17ROCPRIM_400000_NS6detail17trampoline_kernelINS0_13select_configILj256ELj13ELNS0_17block_load_methodE3ELS4_3ELS4_3ELNS0_20block_scan_algorithmE0ELj4294967295EEENS1_25partition_config_selectorILNS1_17partition_subalgoE3EjNS0_10empty_typeEbEEZZNS1_14partition_implILS8_3ELb0ES6_jNS0_17counting_iteratorIjlEEPS9_SE_NS0_5tupleIJPjSE_EEENSF_IJSE_SE_EEES9_SG_JZNS1_25segmented_radix_sort_implINS0_14default_configELb1EPKlPlSM_SN_N2at6native12_GLOBAL__N_18offset_tEEE10hipError_tPvRmT1_PNSt15iterator_traitsISV_E10value_typeET2_T3_PNSW_IS11_E10value_typeET4_jRbjT5_S17_jjP12ihipStream_tbEUljE_EEESS_ST_SU_S11_S15_S17_T6_T7_T9_mT8_S19_bDpT10_ENKUlT_T0_E_clISt17integral_constantIbLb0EES1M_EEDaS1H_S1I_EUlS1H_E_NS1_11comp_targetILNS1_3genE3ELNS1_11target_archE908ELNS1_3gpuE7ELNS1_3repE0EEENS1_30default_config_static_selectorELNS0_4arch9wavefront6targetE0EEEvSV_ ; -- Begin function _ZN7rocprim17ROCPRIM_400000_NS6detail17trampoline_kernelINS0_13select_configILj256ELj13ELNS0_17block_load_methodE3ELS4_3ELS4_3ELNS0_20block_scan_algorithmE0ELj4294967295EEENS1_25partition_config_selectorILNS1_17partition_subalgoE3EjNS0_10empty_typeEbEEZZNS1_14partition_implILS8_3ELb0ES6_jNS0_17counting_iteratorIjlEEPS9_SE_NS0_5tupleIJPjSE_EEENSF_IJSE_SE_EEES9_SG_JZNS1_25segmented_radix_sort_implINS0_14default_configELb1EPKlPlSM_SN_N2at6native12_GLOBAL__N_18offset_tEEE10hipError_tPvRmT1_PNSt15iterator_traitsISV_E10value_typeET2_T3_PNSW_IS11_E10value_typeET4_jRbjT5_S17_jjP12ihipStream_tbEUljE_EEESS_ST_SU_S11_S15_S17_T6_T7_T9_mT8_S19_bDpT10_ENKUlT_T0_E_clISt17integral_constantIbLb0EES1M_EEDaS1H_S1I_EUlS1H_E_NS1_11comp_targetILNS1_3genE3ELNS1_11target_archE908ELNS1_3gpuE7ELNS1_3repE0EEENS1_30default_config_static_selectorELNS0_4arch9wavefront6targetE0EEEvSV_
	.p2align	8
	.type	_ZN7rocprim17ROCPRIM_400000_NS6detail17trampoline_kernelINS0_13select_configILj256ELj13ELNS0_17block_load_methodE3ELS4_3ELS4_3ELNS0_20block_scan_algorithmE0ELj4294967295EEENS1_25partition_config_selectorILNS1_17partition_subalgoE3EjNS0_10empty_typeEbEEZZNS1_14partition_implILS8_3ELb0ES6_jNS0_17counting_iteratorIjlEEPS9_SE_NS0_5tupleIJPjSE_EEENSF_IJSE_SE_EEES9_SG_JZNS1_25segmented_radix_sort_implINS0_14default_configELb1EPKlPlSM_SN_N2at6native12_GLOBAL__N_18offset_tEEE10hipError_tPvRmT1_PNSt15iterator_traitsISV_E10value_typeET2_T3_PNSW_IS11_E10value_typeET4_jRbjT5_S17_jjP12ihipStream_tbEUljE_EEESS_ST_SU_S11_S15_S17_T6_T7_T9_mT8_S19_bDpT10_ENKUlT_T0_E_clISt17integral_constantIbLb0EES1M_EEDaS1H_S1I_EUlS1H_E_NS1_11comp_targetILNS1_3genE3ELNS1_11target_archE908ELNS1_3gpuE7ELNS1_3repE0EEENS1_30default_config_static_selectorELNS0_4arch9wavefront6targetE0EEEvSV_,@function
_ZN7rocprim17ROCPRIM_400000_NS6detail17trampoline_kernelINS0_13select_configILj256ELj13ELNS0_17block_load_methodE3ELS4_3ELS4_3ELNS0_20block_scan_algorithmE0ELj4294967295EEENS1_25partition_config_selectorILNS1_17partition_subalgoE3EjNS0_10empty_typeEbEEZZNS1_14partition_implILS8_3ELb0ES6_jNS0_17counting_iteratorIjlEEPS9_SE_NS0_5tupleIJPjSE_EEENSF_IJSE_SE_EEES9_SG_JZNS1_25segmented_radix_sort_implINS0_14default_configELb1EPKlPlSM_SN_N2at6native12_GLOBAL__N_18offset_tEEE10hipError_tPvRmT1_PNSt15iterator_traitsISV_E10value_typeET2_T3_PNSW_IS11_E10value_typeET4_jRbjT5_S17_jjP12ihipStream_tbEUljE_EEESS_ST_SU_S11_S15_S17_T6_T7_T9_mT8_S19_bDpT10_ENKUlT_T0_E_clISt17integral_constantIbLb0EES1M_EEDaS1H_S1I_EUlS1H_E_NS1_11comp_targetILNS1_3genE3ELNS1_11target_archE908ELNS1_3gpuE7ELNS1_3repE0EEENS1_30default_config_static_selectorELNS0_4arch9wavefront6targetE0EEEvSV_: ; @_ZN7rocprim17ROCPRIM_400000_NS6detail17trampoline_kernelINS0_13select_configILj256ELj13ELNS0_17block_load_methodE3ELS4_3ELS4_3ELNS0_20block_scan_algorithmE0ELj4294967295EEENS1_25partition_config_selectorILNS1_17partition_subalgoE3EjNS0_10empty_typeEbEEZZNS1_14partition_implILS8_3ELb0ES6_jNS0_17counting_iteratorIjlEEPS9_SE_NS0_5tupleIJPjSE_EEENSF_IJSE_SE_EEES9_SG_JZNS1_25segmented_radix_sort_implINS0_14default_configELb1EPKlPlSM_SN_N2at6native12_GLOBAL__N_18offset_tEEE10hipError_tPvRmT1_PNSt15iterator_traitsISV_E10value_typeET2_T3_PNSW_IS11_E10value_typeET4_jRbjT5_S17_jjP12ihipStream_tbEUljE_EEESS_ST_SU_S11_S15_S17_T6_T7_T9_mT8_S19_bDpT10_ENKUlT_T0_E_clISt17integral_constantIbLb0EES1M_EEDaS1H_S1I_EUlS1H_E_NS1_11comp_targetILNS1_3genE3ELNS1_11target_archE908ELNS1_3gpuE7ELNS1_3repE0EEENS1_30default_config_static_selectorELNS0_4arch9wavefront6targetE0EEEvSV_
; %bb.0:
	.section	.rodata,"a",@progbits
	.p2align	6, 0x0
	.amdhsa_kernel _ZN7rocprim17ROCPRIM_400000_NS6detail17trampoline_kernelINS0_13select_configILj256ELj13ELNS0_17block_load_methodE3ELS4_3ELS4_3ELNS0_20block_scan_algorithmE0ELj4294967295EEENS1_25partition_config_selectorILNS1_17partition_subalgoE3EjNS0_10empty_typeEbEEZZNS1_14partition_implILS8_3ELb0ES6_jNS0_17counting_iteratorIjlEEPS9_SE_NS0_5tupleIJPjSE_EEENSF_IJSE_SE_EEES9_SG_JZNS1_25segmented_radix_sort_implINS0_14default_configELb1EPKlPlSM_SN_N2at6native12_GLOBAL__N_18offset_tEEE10hipError_tPvRmT1_PNSt15iterator_traitsISV_E10value_typeET2_T3_PNSW_IS11_E10value_typeET4_jRbjT5_S17_jjP12ihipStream_tbEUljE_EEESS_ST_SU_S11_S15_S17_T6_T7_T9_mT8_S19_bDpT10_ENKUlT_T0_E_clISt17integral_constantIbLb0EES1M_EEDaS1H_S1I_EUlS1H_E_NS1_11comp_targetILNS1_3genE3ELNS1_11target_archE908ELNS1_3gpuE7ELNS1_3repE0EEENS1_30default_config_static_selectorELNS0_4arch9wavefront6targetE0EEEvSV_
		.amdhsa_group_segment_fixed_size 0
		.amdhsa_private_segment_fixed_size 0
		.amdhsa_kernarg_size 144
		.amdhsa_user_sgpr_count 15
		.amdhsa_user_sgpr_dispatch_ptr 0
		.amdhsa_user_sgpr_queue_ptr 0
		.amdhsa_user_sgpr_kernarg_segment_ptr 1
		.amdhsa_user_sgpr_dispatch_id 0
		.amdhsa_user_sgpr_private_segment_size 0
		.amdhsa_wavefront_size32 1
		.amdhsa_uses_dynamic_stack 0
		.amdhsa_enable_private_segment 0
		.amdhsa_system_sgpr_workgroup_id_x 1
		.amdhsa_system_sgpr_workgroup_id_y 0
		.amdhsa_system_sgpr_workgroup_id_z 0
		.amdhsa_system_sgpr_workgroup_info 0
		.amdhsa_system_vgpr_workitem_id 0
		.amdhsa_next_free_vgpr 1
		.amdhsa_next_free_sgpr 1
		.amdhsa_reserve_vcc 0
		.amdhsa_float_round_mode_32 0
		.amdhsa_float_round_mode_16_64 0
		.amdhsa_float_denorm_mode_32 3
		.amdhsa_float_denorm_mode_16_64 3
		.amdhsa_dx10_clamp 1
		.amdhsa_ieee_mode 1
		.amdhsa_fp16_overflow 0
		.amdhsa_workgroup_processor_mode 1
		.amdhsa_memory_ordered 1
		.amdhsa_forward_progress 0
		.amdhsa_shared_vgpr_count 0
		.amdhsa_exception_fp_ieee_invalid_op 0
		.amdhsa_exception_fp_denorm_src 0
		.amdhsa_exception_fp_ieee_div_zero 0
		.amdhsa_exception_fp_ieee_overflow 0
		.amdhsa_exception_fp_ieee_underflow 0
		.amdhsa_exception_fp_ieee_inexact 0
		.amdhsa_exception_int_div_zero 0
	.end_amdhsa_kernel
	.section	.text._ZN7rocprim17ROCPRIM_400000_NS6detail17trampoline_kernelINS0_13select_configILj256ELj13ELNS0_17block_load_methodE3ELS4_3ELS4_3ELNS0_20block_scan_algorithmE0ELj4294967295EEENS1_25partition_config_selectorILNS1_17partition_subalgoE3EjNS0_10empty_typeEbEEZZNS1_14partition_implILS8_3ELb0ES6_jNS0_17counting_iteratorIjlEEPS9_SE_NS0_5tupleIJPjSE_EEENSF_IJSE_SE_EEES9_SG_JZNS1_25segmented_radix_sort_implINS0_14default_configELb1EPKlPlSM_SN_N2at6native12_GLOBAL__N_18offset_tEEE10hipError_tPvRmT1_PNSt15iterator_traitsISV_E10value_typeET2_T3_PNSW_IS11_E10value_typeET4_jRbjT5_S17_jjP12ihipStream_tbEUljE_EEESS_ST_SU_S11_S15_S17_T6_T7_T9_mT8_S19_bDpT10_ENKUlT_T0_E_clISt17integral_constantIbLb0EES1M_EEDaS1H_S1I_EUlS1H_E_NS1_11comp_targetILNS1_3genE3ELNS1_11target_archE908ELNS1_3gpuE7ELNS1_3repE0EEENS1_30default_config_static_selectorELNS0_4arch9wavefront6targetE0EEEvSV_,"axG",@progbits,_ZN7rocprim17ROCPRIM_400000_NS6detail17trampoline_kernelINS0_13select_configILj256ELj13ELNS0_17block_load_methodE3ELS4_3ELS4_3ELNS0_20block_scan_algorithmE0ELj4294967295EEENS1_25partition_config_selectorILNS1_17partition_subalgoE3EjNS0_10empty_typeEbEEZZNS1_14partition_implILS8_3ELb0ES6_jNS0_17counting_iteratorIjlEEPS9_SE_NS0_5tupleIJPjSE_EEENSF_IJSE_SE_EEES9_SG_JZNS1_25segmented_radix_sort_implINS0_14default_configELb1EPKlPlSM_SN_N2at6native12_GLOBAL__N_18offset_tEEE10hipError_tPvRmT1_PNSt15iterator_traitsISV_E10value_typeET2_T3_PNSW_IS11_E10value_typeET4_jRbjT5_S17_jjP12ihipStream_tbEUljE_EEESS_ST_SU_S11_S15_S17_T6_T7_T9_mT8_S19_bDpT10_ENKUlT_T0_E_clISt17integral_constantIbLb0EES1M_EEDaS1H_S1I_EUlS1H_E_NS1_11comp_targetILNS1_3genE3ELNS1_11target_archE908ELNS1_3gpuE7ELNS1_3repE0EEENS1_30default_config_static_selectorELNS0_4arch9wavefront6targetE0EEEvSV_,comdat
.Lfunc_end675:
	.size	_ZN7rocprim17ROCPRIM_400000_NS6detail17trampoline_kernelINS0_13select_configILj256ELj13ELNS0_17block_load_methodE3ELS4_3ELS4_3ELNS0_20block_scan_algorithmE0ELj4294967295EEENS1_25partition_config_selectorILNS1_17partition_subalgoE3EjNS0_10empty_typeEbEEZZNS1_14partition_implILS8_3ELb0ES6_jNS0_17counting_iteratorIjlEEPS9_SE_NS0_5tupleIJPjSE_EEENSF_IJSE_SE_EEES9_SG_JZNS1_25segmented_radix_sort_implINS0_14default_configELb1EPKlPlSM_SN_N2at6native12_GLOBAL__N_18offset_tEEE10hipError_tPvRmT1_PNSt15iterator_traitsISV_E10value_typeET2_T3_PNSW_IS11_E10value_typeET4_jRbjT5_S17_jjP12ihipStream_tbEUljE_EEESS_ST_SU_S11_S15_S17_T6_T7_T9_mT8_S19_bDpT10_ENKUlT_T0_E_clISt17integral_constantIbLb0EES1M_EEDaS1H_S1I_EUlS1H_E_NS1_11comp_targetILNS1_3genE3ELNS1_11target_archE908ELNS1_3gpuE7ELNS1_3repE0EEENS1_30default_config_static_selectorELNS0_4arch9wavefront6targetE0EEEvSV_, .Lfunc_end675-_ZN7rocprim17ROCPRIM_400000_NS6detail17trampoline_kernelINS0_13select_configILj256ELj13ELNS0_17block_load_methodE3ELS4_3ELS4_3ELNS0_20block_scan_algorithmE0ELj4294967295EEENS1_25partition_config_selectorILNS1_17partition_subalgoE3EjNS0_10empty_typeEbEEZZNS1_14partition_implILS8_3ELb0ES6_jNS0_17counting_iteratorIjlEEPS9_SE_NS0_5tupleIJPjSE_EEENSF_IJSE_SE_EEES9_SG_JZNS1_25segmented_radix_sort_implINS0_14default_configELb1EPKlPlSM_SN_N2at6native12_GLOBAL__N_18offset_tEEE10hipError_tPvRmT1_PNSt15iterator_traitsISV_E10value_typeET2_T3_PNSW_IS11_E10value_typeET4_jRbjT5_S17_jjP12ihipStream_tbEUljE_EEESS_ST_SU_S11_S15_S17_T6_T7_T9_mT8_S19_bDpT10_ENKUlT_T0_E_clISt17integral_constantIbLb0EES1M_EEDaS1H_S1I_EUlS1H_E_NS1_11comp_targetILNS1_3genE3ELNS1_11target_archE908ELNS1_3gpuE7ELNS1_3repE0EEENS1_30default_config_static_selectorELNS0_4arch9wavefront6targetE0EEEvSV_
                                        ; -- End function
	.section	.AMDGPU.csdata,"",@progbits
; Kernel info:
; codeLenInByte = 0
; NumSgprs: 0
; NumVgprs: 0
; ScratchSize: 0
; MemoryBound: 0
; FloatMode: 240
; IeeeMode: 1
; LDSByteSize: 0 bytes/workgroup (compile time only)
; SGPRBlocks: 0
; VGPRBlocks: 0
; NumSGPRsForWavesPerEU: 1
; NumVGPRsForWavesPerEU: 1
; Occupancy: 16
; WaveLimiterHint : 0
; COMPUTE_PGM_RSRC2:SCRATCH_EN: 0
; COMPUTE_PGM_RSRC2:USER_SGPR: 15
; COMPUTE_PGM_RSRC2:TRAP_HANDLER: 0
; COMPUTE_PGM_RSRC2:TGID_X_EN: 1
; COMPUTE_PGM_RSRC2:TGID_Y_EN: 0
; COMPUTE_PGM_RSRC2:TGID_Z_EN: 0
; COMPUTE_PGM_RSRC2:TIDIG_COMP_CNT: 0
	.section	.text._ZN7rocprim17ROCPRIM_400000_NS6detail17trampoline_kernelINS0_13select_configILj256ELj13ELNS0_17block_load_methodE3ELS4_3ELS4_3ELNS0_20block_scan_algorithmE0ELj4294967295EEENS1_25partition_config_selectorILNS1_17partition_subalgoE3EjNS0_10empty_typeEbEEZZNS1_14partition_implILS8_3ELb0ES6_jNS0_17counting_iteratorIjlEEPS9_SE_NS0_5tupleIJPjSE_EEENSF_IJSE_SE_EEES9_SG_JZNS1_25segmented_radix_sort_implINS0_14default_configELb1EPKlPlSM_SN_N2at6native12_GLOBAL__N_18offset_tEEE10hipError_tPvRmT1_PNSt15iterator_traitsISV_E10value_typeET2_T3_PNSW_IS11_E10value_typeET4_jRbjT5_S17_jjP12ihipStream_tbEUljE_EEESS_ST_SU_S11_S15_S17_T6_T7_T9_mT8_S19_bDpT10_ENKUlT_T0_E_clISt17integral_constantIbLb0EES1M_EEDaS1H_S1I_EUlS1H_E_NS1_11comp_targetILNS1_3genE2ELNS1_11target_archE906ELNS1_3gpuE6ELNS1_3repE0EEENS1_30default_config_static_selectorELNS0_4arch9wavefront6targetE0EEEvSV_,"axG",@progbits,_ZN7rocprim17ROCPRIM_400000_NS6detail17trampoline_kernelINS0_13select_configILj256ELj13ELNS0_17block_load_methodE3ELS4_3ELS4_3ELNS0_20block_scan_algorithmE0ELj4294967295EEENS1_25partition_config_selectorILNS1_17partition_subalgoE3EjNS0_10empty_typeEbEEZZNS1_14partition_implILS8_3ELb0ES6_jNS0_17counting_iteratorIjlEEPS9_SE_NS0_5tupleIJPjSE_EEENSF_IJSE_SE_EEES9_SG_JZNS1_25segmented_radix_sort_implINS0_14default_configELb1EPKlPlSM_SN_N2at6native12_GLOBAL__N_18offset_tEEE10hipError_tPvRmT1_PNSt15iterator_traitsISV_E10value_typeET2_T3_PNSW_IS11_E10value_typeET4_jRbjT5_S17_jjP12ihipStream_tbEUljE_EEESS_ST_SU_S11_S15_S17_T6_T7_T9_mT8_S19_bDpT10_ENKUlT_T0_E_clISt17integral_constantIbLb0EES1M_EEDaS1H_S1I_EUlS1H_E_NS1_11comp_targetILNS1_3genE2ELNS1_11target_archE906ELNS1_3gpuE6ELNS1_3repE0EEENS1_30default_config_static_selectorELNS0_4arch9wavefront6targetE0EEEvSV_,comdat
	.globl	_ZN7rocprim17ROCPRIM_400000_NS6detail17trampoline_kernelINS0_13select_configILj256ELj13ELNS0_17block_load_methodE3ELS4_3ELS4_3ELNS0_20block_scan_algorithmE0ELj4294967295EEENS1_25partition_config_selectorILNS1_17partition_subalgoE3EjNS0_10empty_typeEbEEZZNS1_14partition_implILS8_3ELb0ES6_jNS0_17counting_iteratorIjlEEPS9_SE_NS0_5tupleIJPjSE_EEENSF_IJSE_SE_EEES9_SG_JZNS1_25segmented_radix_sort_implINS0_14default_configELb1EPKlPlSM_SN_N2at6native12_GLOBAL__N_18offset_tEEE10hipError_tPvRmT1_PNSt15iterator_traitsISV_E10value_typeET2_T3_PNSW_IS11_E10value_typeET4_jRbjT5_S17_jjP12ihipStream_tbEUljE_EEESS_ST_SU_S11_S15_S17_T6_T7_T9_mT8_S19_bDpT10_ENKUlT_T0_E_clISt17integral_constantIbLb0EES1M_EEDaS1H_S1I_EUlS1H_E_NS1_11comp_targetILNS1_3genE2ELNS1_11target_archE906ELNS1_3gpuE6ELNS1_3repE0EEENS1_30default_config_static_selectorELNS0_4arch9wavefront6targetE0EEEvSV_ ; -- Begin function _ZN7rocprim17ROCPRIM_400000_NS6detail17trampoline_kernelINS0_13select_configILj256ELj13ELNS0_17block_load_methodE3ELS4_3ELS4_3ELNS0_20block_scan_algorithmE0ELj4294967295EEENS1_25partition_config_selectorILNS1_17partition_subalgoE3EjNS0_10empty_typeEbEEZZNS1_14partition_implILS8_3ELb0ES6_jNS0_17counting_iteratorIjlEEPS9_SE_NS0_5tupleIJPjSE_EEENSF_IJSE_SE_EEES9_SG_JZNS1_25segmented_radix_sort_implINS0_14default_configELb1EPKlPlSM_SN_N2at6native12_GLOBAL__N_18offset_tEEE10hipError_tPvRmT1_PNSt15iterator_traitsISV_E10value_typeET2_T3_PNSW_IS11_E10value_typeET4_jRbjT5_S17_jjP12ihipStream_tbEUljE_EEESS_ST_SU_S11_S15_S17_T6_T7_T9_mT8_S19_bDpT10_ENKUlT_T0_E_clISt17integral_constantIbLb0EES1M_EEDaS1H_S1I_EUlS1H_E_NS1_11comp_targetILNS1_3genE2ELNS1_11target_archE906ELNS1_3gpuE6ELNS1_3repE0EEENS1_30default_config_static_selectorELNS0_4arch9wavefront6targetE0EEEvSV_
	.p2align	8
	.type	_ZN7rocprim17ROCPRIM_400000_NS6detail17trampoline_kernelINS0_13select_configILj256ELj13ELNS0_17block_load_methodE3ELS4_3ELS4_3ELNS0_20block_scan_algorithmE0ELj4294967295EEENS1_25partition_config_selectorILNS1_17partition_subalgoE3EjNS0_10empty_typeEbEEZZNS1_14partition_implILS8_3ELb0ES6_jNS0_17counting_iteratorIjlEEPS9_SE_NS0_5tupleIJPjSE_EEENSF_IJSE_SE_EEES9_SG_JZNS1_25segmented_radix_sort_implINS0_14default_configELb1EPKlPlSM_SN_N2at6native12_GLOBAL__N_18offset_tEEE10hipError_tPvRmT1_PNSt15iterator_traitsISV_E10value_typeET2_T3_PNSW_IS11_E10value_typeET4_jRbjT5_S17_jjP12ihipStream_tbEUljE_EEESS_ST_SU_S11_S15_S17_T6_T7_T9_mT8_S19_bDpT10_ENKUlT_T0_E_clISt17integral_constantIbLb0EES1M_EEDaS1H_S1I_EUlS1H_E_NS1_11comp_targetILNS1_3genE2ELNS1_11target_archE906ELNS1_3gpuE6ELNS1_3repE0EEENS1_30default_config_static_selectorELNS0_4arch9wavefront6targetE0EEEvSV_,@function
_ZN7rocprim17ROCPRIM_400000_NS6detail17trampoline_kernelINS0_13select_configILj256ELj13ELNS0_17block_load_methodE3ELS4_3ELS4_3ELNS0_20block_scan_algorithmE0ELj4294967295EEENS1_25partition_config_selectorILNS1_17partition_subalgoE3EjNS0_10empty_typeEbEEZZNS1_14partition_implILS8_3ELb0ES6_jNS0_17counting_iteratorIjlEEPS9_SE_NS0_5tupleIJPjSE_EEENSF_IJSE_SE_EEES9_SG_JZNS1_25segmented_radix_sort_implINS0_14default_configELb1EPKlPlSM_SN_N2at6native12_GLOBAL__N_18offset_tEEE10hipError_tPvRmT1_PNSt15iterator_traitsISV_E10value_typeET2_T3_PNSW_IS11_E10value_typeET4_jRbjT5_S17_jjP12ihipStream_tbEUljE_EEESS_ST_SU_S11_S15_S17_T6_T7_T9_mT8_S19_bDpT10_ENKUlT_T0_E_clISt17integral_constantIbLb0EES1M_EEDaS1H_S1I_EUlS1H_E_NS1_11comp_targetILNS1_3genE2ELNS1_11target_archE906ELNS1_3gpuE6ELNS1_3repE0EEENS1_30default_config_static_selectorELNS0_4arch9wavefront6targetE0EEEvSV_: ; @_ZN7rocprim17ROCPRIM_400000_NS6detail17trampoline_kernelINS0_13select_configILj256ELj13ELNS0_17block_load_methodE3ELS4_3ELS4_3ELNS0_20block_scan_algorithmE0ELj4294967295EEENS1_25partition_config_selectorILNS1_17partition_subalgoE3EjNS0_10empty_typeEbEEZZNS1_14partition_implILS8_3ELb0ES6_jNS0_17counting_iteratorIjlEEPS9_SE_NS0_5tupleIJPjSE_EEENSF_IJSE_SE_EEES9_SG_JZNS1_25segmented_radix_sort_implINS0_14default_configELb1EPKlPlSM_SN_N2at6native12_GLOBAL__N_18offset_tEEE10hipError_tPvRmT1_PNSt15iterator_traitsISV_E10value_typeET2_T3_PNSW_IS11_E10value_typeET4_jRbjT5_S17_jjP12ihipStream_tbEUljE_EEESS_ST_SU_S11_S15_S17_T6_T7_T9_mT8_S19_bDpT10_ENKUlT_T0_E_clISt17integral_constantIbLb0EES1M_EEDaS1H_S1I_EUlS1H_E_NS1_11comp_targetILNS1_3genE2ELNS1_11target_archE906ELNS1_3gpuE6ELNS1_3repE0EEENS1_30default_config_static_selectorELNS0_4arch9wavefront6targetE0EEEvSV_
; %bb.0:
	.section	.rodata,"a",@progbits
	.p2align	6, 0x0
	.amdhsa_kernel _ZN7rocprim17ROCPRIM_400000_NS6detail17trampoline_kernelINS0_13select_configILj256ELj13ELNS0_17block_load_methodE3ELS4_3ELS4_3ELNS0_20block_scan_algorithmE0ELj4294967295EEENS1_25partition_config_selectorILNS1_17partition_subalgoE3EjNS0_10empty_typeEbEEZZNS1_14partition_implILS8_3ELb0ES6_jNS0_17counting_iteratorIjlEEPS9_SE_NS0_5tupleIJPjSE_EEENSF_IJSE_SE_EEES9_SG_JZNS1_25segmented_radix_sort_implINS0_14default_configELb1EPKlPlSM_SN_N2at6native12_GLOBAL__N_18offset_tEEE10hipError_tPvRmT1_PNSt15iterator_traitsISV_E10value_typeET2_T3_PNSW_IS11_E10value_typeET4_jRbjT5_S17_jjP12ihipStream_tbEUljE_EEESS_ST_SU_S11_S15_S17_T6_T7_T9_mT8_S19_bDpT10_ENKUlT_T0_E_clISt17integral_constantIbLb0EES1M_EEDaS1H_S1I_EUlS1H_E_NS1_11comp_targetILNS1_3genE2ELNS1_11target_archE906ELNS1_3gpuE6ELNS1_3repE0EEENS1_30default_config_static_selectorELNS0_4arch9wavefront6targetE0EEEvSV_
		.amdhsa_group_segment_fixed_size 0
		.amdhsa_private_segment_fixed_size 0
		.amdhsa_kernarg_size 144
		.amdhsa_user_sgpr_count 15
		.amdhsa_user_sgpr_dispatch_ptr 0
		.amdhsa_user_sgpr_queue_ptr 0
		.amdhsa_user_sgpr_kernarg_segment_ptr 1
		.amdhsa_user_sgpr_dispatch_id 0
		.amdhsa_user_sgpr_private_segment_size 0
		.amdhsa_wavefront_size32 1
		.amdhsa_uses_dynamic_stack 0
		.amdhsa_enable_private_segment 0
		.amdhsa_system_sgpr_workgroup_id_x 1
		.amdhsa_system_sgpr_workgroup_id_y 0
		.amdhsa_system_sgpr_workgroup_id_z 0
		.amdhsa_system_sgpr_workgroup_info 0
		.amdhsa_system_vgpr_workitem_id 0
		.amdhsa_next_free_vgpr 1
		.amdhsa_next_free_sgpr 1
		.amdhsa_reserve_vcc 0
		.amdhsa_float_round_mode_32 0
		.amdhsa_float_round_mode_16_64 0
		.amdhsa_float_denorm_mode_32 3
		.amdhsa_float_denorm_mode_16_64 3
		.amdhsa_dx10_clamp 1
		.amdhsa_ieee_mode 1
		.amdhsa_fp16_overflow 0
		.amdhsa_workgroup_processor_mode 1
		.amdhsa_memory_ordered 1
		.amdhsa_forward_progress 0
		.amdhsa_shared_vgpr_count 0
		.amdhsa_exception_fp_ieee_invalid_op 0
		.amdhsa_exception_fp_denorm_src 0
		.amdhsa_exception_fp_ieee_div_zero 0
		.amdhsa_exception_fp_ieee_overflow 0
		.amdhsa_exception_fp_ieee_underflow 0
		.amdhsa_exception_fp_ieee_inexact 0
		.amdhsa_exception_int_div_zero 0
	.end_amdhsa_kernel
	.section	.text._ZN7rocprim17ROCPRIM_400000_NS6detail17trampoline_kernelINS0_13select_configILj256ELj13ELNS0_17block_load_methodE3ELS4_3ELS4_3ELNS0_20block_scan_algorithmE0ELj4294967295EEENS1_25partition_config_selectorILNS1_17partition_subalgoE3EjNS0_10empty_typeEbEEZZNS1_14partition_implILS8_3ELb0ES6_jNS0_17counting_iteratorIjlEEPS9_SE_NS0_5tupleIJPjSE_EEENSF_IJSE_SE_EEES9_SG_JZNS1_25segmented_radix_sort_implINS0_14default_configELb1EPKlPlSM_SN_N2at6native12_GLOBAL__N_18offset_tEEE10hipError_tPvRmT1_PNSt15iterator_traitsISV_E10value_typeET2_T3_PNSW_IS11_E10value_typeET4_jRbjT5_S17_jjP12ihipStream_tbEUljE_EEESS_ST_SU_S11_S15_S17_T6_T7_T9_mT8_S19_bDpT10_ENKUlT_T0_E_clISt17integral_constantIbLb0EES1M_EEDaS1H_S1I_EUlS1H_E_NS1_11comp_targetILNS1_3genE2ELNS1_11target_archE906ELNS1_3gpuE6ELNS1_3repE0EEENS1_30default_config_static_selectorELNS0_4arch9wavefront6targetE0EEEvSV_,"axG",@progbits,_ZN7rocprim17ROCPRIM_400000_NS6detail17trampoline_kernelINS0_13select_configILj256ELj13ELNS0_17block_load_methodE3ELS4_3ELS4_3ELNS0_20block_scan_algorithmE0ELj4294967295EEENS1_25partition_config_selectorILNS1_17partition_subalgoE3EjNS0_10empty_typeEbEEZZNS1_14partition_implILS8_3ELb0ES6_jNS0_17counting_iteratorIjlEEPS9_SE_NS0_5tupleIJPjSE_EEENSF_IJSE_SE_EEES9_SG_JZNS1_25segmented_radix_sort_implINS0_14default_configELb1EPKlPlSM_SN_N2at6native12_GLOBAL__N_18offset_tEEE10hipError_tPvRmT1_PNSt15iterator_traitsISV_E10value_typeET2_T3_PNSW_IS11_E10value_typeET4_jRbjT5_S17_jjP12ihipStream_tbEUljE_EEESS_ST_SU_S11_S15_S17_T6_T7_T9_mT8_S19_bDpT10_ENKUlT_T0_E_clISt17integral_constantIbLb0EES1M_EEDaS1H_S1I_EUlS1H_E_NS1_11comp_targetILNS1_3genE2ELNS1_11target_archE906ELNS1_3gpuE6ELNS1_3repE0EEENS1_30default_config_static_selectorELNS0_4arch9wavefront6targetE0EEEvSV_,comdat
.Lfunc_end676:
	.size	_ZN7rocprim17ROCPRIM_400000_NS6detail17trampoline_kernelINS0_13select_configILj256ELj13ELNS0_17block_load_methodE3ELS4_3ELS4_3ELNS0_20block_scan_algorithmE0ELj4294967295EEENS1_25partition_config_selectorILNS1_17partition_subalgoE3EjNS0_10empty_typeEbEEZZNS1_14partition_implILS8_3ELb0ES6_jNS0_17counting_iteratorIjlEEPS9_SE_NS0_5tupleIJPjSE_EEENSF_IJSE_SE_EEES9_SG_JZNS1_25segmented_radix_sort_implINS0_14default_configELb1EPKlPlSM_SN_N2at6native12_GLOBAL__N_18offset_tEEE10hipError_tPvRmT1_PNSt15iterator_traitsISV_E10value_typeET2_T3_PNSW_IS11_E10value_typeET4_jRbjT5_S17_jjP12ihipStream_tbEUljE_EEESS_ST_SU_S11_S15_S17_T6_T7_T9_mT8_S19_bDpT10_ENKUlT_T0_E_clISt17integral_constantIbLb0EES1M_EEDaS1H_S1I_EUlS1H_E_NS1_11comp_targetILNS1_3genE2ELNS1_11target_archE906ELNS1_3gpuE6ELNS1_3repE0EEENS1_30default_config_static_selectorELNS0_4arch9wavefront6targetE0EEEvSV_, .Lfunc_end676-_ZN7rocprim17ROCPRIM_400000_NS6detail17trampoline_kernelINS0_13select_configILj256ELj13ELNS0_17block_load_methodE3ELS4_3ELS4_3ELNS0_20block_scan_algorithmE0ELj4294967295EEENS1_25partition_config_selectorILNS1_17partition_subalgoE3EjNS0_10empty_typeEbEEZZNS1_14partition_implILS8_3ELb0ES6_jNS0_17counting_iteratorIjlEEPS9_SE_NS0_5tupleIJPjSE_EEENSF_IJSE_SE_EEES9_SG_JZNS1_25segmented_radix_sort_implINS0_14default_configELb1EPKlPlSM_SN_N2at6native12_GLOBAL__N_18offset_tEEE10hipError_tPvRmT1_PNSt15iterator_traitsISV_E10value_typeET2_T3_PNSW_IS11_E10value_typeET4_jRbjT5_S17_jjP12ihipStream_tbEUljE_EEESS_ST_SU_S11_S15_S17_T6_T7_T9_mT8_S19_bDpT10_ENKUlT_T0_E_clISt17integral_constantIbLb0EES1M_EEDaS1H_S1I_EUlS1H_E_NS1_11comp_targetILNS1_3genE2ELNS1_11target_archE906ELNS1_3gpuE6ELNS1_3repE0EEENS1_30default_config_static_selectorELNS0_4arch9wavefront6targetE0EEEvSV_
                                        ; -- End function
	.section	.AMDGPU.csdata,"",@progbits
; Kernel info:
; codeLenInByte = 0
; NumSgprs: 0
; NumVgprs: 0
; ScratchSize: 0
; MemoryBound: 0
; FloatMode: 240
; IeeeMode: 1
; LDSByteSize: 0 bytes/workgroup (compile time only)
; SGPRBlocks: 0
; VGPRBlocks: 0
; NumSGPRsForWavesPerEU: 1
; NumVGPRsForWavesPerEU: 1
; Occupancy: 16
; WaveLimiterHint : 0
; COMPUTE_PGM_RSRC2:SCRATCH_EN: 0
; COMPUTE_PGM_RSRC2:USER_SGPR: 15
; COMPUTE_PGM_RSRC2:TRAP_HANDLER: 0
; COMPUTE_PGM_RSRC2:TGID_X_EN: 1
; COMPUTE_PGM_RSRC2:TGID_Y_EN: 0
; COMPUTE_PGM_RSRC2:TGID_Z_EN: 0
; COMPUTE_PGM_RSRC2:TIDIG_COMP_CNT: 0
	.section	.text._ZN7rocprim17ROCPRIM_400000_NS6detail17trampoline_kernelINS0_13select_configILj256ELj13ELNS0_17block_load_methodE3ELS4_3ELS4_3ELNS0_20block_scan_algorithmE0ELj4294967295EEENS1_25partition_config_selectorILNS1_17partition_subalgoE3EjNS0_10empty_typeEbEEZZNS1_14partition_implILS8_3ELb0ES6_jNS0_17counting_iteratorIjlEEPS9_SE_NS0_5tupleIJPjSE_EEENSF_IJSE_SE_EEES9_SG_JZNS1_25segmented_radix_sort_implINS0_14default_configELb1EPKlPlSM_SN_N2at6native12_GLOBAL__N_18offset_tEEE10hipError_tPvRmT1_PNSt15iterator_traitsISV_E10value_typeET2_T3_PNSW_IS11_E10value_typeET4_jRbjT5_S17_jjP12ihipStream_tbEUljE_EEESS_ST_SU_S11_S15_S17_T6_T7_T9_mT8_S19_bDpT10_ENKUlT_T0_E_clISt17integral_constantIbLb0EES1M_EEDaS1H_S1I_EUlS1H_E_NS1_11comp_targetILNS1_3genE10ELNS1_11target_archE1200ELNS1_3gpuE4ELNS1_3repE0EEENS1_30default_config_static_selectorELNS0_4arch9wavefront6targetE0EEEvSV_,"axG",@progbits,_ZN7rocprim17ROCPRIM_400000_NS6detail17trampoline_kernelINS0_13select_configILj256ELj13ELNS0_17block_load_methodE3ELS4_3ELS4_3ELNS0_20block_scan_algorithmE0ELj4294967295EEENS1_25partition_config_selectorILNS1_17partition_subalgoE3EjNS0_10empty_typeEbEEZZNS1_14partition_implILS8_3ELb0ES6_jNS0_17counting_iteratorIjlEEPS9_SE_NS0_5tupleIJPjSE_EEENSF_IJSE_SE_EEES9_SG_JZNS1_25segmented_radix_sort_implINS0_14default_configELb1EPKlPlSM_SN_N2at6native12_GLOBAL__N_18offset_tEEE10hipError_tPvRmT1_PNSt15iterator_traitsISV_E10value_typeET2_T3_PNSW_IS11_E10value_typeET4_jRbjT5_S17_jjP12ihipStream_tbEUljE_EEESS_ST_SU_S11_S15_S17_T6_T7_T9_mT8_S19_bDpT10_ENKUlT_T0_E_clISt17integral_constantIbLb0EES1M_EEDaS1H_S1I_EUlS1H_E_NS1_11comp_targetILNS1_3genE10ELNS1_11target_archE1200ELNS1_3gpuE4ELNS1_3repE0EEENS1_30default_config_static_selectorELNS0_4arch9wavefront6targetE0EEEvSV_,comdat
	.globl	_ZN7rocprim17ROCPRIM_400000_NS6detail17trampoline_kernelINS0_13select_configILj256ELj13ELNS0_17block_load_methodE3ELS4_3ELS4_3ELNS0_20block_scan_algorithmE0ELj4294967295EEENS1_25partition_config_selectorILNS1_17partition_subalgoE3EjNS0_10empty_typeEbEEZZNS1_14partition_implILS8_3ELb0ES6_jNS0_17counting_iteratorIjlEEPS9_SE_NS0_5tupleIJPjSE_EEENSF_IJSE_SE_EEES9_SG_JZNS1_25segmented_radix_sort_implINS0_14default_configELb1EPKlPlSM_SN_N2at6native12_GLOBAL__N_18offset_tEEE10hipError_tPvRmT1_PNSt15iterator_traitsISV_E10value_typeET2_T3_PNSW_IS11_E10value_typeET4_jRbjT5_S17_jjP12ihipStream_tbEUljE_EEESS_ST_SU_S11_S15_S17_T6_T7_T9_mT8_S19_bDpT10_ENKUlT_T0_E_clISt17integral_constantIbLb0EES1M_EEDaS1H_S1I_EUlS1H_E_NS1_11comp_targetILNS1_3genE10ELNS1_11target_archE1200ELNS1_3gpuE4ELNS1_3repE0EEENS1_30default_config_static_selectorELNS0_4arch9wavefront6targetE0EEEvSV_ ; -- Begin function _ZN7rocprim17ROCPRIM_400000_NS6detail17trampoline_kernelINS0_13select_configILj256ELj13ELNS0_17block_load_methodE3ELS4_3ELS4_3ELNS0_20block_scan_algorithmE0ELj4294967295EEENS1_25partition_config_selectorILNS1_17partition_subalgoE3EjNS0_10empty_typeEbEEZZNS1_14partition_implILS8_3ELb0ES6_jNS0_17counting_iteratorIjlEEPS9_SE_NS0_5tupleIJPjSE_EEENSF_IJSE_SE_EEES9_SG_JZNS1_25segmented_radix_sort_implINS0_14default_configELb1EPKlPlSM_SN_N2at6native12_GLOBAL__N_18offset_tEEE10hipError_tPvRmT1_PNSt15iterator_traitsISV_E10value_typeET2_T3_PNSW_IS11_E10value_typeET4_jRbjT5_S17_jjP12ihipStream_tbEUljE_EEESS_ST_SU_S11_S15_S17_T6_T7_T9_mT8_S19_bDpT10_ENKUlT_T0_E_clISt17integral_constantIbLb0EES1M_EEDaS1H_S1I_EUlS1H_E_NS1_11comp_targetILNS1_3genE10ELNS1_11target_archE1200ELNS1_3gpuE4ELNS1_3repE0EEENS1_30default_config_static_selectorELNS0_4arch9wavefront6targetE0EEEvSV_
	.p2align	8
	.type	_ZN7rocprim17ROCPRIM_400000_NS6detail17trampoline_kernelINS0_13select_configILj256ELj13ELNS0_17block_load_methodE3ELS4_3ELS4_3ELNS0_20block_scan_algorithmE0ELj4294967295EEENS1_25partition_config_selectorILNS1_17partition_subalgoE3EjNS0_10empty_typeEbEEZZNS1_14partition_implILS8_3ELb0ES6_jNS0_17counting_iteratorIjlEEPS9_SE_NS0_5tupleIJPjSE_EEENSF_IJSE_SE_EEES9_SG_JZNS1_25segmented_radix_sort_implINS0_14default_configELb1EPKlPlSM_SN_N2at6native12_GLOBAL__N_18offset_tEEE10hipError_tPvRmT1_PNSt15iterator_traitsISV_E10value_typeET2_T3_PNSW_IS11_E10value_typeET4_jRbjT5_S17_jjP12ihipStream_tbEUljE_EEESS_ST_SU_S11_S15_S17_T6_T7_T9_mT8_S19_bDpT10_ENKUlT_T0_E_clISt17integral_constantIbLb0EES1M_EEDaS1H_S1I_EUlS1H_E_NS1_11comp_targetILNS1_3genE10ELNS1_11target_archE1200ELNS1_3gpuE4ELNS1_3repE0EEENS1_30default_config_static_selectorELNS0_4arch9wavefront6targetE0EEEvSV_,@function
_ZN7rocprim17ROCPRIM_400000_NS6detail17trampoline_kernelINS0_13select_configILj256ELj13ELNS0_17block_load_methodE3ELS4_3ELS4_3ELNS0_20block_scan_algorithmE0ELj4294967295EEENS1_25partition_config_selectorILNS1_17partition_subalgoE3EjNS0_10empty_typeEbEEZZNS1_14partition_implILS8_3ELb0ES6_jNS0_17counting_iteratorIjlEEPS9_SE_NS0_5tupleIJPjSE_EEENSF_IJSE_SE_EEES9_SG_JZNS1_25segmented_radix_sort_implINS0_14default_configELb1EPKlPlSM_SN_N2at6native12_GLOBAL__N_18offset_tEEE10hipError_tPvRmT1_PNSt15iterator_traitsISV_E10value_typeET2_T3_PNSW_IS11_E10value_typeET4_jRbjT5_S17_jjP12ihipStream_tbEUljE_EEESS_ST_SU_S11_S15_S17_T6_T7_T9_mT8_S19_bDpT10_ENKUlT_T0_E_clISt17integral_constantIbLb0EES1M_EEDaS1H_S1I_EUlS1H_E_NS1_11comp_targetILNS1_3genE10ELNS1_11target_archE1200ELNS1_3gpuE4ELNS1_3repE0EEENS1_30default_config_static_selectorELNS0_4arch9wavefront6targetE0EEEvSV_: ; @_ZN7rocprim17ROCPRIM_400000_NS6detail17trampoline_kernelINS0_13select_configILj256ELj13ELNS0_17block_load_methodE3ELS4_3ELS4_3ELNS0_20block_scan_algorithmE0ELj4294967295EEENS1_25partition_config_selectorILNS1_17partition_subalgoE3EjNS0_10empty_typeEbEEZZNS1_14partition_implILS8_3ELb0ES6_jNS0_17counting_iteratorIjlEEPS9_SE_NS0_5tupleIJPjSE_EEENSF_IJSE_SE_EEES9_SG_JZNS1_25segmented_radix_sort_implINS0_14default_configELb1EPKlPlSM_SN_N2at6native12_GLOBAL__N_18offset_tEEE10hipError_tPvRmT1_PNSt15iterator_traitsISV_E10value_typeET2_T3_PNSW_IS11_E10value_typeET4_jRbjT5_S17_jjP12ihipStream_tbEUljE_EEESS_ST_SU_S11_S15_S17_T6_T7_T9_mT8_S19_bDpT10_ENKUlT_T0_E_clISt17integral_constantIbLb0EES1M_EEDaS1H_S1I_EUlS1H_E_NS1_11comp_targetILNS1_3genE10ELNS1_11target_archE1200ELNS1_3gpuE4ELNS1_3repE0EEENS1_30default_config_static_selectorELNS0_4arch9wavefront6targetE0EEEvSV_
; %bb.0:
	.section	.rodata,"a",@progbits
	.p2align	6, 0x0
	.amdhsa_kernel _ZN7rocprim17ROCPRIM_400000_NS6detail17trampoline_kernelINS0_13select_configILj256ELj13ELNS0_17block_load_methodE3ELS4_3ELS4_3ELNS0_20block_scan_algorithmE0ELj4294967295EEENS1_25partition_config_selectorILNS1_17partition_subalgoE3EjNS0_10empty_typeEbEEZZNS1_14partition_implILS8_3ELb0ES6_jNS0_17counting_iteratorIjlEEPS9_SE_NS0_5tupleIJPjSE_EEENSF_IJSE_SE_EEES9_SG_JZNS1_25segmented_radix_sort_implINS0_14default_configELb1EPKlPlSM_SN_N2at6native12_GLOBAL__N_18offset_tEEE10hipError_tPvRmT1_PNSt15iterator_traitsISV_E10value_typeET2_T3_PNSW_IS11_E10value_typeET4_jRbjT5_S17_jjP12ihipStream_tbEUljE_EEESS_ST_SU_S11_S15_S17_T6_T7_T9_mT8_S19_bDpT10_ENKUlT_T0_E_clISt17integral_constantIbLb0EES1M_EEDaS1H_S1I_EUlS1H_E_NS1_11comp_targetILNS1_3genE10ELNS1_11target_archE1200ELNS1_3gpuE4ELNS1_3repE0EEENS1_30default_config_static_selectorELNS0_4arch9wavefront6targetE0EEEvSV_
		.amdhsa_group_segment_fixed_size 0
		.amdhsa_private_segment_fixed_size 0
		.amdhsa_kernarg_size 144
		.amdhsa_user_sgpr_count 15
		.amdhsa_user_sgpr_dispatch_ptr 0
		.amdhsa_user_sgpr_queue_ptr 0
		.amdhsa_user_sgpr_kernarg_segment_ptr 1
		.amdhsa_user_sgpr_dispatch_id 0
		.amdhsa_user_sgpr_private_segment_size 0
		.amdhsa_wavefront_size32 1
		.amdhsa_uses_dynamic_stack 0
		.amdhsa_enable_private_segment 0
		.amdhsa_system_sgpr_workgroup_id_x 1
		.amdhsa_system_sgpr_workgroup_id_y 0
		.amdhsa_system_sgpr_workgroup_id_z 0
		.amdhsa_system_sgpr_workgroup_info 0
		.amdhsa_system_vgpr_workitem_id 0
		.amdhsa_next_free_vgpr 1
		.amdhsa_next_free_sgpr 1
		.amdhsa_reserve_vcc 0
		.amdhsa_float_round_mode_32 0
		.amdhsa_float_round_mode_16_64 0
		.amdhsa_float_denorm_mode_32 3
		.amdhsa_float_denorm_mode_16_64 3
		.amdhsa_dx10_clamp 1
		.amdhsa_ieee_mode 1
		.amdhsa_fp16_overflow 0
		.amdhsa_workgroup_processor_mode 1
		.amdhsa_memory_ordered 1
		.amdhsa_forward_progress 0
		.amdhsa_shared_vgpr_count 0
		.amdhsa_exception_fp_ieee_invalid_op 0
		.amdhsa_exception_fp_denorm_src 0
		.amdhsa_exception_fp_ieee_div_zero 0
		.amdhsa_exception_fp_ieee_overflow 0
		.amdhsa_exception_fp_ieee_underflow 0
		.amdhsa_exception_fp_ieee_inexact 0
		.amdhsa_exception_int_div_zero 0
	.end_amdhsa_kernel
	.section	.text._ZN7rocprim17ROCPRIM_400000_NS6detail17trampoline_kernelINS0_13select_configILj256ELj13ELNS0_17block_load_methodE3ELS4_3ELS4_3ELNS0_20block_scan_algorithmE0ELj4294967295EEENS1_25partition_config_selectorILNS1_17partition_subalgoE3EjNS0_10empty_typeEbEEZZNS1_14partition_implILS8_3ELb0ES6_jNS0_17counting_iteratorIjlEEPS9_SE_NS0_5tupleIJPjSE_EEENSF_IJSE_SE_EEES9_SG_JZNS1_25segmented_radix_sort_implINS0_14default_configELb1EPKlPlSM_SN_N2at6native12_GLOBAL__N_18offset_tEEE10hipError_tPvRmT1_PNSt15iterator_traitsISV_E10value_typeET2_T3_PNSW_IS11_E10value_typeET4_jRbjT5_S17_jjP12ihipStream_tbEUljE_EEESS_ST_SU_S11_S15_S17_T6_T7_T9_mT8_S19_bDpT10_ENKUlT_T0_E_clISt17integral_constantIbLb0EES1M_EEDaS1H_S1I_EUlS1H_E_NS1_11comp_targetILNS1_3genE10ELNS1_11target_archE1200ELNS1_3gpuE4ELNS1_3repE0EEENS1_30default_config_static_selectorELNS0_4arch9wavefront6targetE0EEEvSV_,"axG",@progbits,_ZN7rocprim17ROCPRIM_400000_NS6detail17trampoline_kernelINS0_13select_configILj256ELj13ELNS0_17block_load_methodE3ELS4_3ELS4_3ELNS0_20block_scan_algorithmE0ELj4294967295EEENS1_25partition_config_selectorILNS1_17partition_subalgoE3EjNS0_10empty_typeEbEEZZNS1_14partition_implILS8_3ELb0ES6_jNS0_17counting_iteratorIjlEEPS9_SE_NS0_5tupleIJPjSE_EEENSF_IJSE_SE_EEES9_SG_JZNS1_25segmented_radix_sort_implINS0_14default_configELb1EPKlPlSM_SN_N2at6native12_GLOBAL__N_18offset_tEEE10hipError_tPvRmT1_PNSt15iterator_traitsISV_E10value_typeET2_T3_PNSW_IS11_E10value_typeET4_jRbjT5_S17_jjP12ihipStream_tbEUljE_EEESS_ST_SU_S11_S15_S17_T6_T7_T9_mT8_S19_bDpT10_ENKUlT_T0_E_clISt17integral_constantIbLb0EES1M_EEDaS1H_S1I_EUlS1H_E_NS1_11comp_targetILNS1_3genE10ELNS1_11target_archE1200ELNS1_3gpuE4ELNS1_3repE0EEENS1_30default_config_static_selectorELNS0_4arch9wavefront6targetE0EEEvSV_,comdat
.Lfunc_end677:
	.size	_ZN7rocprim17ROCPRIM_400000_NS6detail17trampoline_kernelINS0_13select_configILj256ELj13ELNS0_17block_load_methodE3ELS4_3ELS4_3ELNS0_20block_scan_algorithmE0ELj4294967295EEENS1_25partition_config_selectorILNS1_17partition_subalgoE3EjNS0_10empty_typeEbEEZZNS1_14partition_implILS8_3ELb0ES6_jNS0_17counting_iteratorIjlEEPS9_SE_NS0_5tupleIJPjSE_EEENSF_IJSE_SE_EEES9_SG_JZNS1_25segmented_radix_sort_implINS0_14default_configELb1EPKlPlSM_SN_N2at6native12_GLOBAL__N_18offset_tEEE10hipError_tPvRmT1_PNSt15iterator_traitsISV_E10value_typeET2_T3_PNSW_IS11_E10value_typeET4_jRbjT5_S17_jjP12ihipStream_tbEUljE_EEESS_ST_SU_S11_S15_S17_T6_T7_T9_mT8_S19_bDpT10_ENKUlT_T0_E_clISt17integral_constantIbLb0EES1M_EEDaS1H_S1I_EUlS1H_E_NS1_11comp_targetILNS1_3genE10ELNS1_11target_archE1200ELNS1_3gpuE4ELNS1_3repE0EEENS1_30default_config_static_selectorELNS0_4arch9wavefront6targetE0EEEvSV_, .Lfunc_end677-_ZN7rocprim17ROCPRIM_400000_NS6detail17trampoline_kernelINS0_13select_configILj256ELj13ELNS0_17block_load_methodE3ELS4_3ELS4_3ELNS0_20block_scan_algorithmE0ELj4294967295EEENS1_25partition_config_selectorILNS1_17partition_subalgoE3EjNS0_10empty_typeEbEEZZNS1_14partition_implILS8_3ELb0ES6_jNS0_17counting_iteratorIjlEEPS9_SE_NS0_5tupleIJPjSE_EEENSF_IJSE_SE_EEES9_SG_JZNS1_25segmented_radix_sort_implINS0_14default_configELb1EPKlPlSM_SN_N2at6native12_GLOBAL__N_18offset_tEEE10hipError_tPvRmT1_PNSt15iterator_traitsISV_E10value_typeET2_T3_PNSW_IS11_E10value_typeET4_jRbjT5_S17_jjP12ihipStream_tbEUljE_EEESS_ST_SU_S11_S15_S17_T6_T7_T9_mT8_S19_bDpT10_ENKUlT_T0_E_clISt17integral_constantIbLb0EES1M_EEDaS1H_S1I_EUlS1H_E_NS1_11comp_targetILNS1_3genE10ELNS1_11target_archE1200ELNS1_3gpuE4ELNS1_3repE0EEENS1_30default_config_static_selectorELNS0_4arch9wavefront6targetE0EEEvSV_
                                        ; -- End function
	.section	.AMDGPU.csdata,"",@progbits
; Kernel info:
; codeLenInByte = 0
; NumSgprs: 0
; NumVgprs: 0
; ScratchSize: 0
; MemoryBound: 0
; FloatMode: 240
; IeeeMode: 1
; LDSByteSize: 0 bytes/workgroup (compile time only)
; SGPRBlocks: 0
; VGPRBlocks: 0
; NumSGPRsForWavesPerEU: 1
; NumVGPRsForWavesPerEU: 1
; Occupancy: 16
; WaveLimiterHint : 0
; COMPUTE_PGM_RSRC2:SCRATCH_EN: 0
; COMPUTE_PGM_RSRC2:USER_SGPR: 15
; COMPUTE_PGM_RSRC2:TRAP_HANDLER: 0
; COMPUTE_PGM_RSRC2:TGID_X_EN: 1
; COMPUTE_PGM_RSRC2:TGID_Y_EN: 0
; COMPUTE_PGM_RSRC2:TGID_Z_EN: 0
; COMPUTE_PGM_RSRC2:TIDIG_COMP_CNT: 0
	.section	.text._ZN7rocprim17ROCPRIM_400000_NS6detail17trampoline_kernelINS0_13select_configILj256ELj13ELNS0_17block_load_methodE3ELS4_3ELS4_3ELNS0_20block_scan_algorithmE0ELj4294967295EEENS1_25partition_config_selectorILNS1_17partition_subalgoE3EjNS0_10empty_typeEbEEZZNS1_14partition_implILS8_3ELb0ES6_jNS0_17counting_iteratorIjlEEPS9_SE_NS0_5tupleIJPjSE_EEENSF_IJSE_SE_EEES9_SG_JZNS1_25segmented_radix_sort_implINS0_14default_configELb1EPKlPlSM_SN_N2at6native12_GLOBAL__N_18offset_tEEE10hipError_tPvRmT1_PNSt15iterator_traitsISV_E10value_typeET2_T3_PNSW_IS11_E10value_typeET4_jRbjT5_S17_jjP12ihipStream_tbEUljE_EEESS_ST_SU_S11_S15_S17_T6_T7_T9_mT8_S19_bDpT10_ENKUlT_T0_E_clISt17integral_constantIbLb0EES1M_EEDaS1H_S1I_EUlS1H_E_NS1_11comp_targetILNS1_3genE9ELNS1_11target_archE1100ELNS1_3gpuE3ELNS1_3repE0EEENS1_30default_config_static_selectorELNS0_4arch9wavefront6targetE0EEEvSV_,"axG",@progbits,_ZN7rocprim17ROCPRIM_400000_NS6detail17trampoline_kernelINS0_13select_configILj256ELj13ELNS0_17block_load_methodE3ELS4_3ELS4_3ELNS0_20block_scan_algorithmE0ELj4294967295EEENS1_25partition_config_selectorILNS1_17partition_subalgoE3EjNS0_10empty_typeEbEEZZNS1_14partition_implILS8_3ELb0ES6_jNS0_17counting_iteratorIjlEEPS9_SE_NS0_5tupleIJPjSE_EEENSF_IJSE_SE_EEES9_SG_JZNS1_25segmented_radix_sort_implINS0_14default_configELb1EPKlPlSM_SN_N2at6native12_GLOBAL__N_18offset_tEEE10hipError_tPvRmT1_PNSt15iterator_traitsISV_E10value_typeET2_T3_PNSW_IS11_E10value_typeET4_jRbjT5_S17_jjP12ihipStream_tbEUljE_EEESS_ST_SU_S11_S15_S17_T6_T7_T9_mT8_S19_bDpT10_ENKUlT_T0_E_clISt17integral_constantIbLb0EES1M_EEDaS1H_S1I_EUlS1H_E_NS1_11comp_targetILNS1_3genE9ELNS1_11target_archE1100ELNS1_3gpuE3ELNS1_3repE0EEENS1_30default_config_static_selectorELNS0_4arch9wavefront6targetE0EEEvSV_,comdat
	.globl	_ZN7rocprim17ROCPRIM_400000_NS6detail17trampoline_kernelINS0_13select_configILj256ELj13ELNS0_17block_load_methodE3ELS4_3ELS4_3ELNS0_20block_scan_algorithmE0ELj4294967295EEENS1_25partition_config_selectorILNS1_17partition_subalgoE3EjNS0_10empty_typeEbEEZZNS1_14partition_implILS8_3ELb0ES6_jNS0_17counting_iteratorIjlEEPS9_SE_NS0_5tupleIJPjSE_EEENSF_IJSE_SE_EEES9_SG_JZNS1_25segmented_radix_sort_implINS0_14default_configELb1EPKlPlSM_SN_N2at6native12_GLOBAL__N_18offset_tEEE10hipError_tPvRmT1_PNSt15iterator_traitsISV_E10value_typeET2_T3_PNSW_IS11_E10value_typeET4_jRbjT5_S17_jjP12ihipStream_tbEUljE_EEESS_ST_SU_S11_S15_S17_T6_T7_T9_mT8_S19_bDpT10_ENKUlT_T0_E_clISt17integral_constantIbLb0EES1M_EEDaS1H_S1I_EUlS1H_E_NS1_11comp_targetILNS1_3genE9ELNS1_11target_archE1100ELNS1_3gpuE3ELNS1_3repE0EEENS1_30default_config_static_selectorELNS0_4arch9wavefront6targetE0EEEvSV_ ; -- Begin function _ZN7rocprim17ROCPRIM_400000_NS6detail17trampoline_kernelINS0_13select_configILj256ELj13ELNS0_17block_load_methodE3ELS4_3ELS4_3ELNS0_20block_scan_algorithmE0ELj4294967295EEENS1_25partition_config_selectorILNS1_17partition_subalgoE3EjNS0_10empty_typeEbEEZZNS1_14partition_implILS8_3ELb0ES6_jNS0_17counting_iteratorIjlEEPS9_SE_NS0_5tupleIJPjSE_EEENSF_IJSE_SE_EEES9_SG_JZNS1_25segmented_radix_sort_implINS0_14default_configELb1EPKlPlSM_SN_N2at6native12_GLOBAL__N_18offset_tEEE10hipError_tPvRmT1_PNSt15iterator_traitsISV_E10value_typeET2_T3_PNSW_IS11_E10value_typeET4_jRbjT5_S17_jjP12ihipStream_tbEUljE_EEESS_ST_SU_S11_S15_S17_T6_T7_T9_mT8_S19_bDpT10_ENKUlT_T0_E_clISt17integral_constantIbLb0EES1M_EEDaS1H_S1I_EUlS1H_E_NS1_11comp_targetILNS1_3genE9ELNS1_11target_archE1100ELNS1_3gpuE3ELNS1_3repE0EEENS1_30default_config_static_selectorELNS0_4arch9wavefront6targetE0EEEvSV_
	.p2align	8
	.type	_ZN7rocprim17ROCPRIM_400000_NS6detail17trampoline_kernelINS0_13select_configILj256ELj13ELNS0_17block_load_methodE3ELS4_3ELS4_3ELNS0_20block_scan_algorithmE0ELj4294967295EEENS1_25partition_config_selectorILNS1_17partition_subalgoE3EjNS0_10empty_typeEbEEZZNS1_14partition_implILS8_3ELb0ES6_jNS0_17counting_iteratorIjlEEPS9_SE_NS0_5tupleIJPjSE_EEENSF_IJSE_SE_EEES9_SG_JZNS1_25segmented_radix_sort_implINS0_14default_configELb1EPKlPlSM_SN_N2at6native12_GLOBAL__N_18offset_tEEE10hipError_tPvRmT1_PNSt15iterator_traitsISV_E10value_typeET2_T3_PNSW_IS11_E10value_typeET4_jRbjT5_S17_jjP12ihipStream_tbEUljE_EEESS_ST_SU_S11_S15_S17_T6_T7_T9_mT8_S19_bDpT10_ENKUlT_T0_E_clISt17integral_constantIbLb0EES1M_EEDaS1H_S1I_EUlS1H_E_NS1_11comp_targetILNS1_3genE9ELNS1_11target_archE1100ELNS1_3gpuE3ELNS1_3repE0EEENS1_30default_config_static_selectorELNS0_4arch9wavefront6targetE0EEEvSV_,@function
_ZN7rocprim17ROCPRIM_400000_NS6detail17trampoline_kernelINS0_13select_configILj256ELj13ELNS0_17block_load_methodE3ELS4_3ELS4_3ELNS0_20block_scan_algorithmE0ELj4294967295EEENS1_25partition_config_selectorILNS1_17partition_subalgoE3EjNS0_10empty_typeEbEEZZNS1_14partition_implILS8_3ELb0ES6_jNS0_17counting_iteratorIjlEEPS9_SE_NS0_5tupleIJPjSE_EEENSF_IJSE_SE_EEES9_SG_JZNS1_25segmented_radix_sort_implINS0_14default_configELb1EPKlPlSM_SN_N2at6native12_GLOBAL__N_18offset_tEEE10hipError_tPvRmT1_PNSt15iterator_traitsISV_E10value_typeET2_T3_PNSW_IS11_E10value_typeET4_jRbjT5_S17_jjP12ihipStream_tbEUljE_EEESS_ST_SU_S11_S15_S17_T6_T7_T9_mT8_S19_bDpT10_ENKUlT_T0_E_clISt17integral_constantIbLb0EES1M_EEDaS1H_S1I_EUlS1H_E_NS1_11comp_targetILNS1_3genE9ELNS1_11target_archE1100ELNS1_3gpuE3ELNS1_3repE0EEENS1_30default_config_static_selectorELNS0_4arch9wavefront6targetE0EEEvSV_: ; @_ZN7rocprim17ROCPRIM_400000_NS6detail17trampoline_kernelINS0_13select_configILj256ELj13ELNS0_17block_load_methodE3ELS4_3ELS4_3ELNS0_20block_scan_algorithmE0ELj4294967295EEENS1_25partition_config_selectorILNS1_17partition_subalgoE3EjNS0_10empty_typeEbEEZZNS1_14partition_implILS8_3ELb0ES6_jNS0_17counting_iteratorIjlEEPS9_SE_NS0_5tupleIJPjSE_EEENSF_IJSE_SE_EEES9_SG_JZNS1_25segmented_radix_sort_implINS0_14default_configELb1EPKlPlSM_SN_N2at6native12_GLOBAL__N_18offset_tEEE10hipError_tPvRmT1_PNSt15iterator_traitsISV_E10value_typeET2_T3_PNSW_IS11_E10value_typeET4_jRbjT5_S17_jjP12ihipStream_tbEUljE_EEESS_ST_SU_S11_S15_S17_T6_T7_T9_mT8_S19_bDpT10_ENKUlT_T0_E_clISt17integral_constantIbLb0EES1M_EEDaS1H_S1I_EUlS1H_E_NS1_11comp_targetILNS1_3genE9ELNS1_11target_archE1100ELNS1_3gpuE3ELNS1_3repE0EEENS1_30default_config_static_selectorELNS0_4arch9wavefront6targetE0EEEvSV_
; %bb.0:
	s_clause 0x5
	s_load_b32 s2, s[0:1], 0x70
	s_load_b64 s[16:17], s[0:1], 0x10
	s_load_b64 s[12:13], s[0:1], 0x58
	s_load_b32 s18, s[0:1], 0x8
	s_load_b128 s[8:11], s[0:1], 0x48
	s_load_b128 s[4:7], s[0:1], 0x78
	s_mul_i32 s23, s15, 0xd00
	v_lshlrev_b32_e32 v30, 2, v0
	s_waitcnt lgkmcnt(0)
	s_mul_i32 s20, s2, 0xd00
	s_add_i32 s19, s2, -1
	s_add_u32 s2, s16, s20
	s_addc_u32 s3, s17, 0
	s_cmp_eq_u32 s15, s19
	v_cmp_lt_u64_e64 s3, s[2:3], s[12:13]
	s_cselect_b32 s14, -1, 0
	s_cmp_lg_u32 s15, s19
	s_cselect_b32 s21, -1, 0
	s_add_i32 s2, s18, s23
	s_delay_alu instid0(VALU_DEP_1)
	s_or_b32 s3, s21, s3
	s_add_i32 s18, s2, s16
	s_load_b32 s2, s[0:1], 0x88
	v_add_nc_u32_e32 v1, s18, v0
	s_load_b64 s[18:19], s[10:11], 0x0
	s_and_b32 vcc_lo, exec_lo, s3
	s_mov_b32 s10, -1
	s_delay_alu instid0(VALU_DEP_1)
	v_add_nc_u32_e32 v2, 0x100, v1
	v_add_nc_u32_e32 v3, 0x200, v1
	v_add_nc_u32_e32 v4, 0x300, v1
	v_add_nc_u32_e32 v5, 0x400, v1
	v_add_nc_u32_e32 v6, 0x500, v1
	v_add_nc_u32_e32 v7, 0x600, v1
	v_add_nc_u32_e32 v8, 0x700, v1
	v_add_nc_u32_e32 v9, 0x800, v1
	v_add_nc_u32_e32 v10, 0x900, v1
	v_add_nc_u32_e32 v11, 0xa00, v1
	v_add_nc_u32_e32 v12, 0xb00, v1
	v_add_nc_u32_e32 v13, 0xc00, v1
	s_cbranch_vccz .LBB678_2
; %bb.1:
	ds_store_2addr_stride64_b32 v30, v1, v2 offset1:4
	ds_store_2addr_stride64_b32 v30, v3, v4 offset0:8 offset1:12
	ds_store_2addr_stride64_b32 v30, v5, v6 offset0:16 offset1:20
	;; [unrolled: 1-line block ×5, first 2 shown]
	ds_store_b32 v30, v13 offset:12288
	s_waitcnt lgkmcnt(0)
	s_mov_b32 s10, 0
	s_barrier
.LBB678_2:
	s_and_not1_b32 vcc_lo, exec_lo, s10
	s_add_i32 s20, s20, s16
	s_cbranch_vccnz .LBB678_4
; %bb.3:
	ds_store_2addr_stride64_b32 v30, v1, v2 offset1:4
	ds_store_2addr_stride64_b32 v30, v3, v4 offset0:8 offset1:12
	ds_store_2addr_stride64_b32 v30, v5, v6 offset0:16 offset1:20
	;; [unrolled: 1-line block ×5, first 2 shown]
	ds_store_b32 v30, v13 offset:12288
	s_waitcnt lgkmcnt(0)
	s_barrier
.LBB678_4:
	v_mul_u32_u24_e32 v33, 13, v0
	s_waitcnt lgkmcnt(0)
	buffer_gl0_inv
	v_cndmask_b32_e64 v31, 0, 1, s3
	s_sub_i32 s22, s12, s20
	s_and_not1_b32 vcc_lo, exec_lo, s3
	v_lshlrev_b32_e32 v1, 2, v33
	ds_load_2addr_b32 v[28:29], v1 offset1:1
	ds_load_2addr_b32 v[26:27], v1 offset0:2 offset1:3
	ds_load_2addr_b32 v[24:25], v1 offset0:4 offset1:5
	ds_load_2addr_b32 v[22:23], v1 offset0:6 offset1:7
	ds_load_2addr_b32 v[20:21], v1 offset0:8 offset1:9
	ds_load_2addr_b32 v[18:19], v1 offset0:10 offset1:11
	ds_load_b32 v32, v1 offset:48
	s_waitcnt lgkmcnt(0)
	s_barrier
	buffer_gl0_inv
	s_cbranch_vccnz .LBB678_6
; %bb.5:
	v_add_nc_u32_e32 v1, s5, v28
	v_add_nc_u32_e32 v2, s7, v28
	;; [unrolled: 1-line block ×5, first 2 shown]
	v_mul_lo_u32 v1, v1, s4
	v_mul_lo_u32 v2, v2, s6
	;; [unrolled: 1-line block ×4, first 2 shown]
	v_add_nc_u32_e32 v6, s7, v26
	v_add_nc_u32_e32 v7, s5, v27
	;; [unrolled: 1-line block ×3, first 2 shown]
	v_mul_lo_u32 v5, v5, s4
	v_add_nc_u32_e32 v9, s5, v22
	v_sub_nc_u32_e32 v1, v1, v2
	v_mul_lo_u32 v2, v6, s6
	v_sub_nc_u32_e32 v3, v3, v4
	v_mul_lo_u32 v4, v7, s4
	v_mul_lo_u32 v6, v8, s6
	v_add_nc_u32_e32 v7, s5, v24
	v_cmp_lt_u32_e32 vcc_lo, s2, v1
	v_add_nc_u32_e32 v8, s5, v25
	v_add_nc_u32_e32 v10, s7, v22
	v_sub_nc_u32_e32 v2, v5, v2
	v_add_nc_u32_e32 v5, s7, v24
	v_cndmask_b32_e64 v1, 0, 1, vcc_lo
	v_sub_nc_u32_e32 v4, v4, v6
	v_mul_lo_u32 v6, v7, s4
	v_add_nc_u32_e32 v7, s7, v25
	v_cmp_lt_u32_e32 vcc_lo, s2, v3
	v_mul_lo_u32 v5, v5, s6
	v_mul_lo_u32 v8, v8, s4
	;; [unrolled: 1-line block ×4, first 2 shown]
	v_cndmask_b32_e64 v3, 0, 1, vcc_lo
	v_cmp_lt_u32_e32 vcc_lo, s2, v2
	v_mul_lo_u32 v10, v10, s6
	v_add_nc_u32_e32 v11, s5, v20
	v_sub_nc_u32_e32 v5, v6, v5
	v_add_nc_u32_e32 v12, s7, v20
	v_cndmask_b32_e64 v2, 0, 1, vcc_lo
	v_sub_nc_u32_e32 v6, v8, v7
	v_add_nc_u32_e32 v7, s5, v23
	v_add_nc_u32_e32 v8, s7, v23
	v_cmp_lt_u32_e32 vcc_lo, s2, v4
	v_sub_nc_u32_e32 v9, v9, v10
	v_mul_lo_u32 v10, v11, s4
	v_mul_lo_u32 v7, v7, s4
	;; [unrolled: 1-line block ×4, first 2 shown]
	v_cndmask_b32_e64 v4, 0, 1, vcc_lo
	v_cmp_lt_u32_e32 vcc_lo, s2, v5
	v_add_nc_u32_e32 v12, s5, v21
	v_add_nc_u32_e32 v13, s7, v18
	;; [unrolled: 1-line block ×4, first 2 shown]
	v_cndmask_b32_e64 v5, 0, 1, vcc_lo
	v_cmp_lt_u32_e32 vcc_lo, s2, v6
	v_sub_nc_u32_e32 v7, v7, v8
	v_sub_nc_u32_e32 v8, v10, v11
	v_add_nc_u32_e32 v11, s7, v21
	v_mul_lo_u32 v10, v12, s4
	v_cndmask_b32_e64 v6, 0, 1, vcc_lo
	v_cmp_lt_u32_e32 vcc_lo, s2, v9
	v_add_nc_u32_e32 v12, s5, v18
	v_mul_lo_u32 v11, v11, s6
	v_mul_lo_u32 v13, v13, s6
	;; [unrolled: 1-line block ×3, first 2 shown]
	v_cndmask_b32_e64 v9, 0, 1, vcc_lo
	v_cmp_lt_u32_e32 vcc_lo, s2, v7
	v_mul_lo_u32 v12, v12, s4
	v_mul_lo_u32 v15, v15, s6
	v_lshlrev_b16 v3, 8, v3
	v_sub_nc_u32_e32 v10, v10, v11
	v_cndmask_b32_e64 v7, 0, 1, vcc_lo
	v_cmp_lt_u32_e32 vcc_lo, s2, v8
	v_add_nc_u32_e32 v11, s5, v32
	v_or_b32_e32 v1, v1, v3
	v_sub_nc_u32_e32 v12, v12, v13
	v_sub_nc_u32_e32 v13, v14, v15
	v_cndmask_b32_e64 v8, 0, 1, vcc_lo
	v_cmp_lt_u32_e32 vcc_lo, s2, v10
	v_add_nc_u32_e32 v16, s7, v32
	v_mul_lo_u32 v11, v11, s4
	v_lshlrev_b16 v4, 8, v4
	v_lshlrev_b16 v6, 8, v6
	v_cndmask_b32_e64 v10, 0, 1, vcc_lo
	v_cmp_lt_u32_e32 vcc_lo, s2, v12
	v_mul_lo_u32 v14, v16, s6
	v_lshlrev_b16 v7, 8, v7
	v_or_b32_e32 v2, v2, v4
	v_lshlrev_b16 v10, 8, v10
	v_cndmask_b32_e64 v3, 0, 1, vcc_lo
	v_cmp_lt_u32_e32 vcc_lo, s2, v13
	v_or_b32_e32 v4, v5, v6
	v_or_b32_e32 v5, v9, v7
	v_sub_nc_u32_e32 v11, v11, v14
	v_or_b32_e32 v6, v8, v10
	v_cndmask_b32_e64 v12, 0, 1, vcc_lo
	v_and_b32_e32 v1, 0xffff, v1
	v_lshlrev_b32_e32 v2, 16, v2
	v_and_b32_e32 v4, 0xffff, v4
	v_lshlrev_b32_e32 v5, 16, v5
	v_lshlrev_b16 v12, 8, v12
	v_and_b32_e32 v6, 0xffff, v6
	v_cmp_lt_u32_e32 vcc_lo, s2, v11
	v_or_b32_e32 v39, v1, v2
	v_or_b32_e32 v37, v4, v5
	;; [unrolled: 1-line block ×3, first 2 shown]
	s_mov_b32 s3, 0
	v_cndmask_b32_e64 v34, 0, 1, vcc_lo
	s_delay_alu instid0(VALU_DEP_2) | instskip(NEXT) | instid1(VALU_DEP_1)
	v_lshlrev_b32_e32 v3, 16, v3
	v_or_b32_e32 v35, v6, v3
	s_branch .LBB678_7
.LBB678_6:
	s_mov_b32 s3, -1
                                        ; implicit-def: $vgpr34
                                        ; implicit-def: $vgpr35
                                        ; implicit-def: $vgpr37
                                        ; implicit-def: $vgpr39
.LBB678_7:
	s_clause 0x1
	s_load_b64 s[10:11], s[0:1], 0x28
	s_load_b64 s[20:21], s[0:1], 0x68
	s_and_not1_b32 vcc_lo, exec_lo, s3
	s_addk_i32 s22, 0xd00
	s_cbranch_vccnz .LBB678_35
; %bb.8:
	v_dual_mov_b32 v2, 0 :: v_dual_mov_b32 v1, 0
	s_mov_b32 s0, exec_lo
	v_cmpx_gt_u32_e64 s22, v33
; %bb.9:
	v_add_nc_u32_e32 v1, s5, v28
	v_add_nc_u32_e32 v3, s7, v28
	s_delay_alu instid0(VALU_DEP_2) | instskip(NEXT) | instid1(VALU_DEP_2)
	v_mul_lo_u32 v1, v1, s4
	v_mul_lo_u32 v3, v3, s6
	s_delay_alu instid0(VALU_DEP_1) | instskip(NEXT) | instid1(VALU_DEP_1)
	v_sub_nc_u32_e32 v1, v1, v3
	v_cmp_lt_u32_e32 vcc_lo, s2, v1
	v_cndmask_b32_e64 v1, 0, 1, vcc_lo
; %bb.10:
	s_or_b32 exec_lo, exec_lo, s0
	v_add_nc_u32_e32 v3, 1, v33
	s_mov_b32 s0, exec_lo
	s_delay_alu instid0(VALU_DEP_1)
	v_cmpx_gt_u32_e64 s22, v3
; %bb.11:
	v_add_nc_u32_e32 v2, s5, v29
	v_add_nc_u32_e32 v3, s7, v29
	s_delay_alu instid0(VALU_DEP_2) | instskip(NEXT) | instid1(VALU_DEP_2)
	v_mul_lo_u32 v2, v2, s4
	v_mul_lo_u32 v3, v3, s6
	s_delay_alu instid0(VALU_DEP_1) | instskip(NEXT) | instid1(VALU_DEP_1)
	v_sub_nc_u32_e32 v2, v2, v3
	v_cmp_lt_u32_e32 vcc_lo, s2, v2
	v_cndmask_b32_e64 v2, 0, 1, vcc_lo
; %bb.12:
	s_or_b32 exec_lo, exec_lo, s0
	v_dual_mov_b32 v4, 0 :: v_dual_add_nc_u32 v3, 2, v33
	s_delay_alu instid0(VALU_DEP_1)
	v_cmp_gt_u32_e32 vcc_lo, s22, v3
	v_mov_b32_e32 v3, 0
	s_and_saveexec_b32 s0, vcc_lo
; %bb.13:
	v_add_nc_u32_e32 v3, s5, v26
	v_add_nc_u32_e32 v5, s7, v26
	s_delay_alu instid0(VALU_DEP_2) | instskip(NEXT) | instid1(VALU_DEP_2)
	v_mul_lo_u32 v3, v3, s4
	v_mul_lo_u32 v5, v5, s6
	s_delay_alu instid0(VALU_DEP_1) | instskip(NEXT) | instid1(VALU_DEP_1)
	v_sub_nc_u32_e32 v3, v3, v5
	v_cmp_lt_u32_e32 vcc_lo, s2, v3
	v_cndmask_b32_e64 v3, 0, 1, vcc_lo
; %bb.14:
	s_or_b32 exec_lo, exec_lo, s0
	v_add_nc_u32_e32 v5, 3, v33
	s_mov_b32 s0, exec_lo
	s_delay_alu instid0(VALU_DEP_1)
	v_cmpx_gt_u32_e64 s22, v5
; %bb.15:
	v_add_nc_u32_e32 v4, s5, v27
	v_add_nc_u32_e32 v5, s7, v27
	s_delay_alu instid0(VALU_DEP_2) | instskip(NEXT) | instid1(VALU_DEP_2)
	v_mul_lo_u32 v4, v4, s4
	v_mul_lo_u32 v5, v5, s6
	s_delay_alu instid0(VALU_DEP_1) | instskip(NEXT) | instid1(VALU_DEP_1)
	v_sub_nc_u32_e32 v4, v4, v5
	v_cmp_lt_u32_e32 vcc_lo, s2, v4
	v_cndmask_b32_e64 v4, 0, 1, vcc_lo
; %bb.16:
	s_or_b32 exec_lo, exec_lo, s0
	v_dual_mov_b32 v6, 0 :: v_dual_add_nc_u32 v5, 4, v33
	s_delay_alu instid0(VALU_DEP_1)
	v_cmp_gt_u32_e32 vcc_lo, s22, v5
	v_mov_b32_e32 v5, 0
	s_and_saveexec_b32 s0, vcc_lo
	;; [unrolled: 33-line block ×5, first 2 shown]
; %bb.29:
	v_add_nc_u32_e32 v11, s5, v18
	v_add_nc_u32_e32 v13, s7, v18
	s_delay_alu instid0(VALU_DEP_2) | instskip(NEXT) | instid1(VALU_DEP_2)
	v_mul_lo_u32 v11, v11, s4
	v_mul_lo_u32 v13, v13, s6
	s_delay_alu instid0(VALU_DEP_1) | instskip(NEXT) | instid1(VALU_DEP_1)
	v_sub_nc_u32_e32 v11, v11, v13
	v_cmp_lt_u32_e32 vcc_lo, s2, v11
	v_cndmask_b32_e64 v11, 0, 1, vcc_lo
; %bb.30:
	s_or_b32 exec_lo, exec_lo, s0
	v_add_nc_u32_e32 v13, 11, v33
	s_mov_b32 s0, exec_lo
	s_delay_alu instid0(VALU_DEP_1)
	v_cmpx_gt_u32_e64 s22, v13
; %bb.31:
	v_add_nc_u32_e32 v12, s5, v19
	v_add_nc_u32_e32 v13, s7, v19
	s_delay_alu instid0(VALU_DEP_2) | instskip(NEXT) | instid1(VALU_DEP_2)
	v_mul_lo_u32 v12, v12, s4
	v_mul_lo_u32 v13, v13, s6
	s_delay_alu instid0(VALU_DEP_1) | instskip(NEXT) | instid1(VALU_DEP_1)
	v_sub_nc_u32_e32 v12, v12, v13
	v_cmp_lt_u32_e32 vcc_lo, s2, v12
	v_cndmask_b32_e64 v12, 0, 1, vcc_lo
; %bb.32:
	s_or_b32 exec_lo, exec_lo, s0
	v_dual_mov_b32 v34, 0 :: v_dual_add_nc_u32 v13, 12, v33
	s_mov_b32 s0, exec_lo
	s_delay_alu instid0(VALU_DEP_1)
	v_cmpx_gt_u32_e64 s22, v13
; %bb.33:
	v_add_nc_u32_e32 v13, s5, v32
	v_add_nc_u32_e32 v14, s7, v32
	s_delay_alu instid0(VALU_DEP_2) | instskip(NEXT) | instid1(VALU_DEP_2)
	v_mul_lo_u32 v13, v13, s4
	v_mul_lo_u32 v14, v14, s6
	s_delay_alu instid0(VALU_DEP_1) | instskip(NEXT) | instid1(VALU_DEP_1)
	v_sub_nc_u32_e32 v13, v13, v14
	v_cmp_lt_u32_e32 vcc_lo, s2, v13
	v_cndmask_b32_e64 v34, 0, 1, vcc_lo
; %bb.34:
	s_or_b32 exec_lo, exec_lo, s0
	v_lshlrev_b16 v2, 8, v2
	v_lshlrev_b16 v4, 8, v4
	;; [unrolled: 1-line block ×5, first 2 shown]
	v_or_b32_e32 v1, v1, v2
	v_lshlrev_b16 v2, 8, v12
	v_or_b32_e32 v3, v3, v4
	v_or_b32_e32 v4, v5, v6
	;; [unrolled: 1-line block ×5, first 2 shown]
	v_and_b32_e32 v1, 0xffff, v1
	v_lshlrev_b32_e32 v3, 16, v3
	v_and_b32_e32 v4, 0xffff, v4
	v_lshlrev_b32_e32 v5, 16, v5
	;; [unrolled: 2-line block ×3, first 2 shown]
	v_or_b32_e32 v39, v1, v3
	s_delay_alu instid0(VALU_DEP_4) | instskip(NEXT) | instid1(VALU_DEP_3)
	v_or_b32_e32 v37, v4, v5
	v_or_b32_e32 v35, v6, v2
.LBB678_35:
	s_delay_alu instid0(VALU_DEP_3)
	v_and_b32_e32 v41, 0xff, v39
	v_bfe_u32 v42, v39, 8, 8
	v_bfe_u32 v43, v39, 16, 8
	v_lshrrev_b32_e32 v40, 24, v39
	v_and_b32_e32 v44, 0xff, v37
	v_bfe_u32 v45, v37, 8, 8
	v_bfe_u32 v46, v37, 16, 8
	v_add3_u32 v1, v42, v41, v43
	v_lshrrev_b32_e32 v38, 24, v37
	v_and_b32_e32 v47, 0xff, v35
	v_bfe_u32 v48, v35, 8, 8
	v_mbcnt_lo_u32_b32 v50, -1, 0
	v_add3_u32 v1, v1, v40, v44
	v_bfe_u32 v49, v35, 16, 8
	v_lshrrev_b32_e32 v36, 24, v35
	v_and_b32_e32 v2, 0xff, v34
	v_and_b32_e32 v3, 15, v50
	v_add3_u32 v1, v1, v45, v46
	v_or_b32_e32 v4, 31, v0
	v_and_b32_e32 v5, 16, v50
	v_lshrrev_b32_e32 v51, 5, v0
	v_cmp_eq_u32_e64 s5, 0, v3
	v_add3_u32 v1, v1, v38, v47
	v_cmp_lt_u32_e64 s4, 1, v3
	v_cmp_lt_u32_e64 s3, 3, v3
	;; [unrolled: 1-line block ×3, first 2 shown]
	v_cmp_eq_u32_e64 s1, 0, v5
	v_add3_u32 v1, v1, v48, v49
	v_cmp_eq_u32_e64 s0, v4, v0
	s_cmp_lg_u32 s15, 0
	s_mov_b32 s6, -1
	s_delay_alu instid0(VALU_DEP_2)
	v_add3_u32 v52, v1, v36, v2
	s_cbranch_scc0 .LBB678_61
; %bb.36:
	s_delay_alu instid0(VALU_DEP_1) | instskip(NEXT) | instid1(VALU_DEP_1)
	v_mov_b32_dpp v1, v52 row_shr:1 row_mask:0xf bank_mask:0xf
	v_cndmask_b32_e64 v1, v1, 0, s5
	s_delay_alu instid0(VALU_DEP_1) | instskip(NEXT) | instid1(VALU_DEP_1)
	v_add_nc_u32_e32 v1, v1, v52
	v_mov_b32_dpp v2, v1 row_shr:2 row_mask:0xf bank_mask:0xf
	s_delay_alu instid0(VALU_DEP_1) | instskip(NEXT) | instid1(VALU_DEP_1)
	v_cndmask_b32_e64 v2, 0, v2, s4
	v_add_nc_u32_e32 v1, v1, v2
	s_delay_alu instid0(VALU_DEP_1) | instskip(NEXT) | instid1(VALU_DEP_1)
	v_mov_b32_dpp v2, v1 row_shr:4 row_mask:0xf bank_mask:0xf
	v_cndmask_b32_e64 v2, 0, v2, s3
	s_delay_alu instid0(VALU_DEP_1) | instskip(NEXT) | instid1(VALU_DEP_1)
	v_add_nc_u32_e32 v1, v1, v2
	v_mov_b32_dpp v2, v1 row_shr:8 row_mask:0xf bank_mask:0xf
	s_delay_alu instid0(VALU_DEP_1) | instskip(NEXT) | instid1(VALU_DEP_1)
	v_cndmask_b32_e64 v2, 0, v2, s2
	v_add_nc_u32_e32 v1, v1, v2
	ds_swizzle_b32 v2, v1 offset:swizzle(BROADCAST,32,15)
	s_waitcnt lgkmcnt(0)
	v_cndmask_b32_e64 v2, v2, 0, s1
	s_delay_alu instid0(VALU_DEP_1)
	v_add_nc_u32_e32 v1, v1, v2
	s_and_saveexec_b32 s6, s0
	s_cbranch_execz .LBB678_38
; %bb.37:
	v_lshlrev_b32_e32 v2, 2, v51
	ds_store_b32 v2, v1
.LBB678_38:
	s_or_b32 exec_lo, exec_lo, s6
	s_delay_alu instid0(SALU_CYCLE_1)
	s_mov_b32 s6, exec_lo
	s_waitcnt lgkmcnt(0)
	s_barrier
	buffer_gl0_inv
	v_cmpx_gt_u32_e32 8, v0
	s_cbranch_execz .LBB678_40
; %bb.39:
	ds_load_b32 v2, v30
	s_waitcnt lgkmcnt(0)
	v_mov_b32_dpp v4, v2 row_shr:1 row_mask:0xf bank_mask:0xf
	v_and_b32_e32 v3, 7, v50
	s_delay_alu instid0(VALU_DEP_1) | instskip(NEXT) | instid1(VALU_DEP_3)
	v_cmp_ne_u32_e32 vcc_lo, 0, v3
	v_cndmask_b32_e32 v4, 0, v4, vcc_lo
	v_cmp_lt_u32_e32 vcc_lo, 1, v3
	s_delay_alu instid0(VALU_DEP_2) | instskip(NEXT) | instid1(VALU_DEP_1)
	v_add_nc_u32_e32 v2, v4, v2
	v_mov_b32_dpp v4, v2 row_shr:2 row_mask:0xf bank_mask:0xf
	s_delay_alu instid0(VALU_DEP_1) | instskip(SKIP_1) | instid1(VALU_DEP_2)
	v_cndmask_b32_e32 v4, 0, v4, vcc_lo
	v_cmp_lt_u32_e32 vcc_lo, 3, v3
	v_add_nc_u32_e32 v2, v2, v4
	s_delay_alu instid0(VALU_DEP_1) | instskip(NEXT) | instid1(VALU_DEP_1)
	v_mov_b32_dpp v4, v2 row_shr:4 row_mask:0xf bank_mask:0xf
	v_cndmask_b32_e32 v3, 0, v4, vcc_lo
	s_delay_alu instid0(VALU_DEP_1)
	v_add_nc_u32_e32 v2, v2, v3
	ds_store_b32 v30, v2
.LBB678_40:
	s_or_b32 exec_lo, exec_lo, s6
	v_cmp_gt_u32_e32 vcc_lo, 32, v0
	s_mov_b32 s7, exec_lo
	s_waitcnt lgkmcnt(0)
	s_barrier
	buffer_gl0_inv
                                        ; implicit-def: $vgpr8
	v_cmpx_lt_u32_e32 31, v0
	s_cbranch_execz .LBB678_42
; %bb.41:
	v_lshl_add_u32 v2, v51, 2, -4
	ds_load_b32 v8, v2
	s_waitcnt lgkmcnt(0)
	v_add_nc_u32_e32 v1, v8, v1
.LBB678_42:
	s_or_b32 exec_lo, exec_lo, s7
	v_add_nc_u32_e32 v2, -1, v50
	s_delay_alu instid0(VALU_DEP_1) | instskip(NEXT) | instid1(VALU_DEP_1)
	v_cmp_gt_i32_e64 s6, 0, v2
	v_cndmask_b32_e64 v2, v2, v50, s6
	v_cmp_eq_u32_e64 s6, 0, v50
	s_delay_alu instid0(VALU_DEP_2)
	v_lshlrev_b32_e32 v2, 2, v2
	ds_bpermute_b32 v9, v2, v1
	s_and_saveexec_b32 s7, vcc_lo
	s_cbranch_execz .LBB678_60
; %bb.43:
	v_mov_b32_e32 v4, 0
	ds_load_b32 v1, v4 offset:28
	s_and_saveexec_b32 s24, s6
	s_cbranch_execz .LBB678_45
; %bb.44:
	s_add_i32 s26, s15, 32
	s_mov_b32 s27, 0
	v_mov_b32_e32 v2, 1
	s_lshl_b64 s[26:27], s[26:27], 3
	s_delay_alu instid0(SALU_CYCLE_1)
	s_add_u32 s26, s20, s26
	s_addc_u32 s27, s21, s27
	s_waitcnt lgkmcnt(0)
	global_store_b64 v4, v[1:2], s[26:27]
.LBB678_45:
	s_or_b32 exec_lo, exec_lo, s24
	v_xad_u32 v2, v50, -1, s15
	s_mov_b32 s25, 0
	s_mov_b32 s24, exec_lo
	s_delay_alu instid0(VALU_DEP_1) | instskip(NEXT) | instid1(VALU_DEP_1)
	v_add_nc_u32_e32 v3, 32, v2
	v_lshlrev_b64 v[3:4], 3, v[3:4]
	s_delay_alu instid0(VALU_DEP_1) | instskip(NEXT) | instid1(VALU_DEP_2)
	v_add_co_u32 v6, vcc_lo, s20, v3
	v_add_co_ci_u32_e32 v7, vcc_lo, s21, v4, vcc_lo
	global_load_b64 v[4:5], v[6:7], off glc
	s_waitcnt vmcnt(0)
	v_and_b32_e32 v3, 0xff, v5
	s_delay_alu instid0(VALU_DEP_1)
	v_cmpx_eq_u16_e32 0, v3
	s_cbranch_execz .LBB678_48
.LBB678_46:                             ; =>This Inner Loop Header: Depth=1
	global_load_b64 v[4:5], v[6:7], off glc
	s_waitcnt vmcnt(0)
	v_and_b32_e32 v3, 0xff, v5
	s_delay_alu instid0(VALU_DEP_1) | instskip(SKIP_1) | instid1(SALU_CYCLE_1)
	v_cmp_ne_u16_e32 vcc_lo, 0, v3
	s_or_b32 s25, vcc_lo, s25
	s_and_not1_b32 exec_lo, exec_lo, s25
	s_cbranch_execnz .LBB678_46
; %bb.47:
	s_or_b32 exec_lo, exec_lo, s25
.LBB678_48:
	s_delay_alu instid0(SALU_CYCLE_1)
	s_or_b32 exec_lo, exec_lo, s24
	v_cmp_ne_u32_e32 vcc_lo, 31, v50
	v_lshlrev_b32_e64 v11, v50, -1
	v_add_nc_u32_e32 v13, 2, v50
	v_add_nc_u32_e32 v16, 4, v50
	;; [unrolled: 1-line block ×3, first 2 shown]
	v_add_co_ci_u32_e32 v3, vcc_lo, 0, v50, vcc_lo
	v_add_nc_u32_e32 v55, 16, v50
	s_delay_alu instid0(VALU_DEP_2) | instskip(SKIP_2) | instid1(VALU_DEP_1)
	v_lshlrev_b32_e32 v10, 2, v3
	ds_bpermute_b32 v6, v10, v4
	v_and_b32_e32 v3, 0xff, v5
	v_cmp_eq_u16_e32 vcc_lo, 2, v3
	v_and_or_b32 v3, vcc_lo, v11, 0x80000000
	v_cmp_gt_u32_e32 vcc_lo, 30, v50
	s_delay_alu instid0(VALU_DEP_2) | instskip(SKIP_1) | instid1(VALU_DEP_2)
	v_ctz_i32_b32_e32 v3, v3
	v_cndmask_b32_e64 v7, 0, 1, vcc_lo
	v_cmp_lt_u32_e32 vcc_lo, v50, v3
	s_waitcnt lgkmcnt(0)
	s_delay_alu instid0(VALU_DEP_2) | instskip(NEXT) | instid1(VALU_DEP_1)
	v_dual_cndmask_b32 v6, 0, v6 :: v_dual_lshlrev_b32 v7, 1, v7
	v_add_lshl_u32 v12, v7, v50, 2
	v_cmp_gt_u32_e32 vcc_lo, 28, v50
	s_delay_alu instid0(VALU_DEP_3) | instskip(SKIP_4) | instid1(VALU_DEP_1)
	v_add_nc_u32_e32 v4, v6, v4
	v_cndmask_b32_e64 v7, 0, 1, vcc_lo
	v_cmp_le_u32_e32 vcc_lo, v13, v3
	ds_bpermute_b32 v6, v12, v4
	v_lshlrev_b32_e32 v7, 2, v7
	v_add_lshl_u32 v14, v7, v50, 2
	s_waitcnt lgkmcnt(0)
	v_cndmask_b32_e32 v6, 0, v6, vcc_lo
	v_cmp_gt_u32_e32 vcc_lo, 24, v50
	s_delay_alu instid0(VALU_DEP_2) | instskip(SKIP_4) | instid1(VALU_DEP_1)
	v_add_nc_u32_e32 v4, v4, v6
	v_cndmask_b32_e64 v7, 0, 1, vcc_lo
	v_cmp_le_u32_e32 vcc_lo, v16, v3
	ds_bpermute_b32 v6, v14, v4
	v_lshlrev_b32_e32 v7, 3, v7
	v_add_lshl_u32 v17, v7, v50, 2
	s_waitcnt lgkmcnt(0)
	v_cndmask_b32_e32 v6, 0, v6, vcc_lo
	v_cmp_gt_u32_e32 vcc_lo, 16, v50
	s_delay_alu instid0(VALU_DEP_2) | instskip(SKIP_4) | instid1(VALU_DEP_1)
	v_add_nc_u32_e32 v4, v4, v6
	v_cndmask_b32_e64 v7, 0, 1, vcc_lo
	v_cmp_le_u32_e32 vcc_lo, v53, v3
	ds_bpermute_b32 v6, v17, v4
	v_lshlrev_b32_e32 v7, 4, v7
	v_add_lshl_u32 v54, v7, v50, 2
	s_waitcnt lgkmcnt(0)
	v_cndmask_b32_e32 v6, 0, v6, vcc_lo
	v_cmp_le_u32_e32 vcc_lo, v55, v3
	s_delay_alu instid0(VALU_DEP_2) | instskip(SKIP_3) | instid1(VALU_DEP_1)
	v_add_nc_u32_e32 v4, v4, v6
	ds_bpermute_b32 v6, v54, v4
	s_waitcnt lgkmcnt(0)
	v_cndmask_b32_e32 v3, 0, v6, vcc_lo
	v_dual_mov_b32 v3, 0 :: v_dual_add_nc_u32 v4, v4, v3
	s_branch .LBB678_50
.LBB678_49:                             ;   in Loop: Header=BB678_50 Depth=1
	s_or_b32 exec_lo, exec_lo, s24
	ds_bpermute_b32 v7, v10, v4
	v_and_b32_e32 v6, 0xff, v5
	v_subrev_nc_u32_e32 v2, 32, v2
	s_delay_alu instid0(VALU_DEP_2) | instskip(SKIP_1) | instid1(VALU_DEP_1)
	v_cmp_eq_u16_e32 vcc_lo, 2, v6
	v_and_or_b32 v6, vcc_lo, v11, 0x80000000
	v_ctz_i32_b32_e32 v6, v6
	s_delay_alu instid0(VALU_DEP_1) | instskip(SKIP_3) | instid1(VALU_DEP_2)
	v_cmp_lt_u32_e32 vcc_lo, v50, v6
	s_waitcnt lgkmcnt(0)
	v_cndmask_b32_e32 v7, 0, v7, vcc_lo
	v_cmp_le_u32_e32 vcc_lo, v13, v6
	v_add_nc_u32_e32 v4, v7, v4
	ds_bpermute_b32 v7, v12, v4
	s_waitcnt lgkmcnt(0)
	v_cndmask_b32_e32 v7, 0, v7, vcc_lo
	v_cmp_le_u32_e32 vcc_lo, v16, v6
	s_delay_alu instid0(VALU_DEP_2) | instskip(SKIP_4) | instid1(VALU_DEP_2)
	v_add_nc_u32_e32 v4, v4, v7
	ds_bpermute_b32 v7, v14, v4
	s_waitcnt lgkmcnt(0)
	v_cndmask_b32_e32 v7, 0, v7, vcc_lo
	v_cmp_le_u32_e32 vcc_lo, v53, v6
	v_add_nc_u32_e32 v4, v4, v7
	ds_bpermute_b32 v7, v17, v4
	s_waitcnt lgkmcnt(0)
	v_cndmask_b32_e32 v7, 0, v7, vcc_lo
	v_cmp_le_u32_e32 vcc_lo, v55, v6
	s_delay_alu instid0(VALU_DEP_2) | instskip(SKIP_3) | instid1(VALU_DEP_1)
	v_add_nc_u32_e32 v4, v4, v7
	ds_bpermute_b32 v7, v54, v4
	s_waitcnt lgkmcnt(0)
	v_cndmask_b32_e32 v6, 0, v7, vcc_lo
	v_add3_u32 v4, v6, v15, v4
.LBB678_50:                             ; =>This Loop Header: Depth=1
                                        ;     Child Loop BB678_53 Depth 2
	v_and_b32_e32 v5, 0xff, v5
	s_delay_alu instid0(VALU_DEP_2) | instskip(NEXT) | instid1(VALU_DEP_2)
	v_mov_b32_e32 v15, v4
	v_cmp_ne_u16_e32 vcc_lo, 2, v5
	v_cndmask_b32_e64 v5, 0, 1, vcc_lo
	;;#ASMSTART
	;;#ASMEND
	s_delay_alu instid0(VALU_DEP_1)
	v_cmp_ne_u32_e32 vcc_lo, 0, v5
	s_cmp_lg_u32 vcc_lo, exec_lo
	s_cbranch_scc1 .LBB678_55
; %bb.51:                               ;   in Loop: Header=BB678_50 Depth=1
	v_lshlrev_b64 v[4:5], 3, v[2:3]
	s_mov_b32 s24, exec_lo
	s_delay_alu instid0(VALU_DEP_1) | instskip(NEXT) | instid1(VALU_DEP_2)
	v_add_co_u32 v6, vcc_lo, s20, v4
	v_add_co_ci_u32_e32 v7, vcc_lo, s21, v5, vcc_lo
	global_load_b64 v[4:5], v[6:7], off glc
	s_waitcnt vmcnt(0)
	v_and_b32_e32 v56, 0xff, v5
	s_delay_alu instid0(VALU_DEP_1)
	v_cmpx_eq_u16_e32 0, v56
	s_cbranch_execz .LBB678_49
; %bb.52:                               ;   in Loop: Header=BB678_50 Depth=1
	s_mov_b32 s25, 0
.LBB678_53:                             ;   Parent Loop BB678_50 Depth=1
                                        ; =>  This Inner Loop Header: Depth=2
	global_load_b64 v[4:5], v[6:7], off glc
	s_waitcnt vmcnt(0)
	v_and_b32_e32 v56, 0xff, v5
	s_delay_alu instid0(VALU_DEP_1) | instskip(SKIP_1) | instid1(SALU_CYCLE_1)
	v_cmp_ne_u16_e32 vcc_lo, 0, v56
	s_or_b32 s25, vcc_lo, s25
	s_and_not1_b32 exec_lo, exec_lo, s25
	s_cbranch_execnz .LBB678_53
; %bb.54:                               ;   in Loop: Header=BB678_50 Depth=1
	s_or_b32 exec_lo, exec_lo, s25
	s_branch .LBB678_49
.LBB678_55:                             ;   in Loop: Header=BB678_50 Depth=1
                                        ; implicit-def: $vgpr4
                                        ; implicit-def: $vgpr5
	s_cbranch_execz .LBB678_50
; %bb.56:
	s_and_saveexec_b32 s24, s6
	s_cbranch_execz .LBB678_58
; %bb.57:
	s_add_i32 s26, s15, 32
	s_mov_b32 s27, 0
	v_dual_mov_b32 v3, 2 :: v_dual_add_nc_u32 v2, v15, v1
	s_lshl_b64 s[26:27], s[26:27], 3
	v_mov_b32_e32 v4, 0
	v_add_nc_u32_e64 v5, 0x3400, 0
	s_add_u32 s26, s20, s26
	s_addc_u32 s27, s21, s27
	global_store_b64 v4, v[2:3], s[26:27]
	ds_store_2addr_b32 v5, v1, v15 offset1:2
.LBB678_58:
	s_or_b32 exec_lo, exec_lo, s24
	v_cmp_eq_u32_e32 vcc_lo, 0, v0
	s_and_b32 exec_lo, exec_lo, vcc_lo
	s_cbranch_execz .LBB678_60
; %bb.59:
	v_mov_b32_e32 v1, 0
	ds_store_b32 v1, v15 offset:28
.LBB678_60:
	s_or_b32 exec_lo, exec_lo, s7
	s_waitcnt lgkmcnt(0)
	v_cndmask_b32_e64 v2, v9, v8, s6
	v_cmp_ne_u32_e32 vcc_lo, 0, v0
	v_mov_b32_e32 v1, 0
	s_waitcnt_vscnt null, 0x0
	s_barrier
	buffer_gl0_inv
	v_cndmask_b32_e32 v2, 0, v2, vcc_lo
	ds_load_b32 v1, v1 offset:28
	v_add_nc_u32_e64 v11, 0x3400, 0
	s_waitcnt lgkmcnt(0)
	s_barrier
	buffer_gl0_inv
	ds_load_2addr_b32 v[16:17], v11 offset1:2
	v_add_nc_u32_e32 v1, v1, v2
	s_delay_alu instid0(VALU_DEP_1) | instskip(NEXT) | instid1(VALU_DEP_1)
	v_add_nc_u32_e32 v2, v1, v41
	v_add_nc_u32_e32 v3, v2, v42
	s_delay_alu instid0(VALU_DEP_1) | instskip(NEXT) | instid1(VALU_DEP_1)
	v_add_nc_u32_e32 v4, v3, v43
	;; [unrolled: 3-line block ×6, first 2 shown]
	v_add_nc_u32_e32 v13, v12, v36
	s_branch .LBB678_71
.LBB678_61:
                                        ; implicit-def: $vgpr17
                                        ; implicit-def: $vgpr1_vgpr2_vgpr3_vgpr4_vgpr5_vgpr6_vgpr7_vgpr8_vgpr9_vgpr10_vgpr11_vgpr12_vgpr13_vgpr14_vgpr15_vgpr16
	s_and_b32 vcc_lo, exec_lo, s6
	s_cbranch_vccz .LBB678_71
; %bb.62:
	s_delay_alu instid0(VALU_DEP_1) | instskip(NEXT) | instid1(VALU_DEP_1)
	v_mov_b32_dpp v1, v52 row_shr:1 row_mask:0xf bank_mask:0xf
	v_cndmask_b32_e64 v1, v1, 0, s5
	s_delay_alu instid0(VALU_DEP_1) | instskip(NEXT) | instid1(VALU_DEP_1)
	v_add_nc_u32_e32 v1, v1, v52
	v_mov_b32_dpp v2, v1 row_shr:2 row_mask:0xf bank_mask:0xf
	s_delay_alu instid0(VALU_DEP_1) | instskip(NEXT) | instid1(VALU_DEP_1)
	v_cndmask_b32_e64 v2, 0, v2, s4
	v_add_nc_u32_e32 v1, v1, v2
	s_delay_alu instid0(VALU_DEP_1) | instskip(NEXT) | instid1(VALU_DEP_1)
	v_mov_b32_dpp v2, v1 row_shr:4 row_mask:0xf bank_mask:0xf
	v_cndmask_b32_e64 v2, 0, v2, s3
	s_delay_alu instid0(VALU_DEP_1) | instskip(NEXT) | instid1(VALU_DEP_1)
	v_add_nc_u32_e32 v1, v1, v2
	v_mov_b32_dpp v2, v1 row_shr:8 row_mask:0xf bank_mask:0xf
	s_delay_alu instid0(VALU_DEP_1) | instskip(NEXT) | instid1(VALU_DEP_1)
	v_cndmask_b32_e64 v2, 0, v2, s2
	v_add_nc_u32_e32 v1, v1, v2
	ds_swizzle_b32 v2, v1 offset:swizzle(BROADCAST,32,15)
	s_waitcnt lgkmcnt(0)
	v_cndmask_b32_e64 v2, v2, 0, s1
	s_delay_alu instid0(VALU_DEP_1)
	v_add_nc_u32_e32 v1, v1, v2
	s_and_saveexec_b32 s1, s0
	s_cbranch_execz .LBB678_64
; %bb.63:
	v_lshlrev_b32_e32 v2, 2, v51
	ds_store_b32 v2, v1
.LBB678_64:
	s_or_b32 exec_lo, exec_lo, s1
	s_delay_alu instid0(SALU_CYCLE_1)
	s_mov_b32 s0, exec_lo
	s_waitcnt lgkmcnt(0)
	s_barrier
	buffer_gl0_inv
	v_cmpx_gt_u32_e32 8, v0
	s_cbranch_execz .LBB678_66
; %bb.65:
	ds_load_b32 v2, v30
	s_waitcnt lgkmcnt(0)
	v_mov_b32_dpp v4, v2 row_shr:1 row_mask:0xf bank_mask:0xf
	v_and_b32_e32 v3, 7, v50
	s_delay_alu instid0(VALU_DEP_1) | instskip(NEXT) | instid1(VALU_DEP_3)
	v_cmp_ne_u32_e32 vcc_lo, 0, v3
	v_cndmask_b32_e32 v4, 0, v4, vcc_lo
	v_cmp_lt_u32_e32 vcc_lo, 1, v3
	s_delay_alu instid0(VALU_DEP_2) | instskip(NEXT) | instid1(VALU_DEP_1)
	v_add_nc_u32_e32 v2, v4, v2
	v_mov_b32_dpp v4, v2 row_shr:2 row_mask:0xf bank_mask:0xf
	s_delay_alu instid0(VALU_DEP_1) | instskip(SKIP_1) | instid1(VALU_DEP_2)
	v_cndmask_b32_e32 v4, 0, v4, vcc_lo
	v_cmp_lt_u32_e32 vcc_lo, 3, v3
	v_add_nc_u32_e32 v2, v2, v4
	s_delay_alu instid0(VALU_DEP_1) | instskip(NEXT) | instid1(VALU_DEP_1)
	v_mov_b32_dpp v4, v2 row_shr:4 row_mask:0xf bank_mask:0xf
	v_cndmask_b32_e32 v3, 0, v4, vcc_lo
	s_delay_alu instid0(VALU_DEP_1)
	v_add_nc_u32_e32 v2, v2, v3
	ds_store_b32 v30, v2
.LBB678_66:
	s_or_b32 exec_lo, exec_lo, s0
	v_dual_mov_b32 v3, 0 :: v_dual_mov_b32 v2, 0
	s_mov_b32 s0, exec_lo
	s_waitcnt lgkmcnt(0)
	s_barrier
	buffer_gl0_inv
	v_cmpx_lt_u32_e32 31, v0
	s_cbranch_execz .LBB678_68
; %bb.67:
	v_lshl_add_u32 v2, v51, 2, -4
	ds_load_b32 v2, v2
.LBB678_68:
	s_or_b32 exec_lo, exec_lo, s0
	v_add_nc_u32_e32 v4, -1, v50
	ds_load_b32 v16, v3 offset:28
	s_waitcnt lgkmcnt(1)
	v_add_nc_u32_e32 v1, v2, v1
	v_cmp_gt_i32_e32 vcc_lo, 0, v4
	v_cndmask_b32_e32 v4, v4, v50, vcc_lo
	v_cmp_eq_u32_e32 vcc_lo, 0, v0
	s_delay_alu instid0(VALU_DEP_2)
	v_lshlrev_b32_e32 v4, 2, v4
	ds_bpermute_b32 v1, v4, v1
	s_and_saveexec_b32 s0, vcc_lo
	s_cbranch_execz .LBB678_70
; %bb.69:
	v_mov_b32_e32 v3, 0
	v_mov_b32_e32 v17, 2
	s_waitcnt lgkmcnt(1)
	global_store_b64 v3, v[16:17], s[20:21] offset:256
.LBB678_70:
	s_or_b32 exec_lo, exec_lo, s0
	v_cmp_eq_u32_e64 s0, 0, v50
	s_waitcnt lgkmcnt(0)
	s_waitcnt_vscnt null, 0x0
	s_barrier
	buffer_gl0_inv
	v_mov_b32_e32 v17, 0
	v_cndmask_b32_e64 v1, v1, v2, s0
	s_delay_alu instid0(VALU_DEP_1) | instskip(NEXT) | instid1(VALU_DEP_1)
	v_cndmask_b32_e64 v1, v1, 0, vcc_lo
	v_add_nc_u32_e32 v2, v1, v41
	s_delay_alu instid0(VALU_DEP_1) | instskip(NEXT) | instid1(VALU_DEP_1)
	v_add_nc_u32_e32 v3, v2, v42
	v_add_nc_u32_e32 v4, v3, v43
	s_delay_alu instid0(VALU_DEP_1) | instskip(NEXT) | instid1(VALU_DEP_1)
	v_add_nc_u32_e32 v5, v4, v40
	;; [unrolled: 3-line block ×5, first 2 shown]
	v_add_nc_u32_e32 v12, v11, v49
	s_delay_alu instid0(VALU_DEP_1)
	v_add_nc_u32_e32 v13, v12, v36
.LBB678_71:
	v_lshrrev_b32_e32 v44, 8, v39
	v_lshrrev_b32_e32 v43, 16, v39
	s_waitcnt lgkmcnt(0)
	v_sub_nc_u32_e32 v1, v1, v17
	v_and_b32_e32 v39, 1, v39
	v_sub_nc_u32_e32 v3, v3, v17
	v_add_nc_u32_e32 v33, v16, v33
	v_sub_nc_u32_e32 v2, v2, v17
	v_sub_nc_u32_e32 v4, v4, v17
	v_cmp_eq_u32_e32 vcc_lo, 1, v39
	v_and_b32_e32 v39, 1, v43
	v_sub_nc_u32_e32 v45, v33, v1
	v_and_b32_e32 v44, 1, v44
	v_sub_nc_u32_e32 v43, v33, v2
	v_lshrrev_b32_e32 v42, 8, v37
	v_lshrrev_b32_e32 v41, 16, v37
	v_cndmask_b32_e32 v1, v45, v1, vcc_lo
	v_sub_nc_u32_e32 v45, v33, v3
	v_add_nc_u32_e32 v43, 1, v43
	v_cmp_eq_u32_e32 vcc_lo, 1, v44
	v_and_b32_e32 v40, 1, v40
	v_lshlrev_b32_e32 v1, 2, v1
	v_add_nc_u32_e32 v45, 2, v45
	v_lshrrev_b32_e32 v15, 8, v35
	v_lshrrev_b32_e32 v14, 16, v35
	ds_store_b32 v1, v28
	v_cndmask_b32_e32 v1, v43, v2, vcc_lo
	v_cmp_eq_u32_e32 vcc_lo, 1, v39
	v_or_b32_e32 v28, 0x500, v0
	s_delay_alu instid0(VALU_DEP_3)
	v_dual_cndmask_b32 v2, v45, v3 :: v_dual_lshlrev_b32 v1, 2, v1
	v_sub_nc_u32_e32 v46, v33, v4
	v_cmp_eq_u32_e32 vcc_lo, 1, v40
	ds_store_b32 v1, v29
	v_lshlrev_b32_e32 v2, 2, v2
	v_add_nc_u32_e32 v46, 3, v46
	v_or_b32_e32 v29, 0x400, v0
	s_delay_alu instid0(VALU_DEP_2) | instskip(SKIP_2) | instid1(VALU_DEP_3)
	v_cndmask_b32_e32 v3, v46, v4, vcc_lo
	v_sub_nc_u32_e32 v4, v5, v17
	v_sub_nc_u32_e32 v5, v6, v17
	v_lshlrev_b32_e32 v3, 2, v3
	s_delay_alu instid0(VALU_DEP_3) | instskip(NEXT) | instid1(VALU_DEP_3)
	v_sub_nc_u32_e32 v1, v33, v4
	v_sub_nc_u32_e32 v6, v33, v5
	ds_store_b32 v2, v26
	ds_store_b32 v3, v27
	v_and_b32_e32 v2, 1, v37
	v_add_nc_u32_e32 v1, 4, v1
	v_add_nc_u32_e32 v3, 5, v6
	v_sub_nc_u32_e32 v6, v7, v17
	v_and_b32_e32 v7, 1, v42
	v_cmp_eq_u32_e32 vcc_lo, 1, v2
	v_sub_nc_u32_e32 v2, v8, v17
	v_and_b32_e32 v8, 1, v38
	v_or_b32_e32 v27, 0x600, v0
	v_or_b32_e32 v26, 0x700, v0
	v_cndmask_b32_e32 v1, v1, v4, vcc_lo
	v_sub_nc_u32_e32 v4, v33, v6
	v_cmp_eq_u32_e32 vcc_lo, 1, v7
	v_and_b32_e32 v7, 1, v41
	s_delay_alu instid0(VALU_DEP_4) | instskip(NEXT) | instid1(VALU_DEP_4)
	v_lshlrev_b32_e32 v1, 2, v1
	v_dual_cndmask_b32 v3, v3, v5 :: v_dual_add_nc_u32 v4, 6, v4
	v_sub_nc_u32_e32 v5, v33, v2
	s_delay_alu instid0(VALU_DEP_4) | instskip(SKIP_1) | instid1(VALU_DEP_4)
	v_cmp_eq_u32_e32 vcc_lo, 1, v7
	v_sub_nc_u32_e32 v7, v13, v17
	v_lshlrev_b32_e32 v3, 2, v3
	s_delay_alu instid0(VALU_DEP_4)
	v_dual_cndmask_b32 v4, v4, v6 :: v_dual_add_nc_u32 v5, 7, v5
	v_cmp_eq_u32_e32 vcc_lo, 1, v8
	v_sub_nc_u32_e32 v6, v9, v17
	ds_store_b32 v1, v24
	ds_store_b32 v3, v25
	v_or_b32_e32 v25, 0x800, v0
	v_dual_cndmask_b32 v2, v5, v2 :: v_dual_lshlrev_b32 v3, 2, v4
	v_and_b32_e32 v5, 1, v35
	v_sub_nc_u32_e32 v1, v33, v6
	v_sub_nc_u32_e32 v4, v10, v17
	v_and_b32_e32 v10, 1, v36
	v_or_b32_e32 v24, 0x900, v0
	v_cmp_eq_u32_e32 vcc_lo, 1, v5
	v_sub_nc_u32_e32 v5, v12, v17
	v_add_nc_u32_e32 v1, 8, v1
	s_delay_alu instid0(VALU_DEP_2) | instskip(NEXT) | instid1(VALU_DEP_2)
	v_sub_nc_u32_e32 v9, v33, v5
	v_dual_cndmask_b32 v1, v1, v6 :: v_dual_and_b32 v6, 1, v15
	v_add_co_u32 v15, s0, s18, v17
	s_delay_alu instid0(VALU_DEP_3)
	v_add_nc_u32_e32 v9, 11, v9
	v_lshlrev_b32_e32 v2, 2, v2
	ds_store_b32 v3, v22
	ds_store_b32 v2, v23
	v_sub_nc_u32_e32 v3, v11, v17
	v_sub_nc_u32_e32 v2, v33, v4
	v_cmp_eq_u32_e32 vcc_lo, 1, v6
	v_and_b32_e32 v11, 1, v34
	v_lshlrev_b32_e32 v1, 2, v1
	v_sub_nc_u32_e32 v8, v33, v3
	v_add_nc_u32_e32 v2, 9, v2
	v_add_co_ci_u32_e64 v17, null, s19, 0, s0
	s_add_u32 s0, s16, s23
	s_delay_alu instid0(VALU_DEP_3)
	v_add_nc_u32_e32 v6, 10, v8
	v_and_b32_e32 v8, 1, v14
	v_cndmask_b32_e32 v2, v2, v4, vcc_lo
	v_sub_nc_u32_e32 v4, v33, v7
	s_addc_u32 s1, s17, 0
	s_sub_u32 s0, s12, s0
	v_cmp_eq_u32_e32 vcc_lo, 1, v8
	v_lshlrev_b32_e32 v2, 2, v2
	v_add_nc_u32_e32 v4, 12, v4
	s_subb_u32 s1, s13, s1
	v_add_co_u32 v13, s0, s0, v16
	v_cndmask_b32_e32 v3, v6, v3, vcc_lo
	v_cmp_eq_u32_e32 vcc_lo, 1, v10
	v_add_co_ci_u32_e64 v14, null, s1, 0, s0
	v_or_b32_e32 v34, 0x100, v0
	s_delay_alu instid0(VALU_DEP_4)
	v_lshlrev_b32_e32 v3, 2, v3
	v_cndmask_b32_e32 v5, v9, v5, vcc_lo
	v_cmp_eq_u32_e32 vcc_lo, 1, v11
	v_or_b32_e32 v33, 0x200, v0
	v_or_b32_e32 v23, 0xa00, v0
	;; [unrolled: 1-line block ×3, first 2 shown]
	v_dual_cndmask_b32 v4, v4, v7 :: v_dual_lshlrev_b32 v5, 2, v5
	v_cmp_ne_u32_e32 vcc_lo, 1, v31
	s_delay_alu instid0(VALU_DEP_2)
	v_lshlrev_b32_e32 v4, 2, v4
	ds_store_b32 v1, v20
	ds_store_b32 v2, v21
	;; [unrolled: 1-line block ×5, first 2 shown]
	s_waitcnt lgkmcnt(0)
	s_barrier
	buffer_gl0_inv
	ds_load_2addr_stride64_b32 v[11:12], v30 offset1:4
	ds_load_2addr_stride64_b32 v[9:10], v30 offset0:8 offset1:12
	ds_load_2addr_stride64_b32 v[7:8], v30 offset0:16 offset1:20
	;; [unrolled: 1-line block ×5, first 2 shown]
	ds_load_b32 v18, v30 offset:12288
	v_add_co_u32 v20, s0, v13, v15
	v_or_b32_e32 v32, 0x300, v0
	v_or_b32_e32 v19, 0xc00, v0
	v_add_co_ci_u32_e64 v21, s0, v14, v17, s0
	s_mov_b32 s0, 0
	s_cbranch_vccnz .LBB678_125
; %bb.72:
	s_mov_b32 s0, exec_lo
                                        ; implicit-def: $vgpr13_vgpr14
	v_cmpx_ge_u32_e64 v0, v16
	s_xor_b32 s0, exec_lo, s0
; %bb.73:
	v_not_b32_e32 v13, v0
	s_delay_alu instid0(VALU_DEP_1) | instskip(SKIP_1) | instid1(VALU_DEP_2)
	v_ashrrev_i32_e32 v14, 31, v13
	v_add_co_u32 v13, vcc_lo, v20, v13
	v_add_co_ci_u32_e32 v14, vcc_lo, v21, v14, vcc_lo
; %bb.74:
	s_and_not1_saveexec_b32 s0, s0
; %bb.75:
	v_add_co_u32 v13, vcc_lo, v15, v0
	v_add_co_ci_u32_e32 v14, vcc_lo, 0, v17, vcc_lo
; %bb.76:
	s_or_b32 exec_lo, exec_lo, s0
	s_delay_alu instid0(VALU_DEP_1) | instskip(SKIP_1) | instid1(VALU_DEP_1)
	v_lshlrev_b64 v[13:14], 2, v[13:14]
	s_mov_b32 s0, exec_lo
	v_add_co_u32 v13, vcc_lo, s10, v13
	s_delay_alu instid0(VALU_DEP_2)
	v_add_co_ci_u32_e32 v14, vcc_lo, s11, v14, vcc_lo
	s_waitcnt lgkmcnt(6)
	global_store_b32 v[13:14], v11, off
                                        ; implicit-def: $vgpr13_vgpr14
	v_cmpx_ge_u32_e64 v34, v16
	s_xor_b32 s0, exec_lo, s0
; %bb.77:
	v_xor_b32_e32 v13, 0xfffffeff, v0
	s_delay_alu instid0(VALU_DEP_1) | instskip(SKIP_1) | instid1(VALU_DEP_2)
	v_ashrrev_i32_e32 v14, 31, v13
	v_add_co_u32 v13, vcc_lo, v20, v13
	v_add_co_ci_u32_e32 v14, vcc_lo, v21, v14, vcc_lo
; %bb.78:
	s_and_not1_saveexec_b32 s0, s0
; %bb.79:
	v_add_co_u32 v13, vcc_lo, v15, v34
	v_add_co_ci_u32_e32 v14, vcc_lo, 0, v17, vcc_lo
; %bb.80:
	s_or_b32 exec_lo, exec_lo, s0
	s_delay_alu instid0(VALU_DEP_1) | instskip(SKIP_1) | instid1(VALU_DEP_1)
	v_lshlrev_b64 v[13:14], 2, v[13:14]
	s_mov_b32 s0, exec_lo
	v_add_co_u32 v13, vcc_lo, s10, v13
	s_delay_alu instid0(VALU_DEP_2)
	v_add_co_ci_u32_e32 v14, vcc_lo, s11, v14, vcc_lo
	global_store_b32 v[13:14], v12, off
                                        ; implicit-def: $vgpr13_vgpr14
	v_cmpx_ge_u32_e64 v33, v16
	s_xor_b32 s0, exec_lo, s0
; %bb.81:
	v_xor_b32_e32 v13, 0xfffffdff, v0
	s_delay_alu instid0(VALU_DEP_1) | instskip(SKIP_1) | instid1(VALU_DEP_2)
	v_ashrrev_i32_e32 v14, 31, v13
	v_add_co_u32 v13, vcc_lo, v20, v13
	v_add_co_ci_u32_e32 v14, vcc_lo, v21, v14, vcc_lo
; %bb.82:
	s_and_not1_saveexec_b32 s0, s0
; %bb.83:
	v_add_co_u32 v13, vcc_lo, v15, v33
	v_add_co_ci_u32_e32 v14, vcc_lo, 0, v17, vcc_lo
; %bb.84:
	s_or_b32 exec_lo, exec_lo, s0
	s_delay_alu instid0(VALU_DEP_1) | instskip(SKIP_1) | instid1(VALU_DEP_1)
	v_lshlrev_b64 v[13:14], 2, v[13:14]
	s_mov_b32 s0, exec_lo
	v_add_co_u32 v13, vcc_lo, s10, v13
	s_delay_alu instid0(VALU_DEP_2)
	v_add_co_ci_u32_e32 v14, vcc_lo, s11, v14, vcc_lo
	s_waitcnt lgkmcnt(5)
	global_store_b32 v[13:14], v9, off
                                        ; implicit-def: $vgpr13_vgpr14
	v_cmpx_ge_u32_e64 v32, v16
	s_xor_b32 s0, exec_lo, s0
; %bb.85:
	v_xor_b32_e32 v13, 0xfffffcff, v0
	s_delay_alu instid0(VALU_DEP_1) | instskip(SKIP_1) | instid1(VALU_DEP_2)
	v_ashrrev_i32_e32 v14, 31, v13
	v_add_co_u32 v13, vcc_lo, v20, v13
	v_add_co_ci_u32_e32 v14, vcc_lo, v21, v14, vcc_lo
; %bb.86:
	s_and_not1_saveexec_b32 s0, s0
; %bb.87:
	v_add_co_u32 v13, vcc_lo, v15, v32
	v_add_co_ci_u32_e32 v14, vcc_lo, 0, v17, vcc_lo
; %bb.88:
	s_or_b32 exec_lo, exec_lo, s0
	s_delay_alu instid0(VALU_DEP_1) | instskip(SKIP_1) | instid1(VALU_DEP_1)
	v_lshlrev_b64 v[13:14], 2, v[13:14]
	s_mov_b32 s0, exec_lo
	v_add_co_u32 v13, vcc_lo, s10, v13
	s_delay_alu instid0(VALU_DEP_2)
	v_add_co_ci_u32_e32 v14, vcc_lo, s11, v14, vcc_lo
	global_store_b32 v[13:14], v10, off
                                        ; implicit-def: $vgpr13_vgpr14
	v_cmpx_ge_u32_e64 v29, v16
	s_xor_b32 s0, exec_lo, s0
; %bb.89:
	v_xor_b32_e32 v13, 0xfffffbff, v0
	;; [unrolled: 47-line block ×6, first 2 shown]
	s_delay_alu instid0(VALU_DEP_1) | instskip(SKIP_1) | instid1(VALU_DEP_2)
	v_ashrrev_i32_e32 v14, 31, v13
	v_add_co_u32 v13, vcc_lo, v20, v13
	v_add_co_ci_u32_e32 v14, vcc_lo, v21, v14, vcc_lo
; %bb.122:
	s_and_not1_saveexec_b32 s0, s0
; %bb.123:
	v_add_co_u32 v13, vcc_lo, v15, v19
	v_add_co_ci_u32_e32 v14, vcc_lo, 0, v17, vcc_lo
; %bb.124:
	s_or_b32 exec_lo, exec_lo, s0
	s_mov_b32 s0, -1
	s_branch .LBB678_205
.LBB678_125:
                                        ; implicit-def: $vgpr13_vgpr14
	s_cbranch_execz .LBB678_205
; %bb.126:
	s_mov_b32 s1, exec_lo
	v_cmpx_gt_u32_e64 s22, v0
	s_cbranch_execz .LBB678_162
; %bb.127:
	s_mov_b32 s2, exec_lo
                                        ; implicit-def: $vgpr13_vgpr14
	v_cmpx_ge_u32_e64 v0, v16
	s_xor_b32 s2, exec_lo, s2
; %bb.128:
	v_not_b32_e32 v13, v0
	s_delay_alu instid0(VALU_DEP_1) | instskip(SKIP_1) | instid1(VALU_DEP_2)
	v_ashrrev_i32_e32 v14, 31, v13
	v_add_co_u32 v13, vcc_lo, v20, v13
	v_add_co_ci_u32_e32 v14, vcc_lo, v21, v14, vcc_lo
; %bb.129:
	s_and_not1_saveexec_b32 s2, s2
; %bb.130:
	v_add_co_u32 v13, vcc_lo, v15, v0
	v_add_co_ci_u32_e32 v14, vcc_lo, 0, v17, vcc_lo
; %bb.131:
	s_or_b32 exec_lo, exec_lo, s2
	s_delay_alu instid0(VALU_DEP_1) | instskip(NEXT) | instid1(VALU_DEP_1)
	v_lshlrev_b64 v[13:14], 2, v[13:14]
	v_add_co_u32 v13, vcc_lo, s10, v13
	s_delay_alu instid0(VALU_DEP_2) | instskip(SKIP_3) | instid1(SALU_CYCLE_1)
	v_add_co_ci_u32_e32 v14, vcc_lo, s11, v14, vcc_lo
	s_waitcnt lgkmcnt(6)
	global_store_b32 v[13:14], v11, off
	s_or_b32 exec_lo, exec_lo, s1
	s_mov_b32 s1, exec_lo
	v_cmpx_gt_u32_e64 s22, v34
	s_cbranch_execnz .LBB678_163
.LBB678_132:
	s_or_b32 exec_lo, exec_lo, s1
	s_delay_alu instid0(SALU_CYCLE_1)
	s_mov_b32 s1, exec_lo
	v_cmpx_gt_u32_e64 s22, v33
	s_cbranch_execz .LBB678_168
.LBB678_133:
	s_mov_b32 s2, exec_lo
                                        ; implicit-def: $vgpr11_vgpr12
	v_cmpx_ge_u32_e64 v33, v16
	s_xor_b32 s2, exec_lo, s2
	s_cbranch_execz .LBB678_135
; %bb.134:
	s_waitcnt lgkmcnt(6)
	v_xor_b32_e32 v11, 0xfffffdff, v0
                                        ; implicit-def: $vgpr33
	s_delay_alu instid0(VALU_DEP_1) | instskip(SKIP_1) | instid1(VALU_DEP_2)
	v_ashrrev_i32_e32 v12, 31, v11
	v_add_co_u32 v11, vcc_lo, v20, v11
	v_add_co_ci_u32_e32 v12, vcc_lo, v21, v12, vcc_lo
.LBB678_135:
	s_and_not1_saveexec_b32 s2, s2
	s_cbranch_execz .LBB678_137
; %bb.136:
	s_waitcnt lgkmcnt(6)
	v_add_co_u32 v11, vcc_lo, v15, v33
	v_add_co_ci_u32_e32 v12, vcc_lo, 0, v17, vcc_lo
.LBB678_137:
	s_or_b32 exec_lo, exec_lo, s2
	s_waitcnt lgkmcnt(6)
	s_delay_alu instid0(VALU_DEP_1) | instskip(NEXT) | instid1(VALU_DEP_1)
	v_lshlrev_b64 v[11:12], 2, v[11:12]
	v_add_co_u32 v11, vcc_lo, s10, v11
	s_delay_alu instid0(VALU_DEP_2) | instskip(SKIP_3) | instid1(SALU_CYCLE_1)
	v_add_co_ci_u32_e32 v12, vcc_lo, s11, v12, vcc_lo
	s_waitcnt lgkmcnt(5)
	global_store_b32 v[11:12], v9, off
	s_or_b32 exec_lo, exec_lo, s1
	s_mov_b32 s1, exec_lo
	v_cmpx_gt_u32_e64 s22, v32
	s_cbranch_execnz .LBB678_169
.LBB678_138:
	s_or_b32 exec_lo, exec_lo, s1
	s_delay_alu instid0(SALU_CYCLE_1)
	s_mov_b32 s1, exec_lo
	v_cmpx_gt_u32_e64 s22, v29
	s_cbranch_execz .LBB678_174
.LBB678_139:
	s_mov_b32 s2, exec_lo
                                        ; implicit-def: $vgpr9_vgpr10
	v_cmpx_ge_u32_e64 v29, v16
	s_xor_b32 s2, exec_lo, s2
	s_cbranch_execz .LBB678_141
; %bb.140:
	s_waitcnt lgkmcnt(5)
	v_xor_b32_e32 v9, 0xfffffbff, v0
                                        ; implicit-def: $vgpr29
	s_delay_alu instid0(VALU_DEP_1) | instskip(SKIP_1) | instid1(VALU_DEP_2)
	v_ashrrev_i32_e32 v10, 31, v9
	v_add_co_u32 v9, vcc_lo, v20, v9
	v_add_co_ci_u32_e32 v10, vcc_lo, v21, v10, vcc_lo
.LBB678_141:
	s_and_not1_saveexec_b32 s2, s2
	s_cbranch_execz .LBB678_143
; %bb.142:
	s_waitcnt lgkmcnt(5)
	v_add_co_u32 v9, vcc_lo, v15, v29
	v_add_co_ci_u32_e32 v10, vcc_lo, 0, v17, vcc_lo
.LBB678_143:
	s_or_b32 exec_lo, exec_lo, s2
	s_waitcnt lgkmcnt(5)
	s_delay_alu instid0(VALU_DEP_1) | instskip(NEXT) | instid1(VALU_DEP_1)
	v_lshlrev_b64 v[9:10], 2, v[9:10]
	v_add_co_u32 v9, vcc_lo, s10, v9
	s_delay_alu instid0(VALU_DEP_2) | instskip(SKIP_3) | instid1(SALU_CYCLE_1)
	v_add_co_ci_u32_e32 v10, vcc_lo, s11, v10, vcc_lo
	s_waitcnt lgkmcnt(4)
	global_store_b32 v[9:10], v7, off
	s_or_b32 exec_lo, exec_lo, s1
	s_mov_b32 s1, exec_lo
	v_cmpx_gt_u32_e64 s22, v28
	s_cbranch_execnz .LBB678_175
.LBB678_144:
	s_or_b32 exec_lo, exec_lo, s1
	s_delay_alu instid0(SALU_CYCLE_1)
	s_mov_b32 s1, exec_lo
	v_cmpx_gt_u32_e64 s22, v27
	s_cbranch_execz .LBB678_180
.LBB678_145:
	s_mov_b32 s2, exec_lo
                                        ; implicit-def: $vgpr7_vgpr8
	v_cmpx_ge_u32_e64 v27, v16
	s_xor_b32 s2, exec_lo, s2
	s_cbranch_execz .LBB678_147
; %bb.146:
	s_waitcnt lgkmcnt(4)
	v_xor_b32_e32 v7, 0xfffff9ff, v0
                                        ; implicit-def: $vgpr27
	s_delay_alu instid0(VALU_DEP_1) | instskip(SKIP_1) | instid1(VALU_DEP_2)
	v_ashrrev_i32_e32 v8, 31, v7
	v_add_co_u32 v7, vcc_lo, v20, v7
	v_add_co_ci_u32_e32 v8, vcc_lo, v21, v8, vcc_lo
.LBB678_147:
	s_and_not1_saveexec_b32 s2, s2
	s_cbranch_execz .LBB678_149
; %bb.148:
	s_waitcnt lgkmcnt(4)
	v_add_co_u32 v7, vcc_lo, v15, v27
	v_add_co_ci_u32_e32 v8, vcc_lo, 0, v17, vcc_lo
.LBB678_149:
	s_or_b32 exec_lo, exec_lo, s2
	s_waitcnt lgkmcnt(4)
	s_delay_alu instid0(VALU_DEP_1) | instskip(NEXT) | instid1(VALU_DEP_1)
	v_lshlrev_b64 v[7:8], 2, v[7:8]
	v_add_co_u32 v7, vcc_lo, s10, v7
	s_delay_alu instid0(VALU_DEP_2) | instskip(SKIP_3) | instid1(SALU_CYCLE_1)
	v_add_co_ci_u32_e32 v8, vcc_lo, s11, v8, vcc_lo
	s_waitcnt lgkmcnt(3)
	global_store_b32 v[7:8], v5, off
	s_or_b32 exec_lo, exec_lo, s1
	s_mov_b32 s1, exec_lo
	v_cmpx_gt_u32_e64 s22, v26
	s_cbranch_execnz .LBB678_181
.LBB678_150:
	s_or_b32 exec_lo, exec_lo, s1
	s_delay_alu instid0(SALU_CYCLE_1)
	s_mov_b32 s1, exec_lo
	v_cmpx_gt_u32_e64 s22, v25
	s_cbranch_execz .LBB678_186
.LBB678_151:
	s_mov_b32 s2, exec_lo
                                        ; implicit-def: $vgpr5_vgpr6
	v_cmpx_ge_u32_e64 v25, v16
	s_xor_b32 s2, exec_lo, s2
	s_cbranch_execz .LBB678_153
; %bb.152:
	s_waitcnt lgkmcnt(3)
	v_xor_b32_e32 v5, 0xfffff7ff, v0
                                        ; implicit-def: $vgpr25
	s_delay_alu instid0(VALU_DEP_1) | instskip(SKIP_1) | instid1(VALU_DEP_2)
	v_ashrrev_i32_e32 v6, 31, v5
	v_add_co_u32 v5, vcc_lo, v20, v5
	v_add_co_ci_u32_e32 v6, vcc_lo, v21, v6, vcc_lo
.LBB678_153:
	s_and_not1_saveexec_b32 s2, s2
	s_cbranch_execz .LBB678_155
; %bb.154:
	s_waitcnt lgkmcnt(3)
	v_add_co_u32 v5, vcc_lo, v15, v25
	v_add_co_ci_u32_e32 v6, vcc_lo, 0, v17, vcc_lo
.LBB678_155:
	s_or_b32 exec_lo, exec_lo, s2
	s_waitcnt lgkmcnt(3)
	s_delay_alu instid0(VALU_DEP_1) | instskip(NEXT) | instid1(VALU_DEP_1)
	v_lshlrev_b64 v[5:6], 2, v[5:6]
	v_add_co_u32 v5, vcc_lo, s10, v5
	s_delay_alu instid0(VALU_DEP_2) | instskip(SKIP_3) | instid1(SALU_CYCLE_1)
	v_add_co_ci_u32_e32 v6, vcc_lo, s11, v6, vcc_lo
	s_waitcnt lgkmcnt(2)
	global_store_b32 v[5:6], v3, off
	s_or_b32 exec_lo, exec_lo, s1
	s_mov_b32 s1, exec_lo
	v_cmpx_gt_u32_e64 s22, v24
	s_cbranch_execnz .LBB678_187
.LBB678_156:
	s_or_b32 exec_lo, exec_lo, s1
	s_delay_alu instid0(SALU_CYCLE_1)
	s_mov_b32 s1, exec_lo
	v_cmpx_gt_u32_e64 s22, v23
	s_cbranch_execz .LBB678_192
.LBB678_157:
	s_mov_b32 s2, exec_lo
                                        ; implicit-def: $vgpr3_vgpr4
	v_cmpx_ge_u32_e64 v23, v16
	s_xor_b32 s2, exec_lo, s2
	s_cbranch_execz .LBB678_159
; %bb.158:
	s_waitcnt lgkmcnt(2)
	v_xor_b32_e32 v3, 0xfffff5ff, v0
                                        ; implicit-def: $vgpr23
	s_delay_alu instid0(VALU_DEP_1) | instskip(SKIP_1) | instid1(VALU_DEP_2)
	v_ashrrev_i32_e32 v4, 31, v3
	v_add_co_u32 v3, vcc_lo, v20, v3
	v_add_co_ci_u32_e32 v4, vcc_lo, v21, v4, vcc_lo
.LBB678_159:
	s_and_not1_saveexec_b32 s2, s2
	s_cbranch_execz .LBB678_161
; %bb.160:
	s_waitcnt lgkmcnt(2)
	v_add_co_u32 v3, vcc_lo, v15, v23
	v_add_co_ci_u32_e32 v4, vcc_lo, 0, v17, vcc_lo
.LBB678_161:
	s_or_b32 exec_lo, exec_lo, s2
	s_waitcnt lgkmcnt(2)
	s_delay_alu instid0(VALU_DEP_1) | instskip(NEXT) | instid1(VALU_DEP_1)
	v_lshlrev_b64 v[3:4], 2, v[3:4]
	v_add_co_u32 v3, vcc_lo, s10, v3
	s_delay_alu instid0(VALU_DEP_2) | instskip(SKIP_3) | instid1(SALU_CYCLE_1)
	v_add_co_ci_u32_e32 v4, vcc_lo, s11, v4, vcc_lo
	s_waitcnt lgkmcnt(1)
	global_store_b32 v[3:4], v1, off
	s_or_b32 exec_lo, exec_lo, s1
	s_mov_b32 s1, exec_lo
	v_cmpx_gt_u32_e64 s22, v22
	s_cbranch_execz .LBB678_198
	s_branch .LBB678_193
.LBB678_162:
	s_or_b32 exec_lo, exec_lo, s1
	s_delay_alu instid0(SALU_CYCLE_1)
	s_mov_b32 s1, exec_lo
	v_cmpx_gt_u32_e64 s22, v34
	s_cbranch_execz .LBB678_132
.LBB678_163:
	s_mov_b32 s2, exec_lo
                                        ; implicit-def: $vgpr13_vgpr14
	v_cmpx_ge_u32_e64 v34, v16
	s_xor_b32 s2, exec_lo, s2
	s_cbranch_execz .LBB678_165
; %bb.164:
	s_waitcnt lgkmcnt(6)
	v_xor_b32_e32 v11, 0xfffffeff, v0
                                        ; implicit-def: $vgpr34
	s_delay_alu instid0(VALU_DEP_1) | instskip(SKIP_1) | instid1(VALU_DEP_2)
	v_ashrrev_i32_e32 v14, 31, v11
	v_add_co_u32 v13, vcc_lo, v20, v11
	v_add_co_ci_u32_e32 v14, vcc_lo, v21, v14, vcc_lo
.LBB678_165:
	s_and_not1_saveexec_b32 s2, s2
; %bb.166:
	v_add_co_u32 v13, vcc_lo, v15, v34
	v_add_co_ci_u32_e32 v14, vcc_lo, 0, v17, vcc_lo
; %bb.167:
	s_or_b32 exec_lo, exec_lo, s2
	s_delay_alu instid0(VALU_DEP_1) | instskip(NEXT) | instid1(VALU_DEP_1)
	v_lshlrev_b64 v[13:14], 2, v[13:14]
	v_add_co_u32 v13, vcc_lo, s10, v13
	s_delay_alu instid0(VALU_DEP_2) | instskip(SKIP_3) | instid1(SALU_CYCLE_1)
	v_add_co_ci_u32_e32 v14, vcc_lo, s11, v14, vcc_lo
	s_waitcnt lgkmcnt(6)
	global_store_b32 v[13:14], v12, off
	s_or_b32 exec_lo, exec_lo, s1
	s_mov_b32 s1, exec_lo
	v_cmpx_gt_u32_e64 s22, v33
	s_cbranch_execnz .LBB678_133
.LBB678_168:
	s_or_b32 exec_lo, exec_lo, s1
	s_delay_alu instid0(SALU_CYCLE_1)
	s_mov_b32 s1, exec_lo
	v_cmpx_gt_u32_e64 s22, v32
	s_cbranch_execz .LBB678_138
.LBB678_169:
	s_mov_b32 s2, exec_lo
                                        ; implicit-def: $vgpr11_vgpr12
	v_cmpx_ge_u32_e64 v32, v16
	s_xor_b32 s2, exec_lo, s2
	s_cbranch_execz .LBB678_171
; %bb.170:
	s_waitcnt lgkmcnt(5)
	v_xor_b32_e32 v9, 0xfffffcff, v0
                                        ; implicit-def: $vgpr32
	s_delay_alu instid0(VALU_DEP_1) | instskip(SKIP_1) | instid1(VALU_DEP_2)
	v_ashrrev_i32_e32 v12, 31, v9
	v_add_co_u32 v11, vcc_lo, v20, v9
	v_add_co_ci_u32_e32 v12, vcc_lo, v21, v12, vcc_lo
.LBB678_171:
	s_and_not1_saveexec_b32 s2, s2
	s_cbranch_execz .LBB678_173
; %bb.172:
	s_waitcnt lgkmcnt(6)
	v_add_co_u32 v11, vcc_lo, v15, v32
	v_add_co_ci_u32_e32 v12, vcc_lo, 0, v17, vcc_lo
.LBB678_173:
	s_or_b32 exec_lo, exec_lo, s2
	s_waitcnt lgkmcnt(6)
	s_delay_alu instid0(VALU_DEP_1) | instskip(NEXT) | instid1(VALU_DEP_1)
	v_lshlrev_b64 v[11:12], 2, v[11:12]
	v_add_co_u32 v11, vcc_lo, s10, v11
	s_delay_alu instid0(VALU_DEP_2) | instskip(SKIP_3) | instid1(SALU_CYCLE_1)
	v_add_co_ci_u32_e32 v12, vcc_lo, s11, v12, vcc_lo
	s_waitcnt lgkmcnt(5)
	global_store_b32 v[11:12], v10, off
	s_or_b32 exec_lo, exec_lo, s1
	s_mov_b32 s1, exec_lo
	v_cmpx_gt_u32_e64 s22, v29
	s_cbranch_execnz .LBB678_139
.LBB678_174:
	s_or_b32 exec_lo, exec_lo, s1
	s_delay_alu instid0(SALU_CYCLE_1)
	s_mov_b32 s1, exec_lo
	v_cmpx_gt_u32_e64 s22, v28
	s_cbranch_execz .LBB678_144
.LBB678_175:
	s_mov_b32 s2, exec_lo
                                        ; implicit-def: $vgpr9_vgpr10
	v_cmpx_ge_u32_e64 v28, v16
	s_xor_b32 s2, exec_lo, s2
	s_cbranch_execz .LBB678_177
; %bb.176:
	s_waitcnt lgkmcnt(4)
	v_xor_b32_e32 v7, 0xfffffaff, v0
                                        ; implicit-def: $vgpr28
	s_delay_alu instid0(VALU_DEP_1) | instskip(SKIP_1) | instid1(VALU_DEP_2)
	v_ashrrev_i32_e32 v10, 31, v7
	v_add_co_u32 v9, vcc_lo, v20, v7
	v_add_co_ci_u32_e32 v10, vcc_lo, v21, v10, vcc_lo
.LBB678_177:
	s_and_not1_saveexec_b32 s2, s2
	s_cbranch_execz .LBB678_179
; %bb.178:
	s_waitcnt lgkmcnt(5)
	v_add_co_u32 v9, vcc_lo, v15, v28
	v_add_co_ci_u32_e32 v10, vcc_lo, 0, v17, vcc_lo
.LBB678_179:
	s_or_b32 exec_lo, exec_lo, s2
	s_waitcnt lgkmcnt(5)
	s_delay_alu instid0(VALU_DEP_1) | instskip(NEXT) | instid1(VALU_DEP_1)
	v_lshlrev_b64 v[9:10], 2, v[9:10]
	v_add_co_u32 v9, vcc_lo, s10, v9
	s_delay_alu instid0(VALU_DEP_2) | instskip(SKIP_3) | instid1(SALU_CYCLE_1)
	v_add_co_ci_u32_e32 v10, vcc_lo, s11, v10, vcc_lo
	s_waitcnt lgkmcnt(4)
	global_store_b32 v[9:10], v8, off
	s_or_b32 exec_lo, exec_lo, s1
	s_mov_b32 s1, exec_lo
	v_cmpx_gt_u32_e64 s22, v27
	s_cbranch_execnz .LBB678_145
.LBB678_180:
	s_or_b32 exec_lo, exec_lo, s1
	s_delay_alu instid0(SALU_CYCLE_1)
	s_mov_b32 s1, exec_lo
	v_cmpx_gt_u32_e64 s22, v26
	s_cbranch_execz .LBB678_150
.LBB678_181:
	s_mov_b32 s2, exec_lo
                                        ; implicit-def: $vgpr7_vgpr8
	v_cmpx_ge_u32_e64 v26, v16
	s_xor_b32 s2, exec_lo, s2
	s_cbranch_execz .LBB678_183
; %bb.182:
	s_waitcnt lgkmcnt(3)
	v_xor_b32_e32 v5, 0xfffff8ff, v0
                                        ; implicit-def: $vgpr26
	s_delay_alu instid0(VALU_DEP_1) | instskip(SKIP_1) | instid1(VALU_DEP_2)
	v_ashrrev_i32_e32 v8, 31, v5
	v_add_co_u32 v7, vcc_lo, v20, v5
	v_add_co_ci_u32_e32 v8, vcc_lo, v21, v8, vcc_lo
.LBB678_183:
	s_and_not1_saveexec_b32 s2, s2
	s_cbranch_execz .LBB678_185
; %bb.184:
	s_waitcnt lgkmcnt(4)
	v_add_co_u32 v7, vcc_lo, v15, v26
	v_add_co_ci_u32_e32 v8, vcc_lo, 0, v17, vcc_lo
.LBB678_185:
	s_or_b32 exec_lo, exec_lo, s2
	s_waitcnt lgkmcnt(4)
	s_delay_alu instid0(VALU_DEP_1) | instskip(NEXT) | instid1(VALU_DEP_1)
	v_lshlrev_b64 v[7:8], 2, v[7:8]
	v_add_co_u32 v7, vcc_lo, s10, v7
	s_delay_alu instid0(VALU_DEP_2) | instskip(SKIP_3) | instid1(SALU_CYCLE_1)
	v_add_co_ci_u32_e32 v8, vcc_lo, s11, v8, vcc_lo
	s_waitcnt lgkmcnt(3)
	global_store_b32 v[7:8], v6, off
	s_or_b32 exec_lo, exec_lo, s1
	s_mov_b32 s1, exec_lo
	v_cmpx_gt_u32_e64 s22, v25
	s_cbranch_execnz .LBB678_151
.LBB678_186:
	s_or_b32 exec_lo, exec_lo, s1
	s_delay_alu instid0(SALU_CYCLE_1)
	s_mov_b32 s1, exec_lo
	v_cmpx_gt_u32_e64 s22, v24
	s_cbranch_execz .LBB678_156
.LBB678_187:
	s_mov_b32 s2, exec_lo
                                        ; implicit-def: $vgpr5_vgpr6
	v_cmpx_ge_u32_e64 v24, v16
	s_xor_b32 s2, exec_lo, s2
	s_cbranch_execz .LBB678_189
; %bb.188:
	s_waitcnt lgkmcnt(2)
	v_xor_b32_e32 v3, 0xfffff6ff, v0
                                        ; implicit-def: $vgpr24
	s_delay_alu instid0(VALU_DEP_1) | instskip(SKIP_1) | instid1(VALU_DEP_2)
	v_ashrrev_i32_e32 v6, 31, v3
	v_add_co_u32 v5, vcc_lo, v20, v3
	v_add_co_ci_u32_e32 v6, vcc_lo, v21, v6, vcc_lo
.LBB678_189:
	s_and_not1_saveexec_b32 s2, s2
	s_cbranch_execz .LBB678_191
; %bb.190:
	s_waitcnt lgkmcnt(3)
	v_add_co_u32 v5, vcc_lo, v15, v24
	v_add_co_ci_u32_e32 v6, vcc_lo, 0, v17, vcc_lo
.LBB678_191:
	s_or_b32 exec_lo, exec_lo, s2
	s_waitcnt lgkmcnt(3)
	s_delay_alu instid0(VALU_DEP_1) | instskip(NEXT) | instid1(VALU_DEP_1)
	v_lshlrev_b64 v[5:6], 2, v[5:6]
	v_add_co_u32 v5, vcc_lo, s10, v5
	s_delay_alu instid0(VALU_DEP_2) | instskip(SKIP_3) | instid1(SALU_CYCLE_1)
	v_add_co_ci_u32_e32 v6, vcc_lo, s11, v6, vcc_lo
	s_waitcnt lgkmcnt(2)
	global_store_b32 v[5:6], v4, off
	s_or_b32 exec_lo, exec_lo, s1
	s_mov_b32 s1, exec_lo
	v_cmpx_gt_u32_e64 s22, v23
	s_cbranch_execnz .LBB678_157
.LBB678_192:
	s_or_b32 exec_lo, exec_lo, s1
	s_delay_alu instid0(SALU_CYCLE_1)
	s_mov_b32 s1, exec_lo
	v_cmpx_gt_u32_e64 s22, v22
	s_cbranch_execz .LBB678_198
.LBB678_193:
	s_mov_b32 s2, exec_lo
                                        ; implicit-def: $vgpr3_vgpr4
	v_cmpx_ge_u32_e64 v22, v16
	s_xor_b32 s2, exec_lo, s2
	s_cbranch_execz .LBB678_195
; %bb.194:
	s_waitcnt lgkmcnt(1)
	v_xor_b32_e32 v1, 0xfffff4ff, v0
                                        ; implicit-def: $vgpr22
	s_delay_alu instid0(VALU_DEP_1) | instskip(SKIP_1) | instid1(VALU_DEP_2)
	v_ashrrev_i32_e32 v4, 31, v1
	v_add_co_u32 v3, vcc_lo, v20, v1
	v_add_co_ci_u32_e32 v4, vcc_lo, v21, v4, vcc_lo
.LBB678_195:
	s_and_not1_saveexec_b32 s2, s2
	s_cbranch_execz .LBB678_197
; %bb.196:
	s_waitcnt lgkmcnt(2)
	v_add_co_u32 v3, vcc_lo, v15, v22
	v_add_co_ci_u32_e32 v4, vcc_lo, 0, v17, vcc_lo
.LBB678_197:
	s_or_b32 exec_lo, exec_lo, s2
	s_waitcnt lgkmcnt(2)
	s_delay_alu instid0(VALU_DEP_1) | instskip(NEXT) | instid1(VALU_DEP_1)
	v_lshlrev_b64 v[3:4], 2, v[3:4]
	v_add_co_u32 v3, vcc_lo, s10, v3
	s_delay_alu instid0(VALU_DEP_2)
	v_add_co_ci_u32_e32 v4, vcc_lo, s11, v4, vcc_lo
	s_waitcnt lgkmcnt(1)
	global_store_b32 v[3:4], v2, off
.LBB678_198:
	s_or_b32 exec_lo, exec_lo, s1
	s_delay_alu instid0(SALU_CYCLE_1)
	s_mov_b32 s1, exec_lo
                                        ; implicit-def: $vgpr13_vgpr14
	v_cmpx_gt_u32_e64 s22, v19
	s_cbranch_execz .LBB678_204
; %bb.199:
	s_mov_b32 s2, exec_lo
                                        ; implicit-def: $vgpr13_vgpr14
	v_cmpx_ge_u32_e64 v19, v16
	s_xor_b32 s2, exec_lo, s2
	s_cbranch_execz .LBB678_201
; %bb.200:
	s_waitcnt lgkmcnt(1)
	v_xor_b32_e32 v1, 0xfffff3ff, v0
                                        ; implicit-def: $vgpr19
	s_delay_alu instid0(VALU_DEP_1) | instskip(SKIP_1) | instid1(VALU_DEP_2)
	v_ashrrev_i32_e32 v2, 31, v1
	v_add_co_u32 v13, vcc_lo, v20, v1
	v_add_co_ci_u32_e32 v14, vcc_lo, v21, v2, vcc_lo
.LBB678_201:
	s_and_not1_saveexec_b32 s2, s2
; %bb.202:
	v_add_co_u32 v13, vcc_lo, v15, v19
	v_add_co_ci_u32_e32 v14, vcc_lo, 0, v17, vcc_lo
; %bb.203:
	s_or_b32 exec_lo, exec_lo, s2
	s_delay_alu instid0(SALU_CYCLE_1)
	s_or_b32 s0, s0, exec_lo
.LBB678_204:
	s_or_b32 exec_lo, exec_lo, s1
.LBB678_205:
	s_and_saveexec_b32 s1, s0
	s_cbranch_execz .LBB678_207
; %bb.206:
	s_waitcnt lgkmcnt(1)
	v_lshlrev_b64 v[1:2], 2, v[13:14]
	s_delay_alu instid0(VALU_DEP_1) | instskip(NEXT) | instid1(VALU_DEP_2)
	v_add_co_u32 v1, vcc_lo, s10, v1
	v_add_co_ci_u32_e32 v2, vcc_lo, s11, v2, vcc_lo
	s_waitcnt lgkmcnt(0)
	global_store_b32 v[1:2], v18, off
.LBB678_207:
	s_or_b32 exec_lo, exec_lo, s1
	v_cmp_eq_u32_e32 vcc_lo, 0, v0
	s_and_b32 s0, vcc_lo, s14
	s_delay_alu instid0(SALU_CYCLE_1)
	s_and_saveexec_b32 s1, s0
	s_cbranch_execz .LBB678_209
; %bb.208:
	v_add_co_u32 v0, vcc_lo, v15, v16
	s_waitcnt lgkmcnt(1)
	v_mov_b32_e32 v2, 0
	v_add_co_ci_u32_e32 v1, vcc_lo, 0, v17, vcc_lo
	global_store_b64 v2, v[0:1], s[8:9]
.LBB678_209:
	s_nop 0
	s_sendmsg sendmsg(MSG_DEALLOC_VGPRS)
	s_endpgm
	.section	.rodata,"a",@progbits
	.p2align	6, 0x0
	.amdhsa_kernel _ZN7rocprim17ROCPRIM_400000_NS6detail17trampoline_kernelINS0_13select_configILj256ELj13ELNS0_17block_load_methodE3ELS4_3ELS4_3ELNS0_20block_scan_algorithmE0ELj4294967295EEENS1_25partition_config_selectorILNS1_17partition_subalgoE3EjNS0_10empty_typeEbEEZZNS1_14partition_implILS8_3ELb0ES6_jNS0_17counting_iteratorIjlEEPS9_SE_NS0_5tupleIJPjSE_EEENSF_IJSE_SE_EEES9_SG_JZNS1_25segmented_radix_sort_implINS0_14default_configELb1EPKlPlSM_SN_N2at6native12_GLOBAL__N_18offset_tEEE10hipError_tPvRmT1_PNSt15iterator_traitsISV_E10value_typeET2_T3_PNSW_IS11_E10value_typeET4_jRbjT5_S17_jjP12ihipStream_tbEUljE_EEESS_ST_SU_S11_S15_S17_T6_T7_T9_mT8_S19_bDpT10_ENKUlT_T0_E_clISt17integral_constantIbLb0EES1M_EEDaS1H_S1I_EUlS1H_E_NS1_11comp_targetILNS1_3genE9ELNS1_11target_archE1100ELNS1_3gpuE3ELNS1_3repE0EEENS1_30default_config_static_selectorELNS0_4arch9wavefront6targetE0EEEvSV_
		.amdhsa_group_segment_fixed_size 13324
		.amdhsa_private_segment_fixed_size 0
		.amdhsa_kernarg_size 144
		.amdhsa_user_sgpr_count 15
		.amdhsa_user_sgpr_dispatch_ptr 0
		.amdhsa_user_sgpr_queue_ptr 0
		.amdhsa_user_sgpr_kernarg_segment_ptr 1
		.amdhsa_user_sgpr_dispatch_id 0
		.amdhsa_user_sgpr_private_segment_size 0
		.amdhsa_wavefront_size32 1
		.amdhsa_uses_dynamic_stack 0
		.amdhsa_enable_private_segment 0
		.amdhsa_system_sgpr_workgroup_id_x 1
		.amdhsa_system_sgpr_workgroup_id_y 0
		.amdhsa_system_sgpr_workgroup_id_z 0
		.amdhsa_system_sgpr_workgroup_info 0
		.amdhsa_system_vgpr_workitem_id 0
		.amdhsa_next_free_vgpr 57
		.amdhsa_next_free_sgpr 28
		.amdhsa_reserve_vcc 1
		.amdhsa_float_round_mode_32 0
		.amdhsa_float_round_mode_16_64 0
		.amdhsa_float_denorm_mode_32 3
		.amdhsa_float_denorm_mode_16_64 3
		.amdhsa_dx10_clamp 1
		.amdhsa_ieee_mode 1
		.amdhsa_fp16_overflow 0
		.amdhsa_workgroup_processor_mode 1
		.amdhsa_memory_ordered 1
		.amdhsa_forward_progress 0
		.amdhsa_shared_vgpr_count 0
		.amdhsa_exception_fp_ieee_invalid_op 0
		.amdhsa_exception_fp_denorm_src 0
		.amdhsa_exception_fp_ieee_div_zero 0
		.amdhsa_exception_fp_ieee_overflow 0
		.amdhsa_exception_fp_ieee_underflow 0
		.amdhsa_exception_fp_ieee_inexact 0
		.amdhsa_exception_int_div_zero 0
	.end_amdhsa_kernel
	.section	.text._ZN7rocprim17ROCPRIM_400000_NS6detail17trampoline_kernelINS0_13select_configILj256ELj13ELNS0_17block_load_methodE3ELS4_3ELS4_3ELNS0_20block_scan_algorithmE0ELj4294967295EEENS1_25partition_config_selectorILNS1_17partition_subalgoE3EjNS0_10empty_typeEbEEZZNS1_14partition_implILS8_3ELb0ES6_jNS0_17counting_iteratorIjlEEPS9_SE_NS0_5tupleIJPjSE_EEENSF_IJSE_SE_EEES9_SG_JZNS1_25segmented_radix_sort_implINS0_14default_configELb1EPKlPlSM_SN_N2at6native12_GLOBAL__N_18offset_tEEE10hipError_tPvRmT1_PNSt15iterator_traitsISV_E10value_typeET2_T3_PNSW_IS11_E10value_typeET4_jRbjT5_S17_jjP12ihipStream_tbEUljE_EEESS_ST_SU_S11_S15_S17_T6_T7_T9_mT8_S19_bDpT10_ENKUlT_T0_E_clISt17integral_constantIbLb0EES1M_EEDaS1H_S1I_EUlS1H_E_NS1_11comp_targetILNS1_3genE9ELNS1_11target_archE1100ELNS1_3gpuE3ELNS1_3repE0EEENS1_30default_config_static_selectorELNS0_4arch9wavefront6targetE0EEEvSV_,"axG",@progbits,_ZN7rocprim17ROCPRIM_400000_NS6detail17trampoline_kernelINS0_13select_configILj256ELj13ELNS0_17block_load_methodE3ELS4_3ELS4_3ELNS0_20block_scan_algorithmE0ELj4294967295EEENS1_25partition_config_selectorILNS1_17partition_subalgoE3EjNS0_10empty_typeEbEEZZNS1_14partition_implILS8_3ELb0ES6_jNS0_17counting_iteratorIjlEEPS9_SE_NS0_5tupleIJPjSE_EEENSF_IJSE_SE_EEES9_SG_JZNS1_25segmented_radix_sort_implINS0_14default_configELb1EPKlPlSM_SN_N2at6native12_GLOBAL__N_18offset_tEEE10hipError_tPvRmT1_PNSt15iterator_traitsISV_E10value_typeET2_T3_PNSW_IS11_E10value_typeET4_jRbjT5_S17_jjP12ihipStream_tbEUljE_EEESS_ST_SU_S11_S15_S17_T6_T7_T9_mT8_S19_bDpT10_ENKUlT_T0_E_clISt17integral_constantIbLb0EES1M_EEDaS1H_S1I_EUlS1H_E_NS1_11comp_targetILNS1_3genE9ELNS1_11target_archE1100ELNS1_3gpuE3ELNS1_3repE0EEENS1_30default_config_static_selectorELNS0_4arch9wavefront6targetE0EEEvSV_,comdat
.Lfunc_end678:
	.size	_ZN7rocprim17ROCPRIM_400000_NS6detail17trampoline_kernelINS0_13select_configILj256ELj13ELNS0_17block_load_methodE3ELS4_3ELS4_3ELNS0_20block_scan_algorithmE0ELj4294967295EEENS1_25partition_config_selectorILNS1_17partition_subalgoE3EjNS0_10empty_typeEbEEZZNS1_14partition_implILS8_3ELb0ES6_jNS0_17counting_iteratorIjlEEPS9_SE_NS0_5tupleIJPjSE_EEENSF_IJSE_SE_EEES9_SG_JZNS1_25segmented_radix_sort_implINS0_14default_configELb1EPKlPlSM_SN_N2at6native12_GLOBAL__N_18offset_tEEE10hipError_tPvRmT1_PNSt15iterator_traitsISV_E10value_typeET2_T3_PNSW_IS11_E10value_typeET4_jRbjT5_S17_jjP12ihipStream_tbEUljE_EEESS_ST_SU_S11_S15_S17_T6_T7_T9_mT8_S19_bDpT10_ENKUlT_T0_E_clISt17integral_constantIbLb0EES1M_EEDaS1H_S1I_EUlS1H_E_NS1_11comp_targetILNS1_3genE9ELNS1_11target_archE1100ELNS1_3gpuE3ELNS1_3repE0EEENS1_30default_config_static_selectorELNS0_4arch9wavefront6targetE0EEEvSV_, .Lfunc_end678-_ZN7rocprim17ROCPRIM_400000_NS6detail17trampoline_kernelINS0_13select_configILj256ELj13ELNS0_17block_load_methodE3ELS4_3ELS4_3ELNS0_20block_scan_algorithmE0ELj4294967295EEENS1_25partition_config_selectorILNS1_17partition_subalgoE3EjNS0_10empty_typeEbEEZZNS1_14partition_implILS8_3ELb0ES6_jNS0_17counting_iteratorIjlEEPS9_SE_NS0_5tupleIJPjSE_EEENSF_IJSE_SE_EEES9_SG_JZNS1_25segmented_radix_sort_implINS0_14default_configELb1EPKlPlSM_SN_N2at6native12_GLOBAL__N_18offset_tEEE10hipError_tPvRmT1_PNSt15iterator_traitsISV_E10value_typeET2_T3_PNSW_IS11_E10value_typeET4_jRbjT5_S17_jjP12ihipStream_tbEUljE_EEESS_ST_SU_S11_S15_S17_T6_T7_T9_mT8_S19_bDpT10_ENKUlT_T0_E_clISt17integral_constantIbLb0EES1M_EEDaS1H_S1I_EUlS1H_E_NS1_11comp_targetILNS1_3genE9ELNS1_11target_archE1100ELNS1_3gpuE3ELNS1_3repE0EEENS1_30default_config_static_selectorELNS0_4arch9wavefront6targetE0EEEvSV_
                                        ; -- End function
	.section	.AMDGPU.csdata,"",@progbits
; Kernel info:
; codeLenInByte = 8864
; NumSgprs: 30
; NumVgprs: 57
; ScratchSize: 0
; MemoryBound: 0
; FloatMode: 240
; IeeeMode: 1
; LDSByteSize: 13324 bytes/workgroup (compile time only)
; SGPRBlocks: 3
; VGPRBlocks: 7
; NumSGPRsForWavesPerEU: 30
; NumVGPRsForWavesPerEU: 57
; Occupancy: 16
; WaveLimiterHint : 0
; COMPUTE_PGM_RSRC2:SCRATCH_EN: 0
; COMPUTE_PGM_RSRC2:USER_SGPR: 15
; COMPUTE_PGM_RSRC2:TRAP_HANDLER: 0
; COMPUTE_PGM_RSRC2:TGID_X_EN: 1
; COMPUTE_PGM_RSRC2:TGID_Y_EN: 0
; COMPUTE_PGM_RSRC2:TGID_Z_EN: 0
; COMPUTE_PGM_RSRC2:TIDIG_COMP_CNT: 0
	.section	.text._ZN7rocprim17ROCPRIM_400000_NS6detail17trampoline_kernelINS0_13select_configILj256ELj13ELNS0_17block_load_methodE3ELS4_3ELS4_3ELNS0_20block_scan_algorithmE0ELj4294967295EEENS1_25partition_config_selectorILNS1_17partition_subalgoE3EjNS0_10empty_typeEbEEZZNS1_14partition_implILS8_3ELb0ES6_jNS0_17counting_iteratorIjlEEPS9_SE_NS0_5tupleIJPjSE_EEENSF_IJSE_SE_EEES9_SG_JZNS1_25segmented_radix_sort_implINS0_14default_configELb1EPKlPlSM_SN_N2at6native12_GLOBAL__N_18offset_tEEE10hipError_tPvRmT1_PNSt15iterator_traitsISV_E10value_typeET2_T3_PNSW_IS11_E10value_typeET4_jRbjT5_S17_jjP12ihipStream_tbEUljE_EEESS_ST_SU_S11_S15_S17_T6_T7_T9_mT8_S19_bDpT10_ENKUlT_T0_E_clISt17integral_constantIbLb0EES1M_EEDaS1H_S1I_EUlS1H_E_NS1_11comp_targetILNS1_3genE8ELNS1_11target_archE1030ELNS1_3gpuE2ELNS1_3repE0EEENS1_30default_config_static_selectorELNS0_4arch9wavefront6targetE0EEEvSV_,"axG",@progbits,_ZN7rocprim17ROCPRIM_400000_NS6detail17trampoline_kernelINS0_13select_configILj256ELj13ELNS0_17block_load_methodE3ELS4_3ELS4_3ELNS0_20block_scan_algorithmE0ELj4294967295EEENS1_25partition_config_selectorILNS1_17partition_subalgoE3EjNS0_10empty_typeEbEEZZNS1_14partition_implILS8_3ELb0ES6_jNS0_17counting_iteratorIjlEEPS9_SE_NS0_5tupleIJPjSE_EEENSF_IJSE_SE_EEES9_SG_JZNS1_25segmented_radix_sort_implINS0_14default_configELb1EPKlPlSM_SN_N2at6native12_GLOBAL__N_18offset_tEEE10hipError_tPvRmT1_PNSt15iterator_traitsISV_E10value_typeET2_T3_PNSW_IS11_E10value_typeET4_jRbjT5_S17_jjP12ihipStream_tbEUljE_EEESS_ST_SU_S11_S15_S17_T6_T7_T9_mT8_S19_bDpT10_ENKUlT_T0_E_clISt17integral_constantIbLb0EES1M_EEDaS1H_S1I_EUlS1H_E_NS1_11comp_targetILNS1_3genE8ELNS1_11target_archE1030ELNS1_3gpuE2ELNS1_3repE0EEENS1_30default_config_static_selectorELNS0_4arch9wavefront6targetE0EEEvSV_,comdat
	.globl	_ZN7rocprim17ROCPRIM_400000_NS6detail17trampoline_kernelINS0_13select_configILj256ELj13ELNS0_17block_load_methodE3ELS4_3ELS4_3ELNS0_20block_scan_algorithmE0ELj4294967295EEENS1_25partition_config_selectorILNS1_17partition_subalgoE3EjNS0_10empty_typeEbEEZZNS1_14partition_implILS8_3ELb0ES6_jNS0_17counting_iteratorIjlEEPS9_SE_NS0_5tupleIJPjSE_EEENSF_IJSE_SE_EEES9_SG_JZNS1_25segmented_radix_sort_implINS0_14default_configELb1EPKlPlSM_SN_N2at6native12_GLOBAL__N_18offset_tEEE10hipError_tPvRmT1_PNSt15iterator_traitsISV_E10value_typeET2_T3_PNSW_IS11_E10value_typeET4_jRbjT5_S17_jjP12ihipStream_tbEUljE_EEESS_ST_SU_S11_S15_S17_T6_T7_T9_mT8_S19_bDpT10_ENKUlT_T0_E_clISt17integral_constantIbLb0EES1M_EEDaS1H_S1I_EUlS1H_E_NS1_11comp_targetILNS1_3genE8ELNS1_11target_archE1030ELNS1_3gpuE2ELNS1_3repE0EEENS1_30default_config_static_selectorELNS0_4arch9wavefront6targetE0EEEvSV_ ; -- Begin function _ZN7rocprim17ROCPRIM_400000_NS6detail17trampoline_kernelINS0_13select_configILj256ELj13ELNS0_17block_load_methodE3ELS4_3ELS4_3ELNS0_20block_scan_algorithmE0ELj4294967295EEENS1_25partition_config_selectorILNS1_17partition_subalgoE3EjNS0_10empty_typeEbEEZZNS1_14partition_implILS8_3ELb0ES6_jNS0_17counting_iteratorIjlEEPS9_SE_NS0_5tupleIJPjSE_EEENSF_IJSE_SE_EEES9_SG_JZNS1_25segmented_radix_sort_implINS0_14default_configELb1EPKlPlSM_SN_N2at6native12_GLOBAL__N_18offset_tEEE10hipError_tPvRmT1_PNSt15iterator_traitsISV_E10value_typeET2_T3_PNSW_IS11_E10value_typeET4_jRbjT5_S17_jjP12ihipStream_tbEUljE_EEESS_ST_SU_S11_S15_S17_T6_T7_T9_mT8_S19_bDpT10_ENKUlT_T0_E_clISt17integral_constantIbLb0EES1M_EEDaS1H_S1I_EUlS1H_E_NS1_11comp_targetILNS1_3genE8ELNS1_11target_archE1030ELNS1_3gpuE2ELNS1_3repE0EEENS1_30default_config_static_selectorELNS0_4arch9wavefront6targetE0EEEvSV_
	.p2align	8
	.type	_ZN7rocprim17ROCPRIM_400000_NS6detail17trampoline_kernelINS0_13select_configILj256ELj13ELNS0_17block_load_methodE3ELS4_3ELS4_3ELNS0_20block_scan_algorithmE0ELj4294967295EEENS1_25partition_config_selectorILNS1_17partition_subalgoE3EjNS0_10empty_typeEbEEZZNS1_14partition_implILS8_3ELb0ES6_jNS0_17counting_iteratorIjlEEPS9_SE_NS0_5tupleIJPjSE_EEENSF_IJSE_SE_EEES9_SG_JZNS1_25segmented_radix_sort_implINS0_14default_configELb1EPKlPlSM_SN_N2at6native12_GLOBAL__N_18offset_tEEE10hipError_tPvRmT1_PNSt15iterator_traitsISV_E10value_typeET2_T3_PNSW_IS11_E10value_typeET4_jRbjT5_S17_jjP12ihipStream_tbEUljE_EEESS_ST_SU_S11_S15_S17_T6_T7_T9_mT8_S19_bDpT10_ENKUlT_T0_E_clISt17integral_constantIbLb0EES1M_EEDaS1H_S1I_EUlS1H_E_NS1_11comp_targetILNS1_3genE8ELNS1_11target_archE1030ELNS1_3gpuE2ELNS1_3repE0EEENS1_30default_config_static_selectorELNS0_4arch9wavefront6targetE0EEEvSV_,@function
_ZN7rocprim17ROCPRIM_400000_NS6detail17trampoline_kernelINS0_13select_configILj256ELj13ELNS0_17block_load_methodE3ELS4_3ELS4_3ELNS0_20block_scan_algorithmE0ELj4294967295EEENS1_25partition_config_selectorILNS1_17partition_subalgoE3EjNS0_10empty_typeEbEEZZNS1_14partition_implILS8_3ELb0ES6_jNS0_17counting_iteratorIjlEEPS9_SE_NS0_5tupleIJPjSE_EEENSF_IJSE_SE_EEES9_SG_JZNS1_25segmented_radix_sort_implINS0_14default_configELb1EPKlPlSM_SN_N2at6native12_GLOBAL__N_18offset_tEEE10hipError_tPvRmT1_PNSt15iterator_traitsISV_E10value_typeET2_T3_PNSW_IS11_E10value_typeET4_jRbjT5_S17_jjP12ihipStream_tbEUljE_EEESS_ST_SU_S11_S15_S17_T6_T7_T9_mT8_S19_bDpT10_ENKUlT_T0_E_clISt17integral_constantIbLb0EES1M_EEDaS1H_S1I_EUlS1H_E_NS1_11comp_targetILNS1_3genE8ELNS1_11target_archE1030ELNS1_3gpuE2ELNS1_3repE0EEENS1_30default_config_static_selectorELNS0_4arch9wavefront6targetE0EEEvSV_: ; @_ZN7rocprim17ROCPRIM_400000_NS6detail17trampoline_kernelINS0_13select_configILj256ELj13ELNS0_17block_load_methodE3ELS4_3ELS4_3ELNS0_20block_scan_algorithmE0ELj4294967295EEENS1_25partition_config_selectorILNS1_17partition_subalgoE3EjNS0_10empty_typeEbEEZZNS1_14partition_implILS8_3ELb0ES6_jNS0_17counting_iteratorIjlEEPS9_SE_NS0_5tupleIJPjSE_EEENSF_IJSE_SE_EEES9_SG_JZNS1_25segmented_radix_sort_implINS0_14default_configELb1EPKlPlSM_SN_N2at6native12_GLOBAL__N_18offset_tEEE10hipError_tPvRmT1_PNSt15iterator_traitsISV_E10value_typeET2_T3_PNSW_IS11_E10value_typeET4_jRbjT5_S17_jjP12ihipStream_tbEUljE_EEESS_ST_SU_S11_S15_S17_T6_T7_T9_mT8_S19_bDpT10_ENKUlT_T0_E_clISt17integral_constantIbLb0EES1M_EEDaS1H_S1I_EUlS1H_E_NS1_11comp_targetILNS1_3genE8ELNS1_11target_archE1030ELNS1_3gpuE2ELNS1_3repE0EEENS1_30default_config_static_selectorELNS0_4arch9wavefront6targetE0EEEvSV_
; %bb.0:
	.section	.rodata,"a",@progbits
	.p2align	6, 0x0
	.amdhsa_kernel _ZN7rocprim17ROCPRIM_400000_NS6detail17trampoline_kernelINS0_13select_configILj256ELj13ELNS0_17block_load_methodE3ELS4_3ELS4_3ELNS0_20block_scan_algorithmE0ELj4294967295EEENS1_25partition_config_selectorILNS1_17partition_subalgoE3EjNS0_10empty_typeEbEEZZNS1_14partition_implILS8_3ELb0ES6_jNS0_17counting_iteratorIjlEEPS9_SE_NS0_5tupleIJPjSE_EEENSF_IJSE_SE_EEES9_SG_JZNS1_25segmented_radix_sort_implINS0_14default_configELb1EPKlPlSM_SN_N2at6native12_GLOBAL__N_18offset_tEEE10hipError_tPvRmT1_PNSt15iterator_traitsISV_E10value_typeET2_T3_PNSW_IS11_E10value_typeET4_jRbjT5_S17_jjP12ihipStream_tbEUljE_EEESS_ST_SU_S11_S15_S17_T6_T7_T9_mT8_S19_bDpT10_ENKUlT_T0_E_clISt17integral_constantIbLb0EES1M_EEDaS1H_S1I_EUlS1H_E_NS1_11comp_targetILNS1_3genE8ELNS1_11target_archE1030ELNS1_3gpuE2ELNS1_3repE0EEENS1_30default_config_static_selectorELNS0_4arch9wavefront6targetE0EEEvSV_
		.amdhsa_group_segment_fixed_size 0
		.amdhsa_private_segment_fixed_size 0
		.amdhsa_kernarg_size 144
		.amdhsa_user_sgpr_count 15
		.amdhsa_user_sgpr_dispatch_ptr 0
		.amdhsa_user_sgpr_queue_ptr 0
		.amdhsa_user_sgpr_kernarg_segment_ptr 1
		.amdhsa_user_sgpr_dispatch_id 0
		.amdhsa_user_sgpr_private_segment_size 0
		.amdhsa_wavefront_size32 1
		.amdhsa_uses_dynamic_stack 0
		.amdhsa_enable_private_segment 0
		.amdhsa_system_sgpr_workgroup_id_x 1
		.amdhsa_system_sgpr_workgroup_id_y 0
		.amdhsa_system_sgpr_workgroup_id_z 0
		.amdhsa_system_sgpr_workgroup_info 0
		.amdhsa_system_vgpr_workitem_id 0
		.amdhsa_next_free_vgpr 1
		.amdhsa_next_free_sgpr 1
		.amdhsa_reserve_vcc 0
		.amdhsa_float_round_mode_32 0
		.amdhsa_float_round_mode_16_64 0
		.amdhsa_float_denorm_mode_32 3
		.amdhsa_float_denorm_mode_16_64 3
		.amdhsa_dx10_clamp 1
		.amdhsa_ieee_mode 1
		.amdhsa_fp16_overflow 0
		.amdhsa_workgroup_processor_mode 1
		.amdhsa_memory_ordered 1
		.amdhsa_forward_progress 0
		.amdhsa_shared_vgpr_count 0
		.amdhsa_exception_fp_ieee_invalid_op 0
		.amdhsa_exception_fp_denorm_src 0
		.amdhsa_exception_fp_ieee_div_zero 0
		.amdhsa_exception_fp_ieee_overflow 0
		.amdhsa_exception_fp_ieee_underflow 0
		.amdhsa_exception_fp_ieee_inexact 0
		.amdhsa_exception_int_div_zero 0
	.end_amdhsa_kernel
	.section	.text._ZN7rocprim17ROCPRIM_400000_NS6detail17trampoline_kernelINS0_13select_configILj256ELj13ELNS0_17block_load_methodE3ELS4_3ELS4_3ELNS0_20block_scan_algorithmE0ELj4294967295EEENS1_25partition_config_selectorILNS1_17partition_subalgoE3EjNS0_10empty_typeEbEEZZNS1_14partition_implILS8_3ELb0ES6_jNS0_17counting_iteratorIjlEEPS9_SE_NS0_5tupleIJPjSE_EEENSF_IJSE_SE_EEES9_SG_JZNS1_25segmented_radix_sort_implINS0_14default_configELb1EPKlPlSM_SN_N2at6native12_GLOBAL__N_18offset_tEEE10hipError_tPvRmT1_PNSt15iterator_traitsISV_E10value_typeET2_T3_PNSW_IS11_E10value_typeET4_jRbjT5_S17_jjP12ihipStream_tbEUljE_EEESS_ST_SU_S11_S15_S17_T6_T7_T9_mT8_S19_bDpT10_ENKUlT_T0_E_clISt17integral_constantIbLb0EES1M_EEDaS1H_S1I_EUlS1H_E_NS1_11comp_targetILNS1_3genE8ELNS1_11target_archE1030ELNS1_3gpuE2ELNS1_3repE0EEENS1_30default_config_static_selectorELNS0_4arch9wavefront6targetE0EEEvSV_,"axG",@progbits,_ZN7rocprim17ROCPRIM_400000_NS6detail17trampoline_kernelINS0_13select_configILj256ELj13ELNS0_17block_load_methodE3ELS4_3ELS4_3ELNS0_20block_scan_algorithmE0ELj4294967295EEENS1_25partition_config_selectorILNS1_17partition_subalgoE3EjNS0_10empty_typeEbEEZZNS1_14partition_implILS8_3ELb0ES6_jNS0_17counting_iteratorIjlEEPS9_SE_NS0_5tupleIJPjSE_EEENSF_IJSE_SE_EEES9_SG_JZNS1_25segmented_radix_sort_implINS0_14default_configELb1EPKlPlSM_SN_N2at6native12_GLOBAL__N_18offset_tEEE10hipError_tPvRmT1_PNSt15iterator_traitsISV_E10value_typeET2_T3_PNSW_IS11_E10value_typeET4_jRbjT5_S17_jjP12ihipStream_tbEUljE_EEESS_ST_SU_S11_S15_S17_T6_T7_T9_mT8_S19_bDpT10_ENKUlT_T0_E_clISt17integral_constantIbLb0EES1M_EEDaS1H_S1I_EUlS1H_E_NS1_11comp_targetILNS1_3genE8ELNS1_11target_archE1030ELNS1_3gpuE2ELNS1_3repE0EEENS1_30default_config_static_selectorELNS0_4arch9wavefront6targetE0EEEvSV_,comdat
.Lfunc_end679:
	.size	_ZN7rocprim17ROCPRIM_400000_NS6detail17trampoline_kernelINS0_13select_configILj256ELj13ELNS0_17block_load_methodE3ELS4_3ELS4_3ELNS0_20block_scan_algorithmE0ELj4294967295EEENS1_25partition_config_selectorILNS1_17partition_subalgoE3EjNS0_10empty_typeEbEEZZNS1_14partition_implILS8_3ELb0ES6_jNS0_17counting_iteratorIjlEEPS9_SE_NS0_5tupleIJPjSE_EEENSF_IJSE_SE_EEES9_SG_JZNS1_25segmented_radix_sort_implINS0_14default_configELb1EPKlPlSM_SN_N2at6native12_GLOBAL__N_18offset_tEEE10hipError_tPvRmT1_PNSt15iterator_traitsISV_E10value_typeET2_T3_PNSW_IS11_E10value_typeET4_jRbjT5_S17_jjP12ihipStream_tbEUljE_EEESS_ST_SU_S11_S15_S17_T6_T7_T9_mT8_S19_bDpT10_ENKUlT_T0_E_clISt17integral_constantIbLb0EES1M_EEDaS1H_S1I_EUlS1H_E_NS1_11comp_targetILNS1_3genE8ELNS1_11target_archE1030ELNS1_3gpuE2ELNS1_3repE0EEENS1_30default_config_static_selectorELNS0_4arch9wavefront6targetE0EEEvSV_, .Lfunc_end679-_ZN7rocprim17ROCPRIM_400000_NS6detail17trampoline_kernelINS0_13select_configILj256ELj13ELNS0_17block_load_methodE3ELS4_3ELS4_3ELNS0_20block_scan_algorithmE0ELj4294967295EEENS1_25partition_config_selectorILNS1_17partition_subalgoE3EjNS0_10empty_typeEbEEZZNS1_14partition_implILS8_3ELb0ES6_jNS0_17counting_iteratorIjlEEPS9_SE_NS0_5tupleIJPjSE_EEENSF_IJSE_SE_EEES9_SG_JZNS1_25segmented_radix_sort_implINS0_14default_configELb1EPKlPlSM_SN_N2at6native12_GLOBAL__N_18offset_tEEE10hipError_tPvRmT1_PNSt15iterator_traitsISV_E10value_typeET2_T3_PNSW_IS11_E10value_typeET4_jRbjT5_S17_jjP12ihipStream_tbEUljE_EEESS_ST_SU_S11_S15_S17_T6_T7_T9_mT8_S19_bDpT10_ENKUlT_T0_E_clISt17integral_constantIbLb0EES1M_EEDaS1H_S1I_EUlS1H_E_NS1_11comp_targetILNS1_3genE8ELNS1_11target_archE1030ELNS1_3gpuE2ELNS1_3repE0EEENS1_30default_config_static_selectorELNS0_4arch9wavefront6targetE0EEEvSV_
                                        ; -- End function
	.section	.AMDGPU.csdata,"",@progbits
; Kernel info:
; codeLenInByte = 0
; NumSgprs: 0
; NumVgprs: 0
; ScratchSize: 0
; MemoryBound: 0
; FloatMode: 240
; IeeeMode: 1
; LDSByteSize: 0 bytes/workgroup (compile time only)
; SGPRBlocks: 0
; VGPRBlocks: 0
; NumSGPRsForWavesPerEU: 1
; NumVGPRsForWavesPerEU: 1
; Occupancy: 16
; WaveLimiterHint : 0
; COMPUTE_PGM_RSRC2:SCRATCH_EN: 0
; COMPUTE_PGM_RSRC2:USER_SGPR: 15
; COMPUTE_PGM_RSRC2:TRAP_HANDLER: 0
; COMPUTE_PGM_RSRC2:TGID_X_EN: 1
; COMPUTE_PGM_RSRC2:TGID_Y_EN: 0
; COMPUTE_PGM_RSRC2:TGID_Z_EN: 0
; COMPUTE_PGM_RSRC2:TIDIG_COMP_CNT: 0
	.section	.text._ZN7rocprim17ROCPRIM_400000_NS6detail17trampoline_kernelINS0_13select_configILj256ELj13ELNS0_17block_load_methodE3ELS4_3ELS4_3ELNS0_20block_scan_algorithmE0ELj4294967295EEENS1_25partition_config_selectorILNS1_17partition_subalgoE3EjNS0_10empty_typeEbEEZZNS1_14partition_implILS8_3ELb0ES6_jNS0_17counting_iteratorIjlEEPS9_SE_NS0_5tupleIJPjSE_EEENSF_IJSE_SE_EEES9_SG_JZNS1_25segmented_radix_sort_implINS0_14default_configELb1EPKlPlSM_SN_N2at6native12_GLOBAL__N_18offset_tEEE10hipError_tPvRmT1_PNSt15iterator_traitsISV_E10value_typeET2_T3_PNSW_IS11_E10value_typeET4_jRbjT5_S17_jjP12ihipStream_tbEUljE_EEESS_ST_SU_S11_S15_S17_T6_T7_T9_mT8_S19_bDpT10_ENKUlT_T0_E_clISt17integral_constantIbLb1EES1M_EEDaS1H_S1I_EUlS1H_E_NS1_11comp_targetILNS1_3genE0ELNS1_11target_archE4294967295ELNS1_3gpuE0ELNS1_3repE0EEENS1_30default_config_static_selectorELNS0_4arch9wavefront6targetE0EEEvSV_,"axG",@progbits,_ZN7rocprim17ROCPRIM_400000_NS6detail17trampoline_kernelINS0_13select_configILj256ELj13ELNS0_17block_load_methodE3ELS4_3ELS4_3ELNS0_20block_scan_algorithmE0ELj4294967295EEENS1_25partition_config_selectorILNS1_17partition_subalgoE3EjNS0_10empty_typeEbEEZZNS1_14partition_implILS8_3ELb0ES6_jNS0_17counting_iteratorIjlEEPS9_SE_NS0_5tupleIJPjSE_EEENSF_IJSE_SE_EEES9_SG_JZNS1_25segmented_radix_sort_implINS0_14default_configELb1EPKlPlSM_SN_N2at6native12_GLOBAL__N_18offset_tEEE10hipError_tPvRmT1_PNSt15iterator_traitsISV_E10value_typeET2_T3_PNSW_IS11_E10value_typeET4_jRbjT5_S17_jjP12ihipStream_tbEUljE_EEESS_ST_SU_S11_S15_S17_T6_T7_T9_mT8_S19_bDpT10_ENKUlT_T0_E_clISt17integral_constantIbLb1EES1M_EEDaS1H_S1I_EUlS1H_E_NS1_11comp_targetILNS1_3genE0ELNS1_11target_archE4294967295ELNS1_3gpuE0ELNS1_3repE0EEENS1_30default_config_static_selectorELNS0_4arch9wavefront6targetE0EEEvSV_,comdat
	.globl	_ZN7rocprim17ROCPRIM_400000_NS6detail17trampoline_kernelINS0_13select_configILj256ELj13ELNS0_17block_load_methodE3ELS4_3ELS4_3ELNS0_20block_scan_algorithmE0ELj4294967295EEENS1_25partition_config_selectorILNS1_17partition_subalgoE3EjNS0_10empty_typeEbEEZZNS1_14partition_implILS8_3ELb0ES6_jNS0_17counting_iteratorIjlEEPS9_SE_NS0_5tupleIJPjSE_EEENSF_IJSE_SE_EEES9_SG_JZNS1_25segmented_radix_sort_implINS0_14default_configELb1EPKlPlSM_SN_N2at6native12_GLOBAL__N_18offset_tEEE10hipError_tPvRmT1_PNSt15iterator_traitsISV_E10value_typeET2_T3_PNSW_IS11_E10value_typeET4_jRbjT5_S17_jjP12ihipStream_tbEUljE_EEESS_ST_SU_S11_S15_S17_T6_T7_T9_mT8_S19_bDpT10_ENKUlT_T0_E_clISt17integral_constantIbLb1EES1M_EEDaS1H_S1I_EUlS1H_E_NS1_11comp_targetILNS1_3genE0ELNS1_11target_archE4294967295ELNS1_3gpuE0ELNS1_3repE0EEENS1_30default_config_static_selectorELNS0_4arch9wavefront6targetE0EEEvSV_ ; -- Begin function _ZN7rocprim17ROCPRIM_400000_NS6detail17trampoline_kernelINS0_13select_configILj256ELj13ELNS0_17block_load_methodE3ELS4_3ELS4_3ELNS0_20block_scan_algorithmE0ELj4294967295EEENS1_25partition_config_selectorILNS1_17partition_subalgoE3EjNS0_10empty_typeEbEEZZNS1_14partition_implILS8_3ELb0ES6_jNS0_17counting_iteratorIjlEEPS9_SE_NS0_5tupleIJPjSE_EEENSF_IJSE_SE_EEES9_SG_JZNS1_25segmented_radix_sort_implINS0_14default_configELb1EPKlPlSM_SN_N2at6native12_GLOBAL__N_18offset_tEEE10hipError_tPvRmT1_PNSt15iterator_traitsISV_E10value_typeET2_T3_PNSW_IS11_E10value_typeET4_jRbjT5_S17_jjP12ihipStream_tbEUljE_EEESS_ST_SU_S11_S15_S17_T6_T7_T9_mT8_S19_bDpT10_ENKUlT_T0_E_clISt17integral_constantIbLb1EES1M_EEDaS1H_S1I_EUlS1H_E_NS1_11comp_targetILNS1_3genE0ELNS1_11target_archE4294967295ELNS1_3gpuE0ELNS1_3repE0EEENS1_30default_config_static_selectorELNS0_4arch9wavefront6targetE0EEEvSV_
	.p2align	8
	.type	_ZN7rocprim17ROCPRIM_400000_NS6detail17trampoline_kernelINS0_13select_configILj256ELj13ELNS0_17block_load_methodE3ELS4_3ELS4_3ELNS0_20block_scan_algorithmE0ELj4294967295EEENS1_25partition_config_selectorILNS1_17partition_subalgoE3EjNS0_10empty_typeEbEEZZNS1_14partition_implILS8_3ELb0ES6_jNS0_17counting_iteratorIjlEEPS9_SE_NS0_5tupleIJPjSE_EEENSF_IJSE_SE_EEES9_SG_JZNS1_25segmented_radix_sort_implINS0_14default_configELb1EPKlPlSM_SN_N2at6native12_GLOBAL__N_18offset_tEEE10hipError_tPvRmT1_PNSt15iterator_traitsISV_E10value_typeET2_T3_PNSW_IS11_E10value_typeET4_jRbjT5_S17_jjP12ihipStream_tbEUljE_EEESS_ST_SU_S11_S15_S17_T6_T7_T9_mT8_S19_bDpT10_ENKUlT_T0_E_clISt17integral_constantIbLb1EES1M_EEDaS1H_S1I_EUlS1H_E_NS1_11comp_targetILNS1_3genE0ELNS1_11target_archE4294967295ELNS1_3gpuE0ELNS1_3repE0EEENS1_30default_config_static_selectorELNS0_4arch9wavefront6targetE0EEEvSV_,@function
_ZN7rocprim17ROCPRIM_400000_NS6detail17trampoline_kernelINS0_13select_configILj256ELj13ELNS0_17block_load_methodE3ELS4_3ELS4_3ELNS0_20block_scan_algorithmE0ELj4294967295EEENS1_25partition_config_selectorILNS1_17partition_subalgoE3EjNS0_10empty_typeEbEEZZNS1_14partition_implILS8_3ELb0ES6_jNS0_17counting_iteratorIjlEEPS9_SE_NS0_5tupleIJPjSE_EEENSF_IJSE_SE_EEES9_SG_JZNS1_25segmented_radix_sort_implINS0_14default_configELb1EPKlPlSM_SN_N2at6native12_GLOBAL__N_18offset_tEEE10hipError_tPvRmT1_PNSt15iterator_traitsISV_E10value_typeET2_T3_PNSW_IS11_E10value_typeET4_jRbjT5_S17_jjP12ihipStream_tbEUljE_EEESS_ST_SU_S11_S15_S17_T6_T7_T9_mT8_S19_bDpT10_ENKUlT_T0_E_clISt17integral_constantIbLb1EES1M_EEDaS1H_S1I_EUlS1H_E_NS1_11comp_targetILNS1_3genE0ELNS1_11target_archE4294967295ELNS1_3gpuE0ELNS1_3repE0EEENS1_30default_config_static_selectorELNS0_4arch9wavefront6targetE0EEEvSV_: ; @_ZN7rocprim17ROCPRIM_400000_NS6detail17trampoline_kernelINS0_13select_configILj256ELj13ELNS0_17block_load_methodE3ELS4_3ELS4_3ELNS0_20block_scan_algorithmE0ELj4294967295EEENS1_25partition_config_selectorILNS1_17partition_subalgoE3EjNS0_10empty_typeEbEEZZNS1_14partition_implILS8_3ELb0ES6_jNS0_17counting_iteratorIjlEEPS9_SE_NS0_5tupleIJPjSE_EEENSF_IJSE_SE_EEES9_SG_JZNS1_25segmented_radix_sort_implINS0_14default_configELb1EPKlPlSM_SN_N2at6native12_GLOBAL__N_18offset_tEEE10hipError_tPvRmT1_PNSt15iterator_traitsISV_E10value_typeET2_T3_PNSW_IS11_E10value_typeET4_jRbjT5_S17_jjP12ihipStream_tbEUljE_EEESS_ST_SU_S11_S15_S17_T6_T7_T9_mT8_S19_bDpT10_ENKUlT_T0_E_clISt17integral_constantIbLb1EES1M_EEDaS1H_S1I_EUlS1H_E_NS1_11comp_targetILNS1_3genE0ELNS1_11target_archE4294967295ELNS1_3gpuE0ELNS1_3repE0EEENS1_30default_config_static_selectorELNS0_4arch9wavefront6targetE0EEEvSV_
; %bb.0:
	.section	.rodata,"a",@progbits
	.p2align	6, 0x0
	.amdhsa_kernel _ZN7rocprim17ROCPRIM_400000_NS6detail17trampoline_kernelINS0_13select_configILj256ELj13ELNS0_17block_load_methodE3ELS4_3ELS4_3ELNS0_20block_scan_algorithmE0ELj4294967295EEENS1_25partition_config_selectorILNS1_17partition_subalgoE3EjNS0_10empty_typeEbEEZZNS1_14partition_implILS8_3ELb0ES6_jNS0_17counting_iteratorIjlEEPS9_SE_NS0_5tupleIJPjSE_EEENSF_IJSE_SE_EEES9_SG_JZNS1_25segmented_radix_sort_implINS0_14default_configELb1EPKlPlSM_SN_N2at6native12_GLOBAL__N_18offset_tEEE10hipError_tPvRmT1_PNSt15iterator_traitsISV_E10value_typeET2_T3_PNSW_IS11_E10value_typeET4_jRbjT5_S17_jjP12ihipStream_tbEUljE_EEESS_ST_SU_S11_S15_S17_T6_T7_T9_mT8_S19_bDpT10_ENKUlT_T0_E_clISt17integral_constantIbLb1EES1M_EEDaS1H_S1I_EUlS1H_E_NS1_11comp_targetILNS1_3genE0ELNS1_11target_archE4294967295ELNS1_3gpuE0ELNS1_3repE0EEENS1_30default_config_static_selectorELNS0_4arch9wavefront6targetE0EEEvSV_
		.amdhsa_group_segment_fixed_size 0
		.amdhsa_private_segment_fixed_size 0
		.amdhsa_kernarg_size 152
		.amdhsa_user_sgpr_count 15
		.amdhsa_user_sgpr_dispatch_ptr 0
		.amdhsa_user_sgpr_queue_ptr 0
		.amdhsa_user_sgpr_kernarg_segment_ptr 1
		.amdhsa_user_sgpr_dispatch_id 0
		.amdhsa_user_sgpr_private_segment_size 0
		.amdhsa_wavefront_size32 1
		.amdhsa_uses_dynamic_stack 0
		.amdhsa_enable_private_segment 0
		.amdhsa_system_sgpr_workgroup_id_x 1
		.amdhsa_system_sgpr_workgroup_id_y 0
		.amdhsa_system_sgpr_workgroup_id_z 0
		.amdhsa_system_sgpr_workgroup_info 0
		.amdhsa_system_vgpr_workitem_id 0
		.amdhsa_next_free_vgpr 1
		.amdhsa_next_free_sgpr 1
		.amdhsa_reserve_vcc 0
		.amdhsa_float_round_mode_32 0
		.amdhsa_float_round_mode_16_64 0
		.amdhsa_float_denorm_mode_32 3
		.amdhsa_float_denorm_mode_16_64 3
		.amdhsa_dx10_clamp 1
		.amdhsa_ieee_mode 1
		.amdhsa_fp16_overflow 0
		.amdhsa_workgroup_processor_mode 1
		.amdhsa_memory_ordered 1
		.amdhsa_forward_progress 0
		.amdhsa_shared_vgpr_count 0
		.amdhsa_exception_fp_ieee_invalid_op 0
		.amdhsa_exception_fp_denorm_src 0
		.amdhsa_exception_fp_ieee_div_zero 0
		.amdhsa_exception_fp_ieee_overflow 0
		.amdhsa_exception_fp_ieee_underflow 0
		.amdhsa_exception_fp_ieee_inexact 0
		.amdhsa_exception_int_div_zero 0
	.end_amdhsa_kernel
	.section	.text._ZN7rocprim17ROCPRIM_400000_NS6detail17trampoline_kernelINS0_13select_configILj256ELj13ELNS0_17block_load_methodE3ELS4_3ELS4_3ELNS0_20block_scan_algorithmE0ELj4294967295EEENS1_25partition_config_selectorILNS1_17partition_subalgoE3EjNS0_10empty_typeEbEEZZNS1_14partition_implILS8_3ELb0ES6_jNS0_17counting_iteratorIjlEEPS9_SE_NS0_5tupleIJPjSE_EEENSF_IJSE_SE_EEES9_SG_JZNS1_25segmented_radix_sort_implINS0_14default_configELb1EPKlPlSM_SN_N2at6native12_GLOBAL__N_18offset_tEEE10hipError_tPvRmT1_PNSt15iterator_traitsISV_E10value_typeET2_T3_PNSW_IS11_E10value_typeET4_jRbjT5_S17_jjP12ihipStream_tbEUljE_EEESS_ST_SU_S11_S15_S17_T6_T7_T9_mT8_S19_bDpT10_ENKUlT_T0_E_clISt17integral_constantIbLb1EES1M_EEDaS1H_S1I_EUlS1H_E_NS1_11comp_targetILNS1_3genE0ELNS1_11target_archE4294967295ELNS1_3gpuE0ELNS1_3repE0EEENS1_30default_config_static_selectorELNS0_4arch9wavefront6targetE0EEEvSV_,"axG",@progbits,_ZN7rocprim17ROCPRIM_400000_NS6detail17trampoline_kernelINS0_13select_configILj256ELj13ELNS0_17block_load_methodE3ELS4_3ELS4_3ELNS0_20block_scan_algorithmE0ELj4294967295EEENS1_25partition_config_selectorILNS1_17partition_subalgoE3EjNS0_10empty_typeEbEEZZNS1_14partition_implILS8_3ELb0ES6_jNS0_17counting_iteratorIjlEEPS9_SE_NS0_5tupleIJPjSE_EEENSF_IJSE_SE_EEES9_SG_JZNS1_25segmented_radix_sort_implINS0_14default_configELb1EPKlPlSM_SN_N2at6native12_GLOBAL__N_18offset_tEEE10hipError_tPvRmT1_PNSt15iterator_traitsISV_E10value_typeET2_T3_PNSW_IS11_E10value_typeET4_jRbjT5_S17_jjP12ihipStream_tbEUljE_EEESS_ST_SU_S11_S15_S17_T6_T7_T9_mT8_S19_bDpT10_ENKUlT_T0_E_clISt17integral_constantIbLb1EES1M_EEDaS1H_S1I_EUlS1H_E_NS1_11comp_targetILNS1_3genE0ELNS1_11target_archE4294967295ELNS1_3gpuE0ELNS1_3repE0EEENS1_30default_config_static_selectorELNS0_4arch9wavefront6targetE0EEEvSV_,comdat
.Lfunc_end680:
	.size	_ZN7rocprim17ROCPRIM_400000_NS6detail17trampoline_kernelINS0_13select_configILj256ELj13ELNS0_17block_load_methodE3ELS4_3ELS4_3ELNS0_20block_scan_algorithmE0ELj4294967295EEENS1_25partition_config_selectorILNS1_17partition_subalgoE3EjNS0_10empty_typeEbEEZZNS1_14partition_implILS8_3ELb0ES6_jNS0_17counting_iteratorIjlEEPS9_SE_NS0_5tupleIJPjSE_EEENSF_IJSE_SE_EEES9_SG_JZNS1_25segmented_radix_sort_implINS0_14default_configELb1EPKlPlSM_SN_N2at6native12_GLOBAL__N_18offset_tEEE10hipError_tPvRmT1_PNSt15iterator_traitsISV_E10value_typeET2_T3_PNSW_IS11_E10value_typeET4_jRbjT5_S17_jjP12ihipStream_tbEUljE_EEESS_ST_SU_S11_S15_S17_T6_T7_T9_mT8_S19_bDpT10_ENKUlT_T0_E_clISt17integral_constantIbLb1EES1M_EEDaS1H_S1I_EUlS1H_E_NS1_11comp_targetILNS1_3genE0ELNS1_11target_archE4294967295ELNS1_3gpuE0ELNS1_3repE0EEENS1_30default_config_static_selectorELNS0_4arch9wavefront6targetE0EEEvSV_, .Lfunc_end680-_ZN7rocprim17ROCPRIM_400000_NS6detail17trampoline_kernelINS0_13select_configILj256ELj13ELNS0_17block_load_methodE3ELS4_3ELS4_3ELNS0_20block_scan_algorithmE0ELj4294967295EEENS1_25partition_config_selectorILNS1_17partition_subalgoE3EjNS0_10empty_typeEbEEZZNS1_14partition_implILS8_3ELb0ES6_jNS0_17counting_iteratorIjlEEPS9_SE_NS0_5tupleIJPjSE_EEENSF_IJSE_SE_EEES9_SG_JZNS1_25segmented_radix_sort_implINS0_14default_configELb1EPKlPlSM_SN_N2at6native12_GLOBAL__N_18offset_tEEE10hipError_tPvRmT1_PNSt15iterator_traitsISV_E10value_typeET2_T3_PNSW_IS11_E10value_typeET4_jRbjT5_S17_jjP12ihipStream_tbEUljE_EEESS_ST_SU_S11_S15_S17_T6_T7_T9_mT8_S19_bDpT10_ENKUlT_T0_E_clISt17integral_constantIbLb1EES1M_EEDaS1H_S1I_EUlS1H_E_NS1_11comp_targetILNS1_3genE0ELNS1_11target_archE4294967295ELNS1_3gpuE0ELNS1_3repE0EEENS1_30default_config_static_selectorELNS0_4arch9wavefront6targetE0EEEvSV_
                                        ; -- End function
	.section	.AMDGPU.csdata,"",@progbits
; Kernel info:
; codeLenInByte = 0
; NumSgprs: 0
; NumVgprs: 0
; ScratchSize: 0
; MemoryBound: 0
; FloatMode: 240
; IeeeMode: 1
; LDSByteSize: 0 bytes/workgroup (compile time only)
; SGPRBlocks: 0
; VGPRBlocks: 0
; NumSGPRsForWavesPerEU: 1
; NumVGPRsForWavesPerEU: 1
; Occupancy: 16
; WaveLimiterHint : 0
; COMPUTE_PGM_RSRC2:SCRATCH_EN: 0
; COMPUTE_PGM_RSRC2:USER_SGPR: 15
; COMPUTE_PGM_RSRC2:TRAP_HANDLER: 0
; COMPUTE_PGM_RSRC2:TGID_X_EN: 1
; COMPUTE_PGM_RSRC2:TGID_Y_EN: 0
; COMPUTE_PGM_RSRC2:TGID_Z_EN: 0
; COMPUTE_PGM_RSRC2:TIDIG_COMP_CNT: 0
	.section	.text._ZN7rocprim17ROCPRIM_400000_NS6detail17trampoline_kernelINS0_13select_configILj256ELj13ELNS0_17block_load_methodE3ELS4_3ELS4_3ELNS0_20block_scan_algorithmE0ELj4294967295EEENS1_25partition_config_selectorILNS1_17partition_subalgoE3EjNS0_10empty_typeEbEEZZNS1_14partition_implILS8_3ELb0ES6_jNS0_17counting_iteratorIjlEEPS9_SE_NS0_5tupleIJPjSE_EEENSF_IJSE_SE_EEES9_SG_JZNS1_25segmented_radix_sort_implINS0_14default_configELb1EPKlPlSM_SN_N2at6native12_GLOBAL__N_18offset_tEEE10hipError_tPvRmT1_PNSt15iterator_traitsISV_E10value_typeET2_T3_PNSW_IS11_E10value_typeET4_jRbjT5_S17_jjP12ihipStream_tbEUljE_EEESS_ST_SU_S11_S15_S17_T6_T7_T9_mT8_S19_bDpT10_ENKUlT_T0_E_clISt17integral_constantIbLb1EES1M_EEDaS1H_S1I_EUlS1H_E_NS1_11comp_targetILNS1_3genE5ELNS1_11target_archE942ELNS1_3gpuE9ELNS1_3repE0EEENS1_30default_config_static_selectorELNS0_4arch9wavefront6targetE0EEEvSV_,"axG",@progbits,_ZN7rocprim17ROCPRIM_400000_NS6detail17trampoline_kernelINS0_13select_configILj256ELj13ELNS0_17block_load_methodE3ELS4_3ELS4_3ELNS0_20block_scan_algorithmE0ELj4294967295EEENS1_25partition_config_selectorILNS1_17partition_subalgoE3EjNS0_10empty_typeEbEEZZNS1_14partition_implILS8_3ELb0ES6_jNS0_17counting_iteratorIjlEEPS9_SE_NS0_5tupleIJPjSE_EEENSF_IJSE_SE_EEES9_SG_JZNS1_25segmented_radix_sort_implINS0_14default_configELb1EPKlPlSM_SN_N2at6native12_GLOBAL__N_18offset_tEEE10hipError_tPvRmT1_PNSt15iterator_traitsISV_E10value_typeET2_T3_PNSW_IS11_E10value_typeET4_jRbjT5_S17_jjP12ihipStream_tbEUljE_EEESS_ST_SU_S11_S15_S17_T6_T7_T9_mT8_S19_bDpT10_ENKUlT_T0_E_clISt17integral_constantIbLb1EES1M_EEDaS1H_S1I_EUlS1H_E_NS1_11comp_targetILNS1_3genE5ELNS1_11target_archE942ELNS1_3gpuE9ELNS1_3repE0EEENS1_30default_config_static_selectorELNS0_4arch9wavefront6targetE0EEEvSV_,comdat
	.globl	_ZN7rocprim17ROCPRIM_400000_NS6detail17trampoline_kernelINS0_13select_configILj256ELj13ELNS0_17block_load_methodE3ELS4_3ELS4_3ELNS0_20block_scan_algorithmE0ELj4294967295EEENS1_25partition_config_selectorILNS1_17partition_subalgoE3EjNS0_10empty_typeEbEEZZNS1_14partition_implILS8_3ELb0ES6_jNS0_17counting_iteratorIjlEEPS9_SE_NS0_5tupleIJPjSE_EEENSF_IJSE_SE_EEES9_SG_JZNS1_25segmented_radix_sort_implINS0_14default_configELb1EPKlPlSM_SN_N2at6native12_GLOBAL__N_18offset_tEEE10hipError_tPvRmT1_PNSt15iterator_traitsISV_E10value_typeET2_T3_PNSW_IS11_E10value_typeET4_jRbjT5_S17_jjP12ihipStream_tbEUljE_EEESS_ST_SU_S11_S15_S17_T6_T7_T9_mT8_S19_bDpT10_ENKUlT_T0_E_clISt17integral_constantIbLb1EES1M_EEDaS1H_S1I_EUlS1H_E_NS1_11comp_targetILNS1_3genE5ELNS1_11target_archE942ELNS1_3gpuE9ELNS1_3repE0EEENS1_30default_config_static_selectorELNS0_4arch9wavefront6targetE0EEEvSV_ ; -- Begin function _ZN7rocprim17ROCPRIM_400000_NS6detail17trampoline_kernelINS0_13select_configILj256ELj13ELNS0_17block_load_methodE3ELS4_3ELS4_3ELNS0_20block_scan_algorithmE0ELj4294967295EEENS1_25partition_config_selectorILNS1_17partition_subalgoE3EjNS0_10empty_typeEbEEZZNS1_14partition_implILS8_3ELb0ES6_jNS0_17counting_iteratorIjlEEPS9_SE_NS0_5tupleIJPjSE_EEENSF_IJSE_SE_EEES9_SG_JZNS1_25segmented_radix_sort_implINS0_14default_configELb1EPKlPlSM_SN_N2at6native12_GLOBAL__N_18offset_tEEE10hipError_tPvRmT1_PNSt15iterator_traitsISV_E10value_typeET2_T3_PNSW_IS11_E10value_typeET4_jRbjT5_S17_jjP12ihipStream_tbEUljE_EEESS_ST_SU_S11_S15_S17_T6_T7_T9_mT8_S19_bDpT10_ENKUlT_T0_E_clISt17integral_constantIbLb1EES1M_EEDaS1H_S1I_EUlS1H_E_NS1_11comp_targetILNS1_3genE5ELNS1_11target_archE942ELNS1_3gpuE9ELNS1_3repE0EEENS1_30default_config_static_selectorELNS0_4arch9wavefront6targetE0EEEvSV_
	.p2align	8
	.type	_ZN7rocprim17ROCPRIM_400000_NS6detail17trampoline_kernelINS0_13select_configILj256ELj13ELNS0_17block_load_methodE3ELS4_3ELS4_3ELNS0_20block_scan_algorithmE0ELj4294967295EEENS1_25partition_config_selectorILNS1_17partition_subalgoE3EjNS0_10empty_typeEbEEZZNS1_14partition_implILS8_3ELb0ES6_jNS0_17counting_iteratorIjlEEPS9_SE_NS0_5tupleIJPjSE_EEENSF_IJSE_SE_EEES9_SG_JZNS1_25segmented_radix_sort_implINS0_14default_configELb1EPKlPlSM_SN_N2at6native12_GLOBAL__N_18offset_tEEE10hipError_tPvRmT1_PNSt15iterator_traitsISV_E10value_typeET2_T3_PNSW_IS11_E10value_typeET4_jRbjT5_S17_jjP12ihipStream_tbEUljE_EEESS_ST_SU_S11_S15_S17_T6_T7_T9_mT8_S19_bDpT10_ENKUlT_T0_E_clISt17integral_constantIbLb1EES1M_EEDaS1H_S1I_EUlS1H_E_NS1_11comp_targetILNS1_3genE5ELNS1_11target_archE942ELNS1_3gpuE9ELNS1_3repE0EEENS1_30default_config_static_selectorELNS0_4arch9wavefront6targetE0EEEvSV_,@function
_ZN7rocprim17ROCPRIM_400000_NS6detail17trampoline_kernelINS0_13select_configILj256ELj13ELNS0_17block_load_methodE3ELS4_3ELS4_3ELNS0_20block_scan_algorithmE0ELj4294967295EEENS1_25partition_config_selectorILNS1_17partition_subalgoE3EjNS0_10empty_typeEbEEZZNS1_14partition_implILS8_3ELb0ES6_jNS0_17counting_iteratorIjlEEPS9_SE_NS0_5tupleIJPjSE_EEENSF_IJSE_SE_EEES9_SG_JZNS1_25segmented_radix_sort_implINS0_14default_configELb1EPKlPlSM_SN_N2at6native12_GLOBAL__N_18offset_tEEE10hipError_tPvRmT1_PNSt15iterator_traitsISV_E10value_typeET2_T3_PNSW_IS11_E10value_typeET4_jRbjT5_S17_jjP12ihipStream_tbEUljE_EEESS_ST_SU_S11_S15_S17_T6_T7_T9_mT8_S19_bDpT10_ENKUlT_T0_E_clISt17integral_constantIbLb1EES1M_EEDaS1H_S1I_EUlS1H_E_NS1_11comp_targetILNS1_3genE5ELNS1_11target_archE942ELNS1_3gpuE9ELNS1_3repE0EEENS1_30default_config_static_selectorELNS0_4arch9wavefront6targetE0EEEvSV_: ; @_ZN7rocprim17ROCPRIM_400000_NS6detail17trampoline_kernelINS0_13select_configILj256ELj13ELNS0_17block_load_methodE3ELS4_3ELS4_3ELNS0_20block_scan_algorithmE0ELj4294967295EEENS1_25partition_config_selectorILNS1_17partition_subalgoE3EjNS0_10empty_typeEbEEZZNS1_14partition_implILS8_3ELb0ES6_jNS0_17counting_iteratorIjlEEPS9_SE_NS0_5tupleIJPjSE_EEENSF_IJSE_SE_EEES9_SG_JZNS1_25segmented_radix_sort_implINS0_14default_configELb1EPKlPlSM_SN_N2at6native12_GLOBAL__N_18offset_tEEE10hipError_tPvRmT1_PNSt15iterator_traitsISV_E10value_typeET2_T3_PNSW_IS11_E10value_typeET4_jRbjT5_S17_jjP12ihipStream_tbEUljE_EEESS_ST_SU_S11_S15_S17_T6_T7_T9_mT8_S19_bDpT10_ENKUlT_T0_E_clISt17integral_constantIbLb1EES1M_EEDaS1H_S1I_EUlS1H_E_NS1_11comp_targetILNS1_3genE5ELNS1_11target_archE942ELNS1_3gpuE9ELNS1_3repE0EEENS1_30default_config_static_selectorELNS0_4arch9wavefront6targetE0EEEvSV_
; %bb.0:
	.section	.rodata,"a",@progbits
	.p2align	6, 0x0
	.amdhsa_kernel _ZN7rocprim17ROCPRIM_400000_NS6detail17trampoline_kernelINS0_13select_configILj256ELj13ELNS0_17block_load_methodE3ELS4_3ELS4_3ELNS0_20block_scan_algorithmE0ELj4294967295EEENS1_25partition_config_selectorILNS1_17partition_subalgoE3EjNS0_10empty_typeEbEEZZNS1_14partition_implILS8_3ELb0ES6_jNS0_17counting_iteratorIjlEEPS9_SE_NS0_5tupleIJPjSE_EEENSF_IJSE_SE_EEES9_SG_JZNS1_25segmented_radix_sort_implINS0_14default_configELb1EPKlPlSM_SN_N2at6native12_GLOBAL__N_18offset_tEEE10hipError_tPvRmT1_PNSt15iterator_traitsISV_E10value_typeET2_T3_PNSW_IS11_E10value_typeET4_jRbjT5_S17_jjP12ihipStream_tbEUljE_EEESS_ST_SU_S11_S15_S17_T6_T7_T9_mT8_S19_bDpT10_ENKUlT_T0_E_clISt17integral_constantIbLb1EES1M_EEDaS1H_S1I_EUlS1H_E_NS1_11comp_targetILNS1_3genE5ELNS1_11target_archE942ELNS1_3gpuE9ELNS1_3repE0EEENS1_30default_config_static_selectorELNS0_4arch9wavefront6targetE0EEEvSV_
		.amdhsa_group_segment_fixed_size 0
		.amdhsa_private_segment_fixed_size 0
		.amdhsa_kernarg_size 152
		.amdhsa_user_sgpr_count 15
		.amdhsa_user_sgpr_dispatch_ptr 0
		.amdhsa_user_sgpr_queue_ptr 0
		.amdhsa_user_sgpr_kernarg_segment_ptr 1
		.amdhsa_user_sgpr_dispatch_id 0
		.amdhsa_user_sgpr_private_segment_size 0
		.amdhsa_wavefront_size32 1
		.amdhsa_uses_dynamic_stack 0
		.amdhsa_enable_private_segment 0
		.amdhsa_system_sgpr_workgroup_id_x 1
		.amdhsa_system_sgpr_workgroup_id_y 0
		.amdhsa_system_sgpr_workgroup_id_z 0
		.amdhsa_system_sgpr_workgroup_info 0
		.amdhsa_system_vgpr_workitem_id 0
		.amdhsa_next_free_vgpr 1
		.amdhsa_next_free_sgpr 1
		.amdhsa_reserve_vcc 0
		.amdhsa_float_round_mode_32 0
		.amdhsa_float_round_mode_16_64 0
		.amdhsa_float_denorm_mode_32 3
		.amdhsa_float_denorm_mode_16_64 3
		.amdhsa_dx10_clamp 1
		.amdhsa_ieee_mode 1
		.amdhsa_fp16_overflow 0
		.amdhsa_workgroup_processor_mode 1
		.amdhsa_memory_ordered 1
		.amdhsa_forward_progress 0
		.amdhsa_shared_vgpr_count 0
		.amdhsa_exception_fp_ieee_invalid_op 0
		.amdhsa_exception_fp_denorm_src 0
		.amdhsa_exception_fp_ieee_div_zero 0
		.amdhsa_exception_fp_ieee_overflow 0
		.amdhsa_exception_fp_ieee_underflow 0
		.amdhsa_exception_fp_ieee_inexact 0
		.amdhsa_exception_int_div_zero 0
	.end_amdhsa_kernel
	.section	.text._ZN7rocprim17ROCPRIM_400000_NS6detail17trampoline_kernelINS0_13select_configILj256ELj13ELNS0_17block_load_methodE3ELS4_3ELS4_3ELNS0_20block_scan_algorithmE0ELj4294967295EEENS1_25partition_config_selectorILNS1_17partition_subalgoE3EjNS0_10empty_typeEbEEZZNS1_14partition_implILS8_3ELb0ES6_jNS0_17counting_iteratorIjlEEPS9_SE_NS0_5tupleIJPjSE_EEENSF_IJSE_SE_EEES9_SG_JZNS1_25segmented_radix_sort_implINS0_14default_configELb1EPKlPlSM_SN_N2at6native12_GLOBAL__N_18offset_tEEE10hipError_tPvRmT1_PNSt15iterator_traitsISV_E10value_typeET2_T3_PNSW_IS11_E10value_typeET4_jRbjT5_S17_jjP12ihipStream_tbEUljE_EEESS_ST_SU_S11_S15_S17_T6_T7_T9_mT8_S19_bDpT10_ENKUlT_T0_E_clISt17integral_constantIbLb1EES1M_EEDaS1H_S1I_EUlS1H_E_NS1_11comp_targetILNS1_3genE5ELNS1_11target_archE942ELNS1_3gpuE9ELNS1_3repE0EEENS1_30default_config_static_selectorELNS0_4arch9wavefront6targetE0EEEvSV_,"axG",@progbits,_ZN7rocprim17ROCPRIM_400000_NS6detail17trampoline_kernelINS0_13select_configILj256ELj13ELNS0_17block_load_methodE3ELS4_3ELS4_3ELNS0_20block_scan_algorithmE0ELj4294967295EEENS1_25partition_config_selectorILNS1_17partition_subalgoE3EjNS0_10empty_typeEbEEZZNS1_14partition_implILS8_3ELb0ES6_jNS0_17counting_iteratorIjlEEPS9_SE_NS0_5tupleIJPjSE_EEENSF_IJSE_SE_EEES9_SG_JZNS1_25segmented_radix_sort_implINS0_14default_configELb1EPKlPlSM_SN_N2at6native12_GLOBAL__N_18offset_tEEE10hipError_tPvRmT1_PNSt15iterator_traitsISV_E10value_typeET2_T3_PNSW_IS11_E10value_typeET4_jRbjT5_S17_jjP12ihipStream_tbEUljE_EEESS_ST_SU_S11_S15_S17_T6_T7_T9_mT8_S19_bDpT10_ENKUlT_T0_E_clISt17integral_constantIbLb1EES1M_EEDaS1H_S1I_EUlS1H_E_NS1_11comp_targetILNS1_3genE5ELNS1_11target_archE942ELNS1_3gpuE9ELNS1_3repE0EEENS1_30default_config_static_selectorELNS0_4arch9wavefront6targetE0EEEvSV_,comdat
.Lfunc_end681:
	.size	_ZN7rocprim17ROCPRIM_400000_NS6detail17trampoline_kernelINS0_13select_configILj256ELj13ELNS0_17block_load_methodE3ELS4_3ELS4_3ELNS0_20block_scan_algorithmE0ELj4294967295EEENS1_25partition_config_selectorILNS1_17partition_subalgoE3EjNS0_10empty_typeEbEEZZNS1_14partition_implILS8_3ELb0ES6_jNS0_17counting_iteratorIjlEEPS9_SE_NS0_5tupleIJPjSE_EEENSF_IJSE_SE_EEES9_SG_JZNS1_25segmented_radix_sort_implINS0_14default_configELb1EPKlPlSM_SN_N2at6native12_GLOBAL__N_18offset_tEEE10hipError_tPvRmT1_PNSt15iterator_traitsISV_E10value_typeET2_T3_PNSW_IS11_E10value_typeET4_jRbjT5_S17_jjP12ihipStream_tbEUljE_EEESS_ST_SU_S11_S15_S17_T6_T7_T9_mT8_S19_bDpT10_ENKUlT_T0_E_clISt17integral_constantIbLb1EES1M_EEDaS1H_S1I_EUlS1H_E_NS1_11comp_targetILNS1_3genE5ELNS1_11target_archE942ELNS1_3gpuE9ELNS1_3repE0EEENS1_30default_config_static_selectorELNS0_4arch9wavefront6targetE0EEEvSV_, .Lfunc_end681-_ZN7rocprim17ROCPRIM_400000_NS6detail17trampoline_kernelINS0_13select_configILj256ELj13ELNS0_17block_load_methodE3ELS4_3ELS4_3ELNS0_20block_scan_algorithmE0ELj4294967295EEENS1_25partition_config_selectorILNS1_17partition_subalgoE3EjNS0_10empty_typeEbEEZZNS1_14partition_implILS8_3ELb0ES6_jNS0_17counting_iteratorIjlEEPS9_SE_NS0_5tupleIJPjSE_EEENSF_IJSE_SE_EEES9_SG_JZNS1_25segmented_radix_sort_implINS0_14default_configELb1EPKlPlSM_SN_N2at6native12_GLOBAL__N_18offset_tEEE10hipError_tPvRmT1_PNSt15iterator_traitsISV_E10value_typeET2_T3_PNSW_IS11_E10value_typeET4_jRbjT5_S17_jjP12ihipStream_tbEUljE_EEESS_ST_SU_S11_S15_S17_T6_T7_T9_mT8_S19_bDpT10_ENKUlT_T0_E_clISt17integral_constantIbLb1EES1M_EEDaS1H_S1I_EUlS1H_E_NS1_11comp_targetILNS1_3genE5ELNS1_11target_archE942ELNS1_3gpuE9ELNS1_3repE0EEENS1_30default_config_static_selectorELNS0_4arch9wavefront6targetE0EEEvSV_
                                        ; -- End function
	.section	.AMDGPU.csdata,"",@progbits
; Kernel info:
; codeLenInByte = 0
; NumSgprs: 0
; NumVgprs: 0
; ScratchSize: 0
; MemoryBound: 0
; FloatMode: 240
; IeeeMode: 1
; LDSByteSize: 0 bytes/workgroup (compile time only)
; SGPRBlocks: 0
; VGPRBlocks: 0
; NumSGPRsForWavesPerEU: 1
; NumVGPRsForWavesPerEU: 1
; Occupancy: 16
; WaveLimiterHint : 0
; COMPUTE_PGM_RSRC2:SCRATCH_EN: 0
; COMPUTE_PGM_RSRC2:USER_SGPR: 15
; COMPUTE_PGM_RSRC2:TRAP_HANDLER: 0
; COMPUTE_PGM_RSRC2:TGID_X_EN: 1
; COMPUTE_PGM_RSRC2:TGID_Y_EN: 0
; COMPUTE_PGM_RSRC2:TGID_Z_EN: 0
; COMPUTE_PGM_RSRC2:TIDIG_COMP_CNT: 0
	.section	.text._ZN7rocprim17ROCPRIM_400000_NS6detail17trampoline_kernelINS0_13select_configILj256ELj13ELNS0_17block_load_methodE3ELS4_3ELS4_3ELNS0_20block_scan_algorithmE0ELj4294967295EEENS1_25partition_config_selectorILNS1_17partition_subalgoE3EjNS0_10empty_typeEbEEZZNS1_14partition_implILS8_3ELb0ES6_jNS0_17counting_iteratorIjlEEPS9_SE_NS0_5tupleIJPjSE_EEENSF_IJSE_SE_EEES9_SG_JZNS1_25segmented_radix_sort_implINS0_14default_configELb1EPKlPlSM_SN_N2at6native12_GLOBAL__N_18offset_tEEE10hipError_tPvRmT1_PNSt15iterator_traitsISV_E10value_typeET2_T3_PNSW_IS11_E10value_typeET4_jRbjT5_S17_jjP12ihipStream_tbEUljE_EEESS_ST_SU_S11_S15_S17_T6_T7_T9_mT8_S19_bDpT10_ENKUlT_T0_E_clISt17integral_constantIbLb1EES1M_EEDaS1H_S1I_EUlS1H_E_NS1_11comp_targetILNS1_3genE4ELNS1_11target_archE910ELNS1_3gpuE8ELNS1_3repE0EEENS1_30default_config_static_selectorELNS0_4arch9wavefront6targetE0EEEvSV_,"axG",@progbits,_ZN7rocprim17ROCPRIM_400000_NS6detail17trampoline_kernelINS0_13select_configILj256ELj13ELNS0_17block_load_methodE3ELS4_3ELS4_3ELNS0_20block_scan_algorithmE0ELj4294967295EEENS1_25partition_config_selectorILNS1_17partition_subalgoE3EjNS0_10empty_typeEbEEZZNS1_14partition_implILS8_3ELb0ES6_jNS0_17counting_iteratorIjlEEPS9_SE_NS0_5tupleIJPjSE_EEENSF_IJSE_SE_EEES9_SG_JZNS1_25segmented_radix_sort_implINS0_14default_configELb1EPKlPlSM_SN_N2at6native12_GLOBAL__N_18offset_tEEE10hipError_tPvRmT1_PNSt15iterator_traitsISV_E10value_typeET2_T3_PNSW_IS11_E10value_typeET4_jRbjT5_S17_jjP12ihipStream_tbEUljE_EEESS_ST_SU_S11_S15_S17_T6_T7_T9_mT8_S19_bDpT10_ENKUlT_T0_E_clISt17integral_constantIbLb1EES1M_EEDaS1H_S1I_EUlS1H_E_NS1_11comp_targetILNS1_3genE4ELNS1_11target_archE910ELNS1_3gpuE8ELNS1_3repE0EEENS1_30default_config_static_selectorELNS0_4arch9wavefront6targetE0EEEvSV_,comdat
	.globl	_ZN7rocprim17ROCPRIM_400000_NS6detail17trampoline_kernelINS0_13select_configILj256ELj13ELNS0_17block_load_methodE3ELS4_3ELS4_3ELNS0_20block_scan_algorithmE0ELj4294967295EEENS1_25partition_config_selectorILNS1_17partition_subalgoE3EjNS0_10empty_typeEbEEZZNS1_14partition_implILS8_3ELb0ES6_jNS0_17counting_iteratorIjlEEPS9_SE_NS0_5tupleIJPjSE_EEENSF_IJSE_SE_EEES9_SG_JZNS1_25segmented_radix_sort_implINS0_14default_configELb1EPKlPlSM_SN_N2at6native12_GLOBAL__N_18offset_tEEE10hipError_tPvRmT1_PNSt15iterator_traitsISV_E10value_typeET2_T3_PNSW_IS11_E10value_typeET4_jRbjT5_S17_jjP12ihipStream_tbEUljE_EEESS_ST_SU_S11_S15_S17_T6_T7_T9_mT8_S19_bDpT10_ENKUlT_T0_E_clISt17integral_constantIbLb1EES1M_EEDaS1H_S1I_EUlS1H_E_NS1_11comp_targetILNS1_3genE4ELNS1_11target_archE910ELNS1_3gpuE8ELNS1_3repE0EEENS1_30default_config_static_selectorELNS0_4arch9wavefront6targetE0EEEvSV_ ; -- Begin function _ZN7rocprim17ROCPRIM_400000_NS6detail17trampoline_kernelINS0_13select_configILj256ELj13ELNS0_17block_load_methodE3ELS4_3ELS4_3ELNS0_20block_scan_algorithmE0ELj4294967295EEENS1_25partition_config_selectorILNS1_17partition_subalgoE3EjNS0_10empty_typeEbEEZZNS1_14partition_implILS8_3ELb0ES6_jNS0_17counting_iteratorIjlEEPS9_SE_NS0_5tupleIJPjSE_EEENSF_IJSE_SE_EEES9_SG_JZNS1_25segmented_radix_sort_implINS0_14default_configELb1EPKlPlSM_SN_N2at6native12_GLOBAL__N_18offset_tEEE10hipError_tPvRmT1_PNSt15iterator_traitsISV_E10value_typeET2_T3_PNSW_IS11_E10value_typeET4_jRbjT5_S17_jjP12ihipStream_tbEUljE_EEESS_ST_SU_S11_S15_S17_T6_T7_T9_mT8_S19_bDpT10_ENKUlT_T0_E_clISt17integral_constantIbLb1EES1M_EEDaS1H_S1I_EUlS1H_E_NS1_11comp_targetILNS1_3genE4ELNS1_11target_archE910ELNS1_3gpuE8ELNS1_3repE0EEENS1_30default_config_static_selectorELNS0_4arch9wavefront6targetE0EEEvSV_
	.p2align	8
	.type	_ZN7rocprim17ROCPRIM_400000_NS6detail17trampoline_kernelINS0_13select_configILj256ELj13ELNS0_17block_load_methodE3ELS4_3ELS4_3ELNS0_20block_scan_algorithmE0ELj4294967295EEENS1_25partition_config_selectorILNS1_17partition_subalgoE3EjNS0_10empty_typeEbEEZZNS1_14partition_implILS8_3ELb0ES6_jNS0_17counting_iteratorIjlEEPS9_SE_NS0_5tupleIJPjSE_EEENSF_IJSE_SE_EEES9_SG_JZNS1_25segmented_radix_sort_implINS0_14default_configELb1EPKlPlSM_SN_N2at6native12_GLOBAL__N_18offset_tEEE10hipError_tPvRmT1_PNSt15iterator_traitsISV_E10value_typeET2_T3_PNSW_IS11_E10value_typeET4_jRbjT5_S17_jjP12ihipStream_tbEUljE_EEESS_ST_SU_S11_S15_S17_T6_T7_T9_mT8_S19_bDpT10_ENKUlT_T0_E_clISt17integral_constantIbLb1EES1M_EEDaS1H_S1I_EUlS1H_E_NS1_11comp_targetILNS1_3genE4ELNS1_11target_archE910ELNS1_3gpuE8ELNS1_3repE0EEENS1_30default_config_static_selectorELNS0_4arch9wavefront6targetE0EEEvSV_,@function
_ZN7rocprim17ROCPRIM_400000_NS6detail17trampoline_kernelINS0_13select_configILj256ELj13ELNS0_17block_load_methodE3ELS4_3ELS4_3ELNS0_20block_scan_algorithmE0ELj4294967295EEENS1_25partition_config_selectorILNS1_17partition_subalgoE3EjNS0_10empty_typeEbEEZZNS1_14partition_implILS8_3ELb0ES6_jNS0_17counting_iteratorIjlEEPS9_SE_NS0_5tupleIJPjSE_EEENSF_IJSE_SE_EEES9_SG_JZNS1_25segmented_radix_sort_implINS0_14default_configELb1EPKlPlSM_SN_N2at6native12_GLOBAL__N_18offset_tEEE10hipError_tPvRmT1_PNSt15iterator_traitsISV_E10value_typeET2_T3_PNSW_IS11_E10value_typeET4_jRbjT5_S17_jjP12ihipStream_tbEUljE_EEESS_ST_SU_S11_S15_S17_T6_T7_T9_mT8_S19_bDpT10_ENKUlT_T0_E_clISt17integral_constantIbLb1EES1M_EEDaS1H_S1I_EUlS1H_E_NS1_11comp_targetILNS1_3genE4ELNS1_11target_archE910ELNS1_3gpuE8ELNS1_3repE0EEENS1_30default_config_static_selectorELNS0_4arch9wavefront6targetE0EEEvSV_: ; @_ZN7rocprim17ROCPRIM_400000_NS6detail17trampoline_kernelINS0_13select_configILj256ELj13ELNS0_17block_load_methodE3ELS4_3ELS4_3ELNS0_20block_scan_algorithmE0ELj4294967295EEENS1_25partition_config_selectorILNS1_17partition_subalgoE3EjNS0_10empty_typeEbEEZZNS1_14partition_implILS8_3ELb0ES6_jNS0_17counting_iteratorIjlEEPS9_SE_NS0_5tupleIJPjSE_EEENSF_IJSE_SE_EEES9_SG_JZNS1_25segmented_radix_sort_implINS0_14default_configELb1EPKlPlSM_SN_N2at6native12_GLOBAL__N_18offset_tEEE10hipError_tPvRmT1_PNSt15iterator_traitsISV_E10value_typeET2_T3_PNSW_IS11_E10value_typeET4_jRbjT5_S17_jjP12ihipStream_tbEUljE_EEESS_ST_SU_S11_S15_S17_T6_T7_T9_mT8_S19_bDpT10_ENKUlT_T0_E_clISt17integral_constantIbLb1EES1M_EEDaS1H_S1I_EUlS1H_E_NS1_11comp_targetILNS1_3genE4ELNS1_11target_archE910ELNS1_3gpuE8ELNS1_3repE0EEENS1_30default_config_static_selectorELNS0_4arch9wavefront6targetE0EEEvSV_
; %bb.0:
	.section	.rodata,"a",@progbits
	.p2align	6, 0x0
	.amdhsa_kernel _ZN7rocprim17ROCPRIM_400000_NS6detail17trampoline_kernelINS0_13select_configILj256ELj13ELNS0_17block_load_methodE3ELS4_3ELS4_3ELNS0_20block_scan_algorithmE0ELj4294967295EEENS1_25partition_config_selectorILNS1_17partition_subalgoE3EjNS0_10empty_typeEbEEZZNS1_14partition_implILS8_3ELb0ES6_jNS0_17counting_iteratorIjlEEPS9_SE_NS0_5tupleIJPjSE_EEENSF_IJSE_SE_EEES9_SG_JZNS1_25segmented_radix_sort_implINS0_14default_configELb1EPKlPlSM_SN_N2at6native12_GLOBAL__N_18offset_tEEE10hipError_tPvRmT1_PNSt15iterator_traitsISV_E10value_typeET2_T3_PNSW_IS11_E10value_typeET4_jRbjT5_S17_jjP12ihipStream_tbEUljE_EEESS_ST_SU_S11_S15_S17_T6_T7_T9_mT8_S19_bDpT10_ENKUlT_T0_E_clISt17integral_constantIbLb1EES1M_EEDaS1H_S1I_EUlS1H_E_NS1_11comp_targetILNS1_3genE4ELNS1_11target_archE910ELNS1_3gpuE8ELNS1_3repE0EEENS1_30default_config_static_selectorELNS0_4arch9wavefront6targetE0EEEvSV_
		.amdhsa_group_segment_fixed_size 0
		.amdhsa_private_segment_fixed_size 0
		.amdhsa_kernarg_size 152
		.amdhsa_user_sgpr_count 15
		.amdhsa_user_sgpr_dispatch_ptr 0
		.amdhsa_user_sgpr_queue_ptr 0
		.amdhsa_user_sgpr_kernarg_segment_ptr 1
		.amdhsa_user_sgpr_dispatch_id 0
		.amdhsa_user_sgpr_private_segment_size 0
		.amdhsa_wavefront_size32 1
		.amdhsa_uses_dynamic_stack 0
		.amdhsa_enable_private_segment 0
		.amdhsa_system_sgpr_workgroup_id_x 1
		.amdhsa_system_sgpr_workgroup_id_y 0
		.amdhsa_system_sgpr_workgroup_id_z 0
		.amdhsa_system_sgpr_workgroup_info 0
		.amdhsa_system_vgpr_workitem_id 0
		.amdhsa_next_free_vgpr 1
		.amdhsa_next_free_sgpr 1
		.amdhsa_reserve_vcc 0
		.amdhsa_float_round_mode_32 0
		.amdhsa_float_round_mode_16_64 0
		.amdhsa_float_denorm_mode_32 3
		.amdhsa_float_denorm_mode_16_64 3
		.amdhsa_dx10_clamp 1
		.amdhsa_ieee_mode 1
		.amdhsa_fp16_overflow 0
		.amdhsa_workgroup_processor_mode 1
		.amdhsa_memory_ordered 1
		.amdhsa_forward_progress 0
		.amdhsa_shared_vgpr_count 0
		.amdhsa_exception_fp_ieee_invalid_op 0
		.amdhsa_exception_fp_denorm_src 0
		.amdhsa_exception_fp_ieee_div_zero 0
		.amdhsa_exception_fp_ieee_overflow 0
		.amdhsa_exception_fp_ieee_underflow 0
		.amdhsa_exception_fp_ieee_inexact 0
		.amdhsa_exception_int_div_zero 0
	.end_amdhsa_kernel
	.section	.text._ZN7rocprim17ROCPRIM_400000_NS6detail17trampoline_kernelINS0_13select_configILj256ELj13ELNS0_17block_load_methodE3ELS4_3ELS4_3ELNS0_20block_scan_algorithmE0ELj4294967295EEENS1_25partition_config_selectorILNS1_17partition_subalgoE3EjNS0_10empty_typeEbEEZZNS1_14partition_implILS8_3ELb0ES6_jNS0_17counting_iteratorIjlEEPS9_SE_NS0_5tupleIJPjSE_EEENSF_IJSE_SE_EEES9_SG_JZNS1_25segmented_radix_sort_implINS0_14default_configELb1EPKlPlSM_SN_N2at6native12_GLOBAL__N_18offset_tEEE10hipError_tPvRmT1_PNSt15iterator_traitsISV_E10value_typeET2_T3_PNSW_IS11_E10value_typeET4_jRbjT5_S17_jjP12ihipStream_tbEUljE_EEESS_ST_SU_S11_S15_S17_T6_T7_T9_mT8_S19_bDpT10_ENKUlT_T0_E_clISt17integral_constantIbLb1EES1M_EEDaS1H_S1I_EUlS1H_E_NS1_11comp_targetILNS1_3genE4ELNS1_11target_archE910ELNS1_3gpuE8ELNS1_3repE0EEENS1_30default_config_static_selectorELNS0_4arch9wavefront6targetE0EEEvSV_,"axG",@progbits,_ZN7rocprim17ROCPRIM_400000_NS6detail17trampoline_kernelINS0_13select_configILj256ELj13ELNS0_17block_load_methodE3ELS4_3ELS4_3ELNS0_20block_scan_algorithmE0ELj4294967295EEENS1_25partition_config_selectorILNS1_17partition_subalgoE3EjNS0_10empty_typeEbEEZZNS1_14partition_implILS8_3ELb0ES6_jNS0_17counting_iteratorIjlEEPS9_SE_NS0_5tupleIJPjSE_EEENSF_IJSE_SE_EEES9_SG_JZNS1_25segmented_radix_sort_implINS0_14default_configELb1EPKlPlSM_SN_N2at6native12_GLOBAL__N_18offset_tEEE10hipError_tPvRmT1_PNSt15iterator_traitsISV_E10value_typeET2_T3_PNSW_IS11_E10value_typeET4_jRbjT5_S17_jjP12ihipStream_tbEUljE_EEESS_ST_SU_S11_S15_S17_T6_T7_T9_mT8_S19_bDpT10_ENKUlT_T0_E_clISt17integral_constantIbLb1EES1M_EEDaS1H_S1I_EUlS1H_E_NS1_11comp_targetILNS1_3genE4ELNS1_11target_archE910ELNS1_3gpuE8ELNS1_3repE0EEENS1_30default_config_static_selectorELNS0_4arch9wavefront6targetE0EEEvSV_,comdat
.Lfunc_end682:
	.size	_ZN7rocprim17ROCPRIM_400000_NS6detail17trampoline_kernelINS0_13select_configILj256ELj13ELNS0_17block_load_methodE3ELS4_3ELS4_3ELNS0_20block_scan_algorithmE0ELj4294967295EEENS1_25partition_config_selectorILNS1_17partition_subalgoE3EjNS0_10empty_typeEbEEZZNS1_14partition_implILS8_3ELb0ES6_jNS0_17counting_iteratorIjlEEPS9_SE_NS0_5tupleIJPjSE_EEENSF_IJSE_SE_EEES9_SG_JZNS1_25segmented_radix_sort_implINS0_14default_configELb1EPKlPlSM_SN_N2at6native12_GLOBAL__N_18offset_tEEE10hipError_tPvRmT1_PNSt15iterator_traitsISV_E10value_typeET2_T3_PNSW_IS11_E10value_typeET4_jRbjT5_S17_jjP12ihipStream_tbEUljE_EEESS_ST_SU_S11_S15_S17_T6_T7_T9_mT8_S19_bDpT10_ENKUlT_T0_E_clISt17integral_constantIbLb1EES1M_EEDaS1H_S1I_EUlS1H_E_NS1_11comp_targetILNS1_3genE4ELNS1_11target_archE910ELNS1_3gpuE8ELNS1_3repE0EEENS1_30default_config_static_selectorELNS0_4arch9wavefront6targetE0EEEvSV_, .Lfunc_end682-_ZN7rocprim17ROCPRIM_400000_NS6detail17trampoline_kernelINS0_13select_configILj256ELj13ELNS0_17block_load_methodE3ELS4_3ELS4_3ELNS0_20block_scan_algorithmE0ELj4294967295EEENS1_25partition_config_selectorILNS1_17partition_subalgoE3EjNS0_10empty_typeEbEEZZNS1_14partition_implILS8_3ELb0ES6_jNS0_17counting_iteratorIjlEEPS9_SE_NS0_5tupleIJPjSE_EEENSF_IJSE_SE_EEES9_SG_JZNS1_25segmented_radix_sort_implINS0_14default_configELb1EPKlPlSM_SN_N2at6native12_GLOBAL__N_18offset_tEEE10hipError_tPvRmT1_PNSt15iterator_traitsISV_E10value_typeET2_T3_PNSW_IS11_E10value_typeET4_jRbjT5_S17_jjP12ihipStream_tbEUljE_EEESS_ST_SU_S11_S15_S17_T6_T7_T9_mT8_S19_bDpT10_ENKUlT_T0_E_clISt17integral_constantIbLb1EES1M_EEDaS1H_S1I_EUlS1H_E_NS1_11comp_targetILNS1_3genE4ELNS1_11target_archE910ELNS1_3gpuE8ELNS1_3repE0EEENS1_30default_config_static_selectorELNS0_4arch9wavefront6targetE0EEEvSV_
                                        ; -- End function
	.section	.AMDGPU.csdata,"",@progbits
; Kernel info:
; codeLenInByte = 0
; NumSgprs: 0
; NumVgprs: 0
; ScratchSize: 0
; MemoryBound: 0
; FloatMode: 240
; IeeeMode: 1
; LDSByteSize: 0 bytes/workgroup (compile time only)
; SGPRBlocks: 0
; VGPRBlocks: 0
; NumSGPRsForWavesPerEU: 1
; NumVGPRsForWavesPerEU: 1
; Occupancy: 16
; WaveLimiterHint : 0
; COMPUTE_PGM_RSRC2:SCRATCH_EN: 0
; COMPUTE_PGM_RSRC2:USER_SGPR: 15
; COMPUTE_PGM_RSRC2:TRAP_HANDLER: 0
; COMPUTE_PGM_RSRC2:TGID_X_EN: 1
; COMPUTE_PGM_RSRC2:TGID_Y_EN: 0
; COMPUTE_PGM_RSRC2:TGID_Z_EN: 0
; COMPUTE_PGM_RSRC2:TIDIG_COMP_CNT: 0
	.section	.text._ZN7rocprim17ROCPRIM_400000_NS6detail17trampoline_kernelINS0_13select_configILj256ELj13ELNS0_17block_load_methodE3ELS4_3ELS4_3ELNS0_20block_scan_algorithmE0ELj4294967295EEENS1_25partition_config_selectorILNS1_17partition_subalgoE3EjNS0_10empty_typeEbEEZZNS1_14partition_implILS8_3ELb0ES6_jNS0_17counting_iteratorIjlEEPS9_SE_NS0_5tupleIJPjSE_EEENSF_IJSE_SE_EEES9_SG_JZNS1_25segmented_radix_sort_implINS0_14default_configELb1EPKlPlSM_SN_N2at6native12_GLOBAL__N_18offset_tEEE10hipError_tPvRmT1_PNSt15iterator_traitsISV_E10value_typeET2_T3_PNSW_IS11_E10value_typeET4_jRbjT5_S17_jjP12ihipStream_tbEUljE_EEESS_ST_SU_S11_S15_S17_T6_T7_T9_mT8_S19_bDpT10_ENKUlT_T0_E_clISt17integral_constantIbLb1EES1M_EEDaS1H_S1I_EUlS1H_E_NS1_11comp_targetILNS1_3genE3ELNS1_11target_archE908ELNS1_3gpuE7ELNS1_3repE0EEENS1_30default_config_static_selectorELNS0_4arch9wavefront6targetE0EEEvSV_,"axG",@progbits,_ZN7rocprim17ROCPRIM_400000_NS6detail17trampoline_kernelINS0_13select_configILj256ELj13ELNS0_17block_load_methodE3ELS4_3ELS4_3ELNS0_20block_scan_algorithmE0ELj4294967295EEENS1_25partition_config_selectorILNS1_17partition_subalgoE3EjNS0_10empty_typeEbEEZZNS1_14partition_implILS8_3ELb0ES6_jNS0_17counting_iteratorIjlEEPS9_SE_NS0_5tupleIJPjSE_EEENSF_IJSE_SE_EEES9_SG_JZNS1_25segmented_radix_sort_implINS0_14default_configELb1EPKlPlSM_SN_N2at6native12_GLOBAL__N_18offset_tEEE10hipError_tPvRmT1_PNSt15iterator_traitsISV_E10value_typeET2_T3_PNSW_IS11_E10value_typeET4_jRbjT5_S17_jjP12ihipStream_tbEUljE_EEESS_ST_SU_S11_S15_S17_T6_T7_T9_mT8_S19_bDpT10_ENKUlT_T0_E_clISt17integral_constantIbLb1EES1M_EEDaS1H_S1I_EUlS1H_E_NS1_11comp_targetILNS1_3genE3ELNS1_11target_archE908ELNS1_3gpuE7ELNS1_3repE0EEENS1_30default_config_static_selectorELNS0_4arch9wavefront6targetE0EEEvSV_,comdat
	.globl	_ZN7rocprim17ROCPRIM_400000_NS6detail17trampoline_kernelINS0_13select_configILj256ELj13ELNS0_17block_load_methodE3ELS4_3ELS4_3ELNS0_20block_scan_algorithmE0ELj4294967295EEENS1_25partition_config_selectorILNS1_17partition_subalgoE3EjNS0_10empty_typeEbEEZZNS1_14partition_implILS8_3ELb0ES6_jNS0_17counting_iteratorIjlEEPS9_SE_NS0_5tupleIJPjSE_EEENSF_IJSE_SE_EEES9_SG_JZNS1_25segmented_radix_sort_implINS0_14default_configELb1EPKlPlSM_SN_N2at6native12_GLOBAL__N_18offset_tEEE10hipError_tPvRmT1_PNSt15iterator_traitsISV_E10value_typeET2_T3_PNSW_IS11_E10value_typeET4_jRbjT5_S17_jjP12ihipStream_tbEUljE_EEESS_ST_SU_S11_S15_S17_T6_T7_T9_mT8_S19_bDpT10_ENKUlT_T0_E_clISt17integral_constantIbLb1EES1M_EEDaS1H_S1I_EUlS1H_E_NS1_11comp_targetILNS1_3genE3ELNS1_11target_archE908ELNS1_3gpuE7ELNS1_3repE0EEENS1_30default_config_static_selectorELNS0_4arch9wavefront6targetE0EEEvSV_ ; -- Begin function _ZN7rocprim17ROCPRIM_400000_NS6detail17trampoline_kernelINS0_13select_configILj256ELj13ELNS0_17block_load_methodE3ELS4_3ELS4_3ELNS0_20block_scan_algorithmE0ELj4294967295EEENS1_25partition_config_selectorILNS1_17partition_subalgoE3EjNS0_10empty_typeEbEEZZNS1_14partition_implILS8_3ELb0ES6_jNS0_17counting_iteratorIjlEEPS9_SE_NS0_5tupleIJPjSE_EEENSF_IJSE_SE_EEES9_SG_JZNS1_25segmented_radix_sort_implINS0_14default_configELb1EPKlPlSM_SN_N2at6native12_GLOBAL__N_18offset_tEEE10hipError_tPvRmT1_PNSt15iterator_traitsISV_E10value_typeET2_T3_PNSW_IS11_E10value_typeET4_jRbjT5_S17_jjP12ihipStream_tbEUljE_EEESS_ST_SU_S11_S15_S17_T6_T7_T9_mT8_S19_bDpT10_ENKUlT_T0_E_clISt17integral_constantIbLb1EES1M_EEDaS1H_S1I_EUlS1H_E_NS1_11comp_targetILNS1_3genE3ELNS1_11target_archE908ELNS1_3gpuE7ELNS1_3repE0EEENS1_30default_config_static_selectorELNS0_4arch9wavefront6targetE0EEEvSV_
	.p2align	8
	.type	_ZN7rocprim17ROCPRIM_400000_NS6detail17trampoline_kernelINS0_13select_configILj256ELj13ELNS0_17block_load_methodE3ELS4_3ELS4_3ELNS0_20block_scan_algorithmE0ELj4294967295EEENS1_25partition_config_selectorILNS1_17partition_subalgoE3EjNS0_10empty_typeEbEEZZNS1_14partition_implILS8_3ELb0ES6_jNS0_17counting_iteratorIjlEEPS9_SE_NS0_5tupleIJPjSE_EEENSF_IJSE_SE_EEES9_SG_JZNS1_25segmented_radix_sort_implINS0_14default_configELb1EPKlPlSM_SN_N2at6native12_GLOBAL__N_18offset_tEEE10hipError_tPvRmT1_PNSt15iterator_traitsISV_E10value_typeET2_T3_PNSW_IS11_E10value_typeET4_jRbjT5_S17_jjP12ihipStream_tbEUljE_EEESS_ST_SU_S11_S15_S17_T6_T7_T9_mT8_S19_bDpT10_ENKUlT_T0_E_clISt17integral_constantIbLb1EES1M_EEDaS1H_S1I_EUlS1H_E_NS1_11comp_targetILNS1_3genE3ELNS1_11target_archE908ELNS1_3gpuE7ELNS1_3repE0EEENS1_30default_config_static_selectorELNS0_4arch9wavefront6targetE0EEEvSV_,@function
_ZN7rocprim17ROCPRIM_400000_NS6detail17trampoline_kernelINS0_13select_configILj256ELj13ELNS0_17block_load_methodE3ELS4_3ELS4_3ELNS0_20block_scan_algorithmE0ELj4294967295EEENS1_25partition_config_selectorILNS1_17partition_subalgoE3EjNS0_10empty_typeEbEEZZNS1_14partition_implILS8_3ELb0ES6_jNS0_17counting_iteratorIjlEEPS9_SE_NS0_5tupleIJPjSE_EEENSF_IJSE_SE_EEES9_SG_JZNS1_25segmented_radix_sort_implINS0_14default_configELb1EPKlPlSM_SN_N2at6native12_GLOBAL__N_18offset_tEEE10hipError_tPvRmT1_PNSt15iterator_traitsISV_E10value_typeET2_T3_PNSW_IS11_E10value_typeET4_jRbjT5_S17_jjP12ihipStream_tbEUljE_EEESS_ST_SU_S11_S15_S17_T6_T7_T9_mT8_S19_bDpT10_ENKUlT_T0_E_clISt17integral_constantIbLb1EES1M_EEDaS1H_S1I_EUlS1H_E_NS1_11comp_targetILNS1_3genE3ELNS1_11target_archE908ELNS1_3gpuE7ELNS1_3repE0EEENS1_30default_config_static_selectorELNS0_4arch9wavefront6targetE0EEEvSV_: ; @_ZN7rocprim17ROCPRIM_400000_NS6detail17trampoline_kernelINS0_13select_configILj256ELj13ELNS0_17block_load_methodE3ELS4_3ELS4_3ELNS0_20block_scan_algorithmE0ELj4294967295EEENS1_25partition_config_selectorILNS1_17partition_subalgoE3EjNS0_10empty_typeEbEEZZNS1_14partition_implILS8_3ELb0ES6_jNS0_17counting_iteratorIjlEEPS9_SE_NS0_5tupleIJPjSE_EEENSF_IJSE_SE_EEES9_SG_JZNS1_25segmented_radix_sort_implINS0_14default_configELb1EPKlPlSM_SN_N2at6native12_GLOBAL__N_18offset_tEEE10hipError_tPvRmT1_PNSt15iterator_traitsISV_E10value_typeET2_T3_PNSW_IS11_E10value_typeET4_jRbjT5_S17_jjP12ihipStream_tbEUljE_EEESS_ST_SU_S11_S15_S17_T6_T7_T9_mT8_S19_bDpT10_ENKUlT_T0_E_clISt17integral_constantIbLb1EES1M_EEDaS1H_S1I_EUlS1H_E_NS1_11comp_targetILNS1_3genE3ELNS1_11target_archE908ELNS1_3gpuE7ELNS1_3repE0EEENS1_30default_config_static_selectorELNS0_4arch9wavefront6targetE0EEEvSV_
; %bb.0:
	.section	.rodata,"a",@progbits
	.p2align	6, 0x0
	.amdhsa_kernel _ZN7rocprim17ROCPRIM_400000_NS6detail17trampoline_kernelINS0_13select_configILj256ELj13ELNS0_17block_load_methodE3ELS4_3ELS4_3ELNS0_20block_scan_algorithmE0ELj4294967295EEENS1_25partition_config_selectorILNS1_17partition_subalgoE3EjNS0_10empty_typeEbEEZZNS1_14partition_implILS8_3ELb0ES6_jNS0_17counting_iteratorIjlEEPS9_SE_NS0_5tupleIJPjSE_EEENSF_IJSE_SE_EEES9_SG_JZNS1_25segmented_radix_sort_implINS0_14default_configELb1EPKlPlSM_SN_N2at6native12_GLOBAL__N_18offset_tEEE10hipError_tPvRmT1_PNSt15iterator_traitsISV_E10value_typeET2_T3_PNSW_IS11_E10value_typeET4_jRbjT5_S17_jjP12ihipStream_tbEUljE_EEESS_ST_SU_S11_S15_S17_T6_T7_T9_mT8_S19_bDpT10_ENKUlT_T0_E_clISt17integral_constantIbLb1EES1M_EEDaS1H_S1I_EUlS1H_E_NS1_11comp_targetILNS1_3genE3ELNS1_11target_archE908ELNS1_3gpuE7ELNS1_3repE0EEENS1_30default_config_static_selectorELNS0_4arch9wavefront6targetE0EEEvSV_
		.amdhsa_group_segment_fixed_size 0
		.amdhsa_private_segment_fixed_size 0
		.amdhsa_kernarg_size 152
		.amdhsa_user_sgpr_count 15
		.amdhsa_user_sgpr_dispatch_ptr 0
		.amdhsa_user_sgpr_queue_ptr 0
		.amdhsa_user_sgpr_kernarg_segment_ptr 1
		.amdhsa_user_sgpr_dispatch_id 0
		.amdhsa_user_sgpr_private_segment_size 0
		.amdhsa_wavefront_size32 1
		.amdhsa_uses_dynamic_stack 0
		.amdhsa_enable_private_segment 0
		.amdhsa_system_sgpr_workgroup_id_x 1
		.amdhsa_system_sgpr_workgroup_id_y 0
		.amdhsa_system_sgpr_workgroup_id_z 0
		.amdhsa_system_sgpr_workgroup_info 0
		.amdhsa_system_vgpr_workitem_id 0
		.amdhsa_next_free_vgpr 1
		.amdhsa_next_free_sgpr 1
		.amdhsa_reserve_vcc 0
		.amdhsa_float_round_mode_32 0
		.amdhsa_float_round_mode_16_64 0
		.amdhsa_float_denorm_mode_32 3
		.amdhsa_float_denorm_mode_16_64 3
		.amdhsa_dx10_clamp 1
		.amdhsa_ieee_mode 1
		.amdhsa_fp16_overflow 0
		.amdhsa_workgroup_processor_mode 1
		.amdhsa_memory_ordered 1
		.amdhsa_forward_progress 0
		.amdhsa_shared_vgpr_count 0
		.amdhsa_exception_fp_ieee_invalid_op 0
		.amdhsa_exception_fp_denorm_src 0
		.amdhsa_exception_fp_ieee_div_zero 0
		.amdhsa_exception_fp_ieee_overflow 0
		.amdhsa_exception_fp_ieee_underflow 0
		.amdhsa_exception_fp_ieee_inexact 0
		.amdhsa_exception_int_div_zero 0
	.end_amdhsa_kernel
	.section	.text._ZN7rocprim17ROCPRIM_400000_NS6detail17trampoline_kernelINS0_13select_configILj256ELj13ELNS0_17block_load_methodE3ELS4_3ELS4_3ELNS0_20block_scan_algorithmE0ELj4294967295EEENS1_25partition_config_selectorILNS1_17partition_subalgoE3EjNS0_10empty_typeEbEEZZNS1_14partition_implILS8_3ELb0ES6_jNS0_17counting_iteratorIjlEEPS9_SE_NS0_5tupleIJPjSE_EEENSF_IJSE_SE_EEES9_SG_JZNS1_25segmented_radix_sort_implINS0_14default_configELb1EPKlPlSM_SN_N2at6native12_GLOBAL__N_18offset_tEEE10hipError_tPvRmT1_PNSt15iterator_traitsISV_E10value_typeET2_T3_PNSW_IS11_E10value_typeET4_jRbjT5_S17_jjP12ihipStream_tbEUljE_EEESS_ST_SU_S11_S15_S17_T6_T7_T9_mT8_S19_bDpT10_ENKUlT_T0_E_clISt17integral_constantIbLb1EES1M_EEDaS1H_S1I_EUlS1H_E_NS1_11comp_targetILNS1_3genE3ELNS1_11target_archE908ELNS1_3gpuE7ELNS1_3repE0EEENS1_30default_config_static_selectorELNS0_4arch9wavefront6targetE0EEEvSV_,"axG",@progbits,_ZN7rocprim17ROCPRIM_400000_NS6detail17trampoline_kernelINS0_13select_configILj256ELj13ELNS0_17block_load_methodE3ELS4_3ELS4_3ELNS0_20block_scan_algorithmE0ELj4294967295EEENS1_25partition_config_selectorILNS1_17partition_subalgoE3EjNS0_10empty_typeEbEEZZNS1_14partition_implILS8_3ELb0ES6_jNS0_17counting_iteratorIjlEEPS9_SE_NS0_5tupleIJPjSE_EEENSF_IJSE_SE_EEES9_SG_JZNS1_25segmented_radix_sort_implINS0_14default_configELb1EPKlPlSM_SN_N2at6native12_GLOBAL__N_18offset_tEEE10hipError_tPvRmT1_PNSt15iterator_traitsISV_E10value_typeET2_T3_PNSW_IS11_E10value_typeET4_jRbjT5_S17_jjP12ihipStream_tbEUljE_EEESS_ST_SU_S11_S15_S17_T6_T7_T9_mT8_S19_bDpT10_ENKUlT_T0_E_clISt17integral_constantIbLb1EES1M_EEDaS1H_S1I_EUlS1H_E_NS1_11comp_targetILNS1_3genE3ELNS1_11target_archE908ELNS1_3gpuE7ELNS1_3repE0EEENS1_30default_config_static_selectorELNS0_4arch9wavefront6targetE0EEEvSV_,comdat
.Lfunc_end683:
	.size	_ZN7rocprim17ROCPRIM_400000_NS6detail17trampoline_kernelINS0_13select_configILj256ELj13ELNS0_17block_load_methodE3ELS4_3ELS4_3ELNS0_20block_scan_algorithmE0ELj4294967295EEENS1_25partition_config_selectorILNS1_17partition_subalgoE3EjNS0_10empty_typeEbEEZZNS1_14partition_implILS8_3ELb0ES6_jNS0_17counting_iteratorIjlEEPS9_SE_NS0_5tupleIJPjSE_EEENSF_IJSE_SE_EEES9_SG_JZNS1_25segmented_radix_sort_implINS0_14default_configELb1EPKlPlSM_SN_N2at6native12_GLOBAL__N_18offset_tEEE10hipError_tPvRmT1_PNSt15iterator_traitsISV_E10value_typeET2_T3_PNSW_IS11_E10value_typeET4_jRbjT5_S17_jjP12ihipStream_tbEUljE_EEESS_ST_SU_S11_S15_S17_T6_T7_T9_mT8_S19_bDpT10_ENKUlT_T0_E_clISt17integral_constantIbLb1EES1M_EEDaS1H_S1I_EUlS1H_E_NS1_11comp_targetILNS1_3genE3ELNS1_11target_archE908ELNS1_3gpuE7ELNS1_3repE0EEENS1_30default_config_static_selectorELNS0_4arch9wavefront6targetE0EEEvSV_, .Lfunc_end683-_ZN7rocprim17ROCPRIM_400000_NS6detail17trampoline_kernelINS0_13select_configILj256ELj13ELNS0_17block_load_methodE3ELS4_3ELS4_3ELNS0_20block_scan_algorithmE0ELj4294967295EEENS1_25partition_config_selectorILNS1_17partition_subalgoE3EjNS0_10empty_typeEbEEZZNS1_14partition_implILS8_3ELb0ES6_jNS0_17counting_iteratorIjlEEPS9_SE_NS0_5tupleIJPjSE_EEENSF_IJSE_SE_EEES9_SG_JZNS1_25segmented_radix_sort_implINS0_14default_configELb1EPKlPlSM_SN_N2at6native12_GLOBAL__N_18offset_tEEE10hipError_tPvRmT1_PNSt15iterator_traitsISV_E10value_typeET2_T3_PNSW_IS11_E10value_typeET4_jRbjT5_S17_jjP12ihipStream_tbEUljE_EEESS_ST_SU_S11_S15_S17_T6_T7_T9_mT8_S19_bDpT10_ENKUlT_T0_E_clISt17integral_constantIbLb1EES1M_EEDaS1H_S1I_EUlS1H_E_NS1_11comp_targetILNS1_3genE3ELNS1_11target_archE908ELNS1_3gpuE7ELNS1_3repE0EEENS1_30default_config_static_selectorELNS0_4arch9wavefront6targetE0EEEvSV_
                                        ; -- End function
	.section	.AMDGPU.csdata,"",@progbits
; Kernel info:
; codeLenInByte = 0
; NumSgprs: 0
; NumVgprs: 0
; ScratchSize: 0
; MemoryBound: 0
; FloatMode: 240
; IeeeMode: 1
; LDSByteSize: 0 bytes/workgroup (compile time only)
; SGPRBlocks: 0
; VGPRBlocks: 0
; NumSGPRsForWavesPerEU: 1
; NumVGPRsForWavesPerEU: 1
; Occupancy: 16
; WaveLimiterHint : 0
; COMPUTE_PGM_RSRC2:SCRATCH_EN: 0
; COMPUTE_PGM_RSRC2:USER_SGPR: 15
; COMPUTE_PGM_RSRC2:TRAP_HANDLER: 0
; COMPUTE_PGM_RSRC2:TGID_X_EN: 1
; COMPUTE_PGM_RSRC2:TGID_Y_EN: 0
; COMPUTE_PGM_RSRC2:TGID_Z_EN: 0
; COMPUTE_PGM_RSRC2:TIDIG_COMP_CNT: 0
	.section	.text._ZN7rocprim17ROCPRIM_400000_NS6detail17trampoline_kernelINS0_13select_configILj256ELj13ELNS0_17block_load_methodE3ELS4_3ELS4_3ELNS0_20block_scan_algorithmE0ELj4294967295EEENS1_25partition_config_selectorILNS1_17partition_subalgoE3EjNS0_10empty_typeEbEEZZNS1_14partition_implILS8_3ELb0ES6_jNS0_17counting_iteratorIjlEEPS9_SE_NS0_5tupleIJPjSE_EEENSF_IJSE_SE_EEES9_SG_JZNS1_25segmented_radix_sort_implINS0_14default_configELb1EPKlPlSM_SN_N2at6native12_GLOBAL__N_18offset_tEEE10hipError_tPvRmT1_PNSt15iterator_traitsISV_E10value_typeET2_T3_PNSW_IS11_E10value_typeET4_jRbjT5_S17_jjP12ihipStream_tbEUljE_EEESS_ST_SU_S11_S15_S17_T6_T7_T9_mT8_S19_bDpT10_ENKUlT_T0_E_clISt17integral_constantIbLb1EES1M_EEDaS1H_S1I_EUlS1H_E_NS1_11comp_targetILNS1_3genE2ELNS1_11target_archE906ELNS1_3gpuE6ELNS1_3repE0EEENS1_30default_config_static_selectorELNS0_4arch9wavefront6targetE0EEEvSV_,"axG",@progbits,_ZN7rocprim17ROCPRIM_400000_NS6detail17trampoline_kernelINS0_13select_configILj256ELj13ELNS0_17block_load_methodE3ELS4_3ELS4_3ELNS0_20block_scan_algorithmE0ELj4294967295EEENS1_25partition_config_selectorILNS1_17partition_subalgoE3EjNS0_10empty_typeEbEEZZNS1_14partition_implILS8_3ELb0ES6_jNS0_17counting_iteratorIjlEEPS9_SE_NS0_5tupleIJPjSE_EEENSF_IJSE_SE_EEES9_SG_JZNS1_25segmented_radix_sort_implINS0_14default_configELb1EPKlPlSM_SN_N2at6native12_GLOBAL__N_18offset_tEEE10hipError_tPvRmT1_PNSt15iterator_traitsISV_E10value_typeET2_T3_PNSW_IS11_E10value_typeET4_jRbjT5_S17_jjP12ihipStream_tbEUljE_EEESS_ST_SU_S11_S15_S17_T6_T7_T9_mT8_S19_bDpT10_ENKUlT_T0_E_clISt17integral_constantIbLb1EES1M_EEDaS1H_S1I_EUlS1H_E_NS1_11comp_targetILNS1_3genE2ELNS1_11target_archE906ELNS1_3gpuE6ELNS1_3repE0EEENS1_30default_config_static_selectorELNS0_4arch9wavefront6targetE0EEEvSV_,comdat
	.globl	_ZN7rocprim17ROCPRIM_400000_NS6detail17trampoline_kernelINS0_13select_configILj256ELj13ELNS0_17block_load_methodE3ELS4_3ELS4_3ELNS0_20block_scan_algorithmE0ELj4294967295EEENS1_25partition_config_selectorILNS1_17partition_subalgoE3EjNS0_10empty_typeEbEEZZNS1_14partition_implILS8_3ELb0ES6_jNS0_17counting_iteratorIjlEEPS9_SE_NS0_5tupleIJPjSE_EEENSF_IJSE_SE_EEES9_SG_JZNS1_25segmented_radix_sort_implINS0_14default_configELb1EPKlPlSM_SN_N2at6native12_GLOBAL__N_18offset_tEEE10hipError_tPvRmT1_PNSt15iterator_traitsISV_E10value_typeET2_T3_PNSW_IS11_E10value_typeET4_jRbjT5_S17_jjP12ihipStream_tbEUljE_EEESS_ST_SU_S11_S15_S17_T6_T7_T9_mT8_S19_bDpT10_ENKUlT_T0_E_clISt17integral_constantIbLb1EES1M_EEDaS1H_S1I_EUlS1H_E_NS1_11comp_targetILNS1_3genE2ELNS1_11target_archE906ELNS1_3gpuE6ELNS1_3repE0EEENS1_30default_config_static_selectorELNS0_4arch9wavefront6targetE0EEEvSV_ ; -- Begin function _ZN7rocprim17ROCPRIM_400000_NS6detail17trampoline_kernelINS0_13select_configILj256ELj13ELNS0_17block_load_methodE3ELS4_3ELS4_3ELNS0_20block_scan_algorithmE0ELj4294967295EEENS1_25partition_config_selectorILNS1_17partition_subalgoE3EjNS0_10empty_typeEbEEZZNS1_14partition_implILS8_3ELb0ES6_jNS0_17counting_iteratorIjlEEPS9_SE_NS0_5tupleIJPjSE_EEENSF_IJSE_SE_EEES9_SG_JZNS1_25segmented_radix_sort_implINS0_14default_configELb1EPKlPlSM_SN_N2at6native12_GLOBAL__N_18offset_tEEE10hipError_tPvRmT1_PNSt15iterator_traitsISV_E10value_typeET2_T3_PNSW_IS11_E10value_typeET4_jRbjT5_S17_jjP12ihipStream_tbEUljE_EEESS_ST_SU_S11_S15_S17_T6_T7_T9_mT8_S19_bDpT10_ENKUlT_T0_E_clISt17integral_constantIbLb1EES1M_EEDaS1H_S1I_EUlS1H_E_NS1_11comp_targetILNS1_3genE2ELNS1_11target_archE906ELNS1_3gpuE6ELNS1_3repE0EEENS1_30default_config_static_selectorELNS0_4arch9wavefront6targetE0EEEvSV_
	.p2align	8
	.type	_ZN7rocprim17ROCPRIM_400000_NS6detail17trampoline_kernelINS0_13select_configILj256ELj13ELNS0_17block_load_methodE3ELS4_3ELS4_3ELNS0_20block_scan_algorithmE0ELj4294967295EEENS1_25partition_config_selectorILNS1_17partition_subalgoE3EjNS0_10empty_typeEbEEZZNS1_14partition_implILS8_3ELb0ES6_jNS0_17counting_iteratorIjlEEPS9_SE_NS0_5tupleIJPjSE_EEENSF_IJSE_SE_EEES9_SG_JZNS1_25segmented_radix_sort_implINS0_14default_configELb1EPKlPlSM_SN_N2at6native12_GLOBAL__N_18offset_tEEE10hipError_tPvRmT1_PNSt15iterator_traitsISV_E10value_typeET2_T3_PNSW_IS11_E10value_typeET4_jRbjT5_S17_jjP12ihipStream_tbEUljE_EEESS_ST_SU_S11_S15_S17_T6_T7_T9_mT8_S19_bDpT10_ENKUlT_T0_E_clISt17integral_constantIbLb1EES1M_EEDaS1H_S1I_EUlS1H_E_NS1_11comp_targetILNS1_3genE2ELNS1_11target_archE906ELNS1_3gpuE6ELNS1_3repE0EEENS1_30default_config_static_selectorELNS0_4arch9wavefront6targetE0EEEvSV_,@function
_ZN7rocprim17ROCPRIM_400000_NS6detail17trampoline_kernelINS0_13select_configILj256ELj13ELNS0_17block_load_methodE3ELS4_3ELS4_3ELNS0_20block_scan_algorithmE0ELj4294967295EEENS1_25partition_config_selectorILNS1_17partition_subalgoE3EjNS0_10empty_typeEbEEZZNS1_14partition_implILS8_3ELb0ES6_jNS0_17counting_iteratorIjlEEPS9_SE_NS0_5tupleIJPjSE_EEENSF_IJSE_SE_EEES9_SG_JZNS1_25segmented_radix_sort_implINS0_14default_configELb1EPKlPlSM_SN_N2at6native12_GLOBAL__N_18offset_tEEE10hipError_tPvRmT1_PNSt15iterator_traitsISV_E10value_typeET2_T3_PNSW_IS11_E10value_typeET4_jRbjT5_S17_jjP12ihipStream_tbEUljE_EEESS_ST_SU_S11_S15_S17_T6_T7_T9_mT8_S19_bDpT10_ENKUlT_T0_E_clISt17integral_constantIbLb1EES1M_EEDaS1H_S1I_EUlS1H_E_NS1_11comp_targetILNS1_3genE2ELNS1_11target_archE906ELNS1_3gpuE6ELNS1_3repE0EEENS1_30default_config_static_selectorELNS0_4arch9wavefront6targetE0EEEvSV_: ; @_ZN7rocprim17ROCPRIM_400000_NS6detail17trampoline_kernelINS0_13select_configILj256ELj13ELNS0_17block_load_methodE3ELS4_3ELS4_3ELNS0_20block_scan_algorithmE0ELj4294967295EEENS1_25partition_config_selectorILNS1_17partition_subalgoE3EjNS0_10empty_typeEbEEZZNS1_14partition_implILS8_3ELb0ES6_jNS0_17counting_iteratorIjlEEPS9_SE_NS0_5tupleIJPjSE_EEENSF_IJSE_SE_EEES9_SG_JZNS1_25segmented_radix_sort_implINS0_14default_configELb1EPKlPlSM_SN_N2at6native12_GLOBAL__N_18offset_tEEE10hipError_tPvRmT1_PNSt15iterator_traitsISV_E10value_typeET2_T3_PNSW_IS11_E10value_typeET4_jRbjT5_S17_jjP12ihipStream_tbEUljE_EEESS_ST_SU_S11_S15_S17_T6_T7_T9_mT8_S19_bDpT10_ENKUlT_T0_E_clISt17integral_constantIbLb1EES1M_EEDaS1H_S1I_EUlS1H_E_NS1_11comp_targetILNS1_3genE2ELNS1_11target_archE906ELNS1_3gpuE6ELNS1_3repE0EEENS1_30default_config_static_selectorELNS0_4arch9wavefront6targetE0EEEvSV_
; %bb.0:
	.section	.rodata,"a",@progbits
	.p2align	6, 0x0
	.amdhsa_kernel _ZN7rocprim17ROCPRIM_400000_NS6detail17trampoline_kernelINS0_13select_configILj256ELj13ELNS0_17block_load_methodE3ELS4_3ELS4_3ELNS0_20block_scan_algorithmE0ELj4294967295EEENS1_25partition_config_selectorILNS1_17partition_subalgoE3EjNS0_10empty_typeEbEEZZNS1_14partition_implILS8_3ELb0ES6_jNS0_17counting_iteratorIjlEEPS9_SE_NS0_5tupleIJPjSE_EEENSF_IJSE_SE_EEES9_SG_JZNS1_25segmented_radix_sort_implINS0_14default_configELb1EPKlPlSM_SN_N2at6native12_GLOBAL__N_18offset_tEEE10hipError_tPvRmT1_PNSt15iterator_traitsISV_E10value_typeET2_T3_PNSW_IS11_E10value_typeET4_jRbjT5_S17_jjP12ihipStream_tbEUljE_EEESS_ST_SU_S11_S15_S17_T6_T7_T9_mT8_S19_bDpT10_ENKUlT_T0_E_clISt17integral_constantIbLb1EES1M_EEDaS1H_S1I_EUlS1H_E_NS1_11comp_targetILNS1_3genE2ELNS1_11target_archE906ELNS1_3gpuE6ELNS1_3repE0EEENS1_30default_config_static_selectorELNS0_4arch9wavefront6targetE0EEEvSV_
		.amdhsa_group_segment_fixed_size 0
		.amdhsa_private_segment_fixed_size 0
		.amdhsa_kernarg_size 152
		.amdhsa_user_sgpr_count 15
		.amdhsa_user_sgpr_dispatch_ptr 0
		.amdhsa_user_sgpr_queue_ptr 0
		.amdhsa_user_sgpr_kernarg_segment_ptr 1
		.amdhsa_user_sgpr_dispatch_id 0
		.amdhsa_user_sgpr_private_segment_size 0
		.amdhsa_wavefront_size32 1
		.amdhsa_uses_dynamic_stack 0
		.amdhsa_enable_private_segment 0
		.amdhsa_system_sgpr_workgroup_id_x 1
		.amdhsa_system_sgpr_workgroup_id_y 0
		.amdhsa_system_sgpr_workgroup_id_z 0
		.amdhsa_system_sgpr_workgroup_info 0
		.amdhsa_system_vgpr_workitem_id 0
		.amdhsa_next_free_vgpr 1
		.amdhsa_next_free_sgpr 1
		.amdhsa_reserve_vcc 0
		.amdhsa_float_round_mode_32 0
		.amdhsa_float_round_mode_16_64 0
		.amdhsa_float_denorm_mode_32 3
		.amdhsa_float_denorm_mode_16_64 3
		.amdhsa_dx10_clamp 1
		.amdhsa_ieee_mode 1
		.amdhsa_fp16_overflow 0
		.amdhsa_workgroup_processor_mode 1
		.amdhsa_memory_ordered 1
		.amdhsa_forward_progress 0
		.amdhsa_shared_vgpr_count 0
		.amdhsa_exception_fp_ieee_invalid_op 0
		.amdhsa_exception_fp_denorm_src 0
		.amdhsa_exception_fp_ieee_div_zero 0
		.amdhsa_exception_fp_ieee_overflow 0
		.amdhsa_exception_fp_ieee_underflow 0
		.amdhsa_exception_fp_ieee_inexact 0
		.amdhsa_exception_int_div_zero 0
	.end_amdhsa_kernel
	.section	.text._ZN7rocprim17ROCPRIM_400000_NS6detail17trampoline_kernelINS0_13select_configILj256ELj13ELNS0_17block_load_methodE3ELS4_3ELS4_3ELNS0_20block_scan_algorithmE0ELj4294967295EEENS1_25partition_config_selectorILNS1_17partition_subalgoE3EjNS0_10empty_typeEbEEZZNS1_14partition_implILS8_3ELb0ES6_jNS0_17counting_iteratorIjlEEPS9_SE_NS0_5tupleIJPjSE_EEENSF_IJSE_SE_EEES9_SG_JZNS1_25segmented_radix_sort_implINS0_14default_configELb1EPKlPlSM_SN_N2at6native12_GLOBAL__N_18offset_tEEE10hipError_tPvRmT1_PNSt15iterator_traitsISV_E10value_typeET2_T3_PNSW_IS11_E10value_typeET4_jRbjT5_S17_jjP12ihipStream_tbEUljE_EEESS_ST_SU_S11_S15_S17_T6_T7_T9_mT8_S19_bDpT10_ENKUlT_T0_E_clISt17integral_constantIbLb1EES1M_EEDaS1H_S1I_EUlS1H_E_NS1_11comp_targetILNS1_3genE2ELNS1_11target_archE906ELNS1_3gpuE6ELNS1_3repE0EEENS1_30default_config_static_selectorELNS0_4arch9wavefront6targetE0EEEvSV_,"axG",@progbits,_ZN7rocprim17ROCPRIM_400000_NS6detail17trampoline_kernelINS0_13select_configILj256ELj13ELNS0_17block_load_methodE3ELS4_3ELS4_3ELNS0_20block_scan_algorithmE0ELj4294967295EEENS1_25partition_config_selectorILNS1_17partition_subalgoE3EjNS0_10empty_typeEbEEZZNS1_14partition_implILS8_3ELb0ES6_jNS0_17counting_iteratorIjlEEPS9_SE_NS0_5tupleIJPjSE_EEENSF_IJSE_SE_EEES9_SG_JZNS1_25segmented_radix_sort_implINS0_14default_configELb1EPKlPlSM_SN_N2at6native12_GLOBAL__N_18offset_tEEE10hipError_tPvRmT1_PNSt15iterator_traitsISV_E10value_typeET2_T3_PNSW_IS11_E10value_typeET4_jRbjT5_S17_jjP12ihipStream_tbEUljE_EEESS_ST_SU_S11_S15_S17_T6_T7_T9_mT8_S19_bDpT10_ENKUlT_T0_E_clISt17integral_constantIbLb1EES1M_EEDaS1H_S1I_EUlS1H_E_NS1_11comp_targetILNS1_3genE2ELNS1_11target_archE906ELNS1_3gpuE6ELNS1_3repE0EEENS1_30default_config_static_selectorELNS0_4arch9wavefront6targetE0EEEvSV_,comdat
.Lfunc_end684:
	.size	_ZN7rocprim17ROCPRIM_400000_NS6detail17trampoline_kernelINS0_13select_configILj256ELj13ELNS0_17block_load_methodE3ELS4_3ELS4_3ELNS0_20block_scan_algorithmE0ELj4294967295EEENS1_25partition_config_selectorILNS1_17partition_subalgoE3EjNS0_10empty_typeEbEEZZNS1_14partition_implILS8_3ELb0ES6_jNS0_17counting_iteratorIjlEEPS9_SE_NS0_5tupleIJPjSE_EEENSF_IJSE_SE_EEES9_SG_JZNS1_25segmented_radix_sort_implINS0_14default_configELb1EPKlPlSM_SN_N2at6native12_GLOBAL__N_18offset_tEEE10hipError_tPvRmT1_PNSt15iterator_traitsISV_E10value_typeET2_T3_PNSW_IS11_E10value_typeET4_jRbjT5_S17_jjP12ihipStream_tbEUljE_EEESS_ST_SU_S11_S15_S17_T6_T7_T9_mT8_S19_bDpT10_ENKUlT_T0_E_clISt17integral_constantIbLb1EES1M_EEDaS1H_S1I_EUlS1H_E_NS1_11comp_targetILNS1_3genE2ELNS1_11target_archE906ELNS1_3gpuE6ELNS1_3repE0EEENS1_30default_config_static_selectorELNS0_4arch9wavefront6targetE0EEEvSV_, .Lfunc_end684-_ZN7rocprim17ROCPRIM_400000_NS6detail17trampoline_kernelINS0_13select_configILj256ELj13ELNS0_17block_load_methodE3ELS4_3ELS4_3ELNS0_20block_scan_algorithmE0ELj4294967295EEENS1_25partition_config_selectorILNS1_17partition_subalgoE3EjNS0_10empty_typeEbEEZZNS1_14partition_implILS8_3ELb0ES6_jNS0_17counting_iteratorIjlEEPS9_SE_NS0_5tupleIJPjSE_EEENSF_IJSE_SE_EEES9_SG_JZNS1_25segmented_radix_sort_implINS0_14default_configELb1EPKlPlSM_SN_N2at6native12_GLOBAL__N_18offset_tEEE10hipError_tPvRmT1_PNSt15iterator_traitsISV_E10value_typeET2_T3_PNSW_IS11_E10value_typeET4_jRbjT5_S17_jjP12ihipStream_tbEUljE_EEESS_ST_SU_S11_S15_S17_T6_T7_T9_mT8_S19_bDpT10_ENKUlT_T0_E_clISt17integral_constantIbLb1EES1M_EEDaS1H_S1I_EUlS1H_E_NS1_11comp_targetILNS1_3genE2ELNS1_11target_archE906ELNS1_3gpuE6ELNS1_3repE0EEENS1_30default_config_static_selectorELNS0_4arch9wavefront6targetE0EEEvSV_
                                        ; -- End function
	.section	.AMDGPU.csdata,"",@progbits
; Kernel info:
; codeLenInByte = 0
; NumSgprs: 0
; NumVgprs: 0
; ScratchSize: 0
; MemoryBound: 0
; FloatMode: 240
; IeeeMode: 1
; LDSByteSize: 0 bytes/workgroup (compile time only)
; SGPRBlocks: 0
; VGPRBlocks: 0
; NumSGPRsForWavesPerEU: 1
; NumVGPRsForWavesPerEU: 1
; Occupancy: 16
; WaveLimiterHint : 0
; COMPUTE_PGM_RSRC2:SCRATCH_EN: 0
; COMPUTE_PGM_RSRC2:USER_SGPR: 15
; COMPUTE_PGM_RSRC2:TRAP_HANDLER: 0
; COMPUTE_PGM_RSRC2:TGID_X_EN: 1
; COMPUTE_PGM_RSRC2:TGID_Y_EN: 0
; COMPUTE_PGM_RSRC2:TGID_Z_EN: 0
; COMPUTE_PGM_RSRC2:TIDIG_COMP_CNT: 0
	.section	.text._ZN7rocprim17ROCPRIM_400000_NS6detail17trampoline_kernelINS0_13select_configILj256ELj13ELNS0_17block_load_methodE3ELS4_3ELS4_3ELNS0_20block_scan_algorithmE0ELj4294967295EEENS1_25partition_config_selectorILNS1_17partition_subalgoE3EjNS0_10empty_typeEbEEZZNS1_14partition_implILS8_3ELb0ES6_jNS0_17counting_iteratorIjlEEPS9_SE_NS0_5tupleIJPjSE_EEENSF_IJSE_SE_EEES9_SG_JZNS1_25segmented_radix_sort_implINS0_14default_configELb1EPKlPlSM_SN_N2at6native12_GLOBAL__N_18offset_tEEE10hipError_tPvRmT1_PNSt15iterator_traitsISV_E10value_typeET2_T3_PNSW_IS11_E10value_typeET4_jRbjT5_S17_jjP12ihipStream_tbEUljE_EEESS_ST_SU_S11_S15_S17_T6_T7_T9_mT8_S19_bDpT10_ENKUlT_T0_E_clISt17integral_constantIbLb1EES1M_EEDaS1H_S1I_EUlS1H_E_NS1_11comp_targetILNS1_3genE10ELNS1_11target_archE1200ELNS1_3gpuE4ELNS1_3repE0EEENS1_30default_config_static_selectorELNS0_4arch9wavefront6targetE0EEEvSV_,"axG",@progbits,_ZN7rocprim17ROCPRIM_400000_NS6detail17trampoline_kernelINS0_13select_configILj256ELj13ELNS0_17block_load_methodE3ELS4_3ELS4_3ELNS0_20block_scan_algorithmE0ELj4294967295EEENS1_25partition_config_selectorILNS1_17partition_subalgoE3EjNS0_10empty_typeEbEEZZNS1_14partition_implILS8_3ELb0ES6_jNS0_17counting_iteratorIjlEEPS9_SE_NS0_5tupleIJPjSE_EEENSF_IJSE_SE_EEES9_SG_JZNS1_25segmented_radix_sort_implINS0_14default_configELb1EPKlPlSM_SN_N2at6native12_GLOBAL__N_18offset_tEEE10hipError_tPvRmT1_PNSt15iterator_traitsISV_E10value_typeET2_T3_PNSW_IS11_E10value_typeET4_jRbjT5_S17_jjP12ihipStream_tbEUljE_EEESS_ST_SU_S11_S15_S17_T6_T7_T9_mT8_S19_bDpT10_ENKUlT_T0_E_clISt17integral_constantIbLb1EES1M_EEDaS1H_S1I_EUlS1H_E_NS1_11comp_targetILNS1_3genE10ELNS1_11target_archE1200ELNS1_3gpuE4ELNS1_3repE0EEENS1_30default_config_static_selectorELNS0_4arch9wavefront6targetE0EEEvSV_,comdat
	.globl	_ZN7rocprim17ROCPRIM_400000_NS6detail17trampoline_kernelINS0_13select_configILj256ELj13ELNS0_17block_load_methodE3ELS4_3ELS4_3ELNS0_20block_scan_algorithmE0ELj4294967295EEENS1_25partition_config_selectorILNS1_17partition_subalgoE3EjNS0_10empty_typeEbEEZZNS1_14partition_implILS8_3ELb0ES6_jNS0_17counting_iteratorIjlEEPS9_SE_NS0_5tupleIJPjSE_EEENSF_IJSE_SE_EEES9_SG_JZNS1_25segmented_radix_sort_implINS0_14default_configELb1EPKlPlSM_SN_N2at6native12_GLOBAL__N_18offset_tEEE10hipError_tPvRmT1_PNSt15iterator_traitsISV_E10value_typeET2_T3_PNSW_IS11_E10value_typeET4_jRbjT5_S17_jjP12ihipStream_tbEUljE_EEESS_ST_SU_S11_S15_S17_T6_T7_T9_mT8_S19_bDpT10_ENKUlT_T0_E_clISt17integral_constantIbLb1EES1M_EEDaS1H_S1I_EUlS1H_E_NS1_11comp_targetILNS1_3genE10ELNS1_11target_archE1200ELNS1_3gpuE4ELNS1_3repE0EEENS1_30default_config_static_selectorELNS0_4arch9wavefront6targetE0EEEvSV_ ; -- Begin function _ZN7rocprim17ROCPRIM_400000_NS6detail17trampoline_kernelINS0_13select_configILj256ELj13ELNS0_17block_load_methodE3ELS4_3ELS4_3ELNS0_20block_scan_algorithmE0ELj4294967295EEENS1_25partition_config_selectorILNS1_17partition_subalgoE3EjNS0_10empty_typeEbEEZZNS1_14partition_implILS8_3ELb0ES6_jNS0_17counting_iteratorIjlEEPS9_SE_NS0_5tupleIJPjSE_EEENSF_IJSE_SE_EEES9_SG_JZNS1_25segmented_radix_sort_implINS0_14default_configELb1EPKlPlSM_SN_N2at6native12_GLOBAL__N_18offset_tEEE10hipError_tPvRmT1_PNSt15iterator_traitsISV_E10value_typeET2_T3_PNSW_IS11_E10value_typeET4_jRbjT5_S17_jjP12ihipStream_tbEUljE_EEESS_ST_SU_S11_S15_S17_T6_T7_T9_mT8_S19_bDpT10_ENKUlT_T0_E_clISt17integral_constantIbLb1EES1M_EEDaS1H_S1I_EUlS1H_E_NS1_11comp_targetILNS1_3genE10ELNS1_11target_archE1200ELNS1_3gpuE4ELNS1_3repE0EEENS1_30default_config_static_selectorELNS0_4arch9wavefront6targetE0EEEvSV_
	.p2align	8
	.type	_ZN7rocprim17ROCPRIM_400000_NS6detail17trampoline_kernelINS0_13select_configILj256ELj13ELNS0_17block_load_methodE3ELS4_3ELS4_3ELNS0_20block_scan_algorithmE0ELj4294967295EEENS1_25partition_config_selectorILNS1_17partition_subalgoE3EjNS0_10empty_typeEbEEZZNS1_14partition_implILS8_3ELb0ES6_jNS0_17counting_iteratorIjlEEPS9_SE_NS0_5tupleIJPjSE_EEENSF_IJSE_SE_EEES9_SG_JZNS1_25segmented_radix_sort_implINS0_14default_configELb1EPKlPlSM_SN_N2at6native12_GLOBAL__N_18offset_tEEE10hipError_tPvRmT1_PNSt15iterator_traitsISV_E10value_typeET2_T3_PNSW_IS11_E10value_typeET4_jRbjT5_S17_jjP12ihipStream_tbEUljE_EEESS_ST_SU_S11_S15_S17_T6_T7_T9_mT8_S19_bDpT10_ENKUlT_T0_E_clISt17integral_constantIbLb1EES1M_EEDaS1H_S1I_EUlS1H_E_NS1_11comp_targetILNS1_3genE10ELNS1_11target_archE1200ELNS1_3gpuE4ELNS1_3repE0EEENS1_30default_config_static_selectorELNS0_4arch9wavefront6targetE0EEEvSV_,@function
_ZN7rocprim17ROCPRIM_400000_NS6detail17trampoline_kernelINS0_13select_configILj256ELj13ELNS0_17block_load_methodE3ELS4_3ELS4_3ELNS0_20block_scan_algorithmE0ELj4294967295EEENS1_25partition_config_selectorILNS1_17partition_subalgoE3EjNS0_10empty_typeEbEEZZNS1_14partition_implILS8_3ELb0ES6_jNS0_17counting_iteratorIjlEEPS9_SE_NS0_5tupleIJPjSE_EEENSF_IJSE_SE_EEES9_SG_JZNS1_25segmented_radix_sort_implINS0_14default_configELb1EPKlPlSM_SN_N2at6native12_GLOBAL__N_18offset_tEEE10hipError_tPvRmT1_PNSt15iterator_traitsISV_E10value_typeET2_T3_PNSW_IS11_E10value_typeET4_jRbjT5_S17_jjP12ihipStream_tbEUljE_EEESS_ST_SU_S11_S15_S17_T6_T7_T9_mT8_S19_bDpT10_ENKUlT_T0_E_clISt17integral_constantIbLb1EES1M_EEDaS1H_S1I_EUlS1H_E_NS1_11comp_targetILNS1_3genE10ELNS1_11target_archE1200ELNS1_3gpuE4ELNS1_3repE0EEENS1_30default_config_static_selectorELNS0_4arch9wavefront6targetE0EEEvSV_: ; @_ZN7rocprim17ROCPRIM_400000_NS6detail17trampoline_kernelINS0_13select_configILj256ELj13ELNS0_17block_load_methodE3ELS4_3ELS4_3ELNS0_20block_scan_algorithmE0ELj4294967295EEENS1_25partition_config_selectorILNS1_17partition_subalgoE3EjNS0_10empty_typeEbEEZZNS1_14partition_implILS8_3ELb0ES6_jNS0_17counting_iteratorIjlEEPS9_SE_NS0_5tupleIJPjSE_EEENSF_IJSE_SE_EEES9_SG_JZNS1_25segmented_radix_sort_implINS0_14default_configELb1EPKlPlSM_SN_N2at6native12_GLOBAL__N_18offset_tEEE10hipError_tPvRmT1_PNSt15iterator_traitsISV_E10value_typeET2_T3_PNSW_IS11_E10value_typeET4_jRbjT5_S17_jjP12ihipStream_tbEUljE_EEESS_ST_SU_S11_S15_S17_T6_T7_T9_mT8_S19_bDpT10_ENKUlT_T0_E_clISt17integral_constantIbLb1EES1M_EEDaS1H_S1I_EUlS1H_E_NS1_11comp_targetILNS1_3genE10ELNS1_11target_archE1200ELNS1_3gpuE4ELNS1_3repE0EEENS1_30default_config_static_selectorELNS0_4arch9wavefront6targetE0EEEvSV_
; %bb.0:
	.section	.rodata,"a",@progbits
	.p2align	6, 0x0
	.amdhsa_kernel _ZN7rocprim17ROCPRIM_400000_NS6detail17trampoline_kernelINS0_13select_configILj256ELj13ELNS0_17block_load_methodE3ELS4_3ELS4_3ELNS0_20block_scan_algorithmE0ELj4294967295EEENS1_25partition_config_selectorILNS1_17partition_subalgoE3EjNS0_10empty_typeEbEEZZNS1_14partition_implILS8_3ELb0ES6_jNS0_17counting_iteratorIjlEEPS9_SE_NS0_5tupleIJPjSE_EEENSF_IJSE_SE_EEES9_SG_JZNS1_25segmented_radix_sort_implINS0_14default_configELb1EPKlPlSM_SN_N2at6native12_GLOBAL__N_18offset_tEEE10hipError_tPvRmT1_PNSt15iterator_traitsISV_E10value_typeET2_T3_PNSW_IS11_E10value_typeET4_jRbjT5_S17_jjP12ihipStream_tbEUljE_EEESS_ST_SU_S11_S15_S17_T6_T7_T9_mT8_S19_bDpT10_ENKUlT_T0_E_clISt17integral_constantIbLb1EES1M_EEDaS1H_S1I_EUlS1H_E_NS1_11comp_targetILNS1_3genE10ELNS1_11target_archE1200ELNS1_3gpuE4ELNS1_3repE0EEENS1_30default_config_static_selectorELNS0_4arch9wavefront6targetE0EEEvSV_
		.amdhsa_group_segment_fixed_size 0
		.amdhsa_private_segment_fixed_size 0
		.amdhsa_kernarg_size 152
		.amdhsa_user_sgpr_count 15
		.amdhsa_user_sgpr_dispatch_ptr 0
		.amdhsa_user_sgpr_queue_ptr 0
		.amdhsa_user_sgpr_kernarg_segment_ptr 1
		.amdhsa_user_sgpr_dispatch_id 0
		.amdhsa_user_sgpr_private_segment_size 0
		.amdhsa_wavefront_size32 1
		.amdhsa_uses_dynamic_stack 0
		.amdhsa_enable_private_segment 0
		.amdhsa_system_sgpr_workgroup_id_x 1
		.amdhsa_system_sgpr_workgroup_id_y 0
		.amdhsa_system_sgpr_workgroup_id_z 0
		.amdhsa_system_sgpr_workgroup_info 0
		.amdhsa_system_vgpr_workitem_id 0
		.amdhsa_next_free_vgpr 1
		.amdhsa_next_free_sgpr 1
		.amdhsa_reserve_vcc 0
		.amdhsa_float_round_mode_32 0
		.amdhsa_float_round_mode_16_64 0
		.amdhsa_float_denorm_mode_32 3
		.amdhsa_float_denorm_mode_16_64 3
		.amdhsa_dx10_clamp 1
		.amdhsa_ieee_mode 1
		.amdhsa_fp16_overflow 0
		.amdhsa_workgroup_processor_mode 1
		.amdhsa_memory_ordered 1
		.amdhsa_forward_progress 0
		.amdhsa_shared_vgpr_count 0
		.amdhsa_exception_fp_ieee_invalid_op 0
		.amdhsa_exception_fp_denorm_src 0
		.amdhsa_exception_fp_ieee_div_zero 0
		.amdhsa_exception_fp_ieee_overflow 0
		.amdhsa_exception_fp_ieee_underflow 0
		.amdhsa_exception_fp_ieee_inexact 0
		.amdhsa_exception_int_div_zero 0
	.end_amdhsa_kernel
	.section	.text._ZN7rocprim17ROCPRIM_400000_NS6detail17trampoline_kernelINS0_13select_configILj256ELj13ELNS0_17block_load_methodE3ELS4_3ELS4_3ELNS0_20block_scan_algorithmE0ELj4294967295EEENS1_25partition_config_selectorILNS1_17partition_subalgoE3EjNS0_10empty_typeEbEEZZNS1_14partition_implILS8_3ELb0ES6_jNS0_17counting_iteratorIjlEEPS9_SE_NS0_5tupleIJPjSE_EEENSF_IJSE_SE_EEES9_SG_JZNS1_25segmented_radix_sort_implINS0_14default_configELb1EPKlPlSM_SN_N2at6native12_GLOBAL__N_18offset_tEEE10hipError_tPvRmT1_PNSt15iterator_traitsISV_E10value_typeET2_T3_PNSW_IS11_E10value_typeET4_jRbjT5_S17_jjP12ihipStream_tbEUljE_EEESS_ST_SU_S11_S15_S17_T6_T7_T9_mT8_S19_bDpT10_ENKUlT_T0_E_clISt17integral_constantIbLb1EES1M_EEDaS1H_S1I_EUlS1H_E_NS1_11comp_targetILNS1_3genE10ELNS1_11target_archE1200ELNS1_3gpuE4ELNS1_3repE0EEENS1_30default_config_static_selectorELNS0_4arch9wavefront6targetE0EEEvSV_,"axG",@progbits,_ZN7rocprim17ROCPRIM_400000_NS6detail17trampoline_kernelINS0_13select_configILj256ELj13ELNS0_17block_load_methodE3ELS4_3ELS4_3ELNS0_20block_scan_algorithmE0ELj4294967295EEENS1_25partition_config_selectorILNS1_17partition_subalgoE3EjNS0_10empty_typeEbEEZZNS1_14partition_implILS8_3ELb0ES6_jNS0_17counting_iteratorIjlEEPS9_SE_NS0_5tupleIJPjSE_EEENSF_IJSE_SE_EEES9_SG_JZNS1_25segmented_radix_sort_implINS0_14default_configELb1EPKlPlSM_SN_N2at6native12_GLOBAL__N_18offset_tEEE10hipError_tPvRmT1_PNSt15iterator_traitsISV_E10value_typeET2_T3_PNSW_IS11_E10value_typeET4_jRbjT5_S17_jjP12ihipStream_tbEUljE_EEESS_ST_SU_S11_S15_S17_T6_T7_T9_mT8_S19_bDpT10_ENKUlT_T0_E_clISt17integral_constantIbLb1EES1M_EEDaS1H_S1I_EUlS1H_E_NS1_11comp_targetILNS1_3genE10ELNS1_11target_archE1200ELNS1_3gpuE4ELNS1_3repE0EEENS1_30default_config_static_selectorELNS0_4arch9wavefront6targetE0EEEvSV_,comdat
.Lfunc_end685:
	.size	_ZN7rocprim17ROCPRIM_400000_NS6detail17trampoline_kernelINS0_13select_configILj256ELj13ELNS0_17block_load_methodE3ELS4_3ELS4_3ELNS0_20block_scan_algorithmE0ELj4294967295EEENS1_25partition_config_selectorILNS1_17partition_subalgoE3EjNS0_10empty_typeEbEEZZNS1_14partition_implILS8_3ELb0ES6_jNS0_17counting_iteratorIjlEEPS9_SE_NS0_5tupleIJPjSE_EEENSF_IJSE_SE_EEES9_SG_JZNS1_25segmented_radix_sort_implINS0_14default_configELb1EPKlPlSM_SN_N2at6native12_GLOBAL__N_18offset_tEEE10hipError_tPvRmT1_PNSt15iterator_traitsISV_E10value_typeET2_T3_PNSW_IS11_E10value_typeET4_jRbjT5_S17_jjP12ihipStream_tbEUljE_EEESS_ST_SU_S11_S15_S17_T6_T7_T9_mT8_S19_bDpT10_ENKUlT_T0_E_clISt17integral_constantIbLb1EES1M_EEDaS1H_S1I_EUlS1H_E_NS1_11comp_targetILNS1_3genE10ELNS1_11target_archE1200ELNS1_3gpuE4ELNS1_3repE0EEENS1_30default_config_static_selectorELNS0_4arch9wavefront6targetE0EEEvSV_, .Lfunc_end685-_ZN7rocprim17ROCPRIM_400000_NS6detail17trampoline_kernelINS0_13select_configILj256ELj13ELNS0_17block_load_methodE3ELS4_3ELS4_3ELNS0_20block_scan_algorithmE0ELj4294967295EEENS1_25partition_config_selectorILNS1_17partition_subalgoE3EjNS0_10empty_typeEbEEZZNS1_14partition_implILS8_3ELb0ES6_jNS0_17counting_iteratorIjlEEPS9_SE_NS0_5tupleIJPjSE_EEENSF_IJSE_SE_EEES9_SG_JZNS1_25segmented_radix_sort_implINS0_14default_configELb1EPKlPlSM_SN_N2at6native12_GLOBAL__N_18offset_tEEE10hipError_tPvRmT1_PNSt15iterator_traitsISV_E10value_typeET2_T3_PNSW_IS11_E10value_typeET4_jRbjT5_S17_jjP12ihipStream_tbEUljE_EEESS_ST_SU_S11_S15_S17_T6_T7_T9_mT8_S19_bDpT10_ENKUlT_T0_E_clISt17integral_constantIbLb1EES1M_EEDaS1H_S1I_EUlS1H_E_NS1_11comp_targetILNS1_3genE10ELNS1_11target_archE1200ELNS1_3gpuE4ELNS1_3repE0EEENS1_30default_config_static_selectorELNS0_4arch9wavefront6targetE0EEEvSV_
                                        ; -- End function
	.section	.AMDGPU.csdata,"",@progbits
; Kernel info:
; codeLenInByte = 0
; NumSgprs: 0
; NumVgprs: 0
; ScratchSize: 0
; MemoryBound: 0
; FloatMode: 240
; IeeeMode: 1
; LDSByteSize: 0 bytes/workgroup (compile time only)
; SGPRBlocks: 0
; VGPRBlocks: 0
; NumSGPRsForWavesPerEU: 1
; NumVGPRsForWavesPerEU: 1
; Occupancy: 16
; WaveLimiterHint : 0
; COMPUTE_PGM_RSRC2:SCRATCH_EN: 0
; COMPUTE_PGM_RSRC2:USER_SGPR: 15
; COMPUTE_PGM_RSRC2:TRAP_HANDLER: 0
; COMPUTE_PGM_RSRC2:TGID_X_EN: 1
; COMPUTE_PGM_RSRC2:TGID_Y_EN: 0
; COMPUTE_PGM_RSRC2:TGID_Z_EN: 0
; COMPUTE_PGM_RSRC2:TIDIG_COMP_CNT: 0
	.section	.text._ZN7rocprim17ROCPRIM_400000_NS6detail17trampoline_kernelINS0_13select_configILj256ELj13ELNS0_17block_load_methodE3ELS4_3ELS4_3ELNS0_20block_scan_algorithmE0ELj4294967295EEENS1_25partition_config_selectorILNS1_17partition_subalgoE3EjNS0_10empty_typeEbEEZZNS1_14partition_implILS8_3ELb0ES6_jNS0_17counting_iteratorIjlEEPS9_SE_NS0_5tupleIJPjSE_EEENSF_IJSE_SE_EEES9_SG_JZNS1_25segmented_radix_sort_implINS0_14default_configELb1EPKlPlSM_SN_N2at6native12_GLOBAL__N_18offset_tEEE10hipError_tPvRmT1_PNSt15iterator_traitsISV_E10value_typeET2_T3_PNSW_IS11_E10value_typeET4_jRbjT5_S17_jjP12ihipStream_tbEUljE_EEESS_ST_SU_S11_S15_S17_T6_T7_T9_mT8_S19_bDpT10_ENKUlT_T0_E_clISt17integral_constantIbLb1EES1M_EEDaS1H_S1I_EUlS1H_E_NS1_11comp_targetILNS1_3genE9ELNS1_11target_archE1100ELNS1_3gpuE3ELNS1_3repE0EEENS1_30default_config_static_selectorELNS0_4arch9wavefront6targetE0EEEvSV_,"axG",@progbits,_ZN7rocprim17ROCPRIM_400000_NS6detail17trampoline_kernelINS0_13select_configILj256ELj13ELNS0_17block_load_methodE3ELS4_3ELS4_3ELNS0_20block_scan_algorithmE0ELj4294967295EEENS1_25partition_config_selectorILNS1_17partition_subalgoE3EjNS0_10empty_typeEbEEZZNS1_14partition_implILS8_3ELb0ES6_jNS0_17counting_iteratorIjlEEPS9_SE_NS0_5tupleIJPjSE_EEENSF_IJSE_SE_EEES9_SG_JZNS1_25segmented_radix_sort_implINS0_14default_configELb1EPKlPlSM_SN_N2at6native12_GLOBAL__N_18offset_tEEE10hipError_tPvRmT1_PNSt15iterator_traitsISV_E10value_typeET2_T3_PNSW_IS11_E10value_typeET4_jRbjT5_S17_jjP12ihipStream_tbEUljE_EEESS_ST_SU_S11_S15_S17_T6_T7_T9_mT8_S19_bDpT10_ENKUlT_T0_E_clISt17integral_constantIbLb1EES1M_EEDaS1H_S1I_EUlS1H_E_NS1_11comp_targetILNS1_3genE9ELNS1_11target_archE1100ELNS1_3gpuE3ELNS1_3repE0EEENS1_30default_config_static_selectorELNS0_4arch9wavefront6targetE0EEEvSV_,comdat
	.globl	_ZN7rocprim17ROCPRIM_400000_NS6detail17trampoline_kernelINS0_13select_configILj256ELj13ELNS0_17block_load_methodE3ELS4_3ELS4_3ELNS0_20block_scan_algorithmE0ELj4294967295EEENS1_25partition_config_selectorILNS1_17partition_subalgoE3EjNS0_10empty_typeEbEEZZNS1_14partition_implILS8_3ELb0ES6_jNS0_17counting_iteratorIjlEEPS9_SE_NS0_5tupleIJPjSE_EEENSF_IJSE_SE_EEES9_SG_JZNS1_25segmented_radix_sort_implINS0_14default_configELb1EPKlPlSM_SN_N2at6native12_GLOBAL__N_18offset_tEEE10hipError_tPvRmT1_PNSt15iterator_traitsISV_E10value_typeET2_T3_PNSW_IS11_E10value_typeET4_jRbjT5_S17_jjP12ihipStream_tbEUljE_EEESS_ST_SU_S11_S15_S17_T6_T7_T9_mT8_S19_bDpT10_ENKUlT_T0_E_clISt17integral_constantIbLb1EES1M_EEDaS1H_S1I_EUlS1H_E_NS1_11comp_targetILNS1_3genE9ELNS1_11target_archE1100ELNS1_3gpuE3ELNS1_3repE0EEENS1_30default_config_static_selectorELNS0_4arch9wavefront6targetE0EEEvSV_ ; -- Begin function _ZN7rocprim17ROCPRIM_400000_NS6detail17trampoline_kernelINS0_13select_configILj256ELj13ELNS0_17block_load_methodE3ELS4_3ELS4_3ELNS0_20block_scan_algorithmE0ELj4294967295EEENS1_25partition_config_selectorILNS1_17partition_subalgoE3EjNS0_10empty_typeEbEEZZNS1_14partition_implILS8_3ELb0ES6_jNS0_17counting_iteratorIjlEEPS9_SE_NS0_5tupleIJPjSE_EEENSF_IJSE_SE_EEES9_SG_JZNS1_25segmented_radix_sort_implINS0_14default_configELb1EPKlPlSM_SN_N2at6native12_GLOBAL__N_18offset_tEEE10hipError_tPvRmT1_PNSt15iterator_traitsISV_E10value_typeET2_T3_PNSW_IS11_E10value_typeET4_jRbjT5_S17_jjP12ihipStream_tbEUljE_EEESS_ST_SU_S11_S15_S17_T6_T7_T9_mT8_S19_bDpT10_ENKUlT_T0_E_clISt17integral_constantIbLb1EES1M_EEDaS1H_S1I_EUlS1H_E_NS1_11comp_targetILNS1_3genE9ELNS1_11target_archE1100ELNS1_3gpuE3ELNS1_3repE0EEENS1_30default_config_static_selectorELNS0_4arch9wavefront6targetE0EEEvSV_
	.p2align	8
	.type	_ZN7rocprim17ROCPRIM_400000_NS6detail17trampoline_kernelINS0_13select_configILj256ELj13ELNS0_17block_load_methodE3ELS4_3ELS4_3ELNS0_20block_scan_algorithmE0ELj4294967295EEENS1_25partition_config_selectorILNS1_17partition_subalgoE3EjNS0_10empty_typeEbEEZZNS1_14partition_implILS8_3ELb0ES6_jNS0_17counting_iteratorIjlEEPS9_SE_NS0_5tupleIJPjSE_EEENSF_IJSE_SE_EEES9_SG_JZNS1_25segmented_radix_sort_implINS0_14default_configELb1EPKlPlSM_SN_N2at6native12_GLOBAL__N_18offset_tEEE10hipError_tPvRmT1_PNSt15iterator_traitsISV_E10value_typeET2_T3_PNSW_IS11_E10value_typeET4_jRbjT5_S17_jjP12ihipStream_tbEUljE_EEESS_ST_SU_S11_S15_S17_T6_T7_T9_mT8_S19_bDpT10_ENKUlT_T0_E_clISt17integral_constantIbLb1EES1M_EEDaS1H_S1I_EUlS1H_E_NS1_11comp_targetILNS1_3genE9ELNS1_11target_archE1100ELNS1_3gpuE3ELNS1_3repE0EEENS1_30default_config_static_selectorELNS0_4arch9wavefront6targetE0EEEvSV_,@function
_ZN7rocprim17ROCPRIM_400000_NS6detail17trampoline_kernelINS0_13select_configILj256ELj13ELNS0_17block_load_methodE3ELS4_3ELS4_3ELNS0_20block_scan_algorithmE0ELj4294967295EEENS1_25partition_config_selectorILNS1_17partition_subalgoE3EjNS0_10empty_typeEbEEZZNS1_14partition_implILS8_3ELb0ES6_jNS0_17counting_iteratorIjlEEPS9_SE_NS0_5tupleIJPjSE_EEENSF_IJSE_SE_EEES9_SG_JZNS1_25segmented_radix_sort_implINS0_14default_configELb1EPKlPlSM_SN_N2at6native12_GLOBAL__N_18offset_tEEE10hipError_tPvRmT1_PNSt15iterator_traitsISV_E10value_typeET2_T3_PNSW_IS11_E10value_typeET4_jRbjT5_S17_jjP12ihipStream_tbEUljE_EEESS_ST_SU_S11_S15_S17_T6_T7_T9_mT8_S19_bDpT10_ENKUlT_T0_E_clISt17integral_constantIbLb1EES1M_EEDaS1H_S1I_EUlS1H_E_NS1_11comp_targetILNS1_3genE9ELNS1_11target_archE1100ELNS1_3gpuE3ELNS1_3repE0EEENS1_30default_config_static_selectorELNS0_4arch9wavefront6targetE0EEEvSV_: ; @_ZN7rocprim17ROCPRIM_400000_NS6detail17trampoline_kernelINS0_13select_configILj256ELj13ELNS0_17block_load_methodE3ELS4_3ELS4_3ELNS0_20block_scan_algorithmE0ELj4294967295EEENS1_25partition_config_selectorILNS1_17partition_subalgoE3EjNS0_10empty_typeEbEEZZNS1_14partition_implILS8_3ELb0ES6_jNS0_17counting_iteratorIjlEEPS9_SE_NS0_5tupleIJPjSE_EEENSF_IJSE_SE_EEES9_SG_JZNS1_25segmented_radix_sort_implINS0_14default_configELb1EPKlPlSM_SN_N2at6native12_GLOBAL__N_18offset_tEEE10hipError_tPvRmT1_PNSt15iterator_traitsISV_E10value_typeET2_T3_PNSW_IS11_E10value_typeET4_jRbjT5_S17_jjP12ihipStream_tbEUljE_EEESS_ST_SU_S11_S15_S17_T6_T7_T9_mT8_S19_bDpT10_ENKUlT_T0_E_clISt17integral_constantIbLb1EES1M_EEDaS1H_S1I_EUlS1H_E_NS1_11comp_targetILNS1_3genE9ELNS1_11target_archE1100ELNS1_3gpuE3ELNS1_3repE0EEENS1_30default_config_static_selectorELNS0_4arch9wavefront6targetE0EEEvSV_
; %bb.0:
	s_clause 0x6
	s_load_b64 s[16:17], s[0:1], 0x10
	s_load_b64 s[12:13], s[0:1], 0x28
	;; [unrolled: 1-line block ×3, first 2 shown]
	s_load_b128 s[8:11], s[0:1], 0x48
	s_load_b32 s3, s[0:1], 0x90
	s_load_b64 s[18:19], s[0:1], 0x68
	s_load_b128 s[4:7], s[0:1], 0x80
	v_cmp_eq_u32_e64 s2, 0, v0
	s_delay_alu instid0(VALU_DEP_1)
	s_and_saveexec_b32 s20, s2
	s_cbranch_execz .LBB686_4
; %bb.1:
	s_mov_b32 s22, exec_lo
	s_mov_b32 s21, exec_lo
	v_mbcnt_lo_u32_b32 v1, s22, 0
                                        ; implicit-def: $vgpr2
	s_delay_alu instid0(VALU_DEP_1)
	v_cmpx_eq_u32_e32 0, v1
	s_cbranch_execz .LBB686_3
; %bb.2:
	s_load_b64 s[24:25], s[0:1], 0x78
	s_bcnt1_i32_b32 s22, s22
	s_delay_alu instid0(SALU_CYCLE_1)
	v_dual_mov_b32 v2, 0 :: v_dual_mov_b32 v3, s22
	s_waitcnt lgkmcnt(0)
	global_atomic_add_u32 v2, v2, v3, s[24:25] glc
.LBB686_3:
	s_or_b32 exec_lo, exec_lo, s21
	s_waitcnt vmcnt(0)
	v_readfirstlane_b32 s21, v2
	s_delay_alu instid0(VALU_DEP_1)
	v_dual_mov_b32 v2, 0 :: v_dual_add_nc_u32 v1, s21, v1
	ds_store_b32 v2, v1
.LBB686_4:
	s_or_b32 exec_lo, exec_lo, s20
	v_mov_b32_e32 v1, 0
	s_clause 0x1
	s_load_b32 s20, s[0:1], 0x8
	s_load_b32 s0, s[0:1], 0x70
	s_waitcnt lgkmcnt(0)
	s_barrier
	buffer_gl0_inv
	ds_load_b32 v2, v1
	s_waitcnt lgkmcnt(0)
	s_barrier
	buffer_gl0_inv
	global_load_b64 v[18:19], v1, s[10:11]
	v_lshlrev_b32_e32 v33, 2, v0
	s_add_i32 s21, s20, s16
	s_mul_i32 s1, s0, 0xd00
	s_add_i32 s0, s0, -1
	s_add_u32 s10, s16, s1
	s_addc_u32 s11, s17, 0
	v_mul_lo_u32 v32, 0xd00, v2
	v_readfirstlane_b32 s20, v2
	v_cmp_lt_u64_e64 s11, s[10:11], s[14:15]
	v_cmp_ne_u32_e32 vcc_lo, s0, v2
	s_delay_alu instid0(VALU_DEP_3) | instskip(SKIP_1) | instid1(VALU_DEP_4)
	s_cmp_eq_u32 s20, s0
	s_cselect_b32 s10, -1, 0
	v_add3_u32 v1, v32, s21, v0
	s_delay_alu instid0(VALU_DEP_3) | instskip(SKIP_2) | instid1(VALU_DEP_1)
	s_or_b32 s0, s11, vcc_lo
	s_mov_b32 s11, -1
	s_and_b32 vcc_lo, exec_lo, s0
	v_add_nc_u32_e32 v2, 0x100, v1
	v_add_nc_u32_e32 v3, 0x200, v1
	v_add_nc_u32_e32 v4, 0x300, v1
	v_add_nc_u32_e32 v5, 0x400, v1
	v_add_nc_u32_e32 v6, 0x500, v1
	v_add_nc_u32_e32 v7, 0x600, v1
	v_add_nc_u32_e32 v8, 0x700, v1
	v_add_nc_u32_e32 v9, 0x800, v1
	v_add_nc_u32_e32 v10, 0x900, v1
	v_add_nc_u32_e32 v11, 0xa00, v1
	v_add_nc_u32_e32 v12, 0xb00, v1
	v_add_nc_u32_e32 v13, 0xc00, v1
	s_cbranch_vccz .LBB686_6
; %bb.5:
	ds_store_2addr_stride64_b32 v33, v1, v2 offset1:4
	ds_store_2addr_stride64_b32 v33, v3, v4 offset0:8 offset1:12
	ds_store_2addr_stride64_b32 v33, v5, v6 offset0:16 offset1:20
	;; [unrolled: 1-line block ×5, first 2 shown]
	ds_store_b32 v33, v13 offset:12288
	s_waitcnt vmcnt(0) lgkmcnt(0)
	s_mov_b32 s11, 0
	s_barrier
.LBB686_6:
	s_and_not1_b32 vcc_lo, exec_lo, s11
	s_add_i32 s1, s1, s16
	s_cbranch_vccnz .LBB686_8
; %bb.7:
	ds_store_2addr_stride64_b32 v33, v1, v2 offset1:4
	ds_store_2addr_stride64_b32 v33, v3, v4 offset0:8 offset1:12
	ds_store_2addr_stride64_b32 v33, v5, v6 offset0:16 offset1:20
	;; [unrolled: 1-line block ×5, first 2 shown]
	ds_store_b32 v33, v13 offset:12288
	s_waitcnt vmcnt(0) lgkmcnt(0)
	s_barrier
.LBB686_8:
	v_mul_u32_u24_e32 v36, 13, v0
	s_waitcnt vmcnt(0)
	buffer_gl0_inv
	v_cndmask_b32_e64 v34, 0, 1, s0
	s_sub_i32 s11, s14, s1
	s_and_not1_b32 vcc_lo, exec_lo, s0
	v_lshlrev_b32_e32 v1, 2, v36
	ds_load_2addr_b32 v[30:31], v1 offset1:1
	ds_load_2addr_b32 v[28:29], v1 offset0:2 offset1:3
	ds_load_2addr_b32 v[26:27], v1 offset0:4 offset1:5
	;; [unrolled: 1-line block ×5, first 2 shown]
	ds_load_b32 v35, v1 offset:48
	s_waitcnt lgkmcnt(0)
	s_barrier
	buffer_gl0_inv
	s_cbranch_vccnz .LBB686_10
; %bb.9:
	v_add_nc_u32_e32 v1, s5, v30
	v_add_nc_u32_e32 v2, s7, v30
	v_add_nc_u32_e32 v3, s5, v31
	v_add_nc_u32_e32 v4, s7, v31
	v_add_nc_u32_e32 v5, s5, v28
	v_mul_lo_u32 v1, v1, s4
	v_mul_lo_u32 v2, v2, s6
	v_mul_lo_u32 v3, v3, s4
	v_mul_lo_u32 v4, v4, s6
	v_add_nc_u32_e32 v6, s7, v28
	v_add_nc_u32_e32 v7, s5, v29
	v_add_nc_u32_e32 v8, s7, v29
	v_mul_lo_u32 v5, v5, s4
	v_add_nc_u32_e32 v9, s5, v24
	v_sub_nc_u32_e32 v1, v1, v2
	v_mul_lo_u32 v2, v6, s6
	v_sub_nc_u32_e32 v3, v3, v4
	v_mul_lo_u32 v4, v7, s4
	v_mul_lo_u32 v6, v8, s6
	v_add_nc_u32_e32 v7, s5, v26
	v_cmp_lt_u32_e32 vcc_lo, s3, v1
	v_add_nc_u32_e32 v8, s5, v27
	v_add_nc_u32_e32 v10, s7, v24
	v_sub_nc_u32_e32 v2, v5, v2
	v_add_nc_u32_e32 v5, s7, v26
	v_cndmask_b32_e64 v1, 0, 1, vcc_lo
	v_sub_nc_u32_e32 v4, v4, v6
	v_mul_lo_u32 v6, v7, s4
	v_add_nc_u32_e32 v7, s7, v27
	v_cmp_lt_u32_e32 vcc_lo, s3, v3
	v_mul_lo_u32 v5, v5, s6
	v_mul_lo_u32 v8, v8, s4
	;; [unrolled: 1-line block ×4, first 2 shown]
	v_cndmask_b32_e64 v3, 0, 1, vcc_lo
	v_cmp_lt_u32_e32 vcc_lo, s3, v2
	v_mul_lo_u32 v10, v10, s6
	v_add_nc_u32_e32 v11, s5, v22
	v_sub_nc_u32_e32 v5, v6, v5
	v_add_nc_u32_e32 v12, s7, v22
	v_cndmask_b32_e64 v2, 0, 1, vcc_lo
	v_sub_nc_u32_e32 v6, v8, v7
	v_add_nc_u32_e32 v7, s5, v25
	v_add_nc_u32_e32 v8, s7, v25
	v_cmp_lt_u32_e32 vcc_lo, s3, v4
	v_sub_nc_u32_e32 v9, v9, v10
	v_mul_lo_u32 v10, v11, s4
	v_mul_lo_u32 v7, v7, s4
	;; [unrolled: 1-line block ×4, first 2 shown]
	v_cndmask_b32_e64 v4, 0, 1, vcc_lo
	v_cmp_lt_u32_e32 vcc_lo, s3, v5
	v_add_nc_u32_e32 v12, s5, v23
	v_add_nc_u32_e32 v13, s7, v20
	;; [unrolled: 1-line block ×4, first 2 shown]
	v_cndmask_b32_e64 v5, 0, 1, vcc_lo
	v_cmp_lt_u32_e32 vcc_lo, s3, v6
	v_sub_nc_u32_e32 v7, v7, v8
	v_sub_nc_u32_e32 v8, v10, v11
	v_add_nc_u32_e32 v11, s7, v23
	v_mul_lo_u32 v10, v12, s4
	v_cndmask_b32_e64 v6, 0, 1, vcc_lo
	v_cmp_lt_u32_e32 vcc_lo, s3, v9
	v_add_nc_u32_e32 v12, s5, v20
	v_mul_lo_u32 v11, v11, s6
	v_mul_lo_u32 v13, v13, s6
	;; [unrolled: 1-line block ×3, first 2 shown]
	v_cndmask_b32_e64 v9, 0, 1, vcc_lo
	v_cmp_lt_u32_e32 vcc_lo, s3, v7
	v_mul_lo_u32 v12, v12, s4
	v_mul_lo_u32 v15, v15, s6
	v_lshlrev_b16 v3, 8, v3
	v_sub_nc_u32_e32 v10, v10, v11
	v_cndmask_b32_e64 v7, 0, 1, vcc_lo
	v_cmp_lt_u32_e32 vcc_lo, s3, v8
	v_add_nc_u32_e32 v11, s5, v35
	v_or_b32_e32 v1, v1, v3
	v_sub_nc_u32_e32 v12, v12, v13
	v_sub_nc_u32_e32 v13, v14, v15
	v_cndmask_b32_e64 v8, 0, 1, vcc_lo
	v_cmp_lt_u32_e32 vcc_lo, s3, v10
	v_add_nc_u32_e32 v16, s7, v35
	v_mul_lo_u32 v11, v11, s4
	v_lshlrev_b16 v4, 8, v4
	v_lshlrev_b16 v6, 8, v6
	v_cndmask_b32_e64 v10, 0, 1, vcc_lo
	v_cmp_lt_u32_e32 vcc_lo, s3, v12
	v_mul_lo_u32 v14, v16, s6
	v_lshlrev_b16 v7, 8, v7
	v_or_b32_e32 v2, v2, v4
	v_lshlrev_b16 v10, 8, v10
	v_cndmask_b32_e64 v3, 0, 1, vcc_lo
	v_cmp_lt_u32_e32 vcc_lo, s3, v13
	v_or_b32_e32 v4, v5, v6
	v_or_b32_e32 v5, v9, v7
	v_sub_nc_u32_e32 v11, v11, v14
	v_or_b32_e32 v6, v8, v10
	v_cndmask_b32_e64 v12, 0, 1, vcc_lo
	v_and_b32_e32 v1, 0xffff, v1
	v_lshlrev_b32_e32 v2, 16, v2
	v_and_b32_e32 v4, 0xffff, v4
	v_lshlrev_b32_e32 v5, 16, v5
	v_lshlrev_b16 v12, 8, v12
	v_and_b32_e32 v6, 0xffff, v6
	v_cmp_lt_u32_e32 vcc_lo, s3, v11
	v_or_b32_e32 v42, v1, v2
	v_or_b32_e32 v40, v4, v5
	;; [unrolled: 1-line block ×3, first 2 shown]
	v_cndmask_b32_e64 v37, 0, 1, vcc_lo
	s_delay_alu instid0(VALU_DEP_2) | instskip(NEXT) | instid1(VALU_DEP_1)
	v_lshlrev_b32_e32 v3, 16, v3
	v_or_b32_e32 v38, v6, v3
	s_addk_i32 s11, 0xd00
	s_cbranch_execz .LBB686_11
	s_branch .LBB686_38
.LBB686_10:
                                        ; implicit-def: $vgpr37
                                        ; implicit-def: $vgpr38
                                        ; implicit-def: $vgpr40
                                        ; implicit-def: $vgpr42
	s_addk_i32 s11, 0xd00
.LBB686_11:
	v_dual_mov_b32 v2, 0 :: v_dual_mov_b32 v1, 0
	s_mov_b32 s0, exec_lo
	v_cmpx_gt_u32_e64 s11, v36
; %bb.12:
	v_add_nc_u32_e32 v1, s5, v30
	v_add_nc_u32_e32 v3, s7, v30
	s_delay_alu instid0(VALU_DEP_2) | instskip(NEXT) | instid1(VALU_DEP_2)
	v_mul_lo_u32 v1, v1, s4
	v_mul_lo_u32 v3, v3, s6
	s_delay_alu instid0(VALU_DEP_1) | instskip(NEXT) | instid1(VALU_DEP_1)
	v_sub_nc_u32_e32 v1, v1, v3
	v_cmp_lt_u32_e32 vcc_lo, s3, v1
	v_cndmask_b32_e64 v1, 0, 1, vcc_lo
; %bb.13:
	s_or_b32 exec_lo, exec_lo, s0
	v_add_nc_u32_e32 v3, 1, v36
	s_mov_b32 s0, exec_lo
	s_delay_alu instid0(VALU_DEP_1)
	v_cmpx_gt_u32_e64 s11, v3
; %bb.14:
	v_add_nc_u32_e32 v2, s5, v31
	v_add_nc_u32_e32 v3, s7, v31
	s_delay_alu instid0(VALU_DEP_2) | instskip(NEXT) | instid1(VALU_DEP_2)
	v_mul_lo_u32 v2, v2, s4
	v_mul_lo_u32 v3, v3, s6
	s_delay_alu instid0(VALU_DEP_1) | instskip(NEXT) | instid1(VALU_DEP_1)
	v_sub_nc_u32_e32 v2, v2, v3
	v_cmp_lt_u32_e32 vcc_lo, s3, v2
	v_cndmask_b32_e64 v2, 0, 1, vcc_lo
; %bb.15:
	s_or_b32 exec_lo, exec_lo, s0
	v_dual_mov_b32 v4, 0 :: v_dual_add_nc_u32 v3, 2, v36
	s_delay_alu instid0(VALU_DEP_1)
	v_cmp_gt_u32_e32 vcc_lo, s11, v3
	v_mov_b32_e32 v3, 0
	s_and_saveexec_b32 s0, vcc_lo
; %bb.16:
	v_add_nc_u32_e32 v3, s5, v28
	v_add_nc_u32_e32 v5, s7, v28
	s_delay_alu instid0(VALU_DEP_2) | instskip(NEXT) | instid1(VALU_DEP_2)
	v_mul_lo_u32 v3, v3, s4
	v_mul_lo_u32 v5, v5, s6
	s_delay_alu instid0(VALU_DEP_1) | instskip(NEXT) | instid1(VALU_DEP_1)
	v_sub_nc_u32_e32 v3, v3, v5
	v_cmp_lt_u32_e32 vcc_lo, s3, v3
	v_cndmask_b32_e64 v3, 0, 1, vcc_lo
; %bb.17:
	s_or_b32 exec_lo, exec_lo, s0
	v_add_nc_u32_e32 v5, 3, v36
	s_mov_b32 s0, exec_lo
	s_delay_alu instid0(VALU_DEP_1)
	v_cmpx_gt_u32_e64 s11, v5
; %bb.18:
	v_add_nc_u32_e32 v4, s5, v29
	v_add_nc_u32_e32 v5, s7, v29
	s_delay_alu instid0(VALU_DEP_2) | instskip(NEXT) | instid1(VALU_DEP_2)
	v_mul_lo_u32 v4, v4, s4
	v_mul_lo_u32 v5, v5, s6
	s_delay_alu instid0(VALU_DEP_1) | instskip(NEXT) | instid1(VALU_DEP_1)
	v_sub_nc_u32_e32 v4, v4, v5
	v_cmp_lt_u32_e32 vcc_lo, s3, v4
	v_cndmask_b32_e64 v4, 0, 1, vcc_lo
; %bb.19:
	s_or_b32 exec_lo, exec_lo, s0
	v_dual_mov_b32 v6, 0 :: v_dual_add_nc_u32 v5, 4, v36
	s_delay_alu instid0(VALU_DEP_1)
	v_cmp_gt_u32_e32 vcc_lo, s11, v5
	v_mov_b32_e32 v5, 0
	s_and_saveexec_b32 s0, vcc_lo
; %bb.20:
	v_add_nc_u32_e32 v5, s5, v26
	v_add_nc_u32_e32 v7, s7, v26
	s_delay_alu instid0(VALU_DEP_2) | instskip(NEXT) | instid1(VALU_DEP_2)
	v_mul_lo_u32 v5, v5, s4
	v_mul_lo_u32 v7, v7, s6
	s_delay_alu instid0(VALU_DEP_1) | instskip(NEXT) | instid1(VALU_DEP_1)
	v_sub_nc_u32_e32 v5, v5, v7
	v_cmp_lt_u32_e32 vcc_lo, s3, v5
	v_cndmask_b32_e64 v5, 0, 1, vcc_lo
; %bb.21:
	s_or_b32 exec_lo, exec_lo, s0
	v_add_nc_u32_e32 v7, 5, v36
	s_mov_b32 s0, exec_lo
	s_delay_alu instid0(VALU_DEP_1)
	v_cmpx_gt_u32_e64 s11, v7
; %bb.22:
	v_add_nc_u32_e32 v6, s5, v27
	v_add_nc_u32_e32 v7, s7, v27
	s_delay_alu instid0(VALU_DEP_2) | instskip(NEXT) | instid1(VALU_DEP_2)
	v_mul_lo_u32 v6, v6, s4
	v_mul_lo_u32 v7, v7, s6
	s_delay_alu instid0(VALU_DEP_1) | instskip(NEXT) | instid1(VALU_DEP_1)
	v_sub_nc_u32_e32 v6, v6, v7
	v_cmp_lt_u32_e32 vcc_lo, s3, v6
	v_cndmask_b32_e64 v6, 0, 1, vcc_lo
; %bb.23:
	s_or_b32 exec_lo, exec_lo, s0
	v_dual_mov_b32 v8, 0 :: v_dual_add_nc_u32 v7, 6, v36
	s_delay_alu instid0(VALU_DEP_1)
	v_cmp_gt_u32_e32 vcc_lo, s11, v7
	v_mov_b32_e32 v7, 0
	s_and_saveexec_b32 s0, vcc_lo
; %bb.24:
	v_add_nc_u32_e32 v7, s5, v24
	v_add_nc_u32_e32 v9, s7, v24
	s_delay_alu instid0(VALU_DEP_2) | instskip(NEXT) | instid1(VALU_DEP_2)
	v_mul_lo_u32 v7, v7, s4
	v_mul_lo_u32 v9, v9, s6
	s_delay_alu instid0(VALU_DEP_1) | instskip(NEXT) | instid1(VALU_DEP_1)
	v_sub_nc_u32_e32 v7, v7, v9
	v_cmp_lt_u32_e32 vcc_lo, s3, v7
	v_cndmask_b32_e64 v7, 0, 1, vcc_lo
; %bb.25:
	s_or_b32 exec_lo, exec_lo, s0
	v_add_nc_u32_e32 v9, 7, v36
	s_mov_b32 s0, exec_lo
	s_delay_alu instid0(VALU_DEP_1)
	v_cmpx_gt_u32_e64 s11, v9
; %bb.26:
	v_add_nc_u32_e32 v8, s5, v25
	v_add_nc_u32_e32 v9, s7, v25
	s_delay_alu instid0(VALU_DEP_2) | instskip(NEXT) | instid1(VALU_DEP_2)
	v_mul_lo_u32 v8, v8, s4
	v_mul_lo_u32 v9, v9, s6
	s_delay_alu instid0(VALU_DEP_1) | instskip(NEXT) | instid1(VALU_DEP_1)
	v_sub_nc_u32_e32 v8, v8, v9
	v_cmp_lt_u32_e32 vcc_lo, s3, v8
	v_cndmask_b32_e64 v8, 0, 1, vcc_lo
; %bb.27:
	s_or_b32 exec_lo, exec_lo, s0
	v_dual_mov_b32 v10, 0 :: v_dual_add_nc_u32 v9, 8, v36
	s_delay_alu instid0(VALU_DEP_1)
	v_cmp_gt_u32_e32 vcc_lo, s11, v9
	v_mov_b32_e32 v9, 0
	s_and_saveexec_b32 s0, vcc_lo
; %bb.28:
	v_add_nc_u32_e32 v9, s5, v22
	v_add_nc_u32_e32 v11, s7, v22
	s_delay_alu instid0(VALU_DEP_2) | instskip(NEXT) | instid1(VALU_DEP_2)
	v_mul_lo_u32 v9, v9, s4
	v_mul_lo_u32 v11, v11, s6
	s_delay_alu instid0(VALU_DEP_1) | instskip(NEXT) | instid1(VALU_DEP_1)
	v_sub_nc_u32_e32 v9, v9, v11
	v_cmp_lt_u32_e32 vcc_lo, s3, v9
	v_cndmask_b32_e64 v9, 0, 1, vcc_lo
; %bb.29:
	s_or_b32 exec_lo, exec_lo, s0
	v_add_nc_u32_e32 v11, 9, v36
	s_mov_b32 s0, exec_lo
	s_delay_alu instid0(VALU_DEP_1)
	v_cmpx_gt_u32_e64 s11, v11
; %bb.30:
	v_add_nc_u32_e32 v10, s5, v23
	v_add_nc_u32_e32 v11, s7, v23
	s_delay_alu instid0(VALU_DEP_2) | instskip(NEXT) | instid1(VALU_DEP_2)
	v_mul_lo_u32 v10, v10, s4
	v_mul_lo_u32 v11, v11, s6
	s_delay_alu instid0(VALU_DEP_1) | instskip(NEXT) | instid1(VALU_DEP_1)
	v_sub_nc_u32_e32 v10, v10, v11
	v_cmp_lt_u32_e32 vcc_lo, s3, v10
	v_cndmask_b32_e64 v10, 0, 1, vcc_lo
; %bb.31:
	s_or_b32 exec_lo, exec_lo, s0
	v_dual_mov_b32 v12, 0 :: v_dual_add_nc_u32 v11, 10, v36
	s_delay_alu instid0(VALU_DEP_1)
	v_cmp_gt_u32_e32 vcc_lo, s11, v11
	v_mov_b32_e32 v11, 0
	s_and_saveexec_b32 s0, vcc_lo
; %bb.32:
	v_add_nc_u32_e32 v11, s5, v20
	v_add_nc_u32_e32 v13, s7, v20
	s_delay_alu instid0(VALU_DEP_2) | instskip(NEXT) | instid1(VALU_DEP_2)
	v_mul_lo_u32 v11, v11, s4
	v_mul_lo_u32 v13, v13, s6
	s_delay_alu instid0(VALU_DEP_1) | instskip(NEXT) | instid1(VALU_DEP_1)
	v_sub_nc_u32_e32 v11, v11, v13
	v_cmp_lt_u32_e32 vcc_lo, s3, v11
	v_cndmask_b32_e64 v11, 0, 1, vcc_lo
; %bb.33:
	s_or_b32 exec_lo, exec_lo, s0
	v_add_nc_u32_e32 v13, 11, v36
	s_mov_b32 s0, exec_lo
	s_delay_alu instid0(VALU_DEP_1)
	v_cmpx_gt_u32_e64 s11, v13
; %bb.34:
	v_add_nc_u32_e32 v12, s5, v21
	v_add_nc_u32_e32 v13, s7, v21
	s_delay_alu instid0(VALU_DEP_2) | instskip(NEXT) | instid1(VALU_DEP_2)
	v_mul_lo_u32 v12, v12, s4
	v_mul_lo_u32 v13, v13, s6
	s_delay_alu instid0(VALU_DEP_1) | instskip(NEXT) | instid1(VALU_DEP_1)
	v_sub_nc_u32_e32 v12, v12, v13
	v_cmp_lt_u32_e32 vcc_lo, s3, v12
	v_cndmask_b32_e64 v12, 0, 1, vcc_lo
; %bb.35:
	s_or_b32 exec_lo, exec_lo, s0
	v_add_nc_u32_e32 v13, 12, v36
	v_mov_b32_e32 v37, 0
	s_mov_b32 s0, exec_lo
	s_delay_alu instid0(VALU_DEP_2)
	v_cmpx_gt_u32_e64 s11, v13
; %bb.36:
	v_add_nc_u32_e32 v13, s5, v35
	v_add_nc_u32_e32 v14, s7, v35
	s_delay_alu instid0(VALU_DEP_2) | instskip(NEXT) | instid1(VALU_DEP_2)
	v_mul_lo_u32 v13, v13, s4
	v_mul_lo_u32 v14, v14, s6
	s_delay_alu instid0(VALU_DEP_1) | instskip(NEXT) | instid1(VALU_DEP_1)
	v_sub_nc_u32_e32 v13, v13, v14
	v_cmp_lt_u32_e32 vcc_lo, s3, v13
	v_cndmask_b32_e64 v37, 0, 1, vcc_lo
; %bb.37:
	s_or_b32 exec_lo, exec_lo, s0
	v_lshlrev_b16 v2, 8, v2
	v_lshlrev_b16 v4, 8, v4
	;; [unrolled: 1-line block ×5, first 2 shown]
	v_or_b32_e32 v1, v1, v2
	v_lshlrev_b16 v2, 8, v12
	v_or_b32_e32 v3, v3, v4
	v_or_b32_e32 v4, v5, v6
	v_or_b32_e32 v5, v7, v8
	v_or_b32_e32 v6, v9, v10
	v_or_b32_e32 v2, v11, v2
	v_and_b32_e32 v1, 0xffff, v1
	v_lshlrev_b32_e32 v3, 16, v3
	v_and_b32_e32 v4, 0xffff, v4
	v_lshlrev_b32_e32 v5, 16, v5
	;; [unrolled: 2-line block ×3, first 2 shown]
	v_or_b32_e32 v42, v1, v3
	s_delay_alu instid0(VALU_DEP_4) | instskip(NEXT) | instid1(VALU_DEP_3)
	v_or_b32_e32 v40, v4, v5
	v_or_b32_e32 v38, v6, v2
.LBB686_38:
	s_delay_alu instid0(VALU_DEP_3)
	v_and_b32_e32 v44, 0xff, v42
	v_bfe_u32 v45, v42, 8, 8
	v_bfe_u32 v46, v42, 16, 8
	v_lshrrev_b32_e32 v43, 24, v42
	v_and_b32_e32 v47, 0xff, v40
	v_bfe_u32 v48, v40, 8, 8
	v_bfe_u32 v49, v40, 16, 8
	v_add3_u32 v1, v45, v44, v46
	v_lshrrev_b32_e32 v41, 24, v40
	v_and_b32_e32 v50, 0xff, v38
	v_bfe_u32 v51, v38, 8, 8
	v_mbcnt_lo_u32_b32 v53, -1, 0
	v_add3_u32 v1, v1, v43, v47
	v_bfe_u32 v52, v38, 16, 8
	v_lshrrev_b32_e32 v39, 24, v38
	v_and_b32_e32 v2, 0xff, v37
	v_and_b32_e32 v3, 15, v53
	v_add3_u32 v1, v1, v48, v49
	v_or_b32_e32 v4, 31, v0
	v_and_b32_e32 v5, 16, v53
	v_lshrrev_b32_e32 v54, 5, v0
	v_cmp_eq_u32_e64 s6, 0, v3
	v_add3_u32 v1, v1, v41, v50
	v_cmp_lt_u32_e64 s5, 1, v3
	v_cmp_lt_u32_e64 s4, 3, v3
	;; [unrolled: 1-line block ×3, first 2 shown]
	v_cmp_eq_u32_e64 s1, 0, v5
	v_add3_u32 v1, v1, v51, v52
	v_cmp_eq_u32_e64 s0, v4, v0
	s_cmp_lg_u32 s20, 0
	s_mov_b32 s7, -1
	s_delay_alu instid0(VALU_DEP_2)
	v_add3_u32 v55, v1, v39, v2
	s_cbranch_scc0 .LBB686_69
; %bb.39:
	s_delay_alu instid0(VALU_DEP_1) | instskip(NEXT) | instid1(VALU_DEP_1)
	v_mov_b32_dpp v1, v55 row_shr:1 row_mask:0xf bank_mask:0xf
	v_cndmask_b32_e64 v1, v1, 0, s6
	s_delay_alu instid0(VALU_DEP_1) | instskip(NEXT) | instid1(VALU_DEP_1)
	v_add_nc_u32_e32 v1, v1, v55
	v_mov_b32_dpp v2, v1 row_shr:2 row_mask:0xf bank_mask:0xf
	s_delay_alu instid0(VALU_DEP_1) | instskip(NEXT) | instid1(VALU_DEP_1)
	v_cndmask_b32_e64 v2, 0, v2, s5
	v_add_nc_u32_e32 v1, v1, v2
	s_delay_alu instid0(VALU_DEP_1) | instskip(NEXT) | instid1(VALU_DEP_1)
	v_mov_b32_dpp v2, v1 row_shr:4 row_mask:0xf bank_mask:0xf
	v_cndmask_b32_e64 v2, 0, v2, s4
	s_delay_alu instid0(VALU_DEP_1) | instskip(NEXT) | instid1(VALU_DEP_1)
	v_add_nc_u32_e32 v1, v1, v2
	v_mov_b32_dpp v2, v1 row_shr:8 row_mask:0xf bank_mask:0xf
	s_delay_alu instid0(VALU_DEP_1) | instskip(NEXT) | instid1(VALU_DEP_1)
	v_cndmask_b32_e64 v2, 0, v2, s3
	v_add_nc_u32_e32 v1, v1, v2
	ds_swizzle_b32 v2, v1 offset:swizzle(BROADCAST,32,15)
	s_waitcnt lgkmcnt(0)
	v_cndmask_b32_e64 v2, v2, 0, s1
	s_delay_alu instid0(VALU_DEP_1)
	v_add_nc_u32_e32 v1, v1, v2
	s_and_saveexec_b32 s7, s0
	s_cbranch_execz .LBB686_41
; %bb.40:
	v_lshlrev_b32_e32 v2, 2, v54
	ds_store_b32 v2, v1
.LBB686_41:
	s_or_b32 exec_lo, exec_lo, s7
	s_delay_alu instid0(SALU_CYCLE_1)
	s_mov_b32 s7, exec_lo
	s_waitcnt lgkmcnt(0)
	s_barrier
	buffer_gl0_inv
	v_cmpx_gt_u32_e32 8, v0
	s_cbranch_execz .LBB686_43
; %bb.42:
	ds_load_b32 v2, v33
	s_waitcnt lgkmcnt(0)
	v_mov_b32_dpp v4, v2 row_shr:1 row_mask:0xf bank_mask:0xf
	v_and_b32_e32 v3, 7, v53
	s_delay_alu instid0(VALU_DEP_1) | instskip(NEXT) | instid1(VALU_DEP_3)
	v_cmp_ne_u32_e32 vcc_lo, 0, v3
	v_cndmask_b32_e32 v4, 0, v4, vcc_lo
	v_cmp_lt_u32_e32 vcc_lo, 1, v3
	s_delay_alu instid0(VALU_DEP_2) | instskip(NEXT) | instid1(VALU_DEP_1)
	v_add_nc_u32_e32 v2, v4, v2
	v_mov_b32_dpp v4, v2 row_shr:2 row_mask:0xf bank_mask:0xf
	s_delay_alu instid0(VALU_DEP_1) | instskip(SKIP_1) | instid1(VALU_DEP_2)
	v_cndmask_b32_e32 v4, 0, v4, vcc_lo
	v_cmp_lt_u32_e32 vcc_lo, 3, v3
	v_add_nc_u32_e32 v2, v2, v4
	s_delay_alu instid0(VALU_DEP_1) | instskip(NEXT) | instid1(VALU_DEP_1)
	v_mov_b32_dpp v4, v2 row_shr:4 row_mask:0xf bank_mask:0xf
	v_cndmask_b32_e32 v3, 0, v4, vcc_lo
	s_delay_alu instid0(VALU_DEP_1)
	v_add_nc_u32_e32 v2, v2, v3
	ds_store_b32 v33, v2
.LBB686_43:
	s_or_b32 exec_lo, exec_lo, s7
	v_cmp_gt_u32_e32 vcc_lo, 32, v0
	s_mov_b32 s21, exec_lo
	s_waitcnt lgkmcnt(0)
	s_barrier
	buffer_gl0_inv
                                        ; implicit-def: $vgpr8
	v_cmpx_lt_u32_e32 31, v0
	s_cbranch_execz .LBB686_45
; %bb.44:
	v_lshl_add_u32 v2, v54, 2, -4
	ds_load_b32 v8, v2
	s_waitcnt lgkmcnt(0)
	v_add_nc_u32_e32 v1, v8, v1
.LBB686_45:
	s_or_b32 exec_lo, exec_lo, s21
	v_add_nc_u32_e32 v2, -1, v53
	s_delay_alu instid0(VALU_DEP_1) | instskip(NEXT) | instid1(VALU_DEP_1)
	v_cmp_gt_i32_e64 s7, 0, v2
	v_cndmask_b32_e64 v2, v2, v53, s7
	v_cmp_eq_u32_e64 s7, 0, v53
	s_delay_alu instid0(VALU_DEP_2)
	v_lshlrev_b32_e32 v2, 2, v2
	ds_bpermute_b32 v9, v2, v1
	s_and_saveexec_b32 s21, vcc_lo
	s_cbranch_execz .LBB686_68
; %bb.46:
	v_mov_b32_e32 v4, 0
	ds_load_b32 v1, v4 offset:28
	s_and_saveexec_b32 s22, s7
	s_cbranch_execz .LBB686_48
; %bb.47:
	s_add_i32 s24, s20, 32
	s_mov_b32 s25, 0
	v_mov_b32_e32 v2, 1
	s_lshl_b64 s[24:25], s[24:25], 3
	s_delay_alu instid0(SALU_CYCLE_1)
	s_add_u32 s24, s18, s24
	s_addc_u32 s25, s19, s25
	s_waitcnt lgkmcnt(0)
	global_store_b64 v4, v[1:2], s[24:25]
.LBB686_48:
	s_or_b32 exec_lo, exec_lo, s22
	v_xad_u32 v2, v53, -1, s20
	s_mov_b32 s23, 0
	s_mov_b32 s22, exec_lo
	s_delay_alu instid0(VALU_DEP_1) | instskip(NEXT) | instid1(VALU_DEP_1)
	v_add_nc_u32_e32 v3, 32, v2
	v_lshlrev_b64 v[3:4], 3, v[3:4]
	s_delay_alu instid0(VALU_DEP_1) | instskip(NEXT) | instid1(VALU_DEP_2)
	v_add_co_u32 v6, vcc_lo, s18, v3
	v_add_co_ci_u32_e32 v7, vcc_lo, s19, v4, vcc_lo
	global_load_b64 v[4:5], v[6:7], off glc
	s_waitcnt vmcnt(0)
	v_and_b32_e32 v3, 0xff, v5
	s_delay_alu instid0(VALU_DEP_1)
	v_cmpx_eq_u16_e32 0, v3
	s_cbranch_execz .LBB686_54
; %bb.49:
	s_mov_b32 s24, 1
	.p2align	6
.LBB686_50:                             ; =>This Loop Header: Depth=1
                                        ;     Child Loop BB686_51 Depth 2
	s_delay_alu instid0(SALU_CYCLE_1)
	s_max_u32 s25, s24, 1
.LBB686_51:                             ;   Parent Loop BB686_50 Depth=1
                                        ; =>  This Inner Loop Header: Depth=2
	s_delay_alu instid0(SALU_CYCLE_1)
	s_add_i32 s25, s25, -1
	s_sleep 1
	s_cmp_eq_u32 s25, 0
	s_cbranch_scc0 .LBB686_51
; %bb.52:                               ;   in Loop: Header=BB686_50 Depth=1
	global_load_b64 v[4:5], v[6:7], off glc
	s_cmp_lt_u32 s24, 32
	s_cselect_b32 s25, -1, 0
	s_delay_alu instid0(SALU_CYCLE_1) | instskip(SKIP_3) | instid1(VALU_DEP_1)
	s_cmp_lg_u32 s25, 0
	s_addc_u32 s24, s24, 0
	s_waitcnt vmcnt(0)
	v_and_b32_e32 v3, 0xff, v5
	v_cmp_ne_u16_e32 vcc_lo, 0, v3
	s_or_b32 s23, vcc_lo, s23
	s_delay_alu instid0(SALU_CYCLE_1)
	s_and_not1_b32 exec_lo, exec_lo, s23
	s_cbranch_execnz .LBB686_50
; %bb.53:
	s_or_b32 exec_lo, exec_lo, s23
.LBB686_54:
	s_delay_alu instid0(SALU_CYCLE_1)
	s_or_b32 exec_lo, exec_lo, s22
	v_cmp_ne_u32_e32 vcc_lo, 31, v53
	v_lshlrev_b32_e64 v11, v53, -1
	v_add_nc_u32_e32 v13, 2, v53
	v_add_nc_u32_e32 v15, 4, v53
	v_add_nc_u32_e32 v56, 8, v53
	v_add_co_ci_u32_e32 v3, vcc_lo, 0, v53, vcc_lo
	v_add_nc_u32_e32 v58, 16, v53
	s_delay_alu instid0(VALU_DEP_2) | instskip(SKIP_2) | instid1(VALU_DEP_1)
	v_lshlrev_b32_e32 v10, 2, v3
	ds_bpermute_b32 v6, v10, v4
	v_and_b32_e32 v3, 0xff, v5
	v_cmp_eq_u16_e32 vcc_lo, 2, v3
	v_and_or_b32 v3, vcc_lo, v11, 0x80000000
	v_cmp_gt_u32_e32 vcc_lo, 30, v53
	s_delay_alu instid0(VALU_DEP_2) | instskip(SKIP_1) | instid1(VALU_DEP_2)
	v_ctz_i32_b32_e32 v3, v3
	v_cndmask_b32_e64 v7, 0, 1, vcc_lo
	v_cmp_lt_u32_e32 vcc_lo, v53, v3
	s_waitcnt lgkmcnt(0)
	s_delay_alu instid0(VALU_DEP_2) | instskip(NEXT) | instid1(VALU_DEP_1)
	v_dual_cndmask_b32 v6, 0, v6 :: v_dual_lshlrev_b32 v7, 1, v7
	v_add_lshl_u32 v12, v7, v53, 2
	v_cmp_gt_u32_e32 vcc_lo, 28, v53
	s_delay_alu instid0(VALU_DEP_3) | instskip(SKIP_4) | instid1(VALU_DEP_1)
	v_add_nc_u32_e32 v4, v6, v4
	v_cndmask_b32_e64 v7, 0, 1, vcc_lo
	v_cmp_le_u32_e32 vcc_lo, v13, v3
	ds_bpermute_b32 v6, v12, v4
	v_lshlrev_b32_e32 v7, 2, v7
	v_add_lshl_u32 v14, v7, v53, 2
	s_waitcnt lgkmcnt(0)
	v_cndmask_b32_e32 v6, 0, v6, vcc_lo
	v_cmp_gt_u32_e32 vcc_lo, 24, v53
	s_delay_alu instid0(VALU_DEP_2) | instskip(SKIP_4) | instid1(VALU_DEP_1)
	v_add_nc_u32_e32 v4, v4, v6
	v_cndmask_b32_e64 v7, 0, 1, vcc_lo
	v_cmp_le_u32_e32 vcc_lo, v15, v3
	ds_bpermute_b32 v6, v14, v4
	v_lshlrev_b32_e32 v7, 3, v7
	v_add_lshl_u32 v17, v7, v53, 2
	s_waitcnt lgkmcnt(0)
	v_cndmask_b32_e32 v6, 0, v6, vcc_lo
	v_cmp_gt_u32_e32 vcc_lo, 16, v53
	s_delay_alu instid0(VALU_DEP_2) | instskip(SKIP_4) | instid1(VALU_DEP_1)
	v_add_nc_u32_e32 v4, v4, v6
	v_cndmask_b32_e64 v7, 0, 1, vcc_lo
	v_cmp_le_u32_e32 vcc_lo, v56, v3
	ds_bpermute_b32 v6, v17, v4
	v_lshlrev_b32_e32 v7, 4, v7
	v_add_lshl_u32 v57, v7, v53, 2
	s_waitcnt lgkmcnt(0)
	v_cndmask_b32_e32 v6, 0, v6, vcc_lo
	v_cmp_le_u32_e32 vcc_lo, v58, v3
	s_delay_alu instid0(VALU_DEP_2) | instskip(SKIP_3) | instid1(VALU_DEP_1)
	v_add_nc_u32_e32 v4, v4, v6
	ds_bpermute_b32 v6, v57, v4
	s_waitcnt lgkmcnt(0)
	v_cndmask_b32_e32 v3, 0, v6, vcc_lo
	v_dual_mov_b32 v3, 0 :: v_dual_add_nc_u32 v4, v4, v3
	s_branch .LBB686_56
.LBB686_55:                             ;   in Loop: Header=BB686_56 Depth=1
	s_or_b32 exec_lo, exec_lo, s22
	ds_bpermute_b32 v7, v10, v4
	v_and_b32_e32 v6, 0xff, v5
	v_subrev_nc_u32_e32 v2, 32, v2
	s_delay_alu instid0(VALU_DEP_2) | instskip(SKIP_1) | instid1(VALU_DEP_1)
	v_cmp_eq_u16_e32 vcc_lo, 2, v6
	v_and_or_b32 v6, vcc_lo, v11, 0x80000000
	v_ctz_i32_b32_e32 v6, v6
	s_delay_alu instid0(VALU_DEP_1) | instskip(SKIP_3) | instid1(VALU_DEP_2)
	v_cmp_lt_u32_e32 vcc_lo, v53, v6
	s_waitcnt lgkmcnt(0)
	v_cndmask_b32_e32 v7, 0, v7, vcc_lo
	v_cmp_le_u32_e32 vcc_lo, v13, v6
	v_add_nc_u32_e32 v4, v7, v4
	ds_bpermute_b32 v7, v12, v4
	s_waitcnt lgkmcnt(0)
	v_cndmask_b32_e32 v7, 0, v7, vcc_lo
	v_cmp_le_u32_e32 vcc_lo, v15, v6
	s_delay_alu instid0(VALU_DEP_2) | instskip(SKIP_4) | instid1(VALU_DEP_2)
	v_add_nc_u32_e32 v4, v4, v7
	ds_bpermute_b32 v7, v14, v4
	s_waitcnt lgkmcnt(0)
	v_cndmask_b32_e32 v7, 0, v7, vcc_lo
	v_cmp_le_u32_e32 vcc_lo, v56, v6
	v_add_nc_u32_e32 v4, v4, v7
	ds_bpermute_b32 v7, v17, v4
	s_waitcnt lgkmcnt(0)
	v_cndmask_b32_e32 v7, 0, v7, vcc_lo
	v_cmp_le_u32_e32 vcc_lo, v58, v6
	s_delay_alu instid0(VALU_DEP_2) | instskip(SKIP_3) | instid1(VALU_DEP_1)
	v_add_nc_u32_e32 v4, v4, v7
	ds_bpermute_b32 v7, v57, v4
	s_waitcnt lgkmcnt(0)
	v_cndmask_b32_e32 v6, 0, v7, vcc_lo
	v_add3_u32 v4, v6, v16, v4
.LBB686_56:                             ; =>This Loop Header: Depth=1
                                        ;     Child Loop BB686_59 Depth 2
                                        ;       Child Loop BB686_60 Depth 3
	s_delay_alu instid0(VALU_DEP_1) | instskip(NEXT) | instid1(VALU_DEP_1)
	v_dual_mov_b32 v16, v4 :: v_dual_and_b32 v5, 0xff, v5
	v_cmp_ne_u16_e32 vcc_lo, 2, v5
	v_cndmask_b32_e64 v5, 0, 1, vcc_lo
	;;#ASMSTART
	;;#ASMEND
	s_delay_alu instid0(VALU_DEP_1)
	v_cmp_ne_u32_e32 vcc_lo, 0, v5
	s_cmp_lg_u32 vcc_lo, exec_lo
	s_cbranch_scc1 .LBB686_63
; %bb.57:                               ;   in Loop: Header=BB686_56 Depth=1
	v_lshlrev_b64 v[4:5], 3, v[2:3]
	s_mov_b32 s22, exec_lo
	s_delay_alu instid0(VALU_DEP_1) | instskip(NEXT) | instid1(VALU_DEP_2)
	v_add_co_u32 v6, vcc_lo, s18, v4
	v_add_co_ci_u32_e32 v7, vcc_lo, s19, v5, vcc_lo
	global_load_b64 v[4:5], v[6:7], off glc
	s_waitcnt vmcnt(0)
	v_and_b32_e32 v59, 0xff, v5
	s_delay_alu instid0(VALU_DEP_1)
	v_cmpx_eq_u16_e32 0, v59
	s_cbranch_execz .LBB686_55
; %bb.58:                               ;   in Loop: Header=BB686_56 Depth=1
	s_mov_b32 s24, 1
	s_mov_b32 s23, 0
	.p2align	6
.LBB686_59:                             ;   Parent Loop BB686_56 Depth=1
                                        ; =>  This Loop Header: Depth=2
                                        ;       Child Loop BB686_60 Depth 3
	s_max_u32 s25, s24, 1
.LBB686_60:                             ;   Parent Loop BB686_56 Depth=1
                                        ;     Parent Loop BB686_59 Depth=2
                                        ; =>    This Inner Loop Header: Depth=3
	s_delay_alu instid0(SALU_CYCLE_1)
	s_add_i32 s25, s25, -1
	s_sleep 1
	s_cmp_eq_u32 s25, 0
	s_cbranch_scc0 .LBB686_60
; %bb.61:                               ;   in Loop: Header=BB686_59 Depth=2
	global_load_b64 v[4:5], v[6:7], off glc
	s_cmp_lt_u32 s24, 32
	s_cselect_b32 s25, -1, 0
	s_delay_alu instid0(SALU_CYCLE_1) | instskip(SKIP_3) | instid1(VALU_DEP_1)
	s_cmp_lg_u32 s25, 0
	s_addc_u32 s24, s24, 0
	s_waitcnt vmcnt(0)
	v_and_b32_e32 v59, 0xff, v5
	v_cmp_ne_u16_e32 vcc_lo, 0, v59
	s_or_b32 s23, vcc_lo, s23
	s_delay_alu instid0(SALU_CYCLE_1)
	s_and_not1_b32 exec_lo, exec_lo, s23
	s_cbranch_execnz .LBB686_59
; %bb.62:                               ;   in Loop: Header=BB686_56 Depth=1
	s_or_b32 exec_lo, exec_lo, s23
	s_branch .LBB686_55
.LBB686_63:                             ;   in Loop: Header=BB686_56 Depth=1
                                        ; implicit-def: $vgpr4
                                        ; implicit-def: $vgpr5
	s_cbranch_execz .LBB686_56
; %bb.64:
	s_and_saveexec_b32 s22, s7
	s_cbranch_execz .LBB686_66
; %bb.65:
	s_add_i32 s24, s20, 32
	s_mov_b32 s25, 0
	v_dual_mov_b32 v3, 2 :: v_dual_add_nc_u32 v2, v16, v1
	s_lshl_b64 s[24:25], s[24:25], 3
	v_mov_b32_e32 v4, 0
	v_add_nc_u32_e64 v5, 0x3400, 0
	s_add_u32 s24, s18, s24
	s_addc_u32 s25, s19, s25
	global_store_b64 v4, v[2:3], s[24:25]
	ds_store_2addr_b32 v5, v1, v16 offset1:2
.LBB686_66:
	s_or_b32 exec_lo, exec_lo, s22
	s_delay_alu instid0(SALU_CYCLE_1)
	s_and_b32 exec_lo, exec_lo, s2
	s_cbranch_execz .LBB686_68
; %bb.67:
	v_mov_b32_e32 v1, 0
	ds_store_b32 v1, v16 offset:28
.LBB686_68:
	s_or_b32 exec_lo, exec_lo, s21
	v_mov_b32_e32 v1, 0
	s_waitcnt lgkmcnt(0)
	s_waitcnt_vscnt null, 0x0
	s_barrier
	buffer_gl0_inv
	v_cndmask_b32_e64 v2, v9, v8, s7
	ds_load_b32 v1, v1 offset:28
	v_add_nc_u32_e64 v11, 0x3400, 0
	s_waitcnt lgkmcnt(0)
	s_barrier
	v_cndmask_b32_e64 v2, v2, 0, s2
	buffer_gl0_inv
	ds_load_2addr_b32 v[16:17], v11 offset1:2
	v_add_nc_u32_e32 v1, v1, v2
	s_delay_alu instid0(VALU_DEP_1) | instskip(NEXT) | instid1(VALU_DEP_1)
	v_add_nc_u32_e32 v2, v1, v44
	v_add_nc_u32_e32 v3, v2, v45
	s_delay_alu instid0(VALU_DEP_1) | instskip(NEXT) | instid1(VALU_DEP_1)
	v_add_nc_u32_e32 v4, v3, v46
	;; [unrolled: 3-line block ×6, first 2 shown]
	v_add_nc_u32_e32 v13, v12, v39
	s_branch .LBB686_79
.LBB686_69:
                                        ; implicit-def: $vgpr17
                                        ; implicit-def: $vgpr1_vgpr2_vgpr3_vgpr4_vgpr5_vgpr6_vgpr7_vgpr8_vgpr9_vgpr10_vgpr11_vgpr12_vgpr13_vgpr14_vgpr15_vgpr16
	s_and_b32 vcc_lo, exec_lo, s7
	s_cbranch_vccz .LBB686_79
; %bb.70:
	s_delay_alu instid0(VALU_DEP_1) | instskip(NEXT) | instid1(VALU_DEP_1)
	v_mov_b32_dpp v1, v55 row_shr:1 row_mask:0xf bank_mask:0xf
	v_cndmask_b32_e64 v1, v1, 0, s6
	s_delay_alu instid0(VALU_DEP_1) | instskip(NEXT) | instid1(VALU_DEP_1)
	v_add_nc_u32_e32 v1, v1, v55
	v_mov_b32_dpp v2, v1 row_shr:2 row_mask:0xf bank_mask:0xf
	s_delay_alu instid0(VALU_DEP_1) | instskip(NEXT) | instid1(VALU_DEP_1)
	v_cndmask_b32_e64 v2, 0, v2, s5
	v_add_nc_u32_e32 v1, v1, v2
	s_delay_alu instid0(VALU_DEP_1) | instskip(NEXT) | instid1(VALU_DEP_1)
	v_mov_b32_dpp v2, v1 row_shr:4 row_mask:0xf bank_mask:0xf
	v_cndmask_b32_e64 v2, 0, v2, s4
	s_delay_alu instid0(VALU_DEP_1) | instskip(NEXT) | instid1(VALU_DEP_1)
	v_add_nc_u32_e32 v1, v1, v2
	v_mov_b32_dpp v2, v1 row_shr:8 row_mask:0xf bank_mask:0xf
	s_delay_alu instid0(VALU_DEP_1) | instskip(NEXT) | instid1(VALU_DEP_1)
	v_cndmask_b32_e64 v2, 0, v2, s3
	v_add_nc_u32_e32 v1, v1, v2
	ds_swizzle_b32 v2, v1 offset:swizzle(BROADCAST,32,15)
	s_waitcnt lgkmcnt(0)
	v_cndmask_b32_e64 v2, v2, 0, s1
	s_delay_alu instid0(VALU_DEP_1)
	v_add_nc_u32_e32 v1, v1, v2
	s_and_saveexec_b32 s1, s0
	s_cbranch_execz .LBB686_72
; %bb.71:
	v_lshlrev_b32_e32 v2, 2, v54
	ds_store_b32 v2, v1
.LBB686_72:
	s_or_b32 exec_lo, exec_lo, s1
	s_delay_alu instid0(SALU_CYCLE_1)
	s_mov_b32 s0, exec_lo
	s_waitcnt lgkmcnt(0)
	s_barrier
	buffer_gl0_inv
	v_cmpx_gt_u32_e32 8, v0
	s_cbranch_execz .LBB686_74
; %bb.73:
	ds_load_b32 v2, v33
	s_waitcnt lgkmcnt(0)
	v_mov_b32_dpp v4, v2 row_shr:1 row_mask:0xf bank_mask:0xf
	v_and_b32_e32 v3, 7, v53
	s_delay_alu instid0(VALU_DEP_1) | instskip(NEXT) | instid1(VALU_DEP_3)
	v_cmp_ne_u32_e32 vcc_lo, 0, v3
	v_cndmask_b32_e32 v4, 0, v4, vcc_lo
	v_cmp_lt_u32_e32 vcc_lo, 1, v3
	s_delay_alu instid0(VALU_DEP_2) | instskip(NEXT) | instid1(VALU_DEP_1)
	v_add_nc_u32_e32 v2, v4, v2
	v_mov_b32_dpp v4, v2 row_shr:2 row_mask:0xf bank_mask:0xf
	s_delay_alu instid0(VALU_DEP_1) | instskip(SKIP_1) | instid1(VALU_DEP_2)
	v_cndmask_b32_e32 v4, 0, v4, vcc_lo
	v_cmp_lt_u32_e32 vcc_lo, 3, v3
	v_add_nc_u32_e32 v2, v2, v4
	s_delay_alu instid0(VALU_DEP_1) | instskip(NEXT) | instid1(VALU_DEP_1)
	v_mov_b32_dpp v4, v2 row_shr:4 row_mask:0xf bank_mask:0xf
	v_cndmask_b32_e32 v3, 0, v4, vcc_lo
	s_delay_alu instid0(VALU_DEP_1)
	v_add_nc_u32_e32 v2, v2, v3
	ds_store_b32 v33, v2
.LBB686_74:
	s_or_b32 exec_lo, exec_lo, s0
	v_dual_mov_b32 v3, 0 :: v_dual_mov_b32 v2, 0
	s_mov_b32 s0, exec_lo
	s_waitcnt lgkmcnt(0)
	s_barrier
	buffer_gl0_inv
	v_cmpx_lt_u32_e32 31, v0
	s_cbranch_execz .LBB686_76
; %bb.75:
	v_lshl_add_u32 v2, v54, 2, -4
	ds_load_b32 v2, v2
.LBB686_76:
	s_or_b32 exec_lo, exec_lo, s0
	v_add_nc_u32_e32 v4, -1, v53
	s_waitcnt lgkmcnt(0)
	v_add_nc_u32_e32 v1, v2, v1
	ds_load_b32 v16, v3 offset:28
	v_cmp_gt_i32_e32 vcc_lo, 0, v4
	v_cndmask_b32_e32 v4, v4, v53, vcc_lo
	s_delay_alu instid0(VALU_DEP_1)
	v_lshlrev_b32_e32 v4, 2, v4
	ds_bpermute_b32 v1, v4, v1
	s_and_saveexec_b32 s0, s2
	s_cbranch_execz .LBB686_78
; %bb.77:
	v_mov_b32_e32 v3, 0
	v_mov_b32_e32 v17, 2
	s_waitcnt lgkmcnt(1)
	global_store_b64 v3, v[16:17], s[18:19] offset:256
.LBB686_78:
	s_or_b32 exec_lo, exec_lo, s0
	v_cmp_eq_u32_e32 vcc_lo, 0, v53
	s_waitcnt lgkmcnt(0)
	s_waitcnt_vscnt null, 0x0
	s_barrier
	buffer_gl0_inv
	v_mov_b32_e32 v17, 0
	v_cndmask_b32_e32 v1, v1, v2, vcc_lo
	s_delay_alu instid0(VALU_DEP_1) | instskip(NEXT) | instid1(VALU_DEP_1)
	v_cndmask_b32_e64 v1, v1, 0, s2
	v_add_nc_u32_e32 v2, v1, v44
	s_delay_alu instid0(VALU_DEP_1) | instskip(NEXT) | instid1(VALU_DEP_1)
	v_add_nc_u32_e32 v3, v2, v45
	v_add_nc_u32_e32 v4, v3, v46
	s_delay_alu instid0(VALU_DEP_1) | instskip(NEXT) | instid1(VALU_DEP_1)
	v_add_nc_u32_e32 v5, v4, v43
	;; [unrolled: 3-line block ×5, first 2 shown]
	v_add_nc_u32_e32 v12, v11, v52
	s_delay_alu instid0(VALU_DEP_1)
	v_add_nc_u32_e32 v13, v12, v39
.LBB686_79:
	s_waitcnt lgkmcnt(0)
	v_sub_nc_u32_e32 v1, v1, v17
	v_sub_nc_u32_e32 v2, v2, v17
	v_add_nc_u32_e32 v36, v16, v36
	v_lshrrev_b32_e32 v47, 8, v42
	v_lshrrev_b32_e32 v46, 16, v42
	v_sub_nc_u32_e32 v4, v4, v17
	v_sub_nc_u32_e32 v3, v3, v17
	;; [unrolled: 1-line block ×3, first 2 shown]
	v_and_b32_e32 v42, 1, v42
	v_and_b32_e32 v47, 1, v47
	;; [unrolled: 1-line block ×3, first 2 shown]
	v_lshrrev_b32_e32 v45, 8, v40
	v_lshrrev_b32_e32 v44, 16, v40
	v_cmp_eq_u32_e32 vcc_lo, 1, v42
	v_and_b32_e32 v42, 1, v46
	v_sub_nc_u32_e32 v46, v36, v2
	v_lshrrev_b32_e32 v15, 8, v38
	v_lshrrev_b32_e32 v14, 16, v38
	v_cndmask_b32_e32 v1, v48, v1, vcc_lo
	v_cmp_eq_u32_e32 vcc_lo, 1, v47
	v_add_nc_u32_e32 v46, 1, v46
	s_delay_alu instid0(VALU_DEP_3)
	v_lshlrev_b32_e32 v1, 2, v1
	ds_store_b32 v1, v30
	v_cndmask_b32_e32 v1, v46, v2, vcc_lo
	v_sub_nc_u32_e32 v48, v36, v3
	v_sub_nc_u32_e32 v49, v36, v4
	v_cmp_eq_u32_e32 vcc_lo, 1, v42
	v_or_b32_e32 v30, 0x300, v0
	v_lshlrev_b32_e32 v1, 2, v1
	v_add_nc_u32_e32 v48, 2, v48
	v_add_nc_u32_e32 v49, 3, v49
	ds_store_b32 v1, v31
	v_cndmask_b32_e32 v2, v48, v3, vcc_lo
	v_cmp_eq_u32_e32 vcc_lo, 1, v43
	v_or_b32_e32 v31, 0x200, v0
	s_delay_alu instid0(VALU_DEP_3) | instskip(SKIP_2) | instid1(VALU_DEP_3)
	v_dual_cndmask_b32 v3, v49, v4 :: v_dual_lshlrev_b32 v2, 2, v2
	v_sub_nc_u32_e32 v4, v5, v17
	v_sub_nc_u32_e32 v5, v6, v17
	v_lshlrev_b32_e32 v3, 2, v3
	s_delay_alu instid0(VALU_DEP_3) | instskip(NEXT) | instid1(VALU_DEP_3)
	v_sub_nc_u32_e32 v1, v36, v4
	v_sub_nc_u32_e32 v6, v36, v5
	ds_store_b32 v2, v28
	ds_store_b32 v3, v29
	v_and_b32_e32 v2, 1, v40
	v_add_nc_u32_e32 v1, 4, v1
	v_add_nc_u32_e32 v3, 5, v6
	v_sub_nc_u32_e32 v6, v7, v17
	v_and_b32_e32 v7, 1, v45
	v_cmp_eq_u32_e32 vcc_lo, 1, v2
	v_sub_nc_u32_e32 v2, v8, v17
	v_and_b32_e32 v8, 1, v41
	v_or_b32_e32 v29, 0x400, v0
	v_or_b32_e32 v28, 0x500, v0
	v_cndmask_b32_e32 v1, v1, v4, vcc_lo
	v_sub_nc_u32_e32 v4, v36, v6
	v_cmp_eq_u32_e32 vcc_lo, 1, v7
	v_and_b32_e32 v7, 1, v44
	s_delay_alu instid0(VALU_DEP_4) | instskip(NEXT) | instid1(VALU_DEP_4)
	v_lshlrev_b32_e32 v1, 2, v1
	v_dual_cndmask_b32 v3, v3, v5 :: v_dual_add_nc_u32 v4, 6, v4
	v_sub_nc_u32_e32 v5, v36, v2
	s_delay_alu instid0(VALU_DEP_4) | instskip(SKIP_2) | instid1(VALU_DEP_4)
	v_cmp_eq_u32_e32 vcc_lo, 1, v7
	v_sub_nc_u32_e32 v7, v13, v17
	v_add_co_u32 v13, s0, s16, v32
	v_dual_cndmask_b32 v4, v4, v6 :: v_dual_add_nc_u32 v5, 7, v5
	v_cmp_eq_u32_e32 vcc_lo, 1, v8
	v_sub_nc_u32_e32 v6, v9, v17
	v_lshlrev_b32_e32 v3, 2, v3
	ds_store_b32 v1, v26
	ds_store_b32 v3, v27
	v_cndmask_b32_e32 v2, v5, v2, vcc_lo
	v_sub_nc_u32_e32 v1, v36, v6
	v_lshlrev_b32_e32 v3, 2, v4
	v_and_b32_e32 v5, 1, v38
	v_sub_nc_u32_e32 v4, v10, v17
	v_lshlrev_b32_e32 v2, 2, v2
	v_add_nc_u32_e32 v1, 8, v1
	ds_store_b32 v3, v24
	ds_store_b32 v2, v25
	v_cmp_eq_u32_e32 vcc_lo, 1, v5
	v_sub_nc_u32_e32 v3, v11, v17
	v_sub_nc_u32_e32 v2, v36, v4
	;; [unrolled: 1-line block ×3, first 2 shown]
	v_dual_cndmask_b32 v1, v1, v6 :: v_dual_and_b32 v10, 1, v39
	v_and_b32_e32 v6, 1, v15
	v_sub_nc_u32_e32 v8, v36, v3
	v_add_nc_u32_e32 v2, 9, v2
	v_sub_nc_u32_e32 v9, v36, v5
	v_and_b32_e32 v11, 1, v37
	v_cmp_eq_u32_e32 vcc_lo, 1, v6
	v_add_nc_u32_e32 v6, 10, v8
	v_and_b32_e32 v8, 1, v14
	v_add_nc_u32_e32 v9, 11, v9
	v_dual_cndmask_b32 v2, v2, v4 :: v_dual_lshlrev_b32 v1, 2, v1
	v_sub_nc_u32_e32 v4, v36, v7
	s_delay_alu instid0(VALU_DEP_4) | instskip(SKIP_1) | instid1(VALU_DEP_4)
	v_cmp_eq_u32_e32 vcc_lo, 1, v8
	v_add_co_ci_u32_e64 v14, null, s17, 0, s0
	v_lshlrev_b32_e32 v2, 2, v2
	s_delay_alu instid0(VALU_DEP_4)
	v_dual_cndmask_b32 v3, v6, v3 :: v_dual_add_nc_u32 v4, 12, v4
	v_cmp_eq_u32_e32 vcc_lo, 1, v10
	v_or_b32_e32 v27, 0x600, v0
	v_or_b32_e32 v26, 0x700, v0
	v_or_b32_e32 v25, 0x800, v0
	v_lshlrev_b32_e32 v3, 2, v3
	v_cndmask_b32_e32 v5, v9, v5, vcc_lo
	v_cmp_eq_u32_e32 vcc_lo, 1, v11
	v_or_b32_e32 v24, 0x900, v0
	s_delay_alu instid0(VALU_DEP_3) | instskip(SKIP_2) | instid1(VALU_DEP_3)
	v_dual_cndmask_b32 v4, v4, v7 :: v_dual_lshlrev_b32 v5, 2, v5
	v_sub_co_u32 v13, vcc_lo, s14, v13
	v_sub_co_ci_u32_e32 v14, vcc_lo, s15, v14, vcc_lo
	v_lshlrev_b32_e32 v4, 2, v4
	ds_store_b32 v1, v22
	ds_store_b32 v2, v23
	;; [unrolled: 1-line block ×5, first 2 shown]
	s_waitcnt lgkmcnt(0)
	s_barrier
	buffer_gl0_inv
	ds_load_2addr_stride64_b32 v[11:12], v33 offset1:4
	ds_load_2addr_stride64_b32 v[9:10], v33 offset0:8 offset1:12
	ds_load_2addr_stride64_b32 v[7:8], v33 offset0:16 offset1:20
	;; [unrolled: 1-line block ×5, first 2 shown]
	ds_load_b32 v20, v33 offset:12288
	v_add_co_u32 v15, vcc_lo, v18, v17
	v_add_co_ci_u32_e32 v17, vcc_lo, 0, v19, vcc_lo
	v_add_co_u32 v13, vcc_lo, v13, v16
	v_add_co_ci_u32_e32 v14, vcc_lo, 0, v14, vcc_lo
	v_cmp_ne_u32_e32 vcc_lo, 1, v34
	s_delay_alu instid0(VALU_DEP_3)
	v_add_co_u32 v18, s0, v13, v15
	v_or_b32_e32 v35, 0x100, v0
	v_or_b32_e32 v23, 0xa00, v0
	;; [unrolled: 1-line block ×4, first 2 shown]
	v_add_co_ci_u32_e64 v19, s0, v14, v17, s0
	s_mov_b32 s0, 0
	s_cbranch_vccnz .LBB686_136
; %bb.80:
	s_mov_b32 s0, exec_lo
                                        ; implicit-def: $vgpr13_vgpr14
	v_cmpx_ge_u32_e64 v0, v16
	s_xor_b32 s0, exec_lo, s0
; %bb.81:
	v_not_b32_e32 v13, v0
	s_delay_alu instid0(VALU_DEP_1) | instskip(SKIP_1) | instid1(VALU_DEP_2)
	v_ashrrev_i32_e32 v14, 31, v13
	v_add_co_u32 v13, vcc_lo, v18, v13
	v_add_co_ci_u32_e32 v14, vcc_lo, v19, v14, vcc_lo
; %bb.82:
	s_and_not1_saveexec_b32 s0, s0
; %bb.83:
	v_add_co_u32 v13, vcc_lo, v15, v0
	v_add_co_ci_u32_e32 v14, vcc_lo, 0, v17, vcc_lo
; %bb.84:
	s_or_b32 exec_lo, exec_lo, s0
	s_delay_alu instid0(VALU_DEP_1) | instskip(SKIP_1) | instid1(VALU_DEP_1)
	v_lshlrev_b64 v[13:14], 2, v[13:14]
	s_mov_b32 s0, exec_lo
	v_add_co_u32 v13, vcc_lo, s12, v13
	s_delay_alu instid0(VALU_DEP_2)
	v_add_co_ci_u32_e32 v14, vcc_lo, s13, v14, vcc_lo
	s_waitcnt lgkmcnt(6)
	global_store_b32 v[13:14], v11, off
                                        ; implicit-def: $vgpr13_vgpr14
	v_cmpx_ge_u32_e64 v35, v16
	s_xor_b32 s0, exec_lo, s0
; %bb.85:
	v_xor_b32_e32 v13, 0xfffffeff, v0
	s_delay_alu instid0(VALU_DEP_1) | instskip(SKIP_1) | instid1(VALU_DEP_2)
	v_ashrrev_i32_e32 v14, 31, v13
	v_add_co_u32 v13, vcc_lo, v18, v13
	v_add_co_ci_u32_e32 v14, vcc_lo, v19, v14, vcc_lo
; %bb.86:
	s_and_not1_saveexec_b32 s0, s0
; %bb.87:
	v_add_co_u32 v13, vcc_lo, v15, v35
	v_add_co_ci_u32_e32 v14, vcc_lo, 0, v17, vcc_lo
; %bb.88:
	s_or_b32 exec_lo, exec_lo, s0
	s_delay_alu instid0(VALU_DEP_1) | instskip(SKIP_1) | instid1(VALU_DEP_1)
	v_lshlrev_b64 v[13:14], 2, v[13:14]
	s_mov_b32 s0, exec_lo
	v_add_co_u32 v13, vcc_lo, s12, v13
	s_delay_alu instid0(VALU_DEP_2)
	v_add_co_ci_u32_e32 v14, vcc_lo, s13, v14, vcc_lo
	global_store_b32 v[13:14], v12, off
                                        ; implicit-def: $vgpr13_vgpr14
	v_cmpx_ge_u32_e64 v31, v16
	s_xor_b32 s0, exec_lo, s0
; %bb.89:
	v_xor_b32_e32 v13, 0xfffffdff, v0
	s_delay_alu instid0(VALU_DEP_1) | instskip(SKIP_1) | instid1(VALU_DEP_2)
	v_ashrrev_i32_e32 v14, 31, v13
	v_add_co_u32 v13, vcc_lo, v18, v13
	v_add_co_ci_u32_e32 v14, vcc_lo, v19, v14, vcc_lo
; %bb.90:
	s_and_not1_saveexec_b32 s0, s0
; %bb.91:
	v_add_co_u32 v13, vcc_lo, v15, v31
	v_add_co_ci_u32_e32 v14, vcc_lo, 0, v17, vcc_lo
; %bb.92:
	s_or_b32 exec_lo, exec_lo, s0
	s_delay_alu instid0(VALU_DEP_1) | instskip(SKIP_1) | instid1(VALU_DEP_1)
	v_lshlrev_b64 v[13:14], 2, v[13:14]
	s_mov_b32 s0, exec_lo
	v_add_co_u32 v13, vcc_lo, s12, v13
	s_delay_alu instid0(VALU_DEP_2)
	v_add_co_ci_u32_e32 v14, vcc_lo, s13, v14, vcc_lo
	s_waitcnt lgkmcnt(5)
	global_store_b32 v[13:14], v9, off
                                        ; implicit-def: $vgpr13_vgpr14
	v_cmpx_ge_u32_e64 v30, v16
	s_xor_b32 s0, exec_lo, s0
; %bb.93:
	v_xor_b32_e32 v13, 0xfffffcff, v0
	s_delay_alu instid0(VALU_DEP_1) | instskip(SKIP_1) | instid1(VALU_DEP_2)
	v_ashrrev_i32_e32 v14, 31, v13
	v_add_co_u32 v13, vcc_lo, v18, v13
	v_add_co_ci_u32_e32 v14, vcc_lo, v19, v14, vcc_lo
; %bb.94:
	s_and_not1_saveexec_b32 s0, s0
; %bb.95:
	v_add_co_u32 v13, vcc_lo, v15, v30
	v_add_co_ci_u32_e32 v14, vcc_lo, 0, v17, vcc_lo
; %bb.96:
	s_or_b32 exec_lo, exec_lo, s0
	s_delay_alu instid0(VALU_DEP_1) | instskip(SKIP_1) | instid1(VALU_DEP_1)
	v_lshlrev_b64 v[13:14], 2, v[13:14]
	s_mov_b32 s0, exec_lo
	v_add_co_u32 v13, vcc_lo, s12, v13
	s_delay_alu instid0(VALU_DEP_2)
	v_add_co_ci_u32_e32 v14, vcc_lo, s13, v14, vcc_lo
	global_store_b32 v[13:14], v10, off
                                        ; implicit-def: $vgpr13_vgpr14
	v_cmpx_ge_u32_e64 v29, v16
	s_xor_b32 s0, exec_lo, s0
; %bb.97:
	v_xor_b32_e32 v13, 0xfffffbff, v0
	;; [unrolled: 47-line block ×6, first 2 shown]
	s_delay_alu instid0(VALU_DEP_1) | instskip(SKIP_1) | instid1(VALU_DEP_2)
	v_ashrrev_i32_e32 v14, 31, v13
	v_add_co_u32 v13, vcc_lo, v18, v13
	v_add_co_ci_u32_e32 v14, vcc_lo, v19, v14, vcc_lo
; %bb.130:
	s_and_not1_saveexec_b32 s0, s0
; %bb.131:
	v_add_co_u32 v13, vcc_lo, v15, v21
	v_add_co_ci_u32_e32 v14, vcc_lo, 0, v17, vcc_lo
; %bb.132:
	s_or_b32 exec_lo, exec_lo, s0
	s_mov_b32 s0, -1
.LBB686_133:
	s_delay_alu instid0(SALU_CYCLE_1)
	s_and_saveexec_b32 s1, s0
	s_cbranch_execz .LBB686_216
.LBB686_134:
	s_waitcnt lgkmcnt(1)
	v_lshlrev_b64 v[0:1], 2, v[13:14]
	s_delay_alu instid0(VALU_DEP_1) | instskip(NEXT) | instid1(VALU_DEP_2)
	v_add_co_u32 v0, vcc_lo, s12, v0
	v_add_co_ci_u32_e32 v1, vcc_lo, s13, v1, vcc_lo
	s_waitcnt lgkmcnt(0)
	global_store_b32 v[0:1], v20, off
	s_or_b32 exec_lo, exec_lo, s1
	s_and_b32 s0, s2, s10
	s_delay_alu instid0(SALU_CYCLE_1)
	s_and_saveexec_b32 s1, s0
	s_cbranch_execnz .LBB686_217
.LBB686_135:
	s_nop 0
	s_sendmsg sendmsg(MSG_DEALLOC_VGPRS)
	s_endpgm
.LBB686_136:
                                        ; implicit-def: $vgpr13_vgpr14
	s_cbranch_execz .LBB686_133
; %bb.137:
	s_mov_b32 s1, exec_lo
	v_cmpx_gt_u32_e64 s11, v0
	s_cbranch_execz .LBB686_173
; %bb.138:
	s_mov_b32 s3, exec_lo
                                        ; implicit-def: $vgpr13_vgpr14
	v_cmpx_ge_u32_e64 v0, v16
	s_xor_b32 s3, exec_lo, s3
; %bb.139:
	v_not_b32_e32 v13, v0
	s_delay_alu instid0(VALU_DEP_1) | instskip(SKIP_1) | instid1(VALU_DEP_2)
	v_ashrrev_i32_e32 v14, 31, v13
	v_add_co_u32 v13, vcc_lo, v18, v13
	v_add_co_ci_u32_e32 v14, vcc_lo, v19, v14, vcc_lo
; %bb.140:
	s_and_not1_saveexec_b32 s3, s3
; %bb.141:
	v_add_co_u32 v13, vcc_lo, v15, v0
	v_add_co_ci_u32_e32 v14, vcc_lo, 0, v17, vcc_lo
; %bb.142:
	s_or_b32 exec_lo, exec_lo, s3
	s_delay_alu instid0(VALU_DEP_1) | instskip(NEXT) | instid1(VALU_DEP_1)
	v_lshlrev_b64 v[13:14], 2, v[13:14]
	v_add_co_u32 v13, vcc_lo, s12, v13
	s_delay_alu instid0(VALU_DEP_2) | instskip(SKIP_3) | instid1(SALU_CYCLE_1)
	v_add_co_ci_u32_e32 v14, vcc_lo, s13, v14, vcc_lo
	s_waitcnt lgkmcnt(6)
	global_store_b32 v[13:14], v11, off
	s_or_b32 exec_lo, exec_lo, s1
	s_mov_b32 s1, exec_lo
	v_cmpx_gt_u32_e64 s11, v35
	s_cbranch_execnz .LBB686_174
.LBB686_143:
	s_or_b32 exec_lo, exec_lo, s1
	s_delay_alu instid0(SALU_CYCLE_1)
	s_mov_b32 s1, exec_lo
	v_cmpx_gt_u32_e64 s11, v31
	s_cbranch_execz .LBB686_179
.LBB686_144:
	s_mov_b32 s3, exec_lo
                                        ; implicit-def: $vgpr11_vgpr12
	v_cmpx_ge_u32_e64 v31, v16
	s_xor_b32 s3, exec_lo, s3
	s_cbranch_execz .LBB686_146
; %bb.145:
	s_waitcnt lgkmcnt(6)
	v_xor_b32_e32 v11, 0xfffffdff, v0
                                        ; implicit-def: $vgpr31
	s_delay_alu instid0(VALU_DEP_1) | instskip(SKIP_1) | instid1(VALU_DEP_2)
	v_ashrrev_i32_e32 v12, 31, v11
	v_add_co_u32 v11, vcc_lo, v18, v11
	v_add_co_ci_u32_e32 v12, vcc_lo, v19, v12, vcc_lo
.LBB686_146:
	s_and_not1_saveexec_b32 s3, s3
	s_cbranch_execz .LBB686_148
; %bb.147:
	s_waitcnt lgkmcnt(6)
	v_add_co_u32 v11, vcc_lo, v15, v31
	v_add_co_ci_u32_e32 v12, vcc_lo, 0, v17, vcc_lo
.LBB686_148:
	s_or_b32 exec_lo, exec_lo, s3
	s_waitcnt lgkmcnt(6)
	s_delay_alu instid0(VALU_DEP_1) | instskip(NEXT) | instid1(VALU_DEP_1)
	v_lshlrev_b64 v[11:12], 2, v[11:12]
	v_add_co_u32 v11, vcc_lo, s12, v11
	s_delay_alu instid0(VALU_DEP_2) | instskip(SKIP_3) | instid1(SALU_CYCLE_1)
	v_add_co_ci_u32_e32 v12, vcc_lo, s13, v12, vcc_lo
	s_waitcnt lgkmcnt(5)
	global_store_b32 v[11:12], v9, off
	s_or_b32 exec_lo, exec_lo, s1
	s_mov_b32 s1, exec_lo
	v_cmpx_gt_u32_e64 s11, v30
	s_cbranch_execnz .LBB686_180
.LBB686_149:
	s_or_b32 exec_lo, exec_lo, s1
	s_delay_alu instid0(SALU_CYCLE_1)
	s_mov_b32 s1, exec_lo
	v_cmpx_gt_u32_e64 s11, v29
	s_cbranch_execz .LBB686_185
.LBB686_150:
	s_mov_b32 s3, exec_lo
                                        ; implicit-def: $vgpr9_vgpr10
	v_cmpx_ge_u32_e64 v29, v16
	s_xor_b32 s3, exec_lo, s3
	s_cbranch_execz .LBB686_152
; %bb.151:
	s_waitcnt lgkmcnt(5)
	v_xor_b32_e32 v9, 0xfffffbff, v0
                                        ; implicit-def: $vgpr29
	s_delay_alu instid0(VALU_DEP_1) | instskip(SKIP_1) | instid1(VALU_DEP_2)
	v_ashrrev_i32_e32 v10, 31, v9
	v_add_co_u32 v9, vcc_lo, v18, v9
	v_add_co_ci_u32_e32 v10, vcc_lo, v19, v10, vcc_lo
.LBB686_152:
	s_and_not1_saveexec_b32 s3, s3
	s_cbranch_execz .LBB686_154
; %bb.153:
	s_waitcnt lgkmcnt(5)
	v_add_co_u32 v9, vcc_lo, v15, v29
	v_add_co_ci_u32_e32 v10, vcc_lo, 0, v17, vcc_lo
.LBB686_154:
	s_or_b32 exec_lo, exec_lo, s3
	s_waitcnt lgkmcnt(5)
	s_delay_alu instid0(VALU_DEP_1) | instskip(NEXT) | instid1(VALU_DEP_1)
	v_lshlrev_b64 v[9:10], 2, v[9:10]
	v_add_co_u32 v9, vcc_lo, s12, v9
	s_delay_alu instid0(VALU_DEP_2) | instskip(SKIP_3) | instid1(SALU_CYCLE_1)
	v_add_co_ci_u32_e32 v10, vcc_lo, s13, v10, vcc_lo
	s_waitcnt lgkmcnt(4)
	global_store_b32 v[9:10], v7, off
	s_or_b32 exec_lo, exec_lo, s1
	s_mov_b32 s1, exec_lo
	v_cmpx_gt_u32_e64 s11, v28
	s_cbranch_execnz .LBB686_186
.LBB686_155:
	s_or_b32 exec_lo, exec_lo, s1
	s_delay_alu instid0(SALU_CYCLE_1)
	s_mov_b32 s1, exec_lo
	v_cmpx_gt_u32_e64 s11, v27
	s_cbranch_execz .LBB686_191
.LBB686_156:
	s_mov_b32 s3, exec_lo
                                        ; implicit-def: $vgpr7_vgpr8
	v_cmpx_ge_u32_e64 v27, v16
	s_xor_b32 s3, exec_lo, s3
	s_cbranch_execz .LBB686_158
; %bb.157:
	s_waitcnt lgkmcnt(4)
	v_xor_b32_e32 v7, 0xfffff9ff, v0
                                        ; implicit-def: $vgpr27
	s_delay_alu instid0(VALU_DEP_1) | instskip(SKIP_1) | instid1(VALU_DEP_2)
	v_ashrrev_i32_e32 v8, 31, v7
	v_add_co_u32 v7, vcc_lo, v18, v7
	v_add_co_ci_u32_e32 v8, vcc_lo, v19, v8, vcc_lo
.LBB686_158:
	s_and_not1_saveexec_b32 s3, s3
	s_cbranch_execz .LBB686_160
; %bb.159:
	s_waitcnt lgkmcnt(4)
	v_add_co_u32 v7, vcc_lo, v15, v27
	v_add_co_ci_u32_e32 v8, vcc_lo, 0, v17, vcc_lo
.LBB686_160:
	s_or_b32 exec_lo, exec_lo, s3
	s_waitcnt lgkmcnt(4)
	s_delay_alu instid0(VALU_DEP_1) | instskip(NEXT) | instid1(VALU_DEP_1)
	v_lshlrev_b64 v[7:8], 2, v[7:8]
	v_add_co_u32 v7, vcc_lo, s12, v7
	s_delay_alu instid0(VALU_DEP_2) | instskip(SKIP_3) | instid1(SALU_CYCLE_1)
	v_add_co_ci_u32_e32 v8, vcc_lo, s13, v8, vcc_lo
	s_waitcnt lgkmcnt(3)
	global_store_b32 v[7:8], v5, off
	s_or_b32 exec_lo, exec_lo, s1
	s_mov_b32 s1, exec_lo
	v_cmpx_gt_u32_e64 s11, v26
	s_cbranch_execnz .LBB686_192
.LBB686_161:
	s_or_b32 exec_lo, exec_lo, s1
	s_delay_alu instid0(SALU_CYCLE_1)
	s_mov_b32 s1, exec_lo
	v_cmpx_gt_u32_e64 s11, v25
	s_cbranch_execz .LBB686_197
.LBB686_162:
	s_mov_b32 s3, exec_lo
                                        ; implicit-def: $vgpr5_vgpr6
	v_cmpx_ge_u32_e64 v25, v16
	s_xor_b32 s3, exec_lo, s3
	s_cbranch_execz .LBB686_164
; %bb.163:
	s_waitcnt lgkmcnt(3)
	v_xor_b32_e32 v5, 0xfffff7ff, v0
                                        ; implicit-def: $vgpr25
	s_delay_alu instid0(VALU_DEP_1) | instskip(SKIP_1) | instid1(VALU_DEP_2)
	v_ashrrev_i32_e32 v6, 31, v5
	v_add_co_u32 v5, vcc_lo, v18, v5
	v_add_co_ci_u32_e32 v6, vcc_lo, v19, v6, vcc_lo
.LBB686_164:
	s_and_not1_saveexec_b32 s3, s3
	s_cbranch_execz .LBB686_166
; %bb.165:
	s_waitcnt lgkmcnt(3)
	v_add_co_u32 v5, vcc_lo, v15, v25
	v_add_co_ci_u32_e32 v6, vcc_lo, 0, v17, vcc_lo
.LBB686_166:
	s_or_b32 exec_lo, exec_lo, s3
	s_waitcnt lgkmcnt(3)
	s_delay_alu instid0(VALU_DEP_1) | instskip(NEXT) | instid1(VALU_DEP_1)
	v_lshlrev_b64 v[5:6], 2, v[5:6]
	v_add_co_u32 v5, vcc_lo, s12, v5
	s_delay_alu instid0(VALU_DEP_2) | instskip(SKIP_3) | instid1(SALU_CYCLE_1)
	v_add_co_ci_u32_e32 v6, vcc_lo, s13, v6, vcc_lo
	s_waitcnt lgkmcnt(2)
	global_store_b32 v[5:6], v3, off
	s_or_b32 exec_lo, exec_lo, s1
	s_mov_b32 s1, exec_lo
	v_cmpx_gt_u32_e64 s11, v24
	s_cbranch_execnz .LBB686_198
.LBB686_167:
	s_or_b32 exec_lo, exec_lo, s1
	s_delay_alu instid0(SALU_CYCLE_1)
	s_mov_b32 s1, exec_lo
	v_cmpx_gt_u32_e64 s11, v23
	s_cbranch_execz .LBB686_203
.LBB686_168:
	s_mov_b32 s3, exec_lo
                                        ; implicit-def: $vgpr3_vgpr4
	v_cmpx_ge_u32_e64 v23, v16
	s_xor_b32 s3, exec_lo, s3
	s_cbranch_execz .LBB686_170
; %bb.169:
	s_waitcnt lgkmcnt(2)
	v_xor_b32_e32 v3, 0xfffff5ff, v0
                                        ; implicit-def: $vgpr23
	s_delay_alu instid0(VALU_DEP_1) | instskip(SKIP_1) | instid1(VALU_DEP_2)
	v_ashrrev_i32_e32 v4, 31, v3
	v_add_co_u32 v3, vcc_lo, v18, v3
	v_add_co_ci_u32_e32 v4, vcc_lo, v19, v4, vcc_lo
.LBB686_170:
	s_and_not1_saveexec_b32 s3, s3
	s_cbranch_execz .LBB686_172
; %bb.171:
	s_waitcnt lgkmcnt(2)
	v_add_co_u32 v3, vcc_lo, v15, v23
	v_add_co_ci_u32_e32 v4, vcc_lo, 0, v17, vcc_lo
.LBB686_172:
	s_or_b32 exec_lo, exec_lo, s3
	s_waitcnt lgkmcnt(2)
	s_delay_alu instid0(VALU_DEP_1) | instskip(NEXT) | instid1(VALU_DEP_1)
	v_lshlrev_b64 v[3:4], 2, v[3:4]
	v_add_co_u32 v3, vcc_lo, s12, v3
	s_delay_alu instid0(VALU_DEP_2) | instskip(SKIP_3) | instid1(SALU_CYCLE_1)
	v_add_co_ci_u32_e32 v4, vcc_lo, s13, v4, vcc_lo
	s_waitcnt lgkmcnt(1)
	global_store_b32 v[3:4], v1, off
	s_or_b32 exec_lo, exec_lo, s1
	s_mov_b32 s1, exec_lo
	v_cmpx_gt_u32_e64 s11, v22
	s_cbranch_execz .LBB686_209
	s_branch .LBB686_204
.LBB686_173:
	s_or_b32 exec_lo, exec_lo, s1
	s_delay_alu instid0(SALU_CYCLE_1)
	s_mov_b32 s1, exec_lo
	v_cmpx_gt_u32_e64 s11, v35
	s_cbranch_execz .LBB686_143
.LBB686_174:
	s_mov_b32 s3, exec_lo
                                        ; implicit-def: $vgpr13_vgpr14
	v_cmpx_ge_u32_e64 v35, v16
	s_xor_b32 s3, exec_lo, s3
	s_cbranch_execz .LBB686_176
; %bb.175:
	s_waitcnt lgkmcnt(6)
	v_xor_b32_e32 v11, 0xfffffeff, v0
                                        ; implicit-def: $vgpr35
	s_delay_alu instid0(VALU_DEP_1) | instskip(SKIP_1) | instid1(VALU_DEP_2)
	v_ashrrev_i32_e32 v14, 31, v11
	v_add_co_u32 v13, vcc_lo, v18, v11
	v_add_co_ci_u32_e32 v14, vcc_lo, v19, v14, vcc_lo
.LBB686_176:
	s_and_not1_saveexec_b32 s3, s3
; %bb.177:
	v_add_co_u32 v13, vcc_lo, v15, v35
	v_add_co_ci_u32_e32 v14, vcc_lo, 0, v17, vcc_lo
; %bb.178:
	s_or_b32 exec_lo, exec_lo, s3
	s_delay_alu instid0(VALU_DEP_1) | instskip(NEXT) | instid1(VALU_DEP_1)
	v_lshlrev_b64 v[13:14], 2, v[13:14]
	v_add_co_u32 v13, vcc_lo, s12, v13
	s_delay_alu instid0(VALU_DEP_2) | instskip(SKIP_3) | instid1(SALU_CYCLE_1)
	v_add_co_ci_u32_e32 v14, vcc_lo, s13, v14, vcc_lo
	s_waitcnt lgkmcnt(6)
	global_store_b32 v[13:14], v12, off
	s_or_b32 exec_lo, exec_lo, s1
	s_mov_b32 s1, exec_lo
	v_cmpx_gt_u32_e64 s11, v31
	s_cbranch_execnz .LBB686_144
.LBB686_179:
	s_or_b32 exec_lo, exec_lo, s1
	s_delay_alu instid0(SALU_CYCLE_1)
	s_mov_b32 s1, exec_lo
	v_cmpx_gt_u32_e64 s11, v30
	s_cbranch_execz .LBB686_149
.LBB686_180:
	s_mov_b32 s3, exec_lo
                                        ; implicit-def: $vgpr11_vgpr12
	v_cmpx_ge_u32_e64 v30, v16
	s_xor_b32 s3, exec_lo, s3
	s_cbranch_execz .LBB686_182
; %bb.181:
	s_waitcnt lgkmcnt(5)
	v_xor_b32_e32 v9, 0xfffffcff, v0
                                        ; implicit-def: $vgpr30
	s_delay_alu instid0(VALU_DEP_1) | instskip(SKIP_1) | instid1(VALU_DEP_2)
	v_ashrrev_i32_e32 v12, 31, v9
	v_add_co_u32 v11, vcc_lo, v18, v9
	v_add_co_ci_u32_e32 v12, vcc_lo, v19, v12, vcc_lo
.LBB686_182:
	s_and_not1_saveexec_b32 s3, s3
	s_cbranch_execz .LBB686_184
; %bb.183:
	s_waitcnt lgkmcnt(6)
	v_add_co_u32 v11, vcc_lo, v15, v30
	v_add_co_ci_u32_e32 v12, vcc_lo, 0, v17, vcc_lo
.LBB686_184:
	s_or_b32 exec_lo, exec_lo, s3
	s_waitcnt lgkmcnt(6)
	s_delay_alu instid0(VALU_DEP_1) | instskip(NEXT) | instid1(VALU_DEP_1)
	v_lshlrev_b64 v[11:12], 2, v[11:12]
	v_add_co_u32 v11, vcc_lo, s12, v11
	s_delay_alu instid0(VALU_DEP_2) | instskip(SKIP_3) | instid1(SALU_CYCLE_1)
	v_add_co_ci_u32_e32 v12, vcc_lo, s13, v12, vcc_lo
	s_waitcnt lgkmcnt(5)
	global_store_b32 v[11:12], v10, off
	s_or_b32 exec_lo, exec_lo, s1
	s_mov_b32 s1, exec_lo
	v_cmpx_gt_u32_e64 s11, v29
	s_cbranch_execnz .LBB686_150
.LBB686_185:
	s_or_b32 exec_lo, exec_lo, s1
	s_delay_alu instid0(SALU_CYCLE_1)
	s_mov_b32 s1, exec_lo
	v_cmpx_gt_u32_e64 s11, v28
	s_cbranch_execz .LBB686_155
.LBB686_186:
	s_mov_b32 s3, exec_lo
                                        ; implicit-def: $vgpr9_vgpr10
	v_cmpx_ge_u32_e64 v28, v16
	s_xor_b32 s3, exec_lo, s3
	s_cbranch_execz .LBB686_188
; %bb.187:
	s_waitcnt lgkmcnt(4)
	v_xor_b32_e32 v7, 0xfffffaff, v0
                                        ; implicit-def: $vgpr28
	s_delay_alu instid0(VALU_DEP_1) | instskip(SKIP_1) | instid1(VALU_DEP_2)
	v_ashrrev_i32_e32 v10, 31, v7
	v_add_co_u32 v9, vcc_lo, v18, v7
	v_add_co_ci_u32_e32 v10, vcc_lo, v19, v10, vcc_lo
.LBB686_188:
	s_and_not1_saveexec_b32 s3, s3
	s_cbranch_execz .LBB686_190
; %bb.189:
	s_waitcnt lgkmcnt(5)
	v_add_co_u32 v9, vcc_lo, v15, v28
	v_add_co_ci_u32_e32 v10, vcc_lo, 0, v17, vcc_lo
.LBB686_190:
	s_or_b32 exec_lo, exec_lo, s3
	s_waitcnt lgkmcnt(5)
	s_delay_alu instid0(VALU_DEP_1) | instskip(NEXT) | instid1(VALU_DEP_1)
	v_lshlrev_b64 v[9:10], 2, v[9:10]
	v_add_co_u32 v9, vcc_lo, s12, v9
	s_delay_alu instid0(VALU_DEP_2) | instskip(SKIP_3) | instid1(SALU_CYCLE_1)
	v_add_co_ci_u32_e32 v10, vcc_lo, s13, v10, vcc_lo
	s_waitcnt lgkmcnt(4)
	global_store_b32 v[9:10], v8, off
	s_or_b32 exec_lo, exec_lo, s1
	s_mov_b32 s1, exec_lo
	v_cmpx_gt_u32_e64 s11, v27
	s_cbranch_execnz .LBB686_156
.LBB686_191:
	s_or_b32 exec_lo, exec_lo, s1
	s_delay_alu instid0(SALU_CYCLE_1)
	s_mov_b32 s1, exec_lo
	v_cmpx_gt_u32_e64 s11, v26
	s_cbranch_execz .LBB686_161
.LBB686_192:
	s_mov_b32 s3, exec_lo
                                        ; implicit-def: $vgpr7_vgpr8
	v_cmpx_ge_u32_e64 v26, v16
	s_xor_b32 s3, exec_lo, s3
	s_cbranch_execz .LBB686_194
; %bb.193:
	s_waitcnt lgkmcnt(3)
	v_xor_b32_e32 v5, 0xfffff8ff, v0
                                        ; implicit-def: $vgpr26
	s_delay_alu instid0(VALU_DEP_1) | instskip(SKIP_1) | instid1(VALU_DEP_2)
	v_ashrrev_i32_e32 v8, 31, v5
	v_add_co_u32 v7, vcc_lo, v18, v5
	v_add_co_ci_u32_e32 v8, vcc_lo, v19, v8, vcc_lo
.LBB686_194:
	s_and_not1_saveexec_b32 s3, s3
	s_cbranch_execz .LBB686_196
; %bb.195:
	s_waitcnt lgkmcnt(4)
	v_add_co_u32 v7, vcc_lo, v15, v26
	v_add_co_ci_u32_e32 v8, vcc_lo, 0, v17, vcc_lo
.LBB686_196:
	s_or_b32 exec_lo, exec_lo, s3
	s_waitcnt lgkmcnt(4)
	s_delay_alu instid0(VALU_DEP_1) | instskip(NEXT) | instid1(VALU_DEP_1)
	v_lshlrev_b64 v[7:8], 2, v[7:8]
	v_add_co_u32 v7, vcc_lo, s12, v7
	s_delay_alu instid0(VALU_DEP_2) | instskip(SKIP_3) | instid1(SALU_CYCLE_1)
	v_add_co_ci_u32_e32 v8, vcc_lo, s13, v8, vcc_lo
	s_waitcnt lgkmcnt(3)
	global_store_b32 v[7:8], v6, off
	s_or_b32 exec_lo, exec_lo, s1
	s_mov_b32 s1, exec_lo
	v_cmpx_gt_u32_e64 s11, v25
	s_cbranch_execnz .LBB686_162
.LBB686_197:
	s_or_b32 exec_lo, exec_lo, s1
	s_delay_alu instid0(SALU_CYCLE_1)
	s_mov_b32 s1, exec_lo
	v_cmpx_gt_u32_e64 s11, v24
	s_cbranch_execz .LBB686_167
.LBB686_198:
	s_mov_b32 s3, exec_lo
                                        ; implicit-def: $vgpr5_vgpr6
	v_cmpx_ge_u32_e64 v24, v16
	s_xor_b32 s3, exec_lo, s3
	s_cbranch_execz .LBB686_200
; %bb.199:
	s_waitcnt lgkmcnt(2)
	v_xor_b32_e32 v3, 0xfffff6ff, v0
                                        ; implicit-def: $vgpr24
	s_delay_alu instid0(VALU_DEP_1) | instskip(SKIP_1) | instid1(VALU_DEP_2)
	v_ashrrev_i32_e32 v6, 31, v3
	v_add_co_u32 v5, vcc_lo, v18, v3
	v_add_co_ci_u32_e32 v6, vcc_lo, v19, v6, vcc_lo
.LBB686_200:
	s_and_not1_saveexec_b32 s3, s3
	s_cbranch_execz .LBB686_202
; %bb.201:
	s_waitcnt lgkmcnt(3)
	v_add_co_u32 v5, vcc_lo, v15, v24
	v_add_co_ci_u32_e32 v6, vcc_lo, 0, v17, vcc_lo
.LBB686_202:
	s_or_b32 exec_lo, exec_lo, s3
	s_waitcnt lgkmcnt(3)
	s_delay_alu instid0(VALU_DEP_1) | instskip(NEXT) | instid1(VALU_DEP_1)
	v_lshlrev_b64 v[5:6], 2, v[5:6]
	v_add_co_u32 v5, vcc_lo, s12, v5
	s_delay_alu instid0(VALU_DEP_2) | instskip(SKIP_3) | instid1(SALU_CYCLE_1)
	v_add_co_ci_u32_e32 v6, vcc_lo, s13, v6, vcc_lo
	s_waitcnt lgkmcnt(2)
	global_store_b32 v[5:6], v4, off
	s_or_b32 exec_lo, exec_lo, s1
	s_mov_b32 s1, exec_lo
	v_cmpx_gt_u32_e64 s11, v23
	s_cbranch_execnz .LBB686_168
.LBB686_203:
	s_or_b32 exec_lo, exec_lo, s1
	s_delay_alu instid0(SALU_CYCLE_1)
	s_mov_b32 s1, exec_lo
	v_cmpx_gt_u32_e64 s11, v22
	s_cbranch_execz .LBB686_209
.LBB686_204:
	s_mov_b32 s3, exec_lo
                                        ; implicit-def: $vgpr3_vgpr4
	v_cmpx_ge_u32_e64 v22, v16
	s_xor_b32 s3, exec_lo, s3
	s_cbranch_execz .LBB686_206
; %bb.205:
	s_waitcnt lgkmcnt(1)
	v_xor_b32_e32 v1, 0xfffff4ff, v0
                                        ; implicit-def: $vgpr22
	s_delay_alu instid0(VALU_DEP_1) | instskip(SKIP_1) | instid1(VALU_DEP_2)
	v_ashrrev_i32_e32 v4, 31, v1
	v_add_co_u32 v3, vcc_lo, v18, v1
	v_add_co_ci_u32_e32 v4, vcc_lo, v19, v4, vcc_lo
.LBB686_206:
	s_and_not1_saveexec_b32 s3, s3
	s_cbranch_execz .LBB686_208
; %bb.207:
	s_waitcnt lgkmcnt(2)
	v_add_co_u32 v3, vcc_lo, v15, v22
	v_add_co_ci_u32_e32 v4, vcc_lo, 0, v17, vcc_lo
.LBB686_208:
	s_or_b32 exec_lo, exec_lo, s3
	s_waitcnt lgkmcnt(2)
	s_delay_alu instid0(VALU_DEP_1) | instskip(NEXT) | instid1(VALU_DEP_1)
	v_lshlrev_b64 v[3:4], 2, v[3:4]
	v_add_co_u32 v3, vcc_lo, s12, v3
	s_delay_alu instid0(VALU_DEP_2)
	v_add_co_ci_u32_e32 v4, vcc_lo, s13, v4, vcc_lo
	s_waitcnt lgkmcnt(1)
	global_store_b32 v[3:4], v2, off
.LBB686_209:
	s_or_b32 exec_lo, exec_lo, s1
	s_delay_alu instid0(SALU_CYCLE_1)
	s_mov_b32 s1, exec_lo
                                        ; implicit-def: $vgpr13_vgpr14
	v_cmpx_gt_u32_e64 s11, v21
	s_cbranch_execz .LBB686_215
; %bb.210:
	s_mov_b32 s3, exec_lo
                                        ; implicit-def: $vgpr13_vgpr14
	v_cmpx_ge_u32_e64 v21, v16
	s_xor_b32 s3, exec_lo, s3
	s_cbranch_execz .LBB686_212
; %bb.211:
	v_xor_b32_e32 v0, 0xfffff3ff, v0
                                        ; implicit-def: $vgpr21
	s_waitcnt lgkmcnt(1)
	s_delay_alu instid0(VALU_DEP_1) | instskip(SKIP_1) | instid1(VALU_DEP_2)
	v_ashrrev_i32_e32 v1, 31, v0
	v_add_co_u32 v13, vcc_lo, v18, v0
	v_add_co_ci_u32_e32 v14, vcc_lo, v19, v1, vcc_lo
.LBB686_212:
	s_and_not1_saveexec_b32 s3, s3
; %bb.213:
	v_add_co_u32 v13, vcc_lo, v15, v21
	v_add_co_ci_u32_e32 v14, vcc_lo, 0, v17, vcc_lo
; %bb.214:
	s_or_b32 exec_lo, exec_lo, s3
	s_delay_alu instid0(SALU_CYCLE_1)
	s_or_b32 s0, s0, exec_lo
.LBB686_215:
	s_or_b32 exec_lo, exec_lo, s1
	s_and_saveexec_b32 s1, s0
	s_cbranch_execnz .LBB686_134
.LBB686_216:
	s_or_b32 exec_lo, exec_lo, s1
	s_and_b32 s0, s2, s10
	s_delay_alu instid0(SALU_CYCLE_1)
	s_and_saveexec_b32 s1, s0
	s_cbranch_execz .LBB686_135
.LBB686_217:
	v_add_co_u32 v0, vcc_lo, v15, v16
	s_waitcnt lgkmcnt(1)
	v_mov_b32_e32 v2, 0
	v_add_co_ci_u32_e32 v1, vcc_lo, 0, v17, vcc_lo
	global_store_b64 v2, v[0:1], s[8:9]
	s_nop 0
	s_sendmsg sendmsg(MSG_DEALLOC_VGPRS)
	s_endpgm
	.section	.rodata,"a",@progbits
	.p2align	6, 0x0
	.amdhsa_kernel _ZN7rocprim17ROCPRIM_400000_NS6detail17trampoline_kernelINS0_13select_configILj256ELj13ELNS0_17block_load_methodE3ELS4_3ELS4_3ELNS0_20block_scan_algorithmE0ELj4294967295EEENS1_25partition_config_selectorILNS1_17partition_subalgoE3EjNS0_10empty_typeEbEEZZNS1_14partition_implILS8_3ELb0ES6_jNS0_17counting_iteratorIjlEEPS9_SE_NS0_5tupleIJPjSE_EEENSF_IJSE_SE_EEES9_SG_JZNS1_25segmented_radix_sort_implINS0_14default_configELb1EPKlPlSM_SN_N2at6native12_GLOBAL__N_18offset_tEEE10hipError_tPvRmT1_PNSt15iterator_traitsISV_E10value_typeET2_T3_PNSW_IS11_E10value_typeET4_jRbjT5_S17_jjP12ihipStream_tbEUljE_EEESS_ST_SU_S11_S15_S17_T6_T7_T9_mT8_S19_bDpT10_ENKUlT_T0_E_clISt17integral_constantIbLb1EES1M_EEDaS1H_S1I_EUlS1H_E_NS1_11comp_targetILNS1_3genE9ELNS1_11target_archE1100ELNS1_3gpuE3ELNS1_3repE0EEENS1_30default_config_static_selectorELNS0_4arch9wavefront6targetE0EEEvSV_
		.amdhsa_group_segment_fixed_size 13324
		.amdhsa_private_segment_fixed_size 0
		.amdhsa_kernarg_size 152
		.amdhsa_user_sgpr_count 15
		.amdhsa_user_sgpr_dispatch_ptr 0
		.amdhsa_user_sgpr_queue_ptr 0
		.amdhsa_user_sgpr_kernarg_segment_ptr 1
		.amdhsa_user_sgpr_dispatch_id 0
		.amdhsa_user_sgpr_private_segment_size 0
		.amdhsa_wavefront_size32 1
		.amdhsa_uses_dynamic_stack 0
		.amdhsa_enable_private_segment 0
		.amdhsa_system_sgpr_workgroup_id_x 1
		.amdhsa_system_sgpr_workgroup_id_y 0
		.amdhsa_system_sgpr_workgroup_id_z 0
		.amdhsa_system_sgpr_workgroup_info 0
		.amdhsa_system_vgpr_workitem_id 0
		.amdhsa_next_free_vgpr 60
		.amdhsa_next_free_sgpr 26
		.amdhsa_reserve_vcc 1
		.amdhsa_float_round_mode_32 0
		.amdhsa_float_round_mode_16_64 0
		.amdhsa_float_denorm_mode_32 3
		.amdhsa_float_denorm_mode_16_64 3
		.amdhsa_dx10_clamp 1
		.amdhsa_ieee_mode 1
		.amdhsa_fp16_overflow 0
		.amdhsa_workgroup_processor_mode 1
		.amdhsa_memory_ordered 1
		.amdhsa_forward_progress 0
		.amdhsa_shared_vgpr_count 0
		.amdhsa_exception_fp_ieee_invalid_op 0
		.amdhsa_exception_fp_denorm_src 0
		.amdhsa_exception_fp_ieee_div_zero 0
		.amdhsa_exception_fp_ieee_overflow 0
		.amdhsa_exception_fp_ieee_underflow 0
		.amdhsa_exception_fp_ieee_inexact 0
		.amdhsa_exception_int_div_zero 0
	.end_amdhsa_kernel
	.section	.text._ZN7rocprim17ROCPRIM_400000_NS6detail17trampoline_kernelINS0_13select_configILj256ELj13ELNS0_17block_load_methodE3ELS4_3ELS4_3ELNS0_20block_scan_algorithmE0ELj4294967295EEENS1_25partition_config_selectorILNS1_17partition_subalgoE3EjNS0_10empty_typeEbEEZZNS1_14partition_implILS8_3ELb0ES6_jNS0_17counting_iteratorIjlEEPS9_SE_NS0_5tupleIJPjSE_EEENSF_IJSE_SE_EEES9_SG_JZNS1_25segmented_radix_sort_implINS0_14default_configELb1EPKlPlSM_SN_N2at6native12_GLOBAL__N_18offset_tEEE10hipError_tPvRmT1_PNSt15iterator_traitsISV_E10value_typeET2_T3_PNSW_IS11_E10value_typeET4_jRbjT5_S17_jjP12ihipStream_tbEUljE_EEESS_ST_SU_S11_S15_S17_T6_T7_T9_mT8_S19_bDpT10_ENKUlT_T0_E_clISt17integral_constantIbLb1EES1M_EEDaS1H_S1I_EUlS1H_E_NS1_11comp_targetILNS1_3genE9ELNS1_11target_archE1100ELNS1_3gpuE3ELNS1_3repE0EEENS1_30default_config_static_selectorELNS0_4arch9wavefront6targetE0EEEvSV_,"axG",@progbits,_ZN7rocprim17ROCPRIM_400000_NS6detail17trampoline_kernelINS0_13select_configILj256ELj13ELNS0_17block_load_methodE3ELS4_3ELS4_3ELNS0_20block_scan_algorithmE0ELj4294967295EEENS1_25partition_config_selectorILNS1_17partition_subalgoE3EjNS0_10empty_typeEbEEZZNS1_14partition_implILS8_3ELb0ES6_jNS0_17counting_iteratorIjlEEPS9_SE_NS0_5tupleIJPjSE_EEENSF_IJSE_SE_EEES9_SG_JZNS1_25segmented_radix_sort_implINS0_14default_configELb1EPKlPlSM_SN_N2at6native12_GLOBAL__N_18offset_tEEE10hipError_tPvRmT1_PNSt15iterator_traitsISV_E10value_typeET2_T3_PNSW_IS11_E10value_typeET4_jRbjT5_S17_jjP12ihipStream_tbEUljE_EEESS_ST_SU_S11_S15_S17_T6_T7_T9_mT8_S19_bDpT10_ENKUlT_T0_E_clISt17integral_constantIbLb1EES1M_EEDaS1H_S1I_EUlS1H_E_NS1_11comp_targetILNS1_3genE9ELNS1_11target_archE1100ELNS1_3gpuE3ELNS1_3repE0EEENS1_30default_config_static_selectorELNS0_4arch9wavefront6targetE0EEEvSV_,comdat
.Lfunc_end686:
	.size	_ZN7rocprim17ROCPRIM_400000_NS6detail17trampoline_kernelINS0_13select_configILj256ELj13ELNS0_17block_load_methodE3ELS4_3ELS4_3ELNS0_20block_scan_algorithmE0ELj4294967295EEENS1_25partition_config_selectorILNS1_17partition_subalgoE3EjNS0_10empty_typeEbEEZZNS1_14partition_implILS8_3ELb0ES6_jNS0_17counting_iteratorIjlEEPS9_SE_NS0_5tupleIJPjSE_EEENSF_IJSE_SE_EEES9_SG_JZNS1_25segmented_radix_sort_implINS0_14default_configELb1EPKlPlSM_SN_N2at6native12_GLOBAL__N_18offset_tEEE10hipError_tPvRmT1_PNSt15iterator_traitsISV_E10value_typeET2_T3_PNSW_IS11_E10value_typeET4_jRbjT5_S17_jjP12ihipStream_tbEUljE_EEESS_ST_SU_S11_S15_S17_T6_T7_T9_mT8_S19_bDpT10_ENKUlT_T0_E_clISt17integral_constantIbLb1EES1M_EEDaS1H_S1I_EUlS1H_E_NS1_11comp_targetILNS1_3genE9ELNS1_11target_archE1100ELNS1_3gpuE3ELNS1_3repE0EEENS1_30default_config_static_selectorELNS0_4arch9wavefront6targetE0EEEvSV_, .Lfunc_end686-_ZN7rocprim17ROCPRIM_400000_NS6detail17trampoline_kernelINS0_13select_configILj256ELj13ELNS0_17block_load_methodE3ELS4_3ELS4_3ELNS0_20block_scan_algorithmE0ELj4294967295EEENS1_25partition_config_selectorILNS1_17partition_subalgoE3EjNS0_10empty_typeEbEEZZNS1_14partition_implILS8_3ELb0ES6_jNS0_17counting_iteratorIjlEEPS9_SE_NS0_5tupleIJPjSE_EEENSF_IJSE_SE_EEES9_SG_JZNS1_25segmented_radix_sort_implINS0_14default_configELb1EPKlPlSM_SN_N2at6native12_GLOBAL__N_18offset_tEEE10hipError_tPvRmT1_PNSt15iterator_traitsISV_E10value_typeET2_T3_PNSW_IS11_E10value_typeET4_jRbjT5_S17_jjP12ihipStream_tbEUljE_EEESS_ST_SU_S11_S15_S17_T6_T7_T9_mT8_S19_bDpT10_ENKUlT_T0_E_clISt17integral_constantIbLb1EES1M_EEDaS1H_S1I_EUlS1H_E_NS1_11comp_targetILNS1_3genE9ELNS1_11target_archE1100ELNS1_3gpuE3ELNS1_3repE0EEENS1_30default_config_static_selectorELNS0_4arch9wavefront6targetE0EEEvSV_
                                        ; -- End function
	.section	.AMDGPU.csdata,"",@progbits
; Kernel info:
; codeLenInByte = 9140
; NumSgprs: 28
; NumVgprs: 60
; ScratchSize: 0
; MemoryBound: 0
; FloatMode: 240
; IeeeMode: 1
; LDSByteSize: 13324 bytes/workgroup (compile time only)
; SGPRBlocks: 3
; VGPRBlocks: 7
; NumSGPRsForWavesPerEU: 28
; NumVGPRsForWavesPerEU: 60
; Occupancy: 16
; WaveLimiterHint : 0
; COMPUTE_PGM_RSRC2:SCRATCH_EN: 0
; COMPUTE_PGM_RSRC2:USER_SGPR: 15
; COMPUTE_PGM_RSRC2:TRAP_HANDLER: 0
; COMPUTE_PGM_RSRC2:TGID_X_EN: 1
; COMPUTE_PGM_RSRC2:TGID_Y_EN: 0
; COMPUTE_PGM_RSRC2:TGID_Z_EN: 0
; COMPUTE_PGM_RSRC2:TIDIG_COMP_CNT: 0
	.section	.text._ZN7rocprim17ROCPRIM_400000_NS6detail17trampoline_kernelINS0_13select_configILj256ELj13ELNS0_17block_load_methodE3ELS4_3ELS4_3ELNS0_20block_scan_algorithmE0ELj4294967295EEENS1_25partition_config_selectorILNS1_17partition_subalgoE3EjNS0_10empty_typeEbEEZZNS1_14partition_implILS8_3ELb0ES6_jNS0_17counting_iteratorIjlEEPS9_SE_NS0_5tupleIJPjSE_EEENSF_IJSE_SE_EEES9_SG_JZNS1_25segmented_radix_sort_implINS0_14default_configELb1EPKlPlSM_SN_N2at6native12_GLOBAL__N_18offset_tEEE10hipError_tPvRmT1_PNSt15iterator_traitsISV_E10value_typeET2_T3_PNSW_IS11_E10value_typeET4_jRbjT5_S17_jjP12ihipStream_tbEUljE_EEESS_ST_SU_S11_S15_S17_T6_T7_T9_mT8_S19_bDpT10_ENKUlT_T0_E_clISt17integral_constantIbLb1EES1M_EEDaS1H_S1I_EUlS1H_E_NS1_11comp_targetILNS1_3genE8ELNS1_11target_archE1030ELNS1_3gpuE2ELNS1_3repE0EEENS1_30default_config_static_selectorELNS0_4arch9wavefront6targetE0EEEvSV_,"axG",@progbits,_ZN7rocprim17ROCPRIM_400000_NS6detail17trampoline_kernelINS0_13select_configILj256ELj13ELNS0_17block_load_methodE3ELS4_3ELS4_3ELNS0_20block_scan_algorithmE0ELj4294967295EEENS1_25partition_config_selectorILNS1_17partition_subalgoE3EjNS0_10empty_typeEbEEZZNS1_14partition_implILS8_3ELb0ES6_jNS0_17counting_iteratorIjlEEPS9_SE_NS0_5tupleIJPjSE_EEENSF_IJSE_SE_EEES9_SG_JZNS1_25segmented_radix_sort_implINS0_14default_configELb1EPKlPlSM_SN_N2at6native12_GLOBAL__N_18offset_tEEE10hipError_tPvRmT1_PNSt15iterator_traitsISV_E10value_typeET2_T3_PNSW_IS11_E10value_typeET4_jRbjT5_S17_jjP12ihipStream_tbEUljE_EEESS_ST_SU_S11_S15_S17_T6_T7_T9_mT8_S19_bDpT10_ENKUlT_T0_E_clISt17integral_constantIbLb1EES1M_EEDaS1H_S1I_EUlS1H_E_NS1_11comp_targetILNS1_3genE8ELNS1_11target_archE1030ELNS1_3gpuE2ELNS1_3repE0EEENS1_30default_config_static_selectorELNS0_4arch9wavefront6targetE0EEEvSV_,comdat
	.globl	_ZN7rocprim17ROCPRIM_400000_NS6detail17trampoline_kernelINS0_13select_configILj256ELj13ELNS0_17block_load_methodE3ELS4_3ELS4_3ELNS0_20block_scan_algorithmE0ELj4294967295EEENS1_25partition_config_selectorILNS1_17partition_subalgoE3EjNS0_10empty_typeEbEEZZNS1_14partition_implILS8_3ELb0ES6_jNS0_17counting_iteratorIjlEEPS9_SE_NS0_5tupleIJPjSE_EEENSF_IJSE_SE_EEES9_SG_JZNS1_25segmented_radix_sort_implINS0_14default_configELb1EPKlPlSM_SN_N2at6native12_GLOBAL__N_18offset_tEEE10hipError_tPvRmT1_PNSt15iterator_traitsISV_E10value_typeET2_T3_PNSW_IS11_E10value_typeET4_jRbjT5_S17_jjP12ihipStream_tbEUljE_EEESS_ST_SU_S11_S15_S17_T6_T7_T9_mT8_S19_bDpT10_ENKUlT_T0_E_clISt17integral_constantIbLb1EES1M_EEDaS1H_S1I_EUlS1H_E_NS1_11comp_targetILNS1_3genE8ELNS1_11target_archE1030ELNS1_3gpuE2ELNS1_3repE0EEENS1_30default_config_static_selectorELNS0_4arch9wavefront6targetE0EEEvSV_ ; -- Begin function _ZN7rocprim17ROCPRIM_400000_NS6detail17trampoline_kernelINS0_13select_configILj256ELj13ELNS0_17block_load_methodE3ELS4_3ELS4_3ELNS0_20block_scan_algorithmE0ELj4294967295EEENS1_25partition_config_selectorILNS1_17partition_subalgoE3EjNS0_10empty_typeEbEEZZNS1_14partition_implILS8_3ELb0ES6_jNS0_17counting_iteratorIjlEEPS9_SE_NS0_5tupleIJPjSE_EEENSF_IJSE_SE_EEES9_SG_JZNS1_25segmented_radix_sort_implINS0_14default_configELb1EPKlPlSM_SN_N2at6native12_GLOBAL__N_18offset_tEEE10hipError_tPvRmT1_PNSt15iterator_traitsISV_E10value_typeET2_T3_PNSW_IS11_E10value_typeET4_jRbjT5_S17_jjP12ihipStream_tbEUljE_EEESS_ST_SU_S11_S15_S17_T6_T7_T9_mT8_S19_bDpT10_ENKUlT_T0_E_clISt17integral_constantIbLb1EES1M_EEDaS1H_S1I_EUlS1H_E_NS1_11comp_targetILNS1_3genE8ELNS1_11target_archE1030ELNS1_3gpuE2ELNS1_3repE0EEENS1_30default_config_static_selectorELNS0_4arch9wavefront6targetE0EEEvSV_
	.p2align	8
	.type	_ZN7rocprim17ROCPRIM_400000_NS6detail17trampoline_kernelINS0_13select_configILj256ELj13ELNS0_17block_load_methodE3ELS4_3ELS4_3ELNS0_20block_scan_algorithmE0ELj4294967295EEENS1_25partition_config_selectorILNS1_17partition_subalgoE3EjNS0_10empty_typeEbEEZZNS1_14partition_implILS8_3ELb0ES6_jNS0_17counting_iteratorIjlEEPS9_SE_NS0_5tupleIJPjSE_EEENSF_IJSE_SE_EEES9_SG_JZNS1_25segmented_radix_sort_implINS0_14default_configELb1EPKlPlSM_SN_N2at6native12_GLOBAL__N_18offset_tEEE10hipError_tPvRmT1_PNSt15iterator_traitsISV_E10value_typeET2_T3_PNSW_IS11_E10value_typeET4_jRbjT5_S17_jjP12ihipStream_tbEUljE_EEESS_ST_SU_S11_S15_S17_T6_T7_T9_mT8_S19_bDpT10_ENKUlT_T0_E_clISt17integral_constantIbLb1EES1M_EEDaS1H_S1I_EUlS1H_E_NS1_11comp_targetILNS1_3genE8ELNS1_11target_archE1030ELNS1_3gpuE2ELNS1_3repE0EEENS1_30default_config_static_selectorELNS0_4arch9wavefront6targetE0EEEvSV_,@function
_ZN7rocprim17ROCPRIM_400000_NS6detail17trampoline_kernelINS0_13select_configILj256ELj13ELNS0_17block_load_methodE3ELS4_3ELS4_3ELNS0_20block_scan_algorithmE0ELj4294967295EEENS1_25partition_config_selectorILNS1_17partition_subalgoE3EjNS0_10empty_typeEbEEZZNS1_14partition_implILS8_3ELb0ES6_jNS0_17counting_iteratorIjlEEPS9_SE_NS0_5tupleIJPjSE_EEENSF_IJSE_SE_EEES9_SG_JZNS1_25segmented_radix_sort_implINS0_14default_configELb1EPKlPlSM_SN_N2at6native12_GLOBAL__N_18offset_tEEE10hipError_tPvRmT1_PNSt15iterator_traitsISV_E10value_typeET2_T3_PNSW_IS11_E10value_typeET4_jRbjT5_S17_jjP12ihipStream_tbEUljE_EEESS_ST_SU_S11_S15_S17_T6_T7_T9_mT8_S19_bDpT10_ENKUlT_T0_E_clISt17integral_constantIbLb1EES1M_EEDaS1H_S1I_EUlS1H_E_NS1_11comp_targetILNS1_3genE8ELNS1_11target_archE1030ELNS1_3gpuE2ELNS1_3repE0EEENS1_30default_config_static_selectorELNS0_4arch9wavefront6targetE0EEEvSV_: ; @_ZN7rocprim17ROCPRIM_400000_NS6detail17trampoline_kernelINS0_13select_configILj256ELj13ELNS0_17block_load_methodE3ELS4_3ELS4_3ELNS0_20block_scan_algorithmE0ELj4294967295EEENS1_25partition_config_selectorILNS1_17partition_subalgoE3EjNS0_10empty_typeEbEEZZNS1_14partition_implILS8_3ELb0ES6_jNS0_17counting_iteratorIjlEEPS9_SE_NS0_5tupleIJPjSE_EEENSF_IJSE_SE_EEES9_SG_JZNS1_25segmented_radix_sort_implINS0_14default_configELb1EPKlPlSM_SN_N2at6native12_GLOBAL__N_18offset_tEEE10hipError_tPvRmT1_PNSt15iterator_traitsISV_E10value_typeET2_T3_PNSW_IS11_E10value_typeET4_jRbjT5_S17_jjP12ihipStream_tbEUljE_EEESS_ST_SU_S11_S15_S17_T6_T7_T9_mT8_S19_bDpT10_ENKUlT_T0_E_clISt17integral_constantIbLb1EES1M_EEDaS1H_S1I_EUlS1H_E_NS1_11comp_targetILNS1_3genE8ELNS1_11target_archE1030ELNS1_3gpuE2ELNS1_3repE0EEENS1_30default_config_static_selectorELNS0_4arch9wavefront6targetE0EEEvSV_
; %bb.0:
	.section	.rodata,"a",@progbits
	.p2align	6, 0x0
	.amdhsa_kernel _ZN7rocprim17ROCPRIM_400000_NS6detail17trampoline_kernelINS0_13select_configILj256ELj13ELNS0_17block_load_methodE3ELS4_3ELS4_3ELNS0_20block_scan_algorithmE0ELj4294967295EEENS1_25partition_config_selectorILNS1_17partition_subalgoE3EjNS0_10empty_typeEbEEZZNS1_14partition_implILS8_3ELb0ES6_jNS0_17counting_iteratorIjlEEPS9_SE_NS0_5tupleIJPjSE_EEENSF_IJSE_SE_EEES9_SG_JZNS1_25segmented_radix_sort_implINS0_14default_configELb1EPKlPlSM_SN_N2at6native12_GLOBAL__N_18offset_tEEE10hipError_tPvRmT1_PNSt15iterator_traitsISV_E10value_typeET2_T3_PNSW_IS11_E10value_typeET4_jRbjT5_S17_jjP12ihipStream_tbEUljE_EEESS_ST_SU_S11_S15_S17_T6_T7_T9_mT8_S19_bDpT10_ENKUlT_T0_E_clISt17integral_constantIbLb1EES1M_EEDaS1H_S1I_EUlS1H_E_NS1_11comp_targetILNS1_3genE8ELNS1_11target_archE1030ELNS1_3gpuE2ELNS1_3repE0EEENS1_30default_config_static_selectorELNS0_4arch9wavefront6targetE0EEEvSV_
		.amdhsa_group_segment_fixed_size 0
		.amdhsa_private_segment_fixed_size 0
		.amdhsa_kernarg_size 152
		.amdhsa_user_sgpr_count 15
		.amdhsa_user_sgpr_dispatch_ptr 0
		.amdhsa_user_sgpr_queue_ptr 0
		.amdhsa_user_sgpr_kernarg_segment_ptr 1
		.amdhsa_user_sgpr_dispatch_id 0
		.amdhsa_user_sgpr_private_segment_size 0
		.amdhsa_wavefront_size32 1
		.amdhsa_uses_dynamic_stack 0
		.amdhsa_enable_private_segment 0
		.amdhsa_system_sgpr_workgroup_id_x 1
		.amdhsa_system_sgpr_workgroup_id_y 0
		.amdhsa_system_sgpr_workgroup_id_z 0
		.amdhsa_system_sgpr_workgroup_info 0
		.amdhsa_system_vgpr_workitem_id 0
		.amdhsa_next_free_vgpr 1
		.amdhsa_next_free_sgpr 1
		.amdhsa_reserve_vcc 0
		.amdhsa_float_round_mode_32 0
		.amdhsa_float_round_mode_16_64 0
		.amdhsa_float_denorm_mode_32 3
		.amdhsa_float_denorm_mode_16_64 3
		.amdhsa_dx10_clamp 1
		.amdhsa_ieee_mode 1
		.amdhsa_fp16_overflow 0
		.amdhsa_workgroup_processor_mode 1
		.amdhsa_memory_ordered 1
		.amdhsa_forward_progress 0
		.amdhsa_shared_vgpr_count 0
		.amdhsa_exception_fp_ieee_invalid_op 0
		.amdhsa_exception_fp_denorm_src 0
		.amdhsa_exception_fp_ieee_div_zero 0
		.amdhsa_exception_fp_ieee_overflow 0
		.amdhsa_exception_fp_ieee_underflow 0
		.amdhsa_exception_fp_ieee_inexact 0
		.amdhsa_exception_int_div_zero 0
	.end_amdhsa_kernel
	.section	.text._ZN7rocprim17ROCPRIM_400000_NS6detail17trampoline_kernelINS0_13select_configILj256ELj13ELNS0_17block_load_methodE3ELS4_3ELS4_3ELNS0_20block_scan_algorithmE0ELj4294967295EEENS1_25partition_config_selectorILNS1_17partition_subalgoE3EjNS0_10empty_typeEbEEZZNS1_14partition_implILS8_3ELb0ES6_jNS0_17counting_iteratorIjlEEPS9_SE_NS0_5tupleIJPjSE_EEENSF_IJSE_SE_EEES9_SG_JZNS1_25segmented_radix_sort_implINS0_14default_configELb1EPKlPlSM_SN_N2at6native12_GLOBAL__N_18offset_tEEE10hipError_tPvRmT1_PNSt15iterator_traitsISV_E10value_typeET2_T3_PNSW_IS11_E10value_typeET4_jRbjT5_S17_jjP12ihipStream_tbEUljE_EEESS_ST_SU_S11_S15_S17_T6_T7_T9_mT8_S19_bDpT10_ENKUlT_T0_E_clISt17integral_constantIbLb1EES1M_EEDaS1H_S1I_EUlS1H_E_NS1_11comp_targetILNS1_3genE8ELNS1_11target_archE1030ELNS1_3gpuE2ELNS1_3repE0EEENS1_30default_config_static_selectorELNS0_4arch9wavefront6targetE0EEEvSV_,"axG",@progbits,_ZN7rocprim17ROCPRIM_400000_NS6detail17trampoline_kernelINS0_13select_configILj256ELj13ELNS0_17block_load_methodE3ELS4_3ELS4_3ELNS0_20block_scan_algorithmE0ELj4294967295EEENS1_25partition_config_selectorILNS1_17partition_subalgoE3EjNS0_10empty_typeEbEEZZNS1_14partition_implILS8_3ELb0ES6_jNS0_17counting_iteratorIjlEEPS9_SE_NS0_5tupleIJPjSE_EEENSF_IJSE_SE_EEES9_SG_JZNS1_25segmented_radix_sort_implINS0_14default_configELb1EPKlPlSM_SN_N2at6native12_GLOBAL__N_18offset_tEEE10hipError_tPvRmT1_PNSt15iterator_traitsISV_E10value_typeET2_T3_PNSW_IS11_E10value_typeET4_jRbjT5_S17_jjP12ihipStream_tbEUljE_EEESS_ST_SU_S11_S15_S17_T6_T7_T9_mT8_S19_bDpT10_ENKUlT_T0_E_clISt17integral_constantIbLb1EES1M_EEDaS1H_S1I_EUlS1H_E_NS1_11comp_targetILNS1_3genE8ELNS1_11target_archE1030ELNS1_3gpuE2ELNS1_3repE0EEENS1_30default_config_static_selectorELNS0_4arch9wavefront6targetE0EEEvSV_,comdat
.Lfunc_end687:
	.size	_ZN7rocprim17ROCPRIM_400000_NS6detail17trampoline_kernelINS0_13select_configILj256ELj13ELNS0_17block_load_methodE3ELS4_3ELS4_3ELNS0_20block_scan_algorithmE0ELj4294967295EEENS1_25partition_config_selectorILNS1_17partition_subalgoE3EjNS0_10empty_typeEbEEZZNS1_14partition_implILS8_3ELb0ES6_jNS0_17counting_iteratorIjlEEPS9_SE_NS0_5tupleIJPjSE_EEENSF_IJSE_SE_EEES9_SG_JZNS1_25segmented_radix_sort_implINS0_14default_configELb1EPKlPlSM_SN_N2at6native12_GLOBAL__N_18offset_tEEE10hipError_tPvRmT1_PNSt15iterator_traitsISV_E10value_typeET2_T3_PNSW_IS11_E10value_typeET4_jRbjT5_S17_jjP12ihipStream_tbEUljE_EEESS_ST_SU_S11_S15_S17_T6_T7_T9_mT8_S19_bDpT10_ENKUlT_T0_E_clISt17integral_constantIbLb1EES1M_EEDaS1H_S1I_EUlS1H_E_NS1_11comp_targetILNS1_3genE8ELNS1_11target_archE1030ELNS1_3gpuE2ELNS1_3repE0EEENS1_30default_config_static_selectorELNS0_4arch9wavefront6targetE0EEEvSV_, .Lfunc_end687-_ZN7rocprim17ROCPRIM_400000_NS6detail17trampoline_kernelINS0_13select_configILj256ELj13ELNS0_17block_load_methodE3ELS4_3ELS4_3ELNS0_20block_scan_algorithmE0ELj4294967295EEENS1_25partition_config_selectorILNS1_17partition_subalgoE3EjNS0_10empty_typeEbEEZZNS1_14partition_implILS8_3ELb0ES6_jNS0_17counting_iteratorIjlEEPS9_SE_NS0_5tupleIJPjSE_EEENSF_IJSE_SE_EEES9_SG_JZNS1_25segmented_radix_sort_implINS0_14default_configELb1EPKlPlSM_SN_N2at6native12_GLOBAL__N_18offset_tEEE10hipError_tPvRmT1_PNSt15iterator_traitsISV_E10value_typeET2_T3_PNSW_IS11_E10value_typeET4_jRbjT5_S17_jjP12ihipStream_tbEUljE_EEESS_ST_SU_S11_S15_S17_T6_T7_T9_mT8_S19_bDpT10_ENKUlT_T0_E_clISt17integral_constantIbLb1EES1M_EEDaS1H_S1I_EUlS1H_E_NS1_11comp_targetILNS1_3genE8ELNS1_11target_archE1030ELNS1_3gpuE2ELNS1_3repE0EEENS1_30default_config_static_selectorELNS0_4arch9wavefront6targetE0EEEvSV_
                                        ; -- End function
	.section	.AMDGPU.csdata,"",@progbits
; Kernel info:
; codeLenInByte = 0
; NumSgprs: 0
; NumVgprs: 0
; ScratchSize: 0
; MemoryBound: 0
; FloatMode: 240
; IeeeMode: 1
; LDSByteSize: 0 bytes/workgroup (compile time only)
; SGPRBlocks: 0
; VGPRBlocks: 0
; NumSGPRsForWavesPerEU: 1
; NumVGPRsForWavesPerEU: 1
; Occupancy: 16
; WaveLimiterHint : 0
; COMPUTE_PGM_RSRC2:SCRATCH_EN: 0
; COMPUTE_PGM_RSRC2:USER_SGPR: 15
; COMPUTE_PGM_RSRC2:TRAP_HANDLER: 0
; COMPUTE_PGM_RSRC2:TGID_X_EN: 1
; COMPUTE_PGM_RSRC2:TGID_Y_EN: 0
; COMPUTE_PGM_RSRC2:TGID_Z_EN: 0
; COMPUTE_PGM_RSRC2:TIDIG_COMP_CNT: 0
	.section	.text._ZN7rocprim17ROCPRIM_400000_NS6detail17trampoline_kernelINS0_13select_configILj256ELj13ELNS0_17block_load_methodE3ELS4_3ELS4_3ELNS0_20block_scan_algorithmE0ELj4294967295EEENS1_25partition_config_selectorILNS1_17partition_subalgoE3EjNS0_10empty_typeEbEEZZNS1_14partition_implILS8_3ELb0ES6_jNS0_17counting_iteratorIjlEEPS9_SE_NS0_5tupleIJPjSE_EEENSF_IJSE_SE_EEES9_SG_JZNS1_25segmented_radix_sort_implINS0_14default_configELb1EPKlPlSM_SN_N2at6native12_GLOBAL__N_18offset_tEEE10hipError_tPvRmT1_PNSt15iterator_traitsISV_E10value_typeET2_T3_PNSW_IS11_E10value_typeET4_jRbjT5_S17_jjP12ihipStream_tbEUljE_EEESS_ST_SU_S11_S15_S17_T6_T7_T9_mT8_S19_bDpT10_ENKUlT_T0_E_clISt17integral_constantIbLb1EES1L_IbLb0EEEEDaS1H_S1I_EUlS1H_E_NS1_11comp_targetILNS1_3genE0ELNS1_11target_archE4294967295ELNS1_3gpuE0ELNS1_3repE0EEENS1_30default_config_static_selectorELNS0_4arch9wavefront6targetE0EEEvSV_,"axG",@progbits,_ZN7rocprim17ROCPRIM_400000_NS6detail17trampoline_kernelINS0_13select_configILj256ELj13ELNS0_17block_load_methodE3ELS4_3ELS4_3ELNS0_20block_scan_algorithmE0ELj4294967295EEENS1_25partition_config_selectorILNS1_17partition_subalgoE3EjNS0_10empty_typeEbEEZZNS1_14partition_implILS8_3ELb0ES6_jNS0_17counting_iteratorIjlEEPS9_SE_NS0_5tupleIJPjSE_EEENSF_IJSE_SE_EEES9_SG_JZNS1_25segmented_radix_sort_implINS0_14default_configELb1EPKlPlSM_SN_N2at6native12_GLOBAL__N_18offset_tEEE10hipError_tPvRmT1_PNSt15iterator_traitsISV_E10value_typeET2_T3_PNSW_IS11_E10value_typeET4_jRbjT5_S17_jjP12ihipStream_tbEUljE_EEESS_ST_SU_S11_S15_S17_T6_T7_T9_mT8_S19_bDpT10_ENKUlT_T0_E_clISt17integral_constantIbLb1EES1L_IbLb0EEEEDaS1H_S1I_EUlS1H_E_NS1_11comp_targetILNS1_3genE0ELNS1_11target_archE4294967295ELNS1_3gpuE0ELNS1_3repE0EEENS1_30default_config_static_selectorELNS0_4arch9wavefront6targetE0EEEvSV_,comdat
	.globl	_ZN7rocprim17ROCPRIM_400000_NS6detail17trampoline_kernelINS0_13select_configILj256ELj13ELNS0_17block_load_methodE3ELS4_3ELS4_3ELNS0_20block_scan_algorithmE0ELj4294967295EEENS1_25partition_config_selectorILNS1_17partition_subalgoE3EjNS0_10empty_typeEbEEZZNS1_14partition_implILS8_3ELb0ES6_jNS0_17counting_iteratorIjlEEPS9_SE_NS0_5tupleIJPjSE_EEENSF_IJSE_SE_EEES9_SG_JZNS1_25segmented_radix_sort_implINS0_14default_configELb1EPKlPlSM_SN_N2at6native12_GLOBAL__N_18offset_tEEE10hipError_tPvRmT1_PNSt15iterator_traitsISV_E10value_typeET2_T3_PNSW_IS11_E10value_typeET4_jRbjT5_S17_jjP12ihipStream_tbEUljE_EEESS_ST_SU_S11_S15_S17_T6_T7_T9_mT8_S19_bDpT10_ENKUlT_T0_E_clISt17integral_constantIbLb1EES1L_IbLb0EEEEDaS1H_S1I_EUlS1H_E_NS1_11comp_targetILNS1_3genE0ELNS1_11target_archE4294967295ELNS1_3gpuE0ELNS1_3repE0EEENS1_30default_config_static_selectorELNS0_4arch9wavefront6targetE0EEEvSV_ ; -- Begin function _ZN7rocprim17ROCPRIM_400000_NS6detail17trampoline_kernelINS0_13select_configILj256ELj13ELNS0_17block_load_methodE3ELS4_3ELS4_3ELNS0_20block_scan_algorithmE0ELj4294967295EEENS1_25partition_config_selectorILNS1_17partition_subalgoE3EjNS0_10empty_typeEbEEZZNS1_14partition_implILS8_3ELb0ES6_jNS0_17counting_iteratorIjlEEPS9_SE_NS0_5tupleIJPjSE_EEENSF_IJSE_SE_EEES9_SG_JZNS1_25segmented_radix_sort_implINS0_14default_configELb1EPKlPlSM_SN_N2at6native12_GLOBAL__N_18offset_tEEE10hipError_tPvRmT1_PNSt15iterator_traitsISV_E10value_typeET2_T3_PNSW_IS11_E10value_typeET4_jRbjT5_S17_jjP12ihipStream_tbEUljE_EEESS_ST_SU_S11_S15_S17_T6_T7_T9_mT8_S19_bDpT10_ENKUlT_T0_E_clISt17integral_constantIbLb1EES1L_IbLb0EEEEDaS1H_S1I_EUlS1H_E_NS1_11comp_targetILNS1_3genE0ELNS1_11target_archE4294967295ELNS1_3gpuE0ELNS1_3repE0EEENS1_30default_config_static_selectorELNS0_4arch9wavefront6targetE0EEEvSV_
	.p2align	8
	.type	_ZN7rocprim17ROCPRIM_400000_NS6detail17trampoline_kernelINS0_13select_configILj256ELj13ELNS0_17block_load_methodE3ELS4_3ELS4_3ELNS0_20block_scan_algorithmE0ELj4294967295EEENS1_25partition_config_selectorILNS1_17partition_subalgoE3EjNS0_10empty_typeEbEEZZNS1_14partition_implILS8_3ELb0ES6_jNS0_17counting_iteratorIjlEEPS9_SE_NS0_5tupleIJPjSE_EEENSF_IJSE_SE_EEES9_SG_JZNS1_25segmented_radix_sort_implINS0_14default_configELb1EPKlPlSM_SN_N2at6native12_GLOBAL__N_18offset_tEEE10hipError_tPvRmT1_PNSt15iterator_traitsISV_E10value_typeET2_T3_PNSW_IS11_E10value_typeET4_jRbjT5_S17_jjP12ihipStream_tbEUljE_EEESS_ST_SU_S11_S15_S17_T6_T7_T9_mT8_S19_bDpT10_ENKUlT_T0_E_clISt17integral_constantIbLb1EES1L_IbLb0EEEEDaS1H_S1I_EUlS1H_E_NS1_11comp_targetILNS1_3genE0ELNS1_11target_archE4294967295ELNS1_3gpuE0ELNS1_3repE0EEENS1_30default_config_static_selectorELNS0_4arch9wavefront6targetE0EEEvSV_,@function
_ZN7rocprim17ROCPRIM_400000_NS6detail17trampoline_kernelINS0_13select_configILj256ELj13ELNS0_17block_load_methodE3ELS4_3ELS4_3ELNS0_20block_scan_algorithmE0ELj4294967295EEENS1_25partition_config_selectorILNS1_17partition_subalgoE3EjNS0_10empty_typeEbEEZZNS1_14partition_implILS8_3ELb0ES6_jNS0_17counting_iteratorIjlEEPS9_SE_NS0_5tupleIJPjSE_EEENSF_IJSE_SE_EEES9_SG_JZNS1_25segmented_radix_sort_implINS0_14default_configELb1EPKlPlSM_SN_N2at6native12_GLOBAL__N_18offset_tEEE10hipError_tPvRmT1_PNSt15iterator_traitsISV_E10value_typeET2_T3_PNSW_IS11_E10value_typeET4_jRbjT5_S17_jjP12ihipStream_tbEUljE_EEESS_ST_SU_S11_S15_S17_T6_T7_T9_mT8_S19_bDpT10_ENKUlT_T0_E_clISt17integral_constantIbLb1EES1L_IbLb0EEEEDaS1H_S1I_EUlS1H_E_NS1_11comp_targetILNS1_3genE0ELNS1_11target_archE4294967295ELNS1_3gpuE0ELNS1_3repE0EEENS1_30default_config_static_selectorELNS0_4arch9wavefront6targetE0EEEvSV_: ; @_ZN7rocprim17ROCPRIM_400000_NS6detail17trampoline_kernelINS0_13select_configILj256ELj13ELNS0_17block_load_methodE3ELS4_3ELS4_3ELNS0_20block_scan_algorithmE0ELj4294967295EEENS1_25partition_config_selectorILNS1_17partition_subalgoE3EjNS0_10empty_typeEbEEZZNS1_14partition_implILS8_3ELb0ES6_jNS0_17counting_iteratorIjlEEPS9_SE_NS0_5tupleIJPjSE_EEENSF_IJSE_SE_EEES9_SG_JZNS1_25segmented_radix_sort_implINS0_14default_configELb1EPKlPlSM_SN_N2at6native12_GLOBAL__N_18offset_tEEE10hipError_tPvRmT1_PNSt15iterator_traitsISV_E10value_typeET2_T3_PNSW_IS11_E10value_typeET4_jRbjT5_S17_jjP12ihipStream_tbEUljE_EEESS_ST_SU_S11_S15_S17_T6_T7_T9_mT8_S19_bDpT10_ENKUlT_T0_E_clISt17integral_constantIbLb1EES1L_IbLb0EEEEDaS1H_S1I_EUlS1H_E_NS1_11comp_targetILNS1_3genE0ELNS1_11target_archE4294967295ELNS1_3gpuE0ELNS1_3repE0EEENS1_30default_config_static_selectorELNS0_4arch9wavefront6targetE0EEEvSV_
; %bb.0:
	.section	.rodata,"a",@progbits
	.p2align	6, 0x0
	.amdhsa_kernel _ZN7rocprim17ROCPRIM_400000_NS6detail17trampoline_kernelINS0_13select_configILj256ELj13ELNS0_17block_load_methodE3ELS4_3ELS4_3ELNS0_20block_scan_algorithmE0ELj4294967295EEENS1_25partition_config_selectorILNS1_17partition_subalgoE3EjNS0_10empty_typeEbEEZZNS1_14partition_implILS8_3ELb0ES6_jNS0_17counting_iteratorIjlEEPS9_SE_NS0_5tupleIJPjSE_EEENSF_IJSE_SE_EEES9_SG_JZNS1_25segmented_radix_sort_implINS0_14default_configELb1EPKlPlSM_SN_N2at6native12_GLOBAL__N_18offset_tEEE10hipError_tPvRmT1_PNSt15iterator_traitsISV_E10value_typeET2_T3_PNSW_IS11_E10value_typeET4_jRbjT5_S17_jjP12ihipStream_tbEUljE_EEESS_ST_SU_S11_S15_S17_T6_T7_T9_mT8_S19_bDpT10_ENKUlT_T0_E_clISt17integral_constantIbLb1EES1L_IbLb0EEEEDaS1H_S1I_EUlS1H_E_NS1_11comp_targetILNS1_3genE0ELNS1_11target_archE4294967295ELNS1_3gpuE0ELNS1_3repE0EEENS1_30default_config_static_selectorELNS0_4arch9wavefront6targetE0EEEvSV_
		.amdhsa_group_segment_fixed_size 0
		.amdhsa_private_segment_fixed_size 0
		.amdhsa_kernarg_size 144
		.amdhsa_user_sgpr_count 15
		.amdhsa_user_sgpr_dispatch_ptr 0
		.amdhsa_user_sgpr_queue_ptr 0
		.amdhsa_user_sgpr_kernarg_segment_ptr 1
		.amdhsa_user_sgpr_dispatch_id 0
		.amdhsa_user_sgpr_private_segment_size 0
		.amdhsa_wavefront_size32 1
		.amdhsa_uses_dynamic_stack 0
		.amdhsa_enable_private_segment 0
		.amdhsa_system_sgpr_workgroup_id_x 1
		.amdhsa_system_sgpr_workgroup_id_y 0
		.amdhsa_system_sgpr_workgroup_id_z 0
		.amdhsa_system_sgpr_workgroup_info 0
		.amdhsa_system_vgpr_workitem_id 0
		.amdhsa_next_free_vgpr 1
		.amdhsa_next_free_sgpr 1
		.amdhsa_reserve_vcc 0
		.amdhsa_float_round_mode_32 0
		.amdhsa_float_round_mode_16_64 0
		.amdhsa_float_denorm_mode_32 3
		.amdhsa_float_denorm_mode_16_64 3
		.amdhsa_dx10_clamp 1
		.amdhsa_ieee_mode 1
		.amdhsa_fp16_overflow 0
		.amdhsa_workgroup_processor_mode 1
		.amdhsa_memory_ordered 1
		.amdhsa_forward_progress 0
		.amdhsa_shared_vgpr_count 0
		.amdhsa_exception_fp_ieee_invalid_op 0
		.amdhsa_exception_fp_denorm_src 0
		.amdhsa_exception_fp_ieee_div_zero 0
		.amdhsa_exception_fp_ieee_overflow 0
		.amdhsa_exception_fp_ieee_underflow 0
		.amdhsa_exception_fp_ieee_inexact 0
		.amdhsa_exception_int_div_zero 0
	.end_amdhsa_kernel
	.section	.text._ZN7rocprim17ROCPRIM_400000_NS6detail17trampoline_kernelINS0_13select_configILj256ELj13ELNS0_17block_load_methodE3ELS4_3ELS4_3ELNS0_20block_scan_algorithmE0ELj4294967295EEENS1_25partition_config_selectorILNS1_17partition_subalgoE3EjNS0_10empty_typeEbEEZZNS1_14partition_implILS8_3ELb0ES6_jNS0_17counting_iteratorIjlEEPS9_SE_NS0_5tupleIJPjSE_EEENSF_IJSE_SE_EEES9_SG_JZNS1_25segmented_radix_sort_implINS0_14default_configELb1EPKlPlSM_SN_N2at6native12_GLOBAL__N_18offset_tEEE10hipError_tPvRmT1_PNSt15iterator_traitsISV_E10value_typeET2_T3_PNSW_IS11_E10value_typeET4_jRbjT5_S17_jjP12ihipStream_tbEUljE_EEESS_ST_SU_S11_S15_S17_T6_T7_T9_mT8_S19_bDpT10_ENKUlT_T0_E_clISt17integral_constantIbLb1EES1L_IbLb0EEEEDaS1H_S1I_EUlS1H_E_NS1_11comp_targetILNS1_3genE0ELNS1_11target_archE4294967295ELNS1_3gpuE0ELNS1_3repE0EEENS1_30default_config_static_selectorELNS0_4arch9wavefront6targetE0EEEvSV_,"axG",@progbits,_ZN7rocprim17ROCPRIM_400000_NS6detail17trampoline_kernelINS0_13select_configILj256ELj13ELNS0_17block_load_methodE3ELS4_3ELS4_3ELNS0_20block_scan_algorithmE0ELj4294967295EEENS1_25partition_config_selectorILNS1_17partition_subalgoE3EjNS0_10empty_typeEbEEZZNS1_14partition_implILS8_3ELb0ES6_jNS0_17counting_iteratorIjlEEPS9_SE_NS0_5tupleIJPjSE_EEENSF_IJSE_SE_EEES9_SG_JZNS1_25segmented_radix_sort_implINS0_14default_configELb1EPKlPlSM_SN_N2at6native12_GLOBAL__N_18offset_tEEE10hipError_tPvRmT1_PNSt15iterator_traitsISV_E10value_typeET2_T3_PNSW_IS11_E10value_typeET4_jRbjT5_S17_jjP12ihipStream_tbEUljE_EEESS_ST_SU_S11_S15_S17_T6_T7_T9_mT8_S19_bDpT10_ENKUlT_T0_E_clISt17integral_constantIbLb1EES1L_IbLb0EEEEDaS1H_S1I_EUlS1H_E_NS1_11comp_targetILNS1_3genE0ELNS1_11target_archE4294967295ELNS1_3gpuE0ELNS1_3repE0EEENS1_30default_config_static_selectorELNS0_4arch9wavefront6targetE0EEEvSV_,comdat
.Lfunc_end688:
	.size	_ZN7rocprim17ROCPRIM_400000_NS6detail17trampoline_kernelINS0_13select_configILj256ELj13ELNS0_17block_load_methodE3ELS4_3ELS4_3ELNS0_20block_scan_algorithmE0ELj4294967295EEENS1_25partition_config_selectorILNS1_17partition_subalgoE3EjNS0_10empty_typeEbEEZZNS1_14partition_implILS8_3ELb0ES6_jNS0_17counting_iteratorIjlEEPS9_SE_NS0_5tupleIJPjSE_EEENSF_IJSE_SE_EEES9_SG_JZNS1_25segmented_radix_sort_implINS0_14default_configELb1EPKlPlSM_SN_N2at6native12_GLOBAL__N_18offset_tEEE10hipError_tPvRmT1_PNSt15iterator_traitsISV_E10value_typeET2_T3_PNSW_IS11_E10value_typeET4_jRbjT5_S17_jjP12ihipStream_tbEUljE_EEESS_ST_SU_S11_S15_S17_T6_T7_T9_mT8_S19_bDpT10_ENKUlT_T0_E_clISt17integral_constantIbLb1EES1L_IbLb0EEEEDaS1H_S1I_EUlS1H_E_NS1_11comp_targetILNS1_3genE0ELNS1_11target_archE4294967295ELNS1_3gpuE0ELNS1_3repE0EEENS1_30default_config_static_selectorELNS0_4arch9wavefront6targetE0EEEvSV_, .Lfunc_end688-_ZN7rocprim17ROCPRIM_400000_NS6detail17trampoline_kernelINS0_13select_configILj256ELj13ELNS0_17block_load_methodE3ELS4_3ELS4_3ELNS0_20block_scan_algorithmE0ELj4294967295EEENS1_25partition_config_selectorILNS1_17partition_subalgoE3EjNS0_10empty_typeEbEEZZNS1_14partition_implILS8_3ELb0ES6_jNS0_17counting_iteratorIjlEEPS9_SE_NS0_5tupleIJPjSE_EEENSF_IJSE_SE_EEES9_SG_JZNS1_25segmented_radix_sort_implINS0_14default_configELb1EPKlPlSM_SN_N2at6native12_GLOBAL__N_18offset_tEEE10hipError_tPvRmT1_PNSt15iterator_traitsISV_E10value_typeET2_T3_PNSW_IS11_E10value_typeET4_jRbjT5_S17_jjP12ihipStream_tbEUljE_EEESS_ST_SU_S11_S15_S17_T6_T7_T9_mT8_S19_bDpT10_ENKUlT_T0_E_clISt17integral_constantIbLb1EES1L_IbLb0EEEEDaS1H_S1I_EUlS1H_E_NS1_11comp_targetILNS1_3genE0ELNS1_11target_archE4294967295ELNS1_3gpuE0ELNS1_3repE0EEENS1_30default_config_static_selectorELNS0_4arch9wavefront6targetE0EEEvSV_
                                        ; -- End function
	.section	.AMDGPU.csdata,"",@progbits
; Kernel info:
; codeLenInByte = 0
; NumSgprs: 0
; NumVgprs: 0
; ScratchSize: 0
; MemoryBound: 0
; FloatMode: 240
; IeeeMode: 1
; LDSByteSize: 0 bytes/workgroup (compile time only)
; SGPRBlocks: 0
; VGPRBlocks: 0
; NumSGPRsForWavesPerEU: 1
; NumVGPRsForWavesPerEU: 1
; Occupancy: 16
; WaveLimiterHint : 0
; COMPUTE_PGM_RSRC2:SCRATCH_EN: 0
; COMPUTE_PGM_RSRC2:USER_SGPR: 15
; COMPUTE_PGM_RSRC2:TRAP_HANDLER: 0
; COMPUTE_PGM_RSRC2:TGID_X_EN: 1
; COMPUTE_PGM_RSRC2:TGID_Y_EN: 0
; COMPUTE_PGM_RSRC2:TGID_Z_EN: 0
; COMPUTE_PGM_RSRC2:TIDIG_COMP_CNT: 0
	.section	.text._ZN7rocprim17ROCPRIM_400000_NS6detail17trampoline_kernelINS0_13select_configILj256ELj13ELNS0_17block_load_methodE3ELS4_3ELS4_3ELNS0_20block_scan_algorithmE0ELj4294967295EEENS1_25partition_config_selectorILNS1_17partition_subalgoE3EjNS0_10empty_typeEbEEZZNS1_14partition_implILS8_3ELb0ES6_jNS0_17counting_iteratorIjlEEPS9_SE_NS0_5tupleIJPjSE_EEENSF_IJSE_SE_EEES9_SG_JZNS1_25segmented_radix_sort_implINS0_14default_configELb1EPKlPlSM_SN_N2at6native12_GLOBAL__N_18offset_tEEE10hipError_tPvRmT1_PNSt15iterator_traitsISV_E10value_typeET2_T3_PNSW_IS11_E10value_typeET4_jRbjT5_S17_jjP12ihipStream_tbEUljE_EEESS_ST_SU_S11_S15_S17_T6_T7_T9_mT8_S19_bDpT10_ENKUlT_T0_E_clISt17integral_constantIbLb1EES1L_IbLb0EEEEDaS1H_S1I_EUlS1H_E_NS1_11comp_targetILNS1_3genE5ELNS1_11target_archE942ELNS1_3gpuE9ELNS1_3repE0EEENS1_30default_config_static_selectorELNS0_4arch9wavefront6targetE0EEEvSV_,"axG",@progbits,_ZN7rocprim17ROCPRIM_400000_NS6detail17trampoline_kernelINS0_13select_configILj256ELj13ELNS0_17block_load_methodE3ELS4_3ELS4_3ELNS0_20block_scan_algorithmE0ELj4294967295EEENS1_25partition_config_selectorILNS1_17partition_subalgoE3EjNS0_10empty_typeEbEEZZNS1_14partition_implILS8_3ELb0ES6_jNS0_17counting_iteratorIjlEEPS9_SE_NS0_5tupleIJPjSE_EEENSF_IJSE_SE_EEES9_SG_JZNS1_25segmented_radix_sort_implINS0_14default_configELb1EPKlPlSM_SN_N2at6native12_GLOBAL__N_18offset_tEEE10hipError_tPvRmT1_PNSt15iterator_traitsISV_E10value_typeET2_T3_PNSW_IS11_E10value_typeET4_jRbjT5_S17_jjP12ihipStream_tbEUljE_EEESS_ST_SU_S11_S15_S17_T6_T7_T9_mT8_S19_bDpT10_ENKUlT_T0_E_clISt17integral_constantIbLb1EES1L_IbLb0EEEEDaS1H_S1I_EUlS1H_E_NS1_11comp_targetILNS1_3genE5ELNS1_11target_archE942ELNS1_3gpuE9ELNS1_3repE0EEENS1_30default_config_static_selectorELNS0_4arch9wavefront6targetE0EEEvSV_,comdat
	.globl	_ZN7rocprim17ROCPRIM_400000_NS6detail17trampoline_kernelINS0_13select_configILj256ELj13ELNS0_17block_load_methodE3ELS4_3ELS4_3ELNS0_20block_scan_algorithmE0ELj4294967295EEENS1_25partition_config_selectorILNS1_17partition_subalgoE3EjNS0_10empty_typeEbEEZZNS1_14partition_implILS8_3ELb0ES6_jNS0_17counting_iteratorIjlEEPS9_SE_NS0_5tupleIJPjSE_EEENSF_IJSE_SE_EEES9_SG_JZNS1_25segmented_radix_sort_implINS0_14default_configELb1EPKlPlSM_SN_N2at6native12_GLOBAL__N_18offset_tEEE10hipError_tPvRmT1_PNSt15iterator_traitsISV_E10value_typeET2_T3_PNSW_IS11_E10value_typeET4_jRbjT5_S17_jjP12ihipStream_tbEUljE_EEESS_ST_SU_S11_S15_S17_T6_T7_T9_mT8_S19_bDpT10_ENKUlT_T0_E_clISt17integral_constantIbLb1EES1L_IbLb0EEEEDaS1H_S1I_EUlS1H_E_NS1_11comp_targetILNS1_3genE5ELNS1_11target_archE942ELNS1_3gpuE9ELNS1_3repE0EEENS1_30default_config_static_selectorELNS0_4arch9wavefront6targetE0EEEvSV_ ; -- Begin function _ZN7rocprim17ROCPRIM_400000_NS6detail17trampoline_kernelINS0_13select_configILj256ELj13ELNS0_17block_load_methodE3ELS4_3ELS4_3ELNS0_20block_scan_algorithmE0ELj4294967295EEENS1_25partition_config_selectorILNS1_17partition_subalgoE3EjNS0_10empty_typeEbEEZZNS1_14partition_implILS8_3ELb0ES6_jNS0_17counting_iteratorIjlEEPS9_SE_NS0_5tupleIJPjSE_EEENSF_IJSE_SE_EEES9_SG_JZNS1_25segmented_radix_sort_implINS0_14default_configELb1EPKlPlSM_SN_N2at6native12_GLOBAL__N_18offset_tEEE10hipError_tPvRmT1_PNSt15iterator_traitsISV_E10value_typeET2_T3_PNSW_IS11_E10value_typeET4_jRbjT5_S17_jjP12ihipStream_tbEUljE_EEESS_ST_SU_S11_S15_S17_T6_T7_T9_mT8_S19_bDpT10_ENKUlT_T0_E_clISt17integral_constantIbLb1EES1L_IbLb0EEEEDaS1H_S1I_EUlS1H_E_NS1_11comp_targetILNS1_3genE5ELNS1_11target_archE942ELNS1_3gpuE9ELNS1_3repE0EEENS1_30default_config_static_selectorELNS0_4arch9wavefront6targetE0EEEvSV_
	.p2align	8
	.type	_ZN7rocprim17ROCPRIM_400000_NS6detail17trampoline_kernelINS0_13select_configILj256ELj13ELNS0_17block_load_methodE3ELS4_3ELS4_3ELNS0_20block_scan_algorithmE0ELj4294967295EEENS1_25partition_config_selectorILNS1_17partition_subalgoE3EjNS0_10empty_typeEbEEZZNS1_14partition_implILS8_3ELb0ES6_jNS0_17counting_iteratorIjlEEPS9_SE_NS0_5tupleIJPjSE_EEENSF_IJSE_SE_EEES9_SG_JZNS1_25segmented_radix_sort_implINS0_14default_configELb1EPKlPlSM_SN_N2at6native12_GLOBAL__N_18offset_tEEE10hipError_tPvRmT1_PNSt15iterator_traitsISV_E10value_typeET2_T3_PNSW_IS11_E10value_typeET4_jRbjT5_S17_jjP12ihipStream_tbEUljE_EEESS_ST_SU_S11_S15_S17_T6_T7_T9_mT8_S19_bDpT10_ENKUlT_T0_E_clISt17integral_constantIbLb1EES1L_IbLb0EEEEDaS1H_S1I_EUlS1H_E_NS1_11comp_targetILNS1_3genE5ELNS1_11target_archE942ELNS1_3gpuE9ELNS1_3repE0EEENS1_30default_config_static_selectorELNS0_4arch9wavefront6targetE0EEEvSV_,@function
_ZN7rocprim17ROCPRIM_400000_NS6detail17trampoline_kernelINS0_13select_configILj256ELj13ELNS0_17block_load_methodE3ELS4_3ELS4_3ELNS0_20block_scan_algorithmE0ELj4294967295EEENS1_25partition_config_selectorILNS1_17partition_subalgoE3EjNS0_10empty_typeEbEEZZNS1_14partition_implILS8_3ELb0ES6_jNS0_17counting_iteratorIjlEEPS9_SE_NS0_5tupleIJPjSE_EEENSF_IJSE_SE_EEES9_SG_JZNS1_25segmented_radix_sort_implINS0_14default_configELb1EPKlPlSM_SN_N2at6native12_GLOBAL__N_18offset_tEEE10hipError_tPvRmT1_PNSt15iterator_traitsISV_E10value_typeET2_T3_PNSW_IS11_E10value_typeET4_jRbjT5_S17_jjP12ihipStream_tbEUljE_EEESS_ST_SU_S11_S15_S17_T6_T7_T9_mT8_S19_bDpT10_ENKUlT_T0_E_clISt17integral_constantIbLb1EES1L_IbLb0EEEEDaS1H_S1I_EUlS1H_E_NS1_11comp_targetILNS1_3genE5ELNS1_11target_archE942ELNS1_3gpuE9ELNS1_3repE0EEENS1_30default_config_static_selectorELNS0_4arch9wavefront6targetE0EEEvSV_: ; @_ZN7rocprim17ROCPRIM_400000_NS6detail17trampoline_kernelINS0_13select_configILj256ELj13ELNS0_17block_load_methodE3ELS4_3ELS4_3ELNS0_20block_scan_algorithmE0ELj4294967295EEENS1_25partition_config_selectorILNS1_17partition_subalgoE3EjNS0_10empty_typeEbEEZZNS1_14partition_implILS8_3ELb0ES6_jNS0_17counting_iteratorIjlEEPS9_SE_NS0_5tupleIJPjSE_EEENSF_IJSE_SE_EEES9_SG_JZNS1_25segmented_radix_sort_implINS0_14default_configELb1EPKlPlSM_SN_N2at6native12_GLOBAL__N_18offset_tEEE10hipError_tPvRmT1_PNSt15iterator_traitsISV_E10value_typeET2_T3_PNSW_IS11_E10value_typeET4_jRbjT5_S17_jjP12ihipStream_tbEUljE_EEESS_ST_SU_S11_S15_S17_T6_T7_T9_mT8_S19_bDpT10_ENKUlT_T0_E_clISt17integral_constantIbLb1EES1L_IbLb0EEEEDaS1H_S1I_EUlS1H_E_NS1_11comp_targetILNS1_3genE5ELNS1_11target_archE942ELNS1_3gpuE9ELNS1_3repE0EEENS1_30default_config_static_selectorELNS0_4arch9wavefront6targetE0EEEvSV_
; %bb.0:
	.section	.rodata,"a",@progbits
	.p2align	6, 0x0
	.amdhsa_kernel _ZN7rocprim17ROCPRIM_400000_NS6detail17trampoline_kernelINS0_13select_configILj256ELj13ELNS0_17block_load_methodE3ELS4_3ELS4_3ELNS0_20block_scan_algorithmE0ELj4294967295EEENS1_25partition_config_selectorILNS1_17partition_subalgoE3EjNS0_10empty_typeEbEEZZNS1_14partition_implILS8_3ELb0ES6_jNS0_17counting_iteratorIjlEEPS9_SE_NS0_5tupleIJPjSE_EEENSF_IJSE_SE_EEES9_SG_JZNS1_25segmented_radix_sort_implINS0_14default_configELb1EPKlPlSM_SN_N2at6native12_GLOBAL__N_18offset_tEEE10hipError_tPvRmT1_PNSt15iterator_traitsISV_E10value_typeET2_T3_PNSW_IS11_E10value_typeET4_jRbjT5_S17_jjP12ihipStream_tbEUljE_EEESS_ST_SU_S11_S15_S17_T6_T7_T9_mT8_S19_bDpT10_ENKUlT_T0_E_clISt17integral_constantIbLb1EES1L_IbLb0EEEEDaS1H_S1I_EUlS1H_E_NS1_11comp_targetILNS1_3genE5ELNS1_11target_archE942ELNS1_3gpuE9ELNS1_3repE0EEENS1_30default_config_static_selectorELNS0_4arch9wavefront6targetE0EEEvSV_
		.amdhsa_group_segment_fixed_size 0
		.amdhsa_private_segment_fixed_size 0
		.amdhsa_kernarg_size 144
		.amdhsa_user_sgpr_count 15
		.amdhsa_user_sgpr_dispatch_ptr 0
		.amdhsa_user_sgpr_queue_ptr 0
		.amdhsa_user_sgpr_kernarg_segment_ptr 1
		.amdhsa_user_sgpr_dispatch_id 0
		.amdhsa_user_sgpr_private_segment_size 0
		.amdhsa_wavefront_size32 1
		.amdhsa_uses_dynamic_stack 0
		.amdhsa_enable_private_segment 0
		.amdhsa_system_sgpr_workgroup_id_x 1
		.amdhsa_system_sgpr_workgroup_id_y 0
		.amdhsa_system_sgpr_workgroup_id_z 0
		.amdhsa_system_sgpr_workgroup_info 0
		.amdhsa_system_vgpr_workitem_id 0
		.amdhsa_next_free_vgpr 1
		.amdhsa_next_free_sgpr 1
		.amdhsa_reserve_vcc 0
		.amdhsa_float_round_mode_32 0
		.amdhsa_float_round_mode_16_64 0
		.amdhsa_float_denorm_mode_32 3
		.amdhsa_float_denorm_mode_16_64 3
		.amdhsa_dx10_clamp 1
		.amdhsa_ieee_mode 1
		.amdhsa_fp16_overflow 0
		.amdhsa_workgroup_processor_mode 1
		.amdhsa_memory_ordered 1
		.amdhsa_forward_progress 0
		.amdhsa_shared_vgpr_count 0
		.amdhsa_exception_fp_ieee_invalid_op 0
		.amdhsa_exception_fp_denorm_src 0
		.amdhsa_exception_fp_ieee_div_zero 0
		.amdhsa_exception_fp_ieee_overflow 0
		.amdhsa_exception_fp_ieee_underflow 0
		.amdhsa_exception_fp_ieee_inexact 0
		.amdhsa_exception_int_div_zero 0
	.end_amdhsa_kernel
	.section	.text._ZN7rocprim17ROCPRIM_400000_NS6detail17trampoline_kernelINS0_13select_configILj256ELj13ELNS0_17block_load_methodE3ELS4_3ELS4_3ELNS0_20block_scan_algorithmE0ELj4294967295EEENS1_25partition_config_selectorILNS1_17partition_subalgoE3EjNS0_10empty_typeEbEEZZNS1_14partition_implILS8_3ELb0ES6_jNS0_17counting_iteratorIjlEEPS9_SE_NS0_5tupleIJPjSE_EEENSF_IJSE_SE_EEES9_SG_JZNS1_25segmented_radix_sort_implINS0_14default_configELb1EPKlPlSM_SN_N2at6native12_GLOBAL__N_18offset_tEEE10hipError_tPvRmT1_PNSt15iterator_traitsISV_E10value_typeET2_T3_PNSW_IS11_E10value_typeET4_jRbjT5_S17_jjP12ihipStream_tbEUljE_EEESS_ST_SU_S11_S15_S17_T6_T7_T9_mT8_S19_bDpT10_ENKUlT_T0_E_clISt17integral_constantIbLb1EES1L_IbLb0EEEEDaS1H_S1I_EUlS1H_E_NS1_11comp_targetILNS1_3genE5ELNS1_11target_archE942ELNS1_3gpuE9ELNS1_3repE0EEENS1_30default_config_static_selectorELNS0_4arch9wavefront6targetE0EEEvSV_,"axG",@progbits,_ZN7rocprim17ROCPRIM_400000_NS6detail17trampoline_kernelINS0_13select_configILj256ELj13ELNS0_17block_load_methodE3ELS4_3ELS4_3ELNS0_20block_scan_algorithmE0ELj4294967295EEENS1_25partition_config_selectorILNS1_17partition_subalgoE3EjNS0_10empty_typeEbEEZZNS1_14partition_implILS8_3ELb0ES6_jNS0_17counting_iteratorIjlEEPS9_SE_NS0_5tupleIJPjSE_EEENSF_IJSE_SE_EEES9_SG_JZNS1_25segmented_radix_sort_implINS0_14default_configELb1EPKlPlSM_SN_N2at6native12_GLOBAL__N_18offset_tEEE10hipError_tPvRmT1_PNSt15iterator_traitsISV_E10value_typeET2_T3_PNSW_IS11_E10value_typeET4_jRbjT5_S17_jjP12ihipStream_tbEUljE_EEESS_ST_SU_S11_S15_S17_T6_T7_T9_mT8_S19_bDpT10_ENKUlT_T0_E_clISt17integral_constantIbLb1EES1L_IbLb0EEEEDaS1H_S1I_EUlS1H_E_NS1_11comp_targetILNS1_3genE5ELNS1_11target_archE942ELNS1_3gpuE9ELNS1_3repE0EEENS1_30default_config_static_selectorELNS0_4arch9wavefront6targetE0EEEvSV_,comdat
.Lfunc_end689:
	.size	_ZN7rocprim17ROCPRIM_400000_NS6detail17trampoline_kernelINS0_13select_configILj256ELj13ELNS0_17block_load_methodE3ELS4_3ELS4_3ELNS0_20block_scan_algorithmE0ELj4294967295EEENS1_25partition_config_selectorILNS1_17partition_subalgoE3EjNS0_10empty_typeEbEEZZNS1_14partition_implILS8_3ELb0ES6_jNS0_17counting_iteratorIjlEEPS9_SE_NS0_5tupleIJPjSE_EEENSF_IJSE_SE_EEES9_SG_JZNS1_25segmented_radix_sort_implINS0_14default_configELb1EPKlPlSM_SN_N2at6native12_GLOBAL__N_18offset_tEEE10hipError_tPvRmT1_PNSt15iterator_traitsISV_E10value_typeET2_T3_PNSW_IS11_E10value_typeET4_jRbjT5_S17_jjP12ihipStream_tbEUljE_EEESS_ST_SU_S11_S15_S17_T6_T7_T9_mT8_S19_bDpT10_ENKUlT_T0_E_clISt17integral_constantIbLb1EES1L_IbLb0EEEEDaS1H_S1I_EUlS1H_E_NS1_11comp_targetILNS1_3genE5ELNS1_11target_archE942ELNS1_3gpuE9ELNS1_3repE0EEENS1_30default_config_static_selectorELNS0_4arch9wavefront6targetE0EEEvSV_, .Lfunc_end689-_ZN7rocprim17ROCPRIM_400000_NS6detail17trampoline_kernelINS0_13select_configILj256ELj13ELNS0_17block_load_methodE3ELS4_3ELS4_3ELNS0_20block_scan_algorithmE0ELj4294967295EEENS1_25partition_config_selectorILNS1_17partition_subalgoE3EjNS0_10empty_typeEbEEZZNS1_14partition_implILS8_3ELb0ES6_jNS0_17counting_iteratorIjlEEPS9_SE_NS0_5tupleIJPjSE_EEENSF_IJSE_SE_EEES9_SG_JZNS1_25segmented_radix_sort_implINS0_14default_configELb1EPKlPlSM_SN_N2at6native12_GLOBAL__N_18offset_tEEE10hipError_tPvRmT1_PNSt15iterator_traitsISV_E10value_typeET2_T3_PNSW_IS11_E10value_typeET4_jRbjT5_S17_jjP12ihipStream_tbEUljE_EEESS_ST_SU_S11_S15_S17_T6_T7_T9_mT8_S19_bDpT10_ENKUlT_T0_E_clISt17integral_constantIbLb1EES1L_IbLb0EEEEDaS1H_S1I_EUlS1H_E_NS1_11comp_targetILNS1_3genE5ELNS1_11target_archE942ELNS1_3gpuE9ELNS1_3repE0EEENS1_30default_config_static_selectorELNS0_4arch9wavefront6targetE0EEEvSV_
                                        ; -- End function
	.section	.AMDGPU.csdata,"",@progbits
; Kernel info:
; codeLenInByte = 0
; NumSgprs: 0
; NumVgprs: 0
; ScratchSize: 0
; MemoryBound: 0
; FloatMode: 240
; IeeeMode: 1
; LDSByteSize: 0 bytes/workgroup (compile time only)
; SGPRBlocks: 0
; VGPRBlocks: 0
; NumSGPRsForWavesPerEU: 1
; NumVGPRsForWavesPerEU: 1
; Occupancy: 16
; WaveLimiterHint : 0
; COMPUTE_PGM_RSRC2:SCRATCH_EN: 0
; COMPUTE_PGM_RSRC2:USER_SGPR: 15
; COMPUTE_PGM_RSRC2:TRAP_HANDLER: 0
; COMPUTE_PGM_RSRC2:TGID_X_EN: 1
; COMPUTE_PGM_RSRC2:TGID_Y_EN: 0
; COMPUTE_PGM_RSRC2:TGID_Z_EN: 0
; COMPUTE_PGM_RSRC2:TIDIG_COMP_CNT: 0
	.section	.text._ZN7rocprim17ROCPRIM_400000_NS6detail17trampoline_kernelINS0_13select_configILj256ELj13ELNS0_17block_load_methodE3ELS4_3ELS4_3ELNS0_20block_scan_algorithmE0ELj4294967295EEENS1_25partition_config_selectorILNS1_17partition_subalgoE3EjNS0_10empty_typeEbEEZZNS1_14partition_implILS8_3ELb0ES6_jNS0_17counting_iteratorIjlEEPS9_SE_NS0_5tupleIJPjSE_EEENSF_IJSE_SE_EEES9_SG_JZNS1_25segmented_radix_sort_implINS0_14default_configELb1EPKlPlSM_SN_N2at6native12_GLOBAL__N_18offset_tEEE10hipError_tPvRmT1_PNSt15iterator_traitsISV_E10value_typeET2_T3_PNSW_IS11_E10value_typeET4_jRbjT5_S17_jjP12ihipStream_tbEUljE_EEESS_ST_SU_S11_S15_S17_T6_T7_T9_mT8_S19_bDpT10_ENKUlT_T0_E_clISt17integral_constantIbLb1EES1L_IbLb0EEEEDaS1H_S1I_EUlS1H_E_NS1_11comp_targetILNS1_3genE4ELNS1_11target_archE910ELNS1_3gpuE8ELNS1_3repE0EEENS1_30default_config_static_selectorELNS0_4arch9wavefront6targetE0EEEvSV_,"axG",@progbits,_ZN7rocprim17ROCPRIM_400000_NS6detail17trampoline_kernelINS0_13select_configILj256ELj13ELNS0_17block_load_methodE3ELS4_3ELS4_3ELNS0_20block_scan_algorithmE0ELj4294967295EEENS1_25partition_config_selectorILNS1_17partition_subalgoE3EjNS0_10empty_typeEbEEZZNS1_14partition_implILS8_3ELb0ES6_jNS0_17counting_iteratorIjlEEPS9_SE_NS0_5tupleIJPjSE_EEENSF_IJSE_SE_EEES9_SG_JZNS1_25segmented_radix_sort_implINS0_14default_configELb1EPKlPlSM_SN_N2at6native12_GLOBAL__N_18offset_tEEE10hipError_tPvRmT1_PNSt15iterator_traitsISV_E10value_typeET2_T3_PNSW_IS11_E10value_typeET4_jRbjT5_S17_jjP12ihipStream_tbEUljE_EEESS_ST_SU_S11_S15_S17_T6_T7_T9_mT8_S19_bDpT10_ENKUlT_T0_E_clISt17integral_constantIbLb1EES1L_IbLb0EEEEDaS1H_S1I_EUlS1H_E_NS1_11comp_targetILNS1_3genE4ELNS1_11target_archE910ELNS1_3gpuE8ELNS1_3repE0EEENS1_30default_config_static_selectorELNS0_4arch9wavefront6targetE0EEEvSV_,comdat
	.globl	_ZN7rocprim17ROCPRIM_400000_NS6detail17trampoline_kernelINS0_13select_configILj256ELj13ELNS0_17block_load_methodE3ELS4_3ELS4_3ELNS0_20block_scan_algorithmE0ELj4294967295EEENS1_25partition_config_selectorILNS1_17partition_subalgoE3EjNS0_10empty_typeEbEEZZNS1_14partition_implILS8_3ELb0ES6_jNS0_17counting_iteratorIjlEEPS9_SE_NS0_5tupleIJPjSE_EEENSF_IJSE_SE_EEES9_SG_JZNS1_25segmented_radix_sort_implINS0_14default_configELb1EPKlPlSM_SN_N2at6native12_GLOBAL__N_18offset_tEEE10hipError_tPvRmT1_PNSt15iterator_traitsISV_E10value_typeET2_T3_PNSW_IS11_E10value_typeET4_jRbjT5_S17_jjP12ihipStream_tbEUljE_EEESS_ST_SU_S11_S15_S17_T6_T7_T9_mT8_S19_bDpT10_ENKUlT_T0_E_clISt17integral_constantIbLb1EES1L_IbLb0EEEEDaS1H_S1I_EUlS1H_E_NS1_11comp_targetILNS1_3genE4ELNS1_11target_archE910ELNS1_3gpuE8ELNS1_3repE0EEENS1_30default_config_static_selectorELNS0_4arch9wavefront6targetE0EEEvSV_ ; -- Begin function _ZN7rocprim17ROCPRIM_400000_NS6detail17trampoline_kernelINS0_13select_configILj256ELj13ELNS0_17block_load_methodE3ELS4_3ELS4_3ELNS0_20block_scan_algorithmE0ELj4294967295EEENS1_25partition_config_selectorILNS1_17partition_subalgoE3EjNS0_10empty_typeEbEEZZNS1_14partition_implILS8_3ELb0ES6_jNS0_17counting_iteratorIjlEEPS9_SE_NS0_5tupleIJPjSE_EEENSF_IJSE_SE_EEES9_SG_JZNS1_25segmented_radix_sort_implINS0_14default_configELb1EPKlPlSM_SN_N2at6native12_GLOBAL__N_18offset_tEEE10hipError_tPvRmT1_PNSt15iterator_traitsISV_E10value_typeET2_T3_PNSW_IS11_E10value_typeET4_jRbjT5_S17_jjP12ihipStream_tbEUljE_EEESS_ST_SU_S11_S15_S17_T6_T7_T9_mT8_S19_bDpT10_ENKUlT_T0_E_clISt17integral_constantIbLb1EES1L_IbLb0EEEEDaS1H_S1I_EUlS1H_E_NS1_11comp_targetILNS1_3genE4ELNS1_11target_archE910ELNS1_3gpuE8ELNS1_3repE0EEENS1_30default_config_static_selectorELNS0_4arch9wavefront6targetE0EEEvSV_
	.p2align	8
	.type	_ZN7rocprim17ROCPRIM_400000_NS6detail17trampoline_kernelINS0_13select_configILj256ELj13ELNS0_17block_load_methodE3ELS4_3ELS4_3ELNS0_20block_scan_algorithmE0ELj4294967295EEENS1_25partition_config_selectorILNS1_17partition_subalgoE3EjNS0_10empty_typeEbEEZZNS1_14partition_implILS8_3ELb0ES6_jNS0_17counting_iteratorIjlEEPS9_SE_NS0_5tupleIJPjSE_EEENSF_IJSE_SE_EEES9_SG_JZNS1_25segmented_radix_sort_implINS0_14default_configELb1EPKlPlSM_SN_N2at6native12_GLOBAL__N_18offset_tEEE10hipError_tPvRmT1_PNSt15iterator_traitsISV_E10value_typeET2_T3_PNSW_IS11_E10value_typeET4_jRbjT5_S17_jjP12ihipStream_tbEUljE_EEESS_ST_SU_S11_S15_S17_T6_T7_T9_mT8_S19_bDpT10_ENKUlT_T0_E_clISt17integral_constantIbLb1EES1L_IbLb0EEEEDaS1H_S1I_EUlS1H_E_NS1_11comp_targetILNS1_3genE4ELNS1_11target_archE910ELNS1_3gpuE8ELNS1_3repE0EEENS1_30default_config_static_selectorELNS0_4arch9wavefront6targetE0EEEvSV_,@function
_ZN7rocprim17ROCPRIM_400000_NS6detail17trampoline_kernelINS0_13select_configILj256ELj13ELNS0_17block_load_methodE3ELS4_3ELS4_3ELNS0_20block_scan_algorithmE0ELj4294967295EEENS1_25partition_config_selectorILNS1_17partition_subalgoE3EjNS0_10empty_typeEbEEZZNS1_14partition_implILS8_3ELb0ES6_jNS0_17counting_iteratorIjlEEPS9_SE_NS0_5tupleIJPjSE_EEENSF_IJSE_SE_EEES9_SG_JZNS1_25segmented_radix_sort_implINS0_14default_configELb1EPKlPlSM_SN_N2at6native12_GLOBAL__N_18offset_tEEE10hipError_tPvRmT1_PNSt15iterator_traitsISV_E10value_typeET2_T3_PNSW_IS11_E10value_typeET4_jRbjT5_S17_jjP12ihipStream_tbEUljE_EEESS_ST_SU_S11_S15_S17_T6_T7_T9_mT8_S19_bDpT10_ENKUlT_T0_E_clISt17integral_constantIbLb1EES1L_IbLb0EEEEDaS1H_S1I_EUlS1H_E_NS1_11comp_targetILNS1_3genE4ELNS1_11target_archE910ELNS1_3gpuE8ELNS1_3repE0EEENS1_30default_config_static_selectorELNS0_4arch9wavefront6targetE0EEEvSV_: ; @_ZN7rocprim17ROCPRIM_400000_NS6detail17trampoline_kernelINS0_13select_configILj256ELj13ELNS0_17block_load_methodE3ELS4_3ELS4_3ELNS0_20block_scan_algorithmE0ELj4294967295EEENS1_25partition_config_selectorILNS1_17partition_subalgoE3EjNS0_10empty_typeEbEEZZNS1_14partition_implILS8_3ELb0ES6_jNS0_17counting_iteratorIjlEEPS9_SE_NS0_5tupleIJPjSE_EEENSF_IJSE_SE_EEES9_SG_JZNS1_25segmented_radix_sort_implINS0_14default_configELb1EPKlPlSM_SN_N2at6native12_GLOBAL__N_18offset_tEEE10hipError_tPvRmT1_PNSt15iterator_traitsISV_E10value_typeET2_T3_PNSW_IS11_E10value_typeET4_jRbjT5_S17_jjP12ihipStream_tbEUljE_EEESS_ST_SU_S11_S15_S17_T6_T7_T9_mT8_S19_bDpT10_ENKUlT_T0_E_clISt17integral_constantIbLb1EES1L_IbLb0EEEEDaS1H_S1I_EUlS1H_E_NS1_11comp_targetILNS1_3genE4ELNS1_11target_archE910ELNS1_3gpuE8ELNS1_3repE0EEENS1_30default_config_static_selectorELNS0_4arch9wavefront6targetE0EEEvSV_
; %bb.0:
	.section	.rodata,"a",@progbits
	.p2align	6, 0x0
	.amdhsa_kernel _ZN7rocprim17ROCPRIM_400000_NS6detail17trampoline_kernelINS0_13select_configILj256ELj13ELNS0_17block_load_methodE3ELS4_3ELS4_3ELNS0_20block_scan_algorithmE0ELj4294967295EEENS1_25partition_config_selectorILNS1_17partition_subalgoE3EjNS0_10empty_typeEbEEZZNS1_14partition_implILS8_3ELb0ES6_jNS0_17counting_iteratorIjlEEPS9_SE_NS0_5tupleIJPjSE_EEENSF_IJSE_SE_EEES9_SG_JZNS1_25segmented_radix_sort_implINS0_14default_configELb1EPKlPlSM_SN_N2at6native12_GLOBAL__N_18offset_tEEE10hipError_tPvRmT1_PNSt15iterator_traitsISV_E10value_typeET2_T3_PNSW_IS11_E10value_typeET4_jRbjT5_S17_jjP12ihipStream_tbEUljE_EEESS_ST_SU_S11_S15_S17_T6_T7_T9_mT8_S19_bDpT10_ENKUlT_T0_E_clISt17integral_constantIbLb1EES1L_IbLb0EEEEDaS1H_S1I_EUlS1H_E_NS1_11comp_targetILNS1_3genE4ELNS1_11target_archE910ELNS1_3gpuE8ELNS1_3repE0EEENS1_30default_config_static_selectorELNS0_4arch9wavefront6targetE0EEEvSV_
		.amdhsa_group_segment_fixed_size 0
		.amdhsa_private_segment_fixed_size 0
		.amdhsa_kernarg_size 144
		.amdhsa_user_sgpr_count 15
		.amdhsa_user_sgpr_dispatch_ptr 0
		.amdhsa_user_sgpr_queue_ptr 0
		.amdhsa_user_sgpr_kernarg_segment_ptr 1
		.amdhsa_user_sgpr_dispatch_id 0
		.amdhsa_user_sgpr_private_segment_size 0
		.amdhsa_wavefront_size32 1
		.amdhsa_uses_dynamic_stack 0
		.amdhsa_enable_private_segment 0
		.amdhsa_system_sgpr_workgroup_id_x 1
		.amdhsa_system_sgpr_workgroup_id_y 0
		.amdhsa_system_sgpr_workgroup_id_z 0
		.amdhsa_system_sgpr_workgroup_info 0
		.amdhsa_system_vgpr_workitem_id 0
		.amdhsa_next_free_vgpr 1
		.amdhsa_next_free_sgpr 1
		.amdhsa_reserve_vcc 0
		.amdhsa_float_round_mode_32 0
		.amdhsa_float_round_mode_16_64 0
		.amdhsa_float_denorm_mode_32 3
		.amdhsa_float_denorm_mode_16_64 3
		.amdhsa_dx10_clamp 1
		.amdhsa_ieee_mode 1
		.amdhsa_fp16_overflow 0
		.amdhsa_workgroup_processor_mode 1
		.amdhsa_memory_ordered 1
		.amdhsa_forward_progress 0
		.amdhsa_shared_vgpr_count 0
		.amdhsa_exception_fp_ieee_invalid_op 0
		.amdhsa_exception_fp_denorm_src 0
		.amdhsa_exception_fp_ieee_div_zero 0
		.amdhsa_exception_fp_ieee_overflow 0
		.amdhsa_exception_fp_ieee_underflow 0
		.amdhsa_exception_fp_ieee_inexact 0
		.amdhsa_exception_int_div_zero 0
	.end_amdhsa_kernel
	.section	.text._ZN7rocprim17ROCPRIM_400000_NS6detail17trampoline_kernelINS0_13select_configILj256ELj13ELNS0_17block_load_methodE3ELS4_3ELS4_3ELNS0_20block_scan_algorithmE0ELj4294967295EEENS1_25partition_config_selectorILNS1_17partition_subalgoE3EjNS0_10empty_typeEbEEZZNS1_14partition_implILS8_3ELb0ES6_jNS0_17counting_iteratorIjlEEPS9_SE_NS0_5tupleIJPjSE_EEENSF_IJSE_SE_EEES9_SG_JZNS1_25segmented_radix_sort_implINS0_14default_configELb1EPKlPlSM_SN_N2at6native12_GLOBAL__N_18offset_tEEE10hipError_tPvRmT1_PNSt15iterator_traitsISV_E10value_typeET2_T3_PNSW_IS11_E10value_typeET4_jRbjT5_S17_jjP12ihipStream_tbEUljE_EEESS_ST_SU_S11_S15_S17_T6_T7_T9_mT8_S19_bDpT10_ENKUlT_T0_E_clISt17integral_constantIbLb1EES1L_IbLb0EEEEDaS1H_S1I_EUlS1H_E_NS1_11comp_targetILNS1_3genE4ELNS1_11target_archE910ELNS1_3gpuE8ELNS1_3repE0EEENS1_30default_config_static_selectorELNS0_4arch9wavefront6targetE0EEEvSV_,"axG",@progbits,_ZN7rocprim17ROCPRIM_400000_NS6detail17trampoline_kernelINS0_13select_configILj256ELj13ELNS0_17block_load_methodE3ELS4_3ELS4_3ELNS0_20block_scan_algorithmE0ELj4294967295EEENS1_25partition_config_selectorILNS1_17partition_subalgoE3EjNS0_10empty_typeEbEEZZNS1_14partition_implILS8_3ELb0ES6_jNS0_17counting_iteratorIjlEEPS9_SE_NS0_5tupleIJPjSE_EEENSF_IJSE_SE_EEES9_SG_JZNS1_25segmented_radix_sort_implINS0_14default_configELb1EPKlPlSM_SN_N2at6native12_GLOBAL__N_18offset_tEEE10hipError_tPvRmT1_PNSt15iterator_traitsISV_E10value_typeET2_T3_PNSW_IS11_E10value_typeET4_jRbjT5_S17_jjP12ihipStream_tbEUljE_EEESS_ST_SU_S11_S15_S17_T6_T7_T9_mT8_S19_bDpT10_ENKUlT_T0_E_clISt17integral_constantIbLb1EES1L_IbLb0EEEEDaS1H_S1I_EUlS1H_E_NS1_11comp_targetILNS1_3genE4ELNS1_11target_archE910ELNS1_3gpuE8ELNS1_3repE0EEENS1_30default_config_static_selectorELNS0_4arch9wavefront6targetE0EEEvSV_,comdat
.Lfunc_end690:
	.size	_ZN7rocprim17ROCPRIM_400000_NS6detail17trampoline_kernelINS0_13select_configILj256ELj13ELNS0_17block_load_methodE3ELS4_3ELS4_3ELNS0_20block_scan_algorithmE0ELj4294967295EEENS1_25partition_config_selectorILNS1_17partition_subalgoE3EjNS0_10empty_typeEbEEZZNS1_14partition_implILS8_3ELb0ES6_jNS0_17counting_iteratorIjlEEPS9_SE_NS0_5tupleIJPjSE_EEENSF_IJSE_SE_EEES9_SG_JZNS1_25segmented_radix_sort_implINS0_14default_configELb1EPKlPlSM_SN_N2at6native12_GLOBAL__N_18offset_tEEE10hipError_tPvRmT1_PNSt15iterator_traitsISV_E10value_typeET2_T3_PNSW_IS11_E10value_typeET4_jRbjT5_S17_jjP12ihipStream_tbEUljE_EEESS_ST_SU_S11_S15_S17_T6_T7_T9_mT8_S19_bDpT10_ENKUlT_T0_E_clISt17integral_constantIbLb1EES1L_IbLb0EEEEDaS1H_S1I_EUlS1H_E_NS1_11comp_targetILNS1_3genE4ELNS1_11target_archE910ELNS1_3gpuE8ELNS1_3repE0EEENS1_30default_config_static_selectorELNS0_4arch9wavefront6targetE0EEEvSV_, .Lfunc_end690-_ZN7rocprim17ROCPRIM_400000_NS6detail17trampoline_kernelINS0_13select_configILj256ELj13ELNS0_17block_load_methodE3ELS4_3ELS4_3ELNS0_20block_scan_algorithmE0ELj4294967295EEENS1_25partition_config_selectorILNS1_17partition_subalgoE3EjNS0_10empty_typeEbEEZZNS1_14partition_implILS8_3ELb0ES6_jNS0_17counting_iteratorIjlEEPS9_SE_NS0_5tupleIJPjSE_EEENSF_IJSE_SE_EEES9_SG_JZNS1_25segmented_radix_sort_implINS0_14default_configELb1EPKlPlSM_SN_N2at6native12_GLOBAL__N_18offset_tEEE10hipError_tPvRmT1_PNSt15iterator_traitsISV_E10value_typeET2_T3_PNSW_IS11_E10value_typeET4_jRbjT5_S17_jjP12ihipStream_tbEUljE_EEESS_ST_SU_S11_S15_S17_T6_T7_T9_mT8_S19_bDpT10_ENKUlT_T0_E_clISt17integral_constantIbLb1EES1L_IbLb0EEEEDaS1H_S1I_EUlS1H_E_NS1_11comp_targetILNS1_3genE4ELNS1_11target_archE910ELNS1_3gpuE8ELNS1_3repE0EEENS1_30default_config_static_selectorELNS0_4arch9wavefront6targetE0EEEvSV_
                                        ; -- End function
	.section	.AMDGPU.csdata,"",@progbits
; Kernel info:
; codeLenInByte = 0
; NumSgprs: 0
; NumVgprs: 0
; ScratchSize: 0
; MemoryBound: 0
; FloatMode: 240
; IeeeMode: 1
; LDSByteSize: 0 bytes/workgroup (compile time only)
; SGPRBlocks: 0
; VGPRBlocks: 0
; NumSGPRsForWavesPerEU: 1
; NumVGPRsForWavesPerEU: 1
; Occupancy: 16
; WaveLimiterHint : 0
; COMPUTE_PGM_RSRC2:SCRATCH_EN: 0
; COMPUTE_PGM_RSRC2:USER_SGPR: 15
; COMPUTE_PGM_RSRC2:TRAP_HANDLER: 0
; COMPUTE_PGM_RSRC2:TGID_X_EN: 1
; COMPUTE_PGM_RSRC2:TGID_Y_EN: 0
; COMPUTE_PGM_RSRC2:TGID_Z_EN: 0
; COMPUTE_PGM_RSRC2:TIDIG_COMP_CNT: 0
	.section	.text._ZN7rocprim17ROCPRIM_400000_NS6detail17trampoline_kernelINS0_13select_configILj256ELj13ELNS0_17block_load_methodE3ELS4_3ELS4_3ELNS0_20block_scan_algorithmE0ELj4294967295EEENS1_25partition_config_selectorILNS1_17partition_subalgoE3EjNS0_10empty_typeEbEEZZNS1_14partition_implILS8_3ELb0ES6_jNS0_17counting_iteratorIjlEEPS9_SE_NS0_5tupleIJPjSE_EEENSF_IJSE_SE_EEES9_SG_JZNS1_25segmented_radix_sort_implINS0_14default_configELb1EPKlPlSM_SN_N2at6native12_GLOBAL__N_18offset_tEEE10hipError_tPvRmT1_PNSt15iterator_traitsISV_E10value_typeET2_T3_PNSW_IS11_E10value_typeET4_jRbjT5_S17_jjP12ihipStream_tbEUljE_EEESS_ST_SU_S11_S15_S17_T6_T7_T9_mT8_S19_bDpT10_ENKUlT_T0_E_clISt17integral_constantIbLb1EES1L_IbLb0EEEEDaS1H_S1I_EUlS1H_E_NS1_11comp_targetILNS1_3genE3ELNS1_11target_archE908ELNS1_3gpuE7ELNS1_3repE0EEENS1_30default_config_static_selectorELNS0_4arch9wavefront6targetE0EEEvSV_,"axG",@progbits,_ZN7rocprim17ROCPRIM_400000_NS6detail17trampoline_kernelINS0_13select_configILj256ELj13ELNS0_17block_load_methodE3ELS4_3ELS4_3ELNS0_20block_scan_algorithmE0ELj4294967295EEENS1_25partition_config_selectorILNS1_17partition_subalgoE3EjNS0_10empty_typeEbEEZZNS1_14partition_implILS8_3ELb0ES6_jNS0_17counting_iteratorIjlEEPS9_SE_NS0_5tupleIJPjSE_EEENSF_IJSE_SE_EEES9_SG_JZNS1_25segmented_radix_sort_implINS0_14default_configELb1EPKlPlSM_SN_N2at6native12_GLOBAL__N_18offset_tEEE10hipError_tPvRmT1_PNSt15iterator_traitsISV_E10value_typeET2_T3_PNSW_IS11_E10value_typeET4_jRbjT5_S17_jjP12ihipStream_tbEUljE_EEESS_ST_SU_S11_S15_S17_T6_T7_T9_mT8_S19_bDpT10_ENKUlT_T0_E_clISt17integral_constantIbLb1EES1L_IbLb0EEEEDaS1H_S1I_EUlS1H_E_NS1_11comp_targetILNS1_3genE3ELNS1_11target_archE908ELNS1_3gpuE7ELNS1_3repE0EEENS1_30default_config_static_selectorELNS0_4arch9wavefront6targetE0EEEvSV_,comdat
	.globl	_ZN7rocprim17ROCPRIM_400000_NS6detail17trampoline_kernelINS0_13select_configILj256ELj13ELNS0_17block_load_methodE3ELS4_3ELS4_3ELNS0_20block_scan_algorithmE0ELj4294967295EEENS1_25partition_config_selectorILNS1_17partition_subalgoE3EjNS0_10empty_typeEbEEZZNS1_14partition_implILS8_3ELb0ES6_jNS0_17counting_iteratorIjlEEPS9_SE_NS0_5tupleIJPjSE_EEENSF_IJSE_SE_EEES9_SG_JZNS1_25segmented_radix_sort_implINS0_14default_configELb1EPKlPlSM_SN_N2at6native12_GLOBAL__N_18offset_tEEE10hipError_tPvRmT1_PNSt15iterator_traitsISV_E10value_typeET2_T3_PNSW_IS11_E10value_typeET4_jRbjT5_S17_jjP12ihipStream_tbEUljE_EEESS_ST_SU_S11_S15_S17_T6_T7_T9_mT8_S19_bDpT10_ENKUlT_T0_E_clISt17integral_constantIbLb1EES1L_IbLb0EEEEDaS1H_S1I_EUlS1H_E_NS1_11comp_targetILNS1_3genE3ELNS1_11target_archE908ELNS1_3gpuE7ELNS1_3repE0EEENS1_30default_config_static_selectorELNS0_4arch9wavefront6targetE0EEEvSV_ ; -- Begin function _ZN7rocprim17ROCPRIM_400000_NS6detail17trampoline_kernelINS0_13select_configILj256ELj13ELNS0_17block_load_methodE3ELS4_3ELS4_3ELNS0_20block_scan_algorithmE0ELj4294967295EEENS1_25partition_config_selectorILNS1_17partition_subalgoE3EjNS0_10empty_typeEbEEZZNS1_14partition_implILS8_3ELb0ES6_jNS0_17counting_iteratorIjlEEPS9_SE_NS0_5tupleIJPjSE_EEENSF_IJSE_SE_EEES9_SG_JZNS1_25segmented_radix_sort_implINS0_14default_configELb1EPKlPlSM_SN_N2at6native12_GLOBAL__N_18offset_tEEE10hipError_tPvRmT1_PNSt15iterator_traitsISV_E10value_typeET2_T3_PNSW_IS11_E10value_typeET4_jRbjT5_S17_jjP12ihipStream_tbEUljE_EEESS_ST_SU_S11_S15_S17_T6_T7_T9_mT8_S19_bDpT10_ENKUlT_T0_E_clISt17integral_constantIbLb1EES1L_IbLb0EEEEDaS1H_S1I_EUlS1H_E_NS1_11comp_targetILNS1_3genE3ELNS1_11target_archE908ELNS1_3gpuE7ELNS1_3repE0EEENS1_30default_config_static_selectorELNS0_4arch9wavefront6targetE0EEEvSV_
	.p2align	8
	.type	_ZN7rocprim17ROCPRIM_400000_NS6detail17trampoline_kernelINS0_13select_configILj256ELj13ELNS0_17block_load_methodE3ELS4_3ELS4_3ELNS0_20block_scan_algorithmE0ELj4294967295EEENS1_25partition_config_selectorILNS1_17partition_subalgoE3EjNS0_10empty_typeEbEEZZNS1_14partition_implILS8_3ELb0ES6_jNS0_17counting_iteratorIjlEEPS9_SE_NS0_5tupleIJPjSE_EEENSF_IJSE_SE_EEES9_SG_JZNS1_25segmented_radix_sort_implINS0_14default_configELb1EPKlPlSM_SN_N2at6native12_GLOBAL__N_18offset_tEEE10hipError_tPvRmT1_PNSt15iterator_traitsISV_E10value_typeET2_T3_PNSW_IS11_E10value_typeET4_jRbjT5_S17_jjP12ihipStream_tbEUljE_EEESS_ST_SU_S11_S15_S17_T6_T7_T9_mT8_S19_bDpT10_ENKUlT_T0_E_clISt17integral_constantIbLb1EES1L_IbLb0EEEEDaS1H_S1I_EUlS1H_E_NS1_11comp_targetILNS1_3genE3ELNS1_11target_archE908ELNS1_3gpuE7ELNS1_3repE0EEENS1_30default_config_static_selectorELNS0_4arch9wavefront6targetE0EEEvSV_,@function
_ZN7rocprim17ROCPRIM_400000_NS6detail17trampoline_kernelINS0_13select_configILj256ELj13ELNS0_17block_load_methodE3ELS4_3ELS4_3ELNS0_20block_scan_algorithmE0ELj4294967295EEENS1_25partition_config_selectorILNS1_17partition_subalgoE3EjNS0_10empty_typeEbEEZZNS1_14partition_implILS8_3ELb0ES6_jNS0_17counting_iteratorIjlEEPS9_SE_NS0_5tupleIJPjSE_EEENSF_IJSE_SE_EEES9_SG_JZNS1_25segmented_radix_sort_implINS0_14default_configELb1EPKlPlSM_SN_N2at6native12_GLOBAL__N_18offset_tEEE10hipError_tPvRmT1_PNSt15iterator_traitsISV_E10value_typeET2_T3_PNSW_IS11_E10value_typeET4_jRbjT5_S17_jjP12ihipStream_tbEUljE_EEESS_ST_SU_S11_S15_S17_T6_T7_T9_mT8_S19_bDpT10_ENKUlT_T0_E_clISt17integral_constantIbLb1EES1L_IbLb0EEEEDaS1H_S1I_EUlS1H_E_NS1_11comp_targetILNS1_3genE3ELNS1_11target_archE908ELNS1_3gpuE7ELNS1_3repE0EEENS1_30default_config_static_selectorELNS0_4arch9wavefront6targetE0EEEvSV_: ; @_ZN7rocprim17ROCPRIM_400000_NS6detail17trampoline_kernelINS0_13select_configILj256ELj13ELNS0_17block_load_methodE3ELS4_3ELS4_3ELNS0_20block_scan_algorithmE0ELj4294967295EEENS1_25partition_config_selectorILNS1_17partition_subalgoE3EjNS0_10empty_typeEbEEZZNS1_14partition_implILS8_3ELb0ES6_jNS0_17counting_iteratorIjlEEPS9_SE_NS0_5tupleIJPjSE_EEENSF_IJSE_SE_EEES9_SG_JZNS1_25segmented_radix_sort_implINS0_14default_configELb1EPKlPlSM_SN_N2at6native12_GLOBAL__N_18offset_tEEE10hipError_tPvRmT1_PNSt15iterator_traitsISV_E10value_typeET2_T3_PNSW_IS11_E10value_typeET4_jRbjT5_S17_jjP12ihipStream_tbEUljE_EEESS_ST_SU_S11_S15_S17_T6_T7_T9_mT8_S19_bDpT10_ENKUlT_T0_E_clISt17integral_constantIbLb1EES1L_IbLb0EEEEDaS1H_S1I_EUlS1H_E_NS1_11comp_targetILNS1_3genE3ELNS1_11target_archE908ELNS1_3gpuE7ELNS1_3repE0EEENS1_30default_config_static_selectorELNS0_4arch9wavefront6targetE0EEEvSV_
; %bb.0:
	.section	.rodata,"a",@progbits
	.p2align	6, 0x0
	.amdhsa_kernel _ZN7rocprim17ROCPRIM_400000_NS6detail17trampoline_kernelINS0_13select_configILj256ELj13ELNS0_17block_load_methodE3ELS4_3ELS4_3ELNS0_20block_scan_algorithmE0ELj4294967295EEENS1_25partition_config_selectorILNS1_17partition_subalgoE3EjNS0_10empty_typeEbEEZZNS1_14partition_implILS8_3ELb0ES6_jNS0_17counting_iteratorIjlEEPS9_SE_NS0_5tupleIJPjSE_EEENSF_IJSE_SE_EEES9_SG_JZNS1_25segmented_radix_sort_implINS0_14default_configELb1EPKlPlSM_SN_N2at6native12_GLOBAL__N_18offset_tEEE10hipError_tPvRmT1_PNSt15iterator_traitsISV_E10value_typeET2_T3_PNSW_IS11_E10value_typeET4_jRbjT5_S17_jjP12ihipStream_tbEUljE_EEESS_ST_SU_S11_S15_S17_T6_T7_T9_mT8_S19_bDpT10_ENKUlT_T0_E_clISt17integral_constantIbLb1EES1L_IbLb0EEEEDaS1H_S1I_EUlS1H_E_NS1_11comp_targetILNS1_3genE3ELNS1_11target_archE908ELNS1_3gpuE7ELNS1_3repE0EEENS1_30default_config_static_selectorELNS0_4arch9wavefront6targetE0EEEvSV_
		.amdhsa_group_segment_fixed_size 0
		.amdhsa_private_segment_fixed_size 0
		.amdhsa_kernarg_size 144
		.amdhsa_user_sgpr_count 15
		.amdhsa_user_sgpr_dispatch_ptr 0
		.amdhsa_user_sgpr_queue_ptr 0
		.amdhsa_user_sgpr_kernarg_segment_ptr 1
		.amdhsa_user_sgpr_dispatch_id 0
		.amdhsa_user_sgpr_private_segment_size 0
		.amdhsa_wavefront_size32 1
		.amdhsa_uses_dynamic_stack 0
		.amdhsa_enable_private_segment 0
		.amdhsa_system_sgpr_workgroup_id_x 1
		.amdhsa_system_sgpr_workgroup_id_y 0
		.amdhsa_system_sgpr_workgroup_id_z 0
		.amdhsa_system_sgpr_workgroup_info 0
		.amdhsa_system_vgpr_workitem_id 0
		.amdhsa_next_free_vgpr 1
		.amdhsa_next_free_sgpr 1
		.amdhsa_reserve_vcc 0
		.amdhsa_float_round_mode_32 0
		.amdhsa_float_round_mode_16_64 0
		.amdhsa_float_denorm_mode_32 3
		.amdhsa_float_denorm_mode_16_64 3
		.amdhsa_dx10_clamp 1
		.amdhsa_ieee_mode 1
		.amdhsa_fp16_overflow 0
		.amdhsa_workgroup_processor_mode 1
		.amdhsa_memory_ordered 1
		.amdhsa_forward_progress 0
		.amdhsa_shared_vgpr_count 0
		.amdhsa_exception_fp_ieee_invalid_op 0
		.amdhsa_exception_fp_denorm_src 0
		.amdhsa_exception_fp_ieee_div_zero 0
		.amdhsa_exception_fp_ieee_overflow 0
		.amdhsa_exception_fp_ieee_underflow 0
		.amdhsa_exception_fp_ieee_inexact 0
		.amdhsa_exception_int_div_zero 0
	.end_amdhsa_kernel
	.section	.text._ZN7rocprim17ROCPRIM_400000_NS6detail17trampoline_kernelINS0_13select_configILj256ELj13ELNS0_17block_load_methodE3ELS4_3ELS4_3ELNS0_20block_scan_algorithmE0ELj4294967295EEENS1_25partition_config_selectorILNS1_17partition_subalgoE3EjNS0_10empty_typeEbEEZZNS1_14partition_implILS8_3ELb0ES6_jNS0_17counting_iteratorIjlEEPS9_SE_NS0_5tupleIJPjSE_EEENSF_IJSE_SE_EEES9_SG_JZNS1_25segmented_radix_sort_implINS0_14default_configELb1EPKlPlSM_SN_N2at6native12_GLOBAL__N_18offset_tEEE10hipError_tPvRmT1_PNSt15iterator_traitsISV_E10value_typeET2_T3_PNSW_IS11_E10value_typeET4_jRbjT5_S17_jjP12ihipStream_tbEUljE_EEESS_ST_SU_S11_S15_S17_T6_T7_T9_mT8_S19_bDpT10_ENKUlT_T0_E_clISt17integral_constantIbLb1EES1L_IbLb0EEEEDaS1H_S1I_EUlS1H_E_NS1_11comp_targetILNS1_3genE3ELNS1_11target_archE908ELNS1_3gpuE7ELNS1_3repE0EEENS1_30default_config_static_selectorELNS0_4arch9wavefront6targetE0EEEvSV_,"axG",@progbits,_ZN7rocprim17ROCPRIM_400000_NS6detail17trampoline_kernelINS0_13select_configILj256ELj13ELNS0_17block_load_methodE3ELS4_3ELS4_3ELNS0_20block_scan_algorithmE0ELj4294967295EEENS1_25partition_config_selectorILNS1_17partition_subalgoE3EjNS0_10empty_typeEbEEZZNS1_14partition_implILS8_3ELb0ES6_jNS0_17counting_iteratorIjlEEPS9_SE_NS0_5tupleIJPjSE_EEENSF_IJSE_SE_EEES9_SG_JZNS1_25segmented_radix_sort_implINS0_14default_configELb1EPKlPlSM_SN_N2at6native12_GLOBAL__N_18offset_tEEE10hipError_tPvRmT1_PNSt15iterator_traitsISV_E10value_typeET2_T3_PNSW_IS11_E10value_typeET4_jRbjT5_S17_jjP12ihipStream_tbEUljE_EEESS_ST_SU_S11_S15_S17_T6_T7_T9_mT8_S19_bDpT10_ENKUlT_T0_E_clISt17integral_constantIbLb1EES1L_IbLb0EEEEDaS1H_S1I_EUlS1H_E_NS1_11comp_targetILNS1_3genE3ELNS1_11target_archE908ELNS1_3gpuE7ELNS1_3repE0EEENS1_30default_config_static_selectorELNS0_4arch9wavefront6targetE0EEEvSV_,comdat
.Lfunc_end691:
	.size	_ZN7rocprim17ROCPRIM_400000_NS6detail17trampoline_kernelINS0_13select_configILj256ELj13ELNS0_17block_load_methodE3ELS4_3ELS4_3ELNS0_20block_scan_algorithmE0ELj4294967295EEENS1_25partition_config_selectorILNS1_17partition_subalgoE3EjNS0_10empty_typeEbEEZZNS1_14partition_implILS8_3ELb0ES6_jNS0_17counting_iteratorIjlEEPS9_SE_NS0_5tupleIJPjSE_EEENSF_IJSE_SE_EEES9_SG_JZNS1_25segmented_radix_sort_implINS0_14default_configELb1EPKlPlSM_SN_N2at6native12_GLOBAL__N_18offset_tEEE10hipError_tPvRmT1_PNSt15iterator_traitsISV_E10value_typeET2_T3_PNSW_IS11_E10value_typeET4_jRbjT5_S17_jjP12ihipStream_tbEUljE_EEESS_ST_SU_S11_S15_S17_T6_T7_T9_mT8_S19_bDpT10_ENKUlT_T0_E_clISt17integral_constantIbLb1EES1L_IbLb0EEEEDaS1H_S1I_EUlS1H_E_NS1_11comp_targetILNS1_3genE3ELNS1_11target_archE908ELNS1_3gpuE7ELNS1_3repE0EEENS1_30default_config_static_selectorELNS0_4arch9wavefront6targetE0EEEvSV_, .Lfunc_end691-_ZN7rocprim17ROCPRIM_400000_NS6detail17trampoline_kernelINS0_13select_configILj256ELj13ELNS0_17block_load_methodE3ELS4_3ELS4_3ELNS0_20block_scan_algorithmE0ELj4294967295EEENS1_25partition_config_selectorILNS1_17partition_subalgoE3EjNS0_10empty_typeEbEEZZNS1_14partition_implILS8_3ELb0ES6_jNS0_17counting_iteratorIjlEEPS9_SE_NS0_5tupleIJPjSE_EEENSF_IJSE_SE_EEES9_SG_JZNS1_25segmented_radix_sort_implINS0_14default_configELb1EPKlPlSM_SN_N2at6native12_GLOBAL__N_18offset_tEEE10hipError_tPvRmT1_PNSt15iterator_traitsISV_E10value_typeET2_T3_PNSW_IS11_E10value_typeET4_jRbjT5_S17_jjP12ihipStream_tbEUljE_EEESS_ST_SU_S11_S15_S17_T6_T7_T9_mT8_S19_bDpT10_ENKUlT_T0_E_clISt17integral_constantIbLb1EES1L_IbLb0EEEEDaS1H_S1I_EUlS1H_E_NS1_11comp_targetILNS1_3genE3ELNS1_11target_archE908ELNS1_3gpuE7ELNS1_3repE0EEENS1_30default_config_static_selectorELNS0_4arch9wavefront6targetE0EEEvSV_
                                        ; -- End function
	.section	.AMDGPU.csdata,"",@progbits
; Kernel info:
; codeLenInByte = 0
; NumSgprs: 0
; NumVgprs: 0
; ScratchSize: 0
; MemoryBound: 0
; FloatMode: 240
; IeeeMode: 1
; LDSByteSize: 0 bytes/workgroup (compile time only)
; SGPRBlocks: 0
; VGPRBlocks: 0
; NumSGPRsForWavesPerEU: 1
; NumVGPRsForWavesPerEU: 1
; Occupancy: 16
; WaveLimiterHint : 0
; COMPUTE_PGM_RSRC2:SCRATCH_EN: 0
; COMPUTE_PGM_RSRC2:USER_SGPR: 15
; COMPUTE_PGM_RSRC2:TRAP_HANDLER: 0
; COMPUTE_PGM_RSRC2:TGID_X_EN: 1
; COMPUTE_PGM_RSRC2:TGID_Y_EN: 0
; COMPUTE_PGM_RSRC2:TGID_Z_EN: 0
; COMPUTE_PGM_RSRC2:TIDIG_COMP_CNT: 0
	.section	.text._ZN7rocprim17ROCPRIM_400000_NS6detail17trampoline_kernelINS0_13select_configILj256ELj13ELNS0_17block_load_methodE3ELS4_3ELS4_3ELNS0_20block_scan_algorithmE0ELj4294967295EEENS1_25partition_config_selectorILNS1_17partition_subalgoE3EjNS0_10empty_typeEbEEZZNS1_14partition_implILS8_3ELb0ES6_jNS0_17counting_iteratorIjlEEPS9_SE_NS0_5tupleIJPjSE_EEENSF_IJSE_SE_EEES9_SG_JZNS1_25segmented_radix_sort_implINS0_14default_configELb1EPKlPlSM_SN_N2at6native12_GLOBAL__N_18offset_tEEE10hipError_tPvRmT1_PNSt15iterator_traitsISV_E10value_typeET2_T3_PNSW_IS11_E10value_typeET4_jRbjT5_S17_jjP12ihipStream_tbEUljE_EEESS_ST_SU_S11_S15_S17_T6_T7_T9_mT8_S19_bDpT10_ENKUlT_T0_E_clISt17integral_constantIbLb1EES1L_IbLb0EEEEDaS1H_S1I_EUlS1H_E_NS1_11comp_targetILNS1_3genE2ELNS1_11target_archE906ELNS1_3gpuE6ELNS1_3repE0EEENS1_30default_config_static_selectorELNS0_4arch9wavefront6targetE0EEEvSV_,"axG",@progbits,_ZN7rocprim17ROCPRIM_400000_NS6detail17trampoline_kernelINS0_13select_configILj256ELj13ELNS0_17block_load_methodE3ELS4_3ELS4_3ELNS0_20block_scan_algorithmE0ELj4294967295EEENS1_25partition_config_selectorILNS1_17partition_subalgoE3EjNS0_10empty_typeEbEEZZNS1_14partition_implILS8_3ELb0ES6_jNS0_17counting_iteratorIjlEEPS9_SE_NS0_5tupleIJPjSE_EEENSF_IJSE_SE_EEES9_SG_JZNS1_25segmented_radix_sort_implINS0_14default_configELb1EPKlPlSM_SN_N2at6native12_GLOBAL__N_18offset_tEEE10hipError_tPvRmT1_PNSt15iterator_traitsISV_E10value_typeET2_T3_PNSW_IS11_E10value_typeET4_jRbjT5_S17_jjP12ihipStream_tbEUljE_EEESS_ST_SU_S11_S15_S17_T6_T7_T9_mT8_S19_bDpT10_ENKUlT_T0_E_clISt17integral_constantIbLb1EES1L_IbLb0EEEEDaS1H_S1I_EUlS1H_E_NS1_11comp_targetILNS1_3genE2ELNS1_11target_archE906ELNS1_3gpuE6ELNS1_3repE0EEENS1_30default_config_static_selectorELNS0_4arch9wavefront6targetE0EEEvSV_,comdat
	.globl	_ZN7rocprim17ROCPRIM_400000_NS6detail17trampoline_kernelINS0_13select_configILj256ELj13ELNS0_17block_load_methodE3ELS4_3ELS4_3ELNS0_20block_scan_algorithmE0ELj4294967295EEENS1_25partition_config_selectorILNS1_17partition_subalgoE3EjNS0_10empty_typeEbEEZZNS1_14partition_implILS8_3ELb0ES6_jNS0_17counting_iteratorIjlEEPS9_SE_NS0_5tupleIJPjSE_EEENSF_IJSE_SE_EEES9_SG_JZNS1_25segmented_radix_sort_implINS0_14default_configELb1EPKlPlSM_SN_N2at6native12_GLOBAL__N_18offset_tEEE10hipError_tPvRmT1_PNSt15iterator_traitsISV_E10value_typeET2_T3_PNSW_IS11_E10value_typeET4_jRbjT5_S17_jjP12ihipStream_tbEUljE_EEESS_ST_SU_S11_S15_S17_T6_T7_T9_mT8_S19_bDpT10_ENKUlT_T0_E_clISt17integral_constantIbLb1EES1L_IbLb0EEEEDaS1H_S1I_EUlS1H_E_NS1_11comp_targetILNS1_3genE2ELNS1_11target_archE906ELNS1_3gpuE6ELNS1_3repE0EEENS1_30default_config_static_selectorELNS0_4arch9wavefront6targetE0EEEvSV_ ; -- Begin function _ZN7rocprim17ROCPRIM_400000_NS6detail17trampoline_kernelINS0_13select_configILj256ELj13ELNS0_17block_load_methodE3ELS4_3ELS4_3ELNS0_20block_scan_algorithmE0ELj4294967295EEENS1_25partition_config_selectorILNS1_17partition_subalgoE3EjNS0_10empty_typeEbEEZZNS1_14partition_implILS8_3ELb0ES6_jNS0_17counting_iteratorIjlEEPS9_SE_NS0_5tupleIJPjSE_EEENSF_IJSE_SE_EEES9_SG_JZNS1_25segmented_radix_sort_implINS0_14default_configELb1EPKlPlSM_SN_N2at6native12_GLOBAL__N_18offset_tEEE10hipError_tPvRmT1_PNSt15iterator_traitsISV_E10value_typeET2_T3_PNSW_IS11_E10value_typeET4_jRbjT5_S17_jjP12ihipStream_tbEUljE_EEESS_ST_SU_S11_S15_S17_T6_T7_T9_mT8_S19_bDpT10_ENKUlT_T0_E_clISt17integral_constantIbLb1EES1L_IbLb0EEEEDaS1H_S1I_EUlS1H_E_NS1_11comp_targetILNS1_3genE2ELNS1_11target_archE906ELNS1_3gpuE6ELNS1_3repE0EEENS1_30default_config_static_selectorELNS0_4arch9wavefront6targetE0EEEvSV_
	.p2align	8
	.type	_ZN7rocprim17ROCPRIM_400000_NS6detail17trampoline_kernelINS0_13select_configILj256ELj13ELNS0_17block_load_methodE3ELS4_3ELS4_3ELNS0_20block_scan_algorithmE0ELj4294967295EEENS1_25partition_config_selectorILNS1_17partition_subalgoE3EjNS0_10empty_typeEbEEZZNS1_14partition_implILS8_3ELb0ES6_jNS0_17counting_iteratorIjlEEPS9_SE_NS0_5tupleIJPjSE_EEENSF_IJSE_SE_EEES9_SG_JZNS1_25segmented_radix_sort_implINS0_14default_configELb1EPKlPlSM_SN_N2at6native12_GLOBAL__N_18offset_tEEE10hipError_tPvRmT1_PNSt15iterator_traitsISV_E10value_typeET2_T3_PNSW_IS11_E10value_typeET4_jRbjT5_S17_jjP12ihipStream_tbEUljE_EEESS_ST_SU_S11_S15_S17_T6_T7_T9_mT8_S19_bDpT10_ENKUlT_T0_E_clISt17integral_constantIbLb1EES1L_IbLb0EEEEDaS1H_S1I_EUlS1H_E_NS1_11comp_targetILNS1_3genE2ELNS1_11target_archE906ELNS1_3gpuE6ELNS1_3repE0EEENS1_30default_config_static_selectorELNS0_4arch9wavefront6targetE0EEEvSV_,@function
_ZN7rocprim17ROCPRIM_400000_NS6detail17trampoline_kernelINS0_13select_configILj256ELj13ELNS0_17block_load_methodE3ELS4_3ELS4_3ELNS0_20block_scan_algorithmE0ELj4294967295EEENS1_25partition_config_selectorILNS1_17partition_subalgoE3EjNS0_10empty_typeEbEEZZNS1_14partition_implILS8_3ELb0ES6_jNS0_17counting_iteratorIjlEEPS9_SE_NS0_5tupleIJPjSE_EEENSF_IJSE_SE_EEES9_SG_JZNS1_25segmented_radix_sort_implINS0_14default_configELb1EPKlPlSM_SN_N2at6native12_GLOBAL__N_18offset_tEEE10hipError_tPvRmT1_PNSt15iterator_traitsISV_E10value_typeET2_T3_PNSW_IS11_E10value_typeET4_jRbjT5_S17_jjP12ihipStream_tbEUljE_EEESS_ST_SU_S11_S15_S17_T6_T7_T9_mT8_S19_bDpT10_ENKUlT_T0_E_clISt17integral_constantIbLb1EES1L_IbLb0EEEEDaS1H_S1I_EUlS1H_E_NS1_11comp_targetILNS1_3genE2ELNS1_11target_archE906ELNS1_3gpuE6ELNS1_3repE0EEENS1_30default_config_static_selectorELNS0_4arch9wavefront6targetE0EEEvSV_: ; @_ZN7rocprim17ROCPRIM_400000_NS6detail17trampoline_kernelINS0_13select_configILj256ELj13ELNS0_17block_load_methodE3ELS4_3ELS4_3ELNS0_20block_scan_algorithmE0ELj4294967295EEENS1_25partition_config_selectorILNS1_17partition_subalgoE3EjNS0_10empty_typeEbEEZZNS1_14partition_implILS8_3ELb0ES6_jNS0_17counting_iteratorIjlEEPS9_SE_NS0_5tupleIJPjSE_EEENSF_IJSE_SE_EEES9_SG_JZNS1_25segmented_radix_sort_implINS0_14default_configELb1EPKlPlSM_SN_N2at6native12_GLOBAL__N_18offset_tEEE10hipError_tPvRmT1_PNSt15iterator_traitsISV_E10value_typeET2_T3_PNSW_IS11_E10value_typeET4_jRbjT5_S17_jjP12ihipStream_tbEUljE_EEESS_ST_SU_S11_S15_S17_T6_T7_T9_mT8_S19_bDpT10_ENKUlT_T0_E_clISt17integral_constantIbLb1EES1L_IbLb0EEEEDaS1H_S1I_EUlS1H_E_NS1_11comp_targetILNS1_3genE2ELNS1_11target_archE906ELNS1_3gpuE6ELNS1_3repE0EEENS1_30default_config_static_selectorELNS0_4arch9wavefront6targetE0EEEvSV_
; %bb.0:
	.section	.rodata,"a",@progbits
	.p2align	6, 0x0
	.amdhsa_kernel _ZN7rocprim17ROCPRIM_400000_NS6detail17trampoline_kernelINS0_13select_configILj256ELj13ELNS0_17block_load_methodE3ELS4_3ELS4_3ELNS0_20block_scan_algorithmE0ELj4294967295EEENS1_25partition_config_selectorILNS1_17partition_subalgoE3EjNS0_10empty_typeEbEEZZNS1_14partition_implILS8_3ELb0ES6_jNS0_17counting_iteratorIjlEEPS9_SE_NS0_5tupleIJPjSE_EEENSF_IJSE_SE_EEES9_SG_JZNS1_25segmented_radix_sort_implINS0_14default_configELb1EPKlPlSM_SN_N2at6native12_GLOBAL__N_18offset_tEEE10hipError_tPvRmT1_PNSt15iterator_traitsISV_E10value_typeET2_T3_PNSW_IS11_E10value_typeET4_jRbjT5_S17_jjP12ihipStream_tbEUljE_EEESS_ST_SU_S11_S15_S17_T6_T7_T9_mT8_S19_bDpT10_ENKUlT_T0_E_clISt17integral_constantIbLb1EES1L_IbLb0EEEEDaS1H_S1I_EUlS1H_E_NS1_11comp_targetILNS1_3genE2ELNS1_11target_archE906ELNS1_3gpuE6ELNS1_3repE0EEENS1_30default_config_static_selectorELNS0_4arch9wavefront6targetE0EEEvSV_
		.amdhsa_group_segment_fixed_size 0
		.amdhsa_private_segment_fixed_size 0
		.amdhsa_kernarg_size 144
		.amdhsa_user_sgpr_count 15
		.amdhsa_user_sgpr_dispatch_ptr 0
		.amdhsa_user_sgpr_queue_ptr 0
		.amdhsa_user_sgpr_kernarg_segment_ptr 1
		.amdhsa_user_sgpr_dispatch_id 0
		.amdhsa_user_sgpr_private_segment_size 0
		.amdhsa_wavefront_size32 1
		.amdhsa_uses_dynamic_stack 0
		.amdhsa_enable_private_segment 0
		.amdhsa_system_sgpr_workgroup_id_x 1
		.amdhsa_system_sgpr_workgroup_id_y 0
		.amdhsa_system_sgpr_workgroup_id_z 0
		.amdhsa_system_sgpr_workgroup_info 0
		.amdhsa_system_vgpr_workitem_id 0
		.amdhsa_next_free_vgpr 1
		.amdhsa_next_free_sgpr 1
		.amdhsa_reserve_vcc 0
		.amdhsa_float_round_mode_32 0
		.amdhsa_float_round_mode_16_64 0
		.amdhsa_float_denorm_mode_32 3
		.amdhsa_float_denorm_mode_16_64 3
		.amdhsa_dx10_clamp 1
		.amdhsa_ieee_mode 1
		.amdhsa_fp16_overflow 0
		.amdhsa_workgroup_processor_mode 1
		.amdhsa_memory_ordered 1
		.amdhsa_forward_progress 0
		.amdhsa_shared_vgpr_count 0
		.amdhsa_exception_fp_ieee_invalid_op 0
		.amdhsa_exception_fp_denorm_src 0
		.amdhsa_exception_fp_ieee_div_zero 0
		.amdhsa_exception_fp_ieee_overflow 0
		.amdhsa_exception_fp_ieee_underflow 0
		.amdhsa_exception_fp_ieee_inexact 0
		.amdhsa_exception_int_div_zero 0
	.end_amdhsa_kernel
	.section	.text._ZN7rocprim17ROCPRIM_400000_NS6detail17trampoline_kernelINS0_13select_configILj256ELj13ELNS0_17block_load_methodE3ELS4_3ELS4_3ELNS0_20block_scan_algorithmE0ELj4294967295EEENS1_25partition_config_selectorILNS1_17partition_subalgoE3EjNS0_10empty_typeEbEEZZNS1_14partition_implILS8_3ELb0ES6_jNS0_17counting_iteratorIjlEEPS9_SE_NS0_5tupleIJPjSE_EEENSF_IJSE_SE_EEES9_SG_JZNS1_25segmented_radix_sort_implINS0_14default_configELb1EPKlPlSM_SN_N2at6native12_GLOBAL__N_18offset_tEEE10hipError_tPvRmT1_PNSt15iterator_traitsISV_E10value_typeET2_T3_PNSW_IS11_E10value_typeET4_jRbjT5_S17_jjP12ihipStream_tbEUljE_EEESS_ST_SU_S11_S15_S17_T6_T7_T9_mT8_S19_bDpT10_ENKUlT_T0_E_clISt17integral_constantIbLb1EES1L_IbLb0EEEEDaS1H_S1I_EUlS1H_E_NS1_11comp_targetILNS1_3genE2ELNS1_11target_archE906ELNS1_3gpuE6ELNS1_3repE0EEENS1_30default_config_static_selectorELNS0_4arch9wavefront6targetE0EEEvSV_,"axG",@progbits,_ZN7rocprim17ROCPRIM_400000_NS6detail17trampoline_kernelINS0_13select_configILj256ELj13ELNS0_17block_load_methodE3ELS4_3ELS4_3ELNS0_20block_scan_algorithmE0ELj4294967295EEENS1_25partition_config_selectorILNS1_17partition_subalgoE3EjNS0_10empty_typeEbEEZZNS1_14partition_implILS8_3ELb0ES6_jNS0_17counting_iteratorIjlEEPS9_SE_NS0_5tupleIJPjSE_EEENSF_IJSE_SE_EEES9_SG_JZNS1_25segmented_radix_sort_implINS0_14default_configELb1EPKlPlSM_SN_N2at6native12_GLOBAL__N_18offset_tEEE10hipError_tPvRmT1_PNSt15iterator_traitsISV_E10value_typeET2_T3_PNSW_IS11_E10value_typeET4_jRbjT5_S17_jjP12ihipStream_tbEUljE_EEESS_ST_SU_S11_S15_S17_T6_T7_T9_mT8_S19_bDpT10_ENKUlT_T0_E_clISt17integral_constantIbLb1EES1L_IbLb0EEEEDaS1H_S1I_EUlS1H_E_NS1_11comp_targetILNS1_3genE2ELNS1_11target_archE906ELNS1_3gpuE6ELNS1_3repE0EEENS1_30default_config_static_selectorELNS0_4arch9wavefront6targetE0EEEvSV_,comdat
.Lfunc_end692:
	.size	_ZN7rocprim17ROCPRIM_400000_NS6detail17trampoline_kernelINS0_13select_configILj256ELj13ELNS0_17block_load_methodE3ELS4_3ELS4_3ELNS0_20block_scan_algorithmE0ELj4294967295EEENS1_25partition_config_selectorILNS1_17partition_subalgoE3EjNS0_10empty_typeEbEEZZNS1_14partition_implILS8_3ELb0ES6_jNS0_17counting_iteratorIjlEEPS9_SE_NS0_5tupleIJPjSE_EEENSF_IJSE_SE_EEES9_SG_JZNS1_25segmented_radix_sort_implINS0_14default_configELb1EPKlPlSM_SN_N2at6native12_GLOBAL__N_18offset_tEEE10hipError_tPvRmT1_PNSt15iterator_traitsISV_E10value_typeET2_T3_PNSW_IS11_E10value_typeET4_jRbjT5_S17_jjP12ihipStream_tbEUljE_EEESS_ST_SU_S11_S15_S17_T6_T7_T9_mT8_S19_bDpT10_ENKUlT_T0_E_clISt17integral_constantIbLb1EES1L_IbLb0EEEEDaS1H_S1I_EUlS1H_E_NS1_11comp_targetILNS1_3genE2ELNS1_11target_archE906ELNS1_3gpuE6ELNS1_3repE0EEENS1_30default_config_static_selectorELNS0_4arch9wavefront6targetE0EEEvSV_, .Lfunc_end692-_ZN7rocprim17ROCPRIM_400000_NS6detail17trampoline_kernelINS0_13select_configILj256ELj13ELNS0_17block_load_methodE3ELS4_3ELS4_3ELNS0_20block_scan_algorithmE0ELj4294967295EEENS1_25partition_config_selectorILNS1_17partition_subalgoE3EjNS0_10empty_typeEbEEZZNS1_14partition_implILS8_3ELb0ES6_jNS0_17counting_iteratorIjlEEPS9_SE_NS0_5tupleIJPjSE_EEENSF_IJSE_SE_EEES9_SG_JZNS1_25segmented_radix_sort_implINS0_14default_configELb1EPKlPlSM_SN_N2at6native12_GLOBAL__N_18offset_tEEE10hipError_tPvRmT1_PNSt15iterator_traitsISV_E10value_typeET2_T3_PNSW_IS11_E10value_typeET4_jRbjT5_S17_jjP12ihipStream_tbEUljE_EEESS_ST_SU_S11_S15_S17_T6_T7_T9_mT8_S19_bDpT10_ENKUlT_T0_E_clISt17integral_constantIbLb1EES1L_IbLb0EEEEDaS1H_S1I_EUlS1H_E_NS1_11comp_targetILNS1_3genE2ELNS1_11target_archE906ELNS1_3gpuE6ELNS1_3repE0EEENS1_30default_config_static_selectorELNS0_4arch9wavefront6targetE0EEEvSV_
                                        ; -- End function
	.section	.AMDGPU.csdata,"",@progbits
; Kernel info:
; codeLenInByte = 0
; NumSgprs: 0
; NumVgprs: 0
; ScratchSize: 0
; MemoryBound: 0
; FloatMode: 240
; IeeeMode: 1
; LDSByteSize: 0 bytes/workgroup (compile time only)
; SGPRBlocks: 0
; VGPRBlocks: 0
; NumSGPRsForWavesPerEU: 1
; NumVGPRsForWavesPerEU: 1
; Occupancy: 16
; WaveLimiterHint : 0
; COMPUTE_PGM_RSRC2:SCRATCH_EN: 0
; COMPUTE_PGM_RSRC2:USER_SGPR: 15
; COMPUTE_PGM_RSRC2:TRAP_HANDLER: 0
; COMPUTE_PGM_RSRC2:TGID_X_EN: 1
; COMPUTE_PGM_RSRC2:TGID_Y_EN: 0
; COMPUTE_PGM_RSRC2:TGID_Z_EN: 0
; COMPUTE_PGM_RSRC2:TIDIG_COMP_CNT: 0
	.section	.text._ZN7rocprim17ROCPRIM_400000_NS6detail17trampoline_kernelINS0_13select_configILj256ELj13ELNS0_17block_load_methodE3ELS4_3ELS4_3ELNS0_20block_scan_algorithmE0ELj4294967295EEENS1_25partition_config_selectorILNS1_17partition_subalgoE3EjNS0_10empty_typeEbEEZZNS1_14partition_implILS8_3ELb0ES6_jNS0_17counting_iteratorIjlEEPS9_SE_NS0_5tupleIJPjSE_EEENSF_IJSE_SE_EEES9_SG_JZNS1_25segmented_radix_sort_implINS0_14default_configELb1EPKlPlSM_SN_N2at6native12_GLOBAL__N_18offset_tEEE10hipError_tPvRmT1_PNSt15iterator_traitsISV_E10value_typeET2_T3_PNSW_IS11_E10value_typeET4_jRbjT5_S17_jjP12ihipStream_tbEUljE_EEESS_ST_SU_S11_S15_S17_T6_T7_T9_mT8_S19_bDpT10_ENKUlT_T0_E_clISt17integral_constantIbLb1EES1L_IbLb0EEEEDaS1H_S1I_EUlS1H_E_NS1_11comp_targetILNS1_3genE10ELNS1_11target_archE1200ELNS1_3gpuE4ELNS1_3repE0EEENS1_30default_config_static_selectorELNS0_4arch9wavefront6targetE0EEEvSV_,"axG",@progbits,_ZN7rocprim17ROCPRIM_400000_NS6detail17trampoline_kernelINS0_13select_configILj256ELj13ELNS0_17block_load_methodE3ELS4_3ELS4_3ELNS0_20block_scan_algorithmE0ELj4294967295EEENS1_25partition_config_selectorILNS1_17partition_subalgoE3EjNS0_10empty_typeEbEEZZNS1_14partition_implILS8_3ELb0ES6_jNS0_17counting_iteratorIjlEEPS9_SE_NS0_5tupleIJPjSE_EEENSF_IJSE_SE_EEES9_SG_JZNS1_25segmented_radix_sort_implINS0_14default_configELb1EPKlPlSM_SN_N2at6native12_GLOBAL__N_18offset_tEEE10hipError_tPvRmT1_PNSt15iterator_traitsISV_E10value_typeET2_T3_PNSW_IS11_E10value_typeET4_jRbjT5_S17_jjP12ihipStream_tbEUljE_EEESS_ST_SU_S11_S15_S17_T6_T7_T9_mT8_S19_bDpT10_ENKUlT_T0_E_clISt17integral_constantIbLb1EES1L_IbLb0EEEEDaS1H_S1I_EUlS1H_E_NS1_11comp_targetILNS1_3genE10ELNS1_11target_archE1200ELNS1_3gpuE4ELNS1_3repE0EEENS1_30default_config_static_selectorELNS0_4arch9wavefront6targetE0EEEvSV_,comdat
	.globl	_ZN7rocprim17ROCPRIM_400000_NS6detail17trampoline_kernelINS0_13select_configILj256ELj13ELNS0_17block_load_methodE3ELS4_3ELS4_3ELNS0_20block_scan_algorithmE0ELj4294967295EEENS1_25partition_config_selectorILNS1_17partition_subalgoE3EjNS0_10empty_typeEbEEZZNS1_14partition_implILS8_3ELb0ES6_jNS0_17counting_iteratorIjlEEPS9_SE_NS0_5tupleIJPjSE_EEENSF_IJSE_SE_EEES9_SG_JZNS1_25segmented_radix_sort_implINS0_14default_configELb1EPKlPlSM_SN_N2at6native12_GLOBAL__N_18offset_tEEE10hipError_tPvRmT1_PNSt15iterator_traitsISV_E10value_typeET2_T3_PNSW_IS11_E10value_typeET4_jRbjT5_S17_jjP12ihipStream_tbEUljE_EEESS_ST_SU_S11_S15_S17_T6_T7_T9_mT8_S19_bDpT10_ENKUlT_T0_E_clISt17integral_constantIbLb1EES1L_IbLb0EEEEDaS1H_S1I_EUlS1H_E_NS1_11comp_targetILNS1_3genE10ELNS1_11target_archE1200ELNS1_3gpuE4ELNS1_3repE0EEENS1_30default_config_static_selectorELNS0_4arch9wavefront6targetE0EEEvSV_ ; -- Begin function _ZN7rocprim17ROCPRIM_400000_NS6detail17trampoline_kernelINS0_13select_configILj256ELj13ELNS0_17block_load_methodE3ELS4_3ELS4_3ELNS0_20block_scan_algorithmE0ELj4294967295EEENS1_25partition_config_selectorILNS1_17partition_subalgoE3EjNS0_10empty_typeEbEEZZNS1_14partition_implILS8_3ELb0ES6_jNS0_17counting_iteratorIjlEEPS9_SE_NS0_5tupleIJPjSE_EEENSF_IJSE_SE_EEES9_SG_JZNS1_25segmented_radix_sort_implINS0_14default_configELb1EPKlPlSM_SN_N2at6native12_GLOBAL__N_18offset_tEEE10hipError_tPvRmT1_PNSt15iterator_traitsISV_E10value_typeET2_T3_PNSW_IS11_E10value_typeET4_jRbjT5_S17_jjP12ihipStream_tbEUljE_EEESS_ST_SU_S11_S15_S17_T6_T7_T9_mT8_S19_bDpT10_ENKUlT_T0_E_clISt17integral_constantIbLb1EES1L_IbLb0EEEEDaS1H_S1I_EUlS1H_E_NS1_11comp_targetILNS1_3genE10ELNS1_11target_archE1200ELNS1_3gpuE4ELNS1_3repE0EEENS1_30default_config_static_selectorELNS0_4arch9wavefront6targetE0EEEvSV_
	.p2align	8
	.type	_ZN7rocprim17ROCPRIM_400000_NS6detail17trampoline_kernelINS0_13select_configILj256ELj13ELNS0_17block_load_methodE3ELS4_3ELS4_3ELNS0_20block_scan_algorithmE0ELj4294967295EEENS1_25partition_config_selectorILNS1_17partition_subalgoE3EjNS0_10empty_typeEbEEZZNS1_14partition_implILS8_3ELb0ES6_jNS0_17counting_iteratorIjlEEPS9_SE_NS0_5tupleIJPjSE_EEENSF_IJSE_SE_EEES9_SG_JZNS1_25segmented_radix_sort_implINS0_14default_configELb1EPKlPlSM_SN_N2at6native12_GLOBAL__N_18offset_tEEE10hipError_tPvRmT1_PNSt15iterator_traitsISV_E10value_typeET2_T3_PNSW_IS11_E10value_typeET4_jRbjT5_S17_jjP12ihipStream_tbEUljE_EEESS_ST_SU_S11_S15_S17_T6_T7_T9_mT8_S19_bDpT10_ENKUlT_T0_E_clISt17integral_constantIbLb1EES1L_IbLb0EEEEDaS1H_S1I_EUlS1H_E_NS1_11comp_targetILNS1_3genE10ELNS1_11target_archE1200ELNS1_3gpuE4ELNS1_3repE0EEENS1_30default_config_static_selectorELNS0_4arch9wavefront6targetE0EEEvSV_,@function
_ZN7rocprim17ROCPRIM_400000_NS6detail17trampoline_kernelINS0_13select_configILj256ELj13ELNS0_17block_load_methodE3ELS4_3ELS4_3ELNS0_20block_scan_algorithmE0ELj4294967295EEENS1_25partition_config_selectorILNS1_17partition_subalgoE3EjNS0_10empty_typeEbEEZZNS1_14partition_implILS8_3ELb0ES6_jNS0_17counting_iteratorIjlEEPS9_SE_NS0_5tupleIJPjSE_EEENSF_IJSE_SE_EEES9_SG_JZNS1_25segmented_radix_sort_implINS0_14default_configELb1EPKlPlSM_SN_N2at6native12_GLOBAL__N_18offset_tEEE10hipError_tPvRmT1_PNSt15iterator_traitsISV_E10value_typeET2_T3_PNSW_IS11_E10value_typeET4_jRbjT5_S17_jjP12ihipStream_tbEUljE_EEESS_ST_SU_S11_S15_S17_T6_T7_T9_mT8_S19_bDpT10_ENKUlT_T0_E_clISt17integral_constantIbLb1EES1L_IbLb0EEEEDaS1H_S1I_EUlS1H_E_NS1_11comp_targetILNS1_3genE10ELNS1_11target_archE1200ELNS1_3gpuE4ELNS1_3repE0EEENS1_30default_config_static_selectorELNS0_4arch9wavefront6targetE0EEEvSV_: ; @_ZN7rocprim17ROCPRIM_400000_NS6detail17trampoline_kernelINS0_13select_configILj256ELj13ELNS0_17block_load_methodE3ELS4_3ELS4_3ELNS0_20block_scan_algorithmE0ELj4294967295EEENS1_25partition_config_selectorILNS1_17partition_subalgoE3EjNS0_10empty_typeEbEEZZNS1_14partition_implILS8_3ELb0ES6_jNS0_17counting_iteratorIjlEEPS9_SE_NS0_5tupleIJPjSE_EEENSF_IJSE_SE_EEES9_SG_JZNS1_25segmented_radix_sort_implINS0_14default_configELb1EPKlPlSM_SN_N2at6native12_GLOBAL__N_18offset_tEEE10hipError_tPvRmT1_PNSt15iterator_traitsISV_E10value_typeET2_T3_PNSW_IS11_E10value_typeET4_jRbjT5_S17_jjP12ihipStream_tbEUljE_EEESS_ST_SU_S11_S15_S17_T6_T7_T9_mT8_S19_bDpT10_ENKUlT_T0_E_clISt17integral_constantIbLb1EES1L_IbLb0EEEEDaS1H_S1I_EUlS1H_E_NS1_11comp_targetILNS1_3genE10ELNS1_11target_archE1200ELNS1_3gpuE4ELNS1_3repE0EEENS1_30default_config_static_selectorELNS0_4arch9wavefront6targetE0EEEvSV_
; %bb.0:
	.section	.rodata,"a",@progbits
	.p2align	6, 0x0
	.amdhsa_kernel _ZN7rocprim17ROCPRIM_400000_NS6detail17trampoline_kernelINS0_13select_configILj256ELj13ELNS0_17block_load_methodE3ELS4_3ELS4_3ELNS0_20block_scan_algorithmE0ELj4294967295EEENS1_25partition_config_selectorILNS1_17partition_subalgoE3EjNS0_10empty_typeEbEEZZNS1_14partition_implILS8_3ELb0ES6_jNS0_17counting_iteratorIjlEEPS9_SE_NS0_5tupleIJPjSE_EEENSF_IJSE_SE_EEES9_SG_JZNS1_25segmented_radix_sort_implINS0_14default_configELb1EPKlPlSM_SN_N2at6native12_GLOBAL__N_18offset_tEEE10hipError_tPvRmT1_PNSt15iterator_traitsISV_E10value_typeET2_T3_PNSW_IS11_E10value_typeET4_jRbjT5_S17_jjP12ihipStream_tbEUljE_EEESS_ST_SU_S11_S15_S17_T6_T7_T9_mT8_S19_bDpT10_ENKUlT_T0_E_clISt17integral_constantIbLb1EES1L_IbLb0EEEEDaS1H_S1I_EUlS1H_E_NS1_11comp_targetILNS1_3genE10ELNS1_11target_archE1200ELNS1_3gpuE4ELNS1_3repE0EEENS1_30default_config_static_selectorELNS0_4arch9wavefront6targetE0EEEvSV_
		.amdhsa_group_segment_fixed_size 0
		.amdhsa_private_segment_fixed_size 0
		.amdhsa_kernarg_size 144
		.amdhsa_user_sgpr_count 15
		.amdhsa_user_sgpr_dispatch_ptr 0
		.amdhsa_user_sgpr_queue_ptr 0
		.amdhsa_user_sgpr_kernarg_segment_ptr 1
		.amdhsa_user_sgpr_dispatch_id 0
		.amdhsa_user_sgpr_private_segment_size 0
		.amdhsa_wavefront_size32 1
		.amdhsa_uses_dynamic_stack 0
		.amdhsa_enable_private_segment 0
		.amdhsa_system_sgpr_workgroup_id_x 1
		.amdhsa_system_sgpr_workgroup_id_y 0
		.amdhsa_system_sgpr_workgroup_id_z 0
		.amdhsa_system_sgpr_workgroup_info 0
		.amdhsa_system_vgpr_workitem_id 0
		.amdhsa_next_free_vgpr 1
		.amdhsa_next_free_sgpr 1
		.amdhsa_reserve_vcc 0
		.amdhsa_float_round_mode_32 0
		.amdhsa_float_round_mode_16_64 0
		.amdhsa_float_denorm_mode_32 3
		.amdhsa_float_denorm_mode_16_64 3
		.amdhsa_dx10_clamp 1
		.amdhsa_ieee_mode 1
		.amdhsa_fp16_overflow 0
		.amdhsa_workgroup_processor_mode 1
		.amdhsa_memory_ordered 1
		.amdhsa_forward_progress 0
		.amdhsa_shared_vgpr_count 0
		.amdhsa_exception_fp_ieee_invalid_op 0
		.amdhsa_exception_fp_denorm_src 0
		.amdhsa_exception_fp_ieee_div_zero 0
		.amdhsa_exception_fp_ieee_overflow 0
		.amdhsa_exception_fp_ieee_underflow 0
		.amdhsa_exception_fp_ieee_inexact 0
		.amdhsa_exception_int_div_zero 0
	.end_amdhsa_kernel
	.section	.text._ZN7rocprim17ROCPRIM_400000_NS6detail17trampoline_kernelINS0_13select_configILj256ELj13ELNS0_17block_load_methodE3ELS4_3ELS4_3ELNS0_20block_scan_algorithmE0ELj4294967295EEENS1_25partition_config_selectorILNS1_17partition_subalgoE3EjNS0_10empty_typeEbEEZZNS1_14partition_implILS8_3ELb0ES6_jNS0_17counting_iteratorIjlEEPS9_SE_NS0_5tupleIJPjSE_EEENSF_IJSE_SE_EEES9_SG_JZNS1_25segmented_radix_sort_implINS0_14default_configELb1EPKlPlSM_SN_N2at6native12_GLOBAL__N_18offset_tEEE10hipError_tPvRmT1_PNSt15iterator_traitsISV_E10value_typeET2_T3_PNSW_IS11_E10value_typeET4_jRbjT5_S17_jjP12ihipStream_tbEUljE_EEESS_ST_SU_S11_S15_S17_T6_T7_T9_mT8_S19_bDpT10_ENKUlT_T0_E_clISt17integral_constantIbLb1EES1L_IbLb0EEEEDaS1H_S1I_EUlS1H_E_NS1_11comp_targetILNS1_3genE10ELNS1_11target_archE1200ELNS1_3gpuE4ELNS1_3repE0EEENS1_30default_config_static_selectorELNS0_4arch9wavefront6targetE0EEEvSV_,"axG",@progbits,_ZN7rocprim17ROCPRIM_400000_NS6detail17trampoline_kernelINS0_13select_configILj256ELj13ELNS0_17block_load_methodE3ELS4_3ELS4_3ELNS0_20block_scan_algorithmE0ELj4294967295EEENS1_25partition_config_selectorILNS1_17partition_subalgoE3EjNS0_10empty_typeEbEEZZNS1_14partition_implILS8_3ELb0ES6_jNS0_17counting_iteratorIjlEEPS9_SE_NS0_5tupleIJPjSE_EEENSF_IJSE_SE_EEES9_SG_JZNS1_25segmented_radix_sort_implINS0_14default_configELb1EPKlPlSM_SN_N2at6native12_GLOBAL__N_18offset_tEEE10hipError_tPvRmT1_PNSt15iterator_traitsISV_E10value_typeET2_T3_PNSW_IS11_E10value_typeET4_jRbjT5_S17_jjP12ihipStream_tbEUljE_EEESS_ST_SU_S11_S15_S17_T6_T7_T9_mT8_S19_bDpT10_ENKUlT_T0_E_clISt17integral_constantIbLb1EES1L_IbLb0EEEEDaS1H_S1I_EUlS1H_E_NS1_11comp_targetILNS1_3genE10ELNS1_11target_archE1200ELNS1_3gpuE4ELNS1_3repE0EEENS1_30default_config_static_selectorELNS0_4arch9wavefront6targetE0EEEvSV_,comdat
.Lfunc_end693:
	.size	_ZN7rocprim17ROCPRIM_400000_NS6detail17trampoline_kernelINS0_13select_configILj256ELj13ELNS0_17block_load_methodE3ELS4_3ELS4_3ELNS0_20block_scan_algorithmE0ELj4294967295EEENS1_25partition_config_selectorILNS1_17partition_subalgoE3EjNS0_10empty_typeEbEEZZNS1_14partition_implILS8_3ELb0ES6_jNS0_17counting_iteratorIjlEEPS9_SE_NS0_5tupleIJPjSE_EEENSF_IJSE_SE_EEES9_SG_JZNS1_25segmented_radix_sort_implINS0_14default_configELb1EPKlPlSM_SN_N2at6native12_GLOBAL__N_18offset_tEEE10hipError_tPvRmT1_PNSt15iterator_traitsISV_E10value_typeET2_T3_PNSW_IS11_E10value_typeET4_jRbjT5_S17_jjP12ihipStream_tbEUljE_EEESS_ST_SU_S11_S15_S17_T6_T7_T9_mT8_S19_bDpT10_ENKUlT_T0_E_clISt17integral_constantIbLb1EES1L_IbLb0EEEEDaS1H_S1I_EUlS1H_E_NS1_11comp_targetILNS1_3genE10ELNS1_11target_archE1200ELNS1_3gpuE4ELNS1_3repE0EEENS1_30default_config_static_selectorELNS0_4arch9wavefront6targetE0EEEvSV_, .Lfunc_end693-_ZN7rocprim17ROCPRIM_400000_NS6detail17trampoline_kernelINS0_13select_configILj256ELj13ELNS0_17block_load_methodE3ELS4_3ELS4_3ELNS0_20block_scan_algorithmE0ELj4294967295EEENS1_25partition_config_selectorILNS1_17partition_subalgoE3EjNS0_10empty_typeEbEEZZNS1_14partition_implILS8_3ELb0ES6_jNS0_17counting_iteratorIjlEEPS9_SE_NS0_5tupleIJPjSE_EEENSF_IJSE_SE_EEES9_SG_JZNS1_25segmented_radix_sort_implINS0_14default_configELb1EPKlPlSM_SN_N2at6native12_GLOBAL__N_18offset_tEEE10hipError_tPvRmT1_PNSt15iterator_traitsISV_E10value_typeET2_T3_PNSW_IS11_E10value_typeET4_jRbjT5_S17_jjP12ihipStream_tbEUljE_EEESS_ST_SU_S11_S15_S17_T6_T7_T9_mT8_S19_bDpT10_ENKUlT_T0_E_clISt17integral_constantIbLb1EES1L_IbLb0EEEEDaS1H_S1I_EUlS1H_E_NS1_11comp_targetILNS1_3genE10ELNS1_11target_archE1200ELNS1_3gpuE4ELNS1_3repE0EEENS1_30default_config_static_selectorELNS0_4arch9wavefront6targetE0EEEvSV_
                                        ; -- End function
	.section	.AMDGPU.csdata,"",@progbits
; Kernel info:
; codeLenInByte = 0
; NumSgprs: 0
; NumVgprs: 0
; ScratchSize: 0
; MemoryBound: 0
; FloatMode: 240
; IeeeMode: 1
; LDSByteSize: 0 bytes/workgroup (compile time only)
; SGPRBlocks: 0
; VGPRBlocks: 0
; NumSGPRsForWavesPerEU: 1
; NumVGPRsForWavesPerEU: 1
; Occupancy: 16
; WaveLimiterHint : 0
; COMPUTE_PGM_RSRC2:SCRATCH_EN: 0
; COMPUTE_PGM_RSRC2:USER_SGPR: 15
; COMPUTE_PGM_RSRC2:TRAP_HANDLER: 0
; COMPUTE_PGM_RSRC2:TGID_X_EN: 1
; COMPUTE_PGM_RSRC2:TGID_Y_EN: 0
; COMPUTE_PGM_RSRC2:TGID_Z_EN: 0
; COMPUTE_PGM_RSRC2:TIDIG_COMP_CNT: 0
	.section	.text._ZN7rocprim17ROCPRIM_400000_NS6detail17trampoline_kernelINS0_13select_configILj256ELj13ELNS0_17block_load_methodE3ELS4_3ELS4_3ELNS0_20block_scan_algorithmE0ELj4294967295EEENS1_25partition_config_selectorILNS1_17partition_subalgoE3EjNS0_10empty_typeEbEEZZNS1_14partition_implILS8_3ELb0ES6_jNS0_17counting_iteratorIjlEEPS9_SE_NS0_5tupleIJPjSE_EEENSF_IJSE_SE_EEES9_SG_JZNS1_25segmented_radix_sort_implINS0_14default_configELb1EPKlPlSM_SN_N2at6native12_GLOBAL__N_18offset_tEEE10hipError_tPvRmT1_PNSt15iterator_traitsISV_E10value_typeET2_T3_PNSW_IS11_E10value_typeET4_jRbjT5_S17_jjP12ihipStream_tbEUljE_EEESS_ST_SU_S11_S15_S17_T6_T7_T9_mT8_S19_bDpT10_ENKUlT_T0_E_clISt17integral_constantIbLb1EES1L_IbLb0EEEEDaS1H_S1I_EUlS1H_E_NS1_11comp_targetILNS1_3genE9ELNS1_11target_archE1100ELNS1_3gpuE3ELNS1_3repE0EEENS1_30default_config_static_selectorELNS0_4arch9wavefront6targetE0EEEvSV_,"axG",@progbits,_ZN7rocprim17ROCPRIM_400000_NS6detail17trampoline_kernelINS0_13select_configILj256ELj13ELNS0_17block_load_methodE3ELS4_3ELS4_3ELNS0_20block_scan_algorithmE0ELj4294967295EEENS1_25partition_config_selectorILNS1_17partition_subalgoE3EjNS0_10empty_typeEbEEZZNS1_14partition_implILS8_3ELb0ES6_jNS0_17counting_iteratorIjlEEPS9_SE_NS0_5tupleIJPjSE_EEENSF_IJSE_SE_EEES9_SG_JZNS1_25segmented_radix_sort_implINS0_14default_configELb1EPKlPlSM_SN_N2at6native12_GLOBAL__N_18offset_tEEE10hipError_tPvRmT1_PNSt15iterator_traitsISV_E10value_typeET2_T3_PNSW_IS11_E10value_typeET4_jRbjT5_S17_jjP12ihipStream_tbEUljE_EEESS_ST_SU_S11_S15_S17_T6_T7_T9_mT8_S19_bDpT10_ENKUlT_T0_E_clISt17integral_constantIbLb1EES1L_IbLb0EEEEDaS1H_S1I_EUlS1H_E_NS1_11comp_targetILNS1_3genE9ELNS1_11target_archE1100ELNS1_3gpuE3ELNS1_3repE0EEENS1_30default_config_static_selectorELNS0_4arch9wavefront6targetE0EEEvSV_,comdat
	.globl	_ZN7rocprim17ROCPRIM_400000_NS6detail17trampoline_kernelINS0_13select_configILj256ELj13ELNS0_17block_load_methodE3ELS4_3ELS4_3ELNS0_20block_scan_algorithmE0ELj4294967295EEENS1_25partition_config_selectorILNS1_17partition_subalgoE3EjNS0_10empty_typeEbEEZZNS1_14partition_implILS8_3ELb0ES6_jNS0_17counting_iteratorIjlEEPS9_SE_NS0_5tupleIJPjSE_EEENSF_IJSE_SE_EEES9_SG_JZNS1_25segmented_radix_sort_implINS0_14default_configELb1EPKlPlSM_SN_N2at6native12_GLOBAL__N_18offset_tEEE10hipError_tPvRmT1_PNSt15iterator_traitsISV_E10value_typeET2_T3_PNSW_IS11_E10value_typeET4_jRbjT5_S17_jjP12ihipStream_tbEUljE_EEESS_ST_SU_S11_S15_S17_T6_T7_T9_mT8_S19_bDpT10_ENKUlT_T0_E_clISt17integral_constantIbLb1EES1L_IbLb0EEEEDaS1H_S1I_EUlS1H_E_NS1_11comp_targetILNS1_3genE9ELNS1_11target_archE1100ELNS1_3gpuE3ELNS1_3repE0EEENS1_30default_config_static_selectorELNS0_4arch9wavefront6targetE0EEEvSV_ ; -- Begin function _ZN7rocprim17ROCPRIM_400000_NS6detail17trampoline_kernelINS0_13select_configILj256ELj13ELNS0_17block_load_methodE3ELS4_3ELS4_3ELNS0_20block_scan_algorithmE0ELj4294967295EEENS1_25partition_config_selectorILNS1_17partition_subalgoE3EjNS0_10empty_typeEbEEZZNS1_14partition_implILS8_3ELb0ES6_jNS0_17counting_iteratorIjlEEPS9_SE_NS0_5tupleIJPjSE_EEENSF_IJSE_SE_EEES9_SG_JZNS1_25segmented_radix_sort_implINS0_14default_configELb1EPKlPlSM_SN_N2at6native12_GLOBAL__N_18offset_tEEE10hipError_tPvRmT1_PNSt15iterator_traitsISV_E10value_typeET2_T3_PNSW_IS11_E10value_typeET4_jRbjT5_S17_jjP12ihipStream_tbEUljE_EEESS_ST_SU_S11_S15_S17_T6_T7_T9_mT8_S19_bDpT10_ENKUlT_T0_E_clISt17integral_constantIbLb1EES1L_IbLb0EEEEDaS1H_S1I_EUlS1H_E_NS1_11comp_targetILNS1_3genE9ELNS1_11target_archE1100ELNS1_3gpuE3ELNS1_3repE0EEENS1_30default_config_static_selectorELNS0_4arch9wavefront6targetE0EEEvSV_
	.p2align	8
	.type	_ZN7rocprim17ROCPRIM_400000_NS6detail17trampoline_kernelINS0_13select_configILj256ELj13ELNS0_17block_load_methodE3ELS4_3ELS4_3ELNS0_20block_scan_algorithmE0ELj4294967295EEENS1_25partition_config_selectorILNS1_17partition_subalgoE3EjNS0_10empty_typeEbEEZZNS1_14partition_implILS8_3ELb0ES6_jNS0_17counting_iteratorIjlEEPS9_SE_NS0_5tupleIJPjSE_EEENSF_IJSE_SE_EEES9_SG_JZNS1_25segmented_radix_sort_implINS0_14default_configELb1EPKlPlSM_SN_N2at6native12_GLOBAL__N_18offset_tEEE10hipError_tPvRmT1_PNSt15iterator_traitsISV_E10value_typeET2_T3_PNSW_IS11_E10value_typeET4_jRbjT5_S17_jjP12ihipStream_tbEUljE_EEESS_ST_SU_S11_S15_S17_T6_T7_T9_mT8_S19_bDpT10_ENKUlT_T0_E_clISt17integral_constantIbLb1EES1L_IbLb0EEEEDaS1H_S1I_EUlS1H_E_NS1_11comp_targetILNS1_3genE9ELNS1_11target_archE1100ELNS1_3gpuE3ELNS1_3repE0EEENS1_30default_config_static_selectorELNS0_4arch9wavefront6targetE0EEEvSV_,@function
_ZN7rocprim17ROCPRIM_400000_NS6detail17trampoline_kernelINS0_13select_configILj256ELj13ELNS0_17block_load_methodE3ELS4_3ELS4_3ELNS0_20block_scan_algorithmE0ELj4294967295EEENS1_25partition_config_selectorILNS1_17partition_subalgoE3EjNS0_10empty_typeEbEEZZNS1_14partition_implILS8_3ELb0ES6_jNS0_17counting_iteratorIjlEEPS9_SE_NS0_5tupleIJPjSE_EEENSF_IJSE_SE_EEES9_SG_JZNS1_25segmented_radix_sort_implINS0_14default_configELb1EPKlPlSM_SN_N2at6native12_GLOBAL__N_18offset_tEEE10hipError_tPvRmT1_PNSt15iterator_traitsISV_E10value_typeET2_T3_PNSW_IS11_E10value_typeET4_jRbjT5_S17_jjP12ihipStream_tbEUljE_EEESS_ST_SU_S11_S15_S17_T6_T7_T9_mT8_S19_bDpT10_ENKUlT_T0_E_clISt17integral_constantIbLb1EES1L_IbLb0EEEEDaS1H_S1I_EUlS1H_E_NS1_11comp_targetILNS1_3genE9ELNS1_11target_archE1100ELNS1_3gpuE3ELNS1_3repE0EEENS1_30default_config_static_selectorELNS0_4arch9wavefront6targetE0EEEvSV_: ; @_ZN7rocprim17ROCPRIM_400000_NS6detail17trampoline_kernelINS0_13select_configILj256ELj13ELNS0_17block_load_methodE3ELS4_3ELS4_3ELNS0_20block_scan_algorithmE0ELj4294967295EEENS1_25partition_config_selectorILNS1_17partition_subalgoE3EjNS0_10empty_typeEbEEZZNS1_14partition_implILS8_3ELb0ES6_jNS0_17counting_iteratorIjlEEPS9_SE_NS0_5tupleIJPjSE_EEENSF_IJSE_SE_EEES9_SG_JZNS1_25segmented_radix_sort_implINS0_14default_configELb1EPKlPlSM_SN_N2at6native12_GLOBAL__N_18offset_tEEE10hipError_tPvRmT1_PNSt15iterator_traitsISV_E10value_typeET2_T3_PNSW_IS11_E10value_typeET4_jRbjT5_S17_jjP12ihipStream_tbEUljE_EEESS_ST_SU_S11_S15_S17_T6_T7_T9_mT8_S19_bDpT10_ENKUlT_T0_E_clISt17integral_constantIbLb1EES1L_IbLb0EEEEDaS1H_S1I_EUlS1H_E_NS1_11comp_targetILNS1_3genE9ELNS1_11target_archE1100ELNS1_3gpuE3ELNS1_3repE0EEENS1_30default_config_static_selectorELNS0_4arch9wavefront6targetE0EEEvSV_
; %bb.0:
	s_clause 0x5
	s_load_b32 s2, s[0:1], 0x70
	s_load_b64 s[16:17], s[0:1], 0x10
	s_load_b64 s[12:13], s[0:1], 0x58
	s_load_b32 s18, s[0:1], 0x8
	s_load_b128 s[8:11], s[0:1], 0x48
	s_load_b128 s[4:7], s[0:1], 0x78
	s_mul_i32 s23, s15, 0xd00
	v_lshlrev_b32_e32 v30, 2, v0
	s_waitcnt lgkmcnt(0)
	s_mul_i32 s20, s2, 0xd00
	s_add_i32 s19, s2, -1
	s_add_u32 s2, s16, s20
	s_addc_u32 s3, s17, 0
	s_cmp_eq_u32 s15, s19
	v_cmp_lt_u64_e64 s3, s[2:3], s[12:13]
	s_cselect_b32 s14, -1, 0
	s_cmp_lg_u32 s15, s19
	s_cselect_b32 s21, -1, 0
	s_add_i32 s2, s18, s23
	s_delay_alu instid0(VALU_DEP_1)
	s_or_b32 s3, s21, s3
	s_add_i32 s18, s2, s16
	s_load_b32 s2, s[0:1], 0x88
	v_add_nc_u32_e32 v1, s18, v0
	s_load_b64 s[18:19], s[10:11], 0x0
	s_and_b32 vcc_lo, exec_lo, s3
	s_mov_b32 s10, -1
	s_delay_alu instid0(VALU_DEP_1)
	v_add_nc_u32_e32 v2, 0x100, v1
	v_add_nc_u32_e32 v3, 0x200, v1
	;; [unrolled: 1-line block ×12, first 2 shown]
	s_cbranch_vccz .LBB694_2
; %bb.1:
	ds_store_2addr_stride64_b32 v30, v1, v2 offset1:4
	ds_store_2addr_stride64_b32 v30, v3, v4 offset0:8 offset1:12
	ds_store_2addr_stride64_b32 v30, v5, v6 offset0:16 offset1:20
	;; [unrolled: 1-line block ×5, first 2 shown]
	ds_store_b32 v30, v13 offset:12288
	s_waitcnt lgkmcnt(0)
	s_mov_b32 s10, 0
	s_barrier
.LBB694_2:
	s_and_not1_b32 vcc_lo, exec_lo, s10
	s_add_i32 s20, s20, s16
	s_cbranch_vccnz .LBB694_4
; %bb.3:
	ds_store_2addr_stride64_b32 v30, v1, v2 offset1:4
	ds_store_2addr_stride64_b32 v30, v3, v4 offset0:8 offset1:12
	ds_store_2addr_stride64_b32 v30, v5, v6 offset0:16 offset1:20
	ds_store_2addr_stride64_b32 v30, v7, v8 offset0:24 offset1:28
	ds_store_2addr_stride64_b32 v30, v9, v10 offset0:32 offset1:36
	ds_store_2addr_stride64_b32 v30, v11, v12 offset0:40 offset1:44
	ds_store_b32 v30, v13 offset:12288
	s_waitcnt lgkmcnt(0)
	s_barrier
.LBB694_4:
	v_mul_u32_u24_e32 v33, 13, v0
	s_waitcnt lgkmcnt(0)
	buffer_gl0_inv
	v_cndmask_b32_e64 v31, 0, 1, s3
	s_sub_i32 s22, s12, s20
	s_and_not1_b32 vcc_lo, exec_lo, s3
	v_lshlrev_b32_e32 v1, 2, v33
	ds_load_2addr_b32 v[28:29], v1 offset1:1
	ds_load_2addr_b32 v[26:27], v1 offset0:2 offset1:3
	ds_load_2addr_b32 v[24:25], v1 offset0:4 offset1:5
	;; [unrolled: 1-line block ×5, first 2 shown]
	ds_load_b32 v32, v1 offset:48
	s_waitcnt lgkmcnt(0)
	s_barrier
	buffer_gl0_inv
	s_cbranch_vccnz .LBB694_6
; %bb.5:
	v_add_nc_u32_e32 v1, s5, v28
	v_add_nc_u32_e32 v2, s7, v28
	v_add_nc_u32_e32 v3, s5, v29
	v_add_nc_u32_e32 v4, s7, v29
	v_add_nc_u32_e32 v5, s5, v26
	v_mul_lo_u32 v1, v1, s4
	v_mul_lo_u32 v2, v2, s6
	;; [unrolled: 1-line block ×4, first 2 shown]
	v_add_nc_u32_e32 v6, s7, v26
	v_add_nc_u32_e32 v7, s5, v27
	;; [unrolled: 1-line block ×3, first 2 shown]
	v_mul_lo_u32 v5, v5, s4
	v_add_nc_u32_e32 v9, s5, v22
	v_sub_nc_u32_e32 v1, v1, v2
	v_mul_lo_u32 v2, v6, s6
	v_sub_nc_u32_e32 v3, v3, v4
	v_mul_lo_u32 v4, v7, s4
	v_mul_lo_u32 v6, v8, s6
	v_add_nc_u32_e32 v7, s5, v24
	v_cmp_lt_u32_e32 vcc_lo, s2, v1
	v_add_nc_u32_e32 v8, s5, v25
	v_add_nc_u32_e32 v10, s7, v22
	v_sub_nc_u32_e32 v2, v5, v2
	v_add_nc_u32_e32 v5, s7, v24
	v_cndmask_b32_e64 v1, 0, 1, vcc_lo
	v_sub_nc_u32_e32 v4, v4, v6
	v_mul_lo_u32 v6, v7, s4
	v_add_nc_u32_e32 v7, s7, v25
	v_cmp_lt_u32_e32 vcc_lo, s2, v3
	v_mul_lo_u32 v5, v5, s6
	v_mul_lo_u32 v8, v8, s4
	;; [unrolled: 1-line block ×4, first 2 shown]
	v_cndmask_b32_e64 v3, 0, 1, vcc_lo
	v_cmp_lt_u32_e32 vcc_lo, s2, v2
	v_mul_lo_u32 v10, v10, s6
	v_add_nc_u32_e32 v11, s5, v20
	v_sub_nc_u32_e32 v5, v6, v5
	v_add_nc_u32_e32 v12, s7, v20
	v_cndmask_b32_e64 v2, 0, 1, vcc_lo
	v_sub_nc_u32_e32 v6, v8, v7
	v_add_nc_u32_e32 v7, s5, v23
	v_add_nc_u32_e32 v8, s7, v23
	v_cmp_lt_u32_e32 vcc_lo, s2, v4
	v_sub_nc_u32_e32 v9, v9, v10
	v_mul_lo_u32 v10, v11, s4
	v_mul_lo_u32 v7, v7, s4
	;; [unrolled: 1-line block ×4, first 2 shown]
	v_cndmask_b32_e64 v4, 0, 1, vcc_lo
	v_cmp_lt_u32_e32 vcc_lo, s2, v5
	v_add_nc_u32_e32 v12, s5, v21
	v_add_nc_u32_e32 v13, s7, v18
	;; [unrolled: 1-line block ×4, first 2 shown]
	v_cndmask_b32_e64 v5, 0, 1, vcc_lo
	v_cmp_lt_u32_e32 vcc_lo, s2, v6
	v_sub_nc_u32_e32 v7, v7, v8
	v_sub_nc_u32_e32 v8, v10, v11
	v_add_nc_u32_e32 v11, s7, v21
	v_mul_lo_u32 v10, v12, s4
	v_cndmask_b32_e64 v6, 0, 1, vcc_lo
	v_cmp_lt_u32_e32 vcc_lo, s2, v9
	v_add_nc_u32_e32 v12, s5, v18
	v_mul_lo_u32 v11, v11, s6
	v_mul_lo_u32 v13, v13, s6
	;; [unrolled: 1-line block ×3, first 2 shown]
	v_cndmask_b32_e64 v9, 0, 1, vcc_lo
	v_cmp_lt_u32_e32 vcc_lo, s2, v7
	v_mul_lo_u32 v12, v12, s4
	v_mul_lo_u32 v15, v15, s6
	v_lshlrev_b16 v3, 8, v3
	v_sub_nc_u32_e32 v10, v10, v11
	v_cndmask_b32_e64 v7, 0, 1, vcc_lo
	v_cmp_lt_u32_e32 vcc_lo, s2, v8
	v_add_nc_u32_e32 v11, s5, v32
	v_or_b32_e32 v1, v1, v3
	v_sub_nc_u32_e32 v12, v12, v13
	v_sub_nc_u32_e32 v13, v14, v15
	v_cndmask_b32_e64 v8, 0, 1, vcc_lo
	v_cmp_lt_u32_e32 vcc_lo, s2, v10
	v_add_nc_u32_e32 v16, s7, v32
	v_mul_lo_u32 v11, v11, s4
	v_lshlrev_b16 v4, 8, v4
	v_lshlrev_b16 v6, 8, v6
	v_cndmask_b32_e64 v10, 0, 1, vcc_lo
	v_cmp_lt_u32_e32 vcc_lo, s2, v12
	v_mul_lo_u32 v14, v16, s6
	v_lshlrev_b16 v7, 8, v7
	v_or_b32_e32 v2, v2, v4
	v_lshlrev_b16 v10, 8, v10
	v_cndmask_b32_e64 v3, 0, 1, vcc_lo
	v_cmp_lt_u32_e32 vcc_lo, s2, v13
	v_or_b32_e32 v4, v5, v6
	v_or_b32_e32 v5, v9, v7
	v_sub_nc_u32_e32 v11, v11, v14
	v_or_b32_e32 v6, v8, v10
	v_cndmask_b32_e64 v12, 0, 1, vcc_lo
	v_and_b32_e32 v1, 0xffff, v1
	v_lshlrev_b32_e32 v2, 16, v2
	v_and_b32_e32 v4, 0xffff, v4
	v_lshlrev_b32_e32 v5, 16, v5
	v_lshlrev_b16 v12, 8, v12
	v_and_b32_e32 v6, 0xffff, v6
	v_cmp_lt_u32_e32 vcc_lo, s2, v11
	v_or_b32_e32 v39, v1, v2
	v_or_b32_e32 v37, v4, v5
	;; [unrolled: 1-line block ×3, first 2 shown]
	s_mov_b32 s3, 0
	v_cndmask_b32_e64 v34, 0, 1, vcc_lo
	s_delay_alu instid0(VALU_DEP_2) | instskip(NEXT) | instid1(VALU_DEP_1)
	v_lshlrev_b32_e32 v3, 16, v3
	v_or_b32_e32 v35, v6, v3
	s_branch .LBB694_7
.LBB694_6:
	s_mov_b32 s3, -1
                                        ; implicit-def: $vgpr34
                                        ; implicit-def: $vgpr35
                                        ; implicit-def: $vgpr37
                                        ; implicit-def: $vgpr39
.LBB694_7:
	s_clause 0x1
	s_load_b64 s[10:11], s[0:1], 0x28
	s_load_b64 s[20:21], s[0:1], 0x68
	s_and_not1_b32 vcc_lo, exec_lo, s3
	s_addk_i32 s22, 0xd00
	s_cbranch_vccnz .LBB694_35
; %bb.8:
	v_dual_mov_b32 v2, 0 :: v_dual_mov_b32 v1, 0
	s_mov_b32 s0, exec_lo
	v_cmpx_gt_u32_e64 s22, v33
; %bb.9:
	v_add_nc_u32_e32 v1, s5, v28
	v_add_nc_u32_e32 v3, s7, v28
	s_delay_alu instid0(VALU_DEP_2) | instskip(NEXT) | instid1(VALU_DEP_2)
	v_mul_lo_u32 v1, v1, s4
	v_mul_lo_u32 v3, v3, s6
	s_delay_alu instid0(VALU_DEP_1) | instskip(NEXT) | instid1(VALU_DEP_1)
	v_sub_nc_u32_e32 v1, v1, v3
	v_cmp_lt_u32_e32 vcc_lo, s2, v1
	v_cndmask_b32_e64 v1, 0, 1, vcc_lo
; %bb.10:
	s_or_b32 exec_lo, exec_lo, s0
	v_add_nc_u32_e32 v3, 1, v33
	s_mov_b32 s0, exec_lo
	s_delay_alu instid0(VALU_DEP_1)
	v_cmpx_gt_u32_e64 s22, v3
; %bb.11:
	v_add_nc_u32_e32 v2, s5, v29
	v_add_nc_u32_e32 v3, s7, v29
	s_delay_alu instid0(VALU_DEP_2) | instskip(NEXT) | instid1(VALU_DEP_2)
	v_mul_lo_u32 v2, v2, s4
	v_mul_lo_u32 v3, v3, s6
	s_delay_alu instid0(VALU_DEP_1) | instskip(NEXT) | instid1(VALU_DEP_1)
	v_sub_nc_u32_e32 v2, v2, v3
	v_cmp_lt_u32_e32 vcc_lo, s2, v2
	v_cndmask_b32_e64 v2, 0, 1, vcc_lo
; %bb.12:
	s_or_b32 exec_lo, exec_lo, s0
	v_dual_mov_b32 v4, 0 :: v_dual_add_nc_u32 v3, 2, v33
	s_delay_alu instid0(VALU_DEP_1)
	v_cmp_gt_u32_e32 vcc_lo, s22, v3
	v_mov_b32_e32 v3, 0
	s_and_saveexec_b32 s0, vcc_lo
; %bb.13:
	v_add_nc_u32_e32 v3, s5, v26
	v_add_nc_u32_e32 v5, s7, v26
	s_delay_alu instid0(VALU_DEP_2) | instskip(NEXT) | instid1(VALU_DEP_2)
	v_mul_lo_u32 v3, v3, s4
	v_mul_lo_u32 v5, v5, s6
	s_delay_alu instid0(VALU_DEP_1) | instskip(NEXT) | instid1(VALU_DEP_1)
	v_sub_nc_u32_e32 v3, v3, v5
	v_cmp_lt_u32_e32 vcc_lo, s2, v3
	v_cndmask_b32_e64 v3, 0, 1, vcc_lo
; %bb.14:
	s_or_b32 exec_lo, exec_lo, s0
	v_add_nc_u32_e32 v5, 3, v33
	s_mov_b32 s0, exec_lo
	s_delay_alu instid0(VALU_DEP_1)
	v_cmpx_gt_u32_e64 s22, v5
; %bb.15:
	v_add_nc_u32_e32 v4, s5, v27
	v_add_nc_u32_e32 v5, s7, v27
	s_delay_alu instid0(VALU_DEP_2) | instskip(NEXT) | instid1(VALU_DEP_2)
	v_mul_lo_u32 v4, v4, s4
	v_mul_lo_u32 v5, v5, s6
	s_delay_alu instid0(VALU_DEP_1) | instskip(NEXT) | instid1(VALU_DEP_1)
	v_sub_nc_u32_e32 v4, v4, v5
	v_cmp_lt_u32_e32 vcc_lo, s2, v4
	v_cndmask_b32_e64 v4, 0, 1, vcc_lo
; %bb.16:
	s_or_b32 exec_lo, exec_lo, s0
	v_dual_mov_b32 v6, 0 :: v_dual_add_nc_u32 v5, 4, v33
	s_delay_alu instid0(VALU_DEP_1)
	v_cmp_gt_u32_e32 vcc_lo, s22, v5
	v_mov_b32_e32 v5, 0
	s_and_saveexec_b32 s0, vcc_lo
	;; [unrolled: 33-line block ×5, first 2 shown]
; %bb.29:
	v_add_nc_u32_e32 v11, s5, v18
	v_add_nc_u32_e32 v13, s7, v18
	s_delay_alu instid0(VALU_DEP_2) | instskip(NEXT) | instid1(VALU_DEP_2)
	v_mul_lo_u32 v11, v11, s4
	v_mul_lo_u32 v13, v13, s6
	s_delay_alu instid0(VALU_DEP_1) | instskip(NEXT) | instid1(VALU_DEP_1)
	v_sub_nc_u32_e32 v11, v11, v13
	v_cmp_lt_u32_e32 vcc_lo, s2, v11
	v_cndmask_b32_e64 v11, 0, 1, vcc_lo
; %bb.30:
	s_or_b32 exec_lo, exec_lo, s0
	v_add_nc_u32_e32 v13, 11, v33
	s_mov_b32 s0, exec_lo
	s_delay_alu instid0(VALU_DEP_1)
	v_cmpx_gt_u32_e64 s22, v13
; %bb.31:
	v_add_nc_u32_e32 v12, s5, v19
	v_add_nc_u32_e32 v13, s7, v19
	s_delay_alu instid0(VALU_DEP_2) | instskip(NEXT) | instid1(VALU_DEP_2)
	v_mul_lo_u32 v12, v12, s4
	v_mul_lo_u32 v13, v13, s6
	s_delay_alu instid0(VALU_DEP_1) | instskip(NEXT) | instid1(VALU_DEP_1)
	v_sub_nc_u32_e32 v12, v12, v13
	v_cmp_lt_u32_e32 vcc_lo, s2, v12
	v_cndmask_b32_e64 v12, 0, 1, vcc_lo
; %bb.32:
	s_or_b32 exec_lo, exec_lo, s0
	v_dual_mov_b32 v34, 0 :: v_dual_add_nc_u32 v13, 12, v33
	s_mov_b32 s0, exec_lo
	s_delay_alu instid0(VALU_DEP_1)
	v_cmpx_gt_u32_e64 s22, v13
; %bb.33:
	v_add_nc_u32_e32 v13, s5, v32
	v_add_nc_u32_e32 v14, s7, v32
	s_delay_alu instid0(VALU_DEP_2) | instskip(NEXT) | instid1(VALU_DEP_2)
	v_mul_lo_u32 v13, v13, s4
	v_mul_lo_u32 v14, v14, s6
	s_delay_alu instid0(VALU_DEP_1) | instskip(NEXT) | instid1(VALU_DEP_1)
	v_sub_nc_u32_e32 v13, v13, v14
	v_cmp_lt_u32_e32 vcc_lo, s2, v13
	v_cndmask_b32_e64 v34, 0, 1, vcc_lo
; %bb.34:
	s_or_b32 exec_lo, exec_lo, s0
	v_lshlrev_b16 v2, 8, v2
	v_lshlrev_b16 v4, 8, v4
	;; [unrolled: 1-line block ×5, first 2 shown]
	v_or_b32_e32 v1, v1, v2
	v_lshlrev_b16 v2, 8, v12
	v_or_b32_e32 v3, v3, v4
	v_or_b32_e32 v4, v5, v6
	;; [unrolled: 1-line block ×5, first 2 shown]
	v_and_b32_e32 v1, 0xffff, v1
	v_lshlrev_b32_e32 v3, 16, v3
	v_and_b32_e32 v4, 0xffff, v4
	v_lshlrev_b32_e32 v5, 16, v5
	;; [unrolled: 2-line block ×3, first 2 shown]
	v_or_b32_e32 v39, v1, v3
	s_delay_alu instid0(VALU_DEP_4) | instskip(NEXT) | instid1(VALU_DEP_3)
	v_or_b32_e32 v37, v4, v5
	v_or_b32_e32 v35, v6, v2
.LBB694_35:
	s_delay_alu instid0(VALU_DEP_3)
	v_and_b32_e32 v41, 0xff, v39
	v_bfe_u32 v42, v39, 8, 8
	v_bfe_u32 v43, v39, 16, 8
	v_lshrrev_b32_e32 v40, 24, v39
	v_and_b32_e32 v44, 0xff, v37
	v_bfe_u32 v45, v37, 8, 8
	v_bfe_u32 v46, v37, 16, 8
	v_add3_u32 v1, v42, v41, v43
	v_lshrrev_b32_e32 v38, 24, v37
	v_and_b32_e32 v47, 0xff, v35
	v_bfe_u32 v48, v35, 8, 8
	v_mbcnt_lo_u32_b32 v50, -1, 0
	v_add3_u32 v1, v1, v40, v44
	v_bfe_u32 v49, v35, 16, 8
	v_lshrrev_b32_e32 v36, 24, v35
	v_and_b32_e32 v2, 0xff, v34
	v_and_b32_e32 v3, 15, v50
	v_add3_u32 v1, v1, v45, v46
	v_or_b32_e32 v4, 31, v0
	v_and_b32_e32 v5, 16, v50
	v_lshrrev_b32_e32 v51, 5, v0
	v_cmp_eq_u32_e64 s5, 0, v3
	v_add3_u32 v1, v1, v38, v47
	v_cmp_lt_u32_e64 s4, 1, v3
	v_cmp_lt_u32_e64 s3, 3, v3
	;; [unrolled: 1-line block ×3, first 2 shown]
	v_cmp_eq_u32_e64 s1, 0, v5
	v_add3_u32 v1, v1, v48, v49
	v_cmp_eq_u32_e64 s0, v4, v0
	s_cmp_lg_u32 s15, 0
	s_mov_b32 s6, -1
	s_delay_alu instid0(VALU_DEP_2)
	v_add3_u32 v52, v1, v36, v2
	s_cbranch_scc0 .LBB694_66
; %bb.36:
	s_delay_alu instid0(VALU_DEP_1) | instskip(NEXT) | instid1(VALU_DEP_1)
	v_mov_b32_dpp v1, v52 row_shr:1 row_mask:0xf bank_mask:0xf
	v_cndmask_b32_e64 v1, v1, 0, s5
	s_delay_alu instid0(VALU_DEP_1) | instskip(NEXT) | instid1(VALU_DEP_1)
	v_add_nc_u32_e32 v1, v1, v52
	v_mov_b32_dpp v2, v1 row_shr:2 row_mask:0xf bank_mask:0xf
	s_delay_alu instid0(VALU_DEP_1) | instskip(NEXT) | instid1(VALU_DEP_1)
	v_cndmask_b32_e64 v2, 0, v2, s4
	v_add_nc_u32_e32 v1, v1, v2
	s_delay_alu instid0(VALU_DEP_1) | instskip(NEXT) | instid1(VALU_DEP_1)
	v_mov_b32_dpp v2, v1 row_shr:4 row_mask:0xf bank_mask:0xf
	v_cndmask_b32_e64 v2, 0, v2, s3
	s_delay_alu instid0(VALU_DEP_1) | instskip(NEXT) | instid1(VALU_DEP_1)
	v_add_nc_u32_e32 v1, v1, v2
	v_mov_b32_dpp v2, v1 row_shr:8 row_mask:0xf bank_mask:0xf
	s_delay_alu instid0(VALU_DEP_1) | instskip(NEXT) | instid1(VALU_DEP_1)
	v_cndmask_b32_e64 v2, 0, v2, s2
	v_add_nc_u32_e32 v1, v1, v2
	ds_swizzle_b32 v2, v1 offset:swizzle(BROADCAST,32,15)
	s_waitcnt lgkmcnt(0)
	v_cndmask_b32_e64 v2, v2, 0, s1
	s_delay_alu instid0(VALU_DEP_1)
	v_add_nc_u32_e32 v1, v1, v2
	s_and_saveexec_b32 s6, s0
	s_cbranch_execz .LBB694_38
; %bb.37:
	v_lshlrev_b32_e32 v2, 2, v51
	ds_store_b32 v2, v1
.LBB694_38:
	s_or_b32 exec_lo, exec_lo, s6
	s_delay_alu instid0(SALU_CYCLE_1)
	s_mov_b32 s6, exec_lo
	s_waitcnt lgkmcnt(0)
	s_barrier
	buffer_gl0_inv
	v_cmpx_gt_u32_e32 8, v0
	s_cbranch_execz .LBB694_40
; %bb.39:
	ds_load_b32 v2, v30
	s_waitcnt lgkmcnt(0)
	v_mov_b32_dpp v4, v2 row_shr:1 row_mask:0xf bank_mask:0xf
	v_and_b32_e32 v3, 7, v50
	s_delay_alu instid0(VALU_DEP_1) | instskip(NEXT) | instid1(VALU_DEP_3)
	v_cmp_ne_u32_e32 vcc_lo, 0, v3
	v_cndmask_b32_e32 v4, 0, v4, vcc_lo
	v_cmp_lt_u32_e32 vcc_lo, 1, v3
	s_delay_alu instid0(VALU_DEP_2) | instskip(NEXT) | instid1(VALU_DEP_1)
	v_add_nc_u32_e32 v2, v4, v2
	v_mov_b32_dpp v4, v2 row_shr:2 row_mask:0xf bank_mask:0xf
	s_delay_alu instid0(VALU_DEP_1) | instskip(SKIP_1) | instid1(VALU_DEP_2)
	v_cndmask_b32_e32 v4, 0, v4, vcc_lo
	v_cmp_lt_u32_e32 vcc_lo, 3, v3
	v_add_nc_u32_e32 v2, v2, v4
	s_delay_alu instid0(VALU_DEP_1) | instskip(NEXT) | instid1(VALU_DEP_1)
	v_mov_b32_dpp v4, v2 row_shr:4 row_mask:0xf bank_mask:0xf
	v_cndmask_b32_e32 v3, 0, v4, vcc_lo
	s_delay_alu instid0(VALU_DEP_1)
	v_add_nc_u32_e32 v2, v2, v3
	ds_store_b32 v30, v2
.LBB694_40:
	s_or_b32 exec_lo, exec_lo, s6
	v_cmp_gt_u32_e32 vcc_lo, 32, v0
	s_mov_b32 s7, exec_lo
	s_waitcnt lgkmcnt(0)
	s_barrier
	buffer_gl0_inv
                                        ; implicit-def: $vgpr8
	v_cmpx_lt_u32_e32 31, v0
	s_cbranch_execz .LBB694_42
; %bb.41:
	v_lshl_add_u32 v2, v51, 2, -4
	ds_load_b32 v8, v2
	s_waitcnt lgkmcnt(0)
	v_add_nc_u32_e32 v1, v8, v1
.LBB694_42:
	s_or_b32 exec_lo, exec_lo, s7
	v_add_nc_u32_e32 v2, -1, v50
	s_delay_alu instid0(VALU_DEP_1) | instskip(NEXT) | instid1(VALU_DEP_1)
	v_cmp_gt_i32_e64 s6, 0, v2
	v_cndmask_b32_e64 v2, v2, v50, s6
	v_cmp_eq_u32_e64 s6, 0, v50
	s_delay_alu instid0(VALU_DEP_2)
	v_lshlrev_b32_e32 v2, 2, v2
	ds_bpermute_b32 v9, v2, v1
	s_and_saveexec_b32 s7, vcc_lo
	s_cbranch_execz .LBB694_65
; %bb.43:
	v_mov_b32_e32 v4, 0
	ds_load_b32 v1, v4 offset:28
	s_and_saveexec_b32 s24, s6
	s_cbranch_execz .LBB694_45
; %bb.44:
	s_add_i32 s26, s15, 32
	s_mov_b32 s27, 0
	v_mov_b32_e32 v2, 1
	s_lshl_b64 s[26:27], s[26:27], 3
	s_delay_alu instid0(SALU_CYCLE_1)
	s_add_u32 s26, s20, s26
	s_addc_u32 s27, s21, s27
	s_waitcnt lgkmcnt(0)
	global_store_b64 v4, v[1:2], s[26:27]
.LBB694_45:
	s_or_b32 exec_lo, exec_lo, s24
	v_xad_u32 v2, v50, -1, s15
	s_mov_b32 s25, 0
	s_mov_b32 s24, exec_lo
	s_delay_alu instid0(VALU_DEP_1) | instskip(NEXT) | instid1(VALU_DEP_1)
	v_add_nc_u32_e32 v3, 32, v2
	v_lshlrev_b64 v[3:4], 3, v[3:4]
	s_delay_alu instid0(VALU_DEP_1) | instskip(NEXT) | instid1(VALU_DEP_2)
	v_add_co_u32 v6, vcc_lo, s20, v3
	v_add_co_ci_u32_e32 v7, vcc_lo, s21, v4, vcc_lo
	global_load_b64 v[4:5], v[6:7], off glc
	s_waitcnt vmcnt(0)
	v_and_b32_e32 v3, 0xff, v5
	s_delay_alu instid0(VALU_DEP_1)
	v_cmpx_eq_u16_e32 0, v3
	s_cbranch_execz .LBB694_51
; %bb.46:
	s_mov_b32 s26, 1
	.p2align	6
.LBB694_47:                             ; =>This Loop Header: Depth=1
                                        ;     Child Loop BB694_48 Depth 2
	s_delay_alu instid0(SALU_CYCLE_1)
	s_max_u32 s27, s26, 1
.LBB694_48:                             ;   Parent Loop BB694_47 Depth=1
                                        ; =>  This Inner Loop Header: Depth=2
	s_delay_alu instid0(SALU_CYCLE_1)
	s_add_i32 s27, s27, -1
	s_sleep 1
	s_cmp_eq_u32 s27, 0
	s_cbranch_scc0 .LBB694_48
; %bb.49:                               ;   in Loop: Header=BB694_47 Depth=1
	global_load_b64 v[4:5], v[6:7], off glc
	s_cmp_lt_u32 s26, 32
	s_cselect_b32 s27, -1, 0
	s_delay_alu instid0(SALU_CYCLE_1) | instskip(SKIP_3) | instid1(VALU_DEP_1)
	s_cmp_lg_u32 s27, 0
	s_addc_u32 s26, s26, 0
	s_waitcnt vmcnt(0)
	v_and_b32_e32 v3, 0xff, v5
	v_cmp_ne_u16_e32 vcc_lo, 0, v3
	s_or_b32 s25, vcc_lo, s25
	s_delay_alu instid0(SALU_CYCLE_1)
	s_and_not1_b32 exec_lo, exec_lo, s25
	s_cbranch_execnz .LBB694_47
; %bb.50:
	s_or_b32 exec_lo, exec_lo, s25
.LBB694_51:
	s_delay_alu instid0(SALU_CYCLE_1)
	s_or_b32 exec_lo, exec_lo, s24
	v_cmp_ne_u32_e32 vcc_lo, 31, v50
	v_lshlrev_b32_e64 v11, v50, -1
	v_add_nc_u32_e32 v13, 2, v50
	v_add_nc_u32_e32 v16, 4, v50
	;; [unrolled: 1-line block ×3, first 2 shown]
	v_add_co_ci_u32_e32 v3, vcc_lo, 0, v50, vcc_lo
	v_add_nc_u32_e32 v55, 16, v50
	s_delay_alu instid0(VALU_DEP_2) | instskip(SKIP_2) | instid1(VALU_DEP_1)
	v_lshlrev_b32_e32 v10, 2, v3
	ds_bpermute_b32 v6, v10, v4
	v_and_b32_e32 v3, 0xff, v5
	v_cmp_eq_u16_e32 vcc_lo, 2, v3
	v_and_or_b32 v3, vcc_lo, v11, 0x80000000
	v_cmp_gt_u32_e32 vcc_lo, 30, v50
	s_delay_alu instid0(VALU_DEP_2) | instskip(SKIP_1) | instid1(VALU_DEP_2)
	v_ctz_i32_b32_e32 v3, v3
	v_cndmask_b32_e64 v7, 0, 1, vcc_lo
	v_cmp_lt_u32_e32 vcc_lo, v50, v3
	s_waitcnt lgkmcnt(0)
	s_delay_alu instid0(VALU_DEP_2) | instskip(NEXT) | instid1(VALU_DEP_1)
	v_dual_cndmask_b32 v6, 0, v6 :: v_dual_lshlrev_b32 v7, 1, v7
	v_add_lshl_u32 v12, v7, v50, 2
	v_cmp_gt_u32_e32 vcc_lo, 28, v50
	s_delay_alu instid0(VALU_DEP_3) | instskip(SKIP_4) | instid1(VALU_DEP_1)
	v_add_nc_u32_e32 v4, v6, v4
	v_cndmask_b32_e64 v7, 0, 1, vcc_lo
	v_cmp_le_u32_e32 vcc_lo, v13, v3
	ds_bpermute_b32 v6, v12, v4
	v_lshlrev_b32_e32 v7, 2, v7
	v_add_lshl_u32 v14, v7, v50, 2
	s_waitcnt lgkmcnt(0)
	v_cndmask_b32_e32 v6, 0, v6, vcc_lo
	v_cmp_gt_u32_e32 vcc_lo, 24, v50
	s_delay_alu instid0(VALU_DEP_2) | instskip(SKIP_4) | instid1(VALU_DEP_1)
	v_add_nc_u32_e32 v4, v4, v6
	v_cndmask_b32_e64 v7, 0, 1, vcc_lo
	v_cmp_le_u32_e32 vcc_lo, v16, v3
	ds_bpermute_b32 v6, v14, v4
	v_lshlrev_b32_e32 v7, 3, v7
	v_add_lshl_u32 v17, v7, v50, 2
	s_waitcnt lgkmcnt(0)
	v_cndmask_b32_e32 v6, 0, v6, vcc_lo
	v_cmp_gt_u32_e32 vcc_lo, 16, v50
	s_delay_alu instid0(VALU_DEP_2) | instskip(SKIP_4) | instid1(VALU_DEP_1)
	v_add_nc_u32_e32 v4, v4, v6
	v_cndmask_b32_e64 v7, 0, 1, vcc_lo
	v_cmp_le_u32_e32 vcc_lo, v53, v3
	ds_bpermute_b32 v6, v17, v4
	v_lshlrev_b32_e32 v7, 4, v7
	v_add_lshl_u32 v54, v7, v50, 2
	s_waitcnt lgkmcnt(0)
	v_cndmask_b32_e32 v6, 0, v6, vcc_lo
	v_cmp_le_u32_e32 vcc_lo, v55, v3
	s_delay_alu instid0(VALU_DEP_2) | instskip(SKIP_3) | instid1(VALU_DEP_1)
	v_add_nc_u32_e32 v4, v4, v6
	ds_bpermute_b32 v6, v54, v4
	s_waitcnt lgkmcnt(0)
	v_cndmask_b32_e32 v3, 0, v6, vcc_lo
	v_dual_mov_b32 v3, 0 :: v_dual_add_nc_u32 v4, v4, v3
	s_branch .LBB694_53
.LBB694_52:                             ;   in Loop: Header=BB694_53 Depth=1
	s_or_b32 exec_lo, exec_lo, s24
	ds_bpermute_b32 v7, v10, v4
	v_and_b32_e32 v6, 0xff, v5
	v_subrev_nc_u32_e32 v2, 32, v2
	s_delay_alu instid0(VALU_DEP_2) | instskip(SKIP_1) | instid1(VALU_DEP_1)
	v_cmp_eq_u16_e32 vcc_lo, 2, v6
	v_and_or_b32 v6, vcc_lo, v11, 0x80000000
	v_ctz_i32_b32_e32 v6, v6
	s_delay_alu instid0(VALU_DEP_1) | instskip(SKIP_3) | instid1(VALU_DEP_2)
	v_cmp_lt_u32_e32 vcc_lo, v50, v6
	s_waitcnt lgkmcnt(0)
	v_cndmask_b32_e32 v7, 0, v7, vcc_lo
	v_cmp_le_u32_e32 vcc_lo, v13, v6
	v_add_nc_u32_e32 v4, v7, v4
	ds_bpermute_b32 v7, v12, v4
	s_waitcnt lgkmcnt(0)
	v_cndmask_b32_e32 v7, 0, v7, vcc_lo
	v_cmp_le_u32_e32 vcc_lo, v16, v6
	s_delay_alu instid0(VALU_DEP_2) | instskip(SKIP_4) | instid1(VALU_DEP_2)
	v_add_nc_u32_e32 v4, v4, v7
	ds_bpermute_b32 v7, v14, v4
	s_waitcnt lgkmcnt(0)
	v_cndmask_b32_e32 v7, 0, v7, vcc_lo
	v_cmp_le_u32_e32 vcc_lo, v53, v6
	v_add_nc_u32_e32 v4, v4, v7
	ds_bpermute_b32 v7, v17, v4
	s_waitcnt lgkmcnt(0)
	v_cndmask_b32_e32 v7, 0, v7, vcc_lo
	v_cmp_le_u32_e32 vcc_lo, v55, v6
	s_delay_alu instid0(VALU_DEP_2) | instskip(SKIP_3) | instid1(VALU_DEP_1)
	v_add_nc_u32_e32 v4, v4, v7
	ds_bpermute_b32 v7, v54, v4
	s_waitcnt lgkmcnt(0)
	v_cndmask_b32_e32 v6, 0, v7, vcc_lo
	v_add3_u32 v4, v6, v15, v4
.LBB694_53:                             ; =>This Loop Header: Depth=1
                                        ;     Child Loop BB694_56 Depth 2
                                        ;       Child Loop BB694_57 Depth 3
	v_and_b32_e32 v5, 0xff, v5
	s_delay_alu instid0(VALU_DEP_2) | instskip(NEXT) | instid1(VALU_DEP_2)
	v_mov_b32_e32 v15, v4
	v_cmp_ne_u16_e32 vcc_lo, 2, v5
	v_cndmask_b32_e64 v5, 0, 1, vcc_lo
	;;#ASMSTART
	;;#ASMEND
	s_delay_alu instid0(VALU_DEP_1)
	v_cmp_ne_u32_e32 vcc_lo, 0, v5
	s_cmp_lg_u32 vcc_lo, exec_lo
	s_cbranch_scc1 .LBB694_60
; %bb.54:                               ;   in Loop: Header=BB694_53 Depth=1
	v_lshlrev_b64 v[4:5], 3, v[2:3]
	s_mov_b32 s24, exec_lo
	s_delay_alu instid0(VALU_DEP_1) | instskip(NEXT) | instid1(VALU_DEP_2)
	v_add_co_u32 v6, vcc_lo, s20, v4
	v_add_co_ci_u32_e32 v7, vcc_lo, s21, v5, vcc_lo
	global_load_b64 v[4:5], v[6:7], off glc
	s_waitcnt vmcnt(0)
	v_and_b32_e32 v56, 0xff, v5
	s_delay_alu instid0(VALU_DEP_1)
	v_cmpx_eq_u16_e32 0, v56
	s_cbranch_execz .LBB694_52
; %bb.55:                               ;   in Loop: Header=BB694_53 Depth=1
	s_mov_b32 s26, 1
	s_mov_b32 s25, 0
	.p2align	6
.LBB694_56:                             ;   Parent Loop BB694_53 Depth=1
                                        ; =>  This Loop Header: Depth=2
                                        ;       Child Loop BB694_57 Depth 3
	s_max_u32 s27, s26, 1
.LBB694_57:                             ;   Parent Loop BB694_53 Depth=1
                                        ;     Parent Loop BB694_56 Depth=2
                                        ; =>    This Inner Loop Header: Depth=3
	s_delay_alu instid0(SALU_CYCLE_1)
	s_add_i32 s27, s27, -1
	s_sleep 1
	s_cmp_eq_u32 s27, 0
	s_cbranch_scc0 .LBB694_57
; %bb.58:                               ;   in Loop: Header=BB694_56 Depth=2
	global_load_b64 v[4:5], v[6:7], off glc
	s_cmp_lt_u32 s26, 32
	s_cselect_b32 s27, -1, 0
	s_delay_alu instid0(SALU_CYCLE_1) | instskip(SKIP_3) | instid1(VALU_DEP_1)
	s_cmp_lg_u32 s27, 0
	s_addc_u32 s26, s26, 0
	s_waitcnt vmcnt(0)
	v_and_b32_e32 v56, 0xff, v5
	v_cmp_ne_u16_e32 vcc_lo, 0, v56
	s_or_b32 s25, vcc_lo, s25
	s_delay_alu instid0(SALU_CYCLE_1)
	s_and_not1_b32 exec_lo, exec_lo, s25
	s_cbranch_execnz .LBB694_56
; %bb.59:                               ;   in Loop: Header=BB694_53 Depth=1
	s_or_b32 exec_lo, exec_lo, s25
	s_branch .LBB694_52
.LBB694_60:                             ;   in Loop: Header=BB694_53 Depth=1
                                        ; implicit-def: $vgpr4
                                        ; implicit-def: $vgpr5
	s_cbranch_execz .LBB694_53
; %bb.61:
	s_and_saveexec_b32 s24, s6
	s_cbranch_execz .LBB694_63
; %bb.62:
	s_add_i32 s26, s15, 32
	s_mov_b32 s27, 0
	v_dual_mov_b32 v3, 2 :: v_dual_add_nc_u32 v2, v15, v1
	s_lshl_b64 s[26:27], s[26:27], 3
	v_mov_b32_e32 v4, 0
	v_add_nc_u32_e64 v5, 0x3400, 0
	s_add_u32 s26, s20, s26
	s_addc_u32 s27, s21, s27
	global_store_b64 v4, v[2:3], s[26:27]
	ds_store_2addr_b32 v5, v1, v15 offset1:2
.LBB694_63:
	s_or_b32 exec_lo, exec_lo, s24
	v_cmp_eq_u32_e32 vcc_lo, 0, v0
	s_and_b32 exec_lo, exec_lo, vcc_lo
	s_cbranch_execz .LBB694_65
; %bb.64:
	v_mov_b32_e32 v1, 0
	ds_store_b32 v1, v15 offset:28
.LBB694_65:
	s_or_b32 exec_lo, exec_lo, s7
	s_waitcnt lgkmcnt(0)
	v_cndmask_b32_e64 v2, v9, v8, s6
	v_cmp_ne_u32_e32 vcc_lo, 0, v0
	v_mov_b32_e32 v1, 0
	s_waitcnt_vscnt null, 0x0
	s_barrier
	buffer_gl0_inv
	v_cndmask_b32_e32 v2, 0, v2, vcc_lo
	ds_load_b32 v1, v1 offset:28
	v_add_nc_u32_e64 v11, 0x3400, 0
	s_waitcnt lgkmcnt(0)
	s_barrier
	buffer_gl0_inv
	ds_load_2addr_b32 v[16:17], v11 offset1:2
	v_add_nc_u32_e32 v1, v1, v2
	s_delay_alu instid0(VALU_DEP_1) | instskip(NEXT) | instid1(VALU_DEP_1)
	v_add_nc_u32_e32 v2, v1, v41
	v_add_nc_u32_e32 v3, v2, v42
	s_delay_alu instid0(VALU_DEP_1) | instskip(NEXT) | instid1(VALU_DEP_1)
	v_add_nc_u32_e32 v4, v3, v43
	;; [unrolled: 3-line block ×6, first 2 shown]
	v_add_nc_u32_e32 v13, v12, v36
	s_branch .LBB694_76
.LBB694_66:
                                        ; implicit-def: $vgpr17
                                        ; implicit-def: $vgpr1_vgpr2_vgpr3_vgpr4_vgpr5_vgpr6_vgpr7_vgpr8_vgpr9_vgpr10_vgpr11_vgpr12_vgpr13_vgpr14_vgpr15_vgpr16
	s_and_b32 vcc_lo, exec_lo, s6
	s_cbranch_vccz .LBB694_76
; %bb.67:
	s_delay_alu instid0(VALU_DEP_1) | instskip(NEXT) | instid1(VALU_DEP_1)
	v_mov_b32_dpp v1, v52 row_shr:1 row_mask:0xf bank_mask:0xf
	v_cndmask_b32_e64 v1, v1, 0, s5
	s_delay_alu instid0(VALU_DEP_1) | instskip(NEXT) | instid1(VALU_DEP_1)
	v_add_nc_u32_e32 v1, v1, v52
	v_mov_b32_dpp v2, v1 row_shr:2 row_mask:0xf bank_mask:0xf
	s_delay_alu instid0(VALU_DEP_1) | instskip(NEXT) | instid1(VALU_DEP_1)
	v_cndmask_b32_e64 v2, 0, v2, s4
	v_add_nc_u32_e32 v1, v1, v2
	s_delay_alu instid0(VALU_DEP_1) | instskip(NEXT) | instid1(VALU_DEP_1)
	v_mov_b32_dpp v2, v1 row_shr:4 row_mask:0xf bank_mask:0xf
	v_cndmask_b32_e64 v2, 0, v2, s3
	s_delay_alu instid0(VALU_DEP_1) | instskip(NEXT) | instid1(VALU_DEP_1)
	v_add_nc_u32_e32 v1, v1, v2
	v_mov_b32_dpp v2, v1 row_shr:8 row_mask:0xf bank_mask:0xf
	s_delay_alu instid0(VALU_DEP_1) | instskip(NEXT) | instid1(VALU_DEP_1)
	v_cndmask_b32_e64 v2, 0, v2, s2
	v_add_nc_u32_e32 v1, v1, v2
	ds_swizzle_b32 v2, v1 offset:swizzle(BROADCAST,32,15)
	s_waitcnt lgkmcnt(0)
	v_cndmask_b32_e64 v2, v2, 0, s1
	s_delay_alu instid0(VALU_DEP_1)
	v_add_nc_u32_e32 v1, v1, v2
	s_and_saveexec_b32 s1, s0
	s_cbranch_execz .LBB694_69
; %bb.68:
	v_lshlrev_b32_e32 v2, 2, v51
	ds_store_b32 v2, v1
.LBB694_69:
	s_or_b32 exec_lo, exec_lo, s1
	s_delay_alu instid0(SALU_CYCLE_1)
	s_mov_b32 s0, exec_lo
	s_waitcnt lgkmcnt(0)
	s_barrier
	buffer_gl0_inv
	v_cmpx_gt_u32_e32 8, v0
	s_cbranch_execz .LBB694_71
; %bb.70:
	ds_load_b32 v2, v30
	s_waitcnt lgkmcnt(0)
	v_mov_b32_dpp v4, v2 row_shr:1 row_mask:0xf bank_mask:0xf
	v_and_b32_e32 v3, 7, v50
	s_delay_alu instid0(VALU_DEP_1) | instskip(NEXT) | instid1(VALU_DEP_3)
	v_cmp_ne_u32_e32 vcc_lo, 0, v3
	v_cndmask_b32_e32 v4, 0, v4, vcc_lo
	v_cmp_lt_u32_e32 vcc_lo, 1, v3
	s_delay_alu instid0(VALU_DEP_2) | instskip(NEXT) | instid1(VALU_DEP_1)
	v_add_nc_u32_e32 v2, v4, v2
	v_mov_b32_dpp v4, v2 row_shr:2 row_mask:0xf bank_mask:0xf
	s_delay_alu instid0(VALU_DEP_1) | instskip(SKIP_1) | instid1(VALU_DEP_2)
	v_cndmask_b32_e32 v4, 0, v4, vcc_lo
	v_cmp_lt_u32_e32 vcc_lo, 3, v3
	v_add_nc_u32_e32 v2, v2, v4
	s_delay_alu instid0(VALU_DEP_1) | instskip(NEXT) | instid1(VALU_DEP_1)
	v_mov_b32_dpp v4, v2 row_shr:4 row_mask:0xf bank_mask:0xf
	v_cndmask_b32_e32 v3, 0, v4, vcc_lo
	s_delay_alu instid0(VALU_DEP_1)
	v_add_nc_u32_e32 v2, v2, v3
	ds_store_b32 v30, v2
.LBB694_71:
	s_or_b32 exec_lo, exec_lo, s0
	v_dual_mov_b32 v3, 0 :: v_dual_mov_b32 v2, 0
	s_mov_b32 s0, exec_lo
	s_waitcnt lgkmcnt(0)
	s_barrier
	buffer_gl0_inv
	v_cmpx_lt_u32_e32 31, v0
	s_cbranch_execz .LBB694_73
; %bb.72:
	v_lshl_add_u32 v2, v51, 2, -4
	ds_load_b32 v2, v2
.LBB694_73:
	s_or_b32 exec_lo, exec_lo, s0
	v_add_nc_u32_e32 v4, -1, v50
	ds_load_b32 v16, v3 offset:28
	s_waitcnt lgkmcnt(1)
	v_add_nc_u32_e32 v1, v2, v1
	v_cmp_gt_i32_e32 vcc_lo, 0, v4
	v_cndmask_b32_e32 v4, v4, v50, vcc_lo
	v_cmp_eq_u32_e32 vcc_lo, 0, v0
	s_delay_alu instid0(VALU_DEP_2)
	v_lshlrev_b32_e32 v4, 2, v4
	ds_bpermute_b32 v1, v4, v1
	s_and_saveexec_b32 s0, vcc_lo
	s_cbranch_execz .LBB694_75
; %bb.74:
	v_mov_b32_e32 v3, 0
	v_mov_b32_e32 v17, 2
	s_waitcnt lgkmcnt(1)
	global_store_b64 v3, v[16:17], s[20:21] offset:256
.LBB694_75:
	s_or_b32 exec_lo, exec_lo, s0
	v_cmp_eq_u32_e64 s0, 0, v50
	s_waitcnt lgkmcnt(0)
	s_waitcnt_vscnt null, 0x0
	s_barrier
	buffer_gl0_inv
	v_mov_b32_e32 v17, 0
	v_cndmask_b32_e64 v1, v1, v2, s0
	s_delay_alu instid0(VALU_DEP_1) | instskip(NEXT) | instid1(VALU_DEP_1)
	v_cndmask_b32_e64 v1, v1, 0, vcc_lo
	v_add_nc_u32_e32 v2, v1, v41
	s_delay_alu instid0(VALU_DEP_1) | instskip(NEXT) | instid1(VALU_DEP_1)
	v_add_nc_u32_e32 v3, v2, v42
	v_add_nc_u32_e32 v4, v3, v43
	s_delay_alu instid0(VALU_DEP_1) | instskip(NEXT) | instid1(VALU_DEP_1)
	v_add_nc_u32_e32 v5, v4, v40
	;; [unrolled: 3-line block ×5, first 2 shown]
	v_add_nc_u32_e32 v12, v11, v49
	s_delay_alu instid0(VALU_DEP_1)
	v_add_nc_u32_e32 v13, v12, v36
.LBB694_76:
	v_lshrrev_b32_e32 v44, 8, v39
	v_lshrrev_b32_e32 v43, 16, v39
	s_waitcnt lgkmcnt(0)
	v_sub_nc_u32_e32 v1, v1, v17
	v_and_b32_e32 v39, 1, v39
	v_sub_nc_u32_e32 v3, v3, v17
	v_add_nc_u32_e32 v33, v16, v33
	v_sub_nc_u32_e32 v2, v2, v17
	v_sub_nc_u32_e32 v4, v4, v17
	v_cmp_eq_u32_e32 vcc_lo, 1, v39
	v_and_b32_e32 v39, 1, v43
	v_sub_nc_u32_e32 v45, v33, v1
	v_and_b32_e32 v44, 1, v44
	v_sub_nc_u32_e32 v43, v33, v2
	v_lshrrev_b32_e32 v42, 8, v37
	v_lshrrev_b32_e32 v41, 16, v37
	v_cndmask_b32_e32 v1, v45, v1, vcc_lo
	v_sub_nc_u32_e32 v45, v33, v3
	v_add_nc_u32_e32 v43, 1, v43
	v_cmp_eq_u32_e32 vcc_lo, 1, v44
	v_and_b32_e32 v40, 1, v40
	v_lshlrev_b32_e32 v1, 2, v1
	v_add_nc_u32_e32 v45, 2, v45
	v_lshrrev_b32_e32 v15, 8, v35
	v_lshrrev_b32_e32 v14, 16, v35
	ds_store_b32 v1, v28
	v_cndmask_b32_e32 v1, v43, v2, vcc_lo
	v_cmp_eq_u32_e32 vcc_lo, 1, v39
	v_or_b32_e32 v28, 0x500, v0
	s_delay_alu instid0(VALU_DEP_3)
	v_dual_cndmask_b32 v2, v45, v3 :: v_dual_lshlrev_b32 v1, 2, v1
	v_sub_nc_u32_e32 v46, v33, v4
	v_cmp_eq_u32_e32 vcc_lo, 1, v40
	ds_store_b32 v1, v29
	v_lshlrev_b32_e32 v2, 2, v2
	v_add_nc_u32_e32 v46, 3, v46
	v_or_b32_e32 v29, 0x400, v0
	s_delay_alu instid0(VALU_DEP_2) | instskip(SKIP_2) | instid1(VALU_DEP_3)
	v_cndmask_b32_e32 v3, v46, v4, vcc_lo
	v_sub_nc_u32_e32 v4, v5, v17
	v_sub_nc_u32_e32 v5, v6, v17
	v_lshlrev_b32_e32 v3, 2, v3
	s_delay_alu instid0(VALU_DEP_3) | instskip(NEXT) | instid1(VALU_DEP_3)
	v_sub_nc_u32_e32 v1, v33, v4
	v_sub_nc_u32_e32 v6, v33, v5
	ds_store_b32 v2, v26
	ds_store_b32 v3, v27
	v_and_b32_e32 v2, 1, v37
	v_add_nc_u32_e32 v1, 4, v1
	v_add_nc_u32_e32 v3, 5, v6
	v_sub_nc_u32_e32 v6, v7, v17
	v_and_b32_e32 v7, 1, v42
	v_cmp_eq_u32_e32 vcc_lo, 1, v2
	v_sub_nc_u32_e32 v2, v8, v17
	v_and_b32_e32 v8, 1, v38
	v_or_b32_e32 v27, 0x600, v0
	v_or_b32_e32 v26, 0x700, v0
	v_cndmask_b32_e32 v1, v1, v4, vcc_lo
	v_sub_nc_u32_e32 v4, v33, v6
	v_cmp_eq_u32_e32 vcc_lo, 1, v7
	v_and_b32_e32 v7, 1, v41
	s_delay_alu instid0(VALU_DEP_4) | instskip(NEXT) | instid1(VALU_DEP_4)
	v_lshlrev_b32_e32 v1, 2, v1
	v_dual_cndmask_b32 v3, v3, v5 :: v_dual_add_nc_u32 v4, 6, v4
	v_sub_nc_u32_e32 v5, v33, v2
	s_delay_alu instid0(VALU_DEP_4) | instskip(SKIP_1) | instid1(VALU_DEP_4)
	v_cmp_eq_u32_e32 vcc_lo, 1, v7
	v_sub_nc_u32_e32 v7, v13, v17
	v_lshlrev_b32_e32 v3, 2, v3
	s_delay_alu instid0(VALU_DEP_4)
	v_dual_cndmask_b32 v4, v4, v6 :: v_dual_add_nc_u32 v5, 7, v5
	v_cmp_eq_u32_e32 vcc_lo, 1, v8
	v_sub_nc_u32_e32 v6, v9, v17
	ds_store_b32 v1, v24
	ds_store_b32 v3, v25
	v_or_b32_e32 v25, 0x800, v0
	v_dual_cndmask_b32 v2, v5, v2 :: v_dual_lshlrev_b32 v3, 2, v4
	v_and_b32_e32 v5, 1, v35
	v_sub_nc_u32_e32 v1, v33, v6
	v_sub_nc_u32_e32 v4, v10, v17
	v_and_b32_e32 v10, 1, v36
	v_or_b32_e32 v24, 0x900, v0
	v_cmp_eq_u32_e32 vcc_lo, 1, v5
	v_sub_nc_u32_e32 v5, v12, v17
	v_add_nc_u32_e32 v1, 8, v1
	s_delay_alu instid0(VALU_DEP_2) | instskip(NEXT) | instid1(VALU_DEP_2)
	v_sub_nc_u32_e32 v9, v33, v5
	v_dual_cndmask_b32 v1, v1, v6 :: v_dual_and_b32 v6, 1, v15
	v_add_co_u32 v15, s0, s18, v17
	s_delay_alu instid0(VALU_DEP_3)
	v_add_nc_u32_e32 v9, 11, v9
	v_lshlrev_b32_e32 v2, 2, v2
	ds_store_b32 v3, v22
	ds_store_b32 v2, v23
	v_sub_nc_u32_e32 v3, v11, v17
	v_sub_nc_u32_e32 v2, v33, v4
	v_cmp_eq_u32_e32 vcc_lo, 1, v6
	v_and_b32_e32 v11, 1, v34
	v_lshlrev_b32_e32 v1, 2, v1
	v_sub_nc_u32_e32 v8, v33, v3
	v_add_nc_u32_e32 v2, 9, v2
	v_add_co_ci_u32_e64 v17, null, s19, 0, s0
	s_add_u32 s0, s16, s23
	s_delay_alu instid0(VALU_DEP_3)
	v_add_nc_u32_e32 v6, 10, v8
	v_and_b32_e32 v8, 1, v14
	v_cndmask_b32_e32 v2, v2, v4, vcc_lo
	v_sub_nc_u32_e32 v4, v33, v7
	s_addc_u32 s1, s17, 0
	s_sub_u32 s0, s12, s0
	v_cmp_eq_u32_e32 vcc_lo, 1, v8
	v_lshlrev_b32_e32 v2, 2, v2
	v_add_nc_u32_e32 v4, 12, v4
	s_subb_u32 s1, s13, s1
	v_add_co_u32 v13, s0, s0, v16
	v_cndmask_b32_e32 v3, v6, v3, vcc_lo
	v_cmp_eq_u32_e32 vcc_lo, 1, v10
	v_add_co_ci_u32_e64 v14, null, s1, 0, s0
	v_or_b32_e32 v34, 0x100, v0
	s_delay_alu instid0(VALU_DEP_4)
	v_lshlrev_b32_e32 v3, 2, v3
	v_cndmask_b32_e32 v5, v9, v5, vcc_lo
	v_cmp_eq_u32_e32 vcc_lo, 1, v11
	v_or_b32_e32 v33, 0x200, v0
	v_or_b32_e32 v23, 0xa00, v0
	;; [unrolled: 1-line block ×3, first 2 shown]
	v_dual_cndmask_b32 v4, v4, v7 :: v_dual_lshlrev_b32 v5, 2, v5
	v_cmp_ne_u32_e32 vcc_lo, 1, v31
	s_delay_alu instid0(VALU_DEP_2)
	v_lshlrev_b32_e32 v4, 2, v4
	ds_store_b32 v1, v20
	ds_store_b32 v2, v21
	;; [unrolled: 1-line block ×5, first 2 shown]
	s_waitcnt lgkmcnt(0)
	s_barrier
	buffer_gl0_inv
	ds_load_2addr_stride64_b32 v[11:12], v30 offset1:4
	ds_load_2addr_stride64_b32 v[9:10], v30 offset0:8 offset1:12
	ds_load_2addr_stride64_b32 v[7:8], v30 offset0:16 offset1:20
	;; [unrolled: 1-line block ×5, first 2 shown]
	ds_load_b32 v18, v30 offset:12288
	v_add_co_u32 v20, s0, v13, v15
	v_or_b32_e32 v32, 0x300, v0
	v_or_b32_e32 v19, 0xc00, v0
	v_add_co_ci_u32_e64 v21, s0, v14, v17, s0
	s_mov_b32 s0, 0
	s_cbranch_vccnz .LBB694_130
; %bb.77:
	s_mov_b32 s0, exec_lo
                                        ; implicit-def: $vgpr13_vgpr14
	v_cmpx_ge_u32_e64 v0, v16
	s_xor_b32 s0, exec_lo, s0
; %bb.78:
	v_not_b32_e32 v13, v0
	s_delay_alu instid0(VALU_DEP_1) | instskip(SKIP_1) | instid1(VALU_DEP_2)
	v_ashrrev_i32_e32 v14, 31, v13
	v_add_co_u32 v13, vcc_lo, v20, v13
	v_add_co_ci_u32_e32 v14, vcc_lo, v21, v14, vcc_lo
; %bb.79:
	s_and_not1_saveexec_b32 s0, s0
; %bb.80:
	v_add_co_u32 v13, vcc_lo, v15, v0
	v_add_co_ci_u32_e32 v14, vcc_lo, 0, v17, vcc_lo
; %bb.81:
	s_or_b32 exec_lo, exec_lo, s0
	s_delay_alu instid0(VALU_DEP_1) | instskip(SKIP_1) | instid1(VALU_DEP_1)
	v_lshlrev_b64 v[13:14], 2, v[13:14]
	s_mov_b32 s0, exec_lo
	v_add_co_u32 v13, vcc_lo, s10, v13
	s_delay_alu instid0(VALU_DEP_2)
	v_add_co_ci_u32_e32 v14, vcc_lo, s11, v14, vcc_lo
	s_waitcnt lgkmcnt(6)
	global_store_b32 v[13:14], v11, off
                                        ; implicit-def: $vgpr13_vgpr14
	v_cmpx_ge_u32_e64 v34, v16
	s_xor_b32 s0, exec_lo, s0
; %bb.82:
	v_xor_b32_e32 v13, 0xfffffeff, v0
	s_delay_alu instid0(VALU_DEP_1) | instskip(SKIP_1) | instid1(VALU_DEP_2)
	v_ashrrev_i32_e32 v14, 31, v13
	v_add_co_u32 v13, vcc_lo, v20, v13
	v_add_co_ci_u32_e32 v14, vcc_lo, v21, v14, vcc_lo
; %bb.83:
	s_and_not1_saveexec_b32 s0, s0
; %bb.84:
	v_add_co_u32 v13, vcc_lo, v15, v34
	v_add_co_ci_u32_e32 v14, vcc_lo, 0, v17, vcc_lo
; %bb.85:
	s_or_b32 exec_lo, exec_lo, s0
	s_delay_alu instid0(VALU_DEP_1) | instskip(SKIP_1) | instid1(VALU_DEP_1)
	v_lshlrev_b64 v[13:14], 2, v[13:14]
	s_mov_b32 s0, exec_lo
	v_add_co_u32 v13, vcc_lo, s10, v13
	s_delay_alu instid0(VALU_DEP_2)
	v_add_co_ci_u32_e32 v14, vcc_lo, s11, v14, vcc_lo
	global_store_b32 v[13:14], v12, off
                                        ; implicit-def: $vgpr13_vgpr14
	v_cmpx_ge_u32_e64 v33, v16
	s_xor_b32 s0, exec_lo, s0
; %bb.86:
	v_xor_b32_e32 v13, 0xfffffdff, v0
	s_delay_alu instid0(VALU_DEP_1) | instskip(SKIP_1) | instid1(VALU_DEP_2)
	v_ashrrev_i32_e32 v14, 31, v13
	v_add_co_u32 v13, vcc_lo, v20, v13
	v_add_co_ci_u32_e32 v14, vcc_lo, v21, v14, vcc_lo
; %bb.87:
	s_and_not1_saveexec_b32 s0, s0
; %bb.88:
	v_add_co_u32 v13, vcc_lo, v15, v33
	v_add_co_ci_u32_e32 v14, vcc_lo, 0, v17, vcc_lo
; %bb.89:
	s_or_b32 exec_lo, exec_lo, s0
	s_delay_alu instid0(VALU_DEP_1) | instskip(SKIP_1) | instid1(VALU_DEP_1)
	v_lshlrev_b64 v[13:14], 2, v[13:14]
	s_mov_b32 s0, exec_lo
	v_add_co_u32 v13, vcc_lo, s10, v13
	s_delay_alu instid0(VALU_DEP_2)
	v_add_co_ci_u32_e32 v14, vcc_lo, s11, v14, vcc_lo
	s_waitcnt lgkmcnt(5)
	global_store_b32 v[13:14], v9, off
                                        ; implicit-def: $vgpr13_vgpr14
	v_cmpx_ge_u32_e64 v32, v16
	s_xor_b32 s0, exec_lo, s0
; %bb.90:
	v_xor_b32_e32 v13, 0xfffffcff, v0
	s_delay_alu instid0(VALU_DEP_1) | instskip(SKIP_1) | instid1(VALU_DEP_2)
	v_ashrrev_i32_e32 v14, 31, v13
	v_add_co_u32 v13, vcc_lo, v20, v13
	v_add_co_ci_u32_e32 v14, vcc_lo, v21, v14, vcc_lo
; %bb.91:
	s_and_not1_saveexec_b32 s0, s0
; %bb.92:
	v_add_co_u32 v13, vcc_lo, v15, v32
	v_add_co_ci_u32_e32 v14, vcc_lo, 0, v17, vcc_lo
; %bb.93:
	s_or_b32 exec_lo, exec_lo, s0
	s_delay_alu instid0(VALU_DEP_1) | instskip(SKIP_1) | instid1(VALU_DEP_1)
	v_lshlrev_b64 v[13:14], 2, v[13:14]
	s_mov_b32 s0, exec_lo
	v_add_co_u32 v13, vcc_lo, s10, v13
	s_delay_alu instid0(VALU_DEP_2)
	v_add_co_ci_u32_e32 v14, vcc_lo, s11, v14, vcc_lo
	global_store_b32 v[13:14], v10, off
                                        ; implicit-def: $vgpr13_vgpr14
	v_cmpx_ge_u32_e64 v29, v16
	s_xor_b32 s0, exec_lo, s0
; %bb.94:
	v_xor_b32_e32 v13, 0xfffffbff, v0
	;; [unrolled: 47-line block ×6, first 2 shown]
	s_delay_alu instid0(VALU_DEP_1) | instskip(SKIP_1) | instid1(VALU_DEP_2)
	v_ashrrev_i32_e32 v14, 31, v13
	v_add_co_u32 v13, vcc_lo, v20, v13
	v_add_co_ci_u32_e32 v14, vcc_lo, v21, v14, vcc_lo
; %bb.127:
	s_and_not1_saveexec_b32 s0, s0
; %bb.128:
	v_add_co_u32 v13, vcc_lo, v15, v19
	v_add_co_ci_u32_e32 v14, vcc_lo, 0, v17, vcc_lo
; %bb.129:
	s_or_b32 exec_lo, exec_lo, s0
	s_mov_b32 s0, -1
	s_branch .LBB694_210
.LBB694_130:
                                        ; implicit-def: $vgpr13_vgpr14
	s_cbranch_execz .LBB694_210
; %bb.131:
	s_mov_b32 s1, exec_lo
	v_cmpx_gt_u32_e64 s22, v0
	s_cbranch_execz .LBB694_167
; %bb.132:
	s_mov_b32 s2, exec_lo
                                        ; implicit-def: $vgpr13_vgpr14
	v_cmpx_ge_u32_e64 v0, v16
	s_xor_b32 s2, exec_lo, s2
; %bb.133:
	v_not_b32_e32 v13, v0
	s_delay_alu instid0(VALU_DEP_1) | instskip(SKIP_1) | instid1(VALU_DEP_2)
	v_ashrrev_i32_e32 v14, 31, v13
	v_add_co_u32 v13, vcc_lo, v20, v13
	v_add_co_ci_u32_e32 v14, vcc_lo, v21, v14, vcc_lo
; %bb.134:
	s_and_not1_saveexec_b32 s2, s2
; %bb.135:
	v_add_co_u32 v13, vcc_lo, v15, v0
	v_add_co_ci_u32_e32 v14, vcc_lo, 0, v17, vcc_lo
; %bb.136:
	s_or_b32 exec_lo, exec_lo, s2
	s_delay_alu instid0(VALU_DEP_1) | instskip(NEXT) | instid1(VALU_DEP_1)
	v_lshlrev_b64 v[13:14], 2, v[13:14]
	v_add_co_u32 v13, vcc_lo, s10, v13
	s_delay_alu instid0(VALU_DEP_2) | instskip(SKIP_3) | instid1(SALU_CYCLE_1)
	v_add_co_ci_u32_e32 v14, vcc_lo, s11, v14, vcc_lo
	s_waitcnt lgkmcnt(6)
	global_store_b32 v[13:14], v11, off
	s_or_b32 exec_lo, exec_lo, s1
	s_mov_b32 s1, exec_lo
	v_cmpx_gt_u32_e64 s22, v34
	s_cbranch_execnz .LBB694_168
.LBB694_137:
	s_or_b32 exec_lo, exec_lo, s1
	s_delay_alu instid0(SALU_CYCLE_1)
	s_mov_b32 s1, exec_lo
	v_cmpx_gt_u32_e64 s22, v33
	s_cbranch_execz .LBB694_173
.LBB694_138:
	s_mov_b32 s2, exec_lo
                                        ; implicit-def: $vgpr11_vgpr12
	v_cmpx_ge_u32_e64 v33, v16
	s_xor_b32 s2, exec_lo, s2
	s_cbranch_execz .LBB694_140
; %bb.139:
	s_waitcnt lgkmcnt(6)
	v_xor_b32_e32 v11, 0xfffffdff, v0
                                        ; implicit-def: $vgpr33
	s_delay_alu instid0(VALU_DEP_1) | instskip(SKIP_1) | instid1(VALU_DEP_2)
	v_ashrrev_i32_e32 v12, 31, v11
	v_add_co_u32 v11, vcc_lo, v20, v11
	v_add_co_ci_u32_e32 v12, vcc_lo, v21, v12, vcc_lo
.LBB694_140:
	s_and_not1_saveexec_b32 s2, s2
	s_cbranch_execz .LBB694_142
; %bb.141:
	s_waitcnt lgkmcnt(6)
	v_add_co_u32 v11, vcc_lo, v15, v33
	v_add_co_ci_u32_e32 v12, vcc_lo, 0, v17, vcc_lo
.LBB694_142:
	s_or_b32 exec_lo, exec_lo, s2
	s_waitcnt lgkmcnt(6)
	s_delay_alu instid0(VALU_DEP_1) | instskip(NEXT) | instid1(VALU_DEP_1)
	v_lshlrev_b64 v[11:12], 2, v[11:12]
	v_add_co_u32 v11, vcc_lo, s10, v11
	s_delay_alu instid0(VALU_DEP_2) | instskip(SKIP_3) | instid1(SALU_CYCLE_1)
	v_add_co_ci_u32_e32 v12, vcc_lo, s11, v12, vcc_lo
	s_waitcnt lgkmcnt(5)
	global_store_b32 v[11:12], v9, off
	s_or_b32 exec_lo, exec_lo, s1
	s_mov_b32 s1, exec_lo
	v_cmpx_gt_u32_e64 s22, v32
	s_cbranch_execnz .LBB694_174
.LBB694_143:
	s_or_b32 exec_lo, exec_lo, s1
	s_delay_alu instid0(SALU_CYCLE_1)
	s_mov_b32 s1, exec_lo
	v_cmpx_gt_u32_e64 s22, v29
	s_cbranch_execz .LBB694_179
.LBB694_144:
	s_mov_b32 s2, exec_lo
                                        ; implicit-def: $vgpr9_vgpr10
	v_cmpx_ge_u32_e64 v29, v16
	s_xor_b32 s2, exec_lo, s2
	s_cbranch_execz .LBB694_146
; %bb.145:
	s_waitcnt lgkmcnt(5)
	v_xor_b32_e32 v9, 0xfffffbff, v0
                                        ; implicit-def: $vgpr29
	s_delay_alu instid0(VALU_DEP_1) | instskip(SKIP_1) | instid1(VALU_DEP_2)
	v_ashrrev_i32_e32 v10, 31, v9
	v_add_co_u32 v9, vcc_lo, v20, v9
	v_add_co_ci_u32_e32 v10, vcc_lo, v21, v10, vcc_lo
.LBB694_146:
	s_and_not1_saveexec_b32 s2, s2
	s_cbranch_execz .LBB694_148
; %bb.147:
	s_waitcnt lgkmcnt(5)
	v_add_co_u32 v9, vcc_lo, v15, v29
	v_add_co_ci_u32_e32 v10, vcc_lo, 0, v17, vcc_lo
.LBB694_148:
	s_or_b32 exec_lo, exec_lo, s2
	s_waitcnt lgkmcnt(5)
	s_delay_alu instid0(VALU_DEP_1) | instskip(NEXT) | instid1(VALU_DEP_1)
	v_lshlrev_b64 v[9:10], 2, v[9:10]
	v_add_co_u32 v9, vcc_lo, s10, v9
	s_delay_alu instid0(VALU_DEP_2) | instskip(SKIP_3) | instid1(SALU_CYCLE_1)
	v_add_co_ci_u32_e32 v10, vcc_lo, s11, v10, vcc_lo
	s_waitcnt lgkmcnt(4)
	global_store_b32 v[9:10], v7, off
	s_or_b32 exec_lo, exec_lo, s1
	s_mov_b32 s1, exec_lo
	v_cmpx_gt_u32_e64 s22, v28
	s_cbranch_execnz .LBB694_180
.LBB694_149:
	s_or_b32 exec_lo, exec_lo, s1
	s_delay_alu instid0(SALU_CYCLE_1)
	s_mov_b32 s1, exec_lo
	v_cmpx_gt_u32_e64 s22, v27
	s_cbranch_execz .LBB694_185
.LBB694_150:
	s_mov_b32 s2, exec_lo
                                        ; implicit-def: $vgpr7_vgpr8
	v_cmpx_ge_u32_e64 v27, v16
	s_xor_b32 s2, exec_lo, s2
	s_cbranch_execz .LBB694_152
; %bb.151:
	s_waitcnt lgkmcnt(4)
	v_xor_b32_e32 v7, 0xfffff9ff, v0
                                        ; implicit-def: $vgpr27
	s_delay_alu instid0(VALU_DEP_1) | instskip(SKIP_1) | instid1(VALU_DEP_2)
	v_ashrrev_i32_e32 v8, 31, v7
	v_add_co_u32 v7, vcc_lo, v20, v7
	v_add_co_ci_u32_e32 v8, vcc_lo, v21, v8, vcc_lo
.LBB694_152:
	s_and_not1_saveexec_b32 s2, s2
	s_cbranch_execz .LBB694_154
; %bb.153:
	s_waitcnt lgkmcnt(4)
	v_add_co_u32 v7, vcc_lo, v15, v27
	v_add_co_ci_u32_e32 v8, vcc_lo, 0, v17, vcc_lo
.LBB694_154:
	s_or_b32 exec_lo, exec_lo, s2
	s_waitcnt lgkmcnt(4)
	s_delay_alu instid0(VALU_DEP_1) | instskip(NEXT) | instid1(VALU_DEP_1)
	v_lshlrev_b64 v[7:8], 2, v[7:8]
	v_add_co_u32 v7, vcc_lo, s10, v7
	s_delay_alu instid0(VALU_DEP_2) | instskip(SKIP_3) | instid1(SALU_CYCLE_1)
	v_add_co_ci_u32_e32 v8, vcc_lo, s11, v8, vcc_lo
	s_waitcnt lgkmcnt(3)
	global_store_b32 v[7:8], v5, off
	s_or_b32 exec_lo, exec_lo, s1
	s_mov_b32 s1, exec_lo
	v_cmpx_gt_u32_e64 s22, v26
	s_cbranch_execnz .LBB694_186
.LBB694_155:
	s_or_b32 exec_lo, exec_lo, s1
	s_delay_alu instid0(SALU_CYCLE_1)
	s_mov_b32 s1, exec_lo
	v_cmpx_gt_u32_e64 s22, v25
	s_cbranch_execz .LBB694_191
.LBB694_156:
	s_mov_b32 s2, exec_lo
                                        ; implicit-def: $vgpr5_vgpr6
	v_cmpx_ge_u32_e64 v25, v16
	s_xor_b32 s2, exec_lo, s2
	s_cbranch_execz .LBB694_158
; %bb.157:
	s_waitcnt lgkmcnt(3)
	v_xor_b32_e32 v5, 0xfffff7ff, v0
                                        ; implicit-def: $vgpr25
	s_delay_alu instid0(VALU_DEP_1) | instskip(SKIP_1) | instid1(VALU_DEP_2)
	v_ashrrev_i32_e32 v6, 31, v5
	v_add_co_u32 v5, vcc_lo, v20, v5
	v_add_co_ci_u32_e32 v6, vcc_lo, v21, v6, vcc_lo
.LBB694_158:
	s_and_not1_saveexec_b32 s2, s2
	s_cbranch_execz .LBB694_160
; %bb.159:
	s_waitcnt lgkmcnt(3)
	v_add_co_u32 v5, vcc_lo, v15, v25
	v_add_co_ci_u32_e32 v6, vcc_lo, 0, v17, vcc_lo
.LBB694_160:
	s_or_b32 exec_lo, exec_lo, s2
	s_waitcnt lgkmcnt(3)
	s_delay_alu instid0(VALU_DEP_1) | instskip(NEXT) | instid1(VALU_DEP_1)
	v_lshlrev_b64 v[5:6], 2, v[5:6]
	v_add_co_u32 v5, vcc_lo, s10, v5
	s_delay_alu instid0(VALU_DEP_2) | instskip(SKIP_3) | instid1(SALU_CYCLE_1)
	v_add_co_ci_u32_e32 v6, vcc_lo, s11, v6, vcc_lo
	s_waitcnt lgkmcnt(2)
	global_store_b32 v[5:6], v3, off
	s_or_b32 exec_lo, exec_lo, s1
	s_mov_b32 s1, exec_lo
	v_cmpx_gt_u32_e64 s22, v24
	s_cbranch_execnz .LBB694_192
.LBB694_161:
	s_or_b32 exec_lo, exec_lo, s1
	s_delay_alu instid0(SALU_CYCLE_1)
	s_mov_b32 s1, exec_lo
	v_cmpx_gt_u32_e64 s22, v23
	s_cbranch_execz .LBB694_197
.LBB694_162:
	s_mov_b32 s2, exec_lo
                                        ; implicit-def: $vgpr3_vgpr4
	v_cmpx_ge_u32_e64 v23, v16
	s_xor_b32 s2, exec_lo, s2
	s_cbranch_execz .LBB694_164
; %bb.163:
	s_waitcnt lgkmcnt(2)
	v_xor_b32_e32 v3, 0xfffff5ff, v0
                                        ; implicit-def: $vgpr23
	s_delay_alu instid0(VALU_DEP_1) | instskip(SKIP_1) | instid1(VALU_DEP_2)
	v_ashrrev_i32_e32 v4, 31, v3
	v_add_co_u32 v3, vcc_lo, v20, v3
	v_add_co_ci_u32_e32 v4, vcc_lo, v21, v4, vcc_lo
.LBB694_164:
	s_and_not1_saveexec_b32 s2, s2
	s_cbranch_execz .LBB694_166
; %bb.165:
	s_waitcnt lgkmcnt(2)
	v_add_co_u32 v3, vcc_lo, v15, v23
	v_add_co_ci_u32_e32 v4, vcc_lo, 0, v17, vcc_lo
.LBB694_166:
	s_or_b32 exec_lo, exec_lo, s2
	s_waitcnt lgkmcnt(2)
	s_delay_alu instid0(VALU_DEP_1) | instskip(NEXT) | instid1(VALU_DEP_1)
	v_lshlrev_b64 v[3:4], 2, v[3:4]
	v_add_co_u32 v3, vcc_lo, s10, v3
	s_delay_alu instid0(VALU_DEP_2) | instskip(SKIP_3) | instid1(SALU_CYCLE_1)
	v_add_co_ci_u32_e32 v4, vcc_lo, s11, v4, vcc_lo
	s_waitcnt lgkmcnt(1)
	global_store_b32 v[3:4], v1, off
	s_or_b32 exec_lo, exec_lo, s1
	s_mov_b32 s1, exec_lo
	v_cmpx_gt_u32_e64 s22, v22
	s_cbranch_execz .LBB694_203
	s_branch .LBB694_198
.LBB694_167:
	s_or_b32 exec_lo, exec_lo, s1
	s_delay_alu instid0(SALU_CYCLE_1)
	s_mov_b32 s1, exec_lo
	v_cmpx_gt_u32_e64 s22, v34
	s_cbranch_execz .LBB694_137
.LBB694_168:
	s_mov_b32 s2, exec_lo
                                        ; implicit-def: $vgpr13_vgpr14
	v_cmpx_ge_u32_e64 v34, v16
	s_xor_b32 s2, exec_lo, s2
	s_cbranch_execz .LBB694_170
; %bb.169:
	s_waitcnt lgkmcnt(6)
	v_xor_b32_e32 v11, 0xfffffeff, v0
                                        ; implicit-def: $vgpr34
	s_delay_alu instid0(VALU_DEP_1) | instskip(SKIP_1) | instid1(VALU_DEP_2)
	v_ashrrev_i32_e32 v14, 31, v11
	v_add_co_u32 v13, vcc_lo, v20, v11
	v_add_co_ci_u32_e32 v14, vcc_lo, v21, v14, vcc_lo
.LBB694_170:
	s_and_not1_saveexec_b32 s2, s2
; %bb.171:
	v_add_co_u32 v13, vcc_lo, v15, v34
	v_add_co_ci_u32_e32 v14, vcc_lo, 0, v17, vcc_lo
; %bb.172:
	s_or_b32 exec_lo, exec_lo, s2
	s_delay_alu instid0(VALU_DEP_1) | instskip(NEXT) | instid1(VALU_DEP_1)
	v_lshlrev_b64 v[13:14], 2, v[13:14]
	v_add_co_u32 v13, vcc_lo, s10, v13
	s_delay_alu instid0(VALU_DEP_2) | instskip(SKIP_3) | instid1(SALU_CYCLE_1)
	v_add_co_ci_u32_e32 v14, vcc_lo, s11, v14, vcc_lo
	s_waitcnt lgkmcnt(6)
	global_store_b32 v[13:14], v12, off
	s_or_b32 exec_lo, exec_lo, s1
	s_mov_b32 s1, exec_lo
	v_cmpx_gt_u32_e64 s22, v33
	s_cbranch_execnz .LBB694_138
.LBB694_173:
	s_or_b32 exec_lo, exec_lo, s1
	s_delay_alu instid0(SALU_CYCLE_1)
	s_mov_b32 s1, exec_lo
	v_cmpx_gt_u32_e64 s22, v32
	s_cbranch_execz .LBB694_143
.LBB694_174:
	s_mov_b32 s2, exec_lo
                                        ; implicit-def: $vgpr11_vgpr12
	v_cmpx_ge_u32_e64 v32, v16
	s_xor_b32 s2, exec_lo, s2
	s_cbranch_execz .LBB694_176
; %bb.175:
	s_waitcnt lgkmcnt(5)
	v_xor_b32_e32 v9, 0xfffffcff, v0
                                        ; implicit-def: $vgpr32
	s_delay_alu instid0(VALU_DEP_1) | instskip(SKIP_1) | instid1(VALU_DEP_2)
	v_ashrrev_i32_e32 v12, 31, v9
	v_add_co_u32 v11, vcc_lo, v20, v9
	v_add_co_ci_u32_e32 v12, vcc_lo, v21, v12, vcc_lo
.LBB694_176:
	s_and_not1_saveexec_b32 s2, s2
	s_cbranch_execz .LBB694_178
; %bb.177:
	s_waitcnt lgkmcnt(6)
	v_add_co_u32 v11, vcc_lo, v15, v32
	v_add_co_ci_u32_e32 v12, vcc_lo, 0, v17, vcc_lo
.LBB694_178:
	s_or_b32 exec_lo, exec_lo, s2
	s_waitcnt lgkmcnt(6)
	s_delay_alu instid0(VALU_DEP_1) | instskip(NEXT) | instid1(VALU_DEP_1)
	v_lshlrev_b64 v[11:12], 2, v[11:12]
	v_add_co_u32 v11, vcc_lo, s10, v11
	s_delay_alu instid0(VALU_DEP_2) | instskip(SKIP_3) | instid1(SALU_CYCLE_1)
	v_add_co_ci_u32_e32 v12, vcc_lo, s11, v12, vcc_lo
	s_waitcnt lgkmcnt(5)
	global_store_b32 v[11:12], v10, off
	s_or_b32 exec_lo, exec_lo, s1
	s_mov_b32 s1, exec_lo
	v_cmpx_gt_u32_e64 s22, v29
	s_cbranch_execnz .LBB694_144
.LBB694_179:
	s_or_b32 exec_lo, exec_lo, s1
	s_delay_alu instid0(SALU_CYCLE_1)
	s_mov_b32 s1, exec_lo
	v_cmpx_gt_u32_e64 s22, v28
	s_cbranch_execz .LBB694_149
.LBB694_180:
	s_mov_b32 s2, exec_lo
                                        ; implicit-def: $vgpr9_vgpr10
	v_cmpx_ge_u32_e64 v28, v16
	s_xor_b32 s2, exec_lo, s2
	s_cbranch_execz .LBB694_182
; %bb.181:
	s_waitcnt lgkmcnt(4)
	v_xor_b32_e32 v7, 0xfffffaff, v0
                                        ; implicit-def: $vgpr28
	s_delay_alu instid0(VALU_DEP_1) | instskip(SKIP_1) | instid1(VALU_DEP_2)
	v_ashrrev_i32_e32 v10, 31, v7
	v_add_co_u32 v9, vcc_lo, v20, v7
	v_add_co_ci_u32_e32 v10, vcc_lo, v21, v10, vcc_lo
.LBB694_182:
	s_and_not1_saveexec_b32 s2, s2
	s_cbranch_execz .LBB694_184
; %bb.183:
	s_waitcnt lgkmcnt(5)
	v_add_co_u32 v9, vcc_lo, v15, v28
	v_add_co_ci_u32_e32 v10, vcc_lo, 0, v17, vcc_lo
.LBB694_184:
	s_or_b32 exec_lo, exec_lo, s2
	s_waitcnt lgkmcnt(5)
	s_delay_alu instid0(VALU_DEP_1) | instskip(NEXT) | instid1(VALU_DEP_1)
	v_lshlrev_b64 v[9:10], 2, v[9:10]
	v_add_co_u32 v9, vcc_lo, s10, v9
	s_delay_alu instid0(VALU_DEP_2) | instskip(SKIP_3) | instid1(SALU_CYCLE_1)
	v_add_co_ci_u32_e32 v10, vcc_lo, s11, v10, vcc_lo
	s_waitcnt lgkmcnt(4)
	global_store_b32 v[9:10], v8, off
	s_or_b32 exec_lo, exec_lo, s1
	s_mov_b32 s1, exec_lo
	v_cmpx_gt_u32_e64 s22, v27
	s_cbranch_execnz .LBB694_150
.LBB694_185:
	s_or_b32 exec_lo, exec_lo, s1
	s_delay_alu instid0(SALU_CYCLE_1)
	s_mov_b32 s1, exec_lo
	v_cmpx_gt_u32_e64 s22, v26
	s_cbranch_execz .LBB694_155
.LBB694_186:
	s_mov_b32 s2, exec_lo
                                        ; implicit-def: $vgpr7_vgpr8
	v_cmpx_ge_u32_e64 v26, v16
	s_xor_b32 s2, exec_lo, s2
	s_cbranch_execz .LBB694_188
; %bb.187:
	s_waitcnt lgkmcnt(3)
	v_xor_b32_e32 v5, 0xfffff8ff, v0
                                        ; implicit-def: $vgpr26
	s_delay_alu instid0(VALU_DEP_1) | instskip(SKIP_1) | instid1(VALU_DEP_2)
	v_ashrrev_i32_e32 v8, 31, v5
	v_add_co_u32 v7, vcc_lo, v20, v5
	v_add_co_ci_u32_e32 v8, vcc_lo, v21, v8, vcc_lo
.LBB694_188:
	s_and_not1_saveexec_b32 s2, s2
	s_cbranch_execz .LBB694_190
; %bb.189:
	s_waitcnt lgkmcnt(4)
	v_add_co_u32 v7, vcc_lo, v15, v26
	v_add_co_ci_u32_e32 v8, vcc_lo, 0, v17, vcc_lo
.LBB694_190:
	s_or_b32 exec_lo, exec_lo, s2
	s_waitcnt lgkmcnt(4)
	s_delay_alu instid0(VALU_DEP_1) | instskip(NEXT) | instid1(VALU_DEP_1)
	v_lshlrev_b64 v[7:8], 2, v[7:8]
	v_add_co_u32 v7, vcc_lo, s10, v7
	s_delay_alu instid0(VALU_DEP_2) | instskip(SKIP_3) | instid1(SALU_CYCLE_1)
	v_add_co_ci_u32_e32 v8, vcc_lo, s11, v8, vcc_lo
	s_waitcnt lgkmcnt(3)
	global_store_b32 v[7:8], v6, off
	s_or_b32 exec_lo, exec_lo, s1
	s_mov_b32 s1, exec_lo
	v_cmpx_gt_u32_e64 s22, v25
	s_cbranch_execnz .LBB694_156
.LBB694_191:
	s_or_b32 exec_lo, exec_lo, s1
	s_delay_alu instid0(SALU_CYCLE_1)
	s_mov_b32 s1, exec_lo
	v_cmpx_gt_u32_e64 s22, v24
	s_cbranch_execz .LBB694_161
.LBB694_192:
	s_mov_b32 s2, exec_lo
                                        ; implicit-def: $vgpr5_vgpr6
	v_cmpx_ge_u32_e64 v24, v16
	s_xor_b32 s2, exec_lo, s2
	s_cbranch_execz .LBB694_194
; %bb.193:
	s_waitcnt lgkmcnt(2)
	v_xor_b32_e32 v3, 0xfffff6ff, v0
                                        ; implicit-def: $vgpr24
	s_delay_alu instid0(VALU_DEP_1) | instskip(SKIP_1) | instid1(VALU_DEP_2)
	v_ashrrev_i32_e32 v6, 31, v3
	v_add_co_u32 v5, vcc_lo, v20, v3
	v_add_co_ci_u32_e32 v6, vcc_lo, v21, v6, vcc_lo
.LBB694_194:
	s_and_not1_saveexec_b32 s2, s2
	s_cbranch_execz .LBB694_196
; %bb.195:
	s_waitcnt lgkmcnt(3)
	v_add_co_u32 v5, vcc_lo, v15, v24
	v_add_co_ci_u32_e32 v6, vcc_lo, 0, v17, vcc_lo
.LBB694_196:
	s_or_b32 exec_lo, exec_lo, s2
	s_waitcnt lgkmcnt(3)
	s_delay_alu instid0(VALU_DEP_1) | instskip(NEXT) | instid1(VALU_DEP_1)
	v_lshlrev_b64 v[5:6], 2, v[5:6]
	v_add_co_u32 v5, vcc_lo, s10, v5
	s_delay_alu instid0(VALU_DEP_2) | instskip(SKIP_3) | instid1(SALU_CYCLE_1)
	v_add_co_ci_u32_e32 v6, vcc_lo, s11, v6, vcc_lo
	s_waitcnt lgkmcnt(2)
	global_store_b32 v[5:6], v4, off
	s_or_b32 exec_lo, exec_lo, s1
	s_mov_b32 s1, exec_lo
	v_cmpx_gt_u32_e64 s22, v23
	s_cbranch_execnz .LBB694_162
.LBB694_197:
	s_or_b32 exec_lo, exec_lo, s1
	s_delay_alu instid0(SALU_CYCLE_1)
	s_mov_b32 s1, exec_lo
	v_cmpx_gt_u32_e64 s22, v22
	s_cbranch_execz .LBB694_203
.LBB694_198:
	s_mov_b32 s2, exec_lo
                                        ; implicit-def: $vgpr3_vgpr4
	v_cmpx_ge_u32_e64 v22, v16
	s_xor_b32 s2, exec_lo, s2
	s_cbranch_execz .LBB694_200
; %bb.199:
	s_waitcnt lgkmcnt(1)
	v_xor_b32_e32 v1, 0xfffff4ff, v0
                                        ; implicit-def: $vgpr22
	s_delay_alu instid0(VALU_DEP_1) | instskip(SKIP_1) | instid1(VALU_DEP_2)
	v_ashrrev_i32_e32 v4, 31, v1
	v_add_co_u32 v3, vcc_lo, v20, v1
	v_add_co_ci_u32_e32 v4, vcc_lo, v21, v4, vcc_lo
.LBB694_200:
	s_and_not1_saveexec_b32 s2, s2
	s_cbranch_execz .LBB694_202
; %bb.201:
	s_waitcnt lgkmcnt(2)
	v_add_co_u32 v3, vcc_lo, v15, v22
	v_add_co_ci_u32_e32 v4, vcc_lo, 0, v17, vcc_lo
.LBB694_202:
	s_or_b32 exec_lo, exec_lo, s2
	s_waitcnt lgkmcnt(2)
	s_delay_alu instid0(VALU_DEP_1) | instskip(NEXT) | instid1(VALU_DEP_1)
	v_lshlrev_b64 v[3:4], 2, v[3:4]
	v_add_co_u32 v3, vcc_lo, s10, v3
	s_delay_alu instid0(VALU_DEP_2)
	v_add_co_ci_u32_e32 v4, vcc_lo, s11, v4, vcc_lo
	s_waitcnt lgkmcnt(1)
	global_store_b32 v[3:4], v2, off
.LBB694_203:
	s_or_b32 exec_lo, exec_lo, s1
	s_delay_alu instid0(SALU_CYCLE_1)
	s_mov_b32 s1, exec_lo
                                        ; implicit-def: $vgpr13_vgpr14
	v_cmpx_gt_u32_e64 s22, v19
	s_cbranch_execz .LBB694_209
; %bb.204:
	s_mov_b32 s2, exec_lo
                                        ; implicit-def: $vgpr13_vgpr14
	v_cmpx_ge_u32_e64 v19, v16
	s_xor_b32 s2, exec_lo, s2
	s_cbranch_execz .LBB694_206
; %bb.205:
	s_waitcnt lgkmcnt(1)
	v_xor_b32_e32 v1, 0xfffff3ff, v0
                                        ; implicit-def: $vgpr19
	s_delay_alu instid0(VALU_DEP_1) | instskip(SKIP_1) | instid1(VALU_DEP_2)
	v_ashrrev_i32_e32 v2, 31, v1
	v_add_co_u32 v13, vcc_lo, v20, v1
	v_add_co_ci_u32_e32 v14, vcc_lo, v21, v2, vcc_lo
.LBB694_206:
	s_and_not1_saveexec_b32 s2, s2
; %bb.207:
	v_add_co_u32 v13, vcc_lo, v15, v19
	v_add_co_ci_u32_e32 v14, vcc_lo, 0, v17, vcc_lo
; %bb.208:
	s_or_b32 exec_lo, exec_lo, s2
	s_delay_alu instid0(SALU_CYCLE_1)
	s_or_b32 s0, s0, exec_lo
.LBB694_209:
	s_or_b32 exec_lo, exec_lo, s1
.LBB694_210:
	s_and_saveexec_b32 s1, s0
	s_cbranch_execz .LBB694_212
; %bb.211:
	s_waitcnt lgkmcnt(1)
	v_lshlrev_b64 v[1:2], 2, v[13:14]
	s_delay_alu instid0(VALU_DEP_1) | instskip(NEXT) | instid1(VALU_DEP_2)
	v_add_co_u32 v1, vcc_lo, s10, v1
	v_add_co_ci_u32_e32 v2, vcc_lo, s11, v2, vcc_lo
	s_waitcnt lgkmcnt(0)
	global_store_b32 v[1:2], v18, off
.LBB694_212:
	s_or_b32 exec_lo, exec_lo, s1
	v_cmp_eq_u32_e32 vcc_lo, 0, v0
	s_and_b32 s0, vcc_lo, s14
	s_delay_alu instid0(SALU_CYCLE_1)
	s_and_saveexec_b32 s1, s0
	s_cbranch_execz .LBB694_214
; %bb.213:
	v_add_co_u32 v0, vcc_lo, v15, v16
	s_waitcnt lgkmcnt(1)
	v_mov_b32_e32 v2, 0
	v_add_co_ci_u32_e32 v1, vcc_lo, 0, v17, vcc_lo
	global_store_b64 v2, v[0:1], s[8:9]
.LBB694_214:
	s_nop 0
	s_sendmsg sendmsg(MSG_DEALLOC_VGPRS)
	s_endpgm
	.section	.rodata,"a",@progbits
	.p2align	6, 0x0
	.amdhsa_kernel _ZN7rocprim17ROCPRIM_400000_NS6detail17trampoline_kernelINS0_13select_configILj256ELj13ELNS0_17block_load_methodE3ELS4_3ELS4_3ELNS0_20block_scan_algorithmE0ELj4294967295EEENS1_25partition_config_selectorILNS1_17partition_subalgoE3EjNS0_10empty_typeEbEEZZNS1_14partition_implILS8_3ELb0ES6_jNS0_17counting_iteratorIjlEEPS9_SE_NS0_5tupleIJPjSE_EEENSF_IJSE_SE_EEES9_SG_JZNS1_25segmented_radix_sort_implINS0_14default_configELb1EPKlPlSM_SN_N2at6native12_GLOBAL__N_18offset_tEEE10hipError_tPvRmT1_PNSt15iterator_traitsISV_E10value_typeET2_T3_PNSW_IS11_E10value_typeET4_jRbjT5_S17_jjP12ihipStream_tbEUljE_EEESS_ST_SU_S11_S15_S17_T6_T7_T9_mT8_S19_bDpT10_ENKUlT_T0_E_clISt17integral_constantIbLb1EES1L_IbLb0EEEEDaS1H_S1I_EUlS1H_E_NS1_11comp_targetILNS1_3genE9ELNS1_11target_archE1100ELNS1_3gpuE3ELNS1_3repE0EEENS1_30default_config_static_selectorELNS0_4arch9wavefront6targetE0EEEvSV_
		.amdhsa_group_segment_fixed_size 13324
		.amdhsa_private_segment_fixed_size 0
		.amdhsa_kernarg_size 144
		.amdhsa_user_sgpr_count 15
		.amdhsa_user_sgpr_dispatch_ptr 0
		.amdhsa_user_sgpr_queue_ptr 0
		.amdhsa_user_sgpr_kernarg_segment_ptr 1
		.amdhsa_user_sgpr_dispatch_id 0
		.amdhsa_user_sgpr_private_segment_size 0
		.amdhsa_wavefront_size32 1
		.amdhsa_uses_dynamic_stack 0
		.amdhsa_enable_private_segment 0
		.amdhsa_system_sgpr_workgroup_id_x 1
		.amdhsa_system_sgpr_workgroup_id_y 0
		.amdhsa_system_sgpr_workgroup_id_z 0
		.amdhsa_system_sgpr_workgroup_info 0
		.amdhsa_system_vgpr_workitem_id 0
		.amdhsa_next_free_vgpr 57
		.amdhsa_next_free_sgpr 28
		.amdhsa_reserve_vcc 1
		.amdhsa_float_round_mode_32 0
		.amdhsa_float_round_mode_16_64 0
		.amdhsa_float_denorm_mode_32 3
		.amdhsa_float_denorm_mode_16_64 3
		.amdhsa_dx10_clamp 1
		.amdhsa_ieee_mode 1
		.amdhsa_fp16_overflow 0
		.amdhsa_workgroup_processor_mode 1
		.amdhsa_memory_ordered 1
		.amdhsa_forward_progress 0
		.amdhsa_shared_vgpr_count 0
		.amdhsa_exception_fp_ieee_invalid_op 0
		.amdhsa_exception_fp_denorm_src 0
		.amdhsa_exception_fp_ieee_div_zero 0
		.amdhsa_exception_fp_ieee_overflow 0
		.amdhsa_exception_fp_ieee_underflow 0
		.amdhsa_exception_fp_ieee_inexact 0
		.amdhsa_exception_int_div_zero 0
	.end_amdhsa_kernel
	.section	.text._ZN7rocprim17ROCPRIM_400000_NS6detail17trampoline_kernelINS0_13select_configILj256ELj13ELNS0_17block_load_methodE3ELS4_3ELS4_3ELNS0_20block_scan_algorithmE0ELj4294967295EEENS1_25partition_config_selectorILNS1_17partition_subalgoE3EjNS0_10empty_typeEbEEZZNS1_14partition_implILS8_3ELb0ES6_jNS0_17counting_iteratorIjlEEPS9_SE_NS0_5tupleIJPjSE_EEENSF_IJSE_SE_EEES9_SG_JZNS1_25segmented_radix_sort_implINS0_14default_configELb1EPKlPlSM_SN_N2at6native12_GLOBAL__N_18offset_tEEE10hipError_tPvRmT1_PNSt15iterator_traitsISV_E10value_typeET2_T3_PNSW_IS11_E10value_typeET4_jRbjT5_S17_jjP12ihipStream_tbEUljE_EEESS_ST_SU_S11_S15_S17_T6_T7_T9_mT8_S19_bDpT10_ENKUlT_T0_E_clISt17integral_constantIbLb1EES1L_IbLb0EEEEDaS1H_S1I_EUlS1H_E_NS1_11comp_targetILNS1_3genE9ELNS1_11target_archE1100ELNS1_3gpuE3ELNS1_3repE0EEENS1_30default_config_static_selectorELNS0_4arch9wavefront6targetE0EEEvSV_,"axG",@progbits,_ZN7rocprim17ROCPRIM_400000_NS6detail17trampoline_kernelINS0_13select_configILj256ELj13ELNS0_17block_load_methodE3ELS4_3ELS4_3ELNS0_20block_scan_algorithmE0ELj4294967295EEENS1_25partition_config_selectorILNS1_17partition_subalgoE3EjNS0_10empty_typeEbEEZZNS1_14partition_implILS8_3ELb0ES6_jNS0_17counting_iteratorIjlEEPS9_SE_NS0_5tupleIJPjSE_EEENSF_IJSE_SE_EEES9_SG_JZNS1_25segmented_radix_sort_implINS0_14default_configELb1EPKlPlSM_SN_N2at6native12_GLOBAL__N_18offset_tEEE10hipError_tPvRmT1_PNSt15iterator_traitsISV_E10value_typeET2_T3_PNSW_IS11_E10value_typeET4_jRbjT5_S17_jjP12ihipStream_tbEUljE_EEESS_ST_SU_S11_S15_S17_T6_T7_T9_mT8_S19_bDpT10_ENKUlT_T0_E_clISt17integral_constantIbLb1EES1L_IbLb0EEEEDaS1H_S1I_EUlS1H_E_NS1_11comp_targetILNS1_3genE9ELNS1_11target_archE1100ELNS1_3gpuE3ELNS1_3repE0EEENS1_30default_config_static_selectorELNS0_4arch9wavefront6targetE0EEEvSV_,comdat
.Lfunc_end694:
	.size	_ZN7rocprim17ROCPRIM_400000_NS6detail17trampoline_kernelINS0_13select_configILj256ELj13ELNS0_17block_load_methodE3ELS4_3ELS4_3ELNS0_20block_scan_algorithmE0ELj4294967295EEENS1_25partition_config_selectorILNS1_17partition_subalgoE3EjNS0_10empty_typeEbEEZZNS1_14partition_implILS8_3ELb0ES6_jNS0_17counting_iteratorIjlEEPS9_SE_NS0_5tupleIJPjSE_EEENSF_IJSE_SE_EEES9_SG_JZNS1_25segmented_radix_sort_implINS0_14default_configELb1EPKlPlSM_SN_N2at6native12_GLOBAL__N_18offset_tEEE10hipError_tPvRmT1_PNSt15iterator_traitsISV_E10value_typeET2_T3_PNSW_IS11_E10value_typeET4_jRbjT5_S17_jjP12ihipStream_tbEUljE_EEESS_ST_SU_S11_S15_S17_T6_T7_T9_mT8_S19_bDpT10_ENKUlT_T0_E_clISt17integral_constantIbLb1EES1L_IbLb0EEEEDaS1H_S1I_EUlS1H_E_NS1_11comp_targetILNS1_3genE9ELNS1_11target_archE1100ELNS1_3gpuE3ELNS1_3repE0EEENS1_30default_config_static_selectorELNS0_4arch9wavefront6targetE0EEEvSV_, .Lfunc_end694-_ZN7rocprim17ROCPRIM_400000_NS6detail17trampoline_kernelINS0_13select_configILj256ELj13ELNS0_17block_load_methodE3ELS4_3ELS4_3ELNS0_20block_scan_algorithmE0ELj4294967295EEENS1_25partition_config_selectorILNS1_17partition_subalgoE3EjNS0_10empty_typeEbEEZZNS1_14partition_implILS8_3ELb0ES6_jNS0_17counting_iteratorIjlEEPS9_SE_NS0_5tupleIJPjSE_EEENSF_IJSE_SE_EEES9_SG_JZNS1_25segmented_radix_sort_implINS0_14default_configELb1EPKlPlSM_SN_N2at6native12_GLOBAL__N_18offset_tEEE10hipError_tPvRmT1_PNSt15iterator_traitsISV_E10value_typeET2_T3_PNSW_IS11_E10value_typeET4_jRbjT5_S17_jjP12ihipStream_tbEUljE_EEESS_ST_SU_S11_S15_S17_T6_T7_T9_mT8_S19_bDpT10_ENKUlT_T0_E_clISt17integral_constantIbLb1EES1L_IbLb0EEEEDaS1H_S1I_EUlS1H_E_NS1_11comp_targetILNS1_3genE9ELNS1_11target_archE1100ELNS1_3gpuE3ELNS1_3repE0EEENS1_30default_config_static_selectorELNS0_4arch9wavefront6targetE0EEEvSV_
                                        ; -- End function
	.section	.AMDGPU.csdata,"",@progbits
; Kernel info:
; codeLenInByte = 8964
; NumSgprs: 30
; NumVgprs: 57
; ScratchSize: 0
; MemoryBound: 0
; FloatMode: 240
; IeeeMode: 1
; LDSByteSize: 13324 bytes/workgroup (compile time only)
; SGPRBlocks: 3
; VGPRBlocks: 7
; NumSGPRsForWavesPerEU: 30
; NumVGPRsForWavesPerEU: 57
; Occupancy: 16
; WaveLimiterHint : 0
; COMPUTE_PGM_RSRC2:SCRATCH_EN: 0
; COMPUTE_PGM_RSRC2:USER_SGPR: 15
; COMPUTE_PGM_RSRC2:TRAP_HANDLER: 0
; COMPUTE_PGM_RSRC2:TGID_X_EN: 1
; COMPUTE_PGM_RSRC2:TGID_Y_EN: 0
; COMPUTE_PGM_RSRC2:TGID_Z_EN: 0
; COMPUTE_PGM_RSRC2:TIDIG_COMP_CNT: 0
	.section	.text._ZN7rocprim17ROCPRIM_400000_NS6detail17trampoline_kernelINS0_13select_configILj256ELj13ELNS0_17block_load_methodE3ELS4_3ELS4_3ELNS0_20block_scan_algorithmE0ELj4294967295EEENS1_25partition_config_selectorILNS1_17partition_subalgoE3EjNS0_10empty_typeEbEEZZNS1_14partition_implILS8_3ELb0ES6_jNS0_17counting_iteratorIjlEEPS9_SE_NS0_5tupleIJPjSE_EEENSF_IJSE_SE_EEES9_SG_JZNS1_25segmented_radix_sort_implINS0_14default_configELb1EPKlPlSM_SN_N2at6native12_GLOBAL__N_18offset_tEEE10hipError_tPvRmT1_PNSt15iterator_traitsISV_E10value_typeET2_T3_PNSW_IS11_E10value_typeET4_jRbjT5_S17_jjP12ihipStream_tbEUljE_EEESS_ST_SU_S11_S15_S17_T6_T7_T9_mT8_S19_bDpT10_ENKUlT_T0_E_clISt17integral_constantIbLb1EES1L_IbLb0EEEEDaS1H_S1I_EUlS1H_E_NS1_11comp_targetILNS1_3genE8ELNS1_11target_archE1030ELNS1_3gpuE2ELNS1_3repE0EEENS1_30default_config_static_selectorELNS0_4arch9wavefront6targetE0EEEvSV_,"axG",@progbits,_ZN7rocprim17ROCPRIM_400000_NS6detail17trampoline_kernelINS0_13select_configILj256ELj13ELNS0_17block_load_methodE3ELS4_3ELS4_3ELNS0_20block_scan_algorithmE0ELj4294967295EEENS1_25partition_config_selectorILNS1_17partition_subalgoE3EjNS0_10empty_typeEbEEZZNS1_14partition_implILS8_3ELb0ES6_jNS0_17counting_iteratorIjlEEPS9_SE_NS0_5tupleIJPjSE_EEENSF_IJSE_SE_EEES9_SG_JZNS1_25segmented_radix_sort_implINS0_14default_configELb1EPKlPlSM_SN_N2at6native12_GLOBAL__N_18offset_tEEE10hipError_tPvRmT1_PNSt15iterator_traitsISV_E10value_typeET2_T3_PNSW_IS11_E10value_typeET4_jRbjT5_S17_jjP12ihipStream_tbEUljE_EEESS_ST_SU_S11_S15_S17_T6_T7_T9_mT8_S19_bDpT10_ENKUlT_T0_E_clISt17integral_constantIbLb1EES1L_IbLb0EEEEDaS1H_S1I_EUlS1H_E_NS1_11comp_targetILNS1_3genE8ELNS1_11target_archE1030ELNS1_3gpuE2ELNS1_3repE0EEENS1_30default_config_static_selectorELNS0_4arch9wavefront6targetE0EEEvSV_,comdat
	.globl	_ZN7rocprim17ROCPRIM_400000_NS6detail17trampoline_kernelINS0_13select_configILj256ELj13ELNS0_17block_load_methodE3ELS4_3ELS4_3ELNS0_20block_scan_algorithmE0ELj4294967295EEENS1_25partition_config_selectorILNS1_17partition_subalgoE3EjNS0_10empty_typeEbEEZZNS1_14partition_implILS8_3ELb0ES6_jNS0_17counting_iteratorIjlEEPS9_SE_NS0_5tupleIJPjSE_EEENSF_IJSE_SE_EEES9_SG_JZNS1_25segmented_radix_sort_implINS0_14default_configELb1EPKlPlSM_SN_N2at6native12_GLOBAL__N_18offset_tEEE10hipError_tPvRmT1_PNSt15iterator_traitsISV_E10value_typeET2_T3_PNSW_IS11_E10value_typeET4_jRbjT5_S17_jjP12ihipStream_tbEUljE_EEESS_ST_SU_S11_S15_S17_T6_T7_T9_mT8_S19_bDpT10_ENKUlT_T0_E_clISt17integral_constantIbLb1EES1L_IbLb0EEEEDaS1H_S1I_EUlS1H_E_NS1_11comp_targetILNS1_3genE8ELNS1_11target_archE1030ELNS1_3gpuE2ELNS1_3repE0EEENS1_30default_config_static_selectorELNS0_4arch9wavefront6targetE0EEEvSV_ ; -- Begin function _ZN7rocprim17ROCPRIM_400000_NS6detail17trampoline_kernelINS0_13select_configILj256ELj13ELNS0_17block_load_methodE3ELS4_3ELS4_3ELNS0_20block_scan_algorithmE0ELj4294967295EEENS1_25partition_config_selectorILNS1_17partition_subalgoE3EjNS0_10empty_typeEbEEZZNS1_14partition_implILS8_3ELb0ES6_jNS0_17counting_iteratorIjlEEPS9_SE_NS0_5tupleIJPjSE_EEENSF_IJSE_SE_EEES9_SG_JZNS1_25segmented_radix_sort_implINS0_14default_configELb1EPKlPlSM_SN_N2at6native12_GLOBAL__N_18offset_tEEE10hipError_tPvRmT1_PNSt15iterator_traitsISV_E10value_typeET2_T3_PNSW_IS11_E10value_typeET4_jRbjT5_S17_jjP12ihipStream_tbEUljE_EEESS_ST_SU_S11_S15_S17_T6_T7_T9_mT8_S19_bDpT10_ENKUlT_T0_E_clISt17integral_constantIbLb1EES1L_IbLb0EEEEDaS1H_S1I_EUlS1H_E_NS1_11comp_targetILNS1_3genE8ELNS1_11target_archE1030ELNS1_3gpuE2ELNS1_3repE0EEENS1_30default_config_static_selectorELNS0_4arch9wavefront6targetE0EEEvSV_
	.p2align	8
	.type	_ZN7rocprim17ROCPRIM_400000_NS6detail17trampoline_kernelINS0_13select_configILj256ELj13ELNS0_17block_load_methodE3ELS4_3ELS4_3ELNS0_20block_scan_algorithmE0ELj4294967295EEENS1_25partition_config_selectorILNS1_17partition_subalgoE3EjNS0_10empty_typeEbEEZZNS1_14partition_implILS8_3ELb0ES6_jNS0_17counting_iteratorIjlEEPS9_SE_NS0_5tupleIJPjSE_EEENSF_IJSE_SE_EEES9_SG_JZNS1_25segmented_radix_sort_implINS0_14default_configELb1EPKlPlSM_SN_N2at6native12_GLOBAL__N_18offset_tEEE10hipError_tPvRmT1_PNSt15iterator_traitsISV_E10value_typeET2_T3_PNSW_IS11_E10value_typeET4_jRbjT5_S17_jjP12ihipStream_tbEUljE_EEESS_ST_SU_S11_S15_S17_T6_T7_T9_mT8_S19_bDpT10_ENKUlT_T0_E_clISt17integral_constantIbLb1EES1L_IbLb0EEEEDaS1H_S1I_EUlS1H_E_NS1_11comp_targetILNS1_3genE8ELNS1_11target_archE1030ELNS1_3gpuE2ELNS1_3repE0EEENS1_30default_config_static_selectorELNS0_4arch9wavefront6targetE0EEEvSV_,@function
_ZN7rocprim17ROCPRIM_400000_NS6detail17trampoline_kernelINS0_13select_configILj256ELj13ELNS0_17block_load_methodE3ELS4_3ELS4_3ELNS0_20block_scan_algorithmE0ELj4294967295EEENS1_25partition_config_selectorILNS1_17partition_subalgoE3EjNS0_10empty_typeEbEEZZNS1_14partition_implILS8_3ELb0ES6_jNS0_17counting_iteratorIjlEEPS9_SE_NS0_5tupleIJPjSE_EEENSF_IJSE_SE_EEES9_SG_JZNS1_25segmented_radix_sort_implINS0_14default_configELb1EPKlPlSM_SN_N2at6native12_GLOBAL__N_18offset_tEEE10hipError_tPvRmT1_PNSt15iterator_traitsISV_E10value_typeET2_T3_PNSW_IS11_E10value_typeET4_jRbjT5_S17_jjP12ihipStream_tbEUljE_EEESS_ST_SU_S11_S15_S17_T6_T7_T9_mT8_S19_bDpT10_ENKUlT_T0_E_clISt17integral_constantIbLb1EES1L_IbLb0EEEEDaS1H_S1I_EUlS1H_E_NS1_11comp_targetILNS1_3genE8ELNS1_11target_archE1030ELNS1_3gpuE2ELNS1_3repE0EEENS1_30default_config_static_selectorELNS0_4arch9wavefront6targetE0EEEvSV_: ; @_ZN7rocprim17ROCPRIM_400000_NS6detail17trampoline_kernelINS0_13select_configILj256ELj13ELNS0_17block_load_methodE3ELS4_3ELS4_3ELNS0_20block_scan_algorithmE0ELj4294967295EEENS1_25partition_config_selectorILNS1_17partition_subalgoE3EjNS0_10empty_typeEbEEZZNS1_14partition_implILS8_3ELb0ES6_jNS0_17counting_iteratorIjlEEPS9_SE_NS0_5tupleIJPjSE_EEENSF_IJSE_SE_EEES9_SG_JZNS1_25segmented_radix_sort_implINS0_14default_configELb1EPKlPlSM_SN_N2at6native12_GLOBAL__N_18offset_tEEE10hipError_tPvRmT1_PNSt15iterator_traitsISV_E10value_typeET2_T3_PNSW_IS11_E10value_typeET4_jRbjT5_S17_jjP12ihipStream_tbEUljE_EEESS_ST_SU_S11_S15_S17_T6_T7_T9_mT8_S19_bDpT10_ENKUlT_T0_E_clISt17integral_constantIbLb1EES1L_IbLb0EEEEDaS1H_S1I_EUlS1H_E_NS1_11comp_targetILNS1_3genE8ELNS1_11target_archE1030ELNS1_3gpuE2ELNS1_3repE0EEENS1_30default_config_static_selectorELNS0_4arch9wavefront6targetE0EEEvSV_
; %bb.0:
	.section	.rodata,"a",@progbits
	.p2align	6, 0x0
	.amdhsa_kernel _ZN7rocprim17ROCPRIM_400000_NS6detail17trampoline_kernelINS0_13select_configILj256ELj13ELNS0_17block_load_methodE3ELS4_3ELS4_3ELNS0_20block_scan_algorithmE0ELj4294967295EEENS1_25partition_config_selectorILNS1_17partition_subalgoE3EjNS0_10empty_typeEbEEZZNS1_14partition_implILS8_3ELb0ES6_jNS0_17counting_iteratorIjlEEPS9_SE_NS0_5tupleIJPjSE_EEENSF_IJSE_SE_EEES9_SG_JZNS1_25segmented_radix_sort_implINS0_14default_configELb1EPKlPlSM_SN_N2at6native12_GLOBAL__N_18offset_tEEE10hipError_tPvRmT1_PNSt15iterator_traitsISV_E10value_typeET2_T3_PNSW_IS11_E10value_typeET4_jRbjT5_S17_jjP12ihipStream_tbEUljE_EEESS_ST_SU_S11_S15_S17_T6_T7_T9_mT8_S19_bDpT10_ENKUlT_T0_E_clISt17integral_constantIbLb1EES1L_IbLb0EEEEDaS1H_S1I_EUlS1H_E_NS1_11comp_targetILNS1_3genE8ELNS1_11target_archE1030ELNS1_3gpuE2ELNS1_3repE0EEENS1_30default_config_static_selectorELNS0_4arch9wavefront6targetE0EEEvSV_
		.amdhsa_group_segment_fixed_size 0
		.amdhsa_private_segment_fixed_size 0
		.amdhsa_kernarg_size 144
		.amdhsa_user_sgpr_count 15
		.amdhsa_user_sgpr_dispatch_ptr 0
		.amdhsa_user_sgpr_queue_ptr 0
		.amdhsa_user_sgpr_kernarg_segment_ptr 1
		.amdhsa_user_sgpr_dispatch_id 0
		.amdhsa_user_sgpr_private_segment_size 0
		.amdhsa_wavefront_size32 1
		.amdhsa_uses_dynamic_stack 0
		.amdhsa_enable_private_segment 0
		.amdhsa_system_sgpr_workgroup_id_x 1
		.amdhsa_system_sgpr_workgroup_id_y 0
		.amdhsa_system_sgpr_workgroup_id_z 0
		.amdhsa_system_sgpr_workgroup_info 0
		.amdhsa_system_vgpr_workitem_id 0
		.amdhsa_next_free_vgpr 1
		.amdhsa_next_free_sgpr 1
		.amdhsa_reserve_vcc 0
		.amdhsa_float_round_mode_32 0
		.amdhsa_float_round_mode_16_64 0
		.amdhsa_float_denorm_mode_32 3
		.amdhsa_float_denorm_mode_16_64 3
		.amdhsa_dx10_clamp 1
		.amdhsa_ieee_mode 1
		.amdhsa_fp16_overflow 0
		.amdhsa_workgroup_processor_mode 1
		.amdhsa_memory_ordered 1
		.amdhsa_forward_progress 0
		.amdhsa_shared_vgpr_count 0
		.amdhsa_exception_fp_ieee_invalid_op 0
		.amdhsa_exception_fp_denorm_src 0
		.amdhsa_exception_fp_ieee_div_zero 0
		.amdhsa_exception_fp_ieee_overflow 0
		.amdhsa_exception_fp_ieee_underflow 0
		.amdhsa_exception_fp_ieee_inexact 0
		.amdhsa_exception_int_div_zero 0
	.end_amdhsa_kernel
	.section	.text._ZN7rocprim17ROCPRIM_400000_NS6detail17trampoline_kernelINS0_13select_configILj256ELj13ELNS0_17block_load_methodE3ELS4_3ELS4_3ELNS0_20block_scan_algorithmE0ELj4294967295EEENS1_25partition_config_selectorILNS1_17partition_subalgoE3EjNS0_10empty_typeEbEEZZNS1_14partition_implILS8_3ELb0ES6_jNS0_17counting_iteratorIjlEEPS9_SE_NS0_5tupleIJPjSE_EEENSF_IJSE_SE_EEES9_SG_JZNS1_25segmented_radix_sort_implINS0_14default_configELb1EPKlPlSM_SN_N2at6native12_GLOBAL__N_18offset_tEEE10hipError_tPvRmT1_PNSt15iterator_traitsISV_E10value_typeET2_T3_PNSW_IS11_E10value_typeET4_jRbjT5_S17_jjP12ihipStream_tbEUljE_EEESS_ST_SU_S11_S15_S17_T6_T7_T9_mT8_S19_bDpT10_ENKUlT_T0_E_clISt17integral_constantIbLb1EES1L_IbLb0EEEEDaS1H_S1I_EUlS1H_E_NS1_11comp_targetILNS1_3genE8ELNS1_11target_archE1030ELNS1_3gpuE2ELNS1_3repE0EEENS1_30default_config_static_selectorELNS0_4arch9wavefront6targetE0EEEvSV_,"axG",@progbits,_ZN7rocprim17ROCPRIM_400000_NS6detail17trampoline_kernelINS0_13select_configILj256ELj13ELNS0_17block_load_methodE3ELS4_3ELS4_3ELNS0_20block_scan_algorithmE0ELj4294967295EEENS1_25partition_config_selectorILNS1_17partition_subalgoE3EjNS0_10empty_typeEbEEZZNS1_14partition_implILS8_3ELb0ES6_jNS0_17counting_iteratorIjlEEPS9_SE_NS0_5tupleIJPjSE_EEENSF_IJSE_SE_EEES9_SG_JZNS1_25segmented_radix_sort_implINS0_14default_configELb1EPKlPlSM_SN_N2at6native12_GLOBAL__N_18offset_tEEE10hipError_tPvRmT1_PNSt15iterator_traitsISV_E10value_typeET2_T3_PNSW_IS11_E10value_typeET4_jRbjT5_S17_jjP12ihipStream_tbEUljE_EEESS_ST_SU_S11_S15_S17_T6_T7_T9_mT8_S19_bDpT10_ENKUlT_T0_E_clISt17integral_constantIbLb1EES1L_IbLb0EEEEDaS1H_S1I_EUlS1H_E_NS1_11comp_targetILNS1_3genE8ELNS1_11target_archE1030ELNS1_3gpuE2ELNS1_3repE0EEENS1_30default_config_static_selectorELNS0_4arch9wavefront6targetE0EEEvSV_,comdat
.Lfunc_end695:
	.size	_ZN7rocprim17ROCPRIM_400000_NS6detail17trampoline_kernelINS0_13select_configILj256ELj13ELNS0_17block_load_methodE3ELS4_3ELS4_3ELNS0_20block_scan_algorithmE0ELj4294967295EEENS1_25partition_config_selectorILNS1_17partition_subalgoE3EjNS0_10empty_typeEbEEZZNS1_14partition_implILS8_3ELb0ES6_jNS0_17counting_iteratorIjlEEPS9_SE_NS0_5tupleIJPjSE_EEENSF_IJSE_SE_EEES9_SG_JZNS1_25segmented_radix_sort_implINS0_14default_configELb1EPKlPlSM_SN_N2at6native12_GLOBAL__N_18offset_tEEE10hipError_tPvRmT1_PNSt15iterator_traitsISV_E10value_typeET2_T3_PNSW_IS11_E10value_typeET4_jRbjT5_S17_jjP12ihipStream_tbEUljE_EEESS_ST_SU_S11_S15_S17_T6_T7_T9_mT8_S19_bDpT10_ENKUlT_T0_E_clISt17integral_constantIbLb1EES1L_IbLb0EEEEDaS1H_S1I_EUlS1H_E_NS1_11comp_targetILNS1_3genE8ELNS1_11target_archE1030ELNS1_3gpuE2ELNS1_3repE0EEENS1_30default_config_static_selectorELNS0_4arch9wavefront6targetE0EEEvSV_, .Lfunc_end695-_ZN7rocprim17ROCPRIM_400000_NS6detail17trampoline_kernelINS0_13select_configILj256ELj13ELNS0_17block_load_methodE3ELS4_3ELS4_3ELNS0_20block_scan_algorithmE0ELj4294967295EEENS1_25partition_config_selectorILNS1_17partition_subalgoE3EjNS0_10empty_typeEbEEZZNS1_14partition_implILS8_3ELb0ES6_jNS0_17counting_iteratorIjlEEPS9_SE_NS0_5tupleIJPjSE_EEENSF_IJSE_SE_EEES9_SG_JZNS1_25segmented_radix_sort_implINS0_14default_configELb1EPKlPlSM_SN_N2at6native12_GLOBAL__N_18offset_tEEE10hipError_tPvRmT1_PNSt15iterator_traitsISV_E10value_typeET2_T3_PNSW_IS11_E10value_typeET4_jRbjT5_S17_jjP12ihipStream_tbEUljE_EEESS_ST_SU_S11_S15_S17_T6_T7_T9_mT8_S19_bDpT10_ENKUlT_T0_E_clISt17integral_constantIbLb1EES1L_IbLb0EEEEDaS1H_S1I_EUlS1H_E_NS1_11comp_targetILNS1_3genE8ELNS1_11target_archE1030ELNS1_3gpuE2ELNS1_3repE0EEENS1_30default_config_static_selectorELNS0_4arch9wavefront6targetE0EEEvSV_
                                        ; -- End function
	.section	.AMDGPU.csdata,"",@progbits
; Kernel info:
; codeLenInByte = 0
; NumSgprs: 0
; NumVgprs: 0
; ScratchSize: 0
; MemoryBound: 0
; FloatMode: 240
; IeeeMode: 1
; LDSByteSize: 0 bytes/workgroup (compile time only)
; SGPRBlocks: 0
; VGPRBlocks: 0
; NumSGPRsForWavesPerEU: 1
; NumVGPRsForWavesPerEU: 1
; Occupancy: 16
; WaveLimiterHint : 0
; COMPUTE_PGM_RSRC2:SCRATCH_EN: 0
; COMPUTE_PGM_RSRC2:USER_SGPR: 15
; COMPUTE_PGM_RSRC2:TRAP_HANDLER: 0
; COMPUTE_PGM_RSRC2:TGID_X_EN: 1
; COMPUTE_PGM_RSRC2:TGID_Y_EN: 0
; COMPUTE_PGM_RSRC2:TGID_Z_EN: 0
; COMPUTE_PGM_RSRC2:TIDIG_COMP_CNT: 0
	.section	.text._ZN7rocprim17ROCPRIM_400000_NS6detail17trampoline_kernelINS0_13select_configILj256ELj13ELNS0_17block_load_methodE3ELS4_3ELS4_3ELNS0_20block_scan_algorithmE0ELj4294967295EEENS1_25partition_config_selectorILNS1_17partition_subalgoE3EjNS0_10empty_typeEbEEZZNS1_14partition_implILS8_3ELb0ES6_jNS0_17counting_iteratorIjlEEPS9_SE_NS0_5tupleIJPjSE_EEENSF_IJSE_SE_EEES9_SG_JZNS1_25segmented_radix_sort_implINS0_14default_configELb1EPKlPlSM_SN_N2at6native12_GLOBAL__N_18offset_tEEE10hipError_tPvRmT1_PNSt15iterator_traitsISV_E10value_typeET2_T3_PNSW_IS11_E10value_typeET4_jRbjT5_S17_jjP12ihipStream_tbEUljE_EEESS_ST_SU_S11_S15_S17_T6_T7_T9_mT8_S19_bDpT10_ENKUlT_T0_E_clISt17integral_constantIbLb0EES1L_IbLb1EEEEDaS1H_S1I_EUlS1H_E_NS1_11comp_targetILNS1_3genE0ELNS1_11target_archE4294967295ELNS1_3gpuE0ELNS1_3repE0EEENS1_30default_config_static_selectorELNS0_4arch9wavefront6targetE0EEEvSV_,"axG",@progbits,_ZN7rocprim17ROCPRIM_400000_NS6detail17trampoline_kernelINS0_13select_configILj256ELj13ELNS0_17block_load_methodE3ELS4_3ELS4_3ELNS0_20block_scan_algorithmE0ELj4294967295EEENS1_25partition_config_selectorILNS1_17partition_subalgoE3EjNS0_10empty_typeEbEEZZNS1_14partition_implILS8_3ELb0ES6_jNS0_17counting_iteratorIjlEEPS9_SE_NS0_5tupleIJPjSE_EEENSF_IJSE_SE_EEES9_SG_JZNS1_25segmented_radix_sort_implINS0_14default_configELb1EPKlPlSM_SN_N2at6native12_GLOBAL__N_18offset_tEEE10hipError_tPvRmT1_PNSt15iterator_traitsISV_E10value_typeET2_T3_PNSW_IS11_E10value_typeET4_jRbjT5_S17_jjP12ihipStream_tbEUljE_EEESS_ST_SU_S11_S15_S17_T6_T7_T9_mT8_S19_bDpT10_ENKUlT_T0_E_clISt17integral_constantIbLb0EES1L_IbLb1EEEEDaS1H_S1I_EUlS1H_E_NS1_11comp_targetILNS1_3genE0ELNS1_11target_archE4294967295ELNS1_3gpuE0ELNS1_3repE0EEENS1_30default_config_static_selectorELNS0_4arch9wavefront6targetE0EEEvSV_,comdat
	.globl	_ZN7rocprim17ROCPRIM_400000_NS6detail17trampoline_kernelINS0_13select_configILj256ELj13ELNS0_17block_load_methodE3ELS4_3ELS4_3ELNS0_20block_scan_algorithmE0ELj4294967295EEENS1_25partition_config_selectorILNS1_17partition_subalgoE3EjNS0_10empty_typeEbEEZZNS1_14partition_implILS8_3ELb0ES6_jNS0_17counting_iteratorIjlEEPS9_SE_NS0_5tupleIJPjSE_EEENSF_IJSE_SE_EEES9_SG_JZNS1_25segmented_radix_sort_implINS0_14default_configELb1EPKlPlSM_SN_N2at6native12_GLOBAL__N_18offset_tEEE10hipError_tPvRmT1_PNSt15iterator_traitsISV_E10value_typeET2_T3_PNSW_IS11_E10value_typeET4_jRbjT5_S17_jjP12ihipStream_tbEUljE_EEESS_ST_SU_S11_S15_S17_T6_T7_T9_mT8_S19_bDpT10_ENKUlT_T0_E_clISt17integral_constantIbLb0EES1L_IbLb1EEEEDaS1H_S1I_EUlS1H_E_NS1_11comp_targetILNS1_3genE0ELNS1_11target_archE4294967295ELNS1_3gpuE0ELNS1_3repE0EEENS1_30default_config_static_selectorELNS0_4arch9wavefront6targetE0EEEvSV_ ; -- Begin function _ZN7rocprim17ROCPRIM_400000_NS6detail17trampoline_kernelINS0_13select_configILj256ELj13ELNS0_17block_load_methodE3ELS4_3ELS4_3ELNS0_20block_scan_algorithmE0ELj4294967295EEENS1_25partition_config_selectorILNS1_17partition_subalgoE3EjNS0_10empty_typeEbEEZZNS1_14partition_implILS8_3ELb0ES6_jNS0_17counting_iteratorIjlEEPS9_SE_NS0_5tupleIJPjSE_EEENSF_IJSE_SE_EEES9_SG_JZNS1_25segmented_radix_sort_implINS0_14default_configELb1EPKlPlSM_SN_N2at6native12_GLOBAL__N_18offset_tEEE10hipError_tPvRmT1_PNSt15iterator_traitsISV_E10value_typeET2_T3_PNSW_IS11_E10value_typeET4_jRbjT5_S17_jjP12ihipStream_tbEUljE_EEESS_ST_SU_S11_S15_S17_T6_T7_T9_mT8_S19_bDpT10_ENKUlT_T0_E_clISt17integral_constantIbLb0EES1L_IbLb1EEEEDaS1H_S1I_EUlS1H_E_NS1_11comp_targetILNS1_3genE0ELNS1_11target_archE4294967295ELNS1_3gpuE0ELNS1_3repE0EEENS1_30default_config_static_selectorELNS0_4arch9wavefront6targetE0EEEvSV_
	.p2align	8
	.type	_ZN7rocprim17ROCPRIM_400000_NS6detail17trampoline_kernelINS0_13select_configILj256ELj13ELNS0_17block_load_methodE3ELS4_3ELS4_3ELNS0_20block_scan_algorithmE0ELj4294967295EEENS1_25partition_config_selectorILNS1_17partition_subalgoE3EjNS0_10empty_typeEbEEZZNS1_14partition_implILS8_3ELb0ES6_jNS0_17counting_iteratorIjlEEPS9_SE_NS0_5tupleIJPjSE_EEENSF_IJSE_SE_EEES9_SG_JZNS1_25segmented_radix_sort_implINS0_14default_configELb1EPKlPlSM_SN_N2at6native12_GLOBAL__N_18offset_tEEE10hipError_tPvRmT1_PNSt15iterator_traitsISV_E10value_typeET2_T3_PNSW_IS11_E10value_typeET4_jRbjT5_S17_jjP12ihipStream_tbEUljE_EEESS_ST_SU_S11_S15_S17_T6_T7_T9_mT8_S19_bDpT10_ENKUlT_T0_E_clISt17integral_constantIbLb0EES1L_IbLb1EEEEDaS1H_S1I_EUlS1H_E_NS1_11comp_targetILNS1_3genE0ELNS1_11target_archE4294967295ELNS1_3gpuE0ELNS1_3repE0EEENS1_30default_config_static_selectorELNS0_4arch9wavefront6targetE0EEEvSV_,@function
_ZN7rocprim17ROCPRIM_400000_NS6detail17trampoline_kernelINS0_13select_configILj256ELj13ELNS0_17block_load_methodE3ELS4_3ELS4_3ELNS0_20block_scan_algorithmE0ELj4294967295EEENS1_25partition_config_selectorILNS1_17partition_subalgoE3EjNS0_10empty_typeEbEEZZNS1_14partition_implILS8_3ELb0ES6_jNS0_17counting_iteratorIjlEEPS9_SE_NS0_5tupleIJPjSE_EEENSF_IJSE_SE_EEES9_SG_JZNS1_25segmented_radix_sort_implINS0_14default_configELb1EPKlPlSM_SN_N2at6native12_GLOBAL__N_18offset_tEEE10hipError_tPvRmT1_PNSt15iterator_traitsISV_E10value_typeET2_T3_PNSW_IS11_E10value_typeET4_jRbjT5_S17_jjP12ihipStream_tbEUljE_EEESS_ST_SU_S11_S15_S17_T6_T7_T9_mT8_S19_bDpT10_ENKUlT_T0_E_clISt17integral_constantIbLb0EES1L_IbLb1EEEEDaS1H_S1I_EUlS1H_E_NS1_11comp_targetILNS1_3genE0ELNS1_11target_archE4294967295ELNS1_3gpuE0ELNS1_3repE0EEENS1_30default_config_static_selectorELNS0_4arch9wavefront6targetE0EEEvSV_: ; @_ZN7rocprim17ROCPRIM_400000_NS6detail17trampoline_kernelINS0_13select_configILj256ELj13ELNS0_17block_load_methodE3ELS4_3ELS4_3ELNS0_20block_scan_algorithmE0ELj4294967295EEENS1_25partition_config_selectorILNS1_17partition_subalgoE3EjNS0_10empty_typeEbEEZZNS1_14partition_implILS8_3ELb0ES6_jNS0_17counting_iteratorIjlEEPS9_SE_NS0_5tupleIJPjSE_EEENSF_IJSE_SE_EEES9_SG_JZNS1_25segmented_radix_sort_implINS0_14default_configELb1EPKlPlSM_SN_N2at6native12_GLOBAL__N_18offset_tEEE10hipError_tPvRmT1_PNSt15iterator_traitsISV_E10value_typeET2_T3_PNSW_IS11_E10value_typeET4_jRbjT5_S17_jjP12ihipStream_tbEUljE_EEESS_ST_SU_S11_S15_S17_T6_T7_T9_mT8_S19_bDpT10_ENKUlT_T0_E_clISt17integral_constantIbLb0EES1L_IbLb1EEEEDaS1H_S1I_EUlS1H_E_NS1_11comp_targetILNS1_3genE0ELNS1_11target_archE4294967295ELNS1_3gpuE0ELNS1_3repE0EEENS1_30default_config_static_selectorELNS0_4arch9wavefront6targetE0EEEvSV_
; %bb.0:
	.section	.rodata,"a",@progbits
	.p2align	6, 0x0
	.amdhsa_kernel _ZN7rocprim17ROCPRIM_400000_NS6detail17trampoline_kernelINS0_13select_configILj256ELj13ELNS0_17block_load_methodE3ELS4_3ELS4_3ELNS0_20block_scan_algorithmE0ELj4294967295EEENS1_25partition_config_selectorILNS1_17partition_subalgoE3EjNS0_10empty_typeEbEEZZNS1_14partition_implILS8_3ELb0ES6_jNS0_17counting_iteratorIjlEEPS9_SE_NS0_5tupleIJPjSE_EEENSF_IJSE_SE_EEES9_SG_JZNS1_25segmented_radix_sort_implINS0_14default_configELb1EPKlPlSM_SN_N2at6native12_GLOBAL__N_18offset_tEEE10hipError_tPvRmT1_PNSt15iterator_traitsISV_E10value_typeET2_T3_PNSW_IS11_E10value_typeET4_jRbjT5_S17_jjP12ihipStream_tbEUljE_EEESS_ST_SU_S11_S15_S17_T6_T7_T9_mT8_S19_bDpT10_ENKUlT_T0_E_clISt17integral_constantIbLb0EES1L_IbLb1EEEEDaS1H_S1I_EUlS1H_E_NS1_11comp_targetILNS1_3genE0ELNS1_11target_archE4294967295ELNS1_3gpuE0ELNS1_3repE0EEENS1_30default_config_static_selectorELNS0_4arch9wavefront6targetE0EEEvSV_
		.amdhsa_group_segment_fixed_size 0
		.amdhsa_private_segment_fixed_size 0
		.amdhsa_kernarg_size 152
		.amdhsa_user_sgpr_count 15
		.amdhsa_user_sgpr_dispatch_ptr 0
		.amdhsa_user_sgpr_queue_ptr 0
		.amdhsa_user_sgpr_kernarg_segment_ptr 1
		.amdhsa_user_sgpr_dispatch_id 0
		.amdhsa_user_sgpr_private_segment_size 0
		.amdhsa_wavefront_size32 1
		.amdhsa_uses_dynamic_stack 0
		.amdhsa_enable_private_segment 0
		.amdhsa_system_sgpr_workgroup_id_x 1
		.amdhsa_system_sgpr_workgroup_id_y 0
		.amdhsa_system_sgpr_workgroup_id_z 0
		.amdhsa_system_sgpr_workgroup_info 0
		.amdhsa_system_vgpr_workitem_id 0
		.amdhsa_next_free_vgpr 1
		.amdhsa_next_free_sgpr 1
		.amdhsa_reserve_vcc 0
		.amdhsa_float_round_mode_32 0
		.amdhsa_float_round_mode_16_64 0
		.amdhsa_float_denorm_mode_32 3
		.amdhsa_float_denorm_mode_16_64 3
		.amdhsa_dx10_clamp 1
		.amdhsa_ieee_mode 1
		.amdhsa_fp16_overflow 0
		.amdhsa_workgroup_processor_mode 1
		.amdhsa_memory_ordered 1
		.amdhsa_forward_progress 0
		.amdhsa_shared_vgpr_count 0
		.amdhsa_exception_fp_ieee_invalid_op 0
		.amdhsa_exception_fp_denorm_src 0
		.amdhsa_exception_fp_ieee_div_zero 0
		.amdhsa_exception_fp_ieee_overflow 0
		.amdhsa_exception_fp_ieee_underflow 0
		.amdhsa_exception_fp_ieee_inexact 0
		.amdhsa_exception_int_div_zero 0
	.end_amdhsa_kernel
	.section	.text._ZN7rocprim17ROCPRIM_400000_NS6detail17trampoline_kernelINS0_13select_configILj256ELj13ELNS0_17block_load_methodE3ELS4_3ELS4_3ELNS0_20block_scan_algorithmE0ELj4294967295EEENS1_25partition_config_selectorILNS1_17partition_subalgoE3EjNS0_10empty_typeEbEEZZNS1_14partition_implILS8_3ELb0ES6_jNS0_17counting_iteratorIjlEEPS9_SE_NS0_5tupleIJPjSE_EEENSF_IJSE_SE_EEES9_SG_JZNS1_25segmented_radix_sort_implINS0_14default_configELb1EPKlPlSM_SN_N2at6native12_GLOBAL__N_18offset_tEEE10hipError_tPvRmT1_PNSt15iterator_traitsISV_E10value_typeET2_T3_PNSW_IS11_E10value_typeET4_jRbjT5_S17_jjP12ihipStream_tbEUljE_EEESS_ST_SU_S11_S15_S17_T6_T7_T9_mT8_S19_bDpT10_ENKUlT_T0_E_clISt17integral_constantIbLb0EES1L_IbLb1EEEEDaS1H_S1I_EUlS1H_E_NS1_11comp_targetILNS1_3genE0ELNS1_11target_archE4294967295ELNS1_3gpuE0ELNS1_3repE0EEENS1_30default_config_static_selectorELNS0_4arch9wavefront6targetE0EEEvSV_,"axG",@progbits,_ZN7rocprim17ROCPRIM_400000_NS6detail17trampoline_kernelINS0_13select_configILj256ELj13ELNS0_17block_load_methodE3ELS4_3ELS4_3ELNS0_20block_scan_algorithmE0ELj4294967295EEENS1_25partition_config_selectorILNS1_17partition_subalgoE3EjNS0_10empty_typeEbEEZZNS1_14partition_implILS8_3ELb0ES6_jNS0_17counting_iteratorIjlEEPS9_SE_NS0_5tupleIJPjSE_EEENSF_IJSE_SE_EEES9_SG_JZNS1_25segmented_radix_sort_implINS0_14default_configELb1EPKlPlSM_SN_N2at6native12_GLOBAL__N_18offset_tEEE10hipError_tPvRmT1_PNSt15iterator_traitsISV_E10value_typeET2_T3_PNSW_IS11_E10value_typeET4_jRbjT5_S17_jjP12ihipStream_tbEUljE_EEESS_ST_SU_S11_S15_S17_T6_T7_T9_mT8_S19_bDpT10_ENKUlT_T0_E_clISt17integral_constantIbLb0EES1L_IbLb1EEEEDaS1H_S1I_EUlS1H_E_NS1_11comp_targetILNS1_3genE0ELNS1_11target_archE4294967295ELNS1_3gpuE0ELNS1_3repE0EEENS1_30default_config_static_selectorELNS0_4arch9wavefront6targetE0EEEvSV_,comdat
.Lfunc_end696:
	.size	_ZN7rocprim17ROCPRIM_400000_NS6detail17trampoline_kernelINS0_13select_configILj256ELj13ELNS0_17block_load_methodE3ELS4_3ELS4_3ELNS0_20block_scan_algorithmE0ELj4294967295EEENS1_25partition_config_selectorILNS1_17partition_subalgoE3EjNS0_10empty_typeEbEEZZNS1_14partition_implILS8_3ELb0ES6_jNS0_17counting_iteratorIjlEEPS9_SE_NS0_5tupleIJPjSE_EEENSF_IJSE_SE_EEES9_SG_JZNS1_25segmented_radix_sort_implINS0_14default_configELb1EPKlPlSM_SN_N2at6native12_GLOBAL__N_18offset_tEEE10hipError_tPvRmT1_PNSt15iterator_traitsISV_E10value_typeET2_T3_PNSW_IS11_E10value_typeET4_jRbjT5_S17_jjP12ihipStream_tbEUljE_EEESS_ST_SU_S11_S15_S17_T6_T7_T9_mT8_S19_bDpT10_ENKUlT_T0_E_clISt17integral_constantIbLb0EES1L_IbLb1EEEEDaS1H_S1I_EUlS1H_E_NS1_11comp_targetILNS1_3genE0ELNS1_11target_archE4294967295ELNS1_3gpuE0ELNS1_3repE0EEENS1_30default_config_static_selectorELNS0_4arch9wavefront6targetE0EEEvSV_, .Lfunc_end696-_ZN7rocprim17ROCPRIM_400000_NS6detail17trampoline_kernelINS0_13select_configILj256ELj13ELNS0_17block_load_methodE3ELS4_3ELS4_3ELNS0_20block_scan_algorithmE0ELj4294967295EEENS1_25partition_config_selectorILNS1_17partition_subalgoE3EjNS0_10empty_typeEbEEZZNS1_14partition_implILS8_3ELb0ES6_jNS0_17counting_iteratorIjlEEPS9_SE_NS0_5tupleIJPjSE_EEENSF_IJSE_SE_EEES9_SG_JZNS1_25segmented_radix_sort_implINS0_14default_configELb1EPKlPlSM_SN_N2at6native12_GLOBAL__N_18offset_tEEE10hipError_tPvRmT1_PNSt15iterator_traitsISV_E10value_typeET2_T3_PNSW_IS11_E10value_typeET4_jRbjT5_S17_jjP12ihipStream_tbEUljE_EEESS_ST_SU_S11_S15_S17_T6_T7_T9_mT8_S19_bDpT10_ENKUlT_T0_E_clISt17integral_constantIbLb0EES1L_IbLb1EEEEDaS1H_S1I_EUlS1H_E_NS1_11comp_targetILNS1_3genE0ELNS1_11target_archE4294967295ELNS1_3gpuE0ELNS1_3repE0EEENS1_30default_config_static_selectorELNS0_4arch9wavefront6targetE0EEEvSV_
                                        ; -- End function
	.section	.AMDGPU.csdata,"",@progbits
; Kernel info:
; codeLenInByte = 0
; NumSgprs: 0
; NumVgprs: 0
; ScratchSize: 0
; MemoryBound: 0
; FloatMode: 240
; IeeeMode: 1
; LDSByteSize: 0 bytes/workgroup (compile time only)
; SGPRBlocks: 0
; VGPRBlocks: 0
; NumSGPRsForWavesPerEU: 1
; NumVGPRsForWavesPerEU: 1
; Occupancy: 16
; WaveLimiterHint : 0
; COMPUTE_PGM_RSRC2:SCRATCH_EN: 0
; COMPUTE_PGM_RSRC2:USER_SGPR: 15
; COMPUTE_PGM_RSRC2:TRAP_HANDLER: 0
; COMPUTE_PGM_RSRC2:TGID_X_EN: 1
; COMPUTE_PGM_RSRC2:TGID_Y_EN: 0
; COMPUTE_PGM_RSRC2:TGID_Z_EN: 0
; COMPUTE_PGM_RSRC2:TIDIG_COMP_CNT: 0
	.section	.text._ZN7rocprim17ROCPRIM_400000_NS6detail17trampoline_kernelINS0_13select_configILj256ELj13ELNS0_17block_load_methodE3ELS4_3ELS4_3ELNS0_20block_scan_algorithmE0ELj4294967295EEENS1_25partition_config_selectorILNS1_17partition_subalgoE3EjNS0_10empty_typeEbEEZZNS1_14partition_implILS8_3ELb0ES6_jNS0_17counting_iteratorIjlEEPS9_SE_NS0_5tupleIJPjSE_EEENSF_IJSE_SE_EEES9_SG_JZNS1_25segmented_radix_sort_implINS0_14default_configELb1EPKlPlSM_SN_N2at6native12_GLOBAL__N_18offset_tEEE10hipError_tPvRmT1_PNSt15iterator_traitsISV_E10value_typeET2_T3_PNSW_IS11_E10value_typeET4_jRbjT5_S17_jjP12ihipStream_tbEUljE_EEESS_ST_SU_S11_S15_S17_T6_T7_T9_mT8_S19_bDpT10_ENKUlT_T0_E_clISt17integral_constantIbLb0EES1L_IbLb1EEEEDaS1H_S1I_EUlS1H_E_NS1_11comp_targetILNS1_3genE5ELNS1_11target_archE942ELNS1_3gpuE9ELNS1_3repE0EEENS1_30default_config_static_selectorELNS0_4arch9wavefront6targetE0EEEvSV_,"axG",@progbits,_ZN7rocprim17ROCPRIM_400000_NS6detail17trampoline_kernelINS0_13select_configILj256ELj13ELNS0_17block_load_methodE3ELS4_3ELS4_3ELNS0_20block_scan_algorithmE0ELj4294967295EEENS1_25partition_config_selectorILNS1_17partition_subalgoE3EjNS0_10empty_typeEbEEZZNS1_14partition_implILS8_3ELb0ES6_jNS0_17counting_iteratorIjlEEPS9_SE_NS0_5tupleIJPjSE_EEENSF_IJSE_SE_EEES9_SG_JZNS1_25segmented_radix_sort_implINS0_14default_configELb1EPKlPlSM_SN_N2at6native12_GLOBAL__N_18offset_tEEE10hipError_tPvRmT1_PNSt15iterator_traitsISV_E10value_typeET2_T3_PNSW_IS11_E10value_typeET4_jRbjT5_S17_jjP12ihipStream_tbEUljE_EEESS_ST_SU_S11_S15_S17_T6_T7_T9_mT8_S19_bDpT10_ENKUlT_T0_E_clISt17integral_constantIbLb0EES1L_IbLb1EEEEDaS1H_S1I_EUlS1H_E_NS1_11comp_targetILNS1_3genE5ELNS1_11target_archE942ELNS1_3gpuE9ELNS1_3repE0EEENS1_30default_config_static_selectorELNS0_4arch9wavefront6targetE0EEEvSV_,comdat
	.globl	_ZN7rocprim17ROCPRIM_400000_NS6detail17trampoline_kernelINS0_13select_configILj256ELj13ELNS0_17block_load_methodE3ELS4_3ELS4_3ELNS0_20block_scan_algorithmE0ELj4294967295EEENS1_25partition_config_selectorILNS1_17partition_subalgoE3EjNS0_10empty_typeEbEEZZNS1_14partition_implILS8_3ELb0ES6_jNS0_17counting_iteratorIjlEEPS9_SE_NS0_5tupleIJPjSE_EEENSF_IJSE_SE_EEES9_SG_JZNS1_25segmented_radix_sort_implINS0_14default_configELb1EPKlPlSM_SN_N2at6native12_GLOBAL__N_18offset_tEEE10hipError_tPvRmT1_PNSt15iterator_traitsISV_E10value_typeET2_T3_PNSW_IS11_E10value_typeET4_jRbjT5_S17_jjP12ihipStream_tbEUljE_EEESS_ST_SU_S11_S15_S17_T6_T7_T9_mT8_S19_bDpT10_ENKUlT_T0_E_clISt17integral_constantIbLb0EES1L_IbLb1EEEEDaS1H_S1I_EUlS1H_E_NS1_11comp_targetILNS1_3genE5ELNS1_11target_archE942ELNS1_3gpuE9ELNS1_3repE0EEENS1_30default_config_static_selectorELNS0_4arch9wavefront6targetE0EEEvSV_ ; -- Begin function _ZN7rocprim17ROCPRIM_400000_NS6detail17trampoline_kernelINS0_13select_configILj256ELj13ELNS0_17block_load_methodE3ELS4_3ELS4_3ELNS0_20block_scan_algorithmE0ELj4294967295EEENS1_25partition_config_selectorILNS1_17partition_subalgoE3EjNS0_10empty_typeEbEEZZNS1_14partition_implILS8_3ELb0ES6_jNS0_17counting_iteratorIjlEEPS9_SE_NS0_5tupleIJPjSE_EEENSF_IJSE_SE_EEES9_SG_JZNS1_25segmented_radix_sort_implINS0_14default_configELb1EPKlPlSM_SN_N2at6native12_GLOBAL__N_18offset_tEEE10hipError_tPvRmT1_PNSt15iterator_traitsISV_E10value_typeET2_T3_PNSW_IS11_E10value_typeET4_jRbjT5_S17_jjP12ihipStream_tbEUljE_EEESS_ST_SU_S11_S15_S17_T6_T7_T9_mT8_S19_bDpT10_ENKUlT_T0_E_clISt17integral_constantIbLb0EES1L_IbLb1EEEEDaS1H_S1I_EUlS1H_E_NS1_11comp_targetILNS1_3genE5ELNS1_11target_archE942ELNS1_3gpuE9ELNS1_3repE0EEENS1_30default_config_static_selectorELNS0_4arch9wavefront6targetE0EEEvSV_
	.p2align	8
	.type	_ZN7rocprim17ROCPRIM_400000_NS6detail17trampoline_kernelINS0_13select_configILj256ELj13ELNS0_17block_load_methodE3ELS4_3ELS4_3ELNS0_20block_scan_algorithmE0ELj4294967295EEENS1_25partition_config_selectorILNS1_17partition_subalgoE3EjNS0_10empty_typeEbEEZZNS1_14partition_implILS8_3ELb0ES6_jNS0_17counting_iteratorIjlEEPS9_SE_NS0_5tupleIJPjSE_EEENSF_IJSE_SE_EEES9_SG_JZNS1_25segmented_radix_sort_implINS0_14default_configELb1EPKlPlSM_SN_N2at6native12_GLOBAL__N_18offset_tEEE10hipError_tPvRmT1_PNSt15iterator_traitsISV_E10value_typeET2_T3_PNSW_IS11_E10value_typeET4_jRbjT5_S17_jjP12ihipStream_tbEUljE_EEESS_ST_SU_S11_S15_S17_T6_T7_T9_mT8_S19_bDpT10_ENKUlT_T0_E_clISt17integral_constantIbLb0EES1L_IbLb1EEEEDaS1H_S1I_EUlS1H_E_NS1_11comp_targetILNS1_3genE5ELNS1_11target_archE942ELNS1_3gpuE9ELNS1_3repE0EEENS1_30default_config_static_selectorELNS0_4arch9wavefront6targetE0EEEvSV_,@function
_ZN7rocprim17ROCPRIM_400000_NS6detail17trampoline_kernelINS0_13select_configILj256ELj13ELNS0_17block_load_methodE3ELS4_3ELS4_3ELNS0_20block_scan_algorithmE0ELj4294967295EEENS1_25partition_config_selectorILNS1_17partition_subalgoE3EjNS0_10empty_typeEbEEZZNS1_14partition_implILS8_3ELb0ES6_jNS0_17counting_iteratorIjlEEPS9_SE_NS0_5tupleIJPjSE_EEENSF_IJSE_SE_EEES9_SG_JZNS1_25segmented_radix_sort_implINS0_14default_configELb1EPKlPlSM_SN_N2at6native12_GLOBAL__N_18offset_tEEE10hipError_tPvRmT1_PNSt15iterator_traitsISV_E10value_typeET2_T3_PNSW_IS11_E10value_typeET4_jRbjT5_S17_jjP12ihipStream_tbEUljE_EEESS_ST_SU_S11_S15_S17_T6_T7_T9_mT8_S19_bDpT10_ENKUlT_T0_E_clISt17integral_constantIbLb0EES1L_IbLb1EEEEDaS1H_S1I_EUlS1H_E_NS1_11comp_targetILNS1_3genE5ELNS1_11target_archE942ELNS1_3gpuE9ELNS1_3repE0EEENS1_30default_config_static_selectorELNS0_4arch9wavefront6targetE0EEEvSV_: ; @_ZN7rocprim17ROCPRIM_400000_NS6detail17trampoline_kernelINS0_13select_configILj256ELj13ELNS0_17block_load_methodE3ELS4_3ELS4_3ELNS0_20block_scan_algorithmE0ELj4294967295EEENS1_25partition_config_selectorILNS1_17partition_subalgoE3EjNS0_10empty_typeEbEEZZNS1_14partition_implILS8_3ELb0ES6_jNS0_17counting_iteratorIjlEEPS9_SE_NS0_5tupleIJPjSE_EEENSF_IJSE_SE_EEES9_SG_JZNS1_25segmented_radix_sort_implINS0_14default_configELb1EPKlPlSM_SN_N2at6native12_GLOBAL__N_18offset_tEEE10hipError_tPvRmT1_PNSt15iterator_traitsISV_E10value_typeET2_T3_PNSW_IS11_E10value_typeET4_jRbjT5_S17_jjP12ihipStream_tbEUljE_EEESS_ST_SU_S11_S15_S17_T6_T7_T9_mT8_S19_bDpT10_ENKUlT_T0_E_clISt17integral_constantIbLb0EES1L_IbLb1EEEEDaS1H_S1I_EUlS1H_E_NS1_11comp_targetILNS1_3genE5ELNS1_11target_archE942ELNS1_3gpuE9ELNS1_3repE0EEENS1_30default_config_static_selectorELNS0_4arch9wavefront6targetE0EEEvSV_
; %bb.0:
	.section	.rodata,"a",@progbits
	.p2align	6, 0x0
	.amdhsa_kernel _ZN7rocprim17ROCPRIM_400000_NS6detail17trampoline_kernelINS0_13select_configILj256ELj13ELNS0_17block_load_methodE3ELS4_3ELS4_3ELNS0_20block_scan_algorithmE0ELj4294967295EEENS1_25partition_config_selectorILNS1_17partition_subalgoE3EjNS0_10empty_typeEbEEZZNS1_14partition_implILS8_3ELb0ES6_jNS0_17counting_iteratorIjlEEPS9_SE_NS0_5tupleIJPjSE_EEENSF_IJSE_SE_EEES9_SG_JZNS1_25segmented_radix_sort_implINS0_14default_configELb1EPKlPlSM_SN_N2at6native12_GLOBAL__N_18offset_tEEE10hipError_tPvRmT1_PNSt15iterator_traitsISV_E10value_typeET2_T3_PNSW_IS11_E10value_typeET4_jRbjT5_S17_jjP12ihipStream_tbEUljE_EEESS_ST_SU_S11_S15_S17_T6_T7_T9_mT8_S19_bDpT10_ENKUlT_T0_E_clISt17integral_constantIbLb0EES1L_IbLb1EEEEDaS1H_S1I_EUlS1H_E_NS1_11comp_targetILNS1_3genE5ELNS1_11target_archE942ELNS1_3gpuE9ELNS1_3repE0EEENS1_30default_config_static_selectorELNS0_4arch9wavefront6targetE0EEEvSV_
		.amdhsa_group_segment_fixed_size 0
		.amdhsa_private_segment_fixed_size 0
		.amdhsa_kernarg_size 152
		.amdhsa_user_sgpr_count 15
		.amdhsa_user_sgpr_dispatch_ptr 0
		.amdhsa_user_sgpr_queue_ptr 0
		.amdhsa_user_sgpr_kernarg_segment_ptr 1
		.amdhsa_user_sgpr_dispatch_id 0
		.amdhsa_user_sgpr_private_segment_size 0
		.amdhsa_wavefront_size32 1
		.amdhsa_uses_dynamic_stack 0
		.amdhsa_enable_private_segment 0
		.amdhsa_system_sgpr_workgroup_id_x 1
		.amdhsa_system_sgpr_workgroup_id_y 0
		.amdhsa_system_sgpr_workgroup_id_z 0
		.amdhsa_system_sgpr_workgroup_info 0
		.amdhsa_system_vgpr_workitem_id 0
		.amdhsa_next_free_vgpr 1
		.amdhsa_next_free_sgpr 1
		.amdhsa_reserve_vcc 0
		.amdhsa_float_round_mode_32 0
		.amdhsa_float_round_mode_16_64 0
		.amdhsa_float_denorm_mode_32 3
		.amdhsa_float_denorm_mode_16_64 3
		.amdhsa_dx10_clamp 1
		.amdhsa_ieee_mode 1
		.amdhsa_fp16_overflow 0
		.amdhsa_workgroup_processor_mode 1
		.amdhsa_memory_ordered 1
		.amdhsa_forward_progress 0
		.amdhsa_shared_vgpr_count 0
		.amdhsa_exception_fp_ieee_invalid_op 0
		.amdhsa_exception_fp_denorm_src 0
		.amdhsa_exception_fp_ieee_div_zero 0
		.amdhsa_exception_fp_ieee_overflow 0
		.amdhsa_exception_fp_ieee_underflow 0
		.amdhsa_exception_fp_ieee_inexact 0
		.amdhsa_exception_int_div_zero 0
	.end_amdhsa_kernel
	.section	.text._ZN7rocprim17ROCPRIM_400000_NS6detail17trampoline_kernelINS0_13select_configILj256ELj13ELNS0_17block_load_methodE3ELS4_3ELS4_3ELNS0_20block_scan_algorithmE0ELj4294967295EEENS1_25partition_config_selectorILNS1_17partition_subalgoE3EjNS0_10empty_typeEbEEZZNS1_14partition_implILS8_3ELb0ES6_jNS0_17counting_iteratorIjlEEPS9_SE_NS0_5tupleIJPjSE_EEENSF_IJSE_SE_EEES9_SG_JZNS1_25segmented_radix_sort_implINS0_14default_configELb1EPKlPlSM_SN_N2at6native12_GLOBAL__N_18offset_tEEE10hipError_tPvRmT1_PNSt15iterator_traitsISV_E10value_typeET2_T3_PNSW_IS11_E10value_typeET4_jRbjT5_S17_jjP12ihipStream_tbEUljE_EEESS_ST_SU_S11_S15_S17_T6_T7_T9_mT8_S19_bDpT10_ENKUlT_T0_E_clISt17integral_constantIbLb0EES1L_IbLb1EEEEDaS1H_S1I_EUlS1H_E_NS1_11comp_targetILNS1_3genE5ELNS1_11target_archE942ELNS1_3gpuE9ELNS1_3repE0EEENS1_30default_config_static_selectorELNS0_4arch9wavefront6targetE0EEEvSV_,"axG",@progbits,_ZN7rocprim17ROCPRIM_400000_NS6detail17trampoline_kernelINS0_13select_configILj256ELj13ELNS0_17block_load_methodE3ELS4_3ELS4_3ELNS0_20block_scan_algorithmE0ELj4294967295EEENS1_25partition_config_selectorILNS1_17partition_subalgoE3EjNS0_10empty_typeEbEEZZNS1_14partition_implILS8_3ELb0ES6_jNS0_17counting_iteratorIjlEEPS9_SE_NS0_5tupleIJPjSE_EEENSF_IJSE_SE_EEES9_SG_JZNS1_25segmented_radix_sort_implINS0_14default_configELb1EPKlPlSM_SN_N2at6native12_GLOBAL__N_18offset_tEEE10hipError_tPvRmT1_PNSt15iterator_traitsISV_E10value_typeET2_T3_PNSW_IS11_E10value_typeET4_jRbjT5_S17_jjP12ihipStream_tbEUljE_EEESS_ST_SU_S11_S15_S17_T6_T7_T9_mT8_S19_bDpT10_ENKUlT_T0_E_clISt17integral_constantIbLb0EES1L_IbLb1EEEEDaS1H_S1I_EUlS1H_E_NS1_11comp_targetILNS1_3genE5ELNS1_11target_archE942ELNS1_3gpuE9ELNS1_3repE0EEENS1_30default_config_static_selectorELNS0_4arch9wavefront6targetE0EEEvSV_,comdat
.Lfunc_end697:
	.size	_ZN7rocprim17ROCPRIM_400000_NS6detail17trampoline_kernelINS0_13select_configILj256ELj13ELNS0_17block_load_methodE3ELS4_3ELS4_3ELNS0_20block_scan_algorithmE0ELj4294967295EEENS1_25partition_config_selectorILNS1_17partition_subalgoE3EjNS0_10empty_typeEbEEZZNS1_14partition_implILS8_3ELb0ES6_jNS0_17counting_iteratorIjlEEPS9_SE_NS0_5tupleIJPjSE_EEENSF_IJSE_SE_EEES9_SG_JZNS1_25segmented_radix_sort_implINS0_14default_configELb1EPKlPlSM_SN_N2at6native12_GLOBAL__N_18offset_tEEE10hipError_tPvRmT1_PNSt15iterator_traitsISV_E10value_typeET2_T3_PNSW_IS11_E10value_typeET4_jRbjT5_S17_jjP12ihipStream_tbEUljE_EEESS_ST_SU_S11_S15_S17_T6_T7_T9_mT8_S19_bDpT10_ENKUlT_T0_E_clISt17integral_constantIbLb0EES1L_IbLb1EEEEDaS1H_S1I_EUlS1H_E_NS1_11comp_targetILNS1_3genE5ELNS1_11target_archE942ELNS1_3gpuE9ELNS1_3repE0EEENS1_30default_config_static_selectorELNS0_4arch9wavefront6targetE0EEEvSV_, .Lfunc_end697-_ZN7rocprim17ROCPRIM_400000_NS6detail17trampoline_kernelINS0_13select_configILj256ELj13ELNS0_17block_load_methodE3ELS4_3ELS4_3ELNS0_20block_scan_algorithmE0ELj4294967295EEENS1_25partition_config_selectorILNS1_17partition_subalgoE3EjNS0_10empty_typeEbEEZZNS1_14partition_implILS8_3ELb0ES6_jNS0_17counting_iteratorIjlEEPS9_SE_NS0_5tupleIJPjSE_EEENSF_IJSE_SE_EEES9_SG_JZNS1_25segmented_radix_sort_implINS0_14default_configELb1EPKlPlSM_SN_N2at6native12_GLOBAL__N_18offset_tEEE10hipError_tPvRmT1_PNSt15iterator_traitsISV_E10value_typeET2_T3_PNSW_IS11_E10value_typeET4_jRbjT5_S17_jjP12ihipStream_tbEUljE_EEESS_ST_SU_S11_S15_S17_T6_T7_T9_mT8_S19_bDpT10_ENKUlT_T0_E_clISt17integral_constantIbLb0EES1L_IbLb1EEEEDaS1H_S1I_EUlS1H_E_NS1_11comp_targetILNS1_3genE5ELNS1_11target_archE942ELNS1_3gpuE9ELNS1_3repE0EEENS1_30default_config_static_selectorELNS0_4arch9wavefront6targetE0EEEvSV_
                                        ; -- End function
	.section	.AMDGPU.csdata,"",@progbits
; Kernel info:
; codeLenInByte = 0
; NumSgprs: 0
; NumVgprs: 0
; ScratchSize: 0
; MemoryBound: 0
; FloatMode: 240
; IeeeMode: 1
; LDSByteSize: 0 bytes/workgroup (compile time only)
; SGPRBlocks: 0
; VGPRBlocks: 0
; NumSGPRsForWavesPerEU: 1
; NumVGPRsForWavesPerEU: 1
; Occupancy: 16
; WaveLimiterHint : 0
; COMPUTE_PGM_RSRC2:SCRATCH_EN: 0
; COMPUTE_PGM_RSRC2:USER_SGPR: 15
; COMPUTE_PGM_RSRC2:TRAP_HANDLER: 0
; COMPUTE_PGM_RSRC2:TGID_X_EN: 1
; COMPUTE_PGM_RSRC2:TGID_Y_EN: 0
; COMPUTE_PGM_RSRC2:TGID_Z_EN: 0
; COMPUTE_PGM_RSRC2:TIDIG_COMP_CNT: 0
	.section	.text._ZN7rocprim17ROCPRIM_400000_NS6detail17trampoline_kernelINS0_13select_configILj256ELj13ELNS0_17block_load_methodE3ELS4_3ELS4_3ELNS0_20block_scan_algorithmE0ELj4294967295EEENS1_25partition_config_selectorILNS1_17partition_subalgoE3EjNS0_10empty_typeEbEEZZNS1_14partition_implILS8_3ELb0ES6_jNS0_17counting_iteratorIjlEEPS9_SE_NS0_5tupleIJPjSE_EEENSF_IJSE_SE_EEES9_SG_JZNS1_25segmented_radix_sort_implINS0_14default_configELb1EPKlPlSM_SN_N2at6native12_GLOBAL__N_18offset_tEEE10hipError_tPvRmT1_PNSt15iterator_traitsISV_E10value_typeET2_T3_PNSW_IS11_E10value_typeET4_jRbjT5_S17_jjP12ihipStream_tbEUljE_EEESS_ST_SU_S11_S15_S17_T6_T7_T9_mT8_S19_bDpT10_ENKUlT_T0_E_clISt17integral_constantIbLb0EES1L_IbLb1EEEEDaS1H_S1I_EUlS1H_E_NS1_11comp_targetILNS1_3genE4ELNS1_11target_archE910ELNS1_3gpuE8ELNS1_3repE0EEENS1_30default_config_static_selectorELNS0_4arch9wavefront6targetE0EEEvSV_,"axG",@progbits,_ZN7rocprim17ROCPRIM_400000_NS6detail17trampoline_kernelINS0_13select_configILj256ELj13ELNS0_17block_load_methodE3ELS4_3ELS4_3ELNS0_20block_scan_algorithmE0ELj4294967295EEENS1_25partition_config_selectorILNS1_17partition_subalgoE3EjNS0_10empty_typeEbEEZZNS1_14partition_implILS8_3ELb0ES6_jNS0_17counting_iteratorIjlEEPS9_SE_NS0_5tupleIJPjSE_EEENSF_IJSE_SE_EEES9_SG_JZNS1_25segmented_radix_sort_implINS0_14default_configELb1EPKlPlSM_SN_N2at6native12_GLOBAL__N_18offset_tEEE10hipError_tPvRmT1_PNSt15iterator_traitsISV_E10value_typeET2_T3_PNSW_IS11_E10value_typeET4_jRbjT5_S17_jjP12ihipStream_tbEUljE_EEESS_ST_SU_S11_S15_S17_T6_T7_T9_mT8_S19_bDpT10_ENKUlT_T0_E_clISt17integral_constantIbLb0EES1L_IbLb1EEEEDaS1H_S1I_EUlS1H_E_NS1_11comp_targetILNS1_3genE4ELNS1_11target_archE910ELNS1_3gpuE8ELNS1_3repE0EEENS1_30default_config_static_selectorELNS0_4arch9wavefront6targetE0EEEvSV_,comdat
	.globl	_ZN7rocprim17ROCPRIM_400000_NS6detail17trampoline_kernelINS0_13select_configILj256ELj13ELNS0_17block_load_methodE3ELS4_3ELS4_3ELNS0_20block_scan_algorithmE0ELj4294967295EEENS1_25partition_config_selectorILNS1_17partition_subalgoE3EjNS0_10empty_typeEbEEZZNS1_14partition_implILS8_3ELb0ES6_jNS0_17counting_iteratorIjlEEPS9_SE_NS0_5tupleIJPjSE_EEENSF_IJSE_SE_EEES9_SG_JZNS1_25segmented_radix_sort_implINS0_14default_configELb1EPKlPlSM_SN_N2at6native12_GLOBAL__N_18offset_tEEE10hipError_tPvRmT1_PNSt15iterator_traitsISV_E10value_typeET2_T3_PNSW_IS11_E10value_typeET4_jRbjT5_S17_jjP12ihipStream_tbEUljE_EEESS_ST_SU_S11_S15_S17_T6_T7_T9_mT8_S19_bDpT10_ENKUlT_T0_E_clISt17integral_constantIbLb0EES1L_IbLb1EEEEDaS1H_S1I_EUlS1H_E_NS1_11comp_targetILNS1_3genE4ELNS1_11target_archE910ELNS1_3gpuE8ELNS1_3repE0EEENS1_30default_config_static_selectorELNS0_4arch9wavefront6targetE0EEEvSV_ ; -- Begin function _ZN7rocprim17ROCPRIM_400000_NS6detail17trampoline_kernelINS0_13select_configILj256ELj13ELNS0_17block_load_methodE3ELS4_3ELS4_3ELNS0_20block_scan_algorithmE0ELj4294967295EEENS1_25partition_config_selectorILNS1_17partition_subalgoE3EjNS0_10empty_typeEbEEZZNS1_14partition_implILS8_3ELb0ES6_jNS0_17counting_iteratorIjlEEPS9_SE_NS0_5tupleIJPjSE_EEENSF_IJSE_SE_EEES9_SG_JZNS1_25segmented_radix_sort_implINS0_14default_configELb1EPKlPlSM_SN_N2at6native12_GLOBAL__N_18offset_tEEE10hipError_tPvRmT1_PNSt15iterator_traitsISV_E10value_typeET2_T3_PNSW_IS11_E10value_typeET4_jRbjT5_S17_jjP12ihipStream_tbEUljE_EEESS_ST_SU_S11_S15_S17_T6_T7_T9_mT8_S19_bDpT10_ENKUlT_T0_E_clISt17integral_constantIbLb0EES1L_IbLb1EEEEDaS1H_S1I_EUlS1H_E_NS1_11comp_targetILNS1_3genE4ELNS1_11target_archE910ELNS1_3gpuE8ELNS1_3repE0EEENS1_30default_config_static_selectorELNS0_4arch9wavefront6targetE0EEEvSV_
	.p2align	8
	.type	_ZN7rocprim17ROCPRIM_400000_NS6detail17trampoline_kernelINS0_13select_configILj256ELj13ELNS0_17block_load_methodE3ELS4_3ELS4_3ELNS0_20block_scan_algorithmE0ELj4294967295EEENS1_25partition_config_selectorILNS1_17partition_subalgoE3EjNS0_10empty_typeEbEEZZNS1_14partition_implILS8_3ELb0ES6_jNS0_17counting_iteratorIjlEEPS9_SE_NS0_5tupleIJPjSE_EEENSF_IJSE_SE_EEES9_SG_JZNS1_25segmented_radix_sort_implINS0_14default_configELb1EPKlPlSM_SN_N2at6native12_GLOBAL__N_18offset_tEEE10hipError_tPvRmT1_PNSt15iterator_traitsISV_E10value_typeET2_T3_PNSW_IS11_E10value_typeET4_jRbjT5_S17_jjP12ihipStream_tbEUljE_EEESS_ST_SU_S11_S15_S17_T6_T7_T9_mT8_S19_bDpT10_ENKUlT_T0_E_clISt17integral_constantIbLb0EES1L_IbLb1EEEEDaS1H_S1I_EUlS1H_E_NS1_11comp_targetILNS1_3genE4ELNS1_11target_archE910ELNS1_3gpuE8ELNS1_3repE0EEENS1_30default_config_static_selectorELNS0_4arch9wavefront6targetE0EEEvSV_,@function
_ZN7rocprim17ROCPRIM_400000_NS6detail17trampoline_kernelINS0_13select_configILj256ELj13ELNS0_17block_load_methodE3ELS4_3ELS4_3ELNS0_20block_scan_algorithmE0ELj4294967295EEENS1_25partition_config_selectorILNS1_17partition_subalgoE3EjNS0_10empty_typeEbEEZZNS1_14partition_implILS8_3ELb0ES6_jNS0_17counting_iteratorIjlEEPS9_SE_NS0_5tupleIJPjSE_EEENSF_IJSE_SE_EEES9_SG_JZNS1_25segmented_radix_sort_implINS0_14default_configELb1EPKlPlSM_SN_N2at6native12_GLOBAL__N_18offset_tEEE10hipError_tPvRmT1_PNSt15iterator_traitsISV_E10value_typeET2_T3_PNSW_IS11_E10value_typeET4_jRbjT5_S17_jjP12ihipStream_tbEUljE_EEESS_ST_SU_S11_S15_S17_T6_T7_T9_mT8_S19_bDpT10_ENKUlT_T0_E_clISt17integral_constantIbLb0EES1L_IbLb1EEEEDaS1H_S1I_EUlS1H_E_NS1_11comp_targetILNS1_3genE4ELNS1_11target_archE910ELNS1_3gpuE8ELNS1_3repE0EEENS1_30default_config_static_selectorELNS0_4arch9wavefront6targetE0EEEvSV_: ; @_ZN7rocprim17ROCPRIM_400000_NS6detail17trampoline_kernelINS0_13select_configILj256ELj13ELNS0_17block_load_methodE3ELS4_3ELS4_3ELNS0_20block_scan_algorithmE0ELj4294967295EEENS1_25partition_config_selectorILNS1_17partition_subalgoE3EjNS0_10empty_typeEbEEZZNS1_14partition_implILS8_3ELb0ES6_jNS0_17counting_iteratorIjlEEPS9_SE_NS0_5tupleIJPjSE_EEENSF_IJSE_SE_EEES9_SG_JZNS1_25segmented_radix_sort_implINS0_14default_configELb1EPKlPlSM_SN_N2at6native12_GLOBAL__N_18offset_tEEE10hipError_tPvRmT1_PNSt15iterator_traitsISV_E10value_typeET2_T3_PNSW_IS11_E10value_typeET4_jRbjT5_S17_jjP12ihipStream_tbEUljE_EEESS_ST_SU_S11_S15_S17_T6_T7_T9_mT8_S19_bDpT10_ENKUlT_T0_E_clISt17integral_constantIbLb0EES1L_IbLb1EEEEDaS1H_S1I_EUlS1H_E_NS1_11comp_targetILNS1_3genE4ELNS1_11target_archE910ELNS1_3gpuE8ELNS1_3repE0EEENS1_30default_config_static_selectorELNS0_4arch9wavefront6targetE0EEEvSV_
; %bb.0:
	.section	.rodata,"a",@progbits
	.p2align	6, 0x0
	.amdhsa_kernel _ZN7rocprim17ROCPRIM_400000_NS6detail17trampoline_kernelINS0_13select_configILj256ELj13ELNS0_17block_load_methodE3ELS4_3ELS4_3ELNS0_20block_scan_algorithmE0ELj4294967295EEENS1_25partition_config_selectorILNS1_17partition_subalgoE3EjNS0_10empty_typeEbEEZZNS1_14partition_implILS8_3ELb0ES6_jNS0_17counting_iteratorIjlEEPS9_SE_NS0_5tupleIJPjSE_EEENSF_IJSE_SE_EEES9_SG_JZNS1_25segmented_radix_sort_implINS0_14default_configELb1EPKlPlSM_SN_N2at6native12_GLOBAL__N_18offset_tEEE10hipError_tPvRmT1_PNSt15iterator_traitsISV_E10value_typeET2_T3_PNSW_IS11_E10value_typeET4_jRbjT5_S17_jjP12ihipStream_tbEUljE_EEESS_ST_SU_S11_S15_S17_T6_T7_T9_mT8_S19_bDpT10_ENKUlT_T0_E_clISt17integral_constantIbLb0EES1L_IbLb1EEEEDaS1H_S1I_EUlS1H_E_NS1_11comp_targetILNS1_3genE4ELNS1_11target_archE910ELNS1_3gpuE8ELNS1_3repE0EEENS1_30default_config_static_selectorELNS0_4arch9wavefront6targetE0EEEvSV_
		.amdhsa_group_segment_fixed_size 0
		.amdhsa_private_segment_fixed_size 0
		.amdhsa_kernarg_size 152
		.amdhsa_user_sgpr_count 15
		.amdhsa_user_sgpr_dispatch_ptr 0
		.amdhsa_user_sgpr_queue_ptr 0
		.amdhsa_user_sgpr_kernarg_segment_ptr 1
		.amdhsa_user_sgpr_dispatch_id 0
		.amdhsa_user_sgpr_private_segment_size 0
		.amdhsa_wavefront_size32 1
		.amdhsa_uses_dynamic_stack 0
		.amdhsa_enable_private_segment 0
		.amdhsa_system_sgpr_workgroup_id_x 1
		.amdhsa_system_sgpr_workgroup_id_y 0
		.amdhsa_system_sgpr_workgroup_id_z 0
		.amdhsa_system_sgpr_workgroup_info 0
		.amdhsa_system_vgpr_workitem_id 0
		.amdhsa_next_free_vgpr 1
		.amdhsa_next_free_sgpr 1
		.amdhsa_reserve_vcc 0
		.amdhsa_float_round_mode_32 0
		.amdhsa_float_round_mode_16_64 0
		.amdhsa_float_denorm_mode_32 3
		.amdhsa_float_denorm_mode_16_64 3
		.amdhsa_dx10_clamp 1
		.amdhsa_ieee_mode 1
		.amdhsa_fp16_overflow 0
		.amdhsa_workgroup_processor_mode 1
		.amdhsa_memory_ordered 1
		.amdhsa_forward_progress 0
		.amdhsa_shared_vgpr_count 0
		.amdhsa_exception_fp_ieee_invalid_op 0
		.amdhsa_exception_fp_denorm_src 0
		.amdhsa_exception_fp_ieee_div_zero 0
		.amdhsa_exception_fp_ieee_overflow 0
		.amdhsa_exception_fp_ieee_underflow 0
		.amdhsa_exception_fp_ieee_inexact 0
		.amdhsa_exception_int_div_zero 0
	.end_amdhsa_kernel
	.section	.text._ZN7rocprim17ROCPRIM_400000_NS6detail17trampoline_kernelINS0_13select_configILj256ELj13ELNS0_17block_load_methodE3ELS4_3ELS4_3ELNS0_20block_scan_algorithmE0ELj4294967295EEENS1_25partition_config_selectorILNS1_17partition_subalgoE3EjNS0_10empty_typeEbEEZZNS1_14partition_implILS8_3ELb0ES6_jNS0_17counting_iteratorIjlEEPS9_SE_NS0_5tupleIJPjSE_EEENSF_IJSE_SE_EEES9_SG_JZNS1_25segmented_radix_sort_implINS0_14default_configELb1EPKlPlSM_SN_N2at6native12_GLOBAL__N_18offset_tEEE10hipError_tPvRmT1_PNSt15iterator_traitsISV_E10value_typeET2_T3_PNSW_IS11_E10value_typeET4_jRbjT5_S17_jjP12ihipStream_tbEUljE_EEESS_ST_SU_S11_S15_S17_T6_T7_T9_mT8_S19_bDpT10_ENKUlT_T0_E_clISt17integral_constantIbLb0EES1L_IbLb1EEEEDaS1H_S1I_EUlS1H_E_NS1_11comp_targetILNS1_3genE4ELNS1_11target_archE910ELNS1_3gpuE8ELNS1_3repE0EEENS1_30default_config_static_selectorELNS0_4arch9wavefront6targetE0EEEvSV_,"axG",@progbits,_ZN7rocprim17ROCPRIM_400000_NS6detail17trampoline_kernelINS0_13select_configILj256ELj13ELNS0_17block_load_methodE3ELS4_3ELS4_3ELNS0_20block_scan_algorithmE0ELj4294967295EEENS1_25partition_config_selectorILNS1_17partition_subalgoE3EjNS0_10empty_typeEbEEZZNS1_14partition_implILS8_3ELb0ES6_jNS0_17counting_iteratorIjlEEPS9_SE_NS0_5tupleIJPjSE_EEENSF_IJSE_SE_EEES9_SG_JZNS1_25segmented_radix_sort_implINS0_14default_configELb1EPKlPlSM_SN_N2at6native12_GLOBAL__N_18offset_tEEE10hipError_tPvRmT1_PNSt15iterator_traitsISV_E10value_typeET2_T3_PNSW_IS11_E10value_typeET4_jRbjT5_S17_jjP12ihipStream_tbEUljE_EEESS_ST_SU_S11_S15_S17_T6_T7_T9_mT8_S19_bDpT10_ENKUlT_T0_E_clISt17integral_constantIbLb0EES1L_IbLb1EEEEDaS1H_S1I_EUlS1H_E_NS1_11comp_targetILNS1_3genE4ELNS1_11target_archE910ELNS1_3gpuE8ELNS1_3repE0EEENS1_30default_config_static_selectorELNS0_4arch9wavefront6targetE0EEEvSV_,comdat
.Lfunc_end698:
	.size	_ZN7rocprim17ROCPRIM_400000_NS6detail17trampoline_kernelINS0_13select_configILj256ELj13ELNS0_17block_load_methodE3ELS4_3ELS4_3ELNS0_20block_scan_algorithmE0ELj4294967295EEENS1_25partition_config_selectorILNS1_17partition_subalgoE3EjNS0_10empty_typeEbEEZZNS1_14partition_implILS8_3ELb0ES6_jNS0_17counting_iteratorIjlEEPS9_SE_NS0_5tupleIJPjSE_EEENSF_IJSE_SE_EEES9_SG_JZNS1_25segmented_radix_sort_implINS0_14default_configELb1EPKlPlSM_SN_N2at6native12_GLOBAL__N_18offset_tEEE10hipError_tPvRmT1_PNSt15iterator_traitsISV_E10value_typeET2_T3_PNSW_IS11_E10value_typeET4_jRbjT5_S17_jjP12ihipStream_tbEUljE_EEESS_ST_SU_S11_S15_S17_T6_T7_T9_mT8_S19_bDpT10_ENKUlT_T0_E_clISt17integral_constantIbLb0EES1L_IbLb1EEEEDaS1H_S1I_EUlS1H_E_NS1_11comp_targetILNS1_3genE4ELNS1_11target_archE910ELNS1_3gpuE8ELNS1_3repE0EEENS1_30default_config_static_selectorELNS0_4arch9wavefront6targetE0EEEvSV_, .Lfunc_end698-_ZN7rocprim17ROCPRIM_400000_NS6detail17trampoline_kernelINS0_13select_configILj256ELj13ELNS0_17block_load_methodE3ELS4_3ELS4_3ELNS0_20block_scan_algorithmE0ELj4294967295EEENS1_25partition_config_selectorILNS1_17partition_subalgoE3EjNS0_10empty_typeEbEEZZNS1_14partition_implILS8_3ELb0ES6_jNS0_17counting_iteratorIjlEEPS9_SE_NS0_5tupleIJPjSE_EEENSF_IJSE_SE_EEES9_SG_JZNS1_25segmented_radix_sort_implINS0_14default_configELb1EPKlPlSM_SN_N2at6native12_GLOBAL__N_18offset_tEEE10hipError_tPvRmT1_PNSt15iterator_traitsISV_E10value_typeET2_T3_PNSW_IS11_E10value_typeET4_jRbjT5_S17_jjP12ihipStream_tbEUljE_EEESS_ST_SU_S11_S15_S17_T6_T7_T9_mT8_S19_bDpT10_ENKUlT_T0_E_clISt17integral_constantIbLb0EES1L_IbLb1EEEEDaS1H_S1I_EUlS1H_E_NS1_11comp_targetILNS1_3genE4ELNS1_11target_archE910ELNS1_3gpuE8ELNS1_3repE0EEENS1_30default_config_static_selectorELNS0_4arch9wavefront6targetE0EEEvSV_
                                        ; -- End function
	.section	.AMDGPU.csdata,"",@progbits
; Kernel info:
; codeLenInByte = 0
; NumSgprs: 0
; NumVgprs: 0
; ScratchSize: 0
; MemoryBound: 0
; FloatMode: 240
; IeeeMode: 1
; LDSByteSize: 0 bytes/workgroup (compile time only)
; SGPRBlocks: 0
; VGPRBlocks: 0
; NumSGPRsForWavesPerEU: 1
; NumVGPRsForWavesPerEU: 1
; Occupancy: 16
; WaveLimiterHint : 0
; COMPUTE_PGM_RSRC2:SCRATCH_EN: 0
; COMPUTE_PGM_RSRC2:USER_SGPR: 15
; COMPUTE_PGM_RSRC2:TRAP_HANDLER: 0
; COMPUTE_PGM_RSRC2:TGID_X_EN: 1
; COMPUTE_PGM_RSRC2:TGID_Y_EN: 0
; COMPUTE_PGM_RSRC2:TGID_Z_EN: 0
; COMPUTE_PGM_RSRC2:TIDIG_COMP_CNT: 0
	.section	.text._ZN7rocprim17ROCPRIM_400000_NS6detail17trampoline_kernelINS0_13select_configILj256ELj13ELNS0_17block_load_methodE3ELS4_3ELS4_3ELNS0_20block_scan_algorithmE0ELj4294967295EEENS1_25partition_config_selectorILNS1_17partition_subalgoE3EjNS0_10empty_typeEbEEZZNS1_14partition_implILS8_3ELb0ES6_jNS0_17counting_iteratorIjlEEPS9_SE_NS0_5tupleIJPjSE_EEENSF_IJSE_SE_EEES9_SG_JZNS1_25segmented_radix_sort_implINS0_14default_configELb1EPKlPlSM_SN_N2at6native12_GLOBAL__N_18offset_tEEE10hipError_tPvRmT1_PNSt15iterator_traitsISV_E10value_typeET2_T3_PNSW_IS11_E10value_typeET4_jRbjT5_S17_jjP12ihipStream_tbEUljE_EEESS_ST_SU_S11_S15_S17_T6_T7_T9_mT8_S19_bDpT10_ENKUlT_T0_E_clISt17integral_constantIbLb0EES1L_IbLb1EEEEDaS1H_S1I_EUlS1H_E_NS1_11comp_targetILNS1_3genE3ELNS1_11target_archE908ELNS1_3gpuE7ELNS1_3repE0EEENS1_30default_config_static_selectorELNS0_4arch9wavefront6targetE0EEEvSV_,"axG",@progbits,_ZN7rocprim17ROCPRIM_400000_NS6detail17trampoline_kernelINS0_13select_configILj256ELj13ELNS0_17block_load_methodE3ELS4_3ELS4_3ELNS0_20block_scan_algorithmE0ELj4294967295EEENS1_25partition_config_selectorILNS1_17partition_subalgoE3EjNS0_10empty_typeEbEEZZNS1_14partition_implILS8_3ELb0ES6_jNS0_17counting_iteratorIjlEEPS9_SE_NS0_5tupleIJPjSE_EEENSF_IJSE_SE_EEES9_SG_JZNS1_25segmented_radix_sort_implINS0_14default_configELb1EPKlPlSM_SN_N2at6native12_GLOBAL__N_18offset_tEEE10hipError_tPvRmT1_PNSt15iterator_traitsISV_E10value_typeET2_T3_PNSW_IS11_E10value_typeET4_jRbjT5_S17_jjP12ihipStream_tbEUljE_EEESS_ST_SU_S11_S15_S17_T6_T7_T9_mT8_S19_bDpT10_ENKUlT_T0_E_clISt17integral_constantIbLb0EES1L_IbLb1EEEEDaS1H_S1I_EUlS1H_E_NS1_11comp_targetILNS1_3genE3ELNS1_11target_archE908ELNS1_3gpuE7ELNS1_3repE0EEENS1_30default_config_static_selectorELNS0_4arch9wavefront6targetE0EEEvSV_,comdat
	.globl	_ZN7rocprim17ROCPRIM_400000_NS6detail17trampoline_kernelINS0_13select_configILj256ELj13ELNS0_17block_load_methodE3ELS4_3ELS4_3ELNS0_20block_scan_algorithmE0ELj4294967295EEENS1_25partition_config_selectorILNS1_17partition_subalgoE3EjNS0_10empty_typeEbEEZZNS1_14partition_implILS8_3ELb0ES6_jNS0_17counting_iteratorIjlEEPS9_SE_NS0_5tupleIJPjSE_EEENSF_IJSE_SE_EEES9_SG_JZNS1_25segmented_radix_sort_implINS0_14default_configELb1EPKlPlSM_SN_N2at6native12_GLOBAL__N_18offset_tEEE10hipError_tPvRmT1_PNSt15iterator_traitsISV_E10value_typeET2_T3_PNSW_IS11_E10value_typeET4_jRbjT5_S17_jjP12ihipStream_tbEUljE_EEESS_ST_SU_S11_S15_S17_T6_T7_T9_mT8_S19_bDpT10_ENKUlT_T0_E_clISt17integral_constantIbLb0EES1L_IbLb1EEEEDaS1H_S1I_EUlS1H_E_NS1_11comp_targetILNS1_3genE3ELNS1_11target_archE908ELNS1_3gpuE7ELNS1_3repE0EEENS1_30default_config_static_selectorELNS0_4arch9wavefront6targetE0EEEvSV_ ; -- Begin function _ZN7rocprim17ROCPRIM_400000_NS6detail17trampoline_kernelINS0_13select_configILj256ELj13ELNS0_17block_load_methodE3ELS4_3ELS4_3ELNS0_20block_scan_algorithmE0ELj4294967295EEENS1_25partition_config_selectorILNS1_17partition_subalgoE3EjNS0_10empty_typeEbEEZZNS1_14partition_implILS8_3ELb0ES6_jNS0_17counting_iteratorIjlEEPS9_SE_NS0_5tupleIJPjSE_EEENSF_IJSE_SE_EEES9_SG_JZNS1_25segmented_radix_sort_implINS0_14default_configELb1EPKlPlSM_SN_N2at6native12_GLOBAL__N_18offset_tEEE10hipError_tPvRmT1_PNSt15iterator_traitsISV_E10value_typeET2_T3_PNSW_IS11_E10value_typeET4_jRbjT5_S17_jjP12ihipStream_tbEUljE_EEESS_ST_SU_S11_S15_S17_T6_T7_T9_mT8_S19_bDpT10_ENKUlT_T0_E_clISt17integral_constantIbLb0EES1L_IbLb1EEEEDaS1H_S1I_EUlS1H_E_NS1_11comp_targetILNS1_3genE3ELNS1_11target_archE908ELNS1_3gpuE7ELNS1_3repE0EEENS1_30default_config_static_selectorELNS0_4arch9wavefront6targetE0EEEvSV_
	.p2align	8
	.type	_ZN7rocprim17ROCPRIM_400000_NS6detail17trampoline_kernelINS0_13select_configILj256ELj13ELNS0_17block_load_methodE3ELS4_3ELS4_3ELNS0_20block_scan_algorithmE0ELj4294967295EEENS1_25partition_config_selectorILNS1_17partition_subalgoE3EjNS0_10empty_typeEbEEZZNS1_14partition_implILS8_3ELb0ES6_jNS0_17counting_iteratorIjlEEPS9_SE_NS0_5tupleIJPjSE_EEENSF_IJSE_SE_EEES9_SG_JZNS1_25segmented_radix_sort_implINS0_14default_configELb1EPKlPlSM_SN_N2at6native12_GLOBAL__N_18offset_tEEE10hipError_tPvRmT1_PNSt15iterator_traitsISV_E10value_typeET2_T3_PNSW_IS11_E10value_typeET4_jRbjT5_S17_jjP12ihipStream_tbEUljE_EEESS_ST_SU_S11_S15_S17_T6_T7_T9_mT8_S19_bDpT10_ENKUlT_T0_E_clISt17integral_constantIbLb0EES1L_IbLb1EEEEDaS1H_S1I_EUlS1H_E_NS1_11comp_targetILNS1_3genE3ELNS1_11target_archE908ELNS1_3gpuE7ELNS1_3repE0EEENS1_30default_config_static_selectorELNS0_4arch9wavefront6targetE0EEEvSV_,@function
_ZN7rocprim17ROCPRIM_400000_NS6detail17trampoline_kernelINS0_13select_configILj256ELj13ELNS0_17block_load_methodE3ELS4_3ELS4_3ELNS0_20block_scan_algorithmE0ELj4294967295EEENS1_25partition_config_selectorILNS1_17partition_subalgoE3EjNS0_10empty_typeEbEEZZNS1_14partition_implILS8_3ELb0ES6_jNS0_17counting_iteratorIjlEEPS9_SE_NS0_5tupleIJPjSE_EEENSF_IJSE_SE_EEES9_SG_JZNS1_25segmented_radix_sort_implINS0_14default_configELb1EPKlPlSM_SN_N2at6native12_GLOBAL__N_18offset_tEEE10hipError_tPvRmT1_PNSt15iterator_traitsISV_E10value_typeET2_T3_PNSW_IS11_E10value_typeET4_jRbjT5_S17_jjP12ihipStream_tbEUljE_EEESS_ST_SU_S11_S15_S17_T6_T7_T9_mT8_S19_bDpT10_ENKUlT_T0_E_clISt17integral_constantIbLb0EES1L_IbLb1EEEEDaS1H_S1I_EUlS1H_E_NS1_11comp_targetILNS1_3genE3ELNS1_11target_archE908ELNS1_3gpuE7ELNS1_3repE0EEENS1_30default_config_static_selectorELNS0_4arch9wavefront6targetE0EEEvSV_: ; @_ZN7rocprim17ROCPRIM_400000_NS6detail17trampoline_kernelINS0_13select_configILj256ELj13ELNS0_17block_load_methodE3ELS4_3ELS4_3ELNS0_20block_scan_algorithmE0ELj4294967295EEENS1_25partition_config_selectorILNS1_17partition_subalgoE3EjNS0_10empty_typeEbEEZZNS1_14partition_implILS8_3ELb0ES6_jNS0_17counting_iteratorIjlEEPS9_SE_NS0_5tupleIJPjSE_EEENSF_IJSE_SE_EEES9_SG_JZNS1_25segmented_radix_sort_implINS0_14default_configELb1EPKlPlSM_SN_N2at6native12_GLOBAL__N_18offset_tEEE10hipError_tPvRmT1_PNSt15iterator_traitsISV_E10value_typeET2_T3_PNSW_IS11_E10value_typeET4_jRbjT5_S17_jjP12ihipStream_tbEUljE_EEESS_ST_SU_S11_S15_S17_T6_T7_T9_mT8_S19_bDpT10_ENKUlT_T0_E_clISt17integral_constantIbLb0EES1L_IbLb1EEEEDaS1H_S1I_EUlS1H_E_NS1_11comp_targetILNS1_3genE3ELNS1_11target_archE908ELNS1_3gpuE7ELNS1_3repE0EEENS1_30default_config_static_selectorELNS0_4arch9wavefront6targetE0EEEvSV_
; %bb.0:
	.section	.rodata,"a",@progbits
	.p2align	6, 0x0
	.amdhsa_kernel _ZN7rocprim17ROCPRIM_400000_NS6detail17trampoline_kernelINS0_13select_configILj256ELj13ELNS0_17block_load_methodE3ELS4_3ELS4_3ELNS0_20block_scan_algorithmE0ELj4294967295EEENS1_25partition_config_selectorILNS1_17partition_subalgoE3EjNS0_10empty_typeEbEEZZNS1_14partition_implILS8_3ELb0ES6_jNS0_17counting_iteratorIjlEEPS9_SE_NS0_5tupleIJPjSE_EEENSF_IJSE_SE_EEES9_SG_JZNS1_25segmented_radix_sort_implINS0_14default_configELb1EPKlPlSM_SN_N2at6native12_GLOBAL__N_18offset_tEEE10hipError_tPvRmT1_PNSt15iterator_traitsISV_E10value_typeET2_T3_PNSW_IS11_E10value_typeET4_jRbjT5_S17_jjP12ihipStream_tbEUljE_EEESS_ST_SU_S11_S15_S17_T6_T7_T9_mT8_S19_bDpT10_ENKUlT_T0_E_clISt17integral_constantIbLb0EES1L_IbLb1EEEEDaS1H_S1I_EUlS1H_E_NS1_11comp_targetILNS1_3genE3ELNS1_11target_archE908ELNS1_3gpuE7ELNS1_3repE0EEENS1_30default_config_static_selectorELNS0_4arch9wavefront6targetE0EEEvSV_
		.amdhsa_group_segment_fixed_size 0
		.amdhsa_private_segment_fixed_size 0
		.amdhsa_kernarg_size 152
		.amdhsa_user_sgpr_count 15
		.amdhsa_user_sgpr_dispatch_ptr 0
		.amdhsa_user_sgpr_queue_ptr 0
		.amdhsa_user_sgpr_kernarg_segment_ptr 1
		.amdhsa_user_sgpr_dispatch_id 0
		.amdhsa_user_sgpr_private_segment_size 0
		.amdhsa_wavefront_size32 1
		.amdhsa_uses_dynamic_stack 0
		.amdhsa_enable_private_segment 0
		.amdhsa_system_sgpr_workgroup_id_x 1
		.amdhsa_system_sgpr_workgroup_id_y 0
		.amdhsa_system_sgpr_workgroup_id_z 0
		.amdhsa_system_sgpr_workgroup_info 0
		.amdhsa_system_vgpr_workitem_id 0
		.amdhsa_next_free_vgpr 1
		.amdhsa_next_free_sgpr 1
		.amdhsa_reserve_vcc 0
		.amdhsa_float_round_mode_32 0
		.amdhsa_float_round_mode_16_64 0
		.amdhsa_float_denorm_mode_32 3
		.amdhsa_float_denorm_mode_16_64 3
		.amdhsa_dx10_clamp 1
		.amdhsa_ieee_mode 1
		.amdhsa_fp16_overflow 0
		.amdhsa_workgroup_processor_mode 1
		.amdhsa_memory_ordered 1
		.amdhsa_forward_progress 0
		.amdhsa_shared_vgpr_count 0
		.amdhsa_exception_fp_ieee_invalid_op 0
		.amdhsa_exception_fp_denorm_src 0
		.amdhsa_exception_fp_ieee_div_zero 0
		.amdhsa_exception_fp_ieee_overflow 0
		.amdhsa_exception_fp_ieee_underflow 0
		.amdhsa_exception_fp_ieee_inexact 0
		.amdhsa_exception_int_div_zero 0
	.end_amdhsa_kernel
	.section	.text._ZN7rocprim17ROCPRIM_400000_NS6detail17trampoline_kernelINS0_13select_configILj256ELj13ELNS0_17block_load_methodE3ELS4_3ELS4_3ELNS0_20block_scan_algorithmE0ELj4294967295EEENS1_25partition_config_selectorILNS1_17partition_subalgoE3EjNS0_10empty_typeEbEEZZNS1_14partition_implILS8_3ELb0ES6_jNS0_17counting_iteratorIjlEEPS9_SE_NS0_5tupleIJPjSE_EEENSF_IJSE_SE_EEES9_SG_JZNS1_25segmented_radix_sort_implINS0_14default_configELb1EPKlPlSM_SN_N2at6native12_GLOBAL__N_18offset_tEEE10hipError_tPvRmT1_PNSt15iterator_traitsISV_E10value_typeET2_T3_PNSW_IS11_E10value_typeET4_jRbjT5_S17_jjP12ihipStream_tbEUljE_EEESS_ST_SU_S11_S15_S17_T6_T7_T9_mT8_S19_bDpT10_ENKUlT_T0_E_clISt17integral_constantIbLb0EES1L_IbLb1EEEEDaS1H_S1I_EUlS1H_E_NS1_11comp_targetILNS1_3genE3ELNS1_11target_archE908ELNS1_3gpuE7ELNS1_3repE0EEENS1_30default_config_static_selectorELNS0_4arch9wavefront6targetE0EEEvSV_,"axG",@progbits,_ZN7rocprim17ROCPRIM_400000_NS6detail17trampoline_kernelINS0_13select_configILj256ELj13ELNS0_17block_load_methodE3ELS4_3ELS4_3ELNS0_20block_scan_algorithmE0ELj4294967295EEENS1_25partition_config_selectorILNS1_17partition_subalgoE3EjNS0_10empty_typeEbEEZZNS1_14partition_implILS8_3ELb0ES6_jNS0_17counting_iteratorIjlEEPS9_SE_NS0_5tupleIJPjSE_EEENSF_IJSE_SE_EEES9_SG_JZNS1_25segmented_radix_sort_implINS0_14default_configELb1EPKlPlSM_SN_N2at6native12_GLOBAL__N_18offset_tEEE10hipError_tPvRmT1_PNSt15iterator_traitsISV_E10value_typeET2_T3_PNSW_IS11_E10value_typeET4_jRbjT5_S17_jjP12ihipStream_tbEUljE_EEESS_ST_SU_S11_S15_S17_T6_T7_T9_mT8_S19_bDpT10_ENKUlT_T0_E_clISt17integral_constantIbLb0EES1L_IbLb1EEEEDaS1H_S1I_EUlS1H_E_NS1_11comp_targetILNS1_3genE3ELNS1_11target_archE908ELNS1_3gpuE7ELNS1_3repE0EEENS1_30default_config_static_selectorELNS0_4arch9wavefront6targetE0EEEvSV_,comdat
.Lfunc_end699:
	.size	_ZN7rocprim17ROCPRIM_400000_NS6detail17trampoline_kernelINS0_13select_configILj256ELj13ELNS0_17block_load_methodE3ELS4_3ELS4_3ELNS0_20block_scan_algorithmE0ELj4294967295EEENS1_25partition_config_selectorILNS1_17partition_subalgoE3EjNS0_10empty_typeEbEEZZNS1_14partition_implILS8_3ELb0ES6_jNS0_17counting_iteratorIjlEEPS9_SE_NS0_5tupleIJPjSE_EEENSF_IJSE_SE_EEES9_SG_JZNS1_25segmented_radix_sort_implINS0_14default_configELb1EPKlPlSM_SN_N2at6native12_GLOBAL__N_18offset_tEEE10hipError_tPvRmT1_PNSt15iterator_traitsISV_E10value_typeET2_T3_PNSW_IS11_E10value_typeET4_jRbjT5_S17_jjP12ihipStream_tbEUljE_EEESS_ST_SU_S11_S15_S17_T6_T7_T9_mT8_S19_bDpT10_ENKUlT_T0_E_clISt17integral_constantIbLb0EES1L_IbLb1EEEEDaS1H_S1I_EUlS1H_E_NS1_11comp_targetILNS1_3genE3ELNS1_11target_archE908ELNS1_3gpuE7ELNS1_3repE0EEENS1_30default_config_static_selectorELNS0_4arch9wavefront6targetE0EEEvSV_, .Lfunc_end699-_ZN7rocprim17ROCPRIM_400000_NS6detail17trampoline_kernelINS0_13select_configILj256ELj13ELNS0_17block_load_methodE3ELS4_3ELS4_3ELNS0_20block_scan_algorithmE0ELj4294967295EEENS1_25partition_config_selectorILNS1_17partition_subalgoE3EjNS0_10empty_typeEbEEZZNS1_14partition_implILS8_3ELb0ES6_jNS0_17counting_iteratorIjlEEPS9_SE_NS0_5tupleIJPjSE_EEENSF_IJSE_SE_EEES9_SG_JZNS1_25segmented_radix_sort_implINS0_14default_configELb1EPKlPlSM_SN_N2at6native12_GLOBAL__N_18offset_tEEE10hipError_tPvRmT1_PNSt15iterator_traitsISV_E10value_typeET2_T3_PNSW_IS11_E10value_typeET4_jRbjT5_S17_jjP12ihipStream_tbEUljE_EEESS_ST_SU_S11_S15_S17_T6_T7_T9_mT8_S19_bDpT10_ENKUlT_T0_E_clISt17integral_constantIbLb0EES1L_IbLb1EEEEDaS1H_S1I_EUlS1H_E_NS1_11comp_targetILNS1_3genE3ELNS1_11target_archE908ELNS1_3gpuE7ELNS1_3repE0EEENS1_30default_config_static_selectorELNS0_4arch9wavefront6targetE0EEEvSV_
                                        ; -- End function
	.section	.AMDGPU.csdata,"",@progbits
; Kernel info:
; codeLenInByte = 0
; NumSgprs: 0
; NumVgprs: 0
; ScratchSize: 0
; MemoryBound: 0
; FloatMode: 240
; IeeeMode: 1
; LDSByteSize: 0 bytes/workgroup (compile time only)
; SGPRBlocks: 0
; VGPRBlocks: 0
; NumSGPRsForWavesPerEU: 1
; NumVGPRsForWavesPerEU: 1
; Occupancy: 16
; WaveLimiterHint : 0
; COMPUTE_PGM_RSRC2:SCRATCH_EN: 0
; COMPUTE_PGM_RSRC2:USER_SGPR: 15
; COMPUTE_PGM_RSRC2:TRAP_HANDLER: 0
; COMPUTE_PGM_RSRC2:TGID_X_EN: 1
; COMPUTE_PGM_RSRC2:TGID_Y_EN: 0
; COMPUTE_PGM_RSRC2:TGID_Z_EN: 0
; COMPUTE_PGM_RSRC2:TIDIG_COMP_CNT: 0
	.section	.text._ZN7rocprim17ROCPRIM_400000_NS6detail17trampoline_kernelINS0_13select_configILj256ELj13ELNS0_17block_load_methodE3ELS4_3ELS4_3ELNS0_20block_scan_algorithmE0ELj4294967295EEENS1_25partition_config_selectorILNS1_17partition_subalgoE3EjNS0_10empty_typeEbEEZZNS1_14partition_implILS8_3ELb0ES6_jNS0_17counting_iteratorIjlEEPS9_SE_NS0_5tupleIJPjSE_EEENSF_IJSE_SE_EEES9_SG_JZNS1_25segmented_radix_sort_implINS0_14default_configELb1EPKlPlSM_SN_N2at6native12_GLOBAL__N_18offset_tEEE10hipError_tPvRmT1_PNSt15iterator_traitsISV_E10value_typeET2_T3_PNSW_IS11_E10value_typeET4_jRbjT5_S17_jjP12ihipStream_tbEUljE_EEESS_ST_SU_S11_S15_S17_T6_T7_T9_mT8_S19_bDpT10_ENKUlT_T0_E_clISt17integral_constantIbLb0EES1L_IbLb1EEEEDaS1H_S1I_EUlS1H_E_NS1_11comp_targetILNS1_3genE2ELNS1_11target_archE906ELNS1_3gpuE6ELNS1_3repE0EEENS1_30default_config_static_selectorELNS0_4arch9wavefront6targetE0EEEvSV_,"axG",@progbits,_ZN7rocprim17ROCPRIM_400000_NS6detail17trampoline_kernelINS0_13select_configILj256ELj13ELNS0_17block_load_methodE3ELS4_3ELS4_3ELNS0_20block_scan_algorithmE0ELj4294967295EEENS1_25partition_config_selectorILNS1_17partition_subalgoE3EjNS0_10empty_typeEbEEZZNS1_14partition_implILS8_3ELb0ES6_jNS0_17counting_iteratorIjlEEPS9_SE_NS0_5tupleIJPjSE_EEENSF_IJSE_SE_EEES9_SG_JZNS1_25segmented_radix_sort_implINS0_14default_configELb1EPKlPlSM_SN_N2at6native12_GLOBAL__N_18offset_tEEE10hipError_tPvRmT1_PNSt15iterator_traitsISV_E10value_typeET2_T3_PNSW_IS11_E10value_typeET4_jRbjT5_S17_jjP12ihipStream_tbEUljE_EEESS_ST_SU_S11_S15_S17_T6_T7_T9_mT8_S19_bDpT10_ENKUlT_T0_E_clISt17integral_constantIbLb0EES1L_IbLb1EEEEDaS1H_S1I_EUlS1H_E_NS1_11comp_targetILNS1_3genE2ELNS1_11target_archE906ELNS1_3gpuE6ELNS1_3repE0EEENS1_30default_config_static_selectorELNS0_4arch9wavefront6targetE0EEEvSV_,comdat
	.globl	_ZN7rocprim17ROCPRIM_400000_NS6detail17trampoline_kernelINS0_13select_configILj256ELj13ELNS0_17block_load_methodE3ELS4_3ELS4_3ELNS0_20block_scan_algorithmE0ELj4294967295EEENS1_25partition_config_selectorILNS1_17partition_subalgoE3EjNS0_10empty_typeEbEEZZNS1_14partition_implILS8_3ELb0ES6_jNS0_17counting_iteratorIjlEEPS9_SE_NS0_5tupleIJPjSE_EEENSF_IJSE_SE_EEES9_SG_JZNS1_25segmented_radix_sort_implINS0_14default_configELb1EPKlPlSM_SN_N2at6native12_GLOBAL__N_18offset_tEEE10hipError_tPvRmT1_PNSt15iterator_traitsISV_E10value_typeET2_T3_PNSW_IS11_E10value_typeET4_jRbjT5_S17_jjP12ihipStream_tbEUljE_EEESS_ST_SU_S11_S15_S17_T6_T7_T9_mT8_S19_bDpT10_ENKUlT_T0_E_clISt17integral_constantIbLb0EES1L_IbLb1EEEEDaS1H_S1I_EUlS1H_E_NS1_11comp_targetILNS1_3genE2ELNS1_11target_archE906ELNS1_3gpuE6ELNS1_3repE0EEENS1_30default_config_static_selectorELNS0_4arch9wavefront6targetE0EEEvSV_ ; -- Begin function _ZN7rocprim17ROCPRIM_400000_NS6detail17trampoline_kernelINS0_13select_configILj256ELj13ELNS0_17block_load_methodE3ELS4_3ELS4_3ELNS0_20block_scan_algorithmE0ELj4294967295EEENS1_25partition_config_selectorILNS1_17partition_subalgoE3EjNS0_10empty_typeEbEEZZNS1_14partition_implILS8_3ELb0ES6_jNS0_17counting_iteratorIjlEEPS9_SE_NS0_5tupleIJPjSE_EEENSF_IJSE_SE_EEES9_SG_JZNS1_25segmented_radix_sort_implINS0_14default_configELb1EPKlPlSM_SN_N2at6native12_GLOBAL__N_18offset_tEEE10hipError_tPvRmT1_PNSt15iterator_traitsISV_E10value_typeET2_T3_PNSW_IS11_E10value_typeET4_jRbjT5_S17_jjP12ihipStream_tbEUljE_EEESS_ST_SU_S11_S15_S17_T6_T7_T9_mT8_S19_bDpT10_ENKUlT_T0_E_clISt17integral_constantIbLb0EES1L_IbLb1EEEEDaS1H_S1I_EUlS1H_E_NS1_11comp_targetILNS1_3genE2ELNS1_11target_archE906ELNS1_3gpuE6ELNS1_3repE0EEENS1_30default_config_static_selectorELNS0_4arch9wavefront6targetE0EEEvSV_
	.p2align	8
	.type	_ZN7rocprim17ROCPRIM_400000_NS6detail17trampoline_kernelINS0_13select_configILj256ELj13ELNS0_17block_load_methodE3ELS4_3ELS4_3ELNS0_20block_scan_algorithmE0ELj4294967295EEENS1_25partition_config_selectorILNS1_17partition_subalgoE3EjNS0_10empty_typeEbEEZZNS1_14partition_implILS8_3ELb0ES6_jNS0_17counting_iteratorIjlEEPS9_SE_NS0_5tupleIJPjSE_EEENSF_IJSE_SE_EEES9_SG_JZNS1_25segmented_radix_sort_implINS0_14default_configELb1EPKlPlSM_SN_N2at6native12_GLOBAL__N_18offset_tEEE10hipError_tPvRmT1_PNSt15iterator_traitsISV_E10value_typeET2_T3_PNSW_IS11_E10value_typeET4_jRbjT5_S17_jjP12ihipStream_tbEUljE_EEESS_ST_SU_S11_S15_S17_T6_T7_T9_mT8_S19_bDpT10_ENKUlT_T0_E_clISt17integral_constantIbLb0EES1L_IbLb1EEEEDaS1H_S1I_EUlS1H_E_NS1_11comp_targetILNS1_3genE2ELNS1_11target_archE906ELNS1_3gpuE6ELNS1_3repE0EEENS1_30default_config_static_selectorELNS0_4arch9wavefront6targetE0EEEvSV_,@function
_ZN7rocprim17ROCPRIM_400000_NS6detail17trampoline_kernelINS0_13select_configILj256ELj13ELNS0_17block_load_methodE3ELS4_3ELS4_3ELNS0_20block_scan_algorithmE0ELj4294967295EEENS1_25partition_config_selectorILNS1_17partition_subalgoE3EjNS0_10empty_typeEbEEZZNS1_14partition_implILS8_3ELb0ES6_jNS0_17counting_iteratorIjlEEPS9_SE_NS0_5tupleIJPjSE_EEENSF_IJSE_SE_EEES9_SG_JZNS1_25segmented_radix_sort_implINS0_14default_configELb1EPKlPlSM_SN_N2at6native12_GLOBAL__N_18offset_tEEE10hipError_tPvRmT1_PNSt15iterator_traitsISV_E10value_typeET2_T3_PNSW_IS11_E10value_typeET4_jRbjT5_S17_jjP12ihipStream_tbEUljE_EEESS_ST_SU_S11_S15_S17_T6_T7_T9_mT8_S19_bDpT10_ENKUlT_T0_E_clISt17integral_constantIbLb0EES1L_IbLb1EEEEDaS1H_S1I_EUlS1H_E_NS1_11comp_targetILNS1_3genE2ELNS1_11target_archE906ELNS1_3gpuE6ELNS1_3repE0EEENS1_30default_config_static_selectorELNS0_4arch9wavefront6targetE0EEEvSV_: ; @_ZN7rocprim17ROCPRIM_400000_NS6detail17trampoline_kernelINS0_13select_configILj256ELj13ELNS0_17block_load_methodE3ELS4_3ELS4_3ELNS0_20block_scan_algorithmE0ELj4294967295EEENS1_25partition_config_selectorILNS1_17partition_subalgoE3EjNS0_10empty_typeEbEEZZNS1_14partition_implILS8_3ELb0ES6_jNS0_17counting_iteratorIjlEEPS9_SE_NS0_5tupleIJPjSE_EEENSF_IJSE_SE_EEES9_SG_JZNS1_25segmented_radix_sort_implINS0_14default_configELb1EPKlPlSM_SN_N2at6native12_GLOBAL__N_18offset_tEEE10hipError_tPvRmT1_PNSt15iterator_traitsISV_E10value_typeET2_T3_PNSW_IS11_E10value_typeET4_jRbjT5_S17_jjP12ihipStream_tbEUljE_EEESS_ST_SU_S11_S15_S17_T6_T7_T9_mT8_S19_bDpT10_ENKUlT_T0_E_clISt17integral_constantIbLb0EES1L_IbLb1EEEEDaS1H_S1I_EUlS1H_E_NS1_11comp_targetILNS1_3genE2ELNS1_11target_archE906ELNS1_3gpuE6ELNS1_3repE0EEENS1_30default_config_static_selectorELNS0_4arch9wavefront6targetE0EEEvSV_
; %bb.0:
	.section	.rodata,"a",@progbits
	.p2align	6, 0x0
	.amdhsa_kernel _ZN7rocprim17ROCPRIM_400000_NS6detail17trampoline_kernelINS0_13select_configILj256ELj13ELNS0_17block_load_methodE3ELS4_3ELS4_3ELNS0_20block_scan_algorithmE0ELj4294967295EEENS1_25partition_config_selectorILNS1_17partition_subalgoE3EjNS0_10empty_typeEbEEZZNS1_14partition_implILS8_3ELb0ES6_jNS0_17counting_iteratorIjlEEPS9_SE_NS0_5tupleIJPjSE_EEENSF_IJSE_SE_EEES9_SG_JZNS1_25segmented_radix_sort_implINS0_14default_configELb1EPKlPlSM_SN_N2at6native12_GLOBAL__N_18offset_tEEE10hipError_tPvRmT1_PNSt15iterator_traitsISV_E10value_typeET2_T3_PNSW_IS11_E10value_typeET4_jRbjT5_S17_jjP12ihipStream_tbEUljE_EEESS_ST_SU_S11_S15_S17_T6_T7_T9_mT8_S19_bDpT10_ENKUlT_T0_E_clISt17integral_constantIbLb0EES1L_IbLb1EEEEDaS1H_S1I_EUlS1H_E_NS1_11comp_targetILNS1_3genE2ELNS1_11target_archE906ELNS1_3gpuE6ELNS1_3repE0EEENS1_30default_config_static_selectorELNS0_4arch9wavefront6targetE0EEEvSV_
		.amdhsa_group_segment_fixed_size 0
		.amdhsa_private_segment_fixed_size 0
		.amdhsa_kernarg_size 152
		.amdhsa_user_sgpr_count 15
		.amdhsa_user_sgpr_dispatch_ptr 0
		.amdhsa_user_sgpr_queue_ptr 0
		.amdhsa_user_sgpr_kernarg_segment_ptr 1
		.amdhsa_user_sgpr_dispatch_id 0
		.amdhsa_user_sgpr_private_segment_size 0
		.amdhsa_wavefront_size32 1
		.amdhsa_uses_dynamic_stack 0
		.amdhsa_enable_private_segment 0
		.amdhsa_system_sgpr_workgroup_id_x 1
		.amdhsa_system_sgpr_workgroup_id_y 0
		.amdhsa_system_sgpr_workgroup_id_z 0
		.amdhsa_system_sgpr_workgroup_info 0
		.amdhsa_system_vgpr_workitem_id 0
		.amdhsa_next_free_vgpr 1
		.amdhsa_next_free_sgpr 1
		.amdhsa_reserve_vcc 0
		.amdhsa_float_round_mode_32 0
		.amdhsa_float_round_mode_16_64 0
		.amdhsa_float_denorm_mode_32 3
		.amdhsa_float_denorm_mode_16_64 3
		.amdhsa_dx10_clamp 1
		.amdhsa_ieee_mode 1
		.amdhsa_fp16_overflow 0
		.amdhsa_workgroup_processor_mode 1
		.amdhsa_memory_ordered 1
		.amdhsa_forward_progress 0
		.amdhsa_shared_vgpr_count 0
		.amdhsa_exception_fp_ieee_invalid_op 0
		.amdhsa_exception_fp_denorm_src 0
		.amdhsa_exception_fp_ieee_div_zero 0
		.amdhsa_exception_fp_ieee_overflow 0
		.amdhsa_exception_fp_ieee_underflow 0
		.amdhsa_exception_fp_ieee_inexact 0
		.amdhsa_exception_int_div_zero 0
	.end_amdhsa_kernel
	.section	.text._ZN7rocprim17ROCPRIM_400000_NS6detail17trampoline_kernelINS0_13select_configILj256ELj13ELNS0_17block_load_methodE3ELS4_3ELS4_3ELNS0_20block_scan_algorithmE0ELj4294967295EEENS1_25partition_config_selectorILNS1_17partition_subalgoE3EjNS0_10empty_typeEbEEZZNS1_14partition_implILS8_3ELb0ES6_jNS0_17counting_iteratorIjlEEPS9_SE_NS0_5tupleIJPjSE_EEENSF_IJSE_SE_EEES9_SG_JZNS1_25segmented_radix_sort_implINS0_14default_configELb1EPKlPlSM_SN_N2at6native12_GLOBAL__N_18offset_tEEE10hipError_tPvRmT1_PNSt15iterator_traitsISV_E10value_typeET2_T3_PNSW_IS11_E10value_typeET4_jRbjT5_S17_jjP12ihipStream_tbEUljE_EEESS_ST_SU_S11_S15_S17_T6_T7_T9_mT8_S19_bDpT10_ENKUlT_T0_E_clISt17integral_constantIbLb0EES1L_IbLb1EEEEDaS1H_S1I_EUlS1H_E_NS1_11comp_targetILNS1_3genE2ELNS1_11target_archE906ELNS1_3gpuE6ELNS1_3repE0EEENS1_30default_config_static_selectorELNS0_4arch9wavefront6targetE0EEEvSV_,"axG",@progbits,_ZN7rocprim17ROCPRIM_400000_NS6detail17trampoline_kernelINS0_13select_configILj256ELj13ELNS0_17block_load_methodE3ELS4_3ELS4_3ELNS0_20block_scan_algorithmE0ELj4294967295EEENS1_25partition_config_selectorILNS1_17partition_subalgoE3EjNS0_10empty_typeEbEEZZNS1_14partition_implILS8_3ELb0ES6_jNS0_17counting_iteratorIjlEEPS9_SE_NS0_5tupleIJPjSE_EEENSF_IJSE_SE_EEES9_SG_JZNS1_25segmented_radix_sort_implINS0_14default_configELb1EPKlPlSM_SN_N2at6native12_GLOBAL__N_18offset_tEEE10hipError_tPvRmT1_PNSt15iterator_traitsISV_E10value_typeET2_T3_PNSW_IS11_E10value_typeET4_jRbjT5_S17_jjP12ihipStream_tbEUljE_EEESS_ST_SU_S11_S15_S17_T6_T7_T9_mT8_S19_bDpT10_ENKUlT_T0_E_clISt17integral_constantIbLb0EES1L_IbLb1EEEEDaS1H_S1I_EUlS1H_E_NS1_11comp_targetILNS1_3genE2ELNS1_11target_archE906ELNS1_3gpuE6ELNS1_3repE0EEENS1_30default_config_static_selectorELNS0_4arch9wavefront6targetE0EEEvSV_,comdat
.Lfunc_end700:
	.size	_ZN7rocprim17ROCPRIM_400000_NS6detail17trampoline_kernelINS0_13select_configILj256ELj13ELNS0_17block_load_methodE3ELS4_3ELS4_3ELNS0_20block_scan_algorithmE0ELj4294967295EEENS1_25partition_config_selectorILNS1_17partition_subalgoE3EjNS0_10empty_typeEbEEZZNS1_14partition_implILS8_3ELb0ES6_jNS0_17counting_iteratorIjlEEPS9_SE_NS0_5tupleIJPjSE_EEENSF_IJSE_SE_EEES9_SG_JZNS1_25segmented_radix_sort_implINS0_14default_configELb1EPKlPlSM_SN_N2at6native12_GLOBAL__N_18offset_tEEE10hipError_tPvRmT1_PNSt15iterator_traitsISV_E10value_typeET2_T3_PNSW_IS11_E10value_typeET4_jRbjT5_S17_jjP12ihipStream_tbEUljE_EEESS_ST_SU_S11_S15_S17_T6_T7_T9_mT8_S19_bDpT10_ENKUlT_T0_E_clISt17integral_constantIbLb0EES1L_IbLb1EEEEDaS1H_S1I_EUlS1H_E_NS1_11comp_targetILNS1_3genE2ELNS1_11target_archE906ELNS1_3gpuE6ELNS1_3repE0EEENS1_30default_config_static_selectorELNS0_4arch9wavefront6targetE0EEEvSV_, .Lfunc_end700-_ZN7rocprim17ROCPRIM_400000_NS6detail17trampoline_kernelINS0_13select_configILj256ELj13ELNS0_17block_load_methodE3ELS4_3ELS4_3ELNS0_20block_scan_algorithmE0ELj4294967295EEENS1_25partition_config_selectorILNS1_17partition_subalgoE3EjNS0_10empty_typeEbEEZZNS1_14partition_implILS8_3ELb0ES6_jNS0_17counting_iteratorIjlEEPS9_SE_NS0_5tupleIJPjSE_EEENSF_IJSE_SE_EEES9_SG_JZNS1_25segmented_radix_sort_implINS0_14default_configELb1EPKlPlSM_SN_N2at6native12_GLOBAL__N_18offset_tEEE10hipError_tPvRmT1_PNSt15iterator_traitsISV_E10value_typeET2_T3_PNSW_IS11_E10value_typeET4_jRbjT5_S17_jjP12ihipStream_tbEUljE_EEESS_ST_SU_S11_S15_S17_T6_T7_T9_mT8_S19_bDpT10_ENKUlT_T0_E_clISt17integral_constantIbLb0EES1L_IbLb1EEEEDaS1H_S1I_EUlS1H_E_NS1_11comp_targetILNS1_3genE2ELNS1_11target_archE906ELNS1_3gpuE6ELNS1_3repE0EEENS1_30default_config_static_selectorELNS0_4arch9wavefront6targetE0EEEvSV_
                                        ; -- End function
	.section	.AMDGPU.csdata,"",@progbits
; Kernel info:
; codeLenInByte = 0
; NumSgprs: 0
; NumVgprs: 0
; ScratchSize: 0
; MemoryBound: 0
; FloatMode: 240
; IeeeMode: 1
; LDSByteSize: 0 bytes/workgroup (compile time only)
; SGPRBlocks: 0
; VGPRBlocks: 0
; NumSGPRsForWavesPerEU: 1
; NumVGPRsForWavesPerEU: 1
; Occupancy: 16
; WaveLimiterHint : 0
; COMPUTE_PGM_RSRC2:SCRATCH_EN: 0
; COMPUTE_PGM_RSRC2:USER_SGPR: 15
; COMPUTE_PGM_RSRC2:TRAP_HANDLER: 0
; COMPUTE_PGM_RSRC2:TGID_X_EN: 1
; COMPUTE_PGM_RSRC2:TGID_Y_EN: 0
; COMPUTE_PGM_RSRC2:TGID_Z_EN: 0
; COMPUTE_PGM_RSRC2:TIDIG_COMP_CNT: 0
	.section	.text._ZN7rocprim17ROCPRIM_400000_NS6detail17trampoline_kernelINS0_13select_configILj256ELj13ELNS0_17block_load_methodE3ELS4_3ELS4_3ELNS0_20block_scan_algorithmE0ELj4294967295EEENS1_25partition_config_selectorILNS1_17partition_subalgoE3EjNS0_10empty_typeEbEEZZNS1_14partition_implILS8_3ELb0ES6_jNS0_17counting_iteratorIjlEEPS9_SE_NS0_5tupleIJPjSE_EEENSF_IJSE_SE_EEES9_SG_JZNS1_25segmented_radix_sort_implINS0_14default_configELb1EPKlPlSM_SN_N2at6native12_GLOBAL__N_18offset_tEEE10hipError_tPvRmT1_PNSt15iterator_traitsISV_E10value_typeET2_T3_PNSW_IS11_E10value_typeET4_jRbjT5_S17_jjP12ihipStream_tbEUljE_EEESS_ST_SU_S11_S15_S17_T6_T7_T9_mT8_S19_bDpT10_ENKUlT_T0_E_clISt17integral_constantIbLb0EES1L_IbLb1EEEEDaS1H_S1I_EUlS1H_E_NS1_11comp_targetILNS1_3genE10ELNS1_11target_archE1200ELNS1_3gpuE4ELNS1_3repE0EEENS1_30default_config_static_selectorELNS0_4arch9wavefront6targetE0EEEvSV_,"axG",@progbits,_ZN7rocprim17ROCPRIM_400000_NS6detail17trampoline_kernelINS0_13select_configILj256ELj13ELNS0_17block_load_methodE3ELS4_3ELS4_3ELNS0_20block_scan_algorithmE0ELj4294967295EEENS1_25partition_config_selectorILNS1_17partition_subalgoE3EjNS0_10empty_typeEbEEZZNS1_14partition_implILS8_3ELb0ES6_jNS0_17counting_iteratorIjlEEPS9_SE_NS0_5tupleIJPjSE_EEENSF_IJSE_SE_EEES9_SG_JZNS1_25segmented_radix_sort_implINS0_14default_configELb1EPKlPlSM_SN_N2at6native12_GLOBAL__N_18offset_tEEE10hipError_tPvRmT1_PNSt15iterator_traitsISV_E10value_typeET2_T3_PNSW_IS11_E10value_typeET4_jRbjT5_S17_jjP12ihipStream_tbEUljE_EEESS_ST_SU_S11_S15_S17_T6_T7_T9_mT8_S19_bDpT10_ENKUlT_T0_E_clISt17integral_constantIbLb0EES1L_IbLb1EEEEDaS1H_S1I_EUlS1H_E_NS1_11comp_targetILNS1_3genE10ELNS1_11target_archE1200ELNS1_3gpuE4ELNS1_3repE0EEENS1_30default_config_static_selectorELNS0_4arch9wavefront6targetE0EEEvSV_,comdat
	.globl	_ZN7rocprim17ROCPRIM_400000_NS6detail17trampoline_kernelINS0_13select_configILj256ELj13ELNS0_17block_load_methodE3ELS4_3ELS4_3ELNS0_20block_scan_algorithmE0ELj4294967295EEENS1_25partition_config_selectorILNS1_17partition_subalgoE3EjNS0_10empty_typeEbEEZZNS1_14partition_implILS8_3ELb0ES6_jNS0_17counting_iteratorIjlEEPS9_SE_NS0_5tupleIJPjSE_EEENSF_IJSE_SE_EEES9_SG_JZNS1_25segmented_radix_sort_implINS0_14default_configELb1EPKlPlSM_SN_N2at6native12_GLOBAL__N_18offset_tEEE10hipError_tPvRmT1_PNSt15iterator_traitsISV_E10value_typeET2_T3_PNSW_IS11_E10value_typeET4_jRbjT5_S17_jjP12ihipStream_tbEUljE_EEESS_ST_SU_S11_S15_S17_T6_T7_T9_mT8_S19_bDpT10_ENKUlT_T0_E_clISt17integral_constantIbLb0EES1L_IbLb1EEEEDaS1H_S1I_EUlS1H_E_NS1_11comp_targetILNS1_3genE10ELNS1_11target_archE1200ELNS1_3gpuE4ELNS1_3repE0EEENS1_30default_config_static_selectorELNS0_4arch9wavefront6targetE0EEEvSV_ ; -- Begin function _ZN7rocprim17ROCPRIM_400000_NS6detail17trampoline_kernelINS0_13select_configILj256ELj13ELNS0_17block_load_methodE3ELS4_3ELS4_3ELNS0_20block_scan_algorithmE0ELj4294967295EEENS1_25partition_config_selectorILNS1_17partition_subalgoE3EjNS0_10empty_typeEbEEZZNS1_14partition_implILS8_3ELb0ES6_jNS0_17counting_iteratorIjlEEPS9_SE_NS0_5tupleIJPjSE_EEENSF_IJSE_SE_EEES9_SG_JZNS1_25segmented_radix_sort_implINS0_14default_configELb1EPKlPlSM_SN_N2at6native12_GLOBAL__N_18offset_tEEE10hipError_tPvRmT1_PNSt15iterator_traitsISV_E10value_typeET2_T3_PNSW_IS11_E10value_typeET4_jRbjT5_S17_jjP12ihipStream_tbEUljE_EEESS_ST_SU_S11_S15_S17_T6_T7_T9_mT8_S19_bDpT10_ENKUlT_T0_E_clISt17integral_constantIbLb0EES1L_IbLb1EEEEDaS1H_S1I_EUlS1H_E_NS1_11comp_targetILNS1_3genE10ELNS1_11target_archE1200ELNS1_3gpuE4ELNS1_3repE0EEENS1_30default_config_static_selectorELNS0_4arch9wavefront6targetE0EEEvSV_
	.p2align	8
	.type	_ZN7rocprim17ROCPRIM_400000_NS6detail17trampoline_kernelINS0_13select_configILj256ELj13ELNS0_17block_load_methodE3ELS4_3ELS4_3ELNS0_20block_scan_algorithmE0ELj4294967295EEENS1_25partition_config_selectorILNS1_17partition_subalgoE3EjNS0_10empty_typeEbEEZZNS1_14partition_implILS8_3ELb0ES6_jNS0_17counting_iteratorIjlEEPS9_SE_NS0_5tupleIJPjSE_EEENSF_IJSE_SE_EEES9_SG_JZNS1_25segmented_radix_sort_implINS0_14default_configELb1EPKlPlSM_SN_N2at6native12_GLOBAL__N_18offset_tEEE10hipError_tPvRmT1_PNSt15iterator_traitsISV_E10value_typeET2_T3_PNSW_IS11_E10value_typeET4_jRbjT5_S17_jjP12ihipStream_tbEUljE_EEESS_ST_SU_S11_S15_S17_T6_T7_T9_mT8_S19_bDpT10_ENKUlT_T0_E_clISt17integral_constantIbLb0EES1L_IbLb1EEEEDaS1H_S1I_EUlS1H_E_NS1_11comp_targetILNS1_3genE10ELNS1_11target_archE1200ELNS1_3gpuE4ELNS1_3repE0EEENS1_30default_config_static_selectorELNS0_4arch9wavefront6targetE0EEEvSV_,@function
_ZN7rocprim17ROCPRIM_400000_NS6detail17trampoline_kernelINS0_13select_configILj256ELj13ELNS0_17block_load_methodE3ELS4_3ELS4_3ELNS0_20block_scan_algorithmE0ELj4294967295EEENS1_25partition_config_selectorILNS1_17partition_subalgoE3EjNS0_10empty_typeEbEEZZNS1_14partition_implILS8_3ELb0ES6_jNS0_17counting_iteratorIjlEEPS9_SE_NS0_5tupleIJPjSE_EEENSF_IJSE_SE_EEES9_SG_JZNS1_25segmented_radix_sort_implINS0_14default_configELb1EPKlPlSM_SN_N2at6native12_GLOBAL__N_18offset_tEEE10hipError_tPvRmT1_PNSt15iterator_traitsISV_E10value_typeET2_T3_PNSW_IS11_E10value_typeET4_jRbjT5_S17_jjP12ihipStream_tbEUljE_EEESS_ST_SU_S11_S15_S17_T6_T7_T9_mT8_S19_bDpT10_ENKUlT_T0_E_clISt17integral_constantIbLb0EES1L_IbLb1EEEEDaS1H_S1I_EUlS1H_E_NS1_11comp_targetILNS1_3genE10ELNS1_11target_archE1200ELNS1_3gpuE4ELNS1_3repE0EEENS1_30default_config_static_selectorELNS0_4arch9wavefront6targetE0EEEvSV_: ; @_ZN7rocprim17ROCPRIM_400000_NS6detail17trampoline_kernelINS0_13select_configILj256ELj13ELNS0_17block_load_methodE3ELS4_3ELS4_3ELNS0_20block_scan_algorithmE0ELj4294967295EEENS1_25partition_config_selectorILNS1_17partition_subalgoE3EjNS0_10empty_typeEbEEZZNS1_14partition_implILS8_3ELb0ES6_jNS0_17counting_iteratorIjlEEPS9_SE_NS0_5tupleIJPjSE_EEENSF_IJSE_SE_EEES9_SG_JZNS1_25segmented_radix_sort_implINS0_14default_configELb1EPKlPlSM_SN_N2at6native12_GLOBAL__N_18offset_tEEE10hipError_tPvRmT1_PNSt15iterator_traitsISV_E10value_typeET2_T3_PNSW_IS11_E10value_typeET4_jRbjT5_S17_jjP12ihipStream_tbEUljE_EEESS_ST_SU_S11_S15_S17_T6_T7_T9_mT8_S19_bDpT10_ENKUlT_T0_E_clISt17integral_constantIbLb0EES1L_IbLb1EEEEDaS1H_S1I_EUlS1H_E_NS1_11comp_targetILNS1_3genE10ELNS1_11target_archE1200ELNS1_3gpuE4ELNS1_3repE0EEENS1_30default_config_static_selectorELNS0_4arch9wavefront6targetE0EEEvSV_
; %bb.0:
	.section	.rodata,"a",@progbits
	.p2align	6, 0x0
	.amdhsa_kernel _ZN7rocprim17ROCPRIM_400000_NS6detail17trampoline_kernelINS0_13select_configILj256ELj13ELNS0_17block_load_methodE3ELS4_3ELS4_3ELNS0_20block_scan_algorithmE0ELj4294967295EEENS1_25partition_config_selectorILNS1_17partition_subalgoE3EjNS0_10empty_typeEbEEZZNS1_14partition_implILS8_3ELb0ES6_jNS0_17counting_iteratorIjlEEPS9_SE_NS0_5tupleIJPjSE_EEENSF_IJSE_SE_EEES9_SG_JZNS1_25segmented_radix_sort_implINS0_14default_configELb1EPKlPlSM_SN_N2at6native12_GLOBAL__N_18offset_tEEE10hipError_tPvRmT1_PNSt15iterator_traitsISV_E10value_typeET2_T3_PNSW_IS11_E10value_typeET4_jRbjT5_S17_jjP12ihipStream_tbEUljE_EEESS_ST_SU_S11_S15_S17_T6_T7_T9_mT8_S19_bDpT10_ENKUlT_T0_E_clISt17integral_constantIbLb0EES1L_IbLb1EEEEDaS1H_S1I_EUlS1H_E_NS1_11comp_targetILNS1_3genE10ELNS1_11target_archE1200ELNS1_3gpuE4ELNS1_3repE0EEENS1_30default_config_static_selectorELNS0_4arch9wavefront6targetE0EEEvSV_
		.amdhsa_group_segment_fixed_size 0
		.amdhsa_private_segment_fixed_size 0
		.amdhsa_kernarg_size 152
		.amdhsa_user_sgpr_count 15
		.amdhsa_user_sgpr_dispatch_ptr 0
		.amdhsa_user_sgpr_queue_ptr 0
		.amdhsa_user_sgpr_kernarg_segment_ptr 1
		.amdhsa_user_sgpr_dispatch_id 0
		.amdhsa_user_sgpr_private_segment_size 0
		.amdhsa_wavefront_size32 1
		.amdhsa_uses_dynamic_stack 0
		.amdhsa_enable_private_segment 0
		.amdhsa_system_sgpr_workgroup_id_x 1
		.amdhsa_system_sgpr_workgroup_id_y 0
		.amdhsa_system_sgpr_workgroup_id_z 0
		.amdhsa_system_sgpr_workgroup_info 0
		.amdhsa_system_vgpr_workitem_id 0
		.amdhsa_next_free_vgpr 1
		.amdhsa_next_free_sgpr 1
		.amdhsa_reserve_vcc 0
		.amdhsa_float_round_mode_32 0
		.amdhsa_float_round_mode_16_64 0
		.amdhsa_float_denorm_mode_32 3
		.amdhsa_float_denorm_mode_16_64 3
		.amdhsa_dx10_clamp 1
		.amdhsa_ieee_mode 1
		.amdhsa_fp16_overflow 0
		.amdhsa_workgroup_processor_mode 1
		.amdhsa_memory_ordered 1
		.amdhsa_forward_progress 0
		.amdhsa_shared_vgpr_count 0
		.amdhsa_exception_fp_ieee_invalid_op 0
		.amdhsa_exception_fp_denorm_src 0
		.amdhsa_exception_fp_ieee_div_zero 0
		.amdhsa_exception_fp_ieee_overflow 0
		.amdhsa_exception_fp_ieee_underflow 0
		.amdhsa_exception_fp_ieee_inexact 0
		.amdhsa_exception_int_div_zero 0
	.end_amdhsa_kernel
	.section	.text._ZN7rocprim17ROCPRIM_400000_NS6detail17trampoline_kernelINS0_13select_configILj256ELj13ELNS0_17block_load_methodE3ELS4_3ELS4_3ELNS0_20block_scan_algorithmE0ELj4294967295EEENS1_25partition_config_selectorILNS1_17partition_subalgoE3EjNS0_10empty_typeEbEEZZNS1_14partition_implILS8_3ELb0ES6_jNS0_17counting_iteratorIjlEEPS9_SE_NS0_5tupleIJPjSE_EEENSF_IJSE_SE_EEES9_SG_JZNS1_25segmented_radix_sort_implINS0_14default_configELb1EPKlPlSM_SN_N2at6native12_GLOBAL__N_18offset_tEEE10hipError_tPvRmT1_PNSt15iterator_traitsISV_E10value_typeET2_T3_PNSW_IS11_E10value_typeET4_jRbjT5_S17_jjP12ihipStream_tbEUljE_EEESS_ST_SU_S11_S15_S17_T6_T7_T9_mT8_S19_bDpT10_ENKUlT_T0_E_clISt17integral_constantIbLb0EES1L_IbLb1EEEEDaS1H_S1I_EUlS1H_E_NS1_11comp_targetILNS1_3genE10ELNS1_11target_archE1200ELNS1_3gpuE4ELNS1_3repE0EEENS1_30default_config_static_selectorELNS0_4arch9wavefront6targetE0EEEvSV_,"axG",@progbits,_ZN7rocprim17ROCPRIM_400000_NS6detail17trampoline_kernelINS0_13select_configILj256ELj13ELNS0_17block_load_methodE3ELS4_3ELS4_3ELNS0_20block_scan_algorithmE0ELj4294967295EEENS1_25partition_config_selectorILNS1_17partition_subalgoE3EjNS0_10empty_typeEbEEZZNS1_14partition_implILS8_3ELb0ES6_jNS0_17counting_iteratorIjlEEPS9_SE_NS0_5tupleIJPjSE_EEENSF_IJSE_SE_EEES9_SG_JZNS1_25segmented_radix_sort_implINS0_14default_configELb1EPKlPlSM_SN_N2at6native12_GLOBAL__N_18offset_tEEE10hipError_tPvRmT1_PNSt15iterator_traitsISV_E10value_typeET2_T3_PNSW_IS11_E10value_typeET4_jRbjT5_S17_jjP12ihipStream_tbEUljE_EEESS_ST_SU_S11_S15_S17_T6_T7_T9_mT8_S19_bDpT10_ENKUlT_T0_E_clISt17integral_constantIbLb0EES1L_IbLb1EEEEDaS1H_S1I_EUlS1H_E_NS1_11comp_targetILNS1_3genE10ELNS1_11target_archE1200ELNS1_3gpuE4ELNS1_3repE0EEENS1_30default_config_static_selectorELNS0_4arch9wavefront6targetE0EEEvSV_,comdat
.Lfunc_end701:
	.size	_ZN7rocprim17ROCPRIM_400000_NS6detail17trampoline_kernelINS0_13select_configILj256ELj13ELNS0_17block_load_methodE3ELS4_3ELS4_3ELNS0_20block_scan_algorithmE0ELj4294967295EEENS1_25partition_config_selectorILNS1_17partition_subalgoE3EjNS0_10empty_typeEbEEZZNS1_14partition_implILS8_3ELb0ES6_jNS0_17counting_iteratorIjlEEPS9_SE_NS0_5tupleIJPjSE_EEENSF_IJSE_SE_EEES9_SG_JZNS1_25segmented_radix_sort_implINS0_14default_configELb1EPKlPlSM_SN_N2at6native12_GLOBAL__N_18offset_tEEE10hipError_tPvRmT1_PNSt15iterator_traitsISV_E10value_typeET2_T3_PNSW_IS11_E10value_typeET4_jRbjT5_S17_jjP12ihipStream_tbEUljE_EEESS_ST_SU_S11_S15_S17_T6_T7_T9_mT8_S19_bDpT10_ENKUlT_T0_E_clISt17integral_constantIbLb0EES1L_IbLb1EEEEDaS1H_S1I_EUlS1H_E_NS1_11comp_targetILNS1_3genE10ELNS1_11target_archE1200ELNS1_3gpuE4ELNS1_3repE0EEENS1_30default_config_static_selectorELNS0_4arch9wavefront6targetE0EEEvSV_, .Lfunc_end701-_ZN7rocprim17ROCPRIM_400000_NS6detail17trampoline_kernelINS0_13select_configILj256ELj13ELNS0_17block_load_methodE3ELS4_3ELS4_3ELNS0_20block_scan_algorithmE0ELj4294967295EEENS1_25partition_config_selectorILNS1_17partition_subalgoE3EjNS0_10empty_typeEbEEZZNS1_14partition_implILS8_3ELb0ES6_jNS0_17counting_iteratorIjlEEPS9_SE_NS0_5tupleIJPjSE_EEENSF_IJSE_SE_EEES9_SG_JZNS1_25segmented_radix_sort_implINS0_14default_configELb1EPKlPlSM_SN_N2at6native12_GLOBAL__N_18offset_tEEE10hipError_tPvRmT1_PNSt15iterator_traitsISV_E10value_typeET2_T3_PNSW_IS11_E10value_typeET4_jRbjT5_S17_jjP12ihipStream_tbEUljE_EEESS_ST_SU_S11_S15_S17_T6_T7_T9_mT8_S19_bDpT10_ENKUlT_T0_E_clISt17integral_constantIbLb0EES1L_IbLb1EEEEDaS1H_S1I_EUlS1H_E_NS1_11comp_targetILNS1_3genE10ELNS1_11target_archE1200ELNS1_3gpuE4ELNS1_3repE0EEENS1_30default_config_static_selectorELNS0_4arch9wavefront6targetE0EEEvSV_
                                        ; -- End function
	.section	.AMDGPU.csdata,"",@progbits
; Kernel info:
; codeLenInByte = 0
; NumSgprs: 0
; NumVgprs: 0
; ScratchSize: 0
; MemoryBound: 0
; FloatMode: 240
; IeeeMode: 1
; LDSByteSize: 0 bytes/workgroup (compile time only)
; SGPRBlocks: 0
; VGPRBlocks: 0
; NumSGPRsForWavesPerEU: 1
; NumVGPRsForWavesPerEU: 1
; Occupancy: 16
; WaveLimiterHint : 0
; COMPUTE_PGM_RSRC2:SCRATCH_EN: 0
; COMPUTE_PGM_RSRC2:USER_SGPR: 15
; COMPUTE_PGM_RSRC2:TRAP_HANDLER: 0
; COMPUTE_PGM_RSRC2:TGID_X_EN: 1
; COMPUTE_PGM_RSRC2:TGID_Y_EN: 0
; COMPUTE_PGM_RSRC2:TGID_Z_EN: 0
; COMPUTE_PGM_RSRC2:TIDIG_COMP_CNT: 0
	.section	.text._ZN7rocprim17ROCPRIM_400000_NS6detail17trampoline_kernelINS0_13select_configILj256ELj13ELNS0_17block_load_methodE3ELS4_3ELS4_3ELNS0_20block_scan_algorithmE0ELj4294967295EEENS1_25partition_config_selectorILNS1_17partition_subalgoE3EjNS0_10empty_typeEbEEZZNS1_14partition_implILS8_3ELb0ES6_jNS0_17counting_iteratorIjlEEPS9_SE_NS0_5tupleIJPjSE_EEENSF_IJSE_SE_EEES9_SG_JZNS1_25segmented_radix_sort_implINS0_14default_configELb1EPKlPlSM_SN_N2at6native12_GLOBAL__N_18offset_tEEE10hipError_tPvRmT1_PNSt15iterator_traitsISV_E10value_typeET2_T3_PNSW_IS11_E10value_typeET4_jRbjT5_S17_jjP12ihipStream_tbEUljE_EEESS_ST_SU_S11_S15_S17_T6_T7_T9_mT8_S19_bDpT10_ENKUlT_T0_E_clISt17integral_constantIbLb0EES1L_IbLb1EEEEDaS1H_S1I_EUlS1H_E_NS1_11comp_targetILNS1_3genE9ELNS1_11target_archE1100ELNS1_3gpuE3ELNS1_3repE0EEENS1_30default_config_static_selectorELNS0_4arch9wavefront6targetE0EEEvSV_,"axG",@progbits,_ZN7rocprim17ROCPRIM_400000_NS6detail17trampoline_kernelINS0_13select_configILj256ELj13ELNS0_17block_load_methodE3ELS4_3ELS4_3ELNS0_20block_scan_algorithmE0ELj4294967295EEENS1_25partition_config_selectorILNS1_17partition_subalgoE3EjNS0_10empty_typeEbEEZZNS1_14partition_implILS8_3ELb0ES6_jNS0_17counting_iteratorIjlEEPS9_SE_NS0_5tupleIJPjSE_EEENSF_IJSE_SE_EEES9_SG_JZNS1_25segmented_radix_sort_implINS0_14default_configELb1EPKlPlSM_SN_N2at6native12_GLOBAL__N_18offset_tEEE10hipError_tPvRmT1_PNSt15iterator_traitsISV_E10value_typeET2_T3_PNSW_IS11_E10value_typeET4_jRbjT5_S17_jjP12ihipStream_tbEUljE_EEESS_ST_SU_S11_S15_S17_T6_T7_T9_mT8_S19_bDpT10_ENKUlT_T0_E_clISt17integral_constantIbLb0EES1L_IbLb1EEEEDaS1H_S1I_EUlS1H_E_NS1_11comp_targetILNS1_3genE9ELNS1_11target_archE1100ELNS1_3gpuE3ELNS1_3repE0EEENS1_30default_config_static_selectorELNS0_4arch9wavefront6targetE0EEEvSV_,comdat
	.globl	_ZN7rocprim17ROCPRIM_400000_NS6detail17trampoline_kernelINS0_13select_configILj256ELj13ELNS0_17block_load_methodE3ELS4_3ELS4_3ELNS0_20block_scan_algorithmE0ELj4294967295EEENS1_25partition_config_selectorILNS1_17partition_subalgoE3EjNS0_10empty_typeEbEEZZNS1_14partition_implILS8_3ELb0ES6_jNS0_17counting_iteratorIjlEEPS9_SE_NS0_5tupleIJPjSE_EEENSF_IJSE_SE_EEES9_SG_JZNS1_25segmented_radix_sort_implINS0_14default_configELb1EPKlPlSM_SN_N2at6native12_GLOBAL__N_18offset_tEEE10hipError_tPvRmT1_PNSt15iterator_traitsISV_E10value_typeET2_T3_PNSW_IS11_E10value_typeET4_jRbjT5_S17_jjP12ihipStream_tbEUljE_EEESS_ST_SU_S11_S15_S17_T6_T7_T9_mT8_S19_bDpT10_ENKUlT_T0_E_clISt17integral_constantIbLb0EES1L_IbLb1EEEEDaS1H_S1I_EUlS1H_E_NS1_11comp_targetILNS1_3genE9ELNS1_11target_archE1100ELNS1_3gpuE3ELNS1_3repE0EEENS1_30default_config_static_selectorELNS0_4arch9wavefront6targetE0EEEvSV_ ; -- Begin function _ZN7rocprim17ROCPRIM_400000_NS6detail17trampoline_kernelINS0_13select_configILj256ELj13ELNS0_17block_load_methodE3ELS4_3ELS4_3ELNS0_20block_scan_algorithmE0ELj4294967295EEENS1_25partition_config_selectorILNS1_17partition_subalgoE3EjNS0_10empty_typeEbEEZZNS1_14partition_implILS8_3ELb0ES6_jNS0_17counting_iteratorIjlEEPS9_SE_NS0_5tupleIJPjSE_EEENSF_IJSE_SE_EEES9_SG_JZNS1_25segmented_radix_sort_implINS0_14default_configELb1EPKlPlSM_SN_N2at6native12_GLOBAL__N_18offset_tEEE10hipError_tPvRmT1_PNSt15iterator_traitsISV_E10value_typeET2_T3_PNSW_IS11_E10value_typeET4_jRbjT5_S17_jjP12ihipStream_tbEUljE_EEESS_ST_SU_S11_S15_S17_T6_T7_T9_mT8_S19_bDpT10_ENKUlT_T0_E_clISt17integral_constantIbLb0EES1L_IbLb1EEEEDaS1H_S1I_EUlS1H_E_NS1_11comp_targetILNS1_3genE9ELNS1_11target_archE1100ELNS1_3gpuE3ELNS1_3repE0EEENS1_30default_config_static_selectorELNS0_4arch9wavefront6targetE0EEEvSV_
	.p2align	8
	.type	_ZN7rocprim17ROCPRIM_400000_NS6detail17trampoline_kernelINS0_13select_configILj256ELj13ELNS0_17block_load_methodE3ELS4_3ELS4_3ELNS0_20block_scan_algorithmE0ELj4294967295EEENS1_25partition_config_selectorILNS1_17partition_subalgoE3EjNS0_10empty_typeEbEEZZNS1_14partition_implILS8_3ELb0ES6_jNS0_17counting_iteratorIjlEEPS9_SE_NS0_5tupleIJPjSE_EEENSF_IJSE_SE_EEES9_SG_JZNS1_25segmented_radix_sort_implINS0_14default_configELb1EPKlPlSM_SN_N2at6native12_GLOBAL__N_18offset_tEEE10hipError_tPvRmT1_PNSt15iterator_traitsISV_E10value_typeET2_T3_PNSW_IS11_E10value_typeET4_jRbjT5_S17_jjP12ihipStream_tbEUljE_EEESS_ST_SU_S11_S15_S17_T6_T7_T9_mT8_S19_bDpT10_ENKUlT_T0_E_clISt17integral_constantIbLb0EES1L_IbLb1EEEEDaS1H_S1I_EUlS1H_E_NS1_11comp_targetILNS1_3genE9ELNS1_11target_archE1100ELNS1_3gpuE3ELNS1_3repE0EEENS1_30default_config_static_selectorELNS0_4arch9wavefront6targetE0EEEvSV_,@function
_ZN7rocprim17ROCPRIM_400000_NS6detail17trampoline_kernelINS0_13select_configILj256ELj13ELNS0_17block_load_methodE3ELS4_3ELS4_3ELNS0_20block_scan_algorithmE0ELj4294967295EEENS1_25partition_config_selectorILNS1_17partition_subalgoE3EjNS0_10empty_typeEbEEZZNS1_14partition_implILS8_3ELb0ES6_jNS0_17counting_iteratorIjlEEPS9_SE_NS0_5tupleIJPjSE_EEENSF_IJSE_SE_EEES9_SG_JZNS1_25segmented_radix_sort_implINS0_14default_configELb1EPKlPlSM_SN_N2at6native12_GLOBAL__N_18offset_tEEE10hipError_tPvRmT1_PNSt15iterator_traitsISV_E10value_typeET2_T3_PNSW_IS11_E10value_typeET4_jRbjT5_S17_jjP12ihipStream_tbEUljE_EEESS_ST_SU_S11_S15_S17_T6_T7_T9_mT8_S19_bDpT10_ENKUlT_T0_E_clISt17integral_constantIbLb0EES1L_IbLb1EEEEDaS1H_S1I_EUlS1H_E_NS1_11comp_targetILNS1_3genE9ELNS1_11target_archE1100ELNS1_3gpuE3ELNS1_3repE0EEENS1_30default_config_static_selectorELNS0_4arch9wavefront6targetE0EEEvSV_: ; @_ZN7rocprim17ROCPRIM_400000_NS6detail17trampoline_kernelINS0_13select_configILj256ELj13ELNS0_17block_load_methodE3ELS4_3ELS4_3ELNS0_20block_scan_algorithmE0ELj4294967295EEENS1_25partition_config_selectorILNS1_17partition_subalgoE3EjNS0_10empty_typeEbEEZZNS1_14partition_implILS8_3ELb0ES6_jNS0_17counting_iteratorIjlEEPS9_SE_NS0_5tupleIJPjSE_EEENSF_IJSE_SE_EEES9_SG_JZNS1_25segmented_radix_sort_implINS0_14default_configELb1EPKlPlSM_SN_N2at6native12_GLOBAL__N_18offset_tEEE10hipError_tPvRmT1_PNSt15iterator_traitsISV_E10value_typeET2_T3_PNSW_IS11_E10value_typeET4_jRbjT5_S17_jjP12ihipStream_tbEUljE_EEESS_ST_SU_S11_S15_S17_T6_T7_T9_mT8_S19_bDpT10_ENKUlT_T0_E_clISt17integral_constantIbLb0EES1L_IbLb1EEEEDaS1H_S1I_EUlS1H_E_NS1_11comp_targetILNS1_3genE9ELNS1_11target_archE1100ELNS1_3gpuE3ELNS1_3repE0EEENS1_30default_config_static_selectorELNS0_4arch9wavefront6targetE0EEEvSV_
; %bb.0:
	s_clause 0x6
	s_load_b64 s[16:17], s[0:1], 0x10
	s_load_b64 s[12:13], s[0:1], 0x28
	;; [unrolled: 1-line block ×3, first 2 shown]
	s_load_b128 s[8:11], s[0:1], 0x48
	s_load_b32 s3, s[0:1], 0x90
	s_load_b64 s[18:19], s[0:1], 0x68
	s_load_b128 s[4:7], s[0:1], 0x80
	v_cmp_eq_u32_e64 s2, 0, v0
	s_delay_alu instid0(VALU_DEP_1)
	s_and_saveexec_b32 s20, s2
	s_cbranch_execz .LBB702_4
; %bb.1:
	s_mov_b32 s22, exec_lo
	s_mov_b32 s21, exec_lo
	v_mbcnt_lo_u32_b32 v1, s22, 0
                                        ; implicit-def: $vgpr2
	s_delay_alu instid0(VALU_DEP_1)
	v_cmpx_eq_u32_e32 0, v1
	s_cbranch_execz .LBB702_3
; %bb.2:
	s_load_b64 s[24:25], s[0:1], 0x78
	s_bcnt1_i32_b32 s22, s22
	s_delay_alu instid0(SALU_CYCLE_1)
	v_dual_mov_b32 v2, 0 :: v_dual_mov_b32 v3, s22
	s_waitcnt lgkmcnt(0)
	global_atomic_add_u32 v2, v2, v3, s[24:25] glc
.LBB702_3:
	s_or_b32 exec_lo, exec_lo, s21
	s_waitcnt vmcnt(0)
	v_readfirstlane_b32 s21, v2
	s_delay_alu instid0(VALU_DEP_1)
	v_dual_mov_b32 v2, 0 :: v_dual_add_nc_u32 v1, s21, v1
	ds_store_b32 v2, v1
.LBB702_4:
	s_or_b32 exec_lo, exec_lo, s20
	v_mov_b32_e32 v1, 0
	s_clause 0x1
	s_load_b32 s20, s[0:1], 0x8
	s_load_b32 s0, s[0:1], 0x70
	s_waitcnt lgkmcnt(0)
	s_barrier
	buffer_gl0_inv
	ds_load_b32 v2, v1
	s_waitcnt lgkmcnt(0)
	s_barrier
	buffer_gl0_inv
	global_load_b64 v[18:19], v1, s[10:11]
	v_lshlrev_b32_e32 v33, 2, v0
	s_add_i32 s21, s20, s16
	s_mul_i32 s1, s0, 0xd00
	s_add_i32 s0, s0, -1
	s_add_u32 s10, s16, s1
	s_addc_u32 s11, s17, 0
	v_mul_lo_u32 v32, 0xd00, v2
	v_readfirstlane_b32 s20, v2
	v_cmp_lt_u64_e64 s11, s[10:11], s[14:15]
	v_cmp_ne_u32_e32 vcc_lo, s0, v2
	s_delay_alu instid0(VALU_DEP_3) | instskip(SKIP_1) | instid1(VALU_DEP_4)
	s_cmp_eq_u32 s20, s0
	s_cselect_b32 s10, -1, 0
	v_add3_u32 v1, v32, s21, v0
	s_delay_alu instid0(VALU_DEP_3) | instskip(SKIP_2) | instid1(VALU_DEP_1)
	s_or_b32 s0, s11, vcc_lo
	s_mov_b32 s11, -1
	s_and_b32 vcc_lo, exec_lo, s0
	v_add_nc_u32_e32 v2, 0x100, v1
	v_add_nc_u32_e32 v3, 0x200, v1
	;; [unrolled: 1-line block ×12, first 2 shown]
	s_cbranch_vccz .LBB702_6
; %bb.5:
	ds_store_2addr_stride64_b32 v33, v1, v2 offset1:4
	ds_store_2addr_stride64_b32 v33, v3, v4 offset0:8 offset1:12
	ds_store_2addr_stride64_b32 v33, v5, v6 offset0:16 offset1:20
	;; [unrolled: 1-line block ×5, first 2 shown]
	ds_store_b32 v33, v13 offset:12288
	s_waitcnt vmcnt(0) lgkmcnt(0)
	s_mov_b32 s11, 0
	s_barrier
.LBB702_6:
	s_and_not1_b32 vcc_lo, exec_lo, s11
	s_add_i32 s1, s1, s16
	s_cbranch_vccnz .LBB702_8
; %bb.7:
	ds_store_2addr_stride64_b32 v33, v1, v2 offset1:4
	ds_store_2addr_stride64_b32 v33, v3, v4 offset0:8 offset1:12
	ds_store_2addr_stride64_b32 v33, v5, v6 offset0:16 offset1:20
	;; [unrolled: 1-line block ×5, first 2 shown]
	ds_store_b32 v33, v13 offset:12288
	s_waitcnt vmcnt(0) lgkmcnt(0)
	s_barrier
.LBB702_8:
	v_mul_u32_u24_e32 v36, 13, v0
	s_waitcnt vmcnt(0)
	buffer_gl0_inv
	v_cndmask_b32_e64 v34, 0, 1, s0
	s_sub_i32 s11, s14, s1
	s_and_not1_b32 vcc_lo, exec_lo, s0
	v_lshlrev_b32_e32 v1, 2, v36
	ds_load_2addr_b32 v[30:31], v1 offset1:1
	ds_load_2addr_b32 v[28:29], v1 offset0:2 offset1:3
	ds_load_2addr_b32 v[26:27], v1 offset0:4 offset1:5
	;; [unrolled: 1-line block ×5, first 2 shown]
	ds_load_b32 v35, v1 offset:48
	s_waitcnt lgkmcnt(0)
	s_barrier
	buffer_gl0_inv
	s_cbranch_vccnz .LBB702_10
; %bb.9:
	v_add_nc_u32_e32 v1, s5, v30
	v_add_nc_u32_e32 v2, s7, v30
	v_add_nc_u32_e32 v3, s5, v31
	v_add_nc_u32_e32 v4, s7, v31
	v_add_nc_u32_e32 v5, s5, v28
	v_mul_lo_u32 v1, v1, s4
	v_mul_lo_u32 v2, v2, s6
	;; [unrolled: 1-line block ×4, first 2 shown]
	v_add_nc_u32_e32 v6, s7, v28
	v_add_nc_u32_e32 v7, s5, v29
	;; [unrolled: 1-line block ×3, first 2 shown]
	v_mul_lo_u32 v5, v5, s4
	v_add_nc_u32_e32 v9, s5, v24
	v_sub_nc_u32_e32 v1, v1, v2
	v_mul_lo_u32 v2, v6, s6
	v_sub_nc_u32_e32 v3, v3, v4
	v_mul_lo_u32 v4, v7, s4
	v_mul_lo_u32 v6, v8, s6
	v_add_nc_u32_e32 v7, s5, v26
	v_cmp_lt_u32_e32 vcc_lo, s3, v1
	v_add_nc_u32_e32 v8, s5, v27
	v_add_nc_u32_e32 v10, s7, v24
	v_sub_nc_u32_e32 v2, v5, v2
	v_add_nc_u32_e32 v5, s7, v26
	v_cndmask_b32_e64 v1, 0, 1, vcc_lo
	v_sub_nc_u32_e32 v4, v4, v6
	v_mul_lo_u32 v6, v7, s4
	v_add_nc_u32_e32 v7, s7, v27
	v_cmp_lt_u32_e32 vcc_lo, s3, v3
	v_mul_lo_u32 v5, v5, s6
	v_mul_lo_u32 v8, v8, s4
	;; [unrolled: 1-line block ×4, first 2 shown]
	v_cndmask_b32_e64 v3, 0, 1, vcc_lo
	v_cmp_lt_u32_e32 vcc_lo, s3, v2
	v_mul_lo_u32 v10, v10, s6
	v_add_nc_u32_e32 v11, s5, v22
	v_sub_nc_u32_e32 v5, v6, v5
	v_add_nc_u32_e32 v12, s7, v22
	v_cndmask_b32_e64 v2, 0, 1, vcc_lo
	v_sub_nc_u32_e32 v6, v8, v7
	v_add_nc_u32_e32 v7, s5, v25
	v_add_nc_u32_e32 v8, s7, v25
	v_cmp_lt_u32_e32 vcc_lo, s3, v4
	v_sub_nc_u32_e32 v9, v9, v10
	v_mul_lo_u32 v10, v11, s4
	v_mul_lo_u32 v7, v7, s4
	;; [unrolled: 1-line block ×4, first 2 shown]
	v_cndmask_b32_e64 v4, 0, 1, vcc_lo
	v_cmp_lt_u32_e32 vcc_lo, s3, v5
	v_add_nc_u32_e32 v12, s5, v23
	v_add_nc_u32_e32 v13, s7, v20
	;; [unrolled: 1-line block ×4, first 2 shown]
	v_cndmask_b32_e64 v5, 0, 1, vcc_lo
	v_cmp_lt_u32_e32 vcc_lo, s3, v6
	v_sub_nc_u32_e32 v7, v7, v8
	v_sub_nc_u32_e32 v8, v10, v11
	v_add_nc_u32_e32 v11, s7, v23
	v_mul_lo_u32 v10, v12, s4
	v_cndmask_b32_e64 v6, 0, 1, vcc_lo
	v_cmp_lt_u32_e32 vcc_lo, s3, v9
	v_add_nc_u32_e32 v12, s5, v20
	v_mul_lo_u32 v11, v11, s6
	v_mul_lo_u32 v13, v13, s6
	;; [unrolled: 1-line block ×3, first 2 shown]
	v_cndmask_b32_e64 v9, 0, 1, vcc_lo
	v_cmp_lt_u32_e32 vcc_lo, s3, v7
	v_mul_lo_u32 v12, v12, s4
	v_mul_lo_u32 v15, v15, s6
	v_lshlrev_b16 v3, 8, v3
	v_sub_nc_u32_e32 v10, v10, v11
	v_cndmask_b32_e64 v7, 0, 1, vcc_lo
	v_cmp_lt_u32_e32 vcc_lo, s3, v8
	v_add_nc_u32_e32 v11, s5, v35
	v_or_b32_e32 v1, v1, v3
	v_sub_nc_u32_e32 v12, v12, v13
	v_sub_nc_u32_e32 v13, v14, v15
	v_cndmask_b32_e64 v8, 0, 1, vcc_lo
	v_cmp_lt_u32_e32 vcc_lo, s3, v10
	v_add_nc_u32_e32 v16, s7, v35
	v_mul_lo_u32 v11, v11, s4
	v_lshlrev_b16 v4, 8, v4
	v_lshlrev_b16 v6, 8, v6
	v_cndmask_b32_e64 v10, 0, 1, vcc_lo
	v_cmp_lt_u32_e32 vcc_lo, s3, v12
	v_mul_lo_u32 v14, v16, s6
	v_lshlrev_b16 v7, 8, v7
	v_or_b32_e32 v2, v2, v4
	v_lshlrev_b16 v10, 8, v10
	v_cndmask_b32_e64 v3, 0, 1, vcc_lo
	v_cmp_lt_u32_e32 vcc_lo, s3, v13
	v_or_b32_e32 v4, v5, v6
	v_or_b32_e32 v5, v9, v7
	v_sub_nc_u32_e32 v11, v11, v14
	v_or_b32_e32 v6, v8, v10
	v_cndmask_b32_e64 v12, 0, 1, vcc_lo
	v_and_b32_e32 v1, 0xffff, v1
	v_lshlrev_b32_e32 v2, 16, v2
	v_and_b32_e32 v4, 0xffff, v4
	v_lshlrev_b32_e32 v5, 16, v5
	v_lshlrev_b16 v12, 8, v12
	v_and_b32_e32 v6, 0xffff, v6
	v_cmp_lt_u32_e32 vcc_lo, s3, v11
	v_or_b32_e32 v42, v1, v2
	v_or_b32_e32 v40, v4, v5
	;; [unrolled: 1-line block ×3, first 2 shown]
	v_cndmask_b32_e64 v37, 0, 1, vcc_lo
	s_delay_alu instid0(VALU_DEP_2) | instskip(NEXT) | instid1(VALU_DEP_1)
	v_lshlrev_b32_e32 v3, 16, v3
	v_or_b32_e32 v38, v6, v3
	s_addk_i32 s11, 0xd00
	s_cbranch_execz .LBB702_11
	s_branch .LBB702_38
.LBB702_10:
                                        ; implicit-def: $vgpr37
                                        ; implicit-def: $vgpr38
                                        ; implicit-def: $vgpr40
                                        ; implicit-def: $vgpr42
	s_addk_i32 s11, 0xd00
.LBB702_11:
	v_dual_mov_b32 v2, 0 :: v_dual_mov_b32 v1, 0
	s_mov_b32 s0, exec_lo
	v_cmpx_gt_u32_e64 s11, v36
; %bb.12:
	v_add_nc_u32_e32 v1, s5, v30
	v_add_nc_u32_e32 v3, s7, v30
	s_delay_alu instid0(VALU_DEP_2) | instskip(NEXT) | instid1(VALU_DEP_2)
	v_mul_lo_u32 v1, v1, s4
	v_mul_lo_u32 v3, v3, s6
	s_delay_alu instid0(VALU_DEP_1) | instskip(NEXT) | instid1(VALU_DEP_1)
	v_sub_nc_u32_e32 v1, v1, v3
	v_cmp_lt_u32_e32 vcc_lo, s3, v1
	v_cndmask_b32_e64 v1, 0, 1, vcc_lo
; %bb.13:
	s_or_b32 exec_lo, exec_lo, s0
	v_add_nc_u32_e32 v3, 1, v36
	s_mov_b32 s0, exec_lo
	s_delay_alu instid0(VALU_DEP_1)
	v_cmpx_gt_u32_e64 s11, v3
; %bb.14:
	v_add_nc_u32_e32 v2, s5, v31
	v_add_nc_u32_e32 v3, s7, v31
	s_delay_alu instid0(VALU_DEP_2) | instskip(NEXT) | instid1(VALU_DEP_2)
	v_mul_lo_u32 v2, v2, s4
	v_mul_lo_u32 v3, v3, s6
	s_delay_alu instid0(VALU_DEP_1) | instskip(NEXT) | instid1(VALU_DEP_1)
	v_sub_nc_u32_e32 v2, v2, v3
	v_cmp_lt_u32_e32 vcc_lo, s3, v2
	v_cndmask_b32_e64 v2, 0, 1, vcc_lo
; %bb.15:
	s_or_b32 exec_lo, exec_lo, s0
	v_dual_mov_b32 v4, 0 :: v_dual_add_nc_u32 v3, 2, v36
	s_delay_alu instid0(VALU_DEP_1)
	v_cmp_gt_u32_e32 vcc_lo, s11, v3
	v_mov_b32_e32 v3, 0
	s_and_saveexec_b32 s0, vcc_lo
; %bb.16:
	v_add_nc_u32_e32 v3, s5, v28
	v_add_nc_u32_e32 v5, s7, v28
	s_delay_alu instid0(VALU_DEP_2) | instskip(NEXT) | instid1(VALU_DEP_2)
	v_mul_lo_u32 v3, v3, s4
	v_mul_lo_u32 v5, v5, s6
	s_delay_alu instid0(VALU_DEP_1) | instskip(NEXT) | instid1(VALU_DEP_1)
	v_sub_nc_u32_e32 v3, v3, v5
	v_cmp_lt_u32_e32 vcc_lo, s3, v3
	v_cndmask_b32_e64 v3, 0, 1, vcc_lo
; %bb.17:
	s_or_b32 exec_lo, exec_lo, s0
	v_add_nc_u32_e32 v5, 3, v36
	s_mov_b32 s0, exec_lo
	s_delay_alu instid0(VALU_DEP_1)
	v_cmpx_gt_u32_e64 s11, v5
; %bb.18:
	v_add_nc_u32_e32 v4, s5, v29
	v_add_nc_u32_e32 v5, s7, v29
	s_delay_alu instid0(VALU_DEP_2) | instskip(NEXT) | instid1(VALU_DEP_2)
	v_mul_lo_u32 v4, v4, s4
	v_mul_lo_u32 v5, v5, s6
	s_delay_alu instid0(VALU_DEP_1) | instskip(NEXT) | instid1(VALU_DEP_1)
	v_sub_nc_u32_e32 v4, v4, v5
	v_cmp_lt_u32_e32 vcc_lo, s3, v4
	v_cndmask_b32_e64 v4, 0, 1, vcc_lo
; %bb.19:
	s_or_b32 exec_lo, exec_lo, s0
	v_dual_mov_b32 v6, 0 :: v_dual_add_nc_u32 v5, 4, v36
	s_delay_alu instid0(VALU_DEP_1)
	v_cmp_gt_u32_e32 vcc_lo, s11, v5
	v_mov_b32_e32 v5, 0
	s_and_saveexec_b32 s0, vcc_lo
	;; [unrolled: 33-line block ×5, first 2 shown]
; %bb.32:
	v_add_nc_u32_e32 v11, s5, v20
	v_add_nc_u32_e32 v13, s7, v20
	s_delay_alu instid0(VALU_DEP_2) | instskip(NEXT) | instid1(VALU_DEP_2)
	v_mul_lo_u32 v11, v11, s4
	v_mul_lo_u32 v13, v13, s6
	s_delay_alu instid0(VALU_DEP_1) | instskip(NEXT) | instid1(VALU_DEP_1)
	v_sub_nc_u32_e32 v11, v11, v13
	v_cmp_lt_u32_e32 vcc_lo, s3, v11
	v_cndmask_b32_e64 v11, 0, 1, vcc_lo
; %bb.33:
	s_or_b32 exec_lo, exec_lo, s0
	v_add_nc_u32_e32 v13, 11, v36
	s_mov_b32 s0, exec_lo
	s_delay_alu instid0(VALU_DEP_1)
	v_cmpx_gt_u32_e64 s11, v13
; %bb.34:
	v_add_nc_u32_e32 v12, s5, v21
	v_add_nc_u32_e32 v13, s7, v21
	s_delay_alu instid0(VALU_DEP_2) | instskip(NEXT) | instid1(VALU_DEP_2)
	v_mul_lo_u32 v12, v12, s4
	v_mul_lo_u32 v13, v13, s6
	s_delay_alu instid0(VALU_DEP_1) | instskip(NEXT) | instid1(VALU_DEP_1)
	v_sub_nc_u32_e32 v12, v12, v13
	v_cmp_lt_u32_e32 vcc_lo, s3, v12
	v_cndmask_b32_e64 v12, 0, 1, vcc_lo
; %bb.35:
	s_or_b32 exec_lo, exec_lo, s0
	v_add_nc_u32_e32 v13, 12, v36
	v_mov_b32_e32 v37, 0
	s_mov_b32 s0, exec_lo
	s_delay_alu instid0(VALU_DEP_2)
	v_cmpx_gt_u32_e64 s11, v13
; %bb.36:
	v_add_nc_u32_e32 v13, s5, v35
	v_add_nc_u32_e32 v14, s7, v35
	s_delay_alu instid0(VALU_DEP_2) | instskip(NEXT) | instid1(VALU_DEP_2)
	v_mul_lo_u32 v13, v13, s4
	v_mul_lo_u32 v14, v14, s6
	s_delay_alu instid0(VALU_DEP_1) | instskip(NEXT) | instid1(VALU_DEP_1)
	v_sub_nc_u32_e32 v13, v13, v14
	v_cmp_lt_u32_e32 vcc_lo, s3, v13
	v_cndmask_b32_e64 v37, 0, 1, vcc_lo
; %bb.37:
	s_or_b32 exec_lo, exec_lo, s0
	v_lshlrev_b16 v2, 8, v2
	v_lshlrev_b16 v4, 8, v4
	;; [unrolled: 1-line block ×5, first 2 shown]
	v_or_b32_e32 v1, v1, v2
	v_lshlrev_b16 v2, 8, v12
	v_or_b32_e32 v3, v3, v4
	v_or_b32_e32 v4, v5, v6
	v_or_b32_e32 v5, v7, v8
	v_or_b32_e32 v6, v9, v10
	v_or_b32_e32 v2, v11, v2
	v_and_b32_e32 v1, 0xffff, v1
	v_lshlrev_b32_e32 v3, 16, v3
	v_and_b32_e32 v4, 0xffff, v4
	v_lshlrev_b32_e32 v5, 16, v5
	;; [unrolled: 2-line block ×3, first 2 shown]
	v_or_b32_e32 v42, v1, v3
	s_delay_alu instid0(VALU_DEP_4) | instskip(NEXT) | instid1(VALU_DEP_3)
	v_or_b32_e32 v40, v4, v5
	v_or_b32_e32 v38, v6, v2
.LBB702_38:
	s_delay_alu instid0(VALU_DEP_3)
	v_and_b32_e32 v44, 0xff, v42
	v_bfe_u32 v45, v42, 8, 8
	v_bfe_u32 v46, v42, 16, 8
	v_lshrrev_b32_e32 v43, 24, v42
	v_and_b32_e32 v47, 0xff, v40
	v_bfe_u32 v48, v40, 8, 8
	v_bfe_u32 v49, v40, 16, 8
	v_add3_u32 v1, v45, v44, v46
	v_lshrrev_b32_e32 v41, 24, v40
	v_and_b32_e32 v50, 0xff, v38
	v_bfe_u32 v51, v38, 8, 8
	v_mbcnt_lo_u32_b32 v53, -1, 0
	v_add3_u32 v1, v1, v43, v47
	v_bfe_u32 v52, v38, 16, 8
	v_lshrrev_b32_e32 v39, 24, v38
	v_and_b32_e32 v2, 0xff, v37
	v_and_b32_e32 v3, 15, v53
	v_add3_u32 v1, v1, v48, v49
	v_or_b32_e32 v4, 31, v0
	v_and_b32_e32 v5, 16, v53
	v_lshrrev_b32_e32 v54, 5, v0
	v_cmp_eq_u32_e64 s6, 0, v3
	v_add3_u32 v1, v1, v41, v50
	v_cmp_lt_u32_e64 s5, 1, v3
	v_cmp_lt_u32_e64 s4, 3, v3
	;; [unrolled: 1-line block ×3, first 2 shown]
	v_cmp_eq_u32_e64 s1, 0, v5
	v_add3_u32 v1, v1, v51, v52
	v_cmp_eq_u32_e64 s0, v4, v0
	s_cmp_lg_u32 s20, 0
	s_mov_b32 s7, -1
	s_delay_alu instid0(VALU_DEP_2)
	v_add3_u32 v55, v1, v39, v2
	s_cbranch_scc0 .LBB702_64
; %bb.39:
	s_delay_alu instid0(VALU_DEP_1) | instskip(NEXT) | instid1(VALU_DEP_1)
	v_mov_b32_dpp v1, v55 row_shr:1 row_mask:0xf bank_mask:0xf
	v_cndmask_b32_e64 v1, v1, 0, s6
	s_delay_alu instid0(VALU_DEP_1) | instskip(NEXT) | instid1(VALU_DEP_1)
	v_add_nc_u32_e32 v1, v1, v55
	v_mov_b32_dpp v2, v1 row_shr:2 row_mask:0xf bank_mask:0xf
	s_delay_alu instid0(VALU_DEP_1) | instskip(NEXT) | instid1(VALU_DEP_1)
	v_cndmask_b32_e64 v2, 0, v2, s5
	v_add_nc_u32_e32 v1, v1, v2
	s_delay_alu instid0(VALU_DEP_1) | instskip(NEXT) | instid1(VALU_DEP_1)
	v_mov_b32_dpp v2, v1 row_shr:4 row_mask:0xf bank_mask:0xf
	v_cndmask_b32_e64 v2, 0, v2, s4
	s_delay_alu instid0(VALU_DEP_1) | instskip(NEXT) | instid1(VALU_DEP_1)
	v_add_nc_u32_e32 v1, v1, v2
	v_mov_b32_dpp v2, v1 row_shr:8 row_mask:0xf bank_mask:0xf
	s_delay_alu instid0(VALU_DEP_1) | instskip(NEXT) | instid1(VALU_DEP_1)
	v_cndmask_b32_e64 v2, 0, v2, s3
	v_add_nc_u32_e32 v1, v1, v2
	ds_swizzle_b32 v2, v1 offset:swizzle(BROADCAST,32,15)
	s_waitcnt lgkmcnt(0)
	v_cndmask_b32_e64 v2, v2, 0, s1
	s_delay_alu instid0(VALU_DEP_1)
	v_add_nc_u32_e32 v1, v1, v2
	s_and_saveexec_b32 s7, s0
	s_cbranch_execz .LBB702_41
; %bb.40:
	v_lshlrev_b32_e32 v2, 2, v54
	ds_store_b32 v2, v1
.LBB702_41:
	s_or_b32 exec_lo, exec_lo, s7
	s_delay_alu instid0(SALU_CYCLE_1)
	s_mov_b32 s7, exec_lo
	s_waitcnt lgkmcnt(0)
	s_barrier
	buffer_gl0_inv
	v_cmpx_gt_u32_e32 8, v0
	s_cbranch_execz .LBB702_43
; %bb.42:
	ds_load_b32 v2, v33
	s_waitcnt lgkmcnt(0)
	v_mov_b32_dpp v4, v2 row_shr:1 row_mask:0xf bank_mask:0xf
	v_and_b32_e32 v3, 7, v53
	s_delay_alu instid0(VALU_DEP_1) | instskip(NEXT) | instid1(VALU_DEP_3)
	v_cmp_ne_u32_e32 vcc_lo, 0, v3
	v_cndmask_b32_e32 v4, 0, v4, vcc_lo
	v_cmp_lt_u32_e32 vcc_lo, 1, v3
	s_delay_alu instid0(VALU_DEP_2) | instskip(NEXT) | instid1(VALU_DEP_1)
	v_add_nc_u32_e32 v2, v4, v2
	v_mov_b32_dpp v4, v2 row_shr:2 row_mask:0xf bank_mask:0xf
	s_delay_alu instid0(VALU_DEP_1) | instskip(SKIP_1) | instid1(VALU_DEP_2)
	v_cndmask_b32_e32 v4, 0, v4, vcc_lo
	v_cmp_lt_u32_e32 vcc_lo, 3, v3
	v_add_nc_u32_e32 v2, v2, v4
	s_delay_alu instid0(VALU_DEP_1) | instskip(NEXT) | instid1(VALU_DEP_1)
	v_mov_b32_dpp v4, v2 row_shr:4 row_mask:0xf bank_mask:0xf
	v_cndmask_b32_e32 v3, 0, v4, vcc_lo
	s_delay_alu instid0(VALU_DEP_1)
	v_add_nc_u32_e32 v2, v2, v3
	ds_store_b32 v33, v2
.LBB702_43:
	s_or_b32 exec_lo, exec_lo, s7
	v_cmp_gt_u32_e32 vcc_lo, 32, v0
	s_mov_b32 s21, exec_lo
	s_waitcnt lgkmcnt(0)
	s_barrier
	buffer_gl0_inv
                                        ; implicit-def: $vgpr8
	v_cmpx_lt_u32_e32 31, v0
	s_cbranch_execz .LBB702_45
; %bb.44:
	v_lshl_add_u32 v2, v54, 2, -4
	ds_load_b32 v8, v2
	s_waitcnt lgkmcnt(0)
	v_add_nc_u32_e32 v1, v8, v1
.LBB702_45:
	s_or_b32 exec_lo, exec_lo, s21
	v_add_nc_u32_e32 v2, -1, v53
	s_delay_alu instid0(VALU_DEP_1) | instskip(NEXT) | instid1(VALU_DEP_1)
	v_cmp_gt_i32_e64 s7, 0, v2
	v_cndmask_b32_e64 v2, v2, v53, s7
	v_cmp_eq_u32_e64 s7, 0, v53
	s_delay_alu instid0(VALU_DEP_2)
	v_lshlrev_b32_e32 v2, 2, v2
	ds_bpermute_b32 v9, v2, v1
	s_and_saveexec_b32 s21, vcc_lo
	s_cbranch_execz .LBB702_63
; %bb.46:
	v_mov_b32_e32 v4, 0
	ds_load_b32 v1, v4 offset:28
	s_and_saveexec_b32 s22, s7
	s_cbranch_execz .LBB702_48
; %bb.47:
	s_add_i32 s24, s20, 32
	s_mov_b32 s25, 0
	v_mov_b32_e32 v2, 1
	s_lshl_b64 s[24:25], s[24:25], 3
	s_delay_alu instid0(SALU_CYCLE_1)
	s_add_u32 s24, s18, s24
	s_addc_u32 s25, s19, s25
	s_waitcnt lgkmcnt(0)
	global_store_b64 v4, v[1:2], s[24:25]
.LBB702_48:
	s_or_b32 exec_lo, exec_lo, s22
	v_xad_u32 v2, v53, -1, s20
	s_mov_b32 s23, 0
	s_mov_b32 s22, exec_lo
	s_delay_alu instid0(VALU_DEP_1) | instskip(NEXT) | instid1(VALU_DEP_1)
	v_add_nc_u32_e32 v3, 32, v2
	v_lshlrev_b64 v[3:4], 3, v[3:4]
	s_delay_alu instid0(VALU_DEP_1) | instskip(NEXT) | instid1(VALU_DEP_2)
	v_add_co_u32 v6, vcc_lo, s18, v3
	v_add_co_ci_u32_e32 v7, vcc_lo, s19, v4, vcc_lo
	global_load_b64 v[4:5], v[6:7], off glc
	s_waitcnt vmcnt(0)
	v_and_b32_e32 v3, 0xff, v5
	s_delay_alu instid0(VALU_DEP_1)
	v_cmpx_eq_u16_e32 0, v3
	s_cbranch_execz .LBB702_51
.LBB702_49:                             ; =>This Inner Loop Header: Depth=1
	global_load_b64 v[4:5], v[6:7], off glc
	s_waitcnt vmcnt(0)
	v_and_b32_e32 v3, 0xff, v5
	s_delay_alu instid0(VALU_DEP_1) | instskip(SKIP_1) | instid1(SALU_CYCLE_1)
	v_cmp_ne_u16_e32 vcc_lo, 0, v3
	s_or_b32 s23, vcc_lo, s23
	s_and_not1_b32 exec_lo, exec_lo, s23
	s_cbranch_execnz .LBB702_49
; %bb.50:
	s_or_b32 exec_lo, exec_lo, s23
.LBB702_51:
	s_delay_alu instid0(SALU_CYCLE_1)
	s_or_b32 exec_lo, exec_lo, s22
	v_cmp_ne_u32_e32 vcc_lo, 31, v53
	v_lshlrev_b32_e64 v11, v53, -1
	v_add_nc_u32_e32 v13, 2, v53
	v_add_nc_u32_e32 v15, 4, v53
	;; [unrolled: 1-line block ×3, first 2 shown]
	v_add_co_ci_u32_e32 v3, vcc_lo, 0, v53, vcc_lo
	v_add_nc_u32_e32 v58, 16, v53
	s_delay_alu instid0(VALU_DEP_2) | instskip(SKIP_2) | instid1(VALU_DEP_1)
	v_lshlrev_b32_e32 v10, 2, v3
	ds_bpermute_b32 v6, v10, v4
	v_and_b32_e32 v3, 0xff, v5
	v_cmp_eq_u16_e32 vcc_lo, 2, v3
	v_and_or_b32 v3, vcc_lo, v11, 0x80000000
	v_cmp_gt_u32_e32 vcc_lo, 30, v53
	s_delay_alu instid0(VALU_DEP_2) | instskip(SKIP_1) | instid1(VALU_DEP_2)
	v_ctz_i32_b32_e32 v3, v3
	v_cndmask_b32_e64 v7, 0, 1, vcc_lo
	v_cmp_lt_u32_e32 vcc_lo, v53, v3
	s_waitcnt lgkmcnt(0)
	s_delay_alu instid0(VALU_DEP_2) | instskip(NEXT) | instid1(VALU_DEP_1)
	v_dual_cndmask_b32 v6, 0, v6 :: v_dual_lshlrev_b32 v7, 1, v7
	v_add_lshl_u32 v12, v7, v53, 2
	v_cmp_gt_u32_e32 vcc_lo, 28, v53
	s_delay_alu instid0(VALU_DEP_3) | instskip(SKIP_4) | instid1(VALU_DEP_1)
	v_add_nc_u32_e32 v4, v6, v4
	v_cndmask_b32_e64 v7, 0, 1, vcc_lo
	v_cmp_le_u32_e32 vcc_lo, v13, v3
	ds_bpermute_b32 v6, v12, v4
	v_lshlrev_b32_e32 v7, 2, v7
	v_add_lshl_u32 v14, v7, v53, 2
	s_waitcnt lgkmcnt(0)
	v_cndmask_b32_e32 v6, 0, v6, vcc_lo
	v_cmp_gt_u32_e32 vcc_lo, 24, v53
	s_delay_alu instid0(VALU_DEP_2) | instskip(SKIP_4) | instid1(VALU_DEP_1)
	v_add_nc_u32_e32 v4, v4, v6
	v_cndmask_b32_e64 v7, 0, 1, vcc_lo
	v_cmp_le_u32_e32 vcc_lo, v15, v3
	ds_bpermute_b32 v6, v14, v4
	v_lshlrev_b32_e32 v7, 3, v7
	v_add_lshl_u32 v17, v7, v53, 2
	s_waitcnt lgkmcnt(0)
	v_cndmask_b32_e32 v6, 0, v6, vcc_lo
	v_cmp_gt_u32_e32 vcc_lo, 16, v53
	s_delay_alu instid0(VALU_DEP_2) | instskip(SKIP_4) | instid1(VALU_DEP_1)
	v_add_nc_u32_e32 v4, v4, v6
	v_cndmask_b32_e64 v7, 0, 1, vcc_lo
	v_cmp_le_u32_e32 vcc_lo, v56, v3
	ds_bpermute_b32 v6, v17, v4
	v_lshlrev_b32_e32 v7, 4, v7
	v_add_lshl_u32 v57, v7, v53, 2
	s_waitcnt lgkmcnt(0)
	v_cndmask_b32_e32 v6, 0, v6, vcc_lo
	v_cmp_le_u32_e32 vcc_lo, v58, v3
	s_delay_alu instid0(VALU_DEP_2) | instskip(SKIP_3) | instid1(VALU_DEP_1)
	v_add_nc_u32_e32 v4, v4, v6
	ds_bpermute_b32 v6, v57, v4
	s_waitcnt lgkmcnt(0)
	v_cndmask_b32_e32 v3, 0, v6, vcc_lo
	v_dual_mov_b32 v3, 0 :: v_dual_add_nc_u32 v4, v4, v3
	s_branch .LBB702_53
.LBB702_52:                             ;   in Loop: Header=BB702_53 Depth=1
	s_or_b32 exec_lo, exec_lo, s22
	ds_bpermute_b32 v7, v10, v4
	v_and_b32_e32 v6, 0xff, v5
	v_subrev_nc_u32_e32 v2, 32, v2
	s_delay_alu instid0(VALU_DEP_2) | instskip(SKIP_1) | instid1(VALU_DEP_1)
	v_cmp_eq_u16_e32 vcc_lo, 2, v6
	v_and_or_b32 v6, vcc_lo, v11, 0x80000000
	v_ctz_i32_b32_e32 v6, v6
	s_delay_alu instid0(VALU_DEP_1) | instskip(SKIP_3) | instid1(VALU_DEP_2)
	v_cmp_lt_u32_e32 vcc_lo, v53, v6
	s_waitcnt lgkmcnt(0)
	v_cndmask_b32_e32 v7, 0, v7, vcc_lo
	v_cmp_le_u32_e32 vcc_lo, v13, v6
	v_add_nc_u32_e32 v4, v7, v4
	ds_bpermute_b32 v7, v12, v4
	s_waitcnt lgkmcnt(0)
	v_cndmask_b32_e32 v7, 0, v7, vcc_lo
	v_cmp_le_u32_e32 vcc_lo, v15, v6
	s_delay_alu instid0(VALU_DEP_2) | instskip(SKIP_4) | instid1(VALU_DEP_2)
	v_add_nc_u32_e32 v4, v4, v7
	ds_bpermute_b32 v7, v14, v4
	s_waitcnt lgkmcnt(0)
	v_cndmask_b32_e32 v7, 0, v7, vcc_lo
	v_cmp_le_u32_e32 vcc_lo, v56, v6
	v_add_nc_u32_e32 v4, v4, v7
	ds_bpermute_b32 v7, v17, v4
	s_waitcnt lgkmcnt(0)
	v_cndmask_b32_e32 v7, 0, v7, vcc_lo
	v_cmp_le_u32_e32 vcc_lo, v58, v6
	s_delay_alu instid0(VALU_DEP_2) | instskip(SKIP_3) | instid1(VALU_DEP_1)
	v_add_nc_u32_e32 v4, v4, v7
	ds_bpermute_b32 v7, v57, v4
	s_waitcnt lgkmcnt(0)
	v_cndmask_b32_e32 v6, 0, v7, vcc_lo
	v_add3_u32 v4, v6, v16, v4
.LBB702_53:                             ; =>This Loop Header: Depth=1
                                        ;     Child Loop BB702_56 Depth 2
	s_delay_alu instid0(VALU_DEP_1) | instskip(NEXT) | instid1(VALU_DEP_1)
	v_dual_mov_b32 v16, v4 :: v_dual_and_b32 v5, 0xff, v5
	v_cmp_ne_u16_e32 vcc_lo, 2, v5
	v_cndmask_b32_e64 v5, 0, 1, vcc_lo
	;;#ASMSTART
	;;#ASMEND
	s_delay_alu instid0(VALU_DEP_1)
	v_cmp_ne_u32_e32 vcc_lo, 0, v5
	s_cmp_lg_u32 vcc_lo, exec_lo
	s_cbranch_scc1 .LBB702_58
; %bb.54:                               ;   in Loop: Header=BB702_53 Depth=1
	v_lshlrev_b64 v[4:5], 3, v[2:3]
	s_mov_b32 s22, exec_lo
	s_delay_alu instid0(VALU_DEP_1) | instskip(NEXT) | instid1(VALU_DEP_2)
	v_add_co_u32 v6, vcc_lo, s18, v4
	v_add_co_ci_u32_e32 v7, vcc_lo, s19, v5, vcc_lo
	global_load_b64 v[4:5], v[6:7], off glc
	s_waitcnt vmcnt(0)
	v_and_b32_e32 v59, 0xff, v5
	s_delay_alu instid0(VALU_DEP_1)
	v_cmpx_eq_u16_e32 0, v59
	s_cbranch_execz .LBB702_52
; %bb.55:                               ;   in Loop: Header=BB702_53 Depth=1
	s_mov_b32 s23, 0
.LBB702_56:                             ;   Parent Loop BB702_53 Depth=1
                                        ; =>  This Inner Loop Header: Depth=2
	global_load_b64 v[4:5], v[6:7], off glc
	s_waitcnt vmcnt(0)
	v_and_b32_e32 v59, 0xff, v5
	s_delay_alu instid0(VALU_DEP_1) | instskip(SKIP_1) | instid1(SALU_CYCLE_1)
	v_cmp_ne_u16_e32 vcc_lo, 0, v59
	s_or_b32 s23, vcc_lo, s23
	s_and_not1_b32 exec_lo, exec_lo, s23
	s_cbranch_execnz .LBB702_56
; %bb.57:                               ;   in Loop: Header=BB702_53 Depth=1
	s_or_b32 exec_lo, exec_lo, s23
	s_branch .LBB702_52
.LBB702_58:                             ;   in Loop: Header=BB702_53 Depth=1
                                        ; implicit-def: $vgpr4
                                        ; implicit-def: $vgpr5
	s_cbranch_execz .LBB702_53
; %bb.59:
	s_and_saveexec_b32 s22, s7
	s_cbranch_execz .LBB702_61
; %bb.60:
	s_add_i32 s24, s20, 32
	s_mov_b32 s25, 0
	v_dual_mov_b32 v3, 2 :: v_dual_add_nc_u32 v2, v16, v1
	s_lshl_b64 s[24:25], s[24:25], 3
	v_mov_b32_e32 v4, 0
	v_add_nc_u32_e64 v5, 0x3400, 0
	s_add_u32 s24, s18, s24
	s_addc_u32 s25, s19, s25
	global_store_b64 v4, v[2:3], s[24:25]
	ds_store_2addr_b32 v5, v1, v16 offset1:2
.LBB702_61:
	s_or_b32 exec_lo, exec_lo, s22
	s_delay_alu instid0(SALU_CYCLE_1)
	s_and_b32 exec_lo, exec_lo, s2
	s_cbranch_execz .LBB702_63
; %bb.62:
	v_mov_b32_e32 v1, 0
	ds_store_b32 v1, v16 offset:28
.LBB702_63:
	s_or_b32 exec_lo, exec_lo, s21
	v_mov_b32_e32 v1, 0
	s_waitcnt lgkmcnt(0)
	s_waitcnt_vscnt null, 0x0
	s_barrier
	buffer_gl0_inv
	v_cndmask_b32_e64 v2, v9, v8, s7
	ds_load_b32 v1, v1 offset:28
	v_add_nc_u32_e64 v11, 0x3400, 0
	s_waitcnt lgkmcnt(0)
	s_barrier
	v_cndmask_b32_e64 v2, v2, 0, s2
	buffer_gl0_inv
	ds_load_2addr_b32 v[16:17], v11 offset1:2
	v_add_nc_u32_e32 v1, v1, v2
	s_delay_alu instid0(VALU_DEP_1) | instskip(NEXT) | instid1(VALU_DEP_1)
	v_add_nc_u32_e32 v2, v1, v44
	v_add_nc_u32_e32 v3, v2, v45
	s_delay_alu instid0(VALU_DEP_1) | instskip(NEXT) | instid1(VALU_DEP_1)
	v_add_nc_u32_e32 v4, v3, v46
	;; [unrolled: 3-line block ×6, first 2 shown]
	v_add_nc_u32_e32 v13, v12, v39
	s_branch .LBB702_74
.LBB702_64:
                                        ; implicit-def: $vgpr17
                                        ; implicit-def: $vgpr1_vgpr2_vgpr3_vgpr4_vgpr5_vgpr6_vgpr7_vgpr8_vgpr9_vgpr10_vgpr11_vgpr12_vgpr13_vgpr14_vgpr15_vgpr16
	s_and_b32 vcc_lo, exec_lo, s7
	s_cbranch_vccz .LBB702_74
; %bb.65:
	s_delay_alu instid0(VALU_DEP_1) | instskip(NEXT) | instid1(VALU_DEP_1)
	v_mov_b32_dpp v1, v55 row_shr:1 row_mask:0xf bank_mask:0xf
	v_cndmask_b32_e64 v1, v1, 0, s6
	s_delay_alu instid0(VALU_DEP_1) | instskip(NEXT) | instid1(VALU_DEP_1)
	v_add_nc_u32_e32 v1, v1, v55
	v_mov_b32_dpp v2, v1 row_shr:2 row_mask:0xf bank_mask:0xf
	s_delay_alu instid0(VALU_DEP_1) | instskip(NEXT) | instid1(VALU_DEP_1)
	v_cndmask_b32_e64 v2, 0, v2, s5
	v_add_nc_u32_e32 v1, v1, v2
	s_delay_alu instid0(VALU_DEP_1) | instskip(NEXT) | instid1(VALU_DEP_1)
	v_mov_b32_dpp v2, v1 row_shr:4 row_mask:0xf bank_mask:0xf
	v_cndmask_b32_e64 v2, 0, v2, s4
	s_delay_alu instid0(VALU_DEP_1) | instskip(NEXT) | instid1(VALU_DEP_1)
	v_add_nc_u32_e32 v1, v1, v2
	v_mov_b32_dpp v2, v1 row_shr:8 row_mask:0xf bank_mask:0xf
	s_delay_alu instid0(VALU_DEP_1) | instskip(NEXT) | instid1(VALU_DEP_1)
	v_cndmask_b32_e64 v2, 0, v2, s3
	v_add_nc_u32_e32 v1, v1, v2
	ds_swizzle_b32 v2, v1 offset:swizzle(BROADCAST,32,15)
	s_waitcnt lgkmcnt(0)
	v_cndmask_b32_e64 v2, v2, 0, s1
	s_delay_alu instid0(VALU_DEP_1)
	v_add_nc_u32_e32 v1, v1, v2
	s_and_saveexec_b32 s1, s0
	s_cbranch_execz .LBB702_67
; %bb.66:
	v_lshlrev_b32_e32 v2, 2, v54
	ds_store_b32 v2, v1
.LBB702_67:
	s_or_b32 exec_lo, exec_lo, s1
	s_delay_alu instid0(SALU_CYCLE_1)
	s_mov_b32 s0, exec_lo
	s_waitcnt lgkmcnt(0)
	s_barrier
	buffer_gl0_inv
	v_cmpx_gt_u32_e32 8, v0
	s_cbranch_execz .LBB702_69
; %bb.68:
	ds_load_b32 v2, v33
	s_waitcnt lgkmcnt(0)
	v_mov_b32_dpp v4, v2 row_shr:1 row_mask:0xf bank_mask:0xf
	v_and_b32_e32 v3, 7, v53
	s_delay_alu instid0(VALU_DEP_1) | instskip(NEXT) | instid1(VALU_DEP_3)
	v_cmp_ne_u32_e32 vcc_lo, 0, v3
	v_cndmask_b32_e32 v4, 0, v4, vcc_lo
	v_cmp_lt_u32_e32 vcc_lo, 1, v3
	s_delay_alu instid0(VALU_DEP_2) | instskip(NEXT) | instid1(VALU_DEP_1)
	v_add_nc_u32_e32 v2, v4, v2
	v_mov_b32_dpp v4, v2 row_shr:2 row_mask:0xf bank_mask:0xf
	s_delay_alu instid0(VALU_DEP_1) | instskip(SKIP_1) | instid1(VALU_DEP_2)
	v_cndmask_b32_e32 v4, 0, v4, vcc_lo
	v_cmp_lt_u32_e32 vcc_lo, 3, v3
	v_add_nc_u32_e32 v2, v2, v4
	s_delay_alu instid0(VALU_DEP_1) | instskip(NEXT) | instid1(VALU_DEP_1)
	v_mov_b32_dpp v4, v2 row_shr:4 row_mask:0xf bank_mask:0xf
	v_cndmask_b32_e32 v3, 0, v4, vcc_lo
	s_delay_alu instid0(VALU_DEP_1)
	v_add_nc_u32_e32 v2, v2, v3
	ds_store_b32 v33, v2
.LBB702_69:
	s_or_b32 exec_lo, exec_lo, s0
	v_dual_mov_b32 v3, 0 :: v_dual_mov_b32 v2, 0
	s_mov_b32 s0, exec_lo
	s_waitcnt lgkmcnt(0)
	s_barrier
	buffer_gl0_inv
	v_cmpx_lt_u32_e32 31, v0
	s_cbranch_execz .LBB702_71
; %bb.70:
	v_lshl_add_u32 v2, v54, 2, -4
	ds_load_b32 v2, v2
.LBB702_71:
	s_or_b32 exec_lo, exec_lo, s0
	v_add_nc_u32_e32 v4, -1, v53
	s_waitcnt lgkmcnt(0)
	v_add_nc_u32_e32 v1, v2, v1
	ds_load_b32 v16, v3 offset:28
	v_cmp_gt_i32_e32 vcc_lo, 0, v4
	v_cndmask_b32_e32 v4, v4, v53, vcc_lo
	s_delay_alu instid0(VALU_DEP_1)
	v_lshlrev_b32_e32 v4, 2, v4
	ds_bpermute_b32 v1, v4, v1
	s_and_saveexec_b32 s0, s2
	s_cbranch_execz .LBB702_73
; %bb.72:
	v_mov_b32_e32 v3, 0
	v_mov_b32_e32 v17, 2
	s_waitcnt lgkmcnt(1)
	global_store_b64 v3, v[16:17], s[18:19] offset:256
.LBB702_73:
	s_or_b32 exec_lo, exec_lo, s0
	v_cmp_eq_u32_e32 vcc_lo, 0, v53
	s_waitcnt lgkmcnt(0)
	s_waitcnt_vscnt null, 0x0
	s_barrier
	buffer_gl0_inv
	v_mov_b32_e32 v17, 0
	v_cndmask_b32_e32 v1, v1, v2, vcc_lo
	s_delay_alu instid0(VALU_DEP_1) | instskip(NEXT) | instid1(VALU_DEP_1)
	v_cndmask_b32_e64 v1, v1, 0, s2
	v_add_nc_u32_e32 v2, v1, v44
	s_delay_alu instid0(VALU_DEP_1) | instskip(NEXT) | instid1(VALU_DEP_1)
	v_add_nc_u32_e32 v3, v2, v45
	v_add_nc_u32_e32 v4, v3, v46
	s_delay_alu instid0(VALU_DEP_1) | instskip(NEXT) | instid1(VALU_DEP_1)
	v_add_nc_u32_e32 v5, v4, v43
	;; [unrolled: 3-line block ×5, first 2 shown]
	v_add_nc_u32_e32 v12, v11, v52
	s_delay_alu instid0(VALU_DEP_1)
	v_add_nc_u32_e32 v13, v12, v39
.LBB702_74:
	s_waitcnt lgkmcnt(0)
	v_sub_nc_u32_e32 v1, v1, v17
	v_sub_nc_u32_e32 v2, v2, v17
	v_add_nc_u32_e32 v36, v16, v36
	v_lshrrev_b32_e32 v47, 8, v42
	v_lshrrev_b32_e32 v46, 16, v42
	v_sub_nc_u32_e32 v4, v4, v17
	v_sub_nc_u32_e32 v3, v3, v17
	;; [unrolled: 1-line block ×3, first 2 shown]
	v_and_b32_e32 v42, 1, v42
	v_and_b32_e32 v47, 1, v47
	;; [unrolled: 1-line block ×3, first 2 shown]
	v_lshrrev_b32_e32 v45, 8, v40
	v_lshrrev_b32_e32 v44, 16, v40
	v_cmp_eq_u32_e32 vcc_lo, 1, v42
	v_and_b32_e32 v42, 1, v46
	v_sub_nc_u32_e32 v46, v36, v2
	v_lshrrev_b32_e32 v15, 8, v38
	v_lshrrev_b32_e32 v14, 16, v38
	v_cndmask_b32_e32 v1, v48, v1, vcc_lo
	v_cmp_eq_u32_e32 vcc_lo, 1, v47
	v_add_nc_u32_e32 v46, 1, v46
	s_delay_alu instid0(VALU_DEP_3)
	v_lshlrev_b32_e32 v1, 2, v1
	ds_store_b32 v1, v30
	v_cndmask_b32_e32 v1, v46, v2, vcc_lo
	v_sub_nc_u32_e32 v48, v36, v3
	v_sub_nc_u32_e32 v49, v36, v4
	v_cmp_eq_u32_e32 vcc_lo, 1, v42
	v_or_b32_e32 v30, 0x300, v0
	v_lshlrev_b32_e32 v1, 2, v1
	v_add_nc_u32_e32 v48, 2, v48
	v_add_nc_u32_e32 v49, 3, v49
	ds_store_b32 v1, v31
	v_cndmask_b32_e32 v2, v48, v3, vcc_lo
	v_cmp_eq_u32_e32 vcc_lo, 1, v43
	v_or_b32_e32 v31, 0x200, v0
	s_delay_alu instid0(VALU_DEP_3) | instskip(SKIP_2) | instid1(VALU_DEP_3)
	v_dual_cndmask_b32 v3, v49, v4 :: v_dual_lshlrev_b32 v2, 2, v2
	v_sub_nc_u32_e32 v4, v5, v17
	v_sub_nc_u32_e32 v5, v6, v17
	v_lshlrev_b32_e32 v3, 2, v3
	s_delay_alu instid0(VALU_DEP_3) | instskip(NEXT) | instid1(VALU_DEP_3)
	v_sub_nc_u32_e32 v1, v36, v4
	v_sub_nc_u32_e32 v6, v36, v5
	ds_store_b32 v2, v28
	ds_store_b32 v3, v29
	v_and_b32_e32 v2, 1, v40
	v_add_nc_u32_e32 v1, 4, v1
	v_add_nc_u32_e32 v3, 5, v6
	v_sub_nc_u32_e32 v6, v7, v17
	v_and_b32_e32 v7, 1, v45
	v_cmp_eq_u32_e32 vcc_lo, 1, v2
	v_sub_nc_u32_e32 v2, v8, v17
	v_and_b32_e32 v8, 1, v41
	v_or_b32_e32 v29, 0x400, v0
	v_or_b32_e32 v28, 0x500, v0
	v_cndmask_b32_e32 v1, v1, v4, vcc_lo
	v_sub_nc_u32_e32 v4, v36, v6
	v_cmp_eq_u32_e32 vcc_lo, 1, v7
	v_and_b32_e32 v7, 1, v44
	s_delay_alu instid0(VALU_DEP_4) | instskip(NEXT) | instid1(VALU_DEP_4)
	v_lshlrev_b32_e32 v1, 2, v1
	v_dual_cndmask_b32 v3, v3, v5 :: v_dual_add_nc_u32 v4, 6, v4
	v_sub_nc_u32_e32 v5, v36, v2
	s_delay_alu instid0(VALU_DEP_4) | instskip(SKIP_2) | instid1(VALU_DEP_4)
	v_cmp_eq_u32_e32 vcc_lo, 1, v7
	v_sub_nc_u32_e32 v7, v13, v17
	v_add_co_u32 v13, s0, s16, v32
	v_dual_cndmask_b32 v4, v4, v6 :: v_dual_add_nc_u32 v5, 7, v5
	v_cmp_eq_u32_e32 vcc_lo, 1, v8
	v_sub_nc_u32_e32 v6, v9, v17
	v_lshlrev_b32_e32 v3, 2, v3
	ds_store_b32 v1, v26
	ds_store_b32 v3, v27
	v_cndmask_b32_e32 v2, v5, v2, vcc_lo
	v_sub_nc_u32_e32 v1, v36, v6
	v_lshlrev_b32_e32 v3, 2, v4
	v_and_b32_e32 v5, 1, v38
	v_sub_nc_u32_e32 v4, v10, v17
	v_lshlrev_b32_e32 v2, 2, v2
	v_add_nc_u32_e32 v1, 8, v1
	ds_store_b32 v3, v24
	ds_store_b32 v2, v25
	v_cmp_eq_u32_e32 vcc_lo, 1, v5
	v_sub_nc_u32_e32 v3, v11, v17
	v_sub_nc_u32_e32 v2, v36, v4
	;; [unrolled: 1-line block ×3, first 2 shown]
	v_dual_cndmask_b32 v1, v1, v6 :: v_dual_and_b32 v10, 1, v39
	v_and_b32_e32 v6, 1, v15
	v_sub_nc_u32_e32 v8, v36, v3
	v_add_nc_u32_e32 v2, 9, v2
	v_sub_nc_u32_e32 v9, v36, v5
	v_and_b32_e32 v11, 1, v37
	v_cmp_eq_u32_e32 vcc_lo, 1, v6
	v_add_nc_u32_e32 v6, 10, v8
	v_and_b32_e32 v8, 1, v14
	v_add_nc_u32_e32 v9, 11, v9
	v_dual_cndmask_b32 v2, v2, v4 :: v_dual_lshlrev_b32 v1, 2, v1
	v_sub_nc_u32_e32 v4, v36, v7
	s_delay_alu instid0(VALU_DEP_4) | instskip(SKIP_1) | instid1(VALU_DEP_4)
	v_cmp_eq_u32_e32 vcc_lo, 1, v8
	v_add_co_ci_u32_e64 v14, null, s17, 0, s0
	v_lshlrev_b32_e32 v2, 2, v2
	s_delay_alu instid0(VALU_DEP_4)
	v_dual_cndmask_b32 v3, v6, v3 :: v_dual_add_nc_u32 v4, 12, v4
	v_cmp_eq_u32_e32 vcc_lo, 1, v10
	v_or_b32_e32 v27, 0x600, v0
	v_or_b32_e32 v26, 0x700, v0
	;; [unrolled: 1-line block ×3, first 2 shown]
	v_lshlrev_b32_e32 v3, 2, v3
	v_cndmask_b32_e32 v5, v9, v5, vcc_lo
	v_cmp_eq_u32_e32 vcc_lo, 1, v11
	v_or_b32_e32 v24, 0x900, v0
	s_delay_alu instid0(VALU_DEP_3) | instskip(SKIP_2) | instid1(VALU_DEP_3)
	v_dual_cndmask_b32 v4, v4, v7 :: v_dual_lshlrev_b32 v5, 2, v5
	v_sub_co_u32 v13, vcc_lo, s14, v13
	v_sub_co_ci_u32_e32 v14, vcc_lo, s15, v14, vcc_lo
	v_lshlrev_b32_e32 v4, 2, v4
	ds_store_b32 v1, v22
	ds_store_b32 v2, v23
	;; [unrolled: 1-line block ×5, first 2 shown]
	s_waitcnt lgkmcnt(0)
	s_barrier
	buffer_gl0_inv
	ds_load_2addr_stride64_b32 v[11:12], v33 offset1:4
	ds_load_2addr_stride64_b32 v[9:10], v33 offset0:8 offset1:12
	ds_load_2addr_stride64_b32 v[7:8], v33 offset0:16 offset1:20
	;; [unrolled: 1-line block ×5, first 2 shown]
	ds_load_b32 v20, v33 offset:12288
	v_add_co_u32 v15, vcc_lo, v18, v17
	v_add_co_ci_u32_e32 v17, vcc_lo, 0, v19, vcc_lo
	v_add_co_u32 v13, vcc_lo, v13, v16
	v_add_co_ci_u32_e32 v14, vcc_lo, 0, v14, vcc_lo
	v_cmp_ne_u32_e32 vcc_lo, 1, v34
	s_delay_alu instid0(VALU_DEP_3)
	v_add_co_u32 v18, s0, v13, v15
	v_or_b32_e32 v35, 0x100, v0
	v_or_b32_e32 v23, 0xa00, v0
	;; [unrolled: 1-line block ×4, first 2 shown]
	v_add_co_ci_u32_e64 v19, s0, v14, v17, s0
	s_mov_b32 s0, 0
	s_cbranch_vccnz .LBB702_131
; %bb.75:
	s_mov_b32 s0, exec_lo
                                        ; implicit-def: $vgpr13_vgpr14
	v_cmpx_ge_u32_e64 v0, v16
	s_xor_b32 s0, exec_lo, s0
; %bb.76:
	v_not_b32_e32 v13, v0
	s_delay_alu instid0(VALU_DEP_1) | instskip(SKIP_1) | instid1(VALU_DEP_2)
	v_ashrrev_i32_e32 v14, 31, v13
	v_add_co_u32 v13, vcc_lo, v18, v13
	v_add_co_ci_u32_e32 v14, vcc_lo, v19, v14, vcc_lo
; %bb.77:
	s_and_not1_saveexec_b32 s0, s0
; %bb.78:
	v_add_co_u32 v13, vcc_lo, v15, v0
	v_add_co_ci_u32_e32 v14, vcc_lo, 0, v17, vcc_lo
; %bb.79:
	s_or_b32 exec_lo, exec_lo, s0
	s_delay_alu instid0(VALU_DEP_1) | instskip(SKIP_1) | instid1(VALU_DEP_1)
	v_lshlrev_b64 v[13:14], 2, v[13:14]
	s_mov_b32 s0, exec_lo
	v_add_co_u32 v13, vcc_lo, s12, v13
	s_delay_alu instid0(VALU_DEP_2)
	v_add_co_ci_u32_e32 v14, vcc_lo, s13, v14, vcc_lo
	s_waitcnt lgkmcnt(6)
	global_store_b32 v[13:14], v11, off
                                        ; implicit-def: $vgpr13_vgpr14
	v_cmpx_ge_u32_e64 v35, v16
	s_xor_b32 s0, exec_lo, s0
; %bb.80:
	v_xor_b32_e32 v13, 0xfffffeff, v0
	s_delay_alu instid0(VALU_DEP_1) | instskip(SKIP_1) | instid1(VALU_DEP_2)
	v_ashrrev_i32_e32 v14, 31, v13
	v_add_co_u32 v13, vcc_lo, v18, v13
	v_add_co_ci_u32_e32 v14, vcc_lo, v19, v14, vcc_lo
; %bb.81:
	s_and_not1_saveexec_b32 s0, s0
; %bb.82:
	v_add_co_u32 v13, vcc_lo, v15, v35
	v_add_co_ci_u32_e32 v14, vcc_lo, 0, v17, vcc_lo
; %bb.83:
	s_or_b32 exec_lo, exec_lo, s0
	s_delay_alu instid0(VALU_DEP_1) | instskip(SKIP_1) | instid1(VALU_DEP_1)
	v_lshlrev_b64 v[13:14], 2, v[13:14]
	s_mov_b32 s0, exec_lo
	v_add_co_u32 v13, vcc_lo, s12, v13
	s_delay_alu instid0(VALU_DEP_2)
	v_add_co_ci_u32_e32 v14, vcc_lo, s13, v14, vcc_lo
	global_store_b32 v[13:14], v12, off
                                        ; implicit-def: $vgpr13_vgpr14
	v_cmpx_ge_u32_e64 v31, v16
	s_xor_b32 s0, exec_lo, s0
; %bb.84:
	v_xor_b32_e32 v13, 0xfffffdff, v0
	s_delay_alu instid0(VALU_DEP_1) | instskip(SKIP_1) | instid1(VALU_DEP_2)
	v_ashrrev_i32_e32 v14, 31, v13
	v_add_co_u32 v13, vcc_lo, v18, v13
	v_add_co_ci_u32_e32 v14, vcc_lo, v19, v14, vcc_lo
; %bb.85:
	s_and_not1_saveexec_b32 s0, s0
; %bb.86:
	v_add_co_u32 v13, vcc_lo, v15, v31
	v_add_co_ci_u32_e32 v14, vcc_lo, 0, v17, vcc_lo
; %bb.87:
	s_or_b32 exec_lo, exec_lo, s0
	s_delay_alu instid0(VALU_DEP_1) | instskip(SKIP_1) | instid1(VALU_DEP_1)
	v_lshlrev_b64 v[13:14], 2, v[13:14]
	s_mov_b32 s0, exec_lo
	v_add_co_u32 v13, vcc_lo, s12, v13
	s_delay_alu instid0(VALU_DEP_2)
	v_add_co_ci_u32_e32 v14, vcc_lo, s13, v14, vcc_lo
	s_waitcnt lgkmcnt(5)
	global_store_b32 v[13:14], v9, off
                                        ; implicit-def: $vgpr13_vgpr14
	v_cmpx_ge_u32_e64 v30, v16
	s_xor_b32 s0, exec_lo, s0
; %bb.88:
	v_xor_b32_e32 v13, 0xfffffcff, v0
	s_delay_alu instid0(VALU_DEP_1) | instskip(SKIP_1) | instid1(VALU_DEP_2)
	v_ashrrev_i32_e32 v14, 31, v13
	v_add_co_u32 v13, vcc_lo, v18, v13
	v_add_co_ci_u32_e32 v14, vcc_lo, v19, v14, vcc_lo
; %bb.89:
	s_and_not1_saveexec_b32 s0, s0
; %bb.90:
	v_add_co_u32 v13, vcc_lo, v15, v30
	v_add_co_ci_u32_e32 v14, vcc_lo, 0, v17, vcc_lo
; %bb.91:
	s_or_b32 exec_lo, exec_lo, s0
	s_delay_alu instid0(VALU_DEP_1) | instskip(SKIP_1) | instid1(VALU_DEP_1)
	v_lshlrev_b64 v[13:14], 2, v[13:14]
	s_mov_b32 s0, exec_lo
	v_add_co_u32 v13, vcc_lo, s12, v13
	s_delay_alu instid0(VALU_DEP_2)
	v_add_co_ci_u32_e32 v14, vcc_lo, s13, v14, vcc_lo
	global_store_b32 v[13:14], v10, off
                                        ; implicit-def: $vgpr13_vgpr14
	v_cmpx_ge_u32_e64 v29, v16
	s_xor_b32 s0, exec_lo, s0
; %bb.92:
	v_xor_b32_e32 v13, 0xfffffbff, v0
	;; [unrolled: 47-line block ×6, first 2 shown]
	s_delay_alu instid0(VALU_DEP_1) | instskip(SKIP_1) | instid1(VALU_DEP_2)
	v_ashrrev_i32_e32 v14, 31, v13
	v_add_co_u32 v13, vcc_lo, v18, v13
	v_add_co_ci_u32_e32 v14, vcc_lo, v19, v14, vcc_lo
; %bb.125:
	s_and_not1_saveexec_b32 s0, s0
; %bb.126:
	v_add_co_u32 v13, vcc_lo, v15, v21
	v_add_co_ci_u32_e32 v14, vcc_lo, 0, v17, vcc_lo
; %bb.127:
	s_or_b32 exec_lo, exec_lo, s0
	s_mov_b32 s0, -1
.LBB702_128:
	s_delay_alu instid0(SALU_CYCLE_1)
	s_and_saveexec_b32 s1, s0
	s_cbranch_execz .LBB702_211
.LBB702_129:
	s_waitcnt lgkmcnt(1)
	v_lshlrev_b64 v[0:1], 2, v[13:14]
	s_delay_alu instid0(VALU_DEP_1) | instskip(NEXT) | instid1(VALU_DEP_2)
	v_add_co_u32 v0, vcc_lo, s12, v0
	v_add_co_ci_u32_e32 v1, vcc_lo, s13, v1, vcc_lo
	s_waitcnt lgkmcnt(0)
	global_store_b32 v[0:1], v20, off
	s_or_b32 exec_lo, exec_lo, s1
	s_and_b32 s0, s2, s10
	s_delay_alu instid0(SALU_CYCLE_1)
	s_and_saveexec_b32 s1, s0
	s_cbranch_execnz .LBB702_212
.LBB702_130:
	s_nop 0
	s_sendmsg sendmsg(MSG_DEALLOC_VGPRS)
	s_endpgm
.LBB702_131:
                                        ; implicit-def: $vgpr13_vgpr14
	s_cbranch_execz .LBB702_128
; %bb.132:
	s_mov_b32 s1, exec_lo
	v_cmpx_gt_u32_e64 s11, v0
	s_cbranch_execz .LBB702_168
; %bb.133:
	s_mov_b32 s3, exec_lo
                                        ; implicit-def: $vgpr13_vgpr14
	v_cmpx_ge_u32_e64 v0, v16
	s_xor_b32 s3, exec_lo, s3
; %bb.134:
	v_not_b32_e32 v13, v0
	s_delay_alu instid0(VALU_DEP_1) | instskip(SKIP_1) | instid1(VALU_DEP_2)
	v_ashrrev_i32_e32 v14, 31, v13
	v_add_co_u32 v13, vcc_lo, v18, v13
	v_add_co_ci_u32_e32 v14, vcc_lo, v19, v14, vcc_lo
; %bb.135:
	s_and_not1_saveexec_b32 s3, s3
; %bb.136:
	v_add_co_u32 v13, vcc_lo, v15, v0
	v_add_co_ci_u32_e32 v14, vcc_lo, 0, v17, vcc_lo
; %bb.137:
	s_or_b32 exec_lo, exec_lo, s3
	s_delay_alu instid0(VALU_DEP_1) | instskip(NEXT) | instid1(VALU_DEP_1)
	v_lshlrev_b64 v[13:14], 2, v[13:14]
	v_add_co_u32 v13, vcc_lo, s12, v13
	s_delay_alu instid0(VALU_DEP_2) | instskip(SKIP_3) | instid1(SALU_CYCLE_1)
	v_add_co_ci_u32_e32 v14, vcc_lo, s13, v14, vcc_lo
	s_waitcnt lgkmcnt(6)
	global_store_b32 v[13:14], v11, off
	s_or_b32 exec_lo, exec_lo, s1
	s_mov_b32 s1, exec_lo
	v_cmpx_gt_u32_e64 s11, v35
	s_cbranch_execnz .LBB702_169
.LBB702_138:
	s_or_b32 exec_lo, exec_lo, s1
	s_delay_alu instid0(SALU_CYCLE_1)
	s_mov_b32 s1, exec_lo
	v_cmpx_gt_u32_e64 s11, v31
	s_cbranch_execz .LBB702_174
.LBB702_139:
	s_mov_b32 s3, exec_lo
                                        ; implicit-def: $vgpr11_vgpr12
	v_cmpx_ge_u32_e64 v31, v16
	s_xor_b32 s3, exec_lo, s3
	s_cbranch_execz .LBB702_141
; %bb.140:
	s_waitcnt lgkmcnt(6)
	v_xor_b32_e32 v11, 0xfffffdff, v0
                                        ; implicit-def: $vgpr31
	s_delay_alu instid0(VALU_DEP_1) | instskip(SKIP_1) | instid1(VALU_DEP_2)
	v_ashrrev_i32_e32 v12, 31, v11
	v_add_co_u32 v11, vcc_lo, v18, v11
	v_add_co_ci_u32_e32 v12, vcc_lo, v19, v12, vcc_lo
.LBB702_141:
	s_and_not1_saveexec_b32 s3, s3
	s_cbranch_execz .LBB702_143
; %bb.142:
	s_waitcnt lgkmcnt(6)
	v_add_co_u32 v11, vcc_lo, v15, v31
	v_add_co_ci_u32_e32 v12, vcc_lo, 0, v17, vcc_lo
.LBB702_143:
	s_or_b32 exec_lo, exec_lo, s3
	s_waitcnt lgkmcnt(6)
	s_delay_alu instid0(VALU_DEP_1) | instskip(NEXT) | instid1(VALU_DEP_1)
	v_lshlrev_b64 v[11:12], 2, v[11:12]
	v_add_co_u32 v11, vcc_lo, s12, v11
	s_delay_alu instid0(VALU_DEP_2) | instskip(SKIP_3) | instid1(SALU_CYCLE_1)
	v_add_co_ci_u32_e32 v12, vcc_lo, s13, v12, vcc_lo
	s_waitcnt lgkmcnt(5)
	global_store_b32 v[11:12], v9, off
	s_or_b32 exec_lo, exec_lo, s1
	s_mov_b32 s1, exec_lo
	v_cmpx_gt_u32_e64 s11, v30
	s_cbranch_execnz .LBB702_175
.LBB702_144:
	s_or_b32 exec_lo, exec_lo, s1
	s_delay_alu instid0(SALU_CYCLE_1)
	s_mov_b32 s1, exec_lo
	v_cmpx_gt_u32_e64 s11, v29
	s_cbranch_execz .LBB702_180
.LBB702_145:
	s_mov_b32 s3, exec_lo
                                        ; implicit-def: $vgpr9_vgpr10
	v_cmpx_ge_u32_e64 v29, v16
	s_xor_b32 s3, exec_lo, s3
	s_cbranch_execz .LBB702_147
; %bb.146:
	s_waitcnt lgkmcnt(5)
	v_xor_b32_e32 v9, 0xfffffbff, v0
                                        ; implicit-def: $vgpr29
	s_delay_alu instid0(VALU_DEP_1) | instskip(SKIP_1) | instid1(VALU_DEP_2)
	v_ashrrev_i32_e32 v10, 31, v9
	v_add_co_u32 v9, vcc_lo, v18, v9
	v_add_co_ci_u32_e32 v10, vcc_lo, v19, v10, vcc_lo
.LBB702_147:
	s_and_not1_saveexec_b32 s3, s3
	s_cbranch_execz .LBB702_149
; %bb.148:
	s_waitcnt lgkmcnt(5)
	v_add_co_u32 v9, vcc_lo, v15, v29
	v_add_co_ci_u32_e32 v10, vcc_lo, 0, v17, vcc_lo
.LBB702_149:
	s_or_b32 exec_lo, exec_lo, s3
	s_waitcnt lgkmcnt(5)
	s_delay_alu instid0(VALU_DEP_1) | instskip(NEXT) | instid1(VALU_DEP_1)
	v_lshlrev_b64 v[9:10], 2, v[9:10]
	v_add_co_u32 v9, vcc_lo, s12, v9
	s_delay_alu instid0(VALU_DEP_2) | instskip(SKIP_3) | instid1(SALU_CYCLE_1)
	v_add_co_ci_u32_e32 v10, vcc_lo, s13, v10, vcc_lo
	s_waitcnt lgkmcnt(4)
	global_store_b32 v[9:10], v7, off
	s_or_b32 exec_lo, exec_lo, s1
	s_mov_b32 s1, exec_lo
	v_cmpx_gt_u32_e64 s11, v28
	s_cbranch_execnz .LBB702_181
.LBB702_150:
	s_or_b32 exec_lo, exec_lo, s1
	s_delay_alu instid0(SALU_CYCLE_1)
	s_mov_b32 s1, exec_lo
	v_cmpx_gt_u32_e64 s11, v27
	s_cbranch_execz .LBB702_186
.LBB702_151:
	s_mov_b32 s3, exec_lo
                                        ; implicit-def: $vgpr7_vgpr8
	v_cmpx_ge_u32_e64 v27, v16
	s_xor_b32 s3, exec_lo, s3
	s_cbranch_execz .LBB702_153
; %bb.152:
	s_waitcnt lgkmcnt(4)
	v_xor_b32_e32 v7, 0xfffff9ff, v0
                                        ; implicit-def: $vgpr27
	s_delay_alu instid0(VALU_DEP_1) | instskip(SKIP_1) | instid1(VALU_DEP_2)
	v_ashrrev_i32_e32 v8, 31, v7
	v_add_co_u32 v7, vcc_lo, v18, v7
	v_add_co_ci_u32_e32 v8, vcc_lo, v19, v8, vcc_lo
.LBB702_153:
	s_and_not1_saveexec_b32 s3, s3
	s_cbranch_execz .LBB702_155
; %bb.154:
	s_waitcnt lgkmcnt(4)
	v_add_co_u32 v7, vcc_lo, v15, v27
	v_add_co_ci_u32_e32 v8, vcc_lo, 0, v17, vcc_lo
.LBB702_155:
	s_or_b32 exec_lo, exec_lo, s3
	s_waitcnt lgkmcnt(4)
	s_delay_alu instid0(VALU_DEP_1) | instskip(NEXT) | instid1(VALU_DEP_1)
	v_lshlrev_b64 v[7:8], 2, v[7:8]
	v_add_co_u32 v7, vcc_lo, s12, v7
	s_delay_alu instid0(VALU_DEP_2) | instskip(SKIP_3) | instid1(SALU_CYCLE_1)
	v_add_co_ci_u32_e32 v8, vcc_lo, s13, v8, vcc_lo
	s_waitcnt lgkmcnt(3)
	global_store_b32 v[7:8], v5, off
	s_or_b32 exec_lo, exec_lo, s1
	s_mov_b32 s1, exec_lo
	v_cmpx_gt_u32_e64 s11, v26
	s_cbranch_execnz .LBB702_187
.LBB702_156:
	s_or_b32 exec_lo, exec_lo, s1
	s_delay_alu instid0(SALU_CYCLE_1)
	s_mov_b32 s1, exec_lo
	v_cmpx_gt_u32_e64 s11, v25
	s_cbranch_execz .LBB702_192
.LBB702_157:
	s_mov_b32 s3, exec_lo
                                        ; implicit-def: $vgpr5_vgpr6
	v_cmpx_ge_u32_e64 v25, v16
	s_xor_b32 s3, exec_lo, s3
	s_cbranch_execz .LBB702_159
; %bb.158:
	s_waitcnt lgkmcnt(3)
	v_xor_b32_e32 v5, 0xfffff7ff, v0
                                        ; implicit-def: $vgpr25
	s_delay_alu instid0(VALU_DEP_1) | instskip(SKIP_1) | instid1(VALU_DEP_2)
	v_ashrrev_i32_e32 v6, 31, v5
	v_add_co_u32 v5, vcc_lo, v18, v5
	v_add_co_ci_u32_e32 v6, vcc_lo, v19, v6, vcc_lo
.LBB702_159:
	s_and_not1_saveexec_b32 s3, s3
	s_cbranch_execz .LBB702_161
; %bb.160:
	s_waitcnt lgkmcnt(3)
	v_add_co_u32 v5, vcc_lo, v15, v25
	v_add_co_ci_u32_e32 v6, vcc_lo, 0, v17, vcc_lo
.LBB702_161:
	s_or_b32 exec_lo, exec_lo, s3
	s_waitcnt lgkmcnt(3)
	s_delay_alu instid0(VALU_DEP_1) | instskip(NEXT) | instid1(VALU_DEP_1)
	v_lshlrev_b64 v[5:6], 2, v[5:6]
	v_add_co_u32 v5, vcc_lo, s12, v5
	s_delay_alu instid0(VALU_DEP_2) | instskip(SKIP_3) | instid1(SALU_CYCLE_1)
	v_add_co_ci_u32_e32 v6, vcc_lo, s13, v6, vcc_lo
	s_waitcnt lgkmcnt(2)
	global_store_b32 v[5:6], v3, off
	s_or_b32 exec_lo, exec_lo, s1
	s_mov_b32 s1, exec_lo
	v_cmpx_gt_u32_e64 s11, v24
	s_cbranch_execnz .LBB702_193
.LBB702_162:
	s_or_b32 exec_lo, exec_lo, s1
	s_delay_alu instid0(SALU_CYCLE_1)
	s_mov_b32 s1, exec_lo
	v_cmpx_gt_u32_e64 s11, v23
	s_cbranch_execz .LBB702_198
.LBB702_163:
	s_mov_b32 s3, exec_lo
                                        ; implicit-def: $vgpr3_vgpr4
	v_cmpx_ge_u32_e64 v23, v16
	s_xor_b32 s3, exec_lo, s3
	s_cbranch_execz .LBB702_165
; %bb.164:
	s_waitcnt lgkmcnt(2)
	v_xor_b32_e32 v3, 0xfffff5ff, v0
                                        ; implicit-def: $vgpr23
	s_delay_alu instid0(VALU_DEP_1) | instskip(SKIP_1) | instid1(VALU_DEP_2)
	v_ashrrev_i32_e32 v4, 31, v3
	v_add_co_u32 v3, vcc_lo, v18, v3
	v_add_co_ci_u32_e32 v4, vcc_lo, v19, v4, vcc_lo
.LBB702_165:
	s_and_not1_saveexec_b32 s3, s3
	s_cbranch_execz .LBB702_167
; %bb.166:
	s_waitcnt lgkmcnt(2)
	v_add_co_u32 v3, vcc_lo, v15, v23
	v_add_co_ci_u32_e32 v4, vcc_lo, 0, v17, vcc_lo
.LBB702_167:
	s_or_b32 exec_lo, exec_lo, s3
	s_waitcnt lgkmcnt(2)
	s_delay_alu instid0(VALU_DEP_1) | instskip(NEXT) | instid1(VALU_DEP_1)
	v_lshlrev_b64 v[3:4], 2, v[3:4]
	v_add_co_u32 v3, vcc_lo, s12, v3
	s_delay_alu instid0(VALU_DEP_2) | instskip(SKIP_3) | instid1(SALU_CYCLE_1)
	v_add_co_ci_u32_e32 v4, vcc_lo, s13, v4, vcc_lo
	s_waitcnt lgkmcnt(1)
	global_store_b32 v[3:4], v1, off
	s_or_b32 exec_lo, exec_lo, s1
	s_mov_b32 s1, exec_lo
	v_cmpx_gt_u32_e64 s11, v22
	s_cbranch_execz .LBB702_204
	s_branch .LBB702_199
.LBB702_168:
	s_or_b32 exec_lo, exec_lo, s1
	s_delay_alu instid0(SALU_CYCLE_1)
	s_mov_b32 s1, exec_lo
	v_cmpx_gt_u32_e64 s11, v35
	s_cbranch_execz .LBB702_138
.LBB702_169:
	s_mov_b32 s3, exec_lo
                                        ; implicit-def: $vgpr13_vgpr14
	v_cmpx_ge_u32_e64 v35, v16
	s_xor_b32 s3, exec_lo, s3
	s_cbranch_execz .LBB702_171
; %bb.170:
	s_waitcnt lgkmcnt(6)
	v_xor_b32_e32 v11, 0xfffffeff, v0
                                        ; implicit-def: $vgpr35
	s_delay_alu instid0(VALU_DEP_1) | instskip(SKIP_1) | instid1(VALU_DEP_2)
	v_ashrrev_i32_e32 v14, 31, v11
	v_add_co_u32 v13, vcc_lo, v18, v11
	v_add_co_ci_u32_e32 v14, vcc_lo, v19, v14, vcc_lo
.LBB702_171:
	s_and_not1_saveexec_b32 s3, s3
; %bb.172:
	v_add_co_u32 v13, vcc_lo, v15, v35
	v_add_co_ci_u32_e32 v14, vcc_lo, 0, v17, vcc_lo
; %bb.173:
	s_or_b32 exec_lo, exec_lo, s3
	s_delay_alu instid0(VALU_DEP_1) | instskip(NEXT) | instid1(VALU_DEP_1)
	v_lshlrev_b64 v[13:14], 2, v[13:14]
	v_add_co_u32 v13, vcc_lo, s12, v13
	s_delay_alu instid0(VALU_DEP_2) | instskip(SKIP_3) | instid1(SALU_CYCLE_1)
	v_add_co_ci_u32_e32 v14, vcc_lo, s13, v14, vcc_lo
	s_waitcnt lgkmcnt(6)
	global_store_b32 v[13:14], v12, off
	s_or_b32 exec_lo, exec_lo, s1
	s_mov_b32 s1, exec_lo
	v_cmpx_gt_u32_e64 s11, v31
	s_cbranch_execnz .LBB702_139
.LBB702_174:
	s_or_b32 exec_lo, exec_lo, s1
	s_delay_alu instid0(SALU_CYCLE_1)
	s_mov_b32 s1, exec_lo
	v_cmpx_gt_u32_e64 s11, v30
	s_cbranch_execz .LBB702_144
.LBB702_175:
	s_mov_b32 s3, exec_lo
                                        ; implicit-def: $vgpr11_vgpr12
	v_cmpx_ge_u32_e64 v30, v16
	s_xor_b32 s3, exec_lo, s3
	s_cbranch_execz .LBB702_177
; %bb.176:
	s_waitcnt lgkmcnt(5)
	v_xor_b32_e32 v9, 0xfffffcff, v0
                                        ; implicit-def: $vgpr30
	s_delay_alu instid0(VALU_DEP_1) | instskip(SKIP_1) | instid1(VALU_DEP_2)
	v_ashrrev_i32_e32 v12, 31, v9
	v_add_co_u32 v11, vcc_lo, v18, v9
	v_add_co_ci_u32_e32 v12, vcc_lo, v19, v12, vcc_lo
.LBB702_177:
	s_and_not1_saveexec_b32 s3, s3
	s_cbranch_execz .LBB702_179
; %bb.178:
	s_waitcnt lgkmcnt(6)
	v_add_co_u32 v11, vcc_lo, v15, v30
	v_add_co_ci_u32_e32 v12, vcc_lo, 0, v17, vcc_lo
.LBB702_179:
	s_or_b32 exec_lo, exec_lo, s3
	s_waitcnt lgkmcnt(6)
	s_delay_alu instid0(VALU_DEP_1) | instskip(NEXT) | instid1(VALU_DEP_1)
	v_lshlrev_b64 v[11:12], 2, v[11:12]
	v_add_co_u32 v11, vcc_lo, s12, v11
	s_delay_alu instid0(VALU_DEP_2) | instskip(SKIP_3) | instid1(SALU_CYCLE_1)
	v_add_co_ci_u32_e32 v12, vcc_lo, s13, v12, vcc_lo
	s_waitcnt lgkmcnt(5)
	global_store_b32 v[11:12], v10, off
	s_or_b32 exec_lo, exec_lo, s1
	s_mov_b32 s1, exec_lo
	v_cmpx_gt_u32_e64 s11, v29
	s_cbranch_execnz .LBB702_145
.LBB702_180:
	s_or_b32 exec_lo, exec_lo, s1
	s_delay_alu instid0(SALU_CYCLE_1)
	s_mov_b32 s1, exec_lo
	v_cmpx_gt_u32_e64 s11, v28
	s_cbranch_execz .LBB702_150
.LBB702_181:
	s_mov_b32 s3, exec_lo
                                        ; implicit-def: $vgpr9_vgpr10
	v_cmpx_ge_u32_e64 v28, v16
	s_xor_b32 s3, exec_lo, s3
	s_cbranch_execz .LBB702_183
; %bb.182:
	s_waitcnt lgkmcnt(4)
	v_xor_b32_e32 v7, 0xfffffaff, v0
                                        ; implicit-def: $vgpr28
	s_delay_alu instid0(VALU_DEP_1) | instskip(SKIP_1) | instid1(VALU_DEP_2)
	v_ashrrev_i32_e32 v10, 31, v7
	v_add_co_u32 v9, vcc_lo, v18, v7
	v_add_co_ci_u32_e32 v10, vcc_lo, v19, v10, vcc_lo
.LBB702_183:
	s_and_not1_saveexec_b32 s3, s3
	s_cbranch_execz .LBB702_185
; %bb.184:
	s_waitcnt lgkmcnt(5)
	v_add_co_u32 v9, vcc_lo, v15, v28
	v_add_co_ci_u32_e32 v10, vcc_lo, 0, v17, vcc_lo
.LBB702_185:
	s_or_b32 exec_lo, exec_lo, s3
	s_waitcnt lgkmcnt(5)
	s_delay_alu instid0(VALU_DEP_1) | instskip(NEXT) | instid1(VALU_DEP_1)
	v_lshlrev_b64 v[9:10], 2, v[9:10]
	v_add_co_u32 v9, vcc_lo, s12, v9
	s_delay_alu instid0(VALU_DEP_2) | instskip(SKIP_3) | instid1(SALU_CYCLE_1)
	v_add_co_ci_u32_e32 v10, vcc_lo, s13, v10, vcc_lo
	s_waitcnt lgkmcnt(4)
	global_store_b32 v[9:10], v8, off
	s_or_b32 exec_lo, exec_lo, s1
	s_mov_b32 s1, exec_lo
	v_cmpx_gt_u32_e64 s11, v27
	s_cbranch_execnz .LBB702_151
.LBB702_186:
	s_or_b32 exec_lo, exec_lo, s1
	s_delay_alu instid0(SALU_CYCLE_1)
	s_mov_b32 s1, exec_lo
	v_cmpx_gt_u32_e64 s11, v26
	s_cbranch_execz .LBB702_156
.LBB702_187:
	s_mov_b32 s3, exec_lo
                                        ; implicit-def: $vgpr7_vgpr8
	v_cmpx_ge_u32_e64 v26, v16
	s_xor_b32 s3, exec_lo, s3
	s_cbranch_execz .LBB702_189
; %bb.188:
	s_waitcnt lgkmcnt(3)
	v_xor_b32_e32 v5, 0xfffff8ff, v0
                                        ; implicit-def: $vgpr26
	s_delay_alu instid0(VALU_DEP_1) | instskip(SKIP_1) | instid1(VALU_DEP_2)
	v_ashrrev_i32_e32 v8, 31, v5
	v_add_co_u32 v7, vcc_lo, v18, v5
	v_add_co_ci_u32_e32 v8, vcc_lo, v19, v8, vcc_lo
.LBB702_189:
	s_and_not1_saveexec_b32 s3, s3
	s_cbranch_execz .LBB702_191
; %bb.190:
	s_waitcnt lgkmcnt(4)
	v_add_co_u32 v7, vcc_lo, v15, v26
	v_add_co_ci_u32_e32 v8, vcc_lo, 0, v17, vcc_lo
.LBB702_191:
	s_or_b32 exec_lo, exec_lo, s3
	s_waitcnt lgkmcnt(4)
	s_delay_alu instid0(VALU_DEP_1) | instskip(NEXT) | instid1(VALU_DEP_1)
	v_lshlrev_b64 v[7:8], 2, v[7:8]
	v_add_co_u32 v7, vcc_lo, s12, v7
	s_delay_alu instid0(VALU_DEP_2) | instskip(SKIP_3) | instid1(SALU_CYCLE_1)
	v_add_co_ci_u32_e32 v8, vcc_lo, s13, v8, vcc_lo
	s_waitcnt lgkmcnt(3)
	global_store_b32 v[7:8], v6, off
	s_or_b32 exec_lo, exec_lo, s1
	s_mov_b32 s1, exec_lo
	v_cmpx_gt_u32_e64 s11, v25
	s_cbranch_execnz .LBB702_157
.LBB702_192:
	s_or_b32 exec_lo, exec_lo, s1
	s_delay_alu instid0(SALU_CYCLE_1)
	s_mov_b32 s1, exec_lo
	v_cmpx_gt_u32_e64 s11, v24
	s_cbranch_execz .LBB702_162
.LBB702_193:
	s_mov_b32 s3, exec_lo
                                        ; implicit-def: $vgpr5_vgpr6
	v_cmpx_ge_u32_e64 v24, v16
	s_xor_b32 s3, exec_lo, s3
	s_cbranch_execz .LBB702_195
; %bb.194:
	s_waitcnt lgkmcnt(2)
	v_xor_b32_e32 v3, 0xfffff6ff, v0
                                        ; implicit-def: $vgpr24
	s_delay_alu instid0(VALU_DEP_1) | instskip(SKIP_1) | instid1(VALU_DEP_2)
	v_ashrrev_i32_e32 v6, 31, v3
	v_add_co_u32 v5, vcc_lo, v18, v3
	v_add_co_ci_u32_e32 v6, vcc_lo, v19, v6, vcc_lo
.LBB702_195:
	s_and_not1_saveexec_b32 s3, s3
	s_cbranch_execz .LBB702_197
; %bb.196:
	s_waitcnt lgkmcnt(3)
	v_add_co_u32 v5, vcc_lo, v15, v24
	v_add_co_ci_u32_e32 v6, vcc_lo, 0, v17, vcc_lo
.LBB702_197:
	s_or_b32 exec_lo, exec_lo, s3
	s_waitcnt lgkmcnt(3)
	s_delay_alu instid0(VALU_DEP_1) | instskip(NEXT) | instid1(VALU_DEP_1)
	v_lshlrev_b64 v[5:6], 2, v[5:6]
	v_add_co_u32 v5, vcc_lo, s12, v5
	s_delay_alu instid0(VALU_DEP_2) | instskip(SKIP_3) | instid1(SALU_CYCLE_1)
	v_add_co_ci_u32_e32 v6, vcc_lo, s13, v6, vcc_lo
	s_waitcnt lgkmcnt(2)
	global_store_b32 v[5:6], v4, off
	s_or_b32 exec_lo, exec_lo, s1
	s_mov_b32 s1, exec_lo
	v_cmpx_gt_u32_e64 s11, v23
	s_cbranch_execnz .LBB702_163
.LBB702_198:
	s_or_b32 exec_lo, exec_lo, s1
	s_delay_alu instid0(SALU_CYCLE_1)
	s_mov_b32 s1, exec_lo
	v_cmpx_gt_u32_e64 s11, v22
	s_cbranch_execz .LBB702_204
.LBB702_199:
	s_mov_b32 s3, exec_lo
                                        ; implicit-def: $vgpr3_vgpr4
	v_cmpx_ge_u32_e64 v22, v16
	s_xor_b32 s3, exec_lo, s3
	s_cbranch_execz .LBB702_201
; %bb.200:
	s_waitcnt lgkmcnt(1)
	v_xor_b32_e32 v1, 0xfffff4ff, v0
                                        ; implicit-def: $vgpr22
	s_delay_alu instid0(VALU_DEP_1) | instskip(SKIP_1) | instid1(VALU_DEP_2)
	v_ashrrev_i32_e32 v4, 31, v1
	v_add_co_u32 v3, vcc_lo, v18, v1
	v_add_co_ci_u32_e32 v4, vcc_lo, v19, v4, vcc_lo
.LBB702_201:
	s_and_not1_saveexec_b32 s3, s3
	s_cbranch_execz .LBB702_203
; %bb.202:
	s_waitcnt lgkmcnt(2)
	v_add_co_u32 v3, vcc_lo, v15, v22
	v_add_co_ci_u32_e32 v4, vcc_lo, 0, v17, vcc_lo
.LBB702_203:
	s_or_b32 exec_lo, exec_lo, s3
	s_waitcnt lgkmcnt(2)
	s_delay_alu instid0(VALU_DEP_1) | instskip(NEXT) | instid1(VALU_DEP_1)
	v_lshlrev_b64 v[3:4], 2, v[3:4]
	v_add_co_u32 v3, vcc_lo, s12, v3
	s_delay_alu instid0(VALU_DEP_2)
	v_add_co_ci_u32_e32 v4, vcc_lo, s13, v4, vcc_lo
	s_waitcnt lgkmcnt(1)
	global_store_b32 v[3:4], v2, off
.LBB702_204:
	s_or_b32 exec_lo, exec_lo, s1
	s_delay_alu instid0(SALU_CYCLE_1)
	s_mov_b32 s1, exec_lo
                                        ; implicit-def: $vgpr13_vgpr14
	v_cmpx_gt_u32_e64 s11, v21
	s_cbranch_execz .LBB702_210
; %bb.205:
	s_mov_b32 s3, exec_lo
                                        ; implicit-def: $vgpr13_vgpr14
	v_cmpx_ge_u32_e64 v21, v16
	s_xor_b32 s3, exec_lo, s3
	s_cbranch_execz .LBB702_207
; %bb.206:
	v_xor_b32_e32 v0, 0xfffff3ff, v0
                                        ; implicit-def: $vgpr21
	s_waitcnt lgkmcnt(1)
	s_delay_alu instid0(VALU_DEP_1) | instskip(SKIP_1) | instid1(VALU_DEP_2)
	v_ashrrev_i32_e32 v1, 31, v0
	v_add_co_u32 v13, vcc_lo, v18, v0
	v_add_co_ci_u32_e32 v14, vcc_lo, v19, v1, vcc_lo
.LBB702_207:
	s_and_not1_saveexec_b32 s3, s3
; %bb.208:
	v_add_co_u32 v13, vcc_lo, v15, v21
	v_add_co_ci_u32_e32 v14, vcc_lo, 0, v17, vcc_lo
; %bb.209:
	s_or_b32 exec_lo, exec_lo, s3
	s_delay_alu instid0(SALU_CYCLE_1)
	s_or_b32 s0, s0, exec_lo
.LBB702_210:
	s_or_b32 exec_lo, exec_lo, s1
	s_and_saveexec_b32 s1, s0
	s_cbranch_execnz .LBB702_129
.LBB702_211:
	s_or_b32 exec_lo, exec_lo, s1
	s_and_b32 s0, s2, s10
	s_delay_alu instid0(SALU_CYCLE_1)
	s_and_saveexec_b32 s1, s0
	s_cbranch_execz .LBB702_130
.LBB702_212:
	v_add_co_u32 v0, vcc_lo, v15, v16
	s_waitcnt lgkmcnt(1)
	v_mov_b32_e32 v2, 0
	v_add_co_ci_u32_e32 v1, vcc_lo, 0, v17, vcc_lo
	global_store_b64 v2, v[0:1], s[8:9]
	s_nop 0
	s_sendmsg sendmsg(MSG_DEALLOC_VGPRS)
	s_endpgm
	.section	.rodata,"a",@progbits
	.p2align	6, 0x0
	.amdhsa_kernel _ZN7rocprim17ROCPRIM_400000_NS6detail17trampoline_kernelINS0_13select_configILj256ELj13ELNS0_17block_load_methodE3ELS4_3ELS4_3ELNS0_20block_scan_algorithmE0ELj4294967295EEENS1_25partition_config_selectorILNS1_17partition_subalgoE3EjNS0_10empty_typeEbEEZZNS1_14partition_implILS8_3ELb0ES6_jNS0_17counting_iteratorIjlEEPS9_SE_NS0_5tupleIJPjSE_EEENSF_IJSE_SE_EEES9_SG_JZNS1_25segmented_radix_sort_implINS0_14default_configELb1EPKlPlSM_SN_N2at6native12_GLOBAL__N_18offset_tEEE10hipError_tPvRmT1_PNSt15iterator_traitsISV_E10value_typeET2_T3_PNSW_IS11_E10value_typeET4_jRbjT5_S17_jjP12ihipStream_tbEUljE_EEESS_ST_SU_S11_S15_S17_T6_T7_T9_mT8_S19_bDpT10_ENKUlT_T0_E_clISt17integral_constantIbLb0EES1L_IbLb1EEEEDaS1H_S1I_EUlS1H_E_NS1_11comp_targetILNS1_3genE9ELNS1_11target_archE1100ELNS1_3gpuE3ELNS1_3repE0EEENS1_30default_config_static_selectorELNS0_4arch9wavefront6targetE0EEEvSV_
		.amdhsa_group_segment_fixed_size 13324
		.amdhsa_private_segment_fixed_size 0
		.amdhsa_kernarg_size 152
		.amdhsa_user_sgpr_count 15
		.amdhsa_user_sgpr_dispatch_ptr 0
		.amdhsa_user_sgpr_queue_ptr 0
		.amdhsa_user_sgpr_kernarg_segment_ptr 1
		.amdhsa_user_sgpr_dispatch_id 0
		.amdhsa_user_sgpr_private_segment_size 0
		.amdhsa_wavefront_size32 1
		.amdhsa_uses_dynamic_stack 0
		.amdhsa_enable_private_segment 0
		.amdhsa_system_sgpr_workgroup_id_x 1
		.amdhsa_system_sgpr_workgroup_id_y 0
		.amdhsa_system_sgpr_workgroup_id_z 0
		.amdhsa_system_sgpr_workgroup_info 0
		.amdhsa_system_vgpr_workitem_id 0
		.amdhsa_next_free_vgpr 60
		.amdhsa_next_free_sgpr 26
		.amdhsa_reserve_vcc 1
		.amdhsa_float_round_mode_32 0
		.amdhsa_float_round_mode_16_64 0
		.amdhsa_float_denorm_mode_32 3
		.amdhsa_float_denorm_mode_16_64 3
		.amdhsa_dx10_clamp 1
		.amdhsa_ieee_mode 1
		.amdhsa_fp16_overflow 0
		.amdhsa_workgroup_processor_mode 1
		.amdhsa_memory_ordered 1
		.amdhsa_forward_progress 0
		.amdhsa_shared_vgpr_count 0
		.amdhsa_exception_fp_ieee_invalid_op 0
		.amdhsa_exception_fp_denorm_src 0
		.amdhsa_exception_fp_ieee_div_zero 0
		.amdhsa_exception_fp_ieee_overflow 0
		.amdhsa_exception_fp_ieee_underflow 0
		.amdhsa_exception_fp_ieee_inexact 0
		.amdhsa_exception_int_div_zero 0
	.end_amdhsa_kernel
	.section	.text._ZN7rocprim17ROCPRIM_400000_NS6detail17trampoline_kernelINS0_13select_configILj256ELj13ELNS0_17block_load_methodE3ELS4_3ELS4_3ELNS0_20block_scan_algorithmE0ELj4294967295EEENS1_25partition_config_selectorILNS1_17partition_subalgoE3EjNS0_10empty_typeEbEEZZNS1_14partition_implILS8_3ELb0ES6_jNS0_17counting_iteratorIjlEEPS9_SE_NS0_5tupleIJPjSE_EEENSF_IJSE_SE_EEES9_SG_JZNS1_25segmented_radix_sort_implINS0_14default_configELb1EPKlPlSM_SN_N2at6native12_GLOBAL__N_18offset_tEEE10hipError_tPvRmT1_PNSt15iterator_traitsISV_E10value_typeET2_T3_PNSW_IS11_E10value_typeET4_jRbjT5_S17_jjP12ihipStream_tbEUljE_EEESS_ST_SU_S11_S15_S17_T6_T7_T9_mT8_S19_bDpT10_ENKUlT_T0_E_clISt17integral_constantIbLb0EES1L_IbLb1EEEEDaS1H_S1I_EUlS1H_E_NS1_11comp_targetILNS1_3genE9ELNS1_11target_archE1100ELNS1_3gpuE3ELNS1_3repE0EEENS1_30default_config_static_selectorELNS0_4arch9wavefront6targetE0EEEvSV_,"axG",@progbits,_ZN7rocprim17ROCPRIM_400000_NS6detail17trampoline_kernelINS0_13select_configILj256ELj13ELNS0_17block_load_methodE3ELS4_3ELS4_3ELNS0_20block_scan_algorithmE0ELj4294967295EEENS1_25partition_config_selectorILNS1_17partition_subalgoE3EjNS0_10empty_typeEbEEZZNS1_14partition_implILS8_3ELb0ES6_jNS0_17counting_iteratorIjlEEPS9_SE_NS0_5tupleIJPjSE_EEENSF_IJSE_SE_EEES9_SG_JZNS1_25segmented_radix_sort_implINS0_14default_configELb1EPKlPlSM_SN_N2at6native12_GLOBAL__N_18offset_tEEE10hipError_tPvRmT1_PNSt15iterator_traitsISV_E10value_typeET2_T3_PNSW_IS11_E10value_typeET4_jRbjT5_S17_jjP12ihipStream_tbEUljE_EEESS_ST_SU_S11_S15_S17_T6_T7_T9_mT8_S19_bDpT10_ENKUlT_T0_E_clISt17integral_constantIbLb0EES1L_IbLb1EEEEDaS1H_S1I_EUlS1H_E_NS1_11comp_targetILNS1_3genE9ELNS1_11target_archE1100ELNS1_3gpuE3ELNS1_3repE0EEENS1_30default_config_static_selectorELNS0_4arch9wavefront6targetE0EEEvSV_,comdat
.Lfunc_end702:
	.size	_ZN7rocprim17ROCPRIM_400000_NS6detail17trampoline_kernelINS0_13select_configILj256ELj13ELNS0_17block_load_methodE3ELS4_3ELS4_3ELNS0_20block_scan_algorithmE0ELj4294967295EEENS1_25partition_config_selectorILNS1_17partition_subalgoE3EjNS0_10empty_typeEbEEZZNS1_14partition_implILS8_3ELb0ES6_jNS0_17counting_iteratorIjlEEPS9_SE_NS0_5tupleIJPjSE_EEENSF_IJSE_SE_EEES9_SG_JZNS1_25segmented_radix_sort_implINS0_14default_configELb1EPKlPlSM_SN_N2at6native12_GLOBAL__N_18offset_tEEE10hipError_tPvRmT1_PNSt15iterator_traitsISV_E10value_typeET2_T3_PNSW_IS11_E10value_typeET4_jRbjT5_S17_jjP12ihipStream_tbEUljE_EEESS_ST_SU_S11_S15_S17_T6_T7_T9_mT8_S19_bDpT10_ENKUlT_T0_E_clISt17integral_constantIbLb0EES1L_IbLb1EEEEDaS1H_S1I_EUlS1H_E_NS1_11comp_targetILNS1_3genE9ELNS1_11target_archE1100ELNS1_3gpuE3ELNS1_3repE0EEENS1_30default_config_static_selectorELNS0_4arch9wavefront6targetE0EEEvSV_, .Lfunc_end702-_ZN7rocprim17ROCPRIM_400000_NS6detail17trampoline_kernelINS0_13select_configILj256ELj13ELNS0_17block_load_methodE3ELS4_3ELS4_3ELNS0_20block_scan_algorithmE0ELj4294967295EEENS1_25partition_config_selectorILNS1_17partition_subalgoE3EjNS0_10empty_typeEbEEZZNS1_14partition_implILS8_3ELb0ES6_jNS0_17counting_iteratorIjlEEPS9_SE_NS0_5tupleIJPjSE_EEENSF_IJSE_SE_EEES9_SG_JZNS1_25segmented_radix_sort_implINS0_14default_configELb1EPKlPlSM_SN_N2at6native12_GLOBAL__N_18offset_tEEE10hipError_tPvRmT1_PNSt15iterator_traitsISV_E10value_typeET2_T3_PNSW_IS11_E10value_typeET4_jRbjT5_S17_jjP12ihipStream_tbEUljE_EEESS_ST_SU_S11_S15_S17_T6_T7_T9_mT8_S19_bDpT10_ENKUlT_T0_E_clISt17integral_constantIbLb0EES1L_IbLb1EEEEDaS1H_S1I_EUlS1H_E_NS1_11comp_targetILNS1_3genE9ELNS1_11target_archE1100ELNS1_3gpuE3ELNS1_3repE0EEENS1_30default_config_static_selectorELNS0_4arch9wavefront6targetE0EEEvSV_
                                        ; -- End function
	.section	.AMDGPU.csdata,"",@progbits
; Kernel info:
; codeLenInByte = 9040
; NumSgprs: 28
; NumVgprs: 60
; ScratchSize: 0
; MemoryBound: 0
; FloatMode: 240
; IeeeMode: 1
; LDSByteSize: 13324 bytes/workgroup (compile time only)
; SGPRBlocks: 3
; VGPRBlocks: 7
; NumSGPRsForWavesPerEU: 28
; NumVGPRsForWavesPerEU: 60
; Occupancy: 16
; WaveLimiterHint : 0
; COMPUTE_PGM_RSRC2:SCRATCH_EN: 0
; COMPUTE_PGM_RSRC2:USER_SGPR: 15
; COMPUTE_PGM_RSRC2:TRAP_HANDLER: 0
; COMPUTE_PGM_RSRC2:TGID_X_EN: 1
; COMPUTE_PGM_RSRC2:TGID_Y_EN: 0
; COMPUTE_PGM_RSRC2:TGID_Z_EN: 0
; COMPUTE_PGM_RSRC2:TIDIG_COMP_CNT: 0
	.section	.text._ZN7rocprim17ROCPRIM_400000_NS6detail17trampoline_kernelINS0_13select_configILj256ELj13ELNS0_17block_load_methodE3ELS4_3ELS4_3ELNS0_20block_scan_algorithmE0ELj4294967295EEENS1_25partition_config_selectorILNS1_17partition_subalgoE3EjNS0_10empty_typeEbEEZZNS1_14partition_implILS8_3ELb0ES6_jNS0_17counting_iteratorIjlEEPS9_SE_NS0_5tupleIJPjSE_EEENSF_IJSE_SE_EEES9_SG_JZNS1_25segmented_radix_sort_implINS0_14default_configELb1EPKlPlSM_SN_N2at6native12_GLOBAL__N_18offset_tEEE10hipError_tPvRmT1_PNSt15iterator_traitsISV_E10value_typeET2_T3_PNSW_IS11_E10value_typeET4_jRbjT5_S17_jjP12ihipStream_tbEUljE_EEESS_ST_SU_S11_S15_S17_T6_T7_T9_mT8_S19_bDpT10_ENKUlT_T0_E_clISt17integral_constantIbLb0EES1L_IbLb1EEEEDaS1H_S1I_EUlS1H_E_NS1_11comp_targetILNS1_3genE8ELNS1_11target_archE1030ELNS1_3gpuE2ELNS1_3repE0EEENS1_30default_config_static_selectorELNS0_4arch9wavefront6targetE0EEEvSV_,"axG",@progbits,_ZN7rocprim17ROCPRIM_400000_NS6detail17trampoline_kernelINS0_13select_configILj256ELj13ELNS0_17block_load_methodE3ELS4_3ELS4_3ELNS0_20block_scan_algorithmE0ELj4294967295EEENS1_25partition_config_selectorILNS1_17partition_subalgoE3EjNS0_10empty_typeEbEEZZNS1_14partition_implILS8_3ELb0ES6_jNS0_17counting_iteratorIjlEEPS9_SE_NS0_5tupleIJPjSE_EEENSF_IJSE_SE_EEES9_SG_JZNS1_25segmented_radix_sort_implINS0_14default_configELb1EPKlPlSM_SN_N2at6native12_GLOBAL__N_18offset_tEEE10hipError_tPvRmT1_PNSt15iterator_traitsISV_E10value_typeET2_T3_PNSW_IS11_E10value_typeET4_jRbjT5_S17_jjP12ihipStream_tbEUljE_EEESS_ST_SU_S11_S15_S17_T6_T7_T9_mT8_S19_bDpT10_ENKUlT_T0_E_clISt17integral_constantIbLb0EES1L_IbLb1EEEEDaS1H_S1I_EUlS1H_E_NS1_11comp_targetILNS1_3genE8ELNS1_11target_archE1030ELNS1_3gpuE2ELNS1_3repE0EEENS1_30default_config_static_selectorELNS0_4arch9wavefront6targetE0EEEvSV_,comdat
	.globl	_ZN7rocprim17ROCPRIM_400000_NS6detail17trampoline_kernelINS0_13select_configILj256ELj13ELNS0_17block_load_methodE3ELS4_3ELS4_3ELNS0_20block_scan_algorithmE0ELj4294967295EEENS1_25partition_config_selectorILNS1_17partition_subalgoE3EjNS0_10empty_typeEbEEZZNS1_14partition_implILS8_3ELb0ES6_jNS0_17counting_iteratorIjlEEPS9_SE_NS0_5tupleIJPjSE_EEENSF_IJSE_SE_EEES9_SG_JZNS1_25segmented_radix_sort_implINS0_14default_configELb1EPKlPlSM_SN_N2at6native12_GLOBAL__N_18offset_tEEE10hipError_tPvRmT1_PNSt15iterator_traitsISV_E10value_typeET2_T3_PNSW_IS11_E10value_typeET4_jRbjT5_S17_jjP12ihipStream_tbEUljE_EEESS_ST_SU_S11_S15_S17_T6_T7_T9_mT8_S19_bDpT10_ENKUlT_T0_E_clISt17integral_constantIbLb0EES1L_IbLb1EEEEDaS1H_S1I_EUlS1H_E_NS1_11comp_targetILNS1_3genE8ELNS1_11target_archE1030ELNS1_3gpuE2ELNS1_3repE0EEENS1_30default_config_static_selectorELNS0_4arch9wavefront6targetE0EEEvSV_ ; -- Begin function _ZN7rocprim17ROCPRIM_400000_NS6detail17trampoline_kernelINS0_13select_configILj256ELj13ELNS0_17block_load_methodE3ELS4_3ELS4_3ELNS0_20block_scan_algorithmE0ELj4294967295EEENS1_25partition_config_selectorILNS1_17partition_subalgoE3EjNS0_10empty_typeEbEEZZNS1_14partition_implILS8_3ELb0ES6_jNS0_17counting_iteratorIjlEEPS9_SE_NS0_5tupleIJPjSE_EEENSF_IJSE_SE_EEES9_SG_JZNS1_25segmented_radix_sort_implINS0_14default_configELb1EPKlPlSM_SN_N2at6native12_GLOBAL__N_18offset_tEEE10hipError_tPvRmT1_PNSt15iterator_traitsISV_E10value_typeET2_T3_PNSW_IS11_E10value_typeET4_jRbjT5_S17_jjP12ihipStream_tbEUljE_EEESS_ST_SU_S11_S15_S17_T6_T7_T9_mT8_S19_bDpT10_ENKUlT_T0_E_clISt17integral_constantIbLb0EES1L_IbLb1EEEEDaS1H_S1I_EUlS1H_E_NS1_11comp_targetILNS1_3genE8ELNS1_11target_archE1030ELNS1_3gpuE2ELNS1_3repE0EEENS1_30default_config_static_selectorELNS0_4arch9wavefront6targetE0EEEvSV_
	.p2align	8
	.type	_ZN7rocprim17ROCPRIM_400000_NS6detail17trampoline_kernelINS0_13select_configILj256ELj13ELNS0_17block_load_methodE3ELS4_3ELS4_3ELNS0_20block_scan_algorithmE0ELj4294967295EEENS1_25partition_config_selectorILNS1_17partition_subalgoE3EjNS0_10empty_typeEbEEZZNS1_14partition_implILS8_3ELb0ES6_jNS0_17counting_iteratorIjlEEPS9_SE_NS0_5tupleIJPjSE_EEENSF_IJSE_SE_EEES9_SG_JZNS1_25segmented_radix_sort_implINS0_14default_configELb1EPKlPlSM_SN_N2at6native12_GLOBAL__N_18offset_tEEE10hipError_tPvRmT1_PNSt15iterator_traitsISV_E10value_typeET2_T3_PNSW_IS11_E10value_typeET4_jRbjT5_S17_jjP12ihipStream_tbEUljE_EEESS_ST_SU_S11_S15_S17_T6_T7_T9_mT8_S19_bDpT10_ENKUlT_T0_E_clISt17integral_constantIbLb0EES1L_IbLb1EEEEDaS1H_S1I_EUlS1H_E_NS1_11comp_targetILNS1_3genE8ELNS1_11target_archE1030ELNS1_3gpuE2ELNS1_3repE0EEENS1_30default_config_static_selectorELNS0_4arch9wavefront6targetE0EEEvSV_,@function
_ZN7rocprim17ROCPRIM_400000_NS6detail17trampoline_kernelINS0_13select_configILj256ELj13ELNS0_17block_load_methodE3ELS4_3ELS4_3ELNS0_20block_scan_algorithmE0ELj4294967295EEENS1_25partition_config_selectorILNS1_17partition_subalgoE3EjNS0_10empty_typeEbEEZZNS1_14partition_implILS8_3ELb0ES6_jNS0_17counting_iteratorIjlEEPS9_SE_NS0_5tupleIJPjSE_EEENSF_IJSE_SE_EEES9_SG_JZNS1_25segmented_radix_sort_implINS0_14default_configELb1EPKlPlSM_SN_N2at6native12_GLOBAL__N_18offset_tEEE10hipError_tPvRmT1_PNSt15iterator_traitsISV_E10value_typeET2_T3_PNSW_IS11_E10value_typeET4_jRbjT5_S17_jjP12ihipStream_tbEUljE_EEESS_ST_SU_S11_S15_S17_T6_T7_T9_mT8_S19_bDpT10_ENKUlT_T0_E_clISt17integral_constantIbLb0EES1L_IbLb1EEEEDaS1H_S1I_EUlS1H_E_NS1_11comp_targetILNS1_3genE8ELNS1_11target_archE1030ELNS1_3gpuE2ELNS1_3repE0EEENS1_30default_config_static_selectorELNS0_4arch9wavefront6targetE0EEEvSV_: ; @_ZN7rocprim17ROCPRIM_400000_NS6detail17trampoline_kernelINS0_13select_configILj256ELj13ELNS0_17block_load_methodE3ELS4_3ELS4_3ELNS0_20block_scan_algorithmE0ELj4294967295EEENS1_25partition_config_selectorILNS1_17partition_subalgoE3EjNS0_10empty_typeEbEEZZNS1_14partition_implILS8_3ELb0ES6_jNS0_17counting_iteratorIjlEEPS9_SE_NS0_5tupleIJPjSE_EEENSF_IJSE_SE_EEES9_SG_JZNS1_25segmented_radix_sort_implINS0_14default_configELb1EPKlPlSM_SN_N2at6native12_GLOBAL__N_18offset_tEEE10hipError_tPvRmT1_PNSt15iterator_traitsISV_E10value_typeET2_T3_PNSW_IS11_E10value_typeET4_jRbjT5_S17_jjP12ihipStream_tbEUljE_EEESS_ST_SU_S11_S15_S17_T6_T7_T9_mT8_S19_bDpT10_ENKUlT_T0_E_clISt17integral_constantIbLb0EES1L_IbLb1EEEEDaS1H_S1I_EUlS1H_E_NS1_11comp_targetILNS1_3genE8ELNS1_11target_archE1030ELNS1_3gpuE2ELNS1_3repE0EEENS1_30default_config_static_selectorELNS0_4arch9wavefront6targetE0EEEvSV_
; %bb.0:
	.section	.rodata,"a",@progbits
	.p2align	6, 0x0
	.amdhsa_kernel _ZN7rocprim17ROCPRIM_400000_NS6detail17trampoline_kernelINS0_13select_configILj256ELj13ELNS0_17block_load_methodE3ELS4_3ELS4_3ELNS0_20block_scan_algorithmE0ELj4294967295EEENS1_25partition_config_selectorILNS1_17partition_subalgoE3EjNS0_10empty_typeEbEEZZNS1_14partition_implILS8_3ELb0ES6_jNS0_17counting_iteratorIjlEEPS9_SE_NS0_5tupleIJPjSE_EEENSF_IJSE_SE_EEES9_SG_JZNS1_25segmented_radix_sort_implINS0_14default_configELb1EPKlPlSM_SN_N2at6native12_GLOBAL__N_18offset_tEEE10hipError_tPvRmT1_PNSt15iterator_traitsISV_E10value_typeET2_T3_PNSW_IS11_E10value_typeET4_jRbjT5_S17_jjP12ihipStream_tbEUljE_EEESS_ST_SU_S11_S15_S17_T6_T7_T9_mT8_S19_bDpT10_ENKUlT_T0_E_clISt17integral_constantIbLb0EES1L_IbLb1EEEEDaS1H_S1I_EUlS1H_E_NS1_11comp_targetILNS1_3genE8ELNS1_11target_archE1030ELNS1_3gpuE2ELNS1_3repE0EEENS1_30default_config_static_selectorELNS0_4arch9wavefront6targetE0EEEvSV_
		.amdhsa_group_segment_fixed_size 0
		.amdhsa_private_segment_fixed_size 0
		.amdhsa_kernarg_size 152
		.amdhsa_user_sgpr_count 15
		.amdhsa_user_sgpr_dispatch_ptr 0
		.amdhsa_user_sgpr_queue_ptr 0
		.amdhsa_user_sgpr_kernarg_segment_ptr 1
		.amdhsa_user_sgpr_dispatch_id 0
		.amdhsa_user_sgpr_private_segment_size 0
		.amdhsa_wavefront_size32 1
		.amdhsa_uses_dynamic_stack 0
		.amdhsa_enable_private_segment 0
		.amdhsa_system_sgpr_workgroup_id_x 1
		.amdhsa_system_sgpr_workgroup_id_y 0
		.amdhsa_system_sgpr_workgroup_id_z 0
		.amdhsa_system_sgpr_workgroup_info 0
		.amdhsa_system_vgpr_workitem_id 0
		.amdhsa_next_free_vgpr 1
		.amdhsa_next_free_sgpr 1
		.amdhsa_reserve_vcc 0
		.amdhsa_float_round_mode_32 0
		.amdhsa_float_round_mode_16_64 0
		.amdhsa_float_denorm_mode_32 3
		.amdhsa_float_denorm_mode_16_64 3
		.amdhsa_dx10_clamp 1
		.amdhsa_ieee_mode 1
		.amdhsa_fp16_overflow 0
		.amdhsa_workgroup_processor_mode 1
		.amdhsa_memory_ordered 1
		.amdhsa_forward_progress 0
		.amdhsa_shared_vgpr_count 0
		.amdhsa_exception_fp_ieee_invalid_op 0
		.amdhsa_exception_fp_denorm_src 0
		.amdhsa_exception_fp_ieee_div_zero 0
		.amdhsa_exception_fp_ieee_overflow 0
		.amdhsa_exception_fp_ieee_underflow 0
		.amdhsa_exception_fp_ieee_inexact 0
		.amdhsa_exception_int_div_zero 0
	.end_amdhsa_kernel
	.section	.text._ZN7rocprim17ROCPRIM_400000_NS6detail17trampoline_kernelINS0_13select_configILj256ELj13ELNS0_17block_load_methodE3ELS4_3ELS4_3ELNS0_20block_scan_algorithmE0ELj4294967295EEENS1_25partition_config_selectorILNS1_17partition_subalgoE3EjNS0_10empty_typeEbEEZZNS1_14partition_implILS8_3ELb0ES6_jNS0_17counting_iteratorIjlEEPS9_SE_NS0_5tupleIJPjSE_EEENSF_IJSE_SE_EEES9_SG_JZNS1_25segmented_radix_sort_implINS0_14default_configELb1EPKlPlSM_SN_N2at6native12_GLOBAL__N_18offset_tEEE10hipError_tPvRmT1_PNSt15iterator_traitsISV_E10value_typeET2_T3_PNSW_IS11_E10value_typeET4_jRbjT5_S17_jjP12ihipStream_tbEUljE_EEESS_ST_SU_S11_S15_S17_T6_T7_T9_mT8_S19_bDpT10_ENKUlT_T0_E_clISt17integral_constantIbLb0EES1L_IbLb1EEEEDaS1H_S1I_EUlS1H_E_NS1_11comp_targetILNS1_3genE8ELNS1_11target_archE1030ELNS1_3gpuE2ELNS1_3repE0EEENS1_30default_config_static_selectorELNS0_4arch9wavefront6targetE0EEEvSV_,"axG",@progbits,_ZN7rocprim17ROCPRIM_400000_NS6detail17trampoline_kernelINS0_13select_configILj256ELj13ELNS0_17block_load_methodE3ELS4_3ELS4_3ELNS0_20block_scan_algorithmE0ELj4294967295EEENS1_25partition_config_selectorILNS1_17partition_subalgoE3EjNS0_10empty_typeEbEEZZNS1_14partition_implILS8_3ELb0ES6_jNS0_17counting_iteratorIjlEEPS9_SE_NS0_5tupleIJPjSE_EEENSF_IJSE_SE_EEES9_SG_JZNS1_25segmented_radix_sort_implINS0_14default_configELb1EPKlPlSM_SN_N2at6native12_GLOBAL__N_18offset_tEEE10hipError_tPvRmT1_PNSt15iterator_traitsISV_E10value_typeET2_T3_PNSW_IS11_E10value_typeET4_jRbjT5_S17_jjP12ihipStream_tbEUljE_EEESS_ST_SU_S11_S15_S17_T6_T7_T9_mT8_S19_bDpT10_ENKUlT_T0_E_clISt17integral_constantIbLb0EES1L_IbLb1EEEEDaS1H_S1I_EUlS1H_E_NS1_11comp_targetILNS1_3genE8ELNS1_11target_archE1030ELNS1_3gpuE2ELNS1_3repE0EEENS1_30default_config_static_selectorELNS0_4arch9wavefront6targetE0EEEvSV_,comdat
.Lfunc_end703:
	.size	_ZN7rocprim17ROCPRIM_400000_NS6detail17trampoline_kernelINS0_13select_configILj256ELj13ELNS0_17block_load_methodE3ELS4_3ELS4_3ELNS0_20block_scan_algorithmE0ELj4294967295EEENS1_25partition_config_selectorILNS1_17partition_subalgoE3EjNS0_10empty_typeEbEEZZNS1_14partition_implILS8_3ELb0ES6_jNS0_17counting_iteratorIjlEEPS9_SE_NS0_5tupleIJPjSE_EEENSF_IJSE_SE_EEES9_SG_JZNS1_25segmented_radix_sort_implINS0_14default_configELb1EPKlPlSM_SN_N2at6native12_GLOBAL__N_18offset_tEEE10hipError_tPvRmT1_PNSt15iterator_traitsISV_E10value_typeET2_T3_PNSW_IS11_E10value_typeET4_jRbjT5_S17_jjP12ihipStream_tbEUljE_EEESS_ST_SU_S11_S15_S17_T6_T7_T9_mT8_S19_bDpT10_ENKUlT_T0_E_clISt17integral_constantIbLb0EES1L_IbLb1EEEEDaS1H_S1I_EUlS1H_E_NS1_11comp_targetILNS1_3genE8ELNS1_11target_archE1030ELNS1_3gpuE2ELNS1_3repE0EEENS1_30default_config_static_selectorELNS0_4arch9wavefront6targetE0EEEvSV_, .Lfunc_end703-_ZN7rocprim17ROCPRIM_400000_NS6detail17trampoline_kernelINS0_13select_configILj256ELj13ELNS0_17block_load_methodE3ELS4_3ELS4_3ELNS0_20block_scan_algorithmE0ELj4294967295EEENS1_25partition_config_selectorILNS1_17partition_subalgoE3EjNS0_10empty_typeEbEEZZNS1_14partition_implILS8_3ELb0ES6_jNS0_17counting_iteratorIjlEEPS9_SE_NS0_5tupleIJPjSE_EEENSF_IJSE_SE_EEES9_SG_JZNS1_25segmented_radix_sort_implINS0_14default_configELb1EPKlPlSM_SN_N2at6native12_GLOBAL__N_18offset_tEEE10hipError_tPvRmT1_PNSt15iterator_traitsISV_E10value_typeET2_T3_PNSW_IS11_E10value_typeET4_jRbjT5_S17_jjP12ihipStream_tbEUljE_EEESS_ST_SU_S11_S15_S17_T6_T7_T9_mT8_S19_bDpT10_ENKUlT_T0_E_clISt17integral_constantIbLb0EES1L_IbLb1EEEEDaS1H_S1I_EUlS1H_E_NS1_11comp_targetILNS1_3genE8ELNS1_11target_archE1030ELNS1_3gpuE2ELNS1_3repE0EEENS1_30default_config_static_selectorELNS0_4arch9wavefront6targetE0EEEvSV_
                                        ; -- End function
	.section	.AMDGPU.csdata,"",@progbits
; Kernel info:
; codeLenInByte = 0
; NumSgprs: 0
; NumVgprs: 0
; ScratchSize: 0
; MemoryBound: 0
; FloatMode: 240
; IeeeMode: 1
; LDSByteSize: 0 bytes/workgroup (compile time only)
; SGPRBlocks: 0
; VGPRBlocks: 0
; NumSGPRsForWavesPerEU: 1
; NumVGPRsForWavesPerEU: 1
; Occupancy: 16
; WaveLimiterHint : 0
; COMPUTE_PGM_RSRC2:SCRATCH_EN: 0
; COMPUTE_PGM_RSRC2:USER_SGPR: 15
; COMPUTE_PGM_RSRC2:TRAP_HANDLER: 0
; COMPUTE_PGM_RSRC2:TGID_X_EN: 1
; COMPUTE_PGM_RSRC2:TGID_Y_EN: 0
; COMPUTE_PGM_RSRC2:TGID_Z_EN: 0
; COMPUTE_PGM_RSRC2:TIDIG_COMP_CNT: 0
	.section	.text._ZN7rocprim17ROCPRIM_400000_NS6detail17trampoline_kernelINS0_14default_configENS1_36segmented_radix_sort_config_selectorIllEEZNS1_25segmented_radix_sort_implIS3_Lb1EPKlPlS8_S9_N2at6native12_GLOBAL__N_18offset_tEEE10hipError_tPvRmT1_PNSt15iterator_traitsISH_E10value_typeET2_T3_PNSI_ISN_E10value_typeET4_jRbjT5_ST_jjP12ihipStream_tbEUlT_E_NS1_11comp_targetILNS1_3genE0ELNS1_11target_archE4294967295ELNS1_3gpuE0ELNS1_3repE0EEENS1_30default_config_static_selectorELNS0_4arch9wavefront6targetE0EEEvSH_,"axG",@progbits,_ZN7rocprim17ROCPRIM_400000_NS6detail17trampoline_kernelINS0_14default_configENS1_36segmented_radix_sort_config_selectorIllEEZNS1_25segmented_radix_sort_implIS3_Lb1EPKlPlS8_S9_N2at6native12_GLOBAL__N_18offset_tEEE10hipError_tPvRmT1_PNSt15iterator_traitsISH_E10value_typeET2_T3_PNSI_ISN_E10value_typeET4_jRbjT5_ST_jjP12ihipStream_tbEUlT_E_NS1_11comp_targetILNS1_3genE0ELNS1_11target_archE4294967295ELNS1_3gpuE0ELNS1_3repE0EEENS1_30default_config_static_selectorELNS0_4arch9wavefront6targetE0EEEvSH_,comdat
	.globl	_ZN7rocprim17ROCPRIM_400000_NS6detail17trampoline_kernelINS0_14default_configENS1_36segmented_radix_sort_config_selectorIllEEZNS1_25segmented_radix_sort_implIS3_Lb1EPKlPlS8_S9_N2at6native12_GLOBAL__N_18offset_tEEE10hipError_tPvRmT1_PNSt15iterator_traitsISH_E10value_typeET2_T3_PNSI_ISN_E10value_typeET4_jRbjT5_ST_jjP12ihipStream_tbEUlT_E_NS1_11comp_targetILNS1_3genE0ELNS1_11target_archE4294967295ELNS1_3gpuE0ELNS1_3repE0EEENS1_30default_config_static_selectorELNS0_4arch9wavefront6targetE0EEEvSH_ ; -- Begin function _ZN7rocprim17ROCPRIM_400000_NS6detail17trampoline_kernelINS0_14default_configENS1_36segmented_radix_sort_config_selectorIllEEZNS1_25segmented_radix_sort_implIS3_Lb1EPKlPlS8_S9_N2at6native12_GLOBAL__N_18offset_tEEE10hipError_tPvRmT1_PNSt15iterator_traitsISH_E10value_typeET2_T3_PNSI_ISN_E10value_typeET4_jRbjT5_ST_jjP12ihipStream_tbEUlT_E_NS1_11comp_targetILNS1_3genE0ELNS1_11target_archE4294967295ELNS1_3gpuE0ELNS1_3repE0EEENS1_30default_config_static_selectorELNS0_4arch9wavefront6targetE0EEEvSH_
	.p2align	8
	.type	_ZN7rocprim17ROCPRIM_400000_NS6detail17trampoline_kernelINS0_14default_configENS1_36segmented_radix_sort_config_selectorIllEEZNS1_25segmented_radix_sort_implIS3_Lb1EPKlPlS8_S9_N2at6native12_GLOBAL__N_18offset_tEEE10hipError_tPvRmT1_PNSt15iterator_traitsISH_E10value_typeET2_T3_PNSI_ISN_E10value_typeET4_jRbjT5_ST_jjP12ihipStream_tbEUlT_E_NS1_11comp_targetILNS1_3genE0ELNS1_11target_archE4294967295ELNS1_3gpuE0ELNS1_3repE0EEENS1_30default_config_static_selectorELNS0_4arch9wavefront6targetE0EEEvSH_,@function
_ZN7rocprim17ROCPRIM_400000_NS6detail17trampoline_kernelINS0_14default_configENS1_36segmented_radix_sort_config_selectorIllEEZNS1_25segmented_radix_sort_implIS3_Lb1EPKlPlS8_S9_N2at6native12_GLOBAL__N_18offset_tEEE10hipError_tPvRmT1_PNSt15iterator_traitsISH_E10value_typeET2_T3_PNSI_ISN_E10value_typeET4_jRbjT5_ST_jjP12ihipStream_tbEUlT_E_NS1_11comp_targetILNS1_3genE0ELNS1_11target_archE4294967295ELNS1_3gpuE0ELNS1_3repE0EEENS1_30default_config_static_selectorELNS0_4arch9wavefront6targetE0EEEvSH_: ; @_ZN7rocprim17ROCPRIM_400000_NS6detail17trampoline_kernelINS0_14default_configENS1_36segmented_radix_sort_config_selectorIllEEZNS1_25segmented_radix_sort_implIS3_Lb1EPKlPlS8_S9_N2at6native12_GLOBAL__N_18offset_tEEE10hipError_tPvRmT1_PNSt15iterator_traitsISH_E10value_typeET2_T3_PNSI_ISN_E10value_typeET4_jRbjT5_ST_jjP12ihipStream_tbEUlT_E_NS1_11comp_targetILNS1_3genE0ELNS1_11target_archE4294967295ELNS1_3gpuE0ELNS1_3repE0EEENS1_30default_config_static_selectorELNS0_4arch9wavefront6targetE0EEEvSH_
; %bb.0:
	.section	.rodata,"a",@progbits
	.p2align	6, 0x0
	.amdhsa_kernel _ZN7rocprim17ROCPRIM_400000_NS6detail17trampoline_kernelINS0_14default_configENS1_36segmented_radix_sort_config_selectorIllEEZNS1_25segmented_radix_sort_implIS3_Lb1EPKlPlS8_S9_N2at6native12_GLOBAL__N_18offset_tEEE10hipError_tPvRmT1_PNSt15iterator_traitsISH_E10value_typeET2_T3_PNSI_ISN_E10value_typeET4_jRbjT5_ST_jjP12ihipStream_tbEUlT_E_NS1_11comp_targetILNS1_3genE0ELNS1_11target_archE4294967295ELNS1_3gpuE0ELNS1_3repE0EEENS1_30default_config_static_selectorELNS0_4arch9wavefront6targetE0EEEvSH_
		.amdhsa_group_segment_fixed_size 0
		.amdhsa_private_segment_fixed_size 0
		.amdhsa_kernarg_size 96
		.amdhsa_user_sgpr_count 15
		.amdhsa_user_sgpr_dispatch_ptr 0
		.amdhsa_user_sgpr_queue_ptr 0
		.amdhsa_user_sgpr_kernarg_segment_ptr 1
		.amdhsa_user_sgpr_dispatch_id 0
		.amdhsa_user_sgpr_private_segment_size 0
		.amdhsa_wavefront_size32 1
		.amdhsa_uses_dynamic_stack 0
		.amdhsa_enable_private_segment 0
		.amdhsa_system_sgpr_workgroup_id_x 1
		.amdhsa_system_sgpr_workgroup_id_y 0
		.amdhsa_system_sgpr_workgroup_id_z 0
		.amdhsa_system_sgpr_workgroup_info 0
		.amdhsa_system_vgpr_workitem_id 0
		.amdhsa_next_free_vgpr 1
		.amdhsa_next_free_sgpr 1
		.amdhsa_reserve_vcc 0
		.amdhsa_float_round_mode_32 0
		.amdhsa_float_round_mode_16_64 0
		.amdhsa_float_denorm_mode_32 3
		.amdhsa_float_denorm_mode_16_64 3
		.amdhsa_dx10_clamp 1
		.amdhsa_ieee_mode 1
		.amdhsa_fp16_overflow 0
		.amdhsa_workgroup_processor_mode 1
		.amdhsa_memory_ordered 1
		.amdhsa_forward_progress 0
		.amdhsa_shared_vgpr_count 0
		.amdhsa_exception_fp_ieee_invalid_op 0
		.amdhsa_exception_fp_denorm_src 0
		.amdhsa_exception_fp_ieee_div_zero 0
		.amdhsa_exception_fp_ieee_overflow 0
		.amdhsa_exception_fp_ieee_underflow 0
		.amdhsa_exception_fp_ieee_inexact 0
		.amdhsa_exception_int_div_zero 0
	.end_amdhsa_kernel
	.section	.text._ZN7rocprim17ROCPRIM_400000_NS6detail17trampoline_kernelINS0_14default_configENS1_36segmented_radix_sort_config_selectorIllEEZNS1_25segmented_radix_sort_implIS3_Lb1EPKlPlS8_S9_N2at6native12_GLOBAL__N_18offset_tEEE10hipError_tPvRmT1_PNSt15iterator_traitsISH_E10value_typeET2_T3_PNSI_ISN_E10value_typeET4_jRbjT5_ST_jjP12ihipStream_tbEUlT_E_NS1_11comp_targetILNS1_3genE0ELNS1_11target_archE4294967295ELNS1_3gpuE0ELNS1_3repE0EEENS1_30default_config_static_selectorELNS0_4arch9wavefront6targetE0EEEvSH_,"axG",@progbits,_ZN7rocprim17ROCPRIM_400000_NS6detail17trampoline_kernelINS0_14default_configENS1_36segmented_radix_sort_config_selectorIllEEZNS1_25segmented_radix_sort_implIS3_Lb1EPKlPlS8_S9_N2at6native12_GLOBAL__N_18offset_tEEE10hipError_tPvRmT1_PNSt15iterator_traitsISH_E10value_typeET2_T3_PNSI_ISN_E10value_typeET4_jRbjT5_ST_jjP12ihipStream_tbEUlT_E_NS1_11comp_targetILNS1_3genE0ELNS1_11target_archE4294967295ELNS1_3gpuE0ELNS1_3repE0EEENS1_30default_config_static_selectorELNS0_4arch9wavefront6targetE0EEEvSH_,comdat
.Lfunc_end704:
	.size	_ZN7rocprim17ROCPRIM_400000_NS6detail17trampoline_kernelINS0_14default_configENS1_36segmented_radix_sort_config_selectorIllEEZNS1_25segmented_radix_sort_implIS3_Lb1EPKlPlS8_S9_N2at6native12_GLOBAL__N_18offset_tEEE10hipError_tPvRmT1_PNSt15iterator_traitsISH_E10value_typeET2_T3_PNSI_ISN_E10value_typeET4_jRbjT5_ST_jjP12ihipStream_tbEUlT_E_NS1_11comp_targetILNS1_3genE0ELNS1_11target_archE4294967295ELNS1_3gpuE0ELNS1_3repE0EEENS1_30default_config_static_selectorELNS0_4arch9wavefront6targetE0EEEvSH_, .Lfunc_end704-_ZN7rocprim17ROCPRIM_400000_NS6detail17trampoline_kernelINS0_14default_configENS1_36segmented_radix_sort_config_selectorIllEEZNS1_25segmented_radix_sort_implIS3_Lb1EPKlPlS8_S9_N2at6native12_GLOBAL__N_18offset_tEEE10hipError_tPvRmT1_PNSt15iterator_traitsISH_E10value_typeET2_T3_PNSI_ISN_E10value_typeET4_jRbjT5_ST_jjP12ihipStream_tbEUlT_E_NS1_11comp_targetILNS1_3genE0ELNS1_11target_archE4294967295ELNS1_3gpuE0ELNS1_3repE0EEENS1_30default_config_static_selectorELNS0_4arch9wavefront6targetE0EEEvSH_
                                        ; -- End function
	.section	.AMDGPU.csdata,"",@progbits
; Kernel info:
; codeLenInByte = 0
; NumSgprs: 0
; NumVgprs: 0
; ScratchSize: 0
; MemoryBound: 0
; FloatMode: 240
; IeeeMode: 1
; LDSByteSize: 0 bytes/workgroup (compile time only)
; SGPRBlocks: 0
; VGPRBlocks: 0
; NumSGPRsForWavesPerEU: 1
; NumVGPRsForWavesPerEU: 1
; Occupancy: 16
; WaveLimiterHint : 0
; COMPUTE_PGM_RSRC2:SCRATCH_EN: 0
; COMPUTE_PGM_RSRC2:USER_SGPR: 15
; COMPUTE_PGM_RSRC2:TRAP_HANDLER: 0
; COMPUTE_PGM_RSRC2:TGID_X_EN: 1
; COMPUTE_PGM_RSRC2:TGID_Y_EN: 0
; COMPUTE_PGM_RSRC2:TGID_Z_EN: 0
; COMPUTE_PGM_RSRC2:TIDIG_COMP_CNT: 0
	.section	.text._ZN7rocprim17ROCPRIM_400000_NS6detail17trampoline_kernelINS0_14default_configENS1_36segmented_radix_sort_config_selectorIllEEZNS1_25segmented_radix_sort_implIS3_Lb1EPKlPlS8_S9_N2at6native12_GLOBAL__N_18offset_tEEE10hipError_tPvRmT1_PNSt15iterator_traitsISH_E10value_typeET2_T3_PNSI_ISN_E10value_typeET4_jRbjT5_ST_jjP12ihipStream_tbEUlT_E_NS1_11comp_targetILNS1_3genE5ELNS1_11target_archE942ELNS1_3gpuE9ELNS1_3repE0EEENS1_30default_config_static_selectorELNS0_4arch9wavefront6targetE0EEEvSH_,"axG",@progbits,_ZN7rocprim17ROCPRIM_400000_NS6detail17trampoline_kernelINS0_14default_configENS1_36segmented_radix_sort_config_selectorIllEEZNS1_25segmented_radix_sort_implIS3_Lb1EPKlPlS8_S9_N2at6native12_GLOBAL__N_18offset_tEEE10hipError_tPvRmT1_PNSt15iterator_traitsISH_E10value_typeET2_T3_PNSI_ISN_E10value_typeET4_jRbjT5_ST_jjP12ihipStream_tbEUlT_E_NS1_11comp_targetILNS1_3genE5ELNS1_11target_archE942ELNS1_3gpuE9ELNS1_3repE0EEENS1_30default_config_static_selectorELNS0_4arch9wavefront6targetE0EEEvSH_,comdat
	.globl	_ZN7rocprim17ROCPRIM_400000_NS6detail17trampoline_kernelINS0_14default_configENS1_36segmented_radix_sort_config_selectorIllEEZNS1_25segmented_radix_sort_implIS3_Lb1EPKlPlS8_S9_N2at6native12_GLOBAL__N_18offset_tEEE10hipError_tPvRmT1_PNSt15iterator_traitsISH_E10value_typeET2_T3_PNSI_ISN_E10value_typeET4_jRbjT5_ST_jjP12ihipStream_tbEUlT_E_NS1_11comp_targetILNS1_3genE5ELNS1_11target_archE942ELNS1_3gpuE9ELNS1_3repE0EEENS1_30default_config_static_selectorELNS0_4arch9wavefront6targetE0EEEvSH_ ; -- Begin function _ZN7rocprim17ROCPRIM_400000_NS6detail17trampoline_kernelINS0_14default_configENS1_36segmented_radix_sort_config_selectorIllEEZNS1_25segmented_radix_sort_implIS3_Lb1EPKlPlS8_S9_N2at6native12_GLOBAL__N_18offset_tEEE10hipError_tPvRmT1_PNSt15iterator_traitsISH_E10value_typeET2_T3_PNSI_ISN_E10value_typeET4_jRbjT5_ST_jjP12ihipStream_tbEUlT_E_NS1_11comp_targetILNS1_3genE5ELNS1_11target_archE942ELNS1_3gpuE9ELNS1_3repE0EEENS1_30default_config_static_selectorELNS0_4arch9wavefront6targetE0EEEvSH_
	.p2align	8
	.type	_ZN7rocprim17ROCPRIM_400000_NS6detail17trampoline_kernelINS0_14default_configENS1_36segmented_radix_sort_config_selectorIllEEZNS1_25segmented_radix_sort_implIS3_Lb1EPKlPlS8_S9_N2at6native12_GLOBAL__N_18offset_tEEE10hipError_tPvRmT1_PNSt15iterator_traitsISH_E10value_typeET2_T3_PNSI_ISN_E10value_typeET4_jRbjT5_ST_jjP12ihipStream_tbEUlT_E_NS1_11comp_targetILNS1_3genE5ELNS1_11target_archE942ELNS1_3gpuE9ELNS1_3repE0EEENS1_30default_config_static_selectorELNS0_4arch9wavefront6targetE0EEEvSH_,@function
_ZN7rocprim17ROCPRIM_400000_NS6detail17trampoline_kernelINS0_14default_configENS1_36segmented_radix_sort_config_selectorIllEEZNS1_25segmented_radix_sort_implIS3_Lb1EPKlPlS8_S9_N2at6native12_GLOBAL__N_18offset_tEEE10hipError_tPvRmT1_PNSt15iterator_traitsISH_E10value_typeET2_T3_PNSI_ISN_E10value_typeET4_jRbjT5_ST_jjP12ihipStream_tbEUlT_E_NS1_11comp_targetILNS1_3genE5ELNS1_11target_archE942ELNS1_3gpuE9ELNS1_3repE0EEENS1_30default_config_static_selectorELNS0_4arch9wavefront6targetE0EEEvSH_: ; @_ZN7rocprim17ROCPRIM_400000_NS6detail17trampoline_kernelINS0_14default_configENS1_36segmented_radix_sort_config_selectorIllEEZNS1_25segmented_radix_sort_implIS3_Lb1EPKlPlS8_S9_N2at6native12_GLOBAL__N_18offset_tEEE10hipError_tPvRmT1_PNSt15iterator_traitsISH_E10value_typeET2_T3_PNSI_ISN_E10value_typeET4_jRbjT5_ST_jjP12ihipStream_tbEUlT_E_NS1_11comp_targetILNS1_3genE5ELNS1_11target_archE942ELNS1_3gpuE9ELNS1_3repE0EEENS1_30default_config_static_selectorELNS0_4arch9wavefront6targetE0EEEvSH_
; %bb.0:
	.section	.rodata,"a",@progbits
	.p2align	6, 0x0
	.amdhsa_kernel _ZN7rocprim17ROCPRIM_400000_NS6detail17trampoline_kernelINS0_14default_configENS1_36segmented_radix_sort_config_selectorIllEEZNS1_25segmented_radix_sort_implIS3_Lb1EPKlPlS8_S9_N2at6native12_GLOBAL__N_18offset_tEEE10hipError_tPvRmT1_PNSt15iterator_traitsISH_E10value_typeET2_T3_PNSI_ISN_E10value_typeET4_jRbjT5_ST_jjP12ihipStream_tbEUlT_E_NS1_11comp_targetILNS1_3genE5ELNS1_11target_archE942ELNS1_3gpuE9ELNS1_3repE0EEENS1_30default_config_static_selectorELNS0_4arch9wavefront6targetE0EEEvSH_
		.amdhsa_group_segment_fixed_size 0
		.amdhsa_private_segment_fixed_size 0
		.amdhsa_kernarg_size 96
		.amdhsa_user_sgpr_count 15
		.amdhsa_user_sgpr_dispatch_ptr 0
		.amdhsa_user_sgpr_queue_ptr 0
		.amdhsa_user_sgpr_kernarg_segment_ptr 1
		.amdhsa_user_sgpr_dispatch_id 0
		.amdhsa_user_sgpr_private_segment_size 0
		.amdhsa_wavefront_size32 1
		.amdhsa_uses_dynamic_stack 0
		.amdhsa_enable_private_segment 0
		.amdhsa_system_sgpr_workgroup_id_x 1
		.amdhsa_system_sgpr_workgroup_id_y 0
		.amdhsa_system_sgpr_workgroup_id_z 0
		.amdhsa_system_sgpr_workgroup_info 0
		.amdhsa_system_vgpr_workitem_id 0
		.amdhsa_next_free_vgpr 1
		.amdhsa_next_free_sgpr 1
		.amdhsa_reserve_vcc 0
		.amdhsa_float_round_mode_32 0
		.amdhsa_float_round_mode_16_64 0
		.amdhsa_float_denorm_mode_32 3
		.amdhsa_float_denorm_mode_16_64 3
		.amdhsa_dx10_clamp 1
		.amdhsa_ieee_mode 1
		.amdhsa_fp16_overflow 0
		.amdhsa_workgroup_processor_mode 1
		.amdhsa_memory_ordered 1
		.amdhsa_forward_progress 0
		.amdhsa_shared_vgpr_count 0
		.amdhsa_exception_fp_ieee_invalid_op 0
		.amdhsa_exception_fp_denorm_src 0
		.amdhsa_exception_fp_ieee_div_zero 0
		.amdhsa_exception_fp_ieee_overflow 0
		.amdhsa_exception_fp_ieee_underflow 0
		.amdhsa_exception_fp_ieee_inexact 0
		.amdhsa_exception_int_div_zero 0
	.end_amdhsa_kernel
	.section	.text._ZN7rocprim17ROCPRIM_400000_NS6detail17trampoline_kernelINS0_14default_configENS1_36segmented_radix_sort_config_selectorIllEEZNS1_25segmented_radix_sort_implIS3_Lb1EPKlPlS8_S9_N2at6native12_GLOBAL__N_18offset_tEEE10hipError_tPvRmT1_PNSt15iterator_traitsISH_E10value_typeET2_T3_PNSI_ISN_E10value_typeET4_jRbjT5_ST_jjP12ihipStream_tbEUlT_E_NS1_11comp_targetILNS1_3genE5ELNS1_11target_archE942ELNS1_3gpuE9ELNS1_3repE0EEENS1_30default_config_static_selectorELNS0_4arch9wavefront6targetE0EEEvSH_,"axG",@progbits,_ZN7rocprim17ROCPRIM_400000_NS6detail17trampoline_kernelINS0_14default_configENS1_36segmented_radix_sort_config_selectorIllEEZNS1_25segmented_radix_sort_implIS3_Lb1EPKlPlS8_S9_N2at6native12_GLOBAL__N_18offset_tEEE10hipError_tPvRmT1_PNSt15iterator_traitsISH_E10value_typeET2_T3_PNSI_ISN_E10value_typeET4_jRbjT5_ST_jjP12ihipStream_tbEUlT_E_NS1_11comp_targetILNS1_3genE5ELNS1_11target_archE942ELNS1_3gpuE9ELNS1_3repE0EEENS1_30default_config_static_selectorELNS0_4arch9wavefront6targetE0EEEvSH_,comdat
.Lfunc_end705:
	.size	_ZN7rocprim17ROCPRIM_400000_NS6detail17trampoline_kernelINS0_14default_configENS1_36segmented_radix_sort_config_selectorIllEEZNS1_25segmented_radix_sort_implIS3_Lb1EPKlPlS8_S9_N2at6native12_GLOBAL__N_18offset_tEEE10hipError_tPvRmT1_PNSt15iterator_traitsISH_E10value_typeET2_T3_PNSI_ISN_E10value_typeET4_jRbjT5_ST_jjP12ihipStream_tbEUlT_E_NS1_11comp_targetILNS1_3genE5ELNS1_11target_archE942ELNS1_3gpuE9ELNS1_3repE0EEENS1_30default_config_static_selectorELNS0_4arch9wavefront6targetE0EEEvSH_, .Lfunc_end705-_ZN7rocprim17ROCPRIM_400000_NS6detail17trampoline_kernelINS0_14default_configENS1_36segmented_radix_sort_config_selectorIllEEZNS1_25segmented_radix_sort_implIS3_Lb1EPKlPlS8_S9_N2at6native12_GLOBAL__N_18offset_tEEE10hipError_tPvRmT1_PNSt15iterator_traitsISH_E10value_typeET2_T3_PNSI_ISN_E10value_typeET4_jRbjT5_ST_jjP12ihipStream_tbEUlT_E_NS1_11comp_targetILNS1_3genE5ELNS1_11target_archE942ELNS1_3gpuE9ELNS1_3repE0EEENS1_30default_config_static_selectorELNS0_4arch9wavefront6targetE0EEEvSH_
                                        ; -- End function
	.section	.AMDGPU.csdata,"",@progbits
; Kernel info:
; codeLenInByte = 0
; NumSgprs: 0
; NumVgprs: 0
; ScratchSize: 0
; MemoryBound: 0
; FloatMode: 240
; IeeeMode: 1
; LDSByteSize: 0 bytes/workgroup (compile time only)
; SGPRBlocks: 0
; VGPRBlocks: 0
; NumSGPRsForWavesPerEU: 1
; NumVGPRsForWavesPerEU: 1
; Occupancy: 16
; WaveLimiterHint : 0
; COMPUTE_PGM_RSRC2:SCRATCH_EN: 0
; COMPUTE_PGM_RSRC2:USER_SGPR: 15
; COMPUTE_PGM_RSRC2:TRAP_HANDLER: 0
; COMPUTE_PGM_RSRC2:TGID_X_EN: 1
; COMPUTE_PGM_RSRC2:TGID_Y_EN: 0
; COMPUTE_PGM_RSRC2:TGID_Z_EN: 0
; COMPUTE_PGM_RSRC2:TIDIG_COMP_CNT: 0
	.section	.text._ZN7rocprim17ROCPRIM_400000_NS6detail17trampoline_kernelINS0_14default_configENS1_36segmented_radix_sort_config_selectorIllEEZNS1_25segmented_radix_sort_implIS3_Lb1EPKlPlS8_S9_N2at6native12_GLOBAL__N_18offset_tEEE10hipError_tPvRmT1_PNSt15iterator_traitsISH_E10value_typeET2_T3_PNSI_ISN_E10value_typeET4_jRbjT5_ST_jjP12ihipStream_tbEUlT_E_NS1_11comp_targetILNS1_3genE4ELNS1_11target_archE910ELNS1_3gpuE8ELNS1_3repE0EEENS1_30default_config_static_selectorELNS0_4arch9wavefront6targetE0EEEvSH_,"axG",@progbits,_ZN7rocprim17ROCPRIM_400000_NS6detail17trampoline_kernelINS0_14default_configENS1_36segmented_radix_sort_config_selectorIllEEZNS1_25segmented_radix_sort_implIS3_Lb1EPKlPlS8_S9_N2at6native12_GLOBAL__N_18offset_tEEE10hipError_tPvRmT1_PNSt15iterator_traitsISH_E10value_typeET2_T3_PNSI_ISN_E10value_typeET4_jRbjT5_ST_jjP12ihipStream_tbEUlT_E_NS1_11comp_targetILNS1_3genE4ELNS1_11target_archE910ELNS1_3gpuE8ELNS1_3repE0EEENS1_30default_config_static_selectorELNS0_4arch9wavefront6targetE0EEEvSH_,comdat
	.globl	_ZN7rocprim17ROCPRIM_400000_NS6detail17trampoline_kernelINS0_14default_configENS1_36segmented_radix_sort_config_selectorIllEEZNS1_25segmented_radix_sort_implIS3_Lb1EPKlPlS8_S9_N2at6native12_GLOBAL__N_18offset_tEEE10hipError_tPvRmT1_PNSt15iterator_traitsISH_E10value_typeET2_T3_PNSI_ISN_E10value_typeET4_jRbjT5_ST_jjP12ihipStream_tbEUlT_E_NS1_11comp_targetILNS1_3genE4ELNS1_11target_archE910ELNS1_3gpuE8ELNS1_3repE0EEENS1_30default_config_static_selectorELNS0_4arch9wavefront6targetE0EEEvSH_ ; -- Begin function _ZN7rocprim17ROCPRIM_400000_NS6detail17trampoline_kernelINS0_14default_configENS1_36segmented_radix_sort_config_selectorIllEEZNS1_25segmented_radix_sort_implIS3_Lb1EPKlPlS8_S9_N2at6native12_GLOBAL__N_18offset_tEEE10hipError_tPvRmT1_PNSt15iterator_traitsISH_E10value_typeET2_T3_PNSI_ISN_E10value_typeET4_jRbjT5_ST_jjP12ihipStream_tbEUlT_E_NS1_11comp_targetILNS1_3genE4ELNS1_11target_archE910ELNS1_3gpuE8ELNS1_3repE0EEENS1_30default_config_static_selectorELNS0_4arch9wavefront6targetE0EEEvSH_
	.p2align	8
	.type	_ZN7rocprim17ROCPRIM_400000_NS6detail17trampoline_kernelINS0_14default_configENS1_36segmented_radix_sort_config_selectorIllEEZNS1_25segmented_radix_sort_implIS3_Lb1EPKlPlS8_S9_N2at6native12_GLOBAL__N_18offset_tEEE10hipError_tPvRmT1_PNSt15iterator_traitsISH_E10value_typeET2_T3_PNSI_ISN_E10value_typeET4_jRbjT5_ST_jjP12ihipStream_tbEUlT_E_NS1_11comp_targetILNS1_3genE4ELNS1_11target_archE910ELNS1_3gpuE8ELNS1_3repE0EEENS1_30default_config_static_selectorELNS0_4arch9wavefront6targetE0EEEvSH_,@function
_ZN7rocprim17ROCPRIM_400000_NS6detail17trampoline_kernelINS0_14default_configENS1_36segmented_radix_sort_config_selectorIllEEZNS1_25segmented_radix_sort_implIS3_Lb1EPKlPlS8_S9_N2at6native12_GLOBAL__N_18offset_tEEE10hipError_tPvRmT1_PNSt15iterator_traitsISH_E10value_typeET2_T3_PNSI_ISN_E10value_typeET4_jRbjT5_ST_jjP12ihipStream_tbEUlT_E_NS1_11comp_targetILNS1_3genE4ELNS1_11target_archE910ELNS1_3gpuE8ELNS1_3repE0EEENS1_30default_config_static_selectorELNS0_4arch9wavefront6targetE0EEEvSH_: ; @_ZN7rocprim17ROCPRIM_400000_NS6detail17trampoline_kernelINS0_14default_configENS1_36segmented_radix_sort_config_selectorIllEEZNS1_25segmented_radix_sort_implIS3_Lb1EPKlPlS8_S9_N2at6native12_GLOBAL__N_18offset_tEEE10hipError_tPvRmT1_PNSt15iterator_traitsISH_E10value_typeET2_T3_PNSI_ISN_E10value_typeET4_jRbjT5_ST_jjP12ihipStream_tbEUlT_E_NS1_11comp_targetILNS1_3genE4ELNS1_11target_archE910ELNS1_3gpuE8ELNS1_3repE0EEENS1_30default_config_static_selectorELNS0_4arch9wavefront6targetE0EEEvSH_
; %bb.0:
	.section	.rodata,"a",@progbits
	.p2align	6, 0x0
	.amdhsa_kernel _ZN7rocprim17ROCPRIM_400000_NS6detail17trampoline_kernelINS0_14default_configENS1_36segmented_radix_sort_config_selectorIllEEZNS1_25segmented_radix_sort_implIS3_Lb1EPKlPlS8_S9_N2at6native12_GLOBAL__N_18offset_tEEE10hipError_tPvRmT1_PNSt15iterator_traitsISH_E10value_typeET2_T3_PNSI_ISN_E10value_typeET4_jRbjT5_ST_jjP12ihipStream_tbEUlT_E_NS1_11comp_targetILNS1_3genE4ELNS1_11target_archE910ELNS1_3gpuE8ELNS1_3repE0EEENS1_30default_config_static_selectorELNS0_4arch9wavefront6targetE0EEEvSH_
		.amdhsa_group_segment_fixed_size 0
		.amdhsa_private_segment_fixed_size 0
		.amdhsa_kernarg_size 96
		.amdhsa_user_sgpr_count 15
		.amdhsa_user_sgpr_dispatch_ptr 0
		.amdhsa_user_sgpr_queue_ptr 0
		.amdhsa_user_sgpr_kernarg_segment_ptr 1
		.amdhsa_user_sgpr_dispatch_id 0
		.amdhsa_user_sgpr_private_segment_size 0
		.amdhsa_wavefront_size32 1
		.amdhsa_uses_dynamic_stack 0
		.amdhsa_enable_private_segment 0
		.amdhsa_system_sgpr_workgroup_id_x 1
		.amdhsa_system_sgpr_workgroup_id_y 0
		.amdhsa_system_sgpr_workgroup_id_z 0
		.amdhsa_system_sgpr_workgroup_info 0
		.amdhsa_system_vgpr_workitem_id 0
		.amdhsa_next_free_vgpr 1
		.amdhsa_next_free_sgpr 1
		.amdhsa_reserve_vcc 0
		.amdhsa_float_round_mode_32 0
		.amdhsa_float_round_mode_16_64 0
		.amdhsa_float_denorm_mode_32 3
		.amdhsa_float_denorm_mode_16_64 3
		.amdhsa_dx10_clamp 1
		.amdhsa_ieee_mode 1
		.amdhsa_fp16_overflow 0
		.amdhsa_workgroup_processor_mode 1
		.amdhsa_memory_ordered 1
		.amdhsa_forward_progress 0
		.amdhsa_shared_vgpr_count 0
		.amdhsa_exception_fp_ieee_invalid_op 0
		.amdhsa_exception_fp_denorm_src 0
		.amdhsa_exception_fp_ieee_div_zero 0
		.amdhsa_exception_fp_ieee_overflow 0
		.amdhsa_exception_fp_ieee_underflow 0
		.amdhsa_exception_fp_ieee_inexact 0
		.amdhsa_exception_int_div_zero 0
	.end_amdhsa_kernel
	.section	.text._ZN7rocprim17ROCPRIM_400000_NS6detail17trampoline_kernelINS0_14default_configENS1_36segmented_radix_sort_config_selectorIllEEZNS1_25segmented_radix_sort_implIS3_Lb1EPKlPlS8_S9_N2at6native12_GLOBAL__N_18offset_tEEE10hipError_tPvRmT1_PNSt15iterator_traitsISH_E10value_typeET2_T3_PNSI_ISN_E10value_typeET4_jRbjT5_ST_jjP12ihipStream_tbEUlT_E_NS1_11comp_targetILNS1_3genE4ELNS1_11target_archE910ELNS1_3gpuE8ELNS1_3repE0EEENS1_30default_config_static_selectorELNS0_4arch9wavefront6targetE0EEEvSH_,"axG",@progbits,_ZN7rocprim17ROCPRIM_400000_NS6detail17trampoline_kernelINS0_14default_configENS1_36segmented_radix_sort_config_selectorIllEEZNS1_25segmented_radix_sort_implIS3_Lb1EPKlPlS8_S9_N2at6native12_GLOBAL__N_18offset_tEEE10hipError_tPvRmT1_PNSt15iterator_traitsISH_E10value_typeET2_T3_PNSI_ISN_E10value_typeET4_jRbjT5_ST_jjP12ihipStream_tbEUlT_E_NS1_11comp_targetILNS1_3genE4ELNS1_11target_archE910ELNS1_3gpuE8ELNS1_3repE0EEENS1_30default_config_static_selectorELNS0_4arch9wavefront6targetE0EEEvSH_,comdat
.Lfunc_end706:
	.size	_ZN7rocprim17ROCPRIM_400000_NS6detail17trampoline_kernelINS0_14default_configENS1_36segmented_radix_sort_config_selectorIllEEZNS1_25segmented_radix_sort_implIS3_Lb1EPKlPlS8_S9_N2at6native12_GLOBAL__N_18offset_tEEE10hipError_tPvRmT1_PNSt15iterator_traitsISH_E10value_typeET2_T3_PNSI_ISN_E10value_typeET4_jRbjT5_ST_jjP12ihipStream_tbEUlT_E_NS1_11comp_targetILNS1_3genE4ELNS1_11target_archE910ELNS1_3gpuE8ELNS1_3repE0EEENS1_30default_config_static_selectorELNS0_4arch9wavefront6targetE0EEEvSH_, .Lfunc_end706-_ZN7rocprim17ROCPRIM_400000_NS6detail17trampoline_kernelINS0_14default_configENS1_36segmented_radix_sort_config_selectorIllEEZNS1_25segmented_radix_sort_implIS3_Lb1EPKlPlS8_S9_N2at6native12_GLOBAL__N_18offset_tEEE10hipError_tPvRmT1_PNSt15iterator_traitsISH_E10value_typeET2_T3_PNSI_ISN_E10value_typeET4_jRbjT5_ST_jjP12ihipStream_tbEUlT_E_NS1_11comp_targetILNS1_3genE4ELNS1_11target_archE910ELNS1_3gpuE8ELNS1_3repE0EEENS1_30default_config_static_selectorELNS0_4arch9wavefront6targetE0EEEvSH_
                                        ; -- End function
	.section	.AMDGPU.csdata,"",@progbits
; Kernel info:
; codeLenInByte = 0
; NumSgprs: 0
; NumVgprs: 0
; ScratchSize: 0
; MemoryBound: 0
; FloatMode: 240
; IeeeMode: 1
; LDSByteSize: 0 bytes/workgroup (compile time only)
; SGPRBlocks: 0
; VGPRBlocks: 0
; NumSGPRsForWavesPerEU: 1
; NumVGPRsForWavesPerEU: 1
; Occupancy: 16
; WaveLimiterHint : 0
; COMPUTE_PGM_RSRC2:SCRATCH_EN: 0
; COMPUTE_PGM_RSRC2:USER_SGPR: 15
; COMPUTE_PGM_RSRC2:TRAP_HANDLER: 0
; COMPUTE_PGM_RSRC2:TGID_X_EN: 1
; COMPUTE_PGM_RSRC2:TGID_Y_EN: 0
; COMPUTE_PGM_RSRC2:TGID_Z_EN: 0
; COMPUTE_PGM_RSRC2:TIDIG_COMP_CNT: 0
	.section	.text._ZN7rocprim17ROCPRIM_400000_NS6detail17trampoline_kernelINS0_14default_configENS1_36segmented_radix_sort_config_selectorIllEEZNS1_25segmented_radix_sort_implIS3_Lb1EPKlPlS8_S9_N2at6native12_GLOBAL__N_18offset_tEEE10hipError_tPvRmT1_PNSt15iterator_traitsISH_E10value_typeET2_T3_PNSI_ISN_E10value_typeET4_jRbjT5_ST_jjP12ihipStream_tbEUlT_E_NS1_11comp_targetILNS1_3genE3ELNS1_11target_archE908ELNS1_3gpuE7ELNS1_3repE0EEENS1_30default_config_static_selectorELNS0_4arch9wavefront6targetE0EEEvSH_,"axG",@progbits,_ZN7rocprim17ROCPRIM_400000_NS6detail17trampoline_kernelINS0_14default_configENS1_36segmented_radix_sort_config_selectorIllEEZNS1_25segmented_radix_sort_implIS3_Lb1EPKlPlS8_S9_N2at6native12_GLOBAL__N_18offset_tEEE10hipError_tPvRmT1_PNSt15iterator_traitsISH_E10value_typeET2_T3_PNSI_ISN_E10value_typeET4_jRbjT5_ST_jjP12ihipStream_tbEUlT_E_NS1_11comp_targetILNS1_3genE3ELNS1_11target_archE908ELNS1_3gpuE7ELNS1_3repE0EEENS1_30default_config_static_selectorELNS0_4arch9wavefront6targetE0EEEvSH_,comdat
	.globl	_ZN7rocprim17ROCPRIM_400000_NS6detail17trampoline_kernelINS0_14default_configENS1_36segmented_radix_sort_config_selectorIllEEZNS1_25segmented_radix_sort_implIS3_Lb1EPKlPlS8_S9_N2at6native12_GLOBAL__N_18offset_tEEE10hipError_tPvRmT1_PNSt15iterator_traitsISH_E10value_typeET2_T3_PNSI_ISN_E10value_typeET4_jRbjT5_ST_jjP12ihipStream_tbEUlT_E_NS1_11comp_targetILNS1_3genE3ELNS1_11target_archE908ELNS1_3gpuE7ELNS1_3repE0EEENS1_30default_config_static_selectorELNS0_4arch9wavefront6targetE0EEEvSH_ ; -- Begin function _ZN7rocprim17ROCPRIM_400000_NS6detail17trampoline_kernelINS0_14default_configENS1_36segmented_radix_sort_config_selectorIllEEZNS1_25segmented_radix_sort_implIS3_Lb1EPKlPlS8_S9_N2at6native12_GLOBAL__N_18offset_tEEE10hipError_tPvRmT1_PNSt15iterator_traitsISH_E10value_typeET2_T3_PNSI_ISN_E10value_typeET4_jRbjT5_ST_jjP12ihipStream_tbEUlT_E_NS1_11comp_targetILNS1_3genE3ELNS1_11target_archE908ELNS1_3gpuE7ELNS1_3repE0EEENS1_30default_config_static_selectorELNS0_4arch9wavefront6targetE0EEEvSH_
	.p2align	8
	.type	_ZN7rocprim17ROCPRIM_400000_NS6detail17trampoline_kernelINS0_14default_configENS1_36segmented_radix_sort_config_selectorIllEEZNS1_25segmented_radix_sort_implIS3_Lb1EPKlPlS8_S9_N2at6native12_GLOBAL__N_18offset_tEEE10hipError_tPvRmT1_PNSt15iterator_traitsISH_E10value_typeET2_T3_PNSI_ISN_E10value_typeET4_jRbjT5_ST_jjP12ihipStream_tbEUlT_E_NS1_11comp_targetILNS1_3genE3ELNS1_11target_archE908ELNS1_3gpuE7ELNS1_3repE0EEENS1_30default_config_static_selectorELNS0_4arch9wavefront6targetE0EEEvSH_,@function
_ZN7rocprim17ROCPRIM_400000_NS6detail17trampoline_kernelINS0_14default_configENS1_36segmented_radix_sort_config_selectorIllEEZNS1_25segmented_radix_sort_implIS3_Lb1EPKlPlS8_S9_N2at6native12_GLOBAL__N_18offset_tEEE10hipError_tPvRmT1_PNSt15iterator_traitsISH_E10value_typeET2_T3_PNSI_ISN_E10value_typeET4_jRbjT5_ST_jjP12ihipStream_tbEUlT_E_NS1_11comp_targetILNS1_3genE3ELNS1_11target_archE908ELNS1_3gpuE7ELNS1_3repE0EEENS1_30default_config_static_selectorELNS0_4arch9wavefront6targetE0EEEvSH_: ; @_ZN7rocprim17ROCPRIM_400000_NS6detail17trampoline_kernelINS0_14default_configENS1_36segmented_radix_sort_config_selectorIllEEZNS1_25segmented_radix_sort_implIS3_Lb1EPKlPlS8_S9_N2at6native12_GLOBAL__N_18offset_tEEE10hipError_tPvRmT1_PNSt15iterator_traitsISH_E10value_typeET2_T3_PNSI_ISN_E10value_typeET4_jRbjT5_ST_jjP12ihipStream_tbEUlT_E_NS1_11comp_targetILNS1_3genE3ELNS1_11target_archE908ELNS1_3gpuE7ELNS1_3repE0EEENS1_30default_config_static_selectorELNS0_4arch9wavefront6targetE0EEEvSH_
; %bb.0:
	.section	.rodata,"a",@progbits
	.p2align	6, 0x0
	.amdhsa_kernel _ZN7rocprim17ROCPRIM_400000_NS6detail17trampoline_kernelINS0_14default_configENS1_36segmented_radix_sort_config_selectorIllEEZNS1_25segmented_radix_sort_implIS3_Lb1EPKlPlS8_S9_N2at6native12_GLOBAL__N_18offset_tEEE10hipError_tPvRmT1_PNSt15iterator_traitsISH_E10value_typeET2_T3_PNSI_ISN_E10value_typeET4_jRbjT5_ST_jjP12ihipStream_tbEUlT_E_NS1_11comp_targetILNS1_3genE3ELNS1_11target_archE908ELNS1_3gpuE7ELNS1_3repE0EEENS1_30default_config_static_selectorELNS0_4arch9wavefront6targetE0EEEvSH_
		.amdhsa_group_segment_fixed_size 0
		.amdhsa_private_segment_fixed_size 0
		.amdhsa_kernarg_size 96
		.amdhsa_user_sgpr_count 15
		.amdhsa_user_sgpr_dispatch_ptr 0
		.amdhsa_user_sgpr_queue_ptr 0
		.amdhsa_user_sgpr_kernarg_segment_ptr 1
		.amdhsa_user_sgpr_dispatch_id 0
		.amdhsa_user_sgpr_private_segment_size 0
		.amdhsa_wavefront_size32 1
		.amdhsa_uses_dynamic_stack 0
		.amdhsa_enable_private_segment 0
		.amdhsa_system_sgpr_workgroup_id_x 1
		.amdhsa_system_sgpr_workgroup_id_y 0
		.amdhsa_system_sgpr_workgroup_id_z 0
		.amdhsa_system_sgpr_workgroup_info 0
		.amdhsa_system_vgpr_workitem_id 0
		.amdhsa_next_free_vgpr 1
		.amdhsa_next_free_sgpr 1
		.amdhsa_reserve_vcc 0
		.amdhsa_float_round_mode_32 0
		.amdhsa_float_round_mode_16_64 0
		.amdhsa_float_denorm_mode_32 3
		.amdhsa_float_denorm_mode_16_64 3
		.amdhsa_dx10_clamp 1
		.amdhsa_ieee_mode 1
		.amdhsa_fp16_overflow 0
		.amdhsa_workgroup_processor_mode 1
		.amdhsa_memory_ordered 1
		.amdhsa_forward_progress 0
		.amdhsa_shared_vgpr_count 0
		.amdhsa_exception_fp_ieee_invalid_op 0
		.amdhsa_exception_fp_denorm_src 0
		.amdhsa_exception_fp_ieee_div_zero 0
		.amdhsa_exception_fp_ieee_overflow 0
		.amdhsa_exception_fp_ieee_underflow 0
		.amdhsa_exception_fp_ieee_inexact 0
		.amdhsa_exception_int_div_zero 0
	.end_amdhsa_kernel
	.section	.text._ZN7rocprim17ROCPRIM_400000_NS6detail17trampoline_kernelINS0_14default_configENS1_36segmented_radix_sort_config_selectorIllEEZNS1_25segmented_radix_sort_implIS3_Lb1EPKlPlS8_S9_N2at6native12_GLOBAL__N_18offset_tEEE10hipError_tPvRmT1_PNSt15iterator_traitsISH_E10value_typeET2_T3_PNSI_ISN_E10value_typeET4_jRbjT5_ST_jjP12ihipStream_tbEUlT_E_NS1_11comp_targetILNS1_3genE3ELNS1_11target_archE908ELNS1_3gpuE7ELNS1_3repE0EEENS1_30default_config_static_selectorELNS0_4arch9wavefront6targetE0EEEvSH_,"axG",@progbits,_ZN7rocprim17ROCPRIM_400000_NS6detail17trampoline_kernelINS0_14default_configENS1_36segmented_radix_sort_config_selectorIllEEZNS1_25segmented_radix_sort_implIS3_Lb1EPKlPlS8_S9_N2at6native12_GLOBAL__N_18offset_tEEE10hipError_tPvRmT1_PNSt15iterator_traitsISH_E10value_typeET2_T3_PNSI_ISN_E10value_typeET4_jRbjT5_ST_jjP12ihipStream_tbEUlT_E_NS1_11comp_targetILNS1_3genE3ELNS1_11target_archE908ELNS1_3gpuE7ELNS1_3repE0EEENS1_30default_config_static_selectorELNS0_4arch9wavefront6targetE0EEEvSH_,comdat
.Lfunc_end707:
	.size	_ZN7rocprim17ROCPRIM_400000_NS6detail17trampoline_kernelINS0_14default_configENS1_36segmented_radix_sort_config_selectorIllEEZNS1_25segmented_radix_sort_implIS3_Lb1EPKlPlS8_S9_N2at6native12_GLOBAL__N_18offset_tEEE10hipError_tPvRmT1_PNSt15iterator_traitsISH_E10value_typeET2_T3_PNSI_ISN_E10value_typeET4_jRbjT5_ST_jjP12ihipStream_tbEUlT_E_NS1_11comp_targetILNS1_3genE3ELNS1_11target_archE908ELNS1_3gpuE7ELNS1_3repE0EEENS1_30default_config_static_selectorELNS0_4arch9wavefront6targetE0EEEvSH_, .Lfunc_end707-_ZN7rocprim17ROCPRIM_400000_NS6detail17trampoline_kernelINS0_14default_configENS1_36segmented_radix_sort_config_selectorIllEEZNS1_25segmented_radix_sort_implIS3_Lb1EPKlPlS8_S9_N2at6native12_GLOBAL__N_18offset_tEEE10hipError_tPvRmT1_PNSt15iterator_traitsISH_E10value_typeET2_T3_PNSI_ISN_E10value_typeET4_jRbjT5_ST_jjP12ihipStream_tbEUlT_E_NS1_11comp_targetILNS1_3genE3ELNS1_11target_archE908ELNS1_3gpuE7ELNS1_3repE0EEENS1_30default_config_static_selectorELNS0_4arch9wavefront6targetE0EEEvSH_
                                        ; -- End function
	.section	.AMDGPU.csdata,"",@progbits
; Kernel info:
; codeLenInByte = 0
; NumSgprs: 0
; NumVgprs: 0
; ScratchSize: 0
; MemoryBound: 0
; FloatMode: 240
; IeeeMode: 1
; LDSByteSize: 0 bytes/workgroup (compile time only)
; SGPRBlocks: 0
; VGPRBlocks: 0
; NumSGPRsForWavesPerEU: 1
; NumVGPRsForWavesPerEU: 1
; Occupancy: 16
; WaveLimiterHint : 0
; COMPUTE_PGM_RSRC2:SCRATCH_EN: 0
; COMPUTE_PGM_RSRC2:USER_SGPR: 15
; COMPUTE_PGM_RSRC2:TRAP_HANDLER: 0
; COMPUTE_PGM_RSRC2:TGID_X_EN: 1
; COMPUTE_PGM_RSRC2:TGID_Y_EN: 0
; COMPUTE_PGM_RSRC2:TGID_Z_EN: 0
; COMPUTE_PGM_RSRC2:TIDIG_COMP_CNT: 0
	.section	.text._ZN7rocprim17ROCPRIM_400000_NS6detail17trampoline_kernelINS0_14default_configENS1_36segmented_radix_sort_config_selectorIllEEZNS1_25segmented_radix_sort_implIS3_Lb1EPKlPlS8_S9_N2at6native12_GLOBAL__N_18offset_tEEE10hipError_tPvRmT1_PNSt15iterator_traitsISH_E10value_typeET2_T3_PNSI_ISN_E10value_typeET4_jRbjT5_ST_jjP12ihipStream_tbEUlT_E_NS1_11comp_targetILNS1_3genE2ELNS1_11target_archE906ELNS1_3gpuE6ELNS1_3repE0EEENS1_30default_config_static_selectorELNS0_4arch9wavefront6targetE0EEEvSH_,"axG",@progbits,_ZN7rocprim17ROCPRIM_400000_NS6detail17trampoline_kernelINS0_14default_configENS1_36segmented_radix_sort_config_selectorIllEEZNS1_25segmented_radix_sort_implIS3_Lb1EPKlPlS8_S9_N2at6native12_GLOBAL__N_18offset_tEEE10hipError_tPvRmT1_PNSt15iterator_traitsISH_E10value_typeET2_T3_PNSI_ISN_E10value_typeET4_jRbjT5_ST_jjP12ihipStream_tbEUlT_E_NS1_11comp_targetILNS1_3genE2ELNS1_11target_archE906ELNS1_3gpuE6ELNS1_3repE0EEENS1_30default_config_static_selectorELNS0_4arch9wavefront6targetE0EEEvSH_,comdat
	.globl	_ZN7rocprim17ROCPRIM_400000_NS6detail17trampoline_kernelINS0_14default_configENS1_36segmented_radix_sort_config_selectorIllEEZNS1_25segmented_radix_sort_implIS3_Lb1EPKlPlS8_S9_N2at6native12_GLOBAL__N_18offset_tEEE10hipError_tPvRmT1_PNSt15iterator_traitsISH_E10value_typeET2_T3_PNSI_ISN_E10value_typeET4_jRbjT5_ST_jjP12ihipStream_tbEUlT_E_NS1_11comp_targetILNS1_3genE2ELNS1_11target_archE906ELNS1_3gpuE6ELNS1_3repE0EEENS1_30default_config_static_selectorELNS0_4arch9wavefront6targetE0EEEvSH_ ; -- Begin function _ZN7rocprim17ROCPRIM_400000_NS6detail17trampoline_kernelINS0_14default_configENS1_36segmented_radix_sort_config_selectorIllEEZNS1_25segmented_radix_sort_implIS3_Lb1EPKlPlS8_S9_N2at6native12_GLOBAL__N_18offset_tEEE10hipError_tPvRmT1_PNSt15iterator_traitsISH_E10value_typeET2_T3_PNSI_ISN_E10value_typeET4_jRbjT5_ST_jjP12ihipStream_tbEUlT_E_NS1_11comp_targetILNS1_3genE2ELNS1_11target_archE906ELNS1_3gpuE6ELNS1_3repE0EEENS1_30default_config_static_selectorELNS0_4arch9wavefront6targetE0EEEvSH_
	.p2align	8
	.type	_ZN7rocprim17ROCPRIM_400000_NS6detail17trampoline_kernelINS0_14default_configENS1_36segmented_radix_sort_config_selectorIllEEZNS1_25segmented_radix_sort_implIS3_Lb1EPKlPlS8_S9_N2at6native12_GLOBAL__N_18offset_tEEE10hipError_tPvRmT1_PNSt15iterator_traitsISH_E10value_typeET2_T3_PNSI_ISN_E10value_typeET4_jRbjT5_ST_jjP12ihipStream_tbEUlT_E_NS1_11comp_targetILNS1_3genE2ELNS1_11target_archE906ELNS1_3gpuE6ELNS1_3repE0EEENS1_30default_config_static_selectorELNS0_4arch9wavefront6targetE0EEEvSH_,@function
_ZN7rocprim17ROCPRIM_400000_NS6detail17trampoline_kernelINS0_14default_configENS1_36segmented_radix_sort_config_selectorIllEEZNS1_25segmented_radix_sort_implIS3_Lb1EPKlPlS8_S9_N2at6native12_GLOBAL__N_18offset_tEEE10hipError_tPvRmT1_PNSt15iterator_traitsISH_E10value_typeET2_T3_PNSI_ISN_E10value_typeET4_jRbjT5_ST_jjP12ihipStream_tbEUlT_E_NS1_11comp_targetILNS1_3genE2ELNS1_11target_archE906ELNS1_3gpuE6ELNS1_3repE0EEENS1_30default_config_static_selectorELNS0_4arch9wavefront6targetE0EEEvSH_: ; @_ZN7rocprim17ROCPRIM_400000_NS6detail17trampoline_kernelINS0_14default_configENS1_36segmented_radix_sort_config_selectorIllEEZNS1_25segmented_radix_sort_implIS3_Lb1EPKlPlS8_S9_N2at6native12_GLOBAL__N_18offset_tEEE10hipError_tPvRmT1_PNSt15iterator_traitsISH_E10value_typeET2_T3_PNSI_ISN_E10value_typeET4_jRbjT5_ST_jjP12ihipStream_tbEUlT_E_NS1_11comp_targetILNS1_3genE2ELNS1_11target_archE906ELNS1_3gpuE6ELNS1_3repE0EEENS1_30default_config_static_selectorELNS0_4arch9wavefront6targetE0EEEvSH_
; %bb.0:
	.section	.rodata,"a",@progbits
	.p2align	6, 0x0
	.amdhsa_kernel _ZN7rocprim17ROCPRIM_400000_NS6detail17trampoline_kernelINS0_14default_configENS1_36segmented_radix_sort_config_selectorIllEEZNS1_25segmented_radix_sort_implIS3_Lb1EPKlPlS8_S9_N2at6native12_GLOBAL__N_18offset_tEEE10hipError_tPvRmT1_PNSt15iterator_traitsISH_E10value_typeET2_T3_PNSI_ISN_E10value_typeET4_jRbjT5_ST_jjP12ihipStream_tbEUlT_E_NS1_11comp_targetILNS1_3genE2ELNS1_11target_archE906ELNS1_3gpuE6ELNS1_3repE0EEENS1_30default_config_static_selectorELNS0_4arch9wavefront6targetE0EEEvSH_
		.amdhsa_group_segment_fixed_size 0
		.amdhsa_private_segment_fixed_size 0
		.amdhsa_kernarg_size 96
		.amdhsa_user_sgpr_count 15
		.amdhsa_user_sgpr_dispatch_ptr 0
		.amdhsa_user_sgpr_queue_ptr 0
		.amdhsa_user_sgpr_kernarg_segment_ptr 1
		.amdhsa_user_sgpr_dispatch_id 0
		.amdhsa_user_sgpr_private_segment_size 0
		.amdhsa_wavefront_size32 1
		.amdhsa_uses_dynamic_stack 0
		.amdhsa_enable_private_segment 0
		.amdhsa_system_sgpr_workgroup_id_x 1
		.amdhsa_system_sgpr_workgroup_id_y 0
		.amdhsa_system_sgpr_workgroup_id_z 0
		.amdhsa_system_sgpr_workgroup_info 0
		.amdhsa_system_vgpr_workitem_id 0
		.amdhsa_next_free_vgpr 1
		.amdhsa_next_free_sgpr 1
		.amdhsa_reserve_vcc 0
		.amdhsa_float_round_mode_32 0
		.amdhsa_float_round_mode_16_64 0
		.amdhsa_float_denorm_mode_32 3
		.amdhsa_float_denorm_mode_16_64 3
		.amdhsa_dx10_clamp 1
		.amdhsa_ieee_mode 1
		.amdhsa_fp16_overflow 0
		.amdhsa_workgroup_processor_mode 1
		.amdhsa_memory_ordered 1
		.amdhsa_forward_progress 0
		.amdhsa_shared_vgpr_count 0
		.amdhsa_exception_fp_ieee_invalid_op 0
		.amdhsa_exception_fp_denorm_src 0
		.amdhsa_exception_fp_ieee_div_zero 0
		.amdhsa_exception_fp_ieee_overflow 0
		.amdhsa_exception_fp_ieee_underflow 0
		.amdhsa_exception_fp_ieee_inexact 0
		.amdhsa_exception_int_div_zero 0
	.end_amdhsa_kernel
	.section	.text._ZN7rocprim17ROCPRIM_400000_NS6detail17trampoline_kernelINS0_14default_configENS1_36segmented_radix_sort_config_selectorIllEEZNS1_25segmented_radix_sort_implIS3_Lb1EPKlPlS8_S9_N2at6native12_GLOBAL__N_18offset_tEEE10hipError_tPvRmT1_PNSt15iterator_traitsISH_E10value_typeET2_T3_PNSI_ISN_E10value_typeET4_jRbjT5_ST_jjP12ihipStream_tbEUlT_E_NS1_11comp_targetILNS1_3genE2ELNS1_11target_archE906ELNS1_3gpuE6ELNS1_3repE0EEENS1_30default_config_static_selectorELNS0_4arch9wavefront6targetE0EEEvSH_,"axG",@progbits,_ZN7rocprim17ROCPRIM_400000_NS6detail17trampoline_kernelINS0_14default_configENS1_36segmented_radix_sort_config_selectorIllEEZNS1_25segmented_radix_sort_implIS3_Lb1EPKlPlS8_S9_N2at6native12_GLOBAL__N_18offset_tEEE10hipError_tPvRmT1_PNSt15iterator_traitsISH_E10value_typeET2_T3_PNSI_ISN_E10value_typeET4_jRbjT5_ST_jjP12ihipStream_tbEUlT_E_NS1_11comp_targetILNS1_3genE2ELNS1_11target_archE906ELNS1_3gpuE6ELNS1_3repE0EEENS1_30default_config_static_selectorELNS0_4arch9wavefront6targetE0EEEvSH_,comdat
.Lfunc_end708:
	.size	_ZN7rocprim17ROCPRIM_400000_NS6detail17trampoline_kernelINS0_14default_configENS1_36segmented_radix_sort_config_selectorIllEEZNS1_25segmented_radix_sort_implIS3_Lb1EPKlPlS8_S9_N2at6native12_GLOBAL__N_18offset_tEEE10hipError_tPvRmT1_PNSt15iterator_traitsISH_E10value_typeET2_T3_PNSI_ISN_E10value_typeET4_jRbjT5_ST_jjP12ihipStream_tbEUlT_E_NS1_11comp_targetILNS1_3genE2ELNS1_11target_archE906ELNS1_3gpuE6ELNS1_3repE0EEENS1_30default_config_static_selectorELNS0_4arch9wavefront6targetE0EEEvSH_, .Lfunc_end708-_ZN7rocprim17ROCPRIM_400000_NS6detail17trampoline_kernelINS0_14default_configENS1_36segmented_radix_sort_config_selectorIllEEZNS1_25segmented_radix_sort_implIS3_Lb1EPKlPlS8_S9_N2at6native12_GLOBAL__N_18offset_tEEE10hipError_tPvRmT1_PNSt15iterator_traitsISH_E10value_typeET2_T3_PNSI_ISN_E10value_typeET4_jRbjT5_ST_jjP12ihipStream_tbEUlT_E_NS1_11comp_targetILNS1_3genE2ELNS1_11target_archE906ELNS1_3gpuE6ELNS1_3repE0EEENS1_30default_config_static_selectorELNS0_4arch9wavefront6targetE0EEEvSH_
                                        ; -- End function
	.section	.AMDGPU.csdata,"",@progbits
; Kernel info:
; codeLenInByte = 0
; NumSgprs: 0
; NumVgprs: 0
; ScratchSize: 0
; MemoryBound: 0
; FloatMode: 240
; IeeeMode: 1
; LDSByteSize: 0 bytes/workgroup (compile time only)
; SGPRBlocks: 0
; VGPRBlocks: 0
; NumSGPRsForWavesPerEU: 1
; NumVGPRsForWavesPerEU: 1
; Occupancy: 16
; WaveLimiterHint : 0
; COMPUTE_PGM_RSRC2:SCRATCH_EN: 0
; COMPUTE_PGM_RSRC2:USER_SGPR: 15
; COMPUTE_PGM_RSRC2:TRAP_HANDLER: 0
; COMPUTE_PGM_RSRC2:TGID_X_EN: 1
; COMPUTE_PGM_RSRC2:TGID_Y_EN: 0
; COMPUTE_PGM_RSRC2:TGID_Z_EN: 0
; COMPUTE_PGM_RSRC2:TIDIG_COMP_CNT: 0
	.section	.text._ZN7rocprim17ROCPRIM_400000_NS6detail17trampoline_kernelINS0_14default_configENS1_36segmented_radix_sort_config_selectorIllEEZNS1_25segmented_radix_sort_implIS3_Lb1EPKlPlS8_S9_N2at6native12_GLOBAL__N_18offset_tEEE10hipError_tPvRmT1_PNSt15iterator_traitsISH_E10value_typeET2_T3_PNSI_ISN_E10value_typeET4_jRbjT5_ST_jjP12ihipStream_tbEUlT_E_NS1_11comp_targetILNS1_3genE10ELNS1_11target_archE1201ELNS1_3gpuE5ELNS1_3repE0EEENS1_30default_config_static_selectorELNS0_4arch9wavefront6targetE0EEEvSH_,"axG",@progbits,_ZN7rocprim17ROCPRIM_400000_NS6detail17trampoline_kernelINS0_14default_configENS1_36segmented_radix_sort_config_selectorIllEEZNS1_25segmented_radix_sort_implIS3_Lb1EPKlPlS8_S9_N2at6native12_GLOBAL__N_18offset_tEEE10hipError_tPvRmT1_PNSt15iterator_traitsISH_E10value_typeET2_T3_PNSI_ISN_E10value_typeET4_jRbjT5_ST_jjP12ihipStream_tbEUlT_E_NS1_11comp_targetILNS1_3genE10ELNS1_11target_archE1201ELNS1_3gpuE5ELNS1_3repE0EEENS1_30default_config_static_selectorELNS0_4arch9wavefront6targetE0EEEvSH_,comdat
	.globl	_ZN7rocprim17ROCPRIM_400000_NS6detail17trampoline_kernelINS0_14default_configENS1_36segmented_radix_sort_config_selectorIllEEZNS1_25segmented_radix_sort_implIS3_Lb1EPKlPlS8_S9_N2at6native12_GLOBAL__N_18offset_tEEE10hipError_tPvRmT1_PNSt15iterator_traitsISH_E10value_typeET2_T3_PNSI_ISN_E10value_typeET4_jRbjT5_ST_jjP12ihipStream_tbEUlT_E_NS1_11comp_targetILNS1_3genE10ELNS1_11target_archE1201ELNS1_3gpuE5ELNS1_3repE0EEENS1_30default_config_static_selectorELNS0_4arch9wavefront6targetE0EEEvSH_ ; -- Begin function _ZN7rocprim17ROCPRIM_400000_NS6detail17trampoline_kernelINS0_14default_configENS1_36segmented_radix_sort_config_selectorIllEEZNS1_25segmented_radix_sort_implIS3_Lb1EPKlPlS8_S9_N2at6native12_GLOBAL__N_18offset_tEEE10hipError_tPvRmT1_PNSt15iterator_traitsISH_E10value_typeET2_T3_PNSI_ISN_E10value_typeET4_jRbjT5_ST_jjP12ihipStream_tbEUlT_E_NS1_11comp_targetILNS1_3genE10ELNS1_11target_archE1201ELNS1_3gpuE5ELNS1_3repE0EEENS1_30default_config_static_selectorELNS0_4arch9wavefront6targetE0EEEvSH_
	.p2align	8
	.type	_ZN7rocprim17ROCPRIM_400000_NS6detail17trampoline_kernelINS0_14default_configENS1_36segmented_radix_sort_config_selectorIllEEZNS1_25segmented_radix_sort_implIS3_Lb1EPKlPlS8_S9_N2at6native12_GLOBAL__N_18offset_tEEE10hipError_tPvRmT1_PNSt15iterator_traitsISH_E10value_typeET2_T3_PNSI_ISN_E10value_typeET4_jRbjT5_ST_jjP12ihipStream_tbEUlT_E_NS1_11comp_targetILNS1_3genE10ELNS1_11target_archE1201ELNS1_3gpuE5ELNS1_3repE0EEENS1_30default_config_static_selectorELNS0_4arch9wavefront6targetE0EEEvSH_,@function
_ZN7rocprim17ROCPRIM_400000_NS6detail17trampoline_kernelINS0_14default_configENS1_36segmented_radix_sort_config_selectorIllEEZNS1_25segmented_radix_sort_implIS3_Lb1EPKlPlS8_S9_N2at6native12_GLOBAL__N_18offset_tEEE10hipError_tPvRmT1_PNSt15iterator_traitsISH_E10value_typeET2_T3_PNSI_ISN_E10value_typeET4_jRbjT5_ST_jjP12ihipStream_tbEUlT_E_NS1_11comp_targetILNS1_3genE10ELNS1_11target_archE1201ELNS1_3gpuE5ELNS1_3repE0EEENS1_30default_config_static_selectorELNS0_4arch9wavefront6targetE0EEEvSH_: ; @_ZN7rocprim17ROCPRIM_400000_NS6detail17trampoline_kernelINS0_14default_configENS1_36segmented_radix_sort_config_selectorIllEEZNS1_25segmented_radix_sort_implIS3_Lb1EPKlPlS8_S9_N2at6native12_GLOBAL__N_18offset_tEEE10hipError_tPvRmT1_PNSt15iterator_traitsISH_E10value_typeET2_T3_PNSI_ISN_E10value_typeET4_jRbjT5_ST_jjP12ihipStream_tbEUlT_E_NS1_11comp_targetILNS1_3genE10ELNS1_11target_archE1201ELNS1_3gpuE5ELNS1_3repE0EEENS1_30default_config_static_selectorELNS0_4arch9wavefront6targetE0EEEvSH_
; %bb.0:
	.section	.rodata,"a",@progbits
	.p2align	6, 0x0
	.amdhsa_kernel _ZN7rocprim17ROCPRIM_400000_NS6detail17trampoline_kernelINS0_14default_configENS1_36segmented_radix_sort_config_selectorIllEEZNS1_25segmented_radix_sort_implIS3_Lb1EPKlPlS8_S9_N2at6native12_GLOBAL__N_18offset_tEEE10hipError_tPvRmT1_PNSt15iterator_traitsISH_E10value_typeET2_T3_PNSI_ISN_E10value_typeET4_jRbjT5_ST_jjP12ihipStream_tbEUlT_E_NS1_11comp_targetILNS1_3genE10ELNS1_11target_archE1201ELNS1_3gpuE5ELNS1_3repE0EEENS1_30default_config_static_selectorELNS0_4arch9wavefront6targetE0EEEvSH_
		.amdhsa_group_segment_fixed_size 0
		.amdhsa_private_segment_fixed_size 0
		.amdhsa_kernarg_size 96
		.amdhsa_user_sgpr_count 15
		.amdhsa_user_sgpr_dispatch_ptr 0
		.amdhsa_user_sgpr_queue_ptr 0
		.amdhsa_user_sgpr_kernarg_segment_ptr 1
		.amdhsa_user_sgpr_dispatch_id 0
		.amdhsa_user_sgpr_private_segment_size 0
		.amdhsa_wavefront_size32 1
		.amdhsa_uses_dynamic_stack 0
		.amdhsa_enable_private_segment 0
		.amdhsa_system_sgpr_workgroup_id_x 1
		.amdhsa_system_sgpr_workgroup_id_y 0
		.amdhsa_system_sgpr_workgroup_id_z 0
		.amdhsa_system_sgpr_workgroup_info 0
		.amdhsa_system_vgpr_workitem_id 0
		.amdhsa_next_free_vgpr 1
		.amdhsa_next_free_sgpr 1
		.amdhsa_reserve_vcc 0
		.amdhsa_float_round_mode_32 0
		.amdhsa_float_round_mode_16_64 0
		.amdhsa_float_denorm_mode_32 3
		.amdhsa_float_denorm_mode_16_64 3
		.amdhsa_dx10_clamp 1
		.amdhsa_ieee_mode 1
		.amdhsa_fp16_overflow 0
		.amdhsa_workgroup_processor_mode 1
		.amdhsa_memory_ordered 1
		.amdhsa_forward_progress 0
		.amdhsa_shared_vgpr_count 0
		.amdhsa_exception_fp_ieee_invalid_op 0
		.amdhsa_exception_fp_denorm_src 0
		.amdhsa_exception_fp_ieee_div_zero 0
		.amdhsa_exception_fp_ieee_overflow 0
		.amdhsa_exception_fp_ieee_underflow 0
		.amdhsa_exception_fp_ieee_inexact 0
		.amdhsa_exception_int_div_zero 0
	.end_amdhsa_kernel
	.section	.text._ZN7rocprim17ROCPRIM_400000_NS6detail17trampoline_kernelINS0_14default_configENS1_36segmented_radix_sort_config_selectorIllEEZNS1_25segmented_radix_sort_implIS3_Lb1EPKlPlS8_S9_N2at6native12_GLOBAL__N_18offset_tEEE10hipError_tPvRmT1_PNSt15iterator_traitsISH_E10value_typeET2_T3_PNSI_ISN_E10value_typeET4_jRbjT5_ST_jjP12ihipStream_tbEUlT_E_NS1_11comp_targetILNS1_3genE10ELNS1_11target_archE1201ELNS1_3gpuE5ELNS1_3repE0EEENS1_30default_config_static_selectorELNS0_4arch9wavefront6targetE0EEEvSH_,"axG",@progbits,_ZN7rocprim17ROCPRIM_400000_NS6detail17trampoline_kernelINS0_14default_configENS1_36segmented_radix_sort_config_selectorIllEEZNS1_25segmented_radix_sort_implIS3_Lb1EPKlPlS8_S9_N2at6native12_GLOBAL__N_18offset_tEEE10hipError_tPvRmT1_PNSt15iterator_traitsISH_E10value_typeET2_T3_PNSI_ISN_E10value_typeET4_jRbjT5_ST_jjP12ihipStream_tbEUlT_E_NS1_11comp_targetILNS1_3genE10ELNS1_11target_archE1201ELNS1_3gpuE5ELNS1_3repE0EEENS1_30default_config_static_selectorELNS0_4arch9wavefront6targetE0EEEvSH_,comdat
.Lfunc_end709:
	.size	_ZN7rocprim17ROCPRIM_400000_NS6detail17trampoline_kernelINS0_14default_configENS1_36segmented_radix_sort_config_selectorIllEEZNS1_25segmented_radix_sort_implIS3_Lb1EPKlPlS8_S9_N2at6native12_GLOBAL__N_18offset_tEEE10hipError_tPvRmT1_PNSt15iterator_traitsISH_E10value_typeET2_T3_PNSI_ISN_E10value_typeET4_jRbjT5_ST_jjP12ihipStream_tbEUlT_E_NS1_11comp_targetILNS1_3genE10ELNS1_11target_archE1201ELNS1_3gpuE5ELNS1_3repE0EEENS1_30default_config_static_selectorELNS0_4arch9wavefront6targetE0EEEvSH_, .Lfunc_end709-_ZN7rocprim17ROCPRIM_400000_NS6detail17trampoline_kernelINS0_14default_configENS1_36segmented_radix_sort_config_selectorIllEEZNS1_25segmented_radix_sort_implIS3_Lb1EPKlPlS8_S9_N2at6native12_GLOBAL__N_18offset_tEEE10hipError_tPvRmT1_PNSt15iterator_traitsISH_E10value_typeET2_T3_PNSI_ISN_E10value_typeET4_jRbjT5_ST_jjP12ihipStream_tbEUlT_E_NS1_11comp_targetILNS1_3genE10ELNS1_11target_archE1201ELNS1_3gpuE5ELNS1_3repE0EEENS1_30default_config_static_selectorELNS0_4arch9wavefront6targetE0EEEvSH_
                                        ; -- End function
	.section	.AMDGPU.csdata,"",@progbits
; Kernel info:
; codeLenInByte = 0
; NumSgprs: 0
; NumVgprs: 0
; ScratchSize: 0
; MemoryBound: 0
; FloatMode: 240
; IeeeMode: 1
; LDSByteSize: 0 bytes/workgroup (compile time only)
; SGPRBlocks: 0
; VGPRBlocks: 0
; NumSGPRsForWavesPerEU: 1
; NumVGPRsForWavesPerEU: 1
; Occupancy: 16
; WaveLimiterHint : 0
; COMPUTE_PGM_RSRC2:SCRATCH_EN: 0
; COMPUTE_PGM_RSRC2:USER_SGPR: 15
; COMPUTE_PGM_RSRC2:TRAP_HANDLER: 0
; COMPUTE_PGM_RSRC2:TGID_X_EN: 1
; COMPUTE_PGM_RSRC2:TGID_Y_EN: 0
; COMPUTE_PGM_RSRC2:TGID_Z_EN: 0
; COMPUTE_PGM_RSRC2:TIDIG_COMP_CNT: 0
	.section	.text._ZN7rocprim17ROCPRIM_400000_NS6detail17trampoline_kernelINS0_14default_configENS1_36segmented_radix_sort_config_selectorIllEEZNS1_25segmented_radix_sort_implIS3_Lb1EPKlPlS8_S9_N2at6native12_GLOBAL__N_18offset_tEEE10hipError_tPvRmT1_PNSt15iterator_traitsISH_E10value_typeET2_T3_PNSI_ISN_E10value_typeET4_jRbjT5_ST_jjP12ihipStream_tbEUlT_E_NS1_11comp_targetILNS1_3genE10ELNS1_11target_archE1200ELNS1_3gpuE4ELNS1_3repE0EEENS1_30default_config_static_selectorELNS0_4arch9wavefront6targetE0EEEvSH_,"axG",@progbits,_ZN7rocprim17ROCPRIM_400000_NS6detail17trampoline_kernelINS0_14default_configENS1_36segmented_radix_sort_config_selectorIllEEZNS1_25segmented_radix_sort_implIS3_Lb1EPKlPlS8_S9_N2at6native12_GLOBAL__N_18offset_tEEE10hipError_tPvRmT1_PNSt15iterator_traitsISH_E10value_typeET2_T3_PNSI_ISN_E10value_typeET4_jRbjT5_ST_jjP12ihipStream_tbEUlT_E_NS1_11comp_targetILNS1_3genE10ELNS1_11target_archE1200ELNS1_3gpuE4ELNS1_3repE0EEENS1_30default_config_static_selectorELNS0_4arch9wavefront6targetE0EEEvSH_,comdat
	.globl	_ZN7rocprim17ROCPRIM_400000_NS6detail17trampoline_kernelINS0_14default_configENS1_36segmented_radix_sort_config_selectorIllEEZNS1_25segmented_radix_sort_implIS3_Lb1EPKlPlS8_S9_N2at6native12_GLOBAL__N_18offset_tEEE10hipError_tPvRmT1_PNSt15iterator_traitsISH_E10value_typeET2_T3_PNSI_ISN_E10value_typeET4_jRbjT5_ST_jjP12ihipStream_tbEUlT_E_NS1_11comp_targetILNS1_3genE10ELNS1_11target_archE1200ELNS1_3gpuE4ELNS1_3repE0EEENS1_30default_config_static_selectorELNS0_4arch9wavefront6targetE0EEEvSH_ ; -- Begin function _ZN7rocprim17ROCPRIM_400000_NS6detail17trampoline_kernelINS0_14default_configENS1_36segmented_radix_sort_config_selectorIllEEZNS1_25segmented_radix_sort_implIS3_Lb1EPKlPlS8_S9_N2at6native12_GLOBAL__N_18offset_tEEE10hipError_tPvRmT1_PNSt15iterator_traitsISH_E10value_typeET2_T3_PNSI_ISN_E10value_typeET4_jRbjT5_ST_jjP12ihipStream_tbEUlT_E_NS1_11comp_targetILNS1_3genE10ELNS1_11target_archE1200ELNS1_3gpuE4ELNS1_3repE0EEENS1_30default_config_static_selectorELNS0_4arch9wavefront6targetE0EEEvSH_
	.p2align	8
	.type	_ZN7rocprim17ROCPRIM_400000_NS6detail17trampoline_kernelINS0_14default_configENS1_36segmented_radix_sort_config_selectorIllEEZNS1_25segmented_radix_sort_implIS3_Lb1EPKlPlS8_S9_N2at6native12_GLOBAL__N_18offset_tEEE10hipError_tPvRmT1_PNSt15iterator_traitsISH_E10value_typeET2_T3_PNSI_ISN_E10value_typeET4_jRbjT5_ST_jjP12ihipStream_tbEUlT_E_NS1_11comp_targetILNS1_3genE10ELNS1_11target_archE1200ELNS1_3gpuE4ELNS1_3repE0EEENS1_30default_config_static_selectorELNS0_4arch9wavefront6targetE0EEEvSH_,@function
_ZN7rocprim17ROCPRIM_400000_NS6detail17trampoline_kernelINS0_14default_configENS1_36segmented_radix_sort_config_selectorIllEEZNS1_25segmented_radix_sort_implIS3_Lb1EPKlPlS8_S9_N2at6native12_GLOBAL__N_18offset_tEEE10hipError_tPvRmT1_PNSt15iterator_traitsISH_E10value_typeET2_T3_PNSI_ISN_E10value_typeET4_jRbjT5_ST_jjP12ihipStream_tbEUlT_E_NS1_11comp_targetILNS1_3genE10ELNS1_11target_archE1200ELNS1_3gpuE4ELNS1_3repE0EEENS1_30default_config_static_selectorELNS0_4arch9wavefront6targetE0EEEvSH_: ; @_ZN7rocprim17ROCPRIM_400000_NS6detail17trampoline_kernelINS0_14default_configENS1_36segmented_radix_sort_config_selectorIllEEZNS1_25segmented_radix_sort_implIS3_Lb1EPKlPlS8_S9_N2at6native12_GLOBAL__N_18offset_tEEE10hipError_tPvRmT1_PNSt15iterator_traitsISH_E10value_typeET2_T3_PNSI_ISN_E10value_typeET4_jRbjT5_ST_jjP12ihipStream_tbEUlT_E_NS1_11comp_targetILNS1_3genE10ELNS1_11target_archE1200ELNS1_3gpuE4ELNS1_3repE0EEENS1_30default_config_static_selectorELNS0_4arch9wavefront6targetE0EEEvSH_
; %bb.0:
	.section	.rodata,"a",@progbits
	.p2align	6, 0x0
	.amdhsa_kernel _ZN7rocprim17ROCPRIM_400000_NS6detail17trampoline_kernelINS0_14default_configENS1_36segmented_radix_sort_config_selectorIllEEZNS1_25segmented_radix_sort_implIS3_Lb1EPKlPlS8_S9_N2at6native12_GLOBAL__N_18offset_tEEE10hipError_tPvRmT1_PNSt15iterator_traitsISH_E10value_typeET2_T3_PNSI_ISN_E10value_typeET4_jRbjT5_ST_jjP12ihipStream_tbEUlT_E_NS1_11comp_targetILNS1_3genE10ELNS1_11target_archE1200ELNS1_3gpuE4ELNS1_3repE0EEENS1_30default_config_static_selectorELNS0_4arch9wavefront6targetE0EEEvSH_
		.amdhsa_group_segment_fixed_size 0
		.amdhsa_private_segment_fixed_size 0
		.amdhsa_kernarg_size 96
		.amdhsa_user_sgpr_count 15
		.amdhsa_user_sgpr_dispatch_ptr 0
		.amdhsa_user_sgpr_queue_ptr 0
		.amdhsa_user_sgpr_kernarg_segment_ptr 1
		.amdhsa_user_sgpr_dispatch_id 0
		.amdhsa_user_sgpr_private_segment_size 0
		.amdhsa_wavefront_size32 1
		.amdhsa_uses_dynamic_stack 0
		.amdhsa_enable_private_segment 0
		.amdhsa_system_sgpr_workgroup_id_x 1
		.amdhsa_system_sgpr_workgroup_id_y 0
		.amdhsa_system_sgpr_workgroup_id_z 0
		.amdhsa_system_sgpr_workgroup_info 0
		.amdhsa_system_vgpr_workitem_id 0
		.amdhsa_next_free_vgpr 1
		.amdhsa_next_free_sgpr 1
		.amdhsa_reserve_vcc 0
		.amdhsa_float_round_mode_32 0
		.amdhsa_float_round_mode_16_64 0
		.amdhsa_float_denorm_mode_32 3
		.amdhsa_float_denorm_mode_16_64 3
		.amdhsa_dx10_clamp 1
		.amdhsa_ieee_mode 1
		.amdhsa_fp16_overflow 0
		.amdhsa_workgroup_processor_mode 1
		.amdhsa_memory_ordered 1
		.amdhsa_forward_progress 0
		.amdhsa_shared_vgpr_count 0
		.amdhsa_exception_fp_ieee_invalid_op 0
		.amdhsa_exception_fp_denorm_src 0
		.amdhsa_exception_fp_ieee_div_zero 0
		.amdhsa_exception_fp_ieee_overflow 0
		.amdhsa_exception_fp_ieee_underflow 0
		.amdhsa_exception_fp_ieee_inexact 0
		.amdhsa_exception_int_div_zero 0
	.end_amdhsa_kernel
	.section	.text._ZN7rocprim17ROCPRIM_400000_NS6detail17trampoline_kernelINS0_14default_configENS1_36segmented_radix_sort_config_selectorIllEEZNS1_25segmented_radix_sort_implIS3_Lb1EPKlPlS8_S9_N2at6native12_GLOBAL__N_18offset_tEEE10hipError_tPvRmT1_PNSt15iterator_traitsISH_E10value_typeET2_T3_PNSI_ISN_E10value_typeET4_jRbjT5_ST_jjP12ihipStream_tbEUlT_E_NS1_11comp_targetILNS1_3genE10ELNS1_11target_archE1200ELNS1_3gpuE4ELNS1_3repE0EEENS1_30default_config_static_selectorELNS0_4arch9wavefront6targetE0EEEvSH_,"axG",@progbits,_ZN7rocprim17ROCPRIM_400000_NS6detail17trampoline_kernelINS0_14default_configENS1_36segmented_radix_sort_config_selectorIllEEZNS1_25segmented_radix_sort_implIS3_Lb1EPKlPlS8_S9_N2at6native12_GLOBAL__N_18offset_tEEE10hipError_tPvRmT1_PNSt15iterator_traitsISH_E10value_typeET2_T3_PNSI_ISN_E10value_typeET4_jRbjT5_ST_jjP12ihipStream_tbEUlT_E_NS1_11comp_targetILNS1_3genE10ELNS1_11target_archE1200ELNS1_3gpuE4ELNS1_3repE0EEENS1_30default_config_static_selectorELNS0_4arch9wavefront6targetE0EEEvSH_,comdat
.Lfunc_end710:
	.size	_ZN7rocprim17ROCPRIM_400000_NS6detail17trampoline_kernelINS0_14default_configENS1_36segmented_radix_sort_config_selectorIllEEZNS1_25segmented_radix_sort_implIS3_Lb1EPKlPlS8_S9_N2at6native12_GLOBAL__N_18offset_tEEE10hipError_tPvRmT1_PNSt15iterator_traitsISH_E10value_typeET2_T3_PNSI_ISN_E10value_typeET4_jRbjT5_ST_jjP12ihipStream_tbEUlT_E_NS1_11comp_targetILNS1_3genE10ELNS1_11target_archE1200ELNS1_3gpuE4ELNS1_3repE0EEENS1_30default_config_static_selectorELNS0_4arch9wavefront6targetE0EEEvSH_, .Lfunc_end710-_ZN7rocprim17ROCPRIM_400000_NS6detail17trampoline_kernelINS0_14default_configENS1_36segmented_radix_sort_config_selectorIllEEZNS1_25segmented_radix_sort_implIS3_Lb1EPKlPlS8_S9_N2at6native12_GLOBAL__N_18offset_tEEE10hipError_tPvRmT1_PNSt15iterator_traitsISH_E10value_typeET2_T3_PNSI_ISN_E10value_typeET4_jRbjT5_ST_jjP12ihipStream_tbEUlT_E_NS1_11comp_targetILNS1_3genE10ELNS1_11target_archE1200ELNS1_3gpuE4ELNS1_3repE0EEENS1_30default_config_static_selectorELNS0_4arch9wavefront6targetE0EEEvSH_
                                        ; -- End function
	.section	.AMDGPU.csdata,"",@progbits
; Kernel info:
; codeLenInByte = 0
; NumSgprs: 0
; NumVgprs: 0
; ScratchSize: 0
; MemoryBound: 0
; FloatMode: 240
; IeeeMode: 1
; LDSByteSize: 0 bytes/workgroup (compile time only)
; SGPRBlocks: 0
; VGPRBlocks: 0
; NumSGPRsForWavesPerEU: 1
; NumVGPRsForWavesPerEU: 1
; Occupancy: 16
; WaveLimiterHint : 0
; COMPUTE_PGM_RSRC2:SCRATCH_EN: 0
; COMPUTE_PGM_RSRC2:USER_SGPR: 15
; COMPUTE_PGM_RSRC2:TRAP_HANDLER: 0
; COMPUTE_PGM_RSRC2:TGID_X_EN: 1
; COMPUTE_PGM_RSRC2:TGID_Y_EN: 0
; COMPUTE_PGM_RSRC2:TGID_Z_EN: 0
; COMPUTE_PGM_RSRC2:TIDIG_COMP_CNT: 0
	.text
	.p2align	2                               ; -- Begin function _ZN7rocprim17ROCPRIM_400000_NS6detail40segmented_radix_sort_single_block_helperIllLj256ELj16ELb1EE4sortIPKlPlS6_S7_EEbT_T0_T1_T2_jjjjRNS3_12storage_typeE
	.type	_ZN7rocprim17ROCPRIM_400000_NS6detail40segmented_radix_sort_single_block_helperIllLj256ELj16ELb1EE4sortIPKlPlS6_S7_EEbT_T0_T1_T2_jjjjRNS3_12storage_typeE,@function
_ZN7rocprim17ROCPRIM_400000_NS6detail40segmented_radix_sort_single_block_helperIllLj256ELj16ELb1EE4sortIPKlPlS6_S7_EEbT_T0_T1_T2_jjjjRNS3_12storage_typeE: ; @_ZN7rocprim17ROCPRIM_400000_NS6detail40segmented_radix_sort_single_block_helperIllLj256ELj16ELb1EE4sortIPKlPlS6_S7_EEbT_T0_T1_T2_jjjjRNS3_12storage_typeE
; %bb.0:
	s_waitcnt vmcnt(0) expcnt(0) lgkmcnt(0)
	s_or_saveexec_b32 s0, -1
	scratch_store_b32 off, v136, s32 offset:192 ; 4-byte Folded Spill
	s_mov_b32 exec_lo, s0
	s_clause 0x1f
	scratch_store_b32 off, v40, s32 offset:188
	; meta instruction
	scratch_store_b32 off, v41, s32 offset:184
	; meta instruction
	;; [unrolled: 2-line block ×31, first 2 shown]
	scratch_store_b32 off, v95, s32 offset:64
	s_clause 0xf
	scratch_store_b32 off, v104, s32 offset:60
	; meta instruction
	scratch_store_b32 off, v105, s32 offset:56
	; meta instruction
	;; [unrolled: 2-line block ×15, first 2 shown]
	scratch_store_b32 off, v127, s32
	v_writelane_b32 v136, s36, 0
	v_writelane_b32 v136, s37, 1
	;; [unrolled: 1-line block ×8, first 2 shown]
	v_sub_nc_u32_e32 v47, v9, v8
	s_mov_b32 s24, exec_lo
	s_delay_alu instid0(VALU_DEP_1)
	v_cmpx_gt_u32_e32 0x1001, v47
	s_cbranch_execz .LBB711_372
; %bb.1:
	v_bfe_u32 v14, v31, 10, 10
	v_bfe_u32 v15, v31, 20, 10
	v_and_b32_e32 v26, 0x3ff, v31
	v_mbcnt_lo_u32_b32 v96, -1, 0
	s_mov_b32 s0, exec_lo
	v_cmpx_lt_u32_e32 0x800, v47
	s_xor_b32 s25, exec_lo, s0
	s_cbranch_execz .LBB711_143
; %bb.2:
	s_load_b64 s[0:1], s[8:9], 0x0
	v_mov_b32_e32 v9, 0
	s_waitcnt lgkmcnt(0)
	s_cmp_lt_u32 s13, s1
	s_cselect_b32 s1, 14, 20
	s_delay_alu instid0(SALU_CYCLE_1) | instskip(SKIP_4) | instid1(SALU_CYCLE_1)
	s_add_u32 s2, s8, s1
	s_addc_u32 s3, s9, 0
	s_cmp_lt_u32 s12, s0
	global_load_u16 v16, v9, s[2:3]
	s_cselect_b32 s0, 12, 18
	s_add_u32 s0, s8, s0
	s_addc_u32 s1, s9, 0
	global_load_u16 v17, v9, s[0:1]
	s_mov_b32 s2, 0
	s_brev_b32 s3, 1
	v_lshlrev_b32_e32 v18, 3, v96
	s_waitcnt vmcnt(1)
	v_mad_u32_u24 v14, v15, v16, v14
	s_waitcnt vmcnt(0)
	s_delay_alu instid0(VALU_DEP_1) | instskip(NEXT) | instid1(VALU_DEP_1)
	v_mad_u64_u32 v[24:25], null, v14, v17, v[26:27]
	v_lshlrev_b32_e32 v14, 4, v24
	v_lshlrev_b64 v[22:23], 3, v[8:9]
	s_delay_alu instid0(VALU_DEP_2) | instskip(NEXT) | instid1(VALU_DEP_2)
	v_and_b32_e32 v8, 0xfffffe00, v14
	v_add_co_u32 v0, vcc_lo, v0, v22
	s_delay_alu instid0(VALU_DEP_3) | instskip(NEXT) | instid1(VALU_DEP_3)
	v_add_co_ci_u32_e32 v1, vcc_lo, v1, v23, vcc_lo
	v_lshlrev_b64 v[14:15], 3, v[8:9]
	s_delay_alu instid0(VALU_DEP_3) | instskip(NEXT) | instid1(VALU_DEP_3)
	v_add_co_u32 v0, vcc_lo, v0, v18
	v_add_co_ci_u32_e32 v1, vcc_lo, 0, v1, vcc_lo
	v_or_b32_e32 v19, v8, v96
	s_delay_alu instid0(VALU_DEP_3) | instskip(NEXT) | instid1(VALU_DEP_1)
	v_add_co_u32 v16, s0, v0, v14
	v_add_co_ci_u32_e64 v17, s0, v1, v15, s0
	v_dual_mov_b32 v0, s2 :: v_dual_mov_b32 v1, s3
	s_delay_alu instid0(VALU_DEP_4)
	v_cmp_lt_u32_e32 vcc_lo, v19, v47
	s_and_saveexec_b32 s0, vcc_lo
	s_cbranch_execz .LBB711_4
; %bb.3:
	flat_load_b64 v[0:1], v[16:17]
.LBB711_4:
	s_or_b32 exec_lo, exec_lo, s0
	v_or_b32_e32 v8, 32, v19
	s_delay_alu instid0(VALU_DEP_1) | instskip(SKIP_1) | instid1(VALU_DEP_2)
	v_cmp_lt_u32_e64 s0, v8, v47
	v_dual_mov_b32 v9, s3 :: v_dual_mov_b32 v8, s2
	s_and_saveexec_b32 s1, s0
	s_cbranch_execz .LBB711_6
; %bb.5:
	flat_load_b64 v[8:9], v[16:17] offset:256
.LBB711_6:
	s_or_b32 exec_lo, exec_lo, s1
	v_or_b32_e32 v20, 64, v19
	s_mov_b32 s4, 0
	s_brev_b32 s5, 1
	s_delay_alu instid0(SALU_CYCLE_1) | instskip(NEXT) | instid1(VALU_DEP_2)
	v_dual_mov_b32 v28, s5 :: v_dual_mov_b32 v27, s4
	v_cmp_lt_u32_e64 s1, v20, v47
	s_delay_alu instid0(VALU_DEP_1)
	s_and_saveexec_b32 s2, s1
	s_cbranch_execz .LBB711_8
; %bb.7:
	flat_load_b64 v[27:28], v[16:17] offset:512
.LBB711_8:
	s_or_b32 exec_lo, exec_lo, s2
	v_or_b32_e32 v20, 0x60, v19
	v_dual_mov_b32 v30, s5 :: v_dual_mov_b32 v29, s4
	s_delay_alu instid0(VALU_DEP_2) | instskip(NEXT) | instid1(VALU_DEP_1)
	v_cmp_lt_u32_e64 s2, v20, v47
	s_and_saveexec_b32 s3, s2
	s_cbranch_execz .LBB711_10
; %bb.9:
	flat_load_b64 v[29:30], v[16:17] offset:768
.LBB711_10:
	s_or_b32 exec_lo, exec_lo, s3
	v_or_b32_e32 v20, 0x80, v19
	s_mov_b32 s6, 0
	s_brev_b32 s7, 1
	s_delay_alu instid0(SALU_CYCLE_1) | instskip(NEXT) | instid1(VALU_DEP_2)
	v_dual_mov_b32 v32, s7 :: v_dual_mov_b32 v31, s6
	v_cmp_lt_u32_e64 s3, v20, v47
	s_delay_alu instid0(VALU_DEP_1)
	s_and_saveexec_b32 s4, s3
	s_cbranch_execz .LBB711_12
; %bb.11:
	flat_load_b64 v[31:32], v[16:17] offset:1024
.LBB711_12:
	s_or_b32 exec_lo, exec_lo, s4
	v_or_b32_e32 v20, 0xa0, v19
	v_dual_mov_b32 v34, s7 :: v_dual_mov_b32 v33, s6
	s_delay_alu instid0(VALU_DEP_2) | instskip(NEXT) | instid1(VALU_DEP_1)
	v_cmp_lt_u32_e64 s4, v20, v47
	;; [unrolled: 23-line block ×7, first 2 shown]
	s_and_saveexec_b32 s19, s18
	s_cbranch_execz .LBB711_34
; %bb.33:
	flat_load_b64 v[70:71], v[16:17] offset:3840
.LBB711_34:
	s_or_b32 exec_lo, exec_lo, s19
	v_add_co_u32 v4, s19, v4, v22
	s_delay_alu instid0(VALU_DEP_1) | instskip(NEXT) | instid1(VALU_DEP_2)
	v_add_co_ci_u32_e64 v5, s19, v5, v23, s19
	v_add_co_u32 v4, s19, v4, v18
	s_delay_alu instid0(VALU_DEP_1) | instskip(NEXT) | instid1(VALU_DEP_2)
	v_add_co_ci_u32_e64 v5, s19, 0, v5, s19
	v_add_co_u32 v4, s19, v4, v14
	s_delay_alu instid0(VALU_DEP_1)
	v_add_co_ci_u32_e64 v5, s19, v5, v15, s19
                                        ; implicit-def: $vgpr14_vgpr15
	s_and_saveexec_b32 s19, vcc_lo
	s_cbranch_execnz .LBB711_196
; %bb.35:
	s_or_b32 exec_lo, exec_lo, s19
                                        ; implicit-def: $vgpr16_vgpr17
	s_and_saveexec_b32 s19, s0
	s_cbranch_execnz .LBB711_197
.LBB711_36:
	s_or_b32 exec_lo, exec_lo, s19
                                        ; implicit-def: $vgpr18_vgpr19
	s_and_saveexec_b32 s0, s1
	s_cbranch_execnz .LBB711_198
.LBB711_37:
	s_or_b32 exec_lo, exec_lo, s0
                                        ; implicit-def: $vgpr20_vgpr21
	s_and_saveexec_b32 s0, s2
	s_cbranch_execnz .LBB711_199
.LBB711_38:
	s_or_b32 exec_lo, exec_lo, s0
                                        ; implicit-def: $vgpr164_vgpr165
	s_and_saveexec_b32 s0, s3
	s_cbranch_execnz .LBB711_200
.LBB711_39:
	s_or_b32 exec_lo, exec_lo, s0
                                        ; implicit-def: $vgpr166_vgpr167
	s_and_saveexec_b32 s0, s4
	s_cbranch_execnz .LBB711_201
.LBB711_40:
	s_or_b32 exec_lo, exec_lo, s0
                                        ; implicit-def: $vgpr176_vgpr177
	s_and_saveexec_b32 s0, s5
	s_cbranch_execnz .LBB711_202
.LBB711_41:
	s_or_b32 exec_lo, exec_lo, s0
                                        ; implicit-def: $vgpr178_vgpr179
	s_and_saveexec_b32 s0, s6
	s_cbranch_execnz .LBB711_203
.LBB711_42:
	s_or_b32 exec_lo, exec_lo, s0
                                        ; implicit-def: $vgpr180_vgpr181
	s_and_saveexec_b32 s0, s7
	s_cbranch_execnz .LBB711_204
.LBB711_43:
	s_or_b32 exec_lo, exec_lo, s0
                                        ; implicit-def: $vgpr208_vgpr209
	s_and_saveexec_b32 s0, s10
	s_cbranch_execnz .LBB711_205
.LBB711_44:
	s_or_b32 exec_lo, exec_lo, s0
                                        ; implicit-def: $vgpr226_vgpr227
	s_and_saveexec_b32 s0, s11
	s_cbranch_execnz .LBB711_206
.LBB711_45:
	s_or_b32 exec_lo, exec_lo, s0
                                        ; implicit-def: $vgpr240_vgpr241
	s_and_saveexec_b32 s0, s14
	s_cbranch_execnz .LBB711_207
.LBB711_46:
	s_or_b32 exec_lo, exec_lo, s0
                                        ; implicit-def: $vgpr246_vgpr247
	s_and_saveexec_b32 s0, s15
	s_cbranch_execnz .LBB711_208
.LBB711_47:
	s_or_b32 exec_lo, exec_lo, s0
                                        ; implicit-def: $vgpr39_vgpr40
	s_and_saveexec_b32 s0, s16
	s_cbranch_execnz .LBB711_209
.LBB711_48:
	s_or_b32 exec_lo, exec_lo, s0
                                        ; implicit-def: $vgpr45_vgpr46
	s_and_saveexec_b32 s0, s17
	s_cbranch_execnz .LBB711_210
.LBB711_49:
	s_or_b32 exec_lo, exec_lo, s0
                                        ; implicit-def: $vgpr56_vgpr57
	s_and_saveexec_b32 s0, s18
	s_cbranch_execz .LBB711_51
.LBB711_50:
	flat_load_b64 v[56:57], v[4:5] offset:3840
.LBB711_51:
	s_or_b32 exec_lo, exec_lo, s0
	s_waitcnt vmcnt(0) lgkmcnt(0)
	v_xor_b32_e32 v58, -1, v0
	v_lshlrev_b32_e32 v0, 5, v26
	v_add_co_u32 v25, vcc_lo, v12, 32
	v_xor_b32_e32 v213, 0x7fffffff, v28
	v_and_b32_e32 v28, 0x3e0, v26
	v_add_co_ci_u32_e32 v124, vcc_lo, 0, v13, vcc_lo
	v_xor_b32_e32 v59, 0x7fffffff, v1
	v_mov_b32_e32 v1, 0
	v_add_co_u32 v4, vcc_lo, v12, v0
	v_add_co_ci_u32_e32 v5, vcc_lo, 0, v13, vcc_lo
	v_xor_b32_e32 v242, -1, v8
	v_xor_b32_e32 v212, -1, v27
	;; [unrolled: 1-line block ×3, first 2 shown]
	v_and_b32_e32 v27, 15, v96
	v_add_co_u32 v8, vcc_lo, v25, v0
	v_min_u32_e32 v0, 0xe0, v28
	v_add_nc_u32_e32 v29, -1, v96
	s_getpc_b64 s[0:1]
	s_add_u32 s0, s0, _ZN7rocprim17ROCPRIM_400000_NS16block_radix_sortIlLj256ELj16ElLj1ELj1ELj8ELNS0_26block_radix_rank_algorithmE2ELNS0_18block_padding_hintE2ELNS0_4arch9wavefront6targetE0EE19radix_bits_per_passE@rel32@lo+4
	s_addc_u32 s1, s1, _ZN7rocprim17ROCPRIM_400000_NS16block_radix_sortIlLj256ELj16ElLj1ELj1ELj8ELNS0_26block_radix_rank_algorithmE2ELNS0_18block_padding_hintE2ELNS0_4arch9wavefront6targetE0EE19radix_bits_per_passE@rel32@hi+12
	v_xor_b32_e32 v243, 0x7fffffff, v9
	v_add_co_ci_u32_e32 v9, vcc_lo, 0, v124, vcc_lo
	s_load_b32 s19, s[0:1], 0x0
	v_cmp_eq_u32_e32 vcc_lo, 0, v27
	v_cmp_lt_u32_e64 s0, 1, v27
	v_and_b32_e32 v28, 16, v96
	v_cmp_lt_u32_e64 s1, 3, v27
	v_cmp_lt_u32_e64 s2, 7, v27
	v_or_b32_e32 v0, 31, v0
	v_lshrrev_b32_e32 v27, 5, v26
	v_cmp_gt_i32_e64 s4, 0, v29
	v_cmp_eq_u32_e64 s3, 0, v28
	v_xor_b32_e32 v194, -1, v31
	v_xor_b32_e32 v199, 0x7fffffff, v30
	v_xor_b32_e32 v195, 0x7fffffff, v32
	v_cndmask_b32_e64 v28, v29, v96, s4
	v_cmp_eq_u32_e64 s4, v0, v26
	v_lshlrev_b32_e32 v0, 2, v27
	v_cmp_eq_u32_e64 s7, 0, v96
	v_and_b32_e32 v29, 7, v96
	v_lshlrev_b32_e32 v126, 2, v28
	v_lshlrev_b32_e32 v28, 2, v26
	v_add_co_u32 v31, s11, v12, v0
	v_add_nc_u32_e32 v0, -1, v27
	v_lshlrev_b32_e32 v27, 4, v26
	v_add_co_ci_u32_e64 v32, s11, 0, v13, s11
	v_add_co_u32 v84, s11, v12, v28
	s_delay_alu instid0(VALU_DEP_3) | instskip(SKIP_3) | instid1(VALU_DEP_4)
	v_and_or_b32 v30, 0x3e00, v27, v96
	v_lshlrev_b64 v[27:28], 2, v[0:1]
	v_add_co_ci_u32_e64 v85, s11, 0, v13, s11
	v_xor_b32_e32 v183, 0x7fffffff, v34
	v_lshlrev_b32_e32 v0, 3, v30
	v_xor_b32_e32 v182, -1, v33
	v_add_co_u32 v96, s16, v12, v27
	s_delay_alu instid0(VALU_DEP_1) | instskip(NEXT) | instid1(VALU_DEP_4)
	v_add_co_ci_u32_e64 v97, s16, v13, v28, s16
	v_add_co_u32 v98, s16, v12, v0
	v_xor_b32_e32 v193, 0x7fffffff, v36
	v_xor_b32_e32 v192, -1, v35
	v_xor_b32_e32 v197, 0x7fffffff, v38
	v_xor_b32_e32 v196, -1, v37
	;; [unrolled: 2-line block ×10, first 2 shown]
	v_lshrrev_b32_e32 v125, 5, v24
	v_cmp_gt_u32_e64 s5, 8, v26
	v_cmp_lt_u32_e64 s6, 31, v26
	v_cmp_eq_u32_e64 s10, 0, v26
	v_cmp_eq_u32_e64 s11, 0, v29
	v_cmp_lt_u32_e64 s14, 1, v29
	v_cmp_lt_u32_e64 s15, 3, v29
	v_add_co_ci_u32_e64 v99, s16, 0, v13, s16
	v_sub_nc_u32_e32 v127, v11, v10
	s_mov_b32 s20, 0
	s_waitcnt lgkmcnt(0)
	s_waitcnt_vscnt null, 0x0
	s_mov_b32 s21, s20
	s_mov_b32 s22, s20
	;; [unrolled: 1-line block ×4, first 2 shown]
	s_barrier
	buffer_gl0_inv
	s_branch .LBB711_53
.LBB711_52:                             ;   in Loop: Header=BB711_53 Depth=1
	s_or_b32 exec_lo, exec_lo, s17
	s_delay_alu instid0(SALU_CYCLE_1) | instskip(NEXT) | instid1(SALU_CYCLE_1)
	s_and_b32 s16, exec_lo, s18
	s_or_b32 s26, s16, s26
	s_delay_alu instid0(SALU_CYCLE_1)
	s_and_not1_b32 exec_lo, exec_lo, s26
	s_cbranch_execz .LBB711_93
.LBB711_53:                             ; =>This Inner Loop Header: Depth=1
	v_min_u32_e32 v0, s19, v127
	v_dual_mov_b32 v101, v59 :: v_dual_mov_b32 v100, v58
	v_dual_mov_b32 v30, v15 :: v_dual_mov_b32 v29, v14
	s_delay_alu instid0(VALU_DEP_3) | instskip(SKIP_1) | instid1(VALU_DEP_4)
	v_lshlrev_b32_e64 v0, v0, -1
	v_dual_mov_b32 v28, v17 :: v_dual_mov_b32 v27, v16
	v_lshrrev_b64 v[15:16], v10, v[100:101]
	v_mov_b32_e32 v70, v208
	s_delay_alu instid0(VALU_DEP_4) | instskip(SKIP_2) | instid1(VALU_DEP_3)
	v_not_b32_e32 v14, v0
	v_dual_mov_b32 v38, v19 :: v_dual_mov_b32 v37, v18
	v_dual_mov_b32 v36, v21 :: v_dual_mov_b32 v35, v20
	v_dual_mov_b32 v71, v209 :: v_dual_and_b32 v0, v15, v14
	v_mov_b32_e32 v64, v246
	v_dual_mov_b32 v102, v242 :: v_dual_mov_b32 v83, v40
	s_delay_alu instid0(VALU_DEP_3) | instskip(SKIP_3) | instid1(VALU_DEP_4)
	v_dual_mov_b32 v82, v39 :: v_dual_and_b32 v15, 1, v0
	v_dual_mov_b32 v87, v57 :: v_dual_lshlrev_b32 v16, 30, v0
	v_lshlrev_b32_e32 v18, 29, v0
	v_lshlrev_b32_e32 v20, 27, v0
	v_add_co_u32 v15, s16, v15, -1
	s_delay_alu instid0(VALU_DEP_1) | instskip(SKIP_3) | instid1(VALU_DEP_4)
	v_cndmask_b32_e64 v17, 0, 1, s16
	v_not_b32_e32 v19, v16
	v_cmp_gt_i32_e64 s17, 0, v16
	v_dual_mov_b32 v33, v164 :: v_dual_mov_b32 v34, v165
	v_cmp_ne_u32_e64 s16, 0, v17
	s_delay_alu instid0(VALU_DEP_4) | instskip(SKIP_2) | instid1(VALU_DEP_4)
	v_ashrrev_i32_e32 v19, 31, v19
	v_dual_mov_b32 v68, v226 :: v_dual_lshlrev_b32 v17, 28, v0
	v_dual_mov_b32 v66, v240 :: v_dual_mov_b32 v65, v247
	v_xor_b32_e32 v15, s16, v15
	s_delay_alu instid0(VALU_DEP_4) | instskip(NEXT) | instid1(VALU_DEP_4)
	v_xor_b32_e32 v19, s17, v19
	v_cmp_gt_i32_e64 s17, 0, v17
	v_dual_mov_b32 v112, v212 :: v_dual_mov_b32 v113, v213
	s_delay_alu instid0(VALU_DEP_4) | instskip(SKIP_3) | instid1(VALU_DEP_4)
	v_and_b32_e32 v15, exec_lo, v15
	v_not_b32_e32 v16, v18
	v_cmp_gt_i32_e64 s16, 0, v18
	v_not_b32_e32 v18, v17
	v_dual_mov_b32 v114, v198 :: v_dual_and_b32 v15, v15, v19
	s_delay_alu instid0(VALU_DEP_4) | instskip(SKIP_1) | instid1(VALU_DEP_4)
	v_ashrrev_i32_e32 v16, 31, v16
	v_mov_b32_e32 v115, v199
	v_ashrrev_i32_e32 v17, 31, v18
	v_not_b32_e32 v18, v20
	v_dual_mov_b32 v116, v194 :: v_dual_lshlrev_b32 v19, 26, v0
	v_xor_b32_e32 v16, s16, v16
	s_delay_alu instid0(VALU_DEP_4) | instskip(SKIP_2) | instid1(VALU_DEP_4)
	v_xor_b32_e32 v17, s17, v17
	v_cmp_gt_i32_e64 s16, 0, v20
	v_dual_mov_b32 v118, v182 :: v_dual_mov_b32 v117, v195
	v_and_b32_e32 v15, v15, v16
	v_ashrrev_i32_e32 v16, 31, v18
	v_not_b32_e32 v18, v19
	v_mov_b32_e32 v128, v192
	s_delay_alu instid0(VALU_DEP_4)
	v_dual_mov_b32 v134, v196 :: v_dual_and_b32 v15, v15, v17
	v_lshlrev_b32_e32 v17, 25, v0
	v_xor_b32_e32 v16, s16, v16
	v_cmp_gt_i32_e64 s16, 0, v19
	v_ashrrev_i32_e32 v18, 31, v18
	v_mov_b32_e32 v132, v210
	v_not_b32_e32 v19, v17
	v_and_b32_e32 v15, v15, v16
	v_lshlrev_b32_e32 v16, 24, v0
	v_xor_b32_e32 v18, s16, v18
	v_cmp_gt_i32_e64 s16, 0, v17
	v_ashrrev_i32_e32 v17, 31, v19
	v_mov_b32_e32 v148, v228
	v_not_b32_e32 v19, v16
	v_and_b32_e32 v15, v15, v18
	v_dual_mov_b32 v119, v183 :: v_dual_mov_b32 v130, v214
	v_xor_b32_e32 v17, s16, v17
	v_cmp_gt_i32_e64 s16, 0, v16
	v_ashrrev_i32_e32 v16, 31, v19
	v_mov_b32_e32 v131, v215
	v_lshl_add_u32 v0, v0, 3, v125
	v_and_b32_e32 v15, v15, v17
	v_dual_mov_b32 v129, v193 :: v_dual_mov_b32 v150, v224
	v_xor_b32_e32 v16, s16, v16
	v_dual_mov_b32 v135, v197 :: v_dual_mov_b32 v146, v230
	v_dual_mov_b32 v133, v211 :: v_dual_mov_b32 v144, v244
	s_delay_alu instid0(VALU_DEP_3)
	v_dual_mov_b32 v16, s20 :: v_dual_and_b32 v15, v15, v16
	v_dual_mov_b32 v17, s21 :: v_dual_mov_b32 v18, s22
	v_mov_b32_e32 v19, s23
	s_clause 0x1
	flat_store_b128 v[4:5], v[16:19] offset:32
	flat_store_b128 v[8:9], v[16:19] offset:16
	v_lshlrev_b64 v[16:17], 2, v[0:1]
	v_mbcnt_lo_u32_b32 v39, v15, 0
	v_cmp_ne_u32_e64 s17, 0, v15
	v_mov_b32_e32 v161, v42
	v_dual_mov_b32 v163, v44 :: v_dual_mov_b32 v54, v166
	v_mov_b32_e32 v55, v167
	v_cmp_eq_u32_e64 s16, 0, v39
	v_add_co_u32 v164, s18, v25, v16
	v_dual_mov_b32 v52, v176 :: v_dual_mov_b32 v53, v177
	v_dual_mov_b32 v50, v178 :: v_dual_mov_b32 v51, v179
	;; [unrolled: 1-line block ×3, first 2 shown]
	v_mov_b32_e32 v69, v227
	v_mov_b32_e32 v67, v241
	v_dual_mov_b32 v81, v46 :: v_dual_mov_b32 v80, v45
	v_dual_mov_b32 v86, v56 :: v_dual_mov_b32 v103, v243
	v_dual_mov_b32 v151, v225 :: v_dual_mov_b32 v162, v43
	v_mov_b32_e32 v149, v229
	v_dual_mov_b32 v147, v231 :: v_dual_mov_b32 v160, v41
	v_mov_b32_e32 v145, v245
	v_add_co_ci_u32_e64 v165, s18, v124, v17, s18
	s_and_b32 s17, s17, s16
	s_waitcnt lgkmcnt(0)
	s_waitcnt_vscnt null, 0x0
	s_barrier
	buffer_gl0_inv
	; wave barrier
	s_and_saveexec_b32 s16, s17
	s_cbranch_execz .LBB711_55
; %bb.54:                               ;   in Loop: Header=BB711_53 Depth=1
	v_bcnt_u32_b32 v0, v15, 0
	flat_store_b32 v[164:165], v0
.LBB711_55:                             ;   in Loop: Header=BB711_53 Depth=1
	s_or_b32 exec_lo, exec_lo, s16
	v_lshrrev_b64 v[15:16], v10, v[102:103]
	; wave barrier
	s_delay_alu instid0(VALU_DEP_1) | instskip(NEXT) | instid1(VALU_DEP_1)
	v_and_b32_e32 v17, v15, v14
	v_lshl_add_u32 v0, v17, 3, v125
	v_lshlrev_b32_e32 v18, 29, v17
	v_lshlrev_b32_e32 v19, 28, v17
	s_delay_alu instid0(VALU_DEP_3) | instskip(SKIP_1) | instid1(VALU_DEP_2)
	v_lshlrev_b64 v[15:16], 2, v[0:1]
	v_and_b32_e32 v0, 1, v17
	v_add_co_u32 v166, s16, v25, v15
	s_delay_alu instid0(VALU_DEP_1) | instskip(NEXT) | instid1(VALU_DEP_3)
	v_add_co_ci_u32_e64 v167, s16, v124, v16, s16
	v_add_co_u32 v0, s16, v0, -1
	s_delay_alu instid0(VALU_DEP_1) | instskip(SKIP_3) | instid1(VALU_DEP_2)
	v_cndmask_b32_e64 v15, 0, 1, s16
	flat_load_b32 v228, v[166:167]
	v_lshlrev_b32_e32 v16, 30, v17
	; wave barrier
	v_cmp_ne_u32_e64 s16, 0, v15
	v_not_b32_e32 v15, v16
	s_delay_alu instid0(VALU_DEP_2) | instskip(SKIP_1) | instid1(VALU_DEP_3)
	v_xor_b32_e32 v0, s16, v0
	v_cmp_gt_i32_e64 s16, 0, v16
	v_ashrrev_i32_e32 v15, 31, v15
	v_not_b32_e32 v16, v18
	s_delay_alu instid0(VALU_DEP_4) | instskip(NEXT) | instid1(VALU_DEP_3)
	v_and_b32_e32 v0, exec_lo, v0
	v_xor_b32_e32 v15, s16, v15
	v_cmp_gt_i32_e64 s16, 0, v18
	s_delay_alu instid0(VALU_DEP_4) | instskip(SKIP_1) | instid1(VALU_DEP_4)
	v_ashrrev_i32_e32 v16, 31, v16
	v_not_b32_e32 v18, v19
	v_and_b32_e32 v0, v0, v15
	v_lshlrev_b32_e32 v15, 27, v17
	s_delay_alu instid0(VALU_DEP_4) | instskip(SKIP_2) | instid1(VALU_DEP_4)
	v_xor_b32_e32 v16, s16, v16
	v_cmp_gt_i32_e64 s16, 0, v19
	v_ashrrev_i32_e32 v18, 31, v18
	v_not_b32_e32 v19, v15
	s_delay_alu instid0(VALU_DEP_4) | instskip(SKIP_1) | instid1(VALU_DEP_4)
	v_and_b32_e32 v0, v0, v16
	v_lshlrev_b32_e32 v16, 26, v17
	v_xor_b32_e32 v18, s16, v18
	v_cmp_gt_i32_e64 s16, 0, v15
	v_ashrrev_i32_e32 v15, 31, v19
	s_delay_alu instid0(VALU_DEP_4) | instskip(NEXT) | instid1(VALU_DEP_4)
	v_not_b32_e32 v19, v16
	v_and_b32_e32 v0, v0, v18
	v_lshlrev_b32_e32 v18, 25, v17
	s_delay_alu instid0(VALU_DEP_4) | instskip(SKIP_2) | instid1(VALU_DEP_4)
	v_xor_b32_e32 v15, s16, v15
	v_cmp_gt_i32_e64 s16, 0, v16
	v_ashrrev_i32_e32 v16, 31, v19
	v_not_b32_e32 v19, v18
	s_delay_alu instid0(VALU_DEP_4) | instskip(SKIP_1) | instid1(VALU_DEP_4)
	v_and_b32_e32 v0, v0, v15
	v_lshlrev_b32_e32 v15, 24, v17
	v_xor_b32_e32 v16, s16, v16
	v_cmp_gt_i32_e64 s16, 0, v18
	v_ashrrev_i32_e32 v17, 31, v19
	s_delay_alu instid0(VALU_DEP_4) | instskip(NEXT) | instid1(VALU_DEP_4)
	v_not_b32_e32 v18, v15
	v_and_b32_e32 v0, v0, v16
	s_delay_alu instid0(VALU_DEP_3) | instskip(SKIP_1) | instid1(VALU_DEP_4)
	v_xor_b32_e32 v16, s16, v17
	v_cmp_gt_i32_e64 s16, 0, v15
	v_ashrrev_i32_e32 v15, 31, v18
	s_delay_alu instid0(VALU_DEP_3) | instskip(NEXT) | instid1(VALU_DEP_2)
	v_and_b32_e32 v0, v0, v16
	v_xor_b32_e32 v15, s16, v15
	s_delay_alu instid0(VALU_DEP_1) | instskip(NEXT) | instid1(VALU_DEP_1)
	v_and_b32_e32 v0, v0, v15
	v_mbcnt_lo_u32_b32 v229, v0, 0
	v_cmp_ne_u32_e64 s17, 0, v0
	s_delay_alu instid0(VALU_DEP_2) | instskip(NEXT) | instid1(VALU_DEP_1)
	v_cmp_eq_u32_e64 s16, 0, v229
	s_and_b32 s17, s17, s16
	s_delay_alu instid0(SALU_CYCLE_1)
	s_and_saveexec_b32 s16, s17
	s_cbranch_execz .LBB711_57
; %bb.56:                               ;   in Loop: Header=BB711_53 Depth=1
	s_waitcnt vmcnt(0) lgkmcnt(0)
	v_bcnt_u32_b32 v0, v0, v228
	flat_store_b32 v[166:167], v0
.LBB711_57:                             ;   in Loop: Header=BB711_53 Depth=1
	s_or_b32 exec_lo, exec_lo, s16
	v_lshrrev_b64 v[15:16], v10, v[112:113]
	; wave barrier
	s_delay_alu instid0(VALU_DEP_1) | instskip(NEXT) | instid1(VALU_DEP_1)
	v_and_b32_e32 v17, v15, v14
	v_lshl_add_u32 v0, v17, 3, v125
	v_lshlrev_b32_e32 v18, 29, v17
	v_lshlrev_b32_e32 v19, 28, v17
	s_delay_alu instid0(VALU_DEP_3) | instskip(SKIP_1) | instid1(VALU_DEP_2)
	v_lshlrev_b64 v[15:16], 2, v[0:1]
	v_and_b32_e32 v0, 1, v17
	v_add_co_u32 v176, s16, v25, v15
	s_delay_alu instid0(VALU_DEP_1) | instskip(NEXT) | instid1(VALU_DEP_3)
	v_add_co_ci_u32_e64 v177, s16, v124, v16, s16
	v_add_co_u32 v0, s16, v0, -1
	s_delay_alu instid0(VALU_DEP_1) | instskip(SKIP_3) | instid1(VALU_DEP_2)
	v_cndmask_b32_e64 v15, 0, 1, s16
	flat_load_b32 v230, v[176:177]
	v_lshlrev_b32_e32 v16, 30, v17
	; wave barrier
	v_cmp_ne_u32_e64 s16, 0, v15
	v_not_b32_e32 v15, v16
	s_delay_alu instid0(VALU_DEP_2) | instskip(SKIP_1) | instid1(VALU_DEP_3)
	v_xor_b32_e32 v0, s16, v0
	v_cmp_gt_i32_e64 s16, 0, v16
	v_ashrrev_i32_e32 v15, 31, v15
	v_not_b32_e32 v16, v18
	s_delay_alu instid0(VALU_DEP_4) | instskip(NEXT) | instid1(VALU_DEP_3)
	v_and_b32_e32 v0, exec_lo, v0
	v_xor_b32_e32 v15, s16, v15
	v_cmp_gt_i32_e64 s16, 0, v18
	s_delay_alu instid0(VALU_DEP_4) | instskip(SKIP_1) | instid1(VALU_DEP_4)
	v_ashrrev_i32_e32 v16, 31, v16
	v_not_b32_e32 v18, v19
	v_and_b32_e32 v0, v0, v15
	v_lshlrev_b32_e32 v15, 27, v17
	s_delay_alu instid0(VALU_DEP_4) | instskip(SKIP_2) | instid1(VALU_DEP_4)
	v_xor_b32_e32 v16, s16, v16
	v_cmp_gt_i32_e64 s16, 0, v19
	v_ashrrev_i32_e32 v18, 31, v18
	v_not_b32_e32 v19, v15
	s_delay_alu instid0(VALU_DEP_4) | instskip(SKIP_1) | instid1(VALU_DEP_4)
	v_and_b32_e32 v0, v0, v16
	v_lshlrev_b32_e32 v16, 26, v17
	v_xor_b32_e32 v18, s16, v18
	v_cmp_gt_i32_e64 s16, 0, v15
	v_ashrrev_i32_e32 v15, 31, v19
	s_delay_alu instid0(VALU_DEP_4) | instskip(NEXT) | instid1(VALU_DEP_4)
	v_not_b32_e32 v19, v16
	v_and_b32_e32 v0, v0, v18
	v_lshlrev_b32_e32 v18, 25, v17
	s_delay_alu instid0(VALU_DEP_4) | instskip(SKIP_2) | instid1(VALU_DEP_4)
	v_xor_b32_e32 v15, s16, v15
	v_cmp_gt_i32_e64 s16, 0, v16
	v_ashrrev_i32_e32 v16, 31, v19
	v_not_b32_e32 v19, v18
	s_delay_alu instid0(VALU_DEP_4) | instskip(SKIP_1) | instid1(VALU_DEP_4)
	v_and_b32_e32 v0, v0, v15
	v_lshlrev_b32_e32 v15, 24, v17
	v_xor_b32_e32 v16, s16, v16
	v_cmp_gt_i32_e64 s16, 0, v18
	v_ashrrev_i32_e32 v17, 31, v19
	s_delay_alu instid0(VALU_DEP_4) | instskip(NEXT) | instid1(VALU_DEP_4)
	v_not_b32_e32 v18, v15
	v_and_b32_e32 v0, v0, v16
	s_delay_alu instid0(VALU_DEP_3) | instskip(SKIP_1) | instid1(VALU_DEP_4)
	v_xor_b32_e32 v16, s16, v17
	v_cmp_gt_i32_e64 s16, 0, v15
	v_ashrrev_i32_e32 v15, 31, v18
	s_delay_alu instid0(VALU_DEP_3) | instskip(NEXT) | instid1(VALU_DEP_2)
	v_and_b32_e32 v0, v0, v16
	v_xor_b32_e32 v15, s16, v15
	s_delay_alu instid0(VALU_DEP_1) | instskip(NEXT) | instid1(VALU_DEP_1)
	v_and_b32_e32 v0, v0, v15
	v_mbcnt_lo_u32_b32 v231, v0, 0
	v_cmp_ne_u32_e64 s17, 0, v0
	s_delay_alu instid0(VALU_DEP_2) | instskip(NEXT) | instid1(VALU_DEP_1)
	v_cmp_eq_u32_e64 s16, 0, v231
	s_and_b32 s17, s17, s16
	s_delay_alu instid0(SALU_CYCLE_1)
	s_and_saveexec_b32 s16, s17
	s_cbranch_execz .LBB711_59
; %bb.58:                               ;   in Loop: Header=BB711_53 Depth=1
	s_waitcnt vmcnt(0) lgkmcnt(0)
	v_bcnt_u32_b32 v0, v0, v230
	flat_store_b32 v[176:177], v0
.LBB711_59:                             ;   in Loop: Header=BB711_53 Depth=1
	s_or_b32 exec_lo, exec_lo, s16
	v_lshrrev_b64 v[15:16], v10, v[114:115]
	; wave barrier
	s_delay_alu instid0(VALU_DEP_1) | instskip(NEXT) | instid1(VALU_DEP_1)
	v_and_b32_e32 v17, v15, v14
	v_lshl_add_u32 v0, v17, 3, v125
	v_lshlrev_b32_e32 v18, 29, v17
	v_lshlrev_b32_e32 v19, 28, v17
	s_delay_alu instid0(VALU_DEP_3) | instskip(SKIP_1) | instid1(VALU_DEP_2)
	v_lshlrev_b64 v[15:16], 2, v[0:1]
	v_and_b32_e32 v0, 1, v17
	v_add_co_u32 v178, s16, v25, v15
	s_delay_alu instid0(VALU_DEP_1) | instskip(NEXT) | instid1(VALU_DEP_3)
	v_add_co_ci_u32_e64 v179, s16, v124, v16, s16
	v_add_co_u32 v0, s16, v0, -1
	s_delay_alu instid0(VALU_DEP_1) | instskip(SKIP_3) | instid1(VALU_DEP_2)
	v_cndmask_b32_e64 v15, 0, 1, s16
	flat_load_b32 v240, v[178:179]
	v_lshlrev_b32_e32 v16, 30, v17
	; wave barrier
	v_cmp_ne_u32_e64 s16, 0, v15
	v_not_b32_e32 v15, v16
	s_delay_alu instid0(VALU_DEP_2) | instskip(SKIP_1) | instid1(VALU_DEP_3)
	v_xor_b32_e32 v0, s16, v0
	v_cmp_gt_i32_e64 s16, 0, v16
	v_ashrrev_i32_e32 v15, 31, v15
	v_not_b32_e32 v16, v18
	s_delay_alu instid0(VALU_DEP_4) | instskip(NEXT) | instid1(VALU_DEP_3)
	v_and_b32_e32 v0, exec_lo, v0
	v_xor_b32_e32 v15, s16, v15
	v_cmp_gt_i32_e64 s16, 0, v18
	s_delay_alu instid0(VALU_DEP_4) | instskip(SKIP_1) | instid1(VALU_DEP_4)
	v_ashrrev_i32_e32 v16, 31, v16
	v_not_b32_e32 v18, v19
	v_and_b32_e32 v0, v0, v15
	v_lshlrev_b32_e32 v15, 27, v17
	s_delay_alu instid0(VALU_DEP_4) | instskip(SKIP_2) | instid1(VALU_DEP_4)
	v_xor_b32_e32 v16, s16, v16
	v_cmp_gt_i32_e64 s16, 0, v19
	v_ashrrev_i32_e32 v18, 31, v18
	v_not_b32_e32 v19, v15
	s_delay_alu instid0(VALU_DEP_4) | instskip(SKIP_1) | instid1(VALU_DEP_4)
	v_and_b32_e32 v0, v0, v16
	v_lshlrev_b32_e32 v16, 26, v17
	v_xor_b32_e32 v18, s16, v18
	v_cmp_gt_i32_e64 s16, 0, v15
	v_ashrrev_i32_e32 v15, 31, v19
	s_delay_alu instid0(VALU_DEP_4) | instskip(NEXT) | instid1(VALU_DEP_4)
	v_not_b32_e32 v19, v16
	v_and_b32_e32 v0, v0, v18
	v_lshlrev_b32_e32 v18, 25, v17
	s_delay_alu instid0(VALU_DEP_4) | instskip(SKIP_2) | instid1(VALU_DEP_4)
	v_xor_b32_e32 v15, s16, v15
	v_cmp_gt_i32_e64 s16, 0, v16
	v_ashrrev_i32_e32 v16, 31, v19
	v_not_b32_e32 v19, v18
	s_delay_alu instid0(VALU_DEP_4) | instskip(SKIP_1) | instid1(VALU_DEP_4)
	v_and_b32_e32 v0, v0, v15
	v_lshlrev_b32_e32 v15, 24, v17
	v_xor_b32_e32 v16, s16, v16
	v_cmp_gt_i32_e64 s16, 0, v18
	v_ashrrev_i32_e32 v17, 31, v19
	s_delay_alu instid0(VALU_DEP_4) | instskip(NEXT) | instid1(VALU_DEP_4)
	v_not_b32_e32 v18, v15
	v_and_b32_e32 v0, v0, v16
	s_delay_alu instid0(VALU_DEP_3) | instskip(SKIP_1) | instid1(VALU_DEP_4)
	v_xor_b32_e32 v16, s16, v17
	v_cmp_gt_i32_e64 s16, 0, v15
	v_ashrrev_i32_e32 v15, 31, v18
	s_delay_alu instid0(VALU_DEP_3) | instskip(NEXT) | instid1(VALU_DEP_2)
	v_and_b32_e32 v0, v0, v16
	v_xor_b32_e32 v15, s16, v15
	s_delay_alu instid0(VALU_DEP_1) | instskip(NEXT) | instid1(VALU_DEP_1)
	v_and_b32_e32 v0, v0, v15
	v_mbcnt_lo_u32_b32 v241, v0, 0
	v_cmp_ne_u32_e64 s17, 0, v0
	s_delay_alu instid0(VALU_DEP_2) | instskip(NEXT) | instid1(VALU_DEP_1)
	v_cmp_eq_u32_e64 s16, 0, v241
	s_and_b32 s17, s17, s16
	s_delay_alu instid0(SALU_CYCLE_1)
	s_and_saveexec_b32 s16, s17
	s_cbranch_execz .LBB711_61
; %bb.60:                               ;   in Loop: Header=BB711_53 Depth=1
	s_waitcnt vmcnt(0) lgkmcnt(0)
	v_bcnt_u32_b32 v0, v0, v240
	flat_store_b32 v[178:179], v0
.LBB711_61:                             ;   in Loop: Header=BB711_53 Depth=1
	s_or_b32 exec_lo, exec_lo, s16
	v_lshrrev_b64 v[15:16], v10, v[116:117]
	; wave barrier
	s_delay_alu instid0(VALU_DEP_1) | instskip(NEXT) | instid1(VALU_DEP_1)
	v_and_b32_e32 v17, v15, v14
	v_lshl_add_u32 v0, v17, 3, v125
	v_lshlrev_b32_e32 v18, 29, v17
	v_lshlrev_b32_e32 v19, 28, v17
	s_delay_alu instid0(VALU_DEP_3) | instskip(SKIP_1) | instid1(VALU_DEP_2)
	v_lshlrev_b64 v[15:16], 2, v[0:1]
	v_and_b32_e32 v0, 1, v17
	v_add_co_u32 v180, s16, v25, v15
	s_delay_alu instid0(VALU_DEP_1) | instskip(NEXT) | instid1(VALU_DEP_3)
	v_add_co_ci_u32_e64 v181, s16, v124, v16, s16
	v_add_co_u32 v0, s16, v0, -1
	s_delay_alu instid0(VALU_DEP_1) | instskip(SKIP_3) | instid1(VALU_DEP_2)
	v_cndmask_b32_e64 v15, 0, 1, s16
	flat_load_b32 v242, v[180:181]
	v_lshlrev_b32_e32 v16, 30, v17
	; wave barrier
	v_cmp_ne_u32_e64 s16, 0, v15
	v_not_b32_e32 v15, v16
	s_delay_alu instid0(VALU_DEP_2) | instskip(SKIP_1) | instid1(VALU_DEP_3)
	v_xor_b32_e32 v0, s16, v0
	v_cmp_gt_i32_e64 s16, 0, v16
	v_ashrrev_i32_e32 v15, 31, v15
	v_not_b32_e32 v16, v18
	s_delay_alu instid0(VALU_DEP_4) | instskip(NEXT) | instid1(VALU_DEP_3)
	v_and_b32_e32 v0, exec_lo, v0
	v_xor_b32_e32 v15, s16, v15
	v_cmp_gt_i32_e64 s16, 0, v18
	s_delay_alu instid0(VALU_DEP_4) | instskip(SKIP_1) | instid1(VALU_DEP_4)
	v_ashrrev_i32_e32 v16, 31, v16
	v_not_b32_e32 v18, v19
	v_and_b32_e32 v0, v0, v15
	v_lshlrev_b32_e32 v15, 27, v17
	s_delay_alu instid0(VALU_DEP_4) | instskip(SKIP_2) | instid1(VALU_DEP_4)
	v_xor_b32_e32 v16, s16, v16
	v_cmp_gt_i32_e64 s16, 0, v19
	v_ashrrev_i32_e32 v18, 31, v18
	v_not_b32_e32 v19, v15
	s_delay_alu instid0(VALU_DEP_4) | instskip(SKIP_1) | instid1(VALU_DEP_4)
	v_and_b32_e32 v0, v0, v16
	v_lshlrev_b32_e32 v16, 26, v17
	v_xor_b32_e32 v18, s16, v18
	v_cmp_gt_i32_e64 s16, 0, v15
	v_ashrrev_i32_e32 v15, 31, v19
	s_delay_alu instid0(VALU_DEP_4) | instskip(NEXT) | instid1(VALU_DEP_4)
	v_not_b32_e32 v19, v16
	v_and_b32_e32 v0, v0, v18
	v_lshlrev_b32_e32 v18, 25, v17
	s_delay_alu instid0(VALU_DEP_4) | instskip(SKIP_2) | instid1(VALU_DEP_4)
	v_xor_b32_e32 v15, s16, v15
	v_cmp_gt_i32_e64 s16, 0, v16
	v_ashrrev_i32_e32 v16, 31, v19
	v_not_b32_e32 v19, v18
	s_delay_alu instid0(VALU_DEP_4) | instskip(SKIP_1) | instid1(VALU_DEP_4)
	v_and_b32_e32 v0, v0, v15
	v_lshlrev_b32_e32 v15, 24, v17
	v_xor_b32_e32 v16, s16, v16
	v_cmp_gt_i32_e64 s16, 0, v18
	v_ashrrev_i32_e32 v17, 31, v19
	s_delay_alu instid0(VALU_DEP_4) | instskip(NEXT) | instid1(VALU_DEP_4)
	v_not_b32_e32 v18, v15
	v_and_b32_e32 v0, v0, v16
	s_delay_alu instid0(VALU_DEP_3) | instskip(SKIP_1) | instid1(VALU_DEP_4)
	v_xor_b32_e32 v16, s16, v17
	v_cmp_gt_i32_e64 s16, 0, v15
	v_ashrrev_i32_e32 v15, 31, v18
	s_delay_alu instid0(VALU_DEP_3) | instskip(NEXT) | instid1(VALU_DEP_2)
	v_and_b32_e32 v0, v0, v16
	v_xor_b32_e32 v15, s16, v15
	s_delay_alu instid0(VALU_DEP_1) | instskip(NEXT) | instid1(VALU_DEP_1)
	v_and_b32_e32 v0, v0, v15
	v_mbcnt_lo_u32_b32 v243, v0, 0
	v_cmp_ne_u32_e64 s17, 0, v0
	s_delay_alu instid0(VALU_DEP_2) | instskip(NEXT) | instid1(VALU_DEP_1)
	v_cmp_eq_u32_e64 s16, 0, v243
	s_and_b32 s17, s17, s16
	s_delay_alu instid0(SALU_CYCLE_1)
	s_and_saveexec_b32 s16, s17
	s_cbranch_execz .LBB711_63
; %bb.62:                               ;   in Loop: Header=BB711_53 Depth=1
	s_waitcnt vmcnt(0) lgkmcnt(0)
	v_bcnt_u32_b32 v0, v0, v242
	flat_store_b32 v[180:181], v0
.LBB711_63:                             ;   in Loop: Header=BB711_53 Depth=1
	s_or_b32 exec_lo, exec_lo, s16
	v_lshrrev_b64 v[15:16], v10, v[118:119]
	; wave barrier
	s_delay_alu instid0(VALU_DEP_1) | instskip(NEXT) | instid1(VALU_DEP_1)
	v_and_b32_e32 v17, v15, v14
	v_lshl_add_u32 v0, v17, 3, v125
	v_lshlrev_b32_e32 v18, 29, v17
	v_lshlrev_b32_e32 v19, 28, v17
	s_delay_alu instid0(VALU_DEP_3) | instskip(SKIP_1) | instid1(VALU_DEP_2)
	v_lshlrev_b64 v[15:16], 2, v[0:1]
	v_and_b32_e32 v0, 1, v17
	v_add_co_u32 v182, s16, v25, v15
	s_delay_alu instid0(VALU_DEP_1) | instskip(NEXT) | instid1(VALU_DEP_3)
	v_add_co_ci_u32_e64 v183, s16, v124, v16, s16
	v_add_co_u32 v0, s16, v0, -1
	s_delay_alu instid0(VALU_DEP_1) | instskip(SKIP_3) | instid1(VALU_DEP_2)
	v_cndmask_b32_e64 v15, 0, 1, s16
	flat_load_b32 v244, v[182:183]
	v_lshlrev_b32_e32 v16, 30, v17
	; wave barrier
	v_cmp_ne_u32_e64 s16, 0, v15
	v_not_b32_e32 v15, v16
	s_delay_alu instid0(VALU_DEP_2) | instskip(SKIP_1) | instid1(VALU_DEP_3)
	v_xor_b32_e32 v0, s16, v0
	v_cmp_gt_i32_e64 s16, 0, v16
	v_ashrrev_i32_e32 v15, 31, v15
	v_not_b32_e32 v16, v18
	s_delay_alu instid0(VALU_DEP_4) | instskip(NEXT) | instid1(VALU_DEP_3)
	v_and_b32_e32 v0, exec_lo, v0
	v_xor_b32_e32 v15, s16, v15
	v_cmp_gt_i32_e64 s16, 0, v18
	s_delay_alu instid0(VALU_DEP_4) | instskip(SKIP_1) | instid1(VALU_DEP_4)
	v_ashrrev_i32_e32 v16, 31, v16
	v_not_b32_e32 v18, v19
	v_and_b32_e32 v0, v0, v15
	v_lshlrev_b32_e32 v15, 27, v17
	s_delay_alu instid0(VALU_DEP_4) | instskip(SKIP_2) | instid1(VALU_DEP_4)
	v_xor_b32_e32 v16, s16, v16
	v_cmp_gt_i32_e64 s16, 0, v19
	v_ashrrev_i32_e32 v18, 31, v18
	v_not_b32_e32 v19, v15
	s_delay_alu instid0(VALU_DEP_4) | instskip(SKIP_1) | instid1(VALU_DEP_4)
	v_and_b32_e32 v0, v0, v16
	v_lshlrev_b32_e32 v16, 26, v17
	v_xor_b32_e32 v18, s16, v18
	v_cmp_gt_i32_e64 s16, 0, v15
	v_ashrrev_i32_e32 v15, 31, v19
	s_delay_alu instid0(VALU_DEP_4) | instskip(NEXT) | instid1(VALU_DEP_4)
	v_not_b32_e32 v19, v16
	v_and_b32_e32 v0, v0, v18
	v_lshlrev_b32_e32 v18, 25, v17
	s_delay_alu instid0(VALU_DEP_4) | instskip(SKIP_2) | instid1(VALU_DEP_4)
	v_xor_b32_e32 v15, s16, v15
	v_cmp_gt_i32_e64 s16, 0, v16
	v_ashrrev_i32_e32 v16, 31, v19
	v_not_b32_e32 v19, v18
	s_delay_alu instid0(VALU_DEP_4) | instskip(SKIP_1) | instid1(VALU_DEP_4)
	v_and_b32_e32 v0, v0, v15
	v_lshlrev_b32_e32 v15, 24, v17
	v_xor_b32_e32 v16, s16, v16
	v_cmp_gt_i32_e64 s16, 0, v18
	v_ashrrev_i32_e32 v17, 31, v19
	s_delay_alu instid0(VALU_DEP_4) | instskip(NEXT) | instid1(VALU_DEP_4)
	v_not_b32_e32 v18, v15
	v_and_b32_e32 v0, v0, v16
	s_delay_alu instid0(VALU_DEP_3) | instskip(SKIP_1) | instid1(VALU_DEP_4)
	v_xor_b32_e32 v16, s16, v17
	v_cmp_gt_i32_e64 s16, 0, v15
	v_ashrrev_i32_e32 v15, 31, v18
	s_delay_alu instid0(VALU_DEP_3) | instskip(NEXT) | instid1(VALU_DEP_2)
	v_and_b32_e32 v0, v0, v16
	v_xor_b32_e32 v15, s16, v15
	s_delay_alu instid0(VALU_DEP_1) | instskip(NEXT) | instid1(VALU_DEP_1)
	v_and_b32_e32 v0, v0, v15
	v_mbcnt_lo_u32_b32 v245, v0, 0
	v_cmp_ne_u32_e64 s17, 0, v0
	s_delay_alu instid0(VALU_DEP_2) | instskip(NEXT) | instid1(VALU_DEP_1)
	v_cmp_eq_u32_e64 s16, 0, v245
	s_and_b32 s17, s17, s16
	s_delay_alu instid0(SALU_CYCLE_1)
	s_and_saveexec_b32 s16, s17
	s_cbranch_execz .LBB711_65
; %bb.64:                               ;   in Loop: Header=BB711_53 Depth=1
	s_waitcnt vmcnt(0) lgkmcnt(0)
	v_bcnt_u32_b32 v0, v0, v244
	flat_store_b32 v[182:183], v0
.LBB711_65:                             ;   in Loop: Header=BB711_53 Depth=1
	s_or_b32 exec_lo, exec_lo, s16
	v_lshrrev_b64 v[15:16], v10, v[128:129]
	; wave barrier
	s_delay_alu instid0(VALU_DEP_1) | instskip(NEXT) | instid1(VALU_DEP_1)
	v_and_b32_e32 v17, v15, v14
	v_lshl_add_u32 v0, v17, 3, v125
	v_lshlrev_b32_e32 v18, 29, v17
	v_lshlrev_b32_e32 v19, 28, v17
	s_delay_alu instid0(VALU_DEP_3) | instskip(SKIP_1) | instid1(VALU_DEP_2)
	v_lshlrev_b64 v[15:16], 2, v[0:1]
	v_and_b32_e32 v0, 1, v17
	v_add_co_u32 v192, s16, v25, v15
	s_delay_alu instid0(VALU_DEP_1) | instskip(NEXT) | instid1(VALU_DEP_3)
	v_add_co_ci_u32_e64 v193, s16, v124, v16, s16
	v_add_co_u32 v0, s16, v0, -1
	s_delay_alu instid0(VALU_DEP_1) | instskip(SKIP_3) | instid1(VALU_DEP_2)
	v_cndmask_b32_e64 v15, 0, 1, s16
	flat_load_b32 v246, v[192:193]
	v_lshlrev_b32_e32 v16, 30, v17
	; wave barrier
	v_cmp_ne_u32_e64 s16, 0, v15
	v_not_b32_e32 v15, v16
	s_delay_alu instid0(VALU_DEP_2) | instskip(SKIP_1) | instid1(VALU_DEP_3)
	v_xor_b32_e32 v0, s16, v0
	v_cmp_gt_i32_e64 s16, 0, v16
	v_ashrrev_i32_e32 v15, 31, v15
	v_not_b32_e32 v16, v18
	s_delay_alu instid0(VALU_DEP_4) | instskip(NEXT) | instid1(VALU_DEP_3)
	v_and_b32_e32 v0, exec_lo, v0
	v_xor_b32_e32 v15, s16, v15
	v_cmp_gt_i32_e64 s16, 0, v18
	s_delay_alu instid0(VALU_DEP_4) | instskip(SKIP_1) | instid1(VALU_DEP_4)
	v_ashrrev_i32_e32 v16, 31, v16
	v_not_b32_e32 v18, v19
	v_and_b32_e32 v0, v0, v15
	v_lshlrev_b32_e32 v15, 27, v17
	s_delay_alu instid0(VALU_DEP_4) | instskip(SKIP_2) | instid1(VALU_DEP_4)
	v_xor_b32_e32 v16, s16, v16
	v_cmp_gt_i32_e64 s16, 0, v19
	v_ashrrev_i32_e32 v18, 31, v18
	v_not_b32_e32 v19, v15
	s_delay_alu instid0(VALU_DEP_4) | instskip(SKIP_1) | instid1(VALU_DEP_4)
	v_and_b32_e32 v0, v0, v16
	v_lshlrev_b32_e32 v16, 26, v17
	v_xor_b32_e32 v18, s16, v18
	v_cmp_gt_i32_e64 s16, 0, v15
	v_ashrrev_i32_e32 v15, 31, v19
	s_delay_alu instid0(VALU_DEP_4) | instskip(NEXT) | instid1(VALU_DEP_4)
	v_not_b32_e32 v19, v16
	v_and_b32_e32 v0, v0, v18
	v_lshlrev_b32_e32 v18, 25, v17
	s_delay_alu instid0(VALU_DEP_4) | instskip(SKIP_2) | instid1(VALU_DEP_4)
	v_xor_b32_e32 v15, s16, v15
	v_cmp_gt_i32_e64 s16, 0, v16
	v_ashrrev_i32_e32 v16, 31, v19
	v_not_b32_e32 v19, v18
	s_delay_alu instid0(VALU_DEP_4) | instskip(SKIP_1) | instid1(VALU_DEP_4)
	v_and_b32_e32 v0, v0, v15
	v_lshlrev_b32_e32 v15, 24, v17
	v_xor_b32_e32 v16, s16, v16
	v_cmp_gt_i32_e64 s16, 0, v18
	v_ashrrev_i32_e32 v17, 31, v19
	s_delay_alu instid0(VALU_DEP_4) | instskip(NEXT) | instid1(VALU_DEP_4)
	v_not_b32_e32 v18, v15
	v_and_b32_e32 v0, v0, v16
	s_delay_alu instid0(VALU_DEP_3) | instskip(SKIP_1) | instid1(VALU_DEP_4)
	v_xor_b32_e32 v16, s16, v17
	v_cmp_gt_i32_e64 s16, 0, v15
	v_ashrrev_i32_e32 v15, 31, v18
	s_delay_alu instid0(VALU_DEP_3) | instskip(NEXT) | instid1(VALU_DEP_2)
	v_and_b32_e32 v0, v0, v16
	v_xor_b32_e32 v15, s16, v15
	s_delay_alu instid0(VALU_DEP_1) | instskip(NEXT) | instid1(VALU_DEP_1)
	v_and_b32_e32 v0, v0, v15
	v_mbcnt_lo_u32_b32 v247, v0, 0
	v_cmp_ne_u32_e64 s17, 0, v0
	s_delay_alu instid0(VALU_DEP_2) | instskip(NEXT) | instid1(VALU_DEP_1)
	v_cmp_eq_u32_e64 s16, 0, v247
	s_and_b32 s17, s17, s16
	s_delay_alu instid0(SALU_CYCLE_1)
	s_and_saveexec_b32 s16, s17
	s_cbranch_execz .LBB711_67
; %bb.66:                               ;   in Loop: Header=BB711_53 Depth=1
	s_waitcnt vmcnt(0) lgkmcnt(0)
	v_bcnt_u32_b32 v0, v0, v246
	flat_store_b32 v[192:193], v0
.LBB711_67:                             ;   in Loop: Header=BB711_53 Depth=1
	s_or_b32 exec_lo, exec_lo, s16
	v_lshrrev_b64 v[15:16], v10, v[134:135]
	; wave barrier
	s_delay_alu instid0(VALU_DEP_1) | instskip(NEXT) | instid1(VALU_DEP_1)
	v_and_b32_e32 v17, v15, v14
	v_lshl_add_u32 v0, v17, 3, v125
	v_lshlrev_b32_e32 v18, 29, v17
	v_lshlrev_b32_e32 v19, 28, v17
	s_delay_alu instid0(VALU_DEP_3) | instskip(SKIP_1) | instid1(VALU_DEP_2)
	v_lshlrev_b64 v[15:16], 2, v[0:1]
	v_and_b32_e32 v0, 1, v17
	v_add_co_u32 v194, s16, v25, v15
	s_delay_alu instid0(VALU_DEP_1) | instskip(NEXT) | instid1(VALU_DEP_3)
	v_add_co_ci_u32_e64 v195, s16, v124, v16, s16
	v_add_co_u32 v0, s16, v0, -1
	s_delay_alu instid0(VALU_DEP_1) | instskip(SKIP_3) | instid1(VALU_DEP_2)
	v_cndmask_b32_e64 v15, 0, 1, s16
	flat_load_b32 v40, v[194:195]
	v_lshlrev_b32_e32 v16, 30, v17
	; wave barrier
	v_cmp_ne_u32_e64 s16, 0, v15
	v_not_b32_e32 v15, v16
	s_delay_alu instid0(VALU_DEP_2) | instskip(SKIP_1) | instid1(VALU_DEP_3)
	v_xor_b32_e32 v0, s16, v0
	v_cmp_gt_i32_e64 s16, 0, v16
	v_ashrrev_i32_e32 v15, 31, v15
	v_not_b32_e32 v16, v18
	s_delay_alu instid0(VALU_DEP_4) | instskip(NEXT) | instid1(VALU_DEP_3)
	v_and_b32_e32 v0, exec_lo, v0
	v_xor_b32_e32 v15, s16, v15
	v_cmp_gt_i32_e64 s16, 0, v18
	s_delay_alu instid0(VALU_DEP_4) | instskip(SKIP_1) | instid1(VALU_DEP_4)
	v_ashrrev_i32_e32 v16, 31, v16
	v_not_b32_e32 v18, v19
	v_and_b32_e32 v0, v0, v15
	v_lshlrev_b32_e32 v15, 27, v17
	s_delay_alu instid0(VALU_DEP_4) | instskip(SKIP_2) | instid1(VALU_DEP_4)
	v_xor_b32_e32 v16, s16, v16
	v_cmp_gt_i32_e64 s16, 0, v19
	v_ashrrev_i32_e32 v18, 31, v18
	v_not_b32_e32 v19, v15
	s_delay_alu instid0(VALU_DEP_4) | instskip(SKIP_1) | instid1(VALU_DEP_4)
	v_and_b32_e32 v0, v0, v16
	v_lshlrev_b32_e32 v16, 26, v17
	v_xor_b32_e32 v18, s16, v18
	v_cmp_gt_i32_e64 s16, 0, v15
	v_ashrrev_i32_e32 v15, 31, v19
	s_delay_alu instid0(VALU_DEP_4) | instskip(NEXT) | instid1(VALU_DEP_4)
	v_not_b32_e32 v19, v16
	v_and_b32_e32 v0, v0, v18
	v_lshlrev_b32_e32 v18, 25, v17
	s_delay_alu instid0(VALU_DEP_4) | instskip(SKIP_2) | instid1(VALU_DEP_4)
	v_xor_b32_e32 v15, s16, v15
	v_cmp_gt_i32_e64 s16, 0, v16
	v_ashrrev_i32_e32 v16, 31, v19
	v_not_b32_e32 v19, v18
	s_delay_alu instid0(VALU_DEP_4) | instskip(SKIP_1) | instid1(VALU_DEP_4)
	v_and_b32_e32 v0, v0, v15
	v_lshlrev_b32_e32 v15, 24, v17
	v_xor_b32_e32 v16, s16, v16
	v_cmp_gt_i32_e64 s16, 0, v18
	v_ashrrev_i32_e32 v17, 31, v19
	s_delay_alu instid0(VALU_DEP_4) | instskip(NEXT) | instid1(VALU_DEP_4)
	v_not_b32_e32 v18, v15
	v_and_b32_e32 v0, v0, v16
	s_delay_alu instid0(VALU_DEP_3) | instskip(SKIP_1) | instid1(VALU_DEP_4)
	v_xor_b32_e32 v16, s16, v17
	v_cmp_gt_i32_e64 s16, 0, v15
	v_ashrrev_i32_e32 v15, 31, v18
	s_delay_alu instid0(VALU_DEP_3) | instskip(NEXT) | instid1(VALU_DEP_2)
	v_and_b32_e32 v0, v0, v16
	v_xor_b32_e32 v15, s16, v15
	s_delay_alu instid0(VALU_DEP_1) | instskip(NEXT) | instid1(VALU_DEP_1)
	v_and_b32_e32 v0, v0, v15
	v_mbcnt_lo_u32_b32 v41, v0, 0
	v_cmp_ne_u32_e64 s17, 0, v0
	s_delay_alu instid0(VALU_DEP_2) | instskip(NEXT) | instid1(VALU_DEP_1)
	v_cmp_eq_u32_e64 s16, 0, v41
	s_and_b32 s17, s17, s16
	s_delay_alu instid0(SALU_CYCLE_1)
	s_and_saveexec_b32 s16, s17
	s_cbranch_execz .LBB711_69
; %bb.68:                               ;   in Loop: Header=BB711_53 Depth=1
	s_waitcnt vmcnt(0) lgkmcnt(0)
	v_bcnt_u32_b32 v0, v0, v40
	flat_store_b32 v[194:195], v0
.LBB711_69:                             ;   in Loop: Header=BB711_53 Depth=1
	s_or_b32 exec_lo, exec_lo, s16
	v_lshrrev_b64 v[15:16], v10, v[132:133]
	; wave barrier
	s_delay_alu instid0(VALU_DEP_1) | instskip(NEXT) | instid1(VALU_DEP_1)
	v_and_b32_e32 v17, v15, v14
	v_lshl_add_u32 v0, v17, 3, v125
	v_lshlrev_b32_e32 v18, 29, v17
	v_lshlrev_b32_e32 v19, 28, v17
	s_delay_alu instid0(VALU_DEP_3) | instskip(SKIP_1) | instid1(VALU_DEP_2)
	v_lshlrev_b64 v[15:16], 2, v[0:1]
	v_and_b32_e32 v0, 1, v17
	v_add_co_u32 v196, s16, v25, v15
	s_delay_alu instid0(VALU_DEP_1) | instskip(NEXT) | instid1(VALU_DEP_3)
	v_add_co_ci_u32_e64 v197, s16, v124, v16, s16
	v_add_co_u32 v0, s16, v0, -1
	s_delay_alu instid0(VALU_DEP_1) | instskip(SKIP_3) | instid1(VALU_DEP_2)
	v_cndmask_b32_e64 v15, 0, 1, s16
	flat_load_b32 v42, v[196:197]
	v_lshlrev_b32_e32 v16, 30, v17
	; wave barrier
	v_cmp_ne_u32_e64 s16, 0, v15
	v_not_b32_e32 v15, v16
	s_delay_alu instid0(VALU_DEP_2) | instskip(SKIP_1) | instid1(VALU_DEP_3)
	v_xor_b32_e32 v0, s16, v0
	v_cmp_gt_i32_e64 s16, 0, v16
	v_ashrrev_i32_e32 v15, 31, v15
	v_not_b32_e32 v16, v18
	s_delay_alu instid0(VALU_DEP_4) | instskip(NEXT) | instid1(VALU_DEP_3)
	v_and_b32_e32 v0, exec_lo, v0
	v_xor_b32_e32 v15, s16, v15
	v_cmp_gt_i32_e64 s16, 0, v18
	s_delay_alu instid0(VALU_DEP_4) | instskip(SKIP_1) | instid1(VALU_DEP_4)
	v_ashrrev_i32_e32 v16, 31, v16
	v_not_b32_e32 v18, v19
	v_and_b32_e32 v0, v0, v15
	v_lshlrev_b32_e32 v15, 27, v17
	s_delay_alu instid0(VALU_DEP_4) | instskip(SKIP_2) | instid1(VALU_DEP_4)
	v_xor_b32_e32 v16, s16, v16
	v_cmp_gt_i32_e64 s16, 0, v19
	v_ashrrev_i32_e32 v18, 31, v18
	v_not_b32_e32 v19, v15
	s_delay_alu instid0(VALU_DEP_4) | instskip(SKIP_1) | instid1(VALU_DEP_4)
	v_and_b32_e32 v0, v0, v16
	v_lshlrev_b32_e32 v16, 26, v17
	v_xor_b32_e32 v18, s16, v18
	v_cmp_gt_i32_e64 s16, 0, v15
	v_ashrrev_i32_e32 v15, 31, v19
	s_delay_alu instid0(VALU_DEP_4) | instskip(NEXT) | instid1(VALU_DEP_4)
	v_not_b32_e32 v19, v16
	v_and_b32_e32 v0, v0, v18
	v_lshlrev_b32_e32 v18, 25, v17
	s_delay_alu instid0(VALU_DEP_4) | instskip(SKIP_2) | instid1(VALU_DEP_4)
	v_xor_b32_e32 v15, s16, v15
	v_cmp_gt_i32_e64 s16, 0, v16
	v_ashrrev_i32_e32 v16, 31, v19
	v_not_b32_e32 v19, v18
	s_delay_alu instid0(VALU_DEP_4) | instskip(SKIP_1) | instid1(VALU_DEP_4)
	v_and_b32_e32 v0, v0, v15
	v_lshlrev_b32_e32 v15, 24, v17
	v_xor_b32_e32 v16, s16, v16
	v_cmp_gt_i32_e64 s16, 0, v18
	v_ashrrev_i32_e32 v17, 31, v19
	s_delay_alu instid0(VALU_DEP_4) | instskip(NEXT) | instid1(VALU_DEP_4)
	v_not_b32_e32 v18, v15
	v_and_b32_e32 v0, v0, v16
	s_delay_alu instid0(VALU_DEP_3) | instskip(SKIP_1) | instid1(VALU_DEP_4)
	v_xor_b32_e32 v16, s16, v17
	v_cmp_gt_i32_e64 s16, 0, v15
	v_ashrrev_i32_e32 v15, 31, v18
	s_delay_alu instid0(VALU_DEP_3) | instskip(NEXT) | instid1(VALU_DEP_2)
	v_and_b32_e32 v0, v0, v16
	v_xor_b32_e32 v15, s16, v15
	s_delay_alu instid0(VALU_DEP_1) | instskip(NEXT) | instid1(VALU_DEP_1)
	v_and_b32_e32 v0, v0, v15
	v_mbcnt_lo_u32_b32 v43, v0, 0
	v_cmp_ne_u32_e64 s17, 0, v0
	s_delay_alu instid0(VALU_DEP_2) | instskip(NEXT) | instid1(VALU_DEP_1)
	v_cmp_eq_u32_e64 s16, 0, v43
	s_and_b32 s17, s17, s16
	s_delay_alu instid0(SALU_CYCLE_1)
	s_and_saveexec_b32 s16, s17
	s_cbranch_execz .LBB711_71
; %bb.70:                               ;   in Loop: Header=BB711_53 Depth=1
	s_waitcnt vmcnt(0) lgkmcnt(0)
	v_bcnt_u32_b32 v0, v0, v42
	flat_store_b32 v[196:197], v0
.LBB711_71:                             ;   in Loop: Header=BB711_53 Depth=1
	s_or_b32 exec_lo, exec_lo, s16
	v_lshrrev_b64 v[15:16], v10, v[130:131]
	; wave barrier
	s_delay_alu instid0(VALU_DEP_1) | instskip(NEXT) | instid1(VALU_DEP_1)
	v_and_b32_e32 v17, v15, v14
	v_lshl_add_u32 v0, v17, 3, v125
	v_lshlrev_b32_e32 v18, 29, v17
	v_lshlrev_b32_e32 v19, 28, v17
	s_delay_alu instid0(VALU_DEP_3) | instskip(SKIP_1) | instid1(VALU_DEP_2)
	v_lshlrev_b64 v[15:16], 2, v[0:1]
	v_and_b32_e32 v0, 1, v17
	v_add_co_u32 v198, s16, v25, v15
	s_delay_alu instid0(VALU_DEP_1) | instskip(NEXT) | instid1(VALU_DEP_3)
	v_add_co_ci_u32_e64 v199, s16, v124, v16, s16
	v_add_co_u32 v0, s16, v0, -1
	s_delay_alu instid0(VALU_DEP_1) | instskip(SKIP_3) | instid1(VALU_DEP_2)
	v_cndmask_b32_e64 v15, 0, 1, s16
	flat_load_b32 v44, v[198:199]
	v_lshlrev_b32_e32 v16, 30, v17
	; wave barrier
	v_cmp_ne_u32_e64 s16, 0, v15
	v_not_b32_e32 v15, v16
	s_delay_alu instid0(VALU_DEP_2) | instskip(SKIP_1) | instid1(VALU_DEP_3)
	v_xor_b32_e32 v0, s16, v0
	v_cmp_gt_i32_e64 s16, 0, v16
	v_ashrrev_i32_e32 v15, 31, v15
	v_not_b32_e32 v16, v18
	s_delay_alu instid0(VALU_DEP_4) | instskip(NEXT) | instid1(VALU_DEP_3)
	v_and_b32_e32 v0, exec_lo, v0
	v_xor_b32_e32 v15, s16, v15
	v_cmp_gt_i32_e64 s16, 0, v18
	s_delay_alu instid0(VALU_DEP_4) | instskip(SKIP_1) | instid1(VALU_DEP_4)
	v_ashrrev_i32_e32 v16, 31, v16
	v_not_b32_e32 v18, v19
	v_and_b32_e32 v0, v0, v15
	v_lshlrev_b32_e32 v15, 27, v17
	s_delay_alu instid0(VALU_DEP_4) | instskip(SKIP_2) | instid1(VALU_DEP_4)
	v_xor_b32_e32 v16, s16, v16
	v_cmp_gt_i32_e64 s16, 0, v19
	v_ashrrev_i32_e32 v18, 31, v18
	v_not_b32_e32 v19, v15
	s_delay_alu instid0(VALU_DEP_4) | instskip(SKIP_1) | instid1(VALU_DEP_4)
	v_and_b32_e32 v0, v0, v16
	v_lshlrev_b32_e32 v16, 26, v17
	v_xor_b32_e32 v18, s16, v18
	v_cmp_gt_i32_e64 s16, 0, v15
	v_ashrrev_i32_e32 v15, 31, v19
	s_delay_alu instid0(VALU_DEP_4) | instskip(NEXT) | instid1(VALU_DEP_4)
	v_not_b32_e32 v19, v16
	v_and_b32_e32 v0, v0, v18
	v_lshlrev_b32_e32 v18, 25, v17
	s_delay_alu instid0(VALU_DEP_4) | instskip(SKIP_2) | instid1(VALU_DEP_4)
	v_xor_b32_e32 v15, s16, v15
	v_cmp_gt_i32_e64 s16, 0, v16
	v_ashrrev_i32_e32 v16, 31, v19
	v_not_b32_e32 v19, v18
	s_delay_alu instid0(VALU_DEP_4) | instskip(SKIP_1) | instid1(VALU_DEP_4)
	v_and_b32_e32 v0, v0, v15
	v_lshlrev_b32_e32 v15, 24, v17
	v_xor_b32_e32 v16, s16, v16
	v_cmp_gt_i32_e64 s16, 0, v18
	v_ashrrev_i32_e32 v17, 31, v19
	s_delay_alu instid0(VALU_DEP_4) | instskip(NEXT) | instid1(VALU_DEP_4)
	v_not_b32_e32 v18, v15
	v_and_b32_e32 v0, v0, v16
	s_delay_alu instid0(VALU_DEP_3) | instskip(SKIP_1) | instid1(VALU_DEP_4)
	v_xor_b32_e32 v16, s16, v17
	v_cmp_gt_i32_e64 s16, 0, v15
	v_ashrrev_i32_e32 v15, 31, v18
	s_delay_alu instid0(VALU_DEP_3) | instskip(NEXT) | instid1(VALU_DEP_2)
	v_and_b32_e32 v0, v0, v16
	v_xor_b32_e32 v15, s16, v15
	s_delay_alu instid0(VALU_DEP_1) | instskip(NEXT) | instid1(VALU_DEP_1)
	v_and_b32_e32 v0, v0, v15
	v_mbcnt_lo_u32_b32 v45, v0, 0
	v_cmp_ne_u32_e64 s17, 0, v0
	s_delay_alu instid0(VALU_DEP_2) | instskip(NEXT) | instid1(VALU_DEP_1)
	v_cmp_eq_u32_e64 s16, 0, v45
	s_and_b32 s17, s17, s16
	s_delay_alu instid0(SALU_CYCLE_1)
	s_and_saveexec_b32 s16, s17
	s_cbranch_execz .LBB711_73
; %bb.72:                               ;   in Loop: Header=BB711_53 Depth=1
	s_waitcnt vmcnt(0) lgkmcnt(0)
	v_bcnt_u32_b32 v0, v0, v44
	flat_store_b32 v[198:199], v0
.LBB711_73:                             ;   in Loop: Header=BB711_53 Depth=1
	s_or_b32 exec_lo, exec_lo, s16
	v_lshrrev_b64 v[15:16], v10, v[150:151]
	; wave barrier
	s_delay_alu instid0(VALU_DEP_1) | instskip(NEXT) | instid1(VALU_DEP_1)
	v_and_b32_e32 v17, v15, v14
	v_lshl_add_u32 v0, v17, 3, v125
	v_lshlrev_b32_e32 v18, 29, v17
	v_lshlrev_b32_e32 v19, 28, v17
	s_delay_alu instid0(VALU_DEP_3) | instskip(SKIP_1) | instid1(VALU_DEP_2)
	v_lshlrev_b64 v[15:16], 2, v[0:1]
	v_and_b32_e32 v0, 1, v17
	v_add_co_u32 v208, s16, v25, v15
	s_delay_alu instid0(VALU_DEP_1) | instskip(NEXT) | instid1(VALU_DEP_3)
	v_add_co_ci_u32_e64 v209, s16, v124, v16, s16
	v_add_co_u32 v0, s16, v0, -1
	s_delay_alu instid0(VALU_DEP_1) | instskip(SKIP_3) | instid1(VALU_DEP_2)
	v_cndmask_b32_e64 v15, 0, 1, s16
	flat_load_b32 v46, v[208:209]
	v_lshlrev_b32_e32 v16, 30, v17
	; wave barrier
	v_cmp_ne_u32_e64 s16, 0, v15
	v_not_b32_e32 v15, v16
	s_delay_alu instid0(VALU_DEP_2) | instskip(SKIP_1) | instid1(VALU_DEP_3)
	v_xor_b32_e32 v0, s16, v0
	v_cmp_gt_i32_e64 s16, 0, v16
	v_ashrrev_i32_e32 v15, 31, v15
	v_not_b32_e32 v16, v18
	s_delay_alu instid0(VALU_DEP_4) | instskip(NEXT) | instid1(VALU_DEP_3)
	v_and_b32_e32 v0, exec_lo, v0
	v_xor_b32_e32 v15, s16, v15
	v_cmp_gt_i32_e64 s16, 0, v18
	s_delay_alu instid0(VALU_DEP_4) | instskip(SKIP_1) | instid1(VALU_DEP_4)
	v_ashrrev_i32_e32 v16, 31, v16
	v_not_b32_e32 v18, v19
	v_and_b32_e32 v0, v0, v15
	v_lshlrev_b32_e32 v15, 27, v17
	s_delay_alu instid0(VALU_DEP_4) | instskip(SKIP_2) | instid1(VALU_DEP_4)
	v_xor_b32_e32 v16, s16, v16
	v_cmp_gt_i32_e64 s16, 0, v19
	v_ashrrev_i32_e32 v18, 31, v18
	v_not_b32_e32 v19, v15
	s_delay_alu instid0(VALU_DEP_4) | instskip(SKIP_1) | instid1(VALU_DEP_4)
	v_and_b32_e32 v0, v0, v16
	v_lshlrev_b32_e32 v16, 26, v17
	v_xor_b32_e32 v18, s16, v18
	v_cmp_gt_i32_e64 s16, 0, v15
	v_ashrrev_i32_e32 v15, 31, v19
	s_delay_alu instid0(VALU_DEP_4) | instskip(NEXT) | instid1(VALU_DEP_4)
	v_not_b32_e32 v19, v16
	v_and_b32_e32 v0, v0, v18
	v_lshlrev_b32_e32 v18, 25, v17
	s_delay_alu instid0(VALU_DEP_4) | instskip(SKIP_2) | instid1(VALU_DEP_4)
	v_xor_b32_e32 v15, s16, v15
	v_cmp_gt_i32_e64 s16, 0, v16
	v_ashrrev_i32_e32 v16, 31, v19
	v_not_b32_e32 v19, v18
	s_delay_alu instid0(VALU_DEP_4) | instskip(SKIP_1) | instid1(VALU_DEP_4)
	v_and_b32_e32 v0, v0, v15
	v_lshlrev_b32_e32 v15, 24, v17
	v_xor_b32_e32 v16, s16, v16
	v_cmp_gt_i32_e64 s16, 0, v18
	v_ashrrev_i32_e32 v17, 31, v19
	s_delay_alu instid0(VALU_DEP_4) | instskip(NEXT) | instid1(VALU_DEP_4)
	v_not_b32_e32 v18, v15
	v_and_b32_e32 v0, v0, v16
	s_delay_alu instid0(VALU_DEP_3) | instskip(SKIP_1) | instid1(VALU_DEP_4)
	v_xor_b32_e32 v16, s16, v17
	v_cmp_gt_i32_e64 s16, 0, v15
	v_ashrrev_i32_e32 v15, 31, v18
	s_delay_alu instid0(VALU_DEP_3) | instskip(NEXT) | instid1(VALU_DEP_2)
	v_and_b32_e32 v0, v0, v16
	v_xor_b32_e32 v15, s16, v15
	s_delay_alu instid0(VALU_DEP_1) | instskip(NEXT) | instid1(VALU_DEP_1)
	v_and_b32_e32 v0, v0, v15
	v_mbcnt_lo_u32_b32 v56, v0, 0
	v_cmp_ne_u32_e64 s17, 0, v0
	s_delay_alu instid0(VALU_DEP_2) | instskip(NEXT) | instid1(VALU_DEP_1)
	v_cmp_eq_u32_e64 s16, 0, v56
	s_and_b32 s17, s17, s16
	s_delay_alu instid0(SALU_CYCLE_1)
	s_and_saveexec_b32 s16, s17
	s_cbranch_execz .LBB711_75
; %bb.74:                               ;   in Loop: Header=BB711_53 Depth=1
	s_waitcnt vmcnt(0) lgkmcnt(0)
	v_bcnt_u32_b32 v0, v0, v46
	flat_store_b32 v[208:209], v0
.LBB711_75:                             ;   in Loop: Header=BB711_53 Depth=1
	s_or_b32 exec_lo, exec_lo, s16
	v_lshrrev_b64 v[15:16], v10, v[148:149]
	; wave barrier
	s_delay_alu instid0(VALU_DEP_1) | instskip(NEXT) | instid1(VALU_DEP_1)
	v_and_b32_e32 v17, v15, v14
	v_lshl_add_u32 v0, v17, 3, v125
	v_lshlrev_b32_e32 v18, 29, v17
	v_lshlrev_b32_e32 v19, 28, v17
	s_delay_alu instid0(VALU_DEP_3) | instskip(SKIP_1) | instid1(VALU_DEP_2)
	v_lshlrev_b64 v[15:16], 2, v[0:1]
	v_and_b32_e32 v0, 1, v17
	v_add_co_u32 v210, s16, v25, v15
	s_delay_alu instid0(VALU_DEP_1) | instskip(NEXT) | instid1(VALU_DEP_3)
	v_add_co_ci_u32_e64 v211, s16, v124, v16, s16
	v_add_co_u32 v0, s16, v0, -1
	s_delay_alu instid0(VALU_DEP_1) | instskip(SKIP_3) | instid1(VALU_DEP_2)
	v_cndmask_b32_e64 v15, 0, 1, s16
	flat_load_b32 v57, v[210:211]
	v_lshlrev_b32_e32 v16, 30, v17
	; wave barrier
	v_cmp_ne_u32_e64 s16, 0, v15
	v_not_b32_e32 v15, v16
	s_delay_alu instid0(VALU_DEP_2) | instskip(SKIP_1) | instid1(VALU_DEP_3)
	v_xor_b32_e32 v0, s16, v0
	v_cmp_gt_i32_e64 s16, 0, v16
	v_ashrrev_i32_e32 v15, 31, v15
	v_not_b32_e32 v16, v18
	s_delay_alu instid0(VALU_DEP_4) | instskip(NEXT) | instid1(VALU_DEP_3)
	v_and_b32_e32 v0, exec_lo, v0
	v_xor_b32_e32 v15, s16, v15
	v_cmp_gt_i32_e64 s16, 0, v18
	s_delay_alu instid0(VALU_DEP_4) | instskip(SKIP_1) | instid1(VALU_DEP_4)
	v_ashrrev_i32_e32 v16, 31, v16
	v_not_b32_e32 v18, v19
	v_and_b32_e32 v0, v0, v15
	v_lshlrev_b32_e32 v15, 27, v17
	s_delay_alu instid0(VALU_DEP_4) | instskip(SKIP_2) | instid1(VALU_DEP_4)
	v_xor_b32_e32 v16, s16, v16
	v_cmp_gt_i32_e64 s16, 0, v19
	v_ashrrev_i32_e32 v18, 31, v18
	v_not_b32_e32 v19, v15
	s_delay_alu instid0(VALU_DEP_4) | instskip(SKIP_1) | instid1(VALU_DEP_4)
	v_and_b32_e32 v0, v0, v16
	v_lshlrev_b32_e32 v16, 26, v17
	v_xor_b32_e32 v18, s16, v18
	v_cmp_gt_i32_e64 s16, 0, v15
	v_ashrrev_i32_e32 v15, 31, v19
	s_delay_alu instid0(VALU_DEP_4) | instskip(NEXT) | instid1(VALU_DEP_4)
	v_not_b32_e32 v19, v16
	v_and_b32_e32 v0, v0, v18
	v_lshlrev_b32_e32 v18, 25, v17
	s_delay_alu instid0(VALU_DEP_4) | instskip(SKIP_2) | instid1(VALU_DEP_4)
	v_xor_b32_e32 v15, s16, v15
	v_cmp_gt_i32_e64 s16, 0, v16
	v_ashrrev_i32_e32 v16, 31, v19
	v_not_b32_e32 v19, v18
	s_delay_alu instid0(VALU_DEP_4) | instskip(SKIP_1) | instid1(VALU_DEP_4)
	v_and_b32_e32 v0, v0, v15
	v_lshlrev_b32_e32 v15, 24, v17
	v_xor_b32_e32 v16, s16, v16
	v_cmp_gt_i32_e64 s16, 0, v18
	v_ashrrev_i32_e32 v17, 31, v19
	s_delay_alu instid0(VALU_DEP_4) | instskip(NEXT) | instid1(VALU_DEP_4)
	v_not_b32_e32 v18, v15
	v_and_b32_e32 v0, v0, v16
	s_delay_alu instid0(VALU_DEP_3) | instskip(SKIP_1) | instid1(VALU_DEP_4)
	v_xor_b32_e32 v16, s16, v17
	v_cmp_gt_i32_e64 s16, 0, v15
	v_ashrrev_i32_e32 v15, 31, v18
	s_delay_alu instid0(VALU_DEP_3) | instskip(NEXT) | instid1(VALU_DEP_2)
	v_and_b32_e32 v0, v0, v16
	v_xor_b32_e32 v15, s16, v15
	s_delay_alu instid0(VALU_DEP_1) | instskip(NEXT) | instid1(VALU_DEP_1)
	v_and_b32_e32 v0, v0, v15
	v_mbcnt_lo_u32_b32 v58, v0, 0
	v_cmp_ne_u32_e64 s17, 0, v0
	s_delay_alu instid0(VALU_DEP_2) | instskip(NEXT) | instid1(VALU_DEP_1)
	v_cmp_eq_u32_e64 s16, 0, v58
	s_and_b32 s17, s17, s16
	s_delay_alu instid0(SALU_CYCLE_1)
	s_and_saveexec_b32 s16, s17
	s_cbranch_execz .LBB711_77
; %bb.76:                               ;   in Loop: Header=BB711_53 Depth=1
	s_waitcnt vmcnt(0) lgkmcnt(0)
	v_bcnt_u32_b32 v0, v0, v57
	flat_store_b32 v[210:211], v0
.LBB711_77:                             ;   in Loop: Header=BB711_53 Depth=1
	s_or_b32 exec_lo, exec_lo, s16
	v_lshrrev_b64 v[15:16], v10, v[146:147]
	; wave barrier
	s_delay_alu instid0(VALU_DEP_1) | instskip(NEXT) | instid1(VALU_DEP_1)
	v_and_b32_e32 v17, v15, v14
	v_lshl_add_u32 v0, v17, 3, v125
	v_lshlrev_b32_e32 v18, 29, v17
	v_lshlrev_b32_e32 v19, 28, v17
	s_delay_alu instid0(VALU_DEP_3) | instskip(SKIP_1) | instid1(VALU_DEP_2)
	v_lshlrev_b64 v[15:16], 2, v[0:1]
	v_and_b32_e32 v0, 1, v17
	v_add_co_u32 v212, s16, v25, v15
	s_delay_alu instid0(VALU_DEP_1) | instskip(NEXT) | instid1(VALU_DEP_3)
	v_add_co_ci_u32_e64 v213, s16, v124, v16, s16
	v_add_co_u32 v0, s16, v0, -1
	s_delay_alu instid0(VALU_DEP_1) | instskip(SKIP_3) | instid1(VALU_DEP_2)
	v_cndmask_b32_e64 v15, 0, 1, s16
	flat_load_b32 v59, v[212:213]
	v_lshlrev_b32_e32 v16, 30, v17
	; wave barrier
	v_cmp_ne_u32_e64 s16, 0, v15
	v_not_b32_e32 v15, v16
	s_delay_alu instid0(VALU_DEP_2) | instskip(SKIP_1) | instid1(VALU_DEP_3)
	v_xor_b32_e32 v0, s16, v0
	v_cmp_gt_i32_e64 s16, 0, v16
	v_ashrrev_i32_e32 v15, 31, v15
	v_not_b32_e32 v16, v18
	s_delay_alu instid0(VALU_DEP_4) | instskip(NEXT) | instid1(VALU_DEP_3)
	v_and_b32_e32 v0, exec_lo, v0
	v_xor_b32_e32 v15, s16, v15
	v_cmp_gt_i32_e64 s16, 0, v18
	s_delay_alu instid0(VALU_DEP_4) | instskip(SKIP_1) | instid1(VALU_DEP_4)
	v_ashrrev_i32_e32 v16, 31, v16
	v_not_b32_e32 v18, v19
	v_and_b32_e32 v0, v0, v15
	v_lshlrev_b32_e32 v15, 27, v17
	s_delay_alu instid0(VALU_DEP_4) | instskip(SKIP_2) | instid1(VALU_DEP_4)
	v_xor_b32_e32 v16, s16, v16
	v_cmp_gt_i32_e64 s16, 0, v19
	v_ashrrev_i32_e32 v18, 31, v18
	v_not_b32_e32 v19, v15
	s_delay_alu instid0(VALU_DEP_4) | instskip(SKIP_1) | instid1(VALU_DEP_4)
	v_and_b32_e32 v0, v0, v16
	v_lshlrev_b32_e32 v16, 26, v17
	v_xor_b32_e32 v18, s16, v18
	v_cmp_gt_i32_e64 s16, 0, v15
	v_ashrrev_i32_e32 v15, 31, v19
	s_delay_alu instid0(VALU_DEP_4) | instskip(NEXT) | instid1(VALU_DEP_4)
	v_not_b32_e32 v19, v16
	v_and_b32_e32 v0, v0, v18
	v_lshlrev_b32_e32 v18, 25, v17
	s_delay_alu instid0(VALU_DEP_4) | instskip(SKIP_2) | instid1(VALU_DEP_4)
	v_xor_b32_e32 v15, s16, v15
	v_cmp_gt_i32_e64 s16, 0, v16
	v_ashrrev_i32_e32 v16, 31, v19
	v_not_b32_e32 v19, v18
	s_delay_alu instid0(VALU_DEP_4) | instskip(SKIP_1) | instid1(VALU_DEP_4)
	v_and_b32_e32 v0, v0, v15
	v_lshlrev_b32_e32 v15, 24, v17
	v_xor_b32_e32 v16, s16, v16
	v_cmp_gt_i32_e64 s16, 0, v18
	v_ashrrev_i32_e32 v17, 31, v19
	s_delay_alu instid0(VALU_DEP_4) | instskip(NEXT) | instid1(VALU_DEP_4)
	v_not_b32_e32 v18, v15
	v_and_b32_e32 v0, v0, v16
	s_delay_alu instid0(VALU_DEP_3) | instskip(SKIP_1) | instid1(VALU_DEP_4)
	v_xor_b32_e32 v16, s16, v17
	v_cmp_gt_i32_e64 s16, 0, v15
	v_ashrrev_i32_e32 v15, 31, v18
	s_delay_alu instid0(VALU_DEP_3) | instskip(NEXT) | instid1(VALU_DEP_2)
	v_and_b32_e32 v0, v0, v16
	v_xor_b32_e32 v15, s16, v15
	s_delay_alu instid0(VALU_DEP_1) | instskip(NEXT) | instid1(VALU_DEP_1)
	v_and_b32_e32 v0, v0, v15
	v_mbcnt_lo_u32_b32 v60, v0, 0
	v_cmp_ne_u32_e64 s17, 0, v0
	s_delay_alu instid0(VALU_DEP_2) | instskip(NEXT) | instid1(VALU_DEP_1)
	v_cmp_eq_u32_e64 s16, 0, v60
	s_and_b32 s17, s17, s16
	s_delay_alu instid0(SALU_CYCLE_1)
	s_and_saveexec_b32 s16, s17
	s_cbranch_execz .LBB711_79
; %bb.78:                               ;   in Loop: Header=BB711_53 Depth=1
	s_waitcnt vmcnt(0) lgkmcnt(0)
	v_bcnt_u32_b32 v0, v0, v59
	flat_store_b32 v[212:213], v0
.LBB711_79:                             ;   in Loop: Header=BB711_53 Depth=1
	s_or_b32 exec_lo, exec_lo, s16
	v_lshrrev_b64 v[15:16], v10, v[144:145]
	; wave barrier
	s_delay_alu instid0(VALU_DEP_1) | instskip(NEXT) | instid1(VALU_DEP_1)
	v_and_b32_e32 v17, v15, v14
	v_lshl_add_u32 v0, v17, 3, v125
	v_lshlrev_b32_e32 v18, 29, v17
	v_lshlrev_b32_e32 v19, 28, v17
	s_delay_alu instid0(VALU_DEP_3) | instskip(SKIP_1) | instid1(VALU_DEP_2)
	v_lshlrev_b64 v[15:16], 2, v[0:1]
	v_and_b32_e32 v0, 1, v17
	v_add_co_u32 v214, s16, v25, v15
	s_delay_alu instid0(VALU_DEP_1) | instskip(NEXT) | instid1(VALU_DEP_3)
	v_add_co_ci_u32_e64 v215, s16, v124, v16, s16
	v_add_co_u32 v0, s16, v0, -1
	s_delay_alu instid0(VALU_DEP_1) | instskip(SKIP_3) | instid1(VALU_DEP_2)
	v_cndmask_b32_e64 v15, 0, 1, s16
	flat_load_b32 v61, v[214:215]
	v_lshlrev_b32_e32 v16, 30, v17
	; wave barrier
	v_cmp_ne_u32_e64 s16, 0, v15
	v_not_b32_e32 v15, v16
	s_delay_alu instid0(VALU_DEP_2) | instskip(SKIP_1) | instid1(VALU_DEP_3)
	v_xor_b32_e32 v0, s16, v0
	v_cmp_gt_i32_e64 s16, 0, v16
	v_ashrrev_i32_e32 v15, 31, v15
	v_not_b32_e32 v16, v18
	s_delay_alu instid0(VALU_DEP_4) | instskip(NEXT) | instid1(VALU_DEP_3)
	v_and_b32_e32 v0, exec_lo, v0
	v_xor_b32_e32 v15, s16, v15
	v_cmp_gt_i32_e64 s16, 0, v18
	s_delay_alu instid0(VALU_DEP_4) | instskip(SKIP_1) | instid1(VALU_DEP_4)
	v_ashrrev_i32_e32 v16, 31, v16
	v_not_b32_e32 v18, v19
	v_and_b32_e32 v0, v0, v15
	v_lshlrev_b32_e32 v15, 27, v17
	s_delay_alu instid0(VALU_DEP_4) | instskip(SKIP_2) | instid1(VALU_DEP_4)
	v_xor_b32_e32 v16, s16, v16
	v_cmp_gt_i32_e64 s16, 0, v19
	v_ashrrev_i32_e32 v18, 31, v18
	v_not_b32_e32 v19, v15
	s_delay_alu instid0(VALU_DEP_4) | instskip(SKIP_1) | instid1(VALU_DEP_4)
	v_and_b32_e32 v0, v0, v16
	v_lshlrev_b32_e32 v16, 26, v17
	v_xor_b32_e32 v18, s16, v18
	v_cmp_gt_i32_e64 s16, 0, v15
	v_ashrrev_i32_e32 v15, 31, v19
	s_delay_alu instid0(VALU_DEP_4) | instskip(NEXT) | instid1(VALU_DEP_4)
	v_not_b32_e32 v19, v16
	v_and_b32_e32 v0, v0, v18
	v_lshlrev_b32_e32 v18, 25, v17
	s_delay_alu instid0(VALU_DEP_4) | instskip(SKIP_2) | instid1(VALU_DEP_4)
	v_xor_b32_e32 v15, s16, v15
	v_cmp_gt_i32_e64 s16, 0, v16
	v_ashrrev_i32_e32 v16, 31, v19
	v_not_b32_e32 v19, v18
	s_delay_alu instid0(VALU_DEP_4) | instskip(SKIP_1) | instid1(VALU_DEP_4)
	v_and_b32_e32 v0, v0, v15
	v_lshlrev_b32_e32 v15, 24, v17
	v_xor_b32_e32 v16, s16, v16
	v_cmp_gt_i32_e64 s16, 0, v18
	v_ashrrev_i32_e32 v17, 31, v19
	s_delay_alu instid0(VALU_DEP_4) | instskip(NEXT) | instid1(VALU_DEP_4)
	v_not_b32_e32 v18, v15
	v_and_b32_e32 v0, v0, v16
	s_delay_alu instid0(VALU_DEP_3) | instskip(SKIP_1) | instid1(VALU_DEP_4)
	v_xor_b32_e32 v16, s16, v17
	v_cmp_gt_i32_e64 s16, 0, v15
	v_ashrrev_i32_e32 v15, 31, v18
	s_delay_alu instid0(VALU_DEP_3) | instskip(NEXT) | instid1(VALU_DEP_2)
	v_and_b32_e32 v0, v0, v16
	v_xor_b32_e32 v15, s16, v15
	s_delay_alu instid0(VALU_DEP_1) | instskip(NEXT) | instid1(VALU_DEP_1)
	v_and_b32_e32 v0, v0, v15
	v_mbcnt_lo_u32_b32 v62, v0, 0
	v_cmp_ne_u32_e64 s17, 0, v0
	s_delay_alu instid0(VALU_DEP_2) | instskip(NEXT) | instid1(VALU_DEP_1)
	v_cmp_eq_u32_e64 s16, 0, v62
	s_and_b32 s17, s17, s16
	s_delay_alu instid0(SALU_CYCLE_1)
	s_and_saveexec_b32 s16, s17
	s_cbranch_execz .LBB711_81
; %bb.80:                               ;   in Loop: Header=BB711_53 Depth=1
	s_waitcnt vmcnt(0) lgkmcnt(0)
	v_bcnt_u32_b32 v0, v0, v61
	flat_store_b32 v[214:215], v0
.LBB711_81:                             ;   in Loop: Header=BB711_53 Depth=1
	s_or_b32 exec_lo, exec_lo, s16
	v_lshrrev_b64 v[15:16], v10, v[160:161]
	; wave barrier
	s_delay_alu instid0(VALU_DEP_1) | instskip(NEXT) | instid1(VALU_DEP_1)
	v_and_b32_e32 v17, v15, v14
	v_lshl_add_u32 v0, v17, 3, v125
	v_lshlrev_b32_e32 v18, 29, v17
	v_lshlrev_b32_e32 v19, 28, v17
	s_delay_alu instid0(VALU_DEP_3) | instskip(SKIP_1) | instid1(VALU_DEP_2)
	v_lshlrev_b64 v[15:16], 2, v[0:1]
	v_and_b32_e32 v0, 1, v17
	v_add_co_u32 v224, s16, v25, v15
	s_delay_alu instid0(VALU_DEP_1) | instskip(NEXT) | instid1(VALU_DEP_3)
	v_add_co_ci_u32_e64 v225, s16, v124, v16, s16
	v_add_co_u32 v0, s16, v0, -1
	s_delay_alu instid0(VALU_DEP_1) | instskip(SKIP_3) | instid1(VALU_DEP_2)
	v_cndmask_b32_e64 v15, 0, 1, s16
	flat_load_b32 v63, v[224:225]
	v_lshlrev_b32_e32 v16, 30, v17
	; wave barrier
	v_cmp_ne_u32_e64 s16, 0, v15
	v_not_b32_e32 v15, v16
	s_delay_alu instid0(VALU_DEP_2) | instskip(SKIP_1) | instid1(VALU_DEP_3)
	v_xor_b32_e32 v0, s16, v0
	v_cmp_gt_i32_e64 s16, 0, v16
	v_ashrrev_i32_e32 v15, 31, v15
	v_not_b32_e32 v16, v18
	s_delay_alu instid0(VALU_DEP_4) | instskip(NEXT) | instid1(VALU_DEP_3)
	v_and_b32_e32 v0, exec_lo, v0
	v_xor_b32_e32 v15, s16, v15
	v_cmp_gt_i32_e64 s16, 0, v18
	s_delay_alu instid0(VALU_DEP_4) | instskip(SKIP_1) | instid1(VALU_DEP_4)
	v_ashrrev_i32_e32 v16, 31, v16
	v_not_b32_e32 v18, v19
	v_and_b32_e32 v0, v0, v15
	v_lshlrev_b32_e32 v15, 27, v17
	s_delay_alu instid0(VALU_DEP_4) | instskip(SKIP_2) | instid1(VALU_DEP_4)
	v_xor_b32_e32 v16, s16, v16
	v_cmp_gt_i32_e64 s16, 0, v19
	v_ashrrev_i32_e32 v18, 31, v18
	v_not_b32_e32 v19, v15
	s_delay_alu instid0(VALU_DEP_4) | instskip(SKIP_1) | instid1(VALU_DEP_4)
	v_and_b32_e32 v0, v0, v16
	v_lshlrev_b32_e32 v16, 26, v17
	v_xor_b32_e32 v18, s16, v18
	v_cmp_gt_i32_e64 s16, 0, v15
	v_ashrrev_i32_e32 v15, 31, v19
	s_delay_alu instid0(VALU_DEP_4) | instskip(NEXT) | instid1(VALU_DEP_4)
	v_not_b32_e32 v19, v16
	v_and_b32_e32 v0, v0, v18
	v_lshlrev_b32_e32 v18, 25, v17
	s_delay_alu instid0(VALU_DEP_4) | instskip(SKIP_2) | instid1(VALU_DEP_4)
	v_xor_b32_e32 v15, s16, v15
	v_cmp_gt_i32_e64 s16, 0, v16
	v_ashrrev_i32_e32 v16, 31, v19
	v_not_b32_e32 v19, v18
	s_delay_alu instid0(VALU_DEP_4) | instskip(SKIP_1) | instid1(VALU_DEP_4)
	v_and_b32_e32 v0, v0, v15
	v_lshlrev_b32_e32 v15, 24, v17
	v_xor_b32_e32 v16, s16, v16
	v_cmp_gt_i32_e64 s16, 0, v18
	v_ashrrev_i32_e32 v17, 31, v19
	s_delay_alu instid0(VALU_DEP_4) | instskip(NEXT) | instid1(VALU_DEP_4)
	v_not_b32_e32 v18, v15
	v_and_b32_e32 v0, v0, v16
	s_delay_alu instid0(VALU_DEP_3) | instskip(SKIP_1) | instid1(VALU_DEP_4)
	v_xor_b32_e32 v16, s16, v17
	v_cmp_gt_i32_e64 s16, 0, v15
	v_ashrrev_i32_e32 v15, 31, v18
	s_delay_alu instid0(VALU_DEP_3) | instskip(NEXT) | instid1(VALU_DEP_2)
	v_and_b32_e32 v0, v0, v16
	v_xor_b32_e32 v15, s16, v15
	s_delay_alu instid0(VALU_DEP_1) | instskip(NEXT) | instid1(VALU_DEP_1)
	v_and_b32_e32 v0, v0, v15
	v_mbcnt_lo_u32_b32 v72, v0, 0
	v_cmp_ne_u32_e64 s17, 0, v0
	s_delay_alu instid0(VALU_DEP_2) | instskip(NEXT) | instid1(VALU_DEP_1)
	v_cmp_eq_u32_e64 s16, 0, v72
	s_and_b32 s17, s17, s16
	s_delay_alu instid0(SALU_CYCLE_1)
	s_and_saveexec_b32 s16, s17
	s_cbranch_execz .LBB711_83
; %bb.82:                               ;   in Loop: Header=BB711_53 Depth=1
	s_waitcnt vmcnt(0) lgkmcnt(0)
	v_bcnt_u32_b32 v0, v0, v63
	flat_store_b32 v[224:225], v0
.LBB711_83:                             ;   in Loop: Header=BB711_53 Depth=1
	s_or_b32 exec_lo, exec_lo, s16
	v_lshrrev_b64 v[15:16], v10, v[162:163]
	; wave barrier
	s_delay_alu instid0(VALU_DEP_1) | instskip(NEXT) | instid1(VALU_DEP_1)
	v_and_b32_e32 v16, v15, v14
	v_lshl_add_u32 v0, v16, 3, v125
	v_lshlrev_b32_e32 v17, 29, v16
	v_lshlrev_b32_e32 v18, 28, v16
	s_delay_alu instid0(VALU_DEP_3) | instskip(SKIP_1) | instid1(VALU_DEP_2)
	v_lshlrev_b64 v[14:15], 2, v[0:1]
	v_and_b32_e32 v0, 1, v16
	v_add_co_u32 v226, s16, v25, v14
	s_delay_alu instid0(VALU_DEP_1) | instskip(NEXT) | instid1(VALU_DEP_3)
	v_add_co_ci_u32_e64 v227, s16, v124, v15, s16
	v_add_co_u32 v0, s16, v0, -1
	s_delay_alu instid0(VALU_DEP_1) | instskip(SKIP_3) | instid1(VALU_DEP_2)
	v_cndmask_b32_e64 v14, 0, 1, s16
	flat_load_b32 v73, v[226:227]
	v_lshlrev_b32_e32 v15, 30, v16
	; wave barrier
	v_cmp_ne_u32_e64 s16, 0, v14
	v_not_b32_e32 v14, v15
	s_delay_alu instid0(VALU_DEP_2) | instskip(SKIP_1) | instid1(VALU_DEP_3)
	v_xor_b32_e32 v0, s16, v0
	v_cmp_gt_i32_e64 s16, 0, v15
	v_ashrrev_i32_e32 v14, 31, v14
	v_not_b32_e32 v15, v17
	s_delay_alu instid0(VALU_DEP_4) | instskip(NEXT) | instid1(VALU_DEP_3)
	v_and_b32_e32 v0, exec_lo, v0
	v_xor_b32_e32 v14, s16, v14
	v_cmp_gt_i32_e64 s16, 0, v17
	s_delay_alu instid0(VALU_DEP_4) | instskip(SKIP_1) | instid1(VALU_DEP_4)
	v_ashrrev_i32_e32 v15, 31, v15
	v_not_b32_e32 v17, v18
	v_and_b32_e32 v0, v0, v14
	v_lshlrev_b32_e32 v14, 27, v16
	s_delay_alu instid0(VALU_DEP_4) | instskip(SKIP_2) | instid1(VALU_DEP_4)
	v_xor_b32_e32 v15, s16, v15
	v_cmp_gt_i32_e64 s16, 0, v18
	v_ashrrev_i32_e32 v17, 31, v17
	v_not_b32_e32 v18, v14
	s_delay_alu instid0(VALU_DEP_4) | instskip(SKIP_1) | instid1(VALU_DEP_4)
	v_and_b32_e32 v0, v0, v15
	v_lshlrev_b32_e32 v15, 26, v16
	v_xor_b32_e32 v17, s16, v17
	v_cmp_gt_i32_e64 s16, 0, v14
	v_ashrrev_i32_e32 v14, 31, v18
	s_delay_alu instid0(VALU_DEP_4) | instskip(NEXT) | instid1(VALU_DEP_4)
	v_not_b32_e32 v18, v15
	v_and_b32_e32 v0, v0, v17
	v_lshlrev_b32_e32 v17, 25, v16
	s_delay_alu instid0(VALU_DEP_4) | instskip(SKIP_2) | instid1(VALU_DEP_4)
	v_xor_b32_e32 v14, s16, v14
	v_cmp_gt_i32_e64 s16, 0, v15
	v_ashrrev_i32_e32 v15, 31, v18
	v_not_b32_e32 v18, v17
	s_delay_alu instid0(VALU_DEP_4) | instskip(SKIP_1) | instid1(VALU_DEP_4)
	v_and_b32_e32 v0, v0, v14
	v_lshlrev_b32_e32 v14, 24, v16
	v_xor_b32_e32 v15, s16, v15
	v_cmp_gt_i32_e64 s16, 0, v17
	v_ashrrev_i32_e32 v16, 31, v18
	s_delay_alu instid0(VALU_DEP_4) | instskip(NEXT) | instid1(VALU_DEP_4)
	v_not_b32_e32 v17, v14
	v_and_b32_e32 v0, v0, v15
	s_delay_alu instid0(VALU_DEP_3) | instskip(SKIP_1) | instid1(VALU_DEP_4)
	v_xor_b32_e32 v15, s16, v16
	v_cmp_gt_i32_e64 s16, 0, v14
	v_ashrrev_i32_e32 v14, 31, v17
	s_delay_alu instid0(VALU_DEP_3) | instskip(NEXT) | instid1(VALU_DEP_2)
	v_and_b32_e32 v0, v0, v15
	v_xor_b32_e32 v14, s16, v14
	s_delay_alu instid0(VALU_DEP_1) | instskip(NEXT) | instid1(VALU_DEP_1)
	v_and_b32_e32 v0, v0, v14
	v_mbcnt_lo_u32_b32 v74, v0, 0
	v_cmp_ne_u32_e64 s17, 0, v0
	s_delay_alu instid0(VALU_DEP_2) | instskip(NEXT) | instid1(VALU_DEP_1)
	v_cmp_eq_u32_e64 s16, 0, v74
	s_and_b32 s17, s17, s16
	s_delay_alu instid0(SALU_CYCLE_1)
	s_and_saveexec_b32 s16, s17
	s_cbranch_execz .LBB711_85
; %bb.84:                               ;   in Loop: Header=BB711_53 Depth=1
	s_waitcnt vmcnt(0) lgkmcnt(0)
	v_bcnt_u32_b32 v0, v0, v73
	flat_store_b32 v[226:227], v0
.LBB711_85:                             ;   in Loop: Header=BB711_53 Depth=1
	s_or_b32 exec_lo, exec_lo, s16
	; wave barrier
	s_waitcnt vmcnt(0) lgkmcnt(0)
	s_waitcnt_vscnt null, 0x0
	s_barrier
	buffer_gl0_inv
	s_clause 0x1
	flat_load_b128 v[18:21], v[4:5] offset:32
	flat_load_b128 v[14:17], v[8:9] offset:16
	s_waitcnt vmcnt(1) lgkmcnt(1)
	v_add_nc_u32_e32 v0, v19, v18
	s_delay_alu instid0(VALU_DEP_1) | instskip(SKIP_1) | instid1(VALU_DEP_1)
	v_add3_u32 v0, v0, v20, v21
	s_waitcnt vmcnt(0) lgkmcnt(0)
	v_add3_u32 v0, v0, v14, v15
	s_delay_alu instid0(VALU_DEP_1) | instskip(NEXT) | instid1(VALU_DEP_1)
	v_add3_u32 v0, v0, v16, v17
	v_mov_b32_dpp v17, v0 row_shr:1 row_mask:0xf bank_mask:0xf
	s_delay_alu instid0(VALU_DEP_1) | instskip(NEXT) | instid1(VALU_DEP_1)
	v_cndmask_b32_e64 v17, v17, 0, vcc_lo
	v_add_nc_u32_e32 v0, v17, v0
	s_delay_alu instid0(VALU_DEP_1) | instskip(NEXT) | instid1(VALU_DEP_1)
	v_mov_b32_dpp v17, v0 row_shr:2 row_mask:0xf bank_mask:0xf
	v_cndmask_b32_e64 v17, 0, v17, s0
	s_delay_alu instid0(VALU_DEP_1) | instskip(NEXT) | instid1(VALU_DEP_1)
	v_add_nc_u32_e32 v0, v0, v17
	v_mov_b32_dpp v17, v0 row_shr:4 row_mask:0xf bank_mask:0xf
	s_delay_alu instid0(VALU_DEP_1) | instskip(NEXT) | instid1(VALU_DEP_1)
	v_cndmask_b32_e64 v17, 0, v17, s1
	v_add_nc_u32_e32 v0, v0, v17
	s_delay_alu instid0(VALU_DEP_1) | instskip(NEXT) | instid1(VALU_DEP_1)
	v_mov_b32_dpp v17, v0 row_shr:8 row_mask:0xf bank_mask:0xf
	v_cndmask_b32_e64 v17, 0, v17, s2
	s_delay_alu instid0(VALU_DEP_1) | instskip(SKIP_3) | instid1(VALU_DEP_1)
	v_add_nc_u32_e32 v0, v0, v17
	ds_swizzle_b32 v17, v0 offset:swizzle(BROADCAST,32,15)
	s_waitcnt lgkmcnt(0)
	v_cndmask_b32_e64 v17, v17, 0, s3
	v_add_nc_u32_e32 v0, v0, v17
	s_and_saveexec_b32 s16, s4
	s_cbranch_execz .LBB711_87
; %bb.86:                               ;   in Loop: Header=BB711_53 Depth=1
	flat_store_b32 v[31:32], v0
.LBB711_87:                             ;   in Loop: Header=BB711_53 Depth=1
	s_or_b32 exec_lo, exec_lo, s16
	s_waitcnt lgkmcnt(0)
	s_waitcnt_vscnt null, 0x0
	s_barrier
	buffer_gl0_inv
	s_and_saveexec_b32 s16, s5
	s_cbranch_execz .LBB711_89
; %bb.88:                               ;   in Loop: Header=BB711_53 Depth=1
	flat_load_b32 v17, v[84:85]
	s_waitcnt vmcnt(0) lgkmcnt(0)
	v_mov_b32_dpp v75, v17 row_shr:1 row_mask:0xf bank_mask:0xf
	s_delay_alu instid0(VALU_DEP_1) | instskip(NEXT) | instid1(VALU_DEP_1)
	v_cndmask_b32_e64 v75, v75, 0, s11
	v_add_nc_u32_e32 v17, v75, v17
	s_delay_alu instid0(VALU_DEP_1) | instskip(NEXT) | instid1(VALU_DEP_1)
	v_mov_b32_dpp v75, v17 row_shr:2 row_mask:0xf bank_mask:0xf
	v_cndmask_b32_e64 v75, 0, v75, s14
	s_delay_alu instid0(VALU_DEP_1) | instskip(NEXT) | instid1(VALU_DEP_1)
	v_add_nc_u32_e32 v17, v17, v75
	v_mov_b32_dpp v75, v17 row_shr:4 row_mask:0xf bank_mask:0xf
	s_delay_alu instid0(VALU_DEP_1) | instskip(NEXT) | instid1(VALU_DEP_1)
	v_cndmask_b32_e64 v75, 0, v75, s15
	v_add_nc_u32_e32 v17, v17, v75
	flat_store_b32 v[84:85], v17
.LBB711_89:                             ;   in Loop: Header=BB711_53 Depth=1
	s_or_b32 exec_lo, exec_lo, s16
	v_mov_b32_e32 v17, 0
	s_waitcnt lgkmcnt(0)
	s_waitcnt_vscnt null, 0x0
	s_barrier
	buffer_gl0_inv
	s_and_saveexec_b32 s16, s6
	s_cbranch_execz .LBB711_91
; %bb.90:                               ;   in Loop: Header=BB711_53 Depth=1
	flat_load_b32 v17, v[96:97]
.LBB711_91:                             ;   in Loop: Header=BB711_53 Depth=1
	s_or_b32 exec_lo, exec_lo, s16
	s_waitcnt vmcnt(0) lgkmcnt(0)
	v_add_nc_u32_e32 v0, v17, v0
	v_add_nc_u32_e32 v10, 8, v10
	s_mov_b32 s18, -1
	ds_bpermute_b32 v0, v126, v0
	s_waitcnt lgkmcnt(0)
	v_cndmask_b32_e64 v0, v0, v17, s7
	s_delay_alu instid0(VALU_DEP_1) | instskip(NEXT) | instid1(VALU_DEP_1)
	v_cndmask_b32_e64 v17, v0, 0, s10
	v_add_nc_u32_e32 v18, v17, v18
	s_delay_alu instid0(VALU_DEP_1) | instskip(NEXT) | instid1(VALU_DEP_1)
	v_add_nc_u32_e32 v19, v18, v19
	v_add_nc_u32_e32 v20, v19, v20
	s_delay_alu instid0(VALU_DEP_1) | instskip(NEXT) | instid1(VALU_DEP_1)
	v_add_nc_u32_e32 v75, v20, v21
	v_add_nc_u32_e32 v76, v75, v14
	s_delay_alu instid0(VALU_DEP_1) | instskip(SKIP_1) | instid1(VALU_DEP_2)
	v_add_nc_u32_e32 v77, v76, v15
	v_mov_b32_e32 v15, v1
	v_add_nc_u32_e32 v78, v77, v16
	s_clause 0x1
	flat_store_b128 v[4:5], v[17:20] offset:32
	flat_store_b128 v[8:9], v[75:78] offset:16
	v_mov_b32_e32 v17, v1
	s_waitcnt lgkmcnt(0)
	s_waitcnt_vscnt null, 0x0
	s_barrier
	buffer_gl0_inv
	s_clause 0xf
	flat_load_b32 v0, v[164:165]
	flat_load_b32 v14, v[166:167]
	;; [unrolled: 1-line block ×16, first 2 shown]
	v_mov_b32_e32 v21, v1
	v_mov_b32_e32 v19, v1
	;; [unrolled: 1-line block ×13, first 2 shown]
	v_cmp_lt_u32_e64 s16, v10, v11
	s_waitcnt vmcnt(0) lgkmcnt(0)
	s_waitcnt_vscnt null, 0x0
                                        ; implicit-def: $vgpr226_vgpr227
                                        ; implicit-def: $vgpr212_vgpr213
                                        ; implicit-def: $vgpr214_vgpr215
                                        ; implicit-def: $vgpr224_vgpr225
	s_waitcnt vmcnt(15) lgkmcnt(15)
	v_add_nc_u32_e32 v0, v0, v39
	s_waitcnt vmcnt(14) lgkmcnt(14)
	v_add3_u32 v14, v229, v228, v14
	s_waitcnt vmcnt(13) lgkmcnt(13)
	v_add3_u32 v16, v231, v230, v16
	;; [unrolled: 2-line block ×4, first 2 shown]
	v_lshlrev_b64 v[210:211], 3, v[0:1]
	v_lshlrev_b64 v[14:15], 3, v[14:15]
	;; [unrolled: 1-line block ×4, first 2 shown]
	s_waitcnt vmcnt(10) lgkmcnt(10)
	v_add3_u32 v164, v245, v244, v164
	v_lshlrev_b64 v[20:21], 3, v[20:21]
	s_waitcnt vmcnt(9) lgkmcnt(9)
	v_add3_u32 v166, v247, v246, v166
	s_waitcnt vmcnt(3) lgkmcnt(3)
	v_add3_u32 v194, v60, v59, v194
	v_add_co_u32 v60, s17, v12, v210
	s_waitcnt vmcnt(2) lgkmcnt(2)
	v_add3_u32 v196, v62, v61, v196
	v_add_co_ci_u32_e64 v61, s17, v13, v211, s17
	v_add_co_u32 v62, s17, v12, v14
	s_waitcnt vmcnt(1) lgkmcnt(1)
	v_add3_u32 v198, v72, v63, v198
	v_add_co_ci_u32_e64 v63, s17, v13, v15, s17
	;; [unrolled: 4-line block ×3, first 2 shown]
	v_lshlrev_b64 v[164:165], 3, v[164:165]
	v_add_co_u32 v74, s17, v12, v18
	v_add3_u32 v176, v41, v40, v176
	v_add_co_ci_u32_e64 v75, s17, v13, v19, s17
	v_lshlrev_b64 v[166:167], 3, v[166:167]
	v_add_co_u32 v76, s17, v12, v20
	v_add3_u32 v178, v43, v42, v178
	v_add_co_ci_u32_e64 v77, s17, v13, v21, s17
	;; [unrolled: 4-line block ×5, first 2 shown]
	v_lshlrev_b64 v[182:183], 3, v[182:183]
	v_add_co_u32 v92, s17, v12, v178
	s_delay_alu instid0(VALU_DEP_1) | instskip(SKIP_2) | instid1(VALU_DEP_1)
	v_add_co_ci_u32_e64 v93, s17, v13, v179, s17
	v_lshlrev_b64 v[192:193], 3, v[192:193]
	v_add_co_u32 v94, s17, v12, v180
	v_add_co_ci_u32_e64 v95, s17, v13, v181, s17
	v_lshlrev_b64 v[194:195], 3, v[194:195]
	v_add_co_u32 v104, s17, v12, v182
	s_delay_alu instid0(VALU_DEP_1) | instskip(SKIP_2) | instid1(VALU_DEP_1)
	v_add_co_ci_u32_e64 v105, s17, v13, v183, s17
	v_lshlrev_b64 v[196:197], 3, v[196:197]
	v_add_co_u32 v106, s17, v12, v192
	v_add_co_ci_u32_e64 v107, s17, v13, v193, s17
	;; [unrolled: 7-line block ×3, first 2 shown]
	v_add_co_u32 v120, s17, v12, v198
	s_delay_alu instid0(VALU_DEP_1) | instskip(SKIP_1) | instid1(VALU_DEP_1)
	v_add_co_ci_u32_e64 v121, s17, v13, v199, s17
	v_add_co_u32 v122, s17, v12, v208
	v_add_co_ci_u32_e64 v123, s17, v13, v209, s17
                                        ; implicit-def: $vgpr14_vgpr15
                                        ; implicit-def: $vgpr16_vgpr17
                                        ; implicit-def: $vgpr18_vgpr19
                                        ; implicit-def: $vgpr20_vgpr21
                                        ; implicit-def: $vgpr164_vgpr165
                                        ; implicit-def: $vgpr166_vgpr167
                                        ; implicit-def: $vgpr176_vgpr177
                                        ; implicit-def: $vgpr178_vgpr179
                                        ; implicit-def: $vgpr180_vgpr181
                                        ; implicit-def: $vgpr208_vgpr209
                                        ; implicit-def: $vgpr240_vgpr241
                                        ; implicit-def: $vgpr246_vgpr247
                                        ; implicit-def: $vgpr39_vgpr40
                                        ; implicit-def: $vgpr45_vgpr46
                                        ; implicit-def: $vgpr56_vgpr57
                                        ; implicit-def: $vgpr58_vgpr59
                                        ; implicit-def: $vgpr242_vgpr243
                                        ; implicit-def: $vgpr198_vgpr199
                                        ; implicit-def: $vgpr194_vgpr195
                                        ; implicit-def: $vgpr182_vgpr183
                                        ; implicit-def: $vgpr192_vgpr193
                                        ; implicit-def: $vgpr196_vgpr197
                                        ; implicit-def: $vgpr210_vgpr211
                                        ; implicit-def: $vgpr228_vgpr229
                                        ; implicit-def: $vgpr230_vgpr231
                                        ; implicit-def: $vgpr244_vgpr245
                                        ; implicit-def: $vgpr41_vgpr42
                                        ; implicit-def: $vgpr43_vgpr44
	s_and_saveexec_b32 s17, s16
	s_cbranch_execz .LBB711_52
; %bb.92:                               ;   in Loop: Header=BB711_53 Depth=1
	s_barrier
	buffer_gl0_inv
	s_clause 0xf
	flat_store_b64 v[60:61], v[100:101]
	flat_store_b64 v[62:63], v[102:103]
	;; [unrolled: 1-line block ×16, first 2 shown]
	s_waitcnt lgkmcnt(0)
	s_waitcnt_vscnt null, 0x0
	s_barrier
	buffer_gl0_inv
	s_clause 0xf
	flat_load_b64 v[58:59], v[98:99]
	flat_load_b64 v[242:243], v[98:99] offset:256
	flat_load_b64 v[212:213], v[98:99] offset:512
	;; [unrolled: 1-line block ×15, first 2 shown]
	s_waitcnt vmcnt(0) lgkmcnt(0)
	s_barrier
	buffer_gl0_inv
	s_clause 0xf
	flat_store_b64 v[60:61], v[29:30]
	flat_store_b64 v[62:63], v[27:28]
	;; [unrolled: 1-line block ×16, first 2 shown]
	s_waitcnt lgkmcnt(0)
	s_waitcnt_vscnt null, 0x0
	s_barrier
	buffer_gl0_inv
	s_clause 0xf
	flat_load_b64 v[14:15], v[98:99]
	flat_load_b64 v[16:17], v[98:99] offset:256
	flat_load_b64 v[18:19], v[98:99] offset:512
	;; [unrolled: 1-line block ×15, first 2 shown]
	v_add_nc_u32_e32 v127, -8, v127
	s_xor_b32 s18, exec_lo, -1
	s_waitcnt vmcnt(0) lgkmcnt(0)
	s_barrier
	buffer_gl0_inv
	s_branch .LBB711_52
.LBB711_93:
	s_or_b32 exec_lo, exec_lo, s26
	v_dual_mov_b32 v25, 0 :: v_dual_lshlrev_b32 v0, 3, v26
	v_lshlrev_b32_e32 v18, 3, v26
	s_barrier
	buffer_gl0_inv
	v_add_co_u32 v0, vcc_lo, v12, v0
	v_add_co_ci_u32_e32 v1, vcc_lo, 0, v13, vcc_lo
	v_or_b32_e32 v8, 0x2000, v18
	s_delay_alu instid0(VALU_DEP_3) | instskip(NEXT) | instid1(VALU_DEP_3)
	v_add_co_u32 v4, vcc_lo, 0x1000, v0
	v_add_co_ci_u32_e32 v5, vcc_lo, 0, v1, vcc_lo
	s_delay_alu instid0(VALU_DEP_3)
	v_add_co_u32 v8, vcc_lo, v12, v8
	v_add_co_ci_u32_e32 v9, vcc_lo, 0, v13, vcc_lo
	v_add_co_u32 v10, vcc_lo, 0x2000, v0
	v_or_b32_e32 v16, 0x4000, v18
	v_add_co_ci_u32_e32 v11, vcc_lo, 0, v1, vcc_lo
	v_add_co_u32 v14, vcc_lo, 0x3000, v0
	v_add_co_ci_u32_e32 v15, vcc_lo, 0, v1, vcc_lo
	s_delay_alu instid0(VALU_DEP_4)
	v_add_co_u32 v16, vcc_lo, v12, v16
	v_add_co_ci_u32_e32 v17, vcc_lo, 0, v13, vcc_lo
	s_clause 0xf
	flat_store_b64 v[60:61], v[100:101]
	flat_store_b64 v[62:63], v[102:103]
	;; [unrolled: 1-line block ×16, first 2 shown]
	v_add_co_u32 v150, vcc_lo, 0x4000, v0
	v_or_b32_e32 v18, 0x6000, v18
	v_add_co_ci_u32_e32 v151, vcc_lo, 0, v1, vcc_lo
	v_add_co_u32 v160, vcc_lo, 0x5000, v0
	v_add_co_ci_u32_e32 v161, vcc_lo, 0, v1, vcc_lo
	s_delay_alu instid0(VALU_DEP_4)
	v_add_co_u32 v162, vcc_lo, v12, v18
	v_add_co_ci_u32_e32 v163, vcc_lo, 0, v13, vcc_lo
	v_add_co_u32 v164, vcc_lo, 0x6000, v0
	v_add_co_ci_u32_e32 v165, vcc_lo, 0, v1, vcc_lo
	v_add_co_u32 v166, vcc_lo, 0x7000, v0
	s_waitcnt lgkmcnt(0)
	s_waitcnt_vscnt null, 0x0
	s_barrier
	buffer_gl0_inv
	s_clause 0x7
	flat_load_b64 v[148:149], v[0:1]
	flat_load_b64 v[146:147], v[0:1] offset:2048
	flat_load_b64 v[144:145], v[4:5]
	flat_load_b64 v[134:135], v[4:5] offset:2048
	;; [unrolled: 2-line block ×4, first 2 shown]
	v_add_co_ci_u32_e32 v167, vcc_lo, 0, v1, vcc_lo
	s_clause 0x7
	flat_load_b64 v[118:119], v[16:17]
	flat_load_b64 v[114:115], v[150:151] offset:2048
	flat_load_b64 v[112:113], v[160:161]
	flat_load_b64 v[102:103], v[160:161] offset:2048
	;; [unrolled: 2-line block ×4, first 2 shown]
	s_waitcnt vmcnt(0) lgkmcnt(0)
	s_barrier
	buffer_gl0_inv
	s_clause 0xf
	flat_store_b64 v[60:61], v[29:30]
	flat_store_b64 v[62:63], v[27:28]
	flat_store_b64 v[72:73], v[37:38]
	flat_store_b64 v[74:75], v[35:36]
	flat_store_b64 v[76:77], v[33:34]
	flat_store_b64 v[78:79], v[54:55]
	flat_store_b64 v[88:89], v[52:53]
	flat_store_b64 v[90:91], v[50:51]
	flat_store_b64 v[92:93], v[48:49]
	flat_store_b64 v[94:95], v[70:71]
	flat_store_b64 v[104:105], v[68:69]
	flat_store_b64 v[106:107], v[66:67]
	flat_store_b64 v[108:109], v[64:65]
	flat_store_b64 v[110:111], v[82:83]
	flat_store_b64 v[120:121], v[80:81]
	flat_store_b64 v[122:123], v[86:87]
	s_waitcnt lgkmcnt(0)
	s_waitcnt_vscnt null, 0x0
	s_barrier
	buffer_gl0_inv
	s_clause 0xf
	flat_load_b64 v[38:39], v[0:1]
	flat_load_b64 v[36:37], v[0:1] offset:2048
	flat_load_b64 v[34:35], v[4:5]
	flat_load_b64 v[32:33], v[4:5] offset:2048
	;; [unrolled: 2-line block ×8, first 2 shown]
	v_lshlrev_b64 v[48:49], 3, v[24:25]
	v_add_co_u32 v2, vcc_lo, v2, v22
	v_add_co_ci_u32_e32 v3, vcc_lo, v3, v23, vcc_lo
	s_waitcnt vmcnt(0) lgkmcnt(0)
	s_delay_alu instid0(VALU_DEP_2) | instskip(NEXT) | instid1(VALU_DEP_2)
	v_add_co_u32 v2, vcc_lo, v2, v48
	v_add_co_ci_u32_e32 v3, vcc_lo, v3, v49, vcc_lo
	v_cmp_lt_u32_e32 vcc_lo, v24, v47
	s_barrier
	buffer_gl0_inv
	s_and_saveexec_b32 s0, vcc_lo
	s_cbranch_execz .LBB711_95
; %bb.94:
	v_xor_b32_e32 v51, 0x7fffffff, v149
	v_not_b32_e32 v50, v148
	flat_store_b64 v[2:3], v[50:51]
.LBB711_95:
	s_or_b32 exec_lo, exec_lo, s0
	v_add_nc_u32_e32 v25, 0x100, v24
	s_delay_alu instid0(VALU_DEP_1) | instskip(NEXT) | instid1(VALU_DEP_1)
	v_cmp_lt_u32_e64 s0, v25, v47
	s_and_saveexec_b32 s1, s0
	s_cbranch_execz .LBB711_97
; %bb.96:
	v_xor_b32_e32 v51, 0x7fffffff, v147
	v_not_b32_e32 v50, v146
	flat_store_b64 v[2:3], v[50:51] offset:2048
.LBB711_97:
	s_or_b32 exec_lo, exec_lo, s1
	v_add_nc_u32_e32 v25, 0x200, v24
	s_delay_alu instid0(VALU_DEP_1) | instskip(NEXT) | instid1(VALU_DEP_1)
	v_cmp_lt_u32_e64 s1, v25, v47
	s_and_saveexec_b32 s3, s1
	s_cbranch_execz .LBB711_99
; %bb.98:
	v_add_co_u32 v52, s2, 0x1000, v2
	v_xor_b32_e32 v51, 0x7fffffff, v145
	v_not_b32_e32 v50, v144
	v_add_co_ci_u32_e64 v53, s2, 0, v3, s2
	flat_store_b64 v[52:53], v[50:51]
.LBB711_99:
	s_or_b32 exec_lo, exec_lo, s3
	v_add_nc_u32_e32 v25, 0x300, v24
	s_delay_alu instid0(VALU_DEP_1) | instskip(NEXT) | instid1(VALU_DEP_1)
	v_cmp_lt_u32_e64 s2, v25, v47
	s_and_saveexec_b32 s4, s2
	s_cbranch_execz .LBB711_101
; %bb.100:
	v_add_co_u32 v52, s3, 0x1000, v2
	v_xor_b32_e32 v51, 0x7fffffff, v135
	v_not_b32_e32 v50, v134
	v_add_co_ci_u32_e64 v53, s3, 0, v3, s3
	flat_store_b64 v[52:53], v[50:51] offset:2048
.LBB711_101:
	s_or_b32 exec_lo, exec_lo, s4
	v_add_nc_u32_e32 v25, 0x400, v24
	s_delay_alu instid0(VALU_DEP_1) | instskip(NEXT) | instid1(VALU_DEP_1)
	v_cmp_lt_u32_e64 s3, v25, v47
	s_and_saveexec_b32 s5, s3
	s_cbranch_execz .LBB711_103
; %bb.102:
	v_add_co_u32 v52, s4, 0x2000, v2
	v_xor_b32_e32 v51, 0x7fffffff, v133
	v_not_b32_e32 v50, v132
	v_add_co_ci_u32_e64 v53, s4, 0, v3, s4
	flat_store_b64 v[52:53], v[50:51]
.LBB711_103:
	s_or_b32 exec_lo, exec_lo, s5
	v_add_nc_u32_e32 v25, 0x500, v24
	s_delay_alu instid0(VALU_DEP_1) | instskip(NEXT) | instid1(VALU_DEP_1)
	v_cmp_lt_u32_e64 s4, v25, v47
	s_and_saveexec_b32 s6, s4
	s_cbranch_execz .LBB711_105
; %bb.104:
	v_add_co_u32 v52, s5, 0x2000, v2
	v_xor_b32_e32 v51, 0x7fffffff, v131
	v_not_b32_e32 v50, v130
	v_add_co_ci_u32_e64 v53, s5, 0, v3, s5
	flat_store_b64 v[52:53], v[50:51] offset:2048
.LBB711_105:
	;; [unrolled: 26-line block ×7, first 2 shown]
	s_or_b32 exec_lo, exec_lo, s20
	v_add_co_u32 v2, s19, v6, v22
	s_delay_alu instid0(VALU_DEP_1) | instskip(NEXT) | instid1(VALU_DEP_2)
	v_add_co_ci_u32_e64 v3, s19, v7, v23, s19
	v_add_co_u32 v2, s19, v2, v48
	s_delay_alu instid0(VALU_DEP_1)
	v_add_co_ci_u32_e64 v3, s19, v3, v49, s19
	s_and_saveexec_b32 s19, vcc_lo
	s_cbranch_execnz .LBB711_211
; %bb.126:
	s_or_b32 exec_lo, exec_lo, s19
	s_and_saveexec_b32 s19, s0
	s_cbranch_execnz .LBB711_212
.LBB711_127:
	s_or_b32 exec_lo, exec_lo, s19
	s_and_saveexec_b32 s0, s1
	s_cbranch_execnz .LBB711_213
.LBB711_128:
	s_or_b32 exec_lo, exec_lo, s0
	s_and_saveexec_b32 s0, s2
	s_cbranch_execnz .LBB711_214
.LBB711_129:
	s_or_b32 exec_lo, exec_lo, s0
	s_and_saveexec_b32 s0, s3
	s_cbranch_execnz .LBB711_215
.LBB711_130:
	s_or_b32 exec_lo, exec_lo, s0
	s_and_saveexec_b32 s0, s4
	s_cbranch_execnz .LBB711_216
.LBB711_131:
	s_or_b32 exec_lo, exec_lo, s0
	s_and_saveexec_b32 s0, s5
	s_cbranch_execnz .LBB711_217
.LBB711_132:
	s_or_b32 exec_lo, exec_lo, s0
	s_and_saveexec_b32 s0, s6
	s_cbranch_execnz .LBB711_218
.LBB711_133:
	s_or_b32 exec_lo, exec_lo, s0
	s_and_saveexec_b32 s0, s7
	s_cbranch_execnz .LBB711_219
.LBB711_134:
	s_or_b32 exec_lo, exec_lo, s0
	s_and_saveexec_b32 s0, s10
	s_cbranch_execnz .LBB711_220
.LBB711_135:
	s_or_b32 exec_lo, exec_lo, s0
	s_and_saveexec_b32 s0, s11
	s_cbranch_execnz .LBB711_221
.LBB711_136:
	s_or_b32 exec_lo, exec_lo, s0
	s_and_saveexec_b32 s0, s14
	s_cbranch_execnz .LBB711_222
.LBB711_137:
	s_or_b32 exec_lo, exec_lo, s0
	s_and_saveexec_b32 s0, s15
	s_cbranch_execnz .LBB711_223
.LBB711_138:
	s_or_b32 exec_lo, exec_lo, s0
	s_and_saveexec_b32 s0, s16
	s_cbranch_execnz .LBB711_224
.LBB711_139:
	s_or_b32 exec_lo, exec_lo, s0
	s_and_saveexec_b32 s0, s17
	s_cbranch_execnz .LBB711_225
.LBB711_140:
	s_or_b32 exec_lo, exec_lo, s0
	s_and_saveexec_b32 s0, s18
	s_cbranch_execz .LBB711_142
.LBB711_141:
	v_add_co_u32 v2, vcc_lo, 0x7000, v2
	v_add_co_ci_u32_e32 v3, vcc_lo, 0, v3, vcc_lo
	flat_store_b64 v[2:3], v[0:1] offset:2048
.LBB711_142:
	s_or_b32 exec_lo, exec_lo, s0
                                        ; implicit-def: $vgpr47
                                        ; implicit-def: $vgpr0
                                        ; implicit-def: $vgpr1
                                        ; implicit-def: $vgpr2
                                        ; implicit-def: $vgpr3
                                        ; implicit-def: $vgpr4
                                        ; implicit-def: $vgpr5
                                        ; implicit-def: $vgpr6
                                        ; implicit-def: $vgpr7
                                        ; implicit-def: $vgpr8
                                        ; implicit-def: $vgpr10
                                        ; implicit-def: $vgpr11
                                        ; implicit-def: $vgpr12
                                        ; implicit-def: $vgpr13
                                        ; implicit-def: $vgpr14
                                        ; implicit-def: $vgpr15
                                        ; implicit-def: $vgpr26
                                        ; implicit-def: $vgpr96
.LBB711_143:
	s_and_not1_saveexec_b32 s0, s25
	s_cbranch_execz .LBB711_372
; %bb.144:
	s_mov_b32 s0, exec_lo
	v_cmpx_lt_u32_e32 0x400, v47
	s_xor_b32 s19, exec_lo, s0
	s_cbranch_execz .LBB711_252
; %bb.145:
	s_load_b64 s[0:1], s[8:9], 0x0
	v_mov_b32_e32 v9, 0
	s_waitcnt lgkmcnt(0)
	s_cmp_lt_u32 s13, s1
	s_cselect_b32 s1, 14, 20
	s_delay_alu instid0(SALU_CYCLE_1) | instskip(SKIP_4) | instid1(SALU_CYCLE_1)
	s_add_u32 s2, s8, s1
	s_addc_u32 s3, s9, 0
	s_cmp_lt_u32 s12, s0
	global_load_u16 v16, v9, s[2:3]
	s_cselect_b32 s0, 12, 18
	s_add_u32 s0, s8, s0
	s_addc_u32 s1, s9, 0
	global_load_u16 v17, v9, s[0:1]
	s_mov_b32 s2, 0
	s_brev_b32 s3, 1
	v_lshlrev_b32_e32 v22, 3, v96
	s_waitcnt vmcnt(1)
	v_mad_u32_u24 v14, v15, v16, v14
	s_waitcnt vmcnt(0)
	s_delay_alu instid0(VALU_DEP_1) | instskip(NEXT) | instid1(VALU_DEP_1)
	v_mad_u64_u32 v[29:30], null, v14, v17, v[26:27]
	v_lshlrev_b32_e32 v14, 3, v29
	v_lshlrev_b64 v[27:28], 3, v[8:9]
	s_delay_alu instid0(VALU_DEP_2) | instskip(NEXT) | instid1(VALU_DEP_2)
	v_and_b32_e32 v8, 0xffffff00, v14
	v_add_co_u32 v0, vcc_lo, v0, v27
	s_delay_alu instid0(VALU_DEP_3) | instskip(NEXT) | instid1(VALU_DEP_3)
	v_add_co_ci_u32_e32 v1, vcc_lo, v1, v28, vcc_lo
	v_lshlrev_b64 v[18:19], 3, v[8:9]
	s_delay_alu instid0(VALU_DEP_3) | instskip(NEXT) | instid1(VALU_DEP_3)
	v_add_co_u32 v0, vcc_lo, v0, v22
	v_add_co_ci_u32_e32 v1, vcc_lo, 0, v1, vcc_lo
	v_or_b32_e32 v23, v8, v96
	s_delay_alu instid0(VALU_DEP_3) | instskip(NEXT) | instid1(VALU_DEP_1)
	v_add_co_u32 v20, s0, v0, v18
	v_add_co_ci_u32_e64 v21, s0, v1, v19, s0
	v_dual_mov_b32 v0, s2 :: v_dual_mov_b32 v1, s3
	s_delay_alu instid0(VALU_DEP_4)
	v_cmp_lt_u32_e32 vcc_lo, v23, v47
	s_and_saveexec_b32 s0, vcc_lo
	s_cbranch_execz .LBB711_147
; %bb.146:
	flat_load_b64 v[0:1], v[20:21]
.LBB711_147:
	s_or_b32 exec_lo, exec_lo, s0
	v_or_b32_e32 v8, 32, v23
	s_delay_alu instid0(VALU_DEP_1) | instskip(SKIP_1) | instid1(VALU_DEP_2)
	v_cmp_lt_u32_e64 s0, v8, v47
	v_dual_mov_b32 v9, s3 :: v_dual_mov_b32 v8, s2
	s_and_saveexec_b32 s1, s0
	s_cbranch_execz .LBB711_149
; %bb.148:
	flat_load_b64 v[8:9], v[20:21] offset:256
.LBB711_149:
	s_or_b32 exec_lo, exec_lo, s1
	v_or_b32_e32 v14, 64, v23
	s_mov_b32 s4, 0
	s_brev_b32 s5, 1
	s_delay_alu instid0(VALU_DEP_1) | instskip(SKIP_1) | instid1(VALU_DEP_2)
	v_cmp_lt_u32_e64 s1, v14, v47
	v_dual_mov_b32 v15, s5 :: v_dual_mov_b32 v14, s4
	s_and_saveexec_b32 s2, s1
	s_cbranch_execz .LBB711_151
; %bb.150:
	flat_load_b64 v[14:15], v[20:21] offset:512
.LBB711_151:
	s_or_b32 exec_lo, exec_lo, s2
	v_or_b32_e32 v16, 0x60, v23
	s_delay_alu instid0(VALU_DEP_1) | instskip(SKIP_1) | instid1(VALU_DEP_2)
	v_cmp_lt_u32_e64 s2, v16, v47
	v_dual_mov_b32 v17, s5 :: v_dual_mov_b32 v16, s4
	s_and_saveexec_b32 s3, s2
	s_cbranch_execz .LBB711_153
; %bb.152:
	flat_load_b64 v[16:17], v[20:21] offset:768
.LBB711_153:
	s_or_b32 exec_lo, exec_lo, s3
	v_or_b32_e32 v24, 0x80, v23
	s_mov_b32 s6, 0
	s_brev_b32 s7, 1
	s_delay_alu instid0(SALU_CYCLE_1) | instskip(NEXT) | instid1(VALU_DEP_2)
	v_dual_mov_b32 v31, s7 :: v_dual_mov_b32 v30, s6
	v_cmp_lt_u32_e64 s3, v24, v47
	s_delay_alu instid0(VALU_DEP_1)
	s_and_saveexec_b32 s4, s3
	s_cbranch_execz .LBB711_155
; %bb.154:
	flat_load_b64 v[30:31], v[20:21] offset:1024
.LBB711_155:
	s_or_b32 exec_lo, exec_lo, s4
	v_or_b32_e32 v24, 0xa0, v23
	v_dual_mov_b32 v33, s7 :: v_dual_mov_b32 v32, s6
	s_delay_alu instid0(VALU_DEP_2) | instskip(NEXT) | instid1(VALU_DEP_1)
	v_cmp_lt_u32_e64 s4, v24, v47
	s_and_saveexec_b32 s5, s4
	s_cbranch_execz .LBB711_157
; %bb.156:
	flat_load_b64 v[32:33], v[20:21] offset:1280
.LBB711_157:
	s_or_b32 exec_lo, exec_lo, s5
	v_or_b32_e32 v24, 0xc0, v23
	s_mov_b32 s10, 0
	s_brev_b32 s11, 1
	s_delay_alu instid0(SALU_CYCLE_1) | instskip(NEXT) | instid1(VALU_DEP_2)
	v_dual_mov_b32 v35, s11 :: v_dual_mov_b32 v34, s10
	v_cmp_lt_u32_e64 s5, v24, v47
	s_delay_alu instid0(VALU_DEP_1)
	s_and_saveexec_b32 s6, s5
	s_cbranch_execz .LBB711_159
; %bb.158:
	flat_load_b64 v[34:35], v[20:21] offset:1536
.LBB711_159:
	s_or_b32 exec_lo, exec_lo, s6
	v_or_b32_e32 v23, 0xe0, v23
	v_dual_mov_b32 v37, s11 :: v_dual_mov_b32 v36, s10
	s_delay_alu instid0(VALU_DEP_2) | instskip(NEXT) | instid1(VALU_DEP_1)
	v_cmp_lt_u32_e64 s6, v23, v47
	s_and_saveexec_b32 s7, s6
	s_cbranch_execz .LBB711_161
; %bb.160:
	flat_load_b64 v[36:37], v[20:21] offset:1792
.LBB711_161:
	s_or_b32 exec_lo, exec_lo, s7
	v_add_co_u32 v4, s7, v4, v27
	s_delay_alu instid0(VALU_DEP_1) | instskip(NEXT) | instid1(VALU_DEP_2)
	v_add_co_ci_u32_e64 v5, s7, v5, v28, s7
                                        ; implicit-def: $vgpr102_vgpr103
	v_add_co_u32 v4, s7, v4, v22
	s_delay_alu instid0(VALU_DEP_1) | instskip(NEXT) | instid1(VALU_DEP_2)
	v_add_co_ci_u32_e64 v5, s7, 0, v5, s7
	v_add_co_u32 v4, s7, v4, v18
	s_delay_alu instid0(VALU_DEP_1)
	v_add_co_ci_u32_e64 v5, s7, v5, v19, s7
	s_and_saveexec_b32 s7, vcc_lo
	s_cbranch_execnz .LBB711_285
; %bb.162:
	s_or_b32 exec_lo, exec_lo, s7
                                        ; implicit-def: $vgpr116_vgpr117
	s_and_saveexec_b32 s7, s0
	s_cbranch_execnz .LBB711_286
.LBB711_163:
	s_or_b32 exec_lo, exec_lo, s7
                                        ; implicit-def: $vgpr128_vgpr129
	s_and_saveexec_b32 s0, s1
	s_cbranch_execnz .LBB711_287
.LBB711_164:
	s_or_b32 exec_lo, exec_lo, s0
                                        ; implicit-def: $vgpr134_vgpr135
	s_and_saveexec_b32 s0, s2
	s_cbranch_execnz .LBB711_288
.LBB711_165:
	s_or_b32 exec_lo, exec_lo, s0
                                        ; implicit-def: $vgpr144_vgpr145
	s_and_saveexec_b32 s0, s3
	s_cbranch_execnz .LBB711_289
.LBB711_166:
	s_or_b32 exec_lo, exec_lo, s0
                                        ; implicit-def: $vgpr146_vgpr147
	s_and_saveexec_b32 s0, s4
	s_cbranch_execnz .LBB711_290
.LBB711_167:
	s_or_b32 exec_lo, exec_lo, s0
                                        ; implicit-def: $vgpr18_vgpr19
	s_and_saveexec_b32 s0, s5
	s_cbranch_execnz .LBB711_291
.LBB711_168:
	s_or_b32 exec_lo, exec_lo, s0
                                        ; implicit-def: $vgpr24_vgpr25
	s_and_saveexec_b32 s0, s6
	s_cbranch_execz .LBB711_170
.LBB711_169:
	flat_load_b64 v[24:25], v[4:5] offset:1792
.LBB711_170:
	s_or_b32 exec_lo, exec_lo, s0
	s_waitcnt vmcnt(0) lgkmcnt(0)
	v_xor_b32_e32 v148, -1, v0
	v_lshlrev_b32_e32 v0, 5, v26
	s_mov_b32 s20, 0
	v_add_co_u32 v182, vcc_lo, v12, 32
	v_xor_b32_e32 v112, -1, v16
	s_mov_b32 s21, s20
	s_mov_b32 s22, s20
	;; [unrolled: 1-line block ×3, first 2 shown]
	v_and_b32_e32 v16, 0x3e0, v26
	v_add_co_ci_u32_e32 v183, vcc_lo, 0, v13, vcc_lo
	v_xor_b32_e32 v149, 0x7fffffff, v1
	v_mov_b32_e32 v1, 0
	v_add_co_u32 v4, vcc_lo, v12, v0
	v_add_co_ci_u32_e32 v5, vcc_lo, 0, v13, vcc_lo
	v_xor_b32_e32 v20, -1, v8
	v_xor_b32_e32 v113, 0x7fffffff, v17
	v_add_co_u32 v8, vcc_lo, v182, v0
	v_min_u32_e32 v0, 0xe0, v16
	v_and_b32_e32 v16, 16, v96
	v_add_nc_u32_e32 v17, -1, v96
	v_xor_b32_e32 v23, 0x7fffffff, v15
	v_and_b32_e32 v15, 15, v96
	v_or_b32_e32 v0, 31, v0
	v_cmp_eq_u32_e64 s3, 0, v16
	v_cmp_gt_i32_e64 s4, 0, v17
	v_lshrrev_b32_e32 v16, 5, v26
	s_getpc_b64 s[0:1]
	s_add_u32 s0, s0, _ZN7rocprim17ROCPRIM_400000_NS16block_radix_sortIlLj256ELj8ElLj1ELj1ELj8ELNS0_26block_radix_rank_algorithmE2ELNS0_18block_padding_hintE2ELNS0_4arch9wavefront6targetE0EE19radix_bits_per_passE@rel32@lo+4
	s_addc_u32 s1, s1, _ZN7rocprim17ROCPRIM_400000_NS16block_radix_sortIlLj256ELj8ElLj1ELj1ELj8ELNS0_26block_radix_rank_algorithmE2ELNS0_18block_padding_hintE2ELNS0_4arch9wavefront6targetE0EE19radix_bits_per_passE@rel32@hi+12
	v_xor_b32_e32 v21, 0x7fffffff, v9
	v_add_co_ci_u32_e32 v9, vcc_lo, 0, v183, vcc_lo
	s_load_b32 s25, s[0:1], 0x0
	v_cmp_eq_u32_e32 vcc_lo, 0, v15
	v_cmp_lt_u32_e64 s0, 1, v15
	v_cmp_lt_u32_e64 s1, 3, v15
	;; [unrolled: 1-line block ×3, first 2 shown]
	v_cndmask_b32_e64 v15, v17, v96, s4
	v_cmp_eq_u32_e64 s4, v0, v26
	v_lshlrev_b32_e32 v0, 2, v16
	v_xor_b32_e32 v22, -1, v14
	v_lshlrev_b32_e32 v14, 3, v26
	v_xor_b32_e32 v114, -1, v30
	v_lshlrev_b32_e32 v193, 2, v15
	v_lshlrev_b32_e32 v15, 2, v26
	v_add_co_u32 v30, s11, v12, v0
	v_add_nc_u32_e32 v0, -1, v16
	v_xor_b32_e32 v115, 0x7fffffff, v31
	v_add_co_ci_u32_e64 v31, s11, 0, v13, s11
	v_and_or_b32 v16, 0x1f00, v14, v96
	v_xor_b32_e32 v118, -1, v32
	v_add_co_u32 v32, s11, v12, v15
	v_lshlrev_b64 v[14:15], 2, v[0:1]
	s_delay_alu instid0(VALU_DEP_4)
	v_lshlrev_b32_e32 v0, 3, v16
	v_and_b32_e32 v17, 7, v96
	v_xor_b32_e32 v130, -1, v34
	v_xor_b32_e32 v131, 0x7fffffff, v35
	v_xor_b32_e32 v119, 0x7fffffff, v33
	v_add_co_u32 v34, s16, v12, v14
	s_delay_alu instid0(VALU_DEP_1)
	v_add_co_ci_u32_e64 v35, s16, v13, v15, s16
	v_xor_b32_e32 v132, -1, v36
	v_add_co_ci_u32_e64 v33, s11, 0, v13, s11
	v_add_co_u32 v36, s16, v12, v0
	v_cmp_eq_u32_e64 s11, 0, v17
	v_cmp_lt_u32_e64 s14, 1, v17
	v_cmp_lt_u32_e64 s15, 3, v17
	v_mov_b32_e32 v14, s20
	v_xor_b32_e32 v133, 0x7fffffff, v37
	v_lshrrev_b32_e32 v192, 5, v29
	v_cmp_gt_u32_e64 s5, 8, v26
	v_cmp_lt_u32_e64 s6, 31, v26
	v_cmp_eq_u32_e64 s7, 0, v96
	v_cmp_eq_u32_e64 s10, 0, v26
	v_add_co_ci_u32_e64 v37, s16, 0, v13, s16
	v_sub_nc_u32_e32 v194, v11, v10
	v_dual_mov_b32 v15, s21 :: v_dual_mov_b32 v16, s22
	v_mov_b32_e32 v17, s23
	s_waitcnt lgkmcnt(0)
	s_waitcnt_vscnt null, 0x0
	s_barrier
	buffer_gl0_inv
	s_branch .LBB711_172
.LBB711_171:                            ;   in Loop: Header=BB711_172 Depth=1
	s_or_b32 exec_lo, exec_lo, s17
	s_delay_alu instid0(SALU_CYCLE_1) | instskip(NEXT) | instid1(SALU_CYCLE_1)
	s_and_b32 s16, exec_lo, s18
	s_or_b32 s20, s16, s20
	s_delay_alu instid0(SALU_CYCLE_1)
	s_and_not1_b32 exec_lo, exec_lo, s20
	s_cbranch_execz .LBB711_226
.LBB711_172:                            ; =>This Inner Loop Header: Depth=1
	v_min_u32_e32 v0, s25, v194
	v_dual_mov_b32 v66, v148 :: v_dual_mov_b32 v67, v149
	v_mov_b32_e32 v64, v128
	v_mov_b32_e32 v98, v112
	s_delay_alu instid0(VALU_DEP_4)
	v_lshlrev_b32_e64 v0, v0, -1
	v_mov_b32_e32 v96, v114
	v_lshrrev_b64 v[50:51], v10, v[66:67]
	v_mov_b32_e32 v86, v118
	v_mov_b32_e32 v100, v132
	v_not_b32_e32 v148, v0
	v_dual_mov_b32 v54, v134 :: v_dual_mov_b32 v55, v135
	v_dual_mov_b32 v48, v102 :: v_dual_mov_b32 v49, v103
	s_delay_alu instid0(VALU_DEP_3) | instskip(SKIP_2) | instid1(VALU_DEP_3)
	v_dual_mov_b32 v65, v129 :: v_dual_and_b32 v0, v50, v148
	v_mov_b32_e32 v50, v146
	v_dual_mov_b32 v52, v144 :: v_dual_mov_b32 v51, v147
	v_and_b32_e32 v68, 1, v0
	v_lshlrev_b32_e32 v69, 30, v0
	v_lshlrev_b32_e32 v70, 29, v0
	;; [unrolled: 1-line block ×4, first 2 shown]
	v_add_co_u32 v68, s16, v68, -1
	s_delay_alu instid0(VALU_DEP_1)
	v_cndmask_b32_e64 v80, 0, 1, s16
	v_not_b32_e32 v84, v69
	v_cmp_gt_i32_e64 s17, 0, v69
	v_not_b32_e32 v69, v70
	v_lshlrev_b32_e32 v82, 26, v0
	v_cmp_ne_u32_e64 s16, 0, v80
	v_ashrrev_i32_e32 v84, 31, v84
	v_lshlrev_b32_e32 v83, 25, v0
	v_ashrrev_i32_e32 v69, 31, v69
	v_lshlrev_b32_e32 v80, 24, v0
	v_xor_b32_e32 v68, s16, v68
	v_cmp_gt_i32_e64 s16, 0, v70
	v_not_b32_e32 v70, v71
	v_xor_b32_e32 v84, s17, v84
	v_cmp_gt_i32_e64 s17, 0, v71
	v_dual_mov_b32 v99, v113 :: v_dual_and_b32 v68, exec_lo, v68
	v_not_b32_e32 v71, v81
	v_ashrrev_i32_e32 v70, 31, v70
	v_xor_b32_e32 v69, s16, v69
	s_delay_alu instid0(VALU_DEP_4) | instskip(SKIP_3) | instid1(VALU_DEP_4)
	v_dual_mov_b32 v97, v115 :: v_dual_and_b32 v68, v68, v84
	v_cmp_gt_i32_e64 s16, 0, v81
	v_ashrrev_i32_e32 v71, 31, v71
	v_xor_b32_e32 v70, s17, v70
	v_dual_mov_b32 v87, v119 :: v_dual_and_b32 v68, v68, v69
	v_not_b32_e32 v81, v82
	v_not_b32_e32 v69, v83
	v_xor_b32_e32 v71, s16, v71
	s_delay_alu instid0(VALU_DEP_4)
	v_and_b32_e32 v68, v68, v70
	v_cmp_gt_i32_e64 s17, 0, v82
	v_ashrrev_i32_e32 v81, 31, v81
	v_cmp_gt_i32_e64 s16, 0, v83
	v_ashrrev_i32_e32 v82, 31, v69
	v_and_b32_e32 v71, v68, v71
	v_mov_b32_e32 v69, v19
	v_xor_b32_e32 v81, s17, v81
	v_mov_b32_e32 v68, v18
	v_xor_b32_e32 v19, s16, v82
	v_mov_b32_e32 v83, v21
	v_not_b32_e32 v70, v80
	v_cmp_gt_i32_e64 s17, 0, v80
	v_dual_mov_b32 v101, v133 :: v_dual_and_b32 v84, v71, v81
	v_lshl_add_u32 v0, v0, 3, v192
	s_delay_alu instid0(VALU_DEP_4) | instskip(SKIP_1) | instid1(VALU_DEP_4)
	v_ashrrev_i32_e32 v18, 31, v70
	v_mov_b32_e32 v82, v20
	v_dual_mov_b32 v84, v130 :: v_dual_and_b32 v19, v84, v19
	v_mov_b32_e32 v71, v25
	s_delay_alu instid0(VALU_DEP_4) | instskip(SKIP_2) | instid1(VALU_DEP_3)
	v_xor_b32_e32 v18, s17, v18
	v_dual_mov_b32 v81, v23 :: v_dual_mov_b32 v38, v116
	v_mov_b32_e32 v39, v117
	v_dual_mov_b32 v53, v145 :: v_dual_and_b32 v18, v19, v18
	v_lshlrev_b64 v[19:20], 2, v[0:1]
	v_mov_b32_e32 v70, v24
	v_dual_mov_b32 v80, v22 :: v_dual_mov_b32 v85, v131
	s_delay_alu instid0(VALU_DEP_4) | instskip(SKIP_2) | instid1(VALU_DEP_1)
	v_mbcnt_lo_u32_b32 v134, v18, 0
	v_cmp_ne_u32_e64 s16, 0, v18
	v_add_co_u32 v102, s18, v182, v19
	v_add_co_ci_u32_e64 v103, s18, v183, v20, s18
	s_delay_alu instid0(VALU_DEP_4)
	v_cmp_eq_u32_e64 s17, 0, v134
	s_clause 0x1
	flat_store_b128 v[4:5], v[14:17] offset:32
	flat_store_b128 v[8:9], v[14:17] offset:16
	s_waitcnt lgkmcnt(0)
	s_waitcnt_vscnt null, 0x0
	s_barrier
	buffer_gl0_inv
	s_and_b32 s17, s16, s17
	; wave barrier
	s_delay_alu instid0(SALU_CYCLE_1)
	s_and_saveexec_b32 s16, s17
	s_cbranch_execz .LBB711_174
; %bb.173:                              ;   in Loop: Header=BB711_172 Depth=1
	v_bcnt_u32_b32 v0, v18, 0
	flat_store_b32 v[102:103], v0
.LBB711_174:                            ;   in Loop: Header=BB711_172 Depth=1
	s_or_b32 exec_lo, exec_lo, s16
	v_lshrrev_b64 v[18:19], v10, v[82:83]
	; wave barrier
	s_delay_alu instid0(VALU_DEP_1) | instskip(NEXT) | instid1(VALU_DEP_1)
	v_and_b32_e32 v20, v18, v148
	v_lshl_add_u32 v0, v20, 3, v192
	v_lshlrev_b32_e32 v21, 29, v20
	v_lshlrev_b32_e32 v22, 28, v20
	s_delay_alu instid0(VALU_DEP_3) | instskip(SKIP_1) | instid1(VALU_DEP_2)
	v_lshlrev_b64 v[18:19], 2, v[0:1]
	v_and_b32_e32 v0, 1, v20
	v_add_co_u32 v112, s16, v182, v18
	s_delay_alu instid0(VALU_DEP_1) | instskip(NEXT) | instid1(VALU_DEP_3)
	v_add_co_ci_u32_e64 v113, s16, v183, v19, s16
	v_add_co_u32 v0, s16, v0, -1
	s_delay_alu instid0(VALU_DEP_1) | instskip(SKIP_3) | instid1(VALU_DEP_2)
	v_cndmask_b32_e64 v18, 0, 1, s16
	flat_load_b32 v135, v[112:113]
	v_lshlrev_b32_e32 v19, 30, v20
	; wave barrier
	v_cmp_ne_u32_e64 s16, 0, v18
	v_not_b32_e32 v18, v19
	s_delay_alu instid0(VALU_DEP_2) | instskip(SKIP_1) | instid1(VALU_DEP_3)
	v_xor_b32_e32 v0, s16, v0
	v_cmp_gt_i32_e64 s16, 0, v19
	v_ashrrev_i32_e32 v18, 31, v18
	v_not_b32_e32 v19, v21
	s_delay_alu instid0(VALU_DEP_4) | instskip(NEXT) | instid1(VALU_DEP_3)
	v_and_b32_e32 v0, exec_lo, v0
	v_xor_b32_e32 v18, s16, v18
	v_cmp_gt_i32_e64 s16, 0, v21
	s_delay_alu instid0(VALU_DEP_4) | instskip(SKIP_1) | instid1(VALU_DEP_4)
	v_ashrrev_i32_e32 v19, 31, v19
	v_not_b32_e32 v21, v22
	v_and_b32_e32 v0, v0, v18
	v_lshlrev_b32_e32 v18, 27, v20
	s_delay_alu instid0(VALU_DEP_4) | instskip(SKIP_2) | instid1(VALU_DEP_4)
	v_xor_b32_e32 v19, s16, v19
	v_cmp_gt_i32_e64 s16, 0, v22
	v_ashrrev_i32_e32 v21, 31, v21
	v_not_b32_e32 v22, v18
	s_delay_alu instid0(VALU_DEP_4) | instskip(SKIP_1) | instid1(VALU_DEP_4)
	v_and_b32_e32 v0, v0, v19
	v_lshlrev_b32_e32 v19, 26, v20
	v_xor_b32_e32 v21, s16, v21
	v_cmp_gt_i32_e64 s16, 0, v18
	v_ashrrev_i32_e32 v18, 31, v22
	s_delay_alu instid0(VALU_DEP_4) | instskip(NEXT) | instid1(VALU_DEP_4)
	v_not_b32_e32 v22, v19
	v_and_b32_e32 v0, v0, v21
	v_lshlrev_b32_e32 v21, 25, v20
	s_delay_alu instid0(VALU_DEP_4) | instskip(SKIP_2) | instid1(VALU_DEP_4)
	v_xor_b32_e32 v18, s16, v18
	v_cmp_gt_i32_e64 s16, 0, v19
	v_ashrrev_i32_e32 v19, 31, v22
	v_not_b32_e32 v22, v21
	s_delay_alu instid0(VALU_DEP_4) | instskip(SKIP_1) | instid1(VALU_DEP_4)
	v_and_b32_e32 v0, v0, v18
	v_lshlrev_b32_e32 v18, 24, v20
	v_xor_b32_e32 v19, s16, v19
	v_cmp_gt_i32_e64 s16, 0, v21
	v_ashrrev_i32_e32 v20, 31, v22
	s_delay_alu instid0(VALU_DEP_4) | instskip(NEXT) | instid1(VALU_DEP_4)
	v_not_b32_e32 v21, v18
	v_and_b32_e32 v0, v0, v19
	s_delay_alu instid0(VALU_DEP_3) | instskip(SKIP_1) | instid1(VALU_DEP_4)
	v_xor_b32_e32 v19, s16, v20
	v_cmp_gt_i32_e64 s16, 0, v18
	v_ashrrev_i32_e32 v18, 31, v21
	s_delay_alu instid0(VALU_DEP_3) | instskip(NEXT) | instid1(VALU_DEP_2)
	v_and_b32_e32 v0, v0, v19
	v_xor_b32_e32 v18, s16, v18
	s_delay_alu instid0(VALU_DEP_1) | instskip(NEXT) | instid1(VALU_DEP_1)
	v_and_b32_e32 v0, v0, v18
	v_mbcnt_lo_u32_b32 v144, v0, 0
	v_cmp_ne_u32_e64 s17, 0, v0
	s_delay_alu instid0(VALU_DEP_2) | instskip(NEXT) | instid1(VALU_DEP_1)
	v_cmp_eq_u32_e64 s16, 0, v144
	s_and_b32 s17, s17, s16
	s_delay_alu instid0(SALU_CYCLE_1)
	s_and_saveexec_b32 s16, s17
	s_cbranch_execz .LBB711_176
; %bb.175:                              ;   in Loop: Header=BB711_172 Depth=1
	s_waitcnt vmcnt(0) lgkmcnt(0)
	v_bcnt_u32_b32 v0, v0, v135
	flat_store_b32 v[112:113], v0
.LBB711_176:                            ;   in Loop: Header=BB711_172 Depth=1
	s_or_b32 exec_lo, exec_lo, s16
	v_lshrrev_b64 v[18:19], v10, v[80:81]
	; wave barrier
	s_delay_alu instid0(VALU_DEP_1) | instskip(NEXT) | instid1(VALU_DEP_1)
	v_and_b32_e32 v20, v18, v148
	v_lshl_add_u32 v0, v20, 3, v192
	v_lshlrev_b32_e32 v21, 29, v20
	v_lshlrev_b32_e32 v22, 28, v20
	s_delay_alu instid0(VALU_DEP_3) | instskip(SKIP_1) | instid1(VALU_DEP_2)
	v_lshlrev_b64 v[18:19], 2, v[0:1]
	v_and_b32_e32 v0, 1, v20
	v_add_co_u32 v114, s16, v182, v18
	s_delay_alu instid0(VALU_DEP_1) | instskip(NEXT) | instid1(VALU_DEP_3)
	v_add_co_ci_u32_e64 v115, s16, v183, v19, s16
	v_add_co_u32 v0, s16, v0, -1
	s_delay_alu instid0(VALU_DEP_1) | instskip(SKIP_3) | instid1(VALU_DEP_2)
	v_cndmask_b32_e64 v18, 0, 1, s16
	flat_load_b32 v145, v[114:115]
	v_lshlrev_b32_e32 v19, 30, v20
	; wave barrier
	v_cmp_ne_u32_e64 s16, 0, v18
	v_not_b32_e32 v18, v19
	s_delay_alu instid0(VALU_DEP_2) | instskip(SKIP_1) | instid1(VALU_DEP_3)
	v_xor_b32_e32 v0, s16, v0
	v_cmp_gt_i32_e64 s16, 0, v19
	v_ashrrev_i32_e32 v18, 31, v18
	v_not_b32_e32 v19, v21
	s_delay_alu instid0(VALU_DEP_4) | instskip(NEXT) | instid1(VALU_DEP_3)
	v_and_b32_e32 v0, exec_lo, v0
	v_xor_b32_e32 v18, s16, v18
	v_cmp_gt_i32_e64 s16, 0, v21
	s_delay_alu instid0(VALU_DEP_4) | instskip(SKIP_1) | instid1(VALU_DEP_4)
	v_ashrrev_i32_e32 v19, 31, v19
	v_not_b32_e32 v21, v22
	v_and_b32_e32 v0, v0, v18
	v_lshlrev_b32_e32 v18, 27, v20
	s_delay_alu instid0(VALU_DEP_4) | instskip(SKIP_2) | instid1(VALU_DEP_4)
	v_xor_b32_e32 v19, s16, v19
	v_cmp_gt_i32_e64 s16, 0, v22
	v_ashrrev_i32_e32 v21, 31, v21
	v_not_b32_e32 v22, v18
	s_delay_alu instid0(VALU_DEP_4) | instskip(SKIP_1) | instid1(VALU_DEP_4)
	v_and_b32_e32 v0, v0, v19
	v_lshlrev_b32_e32 v19, 26, v20
	v_xor_b32_e32 v21, s16, v21
	v_cmp_gt_i32_e64 s16, 0, v18
	v_ashrrev_i32_e32 v18, 31, v22
	s_delay_alu instid0(VALU_DEP_4) | instskip(NEXT) | instid1(VALU_DEP_4)
	v_not_b32_e32 v22, v19
	v_and_b32_e32 v0, v0, v21
	v_lshlrev_b32_e32 v21, 25, v20
	s_delay_alu instid0(VALU_DEP_4) | instskip(SKIP_2) | instid1(VALU_DEP_4)
	v_xor_b32_e32 v18, s16, v18
	v_cmp_gt_i32_e64 s16, 0, v19
	v_ashrrev_i32_e32 v19, 31, v22
	v_not_b32_e32 v22, v21
	s_delay_alu instid0(VALU_DEP_4) | instskip(SKIP_1) | instid1(VALU_DEP_4)
	v_and_b32_e32 v0, v0, v18
	v_lshlrev_b32_e32 v18, 24, v20
	v_xor_b32_e32 v19, s16, v19
	v_cmp_gt_i32_e64 s16, 0, v21
	v_ashrrev_i32_e32 v20, 31, v22
	s_delay_alu instid0(VALU_DEP_4) | instskip(NEXT) | instid1(VALU_DEP_4)
	v_not_b32_e32 v21, v18
	v_and_b32_e32 v0, v0, v19
	s_delay_alu instid0(VALU_DEP_3) | instskip(SKIP_1) | instid1(VALU_DEP_4)
	v_xor_b32_e32 v19, s16, v20
	v_cmp_gt_i32_e64 s16, 0, v18
	v_ashrrev_i32_e32 v18, 31, v21
	s_delay_alu instid0(VALU_DEP_3) | instskip(NEXT) | instid1(VALU_DEP_2)
	v_and_b32_e32 v0, v0, v19
	v_xor_b32_e32 v18, s16, v18
	s_delay_alu instid0(VALU_DEP_1) | instskip(NEXT) | instid1(VALU_DEP_1)
	v_and_b32_e32 v0, v0, v18
	v_mbcnt_lo_u32_b32 v146, v0, 0
	v_cmp_ne_u32_e64 s17, 0, v0
	s_delay_alu instid0(VALU_DEP_2) | instskip(NEXT) | instid1(VALU_DEP_1)
	v_cmp_eq_u32_e64 s16, 0, v146
	s_and_b32 s17, s17, s16
	s_delay_alu instid0(SALU_CYCLE_1)
	s_and_saveexec_b32 s16, s17
	s_cbranch_execz .LBB711_178
; %bb.177:                              ;   in Loop: Header=BB711_172 Depth=1
	s_waitcnt vmcnt(0) lgkmcnt(0)
	v_bcnt_u32_b32 v0, v0, v145
	flat_store_b32 v[114:115], v0
.LBB711_178:                            ;   in Loop: Header=BB711_172 Depth=1
	s_or_b32 exec_lo, exec_lo, s16
	v_lshrrev_b64 v[18:19], v10, v[98:99]
	; wave barrier
	s_delay_alu instid0(VALU_DEP_1) | instskip(NEXT) | instid1(VALU_DEP_1)
	v_and_b32_e32 v20, v18, v148
	v_lshl_add_u32 v0, v20, 3, v192
	v_lshlrev_b32_e32 v21, 29, v20
	v_lshlrev_b32_e32 v22, 28, v20
	s_delay_alu instid0(VALU_DEP_3) | instskip(SKIP_1) | instid1(VALU_DEP_2)
	v_lshlrev_b64 v[18:19], 2, v[0:1]
	v_and_b32_e32 v0, 1, v20
	v_add_co_u32 v116, s16, v182, v18
	s_delay_alu instid0(VALU_DEP_1) | instskip(NEXT) | instid1(VALU_DEP_3)
	v_add_co_ci_u32_e64 v117, s16, v183, v19, s16
	v_add_co_u32 v0, s16, v0, -1
	s_delay_alu instid0(VALU_DEP_1) | instskip(SKIP_3) | instid1(VALU_DEP_2)
	v_cndmask_b32_e64 v18, 0, 1, s16
	flat_load_b32 v147, v[116:117]
	v_lshlrev_b32_e32 v19, 30, v20
	; wave barrier
	v_cmp_ne_u32_e64 s16, 0, v18
	v_not_b32_e32 v18, v19
	s_delay_alu instid0(VALU_DEP_2) | instskip(SKIP_1) | instid1(VALU_DEP_3)
	v_xor_b32_e32 v0, s16, v0
	v_cmp_gt_i32_e64 s16, 0, v19
	v_ashrrev_i32_e32 v18, 31, v18
	v_not_b32_e32 v19, v21
	s_delay_alu instid0(VALU_DEP_4) | instskip(NEXT) | instid1(VALU_DEP_3)
	v_and_b32_e32 v0, exec_lo, v0
	v_xor_b32_e32 v18, s16, v18
	v_cmp_gt_i32_e64 s16, 0, v21
	s_delay_alu instid0(VALU_DEP_4) | instskip(SKIP_1) | instid1(VALU_DEP_4)
	v_ashrrev_i32_e32 v19, 31, v19
	v_not_b32_e32 v21, v22
	v_and_b32_e32 v0, v0, v18
	v_lshlrev_b32_e32 v18, 27, v20
	s_delay_alu instid0(VALU_DEP_4) | instskip(SKIP_2) | instid1(VALU_DEP_4)
	v_xor_b32_e32 v19, s16, v19
	v_cmp_gt_i32_e64 s16, 0, v22
	v_ashrrev_i32_e32 v21, 31, v21
	v_not_b32_e32 v22, v18
	s_delay_alu instid0(VALU_DEP_4) | instskip(SKIP_1) | instid1(VALU_DEP_4)
	v_and_b32_e32 v0, v0, v19
	v_lshlrev_b32_e32 v19, 26, v20
	v_xor_b32_e32 v21, s16, v21
	v_cmp_gt_i32_e64 s16, 0, v18
	v_ashrrev_i32_e32 v18, 31, v22
	s_delay_alu instid0(VALU_DEP_4) | instskip(NEXT) | instid1(VALU_DEP_4)
	v_not_b32_e32 v22, v19
	v_and_b32_e32 v0, v0, v21
	v_lshlrev_b32_e32 v21, 25, v20
	s_delay_alu instid0(VALU_DEP_4) | instskip(SKIP_2) | instid1(VALU_DEP_4)
	v_xor_b32_e32 v18, s16, v18
	v_cmp_gt_i32_e64 s16, 0, v19
	v_ashrrev_i32_e32 v19, 31, v22
	v_not_b32_e32 v22, v21
	s_delay_alu instid0(VALU_DEP_4) | instskip(SKIP_1) | instid1(VALU_DEP_4)
	v_and_b32_e32 v0, v0, v18
	v_lshlrev_b32_e32 v18, 24, v20
	v_xor_b32_e32 v19, s16, v19
	v_cmp_gt_i32_e64 s16, 0, v21
	v_ashrrev_i32_e32 v20, 31, v22
	s_delay_alu instid0(VALU_DEP_4) | instskip(NEXT) | instid1(VALU_DEP_4)
	v_not_b32_e32 v21, v18
	v_and_b32_e32 v0, v0, v19
	s_delay_alu instid0(VALU_DEP_3) | instskip(SKIP_1) | instid1(VALU_DEP_4)
	v_xor_b32_e32 v19, s16, v20
	v_cmp_gt_i32_e64 s16, 0, v18
	v_ashrrev_i32_e32 v18, 31, v21
	s_delay_alu instid0(VALU_DEP_3) | instskip(NEXT) | instid1(VALU_DEP_2)
	v_and_b32_e32 v0, v0, v19
	v_xor_b32_e32 v18, s16, v18
	s_delay_alu instid0(VALU_DEP_1) | instskip(NEXT) | instid1(VALU_DEP_1)
	v_and_b32_e32 v0, v0, v18
	v_mbcnt_lo_u32_b32 v149, v0, 0
	v_cmp_ne_u32_e64 s17, 0, v0
	s_delay_alu instid0(VALU_DEP_2) | instskip(NEXT) | instid1(VALU_DEP_1)
	v_cmp_eq_u32_e64 s16, 0, v149
	s_and_b32 s17, s17, s16
	s_delay_alu instid0(SALU_CYCLE_1)
	s_and_saveexec_b32 s16, s17
	s_cbranch_execz .LBB711_180
; %bb.179:                              ;   in Loop: Header=BB711_172 Depth=1
	s_waitcnt vmcnt(0) lgkmcnt(0)
	v_bcnt_u32_b32 v0, v0, v147
	flat_store_b32 v[116:117], v0
.LBB711_180:                            ;   in Loop: Header=BB711_172 Depth=1
	s_or_b32 exec_lo, exec_lo, s16
	v_lshrrev_b64 v[18:19], v10, v[96:97]
	; wave barrier
	s_delay_alu instid0(VALU_DEP_1) | instskip(NEXT) | instid1(VALU_DEP_1)
	v_and_b32_e32 v20, v18, v148
	v_lshl_add_u32 v0, v20, 3, v192
	v_lshlrev_b32_e32 v21, 29, v20
	v_lshlrev_b32_e32 v22, 28, v20
	s_delay_alu instid0(VALU_DEP_3) | instskip(SKIP_1) | instid1(VALU_DEP_2)
	v_lshlrev_b64 v[18:19], 2, v[0:1]
	v_and_b32_e32 v0, 1, v20
	v_add_co_u32 v118, s16, v182, v18
	s_delay_alu instid0(VALU_DEP_1) | instskip(NEXT) | instid1(VALU_DEP_3)
	v_add_co_ci_u32_e64 v119, s16, v183, v19, s16
	v_add_co_u32 v0, s16, v0, -1
	s_delay_alu instid0(VALU_DEP_1) | instskip(SKIP_3) | instid1(VALU_DEP_2)
	v_cndmask_b32_e64 v18, 0, 1, s16
	flat_load_b32 v150, v[118:119]
	v_lshlrev_b32_e32 v19, 30, v20
	; wave barrier
	v_cmp_ne_u32_e64 s16, 0, v18
	v_not_b32_e32 v18, v19
	s_delay_alu instid0(VALU_DEP_2) | instskip(SKIP_1) | instid1(VALU_DEP_3)
	v_xor_b32_e32 v0, s16, v0
	v_cmp_gt_i32_e64 s16, 0, v19
	v_ashrrev_i32_e32 v18, 31, v18
	v_not_b32_e32 v19, v21
	s_delay_alu instid0(VALU_DEP_4) | instskip(NEXT) | instid1(VALU_DEP_3)
	v_and_b32_e32 v0, exec_lo, v0
	v_xor_b32_e32 v18, s16, v18
	v_cmp_gt_i32_e64 s16, 0, v21
	s_delay_alu instid0(VALU_DEP_4) | instskip(SKIP_1) | instid1(VALU_DEP_4)
	v_ashrrev_i32_e32 v19, 31, v19
	v_not_b32_e32 v21, v22
	v_and_b32_e32 v0, v0, v18
	v_lshlrev_b32_e32 v18, 27, v20
	s_delay_alu instid0(VALU_DEP_4) | instskip(SKIP_2) | instid1(VALU_DEP_4)
	v_xor_b32_e32 v19, s16, v19
	v_cmp_gt_i32_e64 s16, 0, v22
	v_ashrrev_i32_e32 v21, 31, v21
	v_not_b32_e32 v22, v18
	s_delay_alu instid0(VALU_DEP_4) | instskip(SKIP_1) | instid1(VALU_DEP_4)
	v_and_b32_e32 v0, v0, v19
	v_lshlrev_b32_e32 v19, 26, v20
	v_xor_b32_e32 v21, s16, v21
	v_cmp_gt_i32_e64 s16, 0, v18
	v_ashrrev_i32_e32 v18, 31, v22
	s_delay_alu instid0(VALU_DEP_4) | instskip(NEXT) | instid1(VALU_DEP_4)
	v_not_b32_e32 v22, v19
	v_and_b32_e32 v0, v0, v21
	v_lshlrev_b32_e32 v21, 25, v20
	s_delay_alu instid0(VALU_DEP_4) | instskip(SKIP_2) | instid1(VALU_DEP_4)
	v_xor_b32_e32 v18, s16, v18
	v_cmp_gt_i32_e64 s16, 0, v19
	v_ashrrev_i32_e32 v19, 31, v22
	v_not_b32_e32 v22, v21
	s_delay_alu instid0(VALU_DEP_4) | instskip(SKIP_1) | instid1(VALU_DEP_4)
	v_and_b32_e32 v0, v0, v18
	v_lshlrev_b32_e32 v18, 24, v20
	v_xor_b32_e32 v19, s16, v19
	v_cmp_gt_i32_e64 s16, 0, v21
	v_ashrrev_i32_e32 v20, 31, v22
	s_delay_alu instid0(VALU_DEP_4) | instskip(NEXT) | instid1(VALU_DEP_4)
	v_not_b32_e32 v21, v18
	v_and_b32_e32 v0, v0, v19
	s_delay_alu instid0(VALU_DEP_3) | instskip(SKIP_1) | instid1(VALU_DEP_4)
	v_xor_b32_e32 v19, s16, v20
	v_cmp_gt_i32_e64 s16, 0, v18
	v_ashrrev_i32_e32 v18, 31, v21
	s_delay_alu instid0(VALU_DEP_3) | instskip(NEXT) | instid1(VALU_DEP_2)
	v_and_b32_e32 v0, v0, v19
	v_xor_b32_e32 v18, s16, v18
	s_delay_alu instid0(VALU_DEP_1) | instskip(NEXT) | instid1(VALU_DEP_1)
	v_and_b32_e32 v0, v0, v18
	v_mbcnt_lo_u32_b32 v151, v0, 0
	v_cmp_ne_u32_e64 s17, 0, v0
	s_delay_alu instid0(VALU_DEP_2) | instskip(NEXT) | instid1(VALU_DEP_1)
	v_cmp_eq_u32_e64 s16, 0, v151
	s_and_b32 s17, s17, s16
	s_delay_alu instid0(SALU_CYCLE_1)
	s_and_saveexec_b32 s16, s17
	s_cbranch_execz .LBB711_182
; %bb.181:                              ;   in Loop: Header=BB711_172 Depth=1
	s_waitcnt vmcnt(0) lgkmcnt(0)
	v_bcnt_u32_b32 v0, v0, v150
	flat_store_b32 v[118:119], v0
.LBB711_182:                            ;   in Loop: Header=BB711_172 Depth=1
	s_or_b32 exec_lo, exec_lo, s16
	v_lshrrev_b64 v[18:19], v10, v[86:87]
	; wave barrier
	s_delay_alu instid0(VALU_DEP_1) | instskip(NEXT) | instid1(VALU_DEP_1)
	v_and_b32_e32 v20, v18, v148
	v_lshl_add_u32 v0, v20, 3, v192
	v_lshlrev_b32_e32 v21, 29, v20
	v_lshlrev_b32_e32 v22, 28, v20
	s_delay_alu instid0(VALU_DEP_3) | instskip(SKIP_1) | instid1(VALU_DEP_2)
	v_lshlrev_b64 v[18:19], 2, v[0:1]
	v_and_b32_e32 v0, 1, v20
	v_add_co_u32 v128, s16, v182, v18
	s_delay_alu instid0(VALU_DEP_1) | instskip(NEXT) | instid1(VALU_DEP_3)
	v_add_co_ci_u32_e64 v129, s16, v183, v19, s16
	v_add_co_u32 v0, s16, v0, -1
	s_delay_alu instid0(VALU_DEP_1) | instskip(SKIP_3) | instid1(VALU_DEP_2)
	v_cndmask_b32_e64 v18, 0, 1, s16
	flat_load_b32 v160, v[128:129]
	v_lshlrev_b32_e32 v19, 30, v20
	; wave barrier
	v_cmp_ne_u32_e64 s16, 0, v18
	v_not_b32_e32 v18, v19
	s_delay_alu instid0(VALU_DEP_2) | instskip(SKIP_1) | instid1(VALU_DEP_3)
	v_xor_b32_e32 v0, s16, v0
	v_cmp_gt_i32_e64 s16, 0, v19
	v_ashrrev_i32_e32 v18, 31, v18
	v_not_b32_e32 v19, v21
	s_delay_alu instid0(VALU_DEP_4) | instskip(NEXT) | instid1(VALU_DEP_3)
	v_and_b32_e32 v0, exec_lo, v0
	v_xor_b32_e32 v18, s16, v18
	v_cmp_gt_i32_e64 s16, 0, v21
	s_delay_alu instid0(VALU_DEP_4) | instskip(SKIP_1) | instid1(VALU_DEP_4)
	v_ashrrev_i32_e32 v19, 31, v19
	v_not_b32_e32 v21, v22
	v_and_b32_e32 v0, v0, v18
	v_lshlrev_b32_e32 v18, 27, v20
	s_delay_alu instid0(VALU_DEP_4) | instskip(SKIP_2) | instid1(VALU_DEP_4)
	v_xor_b32_e32 v19, s16, v19
	v_cmp_gt_i32_e64 s16, 0, v22
	v_ashrrev_i32_e32 v21, 31, v21
	v_not_b32_e32 v22, v18
	s_delay_alu instid0(VALU_DEP_4) | instskip(SKIP_1) | instid1(VALU_DEP_4)
	v_and_b32_e32 v0, v0, v19
	v_lshlrev_b32_e32 v19, 26, v20
	v_xor_b32_e32 v21, s16, v21
	v_cmp_gt_i32_e64 s16, 0, v18
	v_ashrrev_i32_e32 v18, 31, v22
	s_delay_alu instid0(VALU_DEP_4) | instskip(NEXT) | instid1(VALU_DEP_4)
	v_not_b32_e32 v22, v19
	v_and_b32_e32 v0, v0, v21
	v_lshlrev_b32_e32 v21, 25, v20
	s_delay_alu instid0(VALU_DEP_4) | instskip(SKIP_2) | instid1(VALU_DEP_4)
	v_xor_b32_e32 v18, s16, v18
	v_cmp_gt_i32_e64 s16, 0, v19
	v_ashrrev_i32_e32 v19, 31, v22
	v_not_b32_e32 v22, v21
	s_delay_alu instid0(VALU_DEP_4) | instskip(SKIP_1) | instid1(VALU_DEP_4)
	v_and_b32_e32 v0, v0, v18
	v_lshlrev_b32_e32 v18, 24, v20
	v_xor_b32_e32 v19, s16, v19
	v_cmp_gt_i32_e64 s16, 0, v21
	v_ashrrev_i32_e32 v20, 31, v22
	s_delay_alu instid0(VALU_DEP_4) | instskip(NEXT) | instid1(VALU_DEP_4)
	v_not_b32_e32 v21, v18
	v_and_b32_e32 v0, v0, v19
	s_delay_alu instid0(VALU_DEP_3) | instskip(SKIP_1) | instid1(VALU_DEP_4)
	v_xor_b32_e32 v19, s16, v20
	v_cmp_gt_i32_e64 s16, 0, v18
	v_ashrrev_i32_e32 v18, 31, v21
	s_delay_alu instid0(VALU_DEP_3) | instskip(NEXT) | instid1(VALU_DEP_2)
	v_and_b32_e32 v0, v0, v19
	v_xor_b32_e32 v18, s16, v18
	s_delay_alu instid0(VALU_DEP_1) | instskip(NEXT) | instid1(VALU_DEP_1)
	v_and_b32_e32 v0, v0, v18
	v_mbcnt_lo_u32_b32 v161, v0, 0
	v_cmp_ne_u32_e64 s17, 0, v0
	s_delay_alu instid0(VALU_DEP_2) | instskip(NEXT) | instid1(VALU_DEP_1)
	v_cmp_eq_u32_e64 s16, 0, v161
	s_and_b32 s17, s17, s16
	s_delay_alu instid0(SALU_CYCLE_1)
	s_and_saveexec_b32 s16, s17
	s_cbranch_execz .LBB711_184
; %bb.183:                              ;   in Loop: Header=BB711_172 Depth=1
	s_waitcnt vmcnt(0) lgkmcnt(0)
	v_bcnt_u32_b32 v0, v0, v160
	flat_store_b32 v[128:129], v0
.LBB711_184:                            ;   in Loop: Header=BB711_172 Depth=1
	s_or_b32 exec_lo, exec_lo, s16
	v_lshrrev_b64 v[18:19], v10, v[84:85]
	; wave barrier
	s_delay_alu instid0(VALU_DEP_1) | instskip(NEXT) | instid1(VALU_DEP_1)
	v_and_b32_e32 v20, v18, v148
	v_lshl_add_u32 v0, v20, 3, v192
	v_lshlrev_b32_e32 v21, 29, v20
	v_lshlrev_b32_e32 v22, 28, v20
	s_delay_alu instid0(VALU_DEP_3) | instskip(SKIP_1) | instid1(VALU_DEP_2)
	v_lshlrev_b64 v[18:19], 2, v[0:1]
	v_and_b32_e32 v0, 1, v20
	v_add_co_u32 v130, s16, v182, v18
	s_delay_alu instid0(VALU_DEP_1) | instskip(NEXT) | instid1(VALU_DEP_3)
	v_add_co_ci_u32_e64 v131, s16, v183, v19, s16
	v_add_co_u32 v0, s16, v0, -1
	s_delay_alu instid0(VALU_DEP_1) | instskip(SKIP_3) | instid1(VALU_DEP_2)
	v_cndmask_b32_e64 v18, 0, 1, s16
	flat_load_b32 v162, v[130:131]
	v_lshlrev_b32_e32 v19, 30, v20
	; wave barrier
	v_cmp_ne_u32_e64 s16, 0, v18
	v_not_b32_e32 v18, v19
	s_delay_alu instid0(VALU_DEP_2) | instskip(SKIP_1) | instid1(VALU_DEP_3)
	v_xor_b32_e32 v0, s16, v0
	v_cmp_gt_i32_e64 s16, 0, v19
	v_ashrrev_i32_e32 v18, 31, v18
	v_not_b32_e32 v19, v21
	s_delay_alu instid0(VALU_DEP_4) | instskip(NEXT) | instid1(VALU_DEP_3)
	v_and_b32_e32 v0, exec_lo, v0
	v_xor_b32_e32 v18, s16, v18
	v_cmp_gt_i32_e64 s16, 0, v21
	s_delay_alu instid0(VALU_DEP_4) | instskip(SKIP_1) | instid1(VALU_DEP_4)
	v_ashrrev_i32_e32 v19, 31, v19
	v_not_b32_e32 v21, v22
	v_and_b32_e32 v0, v0, v18
	v_lshlrev_b32_e32 v18, 27, v20
	s_delay_alu instid0(VALU_DEP_4) | instskip(SKIP_2) | instid1(VALU_DEP_4)
	v_xor_b32_e32 v19, s16, v19
	v_cmp_gt_i32_e64 s16, 0, v22
	v_ashrrev_i32_e32 v21, 31, v21
	v_not_b32_e32 v22, v18
	s_delay_alu instid0(VALU_DEP_4) | instskip(SKIP_1) | instid1(VALU_DEP_4)
	v_and_b32_e32 v0, v0, v19
	v_lshlrev_b32_e32 v19, 26, v20
	v_xor_b32_e32 v21, s16, v21
	v_cmp_gt_i32_e64 s16, 0, v18
	v_ashrrev_i32_e32 v18, 31, v22
	s_delay_alu instid0(VALU_DEP_4) | instskip(NEXT) | instid1(VALU_DEP_4)
	v_not_b32_e32 v22, v19
	v_and_b32_e32 v0, v0, v21
	v_lshlrev_b32_e32 v21, 25, v20
	s_delay_alu instid0(VALU_DEP_4) | instskip(SKIP_2) | instid1(VALU_DEP_4)
	v_xor_b32_e32 v18, s16, v18
	v_cmp_gt_i32_e64 s16, 0, v19
	v_ashrrev_i32_e32 v19, 31, v22
	v_not_b32_e32 v22, v21
	s_delay_alu instid0(VALU_DEP_4) | instskip(SKIP_1) | instid1(VALU_DEP_4)
	v_and_b32_e32 v0, v0, v18
	v_lshlrev_b32_e32 v18, 24, v20
	v_xor_b32_e32 v19, s16, v19
	v_cmp_gt_i32_e64 s16, 0, v21
	v_ashrrev_i32_e32 v20, 31, v22
	s_delay_alu instid0(VALU_DEP_4) | instskip(NEXT) | instid1(VALU_DEP_4)
	v_not_b32_e32 v21, v18
	v_and_b32_e32 v0, v0, v19
	s_delay_alu instid0(VALU_DEP_3) | instskip(SKIP_1) | instid1(VALU_DEP_4)
	v_xor_b32_e32 v19, s16, v20
	v_cmp_gt_i32_e64 s16, 0, v18
	v_ashrrev_i32_e32 v18, 31, v21
	s_delay_alu instid0(VALU_DEP_3) | instskip(NEXT) | instid1(VALU_DEP_2)
	v_and_b32_e32 v0, v0, v19
	v_xor_b32_e32 v18, s16, v18
	s_delay_alu instid0(VALU_DEP_1) | instskip(NEXT) | instid1(VALU_DEP_1)
	v_and_b32_e32 v0, v0, v18
	v_mbcnt_lo_u32_b32 v163, v0, 0
	v_cmp_ne_u32_e64 s17, 0, v0
	s_delay_alu instid0(VALU_DEP_2) | instskip(NEXT) | instid1(VALU_DEP_1)
	v_cmp_eq_u32_e64 s16, 0, v163
	s_and_b32 s17, s17, s16
	s_delay_alu instid0(SALU_CYCLE_1)
	s_and_saveexec_b32 s16, s17
	s_cbranch_execz .LBB711_186
; %bb.185:                              ;   in Loop: Header=BB711_172 Depth=1
	s_waitcnt vmcnt(0) lgkmcnt(0)
	v_bcnt_u32_b32 v0, v0, v162
	flat_store_b32 v[130:131], v0
.LBB711_186:                            ;   in Loop: Header=BB711_172 Depth=1
	s_or_b32 exec_lo, exec_lo, s16
	v_lshrrev_b64 v[18:19], v10, v[100:101]
	; wave barrier
	s_delay_alu instid0(VALU_DEP_1) | instskip(NEXT) | instid1(VALU_DEP_1)
	v_and_b32_e32 v20, v18, v148
	v_lshl_add_u32 v0, v20, 3, v192
	v_lshlrev_b32_e32 v21, 29, v20
	v_lshlrev_b32_e32 v22, 28, v20
	s_delay_alu instid0(VALU_DEP_3) | instskip(SKIP_1) | instid1(VALU_DEP_2)
	v_lshlrev_b64 v[18:19], 2, v[0:1]
	v_and_b32_e32 v0, 1, v20
	v_add_co_u32 v132, s16, v182, v18
	s_delay_alu instid0(VALU_DEP_1) | instskip(NEXT) | instid1(VALU_DEP_3)
	v_add_co_ci_u32_e64 v133, s16, v183, v19, s16
	v_add_co_u32 v0, s16, v0, -1
	s_delay_alu instid0(VALU_DEP_1) | instskip(SKIP_3) | instid1(VALU_DEP_2)
	v_cndmask_b32_e64 v18, 0, 1, s16
	flat_load_b32 v148, v[132:133]
	v_lshlrev_b32_e32 v19, 30, v20
	; wave barrier
	v_cmp_ne_u32_e64 s16, 0, v18
	v_not_b32_e32 v18, v19
	s_delay_alu instid0(VALU_DEP_2) | instskip(SKIP_1) | instid1(VALU_DEP_3)
	v_xor_b32_e32 v0, s16, v0
	v_cmp_gt_i32_e64 s16, 0, v19
	v_ashrrev_i32_e32 v18, 31, v18
	v_not_b32_e32 v19, v21
	s_delay_alu instid0(VALU_DEP_4) | instskip(NEXT) | instid1(VALU_DEP_3)
	v_and_b32_e32 v0, exec_lo, v0
	v_xor_b32_e32 v18, s16, v18
	v_cmp_gt_i32_e64 s16, 0, v21
	s_delay_alu instid0(VALU_DEP_4) | instskip(SKIP_1) | instid1(VALU_DEP_4)
	v_ashrrev_i32_e32 v19, 31, v19
	v_not_b32_e32 v21, v22
	v_and_b32_e32 v0, v0, v18
	v_lshlrev_b32_e32 v18, 27, v20
	s_delay_alu instid0(VALU_DEP_4) | instskip(SKIP_2) | instid1(VALU_DEP_4)
	v_xor_b32_e32 v19, s16, v19
	v_cmp_gt_i32_e64 s16, 0, v22
	v_ashrrev_i32_e32 v21, 31, v21
	v_not_b32_e32 v22, v18
	s_delay_alu instid0(VALU_DEP_4) | instskip(SKIP_1) | instid1(VALU_DEP_4)
	v_and_b32_e32 v0, v0, v19
	v_lshlrev_b32_e32 v19, 26, v20
	v_xor_b32_e32 v21, s16, v21
	v_cmp_gt_i32_e64 s16, 0, v18
	v_ashrrev_i32_e32 v18, 31, v22
	s_delay_alu instid0(VALU_DEP_4) | instskip(NEXT) | instid1(VALU_DEP_4)
	v_not_b32_e32 v22, v19
	v_and_b32_e32 v0, v0, v21
	v_lshlrev_b32_e32 v21, 25, v20
	s_delay_alu instid0(VALU_DEP_4) | instskip(SKIP_2) | instid1(VALU_DEP_4)
	v_xor_b32_e32 v18, s16, v18
	v_cmp_gt_i32_e64 s16, 0, v19
	v_ashrrev_i32_e32 v19, 31, v22
	v_not_b32_e32 v22, v21
	s_delay_alu instid0(VALU_DEP_4) | instskip(SKIP_1) | instid1(VALU_DEP_4)
	v_and_b32_e32 v0, v0, v18
	v_lshlrev_b32_e32 v18, 24, v20
	v_xor_b32_e32 v19, s16, v19
	v_cmp_gt_i32_e64 s16, 0, v21
	v_ashrrev_i32_e32 v20, 31, v22
	s_delay_alu instid0(VALU_DEP_4) | instskip(NEXT) | instid1(VALU_DEP_4)
	v_not_b32_e32 v21, v18
	v_and_b32_e32 v0, v0, v19
	s_delay_alu instid0(VALU_DEP_3) | instskip(SKIP_1) | instid1(VALU_DEP_4)
	v_xor_b32_e32 v19, s16, v20
	v_cmp_gt_i32_e64 s16, 0, v18
	v_ashrrev_i32_e32 v18, 31, v21
	s_delay_alu instid0(VALU_DEP_3) | instskip(NEXT) | instid1(VALU_DEP_2)
	v_and_b32_e32 v0, v0, v19
	v_xor_b32_e32 v18, s16, v18
	s_delay_alu instid0(VALU_DEP_1) | instskip(NEXT) | instid1(VALU_DEP_1)
	v_and_b32_e32 v0, v0, v18
	v_mbcnt_lo_u32_b32 v164, v0, 0
	v_cmp_ne_u32_e64 s17, 0, v0
	s_delay_alu instid0(VALU_DEP_2) | instskip(NEXT) | instid1(VALU_DEP_1)
	v_cmp_eq_u32_e64 s16, 0, v164
	s_and_b32 s17, s17, s16
	s_delay_alu instid0(SALU_CYCLE_1)
	s_and_saveexec_b32 s16, s17
	s_cbranch_execz .LBB711_188
; %bb.187:                              ;   in Loop: Header=BB711_172 Depth=1
	s_waitcnt vmcnt(0) lgkmcnt(0)
	v_bcnt_u32_b32 v0, v0, v148
	flat_store_b32 v[132:133], v0
.LBB711_188:                            ;   in Loop: Header=BB711_172 Depth=1
	s_or_b32 exec_lo, exec_lo, s16
	; wave barrier
	s_waitcnt vmcnt(0) lgkmcnt(0)
	s_waitcnt_vscnt null, 0x0
	s_barrier
	buffer_gl0_inv
	s_clause 0x1
	flat_load_b128 v[22:25], v[4:5] offset:32
	flat_load_b128 v[18:21], v[8:9] offset:16
	s_waitcnt vmcnt(1) lgkmcnt(1)
	v_add_nc_u32_e32 v0, v23, v22
	s_delay_alu instid0(VALU_DEP_1) | instskip(SKIP_1) | instid1(VALU_DEP_1)
	v_add3_u32 v0, v0, v24, v25
	s_waitcnt vmcnt(0) lgkmcnt(0)
	v_add3_u32 v0, v0, v18, v19
	s_delay_alu instid0(VALU_DEP_1) | instskip(NEXT) | instid1(VALU_DEP_1)
	v_add3_u32 v0, v0, v20, v21
	v_mov_b32_dpp v21, v0 row_shr:1 row_mask:0xf bank_mask:0xf
	s_delay_alu instid0(VALU_DEP_1) | instskip(NEXT) | instid1(VALU_DEP_1)
	v_cndmask_b32_e64 v21, v21, 0, vcc_lo
	v_add_nc_u32_e32 v0, v21, v0
	s_delay_alu instid0(VALU_DEP_1) | instskip(NEXT) | instid1(VALU_DEP_1)
	v_mov_b32_dpp v21, v0 row_shr:2 row_mask:0xf bank_mask:0xf
	v_cndmask_b32_e64 v21, 0, v21, s0
	s_delay_alu instid0(VALU_DEP_1) | instskip(NEXT) | instid1(VALU_DEP_1)
	v_add_nc_u32_e32 v0, v0, v21
	v_mov_b32_dpp v21, v0 row_shr:4 row_mask:0xf bank_mask:0xf
	s_delay_alu instid0(VALU_DEP_1) | instskip(NEXT) | instid1(VALU_DEP_1)
	v_cndmask_b32_e64 v21, 0, v21, s1
	v_add_nc_u32_e32 v0, v0, v21
	s_delay_alu instid0(VALU_DEP_1) | instskip(NEXT) | instid1(VALU_DEP_1)
	v_mov_b32_dpp v21, v0 row_shr:8 row_mask:0xf bank_mask:0xf
	v_cndmask_b32_e64 v21, 0, v21, s2
	s_delay_alu instid0(VALU_DEP_1) | instskip(SKIP_3) | instid1(VALU_DEP_1)
	v_add_nc_u32_e32 v0, v0, v21
	ds_swizzle_b32 v21, v0 offset:swizzle(BROADCAST,32,15)
	s_waitcnt lgkmcnt(0)
	v_cndmask_b32_e64 v21, v21, 0, s3
	v_add_nc_u32_e32 v0, v0, v21
	s_and_saveexec_b32 s16, s4
	s_cbranch_execz .LBB711_190
; %bb.189:                              ;   in Loop: Header=BB711_172 Depth=1
	flat_store_b32 v[30:31], v0
.LBB711_190:                            ;   in Loop: Header=BB711_172 Depth=1
	s_or_b32 exec_lo, exec_lo, s16
	s_waitcnt lgkmcnt(0)
	s_waitcnt_vscnt null, 0x0
	s_barrier
	buffer_gl0_inv
	s_and_saveexec_b32 s16, s5
	s_cbranch_execz .LBB711_192
; %bb.191:                              ;   in Loop: Header=BB711_172 Depth=1
	flat_load_b32 v21, v[32:33]
	s_waitcnt vmcnt(0) lgkmcnt(0)
	v_mov_b32_dpp v165, v21 row_shr:1 row_mask:0xf bank_mask:0xf
	s_delay_alu instid0(VALU_DEP_1) | instskip(NEXT) | instid1(VALU_DEP_1)
	v_cndmask_b32_e64 v165, v165, 0, s11
	v_add_nc_u32_e32 v21, v165, v21
	s_delay_alu instid0(VALU_DEP_1) | instskip(NEXT) | instid1(VALU_DEP_1)
	v_mov_b32_dpp v165, v21 row_shr:2 row_mask:0xf bank_mask:0xf
	v_cndmask_b32_e64 v165, 0, v165, s14
	s_delay_alu instid0(VALU_DEP_1) | instskip(NEXT) | instid1(VALU_DEP_1)
	v_add_nc_u32_e32 v21, v21, v165
	v_mov_b32_dpp v165, v21 row_shr:4 row_mask:0xf bank_mask:0xf
	s_delay_alu instid0(VALU_DEP_1) | instskip(NEXT) | instid1(VALU_DEP_1)
	v_cndmask_b32_e64 v165, 0, v165, s15
	v_add_nc_u32_e32 v21, v21, v165
	flat_store_b32 v[32:33], v21
.LBB711_192:                            ;   in Loop: Header=BB711_172 Depth=1
	s_or_b32 exec_lo, exec_lo, s16
	v_mov_b32_e32 v21, 0
	s_waitcnt lgkmcnt(0)
	s_waitcnt_vscnt null, 0x0
	s_barrier
	buffer_gl0_inv
	s_and_saveexec_b32 s16, s6
	s_cbranch_execz .LBB711_194
; %bb.193:                              ;   in Loop: Header=BB711_172 Depth=1
	flat_load_b32 v21, v[34:35]
.LBB711_194:                            ;   in Loop: Header=BB711_172 Depth=1
	s_or_b32 exec_lo, exec_lo, s16
	s_waitcnt vmcnt(0) lgkmcnt(0)
	v_add_nc_u32_e32 v0, v21, v0
	v_add_nc_u32_e32 v10, 8, v10
	s_mov_b32 s18, -1
	ds_bpermute_b32 v0, v193, v0
	s_waitcnt lgkmcnt(0)
	v_cndmask_b32_e64 v0, v0, v21, s7
	s_delay_alu instid0(VALU_DEP_1) | instskip(NEXT) | instid1(VALU_DEP_1)
	v_cndmask_b32_e64 v21, v0, 0, s10
	v_add_nc_u32_e32 v22, v21, v22
	s_delay_alu instid0(VALU_DEP_1) | instskip(NEXT) | instid1(VALU_DEP_1)
	v_add_nc_u32_e32 v23, v22, v23
	v_add_nc_u32_e32 v24, v23, v24
	s_delay_alu instid0(VALU_DEP_1) | instskip(NEXT) | instid1(VALU_DEP_1)
	v_add_nc_u32_e32 v176, v24, v25
	v_add_nc_u32_e32 v177, v176, v18
	s_delay_alu instid0(VALU_DEP_1) | instskip(SKIP_1) | instid1(VALU_DEP_2)
	v_add_nc_u32_e32 v178, v177, v19
	v_mov_b32_e32 v19, v1
	v_add_nc_u32_e32 v179, v178, v20
	s_clause 0x1
	flat_store_b128 v[4:5], v[21:24] offset:32
	flat_store_b128 v[8:9], v[176:179] offset:16
	v_mov_b32_e32 v21, v1
	s_waitcnt lgkmcnt(0)
	s_waitcnt_vscnt null, 0x0
	s_barrier
	buffer_gl0_inv
	s_clause 0x7
	flat_load_b32 v0, v[102:103]
	flat_load_b32 v18, v[112:113]
	;; [unrolled: 1-line block ×8, first 2 shown]
	v_mov_b32_e32 v25, v1
	v_mov_b32_e32 v23, v1
	;; [unrolled: 1-line block ×5, first 2 shown]
	v_cmp_lt_u32_e64 s16, v10, v11
	s_waitcnt vmcnt(0) lgkmcnt(0)
	s_waitcnt_vscnt null, 0x0
                                        ; implicit-def: $vgpr128_vgpr129
                                        ; implicit-def: $vgpr118_vgpr119
                                        ; implicit-def: $vgpr130_vgpr131
                                        ; implicit-def: $vgpr132_vgpr133
	s_waitcnt vmcnt(7) lgkmcnt(7)
	v_add_nc_u32_e32 v0, v0, v134
	s_waitcnt vmcnt(6) lgkmcnt(6)
	v_add3_u32 v18, v144, v135, v18
	s_waitcnt vmcnt(5) lgkmcnt(5)
	v_add3_u32 v20, v146, v145, v20
	;; [unrolled: 2-line block ×4, first 2 shown]
	v_lshlrev_b64 v[116:117], 3, v[0:1]
	v_lshlrev_b64 v[18:19], 3, v[18:19]
	;; [unrolled: 1-line block ×3, first 2 shown]
	s_waitcnt vmcnt(2) lgkmcnt(2)
	v_add3_u32 v102, v161, v160, v102
	v_lshlrev_b64 v[22:23], 3, v[22:23]
	s_waitcnt vmcnt(1) lgkmcnt(1)
	v_add3_u32 v112, v163, v162, v112
	v_add_co_u32 v150, s17, v12, v116
	s_delay_alu instid0(VALU_DEP_1) | instskip(SKIP_1) | instid1(VALU_DEP_1)
	v_add_co_ci_u32_e64 v151, s17, v13, v117, s17
	v_add_co_u32 v160, s17, v12, v18
	v_add_co_ci_u32_e64 v161, s17, v13, v19, s17
	v_lshlrev_b64 v[24:25], 3, v[24:25]
	v_add_co_u32 v162, s17, v12, v20
	s_delay_alu instid0(VALU_DEP_1) | instskip(SKIP_4) | instid1(VALU_DEP_1)
	v_add_co_ci_u32_e64 v163, s17, v13, v21, s17
	s_waitcnt vmcnt(0) lgkmcnt(0)
	v_add3_u32 v114, v164, v148, v114
	v_lshlrev_b64 v[102:103], 3, v[102:103]
	v_add_co_u32 v164, s17, v12, v22
	v_add_co_ci_u32_e64 v165, s17, v13, v23, s17
	v_lshlrev_b64 v[112:113], 3, v[112:113]
	v_add_co_u32 v166, s17, v12, v24
	s_delay_alu instid0(VALU_DEP_1) | instskip(SKIP_2) | instid1(VALU_DEP_1)
	v_add_co_ci_u32_e64 v167, s17, v13, v25, s17
	v_lshlrev_b64 v[114:115], 3, v[114:115]
	v_add_co_u32 v176, s17, v12, v102
	v_add_co_ci_u32_e64 v177, s17, v13, v103, s17
	v_add_co_u32 v178, s17, v12, v112
	s_delay_alu instid0(VALU_DEP_1) | instskip(SKIP_1) | instid1(VALU_DEP_1)
	v_add_co_ci_u32_e64 v179, s17, v13, v113, s17
	v_add_co_u32 v180, s17, v12, v114
	v_add_co_ci_u32_e64 v181, s17, v13, v115, s17
                                        ; implicit-def: $vgpr102_vgpr103
                                        ; implicit-def: $vgpr116_vgpr117
                                        ; implicit-def: $vgpr134_vgpr135
                                        ; implicit-def: $vgpr144_vgpr145
                                        ; implicit-def: $vgpr146_vgpr147
                                        ; implicit-def: $vgpr18_vgpr19
                                        ; implicit-def: $vgpr24_vgpr25
                                        ; implicit-def: $vgpr148_vgpr149
                                        ; implicit-def: $vgpr20_vgpr21
                                        ; implicit-def: $vgpr22_vgpr23
                                        ; implicit-def: $vgpr112_vgpr113
                                        ; implicit-def: $vgpr114_vgpr115
	s_and_saveexec_b32 s17, s16
	s_cbranch_execz .LBB711_171
; %bb.195:                              ;   in Loop: Header=BB711_172 Depth=1
	s_barrier
	buffer_gl0_inv
	s_clause 0x7
	flat_store_b64 v[150:151], v[66:67]
	flat_store_b64 v[160:161], v[82:83]
	;; [unrolled: 1-line block ×8, first 2 shown]
	s_waitcnt lgkmcnt(0)
	s_waitcnt_vscnt null, 0x0
	s_barrier
	buffer_gl0_inv
	s_clause 0x7
	flat_load_b64 v[148:149], v[36:37]
	flat_load_b64 v[20:21], v[36:37] offset:256
	flat_load_b64 v[22:23], v[36:37] offset:512
	;; [unrolled: 1-line block ×7, first 2 shown]
	s_waitcnt vmcnt(0) lgkmcnt(0)
	s_barrier
	buffer_gl0_inv
	s_clause 0x7
	flat_store_b64 v[150:151], v[48:49]
	flat_store_b64 v[160:161], v[38:39]
	;; [unrolled: 1-line block ×8, first 2 shown]
	s_waitcnt lgkmcnt(0)
	s_waitcnt_vscnt null, 0x0
	s_barrier
	buffer_gl0_inv
	s_clause 0x7
	flat_load_b64 v[102:103], v[36:37]
	flat_load_b64 v[116:117], v[36:37] offset:256
	flat_load_b64 v[128:129], v[36:37] offset:512
	flat_load_b64 v[134:135], v[36:37] offset:768
	flat_load_b64 v[144:145], v[36:37] offset:1024
	flat_load_b64 v[146:147], v[36:37] offset:1280
	flat_load_b64 v[18:19], v[36:37] offset:1536
	flat_load_b64 v[24:25], v[36:37] offset:1792
	v_add_nc_u32_e32 v194, -8, v194
	s_xor_b32 s18, exec_lo, -1
	s_waitcnt vmcnt(0) lgkmcnt(0)
	s_barrier
	buffer_gl0_inv
	s_branch .LBB711_171
.LBB711_196:
	flat_load_b64 v[14:15], v[4:5]
	s_or_b32 exec_lo, exec_lo, s19
                                        ; implicit-def: $vgpr16_vgpr17
	s_and_saveexec_b32 s19, s0
	s_cbranch_execz .LBB711_36
.LBB711_197:
	flat_load_b64 v[16:17], v[4:5] offset:256
	s_or_b32 exec_lo, exec_lo, s19
                                        ; implicit-def: $vgpr18_vgpr19
	s_and_saveexec_b32 s0, s1
	s_cbranch_execz .LBB711_37
.LBB711_198:
	flat_load_b64 v[18:19], v[4:5] offset:512
	s_or_b32 exec_lo, exec_lo, s0
                                        ; implicit-def: $vgpr20_vgpr21
	s_and_saveexec_b32 s0, s2
	s_cbranch_execz .LBB711_38
.LBB711_199:
	flat_load_b64 v[20:21], v[4:5] offset:768
	s_or_b32 exec_lo, exec_lo, s0
                                        ; implicit-def: $vgpr164_vgpr165
	s_and_saveexec_b32 s0, s3
	s_cbranch_execz .LBB711_39
.LBB711_200:
	flat_load_b64 v[164:165], v[4:5] offset:1024
	s_or_b32 exec_lo, exec_lo, s0
                                        ; implicit-def: $vgpr166_vgpr167
	s_and_saveexec_b32 s0, s4
	s_cbranch_execz .LBB711_40
.LBB711_201:
	flat_load_b64 v[166:167], v[4:5] offset:1280
	s_or_b32 exec_lo, exec_lo, s0
                                        ; implicit-def: $vgpr176_vgpr177
	s_and_saveexec_b32 s0, s5
	s_cbranch_execz .LBB711_41
.LBB711_202:
	flat_load_b64 v[176:177], v[4:5] offset:1536
	s_or_b32 exec_lo, exec_lo, s0
                                        ; implicit-def: $vgpr178_vgpr179
	s_and_saveexec_b32 s0, s6
	s_cbranch_execz .LBB711_42
.LBB711_203:
	flat_load_b64 v[178:179], v[4:5] offset:1792
	s_or_b32 exec_lo, exec_lo, s0
                                        ; implicit-def: $vgpr180_vgpr181
	s_and_saveexec_b32 s0, s7
	s_cbranch_execz .LBB711_43
.LBB711_204:
	flat_load_b64 v[180:181], v[4:5] offset:2048
	s_or_b32 exec_lo, exec_lo, s0
                                        ; implicit-def: $vgpr208_vgpr209
	s_and_saveexec_b32 s0, s10
	s_cbranch_execz .LBB711_44
.LBB711_205:
	flat_load_b64 v[208:209], v[4:5] offset:2304
	s_or_b32 exec_lo, exec_lo, s0
                                        ; implicit-def: $vgpr226_vgpr227
	s_and_saveexec_b32 s0, s11
	s_cbranch_execz .LBB711_45
.LBB711_206:
	flat_load_b64 v[226:227], v[4:5] offset:2560
	s_or_b32 exec_lo, exec_lo, s0
                                        ; implicit-def: $vgpr240_vgpr241
	s_and_saveexec_b32 s0, s14
	s_cbranch_execz .LBB711_46
.LBB711_207:
	flat_load_b64 v[240:241], v[4:5] offset:2816
	s_or_b32 exec_lo, exec_lo, s0
                                        ; implicit-def: $vgpr246_vgpr247
	s_and_saveexec_b32 s0, s15
	s_cbranch_execz .LBB711_47
.LBB711_208:
	flat_load_b64 v[246:247], v[4:5] offset:3072
	s_or_b32 exec_lo, exec_lo, s0
                                        ; implicit-def: $vgpr39_vgpr40
	s_and_saveexec_b32 s0, s16
	s_cbranch_execz .LBB711_48
.LBB711_209:
	flat_load_b64 v[39:40], v[4:5] offset:3328
	s_or_b32 exec_lo, exec_lo, s0
                                        ; implicit-def: $vgpr45_vgpr46
	s_and_saveexec_b32 s0, s17
	s_cbranch_execz .LBB711_49
.LBB711_210:
	flat_load_b64 v[45:46], v[4:5] offset:3584
	s_or_b32 exec_lo, exec_lo, s0
                                        ; implicit-def: $vgpr56_vgpr57
	s_and_saveexec_b32 s0, s18
	s_cbranch_execnz .LBB711_50
	s_branch .LBB711_51
.LBB711_211:
	flat_store_b64 v[2:3], v[38:39]
	s_or_b32 exec_lo, exec_lo, s19
	s_and_saveexec_b32 s19, s0
	s_cbranch_execz .LBB711_127
.LBB711_212:
	flat_store_b64 v[2:3], v[36:37] offset:2048
	s_or_b32 exec_lo, exec_lo, s19
	s_and_saveexec_b32 s0, s1
	s_cbranch_execz .LBB711_128
.LBB711_213:
	v_add_co_u32 v6, vcc_lo, 0x1000, v2
	v_add_co_ci_u32_e32 v7, vcc_lo, 0, v3, vcc_lo
	flat_store_b64 v[6:7], v[34:35]
	s_or_b32 exec_lo, exec_lo, s0
	s_and_saveexec_b32 s0, s2
	s_cbranch_execz .LBB711_129
.LBB711_214:
	v_add_co_u32 v6, vcc_lo, 0x1000, v2
	v_add_co_ci_u32_e32 v7, vcc_lo, 0, v3, vcc_lo
	flat_store_b64 v[6:7], v[32:33] offset:2048
	s_or_b32 exec_lo, exec_lo, s0
	s_and_saveexec_b32 s0, s3
	s_cbranch_execz .LBB711_130
.LBB711_215:
	v_add_co_u32 v6, vcc_lo, 0x2000, v2
	v_add_co_ci_u32_e32 v7, vcc_lo, 0, v3, vcc_lo
	flat_store_b64 v[6:7], v[30:31]
	s_or_b32 exec_lo, exec_lo, s0
	s_and_saveexec_b32 s0, s4
	s_cbranch_execz .LBB711_131
.LBB711_216:
	v_add_co_u32 v6, vcc_lo, 0x2000, v2
	v_add_co_ci_u32_e32 v7, vcc_lo, 0, v3, vcc_lo
	flat_store_b64 v[6:7], v[28:29] offset:2048
	s_or_b32 exec_lo, exec_lo, s0
	s_and_saveexec_b32 s0, s5
	s_cbranch_execz .LBB711_132
.LBB711_217:
	v_add_co_u32 v6, vcc_lo, 0x3000, v2
	v_add_co_ci_u32_e32 v7, vcc_lo, 0, v3, vcc_lo
	flat_store_b64 v[6:7], v[26:27]
	s_or_b32 exec_lo, exec_lo, s0
	s_and_saveexec_b32 s0, s6
	s_cbranch_execz .LBB711_133
.LBB711_218:
	v_add_co_u32 v6, vcc_lo, 0x3000, v2
	v_add_co_ci_u32_e32 v7, vcc_lo, 0, v3, vcc_lo
	flat_store_b64 v[6:7], v[20:21] offset:2048
	s_or_b32 exec_lo, exec_lo, s0
	s_and_saveexec_b32 s0, s7
	s_cbranch_execz .LBB711_134
.LBB711_219:
	v_add_co_u32 v6, vcc_lo, 0x4000, v2
	v_add_co_ci_u32_e32 v7, vcc_lo, 0, v3, vcc_lo
	flat_store_b64 v[6:7], v[18:19]
	s_or_b32 exec_lo, exec_lo, s0
	s_and_saveexec_b32 s0, s10
	s_cbranch_execz .LBB711_135
.LBB711_220:
	v_add_co_u32 v6, vcc_lo, 0x4000, v2
	v_add_co_ci_u32_e32 v7, vcc_lo, 0, v3, vcc_lo
	flat_store_b64 v[6:7], v[16:17] offset:2048
	s_or_b32 exec_lo, exec_lo, s0
	s_and_saveexec_b32 s0, s11
	s_cbranch_execz .LBB711_136
.LBB711_221:
	v_add_co_u32 v6, vcc_lo, 0x5000, v2
	v_add_co_ci_u32_e32 v7, vcc_lo, 0, v3, vcc_lo
	flat_store_b64 v[6:7], v[14:15]
	s_or_b32 exec_lo, exec_lo, s0
	s_and_saveexec_b32 s0, s14
	s_cbranch_execz .LBB711_137
.LBB711_222:
	v_add_co_u32 v6, vcc_lo, 0x5000, v2
	v_add_co_ci_u32_e32 v7, vcc_lo, 0, v3, vcc_lo
	flat_store_b64 v[6:7], v[12:13] offset:2048
	s_or_b32 exec_lo, exec_lo, s0
	s_and_saveexec_b32 s0, s15
	s_cbranch_execz .LBB711_138
.LBB711_223:
	v_add_co_u32 v6, vcc_lo, 0x6000, v2
	v_add_co_ci_u32_e32 v7, vcc_lo, 0, v3, vcc_lo
	flat_store_b64 v[6:7], v[10:11]
	s_or_b32 exec_lo, exec_lo, s0
	s_and_saveexec_b32 s0, s16
	s_cbranch_execz .LBB711_139
.LBB711_224:
	v_add_co_u32 v6, vcc_lo, 0x6000, v2
	v_add_co_ci_u32_e32 v7, vcc_lo, 0, v3, vcc_lo
	flat_store_b64 v[6:7], v[8:9] offset:2048
	s_or_b32 exec_lo, exec_lo, s0
	s_and_saveexec_b32 s0, s17
	s_cbranch_execz .LBB711_140
.LBB711_225:
	v_add_co_u32 v6, vcc_lo, 0x7000, v2
	v_add_co_ci_u32_e32 v7, vcc_lo, 0, v3, vcc_lo
	flat_store_b64 v[6:7], v[4:5]
	s_or_b32 exec_lo, exec_lo, s0
	s_and_saveexec_b32 s0, s18
	s_cbranch_execnz .LBB711_141
	s_branch .LBB711_142
.LBB711_226:
	s_or_b32 exec_lo, exec_lo, s20
	v_lshlrev_b32_e32 v0, 3, v26
	v_lshl_or_b32 v8, v26, 3, 0x2000
	s_barrier
	buffer_gl0_inv
	s_clause 0x7
	flat_store_b64 v[150:151], v[66:67]
	flat_store_b64 v[160:161], v[82:83]
	;; [unrolled: 1-line block ×8, first 2 shown]
	v_add_co_u32 v0, vcc_lo, v12, v0
	v_add_co_ci_u32_e32 v1, vcc_lo, 0, v13, vcc_lo
	s_waitcnt lgkmcnt(0)
	s_waitcnt_vscnt null, 0x0
	s_delay_alu instid0(VALU_DEP_2) | instskip(NEXT) | instid1(VALU_DEP_2)
	v_add_co_u32 v4, vcc_lo, 0x1000, v0
	v_add_co_ci_u32_e32 v5, vcc_lo, 0, v1, vcc_lo
	v_add_co_u32 v8, vcc_lo, v12, v8
	v_add_co_ci_u32_e32 v9, vcc_lo, 0, v13, vcc_lo
	;; [unrolled: 2-line block ×3, first 2 shown]
	v_add_co_u32 v84, vcc_lo, 0x3000, v0
	s_barrier
	buffer_gl0_inv
	v_add_co_ci_u32_e32 v85, vcc_lo, 0, v1, vcc_lo
	s_clause 0x7
	flat_load_b64 v[82:83], v[0:1]
	flat_load_b64 v[80:81], v[0:1] offset:2048
	flat_load_b64 v[66:67], v[4:5]
	flat_load_b64 v[35:36], v[4:5] offset:2048
	;; [unrolled: 2-line block ×4, first 2 shown]
	s_waitcnt vmcnt(0) lgkmcnt(0)
	s_barrier
	buffer_gl0_inv
	s_clause 0x7
	flat_store_b64 v[150:151], v[48:49]
	flat_store_b64 v[160:161], v[38:39]
	;; [unrolled: 1-line block ×8, first 2 shown]
	s_waitcnt lgkmcnt(0)
	s_waitcnt_vscnt null, 0x0
	s_barrier
	buffer_gl0_inv
	s_clause 0x7
	flat_load_b64 v[18:19], v[0:1]
	flat_load_b64 v[16:17], v[0:1] offset:2048
	flat_load_b64 v[14:15], v[4:5]
	flat_load_b64 v[12:13], v[4:5] offset:2048
	;; [unrolled: 2-line block ×4, first 2 shown]
	v_mov_b32_e32 v30, 0
	v_add_co_u32 v2, vcc_lo, v2, v27
	v_add_co_ci_u32_e32 v3, vcc_lo, v3, v28, vcc_lo
	s_delay_alu instid0(VALU_DEP_3)
	v_lshlrev_b64 v[24:25], 3, v[29:30]
	s_waitcnt vmcnt(0) lgkmcnt(0)
	s_barrier
	buffer_gl0_inv
	v_add_co_u32 v2, vcc_lo, v2, v24
	v_add_co_ci_u32_e32 v3, vcc_lo, v3, v25, vcc_lo
	v_cmp_lt_u32_e32 vcc_lo, v29, v47
	s_and_saveexec_b32 s0, vcc_lo
	s_cbranch_execz .LBB711_228
; %bb.227:
	v_xor_b32_e32 v38, 0x7fffffff, v83
	v_not_b32_e32 v37, v82
	flat_store_b64 v[2:3], v[37:38]
.LBB711_228:
	s_or_b32 exec_lo, exec_lo, s0
	v_add_nc_u32_e32 v26, 0x100, v29
	s_delay_alu instid0(VALU_DEP_1) | instskip(NEXT) | instid1(VALU_DEP_1)
	v_cmp_lt_u32_e64 s0, v26, v47
	s_and_saveexec_b32 s1, s0
	s_cbranch_execz .LBB711_230
; %bb.229:
	v_xor_b32_e32 v38, 0x7fffffff, v81
	v_not_b32_e32 v37, v80
	flat_store_b64 v[2:3], v[37:38] offset:2048
.LBB711_230:
	s_or_b32 exec_lo, exec_lo, s1
	v_add_nc_u32_e32 v26, 0x200, v29
	s_delay_alu instid0(VALU_DEP_1) | instskip(NEXT) | instid1(VALU_DEP_1)
	v_cmp_lt_u32_e64 s1, v26, v47
	s_and_saveexec_b32 s3, s1
	s_cbranch_execz .LBB711_232
; %bb.231:
	v_add_co_u32 v48, s2, 0x1000, v2
	v_xor_b32_e32 v38, 0x7fffffff, v67
	v_not_b32_e32 v37, v66
	v_add_co_ci_u32_e64 v49, s2, 0, v3, s2
	flat_store_b64 v[48:49], v[37:38]
.LBB711_232:
	s_or_b32 exec_lo, exec_lo, s3
	v_add_nc_u32_e32 v26, 0x300, v29
	s_delay_alu instid0(VALU_DEP_1) | instskip(NEXT) | instid1(VALU_DEP_1)
	v_cmp_lt_u32_e64 s2, v26, v47
	s_and_saveexec_b32 s4, s2
	s_cbranch_execz .LBB711_234
; %bb.233:
	v_add_co_u32 v37, s3, 0x1000, v2
	v_xor_b32_e32 v36, 0x7fffffff, v36
	v_not_b32_e32 v35, v35
	v_add_co_ci_u32_e64 v38, s3, 0, v3, s3
	flat_store_b64 v[37:38], v[35:36] offset:2048
.LBB711_234:
	s_or_b32 exec_lo, exec_lo, s4
	v_add_nc_u32_e32 v26, 0x400, v29
	s_delay_alu instid0(VALU_DEP_1) | instskip(NEXT) | instid1(VALU_DEP_1)
	v_cmp_lt_u32_e64 s3, v26, v47
	s_and_saveexec_b32 s5, s3
	s_cbranch_execz .LBB711_236
; %bb.235:
	v_add_co_u32 v35, s4, 0x2000, v2
	v_xor_b32_e32 v34, 0x7fffffff, v34
	v_not_b32_e32 v33, v33
	v_add_co_ci_u32_e64 v36, s4, 0, v3, s4
	flat_store_b64 v[35:36], v[33:34]
.LBB711_236:
	s_or_b32 exec_lo, exec_lo, s5
	v_add_nc_u32_e32 v26, 0x500, v29
	s_delay_alu instid0(VALU_DEP_1) | instskip(NEXT) | instid1(VALU_DEP_1)
	v_cmp_lt_u32_e64 s4, v26, v47
	s_and_saveexec_b32 s6, s4
	s_cbranch_execz .LBB711_238
; %bb.237:
	v_add_co_u32 v33, s5, 0x2000, v2
	v_xor_b32_e32 v32, 0x7fffffff, v32
	v_not_b32_e32 v31, v31
	v_add_co_ci_u32_e64 v34, s5, 0, v3, s5
	flat_store_b64 v[33:34], v[31:32] offset:2048
.LBB711_238:
	;; [unrolled: 26-line block ×3, first 2 shown]
	s_or_b32 exec_lo, exec_lo, s10
	v_add_co_u32 v2, s7, v6, v27
	s_delay_alu instid0(VALU_DEP_1) | instskip(NEXT) | instid1(VALU_DEP_2)
	v_add_co_ci_u32_e64 v3, s7, v7, v28, s7
	v_add_co_u32 v2, s7, v2, v24
	s_delay_alu instid0(VALU_DEP_1)
	v_add_co_ci_u32_e64 v3, s7, v3, v25, s7
	s_and_saveexec_b32 s7, vcc_lo
	s_cbranch_execnz .LBB711_292
; %bb.243:
	s_or_b32 exec_lo, exec_lo, s7
	s_and_saveexec_b32 s7, s0
	s_cbranch_execnz .LBB711_293
.LBB711_244:
	s_or_b32 exec_lo, exec_lo, s7
	s_and_saveexec_b32 s0, s1
	s_cbranch_execnz .LBB711_294
.LBB711_245:
	s_or_b32 exec_lo, exec_lo, s0
	s_and_saveexec_b32 s0, s2
	s_cbranch_execnz .LBB711_295
.LBB711_246:
	s_or_b32 exec_lo, exec_lo, s0
	s_and_saveexec_b32 s0, s3
	s_cbranch_execnz .LBB711_296
.LBB711_247:
	s_or_b32 exec_lo, exec_lo, s0
	s_and_saveexec_b32 s0, s4
	s_cbranch_execnz .LBB711_297
.LBB711_248:
	s_or_b32 exec_lo, exec_lo, s0
	s_and_saveexec_b32 s0, s5
	s_cbranch_execnz .LBB711_298
.LBB711_249:
	s_or_b32 exec_lo, exec_lo, s0
	s_and_saveexec_b32 s0, s6
	s_cbranch_execz .LBB711_251
.LBB711_250:
	v_add_co_u32 v2, vcc_lo, 0x3000, v2
	v_add_co_ci_u32_e32 v3, vcc_lo, 0, v3, vcc_lo
	flat_store_b64 v[2:3], v[0:1] offset:2048
.LBB711_251:
	s_or_b32 exec_lo, exec_lo, s0
                                        ; implicit-def: $vgpr47
                                        ; implicit-def: $vgpr0
                                        ; implicit-def: $vgpr1
                                        ; implicit-def: $vgpr2
                                        ; implicit-def: $vgpr3
                                        ; implicit-def: $vgpr4
                                        ; implicit-def: $vgpr5
                                        ; implicit-def: $vgpr6
                                        ; implicit-def: $vgpr7
                                        ; implicit-def: $vgpr8
                                        ; implicit-def: $vgpr10
                                        ; implicit-def: $vgpr11
                                        ; implicit-def: $vgpr12
                                        ; implicit-def: $vgpr13
                                        ; implicit-def: $vgpr14
                                        ; implicit-def: $vgpr15
                                        ; implicit-def: $vgpr26
                                        ; implicit-def: $vgpr96
.LBB711_252:
	s_and_not1_saveexec_b32 s0, s19
	s_cbranch_execz .LBB711_372
; %bb.253:
	s_mov_b32 s0, exec_lo
	v_cmpx_lt_u32_e32 0x200, v47
	s_xor_b32 s19, exec_lo, s0
	s_cbranch_execz .LBB711_313
; %bb.254:
	s_load_b64 s[0:1], s[8:9], 0x0
	v_dual_mov_b32 v9, 0 :: v_dual_lshlrev_b32 v24, 3, v96
	s_mov_b32 s36, 0
	s_brev_b32 s37, 1
	s_mov_b32 s38, s36
	s_mov_b32 s39, s37
	;; [unrolled: 1-line block ×3, first 2 shown]
	v_lshlrev_b64 v[29:30], 3, v[8:9]
	s_mov_b32 s41, s37
	s_mov_b32 s42, s36
	;; [unrolled: 1-line block ×3, first 2 shown]
	s_waitcnt lgkmcnt(0)
	s_cmp_lt_u32 s13, s1
	s_cselect_b32 s1, 14, 20
	s_delay_alu instid0(SALU_CYCLE_1) | instskip(SKIP_4) | instid1(SALU_CYCLE_1)
	s_add_u32 s2, s8, s1
	s_addc_u32 s3, s9, 0
	s_cmp_lt_u32 s12, s0
	global_load_u16 v16, v9, s[2:3]
	s_cselect_b32 s0, 12, 18
	s_add_u32 s0, s8, s0
	s_addc_u32 s1, s9, 0
	global_load_u16 v17, v9, s[0:1]
	s_waitcnt vmcnt(1)
	v_mad_u32_u24 v14, v15, v16, v14
	s_waitcnt vmcnt(0)
	s_delay_alu instid0(VALU_DEP_1) | instskip(NEXT) | instid1(VALU_DEP_1)
	v_mad_u64_u32 v[27:28], null, v14, v17, v[26:27]
	v_lshlrev_b32_e32 v14, 2, v27
	s_delay_alu instid0(VALU_DEP_1) | instskip(SKIP_2) | instid1(VALU_DEP_3)
	v_and_b32_e32 v8, 0xffffff80, v14
	v_add_co_u32 v14, vcc_lo, v0, v29
	v_add_co_ci_u32_e32 v15, vcc_lo, v1, v30, vcc_lo
	v_lshlrev_b64 v[0:1], 3, v[8:9]
	v_or_b32_e32 v25, v8, v96
	s_delay_alu instid0(VALU_DEP_4) | instskip(NEXT) | instid1(VALU_DEP_4)
	v_add_co_u32 v8, vcc_lo, v14, v24
	v_add_co_ci_u32_e32 v14, vcc_lo, 0, v15, vcc_lo
	s_delay_alu instid0(VALU_DEP_3) | instskip(NEXT) | instid1(VALU_DEP_3)
	v_cmp_lt_u32_e32 vcc_lo, v25, v47
	v_add_co_u32 v22, s0, v8, v0
	s_delay_alu instid0(VALU_DEP_1)
	v_add_co_ci_u32_e64 v23, s0, v14, v1, s0
	v_dual_mov_b32 v14, s36 :: v_dual_mov_b32 v19, s41
	v_dual_mov_b32 v15, s37 :: v_dual_mov_b32 v16, s38
	v_mov_b32_e32 v21, s43
	v_dual_mov_b32 v17, s39 :: v_dual_mov_b32 v18, s40
	v_mov_b32_e32 v20, s42
	s_and_saveexec_b32 s0, vcc_lo
	s_cbranch_execz .LBB711_256
; %bb.255:
	v_dual_mov_b32 v28, v7 :: v_dual_mov_b32 v31, v10
	flat_load_b64 v[7:8], v[22:23]
	v_bfrev_b32_e32 v10, 1
	v_dual_mov_b32 v32, v11 :: v_dual_mov_b32 v11, v9
	s_delay_alu instid0(VALU_DEP_2) | instskip(SKIP_4) | instid1(VALU_DEP_3)
	v_dual_mov_b32 v33, v12 :: v_dual_mov_b32 v12, v10
	v_mov_b32_e32 v14, v10
	v_mov_b32_e32 v34, v13
	;; [unrolled: 1-line block ×3, first 2 shown]
	s_waitcnt vmcnt(0) lgkmcnt(0)
	v_mov_b32_e32 v21, v14
	s_delay_alu instid0(VALU_DEP_2)
	v_dual_mov_b32 v19, v12 :: v_dual_mov_b32 v20, v13
	v_dual_mov_b32 v18, v11 :: v_dual_mov_b32 v17, v10
	;; [unrolled: 1-line block ×6, first 2 shown]
.LBB711_256:
	s_or_b32 exec_lo, exec_lo, s0
	v_or_b32_e32 v8, 32, v25
	s_delay_alu instid0(VALU_DEP_1) | instskip(NEXT) | instid1(VALU_DEP_1)
	v_cmp_lt_u32_e64 s0, v8, v47
	s_and_saveexec_b32 s1, s0
	s_cbranch_execz .LBB711_258
; %bb.257:
	flat_load_b64 v[16:17], v[22:23] offset:256
.LBB711_258:
	s_or_b32 exec_lo, exec_lo, s1
	v_or_b32_e32 v8, 64, v25
	s_delay_alu instid0(VALU_DEP_1) | instskip(NEXT) | instid1(VALU_DEP_1)
	v_cmp_lt_u32_e64 s1, v8, v47
	s_and_saveexec_b32 s2, s1
	s_cbranch_execz .LBB711_260
; %bb.259:
	flat_load_b64 v[18:19], v[22:23] offset:512
.LBB711_260:
	;; [unrolled: 9-line block ×3, first 2 shown]
	s_or_b32 exec_lo, exec_lo, s3
	v_add_co_u32 v4, s3, v4, v29
	s_delay_alu instid0(VALU_DEP_1) | instskip(NEXT) | instid1(VALU_DEP_2)
	v_add_co_ci_u32_e64 v5, s3, v5, v30, s3
                                        ; implicit-def: $vgpr22_vgpr23
	v_add_co_u32 v4, s3, v4, v24
	s_delay_alu instid0(VALU_DEP_1) | instskip(NEXT) | instid1(VALU_DEP_2)
	v_add_co_ci_u32_e64 v5, s3, 0, v5, s3
	v_add_co_u32 v0, s3, v4, v0
	s_delay_alu instid0(VALU_DEP_1)
	v_add_co_ci_u32_e64 v1, s3, v5, v1, s3
	s_and_saveexec_b32 s3, vcc_lo
	s_cbranch_execnz .LBB711_337
; %bb.263:
	s_or_b32 exec_lo, exec_lo, s3
                                        ; implicit-def: $vgpr24_vgpr25
	s_and_saveexec_b32 s3, s0
	s_cbranch_execnz .LBB711_338
.LBB711_264:
	s_or_b32 exec_lo, exec_lo, s3
                                        ; implicit-def: $vgpr80_vgpr81
	s_and_saveexec_b32 s0, s1
	s_cbranch_execnz .LBB711_339
.LBB711_265:
	s_or_b32 exec_lo, exec_lo, s0
                                        ; implicit-def: $vgpr82_vgpr83
	s_and_saveexec_b32 s0, s2
	s_cbranch_execz .LBB711_267
.LBB711_266:
	flat_load_b64 v[82:83], v[0:1] offset:768
.LBB711_267:
	s_or_b32 exec_lo, exec_lo, s0
	v_dual_mov_b32 v1, 0 :: v_dual_lshlrev_b32 v0, 5, v26
	s_mov_b32 s20, 0
	v_add_co_u32 v28, vcc_lo, v12, 32
	v_xor_b32_e32 v87, 0x7fffffff, v15
	s_mov_b32 s21, s20
	s_mov_b32 s22, s20
	;; [unrolled: 1-line block ×3, first 2 shown]
	v_and_b32_e32 v15, 0x3e0, v26
	v_add_co_ci_u32_e32 v39, vcc_lo, 0, v13, vcc_lo
	v_add_co_u32 v4, vcc_lo, v12, v0
	s_waitcnt vmcnt(0) lgkmcnt(0)
	v_xor_b32_e32 v84, -1, v16
	v_add_co_ci_u32_e32 v5, vcc_lo, 0, v13, vcc_lo
	v_add_nc_u32_e32 v16, -1, v96
	v_add_co_u32 v8, vcc_lo, v28, v0
	v_min_u32_e32 v0, 0xe0, v15
	v_and_b32_e32 v15, 16, v96
	v_xor_b32_e32 v86, -1, v14
	v_and_b32_e32 v14, 15, v96
	v_cmp_gt_i32_e64 s4, 0, v16
	v_or_b32_e32 v0, 31, v0
	v_cmp_eq_u32_e64 s3, 0, v15
	v_lshrrev_b32_e32 v15, 5, v26
	s_getpc_b64 s[0:1]
	s_add_u32 s0, s0, _ZN7rocprim17ROCPRIM_400000_NS16block_radix_sortIlLj256ELj4ElLj1ELj1ELj8ELNS0_26block_radix_rank_algorithmE2ELNS0_18block_padding_hintE2ELNS0_4arch9wavefront6targetE0EE19radix_bits_per_passE@rel32@lo+4
	s_addc_u32 s1, s1, _ZN7rocprim17ROCPRIM_400000_NS16block_radix_sortIlLj256ELj4ElLj1ELj1ELj8ELNS0_26block_radix_rank_algorithmE2ELNS0_18block_padding_hintE2ELNS0_4arch9wavefront6targetE0EE19radix_bits_per_passE@rel32@hi+12
	v_add_co_ci_u32_e32 v9, vcc_lo, 0, v39, vcc_lo
	s_load_b32 s25, s[0:1], 0x0
	v_cmp_eq_u32_e32 vcc_lo, 0, v14
	v_cmp_lt_u32_e64 s0, 1, v14
	v_cmp_lt_u32_e64 s1, 3, v14
	;; [unrolled: 1-line block ×3, first 2 shown]
	v_cndmask_b32_e64 v14, v16, v96, s4
	v_cmp_eq_u32_e64 s4, v0, v26
	v_lshlrev_b32_e32 v0, 2, v15
	v_xor_b32_e32 v85, 0x7fffffff, v17
	v_and_b32_e32 v16, 7, v96
	v_lshlrev_b32_e32 v113, 2, v14
	v_lshlrev_b32_e32 v14, 2, v26
	v_add_co_u32 v31, s11, v12, v0
	v_add_nc_u32_e32 v0, -1, v15
	v_add_co_ci_u32_e64 v32, s11, 0, v13, s11
	s_delay_alu instid0(VALU_DEP_4) | instskip(SKIP_1) | instid1(VALU_DEP_4)
	v_and_or_b32 v17, 0xf80, v14, v96
	v_add_co_u32 v33, s11, v12, v14
	v_lshlrev_b64 v[14:15], 2, v[0:1]
	v_add_co_ci_u32_e64 v34, s11, 0, v13, s11
	s_delay_alu instid0(VALU_DEP_4) | instskip(SKIP_3) | instid1(VALU_DEP_1)
	v_lshlrev_b32_e32 v0, 3, v17
	v_cmp_eq_u32_e64 s11, 0, v16
	v_cmp_lt_u32_e64 s14, 1, v16
	v_add_co_u32 v35, s16, v12, v14
	v_add_co_ci_u32_e64 v36, s16, v13, v15, s16
	v_add_co_u32 v37, s16, v12, v0
	v_cmp_lt_u32_e64 s15, 3, v16
	v_mov_b32_e32 v14, s20
	v_xor_b32_e32 v19, 0x7fffffff, v19
	v_xor_b32_e32 v18, -1, v18
	v_xor_b32_e32 v21, 0x7fffffff, v21
	v_xor_b32_e32 v20, -1, v20
	v_lshrrev_b32_e32 v112, 5, v27
	v_cmp_gt_u32_e64 s5, 8, v26
	v_cmp_lt_u32_e64 s6, 31, v26
	v_cmp_eq_u32_e64 s7, 0, v96
	v_cmp_eq_u32_e64 s10, 0, v26
	v_add_co_ci_u32_e64 v38, s16, 0, v13, s16
	v_sub_nc_u32_e32 v114, v11, v10
	v_dual_mov_b32 v15, s21 :: v_dual_mov_b32 v16, s22
	v_mov_b32_e32 v17, s23
	s_waitcnt lgkmcnt(0)
	s_waitcnt_vscnt null, 0x0
	s_barrier
	buffer_gl0_inv
	s_branch .LBB711_269
.LBB711_268:                            ;   in Loop: Header=BB711_269 Depth=1
	s_or_b32 exec_lo, exec_lo, s17
	s_delay_alu instid0(SALU_CYCLE_1) | instskip(NEXT) | instid1(SALU_CYCLE_1)
	s_and_b32 s16, exec_lo, s18
	s_or_b32 s20, s16, s20
	s_delay_alu instid0(SALU_CYCLE_1)
	s_and_not1_b32 exec_lo, exec_lo, s20
	s_cbranch_execz .LBB711_299
.LBB711_269:                            ; =>This Inner Loop Header: Depth=1
	v_min_u32_e32 v0, s25, v114
	v_dual_mov_b32 v48, v86 :: v_dual_mov_b32 v49, v87
	s_clause 0x1
	flat_store_b128 v[4:5], v[14:17] offset:32
	flat_store_b128 v[8:9], v[14:17] offset:16
	s_waitcnt lgkmcnt(0)
	s_waitcnt_vscnt null, 0x0
	v_lshlrev_b32_e64 v0, v0, -1
	s_barrier
	v_lshrrev_b64 v[50:51], v10, v[48:49]
	buffer_gl0_inv
	v_not_b32_e32 v86, v0
	; wave barrier
	v_dual_mov_b32 v69, v19 :: v_dual_mov_b32 v70, v84
	v_mov_b32_e32 v68, v18
	s_delay_alu instid0(VALU_DEP_3) | instskip(NEXT) | instid1(VALU_DEP_1)
	v_dual_mov_b32 v71, v85 :: v_dual_and_b32 v0, v50, v86
	v_and_b32_e32 v50, 1, v0
	v_lshlrev_b32_e32 v51, 30, v0
	s_delay_alu instid0(VALU_DEP_2) | instskip(NEXT) | instid1(VALU_DEP_1)
	v_add_co_u32 v50, s16, v50, -1
	v_cndmask_b32_e64 v54, 0, 1, s16
	s_delay_alu instid0(VALU_DEP_3) | instskip(SKIP_1) | instid1(VALU_DEP_3)
	v_not_b32_e32 v66, v51
	v_cmp_gt_i32_e64 s17, 0, v51
	v_cmp_ne_u32_e64 s16, 0, v54
	s_delay_alu instid0(VALU_DEP_3) | instskip(NEXT) | instid1(VALU_DEP_2)
	v_ashrrev_i32_e32 v66, 31, v66
	v_xor_b32_e32 v50, s16, v50
	s_delay_alu instid0(VALU_DEP_2) | instskip(NEXT) | instid1(VALU_DEP_2)
	v_xor_b32_e32 v66, s17, v66
	v_and_b32_e32 v50, exec_lo, v50
	s_delay_alu instid0(VALU_DEP_1)
	v_dual_mov_b32 v67, v21 :: v_dual_and_b32 v50, v50, v66
	v_lshlrev_b32_e32 v52, 29, v0
	v_lshlrev_b32_e32 v55, 27, v0
	;; [unrolled: 1-line block ×5, first 2 shown]
	v_not_b32_e32 v51, v52
	v_cmp_gt_i32_e64 s16, 0, v52
	v_not_b32_e32 v52, v53
	v_cmp_gt_i32_e64 s17, 0, v53
	v_not_b32_e32 v53, v55
	v_ashrrev_i32_e32 v51, 31, v51
	v_lshlrev_b32_e32 v65, 25, v0
	v_ashrrev_i32_e32 v52, 31, v52
	v_lshl_add_u32 v0, v0, 3, v112
	v_ashrrev_i32_e32 v53, 31, v53
	v_xor_b32_e32 v51, s16, v51
	v_cmp_gt_i32_e64 s16, 0, v55
	v_not_b32_e32 v55, v64
	v_xor_b32_e32 v52, s17, v52
	v_cmp_gt_i32_e64 s17, 0, v64
	v_and_b32_e32 v50, v50, v51
	v_xor_b32_e32 v53, s16, v53
	v_ashrrev_i32_e32 v55, 31, v55
	v_mov_b32_e32 v66, v20
	s_delay_alu instid0(VALU_DEP_4) | instskip(SKIP_1) | instid1(VALU_DEP_4)
	v_and_b32_e32 v50, v50, v52
	v_not_b32_e32 v52, v54
	v_xor_b32_e32 v55, s17, v55
	v_cmp_gt_i32_e64 s17, 0, v54
	s_delay_alu instid0(VALU_DEP_4) | instskip(NEXT) | instid1(VALU_DEP_4)
	v_and_b32_e32 v50, v50, v53
	v_ashrrev_i32_e32 v52, 31, v52
	s_delay_alu instid0(VALU_DEP_2)
	v_dual_mov_b32 v55, v23 :: v_dual_and_b32 v50, v50, v55
	v_mov_b32_e32 v54, v22
	v_not_b32_e32 v51, v65
	v_cmp_gt_i32_e64 s16, 0, v65
	v_xor_b32_e32 v18, s17, v52
	v_dual_mov_b32 v53, v25 :: v_dual_mov_b32 v64, v82
	s_delay_alu instid0(VALU_DEP_4) | instskip(SKIP_1) | instid1(VALU_DEP_2)
	v_ashrrev_i32_e32 v51, 31, v51
	v_dual_mov_b32 v65, v83 :: v_dual_mov_b32 v52, v24
	v_xor_b32_e32 v51, s16, v51
	s_delay_alu instid0(VALU_DEP_1) | instskip(NEXT) | instid1(VALU_DEP_1)
	v_dual_mov_b32 v50, v80 :: v_dual_and_b32 v19, v50, v51
	v_dual_mov_b32 v51, v81 :: v_dual_and_b32 v18, v19, v18
	v_lshlrev_b64 v[19:20], 2, v[0:1]
	s_delay_alu instid0(VALU_DEP_2) | instskip(SKIP_1) | instid1(VALU_DEP_3)
	v_mbcnt_lo_u32_b32 v96, v18, 0
	v_cmp_ne_u32_e64 s16, 0, v18
	v_add_co_u32 v80, s18, v28, v19
	s_delay_alu instid0(VALU_DEP_1) | instskip(NEXT) | instid1(VALU_DEP_4)
	v_add_co_ci_u32_e64 v81, s18, v39, v20, s18
	v_cmp_eq_u32_e64 s17, 0, v96
	s_delay_alu instid0(VALU_DEP_1) | instskip(NEXT) | instid1(SALU_CYCLE_1)
	s_and_b32 s17, s16, s17
	s_and_saveexec_b32 s16, s17
	s_cbranch_execz .LBB711_271
; %bb.270:                              ;   in Loop: Header=BB711_269 Depth=1
	v_bcnt_u32_b32 v0, v18, 0
	flat_store_b32 v[80:81], v0
.LBB711_271:                            ;   in Loop: Header=BB711_269 Depth=1
	s_or_b32 exec_lo, exec_lo, s16
	v_lshrrev_b64 v[18:19], v10, v[70:71]
	; wave barrier
	s_delay_alu instid0(VALU_DEP_1) | instskip(NEXT) | instid1(VALU_DEP_1)
	v_and_b32_e32 v20, v18, v86
	v_lshl_add_u32 v0, v20, 3, v112
	v_lshlrev_b32_e32 v21, 29, v20
	v_lshlrev_b32_e32 v22, 28, v20
	s_delay_alu instid0(VALU_DEP_3) | instskip(SKIP_1) | instid1(VALU_DEP_2)
	v_lshlrev_b64 v[18:19], 2, v[0:1]
	v_and_b32_e32 v0, 1, v20
	v_add_co_u32 v82, s16, v28, v18
	s_delay_alu instid0(VALU_DEP_1) | instskip(NEXT) | instid1(VALU_DEP_3)
	v_add_co_ci_u32_e64 v83, s16, v39, v19, s16
	v_add_co_u32 v0, s16, v0, -1
	s_delay_alu instid0(VALU_DEP_1) | instskip(SKIP_3) | instid1(VALU_DEP_2)
	v_cndmask_b32_e64 v18, 0, 1, s16
	flat_load_b32 v97, v[82:83]
	v_lshlrev_b32_e32 v19, 30, v20
	; wave barrier
	v_cmp_ne_u32_e64 s16, 0, v18
	v_not_b32_e32 v18, v19
	s_delay_alu instid0(VALU_DEP_2) | instskip(SKIP_1) | instid1(VALU_DEP_3)
	v_xor_b32_e32 v0, s16, v0
	v_cmp_gt_i32_e64 s16, 0, v19
	v_ashrrev_i32_e32 v18, 31, v18
	v_not_b32_e32 v19, v21
	s_delay_alu instid0(VALU_DEP_4) | instskip(NEXT) | instid1(VALU_DEP_3)
	v_and_b32_e32 v0, exec_lo, v0
	v_xor_b32_e32 v18, s16, v18
	v_cmp_gt_i32_e64 s16, 0, v21
	s_delay_alu instid0(VALU_DEP_4) | instskip(SKIP_1) | instid1(VALU_DEP_4)
	v_ashrrev_i32_e32 v19, 31, v19
	v_not_b32_e32 v21, v22
	v_and_b32_e32 v0, v0, v18
	v_lshlrev_b32_e32 v18, 27, v20
	s_delay_alu instid0(VALU_DEP_4) | instskip(SKIP_2) | instid1(VALU_DEP_4)
	v_xor_b32_e32 v19, s16, v19
	v_cmp_gt_i32_e64 s16, 0, v22
	v_ashrrev_i32_e32 v21, 31, v21
	v_not_b32_e32 v22, v18
	s_delay_alu instid0(VALU_DEP_4) | instskip(SKIP_1) | instid1(VALU_DEP_4)
	v_and_b32_e32 v0, v0, v19
	v_lshlrev_b32_e32 v19, 26, v20
	v_xor_b32_e32 v21, s16, v21
	v_cmp_gt_i32_e64 s16, 0, v18
	v_ashrrev_i32_e32 v18, 31, v22
	s_delay_alu instid0(VALU_DEP_4) | instskip(NEXT) | instid1(VALU_DEP_4)
	v_not_b32_e32 v22, v19
	v_and_b32_e32 v0, v0, v21
	v_lshlrev_b32_e32 v21, 25, v20
	s_delay_alu instid0(VALU_DEP_4) | instskip(SKIP_2) | instid1(VALU_DEP_4)
	v_xor_b32_e32 v18, s16, v18
	v_cmp_gt_i32_e64 s16, 0, v19
	v_ashrrev_i32_e32 v19, 31, v22
	v_not_b32_e32 v22, v21
	s_delay_alu instid0(VALU_DEP_4) | instskip(SKIP_1) | instid1(VALU_DEP_4)
	v_and_b32_e32 v0, v0, v18
	v_lshlrev_b32_e32 v18, 24, v20
	v_xor_b32_e32 v19, s16, v19
	v_cmp_gt_i32_e64 s16, 0, v21
	v_ashrrev_i32_e32 v20, 31, v22
	s_delay_alu instid0(VALU_DEP_4) | instskip(NEXT) | instid1(VALU_DEP_4)
	v_not_b32_e32 v21, v18
	v_and_b32_e32 v0, v0, v19
	s_delay_alu instid0(VALU_DEP_3) | instskip(SKIP_1) | instid1(VALU_DEP_4)
	v_xor_b32_e32 v19, s16, v20
	v_cmp_gt_i32_e64 s16, 0, v18
	v_ashrrev_i32_e32 v18, 31, v21
	s_delay_alu instid0(VALU_DEP_3) | instskip(NEXT) | instid1(VALU_DEP_2)
	v_and_b32_e32 v0, v0, v19
	v_xor_b32_e32 v18, s16, v18
	s_delay_alu instid0(VALU_DEP_1) | instskip(NEXT) | instid1(VALU_DEP_1)
	v_and_b32_e32 v0, v0, v18
	v_mbcnt_lo_u32_b32 v98, v0, 0
	v_cmp_ne_u32_e64 s17, 0, v0
	s_delay_alu instid0(VALU_DEP_2) | instskip(NEXT) | instid1(VALU_DEP_1)
	v_cmp_eq_u32_e64 s16, 0, v98
	s_and_b32 s17, s17, s16
	s_delay_alu instid0(SALU_CYCLE_1)
	s_and_saveexec_b32 s16, s17
	s_cbranch_execz .LBB711_273
; %bb.272:                              ;   in Loop: Header=BB711_269 Depth=1
	s_waitcnt vmcnt(0) lgkmcnt(0)
	v_bcnt_u32_b32 v0, v0, v97
	flat_store_b32 v[82:83], v0
.LBB711_273:                            ;   in Loop: Header=BB711_269 Depth=1
	s_or_b32 exec_lo, exec_lo, s16
	v_lshrrev_b64 v[18:19], v10, v[68:69]
	; wave barrier
	s_delay_alu instid0(VALU_DEP_1) | instskip(NEXT) | instid1(VALU_DEP_1)
	v_and_b32_e32 v20, v18, v86
	v_lshl_add_u32 v0, v20, 3, v112
	v_lshlrev_b32_e32 v21, 29, v20
	v_lshlrev_b32_e32 v22, 28, v20
	s_delay_alu instid0(VALU_DEP_3) | instskip(SKIP_1) | instid1(VALU_DEP_2)
	v_lshlrev_b64 v[18:19], 2, v[0:1]
	v_and_b32_e32 v0, 1, v20
	v_add_co_u32 v84, s16, v28, v18
	s_delay_alu instid0(VALU_DEP_1) | instskip(NEXT) | instid1(VALU_DEP_3)
	v_add_co_ci_u32_e64 v85, s16, v39, v19, s16
	v_add_co_u32 v0, s16, v0, -1
	s_delay_alu instid0(VALU_DEP_1) | instskip(SKIP_3) | instid1(VALU_DEP_2)
	v_cndmask_b32_e64 v18, 0, 1, s16
	flat_load_b32 v99, v[84:85]
	v_lshlrev_b32_e32 v19, 30, v20
	; wave barrier
	v_cmp_ne_u32_e64 s16, 0, v18
	v_not_b32_e32 v18, v19
	s_delay_alu instid0(VALU_DEP_2) | instskip(SKIP_1) | instid1(VALU_DEP_3)
	v_xor_b32_e32 v0, s16, v0
	v_cmp_gt_i32_e64 s16, 0, v19
	v_ashrrev_i32_e32 v18, 31, v18
	v_not_b32_e32 v19, v21
	s_delay_alu instid0(VALU_DEP_4) | instskip(NEXT) | instid1(VALU_DEP_3)
	v_and_b32_e32 v0, exec_lo, v0
	v_xor_b32_e32 v18, s16, v18
	v_cmp_gt_i32_e64 s16, 0, v21
	s_delay_alu instid0(VALU_DEP_4) | instskip(SKIP_1) | instid1(VALU_DEP_4)
	v_ashrrev_i32_e32 v19, 31, v19
	v_not_b32_e32 v21, v22
	v_and_b32_e32 v0, v0, v18
	v_lshlrev_b32_e32 v18, 27, v20
	s_delay_alu instid0(VALU_DEP_4) | instskip(SKIP_2) | instid1(VALU_DEP_4)
	v_xor_b32_e32 v19, s16, v19
	v_cmp_gt_i32_e64 s16, 0, v22
	v_ashrrev_i32_e32 v21, 31, v21
	v_not_b32_e32 v22, v18
	s_delay_alu instid0(VALU_DEP_4) | instskip(SKIP_1) | instid1(VALU_DEP_4)
	v_and_b32_e32 v0, v0, v19
	v_lshlrev_b32_e32 v19, 26, v20
	v_xor_b32_e32 v21, s16, v21
	v_cmp_gt_i32_e64 s16, 0, v18
	v_ashrrev_i32_e32 v18, 31, v22
	s_delay_alu instid0(VALU_DEP_4) | instskip(NEXT) | instid1(VALU_DEP_4)
	v_not_b32_e32 v22, v19
	v_and_b32_e32 v0, v0, v21
	v_lshlrev_b32_e32 v21, 25, v20
	s_delay_alu instid0(VALU_DEP_4) | instskip(SKIP_2) | instid1(VALU_DEP_4)
	v_xor_b32_e32 v18, s16, v18
	v_cmp_gt_i32_e64 s16, 0, v19
	v_ashrrev_i32_e32 v19, 31, v22
	v_not_b32_e32 v22, v21
	s_delay_alu instid0(VALU_DEP_4) | instskip(SKIP_1) | instid1(VALU_DEP_4)
	v_and_b32_e32 v0, v0, v18
	v_lshlrev_b32_e32 v18, 24, v20
	v_xor_b32_e32 v19, s16, v19
	v_cmp_gt_i32_e64 s16, 0, v21
	v_ashrrev_i32_e32 v20, 31, v22
	s_delay_alu instid0(VALU_DEP_4) | instskip(NEXT) | instid1(VALU_DEP_4)
	v_not_b32_e32 v21, v18
	v_and_b32_e32 v0, v0, v19
	s_delay_alu instid0(VALU_DEP_3) | instskip(SKIP_1) | instid1(VALU_DEP_4)
	v_xor_b32_e32 v19, s16, v20
	v_cmp_gt_i32_e64 s16, 0, v18
	v_ashrrev_i32_e32 v18, 31, v21
	s_delay_alu instid0(VALU_DEP_3) | instskip(NEXT) | instid1(VALU_DEP_2)
	v_and_b32_e32 v0, v0, v19
	v_xor_b32_e32 v18, s16, v18
	s_delay_alu instid0(VALU_DEP_1) | instskip(NEXT) | instid1(VALU_DEP_1)
	v_and_b32_e32 v0, v0, v18
	v_mbcnt_lo_u32_b32 v100, v0, 0
	v_cmp_ne_u32_e64 s17, 0, v0
	s_delay_alu instid0(VALU_DEP_2) | instskip(NEXT) | instid1(VALU_DEP_1)
	v_cmp_eq_u32_e64 s16, 0, v100
	s_and_b32 s17, s17, s16
	s_delay_alu instid0(SALU_CYCLE_1)
	s_and_saveexec_b32 s16, s17
	s_cbranch_execz .LBB711_275
; %bb.274:                              ;   in Loop: Header=BB711_269 Depth=1
	s_waitcnt vmcnt(0) lgkmcnt(0)
	v_bcnt_u32_b32 v0, v0, v99
	flat_store_b32 v[84:85], v0
.LBB711_275:                            ;   in Loop: Header=BB711_269 Depth=1
	s_or_b32 exec_lo, exec_lo, s16
	v_lshrrev_b64 v[18:19], v10, v[66:67]
	; wave barrier
	s_delay_alu instid0(VALU_DEP_1) | instskip(NEXT) | instid1(VALU_DEP_1)
	v_and_b32_e32 v20, v18, v86
	v_lshl_add_u32 v0, v20, 3, v112
	v_lshlrev_b32_e32 v21, 29, v20
	v_lshlrev_b32_e32 v22, 28, v20
	s_delay_alu instid0(VALU_DEP_3) | instskip(SKIP_1) | instid1(VALU_DEP_2)
	v_lshlrev_b64 v[18:19], 2, v[0:1]
	v_and_b32_e32 v0, 1, v20
	v_add_co_u32 v86, s16, v28, v18
	s_delay_alu instid0(VALU_DEP_1) | instskip(NEXT) | instid1(VALU_DEP_3)
	v_add_co_ci_u32_e64 v87, s16, v39, v19, s16
	v_add_co_u32 v0, s16, v0, -1
	s_delay_alu instid0(VALU_DEP_1) | instskip(SKIP_3) | instid1(VALU_DEP_2)
	v_cndmask_b32_e64 v18, 0, 1, s16
	flat_load_b32 v101, v[86:87]
	v_lshlrev_b32_e32 v19, 30, v20
	; wave barrier
	v_cmp_ne_u32_e64 s16, 0, v18
	v_not_b32_e32 v18, v19
	s_delay_alu instid0(VALU_DEP_2) | instskip(SKIP_1) | instid1(VALU_DEP_3)
	v_xor_b32_e32 v0, s16, v0
	v_cmp_gt_i32_e64 s16, 0, v19
	v_ashrrev_i32_e32 v18, 31, v18
	v_not_b32_e32 v19, v21
	s_delay_alu instid0(VALU_DEP_4) | instskip(NEXT) | instid1(VALU_DEP_3)
	v_and_b32_e32 v0, exec_lo, v0
	v_xor_b32_e32 v18, s16, v18
	v_cmp_gt_i32_e64 s16, 0, v21
	s_delay_alu instid0(VALU_DEP_4) | instskip(SKIP_1) | instid1(VALU_DEP_4)
	v_ashrrev_i32_e32 v19, 31, v19
	v_not_b32_e32 v21, v22
	v_and_b32_e32 v0, v0, v18
	v_lshlrev_b32_e32 v18, 27, v20
	s_delay_alu instid0(VALU_DEP_4) | instskip(SKIP_2) | instid1(VALU_DEP_4)
	v_xor_b32_e32 v19, s16, v19
	v_cmp_gt_i32_e64 s16, 0, v22
	v_ashrrev_i32_e32 v21, 31, v21
	v_not_b32_e32 v22, v18
	s_delay_alu instid0(VALU_DEP_4) | instskip(SKIP_1) | instid1(VALU_DEP_4)
	v_and_b32_e32 v0, v0, v19
	v_lshlrev_b32_e32 v19, 26, v20
	v_xor_b32_e32 v21, s16, v21
	v_cmp_gt_i32_e64 s16, 0, v18
	v_ashrrev_i32_e32 v18, 31, v22
	s_delay_alu instid0(VALU_DEP_4) | instskip(NEXT) | instid1(VALU_DEP_4)
	v_not_b32_e32 v22, v19
	v_and_b32_e32 v0, v0, v21
	v_lshlrev_b32_e32 v21, 25, v20
	s_delay_alu instid0(VALU_DEP_4) | instskip(SKIP_2) | instid1(VALU_DEP_4)
	v_xor_b32_e32 v18, s16, v18
	v_cmp_gt_i32_e64 s16, 0, v19
	v_ashrrev_i32_e32 v19, 31, v22
	v_not_b32_e32 v22, v21
	s_delay_alu instid0(VALU_DEP_4) | instskip(SKIP_1) | instid1(VALU_DEP_4)
	v_and_b32_e32 v0, v0, v18
	v_lshlrev_b32_e32 v18, 24, v20
	v_xor_b32_e32 v19, s16, v19
	v_cmp_gt_i32_e64 s16, 0, v21
	v_ashrrev_i32_e32 v20, 31, v22
	s_delay_alu instid0(VALU_DEP_4) | instskip(NEXT) | instid1(VALU_DEP_4)
	v_not_b32_e32 v21, v18
	v_and_b32_e32 v0, v0, v19
	s_delay_alu instid0(VALU_DEP_3) | instskip(SKIP_1) | instid1(VALU_DEP_4)
	v_xor_b32_e32 v19, s16, v20
	v_cmp_gt_i32_e64 s16, 0, v18
	v_ashrrev_i32_e32 v18, 31, v21
	s_delay_alu instid0(VALU_DEP_3) | instskip(NEXT) | instid1(VALU_DEP_2)
	v_and_b32_e32 v0, v0, v19
	v_xor_b32_e32 v18, s16, v18
	s_delay_alu instid0(VALU_DEP_1) | instskip(NEXT) | instid1(VALU_DEP_1)
	v_and_b32_e32 v0, v0, v18
	v_mbcnt_lo_u32_b32 v102, v0, 0
	v_cmp_ne_u32_e64 s17, 0, v0
	s_delay_alu instid0(VALU_DEP_2) | instskip(NEXT) | instid1(VALU_DEP_1)
	v_cmp_eq_u32_e64 s16, 0, v102
	s_and_b32 s17, s17, s16
	s_delay_alu instid0(SALU_CYCLE_1)
	s_and_saveexec_b32 s16, s17
	s_cbranch_execz .LBB711_277
; %bb.276:                              ;   in Loop: Header=BB711_269 Depth=1
	s_waitcnt vmcnt(0) lgkmcnt(0)
	v_bcnt_u32_b32 v0, v0, v101
	flat_store_b32 v[86:87], v0
.LBB711_277:                            ;   in Loop: Header=BB711_269 Depth=1
	s_or_b32 exec_lo, exec_lo, s16
	; wave barrier
	s_waitcnt vmcnt(0) lgkmcnt(0)
	s_waitcnt_vscnt null, 0x0
	s_barrier
	buffer_gl0_inv
	s_clause 0x1
	flat_load_b128 v[22:25], v[4:5] offset:32
	flat_load_b128 v[18:21], v[8:9] offset:16
	s_waitcnt vmcnt(1) lgkmcnt(1)
	v_add_nc_u32_e32 v0, v23, v22
	s_delay_alu instid0(VALU_DEP_1) | instskip(SKIP_1) | instid1(VALU_DEP_1)
	v_add3_u32 v0, v0, v24, v25
	s_waitcnt vmcnt(0) lgkmcnt(0)
	v_add3_u32 v0, v0, v18, v19
	s_delay_alu instid0(VALU_DEP_1) | instskip(NEXT) | instid1(VALU_DEP_1)
	v_add3_u32 v0, v0, v20, v21
	v_mov_b32_dpp v21, v0 row_shr:1 row_mask:0xf bank_mask:0xf
	s_delay_alu instid0(VALU_DEP_1) | instskip(NEXT) | instid1(VALU_DEP_1)
	v_cndmask_b32_e64 v21, v21, 0, vcc_lo
	v_add_nc_u32_e32 v0, v21, v0
	s_delay_alu instid0(VALU_DEP_1) | instskip(NEXT) | instid1(VALU_DEP_1)
	v_mov_b32_dpp v21, v0 row_shr:2 row_mask:0xf bank_mask:0xf
	v_cndmask_b32_e64 v21, 0, v21, s0
	s_delay_alu instid0(VALU_DEP_1) | instskip(NEXT) | instid1(VALU_DEP_1)
	v_add_nc_u32_e32 v0, v0, v21
	v_mov_b32_dpp v21, v0 row_shr:4 row_mask:0xf bank_mask:0xf
	s_delay_alu instid0(VALU_DEP_1) | instskip(NEXT) | instid1(VALU_DEP_1)
	v_cndmask_b32_e64 v21, 0, v21, s1
	v_add_nc_u32_e32 v0, v0, v21
	s_delay_alu instid0(VALU_DEP_1) | instskip(NEXT) | instid1(VALU_DEP_1)
	v_mov_b32_dpp v21, v0 row_shr:8 row_mask:0xf bank_mask:0xf
	v_cndmask_b32_e64 v21, 0, v21, s2
	s_delay_alu instid0(VALU_DEP_1) | instskip(SKIP_3) | instid1(VALU_DEP_1)
	v_add_nc_u32_e32 v0, v0, v21
	ds_swizzle_b32 v21, v0 offset:swizzle(BROADCAST,32,15)
	s_waitcnt lgkmcnt(0)
	v_cndmask_b32_e64 v21, v21, 0, s3
	v_add_nc_u32_e32 v0, v0, v21
	s_and_saveexec_b32 s16, s4
	s_cbranch_execz .LBB711_279
; %bb.278:                              ;   in Loop: Header=BB711_269 Depth=1
	flat_store_b32 v[31:32], v0
.LBB711_279:                            ;   in Loop: Header=BB711_269 Depth=1
	s_or_b32 exec_lo, exec_lo, s16
	s_waitcnt lgkmcnt(0)
	s_waitcnt_vscnt null, 0x0
	s_barrier
	buffer_gl0_inv
	s_and_saveexec_b32 s16, s5
	s_cbranch_execz .LBB711_281
; %bb.280:                              ;   in Loop: Header=BB711_269 Depth=1
	flat_load_b32 v21, v[33:34]
	s_waitcnt vmcnt(0) lgkmcnt(0)
	v_mov_b32_dpp v103, v21 row_shr:1 row_mask:0xf bank_mask:0xf
	s_delay_alu instid0(VALU_DEP_1) | instskip(NEXT) | instid1(VALU_DEP_1)
	v_cndmask_b32_e64 v103, v103, 0, s11
	v_add_nc_u32_e32 v21, v103, v21
	s_delay_alu instid0(VALU_DEP_1) | instskip(NEXT) | instid1(VALU_DEP_1)
	v_mov_b32_dpp v103, v21 row_shr:2 row_mask:0xf bank_mask:0xf
	v_cndmask_b32_e64 v103, 0, v103, s14
	s_delay_alu instid0(VALU_DEP_1) | instskip(NEXT) | instid1(VALU_DEP_1)
	v_add_nc_u32_e32 v21, v21, v103
	v_mov_b32_dpp v103, v21 row_shr:4 row_mask:0xf bank_mask:0xf
	s_delay_alu instid0(VALU_DEP_1) | instskip(NEXT) | instid1(VALU_DEP_1)
	v_cndmask_b32_e64 v103, 0, v103, s15
	v_add_nc_u32_e32 v21, v21, v103
	flat_store_b32 v[33:34], v21
.LBB711_281:                            ;   in Loop: Header=BB711_269 Depth=1
	s_or_b32 exec_lo, exec_lo, s16
	v_mov_b32_e32 v21, 0
	s_waitcnt lgkmcnt(0)
	s_waitcnt_vscnt null, 0x0
	s_barrier
	buffer_gl0_inv
	s_and_saveexec_b32 s16, s6
	s_cbranch_execz .LBB711_283
; %bb.282:                              ;   in Loop: Header=BB711_269 Depth=1
	flat_load_b32 v21, v[35:36]
.LBB711_283:                            ;   in Loop: Header=BB711_269 Depth=1
	s_or_b32 exec_lo, exec_lo, s16
	s_waitcnt vmcnt(0) lgkmcnt(0)
	v_add_nc_u32_e32 v0, v21, v0
	v_add_nc_u32_e32 v10, 8, v10
	s_mov_b32 s18, -1
	ds_bpermute_b32 v0, v113, v0
	s_waitcnt lgkmcnt(0)
	v_cndmask_b32_e64 v0, v0, v21, s7
	s_delay_alu instid0(VALU_DEP_1) | instskip(NEXT) | instid1(VALU_DEP_1)
	v_cndmask_b32_e64 v21, v0, 0, s10
	v_add_nc_u32_e32 v22, v21, v22
	s_delay_alu instid0(VALU_DEP_1) | instskip(NEXT) | instid1(VALU_DEP_1)
	v_add_nc_u32_e32 v23, v22, v23
	v_add_nc_u32_e32 v24, v23, v24
	s_delay_alu instid0(VALU_DEP_1) | instskip(NEXT) | instid1(VALU_DEP_1)
	v_add_nc_u32_e32 v115, v24, v25
	v_add_nc_u32_e32 v116, v115, v18
	s_delay_alu instid0(VALU_DEP_1) | instskip(SKIP_1) | instid1(VALU_DEP_2)
	v_add_nc_u32_e32 v117, v116, v19
	v_mov_b32_e32 v19, v1
	v_add_nc_u32_e32 v118, v117, v20
	s_clause 0x1
	flat_store_b128 v[4:5], v[21:24] offset:32
	flat_store_b128 v[8:9], v[115:118] offset:16
	v_mov_b32_e32 v21, v1
	s_waitcnt lgkmcnt(0)
	s_waitcnt_vscnt null, 0x0
	s_barrier
	buffer_gl0_inv
	s_clause 0x3
	flat_load_b32 v0, v[80:81]
	flat_load_b32 v18, v[82:83]
	;; [unrolled: 1-line block ×4, first 2 shown]
	v_mov_b32_e32 v23, v1
	v_cmp_lt_u32_e64 s16, v10, v11
	s_waitcnt vmcnt(0) lgkmcnt(0)
	s_waitcnt_vscnt null, 0x0
                                        ; implicit-def: $vgpr84_vgpr85
                                        ; implicit-def: $vgpr86_vgpr87
                                        ; implicit-def: $vgpr80_vgpr81
                                        ; implicit-def: $vgpr82_vgpr83
	s_waitcnt vmcnt(3) lgkmcnt(3)
	v_add_nc_u32_e32 v0, v0, v96
	s_waitcnt vmcnt(2) lgkmcnt(2)
	v_add3_u32 v18, v98, v97, v18
	s_waitcnt vmcnt(1) lgkmcnt(1)
	v_add3_u32 v20, v100, v99, v20
	;; [unrolled: 2-line block ×3, first 2 shown]
	v_lshlrev_b64 v[24:25], 3, v[0:1]
	v_lshlrev_b64 v[18:19], 3, v[18:19]
	;; [unrolled: 1-line block ×3, first 2 shown]
	s_delay_alu instid0(VALU_DEP_4) | instskip(NEXT) | instid1(VALU_DEP_4)
	v_lshlrev_b64 v[22:23], 3, v[22:23]
	v_add_co_u32 v96, s17, v12, v24
	s_delay_alu instid0(VALU_DEP_1) | instskip(SKIP_1) | instid1(VALU_DEP_1)
	v_add_co_ci_u32_e64 v97, s17, v13, v25, s17
	v_add_co_u32 v98, s17, v12, v18
	v_add_co_ci_u32_e64 v99, s17, v13, v19, s17
	v_add_co_u32 v100, s17, v12, v20
	s_delay_alu instid0(VALU_DEP_1) | instskip(SKIP_1) | instid1(VALU_DEP_1)
	v_add_co_ci_u32_e64 v101, s17, v13, v21, s17
	v_add_co_u32 v102, s17, v12, v22
	v_add_co_ci_u32_e64 v103, s17, v13, v23, s17
                                        ; implicit-def: $vgpr20_vgpr21
                                        ; implicit-def: $vgpr18_vgpr19
                                        ; implicit-def: $vgpr22_vgpr23
                                        ; implicit-def: $vgpr24_vgpr25
	s_and_saveexec_b32 s17, s16
	s_cbranch_execz .LBB711_268
; %bb.284:                              ;   in Loop: Header=BB711_269 Depth=1
	s_barrier
	buffer_gl0_inv
	s_clause 0x3
	flat_store_b64 v[96:97], v[48:49]
	flat_store_b64 v[98:99], v[70:71]
	;; [unrolled: 1-line block ×4, first 2 shown]
	s_waitcnt lgkmcnt(0)
	s_waitcnt_vscnt null, 0x0
	s_barrier
	buffer_gl0_inv
	s_clause 0x3
	flat_load_b64 v[86:87], v[37:38]
	flat_load_b64 v[84:85], v[37:38] offset:256
	flat_load_b64 v[18:19], v[37:38] offset:512
	;; [unrolled: 1-line block ×3, first 2 shown]
	s_waitcnt vmcnt(0) lgkmcnt(0)
	s_barrier
	buffer_gl0_inv
	s_clause 0x3
	flat_store_b64 v[96:97], v[54:55]
	flat_store_b64 v[98:99], v[52:53]
	flat_store_b64 v[100:101], v[50:51]
	flat_store_b64 v[102:103], v[64:65]
	s_waitcnt lgkmcnt(0)
	s_waitcnt_vscnt null, 0x0
	s_barrier
	buffer_gl0_inv
	s_clause 0x3
	flat_load_b64 v[22:23], v[37:38]
	flat_load_b64 v[24:25], v[37:38] offset:256
	flat_load_b64 v[80:81], v[37:38] offset:512
	;; [unrolled: 1-line block ×3, first 2 shown]
	v_add_nc_u32_e32 v114, -8, v114
	s_xor_b32 s18, exec_lo, -1
	s_waitcnt vmcnt(0) lgkmcnt(0)
	s_barrier
	buffer_gl0_inv
	s_branch .LBB711_268
.LBB711_285:
	flat_load_b64 v[102:103], v[4:5]
	s_or_b32 exec_lo, exec_lo, s7
                                        ; implicit-def: $vgpr116_vgpr117
	s_and_saveexec_b32 s7, s0
	s_cbranch_execz .LBB711_163
.LBB711_286:
	flat_load_b64 v[116:117], v[4:5] offset:256
	s_or_b32 exec_lo, exec_lo, s7
                                        ; implicit-def: $vgpr128_vgpr129
	s_and_saveexec_b32 s0, s1
	s_cbranch_execz .LBB711_164
.LBB711_287:
	flat_load_b64 v[128:129], v[4:5] offset:512
	s_or_b32 exec_lo, exec_lo, s0
                                        ; implicit-def: $vgpr134_vgpr135
	s_and_saveexec_b32 s0, s2
	s_cbranch_execz .LBB711_165
.LBB711_288:
	flat_load_b64 v[134:135], v[4:5] offset:768
	s_or_b32 exec_lo, exec_lo, s0
                                        ; implicit-def: $vgpr144_vgpr145
	s_and_saveexec_b32 s0, s3
	s_cbranch_execz .LBB711_166
.LBB711_289:
	flat_load_b64 v[144:145], v[4:5] offset:1024
	s_or_b32 exec_lo, exec_lo, s0
                                        ; implicit-def: $vgpr146_vgpr147
	s_and_saveexec_b32 s0, s4
	s_cbranch_execz .LBB711_167
.LBB711_290:
	flat_load_b64 v[146:147], v[4:5] offset:1280
	s_or_b32 exec_lo, exec_lo, s0
                                        ; implicit-def: $vgpr18_vgpr19
	s_and_saveexec_b32 s0, s5
	s_cbranch_execz .LBB711_168
.LBB711_291:
	flat_load_b64 v[18:19], v[4:5] offset:1536
	s_or_b32 exec_lo, exec_lo, s0
                                        ; implicit-def: $vgpr24_vgpr25
	s_and_saveexec_b32 s0, s6
	s_cbranch_execnz .LBB711_169
	s_branch .LBB711_170
.LBB711_292:
	flat_store_b64 v[2:3], v[18:19]
	s_or_b32 exec_lo, exec_lo, s7
	s_and_saveexec_b32 s7, s0
	s_cbranch_execz .LBB711_244
.LBB711_293:
	flat_store_b64 v[2:3], v[16:17] offset:2048
	s_or_b32 exec_lo, exec_lo, s7
	s_and_saveexec_b32 s0, s1
	s_cbranch_execz .LBB711_245
.LBB711_294:
	v_add_co_u32 v6, vcc_lo, 0x1000, v2
	v_add_co_ci_u32_e32 v7, vcc_lo, 0, v3, vcc_lo
	flat_store_b64 v[6:7], v[14:15]
	s_or_b32 exec_lo, exec_lo, s0
	s_and_saveexec_b32 s0, s2
	s_cbranch_execz .LBB711_246
.LBB711_295:
	v_add_co_u32 v6, vcc_lo, 0x1000, v2
	v_add_co_ci_u32_e32 v7, vcc_lo, 0, v3, vcc_lo
	flat_store_b64 v[6:7], v[12:13] offset:2048
	s_or_b32 exec_lo, exec_lo, s0
	s_and_saveexec_b32 s0, s3
	s_cbranch_execz .LBB711_247
.LBB711_296:
	v_add_co_u32 v6, vcc_lo, 0x2000, v2
	v_add_co_ci_u32_e32 v7, vcc_lo, 0, v3, vcc_lo
	flat_store_b64 v[6:7], v[10:11]
	s_or_b32 exec_lo, exec_lo, s0
	s_and_saveexec_b32 s0, s4
	s_cbranch_execz .LBB711_248
.LBB711_297:
	v_add_co_u32 v6, vcc_lo, 0x2000, v2
	v_add_co_ci_u32_e32 v7, vcc_lo, 0, v3, vcc_lo
	flat_store_b64 v[6:7], v[8:9] offset:2048
	s_or_b32 exec_lo, exec_lo, s0
	s_and_saveexec_b32 s0, s5
	s_cbranch_execz .LBB711_249
.LBB711_298:
	v_add_co_u32 v6, vcc_lo, 0x3000, v2
	v_add_co_ci_u32_e32 v7, vcc_lo, 0, v3, vcc_lo
	flat_store_b64 v[6:7], v[4:5]
	s_or_b32 exec_lo, exec_lo, s0
	s_and_saveexec_b32 s0, s6
	s_cbranch_execnz .LBB711_250
	s_branch .LBB711_251
.LBB711_299:
	s_or_b32 exec_lo, exec_lo, s20
	v_lshlrev_b32_e32 v0, 3, v26
	s_barrier
	buffer_gl0_inv
	s_clause 0x3
	flat_store_b64 v[96:97], v[48:49]
	flat_store_b64 v[98:99], v[70:71]
	;; [unrolled: 1-line block ×4, first 2 shown]
	v_add_co_u32 v0, vcc_lo, v12, v0
	v_add_co_ci_u32_e32 v1, vcc_lo, 0, v13, vcc_lo
	s_waitcnt lgkmcnt(0)
	s_waitcnt_vscnt null, 0x0
	s_delay_alu instid0(VALU_DEP_2) | instskip(NEXT) | instid1(VALU_DEP_2)
	v_add_co_u32 v14, vcc_lo, 0x1000, v0
	v_add_co_ci_u32_e32 v15, vcc_lo, 0, v1, vcc_lo
	s_barrier
	buffer_gl0_inv
	s_clause 0x3
	flat_load_b64 v[20:21], v[0:1]
	flat_load_b64 v[18:19], v[0:1] offset:2048
	flat_load_b64 v[16:17], v[14:15]
	flat_load_b64 v[12:13], v[14:15] offset:2048
	s_waitcnt vmcnt(0) lgkmcnt(0)
	s_barrier
	buffer_gl0_inv
	s_clause 0x3
	flat_store_b64 v[96:97], v[54:55]
	flat_store_b64 v[98:99], v[52:53]
	;; [unrolled: 1-line block ×4, first 2 shown]
	s_waitcnt lgkmcnt(0)
	s_waitcnt_vscnt null, 0x0
	s_barrier
	buffer_gl0_inv
	s_clause 0x3
	flat_load_b64 v[10:11], v[0:1]
	flat_load_b64 v[8:9], v[0:1] offset:2048
	flat_load_b64 v[4:5], v[14:15]
	flat_load_b64 v[0:1], v[14:15] offset:2048
	v_mov_b32_e32 v28, 0
	v_add_co_u32 v2, vcc_lo, v2, v29
	v_add_co_ci_u32_e32 v3, vcc_lo, v3, v30, vcc_lo
	s_delay_alu instid0(VALU_DEP_3)
	v_lshlrev_b64 v[14:15], 3, v[27:28]
	s_waitcnt vmcnt(0) lgkmcnt(0)
	s_barrier
	buffer_gl0_inv
	v_add_co_u32 v2, vcc_lo, v2, v14
	v_add_co_ci_u32_e32 v3, vcc_lo, v3, v15, vcc_lo
	v_cmp_lt_u32_e32 vcc_lo, v27, v47
	s_and_saveexec_b32 s0, vcc_lo
	s_cbranch_execz .LBB711_301
; %bb.300:
	v_xor_b32_e32 v21, 0x7fffffff, v21
	v_not_b32_e32 v20, v20
	flat_store_b64 v[2:3], v[20:21]
.LBB711_301:
	s_or_b32 exec_lo, exec_lo, s0
	v_add_nc_u32_e32 v20, 0x100, v27
	s_delay_alu instid0(VALU_DEP_1) | instskip(NEXT) | instid1(VALU_DEP_1)
	v_cmp_lt_u32_e64 s0, v20, v47
	s_and_saveexec_b32 s1, s0
	s_cbranch_execz .LBB711_303
; %bb.302:
	v_xor_b32_e32 v19, 0x7fffffff, v19
	v_not_b32_e32 v18, v18
	flat_store_b64 v[2:3], v[18:19] offset:2048
.LBB711_303:
	s_or_b32 exec_lo, exec_lo, s1
	v_add_nc_u32_e32 v18, 0x200, v27
	s_delay_alu instid0(VALU_DEP_1) | instskip(NEXT) | instid1(VALU_DEP_1)
	v_cmp_lt_u32_e64 s1, v18, v47
	s_and_saveexec_b32 s3, s1
	s_cbranch_execz .LBB711_305
; %bb.304:
	v_add_co_u32 v18, s2, 0x1000, v2
	v_xor_b32_e32 v17, 0x7fffffff, v17
	v_not_b32_e32 v16, v16
	v_add_co_ci_u32_e64 v19, s2, 0, v3, s2
	flat_store_b64 v[18:19], v[16:17]
.LBB711_305:
	s_or_b32 exec_lo, exec_lo, s3
	v_add_nc_u32_e32 v16, 0x300, v27
	s_delay_alu instid0(VALU_DEP_1) | instskip(NEXT) | instid1(VALU_DEP_1)
	v_cmp_lt_u32_e64 s2, v16, v47
	s_and_saveexec_b32 s4, s2
	s_cbranch_execz .LBB711_307
; %bb.306:
	v_add_co_u32 v2, s3, 0x1000, v2
	v_xor_b32_e32 v13, 0x7fffffff, v13
	v_not_b32_e32 v12, v12
	v_add_co_ci_u32_e64 v3, s3, 0, v3, s3
	flat_store_b64 v[2:3], v[12:13] offset:2048
.LBB711_307:
	s_or_b32 exec_lo, exec_lo, s4
	v_add_co_u32 v2, s3, v6, v29
	s_delay_alu instid0(VALU_DEP_1) | instskip(NEXT) | instid1(VALU_DEP_2)
	v_add_co_ci_u32_e64 v3, s3, v7, v30, s3
	v_add_co_u32 v2, s3, v2, v14
	s_delay_alu instid0(VALU_DEP_1)
	v_add_co_ci_u32_e64 v3, s3, v3, v15, s3
	s_and_saveexec_b32 s3, vcc_lo
	s_cbranch_execnz .LBB711_340
; %bb.308:
	s_or_b32 exec_lo, exec_lo, s3
	s_and_saveexec_b32 s3, s0
	s_cbranch_execnz .LBB711_341
.LBB711_309:
	s_or_b32 exec_lo, exec_lo, s3
	s_and_saveexec_b32 s0, s1
	s_cbranch_execnz .LBB711_342
.LBB711_310:
	s_or_b32 exec_lo, exec_lo, s0
	s_and_saveexec_b32 s0, s2
	s_cbranch_execz .LBB711_312
.LBB711_311:
	v_add_co_u32 v2, vcc_lo, 0x1000, v2
	v_add_co_ci_u32_e32 v3, vcc_lo, 0, v3, vcc_lo
	flat_store_b64 v[2:3], v[0:1] offset:2048
.LBB711_312:
	s_or_b32 exec_lo, exec_lo, s0
                                        ; implicit-def: $vgpr47
                                        ; implicit-def: $vgpr0
                                        ; implicit-def: $vgpr1
                                        ; implicit-def: $vgpr2
                                        ; implicit-def: $vgpr3
                                        ; implicit-def: $vgpr4
                                        ; implicit-def: $vgpr5
                                        ; implicit-def: $vgpr6
                                        ; implicit-def: $vgpr7
                                        ; implicit-def: $vgpr8
                                        ; implicit-def: $vgpr10
                                        ; implicit-def: $vgpr11
                                        ; implicit-def: $vgpr12
                                        ; implicit-def: $vgpr13
                                        ; implicit-def: $vgpr14
                                        ; implicit-def: $vgpr15
                                        ; implicit-def: $vgpr26
                                        ; implicit-def: $vgpr96
.LBB711_313:
	s_and_not1_saveexec_b32 s0, s19
	s_cbranch_execz .LBB711_372
; %bb.314:
	s_load_b64 s[0:1], s[8:9], 0x0
	v_mov_b32_e32 v9, 0
	s_waitcnt lgkmcnt(0)
	s_cmp_lt_u32 s13, s1
	s_cselect_b32 s1, 14, 20
	s_delay_alu instid0(SALU_CYCLE_1) | instskip(SKIP_4) | instid1(SALU_CYCLE_1)
	s_add_u32 s2, s8, s1
	s_addc_u32 s3, s9, 0
	s_cmp_lt_u32 s12, s0
	global_load_u16 v16, v9, s[2:3]
	s_cselect_b32 s0, 12, 18
	s_add_u32 s0, s8, s0
	s_addc_u32 s1, s9, 0
	global_load_u16 v17, v9, s[0:1]
	s_mov_b32 s0, 0
	s_mov_b32 s1, exec_lo
	s_waitcnt vmcnt(1)
	v_mad_u32_u24 v14, v15, v16, v14
	s_waitcnt vmcnt(0)
	s_delay_alu instid0(VALU_DEP_1)
	v_mad_u64_u32 v[29:30], null, v14, v17, v[26:27]
	v_lshlrev_b64 v[27:28], 3, v[8:9]
	v_cmpx_lt_u32_e32 0x100, v47
	s_xor_b32 s15, exec_lo, s1
	s_cbranch_execz .LBB711_352
; %bb.315:
	s_brev_b32 s1, 1
	s_mov_b32 s2, s0
	s_mov_b32 s3, s1
	v_lshlrev_b32_e32 v8, 1, v29
	v_lshlrev_b32_e32 v18, 3, v96
	v_add_co_u32 v14, vcc_lo, v0, v27
	v_add_co_ci_u32_e32 v15, vcc_lo, v1, v28, vcc_lo
	s_delay_alu instid0(VALU_DEP_4) | instskip(NEXT) | instid1(VALU_DEP_1)
	v_and_b32_e32 v8, 0xffffffc0, v8
	v_lshlrev_b64 v[0:1], 3, v[8:9]
	s_delay_alu instid0(VALU_DEP_4) | instskip(NEXT) | instid1(VALU_DEP_4)
	v_add_co_u32 v9, vcc_lo, v14, v18
	v_add_co_ci_u32_e32 v14, vcc_lo, 0, v15, vcc_lo
	v_or_b32_e32 v19, v96, v8
	s_delay_alu instid0(VALU_DEP_3) | instskip(NEXT) | instid1(VALU_DEP_3)
	v_add_co_u32 v8, vcc_lo, v9, v0
	v_add_co_ci_u32_e32 v9, vcc_lo, v14, v1, vcc_lo
	v_mov_b32_e32 v17, s3
	v_mov_b32_e32 v15, s1
	v_cmp_lt_u32_e32 vcc_lo, v19, v47
	v_mov_b32_e32 v16, s2
	v_mov_b32_e32 v14, s0
	s_and_saveexec_b32 s0, vcc_lo
	s_cbranch_execz .LBB711_317
; %bb.316:
	flat_load_b64 v[14:15], v[8:9]
	v_mov_b32_e32 v16, 0
	v_bfrev_b32_e32 v17, 1
.LBB711_317:
	s_or_b32 exec_lo, exec_lo, s0
	v_or_b32_e32 v19, 32, v19
	s_delay_alu instid0(VALU_DEP_1) | instskip(NEXT) | instid1(VALU_DEP_1)
	v_cmp_lt_u32_e64 s0, v19, v47
	s_and_saveexec_b32 s1, s0
	s_cbranch_execz .LBB711_319
; %bb.318:
	flat_load_b64 v[16:17], v[8:9] offset:256
.LBB711_319:
	s_or_b32 exec_lo, exec_lo, s1
	v_add_co_u32 v4, s1, v4, v27
	s_delay_alu instid0(VALU_DEP_1) | instskip(NEXT) | instid1(VALU_DEP_2)
	v_add_co_ci_u32_e64 v5, s1, v5, v28, s1
	v_add_co_u32 v4, s1, v4, v18
	s_delay_alu instid0(VALU_DEP_1) | instskip(NEXT) | instid1(VALU_DEP_2)
	v_add_co_ci_u32_e64 v5, s1, 0, v5, s1
                                        ; implicit-def: $vgpr18_vgpr19
	v_add_co_u32 v0, s1, v4, v0
	s_delay_alu instid0(VALU_DEP_1)
	v_add_co_ci_u32_e64 v1, s1, v5, v1, s1
	s_and_saveexec_b32 s1, vcc_lo
	s_cbranch_execz .LBB711_321
; %bb.320:
	flat_load_b64 v[18:19], v[0:1]
.LBB711_321:
	s_or_b32 exec_lo, exec_lo, s1
                                        ; implicit-def: $vgpr20_vgpr21
	s_and_saveexec_b32 s1, s0
	s_cbranch_execz .LBB711_323
; %bb.322:
	flat_load_b64 v[20:21], v[0:1] offset:256
.LBB711_323:
	s_or_b32 exec_lo, exec_lo, s1
	v_dual_mov_b32 v1, 0 :: v_dual_lshlrev_b32 v0, 5, v26
	s_mov_b32 s16, 0
	v_add_co_u32 v66, vcc_lo, v12, 32
	s_waitcnt vmcnt(0) lgkmcnt(0)
	v_xor_b32_e32 v25, 0x7fffffff, v15
	s_mov_b32 s17, s16
	s_mov_b32 s18, s16
	;; [unrolled: 1-line block ×3, first 2 shown]
	v_and_b32_e32 v15, 0x3e0, v26
	v_add_co_ci_u32_e32 v67, vcc_lo, 0, v13, vcc_lo
	v_add_co_u32 v4, vcc_lo, v12, v0
	v_add_co_ci_u32_e32 v5, vcc_lo, 0, v13, vcc_lo
	v_xor_b32_e32 v24, -1, v14
	v_xor_b32_e32 v22, -1, v16
	v_and_b32_e32 v14, 15, v96
	v_add_co_u32 v8, vcc_lo, v66, v0
	v_min_u32_e32 v0, 0xe0, v15
	v_add_nc_u32_e32 v16, -1, v96
	s_getpc_b64 s[0:1]
	s_add_u32 s0, s0, _ZN7rocprim17ROCPRIM_400000_NS16block_radix_sortIlLj256ELj2ElLj1ELj1ELj8ELNS0_26block_radix_rank_algorithmE2ELNS0_18block_padding_hintE2ELNS0_4arch9wavefront6targetE0EE19radix_bits_per_passE@rel32@lo+4
	s_addc_u32 s1, s1, _ZN7rocprim17ROCPRIM_400000_NS16block_radix_sortIlLj256ELj2ElLj1ELj1ELj8ELNS0_26block_radix_rank_algorithmE2ELNS0_18block_padding_hintE2ELNS0_4arch9wavefront6targetE0EE19radix_bits_per_passE@rel32@hi+12
	v_add_co_ci_u32_e32 v9, vcc_lo, 0, v67, vcc_lo
	s_load_b32 s20, s[0:1], 0x0
	v_cmp_eq_u32_e32 vcc_lo, 0, v14
	v_cmp_lt_u32_e64 s0, 1, v14
	v_and_b32_e32 v15, 16, v96
	v_cmp_lt_u32_e64 s1, 3, v14
	v_cmp_lt_u32_e64 s2, 7, v14
	v_or_b32_e32 v0, 31, v0
	v_lshrrev_b32_e32 v14, 5, v26
	v_cmp_gt_i32_e64 s4, 0, v16
	v_cmp_eq_u32_e64 s3, 0, v15
	v_xor_b32_e32 v23, 0x7fffffff, v17
	v_lshrrev_b32_e32 v68, 5, v29
	v_cmp_gt_u32_e64 s5, 8, v26
	v_cndmask_b32_e64 v15, v16, v96, s4
	v_cmp_eq_u32_e64 s4, v0, v26
	v_lshlrev_b32_e32 v0, 2, v14
	v_and_b32_e32 v16, 7, v96
	v_cmp_lt_u32_e64 s6, 31, v26
	v_lshlrev_b32_e32 v69, 2, v15
	v_lshlrev_b32_e32 v15, 2, v26
	v_add_co_u32 v30, s9, v12, v0
	v_add_nc_u32_e32 v0, -1, v14
	v_lshlrev_b32_e32 v14, 1, v26
	v_add_co_ci_u32_e64 v31, s9, 0, v13, s9
	v_add_co_u32 v32, s9, v12, v15
	s_delay_alu instid0(VALU_DEP_3) | instskip(SKIP_3) | instid1(VALU_DEP_4)
	v_and_or_b32 v17, 0x7c0, v14, v96
	v_lshlrev_b64 v[14:15], 2, v[0:1]
	v_add_co_ci_u32_e64 v33, s9, 0, v13, s9
	v_cmp_eq_u32_e64 s9, 0, v16
	v_lshlrev_b32_e32 v0, 3, v17
	v_cmp_lt_u32_e64 s10, 1, v16
	v_add_co_u32 v34, s12, v12, v14
	s_delay_alu instid0(VALU_DEP_1) | instskip(NEXT) | instid1(VALU_DEP_4)
	v_add_co_ci_u32_e64 v35, s12, v13, v15, s12
	v_add_co_u32 v36, s12, v12, v0
	v_cmp_lt_u32_e64 s11, 3, v16
	v_mov_b32_e32 v14, s16
	v_cmp_eq_u32_e64 s7, 0, v96
	v_cmp_eq_u32_e64 s8, 0, v26
	v_add_co_ci_u32_e64 v37, s12, 0, v13, s12
	v_sub_nc_u32_e32 v70, v11, v10
	v_dual_mov_b32 v15, s17 :: v_dual_mov_b32 v16, s18
	v_mov_b32_e32 v17, s19
	s_waitcnt lgkmcnt(0)
	s_waitcnt_vscnt null, 0x0
	s_barrier
	buffer_gl0_inv
	s_branch .LBB711_325
.LBB711_324:                            ;   in Loop: Header=BB711_325 Depth=1
	s_or_b32 exec_lo, exec_lo, s13
	s_delay_alu instid0(SALU_CYCLE_1) | instskip(NEXT) | instid1(SALU_CYCLE_1)
	s_and_b32 s12, exec_lo, s14
	s_or_b32 s16, s12, s16
	s_delay_alu instid0(SALU_CYCLE_1)
	s_and_not1_b32 exec_lo, exec_lo, s16
	s_cbranch_execz .LBB711_343
.LBB711_325:                            ; =>This Inner Loop Header: Depth=1
	v_min_u32_e32 v0, s20, v70
	v_dual_mov_b32 v39, v25 :: v_dual_mov_b32 v38, v24
	s_clause 0x1
	flat_store_b128 v[4:5], v[14:17] offset:32
	flat_store_b128 v[8:9], v[14:17] offset:16
	s_waitcnt lgkmcnt(0)
	s_waitcnt_vscnt null, 0x0
	v_lshlrev_b32_e64 v0, v0, -1
	s_barrier
	v_lshrrev_b64 v[48:49], v10, v[38:39]
	buffer_gl0_inv
	v_not_b32_e32 v24, v0
	; wave barrier
	s_delay_alu instid0(VALU_DEP_1) | instskip(NEXT) | instid1(VALU_DEP_1)
	v_and_b32_e32 v0, v48, v24
	v_and_b32_e32 v25, 1, v0
	v_lshlrev_b32_e32 v48, 30, v0
	v_lshlrev_b32_e32 v49, 29, v0
	;; [unrolled: 1-line block ×4, first 2 shown]
	v_add_co_u32 v25, s12, v25, -1
	s_delay_alu instid0(VALU_DEP_1)
	v_cndmask_b32_e64 v51, 0, 1, s12
	v_not_b32_e32 v55, v48
	v_cmp_gt_i32_e64 s13, 0, v48
	v_not_b32_e32 v48, v49
	v_lshlrev_b32_e32 v53, 26, v0
	v_cmp_ne_u32_e64 s12, 0, v51
	v_ashrrev_i32_e32 v55, 31, v55
	s_delay_alu instid0(VALU_DEP_4) | instskip(NEXT) | instid1(VALU_DEP_3)
	v_ashrrev_i32_e32 v48, 31, v48
	v_xor_b32_e32 v25, s12, v25
	v_cmp_gt_i32_e64 s12, 0, v49
	v_not_b32_e32 v49, v50
	v_xor_b32_e32 v55, s13, v55
	v_cmp_gt_i32_e64 s13, 0, v50
	v_and_b32_e32 v25, exec_lo, v25
	v_not_b32_e32 v50, v52
	v_ashrrev_i32_e32 v49, 31, v49
	v_xor_b32_e32 v48, s12, v48
	v_cmp_gt_i32_e64 s12, 0, v52
	v_and_b32_e32 v25, v25, v55
	v_not_b32_e32 v52, v53
	v_ashrrev_i32_e32 v50, 31, v50
	v_xor_b32_e32 v49, s13, v49
	v_cmp_gt_i32_e64 s13, 0, v53
	v_and_b32_e32 v25, v25, v48
	v_ashrrev_i32_e32 v52, 31, v52
	v_xor_b32_e32 v50, s12, v50
	s_delay_alu instid0(VALU_DEP_3) | instskip(NEXT) | instid1(VALU_DEP_3)
	v_and_b32_e32 v25, v25, v49
	v_xor_b32_e32 v52, s13, v52
	s_delay_alu instid0(VALU_DEP_2) | instskip(NEXT) | instid1(VALU_DEP_1)
	v_and_b32_e32 v25, v25, v50
	v_and_b32_e32 v25, v25, v52
	v_dual_mov_b32 v53, v23 :: v_dual_lshlrev_b32 v54, 25, v0
	v_lshlrev_b32_e32 v51, 24, v0
	v_lshl_add_u32 v0, v0, 3, v68
	v_mov_b32_e32 v52, v22
	s_delay_alu instid0(VALU_DEP_4) | instskip(SKIP_3) | instid1(VALU_DEP_4)
	v_not_b32_e32 v48, v54
	v_cmp_gt_i32_e64 s12, 0, v54
	v_not_b32_e32 v49, v51
	v_cmp_gt_i32_e64 s13, 0, v51
	v_ashrrev_i32_e32 v48, 31, v48
	s_delay_alu instid0(VALU_DEP_3) | instskip(NEXT) | instid1(VALU_DEP_2)
	v_ashrrev_i32_e32 v49, 31, v49
	v_xor_b32_e32 v48, s12, v48
	s_delay_alu instid0(VALU_DEP_2) | instskip(NEXT) | instid1(VALU_DEP_2)
	v_xor_b32_e32 v50, s13, v49
	v_and_b32_e32 v25, v25, v48
	v_dual_mov_b32 v49, v21 :: v_dual_mov_b32 v48, v20
	s_delay_alu instid0(VALU_DEP_2) | instskip(SKIP_2) | instid1(VALU_DEP_3)
	v_dual_mov_b32 v51, v19 :: v_dual_and_b32 v20, v25, v50
	v_mov_b32_e32 v50, v18
	v_lshlrev_b64 v[18:19], 2, v[0:1]
	v_mbcnt_lo_u32_b32 v71, v20, 0
	v_cmp_ne_u32_e64 s12, 0, v20
	s_delay_alu instid0(VALU_DEP_3) | instskip(NEXT) | instid1(VALU_DEP_3)
	v_add_co_u32 v54, s14, v66, v18
	v_cmp_eq_u32_e64 s13, 0, v71
	v_add_co_ci_u32_e64 v55, s14, v67, v19, s14
	s_delay_alu instid0(VALU_DEP_2) | instskip(NEXT) | instid1(SALU_CYCLE_1)
	s_and_b32 s13, s12, s13
	s_and_saveexec_b32 s12, s13
	s_cbranch_execz .LBB711_327
; %bb.326:                              ;   in Loop: Header=BB711_325 Depth=1
	v_bcnt_u32_b32 v0, v20, 0
	flat_store_b32 v[54:55], v0
.LBB711_327:                            ;   in Loop: Header=BB711_325 Depth=1
	s_or_b32 exec_lo, exec_lo, s12
	v_lshrrev_b64 v[18:19], v10, v[52:53]
	; wave barrier
	s_delay_alu instid0(VALU_DEP_1) | instskip(NEXT) | instid1(VALU_DEP_1)
	v_and_b32_e32 v20, v18, v24
	v_lshl_add_u32 v0, v20, 3, v68
	v_lshlrev_b32_e32 v21, 29, v20
	v_lshlrev_b32_e32 v22, 28, v20
	s_delay_alu instid0(VALU_DEP_3) | instskip(SKIP_1) | instid1(VALU_DEP_2)
	v_lshlrev_b64 v[18:19], 2, v[0:1]
	v_and_b32_e32 v0, 1, v20
	v_add_co_u32 v64, s12, v66, v18
	s_delay_alu instid0(VALU_DEP_1) | instskip(NEXT) | instid1(VALU_DEP_3)
	v_add_co_ci_u32_e64 v65, s12, v67, v19, s12
	v_add_co_u32 v0, s12, v0, -1
	s_delay_alu instid0(VALU_DEP_1) | instskip(SKIP_3) | instid1(VALU_DEP_2)
	v_cndmask_b32_e64 v18, 0, 1, s12
	flat_load_b32 v80, v[64:65]
	v_lshlrev_b32_e32 v19, 30, v20
	; wave barrier
	v_cmp_ne_u32_e64 s12, 0, v18
	v_not_b32_e32 v18, v19
	s_delay_alu instid0(VALU_DEP_2) | instskip(SKIP_1) | instid1(VALU_DEP_3)
	v_xor_b32_e32 v0, s12, v0
	v_cmp_gt_i32_e64 s12, 0, v19
	v_ashrrev_i32_e32 v18, 31, v18
	v_not_b32_e32 v19, v21
	s_delay_alu instid0(VALU_DEP_4) | instskip(NEXT) | instid1(VALU_DEP_3)
	v_and_b32_e32 v0, exec_lo, v0
	v_xor_b32_e32 v18, s12, v18
	v_cmp_gt_i32_e64 s12, 0, v21
	s_delay_alu instid0(VALU_DEP_4) | instskip(SKIP_1) | instid1(VALU_DEP_4)
	v_ashrrev_i32_e32 v19, 31, v19
	v_not_b32_e32 v21, v22
	v_and_b32_e32 v0, v0, v18
	v_lshlrev_b32_e32 v18, 27, v20
	s_delay_alu instid0(VALU_DEP_4) | instskip(SKIP_2) | instid1(VALU_DEP_4)
	v_xor_b32_e32 v19, s12, v19
	v_cmp_gt_i32_e64 s12, 0, v22
	v_ashrrev_i32_e32 v21, 31, v21
	v_not_b32_e32 v22, v18
	s_delay_alu instid0(VALU_DEP_4) | instskip(SKIP_1) | instid1(VALU_DEP_4)
	v_and_b32_e32 v0, v0, v19
	v_lshlrev_b32_e32 v19, 26, v20
	v_xor_b32_e32 v21, s12, v21
	v_cmp_gt_i32_e64 s12, 0, v18
	v_ashrrev_i32_e32 v18, 31, v22
	s_delay_alu instid0(VALU_DEP_4) | instskip(NEXT) | instid1(VALU_DEP_4)
	v_not_b32_e32 v22, v19
	v_and_b32_e32 v0, v0, v21
	v_lshlrev_b32_e32 v21, 25, v20
	s_delay_alu instid0(VALU_DEP_4) | instskip(SKIP_2) | instid1(VALU_DEP_4)
	v_xor_b32_e32 v18, s12, v18
	v_cmp_gt_i32_e64 s12, 0, v19
	v_ashrrev_i32_e32 v19, 31, v22
	v_not_b32_e32 v22, v21
	s_delay_alu instid0(VALU_DEP_4) | instskip(SKIP_1) | instid1(VALU_DEP_4)
	v_and_b32_e32 v0, v0, v18
	v_lshlrev_b32_e32 v18, 24, v20
	v_xor_b32_e32 v19, s12, v19
	v_cmp_gt_i32_e64 s12, 0, v21
	v_ashrrev_i32_e32 v20, 31, v22
	s_delay_alu instid0(VALU_DEP_4) | instskip(NEXT) | instid1(VALU_DEP_4)
	v_not_b32_e32 v21, v18
	v_and_b32_e32 v0, v0, v19
	s_delay_alu instid0(VALU_DEP_3) | instskip(SKIP_1) | instid1(VALU_DEP_4)
	v_xor_b32_e32 v19, s12, v20
	v_cmp_gt_i32_e64 s12, 0, v18
	v_ashrrev_i32_e32 v18, 31, v21
	s_delay_alu instid0(VALU_DEP_3) | instskip(NEXT) | instid1(VALU_DEP_2)
	v_and_b32_e32 v0, v0, v19
	v_xor_b32_e32 v18, s12, v18
	s_delay_alu instid0(VALU_DEP_1) | instskip(NEXT) | instid1(VALU_DEP_1)
	v_and_b32_e32 v0, v0, v18
	v_mbcnt_lo_u32_b32 v81, v0, 0
	v_cmp_ne_u32_e64 s13, 0, v0
	s_delay_alu instid0(VALU_DEP_2) | instskip(NEXT) | instid1(VALU_DEP_1)
	v_cmp_eq_u32_e64 s12, 0, v81
	s_and_b32 s13, s13, s12
	s_delay_alu instid0(SALU_CYCLE_1)
	s_and_saveexec_b32 s12, s13
	s_cbranch_execz .LBB711_329
; %bb.328:                              ;   in Loop: Header=BB711_325 Depth=1
	s_waitcnt vmcnt(0) lgkmcnt(0)
	v_bcnt_u32_b32 v0, v0, v80
	flat_store_b32 v[64:65], v0
.LBB711_329:                            ;   in Loop: Header=BB711_325 Depth=1
	s_or_b32 exec_lo, exec_lo, s12
	; wave barrier
	s_waitcnt vmcnt(0) lgkmcnt(0)
	s_waitcnt_vscnt null, 0x0
	s_barrier
	buffer_gl0_inv
	s_clause 0x1
	flat_load_b128 v[22:25], v[4:5] offset:32
	flat_load_b128 v[18:21], v[8:9] offset:16
	s_waitcnt vmcnt(1) lgkmcnt(1)
	v_add_nc_u32_e32 v0, v23, v22
	s_delay_alu instid0(VALU_DEP_1) | instskip(SKIP_1) | instid1(VALU_DEP_1)
	v_add3_u32 v0, v0, v24, v25
	s_waitcnt vmcnt(0) lgkmcnt(0)
	v_add3_u32 v0, v0, v18, v19
	s_delay_alu instid0(VALU_DEP_1) | instskip(NEXT) | instid1(VALU_DEP_1)
	v_add3_u32 v0, v0, v20, v21
	v_mov_b32_dpp v21, v0 row_shr:1 row_mask:0xf bank_mask:0xf
	s_delay_alu instid0(VALU_DEP_1) | instskip(NEXT) | instid1(VALU_DEP_1)
	v_cndmask_b32_e64 v21, v21, 0, vcc_lo
	v_add_nc_u32_e32 v0, v21, v0
	s_delay_alu instid0(VALU_DEP_1) | instskip(NEXT) | instid1(VALU_DEP_1)
	v_mov_b32_dpp v21, v0 row_shr:2 row_mask:0xf bank_mask:0xf
	v_cndmask_b32_e64 v21, 0, v21, s0
	s_delay_alu instid0(VALU_DEP_1) | instskip(NEXT) | instid1(VALU_DEP_1)
	v_add_nc_u32_e32 v0, v0, v21
	v_mov_b32_dpp v21, v0 row_shr:4 row_mask:0xf bank_mask:0xf
	s_delay_alu instid0(VALU_DEP_1) | instskip(NEXT) | instid1(VALU_DEP_1)
	v_cndmask_b32_e64 v21, 0, v21, s1
	v_add_nc_u32_e32 v0, v0, v21
	s_delay_alu instid0(VALU_DEP_1) | instskip(NEXT) | instid1(VALU_DEP_1)
	v_mov_b32_dpp v21, v0 row_shr:8 row_mask:0xf bank_mask:0xf
	v_cndmask_b32_e64 v21, 0, v21, s2
	s_delay_alu instid0(VALU_DEP_1) | instskip(SKIP_3) | instid1(VALU_DEP_1)
	v_add_nc_u32_e32 v0, v0, v21
	ds_swizzle_b32 v21, v0 offset:swizzle(BROADCAST,32,15)
	s_waitcnt lgkmcnt(0)
	v_cndmask_b32_e64 v21, v21, 0, s3
	v_add_nc_u32_e32 v0, v0, v21
	s_and_saveexec_b32 s12, s4
	s_cbranch_execz .LBB711_331
; %bb.330:                              ;   in Loop: Header=BB711_325 Depth=1
	flat_store_b32 v[30:31], v0
.LBB711_331:                            ;   in Loop: Header=BB711_325 Depth=1
	s_or_b32 exec_lo, exec_lo, s12
	s_waitcnt lgkmcnt(0)
	s_waitcnt_vscnt null, 0x0
	s_barrier
	buffer_gl0_inv
	s_and_saveexec_b32 s12, s5
	s_cbranch_execz .LBB711_333
; %bb.332:                              ;   in Loop: Header=BB711_325 Depth=1
	flat_load_b32 v21, v[32:33]
	s_waitcnt vmcnt(0) lgkmcnt(0)
	v_mov_b32_dpp v82, v21 row_shr:1 row_mask:0xf bank_mask:0xf
	s_delay_alu instid0(VALU_DEP_1) | instskip(NEXT) | instid1(VALU_DEP_1)
	v_cndmask_b32_e64 v82, v82, 0, s9
	v_add_nc_u32_e32 v21, v82, v21
	s_delay_alu instid0(VALU_DEP_1) | instskip(NEXT) | instid1(VALU_DEP_1)
	v_mov_b32_dpp v82, v21 row_shr:2 row_mask:0xf bank_mask:0xf
	v_cndmask_b32_e64 v82, 0, v82, s10
	s_delay_alu instid0(VALU_DEP_1) | instskip(NEXT) | instid1(VALU_DEP_1)
	v_add_nc_u32_e32 v21, v21, v82
	v_mov_b32_dpp v82, v21 row_shr:4 row_mask:0xf bank_mask:0xf
	s_delay_alu instid0(VALU_DEP_1) | instskip(NEXT) | instid1(VALU_DEP_1)
	v_cndmask_b32_e64 v82, 0, v82, s11
	v_add_nc_u32_e32 v21, v21, v82
	flat_store_b32 v[32:33], v21
.LBB711_333:                            ;   in Loop: Header=BB711_325 Depth=1
	s_or_b32 exec_lo, exec_lo, s12
	v_mov_b32_e32 v21, 0
	s_waitcnt lgkmcnt(0)
	s_waitcnt_vscnt null, 0x0
	s_barrier
	buffer_gl0_inv
	s_and_saveexec_b32 s12, s6
	s_cbranch_execz .LBB711_335
; %bb.334:                              ;   in Loop: Header=BB711_325 Depth=1
	flat_load_b32 v21, v[34:35]
.LBB711_335:                            ;   in Loop: Header=BB711_325 Depth=1
	s_or_b32 exec_lo, exec_lo, s12
	s_waitcnt vmcnt(0) lgkmcnt(0)
	v_add_nc_u32_e32 v0, v21, v0
	v_add_nc_u32_e32 v10, 8, v10
	s_mov_b32 s14, -1
	ds_bpermute_b32 v0, v69, v0
	s_waitcnt lgkmcnt(0)
	v_cndmask_b32_e64 v0, v0, v21, s7
	s_delay_alu instid0(VALU_DEP_1) | instskip(NEXT) | instid1(VALU_DEP_1)
	v_cndmask_b32_e64 v21, v0, 0, s8
	v_add_nc_u32_e32 v22, v21, v22
	s_delay_alu instid0(VALU_DEP_1) | instskip(NEXT) | instid1(VALU_DEP_1)
	v_add_nc_u32_e32 v23, v22, v23
	v_add_nc_u32_e32 v24, v23, v24
	s_delay_alu instid0(VALU_DEP_1) | instskip(NEXT) | instid1(VALU_DEP_1)
	v_add_nc_u32_e32 v82, v24, v25
	v_add_nc_u32_e32 v83, v82, v18
	s_delay_alu instid0(VALU_DEP_1) | instskip(NEXT) | instid1(VALU_DEP_1)
	v_dual_mov_b32 v19, v1 :: v_dual_add_nc_u32 v84, v83, v19
	v_add_nc_u32_e32 v85, v84, v20
	s_clause 0x1
	flat_store_b128 v[4:5], v[21:24] offset:32
	flat_store_b128 v[8:9], v[82:85] offset:16
	s_waitcnt lgkmcnt(0)
	s_waitcnt_vscnt null, 0x0
	s_barrier
	buffer_gl0_inv
	s_clause 0x1
	flat_load_b32 v0, v[54:55]
	flat_load_b32 v18, v[64:65]
	s_waitcnt vmcnt(0) lgkmcnt(0)
	s_waitcnt_vscnt null, 0x0
                                        ; implicit-def: $vgpr22_vgpr23
                                        ; implicit-def: $vgpr24_vgpr25
	s_waitcnt vmcnt(1) lgkmcnt(1)
	v_add_nc_u32_e32 v0, v0, v71
	s_waitcnt vmcnt(0) lgkmcnt(0)
	v_add3_u32 v18, v81, v80, v18
	s_delay_alu instid0(VALU_DEP_2) | instskip(NEXT) | instid1(VALU_DEP_2)
	v_lshlrev_b64 v[20:21], 3, v[0:1]
	v_lshlrev_b64 v[18:19], 3, v[18:19]
	s_delay_alu instid0(VALU_DEP_2) | instskip(NEXT) | instid1(VALU_DEP_1)
	v_add_co_u32 v54, s13, v12, v20
	v_add_co_ci_u32_e64 v55, s13, v13, v21, s13
	s_delay_alu instid0(VALU_DEP_3) | instskip(NEXT) | instid1(VALU_DEP_1)
	v_add_co_u32 v64, s13, v12, v18
	v_add_co_ci_u32_e64 v65, s13, v13, v19, s13
	s_mov_b32 s13, exec_lo
                                        ; implicit-def: $vgpr20_vgpr21
                                        ; implicit-def: $vgpr18_vgpr19
	v_cmpx_lt_u32_e64 v10, v11
	s_cbranch_execz .LBB711_324
; %bb.336:                              ;   in Loop: Header=BB711_325 Depth=1
	s_barrier
	buffer_gl0_inv
	s_clause 0x1
	flat_store_b64 v[54:55], v[38:39]
	flat_store_b64 v[64:65], v[52:53]
	s_waitcnt lgkmcnt(0)
	s_waitcnt_vscnt null, 0x0
	s_barrier
	buffer_gl0_inv
	s_clause 0x1
	flat_load_b64 v[24:25], v[36:37]
	flat_load_b64 v[22:23], v[36:37] offset:256
	s_waitcnt vmcnt(0) lgkmcnt(0)
	s_barrier
	buffer_gl0_inv
	s_clause 0x1
	flat_store_b64 v[54:55], v[50:51]
	flat_store_b64 v[64:65], v[48:49]
	s_waitcnt lgkmcnt(0)
	s_waitcnt_vscnt null, 0x0
	s_barrier
	buffer_gl0_inv
	s_clause 0x1
	flat_load_b64 v[18:19], v[36:37]
	flat_load_b64 v[20:21], v[36:37] offset:256
	v_add_nc_u32_e32 v70, -8, v70
	s_xor_b32 s14, exec_lo, -1
	s_waitcnt vmcnt(0) lgkmcnt(0)
	s_barrier
	buffer_gl0_inv
	s_branch .LBB711_324
.LBB711_337:
	flat_load_b64 v[22:23], v[0:1]
	s_or_b32 exec_lo, exec_lo, s3
                                        ; implicit-def: $vgpr24_vgpr25
	s_and_saveexec_b32 s3, s0
	s_cbranch_execz .LBB711_264
.LBB711_338:
	flat_load_b64 v[24:25], v[0:1] offset:256
	s_or_b32 exec_lo, exec_lo, s3
                                        ; implicit-def: $vgpr80_vgpr81
	s_and_saveexec_b32 s0, s1
	s_cbranch_execz .LBB711_265
.LBB711_339:
	flat_load_b64 v[80:81], v[0:1] offset:512
	s_or_b32 exec_lo, exec_lo, s0
                                        ; implicit-def: $vgpr82_vgpr83
	s_and_saveexec_b32 s0, s2
	s_cbranch_execnz .LBB711_266
	s_branch .LBB711_267
.LBB711_340:
	flat_store_b64 v[2:3], v[10:11]
	s_or_b32 exec_lo, exec_lo, s3
	s_and_saveexec_b32 s3, s0
	s_cbranch_execz .LBB711_309
.LBB711_341:
	flat_store_b64 v[2:3], v[8:9] offset:2048
	s_or_b32 exec_lo, exec_lo, s3
	s_and_saveexec_b32 s0, s1
	s_cbranch_execz .LBB711_310
.LBB711_342:
	v_add_co_u32 v6, vcc_lo, 0x1000, v2
	v_add_co_ci_u32_e32 v7, vcc_lo, 0, v3, vcc_lo
	flat_store_b64 v[6:7], v[4:5]
	s_or_b32 exec_lo, exec_lo, s0
	s_and_saveexec_b32 s0, s2
	s_cbranch_execnz .LBB711_311
	s_branch .LBB711_312
.LBB711_343:
	s_or_b32 exec_lo, exec_lo, s16
	v_lshlrev_b32_e32 v0, 3, v26
	s_barrier
	buffer_gl0_inv
	s_clause 0x1
	flat_store_b64 v[54:55], v[38:39]
	flat_store_b64 v[64:65], v[52:53]
	v_add_co_u32 v0, vcc_lo, v12, v0
	v_add_co_ci_u32_e32 v1, vcc_lo, 0, v13, vcc_lo
	s_waitcnt lgkmcnt(0)
	s_waitcnt_vscnt null, 0x0
	s_barrier
	buffer_gl0_inv
	s_clause 0x1
	flat_load_b64 v[12:13], v[0:1]
	flat_load_b64 v[8:9], v[0:1] offset:2048
	s_waitcnt vmcnt(0) lgkmcnt(0)
	s_barrier
	buffer_gl0_inv
	s_clause 0x1
	flat_store_b64 v[54:55], v[50:51]
	flat_store_b64 v[64:65], v[48:49]
	s_waitcnt lgkmcnt(0)
	s_waitcnt_vscnt null, 0x0
	s_barrier
	buffer_gl0_inv
	s_clause 0x1
	flat_load_b64 v[4:5], v[0:1]
	flat_load_b64 v[0:1], v[0:1] offset:2048
	v_mov_b32_e32 v30, 0
	v_add_co_u32 v2, vcc_lo, v2, v27
	v_add_co_ci_u32_e32 v3, vcc_lo, v3, v28, vcc_lo
	s_delay_alu instid0(VALU_DEP_3)
	v_lshlrev_b64 v[10:11], 3, v[29:30]
	s_waitcnt vmcnt(0) lgkmcnt(0)
	s_barrier
	buffer_gl0_inv
	v_add_co_u32 v2, vcc_lo, v2, v10
	v_add_co_ci_u32_e32 v3, vcc_lo, v3, v11, vcc_lo
	v_cmp_lt_u32_e32 vcc_lo, v29, v47
	s_and_saveexec_b32 s0, vcc_lo
	s_cbranch_execz .LBB711_345
; %bb.344:
	v_xor_b32_e32 v13, 0x7fffffff, v13
	v_not_b32_e32 v12, v12
	flat_store_b64 v[2:3], v[12:13]
.LBB711_345:
	s_or_b32 exec_lo, exec_lo, s0
	v_add_nc_u32_e32 v12, 0x100, v29
	s_delay_alu instid0(VALU_DEP_1) | instskip(NEXT) | instid1(VALU_DEP_1)
	v_cmp_lt_u32_e64 s0, v12, v47
	s_and_saveexec_b32 s1, s0
	s_cbranch_execz .LBB711_347
; %bb.346:
	v_xor_b32_e32 v9, 0x7fffffff, v9
	v_not_b32_e32 v8, v8
	flat_store_b64 v[2:3], v[8:9] offset:2048
.LBB711_347:
	s_or_b32 exec_lo, exec_lo, s1
	v_add_co_u32 v2, s1, v6, v27
	s_delay_alu instid0(VALU_DEP_1) | instskip(NEXT) | instid1(VALU_DEP_2)
	v_add_co_ci_u32_e64 v3, s1, v7, v28, s1
	v_add_co_u32 v2, s1, v2, v10
	s_delay_alu instid0(VALU_DEP_1)
	v_add_co_ci_u32_e64 v3, s1, v3, v11, s1
	s_and_saveexec_b32 s1, vcc_lo
	s_cbranch_execz .LBB711_349
; %bb.348:
	flat_store_b64 v[2:3], v[4:5]
.LBB711_349:
	s_or_b32 exec_lo, exec_lo, s1
	s_and_saveexec_b32 s1, s0
	s_cbranch_execz .LBB711_351
; %bb.350:
	flat_store_b64 v[2:3], v[0:1] offset:2048
.LBB711_351:
	s_or_b32 exec_lo, exec_lo, s1
                                        ; implicit-def: $vgpr29_vgpr30
                                        ; implicit-def: $vgpr27_vgpr28
                                        ; implicit-def: $vgpr47
                                        ; implicit-def: $vgpr0
                                        ; implicit-def: $vgpr1
                                        ; implicit-def: $vgpr2
                                        ; implicit-def: $vgpr3
                                        ; implicit-def: $vgpr4
                                        ; implicit-def: $vgpr5
                                        ; implicit-def: $vgpr6
                                        ; implicit-def: $vgpr7
                                        ; implicit-def: $vgpr10
                                        ; implicit-def: $vgpr11
                                        ; implicit-def: $vgpr12
                                        ; implicit-def: $vgpr13
                                        ; implicit-def: $vgpr26
                                        ; implicit-def: $vgpr96
.LBB711_352:
	s_and_not1_saveexec_b32 s0, s15
	s_cbranch_execz .LBB711_372
; %bb.353:
	s_delay_alu instid0(VALU_DEP_3) | instskip(SKIP_2) | instid1(VALU_DEP_3)
	v_and_b32_e32 v8, 0xffffffe0, v29
	v_mov_b32_e32 v20, -1
	v_dual_mov_b32 v21, -1 :: v_dual_lshlrev_b32 v14, 3, v96
	v_or_b32_e32 v9, v96, v8
	s_delay_alu instid0(VALU_DEP_1)
	v_cmp_lt_u32_e32 vcc_lo, v9, v47
	s_and_saveexec_b32 s1, vcc_lo
	s_cbranch_execz .LBB711_355
; %bb.354:
	v_mov_b32_e32 v9, 0
	v_add_co_u32 v15, s0, v0, v27
	s_delay_alu instid0(VALU_DEP_1) | instskip(NEXT) | instid1(VALU_DEP_3)
	v_add_co_ci_u32_e64 v16, s0, v1, v28, s0
	v_lshlrev_b64 v[0:1], 3, v[8:9]
	s_delay_alu instid0(VALU_DEP_3) | instskip(NEXT) | instid1(VALU_DEP_1)
	v_add_co_u32 v9, s0, v15, v14
	v_add_co_ci_u32_e64 v15, s0, 0, v16, s0
	s_delay_alu instid0(VALU_DEP_2) | instskip(NEXT) | instid1(VALU_DEP_1)
	v_add_co_u32 v0, s0, v9, v0
	v_add_co_ci_u32_e64 v1, s0, v15, v1, s0
	flat_load_b64 v[0:1], v[0:1]
	s_waitcnt vmcnt(0) lgkmcnt(0)
	v_xor_b32_e32 v21, 0x7fffffff, v1
	v_not_b32_e32 v20, v0
.LBB711_355:
	s_or_b32 exec_lo, exec_lo, s1
                                        ; implicit-def: $vgpr18_vgpr19
	s_and_saveexec_b32 s0, vcc_lo
	s_cbranch_execz .LBB711_357
; %bb.356:
	v_mov_b32_e32 v9, 0
	v_add_co_u32 v4, vcc_lo, v4, v27
	v_add_co_ci_u32_e32 v5, vcc_lo, v5, v28, vcc_lo
	s_delay_alu instid0(VALU_DEP_3) | instskip(NEXT) | instid1(VALU_DEP_3)
	v_lshlrev_b64 v[0:1], 3, v[8:9]
	v_add_co_u32 v4, vcc_lo, v4, v14
	s_delay_alu instid0(VALU_DEP_3) | instskip(NEXT) | instid1(VALU_DEP_2)
	v_add_co_ci_u32_e32 v5, vcc_lo, 0, v5, vcc_lo
	v_add_co_u32 v0, vcc_lo, v4, v0
	s_delay_alu instid0(VALU_DEP_2)
	v_add_co_ci_u32_e32 v1, vcc_lo, v5, v1, vcc_lo
	flat_load_b64 v[18:19], v[0:1]
.LBB711_357:
	s_or_b32 exec_lo, exec_lo, s0
	v_dual_mov_b32 v1, 0 :: v_dual_lshlrev_b32 v0, 5, v26
	s_mov_b32 s16, 0
	v_add_co_u32 v52, vcc_lo, v12, 32
	s_mov_b32 s17, s16
	s_mov_b32 s18, s16
	s_mov_b32 s19, s16
	v_and_b32_e32 v15, 0x3e0, v26
	v_add_co_ci_u32_e32 v53, vcc_lo, 0, v13, vcc_lo
	v_add_co_u32 v4, vcc_lo, v12, v0
	v_add_co_ci_u32_e32 v5, vcc_lo, 0, v13, vcc_lo
	v_add_co_u32 v8, vcc_lo, v52, v0
	v_min_u32_e32 v0, 0xe0, v15
	v_and_b32_e32 v16, 16, v96
	v_add_nc_u32_e32 v17, -1, v96
	v_and_b32_e32 v14, 15, v96
	s_getpc_b64 s[0:1]
	s_add_u32 s0, s0, _ZN7rocprim17ROCPRIM_400000_NS16block_radix_sortIlLj256ELj1ElLj1ELj1ELj8ELNS0_26block_radix_rank_algorithmE2ELNS0_18block_padding_hintE2ELNS0_4arch9wavefront6targetE0EE19radix_bits_per_passE@rel32@lo+4
	s_addc_u32 s1, s1, _ZN7rocprim17ROCPRIM_400000_NS16block_radix_sortIlLj256ELj1ElLj1ELj1ELj8ELNS0_26block_radix_rank_algorithmE2ELNS0_18block_padding_hintE2ELNS0_4arch9wavefront6targetE0EE19radix_bits_per_passE@rel32@hi+12
	v_or_b32_e32 v0, 31, v0
	v_cmp_eq_u32_e64 s3, 0, v16
	v_cmp_gt_i32_e64 s4, 0, v17
	v_lshrrev_b32_e32 v16, 5, v26
	v_add_co_ci_u32_e32 v9, vcc_lo, 0, v53, vcc_lo
	s_load_b32 s15, s[0:1], 0x0
	v_cmp_eq_u32_e32 vcc_lo, 0, v14
	v_cmp_lt_u32_e64 s0, 1, v14
	v_cmp_lt_u32_e64 s1, 3, v14
	;; [unrolled: 1-line block ×3, first 2 shown]
	v_cndmask_b32_e64 v14, v17, v96, s4
	v_cmp_eq_u32_e64 s4, v0, v26
	v_lshlrev_b32_e32 v0, 2, v16
	v_and_b32_e32 v17, 7, v96
	v_lshrrev_b32_e32 v54, 5, v29
	v_lshlrev_b32_e32 v55, 2, v14
	v_lshlrev_b32_e32 v14, 2, v26
	v_add_co_u32 v30, s9, v12, v0
	v_add_nc_u32_e32 v0, -1, v16
	v_add_co_ci_u32_e64 v31, s9, 0, v13, s9
	v_or_b32_e32 v16, v96, v15
	v_add_co_u32 v32, s9, v12, v14
	s_delay_alu instid0(VALU_DEP_4) | instskip(SKIP_1) | instid1(VALU_DEP_4)
	v_lshlrev_b64 v[14:15], 2, v[0:1]
	v_add_co_ci_u32_e64 v33, s9, 0, v13, s9
	v_lshlrev_b32_e32 v0, 3, v16
	v_cmp_eq_u32_e64 s9, 0, v17
	v_cmp_lt_u32_e64 s10, 1, v17
	v_add_co_u32 v34, s12, v12, v14
	s_delay_alu instid0(VALU_DEP_1)
	v_add_co_ci_u32_e64 v35, s12, v13, v15, s12
	v_add_co_u32 v36, s12, v12, v0
	v_cmp_lt_u32_e64 s11, 3, v17
	v_mov_b32_e32 v14, s16
	v_cmp_gt_u32_e64 s5, 8, v26
	v_cmp_lt_u32_e64 s6, 31, v26
	v_cmp_eq_u32_e64 s7, 0, v96
	v_cmp_eq_u32_e64 s8, 0, v26
	v_add_co_ci_u32_e64 v37, s12, 0, v13, s12
	v_sub_nc_u32_e32 v64, v11, v10
	v_dual_mov_b32 v15, s17 :: v_dual_mov_b32 v16, s18
	v_mov_b32_e32 v17, s19
	s_waitcnt vmcnt(0) lgkmcnt(0)
	s_waitcnt_vscnt null, 0x0
	s_barrier
	buffer_gl0_inv
	s_branch .LBB711_359
.LBB711_358:                            ;   in Loop: Header=BB711_359 Depth=1
	s_or_b32 exec_lo, exec_lo, s13
	s_delay_alu instid0(SALU_CYCLE_1) | instskip(NEXT) | instid1(SALU_CYCLE_1)
	s_and_b32 s12, exec_lo, s14
	s_or_b32 s16, s12, s16
	s_delay_alu instid0(SALU_CYCLE_1)
	s_and_not1_b32 exec_lo, exec_lo, s16
	s_cbranch_execz .LBB711_369
.LBB711_359:                            ; =>This Inner Loop Header: Depth=1
	v_dual_mov_b32 v39, v21 :: v_dual_mov_b32 v38, v20
	v_min_u32_e32 v0, s15, v64
	s_clause 0x1
	flat_store_b128 v[4:5], v[14:17] offset:32
	flat_store_b128 v[8:9], v[14:17] offset:16
	s_waitcnt lgkmcnt(0)
	s_waitcnt_vscnt null, 0x0
	s_barrier
	v_lshrrev_b64 v[20:21], v10, v[38:39]
	buffer_gl0_inv
	; wave barrier
	v_bfe_u32 v0, v20, 0, v0
	s_delay_alu instid0(VALU_DEP_1)
	v_and_b32_e32 v20, 1, v0
	v_lshlrev_b32_e32 v21, 30, v0
	v_lshlrev_b32_e32 v22, 29, v0
	v_lshlrev_b32_e32 v23, 28, v0
	v_lshlrev_b32_e32 v25, 27, v0
	v_add_co_u32 v20, s12, v20, -1
	s_delay_alu instid0(VALU_DEP_1)
	v_cndmask_b32_e64 v24, 0, 1, s12
	v_not_b32_e32 v50, v21
	v_cmp_gt_i32_e64 s13, 0, v21
	v_not_b32_e32 v21, v22
	v_lshlrev_b32_e32 v48, 26, v0
	v_cmp_ne_u32_e64 s12, 0, v24
	v_ashrrev_i32_e32 v50, 31, v50
	v_lshlrev_b32_e32 v49, 25, v0
	v_ashrrev_i32_e32 v21, 31, v21
	v_lshlrev_b32_e32 v24, 24, v0
	v_xor_b32_e32 v20, s12, v20
	v_cmp_gt_i32_e64 s12, 0, v22
	v_not_b32_e32 v22, v23
	v_xor_b32_e32 v50, s13, v50
	v_cmp_gt_i32_e64 s13, 0, v23
	v_and_b32_e32 v20, exec_lo, v20
	v_not_b32_e32 v23, v25
	v_ashrrev_i32_e32 v22, 31, v22
	v_xor_b32_e32 v21, s12, v21
	v_cmp_gt_i32_e64 s12, 0, v25
	v_and_b32_e32 v20, v20, v50
	v_not_b32_e32 v25, v48
	v_ashrrev_i32_e32 v23, 31, v23
	v_xor_b32_e32 v22, s13, v22
	v_cmp_gt_i32_e64 s13, 0, v48
	v_and_b32_e32 v20, v20, v21
	;; [unrolled: 5-line block ×4, first 2 shown]
	v_ashrrev_i32_e32 v22, 31, v22
	v_xor_b32_e32 v21, s12, v21
	v_lshl_add_u32 v0, v0, 3, v54
	v_dual_mov_b32 v49, v19 :: v_dual_mov_b32 v48, v18
	v_and_b32_e32 v20, v20, v25
	v_xor_b32_e32 v22, s13, v22
	s_delay_alu instid0(VALU_DEP_4) | instskip(NEXT) | instid1(VALU_DEP_3)
	v_lshlrev_b64 v[18:19], 2, v[0:1]
	v_and_b32_e32 v20, v20, v21
	s_delay_alu instid0(VALU_DEP_2) | instskip(NEXT) | instid1(VALU_DEP_2)
	v_add_co_u32 v50, s14, v52, v18
	v_and_b32_e32 v20, v20, v22
	s_delay_alu instid0(VALU_DEP_4) | instskip(NEXT) | instid1(VALU_DEP_2)
	v_add_co_ci_u32_e64 v51, s14, v53, v19, s14
	v_mbcnt_lo_u32_b32 v65, v20, 0
	v_cmp_ne_u32_e64 s12, 0, v20
	s_delay_alu instid0(VALU_DEP_2) | instskip(NEXT) | instid1(VALU_DEP_1)
	v_cmp_eq_u32_e64 s13, 0, v65
	s_and_b32 s13, s12, s13
	s_delay_alu instid0(SALU_CYCLE_1)
	s_and_saveexec_b32 s12, s13
	s_cbranch_execz .LBB711_361
; %bb.360:                              ;   in Loop: Header=BB711_359 Depth=1
	v_bcnt_u32_b32 v0, v20, 0
	flat_store_b32 v[50:51], v0
.LBB711_361:                            ;   in Loop: Header=BB711_359 Depth=1
	s_or_b32 exec_lo, exec_lo, s12
	; wave barrier
	s_waitcnt lgkmcnt(0)
	s_waitcnt_vscnt null, 0x0
	s_barrier
	buffer_gl0_inv
	s_clause 0x1
	flat_load_b128 v[22:25], v[4:5] offset:32
	flat_load_b128 v[18:21], v[8:9] offset:16
	s_waitcnt vmcnt(1) lgkmcnt(1)
	v_add_nc_u32_e32 v0, v23, v22
	s_delay_alu instid0(VALU_DEP_1) | instskip(SKIP_1) | instid1(VALU_DEP_1)
	v_add3_u32 v0, v0, v24, v25
	s_waitcnt vmcnt(0) lgkmcnt(0)
	v_add3_u32 v0, v0, v18, v19
	s_delay_alu instid0(VALU_DEP_1) | instskip(NEXT) | instid1(VALU_DEP_1)
	v_add3_u32 v0, v0, v20, v21
	v_mov_b32_dpp v21, v0 row_shr:1 row_mask:0xf bank_mask:0xf
	s_delay_alu instid0(VALU_DEP_1) | instskip(NEXT) | instid1(VALU_DEP_1)
	v_cndmask_b32_e64 v21, v21, 0, vcc_lo
	v_add_nc_u32_e32 v0, v21, v0
	s_delay_alu instid0(VALU_DEP_1) | instskip(NEXT) | instid1(VALU_DEP_1)
	v_mov_b32_dpp v21, v0 row_shr:2 row_mask:0xf bank_mask:0xf
	v_cndmask_b32_e64 v21, 0, v21, s0
	s_delay_alu instid0(VALU_DEP_1) | instskip(NEXT) | instid1(VALU_DEP_1)
	v_add_nc_u32_e32 v0, v0, v21
	v_mov_b32_dpp v21, v0 row_shr:4 row_mask:0xf bank_mask:0xf
	s_delay_alu instid0(VALU_DEP_1) | instskip(NEXT) | instid1(VALU_DEP_1)
	v_cndmask_b32_e64 v21, 0, v21, s1
	v_add_nc_u32_e32 v0, v0, v21
	s_delay_alu instid0(VALU_DEP_1) | instskip(NEXT) | instid1(VALU_DEP_1)
	v_mov_b32_dpp v21, v0 row_shr:8 row_mask:0xf bank_mask:0xf
	v_cndmask_b32_e64 v21, 0, v21, s2
	s_delay_alu instid0(VALU_DEP_1) | instskip(SKIP_3) | instid1(VALU_DEP_1)
	v_add_nc_u32_e32 v0, v0, v21
	ds_swizzle_b32 v21, v0 offset:swizzle(BROADCAST,32,15)
	s_waitcnt lgkmcnt(0)
	v_cndmask_b32_e64 v21, v21, 0, s3
	v_add_nc_u32_e32 v0, v0, v21
	s_and_saveexec_b32 s12, s4
	s_cbranch_execz .LBB711_363
; %bb.362:                              ;   in Loop: Header=BB711_359 Depth=1
	flat_store_b32 v[30:31], v0
.LBB711_363:                            ;   in Loop: Header=BB711_359 Depth=1
	s_or_b32 exec_lo, exec_lo, s12
	s_waitcnt lgkmcnt(0)
	s_waitcnt_vscnt null, 0x0
	s_barrier
	buffer_gl0_inv
	s_and_saveexec_b32 s12, s5
	s_cbranch_execz .LBB711_365
; %bb.364:                              ;   in Loop: Header=BB711_359 Depth=1
	flat_load_b32 v21, v[32:33]
	s_waitcnt vmcnt(0) lgkmcnt(0)
	v_mov_b32_dpp v66, v21 row_shr:1 row_mask:0xf bank_mask:0xf
	s_delay_alu instid0(VALU_DEP_1) | instskip(NEXT) | instid1(VALU_DEP_1)
	v_cndmask_b32_e64 v66, v66, 0, s9
	v_add_nc_u32_e32 v21, v66, v21
	s_delay_alu instid0(VALU_DEP_1) | instskip(NEXT) | instid1(VALU_DEP_1)
	v_mov_b32_dpp v66, v21 row_shr:2 row_mask:0xf bank_mask:0xf
	v_cndmask_b32_e64 v66, 0, v66, s10
	s_delay_alu instid0(VALU_DEP_1) | instskip(NEXT) | instid1(VALU_DEP_1)
	v_add_nc_u32_e32 v21, v21, v66
	v_mov_b32_dpp v66, v21 row_shr:4 row_mask:0xf bank_mask:0xf
	s_delay_alu instid0(VALU_DEP_1) | instskip(NEXT) | instid1(VALU_DEP_1)
	v_cndmask_b32_e64 v66, 0, v66, s11
	v_add_nc_u32_e32 v21, v21, v66
	flat_store_b32 v[32:33], v21
.LBB711_365:                            ;   in Loop: Header=BB711_359 Depth=1
	s_or_b32 exec_lo, exec_lo, s12
	v_mov_b32_e32 v21, 0
	s_waitcnt lgkmcnt(0)
	s_waitcnt_vscnt null, 0x0
	s_barrier
	buffer_gl0_inv
	s_and_saveexec_b32 s12, s6
	s_cbranch_execz .LBB711_367
; %bb.366:                              ;   in Loop: Header=BB711_359 Depth=1
	flat_load_b32 v21, v[34:35]
.LBB711_367:                            ;   in Loop: Header=BB711_359 Depth=1
	s_or_b32 exec_lo, exec_lo, s12
	s_waitcnt vmcnt(0) lgkmcnt(0)
	v_add_nc_u32_e32 v0, v21, v0
	v_add_nc_u32_e32 v10, 8, v10
	s_mov_b32 s14, -1
	ds_bpermute_b32 v0, v55, v0
	s_waitcnt lgkmcnt(0)
	v_cndmask_b32_e64 v0, v0, v21, s7
	s_delay_alu instid0(VALU_DEP_1) | instskip(NEXT) | instid1(VALU_DEP_1)
	v_cndmask_b32_e64 v21, v0, 0, s8
	v_add_nc_u32_e32 v22, v21, v22
	s_delay_alu instid0(VALU_DEP_1) | instskip(NEXT) | instid1(VALU_DEP_1)
	v_add_nc_u32_e32 v23, v22, v23
	v_add_nc_u32_e32 v24, v23, v24
	s_delay_alu instid0(VALU_DEP_1) | instskip(NEXT) | instid1(VALU_DEP_1)
	v_add_nc_u32_e32 v66, v24, v25
	;; [unrolled: 3-line block ×3, first 2 shown]
	v_add_nc_u32_e32 v69, v68, v20
	s_clause 0x1
	flat_store_b128 v[4:5], v[21:24] offset:32
	flat_store_b128 v[8:9], v[66:69] offset:16
	s_waitcnt lgkmcnt(0)
	s_waitcnt_vscnt null, 0x0
	s_barrier
	buffer_gl0_inv
	flat_load_b32 v0, v[50:51]
	s_waitcnt vmcnt(0) lgkmcnt(0)
	s_waitcnt_vscnt null, 0x0
                                        ; implicit-def: $vgpr20_vgpr21
	s_waitcnt vmcnt(0) lgkmcnt(0)
	v_add_nc_u32_e32 v0, v0, v65
	s_delay_alu instid0(VALU_DEP_1) | instskip(NEXT) | instid1(VALU_DEP_1)
	v_lshlrev_b64 v[18:19], 3, v[0:1]
	v_add_co_u32 v22, s13, v12, v18
	s_delay_alu instid0(VALU_DEP_1)
	v_add_co_ci_u32_e64 v23, s13, v13, v19, s13
	s_mov_b32 s13, exec_lo
                                        ; implicit-def: $vgpr18_vgpr19
	v_cmpx_lt_u32_e64 v10, v11
	s_cbranch_execz .LBB711_358
; %bb.368:                              ;   in Loop: Header=BB711_359 Depth=1
	s_barrier
	buffer_gl0_inv
	flat_store_b64 v[22:23], v[38:39]
	s_waitcnt lgkmcnt(0)
	s_waitcnt_vscnt null, 0x0
	s_barrier
	buffer_gl0_inv
	flat_load_b64 v[20:21], v[36:37]
	s_waitcnt vmcnt(0) lgkmcnt(0)
	s_barrier
	buffer_gl0_inv
	flat_store_b64 v[22:23], v[48:49]
	s_waitcnt lgkmcnt(0)
	s_waitcnt_vscnt null, 0x0
	s_barrier
	buffer_gl0_inv
	flat_load_b64 v[18:19], v[36:37]
	v_add_nc_u32_e32 v64, -8, v64
	s_xor_b32 s14, exec_lo, -1
	s_waitcnt vmcnt(0) lgkmcnt(0)
	s_barrier
	buffer_gl0_inv
	s_branch .LBB711_358
.LBB711_369:
	s_or_b32 exec_lo, exec_lo, s16
	v_lshlrev_b32_e32 v0, 3, v26
	s_barrier
	buffer_gl0_inv
	flat_store_b64 v[22:23], v[38:39]
	s_waitcnt lgkmcnt(0)
	s_waitcnt_vscnt null, 0x0
	v_add_co_u32 v4, vcc_lo, v12, v0
	v_add_co_ci_u32_e32 v5, vcc_lo, 0, v13, vcc_lo
	s_barrier
	buffer_gl0_inv
	v_mov_b32_e32 v30, 0
	flat_load_b64 v[0:1], v[4:5]
	s_waitcnt vmcnt(0) lgkmcnt(0)
	s_barrier
	buffer_gl0_inv
	flat_store_b64 v[22:23], v[48:49]
	s_waitcnt lgkmcnt(0)
	s_waitcnt_vscnt null, 0x0
	s_barrier
	buffer_gl0_inv
	flat_load_b64 v[4:5], v[4:5]
	s_mov_b32 s0, exec_lo
	s_waitcnt vmcnt(0) lgkmcnt(0)
	s_barrier
	buffer_gl0_inv
	v_cmpx_lt_u32_e64 v29, v47
	s_cbranch_execz .LBB711_371
; %bb.370:
	v_lshlrev_b64 v[8:9], 3, v[29:30]
	v_add_co_u32 v2, vcc_lo, v2, v27
	v_add_co_ci_u32_e32 v3, vcc_lo, v3, v28, vcc_lo
	v_xor_b32_e32 v1, 0x7fffffff, v1
	s_delay_alu instid0(VALU_DEP_3) | instskip(NEXT) | instid1(VALU_DEP_3)
	v_add_co_u32 v2, vcc_lo, v2, v8
	v_add_co_ci_u32_e32 v3, vcc_lo, v3, v9, vcc_lo
	v_add_co_u32 v6, vcc_lo, v6, v27
	v_add_co_ci_u32_e32 v7, vcc_lo, v7, v28, vcc_lo
	v_not_b32_e32 v0, v0
	s_delay_alu instid0(VALU_DEP_3) | instskip(NEXT) | instid1(VALU_DEP_3)
	v_add_co_u32 v6, vcc_lo, v6, v8
	v_add_co_ci_u32_e32 v7, vcc_lo, v7, v9, vcc_lo
	flat_store_b64 v[2:3], v[0:1]
	flat_store_b64 v[6:7], v[4:5]
.LBB711_371:
	s_or_b32 exec_lo, exec_lo, s0
.LBB711_372:
	s_delay_alu instid0(SALU_CYCLE_1)
	s_or_b32 exec_lo, exec_lo, s24
	s_clause 0x1f
	scratch_load_b32 v127, off, s32
	scratch_load_b32 v126, off, s32 offset:4
	scratch_load_b32 v125, off, s32 offset:8
	;; [unrolled: 1-line block ×31, first 2 shown]
	s_clause 0xf
	scratch_load_b32 v63, off, s32 offset:128
	scratch_load_b32 v62, off, s32 offset:132
	;; [unrolled: 1-line block ×16, first 2 shown]
	v_readlane_b32 s43, v136, 7
	v_readlane_b32 s42, v136, 6
	;; [unrolled: 1-line block ×8, first 2 shown]
	s_or_saveexec_b32 s0, -1
	scratch_load_b32 v136, off, s32 offset:192 ; 4-byte Folded Reload
	s_mov_b32 exec_lo, s0
	s_waitcnt vmcnt(0) lgkmcnt(0)
	s_setpc_b64 s[30:31]
.Lfunc_end711:
	.size	_ZN7rocprim17ROCPRIM_400000_NS6detail40segmented_radix_sort_single_block_helperIllLj256ELj16ELb1EE4sortIPKlPlS6_S7_EEbT_T0_T1_T2_jjjjRNS3_12storage_typeE, .Lfunc_end711-_ZN7rocprim17ROCPRIM_400000_NS6detail40segmented_radix_sort_single_block_helperIllLj256ELj16ELb1EE4sortIPKlPlS6_S7_EEbT_T0_T1_T2_jjjjRNS3_12storage_typeE
                                        ; -- End function
	.section	.AMDGPU.csdata,"",@progbits
; Function info:
; codeLenInByte = 32228
; NumSgprs: 46
; NumVgprs: 248
; ScratchSize: 200
; MemoryBound: 1
	.section	.text._ZN7rocprim17ROCPRIM_400000_NS6detail17trampoline_kernelINS0_14default_configENS1_36segmented_radix_sort_config_selectorIllEEZNS1_25segmented_radix_sort_implIS3_Lb1EPKlPlS8_S9_N2at6native12_GLOBAL__N_18offset_tEEE10hipError_tPvRmT1_PNSt15iterator_traitsISH_E10value_typeET2_T3_PNSI_ISN_E10value_typeET4_jRbjT5_ST_jjP12ihipStream_tbEUlT_E_NS1_11comp_targetILNS1_3genE9ELNS1_11target_archE1100ELNS1_3gpuE3ELNS1_3repE0EEENS1_30default_config_static_selectorELNS0_4arch9wavefront6targetE0EEEvSH_,"axG",@progbits,_ZN7rocprim17ROCPRIM_400000_NS6detail17trampoline_kernelINS0_14default_configENS1_36segmented_radix_sort_config_selectorIllEEZNS1_25segmented_radix_sort_implIS3_Lb1EPKlPlS8_S9_N2at6native12_GLOBAL__N_18offset_tEEE10hipError_tPvRmT1_PNSt15iterator_traitsISH_E10value_typeET2_T3_PNSI_ISN_E10value_typeET4_jRbjT5_ST_jjP12ihipStream_tbEUlT_E_NS1_11comp_targetILNS1_3genE9ELNS1_11target_archE1100ELNS1_3gpuE3ELNS1_3repE0EEENS1_30default_config_static_selectorELNS0_4arch9wavefront6targetE0EEEvSH_,comdat
	.globl	_ZN7rocprim17ROCPRIM_400000_NS6detail17trampoline_kernelINS0_14default_configENS1_36segmented_radix_sort_config_selectorIllEEZNS1_25segmented_radix_sort_implIS3_Lb1EPKlPlS8_S9_N2at6native12_GLOBAL__N_18offset_tEEE10hipError_tPvRmT1_PNSt15iterator_traitsISH_E10value_typeET2_T3_PNSI_ISN_E10value_typeET4_jRbjT5_ST_jjP12ihipStream_tbEUlT_E_NS1_11comp_targetILNS1_3genE9ELNS1_11target_archE1100ELNS1_3gpuE3ELNS1_3repE0EEENS1_30default_config_static_selectorELNS0_4arch9wavefront6targetE0EEEvSH_ ; -- Begin function _ZN7rocprim17ROCPRIM_400000_NS6detail17trampoline_kernelINS0_14default_configENS1_36segmented_radix_sort_config_selectorIllEEZNS1_25segmented_radix_sort_implIS3_Lb1EPKlPlS8_S9_N2at6native12_GLOBAL__N_18offset_tEEE10hipError_tPvRmT1_PNSt15iterator_traitsISH_E10value_typeET2_T3_PNSI_ISN_E10value_typeET4_jRbjT5_ST_jjP12ihipStream_tbEUlT_E_NS1_11comp_targetILNS1_3genE9ELNS1_11target_archE1100ELNS1_3gpuE3ELNS1_3repE0EEENS1_30default_config_static_selectorELNS0_4arch9wavefront6targetE0EEEvSH_
	.p2align	8
	.type	_ZN7rocprim17ROCPRIM_400000_NS6detail17trampoline_kernelINS0_14default_configENS1_36segmented_radix_sort_config_selectorIllEEZNS1_25segmented_radix_sort_implIS3_Lb1EPKlPlS8_S9_N2at6native12_GLOBAL__N_18offset_tEEE10hipError_tPvRmT1_PNSt15iterator_traitsISH_E10value_typeET2_T3_PNSI_ISN_E10value_typeET4_jRbjT5_ST_jjP12ihipStream_tbEUlT_E_NS1_11comp_targetILNS1_3genE9ELNS1_11target_archE1100ELNS1_3gpuE3ELNS1_3repE0EEENS1_30default_config_static_selectorELNS0_4arch9wavefront6targetE0EEEvSH_,@function
_ZN7rocprim17ROCPRIM_400000_NS6detail17trampoline_kernelINS0_14default_configENS1_36segmented_radix_sort_config_selectorIllEEZNS1_25segmented_radix_sort_implIS3_Lb1EPKlPlS8_S9_N2at6native12_GLOBAL__N_18offset_tEEE10hipError_tPvRmT1_PNSt15iterator_traitsISH_E10value_typeET2_T3_PNSI_ISN_E10value_typeET4_jRbjT5_ST_jjP12ihipStream_tbEUlT_E_NS1_11comp_targetILNS1_3genE9ELNS1_11target_archE1100ELNS1_3gpuE3ELNS1_3repE0EEENS1_30default_config_static_selectorELNS0_4arch9wavefront6targetE0EEEvSH_: ; @_ZN7rocprim17ROCPRIM_400000_NS6detail17trampoline_kernelINS0_14default_configENS1_36segmented_radix_sort_config_selectorIllEEZNS1_25segmented_radix_sort_implIS3_Lb1EPKlPlS8_S9_N2at6native12_GLOBAL__N_18offset_tEEE10hipError_tPvRmT1_PNSt15iterator_traitsISH_E10value_typeET2_T3_PNSI_ISN_E10value_typeET4_jRbjT5_ST_jjP12ihipStream_tbEUlT_E_NS1_11comp_targetILNS1_3genE9ELNS1_11target_archE1100ELNS1_3gpuE3ELNS1_3repE0EEENS1_30default_config_static_selectorELNS0_4arch9wavefront6targetE0EEEvSH_
; %bb.0:
	s_clause 0x1
	s_load_b64 s[2:3], s[0:1], 0x38
	s_load_b128 s[4:7], s[0:1], 0x40
	s_mov_b32 s28, s14
	s_mov_b32 s29, 0
	;; [unrolled: 1-line block ×3, first 2 shown]
	s_lshl_b64 s[8:9], s[28:29], 2
	s_waitcnt lgkmcnt(0)
	s_add_u32 s2, s2, s8
	s_addc_u32 s3, s3, s9
	s_load_b32 s2, s[2:3], 0x0
	s_waitcnt lgkmcnt(0)
	s_add_i32 s60, s2, s5
	s_add_i32 s61, s2, s7
	s_mul_i32 s60, s60, s4
	s_mul_i32 s61, s61, s6
	s_delay_alu instid0(SALU_CYCLE_1)
	s_cmp_le_u32 s61, s60
	s_cbranch_scc1 .LBB712_1190
; %bb.1:
	s_clause 0x3
	s_load_b32 s2, s[0:1], 0x30
	s_load_b128 s[52:55], s[0:1], 0x20
	s_load_b128 s[56:59], s[0:1], 0x50
	s_load_b256 s[44:51], s[0:1], 0x0
	s_waitcnt lgkmcnt(0)
	s_bitcmp1_b32 s2, 0
	s_mov_b32 s2, -1
	s_cselect_b32 s59, -1, 0
	s_sub_i32 s62, s61, s60
	s_delay_alu instid0(SALU_CYCLE_1)
	s_cmpk_lt_u32 s62, 0x1001
	s_cbranch_scc0 .LBB712_7
; %bb.2:
	v_cndmask_b32_e64 v1, 0, 1, s59
	s_and_b32 s2, s56, 1
	s_delay_alu instid0(VALU_DEP_1) | instid1(SALU_CYCLE_1)
	v_cmp_ne_u32_e32 vcc_lo, s2, v1
	s_mov_b32 s2, -1
	s_cbranch_vccnz .LBB712_4
; %bb.3:
	s_mov_b64 s[2:3], src_shared_base
	v_mov_b32_e32 v31, v0
	v_dual_mov_b32 v40, v0 :: v_dual_mov_b32 v1, s45
	v_mov_b32_e32 v0, s44
	v_dual_mov_b32 v2, s48 :: v_dual_mov_b32 v3, s49
	v_dual_mov_b32 v4, s50 :: v_dual_mov_b32 v5, s51
	v_dual_mov_b32 v6, s54 :: v_dual_mov_b32 v7, s55
	v_dual_mov_b32 v8, s60 :: v_dual_mov_b32 v9, s61
	v_dual_mov_b32 v10, s57 :: v_dual_mov_b32 v11, s58
	v_dual_mov_b32 v12, 0 :: v_dual_mov_b32 v13, s3
	s_add_u32 s8, s0, 0x60
	s_addc_u32 s9, s1, 0
	s_mov_b32 s12, s28
	s_mov_b32 s13, s15
	s_getpc_b64 s[4:5]
	s_add_u32 s4, s4, _ZN7rocprim17ROCPRIM_400000_NS6detail40segmented_radix_sort_single_block_helperIllLj256ELj16ELb1EE4sortIPKlPlS6_S7_EEbT_T0_T1_T2_jjjjRNS3_12storage_typeE@rel32@lo+4
	s_addc_u32 s5, s5, _ZN7rocprim17ROCPRIM_400000_NS6detail40segmented_radix_sort_single_block_helperIllLj256ELj16ELb1EE4sortIPKlPlS6_S7_EEbT_T0_T1_T2_jjjjRNS3_12storage_typeE@rel32@hi+12
	s_mov_b64 s[34:35], s[0:1]
	s_mov_b32 s27, s15
	s_swappc_b64 s[30:31], s[4:5]
	v_mov_b32_e32 v0, v40
	s_mov_b32 s15, s27
	s_mov_b64 s[0:1], s[34:35]
	s_mov_b32 s2, 0
.LBB712_4:
	s_delay_alu instid0(SALU_CYCLE_1)
	s_and_not1_b32 vcc_lo, exec_lo, s2
	s_cbranch_vccnz .LBB712_6
; %bb.5:
	s_mov_b64 s[2:3], src_shared_base
	v_mov_b32_e32 v31, v0
	v_dual_mov_b32 v40, v0 :: v_dual_mov_b32 v1, s45
	v_mov_b32_e32 v0, s44
	v_dual_mov_b32 v2, s46 :: v_dual_mov_b32 v3, s47
	v_dual_mov_b32 v4, s50 :: v_dual_mov_b32 v5, s51
	;; [unrolled: 1-line block ×6, first 2 shown]
	s_add_u32 s8, s0, 0x60
	s_addc_u32 s9, s1, 0
	s_mov_b32 s12, s28
	s_mov_b32 s13, s15
	s_getpc_b64 s[4:5]
	s_add_u32 s4, s4, _ZN7rocprim17ROCPRIM_400000_NS6detail40segmented_radix_sort_single_block_helperIllLj256ELj16ELb1EE4sortIPKlPlS6_S7_EEbT_T0_T1_T2_jjjjRNS3_12storage_typeE@rel32@lo+4
	s_addc_u32 s5, s5, _ZN7rocprim17ROCPRIM_400000_NS6detail40segmented_radix_sort_single_block_helperIllLj256ELj16ELb1EE4sortIPKlPlS6_S7_EEbT_T0_T1_T2_jjjjRNS3_12storage_typeE@rel32@hi+12
	s_mov_b64 s[34:35], s[0:1]
	s_mov_b32 s27, s15
	s_swappc_b64 s[30:31], s[4:5]
	v_mov_b32_e32 v0, v40
	s_mov_b32 s15, s27
	s_mov_b64 s[0:1], s[34:35]
.LBB712_6:
	s_mov_b32 s2, 0
.LBB712_7:
	s_delay_alu instid0(SALU_CYCLE_1)
	s_and_not1_b32 vcc_lo, exec_lo, s2
	s_cbranch_vccnz .LBB712_1190
; %bb.8:
	s_cmp_ge_u32 s57, s58
	s_cbranch_scc1 .LBB712_1190
; %bb.9:
	v_and_b32_e32 v1, 0x3ff, v0
	v_mov_b32_e32 v3, 0
	v_bfe_u32 v101, v0, 20, 10
	s_add_u32 s36, s0, 0x60
	v_bfe_u32 v0, v0, 10, 10
	v_lshlrev_b32_e32 v76, 2, v1
	v_lshrrev_b32_e32 v4, 3, v1
	v_lshlrev_b32_e32 v6, 5, v1
	v_dual_mov_b32 v123, 1 :: v_dual_lshlrev_b32 v2, 3, v1
	s_delay_alu instid0(VALU_DEP_4) | instskip(NEXT) | instid1(VALU_DEP_4)
	v_mad_u32_u24 v96, v1, 12, v76
	v_and_b32_e32 v94, 28, v4
	v_lshlrev_b32_e32 v4, 4, v1
	v_or_b32_e32 v5, 31, v1
	v_or_b32_e32 v78, 0x200, v1
	v_mad_u32_u24 v102, v1, 20, v96
	v_or_b32_e32 v79, 0x300, v1
	v_and_b32_e32 v100, 0xe00, v4
	v_cmp_eq_u32_e64 s3, v5, v1
	v_mul_u32_u24_e32 v4, 9, v1
	v_sub_nc_u32_e32 v104, v102, v6
	v_add_nc_u32_e32 v5, 1, v1
	v_lshlrev_b32_e32 v6, 3, v100
	v_or_b32_e32 v83, 0x400, v1
	v_or_b32_e32 v84, 0x500, v1
	;; [unrolled: 1-line block ×4, first 2 shown]
	v_add_co_u32 v106, s7, s54, v6
	s_delay_alu instid0(VALU_DEP_1) | instskip(SKIP_1) | instid1(VALU_DEP_1)
	v_add_co_ci_u32_e64 v107, null, s55, 0, s7
	v_add_co_u32 v108, s7, s48, v6
	v_add_co_ci_u32_e64 v109, null, s49, 0, s7
	v_add_co_u32 v111, s7, s46, v2
	s_delay_alu instid0(VALU_DEP_1) | instskip(SKIP_1) | instid1(VALU_DEP_1)
	v_add_co_ci_u32_e64 v112, null, s47, 0, s7
	v_add_co_u32 v113, s7, s52, v6
	v_add_co_ci_u32_e64 v114, null, s53, 0, s7
	v_add_co_u32 v115, s7, s46, v6
	s_delay_alu instid0(VALU_DEP_1)
	v_add_co_ci_u32_e64 v116, null, s47, 0, s7
	v_add_co_u32 v117, s7, s44, v2
	v_or_b32_e32 v87, 0x800, v1
	v_or_b32_e32 v88, 0x900, v1
	;; [unrolled: 1-line block ×5, first 2 shown]
	v_lshl_add_u32 v103, v4, 2, 0x420
	v_mul_u32_u24_e32 v4, 9, v5
	v_add_co_ci_u32_e64 v118, null, s45, 0, s7
	v_add_co_u32 v119, s7, s50, v6
	v_add_co_u32 v81, s2, s48, v2
	v_add_co_ci_u32_e64 v120, null, s51, 0, s7
	v_add_co_u32 v121, s7, s44, v6
	v_or_b32_e32 v77, 0x100, v1
	v_and_b32_e32 v80, 3, v1
	v_add_co_ci_u32_e64 v82, null, s49, 0, s2
	v_or_b32_e32 v92, 0xd00, v1
	v_or_b32_e32 v93, 0xe00, v1
	;; [unrolled: 1-line block ×3, first 2 shown]
	v_cmp_gt_u32_e64 s2, 0x100, v1
	v_or_b32_e32 v97, 0x8400, v94
	v_cmp_gt_u32_e64 s4, 8, v1
	v_add_nc_u32_e32 v98, 0x8400, v76
	v_cmp_lt_u32_e64 s5, 31, v1
	v_add_nc_u32_e32 v99, 0x83fc, v94
	v_cmp_eq_u32_e64 s0, 0, v1
	v_cmp_ne_u32_e64 s6, 0x100, v5
	v_lshlrev_b32_e32 v105, 2, v4
	v_add_nc_u32_e32 v110, 0x400, v2
	v_add_co_ci_u32_e64 v122, null, s45, 0, s7
	v_lshlrev_b32_e32 v124, 3, v1
	v_lshlrev_b32_e32 v125, 3, v78
	;; [unrolled: 1-line block ×12, first 2 shown]
	v_mbcnt_lo_u32_b32 v136, -1, 0
	s_mov_b32 s34, 0
	s_brev_b32 s35, 1
	s_addc_u32 s37, s1, 0
	s_mov_b32 s40, s57
	s_mov_b32 s41, s57
	s_branch .LBB712_12
.LBB712_10:                             ;   in Loop: Header=BB712_12 Depth=1
	s_waitcnt lgkmcnt(0)
	s_barrier
.LBB712_11:                             ;   in Loop: Header=BB712_12 Depth=1
	s_add_i32 s41, s41, 8
	buffer_gl0_inv
	s_cmp_ge_u32 s41, s58
	s_cbranch_scc1 .LBB712_1190
.LBB712_12:                             ; =>This Loop Header: Depth=1
                                        ;     Child Loop BB712_16 Depth 2
                                        ;     Child Loop BB712_98 Depth 2
	;; [unrolled: 1-line block ×8, first 2 shown]
	s_sub_i32 s1, s58, s41
	s_xor_b32 s59, s59, -1
	s_min_u32 s42, s1, 8
	s_cmp_lg_u32 s41, s57
	s_mov_b32 s1, -1
	ds_store_2addr_stride64_b32 v76, v3, v3 offset1:4
	ds_store_2addr_stride64_b32 v76, v3, v3 offset0:8 offset1:12
	s_waitcnt lgkmcnt(0)
	s_waitcnt_vscnt null, 0x0
	s_cbranch_scc0 .LBB712_602
; %bb.13:                               ;   in Loop: Header=BB712_12 Depth=1
	s_lshl_b32 s1, -1, s42
	s_and_b32 vcc_lo, exec_lo, s59
	s_not_b32 s43, s1
	s_mov_b32 s1, -1
	s_cbranch_vccz .LBB712_307
; %bb.14:                               ;   in Loop: Header=BB712_12 Depth=1
	s_mov_b32 s1, s62
	s_mov_b32 s8, s60
	s_barrier
	buffer_gl0_inv
                                        ; implicit-def: $vgpr34_vgpr35
                                        ; implicit-def: $vgpr4_vgpr5
                                        ; implicit-def: $vgpr6_vgpr7
                                        ; implicit-def: $vgpr8_vgpr9
                                        ; implicit-def: $vgpr10_vgpr11
                                        ; implicit-def: $vgpr12_vgpr13
                                        ; implicit-def: $vgpr14_vgpr15
                                        ; implicit-def: $vgpr16_vgpr17
                                        ; implicit-def: $vgpr18_vgpr19
                                        ; implicit-def: $vgpr20_vgpr21
                                        ; implicit-def: $vgpr22_vgpr23
                                        ; implicit-def: $vgpr24_vgpr25
                                        ; implicit-def: $vgpr26_vgpr27
                                        ; implicit-def: $vgpr28_vgpr29
                                        ; implicit-def: $vgpr30_vgpr31
                                        ; implicit-def: $vgpr32_vgpr33
	s_branch .LBB712_16
.LBB712_15:                             ;   in Loop: Header=BB712_16 Depth=2
	s_or_b32 exec_lo, exec_lo, s8
	s_addk_i32 s1, 0xf000
	s_cmp_ge_u32 s7, s61
	s_mov_b32 s8, s7
	s_cbranch_scc1 .LBB712_86
.LBB712_16:                             ;   Parent Loop BB712_12 Depth=1
                                        ; =>  This Inner Loop Header: Depth=2
	s_add_i32 s7, s8, 0x1000
	s_delay_alu instid0(SALU_CYCLE_1)
	s_cmp_gt_u32 s7, s61
	s_cbranch_scc1 .LBB712_19
; %bb.17:                               ;   in Loop: Header=BB712_16 Depth=2
	s_mov_b32 s9, 0
	s_movk_i32 s13, 0x1000
	s_lshl_b64 s[10:11], s[8:9], 3
	s_mov_b32 s12, -1
	v_add_co_u32 v36, vcc_lo, v81, s10
	v_add_co_ci_u32_e32 v37, vcc_lo, s11, v82, vcc_lo
	s_waitcnt vmcnt(12)
	s_delay_alu instid0(VALU_DEP_2) | instskip(NEXT) | instid1(VALU_DEP_2)
	v_add_co_u32 v42, vcc_lo, 0x1000, v36
	v_add_co_ci_u32_e32 v43, vcc_lo, 0, v37, vcc_lo
	s_waitcnt vmcnt(11)
	v_add_co_u32 v44, vcc_lo, 0x2000, v36
	v_add_co_ci_u32_e32 v45, vcc_lo, 0, v37, vcc_lo
	s_waitcnt vmcnt(1)
	v_add_co_u32 v50, vcc_lo, v36, 0x2000
	v_add_co_ci_u32_e32 v51, vcc_lo, 0, v37, vcc_lo
	v_add_co_u32 v52, vcc_lo, v36, 0x4000
	v_add_co_ci_u32_e32 v53, vcc_lo, 0, v37, vcc_lo
	v_add_co_u32 v54, vcc_lo, 0x3000, v36
	v_add_co_ci_u32_e32 v55, vcc_lo, 0, v37, vcc_lo
	v_add_co_u32 v58, vcc_lo, 0x4000, v36
	v_add_co_ci_u32_e32 v59, vcc_lo, 0, v37, vcc_lo
	v_add_co_u32 v62, vcc_lo, 0x5000, v36
	v_add_co_ci_u32_e32 v63, vcc_lo, 0, v37, vcc_lo
	v_add_co_u32 v60, vcc_lo, v36, 0x6000
	v_add_co_ci_u32_e32 v61, vcc_lo, 0, v37, vcc_lo
	v_add_co_u32 v64, vcc_lo, 0x6000, v36
	v_add_co_ci_u32_e32 v65, vcc_lo, 0, v37, vcc_lo
	s_waitcnt vmcnt(0)
	v_add_co_u32 v66, vcc_lo, 0x7000, v36
	v_add_co_ci_u32_e32 v67, vcc_lo, 0, v37, vcc_lo
	s_clause 0xe
	global_load_b64 v[38:39], v[36:37], off
	global_load_b64 v[40:41], v[36:37], off offset:2048
	global_load_b64 v[42:43], v[42:43], off offset:2048
	;; [unrolled: 1-line block ×3, first 2 shown]
	global_load_b64 v[46:47], v[50:51], off
	global_load_b64 v[48:49], v[52:53], off offset:-4096
	global_load_b64 v[52:53], v[52:53], off
	global_load_b64 v[56:57], v[60:61], off offset:-4096
	global_load_b64 v[60:61], v[60:61], off
	global_load_b64 v[54:55], v[54:55], off offset:2048
	global_load_b64 v[58:59], v[58:59], off offset:2048
	;; [unrolled: 1-line block ×4, first 2 shown]
	global_load_b64 v[50:51], v[50:51], off offset:-4096
	global_load_b64 v[66:67], v[66:67], off
	v_add_co_u32 v36, vcc_lo, 0x7800, v36
	v_add_co_ci_u32_e32 v37, vcc_lo, 0, v37, vcc_lo
	s_cbranch_execz .LBB712_20
; %bb.18:                               ;   in Loop: Header=BB712_16 Depth=2
                                        ; implicit-def: $vgpr32_vgpr33
                                        ; implicit-def: $vgpr30_vgpr31
                                        ; implicit-def: $vgpr28_vgpr29
                                        ; implicit-def: $vgpr26_vgpr27
                                        ; implicit-def: $vgpr24_vgpr25
                                        ; implicit-def: $vgpr22_vgpr23
                                        ; implicit-def: $vgpr20_vgpr21
                                        ; implicit-def: $vgpr18_vgpr19
                                        ; implicit-def: $vgpr16_vgpr17
                                        ; implicit-def: $vgpr14_vgpr15
                                        ; implicit-def: $vgpr12_vgpr13
                                        ; implicit-def: $vgpr10_vgpr11
                                        ; implicit-def: $vgpr8_vgpr9
                                        ; implicit-def: $vgpr6_vgpr7
                                        ; implicit-def: $vgpr4_vgpr5
                                        ; implicit-def: $vgpr34_vgpr35
	v_mov_b32_e32 v2, s1
	s_and_saveexec_b32 s8, s12
	s_cbranch_execnz .LBB712_39
	s_branch .LBB712_40
.LBB712_19:                             ;   in Loop: Header=BB712_16 Depth=2
	s_mov_b32 s12, 0
                                        ; implicit-def: $sgpr13
                                        ; implicit-def: $vgpr38_vgpr39
                                        ; implicit-def: $vgpr40_vgpr41
                                        ; implicit-def: $vgpr50_vgpr51
                                        ; implicit-def: $vgpr42_vgpr43
                                        ; implicit-def: $vgpr46_vgpr47
                                        ; implicit-def: $vgpr44_vgpr45
                                        ; implicit-def: $vgpr48_vgpr49
                                        ; implicit-def: $vgpr54_vgpr55
                                        ; implicit-def: $vgpr52_vgpr53
                                        ; implicit-def: $vgpr58_vgpr59
                                        ; implicit-def: $vgpr56_vgpr57
                                        ; implicit-def: $vgpr62_vgpr63
                                        ; implicit-def: $vgpr60_vgpr61
                                        ; implicit-def: $vgpr64_vgpr65
                                        ; implicit-def: $vgpr66_vgpr67
                                        ; implicit-def: $vgpr36_vgpr37
.LBB712_20:                             ;   in Loop: Header=BB712_16 Depth=2
	s_mov_b32 s9, s34
	s_delay_alu instid0(SALU_CYCLE_1)
	s_lshl_b64 s[10:11], s[8:9], 3
	s_mov_b32 s9, exec_lo
	s_add_u32 s10, s48, s10
	s_addc_u32 s11, s49, s11
	v_cmpx_gt_u32_e64 s1, v1
	s_cbranch_execz .LBB712_72
; %bb.21:                               ;   in Loop: Header=BB712_16 Depth=2
	global_load_b64 v[32:33], v124, s[10:11]
	s_or_b32 exec_lo, exec_lo, s9
	s_delay_alu instid0(SALU_CYCLE_1)
	s_mov_b32 s9, exec_lo
	v_cmpx_gt_u32_e64 s1, v77
	s_cbranch_execnz .LBB712_73
.LBB712_22:                             ;   in Loop: Header=BB712_16 Depth=2
	s_or_b32 exec_lo, exec_lo, s9
	s_delay_alu instid0(SALU_CYCLE_1)
	s_mov_b32 s9, exec_lo
	v_cmpx_gt_u32_e64 s1, v78
	s_cbranch_execz .LBB712_74
.LBB712_23:                             ;   in Loop: Header=BB712_16 Depth=2
	global_load_b64 v[28:29], v125, s[10:11]
	s_or_b32 exec_lo, exec_lo, s9
	s_delay_alu instid0(SALU_CYCLE_1)
	s_mov_b32 s9, exec_lo
	v_cmpx_gt_u32_e64 s1, v79
	s_cbranch_execnz .LBB712_75
.LBB712_24:                             ;   in Loop: Header=BB712_16 Depth=2
	s_or_b32 exec_lo, exec_lo, s9
	s_delay_alu instid0(SALU_CYCLE_1)
	s_mov_b32 s9, exec_lo
	v_cmpx_gt_u32_e64 s1, v83
	s_cbranch_execz .LBB712_76
.LBB712_25:                             ;   in Loop: Header=BB712_16 Depth=2
	global_load_b64 v[24:25], v127, s[10:11]
	s_or_b32 exec_lo, exec_lo, s9
	s_delay_alu instid0(SALU_CYCLE_1)
	s_mov_b32 s9, exec_lo
	v_cmpx_gt_u32_e64 s1, v84
	s_cbranch_execnz .LBB712_77
.LBB712_26:                             ;   in Loop: Header=BB712_16 Depth=2
	s_or_b32 exec_lo, exec_lo, s9
	s_delay_alu instid0(SALU_CYCLE_1)
	s_mov_b32 s9, exec_lo
	v_cmpx_gt_u32_e64 s1, v85
	s_cbranch_execz .LBB712_78
.LBB712_27:                             ;   in Loop: Header=BB712_16 Depth=2
	global_load_b64 v[20:21], v129, s[10:11]
	s_or_b32 exec_lo, exec_lo, s9
	s_delay_alu instid0(SALU_CYCLE_1)
	s_mov_b32 s9, exec_lo
	v_cmpx_gt_u32_e64 s1, v86
	s_cbranch_execnz .LBB712_79
.LBB712_28:                             ;   in Loop: Header=BB712_16 Depth=2
	s_or_b32 exec_lo, exec_lo, s9
	s_delay_alu instid0(SALU_CYCLE_1)
	s_mov_b32 s9, exec_lo
	v_cmpx_gt_u32_e64 s1, v87
	s_cbranch_execz .LBB712_80
.LBB712_29:                             ;   in Loop: Header=BB712_16 Depth=2
	global_load_b64 v[16:17], v131, s[10:11]
	s_or_b32 exec_lo, exec_lo, s9
	s_delay_alu instid0(SALU_CYCLE_1)
	s_mov_b32 s9, exec_lo
	v_cmpx_gt_u32_e64 s1, v88
	s_cbranch_execnz .LBB712_81
.LBB712_30:                             ;   in Loop: Header=BB712_16 Depth=2
	s_or_b32 exec_lo, exec_lo, s9
	s_delay_alu instid0(SALU_CYCLE_1)
	s_mov_b32 s9, exec_lo
	v_cmpx_gt_u32_e64 s1, v89
	s_cbranch_execz .LBB712_82
.LBB712_31:                             ;   in Loop: Header=BB712_16 Depth=2
	global_load_b64 v[12:13], v133, s[10:11]
	s_or_b32 exec_lo, exec_lo, s9
	s_delay_alu instid0(SALU_CYCLE_1)
	s_mov_b32 s9, exec_lo
	v_cmpx_gt_u32_e64 s1, v90
	s_cbranch_execnz .LBB712_83
.LBB712_32:                             ;   in Loop: Header=BB712_16 Depth=2
	s_or_b32 exec_lo, exec_lo, s9
	s_delay_alu instid0(SALU_CYCLE_1)
	s_mov_b32 s9, exec_lo
	v_cmpx_gt_u32_e64 s1, v91
	s_cbranch_execz .LBB712_84
.LBB712_33:                             ;   in Loop: Header=BB712_16 Depth=2
	global_load_b64 v[8:9], v135, s[10:11]
	s_or_b32 exec_lo, exec_lo, s9
	s_delay_alu instid0(SALU_CYCLE_1)
	s_mov_b32 s9, exec_lo
	v_cmpx_gt_u32_e64 s1, v92
	s_cbranch_execnz .LBB712_85
.LBB712_34:                             ;   in Loop: Header=BB712_16 Depth=2
	s_or_b32 exec_lo, exec_lo, s9
	s_delay_alu instid0(SALU_CYCLE_1)
	s_mov_b32 s9, exec_lo
	v_cmpx_gt_u32_e64 s1, v93
	s_cbranch_execz .LBB712_36
.LBB712_35:                             ;   in Loop: Header=BB712_16 Depth=2
	v_lshlrev_b32_e32 v2, 3, v93
	global_load_b64 v[4:5], v2, s[10:11]
.LBB712_36:                             ;   in Loop: Header=BB712_16 Depth=2
	s_or_b32 exec_lo, exec_lo, s9
	s_delay_alu instid0(SALU_CYCLE_1)
	s_mov_b32 s9, exec_lo
                                        ; implicit-def: $sgpr13
                                        ; implicit-def: $vgpr36_vgpr37
	v_cmpx_gt_u32_e64 s1, v95
; %bb.37:                               ;   in Loop: Header=BB712_16 Depth=2
	v_lshlrev_b32_e32 v2, 3, v95
	s_sub_i32 s13, s61, s8
	s_or_b32 s12, s12, exec_lo
                                        ; implicit-def: $vgpr34_vgpr35
	s_delay_alu instid0(VALU_DEP_1) | instskip(NEXT) | instid1(VALU_DEP_1)
	v_add_co_u32 v36, s10, s10, v2
	v_add_co_ci_u32_e64 v37, null, s11, 0, s10
; %bb.38:                               ;   in Loop: Header=BB712_16 Depth=2
	s_or_b32 exec_lo, exec_lo, s9
	s_waitcnt vmcnt(0)
	v_dual_mov_b32 v39, v33 :: v_dual_mov_b32 v38, v32
	v_dual_mov_b32 v41, v31 :: v_dual_mov_b32 v40, v30
	;; [unrolled: 1-line block ×15, first 2 shown]
	v_mov_b32_e32 v2, s1
	s_and_saveexec_b32 s8, s12
	s_cbranch_execz .LBB712_40
.LBB712_39:                             ;   in Loop: Header=BB712_16 Depth=2
	global_load_b64 v[34:35], v[36:37], off
	s_waitcnt vmcnt(1)
	v_mov_b32_e32 v4, v66
	v_mov_b32_e32 v6, v64
	;; [unrolled: 1-line block ×14, first 2 shown]
	v_dual_mov_b32 v32, v38 :: v_dual_mov_b32 v33, v39
	v_dual_mov_b32 v2, s13 :: v_dual_mov_b32 v5, v67
	v_mov_b32_e32 v7, v65
	v_mov_b32_e32 v9, v61
	;; [unrolled: 1-line block ×13, first 2 shown]
.LBB712_40:                             ;   in Loop: Header=BB712_16 Depth=2
	s_or_b32 exec_lo, exec_lo, s8
	s_delay_alu instid0(SALU_CYCLE_1)
	s_mov_b32 s8, exec_lo
	v_cmpx_lt_u32_e64 v1, v2
	s_cbranch_execz .LBB712_56
; %bb.41:                               ;   in Loop: Header=BB712_16 Depth=2
	v_xor_b32_e32 v37, 0x7fffffff, v33
	v_not_b32_e32 v36, v32
	s_delay_alu instid0(VALU_DEP_1) | instskip(SKIP_1) | instid1(VALU_DEP_2)
	v_lshrrev_b64 v[36:37], s41, v[36:37]
	v_lshlrev_b32_e32 v37, 2, v80
	v_and_b32_e32 v36, s43, v36
	s_delay_alu instid0(VALU_DEP_1) | instskip(SKIP_2) | instid1(SALU_CYCLE_1)
	v_lshl_or_b32 v36, v36, 4, v37
	ds_add_u32 v36, v123
	s_or_b32 exec_lo, exec_lo, s8
	s_mov_b32 s8, exec_lo
	v_cmpx_lt_u32_e64 v77, v2
	s_cbranch_execnz .LBB712_57
.LBB712_42:                             ;   in Loop: Header=BB712_16 Depth=2
	s_or_b32 exec_lo, exec_lo, s8
	s_delay_alu instid0(SALU_CYCLE_1)
	s_mov_b32 s8, exec_lo
	v_cmpx_lt_u32_e64 v78, v2
	s_cbranch_execz .LBB712_58
.LBB712_43:                             ;   in Loop: Header=BB712_16 Depth=2
	v_xor_b32_e32 v37, 0x7fffffff, v29
	v_not_b32_e32 v36, v28
	s_delay_alu instid0(VALU_DEP_1) | instskip(SKIP_1) | instid1(VALU_DEP_2)
	v_lshrrev_b64 v[36:37], s41, v[36:37]
	v_lshlrev_b32_e32 v37, 2, v80
	v_and_b32_e32 v36, s43, v36
	s_delay_alu instid0(VALU_DEP_1) | instskip(SKIP_2) | instid1(SALU_CYCLE_1)
	v_lshl_or_b32 v36, v36, 4, v37
	ds_add_u32 v36, v123
	s_or_b32 exec_lo, exec_lo, s8
	s_mov_b32 s8, exec_lo
	v_cmpx_lt_u32_e64 v79, v2
	s_cbranch_execnz .LBB712_59
.LBB712_44:                             ;   in Loop: Header=BB712_16 Depth=2
	s_or_b32 exec_lo, exec_lo, s8
	s_delay_alu instid0(SALU_CYCLE_1)
	s_mov_b32 s8, exec_lo
	v_cmpx_lt_u32_e64 v83, v2
	s_cbranch_execz .LBB712_60
.LBB712_45:                             ;   in Loop: Header=BB712_16 Depth=2
	v_xor_b32_e32 v37, 0x7fffffff, v25
	v_not_b32_e32 v36, v24
	s_delay_alu instid0(VALU_DEP_1) | instskip(SKIP_1) | instid1(VALU_DEP_2)
	v_lshrrev_b64 v[36:37], s41, v[36:37]
	v_lshlrev_b32_e32 v37, 2, v80
	v_and_b32_e32 v36, s43, v36
	s_delay_alu instid0(VALU_DEP_1) | instskip(SKIP_2) | instid1(SALU_CYCLE_1)
	v_lshl_or_b32 v36, v36, 4, v37
	ds_add_u32 v36, v123
	s_or_b32 exec_lo, exec_lo, s8
	s_mov_b32 s8, exec_lo
	v_cmpx_lt_u32_e64 v84, v2
	s_cbranch_execnz .LBB712_61
.LBB712_46:                             ;   in Loop: Header=BB712_16 Depth=2
	s_or_b32 exec_lo, exec_lo, s8
	s_delay_alu instid0(SALU_CYCLE_1)
	s_mov_b32 s8, exec_lo
	v_cmpx_lt_u32_e64 v85, v2
	s_cbranch_execz .LBB712_62
.LBB712_47:                             ;   in Loop: Header=BB712_16 Depth=2
	v_xor_b32_e32 v37, 0x7fffffff, v21
	v_not_b32_e32 v36, v20
	s_delay_alu instid0(VALU_DEP_1) | instskip(SKIP_1) | instid1(VALU_DEP_2)
	v_lshrrev_b64 v[36:37], s41, v[36:37]
	v_lshlrev_b32_e32 v37, 2, v80
	v_and_b32_e32 v36, s43, v36
	s_delay_alu instid0(VALU_DEP_1) | instskip(SKIP_2) | instid1(SALU_CYCLE_1)
	v_lshl_or_b32 v36, v36, 4, v37
	ds_add_u32 v36, v123
	s_or_b32 exec_lo, exec_lo, s8
	s_mov_b32 s8, exec_lo
	v_cmpx_lt_u32_e64 v86, v2
	s_cbranch_execnz .LBB712_63
.LBB712_48:                             ;   in Loop: Header=BB712_16 Depth=2
	s_or_b32 exec_lo, exec_lo, s8
	s_delay_alu instid0(SALU_CYCLE_1)
	s_mov_b32 s8, exec_lo
	v_cmpx_lt_u32_e64 v87, v2
	s_cbranch_execz .LBB712_64
.LBB712_49:                             ;   in Loop: Header=BB712_16 Depth=2
	v_xor_b32_e32 v37, 0x7fffffff, v17
	v_not_b32_e32 v36, v16
	s_delay_alu instid0(VALU_DEP_1) | instskip(SKIP_1) | instid1(VALU_DEP_2)
	v_lshrrev_b64 v[36:37], s41, v[36:37]
	v_lshlrev_b32_e32 v37, 2, v80
	v_and_b32_e32 v36, s43, v36
	s_delay_alu instid0(VALU_DEP_1) | instskip(SKIP_2) | instid1(SALU_CYCLE_1)
	v_lshl_or_b32 v36, v36, 4, v37
	ds_add_u32 v36, v123
	s_or_b32 exec_lo, exec_lo, s8
	s_mov_b32 s8, exec_lo
	v_cmpx_lt_u32_e64 v88, v2
	s_cbranch_execnz .LBB712_65
.LBB712_50:                             ;   in Loop: Header=BB712_16 Depth=2
	s_or_b32 exec_lo, exec_lo, s8
	s_delay_alu instid0(SALU_CYCLE_1)
	s_mov_b32 s8, exec_lo
	v_cmpx_lt_u32_e64 v89, v2
	s_cbranch_execz .LBB712_66
.LBB712_51:                             ;   in Loop: Header=BB712_16 Depth=2
	v_xor_b32_e32 v37, 0x7fffffff, v13
	v_not_b32_e32 v36, v12
	s_delay_alu instid0(VALU_DEP_1) | instskip(SKIP_1) | instid1(VALU_DEP_2)
	v_lshrrev_b64 v[36:37], s41, v[36:37]
	v_lshlrev_b32_e32 v37, 2, v80
	v_and_b32_e32 v36, s43, v36
	s_delay_alu instid0(VALU_DEP_1) | instskip(SKIP_2) | instid1(SALU_CYCLE_1)
	v_lshl_or_b32 v36, v36, 4, v37
	ds_add_u32 v36, v123
	s_or_b32 exec_lo, exec_lo, s8
	s_mov_b32 s8, exec_lo
	v_cmpx_lt_u32_e64 v90, v2
	s_cbranch_execnz .LBB712_67
.LBB712_52:                             ;   in Loop: Header=BB712_16 Depth=2
	s_or_b32 exec_lo, exec_lo, s8
	s_delay_alu instid0(SALU_CYCLE_1)
	s_mov_b32 s8, exec_lo
	v_cmpx_lt_u32_e64 v91, v2
	s_cbranch_execz .LBB712_68
.LBB712_53:                             ;   in Loop: Header=BB712_16 Depth=2
	v_xor_b32_e32 v37, 0x7fffffff, v9
	v_not_b32_e32 v36, v8
	s_delay_alu instid0(VALU_DEP_1) | instskip(SKIP_1) | instid1(VALU_DEP_2)
	v_lshrrev_b64 v[36:37], s41, v[36:37]
	v_lshlrev_b32_e32 v37, 2, v80
	v_and_b32_e32 v36, s43, v36
	s_delay_alu instid0(VALU_DEP_1) | instskip(SKIP_2) | instid1(SALU_CYCLE_1)
	v_lshl_or_b32 v36, v36, 4, v37
	ds_add_u32 v36, v123
	s_or_b32 exec_lo, exec_lo, s8
	s_mov_b32 s8, exec_lo
	v_cmpx_lt_u32_e64 v92, v2
	s_cbranch_execnz .LBB712_69
.LBB712_54:                             ;   in Loop: Header=BB712_16 Depth=2
	s_or_b32 exec_lo, exec_lo, s8
	s_delay_alu instid0(SALU_CYCLE_1)
	s_mov_b32 s8, exec_lo
	v_cmpx_lt_u32_e64 v93, v2
	s_cbranch_execz .LBB712_70
.LBB712_55:                             ;   in Loop: Header=BB712_16 Depth=2
	v_xor_b32_e32 v37, 0x7fffffff, v5
	v_not_b32_e32 v36, v4
	s_delay_alu instid0(VALU_DEP_1) | instskip(SKIP_1) | instid1(VALU_DEP_2)
	v_lshrrev_b64 v[36:37], s41, v[36:37]
	v_lshlrev_b32_e32 v37, 2, v80
	v_and_b32_e32 v36, s43, v36
	s_delay_alu instid0(VALU_DEP_1) | instskip(SKIP_2) | instid1(SALU_CYCLE_1)
	v_lshl_or_b32 v36, v36, 4, v37
	ds_add_u32 v36, v123
	s_or_b32 exec_lo, exec_lo, s8
	s_mov_b32 s8, exec_lo
	v_cmpx_lt_u32_e64 v95, v2
	s_cbranch_execz .LBB712_15
	s_branch .LBB712_71
.LBB712_56:                             ;   in Loop: Header=BB712_16 Depth=2
	s_or_b32 exec_lo, exec_lo, s8
	s_delay_alu instid0(SALU_CYCLE_1)
	s_mov_b32 s8, exec_lo
	v_cmpx_lt_u32_e64 v77, v2
	s_cbranch_execz .LBB712_42
.LBB712_57:                             ;   in Loop: Header=BB712_16 Depth=2
	v_xor_b32_e32 v37, 0x7fffffff, v31
	v_not_b32_e32 v36, v30
	s_delay_alu instid0(VALU_DEP_1) | instskip(SKIP_1) | instid1(VALU_DEP_2)
	v_lshrrev_b64 v[36:37], s41, v[36:37]
	v_lshlrev_b32_e32 v37, 2, v80
	v_and_b32_e32 v36, s43, v36
	s_delay_alu instid0(VALU_DEP_1) | instskip(SKIP_2) | instid1(SALU_CYCLE_1)
	v_lshl_or_b32 v36, v36, 4, v37
	ds_add_u32 v36, v123
	s_or_b32 exec_lo, exec_lo, s8
	s_mov_b32 s8, exec_lo
	v_cmpx_lt_u32_e64 v78, v2
	s_cbranch_execnz .LBB712_43
.LBB712_58:                             ;   in Loop: Header=BB712_16 Depth=2
	s_or_b32 exec_lo, exec_lo, s8
	s_delay_alu instid0(SALU_CYCLE_1)
	s_mov_b32 s8, exec_lo
	v_cmpx_lt_u32_e64 v79, v2
	s_cbranch_execz .LBB712_44
.LBB712_59:                             ;   in Loop: Header=BB712_16 Depth=2
	v_xor_b32_e32 v37, 0x7fffffff, v27
	v_not_b32_e32 v36, v26
	s_delay_alu instid0(VALU_DEP_1) | instskip(SKIP_1) | instid1(VALU_DEP_2)
	v_lshrrev_b64 v[36:37], s41, v[36:37]
	v_lshlrev_b32_e32 v37, 2, v80
	v_and_b32_e32 v36, s43, v36
	s_delay_alu instid0(VALU_DEP_1) | instskip(SKIP_2) | instid1(SALU_CYCLE_1)
	v_lshl_or_b32 v36, v36, 4, v37
	ds_add_u32 v36, v123
	s_or_b32 exec_lo, exec_lo, s8
	s_mov_b32 s8, exec_lo
	v_cmpx_lt_u32_e64 v83, v2
	s_cbranch_execnz .LBB712_45
.LBB712_60:                             ;   in Loop: Header=BB712_16 Depth=2
	s_or_b32 exec_lo, exec_lo, s8
	s_delay_alu instid0(SALU_CYCLE_1)
	s_mov_b32 s8, exec_lo
	v_cmpx_lt_u32_e64 v84, v2
	s_cbranch_execz .LBB712_46
.LBB712_61:                             ;   in Loop: Header=BB712_16 Depth=2
	v_xor_b32_e32 v37, 0x7fffffff, v23
	v_not_b32_e32 v36, v22
	s_delay_alu instid0(VALU_DEP_1) | instskip(SKIP_1) | instid1(VALU_DEP_2)
	v_lshrrev_b64 v[36:37], s41, v[36:37]
	v_lshlrev_b32_e32 v37, 2, v80
	v_and_b32_e32 v36, s43, v36
	s_delay_alu instid0(VALU_DEP_1) | instskip(SKIP_2) | instid1(SALU_CYCLE_1)
	v_lshl_or_b32 v36, v36, 4, v37
	ds_add_u32 v36, v123
	s_or_b32 exec_lo, exec_lo, s8
	s_mov_b32 s8, exec_lo
	v_cmpx_lt_u32_e64 v85, v2
	s_cbranch_execnz .LBB712_47
.LBB712_62:                             ;   in Loop: Header=BB712_16 Depth=2
	s_or_b32 exec_lo, exec_lo, s8
	s_delay_alu instid0(SALU_CYCLE_1)
	s_mov_b32 s8, exec_lo
	v_cmpx_lt_u32_e64 v86, v2
	s_cbranch_execz .LBB712_48
.LBB712_63:                             ;   in Loop: Header=BB712_16 Depth=2
	v_xor_b32_e32 v37, 0x7fffffff, v19
	v_not_b32_e32 v36, v18
	s_delay_alu instid0(VALU_DEP_1) | instskip(SKIP_1) | instid1(VALU_DEP_2)
	v_lshrrev_b64 v[36:37], s41, v[36:37]
	v_lshlrev_b32_e32 v37, 2, v80
	v_and_b32_e32 v36, s43, v36
	s_delay_alu instid0(VALU_DEP_1) | instskip(SKIP_2) | instid1(SALU_CYCLE_1)
	v_lshl_or_b32 v36, v36, 4, v37
	ds_add_u32 v36, v123
	s_or_b32 exec_lo, exec_lo, s8
	s_mov_b32 s8, exec_lo
	v_cmpx_lt_u32_e64 v87, v2
	s_cbranch_execnz .LBB712_49
.LBB712_64:                             ;   in Loop: Header=BB712_16 Depth=2
	s_or_b32 exec_lo, exec_lo, s8
	s_delay_alu instid0(SALU_CYCLE_1)
	s_mov_b32 s8, exec_lo
	v_cmpx_lt_u32_e64 v88, v2
	s_cbranch_execz .LBB712_50
.LBB712_65:                             ;   in Loop: Header=BB712_16 Depth=2
	v_xor_b32_e32 v37, 0x7fffffff, v15
	v_not_b32_e32 v36, v14
	s_delay_alu instid0(VALU_DEP_1) | instskip(SKIP_1) | instid1(VALU_DEP_2)
	v_lshrrev_b64 v[36:37], s41, v[36:37]
	v_lshlrev_b32_e32 v37, 2, v80
	v_and_b32_e32 v36, s43, v36
	s_delay_alu instid0(VALU_DEP_1) | instskip(SKIP_2) | instid1(SALU_CYCLE_1)
	v_lshl_or_b32 v36, v36, 4, v37
	ds_add_u32 v36, v123
	s_or_b32 exec_lo, exec_lo, s8
	s_mov_b32 s8, exec_lo
	v_cmpx_lt_u32_e64 v89, v2
	s_cbranch_execnz .LBB712_51
.LBB712_66:                             ;   in Loop: Header=BB712_16 Depth=2
	s_or_b32 exec_lo, exec_lo, s8
	s_delay_alu instid0(SALU_CYCLE_1)
	s_mov_b32 s8, exec_lo
	v_cmpx_lt_u32_e64 v90, v2
	s_cbranch_execz .LBB712_52
.LBB712_67:                             ;   in Loop: Header=BB712_16 Depth=2
	v_xor_b32_e32 v37, 0x7fffffff, v11
	v_not_b32_e32 v36, v10
	s_delay_alu instid0(VALU_DEP_1) | instskip(SKIP_1) | instid1(VALU_DEP_2)
	v_lshrrev_b64 v[36:37], s41, v[36:37]
	v_lshlrev_b32_e32 v37, 2, v80
	v_and_b32_e32 v36, s43, v36
	s_delay_alu instid0(VALU_DEP_1) | instskip(SKIP_2) | instid1(SALU_CYCLE_1)
	v_lshl_or_b32 v36, v36, 4, v37
	ds_add_u32 v36, v123
	s_or_b32 exec_lo, exec_lo, s8
	s_mov_b32 s8, exec_lo
	v_cmpx_lt_u32_e64 v91, v2
	s_cbranch_execnz .LBB712_53
.LBB712_68:                             ;   in Loop: Header=BB712_16 Depth=2
	s_or_b32 exec_lo, exec_lo, s8
	s_delay_alu instid0(SALU_CYCLE_1)
	s_mov_b32 s8, exec_lo
	v_cmpx_lt_u32_e64 v92, v2
	s_cbranch_execz .LBB712_54
.LBB712_69:                             ;   in Loop: Header=BB712_16 Depth=2
	v_xor_b32_e32 v37, 0x7fffffff, v7
	v_not_b32_e32 v36, v6
	s_delay_alu instid0(VALU_DEP_1) | instskip(SKIP_1) | instid1(VALU_DEP_2)
	v_lshrrev_b64 v[36:37], s41, v[36:37]
	v_lshlrev_b32_e32 v37, 2, v80
	v_and_b32_e32 v36, s43, v36
	s_delay_alu instid0(VALU_DEP_1) | instskip(SKIP_2) | instid1(SALU_CYCLE_1)
	v_lshl_or_b32 v36, v36, 4, v37
	ds_add_u32 v36, v123
	s_or_b32 exec_lo, exec_lo, s8
	s_mov_b32 s8, exec_lo
	v_cmpx_lt_u32_e64 v93, v2
	s_cbranch_execnz .LBB712_55
.LBB712_70:                             ;   in Loop: Header=BB712_16 Depth=2
	s_or_b32 exec_lo, exec_lo, s8
	s_delay_alu instid0(SALU_CYCLE_1)
	s_mov_b32 s8, exec_lo
	v_cmpx_lt_u32_e64 v95, v2
	s_cbranch_execz .LBB712_15
.LBB712_71:                             ;   in Loop: Header=BB712_16 Depth=2
	s_waitcnt vmcnt(0)
	v_xor_b32_e32 v37, 0x7fffffff, v35
	v_not_b32_e32 v36, v34
	s_delay_alu instid0(VALU_DEP_1) | instskip(NEXT) | instid1(VALU_DEP_1)
	v_lshrrev_b64 v[36:37], s41, v[36:37]
	v_and_b32_e32 v2, s43, v36
	v_lshlrev_b32_e32 v36, 2, v80
	s_delay_alu instid0(VALU_DEP_1)
	v_lshl_or_b32 v2, v2, 4, v36
	ds_add_u32 v2, v123
	s_branch .LBB712_15
.LBB712_72:                             ;   in Loop: Header=BB712_16 Depth=2
	s_or_b32 exec_lo, exec_lo, s9
	s_delay_alu instid0(SALU_CYCLE_1)
	s_mov_b32 s9, exec_lo
	v_cmpx_gt_u32_e64 s1, v77
	s_cbranch_execz .LBB712_22
.LBB712_73:                             ;   in Loop: Header=BB712_16 Depth=2
	global_load_b64 v[30:31], v124, s[10:11] offset:2048
	s_or_b32 exec_lo, exec_lo, s9
	s_delay_alu instid0(SALU_CYCLE_1)
	s_mov_b32 s9, exec_lo
	v_cmpx_gt_u32_e64 s1, v78
	s_cbranch_execnz .LBB712_23
.LBB712_74:                             ;   in Loop: Header=BB712_16 Depth=2
	s_or_b32 exec_lo, exec_lo, s9
	s_delay_alu instid0(SALU_CYCLE_1)
	s_mov_b32 s9, exec_lo
	v_cmpx_gt_u32_e64 s1, v79
	s_cbranch_execz .LBB712_24
.LBB712_75:                             ;   in Loop: Header=BB712_16 Depth=2
	global_load_b64 v[26:27], v126, s[10:11]
	s_or_b32 exec_lo, exec_lo, s9
	s_delay_alu instid0(SALU_CYCLE_1)
	s_mov_b32 s9, exec_lo
	v_cmpx_gt_u32_e64 s1, v83
	s_cbranch_execnz .LBB712_25
.LBB712_76:                             ;   in Loop: Header=BB712_16 Depth=2
	s_or_b32 exec_lo, exec_lo, s9
	s_delay_alu instid0(SALU_CYCLE_1)
	s_mov_b32 s9, exec_lo
	v_cmpx_gt_u32_e64 s1, v84
	s_cbranch_execz .LBB712_26
.LBB712_77:                             ;   in Loop: Header=BB712_16 Depth=2
	global_load_b64 v[22:23], v128, s[10:11]
	s_or_b32 exec_lo, exec_lo, s9
	s_delay_alu instid0(SALU_CYCLE_1)
	s_mov_b32 s9, exec_lo
	v_cmpx_gt_u32_e64 s1, v85
	s_cbranch_execnz .LBB712_27
.LBB712_78:                             ;   in Loop: Header=BB712_16 Depth=2
	s_or_b32 exec_lo, exec_lo, s9
	s_delay_alu instid0(SALU_CYCLE_1)
	s_mov_b32 s9, exec_lo
	v_cmpx_gt_u32_e64 s1, v86
	s_cbranch_execz .LBB712_28
.LBB712_79:                             ;   in Loop: Header=BB712_16 Depth=2
	global_load_b64 v[18:19], v130, s[10:11]
	s_or_b32 exec_lo, exec_lo, s9
	s_delay_alu instid0(SALU_CYCLE_1)
	s_mov_b32 s9, exec_lo
	v_cmpx_gt_u32_e64 s1, v87
	s_cbranch_execnz .LBB712_29
.LBB712_80:                             ;   in Loop: Header=BB712_16 Depth=2
	s_or_b32 exec_lo, exec_lo, s9
	s_delay_alu instid0(SALU_CYCLE_1)
	s_mov_b32 s9, exec_lo
	v_cmpx_gt_u32_e64 s1, v88
	s_cbranch_execz .LBB712_30
.LBB712_81:                             ;   in Loop: Header=BB712_16 Depth=2
	global_load_b64 v[14:15], v132, s[10:11]
	s_or_b32 exec_lo, exec_lo, s9
	s_delay_alu instid0(SALU_CYCLE_1)
	s_mov_b32 s9, exec_lo
	v_cmpx_gt_u32_e64 s1, v89
	s_cbranch_execnz .LBB712_31
.LBB712_82:                             ;   in Loop: Header=BB712_16 Depth=2
	s_or_b32 exec_lo, exec_lo, s9
	s_delay_alu instid0(SALU_CYCLE_1)
	s_mov_b32 s9, exec_lo
	v_cmpx_gt_u32_e64 s1, v90
	s_cbranch_execz .LBB712_32
.LBB712_83:                             ;   in Loop: Header=BB712_16 Depth=2
	global_load_b64 v[10:11], v134, s[10:11]
	s_or_b32 exec_lo, exec_lo, s9
	s_delay_alu instid0(SALU_CYCLE_1)
	s_mov_b32 s9, exec_lo
	v_cmpx_gt_u32_e64 s1, v91
	s_cbranch_execnz .LBB712_33
.LBB712_84:                             ;   in Loop: Header=BB712_16 Depth=2
	s_or_b32 exec_lo, exec_lo, s9
	s_delay_alu instid0(SALU_CYCLE_1)
	s_mov_b32 s9, exec_lo
	v_cmpx_gt_u32_e64 s1, v92
	s_cbranch_execz .LBB712_34
.LBB712_85:                             ;   in Loop: Header=BB712_16 Depth=2
	v_lshlrev_b32_e32 v2, 3, v92
	global_load_b64 v[6:7], v2, s[10:11]
	s_or_b32 exec_lo, exec_lo, s9
	s_delay_alu instid0(SALU_CYCLE_1)
	s_mov_b32 s9, exec_lo
	v_cmpx_gt_u32_e64 s1, v93
	s_cbranch_execz .LBB712_36
	s_branch .LBB712_35
.LBB712_86:                             ;   in Loop: Header=BB712_12 Depth=1
	v_mov_b32_e32 v2, 0
	s_waitcnt vmcnt(0) lgkmcnt(0)
	s_barrier
	buffer_gl0_inv
	s_and_saveexec_b32 s1, s2
	s_cbranch_execz .LBB712_88
; %bb.87:                               ;   in Loop: Header=BB712_12 Depth=1
	ds_load_2addr_b64 v[4:7], v96 offset1:1
	s_waitcnt lgkmcnt(0)
	v_add_nc_u32_e32 v2, v5, v4
	s_delay_alu instid0(VALU_DEP_1)
	v_add3_u32 v2, v2, v6, v7
.LBB712_88:                             ;   in Loop: Header=BB712_12 Depth=1
	s_or_b32 exec_lo, exec_lo, s1
	v_and_b32_e32 v4, 15, v136
	s_delay_alu instid0(VALU_DEP_2) | instskip(SKIP_1) | instid1(VALU_DEP_3)
	v_mov_b32_dpp v5, v2 row_shr:1 row_mask:0xf bank_mask:0xf
	v_and_b32_e32 v6, 16, v136
	v_cmp_eq_u32_e64 s1, 0, v4
	v_cmp_lt_u32_e64 s7, 1, v4
	v_cmp_lt_u32_e64 s8, 3, v4
	;; [unrolled: 1-line block ×3, first 2 shown]
	v_cmp_eq_u32_e64 s10, 0, v6
	v_cndmask_b32_e64 v5, v5, 0, s1
	s_delay_alu instid0(VALU_DEP_1) | instskip(NEXT) | instid1(VALU_DEP_1)
	v_add_nc_u32_e32 v2, v5, v2
	v_mov_b32_dpp v5, v2 row_shr:2 row_mask:0xf bank_mask:0xf
	s_delay_alu instid0(VALU_DEP_1) | instskip(NEXT) | instid1(VALU_DEP_1)
	v_cndmask_b32_e64 v5, 0, v5, s7
	v_add_nc_u32_e32 v2, v2, v5
	s_delay_alu instid0(VALU_DEP_1) | instskip(NEXT) | instid1(VALU_DEP_1)
	v_mov_b32_dpp v5, v2 row_shr:4 row_mask:0xf bank_mask:0xf
	v_cndmask_b32_e64 v5, 0, v5, s8
	s_delay_alu instid0(VALU_DEP_1) | instskip(NEXT) | instid1(VALU_DEP_1)
	v_add_nc_u32_e32 v2, v2, v5
	v_mov_b32_dpp v5, v2 row_shr:8 row_mask:0xf bank_mask:0xf
	s_delay_alu instid0(VALU_DEP_1) | instskip(SKIP_1) | instid1(VALU_DEP_2)
	v_cndmask_b32_e64 v4, 0, v5, s9
	v_bfe_i32 v5, v136, 4, 1
	v_add_nc_u32_e32 v2, v2, v4
	ds_swizzle_b32 v4, v2 offset:swizzle(BROADCAST,32,15)
	s_waitcnt lgkmcnt(0)
	v_and_b32_e32 v4, v5, v4
	s_delay_alu instid0(VALU_DEP_1)
	v_add_nc_u32_e32 v4, v2, v4
	s_and_saveexec_b32 s11, s3
	s_cbranch_execz .LBB712_90
; %bb.89:                               ;   in Loop: Header=BB712_12 Depth=1
	ds_store_b32 v97, v4
.LBB712_90:                             ;   in Loop: Header=BB712_12 Depth=1
	s_or_b32 exec_lo, exec_lo, s11
	v_and_b32_e32 v2, 7, v136
	s_waitcnt lgkmcnt(0)
	s_barrier
	buffer_gl0_inv
	s_and_saveexec_b32 s11, s4
	s_cbranch_execz .LBB712_92
; %bb.91:                               ;   in Loop: Header=BB712_12 Depth=1
	ds_load_b32 v5, v98
	v_cmp_ne_u32_e32 vcc_lo, 0, v2
	s_waitcnt lgkmcnt(0)
	v_mov_b32_dpp v6, v5 row_shr:1 row_mask:0xf bank_mask:0xf
	s_delay_alu instid0(VALU_DEP_1) | instskip(SKIP_1) | instid1(VALU_DEP_2)
	v_cndmask_b32_e32 v6, 0, v6, vcc_lo
	v_cmp_lt_u32_e32 vcc_lo, 1, v2
	v_add_nc_u32_e32 v5, v6, v5
	s_delay_alu instid0(VALU_DEP_1) | instskip(NEXT) | instid1(VALU_DEP_1)
	v_mov_b32_dpp v6, v5 row_shr:2 row_mask:0xf bank_mask:0xf
	v_cndmask_b32_e32 v6, 0, v6, vcc_lo
	v_cmp_lt_u32_e32 vcc_lo, 3, v2
	s_delay_alu instid0(VALU_DEP_2) | instskip(NEXT) | instid1(VALU_DEP_1)
	v_add_nc_u32_e32 v5, v5, v6
	v_mov_b32_dpp v6, v5 row_shr:4 row_mask:0xf bank_mask:0xf
	s_delay_alu instid0(VALU_DEP_1) | instskip(NEXT) | instid1(VALU_DEP_1)
	v_cndmask_b32_e32 v6, 0, v6, vcc_lo
	v_add_nc_u32_e32 v5, v5, v6
	ds_store_b32 v98, v5
.LBB712_92:                             ;   in Loop: Header=BB712_12 Depth=1
	s_or_b32 exec_lo, exec_lo, s11
	v_mov_b32_e32 v5, 0
	s_waitcnt lgkmcnt(0)
	s_barrier
	buffer_gl0_inv
	s_and_saveexec_b32 s11, s5
	s_cbranch_execz .LBB712_94
; %bb.93:                               ;   in Loop: Header=BB712_12 Depth=1
	ds_load_b32 v5, v99
.LBB712_94:                             ;   in Loop: Header=BB712_12 Depth=1
	s_or_b32 exec_lo, exec_lo, s11
	v_add_nc_u32_e32 v6, -1, v136
	s_waitcnt lgkmcnt(0)
	v_add_nc_u32_e32 v4, v5, v4
	v_cmp_eq_u32_e64 s11, 0, v136
	s_barrier
	v_cmp_gt_i32_e32 vcc_lo, 0, v6
	buffer_gl0_inv
	v_cndmask_b32_e32 v6, v6, v136, vcc_lo
	s_delay_alu instid0(VALU_DEP_1)
	v_lshlrev_b32_e32 v137, 2, v6
	ds_bpermute_b32 v4, v137, v4
	s_and_saveexec_b32 s12, s2
	s_cbranch_execz .LBB712_96
; %bb.95:                               ;   in Loop: Header=BB712_12 Depth=1
	s_waitcnt lgkmcnt(0)
	v_cndmask_b32_e64 v4, v4, v5, s11
	s_delay_alu instid0(VALU_DEP_1)
	v_add_nc_u32_e32 v4, s60, v4
	ds_store_b32 v76, v4
.LBB712_96:                             ;   in Loop: Header=BB712_12 Depth=1
	s_or_b32 exec_lo, exec_lo, s12
	s_clause 0x1
	s_load_b32 s12, s[36:37], 0x4
	s_load_b32 s16, s[36:37], 0xc
	v_lshlrev_b32_e32 v6, 3, v136
	v_cmp_lt_u32_e64 s14, 3, v2
	v_or_b32_e32 v138, v136, v100
	s_mov_b32 s50, s62
	s_mov_b32 s38, s60
	v_add_co_u32 v139, vcc_lo, v106, v6
	v_add_co_ci_u32_e32 v140, vcc_lo, 0, v107, vcc_lo
	v_add_co_u32 v156, vcc_lo, v108, v6
	v_add_co_ci_u32_e32 v157, vcc_lo, 0, v109, vcc_lo
	v_or_b32_e32 v141, 32, v138
	s_delay_alu instid0(VALU_DEP_3)
	v_add_co_u32 v159, vcc_lo, 0xf00, v156
	v_or_b32_e32 v142, 64, v138
	v_or_b32_e32 v143, 0x60, v138
	s_waitcnt lgkmcnt(0)
	s_cmp_lt_u32 s15, s12
	v_or_b32_e32 v144, 0x80, v138
	s_cselect_b32 s12, 14, 20
	v_or_b32_e32 v145, 0xa0, v138
	s_add_u32 s12, s36, s12
	s_addc_u32 s13, s37, 0
	s_and_b32 s16, s16, 0xffff
	global_load_u16 v4, v3, s[12:13]
	v_cmp_eq_u32_e64 s12, 0, v2
	v_cmp_lt_u32_e64 s13, 1, v2
	v_or_b32_e32 v146, 0xc0, v138
	v_or_b32_e32 v147, 0xe0, v138
	;; [unrolled: 1-line block ×10, first 2 shown]
	v_add_co_ci_u32_e32 v160, vcc_lo, 0, v157, vcc_lo
                                        ; implicit-def: $vgpr6_vgpr7
                                        ; implicit-def: $vgpr8_vgpr9
                                        ; implicit-def: $vgpr10_vgpr11
                                        ; implicit-def: $vgpr12_vgpr13
                                        ; implicit-def: $vgpr14_vgpr15
                                        ; implicit-def: $vgpr16_vgpr17
                                        ; implicit-def: $vgpr18_vgpr19
                                        ; implicit-def: $vgpr20_vgpr21
                                        ; implicit-def: $vgpr22_vgpr23
                                        ; implicit-def: $vgpr24_vgpr25
                                        ; implicit-def: $vgpr26_vgpr27
                                        ; implicit-def: $vgpr28_vgpr29
                                        ; implicit-def: $vgpr30_vgpr31
                                        ; implicit-def: $vgpr32_vgpr33
                                        ; implicit-def: $vgpr34_vgpr35
                                        ; implicit-def: $vgpr161
                                        ; implicit-def: $vgpr162
                                        ; implicit-def: $vgpr163
                                        ; implicit-def: $vgpr164
                                        ; implicit-def: $vgpr165
                                        ; implicit-def: $vgpr166
                                        ; implicit-def: $vgpr167
                                        ; implicit-def: $vgpr168
                                        ; implicit-def: $vgpr169
                                        ; implicit-def: $vgpr170
                                        ; implicit-def: $vgpr171
                                        ; implicit-def: $vgpr172
                                        ; implicit-def: $vgpr173
                                        ; implicit-def: $vgpr174
                                        ; implicit-def: $vgpr175
                                        ; implicit-def: $vgpr176
	s_waitcnt vmcnt(0)
	v_mad_u32_u24 v2, v101, v4, v0
	s_delay_alu instid0(VALU_DEP_1) | instskip(NEXT) | instid1(VALU_DEP_1)
	v_mad_u64_u32 v[4:5], null, v2, s16, v[1:2]
	v_lshrrev_b32_e32 v158, 5, v4
                                        ; implicit-def: $vgpr4_vgpr5
	s_branch .LBB712_98
.LBB712_97:                             ;   in Loop: Header=BB712_98 Depth=2
	s_or_b32 exec_lo, exec_lo, s16
	s_addk_i32 s50, 0xf000
	s_cmp_lt_u32 s51, s61
	s_mov_b32 s38, s51
	s_cbranch_scc0 .LBB712_306
.LBB712_98:                             ;   Parent Loop BB712_12 Depth=1
                                        ; =>  This Inner Loop Header: Depth=2
	s_add_i32 s51, s38, 0x1000
	s_delay_alu instid0(SALU_CYCLE_1)
	s_cmp_gt_u32 s51, s61
	s_cbranch_scc1 .LBB712_100
; %bb.99:                               ;   in Loop: Header=BB712_98 Depth=2
	s_mov_b32 s39, 0
	s_delay_alu instid0(SALU_CYCLE_1) | instskip(NEXT) | instid1(SALU_CYCLE_1)
	s_lshl_b64 s[16:17], s[38:39], 3
	v_add_co_u32 v40, vcc_lo, v156, s16
	v_add_co_ci_u32_e32 v41, vcc_lo, s17, v157, vcc_lo
	s_mov_b32 s17, -1
	s_movk_i32 s16, 0x1000
	s_clause 0xe
	global_load_b64 v[36:37], v[40:41], off
	global_load_b64 v[38:39], v[40:41], off offset:256
	global_load_b64 v[44:45], v[40:41], off offset:512
	;; [unrolled: 1-line block ×14, first 2 shown]
	s_cbranch_execz .LBB712_101
	s_branch .LBB712_132
.LBB712_100:                            ;   in Loop: Header=BB712_98 Depth=2
	s_mov_b32 s39, -1
	s_mov_b32 s17, 0
                                        ; implicit-def: $sgpr16
                                        ; implicit-def: $vgpr36_vgpr37
                                        ; implicit-def: $vgpr38_vgpr39
                                        ; implicit-def: $vgpr44_vgpr45
                                        ; implicit-def: $vgpr48_vgpr49
                                        ; implicit-def: $vgpr54_vgpr55
                                        ; implicit-def: $vgpr58_vgpr59
                                        ; implicit-def: $vgpr62_vgpr63
                                        ; implicit-def: $vgpr66_vgpr67
                                        ; implicit-def: $vgpr64_vgpr65
                                        ; implicit-def: $vgpr60_vgpr61
                                        ; implicit-def: $vgpr56_vgpr57
                                        ; implicit-def: $vgpr52_vgpr53
                                        ; implicit-def: $vgpr50_vgpr51
                                        ; implicit-def: $vgpr46_vgpr47
                                        ; implicit-def: $vgpr40_vgpr41
.LBB712_101:                            ;   in Loop: Header=BB712_98 Depth=2
	s_mov_b32 s39, s34
	s_waitcnt vmcnt(14)
	v_dual_mov_b32 v37, s35 :: v_dual_mov_b32 v36, s34
	s_lshl_b64 s[16:17], s[38:39], 3
	s_delay_alu instid0(SALU_CYCLE_1)
	v_add_co_u32 v42, vcc_lo, v156, s16
	v_add_co_ci_u32_e32 v43, vcc_lo, s17, v157, vcc_lo
	s_mov_b32 s16, exec_lo
	v_cmpx_gt_u32_e64 s50, v138
	s_cbranch_execz .LBB712_103
; %bb.102:                              ;   in Loop: Header=BB712_98 Depth=2
	global_load_b64 v[36:37], v[42:43], off
.LBB712_103:                            ;   in Loop: Header=BB712_98 Depth=2
	s_or_b32 exec_lo, exec_lo, s16
	s_waitcnt vmcnt(13)
	v_dual_mov_b32 v39, s35 :: v_dual_mov_b32 v38, s34
	s_mov_b32 s16, exec_lo
	v_cmpx_gt_u32_e64 s50, v141
	s_cbranch_execz .LBB712_105
; %bb.104:                              ;   in Loop: Header=BB712_98 Depth=2
	global_load_b64 v[38:39], v[42:43], off offset:256
.LBB712_105:                            ;   in Loop: Header=BB712_98 Depth=2
	s_or_b32 exec_lo, exec_lo, s16
	s_waitcnt vmcnt(12)
	v_dual_mov_b32 v45, s35 :: v_dual_mov_b32 v44, s34
	s_mov_b32 s16, exec_lo
	v_cmpx_gt_u32_e64 s50, v142
	s_cbranch_execz .LBB712_107
; %bb.106:                              ;   in Loop: Header=BB712_98 Depth=2
	global_load_b64 v[44:45], v[42:43], off offset:512
.LBB712_107:                            ;   in Loop: Header=BB712_98 Depth=2
	;; [unrolled: 9-line block ×14, first 2 shown]
	s_or_b32 exec_lo, exec_lo, s16
	v_cmp_gt_u32_e64 s17, s50, v155
	s_sub_i32 s16, s61, s38
.LBB712_132:                            ;   in Loop: Header=BB712_98 Depth=2
	v_dual_mov_b32 v43, s35 :: v_dual_mov_b32 v42, s34
	v_mov_b32_e32 v177, s50
	s_delay_alu instid0(VALU_DEP_3)
	s_and_saveexec_b32 s18, s17
	s_cbranch_execz .LBB712_134
; %bb.133:                              ;   in Loop: Header=BB712_98 Depth=2
	s_lshl_b64 s[20:21], s[38:39], 3
	v_mov_b32_e32 v177, s16
	v_add_co_u32 v42, vcc_lo, v159, s20
	v_add_co_ci_u32_e32 v43, vcc_lo, s21, v160, vcc_lo
	global_load_b64 v[42:43], v[42:43], off
.LBB712_134:                            ;   in Loop: Header=BB712_98 Depth=2
	s_or_b32 exec_lo, exec_lo, s18
	s_waitcnt vmcnt(14)
	v_xor_b32_e32 v37, 0x7fffffff, v37
	v_not_b32_e32 v36, v36
	ds_store_b32 v102, v3 offset:1056
	ds_store_2addr_b32 v103, v3, v3 offset0:1 offset1:2
	ds_store_2addr_b32 v103, v3, v3 offset0:3 offset1:4
	;; [unrolled: 1-line block ×4, first 2 shown]
	s_waitcnt vmcnt(0) lgkmcnt(0)
	s_barrier
	v_lshrrev_b64 v[68:69], s41, v[36:37]
	buffer_gl0_inv
	; wave barrier
	v_and_b32_e32 v69, s43, v68
	s_delay_alu instid0(VALU_DEP_1)
	v_and_b32_e32 v2, 1, v69
	v_lshlrev_b32_e32 v68, 30, v69
	v_lshlrev_b32_e32 v70, 29, v69
	;; [unrolled: 1-line block ×4, first 2 shown]
	v_add_co_u32 v2, s16, v2, -1
	s_delay_alu instid0(VALU_DEP_1)
	v_cndmask_b32_e64 v72, 0, 1, s16
	v_not_b32_e32 v178, v68
	v_cmp_gt_i32_e64 s16, 0, v68
	v_not_b32_e32 v68, v70
	v_lshlrev_b32_e32 v74, 26, v69
	v_cmp_ne_u32_e32 vcc_lo, 0, v72
	v_ashrrev_i32_e32 v178, 31, v178
	v_lshlrev_b32_e32 v75, 25, v69
	v_ashrrev_i32_e32 v68, 31, v68
	v_lshlrev_b32_e32 v72, 24, v69
	v_xor_b32_e32 v2, vcc_lo, v2
	v_cmp_gt_i32_e32 vcc_lo, 0, v70
	v_not_b32_e32 v70, v71
	v_xor_b32_e32 v178, s16, v178
	v_cmp_gt_i32_e64 s16, 0, v71
	v_and_b32_e32 v2, exec_lo, v2
	v_not_b32_e32 v71, v73
	v_ashrrev_i32_e32 v70, 31, v70
	v_xor_b32_e32 v68, vcc_lo, v68
	v_cmp_gt_i32_e32 vcc_lo, 0, v73
	v_and_b32_e32 v2, v2, v178
	v_not_b32_e32 v73, v74
	v_ashrrev_i32_e32 v71, 31, v71
	v_xor_b32_e32 v70, s16, v70
	v_cmp_gt_i32_e64 s16, 0, v74
	v_and_b32_e32 v2, v2, v68
	v_not_b32_e32 v68, v75
	v_ashrrev_i32_e32 v73, 31, v73
	v_xor_b32_e32 v71, vcc_lo, v71
	v_cmp_gt_i32_e32 vcc_lo, 0, v75
	v_and_b32_e32 v2, v2, v70
	v_not_b32_e32 v70, v72
	v_ashrrev_i32_e32 v68, 31, v68
	v_xor_b32_e32 v73, s16, v73
	v_cmp_gt_i32_e64 s16, 0, v72
	v_and_b32_e32 v2, v2, v71
	v_ashrrev_i32_e32 v70, 31, v70
	v_xor_b32_e32 v68, vcc_lo, v68
	v_mad_u32_u24 v69, v69, 9, v158
	s_delay_alu instid0(VALU_DEP_4) | instskip(NEXT) | instid1(VALU_DEP_4)
	v_and_b32_e32 v2, v2, v73
	v_xor_b32_e32 v70, s16, v70
	s_delay_alu instid0(VALU_DEP_3) | instskip(NEXT) | instid1(VALU_DEP_3)
	v_lshl_add_u32 v178, v69, 2, 0x420
	v_and_b32_e32 v2, v2, v68
	s_delay_alu instid0(VALU_DEP_1) | instskip(NEXT) | instid1(VALU_DEP_1)
	v_and_b32_e32 v68, v2, v70
	v_mbcnt_lo_u32_b32 v2, v68, 0
	v_cmp_ne_u32_e64 s16, 0, v68
	s_delay_alu instid0(VALU_DEP_2) | instskip(NEXT) | instid1(VALU_DEP_2)
	v_cmp_eq_u32_e32 vcc_lo, 0, v2
	s_and_b32 s17, s16, vcc_lo
	s_delay_alu instid0(SALU_CYCLE_1)
	s_and_saveexec_b32 s16, s17
	s_cbranch_execz .LBB712_136
; %bb.135:                              ;   in Loop: Header=BB712_98 Depth=2
	v_bcnt_u32_b32 v68, v68, 0
	ds_store_b32 v178, v68
.LBB712_136:                            ;   in Loop: Header=BB712_98 Depth=2
	s_or_b32 exec_lo, exec_lo, s16
	v_xor_b32_e32 v39, 0x7fffffff, v39
	v_not_b32_e32 v38, v38
	; wave barrier
	s_delay_alu instid0(VALU_DEP_1) | instskip(NEXT) | instid1(VALU_DEP_1)
	v_lshrrev_b64 v[68:69], s41, v[38:39]
	v_and_b32_e32 v68, s43, v68
	s_delay_alu instid0(VALU_DEP_1)
	v_and_b32_e32 v69, 1, v68
	v_lshlrev_b32_e32 v70, 30, v68
	v_lshlrev_b32_e32 v71, 29, v68
	;; [unrolled: 1-line block ×4, first 2 shown]
	v_add_co_u32 v69, s16, v69, -1
	s_delay_alu instid0(VALU_DEP_1)
	v_cndmask_b32_e64 v73, 0, 1, s16
	v_not_b32_e32 v180, v70
	v_cmp_gt_i32_e64 s16, 0, v70
	v_not_b32_e32 v70, v71
	v_lshlrev_b32_e32 v75, 26, v68
	v_cmp_ne_u32_e32 vcc_lo, 0, v73
	v_ashrrev_i32_e32 v180, 31, v180
	v_lshlrev_b32_e32 v179, 25, v68
	v_ashrrev_i32_e32 v70, 31, v70
	v_lshlrev_b32_e32 v73, 24, v68
	v_xor_b32_e32 v69, vcc_lo, v69
	v_cmp_gt_i32_e32 vcc_lo, 0, v71
	v_not_b32_e32 v71, v72
	v_xor_b32_e32 v180, s16, v180
	v_cmp_gt_i32_e64 s16, 0, v72
	v_and_b32_e32 v69, exec_lo, v69
	v_not_b32_e32 v72, v74
	v_ashrrev_i32_e32 v71, 31, v71
	v_xor_b32_e32 v70, vcc_lo, v70
	v_cmp_gt_i32_e32 vcc_lo, 0, v74
	v_and_b32_e32 v69, v69, v180
	v_not_b32_e32 v74, v75
	v_ashrrev_i32_e32 v72, 31, v72
	v_xor_b32_e32 v71, s16, v71
	v_cmp_gt_i32_e64 s16, 0, v75
	v_and_b32_e32 v69, v69, v70
	v_not_b32_e32 v70, v179
	v_ashrrev_i32_e32 v74, 31, v74
	v_xor_b32_e32 v72, vcc_lo, v72
	v_cmp_gt_i32_e32 vcc_lo, 0, v179
	v_and_b32_e32 v69, v69, v71
	v_not_b32_e32 v71, v73
	v_ashrrev_i32_e32 v70, 31, v70
	v_xor_b32_e32 v74, s16, v74
	v_mul_u32_u24_e32 v68, 9, v68
	v_and_b32_e32 v69, v69, v72
	v_cmp_gt_i32_e64 s16, 0, v73
	v_ashrrev_i32_e32 v71, 31, v71
	v_xor_b32_e32 v70, vcc_lo, v70
	v_add_lshl_u32 v72, v68, v158, 2
	v_and_b32_e32 v69, v69, v74
	s_delay_alu instid0(VALU_DEP_4) | instskip(SKIP_3) | instid1(VALU_DEP_2)
	v_xor_b32_e32 v68, s16, v71
	ds_load_b32 v179, v72 offset:1056
	v_and_b32_e32 v69, v69, v70
	v_add_nc_u32_e32 v181, 0x420, v72
	; wave barrier
	v_and_b32_e32 v68, v69, v68
	s_delay_alu instid0(VALU_DEP_1) | instskip(SKIP_1) | instid1(VALU_DEP_2)
	v_mbcnt_lo_u32_b32 v180, v68, 0
	v_cmp_ne_u32_e64 s16, 0, v68
	v_cmp_eq_u32_e32 vcc_lo, 0, v180
	s_delay_alu instid0(VALU_DEP_2) | instskip(NEXT) | instid1(SALU_CYCLE_1)
	s_and_b32 s17, s16, vcc_lo
	s_and_saveexec_b32 s16, s17
	s_cbranch_execz .LBB712_138
; %bb.137:                              ;   in Loop: Header=BB712_98 Depth=2
	s_waitcnt lgkmcnt(0)
	v_bcnt_u32_b32 v68, v68, v179
	ds_store_b32 v181, v68
.LBB712_138:                            ;   in Loop: Header=BB712_98 Depth=2
	s_or_b32 exec_lo, exec_lo, s16
	v_xor_b32_e32 v45, 0x7fffffff, v45
	v_not_b32_e32 v44, v44
	; wave barrier
	s_delay_alu instid0(VALU_DEP_1) | instskip(NEXT) | instid1(VALU_DEP_1)
	v_lshrrev_b64 v[68:69], s41, v[44:45]
	v_and_b32_e32 v68, s43, v68
	s_delay_alu instid0(VALU_DEP_1)
	v_and_b32_e32 v69, 1, v68
	v_lshlrev_b32_e32 v70, 30, v68
	v_lshlrev_b32_e32 v71, 29, v68
	;; [unrolled: 1-line block ×4, first 2 shown]
	v_add_co_u32 v69, s16, v69, -1
	s_delay_alu instid0(VALU_DEP_1)
	v_cndmask_b32_e64 v73, 0, 1, s16
	v_not_b32_e32 v183, v70
	v_cmp_gt_i32_e64 s16, 0, v70
	v_not_b32_e32 v70, v71
	v_lshlrev_b32_e32 v75, 26, v68
	v_cmp_ne_u32_e32 vcc_lo, 0, v73
	v_ashrrev_i32_e32 v183, 31, v183
	v_lshlrev_b32_e32 v182, 25, v68
	v_ashrrev_i32_e32 v70, 31, v70
	v_lshlrev_b32_e32 v73, 24, v68
	v_xor_b32_e32 v69, vcc_lo, v69
	v_cmp_gt_i32_e32 vcc_lo, 0, v71
	v_not_b32_e32 v71, v72
	v_xor_b32_e32 v183, s16, v183
	v_cmp_gt_i32_e64 s16, 0, v72
	v_and_b32_e32 v69, exec_lo, v69
	v_not_b32_e32 v72, v74
	v_ashrrev_i32_e32 v71, 31, v71
	v_xor_b32_e32 v70, vcc_lo, v70
	v_cmp_gt_i32_e32 vcc_lo, 0, v74
	v_and_b32_e32 v69, v69, v183
	v_not_b32_e32 v74, v75
	v_ashrrev_i32_e32 v72, 31, v72
	v_xor_b32_e32 v71, s16, v71
	v_cmp_gt_i32_e64 s16, 0, v75
	v_and_b32_e32 v69, v69, v70
	v_not_b32_e32 v70, v182
	v_ashrrev_i32_e32 v74, 31, v74
	v_xor_b32_e32 v72, vcc_lo, v72
	v_cmp_gt_i32_e32 vcc_lo, 0, v182
	v_and_b32_e32 v69, v69, v71
	v_not_b32_e32 v71, v73
	v_ashrrev_i32_e32 v70, 31, v70
	v_xor_b32_e32 v74, s16, v74
	v_mul_u32_u24_e32 v68, 9, v68
	v_and_b32_e32 v69, v69, v72
	v_cmp_gt_i32_e64 s16, 0, v73
	v_ashrrev_i32_e32 v71, 31, v71
	v_xor_b32_e32 v70, vcc_lo, v70
	v_add_lshl_u32 v72, v68, v158, 2
	v_and_b32_e32 v69, v69, v74
	s_delay_alu instid0(VALU_DEP_4) | instskip(SKIP_3) | instid1(VALU_DEP_2)
	v_xor_b32_e32 v68, s16, v71
	ds_load_b32 v182, v72 offset:1056
	v_and_b32_e32 v69, v69, v70
	v_add_nc_u32_e32 v184, 0x420, v72
	; wave barrier
	v_and_b32_e32 v68, v69, v68
	s_delay_alu instid0(VALU_DEP_1) | instskip(SKIP_1) | instid1(VALU_DEP_2)
	v_mbcnt_lo_u32_b32 v183, v68, 0
	v_cmp_ne_u32_e64 s16, 0, v68
	v_cmp_eq_u32_e32 vcc_lo, 0, v183
	s_delay_alu instid0(VALU_DEP_2) | instskip(NEXT) | instid1(SALU_CYCLE_1)
	s_and_b32 s17, s16, vcc_lo
	s_and_saveexec_b32 s16, s17
	s_cbranch_execz .LBB712_140
; %bb.139:                              ;   in Loop: Header=BB712_98 Depth=2
	s_waitcnt lgkmcnt(0)
	v_bcnt_u32_b32 v68, v68, v182
	ds_store_b32 v184, v68
.LBB712_140:                            ;   in Loop: Header=BB712_98 Depth=2
	s_or_b32 exec_lo, exec_lo, s16
	v_xor_b32_e32 v49, 0x7fffffff, v49
	v_not_b32_e32 v48, v48
	; wave barrier
	s_delay_alu instid0(VALU_DEP_1) | instskip(NEXT) | instid1(VALU_DEP_1)
	v_lshrrev_b64 v[68:69], s41, v[48:49]
	v_and_b32_e32 v68, s43, v68
	s_delay_alu instid0(VALU_DEP_1)
	v_and_b32_e32 v69, 1, v68
	v_lshlrev_b32_e32 v70, 30, v68
	v_lshlrev_b32_e32 v71, 29, v68
	;; [unrolled: 1-line block ×4, first 2 shown]
	v_add_co_u32 v69, s16, v69, -1
	s_delay_alu instid0(VALU_DEP_1)
	v_cndmask_b32_e64 v73, 0, 1, s16
	v_not_b32_e32 v186, v70
	v_cmp_gt_i32_e64 s16, 0, v70
	v_not_b32_e32 v70, v71
	v_lshlrev_b32_e32 v75, 26, v68
	v_cmp_ne_u32_e32 vcc_lo, 0, v73
	v_ashrrev_i32_e32 v186, 31, v186
	v_lshlrev_b32_e32 v185, 25, v68
	v_ashrrev_i32_e32 v70, 31, v70
	v_lshlrev_b32_e32 v73, 24, v68
	v_xor_b32_e32 v69, vcc_lo, v69
	v_cmp_gt_i32_e32 vcc_lo, 0, v71
	v_not_b32_e32 v71, v72
	v_xor_b32_e32 v186, s16, v186
	v_cmp_gt_i32_e64 s16, 0, v72
	v_and_b32_e32 v69, exec_lo, v69
	v_not_b32_e32 v72, v74
	v_ashrrev_i32_e32 v71, 31, v71
	v_xor_b32_e32 v70, vcc_lo, v70
	v_cmp_gt_i32_e32 vcc_lo, 0, v74
	v_and_b32_e32 v69, v69, v186
	v_not_b32_e32 v74, v75
	v_ashrrev_i32_e32 v72, 31, v72
	v_xor_b32_e32 v71, s16, v71
	v_cmp_gt_i32_e64 s16, 0, v75
	v_and_b32_e32 v69, v69, v70
	v_not_b32_e32 v70, v185
	v_ashrrev_i32_e32 v74, 31, v74
	v_xor_b32_e32 v72, vcc_lo, v72
	v_cmp_gt_i32_e32 vcc_lo, 0, v185
	v_and_b32_e32 v69, v69, v71
	v_not_b32_e32 v71, v73
	v_ashrrev_i32_e32 v70, 31, v70
	v_xor_b32_e32 v74, s16, v74
	v_mul_u32_u24_e32 v68, 9, v68
	v_and_b32_e32 v69, v69, v72
	v_cmp_gt_i32_e64 s16, 0, v73
	v_ashrrev_i32_e32 v71, 31, v71
	v_xor_b32_e32 v70, vcc_lo, v70
	v_add_lshl_u32 v72, v68, v158, 2
	v_and_b32_e32 v69, v69, v74
	s_delay_alu instid0(VALU_DEP_4) | instskip(SKIP_3) | instid1(VALU_DEP_2)
	v_xor_b32_e32 v68, s16, v71
	ds_load_b32 v185, v72 offset:1056
	v_and_b32_e32 v69, v69, v70
	v_add_nc_u32_e32 v187, 0x420, v72
	; wave barrier
	v_and_b32_e32 v68, v69, v68
	s_delay_alu instid0(VALU_DEP_1) | instskip(SKIP_1) | instid1(VALU_DEP_2)
	v_mbcnt_lo_u32_b32 v186, v68, 0
	v_cmp_ne_u32_e64 s16, 0, v68
	v_cmp_eq_u32_e32 vcc_lo, 0, v186
	s_delay_alu instid0(VALU_DEP_2) | instskip(NEXT) | instid1(SALU_CYCLE_1)
	s_and_b32 s17, s16, vcc_lo
	s_and_saveexec_b32 s16, s17
	s_cbranch_execz .LBB712_142
; %bb.141:                              ;   in Loop: Header=BB712_98 Depth=2
	s_waitcnt lgkmcnt(0)
	v_bcnt_u32_b32 v68, v68, v185
	ds_store_b32 v187, v68
.LBB712_142:                            ;   in Loop: Header=BB712_98 Depth=2
	s_or_b32 exec_lo, exec_lo, s16
	v_xor_b32_e32 v55, 0x7fffffff, v55
	v_not_b32_e32 v54, v54
	; wave barrier
	s_delay_alu instid0(VALU_DEP_1) | instskip(NEXT) | instid1(VALU_DEP_1)
	v_lshrrev_b64 v[68:69], s41, v[54:55]
	v_and_b32_e32 v68, s43, v68
	s_delay_alu instid0(VALU_DEP_1)
	v_and_b32_e32 v69, 1, v68
	v_lshlrev_b32_e32 v70, 30, v68
	v_lshlrev_b32_e32 v71, 29, v68
	;; [unrolled: 1-line block ×4, first 2 shown]
	v_add_co_u32 v69, s16, v69, -1
	s_delay_alu instid0(VALU_DEP_1)
	v_cndmask_b32_e64 v73, 0, 1, s16
	v_not_b32_e32 v189, v70
	v_cmp_gt_i32_e64 s16, 0, v70
	v_not_b32_e32 v70, v71
	v_lshlrev_b32_e32 v75, 26, v68
	v_cmp_ne_u32_e32 vcc_lo, 0, v73
	v_ashrrev_i32_e32 v189, 31, v189
	v_lshlrev_b32_e32 v188, 25, v68
	v_ashrrev_i32_e32 v70, 31, v70
	v_lshlrev_b32_e32 v73, 24, v68
	v_xor_b32_e32 v69, vcc_lo, v69
	v_cmp_gt_i32_e32 vcc_lo, 0, v71
	v_not_b32_e32 v71, v72
	v_xor_b32_e32 v189, s16, v189
	v_cmp_gt_i32_e64 s16, 0, v72
	v_and_b32_e32 v69, exec_lo, v69
	v_not_b32_e32 v72, v74
	v_ashrrev_i32_e32 v71, 31, v71
	v_xor_b32_e32 v70, vcc_lo, v70
	v_cmp_gt_i32_e32 vcc_lo, 0, v74
	v_and_b32_e32 v69, v69, v189
	v_not_b32_e32 v74, v75
	v_ashrrev_i32_e32 v72, 31, v72
	v_xor_b32_e32 v71, s16, v71
	v_cmp_gt_i32_e64 s16, 0, v75
	v_and_b32_e32 v69, v69, v70
	v_not_b32_e32 v70, v188
	v_ashrrev_i32_e32 v74, 31, v74
	v_xor_b32_e32 v72, vcc_lo, v72
	v_cmp_gt_i32_e32 vcc_lo, 0, v188
	v_and_b32_e32 v69, v69, v71
	v_not_b32_e32 v71, v73
	v_ashrrev_i32_e32 v70, 31, v70
	v_xor_b32_e32 v74, s16, v74
	v_mul_u32_u24_e32 v68, 9, v68
	v_and_b32_e32 v69, v69, v72
	v_cmp_gt_i32_e64 s16, 0, v73
	v_ashrrev_i32_e32 v71, 31, v71
	v_xor_b32_e32 v70, vcc_lo, v70
	v_add_lshl_u32 v72, v68, v158, 2
	v_and_b32_e32 v69, v69, v74
	s_delay_alu instid0(VALU_DEP_4) | instskip(SKIP_3) | instid1(VALU_DEP_2)
	v_xor_b32_e32 v68, s16, v71
	ds_load_b32 v188, v72 offset:1056
	v_and_b32_e32 v69, v69, v70
	v_add_nc_u32_e32 v190, 0x420, v72
	; wave barrier
	v_and_b32_e32 v68, v69, v68
	s_delay_alu instid0(VALU_DEP_1) | instskip(SKIP_1) | instid1(VALU_DEP_2)
	v_mbcnt_lo_u32_b32 v189, v68, 0
	v_cmp_ne_u32_e64 s16, 0, v68
	v_cmp_eq_u32_e32 vcc_lo, 0, v189
	s_delay_alu instid0(VALU_DEP_2) | instskip(NEXT) | instid1(SALU_CYCLE_1)
	s_and_b32 s17, s16, vcc_lo
	s_and_saveexec_b32 s16, s17
	s_cbranch_execz .LBB712_144
; %bb.143:                              ;   in Loop: Header=BB712_98 Depth=2
	s_waitcnt lgkmcnt(0)
	v_bcnt_u32_b32 v68, v68, v188
	ds_store_b32 v190, v68
.LBB712_144:                            ;   in Loop: Header=BB712_98 Depth=2
	s_or_b32 exec_lo, exec_lo, s16
	v_xor_b32_e32 v59, 0x7fffffff, v59
	v_not_b32_e32 v58, v58
	; wave barrier
	s_delay_alu instid0(VALU_DEP_1) | instskip(NEXT) | instid1(VALU_DEP_1)
	v_lshrrev_b64 v[68:69], s41, v[58:59]
	v_and_b32_e32 v68, s43, v68
	s_delay_alu instid0(VALU_DEP_1)
	v_and_b32_e32 v69, 1, v68
	v_lshlrev_b32_e32 v70, 30, v68
	v_lshlrev_b32_e32 v71, 29, v68
	;; [unrolled: 1-line block ×4, first 2 shown]
	v_add_co_u32 v69, s16, v69, -1
	s_delay_alu instid0(VALU_DEP_1)
	v_cndmask_b32_e64 v73, 0, 1, s16
	v_not_b32_e32 v192, v70
	v_cmp_gt_i32_e64 s16, 0, v70
	v_not_b32_e32 v70, v71
	v_lshlrev_b32_e32 v75, 26, v68
	v_cmp_ne_u32_e32 vcc_lo, 0, v73
	v_ashrrev_i32_e32 v192, 31, v192
	v_lshlrev_b32_e32 v191, 25, v68
	v_ashrrev_i32_e32 v70, 31, v70
	v_lshlrev_b32_e32 v73, 24, v68
	v_xor_b32_e32 v69, vcc_lo, v69
	v_cmp_gt_i32_e32 vcc_lo, 0, v71
	v_not_b32_e32 v71, v72
	v_xor_b32_e32 v192, s16, v192
	v_cmp_gt_i32_e64 s16, 0, v72
	v_and_b32_e32 v69, exec_lo, v69
	v_not_b32_e32 v72, v74
	v_ashrrev_i32_e32 v71, 31, v71
	v_xor_b32_e32 v70, vcc_lo, v70
	v_cmp_gt_i32_e32 vcc_lo, 0, v74
	v_and_b32_e32 v69, v69, v192
	v_not_b32_e32 v74, v75
	v_ashrrev_i32_e32 v72, 31, v72
	v_xor_b32_e32 v71, s16, v71
	v_cmp_gt_i32_e64 s16, 0, v75
	v_and_b32_e32 v69, v69, v70
	v_not_b32_e32 v70, v191
	v_ashrrev_i32_e32 v74, 31, v74
	v_xor_b32_e32 v72, vcc_lo, v72
	v_cmp_gt_i32_e32 vcc_lo, 0, v191
	v_and_b32_e32 v69, v69, v71
	v_not_b32_e32 v71, v73
	v_ashrrev_i32_e32 v70, 31, v70
	v_xor_b32_e32 v74, s16, v74
	v_mul_u32_u24_e32 v68, 9, v68
	v_and_b32_e32 v69, v69, v72
	v_cmp_gt_i32_e64 s16, 0, v73
	v_ashrrev_i32_e32 v71, 31, v71
	v_xor_b32_e32 v70, vcc_lo, v70
	v_add_lshl_u32 v72, v68, v158, 2
	v_and_b32_e32 v69, v69, v74
	s_delay_alu instid0(VALU_DEP_4) | instskip(SKIP_3) | instid1(VALU_DEP_2)
	v_xor_b32_e32 v68, s16, v71
	ds_load_b32 v191, v72 offset:1056
	v_and_b32_e32 v69, v69, v70
	v_add_nc_u32_e32 v193, 0x420, v72
	; wave barrier
	v_and_b32_e32 v68, v69, v68
	s_delay_alu instid0(VALU_DEP_1) | instskip(SKIP_1) | instid1(VALU_DEP_2)
	v_mbcnt_lo_u32_b32 v192, v68, 0
	v_cmp_ne_u32_e64 s16, 0, v68
	v_cmp_eq_u32_e32 vcc_lo, 0, v192
	s_delay_alu instid0(VALU_DEP_2) | instskip(NEXT) | instid1(SALU_CYCLE_1)
	s_and_b32 s17, s16, vcc_lo
	s_and_saveexec_b32 s16, s17
	s_cbranch_execz .LBB712_146
; %bb.145:                              ;   in Loop: Header=BB712_98 Depth=2
	s_waitcnt lgkmcnt(0)
	v_bcnt_u32_b32 v68, v68, v191
	ds_store_b32 v193, v68
.LBB712_146:                            ;   in Loop: Header=BB712_98 Depth=2
	s_or_b32 exec_lo, exec_lo, s16
	v_xor_b32_e32 v63, 0x7fffffff, v63
	v_not_b32_e32 v62, v62
	; wave barrier
	s_delay_alu instid0(VALU_DEP_1) | instskip(NEXT) | instid1(VALU_DEP_1)
	v_lshrrev_b64 v[68:69], s41, v[62:63]
	v_and_b32_e32 v68, s43, v68
	s_delay_alu instid0(VALU_DEP_1)
	v_and_b32_e32 v69, 1, v68
	v_lshlrev_b32_e32 v70, 30, v68
	v_lshlrev_b32_e32 v71, 29, v68
	;; [unrolled: 1-line block ×4, first 2 shown]
	v_add_co_u32 v69, s16, v69, -1
	s_delay_alu instid0(VALU_DEP_1)
	v_cndmask_b32_e64 v73, 0, 1, s16
	v_not_b32_e32 v195, v70
	v_cmp_gt_i32_e64 s16, 0, v70
	v_not_b32_e32 v70, v71
	v_lshlrev_b32_e32 v75, 26, v68
	v_cmp_ne_u32_e32 vcc_lo, 0, v73
	v_ashrrev_i32_e32 v195, 31, v195
	v_lshlrev_b32_e32 v194, 25, v68
	v_ashrrev_i32_e32 v70, 31, v70
	v_lshlrev_b32_e32 v73, 24, v68
	v_xor_b32_e32 v69, vcc_lo, v69
	v_cmp_gt_i32_e32 vcc_lo, 0, v71
	v_not_b32_e32 v71, v72
	v_xor_b32_e32 v195, s16, v195
	v_cmp_gt_i32_e64 s16, 0, v72
	v_and_b32_e32 v69, exec_lo, v69
	v_not_b32_e32 v72, v74
	v_ashrrev_i32_e32 v71, 31, v71
	v_xor_b32_e32 v70, vcc_lo, v70
	v_cmp_gt_i32_e32 vcc_lo, 0, v74
	v_and_b32_e32 v69, v69, v195
	v_not_b32_e32 v74, v75
	v_ashrrev_i32_e32 v72, 31, v72
	v_xor_b32_e32 v71, s16, v71
	v_cmp_gt_i32_e64 s16, 0, v75
	v_and_b32_e32 v69, v69, v70
	v_not_b32_e32 v70, v194
	v_ashrrev_i32_e32 v74, 31, v74
	v_xor_b32_e32 v72, vcc_lo, v72
	v_cmp_gt_i32_e32 vcc_lo, 0, v194
	v_and_b32_e32 v69, v69, v71
	v_not_b32_e32 v71, v73
	v_ashrrev_i32_e32 v70, 31, v70
	v_xor_b32_e32 v74, s16, v74
	v_mul_u32_u24_e32 v68, 9, v68
	v_and_b32_e32 v69, v69, v72
	v_cmp_gt_i32_e64 s16, 0, v73
	v_ashrrev_i32_e32 v71, 31, v71
	v_xor_b32_e32 v70, vcc_lo, v70
	v_add_lshl_u32 v72, v68, v158, 2
	v_and_b32_e32 v69, v69, v74
	s_delay_alu instid0(VALU_DEP_4) | instskip(SKIP_3) | instid1(VALU_DEP_2)
	v_xor_b32_e32 v68, s16, v71
	ds_load_b32 v194, v72 offset:1056
	v_and_b32_e32 v69, v69, v70
	v_add_nc_u32_e32 v196, 0x420, v72
	; wave barrier
	v_and_b32_e32 v68, v69, v68
	s_delay_alu instid0(VALU_DEP_1) | instskip(SKIP_1) | instid1(VALU_DEP_2)
	v_mbcnt_lo_u32_b32 v195, v68, 0
	v_cmp_ne_u32_e64 s16, 0, v68
	v_cmp_eq_u32_e32 vcc_lo, 0, v195
	s_delay_alu instid0(VALU_DEP_2) | instskip(NEXT) | instid1(SALU_CYCLE_1)
	s_and_b32 s17, s16, vcc_lo
	s_and_saveexec_b32 s16, s17
	s_cbranch_execz .LBB712_148
; %bb.147:                              ;   in Loop: Header=BB712_98 Depth=2
	s_waitcnt lgkmcnt(0)
	v_bcnt_u32_b32 v68, v68, v194
	ds_store_b32 v196, v68
.LBB712_148:                            ;   in Loop: Header=BB712_98 Depth=2
	s_or_b32 exec_lo, exec_lo, s16
	v_xor_b32_e32 v67, 0x7fffffff, v67
	v_not_b32_e32 v66, v66
	; wave barrier
	s_delay_alu instid0(VALU_DEP_1) | instskip(NEXT) | instid1(VALU_DEP_1)
	v_lshrrev_b64 v[68:69], s41, v[66:67]
	v_and_b32_e32 v68, s43, v68
	s_delay_alu instid0(VALU_DEP_1)
	v_and_b32_e32 v69, 1, v68
	v_lshlrev_b32_e32 v70, 30, v68
	v_lshlrev_b32_e32 v71, 29, v68
	;; [unrolled: 1-line block ×4, first 2 shown]
	v_add_co_u32 v69, s16, v69, -1
	s_delay_alu instid0(VALU_DEP_1)
	v_cndmask_b32_e64 v73, 0, 1, s16
	v_not_b32_e32 v198, v70
	v_cmp_gt_i32_e64 s16, 0, v70
	v_not_b32_e32 v70, v71
	v_lshlrev_b32_e32 v75, 26, v68
	v_cmp_ne_u32_e32 vcc_lo, 0, v73
	v_ashrrev_i32_e32 v198, 31, v198
	v_lshlrev_b32_e32 v197, 25, v68
	v_ashrrev_i32_e32 v70, 31, v70
	v_lshlrev_b32_e32 v73, 24, v68
	v_xor_b32_e32 v69, vcc_lo, v69
	v_cmp_gt_i32_e32 vcc_lo, 0, v71
	v_not_b32_e32 v71, v72
	v_xor_b32_e32 v198, s16, v198
	v_cmp_gt_i32_e64 s16, 0, v72
	v_and_b32_e32 v69, exec_lo, v69
	v_not_b32_e32 v72, v74
	v_ashrrev_i32_e32 v71, 31, v71
	v_xor_b32_e32 v70, vcc_lo, v70
	v_cmp_gt_i32_e32 vcc_lo, 0, v74
	v_and_b32_e32 v69, v69, v198
	v_not_b32_e32 v74, v75
	v_ashrrev_i32_e32 v72, 31, v72
	v_xor_b32_e32 v71, s16, v71
	v_cmp_gt_i32_e64 s16, 0, v75
	v_and_b32_e32 v69, v69, v70
	v_not_b32_e32 v70, v197
	v_ashrrev_i32_e32 v74, 31, v74
	v_xor_b32_e32 v72, vcc_lo, v72
	v_cmp_gt_i32_e32 vcc_lo, 0, v197
	v_and_b32_e32 v69, v69, v71
	v_not_b32_e32 v71, v73
	v_ashrrev_i32_e32 v70, 31, v70
	v_xor_b32_e32 v74, s16, v74
	v_mul_u32_u24_e32 v68, 9, v68
	v_and_b32_e32 v69, v69, v72
	v_cmp_gt_i32_e64 s16, 0, v73
	v_ashrrev_i32_e32 v71, 31, v71
	v_xor_b32_e32 v70, vcc_lo, v70
	v_add_lshl_u32 v72, v68, v158, 2
	v_and_b32_e32 v69, v69, v74
	s_delay_alu instid0(VALU_DEP_4) | instskip(SKIP_3) | instid1(VALU_DEP_2)
	v_xor_b32_e32 v68, s16, v71
	ds_load_b32 v197, v72 offset:1056
	v_and_b32_e32 v69, v69, v70
	v_add_nc_u32_e32 v199, 0x420, v72
	; wave barrier
	v_and_b32_e32 v68, v69, v68
	s_delay_alu instid0(VALU_DEP_1) | instskip(SKIP_1) | instid1(VALU_DEP_2)
	v_mbcnt_lo_u32_b32 v198, v68, 0
	v_cmp_ne_u32_e64 s16, 0, v68
	v_cmp_eq_u32_e32 vcc_lo, 0, v198
	s_delay_alu instid0(VALU_DEP_2) | instskip(NEXT) | instid1(SALU_CYCLE_1)
	s_and_b32 s17, s16, vcc_lo
	s_and_saveexec_b32 s16, s17
	s_cbranch_execz .LBB712_150
; %bb.149:                              ;   in Loop: Header=BB712_98 Depth=2
	s_waitcnt lgkmcnt(0)
	v_bcnt_u32_b32 v68, v68, v197
	ds_store_b32 v199, v68
.LBB712_150:                            ;   in Loop: Header=BB712_98 Depth=2
	s_or_b32 exec_lo, exec_lo, s16
	v_xor_b32_e32 v65, 0x7fffffff, v65
	v_not_b32_e32 v64, v64
	; wave barrier
	s_delay_alu instid0(VALU_DEP_1) | instskip(NEXT) | instid1(VALU_DEP_1)
	v_lshrrev_b64 v[68:69], s41, v[64:65]
	v_and_b32_e32 v68, s43, v68
	s_delay_alu instid0(VALU_DEP_1)
	v_and_b32_e32 v69, 1, v68
	v_lshlrev_b32_e32 v70, 30, v68
	v_lshlrev_b32_e32 v71, 29, v68
	;; [unrolled: 1-line block ×4, first 2 shown]
	v_add_co_u32 v69, s16, v69, -1
	s_delay_alu instid0(VALU_DEP_1)
	v_cndmask_b32_e64 v73, 0, 1, s16
	v_not_b32_e32 v201, v70
	v_cmp_gt_i32_e64 s16, 0, v70
	v_not_b32_e32 v70, v71
	v_lshlrev_b32_e32 v75, 26, v68
	v_cmp_ne_u32_e32 vcc_lo, 0, v73
	v_ashrrev_i32_e32 v201, 31, v201
	v_lshlrev_b32_e32 v200, 25, v68
	v_ashrrev_i32_e32 v70, 31, v70
	v_lshlrev_b32_e32 v73, 24, v68
	v_xor_b32_e32 v69, vcc_lo, v69
	v_cmp_gt_i32_e32 vcc_lo, 0, v71
	v_not_b32_e32 v71, v72
	v_xor_b32_e32 v201, s16, v201
	v_cmp_gt_i32_e64 s16, 0, v72
	v_and_b32_e32 v69, exec_lo, v69
	v_not_b32_e32 v72, v74
	v_ashrrev_i32_e32 v71, 31, v71
	v_xor_b32_e32 v70, vcc_lo, v70
	v_cmp_gt_i32_e32 vcc_lo, 0, v74
	v_and_b32_e32 v69, v69, v201
	v_not_b32_e32 v74, v75
	v_ashrrev_i32_e32 v72, 31, v72
	v_xor_b32_e32 v71, s16, v71
	v_cmp_gt_i32_e64 s16, 0, v75
	v_and_b32_e32 v69, v69, v70
	v_not_b32_e32 v70, v200
	v_ashrrev_i32_e32 v74, 31, v74
	v_xor_b32_e32 v72, vcc_lo, v72
	v_cmp_gt_i32_e32 vcc_lo, 0, v200
	v_and_b32_e32 v69, v69, v71
	v_not_b32_e32 v71, v73
	v_ashrrev_i32_e32 v70, 31, v70
	v_xor_b32_e32 v74, s16, v74
	v_mul_u32_u24_e32 v68, 9, v68
	v_and_b32_e32 v69, v69, v72
	v_cmp_gt_i32_e64 s16, 0, v73
	v_ashrrev_i32_e32 v71, 31, v71
	v_xor_b32_e32 v70, vcc_lo, v70
	v_add_lshl_u32 v72, v68, v158, 2
	v_and_b32_e32 v69, v69, v74
	s_delay_alu instid0(VALU_DEP_4) | instskip(SKIP_3) | instid1(VALU_DEP_2)
	v_xor_b32_e32 v68, s16, v71
	ds_load_b32 v200, v72 offset:1056
	v_and_b32_e32 v69, v69, v70
	v_add_nc_u32_e32 v202, 0x420, v72
	; wave barrier
	v_and_b32_e32 v68, v69, v68
	s_delay_alu instid0(VALU_DEP_1) | instskip(SKIP_1) | instid1(VALU_DEP_2)
	v_mbcnt_lo_u32_b32 v201, v68, 0
	v_cmp_ne_u32_e64 s16, 0, v68
	v_cmp_eq_u32_e32 vcc_lo, 0, v201
	s_delay_alu instid0(VALU_DEP_2) | instskip(NEXT) | instid1(SALU_CYCLE_1)
	s_and_b32 s17, s16, vcc_lo
	s_and_saveexec_b32 s16, s17
	s_cbranch_execz .LBB712_152
; %bb.151:                              ;   in Loop: Header=BB712_98 Depth=2
	s_waitcnt lgkmcnt(0)
	v_bcnt_u32_b32 v68, v68, v200
	ds_store_b32 v202, v68
.LBB712_152:                            ;   in Loop: Header=BB712_98 Depth=2
	s_or_b32 exec_lo, exec_lo, s16
	v_xor_b32_e32 v61, 0x7fffffff, v61
	v_not_b32_e32 v60, v60
	; wave barrier
	s_delay_alu instid0(VALU_DEP_1) | instskip(NEXT) | instid1(VALU_DEP_1)
	v_lshrrev_b64 v[68:69], s41, v[60:61]
	v_and_b32_e32 v68, s43, v68
	s_delay_alu instid0(VALU_DEP_1)
	v_and_b32_e32 v69, 1, v68
	v_lshlrev_b32_e32 v70, 30, v68
	v_lshlrev_b32_e32 v71, 29, v68
	v_lshlrev_b32_e32 v72, 28, v68
	v_lshlrev_b32_e32 v74, 27, v68
	v_add_co_u32 v69, s16, v69, -1
	s_delay_alu instid0(VALU_DEP_1)
	v_cndmask_b32_e64 v73, 0, 1, s16
	v_not_b32_e32 v204, v70
	v_cmp_gt_i32_e64 s16, 0, v70
	v_not_b32_e32 v70, v71
	v_lshlrev_b32_e32 v75, 26, v68
	v_cmp_ne_u32_e32 vcc_lo, 0, v73
	v_ashrrev_i32_e32 v204, 31, v204
	v_lshlrev_b32_e32 v203, 25, v68
	v_ashrrev_i32_e32 v70, 31, v70
	v_lshlrev_b32_e32 v73, 24, v68
	v_xor_b32_e32 v69, vcc_lo, v69
	v_cmp_gt_i32_e32 vcc_lo, 0, v71
	v_not_b32_e32 v71, v72
	v_xor_b32_e32 v204, s16, v204
	v_cmp_gt_i32_e64 s16, 0, v72
	v_and_b32_e32 v69, exec_lo, v69
	v_not_b32_e32 v72, v74
	v_ashrrev_i32_e32 v71, 31, v71
	v_xor_b32_e32 v70, vcc_lo, v70
	v_cmp_gt_i32_e32 vcc_lo, 0, v74
	v_and_b32_e32 v69, v69, v204
	v_not_b32_e32 v74, v75
	v_ashrrev_i32_e32 v72, 31, v72
	v_xor_b32_e32 v71, s16, v71
	v_cmp_gt_i32_e64 s16, 0, v75
	v_and_b32_e32 v69, v69, v70
	v_not_b32_e32 v70, v203
	v_ashrrev_i32_e32 v74, 31, v74
	v_xor_b32_e32 v72, vcc_lo, v72
	v_cmp_gt_i32_e32 vcc_lo, 0, v203
	v_and_b32_e32 v69, v69, v71
	v_not_b32_e32 v71, v73
	v_ashrrev_i32_e32 v70, 31, v70
	v_xor_b32_e32 v74, s16, v74
	v_mul_u32_u24_e32 v68, 9, v68
	v_and_b32_e32 v69, v69, v72
	v_cmp_gt_i32_e64 s16, 0, v73
	v_ashrrev_i32_e32 v71, 31, v71
	v_xor_b32_e32 v70, vcc_lo, v70
	v_add_lshl_u32 v72, v68, v158, 2
	v_and_b32_e32 v69, v69, v74
	s_delay_alu instid0(VALU_DEP_4) | instskip(SKIP_3) | instid1(VALU_DEP_2)
	v_xor_b32_e32 v68, s16, v71
	ds_load_b32 v203, v72 offset:1056
	v_and_b32_e32 v69, v69, v70
	v_add_nc_u32_e32 v205, 0x420, v72
	; wave barrier
	v_and_b32_e32 v68, v69, v68
	s_delay_alu instid0(VALU_DEP_1) | instskip(SKIP_1) | instid1(VALU_DEP_2)
	v_mbcnt_lo_u32_b32 v204, v68, 0
	v_cmp_ne_u32_e64 s16, 0, v68
	v_cmp_eq_u32_e32 vcc_lo, 0, v204
	s_delay_alu instid0(VALU_DEP_2) | instskip(NEXT) | instid1(SALU_CYCLE_1)
	s_and_b32 s17, s16, vcc_lo
	s_and_saveexec_b32 s16, s17
	s_cbranch_execz .LBB712_154
; %bb.153:                              ;   in Loop: Header=BB712_98 Depth=2
	s_waitcnt lgkmcnt(0)
	v_bcnt_u32_b32 v68, v68, v203
	ds_store_b32 v205, v68
.LBB712_154:                            ;   in Loop: Header=BB712_98 Depth=2
	s_or_b32 exec_lo, exec_lo, s16
	v_xor_b32_e32 v57, 0x7fffffff, v57
	v_not_b32_e32 v56, v56
	; wave barrier
	s_delay_alu instid0(VALU_DEP_1) | instskip(NEXT) | instid1(VALU_DEP_1)
	v_lshrrev_b64 v[68:69], s41, v[56:57]
	v_and_b32_e32 v68, s43, v68
	s_delay_alu instid0(VALU_DEP_1)
	v_and_b32_e32 v69, 1, v68
	v_lshlrev_b32_e32 v70, 30, v68
	v_lshlrev_b32_e32 v71, 29, v68
	;; [unrolled: 1-line block ×4, first 2 shown]
	v_add_co_u32 v69, s16, v69, -1
	s_delay_alu instid0(VALU_DEP_1)
	v_cndmask_b32_e64 v73, 0, 1, s16
	v_not_b32_e32 v207, v70
	v_cmp_gt_i32_e64 s16, 0, v70
	v_not_b32_e32 v70, v71
	v_lshlrev_b32_e32 v75, 26, v68
	v_cmp_ne_u32_e32 vcc_lo, 0, v73
	v_ashrrev_i32_e32 v207, 31, v207
	v_lshlrev_b32_e32 v206, 25, v68
	v_ashrrev_i32_e32 v70, 31, v70
	v_lshlrev_b32_e32 v73, 24, v68
	v_xor_b32_e32 v69, vcc_lo, v69
	v_cmp_gt_i32_e32 vcc_lo, 0, v71
	v_not_b32_e32 v71, v72
	v_xor_b32_e32 v207, s16, v207
	v_cmp_gt_i32_e64 s16, 0, v72
	v_and_b32_e32 v69, exec_lo, v69
	v_not_b32_e32 v72, v74
	v_ashrrev_i32_e32 v71, 31, v71
	v_xor_b32_e32 v70, vcc_lo, v70
	v_cmp_gt_i32_e32 vcc_lo, 0, v74
	v_and_b32_e32 v69, v69, v207
	v_not_b32_e32 v74, v75
	v_ashrrev_i32_e32 v72, 31, v72
	v_xor_b32_e32 v71, s16, v71
	v_cmp_gt_i32_e64 s16, 0, v75
	v_and_b32_e32 v69, v69, v70
	v_not_b32_e32 v70, v206
	v_ashrrev_i32_e32 v74, 31, v74
	v_xor_b32_e32 v72, vcc_lo, v72
	v_cmp_gt_i32_e32 vcc_lo, 0, v206
	v_and_b32_e32 v69, v69, v71
	v_not_b32_e32 v71, v73
	v_ashrrev_i32_e32 v70, 31, v70
	v_xor_b32_e32 v74, s16, v74
	v_mul_u32_u24_e32 v68, 9, v68
	v_and_b32_e32 v69, v69, v72
	v_cmp_gt_i32_e64 s16, 0, v73
	v_ashrrev_i32_e32 v71, 31, v71
	v_xor_b32_e32 v70, vcc_lo, v70
	v_add_lshl_u32 v72, v68, v158, 2
	v_and_b32_e32 v69, v69, v74
	s_delay_alu instid0(VALU_DEP_4) | instskip(SKIP_3) | instid1(VALU_DEP_2)
	v_xor_b32_e32 v68, s16, v71
	ds_load_b32 v206, v72 offset:1056
	v_and_b32_e32 v69, v69, v70
	v_add_nc_u32_e32 v208, 0x420, v72
	; wave barrier
	v_and_b32_e32 v68, v69, v68
	s_delay_alu instid0(VALU_DEP_1) | instskip(SKIP_1) | instid1(VALU_DEP_2)
	v_mbcnt_lo_u32_b32 v207, v68, 0
	v_cmp_ne_u32_e64 s16, 0, v68
	v_cmp_eq_u32_e32 vcc_lo, 0, v207
	s_delay_alu instid0(VALU_DEP_2) | instskip(NEXT) | instid1(SALU_CYCLE_1)
	s_and_b32 s17, s16, vcc_lo
	s_and_saveexec_b32 s16, s17
	s_cbranch_execz .LBB712_156
; %bb.155:                              ;   in Loop: Header=BB712_98 Depth=2
	s_waitcnt lgkmcnt(0)
	v_bcnt_u32_b32 v68, v68, v206
	ds_store_b32 v208, v68
.LBB712_156:                            ;   in Loop: Header=BB712_98 Depth=2
	s_or_b32 exec_lo, exec_lo, s16
	v_xor_b32_e32 v53, 0x7fffffff, v53
	v_not_b32_e32 v52, v52
	; wave barrier
	s_delay_alu instid0(VALU_DEP_1) | instskip(NEXT) | instid1(VALU_DEP_1)
	v_lshrrev_b64 v[68:69], s41, v[52:53]
	v_and_b32_e32 v68, s43, v68
	s_delay_alu instid0(VALU_DEP_1)
	v_and_b32_e32 v69, 1, v68
	v_lshlrev_b32_e32 v70, 30, v68
	v_lshlrev_b32_e32 v71, 29, v68
	;; [unrolled: 1-line block ×4, first 2 shown]
	v_add_co_u32 v69, s16, v69, -1
	s_delay_alu instid0(VALU_DEP_1)
	v_cndmask_b32_e64 v73, 0, 1, s16
	v_not_b32_e32 v210, v70
	v_cmp_gt_i32_e64 s16, 0, v70
	v_not_b32_e32 v70, v71
	v_lshlrev_b32_e32 v75, 26, v68
	v_cmp_ne_u32_e32 vcc_lo, 0, v73
	v_ashrrev_i32_e32 v210, 31, v210
	v_lshlrev_b32_e32 v209, 25, v68
	v_ashrrev_i32_e32 v70, 31, v70
	v_lshlrev_b32_e32 v73, 24, v68
	v_xor_b32_e32 v69, vcc_lo, v69
	v_cmp_gt_i32_e32 vcc_lo, 0, v71
	v_not_b32_e32 v71, v72
	v_xor_b32_e32 v210, s16, v210
	v_cmp_gt_i32_e64 s16, 0, v72
	v_and_b32_e32 v69, exec_lo, v69
	v_not_b32_e32 v72, v74
	v_ashrrev_i32_e32 v71, 31, v71
	v_xor_b32_e32 v70, vcc_lo, v70
	v_cmp_gt_i32_e32 vcc_lo, 0, v74
	v_and_b32_e32 v69, v69, v210
	v_not_b32_e32 v74, v75
	v_ashrrev_i32_e32 v72, 31, v72
	v_xor_b32_e32 v71, s16, v71
	v_cmp_gt_i32_e64 s16, 0, v75
	v_and_b32_e32 v69, v69, v70
	v_not_b32_e32 v70, v209
	v_ashrrev_i32_e32 v74, 31, v74
	v_xor_b32_e32 v72, vcc_lo, v72
	v_cmp_gt_i32_e32 vcc_lo, 0, v209
	v_and_b32_e32 v69, v69, v71
	v_not_b32_e32 v71, v73
	v_ashrrev_i32_e32 v70, 31, v70
	v_xor_b32_e32 v74, s16, v74
	v_mul_u32_u24_e32 v68, 9, v68
	v_and_b32_e32 v69, v69, v72
	v_cmp_gt_i32_e64 s16, 0, v73
	v_ashrrev_i32_e32 v71, 31, v71
	v_xor_b32_e32 v70, vcc_lo, v70
	v_add_lshl_u32 v72, v68, v158, 2
	v_and_b32_e32 v69, v69, v74
	s_delay_alu instid0(VALU_DEP_4) | instskip(SKIP_3) | instid1(VALU_DEP_2)
	v_xor_b32_e32 v68, s16, v71
	ds_load_b32 v209, v72 offset:1056
	v_and_b32_e32 v69, v69, v70
	v_add_nc_u32_e32 v211, 0x420, v72
	; wave barrier
	v_and_b32_e32 v68, v69, v68
	s_delay_alu instid0(VALU_DEP_1) | instskip(SKIP_1) | instid1(VALU_DEP_2)
	v_mbcnt_lo_u32_b32 v210, v68, 0
	v_cmp_ne_u32_e64 s16, 0, v68
	v_cmp_eq_u32_e32 vcc_lo, 0, v210
	s_delay_alu instid0(VALU_DEP_2) | instskip(NEXT) | instid1(SALU_CYCLE_1)
	s_and_b32 s17, s16, vcc_lo
	s_and_saveexec_b32 s16, s17
	s_cbranch_execz .LBB712_158
; %bb.157:                              ;   in Loop: Header=BB712_98 Depth=2
	s_waitcnt lgkmcnt(0)
	v_bcnt_u32_b32 v68, v68, v209
	ds_store_b32 v211, v68
.LBB712_158:                            ;   in Loop: Header=BB712_98 Depth=2
	s_or_b32 exec_lo, exec_lo, s16
	v_xor_b32_e32 v51, 0x7fffffff, v51
	v_not_b32_e32 v50, v50
	; wave barrier
	s_delay_alu instid0(VALU_DEP_1) | instskip(NEXT) | instid1(VALU_DEP_1)
	v_lshrrev_b64 v[68:69], s41, v[50:51]
	v_and_b32_e32 v68, s43, v68
	s_delay_alu instid0(VALU_DEP_1)
	v_and_b32_e32 v69, 1, v68
	v_lshlrev_b32_e32 v70, 30, v68
	v_lshlrev_b32_e32 v71, 29, v68
	;; [unrolled: 1-line block ×4, first 2 shown]
	v_add_co_u32 v69, s16, v69, -1
	s_delay_alu instid0(VALU_DEP_1)
	v_cndmask_b32_e64 v73, 0, 1, s16
	v_not_b32_e32 v213, v70
	v_cmp_gt_i32_e64 s16, 0, v70
	v_not_b32_e32 v70, v71
	v_lshlrev_b32_e32 v75, 26, v68
	v_cmp_ne_u32_e32 vcc_lo, 0, v73
	v_ashrrev_i32_e32 v213, 31, v213
	v_lshlrev_b32_e32 v212, 25, v68
	v_ashrrev_i32_e32 v70, 31, v70
	v_lshlrev_b32_e32 v73, 24, v68
	v_xor_b32_e32 v69, vcc_lo, v69
	v_cmp_gt_i32_e32 vcc_lo, 0, v71
	v_not_b32_e32 v71, v72
	v_xor_b32_e32 v213, s16, v213
	v_cmp_gt_i32_e64 s16, 0, v72
	v_and_b32_e32 v69, exec_lo, v69
	v_not_b32_e32 v72, v74
	v_ashrrev_i32_e32 v71, 31, v71
	v_xor_b32_e32 v70, vcc_lo, v70
	v_cmp_gt_i32_e32 vcc_lo, 0, v74
	v_and_b32_e32 v69, v69, v213
	v_not_b32_e32 v74, v75
	v_ashrrev_i32_e32 v72, 31, v72
	v_xor_b32_e32 v71, s16, v71
	v_cmp_gt_i32_e64 s16, 0, v75
	v_and_b32_e32 v69, v69, v70
	v_not_b32_e32 v70, v212
	v_ashrrev_i32_e32 v74, 31, v74
	v_xor_b32_e32 v72, vcc_lo, v72
	v_cmp_gt_i32_e32 vcc_lo, 0, v212
	v_and_b32_e32 v69, v69, v71
	v_not_b32_e32 v71, v73
	v_ashrrev_i32_e32 v70, 31, v70
	v_xor_b32_e32 v74, s16, v74
	v_mul_u32_u24_e32 v68, 9, v68
	v_and_b32_e32 v69, v69, v72
	v_cmp_gt_i32_e64 s16, 0, v73
	v_ashrrev_i32_e32 v71, 31, v71
	v_xor_b32_e32 v70, vcc_lo, v70
	v_add_lshl_u32 v72, v68, v158, 2
	v_and_b32_e32 v69, v69, v74
	s_delay_alu instid0(VALU_DEP_4) | instskip(SKIP_3) | instid1(VALU_DEP_2)
	v_xor_b32_e32 v68, s16, v71
	ds_load_b32 v212, v72 offset:1056
	v_and_b32_e32 v69, v69, v70
	v_add_nc_u32_e32 v214, 0x420, v72
	; wave barrier
	v_and_b32_e32 v68, v69, v68
	s_delay_alu instid0(VALU_DEP_1) | instskip(SKIP_1) | instid1(VALU_DEP_2)
	v_mbcnt_lo_u32_b32 v213, v68, 0
	v_cmp_ne_u32_e64 s16, 0, v68
	v_cmp_eq_u32_e32 vcc_lo, 0, v213
	s_delay_alu instid0(VALU_DEP_2) | instskip(NEXT) | instid1(SALU_CYCLE_1)
	s_and_b32 s17, s16, vcc_lo
	s_and_saveexec_b32 s16, s17
	s_cbranch_execz .LBB712_160
; %bb.159:                              ;   in Loop: Header=BB712_98 Depth=2
	s_waitcnt lgkmcnt(0)
	v_bcnt_u32_b32 v68, v68, v212
	ds_store_b32 v214, v68
.LBB712_160:                            ;   in Loop: Header=BB712_98 Depth=2
	s_or_b32 exec_lo, exec_lo, s16
	v_xor_b32_e32 v47, 0x7fffffff, v47
	v_not_b32_e32 v46, v46
	; wave barrier
	s_delay_alu instid0(VALU_DEP_1) | instskip(NEXT) | instid1(VALU_DEP_1)
	v_lshrrev_b64 v[68:69], s41, v[46:47]
	v_and_b32_e32 v68, s43, v68
	s_delay_alu instid0(VALU_DEP_1)
	v_and_b32_e32 v69, 1, v68
	v_lshlrev_b32_e32 v70, 30, v68
	v_lshlrev_b32_e32 v71, 29, v68
	;; [unrolled: 1-line block ×4, first 2 shown]
	v_add_co_u32 v69, s16, v69, -1
	s_delay_alu instid0(VALU_DEP_1)
	v_cndmask_b32_e64 v73, 0, 1, s16
	v_not_b32_e32 v216, v70
	v_cmp_gt_i32_e64 s16, 0, v70
	v_not_b32_e32 v70, v71
	v_lshlrev_b32_e32 v75, 26, v68
	v_cmp_ne_u32_e32 vcc_lo, 0, v73
	v_ashrrev_i32_e32 v216, 31, v216
	v_lshlrev_b32_e32 v215, 25, v68
	v_ashrrev_i32_e32 v70, 31, v70
	v_lshlrev_b32_e32 v73, 24, v68
	v_xor_b32_e32 v69, vcc_lo, v69
	v_cmp_gt_i32_e32 vcc_lo, 0, v71
	v_not_b32_e32 v71, v72
	v_xor_b32_e32 v216, s16, v216
	v_cmp_gt_i32_e64 s16, 0, v72
	v_and_b32_e32 v69, exec_lo, v69
	v_not_b32_e32 v72, v74
	v_ashrrev_i32_e32 v71, 31, v71
	v_xor_b32_e32 v70, vcc_lo, v70
	v_cmp_gt_i32_e32 vcc_lo, 0, v74
	v_and_b32_e32 v69, v69, v216
	v_not_b32_e32 v74, v75
	v_ashrrev_i32_e32 v72, 31, v72
	v_xor_b32_e32 v71, s16, v71
	v_cmp_gt_i32_e64 s16, 0, v75
	v_and_b32_e32 v69, v69, v70
	v_not_b32_e32 v70, v215
	v_ashrrev_i32_e32 v74, 31, v74
	v_xor_b32_e32 v72, vcc_lo, v72
	v_cmp_gt_i32_e32 vcc_lo, 0, v215
	v_and_b32_e32 v69, v69, v71
	v_not_b32_e32 v71, v73
	v_ashrrev_i32_e32 v70, 31, v70
	v_xor_b32_e32 v74, s16, v74
	v_mul_u32_u24_e32 v68, 9, v68
	v_and_b32_e32 v69, v69, v72
	v_cmp_gt_i32_e64 s16, 0, v73
	v_ashrrev_i32_e32 v71, 31, v71
	v_xor_b32_e32 v70, vcc_lo, v70
	v_add_lshl_u32 v72, v68, v158, 2
	v_and_b32_e32 v69, v69, v74
	s_delay_alu instid0(VALU_DEP_4) | instskip(SKIP_3) | instid1(VALU_DEP_2)
	v_xor_b32_e32 v68, s16, v71
	ds_load_b32 v215, v72 offset:1056
	v_and_b32_e32 v69, v69, v70
	v_add_nc_u32_e32 v217, 0x420, v72
	; wave barrier
	v_and_b32_e32 v68, v69, v68
	s_delay_alu instid0(VALU_DEP_1) | instskip(SKIP_1) | instid1(VALU_DEP_2)
	v_mbcnt_lo_u32_b32 v216, v68, 0
	v_cmp_ne_u32_e64 s16, 0, v68
	v_cmp_eq_u32_e32 vcc_lo, 0, v216
	s_delay_alu instid0(VALU_DEP_2) | instskip(NEXT) | instid1(SALU_CYCLE_1)
	s_and_b32 s17, s16, vcc_lo
	s_and_saveexec_b32 s16, s17
	s_cbranch_execz .LBB712_162
; %bb.161:                              ;   in Loop: Header=BB712_98 Depth=2
	s_waitcnt lgkmcnt(0)
	v_bcnt_u32_b32 v68, v68, v215
	ds_store_b32 v217, v68
.LBB712_162:                            ;   in Loop: Header=BB712_98 Depth=2
	s_or_b32 exec_lo, exec_lo, s16
	v_xor_b32_e32 v41, 0x7fffffff, v41
	v_not_b32_e32 v40, v40
	; wave barrier
	s_delay_alu instid0(VALU_DEP_1) | instskip(NEXT) | instid1(VALU_DEP_1)
	v_lshrrev_b64 v[68:69], s41, v[40:41]
	v_and_b32_e32 v68, s43, v68
	s_delay_alu instid0(VALU_DEP_1)
	v_and_b32_e32 v69, 1, v68
	v_lshlrev_b32_e32 v70, 30, v68
	v_lshlrev_b32_e32 v71, 29, v68
	;; [unrolled: 1-line block ×4, first 2 shown]
	v_add_co_u32 v69, s16, v69, -1
	s_delay_alu instid0(VALU_DEP_1)
	v_cndmask_b32_e64 v73, 0, 1, s16
	v_not_b32_e32 v219, v70
	v_cmp_gt_i32_e64 s16, 0, v70
	v_not_b32_e32 v70, v71
	v_lshlrev_b32_e32 v75, 26, v68
	v_cmp_ne_u32_e32 vcc_lo, 0, v73
	v_ashrrev_i32_e32 v219, 31, v219
	v_lshlrev_b32_e32 v218, 25, v68
	v_ashrrev_i32_e32 v70, 31, v70
	v_lshlrev_b32_e32 v73, 24, v68
	v_xor_b32_e32 v69, vcc_lo, v69
	v_cmp_gt_i32_e32 vcc_lo, 0, v71
	v_not_b32_e32 v71, v72
	v_xor_b32_e32 v219, s16, v219
	v_cmp_gt_i32_e64 s16, 0, v72
	v_and_b32_e32 v69, exec_lo, v69
	v_not_b32_e32 v72, v74
	v_ashrrev_i32_e32 v71, 31, v71
	v_xor_b32_e32 v70, vcc_lo, v70
	v_cmp_gt_i32_e32 vcc_lo, 0, v74
	v_and_b32_e32 v69, v69, v219
	v_not_b32_e32 v74, v75
	v_ashrrev_i32_e32 v72, 31, v72
	v_xor_b32_e32 v71, s16, v71
	v_cmp_gt_i32_e64 s16, 0, v75
	v_and_b32_e32 v69, v69, v70
	v_not_b32_e32 v70, v218
	v_ashrrev_i32_e32 v74, 31, v74
	v_xor_b32_e32 v72, vcc_lo, v72
	v_cmp_gt_i32_e32 vcc_lo, 0, v218
	v_and_b32_e32 v69, v69, v71
	v_not_b32_e32 v71, v73
	v_ashrrev_i32_e32 v70, 31, v70
	v_xor_b32_e32 v74, s16, v74
	v_mul_u32_u24_e32 v68, 9, v68
	v_and_b32_e32 v69, v69, v72
	v_cmp_gt_i32_e64 s16, 0, v73
	v_ashrrev_i32_e32 v71, 31, v71
	v_xor_b32_e32 v70, vcc_lo, v70
	v_add_lshl_u32 v72, v68, v158, 2
	v_and_b32_e32 v69, v69, v74
	s_delay_alu instid0(VALU_DEP_4) | instskip(SKIP_3) | instid1(VALU_DEP_2)
	v_xor_b32_e32 v68, s16, v71
	ds_load_b32 v218, v72 offset:1056
	v_and_b32_e32 v69, v69, v70
	v_add_nc_u32_e32 v220, 0x420, v72
	; wave barrier
	v_and_b32_e32 v68, v69, v68
	s_delay_alu instid0(VALU_DEP_1) | instskip(SKIP_1) | instid1(VALU_DEP_2)
	v_mbcnt_lo_u32_b32 v219, v68, 0
	v_cmp_ne_u32_e64 s16, 0, v68
	v_cmp_eq_u32_e32 vcc_lo, 0, v219
	s_delay_alu instid0(VALU_DEP_2) | instskip(NEXT) | instid1(SALU_CYCLE_1)
	s_and_b32 s17, s16, vcc_lo
	s_and_saveexec_b32 s16, s17
	s_cbranch_execz .LBB712_164
; %bb.163:                              ;   in Loop: Header=BB712_98 Depth=2
	s_waitcnt lgkmcnt(0)
	v_bcnt_u32_b32 v68, v68, v218
	ds_store_b32 v220, v68
.LBB712_164:                            ;   in Loop: Header=BB712_98 Depth=2
	s_or_b32 exec_lo, exec_lo, s16
	v_xor_b32_e32 v43, 0x7fffffff, v43
	v_not_b32_e32 v42, v42
	; wave barrier
	s_delay_alu instid0(VALU_DEP_1) | instskip(NEXT) | instid1(VALU_DEP_1)
	v_lshrrev_b64 v[68:69], s41, v[42:43]
	v_and_b32_e32 v68, s43, v68
	s_delay_alu instid0(VALU_DEP_1)
	v_and_b32_e32 v69, 1, v68
	v_lshlrev_b32_e32 v70, 30, v68
	v_lshlrev_b32_e32 v71, 29, v68
	v_lshlrev_b32_e32 v72, 28, v68
	v_lshlrev_b32_e32 v74, 27, v68
	v_add_co_u32 v69, s16, v69, -1
	s_delay_alu instid0(VALU_DEP_1)
	v_cndmask_b32_e64 v73, 0, 1, s16
	v_not_b32_e32 v222, v70
	v_cmp_gt_i32_e64 s16, 0, v70
	v_not_b32_e32 v70, v71
	v_lshlrev_b32_e32 v75, 26, v68
	v_cmp_ne_u32_e32 vcc_lo, 0, v73
	v_ashrrev_i32_e32 v222, 31, v222
	v_lshlrev_b32_e32 v221, 25, v68
	v_ashrrev_i32_e32 v70, 31, v70
	v_lshlrev_b32_e32 v73, 24, v68
	v_xor_b32_e32 v69, vcc_lo, v69
	v_cmp_gt_i32_e32 vcc_lo, 0, v71
	v_not_b32_e32 v71, v72
	v_xor_b32_e32 v222, s16, v222
	v_cmp_gt_i32_e64 s16, 0, v72
	v_and_b32_e32 v69, exec_lo, v69
	v_not_b32_e32 v72, v74
	v_ashrrev_i32_e32 v71, 31, v71
	v_xor_b32_e32 v70, vcc_lo, v70
	v_cmp_gt_i32_e32 vcc_lo, 0, v74
	v_and_b32_e32 v69, v69, v222
	v_not_b32_e32 v74, v75
	v_ashrrev_i32_e32 v72, 31, v72
	v_xor_b32_e32 v71, s16, v71
	v_cmp_gt_i32_e64 s16, 0, v75
	v_and_b32_e32 v69, v69, v70
	v_not_b32_e32 v70, v221
	v_ashrrev_i32_e32 v74, 31, v74
	v_xor_b32_e32 v72, vcc_lo, v72
	v_cmp_gt_i32_e32 vcc_lo, 0, v221
	v_and_b32_e32 v69, v69, v71
	v_not_b32_e32 v71, v73
	v_ashrrev_i32_e32 v70, 31, v70
	v_xor_b32_e32 v74, s16, v74
	v_mul_u32_u24_e32 v68, 9, v68
	v_and_b32_e32 v69, v69, v72
	v_cmp_gt_i32_e64 s16, 0, v73
	v_ashrrev_i32_e32 v71, 31, v71
	v_xor_b32_e32 v70, vcc_lo, v70
	v_add_lshl_u32 v72, v68, v158, 2
	v_and_b32_e32 v69, v69, v74
	s_delay_alu instid0(VALU_DEP_4) | instskip(SKIP_3) | instid1(VALU_DEP_2)
	v_xor_b32_e32 v68, s16, v71
	ds_load_b32 v221, v72 offset:1056
	v_and_b32_e32 v69, v69, v70
	v_add_nc_u32_e32 v223, 0x420, v72
	; wave barrier
	v_and_b32_e32 v68, v69, v68
	s_delay_alu instid0(VALU_DEP_1) | instskip(SKIP_1) | instid1(VALU_DEP_2)
	v_mbcnt_lo_u32_b32 v222, v68, 0
	v_cmp_ne_u32_e64 s16, 0, v68
	v_cmp_eq_u32_e32 vcc_lo, 0, v222
	s_delay_alu instid0(VALU_DEP_2) | instskip(NEXT) | instid1(SALU_CYCLE_1)
	s_and_b32 s17, s16, vcc_lo
	s_and_saveexec_b32 s16, s17
	s_cbranch_execz .LBB712_166
; %bb.165:                              ;   in Loop: Header=BB712_98 Depth=2
	s_waitcnt lgkmcnt(0)
	v_bcnt_u32_b32 v68, v68, v221
	ds_store_b32 v223, v68
.LBB712_166:                            ;   in Loop: Header=BB712_98 Depth=2
	s_or_b32 exec_lo, exec_lo, s16
	; wave barrier
	s_waitcnt lgkmcnt(0)
	s_barrier
	buffer_gl0_inv
	ds_load_b32 v224, v102 offset:1056
	ds_load_2addr_b32 v[74:75], v103 offset0:1 offset1:2
	ds_load_2addr_b32 v[72:73], v103 offset0:3 offset1:4
	;; [unrolled: 1-line block ×4, first 2 shown]
	s_waitcnt lgkmcnt(3)
	v_add3_u32 v225, v74, v224, v75
	s_waitcnt lgkmcnt(2)
	s_delay_alu instid0(VALU_DEP_1) | instskip(SKIP_1) | instid1(VALU_DEP_1)
	v_add3_u32 v225, v225, v72, v73
	s_waitcnt lgkmcnt(1)
	v_add3_u32 v225, v225, v68, v69
	s_waitcnt lgkmcnt(0)
	s_delay_alu instid0(VALU_DEP_1) | instskip(NEXT) | instid1(VALU_DEP_1)
	v_add3_u32 v71, v225, v70, v71
	v_mov_b32_dpp v225, v71 row_shr:1 row_mask:0xf bank_mask:0xf
	s_delay_alu instid0(VALU_DEP_1) | instskip(NEXT) | instid1(VALU_DEP_1)
	v_cndmask_b32_e64 v225, v225, 0, s1
	v_add_nc_u32_e32 v71, v225, v71
	s_delay_alu instid0(VALU_DEP_1) | instskip(NEXT) | instid1(VALU_DEP_1)
	v_mov_b32_dpp v225, v71 row_shr:2 row_mask:0xf bank_mask:0xf
	v_cndmask_b32_e64 v225, 0, v225, s7
	s_delay_alu instid0(VALU_DEP_1) | instskip(NEXT) | instid1(VALU_DEP_1)
	v_add_nc_u32_e32 v71, v71, v225
	v_mov_b32_dpp v225, v71 row_shr:4 row_mask:0xf bank_mask:0xf
	s_delay_alu instid0(VALU_DEP_1) | instskip(NEXT) | instid1(VALU_DEP_1)
	v_cndmask_b32_e64 v225, 0, v225, s8
	v_add_nc_u32_e32 v71, v71, v225
	s_delay_alu instid0(VALU_DEP_1) | instskip(NEXT) | instid1(VALU_DEP_1)
	v_mov_b32_dpp v225, v71 row_shr:8 row_mask:0xf bank_mask:0xf
	v_cndmask_b32_e64 v225, 0, v225, s9
	s_delay_alu instid0(VALU_DEP_1) | instskip(SKIP_3) | instid1(VALU_DEP_1)
	v_add_nc_u32_e32 v71, v71, v225
	ds_swizzle_b32 v225, v71 offset:swizzle(BROADCAST,32,15)
	s_waitcnt lgkmcnt(0)
	v_cndmask_b32_e64 v225, v225, 0, s10
	v_add_nc_u32_e32 v71, v71, v225
	s_and_saveexec_b32 s16, s3
	s_cbranch_execz .LBB712_168
; %bb.167:                              ;   in Loop: Header=BB712_98 Depth=2
	ds_store_b32 v94, v71 offset:1024
.LBB712_168:                            ;   in Loop: Header=BB712_98 Depth=2
	s_or_b32 exec_lo, exec_lo, s16
	s_waitcnt lgkmcnt(0)
	s_barrier
	buffer_gl0_inv
	s_and_saveexec_b32 s16, s4
	s_cbranch_execz .LBB712_170
; %bb.169:                              ;   in Loop: Header=BB712_98 Depth=2
	ds_load_b32 v225, v104 offset:1024
	s_waitcnt lgkmcnt(0)
	v_mov_b32_dpp v226, v225 row_shr:1 row_mask:0xf bank_mask:0xf
	s_delay_alu instid0(VALU_DEP_1) | instskip(NEXT) | instid1(VALU_DEP_1)
	v_cndmask_b32_e64 v226, v226, 0, s12
	v_add_nc_u32_e32 v225, v226, v225
	s_delay_alu instid0(VALU_DEP_1) | instskip(NEXT) | instid1(VALU_DEP_1)
	v_mov_b32_dpp v226, v225 row_shr:2 row_mask:0xf bank_mask:0xf
	v_cndmask_b32_e64 v226, 0, v226, s13
	s_delay_alu instid0(VALU_DEP_1) | instskip(NEXT) | instid1(VALU_DEP_1)
	v_add_nc_u32_e32 v225, v225, v226
	v_mov_b32_dpp v226, v225 row_shr:4 row_mask:0xf bank_mask:0xf
	s_delay_alu instid0(VALU_DEP_1) | instskip(NEXT) | instid1(VALU_DEP_1)
	v_cndmask_b32_e64 v226, 0, v226, s14
	v_add_nc_u32_e32 v225, v225, v226
	ds_store_b32 v104, v225 offset:1024
.LBB712_170:                            ;   in Loop: Header=BB712_98 Depth=2
	s_or_b32 exec_lo, exec_lo, s16
	v_mov_b32_e32 v225, 0
	s_waitcnt lgkmcnt(0)
	s_barrier
	buffer_gl0_inv
	s_and_saveexec_b32 s16, s5
	s_cbranch_execz .LBB712_172
; %bb.171:                              ;   in Loop: Header=BB712_98 Depth=2
	ds_load_b32 v225, v94 offset:1020
.LBB712_172:                            ;   in Loop: Header=BB712_98 Depth=2
	s_or_b32 exec_lo, exec_lo, s16
	s_waitcnt lgkmcnt(0)
	v_add_nc_u32_e32 v71, v225, v71
	ds_bpermute_b32 v71, v137, v71
	s_waitcnt lgkmcnt(0)
	v_cndmask_b32_e64 v71, v71, v225, s11
	s_delay_alu instid0(VALU_DEP_1) | instskip(NEXT) | instid1(VALU_DEP_1)
	v_cndmask_b32_e64 v71, v71, 0, s0
	v_add_nc_u32_e32 v224, v71, v224
	s_delay_alu instid0(VALU_DEP_1) | instskip(NEXT) | instid1(VALU_DEP_1)
	v_add_nc_u32_e32 v74, v224, v74
	v_add_nc_u32_e32 v75, v74, v75
	s_delay_alu instid0(VALU_DEP_1) | instskip(NEXT) | instid1(VALU_DEP_1)
	v_add_nc_u32_e32 v72, v75, v72
	;; [unrolled: 3-line block ×3, first 2 shown]
	v_add_nc_u32_e32 v69, v68, v69
	s_delay_alu instid0(VALU_DEP_1)
	v_add_nc_u32_e32 v70, v69, v70
	ds_store_b32 v102, v71 offset:1056
	ds_store_2addr_b32 v103, v224, v74 offset0:1 offset1:2
	ds_store_2addr_b32 v103, v75, v72 offset0:3 offset1:4
	;; [unrolled: 1-line block ×4, first 2 shown]
	v_mov_b32_e32 v68, 0x1000
	s_waitcnt lgkmcnt(0)
	s_barrier
	buffer_gl0_inv
	ds_load_b32 v70, v181
	ds_load_b32 v71, v184
	;; [unrolled: 1-line block ×16, first 2 shown]
	ds_load_b32 v178, v102 offset:1056
	s_and_saveexec_b32 s16, s6
	s_cbranch_execz .LBB712_174
; %bb.173:                              ;   in Loop: Header=BB712_98 Depth=2
	ds_load_b32 v68, v105 offset:1056
.LBB712_174:                            ;   in Loop: Header=BB712_98 Depth=2
	s_or_b32 exec_lo, exec_lo, s16
	s_waitcnt lgkmcnt(0)
	s_barrier
	buffer_gl0_inv
	s_and_saveexec_b32 s16, s2
	s_cbranch_execz .LBB712_176
; %bb.175:                              ;   in Loop: Header=BB712_98 Depth=2
	ds_load_b32 v202, v76
	s_waitcnt lgkmcnt(0)
	v_sub_nc_u32_e32 v178, v202, v178
	ds_store_b32 v76, v178
.LBB712_176:                            ;   in Loop: Header=BB712_98 Depth=2
	s_or_b32 exec_lo, exec_lo, s16
	v_add_nc_u32_e32 v179, v180, v179
	v_add_lshl_u32 v69, v69, v2, 3
	v_add_nc_u32_e32 v2, v183, v182
	v_add_nc_u32_e32 v180, v186, v185
	;; [unrolled: 1-line block ×8, first 2 shown]
	v_add_lshl_u32 v70, v179, v70, 3
	v_add_lshl_u32 v71, v2, v71, 3
	v_add_nc_u32_e32 v200, v201, v200
	v_add_lshl_u32 v72, v180, v72, 3
	v_add_nc_u32_e32 v203, v204, v203
	;; [unrolled: 2-line block ×3, first 2 shown]
	v_add_nc_u32_e32 v202, v219, v218
	v_add_nc_u32_e32 v205, v216, v215
	;; [unrolled: 1-line block ×3, first 2 shown]
	ds_store_b64 v69, v[36:37] offset:1024
	ds_store_b64 v70, v[38:39] offset:1024
	v_add_lshl_u32 v38, v191, v225, 3
	ds_store_b64 v71, v[44:45] offset:1024
	ds_store_b64 v72, v[48:49] offset:1024
	;; [unrolled: 1-line block ×3, first 2 shown]
	v_add_lshl_u32 v39, v194, v224, 3
	v_add_lshl_u32 v44, v197, v199, 3
	;; [unrolled: 1-line block ×6, first 2 shown]
	ds_store_b64 v38, v[58:59] offset:1024
	ds_store_b64 v39, v[62:63] offset:1024
	;; [unrolled: 1-line block ×6, first 2 shown]
	v_add_lshl_u32 v55, v208, v184, 3
	v_add_lshl_u32 v56, v205, v181, 3
	;; [unrolled: 1-line block ×3, first 2 shown]
	ds_store_b64 v54, v[52:53] offset:1024
	v_add_lshl_u32 v52, v178, v74, 3
	v_cmp_lt_u32_e32 vcc_lo, v1, v177
	ds_store_b64 v55, v[50:51] offset:1024
	ds_store_b64 v56, v[46:47] offset:1024
	;; [unrolled: 1-line block ×4, first 2 shown]
	s_waitcnt lgkmcnt(0)
	s_barrier
	buffer_gl0_inv
	s_and_saveexec_b32 s17, vcc_lo
	s_cbranch_execz .LBB712_192
; %bb.177:                              ;   in Loop: Header=BB712_98 Depth=2
	v_add_nc_u32_e32 v2, v104, v76
	ds_load_b64 v[36:37], v2 offset:1024
	s_waitcnt lgkmcnt(0)
	v_lshrrev_b64 v[40:41], s41, v[36:37]
	v_xor_b32_e32 v37, 0x7fffffff, v37
	v_not_b32_e32 v36, v36
	s_delay_alu instid0(VALU_DEP_3) | instskip(NEXT) | instid1(VALU_DEP_1)
	v_and_b32_e32 v2, s43, v40
	v_lshlrev_b32_e32 v2, 2, v2
	ds_load_b32 v2, v2
	s_waitcnt lgkmcnt(0)
	v_add_nc_u32_e32 v2, v2, v1
	s_delay_alu instid0(VALU_DEP_1) | instskip(NEXT) | instid1(VALU_DEP_1)
	v_lshlrev_b64 v[40:41], 3, v[2:3]
	v_add_co_u32 v40, s16, s46, v40
	s_delay_alu instid0(VALU_DEP_1) | instskip(SKIP_3) | instid1(VALU_DEP_1)
	v_add_co_ci_u32_e64 v41, s16, s47, v41, s16
	global_store_b64 v[40:41], v[36:37], off
	s_or_b32 exec_lo, exec_lo, s17
	v_cmp_lt_u32_e64 s16, v77, v177
	s_and_saveexec_b32 s18, s16
	s_cbranch_execnz .LBB712_193
.LBB712_178:                            ;   in Loop: Header=BB712_98 Depth=2
	s_or_b32 exec_lo, exec_lo, s18
	v_cmp_lt_u32_e64 s17, v78, v177
	s_delay_alu instid0(VALU_DEP_1)
	s_and_saveexec_b32 s19, s17
	s_cbranch_execz .LBB712_194
.LBB712_179:                            ;   in Loop: Header=BB712_98 Depth=2
	ds_load_b64 v[36:37], v110 offset:4096
	s_waitcnt lgkmcnt(0)
	v_lshrrev_b64 v[40:41], s41, v[36:37]
	v_xor_b32_e32 v37, 0x7fffffff, v37
	v_not_b32_e32 v36, v36
	s_delay_alu instid0(VALU_DEP_3) | instskip(NEXT) | instid1(VALU_DEP_1)
	v_and_b32_e32 v2, s43, v40
	v_lshlrev_b32_e32 v2, 2, v2
	ds_load_b32 v2, v2
	s_waitcnt lgkmcnt(0)
	v_add_nc_u32_e32 v2, v2, v78
	s_delay_alu instid0(VALU_DEP_1) | instskip(NEXT) | instid1(VALU_DEP_1)
	v_lshlrev_b64 v[40:41], 3, v[2:3]
	v_add_co_u32 v40, s18, s46, v40
	s_delay_alu instid0(VALU_DEP_1) | instskip(SKIP_3) | instid1(VALU_DEP_1)
	v_add_co_ci_u32_e64 v41, s18, s47, v41, s18
	global_store_b64 v[40:41], v[36:37], off
	s_or_b32 exec_lo, exec_lo, s19
	v_cmp_lt_u32_e64 s18, v79, v177
	s_and_saveexec_b32 s20, s18
	s_cbranch_execnz .LBB712_195
.LBB712_180:                            ;   in Loop: Header=BB712_98 Depth=2
	s_or_b32 exec_lo, exec_lo, s20
	v_cmp_lt_u32_e64 s19, v83, v177
	s_delay_alu instid0(VALU_DEP_1)
	s_and_saveexec_b32 s21, s19
	s_cbranch_execz .LBB712_196
.LBB712_181:                            ;   in Loop: Header=BB712_98 Depth=2
	ds_load_b64 v[36:37], v110 offset:8192
	s_waitcnt lgkmcnt(0)
	v_lshrrev_b64 v[40:41], s41, v[36:37]
	v_xor_b32_e32 v37, 0x7fffffff, v37
	v_not_b32_e32 v36, v36
	s_delay_alu instid0(VALU_DEP_3) | instskip(NEXT) | instid1(VALU_DEP_1)
	v_and_b32_e32 v2, s43, v40
	v_lshlrev_b32_e32 v2, 2, v2
	ds_load_b32 v2, v2
	s_waitcnt lgkmcnt(0)
	v_add_nc_u32_e32 v2, v2, v83
	s_delay_alu instid0(VALU_DEP_1) | instskip(NEXT) | instid1(VALU_DEP_1)
	v_lshlrev_b64 v[40:41], 3, v[2:3]
	v_add_co_u32 v40, s20, s46, v40
	s_delay_alu instid0(VALU_DEP_1) | instskip(SKIP_3) | instid1(VALU_DEP_1)
	v_add_co_ci_u32_e64 v41, s20, s47, v41, s20
	global_store_b64 v[40:41], v[36:37], off
	s_or_b32 exec_lo, exec_lo, s21
	v_cmp_lt_u32_e64 s20, v84, v177
	s_and_saveexec_b32 s22, s20
	s_cbranch_execnz .LBB712_197
.LBB712_182:                            ;   in Loop: Header=BB712_98 Depth=2
	s_or_b32 exec_lo, exec_lo, s22
	v_cmp_lt_u32_e64 s21, v85, v177
	s_delay_alu instid0(VALU_DEP_1)
	s_and_saveexec_b32 s23, s21
	s_cbranch_execz .LBB712_198
.LBB712_183:                            ;   in Loop: Header=BB712_98 Depth=2
	ds_load_b64 v[36:37], v110 offset:12288
	s_waitcnt lgkmcnt(0)
	v_lshrrev_b64 v[40:41], s41, v[36:37]
	v_xor_b32_e32 v37, 0x7fffffff, v37
	v_not_b32_e32 v36, v36
	s_delay_alu instid0(VALU_DEP_3) | instskip(NEXT) | instid1(VALU_DEP_1)
	v_and_b32_e32 v2, s43, v40
	v_lshlrev_b32_e32 v2, 2, v2
	ds_load_b32 v2, v2
	s_waitcnt lgkmcnt(0)
	v_add_nc_u32_e32 v2, v2, v85
	s_delay_alu instid0(VALU_DEP_1) | instskip(NEXT) | instid1(VALU_DEP_1)
	v_lshlrev_b64 v[40:41], 3, v[2:3]
	v_add_co_u32 v40, s22, s46, v40
	s_delay_alu instid0(VALU_DEP_1) | instskip(SKIP_3) | instid1(VALU_DEP_1)
	v_add_co_ci_u32_e64 v41, s22, s47, v41, s22
	global_store_b64 v[40:41], v[36:37], off
	s_or_b32 exec_lo, exec_lo, s23
	v_cmp_lt_u32_e64 s22, v86, v177
	s_and_saveexec_b32 s24, s22
	s_cbranch_execnz .LBB712_199
.LBB712_184:                            ;   in Loop: Header=BB712_98 Depth=2
	s_or_b32 exec_lo, exec_lo, s24
	v_cmp_lt_u32_e64 s23, v87, v177
	s_delay_alu instid0(VALU_DEP_1)
	s_and_saveexec_b32 s25, s23
	s_cbranch_execz .LBB712_200
.LBB712_185:                            ;   in Loop: Header=BB712_98 Depth=2
	ds_load_b64 v[36:37], v110 offset:16384
	s_waitcnt lgkmcnt(0)
	v_lshrrev_b64 v[40:41], s41, v[36:37]
	v_xor_b32_e32 v37, 0x7fffffff, v37
	v_not_b32_e32 v36, v36
	s_delay_alu instid0(VALU_DEP_3) | instskip(NEXT) | instid1(VALU_DEP_1)
	v_and_b32_e32 v2, s43, v40
	v_lshlrev_b32_e32 v2, 2, v2
	ds_load_b32 v2, v2
	s_waitcnt lgkmcnt(0)
	v_add_nc_u32_e32 v2, v2, v87
	s_delay_alu instid0(VALU_DEP_1) | instskip(NEXT) | instid1(VALU_DEP_1)
	v_lshlrev_b64 v[40:41], 3, v[2:3]
	v_add_co_u32 v40, s24, s46, v40
	s_delay_alu instid0(VALU_DEP_1) | instskip(SKIP_3) | instid1(VALU_DEP_1)
	v_add_co_ci_u32_e64 v41, s24, s47, v41, s24
	global_store_b64 v[40:41], v[36:37], off
	s_or_b32 exec_lo, exec_lo, s25
	v_cmp_lt_u32_e64 s24, v88, v177
	s_and_saveexec_b32 s26, s24
	s_cbranch_execnz .LBB712_201
.LBB712_186:                            ;   in Loop: Header=BB712_98 Depth=2
	s_or_b32 exec_lo, exec_lo, s26
	v_cmp_lt_u32_e64 s25, v89, v177
	s_delay_alu instid0(VALU_DEP_1)
	s_and_saveexec_b32 s27, s25
	s_cbranch_execz .LBB712_202
.LBB712_187:                            ;   in Loop: Header=BB712_98 Depth=2
	ds_load_b64 v[36:37], v110 offset:20480
	s_waitcnt lgkmcnt(0)
	v_lshrrev_b64 v[40:41], s41, v[36:37]
	v_xor_b32_e32 v37, 0x7fffffff, v37
	v_not_b32_e32 v36, v36
	s_delay_alu instid0(VALU_DEP_3) | instskip(NEXT) | instid1(VALU_DEP_1)
	v_and_b32_e32 v2, s43, v40
	v_lshlrev_b32_e32 v2, 2, v2
	ds_load_b32 v2, v2
	s_waitcnt lgkmcnt(0)
	v_add_nc_u32_e32 v2, v2, v89
	s_delay_alu instid0(VALU_DEP_1) | instskip(NEXT) | instid1(VALU_DEP_1)
	v_lshlrev_b64 v[40:41], 3, v[2:3]
	v_add_co_u32 v40, s26, s46, v40
	s_delay_alu instid0(VALU_DEP_1) | instskip(SKIP_3) | instid1(VALU_DEP_1)
	v_add_co_ci_u32_e64 v41, s26, s47, v41, s26
	global_store_b64 v[40:41], v[36:37], off
	s_or_b32 exec_lo, exec_lo, s27
	v_cmp_lt_u32_e64 s26, v90, v177
	s_and_saveexec_b32 s29, s26
	s_cbranch_execnz .LBB712_203
.LBB712_188:                            ;   in Loop: Header=BB712_98 Depth=2
	s_or_b32 exec_lo, exec_lo, s29
	v_cmp_lt_u32_e64 s27, v91, v177
	s_delay_alu instid0(VALU_DEP_1)
	s_and_saveexec_b32 s30, s27
	s_cbranch_execz .LBB712_204
.LBB712_189:                            ;   in Loop: Header=BB712_98 Depth=2
	ds_load_b64 v[36:37], v110 offset:24576
	s_waitcnt lgkmcnt(0)
	v_lshrrev_b64 v[40:41], s41, v[36:37]
	v_xor_b32_e32 v37, 0x7fffffff, v37
	v_not_b32_e32 v36, v36
	s_delay_alu instid0(VALU_DEP_3) | instskip(NEXT) | instid1(VALU_DEP_1)
	v_and_b32_e32 v2, s43, v40
	v_lshlrev_b32_e32 v2, 2, v2
	ds_load_b32 v2, v2
	s_waitcnt lgkmcnt(0)
	v_add_nc_u32_e32 v2, v2, v91
	s_delay_alu instid0(VALU_DEP_1) | instskip(NEXT) | instid1(VALU_DEP_1)
	v_lshlrev_b64 v[40:41], 3, v[2:3]
	v_add_co_u32 v40, s29, s46, v40
	s_delay_alu instid0(VALU_DEP_1) | instskip(SKIP_3) | instid1(VALU_DEP_1)
	v_add_co_ci_u32_e64 v41, s29, s47, v41, s29
	global_store_b64 v[40:41], v[36:37], off
	s_or_b32 exec_lo, exec_lo, s30
	v_cmp_lt_u32_e64 s29, v92, v177
	s_and_saveexec_b32 s31, s29
	s_cbranch_execnz .LBB712_205
.LBB712_190:                            ;   in Loop: Header=BB712_98 Depth=2
	s_or_b32 exec_lo, exec_lo, s31
	v_cmp_lt_u32_e64 s30, v93, v177
	s_delay_alu instid0(VALU_DEP_1)
	s_and_saveexec_b32 s33, s30
	s_cbranch_execz .LBB712_206
.LBB712_191:                            ;   in Loop: Header=BB712_98 Depth=2
	ds_load_b64 v[36:37], v110 offset:28672
	s_waitcnt lgkmcnt(0)
	v_lshrrev_b64 v[40:41], s41, v[36:37]
	v_xor_b32_e32 v37, 0x7fffffff, v37
	v_not_b32_e32 v36, v36
	s_delay_alu instid0(VALU_DEP_3) | instskip(NEXT) | instid1(VALU_DEP_1)
	v_and_b32_e32 v2, s43, v40
	v_lshlrev_b32_e32 v2, 2, v2
	ds_load_b32 v2, v2
	s_waitcnt lgkmcnt(0)
	v_add_nc_u32_e32 v2, v2, v93
	s_delay_alu instid0(VALU_DEP_1) | instskip(NEXT) | instid1(VALU_DEP_1)
	v_lshlrev_b64 v[40:41], 3, v[2:3]
	v_add_co_u32 v40, s31, s46, v40
	s_delay_alu instid0(VALU_DEP_1) | instskip(SKIP_3) | instid1(VALU_DEP_1)
	v_add_co_ci_u32_e64 v41, s31, s47, v41, s31
	global_store_b64 v[40:41], v[36:37], off
	s_or_b32 exec_lo, exec_lo, s33
	v_cmp_lt_u32_e64 s31, v95, v177
	s_and_saveexec_b32 s39, s31
	s_cbranch_execnz .LBB712_207
	s_branch .LBB712_208
.LBB712_192:                            ;   in Loop: Header=BB712_98 Depth=2
	s_or_b32 exec_lo, exec_lo, s17
	v_cmp_lt_u32_e64 s16, v77, v177
	s_delay_alu instid0(VALU_DEP_1)
	s_and_saveexec_b32 s18, s16
	s_cbranch_execz .LBB712_178
.LBB712_193:                            ;   in Loop: Header=BB712_98 Depth=2
	ds_load_b64 v[36:37], v110 offset:2048
	s_waitcnt lgkmcnt(0)
	v_lshrrev_b64 v[40:41], s41, v[36:37]
	v_xor_b32_e32 v37, 0x7fffffff, v37
	v_not_b32_e32 v36, v36
	s_delay_alu instid0(VALU_DEP_3) | instskip(NEXT) | instid1(VALU_DEP_1)
	v_and_b32_e32 v2, s43, v40
	v_lshlrev_b32_e32 v2, 2, v2
	ds_load_b32 v2, v2
	s_waitcnt lgkmcnt(0)
	v_add_nc_u32_e32 v2, v2, v77
	s_delay_alu instid0(VALU_DEP_1) | instskip(NEXT) | instid1(VALU_DEP_1)
	v_lshlrev_b64 v[40:41], 3, v[2:3]
	v_add_co_u32 v40, s17, s46, v40
	s_delay_alu instid0(VALU_DEP_1) | instskip(SKIP_3) | instid1(VALU_DEP_1)
	v_add_co_ci_u32_e64 v41, s17, s47, v41, s17
	global_store_b64 v[40:41], v[36:37], off
	s_or_b32 exec_lo, exec_lo, s18
	v_cmp_lt_u32_e64 s17, v78, v177
	s_and_saveexec_b32 s19, s17
	s_cbranch_execnz .LBB712_179
.LBB712_194:                            ;   in Loop: Header=BB712_98 Depth=2
	s_or_b32 exec_lo, exec_lo, s19
	v_cmp_lt_u32_e64 s18, v79, v177
	s_delay_alu instid0(VALU_DEP_1)
	s_and_saveexec_b32 s20, s18
	s_cbranch_execz .LBB712_180
.LBB712_195:                            ;   in Loop: Header=BB712_98 Depth=2
	ds_load_b64 v[36:37], v110 offset:6144
	s_waitcnt lgkmcnt(0)
	v_lshrrev_b64 v[40:41], s41, v[36:37]
	v_xor_b32_e32 v37, 0x7fffffff, v37
	v_not_b32_e32 v36, v36
	s_delay_alu instid0(VALU_DEP_3) | instskip(NEXT) | instid1(VALU_DEP_1)
	v_and_b32_e32 v2, s43, v40
	v_lshlrev_b32_e32 v2, 2, v2
	ds_load_b32 v2, v2
	s_waitcnt lgkmcnt(0)
	v_add_nc_u32_e32 v2, v2, v79
	s_delay_alu instid0(VALU_DEP_1) | instskip(NEXT) | instid1(VALU_DEP_1)
	v_lshlrev_b64 v[40:41], 3, v[2:3]
	v_add_co_u32 v40, s19, s46, v40
	s_delay_alu instid0(VALU_DEP_1) | instskip(SKIP_3) | instid1(VALU_DEP_1)
	v_add_co_ci_u32_e64 v41, s19, s47, v41, s19
	global_store_b64 v[40:41], v[36:37], off
	s_or_b32 exec_lo, exec_lo, s20
	v_cmp_lt_u32_e64 s19, v83, v177
	s_and_saveexec_b32 s21, s19
	s_cbranch_execnz .LBB712_181
.LBB712_196:                            ;   in Loop: Header=BB712_98 Depth=2
	s_or_b32 exec_lo, exec_lo, s21
	v_cmp_lt_u32_e64 s20, v84, v177
	s_delay_alu instid0(VALU_DEP_1)
	s_and_saveexec_b32 s22, s20
	s_cbranch_execz .LBB712_182
.LBB712_197:                            ;   in Loop: Header=BB712_98 Depth=2
	ds_load_b64 v[36:37], v110 offset:10240
	s_waitcnt lgkmcnt(0)
	v_lshrrev_b64 v[40:41], s41, v[36:37]
	v_xor_b32_e32 v37, 0x7fffffff, v37
	v_not_b32_e32 v36, v36
	s_delay_alu instid0(VALU_DEP_3) | instskip(NEXT) | instid1(VALU_DEP_1)
	v_and_b32_e32 v2, s43, v40
	v_lshlrev_b32_e32 v2, 2, v2
	ds_load_b32 v2, v2
	s_waitcnt lgkmcnt(0)
	v_add_nc_u32_e32 v2, v2, v84
	s_delay_alu instid0(VALU_DEP_1) | instskip(NEXT) | instid1(VALU_DEP_1)
	v_lshlrev_b64 v[40:41], 3, v[2:3]
	v_add_co_u32 v40, s21, s46, v40
	s_delay_alu instid0(VALU_DEP_1) | instskip(SKIP_3) | instid1(VALU_DEP_1)
	v_add_co_ci_u32_e64 v41, s21, s47, v41, s21
	global_store_b64 v[40:41], v[36:37], off
	s_or_b32 exec_lo, exec_lo, s22
	v_cmp_lt_u32_e64 s21, v85, v177
	s_and_saveexec_b32 s23, s21
	s_cbranch_execnz .LBB712_183
.LBB712_198:                            ;   in Loop: Header=BB712_98 Depth=2
	s_or_b32 exec_lo, exec_lo, s23
	v_cmp_lt_u32_e64 s22, v86, v177
	s_delay_alu instid0(VALU_DEP_1)
	s_and_saveexec_b32 s24, s22
	s_cbranch_execz .LBB712_184
.LBB712_199:                            ;   in Loop: Header=BB712_98 Depth=2
	ds_load_b64 v[36:37], v110 offset:14336
	s_waitcnt lgkmcnt(0)
	v_lshrrev_b64 v[40:41], s41, v[36:37]
	v_xor_b32_e32 v37, 0x7fffffff, v37
	v_not_b32_e32 v36, v36
	s_delay_alu instid0(VALU_DEP_3) | instskip(NEXT) | instid1(VALU_DEP_1)
	v_and_b32_e32 v2, s43, v40
	v_lshlrev_b32_e32 v2, 2, v2
	ds_load_b32 v2, v2
	s_waitcnt lgkmcnt(0)
	v_add_nc_u32_e32 v2, v2, v86
	s_delay_alu instid0(VALU_DEP_1) | instskip(NEXT) | instid1(VALU_DEP_1)
	v_lshlrev_b64 v[40:41], 3, v[2:3]
	v_add_co_u32 v40, s23, s46, v40
	s_delay_alu instid0(VALU_DEP_1) | instskip(SKIP_3) | instid1(VALU_DEP_1)
	v_add_co_ci_u32_e64 v41, s23, s47, v41, s23
	global_store_b64 v[40:41], v[36:37], off
	s_or_b32 exec_lo, exec_lo, s24
	v_cmp_lt_u32_e64 s23, v87, v177
	s_and_saveexec_b32 s25, s23
	s_cbranch_execnz .LBB712_185
.LBB712_200:                            ;   in Loop: Header=BB712_98 Depth=2
	s_or_b32 exec_lo, exec_lo, s25
	v_cmp_lt_u32_e64 s24, v88, v177
	s_delay_alu instid0(VALU_DEP_1)
	s_and_saveexec_b32 s26, s24
	s_cbranch_execz .LBB712_186
.LBB712_201:                            ;   in Loop: Header=BB712_98 Depth=2
	ds_load_b64 v[36:37], v110 offset:18432
	s_waitcnt lgkmcnt(0)
	v_lshrrev_b64 v[40:41], s41, v[36:37]
	v_xor_b32_e32 v37, 0x7fffffff, v37
	v_not_b32_e32 v36, v36
	s_delay_alu instid0(VALU_DEP_3) | instskip(NEXT) | instid1(VALU_DEP_1)
	v_and_b32_e32 v2, s43, v40
	v_lshlrev_b32_e32 v2, 2, v2
	ds_load_b32 v2, v2
	s_waitcnt lgkmcnt(0)
	v_add_nc_u32_e32 v2, v2, v88
	s_delay_alu instid0(VALU_DEP_1) | instskip(NEXT) | instid1(VALU_DEP_1)
	v_lshlrev_b64 v[40:41], 3, v[2:3]
	v_add_co_u32 v40, s25, s46, v40
	s_delay_alu instid0(VALU_DEP_1) | instskip(SKIP_3) | instid1(VALU_DEP_1)
	v_add_co_ci_u32_e64 v41, s25, s47, v41, s25
	global_store_b64 v[40:41], v[36:37], off
	s_or_b32 exec_lo, exec_lo, s26
	v_cmp_lt_u32_e64 s25, v89, v177
	s_and_saveexec_b32 s27, s25
	s_cbranch_execnz .LBB712_187
.LBB712_202:                            ;   in Loop: Header=BB712_98 Depth=2
	s_or_b32 exec_lo, exec_lo, s27
	v_cmp_lt_u32_e64 s26, v90, v177
	s_delay_alu instid0(VALU_DEP_1)
	s_and_saveexec_b32 s29, s26
	s_cbranch_execz .LBB712_188
.LBB712_203:                            ;   in Loop: Header=BB712_98 Depth=2
	ds_load_b64 v[36:37], v110 offset:22528
	s_waitcnt lgkmcnt(0)
	v_lshrrev_b64 v[40:41], s41, v[36:37]
	v_xor_b32_e32 v37, 0x7fffffff, v37
	v_not_b32_e32 v36, v36
	s_delay_alu instid0(VALU_DEP_3) | instskip(NEXT) | instid1(VALU_DEP_1)
	v_and_b32_e32 v2, s43, v40
	v_lshlrev_b32_e32 v2, 2, v2
	ds_load_b32 v2, v2
	s_waitcnt lgkmcnt(0)
	v_add_nc_u32_e32 v2, v2, v90
	s_delay_alu instid0(VALU_DEP_1) | instskip(NEXT) | instid1(VALU_DEP_1)
	v_lshlrev_b64 v[40:41], 3, v[2:3]
	v_add_co_u32 v40, s27, s46, v40
	s_delay_alu instid0(VALU_DEP_1) | instskip(SKIP_3) | instid1(VALU_DEP_1)
	v_add_co_ci_u32_e64 v41, s27, s47, v41, s27
	global_store_b64 v[40:41], v[36:37], off
	s_or_b32 exec_lo, exec_lo, s29
	v_cmp_lt_u32_e64 s27, v91, v177
	s_and_saveexec_b32 s30, s27
	s_cbranch_execnz .LBB712_189
.LBB712_204:                            ;   in Loop: Header=BB712_98 Depth=2
	s_or_b32 exec_lo, exec_lo, s30
	v_cmp_lt_u32_e64 s29, v92, v177
	s_delay_alu instid0(VALU_DEP_1)
	s_and_saveexec_b32 s31, s29
	s_cbranch_execz .LBB712_190
.LBB712_205:                            ;   in Loop: Header=BB712_98 Depth=2
	ds_load_b64 v[36:37], v110 offset:26624
	s_waitcnt lgkmcnt(0)
	v_lshrrev_b64 v[40:41], s41, v[36:37]
	v_xor_b32_e32 v37, 0x7fffffff, v37
	v_not_b32_e32 v36, v36
	s_delay_alu instid0(VALU_DEP_3) | instskip(NEXT) | instid1(VALU_DEP_1)
	v_and_b32_e32 v2, s43, v40
	v_lshlrev_b32_e32 v2, 2, v2
	ds_load_b32 v2, v2
	s_waitcnt lgkmcnt(0)
	v_add_nc_u32_e32 v2, v2, v92
	s_delay_alu instid0(VALU_DEP_1) | instskip(NEXT) | instid1(VALU_DEP_1)
	v_lshlrev_b64 v[40:41], 3, v[2:3]
	v_add_co_u32 v40, s30, s46, v40
	s_delay_alu instid0(VALU_DEP_1) | instskip(SKIP_3) | instid1(VALU_DEP_1)
	v_add_co_ci_u32_e64 v41, s30, s47, v41, s30
	global_store_b64 v[40:41], v[36:37], off
	s_or_b32 exec_lo, exec_lo, s31
	v_cmp_lt_u32_e64 s30, v93, v177
	s_and_saveexec_b32 s33, s30
	s_cbranch_execnz .LBB712_191
.LBB712_206:                            ;   in Loop: Header=BB712_98 Depth=2
	s_or_b32 exec_lo, exec_lo, s33
	v_cmp_lt_u32_e64 s31, v95, v177
	s_delay_alu instid0(VALU_DEP_1)
	s_and_saveexec_b32 s39, s31
	s_cbranch_execz .LBB712_208
.LBB712_207:                            ;   in Loop: Header=BB712_98 Depth=2
	ds_load_b64 v[36:37], v110 offset:30720
	s_waitcnt lgkmcnt(0)
	v_lshrrev_b64 v[40:41], s41, v[36:37]
	v_xor_b32_e32 v37, 0x7fffffff, v37
	v_not_b32_e32 v36, v36
	s_delay_alu instid0(VALU_DEP_3) | instskip(NEXT) | instid1(VALU_DEP_1)
	v_and_b32_e32 v2, s43, v40
	v_lshlrev_b32_e32 v2, 2, v2
	ds_load_b32 v2, v2
	s_waitcnt lgkmcnt(0)
	v_add_nc_u32_e32 v2, v2, v95
	s_delay_alu instid0(VALU_DEP_1) | instskip(NEXT) | instid1(VALU_DEP_1)
	v_lshlrev_b64 v[40:41], 3, v[2:3]
	v_add_co_u32 v40, s33, s46, v40
	s_delay_alu instid0(VALU_DEP_1)
	v_add_co_ci_u32_e64 v41, s33, s47, v41, s33
	global_store_b64 v[40:41], v[36:37], off
.LBB712_208:                            ;   in Loop: Header=BB712_98 Depth=2
	s_or_b32 exec_lo, exec_lo, s39
	s_mov_b32 s39, s34
	s_delay_alu instid0(SALU_CYCLE_1) | instskip(NEXT) | instid1(SALU_CYCLE_1)
	s_lshl_b64 s[38:39], s[38:39], 3
	v_add_co_u32 v36, s33, v139, s38
	s_delay_alu instid0(VALU_DEP_1) | instskip(SKIP_1) | instid1(VALU_DEP_1)
	v_add_co_ci_u32_e64 v37, s33, s39, v140, s33
	v_cmp_lt_u32_e64 s33, v138, v177
	s_and_saveexec_b32 s38, s33
	s_delay_alu instid0(SALU_CYCLE_1)
	s_xor_b32 s33, exec_lo, s38
	s_cbranch_execz .LBB712_240
; %bb.209:                              ;   in Loop: Header=BB712_98 Depth=2
	global_load_b64 v[34:35], v[36:37], off
	s_or_b32 exec_lo, exec_lo, s33
	s_delay_alu instid0(SALU_CYCLE_1)
	s_mov_b32 s38, exec_lo
	v_cmpx_lt_u32_e64 v141, v177
	s_cbranch_execnz .LBB712_241
.LBB712_210:                            ;   in Loop: Header=BB712_98 Depth=2
	s_or_b32 exec_lo, exec_lo, s38
	s_delay_alu instid0(SALU_CYCLE_1)
	s_mov_b32 s38, exec_lo
	v_cmpx_lt_u32_e64 v142, v177
	s_cbranch_execz .LBB712_242
.LBB712_211:                            ;   in Loop: Header=BB712_98 Depth=2
	global_load_b64 v[30:31], v[36:37], off offset:512
	s_or_b32 exec_lo, exec_lo, s38
	s_delay_alu instid0(SALU_CYCLE_1)
	s_mov_b32 s38, exec_lo
	v_cmpx_lt_u32_e64 v143, v177
	s_cbranch_execnz .LBB712_243
.LBB712_212:                            ;   in Loop: Header=BB712_98 Depth=2
	s_or_b32 exec_lo, exec_lo, s38
	s_delay_alu instid0(SALU_CYCLE_1)
	s_mov_b32 s38, exec_lo
	v_cmpx_lt_u32_e64 v144, v177
	s_cbranch_execz .LBB712_244
.LBB712_213:                            ;   in Loop: Header=BB712_98 Depth=2
	global_load_b64 v[26:27], v[36:37], off offset:1024
	s_or_b32 exec_lo, exec_lo, s38
	s_delay_alu instid0(SALU_CYCLE_1)
	s_mov_b32 s38, exec_lo
	v_cmpx_lt_u32_e64 v145, v177
	s_cbranch_execnz .LBB712_245
.LBB712_214:                            ;   in Loop: Header=BB712_98 Depth=2
	s_or_b32 exec_lo, exec_lo, s38
	s_delay_alu instid0(SALU_CYCLE_1)
	s_mov_b32 s38, exec_lo
	v_cmpx_lt_u32_e64 v146, v177
	s_cbranch_execz .LBB712_246
.LBB712_215:                            ;   in Loop: Header=BB712_98 Depth=2
	global_load_b64 v[22:23], v[36:37], off offset:1536
	s_or_b32 exec_lo, exec_lo, s38
	s_delay_alu instid0(SALU_CYCLE_1)
	s_mov_b32 s38, exec_lo
	v_cmpx_lt_u32_e64 v147, v177
	s_cbranch_execnz .LBB712_247
.LBB712_216:                            ;   in Loop: Header=BB712_98 Depth=2
	s_or_b32 exec_lo, exec_lo, s38
	s_delay_alu instid0(SALU_CYCLE_1)
	s_mov_b32 s38, exec_lo
	v_cmpx_lt_u32_e64 v148, v177
	s_cbranch_execz .LBB712_248
.LBB712_217:                            ;   in Loop: Header=BB712_98 Depth=2
	global_load_b64 v[18:19], v[36:37], off offset:2048
	s_or_b32 exec_lo, exec_lo, s38
	s_delay_alu instid0(SALU_CYCLE_1)
	s_mov_b32 s38, exec_lo
	v_cmpx_lt_u32_e64 v149, v177
	s_cbranch_execnz .LBB712_249
.LBB712_218:                            ;   in Loop: Header=BB712_98 Depth=2
	s_or_b32 exec_lo, exec_lo, s38
	s_delay_alu instid0(SALU_CYCLE_1)
	s_mov_b32 s38, exec_lo
	v_cmpx_lt_u32_e64 v150, v177
	s_cbranch_execz .LBB712_250
.LBB712_219:                            ;   in Loop: Header=BB712_98 Depth=2
	global_load_b64 v[14:15], v[36:37], off offset:2560
	s_or_b32 exec_lo, exec_lo, s38
	s_delay_alu instid0(SALU_CYCLE_1)
	s_mov_b32 s38, exec_lo
	v_cmpx_lt_u32_e64 v151, v177
	s_cbranch_execnz .LBB712_251
.LBB712_220:                            ;   in Loop: Header=BB712_98 Depth=2
	s_or_b32 exec_lo, exec_lo, s38
	s_delay_alu instid0(SALU_CYCLE_1)
	s_mov_b32 s38, exec_lo
	v_cmpx_lt_u32_e64 v152, v177
	s_cbranch_execz .LBB712_252
.LBB712_221:                            ;   in Loop: Header=BB712_98 Depth=2
	global_load_b64 v[10:11], v[36:37], off offset:3072
	s_or_b32 exec_lo, exec_lo, s38
	s_delay_alu instid0(SALU_CYCLE_1)
	s_mov_b32 s38, exec_lo
	v_cmpx_lt_u32_e64 v153, v177
	s_cbranch_execnz .LBB712_253
.LBB712_222:                            ;   in Loop: Header=BB712_98 Depth=2
	s_or_b32 exec_lo, exec_lo, s38
	s_delay_alu instid0(SALU_CYCLE_1)
	s_mov_b32 s38, exec_lo
	v_cmpx_lt_u32_e64 v154, v177
	s_cbranch_execz .LBB712_254
.LBB712_223:                            ;   in Loop: Header=BB712_98 Depth=2
	global_load_b64 v[6:7], v[36:37], off offset:3584
	s_or_b32 exec_lo, exec_lo, s38
	s_delay_alu instid0(SALU_CYCLE_1)
	s_mov_b32 s38, exec_lo
	v_cmpx_lt_u32_e64 v155, v177
	s_cbranch_execnz .LBB712_255
.LBB712_224:                            ;   in Loop: Header=BB712_98 Depth=2
	s_or_b32 exec_lo, exec_lo, s38
	s_and_saveexec_b32 s33, vcc_lo
	s_cbranch_execz .LBB712_256
.LBB712_225:                            ;   in Loop: Header=BB712_98 Depth=2
	v_add_nc_u32_e32 v2, v104, v76
	ds_load_b64 v[36:37], v2 offset:1024
	s_waitcnt lgkmcnt(0)
	v_lshrrev_b64 v[36:37], s41, v[36:37]
	s_delay_alu instid0(VALU_DEP_1)
	v_and_b32_e32 v176, s43, v36
	s_or_b32 exec_lo, exec_lo, s33
	s_and_saveexec_b32 s33, s16
	s_cbranch_execnz .LBB712_257
.LBB712_226:                            ;   in Loop: Header=BB712_98 Depth=2
	s_or_b32 exec_lo, exec_lo, s33
	s_and_saveexec_b32 s33, s17
	s_cbranch_execz .LBB712_258
.LBB712_227:                            ;   in Loop: Header=BB712_98 Depth=2
	ds_load_b64 v[36:37], v110 offset:4096
	s_waitcnt lgkmcnt(0)
	v_lshrrev_b64 v[36:37], s41, v[36:37]
	s_delay_alu instid0(VALU_DEP_1)
	v_and_b32_e32 v174, s43, v36
	s_or_b32 exec_lo, exec_lo, s33
	s_and_saveexec_b32 s33, s18
	s_cbranch_execnz .LBB712_259
.LBB712_228:                            ;   in Loop: Header=BB712_98 Depth=2
	s_or_b32 exec_lo, exec_lo, s33
	s_and_saveexec_b32 s33, s19
	s_cbranch_execz .LBB712_260
.LBB712_229:                            ;   in Loop: Header=BB712_98 Depth=2
	ds_load_b64 v[36:37], v110 offset:8192
	s_waitcnt lgkmcnt(0)
	v_lshrrev_b64 v[36:37], s41, v[36:37]
	s_delay_alu instid0(VALU_DEP_1)
	v_and_b32_e32 v172, s43, v36
	s_or_b32 exec_lo, exec_lo, s33
	s_and_saveexec_b32 s33, s20
	s_cbranch_execnz .LBB712_261
.LBB712_230:                            ;   in Loop: Header=BB712_98 Depth=2
	s_or_b32 exec_lo, exec_lo, s33
	s_and_saveexec_b32 s33, s21
	s_cbranch_execz .LBB712_262
.LBB712_231:                            ;   in Loop: Header=BB712_98 Depth=2
	ds_load_b64 v[36:37], v110 offset:12288
	s_waitcnt lgkmcnt(0)
	v_lshrrev_b64 v[36:37], s41, v[36:37]
	s_delay_alu instid0(VALU_DEP_1)
	v_and_b32_e32 v170, s43, v36
	s_or_b32 exec_lo, exec_lo, s33
	s_and_saveexec_b32 s33, s22
	s_cbranch_execnz .LBB712_263
.LBB712_232:                            ;   in Loop: Header=BB712_98 Depth=2
	s_or_b32 exec_lo, exec_lo, s33
	s_and_saveexec_b32 s33, s23
	s_cbranch_execz .LBB712_264
.LBB712_233:                            ;   in Loop: Header=BB712_98 Depth=2
	ds_load_b64 v[36:37], v110 offset:16384
	s_waitcnt lgkmcnt(0)
	v_lshrrev_b64 v[36:37], s41, v[36:37]
	s_delay_alu instid0(VALU_DEP_1)
	v_and_b32_e32 v168, s43, v36
	s_or_b32 exec_lo, exec_lo, s33
	s_and_saveexec_b32 s33, s24
	s_cbranch_execnz .LBB712_265
.LBB712_234:                            ;   in Loop: Header=BB712_98 Depth=2
	s_or_b32 exec_lo, exec_lo, s33
	s_and_saveexec_b32 s33, s25
	s_cbranch_execz .LBB712_266
.LBB712_235:                            ;   in Loop: Header=BB712_98 Depth=2
	ds_load_b64 v[36:37], v110 offset:20480
	s_waitcnt lgkmcnt(0)
	v_lshrrev_b64 v[36:37], s41, v[36:37]
	s_delay_alu instid0(VALU_DEP_1)
	v_and_b32_e32 v166, s43, v36
	s_or_b32 exec_lo, exec_lo, s33
	s_and_saveexec_b32 s33, s26
	s_cbranch_execnz .LBB712_267
.LBB712_236:                            ;   in Loop: Header=BB712_98 Depth=2
	s_or_b32 exec_lo, exec_lo, s33
	s_and_saveexec_b32 s33, s27
	s_cbranch_execz .LBB712_268
.LBB712_237:                            ;   in Loop: Header=BB712_98 Depth=2
	ds_load_b64 v[36:37], v110 offset:24576
	s_waitcnt lgkmcnt(0)
	v_lshrrev_b64 v[36:37], s41, v[36:37]
	s_delay_alu instid0(VALU_DEP_1)
	v_and_b32_e32 v164, s43, v36
	s_or_b32 exec_lo, exec_lo, s33
	s_and_saveexec_b32 s33, s29
	s_cbranch_execnz .LBB712_269
.LBB712_238:                            ;   in Loop: Header=BB712_98 Depth=2
	s_or_b32 exec_lo, exec_lo, s33
	s_and_saveexec_b32 s33, s30
	s_cbranch_execz .LBB712_270
.LBB712_239:                            ;   in Loop: Header=BB712_98 Depth=2
	ds_load_b64 v[36:37], v110 offset:28672
	s_waitcnt lgkmcnt(0)
	v_lshrrev_b64 v[36:37], s41, v[36:37]
	s_delay_alu instid0(VALU_DEP_1)
	v_and_b32_e32 v162, s43, v36
	s_or_b32 exec_lo, exec_lo, s33
	s_and_saveexec_b32 s33, s31
	s_cbranch_execnz .LBB712_271
	s_branch .LBB712_272
.LBB712_240:                            ;   in Loop: Header=BB712_98 Depth=2
	s_or_b32 exec_lo, exec_lo, s33
	s_delay_alu instid0(SALU_CYCLE_1)
	s_mov_b32 s38, exec_lo
	v_cmpx_lt_u32_e64 v141, v177
	s_cbranch_execz .LBB712_210
.LBB712_241:                            ;   in Loop: Header=BB712_98 Depth=2
	global_load_b64 v[32:33], v[36:37], off offset:256
	s_or_b32 exec_lo, exec_lo, s38
	s_delay_alu instid0(SALU_CYCLE_1)
	s_mov_b32 s38, exec_lo
	v_cmpx_lt_u32_e64 v142, v177
	s_cbranch_execnz .LBB712_211
.LBB712_242:                            ;   in Loop: Header=BB712_98 Depth=2
	s_or_b32 exec_lo, exec_lo, s38
	s_delay_alu instid0(SALU_CYCLE_1)
	s_mov_b32 s38, exec_lo
	v_cmpx_lt_u32_e64 v143, v177
	s_cbranch_execz .LBB712_212
.LBB712_243:                            ;   in Loop: Header=BB712_98 Depth=2
	global_load_b64 v[28:29], v[36:37], off offset:768
	s_or_b32 exec_lo, exec_lo, s38
	s_delay_alu instid0(SALU_CYCLE_1)
	s_mov_b32 s38, exec_lo
	v_cmpx_lt_u32_e64 v144, v177
	s_cbranch_execnz .LBB712_213
.LBB712_244:                            ;   in Loop: Header=BB712_98 Depth=2
	s_or_b32 exec_lo, exec_lo, s38
	s_delay_alu instid0(SALU_CYCLE_1)
	s_mov_b32 s38, exec_lo
	v_cmpx_lt_u32_e64 v145, v177
	s_cbranch_execz .LBB712_214
.LBB712_245:                            ;   in Loop: Header=BB712_98 Depth=2
	global_load_b64 v[24:25], v[36:37], off offset:1280
	s_or_b32 exec_lo, exec_lo, s38
	s_delay_alu instid0(SALU_CYCLE_1)
	s_mov_b32 s38, exec_lo
	v_cmpx_lt_u32_e64 v146, v177
	s_cbranch_execnz .LBB712_215
.LBB712_246:                            ;   in Loop: Header=BB712_98 Depth=2
	s_or_b32 exec_lo, exec_lo, s38
	s_delay_alu instid0(SALU_CYCLE_1)
	s_mov_b32 s38, exec_lo
	v_cmpx_lt_u32_e64 v147, v177
	s_cbranch_execz .LBB712_216
.LBB712_247:                            ;   in Loop: Header=BB712_98 Depth=2
	global_load_b64 v[20:21], v[36:37], off offset:1792
	s_or_b32 exec_lo, exec_lo, s38
	s_delay_alu instid0(SALU_CYCLE_1)
	s_mov_b32 s38, exec_lo
	v_cmpx_lt_u32_e64 v148, v177
	s_cbranch_execnz .LBB712_217
.LBB712_248:                            ;   in Loop: Header=BB712_98 Depth=2
	s_or_b32 exec_lo, exec_lo, s38
	s_delay_alu instid0(SALU_CYCLE_1)
	s_mov_b32 s38, exec_lo
	v_cmpx_lt_u32_e64 v149, v177
	s_cbranch_execz .LBB712_218
.LBB712_249:                            ;   in Loop: Header=BB712_98 Depth=2
	global_load_b64 v[16:17], v[36:37], off offset:2304
	s_or_b32 exec_lo, exec_lo, s38
	s_delay_alu instid0(SALU_CYCLE_1)
	s_mov_b32 s38, exec_lo
	v_cmpx_lt_u32_e64 v150, v177
	s_cbranch_execnz .LBB712_219
.LBB712_250:                            ;   in Loop: Header=BB712_98 Depth=2
	s_or_b32 exec_lo, exec_lo, s38
	s_delay_alu instid0(SALU_CYCLE_1)
	s_mov_b32 s38, exec_lo
	v_cmpx_lt_u32_e64 v151, v177
	s_cbranch_execz .LBB712_220
.LBB712_251:                            ;   in Loop: Header=BB712_98 Depth=2
	global_load_b64 v[12:13], v[36:37], off offset:2816
	s_or_b32 exec_lo, exec_lo, s38
	s_delay_alu instid0(SALU_CYCLE_1)
	s_mov_b32 s38, exec_lo
	v_cmpx_lt_u32_e64 v152, v177
	s_cbranch_execnz .LBB712_221
.LBB712_252:                            ;   in Loop: Header=BB712_98 Depth=2
	s_or_b32 exec_lo, exec_lo, s38
	s_delay_alu instid0(SALU_CYCLE_1)
	s_mov_b32 s38, exec_lo
	v_cmpx_lt_u32_e64 v153, v177
	s_cbranch_execz .LBB712_222
.LBB712_253:                            ;   in Loop: Header=BB712_98 Depth=2
	global_load_b64 v[8:9], v[36:37], off offset:3328
	s_or_b32 exec_lo, exec_lo, s38
	s_delay_alu instid0(SALU_CYCLE_1)
	s_mov_b32 s38, exec_lo
	v_cmpx_lt_u32_e64 v154, v177
	s_cbranch_execnz .LBB712_223
.LBB712_254:                            ;   in Loop: Header=BB712_98 Depth=2
	s_or_b32 exec_lo, exec_lo, s38
	s_delay_alu instid0(SALU_CYCLE_1)
	s_mov_b32 s38, exec_lo
	v_cmpx_lt_u32_e64 v155, v177
	s_cbranch_execz .LBB712_224
.LBB712_255:                            ;   in Loop: Header=BB712_98 Depth=2
	global_load_b64 v[4:5], v[36:37], off offset:3840
	s_or_b32 exec_lo, exec_lo, s38
	s_and_saveexec_b32 s33, vcc_lo
	s_cbranch_execnz .LBB712_225
.LBB712_256:                            ;   in Loop: Header=BB712_98 Depth=2
	s_or_b32 exec_lo, exec_lo, s33
	s_and_saveexec_b32 s33, s16
	s_cbranch_execz .LBB712_226
.LBB712_257:                            ;   in Loop: Header=BB712_98 Depth=2
	ds_load_b64 v[36:37], v110 offset:2048
	s_waitcnt lgkmcnt(0)
	v_lshrrev_b64 v[36:37], s41, v[36:37]
	s_delay_alu instid0(VALU_DEP_1)
	v_and_b32_e32 v175, s43, v36
	s_or_b32 exec_lo, exec_lo, s33
	s_and_saveexec_b32 s33, s17
	s_cbranch_execnz .LBB712_227
.LBB712_258:                            ;   in Loop: Header=BB712_98 Depth=2
	s_or_b32 exec_lo, exec_lo, s33
	s_and_saveexec_b32 s33, s18
	s_cbranch_execz .LBB712_228
.LBB712_259:                            ;   in Loop: Header=BB712_98 Depth=2
	ds_load_b64 v[36:37], v110 offset:6144
	s_waitcnt lgkmcnt(0)
	v_lshrrev_b64 v[36:37], s41, v[36:37]
	s_delay_alu instid0(VALU_DEP_1)
	v_and_b32_e32 v173, s43, v36
	s_or_b32 exec_lo, exec_lo, s33
	s_and_saveexec_b32 s33, s19
	s_cbranch_execnz .LBB712_229
.LBB712_260:                            ;   in Loop: Header=BB712_98 Depth=2
	s_or_b32 exec_lo, exec_lo, s33
	s_and_saveexec_b32 s33, s20
	s_cbranch_execz .LBB712_230
.LBB712_261:                            ;   in Loop: Header=BB712_98 Depth=2
	ds_load_b64 v[36:37], v110 offset:10240
	s_waitcnt lgkmcnt(0)
	v_lshrrev_b64 v[36:37], s41, v[36:37]
	s_delay_alu instid0(VALU_DEP_1)
	v_and_b32_e32 v171, s43, v36
	s_or_b32 exec_lo, exec_lo, s33
	s_and_saveexec_b32 s33, s21
	s_cbranch_execnz .LBB712_231
.LBB712_262:                            ;   in Loop: Header=BB712_98 Depth=2
	s_or_b32 exec_lo, exec_lo, s33
	s_and_saveexec_b32 s33, s22
	s_cbranch_execz .LBB712_232
.LBB712_263:                            ;   in Loop: Header=BB712_98 Depth=2
	ds_load_b64 v[36:37], v110 offset:14336
	s_waitcnt lgkmcnt(0)
	v_lshrrev_b64 v[36:37], s41, v[36:37]
	s_delay_alu instid0(VALU_DEP_1)
	v_and_b32_e32 v169, s43, v36
	s_or_b32 exec_lo, exec_lo, s33
	s_and_saveexec_b32 s33, s23
	s_cbranch_execnz .LBB712_233
.LBB712_264:                            ;   in Loop: Header=BB712_98 Depth=2
	s_or_b32 exec_lo, exec_lo, s33
	s_and_saveexec_b32 s33, s24
	s_cbranch_execz .LBB712_234
.LBB712_265:                            ;   in Loop: Header=BB712_98 Depth=2
	ds_load_b64 v[36:37], v110 offset:18432
	s_waitcnt lgkmcnt(0)
	v_lshrrev_b64 v[36:37], s41, v[36:37]
	s_delay_alu instid0(VALU_DEP_1)
	v_and_b32_e32 v167, s43, v36
	s_or_b32 exec_lo, exec_lo, s33
	s_and_saveexec_b32 s33, s25
	s_cbranch_execnz .LBB712_235
.LBB712_266:                            ;   in Loop: Header=BB712_98 Depth=2
	s_or_b32 exec_lo, exec_lo, s33
	s_and_saveexec_b32 s33, s26
	s_cbranch_execz .LBB712_236
.LBB712_267:                            ;   in Loop: Header=BB712_98 Depth=2
	ds_load_b64 v[36:37], v110 offset:22528
	s_waitcnt lgkmcnt(0)
	v_lshrrev_b64 v[36:37], s41, v[36:37]
	s_delay_alu instid0(VALU_DEP_1)
	v_and_b32_e32 v165, s43, v36
	s_or_b32 exec_lo, exec_lo, s33
	s_and_saveexec_b32 s33, s27
	s_cbranch_execnz .LBB712_237
.LBB712_268:                            ;   in Loop: Header=BB712_98 Depth=2
	s_or_b32 exec_lo, exec_lo, s33
	s_and_saveexec_b32 s33, s29
	s_cbranch_execz .LBB712_238
.LBB712_269:                            ;   in Loop: Header=BB712_98 Depth=2
	ds_load_b64 v[36:37], v110 offset:26624
	s_waitcnt lgkmcnt(0)
	v_lshrrev_b64 v[36:37], s41, v[36:37]
	s_delay_alu instid0(VALU_DEP_1)
	v_and_b32_e32 v163, s43, v36
	s_or_b32 exec_lo, exec_lo, s33
	s_and_saveexec_b32 s33, s30
	s_cbranch_execnz .LBB712_239
.LBB712_270:                            ;   in Loop: Header=BB712_98 Depth=2
	s_or_b32 exec_lo, exec_lo, s33
	s_and_saveexec_b32 s33, s31
	s_cbranch_execz .LBB712_272
.LBB712_271:                            ;   in Loop: Header=BB712_98 Depth=2
	ds_load_b64 v[36:37], v110 offset:30720
	s_waitcnt lgkmcnt(0)
	v_lshrrev_b64 v[36:37], s41, v[36:37]
	s_delay_alu instid0(VALU_DEP_1)
	v_and_b32_e32 v161, s43, v36
.LBB712_272:                            ;   in Loop: Header=BB712_98 Depth=2
	s_or_b32 exec_lo, exec_lo, s33
	v_add_nc_u32_e32 v2, 0x400, v69
	v_add_nc_u32_e32 v36, 0x400, v70
	;; [unrolled: 1-line block ×16, first 2 shown]
	s_waitcnt vmcnt(0)
	s_waitcnt_vscnt null, 0x0
	s_barrier
	buffer_gl0_inv
	ds_store_b64 v2, v[34:35]
	ds_store_b64 v36, v[32:33]
	;; [unrolled: 1-line block ×16, first 2 shown]
	s_waitcnt lgkmcnt(0)
	s_barrier
	buffer_gl0_inv
	s_and_saveexec_b32 s33, vcc_lo
	s_cbranch_execz .LBB712_288
; %bb.273:                              ;   in Loop: Header=BB712_98 Depth=2
	v_lshlrev_b32_e32 v2, 2, v176
	v_add_nc_u32_e32 v36, v104, v76
	ds_load_b32 v2, v2
	ds_load_b64 v[36:37], v36 offset:1024
	s_waitcnt lgkmcnt(1)
	v_add_nc_u32_e32 v2, v2, v1
	s_delay_alu instid0(VALU_DEP_1) | instskip(NEXT) | instid1(VALU_DEP_1)
	v_lshlrev_b64 v[38:39], 3, v[2:3]
	v_add_co_u32 v38, vcc_lo, s52, v38
	s_delay_alu instid0(VALU_DEP_2)
	v_add_co_ci_u32_e32 v39, vcc_lo, s53, v39, vcc_lo
	s_waitcnt lgkmcnt(0)
	global_store_b64 v[38:39], v[36:37], off
	s_or_b32 exec_lo, exec_lo, s33
	s_and_saveexec_b32 s33, s16
	s_cbranch_execnz .LBB712_289
.LBB712_274:                            ;   in Loop: Header=BB712_98 Depth=2
	s_or_b32 exec_lo, exec_lo, s33
	s_and_saveexec_b32 s16, s17
	s_cbranch_execz .LBB712_290
.LBB712_275:                            ;   in Loop: Header=BB712_98 Depth=2
	v_lshlrev_b32_e32 v2, 2, v174
	ds_load_b32 v2, v2
	ds_load_b64 v[36:37], v110 offset:4096
	s_waitcnt lgkmcnt(1)
	v_add_nc_u32_e32 v2, v2, v78
	s_delay_alu instid0(VALU_DEP_1) | instskip(NEXT) | instid1(VALU_DEP_1)
	v_lshlrev_b64 v[38:39], 3, v[2:3]
	v_add_co_u32 v38, vcc_lo, s52, v38
	s_delay_alu instid0(VALU_DEP_2)
	v_add_co_ci_u32_e32 v39, vcc_lo, s53, v39, vcc_lo
	s_waitcnt lgkmcnt(0)
	global_store_b64 v[38:39], v[36:37], off
	s_or_b32 exec_lo, exec_lo, s16
	s_and_saveexec_b32 s16, s18
	s_cbranch_execnz .LBB712_291
.LBB712_276:                            ;   in Loop: Header=BB712_98 Depth=2
	s_or_b32 exec_lo, exec_lo, s16
	s_and_saveexec_b32 s16, s19
	s_cbranch_execz .LBB712_292
.LBB712_277:                            ;   in Loop: Header=BB712_98 Depth=2
	v_lshlrev_b32_e32 v2, 2, v172
	ds_load_b32 v2, v2
	ds_load_b64 v[36:37], v110 offset:8192
	s_waitcnt lgkmcnt(1)
	v_add_nc_u32_e32 v2, v2, v83
	s_delay_alu instid0(VALU_DEP_1) | instskip(NEXT) | instid1(VALU_DEP_1)
	v_lshlrev_b64 v[38:39], 3, v[2:3]
	v_add_co_u32 v38, vcc_lo, s52, v38
	s_delay_alu instid0(VALU_DEP_2)
	v_add_co_ci_u32_e32 v39, vcc_lo, s53, v39, vcc_lo
	s_waitcnt lgkmcnt(0)
	global_store_b64 v[38:39], v[36:37], off
	s_or_b32 exec_lo, exec_lo, s16
	s_and_saveexec_b32 s16, s20
	s_cbranch_execnz .LBB712_293
.LBB712_278:                            ;   in Loop: Header=BB712_98 Depth=2
	s_or_b32 exec_lo, exec_lo, s16
	s_and_saveexec_b32 s16, s21
	s_cbranch_execz .LBB712_294
.LBB712_279:                            ;   in Loop: Header=BB712_98 Depth=2
	v_lshlrev_b32_e32 v2, 2, v170
	ds_load_b32 v2, v2
	ds_load_b64 v[36:37], v110 offset:12288
	s_waitcnt lgkmcnt(1)
	v_add_nc_u32_e32 v2, v2, v85
	s_delay_alu instid0(VALU_DEP_1) | instskip(NEXT) | instid1(VALU_DEP_1)
	v_lshlrev_b64 v[38:39], 3, v[2:3]
	v_add_co_u32 v38, vcc_lo, s52, v38
	s_delay_alu instid0(VALU_DEP_2)
	v_add_co_ci_u32_e32 v39, vcc_lo, s53, v39, vcc_lo
	s_waitcnt lgkmcnt(0)
	global_store_b64 v[38:39], v[36:37], off
	s_or_b32 exec_lo, exec_lo, s16
	s_and_saveexec_b32 s16, s22
	s_cbranch_execnz .LBB712_295
.LBB712_280:                            ;   in Loop: Header=BB712_98 Depth=2
	s_or_b32 exec_lo, exec_lo, s16
	s_and_saveexec_b32 s16, s23
	s_cbranch_execz .LBB712_296
.LBB712_281:                            ;   in Loop: Header=BB712_98 Depth=2
	v_lshlrev_b32_e32 v2, 2, v168
	ds_load_b32 v2, v2
	ds_load_b64 v[36:37], v110 offset:16384
	s_waitcnt lgkmcnt(1)
	v_add_nc_u32_e32 v2, v2, v87
	s_delay_alu instid0(VALU_DEP_1) | instskip(NEXT) | instid1(VALU_DEP_1)
	v_lshlrev_b64 v[38:39], 3, v[2:3]
	v_add_co_u32 v38, vcc_lo, s52, v38
	s_delay_alu instid0(VALU_DEP_2)
	v_add_co_ci_u32_e32 v39, vcc_lo, s53, v39, vcc_lo
	s_waitcnt lgkmcnt(0)
	global_store_b64 v[38:39], v[36:37], off
	s_or_b32 exec_lo, exec_lo, s16
	s_and_saveexec_b32 s16, s24
	s_cbranch_execnz .LBB712_297
.LBB712_282:                            ;   in Loop: Header=BB712_98 Depth=2
	s_or_b32 exec_lo, exec_lo, s16
	s_and_saveexec_b32 s16, s25
	s_cbranch_execz .LBB712_298
.LBB712_283:                            ;   in Loop: Header=BB712_98 Depth=2
	v_lshlrev_b32_e32 v2, 2, v166
	ds_load_b32 v2, v2
	ds_load_b64 v[36:37], v110 offset:20480
	s_waitcnt lgkmcnt(1)
	v_add_nc_u32_e32 v2, v2, v89
	s_delay_alu instid0(VALU_DEP_1) | instskip(NEXT) | instid1(VALU_DEP_1)
	v_lshlrev_b64 v[38:39], 3, v[2:3]
	v_add_co_u32 v38, vcc_lo, s52, v38
	s_delay_alu instid0(VALU_DEP_2)
	v_add_co_ci_u32_e32 v39, vcc_lo, s53, v39, vcc_lo
	s_waitcnt lgkmcnt(0)
	global_store_b64 v[38:39], v[36:37], off
	s_or_b32 exec_lo, exec_lo, s16
	s_and_saveexec_b32 s16, s26
	s_cbranch_execnz .LBB712_299
.LBB712_284:                            ;   in Loop: Header=BB712_98 Depth=2
	s_or_b32 exec_lo, exec_lo, s16
	s_and_saveexec_b32 s16, s27
	s_cbranch_execz .LBB712_300
.LBB712_285:                            ;   in Loop: Header=BB712_98 Depth=2
	v_lshlrev_b32_e32 v2, 2, v164
	ds_load_b32 v2, v2
	ds_load_b64 v[36:37], v110 offset:24576
	s_waitcnt lgkmcnt(1)
	v_add_nc_u32_e32 v2, v2, v91
	s_delay_alu instid0(VALU_DEP_1) | instskip(NEXT) | instid1(VALU_DEP_1)
	v_lshlrev_b64 v[38:39], 3, v[2:3]
	v_add_co_u32 v38, vcc_lo, s52, v38
	s_delay_alu instid0(VALU_DEP_2)
	v_add_co_ci_u32_e32 v39, vcc_lo, s53, v39, vcc_lo
	s_waitcnt lgkmcnt(0)
	global_store_b64 v[38:39], v[36:37], off
	s_or_b32 exec_lo, exec_lo, s16
	s_and_saveexec_b32 s16, s29
	s_cbranch_execnz .LBB712_301
.LBB712_286:                            ;   in Loop: Header=BB712_98 Depth=2
	s_or_b32 exec_lo, exec_lo, s16
	s_and_saveexec_b32 s16, s30
	s_cbranch_execz .LBB712_302
.LBB712_287:                            ;   in Loop: Header=BB712_98 Depth=2
	v_lshlrev_b32_e32 v2, 2, v162
	ds_load_b32 v2, v2
	ds_load_b64 v[36:37], v110 offset:28672
	s_waitcnt lgkmcnt(1)
	v_add_nc_u32_e32 v2, v2, v93
	s_delay_alu instid0(VALU_DEP_1) | instskip(NEXT) | instid1(VALU_DEP_1)
	v_lshlrev_b64 v[38:39], 3, v[2:3]
	v_add_co_u32 v38, vcc_lo, s52, v38
	s_delay_alu instid0(VALU_DEP_2)
	v_add_co_ci_u32_e32 v39, vcc_lo, s53, v39, vcc_lo
	s_waitcnt lgkmcnt(0)
	global_store_b64 v[38:39], v[36:37], off
	s_or_b32 exec_lo, exec_lo, s16
	s_and_saveexec_b32 s16, s31
	s_cbranch_execnz .LBB712_303
	s_branch .LBB712_304
.LBB712_288:                            ;   in Loop: Header=BB712_98 Depth=2
	s_or_b32 exec_lo, exec_lo, s33
	s_and_saveexec_b32 s33, s16
	s_cbranch_execz .LBB712_274
.LBB712_289:                            ;   in Loop: Header=BB712_98 Depth=2
	v_lshlrev_b32_e32 v2, 2, v175
	ds_load_b32 v2, v2
	ds_load_b64 v[36:37], v110 offset:2048
	s_waitcnt lgkmcnt(1)
	v_add_nc_u32_e32 v2, v2, v77
	s_delay_alu instid0(VALU_DEP_1) | instskip(NEXT) | instid1(VALU_DEP_1)
	v_lshlrev_b64 v[38:39], 3, v[2:3]
	v_add_co_u32 v38, vcc_lo, s52, v38
	s_delay_alu instid0(VALU_DEP_2)
	v_add_co_ci_u32_e32 v39, vcc_lo, s53, v39, vcc_lo
	s_waitcnt lgkmcnt(0)
	global_store_b64 v[38:39], v[36:37], off
	s_or_b32 exec_lo, exec_lo, s33
	s_and_saveexec_b32 s16, s17
	s_cbranch_execnz .LBB712_275
.LBB712_290:                            ;   in Loop: Header=BB712_98 Depth=2
	s_or_b32 exec_lo, exec_lo, s16
	s_and_saveexec_b32 s16, s18
	s_cbranch_execz .LBB712_276
.LBB712_291:                            ;   in Loop: Header=BB712_98 Depth=2
	v_lshlrev_b32_e32 v2, 2, v173
	ds_load_b32 v2, v2
	ds_load_b64 v[36:37], v110 offset:6144
	s_waitcnt lgkmcnt(1)
	v_add_nc_u32_e32 v2, v2, v79
	s_delay_alu instid0(VALU_DEP_1) | instskip(NEXT) | instid1(VALU_DEP_1)
	v_lshlrev_b64 v[38:39], 3, v[2:3]
	v_add_co_u32 v38, vcc_lo, s52, v38
	s_delay_alu instid0(VALU_DEP_2)
	v_add_co_ci_u32_e32 v39, vcc_lo, s53, v39, vcc_lo
	s_waitcnt lgkmcnt(0)
	global_store_b64 v[38:39], v[36:37], off
	s_or_b32 exec_lo, exec_lo, s16
	s_and_saveexec_b32 s16, s19
	s_cbranch_execnz .LBB712_277
.LBB712_292:                            ;   in Loop: Header=BB712_98 Depth=2
	s_or_b32 exec_lo, exec_lo, s16
	s_and_saveexec_b32 s16, s20
	s_cbranch_execz .LBB712_278
.LBB712_293:                            ;   in Loop: Header=BB712_98 Depth=2
	v_lshlrev_b32_e32 v2, 2, v171
	ds_load_b32 v2, v2
	ds_load_b64 v[36:37], v110 offset:10240
	s_waitcnt lgkmcnt(1)
	v_add_nc_u32_e32 v2, v2, v84
	s_delay_alu instid0(VALU_DEP_1) | instskip(NEXT) | instid1(VALU_DEP_1)
	v_lshlrev_b64 v[38:39], 3, v[2:3]
	v_add_co_u32 v38, vcc_lo, s52, v38
	s_delay_alu instid0(VALU_DEP_2)
	v_add_co_ci_u32_e32 v39, vcc_lo, s53, v39, vcc_lo
	s_waitcnt lgkmcnt(0)
	global_store_b64 v[38:39], v[36:37], off
	s_or_b32 exec_lo, exec_lo, s16
	s_and_saveexec_b32 s16, s21
	s_cbranch_execnz .LBB712_279
.LBB712_294:                            ;   in Loop: Header=BB712_98 Depth=2
	s_or_b32 exec_lo, exec_lo, s16
	s_and_saveexec_b32 s16, s22
	s_cbranch_execz .LBB712_280
.LBB712_295:                            ;   in Loop: Header=BB712_98 Depth=2
	v_lshlrev_b32_e32 v2, 2, v169
	ds_load_b32 v2, v2
	ds_load_b64 v[36:37], v110 offset:14336
	s_waitcnt lgkmcnt(1)
	v_add_nc_u32_e32 v2, v2, v86
	s_delay_alu instid0(VALU_DEP_1) | instskip(NEXT) | instid1(VALU_DEP_1)
	v_lshlrev_b64 v[38:39], 3, v[2:3]
	v_add_co_u32 v38, vcc_lo, s52, v38
	s_delay_alu instid0(VALU_DEP_2)
	v_add_co_ci_u32_e32 v39, vcc_lo, s53, v39, vcc_lo
	s_waitcnt lgkmcnt(0)
	global_store_b64 v[38:39], v[36:37], off
	s_or_b32 exec_lo, exec_lo, s16
	s_and_saveexec_b32 s16, s23
	s_cbranch_execnz .LBB712_281
.LBB712_296:                            ;   in Loop: Header=BB712_98 Depth=2
	s_or_b32 exec_lo, exec_lo, s16
	s_and_saveexec_b32 s16, s24
	s_cbranch_execz .LBB712_282
.LBB712_297:                            ;   in Loop: Header=BB712_98 Depth=2
	v_lshlrev_b32_e32 v2, 2, v167
	ds_load_b32 v2, v2
	ds_load_b64 v[36:37], v110 offset:18432
	s_waitcnt lgkmcnt(1)
	v_add_nc_u32_e32 v2, v2, v88
	s_delay_alu instid0(VALU_DEP_1) | instskip(NEXT) | instid1(VALU_DEP_1)
	v_lshlrev_b64 v[38:39], 3, v[2:3]
	v_add_co_u32 v38, vcc_lo, s52, v38
	s_delay_alu instid0(VALU_DEP_2)
	v_add_co_ci_u32_e32 v39, vcc_lo, s53, v39, vcc_lo
	s_waitcnt lgkmcnt(0)
	global_store_b64 v[38:39], v[36:37], off
	s_or_b32 exec_lo, exec_lo, s16
	s_and_saveexec_b32 s16, s25
	s_cbranch_execnz .LBB712_283
.LBB712_298:                            ;   in Loop: Header=BB712_98 Depth=2
	s_or_b32 exec_lo, exec_lo, s16
	s_and_saveexec_b32 s16, s26
	s_cbranch_execz .LBB712_284
.LBB712_299:                            ;   in Loop: Header=BB712_98 Depth=2
	v_lshlrev_b32_e32 v2, 2, v165
	ds_load_b32 v2, v2
	ds_load_b64 v[36:37], v110 offset:22528
	s_waitcnt lgkmcnt(1)
	v_add_nc_u32_e32 v2, v2, v90
	s_delay_alu instid0(VALU_DEP_1) | instskip(NEXT) | instid1(VALU_DEP_1)
	v_lshlrev_b64 v[38:39], 3, v[2:3]
	v_add_co_u32 v38, vcc_lo, s52, v38
	s_delay_alu instid0(VALU_DEP_2)
	v_add_co_ci_u32_e32 v39, vcc_lo, s53, v39, vcc_lo
	s_waitcnt lgkmcnt(0)
	global_store_b64 v[38:39], v[36:37], off
	s_or_b32 exec_lo, exec_lo, s16
	s_and_saveexec_b32 s16, s27
	s_cbranch_execnz .LBB712_285
.LBB712_300:                            ;   in Loop: Header=BB712_98 Depth=2
	s_or_b32 exec_lo, exec_lo, s16
	s_and_saveexec_b32 s16, s29
	s_cbranch_execz .LBB712_286
.LBB712_301:                            ;   in Loop: Header=BB712_98 Depth=2
	v_lshlrev_b32_e32 v2, 2, v163
	ds_load_b32 v2, v2
	ds_load_b64 v[36:37], v110 offset:26624
	s_waitcnt lgkmcnt(1)
	v_add_nc_u32_e32 v2, v2, v92
	s_delay_alu instid0(VALU_DEP_1) | instskip(NEXT) | instid1(VALU_DEP_1)
	v_lshlrev_b64 v[38:39], 3, v[2:3]
	v_add_co_u32 v38, vcc_lo, s52, v38
	s_delay_alu instid0(VALU_DEP_2)
	v_add_co_ci_u32_e32 v39, vcc_lo, s53, v39, vcc_lo
	s_waitcnt lgkmcnt(0)
	global_store_b64 v[38:39], v[36:37], off
	s_or_b32 exec_lo, exec_lo, s16
	s_and_saveexec_b32 s16, s30
	s_cbranch_execnz .LBB712_287
.LBB712_302:                            ;   in Loop: Header=BB712_98 Depth=2
	s_or_b32 exec_lo, exec_lo, s16
	s_and_saveexec_b32 s16, s31
	s_cbranch_execz .LBB712_304
.LBB712_303:                            ;   in Loop: Header=BB712_98 Depth=2
	v_lshlrev_b32_e32 v2, 2, v161
	ds_load_b32 v2, v2
	ds_load_b64 v[36:37], v110 offset:30720
	s_waitcnt lgkmcnt(1)
	v_add_nc_u32_e32 v2, v2, v95
	s_delay_alu instid0(VALU_DEP_1) | instskip(NEXT) | instid1(VALU_DEP_1)
	v_lshlrev_b64 v[38:39], 3, v[2:3]
	v_add_co_u32 v38, vcc_lo, s52, v38
	s_delay_alu instid0(VALU_DEP_2)
	v_add_co_ci_u32_e32 v39, vcc_lo, s53, v39, vcc_lo
	s_waitcnt lgkmcnt(0)
	global_store_b64 v[38:39], v[36:37], off
.LBB712_304:                            ;   in Loop: Header=BB712_98 Depth=2
	s_or_b32 exec_lo, exec_lo, s16
	s_waitcnt_vscnt null, 0x0
	s_barrier
	buffer_gl0_inv
	s_and_saveexec_b32 s16, s2
	s_cbranch_execz .LBB712_97
; %bb.305:                              ;   in Loop: Header=BB712_98 Depth=2
	ds_load_b32 v2, v76
	s_waitcnt lgkmcnt(0)
	v_add_nc_u32_e32 v2, v2, v68
	ds_store_b32 v76, v2
	s_branch .LBB712_97
.LBB712_306:                            ;   in Loop: Header=BB712_12 Depth=1
	s_waitcnt lgkmcnt(0)
	s_mov_b32 s1, 0
	s_barrier
.LBB712_307:                            ;   in Loop: Header=BB712_12 Depth=1
	s_and_b32 vcc_lo, exec_lo, s1
	s_cbranch_vccz .LBB712_601
; %bb.308:                              ;   in Loop: Header=BB712_12 Depth=1
	s_mov_b32 s1, s62
	s_mov_b32 s8, s60
	s_barrier
	buffer_gl0_inv
                                        ; implicit-def: $vgpr34_vgpr35
                                        ; implicit-def: $vgpr4_vgpr5
                                        ; implicit-def: $vgpr6_vgpr7
                                        ; implicit-def: $vgpr8_vgpr9
                                        ; implicit-def: $vgpr10_vgpr11
                                        ; implicit-def: $vgpr12_vgpr13
                                        ; implicit-def: $vgpr14_vgpr15
                                        ; implicit-def: $vgpr16_vgpr17
                                        ; implicit-def: $vgpr18_vgpr19
                                        ; implicit-def: $vgpr20_vgpr21
                                        ; implicit-def: $vgpr22_vgpr23
                                        ; implicit-def: $vgpr24_vgpr25
                                        ; implicit-def: $vgpr26_vgpr27
                                        ; implicit-def: $vgpr28_vgpr29
                                        ; implicit-def: $vgpr30_vgpr31
                                        ; implicit-def: $vgpr32_vgpr33
	s_branch .LBB712_310
.LBB712_309:                            ;   in Loop: Header=BB712_310 Depth=2
	s_or_b32 exec_lo, exec_lo, s8
	s_addk_i32 s1, 0xf000
	s_cmp_ge_u32 s7, s61
	s_mov_b32 s8, s7
	s_cbranch_scc1 .LBB712_380
.LBB712_310:                            ;   Parent Loop BB712_12 Depth=1
                                        ; =>  This Inner Loop Header: Depth=2
	s_add_i32 s7, s8, 0x1000
	s_delay_alu instid0(SALU_CYCLE_1)
	s_cmp_gt_u32 s7, s61
	s_cbranch_scc1 .LBB712_313
; %bb.311:                              ;   in Loop: Header=BB712_310 Depth=2
	s_mov_b32 s9, 0
	s_movk_i32 s13, 0x1000
	s_lshl_b64 s[10:11], s[8:9], 3
	s_mov_b32 s12, -1
	v_add_co_u32 v36, vcc_lo, v111, s10
	v_add_co_ci_u32_e32 v37, vcc_lo, s11, v112, vcc_lo
	s_waitcnt vmcnt(12)
	s_delay_alu instid0(VALU_DEP_2) | instskip(NEXT) | instid1(VALU_DEP_2)
	v_add_co_u32 v42, vcc_lo, 0x1000, v36
	v_add_co_ci_u32_e32 v43, vcc_lo, 0, v37, vcc_lo
	s_waitcnt vmcnt(11)
	v_add_co_u32 v44, vcc_lo, 0x2000, v36
	v_add_co_ci_u32_e32 v45, vcc_lo, 0, v37, vcc_lo
	s_waitcnt vmcnt(1)
	v_add_co_u32 v50, vcc_lo, v36, 0x2000
	v_add_co_ci_u32_e32 v51, vcc_lo, 0, v37, vcc_lo
	v_add_co_u32 v52, vcc_lo, v36, 0x4000
	v_add_co_ci_u32_e32 v53, vcc_lo, 0, v37, vcc_lo
	;; [unrolled: 2-line block ×7, first 2 shown]
	s_waitcnt vmcnt(0)
	v_add_co_u32 v66, vcc_lo, 0x7000, v36
	v_add_co_ci_u32_e32 v67, vcc_lo, 0, v37, vcc_lo
	s_clause 0xe
	global_load_b64 v[38:39], v[36:37], off
	global_load_b64 v[40:41], v[36:37], off offset:2048
	global_load_b64 v[42:43], v[42:43], off offset:2048
	;; [unrolled: 1-line block ×3, first 2 shown]
	global_load_b64 v[46:47], v[50:51], off
	global_load_b64 v[48:49], v[52:53], off offset:-4096
	global_load_b64 v[52:53], v[52:53], off
	global_load_b64 v[56:57], v[60:61], off offset:-4096
	global_load_b64 v[60:61], v[60:61], off
	global_load_b64 v[54:55], v[54:55], off offset:2048
	global_load_b64 v[58:59], v[58:59], off offset:2048
	;; [unrolled: 1-line block ×4, first 2 shown]
	global_load_b64 v[50:51], v[50:51], off offset:-4096
	global_load_b64 v[66:67], v[66:67], off
	v_add_co_u32 v36, vcc_lo, 0x7800, v36
	v_add_co_ci_u32_e32 v37, vcc_lo, 0, v37, vcc_lo
	s_cbranch_execz .LBB712_314
; %bb.312:                              ;   in Loop: Header=BB712_310 Depth=2
                                        ; implicit-def: $vgpr32_vgpr33
                                        ; implicit-def: $vgpr30_vgpr31
                                        ; implicit-def: $vgpr28_vgpr29
                                        ; implicit-def: $vgpr26_vgpr27
                                        ; implicit-def: $vgpr24_vgpr25
                                        ; implicit-def: $vgpr22_vgpr23
                                        ; implicit-def: $vgpr20_vgpr21
                                        ; implicit-def: $vgpr18_vgpr19
                                        ; implicit-def: $vgpr16_vgpr17
                                        ; implicit-def: $vgpr14_vgpr15
                                        ; implicit-def: $vgpr12_vgpr13
                                        ; implicit-def: $vgpr10_vgpr11
                                        ; implicit-def: $vgpr8_vgpr9
                                        ; implicit-def: $vgpr6_vgpr7
                                        ; implicit-def: $vgpr4_vgpr5
                                        ; implicit-def: $vgpr34_vgpr35
	v_mov_b32_e32 v2, s1
	s_and_saveexec_b32 s8, s12
	s_cbranch_execnz .LBB712_333
	s_branch .LBB712_334
.LBB712_313:                            ;   in Loop: Header=BB712_310 Depth=2
	s_mov_b32 s12, 0
                                        ; implicit-def: $sgpr13
                                        ; implicit-def: $vgpr38_vgpr39
                                        ; implicit-def: $vgpr40_vgpr41
                                        ; implicit-def: $vgpr50_vgpr51
                                        ; implicit-def: $vgpr42_vgpr43
                                        ; implicit-def: $vgpr46_vgpr47
                                        ; implicit-def: $vgpr44_vgpr45
                                        ; implicit-def: $vgpr48_vgpr49
                                        ; implicit-def: $vgpr54_vgpr55
                                        ; implicit-def: $vgpr52_vgpr53
                                        ; implicit-def: $vgpr58_vgpr59
                                        ; implicit-def: $vgpr56_vgpr57
                                        ; implicit-def: $vgpr62_vgpr63
                                        ; implicit-def: $vgpr60_vgpr61
                                        ; implicit-def: $vgpr64_vgpr65
                                        ; implicit-def: $vgpr66_vgpr67
                                        ; implicit-def: $vgpr36_vgpr37
.LBB712_314:                            ;   in Loop: Header=BB712_310 Depth=2
	s_mov_b32 s9, s34
	s_delay_alu instid0(SALU_CYCLE_1)
	s_lshl_b64 s[10:11], s[8:9], 3
	s_mov_b32 s9, exec_lo
	s_add_u32 s10, s46, s10
	s_addc_u32 s11, s47, s11
	v_cmpx_gt_u32_e64 s1, v1
	s_cbranch_execz .LBB712_366
; %bb.315:                              ;   in Loop: Header=BB712_310 Depth=2
	global_load_b64 v[32:33], v124, s[10:11]
	s_or_b32 exec_lo, exec_lo, s9
	s_delay_alu instid0(SALU_CYCLE_1)
	s_mov_b32 s9, exec_lo
	v_cmpx_gt_u32_e64 s1, v77
	s_cbranch_execnz .LBB712_367
.LBB712_316:                            ;   in Loop: Header=BB712_310 Depth=2
	s_or_b32 exec_lo, exec_lo, s9
	s_delay_alu instid0(SALU_CYCLE_1)
	s_mov_b32 s9, exec_lo
	v_cmpx_gt_u32_e64 s1, v78
	s_cbranch_execz .LBB712_368
.LBB712_317:                            ;   in Loop: Header=BB712_310 Depth=2
	global_load_b64 v[28:29], v125, s[10:11]
	s_or_b32 exec_lo, exec_lo, s9
	s_delay_alu instid0(SALU_CYCLE_1)
	s_mov_b32 s9, exec_lo
	v_cmpx_gt_u32_e64 s1, v79
	s_cbranch_execnz .LBB712_369
.LBB712_318:                            ;   in Loop: Header=BB712_310 Depth=2
	s_or_b32 exec_lo, exec_lo, s9
	s_delay_alu instid0(SALU_CYCLE_1)
	s_mov_b32 s9, exec_lo
	v_cmpx_gt_u32_e64 s1, v83
	s_cbranch_execz .LBB712_370
.LBB712_319:                            ;   in Loop: Header=BB712_310 Depth=2
	global_load_b64 v[24:25], v127, s[10:11]
	s_or_b32 exec_lo, exec_lo, s9
	s_delay_alu instid0(SALU_CYCLE_1)
	s_mov_b32 s9, exec_lo
	v_cmpx_gt_u32_e64 s1, v84
	s_cbranch_execnz .LBB712_371
.LBB712_320:                            ;   in Loop: Header=BB712_310 Depth=2
	s_or_b32 exec_lo, exec_lo, s9
	s_delay_alu instid0(SALU_CYCLE_1)
	s_mov_b32 s9, exec_lo
	v_cmpx_gt_u32_e64 s1, v85
	s_cbranch_execz .LBB712_372
.LBB712_321:                            ;   in Loop: Header=BB712_310 Depth=2
	global_load_b64 v[20:21], v129, s[10:11]
	s_or_b32 exec_lo, exec_lo, s9
	s_delay_alu instid0(SALU_CYCLE_1)
	s_mov_b32 s9, exec_lo
	v_cmpx_gt_u32_e64 s1, v86
	s_cbranch_execnz .LBB712_373
.LBB712_322:                            ;   in Loop: Header=BB712_310 Depth=2
	s_or_b32 exec_lo, exec_lo, s9
	s_delay_alu instid0(SALU_CYCLE_1)
	s_mov_b32 s9, exec_lo
	v_cmpx_gt_u32_e64 s1, v87
	s_cbranch_execz .LBB712_374
.LBB712_323:                            ;   in Loop: Header=BB712_310 Depth=2
	global_load_b64 v[16:17], v131, s[10:11]
	s_or_b32 exec_lo, exec_lo, s9
	s_delay_alu instid0(SALU_CYCLE_1)
	s_mov_b32 s9, exec_lo
	v_cmpx_gt_u32_e64 s1, v88
	s_cbranch_execnz .LBB712_375
.LBB712_324:                            ;   in Loop: Header=BB712_310 Depth=2
	s_or_b32 exec_lo, exec_lo, s9
	s_delay_alu instid0(SALU_CYCLE_1)
	s_mov_b32 s9, exec_lo
	v_cmpx_gt_u32_e64 s1, v89
	s_cbranch_execz .LBB712_376
.LBB712_325:                            ;   in Loop: Header=BB712_310 Depth=2
	global_load_b64 v[12:13], v133, s[10:11]
	s_or_b32 exec_lo, exec_lo, s9
	s_delay_alu instid0(SALU_CYCLE_1)
	s_mov_b32 s9, exec_lo
	v_cmpx_gt_u32_e64 s1, v90
	s_cbranch_execnz .LBB712_377
.LBB712_326:                            ;   in Loop: Header=BB712_310 Depth=2
	s_or_b32 exec_lo, exec_lo, s9
	s_delay_alu instid0(SALU_CYCLE_1)
	s_mov_b32 s9, exec_lo
	v_cmpx_gt_u32_e64 s1, v91
	s_cbranch_execz .LBB712_378
.LBB712_327:                            ;   in Loop: Header=BB712_310 Depth=2
	global_load_b64 v[8:9], v135, s[10:11]
	s_or_b32 exec_lo, exec_lo, s9
	s_delay_alu instid0(SALU_CYCLE_1)
	s_mov_b32 s9, exec_lo
	v_cmpx_gt_u32_e64 s1, v92
	s_cbranch_execnz .LBB712_379
.LBB712_328:                            ;   in Loop: Header=BB712_310 Depth=2
	s_or_b32 exec_lo, exec_lo, s9
	s_delay_alu instid0(SALU_CYCLE_1)
	s_mov_b32 s9, exec_lo
	v_cmpx_gt_u32_e64 s1, v93
	s_cbranch_execz .LBB712_330
.LBB712_329:                            ;   in Loop: Header=BB712_310 Depth=2
	v_lshlrev_b32_e32 v2, 3, v93
	global_load_b64 v[4:5], v2, s[10:11]
.LBB712_330:                            ;   in Loop: Header=BB712_310 Depth=2
	s_or_b32 exec_lo, exec_lo, s9
	s_delay_alu instid0(SALU_CYCLE_1)
	s_mov_b32 s9, exec_lo
                                        ; implicit-def: $sgpr13
                                        ; implicit-def: $vgpr36_vgpr37
	v_cmpx_gt_u32_e64 s1, v95
; %bb.331:                              ;   in Loop: Header=BB712_310 Depth=2
	v_lshlrev_b32_e32 v2, 3, v95
	s_sub_i32 s13, s61, s8
	s_or_b32 s12, s12, exec_lo
                                        ; implicit-def: $vgpr34_vgpr35
	s_delay_alu instid0(VALU_DEP_1) | instskip(NEXT) | instid1(VALU_DEP_1)
	v_add_co_u32 v36, s10, s10, v2
	v_add_co_ci_u32_e64 v37, null, s11, 0, s10
; %bb.332:                              ;   in Loop: Header=BB712_310 Depth=2
	s_or_b32 exec_lo, exec_lo, s9
	s_waitcnt vmcnt(0)
	v_dual_mov_b32 v39, v33 :: v_dual_mov_b32 v38, v32
	v_dual_mov_b32 v41, v31 :: v_dual_mov_b32 v40, v30
	;; [unrolled: 1-line block ×15, first 2 shown]
	v_mov_b32_e32 v2, s1
	s_and_saveexec_b32 s8, s12
	s_cbranch_execz .LBB712_334
.LBB712_333:                            ;   in Loop: Header=BB712_310 Depth=2
	global_load_b64 v[34:35], v[36:37], off
	s_waitcnt vmcnt(1)
	v_mov_b32_e32 v4, v66
	v_mov_b32_e32 v6, v64
	;; [unrolled: 1-line block ×14, first 2 shown]
	v_dual_mov_b32 v32, v38 :: v_dual_mov_b32 v33, v39
	v_dual_mov_b32 v2, s13 :: v_dual_mov_b32 v5, v67
	v_mov_b32_e32 v7, v65
	v_mov_b32_e32 v9, v61
	;; [unrolled: 1-line block ×13, first 2 shown]
.LBB712_334:                            ;   in Loop: Header=BB712_310 Depth=2
	s_or_b32 exec_lo, exec_lo, s8
	s_delay_alu instid0(SALU_CYCLE_1)
	s_mov_b32 s8, exec_lo
	v_cmpx_lt_u32_e64 v1, v2
	s_cbranch_execz .LBB712_350
; %bb.335:                              ;   in Loop: Header=BB712_310 Depth=2
	v_xor_b32_e32 v37, 0x7fffffff, v33
	v_not_b32_e32 v36, v32
	s_delay_alu instid0(VALU_DEP_1) | instskip(SKIP_1) | instid1(VALU_DEP_2)
	v_lshrrev_b64 v[36:37], s41, v[36:37]
	v_lshlrev_b32_e32 v37, 2, v80
	v_and_b32_e32 v36, s43, v36
	s_delay_alu instid0(VALU_DEP_1) | instskip(SKIP_2) | instid1(SALU_CYCLE_1)
	v_lshl_or_b32 v36, v36, 4, v37
	ds_add_u32 v36, v123
	s_or_b32 exec_lo, exec_lo, s8
	s_mov_b32 s8, exec_lo
	v_cmpx_lt_u32_e64 v77, v2
	s_cbranch_execnz .LBB712_351
.LBB712_336:                            ;   in Loop: Header=BB712_310 Depth=2
	s_or_b32 exec_lo, exec_lo, s8
	s_delay_alu instid0(SALU_CYCLE_1)
	s_mov_b32 s8, exec_lo
	v_cmpx_lt_u32_e64 v78, v2
	s_cbranch_execz .LBB712_352
.LBB712_337:                            ;   in Loop: Header=BB712_310 Depth=2
	v_xor_b32_e32 v37, 0x7fffffff, v29
	v_not_b32_e32 v36, v28
	s_delay_alu instid0(VALU_DEP_1) | instskip(SKIP_1) | instid1(VALU_DEP_2)
	v_lshrrev_b64 v[36:37], s41, v[36:37]
	v_lshlrev_b32_e32 v37, 2, v80
	v_and_b32_e32 v36, s43, v36
	s_delay_alu instid0(VALU_DEP_1) | instskip(SKIP_2) | instid1(SALU_CYCLE_1)
	v_lshl_or_b32 v36, v36, 4, v37
	ds_add_u32 v36, v123
	s_or_b32 exec_lo, exec_lo, s8
	s_mov_b32 s8, exec_lo
	v_cmpx_lt_u32_e64 v79, v2
	s_cbranch_execnz .LBB712_353
.LBB712_338:                            ;   in Loop: Header=BB712_310 Depth=2
	s_or_b32 exec_lo, exec_lo, s8
	s_delay_alu instid0(SALU_CYCLE_1)
	s_mov_b32 s8, exec_lo
	v_cmpx_lt_u32_e64 v83, v2
	s_cbranch_execz .LBB712_354
.LBB712_339:                            ;   in Loop: Header=BB712_310 Depth=2
	v_xor_b32_e32 v37, 0x7fffffff, v25
	v_not_b32_e32 v36, v24
	s_delay_alu instid0(VALU_DEP_1) | instskip(SKIP_1) | instid1(VALU_DEP_2)
	v_lshrrev_b64 v[36:37], s41, v[36:37]
	v_lshlrev_b32_e32 v37, 2, v80
	v_and_b32_e32 v36, s43, v36
	s_delay_alu instid0(VALU_DEP_1) | instskip(SKIP_2) | instid1(SALU_CYCLE_1)
	v_lshl_or_b32 v36, v36, 4, v37
	ds_add_u32 v36, v123
	s_or_b32 exec_lo, exec_lo, s8
	s_mov_b32 s8, exec_lo
	v_cmpx_lt_u32_e64 v84, v2
	s_cbranch_execnz .LBB712_355
.LBB712_340:                            ;   in Loop: Header=BB712_310 Depth=2
	s_or_b32 exec_lo, exec_lo, s8
	s_delay_alu instid0(SALU_CYCLE_1)
	s_mov_b32 s8, exec_lo
	v_cmpx_lt_u32_e64 v85, v2
	s_cbranch_execz .LBB712_356
.LBB712_341:                            ;   in Loop: Header=BB712_310 Depth=2
	v_xor_b32_e32 v37, 0x7fffffff, v21
	v_not_b32_e32 v36, v20
	s_delay_alu instid0(VALU_DEP_1) | instskip(SKIP_1) | instid1(VALU_DEP_2)
	v_lshrrev_b64 v[36:37], s41, v[36:37]
	v_lshlrev_b32_e32 v37, 2, v80
	v_and_b32_e32 v36, s43, v36
	s_delay_alu instid0(VALU_DEP_1) | instskip(SKIP_2) | instid1(SALU_CYCLE_1)
	v_lshl_or_b32 v36, v36, 4, v37
	ds_add_u32 v36, v123
	s_or_b32 exec_lo, exec_lo, s8
	s_mov_b32 s8, exec_lo
	v_cmpx_lt_u32_e64 v86, v2
	s_cbranch_execnz .LBB712_357
.LBB712_342:                            ;   in Loop: Header=BB712_310 Depth=2
	s_or_b32 exec_lo, exec_lo, s8
	s_delay_alu instid0(SALU_CYCLE_1)
	s_mov_b32 s8, exec_lo
	v_cmpx_lt_u32_e64 v87, v2
	s_cbranch_execz .LBB712_358
.LBB712_343:                            ;   in Loop: Header=BB712_310 Depth=2
	v_xor_b32_e32 v37, 0x7fffffff, v17
	v_not_b32_e32 v36, v16
	s_delay_alu instid0(VALU_DEP_1) | instskip(SKIP_1) | instid1(VALU_DEP_2)
	v_lshrrev_b64 v[36:37], s41, v[36:37]
	v_lshlrev_b32_e32 v37, 2, v80
	v_and_b32_e32 v36, s43, v36
	s_delay_alu instid0(VALU_DEP_1) | instskip(SKIP_2) | instid1(SALU_CYCLE_1)
	v_lshl_or_b32 v36, v36, 4, v37
	ds_add_u32 v36, v123
	s_or_b32 exec_lo, exec_lo, s8
	s_mov_b32 s8, exec_lo
	v_cmpx_lt_u32_e64 v88, v2
	s_cbranch_execnz .LBB712_359
.LBB712_344:                            ;   in Loop: Header=BB712_310 Depth=2
	s_or_b32 exec_lo, exec_lo, s8
	s_delay_alu instid0(SALU_CYCLE_1)
	s_mov_b32 s8, exec_lo
	v_cmpx_lt_u32_e64 v89, v2
	s_cbranch_execz .LBB712_360
.LBB712_345:                            ;   in Loop: Header=BB712_310 Depth=2
	v_xor_b32_e32 v37, 0x7fffffff, v13
	v_not_b32_e32 v36, v12
	s_delay_alu instid0(VALU_DEP_1) | instskip(SKIP_1) | instid1(VALU_DEP_2)
	v_lshrrev_b64 v[36:37], s41, v[36:37]
	v_lshlrev_b32_e32 v37, 2, v80
	v_and_b32_e32 v36, s43, v36
	s_delay_alu instid0(VALU_DEP_1) | instskip(SKIP_2) | instid1(SALU_CYCLE_1)
	v_lshl_or_b32 v36, v36, 4, v37
	ds_add_u32 v36, v123
	s_or_b32 exec_lo, exec_lo, s8
	s_mov_b32 s8, exec_lo
	v_cmpx_lt_u32_e64 v90, v2
	s_cbranch_execnz .LBB712_361
.LBB712_346:                            ;   in Loop: Header=BB712_310 Depth=2
	s_or_b32 exec_lo, exec_lo, s8
	s_delay_alu instid0(SALU_CYCLE_1)
	s_mov_b32 s8, exec_lo
	v_cmpx_lt_u32_e64 v91, v2
	s_cbranch_execz .LBB712_362
.LBB712_347:                            ;   in Loop: Header=BB712_310 Depth=2
	v_xor_b32_e32 v37, 0x7fffffff, v9
	v_not_b32_e32 v36, v8
	s_delay_alu instid0(VALU_DEP_1) | instskip(SKIP_1) | instid1(VALU_DEP_2)
	v_lshrrev_b64 v[36:37], s41, v[36:37]
	v_lshlrev_b32_e32 v37, 2, v80
	v_and_b32_e32 v36, s43, v36
	s_delay_alu instid0(VALU_DEP_1) | instskip(SKIP_2) | instid1(SALU_CYCLE_1)
	v_lshl_or_b32 v36, v36, 4, v37
	ds_add_u32 v36, v123
	s_or_b32 exec_lo, exec_lo, s8
	s_mov_b32 s8, exec_lo
	v_cmpx_lt_u32_e64 v92, v2
	s_cbranch_execnz .LBB712_363
.LBB712_348:                            ;   in Loop: Header=BB712_310 Depth=2
	s_or_b32 exec_lo, exec_lo, s8
	s_delay_alu instid0(SALU_CYCLE_1)
	s_mov_b32 s8, exec_lo
	v_cmpx_lt_u32_e64 v93, v2
	s_cbranch_execz .LBB712_364
.LBB712_349:                            ;   in Loop: Header=BB712_310 Depth=2
	v_xor_b32_e32 v37, 0x7fffffff, v5
	v_not_b32_e32 v36, v4
	s_delay_alu instid0(VALU_DEP_1) | instskip(SKIP_1) | instid1(VALU_DEP_2)
	v_lshrrev_b64 v[36:37], s41, v[36:37]
	v_lshlrev_b32_e32 v37, 2, v80
	v_and_b32_e32 v36, s43, v36
	s_delay_alu instid0(VALU_DEP_1) | instskip(SKIP_2) | instid1(SALU_CYCLE_1)
	v_lshl_or_b32 v36, v36, 4, v37
	ds_add_u32 v36, v123
	s_or_b32 exec_lo, exec_lo, s8
	s_mov_b32 s8, exec_lo
	v_cmpx_lt_u32_e64 v95, v2
	s_cbranch_execz .LBB712_309
	s_branch .LBB712_365
.LBB712_350:                            ;   in Loop: Header=BB712_310 Depth=2
	s_or_b32 exec_lo, exec_lo, s8
	s_delay_alu instid0(SALU_CYCLE_1)
	s_mov_b32 s8, exec_lo
	v_cmpx_lt_u32_e64 v77, v2
	s_cbranch_execz .LBB712_336
.LBB712_351:                            ;   in Loop: Header=BB712_310 Depth=2
	v_xor_b32_e32 v37, 0x7fffffff, v31
	v_not_b32_e32 v36, v30
	s_delay_alu instid0(VALU_DEP_1) | instskip(SKIP_1) | instid1(VALU_DEP_2)
	v_lshrrev_b64 v[36:37], s41, v[36:37]
	v_lshlrev_b32_e32 v37, 2, v80
	v_and_b32_e32 v36, s43, v36
	s_delay_alu instid0(VALU_DEP_1) | instskip(SKIP_2) | instid1(SALU_CYCLE_1)
	v_lshl_or_b32 v36, v36, 4, v37
	ds_add_u32 v36, v123
	s_or_b32 exec_lo, exec_lo, s8
	s_mov_b32 s8, exec_lo
	v_cmpx_lt_u32_e64 v78, v2
	s_cbranch_execnz .LBB712_337
.LBB712_352:                            ;   in Loop: Header=BB712_310 Depth=2
	s_or_b32 exec_lo, exec_lo, s8
	s_delay_alu instid0(SALU_CYCLE_1)
	s_mov_b32 s8, exec_lo
	v_cmpx_lt_u32_e64 v79, v2
	s_cbranch_execz .LBB712_338
.LBB712_353:                            ;   in Loop: Header=BB712_310 Depth=2
	v_xor_b32_e32 v37, 0x7fffffff, v27
	v_not_b32_e32 v36, v26
	s_delay_alu instid0(VALU_DEP_1) | instskip(SKIP_1) | instid1(VALU_DEP_2)
	v_lshrrev_b64 v[36:37], s41, v[36:37]
	v_lshlrev_b32_e32 v37, 2, v80
	v_and_b32_e32 v36, s43, v36
	s_delay_alu instid0(VALU_DEP_1) | instskip(SKIP_2) | instid1(SALU_CYCLE_1)
	v_lshl_or_b32 v36, v36, 4, v37
	ds_add_u32 v36, v123
	s_or_b32 exec_lo, exec_lo, s8
	s_mov_b32 s8, exec_lo
	v_cmpx_lt_u32_e64 v83, v2
	s_cbranch_execnz .LBB712_339
.LBB712_354:                            ;   in Loop: Header=BB712_310 Depth=2
	s_or_b32 exec_lo, exec_lo, s8
	s_delay_alu instid0(SALU_CYCLE_1)
	s_mov_b32 s8, exec_lo
	v_cmpx_lt_u32_e64 v84, v2
	s_cbranch_execz .LBB712_340
.LBB712_355:                            ;   in Loop: Header=BB712_310 Depth=2
	v_xor_b32_e32 v37, 0x7fffffff, v23
	v_not_b32_e32 v36, v22
	s_delay_alu instid0(VALU_DEP_1) | instskip(SKIP_1) | instid1(VALU_DEP_2)
	v_lshrrev_b64 v[36:37], s41, v[36:37]
	v_lshlrev_b32_e32 v37, 2, v80
	v_and_b32_e32 v36, s43, v36
	s_delay_alu instid0(VALU_DEP_1) | instskip(SKIP_2) | instid1(SALU_CYCLE_1)
	v_lshl_or_b32 v36, v36, 4, v37
	ds_add_u32 v36, v123
	s_or_b32 exec_lo, exec_lo, s8
	s_mov_b32 s8, exec_lo
	v_cmpx_lt_u32_e64 v85, v2
	s_cbranch_execnz .LBB712_341
.LBB712_356:                            ;   in Loop: Header=BB712_310 Depth=2
	s_or_b32 exec_lo, exec_lo, s8
	s_delay_alu instid0(SALU_CYCLE_1)
	s_mov_b32 s8, exec_lo
	v_cmpx_lt_u32_e64 v86, v2
	s_cbranch_execz .LBB712_342
.LBB712_357:                            ;   in Loop: Header=BB712_310 Depth=2
	v_xor_b32_e32 v37, 0x7fffffff, v19
	v_not_b32_e32 v36, v18
	s_delay_alu instid0(VALU_DEP_1) | instskip(SKIP_1) | instid1(VALU_DEP_2)
	v_lshrrev_b64 v[36:37], s41, v[36:37]
	v_lshlrev_b32_e32 v37, 2, v80
	v_and_b32_e32 v36, s43, v36
	s_delay_alu instid0(VALU_DEP_1) | instskip(SKIP_2) | instid1(SALU_CYCLE_1)
	v_lshl_or_b32 v36, v36, 4, v37
	ds_add_u32 v36, v123
	s_or_b32 exec_lo, exec_lo, s8
	s_mov_b32 s8, exec_lo
	v_cmpx_lt_u32_e64 v87, v2
	s_cbranch_execnz .LBB712_343
.LBB712_358:                            ;   in Loop: Header=BB712_310 Depth=2
	s_or_b32 exec_lo, exec_lo, s8
	s_delay_alu instid0(SALU_CYCLE_1)
	s_mov_b32 s8, exec_lo
	v_cmpx_lt_u32_e64 v88, v2
	s_cbranch_execz .LBB712_344
.LBB712_359:                            ;   in Loop: Header=BB712_310 Depth=2
	v_xor_b32_e32 v37, 0x7fffffff, v15
	v_not_b32_e32 v36, v14
	s_delay_alu instid0(VALU_DEP_1) | instskip(SKIP_1) | instid1(VALU_DEP_2)
	v_lshrrev_b64 v[36:37], s41, v[36:37]
	v_lshlrev_b32_e32 v37, 2, v80
	v_and_b32_e32 v36, s43, v36
	s_delay_alu instid0(VALU_DEP_1) | instskip(SKIP_2) | instid1(SALU_CYCLE_1)
	v_lshl_or_b32 v36, v36, 4, v37
	ds_add_u32 v36, v123
	s_or_b32 exec_lo, exec_lo, s8
	s_mov_b32 s8, exec_lo
	v_cmpx_lt_u32_e64 v89, v2
	s_cbranch_execnz .LBB712_345
.LBB712_360:                            ;   in Loop: Header=BB712_310 Depth=2
	s_or_b32 exec_lo, exec_lo, s8
	s_delay_alu instid0(SALU_CYCLE_1)
	s_mov_b32 s8, exec_lo
	v_cmpx_lt_u32_e64 v90, v2
	s_cbranch_execz .LBB712_346
.LBB712_361:                            ;   in Loop: Header=BB712_310 Depth=2
	v_xor_b32_e32 v37, 0x7fffffff, v11
	v_not_b32_e32 v36, v10
	s_delay_alu instid0(VALU_DEP_1) | instskip(SKIP_1) | instid1(VALU_DEP_2)
	v_lshrrev_b64 v[36:37], s41, v[36:37]
	v_lshlrev_b32_e32 v37, 2, v80
	v_and_b32_e32 v36, s43, v36
	s_delay_alu instid0(VALU_DEP_1) | instskip(SKIP_2) | instid1(SALU_CYCLE_1)
	v_lshl_or_b32 v36, v36, 4, v37
	ds_add_u32 v36, v123
	s_or_b32 exec_lo, exec_lo, s8
	s_mov_b32 s8, exec_lo
	v_cmpx_lt_u32_e64 v91, v2
	s_cbranch_execnz .LBB712_347
.LBB712_362:                            ;   in Loop: Header=BB712_310 Depth=2
	s_or_b32 exec_lo, exec_lo, s8
	s_delay_alu instid0(SALU_CYCLE_1)
	s_mov_b32 s8, exec_lo
	v_cmpx_lt_u32_e64 v92, v2
	s_cbranch_execz .LBB712_348
.LBB712_363:                            ;   in Loop: Header=BB712_310 Depth=2
	v_xor_b32_e32 v37, 0x7fffffff, v7
	v_not_b32_e32 v36, v6
	s_delay_alu instid0(VALU_DEP_1) | instskip(SKIP_1) | instid1(VALU_DEP_2)
	v_lshrrev_b64 v[36:37], s41, v[36:37]
	v_lshlrev_b32_e32 v37, 2, v80
	v_and_b32_e32 v36, s43, v36
	s_delay_alu instid0(VALU_DEP_1) | instskip(SKIP_2) | instid1(SALU_CYCLE_1)
	v_lshl_or_b32 v36, v36, 4, v37
	ds_add_u32 v36, v123
	s_or_b32 exec_lo, exec_lo, s8
	s_mov_b32 s8, exec_lo
	v_cmpx_lt_u32_e64 v93, v2
	s_cbranch_execnz .LBB712_349
.LBB712_364:                            ;   in Loop: Header=BB712_310 Depth=2
	s_or_b32 exec_lo, exec_lo, s8
	s_delay_alu instid0(SALU_CYCLE_1)
	s_mov_b32 s8, exec_lo
	v_cmpx_lt_u32_e64 v95, v2
	s_cbranch_execz .LBB712_309
.LBB712_365:                            ;   in Loop: Header=BB712_310 Depth=2
	s_waitcnt vmcnt(0)
	v_xor_b32_e32 v37, 0x7fffffff, v35
	v_not_b32_e32 v36, v34
	s_delay_alu instid0(VALU_DEP_1) | instskip(NEXT) | instid1(VALU_DEP_1)
	v_lshrrev_b64 v[36:37], s41, v[36:37]
	v_and_b32_e32 v2, s43, v36
	v_lshlrev_b32_e32 v36, 2, v80
	s_delay_alu instid0(VALU_DEP_1)
	v_lshl_or_b32 v2, v2, 4, v36
	ds_add_u32 v2, v123
	s_branch .LBB712_309
.LBB712_366:                            ;   in Loop: Header=BB712_310 Depth=2
	s_or_b32 exec_lo, exec_lo, s9
	s_delay_alu instid0(SALU_CYCLE_1)
	s_mov_b32 s9, exec_lo
	v_cmpx_gt_u32_e64 s1, v77
	s_cbranch_execz .LBB712_316
.LBB712_367:                            ;   in Loop: Header=BB712_310 Depth=2
	global_load_b64 v[30:31], v124, s[10:11] offset:2048
	s_or_b32 exec_lo, exec_lo, s9
	s_delay_alu instid0(SALU_CYCLE_1)
	s_mov_b32 s9, exec_lo
	v_cmpx_gt_u32_e64 s1, v78
	s_cbranch_execnz .LBB712_317
.LBB712_368:                            ;   in Loop: Header=BB712_310 Depth=2
	s_or_b32 exec_lo, exec_lo, s9
	s_delay_alu instid0(SALU_CYCLE_1)
	s_mov_b32 s9, exec_lo
	v_cmpx_gt_u32_e64 s1, v79
	s_cbranch_execz .LBB712_318
.LBB712_369:                            ;   in Loop: Header=BB712_310 Depth=2
	global_load_b64 v[26:27], v126, s[10:11]
	s_or_b32 exec_lo, exec_lo, s9
	s_delay_alu instid0(SALU_CYCLE_1)
	s_mov_b32 s9, exec_lo
	v_cmpx_gt_u32_e64 s1, v83
	s_cbranch_execnz .LBB712_319
.LBB712_370:                            ;   in Loop: Header=BB712_310 Depth=2
	s_or_b32 exec_lo, exec_lo, s9
	s_delay_alu instid0(SALU_CYCLE_1)
	s_mov_b32 s9, exec_lo
	v_cmpx_gt_u32_e64 s1, v84
	s_cbranch_execz .LBB712_320
.LBB712_371:                            ;   in Loop: Header=BB712_310 Depth=2
	global_load_b64 v[22:23], v128, s[10:11]
	s_or_b32 exec_lo, exec_lo, s9
	s_delay_alu instid0(SALU_CYCLE_1)
	s_mov_b32 s9, exec_lo
	v_cmpx_gt_u32_e64 s1, v85
	s_cbranch_execnz .LBB712_321
.LBB712_372:                            ;   in Loop: Header=BB712_310 Depth=2
	s_or_b32 exec_lo, exec_lo, s9
	s_delay_alu instid0(SALU_CYCLE_1)
	s_mov_b32 s9, exec_lo
	v_cmpx_gt_u32_e64 s1, v86
	s_cbranch_execz .LBB712_322
.LBB712_373:                            ;   in Loop: Header=BB712_310 Depth=2
	global_load_b64 v[18:19], v130, s[10:11]
	s_or_b32 exec_lo, exec_lo, s9
	s_delay_alu instid0(SALU_CYCLE_1)
	s_mov_b32 s9, exec_lo
	v_cmpx_gt_u32_e64 s1, v87
	s_cbranch_execnz .LBB712_323
.LBB712_374:                            ;   in Loop: Header=BB712_310 Depth=2
	s_or_b32 exec_lo, exec_lo, s9
	s_delay_alu instid0(SALU_CYCLE_1)
	s_mov_b32 s9, exec_lo
	v_cmpx_gt_u32_e64 s1, v88
	s_cbranch_execz .LBB712_324
.LBB712_375:                            ;   in Loop: Header=BB712_310 Depth=2
	global_load_b64 v[14:15], v132, s[10:11]
	s_or_b32 exec_lo, exec_lo, s9
	s_delay_alu instid0(SALU_CYCLE_1)
	s_mov_b32 s9, exec_lo
	v_cmpx_gt_u32_e64 s1, v89
	s_cbranch_execnz .LBB712_325
.LBB712_376:                            ;   in Loop: Header=BB712_310 Depth=2
	s_or_b32 exec_lo, exec_lo, s9
	s_delay_alu instid0(SALU_CYCLE_1)
	s_mov_b32 s9, exec_lo
	v_cmpx_gt_u32_e64 s1, v90
	s_cbranch_execz .LBB712_326
.LBB712_377:                            ;   in Loop: Header=BB712_310 Depth=2
	global_load_b64 v[10:11], v134, s[10:11]
	s_or_b32 exec_lo, exec_lo, s9
	s_delay_alu instid0(SALU_CYCLE_1)
	s_mov_b32 s9, exec_lo
	v_cmpx_gt_u32_e64 s1, v91
	s_cbranch_execnz .LBB712_327
.LBB712_378:                            ;   in Loop: Header=BB712_310 Depth=2
	s_or_b32 exec_lo, exec_lo, s9
	s_delay_alu instid0(SALU_CYCLE_1)
	s_mov_b32 s9, exec_lo
	v_cmpx_gt_u32_e64 s1, v92
	s_cbranch_execz .LBB712_328
.LBB712_379:                            ;   in Loop: Header=BB712_310 Depth=2
	v_lshlrev_b32_e32 v2, 3, v92
	global_load_b64 v[6:7], v2, s[10:11]
	s_or_b32 exec_lo, exec_lo, s9
	s_delay_alu instid0(SALU_CYCLE_1)
	s_mov_b32 s9, exec_lo
	v_cmpx_gt_u32_e64 s1, v93
	s_cbranch_execz .LBB712_330
	s_branch .LBB712_329
.LBB712_380:                            ;   in Loop: Header=BB712_12 Depth=1
	v_mov_b32_e32 v2, 0
	s_waitcnt vmcnt(0) lgkmcnt(0)
	s_barrier
	buffer_gl0_inv
	s_and_saveexec_b32 s1, s2
	s_cbranch_execz .LBB712_382
; %bb.381:                              ;   in Loop: Header=BB712_12 Depth=1
	ds_load_2addr_b64 v[4:7], v96 offset1:1
	s_waitcnt lgkmcnt(0)
	v_add_nc_u32_e32 v2, v5, v4
	s_delay_alu instid0(VALU_DEP_1)
	v_add3_u32 v2, v2, v6, v7
.LBB712_382:                            ;   in Loop: Header=BB712_12 Depth=1
	s_or_b32 exec_lo, exec_lo, s1
	v_and_b32_e32 v4, 15, v136
	s_delay_alu instid0(VALU_DEP_2) | instskip(SKIP_1) | instid1(VALU_DEP_3)
	v_mov_b32_dpp v5, v2 row_shr:1 row_mask:0xf bank_mask:0xf
	v_and_b32_e32 v6, 16, v136
	v_cmp_eq_u32_e64 s1, 0, v4
	v_cmp_lt_u32_e64 s7, 1, v4
	v_cmp_lt_u32_e64 s8, 3, v4
	;; [unrolled: 1-line block ×3, first 2 shown]
	v_cmp_eq_u32_e64 s10, 0, v6
	v_cndmask_b32_e64 v5, v5, 0, s1
	s_delay_alu instid0(VALU_DEP_1) | instskip(NEXT) | instid1(VALU_DEP_1)
	v_add_nc_u32_e32 v2, v5, v2
	v_mov_b32_dpp v5, v2 row_shr:2 row_mask:0xf bank_mask:0xf
	s_delay_alu instid0(VALU_DEP_1) | instskip(NEXT) | instid1(VALU_DEP_1)
	v_cndmask_b32_e64 v5, 0, v5, s7
	v_add_nc_u32_e32 v2, v2, v5
	s_delay_alu instid0(VALU_DEP_1) | instskip(NEXT) | instid1(VALU_DEP_1)
	v_mov_b32_dpp v5, v2 row_shr:4 row_mask:0xf bank_mask:0xf
	v_cndmask_b32_e64 v5, 0, v5, s8
	s_delay_alu instid0(VALU_DEP_1) | instskip(NEXT) | instid1(VALU_DEP_1)
	v_add_nc_u32_e32 v2, v2, v5
	v_mov_b32_dpp v5, v2 row_shr:8 row_mask:0xf bank_mask:0xf
	s_delay_alu instid0(VALU_DEP_1) | instskip(SKIP_1) | instid1(VALU_DEP_2)
	v_cndmask_b32_e64 v4, 0, v5, s9
	v_bfe_i32 v5, v136, 4, 1
	v_add_nc_u32_e32 v2, v2, v4
	ds_swizzle_b32 v4, v2 offset:swizzle(BROADCAST,32,15)
	s_waitcnt lgkmcnt(0)
	v_and_b32_e32 v4, v5, v4
	s_delay_alu instid0(VALU_DEP_1)
	v_add_nc_u32_e32 v4, v2, v4
	s_and_saveexec_b32 s11, s3
	s_cbranch_execz .LBB712_384
; %bb.383:                              ;   in Loop: Header=BB712_12 Depth=1
	ds_store_b32 v97, v4
.LBB712_384:                            ;   in Loop: Header=BB712_12 Depth=1
	s_or_b32 exec_lo, exec_lo, s11
	v_and_b32_e32 v2, 7, v136
	s_waitcnt lgkmcnt(0)
	s_barrier
	buffer_gl0_inv
	s_and_saveexec_b32 s11, s4
	s_cbranch_execz .LBB712_386
; %bb.385:                              ;   in Loop: Header=BB712_12 Depth=1
	ds_load_b32 v5, v98
	v_cmp_ne_u32_e32 vcc_lo, 0, v2
	s_waitcnt lgkmcnt(0)
	v_mov_b32_dpp v6, v5 row_shr:1 row_mask:0xf bank_mask:0xf
	s_delay_alu instid0(VALU_DEP_1) | instskip(SKIP_1) | instid1(VALU_DEP_2)
	v_cndmask_b32_e32 v6, 0, v6, vcc_lo
	v_cmp_lt_u32_e32 vcc_lo, 1, v2
	v_add_nc_u32_e32 v5, v6, v5
	s_delay_alu instid0(VALU_DEP_1) | instskip(NEXT) | instid1(VALU_DEP_1)
	v_mov_b32_dpp v6, v5 row_shr:2 row_mask:0xf bank_mask:0xf
	v_cndmask_b32_e32 v6, 0, v6, vcc_lo
	v_cmp_lt_u32_e32 vcc_lo, 3, v2
	s_delay_alu instid0(VALU_DEP_2) | instskip(NEXT) | instid1(VALU_DEP_1)
	v_add_nc_u32_e32 v5, v5, v6
	v_mov_b32_dpp v6, v5 row_shr:4 row_mask:0xf bank_mask:0xf
	s_delay_alu instid0(VALU_DEP_1) | instskip(NEXT) | instid1(VALU_DEP_1)
	v_cndmask_b32_e32 v6, 0, v6, vcc_lo
	v_add_nc_u32_e32 v5, v5, v6
	ds_store_b32 v98, v5
.LBB712_386:                            ;   in Loop: Header=BB712_12 Depth=1
	s_or_b32 exec_lo, exec_lo, s11
	v_mov_b32_e32 v5, 0
	s_waitcnt lgkmcnt(0)
	s_barrier
	buffer_gl0_inv
	s_and_saveexec_b32 s11, s5
	s_cbranch_execz .LBB712_388
; %bb.387:                              ;   in Loop: Header=BB712_12 Depth=1
	ds_load_b32 v5, v99
.LBB712_388:                            ;   in Loop: Header=BB712_12 Depth=1
	s_or_b32 exec_lo, exec_lo, s11
	v_add_nc_u32_e32 v6, -1, v136
	s_waitcnt lgkmcnt(0)
	v_add_nc_u32_e32 v4, v5, v4
	v_cmp_eq_u32_e64 s11, 0, v136
	s_barrier
	v_cmp_gt_i32_e32 vcc_lo, 0, v6
	buffer_gl0_inv
	v_cndmask_b32_e32 v6, v6, v136, vcc_lo
	s_delay_alu instid0(VALU_DEP_1)
	v_lshlrev_b32_e32 v137, 2, v6
	ds_bpermute_b32 v4, v137, v4
	s_and_saveexec_b32 s12, s2
	s_cbranch_execz .LBB712_390
; %bb.389:                              ;   in Loop: Header=BB712_12 Depth=1
	s_waitcnt lgkmcnt(0)
	v_cndmask_b32_e64 v4, v4, v5, s11
	s_delay_alu instid0(VALU_DEP_1)
	v_add_nc_u32_e32 v4, s60, v4
	ds_store_b32 v76, v4
.LBB712_390:                            ;   in Loop: Header=BB712_12 Depth=1
	s_or_b32 exec_lo, exec_lo, s12
	s_load_b64 s[12:13], s[36:37], 0x0
	v_lshlrev_b32_e32 v7, 3, v136
	v_cmp_lt_u32_e64 s14, 3, v2
	v_or_b32_e32 v138, v136, v100
	s_mov_b32 s50, s62
	s_mov_b32 s38, s60
	v_add_co_u32 v139, vcc_lo, v113, v7
	v_add_co_ci_u32_e32 v140, vcc_lo, 0, v114, vcc_lo
	v_add_co_u32 v156, vcc_lo, v115, v7
	v_add_co_ci_u32_e32 v157, vcc_lo, 0, v116, vcc_lo
	v_or_b32_e32 v141, 32, v138
	s_delay_alu instid0(VALU_DEP_3)
	v_add_co_u32 v159, vcc_lo, 0xf00, v156
	v_or_b32_e32 v142, 64, v138
	v_or_b32_e32 v143, 0x60, v138
	;; [unrolled: 1-line block ×3, first 2 shown]
	s_waitcnt lgkmcnt(0)
	s_cmp_lt_u32 s15, s13
	v_or_b32_e32 v145, 0xa0, v138
	s_cselect_b32 s13, 14, 20
	v_or_b32_e32 v146, 0xc0, v138
	s_add_u32 s16, s36, s13
	s_addc_u32 s17, s37, 0
	s_cmp_lt_u32 s28, s12
	global_load_u16 v4, v3, s[16:17]
	s_cselect_b32 s12, 12, 18
	v_or_b32_e32 v147, 0xe0, v138
	s_add_u32 s12, s36, s12
	s_addc_u32 s13, s37, 0
	v_or_b32_e32 v148, 0x100, v138
	global_load_u16 v6, v3, s[12:13]
	v_cmp_eq_u32_e64 s12, 0, v2
	v_cmp_lt_u32_e64 s13, 1, v2
	v_or_b32_e32 v149, 0x120, v138
	v_or_b32_e32 v150, 0x140, v138
	;; [unrolled: 1-line block ×7, first 2 shown]
	v_add_co_ci_u32_e32 v160, vcc_lo, 0, v157, vcc_lo
                                        ; implicit-def: $vgpr8_vgpr9
                                        ; implicit-def: $vgpr10_vgpr11
                                        ; implicit-def: $vgpr12_vgpr13
                                        ; implicit-def: $vgpr14_vgpr15
                                        ; implicit-def: $vgpr16_vgpr17
                                        ; implicit-def: $vgpr18_vgpr19
                                        ; implicit-def: $vgpr20_vgpr21
                                        ; implicit-def: $vgpr22_vgpr23
                                        ; implicit-def: $vgpr24_vgpr25
                                        ; implicit-def: $vgpr26_vgpr27
                                        ; implicit-def: $vgpr28_vgpr29
                                        ; implicit-def: $vgpr30_vgpr31
                                        ; implicit-def: $vgpr32_vgpr33
                                        ; implicit-def: $vgpr34_vgpr35
                                        ; implicit-def: $vgpr161
                                        ; implicit-def: $vgpr162
                                        ; implicit-def: $vgpr163
                                        ; implicit-def: $vgpr164
                                        ; implicit-def: $vgpr165
                                        ; implicit-def: $vgpr166
                                        ; implicit-def: $vgpr167
                                        ; implicit-def: $vgpr168
                                        ; implicit-def: $vgpr169
                                        ; implicit-def: $vgpr170
                                        ; implicit-def: $vgpr171
                                        ; implicit-def: $vgpr172
                                        ; implicit-def: $vgpr173
                                        ; implicit-def: $vgpr174
                                        ; implicit-def: $vgpr175
                                        ; implicit-def: $vgpr176
	s_waitcnt vmcnt(1)
	v_mad_u32_u24 v2, v101, v4, v0
	s_waitcnt vmcnt(0)
	s_delay_alu instid0(VALU_DEP_1) | instskip(NEXT) | instid1(VALU_DEP_1)
	v_mad_u64_u32 v[4:5], null, v2, v6, v[1:2]
                                        ; implicit-def: $vgpr6_vgpr7
	v_lshrrev_b32_e32 v158, 5, v4
                                        ; implicit-def: $vgpr4_vgpr5
	s_branch .LBB712_392
.LBB712_391:                            ;   in Loop: Header=BB712_392 Depth=2
	s_or_b32 exec_lo, exec_lo, s16
	s_addk_i32 s50, 0xf000
	s_cmp_lt_u32 s51, s61
	s_mov_b32 s38, s51
	s_cbranch_scc0 .LBB712_600
.LBB712_392:                            ;   Parent Loop BB712_12 Depth=1
                                        ; =>  This Inner Loop Header: Depth=2
	s_add_i32 s51, s38, 0x1000
	s_delay_alu instid0(SALU_CYCLE_1)
	s_cmp_gt_u32 s51, s61
	s_cbranch_scc1 .LBB712_394
; %bb.393:                              ;   in Loop: Header=BB712_392 Depth=2
	s_mov_b32 s39, 0
	s_delay_alu instid0(SALU_CYCLE_1) | instskip(NEXT) | instid1(SALU_CYCLE_1)
	s_lshl_b64 s[16:17], s[38:39], 3
	v_add_co_u32 v40, vcc_lo, v156, s16
	v_add_co_ci_u32_e32 v41, vcc_lo, s17, v157, vcc_lo
	s_mov_b32 s17, -1
	s_movk_i32 s16, 0x1000
	s_clause 0xe
	global_load_b64 v[36:37], v[40:41], off
	global_load_b64 v[38:39], v[40:41], off offset:256
	global_load_b64 v[44:45], v[40:41], off offset:512
	;; [unrolled: 1-line block ×14, first 2 shown]
	s_cbranch_execz .LBB712_395
	s_branch .LBB712_426
.LBB712_394:                            ;   in Loop: Header=BB712_392 Depth=2
	s_mov_b32 s39, -1
	s_mov_b32 s17, 0
                                        ; implicit-def: $sgpr16
                                        ; implicit-def: $vgpr36_vgpr37
                                        ; implicit-def: $vgpr38_vgpr39
                                        ; implicit-def: $vgpr44_vgpr45
                                        ; implicit-def: $vgpr48_vgpr49
                                        ; implicit-def: $vgpr54_vgpr55
                                        ; implicit-def: $vgpr58_vgpr59
                                        ; implicit-def: $vgpr62_vgpr63
                                        ; implicit-def: $vgpr66_vgpr67
                                        ; implicit-def: $vgpr64_vgpr65
                                        ; implicit-def: $vgpr60_vgpr61
                                        ; implicit-def: $vgpr56_vgpr57
                                        ; implicit-def: $vgpr52_vgpr53
                                        ; implicit-def: $vgpr50_vgpr51
                                        ; implicit-def: $vgpr46_vgpr47
                                        ; implicit-def: $vgpr40_vgpr41
.LBB712_395:                            ;   in Loop: Header=BB712_392 Depth=2
	s_mov_b32 s39, s34
	s_waitcnt vmcnt(14)
	v_dual_mov_b32 v37, s35 :: v_dual_mov_b32 v36, s34
	s_lshl_b64 s[16:17], s[38:39], 3
	s_delay_alu instid0(SALU_CYCLE_1)
	v_add_co_u32 v42, vcc_lo, v156, s16
	v_add_co_ci_u32_e32 v43, vcc_lo, s17, v157, vcc_lo
	s_mov_b32 s16, exec_lo
	v_cmpx_gt_u32_e64 s50, v138
	s_cbranch_execz .LBB712_397
; %bb.396:                              ;   in Loop: Header=BB712_392 Depth=2
	global_load_b64 v[36:37], v[42:43], off
.LBB712_397:                            ;   in Loop: Header=BB712_392 Depth=2
	s_or_b32 exec_lo, exec_lo, s16
	s_waitcnt vmcnt(13)
	v_dual_mov_b32 v39, s35 :: v_dual_mov_b32 v38, s34
	s_mov_b32 s16, exec_lo
	v_cmpx_gt_u32_e64 s50, v141
	s_cbranch_execz .LBB712_399
; %bb.398:                              ;   in Loop: Header=BB712_392 Depth=2
	global_load_b64 v[38:39], v[42:43], off offset:256
.LBB712_399:                            ;   in Loop: Header=BB712_392 Depth=2
	s_or_b32 exec_lo, exec_lo, s16
	s_waitcnt vmcnt(12)
	v_dual_mov_b32 v45, s35 :: v_dual_mov_b32 v44, s34
	s_mov_b32 s16, exec_lo
	v_cmpx_gt_u32_e64 s50, v142
	s_cbranch_execz .LBB712_401
; %bb.400:                              ;   in Loop: Header=BB712_392 Depth=2
	global_load_b64 v[44:45], v[42:43], off offset:512
.LBB712_401:                            ;   in Loop: Header=BB712_392 Depth=2
	;; [unrolled: 9-line block ×14, first 2 shown]
	s_or_b32 exec_lo, exec_lo, s16
	v_cmp_gt_u32_e64 s17, s50, v155
	s_sub_i32 s16, s61, s38
.LBB712_426:                            ;   in Loop: Header=BB712_392 Depth=2
	v_dual_mov_b32 v43, s35 :: v_dual_mov_b32 v42, s34
	v_mov_b32_e32 v177, s50
	s_delay_alu instid0(VALU_DEP_3)
	s_and_saveexec_b32 s18, s17
	s_cbranch_execz .LBB712_428
; %bb.427:                              ;   in Loop: Header=BB712_392 Depth=2
	s_lshl_b64 s[20:21], s[38:39], 3
	v_mov_b32_e32 v177, s16
	v_add_co_u32 v42, vcc_lo, v159, s20
	v_add_co_ci_u32_e32 v43, vcc_lo, s21, v160, vcc_lo
	global_load_b64 v[42:43], v[42:43], off
.LBB712_428:                            ;   in Loop: Header=BB712_392 Depth=2
	s_or_b32 exec_lo, exec_lo, s18
	s_waitcnt vmcnt(14)
	v_xor_b32_e32 v37, 0x7fffffff, v37
	v_not_b32_e32 v36, v36
	ds_store_b32 v102, v3 offset:1056
	ds_store_2addr_b32 v103, v3, v3 offset0:1 offset1:2
	ds_store_2addr_b32 v103, v3, v3 offset0:3 offset1:4
	;; [unrolled: 1-line block ×4, first 2 shown]
	s_waitcnt vmcnt(0) lgkmcnt(0)
	s_barrier
	v_lshrrev_b64 v[68:69], s41, v[36:37]
	buffer_gl0_inv
	; wave barrier
	v_and_b32_e32 v69, s43, v68
	s_delay_alu instid0(VALU_DEP_1)
	v_and_b32_e32 v2, 1, v69
	v_lshlrev_b32_e32 v68, 30, v69
	v_lshlrev_b32_e32 v70, 29, v69
	;; [unrolled: 1-line block ×4, first 2 shown]
	v_add_co_u32 v2, s16, v2, -1
	s_delay_alu instid0(VALU_DEP_1)
	v_cndmask_b32_e64 v72, 0, 1, s16
	v_not_b32_e32 v178, v68
	v_cmp_gt_i32_e64 s16, 0, v68
	v_not_b32_e32 v68, v70
	v_lshlrev_b32_e32 v74, 26, v69
	v_cmp_ne_u32_e32 vcc_lo, 0, v72
	v_ashrrev_i32_e32 v178, 31, v178
	v_lshlrev_b32_e32 v75, 25, v69
	v_ashrrev_i32_e32 v68, 31, v68
	v_lshlrev_b32_e32 v72, 24, v69
	v_xor_b32_e32 v2, vcc_lo, v2
	v_cmp_gt_i32_e32 vcc_lo, 0, v70
	v_not_b32_e32 v70, v71
	v_xor_b32_e32 v178, s16, v178
	v_cmp_gt_i32_e64 s16, 0, v71
	v_and_b32_e32 v2, exec_lo, v2
	v_not_b32_e32 v71, v73
	v_ashrrev_i32_e32 v70, 31, v70
	v_xor_b32_e32 v68, vcc_lo, v68
	v_cmp_gt_i32_e32 vcc_lo, 0, v73
	v_and_b32_e32 v2, v2, v178
	v_not_b32_e32 v73, v74
	v_ashrrev_i32_e32 v71, 31, v71
	v_xor_b32_e32 v70, s16, v70
	v_cmp_gt_i32_e64 s16, 0, v74
	v_and_b32_e32 v2, v2, v68
	v_not_b32_e32 v68, v75
	v_ashrrev_i32_e32 v73, 31, v73
	v_xor_b32_e32 v71, vcc_lo, v71
	v_cmp_gt_i32_e32 vcc_lo, 0, v75
	v_and_b32_e32 v2, v2, v70
	v_not_b32_e32 v70, v72
	v_ashrrev_i32_e32 v68, 31, v68
	v_xor_b32_e32 v73, s16, v73
	v_cmp_gt_i32_e64 s16, 0, v72
	v_and_b32_e32 v2, v2, v71
	v_ashrrev_i32_e32 v70, 31, v70
	v_xor_b32_e32 v68, vcc_lo, v68
	v_mad_u32_u24 v69, v69, 9, v158
	s_delay_alu instid0(VALU_DEP_4) | instskip(NEXT) | instid1(VALU_DEP_4)
	v_and_b32_e32 v2, v2, v73
	v_xor_b32_e32 v70, s16, v70
	s_delay_alu instid0(VALU_DEP_3) | instskip(NEXT) | instid1(VALU_DEP_3)
	v_lshl_add_u32 v178, v69, 2, 0x420
	v_and_b32_e32 v2, v2, v68
	s_delay_alu instid0(VALU_DEP_1) | instskip(NEXT) | instid1(VALU_DEP_1)
	v_and_b32_e32 v68, v2, v70
	v_mbcnt_lo_u32_b32 v2, v68, 0
	v_cmp_ne_u32_e64 s16, 0, v68
	s_delay_alu instid0(VALU_DEP_2) | instskip(NEXT) | instid1(VALU_DEP_2)
	v_cmp_eq_u32_e32 vcc_lo, 0, v2
	s_and_b32 s17, s16, vcc_lo
	s_delay_alu instid0(SALU_CYCLE_1)
	s_and_saveexec_b32 s16, s17
	s_cbranch_execz .LBB712_430
; %bb.429:                              ;   in Loop: Header=BB712_392 Depth=2
	v_bcnt_u32_b32 v68, v68, 0
	ds_store_b32 v178, v68
.LBB712_430:                            ;   in Loop: Header=BB712_392 Depth=2
	s_or_b32 exec_lo, exec_lo, s16
	v_xor_b32_e32 v39, 0x7fffffff, v39
	v_not_b32_e32 v38, v38
	; wave barrier
	s_delay_alu instid0(VALU_DEP_1) | instskip(NEXT) | instid1(VALU_DEP_1)
	v_lshrrev_b64 v[68:69], s41, v[38:39]
	v_and_b32_e32 v68, s43, v68
	s_delay_alu instid0(VALU_DEP_1)
	v_and_b32_e32 v69, 1, v68
	v_lshlrev_b32_e32 v70, 30, v68
	v_lshlrev_b32_e32 v71, 29, v68
	;; [unrolled: 1-line block ×4, first 2 shown]
	v_add_co_u32 v69, s16, v69, -1
	s_delay_alu instid0(VALU_DEP_1)
	v_cndmask_b32_e64 v73, 0, 1, s16
	v_not_b32_e32 v180, v70
	v_cmp_gt_i32_e64 s16, 0, v70
	v_not_b32_e32 v70, v71
	v_lshlrev_b32_e32 v75, 26, v68
	v_cmp_ne_u32_e32 vcc_lo, 0, v73
	v_ashrrev_i32_e32 v180, 31, v180
	v_lshlrev_b32_e32 v179, 25, v68
	v_ashrrev_i32_e32 v70, 31, v70
	v_lshlrev_b32_e32 v73, 24, v68
	v_xor_b32_e32 v69, vcc_lo, v69
	v_cmp_gt_i32_e32 vcc_lo, 0, v71
	v_not_b32_e32 v71, v72
	v_xor_b32_e32 v180, s16, v180
	v_cmp_gt_i32_e64 s16, 0, v72
	v_and_b32_e32 v69, exec_lo, v69
	v_not_b32_e32 v72, v74
	v_ashrrev_i32_e32 v71, 31, v71
	v_xor_b32_e32 v70, vcc_lo, v70
	v_cmp_gt_i32_e32 vcc_lo, 0, v74
	v_and_b32_e32 v69, v69, v180
	v_not_b32_e32 v74, v75
	v_ashrrev_i32_e32 v72, 31, v72
	v_xor_b32_e32 v71, s16, v71
	v_cmp_gt_i32_e64 s16, 0, v75
	v_and_b32_e32 v69, v69, v70
	v_not_b32_e32 v70, v179
	v_ashrrev_i32_e32 v74, 31, v74
	v_xor_b32_e32 v72, vcc_lo, v72
	v_cmp_gt_i32_e32 vcc_lo, 0, v179
	v_and_b32_e32 v69, v69, v71
	v_not_b32_e32 v71, v73
	v_ashrrev_i32_e32 v70, 31, v70
	v_xor_b32_e32 v74, s16, v74
	v_mul_u32_u24_e32 v68, 9, v68
	v_and_b32_e32 v69, v69, v72
	v_cmp_gt_i32_e64 s16, 0, v73
	v_ashrrev_i32_e32 v71, 31, v71
	v_xor_b32_e32 v70, vcc_lo, v70
	v_add_lshl_u32 v72, v68, v158, 2
	v_and_b32_e32 v69, v69, v74
	s_delay_alu instid0(VALU_DEP_4) | instskip(SKIP_3) | instid1(VALU_DEP_2)
	v_xor_b32_e32 v68, s16, v71
	ds_load_b32 v179, v72 offset:1056
	v_and_b32_e32 v69, v69, v70
	v_add_nc_u32_e32 v181, 0x420, v72
	; wave barrier
	v_and_b32_e32 v68, v69, v68
	s_delay_alu instid0(VALU_DEP_1) | instskip(SKIP_1) | instid1(VALU_DEP_2)
	v_mbcnt_lo_u32_b32 v180, v68, 0
	v_cmp_ne_u32_e64 s16, 0, v68
	v_cmp_eq_u32_e32 vcc_lo, 0, v180
	s_delay_alu instid0(VALU_DEP_2) | instskip(NEXT) | instid1(SALU_CYCLE_1)
	s_and_b32 s17, s16, vcc_lo
	s_and_saveexec_b32 s16, s17
	s_cbranch_execz .LBB712_432
; %bb.431:                              ;   in Loop: Header=BB712_392 Depth=2
	s_waitcnt lgkmcnt(0)
	v_bcnt_u32_b32 v68, v68, v179
	ds_store_b32 v181, v68
.LBB712_432:                            ;   in Loop: Header=BB712_392 Depth=2
	s_or_b32 exec_lo, exec_lo, s16
	v_xor_b32_e32 v45, 0x7fffffff, v45
	v_not_b32_e32 v44, v44
	; wave barrier
	s_delay_alu instid0(VALU_DEP_1) | instskip(NEXT) | instid1(VALU_DEP_1)
	v_lshrrev_b64 v[68:69], s41, v[44:45]
	v_and_b32_e32 v68, s43, v68
	s_delay_alu instid0(VALU_DEP_1)
	v_and_b32_e32 v69, 1, v68
	v_lshlrev_b32_e32 v70, 30, v68
	v_lshlrev_b32_e32 v71, 29, v68
	;; [unrolled: 1-line block ×4, first 2 shown]
	v_add_co_u32 v69, s16, v69, -1
	s_delay_alu instid0(VALU_DEP_1)
	v_cndmask_b32_e64 v73, 0, 1, s16
	v_not_b32_e32 v183, v70
	v_cmp_gt_i32_e64 s16, 0, v70
	v_not_b32_e32 v70, v71
	v_lshlrev_b32_e32 v75, 26, v68
	v_cmp_ne_u32_e32 vcc_lo, 0, v73
	v_ashrrev_i32_e32 v183, 31, v183
	v_lshlrev_b32_e32 v182, 25, v68
	v_ashrrev_i32_e32 v70, 31, v70
	v_lshlrev_b32_e32 v73, 24, v68
	v_xor_b32_e32 v69, vcc_lo, v69
	v_cmp_gt_i32_e32 vcc_lo, 0, v71
	v_not_b32_e32 v71, v72
	v_xor_b32_e32 v183, s16, v183
	v_cmp_gt_i32_e64 s16, 0, v72
	v_and_b32_e32 v69, exec_lo, v69
	v_not_b32_e32 v72, v74
	v_ashrrev_i32_e32 v71, 31, v71
	v_xor_b32_e32 v70, vcc_lo, v70
	v_cmp_gt_i32_e32 vcc_lo, 0, v74
	v_and_b32_e32 v69, v69, v183
	v_not_b32_e32 v74, v75
	v_ashrrev_i32_e32 v72, 31, v72
	v_xor_b32_e32 v71, s16, v71
	v_cmp_gt_i32_e64 s16, 0, v75
	v_and_b32_e32 v69, v69, v70
	v_not_b32_e32 v70, v182
	v_ashrrev_i32_e32 v74, 31, v74
	v_xor_b32_e32 v72, vcc_lo, v72
	v_cmp_gt_i32_e32 vcc_lo, 0, v182
	v_and_b32_e32 v69, v69, v71
	v_not_b32_e32 v71, v73
	v_ashrrev_i32_e32 v70, 31, v70
	v_xor_b32_e32 v74, s16, v74
	v_mul_u32_u24_e32 v68, 9, v68
	v_and_b32_e32 v69, v69, v72
	v_cmp_gt_i32_e64 s16, 0, v73
	v_ashrrev_i32_e32 v71, 31, v71
	v_xor_b32_e32 v70, vcc_lo, v70
	v_add_lshl_u32 v72, v68, v158, 2
	v_and_b32_e32 v69, v69, v74
	s_delay_alu instid0(VALU_DEP_4) | instskip(SKIP_3) | instid1(VALU_DEP_2)
	v_xor_b32_e32 v68, s16, v71
	ds_load_b32 v182, v72 offset:1056
	v_and_b32_e32 v69, v69, v70
	v_add_nc_u32_e32 v184, 0x420, v72
	; wave barrier
	v_and_b32_e32 v68, v69, v68
	s_delay_alu instid0(VALU_DEP_1) | instskip(SKIP_1) | instid1(VALU_DEP_2)
	v_mbcnt_lo_u32_b32 v183, v68, 0
	v_cmp_ne_u32_e64 s16, 0, v68
	v_cmp_eq_u32_e32 vcc_lo, 0, v183
	s_delay_alu instid0(VALU_DEP_2) | instskip(NEXT) | instid1(SALU_CYCLE_1)
	s_and_b32 s17, s16, vcc_lo
	s_and_saveexec_b32 s16, s17
	s_cbranch_execz .LBB712_434
; %bb.433:                              ;   in Loop: Header=BB712_392 Depth=2
	s_waitcnt lgkmcnt(0)
	v_bcnt_u32_b32 v68, v68, v182
	ds_store_b32 v184, v68
.LBB712_434:                            ;   in Loop: Header=BB712_392 Depth=2
	s_or_b32 exec_lo, exec_lo, s16
	v_xor_b32_e32 v49, 0x7fffffff, v49
	v_not_b32_e32 v48, v48
	; wave barrier
	s_delay_alu instid0(VALU_DEP_1) | instskip(NEXT) | instid1(VALU_DEP_1)
	v_lshrrev_b64 v[68:69], s41, v[48:49]
	v_and_b32_e32 v68, s43, v68
	s_delay_alu instid0(VALU_DEP_1)
	v_and_b32_e32 v69, 1, v68
	v_lshlrev_b32_e32 v70, 30, v68
	v_lshlrev_b32_e32 v71, 29, v68
	;; [unrolled: 1-line block ×4, first 2 shown]
	v_add_co_u32 v69, s16, v69, -1
	s_delay_alu instid0(VALU_DEP_1)
	v_cndmask_b32_e64 v73, 0, 1, s16
	v_not_b32_e32 v186, v70
	v_cmp_gt_i32_e64 s16, 0, v70
	v_not_b32_e32 v70, v71
	v_lshlrev_b32_e32 v75, 26, v68
	v_cmp_ne_u32_e32 vcc_lo, 0, v73
	v_ashrrev_i32_e32 v186, 31, v186
	v_lshlrev_b32_e32 v185, 25, v68
	v_ashrrev_i32_e32 v70, 31, v70
	v_lshlrev_b32_e32 v73, 24, v68
	v_xor_b32_e32 v69, vcc_lo, v69
	v_cmp_gt_i32_e32 vcc_lo, 0, v71
	v_not_b32_e32 v71, v72
	v_xor_b32_e32 v186, s16, v186
	v_cmp_gt_i32_e64 s16, 0, v72
	v_and_b32_e32 v69, exec_lo, v69
	v_not_b32_e32 v72, v74
	v_ashrrev_i32_e32 v71, 31, v71
	v_xor_b32_e32 v70, vcc_lo, v70
	v_cmp_gt_i32_e32 vcc_lo, 0, v74
	v_and_b32_e32 v69, v69, v186
	v_not_b32_e32 v74, v75
	v_ashrrev_i32_e32 v72, 31, v72
	v_xor_b32_e32 v71, s16, v71
	v_cmp_gt_i32_e64 s16, 0, v75
	v_and_b32_e32 v69, v69, v70
	v_not_b32_e32 v70, v185
	v_ashrrev_i32_e32 v74, 31, v74
	v_xor_b32_e32 v72, vcc_lo, v72
	v_cmp_gt_i32_e32 vcc_lo, 0, v185
	v_and_b32_e32 v69, v69, v71
	v_not_b32_e32 v71, v73
	v_ashrrev_i32_e32 v70, 31, v70
	v_xor_b32_e32 v74, s16, v74
	v_mul_u32_u24_e32 v68, 9, v68
	v_and_b32_e32 v69, v69, v72
	v_cmp_gt_i32_e64 s16, 0, v73
	v_ashrrev_i32_e32 v71, 31, v71
	v_xor_b32_e32 v70, vcc_lo, v70
	v_add_lshl_u32 v72, v68, v158, 2
	v_and_b32_e32 v69, v69, v74
	s_delay_alu instid0(VALU_DEP_4) | instskip(SKIP_3) | instid1(VALU_DEP_2)
	v_xor_b32_e32 v68, s16, v71
	ds_load_b32 v185, v72 offset:1056
	v_and_b32_e32 v69, v69, v70
	v_add_nc_u32_e32 v187, 0x420, v72
	; wave barrier
	v_and_b32_e32 v68, v69, v68
	s_delay_alu instid0(VALU_DEP_1) | instskip(SKIP_1) | instid1(VALU_DEP_2)
	v_mbcnt_lo_u32_b32 v186, v68, 0
	v_cmp_ne_u32_e64 s16, 0, v68
	v_cmp_eq_u32_e32 vcc_lo, 0, v186
	s_delay_alu instid0(VALU_DEP_2) | instskip(NEXT) | instid1(SALU_CYCLE_1)
	s_and_b32 s17, s16, vcc_lo
	s_and_saveexec_b32 s16, s17
	s_cbranch_execz .LBB712_436
; %bb.435:                              ;   in Loop: Header=BB712_392 Depth=2
	s_waitcnt lgkmcnt(0)
	v_bcnt_u32_b32 v68, v68, v185
	ds_store_b32 v187, v68
.LBB712_436:                            ;   in Loop: Header=BB712_392 Depth=2
	s_or_b32 exec_lo, exec_lo, s16
	v_xor_b32_e32 v55, 0x7fffffff, v55
	v_not_b32_e32 v54, v54
	; wave barrier
	s_delay_alu instid0(VALU_DEP_1) | instskip(NEXT) | instid1(VALU_DEP_1)
	v_lshrrev_b64 v[68:69], s41, v[54:55]
	v_and_b32_e32 v68, s43, v68
	s_delay_alu instid0(VALU_DEP_1)
	v_and_b32_e32 v69, 1, v68
	v_lshlrev_b32_e32 v70, 30, v68
	v_lshlrev_b32_e32 v71, 29, v68
	;; [unrolled: 1-line block ×4, first 2 shown]
	v_add_co_u32 v69, s16, v69, -1
	s_delay_alu instid0(VALU_DEP_1)
	v_cndmask_b32_e64 v73, 0, 1, s16
	v_not_b32_e32 v189, v70
	v_cmp_gt_i32_e64 s16, 0, v70
	v_not_b32_e32 v70, v71
	v_lshlrev_b32_e32 v75, 26, v68
	v_cmp_ne_u32_e32 vcc_lo, 0, v73
	v_ashrrev_i32_e32 v189, 31, v189
	v_lshlrev_b32_e32 v188, 25, v68
	v_ashrrev_i32_e32 v70, 31, v70
	v_lshlrev_b32_e32 v73, 24, v68
	v_xor_b32_e32 v69, vcc_lo, v69
	v_cmp_gt_i32_e32 vcc_lo, 0, v71
	v_not_b32_e32 v71, v72
	v_xor_b32_e32 v189, s16, v189
	v_cmp_gt_i32_e64 s16, 0, v72
	v_and_b32_e32 v69, exec_lo, v69
	v_not_b32_e32 v72, v74
	v_ashrrev_i32_e32 v71, 31, v71
	v_xor_b32_e32 v70, vcc_lo, v70
	v_cmp_gt_i32_e32 vcc_lo, 0, v74
	v_and_b32_e32 v69, v69, v189
	v_not_b32_e32 v74, v75
	v_ashrrev_i32_e32 v72, 31, v72
	v_xor_b32_e32 v71, s16, v71
	v_cmp_gt_i32_e64 s16, 0, v75
	v_and_b32_e32 v69, v69, v70
	v_not_b32_e32 v70, v188
	v_ashrrev_i32_e32 v74, 31, v74
	v_xor_b32_e32 v72, vcc_lo, v72
	v_cmp_gt_i32_e32 vcc_lo, 0, v188
	v_and_b32_e32 v69, v69, v71
	v_not_b32_e32 v71, v73
	v_ashrrev_i32_e32 v70, 31, v70
	v_xor_b32_e32 v74, s16, v74
	v_mul_u32_u24_e32 v68, 9, v68
	v_and_b32_e32 v69, v69, v72
	v_cmp_gt_i32_e64 s16, 0, v73
	v_ashrrev_i32_e32 v71, 31, v71
	v_xor_b32_e32 v70, vcc_lo, v70
	v_add_lshl_u32 v72, v68, v158, 2
	v_and_b32_e32 v69, v69, v74
	s_delay_alu instid0(VALU_DEP_4) | instskip(SKIP_3) | instid1(VALU_DEP_2)
	v_xor_b32_e32 v68, s16, v71
	ds_load_b32 v188, v72 offset:1056
	v_and_b32_e32 v69, v69, v70
	v_add_nc_u32_e32 v190, 0x420, v72
	; wave barrier
	v_and_b32_e32 v68, v69, v68
	s_delay_alu instid0(VALU_DEP_1) | instskip(SKIP_1) | instid1(VALU_DEP_2)
	v_mbcnt_lo_u32_b32 v189, v68, 0
	v_cmp_ne_u32_e64 s16, 0, v68
	v_cmp_eq_u32_e32 vcc_lo, 0, v189
	s_delay_alu instid0(VALU_DEP_2) | instskip(NEXT) | instid1(SALU_CYCLE_1)
	s_and_b32 s17, s16, vcc_lo
	s_and_saveexec_b32 s16, s17
	s_cbranch_execz .LBB712_438
; %bb.437:                              ;   in Loop: Header=BB712_392 Depth=2
	s_waitcnt lgkmcnt(0)
	v_bcnt_u32_b32 v68, v68, v188
	ds_store_b32 v190, v68
.LBB712_438:                            ;   in Loop: Header=BB712_392 Depth=2
	s_or_b32 exec_lo, exec_lo, s16
	v_xor_b32_e32 v59, 0x7fffffff, v59
	v_not_b32_e32 v58, v58
	; wave barrier
	s_delay_alu instid0(VALU_DEP_1) | instskip(NEXT) | instid1(VALU_DEP_1)
	v_lshrrev_b64 v[68:69], s41, v[58:59]
	v_and_b32_e32 v68, s43, v68
	s_delay_alu instid0(VALU_DEP_1)
	v_and_b32_e32 v69, 1, v68
	v_lshlrev_b32_e32 v70, 30, v68
	v_lshlrev_b32_e32 v71, 29, v68
	;; [unrolled: 1-line block ×4, first 2 shown]
	v_add_co_u32 v69, s16, v69, -1
	s_delay_alu instid0(VALU_DEP_1)
	v_cndmask_b32_e64 v73, 0, 1, s16
	v_not_b32_e32 v192, v70
	v_cmp_gt_i32_e64 s16, 0, v70
	v_not_b32_e32 v70, v71
	v_lshlrev_b32_e32 v75, 26, v68
	v_cmp_ne_u32_e32 vcc_lo, 0, v73
	v_ashrrev_i32_e32 v192, 31, v192
	v_lshlrev_b32_e32 v191, 25, v68
	v_ashrrev_i32_e32 v70, 31, v70
	v_lshlrev_b32_e32 v73, 24, v68
	v_xor_b32_e32 v69, vcc_lo, v69
	v_cmp_gt_i32_e32 vcc_lo, 0, v71
	v_not_b32_e32 v71, v72
	v_xor_b32_e32 v192, s16, v192
	v_cmp_gt_i32_e64 s16, 0, v72
	v_and_b32_e32 v69, exec_lo, v69
	v_not_b32_e32 v72, v74
	v_ashrrev_i32_e32 v71, 31, v71
	v_xor_b32_e32 v70, vcc_lo, v70
	v_cmp_gt_i32_e32 vcc_lo, 0, v74
	v_and_b32_e32 v69, v69, v192
	v_not_b32_e32 v74, v75
	v_ashrrev_i32_e32 v72, 31, v72
	v_xor_b32_e32 v71, s16, v71
	v_cmp_gt_i32_e64 s16, 0, v75
	v_and_b32_e32 v69, v69, v70
	v_not_b32_e32 v70, v191
	v_ashrrev_i32_e32 v74, 31, v74
	v_xor_b32_e32 v72, vcc_lo, v72
	v_cmp_gt_i32_e32 vcc_lo, 0, v191
	v_and_b32_e32 v69, v69, v71
	v_not_b32_e32 v71, v73
	v_ashrrev_i32_e32 v70, 31, v70
	v_xor_b32_e32 v74, s16, v74
	v_mul_u32_u24_e32 v68, 9, v68
	v_and_b32_e32 v69, v69, v72
	v_cmp_gt_i32_e64 s16, 0, v73
	v_ashrrev_i32_e32 v71, 31, v71
	v_xor_b32_e32 v70, vcc_lo, v70
	v_add_lshl_u32 v72, v68, v158, 2
	v_and_b32_e32 v69, v69, v74
	s_delay_alu instid0(VALU_DEP_4) | instskip(SKIP_3) | instid1(VALU_DEP_2)
	v_xor_b32_e32 v68, s16, v71
	ds_load_b32 v191, v72 offset:1056
	v_and_b32_e32 v69, v69, v70
	v_add_nc_u32_e32 v193, 0x420, v72
	; wave barrier
	v_and_b32_e32 v68, v69, v68
	s_delay_alu instid0(VALU_DEP_1) | instskip(SKIP_1) | instid1(VALU_DEP_2)
	v_mbcnt_lo_u32_b32 v192, v68, 0
	v_cmp_ne_u32_e64 s16, 0, v68
	v_cmp_eq_u32_e32 vcc_lo, 0, v192
	s_delay_alu instid0(VALU_DEP_2) | instskip(NEXT) | instid1(SALU_CYCLE_1)
	s_and_b32 s17, s16, vcc_lo
	s_and_saveexec_b32 s16, s17
	s_cbranch_execz .LBB712_440
; %bb.439:                              ;   in Loop: Header=BB712_392 Depth=2
	s_waitcnt lgkmcnt(0)
	v_bcnt_u32_b32 v68, v68, v191
	ds_store_b32 v193, v68
.LBB712_440:                            ;   in Loop: Header=BB712_392 Depth=2
	s_or_b32 exec_lo, exec_lo, s16
	v_xor_b32_e32 v63, 0x7fffffff, v63
	v_not_b32_e32 v62, v62
	; wave barrier
	s_delay_alu instid0(VALU_DEP_1) | instskip(NEXT) | instid1(VALU_DEP_1)
	v_lshrrev_b64 v[68:69], s41, v[62:63]
	v_and_b32_e32 v68, s43, v68
	s_delay_alu instid0(VALU_DEP_1)
	v_and_b32_e32 v69, 1, v68
	v_lshlrev_b32_e32 v70, 30, v68
	v_lshlrev_b32_e32 v71, 29, v68
	;; [unrolled: 1-line block ×4, first 2 shown]
	v_add_co_u32 v69, s16, v69, -1
	s_delay_alu instid0(VALU_DEP_1)
	v_cndmask_b32_e64 v73, 0, 1, s16
	v_not_b32_e32 v195, v70
	v_cmp_gt_i32_e64 s16, 0, v70
	v_not_b32_e32 v70, v71
	v_lshlrev_b32_e32 v75, 26, v68
	v_cmp_ne_u32_e32 vcc_lo, 0, v73
	v_ashrrev_i32_e32 v195, 31, v195
	v_lshlrev_b32_e32 v194, 25, v68
	v_ashrrev_i32_e32 v70, 31, v70
	v_lshlrev_b32_e32 v73, 24, v68
	v_xor_b32_e32 v69, vcc_lo, v69
	v_cmp_gt_i32_e32 vcc_lo, 0, v71
	v_not_b32_e32 v71, v72
	v_xor_b32_e32 v195, s16, v195
	v_cmp_gt_i32_e64 s16, 0, v72
	v_and_b32_e32 v69, exec_lo, v69
	v_not_b32_e32 v72, v74
	v_ashrrev_i32_e32 v71, 31, v71
	v_xor_b32_e32 v70, vcc_lo, v70
	v_cmp_gt_i32_e32 vcc_lo, 0, v74
	v_and_b32_e32 v69, v69, v195
	v_not_b32_e32 v74, v75
	v_ashrrev_i32_e32 v72, 31, v72
	v_xor_b32_e32 v71, s16, v71
	v_cmp_gt_i32_e64 s16, 0, v75
	v_and_b32_e32 v69, v69, v70
	v_not_b32_e32 v70, v194
	v_ashrrev_i32_e32 v74, 31, v74
	v_xor_b32_e32 v72, vcc_lo, v72
	v_cmp_gt_i32_e32 vcc_lo, 0, v194
	v_and_b32_e32 v69, v69, v71
	v_not_b32_e32 v71, v73
	v_ashrrev_i32_e32 v70, 31, v70
	v_xor_b32_e32 v74, s16, v74
	v_mul_u32_u24_e32 v68, 9, v68
	v_and_b32_e32 v69, v69, v72
	v_cmp_gt_i32_e64 s16, 0, v73
	v_ashrrev_i32_e32 v71, 31, v71
	v_xor_b32_e32 v70, vcc_lo, v70
	v_add_lshl_u32 v72, v68, v158, 2
	v_and_b32_e32 v69, v69, v74
	s_delay_alu instid0(VALU_DEP_4) | instskip(SKIP_3) | instid1(VALU_DEP_2)
	v_xor_b32_e32 v68, s16, v71
	ds_load_b32 v194, v72 offset:1056
	v_and_b32_e32 v69, v69, v70
	v_add_nc_u32_e32 v196, 0x420, v72
	; wave barrier
	v_and_b32_e32 v68, v69, v68
	s_delay_alu instid0(VALU_DEP_1) | instskip(SKIP_1) | instid1(VALU_DEP_2)
	v_mbcnt_lo_u32_b32 v195, v68, 0
	v_cmp_ne_u32_e64 s16, 0, v68
	v_cmp_eq_u32_e32 vcc_lo, 0, v195
	s_delay_alu instid0(VALU_DEP_2) | instskip(NEXT) | instid1(SALU_CYCLE_1)
	s_and_b32 s17, s16, vcc_lo
	s_and_saveexec_b32 s16, s17
	s_cbranch_execz .LBB712_442
; %bb.441:                              ;   in Loop: Header=BB712_392 Depth=2
	s_waitcnt lgkmcnt(0)
	v_bcnt_u32_b32 v68, v68, v194
	ds_store_b32 v196, v68
.LBB712_442:                            ;   in Loop: Header=BB712_392 Depth=2
	s_or_b32 exec_lo, exec_lo, s16
	v_xor_b32_e32 v67, 0x7fffffff, v67
	v_not_b32_e32 v66, v66
	; wave barrier
	s_delay_alu instid0(VALU_DEP_1) | instskip(NEXT) | instid1(VALU_DEP_1)
	v_lshrrev_b64 v[68:69], s41, v[66:67]
	v_and_b32_e32 v68, s43, v68
	s_delay_alu instid0(VALU_DEP_1)
	v_and_b32_e32 v69, 1, v68
	v_lshlrev_b32_e32 v70, 30, v68
	v_lshlrev_b32_e32 v71, 29, v68
	;; [unrolled: 1-line block ×4, first 2 shown]
	v_add_co_u32 v69, s16, v69, -1
	s_delay_alu instid0(VALU_DEP_1)
	v_cndmask_b32_e64 v73, 0, 1, s16
	v_not_b32_e32 v198, v70
	v_cmp_gt_i32_e64 s16, 0, v70
	v_not_b32_e32 v70, v71
	v_lshlrev_b32_e32 v75, 26, v68
	v_cmp_ne_u32_e32 vcc_lo, 0, v73
	v_ashrrev_i32_e32 v198, 31, v198
	v_lshlrev_b32_e32 v197, 25, v68
	v_ashrrev_i32_e32 v70, 31, v70
	v_lshlrev_b32_e32 v73, 24, v68
	v_xor_b32_e32 v69, vcc_lo, v69
	v_cmp_gt_i32_e32 vcc_lo, 0, v71
	v_not_b32_e32 v71, v72
	v_xor_b32_e32 v198, s16, v198
	v_cmp_gt_i32_e64 s16, 0, v72
	v_and_b32_e32 v69, exec_lo, v69
	v_not_b32_e32 v72, v74
	v_ashrrev_i32_e32 v71, 31, v71
	v_xor_b32_e32 v70, vcc_lo, v70
	v_cmp_gt_i32_e32 vcc_lo, 0, v74
	v_and_b32_e32 v69, v69, v198
	v_not_b32_e32 v74, v75
	v_ashrrev_i32_e32 v72, 31, v72
	v_xor_b32_e32 v71, s16, v71
	v_cmp_gt_i32_e64 s16, 0, v75
	v_and_b32_e32 v69, v69, v70
	v_not_b32_e32 v70, v197
	v_ashrrev_i32_e32 v74, 31, v74
	v_xor_b32_e32 v72, vcc_lo, v72
	v_cmp_gt_i32_e32 vcc_lo, 0, v197
	v_and_b32_e32 v69, v69, v71
	v_not_b32_e32 v71, v73
	v_ashrrev_i32_e32 v70, 31, v70
	v_xor_b32_e32 v74, s16, v74
	v_mul_u32_u24_e32 v68, 9, v68
	v_and_b32_e32 v69, v69, v72
	v_cmp_gt_i32_e64 s16, 0, v73
	v_ashrrev_i32_e32 v71, 31, v71
	v_xor_b32_e32 v70, vcc_lo, v70
	v_add_lshl_u32 v72, v68, v158, 2
	v_and_b32_e32 v69, v69, v74
	s_delay_alu instid0(VALU_DEP_4) | instskip(SKIP_3) | instid1(VALU_DEP_2)
	v_xor_b32_e32 v68, s16, v71
	ds_load_b32 v197, v72 offset:1056
	v_and_b32_e32 v69, v69, v70
	v_add_nc_u32_e32 v199, 0x420, v72
	; wave barrier
	v_and_b32_e32 v68, v69, v68
	s_delay_alu instid0(VALU_DEP_1) | instskip(SKIP_1) | instid1(VALU_DEP_2)
	v_mbcnt_lo_u32_b32 v198, v68, 0
	v_cmp_ne_u32_e64 s16, 0, v68
	v_cmp_eq_u32_e32 vcc_lo, 0, v198
	s_delay_alu instid0(VALU_DEP_2) | instskip(NEXT) | instid1(SALU_CYCLE_1)
	s_and_b32 s17, s16, vcc_lo
	s_and_saveexec_b32 s16, s17
	s_cbranch_execz .LBB712_444
; %bb.443:                              ;   in Loop: Header=BB712_392 Depth=2
	s_waitcnt lgkmcnt(0)
	v_bcnt_u32_b32 v68, v68, v197
	ds_store_b32 v199, v68
.LBB712_444:                            ;   in Loop: Header=BB712_392 Depth=2
	s_or_b32 exec_lo, exec_lo, s16
	v_xor_b32_e32 v65, 0x7fffffff, v65
	v_not_b32_e32 v64, v64
	; wave barrier
	s_delay_alu instid0(VALU_DEP_1) | instskip(NEXT) | instid1(VALU_DEP_1)
	v_lshrrev_b64 v[68:69], s41, v[64:65]
	v_and_b32_e32 v68, s43, v68
	s_delay_alu instid0(VALU_DEP_1)
	v_and_b32_e32 v69, 1, v68
	v_lshlrev_b32_e32 v70, 30, v68
	v_lshlrev_b32_e32 v71, 29, v68
	;; [unrolled: 1-line block ×4, first 2 shown]
	v_add_co_u32 v69, s16, v69, -1
	s_delay_alu instid0(VALU_DEP_1)
	v_cndmask_b32_e64 v73, 0, 1, s16
	v_not_b32_e32 v201, v70
	v_cmp_gt_i32_e64 s16, 0, v70
	v_not_b32_e32 v70, v71
	v_lshlrev_b32_e32 v75, 26, v68
	v_cmp_ne_u32_e32 vcc_lo, 0, v73
	v_ashrrev_i32_e32 v201, 31, v201
	v_lshlrev_b32_e32 v200, 25, v68
	v_ashrrev_i32_e32 v70, 31, v70
	v_lshlrev_b32_e32 v73, 24, v68
	v_xor_b32_e32 v69, vcc_lo, v69
	v_cmp_gt_i32_e32 vcc_lo, 0, v71
	v_not_b32_e32 v71, v72
	v_xor_b32_e32 v201, s16, v201
	v_cmp_gt_i32_e64 s16, 0, v72
	v_and_b32_e32 v69, exec_lo, v69
	v_not_b32_e32 v72, v74
	v_ashrrev_i32_e32 v71, 31, v71
	v_xor_b32_e32 v70, vcc_lo, v70
	v_cmp_gt_i32_e32 vcc_lo, 0, v74
	v_and_b32_e32 v69, v69, v201
	v_not_b32_e32 v74, v75
	v_ashrrev_i32_e32 v72, 31, v72
	v_xor_b32_e32 v71, s16, v71
	v_cmp_gt_i32_e64 s16, 0, v75
	v_and_b32_e32 v69, v69, v70
	v_not_b32_e32 v70, v200
	v_ashrrev_i32_e32 v74, 31, v74
	v_xor_b32_e32 v72, vcc_lo, v72
	v_cmp_gt_i32_e32 vcc_lo, 0, v200
	v_and_b32_e32 v69, v69, v71
	v_not_b32_e32 v71, v73
	v_ashrrev_i32_e32 v70, 31, v70
	v_xor_b32_e32 v74, s16, v74
	v_mul_u32_u24_e32 v68, 9, v68
	v_and_b32_e32 v69, v69, v72
	v_cmp_gt_i32_e64 s16, 0, v73
	v_ashrrev_i32_e32 v71, 31, v71
	v_xor_b32_e32 v70, vcc_lo, v70
	v_add_lshl_u32 v72, v68, v158, 2
	v_and_b32_e32 v69, v69, v74
	s_delay_alu instid0(VALU_DEP_4) | instskip(SKIP_3) | instid1(VALU_DEP_2)
	v_xor_b32_e32 v68, s16, v71
	ds_load_b32 v200, v72 offset:1056
	v_and_b32_e32 v69, v69, v70
	v_add_nc_u32_e32 v202, 0x420, v72
	; wave barrier
	v_and_b32_e32 v68, v69, v68
	s_delay_alu instid0(VALU_DEP_1) | instskip(SKIP_1) | instid1(VALU_DEP_2)
	v_mbcnt_lo_u32_b32 v201, v68, 0
	v_cmp_ne_u32_e64 s16, 0, v68
	v_cmp_eq_u32_e32 vcc_lo, 0, v201
	s_delay_alu instid0(VALU_DEP_2) | instskip(NEXT) | instid1(SALU_CYCLE_1)
	s_and_b32 s17, s16, vcc_lo
	s_and_saveexec_b32 s16, s17
	s_cbranch_execz .LBB712_446
; %bb.445:                              ;   in Loop: Header=BB712_392 Depth=2
	s_waitcnt lgkmcnt(0)
	v_bcnt_u32_b32 v68, v68, v200
	ds_store_b32 v202, v68
.LBB712_446:                            ;   in Loop: Header=BB712_392 Depth=2
	s_or_b32 exec_lo, exec_lo, s16
	v_xor_b32_e32 v61, 0x7fffffff, v61
	v_not_b32_e32 v60, v60
	; wave barrier
	s_delay_alu instid0(VALU_DEP_1) | instskip(NEXT) | instid1(VALU_DEP_1)
	v_lshrrev_b64 v[68:69], s41, v[60:61]
	v_and_b32_e32 v68, s43, v68
	s_delay_alu instid0(VALU_DEP_1)
	v_and_b32_e32 v69, 1, v68
	v_lshlrev_b32_e32 v70, 30, v68
	v_lshlrev_b32_e32 v71, 29, v68
	;; [unrolled: 1-line block ×4, first 2 shown]
	v_add_co_u32 v69, s16, v69, -1
	s_delay_alu instid0(VALU_DEP_1)
	v_cndmask_b32_e64 v73, 0, 1, s16
	v_not_b32_e32 v204, v70
	v_cmp_gt_i32_e64 s16, 0, v70
	v_not_b32_e32 v70, v71
	v_lshlrev_b32_e32 v75, 26, v68
	v_cmp_ne_u32_e32 vcc_lo, 0, v73
	v_ashrrev_i32_e32 v204, 31, v204
	v_lshlrev_b32_e32 v203, 25, v68
	v_ashrrev_i32_e32 v70, 31, v70
	v_lshlrev_b32_e32 v73, 24, v68
	v_xor_b32_e32 v69, vcc_lo, v69
	v_cmp_gt_i32_e32 vcc_lo, 0, v71
	v_not_b32_e32 v71, v72
	v_xor_b32_e32 v204, s16, v204
	v_cmp_gt_i32_e64 s16, 0, v72
	v_and_b32_e32 v69, exec_lo, v69
	v_not_b32_e32 v72, v74
	v_ashrrev_i32_e32 v71, 31, v71
	v_xor_b32_e32 v70, vcc_lo, v70
	v_cmp_gt_i32_e32 vcc_lo, 0, v74
	v_and_b32_e32 v69, v69, v204
	v_not_b32_e32 v74, v75
	v_ashrrev_i32_e32 v72, 31, v72
	v_xor_b32_e32 v71, s16, v71
	v_cmp_gt_i32_e64 s16, 0, v75
	v_and_b32_e32 v69, v69, v70
	v_not_b32_e32 v70, v203
	v_ashrrev_i32_e32 v74, 31, v74
	v_xor_b32_e32 v72, vcc_lo, v72
	v_cmp_gt_i32_e32 vcc_lo, 0, v203
	v_and_b32_e32 v69, v69, v71
	v_not_b32_e32 v71, v73
	v_ashrrev_i32_e32 v70, 31, v70
	v_xor_b32_e32 v74, s16, v74
	v_mul_u32_u24_e32 v68, 9, v68
	v_and_b32_e32 v69, v69, v72
	v_cmp_gt_i32_e64 s16, 0, v73
	v_ashrrev_i32_e32 v71, 31, v71
	v_xor_b32_e32 v70, vcc_lo, v70
	v_add_lshl_u32 v72, v68, v158, 2
	v_and_b32_e32 v69, v69, v74
	s_delay_alu instid0(VALU_DEP_4) | instskip(SKIP_3) | instid1(VALU_DEP_2)
	v_xor_b32_e32 v68, s16, v71
	ds_load_b32 v203, v72 offset:1056
	v_and_b32_e32 v69, v69, v70
	v_add_nc_u32_e32 v205, 0x420, v72
	; wave barrier
	v_and_b32_e32 v68, v69, v68
	s_delay_alu instid0(VALU_DEP_1) | instskip(SKIP_1) | instid1(VALU_DEP_2)
	v_mbcnt_lo_u32_b32 v204, v68, 0
	v_cmp_ne_u32_e64 s16, 0, v68
	v_cmp_eq_u32_e32 vcc_lo, 0, v204
	s_delay_alu instid0(VALU_DEP_2) | instskip(NEXT) | instid1(SALU_CYCLE_1)
	s_and_b32 s17, s16, vcc_lo
	s_and_saveexec_b32 s16, s17
	s_cbranch_execz .LBB712_448
; %bb.447:                              ;   in Loop: Header=BB712_392 Depth=2
	s_waitcnt lgkmcnt(0)
	v_bcnt_u32_b32 v68, v68, v203
	ds_store_b32 v205, v68
.LBB712_448:                            ;   in Loop: Header=BB712_392 Depth=2
	s_or_b32 exec_lo, exec_lo, s16
	v_xor_b32_e32 v57, 0x7fffffff, v57
	v_not_b32_e32 v56, v56
	; wave barrier
	s_delay_alu instid0(VALU_DEP_1) | instskip(NEXT) | instid1(VALU_DEP_1)
	v_lshrrev_b64 v[68:69], s41, v[56:57]
	v_and_b32_e32 v68, s43, v68
	s_delay_alu instid0(VALU_DEP_1)
	v_and_b32_e32 v69, 1, v68
	v_lshlrev_b32_e32 v70, 30, v68
	v_lshlrev_b32_e32 v71, 29, v68
	;; [unrolled: 1-line block ×4, first 2 shown]
	v_add_co_u32 v69, s16, v69, -1
	s_delay_alu instid0(VALU_DEP_1)
	v_cndmask_b32_e64 v73, 0, 1, s16
	v_not_b32_e32 v207, v70
	v_cmp_gt_i32_e64 s16, 0, v70
	v_not_b32_e32 v70, v71
	v_lshlrev_b32_e32 v75, 26, v68
	v_cmp_ne_u32_e32 vcc_lo, 0, v73
	v_ashrrev_i32_e32 v207, 31, v207
	v_lshlrev_b32_e32 v206, 25, v68
	v_ashrrev_i32_e32 v70, 31, v70
	v_lshlrev_b32_e32 v73, 24, v68
	v_xor_b32_e32 v69, vcc_lo, v69
	v_cmp_gt_i32_e32 vcc_lo, 0, v71
	v_not_b32_e32 v71, v72
	v_xor_b32_e32 v207, s16, v207
	v_cmp_gt_i32_e64 s16, 0, v72
	v_and_b32_e32 v69, exec_lo, v69
	v_not_b32_e32 v72, v74
	v_ashrrev_i32_e32 v71, 31, v71
	v_xor_b32_e32 v70, vcc_lo, v70
	v_cmp_gt_i32_e32 vcc_lo, 0, v74
	v_and_b32_e32 v69, v69, v207
	v_not_b32_e32 v74, v75
	v_ashrrev_i32_e32 v72, 31, v72
	v_xor_b32_e32 v71, s16, v71
	v_cmp_gt_i32_e64 s16, 0, v75
	v_and_b32_e32 v69, v69, v70
	v_not_b32_e32 v70, v206
	v_ashrrev_i32_e32 v74, 31, v74
	v_xor_b32_e32 v72, vcc_lo, v72
	v_cmp_gt_i32_e32 vcc_lo, 0, v206
	v_and_b32_e32 v69, v69, v71
	v_not_b32_e32 v71, v73
	v_ashrrev_i32_e32 v70, 31, v70
	v_xor_b32_e32 v74, s16, v74
	v_mul_u32_u24_e32 v68, 9, v68
	v_and_b32_e32 v69, v69, v72
	v_cmp_gt_i32_e64 s16, 0, v73
	v_ashrrev_i32_e32 v71, 31, v71
	v_xor_b32_e32 v70, vcc_lo, v70
	v_add_lshl_u32 v72, v68, v158, 2
	v_and_b32_e32 v69, v69, v74
	s_delay_alu instid0(VALU_DEP_4) | instskip(SKIP_3) | instid1(VALU_DEP_2)
	v_xor_b32_e32 v68, s16, v71
	ds_load_b32 v206, v72 offset:1056
	v_and_b32_e32 v69, v69, v70
	v_add_nc_u32_e32 v208, 0x420, v72
	; wave barrier
	v_and_b32_e32 v68, v69, v68
	s_delay_alu instid0(VALU_DEP_1) | instskip(SKIP_1) | instid1(VALU_DEP_2)
	v_mbcnt_lo_u32_b32 v207, v68, 0
	v_cmp_ne_u32_e64 s16, 0, v68
	v_cmp_eq_u32_e32 vcc_lo, 0, v207
	s_delay_alu instid0(VALU_DEP_2) | instskip(NEXT) | instid1(SALU_CYCLE_1)
	s_and_b32 s17, s16, vcc_lo
	s_and_saveexec_b32 s16, s17
	s_cbranch_execz .LBB712_450
; %bb.449:                              ;   in Loop: Header=BB712_392 Depth=2
	s_waitcnt lgkmcnt(0)
	v_bcnt_u32_b32 v68, v68, v206
	ds_store_b32 v208, v68
.LBB712_450:                            ;   in Loop: Header=BB712_392 Depth=2
	s_or_b32 exec_lo, exec_lo, s16
	v_xor_b32_e32 v53, 0x7fffffff, v53
	v_not_b32_e32 v52, v52
	; wave barrier
	s_delay_alu instid0(VALU_DEP_1) | instskip(NEXT) | instid1(VALU_DEP_1)
	v_lshrrev_b64 v[68:69], s41, v[52:53]
	v_and_b32_e32 v68, s43, v68
	s_delay_alu instid0(VALU_DEP_1)
	v_and_b32_e32 v69, 1, v68
	v_lshlrev_b32_e32 v70, 30, v68
	v_lshlrev_b32_e32 v71, 29, v68
	;; [unrolled: 1-line block ×4, first 2 shown]
	v_add_co_u32 v69, s16, v69, -1
	s_delay_alu instid0(VALU_DEP_1)
	v_cndmask_b32_e64 v73, 0, 1, s16
	v_not_b32_e32 v210, v70
	v_cmp_gt_i32_e64 s16, 0, v70
	v_not_b32_e32 v70, v71
	v_lshlrev_b32_e32 v75, 26, v68
	v_cmp_ne_u32_e32 vcc_lo, 0, v73
	v_ashrrev_i32_e32 v210, 31, v210
	v_lshlrev_b32_e32 v209, 25, v68
	v_ashrrev_i32_e32 v70, 31, v70
	v_lshlrev_b32_e32 v73, 24, v68
	v_xor_b32_e32 v69, vcc_lo, v69
	v_cmp_gt_i32_e32 vcc_lo, 0, v71
	v_not_b32_e32 v71, v72
	v_xor_b32_e32 v210, s16, v210
	v_cmp_gt_i32_e64 s16, 0, v72
	v_and_b32_e32 v69, exec_lo, v69
	v_not_b32_e32 v72, v74
	v_ashrrev_i32_e32 v71, 31, v71
	v_xor_b32_e32 v70, vcc_lo, v70
	v_cmp_gt_i32_e32 vcc_lo, 0, v74
	v_and_b32_e32 v69, v69, v210
	v_not_b32_e32 v74, v75
	v_ashrrev_i32_e32 v72, 31, v72
	v_xor_b32_e32 v71, s16, v71
	v_cmp_gt_i32_e64 s16, 0, v75
	v_and_b32_e32 v69, v69, v70
	v_not_b32_e32 v70, v209
	v_ashrrev_i32_e32 v74, 31, v74
	v_xor_b32_e32 v72, vcc_lo, v72
	v_cmp_gt_i32_e32 vcc_lo, 0, v209
	v_and_b32_e32 v69, v69, v71
	v_not_b32_e32 v71, v73
	v_ashrrev_i32_e32 v70, 31, v70
	v_xor_b32_e32 v74, s16, v74
	v_mul_u32_u24_e32 v68, 9, v68
	v_and_b32_e32 v69, v69, v72
	v_cmp_gt_i32_e64 s16, 0, v73
	v_ashrrev_i32_e32 v71, 31, v71
	v_xor_b32_e32 v70, vcc_lo, v70
	v_add_lshl_u32 v72, v68, v158, 2
	v_and_b32_e32 v69, v69, v74
	s_delay_alu instid0(VALU_DEP_4) | instskip(SKIP_3) | instid1(VALU_DEP_2)
	v_xor_b32_e32 v68, s16, v71
	ds_load_b32 v209, v72 offset:1056
	v_and_b32_e32 v69, v69, v70
	v_add_nc_u32_e32 v211, 0x420, v72
	; wave barrier
	v_and_b32_e32 v68, v69, v68
	s_delay_alu instid0(VALU_DEP_1) | instskip(SKIP_1) | instid1(VALU_DEP_2)
	v_mbcnt_lo_u32_b32 v210, v68, 0
	v_cmp_ne_u32_e64 s16, 0, v68
	v_cmp_eq_u32_e32 vcc_lo, 0, v210
	s_delay_alu instid0(VALU_DEP_2) | instskip(NEXT) | instid1(SALU_CYCLE_1)
	s_and_b32 s17, s16, vcc_lo
	s_and_saveexec_b32 s16, s17
	s_cbranch_execz .LBB712_452
; %bb.451:                              ;   in Loop: Header=BB712_392 Depth=2
	s_waitcnt lgkmcnt(0)
	v_bcnt_u32_b32 v68, v68, v209
	ds_store_b32 v211, v68
.LBB712_452:                            ;   in Loop: Header=BB712_392 Depth=2
	s_or_b32 exec_lo, exec_lo, s16
	v_xor_b32_e32 v51, 0x7fffffff, v51
	v_not_b32_e32 v50, v50
	; wave barrier
	s_delay_alu instid0(VALU_DEP_1) | instskip(NEXT) | instid1(VALU_DEP_1)
	v_lshrrev_b64 v[68:69], s41, v[50:51]
	v_and_b32_e32 v68, s43, v68
	s_delay_alu instid0(VALU_DEP_1)
	v_and_b32_e32 v69, 1, v68
	v_lshlrev_b32_e32 v70, 30, v68
	v_lshlrev_b32_e32 v71, 29, v68
	;; [unrolled: 1-line block ×4, first 2 shown]
	v_add_co_u32 v69, s16, v69, -1
	s_delay_alu instid0(VALU_DEP_1)
	v_cndmask_b32_e64 v73, 0, 1, s16
	v_not_b32_e32 v213, v70
	v_cmp_gt_i32_e64 s16, 0, v70
	v_not_b32_e32 v70, v71
	v_lshlrev_b32_e32 v75, 26, v68
	v_cmp_ne_u32_e32 vcc_lo, 0, v73
	v_ashrrev_i32_e32 v213, 31, v213
	v_lshlrev_b32_e32 v212, 25, v68
	v_ashrrev_i32_e32 v70, 31, v70
	v_lshlrev_b32_e32 v73, 24, v68
	v_xor_b32_e32 v69, vcc_lo, v69
	v_cmp_gt_i32_e32 vcc_lo, 0, v71
	v_not_b32_e32 v71, v72
	v_xor_b32_e32 v213, s16, v213
	v_cmp_gt_i32_e64 s16, 0, v72
	v_and_b32_e32 v69, exec_lo, v69
	v_not_b32_e32 v72, v74
	v_ashrrev_i32_e32 v71, 31, v71
	v_xor_b32_e32 v70, vcc_lo, v70
	v_cmp_gt_i32_e32 vcc_lo, 0, v74
	v_and_b32_e32 v69, v69, v213
	v_not_b32_e32 v74, v75
	v_ashrrev_i32_e32 v72, 31, v72
	v_xor_b32_e32 v71, s16, v71
	v_cmp_gt_i32_e64 s16, 0, v75
	v_and_b32_e32 v69, v69, v70
	v_not_b32_e32 v70, v212
	v_ashrrev_i32_e32 v74, 31, v74
	v_xor_b32_e32 v72, vcc_lo, v72
	v_cmp_gt_i32_e32 vcc_lo, 0, v212
	v_and_b32_e32 v69, v69, v71
	v_not_b32_e32 v71, v73
	v_ashrrev_i32_e32 v70, 31, v70
	v_xor_b32_e32 v74, s16, v74
	v_mul_u32_u24_e32 v68, 9, v68
	v_and_b32_e32 v69, v69, v72
	v_cmp_gt_i32_e64 s16, 0, v73
	v_ashrrev_i32_e32 v71, 31, v71
	v_xor_b32_e32 v70, vcc_lo, v70
	v_add_lshl_u32 v72, v68, v158, 2
	v_and_b32_e32 v69, v69, v74
	s_delay_alu instid0(VALU_DEP_4) | instskip(SKIP_3) | instid1(VALU_DEP_2)
	v_xor_b32_e32 v68, s16, v71
	ds_load_b32 v212, v72 offset:1056
	v_and_b32_e32 v69, v69, v70
	v_add_nc_u32_e32 v214, 0x420, v72
	; wave barrier
	v_and_b32_e32 v68, v69, v68
	s_delay_alu instid0(VALU_DEP_1) | instskip(SKIP_1) | instid1(VALU_DEP_2)
	v_mbcnt_lo_u32_b32 v213, v68, 0
	v_cmp_ne_u32_e64 s16, 0, v68
	v_cmp_eq_u32_e32 vcc_lo, 0, v213
	s_delay_alu instid0(VALU_DEP_2) | instskip(NEXT) | instid1(SALU_CYCLE_1)
	s_and_b32 s17, s16, vcc_lo
	s_and_saveexec_b32 s16, s17
	s_cbranch_execz .LBB712_454
; %bb.453:                              ;   in Loop: Header=BB712_392 Depth=2
	s_waitcnt lgkmcnt(0)
	v_bcnt_u32_b32 v68, v68, v212
	ds_store_b32 v214, v68
.LBB712_454:                            ;   in Loop: Header=BB712_392 Depth=2
	s_or_b32 exec_lo, exec_lo, s16
	v_xor_b32_e32 v47, 0x7fffffff, v47
	v_not_b32_e32 v46, v46
	; wave barrier
	s_delay_alu instid0(VALU_DEP_1) | instskip(NEXT) | instid1(VALU_DEP_1)
	v_lshrrev_b64 v[68:69], s41, v[46:47]
	v_and_b32_e32 v68, s43, v68
	s_delay_alu instid0(VALU_DEP_1)
	v_and_b32_e32 v69, 1, v68
	v_lshlrev_b32_e32 v70, 30, v68
	v_lshlrev_b32_e32 v71, 29, v68
	;; [unrolled: 1-line block ×4, first 2 shown]
	v_add_co_u32 v69, s16, v69, -1
	s_delay_alu instid0(VALU_DEP_1)
	v_cndmask_b32_e64 v73, 0, 1, s16
	v_not_b32_e32 v216, v70
	v_cmp_gt_i32_e64 s16, 0, v70
	v_not_b32_e32 v70, v71
	v_lshlrev_b32_e32 v75, 26, v68
	v_cmp_ne_u32_e32 vcc_lo, 0, v73
	v_ashrrev_i32_e32 v216, 31, v216
	v_lshlrev_b32_e32 v215, 25, v68
	v_ashrrev_i32_e32 v70, 31, v70
	v_lshlrev_b32_e32 v73, 24, v68
	v_xor_b32_e32 v69, vcc_lo, v69
	v_cmp_gt_i32_e32 vcc_lo, 0, v71
	v_not_b32_e32 v71, v72
	v_xor_b32_e32 v216, s16, v216
	v_cmp_gt_i32_e64 s16, 0, v72
	v_and_b32_e32 v69, exec_lo, v69
	v_not_b32_e32 v72, v74
	v_ashrrev_i32_e32 v71, 31, v71
	v_xor_b32_e32 v70, vcc_lo, v70
	v_cmp_gt_i32_e32 vcc_lo, 0, v74
	v_and_b32_e32 v69, v69, v216
	v_not_b32_e32 v74, v75
	v_ashrrev_i32_e32 v72, 31, v72
	v_xor_b32_e32 v71, s16, v71
	v_cmp_gt_i32_e64 s16, 0, v75
	v_and_b32_e32 v69, v69, v70
	v_not_b32_e32 v70, v215
	v_ashrrev_i32_e32 v74, 31, v74
	v_xor_b32_e32 v72, vcc_lo, v72
	v_cmp_gt_i32_e32 vcc_lo, 0, v215
	v_and_b32_e32 v69, v69, v71
	v_not_b32_e32 v71, v73
	v_ashrrev_i32_e32 v70, 31, v70
	v_xor_b32_e32 v74, s16, v74
	v_mul_u32_u24_e32 v68, 9, v68
	v_and_b32_e32 v69, v69, v72
	v_cmp_gt_i32_e64 s16, 0, v73
	v_ashrrev_i32_e32 v71, 31, v71
	v_xor_b32_e32 v70, vcc_lo, v70
	v_add_lshl_u32 v72, v68, v158, 2
	v_and_b32_e32 v69, v69, v74
	s_delay_alu instid0(VALU_DEP_4) | instskip(SKIP_3) | instid1(VALU_DEP_2)
	v_xor_b32_e32 v68, s16, v71
	ds_load_b32 v215, v72 offset:1056
	v_and_b32_e32 v69, v69, v70
	v_add_nc_u32_e32 v217, 0x420, v72
	; wave barrier
	v_and_b32_e32 v68, v69, v68
	s_delay_alu instid0(VALU_DEP_1) | instskip(SKIP_1) | instid1(VALU_DEP_2)
	v_mbcnt_lo_u32_b32 v216, v68, 0
	v_cmp_ne_u32_e64 s16, 0, v68
	v_cmp_eq_u32_e32 vcc_lo, 0, v216
	s_delay_alu instid0(VALU_DEP_2) | instskip(NEXT) | instid1(SALU_CYCLE_1)
	s_and_b32 s17, s16, vcc_lo
	s_and_saveexec_b32 s16, s17
	s_cbranch_execz .LBB712_456
; %bb.455:                              ;   in Loop: Header=BB712_392 Depth=2
	s_waitcnt lgkmcnt(0)
	v_bcnt_u32_b32 v68, v68, v215
	ds_store_b32 v217, v68
.LBB712_456:                            ;   in Loop: Header=BB712_392 Depth=2
	s_or_b32 exec_lo, exec_lo, s16
	v_xor_b32_e32 v41, 0x7fffffff, v41
	v_not_b32_e32 v40, v40
	; wave barrier
	s_delay_alu instid0(VALU_DEP_1) | instskip(NEXT) | instid1(VALU_DEP_1)
	v_lshrrev_b64 v[68:69], s41, v[40:41]
	v_and_b32_e32 v68, s43, v68
	s_delay_alu instid0(VALU_DEP_1)
	v_and_b32_e32 v69, 1, v68
	v_lshlrev_b32_e32 v70, 30, v68
	v_lshlrev_b32_e32 v71, 29, v68
	;; [unrolled: 1-line block ×4, first 2 shown]
	v_add_co_u32 v69, s16, v69, -1
	s_delay_alu instid0(VALU_DEP_1)
	v_cndmask_b32_e64 v73, 0, 1, s16
	v_not_b32_e32 v219, v70
	v_cmp_gt_i32_e64 s16, 0, v70
	v_not_b32_e32 v70, v71
	v_lshlrev_b32_e32 v75, 26, v68
	v_cmp_ne_u32_e32 vcc_lo, 0, v73
	v_ashrrev_i32_e32 v219, 31, v219
	v_lshlrev_b32_e32 v218, 25, v68
	v_ashrrev_i32_e32 v70, 31, v70
	v_lshlrev_b32_e32 v73, 24, v68
	v_xor_b32_e32 v69, vcc_lo, v69
	v_cmp_gt_i32_e32 vcc_lo, 0, v71
	v_not_b32_e32 v71, v72
	v_xor_b32_e32 v219, s16, v219
	v_cmp_gt_i32_e64 s16, 0, v72
	v_and_b32_e32 v69, exec_lo, v69
	v_not_b32_e32 v72, v74
	v_ashrrev_i32_e32 v71, 31, v71
	v_xor_b32_e32 v70, vcc_lo, v70
	v_cmp_gt_i32_e32 vcc_lo, 0, v74
	v_and_b32_e32 v69, v69, v219
	v_not_b32_e32 v74, v75
	v_ashrrev_i32_e32 v72, 31, v72
	v_xor_b32_e32 v71, s16, v71
	v_cmp_gt_i32_e64 s16, 0, v75
	v_and_b32_e32 v69, v69, v70
	v_not_b32_e32 v70, v218
	v_ashrrev_i32_e32 v74, 31, v74
	v_xor_b32_e32 v72, vcc_lo, v72
	v_cmp_gt_i32_e32 vcc_lo, 0, v218
	v_and_b32_e32 v69, v69, v71
	v_not_b32_e32 v71, v73
	v_ashrrev_i32_e32 v70, 31, v70
	v_xor_b32_e32 v74, s16, v74
	v_mul_u32_u24_e32 v68, 9, v68
	v_and_b32_e32 v69, v69, v72
	v_cmp_gt_i32_e64 s16, 0, v73
	v_ashrrev_i32_e32 v71, 31, v71
	v_xor_b32_e32 v70, vcc_lo, v70
	v_add_lshl_u32 v72, v68, v158, 2
	v_and_b32_e32 v69, v69, v74
	s_delay_alu instid0(VALU_DEP_4) | instskip(SKIP_3) | instid1(VALU_DEP_2)
	v_xor_b32_e32 v68, s16, v71
	ds_load_b32 v218, v72 offset:1056
	v_and_b32_e32 v69, v69, v70
	v_add_nc_u32_e32 v220, 0x420, v72
	; wave barrier
	v_and_b32_e32 v68, v69, v68
	s_delay_alu instid0(VALU_DEP_1) | instskip(SKIP_1) | instid1(VALU_DEP_2)
	v_mbcnt_lo_u32_b32 v219, v68, 0
	v_cmp_ne_u32_e64 s16, 0, v68
	v_cmp_eq_u32_e32 vcc_lo, 0, v219
	s_delay_alu instid0(VALU_DEP_2) | instskip(NEXT) | instid1(SALU_CYCLE_1)
	s_and_b32 s17, s16, vcc_lo
	s_and_saveexec_b32 s16, s17
	s_cbranch_execz .LBB712_458
; %bb.457:                              ;   in Loop: Header=BB712_392 Depth=2
	s_waitcnt lgkmcnt(0)
	v_bcnt_u32_b32 v68, v68, v218
	ds_store_b32 v220, v68
.LBB712_458:                            ;   in Loop: Header=BB712_392 Depth=2
	s_or_b32 exec_lo, exec_lo, s16
	v_xor_b32_e32 v43, 0x7fffffff, v43
	v_not_b32_e32 v42, v42
	; wave barrier
	s_delay_alu instid0(VALU_DEP_1) | instskip(NEXT) | instid1(VALU_DEP_1)
	v_lshrrev_b64 v[68:69], s41, v[42:43]
	v_and_b32_e32 v68, s43, v68
	s_delay_alu instid0(VALU_DEP_1)
	v_and_b32_e32 v69, 1, v68
	v_lshlrev_b32_e32 v70, 30, v68
	v_lshlrev_b32_e32 v71, 29, v68
	;; [unrolled: 1-line block ×4, first 2 shown]
	v_add_co_u32 v69, s16, v69, -1
	s_delay_alu instid0(VALU_DEP_1)
	v_cndmask_b32_e64 v73, 0, 1, s16
	v_not_b32_e32 v222, v70
	v_cmp_gt_i32_e64 s16, 0, v70
	v_not_b32_e32 v70, v71
	v_lshlrev_b32_e32 v75, 26, v68
	v_cmp_ne_u32_e32 vcc_lo, 0, v73
	v_ashrrev_i32_e32 v222, 31, v222
	v_lshlrev_b32_e32 v221, 25, v68
	v_ashrrev_i32_e32 v70, 31, v70
	v_lshlrev_b32_e32 v73, 24, v68
	v_xor_b32_e32 v69, vcc_lo, v69
	v_cmp_gt_i32_e32 vcc_lo, 0, v71
	v_not_b32_e32 v71, v72
	v_xor_b32_e32 v222, s16, v222
	v_cmp_gt_i32_e64 s16, 0, v72
	v_and_b32_e32 v69, exec_lo, v69
	v_not_b32_e32 v72, v74
	v_ashrrev_i32_e32 v71, 31, v71
	v_xor_b32_e32 v70, vcc_lo, v70
	v_cmp_gt_i32_e32 vcc_lo, 0, v74
	v_and_b32_e32 v69, v69, v222
	v_not_b32_e32 v74, v75
	v_ashrrev_i32_e32 v72, 31, v72
	v_xor_b32_e32 v71, s16, v71
	v_cmp_gt_i32_e64 s16, 0, v75
	v_and_b32_e32 v69, v69, v70
	v_not_b32_e32 v70, v221
	v_ashrrev_i32_e32 v74, 31, v74
	v_xor_b32_e32 v72, vcc_lo, v72
	v_cmp_gt_i32_e32 vcc_lo, 0, v221
	v_and_b32_e32 v69, v69, v71
	v_not_b32_e32 v71, v73
	v_ashrrev_i32_e32 v70, 31, v70
	v_xor_b32_e32 v74, s16, v74
	v_mul_u32_u24_e32 v68, 9, v68
	v_and_b32_e32 v69, v69, v72
	v_cmp_gt_i32_e64 s16, 0, v73
	v_ashrrev_i32_e32 v71, 31, v71
	v_xor_b32_e32 v70, vcc_lo, v70
	v_add_lshl_u32 v72, v68, v158, 2
	v_and_b32_e32 v69, v69, v74
	s_delay_alu instid0(VALU_DEP_4) | instskip(SKIP_3) | instid1(VALU_DEP_2)
	v_xor_b32_e32 v68, s16, v71
	ds_load_b32 v221, v72 offset:1056
	v_and_b32_e32 v69, v69, v70
	v_add_nc_u32_e32 v223, 0x420, v72
	; wave barrier
	v_and_b32_e32 v68, v69, v68
	s_delay_alu instid0(VALU_DEP_1) | instskip(SKIP_1) | instid1(VALU_DEP_2)
	v_mbcnt_lo_u32_b32 v222, v68, 0
	v_cmp_ne_u32_e64 s16, 0, v68
	v_cmp_eq_u32_e32 vcc_lo, 0, v222
	s_delay_alu instid0(VALU_DEP_2) | instskip(NEXT) | instid1(SALU_CYCLE_1)
	s_and_b32 s17, s16, vcc_lo
	s_and_saveexec_b32 s16, s17
	s_cbranch_execz .LBB712_460
; %bb.459:                              ;   in Loop: Header=BB712_392 Depth=2
	s_waitcnt lgkmcnt(0)
	v_bcnt_u32_b32 v68, v68, v221
	ds_store_b32 v223, v68
.LBB712_460:                            ;   in Loop: Header=BB712_392 Depth=2
	s_or_b32 exec_lo, exec_lo, s16
	; wave barrier
	s_waitcnt lgkmcnt(0)
	s_barrier
	buffer_gl0_inv
	ds_load_b32 v224, v102 offset:1056
	ds_load_2addr_b32 v[74:75], v103 offset0:1 offset1:2
	ds_load_2addr_b32 v[72:73], v103 offset0:3 offset1:4
	;; [unrolled: 1-line block ×4, first 2 shown]
	s_waitcnt lgkmcnt(3)
	v_add3_u32 v225, v74, v224, v75
	s_waitcnt lgkmcnt(2)
	s_delay_alu instid0(VALU_DEP_1) | instskip(SKIP_1) | instid1(VALU_DEP_1)
	v_add3_u32 v225, v225, v72, v73
	s_waitcnt lgkmcnt(1)
	v_add3_u32 v225, v225, v68, v69
	s_waitcnt lgkmcnt(0)
	s_delay_alu instid0(VALU_DEP_1) | instskip(NEXT) | instid1(VALU_DEP_1)
	v_add3_u32 v71, v225, v70, v71
	v_mov_b32_dpp v225, v71 row_shr:1 row_mask:0xf bank_mask:0xf
	s_delay_alu instid0(VALU_DEP_1) | instskip(NEXT) | instid1(VALU_DEP_1)
	v_cndmask_b32_e64 v225, v225, 0, s1
	v_add_nc_u32_e32 v71, v225, v71
	s_delay_alu instid0(VALU_DEP_1) | instskip(NEXT) | instid1(VALU_DEP_1)
	v_mov_b32_dpp v225, v71 row_shr:2 row_mask:0xf bank_mask:0xf
	v_cndmask_b32_e64 v225, 0, v225, s7
	s_delay_alu instid0(VALU_DEP_1) | instskip(NEXT) | instid1(VALU_DEP_1)
	v_add_nc_u32_e32 v71, v71, v225
	v_mov_b32_dpp v225, v71 row_shr:4 row_mask:0xf bank_mask:0xf
	s_delay_alu instid0(VALU_DEP_1) | instskip(NEXT) | instid1(VALU_DEP_1)
	v_cndmask_b32_e64 v225, 0, v225, s8
	v_add_nc_u32_e32 v71, v71, v225
	s_delay_alu instid0(VALU_DEP_1) | instskip(NEXT) | instid1(VALU_DEP_1)
	v_mov_b32_dpp v225, v71 row_shr:8 row_mask:0xf bank_mask:0xf
	v_cndmask_b32_e64 v225, 0, v225, s9
	s_delay_alu instid0(VALU_DEP_1) | instskip(SKIP_3) | instid1(VALU_DEP_1)
	v_add_nc_u32_e32 v71, v71, v225
	ds_swizzle_b32 v225, v71 offset:swizzle(BROADCAST,32,15)
	s_waitcnt lgkmcnt(0)
	v_cndmask_b32_e64 v225, v225, 0, s10
	v_add_nc_u32_e32 v71, v71, v225
	s_and_saveexec_b32 s16, s3
	s_cbranch_execz .LBB712_462
; %bb.461:                              ;   in Loop: Header=BB712_392 Depth=2
	ds_store_b32 v94, v71 offset:1024
.LBB712_462:                            ;   in Loop: Header=BB712_392 Depth=2
	s_or_b32 exec_lo, exec_lo, s16
	s_waitcnt lgkmcnt(0)
	s_barrier
	buffer_gl0_inv
	s_and_saveexec_b32 s16, s4
	s_cbranch_execz .LBB712_464
; %bb.463:                              ;   in Loop: Header=BB712_392 Depth=2
	ds_load_b32 v225, v104 offset:1024
	s_waitcnt lgkmcnt(0)
	v_mov_b32_dpp v226, v225 row_shr:1 row_mask:0xf bank_mask:0xf
	s_delay_alu instid0(VALU_DEP_1) | instskip(NEXT) | instid1(VALU_DEP_1)
	v_cndmask_b32_e64 v226, v226, 0, s12
	v_add_nc_u32_e32 v225, v226, v225
	s_delay_alu instid0(VALU_DEP_1) | instskip(NEXT) | instid1(VALU_DEP_1)
	v_mov_b32_dpp v226, v225 row_shr:2 row_mask:0xf bank_mask:0xf
	v_cndmask_b32_e64 v226, 0, v226, s13
	s_delay_alu instid0(VALU_DEP_1) | instskip(NEXT) | instid1(VALU_DEP_1)
	v_add_nc_u32_e32 v225, v225, v226
	v_mov_b32_dpp v226, v225 row_shr:4 row_mask:0xf bank_mask:0xf
	s_delay_alu instid0(VALU_DEP_1) | instskip(NEXT) | instid1(VALU_DEP_1)
	v_cndmask_b32_e64 v226, 0, v226, s14
	v_add_nc_u32_e32 v225, v225, v226
	ds_store_b32 v104, v225 offset:1024
.LBB712_464:                            ;   in Loop: Header=BB712_392 Depth=2
	s_or_b32 exec_lo, exec_lo, s16
	v_mov_b32_e32 v225, 0
	s_waitcnt lgkmcnt(0)
	s_barrier
	buffer_gl0_inv
	s_and_saveexec_b32 s16, s5
	s_cbranch_execz .LBB712_466
; %bb.465:                              ;   in Loop: Header=BB712_392 Depth=2
	ds_load_b32 v225, v94 offset:1020
.LBB712_466:                            ;   in Loop: Header=BB712_392 Depth=2
	s_or_b32 exec_lo, exec_lo, s16
	s_waitcnt lgkmcnt(0)
	v_add_nc_u32_e32 v71, v225, v71
	ds_bpermute_b32 v71, v137, v71
	s_waitcnt lgkmcnt(0)
	v_cndmask_b32_e64 v71, v71, v225, s11
	s_delay_alu instid0(VALU_DEP_1) | instskip(NEXT) | instid1(VALU_DEP_1)
	v_cndmask_b32_e64 v71, v71, 0, s0
	v_add_nc_u32_e32 v224, v71, v224
	s_delay_alu instid0(VALU_DEP_1) | instskip(NEXT) | instid1(VALU_DEP_1)
	v_add_nc_u32_e32 v74, v224, v74
	v_add_nc_u32_e32 v75, v74, v75
	s_delay_alu instid0(VALU_DEP_1) | instskip(NEXT) | instid1(VALU_DEP_1)
	v_add_nc_u32_e32 v72, v75, v72
	v_add_nc_u32_e32 v73, v72, v73
	s_delay_alu instid0(VALU_DEP_1) | instskip(NEXT) | instid1(VALU_DEP_1)
	v_add_nc_u32_e32 v68, v73, v68
	v_add_nc_u32_e32 v69, v68, v69
	s_delay_alu instid0(VALU_DEP_1)
	v_add_nc_u32_e32 v70, v69, v70
	ds_store_b32 v102, v71 offset:1056
	ds_store_2addr_b32 v103, v224, v74 offset0:1 offset1:2
	ds_store_2addr_b32 v103, v75, v72 offset0:3 offset1:4
	;; [unrolled: 1-line block ×4, first 2 shown]
	v_mov_b32_e32 v68, 0x1000
	s_waitcnt lgkmcnt(0)
	s_barrier
	buffer_gl0_inv
	ds_load_b32 v70, v181
	ds_load_b32 v71, v184
	;; [unrolled: 1-line block ×16, first 2 shown]
	ds_load_b32 v178, v102 offset:1056
	s_and_saveexec_b32 s16, s6
	s_cbranch_execz .LBB712_468
; %bb.467:                              ;   in Loop: Header=BB712_392 Depth=2
	ds_load_b32 v68, v105 offset:1056
.LBB712_468:                            ;   in Loop: Header=BB712_392 Depth=2
	s_or_b32 exec_lo, exec_lo, s16
	s_waitcnt lgkmcnt(0)
	s_barrier
	buffer_gl0_inv
	s_and_saveexec_b32 s16, s2
	s_cbranch_execz .LBB712_470
; %bb.469:                              ;   in Loop: Header=BB712_392 Depth=2
	ds_load_b32 v202, v76
	s_waitcnt lgkmcnt(0)
	v_sub_nc_u32_e32 v178, v202, v178
	ds_store_b32 v76, v178
.LBB712_470:                            ;   in Loop: Header=BB712_392 Depth=2
	s_or_b32 exec_lo, exec_lo, s16
	v_add_nc_u32_e32 v179, v180, v179
	v_add_lshl_u32 v69, v69, v2, 3
	v_add_nc_u32_e32 v2, v183, v182
	v_add_nc_u32_e32 v180, v186, v185
	;; [unrolled: 1-line block ×8, first 2 shown]
	v_add_lshl_u32 v70, v179, v70, 3
	v_add_lshl_u32 v71, v2, v71, 3
	v_add_nc_u32_e32 v200, v201, v200
	v_add_lshl_u32 v72, v180, v72, 3
	v_add_nc_u32_e32 v203, v204, v203
	;; [unrolled: 2-line block ×3, first 2 shown]
	v_add_nc_u32_e32 v202, v219, v218
	v_add_nc_u32_e32 v205, v216, v215
	;; [unrolled: 1-line block ×3, first 2 shown]
	ds_store_b64 v69, v[36:37] offset:1024
	ds_store_b64 v70, v[38:39] offset:1024
	v_add_lshl_u32 v38, v191, v225, 3
	ds_store_b64 v71, v[44:45] offset:1024
	ds_store_b64 v72, v[48:49] offset:1024
	;; [unrolled: 1-line block ×3, first 2 shown]
	v_add_lshl_u32 v39, v194, v224, 3
	v_add_lshl_u32 v44, v197, v199, 3
	;; [unrolled: 1-line block ×6, first 2 shown]
	ds_store_b64 v38, v[58:59] offset:1024
	ds_store_b64 v39, v[62:63] offset:1024
	ds_store_b64 v44, v[66:67] offset:1024
	ds_store_b64 v45, v[64:65] offset:1024
	ds_store_b64 v48, v[60:61] offset:1024
	ds_store_b64 v49, v[56:57] offset:1024
	v_add_lshl_u32 v55, v208, v184, 3
	v_add_lshl_u32 v56, v205, v181, 3
	;; [unrolled: 1-line block ×3, first 2 shown]
	ds_store_b64 v54, v[52:53] offset:1024
	v_add_lshl_u32 v52, v178, v74, 3
	v_cmp_lt_u32_e32 vcc_lo, v1, v177
	ds_store_b64 v55, v[50:51] offset:1024
	ds_store_b64 v56, v[46:47] offset:1024
	;; [unrolled: 1-line block ×4, first 2 shown]
	s_waitcnt lgkmcnt(0)
	s_barrier
	buffer_gl0_inv
	s_and_saveexec_b32 s17, vcc_lo
	s_cbranch_execz .LBB712_486
; %bb.471:                              ;   in Loop: Header=BB712_392 Depth=2
	v_add_nc_u32_e32 v2, v104, v76
	ds_load_b64 v[36:37], v2 offset:1024
	s_waitcnt lgkmcnt(0)
	v_lshrrev_b64 v[40:41], s41, v[36:37]
	v_xor_b32_e32 v37, 0x7fffffff, v37
	v_not_b32_e32 v36, v36
	s_delay_alu instid0(VALU_DEP_3) | instskip(NEXT) | instid1(VALU_DEP_1)
	v_and_b32_e32 v2, s43, v40
	v_lshlrev_b32_e32 v2, 2, v2
	ds_load_b32 v2, v2
	s_waitcnt lgkmcnt(0)
	v_add_nc_u32_e32 v2, v2, v1
	s_delay_alu instid0(VALU_DEP_1) | instskip(NEXT) | instid1(VALU_DEP_1)
	v_lshlrev_b64 v[40:41], 3, v[2:3]
	v_add_co_u32 v40, s16, s48, v40
	s_delay_alu instid0(VALU_DEP_1) | instskip(SKIP_3) | instid1(VALU_DEP_1)
	v_add_co_ci_u32_e64 v41, s16, s49, v41, s16
	global_store_b64 v[40:41], v[36:37], off
	s_or_b32 exec_lo, exec_lo, s17
	v_cmp_lt_u32_e64 s16, v77, v177
	s_and_saveexec_b32 s18, s16
	s_cbranch_execnz .LBB712_487
.LBB712_472:                            ;   in Loop: Header=BB712_392 Depth=2
	s_or_b32 exec_lo, exec_lo, s18
	v_cmp_lt_u32_e64 s17, v78, v177
	s_delay_alu instid0(VALU_DEP_1)
	s_and_saveexec_b32 s19, s17
	s_cbranch_execz .LBB712_488
.LBB712_473:                            ;   in Loop: Header=BB712_392 Depth=2
	ds_load_b64 v[36:37], v110 offset:4096
	s_waitcnt lgkmcnt(0)
	v_lshrrev_b64 v[40:41], s41, v[36:37]
	v_xor_b32_e32 v37, 0x7fffffff, v37
	v_not_b32_e32 v36, v36
	s_delay_alu instid0(VALU_DEP_3) | instskip(NEXT) | instid1(VALU_DEP_1)
	v_and_b32_e32 v2, s43, v40
	v_lshlrev_b32_e32 v2, 2, v2
	ds_load_b32 v2, v2
	s_waitcnt lgkmcnt(0)
	v_add_nc_u32_e32 v2, v2, v78
	s_delay_alu instid0(VALU_DEP_1) | instskip(NEXT) | instid1(VALU_DEP_1)
	v_lshlrev_b64 v[40:41], 3, v[2:3]
	v_add_co_u32 v40, s18, s48, v40
	s_delay_alu instid0(VALU_DEP_1) | instskip(SKIP_3) | instid1(VALU_DEP_1)
	v_add_co_ci_u32_e64 v41, s18, s49, v41, s18
	global_store_b64 v[40:41], v[36:37], off
	s_or_b32 exec_lo, exec_lo, s19
	v_cmp_lt_u32_e64 s18, v79, v177
	s_and_saveexec_b32 s20, s18
	s_cbranch_execnz .LBB712_489
.LBB712_474:                            ;   in Loop: Header=BB712_392 Depth=2
	s_or_b32 exec_lo, exec_lo, s20
	v_cmp_lt_u32_e64 s19, v83, v177
	s_delay_alu instid0(VALU_DEP_1)
	s_and_saveexec_b32 s21, s19
	s_cbranch_execz .LBB712_490
.LBB712_475:                            ;   in Loop: Header=BB712_392 Depth=2
	ds_load_b64 v[36:37], v110 offset:8192
	s_waitcnt lgkmcnt(0)
	v_lshrrev_b64 v[40:41], s41, v[36:37]
	v_xor_b32_e32 v37, 0x7fffffff, v37
	v_not_b32_e32 v36, v36
	s_delay_alu instid0(VALU_DEP_3) | instskip(NEXT) | instid1(VALU_DEP_1)
	v_and_b32_e32 v2, s43, v40
	v_lshlrev_b32_e32 v2, 2, v2
	ds_load_b32 v2, v2
	s_waitcnt lgkmcnt(0)
	v_add_nc_u32_e32 v2, v2, v83
	s_delay_alu instid0(VALU_DEP_1) | instskip(NEXT) | instid1(VALU_DEP_1)
	v_lshlrev_b64 v[40:41], 3, v[2:3]
	v_add_co_u32 v40, s20, s48, v40
	s_delay_alu instid0(VALU_DEP_1) | instskip(SKIP_3) | instid1(VALU_DEP_1)
	v_add_co_ci_u32_e64 v41, s20, s49, v41, s20
	global_store_b64 v[40:41], v[36:37], off
	s_or_b32 exec_lo, exec_lo, s21
	v_cmp_lt_u32_e64 s20, v84, v177
	s_and_saveexec_b32 s22, s20
	s_cbranch_execnz .LBB712_491
.LBB712_476:                            ;   in Loop: Header=BB712_392 Depth=2
	s_or_b32 exec_lo, exec_lo, s22
	v_cmp_lt_u32_e64 s21, v85, v177
	s_delay_alu instid0(VALU_DEP_1)
	s_and_saveexec_b32 s23, s21
	s_cbranch_execz .LBB712_492
.LBB712_477:                            ;   in Loop: Header=BB712_392 Depth=2
	ds_load_b64 v[36:37], v110 offset:12288
	s_waitcnt lgkmcnt(0)
	v_lshrrev_b64 v[40:41], s41, v[36:37]
	v_xor_b32_e32 v37, 0x7fffffff, v37
	v_not_b32_e32 v36, v36
	s_delay_alu instid0(VALU_DEP_3) | instskip(NEXT) | instid1(VALU_DEP_1)
	v_and_b32_e32 v2, s43, v40
	v_lshlrev_b32_e32 v2, 2, v2
	ds_load_b32 v2, v2
	s_waitcnt lgkmcnt(0)
	v_add_nc_u32_e32 v2, v2, v85
	s_delay_alu instid0(VALU_DEP_1) | instskip(NEXT) | instid1(VALU_DEP_1)
	v_lshlrev_b64 v[40:41], 3, v[2:3]
	v_add_co_u32 v40, s22, s48, v40
	s_delay_alu instid0(VALU_DEP_1) | instskip(SKIP_3) | instid1(VALU_DEP_1)
	v_add_co_ci_u32_e64 v41, s22, s49, v41, s22
	global_store_b64 v[40:41], v[36:37], off
	s_or_b32 exec_lo, exec_lo, s23
	v_cmp_lt_u32_e64 s22, v86, v177
	s_and_saveexec_b32 s24, s22
	s_cbranch_execnz .LBB712_493
.LBB712_478:                            ;   in Loop: Header=BB712_392 Depth=2
	s_or_b32 exec_lo, exec_lo, s24
	v_cmp_lt_u32_e64 s23, v87, v177
	s_delay_alu instid0(VALU_DEP_1)
	s_and_saveexec_b32 s25, s23
	s_cbranch_execz .LBB712_494
.LBB712_479:                            ;   in Loop: Header=BB712_392 Depth=2
	ds_load_b64 v[36:37], v110 offset:16384
	s_waitcnt lgkmcnt(0)
	v_lshrrev_b64 v[40:41], s41, v[36:37]
	v_xor_b32_e32 v37, 0x7fffffff, v37
	v_not_b32_e32 v36, v36
	s_delay_alu instid0(VALU_DEP_3) | instskip(NEXT) | instid1(VALU_DEP_1)
	v_and_b32_e32 v2, s43, v40
	v_lshlrev_b32_e32 v2, 2, v2
	ds_load_b32 v2, v2
	s_waitcnt lgkmcnt(0)
	v_add_nc_u32_e32 v2, v2, v87
	s_delay_alu instid0(VALU_DEP_1) | instskip(NEXT) | instid1(VALU_DEP_1)
	v_lshlrev_b64 v[40:41], 3, v[2:3]
	v_add_co_u32 v40, s24, s48, v40
	s_delay_alu instid0(VALU_DEP_1) | instskip(SKIP_3) | instid1(VALU_DEP_1)
	v_add_co_ci_u32_e64 v41, s24, s49, v41, s24
	global_store_b64 v[40:41], v[36:37], off
	s_or_b32 exec_lo, exec_lo, s25
	v_cmp_lt_u32_e64 s24, v88, v177
	s_and_saveexec_b32 s26, s24
	s_cbranch_execnz .LBB712_495
.LBB712_480:                            ;   in Loop: Header=BB712_392 Depth=2
	s_or_b32 exec_lo, exec_lo, s26
	v_cmp_lt_u32_e64 s25, v89, v177
	s_delay_alu instid0(VALU_DEP_1)
	s_and_saveexec_b32 s27, s25
	s_cbranch_execz .LBB712_496
.LBB712_481:                            ;   in Loop: Header=BB712_392 Depth=2
	ds_load_b64 v[36:37], v110 offset:20480
	s_waitcnt lgkmcnt(0)
	v_lshrrev_b64 v[40:41], s41, v[36:37]
	v_xor_b32_e32 v37, 0x7fffffff, v37
	v_not_b32_e32 v36, v36
	s_delay_alu instid0(VALU_DEP_3) | instskip(NEXT) | instid1(VALU_DEP_1)
	v_and_b32_e32 v2, s43, v40
	v_lshlrev_b32_e32 v2, 2, v2
	ds_load_b32 v2, v2
	s_waitcnt lgkmcnt(0)
	v_add_nc_u32_e32 v2, v2, v89
	s_delay_alu instid0(VALU_DEP_1) | instskip(NEXT) | instid1(VALU_DEP_1)
	v_lshlrev_b64 v[40:41], 3, v[2:3]
	v_add_co_u32 v40, s26, s48, v40
	s_delay_alu instid0(VALU_DEP_1) | instskip(SKIP_3) | instid1(VALU_DEP_1)
	v_add_co_ci_u32_e64 v41, s26, s49, v41, s26
	global_store_b64 v[40:41], v[36:37], off
	s_or_b32 exec_lo, exec_lo, s27
	v_cmp_lt_u32_e64 s26, v90, v177
	s_and_saveexec_b32 s29, s26
	s_cbranch_execnz .LBB712_497
.LBB712_482:                            ;   in Loop: Header=BB712_392 Depth=2
	s_or_b32 exec_lo, exec_lo, s29
	v_cmp_lt_u32_e64 s27, v91, v177
	s_delay_alu instid0(VALU_DEP_1)
	s_and_saveexec_b32 s30, s27
	s_cbranch_execz .LBB712_498
.LBB712_483:                            ;   in Loop: Header=BB712_392 Depth=2
	ds_load_b64 v[36:37], v110 offset:24576
	s_waitcnt lgkmcnt(0)
	v_lshrrev_b64 v[40:41], s41, v[36:37]
	v_xor_b32_e32 v37, 0x7fffffff, v37
	v_not_b32_e32 v36, v36
	s_delay_alu instid0(VALU_DEP_3) | instskip(NEXT) | instid1(VALU_DEP_1)
	v_and_b32_e32 v2, s43, v40
	v_lshlrev_b32_e32 v2, 2, v2
	ds_load_b32 v2, v2
	s_waitcnt lgkmcnt(0)
	v_add_nc_u32_e32 v2, v2, v91
	s_delay_alu instid0(VALU_DEP_1) | instskip(NEXT) | instid1(VALU_DEP_1)
	v_lshlrev_b64 v[40:41], 3, v[2:3]
	v_add_co_u32 v40, s29, s48, v40
	s_delay_alu instid0(VALU_DEP_1) | instskip(SKIP_3) | instid1(VALU_DEP_1)
	v_add_co_ci_u32_e64 v41, s29, s49, v41, s29
	global_store_b64 v[40:41], v[36:37], off
	s_or_b32 exec_lo, exec_lo, s30
	v_cmp_lt_u32_e64 s29, v92, v177
	s_and_saveexec_b32 s31, s29
	s_cbranch_execnz .LBB712_499
.LBB712_484:                            ;   in Loop: Header=BB712_392 Depth=2
	s_or_b32 exec_lo, exec_lo, s31
	v_cmp_lt_u32_e64 s30, v93, v177
	s_delay_alu instid0(VALU_DEP_1)
	s_and_saveexec_b32 s33, s30
	s_cbranch_execz .LBB712_500
.LBB712_485:                            ;   in Loop: Header=BB712_392 Depth=2
	ds_load_b64 v[36:37], v110 offset:28672
	s_waitcnt lgkmcnt(0)
	v_lshrrev_b64 v[40:41], s41, v[36:37]
	v_xor_b32_e32 v37, 0x7fffffff, v37
	v_not_b32_e32 v36, v36
	s_delay_alu instid0(VALU_DEP_3) | instskip(NEXT) | instid1(VALU_DEP_1)
	v_and_b32_e32 v2, s43, v40
	v_lshlrev_b32_e32 v2, 2, v2
	ds_load_b32 v2, v2
	s_waitcnt lgkmcnt(0)
	v_add_nc_u32_e32 v2, v2, v93
	s_delay_alu instid0(VALU_DEP_1) | instskip(NEXT) | instid1(VALU_DEP_1)
	v_lshlrev_b64 v[40:41], 3, v[2:3]
	v_add_co_u32 v40, s31, s48, v40
	s_delay_alu instid0(VALU_DEP_1) | instskip(SKIP_3) | instid1(VALU_DEP_1)
	v_add_co_ci_u32_e64 v41, s31, s49, v41, s31
	global_store_b64 v[40:41], v[36:37], off
	s_or_b32 exec_lo, exec_lo, s33
	v_cmp_lt_u32_e64 s31, v95, v177
	s_and_saveexec_b32 s39, s31
	s_cbranch_execnz .LBB712_501
	s_branch .LBB712_502
.LBB712_486:                            ;   in Loop: Header=BB712_392 Depth=2
	s_or_b32 exec_lo, exec_lo, s17
	v_cmp_lt_u32_e64 s16, v77, v177
	s_delay_alu instid0(VALU_DEP_1)
	s_and_saveexec_b32 s18, s16
	s_cbranch_execz .LBB712_472
.LBB712_487:                            ;   in Loop: Header=BB712_392 Depth=2
	ds_load_b64 v[36:37], v110 offset:2048
	s_waitcnt lgkmcnt(0)
	v_lshrrev_b64 v[40:41], s41, v[36:37]
	v_xor_b32_e32 v37, 0x7fffffff, v37
	v_not_b32_e32 v36, v36
	s_delay_alu instid0(VALU_DEP_3) | instskip(NEXT) | instid1(VALU_DEP_1)
	v_and_b32_e32 v2, s43, v40
	v_lshlrev_b32_e32 v2, 2, v2
	ds_load_b32 v2, v2
	s_waitcnt lgkmcnt(0)
	v_add_nc_u32_e32 v2, v2, v77
	s_delay_alu instid0(VALU_DEP_1) | instskip(NEXT) | instid1(VALU_DEP_1)
	v_lshlrev_b64 v[40:41], 3, v[2:3]
	v_add_co_u32 v40, s17, s48, v40
	s_delay_alu instid0(VALU_DEP_1) | instskip(SKIP_3) | instid1(VALU_DEP_1)
	v_add_co_ci_u32_e64 v41, s17, s49, v41, s17
	global_store_b64 v[40:41], v[36:37], off
	s_or_b32 exec_lo, exec_lo, s18
	v_cmp_lt_u32_e64 s17, v78, v177
	s_and_saveexec_b32 s19, s17
	s_cbranch_execnz .LBB712_473
.LBB712_488:                            ;   in Loop: Header=BB712_392 Depth=2
	s_or_b32 exec_lo, exec_lo, s19
	v_cmp_lt_u32_e64 s18, v79, v177
	s_delay_alu instid0(VALU_DEP_1)
	s_and_saveexec_b32 s20, s18
	s_cbranch_execz .LBB712_474
.LBB712_489:                            ;   in Loop: Header=BB712_392 Depth=2
	ds_load_b64 v[36:37], v110 offset:6144
	s_waitcnt lgkmcnt(0)
	v_lshrrev_b64 v[40:41], s41, v[36:37]
	v_xor_b32_e32 v37, 0x7fffffff, v37
	v_not_b32_e32 v36, v36
	s_delay_alu instid0(VALU_DEP_3) | instskip(NEXT) | instid1(VALU_DEP_1)
	v_and_b32_e32 v2, s43, v40
	v_lshlrev_b32_e32 v2, 2, v2
	ds_load_b32 v2, v2
	s_waitcnt lgkmcnt(0)
	v_add_nc_u32_e32 v2, v2, v79
	s_delay_alu instid0(VALU_DEP_1) | instskip(NEXT) | instid1(VALU_DEP_1)
	v_lshlrev_b64 v[40:41], 3, v[2:3]
	v_add_co_u32 v40, s19, s48, v40
	s_delay_alu instid0(VALU_DEP_1) | instskip(SKIP_3) | instid1(VALU_DEP_1)
	v_add_co_ci_u32_e64 v41, s19, s49, v41, s19
	global_store_b64 v[40:41], v[36:37], off
	s_or_b32 exec_lo, exec_lo, s20
	v_cmp_lt_u32_e64 s19, v83, v177
	s_and_saveexec_b32 s21, s19
	s_cbranch_execnz .LBB712_475
.LBB712_490:                            ;   in Loop: Header=BB712_392 Depth=2
	s_or_b32 exec_lo, exec_lo, s21
	v_cmp_lt_u32_e64 s20, v84, v177
	s_delay_alu instid0(VALU_DEP_1)
	s_and_saveexec_b32 s22, s20
	s_cbranch_execz .LBB712_476
.LBB712_491:                            ;   in Loop: Header=BB712_392 Depth=2
	ds_load_b64 v[36:37], v110 offset:10240
	s_waitcnt lgkmcnt(0)
	v_lshrrev_b64 v[40:41], s41, v[36:37]
	v_xor_b32_e32 v37, 0x7fffffff, v37
	v_not_b32_e32 v36, v36
	s_delay_alu instid0(VALU_DEP_3) | instskip(NEXT) | instid1(VALU_DEP_1)
	v_and_b32_e32 v2, s43, v40
	v_lshlrev_b32_e32 v2, 2, v2
	ds_load_b32 v2, v2
	s_waitcnt lgkmcnt(0)
	v_add_nc_u32_e32 v2, v2, v84
	s_delay_alu instid0(VALU_DEP_1) | instskip(NEXT) | instid1(VALU_DEP_1)
	v_lshlrev_b64 v[40:41], 3, v[2:3]
	v_add_co_u32 v40, s21, s48, v40
	s_delay_alu instid0(VALU_DEP_1) | instskip(SKIP_3) | instid1(VALU_DEP_1)
	v_add_co_ci_u32_e64 v41, s21, s49, v41, s21
	global_store_b64 v[40:41], v[36:37], off
	s_or_b32 exec_lo, exec_lo, s22
	v_cmp_lt_u32_e64 s21, v85, v177
	s_and_saveexec_b32 s23, s21
	s_cbranch_execnz .LBB712_477
.LBB712_492:                            ;   in Loop: Header=BB712_392 Depth=2
	s_or_b32 exec_lo, exec_lo, s23
	v_cmp_lt_u32_e64 s22, v86, v177
	s_delay_alu instid0(VALU_DEP_1)
	s_and_saveexec_b32 s24, s22
	s_cbranch_execz .LBB712_478
.LBB712_493:                            ;   in Loop: Header=BB712_392 Depth=2
	ds_load_b64 v[36:37], v110 offset:14336
	s_waitcnt lgkmcnt(0)
	v_lshrrev_b64 v[40:41], s41, v[36:37]
	v_xor_b32_e32 v37, 0x7fffffff, v37
	v_not_b32_e32 v36, v36
	s_delay_alu instid0(VALU_DEP_3) | instskip(NEXT) | instid1(VALU_DEP_1)
	v_and_b32_e32 v2, s43, v40
	v_lshlrev_b32_e32 v2, 2, v2
	ds_load_b32 v2, v2
	s_waitcnt lgkmcnt(0)
	v_add_nc_u32_e32 v2, v2, v86
	s_delay_alu instid0(VALU_DEP_1) | instskip(NEXT) | instid1(VALU_DEP_1)
	v_lshlrev_b64 v[40:41], 3, v[2:3]
	v_add_co_u32 v40, s23, s48, v40
	s_delay_alu instid0(VALU_DEP_1) | instskip(SKIP_3) | instid1(VALU_DEP_1)
	v_add_co_ci_u32_e64 v41, s23, s49, v41, s23
	global_store_b64 v[40:41], v[36:37], off
	s_or_b32 exec_lo, exec_lo, s24
	v_cmp_lt_u32_e64 s23, v87, v177
	s_and_saveexec_b32 s25, s23
	s_cbranch_execnz .LBB712_479
.LBB712_494:                            ;   in Loop: Header=BB712_392 Depth=2
	s_or_b32 exec_lo, exec_lo, s25
	v_cmp_lt_u32_e64 s24, v88, v177
	s_delay_alu instid0(VALU_DEP_1)
	s_and_saveexec_b32 s26, s24
	s_cbranch_execz .LBB712_480
.LBB712_495:                            ;   in Loop: Header=BB712_392 Depth=2
	ds_load_b64 v[36:37], v110 offset:18432
	s_waitcnt lgkmcnt(0)
	v_lshrrev_b64 v[40:41], s41, v[36:37]
	v_xor_b32_e32 v37, 0x7fffffff, v37
	v_not_b32_e32 v36, v36
	s_delay_alu instid0(VALU_DEP_3) | instskip(NEXT) | instid1(VALU_DEP_1)
	v_and_b32_e32 v2, s43, v40
	v_lshlrev_b32_e32 v2, 2, v2
	ds_load_b32 v2, v2
	s_waitcnt lgkmcnt(0)
	v_add_nc_u32_e32 v2, v2, v88
	s_delay_alu instid0(VALU_DEP_1) | instskip(NEXT) | instid1(VALU_DEP_1)
	v_lshlrev_b64 v[40:41], 3, v[2:3]
	v_add_co_u32 v40, s25, s48, v40
	s_delay_alu instid0(VALU_DEP_1) | instskip(SKIP_3) | instid1(VALU_DEP_1)
	v_add_co_ci_u32_e64 v41, s25, s49, v41, s25
	global_store_b64 v[40:41], v[36:37], off
	s_or_b32 exec_lo, exec_lo, s26
	v_cmp_lt_u32_e64 s25, v89, v177
	s_and_saveexec_b32 s27, s25
	s_cbranch_execnz .LBB712_481
.LBB712_496:                            ;   in Loop: Header=BB712_392 Depth=2
	s_or_b32 exec_lo, exec_lo, s27
	v_cmp_lt_u32_e64 s26, v90, v177
	s_delay_alu instid0(VALU_DEP_1)
	s_and_saveexec_b32 s29, s26
	s_cbranch_execz .LBB712_482
.LBB712_497:                            ;   in Loop: Header=BB712_392 Depth=2
	ds_load_b64 v[36:37], v110 offset:22528
	s_waitcnt lgkmcnt(0)
	v_lshrrev_b64 v[40:41], s41, v[36:37]
	v_xor_b32_e32 v37, 0x7fffffff, v37
	v_not_b32_e32 v36, v36
	s_delay_alu instid0(VALU_DEP_3) | instskip(NEXT) | instid1(VALU_DEP_1)
	v_and_b32_e32 v2, s43, v40
	v_lshlrev_b32_e32 v2, 2, v2
	ds_load_b32 v2, v2
	s_waitcnt lgkmcnt(0)
	v_add_nc_u32_e32 v2, v2, v90
	s_delay_alu instid0(VALU_DEP_1) | instskip(NEXT) | instid1(VALU_DEP_1)
	v_lshlrev_b64 v[40:41], 3, v[2:3]
	v_add_co_u32 v40, s27, s48, v40
	s_delay_alu instid0(VALU_DEP_1) | instskip(SKIP_3) | instid1(VALU_DEP_1)
	v_add_co_ci_u32_e64 v41, s27, s49, v41, s27
	global_store_b64 v[40:41], v[36:37], off
	s_or_b32 exec_lo, exec_lo, s29
	v_cmp_lt_u32_e64 s27, v91, v177
	s_and_saveexec_b32 s30, s27
	s_cbranch_execnz .LBB712_483
.LBB712_498:                            ;   in Loop: Header=BB712_392 Depth=2
	s_or_b32 exec_lo, exec_lo, s30
	v_cmp_lt_u32_e64 s29, v92, v177
	s_delay_alu instid0(VALU_DEP_1)
	s_and_saveexec_b32 s31, s29
	s_cbranch_execz .LBB712_484
.LBB712_499:                            ;   in Loop: Header=BB712_392 Depth=2
	ds_load_b64 v[36:37], v110 offset:26624
	s_waitcnt lgkmcnt(0)
	v_lshrrev_b64 v[40:41], s41, v[36:37]
	v_xor_b32_e32 v37, 0x7fffffff, v37
	v_not_b32_e32 v36, v36
	s_delay_alu instid0(VALU_DEP_3) | instskip(NEXT) | instid1(VALU_DEP_1)
	v_and_b32_e32 v2, s43, v40
	v_lshlrev_b32_e32 v2, 2, v2
	ds_load_b32 v2, v2
	s_waitcnt lgkmcnt(0)
	v_add_nc_u32_e32 v2, v2, v92
	s_delay_alu instid0(VALU_DEP_1) | instskip(NEXT) | instid1(VALU_DEP_1)
	v_lshlrev_b64 v[40:41], 3, v[2:3]
	v_add_co_u32 v40, s30, s48, v40
	s_delay_alu instid0(VALU_DEP_1) | instskip(SKIP_3) | instid1(VALU_DEP_1)
	v_add_co_ci_u32_e64 v41, s30, s49, v41, s30
	global_store_b64 v[40:41], v[36:37], off
	s_or_b32 exec_lo, exec_lo, s31
	v_cmp_lt_u32_e64 s30, v93, v177
	s_and_saveexec_b32 s33, s30
	s_cbranch_execnz .LBB712_485
.LBB712_500:                            ;   in Loop: Header=BB712_392 Depth=2
	s_or_b32 exec_lo, exec_lo, s33
	v_cmp_lt_u32_e64 s31, v95, v177
	s_delay_alu instid0(VALU_DEP_1)
	s_and_saveexec_b32 s39, s31
	s_cbranch_execz .LBB712_502
.LBB712_501:                            ;   in Loop: Header=BB712_392 Depth=2
	ds_load_b64 v[36:37], v110 offset:30720
	s_waitcnt lgkmcnt(0)
	v_lshrrev_b64 v[40:41], s41, v[36:37]
	v_xor_b32_e32 v37, 0x7fffffff, v37
	v_not_b32_e32 v36, v36
	s_delay_alu instid0(VALU_DEP_3) | instskip(NEXT) | instid1(VALU_DEP_1)
	v_and_b32_e32 v2, s43, v40
	v_lshlrev_b32_e32 v2, 2, v2
	ds_load_b32 v2, v2
	s_waitcnt lgkmcnt(0)
	v_add_nc_u32_e32 v2, v2, v95
	s_delay_alu instid0(VALU_DEP_1) | instskip(NEXT) | instid1(VALU_DEP_1)
	v_lshlrev_b64 v[40:41], 3, v[2:3]
	v_add_co_u32 v40, s33, s48, v40
	s_delay_alu instid0(VALU_DEP_1)
	v_add_co_ci_u32_e64 v41, s33, s49, v41, s33
	global_store_b64 v[40:41], v[36:37], off
.LBB712_502:                            ;   in Loop: Header=BB712_392 Depth=2
	s_or_b32 exec_lo, exec_lo, s39
	s_mov_b32 s39, s34
	s_delay_alu instid0(SALU_CYCLE_1) | instskip(NEXT) | instid1(SALU_CYCLE_1)
	s_lshl_b64 s[38:39], s[38:39], 3
	v_add_co_u32 v36, s33, v139, s38
	s_delay_alu instid0(VALU_DEP_1) | instskip(SKIP_1) | instid1(VALU_DEP_1)
	v_add_co_ci_u32_e64 v37, s33, s39, v140, s33
	v_cmp_lt_u32_e64 s33, v138, v177
	s_and_saveexec_b32 s38, s33
	s_delay_alu instid0(SALU_CYCLE_1)
	s_xor_b32 s33, exec_lo, s38
	s_cbranch_execz .LBB712_534
; %bb.503:                              ;   in Loop: Header=BB712_392 Depth=2
	global_load_b64 v[34:35], v[36:37], off
	s_or_b32 exec_lo, exec_lo, s33
	s_delay_alu instid0(SALU_CYCLE_1)
	s_mov_b32 s38, exec_lo
	v_cmpx_lt_u32_e64 v141, v177
	s_cbranch_execnz .LBB712_535
.LBB712_504:                            ;   in Loop: Header=BB712_392 Depth=2
	s_or_b32 exec_lo, exec_lo, s38
	s_delay_alu instid0(SALU_CYCLE_1)
	s_mov_b32 s38, exec_lo
	v_cmpx_lt_u32_e64 v142, v177
	s_cbranch_execz .LBB712_536
.LBB712_505:                            ;   in Loop: Header=BB712_392 Depth=2
	global_load_b64 v[30:31], v[36:37], off offset:512
	s_or_b32 exec_lo, exec_lo, s38
	s_delay_alu instid0(SALU_CYCLE_1)
	s_mov_b32 s38, exec_lo
	v_cmpx_lt_u32_e64 v143, v177
	s_cbranch_execnz .LBB712_537
.LBB712_506:                            ;   in Loop: Header=BB712_392 Depth=2
	s_or_b32 exec_lo, exec_lo, s38
	s_delay_alu instid0(SALU_CYCLE_1)
	s_mov_b32 s38, exec_lo
	v_cmpx_lt_u32_e64 v144, v177
	s_cbranch_execz .LBB712_538
.LBB712_507:                            ;   in Loop: Header=BB712_392 Depth=2
	global_load_b64 v[26:27], v[36:37], off offset:1024
	s_or_b32 exec_lo, exec_lo, s38
	s_delay_alu instid0(SALU_CYCLE_1)
	s_mov_b32 s38, exec_lo
	v_cmpx_lt_u32_e64 v145, v177
	s_cbranch_execnz .LBB712_539
.LBB712_508:                            ;   in Loop: Header=BB712_392 Depth=2
	s_or_b32 exec_lo, exec_lo, s38
	s_delay_alu instid0(SALU_CYCLE_1)
	s_mov_b32 s38, exec_lo
	v_cmpx_lt_u32_e64 v146, v177
	s_cbranch_execz .LBB712_540
.LBB712_509:                            ;   in Loop: Header=BB712_392 Depth=2
	global_load_b64 v[22:23], v[36:37], off offset:1536
	s_or_b32 exec_lo, exec_lo, s38
	s_delay_alu instid0(SALU_CYCLE_1)
	s_mov_b32 s38, exec_lo
	v_cmpx_lt_u32_e64 v147, v177
	s_cbranch_execnz .LBB712_541
.LBB712_510:                            ;   in Loop: Header=BB712_392 Depth=2
	s_or_b32 exec_lo, exec_lo, s38
	s_delay_alu instid0(SALU_CYCLE_1)
	s_mov_b32 s38, exec_lo
	v_cmpx_lt_u32_e64 v148, v177
	s_cbranch_execz .LBB712_542
.LBB712_511:                            ;   in Loop: Header=BB712_392 Depth=2
	global_load_b64 v[18:19], v[36:37], off offset:2048
	s_or_b32 exec_lo, exec_lo, s38
	s_delay_alu instid0(SALU_CYCLE_1)
	s_mov_b32 s38, exec_lo
	v_cmpx_lt_u32_e64 v149, v177
	s_cbranch_execnz .LBB712_543
.LBB712_512:                            ;   in Loop: Header=BB712_392 Depth=2
	s_or_b32 exec_lo, exec_lo, s38
	s_delay_alu instid0(SALU_CYCLE_1)
	s_mov_b32 s38, exec_lo
	v_cmpx_lt_u32_e64 v150, v177
	s_cbranch_execz .LBB712_544
.LBB712_513:                            ;   in Loop: Header=BB712_392 Depth=2
	global_load_b64 v[14:15], v[36:37], off offset:2560
	s_or_b32 exec_lo, exec_lo, s38
	s_delay_alu instid0(SALU_CYCLE_1)
	s_mov_b32 s38, exec_lo
	v_cmpx_lt_u32_e64 v151, v177
	s_cbranch_execnz .LBB712_545
.LBB712_514:                            ;   in Loop: Header=BB712_392 Depth=2
	s_or_b32 exec_lo, exec_lo, s38
	s_delay_alu instid0(SALU_CYCLE_1)
	s_mov_b32 s38, exec_lo
	v_cmpx_lt_u32_e64 v152, v177
	s_cbranch_execz .LBB712_546
.LBB712_515:                            ;   in Loop: Header=BB712_392 Depth=2
	global_load_b64 v[10:11], v[36:37], off offset:3072
	s_or_b32 exec_lo, exec_lo, s38
	s_delay_alu instid0(SALU_CYCLE_1)
	s_mov_b32 s38, exec_lo
	v_cmpx_lt_u32_e64 v153, v177
	s_cbranch_execnz .LBB712_547
.LBB712_516:                            ;   in Loop: Header=BB712_392 Depth=2
	s_or_b32 exec_lo, exec_lo, s38
	s_delay_alu instid0(SALU_CYCLE_1)
	s_mov_b32 s38, exec_lo
	v_cmpx_lt_u32_e64 v154, v177
	s_cbranch_execz .LBB712_548
.LBB712_517:                            ;   in Loop: Header=BB712_392 Depth=2
	global_load_b64 v[6:7], v[36:37], off offset:3584
	s_or_b32 exec_lo, exec_lo, s38
	s_delay_alu instid0(SALU_CYCLE_1)
	s_mov_b32 s38, exec_lo
	v_cmpx_lt_u32_e64 v155, v177
	s_cbranch_execnz .LBB712_549
.LBB712_518:                            ;   in Loop: Header=BB712_392 Depth=2
	s_or_b32 exec_lo, exec_lo, s38
	s_and_saveexec_b32 s33, vcc_lo
	s_cbranch_execz .LBB712_550
.LBB712_519:                            ;   in Loop: Header=BB712_392 Depth=2
	v_add_nc_u32_e32 v2, v104, v76
	ds_load_b64 v[36:37], v2 offset:1024
	s_waitcnt lgkmcnt(0)
	v_lshrrev_b64 v[36:37], s41, v[36:37]
	s_delay_alu instid0(VALU_DEP_1)
	v_and_b32_e32 v176, s43, v36
	s_or_b32 exec_lo, exec_lo, s33
	s_and_saveexec_b32 s33, s16
	s_cbranch_execnz .LBB712_551
.LBB712_520:                            ;   in Loop: Header=BB712_392 Depth=2
	s_or_b32 exec_lo, exec_lo, s33
	s_and_saveexec_b32 s33, s17
	s_cbranch_execz .LBB712_552
.LBB712_521:                            ;   in Loop: Header=BB712_392 Depth=2
	ds_load_b64 v[36:37], v110 offset:4096
	s_waitcnt lgkmcnt(0)
	v_lshrrev_b64 v[36:37], s41, v[36:37]
	s_delay_alu instid0(VALU_DEP_1)
	v_and_b32_e32 v174, s43, v36
	s_or_b32 exec_lo, exec_lo, s33
	s_and_saveexec_b32 s33, s18
	s_cbranch_execnz .LBB712_553
.LBB712_522:                            ;   in Loop: Header=BB712_392 Depth=2
	s_or_b32 exec_lo, exec_lo, s33
	s_and_saveexec_b32 s33, s19
	s_cbranch_execz .LBB712_554
.LBB712_523:                            ;   in Loop: Header=BB712_392 Depth=2
	ds_load_b64 v[36:37], v110 offset:8192
	s_waitcnt lgkmcnt(0)
	v_lshrrev_b64 v[36:37], s41, v[36:37]
	s_delay_alu instid0(VALU_DEP_1)
	v_and_b32_e32 v172, s43, v36
	s_or_b32 exec_lo, exec_lo, s33
	s_and_saveexec_b32 s33, s20
	s_cbranch_execnz .LBB712_555
.LBB712_524:                            ;   in Loop: Header=BB712_392 Depth=2
	s_or_b32 exec_lo, exec_lo, s33
	s_and_saveexec_b32 s33, s21
	s_cbranch_execz .LBB712_556
.LBB712_525:                            ;   in Loop: Header=BB712_392 Depth=2
	ds_load_b64 v[36:37], v110 offset:12288
	s_waitcnt lgkmcnt(0)
	v_lshrrev_b64 v[36:37], s41, v[36:37]
	s_delay_alu instid0(VALU_DEP_1)
	v_and_b32_e32 v170, s43, v36
	s_or_b32 exec_lo, exec_lo, s33
	s_and_saveexec_b32 s33, s22
	s_cbranch_execnz .LBB712_557
.LBB712_526:                            ;   in Loop: Header=BB712_392 Depth=2
	s_or_b32 exec_lo, exec_lo, s33
	s_and_saveexec_b32 s33, s23
	s_cbranch_execz .LBB712_558
.LBB712_527:                            ;   in Loop: Header=BB712_392 Depth=2
	ds_load_b64 v[36:37], v110 offset:16384
	s_waitcnt lgkmcnt(0)
	v_lshrrev_b64 v[36:37], s41, v[36:37]
	s_delay_alu instid0(VALU_DEP_1)
	v_and_b32_e32 v168, s43, v36
	s_or_b32 exec_lo, exec_lo, s33
	s_and_saveexec_b32 s33, s24
	s_cbranch_execnz .LBB712_559
.LBB712_528:                            ;   in Loop: Header=BB712_392 Depth=2
	s_or_b32 exec_lo, exec_lo, s33
	s_and_saveexec_b32 s33, s25
	s_cbranch_execz .LBB712_560
.LBB712_529:                            ;   in Loop: Header=BB712_392 Depth=2
	ds_load_b64 v[36:37], v110 offset:20480
	s_waitcnt lgkmcnt(0)
	v_lshrrev_b64 v[36:37], s41, v[36:37]
	s_delay_alu instid0(VALU_DEP_1)
	v_and_b32_e32 v166, s43, v36
	s_or_b32 exec_lo, exec_lo, s33
	s_and_saveexec_b32 s33, s26
	s_cbranch_execnz .LBB712_561
.LBB712_530:                            ;   in Loop: Header=BB712_392 Depth=2
	s_or_b32 exec_lo, exec_lo, s33
	s_and_saveexec_b32 s33, s27
	s_cbranch_execz .LBB712_562
.LBB712_531:                            ;   in Loop: Header=BB712_392 Depth=2
	ds_load_b64 v[36:37], v110 offset:24576
	s_waitcnt lgkmcnt(0)
	v_lshrrev_b64 v[36:37], s41, v[36:37]
	s_delay_alu instid0(VALU_DEP_1)
	v_and_b32_e32 v164, s43, v36
	s_or_b32 exec_lo, exec_lo, s33
	s_and_saveexec_b32 s33, s29
	s_cbranch_execnz .LBB712_563
.LBB712_532:                            ;   in Loop: Header=BB712_392 Depth=2
	s_or_b32 exec_lo, exec_lo, s33
	s_and_saveexec_b32 s33, s30
	s_cbranch_execz .LBB712_564
.LBB712_533:                            ;   in Loop: Header=BB712_392 Depth=2
	ds_load_b64 v[36:37], v110 offset:28672
	s_waitcnt lgkmcnt(0)
	v_lshrrev_b64 v[36:37], s41, v[36:37]
	s_delay_alu instid0(VALU_DEP_1)
	v_and_b32_e32 v162, s43, v36
	s_or_b32 exec_lo, exec_lo, s33
	s_and_saveexec_b32 s33, s31
	s_cbranch_execnz .LBB712_565
	s_branch .LBB712_566
.LBB712_534:                            ;   in Loop: Header=BB712_392 Depth=2
	s_or_b32 exec_lo, exec_lo, s33
	s_delay_alu instid0(SALU_CYCLE_1)
	s_mov_b32 s38, exec_lo
	v_cmpx_lt_u32_e64 v141, v177
	s_cbranch_execz .LBB712_504
.LBB712_535:                            ;   in Loop: Header=BB712_392 Depth=2
	global_load_b64 v[32:33], v[36:37], off offset:256
	s_or_b32 exec_lo, exec_lo, s38
	s_delay_alu instid0(SALU_CYCLE_1)
	s_mov_b32 s38, exec_lo
	v_cmpx_lt_u32_e64 v142, v177
	s_cbranch_execnz .LBB712_505
.LBB712_536:                            ;   in Loop: Header=BB712_392 Depth=2
	s_or_b32 exec_lo, exec_lo, s38
	s_delay_alu instid0(SALU_CYCLE_1)
	s_mov_b32 s38, exec_lo
	v_cmpx_lt_u32_e64 v143, v177
	s_cbranch_execz .LBB712_506
.LBB712_537:                            ;   in Loop: Header=BB712_392 Depth=2
	global_load_b64 v[28:29], v[36:37], off offset:768
	s_or_b32 exec_lo, exec_lo, s38
	s_delay_alu instid0(SALU_CYCLE_1)
	s_mov_b32 s38, exec_lo
	v_cmpx_lt_u32_e64 v144, v177
	s_cbranch_execnz .LBB712_507
.LBB712_538:                            ;   in Loop: Header=BB712_392 Depth=2
	s_or_b32 exec_lo, exec_lo, s38
	s_delay_alu instid0(SALU_CYCLE_1)
	s_mov_b32 s38, exec_lo
	v_cmpx_lt_u32_e64 v145, v177
	s_cbranch_execz .LBB712_508
.LBB712_539:                            ;   in Loop: Header=BB712_392 Depth=2
	global_load_b64 v[24:25], v[36:37], off offset:1280
	s_or_b32 exec_lo, exec_lo, s38
	s_delay_alu instid0(SALU_CYCLE_1)
	s_mov_b32 s38, exec_lo
	v_cmpx_lt_u32_e64 v146, v177
	s_cbranch_execnz .LBB712_509
.LBB712_540:                            ;   in Loop: Header=BB712_392 Depth=2
	s_or_b32 exec_lo, exec_lo, s38
	s_delay_alu instid0(SALU_CYCLE_1)
	s_mov_b32 s38, exec_lo
	v_cmpx_lt_u32_e64 v147, v177
	s_cbranch_execz .LBB712_510
.LBB712_541:                            ;   in Loop: Header=BB712_392 Depth=2
	global_load_b64 v[20:21], v[36:37], off offset:1792
	s_or_b32 exec_lo, exec_lo, s38
	s_delay_alu instid0(SALU_CYCLE_1)
	s_mov_b32 s38, exec_lo
	v_cmpx_lt_u32_e64 v148, v177
	s_cbranch_execnz .LBB712_511
.LBB712_542:                            ;   in Loop: Header=BB712_392 Depth=2
	s_or_b32 exec_lo, exec_lo, s38
	s_delay_alu instid0(SALU_CYCLE_1)
	s_mov_b32 s38, exec_lo
	v_cmpx_lt_u32_e64 v149, v177
	s_cbranch_execz .LBB712_512
.LBB712_543:                            ;   in Loop: Header=BB712_392 Depth=2
	global_load_b64 v[16:17], v[36:37], off offset:2304
	s_or_b32 exec_lo, exec_lo, s38
	s_delay_alu instid0(SALU_CYCLE_1)
	s_mov_b32 s38, exec_lo
	v_cmpx_lt_u32_e64 v150, v177
	s_cbranch_execnz .LBB712_513
.LBB712_544:                            ;   in Loop: Header=BB712_392 Depth=2
	s_or_b32 exec_lo, exec_lo, s38
	s_delay_alu instid0(SALU_CYCLE_1)
	s_mov_b32 s38, exec_lo
	v_cmpx_lt_u32_e64 v151, v177
	s_cbranch_execz .LBB712_514
.LBB712_545:                            ;   in Loop: Header=BB712_392 Depth=2
	global_load_b64 v[12:13], v[36:37], off offset:2816
	s_or_b32 exec_lo, exec_lo, s38
	s_delay_alu instid0(SALU_CYCLE_1)
	s_mov_b32 s38, exec_lo
	v_cmpx_lt_u32_e64 v152, v177
	s_cbranch_execnz .LBB712_515
.LBB712_546:                            ;   in Loop: Header=BB712_392 Depth=2
	s_or_b32 exec_lo, exec_lo, s38
	s_delay_alu instid0(SALU_CYCLE_1)
	s_mov_b32 s38, exec_lo
	v_cmpx_lt_u32_e64 v153, v177
	s_cbranch_execz .LBB712_516
.LBB712_547:                            ;   in Loop: Header=BB712_392 Depth=2
	global_load_b64 v[8:9], v[36:37], off offset:3328
	s_or_b32 exec_lo, exec_lo, s38
	s_delay_alu instid0(SALU_CYCLE_1)
	s_mov_b32 s38, exec_lo
	v_cmpx_lt_u32_e64 v154, v177
	s_cbranch_execnz .LBB712_517
.LBB712_548:                            ;   in Loop: Header=BB712_392 Depth=2
	s_or_b32 exec_lo, exec_lo, s38
	s_delay_alu instid0(SALU_CYCLE_1)
	s_mov_b32 s38, exec_lo
	v_cmpx_lt_u32_e64 v155, v177
	s_cbranch_execz .LBB712_518
.LBB712_549:                            ;   in Loop: Header=BB712_392 Depth=2
	global_load_b64 v[4:5], v[36:37], off offset:3840
	s_or_b32 exec_lo, exec_lo, s38
	s_and_saveexec_b32 s33, vcc_lo
	s_cbranch_execnz .LBB712_519
.LBB712_550:                            ;   in Loop: Header=BB712_392 Depth=2
	s_or_b32 exec_lo, exec_lo, s33
	s_and_saveexec_b32 s33, s16
	s_cbranch_execz .LBB712_520
.LBB712_551:                            ;   in Loop: Header=BB712_392 Depth=2
	ds_load_b64 v[36:37], v110 offset:2048
	s_waitcnt lgkmcnt(0)
	v_lshrrev_b64 v[36:37], s41, v[36:37]
	s_delay_alu instid0(VALU_DEP_1)
	v_and_b32_e32 v175, s43, v36
	s_or_b32 exec_lo, exec_lo, s33
	s_and_saveexec_b32 s33, s17
	s_cbranch_execnz .LBB712_521
.LBB712_552:                            ;   in Loop: Header=BB712_392 Depth=2
	s_or_b32 exec_lo, exec_lo, s33
	s_and_saveexec_b32 s33, s18
	s_cbranch_execz .LBB712_522
.LBB712_553:                            ;   in Loop: Header=BB712_392 Depth=2
	ds_load_b64 v[36:37], v110 offset:6144
	s_waitcnt lgkmcnt(0)
	v_lshrrev_b64 v[36:37], s41, v[36:37]
	s_delay_alu instid0(VALU_DEP_1)
	v_and_b32_e32 v173, s43, v36
	s_or_b32 exec_lo, exec_lo, s33
	s_and_saveexec_b32 s33, s19
	s_cbranch_execnz .LBB712_523
.LBB712_554:                            ;   in Loop: Header=BB712_392 Depth=2
	s_or_b32 exec_lo, exec_lo, s33
	s_and_saveexec_b32 s33, s20
	s_cbranch_execz .LBB712_524
.LBB712_555:                            ;   in Loop: Header=BB712_392 Depth=2
	ds_load_b64 v[36:37], v110 offset:10240
	s_waitcnt lgkmcnt(0)
	v_lshrrev_b64 v[36:37], s41, v[36:37]
	s_delay_alu instid0(VALU_DEP_1)
	v_and_b32_e32 v171, s43, v36
	s_or_b32 exec_lo, exec_lo, s33
	s_and_saveexec_b32 s33, s21
	s_cbranch_execnz .LBB712_525
.LBB712_556:                            ;   in Loop: Header=BB712_392 Depth=2
	s_or_b32 exec_lo, exec_lo, s33
	s_and_saveexec_b32 s33, s22
	s_cbranch_execz .LBB712_526
.LBB712_557:                            ;   in Loop: Header=BB712_392 Depth=2
	ds_load_b64 v[36:37], v110 offset:14336
	s_waitcnt lgkmcnt(0)
	v_lshrrev_b64 v[36:37], s41, v[36:37]
	s_delay_alu instid0(VALU_DEP_1)
	v_and_b32_e32 v169, s43, v36
	s_or_b32 exec_lo, exec_lo, s33
	s_and_saveexec_b32 s33, s23
	s_cbranch_execnz .LBB712_527
.LBB712_558:                            ;   in Loop: Header=BB712_392 Depth=2
	s_or_b32 exec_lo, exec_lo, s33
	s_and_saveexec_b32 s33, s24
	s_cbranch_execz .LBB712_528
.LBB712_559:                            ;   in Loop: Header=BB712_392 Depth=2
	ds_load_b64 v[36:37], v110 offset:18432
	s_waitcnt lgkmcnt(0)
	v_lshrrev_b64 v[36:37], s41, v[36:37]
	s_delay_alu instid0(VALU_DEP_1)
	v_and_b32_e32 v167, s43, v36
	s_or_b32 exec_lo, exec_lo, s33
	s_and_saveexec_b32 s33, s25
	s_cbranch_execnz .LBB712_529
.LBB712_560:                            ;   in Loop: Header=BB712_392 Depth=2
	s_or_b32 exec_lo, exec_lo, s33
	s_and_saveexec_b32 s33, s26
	s_cbranch_execz .LBB712_530
.LBB712_561:                            ;   in Loop: Header=BB712_392 Depth=2
	ds_load_b64 v[36:37], v110 offset:22528
	s_waitcnt lgkmcnt(0)
	v_lshrrev_b64 v[36:37], s41, v[36:37]
	s_delay_alu instid0(VALU_DEP_1)
	v_and_b32_e32 v165, s43, v36
	s_or_b32 exec_lo, exec_lo, s33
	s_and_saveexec_b32 s33, s27
	s_cbranch_execnz .LBB712_531
.LBB712_562:                            ;   in Loop: Header=BB712_392 Depth=2
	s_or_b32 exec_lo, exec_lo, s33
	s_and_saveexec_b32 s33, s29
	s_cbranch_execz .LBB712_532
.LBB712_563:                            ;   in Loop: Header=BB712_392 Depth=2
	ds_load_b64 v[36:37], v110 offset:26624
	s_waitcnt lgkmcnt(0)
	v_lshrrev_b64 v[36:37], s41, v[36:37]
	s_delay_alu instid0(VALU_DEP_1)
	v_and_b32_e32 v163, s43, v36
	s_or_b32 exec_lo, exec_lo, s33
	s_and_saveexec_b32 s33, s30
	s_cbranch_execnz .LBB712_533
.LBB712_564:                            ;   in Loop: Header=BB712_392 Depth=2
	s_or_b32 exec_lo, exec_lo, s33
	s_and_saveexec_b32 s33, s31
	s_cbranch_execz .LBB712_566
.LBB712_565:                            ;   in Loop: Header=BB712_392 Depth=2
	ds_load_b64 v[36:37], v110 offset:30720
	s_waitcnt lgkmcnt(0)
	v_lshrrev_b64 v[36:37], s41, v[36:37]
	s_delay_alu instid0(VALU_DEP_1)
	v_and_b32_e32 v161, s43, v36
.LBB712_566:                            ;   in Loop: Header=BB712_392 Depth=2
	s_or_b32 exec_lo, exec_lo, s33
	v_add_nc_u32_e32 v2, 0x400, v69
	v_add_nc_u32_e32 v36, 0x400, v70
	;; [unrolled: 1-line block ×16, first 2 shown]
	s_waitcnt vmcnt(0)
	s_waitcnt_vscnt null, 0x0
	s_barrier
	buffer_gl0_inv
	ds_store_b64 v2, v[34:35]
	ds_store_b64 v36, v[32:33]
	;; [unrolled: 1-line block ×16, first 2 shown]
	s_waitcnt lgkmcnt(0)
	s_barrier
	buffer_gl0_inv
	s_and_saveexec_b32 s33, vcc_lo
	s_cbranch_execz .LBB712_582
; %bb.567:                              ;   in Loop: Header=BB712_392 Depth=2
	v_lshlrev_b32_e32 v2, 2, v176
	v_add_nc_u32_e32 v36, v104, v76
	ds_load_b32 v2, v2
	ds_load_b64 v[36:37], v36 offset:1024
	s_waitcnt lgkmcnt(1)
	v_add_nc_u32_e32 v2, v2, v1
	s_delay_alu instid0(VALU_DEP_1) | instskip(NEXT) | instid1(VALU_DEP_1)
	v_lshlrev_b64 v[38:39], 3, v[2:3]
	v_add_co_u32 v38, vcc_lo, s54, v38
	s_delay_alu instid0(VALU_DEP_2)
	v_add_co_ci_u32_e32 v39, vcc_lo, s55, v39, vcc_lo
	s_waitcnt lgkmcnt(0)
	global_store_b64 v[38:39], v[36:37], off
	s_or_b32 exec_lo, exec_lo, s33
	s_and_saveexec_b32 s33, s16
	s_cbranch_execnz .LBB712_583
.LBB712_568:                            ;   in Loop: Header=BB712_392 Depth=2
	s_or_b32 exec_lo, exec_lo, s33
	s_and_saveexec_b32 s16, s17
	s_cbranch_execz .LBB712_584
.LBB712_569:                            ;   in Loop: Header=BB712_392 Depth=2
	v_lshlrev_b32_e32 v2, 2, v174
	ds_load_b32 v2, v2
	ds_load_b64 v[36:37], v110 offset:4096
	s_waitcnt lgkmcnt(1)
	v_add_nc_u32_e32 v2, v2, v78
	s_delay_alu instid0(VALU_DEP_1) | instskip(NEXT) | instid1(VALU_DEP_1)
	v_lshlrev_b64 v[38:39], 3, v[2:3]
	v_add_co_u32 v38, vcc_lo, s54, v38
	s_delay_alu instid0(VALU_DEP_2)
	v_add_co_ci_u32_e32 v39, vcc_lo, s55, v39, vcc_lo
	s_waitcnt lgkmcnt(0)
	global_store_b64 v[38:39], v[36:37], off
	s_or_b32 exec_lo, exec_lo, s16
	s_and_saveexec_b32 s16, s18
	s_cbranch_execnz .LBB712_585
.LBB712_570:                            ;   in Loop: Header=BB712_392 Depth=2
	s_or_b32 exec_lo, exec_lo, s16
	s_and_saveexec_b32 s16, s19
	s_cbranch_execz .LBB712_586
.LBB712_571:                            ;   in Loop: Header=BB712_392 Depth=2
	v_lshlrev_b32_e32 v2, 2, v172
	ds_load_b32 v2, v2
	ds_load_b64 v[36:37], v110 offset:8192
	s_waitcnt lgkmcnt(1)
	v_add_nc_u32_e32 v2, v2, v83
	s_delay_alu instid0(VALU_DEP_1) | instskip(NEXT) | instid1(VALU_DEP_1)
	v_lshlrev_b64 v[38:39], 3, v[2:3]
	v_add_co_u32 v38, vcc_lo, s54, v38
	s_delay_alu instid0(VALU_DEP_2)
	v_add_co_ci_u32_e32 v39, vcc_lo, s55, v39, vcc_lo
	s_waitcnt lgkmcnt(0)
	global_store_b64 v[38:39], v[36:37], off
	s_or_b32 exec_lo, exec_lo, s16
	s_and_saveexec_b32 s16, s20
	s_cbranch_execnz .LBB712_587
.LBB712_572:                            ;   in Loop: Header=BB712_392 Depth=2
	s_or_b32 exec_lo, exec_lo, s16
	s_and_saveexec_b32 s16, s21
	s_cbranch_execz .LBB712_588
.LBB712_573:                            ;   in Loop: Header=BB712_392 Depth=2
	v_lshlrev_b32_e32 v2, 2, v170
	ds_load_b32 v2, v2
	ds_load_b64 v[36:37], v110 offset:12288
	s_waitcnt lgkmcnt(1)
	v_add_nc_u32_e32 v2, v2, v85
	s_delay_alu instid0(VALU_DEP_1) | instskip(NEXT) | instid1(VALU_DEP_1)
	v_lshlrev_b64 v[38:39], 3, v[2:3]
	v_add_co_u32 v38, vcc_lo, s54, v38
	s_delay_alu instid0(VALU_DEP_2)
	v_add_co_ci_u32_e32 v39, vcc_lo, s55, v39, vcc_lo
	s_waitcnt lgkmcnt(0)
	global_store_b64 v[38:39], v[36:37], off
	s_or_b32 exec_lo, exec_lo, s16
	s_and_saveexec_b32 s16, s22
	s_cbranch_execnz .LBB712_589
.LBB712_574:                            ;   in Loop: Header=BB712_392 Depth=2
	s_or_b32 exec_lo, exec_lo, s16
	s_and_saveexec_b32 s16, s23
	s_cbranch_execz .LBB712_590
.LBB712_575:                            ;   in Loop: Header=BB712_392 Depth=2
	v_lshlrev_b32_e32 v2, 2, v168
	ds_load_b32 v2, v2
	ds_load_b64 v[36:37], v110 offset:16384
	s_waitcnt lgkmcnt(1)
	v_add_nc_u32_e32 v2, v2, v87
	s_delay_alu instid0(VALU_DEP_1) | instskip(NEXT) | instid1(VALU_DEP_1)
	v_lshlrev_b64 v[38:39], 3, v[2:3]
	v_add_co_u32 v38, vcc_lo, s54, v38
	s_delay_alu instid0(VALU_DEP_2)
	v_add_co_ci_u32_e32 v39, vcc_lo, s55, v39, vcc_lo
	s_waitcnt lgkmcnt(0)
	global_store_b64 v[38:39], v[36:37], off
	s_or_b32 exec_lo, exec_lo, s16
	s_and_saveexec_b32 s16, s24
	s_cbranch_execnz .LBB712_591
.LBB712_576:                            ;   in Loop: Header=BB712_392 Depth=2
	s_or_b32 exec_lo, exec_lo, s16
	s_and_saveexec_b32 s16, s25
	s_cbranch_execz .LBB712_592
.LBB712_577:                            ;   in Loop: Header=BB712_392 Depth=2
	v_lshlrev_b32_e32 v2, 2, v166
	ds_load_b32 v2, v2
	ds_load_b64 v[36:37], v110 offset:20480
	s_waitcnt lgkmcnt(1)
	v_add_nc_u32_e32 v2, v2, v89
	s_delay_alu instid0(VALU_DEP_1) | instskip(NEXT) | instid1(VALU_DEP_1)
	v_lshlrev_b64 v[38:39], 3, v[2:3]
	v_add_co_u32 v38, vcc_lo, s54, v38
	s_delay_alu instid0(VALU_DEP_2)
	v_add_co_ci_u32_e32 v39, vcc_lo, s55, v39, vcc_lo
	s_waitcnt lgkmcnt(0)
	global_store_b64 v[38:39], v[36:37], off
	s_or_b32 exec_lo, exec_lo, s16
	s_and_saveexec_b32 s16, s26
	s_cbranch_execnz .LBB712_593
.LBB712_578:                            ;   in Loop: Header=BB712_392 Depth=2
	s_or_b32 exec_lo, exec_lo, s16
	s_and_saveexec_b32 s16, s27
	s_cbranch_execz .LBB712_594
.LBB712_579:                            ;   in Loop: Header=BB712_392 Depth=2
	v_lshlrev_b32_e32 v2, 2, v164
	ds_load_b32 v2, v2
	ds_load_b64 v[36:37], v110 offset:24576
	s_waitcnt lgkmcnt(1)
	v_add_nc_u32_e32 v2, v2, v91
	s_delay_alu instid0(VALU_DEP_1) | instskip(NEXT) | instid1(VALU_DEP_1)
	v_lshlrev_b64 v[38:39], 3, v[2:3]
	v_add_co_u32 v38, vcc_lo, s54, v38
	s_delay_alu instid0(VALU_DEP_2)
	v_add_co_ci_u32_e32 v39, vcc_lo, s55, v39, vcc_lo
	s_waitcnt lgkmcnt(0)
	global_store_b64 v[38:39], v[36:37], off
	s_or_b32 exec_lo, exec_lo, s16
	s_and_saveexec_b32 s16, s29
	s_cbranch_execnz .LBB712_595
.LBB712_580:                            ;   in Loop: Header=BB712_392 Depth=2
	s_or_b32 exec_lo, exec_lo, s16
	s_and_saveexec_b32 s16, s30
	s_cbranch_execz .LBB712_596
.LBB712_581:                            ;   in Loop: Header=BB712_392 Depth=2
	v_lshlrev_b32_e32 v2, 2, v162
	ds_load_b32 v2, v2
	ds_load_b64 v[36:37], v110 offset:28672
	s_waitcnt lgkmcnt(1)
	v_add_nc_u32_e32 v2, v2, v93
	s_delay_alu instid0(VALU_DEP_1) | instskip(NEXT) | instid1(VALU_DEP_1)
	v_lshlrev_b64 v[38:39], 3, v[2:3]
	v_add_co_u32 v38, vcc_lo, s54, v38
	s_delay_alu instid0(VALU_DEP_2)
	v_add_co_ci_u32_e32 v39, vcc_lo, s55, v39, vcc_lo
	s_waitcnt lgkmcnt(0)
	global_store_b64 v[38:39], v[36:37], off
	s_or_b32 exec_lo, exec_lo, s16
	s_and_saveexec_b32 s16, s31
	s_cbranch_execnz .LBB712_597
	s_branch .LBB712_598
.LBB712_582:                            ;   in Loop: Header=BB712_392 Depth=2
	s_or_b32 exec_lo, exec_lo, s33
	s_and_saveexec_b32 s33, s16
	s_cbranch_execz .LBB712_568
.LBB712_583:                            ;   in Loop: Header=BB712_392 Depth=2
	v_lshlrev_b32_e32 v2, 2, v175
	ds_load_b32 v2, v2
	ds_load_b64 v[36:37], v110 offset:2048
	s_waitcnt lgkmcnt(1)
	v_add_nc_u32_e32 v2, v2, v77
	s_delay_alu instid0(VALU_DEP_1) | instskip(NEXT) | instid1(VALU_DEP_1)
	v_lshlrev_b64 v[38:39], 3, v[2:3]
	v_add_co_u32 v38, vcc_lo, s54, v38
	s_delay_alu instid0(VALU_DEP_2)
	v_add_co_ci_u32_e32 v39, vcc_lo, s55, v39, vcc_lo
	s_waitcnt lgkmcnt(0)
	global_store_b64 v[38:39], v[36:37], off
	s_or_b32 exec_lo, exec_lo, s33
	s_and_saveexec_b32 s16, s17
	s_cbranch_execnz .LBB712_569
.LBB712_584:                            ;   in Loop: Header=BB712_392 Depth=2
	s_or_b32 exec_lo, exec_lo, s16
	s_and_saveexec_b32 s16, s18
	s_cbranch_execz .LBB712_570
.LBB712_585:                            ;   in Loop: Header=BB712_392 Depth=2
	v_lshlrev_b32_e32 v2, 2, v173
	ds_load_b32 v2, v2
	ds_load_b64 v[36:37], v110 offset:6144
	s_waitcnt lgkmcnt(1)
	v_add_nc_u32_e32 v2, v2, v79
	s_delay_alu instid0(VALU_DEP_1) | instskip(NEXT) | instid1(VALU_DEP_1)
	v_lshlrev_b64 v[38:39], 3, v[2:3]
	v_add_co_u32 v38, vcc_lo, s54, v38
	s_delay_alu instid0(VALU_DEP_2)
	v_add_co_ci_u32_e32 v39, vcc_lo, s55, v39, vcc_lo
	s_waitcnt lgkmcnt(0)
	global_store_b64 v[38:39], v[36:37], off
	s_or_b32 exec_lo, exec_lo, s16
	s_and_saveexec_b32 s16, s19
	s_cbranch_execnz .LBB712_571
.LBB712_586:                            ;   in Loop: Header=BB712_392 Depth=2
	s_or_b32 exec_lo, exec_lo, s16
	s_and_saveexec_b32 s16, s20
	s_cbranch_execz .LBB712_572
.LBB712_587:                            ;   in Loop: Header=BB712_392 Depth=2
	v_lshlrev_b32_e32 v2, 2, v171
	ds_load_b32 v2, v2
	ds_load_b64 v[36:37], v110 offset:10240
	s_waitcnt lgkmcnt(1)
	v_add_nc_u32_e32 v2, v2, v84
	s_delay_alu instid0(VALU_DEP_1) | instskip(NEXT) | instid1(VALU_DEP_1)
	v_lshlrev_b64 v[38:39], 3, v[2:3]
	v_add_co_u32 v38, vcc_lo, s54, v38
	s_delay_alu instid0(VALU_DEP_2)
	v_add_co_ci_u32_e32 v39, vcc_lo, s55, v39, vcc_lo
	s_waitcnt lgkmcnt(0)
	global_store_b64 v[38:39], v[36:37], off
	s_or_b32 exec_lo, exec_lo, s16
	s_and_saveexec_b32 s16, s21
	s_cbranch_execnz .LBB712_573
.LBB712_588:                            ;   in Loop: Header=BB712_392 Depth=2
	s_or_b32 exec_lo, exec_lo, s16
	s_and_saveexec_b32 s16, s22
	s_cbranch_execz .LBB712_574
.LBB712_589:                            ;   in Loop: Header=BB712_392 Depth=2
	v_lshlrev_b32_e32 v2, 2, v169
	ds_load_b32 v2, v2
	ds_load_b64 v[36:37], v110 offset:14336
	s_waitcnt lgkmcnt(1)
	v_add_nc_u32_e32 v2, v2, v86
	s_delay_alu instid0(VALU_DEP_1) | instskip(NEXT) | instid1(VALU_DEP_1)
	v_lshlrev_b64 v[38:39], 3, v[2:3]
	v_add_co_u32 v38, vcc_lo, s54, v38
	s_delay_alu instid0(VALU_DEP_2)
	v_add_co_ci_u32_e32 v39, vcc_lo, s55, v39, vcc_lo
	s_waitcnt lgkmcnt(0)
	global_store_b64 v[38:39], v[36:37], off
	s_or_b32 exec_lo, exec_lo, s16
	s_and_saveexec_b32 s16, s23
	s_cbranch_execnz .LBB712_575
.LBB712_590:                            ;   in Loop: Header=BB712_392 Depth=2
	s_or_b32 exec_lo, exec_lo, s16
	s_and_saveexec_b32 s16, s24
	s_cbranch_execz .LBB712_576
.LBB712_591:                            ;   in Loop: Header=BB712_392 Depth=2
	v_lshlrev_b32_e32 v2, 2, v167
	ds_load_b32 v2, v2
	ds_load_b64 v[36:37], v110 offset:18432
	s_waitcnt lgkmcnt(1)
	v_add_nc_u32_e32 v2, v2, v88
	s_delay_alu instid0(VALU_DEP_1) | instskip(NEXT) | instid1(VALU_DEP_1)
	v_lshlrev_b64 v[38:39], 3, v[2:3]
	v_add_co_u32 v38, vcc_lo, s54, v38
	s_delay_alu instid0(VALU_DEP_2)
	v_add_co_ci_u32_e32 v39, vcc_lo, s55, v39, vcc_lo
	s_waitcnt lgkmcnt(0)
	global_store_b64 v[38:39], v[36:37], off
	s_or_b32 exec_lo, exec_lo, s16
	s_and_saveexec_b32 s16, s25
	s_cbranch_execnz .LBB712_577
.LBB712_592:                            ;   in Loop: Header=BB712_392 Depth=2
	s_or_b32 exec_lo, exec_lo, s16
	s_and_saveexec_b32 s16, s26
	s_cbranch_execz .LBB712_578
.LBB712_593:                            ;   in Loop: Header=BB712_392 Depth=2
	v_lshlrev_b32_e32 v2, 2, v165
	ds_load_b32 v2, v2
	ds_load_b64 v[36:37], v110 offset:22528
	s_waitcnt lgkmcnt(1)
	v_add_nc_u32_e32 v2, v2, v90
	s_delay_alu instid0(VALU_DEP_1) | instskip(NEXT) | instid1(VALU_DEP_1)
	v_lshlrev_b64 v[38:39], 3, v[2:3]
	v_add_co_u32 v38, vcc_lo, s54, v38
	s_delay_alu instid0(VALU_DEP_2)
	v_add_co_ci_u32_e32 v39, vcc_lo, s55, v39, vcc_lo
	s_waitcnt lgkmcnt(0)
	global_store_b64 v[38:39], v[36:37], off
	s_or_b32 exec_lo, exec_lo, s16
	s_and_saveexec_b32 s16, s27
	s_cbranch_execnz .LBB712_579
.LBB712_594:                            ;   in Loop: Header=BB712_392 Depth=2
	s_or_b32 exec_lo, exec_lo, s16
	s_and_saveexec_b32 s16, s29
	s_cbranch_execz .LBB712_580
.LBB712_595:                            ;   in Loop: Header=BB712_392 Depth=2
	v_lshlrev_b32_e32 v2, 2, v163
	ds_load_b32 v2, v2
	ds_load_b64 v[36:37], v110 offset:26624
	s_waitcnt lgkmcnt(1)
	v_add_nc_u32_e32 v2, v2, v92
	s_delay_alu instid0(VALU_DEP_1) | instskip(NEXT) | instid1(VALU_DEP_1)
	v_lshlrev_b64 v[38:39], 3, v[2:3]
	v_add_co_u32 v38, vcc_lo, s54, v38
	s_delay_alu instid0(VALU_DEP_2)
	v_add_co_ci_u32_e32 v39, vcc_lo, s55, v39, vcc_lo
	s_waitcnt lgkmcnt(0)
	global_store_b64 v[38:39], v[36:37], off
	s_or_b32 exec_lo, exec_lo, s16
	s_and_saveexec_b32 s16, s30
	s_cbranch_execnz .LBB712_581
.LBB712_596:                            ;   in Loop: Header=BB712_392 Depth=2
	s_or_b32 exec_lo, exec_lo, s16
	s_and_saveexec_b32 s16, s31
	s_cbranch_execz .LBB712_598
.LBB712_597:                            ;   in Loop: Header=BB712_392 Depth=2
	v_lshlrev_b32_e32 v2, 2, v161
	ds_load_b32 v2, v2
	ds_load_b64 v[36:37], v110 offset:30720
	s_waitcnt lgkmcnt(1)
	v_add_nc_u32_e32 v2, v2, v95
	s_delay_alu instid0(VALU_DEP_1) | instskip(NEXT) | instid1(VALU_DEP_1)
	v_lshlrev_b64 v[38:39], 3, v[2:3]
	v_add_co_u32 v38, vcc_lo, s54, v38
	s_delay_alu instid0(VALU_DEP_2)
	v_add_co_ci_u32_e32 v39, vcc_lo, s55, v39, vcc_lo
	s_waitcnt lgkmcnt(0)
	global_store_b64 v[38:39], v[36:37], off
.LBB712_598:                            ;   in Loop: Header=BB712_392 Depth=2
	s_or_b32 exec_lo, exec_lo, s16
	s_waitcnt_vscnt null, 0x0
	s_barrier
	buffer_gl0_inv
	s_and_saveexec_b32 s16, s2
	s_cbranch_execz .LBB712_391
; %bb.599:                              ;   in Loop: Header=BB712_392 Depth=2
	ds_load_b32 v2, v76
	s_waitcnt lgkmcnt(0)
	v_add_nc_u32_e32 v2, v2, v68
	ds_store_b32 v76, v2
	s_branch .LBB712_391
.LBB712_600:                            ;   in Loop: Header=BB712_12 Depth=1
	s_waitcnt lgkmcnt(0)
	s_barrier
.LBB712_601:                            ;   in Loop: Header=BB712_12 Depth=1
	s_mov_b32 s1, 0
.LBB712_602:                            ;   in Loop: Header=BB712_12 Depth=1
	s_delay_alu instid0(SALU_CYCLE_1)
	s_and_not1_b32 vcc_lo, exec_lo, s1
	s_cbranch_vccnz .LBB712_11
; %bb.603:                              ;   in Loop: Header=BB712_12 Depth=1
	s_lshl_b32 s1, -1, s42
	s_and_b32 vcc_lo, exec_lo, s59
	s_not_b32 s42, s1
	s_mov_b32 s1, -1
	s_cbranch_vccz .LBB712_897
; %bb.604:                              ;   in Loop: Header=BB712_12 Depth=1
	s_mov_b32 s1, s62
	s_mov_b32 s8, s60
	s_barrier
	buffer_gl0_inv
                                        ; implicit-def: $vgpr34_vgpr35
                                        ; implicit-def: $vgpr4_vgpr5
                                        ; implicit-def: $vgpr6_vgpr7
                                        ; implicit-def: $vgpr8_vgpr9
                                        ; implicit-def: $vgpr10_vgpr11
                                        ; implicit-def: $vgpr12_vgpr13
                                        ; implicit-def: $vgpr14_vgpr15
                                        ; implicit-def: $vgpr16_vgpr17
                                        ; implicit-def: $vgpr18_vgpr19
                                        ; implicit-def: $vgpr20_vgpr21
                                        ; implicit-def: $vgpr22_vgpr23
                                        ; implicit-def: $vgpr24_vgpr25
                                        ; implicit-def: $vgpr26_vgpr27
                                        ; implicit-def: $vgpr28_vgpr29
                                        ; implicit-def: $vgpr30_vgpr31
                                        ; implicit-def: $vgpr32_vgpr33
	s_branch .LBB712_606
.LBB712_605:                            ;   in Loop: Header=BB712_606 Depth=2
	s_or_b32 exec_lo, exec_lo, s8
	s_addk_i32 s1, 0xf000
	s_cmp_ge_u32 s7, s61
	s_mov_b32 s8, s7
	s_cbranch_scc1 .LBB712_676
.LBB712_606:                            ;   Parent Loop BB712_12 Depth=1
                                        ; =>  This Inner Loop Header: Depth=2
	s_add_i32 s7, s8, 0x1000
	s_delay_alu instid0(SALU_CYCLE_1)
	s_cmp_gt_u32 s7, s61
	s_cbranch_scc1 .LBB712_609
; %bb.607:                              ;   in Loop: Header=BB712_606 Depth=2
	s_mov_b32 s9, 0
	s_movk_i32 s13, 0x1000
	s_lshl_b64 s[10:11], s[8:9], 3
	s_mov_b32 s12, -1
	v_add_co_u32 v36, vcc_lo, v117, s10
	v_add_co_ci_u32_e32 v37, vcc_lo, s11, v118, vcc_lo
	s_waitcnt vmcnt(12)
	s_delay_alu instid0(VALU_DEP_2) | instskip(NEXT) | instid1(VALU_DEP_2)
	v_add_co_u32 v42, vcc_lo, 0x1000, v36
	v_add_co_ci_u32_e32 v43, vcc_lo, 0, v37, vcc_lo
	s_waitcnt vmcnt(11)
	v_add_co_u32 v44, vcc_lo, 0x2000, v36
	v_add_co_ci_u32_e32 v45, vcc_lo, 0, v37, vcc_lo
	s_waitcnt vmcnt(1)
	v_add_co_u32 v50, vcc_lo, v36, 0x2000
	v_add_co_ci_u32_e32 v51, vcc_lo, 0, v37, vcc_lo
	v_add_co_u32 v52, vcc_lo, v36, 0x4000
	v_add_co_ci_u32_e32 v53, vcc_lo, 0, v37, vcc_lo
	;; [unrolled: 2-line block ×7, first 2 shown]
	s_waitcnt vmcnt(0)
	v_add_co_u32 v66, vcc_lo, 0x7000, v36
	v_add_co_ci_u32_e32 v67, vcc_lo, 0, v37, vcc_lo
	s_clause 0xe
	global_load_b64 v[38:39], v[36:37], off
	global_load_b64 v[40:41], v[36:37], off offset:2048
	global_load_b64 v[42:43], v[42:43], off offset:2048
	;; [unrolled: 1-line block ×3, first 2 shown]
	global_load_b64 v[46:47], v[50:51], off
	global_load_b64 v[48:49], v[52:53], off offset:-4096
	global_load_b64 v[52:53], v[52:53], off
	global_load_b64 v[56:57], v[60:61], off offset:-4096
	global_load_b64 v[60:61], v[60:61], off
	global_load_b64 v[54:55], v[54:55], off offset:2048
	global_load_b64 v[58:59], v[58:59], off offset:2048
	;; [unrolled: 1-line block ×4, first 2 shown]
	global_load_b64 v[50:51], v[50:51], off offset:-4096
	global_load_b64 v[66:67], v[66:67], off
	v_add_co_u32 v36, vcc_lo, 0x7800, v36
	v_add_co_ci_u32_e32 v37, vcc_lo, 0, v37, vcc_lo
	s_cbranch_execz .LBB712_610
; %bb.608:                              ;   in Loop: Header=BB712_606 Depth=2
                                        ; implicit-def: $vgpr32_vgpr33
                                        ; implicit-def: $vgpr30_vgpr31
                                        ; implicit-def: $vgpr28_vgpr29
                                        ; implicit-def: $vgpr26_vgpr27
                                        ; implicit-def: $vgpr24_vgpr25
                                        ; implicit-def: $vgpr22_vgpr23
                                        ; implicit-def: $vgpr20_vgpr21
                                        ; implicit-def: $vgpr18_vgpr19
                                        ; implicit-def: $vgpr16_vgpr17
                                        ; implicit-def: $vgpr14_vgpr15
                                        ; implicit-def: $vgpr12_vgpr13
                                        ; implicit-def: $vgpr10_vgpr11
                                        ; implicit-def: $vgpr8_vgpr9
                                        ; implicit-def: $vgpr6_vgpr7
                                        ; implicit-def: $vgpr4_vgpr5
                                        ; implicit-def: $vgpr34_vgpr35
	v_mov_b32_e32 v2, s1
	s_and_saveexec_b32 s8, s12
	s_cbranch_execnz .LBB712_629
	s_branch .LBB712_630
.LBB712_609:                            ;   in Loop: Header=BB712_606 Depth=2
	s_mov_b32 s12, 0
                                        ; implicit-def: $sgpr13
                                        ; implicit-def: $vgpr38_vgpr39
                                        ; implicit-def: $vgpr40_vgpr41
                                        ; implicit-def: $vgpr50_vgpr51
                                        ; implicit-def: $vgpr42_vgpr43
                                        ; implicit-def: $vgpr46_vgpr47
                                        ; implicit-def: $vgpr44_vgpr45
                                        ; implicit-def: $vgpr48_vgpr49
                                        ; implicit-def: $vgpr54_vgpr55
                                        ; implicit-def: $vgpr52_vgpr53
                                        ; implicit-def: $vgpr58_vgpr59
                                        ; implicit-def: $vgpr56_vgpr57
                                        ; implicit-def: $vgpr62_vgpr63
                                        ; implicit-def: $vgpr60_vgpr61
                                        ; implicit-def: $vgpr64_vgpr65
                                        ; implicit-def: $vgpr66_vgpr67
                                        ; implicit-def: $vgpr36_vgpr37
.LBB712_610:                            ;   in Loop: Header=BB712_606 Depth=2
	s_mov_b32 s9, s34
	s_delay_alu instid0(SALU_CYCLE_1)
	s_lshl_b64 s[10:11], s[8:9], 3
	s_mov_b32 s9, exec_lo
	s_add_u32 s10, s44, s10
	s_addc_u32 s11, s45, s11
	v_cmpx_gt_u32_e64 s1, v1
	s_cbranch_execz .LBB712_662
; %bb.611:                              ;   in Loop: Header=BB712_606 Depth=2
	global_load_b64 v[32:33], v124, s[10:11]
	s_or_b32 exec_lo, exec_lo, s9
	s_delay_alu instid0(SALU_CYCLE_1)
	s_mov_b32 s9, exec_lo
	v_cmpx_gt_u32_e64 s1, v77
	s_cbranch_execnz .LBB712_663
.LBB712_612:                            ;   in Loop: Header=BB712_606 Depth=2
	s_or_b32 exec_lo, exec_lo, s9
	s_delay_alu instid0(SALU_CYCLE_1)
	s_mov_b32 s9, exec_lo
	v_cmpx_gt_u32_e64 s1, v78
	s_cbranch_execz .LBB712_664
.LBB712_613:                            ;   in Loop: Header=BB712_606 Depth=2
	global_load_b64 v[28:29], v125, s[10:11]
	s_or_b32 exec_lo, exec_lo, s9
	s_delay_alu instid0(SALU_CYCLE_1)
	s_mov_b32 s9, exec_lo
	v_cmpx_gt_u32_e64 s1, v79
	s_cbranch_execnz .LBB712_665
.LBB712_614:                            ;   in Loop: Header=BB712_606 Depth=2
	s_or_b32 exec_lo, exec_lo, s9
	s_delay_alu instid0(SALU_CYCLE_1)
	s_mov_b32 s9, exec_lo
	v_cmpx_gt_u32_e64 s1, v83
	s_cbranch_execz .LBB712_666
.LBB712_615:                            ;   in Loop: Header=BB712_606 Depth=2
	global_load_b64 v[24:25], v127, s[10:11]
	s_or_b32 exec_lo, exec_lo, s9
	s_delay_alu instid0(SALU_CYCLE_1)
	s_mov_b32 s9, exec_lo
	v_cmpx_gt_u32_e64 s1, v84
	s_cbranch_execnz .LBB712_667
.LBB712_616:                            ;   in Loop: Header=BB712_606 Depth=2
	s_or_b32 exec_lo, exec_lo, s9
	s_delay_alu instid0(SALU_CYCLE_1)
	s_mov_b32 s9, exec_lo
	v_cmpx_gt_u32_e64 s1, v85
	s_cbranch_execz .LBB712_668
.LBB712_617:                            ;   in Loop: Header=BB712_606 Depth=2
	global_load_b64 v[20:21], v129, s[10:11]
	s_or_b32 exec_lo, exec_lo, s9
	s_delay_alu instid0(SALU_CYCLE_1)
	s_mov_b32 s9, exec_lo
	v_cmpx_gt_u32_e64 s1, v86
	s_cbranch_execnz .LBB712_669
.LBB712_618:                            ;   in Loop: Header=BB712_606 Depth=2
	s_or_b32 exec_lo, exec_lo, s9
	s_delay_alu instid0(SALU_CYCLE_1)
	s_mov_b32 s9, exec_lo
	v_cmpx_gt_u32_e64 s1, v87
	s_cbranch_execz .LBB712_670
.LBB712_619:                            ;   in Loop: Header=BB712_606 Depth=2
	global_load_b64 v[16:17], v131, s[10:11]
	s_or_b32 exec_lo, exec_lo, s9
	s_delay_alu instid0(SALU_CYCLE_1)
	s_mov_b32 s9, exec_lo
	v_cmpx_gt_u32_e64 s1, v88
	s_cbranch_execnz .LBB712_671
.LBB712_620:                            ;   in Loop: Header=BB712_606 Depth=2
	s_or_b32 exec_lo, exec_lo, s9
	s_delay_alu instid0(SALU_CYCLE_1)
	s_mov_b32 s9, exec_lo
	v_cmpx_gt_u32_e64 s1, v89
	s_cbranch_execz .LBB712_672
.LBB712_621:                            ;   in Loop: Header=BB712_606 Depth=2
	global_load_b64 v[12:13], v133, s[10:11]
	s_or_b32 exec_lo, exec_lo, s9
	s_delay_alu instid0(SALU_CYCLE_1)
	s_mov_b32 s9, exec_lo
	v_cmpx_gt_u32_e64 s1, v90
	s_cbranch_execnz .LBB712_673
.LBB712_622:                            ;   in Loop: Header=BB712_606 Depth=2
	s_or_b32 exec_lo, exec_lo, s9
	s_delay_alu instid0(SALU_CYCLE_1)
	s_mov_b32 s9, exec_lo
	v_cmpx_gt_u32_e64 s1, v91
	s_cbranch_execz .LBB712_674
.LBB712_623:                            ;   in Loop: Header=BB712_606 Depth=2
	global_load_b64 v[8:9], v135, s[10:11]
	s_or_b32 exec_lo, exec_lo, s9
	s_delay_alu instid0(SALU_CYCLE_1)
	s_mov_b32 s9, exec_lo
	v_cmpx_gt_u32_e64 s1, v92
	s_cbranch_execnz .LBB712_675
.LBB712_624:                            ;   in Loop: Header=BB712_606 Depth=2
	s_or_b32 exec_lo, exec_lo, s9
	s_delay_alu instid0(SALU_CYCLE_1)
	s_mov_b32 s9, exec_lo
	v_cmpx_gt_u32_e64 s1, v93
	s_cbranch_execz .LBB712_626
.LBB712_625:                            ;   in Loop: Header=BB712_606 Depth=2
	v_lshlrev_b32_e32 v2, 3, v93
	global_load_b64 v[4:5], v2, s[10:11]
.LBB712_626:                            ;   in Loop: Header=BB712_606 Depth=2
	s_or_b32 exec_lo, exec_lo, s9
	s_delay_alu instid0(SALU_CYCLE_1)
	s_mov_b32 s9, exec_lo
                                        ; implicit-def: $sgpr13
                                        ; implicit-def: $vgpr36_vgpr37
	v_cmpx_gt_u32_e64 s1, v95
; %bb.627:                              ;   in Loop: Header=BB712_606 Depth=2
	v_lshlrev_b32_e32 v2, 3, v95
	s_sub_i32 s13, s61, s8
	s_or_b32 s12, s12, exec_lo
                                        ; implicit-def: $vgpr34_vgpr35
	s_delay_alu instid0(VALU_DEP_1) | instskip(NEXT) | instid1(VALU_DEP_1)
	v_add_co_u32 v36, s10, s10, v2
	v_add_co_ci_u32_e64 v37, null, s11, 0, s10
; %bb.628:                              ;   in Loop: Header=BB712_606 Depth=2
	s_or_b32 exec_lo, exec_lo, s9
	s_waitcnt vmcnt(0)
	v_dual_mov_b32 v39, v33 :: v_dual_mov_b32 v38, v32
	v_dual_mov_b32 v41, v31 :: v_dual_mov_b32 v40, v30
	;; [unrolled: 1-line block ×15, first 2 shown]
	v_mov_b32_e32 v2, s1
	s_and_saveexec_b32 s8, s12
	s_cbranch_execz .LBB712_630
.LBB712_629:                            ;   in Loop: Header=BB712_606 Depth=2
	global_load_b64 v[34:35], v[36:37], off
	s_waitcnt vmcnt(1)
	v_mov_b32_e32 v4, v66
	v_mov_b32_e32 v6, v64
	;; [unrolled: 1-line block ×14, first 2 shown]
	v_dual_mov_b32 v32, v38 :: v_dual_mov_b32 v33, v39
	v_dual_mov_b32 v2, s13 :: v_dual_mov_b32 v5, v67
	v_mov_b32_e32 v7, v65
	v_mov_b32_e32 v9, v61
	;; [unrolled: 1-line block ×13, first 2 shown]
.LBB712_630:                            ;   in Loop: Header=BB712_606 Depth=2
	s_or_b32 exec_lo, exec_lo, s8
	s_delay_alu instid0(SALU_CYCLE_1)
	s_mov_b32 s8, exec_lo
	v_cmpx_lt_u32_e64 v1, v2
	s_cbranch_execz .LBB712_646
; %bb.631:                              ;   in Loop: Header=BB712_606 Depth=2
	v_xor_b32_e32 v37, 0x7fffffff, v33
	v_not_b32_e32 v36, v32
	s_delay_alu instid0(VALU_DEP_1) | instskip(SKIP_1) | instid1(VALU_DEP_2)
	v_lshrrev_b64 v[36:37], s40, v[36:37]
	v_lshlrev_b32_e32 v37, 2, v80
	v_and_b32_e32 v36, s42, v36
	s_delay_alu instid0(VALU_DEP_1) | instskip(SKIP_2) | instid1(SALU_CYCLE_1)
	v_lshl_or_b32 v36, v36, 4, v37
	ds_add_u32 v36, v123
	s_or_b32 exec_lo, exec_lo, s8
	s_mov_b32 s8, exec_lo
	v_cmpx_lt_u32_e64 v77, v2
	s_cbranch_execnz .LBB712_647
.LBB712_632:                            ;   in Loop: Header=BB712_606 Depth=2
	s_or_b32 exec_lo, exec_lo, s8
	s_delay_alu instid0(SALU_CYCLE_1)
	s_mov_b32 s8, exec_lo
	v_cmpx_lt_u32_e64 v78, v2
	s_cbranch_execz .LBB712_648
.LBB712_633:                            ;   in Loop: Header=BB712_606 Depth=2
	v_xor_b32_e32 v37, 0x7fffffff, v29
	v_not_b32_e32 v36, v28
	s_delay_alu instid0(VALU_DEP_1) | instskip(SKIP_1) | instid1(VALU_DEP_2)
	v_lshrrev_b64 v[36:37], s40, v[36:37]
	v_lshlrev_b32_e32 v37, 2, v80
	v_and_b32_e32 v36, s42, v36
	s_delay_alu instid0(VALU_DEP_1) | instskip(SKIP_2) | instid1(SALU_CYCLE_1)
	v_lshl_or_b32 v36, v36, 4, v37
	ds_add_u32 v36, v123
	s_or_b32 exec_lo, exec_lo, s8
	s_mov_b32 s8, exec_lo
	v_cmpx_lt_u32_e64 v79, v2
	s_cbranch_execnz .LBB712_649
.LBB712_634:                            ;   in Loop: Header=BB712_606 Depth=2
	s_or_b32 exec_lo, exec_lo, s8
	s_delay_alu instid0(SALU_CYCLE_1)
	s_mov_b32 s8, exec_lo
	v_cmpx_lt_u32_e64 v83, v2
	s_cbranch_execz .LBB712_650
.LBB712_635:                            ;   in Loop: Header=BB712_606 Depth=2
	v_xor_b32_e32 v37, 0x7fffffff, v25
	v_not_b32_e32 v36, v24
	s_delay_alu instid0(VALU_DEP_1) | instskip(SKIP_1) | instid1(VALU_DEP_2)
	v_lshrrev_b64 v[36:37], s40, v[36:37]
	v_lshlrev_b32_e32 v37, 2, v80
	v_and_b32_e32 v36, s42, v36
	s_delay_alu instid0(VALU_DEP_1) | instskip(SKIP_2) | instid1(SALU_CYCLE_1)
	v_lshl_or_b32 v36, v36, 4, v37
	ds_add_u32 v36, v123
	s_or_b32 exec_lo, exec_lo, s8
	s_mov_b32 s8, exec_lo
	v_cmpx_lt_u32_e64 v84, v2
	s_cbranch_execnz .LBB712_651
.LBB712_636:                            ;   in Loop: Header=BB712_606 Depth=2
	s_or_b32 exec_lo, exec_lo, s8
	s_delay_alu instid0(SALU_CYCLE_1)
	s_mov_b32 s8, exec_lo
	v_cmpx_lt_u32_e64 v85, v2
	s_cbranch_execz .LBB712_652
.LBB712_637:                            ;   in Loop: Header=BB712_606 Depth=2
	v_xor_b32_e32 v37, 0x7fffffff, v21
	v_not_b32_e32 v36, v20
	s_delay_alu instid0(VALU_DEP_1) | instskip(SKIP_1) | instid1(VALU_DEP_2)
	v_lshrrev_b64 v[36:37], s40, v[36:37]
	v_lshlrev_b32_e32 v37, 2, v80
	v_and_b32_e32 v36, s42, v36
	s_delay_alu instid0(VALU_DEP_1) | instskip(SKIP_2) | instid1(SALU_CYCLE_1)
	v_lshl_or_b32 v36, v36, 4, v37
	ds_add_u32 v36, v123
	s_or_b32 exec_lo, exec_lo, s8
	s_mov_b32 s8, exec_lo
	v_cmpx_lt_u32_e64 v86, v2
	s_cbranch_execnz .LBB712_653
.LBB712_638:                            ;   in Loop: Header=BB712_606 Depth=2
	s_or_b32 exec_lo, exec_lo, s8
	s_delay_alu instid0(SALU_CYCLE_1)
	s_mov_b32 s8, exec_lo
	v_cmpx_lt_u32_e64 v87, v2
	s_cbranch_execz .LBB712_654
.LBB712_639:                            ;   in Loop: Header=BB712_606 Depth=2
	v_xor_b32_e32 v37, 0x7fffffff, v17
	v_not_b32_e32 v36, v16
	s_delay_alu instid0(VALU_DEP_1) | instskip(SKIP_1) | instid1(VALU_DEP_2)
	v_lshrrev_b64 v[36:37], s40, v[36:37]
	v_lshlrev_b32_e32 v37, 2, v80
	v_and_b32_e32 v36, s42, v36
	s_delay_alu instid0(VALU_DEP_1) | instskip(SKIP_2) | instid1(SALU_CYCLE_1)
	v_lshl_or_b32 v36, v36, 4, v37
	ds_add_u32 v36, v123
	s_or_b32 exec_lo, exec_lo, s8
	s_mov_b32 s8, exec_lo
	v_cmpx_lt_u32_e64 v88, v2
	s_cbranch_execnz .LBB712_655
.LBB712_640:                            ;   in Loop: Header=BB712_606 Depth=2
	s_or_b32 exec_lo, exec_lo, s8
	s_delay_alu instid0(SALU_CYCLE_1)
	s_mov_b32 s8, exec_lo
	v_cmpx_lt_u32_e64 v89, v2
	s_cbranch_execz .LBB712_656
.LBB712_641:                            ;   in Loop: Header=BB712_606 Depth=2
	v_xor_b32_e32 v37, 0x7fffffff, v13
	v_not_b32_e32 v36, v12
	s_delay_alu instid0(VALU_DEP_1) | instskip(SKIP_1) | instid1(VALU_DEP_2)
	v_lshrrev_b64 v[36:37], s40, v[36:37]
	v_lshlrev_b32_e32 v37, 2, v80
	v_and_b32_e32 v36, s42, v36
	s_delay_alu instid0(VALU_DEP_1) | instskip(SKIP_2) | instid1(SALU_CYCLE_1)
	v_lshl_or_b32 v36, v36, 4, v37
	ds_add_u32 v36, v123
	s_or_b32 exec_lo, exec_lo, s8
	s_mov_b32 s8, exec_lo
	v_cmpx_lt_u32_e64 v90, v2
	s_cbranch_execnz .LBB712_657
.LBB712_642:                            ;   in Loop: Header=BB712_606 Depth=2
	s_or_b32 exec_lo, exec_lo, s8
	s_delay_alu instid0(SALU_CYCLE_1)
	s_mov_b32 s8, exec_lo
	v_cmpx_lt_u32_e64 v91, v2
	s_cbranch_execz .LBB712_658
.LBB712_643:                            ;   in Loop: Header=BB712_606 Depth=2
	v_xor_b32_e32 v37, 0x7fffffff, v9
	v_not_b32_e32 v36, v8
	s_delay_alu instid0(VALU_DEP_1) | instskip(SKIP_1) | instid1(VALU_DEP_2)
	v_lshrrev_b64 v[36:37], s40, v[36:37]
	v_lshlrev_b32_e32 v37, 2, v80
	v_and_b32_e32 v36, s42, v36
	s_delay_alu instid0(VALU_DEP_1) | instskip(SKIP_2) | instid1(SALU_CYCLE_1)
	v_lshl_or_b32 v36, v36, 4, v37
	ds_add_u32 v36, v123
	s_or_b32 exec_lo, exec_lo, s8
	s_mov_b32 s8, exec_lo
	v_cmpx_lt_u32_e64 v92, v2
	s_cbranch_execnz .LBB712_659
.LBB712_644:                            ;   in Loop: Header=BB712_606 Depth=2
	s_or_b32 exec_lo, exec_lo, s8
	s_delay_alu instid0(SALU_CYCLE_1)
	s_mov_b32 s8, exec_lo
	v_cmpx_lt_u32_e64 v93, v2
	s_cbranch_execz .LBB712_660
.LBB712_645:                            ;   in Loop: Header=BB712_606 Depth=2
	v_xor_b32_e32 v37, 0x7fffffff, v5
	v_not_b32_e32 v36, v4
	s_delay_alu instid0(VALU_DEP_1) | instskip(SKIP_1) | instid1(VALU_DEP_2)
	v_lshrrev_b64 v[36:37], s40, v[36:37]
	v_lshlrev_b32_e32 v37, 2, v80
	v_and_b32_e32 v36, s42, v36
	s_delay_alu instid0(VALU_DEP_1) | instskip(SKIP_2) | instid1(SALU_CYCLE_1)
	v_lshl_or_b32 v36, v36, 4, v37
	ds_add_u32 v36, v123
	s_or_b32 exec_lo, exec_lo, s8
	s_mov_b32 s8, exec_lo
	v_cmpx_lt_u32_e64 v95, v2
	s_cbranch_execz .LBB712_605
	s_branch .LBB712_661
.LBB712_646:                            ;   in Loop: Header=BB712_606 Depth=2
	s_or_b32 exec_lo, exec_lo, s8
	s_delay_alu instid0(SALU_CYCLE_1)
	s_mov_b32 s8, exec_lo
	v_cmpx_lt_u32_e64 v77, v2
	s_cbranch_execz .LBB712_632
.LBB712_647:                            ;   in Loop: Header=BB712_606 Depth=2
	v_xor_b32_e32 v37, 0x7fffffff, v31
	v_not_b32_e32 v36, v30
	s_delay_alu instid0(VALU_DEP_1) | instskip(SKIP_1) | instid1(VALU_DEP_2)
	v_lshrrev_b64 v[36:37], s40, v[36:37]
	v_lshlrev_b32_e32 v37, 2, v80
	v_and_b32_e32 v36, s42, v36
	s_delay_alu instid0(VALU_DEP_1) | instskip(SKIP_2) | instid1(SALU_CYCLE_1)
	v_lshl_or_b32 v36, v36, 4, v37
	ds_add_u32 v36, v123
	s_or_b32 exec_lo, exec_lo, s8
	s_mov_b32 s8, exec_lo
	v_cmpx_lt_u32_e64 v78, v2
	s_cbranch_execnz .LBB712_633
.LBB712_648:                            ;   in Loop: Header=BB712_606 Depth=2
	s_or_b32 exec_lo, exec_lo, s8
	s_delay_alu instid0(SALU_CYCLE_1)
	s_mov_b32 s8, exec_lo
	v_cmpx_lt_u32_e64 v79, v2
	s_cbranch_execz .LBB712_634
.LBB712_649:                            ;   in Loop: Header=BB712_606 Depth=2
	v_xor_b32_e32 v37, 0x7fffffff, v27
	v_not_b32_e32 v36, v26
	s_delay_alu instid0(VALU_DEP_1) | instskip(SKIP_1) | instid1(VALU_DEP_2)
	v_lshrrev_b64 v[36:37], s40, v[36:37]
	v_lshlrev_b32_e32 v37, 2, v80
	v_and_b32_e32 v36, s42, v36
	s_delay_alu instid0(VALU_DEP_1) | instskip(SKIP_2) | instid1(SALU_CYCLE_1)
	v_lshl_or_b32 v36, v36, 4, v37
	ds_add_u32 v36, v123
	s_or_b32 exec_lo, exec_lo, s8
	s_mov_b32 s8, exec_lo
	v_cmpx_lt_u32_e64 v83, v2
	s_cbranch_execnz .LBB712_635
.LBB712_650:                            ;   in Loop: Header=BB712_606 Depth=2
	s_or_b32 exec_lo, exec_lo, s8
	s_delay_alu instid0(SALU_CYCLE_1)
	s_mov_b32 s8, exec_lo
	v_cmpx_lt_u32_e64 v84, v2
	s_cbranch_execz .LBB712_636
.LBB712_651:                            ;   in Loop: Header=BB712_606 Depth=2
	v_xor_b32_e32 v37, 0x7fffffff, v23
	v_not_b32_e32 v36, v22
	s_delay_alu instid0(VALU_DEP_1) | instskip(SKIP_1) | instid1(VALU_DEP_2)
	v_lshrrev_b64 v[36:37], s40, v[36:37]
	v_lshlrev_b32_e32 v37, 2, v80
	v_and_b32_e32 v36, s42, v36
	s_delay_alu instid0(VALU_DEP_1) | instskip(SKIP_2) | instid1(SALU_CYCLE_1)
	v_lshl_or_b32 v36, v36, 4, v37
	ds_add_u32 v36, v123
	s_or_b32 exec_lo, exec_lo, s8
	s_mov_b32 s8, exec_lo
	v_cmpx_lt_u32_e64 v85, v2
	s_cbranch_execnz .LBB712_637
.LBB712_652:                            ;   in Loop: Header=BB712_606 Depth=2
	s_or_b32 exec_lo, exec_lo, s8
	s_delay_alu instid0(SALU_CYCLE_1)
	s_mov_b32 s8, exec_lo
	v_cmpx_lt_u32_e64 v86, v2
	s_cbranch_execz .LBB712_638
.LBB712_653:                            ;   in Loop: Header=BB712_606 Depth=2
	v_xor_b32_e32 v37, 0x7fffffff, v19
	v_not_b32_e32 v36, v18
	s_delay_alu instid0(VALU_DEP_1) | instskip(SKIP_1) | instid1(VALU_DEP_2)
	v_lshrrev_b64 v[36:37], s40, v[36:37]
	v_lshlrev_b32_e32 v37, 2, v80
	v_and_b32_e32 v36, s42, v36
	s_delay_alu instid0(VALU_DEP_1) | instskip(SKIP_2) | instid1(SALU_CYCLE_1)
	v_lshl_or_b32 v36, v36, 4, v37
	ds_add_u32 v36, v123
	s_or_b32 exec_lo, exec_lo, s8
	s_mov_b32 s8, exec_lo
	v_cmpx_lt_u32_e64 v87, v2
	s_cbranch_execnz .LBB712_639
.LBB712_654:                            ;   in Loop: Header=BB712_606 Depth=2
	s_or_b32 exec_lo, exec_lo, s8
	s_delay_alu instid0(SALU_CYCLE_1)
	s_mov_b32 s8, exec_lo
	v_cmpx_lt_u32_e64 v88, v2
	s_cbranch_execz .LBB712_640
.LBB712_655:                            ;   in Loop: Header=BB712_606 Depth=2
	v_xor_b32_e32 v37, 0x7fffffff, v15
	v_not_b32_e32 v36, v14
	s_delay_alu instid0(VALU_DEP_1) | instskip(SKIP_1) | instid1(VALU_DEP_2)
	v_lshrrev_b64 v[36:37], s40, v[36:37]
	v_lshlrev_b32_e32 v37, 2, v80
	v_and_b32_e32 v36, s42, v36
	s_delay_alu instid0(VALU_DEP_1) | instskip(SKIP_2) | instid1(SALU_CYCLE_1)
	v_lshl_or_b32 v36, v36, 4, v37
	ds_add_u32 v36, v123
	s_or_b32 exec_lo, exec_lo, s8
	s_mov_b32 s8, exec_lo
	v_cmpx_lt_u32_e64 v89, v2
	s_cbranch_execnz .LBB712_641
.LBB712_656:                            ;   in Loop: Header=BB712_606 Depth=2
	s_or_b32 exec_lo, exec_lo, s8
	s_delay_alu instid0(SALU_CYCLE_1)
	s_mov_b32 s8, exec_lo
	v_cmpx_lt_u32_e64 v90, v2
	s_cbranch_execz .LBB712_642
.LBB712_657:                            ;   in Loop: Header=BB712_606 Depth=2
	v_xor_b32_e32 v37, 0x7fffffff, v11
	v_not_b32_e32 v36, v10
	s_delay_alu instid0(VALU_DEP_1) | instskip(SKIP_1) | instid1(VALU_DEP_2)
	v_lshrrev_b64 v[36:37], s40, v[36:37]
	v_lshlrev_b32_e32 v37, 2, v80
	v_and_b32_e32 v36, s42, v36
	s_delay_alu instid0(VALU_DEP_1) | instskip(SKIP_2) | instid1(SALU_CYCLE_1)
	v_lshl_or_b32 v36, v36, 4, v37
	ds_add_u32 v36, v123
	s_or_b32 exec_lo, exec_lo, s8
	s_mov_b32 s8, exec_lo
	v_cmpx_lt_u32_e64 v91, v2
	s_cbranch_execnz .LBB712_643
.LBB712_658:                            ;   in Loop: Header=BB712_606 Depth=2
	s_or_b32 exec_lo, exec_lo, s8
	s_delay_alu instid0(SALU_CYCLE_1)
	s_mov_b32 s8, exec_lo
	v_cmpx_lt_u32_e64 v92, v2
	s_cbranch_execz .LBB712_644
.LBB712_659:                            ;   in Loop: Header=BB712_606 Depth=2
	v_xor_b32_e32 v37, 0x7fffffff, v7
	v_not_b32_e32 v36, v6
	s_delay_alu instid0(VALU_DEP_1) | instskip(SKIP_1) | instid1(VALU_DEP_2)
	v_lshrrev_b64 v[36:37], s40, v[36:37]
	v_lshlrev_b32_e32 v37, 2, v80
	v_and_b32_e32 v36, s42, v36
	s_delay_alu instid0(VALU_DEP_1) | instskip(SKIP_2) | instid1(SALU_CYCLE_1)
	v_lshl_or_b32 v36, v36, 4, v37
	ds_add_u32 v36, v123
	s_or_b32 exec_lo, exec_lo, s8
	s_mov_b32 s8, exec_lo
	v_cmpx_lt_u32_e64 v93, v2
	s_cbranch_execnz .LBB712_645
.LBB712_660:                            ;   in Loop: Header=BB712_606 Depth=2
	s_or_b32 exec_lo, exec_lo, s8
	s_delay_alu instid0(SALU_CYCLE_1)
	s_mov_b32 s8, exec_lo
	v_cmpx_lt_u32_e64 v95, v2
	s_cbranch_execz .LBB712_605
.LBB712_661:                            ;   in Loop: Header=BB712_606 Depth=2
	s_waitcnt vmcnt(0)
	v_xor_b32_e32 v37, 0x7fffffff, v35
	v_not_b32_e32 v36, v34
	s_delay_alu instid0(VALU_DEP_1) | instskip(NEXT) | instid1(VALU_DEP_1)
	v_lshrrev_b64 v[36:37], s40, v[36:37]
	v_and_b32_e32 v2, s42, v36
	v_lshlrev_b32_e32 v36, 2, v80
	s_delay_alu instid0(VALU_DEP_1)
	v_lshl_or_b32 v2, v2, 4, v36
	ds_add_u32 v2, v123
	s_branch .LBB712_605
.LBB712_662:                            ;   in Loop: Header=BB712_606 Depth=2
	s_or_b32 exec_lo, exec_lo, s9
	s_delay_alu instid0(SALU_CYCLE_1)
	s_mov_b32 s9, exec_lo
	v_cmpx_gt_u32_e64 s1, v77
	s_cbranch_execz .LBB712_612
.LBB712_663:                            ;   in Loop: Header=BB712_606 Depth=2
	global_load_b64 v[30:31], v124, s[10:11] offset:2048
	s_or_b32 exec_lo, exec_lo, s9
	s_delay_alu instid0(SALU_CYCLE_1)
	s_mov_b32 s9, exec_lo
	v_cmpx_gt_u32_e64 s1, v78
	s_cbranch_execnz .LBB712_613
.LBB712_664:                            ;   in Loop: Header=BB712_606 Depth=2
	s_or_b32 exec_lo, exec_lo, s9
	s_delay_alu instid0(SALU_CYCLE_1)
	s_mov_b32 s9, exec_lo
	v_cmpx_gt_u32_e64 s1, v79
	s_cbranch_execz .LBB712_614
.LBB712_665:                            ;   in Loop: Header=BB712_606 Depth=2
	global_load_b64 v[26:27], v126, s[10:11]
	s_or_b32 exec_lo, exec_lo, s9
	s_delay_alu instid0(SALU_CYCLE_1)
	s_mov_b32 s9, exec_lo
	v_cmpx_gt_u32_e64 s1, v83
	s_cbranch_execnz .LBB712_615
.LBB712_666:                            ;   in Loop: Header=BB712_606 Depth=2
	s_or_b32 exec_lo, exec_lo, s9
	s_delay_alu instid0(SALU_CYCLE_1)
	s_mov_b32 s9, exec_lo
	v_cmpx_gt_u32_e64 s1, v84
	s_cbranch_execz .LBB712_616
.LBB712_667:                            ;   in Loop: Header=BB712_606 Depth=2
	global_load_b64 v[22:23], v128, s[10:11]
	s_or_b32 exec_lo, exec_lo, s9
	s_delay_alu instid0(SALU_CYCLE_1)
	s_mov_b32 s9, exec_lo
	v_cmpx_gt_u32_e64 s1, v85
	s_cbranch_execnz .LBB712_617
.LBB712_668:                            ;   in Loop: Header=BB712_606 Depth=2
	s_or_b32 exec_lo, exec_lo, s9
	s_delay_alu instid0(SALU_CYCLE_1)
	s_mov_b32 s9, exec_lo
	v_cmpx_gt_u32_e64 s1, v86
	s_cbranch_execz .LBB712_618
.LBB712_669:                            ;   in Loop: Header=BB712_606 Depth=2
	global_load_b64 v[18:19], v130, s[10:11]
	s_or_b32 exec_lo, exec_lo, s9
	s_delay_alu instid0(SALU_CYCLE_1)
	s_mov_b32 s9, exec_lo
	v_cmpx_gt_u32_e64 s1, v87
	s_cbranch_execnz .LBB712_619
.LBB712_670:                            ;   in Loop: Header=BB712_606 Depth=2
	s_or_b32 exec_lo, exec_lo, s9
	s_delay_alu instid0(SALU_CYCLE_1)
	s_mov_b32 s9, exec_lo
	v_cmpx_gt_u32_e64 s1, v88
	s_cbranch_execz .LBB712_620
.LBB712_671:                            ;   in Loop: Header=BB712_606 Depth=2
	global_load_b64 v[14:15], v132, s[10:11]
	s_or_b32 exec_lo, exec_lo, s9
	s_delay_alu instid0(SALU_CYCLE_1)
	s_mov_b32 s9, exec_lo
	v_cmpx_gt_u32_e64 s1, v89
	s_cbranch_execnz .LBB712_621
.LBB712_672:                            ;   in Loop: Header=BB712_606 Depth=2
	s_or_b32 exec_lo, exec_lo, s9
	s_delay_alu instid0(SALU_CYCLE_1)
	s_mov_b32 s9, exec_lo
	v_cmpx_gt_u32_e64 s1, v90
	s_cbranch_execz .LBB712_622
.LBB712_673:                            ;   in Loop: Header=BB712_606 Depth=2
	global_load_b64 v[10:11], v134, s[10:11]
	s_or_b32 exec_lo, exec_lo, s9
	s_delay_alu instid0(SALU_CYCLE_1)
	s_mov_b32 s9, exec_lo
	v_cmpx_gt_u32_e64 s1, v91
	s_cbranch_execnz .LBB712_623
.LBB712_674:                            ;   in Loop: Header=BB712_606 Depth=2
	s_or_b32 exec_lo, exec_lo, s9
	s_delay_alu instid0(SALU_CYCLE_1)
	s_mov_b32 s9, exec_lo
	v_cmpx_gt_u32_e64 s1, v92
	s_cbranch_execz .LBB712_624
.LBB712_675:                            ;   in Loop: Header=BB712_606 Depth=2
	v_lshlrev_b32_e32 v2, 3, v92
	global_load_b64 v[6:7], v2, s[10:11]
	s_or_b32 exec_lo, exec_lo, s9
	s_delay_alu instid0(SALU_CYCLE_1)
	s_mov_b32 s9, exec_lo
	v_cmpx_gt_u32_e64 s1, v93
	s_cbranch_execz .LBB712_626
	s_branch .LBB712_625
.LBB712_676:                            ;   in Loop: Header=BB712_12 Depth=1
	v_mov_b32_e32 v2, 0
	s_waitcnt vmcnt(0) lgkmcnt(0)
	s_barrier
	buffer_gl0_inv
	s_and_saveexec_b32 s1, s2
	s_cbranch_execz .LBB712_678
; %bb.677:                              ;   in Loop: Header=BB712_12 Depth=1
	ds_load_2addr_b64 v[4:7], v96 offset1:1
	s_waitcnt lgkmcnt(0)
	v_add_nc_u32_e32 v2, v5, v4
	s_delay_alu instid0(VALU_DEP_1)
	v_add3_u32 v2, v2, v6, v7
.LBB712_678:                            ;   in Loop: Header=BB712_12 Depth=1
	s_or_b32 exec_lo, exec_lo, s1
	v_and_b32_e32 v4, 15, v136
	s_delay_alu instid0(VALU_DEP_2) | instskip(SKIP_1) | instid1(VALU_DEP_3)
	v_mov_b32_dpp v5, v2 row_shr:1 row_mask:0xf bank_mask:0xf
	v_and_b32_e32 v6, 16, v136
	v_cmp_eq_u32_e64 s1, 0, v4
	v_cmp_lt_u32_e64 s7, 1, v4
	v_cmp_lt_u32_e64 s8, 3, v4
	;; [unrolled: 1-line block ×3, first 2 shown]
	v_cmp_eq_u32_e64 s10, 0, v6
	v_cndmask_b32_e64 v5, v5, 0, s1
	s_delay_alu instid0(VALU_DEP_1) | instskip(NEXT) | instid1(VALU_DEP_1)
	v_add_nc_u32_e32 v2, v5, v2
	v_mov_b32_dpp v5, v2 row_shr:2 row_mask:0xf bank_mask:0xf
	s_delay_alu instid0(VALU_DEP_1) | instskip(NEXT) | instid1(VALU_DEP_1)
	v_cndmask_b32_e64 v5, 0, v5, s7
	v_add_nc_u32_e32 v2, v2, v5
	s_delay_alu instid0(VALU_DEP_1) | instskip(NEXT) | instid1(VALU_DEP_1)
	v_mov_b32_dpp v5, v2 row_shr:4 row_mask:0xf bank_mask:0xf
	v_cndmask_b32_e64 v5, 0, v5, s8
	s_delay_alu instid0(VALU_DEP_1) | instskip(NEXT) | instid1(VALU_DEP_1)
	v_add_nc_u32_e32 v2, v2, v5
	v_mov_b32_dpp v5, v2 row_shr:8 row_mask:0xf bank_mask:0xf
	s_delay_alu instid0(VALU_DEP_1) | instskip(SKIP_1) | instid1(VALU_DEP_2)
	v_cndmask_b32_e64 v4, 0, v5, s9
	v_bfe_i32 v5, v136, 4, 1
	v_add_nc_u32_e32 v2, v2, v4
	ds_swizzle_b32 v4, v2 offset:swizzle(BROADCAST,32,15)
	s_waitcnt lgkmcnt(0)
	v_and_b32_e32 v4, v5, v4
	s_delay_alu instid0(VALU_DEP_1)
	v_add_nc_u32_e32 v4, v2, v4
	s_and_saveexec_b32 s11, s3
	s_cbranch_execz .LBB712_680
; %bb.679:                              ;   in Loop: Header=BB712_12 Depth=1
	ds_store_b32 v97, v4
.LBB712_680:                            ;   in Loop: Header=BB712_12 Depth=1
	s_or_b32 exec_lo, exec_lo, s11
	v_and_b32_e32 v2, 7, v136
	s_waitcnt lgkmcnt(0)
	s_barrier
	buffer_gl0_inv
	s_and_saveexec_b32 s11, s4
	s_cbranch_execz .LBB712_682
; %bb.681:                              ;   in Loop: Header=BB712_12 Depth=1
	ds_load_b32 v5, v98
	v_cmp_ne_u32_e32 vcc_lo, 0, v2
	s_waitcnt lgkmcnt(0)
	v_mov_b32_dpp v6, v5 row_shr:1 row_mask:0xf bank_mask:0xf
	s_delay_alu instid0(VALU_DEP_1) | instskip(SKIP_1) | instid1(VALU_DEP_2)
	v_cndmask_b32_e32 v6, 0, v6, vcc_lo
	v_cmp_lt_u32_e32 vcc_lo, 1, v2
	v_add_nc_u32_e32 v5, v6, v5
	s_delay_alu instid0(VALU_DEP_1) | instskip(NEXT) | instid1(VALU_DEP_1)
	v_mov_b32_dpp v6, v5 row_shr:2 row_mask:0xf bank_mask:0xf
	v_cndmask_b32_e32 v6, 0, v6, vcc_lo
	v_cmp_lt_u32_e32 vcc_lo, 3, v2
	s_delay_alu instid0(VALU_DEP_2) | instskip(NEXT) | instid1(VALU_DEP_1)
	v_add_nc_u32_e32 v5, v5, v6
	v_mov_b32_dpp v6, v5 row_shr:4 row_mask:0xf bank_mask:0xf
	s_delay_alu instid0(VALU_DEP_1) | instskip(NEXT) | instid1(VALU_DEP_1)
	v_cndmask_b32_e32 v6, 0, v6, vcc_lo
	v_add_nc_u32_e32 v5, v5, v6
	ds_store_b32 v98, v5
.LBB712_682:                            ;   in Loop: Header=BB712_12 Depth=1
	s_or_b32 exec_lo, exec_lo, s11
	v_mov_b32_e32 v5, 0
	s_waitcnt lgkmcnt(0)
	s_barrier
	buffer_gl0_inv
	s_and_saveexec_b32 s11, s5
	s_cbranch_execz .LBB712_684
; %bb.683:                              ;   in Loop: Header=BB712_12 Depth=1
	ds_load_b32 v5, v99
.LBB712_684:                            ;   in Loop: Header=BB712_12 Depth=1
	s_or_b32 exec_lo, exec_lo, s11
	v_add_nc_u32_e32 v6, -1, v136
	s_waitcnt lgkmcnt(0)
	v_add_nc_u32_e32 v4, v5, v4
	v_cmp_eq_u32_e64 s11, 0, v136
	s_barrier
	v_cmp_gt_i32_e32 vcc_lo, 0, v6
	buffer_gl0_inv
	v_cndmask_b32_e32 v6, v6, v136, vcc_lo
	s_delay_alu instid0(VALU_DEP_1)
	v_lshlrev_b32_e32 v137, 2, v6
	ds_bpermute_b32 v4, v137, v4
	s_and_saveexec_b32 s12, s2
	s_cbranch_execz .LBB712_686
; %bb.685:                              ;   in Loop: Header=BB712_12 Depth=1
	s_waitcnt lgkmcnt(0)
	v_cndmask_b32_e64 v4, v4, v5, s11
	s_delay_alu instid0(VALU_DEP_1)
	v_add_nc_u32_e32 v4, s60, v4
	ds_store_b32 v76, v4
.LBB712_686:                            ;   in Loop: Header=BB712_12 Depth=1
	s_or_b32 exec_lo, exec_lo, s12
	s_load_b64 s[12:13], s[36:37], 0x0
	v_lshlrev_b32_e32 v7, 3, v136
	v_cmp_lt_u32_e64 s14, 3, v2
	v_or_b32_e32 v138, v136, v100
	s_mov_b32 s43, s62
	s_mov_b32 s38, s60
	v_add_co_u32 v139, vcc_lo, v119, v7
	v_add_co_ci_u32_e32 v140, vcc_lo, 0, v120, vcc_lo
	v_add_co_u32 v156, vcc_lo, v121, v7
	v_add_co_ci_u32_e32 v157, vcc_lo, 0, v122, vcc_lo
	v_or_b32_e32 v141, 32, v138
	s_delay_alu instid0(VALU_DEP_3)
	v_add_co_u32 v159, vcc_lo, 0xf00, v156
	v_or_b32_e32 v142, 64, v138
	v_or_b32_e32 v143, 0x60, v138
	;; [unrolled: 1-line block ×3, first 2 shown]
	s_waitcnt lgkmcnt(0)
	s_cmp_lt_u32 s15, s13
	v_or_b32_e32 v145, 0xa0, v138
	s_cselect_b32 s13, 14, 20
	v_or_b32_e32 v146, 0xc0, v138
	s_add_u32 s16, s36, s13
	s_addc_u32 s17, s37, 0
	s_cmp_lt_u32 s28, s12
	global_load_u16 v4, v3, s[16:17]
	s_cselect_b32 s12, 12, 18
	v_or_b32_e32 v147, 0xe0, v138
	s_add_u32 s12, s36, s12
	s_addc_u32 s13, s37, 0
	v_or_b32_e32 v148, 0x100, v138
	global_load_u16 v6, v3, s[12:13]
	v_cmp_eq_u32_e64 s12, 0, v2
	v_cmp_lt_u32_e64 s13, 1, v2
	v_or_b32_e32 v149, 0x120, v138
	v_or_b32_e32 v150, 0x140, v138
	v_or_b32_e32 v151, 0x160, v138
	v_or_b32_e32 v152, 0x180, v138
	v_or_b32_e32 v153, 0x1a0, v138
	v_or_b32_e32 v154, 0x1c0, v138
	v_or_b32_e32 v155, 0x1e0, v138
	v_add_co_ci_u32_e32 v160, vcc_lo, 0, v157, vcc_lo
                                        ; implicit-def: $vgpr8_vgpr9
                                        ; implicit-def: $vgpr10_vgpr11
                                        ; implicit-def: $vgpr12_vgpr13
                                        ; implicit-def: $vgpr14_vgpr15
                                        ; implicit-def: $vgpr16_vgpr17
                                        ; implicit-def: $vgpr18_vgpr19
                                        ; implicit-def: $vgpr20_vgpr21
                                        ; implicit-def: $vgpr22_vgpr23
                                        ; implicit-def: $vgpr24_vgpr25
                                        ; implicit-def: $vgpr26_vgpr27
                                        ; implicit-def: $vgpr28_vgpr29
                                        ; implicit-def: $vgpr30_vgpr31
                                        ; implicit-def: $vgpr32_vgpr33
                                        ; implicit-def: $vgpr34_vgpr35
                                        ; implicit-def: $vgpr161
                                        ; implicit-def: $vgpr162
                                        ; implicit-def: $vgpr163
                                        ; implicit-def: $vgpr164
                                        ; implicit-def: $vgpr165
                                        ; implicit-def: $vgpr166
                                        ; implicit-def: $vgpr167
                                        ; implicit-def: $vgpr168
                                        ; implicit-def: $vgpr169
                                        ; implicit-def: $vgpr170
                                        ; implicit-def: $vgpr171
                                        ; implicit-def: $vgpr172
                                        ; implicit-def: $vgpr173
                                        ; implicit-def: $vgpr174
                                        ; implicit-def: $vgpr175
                                        ; implicit-def: $vgpr176
	s_waitcnt vmcnt(1)
	v_mad_u32_u24 v2, v101, v4, v0
	s_waitcnt vmcnt(0)
	s_delay_alu instid0(VALU_DEP_1) | instskip(NEXT) | instid1(VALU_DEP_1)
	v_mad_u64_u32 v[4:5], null, v2, v6, v[1:2]
                                        ; implicit-def: $vgpr6_vgpr7
	v_lshrrev_b32_e32 v158, 5, v4
                                        ; implicit-def: $vgpr4_vgpr5
	s_branch .LBB712_688
.LBB712_687:                            ;   in Loop: Header=BB712_688 Depth=2
	s_or_b32 exec_lo, exec_lo, s16
	s_addk_i32 s43, 0xf000
	s_cmp_lt_u32 s50, s61
	s_mov_b32 s38, s50
	s_cbranch_scc0 .LBB712_896
.LBB712_688:                            ;   Parent Loop BB712_12 Depth=1
                                        ; =>  This Inner Loop Header: Depth=2
	s_add_i32 s50, s38, 0x1000
	s_delay_alu instid0(SALU_CYCLE_1)
	s_cmp_gt_u32 s50, s61
	s_cbranch_scc1 .LBB712_690
; %bb.689:                              ;   in Loop: Header=BB712_688 Depth=2
	s_mov_b32 s39, 0
	s_delay_alu instid0(SALU_CYCLE_1) | instskip(NEXT) | instid1(SALU_CYCLE_1)
	s_lshl_b64 s[16:17], s[38:39], 3
	v_add_co_u32 v40, vcc_lo, v156, s16
	v_add_co_ci_u32_e32 v41, vcc_lo, s17, v157, vcc_lo
	s_mov_b32 s17, -1
	s_movk_i32 s16, 0x1000
	s_clause 0xe
	global_load_b64 v[36:37], v[40:41], off
	global_load_b64 v[38:39], v[40:41], off offset:256
	global_load_b64 v[44:45], v[40:41], off offset:512
	global_load_b64 v[48:49], v[40:41], off offset:768
	global_load_b64 v[54:55], v[40:41], off offset:1024
	global_load_b64 v[58:59], v[40:41], off offset:1280
	global_load_b64 v[62:63], v[40:41], off offset:1536
	global_load_b64 v[66:67], v[40:41], off offset:1792
	global_load_b64 v[64:65], v[40:41], off offset:2048
	global_load_b64 v[60:61], v[40:41], off offset:2304
	global_load_b64 v[56:57], v[40:41], off offset:2560
	global_load_b64 v[52:53], v[40:41], off offset:2816
	global_load_b64 v[50:51], v[40:41], off offset:3072
	global_load_b64 v[46:47], v[40:41], off offset:3328
	global_load_b64 v[40:41], v[40:41], off offset:3584
	s_cbranch_execz .LBB712_691
	s_branch .LBB712_722
.LBB712_690:                            ;   in Loop: Header=BB712_688 Depth=2
	s_mov_b32 s39, -1
	s_mov_b32 s17, 0
                                        ; implicit-def: $sgpr16
                                        ; implicit-def: $vgpr36_vgpr37
                                        ; implicit-def: $vgpr38_vgpr39
                                        ; implicit-def: $vgpr44_vgpr45
                                        ; implicit-def: $vgpr48_vgpr49
                                        ; implicit-def: $vgpr54_vgpr55
                                        ; implicit-def: $vgpr58_vgpr59
                                        ; implicit-def: $vgpr62_vgpr63
                                        ; implicit-def: $vgpr66_vgpr67
                                        ; implicit-def: $vgpr64_vgpr65
                                        ; implicit-def: $vgpr60_vgpr61
                                        ; implicit-def: $vgpr56_vgpr57
                                        ; implicit-def: $vgpr52_vgpr53
                                        ; implicit-def: $vgpr50_vgpr51
                                        ; implicit-def: $vgpr46_vgpr47
                                        ; implicit-def: $vgpr40_vgpr41
.LBB712_691:                            ;   in Loop: Header=BB712_688 Depth=2
	s_mov_b32 s39, s34
	s_waitcnt vmcnt(14)
	v_dual_mov_b32 v37, s35 :: v_dual_mov_b32 v36, s34
	s_lshl_b64 s[16:17], s[38:39], 3
	s_delay_alu instid0(SALU_CYCLE_1)
	v_add_co_u32 v42, vcc_lo, v156, s16
	v_add_co_ci_u32_e32 v43, vcc_lo, s17, v157, vcc_lo
	s_mov_b32 s16, exec_lo
	v_cmpx_gt_u32_e64 s43, v138
	s_cbranch_execz .LBB712_693
; %bb.692:                              ;   in Loop: Header=BB712_688 Depth=2
	global_load_b64 v[36:37], v[42:43], off
.LBB712_693:                            ;   in Loop: Header=BB712_688 Depth=2
	s_or_b32 exec_lo, exec_lo, s16
	s_waitcnt vmcnt(13)
	v_dual_mov_b32 v39, s35 :: v_dual_mov_b32 v38, s34
	s_mov_b32 s16, exec_lo
	v_cmpx_gt_u32_e64 s43, v141
	s_cbranch_execz .LBB712_695
; %bb.694:                              ;   in Loop: Header=BB712_688 Depth=2
	global_load_b64 v[38:39], v[42:43], off offset:256
.LBB712_695:                            ;   in Loop: Header=BB712_688 Depth=2
	s_or_b32 exec_lo, exec_lo, s16
	s_waitcnt vmcnt(12)
	v_dual_mov_b32 v45, s35 :: v_dual_mov_b32 v44, s34
	s_mov_b32 s16, exec_lo
	v_cmpx_gt_u32_e64 s43, v142
	s_cbranch_execz .LBB712_697
; %bb.696:                              ;   in Loop: Header=BB712_688 Depth=2
	global_load_b64 v[44:45], v[42:43], off offset:512
.LBB712_697:                            ;   in Loop: Header=BB712_688 Depth=2
	;; [unrolled: 9-line block ×14, first 2 shown]
	s_or_b32 exec_lo, exec_lo, s16
	v_cmp_gt_u32_e64 s17, s43, v155
	s_sub_i32 s16, s61, s38
.LBB712_722:                            ;   in Loop: Header=BB712_688 Depth=2
	v_dual_mov_b32 v43, s35 :: v_dual_mov_b32 v42, s34
	v_mov_b32_e32 v177, s43
	s_delay_alu instid0(VALU_DEP_3)
	s_and_saveexec_b32 s18, s17
	s_cbranch_execz .LBB712_724
; %bb.723:                              ;   in Loop: Header=BB712_688 Depth=2
	s_lshl_b64 s[20:21], s[38:39], 3
	v_mov_b32_e32 v177, s16
	v_add_co_u32 v42, vcc_lo, v159, s20
	v_add_co_ci_u32_e32 v43, vcc_lo, s21, v160, vcc_lo
	global_load_b64 v[42:43], v[42:43], off
.LBB712_724:                            ;   in Loop: Header=BB712_688 Depth=2
	s_or_b32 exec_lo, exec_lo, s18
	s_waitcnt vmcnt(14)
	v_xor_b32_e32 v37, 0x7fffffff, v37
	v_not_b32_e32 v36, v36
	ds_store_b32 v102, v3 offset:1056
	ds_store_2addr_b32 v103, v3, v3 offset0:1 offset1:2
	ds_store_2addr_b32 v103, v3, v3 offset0:3 offset1:4
	ds_store_2addr_b32 v103, v3, v3 offset0:5 offset1:6
	ds_store_2addr_b32 v103, v3, v3 offset0:7 offset1:8
	s_waitcnt vmcnt(0) lgkmcnt(0)
	s_barrier
	v_lshrrev_b64 v[68:69], s40, v[36:37]
	buffer_gl0_inv
	; wave barrier
	v_and_b32_e32 v69, s42, v68
	s_delay_alu instid0(VALU_DEP_1)
	v_and_b32_e32 v2, 1, v69
	v_lshlrev_b32_e32 v68, 30, v69
	v_lshlrev_b32_e32 v70, 29, v69
	;; [unrolled: 1-line block ×4, first 2 shown]
	v_add_co_u32 v2, s16, v2, -1
	s_delay_alu instid0(VALU_DEP_1)
	v_cndmask_b32_e64 v72, 0, 1, s16
	v_not_b32_e32 v178, v68
	v_cmp_gt_i32_e64 s16, 0, v68
	v_not_b32_e32 v68, v70
	v_lshlrev_b32_e32 v74, 26, v69
	v_cmp_ne_u32_e32 vcc_lo, 0, v72
	v_ashrrev_i32_e32 v178, 31, v178
	v_lshlrev_b32_e32 v75, 25, v69
	v_ashrrev_i32_e32 v68, 31, v68
	v_lshlrev_b32_e32 v72, 24, v69
	v_xor_b32_e32 v2, vcc_lo, v2
	v_cmp_gt_i32_e32 vcc_lo, 0, v70
	v_not_b32_e32 v70, v71
	v_xor_b32_e32 v178, s16, v178
	v_cmp_gt_i32_e64 s16, 0, v71
	v_and_b32_e32 v2, exec_lo, v2
	v_not_b32_e32 v71, v73
	v_ashrrev_i32_e32 v70, 31, v70
	v_xor_b32_e32 v68, vcc_lo, v68
	v_cmp_gt_i32_e32 vcc_lo, 0, v73
	v_and_b32_e32 v2, v2, v178
	v_not_b32_e32 v73, v74
	v_ashrrev_i32_e32 v71, 31, v71
	v_xor_b32_e32 v70, s16, v70
	v_cmp_gt_i32_e64 s16, 0, v74
	v_and_b32_e32 v2, v2, v68
	v_not_b32_e32 v68, v75
	v_ashrrev_i32_e32 v73, 31, v73
	v_xor_b32_e32 v71, vcc_lo, v71
	v_cmp_gt_i32_e32 vcc_lo, 0, v75
	v_and_b32_e32 v2, v2, v70
	v_not_b32_e32 v70, v72
	v_ashrrev_i32_e32 v68, 31, v68
	v_xor_b32_e32 v73, s16, v73
	v_cmp_gt_i32_e64 s16, 0, v72
	v_and_b32_e32 v2, v2, v71
	v_ashrrev_i32_e32 v70, 31, v70
	v_xor_b32_e32 v68, vcc_lo, v68
	v_mad_u32_u24 v69, v69, 9, v158
	s_delay_alu instid0(VALU_DEP_4) | instskip(NEXT) | instid1(VALU_DEP_4)
	v_and_b32_e32 v2, v2, v73
	v_xor_b32_e32 v70, s16, v70
	s_delay_alu instid0(VALU_DEP_3) | instskip(NEXT) | instid1(VALU_DEP_3)
	v_lshl_add_u32 v178, v69, 2, 0x420
	v_and_b32_e32 v2, v2, v68
	s_delay_alu instid0(VALU_DEP_1) | instskip(NEXT) | instid1(VALU_DEP_1)
	v_and_b32_e32 v68, v2, v70
	v_mbcnt_lo_u32_b32 v2, v68, 0
	v_cmp_ne_u32_e64 s16, 0, v68
	s_delay_alu instid0(VALU_DEP_2) | instskip(NEXT) | instid1(VALU_DEP_2)
	v_cmp_eq_u32_e32 vcc_lo, 0, v2
	s_and_b32 s17, s16, vcc_lo
	s_delay_alu instid0(SALU_CYCLE_1)
	s_and_saveexec_b32 s16, s17
	s_cbranch_execz .LBB712_726
; %bb.725:                              ;   in Loop: Header=BB712_688 Depth=2
	v_bcnt_u32_b32 v68, v68, 0
	ds_store_b32 v178, v68
.LBB712_726:                            ;   in Loop: Header=BB712_688 Depth=2
	s_or_b32 exec_lo, exec_lo, s16
	v_xor_b32_e32 v39, 0x7fffffff, v39
	v_not_b32_e32 v38, v38
	; wave barrier
	s_delay_alu instid0(VALU_DEP_1) | instskip(NEXT) | instid1(VALU_DEP_1)
	v_lshrrev_b64 v[68:69], s40, v[38:39]
	v_and_b32_e32 v68, s42, v68
	s_delay_alu instid0(VALU_DEP_1)
	v_and_b32_e32 v69, 1, v68
	v_lshlrev_b32_e32 v70, 30, v68
	v_lshlrev_b32_e32 v71, 29, v68
	v_lshlrev_b32_e32 v72, 28, v68
	v_lshlrev_b32_e32 v74, 27, v68
	v_add_co_u32 v69, s16, v69, -1
	s_delay_alu instid0(VALU_DEP_1)
	v_cndmask_b32_e64 v73, 0, 1, s16
	v_not_b32_e32 v180, v70
	v_cmp_gt_i32_e64 s16, 0, v70
	v_not_b32_e32 v70, v71
	v_lshlrev_b32_e32 v75, 26, v68
	v_cmp_ne_u32_e32 vcc_lo, 0, v73
	v_ashrrev_i32_e32 v180, 31, v180
	v_lshlrev_b32_e32 v179, 25, v68
	v_ashrrev_i32_e32 v70, 31, v70
	v_lshlrev_b32_e32 v73, 24, v68
	v_xor_b32_e32 v69, vcc_lo, v69
	v_cmp_gt_i32_e32 vcc_lo, 0, v71
	v_not_b32_e32 v71, v72
	v_xor_b32_e32 v180, s16, v180
	v_cmp_gt_i32_e64 s16, 0, v72
	v_and_b32_e32 v69, exec_lo, v69
	v_not_b32_e32 v72, v74
	v_ashrrev_i32_e32 v71, 31, v71
	v_xor_b32_e32 v70, vcc_lo, v70
	v_cmp_gt_i32_e32 vcc_lo, 0, v74
	v_and_b32_e32 v69, v69, v180
	v_not_b32_e32 v74, v75
	v_ashrrev_i32_e32 v72, 31, v72
	v_xor_b32_e32 v71, s16, v71
	v_cmp_gt_i32_e64 s16, 0, v75
	v_and_b32_e32 v69, v69, v70
	v_not_b32_e32 v70, v179
	v_ashrrev_i32_e32 v74, 31, v74
	v_xor_b32_e32 v72, vcc_lo, v72
	v_cmp_gt_i32_e32 vcc_lo, 0, v179
	v_and_b32_e32 v69, v69, v71
	v_not_b32_e32 v71, v73
	v_ashrrev_i32_e32 v70, 31, v70
	v_xor_b32_e32 v74, s16, v74
	v_mul_u32_u24_e32 v68, 9, v68
	v_and_b32_e32 v69, v69, v72
	v_cmp_gt_i32_e64 s16, 0, v73
	v_ashrrev_i32_e32 v71, 31, v71
	v_xor_b32_e32 v70, vcc_lo, v70
	v_add_lshl_u32 v72, v68, v158, 2
	v_and_b32_e32 v69, v69, v74
	s_delay_alu instid0(VALU_DEP_4) | instskip(SKIP_3) | instid1(VALU_DEP_2)
	v_xor_b32_e32 v68, s16, v71
	ds_load_b32 v179, v72 offset:1056
	v_and_b32_e32 v69, v69, v70
	v_add_nc_u32_e32 v181, 0x420, v72
	; wave barrier
	v_and_b32_e32 v68, v69, v68
	s_delay_alu instid0(VALU_DEP_1) | instskip(SKIP_1) | instid1(VALU_DEP_2)
	v_mbcnt_lo_u32_b32 v180, v68, 0
	v_cmp_ne_u32_e64 s16, 0, v68
	v_cmp_eq_u32_e32 vcc_lo, 0, v180
	s_delay_alu instid0(VALU_DEP_2) | instskip(NEXT) | instid1(SALU_CYCLE_1)
	s_and_b32 s17, s16, vcc_lo
	s_and_saveexec_b32 s16, s17
	s_cbranch_execz .LBB712_728
; %bb.727:                              ;   in Loop: Header=BB712_688 Depth=2
	s_waitcnt lgkmcnt(0)
	v_bcnt_u32_b32 v68, v68, v179
	ds_store_b32 v181, v68
.LBB712_728:                            ;   in Loop: Header=BB712_688 Depth=2
	s_or_b32 exec_lo, exec_lo, s16
	v_xor_b32_e32 v45, 0x7fffffff, v45
	v_not_b32_e32 v44, v44
	; wave barrier
	s_delay_alu instid0(VALU_DEP_1) | instskip(NEXT) | instid1(VALU_DEP_1)
	v_lshrrev_b64 v[68:69], s40, v[44:45]
	v_and_b32_e32 v68, s42, v68
	s_delay_alu instid0(VALU_DEP_1)
	v_and_b32_e32 v69, 1, v68
	v_lshlrev_b32_e32 v70, 30, v68
	v_lshlrev_b32_e32 v71, 29, v68
	;; [unrolled: 1-line block ×4, first 2 shown]
	v_add_co_u32 v69, s16, v69, -1
	s_delay_alu instid0(VALU_DEP_1)
	v_cndmask_b32_e64 v73, 0, 1, s16
	v_not_b32_e32 v183, v70
	v_cmp_gt_i32_e64 s16, 0, v70
	v_not_b32_e32 v70, v71
	v_lshlrev_b32_e32 v75, 26, v68
	v_cmp_ne_u32_e32 vcc_lo, 0, v73
	v_ashrrev_i32_e32 v183, 31, v183
	v_lshlrev_b32_e32 v182, 25, v68
	v_ashrrev_i32_e32 v70, 31, v70
	v_lshlrev_b32_e32 v73, 24, v68
	v_xor_b32_e32 v69, vcc_lo, v69
	v_cmp_gt_i32_e32 vcc_lo, 0, v71
	v_not_b32_e32 v71, v72
	v_xor_b32_e32 v183, s16, v183
	v_cmp_gt_i32_e64 s16, 0, v72
	v_and_b32_e32 v69, exec_lo, v69
	v_not_b32_e32 v72, v74
	v_ashrrev_i32_e32 v71, 31, v71
	v_xor_b32_e32 v70, vcc_lo, v70
	v_cmp_gt_i32_e32 vcc_lo, 0, v74
	v_and_b32_e32 v69, v69, v183
	v_not_b32_e32 v74, v75
	v_ashrrev_i32_e32 v72, 31, v72
	v_xor_b32_e32 v71, s16, v71
	v_cmp_gt_i32_e64 s16, 0, v75
	v_and_b32_e32 v69, v69, v70
	v_not_b32_e32 v70, v182
	v_ashrrev_i32_e32 v74, 31, v74
	v_xor_b32_e32 v72, vcc_lo, v72
	v_cmp_gt_i32_e32 vcc_lo, 0, v182
	v_and_b32_e32 v69, v69, v71
	v_not_b32_e32 v71, v73
	v_ashrrev_i32_e32 v70, 31, v70
	v_xor_b32_e32 v74, s16, v74
	v_mul_u32_u24_e32 v68, 9, v68
	v_and_b32_e32 v69, v69, v72
	v_cmp_gt_i32_e64 s16, 0, v73
	v_ashrrev_i32_e32 v71, 31, v71
	v_xor_b32_e32 v70, vcc_lo, v70
	v_add_lshl_u32 v72, v68, v158, 2
	v_and_b32_e32 v69, v69, v74
	s_delay_alu instid0(VALU_DEP_4) | instskip(SKIP_3) | instid1(VALU_DEP_2)
	v_xor_b32_e32 v68, s16, v71
	ds_load_b32 v182, v72 offset:1056
	v_and_b32_e32 v69, v69, v70
	v_add_nc_u32_e32 v184, 0x420, v72
	; wave barrier
	v_and_b32_e32 v68, v69, v68
	s_delay_alu instid0(VALU_DEP_1) | instskip(SKIP_1) | instid1(VALU_DEP_2)
	v_mbcnt_lo_u32_b32 v183, v68, 0
	v_cmp_ne_u32_e64 s16, 0, v68
	v_cmp_eq_u32_e32 vcc_lo, 0, v183
	s_delay_alu instid0(VALU_DEP_2) | instskip(NEXT) | instid1(SALU_CYCLE_1)
	s_and_b32 s17, s16, vcc_lo
	s_and_saveexec_b32 s16, s17
	s_cbranch_execz .LBB712_730
; %bb.729:                              ;   in Loop: Header=BB712_688 Depth=2
	s_waitcnt lgkmcnt(0)
	v_bcnt_u32_b32 v68, v68, v182
	ds_store_b32 v184, v68
.LBB712_730:                            ;   in Loop: Header=BB712_688 Depth=2
	s_or_b32 exec_lo, exec_lo, s16
	v_xor_b32_e32 v49, 0x7fffffff, v49
	v_not_b32_e32 v48, v48
	; wave barrier
	s_delay_alu instid0(VALU_DEP_1) | instskip(NEXT) | instid1(VALU_DEP_1)
	v_lshrrev_b64 v[68:69], s40, v[48:49]
	v_and_b32_e32 v68, s42, v68
	s_delay_alu instid0(VALU_DEP_1)
	v_and_b32_e32 v69, 1, v68
	v_lshlrev_b32_e32 v70, 30, v68
	v_lshlrev_b32_e32 v71, 29, v68
	;; [unrolled: 1-line block ×4, first 2 shown]
	v_add_co_u32 v69, s16, v69, -1
	s_delay_alu instid0(VALU_DEP_1)
	v_cndmask_b32_e64 v73, 0, 1, s16
	v_not_b32_e32 v186, v70
	v_cmp_gt_i32_e64 s16, 0, v70
	v_not_b32_e32 v70, v71
	v_lshlrev_b32_e32 v75, 26, v68
	v_cmp_ne_u32_e32 vcc_lo, 0, v73
	v_ashrrev_i32_e32 v186, 31, v186
	v_lshlrev_b32_e32 v185, 25, v68
	v_ashrrev_i32_e32 v70, 31, v70
	v_lshlrev_b32_e32 v73, 24, v68
	v_xor_b32_e32 v69, vcc_lo, v69
	v_cmp_gt_i32_e32 vcc_lo, 0, v71
	v_not_b32_e32 v71, v72
	v_xor_b32_e32 v186, s16, v186
	v_cmp_gt_i32_e64 s16, 0, v72
	v_and_b32_e32 v69, exec_lo, v69
	v_not_b32_e32 v72, v74
	v_ashrrev_i32_e32 v71, 31, v71
	v_xor_b32_e32 v70, vcc_lo, v70
	v_cmp_gt_i32_e32 vcc_lo, 0, v74
	v_and_b32_e32 v69, v69, v186
	v_not_b32_e32 v74, v75
	v_ashrrev_i32_e32 v72, 31, v72
	v_xor_b32_e32 v71, s16, v71
	v_cmp_gt_i32_e64 s16, 0, v75
	v_and_b32_e32 v69, v69, v70
	v_not_b32_e32 v70, v185
	v_ashrrev_i32_e32 v74, 31, v74
	v_xor_b32_e32 v72, vcc_lo, v72
	v_cmp_gt_i32_e32 vcc_lo, 0, v185
	v_and_b32_e32 v69, v69, v71
	v_not_b32_e32 v71, v73
	v_ashrrev_i32_e32 v70, 31, v70
	v_xor_b32_e32 v74, s16, v74
	v_mul_u32_u24_e32 v68, 9, v68
	v_and_b32_e32 v69, v69, v72
	v_cmp_gt_i32_e64 s16, 0, v73
	v_ashrrev_i32_e32 v71, 31, v71
	v_xor_b32_e32 v70, vcc_lo, v70
	v_add_lshl_u32 v72, v68, v158, 2
	v_and_b32_e32 v69, v69, v74
	s_delay_alu instid0(VALU_DEP_4) | instskip(SKIP_3) | instid1(VALU_DEP_2)
	v_xor_b32_e32 v68, s16, v71
	ds_load_b32 v185, v72 offset:1056
	v_and_b32_e32 v69, v69, v70
	v_add_nc_u32_e32 v187, 0x420, v72
	; wave barrier
	v_and_b32_e32 v68, v69, v68
	s_delay_alu instid0(VALU_DEP_1) | instskip(SKIP_1) | instid1(VALU_DEP_2)
	v_mbcnt_lo_u32_b32 v186, v68, 0
	v_cmp_ne_u32_e64 s16, 0, v68
	v_cmp_eq_u32_e32 vcc_lo, 0, v186
	s_delay_alu instid0(VALU_DEP_2) | instskip(NEXT) | instid1(SALU_CYCLE_1)
	s_and_b32 s17, s16, vcc_lo
	s_and_saveexec_b32 s16, s17
	s_cbranch_execz .LBB712_732
; %bb.731:                              ;   in Loop: Header=BB712_688 Depth=2
	s_waitcnt lgkmcnt(0)
	v_bcnt_u32_b32 v68, v68, v185
	ds_store_b32 v187, v68
.LBB712_732:                            ;   in Loop: Header=BB712_688 Depth=2
	s_or_b32 exec_lo, exec_lo, s16
	v_xor_b32_e32 v55, 0x7fffffff, v55
	v_not_b32_e32 v54, v54
	; wave barrier
	s_delay_alu instid0(VALU_DEP_1) | instskip(NEXT) | instid1(VALU_DEP_1)
	v_lshrrev_b64 v[68:69], s40, v[54:55]
	v_and_b32_e32 v68, s42, v68
	s_delay_alu instid0(VALU_DEP_1)
	v_and_b32_e32 v69, 1, v68
	v_lshlrev_b32_e32 v70, 30, v68
	v_lshlrev_b32_e32 v71, 29, v68
	;; [unrolled: 1-line block ×4, first 2 shown]
	v_add_co_u32 v69, s16, v69, -1
	s_delay_alu instid0(VALU_DEP_1)
	v_cndmask_b32_e64 v73, 0, 1, s16
	v_not_b32_e32 v189, v70
	v_cmp_gt_i32_e64 s16, 0, v70
	v_not_b32_e32 v70, v71
	v_lshlrev_b32_e32 v75, 26, v68
	v_cmp_ne_u32_e32 vcc_lo, 0, v73
	v_ashrrev_i32_e32 v189, 31, v189
	v_lshlrev_b32_e32 v188, 25, v68
	v_ashrrev_i32_e32 v70, 31, v70
	v_lshlrev_b32_e32 v73, 24, v68
	v_xor_b32_e32 v69, vcc_lo, v69
	v_cmp_gt_i32_e32 vcc_lo, 0, v71
	v_not_b32_e32 v71, v72
	v_xor_b32_e32 v189, s16, v189
	v_cmp_gt_i32_e64 s16, 0, v72
	v_and_b32_e32 v69, exec_lo, v69
	v_not_b32_e32 v72, v74
	v_ashrrev_i32_e32 v71, 31, v71
	v_xor_b32_e32 v70, vcc_lo, v70
	v_cmp_gt_i32_e32 vcc_lo, 0, v74
	v_and_b32_e32 v69, v69, v189
	v_not_b32_e32 v74, v75
	v_ashrrev_i32_e32 v72, 31, v72
	v_xor_b32_e32 v71, s16, v71
	v_cmp_gt_i32_e64 s16, 0, v75
	v_and_b32_e32 v69, v69, v70
	v_not_b32_e32 v70, v188
	v_ashrrev_i32_e32 v74, 31, v74
	v_xor_b32_e32 v72, vcc_lo, v72
	v_cmp_gt_i32_e32 vcc_lo, 0, v188
	v_and_b32_e32 v69, v69, v71
	v_not_b32_e32 v71, v73
	v_ashrrev_i32_e32 v70, 31, v70
	v_xor_b32_e32 v74, s16, v74
	v_mul_u32_u24_e32 v68, 9, v68
	v_and_b32_e32 v69, v69, v72
	v_cmp_gt_i32_e64 s16, 0, v73
	v_ashrrev_i32_e32 v71, 31, v71
	v_xor_b32_e32 v70, vcc_lo, v70
	v_add_lshl_u32 v72, v68, v158, 2
	v_and_b32_e32 v69, v69, v74
	s_delay_alu instid0(VALU_DEP_4) | instskip(SKIP_3) | instid1(VALU_DEP_2)
	v_xor_b32_e32 v68, s16, v71
	ds_load_b32 v188, v72 offset:1056
	v_and_b32_e32 v69, v69, v70
	v_add_nc_u32_e32 v190, 0x420, v72
	; wave barrier
	v_and_b32_e32 v68, v69, v68
	s_delay_alu instid0(VALU_DEP_1) | instskip(SKIP_1) | instid1(VALU_DEP_2)
	v_mbcnt_lo_u32_b32 v189, v68, 0
	v_cmp_ne_u32_e64 s16, 0, v68
	v_cmp_eq_u32_e32 vcc_lo, 0, v189
	s_delay_alu instid0(VALU_DEP_2) | instskip(NEXT) | instid1(SALU_CYCLE_1)
	s_and_b32 s17, s16, vcc_lo
	s_and_saveexec_b32 s16, s17
	s_cbranch_execz .LBB712_734
; %bb.733:                              ;   in Loop: Header=BB712_688 Depth=2
	s_waitcnt lgkmcnt(0)
	v_bcnt_u32_b32 v68, v68, v188
	ds_store_b32 v190, v68
.LBB712_734:                            ;   in Loop: Header=BB712_688 Depth=2
	s_or_b32 exec_lo, exec_lo, s16
	v_xor_b32_e32 v59, 0x7fffffff, v59
	v_not_b32_e32 v58, v58
	; wave barrier
	s_delay_alu instid0(VALU_DEP_1) | instskip(NEXT) | instid1(VALU_DEP_1)
	v_lshrrev_b64 v[68:69], s40, v[58:59]
	v_and_b32_e32 v68, s42, v68
	s_delay_alu instid0(VALU_DEP_1)
	v_and_b32_e32 v69, 1, v68
	v_lshlrev_b32_e32 v70, 30, v68
	v_lshlrev_b32_e32 v71, 29, v68
	;; [unrolled: 1-line block ×4, first 2 shown]
	v_add_co_u32 v69, s16, v69, -1
	s_delay_alu instid0(VALU_DEP_1)
	v_cndmask_b32_e64 v73, 0, 1, s16
	v_not_b32_e32 v192, v70
	v_cmp_gt_i32_e64 s16, 0, v70
	v_not_b32_e32 v70, v71
	v_lshlrev_b32_e32 v75, 26, v68
	v_cmp_ne_u32_e32 vcc_lo, 0, v73
	v_ashrrev_i32_e32 v192, 31, v192
	v_lshlrev_b32_e32 v191, 25, v68
	v_ashrrev_i32_e32 v70, 31, v70
	v_lshlrev_b32_e32 v73, 24, v68
	v_xor_b32_e32 v69, vcc_lo, v69
	v_cmp_gt_i32_e32 vcc_lo, 0, v71
	v_not_b32_e32 v71, v72
	v_xor_b32_e32 v192, s16, v192
	v_cmp_gt_i32_e64 s16, 0, v72
	v_and_b32_e32 v69, exec_lo, v69
	v_not_b32_e32 v72, v74
	v_ashrrev_i32_e32 v71, 31, v71
	v_xor_b32_e32 v70, vcc_lo, v70
	v_cmp_gt_i32_e32 vcc_lo, 0, v74
	v_and_b32_e32 v69, v69, v192
	v_not_b32_e32 v74, v75
	v_ashrrev_i32_e32 v72, 31, v72
	v_xor_b32_e32 v71, s16, v71
	v_cmp_gt_i32_e64 s16, 0, v75
	v_and_b32_e32 v69, v69, v70
	v_not_b32_e32 v70, v191
	v_ashrrev_i32_e32 v74, 31, v74
	v_xor_b32_e32 v72, vcc_lo, v72
	v_cmp_gt_i32_e32 vcc_lo, 0, v191
	v_and_b32_e32 v69, v69, v71
	v_not_b32_e32 v71, v73
	v_ashrrev_i32_e32 v70, 31, v70
	v_xor_b32_e32 v74, s16, v74
	v_mul_u32_u24_e32 v68, 9, v68
	v_and_b32_e32 v69, v69, v72
	v_cmp_gt_i32_e64 s16, 0, v73
	v_ashrrev_i32_e32 v71, 31, v71
	v_xor_b32_e32 v70, vcc_lo, v70
	v_add_lshl_u32 v72, v68, v158, 2
	v_and_b32_e32 v69, v69, v74
	s_delay_alu instid0(VALU_DEP_4) | instskip(SKIP_3) | instid1(VALU_DEP_2)
	v_xor_b32_e32 v68, s16, v71
	ds_load_b32 v191, v72 offset:1056
	v_and_b32_e32 v69, v69, v70
	v_add_nc_u32_e32 v193, 0x420, v72
	; wave barrier
	v_and_b32_e32 v68, v69, v68
	s_delay_alu instid0(VALU_DEP_1) | instskip(SKIP_1) | instid1(VALU_DEP_2)
	v_mbcnt_lo_u32_b32 v192, v68, 0
	v_cmp_ne_u32_e64 s16, 0, v68
	v_cmp_eq_u32_e32 vcc_lo, 0, v192
	s_delay_alu instid0(VALU_DEP_2) | instskip(NEXT) | instid1(SALU_CYCLE_1)
	s_and_b32 s17, s16, vcc_lo
	s_and_saveexec_b32 s16, s17
	s_cbranch_execz .LBB712_736
; %bb.735:                              ;   in Loop: Header=BB712_688 Depth=2
	s_waitcnt lgkmcnt(0)
	v_bcnt_u32_b32 v68, v68, v191
	ds_store_b32 v193, v68
.LBB712_736:                            ;   in Loop: Header=BB712_688 Depth=2
	s_or_b32 exec_lo, exec_lo, s16
	v_xor_b32_e32 v63, 0x7fffffff, v63
	v_not_b32_e32 v62, v62
	; wave barrier
	s_delay_alu instid0(VALU_DEP_1) | instskip(NEXT) | instid1(VALU_DEP_1)
	v_lshrrev_b64 v[68:69], s40, v[62:63]
	v_and_b32_e32 v68, s42, v68
	s_delay_alu instid0(VALU_DEP_1)
	v_and_b32_e32 v69, 1, v68
	v_lshlrev_b32_e32 v70, 30, v68
	v_lshlrev_b32_e32 v71, 29, v68
	;; [unrolled: 1-line block ×4, first 2 shown]
	v_add_co_u32 v69, s16, v69, -1
	s_delay_alu instid0(VALU_DEP_1)
	v_cndmask_b32_e64 v73, 0, 1, s16
	v_not_b32_e32 v195, v70
	v_cmp_gt_i32_e64 s16, 0, v70
	v_not_b32_e32 v70, v71
	v_lshlrev_b32_e32 v75, 26, v68
	v_cmp_ne_u32_e32 vcc_lo, 0, v73
	v_ashrrev_i32_e32 v195, 31, v195
	v_lshlrev_b32_e32 v194, 25, v68
	v_ashrrev_i32_e32 v70, 31, v70
	v_lshlrev_b32_e32 v73, 24, v68
	v_xor_b32_e32 v69, vcc_lo, v69
	v_cmp_gt_i32_e32 vcc_lo, 0, v71
	v_not_b32_e32 v71, v72
	v_xor_b32_e32 v195, s16, v195
	v_cmp_gt_i32_e64 s16, 0, v72
	v_and_b32_e32 v69, exec_lo, v69
	v_not_b32_e32 v72, v74
	v_ashrrev_i32_e32 v71, 31, v71
	v_xor_b32_e32 v70, vcc_lo, v70
	v_cmp_gt_i32_e32 vcc_lo, 0, v74
	v_and_b32_e32 v69, v69, v195
	v_not_b32_e32 v74, v75
	v_ashrrev_i32_e32 v72, 31, v72
	v_xor_b32_e32 v71, s16, v71
	v_cmp_gt_i32_e64 s16, 0, v75
	v_and_b32_e32 v69, v69, v70
	v_not_b32_e32 v70, v194
	v_ashrrev_i32_e32 v74, 31, v74
	v_xor_b32_e32 v72, vcc_lo, v72
	v_cmp_gt_i32_e32 vcc_lo, 0, v194
	v_and_b32_e32 v69, v69, v71
	v_not_b32_e32 v71, v73
	v_ashrrev_i32_e32 v70, 31, v70
	v_xor_b32_e32 v74, s16, v74
	v_mul_u32_u24_e32 v68, 9, v68
	v_and_b32_e32 v69, v69, v72
	v_cmp_gt_i32_e64 s16, 0, v73
	v_ashrrev_i32_e32 v71, 31, v71
	v_xor_b32_e32 v70, vcc_lo, v70
	v_add_lshl_u32 v72, v68, v158, 2
	v_and_b32_e32 v69, v69, v74
	s_delay_alu instid0(VALU_DEP_4) | instskip(SKIP_3) | instid1(VALU_DEP_2)
	v_xor_b32_e32 v68, s16, v71
	ds_load_b32 v194, v72 offset:1056
	v_and_b32_e32 v69, v69, v70
	v_add_nc_u32_e32 v196, 0x420, v72
	; wave barrier
	v_and_b32_e32 v68, v69, v68
	s_delay_alu instid0(VALU_DEP_1) | instskip(SKIP_1) | instid1(VALU_DEP_2)
	v_mbcnt_lo_u32_b32 v195, v68, 0
	v_cmp_ne_u32_e64 s16, 0, v68
	v_cmp_eq_u32_e32 vcc_lo, 0, v195
	s_delay_alu instid0(VALU_DEP_2) | instskip(NEXT) | instid1(SALU_CYCLE_1)
	s_and_b32 s17, s16, vcc_lo
	s_and_saveexec_b32 s16, s17
	s_cbranch_execz .LBB712_738
; %bb.737:                              ;   in Loop: Header=BB712_688 Depth=2
	s_waitcnt lgkmcnt(0)
	v_bcnt_u32_b32 v68, v68, v194
	ds_store_b32 v196, v68
.LBB712_738:                            ;   in Loop: Header=BB712_688 Depth=2
	s_or_b32 exec_lo, exec_lo, s16
	v_xor_b32_e32 v67, 0x7fffffff, v67
	v_not_b32_e32 v66, v66
	; wave barrier
	s_delay_alu instid0(VALU_DEP_1) | instskip(NEXT) | instid1(VALU_DEP_1)
	v_lshrrev_b64 v[68:69], s40, v[66:67]
	v_and_b32_e32 v68, s42, v68
	s_delay_alu instid0(VALU_DEP_1)
	v_and_b32_e32 v69, 1, v68
	v_lshlrev_b32_e32 v70, 30, v68
	v_lshlrev_b32_e32 v71, 29, v68
	;; [unrolled: 1-line block ×4, first 2 shown]
	v_add_co_u32 v69, s16, v69, -1
	s_delay_alu instid0(VALU_DEP_1)
	v_cndmask_b32_e64 v73, 0, 1, s16
	v_not_b32_e32 v198, v70
	v_cmp_gt_i32_e64 s16, 0, v70
	v_not_b32_e32 v70, v71
	v_lshlrev_b32_e32 v75, 26, v68
	v_cmp_ne_u32_e32 vcc_lo, 0, v73
	v_ashrrev_i32_e32 v198, 31, v198
	v_lshlrev_b32_e32 v197, 25, v68
	v_ashrrev_i32_e32 v70, 31, v70
	v_lshlrev_b32_e32 v73, 24, v68
	v_xor_b32_e32 v69, vcc_lo, v69
	v_cmp_gt_i32_e32 vcc_lo, 0, v71
	v_not_b32_e32 v71, v72
	v_xor_b32_e32 v198, s16, v198
	v_cmp_gt_i32_e64 s16, 0, v72
	v_and_b32_e32 v69, exec_lo, v69
	v_not_b32_e32 v72, v74
	v_ashrrev_i32_e32 v71, 31, v71
	v_xor_b32_e32 v70, vcc_lo, v70
	v_cmp_gt_i32_e32 vcc_lo, 0, v74
	v_and_b32_e32 v69, v69, v198
	v_not_b32_e32 v74, v75
	v_ashrrev_i32_e32 v72, 31, v72
	v_xor_b32_e32 v71, s16, v71
	v_cmp_gt_i32_e64 s16, 0, v75
	v_and_b32_e32 v69, v69, v70
	v_not_b32_e32 v70, v197
	v_ashrrev_i32_e32 v74, 31, v74
	v_xor_b32_e32 v72, vcc_lo, v72
	v_cmp_gt_i32_e32 vcc_lo, 0, v197
	v_and_b32_e32 v69, v69, v71
	v_not_b32_e32 v71, v73
	v_ashrrev_i32_e32 v70, 31, v70
	v_xor_b32_e32 v74, s16, v74
	v_mul_u32_u24_e32 v68, 9, v68
	v_and_b32_e32 v69, v69, v72
	v_cmp_gt_i32_e64 s16, 0, v73
	v_ashrrev_i32_e32 v71, 31, v71
	v_xor_b32_e32 v70, vcc_lo, v70
	v_add_lshl_u32 v72, v68, v158, 2
	v_and_b32_e32 v69, v69, v74
	s_delay_alu instid0(VALU_DEP_4) | instskip(SKIP_3) | instid1(VALU_DEP_2)
	v_xor_b32_e32 v68, s16, v71
	ds_load_b32 v197, v72 offset:1056
	v_and_b32_e32 v69, v69, v70
	v_add_nc_u32_e32 v199, 0x420, v72
	; wave barrier
	v_and_b32_e32 v68, v69, v68
	s_delay_alu instid0(VALU_DEP_1) | instskip(SKIP_1) | instid1(VALU_DEP_2)
	v_mbcnt_lo_u32_b32 v198, v68, 0
	v_cmp_ne_u32_e64 s16, 0, v68
	v_cmp_eq_u32_e32 vcc_lo, 0, v198
	s_delay_alu instid0(VALU_DEP_2) | instskip(NEXT) | instid1(SALU_CYCLE_1)
	s_and_b32 s17, s16, vcc_lo
	s_and_saveexec_b32 s16, s17
	s_cbranch_execz .LBB712_740
; %bb.739:                              ;   in Loop: Header=BB712_688 Depth=2
	s_waitcnt lgkmcnt(0)
	v_bcnt_u32_b32 v68, v68, v197
	ds_store_b32 v199, v68
.LBB712_740:                            ;   in Loop: Header=BB712_688 Depth=2
	s_or_b32 exec_lo, exec_lo, s16
	v_xor_b32_e32 v65, 0x7fffffff, v65
	v_not_b32_e32 v64, v64
	; wave barrier
	s_delay_alu instid0(VALU_DEP_1) | instskip(NEXT) | instid1(VALU_DEP_1)
	v_lshrrev_b64 v[68:69], s40, v[64:65]
	v_and_b32_e32 v68, s42, v68
	s_delay_alu instid0(VALU_DEP_1)
	v_and_b32_e32 v69, 1, v68
	v_lshlrev_b32_e32 v70, 30, v68
	v_lshlrev_b32_e32 v71, 29, v68
	;; [unrolled: 1-line block ×4, first 2 shown]
	v_add_co_u32 v69, s16, v69, -1
	s_delay_alu instid0(VALU_DEP_1)
	v_cndmask_b32_e64 v73, 0, 1, s16
	v_not_b32_e32 v201, v70
	v_cmp_gt_i32_e64 s16, 0, v70
	v_not_b32_e32 v70, v71
	v_lshlrev_b32_e32 v75, 26, v68
	v_cmp_ne_u32_e32 vcc_lo, 0, v73
	v_ashrrev_i32_e32 v201, 31, v201
	v_lshlrev_b32_e32 v200, 25, v68
	v_ashrrev_i32_e32 v70, 31, v70
	v_lshlrev_b32_e32 v73, 24, v68
	v_xor_b32_e32 v69, vcc_lo, v69
	v_cmp_gt_i32_e32 vcc_lo, 0, v71
	v_not_b32_e32 v71, v72
	v_xor_b32_e32 v201, s16, v201
	v_cmp_gt_i32_e64 s16, 0, v72
	v_and_b32_e32 v69, exec_lo, v69
	v_not_b32_e32 v72, v74
	v_ashrrev_i32_e32 v71, 31, v71
	v_xor_b32_e32 v70, vcc_lo, v70
	v_cmp_gt_i32_e32 vcc_lo, 0, v74
	v_and_b32_e32 v69, v69, v201
	v_not_b32_e32 v74, v75
	v_ashrrev_i32_e32 v72, 31, v72
	v_xor_b32_e32 v71, s16, v71
	v_cmp_gt_i32_e64 s16, 0, v75
	v_and_b32_e32 v69, v69, v70
	v_not_b32_e32 v70, v200
	v_ashrrev_i32_e32 v74, 31, v74
	v_xor_b32_e32 v72, vcc_lo, v72
	v_cmp_gt_i32_e32 vcc_lo, 0, v200
	v_and_b32_e32 v69, v69, v71
	v_not_b32_e32 v71, v73
	v_ashrrev_i32_e32 v70, 31, v70
	v_xor_b32_e32 v74, s16, v74
	v_mul_u32_u24_e32 v68, 9, v68
	v_and_b32_e32 v69, v69, v72
	v_cmp_gt_i32_e64 s16, 0, v73
	v_ashrrev_i32_e32 v71, 31, v71
	v_xor_b32_e32 v70, vcc_lo, v70
	v_add_lshl_u32 v72, v68, v158, 2
	v_and_b32_e32 v69, v69, v74
	s_delay_alu instid0(VALU_DEP_4) | instskip(SKIP_3) | instid1(VALU_DEP_2)
	v_xor_b32_e32 v68, s16, v71
	ds_load_b32 v200, v72 offset:1056
	v_and_b32_e32 v69, v69, v70
	v_add_nc_u32_e32 v202, 0x420, v72
	; wave barrier
	v_and_b32_e32 v68, v69, v68
	s_delay_alu instid0(VALU_DEP_1) | instskip(SKIP_1) | instid1(VALU_DEP_2)
	v_mbcnt_lo_u32_b32 v201, v68, 0
	v_cmp_ne_u32_e64 s16, 0, v68
	v_cmp_eq_u32_e32 vcc_lo, 0, v201
	s_delay_alu instid0(VALU_DEP_2) | instskip(NEXT) | instid1(SALU_CYCLE_1)
	s_and_b32 s17, s16, vcc_lo
	s_and_saveexec_b32 s16, s17
	s_cbranch_execz .LBB712_742
; %bb.741:                              ;   in Loop: Header=BB712_688 Depth=2
	s_waitcnt lgkmcnt(0)
	v_bcnt_u32_b32 v68, v68, v200
	ds_store_b32 v202, v68
.LBB712_742:                            ;   in Loop: Header=BB712_688 Depth=2
	s_or_b32 exec_lo, exec_lo, s16
	v_xor_b32_e32 v61, 0x7fffffff, v61
	v_not_b32_e32 v60, v60
	; wave barrier
	s_delay_alu instid0(VALU_DEP_1) | instskip(NEXT) | instid1(VALU_DEP_1)
	v_lshrrev_b64 v[68:69], s40, v[60:61]
	v_and_b32_e32 v68, s42, v68
	s_delay_alu instid0(VALU_DEP_1)
	v_and_b32_e32 v69, 1, v68
	v_lshlrev_b32_e32 v70, 30, v68
	v_lshlrev_b32_e32 v71, 29, v68
	;; [unrolled: 1-line block ×4, first 2 shown]
	v_add_co_u32 v69, s16, v69, -1
	s_delay_alu instid0(VALU_DEP_1)
	v_cndmask_b32_e64 v73, 0, 1, s16
	v_not_b32_e32 v204, v70
	v_cmp_gt_i32_e64 s16, 0, v70
	v_not_b32_e32 v70, v71
	v_lshlrev_b32_e32 v75, 26, v68
	v_cmp_ne_u32_e32 vcc_lo, 0, v73
	v_ashrrev_i32_e32 v204, 31, v204
	v_lshlrev_b32_e32 v203, 25, v68
	v_ashrrev_i32_e32 v70, 31, v70
	v_lshlrev_b32_e32 v73, 24, v68
	v_xor_b32_e32 v69, vcc_lo, v69
	v_cmp_gt_i32_e32 vcc_lo, 0, v71
	v_not_b32_e32 v71, v72
	v_xor_b32_e32 v204, s16, v204
	v_cmp_gt_i32_e64 s16, 0, v72
	v_and_b32_e32 v69, exec_lo, v69
	v_not_b32_e32 v72, v74
	v_ashrrev_i32_e32 v71, 31, v71
	v_xor_b32_e32 v70, vcc_lo, v70
	v_cmp_gt_i32_e32 vcc_lo, 0, v74
	v_and_b32_e32 v69, v69, v204
	v_not_b32_e32 v74, v75
	v_ashrrev_i32_e32 v72, 31, v72
	v_xor_b32_e32 v71, s16, v71
	v_cmp_gt_i32_e64 s16, 0, v75
	v_and_b32_e32 v69, v69, v70
	v_not_b32_e32 v70, v203
	v_ashrrev_i32_e32 v74, 31, v74
	v_xor_b32_e32 v72, vcc_lo, v72
	v_cmp_gt_i32_e32 vcc_lo, 0, v203
	v_and_b32_e32 v69, v69, v71
	v_not_b32_e32 v71, v73
	v_ashrrev_i32_e32 v70, 31, v70
	v_xor_b32_e32 v74, s16, v74
	v_mul_u32_u24_e32 v68, 9, v68
	v_and_b32_e32 v69, v69, v72
	v_cmp_gt_i32_e64 s16, 0, v73
	v_ashrrev_i32_e32 v71, 31, v71
	v_xor_b32_e32 v70, vcc_lo, v70
	v_add_lshl_u32 v72, v68, v158, 2
	v_and_b32_e32 v69, v69, v74
	s_delay_alu instid0(VALU_DEP_4) | instskip(SKIP_3) | instid1(VALU_DEP_2)
	v_xor_b32_e32 v68, s16, v71
	ds_load_b32 v203, v72 offset:1056
	v_and_b32_e32 v69, v69, v70
	v_add_nc_u32_e32 v205, 0x420, v72
	; wave barrier
	v_and_b32_e32 v68, v69, v68
	s_delay_alu instid0(VALU_DEP_1) | instskip(SKIP_1) | instid1(VALU_DEP_2)
	v_mbcnt_lo_u32_b32 v204, v68, 0
	v_cmp_ne_u32_e64 s16, 0, v68
	v_cmp_eq_u32_e32 vcc_lo, 0, v204
	s_delay_alu instid0(VALU_DEP_2) | instskip(NEXT) | instid1(SALU_CYCLE_1)
	s_and_b32 s17, s16, vcc_lo
	s_and_saveexec_b32 s16, s17
	s_cbranch_execz .LBB712_744
; %bb.743:                              ;   in Loop: Header=BB712_688 Depth=2
	s_waitcnt lgkmcnt(0)
	v_bcnt_u32_b32 v68, v68, v203
	ds_store_b32 v205, v68
.LBB712_744:                            ;   in Loop: Header=BB712_688 Depth=2
	s_or_b32 exec_lo, exec_lo, s16
	v_xor_b32_e32 v57, 0x7fffffff, v57
	v_not_b32_e32 v56, v56
	; wave barrier
	s_delay_alu instid0(VALU_DEP_1) | instskip(NEXT) | instid1(VALU_DEP_1)
	v_lshrrev_b64 v[68:69], s40, v[56:57]
	v_and_b32_e32 v68, s42, v68
	s_delay_alu instid0(VALU_DEP_1)
	v_and_b32_e32 v69, 1, v68
	v_lshlrev_b32_e32 v70, 30, v68
	v_lshlrev_b32_e32 v71, 29, v68
	v_lshlrev_b32_e32 v72, 28, v68
	v_lshlrev_b32_e32 v74, 27, v68
	v_add_co_u32 v69, s16, v69, -1
	s_delay_alu instid0(VALU_DEP_1)
	v_cndmask_b32_e64 v73, 0, 1, s16
	v_not_b32_e32 v207, v70
	v_cmp_gt_i32_e64 s16, 0, v70
	v_not_b32_e32 v70, v71
	v_lshlrev_b32_e32 v75, 26, v68
	v_cmp_ne_u32_e32 vcc_lo, 0, v73
	v_ashrrev_i32_e32 v207, 31, v207
	v_lshlrev_b32_e32 v206, 25, v68
	v_ashrrev_i32_e32 v70, 31, v70
	v_lshlrev_b32_e32 v73, 24, v68
	v_xor_b32_e32 v69, vcc_lo, v69
	v_cmp_gt_i32_e32 vcc_lo, 0, v71
	v_not_b32_e32 v71, v72
	v_xor_b32_e32 v207, s16, v207
	v_cmp_gt_i32_e64 s16, 0, v72
	v_and_b32_e32 v69, exec_lo, v69
	v_not_b32_e32 v72, v74
	v_ashrrev_i32_e32 v71, 31, v71
	v_xor_b32_e32 v70, vcc_lo, v70
	v_cmp_gt_i32_e32 vcc_lo, 0, v74
	v_and_b32_e32 v69, v69, v207
	v_not_b32_e32 v74, v75
	v_ashrrev_i32_e32 v72, 31, v72
	v_xor_b32_e32 v71, s16, v71
	v_cmp_gt_i32_e64 s16, 0, v75
	v_and_b32_e32 v69, v69, v70
	v_not_b32_e32 v70, v206
	v_ashrrev_i32_e32 v74, 31, v74
	v_xor_b32_e32 v72, vcc_lo, v72
	v_cmp_gt_i32_e32 vcc_lo, 0, v206
	v_and_b32_e32 v69, v69, v71
	v_not_b32_e32 v71, v73
	v_ashrrev_i32_e32 v70, 31, v70
	v_xor_b32_e32 v74, s16, v74
	v_mul_u32_u24_e32 v68, 9, v68
	v_and_b32_e32 v69, v69, v72
	v_cmp_gt_i32_e64 s16, 0, v73
	v_ashrrev_i32_e32 v71, 31, v71
	v_xor_b32_e32 v70, vcc_lo, v70
	v_add_lshl_u32 v72, v68, v158, 2
	v_and_b32_e32 v69, v69, v74
	s_delay_alu instid0(VALU_DEP_4) | instskip(SKIP_3) | instid1(VALU_DEP_2)
	v_xor_b32_e32 v68, s16, v71
	ds_load_b32 v206, v72 offset:1056
	v_and_b32_e32 v69, v69, v70
	v_add_nc_u32_e32 v208, 0x420, v72
	; wave barrier
	v_and_b32_e32 v68, v69, v68
	s_delay_alu instid0(VALU_DEP_1) | instskip(SKIP_1) | instid1(VALU_DEP_2)
	v_mbcnt_lo_u32_b32 v207, v68, 0
	v_cmp_ne_u32_e64 s16, 0, v68
	v_cmp_eq_u32_e32 vcc_lo, 0, v207
	s_delay_alu instid0(VALU_DEP_2) | instskip(NEXT) | instid1(SALU_CYCLE_1)
	s_and_b32 s17, s16, vcc_lo
	s_and_saveexec_b32 s16, s17
	s_cbranch_execz .LBB712_746
; %bb.745:                              ;   in Loop: Header=BB712_688 Depth=2
	s_waitcnt lgkmcnt(0)
	v_bcnt_u32_b32 v68, v68, v206
	ds_store_b32 v208, v68
.LBB712_746:                            ;   in Loop: Header=BB712_688 Depth=2
	s_or_b32 exec_lo, exec_lo, s16
	v_xor_b32_e32 v53, 0x7fffffff, v53
	v_not_b32_e32 v52, v52
	; wave barrier
	s_delay_alu instid0(VALU_DEP_1) | instskip(NEXT) | instid1(VALU_DEP_1)
	v_lshrrev_b64 v[68:69], s40, v[52:53]
	v_and_b32_e32 v68, s42, v68
	s_delay_alu instid0(VALU_DEP_1)
	v_and_b32_e32 v69, 1, v68
	v_lshlrev_b32_e32 v70, 30, v68
	v_lshlrev_b32_e32 v71, 29, v68
	;; [unrolled: 1-line block ×4, first 2 shown]
	v_add_co_u32 v69, s16, v69, -1
	s_delay_alu instid0(VALU_DEP_1)
	v_cndmask_b32_e64 v73, 0, 1, s16
	v_not_b32_e32 v210, v70
	v_cmp_gt_i32_e64 s16, 0, v70
	v_not_b32_e32 v70, v71
	v_lshlrev_b32_e32 v75, 26, v68
	v_cmp_ne_u32_e32 vcc_lo, 0, v73
	v_ashrrev_i32_e32 v210, 31, v210
	v_lshlrev_b32_e32 v209, 25, v68
	v_ashrrev_i32_e32 v70, 31, v70
	v_lshlrev_b32_e32 v73, 24, v68
	v_xor_b32_e32 v69, vcc_lo, v69
	v_cmp_gt_i32_e32 vcc_lo, 0, v71
	v_not_b32_e32 v71, v72
	v_xor_b32_e32 v210, s16, v210
	v_cmp_gt_i32_e64 s16, 0, v72
	v_and_b32_e32 v69, exec_lo, v69
	v_not_b32_e32 v72, v74
	v_ashrrev_i32_e32 v71, 31, v71
	v_xor_b32_e32 v70, vcc_lo, v70
	v_cmp_gt_i32_e32 vcc_lo, 0, v74
	v_and_b32_e32 v69, v69, v210
	v_not_b32_e32 v74, v75
	v_ashrrev_i32_e32 v72, 31, v72
	v_xor_b32_e32 v71, s16, v71
	v_cmp_gt_i32_e64 s16, 0, v75
	v_and_b32_e32 v69, v69, v70
	v_not_b32_e32 v70, v209
	v_ashrrev_i32_e32 v74, 31, v74
	v_xor_b32_e32 v72, vcc_lo, v72
	v_cmp_gt_i32_e32 vcc_lo, 0, v209
	v_and_b32_e32 v69, v69, v71
	v_not_b32_e32 v71, v73
	v_ashrrev_i32_e32 v70, 31, v70
	v_xor_b32_e32 v74, s16, v74
	v_mul_u32_u24_e32 v68, 9, v68
	v_and_b32_e32 v69, v69, v72
	v_cmp_gt_i32_e64 s16, 0, v73
	v_ashrrev_i32_e32 v71, 31, v71
	v_xor_b32_e32 v70, vcc_lo, v70
	v_add_lshl_u32 v72, v68, v158, 2
	v_and_b32_e32 v69, v69, v74
	s_delay_alu instid0(VALU_DEP_4) | instskip(SKIP_3) | instid1(VALU_DEP_2)
	v_xor_b32_e32 v68, s16, v71
	ds_load_b32 v209, v72 offset:1056
	v_and_b32_e32 v69, v69, v70
	v_add_nc_u32_e32 v211, 0x420, v72
	; wave barrier
	v_and_b32_e32 v68, v69, v68
	s_delay_alu instid0(VALU_DEP_1) | instskip(SKIP_1) | instid1(VALU_DEP_2)
	v_mbcnt_lo_u32_b32 v210, v68, 0
	v_cmp_ne_u32_e64 s16, 0, v68
	v_cmp_eq_u32_e32 vcc_lo, 0, v210
	s_delay_alu instid0(VALU_DEP_2) | instskip(NEXT) | instid1(SALU_CYCLE_1)
	s_and_b32 s17, s16, vcc_lo
	s_and_saveexec_b32 s16, s17
	s_cbranch_execz .LBB712_748
; %bb.747:                              ;   in Loop: Header=BB712_688 Depth=2
	s_waitcnt lgkmcnt(0)
	v_bcnt_u32_b32 v68, v68, v209
	ds_store_b32 v211, v68
.LBB712_748:                            ;   in Loop: Header=BB712_688 Depth=2
	s_or_b32 exec_lo, exec_lo, s16
	v_xor_b32_e32 v51, 0x7fffffff, v51
	v_not_b32_e32 v50, v50
	; wave barrier
	s_delay_alu instid0(VALU_DEP_1) | instskip(NEXT) | instid1(VALU_DEP_1)
	v_lshrrev_b64 v[68:69], s40, v[50:51]
	v_and_b32_e32 v68, s42, v68
	s_delay_alu instid0(VALU_DEP_1)
	v_and_b32_e32 v69, 1, v68
	v_lshlrev_b32_e32 v70, 30, v68
	v_lshlrev_b32_e32 v71, 29, v68
	;; [unrolled: 1-line block ×4, first 2 shown]
	v_add_co_u32 v69, s16, v69, -1
	s_delay_alu instid0(VALU_DEP_1)
	v_cndmask_b32_e64 v73, 0, 1, s16
	v_not_b32_e32 v213, v70
	v_cmp_gt_i32_e64 s16, 0, v70
	v_not_b32_e32 v70, v71
	v_lshlrev_b32_e32 v75, 26, v68
	v_cmp_ne_u32_e32 vcc_lo, 0, v73
	v_ashrrev_i32_e32 v213, 31, v213
	v_lshlrev_b32_e32 v212, 25, v68
	v_ashrrev_i32_e32 v70, 31, v70
	v_lshlrev_b32_e32 v73, 24, v68
	v_xor_b32_e32 v69, vcc_lo, v69
	v_cmp_gt_i32_e32 vcc_lo, 0, v71
	v_not_b32_e32 v71, v72
	v_xor_b32_e32 v213, s16, v213
	v_cmp_gt_i32_e64 s16, 0, v72
	v_and_b32_e32 v69, exec_lo, v69
	v_not_b32_e32 v72, v74
	v_ashrrev_i32_e32 v71, 31, v71
	v_xor_b32_e32 v70, vcc_lo, v70
	v_cmp_gt_i32_e32 vcc_lo, 0, v74
	v_and_b32_e32 v69, v69, v213
	v_not_b32_e32 v74, v75
	v_ashrrev_i32_e32 v72, 31, v72
	v_xor_b32_e32 v71, s16, v71
	v_cmp_gt_i32_e64 s16, 0, v75
	v_and_b32_e32 v69, v69, v70
	v_not_b32_e32 v70, v212
	v_ashrrev_i32_e32 v74, 31, v74
	v_xor_b32_e32 v72, vcc_lo, v72
	v_cmp_gt_i32_e32 vcc_lo, 0, v212
	v_and_b32_e32 v69, v69, v71
	v_not_b32_e32 v71, v73
	v_ashrrev_i32_e32 v70, 31, v70
	v_xor_b32_e32 v74, s16, v74
	v_mul_u32_u24_e32 v68, 9, v68
	v_and_b32_e32 v69, v69, v72
	v_cmp_gt_i32_e64 s16, 0, v73
	v_ashrrev_i32_e32 v71, 31, v71
	v_xor_b32_e32 v70, vcc_lo, v70
	v_add_lshl_u32 v72, v68, v158, 2
	v_and_b32_e32 v69, v69, v74
	s_delay_alu instid0(VALU_DEP_4) | instskip(SKIP_3) | instid1(VALU_DEP_2)
	v_xor_b32_e32 v68, s16, v71
	ds_load_b32 v212, v72 offset:1056
	v_and_b32_e32 v69, v69, v70
	v_add_nc_u32_e32 v214, 0x420, v72
	; wave barrier
	v_and_b32_e32 v68, v69, v68
	s_delay_alu instid0(VALU_DEP_1) | instskip(SKIP_1) | instid1(VALU_DEP_2)
	v_mbcnt_lo_u32_b32 v213, v68, 0
	v_cmp_ne_u32_e64 s16, 0, v68
	v_cmp_eq_u32_e32 vcc_lo, 0, v213
	s_delay_alu instid0(VALU_DEP_2) | instskip(NEXT) | instid1(SALU_CYCLE_1)
	s_and_b32 s17, s16, vcc_lo
	s_and_saveexec_b32 s16, s17
	s_cbranch_execz .LBB712_750
; %bb.749:                              ;   in Loop: Header=BB712_688 Depth=2
	s_waitcnt lgkmcnt(0)
	v_bcnt_u32_b32 v68, v68, v212
	ds_store_b32 v214, v68
.LBB712_750:                            ;   in Loop: Header=BB712_688 Depth=2
	s_or_b32 exec_lo, exec_lo, s16
	v_xor_b32_e32 v47, 0x7fffffff, v47
	v_not_b32_e32 v46, v46
	; wave barrier
	s_delay_alu instid0(VALU_DEP_1) | instskip(NEXT) | instid1(VALU_DEP_1)
	v_lshrrev_b64 v[68:69], s40, v[46:47]
	v_and_b32_e32 v68, s42, v68
	s_delay_alu instid0(VALU_DEP_1)
	v_and_b32_e32 v69, 1, v68
	v_lshlrev_b32_e32 v70, 30, v68
	v_lshlrev_b32_e32 v71, 29, v68
	;; [unrolled: 1-line block ×4, first 2 shown]
	v_add_co_u32 v69, s16, v69, -1
	s_delay_alu instid0(VALU_DEP_1)
	v_cndmask_b32_e64 v73, 0, 1, s16
	v_not_b32_e32 v216, v70
	v_cmp_gt_i32_e64 s16, 0, v70
	v_not_b32_e32 v70, v71
	v_lshlrev_b32_e32 v75, 26, v68
	v_cmp_ne_u32_e32 vcc_lo, 0, v73
	v_ashrrev_i32_e32 v216, 31, v216
	v_lshlrev_b32_e32 v215, 25, v68
	v_ashrrev_i32_e32 v70, 31, v70
	v_lshlrev_b32_e32 v73, 24, v68
	v_xor_b32_e32 v69, vcc_lo, v69
	v_cmp_gt_i32_e32 vcc_lo, 0, v71
	v_not_b32_e32 v71, v72
	v_xor_b32_e32 v216, s16, v216
	v_cmp_gt_i32_e64 s16, 0, v72
	v_and_b32_e32 v69, exec_lo, v69
	v_not_b32_e32 v72, v74
	v_ashrrev_i32_e32 v71, 31, v71
	v_xor_b32_e32 v70, vcc_lo, v70
	v_cmp_gt_i32_e32 vcc_lo, 0, v74
	v_and_b32_e32 v69, v69, v216
	v_not_b32_e32 v74, v75
	v_ashrrev_i32_e32 v72, 31, v72
	v_xor_b32_e32 v71, s16, v71
	v_cmp_gt_i32_e64 s16, 0, v75
	v_and_b32_e32 v69, v69, v70
	v_not_b32_e32 v70, v215
	v_ashrrev_i32_e32 v74, 31, v74
	v_xor_b32_e32 v72, vcc_lo, v72
	v_cmp_gt_i32_e32 vcc_lo, 0, v215
	v_and_b32_e32 v69, v69, v71
	v_not_b32_e32 v71, v73
	v_ashrrev_i32_e32 v70, 31, v70
	v_xor_b32_e32 v74, s16, v74
	v_mul_u32_u24_e32 v68, 9, v68
	v_and_b32_e32 v69, v69, v72
	v_cmp_gt_i32_e64 s16, 0, v73
	v_ashrrev_i32_e32 v71, 31, v71
	v_xor_b32_e32 v70, vcc_lo, v70
	v_add_lshl_u32 v72, v68, v158, 2
	v_and_b32_e32 v69, v69, v74
	s_delay_alu instid0(VALU_DEP_4) | instskip(SKIP_3) | instid1(VALU_DEP_2)
	v_xor_b32_e32 v68, s16, v71
	ds_load_b32 v215, v72 offset:1056
	v_and_b32_e32 v69, v69, v70
	v_add_nc_u32_e32 v217, 0x420, v72
	; wave barrier
	v_and_b32_e32 v68, v69, v68
	s_delay_alu instid0(VALU_DEP_1) | instskip(SKIP_1) | instid1(VALU_DEP_2)
	v_mbcnt_lo_u32_b32 v216, v68, 0
	v_cmp_ne_u32_e64 s16, 0, v68
	v_cmp_eq_u32_e32 vcc_lo, 0, v216
	s_delay_alu instid0(VALU_DEP_2) | instskip(NEXT) | instid1(SALU_CYCLE_1)
	s_and_b32 s17, s16, vcc_lo
	s_and_saveexec_b32 s16, s17
	s_cbranch_execz .LBB712_752
; %bb.751:                              ;   in Loop: Header=BB712_688 Depth=2
	s_waitcnt lgkmcnt(0)
	v_bcnt_u32_b32 v68, v68, v215
	ds_store_b32 v217, v68
.LBB712_752:                            ;   in Loop: Header=BB712_688 Depth=2
	s_or_b32 exec_lo, exec_lo, s16
	v_xor_b32_e32 v41, 0x7fffffff, v41
	v_not_b32_e32 v40, v40
	; wave barrier
	s_delay_alu instid0(VALU_DEP_1) | instskip(NEXT) | instid1(VALU_DEP_1)
	v_lshrrev_b64 v[68:69], s40, v[40:41]
	v_and_b32_e32 v68, s42, v68
	s_delay_alu instid0(VALU_DEP_1)
	v_and_b32_e32 v69, 1, v68
	v_lshlrev_b32_e32 v70, 30, v68
	v_lshlrev_b32_e32 v71, 29, v68
	;; [unrolled: 1-line block ×4, first 2 shown]
	v_add_co_u32 v69, s16, v69, -1
	s_delay_alu instid0(VALU_DEP_1)
	v_cndmask_b32_e64 v73, 0, 1, s16
	v_not_b32_e32 v219, v70
	v_cmp_gt_i32_e64 s16, 0, v70
	v_not_b32_e32 v70, v71
	v_lshlrev_b32_e32 v75, 26, v68
	v_cmp_ne_u32_e32 vcc_lo, 0, v73
	v_ashrrev_i32_e32 v219, 31, v219
	v_lshlrev_b32_e32 v218, 25, v68
	v_ashrrev_i32_e32 v70, 31, v70
	v_lshlrev_b32_e32 v73, 24, v68
	v_xor_b32_e32 v69, vcc_lo, v69
	v_cmp_gt_i32_e32 vcc_lo, 0, v71
	v_not_b32_e32 v71, v72
	v_xor_b32_e32 v219, s16, v219
	v_cmp_gt_i32_e64 s16, 0, v72
	v_and_b32_e32 v69, exec_lo, v69
	v_not_b32_e32 v72, v74
	v_ashrrev_i32_e32 v71, 31, v71
	v_xor_b32_e32 v70, vcc_lo, v70
	v_cmp_gt_i32_e32 vcc_lo, 0, v74
	v_and_b32_e32 v69, v69, v219
	v_not_b32_e32 v74, v75
	v_ashrrev_i32_e32 v72, 31, v72
	v_xor_b32_e32 v71, s16, v71
	v_cmp_gt_i32_e64 s16, 0, v75
	v_and_b32_e32 v69, v69, v70
	v_not_b32_e32 v70, v218
	v_ashrrev_i32_e32 v74, 31, v74
	v_xor_b32_e32 v72, vcc_lo, v72
	v_cmp_gt_i32_e32 vcc_lo, 0, v218
	v_and_b32_e32 v69, v69, v71
	v_not_b32_e32 v71, v73
	v_ashrrev_i32_e32 v70, 31, v70
	v_xor_b32_e32 v74, s16, v74
	v_mul_u32_u24_e32 v68, 9, v68
	v_and_b32_e32 v69, v69, v72
	v_cmp_gt_i32_e64 s16, 0, v73
	v_ashrrev_i32_e32 v71, 31, v71
	v_xor_b32_e32 v70, vcc_lo, v70
	v_add_lshl_u32 v72, v68, v158, 2
	v_and_b32_e32 v69, v69, v74
	s_delay_alu instid0(VALU_DEP_4) | instskip(SKIP_3) | instid1(VALU_DEP_2)
	v_xor_b32_e32 v68, s16, v71
	ds_load_b32 v218, v72 offset:1056
	v_and_b32_e32 v69, v69, v70
	v_add_nc_u32_e32 v220, 0x420, v72
	; wave barrier
	v_and_b32_e32 v68, v69, v68
	s_delay_alu instid0(VALU_DEP_1) | instskip(SKIP_1) | instid1(VALU_DEP_2)
	v_mbcnt_lo_u32_b32 v219, v68, 0
	v_cmp_ne_u32_e64 s16, 0, v68
	v_cmp_eq_u32_e32 vcc_lo, 0, v219
	s_delay_alu instid0(VALU_DEP_2) | instskip(NEXT) | instid1(SALU_CYCLE_1)
	s_and_b32 s17, s16, vcc_lo
	s_and_saveexec_b32 s16, s17
	s_cbranch_execz .LBB712_754
; %bb.753:                              ;   in Loop: Header=BB712_688 Depth=2
	s_waitcnt lgkmcnt(0)
	v_bcnt_u32_b32 v68, v68, v218
	ds_store_b32 v220, v68
.LBB712_754:                            ;   in Loop: Header=BB712_688 Depth=2
	s_or_b32 exec_lo, exec_lo, s16
	v_xor_b32_e32 v43, 0x7fffffff, v43
	v_not_b32_e32 v42, v42
	; wave barrier
	s_delay_alu instid0(VALU_DEP_1) | instskip(NEXT) | instid1(VALU_DEP_1)
	v_lshrrev_b64 v[68:69], s40, v[42:43]
	v_and_b32_e32 v68, s42, v68
	s_delay_alu instid0(VALU_DEP_1)
	v_and_b32_e32 v69, 1, v68
	v_lshlrev_b32_e32 v70, 30, v68
	v_lshlrev_b32_e32 v71, 29, v68
	;; [unrolled: 1-line block ×4, first 2 shown]
	v_add_co_u32 v69, s16, v69, -1
	s_delay_alu instid0(VALU_DEP_1)
	v_cndmask_b32_e64 v73, 0, 1, s16
	v_not_b32_e32 v222, v70
	v_cmp_gt_i32_e64 s16, 0, v70
	v_not_b32_e32 v70, v71
	v_lshlrev_b32_e32 v75, 26, v68
	v_cmp_ne_u32_e32 vcc_lo, 0, v73
	v_ashrrev_i32_e32 v222, 31, v222
	v_lshlrev_b32_e32 v221, 25, v68
	v_ashrrev_i32_e32 v70, 31, v70
	v_lshlrev_b32_e32 v73, 24, v68
	v_xor_b32_e32 v69, vcc_lo, v69
	v_cmp_gt_i32_e32 vcc_lo, 0, v71
	v_not_b32_e32 v71, v72
	v_xor_b32_e32 v222, s16, v222
	v_cmp_gt_i32_e64 s16, 0, v72
	v_and_b32_e32 v69, exec_lo, v69
	v_not_b32_e32 v72, v74
	v_ashrrev_i32_e32 v71, 31, v71
	v_xor_b32_e32 v70, vcc_lo, v70
	v_cmp_gt_i32_e32 vcc_lo, 0, v74
	v_and_b32_e32 v69, v69, v222
	v_not_b32_e32 v74, v75
	v_ashrrev_i32_e32 v72, 31, v72
	v_xor_b32_e32 v71, s16, v71
	v_cmp_gt_i32_e64 s16, 0, v75
	v_and_b32_e32 v69, v69, v70
	v_not_b32_e32 v70, v221
	v_ashrrev_i32_e32 v74, 31, v74
	v_xor_b32_e32 v72, vcc_lo, v72
	v_cmp_gt_i32_e32 vcc_lo, 0, v221
	v_and_b32_e32 v69, v69, v71
	v_not_b32_e32 v71, v73
	v_ashrrev_i32_e32 v70, 31, v70
	v_xor_b32_e32 v74, s16, v74
	v_mul_u32_u24_e32 v68, 9, v68
	v_and_b32_e32 v69, v69, v72
	v_cmp_gt_i32_e64 s16, 0, v73
	v_ashrrev_i32_e32 v71, 31, v71
	v_xor_b32_e32 v70, vcc_lo, v70
	v_add_lshl_u32 v72, v68, v158, 2
	v_and_b32_e32 v69, v69, v74
	s_delay_alu instid0(VALU_DEP_4) | instskip(SKIP_3) | instid1(VALU_DEP_2)
	v_xor_b32_e32 v68, s16, v71
	ds_load_b32 v221, v72 offset:1056
	v_and_b32_e32 v69, v69, v70
	v_add_nc_u32_e32 v223, 0x420, v72
	; wave barrier
	v_and_b32_e32 v68, v69, v68
	s_delay_alu instid0(VALU_DEP_1) | instskip(SKIP_1) | instid1(VALU_DEP_2)
	v_mbcnt_lo_u32_b32 v222, v68, 0
	v_cmp_ne_u32_e64 s16, 0, v68
	v_cmp_eq_u32_e32 vcc_lo, 0, v222
	s_delay_alu instid0(VALU_DEP_2) | instskip(NEXT) | instid1(SALU_CYCLE_1)
	s_and_b32 s17, s16, vcc_lo
	s_and_saveexec_b32 s16, s17
	s_cbranch_execz .LBB712_756
; %bb.755:                              ;   in Loop: Header=BB712_688 Depth=2
	s_waitcnt lgkmcnt(0)
	v_bcnt_u32_b32 v68, v68, v221
	ds_store_b32 v223, v68
.LBB712_756:                            ;   in Loop: Header=BB712_688 Depth=2
	s_or_b32 exec_lo, exec_lo, s16
	; wave barrier
	s_waitcnt lgkmcnt(0)
	s_barrier
	buffer_gl0_inv
	ds_load_b32 v224, v102 offset:1056
	ds_load_2addr_b32 v[74:75], v103 offset0:1 offset1:2
	ds_load_2addr_b32 v[72:73], v103 offset0:3 offset1:4
	;; [unrolled: 1-line block ×4, first 2 shown]
	s_waitcnt lgkmcnt(3)
	v_add3_u32 v225, v74, v224, v75
	s_waitcnt lgkmcnt(2)
	s_delay_alu instid0(VALU_DEP_1) | instskip(SKIP_1) | instid1(VALU_DEP_1)
	v_add3_u32 v225, v225, v72, v73
	s_waitcnt lgkmcnt(1)
	v_add3_u32 v225, v225, v68, v69
	s_waitcnt lgkmcnt(0)
	s_delay_alu instid0(VALU_DEP_1) | instskip(NEXT) | instid1(VALU_DEP_1)
	v_add3_u32 v71, v225, v70, v71
	v_mov_b32_dpp v225, v71 row_shr:1 row_mask:0xf bank_mask:0xf
	s_delay_alu instid0(VALU_DEP_1) | instskip(NEXT) | instid1(VALU_DEP_1)
	v_cndmask_b32_e64 v225, v225, 0, s1
	v_add_nc_u32_e32 v71, v225, v71
	s_delay_alu instid0(VALU_DEP_1) | instskip(NEXT) | instid1(VALU_DEP_1)
	v_mov_b32_dpp v225, v71 row_shr:2 row_mask:0xf bank_mask:0xf
	v_cndmask_b32_e64 v225, 0, v225, s7
	s_delay_alu instid0(VALU_DEP_1) | instskip(NEXT) | instid1(VALU_DEP_1)
	v_add_nc_u32_e32 v71, v71, v225
	v_mov_b32_dpp v225, v71 row_shr:4 row_mask:0xf bank_mask:0xf
	s_delay_alu instid0(VALU_DEP_1) | instskip(NEXT) | instid1(VALU_DEP_1)
	v_cndmask_b32_e64 v225, 0, v225, s8
	v_add_nc_u32_e32 v71, v71, v225
	s_delay_alu instid0(VALU_DEP_1) | instskip(NEXT) | instid1(VALU_DEP_1)
	v_mov_b32_dpp v225, v71 row_shr:8 row_mask:0xf bank_mask:0xf
	v_cndmask_b32_e64 v225, 0, v225, s9
	s_delay_alu instid0(VALU_DEP_1) | instskip(SKIP_3) | instid1(VALU_DEP_1)
	v_add_nc_u32_e32 v71, v71, v225
	ds_swizzle_b32 v225, v71 offset:swizzle(BROADCAST,32,15)
	s_waitcnt lgkmcnt(0)
	v_cndmask_b32_e64 v225, v225, 0, s10
	v_add_nc_u32_e32 v71, v71, v225
	s_and_saveexec_b32 s16, s3
	s_cbranch_execz .LBB712_758
; %bb.757:                              ;   in Loop: Header=BB712_688 Depth=2
	ds_store_b32 v94, v71 offset:1024
.LBB712_758:                            ;   in Loop: Header=BB712_688 Depth=2
	s_or_b32 exec_lo, exec_lo, s16
	s_waitcnt lgkmcnt(0)
	s_barrier
	buffer_gl0_inv
	s_and_saveexec_b32 s16, s4
	s_cbranch_execz .LBB712_760
; %bb.759:                              ;   in Loop: Header=BB712_688 Depth=2
	ds_load_b32 v225, v104 offset:1024
	s_waitcnt lgkmcnt(0)
	v_mov_b32_dpp v226, v225 row_shr:1 row_mask:0xf bank_mask:0xf
	s_delay_alu instid0(VALU_DEP_1) | instskip(NEXT) | instid1(VALU_DEP_1)
	v_cndmask_b32_e64 v226, v226, 0, s12
	v_add_nc_u32_e32 v225, v226, v225
	s_delay_alu instid0(VALU_DEP_1) | instskip(NEXT) | instid1(VALU_DEP_1)
	v_mov_b32_dpp v226, v225 row_shr:2 row_mask:0xf bank_mask:0xf
	v_cndmask_b32_e64 v226, 0, v226, s13
	s_delay_alu instid0(VALU_DEP_1) | instskip(NEXT) | instid1(VALU_DEP_1)
	v_add_nc_u32_e32 v225, v225, v226
	v_mov_b32_dpp v226, v225 row_shr:4 row_mask:0xf bank_mask:0xf
	s_delay_alu instid0(VALU_DEP_1) | instskip(NEXT) | instid1(VALU_DEP_1)
	v_cndmask_b32_e64 v226, 0, v226, s14
	v_add_nc_u32_e32 v225, v225, v226
	ds_store_b32 v104, v225 offset:1024
.LBB712_760:                            ;   in Loop: Header=BB712_688 Depth=2
	s_or_b32 exec_lo, exec_lo, s16
	v_mov_b32_e32 v225, 0
	s_waitcnt lgkmcnt(0)
	s_barrier
	buffer_gl0_inv
	s_and_saveexec_b32 s16, s5
	s_cbranch_execz .LBB712_762
; %bb.761:                              ;   in Loop: Header=BB712_688 Depth=2
	ds_load_b32 v225, v94 offset:1020
.LBB712_762:                            ;   in Loop: Header=BB712_688 Depth=2
	s_or_b32 exec_lo, exec_lo, s16
	s_waitcnt lgkmcnt(0)
	v_add_nc_u32_e32 v71, v225, v71
	ds_bpermute_b32 v71, v137, v71
	s_waitcnt lgkmcnt(0)
	v_cndmask_b32_e64 v71, v71, v225, s11
	s_delay_alu instid0(VALU_DEP_1) | instskip(NEXT) | instid1(VALU_DEP_1)
	v_cndmask_b32_e64 v71, v71, 0, s0
	v_add_nc_u32_e32 v224, v71, v224
	s_delay_alu instid0(VALU_DEP_1) | instskip(NEXT) | instid1(VALU_DEP_1)
	v_add_nc_u32_e32 v74, v224, v74
	v_add_nc_u32_e32 v75, v74, v75
	s_delay_alu instid0(VALU_DEP_1) | instskip(NEXT) | instid1(VALU_DEP_1)
	v_add_nc_u32_e32 v72, v75, v72
	;; [unrolled: 3-line block ×3, first 2 shown]
	v_add_nc_u32_e32 v69, v68, v69
	s_delay_alu instid0(VALU_DEP_1)
	v_add_nc_u32_e32 v70, v69, v70
	ds_store_b32 v102, v71 offset:1056
	ds_store_2addr_b32 v103, v224, v74 offset0:1 offset1:2
	ds_store_2addr_b32 v103, v75, v72 offset0:3 offset1:4
	;; [unrolled: 1-line block ×4, first 2 shown]
	v_mov_b32_e32 v68, 0x1000
	s_waitcnt lgkmcnt(0)
	s_barrier
	buffer_gl0_inv
	ds_load_b32 v70, v181
	ds_load_b32 v71, v184
	;; [unrolled: 1-line block ×16, first 2 shown]
	ds_load_b32 v178, v102 offset:1056
	s_and_saveexec_b32 s16, s6
	s_cbranch_execz .LBB712_764
; %bb.763:                              ;   in Loop: Header=BB712_688 Depth=2
	ds_load_b32 v68, v105 offset:1056
.LBB712_764:                            ;   in Loop: Header=BB712_688 Depth=2
	s_or_b32 exec_lo, exec_lo, s16
	s_waitcnt lgkmcnt(0)
	s_barrier
	buffer_gl0_inv
	s_and_saveexec_b32 s16, s2
	s_cbranch_execz .LBB712_766
; %bb.765:                              ;   in Loop: Header=BB712_688 Depth=2
	ds_load_b32 v202, v76
	s_waitcnt lgkmcnt(0)
	v_sub_nc_u32_e32 v178, v202, v178
	ds_store_b32 v76, v178
.LBB712_766:                            ;   in Loop: Header=BB712_688 Depth=2
	s_or_b32 exec_lo, exec_lo, s16
	v_add_nc_u32_e32 v179, v180, v179
	v_add_lshl_u32 v69, v69, v2, 3
	v_add_nc_u32_e32 v2, v183, v182
	v_add_nc_u32_e32 v180, v186, v185
	;; [unrolled: 1-line block ×8, first 2 shown]
	v_add_lshl_u32 v70, v179, v70, 3
	v_add_lshl_u32 v71, v2, v71, 3
	v_add_nc_u32_e32 v200, v201, v200
	v_add_lshl_u32 v72, v180, v72, 3
	v_add_nc_u32_e32 v203, v204, v203
	;; [unrolled: 2-line block ×3, first 2 shown]
	v_add_nc_u32_e32 v202, v219, v218
	v_add_nc_u32_e32 v205, v216, v215
	;; [unrolled: 1-line block ×3, first 2 shown]
	ds_store_b64 v69, v[36:37] offset:1024
	ds_store_b64 v70, v[38:39] offset:1024
	v_add_lshl_u32 v38, v191, v225, 3
	ds_store_b64 v71, v[44:45] offset:1024
	ds_store_b64 v72, v[48:49] offset:1024
	;; [unrolled: 1-line block ×3, first 2 shown]
	v_add_lshl_u32 v39, v194, v224, 3
	v_add_lshl_u32 v44, v197, v199, 3
	;; [unrolled: 1-line block ×6, first 2 shown]
	ds_store_b64 v38, v[58:59] offset:1024
	ds_store_b64 v39, v[62:63] offset:1024
	;; [unrolled: 1-line block ×6, first 2 shown]
	v_add_lshl_u32 v55, v208, v184, 3
	v_add_lshl_u32 v56, v205, v181, 3
	v_add_lshl_u32 v57, v202, v75, 3
	ds_store_b64 v54, v[52:53] offset:1024
	v_add_lshl_u32 v52, v178, v74, 3
	v_cmp_lt_u32_e32 vcc_lo, v1, v177
	ds_store_b64 v55, v[50:51] offset:1024
	ds_store_b64 v56, v[46:47] offset:1024
	;; [unrolled: 1-line block ×4, first 2 shown]
	s_waitcnt lgkmcnt(0)
	s_barrier
	buffer_gl0_inv
	s_and_saveexec_b32 s17, vcc_lo
	s_cbranch_execz .LBB712_782
; %bb.767:                              ;   in Loop: Header=BB712_688 Depth=2
	v_add_nc_u32_e32 v2, v104, v76
	ds_load_b64 v[36:37], v2 offset:1024
	s_waitcnt lgkmcnt(0)
	v_lshrrev_b64 v[40:41], s40, v[36:37]
	v_xor_b32_e32 v37, 0x7fffffff, v37
	v_not_b32_e32 v36, v36
	s_delay_alu instid0(VALU_DEP_3) | instskip(NEXT) | instid1(VALU_DEP_1)
	v_and_b32_e32 v2, s42, v40
	v_lshlrev_b32_e32 v2, 2, v2
	ds_load_b32 v2, v2
	s_waitcnt lgkmcnt(0)
	v_add_nc_u32_e32 v2, v2, v1
	s_delay_alu instid0(VALU_DEP_1) | instskip(NEXT) | instid1(VALU_DEP_1)
	v_lshlrev_b64 v[40:41], 3, v[2:3]
	v_add_co_u32 v40, s16, s46, v40
	s_delay_alu instid0(VALU_DEP_1) | instskip(SKIP_3) | instid1(VALU_DEP_1)
	v_add_co_ci_u32_e64 v41, s16, s47, v41, s16
	global_store_b64 v[40:41], v[36:37], off
	s_or_b32 exec_lo, exec_lo, s17
	v_cmp_lt_u32_e64 s16, v77, v177
	s_and_saveexec_b32 s18, s16
	s_cbranch_execnz .LBB712_783
.LBB712_768:                            ;   in Loop: Header=BB712_688 Depth=2
	s_or_b32 exec_lo, exec_lo, s18
	v_cmp_lt_u32_e64 s17, v78, v177
	s_delay_alu instid0(VALU_DEP_1)
	s_and_saveexec_b32 s19, s17
	s_cbranch_execz .LBB712_784
.LBB712_769:                            ;   in Loop: Header=BB712_688 Depth=2
	ds_load_b64 v[36:37], v110 offset:4096
	s_waitcnt lgkmcnt(0)
	v_lshrrev_b64 v[40:41], s40, v[36:37]
	v_xor_b32_e32 v37, 0x7fffffff, v37
	v_not_b32_e32 v36, v36
	s_delay_alu instid0(VALU_DEP_3) | instskip(NEXT) | instid1(VALU_DEP_1)
	v_and_b32_e32 v2, s42, v40
	v_lshlrev_b32_e32 v2, 2, v2
	ds_load_b32 v2, v2
	s_waitcnt lgkmcnt(0)
	v_add_nc_u32_e32 v2, v2, v78
	s_delay_alu instid0(VALU_DEP_1) | instskip(NEXT) | instid1(VALU_DEP_1)
	v_lshlrev_b64 v[40:41], 3, v[2:3]
	v_add_co_u32 v40, s18, s46, v40
	s_delay_alu instid0(VALU_DEP_1) | instskip(SKIP_3) | instid1(VALU_DEP_1)
	v_add_co_ci_u32_e64 v41, s18, s47, v41, s18
	global_store_b64 v[40:41], v[36:37], off
	s_or_b32 exec_lo, exec_lo, s19
	v_cmp_lt_u32_e64 s18, v79, v177
	s_and_saveexec_b32 s20, s18
	s_cbranch_execnz .LBB712_785
.LBB712_770:                            ;   in Loop: Header=BB712_688 Depth=2
	s_or_b32 exec_lo, exec_lo, s20
	v_cmp_lt_u32_e64 s19, v83, v177
	s_delay_alu instid0(VALU_DEP_1)
	s_and_saveexec_b32 s21, s19
	s_cbranch_execz .LBB712_786
.LBB712_771:                            ;   in Loop: Header=BB712_688 Depth=2
	ds_load_b64 v[36:37], v110 offset:8192
	s_waitcnt lgkmcnt(0)
	v_lshrrev_b64 v[40:41], s40, v[36:37]
	v_xor_b32_e32 v37, 0x7fffffff, v37
	v_not_b32_e32 v36, v36
	s_delay_alu instid0(VALU_DEP_3) | instskip(NEXT) | instid1(VALU_DEP_1)
	v_and_b32_e32 v2, s42, v40
	v_lshlrev_b32_e32 v2, 2, v2
	ds_load_b32 v2, v2
	s_waitcnt lgkmcnt(0)
	v_add_nc_u32_e32 v2, v2, v83
	s_delay_alu instid0(VALU_DEP_1) | instskip(NEXT) | instid1(VALU_DEP_1)
	v_lshlrev_b64 v[40:41], 3, v[2:3]
	v_add_co_u32 v40, s20, s46, v40
	s_delay_alu instid0(VALU_DEP_1) | instskip(SKIP_3) | instid1(VALU_DEP_1)
	v_add_co_ci_u32_e64 v41, s20, s47, v41, s20
	global_store_b64 v[40:41], v[36:37], off
	s_or_b32 exec_lo, exec_lo, s21
	v_cmp_lt_u32_e64 s20, v84, v177
	s_and_saveexec_b32 s22, s20
	s_cbranch_execnz .LBB712_787
.LBB712_772:                            ;   in Loop: Header=BB712_688 Depth=2
	s_or_b32 exec_lo, exec_lo, s22
	v_cmp_lt_u32_e64 s21, v85, v177
	s_delay_alu instid0(VALU_DEP_1)
	s_and_saveexec_b32 s23, s21
	s_cbranch_execz .LBB712_788
.LBB712_773:                            ;   in Loop: Header=BB712_688 Depth=2
	ds_load_b64 v[36:37], v110 offset:12288
	s_waitcnt lgkmcnt(0)
	v_lshrrev_b64 v[40:41], s40, v[36:37]
	v_xor_b32_e32 v37, 0x7fffffff, v37
	v_not_b32_e32 v36, v36
	s_delay_alu instid0(VALU_DEP_3) | instskip(NEXT) | instid1(VALU_DEP_1)
	v_and_b32_e32 v2, s42, v40
	v_lshlrev_b32_e32 v2, 2, v2
	ds_load_b32 v2, v2
	s_waitcnt lgkmcnt(0)
	v_add_nc_u32_e32 v2, v2, v85
	s_delay_alu instid0(VALU_DEP_1) | instskip(NEXT) | instid1(VALU_DEP_1)
	v_lshlrev_b64 v[40:41], 3, v[2:3]
	v_add_co_u32 v40, s22, s46, v40
	s_delay_alu instid0(VALU_DEP_1) | instskip(SKIP_3) | instid1(VALU_DEP_1)
	v_add_co_ci_u32_e64 v41, s22, s47, v41, s22
	global_store_b64 v[40:41], v[36:37], off
	s_or_b32 exec_lo, exec_lo, s23
	v_cmp_lt_u32_e64 s22, v86, v177
	s_and_saveexec_b32 s24, s22
	s_cbranch_execnz .LBB712_789
.LBB712_774:                            ;   in Loop: Header=BB712_688 Depth=2
	s_or_b32 exec_lo, exec_lo, s24
	v_cmp_lt_u32_e64 s23, v87, v177
	s_delay_alu instid0(VALU_DEP_1)
	s_and_saveexec_b32 s25, s23
	s_cbranch_execz .LBB712_790
.LBB712_775:                            ;   in Loop: Header=BB712_688 Depth=2
	ds_load_b64 v[36:37], v110 offset:16384
	s_waitcnt lgkmcnt(0)
	v_lshrrev_b64 v[40:41], s40, v[36:37]
	v_xor_b32_e32 v37, 0x7fffffff, v37
	v_not_b32_e32 v36, v36
	s_delay_alu instid0(VALU_DEP_3) | instskip(NEXT) | instid1(VALU_DEP_1)
	v_and_b32_e32 v2, s42, v40
	v_lshlrev_b32_e32 v2, 2, v2
	ds_load_b32 v2, v2
	s_waitcnt lgkmcnt(0)
	v_add_nc_u32_e32 v2, v2, v87
	s_delay_alu instid0(VALU_DEP_1) | instskip(NEXT) | instid1(VALU_DEP_1)
	v_lshlrev_b64 v[40:41], 3, v[2:3]
	v_add_co_u32 v40, s24, s46, v40
	s_delay_alu instid0(VALU_DEP_1) | instskip(SKIP_3) | instid1(VALU_DEP_1)
	v_add_co_ci_u32_e64 v41, s24, s47, v41, s24
	global_store_b64 v[40:41], v[36:37], off
	s_or_b32 exec_lo, exec_lo, s25
	v_cmp_lt_u32_e64 s24, v88, v177
	s_and_saveexec_b32 s26, s24
	s_cbranch_execnz .LBB712_791
.LBB712_776:                            ;   in Loop: Header=BB712_688 Depth=2
	s_or_b32 exec_lo, exec_lo, s26
	v_cmp_lt_u32_e64 s25, v89, v177
	s_delay_alu instid0(VALU_DEP_1)
	s_and_saveexec_b32 s27, s25
	s_cbranch_execz .LBB712_792
.LBB712_777:                            ;   in Loop: Header=BB712_688 Depth=2
	ds_load_b64 v[36:37], v110 offset:20480
	s_waitcnt lgkmcnt(0)
	v_lshrrev_b64 v[40:41], s40, v[36:37]
	v_xor_b32_e32 v37, 0x7fffffff, v37
	v_not_b32_e32 v36, v36
	s_delay_alu instid0(VALU_DEP_3) | instskip(NEXT) | instid1(VALU_DEP_1)
	v_and_b32_e32 v2, s42, v40
	v_lshlrev_b32_e32 v2, 2, v2
	ds_load_b32 v2, v2
	s_waitcnt lgkmcnt(0)
	v_add_nc_u32_e32 v2, v2, v89
	s_delay_alu instid0(VALU_DEP_1) | instskip(NEXT) | instid1(VALU_DEP_1)
	v_lshlrev_b64 v[40:41], 3, v[2:3]
	v_add_co_u32 v40, s26, s46, v40
	s_delay_alu instid0(VALU_DEP_1) | instskip(SKIP_3) | instid1(VALU_DEP_1)
	v_add_co_ci_u32_e64 v41, s26, s47, v41, s26
	global_store_b64 v[40:41], v[36:37], off
	s_or_b32 exec_lo, exec_lo, s27
	v_cmp_lt_u32_e64 s26, v90, v177
	s_and_saveexec_b32 s29, s26
	s_cbranch_execnz .LBB712_793
.LBB712_778:                            ;   in Loop: Header=BB712_688 Depth=2
	s_or_b32 exec_lo, exec_lo, s29
	v_cmp_lt_u32_e64 s27, v91, v177
	s_delay_alu instid0(VALU_DEP_1)
	s_and_saveexec_b32 s30, s27
	s_cbranch_execz .LBB712_794
.LBB712_779:                            ;   in Loop: Header=BB712_688 Depth=2
	ds_load_b64 v[36:37], v110 offset:24576
	s_waitcnt lgkmcnt(0)
	v_lshrrev_b64 v[40:41], s40, v[36:37]
	v_xor_b32_e32 v37, 0x7fffffff, v37
	v_not_b32_e32 v36, v36
	s_delay_alu instid0(VALU_DEP_3) | instskip(NEXT) | instid1(VALU_DEP_1)
	v_and_b32_e32 v2, s42, v40
	v_lshlrev_b32_e32 v2, 2, v2
	ds_load_b32 v2, v2
	s_waitcnt lgkmcnt(0)
	v_add_nc_u32_e32 v2, v2, v91
	s_delay_alu instid0(VALU_DEP_1) | instskip(NEXT) | instid1(VALU_DEP_1)
	v_lshlrev_b64 v[40:41], 3, v[2:3]
	v_add_co_u32 v40, s29, s46, v40
	s_delay_alu instid0(VALU_DEP_1) | instskip(SKIP_3) | instid1(VALU_DEP_1)
	v_add_co_ci_u32_e64 v41, s29, s47, v41, s29
	global_store_b64 v[40:41], v[36:37], off
	s_or_b32 exec_lo, exec_lo, s30
	v_cmp_lt_u32_e64 s29, v92, v177
	s_and_saveexec_b32 s31, s29
	s_cbranch_execnz .LBB712_795
.LBB712_780:                            ;   in Loop: Header=BB712_688 Depth=2
	s_or_b32 exec_lo, exec_lo, s31
	v_cmp_lt_u32_e64 s30, v93, v177
	s_delay_alu instid0(VALU_DEP_1)
	s_and_saveexec_b32 s33, s30
	s_cbranch_execz .LBB712_796
.LBB712_781:                            ;   in Loop: Header=BB712_688 Depth=2
	ds_load_b64 v[36:37], v110 offset:28672
	s_waitcnt lgkmcnt(0)
	v_lshrrev_b64 v[40:41], s40, v[36:37]
	v_xor_b32_e32 v37, 0x7fffffff, v37
	v_not_b32_e32 v36, v36
	s_delay_alu instid0(VALU_DEP_3) | instskip(NEXT) | instid1(VALU_DEP_1)
	v_and_b32_e32 v2, s42, v40
	v_lshlrev_b32_e32 v2, 2, v2
	ds_load_b32 v2, v2
	s_waitcnt lgkmcnt(0)
	v_add_nc_u32_e32 v2, v2, v93
	s_delay_alu instid0(VALU_DEP_1) | instskip(NEXT) | instid1(VALU_DEP_1)
	v_lshlrev_b64 v[40:41], 3, v[2:3]
	v_add_co_u32 v40, s31, s46, v40
	s_delay_alu instid0(VALU_DEP_1) | instskip(SKIP_3) | instid1(VALU_DEP_1)
	v_add_co_ci_u32_e64 v41, s31, s47, v41, s31
	global_store_b64 v[40:41], v[36:37], off
	s_or_b32 exec_lo, exec_lo, s33
	v_cmp_lt_u32_e64 s31, v95, v177
	s_and_saveexec_b32 s39, s31
	s_cbranch_execnz .LBB712_797
	s_branch .LBB712_798
.LBB712_782:                            ;   in Loop: Header=BB712_688 Depth=2
	s_or_b32 exec_lo, exec_lo, s17
	v_cmp_lt_u32_e64 s16, v77, v177
	s_delay_alu instid0(VALU_DEP_1)
	s_and_saveexec_b32 s18, s16
	s_cbranch_execz .LBB712_768
.LBB712_783:                            ;   in Loop: Header=BB712_688 Depth=2
	ds_load_b64 v[36:37], v110 offset:2048
	s_waitcnt lgkmcnt(0)
	v_lshrrev_b64 v[40:41], s40, v[36:37]
	v_xor_b32_e32 v37, 0x7fffffff, v37
	v_not_b32_e32 v36, v36
	s_delay_alu instid0(VALU_DEP_3) | instskip(NEXT) | instid1(VALU_DEP_1)
	v_and_b32_e32 v2, s42, v40
	v_lshlrev_b32_e32 v2, 2, v2
	ds_load_b32 v2, v2
	s_waitcnt lgkmcnt(0)
	v_add_nc_u32_e32 v2, v2, v77
	s_delay_alu instid0(VALU_DEP_1) | instskip(NEXT) | instid1(VALU_DEP_1)
	v_lshlrev_b64 v[40:41], 3, v[2:3]
	v_add_co_u32 v40, s17, s46, v40
	s_delay_alu instid0(VALU_DEP_1) | instskip(SKIP_3) | instid1(VALU_DEP_1)
	v_add_co_ci_u32_e64 v41, s17, s47, v41, s17
	global_store_b64 v[40:41], v[36:37], off
	s_or_b32 exec_lo, exec_lo, s18
	v_cmp_lt_u32_e64 s17, v78, v177
	s_and_saveexec_b32 s19, s17
	s_cbranch_execnz .LBB712_769
.LBB712_784:                            ;   in Loop: Header=BB712_688 Depth=2
	s_or_b32 exec_lo, exec_lo, s19
	v_cmp_lt_u32_e64 s18, v79, v177
	s_delay_alu instid0(VALU_DEP_1)
	s_and_saveexec_b32 s20, s18
	s_cbranch_execz .LBB712_770
.LBB712_785:                            ;   in Loop: Header=BB712_688 Depth=2
	ds_load_b64 v[36:37], v110 offset:6144
	s_waitcnt lgkmcnt(0)
	v_lshrrev_b64 v[40:41], s40, v[36:37]
	v_xor_b32_e32 v37, 0x7fffffff, v37
	v_not_b32_e32 v36, v36
	s_delay_alu instid0(VALU_DEP_3) | instskip(NEXT) | instid1(VALU_DEP_1)
	v_and_b32_e32 v2, s42, v40
	v_lshlrev_b32_e32 v2, 2, v2
	ds_load_b32 v2, v2
	s_waitcnt lgkmcnt(0)
	v_add_nc_u32_e32 v2, v2, v79
	s_delay_alu instid0(VALU_DEP_1) | instskip(NEXT) | instid1(VALU_DEP_1)
	v_lshlrev_b64 v[40:41], 3, v[2:3]
	v_add_co_u32 v40, s19, s46, v40
	s_delay_alu instid0(VALU_DEP_1) | instskip(SKIP_3) | instid1(VALU_DEP_1)
	v_add_co_ci_u32_e64 v41, s19, s47, v41, s19
	global_store_b64 v[40:41], v[36:37], off
	s_or_b32 exec_lo, exec_lo, s20
	v_cmp_lt_u32_e64 s19, v83, v177
	s_and_saveexec_b32 s21, s19
	s_cbranch_execnz .LBB712_771
.LBB712_786:                            ;   in Loop: Header=BB712_688 Depth=2
	s_or_b32 exec_lo, exec_lo, s21
	v_cmp_lt_u32_e64 s20, v84, v177
	s_delay_alu instid0(VALU_DEP_1)
	s_and_saveexec_b32 s22, s20
	s_cbranch_execz .LBB712_772
.LBB712_787:                            ;   in Loop: Header=BB712_688 Depth=2
	ds_load_b64 v[36:37], v110 offset:10240
	s_waitcnt lgkmcnt(0)
	v_lshrrev_b64 v[40:41], s40, v[36:37]
	v_xor_b32_e32 v37, 0x7fffffff, v37
	v_not_b32_e32 v36, v36
	s_delay_alu instid0(VALU_DEP_3) | instskip(NEXT) | instid1(VALU_DEP_1)
	v_and_b32_e32 v2, s42, v40
	v_lshlrev_b32_e32 v2, 2, v2
	ds_load_b32 v2, v2
	s_waitcnt lgkmcnt(0)
	v_add_nc_u32_e32 v2, v2, v84
	s_delay_alu instid0(VALU_DEP_1) | instskip(NEXT) | instid1(VALU_DEP_1)
	v_lshlrev_b64 v[40:41], 3, v[2:3]
	v_add_co_u32 v40, s21, s46, v40
	s_delay_alu instid0(VALU_DEP_1) | instskip(SKIP_3) | instid1(VALU_DEP_1)
	v_add_co_ci_u32_e64 v41, s21, s47, v41, s21
	global_store_b64 v[40:41], v[36:37], off
	s_or_b32 exec_lo, exec_lo, s22
	v_cmp_lt_u32_e64 s21, v85, v177
	s_and_saveexec_b32 s23, s21
	s_cbranch_execnz .LBB712_773
.LBB712_788:                            ;   in Loop: Header=BB712_688 Depth=2
	s_or_b32 exec_lo, exec_lo, s23
	v_cmp_lt_u32_e64 s22, v86, v177
	s_delay_alu instid0(VALU_DEP_1)
	s_and_saveexec_b32 s24, s22
	s_cbranch_execz .LBB712_774
.LBB712_789:                            ;   in Loop: Header=BB712_688 Depth=2
	ds_load_b64 v[36:37], v110 offset:14336
	s_waitcnt lgkmcnt(0)
	v_lshrrev_b64 v[40:41], s40, v[36:37]
	v_xor_b32_e32 v37, 0x7fffffff, v37
	v_not_b32_e32 v36, v36
	s_delay_alu instid0(VALU_DEP_3) | instskip(NEXT) | instid1(VALU_DEP_1)
	v_and_b32_e32 v2, s42, v40
	v_lshlrev_b32_e32 v2, 2, v2
	ds_load_b32 v2, v2
	s_waitcnt lgkmcnt(0)
	v_add_nc_u32_e32 v2, v2, v86
	s_delay_alu instid0(VALU_DEP_1) | instskip(NEXT) | instid1(VALU_DEP_1)
	v_lshlrev_b64 v[40:41], 3, v[2:3]
	v_add_co_u32 v40, s23, s46, v40
	s_delay_alu instid0(VALU_DEP_1) | instskip(SKIP_3) | instid1(VALU_DEP_1)
	v_add_co_ci_u32_e64 v41, s23, s47, v41, s23
	global_store_b64 v[40:41], v[36:37], off
	s_or_b32 exec_lo, exec_lo, s24
	v_cmp_lt_u32_e64 s23, v87, v177
	s_and_saveexec_b32 s25, s23
	s_cbranch_execnz .LBB712_775
.LBB712_790:                            ;   in Loop: Header=BB712_688 Depth=2
	s_or_b32 exec_lo, exec_lo, s25
	v_cmp_lt_u32_e64 s24, v88, v177
	s_delay_alu instid0(VALU_DEP_1)
	s_and_saveexec_b32 s26, s24
	s_cbranch_execz .LBB712_776
.LBB712_791:                            ;   in Loop: Header=BB712_688 Depth=2
	ds_load_b64 v[36:37], v110 offset:18432
	s_waitcnt lgkmcnt(0)
	v_lshrrev_b64 v[40:41], s40, v[36:37]
	v_xor_b32_e32 v37, 0x7fffffff, v37
	v_not_b32_e32 v36, v36
	s_delay_alu instid0(VALU_DEP_3) | instskip(NEXT) | instid1(VALU_DEP_1)
	v_and_b32_e32 v2, s42, v40
	v_lshlrev_b32_e32 v2, 2, v2
	ds_load_b32 v2, v2
	s_waitcnt lgkmcnt(0)
	v_add_nc_u32_e32 v2, v2, v88
	s_delay_alu instid0(VALU_DEP_1) | instskip(NEXT) | instid1(VALU_DEP_1)
	v_lshlrev_b64 v[40:41], 3, v[2:3]
	v_add_co_u32 v40, s25, s46, v40
	s_delay_alu instid0(VALU_DEP_1) | instskip(SKIP_3) | instid1(VALU_DEP_1)
	v_add_co_ci_u32_e64 v41, s25, s47, v41, s25
	global_store_b64 v[40:41], v[36:37], off
	s_or_b32 exec_lo, exec_lo, s26
	v_cmp_lt_u32_e64 s25, v89, v177
	s_and_saveexec_b32 s27, s25
	s_cbranch_execnz .LBB712_777
.LBB712_792:                            ;   in Loop: Header=BB712_688 Depth=2
	s_or_b32 exec_lo, exec_lo, s27
	v_cmp_lt_u32_e64 s26, v90, v177
	s_delay_alu instid0(VALU_DEP_1)
	s_and_saveexec_b32 s29, s26
	s_cbranch_execz .LBB712_778
.LBB712_793:                            ;   in Loop: Header=BB712_688 Depth=2
	ds_load_b64 v[36:37], v110 offset:22528
	s_waitcnt lgkmcnt(0)
	v_lshrrev_b64 v[40:41], s40, v[36:37]
	v_xor_b32_e32 v37, 0x7fffffff, v37
	v_not_b32_e32 v36, v36
	s_delay_alu instid0(VALU_DEP_3) | instskip(NEXT) | instid1(VALU_DEP_1)
	v_and_b32_e32 v2, s42, v40
	v_lshlrev_b32_e32 v2, 2, v2
	ds_load_b32 v2, v2
	s_waitcnt lgkmcnt(0)
	v_add_nc_u32_e32 v2, v2, v90
	s_delay_alu instid0(VALU_DEP_1) | instskip(NEXT) | instid1(VALU_DEP_1)
	v_lshlrev_b64 v[40:41], 3, v[2:3]
	v_add_co_u32 v40, s27, s46, v40
	s_delay_alu instid0(VALU_DEP_1) | instskip(SKIP_3) | instid1(VALU_DEP_1)
	v_add_co_ci_u32_e64 v41, s27, s47, v41, s27
	global_store_b64 v[40:41], v[36:37], off
	s_or_b32 exec_lo, exec_lo, s29
	v_cmp_lt_u32_e64 s27, v91, v177
	s_and_saveexec_b32 s30, s27
	s_cbranch_execnz .LBB712_779
.LBB712_794:                            ;   in Loop: Header=BB712_688 Depth=2
	s_or_b32 exec_lo, exec_lo, s30
	v_cmp_lt_u32_e64 s29, v92, v177
	s_delay_alu instid0(VALU_DEP_1)
	s_and_saveexec_b32 s31, s29
	s_cbranch_execz .LBB712_780
.LBB712_795:                            ;   in Loop: Header=BB712_688 Depth=2
	ds_load_b64 v[36:37], v110 offset:26624
	s_waitcnt lgkmcnt(0)
	v_lshrrev_b64 v[40:41], s40, v[36:37]
	v_xor_b32_e32 v37, 0x7fffffff, v37
	v_not_b32_e32 v36, v36
	s_delay_alu instid0(VALU_DEP_3) | instskip(NEXT) | instid1(VALU_DEP_1)
	v_and_b32_e32 v2, s42, v40
	v_lshlrev_b32_e32 v2, 2, v2
	ds_load_b32 v2, v2
	s_waitcnt lgkmcnt(0)
	v_add_nc_u32_e32 v2, v2, v92
	s_delay_alu instid0(VALU_DEP_1) | instskip(NEXT) | instid1(VALU_DEP_1)
	v_lshlrev_b64 v[40:41], 3, v[2:3]
	v_add_co_u32 v40, s30, s46, v40
	s_delay_alu instid0(VALU_DEP_1) | instskip(SKIP_3) | instid1(VALU_DEP_1)
	v_add_co_ci_u32_e64 v41, s30, s47, v41, s30
	global_store_b64 v[40:41], v[36:37], off
	s_or_b32 exec_lo, exec_lo, s31
	v_cmp_lt_u32_e64 s30, v93, v177
	s_and_saveexec_b32 s33, s30
	s_cbranch_execnz .LBB712_781
.LBB712_796:                            ;   in Loop: Header=BB712_688 Depth=2
	s_or_b32 exec_lo, exec_lo, s33
	v_cmp_lt_u32_e64 s31, v95, v177
	s_delay_alu instid0(VALU_DEP_1)
	s_and_saveexec_b32 s39, s31
	s_cbranch_execz .LBB712_798
.LBB712_797:                            ;   in Loop: Header=BB712_688 Depth=2
	ds_load_b64 v[36:37], v110 offset:30720
	s_waitcnt lgkmcnt(0)
	v_lshrrev_b64 v[40:41], s40, v[36:37]
	v_xor_b32_e32 v37, 0x7fffffff, v37
	v_not_b32_e32 v36, v36
	s_delay_alu instid0(VALU_DEP_3) | instskip(NEXT) | instid1(VALU_DEP_1)
	v_and_b32_e32 v2, s42, v40
	v_lshlrev_b32_e32 v2, 2, v2
	ds_load_b32 v2, v2
	s_waitcnt lgkmcnt(0)
	v_add_nc_u32_e32 v2, v2, v95
	s_delay_alu instid0(VALU_DEP_1) | instskip(NEXT) | instid1(VALU_DEP_1)
	v_lshlrev_b64 v[40:41], 3, v[2:3]
	v_add_co_u32 v40, s33, s46, v40
	s_delay_alu instid0(VALU_DEP_1)
	v_add_co_ci_u32_e64 v41, s33, s47, v41, s33
	global_store_b64 v[40:41], v[36:37], off
.LBB712_798:                            ;   in Loop: Header=BB712_688 Depth=2
	s_or_b32 exec_lo, exec_lo, s39
	s_mov_b32 s39, s34
	s_delay_alu instid0(SALU_CYCLE_1) | instskip(NEXT) | instid1(SALU_CYCLE_1)
	s_lshl_b64 s[38:39], s[38:39], 3
	v_add_co_u32 v36, s33, v139, s38
	s_delay_alu instid0(VALU_DEP_1) | instskip(SKIP_1) | instid1(VALU_DEP_1)
	v_add_co_ci_u32_e64 v37, s33, s39, v140, s33
	v_cmp_lt_u32_e64 s33, v138, v177
	s_and_saveexec_b32 s38, s33
	s_delay_alu instid0(SALU_CYCLE_1)
	s_xor_b32 s33, exec_lo, s38
	s_cbranch_execz .LBB712_830
; %bb.799:                              ;   in Loop: Header=BB712_688 Depth=2
	global_load_b64 v[34:35], v[36:37], off
	s_or_b32 exec_lo, exec_lo, s33
	s_delay_alu instid0(SALU_CYCLE_1)
	s_mov_b32 s38, exec_lo
	v_cmpx_lt_u32_e64 v141, v177
	s_cbranch_execnz .LBB712_831
.LBB712_800:                            ;   in Loop: Header=BB712_688 Depth=2
	s_or_b32 exec_lo, exec_lo, s38
	s_delay_alu instid0(SALU_CYCLE_1)
	s_mov_b32 s38, exec_lo
	v_cmpx_lt_u32_e64 v142, v177
	s_cbranch_execz .LBB712_832
.LBB712_801:                            ;   in Loop: Header=BB712_688 Depth=2
	global_load_b64 v[30:31], v[36:37], off offset:512
	s_or_b32 exec_lo, exec_lo, s38
	s_delay_alu instid0(SALU_CYCLE_1)
	s_mov_b32 s38, exec_lo
	v_cmpx_lt_u32_e64 v143, v177
	s_cbranch_execnz .LBB712_833
.LBB712_802:                            ;   in Loop: Header=BB712_688 Depth=2
	s_or_b32 exec_lo, exec_lo, s38
	s_delay_alu instid0(SALU_CYCLE_1)
	s_mov_b32 s38, exec_lo
	v_cmpx_lt_u32_e64 v144, v177
	s_cbranch_execz .LBB712_834
.LBB712_803:                            ;   in Loop: Header=BB712_688 Depth=2
	global_load_b64 v[26:27], v[36:37], off offset:1024
	s_or_b32 exec_lo, exec_lo, s38
	s_delay_alu instid0(SALU_CYCLE_1)
	s_mov_b32 s38, exec_lo
	v_cmpx_lt_u32_e64 v145, v177
	s_cbranch_execnz .LBB712_835
.LBB712_804:                            ;   in Loop: Header=BB712_688 Depth=2
	s_or_b32 exec_lo, exec_lo, s38
	s_delay_alu instid0(SALU_CYCLE_1)
	s_mov_b32 s38, exec_lo
	v_cmpx_lt_u32_e64 v146, v177
	s_cbranch_execz .LBB712_836
.LBB712_805:                            ;   in Loop: Header=BB712_688 Depth=2
	global_load_b64 v[22:23], v[36:37], off offset:1536
	s_or_b32 exec_lo, exec_lo, s38
	s_delay_alu instid0(SALU_CYCLE_1)
	s_mov_b32 s38, exec_lo
	v_cmpx_lt_u32_e64 v147, v177
	s_cbranch_execnz .LBB712_837
.LBB712_806:                            ;   in Loop: Header=BB712_688 Depth=2
	s_or_b32 exec_lo, exec_lo, s38
	s_delay_alu instid0(SALU_CYCLE_1)
	s_mov_b32 s38, exec_lo
	v_cmpx_lt_u32_e64 v148, v177
	s_cbranch_execz .LBB712_838
.LBB712_807:                            ;   in Loop: Header=BB712_688 Depth=2
	global_load_b64 v[18:19], v[36:37], off offset:2048
	s_or_b32 exec_lo, exec_lo, s38
	s_delay_alu instid0(SALU_CYCLE_1)
	s_mov_b32 s38, exec_lo
	v_cmpx_lt_u32_e64 v149, v177
	s_cbranch_execnz .LBB712_839
.LBB712_808:                            ;   in Loop: Header=BB712_688 Depth=2
	s_or_b32 exec_lo, exec_lo, s38
	s_delay_alu instid0(SALU_CYCLE_1)
	s_mov_b32 s38, exec_lo
	v_cmpx_lt_u32_e64 v150, v177
	s_cbranch_execz .LBB712_840
.LBB712_809:                            ;   in Loop: Header=BB712_688 Depth=2
	global_load_b64 v[14:15], v[36:37], off offset:2560
	s_or_b32 exec_lo, exec_lo, s38
	s_delay_alu instid0(SALU_CYCLE_1)
	s_mov_b32 s38, exec_lo
	v_cmpx_lt_u32_e64 v151, v177
	s_cbranch_execnz .LBB712_841
.LBB712_810:                            ;   in Loop: Header=BB712_688 Depth=2
	s_or_b32 exec_lo, exec_lo, s38
	s_delay_alu instid0(SALU_CYCLE_1)
	s_mov_b32 s38, exec_lo
	v_cmpx_lt_u32_e64 v152, v177
	s_cbranch_execz .LBB712_842
.LBB712_811:                            ;   in Loop: Header=BB712_688 Depth=2
	global_load_b64 v[10:11], v[36:37], off offset:3072
	s_or_b32 exec_lo, exec_lo, s38
	s_delay_alu instid0(SALU_CYCLE_1)
	s_mov_b32 s38, exec_lo
	v_cmpx_lt_u32_e64 v153, v177
	s_cbranch_execnz .LBB712_843
.LBB712_812:                            ;   in Loop: Header=BB712_688 Depth=2
	s_or_b32 exec_lo, exec_lo, s38
	s_delay_alu instid0(SALU_CYCLE_1)
	s_mov_b32 s38, exec_lo
	v_cmpx_lt_u32_e64 v154, v177
	s_cbranch_execz .LBB712_844
.LBB712_813:                            ;   in Loop: Header=BB712_688 Depth=2
	global_load_b64 v[6:7], v[36:37], off offset:3584
	s_or_b32 exec_lo, exec_lo, s38
	s_delay_alu instid0(SALU_CYCLE_1)
	s_mov_b32 s38, exec_lo
	v_cmpx_lt_u32_e64 v155, v177
	s_cbranch_execnz .LBB712_845
.LBB712_814:                            ;   in Loop: Header=BB712_688 Depth=2
	s_or_b32 exec_lo, exec_lo, s38
	s_and_saveexec_b32 s33, vcc_lo
	s_cbranch_execz .LBB712_846
.LBB712_815:                            ;   in Loop: Header=BB712_688 Depth=2
	v_add_nc_u32_e32 v2, v104, v76
	ds_load_b64 v[36:37], v2 offset:1024
	s_waitcnt lgkmcnt(0)
	v_lshrrev_b64 v[36:37], s40, v[36:37]
	s_delay_alu instid0(VALU_DEP_1)
	v_and_b32_e32 v176, s42, v36
	s_or_b32 exec_lo, exec_lo, s33
	s_and_saveexec_b32 s33, s16
	s_cbranch_execnz .LBB712_847
.LBB712_816:                            ;   in Loop: Header=BB712_688 Depth=2
	s_or_b32 exec_lo, exec_lo, s33
	s_and_saveexec_b32 s33, s17
	s_cbranch_execz .LBB712_848
.LBB712_817:                            ;   in Loop: Header=BB712_688 Depth=2
	ds_load_b64 v[36:37], v110 offset:4096
	s_waitcnt lgkmcnt(0)
	v_lshrrev_b64 v[36:37], s40, v[36:37]
	s_delay_alu instid0(VALU_DEP_1)
	v_and_b32_e32 v174, s42, v36
	s_or_b32 exec_lo, exec_lo, s33
	s_and_saveexec_b32 s33, s18
	s_cbranch_execnz .LBB712_849
.LBB712_818:                            ;   in Loop: Header=BB712_688 Depth=2
	s_or_b32 exec_lo, exec_lo, s33
	s_and_saveexec_b32 s33, s19
	s_cbranch_execz .LBB712_850
.LBB712_819:                            ;   in Loop: Header=BB712_688 Depth=2
	ds_load_b64 v[36:37], v110 offset:8192
	s_waitcnt lgkmcnt(0)
	v_lshrrev_b64 v[36:37], s40, v[36:37]
	s_delay_alu instid0(VALU_DEP_1)
	v_and_b32_e32 v172, s42, v36
	s_or_b32 exec_lo, exec_lo, s33
	s_and_saveexec_b32 s33, s20
	s_cbranch_execnz .LBB712_851
.LBB712_820:                            ;   in Loop: Header=BB712_688 Depth=2
	s_or_b32 exec_lo, exec_lo, s33
	s_and_saveexec_b32 s33, s21
	s_cbranch_execz .LBB712_852
.LBB712_821:                            ;   in Loop: Header=BB712_688 Depth=2
	ds_load_b64 v[36:37], v110 offset:12288
	s_waitcnt lgkmcnt(0)
	v_lshrrev_b64 v[36:37], s40, v[36:37]
	s_delay_alu instid0(VALU_DEP_1)
	v_and_b32_e32 v170, s42, v36
	s_or_b32 exec_lo, exec_lo, s33
	s_and_saveexec_b32 s33, s22
	s_cbranch_execnz .LBB712_853
.LBB712_822:                            ;   in Loop: Header=BB712_688 Depth=2
	s_or_b32 exec_lo, exec_lo, s33
	s_and_saveexec_b32 s33, s23
	s_cbranch_execz .LBB712_854
.LBB712_823:                            ;   in Loop: Header=BB712_688 Depth=2
	ds_load_b64 v[36:37], v110 offset:16384
	s_waitcnt lgkmcnt(0)
	v_lshrrev_b64 v[36:37], s40, v[36:37]
	s_delay_alu instid0(VALU_DEP_1)
	v_and_b32_e32 v168, s42, v36
	s_or_b32 exec_lo, exec_lo, s33
	s_and_saveexec_b32 s33, s24
	s_cbranch_execnz .LBB712_855
.LBB712_824:                            ;   in Loop: Header=BB712_688 Depth=2
	s_or_b32 exec_lo, exec_lo, s33
	s_and_saveexec_b32 s33, s25
	s_cbranch_execz .LBB712_856
.LBB712_825:                            ;   in Loop: Header=BB712_688 Depth=2
	ds_load_b64 v[36:37], v110 offset:20480
	s_waitcnt lgkmcnt(0)
	v_lshrrev_b64 v[36:37], s40, v[36:37]
	s_delay_alu instid0(VALU_DEP_1)
	v_and_b32_e32 v166, s42, v36
	s_or_b32 exec_lo, exec_lo, s33
	s_and_saveexec_b32 s33, s26
	s_cbranch_execnz .LBB712_857
.LBB712_826:                            ;   in Loop: Header=BB712_688 Depth=2
	s_or_b32 exec_lo, exec_lo, s33
	s_and_saveexec_b32 s33, s27
	s_cbranch_execz .LBB712_858
.LBB712_827:                            ;   in Loop: Header=BB712_688 Depth=2
	ds_load_b64 v[36:37], v110 offset:24576
	s_waitcnt lgkmcnt(0)
	v_lshrrev_b64 v[36:37], s40, v[36:37]
	s_delay_alu instid0(VALU_DEP_1)
	v_and_b32_e32 v164, s42, v36
	s_or_b32 exec_lo, exec_lo, s33
	s_and_saveexec_b32 s33, s29
	s_cbranch_execnz .LBB712_859
.LBB712_828:                            ;   in Loop: Header=BB712_688 Depth=2
	s_or_b32 exec_lo, exec_lo, s33
	s_and_saveexec_b32 s33, s30
	s_cbranch_execz .LBB712_860
.LBB712_829:                            ;   in Loop: Header=BB712_688 Depth=2
	ds_load_b64 v[36:37], v110 offset:28672
	s_waitcnt lgkmcnt(0)
	v_lshrrev_b64 v[36:37], s40, v[36:37]
	s_delay_alu instid0(VALU_DEP_1)
	v_and_b32_e32 v162, s42, v36
	s_or_b32 exec_lo, exec_lo, s33
	s_and_saveexec_b32 s33, s31
	s_cbranch_execnz .LBB712_861
	s_branch .LBB712_862
.LBB712_830:                            ;   in Loop: Header=BB712_688 Depth=2
	s_or_b32 exec_lo, exec_lo, s33
	s_delay_alu instid0(SALU_CYCLE_1)
	s_mov_b32 s38, exec_lo
	v_cmpx_lt_u32_e64 v141, v177
	s_cbranch_execz .LBB712_800
.LBB712_831:                            ;   in Loop: Header=BB712_688 Depth=2
	global_load_b64 v[32:33], v[36:37], off offset:256
	s_or_b32 exec_lo, exec_lo, s38
	s_delay_alu instid0(SALU_CYCLE_1)
	s_mov_b32 s38, exec_lo
	v_cmpx_lt_u32_e64 v142, v177
	s_cbranch_execnz .LBB712_801
.LBB712_832:                            ;   in Loop: Header=BB712_688 Depth=2
	s_or_b32 exec_lo, exec_lo, s38
	s_delay_alu instid0(SALU_CYCLE_1)
	s_mov_b32 s38, exec_lo
	v_cmpx_lt_u32_e64 v143, v177
	s_cbranch_execz .LBB712_802
.LBB712_833:                            ;   in Loop: Header=BB712_688 Depth=2
	global_load_b64 v[28:29], v[36:37], off offset:768
	s_or_b32 exec_lo, exec_lo, s38
	s_delay_alu instid0(SALU_CYCLE_1)
	s_mov_b32 s38, exec_lo
	v_cmpx_lt_u32_e64 v144, v177
	s_cbranch_execnz .LBB712_803
.LBB712_834:                            ;   in Loop: Header=BB712_688 Depth=2
	s_or_b32 exec_lo, exec_lo, s38
	s_delay_alu instid0(SALU_CYCLE_1)
	s_mov_b32 s38, exec_lo
	v_cmpx_lt_u32_e64 v145, v177
	s_cbranch_execz .LBB712_804
.LBB712_835:                            ;   in Loop: Header=BB712_688 Depth=2
	global_load_b64 v[24:25], v[36:37], off offset:1280
	s_or_b32 exec_lo, exec_lo, s38
	s_delay_alu instid0(SALU_CYCLE_1)
	s_mov_b32 s38, exec_lo
	v_cmpx_lt_u32_e64 v146, v177
	s_cbranch_execnz .LBB712_805
.LBB712_836:                            ;   in Loop: Header=BB712_688 Depth=2
	s_or_b32 exec_lo, exec_lo, s38
	s_delay_alu instid0(SALU_CYCLE_1)
	s_mov_b32 s38, exec_lo
	v_cmpx_lt_u32_e64 v147, v177
	s_cbranch_execz .LBB712_806
.LBB712_837:                            ;   in Loop: Header=BB712_688 Depth=2
	global_load_b64 v[20:21], v[36:37], off offset:1792
	s_or_b32 exec_lo, exec_lo, s38
	s_delay_alu instid0(SALU_CYCLE_1)
	s_mov_b32 s38, exec_lo
	v_cmpx_lt_u32_e64 v148, v177
	s_cbranch_execnz .LBB712_807
.LBB712_838:                            ;   in Loop: Header=BB712_688 Depth=2
	s_or_b32 exec_lo, exec_lo, s38
	s_delay_alu instid0(SALU_CYCLE_1)
	s_mov_b32 s38, exec_lo
	v_cmpx_lt_u32_e64 v149, v177
	s_cbranch_execz .LBB712_808
.LBB712_839:                            ;   in Loop: Header=BB712_688 Depth=2
	global_load_b64 v[16:17], v[36:37], off offset:2304
	s_or_b32 exec_lo, exec_lo, s38
	s_delay_alu instid0(SALU_CYCLE_1)
	s_mov_b32 s38, exec_lo
	v_cmpx_lt_u32_e64 v150, v177
	s_cbranch_execnz .LBB712_809
.LBB712_840:                            ;   in Loop: Header=BB712_688 Depth=2
	s_or_b32 exec_lo, exec_lo, s38
	s_delay_alu instid0(SALU_CYCLE_1)
	s_mov_b32 s38, exec_lo
	v_cmpx_lt_u32_e64 v151, v177
	s_cbranch_execz .LBB712_810
.LBB712_841:                            ;   in Loop: Header=BB712_688 Depth=2
	global_load_b64 v[12:13], v[36:37], off offset:2816
	s_or_b32 exec_lo, exec_lo, s38
	s_delay_alu instid0(SALU_CYCLE_1)
	s_mov_b32 s38, exec_lo
	v_cmpx_lt_u32_e64 v152, v177
	s_cbranch_execnz .LBB712_811
.LBB712_842:                            ;   in Loop: Header=BB712_688 Depth=2
	s_or_b32 exec_lo, exec_lo, s38
	s_delay_alu instid0(SALU_CYCLE_1)
	s_mov_b32 s38, exec_lo
	v_cmpx_lt_u32_e64 v153, v177
	s_cbranch_execz .LBB712_812
.LBB712_843:                            ;   in Loop: Header=BB712_688 Depth=2
	global_load_b64 v[8:9], v[36:37], off offset:3328
	s_or_b32 exec_lo, exec_lo, s38
	s_delay_alu instid0(SALU_CYCLE_1)
	s_mov_b32 s38, exec_lo
	v_cmpx_lt_u32_e64 v154, v177
	s_cbranch_execnz .LBB712_813
.LBB712_844:                            ;   in Loop: Header=BB712_688 Depth=2
	s_or_b32 exec_lo, exec_lo, s38
	s_delay_alu instid0(SALU_CYCLE_1)
	s_mov_b32 s38, exec_lo
	v_cmpx_lt_u32_e64 v155, v177
	s_cbranch_execz .LBB712_814
.LBB712_845:                            ;   in Loop: Header=BB712_688 Depth=2
	global_load_b64 v[4:5], v[36:37], off offset:3840
	s_or_b32 exec_lo, exec_lo, s38
	s_and_saveexec_b32 s33, vcc_lo
	s_cbranch_execnz .LBB712_815
.LBB712_846:                            ;   in Loop: Header=BB712_688 Depth=2
	s_or_b32 exec_lo, exec_lo, s33
	s_and_saveexec_b32 s33, s16
	s_cbranch_execz .LBB712_816
.LBB712_847:                            ;   in Loop: Header=BB712_688 Depth=2
	ds_load_b64 v[36:37], v110 offset:2048
	s_waitcnt lgkmcnt(0)
	v_lshrrev_b64 v[36:37], s40, v[36:37]
	s_delay_alu instid0(VALU_DEP_1)
	v_and_b32_e32 v175, s42, v36
	s_or_b32 exec_lo, exec_lo, s33
	s_and_saveexec_b32 s33, s17
	s_cbranch_execnz .LBB712_817
.LBB712_848:                            ;   in Loop: Header=BB712_688 Depth=2
	s_or_b32 exec_lo, exec_lo, s33
	s_and_saveexec_b32 s33, s18
	s_cbranch_execz .LBB712_818
.LBB712_849:                            ;   in Loop: Header=BB712_688 Depth=2
	ds_load_b64 v[36:37], v110 offset:6144
	s_waitcnt lgkmcnt(0)
	v_lshrrev_b64 v[36:37], s40, v[36:37]
	s_delay_alu instid0(VALU_DEP_1)
	v_and_b32_e32 v173, s42, v36
	s_or_b32 exec_lo, exec_lo, s33
	s_and_saveexec_b32 s33, s19
	s_cbranch_execnz .LBB712_819
.LBB712_850:                            ;   in Loop: Header=BB712_688 Depth=2
	s_or_b32 exec_lo, exec_lo, s33
	s_and_saveexec_b32 s33, s20
	s_cbranch_execz .LBB712_820
.LBB712_851:                            ;   in Loop: Header=BB712_688 Depth=2
	ds_load_b64 v[36:37], v110 offset:10240
	s_waitcnt lgkmcnt(0)
	v_lshrrev_b64 v[36:37], s40, v[36:37]
	s_delay_alu instid0(VALU_DEP_1)
	v_and_b32_e32 v171, s42, v36
	s_or_b32 exec_lo, exec_lo, s33
	s_and_saveexec_b32 s33, s21
	s_cbranch_execnz .LBB712_821
.LBB712_852:                            ;   in Loop: Header=BB712_688 Depth=2
	s_or_b32 exec_lo, exec_lo, s33
	s_and_saveexec_b32 s33, s22
	s_cbranch_execz .LBB712_822
.LBB712_853:                            ;   in Loop: Header=BB712_688 Depth=2
	ds_load_b64 v[36:37], v110 offset:14336
	s_waitcnt lgkmcnt(0)
	v_lshrrev_b64 v[36:37], s40, v[36:37]
	s_delay_alu instid0(VALU_DEP_1)
	v_and_b32_e32 v169, s42, v36
	s_or_b32 exec_lo, exec_lo, s33
	s_and_saveexec_b32 s33, s23
	s_cbranch_execnz .LBB712_823
.LBB712_854:                            ;   in Loop: Header=BB712_688 Depth=2
	s_or_b32 exec_lo, exec_lo, s33
	s_and_saveexec_b32 s33, s24
	s_cbranch_execz .LBB712_824
.LBB712_855:                            ;   in Loop: Header=BB712_688 Depth=2
	ds_load_b64 v[36:37], v110 offset:18432
	s_waitcnt lgkmcnt(0)
	v_lshrrev_b64 v[36:37], s40, v[36:37]
	s_delay_alu instid0(VALU_DEP_1)
	v_and_b32_e32 v167, s42, v36
	s_or_b32 exec_lo, exec_lo, s33
	s_and_saveexec_b32 s33, s25
	s_cbranch_execnz .LBB712_825
.LBB712_856:                            ;   in Loop: Header=BB712_688 Depth=2
	s_or_b32 exec_lo, exec_lo, s33
	s_and_saveexec_b32 s33, s26
	s_cbranch_execz .LBB712_826
.LBB712_857:                            ;   in Loop: Header=BB712_688 Depth=2
	ds_load_b64 v[36:37], v110 offset:22528
	s_waitcnt lgkmcnt(0)
	v_lshrrev_b64 v[36:37], s40, v[36:37]
	s_delay_alu instid0(VALU_DEP_1)
	v_and_b32_e32 v165, s42, v36
	s_or_b32 exec_lo, exec_lo, s33
	s_and_saveexec_b32 s33, s27
	s_cbranch_execnz .LBB712_827
.LBB712_858:                            ;   in Loop: Header=BB712_688 Depth=2
	s_or_b32 exec_lo, exec_lo, s33
	s_and_saveexec_b32 s33, s29
	s_cbranch_execz .LBB712_828
.LBB712_859:                            ;   in Loop: Header=BB712_688 Depth=2
	ds_load_b64 v[36:37], v110 offset:26624
	s_waitcnt lgkmcnt(0)
	v_lshrrev_b64 v[36:37], s40, v[36:37]
	s_delay_alu instid0(VALU_DEP_1)
	v_and_b32_e32 v163, s42, v36
	s_or_b32 exec_lo, exec_lo, s33
	s_and_saveexec_b32 s33, s30
	s_cbranch_execnz .LBB712_829
.LBB712_860:                            ;   in Loop: Header=BB712_688 Depth=2
	s_or_b32 exec_lo, exec_lo, s33
	s_and_saveexec_b32 s33, s31
	s_cbranch_execz .LBB712_862
.LBB712_861:                            ;   in Loop: Header=BB712_688 Depth=2
	ds_load_b64 v[36:37], v110 offset:30720
	s_waitcnt lgkmcnt(0)
	v_lshrrev_b64 v[36:37], s40, v[36:37]
	s_delay_alu instid0(VALU_DEP_1)
	v_and_b32_e32 v161, s42, v36
.LBB712_862:                            ;   in Loop: Header=BB712_688 Depth=2
	s_or_b32 exec_lo, exec_lo, s33
	v_add_nc_u32_e32 v2, 0x400, v69
	v_add_nc_u32_e32 v36, 0x400, v70
	;; [unrolled: 1-line block ×16, first 2 shown]
	s_waitcnt vmcnt(0)
	s_waitcnt_vscnt null, 0x0
	s_barrier
	buffer_gl0_inv
	ds_store_b64 v2, v[34:35]
	ds_store_b64 v36, v[32:33]
	;; [unrolled: 1-line block ×16, first 2 shown]
	s_waitcnt lgkmcnt(0)
	s_barrier
	buffer_gl0_inv
	s_and_saveexec_b32 s33, vcc_lo
	s_cbranch_execz .LBB712_878
; %bb.863:                              ;   in Loop: Header=BB712_688 Depth=2
	v_lshlrev_b32_e32 v2, 2, v176
	v_add_nc_u32_e32 v36, v104, v76
	ds_load_b32 v2, v2
	ds_load_b64 v[36:37], v36 offset:1024
	s_waitcnt lgkmcnt(1)
	v_add_nc_u32_e32 v2, v2, v1
	s_delay_alu instid0(VALU_DEP_1) | instskip(NEXT) | instid1(VALU_DEP_1)
	v_lshlrev_b64 v[38:39], 3, v[2:3]
	v_add_co_u32 v38, vcc_lo, s52, v38
	s_delay_alu instid0(VALU_DEP_2)
	v_add_co_ci_u32_e32 v39, vcc_lo, s53, v39, vcc_lo
	s_waitcnt lgkmcnt(0)
	global_store_b64 v[38:39], v[36:37], off
	s_or_b32 exec_lo, exec_lo, s33
	s_and_saveexec_b32 s33, s16
	s_cbranch_execnz .LBB712_879
.LBB712_864:                            ;   in Loop: Header=BB712_688 Depth=2
	s_or_b32 exec_lo, exec_lo, s33
	s_and_saveexec_b32 s16, s17
	s_cbranch_execz .LBB712_880
.LBB712_865:                            ;   in Loop: Header=BB712_688 Depth=2
	v_lshlrev_b32_e32 v2, 2, v174
	ds_load_b32 v2, v2
	ds_load_b64 v[36:37], v110 offset:4096
	s_waitcnt lgkmcnt(1)
	v_add_nc_u32_e32 v2, v2, v78
	s_delay_alu instid0(VALU_DEP_1) | instskip(NEXT) | instid1(VALU_DEP_1)
	v_lshlrev_b64 v[38:39], 3, v[2:3]
	v_add_co_u32 v38, vcc_lo, s52, v38
	s_delay_alu instid0(VALU_DEP_2)
	v_add_co_ci_u32_e32 v39, vcc_lo, s53, v39, vcc_lo
	s_waitcnt lgkmcnt(0)
	global_store_b64 v[38:39], v[36:37], off
	s_or_b32 exec_lo, exec_lo, s16
	s_and_saveexec_b32 s16, s18
	s_cbranch_execnz .LBB712_881
.LBB712_866:                            ;   in Loop: Header=BB712_688 Depth=2
	s_or_b32 exec_lo, exec_lo, s16
	s_and_saveexec_b32 s16, s19
	s_cbranch_execz .LBB712_882
.LBB712_867:                            ;   in Loop: Header=BB712_688 Depth=2
	v_lshlrev_b32_e32 v2, 2, v172
	ds_load_b32 v2, v2
	ds_load_b64 v[36:37], v110 offset:8192
	s_waitcnt lgkmcnt(1)
	v_add_nc_u32_e32 v2, v2, v83
	s_delay_alu instid0(VALU_DEP_1) | instskip(NEXT) | instid1(VALU_DEP_1)
	v_lshlrev_b64 v[38:39], 3, v[2:3]
	v_add_co_u32 v38, vcc_lo, s52, v38
	s_delay_alu instid0(VALU_DEP_2)
	v_add_co_ci_u32_e32 v39, vcc_lo, s53, v39, vcc_lo
	s_waitcnt lgkmcnt(0)
	global_store_b64 v[38:39], v[36:37], off
	s_or_b32 exec_lo, exec_lo, s16
	s_and_saveexec_b32 s16, s20
	s_cbranch_execnz .LBB712_883
.LBB712_868:                            ;   in Loop: Header=BB712_688 Depth=2
	s_or_b32 exec_lo, exec_lo, s16
	s_and_saveexec_b32 s16, s21
	s_cbranch_execz .LBB712_884
.LBB712_869:                            ;   in Loop: Header=BB712_688 Depth=2
	v_lshlrev_b32_e32 v2, 2, v170
	ds_load_b32 v2, v2
	ds_load_b64 v[36:37], v110 offset:12288
	s_waitcnt lgkmcnt(1)
	v_add_nc_u32_e32 v2, v2, v85
	s_delay_alu instid0(VALU_DEP_1) | instskip(NEXT) | instid1(VALU_DEP_1)
	v_lshlrev_b64 v[38:39], 3, v[2:3]
	v_add_co_u32 v38, vcc_lo, s52, v38
	s_delay_alu instid0(VALU_DEP_2)
	v_add_co_ci_u32_e32 v39, vcc_lo, s53, v39, vcc_lo
	s_waitcnt lgkmcnt(0)
	global_store_b64 v[38:39], v[36:37], off
	s_or_b32 exec_lo, exec_lo, s16
	s_and_saveexec_b32 s16, s22
	s_cbranch_execnz .LBB712_885
.LBB712_870:                            ;   in Loop: Header=BB712_688 Depth=2
	s_or_b32 exec_lo, exec_lo, s16
	s_and_saveexec_b32 s16, s23
	s_cbranch_execz .LBB712_886
.LBB712_871:                            ;   in Loop: Header=BB712_688 Depth=2
	v_lshlrev_b32_e32 v2, 2, v168
	ds_load_b32 v2, v2
	ds_load_b64 v[36:37], v110 offset:16384
	s_waitcnt lgkmcnt(1)
	v_add_nc_u32_e32 v2, v2, v87
	s_delay_alu instid0(VALU_DEP_1) | instskip(NEXT) | instid1(VALU_DEP_1)
	v_lshlrev_b64 v[38:39], 3, v[2:3]
	v_add_co_u32 v38, vcc_lo, s52, v38
	s_delay_alu instid0(VALU_DEP_2)
	v_add_co_ci_u32_e32 v39, vcc_lo, s53, v39, vcc_lo
	s_waitcnt lgkmcnt(0)
	global_store_b64 v[38:39], v[36:37], off
	s_or_b32 exec_lo, exec_lo, s16
	s_and_saveexec_b32 s16, s24
	s_cbranch_execnz .LBB712_887
.LBB712_872:                            ;   in Loop: Header=BB712_688 Depth=2
	s_or_b32 exec_lo, exec_lo, s16
	s_and_saveexec_b32 s16, s25
	s_cbranch_execz .LBB712_888
.LBB712_873:                            ;   in Loop: Header=BB712_688 Depth=2
	v_lshlrev_b32_e32 v2, 2, v166
	ds_load_b32 v2, v2
	ds_load_b64 v[36:37], v110 offset:20480
	s_waitcnt lgkmcnt(1)
	v_add_nc_u32_e32 v2, v2, v89
	s_delay_alu instid0(VALU_DEP_1) | instskip(NEXT) | instid1(VALU_DEP_1)
	v_lshlrev_b64 v[38:39], 3, v[2:3]
	v_add_co_u32 v38, vcc_lo, s52, v38
	s_delay_alu instid0(VALU_DEP_2)
	v_add_co_ci_u32_e32 v39, vcc_lo, s53, v39, vcc_lo
	s_waitcnt lgkmcnt(0)
	global_store_b64 v[38:39], v[36:37], off
	s_or_b32 exec_lo, exec_lo, s16
	s_and_saveexec_b32 s16, s26
	s_cbranch_execnz .LBB712_889
.LBB712_874:                            ;   in Loop: Header=BB712_688 Depth=2
	s_or_b32 exec_lo, exec_lo, s16
	s_and_saveexec_b32 s16, s27
	s_cbranch_execz .LBB712_890
.LBB712_875:                            ;   in Loop: Header=BB712_688 Depth=2
	v_lshlrev_b32_e32 v2, 2, v164
	ds_load_b32 v2, v2
	ds_load_b64 v[36:37], v110 offset:24576
	s_waitcnt lgkmcnt(1)
	v_add_nc_u32_e32 v2, v2, v91
	s_delay_alu instid0(VALU_DEP_1) | instskip(NEXT) | instid1(VALU_DEP_1)
	v_lshlrev_b64 v[38:39], 3, v[2:3]
	v_add_co_u32 v38, vcc_lo, s52, v38
	s_delay_alu instid0(VALU_DEP_2)
	v_add_co_ci_u32_e32 v39, vcc_lo, s53, v39, vcc_lo
	s_waitcnt lgkmcnt(0)
	global_store_b64 v[38:39], v[36:37], off
	s_or_b32 exec_lo, exec_lo, s16
	s_and_saveexec_b32 s16, s29
	s_cbranch_execnz .LBB712_891
.LBB712_876:                            ;   in Loop: Header=BB712_688 Depth=2
	s_or_b32 exec_lo, exec_lo, s16
	s_and_saveexec_b32 s16, s30
	s_cbranch_execz .LBB712_892
.LBB712_877:                            ;   in Loop: Header=BB712_688 Depth=2
	v_lshlrev_b32_e32 v2, 2, v162
	ds_load_b32 v2, v2
	ds_load_b64 v[36:37], v110 offset:28672
	s_waitcnt lgkmcnt(1)
	v_add_nc_u32_e32 v2, v2, v93
	s_delay_alu instid0(VALU_DEP_1) | instskip(NEXT) | instid1(VALU_DEP_1)
	v_lshlrev_b64 v[38:39], 3, v[2:3]
	v_add_co_u32 v38, vcc_lo, s52, v38
	s_delay_alu instid0(VALU_DEP_2)
	v_add_co_ci_u32_e32 v39, vcc_lo, s53, v39, vcc_lo
	s_waitcnt lgkmcnt(0)
	global_store_b64 v[38:39], v[36:37], off
	s_or_b32 exec_lo, exec_lo, s16
	s_and_saveexec_b32 s16, s31
	s_cbranch_execnz .LBB712_893
	s_branch .LBB712_894
.LBB712_878:                            ;   in Loop: Header=BB712_688 Depth=2
	s_or_b32 exec_lo, exec_lo, s33
	s_and_saveexec_b32 s33, s16
	s_cbranch_execz .LBB712_864
.LBB712_879:                            ;   in Loop: Header=BB712_688 Depth=2
	v_lshlrev_b32_e32 v2, 2, v175
	ds_load_b32 v2, v2
	ds_load_b64 v[36:37], v110 offset:2048
	s_waitcnt lgkmcnt(1)
	v_add_nc_u32_e32 v2, v2, v77
	s_delay_alu instid0(VALU_DEP_1) | instskip(NEXT) | instid1(VALU_DEP_1)
	v_lshlrev_b64 v[38:39], 3, v[2:3]
	v_add_co_u32 v38, vcc_lo, s52, v38
	s_delay_alu instid0(VALU_DEP_2)
	v_add_co_ci_u32_e32 v39, vcc_lo, s53, v39, vcc_lo
	s_waitcnt lgkmcnt(0)
	global_store_b64 v[38:39], v[36:37], off
	s_or_b32 exec_lo, exec_lo, s33
	s_and_saveexec_b32 s16, s17
	s_cbranch_execnz .LBB712_865
.LBB712_880:                            ;   in Loop: Header=BB712_688 Depth=2
	s_or_b32 exec_lo, exec_lo, s16
	s_and_saveexec_b32 s16, s18
	s_cbranch_execz .LBB712_866
.LBB712_881:                            ;   in Loop: Header=BB712_688 Depth=2
	v_lshlrev_b32_e32 v2, 2, v173
	ds_load_b32 v2, v2
	ds_load_b64 v[36:37], v110 offset:6144
	s_waitcnt lgkmcnt(1)
	v_add_nc_u32_e32 v2, v2, v79
	s_delay_alu instid0(VALU_DEP_1) | instskip(NEXT) | instid1(VALU_DEP_1)
	v_lshlrev_b64 v[38:39], 3, v[2:3]
	v_add_co_u32 v38, vcc_lo, s52, v38
	s_delay_alu instid0(VALU_DEP_2)
	v_add_co_ci_u32_e32 v39, vcc_lo, s53, v39, vcc_lo
	s_waitcnt lgkmcnt(0)
	global_store_b64 v[38:39], v[36:37], off
	s_or_b32 exec_lo, exec_lo, s16
	s_and_saveexec_b32 s16, s19
	s_cbranch_execnz .LBB712_867
.LBB712_882:                            ;   in Loop: Header=BB712_688 Depth=2
	s_or_b32 exec_lo, exec_lo, s16
	s_and_saveexec_b32 s16, s20
	s_cbranch_execz .LBB712_868
.LBB712_883:                            ;   in Loop: Header=BB712_688 Depth=2
	v_lshlrev_b32_e32 v2, 2, v171
	ds_load_b32 v2, v2
	ds_load_b64 v[36:37], v110 offset:10240
	s_waitcnt lgkmcnt(1)
	v_add_nc_u32_e32 v2, v2, v84
	s_delay_alu instid0(VALU_DEP_1) | instskip(NEXT) | instid1(VALU_DEP_1)
	v_lshlrev_b64 v[38:39], 3, v[2:3]
	v_add_co_u32 v38, vcc_lo, s52, v38
	s_delay_alu instid0(VALU_DEP_2)
	v_add_co_ci_u32_e32 v39, vcc_lo, s53, v39, vcc_lo
	s_waitcnt lgkmcnt(0)
	global_store_b64 v[38:39], v[36:37], off
	s_or_b32 exec_lo, exec_lo, s16
	s_and_saveexec_b32 s16, s21
	s_cbranch_execnz .LBB712_869
.LBB712_884:                            ;   in Loop: Header=BB712_688 Depth=2
	s_or_b32 exec_lo, exec_lo, s16
	s_and_saveexec_b32 s16, s22
	s_cbranch_execz .LBB712_870
.LBB712_885:                            ;   in Loop: Header=BB712_688 Depth=2
	v_lshlrev_b32_e32 v2, 2, v169
	ds_load_b32 v2, v2
	ds_load_b64 v[36:37], v110 offset:14336
	s_waitcnt lgkmcnt(1)
	v_add_nc_u32_e32 v2, v2, v86
	s_delay_alu instid0(VALU_DEP_1) | instskip(NEXT) | instid1(VALU_DEP_1)
	v_lshlrev_b64 v[38:39], 3, v[2:3]
	v_add_co_u32 v38, vcc_lo, s52, v38
	s_delay_alu instid0(VALU_DEP_2)
	v_add_co_ci_u32_e32 v39, vcc_lo, s53, v39, vcc_lo
	s_waitcnt lgkmcnt(0)
	global_store_b64 v[38:39], v[36:37], off
	s_or_b32 exec_lo, exec_lo, s16
	s_and_saveexec_b32 s16, s23
	s_cbranch_execnz .LBB712_871
.LBB712_886:                            ;   in Loop: Header=BB712_688 Depth=2
	s_or_b32 exec_lo, exec_lo, s16
	s_and_saveexec_b32 s16, s24
	s_cbranch_execz .LBB712_872
.LBB712_887:                            ;   in Loop: Header=BB712_688 Depth=2
	v_lshlrev_b32_e32 v2, 2, v167
	ds_load_b32 v2, v2
	ds_load_b64 v[36:37], v110 offset:18432
	s_waitcnt lgkmcnt(1)
	v_add_nc_u32_e32 v2, v2, v88
	s_delay_alu instid0(VALU_DEP_1) | instskip(NEXT) | instid1(VALU_DEP_1)
	v_lshlrev_b64 v[38:39], 3, v[2:3]
	v_add_co_u32 v38, vcc_lo, s52, v38
	s_delay_alu instid0(VALU_DEP_2)
	v_add_co_ci_u32_e32 v39, vcc_lo, s53, v39, vcc_lo
	s_waitcnt lgkmcnt(0)
	global_store_b64 v[38:39], v[36:37], off
	s_or_b32 exec_lo, exec_lo, s16
	s_and_saveexec_b32 s16, s25
	s_cbranch_execnz .LBB712_873
.LBB712_888:                            ;   in Loop: Header=BB712_688 Depth=2
	s_or_b32 exec_lo, exec_lo, s16
	s_and_saveexec_b32 s16, s26
	s_cbranch_execz .LBB712_874
.LBB712_889:                            ;   in Loop: Header=BB712_688 Depth=2
	v_lshlrev_b32_e32 v2, 2, v165
	ds_load_b32 v2, v2
	ds_load_b64 v[36:37], v110 offset:22528
	s_waitcnt lgkmcnt(1)
	v_add_nc_u32_e32 v2, v2, v90
	s_delay_alu instid0(VALU_DEP_1) | instskip(NEXT) | instid1(VALU_DEP_1)
	v_lshlrev_b64 v[38:39], 3, v[2:3]
	v_add_co_u32 v38, vcc_lo, s52, v38
	s_delay_alu instid0(VALU_DEP_2)
	v_add_co_ci_u32_e32 v39, vcc_lo, s53, v39, vcc_lo
	s_waitcnt lgkmcnt(0)
	global_store_b64 v[38:39], v[36:37], off
	s_or_b32 exec_lo, exec_lo, s16
	s_and_saveexec_b32 s16, s27
	s_cbranch_execnz .LBB712_875
.LBB712_890:                            ;   in Loop: Header=BB712_688 Depth=2
	s_or_b32 exec_lo, exec_lo, s16
	s_and_saveexec_b32 s16, s29
	s_cbranch_execz .LBB712_876
.LBB712_891:                            ;   in Loop: Header=BB712_688 Depth=2
	v_lshlrev_b32_e32 v2, 2, v163
	ds_load_b32 v2, v2
	ds_load_b64 v[36:37], v110 offset:26624
	s_waitcnt lgkmcnt(1)
	v_add_nc_u32_e32 v2, v2, v92
	s_delay_alu instid0(VALU_DEP_1) | instskip(NEXT) | instid1(VALU_DEP_1)
	v_lshlrev_b64 v[38:39], 3, v[2:3]
	v_add_co_u32 v38, vcc_lo, s52, v38
	s_delay_alu instid0(VALU_DEP_2)
	v_add_co_ci_u32_e32 v39, vcc_lo, s53, v39, vcc_lo
	s_waitcnt lgkmcnt(0)
	global_store_b64 v[38:39], v[36:37], off
	s_or_b32 exec_lo, exec_lo, s16
	s_and_saveexec_b32 s16, s30
	s_cbranch_execnz .LBB712_877
.LBB712_892:                            ;   in Loop: Header=BB712_688 Depth=2
	s_or_b32 exec_lo, exec_lo, s16
	s_and_saveexec_b32 s16, s31
	s_cbranch_execz .LBB712_894
.LBB712_893:                            ;   in Loop: Header=BB712_688 Depth=2
	v_lshlrev_b32_e32 v2, 2, v161
	ds_load_b32 v2, v2
	ds_load_b64 v[36:37], v110 offset:30720
	s_waitcnt lgkmcnt(1)
	v_add_nc_u32_e32 v2, v2, v95
	s_delay_alu instid0(VALU_DEP_1) | instskip(NEXT) | instid1(VALU_DEP_1)
	v_lshlrev_b64 v[38:39], 3, v[2:3]
	v_add_co_u32 v38, vcc_lo, s52, v38
	s_delay_alu instid0(VALU_DEP_2)
	v_add_co_ci_u32_e32 v39, vcc_lo, s53, v39, vcc_lo
	s_waitcnt lgkmcnt(0)
	global_store_b64 v[38:39], v[36:37], off
.LBB712_894:                            ;   in Loop: Header=BB712_688 Depth=2
	s_or_b32 exec_lo, exec_lo, s16
	s_waitcnt_vscnt null, 0x0
	s_barrier
	buffer_gl0_inv
	s_and_saveexec_b32 s16, s2
	s_cbranch_execz .LBB712_687
; %bb.895:                              ;   in Loop: Header=BB712_688 Depth=2
	ds_load_b32 v2, v76
	s_waitcnt lgkmcnt(0)
	v_add_nc_u32_e32 v2, v2, v68
	ds_store_b32 v76, v2
	s_branch .LBB712_687
.LBB712_896:                            ;   in Loop: Header=BB712_12 Depth=1
	s_waitcnt lgkmcnt(0)
	s_mov_b32 s1, 0
	s_barrier
.LBB712_897:                            ;   in Loop: Header=BB712_12 Depth=1
	s_and_b32 vcc_lo, exec_lo, s1
	s_cbranch_vccz .LBB712_11
; %bb.898:                              ;   in Loop: Header=BB712_12 Depth=1
	s_mov_b32 s1, s62
	s_mov_b32 s8, s60
	s_barrier
	buffer_gl0_inv
                                        ; implicit-def: $vgpr34_vgpr35
                                        ; implicit-def: $vgpr4_vgpr5
                                        ; implicit-def: $vgpr6_vgpr7
                                        ; implicit-def: $vgpr8_vgpr9
                                        ; implicit-def: $vgpr10_vgpr11
                                        ; implicit-def: $vgpr12_vgpr13
                                        ; implicit-def: $vgpr14_vgpr15
                                        ; implicit-def: $vgpr16_vgpr17
                                        ; implicit-def: $vgpr18_vgpr19
                                        ; implicit-def: $vgpr20_vgpr21
                                        ; implicit-def: $vgpr22_vgpr23
                                        ; implicit-def: $vgpr24_vgpr25
                                        ; implicit-def: $vgpr26_vgpr27
                                        ; implicit-def: $vgpr28_vgpr29
                                        ; implicit-def: $vgpr30_vgpr31
                                        ; implicit-def: $vgpr32_vgpr33
	s_branch .LBB712_900
.LBB712_899:                            ;   in Loop: Header=BB712_900 Depth=2
	s_or_b32 exec_lo, exec_lo, s8
	s_addk_i32 s1, 0xf000
	s_cmp_ge_u32 s7, s61
	s_mov_b32 s8, s7
	s_cbranch_scc1 .LBB712_970
.LBB712_900:                            ;   Parent Loop BB712_12 Depth=1
                                        ; =>  This Inner Loop Header: Depth=2
	s_add_i32 s7, s8, 0x1000
	s_delay_alu instid0(SALU_CYCLE_1)
	s_cmp_gt_u32 s7, s61
	s_cbranch_scc1 .LBB712_903
; %bb.901:                              ;   in Loop: Header=BB712_900 Depth=2
	s_mov_b32 s9, 0
	s_movk_i32 s13, 0x1000
	s_lshl_b64 s[10:11], s[8:9], 3
	s_mov_b32 s12, -1
	v_add_co_u32 v36, vcc_lo, v117, s10
	v_add_co_ci_u32_e32 v37, vcc_lo, s11, v118, vcc_lo
	s_waitcnt vmcnt(12)
	s_delay_alu instid0(VALU_DEP_2) | instskip(NEXT) | instid1(VALU_DEP_2)
	v_add_co_u32 v42, vcc_lo, 0x1000, v36
	v_add_co_ci_u32_e32 v43, vcc_lo, 0, v37, vcc_lo
	s_waitcnt vmcnt(11)
	v_add_co_u32 v44, vcc_lo, 0x2000, v36
	v_add_co_ci_u32_e32 v45, vcc_lo, 0, v37, vcc_lo
	s_waitcnt vmcnt(1)
	v_add_co_u32 v50, vcc_lo, v36, 0x2000
	v_add_co_ci_u32_e32 v51, vcc_lo, 0, v37, vcc_lo
	v_add_co_u32 v52, vcc_lo, v36, 0x4000
	v_add_co_ci_u32_e32 v53, vcc_lo, 0, v37, vcc_lo
	;; [unrolled: 2-line block ×7, first 2 shown]
	s_waitcnt vmcnt(0)
	v_add_co_u32 v66, vcc_lo, 0x7000, v36
	v_add_co_ci_u32_e32 v67, vcc_lo, 0, v37, vcc_lo
	s_clause 0xe
	global_load_b64 v[38:39], v[36:37], off
	global_load_b64 v[40:41], v[36:37], off offset:2048
	global_load_b64 v[42:43], v[42:43], off offset:2048
	;; [unrolled: 1-line block ×3, first 2 shown]
	global_load_b64 v[46:47], v[50:51], off
	global_load_b64 v[48:49], v[52:53], off offset:-4096
	global_load_b64 v[52:53], v[52:53], off
	global_load_b64 v[56:57], v[60:61], off offset:-4096
	global_load_b64 v[60:61], v[60:61], off
	global_load_b64 v[54:55], v[54:55], off offset:2048
	global_load_b64 v[58:59], v[58:59], off offset:2048
	global_load_b64 v[62:63], v[62:63], off offset:2048
	global_load_b64 v[64:65], v[64:65], off offset:2048
	global_load_b64 v[50:51], v[50:51], off offset:-4096
	global_load_b64 v[66:67], v[66:67], off
	v_add_co_u32 v36, vcc_lo, 0x7800, v36
	v_add_co_ci_u32_e32 v37, vcc_lo, 0, v37, vcc_lo
	s_cbranch_execz .LBB712_904
; %bb.902:                              ;   in Loop: Header=BB712_900 Depth=2
                                        ; implicit-def: $vgpr32_vgpr33
                                        ; implicit-def: $vgpr30_vgpr31
                                        ; implicit-def: $vgpr28_vgpr29
                                        ; implicit-def: $vgpr26_vgpr27
                                        ; implicit-def: $vgpr24_vgpr25
                                        ; implicit-def: $vgpr22_vgpr23
                                        ; implicit-def: $vgpr20_vgpr21
                                        ; implicit-def: $vgpr18_vgpr19
                                        ; implicit-def: $vgpr16_vgpr17
                                        ; implicit-def: $vgpr14_vgpr15
                                        ; implicit-def: $vgpr12_vgpr13
                                        ; implicit-def: $vgpr10_vgpr11
                                        ; implicit-def: $vgpr8_vgpr9
                                        ; implicit-def: $vgpr6_vgpr7
                                        ; implicit-def: $vgpr4_vgpr5
                                        ; implicit-def: $vgpr34_vgpr35
	v_mov_b32_e32 v2, s1
	s_and_saveexec_b32 s8, s12
	s_cbranch_execnz .LBB712_923
	s_branch .LBB712_924
.LBB712_903:                            ;   in Loop: Header=BB712_900 Depth=2
	s_mov_b32 s12, 0
                                        ; implicit-def: $sgpr13
                                        ; implicit-def: $vgpr38_vgpr39
                                        ; implicit-def: $vgpr40_vgpr41
                                        ; implicit-def: $vgpr50_vgpr51
                                        ; implicit-def: $vgpr42_vgpr43
                                        ; implicit-def: $vgpr46_vgpr47
                                        ; implicit-def: $vgpr44_vgpr45
                                        ; implicit-def: $vgpr48_vgpr49
                                        ; implicit-def: $vgpr54_vgpr55
                                        ; implicit-def: $vgpr52_vgpr53
                                        ; implicit-def: $vgpr58_vgpr59
                                        ; implicit-def: $vgpr56_vgpr57
                                        ; implicit-def: $vgpr62_vgpr63
                                        ; implicit-def: $vgpr60_vgpr61
                                        ; implicit-def: $vgpr64_vgpr65
                                        ; implicit-def: $vgpr66_vgpr67
                                        ; implicit-def: $vgpr36_vgpr37
.LBB712_904:                            ;   in Loop: Header=BB712_900 Depth=2
	s_mov_b32 s9, s34
	s_delay_alu instid0(SALU_CYCLE_1)
	s_lshl_b64 s[10:11], s[8:9], 3
	s_mov_b32 s9, exec_lo
	s_add_u32 s10, s44, s10
	s_addc_u32 s11, s45, s11
	v_cmpx_gt_u32_e64 s1, v1
	s_cbranch_execz .LBB712_956
; %bb.905:                              ;   in Loop: Header=BB712_900 Depth=2
	global_load_b64 v[32:33], v124, s[10:11]
	s_or_b32 exec_lo, exec_lo, s9
	s_delay_alu instid0(SALU_CYCLE_1)
	s_mov_b32 s9, exec_lo
	v_cmpx_gt_u32_e64 s1, v77
	s_cbranch_execnz .LBB712_957
.LBB712_906:                            ;   in Loop: Header=BB712_900 Depth=2
	s_or_b32 exec_lo, exec_lo, s9
	s_delay_alu instid0(SALU_CYCLE_1)
	s_mov_b32 s9, exec_lo
	v_cmpx_gt_u32_e64 s1, v78
	s_cbranch_execz .LBB712_958
.LBB712_907:                            ;   in Loop: Header=BB712_900 Depth=2
	global_load_b64 v[28:29], v125, s[10:11]
	s_or_b32 exec_lo, exec_lo, s9
	s_delay_alu instid0(SALU_CYCLE_1)
	s_mov_b32 s9, exec_lo
	v_cmpx_gt_u32_e64 s1, v79
	s_cbranch_execnz .LBB712_959
.LBB712_908:                            ;   in Loop: Header=BB712_900 Depth=2
	s_or_b32 exec_lo, exec_lo, s9
	s_delay_alu instid0(SALU_CYCLE_1)
	s_mov_b32 s9, exec_lo
	v_cmpx_gt_u32_e64 s1, v83
	s_cbranch_execz .LBB712_960
.LBB712_909:                            ;   in Loop: Header=BB712_900 Depth=2
	global_load_b64 v[24:25], v127, s[10:11]
	s_or_b32 exec_lo, exec_lo, s9
	s_delay_alu instid0(SALU_CYCLE_1)
	s_mov_b32 s9, exec_lo
	v_cmpx_gt_u32_e64 s1, v84
	s_cbranch_execnz .LBB712_961
.LBB712_910:                            ;   in Loop: Header=BB712_900 Depth=2
	s_or_b32 exec_lo, exec_lo, s9
	s_delay_alu instid0(SALU_CYCLE_1)
	s_mov_b32 s9, exec_lo
	v_cmpx_gt_u32_e64 s1, v85
	s_cbranch_execz .LBB712_962
.LBB712_911:                            ;   in Loop: Header=BB712_900 Depth=2
	global_load_b64 v[20:21], v129, s[10:11]
	s_or_b32 exec_lo, exec_lo, s9
	s_delay_alu instid0(SALU_CYCLE_1)
	s_mov_b32 s9, exec_lo
	v_cmpx_gt_u32_e64 s1, v86
	s_cbranch_execnz .LBB712_963
.LBB712_912:                            ;   in Loop: Header=BB712_900 Depth=2
	s_or_b32 exec_lo, exec_lo, s9
	s_delay_alu instid0(SALU_CYCLE_1)
	s_mov_b32 s9, exec_lo
	v_cmpx_gt_u32_e64 s1, v87
	s_cbranch_execz .LBB712_964
.LBB712_913:                            ;   in Loop: Header=BB712_900 Depth=2
	global_load_b64 v[16:17], v131, s[10:11]
	s_or_b32 exec_lo, exec_lo, s9
	s_delay_alu instid0(SALU_CYCLE_1)
	s_mov_b32 s9, exec_lo
	v_cmpx_gt_u32_e64 s1, v88
	s_cbranch_execnz .LBB712_965
.LBB712_914:                            ;   in Loop: Header=BB712_900 Depth=2
	s_or_b32 exec_lo, exec_lo, s9
	s_delay_alu instid0(SALU_CYCLE_1)
	s_mov_b32 s9, exec_lo
	v_cmpx_gt_u32_e64 s1, v89
	s_cbranch_execz .LBB712_966
.LBB712_915:                            ;   in Loop: Header=BB712_900 Depth=2
	global_load_b64 v[12:13], v133, s[10:11]
	s_or_b32 exec_lo, exec_lo, s9
	s_delay_alu instid0(SALU_CYCLE_1)
	s_mov_b32 s9, exec_lo
	v_cmpx_gt_u32_e64 s1, v90
	s_cbranch_execnz .LBB712_967
.LBB712_916:                            ;   in Loop: Header=BB712_900 Depth=2
	s_or_b32 exec_lo, exec_lo, s9
	s_delay_alu instid0(SALU_CYCLE_1)
	s_mov_b32 s9, exec_lo
	v_cmpx_gt_u32_e64 s1, v91
	s_cbranch_execz .LBB712_968
.LBB712_917:                            ;   in Loop: Header=BB712_900 Depth=2
	global_load_b64 v[8:9], v135, s[10:11]
	s_or_b32 exec_lo, exec_lo, s9
	s_delay_alu instid0(SALU_CYCLE_1)
	s_mov_b32 s9, exec_lo
	v_cmpx_gt_u32_e64 s1, v92
	s_cbranch_execnz .LBB712_969
.LBB712_918:                            ;   in Loop: Header=BB712_900 Depth=2
	s_or_b32 exec_lo, exec_lo, s9
	s_delay_alu instid0(SALU_CYCLE_1)
	s_mov_b32 s9, exec_lo
	v_cmpx_gt_u32_e64 s1, v93
	s_cbranch_execz .LBB712_920
.LBB712_919:                            ;   in Loop: Header=BB712_900 Depth=2
	v_lshlrev_b32_e32 v2, 3, v93
	global_load_b64 v[4:5], v2, s[10:11]
.LBB712_920:                            ;   in Loop: Header=BB712_900 Depth=2
	s_or_b32 exec_lo, exec_lo, s9
	s_delay_alu instid0(SALU_CYCLE_1)
	s_mov_b32 s9, exec_lo
                                        ; implicit-def: $sgpr13
                                        ; implicit-def: $vgpr36_vgpr37
	v_cmpx_gt_u32_e64 s1, v95
; %bb.921:                              ;   in Loop: Header=BB712_900 Depth=2
	v_lshlrev_b32_e32 v2, 3, v95
	s_sub_i32 s13, s61, s8
	s_or_b32 s12, s12, exec_lo
                                        ; implicit-def: $vgpr34_vgpr35
	s_delay_alu instid0(VALU_DEP_1) | instskip(NEXT) | instid1(VALU_DEP_1)
	v_add_co_u32 v36, s10, s10, v2
	v_add_co_ci_u32_e64 v37, null, s11, 0, s10
; %bb.922:                              ;   in Loop: Header=BB712_900 Depth=2
	s_or_b32 exec_lo, exec_lo, s9
	s_waitcnt vmcnt(0)
	v_dual_mov_b32 v39, v33 :: v_dual_mov_b32 v38, v32
	v_dual_mov_b32 v41, v31 :: v_dual_mov_b32 v40, v30
	;; [unrolled: 1-line block ×15, first 2 shown]
	v_mov_b32_e32 v2, s1
	s_and_saveexec_b32 s8, s12
	s_cbranch_execz .LBB712_924
.LBB712_923:                            ;   in Loop: Header=BB712_900 Depth=2
	global_load_b64 v[34:35], v[36:37], off
	s_waitcnt vmcnt(1)
	v_mov_b32_e32 v4, v66
	v_mov_b32_e32 v6, v64
	;; [unrolled: 1-line block ×14, first 2 shown]
	v_dual_mov_b32 v32, v38 :: v_dual_mov_b32 v33, v39
	v_dual_mov_b32 v2, s13 :: v_dual_mov_b32 v5, v67
	v_mov_b32_e32 v7, v65
	v_mov_b32_e32 v9, v61
	;; [unrolled: 1-line block ×13, first 2 shown]
.LBB712_924:                            ;   in Loop: Header=BB712_900 Depth=2
	s_or_b32 exec_lo, exec_lo, s8
	v_lshlrev_b32_e32 v36, 2, v80
	s_mov_b32 s8, exec_lo
	v_cmpx_lt_u32_e64 v1, v2
	s_cbranch_execz .LBB712_940
; %bb.925:                              ;   in Loop: Header=BB712_900 Depth=2
	s_waitcnt vmcnt(14)
	v_xor_b32_e32 v38, 0x7fffffff, v33
	v_not_b32_e32 v37, v32
	s_delay_alu instid0(VALU_DEP_1) | instskip(NEXT) | instid1(VALU_DEP_1)
	v_lshrrev_b64 v[37:38], s40, v[37:38]
	v_and_b32_e32 v37, s42, v37
	s_delay_alu instid0(VALU_DEP_1) | instskip(SKIP_2) | instid1(SALU_CYCLE_1)
	v_lshl_or_b32 v37, v37, 4, v36
	ds_add_u32 v37, v123
	s_or_b32 exec_lo, exec_lo, s8
	s_mov_b32 s8, exec_lo
	v_cmpx_lt_u32_e64 v77, v2
	s_cbranch_execnz .LBB712_941
.LBB712_926:                            ;   in Loop: Header=BB712_900 Depth=2
	s_or_b32 exec_lo, exec_lo, s8
	s_delay_alu instid0(SALU_CYCLE_1)
	s_mov_b32 s8, exec_lo
	v_cmpx_lt_u32_e64 v78, v2
	s_cbranch_execz .LBB712_942
.LBB712_927:                            ;   in Loop: Header=BB712_900 Depth=2
	s_waitcnt vmcnt(14)
	v_xor_b32_e32 v38, 0x7fffffff, v29
	v_not_b32_e32 v37, v28
	s_delay_alu instid0(VALU_DEP_1) | instskip(NEXT) | instid1(VALU_DEP_1)
	v_lshrrev_b64 v[37:38], s40, v[37:38]
	v_and_b32_e32 v37, s42, v37
	s_delay_alu instid0(VALU_DEP_1) | instskip(SKIP_2) | instid1(SALU_CYCLE_1)
	v_lshl_or_b32 v37, v37, 4, v36
	ds_add_u32 v37, v123
	s_or_b32 exec_lo, exec_lo, s8
	s_mov_b32 s8, exec_lo
	v_cmpx_lt_u32_e64 v79, v2
	s_cbranch_execnz .LBB712_943
.LBB712_928:                            ;   in Loop: Header=BB712_900 Depth=2
	s_or_b32 exec_lo, exec_lo, s8
	s_delay_alu instid0(SALU_CYCLE_1)
	s_mov_b32 s8, exec_lo
	v_cmpx_lt_u32_e64 v83, v2
	s_cbranch_execz .LBB712_944
.LBB712_929:                            ;   in Loop: Header=BB712_900 Depth=2
	s_waitcnt vmcnt(14)
	v_xor_b32_e32 v38, 0x7fffffff, v25
	v_not_b32_e32 v37, v24
	s_delay_alu instid0(VALU_DEP_1) | instskip(NEXT) | instid1(VALU_DEP_1)
	v_lshrrev_b64 v[37:38], s40, v[37:38]
	v_and_b32_e32 v37, s42, v37
	s_delay_alu instid0(VALU_DEP_1) | instskip(SKIP_2) | instid1(SALU_CYCLE_1)
	v_lshl_or_b32 v37, v37, 4, v36
	ds_add_u32 v37, v123
	s_or_b32 exec_lo, exec_lo, s8
	s_mov_b32 s8, exec_lo
	v_cmpx_lt_u32_e64 v84, v2
	s_cbranch_execnz .LBB712_945
.LBB712_930:                            ;   in Loop: Header=BB712_900 Depth=2
	s_or_b32 exec_lo, exec_lo, s8
	s_delay_alu instid0(SALU_CYCLE_1)
	s_mov_b32 s8, exec_lo
	v_cmpx_lt_u32_e64 v85, v2
	s_cbranch_execz .LBB712_946
.LBB712_931:                            ;   in Loop: Header=BB712_900 Depth=2
	s_waitcnt vmcnt(14)
	v_xor_b32_e32 v38, 0x7fffffff, v21
	v_not_b32_e32 v37, v20
	s_delay_alu instid0(VALU_DEP_1) | instskip(NEXT) | instid1(VALU_DEP_1)
	v_lshrrev_b64 v[37:38], s40, v[37:38]
	v_and_b32_e32 v37, s42, v37
	s_delay_alu instid0(VALU_DEP_1) | instskip(SKIP_2) | instid1(SALU_CYCLE_1)
	v_lshl_or_b32 v37, v37, 4, v36
	ds_add_u32 v37, v123
	s_or_b32 exec_lo, exec_lo, s8
	s_mov_b32 s8, exec_lo
	v_cmpx_lt_u32_e64 v86, v2
	s_cbranch_execnz .LBB712_947
.LBB712_932:                            ;   in Loop: Header=BB712_900 Depth=2
	s_or_b32 exec_lo, exec_lo, s8
	s_delay_alu instid0(SALU_CYCLE_1)
	s_mov_b32 s8, exec_lo
	v_cmpx_lt_u32_e64 v87, v2
	s_cbranch_execz .LBB712_948
.LBB712_933:                            ;   in Loop: Header=BB712_900 Depth=2
	s_waitcnt vmcnt(14)
	v_xor_b32_e32 v38, 0x7fffffff, v17
	v_not_b32_e32 v37, v16
	s_delay_alu instid0(VALU_DEP_1) | instskip(NEXT) | instid1(VALU_DEP_1)
	v_lshrrev_b64 v[37:38], s40, v[37:38]
	v_and_b32_e32 v37, s42, v37
	s_delay_alu instid0(VALU_DEP_1) | instskip(SKIP_2) | instid1(SALU_CYCLE_1)
	v_lshl_or_b32 v37, v37, 4, v36
	ds_add_u32 v37, v123
	s_or_b32 exec_lo, exec_lo, s8
	s_mov_b32 s8, exec_lo
	v_cmpx_lt_u32_e64 v88, v2
	s_cbranch_execnz .LBB712_949
.LBB712_934:                            ;   in Loop: Header=BB712_900 Depth=2
	s_or_b32 exec_lo, exec_lo, s8
	s_delay_alu instid0(SALU_CYCLE_1)
	s_mov_b32 s8, exec_lo
	v_cmpx_lt_u32_e64 v89, v2
	s_cbranch_execz .LBB712_950
.LBB712_935:                            ;   in Loop: Header=BB712_900 Depth=2
	s_waitcnt vmcnt(14)
	v_xor_b32_e32 v38, 0x7fffffff, v13
	v_not_b32_e32 v37, v12
	s_delay_alu instid0(VALU_DEP_1) | instskip(NEXT) | instid1(VALU_DEP_1)
	v_lshrrev_b64 v[37:38], s40, v[37:38]
	v_and_b32_e32 v37, s42, v37
	s_delay_alu instid0(VALU_DEP_1) | instskip(SKIP_2) | instid1(SALU_CYCLE_1)
	v_lshl_or_b32 v37, v37, 4, v36
	ds_add_u32 v37, v123
	s_or_b32 exec_lo, exec_lo, s8
	s_mov_b32 s8, exec_lo
	v_cmpx_lt_u32_e64 v90, v2
	s_cbranch_execnz .LBB712_951
.LBB712_936:                            ;   in Loop: Header=BB712_900 Depth=2
	s_or_b32 exec_lo, exec_lo, s8
	s_delay_alu instid0(SALU_CYCLE_1)
	s_mov_b32 s8, exec_lo
	v_cmpx_lt_u32_e64 v91, v2
	s_cbranch_execz .LBB712_952
.LBB712_937:                            ;   in Loop: Header=BB712_900 Depth=2
	s_waitcnt vmcnt(14)
	v_xor_b32_e32 v38, 0x7fffffff, v9
	v_not_b32_e32 v37, v8
	s_delay_alu instid0(VALU_DEP_1) | instskip(NEXT) | instid1(VALU_DEP_1)
	v_lshrrev_b64 v[37:38], s40, v[37:38]
	v_and_b32_e32 v37, s42, v37
	s_delay_alu instid0(VALU_DEP_1) | instskip(SKIP_2) | instid1(SALU_CYCLE_1)
	v_lshl_or_b32 v37, v37, 4, v36
	ds_add_u32 v37, v123
	s_or_b32 exec_lo, exec_lo, s8
	s_mov_b32 s8, exec_lo
	v_cmpx_lt_u32_e64 v92, v2
	s_cbranch_execnz .LBB712_953
.LBB712_938:                            ;   in Loop: Header=BB712_900 Depth=2
	s_or_b32 exec_lo, exec_lo, s8
	s_delay_alu instid0(SALU_CYCLE_1)
	s_mov_b32 s8, exec_lo
	v_cmpx_lt_u32_e64 v93, v2
	s_cbranch_execz .LBB712_954
.LBB712_939:                            ;   in Loop: Header=BB712_900 Depth=2
	s_waitcnt vmcnt(14)
	v_xor_b32_e32 v38, 0x7fffffff, v5
	v_not_b32_e32 v37, v4
	s_delay_alu instid0(VALU_DEP_1) | instskip(NEXT) | instid1(VALU_DEP_1)
	v_lshrrev_b64 v[37:38], s40, v[37:38]
	v_and_b32_e32 v37, s42, v37
	s_delay_alu instid0(VALU_DEP_1) | instskip(SKIP_2) | instid1(SALU_CYCLE_1)
	v_lshl_or_b32 v37, v37, 4, v36
	ds_add_u32 v37, v123
	s_or_b32 exec_lo, exec_lo, s8
	s_mov_b32 s8, exec_lo
	v_cmpx_lt_u32_e64 v95, v2
	s_cbranch_execz .LBB712_899
	s_branch .LBB712_955
.LBB712_940:                            ;   in Loop: Header=BB712_900 Depth=2
	s_or_b32 exec_lo, exec_lo, s8
	s_delay_alu instid0(SALU_CYCLE_1)
	s_mov_b32 s8, exec_lo
	v_cmpx_lt_u32_e64 v77, v2
	s_cbranch_execz .LBB712_926
.LBB712_941:                            ;   in Loop: Header=BB712_900 Depth=2
	s_waitcnt vmcnt(14)
	v_xor_b32_e32 v38, 0x7fffffff, v31
	v_not_b32_e32 v37, v30
	s_delay_alu instid0(VALU_DEP_1) | instskip(NEXT) | instid1(VALU_DEP_1)
	v_lshrrev_b64 v[37:38], s40, v[37:38]
	v_and_b32_e32 v37, s42, v37
	s_delay_alu instid0(VALU_DEP_1) | instskip(SKIP_2) | instid1(SALU_CYCLE_1)
	v_lshl_or_b32 v37, v37, 4, v36
	ds_add_u32 v37, v123
	s_or_b32 exec_lo, exec_lo, s8
	s_mov_b32 s8, exec_lo
	v_cmpx_lt_u32_e64 v78, v2
	s_cbranch_execnz .LBB712_927
.LBB712_942:                            ;   in Loop: Header=BB712_900 Depth=2
	s_or_b32 exec_lo, exec_lo, s8
	s_delay_alu instid0(SALU_CYCLE_1)
	s_mov_b32 s8, exec_lo
	v_cmpx_lt_u32_e64 v79, v2
	s_cbranch_execz .LBB712_928
.LBB712_943:                            ;   in Loop: Header=BB712_900 Depth=2
	s_waitcnt vmcnt(14)
	v_xor_b32_e32 v38, 0x7fffffff, v27
	v_not_b32_e32 v37, v26
	s_delay_alu instid0(VALU_DEP_1) | instskip(NEXT) | instid1(VALU_DEP_1)
	v_lshrrev_b64 v[37:38], s40, v[37:38]
	v_and_b32_e32 v37, s42, v37
	s_delay_alu instid0(VALU_DEP_1) | instskip(SKIP_2) | instid1(SALU_CYCLE_1)
	v_lshl_or_b32 v37, v37, 4, v36
	ds_add_u32 v37, v123
	s_or_b32 exec_lo, exec_lo, s8
	s_mov_b32 s8, exec_lo
	v_cmpx_lt_u32_e64 v83, v2
	s_cbranch_execnz .LBB712_929
.LBB712_944:                            ;   in Loop: Header=BB712_900 Depth=2
	s_or_b32 exec_lo, exec_lo, s8
	s_delay_alu instid0(SALU_CYCLE_1)
	s_mov_b32 s8, exec_lo
	v_cmpx_lt_u32_e64 v84, v2
	s_cbranch_execz .LBB712_930
.LBB712_945:                            ;   in Loop: Header=BB712_900 Depth=2
	s_waitcnt vmcnt(14)
	v_xor_b32_e32 v38, 0x7fffffff, v23
	v_not_b32_e32 v37, v22
	s_delay_alu instid0(VALU_DEP_1) | instskip(NEXT) | instid1(VALU_DEP_1)
	v_lshrrev_b64 v[37:38], s40, v[37:38]
	v_and_b32_e32 v37, s42, v37
	s_delay_alu instid0(VALU_DEP_1) | instskip(SKIP_2) | instid1(SALU_CYCLE_1)
	v_lshl_or_b32 v37, v37, 4, v36
	ds_add_u32 v37, v123
	s_or_b32 exec_lo, exec_lo, s8
	s_mov_b32 s8, exec_lo
	v_cmpx_lt_u32_e64 v85, v2
	s_cbranch_execnz .LBB712_931
.LBB712_946:                            ;   in Loop: Header=BB712_900 Depth=2
	s_or_b32 exec_lo, exec_lo, s8
	s_delay_alu instid0(SALU_CYCLE_1)
	s_mov_b32 s8, exec_lo
	v_cmpx_lt_u32_e64 v86, v2
	s_cbranch_execz .LBB712_932
.LBB712_947:                            ;   in Loop: Header=BB712_900 Depth=2
	s_waitcnt vmcnt(14)
	v_xor_b32_e32 v38, 0x7fffffff, v19
	v_not_b32_e32 v37, v18
	s_delay_alu instid0(VALU_DEP_1) | instskip(NEXT) | instid1(VALU_DEP_1)
	v_lshrrev_b64 v[37:38], s40, v[37:38]
	v_and_b32_e32 v37, s42, v37
	s_delay_alu instid0(VALU_DEP_1) | instskip(SKIP_2) | instid1(SALU_CYCLE_1)
	v_lshl_or_b32 v37, v37, 4, v36
	ds_add_u32 v37, v123
	s_or_b32 exec_lo, exec_lo, s8
	s_mov_b32 s8, exec_lo
	v_cmpx_lt_u32_e64 v87, v2
	s_cbranch_execnz .LBB712_933
.LBB712_948:                            ;   in Loop: Header=BB712_900 Depth=2
	s_or_b32 exec_lo, exec_lo, s8
	s_delay_alu instid0(SALU_CYCLE_1)
	s_mov_b32 s8, exec_lo
	v_cmpx_lt_u32_e64 v88, v2
	s_cbranch_execz .LBB712_934
.LBB712_949:                            ;   in Loop: Header=BB712_900 Depth=2
	s_waitcnt vmcnt(14)
	v_xor_b32_e32 v38, 0x7fffffff, v15
	v_not_b32_e32 v37, v14
	s_delay_alu instid0(VALU_DEP_1) | instskip(NEXT) | instid1(VALU_DEP_1)
	v_lshrrev_b64 v[37:38], s40, v[37:38]
	v_and_b32_e32 v37, s42, v37
	s_delay_alu instid0(VALU_DEP_1) | instskip(SKIP_2) | instid1(SALU_CYCLE_1)
	v_lshl_or_b32 v37, v37, 4, v36
	ds_add_u32 v37, v123
	s_or_b32 exec_lo, exec_lo, s8
	s_mov_b32 s8, exec_lo
	v_cmpx_lt_u32_e64 v89, v2
	s_cbranch_execnz .LBB712_935
.LBB712_950:                            ;   in Loop: Header=BB712_900 Depth=2
	s_or_b32 exec_lo, exec_lo, s8
	s_delay_alu instid0(SALU_CYCLE_1)
	s_mov_b32 s8, exec_lo
	v_cmpx_lt_u32_e64 v90, v2
	s_cbranch_execz .LBB712_936
.LBB712_951:                            ;   in Loop: Header=BB712_900 Depth=2
	s_waitcnt vmcnt(14)
	v_xor_b32_e32 v38, 0x7fffffff, v11
	v_not_b32_e32 v37, v10
	s_delay_alu instid0(VALU_DEP_1) | instskip(NEXT) | instid1(VALU_DEP_1)
	v_lshrrev_b64 v[37:38], s40, v[37:38]
	v_and_b32_e32 v37, s42, v37
	s_delay_alu instid0(VALU_DEP_1) | instskip(SKIP_2) | instid1(SALU_CYCLE_1)
	v_lshl_or_b32 v37, v37, 4, v36
	ds_add_u32 v37, v123
	s_or_b32 exec_lo, exec_lo, s8
	s_mov_b32 s8, exec_lo
	v_cmpx_lt_u32_e64 v91, v2
	s_cbranch_execnz .LBB712_937
.LBB712_952:                            ;   in Loop: Header=BB712_900 Depth=2
	s_or_b32 exec_lo, exec_lo, s8
	s_delay_alu instid0(SALU_CYCLE_1)
	s_mov_b32 s8, exec_lo
	v_cmpx_lt_u32_e64 v92, v2
	s_cbranch_execz .LBB712_938
.LBB712_953:                            ;   in Loop: Header=BB712_900 Depth=2
	s_waitcnt vmcnt(14)
	v_xor_b32_e32 v38, 0x7fffffff, v7
	v_not_b32_e32 v37, v6
	s_delay_alu instid0(VALU_DEP_1) | instskip(NEXT) | instid1(VALU_DEP_1)
	v_lshrrev_b64 v[37:38], s40, v[37:38]
	v_and_b32_e32 v37, s42, v37
	s_delay_alu instid0(VALU_DEP_1) | instskip(SKIP_2) | instid1(SALU_CYCLE_1)
	v_lshl_or_b32 v37, v37, 4, v36
	ds_add_u32 v37, v123
	s_or_b32 exec_lo, exec_lo, s8
	s_mov_b32 s8, exec_lo
	v_cmpx_lt_u32_e64 v93, v2
	s_cbranch_execnz .LBB712_939
.LBB712_954:                            ;   in Loop: Header=BB712_900 Depth=2
	s_or_b32 exec_lo, exec_lo, s8
	s_delay_alu instid0(SALU_CYCLE_1)
	s_mov_b32 s8, exec_lo
	v_cmpx_lt_u32_e64 v95, v2
	s_cbranch_execz .LBB712_899
.LBB712_955:                            ;   in Loop: Header=BB712_900 Depth=2
	s_waitcnt vmcnt(0)
	v_xor_b32_e32 v38, 0x7fffffff, v35
	v_not_b32_e32 v37, v34
	s_delay_alu instid0(VALU_DEP_1) | instskip(NEXT) | instid1(VALU_DEP_1)
	v_lshrrev_b64 v[37:38], s40, v[37:38]
	v_and_b32_e32 v2, s42, v37
	s_delay_alu instid0(VALU_DEP_1)
	v_lshl_or_b32 v2, v2, 4, v36
	ds_add_u32 v2, v123
	s_branch .LBB712_899
.LBB712_956:                            ;   in Loop: Header=BB712_900 Depth=2
	s_or_b32 exec_lo, exec_lo, s9
	s_delay_alu instid0(SALU_CYCLE_1)
	s_mov_b32 s9, exec_lo
	v_cmpx_gt_u32_e64 s1, v77
	s_cbranch_execz .LBB712_906
.LBB712_957:                            ;   in Loop: Header=BB712_900 Depth=2
	global_load_b64 v[30:31], v124, s[10:11] offset:2048
	s_or_b32 exec_lo, exec_lo, s9
	s_delay_alu instid0(SALU_CYCLE_1)
	s_mov_b32 s9, exec_lo
	v_cmpx_gt_u32_e64 s1, v78
	s_cbranch_execnz .LBB712_907
.LBB712_958:                            ;   in Loop: Header=BB712_900 Depth=2
	s_or_b32 exec_lo, exec_lo, s9
	s_delay_alu instid0(SALU_CYCLE_1)
	s_mov_b32 s9, exec_lo
	v_cmpx_gt_u32_e64 s1, v79
	s_cbranch_execz .LBB712_908
.LBB712_959:                            ;   in Loop: Header=BB712_900 Depth=2
	global_load_b64 v[26:27], v126, s[10:11]
	s_or_b32 exec_lo, exec_lo, s9
	s_delay_alu instid0(SALU_CYCLE_1)
	s_mov_b32 s9, exec_lo
	v_cmpx_gt_u32_e64 s1, v83
	s_cbranch_execnz .LBB712_909
.LBB712_960:                            ;   in Loop: Header=BB712_900 Depth=2
	s_or_b32 exec_lo, exec_lo, s9
	s_delay_alu instid0(SALU_CYCLE_1)
	s_mov_b32 s9, exec_lo
	v_cmpx_gt_u32_e64 s1, v84
	s_cbranch_execz .LBB712_910
.LBB712_961:                            ;   in Loop: Header=BB712_900 Depth=2
	global_load_b64 v[22:23], v128, s[10:11]
	s_or_b32 exec_lo, exec_lo, s9
	s_delay_alu instid0(SALU_CYCLE_1)
	s_mov_b32 s9, exec_lo
	v_cmpx_gt_u32_e64 s1, v85
	s_cbranch_execnz .LBB712_911
.LBB712_962:                            ;   in Loop: Header=BB712_900 Depth=2
	s_or_b32 exec_lo, exec_lo, s9
	s_delay_alu instid0(SALU_CYCLE_1)
	s_mov_b32 s9, exec_lo
	v_cmpx_gt_u32_e64 s1, v86
	s_cbranch_execz .LBB712_912
.LBB712_963:                            ;   in Loop: Header=BB712_900 Depth=2
	global_load_b64 v[18:19], v130, s[10:11]
	s_or_b32 exec_lo, exec_lo, s9
	s_delay_alu instid0(SALU_CYCLE_1)
	s_mov_b32 s9, exec_lo
	v_cmpx_gt_u32_e64 s1, v87
	s_cbranch_execnz .LBB712_913
.LBB712_964:                            ;   in Loop: Header=BB712_900 Depth=2
	s_or_b32 exec_lo, exec_lo, s9
	s_delay_alu instid0(SALU_CYCLE_1)
	s_mov_b32 s9, exec_lo
	v_cmpx_gt_u32_e64 s1, v88
	s_cbranch_execz .LBB712_914
.LBB712_965:                            ;   in Loop: Header=BB712_900 Depth=2
	global_load_b64 v[14:15], v132, s[10:11]
	s_or_b32 exec_lo, exec_lo, s9
	s_delay_alu instid0(SALU_CYCLE_1)
	s_mov_b32 s9, exec_lo
	v_cmpx_gt_u32_e64 s1, v89
	s_cbranch_execnz .LBB712_915
.LBB712_966:                            ;   in Loop: Header=BB712_900 Depth=2
	s_or_b32 exec_lo, exec_lo, s9
	s_delay_alu instid0(SALU_CYCLE_1)
	s_mov_b32 s9, exec_lo
	v_cmpx_gt_u32_e64 s1, v90
	s_cbranch_execz .LBB712_916
.LBB712_967:                            ;   in Loop: Header=BB712_900 Depth=2
	global_load_b64 v[10:11], v134, s[10:11]
	s_or_b32 exec_lo, exec_lo, s9
	s_delay_alu instid0(SALU_CYCLE_1)
	s_mov_b32 s9, exec_lo
	v_cmpx_gt_u32_e64 s1, v91
	s_cbranch_execnz .LBB712_917
.LBB712_968:                            ;   in Loop: Header=BB712_900 Depth=2
	s_or_b32 exec_lo, exec_lo, s9
	s_delay_alu instid0(SALU_CYCLE_1)
	s_mov_b32 s9, exec_lo
	v_cmpx_gt_u32_e64 s1, v92
	s_cbranch_execz .LBB712_918
.LBB712_969:                            ;   in Loop: Header=BB712_900 Depth=2
	v_lshlrev_b32_e32 v2, 3, v92
	global_load_b64 v[6:7], v2, s[10:11]
	s_or_b32 exec_lo, exec_lo, s9
	s_delay_alu instid0(SALU_CYCLE_1)
	s_mov_b32 s9, exec_lo
	v_cmpx_gt_u32_e64 s1, v93
	s_cbranch_execz .LBB712_920
	s_branch .LBB712_919
.LBB712_970:                            ;   in Loop: Header=BB712_12 Depth=1
	v_mov_b32_e32 v2, 0
	s_waitcnt vmcnt(0) lgkmcnt(0)
	s_barrier
	buffer_gl0_inv
	s_and_saveexec_b32 s1, s2
	s_cbranch_execz .LBB712_972
; %bb.971:                              ;   in Loop: Header=BB712_12 Depth=1
	ds_load_2addr_b64 v[4:7], v96 offset1:1
	s_waitcnt lgkmcnt(0)
	v_add_nc_u32_e32 v2, v5, v4
	s_delay_alu instid0(VALU_DEP_1)
	v_add3_u32 v2, v2, v6, v7
.LBB712_972:                            ;   in Loop: Header=BB712_12 Depth=1
	s_or_b32 exec_lo, exec_lo, s1
	v_and_b32_e32 v4, 15, v136
	s_delay_alu instid0(VALU_DEP_2) | instskip(SKIP_1) | instid1(VALU_DEP_3)
	v_mov_b32_dpp v5, v2 row_shr:1 row_mask:0xf bank_mask:0xf
	v_and_b32_e32 v6, 16, v136
	v_cmp_eq_u32_e64 s1, 0, v4
	v_cmp_lt_u32_e64 s7, 1, v4
	v_cmp_lt_u32_e64 s8, 3, v4
	;; [unrolled: 1-line block ×3, first 2 shown]
	v_cmp_eq_u32_e64 s10, 0, v6
	v_cndmask_b32_e64 v5, v5, 0, s1
	s_delay_alu instid0(VALU_DEP_1) | instskip(NEXT) | instid1(VALU_DEP_1)
	v_add_nc_u32_e32 v2, v5, v2
	v_mov_b32_dpp v5, v2 row_shr:2 row_mask:0xf bank_mask:0xf
	s_delay_alu instid0(VALU_DEP_1) | instskip(NEXT) | instid1(VALU_DEP_1)
	v_cndmask_b32_e64 v5, 0, v5, s7
	v_add_nc_u32_e32 v2, v2, v5
	s_delay_alu instid0(VALU_DEP_1) | instskip(NEXT) | instid1(VALU_DEP_1)
	v_mov_b32_dpp v5, v2 row_shr:4 row_mask:0xf bank_mask:0xf
	v_cndmask_b32_e64 v5, 0, v5, s8
	s_delay_alu instid0(VALU_DEP_1) | instskip(NEXT) | instid1(VALU_DEP_1)
	v_add_nc_u32_e32 v2, v2, v5
	v_mov_b32_dpp v5, v2 row_shr:8 row_mask:0xf bank_mask:0xf
	s_delay_alu instid0(VALU_DEP_1) | instskip(SKIP_1) | instid1(VALU_DEP_2)
	v_cndmask_b32_e64 v4, 0, v5, s9
	v_bfe_i32 v5, v136, 4, 1
	v_add_nc_u32_e32 v2, v2, v4
	ds_swizzle_b32 v4, v2 offset:swizzle(BROADCAST,32,15)
	s_waitcnt lgkmcnt(0)
	v_and_b32_e32 v4, v5, v4
	s_delay_alu instid0(VALU_DEP_1)
	v_add_nc_u32_e32 v4, v2, v4
	s_and_saveexec_b32 s11, s3
	s_cbranch_execz .LBB712_974
; %bb.973:                              ;   in Loop: Header=BB712_12 Depth=1
	ds_store_b32 v97, v4
.LBB712_974:                            ;   in Loop: Header=BB712_12 Depth=1
	s_or_b32 exec_lo, exec_lo, s11
	v_and_b32_e32 v2, 7, v136
	s_waitcnt lgkmcnt(0)
	s_barrier
	buffer_gl0_inv
	s_and_saveexec_b32 s11, s4
	s_cbranch_execz .LBB712_976
; %bb.975:                              ;   in Loop: Header=BB712_12 Depth=1
	ds_load_b32 v5, v98
	v_cmp_ne_u32_e32 vcc_lo, 0, v2
	s_waitcnt lgkmcnt(0)
	v_mov_b32_dpp v6, v5 row_shr:1 row_mask:0xf bank_mask:0xf
	s_delay_alu instid0(VALU_DEP_1) | instskip(SKIP_1) | instid1(VALU_DEP_2)
	v_cndmask_b32_e32 v6, 0, v6, vcc_lo
	v_cmp_lt_u32_e32 vcc_lo, 1, v2
	v_add_nc_u32_e32 v5, v6, v5
	s_delay_alu instid0(VALU_DEP_1) | instskip(NEXT) | instid1(VALU_DEP_1)
	v_mov_b32_dpp v6, v5 row_shr:2 row_mask:0xf bank_mask:0xf
	v_cndmask_b32_e32 v6, 0, v6, vcc_lo
	v_cmp_lt_u32_e32 vcc_lo, 3, v2
	s_delay_alu instid0(VALU_DEP_2) | instskip(NEXT) | instid1(VALU_DEP_1)
	v_add_nc_u32_e32 v5, v5, v6
	v_mov_b32_dpp v6, v5 row_shr:4 row_mask:0xf bank_mask:0xf
	s_delay_alu instid0(VALU_DEP_1) | instskip(NEXT) | instid1(VALU_DEP_1)
	v_cndmask_b32_e32 v6, 0, v6, vcc_lo
	v_add_nc_u32_e32 v5, v5, v6
	ds_store_b32 v98, v5
.LBB712_976:                            ;   in Loop: Header=BB712_12 Depth=1
	s_or_b32 exec_lo, exec_lo, s11
	v_mov_b32_e32 v5, 0
	s_waitcnt lgkmcnt(0)
	s_barrier
	buffer_gl0_inv
	s_and_saveexec_b32 s11, s5
	s_cbranch_execz .LBB712_978
; %bb.977:                              ;   in Loop: Header=BB712_12 Depth=1
	ds_load_b32 v5, v99
.LBB712_978:                            ;   in Loop: Header=BB712_12 Depth=1
	s_or_b32 exec_lo, exec_lo, s11
	v_add_nc_u32_e32 v6, -1, v136
	s_waitcnt lgkmcnt(0)
	v_add_nc_u32_e32 v4, v5, v4
	v_cmp_eq_u32_e64 s11, 0, v136
	s_barrier
	v_cmp_gt_i32_e32 vcc_lo, 0, v6
	buffer_gl0_inv
	v_cndmask_b32_e32 v6, v6, v136, vcc_lo
	s_delay_alu instid0(VALU_DEP_1)
	v_lshlrev_b32_e32 v137, 2, v6
	ds_bpermute_b32 v4, v137, v4
	s_and_saveexec_b32 s12, s2
	s_cbranch_execz .LBB712_980
; %bb.979:                              ;   in Loop: Header=BB712_12 Depth=1
	s_waitcnt lgkmcnt(0)
	v_cndmask_b32_e64 v4, v4, v5, s11
	s_delay_alu instid0(VALU_DEP_1)
	v_add_nc_u32_e32 v4, s60, v4
	ds_store_b32 v76, v4
.LBB712_980:                            ;   in Loop: Header=BB712_12 Depth=1
	s_or_b32 exec_lo, exec_lo, s12
	s_load_b64 s[12:13], s[36:37], 0x0
	v_lshlrev_b32_e32 v7, 3, v136
	v_cmp_lt_u32_e64 s14, 3, v2
	v_or_b32_e32 v138, v136, v100
	s_mov_b32 s43, s62
	s_mov_b32 s38, s60
	v_add_co_u32 v139, vcc_lo, v119, v7
	v_add_co_ci_u32_e32 v140, vcc_lo, 0, v120, vcc_lo
	v_add_co_u32 v156, vcc_lo, v121, v7
	v_add_co_ci_u32_e32 v157, vcc_lo, 0, v122, vcc_lo
	v_or_b32_e32 v141, 32, v138
	s_delay_alu instid0(VALU_DEP_3)
	v_add_co_u32 v159, vcc_lo, 0xf00, v156
	v_or_b32_e32 v142, 64, v138
	v_or_b32_e32 v143, 0x60, v138
	;; [unrolled: 1-line block ×3, first 2 shown]
	s_waitcnt lgkmcnt(0)
	s_cmp_lt_u32 s15, s13
	v_or_b32_e32 v145, 0xa0, v138
	s_cselect_b32 s13, 14, 20
	v_or_b32_e32 v146, 0xc0, v138
	s_add_u32 s16, s36, s13
	s_addc_u32 s17, s37, 0
	s_cmp_lt_u32 s28, s12
	global_load_u16 v4, v3, s[16:17]
	s_cselect_b32 s12, 12, 18
	v_or_b32_e32 v147, 0xe0, v138
	s_add_u32 s12, s36, s12
	s_addc_u32 s13, s37, 0
	v_or_b32_e32 v148, 0x100, v138
	global_load_u16 v6, v3, s[12:13]
	v_cmp_eq_u32_e64 s12, 0, v2
	v_cmp_lt_u32_e64 s13, 1, v2
	v_or_b32_e32 v149, 0x120, v138
	v_or_b32_e32 v150, 0x140, v138
	;; [unrolled: 1-line block ×7, first 2 shown]
	v_add_co_ci_u32_e32 v160, vcc_lo, 0, v157, vcc_lo
                                        ; implicit-def: $vgpr8_vgpr9
                                        ; implicit-def: $vgpr10_vgpr11
                                        ; implicit-def: $vgpr12_vgpr13
                                        ; implicit-def: $vgpr14_vgpr15
                                        ; implicit-def: $vgpr16_vgpr17
                                        ; implicit-def: $vgpr18_vgpr19
                                        ; implicit-def: $vgpr20_vgpr21
                                        ; implicit-def: $vgpr22_vgpr23
                                        ; implicit-def: $vgpr24_vgpr25
                                        ; implicit-def: $vgpr26_vgpr27
                                        ; implicit-def: $vgpr28_vgpr29
                                        ; implicit-def: $vgpr30_vgpr31
                                        ; implicit-def: $vgpr32_vgpr33
                                        ; implicit-def: $vgpr34_vgpr35
                                        ; implicit-def: $vgpr161
                                        ; implicit-def: $vgpr162
                                        ; implicit-def: $vgpr163
                                        ; implicit-def: $vgpr164
                                        ; implicit-def: $vgpr165
                                        ; implicit-def: $vgpr166
                                        ; implicit-def: $vgpr167
                                        ; implicit-def: $vgpr168
                                        ; implicit-def: $vgpr169
                                        ; implicit-def: $vgpr170
                                        ; implicit-def: $vgpr171
                                        ; implicit-def: $vgpr172
                                        ; implicit-def: $vgpr173
                                        ; implicit-def: $vgpr174
                                        ; implicit-def: $vgpr175
                                        ; implicit-def: $vgpr176
	s_waitcnt vmcnt(1)
	v_mad_u32_u24 v2, v101, v4, v0
	s_waitcnt vmcnt(0)
	s_delay_alu instid0(VALU_DEP_1) | instskip(NEXT) | instid1(VALU_DEP_1)
	v_mad_u64_u32 v[4:5], null, v2, v6, v[1:2]
                                        ; implicit-def: $vgpr6_vgpr7
	v_lshrrev_b32_e32 v158, 5, v4
                                        ; implicit-def: $vgpr4_vgpr5
	s_branch .LBB712_982
.LBB712_981:                            ;   in Loop: Header=BB712_982 Depth=2
	s_or_b32 exec_lo, exec_lo, s16
	s_addk_i32 s43, 0xf000
	s_cmp_lt_u32 s50, s61
	s_mov_b32 s38, s50
	s_cbranch_scc0 .LBB712_10
.LBB712_982:                            ;   Parent Loop BB712_12 Depth=1
                                        ; =>  This Inner Loop Header: Depth=2
	s_add_i32 s50, s38, 0x1000
	s_delay_alu instid0(SALU_CYCLE_1)
	s_cmp_gt_u32 s50, s61
	s_cbranch_scc1 .LBB712_984
; %bb.983:                              ;   in Loop: Header=BB712_982 Depth=2
	s_mov_b32 s39, 0
	s_delay_alu instid0(SALU_CYCLE_1) | instskip(NEXT) | instid1(SALU_CYCLE_1)
	s_lshl_b64 s[16:17], s[38:39], 3
	v_add_co_u32 v40, vcc_lo, v156, s16
	v_add_co_ci_u32_e32 v41, vcc_lo, s17, v157, vcc_lo
	s_mov_b32 s17, -1
	s_movk_i32 s16, 0x1000
	s_clause 0xe
	global_load_b64 v[36:37], v[40:41], off
	global_load_b64 v[38:39], v[40:41], off offset:256
	global_load_b64 v[44:45], v[40:41], off offset:512
	;; [unrolled: 1-line block ×14, first 2 shown]
	s_cbranch_execz .LBB712_985
	s_branch .LBB712_1016
.LBB712_984:                            ;   in Loop: Header=BB712_982 Depth=2
	s_mov_b32 s39, -1
	s_mov_b32 s17, 0
                                        ; implicit-def: $sgpr16
                                        ; implicit-def: $vgpr36_vgpr37
                                        ; implicit-def: $vgpr38_vgpr39
                                        ; implicit-def: $vgpr44_vgpr45
                                        ; implicit-def: $vgpr48_vgpr49
                                        ; implicit-def: $vgpr54_vgpr55
                                        ; implicit-def: $vgpr58_vgpr59
                                        ; implicit-def: $vgpr62_vgpr63
                                        ; implicit-def: $vgpr66_vgpr67
                                        ; implicit-def: $vgpr64_vgpr65
                                        ; implicit-def: $vgpr60_vgpr61
                                        ; implicit-def: $vgpr56_vgpr57
                                        ; implicit-def: $vgpr52_vgpr53
                                        ; implicit-def: $vgpr50_vgpr51
                                        ; implicit-def: $vgpr46_vgpr47
                                        ; implicit-def: $vgpr40_vgpr41
.LBB712_985:                            ;   in Loop: Header=BB712_982 Depth=2
	s_mov_b32 s39, s34
	s_waitcnt vmcnt(14)
	v_dual_mov_b32 v37, s35 :: v_dual_mov_b32 v36, s34
	s_lshl_b64 s[16:17], s[38:39], 3
	s_delay_alu instid0(SALU_CYCLE_1)
	v_add_co_u32 v42, vcc_lo, v156, s16
	v_add_co_ci_u32_e32 v43, vcc_lo, s17, v157, vcc_lo
	s_mov_b32 s16, exec_lo
	v_cmpx_gt_u32_e64 s43, v138
	s_cbranch_execz .LBB712_987
; %bb.986:                              ;   in Loop: Header=BB712_982 Depth=2
	global_load_b64 v[36:37], v[42:43], off
.LBB712_987:                            ;   in Loop: Header=BB712_982 Depth=2
	s_or_b32 exec_lo, exec_lo, s16
	s_waitcnt vmcnt(13)
	v_dual_mov_b32 v39, s35 :: v_dual_mov_b32 v38, s34
	s_mov_b32 s16, exec_lo
	v_cmpx_gt_u32_e64 s43, v141
	s_cbranch_execz .LBB712_989
; %bb.988:                              ;   in Loop: Header=BB712_982 Depth=2
	global_load_b64 v[38:39], v[42:43], off offset:256
.LBB712_989:                            ;   in Loop: Header=BB712_982 Depth=2
	s_or_b32 exec_lo, exec_lo, s16
	s_waitcnt vmcnt(12)
	v_dual_mov_b32 v45, s35 :: v_dual_mov_b32 v44, s34
	s_mov_b32 s16, exec_lo
	v_cmpx_gt_u32_e64 s43, v142
	s_cbranch_execz .LBB712_991
; %bb.990:                              ;   in Loop: Header=BB712_982 Depth=2
	global_load_b64 v[44:45], v[42:43], off offset:512
.LBB712_991:                            ;   in Loop: Header=BB712_982 Depth=2
	;; [unrolled: 9-line block ×6, first 2 shown]
	s_or_b32 exec_lo, exec_lo, s16
	s_waitcnt vmcnt(7)
	v_dual_mov_b32 v67, s35 :: v_dual_mov_b32 v66, s34
	s_mov_b32 s16, exec_lo
	v_cmpx_gt_u32_e64 s43, v147
	s_cbranch_execz .LBB712_1001
; %bb.1000:                             ;   in Loop: Header=BB712_982 Depth=2
	global_load_b64 v[66:67], v[42:43], off offset:1792
.LBB712_1001:                           ;   in Loop: Header=BB712_982 Depth=2
	s_or_b32 exec_lo, exec_lo, s16
	s_waitcnt vmcnt(6)
	v_dual_mov_b32 v65, s35 :: v_dual_mov_b32 v64, s34
	s_mov_b32 s16, exec_lo
	v_cmpx_gt_u32_e64 s43, v148
	s_cbranch_execz .LBB712_1003
; %bb.1002:                             ;   in Loop: Header=BB712_982 Depth=2
	global_load_b64 v[64:65], v[42:43], off offset:2048
.LBB712_1003:                           ;   in Loop: Header=BB712_982 Depth=2
	;; [unrolled: 9-line block ×8, first 2 shown]
	s_or_b32 exec_lo, exec_lo, s16
	v_cmp_gt_u32_e64 s17, s43, v155
	s_sub_i32 s16, s61, s38
.LBB712_1016:                           ;   in Loop: Header=BB712_982 Depth=2
	v_dual_mov_b32 v43, s35 :: v_dual_mov_b32 v42, s34
	v_mov_b32_e32 v177, s43
	s_delay_alu instid0(VALU_DEP_3)
	s_and_saveexec_b32 s18, s17
	s_cbranch_execz .LBB712_1018
; %bb.1017:                             ;   in Loop: Header=BB712_982 Depth=2
	s_lshl_b64 s[20:21], s[38:39], 3
	v_mov_b32_e32 v177, s16
	v_add_co_u32 v42, vcc_lo, v159, s20
	v_add_co_ci_u32_e32 v43, vcc_lo, s21, v160, vcc_lo
	global_load_b64 v[42:43], v[42:43], off
.LBB712_1018:                           ;   in Loop: Header=BB712_982 Depth=2
	s_or_b32 exec_lo, exec_lo, s18
	s_waitcnt vmcnt(14)
	v_xor_b32_e32 v37, 0x7fffffff, v37
	v_not_b32_e32 v36, v36
	ds_store_b32 v102, v3 offset:1056
	ds_store_2addr_b32 v103, v3, v3 offset0:1 offset1:2
	ds_store_2addr_b32 v103, v3, v3 offset0:3 offset1:4
	;; [unrolled: 1-line block ×4, first 2 shown]
	s_waitcnt vmcnt(0) lgkmcnt(0)
	s_barrier
	v_lshrrev_b64 v[68:69], s40, v[36:37]
	buffer_gl0_inv
	; wave barrier
	v_and_b32_e32 v69, s42, v68
	s_delay_alu instid0(VALU_DEP_1)
	v_and_b32_e32 v2, 1, v69
	v_lshlrev_b32_e32 v68, 30, v69
	v_lshlrev_b32_e32 v70, 29, v69
	;; [unrolled: 1-line block ×4, first 2 shown]
	v_add_co_u32 v2, s16, v2, -1
	s_delay_alu instid0(VALU_DEP_1)
	v_cndmask_b32_e64 v72, 0, 1, s16
	v_not_b32_e32 v178, v68
	v_cmp_gt_i32_e64 s16, 0, v68
	v_not_b32_e32 v68, v70
	v_lshlrev_b32_e32 v74, 26, v69
	v_cmp_ne_u32_e32 vcc_lo, 0, v72
	v_ashrrev_i32_e32 v178, 31, v178
	v_lshlrev_b32_e32 v75, 25, v69
	v_ashrrev_i32_e32 v68, 31, v68
	v_lshlrev_b32_e32 v72, 24, v69
	v_xor_b32_e32 v2, vcc_lo, v2
	v_cmp_gt_i32_e32 vcc_lo, 0, v70
	v_not_b32_e32 v70, v71
	v_xor_b32_e32 v178, s16, v178
	v_cmp_gt_i32_e64 s16, 0, v71
	v_and_b32_e32 v2, exec_lo, v2
	v_not_b32_e32 v71, v73
	v_ashrrev_i32_e32 v70, 31, v70
	v_xor_b32_e32 v68, vcc_lo, v68
	v_cmp_gt_i32_e32 vcc_lo, 0, v73
	v_and_b32_e32 v2, v2, v178
	v_not_b32_e32 v73, v74
	v_ashrrev_i32_e32 v71, 31, v71
	v_xor_b32_e32 v70, s16, v70
	v_cmp_gt_i32_e64 s16, 0, v74
	v_and_b32_e32 v2, v2, v68
	v_not_b32_e32 v68, v75
	v_ashrrev_i32_e32 v73, 31, v73
	v_xor_b32_e32 v71, vcc_lo, v71
	v_cmp_gt_i32_e32 vcc_lo, 0, v75
	v_and_b32_e32 v2, v2, v70
	v_not_b32_e32 v70, v72
	v_ashrrev_i32_e32 v68, 31, v68
	v_xor_b32_e32 v73, s16, v73
	v_cmp_gt_i32_e64 s16, 0, v72
	v_and_b32_e32 v2, v2, v71
	v_ashrrev_i32_e32 v70, 31, v70
	v_xor_b32_e32 v68, vcc_lo, v68
	v_mad_u32_u24 v69, v69, 9, v158
	s_delay_alu instid0(VALU_DEP_4) | instskip(NEXT) | instid1(VALU_DEP_4)
	v_and_b32_e32 v2, v2, v73
	v_xor_b32_e32 v70, s16, v70
	s_delay_alu instid0(VALU_DEP_3) | instskip(NEXT) | instid1(VALU_DEP_3)
	v_lshl_add_u32 v178, v69, 2, 0x420
	v_and_b32_e32 v2, v2, v68
	s_delay_alu instid0(VALU_DEP_1) | instskip(NEXT) | instid1(VALU_DEP_1)
	v_and_b32_e32 v68, v2, v70
	v_mbcnt_lo_u32_b32 v2, v68, 0
	v_cmp_ne_u32_e64 s16, 0, v68
	s_delay_alu instid0(VALU_DEP_2) | instskip(NEXT) | instid1(VALU_DEP_2)
	v_cmp_eq_u32_e32 vcc_lo, 0, v2
	s_and_b32 s17, s16, vcc_lo
	s_delay_alu instid0(SALU_CYCLE_1)
	s_and_saveexec_b32 s16, s17
	s_cbranch_execz .LBB712_1020
; %bb.1019:                             ;   in Loop: Header=BB712_982 Depth=2
	v_bcnt_u32_b32 v68, v68, 0
	ds_store_b32 v178, v68
.LBB712_1020:                           ;   in Loop: Header=BB712_982 Depth=2
	s_or_b32 exec_lo, exec_lo, s16
	v_xor_b32_e32 v39, 0x7fffffff, v39
	v_not_b32_e32 v38, v38
	; wave barrier
	s_delay_alu instid0(VALU_DEP_1) | instskip(NEXT) | instid1(VALU_DEP_1)
	v_lshrrev_b64 v[68:69], s40, v[38:39]
	v_and_b32_e32 v68, s42, v68
	s_delay_alu instid0(VALU_DEP_1)
	v_and_b32_e32 v69, 1, v68
	v_lshlrev_b32_e32 v70, 30, v68
	v_lshlrev_b32_e32 v71, 29, v68
	;; [unrolled: 1-line block ×4, first 2 shown]
	v_add_co_u32 v69, s16, v69, -1
	s_delay_alu instid0(VALU_DEP_1)
	v_cndmask_b32_e64 v73, 0, 1, s16
	v_not_b32_e32 v180, v70
	v_cmp_gt_i32_e64 s16, 0, v70
	v_not_b32_e32 v70, v71
	v_lshlrev_b32_e32 v75, 26, v68
	v_cmp_ne_u32_e32 vcc_lo, 0, v73
	v_ashrrev_i32_e32 v180, 31, v180
	v_lshlrev_b32_e32 v179, 25, v68
	v_ashrrev_i32_e32 v70, 31, v70
	v_lshlrev_b32_e32 v73, 24, v68
	v_xor_b32_e32 v69, vcc_lo, v69
	v_cmp_gt_i32_e32 vcc_lo, 0, v71
	v_not_b32_e32 v71, v72
	v_xor_b32_e32 v180, s16, v180
	v_cmp_gt_i32_e64 s16, 0, v72
	v_and_b32_e32 v69, exec_lo, v69
	v_not_b32_e32 v72, v74
	v_ashrrev_i32_e32 v71, 31, v71
	v_xor_b32_e32 v70, vcc_lo, v70
	v_cmp_gt_i32_e32 vcc_lo, 0, v74
	v_and_b32_e32 v69, v69, v180
	v_not_b32_e32 v74, v75
	v_ashrrev_i32_e32 v72, 31, v72
	v_xor_b32_e32 v71, s16, v71
	v_cmp_gt_i32_e64 s16, 0, v75
	v_and_b32_e32 v69, v69, v70
	v_not_b32_e32 v70, v179
	v_ashrrev_i32_e32 v74, 31, v74
	v_xor_b32_e32 v72, vcc_lo, v72
	v_cmp_gt_i32_e32 vcc_lo, 0, v179
	v_and_b32_e32 v69, v69, v71
	v_not_b32_e32 v71, v73
	v_ashrrev_i32_e32 v70, 31, v70
	v_xor_b32_e32 v74, s16, v74
	v_mul_u32_u24_e32 v68, 9, v68
	v_and_b32_e32 v69, v69, v72
	v_cmp_gt_i32_e64 s16, 0, v73
	v_ashrrev_i32_e32 v71, 31, v71
	v_xor_b32_e32 v70, vcc_lo, v70
	v_add_lshl_u32 v72, v68, v158, 2
	v_and_b32_e32 v69, v69, v74
	s_delay_alu instid0(VALU_DEP_4) | instskip(SKIP_3) | instid1(VALU_DEP_2)
	v_xor_b32_e32 v68, s16, v71
	ds_load_b32 v179, v72 offset:1056
	v_and_b32_e32 v69, v69, v70
	v_add_nc_u32_e32 v181, 0x420, v72
	; wave barrier
	v_and_b32_e32 v68, v69, v68
	s_delay_alu instid0(VALU_DEP_1) | instskip(SKIP_1) | instid1(VALU_DEP_2)
	v_mbcnt_lo_u32_b32 v180, v68, 0
	v_cmp_ne_u32_e64 s16, 0, v68
	v_cmp_eq_u32_e32 vcc_lo, 0, v180
	s_delay_alu instid0(VALU_DEP_2) | instskip(NEXT) | instid1(SALU_CYCLE_1)
	s_and_b32 s17, s16, vcc_lo
	s_and_saveexec_b32 s16, s17
	s_cbranch_execz .LBB712_1022
; %bb.1021:                             ;   in Loop: Header=BB712_982 Depth=2
	s_waitcnt lgkmcnt(0)
	v_bcnt_u32_b32 v68, v68, v179
	ds_store_b32 v181, v68
.LBB712_1022:                           ;   in Loop: Header=BB712_982 Depth=2
	s_or_b32 exec_lo, exec_lo, s16
	v_xor_b32_e32 v45, 0x7fffffff, v45
	v_not_b32_e32 v44, v44
	; wave barrier
	s_delay_alu instid0(VALU_DEP_1) | instskip(NEXT) | instid1(VALU_DEP_1)
	v_lshrrev_b64 v[68:69], s40, v[44:45]
	v_and_b32_e32 v68, s42, v68
	s_delay_alu instid0(VALU_DEP_1)
	v_and_b32_e32 v69, 1, v68
	v_lshlrev_b32_e32 v70, 30, v68
	v_lshlrev_b32_e32 v71, 29, v68
	;; [unrolled: 1-line block ×4, first 2 shown]
	v_add_co_u32 v69, s16, v69, -1
	s_delay_alu instid0(VALU_DEP_1)
	v_cndmask_b32_e64 v73, 0, 1, s16
	v_not_b32_e32 v183, v70
	v_cmp_gt_i32_e64 s16, 0, v70
	v_not_b32_e32 v70, v71
	v_lshlrev_b32_e32 v75, 26, v68
	v_cmp_ne_u32_e32 vcc_lo, 0, v73
	v_ashrrev_i32_e32 v183, 31, v183
	v_lshlrev_b32_e32 v182, 25, v68
	v_ashrrev_i32_e32 v70, 31, v70
	v_lshlrev_b32_e32 v73, 24, v68
	v_xor_b32_e32 v69, vcc_lo, v69
	v_cmp_gt_i32_e32 vcc_lo, 0, v71
	v_not_b32_e32 v71, v72
	v_xor_b32_e32 v183, s16, v183
	v_cmp_gt_i32_e64 s16, 0, v72
	v_and_b32_e32 v69, exec_lo, v69
	v_not_b32_e32 v72, v74
	v_ashrrev_i32_e32 v71, 31, v71
	v_xor_b32_e32 v70, vcc_lo, v70
	v_cmp_gt_i32_e32 vcc_lo, 0, v74
	v_and_b32_e32 v69, v69, v183
	v_not_b32_e32 v74, v75
	v_ashrrev_i32_e32 v72, 31, v72
	v_xor_b32_e32 v71, s16, v71
	v_cmp_gt_i32_e64 s16, 0, v75
	v_and_b32_e32 v69, v69, v70
	v_not_b32_e32 v70, v182
	v_ashrrev_i32_e32 v74, 31, v74
	v_xor_b32_e32 v72, vcc_lo, v72
	v_cmp_gt_i32_e32 vcc_lo, 0, v182
	v_and_b32_e32 v69, v69, v71
	v_not_b32_e32 v71, v73
	v_ashrrev_i32_e32 v70, 31, v70
	v_xor_b32_e32 v74, s16, v74
	v_mul_u32_u24_e32 v68, 9, v68
	v_and_b32_e32 v69, v69, v72
	v_cmp_gt_i32_e64 s16, 0, v73
	v_ashrrev_i32_e32 v71, 31, v71
	v_xor_b32_e32 v70, vcc_lo, v70
	v_add_lshl_u32 v72, v68, v158, 2
	v_and_b32_e32 v69, v69, v74
	s_delay_alu instid0(VALU_DEP_4) | instskip(SKIP_3) | instid1(VALU_DEP_2)
	v_xor_b32_e32 v68, s16, v71
	ds_load_b32 v182, v72 offset:1056
	v_and_b32_e32 v69, v69, v70
	v_add_nc_u32_e32 v184, 0x420, v72
	; wave barrier
	v_and_b32_e32 v68, v69, v68
	s_delay_alu instid0(VALU_DEP_1) | instskip(SKIP_1) | instid1(VALU_DEP_2)
	v_mbcnt_lo_u32_b32 v183, v68, 0
	v_cmp_ne_u32_e64 s16, 0, v68
	v_cmp_eq_u32_e32 vcc_lo, 0, v183
	s_delay_alu instid0(VALU_DEP_2) | instskip(NEXT) | instid1(SALU_CYCLE_1)
	s_and_b32 s17, s16, vcc_lo
	s_and_saveexec_b32 s16, s17
	s_cbranch_execz .LBB712_1024
; %bb.1023:                             ;   in Loop: Header=BB712_982 Depth=2
	s_waitcnt lgkmcnt(0)
	v_bcnt_u32_b32 v68, v68, v182
	ds_store_b32 v184, v68
.LBB712_1024:                           ;   in Loop: Header=BB712_982 Depth=2
	s_or_b32 exec_lo, exec_lo, s16
	v_xor_b32_e32 v49, 0x7fffffff, v49
	v_not_b32_e32 v48, v48
	; wave barrier
	s_delay_alu instid0(VALU_DEP_1) | instskip(NEXT) | instid1(VALU_DEP_1)
	v_lshrrev_b64 v[68:69], s40, v[48:49]
	v_and_b32_e32 v68, s42, v68
	s_delay_alu instid0(VALU_DEP_1)
	v_and_b32_e32 v69, 1, v68
	v_lshlrev_b32_e32 v70, 30, v68
	v_lshlrev_b32_e32 v71, 29, v68
	;; [unrolled: 1-line block ×4, first 2 shown]
	v_add_co_u32 v69, s16, v69, -1
	s_delay_alu instid0(VALU_DEP_1)
	v_cndmask_b32_e64 v73, 0, 1, s16
	v_not_b32_e32 v186, v70
	v_cmp_gt_i32_e64 s16, 0, v70
	v_not_b32_e32 v70, v71
	v_lshlrev_b32_e32 v75, 26, v68
	v_cmp_ne_u32_e32 vcc_lo, 0, v73
	v_ashrrev_i32_e32 v186, 31, v186
	v_lshlrev_b32_e32 v185, 25, v68
	v_ashrrev_i32_e32 v70, 31, v70
	v_lshlrev_b32_e32 v73, 24, v68
	v_xor_b32_e32 v69, vcc_lo, v69
	v_cmp_gt_i32_e32 vcc_lo, 0, v71
	v_not_b32_e32 v71, v72
	v_xor_b32_e32 v186, s16, v186
	v_cmp_gt_i32_e64 s16, 0, v72
	v_and_b32_e32 v69, exec_lo, v69
	v_not_b32_e32 v72, v74
	v_ashrrev_i32_e32 v71, 31, v71
	v_xor_b32_e32 v70, vcc_lo, v70
	v_cmp_gt_i32_e32 vcc_lo, 0, v74
	v_and_b32_e32 v69, v69, v186
	v_not_b32_e32 v74, v75
	v_ashrrev_i32_e32 v72, 31, v72
	v_xor_b32_e32 v71, s16, v71
	v_cmp_gt_i32_e64 s16, 0, v75
	v_and_b32_e32 v69, v69, v70
	v_not_b32_e32 v70, v185
	v_ashrrev_i32_e32 v74, 31, v74
	v_xor_b32_e32 v72, vcc_lo, v72
	v_cmp_gt_i32_e32 vcc_lo, 0, v185
	v_and_b32_e32 v69, v69, v71
	v_not_b32_e32 v71, v73
	v_ashrrev_i32_e32 v70, 31, v70
	v_xor_b32_e32 v74, s16, v74
	v_mul_u32_u24_e32 v68, 9, v68
	v_and_b32_e32 v69, v69, v72
	v_cmp_gt_i32_e64 s16, 0, v73
	v_ashrrev_i32_e32 v71, 31, v71
	v_xor_b32_e32 v70, vcc_lo, v70
	v_add_lshl_u32 v72, v68, v158, 2
	v_and_b32_e32 v69, v69, v74
	s_delay_alu instid0(VALU_DEP_4) | instskip(SKIP_3) | instid1(VALU_DEP_2)
	v_xor_b32_e32 v68, s16, v71
	ds_load_b32 v185, v72 offset:1056
	v_and_b32_e32 v69, v69, v70
	v_add_nc_u32_e32 v187, 0x420, v72
	; wave barrier
	v_and_b32_e32 v68, v69, v68
	s_delay_alu instid0(VALU_DEP_1) | instskip(SKIP_1) | instid1(VALU_DEP_2)
	v_mbcnt_lo_u32_b32 v186, v68, 0
	v_cmp_ne_u32_e64 s16, 0, v68
	v_cmp_eq_u32_e32 vcc_lo, 0, v186
	s_delay_alu instid0(VALU_DEP_2) | instskip(NEXT) | instid1(SALU_CYCLE_1)
	s_and_b32 s17, s16, vcc_lo
	s_and_saveexec_b32 s16, s17
	s_cbranch_execz .LBB712_1026
; %bb.1025:                             ;   in Loop: Header=BB712_982 Depth=2
	s_waitcnt lgkmcnt(0)
	v_bcnt_u32_b32 v68, v68, v185
	ds_store_b32 v187, v68
.LBB712_1026:                           ;   in Loop: Header=BB712_982 Depth=2
	s_or_b32 exec_lo, exec_lo, s16
	v_xor_b32_e32 v55, 0x7fffffff, v55
	v_not_b32_e32 v54, v54
	; wave barrier
	s_delay_alu instid0(VALU_DEP_1) | instskip(NEXT) | instid1(VALU_DEP_1)
	v_lshrrev_b64 v[68:69], s40, v[54:55]
	v_and_b32_e32 v68, s42, v68
	s_delay_alu instid0(VALU_DEP_1)
	v_and_b32_e32 v69, 1, v68
	v_lshlrev_b32_e32 v70, 30, v68
	v_lshlrev_b32_e32 v71, 29, v68
	;; [unrolled: 1-line block ×4, first 2 shown]
	v_add_co_u32 v69, s16, v69, -1
	s_delay_alu instid0(VALU_DEP_1)
	v_cndmask_b32_e64 v73, 0, 1, s16
	v_not_b32_e32 v189, v70
	v_cmp_gt_i32_e64 s16, 0, v70
	v_not_b32_e32 v70, v71
	v_lshlrev_b32_e32 v75, 26, v68
	v_cmp_ne_u32_e32 vcc_lo, 0, v73
	v_ashrrev_i32_e32 v189, 31, v189
	v_lshlrev_b32_e32 v188, 25, v68
	v_ashrrev_i32_e32 v70, 31, v70
	v_lshlrev_b32_e32 v73, 24, v68
	v_xor_b32_e32 v69, vcc_lo, v69
	v_cmp_gt_i32_e32 vcc_lo, 0, v71
	v_not_b32_e32 v71, v72
	v_xor_b32_e32 v189, s16, v189
	v_cmp_gt_i32_e64 s16, 0, v72
	v_and_b32_e32 v69, exec_lo, v69
	v_not_b32_e32 v72, v74
	v_ashrrev_i32_e32 v71, 31, v71
	v_xor_b32_e32 v70, vcc_lo, v70
	v_cmp_gt_i32_e32 vcc_lo, 0, v74
	v_and_b32_e32 v69, v69, v189
	v_not_b32_e32 v74, v75
	v_ashrrev_i32_e32 v72, 31, v72
	v_xor_b32_e32 v71, s16, v71
	v_cmp_gt_i32_e64 s16, 0, v75
	v_and_b32_e32 v69, v69, v70
	v_not_b32_e32 v70, v188
	v_ashrrev_i32_e32 v74, 31, v74
	v_xor_b32_e32 v72, vcc_lo, v72
	v_cmp_gt_i32_e32 vcc_lo, 0, v188
	v_and_b32_e32 v69, v69, v71
	v_not_b32_e32 v71, v73
	v_ashrrev_i32_e32 v70, 31, v70
	v_xor_b32_e32 v74, s16, v74
	v_mul_u32_u24_e32 v68, 9, v68
	v_and_b32_e32 v69, v69, v72
	v_cmp_gt_i32_e64 s16, 0, v73
	v_ashrrev_i32_e32 v71, 31, v71
	v_xor_b32_e32 v70, vcc_lo, v70
	v_add_lshl_u32 v72, v68, v158, 2
	v_and_b32_e32 v69, v69, v74
	s_delay_alu instid0(VALU_DEP_4) | instskip(SKIP_3) | instid1(VALU_DEP_2)
	v_xor_b32_e32 v68, s16, v71
	ds_load_b32 v188, v72 offset:1056
	v_and_b32_e32 v69, v69, v70
	v_add_nc_u32_e32 v190, 0x420, v72
	; wave barrier
	v_and_b32_e32 v68, v69, v68
	s_delay_alu instid0(VALU_DEP_1) | instskip(SKIP_1) | instid1(VALU_DEP_2)
	v_mbcnt_lo_u32_b32 v189, v68, 0
	v_cmp_ne_u32_e64 s16, 0, v68
	v_cmp_eq_u32_e32 vcc_lo, 0, v189
	s_delay_alu instid0(VALU_DEP_2) | instskip(NEXT) | instid1(SALU_CYCLE_1)
	s_and_b32 s17, s16, vcc_lo
	s_and_saveexec_b32 s16, s17
	s_cbranch_execz .LBB712_1028
; %bb.1027:                             ;   in Loop: Header=BB712_982 Depth=2
	s_waitcnt lgkmcnt(0)
	v_bcnt_u32_b32 v68, v68, v188
	ds_store_b32 v190, v68
.LBB712_1028:                           ;   in Loop: Header=BB712_982 Depth=2
	s_or_b32 exec_lo, exec_lo, s16
	v_xor_b32_e32 v59, 0x7fffffff, v59
	v_not_b32_e32 v58, v58
	; wave barrier
	s_delay_alu instid0(VALU_DEP_1) | instskip(NEXT) | instid1(VALU_DEP_1)
	v_lshrrev_b64 v[68:69], s40, v[58:59]
	v_and_b32_e32 v68, s42, v68
	s_delay_alu instid0(VALU_DEP_1)
	v_and_b32_e32 v69, 1, v68
	v_lshlrev_b32_e32 v70, 30, v68
	v_lshlrev_b32_e32 v71, 29, v68
	;; [unrolled: 1-line block ×4, first 2 shown]
	v_add_co_u32 v69, s16, v69, -1
	s_delay_alu instid0(VALU_DEP_1)
	v_cndmask_b32_e64 v73, 0, 1, s16
	v_not_b32_e32 v192, v70
	v_cmp_gt_i32_e64 s16, 0, v70
	v_not_b32_e32 v70, v71
	v_lshlrev_b32_e32 v75, 26, v68
	v_cmp_ne_u32_e32 vcc_lo, 0, v73
	v_ashrrev_i32_e32 v192, 31, v192
	v_lshlrev_b32_e32 v191, 25, v68
	v_ashrrev_i32_e32 v70, 31, v70
	v_lshlrev_b32_e32 v73, 24, v68
	v_xor_b32_e32 v69, vcc_lo, v69
	v_cmp_gt_i32_e32 vcc_lo, 0, v71
	v_not_b32_e32 v71, v72
	v_xor_b32_e32 v192, s16, v192
	v_cmp_gt_i32_e64 s16, 0, v72
	v_and_b32_e32 v69, exec_lo, v69
	v_not_b32_e32 v72, v74
	v_ashrrev_i32_e32 v71, 31, v71
	v_xor_b32_e32 v70, vcc_lo, v70
	v_cmp_gt_i32_e32 vcc_lo, 0, v74
	v_and_b32_e32 v69, v69, v192
	v_not_b32_e32 v74, v75
	v_ashrrev_i32_e32 v72, 31, v72
	v_xor_b32_e32 v71, s16, v71
	v_cmp_gt_i32_e64 s16, 0, v75
	v_and_b32_e32 v69, v69, v70
	v_not_b32_e32 v70, v191
	v_ashrrev_i32_e32 v74, 31, v74
	v_xor_b32_e32 v72, vcc_lo, v72
	v_cmp_gt_i32_e32 vcc_lo, 0, v191
	v_and_b32_e32 v69, v69, v71
	v_not_b32_e32 v71, v73
	v_ashrrev_i32_e32 v70, 31, v70
	v_xor_b32_e32 v74, s16, v74
	v_mul_u32_u24_e32 v68, 9, v68
	v_and_b32_e32 v69, v69, v72
	v_cmp_gt_i32_e64 s16, 0, v73
	v_ashrrev_i32_e32 v71, 31, v71
	v_xor_b32_e32 v70, vcc_lo, v70
	v_add_lshl_u32 v72, v68, v158, 2
	v_and_b32_e32 v69, v69, v74
	s_delay_alu instid0(VALU_DEP_4) | instskip(SKIP_3) | instid1(VALU_DEP_2)
	v_xor_b32_e32 v68, s16, v71
	ds_load_b32 v191, v72 offset:1056
	v_and_b32_e32 v69, v69, v70
	v_add_nc_u32_e32 v193, 0x420, v72
	; wave barrier
	v_and_b32_e32 v68, v69, v68
	s_delay_alu instid0(VALU_DEP_1) | instskip(SKIP_1) | instid1(VALU_DEP_2)
	v_mbcnt_lo_u32_b32 v192, v68, 0
	v_cmp_ne_u32_e64 s16, 0, v68
	v_cmp_eq_u32_e32 vcc_lo, 0, v192
	s_delay_alu instid0(VALU_DEP_2) | instskip(NEXT) | instid1(SALU_CYCLE_1)
	s_and_b32 s17, s16, vcc_lo
	s_and_saveexec_b32 s16, s17
	s_cbranch_execz .LBB712_1030
; %bb.1029:                             ;   in Loop: Header=BB712_982 Depth=2
	s_waitcnt lgkmcnt(0)
	v_bcnt_u32_b32 v68, v68, v191
	ds_store_b32 v193, v68
.LBB712_1030:                           ;   in Loop: Header=BB712_982 Depth=2
	s_or_b32 exec_lo, exec_lo, s16
	v_xor_b32_e32 v63, 0x7fffffff, v63
	v_not_b32_e32 v62, v62
	; wave barrier
	s_delay_alu instid0(VALU_DEP_1) | instskip(NEXT) | instid1(VALU_DEP_1)
	v_lshrrev_b64 v[68:69], s40, v[62:63]
	v_and_b32_e32 v68, s42, v68
	s_delay_alu instid0(VALU_DEP_1)
	v_and_b32_e32 v69, 1, v68
	v_lshlrev_b32_e32 v70, 30, v68
	v_lshlrev_b32_e32 v71, 29, v68
	;; [unrolled: 1-line block ×4, first 2 shown]
	v_add_co_u32 v69, s16, v69, -1
	s_delay_alu instid0(VALU_DEP_1)
	v_cndmask_b32_e64 v73, 0, 1, s16
	v_not_b32_e32 v195, v70
	v_cmp_gt_i32_e64 s16, 0, v70
	v_not_b32_e32 v70, v71
	v_lshlrev_b32_e32 v75, 26, v68
	v_cmp_ne_u32_e32 vcc_lo, 0, v73
	v_ashrrev_i32_e32 v195, 31, v195
	v_lshlrev_b32_e32 v194, 25, v68
	v_ashrrev_i32_e32 v70, 31, v70
	v_lshlrev_b32_e32 v73, 24, v68
	v_xor_b32_e32 v69, vcc_lo, v69
	v_cmp_gt_i32_e32 vcc_lo, 0, v71
	v_not_b32_e32 v71, v72
	v_xor_b32_e32 v195, s16, v195
	v_cmp_gt_i32_e64 s16, 0, v72
	v_and_b32_e32 v69, exec_lo, v69
	v_not_b32_e32 v72, v74
	v_ashrrev_i32_e32 v71, 31, v71
	v_xor_b32_e32 v70, vcc_lo, v70
	v_cmp_gt_i32_e32 vcc_lo, 0, v74
	v_and_b32_e32 v69, v69, v195
	v_not_b32_e32 v74, v75
	v_ashrrev_i32_e32 v72, 31, v72
	v_xor_b32_e32 v71, s16, v71
	v_cmp_gt_i32_e64 s16, 0, v75
	v_and_b32_e32 v69, v69, v70
	v_not_b32_e32 v70, v194
	v_ashrrev_i32_e32 v74, 31, v74
	v_xor_b32_e32 v72, vcc_lo, v72
	v_cmp_gt_i32_e32 vcc_lo, 0, v194
	v_and_b32_e32 v69, v69, v71
	v_not_b32_e32 v71, v73
	v_ashrrev_i32_e32 v70, 31, v70
	v_xor_b32_e32 v74, s16, v74
	v_mul_u32_u24_e32 v68, 9, v68
	v_and_b32_e32 v69, v69, v72
	v_cmp_gt_i32_e64 s16, 0, v73
	v_ashrrev_i32_e32 v71, 31, v71
	v_xor_b32_e32 v70, vcc_lo, v70
	v_add_lshl_u32 v72, v68, v158, 2
	v_and_b32_e32 v69, v69, v74
	s_delay_alu instid0(VALU_DEP_4) | instskip(SKIP_3) | instid1(VALU_DEP_2)
	v_xor_b32_e32 v68, s16, v71
	ds_load_b32 v194, v72 offset:1056
	v_and_b32_e32 v69, v69, v70
	v_add_nc_u32_e32 v196, 0x420, v72
	; wave barrier
	v_and_b32_e32 v68, v69, v68
	s_delay_alu instid0(VALU_DEP_1) | instskip(SKIP_1) | instid1(VALU_DEP_2)
	v_mbcnt_lo_u32_b32 v195, v68, 0
	v_cmp_ne_u32_e64 s16, 0, v68
	v_cmp_eq_u32_e32 vcc_lo, 0, v195
	s_delay_alu instid0(VALU_DEP_2) | instskip(NEXT) | instid1(SALU_CYCLE_1)
	s_and_b32 s17, s16, vcc_lo
	s_and_saveexec_b32 s16, s17
	s_cbranch_execz .LBB712_1032
; %bb.1031:                             ;   in Loop: Header=BB712_982 Depth=2
	s_waitcnt lgkmcnt(0)
	v_bcnt_u32_b32 v68, v68, v194
	ds_store_b32 v196, v68
.LBB712_1032:                           ;   in Loop: Header=BB712_982 Depth=2
	s_or_b32 exec_lo, exec_lo, s16
	v_xor_b32_e32 v67, 0x7fffffff, v67
	v_not_b32_e32 v66, v66
	; wave barrier
	s_delay_alu instid0(VALU_DEP_1) | instskip(NEXT) | instid1(VALU_DEP_1)
	v_lshrrev_b64 v[68:69], s40, v[66:67]
	v_and_b32_e32 v68, s42, v68
	s_delay_alu instid0(VALU_DEP_1)
	v_and_b32_e32 v69, 1, v68
	v_lshlrev_b32_e32 v70, 30, v68
	v_lshlrev_b32_e32 v71, 29, v68
	;; [unrolled: 1-line block ×4, first 2 shown]
	v_add_co_u32 v69, s16, v69, -1
	s_delay_alu instid0(VALU_DEP_1)
	v_cndmask_b32_e64 v73, 0, 1, s16
	v_not_b32_e32 v198, v70
	v_cmp_gt_i32_e64 s16, 0, v70
	v_not_b32_e32 v70, v71
	v_lshlrev_b32_e32 v75, 26, v68
	v_cmp_ne_u32_e32 vcc_lo, 0, v73
	v_ashrrev_i32_e32 v198, 31, v198
	v_lshlrev_b32_e32 v197, 25, v68
	v_ashrrev_i32_e32 v70, 31, v70
	v_lshlrev_b32_e32 v73, 24, v68
	v_xor_b32_e32 v69, vcc_lo, v69
	v_cmp_gt_i32_e32 vcc_lo, 0, v71
	v_not_b32_e32 v71, v72
	v_xor_b32_e32 v198, s16, v198
	v_cmp_gt_i32_e64 s16, 0, v72
	v_and_b32_e32 v69, exec_lo, v69
	v_not_b32_e32 v72, v74
	v_ashrrev_i32_e32 v71, 31, v71
	v_xor_b32_e32 v70, vcc_lo, v70
	v_cmp_gt_i32_e32 vcc_lo, 0, v74
	v_and_b32_e32 v69, v69, v198
	v_not_b32_e32 v74, v75
	v_ashrrev_i32_e32 v72, 31, v72
	v_xor_b32_e32 v71, s16, v71
	v_cmp_gt_i32_e64 s16, 0, v75
	v_and_b32_e32 v69, v69, v70
	v_not_b32_e32 v70, v197
	v_ashrrev_i32_e32 v74, 31, v74
	v_xor_b32_e32 v72, vcc_lo, v72
	v_cmp_gt_i32_e32 vcc_lo, 0, v197
	v_and_b32_e32 v69, v69, v71
	v_not_b32_e32 v71, v73
	v_ashrrev_i32_e32 v70, 31, v70
	v_xor_b32_e32 v74, s16, v74
	v_mul_u32_u24_e32 v68, 9, v68
	v_and_b32_e32 v69, v69, v72
	v_cmp_gt_i32_e64 s16, 0, v73
	v_ashrrev_i32_e32 v71, 31, v71
	v_xor_b32_e32 v70, vcc_lo, v70
	v_add_lshl_u32 v72, v68, v158, 2
	v_and_b32_e32 v69, v69, v74
	s_delay_alu instid0(VALU_DEP_4) | instskip(SKIP_3) | instid1(VALU_DEP_2)
	v_xor_b32_e32 v68, s16, v71
	ds_load_b32 v197, v72 offset:1056
	v_and_b32_e32 v69, v69, v70
	v_add_nc_u32_e32 v199, 0x420, v72
	; wave barrier
	v_and_b32_e32 v68, v69, v68
	s_delay_alu instid0(VALU_DEP_1) | instskip(SKIP_1) | instid1(VALU_DEP_2)
	v_mbcnt_lo_u32_b32 v198, v68, 0
	v_cmp_ne_u32_e64 s16, 0, v68
	v_cmp_eq_u32_e32 vcc_lo, 0, v198
	s_delay_alu instid0(VALU_DEP_2) | instskip(NEXT) | instid1(SALU_CYCLE_1)
	s_and_b32 s17, s16, vcc_lo
	s_and_saveexec_b32 s16, s17
	s_cbranch_execz .LBB712_1034
; %bb.1033:                             ;   in Loop: Header=BB712_982 Depth=2
	s_waitcnt lgkmcnt(0)
	v_bcnt_u32_b32 v68, v68, v197
	ds_store_b32 v199, v68
.LBB712_1034:                           ;   in Loop: Header=BB712_982 Depth=2
	s_or_b32 exec_lo, exec_lo, s16
	v_xor_b32_e32 v65, 0x7fffffff, v65
	v_not_b32_e32 v64, v64
	; wave barrier
	s_delay_alu instid0(VALU_DEP_1) | instskip(NEXT) | instid1(VALU_DEP_1)
	v_lshrrev_b64 v[68:69], s40, v[64:65]
	v_and_b32_e32 v68, s42, v68
	s_delay_alu instid0(VALU_DEP_1)
	v_and_b32_e32 v69, 1, v68
	v_lshlrev_b32_e32 v70, 30, v68
	v_lshlrev_b32_e32 v71, 29, v68
	;; [unrolled: 1-line block ×4, first 2 shown]
	v_add_co_u32 v69, s16, v69, -1
	s_delay_alu instid0(VALU_DEP_1)
	v_cndmask_b32_e64 v73, 0, 1, s16
	v_not_b32_e32 v201, v70
	v_cmp_gt_i32_e64 s16, 0, v70
	v_not_b32_e32 v70, v71
	v_lshlrev_b32_e32 v75, 26, v68
	v_cmp_ne_u32_e32 vcc_lo, 0, v73
	v_ashrrev_i32_e32 v201, 31, v201
	v_lshlrev_b32_e32 v200, 25, v68
	v_ashrrev_i32_e32 v70, 31, v70
	v_lshlrev_b32_e32 v73, 24, v68
	v_xor_b32_e32 v69, vcc_lo, v69
	v_cmp_gt_i32_e32 vcc_lo, 0, v71
	v_not_b32_e32 v71, v72
	v_xor_b32_e32 v201, s16, v201
	v_cmp_gt_i32_e64 s16, 0, v72
	v_and_b32_e32 v69, exec_lo, v69
	v_not_b32_e32 v72, v74
	v_ashrrev_i32_e32 v71, 31, v71
	v_xor_b32_e32 v70, vcc_lo, v70
	v_cmp_gt_i32_e32 vcc_lo, 0, v74
	v_and_b32_e32 v69, v69, v201
	v_not_b32_e32 v74, v75
	v_ashrrev_i32_e32 v72, 31, v72
	v_xor_b32_e32 v71, s16, v71
	v_cmp_gt_i32_e64 s16, 0, v75
	v_and_b32_e32 v69, v69, v70
	v_not_b32_e32 v70, v200
	v_ashrrev_i32_e32 v74, 31, v74
	v_xor_b32_e32 v72, vcc_lo, v72
	v_cmp_gt_i32_e32 vcc_lo, 0, v200
	v_and_b32_e32 v69, v69, v71
	v_not_b32_e32 v71, v73
	v_ashrrev_i32_e32 v70, 31, v70
	v_xor_b32_e32 v74, s16, v74
	v_mul_u32_u24_e32 v68, 9, v68
	v_and_b32_e32 v69, v69, v72
	v_cmp_gt_i32_e64 s16, 0, v73
	v_ashrrev_i32_e32 v71, 31, v71
	v_xor_b32_e32 v70, vcc_lo, v70
	v_add_lshl_u32 v72, v68, v158, 2
	v_and_b32_e32 v69, v69, v74
	s_delay_alu instid0(VALU_DEP_4) | instskip(SKIP_3) | instid1(VALU_DEP_2)
	v_xor_b32_e32 v68, s16, v71
	ds_load_b32 v200, v72 offset:1056
	v_and_b32_e32 v69, v69, v70
	v_add_nc_u32_e32 v202, 0x420, v72
	; wave barrier
	v_and_b32_e32 v68, v69, v68
	s_delay_alu instid0(VALU_DEP_1) | instskip(SKIP_1) | instid1(VALU_DEP_2)
	v_mbcnt_lo_u32_b32 v201, v68, 0
	v_cmp_ne_u32_e64 s16, 0, v68
	v_cmp_eq_u32_e32 vcc_lo, 0, v201
	s_delay_alu instid0(VALU_DEP_2) | instskip(NEXT) | instid1(SALU_CYCLE_1)
	s_and_b32 s17, s16, vcc_lo
	s_and_saveexec_b32 s16, s17
	s_cbranch_execz .LBB712_1036
; %bb.1035:                             ;   in Loop: Header=BB712_982 Depth=2
	s_waitcnt lgkmcnt(0)
	v_bcnt_u32_b32 v68, v68, v200
	ds_store_b32 v202, v68
.LBB712_1036:                           ;   in Loop: Header=BB712_982 Depth=2
	s_or_b32 exec_lo, exec_lo, s16
	v_xor_b32_e32 v61, 0x7fffffff, v61
	v_not_b32_e32 v60, v60
	; wave barrier
	s_delay_alu instid0(VALU_DEP_1) | instskip(NEXT) | instid1(VALU_DEP_1)
	v_lshrrev_b64 v[68:69], s40, v[60:61]
	v_and_b32_e32 v68, s42, v68
	s_delay_alu instid0(VALU_DEP_1)
	v_and_b32_e32 v69, 1, v68
	v_lshlrev_b32_e32 v70, 30, v68
	v_lshlrev_b32_e32 v71, 29, v68
	;; [unrolled: 1-line block ×4, first 2 shown]
	v_add_co_u32 v69, s16, v69, -1
	s_delay_alu instid0(VALU_DEP_1)
	v_cndmask_b32_e64 v73, 0, 1, s16
	v_not_b32_e32 v204, v70
	v_cmp_gt_i32_e64 s16, 0, v70
	v_not_b32_e32 v70, v71
	v_lshlrev_b32_e32 v75, 26, v68
	v_cmp_ne_u32_e32 vcc_lo, 0, v73
	v_ashrrev_i32_e32 v204, 31, v204
	v_lshlrev_b32_e32 v203, 25, v68
	v_ashrrev_i32_e32 v70, 31, v70
	v_lshlrev_b32_e32 v73, 24, v68
	v_xor_b32_e32 v69, vcc_lo, v69
	v_cmp_gt_i32_e32 vcc_lo, 0, v71
	v_not_b32_e32 v71, v72
	v_xor_b32_e32 v204, s16, v204
	v_cmp_gt_i32_e64 s16, 0, v72
	v_and_b32_e32 v69, exec_lo, v69
	v_not_b32_e32 v72, v74
	v_ashrrev_i32_e32 v71, 31, v71
	v_xor_b32_e32 v70, vcc_lo, v70
	v_cmp_gt_i32_e32 vcc_lo, 0, v74
	v_and_b32_e32 v69, v69, v204
	v_not_b32_e32 v74, v75
	v_ashrrev_i32_e32 v72, 31, v72
	v_xor_b32_e32 v71, s16, v71
	v_cmp_gt_i32_e64 s16, 0, v75
	v_and_b32_e32 v69, v69, v70
	v_not_b32_e32 v70, v203
	v_ashrrev_i32_e32 v74, 31, v74
	v_xor_b32_e32 v72, vcc_lo, v72
	v_cmp_gt_i32_e32 vcc_lo, 0, v203
	v_and_b32_e32 v69, v69, v71
	v_not_b32_e32 v71, v73
	v_ashrrev_i32_e32 v70, 31, v70
	v_xor_b32_e32 v74, s16, v74
	v_mul_u32_u24_e32 v68, 9, v68
	v_and_b32_e32 v69, v69, v72
	v_cmp_gt_i32_e64 s16, 0, v73
	v_ashrrev_i32_e32 v71, 31, v71
	v_xor_b32_e32 v70, vcc_lo, v70
	v_add_lshl_u32 v72, v68, v158, 2
	v_and_b32_e32 v69, v69, v74
	s_delay_alu instid0(VALU_DEP_4) | instskip(SKIP_3) | instid1(VALU_DEP_2)
	v_xor_b32_e32 v68, s16, v71
	ds_load_b32 v203, v72 offset:1056
	v_and_b32_e32 v69, v69, v70
	v_add_nc_u32_e32 v205, 0x420, v72
	; wave barrier
	v_and_b32_e32 v68, v69, v68
	s_delay_alu instid0(VALU_DEP_1) | instskip(SKIP_1) | instid1(VALU_DEP_2)
	v_mbcnt_lo_u32_b32 v204, v68, 0
	v_cmp_ne_u32_e64 s16, 0, v68
	v_cmp_eq_u32_e32 vcc_lo, 0, v204
	s_delay_alu instid0(VALU_DEP_2) | instskip(NEXT) | instid1(SALU_CYCLE_1)
	s_and_b32 s17, s16, vcc_lo
	s_and_saveexec_b32 s16, s17
	s_cbranch_execz .LBB712_1038
; %bb.1037:                             ;   in Loop: Header=BB712_982 Depth=2
	s_waitcnt lgkmcnt(0)
	v_bcnt_u32_b32 v68, v68, v203
	ds_store_b32 v205, v68
.LBB712_1038:                           ;   in Loop: Header=BB712_982 Depth=2
	s_or_b32 exec_lo, exec_lo, s16
	v_xor_b32_e32 v57, 0x7fffffff, v57
	v_not_b32_e32 v56, v56
	; wave barrier
	s_delay_alu instid0(VALU_DEP_1) | instskip(NEXT) | instid1(VALU_DEP_1)
	v_lshrrev_b64 v[68:69], s40, v[56:57]
	v_and_b32_e32 v68, s42, v68
	s_delay_alu instid0(VALU_DEP_1)
	v_and_b32_e32 v69, 1, v68
	v_lshlrev_b32_e32 v70, 30, v68
	v_lshlrev_b32_e32 v71, 29, v68
	;; [unrolled: 1-line block ×4, first 2 shown]
	v_add_co_u32 v69, s16, v69, -1
	s_delay_alu instid0(VALU_DEP_1)
	v_cndmask_b32_e64 v73, 0, 1, s16
	v_not_b32_e32 v207, v70
	v_cmp_gt_i32_e64 s16, 0, v70
	v_not_b32_e32 v70, v71
	v_lshlrev_b32_e32 v75, 26, v68
	v_cmp_ne_u32_e32 vcc_lo, 0, v73
	v_ashrrev_i32_e32 v207, 31, v207
	v_lshlrev_b32_e32 v206, 25, v68
	v_ashrrev_i32_e32 v70, 31, v70
	v_lshlrev_b32_e32 v73, 24, v68
	v_xor_b32_e32 v69, vcc_lo, v69
	v_cmp_gt_i32_e32 vcc_lo, 0, v71
	v_not_b32_e32 v71, v72
	v_xor_b32_e32 v207, s16, v207
	v_cmp_gt_i32_e64 s16, 0, v72
	v_and_b32_e32 v69, exec_lo, v69
	v_not_b32_e32 v72, v74
	v_ashrrev_i32_e32 v71, 31, v71
	v_xor_b32_e32 v70, vcc_lo, v70
	v_cmp_gt_i32_e32 vcc_lo, 0, v74
	v_and_b32_e32 v69, v69, v207
	v_not_b32_e32 v74, v75
	v_ashrrev_i32_e32 v72, 31, v72
	v_xor_b32_e32 v71, s16, v71
	v_cmp_gt_i32_e64 s16, 0, v75
	v_and_b32_e32 v69, v69, v70
	v_not_b32_e32 v70, v206
	v_ashrrev_i32_e32 v74, 31, v74
	v_xor_b32_e32 v72, vcc_lo, v72
	v_cmp_gt_i32_e32 vcc_lo, 0, v206
	v_and_b32_e32 v69, v69, v71
	v_not_b32_e32 v71, v73
	v_ashrrev_i32_e32 v70, 31, v70
	v_xor_b32_e32 v74, s16, v74
	v_mul_u32_u24_e32 v68, 9, v68
	v_and_b32_e32 v69, v69, v72
	v_cmp_gt_i32_e64 s16, 0, v73
	v_ashrrev_i32_e32 v71, 31, v71
	v_xor_b32_e32 v70, vcc_lo, v70
	v_add_lshl_u32 v72, v68, v158, 2
	v_and_b32_e32 v69, v69, v74
	s_delay_alu instid0(VALU_DEP_4) | instskip(SKIP_3) | instid1(VALU_DEP_2)
	v_xor_b32_e32 v68, s16, v71
	ds_load_b32 v206, v72 offset:1056
	v_and_b32_e32 v69, v69, v70
	v_add_nc_u32_e32 v208, 0x420, v72
	; wave barrier
	v_and_b32_e32 v68, v69, v68
	s_delay_alu instid0(VALU_DEP_1) | instskip(SKIP_1) | instid1(VALU_DEP_2)
	v_mbcnt_lo_u32_b32 v207, v68, 0
	v_cmp_ne_u32_e64 s16, 0, v68
	v_cmp_eq_u32_e32 vcc_lo, 0, v207
	s_delay_alu instid0(VALU_DEP_2) | instskip(NEXT) | instid1(SALU_CYCLE_1)
	s_and_b32 s17, s16, vcc_lo
	s_and_saveexec_b32 s16, s17
	s_cbranch_execz .LBB712_1040
; %bb.1039:                             ;   in Loop: Header=BB712_982 Depth=2
	s_waitcnt lgkmcnt(0)
	v_bcnt_u32_b32 v68, v68, v206
	ds_store_b32 v208, v68
.LBB712_1040:                           ;   in Loop: Header=BB712_982 Depth=2
	s_or_b32 exec_lo, exec_lo, s16
	v_xor_b32_e32 v53, 0x7fffffff, v53
	v_not_b32_e32 v52, v52
	; wave barrier
	s_delay_alu instid0(VALU_DEP_1) | instskip(NEXT) | instid1(VALU_DEP_1)
	v_lshrrev_b64 v[68:69], s40, v[52:53]
	v_and_b32_e32 v68, s42, v68
	s_delay_alu instid0(VALU_DEP_1)
	v_and_b32_e32 v69, 1, v68
	v_lshlrev_b32_e32 v70, 30, v68
	v_lshlrev_b32_e32 v71, 29, v68
	;; [unrolled: 1-line block ×4, first 2 shown]
	v_add_co_u32 v69, s16, v69, -1
	s_delay_alu instid0(VALU_DEP_1)
	v_cndmask_b32_e64 v73, 0, 1, s16
	v_not_b32_e32 v210, v70
	v_cmp_gt_i32_e64 s16, 0, v70
	v_not_b32_e32 v70, v71
	v_lshlrev_b32_e32 v75, 26, v68
	v_cmp_ne_u32_e32 vcc_lo, 0, v73
	v_ashrrev_i32_e32 v210, 31, v210
	v_lshlrev_b32_e32 v209, 25, v68
	v_ashrrev_i32_e32 v70, 31, v70
	v_lshlrev_b32_e32 v73, 24, v68
	v_xor_b32_e32 v69, vcc_lo, v69
	v_cmp_gt_i32_e32 vcc_lo, 0, v71
	v_not_b32_e32 v71, v72
	v_xor_b32_e32 v210, s16, v210
	v_cmp_gt_i32_e64 s16, 0, v72
	v_and_b32_e32 v69, exec_lo, v69
	v_not_b32_e32 v72, v74
	v_ashrrev_i32_e32 v71, 31, v71
	v_xor_b32_e32 v70, vcc_lo, v70
	v_cmp_gt_i32_e32 vcc_lo, 0, v74
	v_and_b32_e32 v69, v69, v210
	v_not_b32_e32 v74, v75
	v_ashrrev_i32_e32 v72, 31, v72
	v_xor_b32_e32 v71, s16, v71
	v_cmp_gt_i32_e64 s16, 0, v75
	v_and_b32_e32 v69, v69, v70
	v_not_b32_e32 v70, v209
	v_ashrrev_i32_e32 v74, 31, v74
	v_xor_b32_e32 v72, vcc_lo, v72
	v_cmp_gt_i32_e32 vcc_lo, 0, v209
	v_and_b32_e32 v69, v69, v71
	v_not_b32_e32 v71, v73
	v_ashrrev_i32_e32 v70, 31, v70
	v_xor_b32_e32 v74, s16, v74
	v_mul_u32_u24_e32 v68, 9, v68
	v_and_b32_e32 v69, v69, v72
	v_cmp_gt_i32_e64 s16, 0, v73
	v_ashrrev_i32_e32 v71, 31, v71
	v_xor_b32_e32 v70, vcc_lo, v70
	v_add_lshl_u32 v72, v68, v158, 2
	v_and_b32_e32 v69, v69, v74
	s_delay_alu instid0(VALU_DEP_4) | instskip(SKIP_3) | instid1(VALU_DEP_2)
	v_xor_b32_e32 v68, s16, v71
	ds_load_b32 v209, v72 offset:1056
	v_and_b32_e32 v69, v69, v70
	v_add_nc_u32_e32 v211, 0x420, v72
	; wave barrier
	v_and_b32_e32 v68, v69, v68
	s_delay_alu instid0(VALU_DEP_1) | instskip(SKIP_1) | instid1(VALU_DEP_2)
	v_mbcnt_lo_u32_b32 v210, v68, 0
	v_cmp_ne_u32_e64 s16, 0, v68
	v_cmp_eq_u32_e32 vcc_lo, 0, v210
	s_delay_alu instid0(VALU_DEP_2) | instskip(NEXT) | instid1(SALU_CYCLE_1)
	s_and_b32 s17, s16, vcc_lo
	s_and_saveexec_b32 s16, s17
	s_cbranch_execz .LBB712_1042
; %bb.1041:                             ;   in Loop: Header=BB712_982 Depth=2
	s_waitcnt lgkmcnt(0)
	v_bcnt_u32_b32 v68, v68, v209
	ds_store_b32 v211, v68
.LBB712_1042:                           ;   in Loop: Header=BB712_982 Depth=2
	s_or_b32 exec_lo, exec_lo, s16
	v_xor_b32_e32 v51, 0x7fffffff, v51
	v_not_b32_e32 v50, v50
	; wave barrier
	s_delay_alu instid0(VALU_DEP_1) | instskip(NEXT) | instid1(VALU_DEP_1)
	v_lshrrev_b64 v[68:69], s40, v[50:51]
	v_and_b32_e32 v68, s42, v68
	s_delay_alu instid0(VALU_DEP_1)
	v_and_b32_e32 v69, 1, v68
	v_lshlrev_b32_e32 v70, 30, v68
	v_lshlrev_b32_e32 v71, 29, v68
	;; [unrolled: 1-line block ×4, first 2 shown]
	v_add_co_u32 v69, s16, v69, -1
	s_delay_alu instid0(VALU_DEP_1)
	v_cndmask_b32_e64 v73, 0, 1, s16
	v_not_b32_e32 v213, v70
	v_cmp_gt_i32_e64 s16, 0, v70
	v_not_b32_e32 v70, v71
	v_lshlrev_b32_e32 v75, 26, v68
	v_cmp_ne_u32_e32 vcc_lo, 0, v73
	v_ashrrev_i32_e32 v213, 31, v213
	v_lshlrev_b32_e32 v212, 25, v68
	v_ashrrev_i32_e32 v70, 31, v70
	v_lshlrev_b32_e32 v73, 24, v68
	v_xor_b32_e32 v69, vcc_lo, v69
	v_cmp_gt_i32_e32 vcc_lo, 0, v71
	v_not_b32_e32 v71, v72
	v_xor_b32_e32 v213, s16, v213
	v_cmp_gt_i32_e64 s16, 0, v72
	v_and_b32_e32 v69, exec_lo, v69
	v_not_b32_e32 v72, v74
	v_ashrrev_i32_e32 v71, 31, v71
	v_xor_b32_e32 v70, vcc_lo, v70
	v_cmp_gt_i32_e32 vcc_lo, 0, v74
	v_and_b32_e32 v69, v69, v213
	v_not_b32_e32 v74, v75
	v_ashrrev_i32_e32 v72, 31, v72
	v_xor_b32_e32 v71, s16, v71
	v_cmp_gt_i32_e64 s16, 0, v75
	v_and_b32_e32 v69, v69, v70
	v_not_b32_e32 v70, v212
	v_ashrrev_i32_e32 v74, 31, v74
	v_xor_b32_e32 v72, vcc_lo, v72
	v_cmp_gt_i32_e32 vcc_lo, 0, v212
	v_and_b32_e32 v69, v69, v71
	v_not_b32_e32 v71, v73
	v_ashrrev_i32_e32 v70, 31, v70
	v_xor_b32_e32 v74, s16, v74
	v_mul_u32_u24_e32 v68, 9, v68
	v_and_b32_e32 v69, v69, v72
	v_cmp_gt_i32_e64 s16, 0, v73
	v_ashrrev_i32_e32 v71, 31, v71
	v_xor_b32_e32 v70, vcc_lo, v70
	v_add_lshl_u32 v72, v68, v158, 2
	v_and_b32_e32 v69, v69, v74
	s_delay_alu instid0(VALU_DEP_4) | instskip(SKIP_3) | instid1(VALU_DEP_2)
	v_xor_b32_e32 v68, s16, v71
	ds_load_b32 v212, v72 offset:1056
	v_and_b32_e32 v69, v69, v70
	v_add_nc_u32_e32 v214, 0x420, v72
	; wave barrier
	v_and_b32_e32 v68, v69, v68
	s_delay_alu instid0(VALU_DEP_1) | instskip(SKIP_1) | instid1(VALU_DEP_2)
	v_mbcnt_lo_u32_b32 v213, v68, 0
	v_cmp_ne_u32_e64 s16, 0, v68
	v_cmp_eq_u32_e32 vcc_lo, 0, v213
	s_delay_alu instid0(VALU_DEP_2) | instskip(NEXT) | instid1(SALU_CYCLE_1)
	s_and_b32 s17, s16, vcc_lo
	s_and_saveexec_b32 s16, s17
	s_cbranch_execz .LBB712_1044
; %bb.1043:                             ;   in Loop: Header=BB712_982 Depth=2
	s_waitcnt lgkmcnt(0)
	v_bcnt_u32_b32 v68, v68, v212
	ds_store_b32 v214, v68
.LBB712_1044:                           ;   in Loop: Header=BB712_982 Depth=2
	s_or_b32 exec_lo, exec_lo, s16
	v_xor_b32_e32 v47, 0x7fffffff, v47
	v_not_b32_e32 v46, v46
	; wave barrier
	s_delay_alu instid0(VALU_DEP_1) | instskip(NEXT) | instid1(VALU_DEP_1)
	v_lshrrev_b64 v[68:69], s40, v[46:47]
	v_and_b32_e32 v68, s42, v68
	s_delay_alu instid0(VALU_DEP_1)
	v_and_b32_e32 v69, 1, v68
	v_lshlrev_b32_e32 v70, 30, v68
	v_lshlrev_b32_e32 v71, 29, v68
	;; [unrolled: 1-line block ×4, first 2 shown]
	v_add_co_u32 v69, s16, v69, -1
	s_delay_alu instid0(VALU_DEP_1)
	v_cndmask_b32_e64 v73, 0, 1, s16
	v_not_b32_e32 v216, v70
	v_cmp_gt_i32_e64 s16, 0, v70
	v_not_b32_e32 v70, v71
	v_lshlrev_b32_e32 v75, 26, v68
	v_cmp_ne_u32_e32 vcc_lo, 0, v73
	v_ashrrev_i32_e32 v216, 31, v216
	v_lshlrev_b32_e32 v215, 25, v68
	v_ashrrev_i32_e32 v70, 31, v70
	v_lshlrev_b32_e32 v73, 24, v68
	v_xor_b32_e32 v69, vcc_lo, v69
	v_cmp_gt_i32_e32 vcc_lo, 0, v71
	v_not_b32_e32 v71, v72
	v_xor_b32_e32 v216, s16, v216
	v_cmp_gt_i32_e64 s16, 0, v72
	v_and_b32_e32 v69, exec_lo, v69
	v_not_b32_e32 v72, v74
	v_ashrrev_i32_e32 v71, 31, v71
	v_xor_b32_e32 v70, vcc_lo, v70
	v_cmp_gt_i32_e32 vcc_lo, 0, v74
	v_and_b32_e32 v69, v69, v216
	v_not_b32_e32 v74, v75
	v_ashrrev_i32_e32 v72, 31, v72
	v_xor_b32_e32 v71, s16, v71
	v_cmp_gt_i32_e64 s16, 0, v75
	v_and_b32_e32 v69, v69, v70
	v_not_b32_e32 v70, v215
	v_ashrrev_i32_e32 v74, 31, v74
	v_xor_b32_e32 v72, vcc_lo, v72
	v_cmp_gt_i32_e32 vcc_lo, 0, v215
	v_and_b32_e32 v69, v69, v71
	v_not_b32_e32 v71, v73
	v_ashrrev_i32_e32 v70, 31, v70
	v_xor_b32_e32 v74, s16, v74
	v_mul_u32_u24_e32 v68, 9, v68
	v_and_b32_e32 v69, v69, v72
	v_cmp_gt_i32_e64 s16, 0, v73
	v_ashrrev_i32_e32 v71, 31, v71
	v_xor_b32_e32 v70, vcc_lo, v70
	v_add_lshl_u32 v72, v68, v158, 2
	v_and_b32_e32 v69, v69, v74
	s_delay_alu instid0(VALU_DEP_4) | instskip(SKIP_3) | instid1(VALU_DEP_2)
	v_xor_b32_e32 v68, s16, v71
	ds_load_b32 v215, v72 offset:1056
	v_and_b32_e32 v69, v69, v70
	v_add_nc_u32_e32 v217, 0x420, v72
	; wave barrier
	v_and_b32_e32 v68, v69, v68
	s_delay_alu instid0(VALU_DEP_1) | instskip(SKIP_1) | instid1(VALU_DEP_2)
	v_mbcnt_lo_u32_b32 v216, v68, 0
	v_cmp_ne_u32_e64 s16, 0, v68
	v_cmp_eq_u32_e32 vcc_lo, 0, v216
	s_delay_alu instid0(VALU_DEP_2) | instskip(NEXT) | instid1(SALU_CYCLE_1)
	s_and_b32 s17, s16, vcc_lo
	s_and_saveexec_b32 s16, s17
	s_cbranch_execz .LBB712_1046
; %bb.1045:                             ;   in Loop: Header=BB712_982 Depth=2
	s_waitcnt lgkmcnt(0)
	v_bcnt_u32_b32 v68, v68, v215
	ds_store_b32 v217, v68
.LBB712_1046:                           ;   in Loop: Header=BB712_982 Depth=2
	s_or_b32 exec_lo, exec_lo, s16
	v_xor_b32_e32 v41, 0x7fffffff, v41
	v_not_b32_e32 v40, v40
	; wave barrier
	s_delay_alu instid0(VALU_DEP_1) | instskip(NEXT) | instid1(VALU_DEP_1)
	v_lshrrev_b64 v[68:69], s40, v[40:41]
	v_and_b32_e32 v68, s42, v68
	s_delay_alu instid0(VALU_DEP_1)
	v_and_b32_e32 v69, 1, v68
	v_lshlrev_b32_e32 v70, 30, v68
	v_lshlrev_b32_e32 v71, 29, v68
	;; [unrolled: 1-line block ×4, first 2 shown]
	v_add_co_u32 v69, s16, v69, -1
	s_delay_alu instid0(VALU_DEP_1)
	v_cndmask_b32_e64 v73, 0, 1, s16
	v_not_b32_e32 v219, v70
	v_cmp_gt_i32_e64 s16, 0, v70
	v_not_b32_e32 v70, v71
	v_lshlrev_b32_e32 v75, 26, v68
	v_cmp_ne_u32_e32 vcc_lo, 0, v73
	v_ashrrev_i32_e32 v219, 31, v219
	v_lshlrev_b32_e32 v218, 25, v68
	v_ashrrev_i32_e32 v70, 31, v70
	v_lshlrev_b32_e32 v73, 24, v68
	v_xor_b32_e32 v69, vcc_lo, v69
	v_cmp_gt_i32_e32 vcc_lo, 0, v71
	v_not_b32_e32 v71, v72
	v_xor_b32_e32 v219, s16, v219
	v_cmp_gt_i32_e64 s16, 0, v72
	v_and_b32_e32 v69, exec_lo, v69
	v_not_b32_e32 v72, v74
	v_ashrrev_i32_e32 v71, 31, v71
	v_xor_b32_e32 v70, vcc_lo, v70
	v_cmp_gt_i32_e32 vcc_lo, 0, v74
	v_and_b32_e32 v69, v69, v219
	v_not_b32_e32 v74, v75
	v_ashrrev_i32_e32 v72, 31, v72
	v_xor_b32_e32 v71, s16, v71
	v_cmp_gt_i32_e64 s16, 0, v75
	v_and_b32_e32 v69, v69, v70
	v_not_b32_e32 v70, v218
	v_ashrrev_i32_e32 v74, 31, v74
	v_xor_b32_e32 v72, vcc_lo, v72
	v_cmp_gt_i32_e32 vcc_lo, 0, v218
	v_and_b32_e32 v69, v69, v71
	v_not_b32_e32 v71, v73
	v_ashrrev_i32_e32 v70, 31, v70
	v_xor_b32_e32 v74, s16, v74
	v_mul_u32_u24_e32 v68, 9, v68
	v_and_b32_e32 v69, v69, v72
	v_cmp_gt_i32_e64 s16, 0, v73
	v_ashrrev_i32_e32 v71, 31, v71
	v_xor_b32_e32 v70, vcc_lo, v70
	v_add_lshl_u32 v72, v68, v158, 2
	v_and_b32_e32 v69, v69, v74
	s_delay_alu instid0(VALU_DEP_4) | instskip(SKIP_3) | instid1(VALU_DEP_2)
	v_xor_b32_e32 v68, s16, v71
	ds_load_b32 v218, v72 offset:1056
	v_and_b32_e32 v69, v69, v70
	v_add_nc_u32_e32 v220, 0x420, v72
	; wave barrier
	v_and_b32_e32 v68, v69, v68
	s_delay_alu instid0(VALU_DEP_1) | instskip(SKIP_1) | instid1(VALU_DEP_2)
	v_mbcnt_lo_u32_b32 v219, v68, 0
	v_cmp_ne_u32_e64 s16, 0, v68
	v_cmp_eq_u32_e32 vcc_lo, 0, v219
	s_delay_alu instid0(VALU_DEP_2) | instskip(NEXT) | instid1(SALU_CYCLE_1)
	s_and_b32 s17, s16, vcc_lo
	s_and_saveexec_b32 s16, s17
	s_cbranch_execz .LBB712_1048
; %bb.1047:                             ;   in Loop: Header=BB712_982 Depth=2
	s_waitcnt lgkmcnt(0)
	v_bcnt_u32_b32 v68, v68, v218
	ds_store_b32 v220, v68
.LBB712_1048:                           ;   in Loop: Header=BB712_982 Depth=2
	s_or_b32 exec_lo, exec_lo, s16
	v_xor_b32_e32 v43, 0x7fffffff, v43
	v_not_b32_e32 v42, v42
	; wave barrier
	s_delay_alu instid0(VALU_DEP_1) | instskip(NEXT) | instid1(VALU_DEP_1)
	v_lshrrev_b64 v[68:69], s40, v[42:43]
	v_and_b32_e32 v68, s42, v68
	s_delay_alu instid0(VALU_DEP_1)
	v_and_b32_e32 v69, 1, v68
	v_lshlrev_b32_e32 v70, 30, v68
	v_lshlrev_b32_e32 v71, 29, v68
	v_lshlrev_b32_e32 v72, 28, v68
	v_lshlrev_b32_e32 v74, 27, v68
	v_add_co_u32 v69, s16, v69, -1
	s_delay_alu instid0(VALU_DEP_1)
	v_cndmask_b32_e64 v73, 0, 1, s16
	v_not_b32_e32 v222, v70
	v_cmp_gt_i32_e64 s16, 0, v70
	v_not_b32_e32 v70, v71
	v_lshlrev_b32_e32 v75, 26, v68
	v_cmp_ne_u32_e32 vcc_lo, 0, v73
	v_ashrrev_i32_e32 v222, 31, v222
	v_lshlrev_b32_e32 v221, 25, v68
	v_ashrrev_i32_e32 v70, 31, v70
	v_lshlrev_b32_e32 v73, 24, v68
	v_xor_b32_e32 v69, vcc_lo, v69
	v_cmp_gt_i32_e32 vcc_lo, 0, v71
	v_not_b32_e32 v71, v72
	v_xor_b32_e32 v222, s16, v222
	v_cmp_gt_i32_e64 s16, 0, v72
	v_and_b32_e32 v69, exec_lo, v69
	v_not_b32_e32 v72, v74
	v_ashrrev_i32_e32 v71, 31, v71
	v_xor_b32_e32 v70, vcc_lo, v70
	v_cmp_gt_i32_e32 vcc_lo, 0, v74
	v_and_b32_e32 v69, v69, v222
	v_not_b32_e32 v74, v75
	v_ashrrev_i32_e32 v72, 31, v72
	v_xor_b32_e32 v71, s16, v71
	v_cmp_gt_i32_e64 s16, 0, v75
	v_and_b32_e32 v69, v69, v70
	v_not_b32_e32 v70, v221
	v_ashrrev_i32_e32 v74, 31, v74
	v_xor_b32_e32 v72, vcc_lo, v72
	v_cmp_gt_i32_e32 vcc_lo, 0, v221
	v_and_b32_e32 v69, v69, v71
	v_not_b32_e32 v71, v73
	v_ashrrev_i32_e32 v70, 31, v70
	v_xor_b32_e32 v74, s16, v74
	v_mul_u32_u24_e32 v68, 9, v68
	v_and_b32_e32 v69, v69, v72
	v_cmp_gt_i32_e64 s16, 0, v73
	v_ashrrev_i32_e32 v71, 31, v71
	v_xor_b32_e32 v70, vcc_lo, v70
	v_add_lshl_u32 v72, v68, v158, 2
	v_and_b32_e32 v69, v69, v74
	s_delay_alu instid0(VALU_DEP_4) | instskip(SKIP_3) | instid1(VALU_DEP_2)
	v_xor_b32_e32 v68, s16, v71
	ds_load_b32 v221, v72 offset:1056
	v_and_b32_e32 v69, v69, v70
	v_add_nc_u32_e32 v223, 0x420, v72
	; wave barrier
	v_and_b32_e32 v68, v69, v68
	s_delay_alu instid0(VALU_DEP_1) | instskip(SKIP_1) | instid1(VALU_DEP_2)
	v_mbcnt_lo_u32_b32 v222, v68, 0
	v_cmp_ne_u32_e64 s16, 0, v68
	v_cmp_eq_u32_e32 vcc_lo, 0, v222
	s_delay_alu instid0(VALU_DEP_2) | instskip(NEXT) | instid1(SALU_CYCLE_1)
	s_and_b32 s17, s16, vcc_lo
	s_and_saveexec_b32 s16, s17
	s_cbranch_execz .LBB712_1050
; %bb.1049:                             ;   in Loop: Header=BB712_982 Depth=2
	s_waitcnt lgkmcnt(0)
	v_bcnt_u32_b32 v68, v68, v221
	ds_store_b32 v223, v68
.LBB712_1050:                           ;   in Loop: Header=BB712_982 Depth=2
	s_or_b32 exec_lo, exec_lo, s16
	; wave barrier
	s_waitcnt lgkmcnt(0)
	s_barrier
	buffer_gl0_inv
	ds_load_b32 v224, v102 offset:1056
	ds_load_2addr_b32 v[74:75], v103 offset0:1 offset1:2
	ds_load_2addr_b32 v[72:73], v103 offset0:3 offset1:4
	ds_load_2addr_b32 v[68:69], v103 offset0:5 offset1:6
	ds_load_2addr_b32 v[70:71], v103 offset0:7 offset1:8
	s_waitcnt lgkmcnt(3)
	v_add3_u32 v225, v74, v224, v75
	s_waitcnt lgkmcnt(2)
	s_delay_alu instid0(VALU_DEP_1) | instskip(SKIP_1) | instid1(VALU_DEP_1)
	v_add3_u32 v225, v225, v72, v73
	s_waitcnt lgkmcnt(1)
	v_add3_u32 v225, v225, v68, v69
	s_waitcnt lgkmcnt(0)
	s_delay_alu instid0(VALU_DEP_1) | instskip(NEXT) | instid1(VALU_DEP_1)
	v_add3_u32 v71, v225, v70, v71
	v_mov_b32_dpp v225, v71 row_shr:1 row_mask:0xf bank_mask:0xf
	s_delay_alu instid0(VALU_DEP_1) | instskip(NEXT) | instid1(VALU_DEP_1)
	v_cndmask_b32_e64 v225, v225, 0, s1
	v_add_nc_u32_e32 v71, v225, v71
	s_delay_alu instid0(VALU_DEP_1) | instskip(NEXT) | instid1(VALU_DEP_1)
	v_mov_b32_dpp v225, v71 row_shr:2 row_mask:0xf bank_mask:0xf
	v_cndmask_b32_e64 v225, 0, v225, s7
	s_delay_alu instid0(VALU_DEP_1) | instskip(NEXT) | instid1(VALU_DEP_1)
	v_add_nc_u32_e32 v71, v71, v225
	v_mov_b32_dpp v225, v71 row_shr:4 row_mask:0xf bank_mask:0xf
	s_delay_alu instid0(VALU_DEP_1) | instskip(NEXT) | instid1(VALU_DEP_1)
	v_cndmask_b32_e64 v225, 0, v225, s8
	v_add_nc_u32_e32 v71, v71, v225
	s_delay_alu instid0(VALU_DEP_1) | instskip(NEXT) | instid1(VALU_DEP_1)
	v_mov_b32_dpp v225, v71 row_shr:8 row_mask:0xf bank_mask:0xf
	v_cndmask_b32_e64 v225, 0, v225, s9
	s_delay_alu instid0(VALU_DEP_1) | instskip(SKIP_3) | instid1(VALU_DEP_1)
	v_add_nc_u32_e32 v71, v71, v225
	ds_swizzle_b32 v225, v71 offset:swizzle(BROADCAST,32,15)
	s_waitcnt lgkmcnt(0)
	v_cndmask_b32_e64 v225, v225, 0, s10
	v_add_nc_u32_e32 v71, v71, v225
	s_and_saveexec_b32 s16, s3
	s_cbranch_execz .LBB712_1052
; %bb.1051:                             ;   in Loop: Header=BB712_982 Depth=2
	ds_store_b32 v94, v71 offset:1024
.LBB712_1052:                           ;   in Loop: Header=BB712_982 Depth=2
	s_or_b32 exec_lo, exec_lo, s16
	s_waitcnt lgkmcnt(0)
	s_barrier
	buffer_gl0_inv
	s_and_saveexec_b32 s16, s4
	s_cbranch_execz .LBB712_1054
; %bb.1053:                             ;   in Loop: Header=BB712_982 Depth=2
	ds_load_b32 v225, v104 offset:1024
	s_waitcnt lgkmcnt(0)
	v_mov_b32_dpp v226, v225 row_shr:1 row_mask:0xf bank_mask:0xf
	s_delay_alu instid0(VALU_DEP_1) | instskip(NEXT) | instid1(VALU_DEP_1)
	v_cndmask_b32_e64 v226, v226, 0, s12
	v_add_nc_u32_e32 v225, v226, v225
	s_delay_alu instid0(VALU_DEP_1) | instskip(NEXT) | instid1(VALU_DEP_1)
	v_mov_b32_dpp v226, v225 row_shr:2 row_mask:0xf bank_mask:0xf
	v_cndmask_b32_e64 v226, 0, v226, s13
	s_delay_alu instid0(VALU_DEP_1) | instskip(NEXT) | instid1(VALU_DEP_1)
	v_add_nc_u32_e32 v225, v225, v226
	v_mov_b32_dpp v226, v225 row_shr:4 row_mask:0xf bank_mask:0xf
	s_delay_alu instid0(VALU_DEP_1) | instskip(NEXT) | instid1(VALU_DEP_1)
	v_cndmask_b32_e64 v226, 0, v226, s14
	v_add_nc_u32_e32 v225, v225, v226
	ds_store_b32 v104, v225 offset:1024
.LBB712_1054:                           ;   in Loop: Header=BB712_982 Depth=2
	s_or_b32 exec_lo, exec_lo, s16
	v_mov_b32_e32 v225, 0
	s_waitcnt lgkmcnt(0)
	s_barrier
	buffer_gl0_inv
	s_and_saveexec_b32 s16, s5
	s_cbranch_execz .LBB712_1056
; %bb.1055:                             ;   in Loop: Header=BB712_982 Depth=2
	ds_load_b32 v225, v94 offset:1020
.LBB712_1056:                           ;   in Loop: Header=BB712_982 Depth=2
	s_or_b32 exec_lo, exec_lo, s16
	s_waitcnt lgkmcnt(0)
	v_add_nc_u32_e32 v71, v225, v71
	ds_bpermute_b32 v71, v137, v71
	s_waitcnt lgkmcnt(0)
	v_cndmask_b32_e64 v71, v71, v225, s11
	s_delay_alu instid0(VALU_DEP_1) | instskip(NEXT) | instid1(VALU_DEP_1)
	v_cndmask_b32_e64 v71, v71, 0, s0
	v_add_nc_u32_e32 v224, v71, v224
	s_delay_alu instid0(VALU_DEP_1) | instskip(NEXT) | instid1(VALU_DEP_1)
	v_add_nc_u32_e32 v74, v224, v74
	v_add_nc_u32_e32 v75, v74, v75
	s_delay_alu instid0(VALU_DEP_1) | instskip(NEXT) | instid1(VALU_DEP_1)
	v_add_nc_u32_e32 v72, v75, v72
	;; [unrolled: 3-line block ×3, first 2 shown]
	v_add_nc_u32_e32 v69, v68, v69
	s_delay_alu instid0(VALU_DEP_1)
	v_add_nc_u32_e32 v70, v69, v70
	ds_store_b32 v102, v71 offset:1056
	ds_store_2addr_b32 v103, v224, v74 offset0:1 offset1:2
	ds_store_2addr_b32 v103, v75, v72 offset0:3 offset1:4
	;; [unrolled: 1-line block ×4, first 2 shown]
	v_mov_b32_e32 v68, 0x1000
	s_waitcnt lgkmcnt(0)
	s_barrier
	buffer_gl0_inv
	ds_load_b32 v70, v181
	ds_load_b32 v71, v184
	;; [unrolled: 1-line block ×16, first 2 shown]
	ds_load_b32 v178, v102 offset:1056
	s_and_saveexec_b32 s16, s6
	s_cbranch_execz .LBB712_1058
; %bb.1057:                             ;   in Loop: Header=BB712_982 Depth=2
	ds_load_b32 v68, v105 offset:1056
.LBB712_1058:                           ;   in Loop: Header=BB712_982 Depth=2
	s_or_b32 exec_lo, exec_lo, s16
	s_waitcnt lgkmcnt(0)
	s_barrier
	buffer_gl0_inv
	s_and_saveexec_b32 s16, s2
	s_cbranch_execz .LBB712_1060
; %bb.1059:                             ;   in Loop: Header=BB712_982 Depth=2
	ds_load_b32 v202, v76
	s_waitcnt lgkmcnt(0)
	v_sub_nc_u32_e32 v178, v202, v178
	ds_store_b32 v76, v178
.LBB712_1060:                           ;   in Loop: Header=BB712_982 Depth=2
	s_or_b32 exec_lo, exec_lo, s16
	v_add_nc_u32_e32 v179, v180, v179
	v_add_nc_u32_e32 v180, v183, v182
	v_add_lshl_u32 v69, v69, v2, 3
	v_add_nc_u32_e32 v2, v186, v185
	v_add_nc_u32_e32 v191, v192, v191
	;; [unrolled: 1-line block ×3, first 2 shown]
	v_add_lshl_u32 v70, v179, v70, 3
	v_add_lshl_u32 v71, v180, v71, 3
	v_add_nc_u32_e32 v209, v210, v209
	v_add_nc_u32_e32 v206, v207, v206
	;; [unrolled: 1-line block ×4, first 2 shown]
	v_add_lshl_u32 v72, v2, v72, 3
	v_add_nc_u32_e32 v208, v213, v212
	v_add_nc_u32_e32 v203, v204, v203
	;; [unrolled: 1-line block ×3, first 2 shown]
	ds_store_b64 v69, v[36:37] offset:1024
	v_add_lshl_u32 v73, v182, v73, 3
	ds_store_b64 v70, v[38:39] offset:1024
	ds_store_b64 v71, v[44:45] offset:1024
	v_add_lshl_u32 v39, v191, v225, 3
	v_add_nc_u32_e32 v178, v222, v221
	v_add_nc_u32_e32 v202, v219, v218
	v_add_nc_u32_e32 v205, v216, v215
	ds_store_b64 v72, v[48:49] offset:1024
	ds_store_b64 v73, v[54:55] offset:1024
	v_add_lshl_u32 v44, v194, v224, 3
	v_add_lshl_u32 v48, v200, v196, 3
	;; [unrolled: 1-line block ×5, first 2 shown]
	ds_store_b64 v39, v[58:59] offset:1024
	v_add_lshl_u32 v49, v203, v193, 3
	v_add_lshl_u32 v58, v208, v184, 3
	ds_store_b64 v44, v[62:63] offset:1024
	ds_store_b64 v45, v[66:67] offset:1024
	;; [unrolled: 1-line block ×5, first 2 shown]
	v_add_lshl_u32 v56, v205, v181, 3
	v_add_lshl_u32 v57, v202, v75, 3
	ds_store_b64 v55, v[52:53] offset:1024
	ds_store_b64 v58, v[50:51] offset:1024
	v_add_lshl_u32 v50, v178, v74, 3
	v_cmp_lt_u32_e32 vcc_lo, v1, v177
	v_add_nc_u32_e32 v38, v104, v76
	ds_store_b64 v56, v[46:47] offset:1024
	ds_store_b64 v57, v[40:41] offset:1024
	;; [unrolled: 1-line block ×3, first 2 shown]
	s_waitcnt lgkmcnt(0)
	s_barrier
	buffer_gl0_inv
	s_and_saveexec_b32 s17, vcc_lo
	s_cbranch_execz .LBB712_1076
; %bb.1061:                             ;   in Loop: Header=BB712_982 Depth=2
	ds_load_b64 v[36:37], v38 offset:1024
	s_waitcnt lgkmcnt(0)
	v_lshrrev_b64 v[40:41], s40, v[36:37]
	v_xor_b32_e32 v37, 0x7fffffff, v37
	v_not_b32_e32 v36, v36
	s_delay_alu instid0(VALU_DEP_3) | instskip(NEXT) | instid1(VALU_DEP_1)
	v_and_b32_e32 v2, s42, v40
	v_lshlrev_b32_e32 v2, 2, v2
	ds_load_b32 v2, v2
	s_waitcnt lgkmcnt(0)
	v_add_nc_u32_e32 v2, v2, v1
	s_delay_alu instid0(VALU_DEP_1) | instskip(NEXT) | instid1(VALU_DEP_1)
	v_lshlrev_b64 v[40:41], 3, v[2:3]
	v_add_co_u32 v40, s16, s48, v40
	s_delay_alu instid0(VALU_DEP_1) | instskip(SKIP_3) | instid1(VALU_DEP_1)
	v_add_co_ci_u32_e64 v41, s16, s49, v41, s16
	global_store_b64 v[40:41], v[36:37], off
	s_or_b32 exec_lo, exec_lo, s17
	v_cmp_lt_u32_e64 s16, v77, v177
	s_and_saveexec_b32 s18, s16
	s_cbranch_execnz .LBB712_1077
.LBB712_1062:                           ;   in Loop: Header=BB712_982 Depth=2
	s_or_b32 exec_lo, exec_lo, s18
	v_cmp_lt_u32_e64 s17, v78, v177
	s_delay_alu instid0(VALU_DEP_1)
	s_and_saveexec_b32 s19, s17
	s_cbranch_execz .LBB712_1078
.LBB712_1063:                           ;   in Loop: Header=BB712_982 Depth=2
	ds_load_b64 v[36:37], v110 offset:4096
	s_waitcnt lgkmcnt(0)
	v_lshrrev_b64 v[40:41], s40, v[36:37]
	v_xor_b32_e32 v37, 0x7fffffff, v37
	v_not_b32_e32 v36, v36
	s_delay_alu instid0(VALU_DEP_3) | instskip(NEXT) | instid1(VALU_DEP_1)
	v_and_b32_e32 v2, s42, v40
	v_lshlrev_b32_e32 v2, 2, v2
	ds_load_b32 v2, v2
	s_waitcnt lgkmcnt(0)
	v_add_nc_u32_e32 v2, v2, v78
	s_delay_alu instid0(VALU_DEP_1) | instskip(NEXT) | instid1(VALU_DEP_1)
	v_lshlrev_b64 v[40:41], 3, v[2:3]
	v_add_co_u32 v40, s18, s48, v40
	s_delay_alu instid0(VALU_DEP_1) | instskip(SKIP_3) | instid1(VALU_DEP_1)
	v_add_co_ci_u32_e64 v41, s18, s49, v41, s18
	global_store_b64 v[40:41], v[36:37], off
	s_or_b32 exec_lo, exec_lo, s19
	v_cmp_lt_u32_e64 s18, v79, v177
	s_and_saveexec_b32 s20, s18
	s_cbranch_execnz .LBB712_1079
.LBB712_1064:                           ;   in Loop: Header=BB712_982 Depth=2
	s_or_b32 exec_lo, exec_lo, s20
	v_cmp_lt_u32_e64 s19, v83, v177
	s_delay_alu instid0(VALU_DEP_1)
	s_and_saveexec_b32 s21, s19
	s_cbranch_execz .LBB712_1080
.LBB712_1065:                           ;   in Loop: Header=BB712_982 Depth=2
	ds_load_b64 v[36:37], v110 offset:8192
	s_waitcnt lgkmcnt(0)
	v_lshrrev_b64 v[40:41], s40, v[36:37]
	v_xor_b32_e32 v37, 0x7fffffff, v37
	v_not_b32_e32 v36, v36
	s_delay_alu instid0(VALU_DEP_3) | instskip(NEXT) | instid1(VALU_DEP_1)
	v_and_b32_e32 v2, s42, v40
	v_lshlrev_b32_e32 v2, 2, v2
	ds_load_b32 v2, v2
	s_waitcnt lgkmcnt(0)
	v_add_nc_u32_e32 v2, v2, v83
	s_delay_alu instid0(VALU_DEP_1) | instskip(NEXT) | instid1(VALU_DEP_1)
	v_lshlrev_b64 v[40:41], 3, v[2:3]
	v_add_co_u32 v40, s20, s48, v40
	s_delay_alu instid0(VALU_DEP_1) | instskip(SKIP_3) | instid1(VALU_DEP_1)
	v_add_co_ci_u32_e64 v41, s20, s49, v41, s20
	global_store_b64 v[40:41], v[36:37], off
	s_or_b32 exec_lo, exec_lo, s21
	v_cmp_lt_u32_e64 s20, v84, v177
	s_and_saveexec_b32 s22, s20
	s_cbranch_execnz .LBB712_1081
.LBB712_1066:                           ;   in Loop: Header=BB712_982 Depth=2
	s_or_b32 exec_lo, exec_lo, s22
	v_cmp_lt_u32_e64 s21, v85, v177
	s_delay_alu instid0(VALU_DEP_1)
	s_and_saveexec_b32 s23, s21
	s_cbranch_execz .LBB712_1082
.LBB712_1067:                           ;   in Loop: Header=BB712_982 Depth=2
	ds_load_b64 v[36:37], v110 offset:12288
	s_waitcnt lgkmcnt(0)
	v_lshrrev_b64 v[40:41], s40, v[36:37]
	v_xor_b32_e32 v37, 0x7fffffff, v37
	v_not_b32_e32 v36, v36
	s_delay_alu instid0(VALU_DEP_3) | instskip(NEXT) | instid1(VALU_DEP_1)
	v_and_b32_e32 v2, s42, v40
	v_lshlrev_b32_e32 v2, 2, v2
	ds_load_b32 v2, v2
	s_waitcnt lgkmcnt(0)
	v_add_nc_u32_e32 v2, v2, v85
	s_delay_alu instid0(VALU_DEP_1) | instskip(NEXT) | instid1(VALU_DEP_1)
	v_lshlrev_b64 v[40:41], 3, v[2:3]
	v_add_co_u32 v40, s22, s48, v40
	s_delay_alu instid0(VALU_DEP_1) | instskip(SKIP_3) | instid1(VALU_DEP_1)
	v_add_co_ci_u32_e64 v41, s22, s49, v41, s22
	global_store_b64 v[40:41], v[36:37], off
	s_or_b32 exec_lo, exec_lo, s23
	v_cmp_lt_u32_e64 s22, v86, v177
	s_and_saveexec_b32 s24, s22
	s_cbranch_execnz .LBB712_1083
.LBB712_1068:                           ;   in Loop: Header=BB712_982 Depth=2
	s_or_b32 exec_lo, exec_lo, s24
	v_cmp_lt_u32_e64 s23, v87, v177
	s_delay_alu instid0(VALU_DEP_1)
	s_and_saveexec_b32 s25, s23
	s_cbranch_execz .LBB712_1084
.LBB712_1069:                           ;   in Loop: Header=BB712_982 Depth=2
	ds_load_b64 v[36:37], v110 offset:16384
	s_waitcnt lgkmcnt(0)
	v_lshrrev_b64 v[40:41], s40, v[36:37]
	v_xor_b32_e32 v37, 0x7fffffff, v37
	v_not_b32_e32 v36, v36
	s_delay_alu instid0(VALU_DEP_3) | instskip(NEXT) | instid1(VALU_DEP_1)
	v_and_b32_e32 v2, s42, v40
	v_lshlrev_b32_e32 v2, 2, v2
	ds_load_b32 v2, v2
	s_waitcnt lgkmcnt(0)
	v_add_nc_u32_e32 v2, v2, v87
	s_delay_alu instid0(VALU_DEP_1) | instskip(NEXT) | instid1(VALU_DEP_1)
	v_lshlrev_b64 v[40:41], 3, v[2:3]
	v_add_co_u32 v40, s24, s48, v40
	s_delay_alu instid0(VALU_DEP_1) | instskip(SKIP_3) | instid1(VALU_DEP_1)
	v_add_co_ci_u32_e64 v41, s24, s49, v41, s24
	global_store_b64 v[40:41], v[36:37], off
	s_or_b32 exec_lo, exec_lo, s25
	v_cmp_lt_u32_e64 s24, v88, v177
	s_and_saveexec_b32 s26, s24
	s_cbranch_execnz .LBB712_1085
.LBB712_1070:                           ;   in Loop: Header=BB712_982 Depth=2
	s_or_b32 exec_lo, exec_lo, s26
	v_cmp_lt_u32_e64 s25, v89, v177
	s_delay_alu instid0(VALU_DEP_1)
	s_and_saveexec_b32 s27, s25
	s_cbranch_execz .LBB712_1086
.LBB712_1071:                           ;   in Loop: Header=BB712_982 Depth=2
	ds_load_b64 v[36:37], v110 offset:20480
	s_waitcnt lgkmcnt(0)
	v_lshrrev_b64 v[40:41], s40, v[36:37]
	v_xor_b32_e32 v37, 0x7fffffff, v37
	v_not_b32_e32 v36, v36
	s_delay_alu instid0(VALU_DEP_3) | instskip(NEXT) | instid1(VALU_DEP_1)
	v_and_b32_e32 v2, s42, v40
	v_lshlrev_b32_e32 v2, 2, v2
	ds_load_b32 v2, v2
	s_waitcnt lgkmcnt(0)
	v_add_nc_u32_e32 v2, v2, v89
	s_delay_alu instid0(VALU_DEP_1) | instskip(NEXT) | instid1(VALU_DEP_1)
	v_lshlrev_b64 v[40:41], 3, v[2:3]
	v_add_co_u32 v40, s26, s48, v40
	s_delay_alu instid0(VALU_DEP_1) | instskip(SKIP_3) | instid1(VALU_DEP_1)
	v_add_co_ci_u32_e64 v41, s26, s49, v41, s26
	global_store_b64 v[40:41], v[36:37], off
	s_or_b32 exec_lo, exec_lo, s27
	v_cmp_lt_u32_e64 s26, v90, v177
	s_and_saveexec_b32 s29, s26
	s_cbranch_execnz .LBB712_1087
.LBB712_1072:                           ;   in Loop: Header=BB712_982 Depth=2
	s_or_b32 exec_lo, exec_lo, s29
	v_cmp_lt_u32_e64 s27, v91, v177
	s_delay_alu instid0(VALU_DEP_1)
	s_and_saveexec_b32 s30, s27
	s_cbranch_execz .LBB712_1088
.LBB712_1073:                           ;   in Loop: Header=BB712_982 Depth=2
	ds_load_b64 v[36:37], v110 offset:24576
	s_waitcnt lgkmcnt(0)
	v_lshrrev_b64 v[40:41], s40, v[36:37]
	v_xor_b32_e32 v37, 0x7fffffff, v37
	v_not_b32_e32 v36, v36
	s_delay_alu instid0(VALU_DEP_3) | instskip(NEXT) | instid1(VALU_DEP_1)
	v_and_b32_e32 v2, s42, v40
	v_lshlrev_b32_e32 v2, 2, v2
	ds_load_b32 v2, v2
	s_waitcnt lgkmcnt(0)
	v_add_nc_u32_e32 v2, v2, v91
	s_delay_alu instid0(VALU_DEP_1) | instskip(NEXT) | instid1(VALU_DEP_1)
	v_lshlrev_b64 v[40:41], 3, v[2:3]
	v_add_co_u32 v40, s29, s48, v40
	s_delay_alu instid0(VALU_DEP_1) | instskip(SKIP_3) | instid1(VALU_DEP_1)
	v_add_co_ci_u32_e64 v41, s29, s49, v41, s29
	global_store_b64 v[40:41], v[36:37], off
	s_or_b32 exec_lo, exec_lo, s30
	v_cmp_lt_u32_e64 s29, v92, v177
	s_and_saveexec_b32 s31, s29
	s_cbranch_execnz .LBB712_1089
.LBB712_1074:                           ;   in Loop: Header=BB712_982 Depth=2
	s_or_b32 exec_lo, exec_lo, s31
	v_cmp_lt_u32_e64 s30, v93, v177
	s_delay_alu instid0(VALU_DEP_1)
	s_and_saveexec_b32 s33, s30
	s_cbranch_execz .LBB712_1090
.LBB712_1075:                           ;   in Loop: Header=BB712_982 Depth=2
	ds_load_b64 v[36:37], v110 offset:28672
	s_waitcnt lgkmcnt(0)
	v_lshrrev_b64 v[40:41], s40, v[36:37]
	v_xor_b32_e32 v37, 0x7fffffff, v37
	v_not_b32_e32 v36, v36
	s_delay_alu instid0(VALU_DEP_3) | instskip(NEXT) | instid1(VALU_DEP_1)
	v_and_b32_e32 v2, s42, v40
	v_lshlrev_b32_e32 v2, 2, v2
	ds_load_b32 v2, v2
	s_waitcnt lgkmcnt(0)
	v_add_nc_u32_e32 v2, v2, v93
	s_delay_alu instid0(VALU_DEP_1) | instskip(NEXT) | instid1(VALU_DEP_1)
	v_lshlrev_b64 v[40:41], 3, v[2:3]
	v_add_co_u32 v40, s31, s48, v40
	s_delay_alu instid0(VALU_DEP_1) | instskip(SKIP_3) | instid1(VALU_DEP_1)
	v_add_co_ci_u32_e64 v41, s31, s49, v41, s31
	global_store_b64 v[40:41], v[36:37], off
	s_or_b32 exec_lo, exec_lo, s33
	v_cmp_lt_u32_e64 s31, v95, v177
	s_and_saveexec_b32 s39, s31
	s_cbranch_execnz .LBB712_1091
	s_branch .LBB712_1092
.LBB712_1076:                           ;   in Loop: Header=BB712_982 Depth=2
	s_or_b32 exec_lo, exec_lo, s17
	v_cmp_lt_u32_e64 s16, v77, v177
	s_delay_alu instid0(VALU_DEP_1)
	s_and_saveexec_b32 s18, s16
	s_cbranch_execz .LBB712_1062
.LBB712_1077:                           ;   in Loop: Header=BB712_982 Depth=2
	ds_load_b64 v[36:37], v110 offset:2048
	s_waitcnt lgkmcnt(0)
	v_lshrrev_b64 v[40:41], s40, v[36:37]
	v_xor_b32_e32 v37, 0x7fffffff, v37
	v_not_b32_e32 v36, v36
	s_delay_alu instid0(VALU_DEP_3) | instskip(NEXT) | instid1(VALU_DEP_1)
	v_and_b32_e32 v2, s42, v40
	v_lshlrev_b32_e32 v2, 2, v2
	ds_load_b32 v2, v2
	s_waitcnt lgkmcnt(0)
	v_add_nc_u32_e32 v2, v2, v77
	s_delay_alu instid0(VALU_DEP_1) | instskip(NEXT) | instid1(VALU_DEP_1)
	v_lshlrev_b64 v[40:41], 3, v[2:3]
	v_add_co_u32 v40, s17, s48, v40
	s_delay_alu instid0(VALU_DEP_1) | instskip(SKIP_3) | instid1(VALU_DEP_1)
	v_add_co_ci_u32_e64 v41, s17, s49, v41, s17
	global_store_b64 v[40:41], v[36:37], off
	s_or_b32 exec_lo, exec_lo, s18
	v_cmp_lt_u32_e64 s17, v78, v177
	s_and_saveexec_b32 s19, s17
	s_cbranch_execnz .LBB712_1063
.LBB712_1078:                           ;   in Loop: Header=BB712_982 Depth=2
	s_or_b32 exec_lo, exec_lo, s19
	v_cmp_lt_u32_e64 s18, v79, v177
	s_delay_alu instid0(VALU_DEP_1)
	s_and_saveexec_b32 s20, s18
	s_cbranch_execz .LBB712_1064
.LBB712_1079:                           ;   in Loop: Header=BB712_982 Depth=2
	ds_load_b64 v[36:37], v110 offset:6144
	s_waitcnt lgkmcnt(0)
	v_lshrrev_b64 v[40:41], s40, v[36:37]
	v_xor_b32_e32 v37, 0x7fffffff, v37
	v_not_b32_e32 v36, v36
	s_delay_alu instid0(VALU_DEP_3) | instskip(NEXT) | instid1(VALU_DEP_1)
	v_and_b32_e32 v2, s42, v40
	v_lshlrev_b32_e32 v2, 2, v2
	ds_load_b32 v2, v2
	s_waitcnt lgkmcnt(0)
	v_add_nc_u32_e32 v2, v2, v79
	s_delay_alu instid0(VALU_DEP_1) | instskip(NEXT) | instid1(VALU_DEP_1)
	v_lshlrev_b64 v[40:41], 3, v[2:3]
	v_add_co_u32 v40, s19, s48, v40
	s_delay_alu instid0(VALU_DEP_1) | instskip(SKIP_3) | instid1(VALU_DEP_1)
	v_add_co_ci_u32_e64 v41, s19, s49, v41, s19
	global_store_b64 v[40:41], v[36:37], off
	s_or_b32 exec_lo, exec_lo, s20
	v_cmp_lt_u32_e64 s19, v83, v177
	s_and_saveexec_b32 s21, s19
	s_cbranch_execnz .LBB712_1065
.LBB712_1080:                           ;   in Loop: Header=BB712_982 Depth=2
	s_or_b32 exec_lo, exec_lo, s21
	v_cmp_lt_u32_e64 s20, v84, v177
	s_delay_alu instid0(VALU_DEP_1)
	s_and_saveexec_b32 s22, s20
	s_cbranch_execz .LBB712_1066
.LBB712_1081:                           ;   in Loop: Header=BB712_982 Depth=2
	ds_load_b64 v[36:37], v110 offset:10240
	s_waitcnt lgkmcnt(0)
	v_lshrrev_b64 v[40:41], s40, v[36:37]
	v_xor_b32_e32 v37, 0x7fffffff, v37
	v_not_b32_e32 v36, v36
	s_delay_alu instid0(VALU_DEP_3) | instskip(NEXT) | instid1(VALU_DEP_1)
	v_and_b32_e32 v2, s42, v40
	v_lshlrev_b32_e32 v2, 2, v2
	ds_load_b32 v2, v2
	s_waitcnt lgkmcnt(0)
	v_add_nc_u32_e32 v2, v2, v84
	s_delay_alu instid0(VALU_DEP_1) | instskip(NEXT) | instid1(VALU_DEP_1)
	v_lshlrev_b64 v[40:41], 3, v[2:3]
	v_add_co_u32 v40, s21, s48, v40
	s_delay_alu instid0(VALU_DEP_1) | instskip(SKIP_3) | instid1(VALU_DEP_1)
	v_add_co_ci_u32_e64 v41, s21, s49, v41, s21
	global_store_b64 v[40:41], v[36:37], off
	s_or_b32 exec_lo, exec_lo, s22
	v_cmp_lt_u32_e64 s21, v85, v177
	s_and_saveexec_b32 s23, s21
	s_cbranch_execnz .LBB712_1067
.LBB712_1082:                           ;   in Loop: Header=BB712_982 Depth=2
	s_or_b32 exec_lo, exec_lo, s23
	v_cmp_lt_u32_e64 s22, v86, v177
	s_delay_alu instid0(VALU_DEP_1)
	s_and_saveexec_b32 s24, s22
	s_cbranch_execz .LBB712_1068
.LBB712_1083:                           ;   in Loop: Header=BB712_982 Depth=2
	ds_load_b64 v[36:37], v110 offset:14336
	s_waitcnt lgkmcnt(0)
	v_lshrrev_b64 v[40:41], s40, v[36:37]
	v_xor_b32_e32 v37, 0x7fffffff, v37
	v_not_b32_e32 v36, v36
	s_delay_alu instid0(VALU_DEP_3) | instskip(NEXT) | instid1(VALU_DEP_1)
	v_and_b32_e32 v2, s42, v40
	v_lshlrev_b32_e32 v2, 2, v2
	ds_load_b32 v2, v2
	s_waitcnt lgkmcnt(0)
	v_add_nc_u32_e32 v2, v2, v86
	s_delay_alu instid0(VALU_DEP_1) | instskip(NEXT) | instid1(VALU_DEP_1)
	v_lshlrev_b64 v[40:41], 3, v[2:3]
	v_add_co_u32 v40, s23, s48, v40
	s_delay_alu instid0(VALU_DEP_1) | instskip(SKIP_3) | instid1(VALU_DEP_1)
	v_add_co_ci_u32_e64 v41, s23, s49, v41, s23
	global_store_b64 v[40:41], v[36:37], off
	s_or_b32 exec_lo, exec_lo, s24
	v_cmp_lt_u32_e64 s23, v87, v177
	s_and_saveexec_b32 s25, s23
	s_cbranch_execnz .LBB712_1069
.LBB712_1084:                           ;   in Loop: Header=BB712_982 Depth=2
	s_or_b32 exec_lo, exec_lo, s25
	v_cmp_lt_u32_e64 s24, v88, v177
	s_delay_alu instid0(VALU_DEP_1)
	s_and_saveexec_b32 s26, s24
	s_cbranch_execz .LBB712_1070
.LBB712_1085:                           ;   in Loop: Header=BB712_982 Depth=2
	ds_load_b64 v[36:37], v110 offset:18432
	s_waitcnt lgkmcnt(0)
	v_lshrrev_b64 v[40:41], s40, v[36:37]
	v_xor_b32_e32 v37, 0x7fffffff, v37
	v_not_b32_e32 v36, v36
	s_delay_alu instid0(VALU_DEP_3) | instskip(NEXT) | instid1(VALU_DEP_1)
	v_and_b32_e32 v2, s42, v40
	v_lshlrev_b32_e32 v2, 2, v2
	ds_load_b32 v2, v2
	s_waitcnt lgkmcnt(0)
	v_add_nc_u32_e32 v2, v2, v88
	s_delay_alu instid0(VALU_DEP_1) | instskip(NEXT) | instid1(VALU_DEP_1)
	v_lshlrev_b64 v[40:41], 3, v[2:3]
	v_add_co_u32 v40, s25, s48, v40
	s_delay_alu instid0(VALU_DEP_1) | instskip(SKIP_3) | instid1(VALU_DEP_1)
	v_add_co_ci_u32_e64 v41, s25, s49, v41, s25
	global_store_b64 v[40:41], v[36:37], off
	s_or_b32 exec_lo, exec_lo, s26
	v_cmp_lt_u32_e64 s25, v89, v177
	s_and_saveexec_b32 s27, s25
	s_cbranch_execnz .LBB712_1071
.LBB712_1086:                           ;   in Loop: Header=BB712_982 Depth=2
	s_or_b32 exec_lo, exec_lo, s27
	v_cmp_lt_u32_e64 s26, v90, v177
	s_delay_alu instid0(VALU_DEP_1)
	s_and_saveexec_b32 s29, s26
	s_cbranch_execz .LBB712_1072
.LBB712_1087:                           ;   in Loop: Header=BB712_982 Depth=2
	ds_load_b64 v[36:37], v110 offset:22528
	s_waitcnt lgkmcnt(0)
	v_lshrrev_b64 v[40:41], s40, v[36:37]
	v_xor_b32_e32 v37, 0x7fffffff, v37
	v_not_b32_e32 v36, v36
	s_delay_alu instid0(VALU_DEP_3) | instskip(NEXT) | instid1(VALU_DEP_1)
	v_and_b32_e32 v2, s42, v40
	v_lshlrev_b32_e32 v2, 2, v2
	ds_load_b32 v2, v2
	s_waitcnt lgkmcnt(0)
	v_add_nc_u32_e32 v2, v2, v90
	s_delay_alu instid0(VALU_DEP_1) | instskip(NEXT) | instid1(VALU_DEP_1)
	v_lshlrev_b64 v[40:41], 3, v[2:3]
	v_add_co_u32 v40, s27, s48, v40
	s_delay_alu instid0(VALU_DEP_1) | instskip(SKIP_3) | instid1(VALU_DEP_1)
	v_add_co_ci_u32_e64 v41, s27, s49, v41, s27
	global_store_b64 v[40:41], v[36:37], off
	s_or_b32 exec_lo, exec_lo, s29
	v_cmp_lt_u32_e64 s27, v91, v177
	s_and_saveexec_b32 s30, s27
	s_cbranch_execnz .LBB712_1073
.LBB712_1088:                           ;   in Loop: Header=BB712_982 Depth=2
	s_or_b32 exec_lo, exec_lo, s30
	v_cmp_lt_u32_e64 s29, v92, v177
	s_delay_alu instid0(VALU_DEP_1)
	s_and_saveexec_b32 s31, s29
	s_cbranch_execz .LBB712_1074
.LBB712_1089:                           ;   in Loop: Header=BB712_982 Depth=2
	ds_load_b64 v[36:37], v110 offset:26624
	s_waitcnt lgkmcnt(0)
	v_lshrrev_b64 v[40:41], s40, v[36:37]
	v_xor_b32_e32 v37, 0x7fffffff, v37
	v_not_b32_e32 v36, v36
	s_delay_alu instid0(VALU_DEP_3) | instskip(NEXT) | instid1(VALU_DEP_1)
	v_and_b32_e32 v2, s42, v40
	v_lshlrev_b32_e32 v2, 2, v2
	ds_load_b32 v2, v2
	s_waitcnt lgkmcnt(0)
	v_add_nc_u32_e32 v2, v2, v92
	s_delay_alu instid0(VALU_DEP_1) | instskip(NEXT) | instid1(VALU_DEP_1)
	v_lshlrev_b64 v[40:41], 3, v[2:3]
	v_add_co_u32 v40, s30, s48, v40
	s_delay_alu instid0(VALU_DEP_1) | instskip(SKIP_3) | instid1(VALU_DEP_1)
	v_add_co_ci_u32_e64 v41, s30, s49, v41, s30
	global_store_b64 v[40:41], v[36:37], off
	s_or_b32 exec_lo, exec_lo, s31
	v_cmp_lt_u32_e64 s30, v93, v177
	s_and_saveexec_b32 s33, s30
	s_cbranch_execnz .LBB712_1075
.LBB712_1090:                           ;   in Loop: Header=BB712_982 Depth=2
	s_or_b32 exec_lo, exec_lo, s33
	v_cmp_lt_u32_e64 s31, v95, v177
	s_delay_alu instid0(VALU_DEP_1)
	s_and_saveexec_b32 s39, s31
	s_cbranch_execz .LBB712_1092
.LBB712_1091:                           ;   in Loop: Header=BB712_982 Depth=2
	ds_load_b64 v[36:37], v110 offset:30720
	s_waitcnt lgkmcnt(0)
	v_lshrrev_b64 v[40:41], s40, v[36:37]
	v_xor_b32_e32 v37, 0x7fffffff, v37
	v_not_b32_e32 v36, v36
	s_delay_alu instid0(VALU_DEP_3) | instskip(NEXT) | instid1(VALU_DEP_1)
	v_and_b32_e32 v2, s42, v40
	v_lshlrev_b32_e32 v2, 2, v2
	ds_load_b32 v2, v2
	s_waitcnt lgkmcnt(0)
	v_add_nc_u32_e32 v2, v2, v95
	s_delay_alu instid0(VALU_DEP_1) | instskip(NEXT) | instid1(VALU_DEP_1)
	v_lshlrev_b64 v[40:41], 3, v[2:3]
	v_add_co_u32 v40, s33, s48, v40
	s_delay_alu instid0(VALU_DEP_1)
	v_add_co_ci_u32_e64 v41, s33, s49, v41, s33
	global_store_b64 v[40:41], v[36:37], off
.LBB712_1092:                           ;   in Loop: Header=BB712_982 Depth=2
	s_or_b32 exec_lo, exec_lo, s39
	s_mov_b32 s39, s34
	s_delay_alu instid0(SALU_CYCLE_1) | instskip(NEXT) | instid1(SALU_CYCLE_1)
	s_lshl_b64 s[38:39], s[38:39], 3
	v_add_co_u32 v36, s33, v139, s38
	s_delay_alu instid0(VALU_DEP_1) | instskip(SKIP_1) | instid1(VALU_DEP_1)
	v_add_co_ci_u32_e64 v37, s33, s39, v140, s33
	v_cmp_lt_u32_e64 s33, v138, v177
	s_and_saveexec_b32 s38, s33
	s_delay_alu instid0(SALU_CYCLE_1)
	s_xor_b32 s33, exec_lo, s38
	s_cbranch_execz .LBB712_1124
; %bb.1093:                             ;   in Loop: Header=BB712_982 Depth=2
	global_load_b64 v[34:35], v[36:37], off
	s_or_b32 exec_lo, exec_lo, s33
	s_delay_alu instid0(SALU_CYCLE_1)
	s_mov_b32 s38, exec_lo
	v_cmpx_lt_u32_e64 v141, v177
	s_cbranch_execnz .LBB712_1125
.LBB712_1094:                           ;   in Loop: Header=BB712_982 Depth=2
	s_or_b32 exec_lo, exec_lo, s38
	s_delay_alu instid0(SALU_CYCLE_1)
	s_mov_b32 s38, exec_lo
	v_cmpx_lt_u32_e64 v142, v177
	s_cbranch_execz .LBB712_1126
.LBB712_1095:                           ;   in Loop: Header=BB712_982 Depth=2
	global_load_b64 v[30:31], v[36:37], off offset:512
	s_or_b32 exec_lo, exec_lo, s38
	s_delay_alu instid0(SALU_CYCLE_1)
	s_mov_b32 s38, exec_lo
	v_cmpx_lt_u32_e64 v143, v177
	s_cbranch_execnz .LBB712_1127
.LBB712_1096:                           ;   in Loop: Header=BB712_982 Depth=2
	s_or_b32 exec_lo, exec_lo, s38
	s_delay_alu instid0(SALU_CYCLE_1)
	s_mov_b32 s38, exec_lo
	v_cmpx_lt_u32_e64 v144, v177
	s_cbranch_execz .LBB712_1128
.LBB712_1097:                           ;   in Loop: Header=BB712_982 Depth=2
	global_load_b64 v[26:27], v[36:37], off offset:1024
	s_or_b32 exec_lo, exec_lo, s38
	s_delay_alu instid0(SALU_CYCLE_1)
	s_mov_b32 s38, exec_lo
	v_cmpx_lt_u32_e64 v145, v177
	s_cbranch_execnz .LBB712_1129
.LBB712_1098:                           ;   in Loop: Header=BB712_982 Depth=2
	s_or_b32 exec_lo, exec_lo, s38
	s_delay_alu instid0(SALU_CYCLE_1)
	s_mov_b32 s38, exec_lo
	v_cmpx_lt_u32_e64 v146, v177
	s_cbranch_execz .LBB712_1130
.LBB712_1099:                           ;   in Loop: Header=BB712_982 Depth=2
	global_load_b64 v[22:23], v[36:37], off offset:1536
	s_or_b32 exec_lo, exec_lo, s38
	s_delay_alu instid0(SALU_CYCLE_1)
	s_mov_b32 s38, exec_lo
	v_cmpx_lt_u32_e64 v147, v177
	s_cbranch_execnz .LBB712_1131
.LBB712_1100:                           ;   in Loop: Header=BB712_982 Depth=2
	s_or_b32 exec_lo, exec_lo, s38
	s_delay_alu instid0(SALU_CYCLE_1)
	s_mov_b32 s38, exec_lo
	v_cmpx_lt_u32_e64 v148, v177
	s_cbranch_execz .LBB712_1132
.LBB712_1101:                           ;   in Loop: Header=BB712_982 Depth=2
	global_load_b64 v[18:19], v[36:37], off offset:2048
	s_or_b32 exec_lo, exec_lo, s38
	s_delay_alu instid0(SALU_CYCLE_1)
	s_mov_b32 s38, exec_lo
	v_cmpx_lt_u32_e64 v149, v177
	s_cbranch_execnz .LBB712_1133
.LBB712_1102:                           ;   in Loop: Header=BB712_982 Depth=2
	s_or_b32 exec_lo, exec_lo, s38
	s_delay_alu instid0(SALU_CYCLE_1)
	s_mov_b32 s38, exec_lo
	v_cmpx_lt_u32_e64 v150, v177
	s_cbranch_execz .LBB712_1134
.LBB712_1103:                           ;   in Loop: Header=BB712_982 Depth=2
	global_load_b64 v[14:15], v[36:37], off offset:2560
	s_or_b32 exec_lo, exec_lo, s38
	s_delay_alu instid0(SALU_CYCLE_1)
	s_mov_b32 s38, exec_lo
	v_cmpx_lt_u32_e64 v151, v177
	s_cbranch_execnz .LBB712_1135
.LBB712_1104:                           ;   in Loop: Header=BB712_982 Depth=2
	s_or_b32 exec_lo, exec_lo, s38
	s_delay_alu instid0(SALU_CYCLE_1)
	s_mov_b32 s38, exec_lo
	v_cmpx_lt_u32_e64 v152, v177
	s_cbranch_execz .LBB712_1136
.LBB712_1105:                           ;   in Loop: Header=BB712_982 Depth=2
	global_load_b64 v[10:11], v[36:37], off offset:3072
	s_or_b32 exec_lo, exec_lo, s38
	s_delay_alu instid0(SALU_CYCLE_1)
	s_mov_b32 s38, exec_lo
	v_cmpx_lt_u32_e64 v153, v177
	s_cbranch_execnz .LBB712_1137
.LBB712_1106:                           ;   in Loop: Header=BB712_982 Depth=2
	s_or_b32 exec_lo, exec_lo, s38
	s_delay_alu instid0(SALU_CYCLE_1)
	s_mov_b32 s38, exec_lo
	v_cmpx_lt_u32_e64 v154, v177
	s_cbranch_execz .LBB712_1138
.LBB712_1107:                           ;   in Loop: Header=BB712_982 Depth=2
	global_load_b64 v[6:7], v[36:37], off offset:3584
	s_or_b32 exec_lo, exec_lo, s38
	s_delay_alu instid0(SALU_CYCLE_1)
	s_mov_b32 s38, exec_lo
	v_cmpx_lt_u32_e64 v155, v177
	s_cbranch_execnz .LBB712_1139
.LBB712_1108:                           ;   in Loop: Header=BB712_982 Depth=2
	s_or_b32 exec_lo, exec_lo, s38
	s_and_saveexec_b32 s33, vcc_lo
	s_cbranch_execz .LBB712_1140
.LBB712_1109:                           ;   in Loop: Header=BB712_982 Depth=2
	ds_load_b64 v[36:37], v38 offset:1024
	s_waitcnt lgkmcnt(0)
	v_lshrrev_b64 v[36:37], s40, v[36:37]
	s_delay_alu instid0(VALU_DEP_1)
	v_and_b32_e32 v176, s42, v36
	s_or_b32 exec_lo, exec_lo, s33
	s_and_saveexec_b32 s33, s16
	s_cbranch_execnz .LBB712_1141
.LBB712_1110:                           ;   in Loop: Header=BB712_982 Depth=2
	s_or_b32 exec_lo, exec_lo, s33
	s_and_saveexec_b32 s33, s17
	s_cbranch_execz .LBB712_1142
.LBB712_1111:                           ;   in Loop: Header=BB712_982 Depth=2
	ds_load_b64 v[36:37], v110 offset:4096
	s_waitcnt lgkmcnt(0)
	v_lshrrev_b64 v[36:37], s40, v[36:37]
	s_delay_alu instid0(VALU_DEP_1)
	v_and_b32_e32 v174, s42, v36
	s_or_b32 exec_lo, exec_lo, s33
	s_and_saveexec_b32 s33, s18
	s_cbranch_execnz .LBB712_1143
.LBB712_1112:                           ;   in Loop: Header=BB712_982 Depth=2
	s_or_b32 exec_lo, exec_lo, s33
	s_and_saveexec_b32 s33, s19
	s_cbranch_execz .LBB712_1144
.LBB712_1113:                           ;   in Loop: Header=BB712_982 Depth=2
	ds_load_b64 v[36:37], v110 offset:8192
	s_waitcnt lgkmcnt(0)
	v_lshrrev_b64 v[36:37], s40, v[36:37]
	s_delay_alu instid0(VALU_DEP_1)
	v_and_b32_e32 v172, s42, v36
	s_or_b32 exec_lo, exec_lo, s33
	s_and_saveexec_b32 s33, s20
	s_cbranch_execnz .LBB712_1145
.LBB712_1114:                           ;   in Loop: Header=BB712_982 Depth=2
	s_or_b32 exec_lo, exec_lo, s33
	s_and_saveexec_b32 s33, s21
	s_cbranch_execz .LBB712_1146
.LBB712_1115:                           ;   in Loop: Header=BB712_982 Depth=2
	ds_load_b64 v[36:37], v110 offset:12288
	s_waitcnt lgkmcnt(0)
	v_lshrrev_b64 v[36:37], s40, v[36:37]
	s_delay_alu instid0(VALU_DEP_1)
	v_and_b32_e32 v170, s42, v36
	s_or_b32 exec_lo, exec_lo, s33
	s_and_saveexec_b32 s33, s22
	s_cbranch_execnz .LBB712_1147
.LBB712_1116:                           ;   in Loop: Header=BB712_982 Depth=2
	s_or_b32 exec_lo, exec_lo, s33
	s_and_saveexec_b32 s33, s23
	s_cbranch_execz .LBB712_1148
.LBB712_1117:                           ;   in Loop: Header=BB712_982 Depth=2
	ds_load_b64 v[36:37], v110 offset:16384
	s_waitcnt lgkmcnt(0)
	v_lshrrev_b64 v[36:37], s40, v[36:37]
	s_delay_alu instid0(VALU_DEP_1)
	v_and_b32_e32 v168, s42, v36
	s_or_b32 exec_lo, exec_lo, s33
	s_and_saveexec_b32 s33, s24
	s_cbranch_execnz .LBB712_1149
.LBB712_1118:                           ;   in Loop: Header=BB712_982 Depth=2
	s_or_b32 exec_lo, exec_lo, s33
	s_and_saveexec_b32 s33, s25
	s_cbranch_execz .LBB712_1150
.LBB712_1119:                           ;   in Loop: Header=BB712_982 Depth=2
	ds_load_b64 v[36:37], v110 offset:20480
	s_waitcnt lgkmcnt(0)
	v_lshrrev_b64 v[36:37], s40, v[36:37]
	s_delay_alu instid0(VALU_DEP_1)
	v_and_b32_e32 v166, s42, v36
	s_or_b32 exec_lo, exec_lo, s33
	s_and_saveexec_b32 s33, s26
	s_cbranch_execnz .LBB712_1151
.LBB712_1120:                           ;   in Loop: Header=BB712_982 Depth=2
	s_or_b32 exec_lo, exec_lo, s33
	s_and_saveexec_b32 s33, s27
	s_cbranch_execz .LBB712_1152
.LBB712_1121:                           ;   in Loop: Header=BB712_982 Depth=2
	ds_load_b64 v[36:37], v110 offset:24576
	s_waitcnt lgkmcnt(0)
	v_lshrrev_b64 v[36:37], s40, v[36:37]
	s_delay_alu instid0(VALU_DEP_1)
	v_and_b32_e32 v164, s42, v36
	s_or_b32 exec_lo, exec_lo, s33
	s_and_saveexec_b32 s33, s29
	s_cbranch_execnz .LBB712_1153
.LBB712_1122:                           ;   in Loop: Header=BB712_982 Depth=2
	s_or_b32 exec_lo, exec_lo, s33
	s_and_saveexec_b32 s33, s30
	s_cbranch_execz .LBB712_1154
.LBB712_1123:                           ;   in Loop: Header=BB712_982 Depth=2
	ds_load_b64 v[36:37], v110 offset:28672
	s_waitcnt lgkmcnt(0)
	v_lshrrev_b64 v[36:37], s40, v[36:37]
	s_delay_alu instid0(VALU_DEP_1)
	v_and_b32_e32 v162, s42, v36
	s_or_b32 exec_lo, exec_lo, s33
	s_and_saveexec_b32 s33, s31
	s_cbranch_execnz .LBB712_1155
	s_branch .LBB712_1156
.LBB712_1124:                           ;   in Loop: Header=BB712_982 Depth=2
	s_or_b32 exec_lo, exec_lo, s33
	s_delay_alu instid0(SALU_CYCLE_1)
	s_mov_b32 s38, exec_lo
	v_cmpx_lt_u32_e64 v141, v177
	s_cbranch_execz .LBB712_1094
.LBB712_1125:                           ;   in Loop: Header=BB712_982 Depth=2
	global_load_b64 v[32:33], v[36:37], off offset:256
	s_or_b32 exec_lo, exec_lo, s38
	s_delay_alu instid0(SALU_CYCLE_1)
	s_mov_b32 s38, exec_lo
	v_cmpx_lt_u32_e64 v142, v177
	s_cbranch_execnz .LBB712_1095
.LBB712_1126:                           ;   in Loop: Header=BB712_982 Depth=2
	s_or_b32 exec_lo, exec_lo, s38
	s_delay_alu instid0(SALU_CYCLE_1)
	s_mov_b32 s38, exec_lo
	v_cmpx_lt_u32_e64 v143, v177
	s_cbranch_execz .LBB712_1096
.LBB712_1127:                           ;   in Loop: Header=BB712_982 Depth=2
	global_load_b64 v[28:29], v[36:37], off offset:768
	s_or_b32 exec_lo, exec_lo, s38
	s_delay_alu instid0(SALU_CYCLE_1)
	s_mov_b32 s38, exec_lo
	v_cmpx_lt_u32_e64 v144, v177
	s_cbranch_execnz .LBB712_1097
.LBB712_1128:                           ;   in Loop: Header=BB712_982 Depth=2
	s_or_b32 exec_lo, exec_lo, s38
	s_delay_alu instid0(SALU_CYCLE_1)
	s_mov_b32 s38, exec_lo
	v_cmpx_lt_u32_e64 v145, v177
	s_cbranch_execz .LBB712_1098
.LBB712_1129:                           ;   in Loop: Header=BB712_982 Depth=2
	global_load_b64 v[24:25], v[36:37], off offset:1280
	s_or_b32 exec_lo, exec_lo, s38
	s_delay_alu instid0(SALU_CYCLE_1)
	s_mov_b32 s38, exec_lo
	v_cmpx_lt_u32_e64 v146, v177
	s_cbranch_execnz .LBB712_1099
.LBB712_1130:                           ;   in Loop: Header=BB712_982 Depth=2
	s_or_b32 exec_lo, exec_lo, s38
	s_delay_alu instid0(SALU_CYCLE_1)
	s_mov_b32 s38, exec_lo
	v_cmpx_lt_u32_e64 v147, v177
	s_cbranch_execz .LBB712_1100
.LBB712_1131:                           ;   in Loop: Header=BB712_982 Depth=2
	global_load_b64 v[20:21], v[36:37], off offset:1792
	s_or_b32 exec_lo, exec_lo, s38
	s_delay_alu instid0(SALU_CYCLE_1)
	s_mov_b32 s38, exec_lo
	v_cmpx_lt_u32_e64 v148, v177
	s_cbranch_execnz .LBB712_1101
.LBB712_1132:                           ;   in Loop: Header=BB712_982 Depth=2
	s_or_b32 exec_lo, exec_lo, s38
	s_delay_alu instid0(SALU_CYCLE_1)
	s_mov_b32 s38, exec_lo
	v_cmpx_lt_u32_e64 v149, v177
	s_cbranch_execz .LBB712_1102
.LBB712_1133:                           ;   in Loop: Header=BB712_982 Depth=2
	global_load_b64 v[16:17], v[36:37], off offset:2304
	s_or_b32 exec_lo, exec_lo, s38
	s_delay_alu instid0(SALU_CYCLE_1)
	s_mov_b32 s38, exec_lo
	v_cmpx_lt_u32_e64 v150, v177
	s_cbranch_execnz .LBB712_1103
.LBB712_1134:                           ;   in Loop: Header=BB712_982 Depth=2
	s_or_b32 exec_lo, exec_lo, s38
	s_delay_alu instid0(SALU_CYCLE_1)
	s_mov_b32 s38, exec_lo
	v_cmpx_lt_u32_e64 v151, v177
	s_cbranch_execz .LBB712_1104
.LBB712_1135:                           ;   in Loop: Header=BB712_982 Depth=2
	global_load_b64 v[12:13], v[36:37], off offset:2816
	s_or_b32 exec_lo, exec_lo, s38
	s_delay_alu instid0(SALU_CYCLE_1)
	s_mov_b32 s38, exec_lo
	v_cmpx_lt_u32_e64 v152, v177
	s_cbranch_execnz .LBB712_1105
.LBB712_1136:                           ;   in Loop: Header=BB712_982 Depth=2
	s_or_b32 exec_lo, exec_lo, s38
	s_delay_alu instid0(SALU_CYCLE_1)
	s_mov_b32 s38, exec_lo
	v_cmpx_lt_u32_e64 v153, v177
	s_cbranch_execz .LBB712_1106
.LBB712_1137:                           ;   in Loop: Header=BB712_982 Depth=2
	global_load_b64 v[8:9], v[36:37], off offset:3328
	s_or_b32 exec_lo, exec_lo, s38
	s_delay_alu instid0(SALU_CYCLE_1)
	s_mov_b32 s38, exec_lo
	v_cmpx_lt_u32_e64 v154, v177
	s_cbranch_execnz .LBB712_1107
.LBB712_1138:                           ;   in Loop: Header=BB712_982 Depth=2
	s_or_b32 exec_lo, exec_lo, s38
	s_delay_alu instid0(SALU_CYCLE_1)
	s_mov_b32 s38, exec_lo
	v_cmpx_lt_u32_e64 v155, v177
	s_cbranch_execz .LBB712_1108
.LBB712_1139:                           ;   in Loop: Header=BB712_982 Depth=2
	global_load_b64 v[4:5], v[36:37], off offset:3840
	s_or_b32 exec_lo, exec_lo, s38
	s_and_saveexec_b32 s33, vcc_lo
	s_cbranch_execnz .LBB712_1109
.LBB712_1140:                           ;   in Loop: Header=BB712_982 Depth=2
	s_or_b32 exec_lo, exec_lo, s33
	s_and_saveexec_b32 s33, s16
	s_cbranch_execz .LBB712_1110
.LBB712_1141:                           ;   in Loop: Header=BB712_982 Depth=2
	ds_load_b64 v[36:37], v110 offset:2048
	s_waitcnt lgkmcnt(0)
	v_lshrrev_b64 v[36:37], s40, v[36:37]
	s_delay_alu instid0(VALU_DEP_1)
	v_and_b32_e32 v175, s42, v36
	s_or_b32 exec_lo, exec_lo, s33
	s_and_saveexec_b32 s33, s17
	s_cbranch_execnz .LBB712_1111
.LBB712_1142:                           ;   in Loop: Header=BB712_982 Depth=2
	s_or_b32 exec_lo, exec_lo, s33
	s_and_saveexec_b32 s33, s18
	s_cbranch_execz .LBB712_1112
.LBB712_1143:                           ;   in Loop: Header=BB712_982 Depth=2
	ds_load_b64 v[36:37], v110 offset:6144
	s_waitcnt lgkmcnt(0)
	v_lshrrev_b64 v[36:37], s40, v[36:37]
	s_delay_alu instid0(VALU_DEP_1)
	v_and_b32_e32 v173, s42, v36
	s_or_b32 exec_lo, exec_lo, s33
	s_and_saveexec_b32 s33, s19
	s_cbranch_execnz .LBB712_1113
.LBB712_1144:                           ;   in Loop: Header=BB712_982 Depth=2
	s_or_b32 exec_lo, exec_lo, s33
	s_and_saveexec_b32 s33, s20
	s_cbranch_execz .LBB712_1114
.LBB712_1145:                           ;   in Loop: Header=BB712_982 Depth=2
	ds_load_b64 v[36:37], v110 offset:10240
	s_waitcnt lgkmcnt(0)
	v_lshrrev_b64 v[36:37], s40, v[36:37]
	s_delay_alu instid0(VALU_DEP_1)
	v_and_b32_e32 v171, s42, v36
	s_or_b32 exec_lo, exec_lo, s33
	s_and_saveexec_b32 s33, s21
	s_cbranch_execnz .LBB712_1115
.LBB712_1146:                           ;   in Loop: Header=BB712_982 Depth=2
	s_or_b32 exec_lo, exec_lo, s33
	s_and_saveexec_b32 s33, s22
	s_cbranch_execz .LBB712_1116
.LBB712_1147:                           ;   in Loop: Header=BB712_982 Depth=2
	ds_load_b64 v[36:37], v110 offset:14336
	s_waitcnt lgkmcnt(0)
	v_lshrrev_b64 v[36:37], s40, v[36:37]
	s_delay_alu instid0(VALU_DEP_1)
	v_and_b32_e32 v169, s42, v36
	s_or_b32 exec_lo, exec_lo, s33
	s_and_saveexec_b32 s33, s23
	s_cbranch_execnz .LBB712_1117
.LBB712_1148:                           ;   in Loop: Header=BB712_982 Depth=2
	s_or_b32 exec_lo, exec_lo, s33
	s_and_saveexec_b32 s33, s24
	s_cbranch_execz .LBB712_1118
.LBB712_1149:                           ;   in Loop: Header=BB712_982 Depth=2
	ds_load_b64 v[36:37], v110 offset:18432
	s_waitcnt lgkmcnt(0)
	v_lshrrev_b64 v[36:37], s40, v[36:37]
	s_delay_alu instid0(VALU_DEP_1)
	v_and_b32_e32 v167, s42, v36
	s_or_b32 exec_lo, exec_lo, s33
	s_and_saveexec_b32 s33, s25
	s_cbranch_execnz .LBB712_1119
.LBB712_1150:                           ;   in Loop: Header=BB712_982 Depth=2
	s_or_b32 exec_lo, exec_lo, s33
	s_and_saveexec_b32 s33, s26
	s_cbranch_execz .LBB712_1120
.LBB712_1151:                           ;   in Loop: Header=BB712_982 Depth=2
	ds_load_b64 v[36:37], v110 offset:22528
	s_waitcnt lgkmcnt(0)
	v_lshrrev_b64 v[36:37], s40, v[36:37]
	s_delay_alu instid0(VALU_DEP_1)
	v_and_b32_e32 v165, s42, v36
	s_or_b32 exec_lo, exec_lo, s33
	s_and_saveexec_b32 s33, s27
	s_cbranch_execnz .LBB712_1121
.LBB712_1152:                           ;   in Loop: Header=BB712_982 Depth=2
	s_or_b32 exec_lo, exec_lo, s33
	s_and_saveexec_b32 s33, s29
	s_cbranch_execz .LBB712_1122
.LBB712_1153:                           ;   in Loop: Header=BB712_982 Depth=2
	ds_load_b64 v[36:37], v110 offset:26624
	s_waitcnt lgkmcnt(0)
	v_lshrrev_b64 v[36:37], s40, v[36:37]
	s_delay_alu instid0(VALU_DEP_1)
	v_and_b32_e32 v163, s42, v36
	s_or_b32 exec_lo, exec_lo, s33
	s_and_saveexec_b32 s33, s30
	s_cbranch_execnz .LBB712_1123
.LBB712_1154:                           ;   in Loop: Header=BB712_982 Depth=2
	s_or_b32 exec_lo, exec_lo, s33
	s_and_saveexec_b32 s33, s31
	s_cbranch_execz .LBB712_1156
.LBB712_1155:                           ;   in Loop: Header=BB712_982 Depth=2
	ds_load_b64 v[36:37], v110 offset:30720
	s_waitcnt lgkmcnt(0)
	v_lshrrev_b64 v[36:37], s40, v[36:37]
	s_delay_alu instid0(VALU_DEP_1)
	v_and_b32_e32 v161, s42, v36
.LBB712_1156:                           ;   in Loop: Header=BB712_982 Depth=2
	s_or_b32 exec_lo, exec_lo, s33
	v_add_nc_u32_e32 v2, 0x400, v69
	v_add_nc_u32_e32 v36, 0x400, v70
	;; [unrolled: 1-line block ×16, first 2 shown]
	s_waitcnt vmcnt(0)
	s_waitcnt_vscnt null, 0x0
	s_barrier
	buffer_gl0_inv
	ds_store_b64 v2, v[34:35]
	ds_store_b64 v36, v[32:33]
	;; [unrolled: 1-line block ×16, first 2 shown]
	s_waitcnt lgkmcnt(0)
	s_barrier
	buffer_gl0_inv
	s_and_saveexec_b32 s33, vcc_lo
	s_cbranch_execz .LBB712_1172
; %bb.1157:                             ;   in Loop: Header=BB712_982 Depth=2
	v_lshlrev_b32_e32 v2, 2, v176
	ds_load_b32 v2, v2
	ds_load_b64 v[36:37], v38 offset:1024
	s_waitcnt lgkmcnt(1)
	v_add_nc_u32_e32 v2, v2, v1
	s_delay_alu instid0(VALU_DEP_1) | instskip(NEXT) | instid1(VALU_DEP_1)
	v_lshlrev_b64 v[38:39], 3, v[2:3]
	v_add_co_u32 v38, vcc_lo, s54, v38
	s_delay_alu instid0(VALU_DEP_2)
	v_add_co_ci_u32_e32 v39, vcc_lo, s55, v39, vcc_lo
	s_waitcnt lgkmcnt(0)
	global_store_b64 v[38:39], v[36:37], off
	s_or_b32 exec_lo, exec_lo, s33
	s_and_saveexec_b32 s33, s16
	s_cbranch_execnz .LBB712_1173
.LBB712_1158:                           ;   in Loop: Header=BB712_982 Depth=2
	s_or_b32 exec_lo, exec_lo, s33
	s_and_saveexec_b32 s16, s17
	s_cbranch_execz .LBB712_1174
.LBB712_1159:                           ;   in Loop: Header=BB712_982 Depth=2
	v_lshlrev_b32_e32 v2, 2, v174
	ds_load_b32 v2, v2
	ds_load_b64 v[36:37], v110 offset:4096
	s_waitcnt lgkmcnt(1)
	v_add_nc_u32_e32 v2, v2, v78
	s_delay_alu instid0(VALU_DEP_1) | instskip(NEXT) | instid1(VALU_DEP_1)
	v_lshlrev_b64 v[38:39], 3, v[2:3]
	v_add_co_u32 v38, vcc_lo, s54, v38
	s_delay_alu instid0(VALU_DEP_2)
	v_add_co_ci_u32_e32 v39, vcc_lo, s55, v39, vcc_lo
	s_waitcnt lgkmcnt(0)
	global_store_b64 v[38:39], v[36:37], off
	s_or_b32 exec_lo, exec_lo, s16
	s_and_saveexec_b32 s16, s18
	s_cbranch_execnz .LBB712_1175
.LBB712_1160:                           ;   in Loop: Header=BB712_982 Depth=2
	s_or_b32 exec_lo, exec_lo, s16
	s_and_saveexec_b32 s16, s19
	s_cbranch_execz .LBB712_1176
.LBB712_1161:                           ;   in Loop: Header=BB712_982 Depth=2
	v_lshlrev_b32_e32 v2, 2, v172
	ds_load_b32 v2, v2
	ds_load_b64 v[36:37], v110 offset:8192
	s_waitcnt lgkmcnt(1)
	v_add_nc_u32_e32 v2, v2, v83
	s_delay_alu instid0(VALU_DEP_1) | instskip(NEXT) | instid1(VALU_DEP_1)
	v_lshlrev_b64 v[38:39], 3, v[2:3]
	v_add_co_u32 v38, vcc_lo, s54, v38
	s_delay_alu instid0(VALU_DEP_2)
	v_add_co_ci_u32_e32 v39, vcc_lo, s55, v39, vcc_lo
	s_waitcnt lgkmcnt(0)
	global_store_b64 v[38:39], v[36:37], off
	s_or_b32 exec_lo, exec_lo, s16
	s_and_saveexec_b32 s16, s20
	s_cbranch_execnz .LBB712_1177
.LBB712_1162:                           ;   in Loop: Header=BB712_982 Depth=2
	s_or_b32 exec_lo, exec_lo, s16
	s_and_saveexec_b32 s16, s21
	s_cbranch_execz .LBB712_1178
.LBB712_1163:                           ;   in Loop: Header=BB712_982 Depth=2
	v_lshlrev_b32_e32 v2, 2, v170
	ds_load_b32 v2, v2
	ds_load_b64 v[36:37], v110 offset:12288
	s_waitcnt lgkmcnt(1)
	v_add_nc_u32_e32 v2, v2, v85
	s_delay_alu instid0(VALU_DEP_1) | instskip(NEXT) | instid1(VALU_DEP_1)
	v_lshlrev_b64 v[38:39], 3, v[2:3]
	v_add_co_u32 v38, vcc_lo, s54, v38
	s_delay_alu instid0(VALU_DEP_2)
	v_add_co_ci_u32_e32 v39, vcc_lo, s55, v39, vcc_lo
	s_waitcnt lgkmcnt(0)
	global_store_b64 v[38:39], v[36:37], off
	s_or_b32 exec_lo, exec_lo, s16
	s_and_saveexec_b32 s16, s22
	s_cbranch_execnz .LBB712_1179
.LBB712_1164:                           ;   in Loop: Header=BB712_982 Depth=2
	s_or_b32 exec_lo, exec_lo, s16
	s_and_saveexec_b32 s16, s23
	s_cbranch_execz .LBB712_1180
.LBB712_1165:                           ;   in Loop: Header=BB712_982 Depth=2
	v_lshlrev_b32_e32 v2, 2, v168
	ds_load_b32 v2, v2
	ds_load_b64 v[36:37], v110 offset:16384
	s_waitcnt lgkmcnt(1)
	v_add_nc_u32_e32 v2, v2, v87
	s_delay_alu instid0(VALU_DEP_1) | instskip(NEXT) | instid1(VALU_DEP_1)
	v_lshlrev_b64 v[38:39], 3, v[2:3]
	v_add_co_u32 v38, vcc_lo, s54, v38
	s_delay_alu instid0(VALU_DEP_2)
	v_add_co_ci_u32_e32 v39, vcc_lo, s55, v39, vcc_lo
	s_waitcnt lgkmcnt(0)
	global_store_b64 v[38:39], v[36:37], off
	s_or_b32 exec_lo, exec_lo, s16
	s_and_saveexec_b32 s16, s24
	s_cbranch_execnz .LBB712_1181
.LBB712_1166:                           ;   in Loop: Header=BB712_982 Depth=2
	s_or_b32 exec_lo, exec_lo, s16
	s_and_saveexec_b32 s16, s25
	s_cbranch_execz .LBB712_1182
.LBB712_1167:                           ;   in Loop: Header=BB712_982 Depth=2
	v_lshlrev_b32_e32 v2, 2, v166
	ds_load_b32 v2, v2
	ds_load_b64 v[36:37], v110 offset:20480
	s_waitcnt lgkmcnt(1)
	v_add_nc_u32_e32 v2, v2, v89
	s_delay_alu instid0(VALU_DEP_1) | instskip(NEXT) | instid1(VALU_DEP_1)
	v_lshlrev_b64 v[38:39], 3, v[2:3]
	v_add_co_u32 v38, vcc_lo, s54, v38
	s_delay_alu instid0(VALU_DEP_2)
	v_add_co_ci_u32_e32 v39, vcc_lo, s55, v39, vcc_lo
	s_waitcnt lgkmcnt(0)
	global_store_b64 v[38:39], v[36:37], off
	s_or_b32 exec_lo, exec_lo, s16
	s_and_saveexec_b32 s16, s26
	s_cbranch_execnz .LBB712_1183
.LBB712_1168:                           ;   in Loop: Header=BB712_982 Depth=2
	s_or_b32 exec_lo, exec_lo, s16
	s_and_saveexec_b32 s16, s27
	s_cbranch_execz .LBB712_1184
.LBB712_1169:                           ;   in Loop: Header=BB712_982 Depth=2
	v_lshlrev_b32_e32 v2, 2, v164
	ds_load_b32 v2, v2
	ds_load_b64 v[36:37], v110 offset:24576
	s_waitcnt lgkmcnt(1)
	v_add_nc_u32_e32 v2, v2, v91
	s_delay_alu instid0(VALU_DEP_1) | instskip(NEXT) | instid1(VALU_DEP_1)
	v_lshlrev_b64 v[38:39], 3, v[2:3]
	v_add_co_u32 v38, vcc_lo, s54, v38
	s_delay_alu instid0(VALU_DEP_2)
	v_add_co_ci_u32_e32 v39, vcc_lo, s55, v39, vcc_lo
	s_waitcnt lgkmcnt(0)
	global_store_b64 v[38:39], v[36:37], off
	s_or_b32 exec_lo, exec_lo, s16
	s_and_saveexec_b32 s16, s29
	s_cbranch_execnz .LBB712_1185
.LBB712_1170:                           ;   in Loop: Header=BB712_982 Depth=2
	s_or_b32 exec_lo, exec_lo, s16
	s_and_saveexec_b32 s16, s30
	s_cbranch_execz .LBB712_1186
.LBB712_1171:                           ;   in Loop: Header=BB712_982 Depth=2
	v_lshlrev_b32_e32 v2, 2, v162
	ds_load_b32 v2, v2
	ds_load_b64 v[36:37], v110 offset:28672
	s_waitcnt lgkmcnt(1)
	v_add_nc_u32_e32 v2, v2, v93
	s_delay_alu instid0(VALU_DEP_1) | instskip(NEXT) | instid1(VALU_DEP_1)
	v_lshlrev_b64 v[38:39], 3, v[2:3]
	v_add_co_u32 v38, vcc_lo, s54, v38
	s_delay_alu instid0(VALU_DEP_2)
	v_add_co_ci_u32_e32 v39, vcc_lo, s55, v39, vcc_lo
	s_waitcnt lgkmcnt(0)
	global_store_b64 v[38:39], v[36:37], off
	s_or_b32 exec_lo, exec_lo, s16
	s_and_saveexec_b32 s16, s31
	s_cbranch_execnz .LBB712_1187
	s_branch .LBB712_1188
.LBB712_1172:                           ;   in Loop: Header=BB712_982 Depth=2
	s_or_b32 exec_lo, exec_lo, s33
	s_and_saveexec_b32 s33, s16
	s_cbranch_execz .LBB712_1158
.LBB712_1173:                           ;   in Loop: Header=BB712_982 Depth=2
	v_lshlrev_b32_e32 v2, 2, v175
	ds_load_b32 v2, v2
	ds_load_b64 v[36:37], v110 offset:2048
	s_waitcnt lgkmcnt(1)
	v_add_nc_u32_e32 v2, v2, v77
	s_delay_alu instid0(VALU_DEP_1) | instskip(NEXT) | instid1(VALU_DEP_1)
	v_lshlrev_b64 v[38:39], 3, v[2:3]
	v_add_co_u32 v38, vcc_lo, s54, v38
	s_delay_alu instid0(VALU_DEP_2)
	v_add_co_ci_u32_e32 v39, vcc_lo, s55, v39, vcc_lo
	s_waitcnt lgkmcnt(0)
	global_store_b64 v[38:39], v[36:37], off
	s_or_b32 exec_lo, exec_lo, s33
	s_and_saveexec_b32 s16, s17
	s_cbranch_execnz .LBB712_1159
.LBB712_1174:                           ;   in Loop: Header=BB712_982 Depth=2
	s_or_b32 exec_lo, exec_lo, s16
	s_and_saveexec_b32 s16, s18
	s_cbranch_execz .LBB712_1160
.LBB712_1175:                           ;   in Loop: Header=BB712_982 Depth=2
	v_lshlrev_b32_e32 v2, 2, v173
	ds_load_b32 v2, v2
	ds_load_b64 v[36:37], v110 offset:6144
	s_waitcnt lgkmcnt(1)
	v_add_nc_u32_e32 v2, v2, v79
	s_delay_alu instid0(VALU_DEP_1) | instskip(NEXT) | instid1(VALU_DEP_1)
	v_lshlrev_b64 v[38:39], 3, v[2:3]
	v_add_co_u32 v38, vcc_lo, s54, v38
	s_delay_alu instid0(VALU_DEP_2)
	v_add_co_ci_u32_e32 v39, vcc_lo, s55, v39, vcc_lo
	s_waitcnt lgkmcnt(0)
	global_store_b64 v[38:39], v[36:37], off
	s_or_b32 exec_lo, exec_lo, s16
	s_and_saveexec_b32 s16, s19
	s_cbranch_execnz .LBB712_1161
.LBB712_1176:                           ;   in Loop: Header=BB712_982 Depth=2
	s_or_b32 exec_lo, exec_lo, s16
	s_and_saveexec_b32 s16, s20
	s_cbranch_execz .LBB712_1162
.LBB712_1177:                           ;   in Loop: Header=BB712_982 Depth=2
	v_lshlrev_b32_e32 v2, 2, v171
	ds_load_b32 v2, v2
	ds_load_b64 v[36:37], v110 offset:10240
	s_waitcnt lgkmcnt(1)
	v_add_nc_u32_e32 v2, v2, v84
	s_delay_alu instid0(VALU_DEP_1) | instskip(NEXT) | instid1(VALU_DEP_1)
	v_lshlrev_b64 v[38:39], 3, v[2:3]
	v_add_co_u32 v38, vcc_lo, s54, v38
	s_delay_alu instid0(VALU_DEP_2)
	v_add_co_ci_u32_e32 v39, vcc_lo, s55, v39, vcc_lo
	s_waitcnt lgkmcnt(0)
	global_store_b64 v[38:39], v[36:37], off
	s_or_b32 exec_lo, exec_lo, s16
	s_and_saveexec_b32 s16, s21
	s_cbranch_execnz .LBB712_1163
.LBB712_1178:                           ;   in Loop: Header=BB712_982 Depth=2
	s_or_b32 exec_lo, exec_lo, s16
	s_and_saveexec_b32 s16, s22
	s_cbranch_execz .LBB712_1164
.LBB712_1179:                           ;   in Loop: Header=BB712_982 Depth=2
	v_lshlrev_b32_e32 v2, 2, v169
	ds_load_b32 v2, v2
	ds_load_b64 v[36:37], v110 offset:14336
	s_waitcnt lgkmcnt(1)
	v_add_nc_u32_e32 v2, v2, v86
	s_delay_alu instid0(VALU_DEP_1) | instskip(NEXT) | instid1(VALU_DEP_1)
	v_lshlrev_b64 v[38:39], 3, v[2:3]
	v_add_co_u32 v38, vcc_lo, s54, v38
	s_delay_alu instid0(VALU_DEP_2)
	v_add_co_ci_u32_e32 v39, vcc_lo, s55, v39, vcc_lo
	s_waitcnt lgkmcnt(0)
	global_store_b64 v[38:39], v[36:37], off
	s_or_b32 exec_lo, exec_lo, s16
	s_and_saveexec_b32 s16, s23
	s_cbranch_execnz .LBB712_1165
.LBB712_1180:                           ;   in Loop: Header=BB712_982 Depth=2
	s_or_b32 exec_lo, exec_lo, s16
	s_and_saveexec_b32 s16, s24
	s_cbranch_execz .LBB712_1166
.LBB712_1181:                           ;   in Loop: Header=BB712_982 Depth=2
	v_lshlrev_b32_e32 v2, 2, v167
	ds_load_b32 v2, v2
	ds_load_b64 v[36:37], v110 offset:18432
	s_waitcnt lgkmcnt(1)
	v_add_nc_u32_e32 v2, v2, v88
	s_delay_alu instid0(VALU_DEP_1) | instskip(NEXT) | instid1(VALU_DEP_1)
	v_lshlrev_b64 v[38:39], 3, v[2:3]
	v_add_co_u32 v38, vcc_lo, s54, v38
	s_delay_alu instid0(VALU_DEP_2)
	v_add_co_ci_u32_e32 v39, vcc_lo, s55, v39, vcc_lo
	s_waitcnt lgkmcnt(0)
	global_store_b64 v[38:39], v[36:37], off
	s_or_b32 exec_lo, exec_lo, s16
	s_and_saveexec_b32 s16, s25
	s_cbranch_execnz .LBB712_1167
.LBB712_1182:                           ;   in Loop: Header=BB712_982 Depth=2
	s_or_b32 exec_lo, exec_lo, s16
	s_and_saveexec_b32 s16, s26
	s_cbranch_execz .LBB712_1168
.LBB712_1183:                           ;   in Loop: Header=BB712_982 Depth=2
	v_lshlrev_b32_e32 v2, 2, v165
	ds_load_b32 v2, v2
	ds_load_b64 v[36:37], v110 offset:22528
	s_waitcnt lgkmcnt(1)
	v_add_nc_u32_e32 v2, v2, v90
	s_delay_alu instid0(VALU_DEP_1) | instskip(NEXT) | instid1(VALU_DEP_1)
	v_lshlrev_b64 v[38:39], 3, v[2:3]
	v_add_co_u32 v38, vcc_lo, s54, v38
	s_delay_alu instid0(VALU_DEP_2)
	v_add_co_ci_u32_e32 v39, vcc_lo, s55, v39, vcc_lo
	s_waitcnt lgkmcnt(0)
	global_store_b64 v[38:39], v[36:37], off
	s_or_b32 exec_lo, exec_lo, s16
	s_and_saveexec_b32 s16, s27
	s_cbranch_execnz .LBB712_1169
.LBB712_1184:                           ;   in Loop: Header=BB712_982 Depth=2
	s_or_b32 exec_lo, exec_lo, s16
	s_and_saveexec_b32 s16, s29
	s_cbranch_execz .LBB712_1170
.LBB712_1185:                           ;   in Loop: Header=BB712_982 Depth=2
	v_lshlrev_b32_e32 v2, 2, v163
	ds_load_b32 v2, v2
	ds_load_b64 v[36:37], v110 offset:26624
	s_waitcnt lgkmcnt(1)
	v_add_nc_u32_e32 v2, v2, v92
	s_delay_alu instid0(VALU_DEP_1) | instskip(NEXT) | instid1(VALU_DEP_1)
	v_lshlrev_b64 v[38:39], 3, v[2:3]
	v_add_co_u32 v38, vcc_lo, s54, v38
	s_delay_alu instid0(VALU_DEP_2)
	v_add_co_ci_u32_e32 v39, vcc_lo, s55, v39, vcc_lo
	s_waitcnt lgkmcnt(0)
	global_store_b64 v[38:39], v[36:37], off
	s_or_b32 exec_lo, exec_lo, s16
	s_and_saveexec_b32 s16, s30
	s_cbranch_execnz .LBB712_1171
.LBB712_1186:                           ;   in Loop: Header=BB712_982 Depth=2
	s_or_b32 exec_lo, exec_lo, s16
	s_and_saveexec_b32 s16, s31
	s_cbranch_execz .LBB712_1188
.LBB712_1187:                           ;   in Loop: Header=BB712_982 Depth=2
	v_lshlrev_b32_e32 v2, 2, v161
	ds_load_b32 v2, v2
	ds_load_b64 v[36:37], v110 offset:30720
	s_waitcnt lgkmcnt(1)
	v_add_nc_u32_e32 v2, v2, v95
	s_delay_alu instid0(VALU_DEP_1) | instskip(NEXT) | instid1(VALU_DEP_1)
	v_lshlrev_b64 v[38:39], 3, v[2:3]
	v_add_co_u32 v38, vcc_lo, s54, v38
	s_delay_alu instid0(VALU_DEP_2)
	v_add_co_ci_u32_e32 v39, vcc_lo, s55, v39, vcc_lo
	s_waitcnt lgkmcnt(0)
	global_store_b64 v[38:39], v[36:37], off
.LBB712_1188:                           ;   in Loop: Header=BB712_982 Depth=2
	s_or_b32 exec_lo, exec_lo, s16
	s_waitcnt_vscnt null, 0x0
	s_barrier
	buffer_gl0_inv
	s_and_saveexec_b32 s16, s2
	s_cbranch_execz .LBB712_981
; %bb.1189:                             ;   in Loop: Header=BB712_982 Depth=2
	ds_load_b32 v2, v76
	s_waitcnt lgkmcnt(0)
	v_add_nc_u32_e32 v2, v2, v68
	ds_store_b32 v76, v2
	s_branch .LBB712_981
.LBB712_1190:
	s_endpgm
	.section	.rodata,"a",@progbits
	.p2align	6, 0x0
	.amdhsa_kernel _ZN7rocprim17ROCPRIM_400000_NS6detail17trampoline_kernelINS0_14default_configENS1_36segmented_radix_sort_config_selectorIllEEZNS1_25segmented_radix_sort_implIS3_Lb1EPKlPlS8_S9_N2at6native12_GLOBAL__N_18offset_tEEE10hipError_tPvRmT1_PNSt15iterator_traitsISH_E10value_typeET2_T3_PNSI_ISN_E10value_typeET4_jRbjT5_ST_jjP12ihipStream_tbEUlT_E_NS1_11comp_targetILNS1_3genE9ELNS1_11target_archE1100ELNS1_3gpuE3ELNS1_3repE0EEENS1_30default_config_static_selectorELNS0_4arch9wavefront6targetE0EEEvSH_
		.amdhsa_group_segment_fixed_size 33824
		.amdhsa_private_segment_fixed_size 200
		.amdhsa_kernarg_size 352
		.amdhsa_user_sgpr_count 14
		.amdhsa_user_sgpr_dispatch_ptr 0
		.amdhsa_user_sgpr_queue_ptr 0
		.amdhsa_user_sgpr_kernarg_segment_ptr 1
		.amdhsa_user_sgpr_dispatch_id 0
		.amdhsa_user_sgpr_private_segment_size 0
		.amdhsa_wavefront_size32 1
		.amdhsa_uses_dynamic_stack 0
		.amdhsa_enable_private_segment 1
		.amdhsa_system_sgpr_workgroup_id_x 1
		.amdhsa_system_sgpr_workgroup_id_y 1
		.amdhsa_system_sgpr_workgroup_id_z 0
		.amdhsa_system_sgpr_workgroup_info 0
		.amdhsa_system_vgpr_workitem_id 2
		.amdhsa_next_free_vgpr 248
		.amdhsa_next_free_sgpr 63
		.amdhsa_reserve_vcc 1
		.amdhsa_float_round_mode_32 0
		.amdhsa_float_round_mode_16_64 0
		.amdhsa_float_denorm_mode_32 3
		.amdhsa_float_denorm_mode_16_64 3
		.amdhsa_dx10_clamp 1
		.amdhsa_ieee_mode 1
		.amdhsa_fp16_overflow 0
		.amdhsa_workgroup_processor_mode 1
		.amdhsa_memory_ordered 1
		.amdhsa_forward_progress 0
		.amdhsa_shared_vgpr_count 0
		.amdhsa_exception_fp_ieee_invalid_op 0
		.amdhsa_exception_fp_denorm_src 0
		.amdhsa_exception_fp_ieee_div_zero 0
		.amdhsa_exception_fp_ieee_overflow 0
		.amdhsa_exception_fp_ieee_underflow 0
		.amdhsa_exception_fp_ieee_inexact 0
		.amdhsa_exception_int_div_zero 0
	.end_amdhsa_kernel
	.section	.text._ZN7rocprim17ROCPRIM_400000_NS6detail17trampoline_kernelINS0_14default_configENS1_36segmented_radix_sort_config_selectorIllEEZNS1_25segmented_radix_sort_implIS3_Lb1EPKlPlS8_S9_N2at6native12_GLOBAL__N_18offset_tEEE10hipError_tPvRmT1_PNSt15iterator_traitsISH_E10value_typeET2_T3_PNSI_ISN_E10value_typeET4_jRbjT5_ST_jjP12ihipStream_tbEUlT_E_NS1_11comp_targetILNS1_3genE9ELNS1_11target_archE1100ELNS1_3gpuE3ELNS1_3repE0EEENS1_30default_config_static_selectorELNS0_4arch9wavefront6targetE0EEEvSH_,"axG",@progbits,_ZN7rocprim17ROCPRIM_400000_NS6detail17trampoline_kernelINS0_14default_configENS1_36segmented_radix_sort_config_selectorIllEEZNS1_25segmented_radix_sort_implIS3_Lb1EPKlPlS8_S9_N2at6native12_GLOBAL__N_18offset_tEEE10hipError_tPvRmT1_PNSt15iterator_traitsISH_E10value_typeET2_T3_PNSI_ISN_E10value_typeET4_jRbjT5_ST_jjP12ihipStream_tbEUlT_E_NS1_11comp_targetILNS1_3genE9ELNS1_11target_archE1100ELNS1_3gpuE3ELNS1_3repE0EEENS1_30default_config_static_selectorELNS0_4arch9wavefront6targetE0EEEvSH_,comdat
.Lfunc_end712:
	.size	_ZN7rocprim17ROCPRIM_400000_NS6detail17trampoline_kernelINS0_14default_configENS1_36segmented_radix_sort_config_selectorIllEEZNS1_25segmented_radix_sort_implIS3_Lb1EPKlPlS8_S9_N2at6native12_GLOBAL__N_18offset_tEEE10hipError_tPvRmT1_PNSt15iterator_traitsISH_E10value_typeET2_T3_PNSI_ISN_E10value_typeET4_jRbjT5_ST_jjP12ihipStream_tbEUlT_E_NS1_11comp_targetILNS1_3genE9ELNS1_11target_archE1100ELNS1_3gpuE3ELNS1_3repE0EEENS1_30default_config_static_selectorELNS0_4arch9wavefront6targetE0EEEvSH_, .Lfunc_end712-_ZN7rocprim17ROCPRIM_400000_NS6detail17trampoline_kernelINS0_14default_configENS1_36segmented_radix_sort_config_selectorIllEEZNS1_25segmented_radix_sort_implIS3_Lb1EPKlPlS8_S9_N2at6native12_GLOBAL__N_18offset_tEEE10hipError_tPvRmT1_PNSt15iterator_traitsISH_E10value_typeET2_T3_PNSI_ISN_E10value_typeET4_jRbjT5_ST_jjP12ihipStream_tbEUlT_E_NS1_11comp_targetILNS1_3genE9ELNS1_11target_archE1100ELNS1_3gpuE3ELNS1_3repE0EEENS1_30default_config_static_selectorELNS0_4arch9wavefront6targetE0EEEvSH_
                                        ; -- End function
	.section	.AMDGPU.csdata,"",@progbits
; Kernel info:
; codeLenInByte = 70976
; NumSgprs: 65
; NumVgprs: 248
; ScratchSize: 200
; MemoryBound: 0
; FloatMode: 240
; IeeeMode: 1
; LDSByteSize: 33824 bytes/workgroup (compile time only)
; SGPRBlocks: 8
; VGPRBlocks: 30
; NumSGPRsForWavesPerEU: 65
; NumVGPRsForWavesPerEU: 248
; Occupancy: 5
; WaveLimiterHint : 1
; COMPUTE_PGM_RSRC2:SCRATCH_EN: 1
; COMPUTE_PGM_RSRC2:USER_SGPR: 14
; COMPUTE_PGM_RSRC2:TRAP_HANDLER: 0
; COMPUTE_PGM_RSRC2:TGID_X_EN: 1
; COMPUTE_PGM_RSRC2:TGID_Y_EN: 1
; COMPUTE_PGM_RSRC2:TGID_Z_EN: 0
; COMPUTE_PGM_RSRC2:TIDIG_COMP_CNT: 2
	.section	.text._ZN7rocprim17ROCPRIM_400000_NS6detail17trampoline_kernelINS0_14default_configENS1_36segmented_radix_sort_config_selectorIllEEZNS1_25segmented_radix_sort_implIS3_Lb1EPKlPlS8_S9_N2at6native12_GLOBAL__N_18offset_tEEE10hipError_tPvRmT1_PNSt15iterator_traitsISH_E10value_typeET2_T3_PNSI_ISN_E10value_typeET4_jRbjT5_ST_jjP12ihipStream_tbEUlT_E_NS1_11comp_targetILNS1_3genE8ELNS1_11target_archE1030ELNS1_3gpuE2ELNS1_3repE0EEENS1_30default_config_static_selectorELNS0_4arch9wavefront6targetE0EEEvSH_,"axG",@progbits,_ZN7rocprim17ROCPRIM_400000_NS6detail17trampoline_kernelINS0_14default_configENS1_36segmented_radix_sort_config_selectorIllEEZNS1_25segmented_radix_sort_implIS3_Lb1EPKlPlS8_S9_N2at6native12_GLOBAL__N_18offset_tEEE10hipError_tPvRmT1_PNSt15iterator_traitsISH_E10value_typeET2_T3_PNSI_ISN_E10value_typeET4_jRbjT5_ST_jjP12ihipStream_tbEUlT_E_NS1_11comp_targetILNS1_3genE8ELNS1_11target_archE1030ELNS1_3gpuE2ELNS1_3repE0EEENS1_30default_config_static_selectorELNS0_4arch9wavefront6targetE0EEEvSH_,comdat
	.globl	_ZN7rocprim17ROCPRIM_400000_NS6detail17trampoline_kernelINS0_14default_configENS1_36segmented_radix_sort_config_selectorIllEEZNS1_25segmented_radix_sort_implIS3_Lb1EPKlPlS8_S9_N2at6native12_GLOBAL__N_18offset_tEEE10hipError_tPvRmT1_PNSt15iterator_traitsISH_E10value_typeET2_T3_PNSI_ISN_E10value_typeET4_jRbjT5_ST_jjP12ihipStream_tbEUlT_E_NS1_11comp_targetILNS1_3genE8ELNS1_11target_archE1030ELNS1_3gpuE2ELNS1_3repE0EEENS1_30default_config_static_selectorELNS0_4arch9wavefront6targetE0EEEvSH_ ; -- Begin function _ZN7rocprim17ROCPRIM_400000_NS6detail17trampoline_kernelINS0_14default_configENS1_36segmented_radix_sort_config_selectorIllEEZNS1_25segmented_radix_sort_implIS3_Lb1EPKlPlS8_S9_N2at6native12_GLOBAL__N_18offset_tEEE10hipError_tPvRmT1_PNSt15iterator_traitsISH_E10value_typeET2_T3_PNSI_ISN_E10value_typeET4_jRbjT5_ST_jjP12ihipStream_tbEUlT_E_NS1_11comp_targetILNS1_3genE8ELNS1_11target_archE1030ELNS1_3gpuE2ELNS1_3repE0EEENS1_30default_config_static_selectorELNS0_4arch9wavefront6targetE0EEEvSH_
	.p2align	8
	.type	_ZN7rocprim17ROCPRIM_400000_NS6detail17trampoline_kernelINS0_14default_configENS1_36segmented_radix_sort_config_selectorIllEEZNS1_25segmented_radix_sort_implIS3_Lb1EPKlPlS8_S9_N2at6native12_GLOBAL__N_18offset_tEEE10hipError_tPvRmT1_PNSt15iterator_traitsISH_E10value_typeET2_T3_PNSI_ISN_E10value_typeET4_jRbjT5_ST_jjP12ihipStream_tbEUlT_E_NS1_11comp_targetILNS1_3genE8ELNS1_11target_archE1030ELNS1_3gpuE2ELNS1_3repE0EEENS1_30default_config_static_selectorELNS0_4arch9wavefront6targetE0EEEvSH_,@function
_ZN7rocprim17ROCPRIM_400000_NS6detail17trampoline_kernelINS0_14default_configENS1_36segmented_radix_sort_config_selectorIllEEZNS1_25segmented_radix_sort_implIS3_Lb1EPKlPlS8_S9_N2at6native12_GLOBAL__N_18offset_tEEE10hipError_tPvRmT1_PNSt15iterator_traitsISH_E10value_typeET2_T3_PNSI_ISN_E10value_typeET4_jRbjT5_ST_jjP12ihipStream_tbEUlT_E_NS1_11comp_targetILNS1_3genE8ELNS1_11target_archE1030ELNS1_3gpuE2ELNS1_3repE0EEENS1_30default_config_static_selectorELNS0_4arch9wavefront6targetE0EEEvSH_: ; @_ZN7rocprim17ROCPRIM_400000_NS6detail17trampoline_kernelINS0_14default_configENS1_36segmented_radix_sort_config_selectorIllEEZNS1_25segmented_radix_sort_implIS3_Lb1EPKlPlS8_S9_N2at6native12_GLOBAL__N_18offset_tEEE10hipError_tPvRmT1_PNSt15iterator_traitsISH_E10value_typeET2_T3_PNSI_ISN_E10value_typeET4_jRbjT5_ST_jjP12ihipStream_tbEUlT_E_NS1_11comp_targetILNS1_3genE8ELNS1_11target_archE1030ELNS1_3gpuE2ELNS1_3repE0EEENS1_30default_config_static_selectorELNS0_4arch9wavefront6targetE0EEEvSH_
; %bb.0:
	.section	.rodata,"a",@progbits
	.p2align	6, 0x0
	.amdhsa_kernel _ZN7rocprim17ROCPRIM_400000_NS6detail17trampoline_kernelINS0_14default_configENS1_36segmented_radix_sort_config_selectorIllEEZNS1_25segmented_radix_sort_implIS3_Lb1EPKlPlS8_S9_N2at6native12_GLOBAL__N_18offset_tEEE10hipError_tPvRmT1_PNSt15iterator_traitsISH_E10value_typeET2_T3_PNSI_ISN_E10value_typeET4_jRbjT5_ST_jjP12ihipStream_tbEUlT_E_NS1_11comp_targetILNS1_3genE8ELNS1_11target_archE1030ELNS1_3gpuE2ELNS1_3repE0EEENS1_30default_config_static_selectorELNS0_4arch9wavefront6targetE0EEEvSH_
		.amdhsa_group_segment_fixed_size 0
		.amdhsa_private_segment_fixed_size 0
		.amdhsa_kernarg_size 96
		.amdhsa_user_sgpr_count 15
		.amdhsa_user_sgpr_dispatch_ptr 0
		.amdhsa_user_sgpr_queue_ptr 0
		.amdhsa_user_sgpr_kernarg_segment_ptr 1
		.amdhsa_user_sgpr_dispatch_id 0
		.amdhsa_user_sgpr_private_segment_size 0
		.amdhsa_wavefront_size32 1
		.amdhsa_uses_dynamic_stack 0
		.amdhsa_enable_private_segment 0
		.amdhsa_system_sgpr_workgroup_id_x 1
		.amdhsa_system_sgpr_workgroup_id_y 0
		.amdhsa_system_sgpr_workgroup_id_z 0
		.amdhsa_system_sgpr_workgroup_info 0
		.amdhsa_system_vgpr_workitem_id 0
		.amdhsa_next_free_vgpr 1
		.amdhsa_next_free_sgpr 1
		.amdhsa_reserve_vcc 0
		.amdhsa_float_round_mode_32 0
		.amdhsa_float_round_mode_16_64 0
		.amdhsa_float_denorm_mode_32 3
		.amdhsa_float_denorm_mode_16_64 3
		.amdhsa_dx10_clamp 1
		.amdhsa_ieee_mode 1
		.amdhsa_fp16_overflow 0
		.amdhsa_workgroup_processor_mode 1
		.amdhsa_memory_ordered 1
		.amdhsa_forward_progress 0
		.amdhsa_shared_vgpr_count 0
		.amdhsa_exception_fp_ieee_invalid_op 0
		.amdhsa_exception_fp_denorm_src 0
		.amdhsa_exception_fp_ieee_div_zero 0
		.amdhsa_exception_fp_ieee_overflow 0
		.amdhsa_exception_fp_ieee_underflow 0
		.amdhsa_exception_fp_ieee_inexact 0
		.amdhsa_exception_int_div_zero 0
	.end_amdhsa_kernel
	.section	.text._ZN7rocprim17ROCPRIM_400000_NS6detail17trampoline_kernelINS0_14default_configENS1_36segmented_radix_sort_config_selectorIllEEZNS1_25segmented_radix_sort_implIS3_Lb1EPKlPlS8_S9_N2at6native12_GLOBAL__N_18offset_tEEE10hipError_tPvRmT1_PNSt15iterator_traitsISH_E10value_typeET2_T3_PNSI_ISN_E10value_typeET4_jRbjT5_ST_jjP12ihipStream_tbEUlT_E_NS1_11comp_targetILNS1_3genE8ELNS1_11target_archE1030ELNS1_3gpuE2ELNS1_3repE0EEENS1_30default_config_static_selectorELNS0_4arch9wavefront6targetE0EEEvSH_,"axG",@progbits,_ZN7rocprim17ROCPRIM_400000_NS6detail17trampoline_kernelINS0_14default_configENS1_36segmented_radix_sort_config_selectorIllEEZNS1_25segmented_radix_sort_implIS3_Lb1EPKlPlS8_S9_N2at6native12_GLOBAL__N_18offset_tEEE10hipError_tPvRmT1_PNSt15iterator_traitsISH_E10value_typeET2_T3_PNSI_ISN_E10value_typeET4_jRbjT5_ST_jjP12ihipStream_tbEUlT_E_NS1_11comp_targetILNS1_3genE8ELNS1_11target_archE1030ELNS1_3gpuE2ELNS1_3repE0EEENS1_30default_config_static_selectorELNS0_4arch9wavefront6targetE0EEEvSH_,comdat
.Lfunc_end713:
	.size	_ZN7rocprim17ROCPRIM_400000_NS6detail17trampoline_kernelINS0_14default_configENS1_36segmented_radix_sort_config_selectorIllEEZNS1_25segmented_radix_sort_implIS3_Lb1EPKlPlS8_S9_N2at6native12_GLOBAL__N_18offset_tEEE10hipError_tPvRmT1_PNSt15iterator_traitsISH_E10value_typeET2_T3_PNSI_ISN_E10value_typeET4_jRbjT5_ST_jjP12ihipStream_tbEUlT_E_NS1_11comp_targetILNS1_3genE8ELNS1_11target_archE1030ELNS1_3gpuE2ELNS1_3repE0EEENS1_30default_config_static_selectorELNS0_4arch9wavefront6targetE0EEEvSH_, .Lfunc_end713-_ZN7rocprim17ROCPRIM_400000_NS6detail17trampoline_kernelINS0_14default_configENS1_36segmented_radix_sort_config_selectorIllEEZNS1_25segmented_radix_sort_implIS3_Lb1EPKlPlS8_S9_N2at6native12_GLOBAL__N_18offset_tEEE10hipError_tPvRmT1_PNSt15iterator_traitsISH_E10value_typeET2_T3_PNSI_ISN_E10value_typeET4_jRbjT5_ST_jjP12ihipStream_tbEUlT_E_NS1_11comp_targetILNS1_3genE8ELNS1_11target_archE1030ELNS1_3gpuE2ELNS1_3repE0EEENS1_30default_config_static_selectorELNS0_4arch9wavefront6targetE0EEEvSH_
                                        ; -- End function
	.section	.AMDGPU.csdata,"",@progbits
; Kernel info:
; codeLenInByte = 0
; NumSgprs: 0
; NumVgprs: 0
; ScratchSize: 0
; MemoryBound: 0
; FloatMode: 240
; IeeeMode: 1
; LDSByteSize: 0 bytes/workgroup (compile time only)
; SGPRBlocks: 0
; VGPRBlocks: 0
; NumSGPRsForWavesPerEU: 1
; NumVGPRsForWavesPerEU: 1
; Occupancy: 16
; WaveLimiterHint : 0
; COMPUTE_PGM_RSRC2:SCRATCH_EN: 0
; COMPUTE_PGM_RSRC2:USER_SGPR: 15
; COMPUTE_PGM_RSRC2:TRAP_HANDLER: 0
; COMPUTE_PGM_RSRC2:TGID_X_EN: 1
; COMPUTE_PGM_RSRC2:TGID_Y_EN: 0
; COMPUTE_PGM_RSRC2:TGID_Z_EN: 0
; COMPUTE_PGM_RSRC2:TIDIG_COMP_CNT: 0
	.section	.text._ZN7rocprim17ROCPRIM_400000_NS6detail17trampoline_kernelINS0_14default_configENS1_36segmented_radix_sort_config_selectorIllEEZNS1_25segmented_radix_sort_implIS3_Lb1EPKlPlS8_S9_N2at6native12_GLOBAL__N_18offset_tEEE10hipError_tPvRmT1_PNSt15iterator_traitsISH_E10value_typeET2_T3_PNSI_ISN_E10value_typeET4_jRbjT5_ST_jjP12ihipStream_tbEUlT_E0_NS1_11comp_targetILNS1_3genE0ELNS1_11target_archE4294967295ELNS1_3gpuE0ELNS1_3repE0EEENS1_60segmented_radix_sort_warp_sort_medium_config_static_selectorELNS0_4arch9wavefront6targetE0EEEvSH_,"axG",@progbits,_ZN7rocprim17ROCPRIM_400000_NS6detail17trampoline_kernelINS0_14default_configENS1_36segmented_radix_sort_config_selectorIllEEZNS1_25segmented_radix_sort_implIS3_Lb1EPKlPlS8_S9_N2at6native12_GLOBAL__N_18offset_tEEE10hipError_tPvRmT1_PNSt15iterator_traitsISH_E10value_typeET2_T3_PNSI_ISN_E10value_typeET4_jRbjT5_ST_jjP12ihipStream_tbEUlT_E0_NS1_11comp_targetILNS1_3genE0ELNS1_11target_archE4294967295ELNS1_3gpuE0ELNS1_3repE0EEENS1_60segmented_radix_sort_warp_sort_medium_config_static_selectorELNS0_4arch9wavefront6targetE0EEEvSH_,comdat
	.globl	_ZN7rocprim17ROCPRIM_400000_NS6detail17trampoline_kernelINS0_14default_configENS1_36segmented_radix_sort_config_selectorIllEEZNS1_25segmented_radix_sort_implIS3_Lb1EPKlPlS8_S9_N2at6native12_GLOBAL__N_18offset_tEEE10hipError_tPvRmT1_PNSt15iterator_traitsISH_E10value_typeET2_T3_PNSI_ISN_E10value_typeET4_jRbjT5_ST_jjP12ihipStream_tbEUlT_E0_NS1_11comp_targetILNS1_3genE0ELNS1_11target_archE4294967295ELNS1_3gpuE0ELNS1_3repE0EEENS1_60segmented_radix_sort_warp_sort_medium_config_static_selectorELNS0_4arch9wavefront6targetE0EEEvSH_ ; -- Begin function _ZN7rocprim17ROCPRIM_400000_NS6detail17trampoline_kernelINS0_14default_configENS1_36segmented_radix_sort_config_selectorIllEEZNS1_25segmented_radix_sort_implIS3_Lb1EPKlPlS8_S9_N2at6native12_GLOBAL__N_18offset_tEEE10hipError_tPvRmT1_PNSt15iterator_traitsISH_E10value_typeET2_T3_PNSI_ISN_E10value_typeET4_jRbjT5_ST_jjP12ihipStream_tbEUlT_E0_NS1_11comp_targetILNS1_3genE0ELNS1_11target_archE4294967295ELNS1_3gpuE0ELNS1_3repE0EEENS1_60segmented_radix_sort_warp_sort_medium_config_static_selectorELNS0_4arch9wavefront6targetE0EEEvSH_
	.p2align	8
	.type	_ZN7rocprim17ROCPRIM_400000_NS6detail17trampoline_kernelINS0_14default_configENS1_36segmented_radix_sort_config_selectorIllEEZNS1_25segmented_radix_sort_implIS3_Lb1EPKlPlS8_S9_N2at6native12_GLOBAL__N_18offset_tEEE10hipError_tPvRmT1_PNSt15iterator_traitsISH_E10value_typeET2_T3_PNSI_ISN_E10value_typeET4_jRbjT5_ST_jjP12ihipStream_tbEUlT_E0_NS1_11comp_targetILNS1_3genE0ELNS1_11target_archE4294967295ELNS1_3gpuE0ELNS1_3repE0EEENS1_60segmented_radix_sort_warp_sort_medium_config_static_selectorELNS0_4arch9wavefront6targetE0EEEvSH_,@function
_ZN7rocprim17ROCPRIM_400000_NS6detail17trampoline_kernelINS0_14default_configENS1_36segmented_radix_sort_config_selectorIllEEZNS1_25segmented_radix_sort_implIS3_Lb1EPKlPlS8_S9_N2at6native12_GLOBAL__N_18offset_tEEE10hipError_tPvRmT1_PNSt15iterator_traitsISH_E10value_typeET2_T3_PNSI_ISN_E10value_typeET4_jRbjT5_ST_jjP12ihipStream_tbEUlT_E0_NS1_11comp_targetILNS1_3genE0ELNS1_11target_archE4294967295ELNS1_3gpuE0ELNS1_3repE0EEENS1_60segmented_radix_sort_warp_sort_medium_config_static_selectorELNS0_4arch9wavefront6targetE0EEEvSH_: ; @_ZN7rocprim17ROCPRIM_400000_NS6detail17trampoline_kernelINS0_14default_configENS1_36segmented_radix_sort_config_selectorIllEEZNS1_25segmented_radix_sort_implIS3_Lb1EPKlPlS8_S9_N2at6native12_GLOBAL__N_18offset_tEEE10hipError_tPvRmT1_PNSt15iterator_traitsISH_E10value_typeET2_T3_PNSI_ISN_E10value_typeET4_jRbjT5_ST_jjP12ihipStream_tbEUlT_E0_NS1_11comp_targetILNS1_3genE0ELNS1_11target_archE4294967295ELNS1_3gpuE0ELNS1_3repE0EEENS1_60segmented_radix_sort_warp_sort_medium_config_static_selectorELNS0_4arch9wavefront6targetE0EEEvSH_
; %bb.0:
	.section	.rodata,"a",@progbits
	.p2align	6, 0x0
	.amdhsa_kernel _ZN7rocprim17ROCPRIM_400000_NS6detail17trampoline_kernelINS0_14default_configENS1_36segmented_radix_sort_config_selectorIllEEZNS1_25segmented_radix_sort_implIS3_Lb1EPKlPlS8_S9_N2at6native12_GLOBAL__N_18offset_tEEE10hipError_tPvRmT1_PNSt15iterator_traitsISH_E10value_typeET2_T3_PNSI_ISN_E10value_typeET4_jRbjT5_ST_jjP12ihipStream_tbEUlT_E0_NS1_11comp_targetILNS1_3genE0ELNS1_11target_archE4294967295ELNS1_3gpuE0ELNS1_3repE0EEENS1_60segmented_radix_sort_warp_sort_medium_config_static_selectorELNS0_4arch9wavefront6targetE0EEEvSH_
		.amdhsa_group_segment_fixed_size 0
		.amdhsa_private_segment_fixed_size 0
		.amdhsa_kernarg_size 88
		.amdhsa_user_sgpr_count 15
		.amdhsa_user_sgpr_dispatch_ptr 0
		.amdhsa_user_sgpr_queue_ptr 0
		.amdhsa_user_sgpr_kernarg_segment_ptr 1
		.amdhsa_user_sgpr_dispatch_id 0
		.amdhsa_user_sgpr_private_segment_size 0
		.amdhsa_wavefront_size32 1
		.amdhsa_uses_dynamic_stack 0
		.amdhsa_enable_private_segment 0
		.amdhsa_system_sgpr_workgroup_id_x 1
		.amdhsa_system_sgpr_workgroup_id_y 0
		.amdhsa_system_sgpr_workgroup_id_z 0
		.amdhsa_system_sgpr_workgroup_info 0
		.amdhsa_system_vgpr_workitem_id 0
		.amdhsa_next_free_vgpr 1
		.amdhsa_next_free_sgpr 1
		.amdhsa_reserve_vcc 0
		.amdhsa_float_round_mode_32 0
		.amdhsa_float_round_mode_16_64 0
		.amdhsa_float_denorm_mode_32 3
		.amdhsa_float_denorm_mode_16_64 3
		.amdhsa_dx10_clamp 1
		.amdhsa_ieee_mode 1
		.amdhsa_fp16_overflow 0
		.amdhsa_workgroup_processor_mode 1
		.amdhsa_memory_ordered 1
		.amdhsa_forward_progress 0
		.amdhsa_shared_vgpr_count 0
		.amdhsa_exception_fp_ieee_invalid_op 0
		.amdhsa_exception_fp_denorm_src 0
		.amdhsa_exception_fp_ieee_div_zero 0
		.amdhsa_exception_fp_ieee_overflow 0
		.amdhsa_exception_fp_ieee_underflow 0
		.amdhsa_exception_fp_ieee_inexact 0
		.amdhsa_exception_int_div_zero 0
	.end_amdhsa_kernel
	.section	.text._ZN7rocprim17ROCPRIM_400000_NS6detail17trampoline_kernelINS0_14default_configENS1_36segmented_radix_sort_config_selectorIllEEZNS1_25segmented_radix_sort_implIS3_Lb1EPKlPlS8_S9_N2at6native12_GLOBAL__N_18offset_tEEE10hipError_tPvRmT1_PNSt15iterator_traitsISH_E10value_typeET2_T3_PNSI_ISN_E10value_typeET4_jRbjT5_ST_jjP12ihipStream_tbEUlT_E0_NS1_11comp_targetILNS1_3genE0ELNS1_11target_archE4294967295ELNS1_3gpuE0ELNS1_3repE0EEENS1_60segmented_radix_sort_warp_sort_medium_config_static_selectorELNS0_4arch9wavefront6targetE0EEEvSH_,"axG",@progbits,_ZN7rocprim17ROCPRIM_400000_NS6detail17trampoline_kernelINS0_14default_configENS1_36segmented_radix_sort_config_selectorIllEEZNS1_25segmented_radix_sort_implIS3_Lb1EPKlPlS8_S9_N2at6native12_GLOBAL__N_18offset_tEEE10hipError_tPvRmT1_PNSt15iterator_traitsISH_E10value_typeET2_T3_PNSI_ISN_E10value_typeET4_jRbjT5_ST_jjP12ihipStream_tbEUlT_E0_NS1_11comp_targetILNS1_3genE0ELNS1_11target_archE4294967295ELNS1_3gpuE0ELNS1_3repE0EEENS1_60segmented_radix_sort_warp_sort_medium_config_static_selectorELNS0_4arch9wavefront6targetE0EEEvSH_,comdat
.Lfunc_end714:
	.size	_ZN7rocprim17ROCPRIM_400000_NS6detail17trampoline_kernelINS0_14default_configENS1_36segmented_radix_sort_config_selectorIllEEZNS1_25segmented_radix_sort_implIS3_Lb1EPKlPlS8_S9_N2at6native12_GLOBAL__N_18offset_tEEE10hipError_tPvRmT1_PNSt15iterator_traitsISH_E10value_typeET2_T3_PNSI_ISN_E10value_typeET4_jRbjT5_ST_jjP12ihipStream_tbEUlT_E0_NS1_11comp_targetILNS1_3genE0ELNS1_11target_archE4294967295ELNS1_3gpuE0ELNS1_3repE0EEENS1_60segmented_radix_sort_warp_sort_medium_config_static_selectorELNS0_4arch9wavefront6targetE0EEEvSH_, .Lfunc_end714-_ZN7rocprim17ROCPRIM_400000_NS6detail17trampoline_kernelINS0_14default_configENS1_36segmented_radix_sort_config_selectorIllEEZNS1_25segmented_radix_sort_implIS3_Lb1EPKlPlS8_S9_N2at6native12_GLOBAL__N_18offset_tEEE10hipError_tPvRmT1_PNSt15iterator_traitsISH_E10value_typeET2_T3_PNSI_ISN_E10value_typeET4_jRbjT5_ST_jjP12ihipStream_tbEUlT_E0_NS1_11comp_targetILNS1_3genE0ELNS1_11target_archE4294967295ELNS1_3gpuE0ELNS1_3repE0EEENS1_60segmented_radix_sort_warp_sort_medium_config_static_selectorELNS0_4arch9wavefront6targetE0EEEvSH_
                                        ; -- End function
	.section	.AMDGPU.csdata,"",@progbits
; Kernel info:
; codeLenInByte = 0
; NumSgprs: 0
; NumVgprs: 0
; ScratchSize: 0
; MemoryBound: 0
; FloatMode: 240
; IeeeMode: 1
; LDSByteSize: 0 bytes/workgroup (compile time only)
; SGPRBlocks: 0
; VGPRBlocks: 0
; NumSGPRsForWavesPerEU: 1
; NumVGPRsForWavesPerEU: 1
; Occupancy: 16
; WaveLimiterHint : 0
; COMPUTE_PGM_RSRC2:SCRATCH_EN: 0
; COMPUTE_PGM_RSRC2:USER_SGPR: 15
; COMPUTE_PGM_RSRC2:TRAP_HANDLER: 0
; COMPUTE_PGM_RSRC2:TGID_X_EN: 1
; COMPUTE_PGM_RSRC2:TGID_Y_EN: 0
; COMPUTE_PGM_RSRC2:TGID_Z_EN: 0
; COMPUTE_PGM_RSRC2:TIDIG_COMP_CNT: 0
	.section	.text._ZN7rocprim17ROCPRIM_400000_NS6detail17trampoline_kernelINS0_14default_configENS1_36segmented_radix_sort_config_selectorIllEEZNS1_25segmented_radix_sort_implIS3_Lb1EPKlPlS8_S9_N2at6native12_GLOBAL__N_18offset_tEEE10hipError_tPvRmT1_PNSt15iterator_traitsISH_E10value_typeET2_T3_PNSI_ISN_E10value_typeET4_jRbjT5_ST_jjP12ihipStream_tbEUlT_E0_NS1_11comp_targetILNS1_3genE5ELNS1_11target_archE942ELNS1_3gpuE9ELNS1_3repE0EEENS1_60segmented_radix_sort_warp_sort_medium_config_static_selectorELNS0_4arch9wavefront6targetE0EEEvSH_,"axG",@progbits,_ZN7rocprim17ROCPRIM_400000_NS6detail17trampoline_kernelINS0_14default_configENS1_36segmented_radix_sort_config_selectorIllEEZNS1_25segmented_radix_sort_implIS3_Lb1EPKlPlS8_S9_N2at6native12_GLOBAL__N_18offset_tEEE10hipError_tPvRmT1_PNSt15iterator_traitsISH_E10value_typeET2_T3_PNSI_ISN_E10value_typeET4_jRbjT5_ST_jjP12ihipStream_tbEUlT_E0_NS1_11comp_targetILNS1_3genE5ELNS1_11target_archE942ELNS1_3gpuE9ELNS1_3repE0EEENS1_60segmented_radix_sort_warp_sort_medium_config_static_selectorELNS0_4arch9wavefront6targetE0EEEvSH_,comdat
	.globl	_ZN7rocprim17ROCPRIM_400000_NS6detail17trampoline_kernelINS0_14default_configENS1_36segmented_radix_sort_config_selectorIllEEZNS1_25segmented_radix_sort_implIS3_Lb1EPKlPlS8_S9_N2at6native12_GLOBAL__N_18offset_tEEE10hipError_tPvRmT1_PNSt15iterator_traitsISH_E10value_typeET2_T3_PNSI_ISN_E10value_typeET4_jRbjT5_ST_jjP12ihipStream_tbEUlT_E0_NS1_11comp_targetILNS1_3genE5ELNS1_11target_archE942ELNS1_3gpuE9ELNS1_3repE0EEENS1_60segmented_radix_sort_warp_sort_medium_config_static_selectorELNS0_4arch9wavefront6targetE0EEEvSH_ ; -- Begin function _ZN7rocprim17ROCPRIM_400000_NS6detail17trampoline_kernelINS0_14default_configENS1_36segmented_radix_sort_config_selectorIllEEZNS1_25segmented_radix_sort_implIS3_Lb1EPKlPlS8_S9_N2at6native12_GLOBAL__N_18offset_tEEE10hipError_tPvRmT1_PNSt15iterator_traitsISH_E10value_typeET2_T3_PNSI_ISN_E10value_typeET4_jRbjT5_ST_jjP12ihipStream_tbEUlT_E0_NS1_11comp_targetILNS1_3genE5ELNS1_11target_archE942ELNS1_3gpuE9ELNS1_3repE0EEENS1_60segmented_radix_sort_warp_sort_medium_config_static_selectorELNS0_4arch9wavefront6targetE0EEEvSH_
	.p2align	8
	.type	_ZN7rocprim17ROCPRIM_400000_NS6detail17trampoline_kernelINS0_14default_configENS1_36segmented_radix_sort_config_selectorIllEEZNS1_25segmented_radix_sort_implIS3_Lb1EPKlPlS8_S9_N2at6native12_GLOBAL__N_18offset_tEEE10hipError_tPvRmT1_PNSt15iterator_traitsISH_E10value_typeET2_T3_PNSI_ISN_E10value_typeET4_jRbjT5_ST_jjP12ihipStream_tbEUlT_E0_NS1_11comp_targetILNS1_3genE5ELNS1_11target_archE942ELNS1_3gpuE9ELNS1_3repE0EEENS1_60segmented_radix_sort_warp_sort_medium_config_static_selectorELNS0_4arch9wavefront6targetE0EEEvSH_,@function
_ZN7rocprim17ROCPRIM_400000_NS6detail17trampoline_kernelINS0_14default_configENS1_36segmented_radix_sort_config_selectorIllEEZNS1_25segmented_radix_sort_implIS3_Lb1EPKlPlS8_S9_N2at6native12_GLOBAL__N_18offset_tEEE10hipError_tPvRmT1_PNSt15iterator_traitsISH_E10value_typeET2_T3_PNSI_ISN_E10value_typeET4_jRbjT5_ST_jjP12ihipStream_tbEUlT_E0_NS1_11comp_targetILNS1_3genE5ELNS1_11target_archE942ELNS1_3gpuE9ELNS1_3repE0EEENS1_60segmented_radix_sort_warp_sort_medium_config_static_selectorELNS0_4arch9wavefront6targetE0EEEvSH_: ; @_ZN7rocprim17ROCPRIM_400000_NS6detail17trampoline_kernelINS0_14default_configENS1_36segmented_radix_sort_config_selectorIllEEZNS1_25segmented_radix_sort_implIS3_Lb1EPKlPlS8_S9_N2at6native12_GLOBAL__N_18offset_tEEE10hipError_tPvRmT1_PNSt15iterator_traitsISH_E10value_typeET2_T3_PNSI_ISN_E10value_typeET4_jRbjT5_ST_jjP12ihipStream_tbEUlT_E0_NS1_11comp_targetILNS1_3genE5ELNS1_11target_archE942ELNS1_3gpuE9ELNS1_3repE0EEENS1_60segmented_radix_sort_warp_sort_medium_config_static_selectorELNS0_4arch9wavefront6targetE0EEEvSH_
; %bb.0:
	.section	.rodata,"a",@progbits
	.p2align	6, 0x0
	.amdhsa_kernel _ZN7rocprim17ROCPRIM_400000_NS6detail17trampoline_kernelINS0_14default_configENS1_36segmented_radix_sort_config_selectorIllEEZNS1_25segmented_radix_sort_implIS3_Lb1EPKlPlS8_S9_N2at6native12_GLOBAL__N_18offset_tEEE10hipError_tPvRmT1_PNSt15iterator_traitsISH_E10value_typeET2_T3_PNSI_ISN_E10value_typeET4_jRbjT5_ST_jjP12ihipStream_tbEUlT_E0_NS1_11comp_targetILNS1_3genE5ELNS1_11target_archE942ELNS1_3gpuE9ELNS1_3repE0EEENS1_60segmented_radix_sort_warp_sort_medium_config_static_selectorELNS0_4arch9wavefront6targetE0EEEvSH_
		.amdhsa_group_segment_fixed_size 0
		.amdhsa_private_segment_fixed_size 0
		.amdhsa_kernarg_size 88
		.amdhsa_user_sgpr_count 15
		.amdhsa_user_sgpr_dispatch_ptr 0
		.amdhsa_user_sgpr_queue_ptr 0
		.amdhsa_user_sgpr_kernarg_segment_ptr 1
		.amdhsa_user_sgpr_dispatch_id 0
		.amdhsa_user_sgpr_private_segment_size 0
		.amdhsa_wavefront_size32 1
		.amdhsa_uses_dynamic_stack 0
		.amdhsa_enable_private_segment 0
		.amdhsa_system_sgpr_workgroup_id_x 1
		.amdhsa_system_sgpr_workgroup_id_y 0
		.amdhsa_system_sgpr_workgroup_id_z 0
		.amdhsa_system_sgpr_workgroup_info 0
		.amdhsa_system_vgpr_workitem_id 0
		.amdhsa_next_free_vgpr 1
		.amdhsa_next_free_sgpr 1
		.amdhsa_reserve_vcc 0
		.amdhsa_float_round_mode_32 0
		.amdhsa_float_round_mode_16_64 0
		.amdhsa_float_denorm_mode_32 3
		.amdhsa_float_denorm_mode_16_64 3
		.amdhsa_dx10_clamp 1
		.amdhsa_ieee_mode 1
		.amdhsa_fp16_overflow 0
		.amdhsa_workgroup_processor_mode 1
		.amdhsa_memory_ordered 1
		.amdhsa_forward_progress 0
		.amdhsa_shared_vgpr_count 0
		.amdhsa_exception_fp_ieee_invalid_op 0
		.amdhsa_exception_fp_denorm_src 0
		.amdhsa_exception_fp_ieee_div_zero 0
		.amdhsa_exception_fp_ieee_overflow 0
		.amdhsa_exception_fp_ieee_underflow 0
		.amdhsa_exception_fp_ieee_inexact 0
		.amdhsa_exception_int_div_zero 0
	.end_amdhsa_kernel
	.section	.text._ZN7rocprim17ROCPRIM_400000_NS6detail17trampoline_kernelINS0_14default_configENS1_36segmented_radix_sort_config_selectorIllEEZNS1_25segmented_radix_sort_implIS3_Lb1EPKlPlS8_S9_N2at6native12_GLOBAL__N_18offset_tEEE10hipError_tPvRmT1_PNSt15iterator_traitsISH_E10value_typeET2_T3_PNSI_ISN_E10value_typeET4_jRbjT5_ST_jjP12ihipStream_tbEUlT_E0_NS1_11comp_targetILNS1_3genE5ELNS1_11target_archE942ELNS1_3gpuE9ELNS1_3repE0EEENS1_60segmented_radix_sort_warp_sort_medium_config_static_selectorELNS0_4arch9wavefront6targetE0EEEvSH_,"axG",@progbits,_ZN7rocprim17ROCPRIM_400000_NS6detail17trampoline_kernelINS0_14default_configENS1_36segmented_radix_sort_config_selectorIllEEZNS1_25segmented_radix_sort_implIS3_Lb1EPKlPlS8_S9_N2at6native12_GLOBAL__N_18offset_tEEE10hipError_tPvRmT1_PNSt15iterator_traitsISH_E10value_typeET2_T3_PNSI_ISN_E10value_typeET4_jRbjT5_ST_jjP12ihipStream_tbEUlT_E0_NS1_11comp_targetILNS1_3genE5ELNS1_11target_archE942ELNS1_3gpuE9ELNS1_3repE0EEENS1_60segmented_radix_sort_warp_sort_medium_config_static_selectorELNS0_4arch9wavefront6targetE0EEEvSH_,comdat
.Lfunc_end715:
	.size	_ZN7rocprim17ROCPRIM_400000_NS6detail17trampoline_kernelINS0_14default_configENS1_36segmented_radix_sort_config_selectorIllEEZNS1_25segmented_radix_sort_implIS3_Lb1EPKlPlS8_S9_N2at6native12_GLOBAL__N_18offset_tEEE10hipError_tPvRmT1_PNSt15iterator_traitsISH_E10value_typeET2_T3_PNSI_ISN_E10value_typeET4_jRbjT5_ST_jjP12ihipStream_tbEUlT_E0_NS1_11comp_targetILNS1_3genE5ELNS1_11target_archE942ELNS1_3gpuE9ELNS1_3repE0EEENS1_60segmented_radix_sort_warp_sort_medium_config_static_selectorELNS0_4arch9wavefront6targetE0EEEvSH_, .Lfunc_end715-_ZN7rocprim17ROCPRIM_400000_NS6detail17trampoline_kernelINS0_14default_configENS1_36segmented_radix_sort_config_selectorIllEEZNS1_25segmented_radix_sort_implIS3_Lb1EPKlPlS8_S9_N2at6native12_GLOBAL__N_18offset_tEEE10hipError_tPvRmT1_PNSt15iterator_traitsISH_E10value_typeET2_T3_PNSI_ISN_E10value_typeET4_jRbjT5_ST_jjP12ihipStream_tbEUlT_E0_NS1_11comp_targetILNS1_3genE5ELNS1_11target_archE942ELNS1_3gpuE9ELNS1_3repE0EEENS1_60segmented_radix_sort_warp_sort_medium_config_static_selectorELNS0_4arch9wavefront6targetE0EEEvSH_
                                        ; -- End function
	.section	.AMDGPU.csdata,"",@progbits
; Kernel info:
; codeLenInByte = 0
; NumSgprs: 0
; NumVgprs: 0
; ScratchSize: 0
; MemoryBound: 0
; FloatMode: 240
; IeeeMode: 1
; LDSByteSize: 0 bytes/workgroup (compile time only)
; SGPRBlocks: 0
; VGPRBlocks: 0
; NumSGPRsForWavesPerEU: 1
; NumVGPRsForWavesPerEU: 1
; Occupancy: 16
; WaveLimiterHint : 0
; COMPUTE_PGM_RSRC2:SCRATCH_EN: 0
; COMPUTE_PGM_RSRC2:USER_SGPR: 15
; COMPUTE_PGM_RSRC2:TRAP_HANDLER: 0
; COMPUTE_PGM_RSRC2:TGID_X_EN: 1
; COMPUTE_PGM_RSRC2:TGID_Y_EN: 0
; COMPUTE_PGM_RSRC2:TGID_Z_EN: 0
; COMPUTE_PGM_RSRC2:TIDIG_COMP_CNT: 0
	.section	.text._ZN7rocprim17ROCPRIM_400000_NS6detail17trampoline_kernelINS0_14default_configENS1_36segmented_radix_sort_config_selectorIllEEZNS1_25segmented_radix_sort_implIS3_Lb1EPKlPlS8_S9_N2at6native12_GLOBAL__N_18offset_tEEE10hipError_tPvRmT1_PNSt15iterator_traitsISH_E10value_typeET2_T3_PNSI_ISN_E10value_typeET4_jRbjT5_ST_jjP12ihipStream_tbEUlT_E0_NS1_11comp_targetILNS1_3genE4ELNS1_11target_archE910ELNS1_3gpuE8ELNS1_3repE0EEENS1_60segmented_radix_sort_warp_sort_medium_config_static_selectorELNS0_4arch9wavefront6targetE0EEEvSH_,"axG",@progbits,_ZN7rocprim17ROCPRIM_400000_NS6detail17trampoline_kernelINS0_14default_configENS1_36segmented_radix_sort_config_selectorIllEEZNS1_25segmented_radix_sort_implIS3_Lb1EPKlPlS8_S9_N2at6native12_GLOBAL__N_18offset_tEEE10hipError_tPvRmT1_PNSt15iterator_traitsISH_E10value_typeET2_T3_PNSI_ISN_E10value_typeET4_jRbjT5_ST_jjP12ihipStream_tbEUlT_E0_NS1_11comp_targetILNS1_3genE4ELNS1_11target_archE910ELNS1_3gpuE8ELNS1_3repE0EEENS1_60segmented_radix_sort_warp_sort_medium_config_static_selectorELNS0_4arch9wavefront6targetE0EEEvSH_,comdat
	.globl	_ZN7rocprim17ROCPRIM_400000_NS6detail17trampoline_kernelINS0_14default_configENS1_36segmented_radix_sort_config_selectorIllEEZNS1_25segmented_radix_sort_implIS3_Lb1EPKlPlS8_S9_N2at6native12_GLOBAL__N_18offset_tEEE10hipError_tPvRmT1_PNSt15iterator_traitsISH_E10value_typeET2_T3_PNSI_ISN_E10value_typeET4_jRbjT5_ST_jjP12ihipStream_tbEUlT_E0_NS1_11comp_targetILNS1_3genE4ELNS1_11target_archE910ELNS1_3gpuE8ELNS1_3repE0EEENS1_60segmented_radix_sort_warp_sort_medium_config_static_selectorELNS0_4arch9wavefront6targetE0EEEvSH_ ; -- Begin function _ZN7rocprim17ROCPRIM_400000_NS6detail17trampoline_kernelINS0_14default_configENS1_36segmented_radix_sort_config_selectorIllEEZNS1_25segmented_radix_sort_implIS3_Lb1EPKlPlS8_S9_N2at6native12_GLOBAL__N_18offset_tEEE10hipError_tPvRmT1_PNSt15iterator_traitsISH_E10value_typeET2_T3_PNSI_ISN_E10value_typeET4_jRbjT5_ST_jjP12ihipStream_tbEUlT_E0_NS1_11comp_targetILNS1_3genE4ELNS1_11target_archE910ELNS1_3gpuE8ELNS1_3repE0EEENS1_60segmented_radix_sort_warp_sort_medium_config_static_selectorELNS0_4arch9wavefront6targetE0EEEvSH_
	.p2align	8
	.type	_ZN7rocprim17ROCPRIM_400000_NS6detail17trampoline_kernelINS0_14default_configENS1_36segmented_radix_sort_config_selectorIllEEZNS1_25segmented_radix_sort_implIS3_Lb1EPKlPlS8_S9_N2at6native12_GLOBAL__N_18offset_tEEE10hipError_tPvRmT1_PNSt15iterator_traitsISH_E10value_typeET2_T3_PNSI_ISN_E10value_typeET4_jRbjT5_ST_jjP12ihipStream_tbEUlT_E0_NS1_11comp_targetILNS1_3genE4ELNS1_11target_archE910ELNS1_3gpuE8ELNS1_3repE0EEENS1_60segmented_radix_sort_warp_sort_medium_config_static_selectorELNS0_4arch9wavefront6targetE0EEEvSH_,@function
_ZN7rocprim17ROCPRIM_400000_NS6detail17trampoline_kernelINS0_14default_configENS1_36segmented_radix_sort_config_selectorIllEEZNS1_25segmented_radix_sort_implIS3_Lb1EPKlPlS8_S9_N2at6native12_GLOBAL__N_18offset_tEEE10hipError_tPvRmT1_PNSt15iterator_traitsISH_E10value_typeET2_T3_PNSI_ISN_E10value_typeET4_jRbjT5_ST_jjP12ihipStream_tbEUlT_E0_NS1_11comp_targetILNS1_3genE4ELNS1_11target_archE910ELNS1_3gpuE8ELNS1_3repE0EEENS1_60segmented_radix_sort_warp_sort_medium_config_static_selectorELNS0_4arch9wavefront6targetE0EEEvSH_: ; @_ZN7rocprim17ROCPRIM_400000_NS6detail17trampoline_kernelINS0_14default_configENS1_36segmented_radix_sort_config_selectorIllEEZNS1_25segmented_radix_sort_implIS3_Lb1EPKlPlS8_S9_N2at6native12_GLOBAL__N_18offset_tEEE10hipError_tPvRmT1_PNSt15iterator_traitsISH_E10value_typeET2_T3_PNSI_ISN_E10value_typeET4_jRbjT5_ST_jjP12ihipStream_tbEUlT_E0_NS1_11comp_targetILNS1_3genE4ELNS1_11target_archE910ELNS1_3gpuE8ELNS1_3repE0EEENS1_60segmented_radix_sort_warp_sort_medium_config_static_selectorELNS0_4arch9wavefront6targetE0EEEvSH_
; %bb.0:
	.section	.rodata,"a",@progbits
	.p2align	6, 0x0
	.amdhsa_kernel _ZN7rocprim17ROCPRIM_400000_NS6detail17trampoline_kernelINS0_14default_configENS1_36segmented_radix_sort_config_selectorIllEEZNS1_25segmented_radix_sort_implIS3_Lb1EPKlPlS8_S9_N2at6native12_GLOBAL__N_18offset_tEEE10hipError_tPvRmT1_PNSt15iterator_traitsISH_E10value_typeET2_T3_PNSI_ISN_E10value_typeET4_jRbjT5_ST_jjP12ihipStream_tbEUlT_E0_NS1_11comp_targetILNS1_3genE4ELNS1_11target_archE910ELNS1_3gpuE8ELNS1_3repE0EEENS1_60segmented_radix_sort_warp_sort_medium_config_static_selectorELNS0_4arch9wavefront6targetE0EEEvSH_
		.amdhsa_group_segment_fixed_size 0
		.amdhsa_private_segment_fixed_size 0
		.amdhsa_kernarg_size 88
		.amdhsa_user_sgpr_count 15
		.amdhsa_user_sgpr_dispatch_ptr 0
		.amdhsa_user_sgpr_queue_ptr 0
		.amdhsa_user_sgpr_kernarg_segment_ptr 1
		.amdhsa_user_sgpr_dispatch_id 0
		.amdhsa_user_sgpr_private_segment_size 0
		.amdhsa_wavefront_size32 1
		.amdhsa_uses_dynamic_stack 0
		.amdhsa_enable_private_segment 0
		.amdhsa_system_sgpr_workgroup_id_x 1
		.amdhsa_system_sgpr_workgroup_id_y 0
		.amdhsa_system_sgpr_workgroup_id_z 0
		.amdhsa_system_sgpr_workgroup_info 0
		.amdhsa_system_vgpr_workitem_id 0
		.amdhsa_next_free_vgpr 1
		.amdhsa_next_free_sgpr 1
		.amdhsa_reserve_vcc 0
		.amdhsa_float_round_mode_32 0
		.amdhsa_float_round_mode_16_64 0
		.amdhsa_float_denorm_mode_32 3
		.amdhsa_float_denorm_mode_16_64 3
		.amdhsa_dx10_clamp 1
		.amdhsa_ieee_mode 1
		.amdhsa_fp16_overflow 0
		.amdhsa_workgroup_processor_mode 1
		.amdhsa_memory_ordered 1
		.amdhsa_forward_progress 0
		.amdhsa_shared_vgpr_count 0
		.amdhsa_exception_fp_ieee_invalid_op 0
		.amdhsa_exception_fp_denorm_src 0
		.amdhsa_exception_fp_ieee_div_zero 0
		.amdhsa_exception_fp_ieee_overflow 0
		.amdhsa_exception_fp_ieee_underflow 0
		.amdhsa_exception_fp_ieee_inexact 0
		.amdhsa_exception_int_div_zero 0
	.end_amdhsa_kernel
	.section	.text._ZN7rocprim17ROCPRIM_400000_NS6detail17trampoline_kernelINS0_14default_configENS1_36segmented_radix_sort_config_selectorIllEEZNS1_25segmented_radix_sort_implIS3_Lb1EPKlPlS8_S9_N2at6native12_GLOBAL__N_18offset_tEEE10hipError_tPvRmT1_PNSt15iterator_traitsISH_E10value_typeET2_T3_PNSI_ISN_E10value_typeET4_jRbjT5_ST_jjP12ihipStream_tbEUlT_E0_NS1_11comp_targetILNS1_3genE4ELNS1_11target_archE910ELNS1_3gpuE8ELNS1_3repE0EEENS1_60segmented_radix_sort_warp_sort_medium_config_static_selectorELNS0_4arch9wavefront6targetE0EEEvSH_,"axG",@progbits,_ZN7rocprim17ROCPRIM_400000_NS6detail17trampoline_kernelINS0_14default_configENS1_36segmented_radix_sort_config_selectorIllEEZNS1_25segmented_radix_sort_implIS3_Lb1EPKlPlS8_S9_N2at6native12_GLOBAL__N_18offset_tEEE10hipError_tPvRmT1_PNSt15iterator_traitsISH_E10value_typeET2_T3_PNSI_ISN_E10value_typeET4_jRbjT5_ST_jjP12ihipStream_tbEUlT_E0_NS1_11comp_targetILNS1_3genE4ELNS1_11target_archE910ELNS1_3gpuE8ELNS1_3repE0EEENS1_60segmented_radix_sort_warp_sort_medium_config_static_selectorELNS0_4arch9wavefront6targetE0EEEvSH_,comdat
.Lfunc_end716:
	.size	_ZN7rocprim17ROCPRIM_400000_NS6detail17trampoline_kernelINS0_14default_configENS1_36segmented_radix_sort_config_selectorIllEEZNS1_25segmented_radix_sort_implIS3_Lb1EPKlPlS8_S9_N2at6native12_GLOBAL__N_18offset_tEEE10hipError_tPvRmT1_PNSt15iterator_traitsISH_E10value_typeET2_T3_PNSI_ISN_E10value_typeET4_jRbjT5_ST_jjP12ihipStream_tbEUlT_E0_NS1_11comp_targetILNS1_3genE4ELNS1_11target_archE910ELNS1_3gpuE8ELNS1_3repE0EEENS1_60segmented_radix_sort_warp_sort_medium_config_static_selectorELNS0_4arch9wavefront6targetE0EEEvSH_, .Lfunc_end716-_ZN7rocprim17ROCPRIM_400000_NS6detail17trampoline_kernelINS0_14default_configENS1_36segmented_radix_sort_config_selectorIllEEZNS1_25segmented_radix_sort_implIS3_Lb1EPKlPlS8_S9_N2at6native12_GLOBAL__N_18offset_tEEE10hipError_tPvRmT1_PNSt15iterator_traitsISH_E10value_typeET2_T3_PNSI_ISN_E10value_typeET4_jRbjT5_ST_jjP12ihipStream_tbEUlT_E0_NS1_11comp_targetILNS1_3genE4ELNS1_11target_archE910ELNS1_3gpuE8ELNS1_3repE0EEENS1_60segmented_radix_sort_warp_sort_medium_config_static_selectorELNS0_4arch9wavefront6targetE0EEEvSH_
                                        ; -- End function
	.section	.AMDGPU.csdata,"",@progbits
; Kernel info:
; codeLenInByte = 0
; NumSgprs: 0
; NumVgprs: 0
; ScratchSize: 0
; MemoryBound: 0
; FloatMode: 240
; IeeeMode: 1
; LDSByteSize: 0 bytes/workgroup (compile time only)
; SGPRBlocks: 0
; VGPRBlocks: 0
; NumSGPRsForWavesPerEU: 1
; NumVGPRsForWavesPerEU: 1
; Occupancy: 16
; WaveLimiterHint : 0
; COMPUTE_PGM_RSRC2:SCRATCH_EN: 0
; COMPUTE_PGM_RSRC2:USER_SGPR: 15
; COMPUTE_PGM_RSRC2:TRAP_HANDLER: 0
; COMPUTE_PGM_RSRC2:TGID_X_EN: 1
; COMPUTE_PGM_RSRC2:TGID_Y_EN: 0
; COMPUTE_PGM_RSRC2:TGID_Z_EN: 0
; COMPUTE_PGM_RSRC2:TIDIG_COMP_CNT: 0
	.section	.text._ZN7rocprim17ROCPRIM_400000_NS6detail17trampoline_kernelINS0_14default_configENS1_36segmented_radix_sort_config_selectorIllEEZNS1_25segmented_radix_sort_implIS3_Lb1EPKlPlS8_S9_N2at6native12_GLOBAL__N_18offset_tEEE10hipError_tPvRmT1_PNSt15iterator_traitsISH_E10value_typeET2_T3_PNSI_ISN_E10value_typeET4_jRbjT5_ST_jjP12ihipStream_tbEUlT_E0_NS1_11comp_targetILNS1_3genE3ELNS1_11target_archE908ELNS1_3gpuE7ELNS1_3repE0EEENS1_60segmented_radix_sort_warp_sort_medium_config_static_selectorELNS0_4arch9wavefront6targetE0EEEvSH_,"axG",@progbits,_ZN7rocprim17ROCPRIM_400000_NS6detail17trampoline_kernelINS0_14default_configENS1_36segmented_radix_sort_config_selectorIllEEZNS1_25segmented_radix_sort_implIS3_Lb1EPKlPlS8_S9_N2at6native12_GLOBAL__N_18offset_tEEE10hipError_tPvRmT1_PNSt15iterator_traitsISH_E10value_typeET2_T3_PNSI_ISN_E10value_typeET4_jRbjT5_ST_jjP12ihipStream_tbEUlT_E0_NS1_11comp_targetILNS1_3genE3ELNS1_11target_archE908ELNS1_3gpuE7ELNS1_3repE0EEENS1_60segmented_radix_sort_warp_sort_medium_config_static_selectorELNS0_4arch9wavefront6targetE0EEEvSH_,comdat
	.globl	_ZN7rocprim17ROCPRIM_400000_NS6detail17trampoline_kernelINS0_14default_configENS1_36segmented_radix_sort_config_selectorIllEEZNS1_25segmented_radix_sort_implIS3_Lb1EPKlPlS8_S9_N2at6native12_GLOBAL__N_18offset_tEEE10hipError_tPvRmT1_PNSt15iterator_traitsISH_E10value_typeET2_T3_PNSI_ISN_E10value_typeET4_jRbjT5_ST_jjP12ihipStream_tbEUlT_E0_NS1_11comp_targetILNS1_3genE3ELNS1_11target_archE908ELNS1_3gpuE7ELNS1_3repE0EEENS1_60segmented_radix_sort_warp_sort_medium_config_static_selectorELNS0_4arch9wavefront6targetE0EEEvSH_ ; -- Begin function _ZN7rocprim17ROCPRIM_400000_NS6detail17trampoline_kernelINS0_14default_configENS1_36segmented_radix_sort_config_selectorIllEEZNS1_25segmented_radix_sort_implIS3_Lb1EPKlPlS8_S9_N2at6native12_GLOBAL__N_18offset_tEEE10hipError_tPvRmT1_PNSt15iterator_traitsISH_E10value_typeET2_T3_PNSI_ISN_E10value_typeET4_jRbjT5_ST_jjP12ihipStream_tbEUlT_E0_NS1_11comp_targetILNS1_3genE3ELNS1_11target_archE908ELNS1_3gpuE7ELNS1_3repE0EEENS1_60segmented_radix_sort_warp_sort_medium_config_static_selectorELNS0_4arch9wavefront6targetE0EEEvSH_
	.p2align	8
	.type	_ZN7rocprim17ROCPRIM_400000_NS6detail17trampoline_kernelINS0_14default_configENS1_36segmented_radix_sort_config_selectorIllEEZNS1_25segmented_radix_sort_implIS3_Lb1EPKlPlS8_S9_N2at6native12_GLOBAL__N_18offset_tEEE10hipError_tPvRmT1_PNSt15iterator_traitsISH_E10value_typeET2_T3_PNSI_ISN_E10value_typeET4_jRbjT5_ST_jjP12ihipStream_tbEUlT_E0_NS1_11comp_targetILNS1_3genE3ELNS1_11target_archE908ELNS1_3gpuE7ELNS1_3repE0EEENS1_60segmented_radix_sort_warp_sort_medium_config_static_selectorELNS0_4arch9wavefront6targetE0EEEvSH_,@function
_ZN7rocprim17ROCPRIM_400000_NS6detail17trampoline_kernelINS0_14default_configENS1_36segmented_radix_sort_config_selectorIllEEZNS1_25segmented_radix_sort_implIS3_Lb1EPKlPlS8_S9_N2at6native12_GLOBAL__N_18offset_tEEE10hipError_tPvRmT1_PNSt15iterator_traitsISH_E10value_typeET2_T3_PNSI_ISN_E10value_typeET4_jRbjT5_ST_jjP12ihipStream_tbEUlT_E0_NS1_11comp_targetILNS1_3genE3ELNS1_11target_archE908ELNS1_3gpuE7ELNS1_3repE0EEENS1_60segmented_radix_sort_warp_sort_medium_config_static_selectorELNS0_4arch9wavefront6targetE0EEEvSH_: ; @_ZN7rocprim17ROCPRIM_400000_NS6detail17trampoline_kernelINS0_14default_configENS1_36segmented_radix_sort_config_selectorIllEEZNS1_25segmented_radix_sort_implIS3_Lb1EPKlPlS8_S9_N2at6native12_GLOBAL__N_18offset_tEEE10hipError_tPvRmT1_PNSt15iterator_traitsISH_E10value_typeET2_T3_PNSI_ISN_E10value_typeET4_jRbjT5_ST_jjP12ihipStream_tbEUlT_E0_NS1_11comp_targetILNS1_3genE3ELNS1_11target_archE908ELNS1_3gpuE7ELNS1_3repE0EEENS1_60segmented_radix_sort_warp_sort_medium_config_static_selectorELNS0_4arch9wavefront6targetE0EEEvSH_
; %bb.0:
	.section	.rodata,"a",@progbits
	.p2align	6, 0x0
	.amdhsa_kernel _ZN7rocprim17ROCPRIM_400000_NS6detail17trampoline_kernelINS0_14default_configENS1_36segmented_radix_sort_config_selectorIllEEZNS1_25segmented_radix_sort_implIS3_Lb1EPKlPlS8_S9_N2at6native12_GLOBAL__N_18offset_tEEE10hipError_tPvRmT1_PNSt15iterator_traitsISH_E10value_typeET2_T3_PNSI_ISN_E10value_typeET4_jRbjT5_ST_jjP12ihipStream_tbEUlT_E0_NS1_11comp_targetILNS1_3genE3ELNS1_11target_archE908ELNS1_3gpuE7ELNS1_3repE0EEENS1_60segmented_radix_sort_warp_sort_medium_config_static_selectorELNS0_4arch9wavefront6targetE0EEEvSH_
		.amdhsa_group_segment_fixed_size 0
		.amdhsa_private_segment_fixed_size 0
		.amdhsa_kernarg_size 88
		.amdhsa_user_sgpr_count 15
		.amdhsa_user_sgpr_dispatch_ptr 0
		.amdhsa_user_sgpr_queue_ptr 0
		.amdhsa_user_sgpr_kernarg_segment_ptr 1
		.amdhsa_user_sgpr_dispatch_id 0
		.amdhsa_user_sgpr_private_segment_size 0
		.amdhsa_wavefront_size32 1
		.amdhsa_uses_dynamic_stack 0
		.amdhsa_enable_private_segment 0
		.amdhsa_system_sgpr_workgroup_id_x 1
		.amdhsa_system_sgpr_workgroup_id_y 0
		.amdhsa_system_sgpr_workgroup_id_z 0
		.amdhsa_system_sgpr_workgroup_info 0
		.amdhsa_system_vgpr_workitem_id 0
		.amdhsa_next_free_vgpr 1
		.amdhsa_next_free_sgpr 1
		.amdhsa_reserve_vcc 0
		.amdhsa_float_round_mode_32 0
		.amdhsa_float_round_mode_16_64 0
		.amdhsa_float_denorm_mode_32 3
		.amdhsa_float_denorm_mode_16_64 3
		.amdhsa_dx10_clamp 1
		.amdhsa_ieee_mode 1
		.amdhsa_fp16_overflow 0
		.amdhsa_workgroup_processor_mode 1
		.amdhsa_memory_ordered 1
		.amdhsa_forward_progress 0
		.amdhsa_shared_vgpr_count 0
		.amdhsa_exception_fp_ieee_invalid_op 0
		.amdhsa_exception_fp_denorm_src 0
		.amdhsa_exception_fp_ieee_div_zero 0
		.amdhsa_exception_fp_ieee_overflow 0
		.amdhsa_exception_fp_ieee_underflow 0
		.amdhsa_exception_fp_ieee_inexact 0
		.amdhsa_exception_int_div_zero 0
	.end_amdhsa_kernel
	.section	.text._ZN7rocprim17ROCPRIM_400000_NS6detail17trampoline_kernelINS0_14default_configENS1_36segmented_radix_sort_config_selectorIllEEZNS1_25segmented_radix_sort_implIS3_Lb1EPKlPlS8_S9_N2at6native12_GLOBAL__N_18offset_tEEE10hipError_tPvRmT1_PNSt15iterator_traitsISH_E10value_typeET2_T3_PNSI_ISN_E10value_typeET4_jRbjT5_ST_jjP12ihipStream_tbEUlT_E0_NS1_11comp_targetILNS1_3genE3ELNS1_11target_archE908ELNS1_3gpuE7ELNS1_3repE0EEENS1_60segmented_radix_sort_warp_sort_medium_config_static_selectorELNS0_4arch9wavefront6targetE0EEEvSH_,"axG",@progbits,_ZN7rocprim17ROCPRIM_400000_NS6detail17trampoline_kernelINS0_14default_configENS1_36segmented_radix_sort_config_selectorIllEEZNS1_25segmented_radix_sort_implIS3_Lb1EPKlPlS8_S9_N2at6native12_GLOBAL__N_18offset_tEEE10hipError_tPvRmT1_PNSt15iterator_traitsISH_E10value_typeET2_T3_PNSI_ISN_E10value_typeET4_jRbjT5_ST_jjP12ihipStream_tbEUlT_E0_NS1_11comp_targetILNS1_3genE3ELNS1_11target_archE908ELNS1_3gpuE7ELNS1_3repE0EEENS1_60segmented_radix_sort_warp_sort_medium_config_static_selectorELNS0_4arch9wavefront6targetE0EEEvSH_,comdat
.Lfunc_end717:
	.size	_ZN7rocprim17ROCPRIM_400000_NS6detail17trampoline_kernelINS0_14default_configENS1_36segmented_radix_sort_config_selectorIllEEZNS1_25segmented_radix_sort_implIS3_Lb1EPKlPlS8_S9_N2at6native12_GLOBAL__N_18offset_tEEE10hipError_tPvRmT1_PNSt15iterator_traitsISH_E10value_typeET2_T3_PNSI_ISN_E10value_typeET4_jRbjT5_ST_jjP12ihipStream_tbEUlT_E0_NS1_11comp_targetILNS1_3genE3ELNS1_11target_archE908ELNS1_3gpuE7ELNS1_3repE0EEENS1_60segmented_radix_sort_warp_sort_medium_config_static_selectorELNS0_4arch9wavefront6targetE0EEEvSH_, .Lfunc_end717-_ZN7rocprim17ROCPRIM_400000_NS6detail17trampoline_kernelINS0_14default_configENS1_36segmented_radix_sort_config_selectorIllEEZNS1_25segmented_radix_sort_implIS3_Lb1EPKlPlS8_S9_N2at6native12_GLOBAL__N_18offset_tEEE10hipError_tPvRmT1_PNSt15iterator_traitsISH_E10value_typeET2_T3_PNSI_ISN_E10value_typeET4_jRbjT5_ST_jjP12ihipStream_tbEUlT_E0_NS1_11comp_targetILNS1_3genE3ELNS1_11target_archE908ELNS1_3gpuE7ELNS1_3repE0EEENS1_60segmented_radix_sort_warp_sort_medium_config_static_selectorELNS0_4arch9wavefront6targetE0EEEvSH_
                                        ; -- End function
	.section	.AMDGPU.csdata,"",@progbits
; Kernel info:
; codeLenInByte = 0
; NumSgprs: 0
; NumVgprs: 0
; ScratchSize: 0
; MemoryBound: 0
; FloatMode: 240
; IeeeMode: 1
; LDSByteSize: 0 bytes/workgroup (compile time only)
; SGPRBlocks: 0
; VGPRBlocks: 0
; NumSGPRsForWavesPerEU: 1
; NumVGPRsForWavesPerEU: 1
; Occupancy: 16
; WaveLimiterHint : 0
; COMPUTE_PGM_RSRC2:SCRATCH_EN: 0
; COMPUTE_PGM_RSRC2:USER_SGPR: 15
; COMPUTE_PGM_RSRC2:TRAP_HANDLER: 0
; COMPUTE_PGM_RSRC2:TGID_X_EN: 1
; COMPUTE_PGM_RSRC2:TGID_Y_EN: 0
; COMPUTE_PGM_RSRC2:TGID_Z_EN: 0
; COMPUTE_PGM_RSRC2:TIDIG_COMP_CNT: 0
	.section	.text._ZN7rocprim17ROCPRIM_400000_NS6detail17trampoline_kernelINS0_14default_configENS1_36segmented_radix_sort_config_selectorIllEEZNS1_25segmented_radix_sort_implIS3_Lb1EPKlPlS8_S9_N2at6native12_GLOBAL__N_18offset_tEEE10hipError_tPvRmT1_PNSt15iterator_traitsISH_E10value_typeET2_T3_PNSI_ISN_E10value_typeET4_jRbjT5_ST_jjP12ihipStream_tbEUlT_E0_NS1_11comp_targetILNS1_3genE2ELNS1_11target_archE906ELNS1_3gpuE6ELNS1_3repE0EEENS1_60segmented_radix_sort_warp_sort_medium_config_static_selectorELNS0_4arch9wavefront6targetE0EEEvSH_,"axG",@progbits,_ZN7rocprim17ROCPRIM_400000_NS6detail17trampoline_kernelINS0_14default_configENS1_36segmented_radix_sort_config_selectorIllEEZNS1_25segmented_radix_sort_implIS3_Lb1EPKlPlS8_S9_N2at6native12_GLOBAL__N_18offset_tEEE10hipError_tPvRmT1_PNSt15iterator_traitsISH_E10value_typeET2_T3_PNSI_ISN_E10value_typeET4_jRbjT5_ST_jjP12ihipStream_tbEUlT_E0_NS1_11comp_targetILNS1_3genE2ELNS1_11target_archE906ELNS1_3gpuE6ELNS1_3repE0EEENS1_60segmented_radix_sort_warp_sort_medium_config_static_selectorELNS0_4arch9wavefront6targetE0EEEvSH_,comdat
	.globl	_ZN7rocprim17ROCPRIM_400000_NS6detail17trampoline_kernelINS0_14default_configENS1_36segmented_radix_sort_config_selectorIllEEZNS1_25segmented_radix_sort_implIS3_Lb1EPKlPlS8_S9_N2at6native12_GLOBAL__N_18offset_tEEE10hipError_tPvRmT1_PNSt15iterator_traitsISH_E10value_typeET2_T3_PNSI_ISN_E10value_typeET4_jRbjT5_ST_jjP12ihipStream_tbEUlT_E0_NS1_11comp_targetILNS1_3genE2ELNS1_11target_archE906ELNS1_3gpuE6ELNS1_3repE0EEENS1_60segmented_radix_sort_warp_sort_medium_config_static_selectorELNS0_4arch9wavefront6targetE0EEEvSH_ ; -- Begin function _ZN7rocprim17ROCPRIM_400000_NS6detail17trampoline_kernelINS0_14default_configENS1_36segmented_radix_sort_config_selectorIllEEZNS1_25segmented_radix_sort_implIS3_Lb1EPKlPlS8_S9_N2at6native12_GLOBAL__N_18offset_tEEE10hipError_tPvRmT1_PNSt15iterator_traitsISH_E10value_typeET2_T3_PNSI_ISN_E10value_typeET4_jRbjT5_ST_jjP12ihipStream_tbEUlT_E0_NS1_11comp_targetILNS1_3genE2ELNS1_11target_archE906ELNS1_3gpuE6ELNS1_3repE0EEENS1_60segmented_radix_sort_warp_sort_medium_config_static_selectorELNS0_4arch9wavefront6targetE0EEEvSH_
	.p2align	8
	.type	_ZN7rocprim17ROCPRIM_400000_NS6detail17trampoline_kernelINS0_14default_configENS1_36segmented_radix_sort_config_selectorIllEEZNS1_25segmented_radix_sort_implIS3_Lb1EPKlPlS8_S9_N2at6native12_GLOBAL__N_18offset_tEEE10hipError_tPvRmT1_PNSt15iterator_traitsISH_E10value_typeET2_T3_PNSI_ISN_E10value_typeET4_jRbjT5_ST_jjP12ihipStream_tbEUlT_E0_NS1_11comp_targetILNS1_3genE2ELNS1_11target_archE906ELNS1_3gpuE6ELNS1_3repE0EEENS1_60segmented_radix_sort_warp_sort_medium_config_static_selectorELNS0_4arch9wavefront6targetE0EEEvSH_,@function
_ZN7rocprim17ROCPRIM_400000_NS6detail17trampoline_kernelINS0_14default_configENS1_36segmented_radix_sort_config_selectorIllEEZNS1_25segmented_radix_sort_implIS3_Lb1EPKlPlS8_S9_N2at6native12_GLOBAL__N_18offset_tEEE10hipError_tPvRmT1_PNSt15iterator_traitsISH_E10value_typeET2_T3_PNSI_ISN_E10value_typeET4_jRbjT5_ST_jjP12ihipStream_tbEUlT_E0_NS1_11comp_targetILNS1_3genE2ELNS1_11target_archE906ELNS1_3gpuE6ELNS1_3repE0EEENS1_60segmented_radix_sort_warp_sort_medium_config_static_selectorELNS0_4arch9wavefront6targetE0EEEvSH_: ; @_ZN7rocprim17ROCPRIM_400000_NS6detail17trampoline_kernelINS0_14default_configENS1_36segmented_radix_sort_config_selectorIllEEZNS1_25segmented_radix_sort_implIS3_Lb1EPKlPlS8_S9_N2at6native12_GLOBAL__N_18offset_tEEE10hipError_tPvRmT1_PNSt15iterator_traitsISH_E10value_typeET2_T3_PNSI_ISN_E10value_typeET4_jRbjT5_ST_jjP12ihipStream_tbEUlT_E0_NS1_11comp_targetILNS1_3genE2ELNS1_11target_archE906ELNS1_3gpuE6ELNS1_3repE0EEENS1_60segmented_radix_sort_warp_sort_medium_config_static_selectorELNS0_4arch9wavefront6targetE0EEEvSH_
; %bb.0:
	.section	.rodata,"a",@progbits
	.p2align	6, 0x0
	.amdhsa_kernel _ZN7rocprim17ROCPRIM_400000_NS6detail17trampoline_kernelINS0_14default_configENS1_36segmented_radix_sort_config_selectorIllEEZNS1_25segmented_radix_sort_implIS3_Lb1EPKlPlS8_S9_N2at6native12_GLOBAL__N_18offset_tEEE10hipError_tPvRmT1_PNSt15iterator_traitsISH_E10value_typeET2_T3_PNSI_ISN_E10value_typeET4_jRbjT5_ST_jjP12ihipStream_tbEUlT_E0_NS1_11comp_targetILNS1_3genE2ELNS1_11target_archE906ELNS1_3gpuE6ELNS1_3repE0EEENS1_60segmented_radix_sort_warp_sort_medium_config_static_selectorELNS0_4arch9wavefront6targetE0EEEvSH_
		.amdhsa_group_segment_fixed_size 0
		.amdhsa_private_segment_fixed_size 0
		.amdhsa_kernarg_size 88
		.amdhsa_user_sgpr_count 15
		.amdhsa_user_sgpr_dispatch_ptr 0
		.amdhsa_user_sgpr_queue_ptr 0
		.amdhsa_user_sgpr_kernarg_segment_ptr 1
		.amdhsa_user_sgpr_dispatch_id 0
		.amdhsa_user_sgpr_private_segment_size 0
		.amdhsa_wavefront_size32 1
		.amdhsa_uses_dynamic_stack 0
		.amdhsa_enable_private_segment 0
		.amdhsa_system_sgpr_workgroup_id_x 1
		.amdhsa_system_sgpr_workgroup_id_y 0
		.amdhsa_system_sgpr_workgroup_id_z 0
		.amdhsa_system_sgpr_workgroup_info 0
		.amdhsa_system_vgpr_workitem_id 0
		.amdhsa_next_free_vgpr 1
		.amdhsa_next_free_sgpr 1
		.amdhsa_reserve_vcc 0
		.amdhsa_float_round_mode_32 0
		.amdhsa_float_round_mode_16_64 0
		.amdhsa_float_denorm_mode_32 3
		.amdhsa_float_denorm_mode_16_64 3
		.amdhsa_dx10_clamp 1
		.amdhsa_ieee_mode 1
		.amdhsa_fp16_overflow 0
		.amdhsa_workgroup_processor_mode 1
		.amdhsa_memory_ordered 1
		.amdhsa_forward_progress 0
		.amdhsa_shared_vgpr_count 0
		.amdhsa_exception_fp_ieee_invalid_op 0
		.amdhsa_exception_fp_denorm_src 0
		.amdhsa_exception_fp_ieee_div_zero 0
		.amdhsa_exception_fp_ieee_overflow 0
		.amdhsa_exception_fp_ieee_underflow 0
		.amdhsa_exception_fp_ieee_inexact 0
		.amdhsa_exception_int_div_zero 0
	.end_amdhsa_kernel
	.section	.text._ZN7rocprim17ROCPRIM_400000_NS6detail17trampoline_kernelINS0_14default_configENS1_36segmented_radix_sort_config_selectorIllEEZNS1_25segmented_radix_sort_implIS3_Lb1EPKlPlS8_S9_N2at6native12_GLOBAL__N_18offset_tEEE10hipError_tPvRmT1_PNSt15iterator_traitsISH_E10value_typeET2_T3_PNSI_ISN_E10value_typeET4_jRbjT5_ST_jjP12ihipStream_tbEUlT_E0_NS1_11comp_targetILNS1_3genE2ELNS1_11target_archE906ELNS1_3gpuE6ELNS1_3repE0EEENS1_60segmented_radix_sort_warp_sort_medium_config_static_selectorELNS0_4arch9wavefront6targetE0EEEvSH_,"axG",@progbits,_ZN7rocprim17ROCPRIM_400000_NS6detail17trampoline_kernelINS0_14default_configENS1_36segmented_radix_sort_config_selectorIllEEZNS1_25segmented_radix_sort_implIS3_Lb1EPKlPlS8_S9_N2at6native12_GLOBAL__N_18offset_tEEE10hipError_tPvRmT1_PNSt15iterator_traitsISH_E10value_typeET2_T3_PNSI_ISN_E10value_typeET4_jRbjT5_ST_jjP12ihipStream_tbEUlT_E0_NS1_11comp_targetILNS1_3genE2ELNS1_11target_archE906ELNS1_3gpuE6ELNS1_3repE0EEENS1_60segmented_radix_sort_warp_sort_medium_config_static_selectorELNS0_4arch9wavefront6targetE0EEEvSH_,comdat
.Lfunc_end718:
	.size	_ZN7rocprim17ROCPRIM_400000_NS6detail17trampoline_kernelINS0_14default_configENS1_36segmented_radix_sort_config_selectorIllEEZNS1_25segmented_radix_sort_implIS3_Lb1EPKlPlS8_S9_N2at6native12_GLOBAL__N_18offset_tEEE10hipError_tPvRmT1_PNSt15iterator_traitsISH_E10value_typeET2_T3_PNSI_ISN_E10value_typeET4_jRbjT5_ST_jjP12ihipStream_tbEUlT_E0_NS1_11comp_targetILNS1_3genE2ELNS1_11target_archE906ELNS1_3gpuE6ELNS1_3repE0EEENS1_60segmented_radix_sort_warp_sort_medium_config_static_selectorELNS0_4arch9wavefront6targetE0EEEvSH_, .Lfunc_end718-_ZN7rocprim17ROCPRIM_400000_NS6detail17trampoline_kernelINS0_14default_configENS1_36segmented_radix_sort_config_selectorIllEEZNS1_25segmented_radix_sort_implIS3_Lb1EPKlPlS8_S9_N2at6native12_GLOBAL__N_18offset_tEEE10hipError_tPvRmT1_PNSt15iterator_traitsISH_E10value_typeET2_T3_PNSI_ISN_E10value_typeET4_jRbjT5_ST_jjP12ihipStream_tbEUlT_E0_NS1_11comp_targetILNS1_3genE2ELNS1_11target_archE906ELNS1_3gpuE6ELNS1_3repE0EEENS1_60segmented_radix_sort_warp_sort_medium_config_static_selectorELNS0_4arch9wavefront6targetE0EEEvSH_
                                        ; -- End function
	.section	.AMDGPU.csdata,"",@progbits
; Kernel info:
; codeLenInByte = 0
; NumSgprs: 0
; NumVgprs: 0
; ScratchSize: 0
; MemoryBound: 0
; FloatMode: 240
; IeeeMode: 1
; LDSByteSize: 0 bytes/workgroup (compile time only)
; SGPRBlocks: 0
; VGPRBlocks: 0
; NumSGPRsForWavesPerEU: 1
; NumVGPRsForWavesPerEU: 1
; Occupancy: 16
; WaveLimiterHint : 0
; COMPUTE_PGM_RSRC2:SCRATCH_EN: 0
; COMPUTE_PGM_RSRC2:USER_SGPR: 15
; COMPUTE_PGM_RSRC2:TRAP_HANDLER: 0
; COMPUTE_PGM_RSRC2:TGID_X_EN: 1
; COMPUTE_PGM_RSRC2:TGID_Y_EN: 0
; COMPUTE_PGM_RSRC2:TGID_Z_EN: 0
; COMPUTE_PGM_RSRC2:TIDIG_COMP_CNT: 0
	.section	.text._ZN7rocprim17ROCPRIM_400000_NS6detail17trampoline_kernelINS0_14default_configENS1_36segmented_radix_sort_config_selectorIllEEZNS1_25segmented_radix_sort_implIS3_Lb1EPKlPlS8_S9_N2at6native12_GLOBAL__N_18offset_tEEE10hipError_tPvRmT1_PNSt15iterator_traitsISH_E10value_typeET2_T3_PNSI_ISN_E10value_typeET4_jRbjT5_ST_jjP12ihipStream_tbEUlT_E0_NS1_11comp_targetILNS1_3genE10ELNS1_11target_archE1201ELNS1_3gpuE5ELNS1_3repE0EEENS1_60segmented_radix_sort_warp_sort_medium_config_static_selectorELNS0_4arch9wavefront6targetE0EEEvSH_,"axG",@progbits,_ZN7rocprim17ROCPRIM_400000_NS6detail17trampoline_kernelINS0_14default_configENS1_36segmented_radix_sort_config_selectorIllEEZNS1_25segmented_radix_sort_implIS3_Lb1EPKlPlS8_S9_N2at6native12_GLOBAL__N_18offset_tEEE10hipError_tPvRmT1_PNSt15iterator_traitsISH_E10value_typeET2_T3_PNSI_ISN_E10value_typeET4_jRbjT5_ST_jjP12ihipStream_tbEUlT_E0_NS1_11comp_targetILNS1_3genE10ELNS1_11target_archE1201ELNS1_3gpuE5ELNS1_3repE0EEENS1_60segmented_radix_sort_warp_sort_medium_config_static_selectorELNS0_4arch9wavefront6targetE0EEEvSH_,comdat
	.globl	_ZN7rocprim17ROCPRIM_400000_NS6detail17trampoline_kernelINS0_14default_configENS1_36segmented_radix_sort_config_selectorIllEEZNS1_25segmented_radix_sort_implIS3_Lb1EPKlPlS8_S9_N2at6native12_GLOBAL__N_18offset_tEEE10hipError_tPvRmT1_PNSt15iterator_traitsISH_E10value_typeET2_T3_PNSI_ISN_E10value_typeET4_jRbjT5_ST_jjP12ihipStream_tbEUlT_E0_NS1_11comp_targetILNS1_3genE10ELNS1_11target_archE1201ELNS1_3gpuE5ELNS1_3repE0EEENS1_60segmented_radix_sort_warp_sort_medium_config_static_selectorELNS0_4arch9wavefront6targetE0EEEvSH_ ; -- Begin function _ZN7rocprim17ROCPRIM_400000_NS6detail17trampoline_kernelINS0_14default_configENS1_36segmented_radix_sort_config_selectorIllEEZNS1_25segmented_radix_sort_implIS3_Lb1EPKlPlS8_S9_N2at6native12_GLOBAL__N_18offset_tEEE10hipError_tPvRmT1_PNSt15iterator_traitsISH_E10value_typeET2_T3_PNSI_ISN_E10value_typeET4_jRbjT5_ST_jjP12ihipStream_tbEUlT_E0_NS1_11comp_targetILNS1_3genE10ELNS1_11target_archE1201ELNS1_3gpuE5ELNS1_3repE0EEENS1_60segmented_radix_sort_warp_sort_medium_config_static_selectorELNS0_4arch9wavefront6targetE0EEEvSH_
	.p2align	8
	.type	_ZN7rocprim17ROCPRIM_400000_NS6detail17trampoline_kernelINS0_14default_configENS1_36segmented_radix_sort_config_selectorIllEEZNS1_25segmented_radix_sort_implIS3_Lb1EPKlPlS8_S9_N2at6native12_GLOBAL__N_18offset_tEEE10hipError_tPvRmT1_PNSt15iterator_traitsISH_E10value_typeET2_T3_PNSI_ISN_E10value_typeET4_jRbjT5_ST_jjP12ihipStream_tbEUlT_E0_NS1_11comp_targetILNS1_3genE10ELNS1_11target_archE1201ELNS1_3gpuE5ELNS1_3repE0EEENS1_60segmented_radix_sort_warp_sort_medium_config_static_selectorELNS0_4arch9wavefront6targetE0EEEvSH_,@function
_ZN7rocprim17ROCPRIM_400000_NS6detail17trampoline_kernelINS0_14default_configENS1_36segmented_radix_sort_config_selectorIllEEZNS1_25segmented_radix_sort_implIS3_Lb1EPKlPlS8_S9_N2at6native12_GLOBAL__N_18offset_tEEE10hipError_tPvRmT1_PNSt15iterator_traitsISH_E10value_typeET2_T3_PNSI_ISN_E10value_typeET4_jRbjT5_ST_jjP12ihipStream_tbEUlT_E0_NS1_11comp_targetILNS1_3genE10ELNS1_11target_archE1201ELNS1_3gpuE5ELNS1_3repE0EEENS1_60segmented_radix_sort_warp_sort_medium_config_static_selectorELNS0_4arch9wavefront6targetE0EEEvSH_: ; @_ZN7rocprim17ROCPRIM_400000_NS6detail17trampoline_kernelINS0_14default_configENS1_36segmented_radix_sort_config_selectorIllEEZNS1_25segmented_radix_sort_implIS3_Lb1EPKlPlS8_S9_N2at6native12_GLOBAL__N_18offset_tEEE10hipError_tPvRmT1_PNSt15iterator_traitsISH_E10value_typeET2_T3_PNSI_ISN_E10value_typeET4_jRbjT5_ST_jjP12ihipStream_tbEUlT_E0_NS1_11comp_targetILNS1_3genE10ELNS1_11target_archE1201ELNS1_3gpuE5ELNS1_3repE0EEENS1_60segmented_radix_sort_warp_sort_medium_config_static_selectorELNS0_4arch9wavefront6targetE0EEEvSH_
; %bb.0:
	.section	.rodata,"a",@progbits
	.p2align	6, 0x0
	.amdhsa_kernel _ZN7rocprim17ROCPRIM_400000_NS6detail17trampoline_kernelINS0_14default_configENS1_36segmented_radix_sort_config_selectorIllEEZNS1_25segmented_radix_sort_implIS3_Lb1EPKlPlS8_S9_N2at6native12_GLOBAL__N_18offset_tEEE10hipError_tPvRmT1_PNSt15iterator_traitsISH_E10value_typeET2_T3_PNSI_ISN_E10value_typeET4_jRbjT5_ST_jjP12ihipStream_tbEUlT_E0_NS1_11comp_targetILNS1_3genE10ELNS1_11target_archE1201ELNS1_3gpuE5ELNS1_3repE0EEENS1_60segmented_radix_sort_warp_sort_medium_config_static_selectorELNS0_4arch9wavefront6targetE0EEEvSH_
		.amdhsa_group_segment_fixed_size 0
		.amdhsa_private_segment_fixed_size 0
		.amdhsa_kernarg_size 88
		.amdhsa_user_sgpr_count 15
		.amdhsa_user_sgpr_dispatch_ptr 0
		.amdhsa_user_sgpr_queue_ptr 0
		.amdhsa_user_sgpr_kernarg_segment_ptr 1
		.amdhsa_user_sgpr_dispatch_id 0
		.amdhsa_user_sgpr_private_segment_size 0
		.amdhsa_wavefront_size32 1
		.amdhsa_uses_dynamic_stack 0
		.amdhsa_enable_private_segment 0
		.amdhsa_system_sgpr_workgroup_id_x 1
		.amdhsa_system_sgpr_workgroup_id_y 0
		.amdhsa_system_sgpr_workgroup_id_z 0
		.amdhsa_system_sgpr_workgroup_info 0
		.amdhsa_system_vgpr_workitem_id 0
		.amdhsa_next_free_vgpr 1
		.amdhsa_next_free_sgpr 1
		.amdhsa_reserve_vcc 0
		.amdhsa_float_round_mode_32 0
		.amdhsa_float_round_mode_16_64 0
		.amdhsa_float_denorm_mode_32 3
		.amdhsa_float_denorm_mode_16_64 3
		.amdhsa_dx10_clamp 1
		.amdhsa_ieee_mode 1
		.amdhsa_fp16_overflow 0
		.amdhsa_workgroup_processor_mode 1
		.amdhsa_memory_ordered 1
		.amdhsa_forward_progress 0
		.amdhsa_shared_vgpr_count 0
		.amdhsa_exception_fp_ieee_invalid_op 0
		.amdhsa_exception_fp_denorm_src 0
		.amdhsa_exception_fp_ieee_div_zero 0
		.amdhsa_exception_fp_ieee_overflow 0
		.amdhsa_exception_fp_ieee_underflow 0
		.amdhsa_exception_fp_ieee_inexact 0
		.amdhsa_exception_int_div_zero 0
	.end_amdhsa_kernel
	.section	.text._ZN7rocprim17ROCPRIM_400000_NS6detail17trampoline_kernelINS0_14default_configENS1_36segmented_radix_sort_config_selectorIllEEZNS1_25segmented_radix_sort_implIS3_Lb1EPKlPlS8_S9_N2at6native12_GLOBAL__N_18offset_tEEE10hipError_tPvRmT1_PNSt15iterator_traitsISH_E10value_typeET2_T3_PNSI_ISN_E10value_typeET4_jRbjT5_ST_jjP12ihipStream_tbEUlT_E0_NS1_11comp_targetILNS1_3genE10ELNS1_11target_archE1201ELNS1_3gpuE5ELNS1_3repE0EEENS1_60segmented_radix_sort_warp_sort_medium_config_static_selectorELNS0_4arch9wavefront6targetE0EEEvSH_,"axG",@progbits,_ZN7rocprim17ROCPRIM_400000_NS6detail17trampoline_kernelINS0_14default_configENS1_36segmented_radix_sort_config_selectorIllEEZNS1_25segmented_radix_sort_implIS3_Lb1EPKlPlS8_S9_N2at6native12_GLOBAL__N_18offset_tEEE10hipError_tPvRmT1_PNSt15iterator_traitsISH_E10value_typeET2_T3_PNSI_ISN_E10value_typeET4_jRbjT5_ST_jjP12ihipStream_tbEUlT_E0_NS1_11comp_targetILNS1_3genE10ELNS1_11target_archE1201ELNS1_3gpuE5ELNS1_3repE0EEENS1_60segmented_radix_sort_warp_sort_medium_config_static_selectorELNS0_4arch9wavefront6targetE0EEEvSH_,comdat
.Lfunc_end719:
	.size	_ZN7rocprim17ROCPRIM_400000_NS6detail17trampoline_kernelINS0_14default_configENS1_36segmented_radix_sort_config_selectorIllEEZNS1_25segmented_radix_sort_implIS3_Lb1EPKlPlS8_S9_N2at6native12_GLOBAL__N_18offset_tEEE10hipError_tPvRmT1_PNSt15iterator_traitsISH_E10value_typeET2_T3_PNSI_ISN_E10value_typeET4_jRbjT5_ST_jjP12ihipStream_tbEUlT_E0_NS1_11comp_targetILNS1_3genE10ELNS1_11target_archE1201ELNS1_3gpuE5ELNS1_3repE0EEENS1_60segmented_radix_sort_warp_sort_medium_config_static_selectorELNS0_4arch9wavefront6targetE0EEEvSH_, .Lfunc_end719-_ZN7rocprim17ROCPRIM_400000_NS6detail17trampoline_kernelINS0_14default_configENS1_36segmented_radix_sort_config_selectorIllEEZNS1_25segmented_radix_sort_implIS3_Lb1EPKlPlS8_S9_N2at6native12_GLOBAL__N_18offset_tEEE10hipError_tPvRmT1_PNSt15iterator_traitsISH_E10value_typeET2_T3_PNSI_ISN_E10value_typeET4_jRbjT5_ST_jjP12ihipStream_tbEUlT_E0_NS1_11comp_targetILNS1_3genE10ELNS1_11target_archE1201ELNS1_3gpuE5ELNS1_3repE0EEENS1_60segmented_radix_sort_warp_sort_medium_config_static_selectorELNS0_4arch9wavefront6targetE0EEEvSH_
                                        ; -- End function
	.section	.AMDGPU.csdata,"",@progbits
; Kernel info:
; codeLenInByte = 0
; NumSgprs: 0
; NumVgprs: 0
; ScratchSize: 0
; MemoryBound: 0
; FloatMode: 240
; IeeeMode: 1
; LDSByteSize: 0 bytes/workgroup (compile time only)
; SGPRBlocks: 0
; VGPRBlocks: 0
; NumSGPRsForWavesPerEU: 1
; NumVGPRsForWavesPerEU: 1
; Occupancy: 16
; WaveLimiterHint : 0
; COMPUTE_PGM_RSRC2:SCRATCH_EN: 0
; COMPUTE_PGM_RSRC2:USER_SGPR: 15
; COMPUTE_PGM_RSRC2:TRAP_HANDLER: 0
; COMPUTE_PGM_RSRC2:TGID_X_EN: 1
; COMPUTE_PGM_RSRC2:TGID_Y_EN: 0
; COMPUTE_PGM_RSRC2:TGID_Z_EN: 0
; COMPUTE_PGM_RSRC2:TIDIG_COMP_CNT: 0
	.section	.text._ZN7rocprim17ROCPRIM_400000_NS6detail17trampoline_kernelINS0_14default_configENS1_36segmented_radix_sort_config_selectorIllEEZNS1_25segmented_radix_sort_implIS3_Lb1EPKlPlS8_S9_N2at6native12_GLOBAL__N_18offset_tEEE10hipError_tPvRmT1_PNSt15iterator_traitsISH_E10value_typeET2_T3_PNSI_ISN_E10value_typeET4_jRbjT5_ST_jjP12ihipStream_tbEUlT_E0_NS1_11comp_targetILNS1_3genE10ELNS1_11target_archE1200ELNS1_3gpuE4ELNS1_3repE0EEENS1_60segmented_radix_sort_warp_sort_medium_config_static_selectorELNS0_4arch9wavefront6targetE0EEEvSH_,"axG",@progbits,_ZN7rocprim17ROCPRIM_400000_NS6detail17trampoline_kernelINS0_14default_configENS1_36segmented_radix_sort_config_selectorIllEEZNS1_25segmented_radix_sort_implIS3_Lb1EPKlPlS8_S9_N2at6native12_GLOBAL__N_18offset_tEEE10hipError_tPvRmT1_PNSt15iterator_traitsISH_E10value_typeET2_T3_PNSI_ISN_E10value_typeET4_jRbjT5_ST_jjP12ihipStream_tbEUlT_E0_NS1_11comp_targetILNS1_3genE10ELNS1_11target_archE1200ELNS1_3gpuE4ELNS1_3repE0EEENS1_60segmented_radix_sort_warp_sort_medium_config_static_selectorELNS0_4arch9wavefront6targetE0EEEvSH_,comdat
	.globl	_ZN7rocprim17ROCPRIM_400000_NS6detail17trampoline_kernelINS0_14default_configENS1_36segmented_radix_sort_config_selectorIllEEZNS1_25segmented_radix_sort_implIS3_Lb1EPKlPlS8_S9_N2at6native12_GLOBAL__N_18offset_tEEE10hipError_tPvRmT1_PNSt15iterator_traitsISH_E10value_typeET2_T3_PNSI_ISN_E10value_typeET4_jRbjT5_ST_jjP12ihipStream_tbEUlT_E0_NS1_11comp_targetILNS1_3genE10ELNS1_11target_archE1200ELNS1_3gpuE4ELNS1_3repE0EEENS1_60segmented_radix_sort_warp_sort_medium_config_static_selectorELNS0_4arch9wavefront6targetE0EEEvSH_ ; -- Begin function _ZN7rocprim17ROCPRIM_400000_NS6detail17trampoline_kernelINS0_14default_configENS1_36segmented_radix_sort_config_selectorIllEEZNS1_25segmented_radix_sort_implIS3_Lb1EPKlPlS8_S9_N2at6native12_GLOBAL__N_18offset_tEEE10hipError_tPvRmT1_PNSt15iterator_traitsISH_E10value_typeET2_T3_PNSI_ISN_E10value_typeET4_jRbjT5_ST_jjP12ihipStream_tbEUlT_E0_NS1_11comp_targetILNS1_3genE10ELNS1_11target_archE1200ELNS1_3gpuE4ELNS1_3repE0EEENS1_60segmented_radix_sort_warp_sort_medium_config_static_selectorELNS0_4arch9wavefront6targetE0EEEvSH_
	.p2align	8
	.type	_ZN7rocprim17ROCPRIM_400000_NS6detail17trampoline_kernelINS0_14default_configENS1_36segmented_radix_sort_config_selectorIllEEZNS1_25segmented_radix_sort_implIS3_Lb1EPKlPlS8_S9_N2at6native12_GLOBAL__N_18offset_tEEE10hipError_tPvRmT1_PNSt15iterator_traitsISH_E10value_typeET2_T3_PNSI_ISN_E10value_typeET4_jRbjT5_ST_jjP12ihipStream_tbEUlT_E0_NS1_11comp_targetILNS1_3genE10ELNS1_11target_archE1200ELNS1_3gpuE4ELNS1_3repE0EEENS1_60segmented_radix_sort_warp_sort_medium_config_static_selectorELNS0_4arch9wavefront6targetE0EEEvSH_,@function
_ZN7rocprim17ROCPRIM_400000_NS6detail17trampoline_kernelINS0_14default_configENS1_36segmented_radix_sort_config_selectorIllEEZNS1_25segmented_radix_sort_implIS3_Lb1EPKlPlS8_S9_N2at6native12_GLOBAL__N_18offset_tEEE10hipError_tPvRmT1_PNSt15iterator_traitsISH_E10value_typeET2_T3_PNSI_ISN_E10value_typeET4_jRbjT5_ST_jjP12ihipStream_tbEUlT_E0_NS1_11comp_targetILNS1_3genE10ELNS1_11target_archE1200ELNS1_3gpuE4ELNS1_3repE0EEENS1_60segmented_radix_sort_warp_sort_medium_config_static_selectorELNS0_4arch9wavefront6targetE0EEEvSH_: ; @_ZN7rocprim17ROCPRIM_400000_NS6detail17trampoline_kernelINS0_14default_configENS1_36segmented_radix_sort_config_selectorIllEEZNS1_25segmented_radix_sort_implIS3_Lb1EPKlPlS8_S9_N2at6native12_GLOBAL__N_18offset_tEEE10hipError_tPvRmT1_PNSt15iterator_traitsISH_E10value_typeET2_T3_PNSI_ISN_E10value_typeET4_jRbjT5_ST_jjP12ihipStream_tbEUlT_E0_NS1_11comp_targetILNS1_3genE10ELNS1_11target_archE1200ELNS1_3gpuE4ELNS1_3repE0EEENS1_60segmented_radix_sort_warp_sort_medium_config_static_selectorELNS0_4arch9wavefront6targetE0EEEvSH_
; %bb.0:
	.section	.rodata,"a",@progbits
	.p2align	6, 0x0
	.amdhsa_kernel _ZN7rocprim17ROCPRIM_400000_NS6detail17trampoline_kernelINS0_14default_configENS1_36segmented_radix_sort_config_selectorIllEEZNS1_25segmented_radix_sort_implIS3_Lb1EPKlPlS8_S9_N2at6native12_GLOBAL__N_18offset_tEEE10hipError_tPvRmT1_PNSt15iterator_traitsISH_E10value_typeET2_T3_PNSI_ISN_E10value_typeET4_jRbjT5_ST_jjP12ihipStream_tbEUlT_E0_NS1_11comp_targetILNS1_3genE10ELNS1_11target_archE1200ELNS1_3gpuE4ELNS1_3repE0EEENS1_60segmented_radix_sort_warp_sort_medium_config_static_selectorELNS0_4arch9wavefront6targetE0EEEvSH_
		.amdhsa_group_segment_fixed_size 0
		.amdhsa_private_segment_fixed_size 0
		.amdhsa_kernarg_size 88
		.amdhsa_user_sgpr_count 15
		.amdhsa_user_sgpr_dispatch_ptr 0
		.amdhsa_user_sgpr_queue_ptr 0
		.amdhsa_user_sgpr_kernarg_segment_ptr 1
		.amdhsa_user_sgpr_dispatch_id 0
		.amdhsa_user_sgpr_private_segment_size 0
		.amdhsa_wavefront_size32 1
		.amdhsa_uses_dynamic_stack 0
		.amdhsa_enable_private_segment 0
		.amdhsa_system_sgpr_workgroup_id_x 1
		.amdhsa_system_sgpr_workgroup_id_y 0
		.amdhsa_system_sgpr_workgroup_id_z 0
		.amdhsa_system_sgpr_workgroup_info 0
		.amdhsa_system_vgpr_workitem_id 0
		.amdhsa_next_free_vgpr 1
		.amdhsa_next_free_sgpr 1
		.amdhsa_reserve_vcc 0
		.amdhsa_float_round_mode_32 0
		.amdhsa_float_round_mode_16_64 0
		.amdhsa_float_denorm_mode_32 3
		.amdhsa_float_denorm_mode_16_64 3
		.amdhsa_dx10_clamp 1
		.amdhsa_ieee_mode 1
		.amdhsa_fp16_overflow 0
		.amdhsa_workgroup_processor_mode 1
		.amdhsa_memory_ordered 1
		.amdhsa_forward_progress 0
		.amdhsa_shared_vgpr_count 0
		.amdhsa_exception_fp_ieee_invalid_op 0
		.amdhsa_exception_fp_denorm_src 0
		.amdhsa_exception_fp_ieee_div_zero 0
		.amdhsa_exception_fp_ieee_overflow 0
		.amdhsa_exception_fp_ieee_underflow 0
		.amdhsa_exception_fp_ieee_inexact 0
		.amdhsa_exception_int_div_zero 0
	.end_amdhsa_kernel
	.section	.text._ZN7rocprim17ROCPRIM_400000_NS6detail17trampoline_kernelINS0_14default_configENS1_36segmented_radix_sort_config_selectorIllEEZNS1_25segmented_radix_sort_implIS3_Lb1EPKlPlS8_S9_N2at6native12_GLOBAL__N_18offset_tEEE10hipError_tPvRmT1_PNSt15iterator_traitsISH_E10value_typeET2_T3_PNSI_ISN_E10value_typeET4_jRbjT5_ST_jjP12ihipStream_tbEUlT_E0_NS1_11comp_targetILNS1_3genE10ELNS1_11target_archE1200ELNS1_3gpuE4ELNS1_3repE0EEENS1_60segmented_radix_sort_warp_sort_medium_config_static_selectorELNS0_4arch9wavefront6targetE0EEEvSH_,"axG",@progbits,_ZN7rocprim17ROCPRIM_400000_NS6detail17trampoline_kernelINS0_14default_configENS1_36segmented_radix_sort_config_selectorIllEEZNS1_25segmented_radix_sort_implIS3_Lb1EPKlPlS8_S9_N2at6native12_GLOBAL__N_18offset_tEEE10hipError_tPvRmT1_PNSt15iterator_traitsISH_E10value_typeET2_T3_PNSI_ISN_E10value_typeET4_jRbjT5_ST_jjP12ihipStream_tbEUlT_E0_NS1_11comp_targetILNS1_3genE10ELNS1_11target_archE1200ELNS1_3gpuE4ELNS1_3repE0EEENS1_60segmented_radix_sort_warp_sort_medium_config_static_selectorELNS0_4arch9wavefront6targetE0EEEvSH_,comdat
.Lfunc_end720:
	.size	_ZN7rocprim17ROCPRIM_400000_NS6detail17trampoline_kernelINS0_14default_configENS1_36segmented_radix_sort_config_selectorIllEEZNS1_25segmented_radix_sort_implIS3_Lb1EPKlPlS8_S9_N2at6native12_GLOBAL__N_18offset_tEEE10hipError_tPvRmT1_PNSt15iterator_traitsISH_E10value_typeET2_T3_PNSI_ISN_E10value_typeET4_jRbjT5_ST_jjP12ihipStream_tbEUlT_E0_NS1_11comp_targetILNS1_3genE10ELNS1_11target_archE1200ELNS1_3gpuE4ELNS1_3repE0EEENS1_60segmented_radix_sort_warp_sort_medium_config_static_selectorELNS0_4arch9wavefront6targetE0EEEvSH_, .Lfunc_end720-_ZN7rocprim17ROCPRIM_400000_NS6detail17trampoline_kernelINS0_14default_configENS1_36segmented_radix_sort_config_selectorIllEEZNS1_25segmented_radix_sort_implIS3_Lb1EPKlPlS8_S9_N2at6native12_GLOBAL__N_18offset_tEEE10hipError_tPvRmT1_PNSt15iterator_traitsISH_E10value_typeET2_T3_PNSI_ISN_E10value_typeET4_jRbjT5_ST_jjP12ihipStream_tbEUlT_E0_NS1_11comp_targetILNS1_3genE10ELNS1_11target_archE1200ELNS1_3gpuE4ELNS1_3repE0EEENS1_60segmented_radix_sort_warp_sort_medium_config_static_selectorELNS0_4arch9wavefront6targetE0EEEvSH_
                                        ; -- End function
	.section	.AMDGPU.csdata,"",@progbits
; Kernel info:
; codeLenInByte = 0
; NumSgprs: 0
; NumVgprs: 0
; ScratchSize: 0
; MemoryBound: 0
; FloatMode: 240
; IeeeMode: 1
; LDSByteSize: 0 bytes/workgroup (compile time only)
; SGPRBlocks: 0
; VGPRBlocks: 0
; NumSGPRsForWavesPerEU: 1
; NumVGPRsForWavesPerEU: 1
; Occupancy: 16
; WaveLimiterHint : 0
; COMPUTE_PGM_RSRC2:SCRATCH_EN: 0
; COMPUTE_PGM_RSRC2:USER_SGPR: 15
; COMPUTE_PGM_RSRC2:TRAP_HANDLER: 0
; COMPUTE_PGM_RSRC2:TGID_X_EN: 1
; COMPUTE_PGM_RSRC2:TGID_Y_EN: 0
; COMPUTE_PGM_RSRC2:TGID_Z_EN: 0
; COMPUTE_PGM_RSRC2:TIDIG_COMP_CNT: 0
	.text
	.p2align	2                               ; -- Begin function _ZN7rocprim17ROCPRIM_400000_NS6detail26segmented_warp_sort_helperINS1_20WarpSortHelperConfigILj16ELj8ELj256EEEllLi256ELb1EvE4sortIPKlPlS8_S9_EEvT_T0_T1_T2_jjjjRNS5_12storage_typeE
	.type	_ZN7rocprim17ROCPRIM_400000_NS6detail26segmented_warp_sort_helperINS1_20WarpSortHelperConfigILj16ELj8ELj256EEEllLi256ELb1EvE4sortIPKlPlS8_S9_EEvT_T0_T1_T2_jjjjRNS5_12storage_typeE,@function
_ZN7rocprim17ROCPRIM_400000_NS6detail26segmented_warp_sort_helperINS1_20WarpSortHelperConfigILj16ELj8ELj256EEEllLi256ELb1EvE4sortIPKlPlS8_S9_EEvT_T0_T1_T2_jjjjRNS5_12storage_typeE: ; @_ZN7rocprim17ROCPRIM_400000_NS6detail26segmented_warp_sort_helperINS1_20WarpSortHelperConfigILj16ELj8ELj256EEEllLi256ELb1EvE4sortIPKlPlS8_S9_EEvT_T0_T1_T2_jjjjRNS5_12storage_typeE
; %bb.0:
	s_waitcnt vmcnt(0) expcnt(0) lgkmcnt(0)
	v_mov_b32_e32 v12, v9
	v_mbcnt_lo_u32_b32 v9, -1, 0
	s_mov_b32 s2, 0
	s_brev_b32 s3, 1
	s_delay_alu instid0(VALU_DEP_1) | instskip(SKIP_2) | instid1(VALU_DEP_3)
	v_lshlrev_b32_e32 v67, 3, v9
	v_mov_b32_e32 v9, 0
	v_sub_nc_u32_e32 v12, v12, v8
	v_and_b32_e32 v68, 0x78, v67
	s_delay_alu instid0(VALU_DEP_3) | instskip(SKIP_1) | instid1(VALU_DEP_3)
	v_lshlrev_b64 v[26:27], 3, v[8:9]
	v_dual_mov_b32 v9, s3 :: v_dual_mov_b32 v8, s2
	v_lshlrev_b32_e32 v66, 3, v68
	s_delay_alu instid0(VALU_DEP_3) | instskip(NEXT) | instid1(VALU_DEP_4)
	v_add_co_u32 v0, vcc_lo, v0, v26
	v_add_co_ci_u32_e32 v1, vcc_lo, v1, v27, vcc_lo
	s_delay_alu instid0(VALU_DEP_2) | instskip(NEXT) | instid1(VALU_DEP_2)
	v_add_co_u32 v0, vcc_lo, v0, v66
	v_add_co_ci_u32_e32 v1, vcc_lo, 0, v1, vcc_lo
	v_cmp_lt_u32_e32 vcc_lo, v68, v12
	s_and_saveexec_b32 s0, vcc_lo
	s_cbranch_execz .LBB721_2
; %bb.1:
	flat_load_b64 v[8:9], v[0:1]
.LBB721_2:
	s_or_b32 exec_lo, exec_lo, s0
	v_or_b32_e32 v13, 1, v68
	v_dual_mov_b32 v35, s3 :: v_dual_mov_b32 v34, s2
	s_delay_alu instid0(VALU_DEP_2) | instskip(NEXT) | instid1(VALU_DEP_1)
	v_cmp_lt_u32_e64 s0, v13, v12
	s_and_saveexec_b32 s1, s0
	s_cbranch_execz .LBB721_4
; %bb.3:
	flat_load_b64 v[34:35], v[0:1] offset:8
.LBB721_4:
	s_or_b32 exec_lo, exec_lo, s1
	v_or_b32_e32 v13, 2, v68
	s_mov_b32 s4, 0
	s_brev_b32 s5, 1
	s_delay_alu instid0(SALU_CYCLE_1) | instskip(NEXT) | instid1(VALU_DEP_2)
	v_dual_mov_b32 v37, s5 :: v_dual_mov_b32 v36, s4
	v_cmp_lt_u32_e64 s1, v13, v12
	s_delay_alu instid0(VALU_DEP_1)
	s_and_saveexec_b32 s2, s1
	s_cbranch_execz .LBB721_6
; %bb.5:
	flat_load_b64 v[36:37], v[0:1] offset:16
.LBB721_6:
	s_or_b32 exec_lo, exec_lo, s2
	v_or_b32_e32 v13, 3, v68
	v_dual_mov_b32 v49, s5 :: v_dual_mov_b32 v48, s4
	s_delay_alu instid0(VALU_DEP_2) | instskip(NEXT) | instid1(VALU_DEP_1)
	v_cmp_lt_u32_e64 s2, v13, v12
	s_and_saveexec_b32 s3, s2
	s_cbranch_execz .LBB721_8
; %bb.7:
	flat_load_b64 v[48:49], v[0:1] offset:24
.LBB721_8:
	s_or_b32 exec_lo, exec_lo, s3
	v_or_b32_e32 v13, 4, v68
	s_mov_b32 s6, 0
	s_brev_b32 s7, 1
	s_delay_alu instid0(SALU_CYCLE_1) | instskip(NEXT) | instid1(VALU_DEP_2)
	v_dual_mov_b32 v39, s7 :: v_dual_mov_b32 v38, s6
	v_cmp_lt_u32_e64 s3, v13, v12
	s_delay_alu instid0(VALU_DEP_1)
	s_and_saveexec_b32 s4, s3
	s_cbranch_execz .LBB721_10
; %bb.9:
	flat_load_b64 v[38:39], v[0:1] offset:32
.LBB721_10:
	;; [unrolled: 23-line block ×3, first 2 shown]
	s_or_b32 exec_lo, exec_lo, s6
	v_or_b32_e32 v13, 7, v68
	v_dual_mov_b32 v29, s11 :: v_dual_mov_b32 v28, s10
	s_delay_alu instid0(VALU_DEP_2) | instskip(NEXT) | instid1(VALU_DEP_1)
	v_cmp_lt_u32_e64 s6, v13, v12
	s_and_saveexec_b32 s7, s6
	s_cbranch_execz .LBB721_16
; %bb.15:
	flat_load_b64 v[28:29], v[0:1] offset:56
.LBB721_16:
	s_or_b32 exec_lo, exec_lo, s7
	v_add_co_u32 v0, s7, v4, v26
	s_delay_alu instid0(VALU_DEP_1) | instskip(NEXT) | instid1(VALU_DEP_2)
	v_add_co_ci_u32_e64 v1, s7, v5, v27, s7
	v_add_co_u32 v52, s7, v0, v66
	s_delay_alu instid0(VALU_DEP_1)
	v_add_co_ci_u32_e64 v53, s7, 0, v1, s7
	; wave barrier
                                        ; implicit-def: $vgpr0_vgpr1
	s_and_saveexec_b32 s7, vcc_lo
	s_cbranch_execnz .LBB721_243
; %bb.17:
	s_or_b32 exec_lo, exec_lo, s7
	s_and_saveexec_b32 s7, s0
                                        ; implicit-def: $vgpr12_vgpr13_vgpr14_vgpr15
	s_cbranch_execnz .LBB721_244
.LBB721_18:
	s_or_b32 exec_lo, exec_lo, s7
                                        ; implicit-def: $vgpr12_vgpr13
	s_and_saveexec_b32 s7, s1
	s_cbranch_execnz .LBB721_245
.LBB721_19:
	s_or_b32 exec_lo, exec_lo, s7
	s_and_saveexec_b32 s7, s2
                                        ; implicit-def: $vgpr16_vgpr17_vgpr18_vgpr19
	s_cbranch_execnz .LBB721_246
.LBB721_20:
	s_or_b32 exec_lo, exec_lo, s7
                                        ; implicit-def: $vgpr16_vgpr17
	s_and_saveexec_b32 s7, s3
	s_cbranch_execnz .LBB721_247
.LBB721_21:
	s_or_b32 exec_lo, exec_lo, s7
	s_and_saveexec_b32 s7, s4
                                        ; implicit-def: $vgpr22_vgpr23_vgpr24_vgpr25
	s_cbranch_execnz .LBB721_248
.LBB721_22:
	s_or_b32 exec_lo, exec_lo, s7
                                        ; implicit-def: $vgpr4_vgpr5
	s_and_saveexec_b32 s7, s5
	s_cbranch_execnz .LBB721_249
.LBB721_23:
	s_or_b32 exec_lo, exec_lo, s7
	s_and_saveexec_b32 s7, s6
                                        ; implicit-def: $vgpr20_vgpr21_vgpr22_vgpr23
	s_cbranch_execz .LBB721_25
.LBB721_24:
	flat_load_b64 v[22:23], v[52:53] offset:56
.LBB721_25:
	s_or_b32 exec_lo, exec_lo, s7
	v_cmp_ne_u32_e64 s7, 0, v10
	v_cmp_ne_u32_e64 s10, 64, v11
	v_bfe_u32 v21, v31, 10, 10
	v_bfe_u32 v30, v31, 20, 10
	v_and_b32_e32 v20, 0x3ff, v31
	s_delay_alu instid0(VALU_DEP_4) | instskip(NEXT) | instid1(SALU_CYCLE_1)
	s_or_b32 s7, s7, s10
	; wave barrier
	s_and_saveexec_b32 s10, s7
	s_delay_alu instid0(SALU_CYCLE_1)
	s_xor_b32 s21, exec_lo, s10
	s_cbranch_execz .LBB721_125
; %bb.26:
	s_load_b64 s[10:11], s[8:9], 0x0
	v_mov_b32_e32 v31, 0
	s_waitcnt lgkmcnt(0)
	s_cmp_lt_u32 s13, s11
	s_cselect_b32 s7, 14, 20
	s_delay_alu instid0(SALU_CYCLE_1) | instskip(SKIP_4) | instid1(SALU_CYCLE_1)
	s_add_u32 s14, s8, s7
	s_addc_u32 s15, s9, 0
	s_cmp_lt_u32 s12, s10
	global_load_u16 v52, v31, s[14:15]
	s_cselect_b32 s7, 12, 18
	s_add_u32 s10, s8, s7
	s_addc_u32 s11, s9, 0
	global_load_u16 v31, v31, s[10:11]
	s_mov_b32 s10, exec_lo
	s_waitcnt vmcnt(1)
	v_mad_u32_u24 v21, v30, v52, v21
	s_waitcnt vmcnt(0)
	s_delay_alu instid0(VALU_DEP_1) | instskip(SKIP_2) | instid1(VALU_DEP_1)
	v_mul_lo_u32 v21, v21, v31
	v_lshlrev_b64 v[30:31], v11, -1
	v_lshlrev_b64 v[10:11], v10, -1
	v_xor_b32_e32 v70, v31, v11
	s_delay_alu instid0(VALU_DEP_4) | instskip(NEXT) | instid1(VALU_DEP_3)
	v_add_lshl_u32 v71, v21, v20, 3
	v_xor_b32_e32 v69, v30, v10
	s_delay_alu instid0(VALU_DEP_2)
	v_cmpx_gt_u32_e32 0x800, v71
	s_cbranch_execz .LBB721_84
; %bb.27:
	v_and_b32_e32 v11, v35, v70
	s_delay_alu instid0(VALU_DEP_3) | instskip(SKIP_3) | instid1(VALU_DEP_2)
	v_and_b32_e32 v10, v34, v69
	v_and_b32_e32 v21, v9, v70
	v_dual_mov_b32 v31, v15 :: v_dual_and_b32 v20, v8, v69
	v_mov_b32_e32 v30, v14
	v_cmp_gt_u64_e64 s7, v[10:11], v[20:21]
	v_dual_mov_b32 v10, v34 :: v_dual_mov_b32 v11, v35
	s_delay_alu instid0(VALU_DEP_2)
	s_and_saveexec_b32 s11, s7
; %bb.28:
	v_dual_mov_b32 v11, v9 :: v_dual_mov_b32 v10, v8
	v_dual_mov_b32 v8, v34 :: v_dual_mov_b32 v9, v35
	;; [unrolled: 1-line block ×4, first 2 shown]
; %bb.29:
	s_or_b32 exec_lo, exec_lo, s11
	v_dual_mov_b32 v53, v49 :: v_dual_and_b32 v14, v48, v69
	v_dual_mov_b32 v35, v19 :: v_dual_and_b32 v20, v36, v69
	;; [unrolled: 1-line block ×4, first 2 shown]
	s_mov_b32 s11, exec_lo
	s_delay_alu instid0(VALU_DEP_1)
	v_cmpx_gt_u64_e64 v[14:15], v[20:21]
; %bb.30:
	v_dual_mov_b32 v53, v37 :: v_dual_mov_b32 v52, v36
	v_dual_mov_b32 v36, v48 :: v_dual_mov_b32 v37, v49
	;; [unrolled: 1-line block ×4, first 2 shown]
; %bb.31:
	s_or_b32 exec_lo, exec_lo, s11
	v_and_b32_e32 v15, v33, v70
	v_and_b32_e32 v14, v32, v69
	;; [unrolled: 1-line block ×3, first 2 shown]
	v_dual_mov_b32 v49, v39 :: v_dual_and_b32 v18, v38, v69
	v_mov_b32_e32 v48, v38
	s_delay_alu instid0(VALU_DEP_2) | instskip(SKIP_1) | instid1(VALU_DEP_2)
	v_cmp_gt_u64_e64 s7, v[14:15], v[18:19]
	v_dual_mov_b32 v18, v24 :: v_dual_mov_b32 v19, v25
	s_and_saveexec_b32 s11, s7
; %bb.32:
	v_dual_mov_b32 v19, v17 :: v_dual_mov_b32 v18, v16
	v_dual_mov_b32 v16, v24 :: v_dual_mov_b32 v17, v25
	;; [unrolled: 1-line block ×4, first 2 shown]
; %bb.33:
	s_or_b32 exec_lo, exec_lo, s11
	v_dual_mov_b32 v24, v50 :: v_dual_and_b32 v15, v29, v70
	v_and_b32_e32 v14, v28, v69
	v_and_b32_e32 v21, v51, v70
	v_dual_mov_b32 v25, v51 :: v_dual_and_b32 v20, v50, v69
	s_delay_alu instid0(VALU_DEP_1) | instskip(SKIP_1) | instid1(VALU_DEP_2)
	v_cmp_gt_u64_e64 s7, v[14:15], v[20:21]
	v_dual_mov_b32 v14, v22 :: v_dual_mov_b32 v15, v23
	s_and_saveexec_b32 s11, s7
; %bb.34:
	v_dual_mov_b32 v15, v5 :: v_dual_mov_b32 v14, v4
	v_dual_mov_b32 v4, v22 :: v_dual_mov_b32 v5, v23
	;; [unrolled: 1-line block ×4, first 2 shown]
; %bb.35:
	s_or_b32 exec_lo, exec_lo, s11
	v_and_b32_e32 v21, v37, v70
	v_and_b32_e32 v20, v36, v69
	;; [unrolled: 1-line block ×4, first 2 shown]
	s_delay_alu instid0(VALU_DEP_1) | instskip(SKIP_2) | instid1(VALU_DEP_3)
	v_cmp_gt_u64_e64 s7, v[20:21], v[22:23]
	v_dual_mov_b32 v20, v36 :: v_dual_mov_b32 v23, v13
	v_dual_mov_b32 v21, v37 :: v_dual_mov_b32 v22, v12
	s_and_saveexec_b32 s11, s7
	s_delay_alu instid0(SALU_CYCLE_1)
	s_xor_b32 s7, exec_lo, s11
; %bb.36:
	v_dual_mov_b32 v21, v11 :: v_dual_mov_b32 v20, v10
	v_dual_mov_b32 v10, v36 :: v_dual_mov_b32 v11, v37
	;; [unrolled: 1-line block ×4, first 2 shown]
; %bb.37:
	s_or_b32 exec_lo, exec_lo, s7
	v_dual_mov_b32 v50, v52 :: v_dual_and_b32 v13, v49, v70
	v_dual_mov_b32 v51, v53 :: v_dual_and_b32 v12, v48, v69
	v_and_b32_e32 v37, v53, v70
	v_and_b32_e32 v36, v52, v69
	s_delay_alu instid0(VALU_DEP_1) | instskip(SKIP_1) | instid1(VALU_DEP_2)
	v_cmp_gt_u64_e64 s7, v[12:13], v[36:37]
	v_dual_mov_b32 v37, v17 :: v_dual_mov_b32 v36, v16
	s_and_saveexec_b32 s11, s7
; %bb.38:
	v_dual_mov_b32 v51, v49 :: v_dual_mov_b32 v50, v48
	v_dual_mov_b32 v37, v35 :: v_dual_mov_b32 v36, v34
	;; [unrolled: 1-line block ×4, first 2 shown]
; %bb.39:
	s_or_b32 exec_lo, exec_lo, s11
	v_and_b32_e32 v13, v25, v70
	v_dual_mov_b32 v39, v33 :: v_dual_and_b32 v12, v24, v69
	v_dual_mov_b32 v38, v32 :: v_dual_and_b32 v17, v33, v70
	v_and_b32_e32 v16, v32, v69
	s_delay_alu instid0(VALU_DEP_1) | instskip(SKIP_1) | instid1(VALU_DEP_2)
	v_cmp_gt_u64_e64 s7, v[12:13], v[16:17]
	v_dual_mov_b32 v13, v5 :: v_dual_mov_b32 v12, v4
	s_and_saveexec_b32 s11, s7
; %bb.40:
	v_dual_mov_b32 v12, v18 :: v_dual_mov_b32 v13, v19
	v_dual_mov_b32 v19, v5 :: v_dual_mov_b32 v18, v4
	;; [unrolled: 1-line block ×4, first 2 shown]
; %bb.41:
	s_or_b32 exec_lo, exec_lo, s11
	v_and_b32_e32 v5, v11, v70
	v_and_b32_e32 v4, v10, v69
	;; [unrolled: 1-line block ×3, first 2 shown]
	v_dual_mov_b32 v33, v31 :: v_dual_and_b32 v16, v8, v69
	v_mov_b32_e32 v32, v30
	s_delay_alu instid0(VALU_DEP_2) | instskip(SKIP_1) | instid1(VALU_DEP_2)
	v_cmp_gt_u64_e64 s7, v[4:5], v[16:17]
	v_dual_mov_b32 v17, v11 :: v_dual_mov_b32 v16, v10
	s_and_saveexec_b32 s11, s7
; %bb.42:
	v_dual_mov_b32 v17, v9 :: v_dual_mov_b32 v16, v8
	v_dual_mov_b32 v8, v10 :: v_dual_mov_b32 v9, v11
	;; [unrolled: 1-line block ×4, first 2 shown]
; %bb.43:
	s_or_b32 exec_lo, exec_lo, s11
	v_dual_mov_b32 v53, v51 :: v_dual_and_b32 v4, v50, v69
	v_dual_mov_b32 v30, v34 :: v_dual_and_b32 v11, v21, v70
	;; [unrolled: 1-line block ×4, first 2 shown]
	s_mov_b32 s11, exec_lo
	s_delay_alu instid0(VALU_DEP_1)
	v_cmpx_gt_u64_e64 v[4:5], v[10:11]
; %bb.44:
	v_dual_mov_b32 v53, v21 :: v_dual_mov_b32 v52, v20
	v_dual_mov_b32 v20, v50 :: v_dual_mov_b32 v21, v51
	v_dual_mov_b32 v31, v23 :: v_dual_mov_b32 v30, v22
	v_dual_mov_b32 v22, v34 :: v_dual_mov_b32 v23, v35
; %bb.45:
	s_or_b32 exec_lo, exec_lo, s11
	v_and_b32_e32 v5, v39, v70
	v_and_b32_e32 v4, v38, v69
	v_and_b32_e32 v11, v49, v70
	v_dual_mov_b32 v51, v49 :: v_dual_and_b32 v10, v48, v69
	v_mov_b32_e32 v50, v48
	s_delay_alu instid0(VALU_DEP_2) | instskip(SKIP_1) | instid1(VALU_DEP_2)
	v_cmp_gt_u64_e64 s7, v[4:5], v[10:11]
	v_dual_mov_b32 v10, v18 :: v_dual_mov_b32 v11, v19
	s_and_saveexec_b32 s11, s7
; %bb.46:
	v_dual_mov_b32 v10, v36 :: v_dual_mov_b32 v11, v37
	v_dual_mov_b32 v37, v19 :: v_dual_mov_b32 v36, v18
	v_dual_mov_b32 v51, v39 :: v_dual_mov_b32 v50, v38
	v_dual_mov_b32 v38, v48 :: v_dual_mov_b32 v39, v49
; %bb.47:
	s_or_b32 exec_lo, exec_lo, s11
	v_and_b32_e32 v5, v29, v70
	v_and_b32_e32 v4, v28, v69
	v_and_b32_e32 v19, v25, v70
	v_dual_mov_b32 v35, v25 :: v_dual_and_b32 v18, v24, v69
	v_mov_b32_e32 v34, v24
	s_delay_alu instid0(VALU_DEP_2) | instskip(SKIP_1) | instid1(VALU_DEP_2)
	v_cmp_gt_u64_e64 s7, v[4:5], v[18:19]
	v_dual_mov_b32 v4, v14 :: v_dual_mov_b32 v5, v15
	s_and_saveexec_b32 s11, s7
	;; [unrolled: 16-line block ×3, first 2 shown]
; %bb.50:
	v_dual_mov_b32 v14, v16 :: v_dual_mov_b32 v15, v17
	v_dual_mov_b32 v16, v20 :: v_dual_mov_b32 v17, v21
	;; [unrolled: 1-line block ×4, first 2 shown]
; %bb.51:
	s_or_b32 exec_lo, exec_lo, s11
	v_and_b32_e32 v19, v51, v70
	v_and_b32_e32 v18, v50, v69
	v_dual_mov_b32 v22, v36 :: v_dual_and_b32 v21, v53, v70
	v_dual_mov_b32 v23, v37 :: v_dual_and_b32 v20, v52, v69
	s_delay_alu instid0(VALU_DEP_1) | instskip(SKIP_1) | instid1(VALU_DEP_2)
	v_cmp_gt_u64_e64 s7, v[18:19], v[20:21]
	v_dual_mov_b32 v20, v52 :: v_dual_mov_b32 v21, v53
	s_and_saveexec_b32 s11, s7
; %bb.52:
	v_dual_mov_b32 v20, v50 :: v_dual_mov_b32 v21, v51
	v_dual_mov_b32 v22, v30 :: v_dual_mov_b32 v23, v31
	;; [unrolled: 1-line block ×4, first 2 shown]
; %bb.53:
	s_or_b32 exec_lo, exec_lo, s11
	v_and_b32_e32 v19, v35, v70
	v_and_b32_e32 v18, v34, v69
	;; [unrolled: 1-line block ×4, first 2 shown]
	s_delay_alu instid0(VALU_DEP_1) | instskip(SKIP_2) | instid1(VALU_DEP_3)
	v_cmp_gt_u64_e64 s7, v[18:19], v[36:37]
	v_dual_mov_b32 v19, v13 :: v_dual_mov_b32 v36, v38
	v_dual_mov_b32 v18, v12 :: v_dual_mov_b32 v37, v39
	s_and_saveexec_b32 s11, s7
; %bb.54:
	v_dual_mov_b32 v19, v11 :: v_dual_mov_b32 v18, v10
	v_dual_mov_b32 v10, v12 :: v_dual_mov_b32 v11, v13
	;; [unrolled: 1-line block ×4, first 2 shown]
; %bb.55:
	s_or_b32 exec_lo, exec_lo, s11
	v_and_b32_e32 v13, v17, v70
	v_and_b32_e32 v12, v16, v69
	v_and_b32_e32 v39, v9, v70
	v_and_b32_e32 v38, v8, v69
	s_delay_alu instid0(VALU_DEP_1) | instskip(SKIP_2) | instid1(VALU_DEP_3)
	v_cmp_gt_u64_e64 s7, v[12:13], v[38:39]
	v_dual_mov_b32 v12, v16 :: v_dual_mov_b32 v39, v33
	v_dual_mov_b32 v13, v17 :: v_dual_mov_b32 v38, v32
	s_and_saveexec_b32 s11, s7
; %bb.56:
	v_dual_mov_b32 v13, v9 :: v_dual_mov_b32 v12, v8
	v_dual_mov_b32 v8, v16 :: v_dual_mov_b32 v9, v17
	;; [unrolled: 1-line block ×4, first 2 shown]
; %bb.57:
	s_or_b32 exec_lo, exec_lo, s11
	v_and_b32_e32 v17, v21, v70
	v_and_b32_e32 v16, v20, v69
	;; [unrolled: 1-line block ×3, first 2 shown]
	v_dual_mov_b32 v49, v31 :: v_dual_and_b32 v32, v14, v69
	v_mov_b32_e32 v48, v30
	s_delay_alu instid0(VALU_DEP_2) | instskip(SKIP_1) | instid1(VALU_DEP_2)
	v_cmp_gt_u64_e64 s7, v[16:17], v[32:33]
	v_dual_mov_b32 v33, v21 :: v_dual_mov_b32 v32, v20
	s_and_saveexec_b32 s11, s7
; %bb.58:
	v_dual_mov_b32 v33, v15 :: v_dual_mov_b32 v32, v14
	v_dual_mov_b32 v14, v20 :: v_dual_mov_b32 v15, v21
	;; [unrolled: 1-line block ×4, first 2 shown]
; %bb.59:
	s_or_b32 exec_lo, exec_lo, s11
	v_and_b32_e32 v17, v37, v70
	v_dual_mov_b32 v53, v51 :: v_dual_and_b32 v16, v36, v69
	v_dual_mov_b32 v52, v50 :: v_dual_and_b32 v21, v51, v70
	v_and_b32_e32 v20, v50, v69
	s_delay_alu instid0(VALU_DEP_1) | instskip(SKIP_1) | instid1(VALU_DEP_2)
	v_cmp_gt_u64_e64 s7, v[16:17], v[20:21]
	v_dual_mov_b32 v17, v11 :: v_dual_mov_b32 v16, v10
	s_and_saveexec_b32 s11, s7
; %bb.60:
	v_dual_mov_b32 v16, v22 :: v_dual_mov_b32 v17, v23
	v_dual_mov_b32 v23, v11 :: v_dual_mov_b32 v22, v10
	v_dual_mov_b32 v53, v37 :: v_dual_mov_b32 v52, v36
	v_dual_mov_b32 v36, v50 :: v_dual_mov_b32 v37, v51
; %bb.61:
	s_or_b32 exec_lo, exec_lo, s11
	v_and_b32_e32 v11, v29, v70
	v_and_b32_e32 v10, v28, v69
	v_dual_mov_b32 v30, v34 :: v_dual_and_b32 v21, v35, v70
	v_dual_mov_b32 v31, v35 :: v_dual_and_b32 v20, v34, v69
	s_delay_alu instid0(VALU_DEP_1) | instskip(SKIP_1) | instid1(VALU_DEP_2)
	v_cmp_gt_u64_e64 s7, v[10:11], v[20:21]
	v_dual_mov_b32 v11, v5 :: v_dual_mov_b32 v10, v4
	s_and_saveexec_b32 s11, s7
; %bb.62:
	v_dual_mov_b32 v10, v18 :: v_dual_mov_b32 v11, v19
	v_dual_mov_b32 v19, v5 :: v_dual_mov_b32 v18, v4
	;; [unrolled: 1-line block ×4, first 2 shown]
; %bb.63:
	s_or_b32 exec_lo, exec_lo, s11
	v_and_b32_e32 v5, v15, v70
	v_and_b32_e32 v4, v14, v69
	v_and_b32_e32 v21, v13, v70
	v_dual_mov_b32 v51, v25 :: v_dual_and_b32 v20, v12, v69
	v_mov_b32_e32 v50, v24
	s_delay_alu instid0(VALU_DEP_2) | instskip(SKIP_1) | instid1(VALU_DEP_2)
	v_cmp_gt_u64_e64 s7, v[4:5], v[20:21]
	v_dual_mov_b32 v21, v15 :: v_dual_mov_b32 v20, v14
	s_and_saveexec_b32 s11, s7
; %bb.64:
	v_dual_mov_b32 v21, v13 :: v_dual_mov_b32 v20, v12
	v_dual_mov_b32 v12, v14 :: v_dual_mov_b32 v13, v15
	;; [unrolled: 1-line block ×4, first 2 shown]
; %bb.65:
	s_or_b32 exec_lo, exec_lo, s11
	v_dual_mov_b32 v65, v33 :: v_dual_and_b32 v4, v52, v69
	v_dual_mov_b32 v25, v23 :: v_dual_and_b32 v14, v32, v69
	;; [unrolled: 1-line block ×4, first 2 shown]
	s_mov_b32 s11, exec_lo
	s_delay_alu instid0(VALU_DEP_1)
	v_cmpx_gt_u64_e64 v[4:5], v[14:15]
; %bb.66:
	v_dual_mov_b32 v65, v53 :: v_dual_mov_b32 v64, v52
	v_dual_mov_b32 v24, v48 :: v_dual_mov_b32 v25, v49
	;; [unrolled: 1-line block ×4, first 2 shown]
; %bb.67:
	s_or_b32 exec_lo, exec_lo, s11
	v_dual_mov_b32 v32, v36 :: v_dual_and_b32 v5, v31, v70
	v_and_b32_e32 v4, v30, v69
	v_and_b32_e32 v15, v37, v70
	v_dual_mov_b32 v33, v37 :: v_dual_and_b32 v14, v36, v69
	s_delay_alu instid0(VALU_DEP_1) | instskip(SKIP_1) | instid1(VALU_DEP_2)
	v_cmp_gt_u64_e64 s7, v[4:5], v[14:15]
	v_dual_mov_b32 v4, v18 :: v_dual_mov_b32 v5, v19
	s_and_saveexec_b32 s11, s7
; %bb.68:
	v_dual_mov_b32 v4, v16 :: v_dual_mov_b32 v5, v17
	v_dual_mov_b32 v16, v18 :: v_dual_mov_b32 v17, v19
	;; [unrolled: 1-line block ×4, first 2 shown]
; %bb.69:
	s_or_b32 exec_lo, exec_lo, s11
	v_and_b32_e32 v15, v13, v70
	v_dual_mov_b32 v35, v13 :: v_dual_and_b32 v14, v12, v69
	v_and_b32_e32 v19, v9, v70
	v_and_b32_e32 v18, v8, v69
	v_mov_b32_e32 v34, v12
	s_delay_alu instid0(VALU_DEP_2) | instskip(SKIP_1) | instid1(VALU_DEP_2)
	v_cmp_gt_u64_e64 s7, v[14:15], v[18:19]
	v_dual_mov_b32 v14, v38 :: v_dual_mov_b32 v15, v39
	s_and_saveexec_b32 s11, s7
; %bb.70:
	v_dual_mov_b32 v35, v9 :: v_dual_mov_b32 v34, v8
	v_dual_mov_b32 v8, v12 :: v_dual_mov_b32 v9, v13
	;; [unrolled: 1-line block ×4, first 2 shown]
; %bb.71:
	s_or_b32 exec_lo, exec_lo, s11
	v_dual_mov_b32 v54, v64 :: v_dual_and_b32 v13, v65, v70
	v_dual_mov_b32 v55, v65 :: v_dual_and_b32 v12, v64, v69
	v_and_b32_e32 v19, v21, v70
	v_and_b32_e32 v18, v20, v69
	s_delay_alu instid0(VALU_DEP_1) | instskip(SKIP_1) | instid1(VALU_DEP_2)
	v_cmp_gt_u64_e64 s7, v[12:13], v[18:19]
	v_dual_mov_b32 v18, v48 :: v_dual_mov_b32 v19, v49
	s_and_saveexec_b32 s11, s7
; %bb.72:
	v_dual_mov_b32 v55, v21 :: v_dual_mov_b32 v54, v20
	v_dual_mov_b32 v20, v64 :: v_dual_mov_b32 v21, v65
	;; [unrolled: 1-line block ×4, first 2 shown]
; %bb.73:
	s_or_b32 exec_lo, exec_lo, s11
	v_dual_mov_b32 v65, v17 :: v_dual_and_b32 v12, v32, v69
	v_dual_mov_b32 v38, v52 :: v_dual_and_b32 v23, v53, v70
	v_dual_mov_b32 v64, v16 :: v_dual_and_b32 v13, v33, v70
	v_dual_mov_b32 v39, v53 :: v_dual_and_b32 v22, v52, v69
	s_mov_b32 s11, exec_lo
	s_delay_alu instid0(VALU_DEP_1)
	v_cmpx_gt_u64_e64 v[12:13], v[22:23]
; %bb.74:
	v_dual_mov_b32 v65, v25 :: v_dual_mov_b32 v64, v24
	v_dual_mov_b32 v25, v17 :: v_dual_mov_b32 v24, v16
	;; [unrolled: 1-line block ×4, first 2 shown]
; %bb.75:
	s_or_b32 exec_lo, exec_lo, s11
	v_dual_mov_b32 v23, v11 :: v_dual_and_b32 v12, v28, v69
	v_dual_mov_b32 v53, v31 :: v_dual_and_b32 v16, v30, v69
	;; [unrolled: 1-line block ×4, first 2 shown]
	s_mov_b32 s11, exec_lo
	s_delay_alu instid0(VALU_DEP_1)
	v_cmpx_gt_u64_e64 v[12:13], v[16:17]
; %bb.76:
	v_dual_mov_b32 v23, v5 :: v_dual_mov_b32 v22, v4
	v_dual_mov_b32 v4, v10 :: v_dual_mov_b32 v5, v11
	;; [unrolled: 1-line block ×4, first 2 shown]
; %bb.77:
	s_or_b32 exec_lo, exec_lo, s11
	v_and_b32_e32 v11, v21, v70
	v_dual_mov_b32 v37, v21 :: v_dual_and_b32 v10, v20, v69
	v_and_b32_e32 v13, v35, v70
	v_and_b32_e32 v12, v34, v69
	v_mov_b32_e32 v36, v20
	s_delay_alu instid0(VALU_DEP_2) | instskip(SKIP_1) | instid1(VALU_DEP_2)
	v_cmp_gt_u64_e64 s7, v[10:11], v[12:13]
	v_dual_mov_b32 v12, v50 :: v_dual_mov_b32 v13, v51
	s_and_saveexec_b32 s11, s7
; %bb.78:
	v_dual_mov_b32 v37, v35 :: v_dual_mov_b32 v36, v34
	v_dual_mov_b32 v35, v21 :: v_dual_mov_b32 v34, v20
	;; [unrolled: 1-line block ×4, first 2 shown]
; %bb.79:
	s_or_b32 exec_lo, exec_lo, s11
	v_dual_mov_b32 v48, v54 :: v_dual_and_b32 v11, v39, v70
	v_dual_mov_b32 v49, v55 :: v_dual_and_b32 v10, v38, v69
	v_and_b32_e32 v17, v55, v70
	v_and_b32_e32 v16, v54, v69
	s_delay_alu instid0(VALU_DEP_1) | instskip(SKIP_1) | instid1(VALU_DEP_2)
	v_cmp_gt_u64_e64 s7, v[10:11], v[16:17]
	v_dual_mov_b32 v16, v24 :: v_dual_mov_b32 v17, v25
	s_and_saveexec_b32 s11, s7
; %bb.80:
	v_dual_mov_b32 v49, v39 :: v_dual_mov_b32 v48, v38
	v_dual_mov_b32 v16, v18 :: v_dual_mov_b32 v17, v19
	;; [unrolled: 1-line block ×4, first 2 shown]
; %bb.81:
	s_or_b32 exec_lo, exec_lo, s11
	v_dual_mov_b32 v50, v52 :: v_dual_and_b32 v11, v53, v70
	v_dual_mov_b32 v24, v64 :: v_dual_and_b32 v21, v33, v70
	;; [unrolled: 1-line block ×4, first 2 shown]
	s_mov_b32 s11, exec_lo
	s_delay_alu instid0(VALU_DEP_1)
	v_cmpx_gt_u64_e64 v[10:11], v[20:21]
; %bb.82:
	v_dual_mov_b32 v51, v33 :: v_dual_mov_b32 v50, v32
	v_dual_mov_b32 v32, v52 :: v_dual_mov_b32 v33, v53
	;; [unrolled: 1-line block ×4, first 2 shown]
; %bb.83:
	s_or_b32 exec_lo, exec_lo, s11
.LBB721_84:
	s_delay_alu instid0(SALU_CYCLE_1) | instskip(SKIP_4) | instid1(VALU_DEP_3)
	s_or_b32 exec_lo, exec_lo, s10
	v_and_b32_e32 v10, 0xffffff00, v71
	v_or_b32_e32 v11, 8, v67
	v_and_b32_e32 v54, 0xf0, v67
	s_mov_b32 s10, exec_lo
	v_sub_nc_u32_e64 v31, 0x800, v10 clamp
	v_lshlrev_b32_e32 v20, 3, v10
	v_and_b32_e32 v10, 8, v67
	s_delay_alu instid0(VALU_DEP_3) | instskip(NEXT) | instid1(VALU_DEP_3)
	v_min_u32_e32 v52, v31, v11
	v_lshl_or_b32 v21, v67, 3, v20
	s_delay_alu instid0(VALU_DEP_3)
	v_min_u32_e32 v55, v31, v10
	ds_store_2addr_b64 v21, v[8:9], v[34:35] offset1:1
	ds_store_2addr_b64 v21, v[36:37], v[48:49] offset0:2 offset1:3
	v_add_nc_u32_e32 v11, 8, v52
	v_add_nc_u32_e32 v30, 0x4000, v21
	v_sub_nc_u32_e32 v64, v52, v54
	v_add_nc_u32_e32 v10, 0x4010, v21
	v_add_nc_u32_e32 v65, 0x4020, v21
	v_min_u32_e32 v53, v31, v11
	ds_store_2addr_b64 v30, v[0:1], v[14:15] offset1:1
	ds_store_2addr_b64 v10, v[12:13], v[18:19] offset1:1
	v_min_u32_e32 v64, v55, v64
	v_add_nc_u32_e32 v71, 0x4030, v21
	v_sub_nc_u32_e32 v11, v53, v52
	ds_store_2addr_b64 v21, v[38:39], v[32:33] offset0:4 offset1:5
	ds_store_2addr_b64 v21, v[50:51], v[28:29] offset0:6 offset1:7
	ds_store_2addr_b64 v65, v[16:17], v[24:25] offset1:1
	ds_store_2addr_b64 v71, v[4:5], v[22:23] offset1:1
	v_sub_nc_u32_e64 v10, v55, v11 clamp
	v_lshl_or_b32 v11, v54, 3, v20
	; wave barrier
	s_delay_alu instid0(VALU_DEP_2)
	v_cmpx_lt_u32_e64 v10, v64
	s_cbranch_execz .LBB721_88
; %bb.85:
	v_lshlrev_b32_e32 v65, 3, v52
	v_lshlrev_b32_e32 v71, 3, v55
	s_mov_b32 s11, 0
	s_delay_alu instid0(VALU_DEP_1)
	v_add3_u32 v65, v20, v65, v71
	.p2align	6
.LBB721_86:                             ; =>This Inner Loop Header: Depth=1
	v_add_nc_u32_e32 v71, v64, v10
	s_delay_alu instid0(VALU_DEP_1) | instskip(NEXT) | instid1(VALU_DEP_1)
	v_lshrrev_b32_e32 v71, 1, v71
	v_not_b32_e32 v80, v71
	v_lshl_add_u32 v81, v71, 3, v11
	s_delay_alu instid0(VALU_DEP_2)
	v_lshl_add_u32 v82, v80, 3, v65
	ds_load_b64 v[80:81], v81
	ds_load_b64 v[82:83], v82
	s_waitcnt lgkmcnt(1)
	v_and_b32_e32 v81, v81, v70
	v_and_b32_e32 v80, v80, v69
	s_waitcnt lgkmcnt(0)
	v_and_b32_e32 v83, v83, v70
	v_and_b32_e32 v82, v82, v69
	s_delay_alu instid0(VALU_DEP_1) | instskip(SKIP_1) | instid1(VALU_DEP_2)
	v_cmp_gt_u64_e64 s7, v[82:83], v[80:81]
	v_add_nc_u32_e32 v80, 1, v71
	v_cndmask_b32_e64 v64, v64, v71, s7
	s_delay_alu instid0(VALU_DEP_2) | instskip(NEXT) | instid1(VALU_DEP_1)
	v_cndmask_b32_e64 v10, v80, v10, s7
	v_cmp_ge_u32_e64 s7, v10, v64
	s_delay_alu instid0(VALU_DEP_1) | instskip(NEXT) | instid1(SALU_CYCLE_1)
	s_or_b32 s11, s7, s11
	s_and_not1_b32 exec_lo, exec_lo, s11
	s_cbranch_execnz .LBB721_86
; %bb.87:
	s_or_b32 exec_lo, exec_lo, s11
.LBB721_88:
	s_delay_alu instid0(SALU_CYCLE_1) | instskip(SKIP_2) | instid1(VALU_DEP_2)
	s_or_b32 exec_lo, exec_lo, s10
	v_add_nc_u32_e32 v55, v52, v55
	v_add_nc_u32_e32 v54, v10, v54
	v_sub_nc_u32_e32 v55, v55, v10
	s_delay_alu instid0(VALU_DEP_2) | instskip(NEXT) | instid1(VALU_DEP_2)
	v_cmp_le_u32_e64 s7, v54, v52
	v_cmp_le_u32_e64 s10, v55, v53
	s_delay_alu instid0(VALU_DEP_1) | instskip(NEXT) | instid1(SALU_CYCLE_1)
	s_or_b32 s7, s7, s10
	s_and_saveexec_b32 s22, s7
	s_cbranch_execz .LBB721_94
; %bb.89:
	v_cmp_lt_u32_e64 s7, v54, v52
                                        ; implicit-def: $vgpr8_vgpr9
	s_delay_alu instid0(VALU_DEP_1)
	s_and_saveexec_b32 s10, s7
	s_cbranch_execz .LBB721_91
; %bb.90:
	v_lshl_add_u32 v0, v10, 3, v11
	ds_load_b64 v[8:9], v0
.LBB721_91:
	s_or_b32 exec_lo, exec_lo, s10
	v_cmp_ge_u32_e64 s10, v55, v53
	s_mov_b32 s14, exec_lo
                                        ; implicit-def: $vgpr10_vgpr11
	v_cmpx_lt_u32_e64 v55, v53
	s_cbranch_execz .LBB721_93
; %bb.92:
	v_lshl_add_u32 v0, v55, 3, v20
	ds_load_b64 v[10:11], v0
.LBB721_93:
	s_or_b32 exec_lo, exec_lo, s14
	s_waitcnt lgkmcnt(0)
	v_and_b32_e32 v1, v11, v70
	v_and_b32_e32 v0, v10, v69
	;; [unrolled: 1-line block ×4, first 2 shown]
	s_delay_alu instid0(VALU_DEP_1) | instskip(NEXT) | instid1(VALU_DEP_1)
	v_cmp_le_u64_e64 s11, v[0:1], v[4:5]
	s_and_b32 s7, s7, s11
	s_delay_alu instid0(SALU_CYCLE_1) | instskip(NEXT) | instid1(SALU_CYCLE_1)
	s_or_b32 s7, s10, s7
	v_cndmask_b32_e64 v12, v55, v54, s7
	v_cndmask_b32_e64 v0, v53, v52, s7
	s_delay_alu instid0(VALU_DEP_2) | instskip(NEXT) | instid1(VALU_DEP_2)
	v_add_nc_u32_e32 v13, 1, v12
	v_add_nc_u32_e32 v0, -1, v0
	v_lshl_add_u32 v12, v12, 3, v20
	s_delay_alu instid0(VALU_DEP_3) | instskip(NEXT) | instid1(VALU_DEP_3)
	v_cndmask_b32_e64 v14, v54, v13, s7
	v_min_u32_e32 v0, v13, v0
	v_cndmask_b32_e64 v13, v13, v55, s7
	s_delay_alu instid0(VALU_DEP_3) | instskip(NEXT) | instid1(VALU_DEP_3)
	v_cmp_lt_u32_e64 s11, v14, v52
	v_lshl_add_u32 v0, v0, 3, v20
	s_delay_alu instid0(VALU_DEP_3)
	v_cmp_ge_u32_e64 s14, v13, v53
	ds_load_b64 v[0:1], v0
	s_waitcnt lgkmcnt(0)
	v_cndmask_b32_e64 v28, v1, v11, s7
	v_cndmask_b32_e64 v29, v0, v10, s7
	;; [unrolled: 1-line block ×5, first 2 shown]
	v_and_b32_e32 v1, v28, v70
	v_and_b32_e32 v0, v29, v69
	;; [unrolled: 1-line block ×4, first 2 shown]
	v_cndmask_b32_e64 v8, v10, v8, s7
	s_delay_alu instid0(VALU_DEP_2) | instskip(NEXT) | instid1(VALU_DEP_1)
	v_cmp_le_u64_e64 s10, v[0:1], v[4:5]
	s_and_b32 s10, s11, s10
	s_delay_alu instid0(SALU_CYCLE_1) | instskip(NEXT) | instid1(SALU_CYCLE_1)
	s_or_b32 s10, s14, s10
	v_cndmask_b32_e64 v15, v13, v14, s10
	v_cndmask_b32_e64 v0, v53, v52, s10
	;; [unrolled: 1-line block ×3, first 2 shown]
	s_delay_alu instid0(VALU_DEP_3) | instskip(NEXT) | instid1(VALU_DEP_3)
	v_add_nc_u32_e32 v16, 1, v15
	v_add_nc_u32_e32 v0, -1, v0
	s_delay_alu instid0(VALU_DEP_2) | instskip(NEXT) | instid1(VALU_DEP_2)
	v_cndmask_b32_e64 v14, v14, v16, s10
	v_min_u32_e32 v0, v16, v0
	v_cndmask_b32_e64 v13, v16, v13, s10
	s_delay_alu instid0(VALU_DEP_3) | instskip(NEXT) | instid1(VALU_DEP_3)
	v_cmp_lt_u32_e64 s14, v14, v52
	v_lshl_add_u32 v0, v0, 3, v20
	s_delay_alu instid0(VALU_DEP_3)
	v_cmp_ge_u32_e64 s15, v13, v53
	ds_load_b64 v[0:1], v0
	s_waitcnt lgkmcnt(0)
	v_cndmask_b32_e64 v36, v1, v28, s10
	v_cndmask_b32_e64 v38, v0, v29, s10
	v_cndmask_b32_e64 v37, v32, v1, s10
	v_cndmask_b32_e64 v39, v33, v0, s10
	s_delay_alu instid0(VALU_DEP_4) | instskip(NEXT) | instid1(VALU_DEP_4)
	v_and_b32_e32 v1, v36, v70
	v_and_b32_e32 v0, v38, v69
	s_delay_alu instid0(VALU_DEP_4) | instskip(NEXT) | instid1(VALU_DEP_4)
	v_and_b32_e32 v5, v37, v70
	v_and_b32_e32 v4, v39, v69
	s_delay_alu instid0(VALU_DEP_1) | instskip(NEXT) | instid1(VALU_DEP_1)
	v_cmp_le_u64_e64 s11, v[0:1], v[4:5]
	s_and_b32 s11, s14, s11
	s_delay_alu instid0(SALU_CYCLE_1) | instskip(NEXT) | instid1(SALU_CYCLE_1)
	s_or_b32 s11, s15, s11
	v_cndmask_b32_e64 v16, v13, v14, s11
	v_cndmask_b32_e64 v0, v53, v52, s11
	s_delay_alu instid0(VALU_DEP_2) | instskip(NEXT) | instid1(VALU_DEP_2)
	v_add_nc_u32_e32 v17, 1, v16
	v_add_nc_u32_e32 v0, -1, v0
	s_delay_alu instid0(VALU_DEP_2) | instskip(NEXT) | instid1(VALU_DEP_2)
	v_cndmask_b32_e64 v14, v14, v17, s11
	v_min_u32_e32 v0, v17, v0
	v_cndmask_b32_e64 v13, v17, v13, s11
	s_delay_alu instid0(VALU_DEP_3) | instskip(NEXT) | instid1(VALU_DEP_3)
	v_cmp_lt_u32_e64 s15, v14, v52
	v_lshl_add_u32 v0, v0, 3, v20
	s_delay_alu instid0(VALU_DEP_3)
	v_cmp_ge_u32_e64 s16, v13, v53
	ds_load_b64 v[0:1], v0
	s_waitcnt lgkmcnt(0)
	v_cndmask_b32_e64 v48, v1, v36, s11
	v_cndmask_b32_e64 v50, v0, v38, s11
	;; [unrolled: 1-line block ×5, first 2 shown]
	v_and_b32_e32 v1, v48, v70
	v_and_b32_e32 v0, v50, v69
	;; [unrolled: 1-line block ×4, first 2 shown]
	v_cndmask_b32_e64 v36, v38, v39, s11
	s_delay_alu instid0(VALU_DEP_2) | instskip(NEXT) | instid1(VALU_DEP_1)
	v_cmp_le_u64_e64 s14, v[0:1], v[4:5]
	s_and_b32 s14, s15, s14
	s_delay_alu instid0(SALU_CYCLE_1) | instskip(NEXT) | instid1(SALU_CYCLE_1)
	s_or_b32 s14, s16, s14
	v_cndmask_b32_e64 v17, v13, v14, s14
	v_cndmask_b32_e64 v0, v53, v52, s14
	s_delay_alu instid0(VALU_DEP_2) | instskip(NEXT) | instid1(VALU_DEP_2)
	v_add_nc_u32_e32 v18, 1, v17
	v_add_nc_u32_e32 v0, -1, v0
	s_delay_alu instid0(VALU_DEP_2) | instskip(NEXT) | instid1(VALU_DEP_2)
	v_cndmask_b32_e64 v14, v14, v18, s14
	v_min_u32_e32 v0, v18, v0
	v_cndmask_b32_e64 v13, v18, v13, s14
	s_delay_alu instid0(VALU_DEP_3) | instskip(NEXT) | instid1(VALU_DEP_3)
	v_cmp_lt_u32_e64 s16, v14, v52
	v_lshl_add_u32 v0, v0, 3, v20
	s_delay_alu instid0(VALU_DEP_3)
	v_cmp_ge_u32_e64 s17, v13, v53
	ds_load_b64 v[0:1], v0
	s_waitcnt lgkmcnt(0)
	v_cndmask_b32_e64 v54, v1, v48, s14
	v_cndmask_b32_e64 v55, v0, v50, s14
	;; [unrolled: 1-line block ×5, first 2 shown]
	v_and_b32_e32 v1, v54, v70
	v_and_b32_e32 v0, v55, v69
	;; [unrolled: 1-line block ×4, first 2 shown]
	v_cndmask_b32_e64 v48, v50, v51, s14
	s_delay_alu instid0(VALU_DEP_2) | instskip(NEXT) | instid1(VALU_DEP_1)
	v_cmp_le_u64_e64 s15, v[0:1], v[4:5]
	s_and_b32 s15, s16, s15
	s_delay_alu instid0(SALU_CYCLE_1) | instskip(NEXT) | instid1(SALU_CYCLE_1)
	s_or_b32 s15, s17, s15
	v_cndmask_b32_e64 v18, v13, v14, s15
	v_cndmask_b32_e64 v0, v53, v52, s15
	;; [unrolled: 1-line block ×4, first 2 shown]
	s_delay_alu instid0(VALU_DEP_4) | instskip(NEXT) | instid1(VALU_DEP_4)
	v_add_nc_u32_e32 v19, 1, v18
	v_add_nc_u32_e32 v0, -1, v0
	s_delay_alu instid0(VALU_DEP_2) | instskip(NEXT) | instid1(VALU_DEP_2)
	v_cndmask_b32_e64 v14, v14, v19, s15
	v_min_u32_e32 v0, v19, v0
	v_cndmask_b32_e64 v13, v19, v13, s15
	s_delay_alu instid0(VALU_DEP_3) | instskip(NEXT) | instid1(VALU_DEP_3)
	v_cmp_lt_u32_e64 s17, v14, v52
	v_lshl_add_u32 v0, v0, 3, v20
	s_delay_alu instid0(VALU_DEP_3)
	v_cmp_ge_u32_e64 s18, v13, v53
	ds_load_b64 v[0:1], v0
	s_waitcnt lgkmcnt(0)
	v_cndmask_b32_e64 v71, v1, v54, s15
	v_cndmask_b32_e64 v80, v0, v55, s15
	v_cndmask_b32_e64 v81, v64, v1, s15
	v_cndmask_b32_e64 v82, v65, v0, s15
	s_delay_alu instid0(VALU_DEP_4) | instskip(NEXT) | instid1(VALU_DEP_4)
	v_and_b32_e32 v1, v71, v70
	v_and_b32_e32 v0, v80, v69
	s_delay_alu instid0(VALU_DEP_4) | instskip(NEXT) | instid1(VALU_DEP_4)
	v_and_b32_e32 v5, v81, v70
	v_and_b32_e32 v4, v82, v69
	s_delay_alu instid0(VALU_DEP_1) | instskip(NEXT) | instid1(VALU_DEP_1)
	v_cmp_le_u64_e64 s16, v[0:1], v[4:5]
	s_and_b32 s16, s17, s16
	s_delay_alu instid0(SALU_CYCLE_1) | instskip(NEXT) | instid1(SALU_CYCLE_1)
	s_or_b32 s16, s18, s16
	v_cndmask_b32_e64 v19, v13, v14, s16
	v_cndmask_b32_e64 v0, v53, v52, s16
	;; [unrolled: 1-line block ×3, first 2 shown]
	s_delay_alu instid0(VALU_DEP_3) | instskip(NEXT) | instid1(VALU_DEP_3)
	v_add_nc_u32_e32 v22, 1, v19
	v_add_nc_u32_e32 v0, -1, v0
	s_delay_alu instid0(VALU_DEP_2) | instskip(NEXT) | instid1(VALU_DEP_2)
	v_cndmask_b32_e64 v14, v14, v22, s16
	v_min_u32_e32 v0, v22, v0
	v_cndmask_b32_e64 v13, v22, v13, s16
	s_delay_alu instid0(VALU_DEP_3) | instskip(NEXT) | instid1(VALU_DEP_3)
	v_cmp_lt_u32_e64 s18, v14, v52
	v_lshl_add_u32 v0, v0, 3, v20
	s_delay_alu instid0(VALU_DEP_3)
	v_cmp_ge_u32_e64 s19, v13, v53
	ds_load_b64 v[0:1], v0
	s_waitcnt lgkmcnt(0)
	v_cndmask_b32_e64 v83, v1, v71, s16
	v_cndmask_b32_e64 v84, v0, v80, s16
	v_cndmask_b32_e64 v85, v81, v1, s16
	v_cndmask_b32_e64 v86, v82, v0, s16
	s_delay_alu instid0(VALU_DEP_4) | instskip(NEXT) | instid1(VALU_DEP_4)
	v_and_b32_e32 v1, v83, v70
	v_and_b32_e32 v0, v84, v69
	s_delay_alu instid0(VALU_DEP_4) | instskip(NEXT) | instid1(VALU_DEP_4)
	v_and_b32_e32 v5, v85, v70
	v_and_b32_e32 v4, v86, v69
	s_delay_alu instid0(VALU_DEP_1) | instskip(NEXT) | instid1(VALU_DEP_1)
	v_cmp_le_u64_e64 s17, v[0:1], v[4:5]
	s_and_b32 s17, s18, s17
	s_delay_alu instid0(SALU_CYCLE_1) | instskip(NEXT) | instid1(SALU_CYCLE_1)
	s_or_b32 s17, s19, s17
	v_cndmask_b32_e64 v22, v13, v14, s17
	v_cndmask_b32_e64 v0, v53, v52, s17
	;; [unrolled: 1-line block ×4, first 2 shown]
	s_delay_alu instid0(VALU_DEP_4) | instskip(NEXT) | instid1(VALU_DEP_4)
	v_add_nc_u32_e32 v23, 1, v22
	v_add_nc_u32_e32 v0, -1, v0
	v_lshl_add_u32 v22, v22, 3, v20
	s_delay_alu instid0(VALU_DEP_3) | instskip(NEXT) | instid1(VALU_DEP_3)
	v_cndmask_b32_e64 v24, v14, v23, s17
	v_min_u32_e32 v0, v23, v0
	v_cndmask_b32_e64 v23, v23, v13, s17
	v_lshl_add_u32 v14, v15, 3, v20
	v_lshl_add_u32 v13, v16, 3, v20
	v_cmp_lt_u32_e64 s19, v24, v52
	v_lshl_add_u32 v0, v0, 3, v20
	v_cmp_ge_u32_e64 s20, v23, v53
	v_lshl_add_u32 v16, v18, 3, v20
	ds_load_b64 v[0:1], v0
	s_waitcnt lgkmcnt(0)
	v_cndmask_b32_e64 v87, v1, v83, s17
	v_cndmask_b32_e64 v96, v0, v84, s17
	;; [unrolled: 1-line block ×4, first 2 shown]
	s_delay_alu instid0(VALU_DEP_4) | instskip(NEXT) | instid1(VALU_DEP_4)
	v_and_b32_e32 v1, v87, v70
	v_and_b32_e32 v0, v96, v69
	s_delay_alu instid0(VALU_DEP_4) | instskip(NEXT) | instid1(VALU_DEP_4)
	v_and_b32_e32 v5, v97, v70
	v_and_b32_e32 v4, v98, v69
	s_delay_alu instid0(VALU_DEP_1)
	v_cmp_le_u64_e64 s18, v[0:1], v[4:5]
	v_lshl_add_u32 v4, v17, 3, v20
	ds_load_b64 v[0:1], v12 offset:16384
	ds_load_b64 v[14:15], v14 offset:16384
	;; [unrolled: 1-line block ×3, first 2 shown]
	s_and_b32 s18, s19, s18
	s_delay_alu instid0(SALU_CYCLE_1) | instskip(NEXT) | instid1(SALU_CYCLE_1)
	s_or_b32 s18, s20, s18
	v_cndmask_b32_e64 v5, v23, v24, s18
	v_lshl_add_u32 v23, v19, 3, v20
	ds_load_b64 v[18:19], v4 offset:16384
	v_cndmask_b32_e64 v28, v96, v98, s18
	v_lshl_add_u32 v34, v5, 3, v20
	ds_load_b64 v[16:17], v16 offset:16384
	ds_load_b64 v[24:25], v23 offset:16384
	;; [unrolled: 1-line block ×4, first 2 shown]
	v_cndmask_b32_e64 v34, v29, v33, s10
	v_cndmask_b32_e64 v33, v71, v81, s16
	;; [unrolled: 1-line block ×3, first 2 shown]
.LBB721_94:
	s_or_b32 exec_lo, exec_lo, s22
	v_and_b32_e32 v54, 0xe0, v67
	v_and_b32_e32 v11, 24, v67
	s_mov_b32 s10, exec_lo
	; wave barrier
	s_delay_alu instid0(VALU_DEP_2) | instskip(NEXT) | instid1(VALU_DEP_2)
	v_or_b32_e32 v10, 16, v54
	v_min_u32_e32 v55, v31, v11
	ds_store_2addr_b64 v21, v[8:9], v[34:35] offset1:1
	ds_store_2addr_b64 v21, v[36:37], v[48:49] offset0:2 offset1:3
	s_waitcnt lgkmcnt(8)
	ds_store_2addr_b64 v30, v[0:1], v[14:15] offset1:1
	s_waitcnt lgkmcnt(7)
	ds_store_2addr_b64 v30, v[12:13], v[18:19] offset0:2 offset1:3
	ds_store_2addr_b64 v21, v[38:39], v[32:33] offset0:4 offset1:5
	;; [unrolled: 1-line block ×3, first 2 shown]
	s_waitcnt lgkmcnt(8)
	ds_store_2addr_b64 v30, v[16:17], v[24:25] offset0:4 offset1:5
	s_waitcnt lgkmcnt(7)
	ds_store_2addr_b64 v30, v[4:5], v[22:23] offset0:6 offset1:7
	v_min_u32_e32 v52, v31, v10
	; wave barrier
	s_delay_alu instid0(VALU_DEP_1) | instskip(NEXT) | instid1(VALU_DEP_1)
	v_add_nc_u32_e32 v10, 16, v52
	v_min_u32_e32 v53, v31, v10
	v_sub_nc_u32_e32 v10, v52, v54
	s_delay_alu instid0(VALU_DEP_2) | instskip(NEXT) | instid1(VALU_DEP_2)
	v_sub_nc_u32_e32 v11, v53, v52
	v_min_u32_e32 v64, v55, v10
	s_delay_alu instid0(VALU_DEP_2) | instskip(SKIP_1) | instid1(VALU_DEP_2)
	v_sub_nc_u32_e64 v10, v55, v11 clamp
	v_lshl_add_u32 v11, v54, 3, v20
	v_cmpx_lt_u32_e64 v10, v64
	s_cbranch_execz .LBB721_98
; %bb.95:
	v_lshlrev_b32_e32 v65, 3, v52
	v_lshlrev_b32_e32 v71, 3, v55
	s_mov_b32 s11, 0
	s_delay_alu instid0(VALU_DEP_1)
	v_add3_u32 v65, v20, v65, v71
	.p2align	6
.LBB721_96:                             ; =>This Inner Loop Header: Depth=1
	v_add_nc_u32_e32 v71, v64, v10
	s_delay_alu instid0(VALU_DEP_1) | instskip(NEXT) | instid1(VALU_DEP_1)
	v_lshrrev_b32_e32 v71, 1, v71
	v_not_b32_e32 v80, v71
	v_lshl_add_u32 v81, v71, 3, v11
	s_delay_alu instid0(VALU_DEP_2)
	v_lshl_add_u32 v82, v80, 3, v65
	ds_load_b64 v[80:81], v81
	ds_load_b64 v[82:83], v82
	s_waitcnt lgkmcnt(1)
	v_and_b32_e32 v81, v81, v70
	v_and_b32_e32 v80, v80, v69
	s_waitcnt lgkmcnt(0)
	v_and_b32_e32 v83, v83, v70
	v_and_b32_e32 v82, v82, v69
	s_delay_alu instid0(VALU_DEP_1) | instskip(SKIP_1) | instid1(VALU_DEP_2)
	v_cmp_gt_u64_e64 s7, v[82:83], v[80:81]
	v_add_nc_u32_e32 v80, 1, v71
	v_cndmask_b32_e64 v64, v64, v71, s7
	s_delay_alu instid0(VALU_DEP_2) | instskip(NEXT) | instid1(VALU_DEP_1)
	v_cndmask_b32_e64 v10, v80, v10, s7
	v_cmp_ge_u32_e64 s7, v10, v64
	s_delay_alu instid0(VALU_DEP_1) | instskip(NEXT) | instid1(SALU_CYCLE_1)
	s_or_b32 s11, s7, s11
	s_and_not1_b32 exec_lo, exec_lo, s11
	s_cbranch_execnz .LBB721_96
; %bb.97:
	s_or_b32 exec_lo, exec_lo, s11
.LBB721_98:
	s_delay_alu instid0(SALU_CYCLE_1) | instskip(SKIP_2) | instid1(VALU_DEP_2)
	s_or_b32 exec_lo, exec_lo, s10
	v_add_nc_u32_e32 v55, v52, v55
	v_add_nc_u32_e32 v54, v10, v54
	v_sub_nc_u32_e32 v55, v55, v10
	s_delay_alu instid0(VALU_DEP_2) | instskip(NEXT) | instid1(VALU_DEP_2)
	v_cmp_le_u32_e64 s7, v54, v52
	v_cmp_le_u32_e64 s10, v55, v53
	s_delay_alu instid0(VALU_DEP_1) | instskip(NEXT) | instid1(SALU_CYCLE_1)
	s_or_b32 s7, s7, s10
	s_and_saveexec_b32 s22, s7
	s_cbranch_execz .LBB721_104
; %bb.99:
	v_cmp_lt_u32_e64 s7, v54, v52
                                        ; implicit-def: $vgpr8_vgpr9
	s_delay_alu instid0(VALU_DEP_1)
	s_and_saveexec_b32 s10, s7
	s_cbranch_execz .LBB721_101
; %bb.100:
	v_lshl_add_u32 v0, v10, 3, v11
	ds_load_b64 v[8:9], v0
.LBB721_101:
	s_or_b32 exec_lo, exec_lo, s10
	v_cmp_ge_u32_e64 s10, v55, v53
	s_mov_b32 s14, exec_lo
                                        ; implicit-def: $vgpr10_vgpr11
	v_cmpx_lt_u32_e64 v55, v53
	s_cbranch_execz .LBB721_103
; %bb.102:
	v_lshl_add_u32 v0, v55, 3, v20
	ds_load_b64 v[10:11], v0
.LBB721_103:
	s_or_b32 exec_lo, exec_lo, s14
	s_waitcnt lgkmcnt(0)
	v_and_b32_e32 v1, v11, v70
	v_and_b32_e32 v0, v10, v69
	;; [unrolled: 1-line block ×4, first 2 shown]
	s_delay_alu instid0(VALU_DEP_1) | instskip(NEXT) | instid1(VALU_DEP_1)
	v_cmp_le_u64_e64 s11, v[0:1], v[4:5]
	s_and_b32 s7, s7, s11
	s_delay_alu instid0(SALU_CYCLE_1) | instskip(NEXT) | instid1(SALU_CYCLE_1)
	s_or_b32 s7, s10, s7
	v_cndmask_b32_e64 v12, v55, v54, s7
	v_cndmask_b32_e64 v0, v53, v52, s7
	s_delay_alu instid0(VALU_DEP_2) | instskip(NEXT) | instid1(VALU_DEP_2)
	v_add_nc_u32_e32 v13, 1, v12
	v_add_nc_u32_e32 v0, -1, v0
	v_lshl_add_u32 v12, v12, 3, v20
	s_delay_alu instid0(VALU_DEP_3) | instskip(NEXT) | instid1(VALU_DEP_3)
	v_cndmask_b32_e64 v14, v54, v13, s7
	v_min_u32_e32 v0, v13, v0
	v_cndmask_b32_e64 v13, v13, v55, s7
	s_delay_alu instid0(VALU_DEP_3) | instskip(NEXT) | instid1(VALU_DEP_3)
	v_cmp_lt_u32_e64 s11, v14, v52
	v_lshl_add_u32 v0, v0, 3, v20
	s_delay_alu instid0(VALU_DEP_3)
	v_cmp_ge_u32_e64 s14, v13, v53
	ds_load_b64 v[0:1], v0
	s_waitcnt lgkmcnt(0)
	v_cndmask_b32_e64 v28, v1, v11, s7
	v_cndmask_b32_e64 v29, v0, v10, s7
	;; [unrolled: 1-line block ×5, first 2 shown]
	v_and_b32_e32 v1, v28, v70
	v_and_b32_e32 v0, v29, v69
	;; [unrolled: 1-line block ×4, first 2 shown]
	v_cndmask_b32_e64 v8, v10, v8, s7
	s_delay_alu instid0(VALU_DEP_2) | instskip(NEXT) | instid1(VALU_DEP_1)
	v_cmp_le_u64_e64 s10, v[0:1], v[4:5]
	s_and_b32 s10, s11, s10
	s_delay_alu instid0(SALU_CYCLE_1) | instskip(NEXT) | instid1(SALU_CYCLE_1)
	s_or_b32 s10, s14, s10
	v_cndmask_b32_e64 v15, v13, v14, s10
	v_cndmask_b32_e64 v0, v53, v52, s10
	;; [unrolled: 1-line block ×3, first 2 shown]
	s_delay_alu instid0(VALU_DEP_3) | instskip(NEXT) | instid1(VALU_DEP_3)
	v_add_nc_u32_e32 v16, 1, v15
	v_add_nc_u32_e32 v0, -1, v0
	s_delay_alu instid0(VALU_DEP_2) | instskip(NEXT) | instid1(VALU_DEP_2)
	v_cndmask_b32_e64 v14, v14, v16, s10
	v_min_u32_e32 v0, v16, v0
	v_cndmask_b32_e64 v13, v16, v13, s10
	s_delay_alu instid0(VALU_DEP_3) | instskip(NEXT) | instid1(VALU_DEP_3)
	v_cmp_lt_u32_e64 s14, v14, v52
	v_lshl_add_u32 v0, v0, 3, v20
	s_delay_alu instid0(VALU_DEP_3)
	v_cmp_ge_u32_e64 s15, v13, v53
	ds_load_b64 v[0:1], v0
	s_waitcnt lgkmcnt(0)
	v_cndmask_b32_e64 v36, v1, v28, s10
	v_cndmask_b32_e64 v38, v0, v29, s10
	;; [unrolled: 1-line block ×4, first 2 shown]
	s_delay_alu instid0(VALU_DEP_4) | instskip(NEXT) | instid1(VALU_DEP_4)
	v_and_b32_e32 v1, v36, v70
	v_and_b32_e32 v0, v38, v69
	s_delay_alu instid0(VALU_DEP_4) | instskip(NEXT) | instid1(VALU_DEP_4)
	v_and_b32_e32 v5, v37, v70
	v_and_b32_e32 v4, v39, v69
	s_delay_alu instid0(VALU_DEP_1) | instskip(NEXT) | instid1(VALU_DEP_1)
	v_cmp_le_u64_e64 s11, v[0:1], v[4:5]
	s_and_b32 s11, s14, s11
	s_delay_alu instid0(SALU_CYCLE_1) | instskip(NEXT) | instid1(SALU_CYCLE_1)
	s_or_b32 s11, s15, s11
	v_cndmask_b32_e64 v16, v13, v14, s11
	v_cndmask_b32_e64 v0, v53, v52, s11
	s_delay_alu instid0(VALU_DEP_2) | instskip(NEXT) | instid1(VALU_DEP_2)
	v_add_nc_u32_e32 v17, 1, v16
	v_add_nc_u32_e32 v0, -1, v0
	s_delay_alu instid0(VALU_DEP_2) | instskip(NEXT) | instid1(VALU_DEP_2)
	v_cndmask_b32_e64 v14, v14, v17, s11
	v_min_u32_e32 v0, v17, v0
	v_cndmask_b32_e64 v13, v17, v13, s11
	s_delay_alu instid0(VALU_DEP_3) | instskip(NEXT) | instid1(VALU_DEP_3)
	v_cmp_lt_u32_e64 s15, v14, v52
	v_lshl_add_u32 v0, v0, 3, v20
	s_delay_alu instid0(VALU_DEP_3)
	v_cmp_ge_u32_e64 s16, v13, v53
	ds_load_b64 v[0:1], v0
	s_waitcnt lgkmcnt(0)
	v_cndmask_b32_e64 v48, v1, v36, s11
	v_cndmask_b32_e64 v50, v0, v38, s11
	;; [unrolled: 1-line block ×5, first 2 shown]
	v_and_b32_e32 v1, v48, v70
	v_and_b32_e32 v0, v50, v69
	;; [unrolled: 1-line block ×4, first 2 shown]
	v_cndmask_b32_e64 v36, v38, v39, s11
	s_delay_alu instid0(VALU_DEP_2) | instskip(NEXT) | instid1(VALU_DEP_1)
	v_cmp_le_u64_e64 s14, v[0:1], v[4:5]
	s_and_b32 s14, s15, s14
	s_delay_alu instid0(SALU_CYCLE_1) | instskip(NEXT) | instid1(SALU_CYCLE_1)
	s_or_b32 s14, s16, s14
	v_cndmask_b32_e64 v17, v13, v14, s14
	v_cndmask_b32_e64 v0, v53, v52, s14
	s_delay_alu instid0(VALU_DEP_2) | instskip(NEXT) | instid1(VALU_DEP_2)
	v_add_nc_u32_e32 v18, 1, v17
	v_add_nc_u32_e32 v0, -1, v0
	s_delay_alu instid0(VALU_DEP_2) | instskip(NEXT) | instid1(VALU_DEP_2)
	v_cndmask_b32_e64 v14, v14, v18, s14
	v_min_u32_e32 v0, v18, v0
	v_cndmask_b32_e64 v13, v18, v13, s14
	s_delay_alu instid0(VALU_DEP_3) | instskip(NEXT) | instid1(VALU_DEP_3)
	v_cmp_lt_u32_e64 s16, v14, v52
	v_lshl_add_u32 v0, v0, 3, v20
	s_delay_alu instid0(VALU_DEP_3)
	v_cmp_ge_u32_e64 s17, v13, v53
	ds_load_b64 v[0:1], v0
	s_waitcnt lgkmcnt(0)
	v_cndmask_b32_e64 v54, v1, v48, s14
	v_cndmask_b32_e64 v55, v0, v50, s14
	;; [unrolled: 1-line block ×5, first 2 shown]
	v_and_b32_e32 v1, v54, v70
	v_and_b32_e32 v0, v55, v69
	;; [unrolled: 1-line block ×4, first 2 shown]
	v_cndmask_b32_e64 v48, v50, v51, s14
	s_delay_alu instid0(VALU_DEP_2) | instskip(NEXT) | instid1(VALU_DEP_1)
	v_cmp_le_u64_e64 s15, v[0:1], v[4:5]
	s_and_b32 s15, s16, s15
	s_delay_alu instid0(SALU_CYCLE_1) | instskip(NEXT) | instid1(SALU_CYCLE_1)
	s_or_b32 s15, s17, s15
	v_cndmask_b32_e64 v18, v13, v14, s15
	v_cndmask_b32_e64 v0, v53, v52, s15
	;; [unrolled: 1-line block ×4, first 2 shown]
	s_delay_alu instid0(VALU_DEP_4) | instskip(NEXT) | instid1(VALU_DEP_4)
	v_add_nc_u32_e32 v19, 1, v18
	v_add_nc_u32_e32 v0, -1, v0
	s_delay_alu instid0(VALU_DEP_2) | instskip(NEXT) | instid1(VALU_DEP_2)
	v_cndmask_b32_e64 v14, v14, v19, s15
	v_min_u32_e32 v0, v19, v0
	v_cndmask_b32_e64 v13, v19, v13, s15
	s_delay_alu instid0(VALU_DEP_3) | instskip(NEXT) | instid1(VALU_DEP_3)
	v_cmp_lt_u32_e64 s17, v14, v52
	v_lshl_add_u32 v0, v0, 3, v20
	s_delay_alu instid0(VALU_DEP_3)
	v_cmp_ge_u32_e64 s18, v13, v53
	ds_load_b64 v[0:1], v0
	s_waitcnt lgkmcnt(0)
	v_cndmask_b32_e64 v71, v1, v54, s15
	v_cndmask_b32_e64 v80, v0, v55, s15
	;; [unrolled: 1-line block ×4, first 2 shown]
	s_delay_alu instid0(VALU_DEP_4) | instskip(NEXT) | instid1(VALU_DEP_4)
	v_and_b32_e32 v1, v71, v70
	v_and_b32_e32 v0, v80, v69
	s_delay_alu instid0(VALU_DEP_4) | instskip(NEXT) | instid1(VALU_DEP_4)
	v_and_b32_e32 v5, v81, v70
	v_and_b32_e32 v4, v82, v69
	s_delay_alu instid0(VALU_DEP_1) | instskip(NEXT) | instid1(VALU_DEP_1)
	v_cmp_le_u64_e64 s16, v[0:1], v[4:5]
	s_and_b32 s16, s17, s16
	s_delay_alu instid0(SALU_CYCLE_1) | instskip(NEXT) | instid1(SALU_CYCLE_1)
	s_or_b32 s16, s18, s16
	v_cndmask_b32_e64 v19, v13, v14, s16
	v_cndmask_b32_e64 v0, v53, v52, s16
	;; [unrolled: 1-line block ×3, first 2 shown]
	s_delay_alu instid0(VALU_DEP_3) | instskip(NEXT) | instid1(VALU_DEP_3)
	v_add_nc_u32_e32 v22, 1, v19
	v_add_nc_u32_e32 v0, -1, v0
	s_delay_alu instid0(VALU_DEP_2) | instskip(NEXT) | instid1(VALU_DEP_2)
	v_cndmask_b32_e64 v14, v14, v22, s16
	v_min_u32_e32 v0, v22, v0
	v_cndmask_b32_e64 v13, v22, v13, s16
	s_delay_alu instid0(VALU_DEP_3) | instskip(NEXT) | instid1(VALU_DEP_3)
	v_cmp_lt_u32_e64 s18, v14, v52
	v_lshl_add_u32 v0, v0, 3, v20
	s_delay_alu instid0(VALU_DEP_3)
	v_cmp_ge_u32_e64 s19, v13, v53
	ds_load_b64 v[0:1], v0
	s_waitcnt lgkmcnt(0)
	v_cndmask_b32_e64 v83, v1, v71, s16
	v_cndmask_b32_e64 v84, v0, v80, s16
	;; [unrolled: 1-line block ×4, first 2 shown]
	s_delay_alu instid0(VALU_DEP_4) | instskip(NEXT) | instid1(VALU_DEP_4)
	v_and_b32_e32 v1, v83, v70
	v_and_b32_e32 v0, v84, v69
	s_delay_alu instid0(VALU_DEP_4) | instskip(NEXT) | instid1(VALU_DEP_4)
	v_and_b32_e32 v5, v85, v70
	v_and_b32_e32 v4, v86, v69
	s_delay_alu instid0(VALU_DEP_1) | instskip(NEXT) | instid1(VALU_DEP_1)
	v_cmp_le_u64_e64 s17, v[0:1], v[4:5]
	s_and_b32 s17, s18, s17
	s_delay_alu instid0(SALU_CYCLE_1) | instskip(NEXT) | instid1(SALU_CYCLE_1)
	s_or_b32 s17, s19, s17
	v_cndmask_b32_e64 v22, v13, v14, s17
	v_cndmask_b32_e64 v0, v53, v52, s17
	;; [unrolled: 1-line block ×4, first 2 shown]
	s_delay_alu instid0(VALU_DEP_4) | instskip(NEXT) | instid1(VALU_DEP_4)
	v_add_nc_u32_e32 v23, 1, v22
	v_add_nc_u32_e32 v0, -1, v0
	v_lshl_add_u32 v22, v22, 3, v20
	s_delay_alu instid0(VALU_DEP_3) | instskip(NEXT) | instid1(VALU_DEP_3)
	v_cndmask_b32_e64 v24, v14, v23, s17
	v_min_u32_e32 v0, v23, v0
	v_cndmask_b32_e64 v23, v23, v13, s17
	v_lshl_add_u32 v14, v15, 3, v20
	v_lshl_add_u32 v13, v16, 3, v20
	v_cmp_lt_u32_e64 s19, v24, v52
	v_lshl_add_u32 v0, v0, 3, v20
	v_cmp_ge_u32_e64 s20, v23, v53
	v_lshl_add_u32 v16, v18, 3, v20
	ds_load_b64 v[0:1], v0
	s_waitcnt lgkmcnt(0)
	v_cndmask_b32_e64 v87, v1, v83, s17
	v_cndmask_b32_e64 v96, v0, v84, s17
	;; [unrolled: 1-line block ×4, first 2 shown]
	s_delay_alu instid0(VALU_DEP_4) | instskip(NEXT) | instid1(VALU_DEP_4)
	v_and_b32_e32 v1, v87, v70
	v_and_b32_e32 v0, v96, v69
	s_delay_alu instid0(VALU_DEP_4) | instskip(NEXT) | instid1(VALU_DEP_4)
	v_and_b32_e32 v5, v97, v70
	v_and_b32_e32 v4, v98, v69
	s_delay_alu instid0(VALU_DEP_1)
	v_cmp_le_u64_e64 s18, v[0:1], v[4:5]
	v_lshl_add_u32 v4, v17, 3, v20
	ds_load_b64 v[0:1], v12 offset:16384
	ds_load_b64 v[14:15], v14 offset:16384
	;; [unrolled: 1-line block ×3, first 2 shown]
	s_and_b32 s18, s19, s18
	s_delay_alu instid0(SALU_CYCLE_1) | instskip(NEXT) | instid1(SALU_CYCLE_1)
	s_or_b32 s18, s20, s18
	v_cndmask_b32_e64 v5, v23, v24, s18
	v_lshl_add_u32 v23, v19, 3, v20
	ds_load_b64 v[18:19], v4 offset:16384
	v_cndmask_b32_e64 v28, v96, v98, s18
	v_lshl_add_u32 v34, v5, 3, v20
	ds_load_b64 v[16:17], v16 offset:16384
	ds_load_b64 v[24:25], v23 offset:16384
	;; [unrolled: 1-line block ×4, first 2 shown]
	v_cndmask_b32_e64 v34, v29, v33, s10
	v_cndmask_b32_e64 v33, v71, v81, s16
	;; [unrolled: 1-line block ×3, first 2 shown]
.LBB721_104:
	s_or_b32 exec_lo, exec_lo, s22
	v_and_b32_e32 v54, 0xc0, v67
	v_and_b32_e32 v11, 56, v67
	s_mov_b32 s10, exec_lo
	; wave barrier
	s_delay_alu instid0(VALU_DEP_2) | instskip(NEXT) | instid1(VALU_DEP_2)
	v_or_b32_e32 v10, 32, v54
	v_min_u32_e32 v55, v31, v11
	ds_store_2addr_b64 v21, v[8:9], v[34:35] offset1:1
	ds_store_2addr_b64 v21, v[36:37], v[48:49] offset0:2 offset1:3
	s_waitcnt lgkmcnt(8)
	ds_store_2addr_b64 v30, v[0:1], v[14:15] offset1:1
	s_waitcnt lgkmcnt(7)
	ds_store_2addr_b64 v30, v[12:13], v[18:19] offset0:2 offset1:3
	ds_store_2addr_b64 v21, v[38:39], v[32:33] offset0:4 offset1:5
	;; [unrolled: 1-line block ×3, first 2 shown]
	s_waitcnt lgkmcnt(8)
	ds_store_2addr_b64 v30, v[16:17], v[24:25] offset0:4 offset1:5
	s_waitcnt lgkmcnt(7)
	ds_store_2addr_b64 v30, v[4:5], v[22:23] offset0:6 offset1:7
	v_min_u32_e32 v52, v31, v10
	; wave barrier
	s_delay_alu instid0(VALU_DEP_1) | instskip(NEXT) | instid1(VALU_DEP_1)
	v_add_nc_u32_e32 v10, 32, v52
	v_min_u32_e32 v53, v31, v10
	v_sub_nc_u32_e32 v10, v52, v54
	s_delay_alu instid0(VALU_DEP_2) | instskip(NEXT) | instid1(VALU_DEP_2)
	v_sub_nc_u32_e32 v11, v53, v52
	v_min_u32_e32 v64, v55, v10
	s_delay_alu instid0(VALU_DEP_2) | instskip(SKIP_1) | instid1(VALU_DEP_2)
	v_sub_nc_u32_e64 v10, v55, v11 clamp
	v_lshl_add_u32 v11, v54, 3, v20
	v_cmpx_lt_u32_e64 v10, v64
	s_cbranch_execz .LBB721_108
; %bb.105:
	v_lshlrev_b32_e32 v65, 3, v52
	v_lshlrev_b32_e32 v71, 3, v55
	s_mov_b32 s11, 0
	s_delay_alu instid0(VALU_DEP_1)
	v_add3_u32 v65, v20, v65, v71
	.p2align	6
.LBB721_106:                            ; =>This Inner Loop Header: Depth=1
	v_add_nc_u32_e32 v71, v64, v10
	s_delay_alu instid0(VALU_DEP_1) | instskip(NEXT) | instid1(VALU_DEP_1)
	v_lshrrev_b32_e32 v71, 1, v71
	v_not_b32_e32 v80, v71
	v_lshl_add_u32 v81, v71, 3, v11
	s_delay_alu instid0(VALU_DEP_2)
	v_lshl_add_u32 v82, v80, 3, v65
	ds_load_b64 v[80:81], v81
	ds_load_b64 v[82:83], v82
	s_waitcnt lgkmcnt(1)
	v_and_b32_e32 v81, v81, v70
	v_and_b32_e32 v80, v80, v69
	s_waitcnt lgkmcnt(0)
	v_and_b32_e32 v83, v83, v70
	v_and_b32_e32 v82, v82, v69
	s_delay_alu instid0(VALU_DEP_1) | instskip(SKIP_1) | instid1(VALU_DEP_2)
	v_cmp_gt_u64_e64 s7, v[82:83], v[80:81]
	v_add_nc_u32_e32 v80, 1, v71
	v_cndmask_b32_e64 v64, v64, v71, s7
	s_delay_alu instid0(VALU_DEP_2) | instskip(NEXT) | instid1(VALU_DEP_1)
	v_cndmask_b32_e64 v10, v80, v10, s7
	v_cmp_ge_u32_e64 s7, v10, v64
	s_delay_alu instid0(VALU_DEP_1) | instskip(NEXT) | instid1(SALU_CYCLE_1)
	s_or_b32 s11, s7, s11
	s_and_not1_b32 exec_lo, exec_lo, s11
	s_cbranch_execnz .LBB721_106
; %bb.107:
	s_or_b32 exec_lo, exec_lo, s11
.LBB721_108:
	s_delay_alu instid0(SALU_CYCLE_1) | instskip(SKIP_2) | instid1(VALU_DEP_2)
	s_or_b32 exec_lo, exec_lo, s10
	v_add_nc_u32_e32 v55, v52, v55
	v_add_nc_u32_e32 v54, v10, v54
	v_sub_nc_u32_e32 v55, v55, v10
	s_delay_alu instid0(VALU_DEP_2) | instskip(NEXT) | instid1(VALU_DEP_2)
	v_cmp_le_u32_e64 s7, v54, v52
	v_cmp_le_u32_e64 s10, v55, v53
	s_delay_alu instid0(VALU_DEP_1) | instskip(NEXT) | instid1(SALU_CYCLE_1)
	s_or_b32 s7, s7, s10
	s_and_saveexec_b32 s22, s7
	s_cbranch_execz .LBB721_114
; %bb.109:
	v_cmp_lt_u32_e64 s7, v54, v52
                                        ; implicit-def: $vgpr8_vgpr9
	s_delay_alu instid0(VALU_DEP_1)
	s_and_saveexec_b32 s10, s7
	s_cbranch_execz .LBB721_111
; %bb.110:
	v_lshl_add_u32 v0, v10, 3, v11
	ds_load_b64 v[8:9], v0
.LBB721_111:
	s_or_b32 exec_lo, exec_lo, s10
	v_cmp_ge_u32_e64 s10, v55, v53
	s_mov_b32 s14, exec_lo
                                        ; implicit-def: $vgpr10_vgpr11
	v_cmpx_lt_u32_e64 v55, v53
	s_cbranch_execz .LBB721_113
; %bb.112:
	v_lshl_add_u32 v0, v55, 3, v20
	ds_load_b64 v[10:11], v0
.LBB721_113:
	s_or_b32 exec_lo, exec_lo, s14
	s_waitcnt lgkmcnt(0)
	v_and_b32_e32 v1, v11, v70
	v_and_b32_e32 v0, v10, v69
	;; [unrolled: 1-line block ×4, first 2 shown]
	s_delay_alu instid0(VALU_DEP_1) | instskip(NEXT) | instid1(VALU_DEP_1)
	v_cmp_le_u64_e64 s11, v[0:1], v[4:5]
	s_and_b32 s7, s7, s11
	s_delay_alu instid0(SALU_CYCLE_1) | instskip(NEXT) | instid1(SALU_CYCLE_1)
	s_or_b32 s7, s10, s7
	v_cndmask_b32_e64 v12, v55, v54, s7
	v_cndmask_b32_e64 v0, v53, v52, s7
	s_delay_alu instid0(VALU_DEP_2) | instskip(NEXT) | instid1(VALU_DEP_2)
	v_add_nc_u32_e32 v13, 1, v12
	v_add_nc_u32_e32 v0, -1, v0
	v_lshl_add_u32 v12, v12, 3, v20
	s_delay_alu instid0(VALU_DEP_3) | instskip(NEXT) | instid1(VALU_DEP_3)
	v_cndmask_b32_e64 v14, v54, v13, s7
	v_min_u32_e32 v0, v13, v0
	v_cndmask_b32_e64 v13, v13, v55, s7
	s_delay_alu instid0(VALU_DEP_3) | instskip(NEXT) | instid1(VALU_DEP_3)
	v_cmp_lt_u32_e64 s11, v14, v52
	v_lshl_add_u32 v0, v0, 3, v20
	s_delay_alu instid0(VALU_DEP_3)
	v_cmp_ge_u32_e64 s14, v13, v53
	ds_load_b64 v[0:1], v0
	s_waitcnt lgkmcnt(0)
	v_cndmask_b32_e64 v28, v1, v11, s7
	v_cndmask_b32_e64 v29, v0, v10, s7
	;; [unrolled: 1-line block ×5, first 2 shown]
	v_and_b32_e32 v1, v28, v70
	v_and_b32_e32 v0, v29, v69
	;; [unrolled: 1-line block ×4, first 2 shown]
	v_cndmask_b32_e64 v8, v10, v8, s7
	s_delay_alu instid0(VALU_DEP_2) | instskip(NEXT) | instid1(VALU_DEP_1)
	v_cmp_le_u64_e64 s10, v[0:1], v[4:5]
	s_and_b32 s10, s11, s10
	s_delay_alu instid0(SALU_CYCLE_1) | instskip(NEXT) | instid1(SALU_CYCLE_1)
	s_or_b32 s10, s14, s10
	v_cndmask_b32_e64 v15, v13, v14, s10
	v_cndmask_b32_e64 v0, v53, v52, s10
	;; [unrolled: 1-line block ×3, first 2 shown]
	s_delay_alu instid0(VALU_DEP_3) | instskip(NEXT) | instid1(VALU_DEP_3)
	v_add_nc_u32_e32 v16, 1, v15
	v_add_nc_u32_e32 v0, -1, v0
	s_delay_alu instid0(VALU_DEP_2) | instskip(NEXT) | instid1(VALU_DEP_2)
	v_cndmask_b32_e64 v14, v14, v16, s10
	v_min_u32_e32 v0, v16, v0
	v_cndmask_b32_e64 v13, v16, v13, s10
	s_delay_alu instid0(VALU_DEP_3) | instskip(NEXT) | instid1(VALU_DEP_3)
	v_cmp_lt_u32_e64 s14, v14, v52
	v_lshl_add_u32 v0, v0, 3, v20
	s_delay_alu instid0(VALU_DEP_3)
	v_cmp_ge_u32_e64 s15, v13, v53
	ds_load_b64 v[0:1], v0
	s_waitcnt lgkmcnt(0)
	v_cndmask_b32_e64 v36, v1, v28, s10
	v_cndmask_b32_e64 v38, v0, v29, s10
	;; [unrolled: 1-line block ×4, first 2 shown]
	s_delay_alu instid0(VALU_DEP_4) | instskip(NEXT) | instid1(VALU_DEP_4)
	v_and_b32_e32 v1, v36, v70
	v_and_b32_e32 v0, v38, v69
	s_delay_alu instid0(VALU_DEP_4) | instskip(NEXT) | instid1(VALU_DEP_4)
	v_and_b32_e32 v5, v37, v70
	v_and_b32_e32 v4, v39, v69
	s_delay_alu instid0(VALU_DEP_1) | instskip(NEXT) | instid1(VALU_DEP_1)
	v_cmp_le_u64_e64 s11, v[0:1], v[4:5]
	s_and_b32 s11, s14, s11
	s_delay_alu instid0(SALU_CYCLE_1) | instskip(NEXT) | instid1(SALU_CYCLE_1)
	s_or_b32 s11, s15, s11
	v_cndmask_b32_e64 v16, v13, v14, s11
	v_cndmask_b32_e64 v0, v53, v52, s11
	s_delay_alu instid0(VALU_DEP_2) | instskip(NEXT) | instid1(VALU_DEP_2)
	v_add_nc_u32_e32 v17, 1, v16
	v_add_nc_u32_e32 v0, -1, v0
	s_delay_alu instid0(VALU_DEP_2) | instskip(NEXT) | instid1(VALU_DEP_2)
	v_cndmask_b32_e64 v14, v14, v17, s11
	v_min_u32_e32 v0, v17, v0
	v_cndmask_b32_e64 v13, v17, v13, s11
	s_delay_alu instid0(VALU_DEP_3) | instskip(NEXT) | instid1(VALU_DEP_3)
	v_cmp_lt_u32_e64 s15, v14, v52
	v_lshl_add_u32 v0, v0, 3, v20
	s_delay_alu instid0(VALU_DEP_3)
	v_cmp_ge_u32_e64 s16, v13, v53
	ds_load_b64 v[0:1], v0
	s_waitcnt lgkmcnt(0)
	v_cndmask_b32_e64 v48, v1, v36, s11
	v_cndmask_b32_e64 v50, v0, v38, s11
	;; [unrolled: 1-line block ×5, first 2 shown]
	v_and_b32_e32 v1, v48, v70
	v_and_b32_e32 v0, v50, v69
	;; [unrolled: 1-line block ×4, first 2 shown]
	v_cndmask_b32_e64 v36, v38, v39, s11
	s_delay_alu instid0(VALU_DEP_2) | instskip(NEXT) | instid1(VALU_DEP_1)
	v_cmp_le_u64_e64 s14, v[0:1], v[4:5]
	s_and_b32 s14, s15, s14
	s_delay_alu instid0(SALU_CYCLE_1) | instskip(NEXT) | instid1(SALU_CYCLE_1)
	s_or_b32 s14, s16, s14
	v_cndmask_b32_e64 v17, v13, v14, s14
	v_cndmask_b32_e64 v0, v53, v52, s14
	s_delay_alu instid0(VALU_DEP_2) | instskip(NEXT) | instid1(VALU_DEP_2)
	v_add_nc_u32_e32 v18, 1, v17
	v_add_nc_u32_e32 v0, -1, v0
	s_delay_alu instid0(VALU_DEP_2) | instskip(NEXT) | instid1(VALU_DEP_2)
	v_cndmask_b32_e64 v14, v14, v18, s14
	v_min_u32_e32 v0, v18, v0
	v_cndmask_b32_e64 v13, v18, v13, s14
	s_delay_alu instid0(VALU_DEP_3) | instskip(NEXT) | instid1(VALU_DEP_3)
	v_cmp_lt_u32_e64 s16, v14, v52
	v_lshl_add_u32 v0, v0, 3, v20
	s_delay_alu instid0(VALU_DEP_3)
	v_cmp_ge_u32_e64 s17, v13, v53
	ds_load_b64 v[0:1], v0
	s_waitcnt lgkmcnt(0)
	v_cndmask_b32_e64 v54, v1, v48, s14
	v_cndmask_b32_e64 v55, v0, v50, s14
	;; [unrolled: 1-line block ×5, first 2 shown]
	v_and_b32_e32 v1, v54, v70
	v_and_b32_e32 v0, v55, v69
	;; [unrolled: 1-line block ×4, first 2 shown]
	v_cndmask_b32_e64 v48, v50, v51, s14
	s_delay_alu instid0(VALU_DEP_2) | instskip(NEXT) | instid1(VALU_DEP_1)
	v_cmp_le_u64_e64 s15, v[0:1], v[4:5]
	s_and_b32 s15, s16, s15
	s_delay_alu instid0(SALU_CYCLE_1) | instskip(NEXT) | instid1(SALU_CYCLE_1)
	s_or_b32 s15, s17, s15
	v_cndmask_b32_e64 v18, v13, v14, s15
	v_cndmask_b32_e64 v0, v53, v52, s15
	;; [unrolled: 1-line block ×4, first 2 shown]
	s_delay_alu instid0(VALU_DEP_4) | instskip(NEXT) | instid1(VALU_DEP_4)
	v_add_nc_u32_e32 v19, 1, v18
	v_add_nc_u32_e32 v0, -1, v0
	s_delay_alu instid0(VALU_DEP_2) | instskip(NEXT) | instid1(VALU_DEP_2)
	v_cndmask_b32_e64 v14, v14, v19, s15
	v_min_u32_e32 v0, v19, v0
	v_cndmask_b32_e64 v13, v19, v13, s15
	s_delay_alu instid0(VALU_DEP_3) | instskip(NEXT) | instid1(VALU_DEP_3)
	v_cmp_lt_u32_e64 s17, v14, v52
	v_lshl_add_u32 v0, v0, 3, v20
	s_delay_alu instid0(VALU_DEP_3)
	v_cmp_ge_u32_e64 s18, v13, v53
	ds_load_b64 v[0:1], v0
	s_waitcnt lgkmcnt(0)
	v_cndmask_b32_e64 v71, v1, v54, s15
	v_cndmask_b32_e64 v80, v0, v55, s15
	;; [unrolled: 1-line block ×4, first 2 shown]
	s_delay_alu instid0(VALU_DEP_4) | instskip(NEXT) | instid1(VALU_DEP_4)
	v_and_b32_e32 v1, v71, v70
	v_and_b32_e32 v0, v80, v69
	s_delay_alu instid0(VALU_DEP_4) | instskip(NEXT) | instid1(VALU_DEP_4)
	v_and_b32_e32 v5, v81, v70
	v_and_b32_e32 v4, v82, v69
	s_delay_alu instid0(VALU_DEP_1) | instskip(NEXT) | instid1(VALU_DEP_1)
	v_cmp_le_u64_e64 s16, v[0:1], v[4:5]
	s_and_b32 s16, s17, s16
	s_delay_alu instid0(SALU_CYCLE_1) | instskip(NEXT) | instid1(SALU_CYCLE_1)
	s_or_b32 s16, s18, s16
	v_cndmask_b32_e64 v19, v13, v14, s16
	v_cndmask_b32_e64 v0, v53, v52, s16
	;; [unrolled: 1-line block ×3, first 2 shown]
	s_delay_alu instid0(VALU_DEP_3) | instskip(NEXT) | instid1(VALU_DEP_3)
	v_add_nc_u32_e32 v22, 1, v19
	v_add_nc_u32_e32 v0, -1, v0
	s_delay_alu instid0(VALU_DEP_2) | instskip(NEXT) | instid1(VALU_DEP_2)
	v_cndmask_b32_e64 v14, v14, v22, s16
	v_min_u32_e32 v0, v22, v0
	v_cndmask_b32_e64 v13, v22, v13, s16
	s_delay_alu instid0(VALU_DEP_3) | instskip(NEXT) | instid1(VALU_DEP_3)
	v_cmp_lt_u32_e64 s18, v14, v52
	v_lshl_add_u32 v0, v0, 3, v20
	s_delay_alu instid0(VALU_DEP_3)
	v_cmp_ge_u32_e64 s19, v13, v53
	ds_load_b64 v[0:1], v0
	s_waitcnt lgkmcnt(0)
	v_cndmask_b32_e64 v83, v1, v71, s16
	v_cndmask_b32_e64 v84, v0, v80, s16
	;; [unrolled: 1-line block ×4, first 2 shown]
	s_delay_alu instid0(VALU_DEP_4) | instskip(NEXT) | instid1(VALU_DEP_4)
	v_and_b32_e32 v1, v83, v70
	v_and_b32_e32 v0, v84, v69
	s_delay_alu instid0(VALU_DEP_4) | instskip(NEXT) | instid1(VALU_DEP_4)
	v_and_b32_e32 v5, v85, v70
	v_and_b32_e32 v4, v86, v69
	s_delay_alu instid0(VALU_DEP_1) | instskip(NEXT) | instid1(VALU_DEP_1)
	v_cmp_le_u64_e64 s17, v[0:1], v[4:5]
	s_and_b32 s17, s18, s17
	s_delay_alu instid0(SALU_CYCLE_1) | instskip(NEXT) | instid1(SALU_CYCLE_1)
	s_or_b32 s17, s19, s17
	v_cndmask_b32_e64 v22, v13, v14, s17
	v_cndmask_b32_e64 v0, v53, v52, s17
	;; [unrolled: 1-line block ×4, first 2 shown]
	s_delay_alu instid0(VALU_DEP_4) | instskip(NEXT) | instid1(VALU_DEP_4)
	v_add_nc_u32_e32 v23, 1, v22
	v_add_nc_u32_e32 v0, -1, v0
	v_lshl_add_u32 v22, v22, 3, v20
	s_delay_alu instid0(VALU_DEP_3) | instskip(NEXT) | instid1(VALU_DEP_3)
	v_cndmask_b32_e64 v24, v14, v23, s17
	v_min_u32_e32 v0, v23, v0
	v_cndmask_b32_e64 v23, v23, v13, s17
	v_lshl_add_u32 v14, v15, 3, v20
	v_lshl_add_u32 v13, v16, 3, v20
	v_cmp_lt_u32_e64 s19, v24, v52
	v_lshl_add_u32 v0, v0, 3, v20
	v_cmp_ge_u32_e64 s20, v23, v53
	v_lshl_add_u32 v16, v18, 3, v20
	ds_load_b64 v[0:1], v0
	s_waitcnt lgkmcnt(0)
	v_cndmask_b32_e64 v87, v1, v83, s17
	v_cndmask_b32_e64 v96, v0, v84, s17
	;; [unrolled: 1-line block ×4, first 2 shown]
	s_delay_alu instid0(VALU_DEP_4) | instskip(NEXT) | instid1(VALU_DEP_4)
	v_and_b32_e32 v1, v87, v70
	v_and_b32_e32 v0, v96, v69
	s_delay_alu instid0(VALU_DEP_4) | instskip(NEXT) | instid1(VALU_DEP_4)
	v_and_b32_e32 v5, v97, v70
	v_and_b32_e32 v4, v98, v69
	s_delay_alu instid0(VALU_DEP_1)
	v_cmp_le_u64_e64 s18, v[0:1], v[4:5]
	v_lshl_add_u32 v4, v17, 3, v20
	ds_load_b64 v[0:1], v12 offset:16384
	ds_load_b64 v[14:15], v14 offset:16384
	;; [unrolled: 1-line block ×3, first 2 shown]
	s_and_b32 s18, s19, s18
	s_delay_alu instid0(SALU_CYCLE_1) | instskip(NEXT) | instid1(SALU_CYCLE_1)
	s_or_b32 s18, s20, s18
	v_cndmask_b32_e64 v5, v23, v24, s18
	v_lshl_add_u32 v23, v19, 3, v20
	ds_load_b64 v[18:19], v4 offset:16384
	v_cndmask_b32_e64 v28, v96, v98, s18
	v_lshl_add_u32 v34, v5, 3, v20
	ds_load_b64 v[16:17], v16 offset:16384
	ds_load_b64 v[24:25], v23 offset:16384
	ds_load_b64 v[4:5], v22 offset:16384
	ds_load_b64 v[22:23], v34 offset:16384
	v_cndmask_b32_e64 v34, v29, v33, s10
	v_cndmask_b32_e64 v33, v71, v81, s16
	;; [unrolled: 1-line block ×3, first 2 shown]
.LBB721_114:
	s_or_b32 exec_lo, exec_lo, s22
	v_and_b32_e32 v54, 0x80, v67
	s_mov_b32 s10, exec_lo
	; wave barrier
	ds_store_2addr_b64 v21, v[8:9], v[34:35] offset1:1
	ds_store_2addr_b64 v21, v[36:37], v[48:49] offset0:2 offset1:3
	v_or_b32_e32 v10, 64, v54
	s_waitcnt lgkmcnt(8)
	ds_store_2addr_b64 v30, v[0:1], v[14:15] offset1:1
	s_waitcnt lgkmcnt(7)
	ds_store_2addr_b64 v30, v[12:13], v[18:19] offset0:2 offset1:3
	ds_store_2addr_b64 v21, v[38:39], v[32:33] offset0:4 offset1:5
	;; [unrolled: 1-line block ×3, first 2 shown]
	s_waitcnt lgkmcnt(8)
	ds_store_2addr_b64 v30, v[16:17], v[24:25] offset0:4 offset1:5
	s_waitcnt lgkmcnt(7)
	ds_store_2addr_b64 v30, v[4:5], v[22:23] offset0:6 offset1:7
	; wave barrier
	v_min_u32_e32 v52, v31, v10
	s_delay_alu instid0(VALU_DEP_1) | instskip(NEXT) | instid1(VALU_DEP_1)
	v_add_nc_u32_e32 v10, 64, v52
	v_min_u32_e32 v53, v31, v10
	v_min_u32_e32 v31, v31, v68
	v_sub_nc_u32_e32 v10, v52, v54
	s_delay_alu instid0(VALU_DEP_3) | instskip(NEXT) | instid1(VALU_DEP_2)
	v_sub_nc_u32_e32 v11, v53, v52
	v_min_u32_e32 v55, v31, v10
	s_delay_alu instid0(VALU_DEP_2) | instskip(SKIP_1) | instid1(VALU_DEP_2)
	v_sub_nc_u32_e64 v10, v31, v11 clamp
	v_lshl_add_u32 v11, v54, 3, v20
	v_cmpx_lt_u32_e64 v10, v55
	s_cbranch_execz .LBB721_118
; %bb.115:
	v_lshlrev_b32_e32 v21, 3, v52
	v_lshlrev_b32_e32 v30, 3, v31
	s_mov_b32 s11, 0
	s_delay_alu instid0(VALU_DEP_1)
	v_add3_u32 v21, v20, v21, v30
	.p2align	6
.LBB721_116:                            ; =>This Inner Loop Header: Depth=1
	v_add_nc_u32_e32 v30, v55, v10
	s_delay_alu instid0(VALU_DEP_1) | instskip(NEXT) | instid1(VALU_DEP_1)
	v_lshrrev_b32_e32 v30, 1, v30
	v_not_b32_e32 v64, v30
	v_lshl_add_u32 v65, v30, 3, v11
	s_delay_alu instid0(VALU_DEP_2)
	v_lshl_add_u32 v67, v64, 3, v21
	ds_load_b64 v[64:65], v65
	ds_load_b64 v[67:68], v67
	s_waitcnt lgkmcnt(1)
	v_and_b32_e32 v65, v65, v70
	v_and_b32_e32 v64, v64, v69
	s_waitcnt lgkmcnt(0)
	v_and_b32_e32 v68, v68, v70
	v_and_b32_e32 v67, v67, v69
	s_delay_alu instid0(VALU_DEP_1) | instskip(SKIP_1) | instid1(VALU_DEP_2)
	v_cmp_gt_u64_e64 s7, v[67:68], v[64:65]
	v_add_nc_u32_e32 v64, 1, v30
	v_cndmask_b32_e64 v55, v55, v30, s7
	s_delay_alu instid0(VALU_DEP_2) | instskip(NEXT) | instid1(VALU_DEP_1)
	v_cndmask_b32_e64 v10, v64, v10, s7
	v_cmp_ge_u32_e64 s7, v10, v55
	s_delay_alu instid0(VALU_DEP_1) | instskip(NEXT) | instid1(SALU_CYCLE_1)
	s_or_b32 s11, s7, s11
	s_and_not1_b32 exec_lo, exec_lo, s11
	s_cbranch_execnz .LBB721_116
; %bb.117:
	s_or_b32 exec_lo, exec_lo, s11
.LBB721_118:
	s_delay_alu instid0(SALU_CYCLE_1) | instskip(SKIP_2) | instid1(VALU_DEP_2)
	s_or_b32 exec_lo, exec_lo, s10
	v_add_nc_u32_e32 v30, v52, v31
	v_add_nc_u32_e32 v21, v10, v54
	v_sub_nc_u32_e32 v30, v30, v10
	s_delay_alu instid0(VALU_DEP_2) | instskip(NEXT) | instid1(VALU_DEP_2)
	v_cmp_le_u32_e64 s7, v21, v52
	v_cmp_le_u32_e64 s10, v30, v53
	s_delay_alu instid0(VALU_DEP_1) | instskip(NEXT) | instid1(SALU_CYCLE_1)
	s_or_b32 s7, s7, s10
	s_and_saveexec_b32 s22, s7
	s_cbranch_execz .LBB721_124
; %bb.119:
	v_cmp_lt_u32_e64 s7, v21, v52
                                        ; implicit-def: $vgpr8_vgpr9
	s_delay_alu instid0(VALU_DEP_1)
	s_and_saveexec_b32 s10, s7
	s_cbranch_execz .LBB721_121
; %bb.120:
	v_lshl_add_u32 v0, v10, 3, v11
	ds_load_b64 v[8:9], v0
.LBB721_121:
	s_or_b32 exec_lo, exec_lo, s10
	v_cmp_ge_u32_e64 s10, v30, v53
	s_mov_b32 s14, exec_lo
                                        ; implicit-def: $vgpr10_vgpr11
	v_cmpx_lt_u32_e64 v30, v53
	s_cbranch_execz .LBB721_123
; %bb.122:
	v_lshl_add_u32 v0, v30, 3, v20
	ds_load_b64 v[10:11], v0
.LBB721_123:
	s_or_b32 exec_lo, exec_lo, s14
	s_waitcnt lgkmcnt(0)
	v_and_b32_e32 v1, v11, v70
	v_and_b32_e32 v0, v10, v69
	;; [unrolled: 1-line block ×4, first 2 shown]
	s_delay_alu instid0(VALU_DEP_1) | instskip(NEXT) | instid1(VALU_DEP_1)
	v_cmp_le_u64_e64 s11, v[0:1], v[4:5]
	s_and_b32 s7, s7, s11
	s_delay_alu instid0(SALU_CYCLE_1) | instskip(NEXT) | instid1(SALU_CYCLE_1)
	s_or_b32 s7, s10, s7
	v_cndmask_b32_e64 v12, v30, v21, s7
	v_cndmask_b32_e64 v0, v53, v52, s7
	s_delay_alu instid0(VALU_DEP_2) | instskip(NEXT) | instid1(VALU_DEP_2)
	v_add_nc_u32_e32 v13, 1, v12
	v_add_nc_u32_e32 v0, -1, v0
	v_lshl_add_u32 v12, v12, 3, v20
	s_delay_alu instid0(VALU_DEP_3) | instskip(NEXT) | instid1(VALU_DEP_3)
	v_cndmask_b32_e64 v14, v21, v13, s7
	v_min_u32_e32 v0, v13, v0
	v_cndmask_b32_e64 v13, v13, v30, s7
	s_delay_alu instid0(VALU_DEP_3) | instskip(NEXT) | instid1(VALU_DEP_3)
	v_cmp_lt_u32_e64 s11, v14, v52
	v_lshl_add_u32 v0, v0, 3, v20
	s_delay_alu instid0(VALU_DEP_3)
	v_cmp_ge_u32_e64 s14, v13, v53
	ds_load_b64 v[0:1], v0
	s_waitcnt lgkmcnt(0)
	v_cndmask_b32_e64 v28, v1, v11, s7
	v_cndmask_b32_e64 v29, v0, v10, s7
	v_cndmask_b32_e64 v31, v9, v1, s7
	v_cndmask_b32_e64 v32, v8, v0, s7
	v_cndmask_b32_e64 v9, v11, v9, s7
	v_and_b32_e32 v1, v28, v70
	v_and_b32_e32 v0, v29, v69
	v_and_b32_e32 v5, v31, v70
	v_and_b32_e32 v4, v32, v69
	v_cndmask_b32_e64 v8, v10, v8, s7
	s_delay_alu instid0(VALU_DEP_2) | instskip(NEXT) | instid1(VALU_DEP_1)
	v_cmp_le_u64_e64 s10, v[0:1], v[4:5]
	s_and_b32 s10, s11, s10
	s_delay_alu instid0(SALU_CYCLE_1) | instskip(NEXT) | instid1(SALU_CYCLE_1)
	s_or_b32 s10, s14, s10
	v_cndmask_b32_e64 v15, v13, v14, s10
	v_cndmask_b32_e64 v0, v53, v52, s10
	;; [unrolled: 1-line block ×4, first 2 shown]
	s_delay_alu instid0(VALU_DEP_4) | instskip(NEXT) | instid1(VALU_DEP_4)
	v_add_nc_u32_e32 v16, 1, v15
	v_add_nc_u32_e32 v0, -1, v0
	s_delay_alu instid0(VALU_DEP_2) | instskip(NEXT) | instid1(VALU_DEP_2)
	v_cndmask_b32_e64 v14, v14, v16, s10
	v_min_u32_e32 v0, v16, v0
	v_cndmask_b32_e64 v13, v16, v13, s10
	s_delay_alu instid0(VALU_DEP_3) | instskip(NEXT) | instid1(VALU_DEP_3)
	v_cmp_lt_u32_e64 s14, v14, v52
	v_lshl_add_u32 v0, v0, 3, v20
	s_delay_alu instid0(VALU_DEP_3)
	v_cmp_ge_u32_e64 s15, v13, v53
	ds_load_b64 v[0:1], v0
	s_waitcnt lgkmcnt(0)
	v_cndmask_b32_e64 v21, v1, v28, s10
	v_cndmask_b32_e64 v30, v0, v29, s10
	;; [unrolled: 1-line block ×4, first 2 shown]
	s_delay_alu instid0(VALU_DEP_4) | instskip(NEXT) | instid1(VALU_DEP_4)
	v_and_b32_e32 v1, v21, v70
	v_and_b32_e32 v0, v30, v69
	s_delay_alu instid0(VALU_DEP_4) | instskip(NEXT) | instid1(VALU_DEP_4)
	v_and_b32_e32 v5, v33, v70
	v_and_b32_e32 v4, v36, v69
	s_delay_alu instid0(VALU_DEP_1) | instskip(NEXT) | instid1(VALU_DEP_1)
	v_cmp_le_u64_e64 s11, v[0:1], v[4:5]
	s_and_b32 s11, s14, s11
	s_delay_alu instid0(SALU_CYCLE_1) | instskip(NEXT) | instid1(SALU_CYCLE_1)
	s_or_b32 s11, s15, s11
	v_cndmask_b32_e64 v16, v13, v14, s11
	v_cndmask_b32_e64 v0, v53, v52, s11
	;; [unrolled: 1-line block ×3, first 2 shown]
	s_delay_alu instid0(VALU_DEP_3) | instskip(NEXT) | instid1(VALU_DEP_3)
	v_add_nc_u32_e32 v17, 1, v16
	v_add_nc_u32_e32 v0, -1, v0
	s_delay_alu instid0(VALU_DEP_2) | instskip(NEXT) | instid1(VALU_DEP_2)
	v_cndmask_b32_e64 v14, v14, v17, s11
	v_min_u32_e32 v0, v17, v0
	v_cndmask_b32_e64 v13, v17, v13, s11
	s_delay_alu instid0(VALU_DEP_3) | instskip(NEXT) | instid1(VALU_DEP_3)
	v_cmp_lt_u32_e64 s15, v14, v52
	v_lshl_add_u32 v0, v0, 3, v20
	s_delay_alu instid0(VALU_DEP_3)
	v_cmp_ge_u32_e64 s16, v13, v53
	ds_load_b64 v[0:1], v0
	s_waitcnt lgkmcnt(0)
	v_cndmask_b32_e64 v38, v1, v21, s11
	v_cndmask_b32_e64 v39, v0, v30, s11
	;; [unrolled: 1-line block ×5, first 2 shown]
	v_and_b32_e32 v1, v38, v70
	v_and_b32_e32 v0, v39, v69
	;; [unrolled: 1-line block ×4, first 2 shown]
	s_delay_alu instid0(VALU_DEP_1) | instskip(NEXT) | instid1(VALU_DEP_1)
	v_cmp_le_u64_e64 s14, v[0:1], v[4:5]
	s_and_b32 s14, s15, s14
	s_delay_alu instid0(SALU_CYCLE_1) | instskip(NEXT) | instid1(SALU_CYCLE_1)
	s_or_b32 s14, s16, s14
	v_cndmask_b32_e64 v17, v13, v14, s14
	v_cndmask_b32_e64 v0, v53, v52, s14
	;; [unrolled: 1-line block ×3, first 2 shown]
	s_delay_alu instid0(VALU_DEP_3) | instskip(NEXT) | instid1(VALU_DEP_3)
	v_add_nc_u32_e32 v18, 1, v17
	v_add_nc_u32_e32 v0, -1, v0
	s_delay_alu instid0(VALU_DEP_2) | instskip(NEXT) | instid1(VALU_DEP_2)
	v_cndmask_b32_e64 v14, v14, v18, s14
	v_min_u32_e32 v0, v18, v0
	v_cndmask_b32_e64 v13, v18, v13, s14
	s_delay_alu instid0(VALU_DEP_3) | instskip(NEXT) | instid1(VALU_DEP_3)
	v_cmp_lt_u32_e64 s16, v14, v52
	v_lshl_add_u32 v0, v0, 3, v20
	s_delay_alu instid0(VALU_DEP_3)
	v_cmp_ge_u32_e64 s17, v13, v53
	ds_load_b64 v[0:1], v0
	s_waitcnt lgkmcnt(0)
	v_cndmask_b32_e64 v51, v1, v38, s14
	v_cndmask_b32_e64 v54, v0, v39, s14
	;; [unrolled: 1-line block ×5, first 2 shown]
	v_and_b32_e32 v1, v51, v70
	v_and_b32_e32 v0, v54, v69
	;; [unrolled: 1-line block ×4, first 2 shown]
	s_delay_alu instid0(VALU_DEP_1) | instskip(NEXT) | instid1(VALU_DEP_1)
	v_cmp_le_u64_e64 s15, v[0:1], v[4:5]
	s_and_b32 s15, s16, s15
	s_delay_alu instid0(SALU_CYCLE_1) | instskip(NEXT) | instid1(SALU_CYCLE_1)
	s_or_b32 s15, s17, s15
	v_cndmask_b32_e64 v18, v13, v14, s15
	v_cndmask_b32_e64 v0, v53, v52, s15
	;; [unrolled: 1-line block ×4, first 2 shown]
	s_delay_alu instid0(VALU_DEP_4) | instskip(NEXT) | instid1(VALU_DEP_4)
	v_add_nc_u32_e32 v19, 1, v18
	v_add_nc_u32_e32 v0, -1, v0
	s_delay_alu instid0(VALU_DEP_2) | instskip(NEXT) | instid1(VALU_DEP_2)
	v_cndmask_b32_e64 v14, v14, v19, s15
	v_min_u32_e32 v0, v19, v0
	v_cndmask_b32_e64 v13, v19, v13, s15
	s_delay_alu instid0(VALU_DEP_3) | instskip(NEXT) | instid1(VALU_DEP_3)
	v_cmp_lt_u32_e64 s17, v14, v52
	v_lshl_add_u32 v0, v0, 3, v20
	s_delay_alu instid0(VALU_DEP_3)
	v_cmp_ge_u32_e64 s18, v13, v53
	ds_load_b64 v[0:1], v0
	s_waitcnt lgkmcnt(0)
	v_cndmask_b32_e64 v65, v1, v51, s15
	v_cndmask_b32_e64 v67, v0, v54, s15
	;; [unrolled: 1-line block ×4, first 2 shown]
	s_delay_alu instid0(VALU_DEP_4) | instskip(NEXT) | instid1(VALU_DEP_4)
	v_and_b32_e32 v1, v65, v70
	v_and_b32_e32 v0, v67, v69
	s_delay_alu instid0(VALU_DEP_4) | instskip(NEXT) | instid1(VALU_DEP_4)
	v_and_b32_e32 v5, v68, v70
	v_and_b32_e32 v4, v71, v69
	s_delay_alu instid0(VALU_DEP_1) | instskip(NEXT) | instid1(VALU_DEP_1)
	v_cmp_le_u64_e64 s16, v[0:1], v[4:5]
	s_and_b32 s16, s17, s16
	s_delay_alu instid0(SALU_CYCLE_1) | instskip(NEXT) | instid1(SALU_CYCLE_1)
	s_or_b32 s16, s18, s16
	v_cndmask_b32_e64 v19, v13, v14, s16
	v_cndmask_b32_e64 v0, v53, v52, s16
	;; [unrolled: 1-line block ×4, first 2 shown]
	s_delay_alu instid0(VALU_DEP_4) | instskip(NEXT) | instid1(VALU_DEP_4)
	v_add_nc_u32_e32 v22, 1, v19
	v_add_nc_u32_e32 v0, -1, v0
	s_delay_alu instid0(VALU_DEP_2) | instskip(NEXT) | instid1(VALU_DEP_2)
	v_cndmask_b32_e64 v14, v14, v22, s16
	v_min_u32_e32 v0, v22, v0
	v_cndmask_b32_e64 v13, v22, v13, s16
	s_delay_alu instid0(VALU_DEP_3) | instskip(NEXT) | instid1(VALU_DEP_3)
	v_cmp_lt_u32_e64 s18, v14, v52
	v_lshl_add_u32 v0, v0, 3, v20
	s_delay_alu instid0(VALU_DEP_3)
	v_cmp_ge_u32_e64 s19, v13, v53
	ds_load_b64 v[0:1], v0
	s_waitcnt lgkmcnt(0)
	v_cndmask_b32_e64 v80, v1, v65, s16
	v_cndmask_b32_e64 v81, v0, v67, s16
	;; [unrolled: 1-line block ×4, first 2 shown]
	s_delay_alu instid0(VALU_DEP_4) | instskip(NEXT) | instid1(VALU_DEP_4)
	v_and_b32_e32 v1, v80, v70
	v_and_b32_e32 v0, v81, v69
	s_delay_alu instid0(VALU_DEP_4) | instskip(NEXT) | instid1(VALU_DEP_4)
	v_and_b32_e32 v5, v82, v70
	v_and_b32_e32 v4, v83, v69
	s_delay_alu instid0(VALU_DEP_1) | instskip(NEXT) | instid1(VALU_DEP_1)
	v_cmp_le_u64_e64 s17, v[0:1], v[4:5]
	s_and_b32 s17, s18, s17
	s_delay_alu instid0(SALU_CYCLE_1) | instskip(NEXT) | instid1(SALU_CYCLE_1)
	s_or_b32 s17, s19, s17
	v_cndmask_b32_e64 v22, v13, v14, s17
	v_cndmask_b32_e64 v0, v53, v52, s17
	;; [unrolled: 1-line block ×4, first 2 shown]
	s_delay_alu instid0(VALU_DEP_4) | instskip(NEXT) | instid1(VALU_DEP_4)
	v_add_nc_u32_e32 v23, 1, v22
	v_add_nc_u32_e32 v0, -1, v0
	v_lshl_add_u32 v22, v22, 3, v20
	s_delay_alu instid0(VALU_DEP_3) | instskip(NEXT) | instid1(VALU_DEP_3)
	v_cndmask_b32_e64 v24, v14, v23, s17
	v_min_u32_e32 v0, v23, v0
	v_cndmask_b32_e64 v23, v23, v13, s17
	v_lshl_add_u32 v14, v15, 3, v20
	v_lshl_add_u32 v13, v16, 3, v20
	v_cmp_lt_u32_e64 s19, v24, v52
	v_lshl_add_u32 v0, v0, 3, v20
	v_cmp_ge_u32_e64 s20, v23, v53
	v_lshl_add_u32 v16, v18, 3, v20
	ds_load_b64 v[0:1], v0
	s_waitcnt lgkmcnt(0)
	v_cndmask_b32_e64 v84, v1, v80, s17
	v_cndmask_b32_e64 v85, v0, v81, s17
	;; [unrolled: 1-line block ×4, first 2 shown]
	s_delay_alu instid0(VALU_DEP_4) | instskip(NEXT) | instid1(VALU_DEP_4)
	v_and_b32_e32 v1, v84, v70
	v_and_b32_e32 v0, v85, v69
	s_delay_alu instid0(VALU_DEP_4) | instskip(NEXT) | instid1(VALU_DEP_4)
	v_and_b32_e32 v5, v86, v70
	v_and_b32_e32 v4, v87, v69
	s_delay_alu instid0(VALU_DEP_1)
	v_cmp_le_u64_e64 s18, v[0:1], v[4:5]
	v_lshl_add_u32 v4, v17, 3, v20
	ds_load_b64 v[0:1], v12 offset:16384
	ds_load_b64 v[14:15], v14 offset:16384
	ds_load_b64 v[12:13], v13 offset:16384
	s_and_b32 s18, s19, s18
	s_delay_alu instid0(SALU_CYCLE_1) | instskip(NEXT) | instid1(SALU_CYCLE_1)
	s_or_b32 s18, s20, s18
	v_cndmask_b32_e64 v5, v23, v24, s18
	v_lshl_add_u32 v23, v19, 3, v20
	ds_load_b64 v[18:19], v4 offset:16384
	v_cndmask_b32_e64 v29, v84, v86, s18
	v_cndmask_b32_e64 v28, v85, v87, s18
	v_lshl_add_u32 v20, v5, 3, v20
	ds_load_b64 v[16:17], v16 offset:16384
	ds_load_b64 v[24:25], v23 offset:16384
	;; [unrolled: 1-line block ×4, first 2 shown]
.LBB721_124:
	s_or_b32 exec_lo, exec_lo, s22
	; wave barrier
	s_waitcnt lgkmcnt(0)
	s_waitcnt_vscnt null, 0x0
	s_barrier
                                        ; implicit-def: $vgpr67
                                        ; implicit-def: $vgpr68
                                        ; implicit-def: $vgpr21
                                        ; implicit-def: $vgpr30
                                        ; implicit-def: $vgpr20
.LBB721_125:
	s_and_not1_saveexec_b32 s17, s21
	s_cbranch_execz .LBB721_225
; %bb.126:
	s_load_b64 s[10:11], s[8:9], 0x0
	v_mov_b32_e32 v10, 0
	s_waitcnt lgkmcnt(0)
	s_cmp_lt_u32 s13, s11
	s_cselect_b32 s7, 14, 20
	s_delay_alu instid0(SALU_CYCLE_1) | instskip(SKIP_4) | instid1(SALU_CYCLE_1)
	s_add_u32 s14, s8, s7
	s_addc_u32 s15, s9, 0
	s_cmp_lt_u32 s12, s10
	global_load_u16 v11, v10, s[14:15]
	s_cselect_b32 s7, 12, 18
	s_add_u32 s8, s8, s7
	s_addc_u32 s9, s9, 0
	global_load_u16 v10, v10, s[8:9]
	s_mov_b32 s8, exec_lo
	s_waitcnt vmcnt(1)
	v_mad_u32_u24 v11, v30, v11, v21
	s_waitcnt vmcnt(0)
	s_delay_alu instid0(VALU_DEP_1) | instskip(NEXT) | instid1(VALU_DEP_1)
	v_mul_lo_u32 v10, v11, v10
	v_add_lshl_u32 v69, v10, v20, 3
	s_delay_alu instid0(VALU_DEP_1)
	v_cmpx_gt_u32_e32 0x800, v69
	s_cbranch_execz .LBB721_184
; %bb.127:
	v_dual_mov_b32 v10, v34 :: v_dual_mov_b32 v11, v35
	v_dual_mov_b32 v31, v15 :: v_dual_mov_b32 v30, v14
	s_mov_b32 s9, exec_lo
	v_cmpx_gt_i64_e64 v[34:35], v[8:9]
; %bb.128:
	v_dual_mov_b32 v11, v9 :: v_dual_mov_b32 v10, v8
	v_dual_mov_b32 v8, v34 :: v_dual_mov_b32 v9, v35
	v_dual_mov_b32 v31, v1 :: v_dual_mov_b32 v30, v0
	v_dual_mov_b32 v0, v14 :: v_dual_mov_b32 v1, v15
; %bb.129:
	s_or_b32 exec_lo, exec_lo, s9
	v_dual_mov_b32 v53, v49 :: v_dual_mov_b32 v52, v48
	v_dual_mov_b32 v35, v19 :: v_dual_mov_b32 v34, v18
	s_mov_b32 s9, exec_lo
	v_cmpx_gt_i64_e64 v[48:49], v[36:37]
; %bb.130:
	v_dual_mov_b32 v53, v37 :: v_dual_mov_b32 v52, v36
	v_dual_mov_b32 v36, v48 :: v_dual_mov_b32 v37, v49
	v_dual_mov_b32 v35, v13 :: v_dual_mov_b32 v34, v12
	v_dual_mov_b32 v12, v18 :: v_dual_mov_b32 v13, v19
; %bb.131:
	s_or_b32 exec_lo, exec_lo, s9
	;; [unrolled: 11-line block ×4, first 2 shown]
	v_cmp_gt_i64_e64 s7, v[36:37], v[10:11]
	v_dual_mov_b32 v20, v36 :: v_dual_mov_b32 v21, v37
	v_dual_mov_b32 v23, v13 :: v_dual_mov_b32 v22, v12
	s_delay_alu instid0(VALU_DEP_3) | instskip(NEXT) | instid1(SALU_CYCLE_1)
	s_and_saveexec_b32 s9, s7
	s_xor_b32 s7, exec_lo, s9
; %bb.136:
	v_dual_mov_b32 v21, v11 :: v_dual_mov_b32 v20, v10
	v_dual_mov_b32 v10, v36 :: v_dual_mov_b32 v11, v37
	v_dual_mov_b32 v22, v30 :: v_dual_mov_b32 v23, v31
	v_dual_mov_b32 v31, v13 :: v_dual_mov_b32 v30, v12
; %bb.137:
	s_or_b32 exec_lo, exec_lo, s7
	v_dual_mov_b32 v50, v52 :: v_dual_mov_b32 v51, v53
	v_dual_mov_b32 v37, v17 :: v_dual_mov_b32 v36, v16
	s_mov_b32 s9, exec_lo
	v_cmpx_gt_i64_e64 v[48:49], v[52:53]
; %bb.138:
	v_dual_mov_b32 v51, v49 :: v_dual_mov_b32 v50, v48
	v_dual_mov_b32 v37, v35 :: v_dual_mov_b32 v36, v34
	v_dual_mov_b32 v35, v17 :: v_dual_mov_b32 v34, v16
	v_dual_mov_b32 v48, v52 :: v_dual_mov_b32 v49, v53
; %bb.139:
	s_or_b32 exec_lo, exec_lo, s9
	v_dual_mov_b32 v13, v5 :: v_dual_mov_b32 v12, v4
	v_dual_mov_b32 v39, v33 :: v_dual_mov_b32 v38, v32
	s_mov_b32 s9, exec_lo
	v_cmpx_gt_i64_e64 v[24:25], v[32:33]
	;; [unrolled: 11-line block ×23, first 2 shown]
; %bb.182:
	v_dual_mov_b32 v51, v33 :: v_dual_mov_b32 v50, v32
	v_dual_mov_b32 v32, v52 :: v_dual_mov_b32 v33, v53
	;; [unrolled: 1-line block ×4, first 2 shown]
; %bb.183:
	s_or_b32 exec_lo, exec_lo, s9
.LBB721_184:
	s_delay_alu instid0(SALU_CYCLE_1) | instskip(SKIP_4) | instid1(VALU_DEP_3)
	s_or_b32 exec_lo, exec_lo, s8
	v_and_b32_e32 v10, 0xffffff00, v69
	v_or_b32_e32 v11, 8, v67
	v_and_b32_e32 v54, 0xf0, v67
	s_mov_b32 s8, exec_lo
	v_sub_nc_u32_e64 v31, 0x800, v10 clamp
	v_lshlrev_b32_e32 v20, 3, v10
	v_and_b32_e32 v10, 8, v67
	s_delay_alu instid0(VALU_DEP_3) | instskip(NEXT) | instid1(VALU_DEP_3)
	v_min_u32_e32 v52, v31, v11
	v_lshl_or_b32 v21, v67, 3, v20
	s_delay_alu instid0(VALU_DEP_3)
	v_min_u32_e32 v55, v31, v10
	ds_store_2addr_b64 v21, v[8:9], v[34:35] offset1:1
	ds_store_2addr_b64 v21, v[36:37], v[48:49] offset0:2 offset1:3
	v_add_nc_u32_e32 v11, 8, v52
	v_add_nc_u32_e32 v30, 0x4000, v21
	v_sub_nc_u32_e32 v64, v52, v54
	v_add_nc_u32_e32 v10, 0x4010, v21
	v_add_nc_u32_e32 v65, 0x4020, v21
	v_min_u32_e32 v53, v31, v11
	ds_store_2addr_b64 v30, v[0:1], v[14:15] offset1:1
	ds_store_2addr_b64 v10, v[12:13], v[18:19] offset1:1
	v_min_u32_e32 v64, v55, v64
	v_add_nc_u32_e32 v69, 0x4030, v21
	v_sub_nc_u32_e32 v11, v53, v52
	ds_store_2addr_b64 v21, v[38:39], v[32:33] offset0:4 offset1:5
	ds_store_2addr_b64 v21, v[50:51], v[28:29] offset0:6 offset1:7
	ds_store_2addr_b64 v65, v[16:17], v[24:25] offset1:1
	ds_store_2addr_b64 v69, v[4:5], v[22:23] offset1:1
	v_sub_nc_u32_e64 v10, v55, v11 clamp
	v_lshl_or_b32 v11, v54, 3, v20
	; wave barrier
	s_delay_alu instid0(VALU_DEP_2)
	v_cmpx_lt_u32_e64 v10, v64
	s_cbranch_execz .LBB721_188
; %bb.185:
	v_lshlrev_b32_e32 v65, 3, v52
	v_lshlrev_b32_e32 v69, 3, v55
	s_mov_b32 s9, 0
	s_delay_alu instid0(VALU_DEP_1)
	v_add3_u32 v65, v20, v65, v69
	.p2align	6
.LBB721_186:                            ; =>This Inner Loop Header: Depth=1
	v_add_nc_u32_e32 v69, v64, v10
	s_delay_alu instid0(VALU_DEP_1) | instskip(NEXT) | instid1(VALU_DEP_1)
	v_lshrrev_b32_e32 v71, 1, v69
	v_not_b32_e32 v69, v71
	v_lshl_add_u32 v70, v71, 3, v11
	s_delay_alu instid0(VALU_DEP_2)
	v_lshl_add_u32 v80, v69, 3, v65
	ds_load_b64 v[69:70], v70
	ds_load_b64 v[80:81], v80
	s_waitcnt lgkmcnt(0)
	v_cmp_gt_i64_e64 s7, v[80:81], v[69:70]
	v_add_nc_u32_e32 v69, 1, v71
	s_delay_alu instid0(VALU_DEP_2) | instskip(NEXT) | instid1(VALU_DEP_2)
	v_cndmask_b32_e64 v64, v64, v71, s7
	v_cndmask_b32_e64 v10, v69, v10, s7
	s_delay_alu instid0(VALU_DEP_1) | instskip(NEXT) | instid1(VALU_DEP_1)
	v_cmp_ge_u32_e64 s7, v10, v64
	s_or_b32 s9, s7, s9
	s_delay_alu instid0(SALU_CYCLE_1)
	s_and_not1_b32 exec_lo, exec_lo, s9
	s_cbranch_execnz .LBB721_186
; %bb.187:
	s_or_b32 exec_lo, exec_lo, s9
.LBB721_188:
	s_delay_alu instid0(SALU_CYCLE_1) | instskip(SKIP_2) | instid1(VALU_DEP_2)
	s_or_b32 exec_lo, exec_lo, s8
	v_add_nc_u32_e32 v55, v52, v55
	v_add_nc_u32_e32 v54, v10, v54
	v_sub_nc_u32_e32 v55, v55, v10
	s_delay_alu instid0(VALU_DEP_2) | instskip(NEXT) | instid1(VALU_DEP_2)
	v_cmp_le_u32_e64 s7, v54, v52
	v_cmp_le_u32_e64 s8, v55, v53
	s_delay_alu instid0(VALU_DEP_1) | instskip(NEXT) | instid1(SALU_CYCLE_1)
	s_or_b32 s7, s7, s8
	s_and_saveexec_b32 s18, s7
	s_cbranch_execz .LBB721_194
; %bb.189:
	v_cmp_lt_u32_e64 s7, v54, v52
                                        ; implicit-def: $vgpr8_vgpr9
	s_delay_alu instid0(VALU_DEP_1)
	s_and_saveexec_b32 s8, s7
	s_cbranch_execz .LBB721_191
; %bb.190:
	v_lshl_add_u32 v0, v10, 3, v11
	ds_load_b64 v[8:9], v0
.LBB721_191:
	s_or_b32 exec_lo, exec_lo, s8
	v_cmp_ge_u32_e64 s8, v55, v53
	s_mov_b32 s10, exec_lo
                                        ; implicit-def: $vgpr10_vgpr11
	v_cmpx_lt_u32_e64 v55, v53
	s_cbranch_execz .LBB721_193
; %bb.192:
	v_lshl_add_u32 v0, v55, 3, v20
	ds_load_b64 v[10:11], v0
.LBB721_193:
	s_or_b32 exec_lo, exec_lo, s10
	s_waitcnt lgkmcnt(0)
	v_cmp_le_i64_e64 s9, v[10:11], v[8:9]
	s_delay_alu instid0(VALU_DEP_1) | instskip(NEXT) | instid1(SALU_CYCLE_1)
	s_and_b32 s7, s7, s9
	s_or_b32 s7, s8, s7
	s_delay_alu instid0(SALU_CYCLE_1) | instskip(SKIP_1) | instid1(VALU_DEP_2)
	v_cndmask_b32_e64 v4, v55, v54, s7
	v_cndmask_b32_e64 v0, v53, v52, s7
	v_add_nc_u32_e32 v5, 1, v4
	s_delay_alu instid0(VALU_DEP_2) | instskip(SKIP_1) | instid1(VALU_DEP_3)
	v_add_nc_u32_e32 v0, -1, v0
	v_lshl_add_u32 v4, v4, 3, v20
	v_cndmask_b32_e64 v12, v54, v5, s7
	s_delay_alu instid0(VALU_DEP_3) | instskip(SKIP_1) | instid1(VALU_DEP_3)
	v_min_u32_e32 v0, v5, v0
	v_cndmask_b32_e64 v5, v5, v55, s7
	v_cmp_lt_u32_e64 s9, v12, v52
	s_delay_alu instid0(VALU_DEP_3) | instskip(NEXT) | instid1(VALU_DEP_3)
	v_lshl_add_u32 v0, v0, 3, v20
	v_cmp_ge_u32_e64 s10, v5, v53
	ds_load_b64 v[0:1], v0
	s_waitcnt lgkmcnt(0)
	v_cndmask_b32_e64 v29, v1, v11, s7
	v_cndmask_b32_e64 v28, v0, v10, s7
	;; [unrolled: 1-line block ×6, first 2 shown]
	s_delay_alu instid0(VALU_DEP_3) | instskip(NEXT) | instid1(VALU_DEP_1)
	v_cmp_le_i64_e64 s8, v[28:29], v[32:33]
	s_and_b32 s8, s9, s8
	s_delay_alu instid0(SALU_CYCLE_1) | instskip(NEXT) | instid1(SALU_CYCLE_1)
	s_or_b32 s8, s10, s8
	v_cndmask_b32_e64 v13, v5, v12, s8
	v_cndmask_b32_e64 v0, v53, v52, s8
	;; [unrolled: 1-line block ×3, first 2 shown]
	s_delay_alu instid0(VALU_DEP_3) | instskip(NEXT) | instid1(VALU_DEP_3)
	v_add_nc_u32_e32 v14, 1, v13
	v_add_nc_u32_e32 v0, -1, v0
	s_delay_alu instid0(VALU_DEP_2) | instskip(NEXT) | instid1(VALU_DEP_2)
	v_cndmask_b32_e64 v12, v12, v14, s8
	v_min_u32_e32 v0, v14, v0
	v_cndmask_b32_e64 v5, v14, v5, s8
	s_delay_alu instid0(VALU_DEP_3) | instskip(NEXT) | instid1(VALU_DEP_3)
	v_cmp_lt_u32_e64 s10, v12, v52
	v_lshl_add_u32 v0, v0, 3, v20
	s_delay_alu instid0(VALU_DEP_3)
	v_cmp_ge_u32_e64 s11, v5, v53
	ds_load_b64 v[0:1], v0
	s_waitcnt lgkmcnt(0)
	v_cndmask_b32_e64 v37, v1, v29, s8
	v_cndmask_b32_e64 v36, v0, v28, s8
	;; [unrolled: 1-line block ×4, first 2 shown]
	s_delay_alu instid0(VALU_DEP_1) | instskip(NEXT) | instid1(VALU_DEP_1)
	v_cmp_le_i64_e64 s9, v[36:37], v[38:39]
	s_and_b32 s9, s10, s9
	s_delay_alu instid0(SALU_CYCLE_1) | instskip(NEXT) | instid1(SALU_CYCLE_1)
	s_or_b32 s9, s11, s9
	v_cndmask_b32_e64 v14, v5, v12, s9
	v_cndmask_b32_e64 v0, v53, v52, s9
	s_delay_alu instid0(VALU_DEP_2) | instskip(NEXT) | instid1(VALU_DEP_2)
	v_add_nc_u32_e32 v15, 1, v14
	v_add_nc_u32_e32 v0, -1, v0
	s_delay_alu instid0(VALU_DEP_2) | instskip(NEXT) | instid1(VALU_DEP_2)
	v_cndmask_b32_e64 v12, v12, v15, s9
	v_min_u32_e32 v0, v15, v0
	v_cndmask_b32_e64 v5, v15, v5, s9
	s_delay_alu instid0(VALU_DEP_3) | instskip(NEXT) | instid1(VALU_DEP_3)
	v_cmp_lt_u32_e64 s11, v12, v52
	v_lshl_add_u32 v0, v0, 3, v20
	s_delay_alu instid0(VALU_DEP_3)
	v_cmp_ge_u32_e64 s12, v5, v53
	ds_load_b64 v[0:1], v0
	s_waitcnt lgkmcnt(0)
	v_cndmask_b32_e64 v49, v1, v37, s9
	v_cndmask_b32_e64 v48, v0, v36, s9
	;; [unrolled: 1-line block ×6, first 2 shown]
	s_delay_alu instid0(VALU_DEP_3) | instskip(NEXT) | instid1(VALU_DEP_1)
	v_cmp_le_i64_e64 s10, v[48:49], v[50:51]
	s_and_b32 s10, s11, s10
	s_delay_alu instid0(SALU_CYCLE_1) | instskip(NEXT) | instid1(SALU_CYCLE_1)
	s_or_b32 s10, s12, s10
	v_cndmask_b32_e64 v16, v5, v12, s10
	v_cndmask_b32_e64 v0, v53, v52, s10
	s_delay_alu instid0(VALU_DEP_2) | instskip(NEXT) | instid1(VALU_DEP_2)
	v_add_nc_u32_e32 v15, 1, v16
	v_add_nc_u32_e32 v0, -1, v0
	s_delay_alu instid0(VALU_DEP_2) | instskip(NEXT) | instid1(VALU_DEP_2)
	v_cndmask_b32_e64 v12, v12, v15, s10
	v_min_u32_e32 v0, v15, v0
	v_cndmask_b32_e64 v5, v15, v5, s10
	s_delay_alu instid0(VALU_DEP_3) | instskip(NEXT) | instid1(VALU_DEP_3)
	v_cmp_lt_u32_e64 s12, v12, v52
	v_lshl_add_u32 v0, v0, 3, v20
	s_delay_alu instid0(VALU_DEP_3)
	v_cmp_ge_u32_e64 s13, v5, v53
	ds_load_b64 v[0:1], v0
	s_waitcnt lgkmcnt(0)
	v_cndmask_b32_e64 v55, v1, v49, s10
	v_cndmask_b32_e64 v54, v0, v48, s10
	;; [unrolled: 1-line block ×6, first 2 shown]
	s_delay_alu instid0(VALU_DEP_3) | instskip(NEXT) | instid1(VALU_DEP_1)
	v_cmp_le_i64_e64 s11, v[54:55], v[64:65]
	s_and_b32 s11, s12, s11
	s_delay_alu instid0(SALU_CYCLE_1) | instskip(NEXT) | instid1(SALU_CYCLE_1)
	s_or_b32 s11, s13, s11
	v_cndmask_b32_e64 v17, v5, v12, s11
	v_cndmask_b32_e64 v0, v53, v52, s11
	;; [unrolled: 1-line block ×4, first 2 shown]
	s_delay_alu instid0(VALU_DEP_4) | instskip(NEXT) | instid1(VALU_DEP_4)
	v_add_nc_u32_e32 v15, 1, v17
	v_add_nc_u32_e32 v0, -1, v0
	s_delay_alu instid0(VALU_DEP_2) | instskip(NEXT) | instid1(VALU_DEP_2)
	v_cndmask_b32_e64 v12, v12, v15, s11
	v_min_u32_e32 v0, v15, v0
	v_cndmask_b32_e64 v5, v15, v5, s11
	s_delay_alu instid0(VALU_DEP_3) | instskip(NEXT) | instid1(VALU_DEP_3)
	v_cmp_lt_u32_e64 s13, v12, v52
	v_lshl_add_u32 v0, v0, 3, v20
	s_delay_alu instid0(VALU_DEP_3)
	v_cmp_ge_u32_e64 s14, v5, v53
	ds_load_b64 v[0:1], v0
	s_waitcnt lgkmcnt(0)
	v_cndmask_b32_e64 v70, v1, v55, s11
	v_cndmask_b32_e64 v69, v0, v54, s11
	v_cndmask_b32_e64 v81, v65, v1, s11
	v_cndmask_b32_e64 v80, v64, v0, s11
	s_delay_alu instid0(VALU_DEP_1) | instskip(NEXT) | instid1(VALU_DEP_1)
	v_cmp_le_i64_e64 s12, v[69:70], v[80:81]
	s_and_b32 s12, s13, s12
	s_delay_alu instid0(SALU_CYCLE_1) | instskip(NEXT) | instid1(SALU_CYCLE_1)
	s_or_b32 s12, s14, s12
	v_cndmask_b32_e64 v18, v5, v12, s12
	v_cndmask_b32_e64 v0, v53, v52, s12
	;; [unrolled: 1-line block ×3, first 2 shown]
	s_delay_alu instid0(VALU_DEP_3) | instskip(NEXT) | instid1(VALU_DEP_3)
	v_add_nc_u32_e32 v15, 1, v18
	v_add_nc_u32_e32 v0, -1, v0
	s_delay_alu instid0(VALU_DEP_2) | instskip(NEXT) | instid1(VALU_DEP_2)
	v_cndmask_b32_e64 v12, v12, v15, s12
	v_min_u32_e32 v0, v15, v0
	v_cndmask_b32_e64 v5, v15, v5, s12
	s_delay_alu instid0(VALU_DEP_3) | instskip(NEXT) | instid1(VALU_DEP_3)
	v_cmp_lt_u32_e64 s14, v12, v52
	v_lshl_add_u32 v0, v0, 3, v20
	s_delay_alu instid0(VALU_DEP_3)
	v_cmp_ge_u32_e64 s15, v5, v53
	ds_load_b64 v[0:1], v0
	s_waitcnt lgkmcnt(0)
	v_cndmask_b32_e64 v83, v1, v70, s12
	v_cndmask_b32_e64 v82, v0, v69, s12
	;; [unrolled: 1-line block ×4, first 2 shown]
	s_delay_alu instid0(VALU_DEP_1) | instskip(NEXT) | instid1(VALU_DEP_1)
	v_cmp_le_i64_e64 s13, v[82:83], v[84:85]
	s_and_b32 s13, s14, s13
	s_delay_alu instid0(SALU_CYCLE_1) | instskip(NEXT) | instid1(SALU_CYCLE_1)
	s_or_b32 s13, s15, s13
	v_cndmask_b32_e64 v19, v5, v12, s13
	v_cndmask_b32_e64 v0, v53, v52, s13
	;; [unrolled: 1-line block ×4, first 2 shown]
	s_delay_alu instid0(VALU_DEP_4) | instskip(NEXT) | instid1(VALU_DEP_4)
	v_add_nc_u32_e32 v15, 1, v19
	v_add_nc_u32_e32 v0, -1, v0
	v_lshl_add_u32 v23, v19, 3, v20
	s_delay_alu instid0(VALU_DEP_3) | instskip(NEXT) | instid1(VALU_DEP_3)
	v_cndmask_b32_e64 v22, v12, v15, s13
	v_min_u32_e32 v0, v15, v0
	v_cndmask_b32_e64 v5, v15, v5, s13
	v_lshl_add_u32 v12, v13, 3, v20
	v_lshl_add_u32 v13, v14, 3, v20
	v_cmp_lt_u32_e64 s15, v22, v52
	v_lshl_add_u32 v0, v0, 3, v20
	v_cmp_ge_u32_e64 s16, v5, v53
	ds_load_b64 v[0:1], v0
	s_waitcnt lgkmcnt(0)
	v_cndmask_b32_e64 v87, v1, v83, s13
	v_cndmask_b32_e64 v86, v0, v82, s13
	;; [unrolled: 1-line block ×4, first 2 shown]
	ds_load_b64 v[0:1], v4 offset:16384
	v_lshl_add_u32 v4, v16, 3, v20
	v_lshl_add_u32 v16, v17, 3, v20
	ds_load_b64 v[14:15], v12 offset:16384
	ds_load_b64 v[12:13], v13 offset:16384
	v_cmp_le_i64_e64 s14, v[86:87], v[96:97]
	s_delay_alu instid0(VALU_DEP_1) | instskip(NEXT) | instid1(SALU_CYCLE_1)
	s_and_b32 s14, s15, s14
	s_or_b32 s14, s16, s14
	s_delay_alu instid0(SALU_CYCLE_1)
	v_cndmask_b32_e64 v5, v5, v22, s14
	v_lshl_add_u32 v22, v18, 3, v20
	ds_load_b64 v[18:19], v4 offset:16384
	v_cndmask_b32_e64 v29, v87, v97, s14
	v_lshl_add_u32 v34, v5, 3, v20
	ds_load_b64 v[16:17], v16 offset:16384
	ds_load_b64 v[24:25], v22 offset:16384
	;; [unrolled: 1-line block ×4, first 2 shown]
	v_cndmask_b32_e64 v34, v28, v32, s8
	v_cndmask_b32_e64 v32, v69, v80, s12
	;; [unrolled: 1-line block ×3, first 2 shown]
.LBB721_194:
	s_or_b32 exec_lo, exec_lo, s18
	v_and_b32_e32 v54, 0xe0, v67
	v_and_b32_e32 v11, 24, v67
	s_mov_b32 s8, exec_lo
	; wave barrier
	s_delay_alu instid0(VALU_DEP_2) | instskip(NEXT) | instid1(VALU_DEP_2)
	v_or_b32_e32 v10, 16, v54
	v_min_u32_e32 v55, v31, v11
	ds_store_2addr_b64 v21, v[8:9], v[34:35] offset1:1
	ds_store_2addr_b64 v21, v[36:37], v[48:49] offset0:2 offset1:3
	s_waitcnt lgkmcnt(8)
	ds_store_2addr_b64 v30, v[0:1], v[14:15] offset1:1
	s_waitcnt lgkmcnt(7)
	ds_store_2addr_b64 v30, v[12:13], v[18:19] offset0:2 offset1:3
	ds_store_2addr_b64 v21, v[38:39], v[32:33] offset0:4 offset1:5
	;; [unrolled: 1-line block ×3, first 2 shown]
	s_waitcnt lgkmcnt(8)
	ds_store_2addr_b64 v30, v[16:17], v[24:25] offset0:4 offset1:5
	s_waitcnt lgkmcnt(7)
	ds_store_2addr_b64 v30, v[4:5], v[22:23] offset0:6 offset1:7
	v_min_u32_e32 v52, v31, v10
	; wave barrier
	s_delay_alu instid0(VALU_DEP_1) | instskip(NEXT) | instid1(VALU_DEP_1)
	v_add_nc_u32_e32 v10, 16, v52
	v_min_u32_e32 v53, v31, v10
	v_sub_nc_u32_e32 v10, v52, v54
	s_delay_alu instid0(VALU_DEP_2) | instskip(NEXT) | instid1(VALU_DEP_2)
	v_sub_nc_u32_e32 v11, v53, v52
	v_min_u32_e32 v64, v55, v10
	s_delay_alu instid0(VALU_DEP_2) | instskip(SKIP_1) | instid1(VALU_DEP_2)
	v_sub_nc_u32_e64 v10, v55, v11 clamp
	v_lshl_add_u32 v11, v54, 3, v20
	v_cmpx_lt_u32_e64 v10, v64
	s_cbranch_execz .LBB721_198
; %bb.195:
	v_lshlrev_b32_e32 v65, 3, v52
	v_lshlrev_b32_e32 v69, 3, v55
	s_mov_b32 s9, 0
	s_delay_alu instid0(VALU_DEP_1)
	v_add3_u32 v65, v20, v65, v69
	.p2align	6
.LBB721_196:                            ; =>This Inner Loop Header: Depth=1
	v_add_nc_u32_e32 v69, v64, v10
	s_delay_alu instid0(VALU_DEP_1) | instskip(NEXT) | instid1(VALU_DEP_1)
	v_lshrrev_b32_e32 v71, 1, v69
	v_not_b32_e32 v69, v71
	v_lshl_add_u32 v70, v71, 3, v11
	s_delay_alu instid0(VALU_DEP_2)
	v_lshl_add_u32 v80, v69, 3, v65
	ds_load_b64 v[69:70], v70
	ds_load_b64 v[80:81], v80
	s_waitcnt lgkmcnt(0)
	v_cmp_gt_i64_e64 s7, v[80:81], v[69:70]
	v_add_nc_u32_e32 v69, 1, v71
	s_delay_alu instid0(VALU_DEP_2) | instskip(NEXT) | instid1(VALU_DEP_2)
	v_cndmask_b32_e64 v64, v64, v71, s7
	v_cndmask_b32_e64 v10, v69, v10, s7
	s_delay_alu instid0(VALU_DEP_1) | instskip(NEXT) | instid1(VALU_DEP_1)
	v_cmp_ge_u32_e64 s7, v10, v64
	s_or_b32 s9, s7, s9
	s_delay_alu instid0(SALU_CYCLE_1)
	s_and_not1_b32 exec_lo, exec_lo, s9
	s_cbranch_execnz .LBB721_196
; %bb.197:
	s_or_b32 exec_lo, exec_lo, s9
.LBB721_198:
	s_delay_alu instid0(SALU_CYCLE_1) | instskip(SKIP_2) | instid1(VALU_DEP_2)
	s_or_b32 exec_lo, exec_lo, s8
	v_add_nc_u32_e32 v55, v52, v55
	v_add_nc_u32_e32 v54, v10, v54
	v_sub_nc_u32_e32 v55, v55, v10
	s_delay_alu instid0(VALU_DEP_2) | instskip(NEXT) | instid1(VALU_DEP_2)
	v_cmp_le_u32_e64 s7, v54, v52
	v_cmp_le_u32_e64 s8, v55, v53
	s_delay_alu instid0(VALU_DEP_1) | instskip(NEXT) | instid1(SALU_CYCLE_1)
	s_or_b32 s7, s7, s8
	s_and_saveexec_b32 s18, s7
	s_cbranch_execz .LBB721_204
; %bb.199:
	v_cmp_lt_u32_e64 s7, v54, v52
                                        ; implicit-def: $vgpr8_vgpr9
	s_delay_alu instid0(VALU_DEP_1)
	s_and_saveexec_b32 s8, s7
	s_cbranch_execz .LBB721_201
; %bb.200:
	v_lshl_add_u32 v0, v10, 3, v11
	ds_load_b64 v[8:9], v0
.LBB721_201:
	s_or_b32 exec_lo, exec_lo, s8
	v_cmp_ge_u32_e64 s8, v55, v53
	s_mov_b32 s10, exec_lo
                                        ; implicit-def: $vgpr10_vgpr11
	v_cmpx_lt_u32_e64 v55, v53
	s_cbranch_execz .LBB721_203
; %bb.202:
	v_lshl_add_u32 v0, v55, 3, v20
	ds_load_b64 v[10:11], v0
.LBB721_203:
	s_or_b32 exec_lo, exec_lo, s10
	s_waitcnt lgkmcnt(0)
	v_cmp_le_i64_e64 s9, v[10:11], v[8:9]
	s_delay_alu instid0(VALU_DEP_1) | instskip(NEXT) | instid1(SALU_CYCLE_1)
	s_and_b32 s7, s7, s9
	s_or_b32 s7, s8, s7
	s_delay_alu instid0(SALU_CYCLE_1) | instskip(SKIP_1) | instid1(VALU_DEP_2)
	v_cndmask_b32_e64 v4, v55, v54, s7
	v_cndmask_b32_e64 v0, v53, v52, s7
	v_add_nc_u32_e32 v5, 1, v4
	s_delay_alu instid0(VALU_DEP_2) | instskip(SKIP_1) | instid1(VALU_DEP_3)
	v_add_nc_u32_e32 v0, -1, v0
	v_lshl_add_u32 v4, v4, 3, v20
	v_cndmask_b32_e64 v12, v54, v5, s7
	s_delay_alu instid0(VALU_DEP_3) | instskip(SKIP_1) | instid1(VALU_DEP_3)
	v_min_u32_e32 v0, v5, v0
	v_cndmask_b32_e64 v5, v5, v55, s7
	v_cmp_lt_u32_e64 s9, v12, v52
	s_delay_alu instid0(VALU_DEP_3) | instskip(NEXT) | instid1(VALU_DEP_3)
	v_lshl_add_u32 v0, v0, 3, v20
	v_cmp_ge_u32_e64 s10, v5, v53
	ds_load_b64 v[0:1], v0
	s_waitcnt lgkmcnt(0)
	v_cndmask_b32_e64 v29, v1, v11, s7
	v_cndmask_b32_e64 v28, v0, v10, s7
	;; [unrolled: 1-line block ×6, first 2 shown]
	s_delay_alu instid0(VALU_DEP_3) | instskip(NEXT) | instid1(VALU_DEP_1)
	v_cmp_le_i64_e64 s8, v[28:29], v[32:33]
	s_and_b32 s8, s9, s8
	s_delay_alu instid0(SALU_CYCLE_1) | instskip(NEXT) | instid1(SALU_CYCLE_1)
	s_or_b32 s8, s10, s8
	v_cndmask_b32_e64 v13, v5, v12, s8
	v_cndmask_b32_e64 v0, v53, v52, s8
	v_cndmask_b32_e64 v35, v29, v33, s8
	s_delay_alu instid0(VALU_DEP_3) | instskip(NEXT) | instid1(VALU_DEP_3)
	v_add_nc_u32_e32 v14, 1, v13
	v_add_nc_u32_e32 v0, -1, v0
	s_delay_alu instid0(VALU_DEP_2) | instskip(NEXT) | instid1(VALU_DEP_2)
	v_cndmask_b32_e64 v12, v12, v14, s8
	v_min_u32_e32 v0, v14, v0
	v_cndmask_b32_e64 v5, v14, v5, s8
	s_delay_alu instid0(VALU_DEP_3) | instskip(NEXT) | instid1(VALU_DEP_3)
	v_cmp_lt_u32_e64 s10, v12, v52
	v_lshl_add_u32 v0, v0, 3, v20
	s_delay_alu instid0(VALU_DEP_3)
	v_cmp_ge_u32_e64 s11, v5, v53
	ds_load_b64 v[0:1], v0
	s_waitcnt lgkmcnt(0)
	v_cndmask_b32_e64 v37, v1, v29, s8
	v_cndmask_b32_e64 v36, v0, v28, s8
	;; [unrolled: 1-line block ×4, first 2 shown]
	s_delay_alu instid0(VALU_DEP_1) | instskip(NEXT) | instid1(VALU_DEP_1)
	v_cmp_le_i64_e64 s9, v[36:37], v[38:39]
	s_and_b32 s9, s10, s9
	s_delay_alu instid0(SALU_CYCLE_1) | instskip(NEXT) | instid1(SALU_CYCLE_1)
	s_or_b32 s9, s11, s9
	v_cndmask_b32_e64 v14, v5, v12, s9
	v_cndmask_b32_e64 v0, v53, v52, s9
	s_delay_alu instid0(VALU_DEP_2) | instskip(NEXT) | instid1(VALU_DEP_2)
	v_add_nc_u32_e32 v15, 1, v14
	v_add_nc_u32_e32 v0, -1, v0
	s_delay_alu instid0(VALU_DEP_2) | instskip(NEXT) | instid1(VALU_DEP_2)
	v_cndmask_b32_e64 v12, v12, v15, s9
	v_min_u32_e32 v0, v15, v0
	v_cndmask_b32_e64 v5, v15, v5, s9
	s_delay_alu instid0(VALU_DEP_3) | instskip(NEXT) | instid1(VALU_DEP_3)
	v_cmp_lt_u32_e64 s11, v12, v52
	v_lshl_add_u32 v0, v0, 3, v20
	s_delay_alu instid0(VALU_DEP_3)
	v_cmp_ge_u32_e64 s12, v5, v53
	ds_load_b64 v[0:1], v0
	s_waitcnt lgkmcnt(0)
	v_cndmask_b32_e64 v49, v1, v37, s9
	v_cndmask_b32_e64 v48, v0, v36, s9
	;; [unrolled: 1-line block ×6, first 2 shown]
	s_delay_alu instid0(VALU_DEP_3) | instskip(NEXT) | instid1(VALU_DEP_1)
	v_cmp_le_i64_e64 s10, v[48:49], v[50:51]
	s_and_b32 s10, s11, s10
	s_delay_alu instid0(SALU_CYCLE_1) | instskip(NEXT) | instid1(SALU_CYCLE_1)
	s_or_b32 s10, s12, s10
	v_cndmask_b32_e64 v16, v5, v12, s10
	v_cndmask_b32_e64 v0, v53, v52, s10
	s_delay_alu instid0(VALU_DEP_2) | instskip(NEXT) | instid1(VALU_DEP_2)
	v_add_nc_u32_e32 v15, 1, v16
	v_add_nc_u32_e32 v0, -1, v0
	s_delay_alu instid0(VALU_DEP_2) | instskip(NEXT) | instid1(VALU_DEP_2)
	v_cndmask_b32_e64 v12, v12, v15, s10
	v_min_u32_e32 v0, v15, v0
	v_cndmask_b32_e64 v5, v15, v5, s10
	s_delay_alu instid0(VALU_DEP_3) | instskip(NEXT) | instid1(VALU_DEP_3)
	v_cmp_lt_u32_e64 s12, v12, v52
	v_lshl_add_u32 v0, v0, 3, v20
	s_delay_alu instid0(VALU_DEP_3)
	v_cmp_ge_u32_e64 s13, v5, v53
	ds_load_b64 v[0:1], v0
	s_waitcnt lgkmcnt(0)
	v_cndmask_b32_e64 v55, v1, v49, s10
	v_cndmask_b32_e64 v54, v0, v48, s10
	;; [unrolled: 1-line block ×6, first 2 shown]
	s_delay_alu instid0(VALU_DEP_3) | instskip(NEXT) | instid1(VALU_DEP_1)
	v_cmp_le_i64_e64 s11, v[54:55], v[64:65]
	s_and_b32 s11, s12, s11
	s_delay_alu instid0(SALU_CYCLE_1) | instskip(NEXT) | instid1(SALU_CYCLE_1)
	s_or_b32 s11, s13, s11
	v_cndmask_b32_e64 v17, v5, v12, s11
	v_cndmask_b32_e64 v0, v53, v52, s11
	;; [unrolled: 1-line block ×4, first 2 shown]
	s_delay_alu instid0(VALU_DEP_4) | instskip(NEXT) | instid1(VALU_DEP_4)
	v_add_nc_u32_e32 v15, 1, v17
	v_add_nc_u32_e32 v0, -1, v0
	s_delay_alu instid0(VALU_DEP_2) | instskip(NEXT) | instid1(VALU_DEP_2)
	v_cndmask_b32_e64 v12, v12, v15, s11
	v_min_u32_e32 v0, v15, v0
	v_cndmask_b32_e64 v5, v15, v5, s11
	s_delay_alu instid0(VALU_DEP_3) | instskip(NEXT) | instid1(VALU_DEP_3)
	v_cmp_lt_u32_e64 s13, v12, v52
	v_lshl_add_u32 v0, v0, 3, v20
	s_delay_alu instid0(VALU_DEP_3)
	v_cmp_ge_u32_e64 s14, v5, v53
	ds_load_b64 v[0:1], v0
	s_waitcnt lgkmcnt(0)
	v_cndmask_b32_e64 v70, v1, v55, s11
	v_cndmask_b32_e64 v69, v0, v54, s11
	;; [unrolled: 1-line block ×4, first 2 shown]
	s_delay_alu instid0(VALU_DEP_1) | instskip(NEXT) | instid1(VALU_DEP_1)
	v_cmp_le_i64_e64 s12, v[69:70], v[80:81]
	s_and_b32 s12, s13, s12
	s_delay_alu instid0(SALU_CYCLE_1) | instskip(NEXT) | instid1(SALU_CYCLE_1)
	s_or_b32 s12, s14, s12
	v_cndmask_b32_e64 v18, v5, v12, s12
	v_cndmask_b32_e64 v0, v53, v52, s12
	;; [unrolled: 1-line block ×3, first 2 shown]
	s_delay_alu instid0(VALU_DEP_3) | instskip(NEXT) | instid1(VALU_DEP_3)
	v_add_nc_u32_e32 v15, 1, v18
	v_add_nc_u32_e32 v0, -1, v0
	s_delay_alu instid0(VALU_DEP_2) | instskip(NEXT) | instid1(VALU_DEP_2)
	v_cndmask_b32_e64 v12, v12, v15, s12
	v_min_u32_e32 v0, v15, v0
	v_cndmask_b32_e64 v5, v15, v5, s12
	s_delay_alu instid0(VALU_DEP_3) | instskip(NEXT) | instid1(VALU_DEP_3)
	v_cmp_lt_u32_e64 s14, v12, v52
	v_lshl_add_u32 v0, v0, 3, v20
	s_delay_alu instid0(VALU_DEP_3)
	v_cmp_ge_u32_e64 s15, v5, v53
	ds_load_b64 v[0:1], v0
	s_waitcnt lgkmcnt(0)
	v_cndmask_b32_e64 v83, v1, v70, s12
	v_cndmask_b32_e64 v82, v0, v69, s12
	;; [unrolled: 1-line block ×4, first 2 shown]
	s_delay_alu instid0(VALU_DEP_1) | instskip(NEXT) | instid1(VALU_DEP_1)
	v_cmp_le_i64_e64 s13, v[82:83], v[84:85]
	s_and_b32 s13, s14, s13
	s_delay_alu instid0(SALU_CYCLE_1) | instskip(NEXT) | instid1(SALU_CYCLE_1)
	s_or_b32 s13, s15, s13
	v_cndmask_b32_e64 v19, v5, v12, s13
	v_cndmask_b32_e64 v0, v53, v52, s13
	;; [unrolled: 1-line block ×4, first 2 shown]
	s_delay_alu instid0(VALU_DEP_4) | instskip(NEXT) | instid1(VALU_DEP_4)
	v_add_nc_u32_e32 v15, 1, v19
	v_add_nc_u32_e32 v0, -1, v0
	v_lshl_add_u32 v23, v19, 3, v20
	s_delay_alu instid0(VALU_DEP_3) | instskip(NEXT) | instid1(VALU_DEP_3)
	v_cndmask_b32_e64 v22, v12, v15, s13
	v_min_u32_e32 v0, v15, v0
	v_cndmask_b32_e64 v5, v15, v5, s13
	v_lshl_add_u32 v12, v13, 3, v20
	v_lshl_add_u32 v13, v14, 3, v20
	v_cmp_lt_u32_e64 s15, v22, v52
	v_lshl_add_u32 v0, v0, 3, v20
	v_cmp_ge_u32_e64 s16, v5, v53
	ds_load_b64 v[0:1], v0
	s_waitcnt lgkmcnt(0)
	v_cndmask_b32_e64 v87, v1, v83, s13
	v_cndmask_b32_e64 v86, v0, v82, s13
	v_cndmask_b32_e64 v97, v85, v1, s13
	v_cndmask_b32_e64 v96, v84, v0, s13
	ds_load_b64 v[0:1], v4 offset:16384
	v_lshl_add_u32 v4, v16, 3, v20
	v_lshl_add_u32 v16, v17, 3, v20
	ds_load_b64 v[14:15], v12 offset:16384
	ds_load_b64 v[12:13], v13 offset:16384
	v_cmp_le_i64_e64 s14, v[86:87], v[96:97]
	s_delay_alu instid0(VALU_DEP_1) | instskip(NEXT) | instid1(SALU_CYCLE_1)
	s_and_b32 s14, s15, s14
	s_or_b32 s14, s16, s14
	s_delay_alu instid0(SALU_CYCLE_1)
	v_cndmask_b32_e64 v5, v5, v22, s14
	v_lshl_add_u32 v22, v18, 3, v20
	ds_load_b64 v[18:19], v4 offset:16384
	v_cndmask_b32_e64 v29, v87, v97, s14
	v_lshl_add_u32 v34, v5, 3, v20
	ds_load_b64 v[16:17], v16 offset:16384
	ds_load_b64 v[24:25], v22 offset:16384
	;; [unrolled: 1-line block ×4, first 2 shown]
	v_cndmask_b32_e64 v34, v28, v32, s8
	v_cndmask_b32_e64 v32, v69, v80, s12
	;; [unrolled: 1-line block ×3, first 2 shown]
.LBB721_204:
	s_or_b32 exec_lo, exec_lo, s18
	v_and_b32_e32 v54, 0xc0, v67
	v_and_b32_e32 v11, 56, v67
	s_mov_b32 s8, exec_lo
	; wave barrier
	s_delay_alu instid0(VALU_DEP_2) | instskip(NEXT) | instid1(VALU_DEP_2)
	v_or_b32_e32 v10, 32, v54
	v_min_u32_e32 v55, v31, v11
	ds_store_2addr_b64 v21, v[8:9], v[34:35] offset1:1
	ds_store_2addr_b64 v21, v[36:37], v[48:49] offset0:2 offset1:3
	s_waitcnt lgkmcnt(8)
	ds_store_2addr_b64 v30, v[0:1], v[14:15] offset1:1
	s_waitcnt lgkmcnt(7)
	ds_store_2addr_b64 v30, v[12:13], v[18:19] offset0:2 offset1:3
	ds_store_2addr_b64 v21, v[38:39], v[32:33] offset0:4 offset1:5
	;; [unrolled: 1-line block ×3, first 2 shown]
	s_waitcnt lgkmcnt(8)
	ds_store_2addr_b64 v30, v[16:17], v[24:25] offset0:4 offset1:5
	s_waitcnt lgkmcnt(7)
	ds_store_2addr_b64 v30, v[4:5], v[22:23] offset0:6 offset1:7
	v_min_u32_e32 v52, v31, v10
	; wave barrier
	s_delay_alu instid0(VALU_DEP_1) | instskip(NEXT) | instid1(VALU_DEP_1)
	v_add_nc_u32_e32 v10, 32, v52
	v_min_u32_e32 v53, v31, v10
	v_sub_nc_u32_e32 v10, v52, v54
	s_delay_alu instid0(VALU_DEP_2) | instskip(NEXT) | instid1(VALU_DEP_2)
	v_sub_nc_u32_e32 v11, v53, v52
	v_min_u32_e32 v64, v55, v10
	s_delay_alu instid0(VALU_DEP_2) | instskip(SKIP_1) | instid1(VALU_DEP_2)
	v_sub_nc_u32_e64 v10, v55, v11 clamp
	v_lshl_add_u32 v11, v54, 3, v20
	v_cmpx_lt_u32_e64 v10, v64
	s_cbranch_execz .LBB721_208
; %bb.205:
	v_lshlrev_b32_e32 v65, 3, v52
	v_lshlrev_b32_e32 v69, 3, v55
	s_mov_b32 s9, 0
	s_delay_alu instid0(VALU_DEP_1)
	v_add3_u32 v65, v20, v65, v69
	.p2align	6
.LBB721_206:                            ; =>This Inner Loop Header: Depth=1
	v_add_nc_u32_e32 v69, v64, v10
	s_delay_alu instid0(VALU_DEP_1) | instskip(NEXT) | instid1(VALU_DEP_1)
	v_lshrrev_b32_e32 v71, 1, v69
	v_not_b32_e32 v69, v71
	v_lshl_add_u32 v70, v71, 3, v11
	s_delay_alu instid0(VALU_DEP_2)
	v_lshl_add_u32 v80, v69, 3, v65
	ds_load_b64 v[69:70], v70
	ds_load_b64 v[80:81], v80
	s_waitcnt lgkmcnt(0)
	v_cmp_gt_i64_e64 s7, v[80:81], v[69:70]
	v_add_nc_u32_e32 v69, 1, v71
	s_delay_alu instid0(VALU_DEP_2) | instskip(NEXT) | instid1(VALU_DEP_2)
	v_cndmask_b32_e64 v64, v64, v71, s7
	v_cndmask_b32_e64 v10, v69, v10, s7
	s_delay_alu instid0(VALU_DEP_1) | instskip(NEXT) | instid1(VALU_DEP_1)
	v_cmp_ge_u32_e64 s7, v10, v64
	s_or_b32 s9, s7, s9
	s_delay_alu instid0(SALU_CYCLE_1)
	s_and_not1_b32 exec_lo, exec_lo, s9
	s_cbranch_execnz .LBB721_206
; %bb.207:
	s_or_b32 exec_lo, exec_lo, s9
.LBB721_208:
	s_delay_alu instid0(SALU_CYCLE_1) | instskip(SKIP_2) | instid1(VALU_DEP_2)
	s_or_b32 exec_lo, exec_lo, s8
	v_add_nc_u32_e32 v55, v52, v55
	v_add_nc_u32_e32 v54, v10, v54
	v_sub_nc_u32_e32 v55, v55, v10
	s_delay_alu instid0(VALU_DEP_2) | instskip(NEXT) | instid1(VALU_DEP_2)
	v_cmp_le_u32_e64 s7, v54, v52
	v_cmp_le_u32_e64 s8, v55, v53
	s_delay_alu instid0(VALU_DEP_1) | instskip(NEXT) | instid1(SALU_CYCLE_1)
	s_or_b32 s7, s7, s8
	s_and_saveexec_b32 s18, s7
	s_cbranch_execz .LBB721_214
; %bb.209:
	v_cmp_lt_u32_e64 s7, v54, v52
                                        ; implicit-def: $vgpr8_vgpr9
	s_delay_alu instid0(VALU_DEP_1)
	s_and_saveexec_b32 s8, s7
	s_cbranch_execz .LBB721_211
; %bb.210:
	v_lshl_add_u32 v0, v10, 3, v11
	ds_load_b64 v[8:9], v0
.LBB721_211:
	s_or_b32 exec_lo, exec_lo, s8
	v_cmp_ge_u32_e64 s8, v55, v53
	s_mov_b32 s10, exec_lo
                                        ; implicit-def: $vgpr10_vgpr11
	v_cmpx_lt_u32_e64 v55, v53
	s_cbranch_execz .LBB721_213
; %bb.212:
	v_lshl_add_u32 v0, v55, 3, v20
	ds_load_b64 v[10:11], v0
.LBB721_213:
	s_or_b32 exec_lo, exec_lo, s10
	s_waitcnt lgkmcnt(0)
	v_cmp_le_i64_e64 s9, v[10:11], v[8:9]
	s_delay_alu instid0(VALU_DEP_1) | instskip(NEXT) | instid1(SALU_CYCLE_1)
	s_and_b32 s7, s7, s9
	s_or_b32 s7, s8, s7
	s_delay_alu instid0(SALU_CYCLE_1) | instskip(SKIP_1) | instid1(VALU_DEP_2)
	v_cndmask_b32_e64 v4, v55, v54, s7
	v_cndmask_b32_e64 v0, v53, v52, s7
	v_add_nc_u32_e32 v5, 1, v4
	s_delay_alu instid0(VALU_DEP_2) | instskip(SKIP_1) | instid1(VALU_DEP_3)
	v_add_nc_u32_e32 v0, -1, v0
	v_lshl_add_u32 v4, v4, 3, v20
	v_cndmask_b32_e64 v12, v54, v5, s7
	s_delay_alu instid0(VALU_DEP_3) | instskip(SKIP_1) | instid1(VALU_DEP_3)
	v_min_u32_e32 v0, v5, v0
	v_cndmask_b32_e64 v5, v5, v55, s7
	v_cmp_lt_u32_e64 s9, v12, v52
	s_delay_alu instid0(VALU_DEP_3) | instskip(NEXT) | instid1(VALU_DEP_3)
	v_lshl_add_u32 v0, v0, 3, v20
	v_cmp_ge_u32_e64 s10, v5, v53
	ds_load_b64 v[0:1], v0
	s_waitcnt lgkmcnt(0)
	v_cndmask_b32_e64 v29, v1, v11, s7
	v_cndmask_b32_e64 v28, v0, v10, s7
	v_cndmask_b32_e64 v33, v9, v1, s7
	v_cndmask_b32_e64 v32, v8, v0, s7
	v_cndmask_b32_e64 v9, v11, v9, s7
	v_cndmask_b32_e64 v8, v10, v8, s7
	s_delay_alu instid0(VALU_DEP_3) | instskip(NEXT) | instid1(VALU_DEP_1)
	v_cmp_le_i64_e64 s8, v[28:29], v[32:33]
	s_and_b32 s8, s9, s8
	s_delay_alu instid0(SALU_CYCLE_1) | instskip(NEXT) | instid1(SALU_CYCLE_1)
	s_or_b32 s8, s10, s8
	v_cndmask_b32_e64 v13, v5, v12, s8
	v_cndmask_b32_e64 v0, v53, v52, s8
	;; [unrolled: 1-line block ×3, first 2 shown]
	s_delay_alu instid0(VALU_DEP_3) | instskip(NEXT) | instid1(VALU_DEP_3)
	v_add_nc_u32_e32 v14, 1, v13
	v_add_nc_u32_e32 v0, -1, v0
	s_delay_alu instid0(VALU_DEP_2) | instskip(NEXT) | instid1(VALU_DEP_2)
	v_cndmask_b32_e64 v12, v12, v14, s8
	v_min_u32_e32 v0, v14, v0
	v_cndmask_b32_e64 v5, v14, v5, s8
	s_delay_alu instid0(VALU_DEP_3) | instskip(NEXT) | instid1(VALU_DEP_3)
	v_cmp_lt_u32_e64 s10, v12, v52
	v_lshl_add_u32 v0, v0, 3, v20
	s_delay_alu instid0(VALU_DEP_3)
	v_cmp_ge_u32_e64 s11, v5, v53
	ds_load_b64 v[0:1], v0
	s_waitcnt lgkmcnt(0)
	v_cndmask_b32_e64 v37, v1, v29, s8
	v_cndmask_b32_e64 v36, v0, v28, s8
	;; [unrolled: 1-line block ×4, first 2 shown]
	s_delay_alu instid0(VALU_DEP_1) | instskip(NEXT) | instid1(VALU_DEP_1)
	v_cmp_le_i64_e64 s9, v[36:37], v[38:39]
	s_and_b32 s9, s10, s9
	s_delay_alu instid0(SALU_CYCLE_1) | instskip(NEXT) | instid1(SALU_CYCLE_1)
	s_or_b32 s9, s11, s9
	v_cndmask_b32_e64 v14, v5, v12, s9
	v_cndmask_b32_e64 v0, v53, v52, s9
	s_delay_alu instid0(VALU_DEP_2) | instskip(NEXT) | instid1(VALU_DEP_2)
	v_add_nc_u32_e32 v15, 1, v14
	v_add_nc_u32_e32 v0, -1, v0
	s_delay_alu instid0(VALU_DEP_2) | instskip(NEXT) | instid1(VALU_DEP_2)
	v_cndmask_b32_e64 v12, v12, v15, s9
	v_min_u32_e32 v0, v15, v0
	v_cndmask_b32_e64 v5, v15, v5, s9
	s_delay_alu instid0(VALU_DEP_3) | instskip(NEXT) | instid1(VALU_DEP_3)
	v_cmp_lt_u32_e64 s11, v12, v52
	v_lshl_add_u32 v0, v0, 3, v20
	s_delay_alu instid0(VALU_DEP_3)
	v_cmp_ge_u32_e64 s12, v5, v53
	ds_load_b64 v[0:1], v0
	s_waitcnt lgkmcnt(0)
	v_cndmask_b32_e64 v49, v1, v37, s9
	v_cndmask_b32_e64 v48, v0, v36, s9
	;; [unrolled: 1-line block ×6, first 2 shown]
	s_delay_alu instid0(VALU_DEP_3) | instskip(NEXT) | instid1(VALU_DEP_1)
	v_cmp_le_i64_e64 s10, v[48:49], v[50:51]
	s_and_b32 s10, s11, s10
	s_delay_alu instid0(SALU_CYCLE_1) | instskip(NEXT) | instid1(SALU_CYCLE_1)
	s_or_b32 s10, s12, s10
	v_cndmask_b32_e64 v16, v5, v12, s10
	v_cndmask_b32_e64 v0, v53, v52, s10
	s_delay_alu instid0(VALU_DEP_2) | instskip(NEXT) | instid1(VALU_DEP_2)
	v_add_nc_u32_e32 v15, 1, v16
	v_add_nc_u32_e32 v0, -1, v0
	s_delay_alu instid0(VALU_DEP_2) | instskip(NEXT) | instid1(VALU_DEP_2)
	v_cndmask_b32_e64 v12, v12, v15, s10
	v_min_u32_e32 v0, v15, v0
	v_cndmask_b32_e64 v5, v15, v5, s10
	s_delay_alu instid0(VALU_DEP_3) | instskip(NEXT) | instid1(VALU_DEP_3)
	v_cmp_lt_u32_e64 s12, v12, v52
	v_lshl_add_u32 v0, v0, 3, v20
	s_delay_alu instid0(VALU_DEP_3)
	v_cmp_ge_u32_e64 s13, v5, v53
	ds_load_b64 v[0:1], v0
	s_waitcnt lgkmcnt(0)
	v_cndmask_b32_e64 v55, v1, v49, s10
	v_cndmask_b32_e64 v54, v0, v48, s10
	v_cndmask_b32_e64 v65, v51, v1, s10
	v_cndmask_b32_e64 v64, v50, v0, s10
	v_cndmask_b32_e64 v49, v49, v51, s10
	v_cndmask_b32_e64 v48, v48, v50, s10
	s_delay_alu instid0(VALU_DEP_3) | instskip(NEXT) | instid1(VALU_DEP_1)
	v_cmp_le_i64_e64 s11, v[54:55], v[64:65]
	s_and_b32 s11, s12, s11
	s_delay_alu instid0(SALU_CYCLE_1) | instskip(NEXT) | instid1(SALU_CYCLE_1)
	s_or_b32 s11, s13, s11
	v_cndmask_b32_e64 v17, v5, v12, s11
	v_cndmask_b32_e64 v0, v53, v52, s11
	;; [unrolled: 1-line block ×4, first 2 shown]
	s_delay_alu instid0(VALU_DEP_4) | instskip(NEXT) | instid1(VALU_DEP_4)
	v_add_nc_u32_e32 v15, 1, v17
	v_add_nc_u32_e32 v0, -1, v0
	s_delay_alu instid0(VALU_DEP_2) | instskip(NEXT) | instid1(VALU_DEP_2)
	v_cndmask_b32_e64 v12, v12, v15, s11
	v_min_u32_e32 v0, v15, v0
	v_cndmask_b32_e64 v5, v15, v5, s11
	s_delay_alu instid0(VALU_DEP_3) | instskip(NEXT) | instid1(VALU_DEP_3)
	v_cmp_lt_u32_e64 s13, v12, v52
	v_lshl_add_u32 v0, v0, 3, v20
	s_delay_alu instid0(VALU_DEP_3)
	v_cmp_ge_u32_e64 s14, v5, v53
	ds_load_b64 v[0:1], v0
	s_waitcnt lgkmcnt(0)
	v_cndmask_b32_e64 v70, v1, v55, s11
	v_cndmask_b32_e64 v69, v0, v54, s11
	;; [unrolled: 1-line block ×4, first 2 shown]
	s_delay_alu instid0(VALU_DEP_1) | instskip(NEXT) | instid1(VALU_DEP_1)
	v_cmp_le_i64_e64 s12, v[69:70], v[80:81]
	s_and_b32 s12, s13, s12
	s_delay_alu instid0(SALU_CYCLE_1) | instskip(NEXT) | instid1(SALU_CYCLE_1)
	s_or_b32 s12, s14, s12
	v_cndmask_b32_e64 v18, v5, v12, s12
	v_cndmask_b32_e64 v0, v53, v52, s12
	;; [unrolled: 1-line block ×3, first 2 shown]
	s_delay_alu instid0(VALU_DEP_3) | instskip(NEXT) | instid1(VALU_DEP_3)
	v_add_nc_u32_e32 v15, 1, v18
	v_add_nc_u32_e32 v0, -1, v0
	s_delay_alu instid0(VALU_DEP_2) | instskip(NEXT) | instid1(VALU_DEP_2)
	v_cndmask_b32_e64 v12, v12, v15, s12
	v_min_u32_e32 v0, v15, v0
	v_cndmask_b32_e64 v5, v15, v5, s12
	s_delay_alu instid0(VALU_DEP_3) | instskip(NEXT) | instid1(VALU_DEP_3)
	v_cmp_lt_u32_e64 s14, v12, v52
	v_lshl_add_u32 v0, v0, 3, v20
	s_delay_alu instid0(VALU_DEP_3)
	v_cmp_ge_u32_e64 s15, v5, v53
	ds_load_b64 v[0:1], v0
	s_waitcnt lgkmcnt(0)
	v_cndmask_b32_e64 v83, v1, v70, s12
	v_cndmask_b32_e64 v82, v0, v69, s12
	;; [unrolled: 1-line block ×4, first 2 shown]
	s_delay_alu instid0(VALU_DEP_1) | instskip(NEXT) | instid1(VALU_DEP_1)
	v_cmp_le_i64_e64 s13, v[82:83], v[84:85]
	s_and_b32 s13, s14, s13
	s_delay_alu instid0(SALU_CYCLE_1) | instskip(NEXT) | instid1(SALU_CYCLE_1)
	s_or_b32 s13, s15, s13
	v_cndmask_b32_e64 v19, v5, v12, s13
	v_cndmask_b32_e64 v0, v53, v52, s13
	;; [unrolled: 1-line block ×4, first 2 shown]
	s_delay_alu instid0(VALU_DEP_4) | instskip(NEXT) | instid1(VALU_DEP_4)
	v_add_nc_u32_e32 v15, 1, v19
	v_add_nc_u32_e32 v0, -1, v0
	v_lshl_add_u32 v23, v19, 3, v20
	s_delay_alu instid0(VALU_DEP_3) | instskip(NEXT) | instid1(VALU_DEP_3)
	v_cndmask_b32_e64 v22, v12, v15, s13
	v_min_u32_e32 v0, v15, v0
	v_cndmask_b32_e64 v5, v15, v5, s13
	v_lshl_add_u32 v12, v13, 3, v20
	v_lshl_add_u32 v13, v14, 3, v20
	v_cmp_lt_u32_e64 s15, v22, v52
	v_lshl_add_u32 v0, v0, 3, v20
	v_cmp_ge_u32_e64 s16, v5, v53
	ds_load_b64 v[0:1], v0
	s_waitcnt lgkmcnt(0)
	v_cndmask_b32_e64 v87, v1, v83, s13
	v_cndmask_b32_e64 v86, v0, v82, s13
	;; [unrolled: 1-line block ×4, first 2 shown]
	ds_load_b64 v[0:1], v4 offset:16384
	v_lshl_add_u32 v4, v16, 3, v20
	v_lshl_add_u32 v16, v17, 3, v20
	ds_load_b64 v[14:15], v12 offset:16384
	ds_load_b64 v[12:13], v13 offset:16384
	v_cmp_le_i64_e64 s14, v[86:87], v[96:97]
	s_delay_alu instid0(VALU_DEP_1) | instskip(NEXT) | instid1(SALU_CYCLE_1)
	s_and_b32 s14, s15, s14
	s_or_b32 s14, s16, s14
	s_delay_alu instid0(SALU_CYCLE_1)
	v_cndmask_b32_e64 v5, v5, v22, s14
	v_lshl_add_u32 v22, v18, 3, v20
	ds_load_b64 v[18:19], v4 offset:16384
	v_cndmask_b32_e64 v29, v87, v97, s14
	v_lshl_add_u32 v34, v5, 3, v20
	ds_load_b64 v[16:17], v16 offset:16384
	ds_load_b64 v[24:25], v22 offset:16384
	;; [unrolled: 1-line block ×4, first 2 shown]
	v_cndmask_b32_e64 v34, v28, v32, s8
	v_cndmask_b32_e64 v32, v69, v80, s12
	;; [unrolled: 1-line block ×3, first 2 shown]
.LBB721_214:
	s_or_b32 exec_lo, exec_lo, s18
	v_and_b32_e32 v54, 0x80, v67
	s_mov_b32 s8, exec_lo
	; wave barrier
	ds_store_2addr_b64 v21, v[8:9], v[34:35] offset1:1
	ds_store_2addr_b64 v21, v[36:37], v[48:49] offset0:2 offset1:3
	v_or_b32_e32 v10, 64, v54
	s_waitcnt lgkmcnt(8)
	ds_store_2addr_b64 v30, v[0:1], v[14:15] offset1:1
	s_waitcnt lgkmcnt(7)
	ds_store_2addr_b64 v30, v[12:13], v[18:19] offset0:2 offset1:3
	ds_store_2addr_b64 v21, v[38:39], v[32:33] offset0:4 offset1:5
	;; [unrolled: 1-line block ×3, first 2 shown]
	s_waitcnt lgkmcnt(8)
	ds_store_2addr_b64 v30, v[16:17], v[24:25] offset0:4 offset1:5
	s_waitcnt lgkmcnt(7)
	ds_store_2addr_b64 v30, v[4:5], v[22:23] offset0:6 offset1:7
	; wave barrier
	v_min_u32_e32 v52, v31, v10
	s_delay_alu instid0(VALU_DEP_1) | instskip(NEXT) | instid1(VALU_DEP_1)
	v_add_nc_u32_e32 v10, 64, v52
	v_min_u32_e32 v53, v31, v10
	v_min_u32_e32 v31, v31, v68
	v_sub_nc_u32_e32 v10, v52, v54
	s_delay_alu instid0(VALU_DEP_3) | instskip(NEXT) | instid1(VALU_DEP_2)
	v_sub_nc_u32_e32 v11, v53, v52
	v_min_u32_e32 v55, v31, v10
	s_delay_alu instid0(VALU_DEP_2) | instskip(SKIP_1) | instid1(VALU_DEP_2)
	v_sub_nc_u32_e64 v10, v31, v11 clamp
	v_lshl_add_u32 v11, v54, 3, v20
	v_cmpx_lt_u32_e64 v10, v55
	s_cbranch_execz .LBB721_218
; %bb.215:
	v_lshlrev_b32_e32 v21, 3, v52
	v_lshlrev_b32_e32 v30, 3, v31
	s_mov_b32 s9, 0
	s_delay_alu instid0(VALU_DEP_1)
	v_add3_u32 v21, v20, v21, v30
	.p2align	6
.LBB721_216:                            ; =>This Inner Loop Header: Depth=1
	v_add_nc_u32_e32 v30, v55, v10
	s_delay_alu instid0(VALU_DEP_1) | instskip(NEXT) | instid1(VALU_DEP_1)
	v_lshrrev_b32_e32 v30, 1, v30
	v_not_b32_e32 v64, v30
	v_lshl_add_u32 v65, v30, 3, v11
	s_delay_alu instid0(VALU_DEP_2)
	v_lshl_add_u32 v67, v64, 3, v21
	ds_load_b64 v[64:65], v65
	ds_load_b64 v[67:68], v67
	s_waitcnt lgkmcnt(0)
	v_cmp_gt_i64_e64 s7, v[67:68], v[64:65]
	v_add_nc_u32_e32 v64, 1, v30
	s_delay_alu instid0(VALU_DEP_2) | instskip(NEXT) | instid1(VALU_DEP_2)
	v_cndmask_b32_e64 v55, v55, v30, s7
	v_cndmask_b32_e64 v10, v64, v10, s7
	s_delay_alu instid0(VALU_DEP_1) | instskip(NEXT) | instid1(VALU_DEP_1)
	v_cmp_ge_u32_e64 s7, v10, v55
	s_or_b32 s9, s7, s9
	s_delay_alu instid0(SALU_CYCLE_1)
	s_and_not1_b32 exec_lo, exec_lo, s9
	s_cbranch_execnz .LBB721_216
; %bb.217:
	s_or_b32 exec_lo, exec_lo, s9
.LBB721_218:
	s_delay_alu instid0(SALU_CYCLE_1) | instskip(SKIP_2) | instid1(VALU_DEP_2)
	s_or_b32 exec_lo, exec_lo, s8
	v_add_nc_u32_e32 v30, v52, v31
	v_add_nc_u32_e32 v21, v10, v54
	v_sub_nc_u32_e32 v30, v30, v10
	s_delay_alu instid0(VALU_DEP_2) | instskip(NEXT) | instid1(VALU_DEP_2)
	v_cmp_le_u32_e64 s7, v21, v52
	v_cmp_le_u32_e64 s8, v30, v53
	s_delay_alu instid0(VALU_DEP_1) | instskip(NEXT) | instid1(SALU_CYCLE_1)
	s_or_b32 s7, s7, s8
	s_and_saveexec_b32 s18, s7
	s_cbranch_execz .LBB721_224
; %bb.219:
	v_cmp_lt_u32_e64 s7, v21, v52
                                        ; implicit-def: $vgpr8_vgpr9
	s_delay_alu instid0(VALU_DEP_1)
	s_and_saveexec_b32 s8, s7
	s_cbranch_execz .LBB721_221
; %bb.220:
	v_lshl_add_u32 v0, v10, 3, v11
	ds_load_b64 v[8:9], v0
.LBB721_221:
	s_or_b32 exec_lo, exec_lo, s8
	v_cmp_ge_u32_e64 s8, v30, v53
	s_mov_b32 s10, exec_lo
                                        ; implicit-def: $vgpr10_vgpr11
	v_cmpx_lt_u32_e64 v30, v53
	s_cbranch_execz .LBB721_223
; %bb.222:
	v_lshl_add_u32 v0, v30, 3, v20
	ds_load_b64 v[10:11], v0
.LBB721_223:
	s_or_b32 exec_lo, exec_lo, s10
	s_waitcnt lgkmcnt(0)
	v_cmp_le_i64_e64 s9, v[10:11], v[8:9]
	s_delay_alu instid0(VALU_DEP_1) | instskip(NEXT) | instid1(SALU_CYCLE_1)
	s_and_b32 s7, s7, s9
	s_or_b32 s7, s8, s7
	s_delay_alu instid0(SALU_CYCLE_1) | instskip(SKIP_1) | instid1(VALU_DEP_2)
	v_cndmask_b32_e64 v4, v30, v21, s7
	v_cndmask_b32_e64 v0, v53, v52, s7
	v_add_nc_u32_e32 v5, 1, v4
	s_delay_alu instid0(VALU_DEP_2) | instskip(SKIP_1) | instid1(VALU_DEP_3)
	v_add_nc_u32_e32 v0, -1, v0
	v_lshl_add_u32 v4, v4, 3, v20
	v_cndmask_b32_e64 v12, v21, v5, s7
	s_delay_alu instid0(VALU_DEP_3) | instskip(SKIP_1) | instid1(VALU_DEP_3)
	v_min_u32_e32 v0, v5, v0
	v_cndmask_b32_e64 v5, v5, v30, s7
	v_cmp_lt_u32_e64 s9, v12, v52
	s_delay_alu instid0(VALU_DEP_3) | instskip(NEXT) | instid1(VALU_DEP_3)
	v_lshl_add_u32 v0, v0, 3, v20
	v_cmp_ge_u32_e64 s10, v5, v53
	ds_load_b64 v[0:1], v0
	s_waitcnt lgkmcnt(0)
	v_cndmask_b32_e64 v29, v1, v11, s7
	v_cndmask_b32_e64 v28, v0, v10, s7
	v_cndmask_b32_e64 v32, v9, v1, s7
	v_cndmask_b32_e64 v31, v8, v0, s7
	v_cndmask_b32_e64 v9, v11, v9, s7
	v_cndmask_b32_e64 v8, v10, v8, s7
	s_delay_alu instid0(VALU_DEP_3) | instskip(NEXT) | instid1(VALU_DEP_1)
	v_cmp_le_i64_e64 s8, v[28:29], v[31:32]
	s_and_b32 s8, s9, s8
	s_delay_alu instid0(SALU_CYCLE_1) | instskip(NEXT) | instid1(SALU_CYCLE_1)
	s_or_b32 s8, s10, s8
	v_cndmask_b32_e64 v13, v5, v12, s8
	v_cndmask_b32_e64 v0, v53, v52, s8
	;; [unrolled: 1-line block ×4, first 2 shown]
	s_delay_alu instid0(VALU_DEP_4) | instskip(NEXT) | instid1(VALU_DEP_4)
	v_add_nc_u32_e32 v14, 1, v13
	v_add_nc_u32_e32 v0, -1, v0
	s_delay_alu instid0(VALU_DEP_2) | instskip(NEXT) | instid1(VALU_DEP_2)
	v_cndmask_b32_e64 v12, v12, v14, s8
	v_min_u32_e32 v0, v14, v0
	v_cndmask_b32_e64 v5, v14, v5, s8
	s_delay_alu instid0(VALU_DEP_3) | instskip(NEXT) | instid1(VALU_DEP_3)
	v_cmp_lt_u32_e64 s10, v12, v52
	v_lshl_add_u32 v0, v0, 3, v20
	s_delay_alu instid0(VALU_DEP_3)
	v_cmp_ge_u32_e64 s11, v5, v53
	ds_load_b64 v[0:1], v0
	s_waitcnt lgkmcnt(0)
	v_cndmask_b32_e64 v37, v1, v29, s8
	v_cndmask_b32_e64 v36, v0, v28, s8
	;; [unrolled: 1-line block ×4, first 2 shown]
	s_delay_alu instid0(VALU_DEP_1) | instskip(NEXT) | instid1(VALU_DEP_1)
	v_cmp_le_i64_e64 s9, v[36:37], v[38:39]
	s_and_b32 s9, s10, s9
	s_delay_alu instid0(SALU_CYCLE_1) | instskip(NEXT) | instid1(SALU_CYCLE_1)
	s_or_b32 s9, s11, s9
	v_cndmask_b32_e64 v14, v5, v12, s9
	v_cndmask_b32_e64 v0, v53, v52, s9
	s_delay_alu instid0(VALU_DEP_2) | instskip(NEXT) | instid1(VALU_DEP_2)
	v_add_nc_u32_e32 v15, 1, v14
	v_add_nc_u32_e32 v0, -1, v0
	s_delay_alu instid0(VALU_DEP_2) | instskip(NEXT) | instid1(VALU_DEP_2)
	v_cndmask_b32_e64 v12, v12, v15, s9
	v_min_u32_e32 v0, v15, v0
	v_cndmask_b32_e64 v5, v15, v5, s9
	s_delay_alu instid0(VALU_DEP_3) | instskip(NEXT) | instid1(VALU_DEP_3)
	v_cmp_lt_u32_e64 s11, v12, v52
	v_lshl_add_u32 v0, v0, 3, v20
	s_delay_alu instid0(VALU_DEP_3)
	v_cmp_ge_u32_e64 s12, v5, v53
	ds_load_b64 v[0:1], v0
	s_waitcnt lgkmcnt(0)
	v_cndmask_b32_e64 v49, v1, v37, s9
	v_cndmask_b32_e64 v48, v0, v36, s9
	;; [unrolled: 1-line block ×6, first 2 shown]
	s_delay_alu instid0(VALU_DEP_3) | instskip(NEXT) | instid1(VALU_DEP_1)
	v_cmp_le_i64_e64 s10, v[48:49], v[50:51]
	s_and_b32 s10, s11, s10
	s_delay_alu instid0(SALU_CYCLE_1) | instskip(NEXT) | instid1(SALU_CYCLE_1)
	s_or_b32 s10, s12, s10
	v_cndmask_b32_e64 v16, v5, v12, s10
	v_cndmask_b32_e64 v0, v53, v52, s10
	s_delay_alu instid0(VALU_DEP_2) | instskip(NEXT) | instid1(VALU_DEP_2)
	v_add_nc_u32_e32 v15, 1, v16
	v_add_nc_u32_e32 v0, -1, v0
	s_delay_alu instid0(VALU_DEP_2) | instskip(NEXT) | instid1(VALU_DEP_2)
	v_cndmask_b32_e64 v12, v12, v15, s10
	v_min_u32_e32 v0, v15, v0
	v_cndmask_b32_e64 v5, v15, v5, s10
	s_delay_alu instid0(VALU_DEP_3) | instskip(NEXT) | instid1(VALU_DEP_3)
	v_cmp_lt_u32_e64 s12, v12, v52
	v_lshl_add_u32 v0, v0, 3, v20
	s_delay_alu instid0(VALU_DEP_3)
	v_cmp_ge_u32_e64 s13, v5, v53
	ds_load_b64 v[0:1], v0
	s_waitcnt lgkmcnt(0)
	v_cndmask_b32_e64 v55, v1, v49, s10
	v_cndmask_b32_e64 v54, v0, v48, s10
	;; [unrolled: 1-line block ×6, first 2 shown]
	s_delay_alu instid0(VALU_DEP_3) | instskip(NEXT) | instid1(VALU_DEP_1)
	v_cmp_le_i64_e64 s11, v[54:55], v[64:65]
	s_and_b32 s11, s12, s11
	s_delay_alu instid0(SALU_CYCLE_1) | instskip(NEXT) | instid1(SALU_CYCLE_1)
	s_or_b32 s11, s13, s11
	v_cndmask_b32_e64 v17, v5, v12, s11
	v_cndmask_b32_e64 v0, v53, v52, s11
	;; [unrolled: 1-line block ×4, first 2 shown]
	s_delay_alu instid0(VALU_DEP_4) | instskip(NEXT) | instid1(VALU_DEP_4)
	v_add_nc_u32_e32 v15, 1, v17
	v_add_nc_u32_e32 v0, -1, v0
	s_delay_alu instid0(VALU_DEP_2) | instskip(NEXT) | instid1(VALU_DEP_2)
	v_cndmask_b32_e64 v12, v12, v15, s11
	v_min_u32_e32 v0, v15, v0
	v_cndmask_b32_e64 v5, v15, v5, s11
	s_delay_alu instid0(VALU_DEP_3) | instskip(NEXT) | instid1(VALU_DEP_3)
	v_cmp_lt_u32_e64 s13, v12, v52
	v_lshl_add_u32 v0, v0, 3, v20
	s_delay_alu instid0(VALU_DEP_3)
	v_cmp_ge_u32_e64 s14, v5, v53
	ds_load_b64 v[0:1], v0
	s_waitcnt lgkmcnt(0)
	v_cndmask_b32_e64 v68, v1, v55, s11
	v_cndmask_b32_e64 v67, v0, v54, s11
	;; [unrolled: 1-line block ×4, first 2 shown]
	s_delay_alu instid0(VALU_DEP_1) | instskip(NEXT) | instid1(VALU_DEP_1)
	v_cmp_le_i64_e64 s12, v[67:68], v[69:70]
	s_and_b32 s12, s13, s12
	s_delay_alu instid0(SALU_CYCLE_1) | instskip(NEXT) | instid1(SALU_CYCLE_1)
	s_or_b32 s12, s14, s12
	v_cndmask_b32_e64 v18, v5, v12, s12
	v_cndmask_b32_e64 v0, v53, v52, s12
	;; [unrolled: 1-line block ×4, first 2 shown]
	s_delay_alu instid0(VALU_DEP_4) | instskip(NEXT) | instid1(VALU_DEP_4)
	v_add_nc_u32_e32 v15, 1, v18
	v_add_nc_u32_e32 v0, -1, v0
	s_delay_alu instid0(VALU_DEP_2) | instskip(NEXT) | instid1(VALU_DEP_2)
	v_cndmask_b32_e64 v12, v12, v15, s12
	v_min_u32_e32 v0, v15, v0
	v_cndmask_b32_e64 v5, v15, v5, s12
	s_delay_alu instid0(VALU_DEP_3) | instskip(NEXT) | instid1(VALU_DEP_3)
	v_cmp_lt_u32_e64 s14, v12, v52
	v_lshl_add_u32 v0, v0, 3, v20
	s_delay_alu instid0(VALU_DEP_3)
	v_cmp_ge_u32_e64 s15, v5, v53
	ds_load_b64 v[0:1], v0
	s_waitcnt lgkmcnt(0)
	v_cndmask_b32_e64 v81, v1, v68, s12
	v_cndmask_b32_e64 v80, v0, v67, s12
	;; [unrolled: 1-line block ×4, first 2 shown]
	s_delay_alu instid0(VALU_DEP_1) | instskip(NEXT) | instid1(VALU_DEP_1)
	v_cmp_le_i64_e64 s13, v[80:81], v[82:83]
	s_and_b32 s13, s14, s13
	s_delay_alu instid0(SALU_CYCLE_1) | instskip(NEXT) | instid1(SALU_CYCLE_1)
	s_or_b32 s13, s15, s13
	v_cndmask_b32_e64 v19, v5, v12, s13
	v_cndmask_b32_e64 v0, v53, v52, s13
	;; [unrolled: 1-line block ×4, first 2 shown]
	s_delay_alu instid0(VALU_DEP_4) | instskip(NEXT) | instid1(VALU_DEP_4)
	v_add_nc_u32_e32 v15, 1, v19
	v_add_nc_u32_e32 v0, -1, v0
	v_lshl_add_u32 v22, v19, 3, v20
	s_delay_alu instid0(VALU_DEP_3) | instskip(NEXT) | instid1(VALU_DEP_3)
	v_cndmask_b32_e64 v21, v12, v15, s13
	v_min_u32_e32 v0, v15, v0
	v_cndmask_b32_e64 v5, v15, v5, s13
	v_lshl_add_u32 v12, v13, 3, v20
	v_lshl_add_u32 v13, v14, 3, v20
	v_cmp_lt_u32_e64 s15, v21, v52
	v_lshl_add_u32 v0, v0, 3, v20
	v_cmp_ge_u32_e64 s16, v5, v53
	ds_load_b64 v[0:1], v0
	s_waitcnt lgkmcnt(0)
	v_cndmask_b32_e64 v85, v1, v81, s13
	v_cndmask_b32_e64 v84, v0, v80, s13
	;; [unrolled: 1-line block ×4, first 2 shown]
	ds_load_b64 v[0:1], v4 offset:16384
	v_lshl_add_u32 v4, v16, 3, v20
	v_lshl_add_u32 v16, v17, 3, v20
	ds_load_b64 v[14:15], v12 offset:16384
	ds_load_b64 v[12:13], v13 offset:16384
	v_cmp_le_i64_e64 s14, v[84:85], v[86:87]
	s_delay_alu instid0(VALU_DEP_1) | instskip(NEXT) | instid1(SALU_CYCLE_1)
	s_and_b32 s14, s15, s14
	s_or_b32 s14, s16, s14
	s_delay_alu instid0(SALU_CYCLE_1)
	v_cndmask_b32_e64 v5, v5, v21, s14
	v_lshl_add_u32 v21, v18, 3, v20
	ds_load_b64 v[18:19], v4 offset:16384
	v_cndmask_b32_e64 v29, v85, v87, s14
	v_cndmask_b32_e64 v28, v84, v86, s14
	v_lshl_add_u32 v20, v5, 3, v20
	ds_load_b64 v[16:17], v16 offset:16384
	ds_load_b64 v[24:25], v21 offset:16384
	ds_load_b64 v[4:5], v22 offset:16384
	ds_load_b64 v[22:23], v20 offset:16384
.LBB721_224:
	s_or_b32 exec_lo, exec_lo, s18
	; wave barrier
	s_waitcnt lgkmcnt(0)
	s_waitcnt_vscnt null, 0x0
	s_barrier
.LBB721_225:
	s_or_b32 exec_lo, exec_lo, s17
	v_add_co_u32 v2, s7, v2, v26
	s_delay_alu instid0(VALU_DEP_1) | instskip(SKIP_4) | instid1(VALU_DEP_1)
	v_add_co_ci_u32_e64 v3, s7, v3, v27, s7
	s_waitcnt vmcnt(0) lgkmcnt(0)
	s_waitcnt_vscnt null, 0x0
	buffer_gl0_inv
	v_add_co_u32 v2, s7, v2, v66
	v_add_co_ci_u32_e64 v3, s7, 0, v3, s7
	; wave barrier
	s_and_saveexec_b32 s7, vcc_lo
	s_cbranch_execnz .LBB721_250
; %bb.226:
	s_or_b32 exec_lo, exec_lo, s7
	s_and_saveexec_b32 s7, s0
	s_cbranch_execnz .LBB721_251
.LBB721_227:
	s_or_b32 exec_lo, exec_lo, s7
	s_and_saveexec_b32 s7, s1
	s_cbranch_execnz .LBB721_252
.LBB721_228:
	s_or_b32 exec_lo, exec_lo, s7
	s_and_saveexec_b32 s7, s2
	s_cbranch_execnz .LBB721_253
.LBB721_229:
	s_or_b32 exec_lo, exec_lo, s7
	s_and_saveexec_b32 s7, s3
	s_cbranch_execnz .LBB721_254
.LBB721_230:
	s_or_b32 exec_lo, exec_lo, s7
	s_and_saveexec_b32 s7, s4
	s_cbranch_execnz .LBB721_255
.LBB721_231:
	s_or_b32 exec_lo, exec_lo, s7
	s_and_saveexec_b32 s7, s5
	s_cbranch_execnz .LBB721_256
.LBB721_232:
	s_or_b32 exec_lo, exec_lo, s7
	s_and_saveexec_b32 s7, s6
	s_cbranch_execz .LBB721_234
.LBB721_233:
	flat_store_b64 v[2:3], v[28:29] offset:56
.LBB721_234:
	s_or_b32 exec_lo, exec_lo, s7
	v_add_co_u32 v2, s7, v6, v26
	s_delay_alu instid0(VALU_DEP_1) | instskip(NEXT) | instid1(VALU_DEP_2)
	v_add_co_ci_u32_e64 v3, s7, v7, v27, s7
	v_add_co_u32 v2, s7, v2, v66
	s_delay_alu instid0(VALU_DEP_1)
	v_add_co_ci_u32_e64 v3, s7, 0, v3, s7
	; wave barrier
	s_and_saveexec_b32 s7, vcc_lo
	s_cbranch_execnz .LBB721_257
; %bb.235:
	s_or_b32 exec_lo, exec_lo, s7
	s_and_saveexec_b32 s7, s0
	s_cbranch_execnz .LBB721_258
.LBB721_236:
	s_or_b32 exec_lo, exec_lo, s7
	s_and_saveexec_b32 s0, s1
	s_cbranch_execnz .LBB721_259
.LBB721_237:
	s_or_b32 exec_lo, exec_lo, s0
	s_and_saveexec_b32 s0, s2
	s_cbranch_execnz .LBB721_260
.LBB721_238:
	s_or_b32 exec_lo, exec_lo, s0
	s_and_saveexec_b32 s0, s3
	s_cbranch_execnz .LBB721_261
.LBB721_239:
	s_or_b32 exec_lo, exec_lo, s0
	s_and_saveexec_b32 s0, s4
	s_cbranch_execnz .LBB721_262
.LBB721_240:
	s_or_b32 exec_lo, exec_lo, s0
	s_and_saveexec_b32 s0, s5
	s_cbranch_execnz .LBB721_263
.LBB721_241:
	s_or_b32 exec_lo, exec_lo, s0
	s_and_saveexec_b32 s0, s6
	s_cbranch_execnz .LBB721_264
.LBB721_242:
	s_or_b32 exec_lo, exec_lo, s0
	s_waitcnt lgkmcnt(0)
	s_setpc_b64 s[30:31]
.LBB721_243:
	flat_load_b64 v[0:1], v[52:53]
	s_or_b32 exec_lo, exec_lo, s7
	s_and_saveexec_b32 s7, s0
                                        ; implicit-def: $vgpr12_vgpr13_vgpr14_vgpr15
	s_cbranch_execz .LBB721_18
.LBB721_244:
	flat_load_b64 v[14:15], v[52:53] offset:8
	s_or_b32 exec_lo, exec_lo, s7
                                        ; implicit-def: $vgpr12_vgpr13
	s_and_saveexec_b32 s7, s1
	s_cbranch_execz .LBB721_19
.LBB721_245:
	flat_load_b64 v[12:13], v[52:53] offset:16
	s_or_b32 exec_lo, exec_lo, s7
	s_and_saveexec_b32 s7, s2
                                        ; implicit-def: $vgpr16_vgpr17_vgpr18_vgpr19
	s_cbranch_execz .LBB721_20
.LBB721_246:
	flat_load_b64 v[18:19], v[52:53] offset:24
	s_or_b32 exec_lo, exec_lo, s7
                                        ; implicit-def: $vgpr16_vgpr17
	s_and_saveexec_b32 s7, s3
	s_cbranch_execz .LBB721_21
.LBB721_247:
	flat_load_b64 v[16:17], v[52:53] offset:32
	s_or_b32 exec_lo, exec_lo, s7
	s_and_saveexec_b32 s7, s4
                                        ; implicit-def: $vgpr22_vgpr23_vgpr24_vgpr25
	s_cbranch_execz .LBB721_22
.LBB721_248:
	flat_load_b64 v[24:25], v[52:53] offset:40
	s_or_b32 exec_lo, exec_lo, s7
                                        ; implicit-def: $vgpr4_vgpr5
	s_and_saveexec_b32 s7, s5
	s_cbranch_execz .LBB721_23
.LBB721_249:
	flat_load_b64 v[4:5], v[52:53] offset:48
	s_or_b32 exec_lo, exec_lo, s7
	s_and_saveexec_b32 s7, s6
                                        ; implicit-def: $vgpr20_vgpr21_vgpr22_vgpr23
	s_cbranch_execnz .LBB721_24
	s_branch .LBB721_25
.LBB721_250:
	flat_store_b64 v[2:3], v[8:9]
	s_or_b32 exec_lo, exec_lo, s7
	s_and_saveexec_b32 s7, s0
	s_cbranch_execz .LBB721_227
.LBB721_251:
	flat_store_b64 v[2:3], v[34:35] offset:8
	s_or_b32 exec_lo, exec_lo, s7
	s_and_saveexec_b32 s7, s1
	s_cbranch_execz .LBB721_228
.LBB721_252:
	flat_store_b64 v[2:3], v[36:37] offset:16
	s_or_b32 exec_lo, exec_lo, s7
	s_and_saveexec_b32 s7, s2
	s_cbranch_execz .LBB721_229
.LBB721_253:
	flat_store_b64 v[2:3], v[48:49] offset:24
	s_or_b32 exec_lo, exec_lo, s7
	s_and_saveexec_b32 s7, s3
	s_cbranch_execz .LBB721_230
.LBB721_254:
	flat_store_b64 v[2:3], v[38:39] offset:32
	s_or_b32 exec_lo, exec_lo, s7
	s_and_saveexec_b32 s7, s4
	s_cbranch_execz .LBB721_231
.LBB721_255:
	flat_store_b64 v[2:3], v[32:33] offset:40
	s_or_b32 exec_lo, exec_lo, s7
	s_and_saveexec_b32 s7, s5
	s_cbranch_execz .LBB721_232
.LBB721_256:
	flat_store_b64 v[2:3], v[50:51] offset:48
	s_or_b32 exec_lo, exec_lo, s7
	s_and_saveexec_b32 s7, s6
	s_cbranch_execnz .LBB721_233
	s_branch .LBB721_234
.LBB721_257:
	flat_store_b64 v[2:3], v[0:1]
	s_or_b32 exec_lo, exec_lo, s7
	s_and_saveexec_b32 s7, s0
	s_cbranch_execz .LBB721_236
.LBB721_258:
	flat_store_b64 v[2:3], v[14:15] offset:8
	s_or_b32 exec_lo, exec_lo, s7
	s_and_saveexec_b32 s0, s1
	s_cbranch_execz .LBB721_237
.LBB721_259:
	flat_store_b64 v[2:3], v[12:13] offset:16
	s_or_b32 exec_lo, exec_lo, s0
	s_and_saveexec_b32 s0, s2
	s_cbranch_execz .LBB721_238
.LBB721_260:
	flat_store_b64 v[2:3], v[18:19] offset:24
	s_or_b32 exec_lo, exec_lo, s0
	s_and_saveexec_b32 s0, s3
	s_cbranch_execz .LBB721_239
.LBB721_261:
	flat_store_b64 v[2:3], v[16:17] offset:32
	s_or_b32 exec_lo, exec_lo, s0
	s_and_saveexec_b32 s0, s4
	s_cbranch_execz .LBB721_240
.LBB721_262:
	flat_store_b64 v[2:3], v[24:25] offset:40
	s_or_b32 exec_lo, exec_lo, s0
	s_and_saveexec_b32 s0, s5
	s_cbranch_execz .LBB721_241
.LBB721_263:
	flat_store_b64 v[2:3], v[4:5] offset:48
	s_or_b32 exec_lo, exec_lo, s0
	s_and_saveexec_b32 s0, s6
	s_cbranch_execz .LBB721_242
.LBB721_264:
	flat_store_b64 v[2:3], v[22:23] offset:56
	s_or_b32 exec_lo, exec_lo, s0
	s_waitcnt lgkmcnt(0)
	s_setpc_b64 s[30:31]
.Lfunc_end721:
	.size	_ZN7rocprim17ROCPRIM_400000_NS6detail26segmented_warp_sort_helperINS1_20WarpSortHelperConfigILj16ELj8ELj256EEEllLi256ELb1EvE4sortIPKlPlS8_S9_EEvT_T0_T1_T2_jjjjRNS5_12storage_typeE, .Lfunc_end721-_ZN7rocprim17ROCPRIM_400000_NS6detail26segmented_warp_sort_helperINS1_20WarpSortHelperConfigILj16ELj8ELj256EEEllLi256ELb1EvE4sortIPKlPlS8_S9_EEvT_T0_T1_T2_jjjjRNS5_12storage_typeE
                                        ; -- End function
	.section	.AMDGPU.csdata,"",@progbits
; Function info:
; codeLenInByte = 21160
; NumSgprs: 34
; NumVgprs: 99
; ScratchSize: 0
; MemoryBound: 0
	.section	.text._ZN7rocprim17ROCPRIM_400000_NS6detail17trampoline_kernelINS0_14default_configENS1_36segmented_radix_sort_config_selectorIllEEZNS1_25segmented_radix_sort_implIS3_Lb1EPKlPlS8_S9_N2at6native12_GLOBAL__N_18offset_tEEE10hipError_tPvRmT1_PNSt15iterator_traitsISH_E10value_typeET2_T3_PNSI_ISN_E10value_typeET4_jRbjT5_ST_jjP12ihipStream_tbEUlT_E0_NS1_11comp_targetILNS1_3genE9ELNS1_11target_archE1100ELNS1_3gpuE3ELNS1_3repE0EEENS1_60segmented_radix_sort_warp_sort_medium_config_static_selectorELNS0_4arch9wavefront6targetE0EEEvSH_,"axG",@progbits,_ZN7rocprim17ROCPRIM_400000_NS6detail17trampoline_kernelINS0_14default_configENS1_36segmented_radix_sort_config_selectorIllEEZNS1_25segmented_radix_sort_implIS3_Lb1EPKlPlS8_S9_N2at6native12_GLOBAL__N_18offset_tEEE10hipError_tPvRmT1_PNSt15iterator_traitsISH_E10value_typeET2_T3_PNSI_ISN_E10value_typeET4_jRbjT5_ST_jjP12ihipStream_tbEUlT_E0_NS1_11comp_targetILNS1_3genE9ELNS1_11target_archE1100ELNS1_3gpuE3ELNS1_3repE0EEENS1_60segmented_radix_sort_warp_sort_medium_config_static_selectorELNS0_4arch9wavefront6targetE0EEEvSH_,comdat
	.globl	_ZN7rocprim17ROCPRIM_400000_NS6detail17trampoline_kernelINS0_14default_configENS1_36segmented_radix_sort_config_selectorIllEEZNS1_25segmented_radix_sort_implIS3_Lb1EPKlPlS8_S9_N2at6native12_GLOBAL__N_18offset_tEEE10hipError_tPvRmT1_PNSt15iterator_traitsISH_E10value_typeET2_T3_PNSI_ISN_E10value_typeET4_jRbjT5_ST_jjP12ihipStream_tbEUlT_E0_NS1_11comp_targetILNS1_3genE9ELNS1_11target_archE1100ELNS1_3gpuE3ELNS1_3repE0EEENS1_60segmented_radix_sort_warp_sort_medium_config_static_selectorELNS0_4arch9wavefront6targetE0EEEvSH_ ; -- Begin function _ZN7rocprim17ROCPRIM_400000_NS6detail17trampoline_kernelINS0_14default_configENS1_36segmented_radix_sort_config_selectorIllEEZNS1_25segmented_radix_sort_implIS3_Lb1EPKlPlS8_S9_N2at6native12_GLOBAL__N_18offset_tEEE10hipError_tPvRmT1_PNSt15iterator_traitsISH_E10value_typeET2_T3_PNSI_ISN_E10value_typeET4_jRbjT5_ST_jjP12ihipStream_tbEUlT_E0_NS1_11comp_targetILNS1_3genE9ELNS1_11target_archE1100ELNS1_3gpuE3ELNS1_3repE0EEENS1_60segmented_radix_sort_warp_sort_medium_config_static_selectorELNS0_4arch9wavefront6targetE0EEEvSH_
	.p2align	8
	.type	_ZN7rocprim17ROCPRIM_400000_NS6detail17trampoline_kernelINS0_14default_configENS1_36segmented_radix_sort_config_selectorIllEEZNS1_25segmented_radix_sort_implIS3_Lb1EPKlPlS8_S9_N2at6native12_GLOBAL__N_18offset_tEEE10hipError_tPvRmT1_PNSt15iterator_traitsISH_E10value_typeET2_T3_PNSI_ISN_E10value_typeET4_jRbjT5_ST_jjP12ihipStream_tbEUlT_E0_NS1_11comp_targetILNS1_3genE9ELNS1_11target_archE1100ELNS1_3gpuE3ELNS1_3repE0EEENS1_60segmented_radix_sort_warp_sort_medium_config_static_selectorELNS0_4arch9wavefront6targetE0EEEvSH_,@function
_ZN7rocprim17ROCPRIM_400000_NS6detail17trampoline_kernelINS0_14default_configENS1_36segmented_radix_sort_config_selectorIllEEZNS1_25segmented_radix_sort_implIS3_Lb1EPKlPlS8_S9_N2at6native12_GLOBAL__N_18offset_tEEE10hipError_tPvRmT1_PNSt15iterator_traitsISH_E10value_typeET2_T3_PNSI_ISN_E10value_typeET4_jRbjT5_ST_jjP12ihipStream_tbEUlT_E0_NS1_11comp_targetILNS1_3genE9ELNS1_11target_archE1100ELNS1_3gpuE3ELNS1_3repE0EEENS1_60segmented_radix_sort_warp_sort_medium_config_static_selectorELNS0_4arch9wavefront6targetE0EEEvSH_: ; @_ZN7rocprim17ROCPRIM_400000_NS6detail17trampoline_kernelINS0_14default_configENS1_36segmented_radix_sort_config_selectorIllEEZNS1_25segmented_radix_sort_implIS3_Lb1EPKlPlS8_S9_N2at6native12_GLOBAL__N_18offset_tEEE10hipError_tPvRmT1_PNSt15iterator_traitsISH_E10value_typeET2_T3_PNSI_ISN_E10value_typeET4_jRbjT5_ST_jjP12ihipStream_tbEUlT_E0_NS1_11comp_targetILNS1_3genE9ELNS1_11target_archE1100ELNS1_3gpuE3ELNS1_3repE0EEENS1_60segmented_radix_sort_warp_sort_medium_config_static_selectorELNS0_4arch9wavefront6targetE0EEEvSH_
; %bb.0:
	s_load_b32 s2, s[0:1], 0x64
	v_bfe_u32 v1, v0, 10, 10
	v_bfe_u32 v2, v0, 20, 10
	s_mov_b32 s32, 0
	s_waitcnt lgkmcnt(0)
	s_lshr_b32 s3, s2, 16
	s_and_b32 s2, s2, 0xffff
	v_mad_u32_u24 v4, v2, s3, v1
	v_and_b32_e32 v1, 0x3ff, v0
	s_load_b32 s3, s[0:1], 0x34
	s_delay_alu instid0(VALU_DEP_1) | instskip(SKIP_1) | instid1(VALU_DEP_1)
	v_mad_u64_u32 v[2:3], null, v4, s2, v[1:2]
	s_mov_b32 s2, exec_lo
	v_lshrrev_b32_e32 v1, 4, v2
	s_delay_alu instid0(VALU_DEP_1) | instskip(SKIP_1) | instid1(VALU_DEP_1)
	v_lshl_add_u32 v1, s14, 4, v1
	s_waitcnt lgkmcnt(0)
	v_cmpx_gt_u32_e64 s3, v1
	s_cbranch_execz .LBB722_6
; %bb.1:
	s_clause 0x1
	s_load_b64 s[2:3], s[0:1], 0x38
	s_load_b128 s[4:7], s[0:1], 0x40
	v_mov_b32_e32 v2, 0
	s_delay_alu instid0(VALU_DEP_1) | instskip(SKIP_1) | instid1(VALU_DEP_1)
	v_lshlrev_b64 v[1:2], 2, v[1:2]
	s_waitcnt lgkmcnt(0)
	v_add_co_u32 v1, vcc_lo, s2, v1
	s_delay_alu instid0(VALU_DEP_2) | instskip(SKIP_4) | instid1(VALU_DEP_2)
	v_add_co_ci_u32_e32 v2, vcc_lo, s3, v2, vcc_lo
	global_load_b32 v1, v[1:2], off
	s_waitcnt vmcnt(0)
	v_add_nc_u32_e32 v2, s5, v1
	v_add_nc_u32_e32 v1, s7, v1
	v_mul_lo_u32 v40, v2, s4
	s_delay_alu instid0(VALU_DEP_2) | instskip(NEXT) | instid1(VALU_DEP_1)
	v_mul_lo_u32 v41, v1, s6
	v_cmp_gt_u32_e32 vcc_lo, v41, v40
	s_and_b32 exec_lo, exec_lo, vcc_lo
	s_cbranch_execz .LBB722_6
; %bb.2:
	s_clause 0x3
	s_load_b32 s2, s[0:1], 0x30
	s_load_b128 s[24:27], s[0:1], 0x20
	s_load_b256 s[36:43], s[0:1], 0x0
	s_load_b64 s[28:29], s[0:1], 0x50
	s_waitcnt lgkmcnt(0)
	s_bitcmp0_b32 s2, 0
	s_mov_b32 s2, -1
	s_cbranch_scc0 .LBB722_4
; %bb.3:
	v_mov_b32_e32 v31, v0
	v_dual_mov_b32 v42, v0 :: v_dual_mov_b32 v1, s37
	v_mov_b32_e32 v0, s36
	v_dual_mov_b32 v2, s38 :: v_dual_mov_b32 v3, s39
	v_dual_mov_b32 v4, s42 :: v_dual_mov_b32 v5, s43
	;; [unrolled: 1-line block ×5, first 2 shown]
	s_add_u32 s8, s0, 0x58
	s_addc_u32 s9, s1, 0
	s_mov_b32 s12, s14
	s_mov_b32 s13, s15
	s_getpc_b64 s[2:3]
	s_add_u32 s2, s2, _ZN7rocprim17ROCPRIM_400000_NS6detail26segmented_warp_sort_helperINS1_20WarpSortHelperConfigILj16ELj8ELj256EEEllLi256ELb1EvE4sortIPKlPlS8_S9_EEvT_T0_T1_T2_jjjjRNS5_12storage_typeE@rel32@lo+4
	s_addc_u32 s3, s3, _ZN7rocprim17ROCPRIM_400000_NS6detail26segmented_warp_sort_helperINS1_20WarpSortHelperConfigILj16ELj8ELj256EEEllLi256ELb1EvE4sortIPKlPlS8_S9_EEvT_T0_T1_T2_jjjjRNS5_12storage_typeE@rel32@hi+12
	s_mov_b64 s[24:25], s[0:1]
	s_mov_b32 s23, s15
	s_mov_b32 s33, s14
	s_swappc_b64 s[30:31], s[2:3]
	v_mov_b32_e32 v0, v42
	s_mov_b32 s14, s33
	s_mov_b32 s15, s23
	s_mov_b64 s[0:1], s[24:25]
	s_mov_b32 s2, 0
.LBB722_4:
	s_delay_alu instid0(SALU_CYCLE_1)
	s_and_not1_b32 vcc_lo, exec_lo, s2
	s_cbranch_vccnz .LBB722_6
; %bb.5:
	v_dual_mov_b32 v31, v0 :: v_dual_mov_b32 v0, s36
	v_dual_mov_b32 v1, s37 :: v_dual_mov_b32 v2, s40
	;; [unrolled: 1-line block ×6, first 2 shown]
	v_mov_b32_e32 v11, s29
	s_add_u32 s8, s0, 0x58
	s_addc_u32 s9, s1, 0
	s_mov_b32 s12, s14
	s_mov_b32 s13, s15
	s_getpc_b64 s[0:1]
	s_add_u32 s0, s0, _ZN7rocprim17ROCPRIM_400000_NS6detail26segmented_warp_sort_helperINS1_20WarpSortHelperConfigILj16ELj8ELj256EEEllLi256ELb1EvE4sortIPKlPlS8_S9_EEvT_T0_T1_T2_jjjjRNS5_12storage_typeE@rel32@lo+4
	s_addc_u32 s1, s1, _ZN7rocprim17ROCPRIM_400000_NS6detail26segmented_warp_sort_helperINS1_20WarpSortHelperConfigILj16ELj8ELj256EEEllLi256ELb1EvE4sortIPKlPlS8_S9_EEvT_T0_T1_T2_jjjjRNS5_12storage_typeE@rel32@hi+12
	s_delay_alu instid0(SALU_CYCLE_1)
	s_swappc_b64 s[30:31], s[0:1]
.LBB722_6:
	s_endpgm
	.section	.rodata,"a",@progbits
	.p2align	6, 0x0
	.amdhsa_kernel _ZN7rocprim17ROCPRIM_400000_NS6detail17trampoline_kernelINS0_14default_configENS1_36segmented_radix_sort_config_selectorIllEEZNS1_25segmented_radix_sort_implIS3_Lb1EPKlPlS8_S9_N2at6native12_GLOBAL__N_18offset_tEEE10hipError_tPvRmT1_PNSt15iterator_traitsISH_E10value_typeET2_T3_PNSI_ISN_E10value_typeET4_jRbjT5_ST_jjP12ihipStream_tbEUlT_E0_NS1_11comp_targetILNS1_3genE9ELNS1_11target_archE1100ELNS1_3gpuE3ELNS1_3repE0EEENS1_60segmented_radix_sort_warp_sort_medium_config_static_selectorELNS0_4arch9wavefront6targetE0EEEvSH_
		.amdhsa_group_segment_fixed_size 32768
		.amdhsa_private_segment_fixed_size 0
		.amdhsa_kernarg_size 344
		.amdhsa_user_sgpr_count 14
		.amdhsa_user_sgpr_dispatch_ptr 0
		.amdhsa_user_sgpr_queue_ptr 0
		.amdhsa_user_sgpr_kernarg_segment_ptr 1
		.amdhsa_user_sgpr_dispatch_id 0
		.amdhsa_user_sgpr_private_segment_size 0
		.amdhsa_wavefront_size32 1
		.amdhsa_uses_dynamic_stack 0
		.amdhsa_enable_private_segment 0
		.amdhsa_system_sgpr_workgroup_id_x 1
		.amdhsa_system_sgpr_workgroup_id_y 1
		.amdhsa_system_sgpr_workgroup_id_z 0
		.amdhsa_system_sgpr_workgroup_info 0
		.amdhsa_system_vgpr_workitem_id 2
		.amdhsa_next_free_vgpr 99
		.amdhsa_next_free_sgpr 44
		.amdhsa_reserve_vcc 1
		.amdhsa_float_round_mode_32 0
		.amdhsa_float_round_mode_16_64 0
		.amdhsa_float_denorm_mode_32 3
		.amdhsa_float_denorm_mode_16_64 3
		.amdhsa_dx10_clamp 1
		.amdhsa_ieee_mode 1
		.amdhsa_fp16_overflow 0
		.amdhsa_workgroup_processor_mode 1
		.amdhsa_memory_ordered 1
		.amdhsa_forward_progress 0
		.amdhsa_shared_vgpr_count 0
		.amdhsa_exception_fp_ieee_invalid_op 0
		.amdhsa_exception_fp_denorm_src 0
		.amdhsa_exception_fp_ieee_div_zero 0
		.amdhsa_exception_fp_ieee_overflow 0
		.amdhsa_exception_fp_ieee_underflow 0
		.amdhsa_exception_fp_ieee_inexact 0
		.amdhsa_exception_int_div_zero 0
	.end_amdhsa_kernel
	.section	.text._ZN7rocprim17ROCPRIM_400000_NS6detail17trampoline_kernelINS0_14default_configENS1_36segmented_radix_sort_config_selectorIllEEZNS1_25segmented_radix_sort_implIS3_Lb1EPKlPlS8_S9_N2at6native12_GLOBAL__N_18offset_tEEE10hipError_tPvRmT1_PNSt15iterator_traitsISH_E10value_typeET2_T3_PNSI_ISN_E10value_typeET4_jRbjT5_ST_jjP12ihipStream_tbEUlT_E0_NS1_11comp_targetILNS1_3genE9ELNS1_11target_archE1100ELNS1_3gpuE3ELNS1_3repE0EEENS1_60segmented_radix_sort_warp_sort_medium_config_static_selectorELNS0_4arch9wavefront6targetE0EEEvSH_,"axG",@progbits,_ZN7rocprim17ROCPRIM_400000_NS6detail17trampoline_kernelINS0_14default_configENS1_36segmented_radix_sort_config_selectorIllEEZNS1_25segmented_radix_sort_implIS3_Lb1EPKlPlS8_S9_N2at6native12_GLOBAL__N_18offset_tEEE10hipError_tPvRmT1_PNSt15iterator_traitsISH_E10value_typeET2_T3_PNSI_ISN_E10value_typeET4_jRbjT5_ST_jjP12ihipStream_tbEUlT_E0_NS1_11comp_targetILNS1_3genE9ELNS1_11target_archE1100ELNS1_3gpuE3ELNS1_3repE0EEENS1_60segmented_radix_sort_warp_sort_medium_config_static_selectorELNS0_4arch9wavefront6targetE0EEEvSH_,comdat
.Lfunc_end722:
	.size	_ZN7rocprim17ROCPRIM_400000_NS6detail17trampoline_kernelINS0_14default_configENS1_36segmented_radix_sort_config_selectorIllEEZNS1_25segmented_radix_sort_implIS3_Lb1EPKlPlS8_S9_N2at6native12_GLOBAL__N_18offset_tEEE10hipError_tPvRmT1_PNSt15iterator_traitsISH_E10value_typeET2_T3_PNSI_ISN_E10value_typeET4_jRbjT5_ST_jjP12ihipStream_tbEUlT_E0_NS1_11comp_targetILNS1_3genE9ELNS1_11target_archE1100ELNS1_3gpuE3ELNS1_3repE0EEENS1_60segmented_radix_sort_warp_sort_medium_config_static_selectorELNS0_4arch9wavefront6targetE0EEEvSH_, .Lfunc_end722-_ZN7rocprim17ROCPRIM_400000_NS6detail17trampoline_kernelINS0_14default_configENS1_36segmented_radix_sort_config_selectorIllEEZNS1_25segmented_radix_sort_implIS3_Lb1EPKlPlS8_S9_N2at6native12_GLOBAL__N_18offset_tEEE10hipError_tPvRmT1_PNSt15iterator_traitsISH_E10value_typeET2_T3_PNSI_ISN_E10value_typeET4_jRbjT5_ST_jjP12ihipStream_tbEUlT_E0_NS1_11comp_targetILNS1_3genE9ELNS1_11target_archE1100ELNS1_3gpuE3ELNS1_3repE0EEENS1_60segmented_radix_sort_warp_sort_medium_config_static_selectorELNS0_4arch9wavefront6targetE0EEEvSH_
                                        ; -- End function
	.section	.AMDGPU.csdata,"",@progbits
; Kernel info:
; codeLenInByte = 524
; NumSgprs: 46
; NumVgprs: 99
; ScratchSize: 0
; MemoryBound: 0
; FloatMode: 240
; IeeeMode: 1
; LDSByteSize: 32768 bytes/workgroup (compile time only)
; SGPRBlocks: 5
; VGPRBlocks: 12
; NumSGPRsForWavesPerEU: 46
; NumVGPRsForWavesPerEU: 99
; Occupancy: 8
; WaveLimiterHint : 0
; COMPUTE_PGM_RSRC2:SCRATCH_EN: 0
; COMPUTE_PGM_RSRC2:USER_SGPR: 14
; COMPUTE_PGM_RSRC2:TRAP_HANDLER: 0
; COMPUTE_PGM_RSRC2:TGID_X_EN: 1
; COMPUTE_PGM_RSRC2:TGID_Y_EN: 1
; COMPUTE_PGM_RSRC2:TGID_Z_EN: 0
; COMPUTE_PGM_RSRC2:TIDIG_COMP_CNT: 2
	.section	.text._ZN7rocprim17ROCPRIM_400000_NS6detail17trampoline_kernelINS0_14default_configENS1_36segmented_radix_sort_config_selectorIllEEZNS1_25segmented_radix_sort_implIS3_Lb1EPKlPlS8_S9_N2at6native12_GLOBAL__N_18offset_tEEE10hipError_tPvRmT1_PNSt15iterator_traitsISH_E10value_typeET2_T3_PNSI_ISN_E10value_typeET4_jRbjT5_ST_jjP12ihipStream_tbEUlT_E0_NS1_11comp_targetILNS1_3genE8ELNS1_11target_archE1030ELNS1_3gpuE2ELNS1_3repE0EEENS1_60segmented_radix_sort_warp_sort_medium_config_static_selectorELNS0_4arch9wavefront6targetE0EEEvSH_,"axG",@progbits,_ZN7rocprim17ROCPRIM_400000_NS6detail17trampoline_kernelINS0_14default_configENS1_36segmented_radix_sort_config_selectorIllEEZNS1_25segmented_radix_sort_implIS3_Lb1EPKlPlS8_S9_N2at6native12_GLOBAL__N_18offset_tEEE10hipError_tPvRmT1_PNSt15iterator_traitsISH_E10value_typeET2_T3_PNSI_ISN_E10value_typeET4_jRbjT5_ST_jjP12ihipStream_tbEUlT_E0_NS1_11comp_targetILNS1_3genE8ELNS1_11target_archE1030ELNS1_3gpuE2ELNS1_3repE0EEENS1_60segmented_radix_sort_warp_sort_medium_config_static_selectorELNS0_4arch9wavefront6targetE0EEEvSH_,comdat
	.globl	_ZN7rocprim17ROCPRIM_400000_NS6detail17trampoline_kernelINS0_14default_configENS1_36segmented_radix_sort_config_selectorIllEEZNS1_25segmented_radix_sort_implIS3_Lb1EPKlPlS8_S9_N2at6native12_GLOBAL__N_18offset_tEEE10hipError_tPvRmT1_PNSt15iterator_traitsISH_E10value_typeET2_T3_PNSI_ISN_E10value_typeET4_jRbjT5_ST_jjP12ihipStream_tbEUlT_E0_NS1_11comp_targetILNS1_3genE8ELNS1_11target_archE1030ELNS1_3gpuE2ELNS1_3repE0EEENS1_60segmented_radix_sort_warp_sort_medium_config_static_selectorELNS0_4arch9wavefront6targetE0EEEvSH_ ; -- Begin function _ZN7rocprim17ROCPRIM_400000_NS6detail17trampoline_kernelINS0_14default_configENS1_36segmented_radix_sort_config_selectorIllEEZNS1_25segmented_radix_sort_implIS3_Lb1EPKlPlS8_S9_N2at6native12_GLOBAL__N_18offset_tEEE10hipError_tPvRmT1_PNSt15iterator_traitsISH_E10value_typeET2_T3_PNSI_ISN_E10value_typeET4_jRbjT5_ST_jjP12ihipStream_tbEUlT_E0_NS1_11comp_targetILNS1_3genE8ELNS1_11target_archE1030ELNS1_3gpuE2ELNS1_3repE0EEENS1_60segmented_radix_sort_warp_sort_medium_config_static_selectorELNS0_4arch9wavefront6targetE0EEEvSH_
	.p2align	8
	.type	_ZN7rocprim17ROCPRIM_400000_NS6detail17trampoline_kernelINS0_14default_configENS1_36segmented_radix_sort_config_selectorIllEEZNS1_25segmented_radix_sort_implIS3_Lb1EPKlPlS8_S9_N2at6native12_GLOBAL__N_18offset_tEEE10hipError_tPvRmT1_PNSt15iterator_traitsISH_E10value_typeET2_T3_PNSI_ISN_E10value_typeET4_jRbjT5_ST_jjP12ihipStream_tbEUlT_E0_NS1_11comp_targetILNS1_3genE8ELNS1_11target_archE1030ELNS1_3gpuE2ELNS1_3repE0EEENS1_60segmented_radix_sort_warp_sort_medium_config_static_selectorELNS0_4arch9wavefront6targetE0EEEvSH_,@function
_ZN7rocprim17ROCPRIM_400000_NS6detail17trampoline_kernelINS0_14default_configENS1_36segmented_radix_sort_config_selectorIllEEZNS1_25segmented_radix_sort_implIS3_Lb1EPKlPlS8_S9_N2at6native12_GLOBAL__N_18offset_tEEE10hipError_tPvRmT1_PNSt15iterator_traitsISH_E10value_typeET2_T3_PNSI_ISN_E10value_typeET4_jRbjT5_ST_jjP12ihipStream_tbEUlT_E0_NS1_11comp_targetILNS1_3genE8ELNS1_11target_archE1030ELNS1_3gpuE2ELNS1_3repE0EEENS1_60segmented_radix_sort_warp_sort_medium_config_static_selectorELNS0_4arch9wavefront6targetE0EEEvSH_: ; @_ZN7rocprim17ROCPRIM_400000_NS6detail17trampoline_kernelINS0_14default_configENS1_36segmented_radix_sort_config_selectorIllEEZNS1_25segmented_radix_sort_implIS3_Lb1EPKlPlS8_S9_N2at6native12_GLOBAL__N_18offset_tEEE10hipError_tPvRmT1_PNSt15iterator_traitsISH_E10value_typeET2_T3_PNSI_ISN_E10value_typeET4_jRbjT5_ST_jjP12ihipStream_tbEUlT_E0_NS1_11comp_targetILNS1_3genE8ELNS1_11target_archE1030ELNS1_3gpuE2ELNS1_3repE0EEENS1_60segmented_radix_sort_warp_sort_medium_config_static_selectorELNS0_4arch9wavefront6targetE0EEEvSH_
; %bb.0:
	.section	.rodata,"a",@progbits
	.p2align	6, 0x0
	.amdhsa_kernel _ZN7rocprim17ROCPRIM_400000_NS6detail17trampoline_kernelINS0_14default_configENS1_36segmented_radix_sort_config_selectorIllEEZNS1_25segmented_radix_sort_implIS3_Lb1EPKlPlS8_S9_N2at6native12_GLOBAL__N_18offset_tEEE10hipError_tPvRmT1_PNSt15iterator_traitsISH_E10value_typeET2_T3_PNSI_ISN_E10value_typeET4_jRbjT5_ST_jjP12ihipStream_tbEUlT_E0_NS1_11comp_targetILNS1_3genE8ELNS1_11target_archE1030ELNS1_3gpuE2ELNS1_3repE0EEENS1_60segmented_radix_sort_warp_sort_medium_config_static_selectorELNS0_4arch9wavefront6targetE0EEEvSH_
		.amdhsa_group_segment_fixed_size 0
		.amdhsa_private_segment_fixed_size 0
		.amdhsa_kernarg_size 88
		.amdhsa_user_sgpr_count 15
		.amdhsa_user_sgpr_dispatch_ptr 0
		.amdhsa_user_sgpr_queue_ptr 0
		.amdhsa_user_sgpr_kernarg_segment_ptr 1
		.amdhsa_user_sgpr_dispatch_id 0
		.amdhsa_user_sgpr_private_segment_size 0
		.amdhsa_wavefront_size32 1
		.amdhsa_uses_dynamic_stack 0
		.amdhsa_enable_private_segment 0
		.amdhsa_system_sgpr_workgroup_id_x 1
		.amdhsa_system_sgpr_workgroup_id_y 0
		.amdhsa_system_sgpr_workgroup_id_z 0
		.amdhsa_system_sgpr_workgroup_info 0
		.amdhsa_system_vgpr_workitem_id 0
		.amdhsa_next_free_vgpr 1
		.amdhsa_next_free_sgpr 1
		.amdhsa_reserve_vcc 0
		.amdhsa_float_round_mode_32 0
		.amdhsa_float_round_mode_16_64 0
		.amdhsa_float_denorm_mode_32 3
		.amdhsa_float_denorm_mode_16_64 3
		.amdhsa_dx10_clamp 1
		.amdhsa_ieee_mode 1
		.amdhsa_fp16_overflow 0
		.amdhsa_workgroup_processor_mode 1
		.amdhsa_memory_ordered 1
		.amdhsa_forward_progress 0
		.amdhsa_shared_vgpr_count 0
		.amdhsa_exception_fp_ieee_invalid_op 0
		.amdhsa_exception_fp_denorm_src 0
		.amdhsa_exception_fp_ieee_div_zero 0
		.amdhsa_exception_fp_ieee_overflow 0
		.amdhsa_exception_fp_ieee_underflow 0
		.amdhsa_exception_fp_ieee_inexact 0
		.amdhsa_exception_int_div_zero 0
	.end_amdhsa_kernel
	.section	.text._ZN7rocprim17ROCPRIM_400000_NS6detail17trampoline_kernelINS0_14default_configENS1_36segmented_radix_sort_config_selectorIllEEZNS1_25segmented_radix_sort_implIS3_Lb1EPKlPlS8_S9_N2at6native12_GLOBAL__N_18offset_tEEE10hipError_tPvRmT1_PNSt15iterator_traitsISH_E10value_typeET2_T3_PNSI_ISN_E10value_typeET4_jRbjT5_ST_jjP12ihipStream_tbEUlT_E0_NS1_11comp_targetILNS1_3genE8ELNS1_11target_archE1030ELNS1_3gpuE2ELNS1_3repE0EEENS1_60segmented_radix_sort_warp_sort_medium_config_static_selectorELNS0_4arch9wavefront6targetE0EEEvSH_,"axG",@progbits,_ZN7rocprim17ROCPRIM_400000_NS6detail17trampoline_kernelINS0_14default_configENS1_36segmented_radix_sort_config_selectorIllEEZNS1_25segmented_radix_sort_implIS3_Lb1EPKlPlS8_S9_N2at6native12_GLOBAL__N_18offset_tEEE10hipError_tPvRmT1_PNSt15iterator_traitsISH_E10value_typeET2_T3_PNSI_ISN_E10value_typeET4_jRbjT5_ST_jjP12ihipStream_tbEUlT_E0_NS1_11comp_targetILNS1_3genE8ELNS1_11target_archE1030ELNS1_3gpuE2ELNS1_3repE0EEENS1_60segmented_radix_sort_warp_sort_medium_config_static_selectorELNS0_4arch9wavefront6targetE0EEEvSH_,comdat
.Lfunc_end723:
	.size	_ZN7rocprim17ROCPRIM_400000_NS6detail17trampoline_kernelINS0_14default_configENS1_36segmented_radix_sort_config_selectorIllEEZNS1_25segmented_radix_sort_implIS3_Lb1EPKlPlS8_S9_N2at6native12_GLOBAL__N_18offset_tEEE10hipError_tPvRmT1_PNSt15iterator_traitsISH_E10value_typeET2_T3_PNSI_ISN_E10value_typeET4_jRbjT5_ST_jjP12ihipStream_tbEUlT_E0_NS1_11comp_targetILNS1_3genE8ELNS1_11target_archE1030ELNS1_3gpuE2ELNS1_3repE0EEENS1_60segmented_radix_sort_warp_sort_medium_config_static_selectorELNS0_4arch9wavefront6targetE0EEEvSH_, .Lfunc_end723-_ZN7rocprim17ROCPRIM_400000_NS6detail17trampoline_kernelINS0_14default_configENS1_36segmented_radix_sort_config_selectorIllEEZNS1_25segmented_radix_sort_implIS3_Lb1EPKlPlS8_S9_N2at6native12_GLOBAL__N_18offset_tEEE10hipError_tPvRmT1_PNSt15iterator_traitsISH_E10value_typeET2_T3_PNSI_ISN_E10value_typeET4_jRbjT5_ST_jjP12ihipStream_tbEUlT_E0_NS1_11comp_targetILNS1_3genE8ELNS1_11target_archE1030ELNS1_3gpuE2ELNS1_3repE0EEENS1_60segmented_radix_sort_warp_sort_medium_config_static_selectorELNS0_4arch9wavefront6targetE0EEEvSH_
                                        ; -- End function
	.section	.AMDGPU.csdata,"",@progbits
; Kernel info:
; codeLenInByte = 0
; NumSgprs: 0
; NumVgprs: 0
; ScratchSize: 0
; MemoryBound: 0
; FloatMode: 240
; IeeeMode: 1
; LDSByteSize: 0 bytes/workgroup (compile time only)
; SGPRBlocks: 0
; VGPRBlocks: 0
; NumSGPRsForWavesPerEU: 1
; NumVGPRsForWavesPerEU: 1
; Occupancy: 16
; WaveLimiterHint : 0
; COMPUTE_PGM_RSRC2:SCRATCH_EN: 0
; COMPUTE_PGM_RSRC2:USER_SGPR: 15
; COMPUTE_PGM_RSRC2:TRAP_HANDLER: 0
; COMPUTE_PGM_RSRC2:TGID_X_EN: 1
; COMPUTE_PGM_RSRC2:TGID_Y_EN: 0
; COMPUTE_PGM_RSRC2:TGID_Z_EN: 0
; COMPUTE_PGM_RSRC2:TIDIG_COMP_CNT: 0
	.section	.text._ZN7rocprim17ROCPRIM_400000_NS6detail17trampoline_kernelINS0_14default_configENS1_36segmented_radix_sort_config_selectorIllEEZNS1_25segmented_radix_sort_implIS3_Lb1EPKlPlS8_S9_N2at6native12_GLOBAL__N_18offset_tEEE10hipError_tPvRmT1_PNSt15iterator_traitsISH_E10value_typeET2_T3_PNSI_ISN_E10value_typeET4_jRbjT5_ST_jjP12ihipStream_tbEUlT_E1_NS1_11comp_targetILNS1_3genE0ELNS1_11target_archE4294967295ELNS1_3gpuE0ELNS1_3repE0EEENS1_59segmented_radix_sort_warp_sort_small_config_static_selectorELNS0_4arch9wavefront6targetE0EEEvSH_,"axG",@progbits,_ZN7rocprim17ROCPRIM_400000_NS6detail17trampoline_kernelINS0_14default_configENS1_36segmented_radix_sort_config_selectorIllEEZNS1_25segmented_radix_sort_implIS3_Lb1EPKlPlS8_S9_N2at6native12_GLOBAL__N_18offset_tEEE10hipError_tPvRmT1_PNSt15iterator_traitsISH_E10value_typeET2_T3_PNSI_ISN_E10value_typeET4_jRbjT5_ST_jjP12ihipStream_tbEUlT_E1_NS1_11comp_targetILNS1_3genE0ELNS1_11target_archE4294967295ELNS1_3gpuE0ELNS1_3repE0EEENS1_59segmented_radix_sort_warp_sort_small_config_static_selectorELNS0_4arch9wavefront6targetE0EEEvSH_,comdat
	.globl	_ZN7rocprim17ROCPRIM_400000_NS6detail17trampoline_kernelINS0_14default_configENS1_36segmented_radix_sort_config_selectorIllEEZNS1_25segmented_radix_sort_implIS3_Lb1EPKlPlS8_S9_N2at6native12_GLOBAL__N_18offset_tEEE10hipError_tPvRmT1_PNSt15iterator_traitsISH_E10value_typeET2_T3_PNSI_ISN_E10value_typeET4_jRbjT5_ST_jjP12ihipStream_tbEUlT_E1_NS1_11comp_targetILNS1_3genE0ELNS1_11target_archE4294967295ELNS1_3gpuE0ELNS1_3repE0EEENS1_59segmented_radix_sort_warp_sort_small_config_static_selectorELNS0_4arch9wavefront6targetE0EEEvSH_ ; -- Begin function _ZN7rocprim17ROCPRIM_400000_NS6detail17trampoline_kernelINS0_14default_configENS1_36segmented_radix_sort_config_selectorIllEEZNS1_25segmented_radix_sort_implIS3_Lb1EPKlPlS8_S9_N2at6native12_GLOBAL__N_18offset_tEEE10hipError_tPvRmT1_PNSt15iterator_traitsISH_E10value_typeET2_T3_PNSI_ISN_E10value_typeET4_jRbjT5_ST_jjP12ihipStream_tbEUlT_E1_NS1_11comp_targetILNS1_3genE0ELNS1_11target_archE4294967295ELNS1_3gpuE0ELNS1_3repE0EEENS1_59segmented_radix_sort_warp_sort_small_config_static_selectorELNS0_4arch9wavefront6targetE0EEEvSH_
	.p2align	8
	.type	_ZN7rocprim17ROCPRIM_400000_NS6detail17trampoline_kernelINS0_14default_configENS1_36segmented_radix_sort_config_selectorIllEEZNS1_25segmented_radix_sort_implIS3_Lb1EPKlPlS8_S9_N2at6native12_GLOBAL__N_18offset_tEEE10hipError_tPvRmT1_PNSt15iterator_traitsISH_E10value_typeET2_T3_PNSI_ISN_E10value_typeET4_jRbjT5_ST_jjP12ihipStream_tbEUlT_E1_NS1_11comp_targetILNS1_3genE0ELNS1_11target_archE4294967295ELNS1_3gpuE0ELNS1_3repE0EEENS1_59segmented_radix_sort_warp_sort_small_config_static_selectorELNS0_4arch9wavefront6targetE0EEEvSH_,@function
_ZN7rocprim17ROCPRIM_400000_NS6detail17trampoline_kernelINS0_14default_configENS1_36segmented_radix_sort_config_selectorIllEEZNS1_25segmented_radix_sort_implIS3_Lb1EPKlPlS8_S9_N2at6native12_GLOBAL__N_18offset_tEEE10hipError_tPvRmT1_PNSt15iterator_traitsISH_E10value_typeET2_T3_PNSI_ISN_E10value_typeET4_jRbjT5_ST_jjP12ihipStream_tbEUlT_E1_NS1_11comp_targetILNS1_3genE0ELNS1_11target_archE4294967295ELNS1_3gpuE0ELNS1_3repE0EEENS1_59segmented_radix_sort_warp_sort_small_config_static_selectorELNS0_4arch9wavefront6targetE0EEEvSH_: ; @_ZN7rocprim17ROCPRIM_400000_NS6detail17trampoline_kernelINS0_14default_configENS1_36segmented_radix_sort_config_selectorIllEEZNS1_25segmented_radix_sort_implIS3_Lb1EPKlPlS8_S9_N2at6native12_GLOBAL__N_18offset_tEEE10hipError_tPvRmT1_PNSt15iterator_traitsISH_E10value_typeET2_T3_PNSI_ISN_E10value_typeET4_jRbjT5_ST_jjP12ihipStream_tbEUlT_E1_NS1_11comp_targetILNS1_3genE0ELNS1_11target_archE4294967295ELNS1_3gpuE0ELNS1_3repE0EEENS1_59segmented_radix_sort_warp_sort_small_config_static_selectorELNS0_4arch9wavefront6targetE0EEEvSH_
; %bb.0:
	.section	.rodata,"a",@progbits
	.p2align	6, 0x0
	.amdhsa_kernel _ZN7rocprim17ROCPRIM_400000_NS6detail17trampoline_kernelINS0_14default_configENS1_36segmented_radix_sort_config_selectorIllEEZNS1_25segmented_radix_sort_implIS3_Lb1EPKlPlS8_S9_N2at6native12_GLOBAL__N_18offset_tEEE10hipError_tPvRmT1_PNSt15iterator_traitsISH_E10value_typeET2_T3_PNSI_ISN_E10value_typeET4_jRbjT5_ST_jjP12ihipStream_tbEUlT_E1_NS1_11comp_targetILNS1_3genE0ELNS1_11target_archE4294967295ELNS1_3gpuE0ELNS1_3repE0EEENS1_59segmented_radix_sort_warp_sort_small_config_static_selectorELNS0_4arch9wavefront6targetE0EEEvSH_
		.amdhsa_group_segment_fixed_size 0
		.amdhsa_private_segment_fixed_size 0
		.amdhsa_kernarg_size 88
		.amdhsa_user_sgpr_count 15
		.amdhsa_user_sgpr_dispatch_ptr 0
		.amdhsa_user_sgpr_queue_ptr 0
		.amdhsa_user_sgpr_kernarg_segment_ptr 1
		.amdhsa_user_sgpr_dispatch_id 0
		.amdhsa_user_sgpr_private_segment_size 0
		.amdhsa_wavefront_size32 1
		.amdhsa_uses_dynamic_stack 0
		.amdhsa_enable_private_segment 0
		.amdhsa_system_sgpr_workgroup_id_x 1
		.amdhsa_system_sgpr_workgroup_id_y 0
		.amdhsa_system_sgpr_workgroup_id_z 0
		.amdhsa_system_sgpr_workgroup_info 0
		.amdhsa_system_vgpr_workitem_id 0
		.amdhsa_next_free_vgpr 1
		.amdhsa_next_free_sgpr 1
		.amdhsa_reserve_vcc 0
		.amdhsa_float_round_mode_32 0
		.amdhsa_float_round_mode_16_64 0
		.amdhsa_float_denorm_mode_32 3
		.amdhsa_float_denorm_mode_16_64 3
		.amdhsa_dx10_clamp 1
		.amdhsa_ieee_mode 1
		.amdhsa_fp16_overflow 0
		.amdhsa_workgroup_processor_mode 1
		.amdhsa_memory_ordered 1
		.amdhsa_forward_progress 0
		.amdhsa_shared_vgpr_count 0
		.amdhsa_exception_fp_ieee_invalid_op 0
		.amdhsa_exception_fp_denorm_src 0
		.amdhsa_exception_fp_ieee_div_zero 0
		.amdhsa_exception_fp_ieee_overflow 0
		.amdhsa_exception_fp_ieee_underflow 0
		.amdhsa_exception_fp_ieee_inexact 0
		.amdhsa_exception_int_div_zero 0
	.end_amdhsa_kernel
	.section	.text._ZN7rocprim17ROCPRIM_400000_NS6detail17trampoline_kernelINS0_14default_configENS1_36segmented_radix_sort_config_selectorIllEEZNS1_25segmented_radix_sort_implIS3_Lb1EPKlPlS8_S9_N2at6native12_GLOBAL__N_18offset_tEEE10hipError_tPvRmT1_PNSt15iterator_traitsISH_E10value_typeET2_T3_PNSI_ISN_E10value_typeET4_jRbjT5_ST_jjP12ihipStream_tbEUlT_E1_NS1_11comp_targetILNS1_3genE0ELNS1_11target_archE4294967295ELNS1_3gpuE0ELNS1_3repE0EEENS1_59segmented_radix_sort_warp_sort_small_config_static_selectorELNS0_4arch9wavefront6targetE0EEEvSH_,"axG",@progbits,_ZN7rocprim17ROCPRIM_400000_NS6detail17trampoline_kernelINS0_14default_configENS1_36segmented_radix_sort_config_selectorIllEEZNS1_25segmented_radix_sort_implIS3_Lb1EPKlPlS8_S9_N2at6native12_GLOBAL__N_18offset_tEEE10hipError_tPvRmT1_PNSt15iterator_traitsISH_E10value_typeET2_T3_PNSI_ISN_E10value_typeET4_jRbjT5_ST_jjP12ihipStream_tbEUlT_E1_NS1_11comp_targetILNS1_3genE0ELNS1_11target_archE4294967295ELNS1_3gpuE0ELNS1_3repE0EEENS1_59segmented_radix_sort_warp_sort_small_config_static_selectorELNS0_4arch9wavefront6targetE0EEEvSH_,comdat
.Lfunc_end724:
	.size	_ZN7rocprim17ROCPRIM_400000_NS6detail17trampoline_kernelINS0_14default_configENS1_36segmented_radix_sort_config_selectorIllEEZNS1_25segmented_radix_sort_implIS3_Lb1EPKlPlS8_S9_N2at6native12_GLOBAL__N_18offset_tEEE10hipError_tPvRmT1_PNSt15iterator_traitsISH_E10value_typeET2_T3_PNSI_ISN_E10value_typeET4_jRbjT5_ST_jjP12ihipStream_tbEUlT_E1_NS1_11comp_targetILNS1_3genE0ELNS1_11target_archE4294967295ELNS1_3gpuE0ELNS1_3repE0EEENS1_59segmented_radix_sort_warp_sort_small_config_static_selectorELNS0_4arch9wavefront6targetE0EEEvSH_, .Lfunc_end724-_ZN7rocprim17ROCPRIM_400000_NS6detail17trampoline_kernelINS0_14default_configENS1_36segmented_radix_sort_config_selectorIllEEZNS1_25segmented_radix_sort_implIS3_Lb1EPKlPlS8_S9_N2at6native12_GLOBAL__N_18offset_tEEE10hipError_tPvRmT1_PNSt15iterator_traitsISH_E10value_typeET2_T3_PNSI_ISN_E10value_typeET4_jRbjT5_ST_jjP12ihipStream_tbEUlT_E1_NS1_11comp_targetILNS1_3genE0ELNS1_11target_archE4294967295ELNS1_3gpuE0ELNS1_3repE0EEENS1_59segmented_radix_sort_warp_sort_small_config_static_selectorELNS0_4arch9wavefront6targetE0EEEvSH_
                                        ; -- End function
	.section	.AMDGPU.csdata,"",@progbits
; Kernel info:
; codeLenInByte = 0
; NumSgprs: 0
; NumVgprs: 0
; ScratchSize: 0
; MemoryBound: 0
; FloatMode: 240
; IeeeMode: 1
; LDSByteSize: 0 bytes/workgroup (compile time only)
; SGPRBlocks: 0
; VGPRBlocks: 0
; NumSGPRsForWavesPerEU: 1
; NumVGPRsForWavesPerEU: 1
; Occupancy: 16
; WaveLimiterHint : 0
; COMPUTE_PGM_RSRC2:SCRATCH_EN: 0
; COMPUTE_PGM_RSRC2:USER_SGPR: 15
; COMPUTE_PGM_RSRC2:TRAP_HANDLER: 0
; COMPUTE_PGM_RSRC2:TGID_X_EN: 1
; COMPUTE_PGM_RSRC2:TGID_Y_EN: 0
; COMPUTE_PGM_RSRC2:TGID_Z_EN: 0
; COMPUTE_PGM_RSRC2:TIDIG_COMP_CNT: 0
	.section	.text._ZN7rocprim17ROCPRIM_400000_NS6detail17trampoline_kernelINS0_14default_configENS1_36segmented_radix_sort_config_selectorIllEEZNS1_25segmented_radix_sort_implIS3_Lb1EPKlPlS8_S9_N2at6native12_GLOBAL__N_18offset_tEEE10hipError_tPvRmT1_PNSt15iterator_traitsISH_E10value_typeET2_T3_PNSI_ISN_E10value_typeET4_jRbjT5_ST_jjP12ihipStream_tbEUlT_E1_NS1_11comp_targetILNS1_3genE5ELNS1_11target_archE942ELNS1_3gpuE9ELNS1_3repE0EEENS1_59segmented_radix_sort_warp_sort_small_config_static_selectorELNS0_4arch9wavefront6targetE0EEEvSH_,"axG",@progbits,_ZN7rocprim17ROCPRIM_400000_NS6detail17trampoline_kernelINS0_14default_configENS1_36segmented_radix_sort_config_selectorIllEEZNS1_25segmented_radix_sort_implIS3_Lb1EPKlPlS8_S9_N2at6native12_GLOBAL__N_18offset_tEEE10hipError_tPvRmT1_PNSt15iterator_traitsISH_E10value_typeET2_T3_PNSI_ISN_E10value_typeET4_jRbjT5_ST_jjP12ihipStream_tbEUlT_E1_NS1_11comp_targetILNS1_3genE5ELNS1_11target_archE942ELNS1_3gpuE9ELNS1_3repE0EEENS1_59segmented_radix_sort_warp_sort_small_config_static_selectorELNS0_4arch9wavefront6targetE0EEEvSH_,comdat
	.globl	_ZN7rocprim17ROCPRIM_400000_NS6detail17trampoline_kernelINS0_14default_configENS1_36segmented_radix_sort_config_selectorIllEEZNS1_25segmented_radix_sort_implIS3_Lb1EPKlPlS8_S9_N2at6native12_GLOBAL__N_18offset_tEEE10hipError_tPvRmT1_PNSt15iterator_traitsISH_E10value_typeET2_T3_PNSI_ISN_E10value_typeET4_jRbjT5_ST_jjP12ihipStream_tbEUlT_E1_NS1_11comp_targetILNS1_3genE5ELNS1_11target_archE942ELNS1_3gpuE9ELNS1_3repE0EEENS1_59segmented_radix_sort_warp_sort_small_config_static_selectorELNS0_4arch9wavefront6targetE0EEEvSH_ ; -- Begin function _ZN7rocprim17ROCPRIM_400000_NS6detail17trampoline_kernelINS0_14default_configENS1_36segmented_radix_sort_config_selectorIllEEZNS1_25segmented_radix_sort_implIS3_Lb1EPKlPlS8_S9_N2at6native12_GLOBAL__N_18offset_tEEE10hipError_tPvRmT1_PNSt15iterator_traitsISH_E10value_typeET2_T3_PNSI_ISN_E10value_typeET4_jRbjT5_ST_jjP12ihipStream_tbEUlT_E1_NS1_11comp_targetILNS1_3genE5ELNS1_11target_archE942ELNS1_3gpuE9ELNS1_3repE0EEENS1_59segmented_radix_sort_warp_sort_small_config_static_selectorELNS0_4arch9wavefront6targetE0EEEvSH_
	.p2align	8
	.type	_ZN7rocprim17ROCPRIM_400000_NS6detail17trampoline_kernelINS0_14default_configENS1_36segmented_radix_sort_config_selectorIllEEZNS1_25segmented_radix_sort_implIS3_Lb1EPKlPlS8_S9_N2at6native12_GLOBAL__N_18offset_tEEE10hipError_tPvRmT1_PNSt15iterator_traitsISH_E10value_typeET2_T3_PNSI_ISN_E10value_typeET4_jRbjT5_ST_jjP12ihipStream_tbEUlT_E1_NS1_11comp_targetILNS1_3genE5ELNS1_11target_archE942ELNS1_3gpuE9ELNS1_3repE0EEENS1_59segmented_radix_sort_warp_sort_small_config_static_selectorELNS0_4arch9wavefront6targetE0EEEvSH_,@function
_ZN7rocprim17ROCPRIM_400000_NS6detail17trampoline_kernelINS0_14default_configENS1_36segmented_radix_sort_config_selectorIllEEZNS1_25segmented_radix_sort_implIS3_Lb1EPKlPlS8_S9_N2at6native12_GLOBAL__N_18offset_tEEE10hipError_tPvRmT1_PNSt15iterator_traitsISH_E10value_typeET2_T3_PNSI_ISN_E10value_typeET4_jRbjT5_ST_jjP12ihipStream_tbEUlT_E1_NS1_11comp_targetILNS1_3genE5ELNS1_11target_archE942ELNS1_3gpuE9ELNS1_3repE0EEENS1_59segmented_radix_sort_warp_sort_small_config_static_selectorELNS0_4arch9wavefront6targetE0EEEvSH_: ; @_ZN7rocprim17ROCPRIM_400000_NS6detail17trampoline_kernelINS0_14default_configENS1_36segmented_radix_sort_config_selectorIllEEZNS1_25segmented_radix_sort_implIS3_Lb1EPKlPlS8_S9_N2at6native12_GLOBAL__N_18offset_tEEE10hipError_tPvRmT1_PNSt15iterator_traitsISH_E10value_typeET2_T3_PNSI_ISN_E10value_typeET4_jRbjT5_ST_jjP12ihipStream_tbEUlT_E1_NS1_11comp_targetILNS1_3genE5ELNS1_11target_archE942ELNS1_3gpuE9ELNS1_3repE0EEENS1_59segmented_radix_sort_warp_sort_small_config_static_selectorELNS0_4arch9wavefront6targetE0EEEvSH_
; %bb.0:
	.section	.rodata,"a",@progbits
	.p2align	6, 0x0
	.amdhsa_kernel _ZN7rocprim17ROCPRIM_400000_NS6detail17trampoline_kernelINS0_14default_configENS1_36segmented_radix_sort_config_selectorIllEEZNS1_25segmented_radix_sort_implIS3_Lb1EPKlPlS8_S9_N2at6native12_GLOBAL__N_18offset_tEEE10hipError_tPvRmT1_PNSt15iterator_traitsISH_E10value_typeET2_T3_PNSI_ISN_E10value_typeET4_jRbjT5_ST_jjP12ihipStream_tbEUlT_E1_NS1_11comp_targetILNS1_3genE5ELNS1_11target_archE942ELNS1_3gpuE9ELNS1_3repE0EEENS1_59segmented_radix_sort_warp_sort_small_config_static_selectorELNS0_4arch9wavefront6targetE0EEEvSH_
		.amdhsa_group_segment_fixed_size 0
		.amdhsa_private_segment_fixed_size 0
		.amdhsa_kernarg_size 88
		.amdhsa_user_sgpr_count 15
		.amdhsa_user_sgpr_dispatch_ptr 0
		.amdhsa_user_sgpr_queue_ptr 0
		.amdhsa_user_sgpr_kernarg_segment_ptr 1
		.amdhsa_user_sgpr_dispatch_id 0
		.amdhsa_user_sgpr_private_segment_size 0
		.amdhsa_wavefront_size32 1
		.amdhsa_uses_dynamic_stack 0
		.amdhsa_enable_private_segment 0
		.amdhsa_system_sgpr_workgroup_id_x 1
		.amdhsa_system_sgpr_workgroup_id_y 0
		.amdhsa_system_sgpr_workgroup_id_z 0
		.amdhsa_system_sgpr_workgroup_info 0
		.amdhsa_system_vgpr_workitem_id 0
		.amdhsa_next_free_vgpr 1
		.amdhsa_next_free_sgpr 1
		.amdhsa_reserve_vcc 0
		.amdhsa_float_round_mode_32 0
		.amdhsa_float_round_mode_16_64 0
		.amdhsa_float_denorm_mode_32 3
		.amdhsa_float_denorm_mode_16_64 3
		.amdhsa_dx10_clamp 1
		.amdhsa_ieee_mode 1
		.amdhsa_fp16_overflow 0
		.amdhsa_workgroup_processor_mode 1
		.amdhsa_memory_ordered 1
		.amdhsa_forward_progress 0
		.amdhsa_shared_vgpr_count 0
		.amdhsa_exception_fp_ieee_invalid_op 0
		.amdhsa_exception_fp_denorm_src 0
		.amdhsa_exception_fp_ieee_div_zero 0
		.amdhsa_exception_fp_ieee_overflow 0
		.amdhsa_exception_fp_ieee_underflow 0
		.amdhsa_exception_fp_ieee_inexact 0
		.amdhsa_exception_int_div_zero 0
	.end_amdhsa_kernel
	.section	.text._ZN7rocprim17ROCPRIM_400000_NS6detail17trampoline_kernelINS0_14default_configENS1_36segmented_radix_sort_config_selectorIllEEZNS1_25segmented_radix_sort_implIS3_Lb1EPKlPlS8_S9_N2at6native12_GLOBAL__N_18offset_tEEE10hipError_tPvRmT1_PNSt15iterator_traitsISH_E10value_typeET2_T3_PNSI_ISN_E10value_typeET4_jRbjT5_ST_jjP12ihipStream_tbEUlT_E1_NS1_11comp_targetILNS1_3genE5ELNS1_11target_archE942ELNS1_3gpuE9ELNS1_3repE0EEENS1_59segmented_radix_sort_warp_sort_small_config_static_selectorELNS0_4arch9wavefront6targetE0EEEvSH_,"axG",@progbits,_ZN7rocprim17ROCPRIM_400000_NS6detail17trampoline_kernelINS0_14default_configENS1_36segmented_radix_sort_config_selectorIllEEZNS1_25segmented_radix_sort_implIS3_Lb1EPKlPlS8_S9_N2at6native12_GLOBAL__N_18offset_tEEE10hipError_tPvRmT1_PNSt15iterator_traitsISH_E10value_typeET2_T3_PNSI_ISN_E10value_typeET4_jRbjT5_ST_jjP12ihipStream_tbEUlT_E1_NS1_11comp_targetILNS1_3genE5ELNS1_11target_archE942ELNS1_3gpuE9ELNS1_3repE0EEENS1_59segmented_radix_sort_warp_sort_small_config_static_selectorELNS0_4arch9wavefront6targetE0EEEvSH_,comdat
.Lfunc_end725:
	.size	_ZN7rocprim17ROCPRIM_400000_NS6detail17trampoline_kernelINS0_14default_configENS1_36segmented_radix_sort_config_selectorIllEEZNS1_25segmented_radix_sort_implIS3_Lb1EPKlPlS8_S9_N2at6native12_GLOBAL__N_18offset_tEEE10hipError_tPvRmT1_PNSt15iterator_traitsISH_E10value_typeET2_T3_PNSI_ISN_E10value_typeET4_jRbjT5_ST_jjP12ihipStream_tbEUlT_E1_NS1_11comp_targetILNS1_3genE5ELNS1_11target_archE942ELNS1_3gpuE9ELNS1_3repE0EEENS1_59segmented_radix_sort_warp_sort_small_config_static_selectorELNS0_4arch9wavefront6targetE0EEEvSH_, .Lfunc_end725-_ZN7rocprim17ROCPRIM_400000_NS6detail17trampoline_kernelINS0_14default_configENS1_36segmented_radix_sort_config_selectorIllEEZNS1_25segmented_radix_sort_implIS3_Lb1EPKlPlS8_S9_N2at6native12_GLOBAL__N_18offset_tEEE10hipError_tPvRmT1_PNSt15iterator_traitsISH_E10value_typeET2_T3_PNSI_ISN_E10value_typeET4_jRbjT5_ST_jjP12ihipStream_tbEUlT_E1_NS1_11comp_targetILNS1_3genE5ELNS1_11target_archE942ELNS1_3gpuE9ELNS1_3repE0EEENS1_59segmented_radix_sort_warp_sort_small_config_static_selectorELNS0_4arch9wavefront6targetE0EEEvSH_
                                        ; -- End function
	.section	.AMDGPU.csdata,"",@progbits
; Kernel info:
; codeLenInByte = 0
; NumSgprs: 0
; NumVgprs: 0
; ScratchSize: 0
; MemoryBound: 0
; FloatMode: 240
; IeeeMode: 1
; LDSByteSize: 0 bytes/workgroup (compile time only)
; SGPRBlocks: 0
; VGPRBlocks: 0
; NumSGPRsForWavesPerEU: 1
; NumVGPRsForWavesPerEU: 1
; Occupancy: 16
; WaveLimiterHint : 0
; COMPUTE_PGM_RSRC2:SCRATCH_EN: 0
; COMPUTE_PGM_RSRC2:USER_SGPR: 15
; COMPUTE_PGM_RSRC2:TRAP_HANDLER: 0
; COMPUTE_PGM_RSRC2:TGID_X_EN: 1
; COMPUTE_PGM_RSRC2:TGID_Y_EN: 0
; COMPUTE_PGM_RSRC2:TGID_Z_EN: 0
; COMPUTE_PGM_RSRC2:TIDIG_COMP_CNT: 0
	.section	.text._ZN7rocprim17ROCPRIM_400000_NS6detail17trampoline_kernelINS0_14default_configENS1_36segmented_radix_sort_config_selectorIllEEZNS1_25segmented_radix_sort_implIS3_Lb1EPKlPlS8_S9_N2at6native12_GLOBAL__N_18offset_tEEE10hipError_tPvRmT1_PNSt15iterator_traitsISH_E10value_typeET2_T3_PNSI_ISN_E10value_typeET4_jRbjT5_ST_jjP12ihipStream_tbEUlT_E1_NS1_11comp_targetILNS1_3genE4ELNS1_11target_archE910ELNS1_3gpuE8ELNS1_3repE0EEENS1_59segmented_radix_sort_warp_sort_small_config_static_selectorELNS0_4arch9wavefront6targetE0EEEvSH_,"axG",@progbits,_ZN7rocprim17ROCPRIM_400000_NS6detail17trampoline_kernelINS0_14default_configENS1_36segmented_radix_sort_config_selectorIllEEZNS1_25segmented_radix_sort_implIS3_Lb1EPKlPlS8_S9_N2at6native12_GLOBAL__N_18offset_tEEE10hipError_tPvRmT1_PNSt15iterator_traitsISH_E10value_typeET2_T3_PNSI_ISN_E10value_typeET4_jRbjT5_ST_jjP12ihipStream_tbEUlT_E1_NS1_11comp_targetILNS1_3genE4ELNS1_11target_archE910ELNS1_3gpuE8ELNS1_3repE0EEENS1_59segmented_radix_sort_warp_sort_small_config_static_selectorELNS0_4arch9wavefront6targetE0EEEvSH_,comdat
	.globl	_ZN7rocprim17ROCPRIM_400000_NS6detail17trampoline_kernelINS0_14default_configENS1_36segmented_radix_sort_config_selectorIllEEZNS1_25segmented_radix_sort_implIS3_Lb1EPKlPlS8_S9_N2at6native12_GLOBAL__N_18offset_tEEE10hipError_tPvRmT1_PNSt15iterator_traitsISH_E10value_typeET2_T3_PNSI_ISN_E10value_typeET4_jRbjT5_ST_jjP12ihipStream_tbEUlT_E1_NS1_11comp_targetILNS1_3genE4ELNS1_11target_archE910ELNS1_3gpuE8ELNS1_3repE0EEENS1_59segmented_radix_sort_warp_sort_small_config_static_selectorELNS0_4arch9wavefront6targetE0EEEvSH_ ; -- Begin function _ZN7rocprim17ROCPRIM_400000_NS6detail17trampoline_kernelINS0_14default_configENS1_36segmented_radix_sort_config_selectorIllEEZNS1_25segmented_radix_sort_implIS3_Lb1EPKlPlS8_S9_N2at6native12_GLOBAL__N_18offset_tEEE10hipError_tPvRmT1_PNSt15iterator_traitsISH_E10value_typeET2_T3_PNSI_ISN_E10value_typeET4_jRbjT5_ST_jjP12ihipStream_tbEUlT_E1_NS1_11comp_targetILNS1_3genE4ELNS1_11target_archE910ELNS1_3gpuE8ELNS1_3repE0EEENS1_59segmented_radix_sort_warp_sort_small_config_static_selectorELNS0_4arch9wavefront6targetE0EEEvSH_
	.p2align	8
	.type	_ZN7rocprim17ROCPRIM_400000_NS6detail17trampoline_kernelINS0_14default_configENS1_36segmented_radix_sort_config_selectorIllEEZNS1_25segmented_radix_sort_implIS3_Lb1EPKlPlS8_S9_N2at6native12_GLOBAL__N_18offset_tEEE10hipError_tPvRmT1_PNSt15iterator_traitsISH_E10value_typeET2_T3_PNSI_ISN_E10value_typeET4_jRbjT5_ST_jjP12ihipStream_tbEUlT_E1_NS1_11comp_targetILNS1_3genE4ELNS1_11target_archE910ELNS1_3gpuE8ELNS1_3repE0EEENS1_59segmented_radix_sort_warp_sort_small_config_static_selectorELNS0_4arch9wavefront6targetE0EEEvSH_,@function
_ZN7rocprim17ROCPRIM_400000_NS6detail17trampoline_kernelINS0_14default_configENS1_36segmented_radix_sort_config_selectorIllEEZNS1_25segmented_radix_sort_implIS3_Lb1EPKlPlS8_S9_N2at6native12_GLOBAL__N_18offset_tEEE10hipError_tPvRmT1_PNSt15iterator_traitsISH_E10value_typeET2_T3_PNSI_ISN_E10value_typeET4_jRbjT5_ST_jjP12ihipStream_tbEUlT_E1_NS1_11comp_targetILNS1_3genE4ELNS1_11target_archE910ELNS1_3gpuE8ELNS1_3repE0EEENS1_59segmented_radix_sort_warp_sort_small_config_static_selectorELNS0_4arch9wavefront6targetE0EEEvSH_: ; @_ZN7rocprim17ROCPRIM_400000_NS6detail17trampoline_kernelINS0_14default_configENS1_36segmented_radix_sort_config_selectorIllEEZNS1_25segmented_radix_sort_implIS3_Lb1EPKlPlS8_S9_N2at6native12_GLOBAL__N_18offset_tEEE10hipError_tPvRmT1_PNSt15iterator_traitsISH_E10value_typeET2_T3_PNSI_ISN_E10value_typeET4_jRbjT5_ST_jjP12ihipStream_tbEUlT_E1_NS1_11comp_targetILNS1_3genE4ELNS1_11target_archE910ELNS1_3gpuE8ELNS1_3repE0EEENS1_59segmented_radix_sort_warp_sort_small_config_static_selectorELNS0_4arch9wavefront6targetE0EEEvSH_
; %bb.0:
	.section	.rodata,"a",@progbits
	.p2align	6, 0x0
	.amdhsa_kernel _ZN7rocprim17ROCPRIM_400000_NS6detail17trampoline_kernelINS0_14default_configENS1_36segmented_radix_sort_config_selectorIllEEZNS1_25segmented_radix_sort_implIS3_Lb1EPKlPlS8_S9_N2at6native12_GLOBAL__N_18offset_tEEE10hipError_tPvRmT1_PNSt15iterator_traitsISH_E10value_typeET2_T3_PNSI_ISN_E10value_typeET4_jRbjT5_ST_jjP12ihipStream_tbEUlT_E1_NS1_11comp_targetILNS1_3genE4ELNS1_11target_archE910ELNS1_3gpuE8ELNS1_3repE0EEENS1_59segmented_radix_sort_warp_sort_small_config_static_selectorELNS0_4arch9wavefront6targetE0EEEvSH_
		.amdhsa_group_segment_fixed_size 0
		.amdhsa_private_segment_fixed_size 0
		.amdhsa_kernarg_size 88
		.amdhsa_user_sgpr_count 15
		.amdhsa_user_sgpr_dispatch_ptr 0
		.amdhsa_user_sgpr_queue_ptr 0
		.amdhsa_user_sgpr_kernarg_segment_ptr 1
		.amdhsa_user_sgpr_dispatch_id 0
		.amdhsa_user_sgpr_private_segment_size 0
		.amdhsa_wavefront_size32 1
		.amdhsa_uses_dynamic_stack 0
		.amdhsa_enable_private_segment 0
		.amdhsa_system_sgpr_workgroup_id_x 1
		.amdhsa_system_sgpr_workgroup_id_y 0
		.amdhsa_system_sgpr_workgroup_id_z 0
		.amdhsa_system_sgpr_workgroup_info 0
		.amdhsa_system_vgpr_workitem_id 0
		.amdhsa_next_free_vgpr 1
		.amdhsa_next_free_sgpr 1
		.amdhsa_reserve_vcc 0
		.amdhsa_float_round_mode_32 0
		.amdhsa_float_round_mode_16_64 0
		.amdhsa_float_denorm_mode_32 3
		.amdhsa_float_denorm_mode_16_64 3
		.amdhsa_dx10_clamp 1
		.amdhsa_ieee_mode 1
		.amdhsa_fp16_overflow 0
		.amdhsa_workgroup_processor_mode 1
		.amdhsa_memory_ordered 1
		.amdhsa_forward_progress 0
		.amdhsa_shared_vgpr_count 0
		.amdhsa_exception_fp_ieee_invalid_op 0
		.amdhsa_exception_fp_denorm_src 0
		.amdhsa_exception_fp_ieee_div_zero 0
		.amdhsa_exception_fp_ieee_overflow 0
		.amdhsa_exception_fp_ieee_underflow 0
		.amdhsa_exception_fp_ieee_inexact 0
		.amdhsa_exception_int_div_zero 0
	.end_amdhsa_kernel
	.section	.text._ZN7rocprim17ROCPRIM_400000_NS6detail17trampoline_kernelINS0_14default_configENS1_36segmented_radix_sort_config_selectorIllEEZNS1_25segmented_radix_sort_implIS3_Lb1EPKlPlS8_S9_N2at6native12_GLOBAL__N_18offset_tEEE10hipError_tPvRmT1_PNSt15iterator_traitsISH_E10value_typeET2_T3_PNSI_ISN_E10value_typeET4_jRbjT5_ST_jjP12ihipStream_tbEUlT_E1_NS1_11comp_targetILNS1_3genE4ELNS1_11target_archE910ELNS1_3gpuE8ELNS1_3repE0EEENS1_59segmented_radix_sort_warp_sort_small_config_static_selectorELNS0_4arch9wavefront6targetE0EEEvSH_,"axG",@progbits,_ZN7rocprim17ROCPRIM_400000_NS6detail17trampoline_kernelINS0_14default_configENS1_36segmented_radix_sort_config_selectorIllEEZNS1_25segmented_radix_sort_implIS3_Lb1EPKlPlS8_S9_N2at6native12_GLOBAL__N_18offset_tEEE10hipError_tPvRmT1_PNSt15iterator_traitsISH_E10value_typeET2_T3_PNSI_ISN_E10value_typeET4_jRbjT5_ST_jjP12ihipStream_tbEUlT_E1_NS1_11comp_targetILNS1_3genE4ELNS1_11target_archE910ELNS1_3gpuE8ELNS1_3repE0EEENS1_59segmented_radix_sort_warp_sort_small_config_static_selectorELNS0_4arch9wavefront6targetE0EEEvSH_,comdat
.Lfunc_end726:
	.size	_ZN7rocprim17ROCPRIM_400000_NS6detail17trampoline_kernelINS0_14default_configENS1_36segmented_radix_sort_config_selectorIllEEZNS1_25segmented_radix_sort_implIS3_Lb1EPKlPlS8_S9_N2at6native12_GLOBAL__N_18offset_tEEE10hipError_tPvRmT1_PNSt15iterator_traitsISH_E10value_typeET2_T3_PNSI_ISN_E10value_typeET4_jRbjT5_ST_jjP12ihipStream_tbEUlT_E1_NS1_11comp_targetILNS1_3genE4ELNS1_11target_archE910ELNS1_3gpuE8ELNS1_3repE0EEENS1_59segmented_radix_sort_warp_sort_small_config_static_selectorELNS0_4arch9wavefront6targetE0EEEvSH_, .Lfunc_end726-_ZN7rocprim17ROCPRIM_400000_NS6detail17trampoline_kernelINS0_14default_configENS1_36segmented_radix_sort_config_selectorIllEEZNS1_25segmented_radix_sort_implIS3_Lb1EPKlPlS8_S9_N2at6native12_GLOBAL__N_18offset_tEEE10hipError_tPvRmT1_PNSt15iterator_traitsISH_E10value_typeET2_T3_PNSI_ISN_E10value_typeET4_jRbjT5_ST_jjP12ihipStream_tbEUlT_E1_NS1_11comp_targetILNS1_3genE4ELNS1_11target_archE910ELNS1_3gpuE8ELNS1_3repE0EEENS1_59segmented_radix_sort_warp_sort_small_config_static_selectorELNS0_4arch9wavefront6targetE0EEEvSH_
                                        ; -- End function
	.section	.AMDGPU.csdata,"",@progbits
; Kernel info:
; codeLenInByte = 0
; NumSgprs: 0
; NumVgprs: 0
; ScratchSize: 0
; MemoryBound: 0
; FloatMode: 240
; IeeeMode: 1
; LDSByteSize: 0 bytes/workgroup (compile time only)
; SGPRBlocks: 0
; VGPRBlocks: 0
; NumSGPRsForWavesPerEU: 1
; NumVGPRsForWavesPerEU: 1
; Occupancy: 16
; WaveLimiterHint : 0
; COMPUTE_PGM_RSRC2:SCRATCH_EN: 0
; COMPUTE_PGM_RSRC2:USER_SGPR: 15
; COMPUTE_PGM_RSRC2:TRAP_HANDLER: 0
; COMPUTE_PGM_RSRC2:TGID_X_EN: 1
; COMPUTE_PGM_RSRC2:TGID_Y_EN: 0
; COMPUTE_PGM_RSRC2:TGID_Z_EN: 0
; COMPUTE_PGM_RSRC2:TIDIG_COMP_CNT: 0
	.section	.text._ZN7rocprim17ROCPRIM_400000_NS6detail17trampoline_kernelINS0_14default_configENS1_36segmented_radix_sort_config_selectorIllEEZNS1_25segmented_radix_sort_implIS3_Lb1EPKlPlS8_S9_N2at6native12_GLOBAL__N_18offset_tEEE10hipError_tPvRmT1_PNSt15iterator_traitsISH_E10value_typeET2_T3_PNSI_ISN_E10value_typeET4_jRbjT5_ST_jjP12ihipStream_tbEUlT_E1_NS1_11comp_targetILNS1_3genE3ELNS1_11target_archE908ELNS1_3gpuE7ELNS1_3repE0EEENS1_59segmented_radix_sort_warp_sort_small_config_static_selectorELNS0_4arch9wavefront6targetE0EEEvSH_,"axG",@progbits,_ZN7rocprim17ROCPRIM_400000_NS6detail17trampoline_kernelINS0_14default_configENS1_36segmented_radix_sort_config_selectorIllEEZNS1_25segmented_radix_sort_implIS3_Lb1EPKlPlS8_S9_N2at6native12_GLOBAL__N_18offset_tEEE10hipError_tPvRmT1_PNSt15iterator_traitsISH_E10value_typeET2_T3_PNSI_ISN_E10value_typeET4_jRbjT5_ST_jjP12ihipStream_tbEUlT_E1_NS1_11comp_targetILNS1_3genE3ELNS1_11target_archE908ELNS1_3gpuE7ELNS1_3repE0EEENS1_59segmented_radix_sort_warp_sort_small_config_static_selectorELNS0_4arch9wavefront6targetE0EEEvSH_,comdat
	.globl	_ZN7rocprim17ROCPRIM_400000_NS6detail17trampoline_kernelINS0_14default_configENS1_36segmented_radix_sort_config_selectorIllEEZNS1_25segmented_radix_sort_implIS3_Lb1EPKlPlS8_S9_N2at6native12_GLOBAL__N_18offset_tEEE10hipError_tPvRmT1_PNSt15iterator_traitsISH_E10value_typeET2_T3_PNSI_ISN_E10value_typeET4_jRbjT5_ST_jjP12ihipStream_tbEUlT_E1_NS1_11comp_targetILNS1_3genE3ELNS1_11target_archE908ELNS1_3gpuE7ELNS1_3repE0EEENS1_59segmented_radix_sort_warp_sort_small_config_static_selectorELNS0_4arch9wavefront6targetE0EEEvSH_ ; -- Begin function _ZN7rocprim17ROCPRIM_400000_NS6detail17trampoline_kernelINS0_14default_configENS1_36segmented_radix_sort_config_selectorIllEEZNS1_25segmented_radix_sort_implIS3_Lb1EPKlPlS8_S9_N2at6native12_GLOBAL__N_18offset_tEEE10hipError_tPvRmT1_PNSt15iterator_traitsISH_E10value_typeET2_T3_PNSI_ISN_E10value_typeET4_jRbjT5_ST_jjP12ihipStream_tbEUlT_E1_NS1_11comp_targetILNS1_3genE3ELNS1_11target_archE908ELNS1_3gpuE7ELNS1_3repE0EEENS1_59segmented_radix_sort_warp_sort_small_config_static_selectorELNS0_4arch9wavefront6targetE0EEEvSH_
	.p2align	8
	.type	_ZN7rocprim17ROCPRIM_400000_NS6detail17trampoline_kernelINS0_14default_configENS1_36segmented_radix_sort_config_selectorIllEEZNS1_25segmented_radix_sort_implIS3_Lb1EPKlPlS8_S9_N2at6native12_GLOBAL__N_18offset_tEEE10hipError_tPvRmT1_PNSt15iterator_traitsISH_E10value_typeET2_T3_PNSI_ISN_E10value_typeET4_jRbjT5_ST_jjP12ihipStream_tbEUlT_E1_NS1_11comp_targetILNS1_3genE3ELNS1_11target_archE908ELNS1_3gpuE7ELNS1_3repE0EEENS1_59segmented_radix_sort_warp_sort_small_config_static_selectorELNS0_4arch9wavefront6targetE0EEEvSH_,@function
_ZN7rocprim17ROCPRIM_400000_NS6detail17trampoline_kernelINS0_14default_configENS1_36segmented_radix_sort_config_selectorIllEEZNS1_25segmented_radix_sort_implIS3_Lb1EPKlPlS8_S9_N2at6native12_GLOBAL__N_18offset_tEEE10hipError_tPvRmT1_PNSt15iterator_traitsISH_E10value_typeET2_T3_PNSI_ISN_E10value_typeET4_jRbjT5_ST_jjP12ihipStream_tbEUlT_E1_NS1_11comp_targetILNS1_3genE3ELNS1_11target_archE908ELNS1_3gpuE7ELNS1_3repE0EEENS1_59segmented_radix_sort_warp_sort_small_config_static_selectorELNS0_4arch9wavefront6targetE0EEEvSH_: ; @_ZN7rocprim17ROCPRIM_400000_NS6detail17trampoline_kernelINS0_14default_configENS1_36segmented_radix_sort_config_selectorIllEEZNS1_25segmented_radix_sort_implIS3_Lb1EPKlPlS8_S9_N2at6native12_GLOBAL__N_18offset_tEEE10hipError_tPvRmT1_PNSt15iterator_traitsISH_E10value_typeET2_T3_PNSI_ISN_E10value_typeET4_jRbjT5_ST_jjP12ihipStream_tbEUlT_E1_NS1_11comp_targetILNS1_3genE3ELNS1_11target_archE908ELNS1_3gpuE7ELNS1_3repE0EEENS1_59segmented_radix_sort_warp_sort_small_config_static_selectorELNS0_4arch9wavefront6targetE0EEEvSH_
; %bb.0:
	.section	.rodata,"a",@progbits
	.p2align	6, 0x0
	.amdhsa_kernel _ZN7rocprim17ROCPRIM_400000_NS6detail17trampoline_kernelINS0_14default_configENS1_36segmented_radix_sort_config_selectorIllEEZNS1_25segmented_radix_sort_implIS3_Lb1EPKlPlS8_S9_N2at6native12_GLOBAL__N_18offset_tEEE10hipError_tPvRmT1_PNSt15iterator_traitsISH_E10value_typeET2_T3_PNSI_ISN_E10value_typeET4_jRbjT5_ST_jjP12ihipStream_tbEUlT_E1_NS1_11comp_targetILNS1_3genE3ELNS1_11target_archE908ELNS1_3gpuE7ELNS1_3repE0EEENS1_59segmented_radix_sort_warp_sort_small_config_static_selectorELNS0_4arch9wavefront6targetE0EEEvSH_
		.amdhsa_group_segment_fixed_size 0
		.amdhsa_private_segment_fixed_size 0
		.amdhsa_kernarg_size 88
		.amdhsa_user_sgpr_count 15
		.amdhsa_user_sgpr_dispatch_ptr 0
		.amdhsa_user_sgpr_queue_ptr 0
		.amdhsa_user_sgpr_kernarg_segment_ptr 1
		.amdhsa_user_sgpr_dispatch_id 0
		.amdhsa_user_sgpr_private_segment_size 0
		.amdhsa_wavefront_size32 1
		.amdhsa_uses_dynamic_stack 0
		.amdhsa_enable_private_segment 0
		.amdhsa_system_sgpr_workgroup_id_x 1
		.amdhsa_system_sgpr_workgroup_id_y 0
		.amdhsa_system_sgpr_workgroup_id_z 0
		.amdhsa_system_sgpr_workgroup_info 0
		.amdhsa_system_vgpr_workitem_id 0
		.amdhsa_next_free_vgpr 1
		.amdhsa_next_free_sgpr 1
		.amdhsa_reserve_vcc 0
		.amdhsa_float_round_mode_32 0
		.amdhsa_float_round_mode_16_64 0
		.amdhsa_float_denorm_mode_32 3
		.amdhsa_float_denorm_mode_16_64 3
		.amdhsa_dx10_clamp 1
		.amdhsa_ieee_mode 1
		.amdhsa_fp16_overflow 0
		.amdhsa_workgroup_processor_mode 1
		.amdhsa_memory_ordered 1
		.amdhsa_forward_progress 0
		.amdhsa_shared_vgpr_count 0
		.amdhsa_exception_fp_ieee_invalid_op 0
		.amdhsa_exception_fp_denorm_src 0
		.amdhsa_exception_fp_ieee_div_zero 0
		.amdhsa_exception_fp_ieee_overflow 0
		.amdhsa_exception_fp_ieee_underflow 0
		.amdhsa_exception_fp_ieee_inexact 0
		.amdhsa_exception_int_div_zero 0
	.end_amdhsa_kernel
	.section	.text._ZN7rocprim17ROCPRIM_400000_NS6detail17trampoline_kernelINS0_14default_configENS1_36segmented_radix_sort_config_selectorIllEEZNS1_25segmented_radix_sort_implIS3_Lb1EPKlPlS8_S9_N2at6native12_GLOBAL__N_18offset_tEEE10hipError_tPvRmT1_PNSt15iterator_traitsISH_E10value_typeET2_T3_PNSI_ISN_E10value_typeET4_jRbjT5_ST_jjP12ihipStream_tbEUlT_E1_NS1_11comp_targetILNS1_3genE3ELNS1_11target_archE908ELNS1_3gpuE7ELNS1_3repE0EEENS1_59segmented_radix_sort_warp_sort_small_config_static_selectorELNS0_4arch9wavefront6targetE0EEEvSH_,"axG",@progbits,_ZN7rocprim17ROCPRIM_400000_NS6detail17trampoline_kernelINS0_14default_configENS1_36segmented_radix_sort_config_selectorIllEEZNS1_25segmented_radix_sort_implIS3_Lb1EPKlPlS8_S9_N2at6native12_GLOBAL__N_18offset_tEEE10hipError_tPvRmT1_PNSt15iterator_traitsISH_E10value_typeET2_T3_PNSI_ISN_E10value_typeET4_jRbjT5_ST_jjP12ihipStream_tbEUlT_E1_NS1_11comp_targetILNS1_3genE3ELNS1_11target_archE908ELNS1_3gpuE7ELNS1_3repE0EEENS1_59segmented_radix_sort_warp_sort_small_config_static_selectorELNS0_4arch9wavefront6targetE0EEEvSH_,comdat
.Lfunc_end727:
	.size	_ZN7rocprim17ROCPRIM_400000_NS6detail17trampoline_kernelINS0_14default_configENS1_36segmented_radix_sort_config_selectorIllEEZNS1_25segmented_radix_sort_implIS3_Lb1EPKlPlS8_S9_N2at6native12_GLOBAL__N_18offset_tEEE10hipError_tPvRmT1_PNSt15iterator_traitsISH_E10value_typeET2_T3_PNSI_ISN_E10value_typeET4_jRbjT5_ST_jjP12ihipStream_tbEUlT_E1_NS1_11comp_targetILNS1_3genE3ELNS1_11target_archE908ELNS1_3gpuE7ELNS1_3repE0EEENS1_59segmented_radix_sort_warp_sort_small_config_static_selectorELNS0_4arch9wavefront6targetE0EEEvSH_, .Lfunc_end727-_ZN7rocprim17ROCPRIM_400000_NS6detail17trampoline_kernelINS0_14default_configENS1_36segmented_radix_sort_config_selectorIllEEZNS1_25segmented_radix_sort_implIS3_Lb1EPKlPlS8_S9_N2at6native12_GLOBAL__N_18offset_tEEE10hipError_tPvRmT1_PNSt15iterator_traitsISH_E10value_typeET2_T3_PNSI_ISN_E10value_typeET4_jRbjT5_ST_jjP12ihipStream_tbEUlT_E1_NS1_11comp_targetILNS1_3genE3ELNS1_11target_archE908ELNS1_3gpuE7ELNS1_3repE0EEENS1_59segmented_radix_sort_warp_sort_small_config_static_selectorELNS0_4arch9wavefront6targetE0EEEvSH_
                                        ; -- End function
	.section	.AMDGPU.csdata,"",@progbits
; Kernel info:
; codeLenInByte = 0
; NumSgprs: 0
; NumVgprs: 0
; ScratchSize: 0
; MemoryBound: 0
; FloatMode: 240
; IeeeMode: 1
; LDSByteSize: 0 bytes/workgroup (compile time only)
; SGPRBlocks: 0
; VGPRBlocks: 0
; NumSGPRsForWavesPerEU: 1
; NumVGPRsForWavesPerEU: 1
; Occupancy: 16
; WaveLimiterHint : 0
; COMPUTE_PGM_RSRC2:SCRATCH_EN: 0
; COMPUTE_PGM_RSRC2:USER_SGPR: 15
; COMPUTE_PGM_RSRC2:TRAP_HANDLER: 0
; COMPUTE_PGM_RSRC2:TGID_X_EN: 1
; COMPUTE_PGM_RSRC2:TGID_Y_EN: 0
; COMPUTE_PGM_RSRC2:TGID_Z_EN: 0
; COMPUTE_PGM_RSRC2:TIDIG_COMP_CNT: 0
	.section	.text._ZN7rocprim17ROCPRIM_400000_NS6detail17trampoline_kernelINS0_14default_configENS1_36segmented_radix_sort_config_selectorIllEEZNS1_25segmented_radix_sort_implIS3_Lb1EPKlPlS8_S9_N2at6native12_GLOBAL__N_18offset_tEEE10hipError_tPvRmT1_PNSt15iterator_traitsISH_E10value_typeET2_T3_PNSI_ISN_E10value_typeET4_jRbjT5_ST_jjP12ihipStream_tbEUlT_E1_NS1_11comp_targetILNS1_3genE2ELNS1_11target_archE906ELNS1_3gpuE6ELNS1_3repE0EEENS1_59segmented_radix_sort_warp_sort_small_config_static_selectorELNS0_4arch9wavefront6targetE0EEEvSH_,"axG",@progbits,_ZN7rocprim17ROCPRIM_400000_NS6detail17trampoline_kernelINS0_14default_configENS1_36segmented_radix_sort_config_selectorIllEEZNS1_25segmented_radix_sort_implIS3_Lb1EPKlPlS8_S9_N2at6native12_GLOBAL__N_18offset_tEEE10hipError_tPvRmT1_PNSt15iterator_traitsISH_E10value_typeET2_T3_PNSI_ISN_E10value_typeET4_jRbjT5_ST_jjP12ihipStream_tbEUlT_E1_NS1_11comp_targetILNS1_3genE2ELNS1_11target_archE906ELNS1_3gpuE6ELNS1_3repE0EEENS1_59segmented_radix_sort_warp_sort_small_config_static_selectorELNS0_4arch9wavefront6targetE0EEEvSH_,comdat
	.globl	_ZN7rocprim17ROCPRIM_400000_NS6detail17trampoline_kernelINS0_14default_configENS1_36segmented_radix_sort_config_selectorIllEEZNS1_25segmented_radix_sort_implIS3_Lb1EPKlPlS8_S9_N2at6native12_GLOBAL__N_18offset_tEEE10hipError_tPvRmT1_PNSt15iterator_traitsISH_E10value_typeET2_T3_PNSI_ISN_E10value_typeET4_jRbjT5_ST_jjP12ihipStream_tbEUlT_E1_NS1_11comp_targetILNS1_3genE2ELNS1_11target_archE906ELNS1_3gpuE6ELNS1_3repE0EEENS1_59segmented_radix_sort_warp_sort_small_config_static_selectorELNS0_4arch9wavefront6targetE0EEEvSH_ ; -- Begin function _ZN7rocprim17ROCPRIM_400000_NS6detail17trampoline_kernelINS0_14default_configENS1_36segmented_radix_sort_config_selectorIllEEZNS1_25segmented_radix_sort_implIS3_Lb1EPKlPlS8_S9_N2at6native12_GLOBAL__N_18offset_tEEE10hipError_tPvRmT1_PNSt15iterator_traitsISH_E10value_typeET2_T3_PNSI_ISN_E10value_typeET4_jRbjT5_ST_jjP12ihipStream_tbEUlT_E1_NS1_11comp_targetILNS1_3genE2ELNS1_11target_archE906ELNS1_3gpuE6ELNS1_3repE0EEENS1_59segmented_radix_sort_warp_sort_small_config_static_selectorELNS0_4arch9wavefront6targetE0EEEvSH_
	.p2align	8
	.type	_ZN7rocprim17ROCPRIM_400000_NS6detail17trampoline_kernelINS0_14default_configENS1_36segmented_radix_sort_config_selectorIllEEZNS1_25segmented_radix_sort_implIS3_Lb1EPKlPlS8_S9_N2at6native12_GLOBAL__N_18offset_tEEE10hipError_tPvRmT1_PNSt15iterator_traitsISH_E10value_typeET2_T3_PNSI_ISN_E10value_typeET4_jRbjT5_ST_jjP12ihipStream_tbEUlT_E1_NS1_11comp_targetILNS1_3genE2ELNS1_11target_archE906ELNS1_3gpuE6ELNS1_3repE0EEENS1_59segmented_radix_sort_warp_sort_small_config_static_selectorELNS0_4arch9wavefront6targetE0EEEvSH_,@function
_ZN7rocprim17ROCPRIM_400000_NS6detail17trampoline_kernelINS0_14default_configENS1_36segmented_radix_sort_config_selectorIllEEZNS1_25segmented_radix_sort_implIS3_Lb1EPKlPlS8_S9_N2at6native12_GLOBAL__N_18offset_tEEE10hipError_tPvRmT1_PNSt15iterator_traitsISH_E10value_typeET2_T3_PNSI_ISN_E10value_typeET4_jRbjT5_ST_jjP12ihipStream_tbEUlT_E1_NS1_11comp_targetILNS1_3genE2ELNS1_11target_archE906ELNS1_3gpuE6ELNS1_3repE0EEENS1_59segmented_radix_sort_warp_sort_small_config_static_selectorELNS0_4arch9wavefront6targetE0EEEvSH_: ; @_ZN7rocprim17ROCPRIM_400000_NS6detail17trampoline_kernelINS0_14default_configENS1_36segmented_radix_sort_config_selectorIllEEZNS1_25segmented_radix_sort_implIS3_Lb1EPKlPlS8_S9_N2at6native12_GLOBAL__N_18offset_tEEE10hipError_tPvRmT1_PNSt15iterator_traitsISH_E10value_typeET2_T3_PNSI_ISN_E10value_typeET4_jRbjT5_ST_jjP12ihipStream_tbEUlT_E1_NS1_11comp_targetILNS1_3genE2ELNS1_11target_archE906ELNS1_3gpuE6ELNS1_3repE0EEENS1_59segmented_radix_sort_warp_sort_small_config_static_selectorELNS0_4arch9wavefront6targetE0EEEvSH_
; %bb.0:
	.section	.rodata,"a",@progbits
	.p2align	6, 0x0
	.amdhsa_kernel _ZN7rocprim17ROCPRIM_400000_NS6detail17trampoline_kernelINS0_14default_configENS1_36segmented_radix_sort_config_selectorIllEEZNS1_25segmented_radix_sort_implIS3_Lb1EPKlPlS8_S9_N2at6native12_GLOBAL__N_18offset_tEEE10hipError_tPvRmT1_PNSt15iterator_traitsISH_E10value_typeET2_T3_PNSI_ISN_E10value_typeET4_jRbjT5_ST_jjP12ihipStream_tbEUlT_E1_NS1_11comp_targetILNS1_3genE2ELNS1_11target_archE906ELNS1_3gpuE6ELNS1_3repE0EEENS1_59segmented_radix_sort_warp_sort_small_config_static_selectorELNS0_4arch9wavefront6targetE0EEEvSH_
		.amdhsa_group_segment_fixed_size 0
		.amdhsa_private_segment_fixed_size 0
		.amdhsa_kernarg_size 88
		.amdhsa_user_sgpr_count 15
		.amdhsa_user_sgpr_dispatch_ptr 0
		.amdhsa_user_sgpr_queue_ptr 0
		.amdhsa_user_sgpr_kernarg_segment_ptr 1
		.amdhsa_user_sgpr_dispatch_id 0
		.amdhsa_user_sgpr_private_segment_size 0
		.amdhsa_wavefront_size32 1
		.amdhsa_uses_dynamic_stack 0
		.amdhsa_enable_private_segment 0
		.amdhsa_system_sgpr_workgroup_id_x 1
		.amdhsa_system_sgpr_workgroup_id_y 0
		.amdhsa_system_sgpr_workgroup_id_z 0
		.amdhsa_system_sgpr_workgroup_info 0
		.amdhsa_system_vgpr_workitem_id 0
		.amdhsa_next_free_vgpr 1
		.amdhsa_next_free_sgpr 1
		.amdhsa_reserve_vcc 0
		.amdhsa_float_round_mode_32 0
		.amdhsa_float_round_mode_16_64 0
		.amdhsa_float_denorm_mode_32 3
		.amdhsa_float_denorm_mode_16_64 3
		.amdhsa_dx10_clamp 1
		.amdhsa_ieee_mode 1
		.amdhsa_fp16_overflow 0
		.amdhsa_workgroup_processor_mode 1
		.amdhsa_memory_ordered 1
		.amdhsa_forward_progress 0
		.amdhsa_shared_vgpr_count 0
		.amdhsa_exception_fp_ieee_invalid_op 0
		.amdhsa_exception_fp_denorm_src 0
		.amdhsa_exception_fp_ieee_div_zero 0
		.amdhsa_exception_fp_ieee_overflow 0
		.amdhsa_exception_fp_ieee_underflow 0
		.amdhsa_exception_fp_ieee_inexact 0
		.amdhsa_exception_int_div_zero 0
	.end_amdhsa_kernel
	.section	.text._ZN7rocprim17ROCPRIM_400000_NS6detail17trampoline_kernelINS0_14default_configENS1_36segmented_radix_sort_config_selectorIllEEZNS1_25segmented_radix_sort_implIS3_Lb1EPKlPlS8_S9_N2at6native12_GLOBAL__N_18offset_tEEE10hipError_tPvRmT1_PNSt15iterator_traitsISH_E10value_typeET2_T3_PNSI_ISN_E10value_typeET4_jRbjT5_ST_jjP12ihipStream_tbEUlT_E1_NS1_11comp_targetILNS1_3genE2ELNS1_11target_archE906ELNS1_3gpuE6ELNS1_3repE0EEENS1_59segmented_radix_sort_warp_sort_small_config_static_selectorELNS0_4arch9wavefront6targetE0EEEvSH_,"axG",@progbits,_ZN7rocprim17ROCPRIM_400000_NS6detail17trampoline_kernelINS0_14default_configENS1_36segmented_radix_sort_config_selectorIllEEZNS1_25segmented_radix_sort_implIS3_Lb1EPKlPlS8_S9_N2at6native12_GLOBAL__N_18offset_tEEE10hipError_tPvRmT1_PNSt15iterator_traitsISH_E10value_typeET2_T3_PNSI_ISN_E10value_typeET4_jRbjT5_ST_jjP12ihipStream_tbEUlT_E1_NS1_11comp_targetILNS1_3genE2ELNS1_11target_archE906ELNS1_3gpuE6ELNS1_3repE0EEENS1_59segmented_radix_sort_warp_sort_small_config_static_selectorELNS0_4arch9wavefront6targetE0EEEvSH_,comdat
.Lfunc_end728:
	.size	_ZN7rocprim17ROCPRIM_400000_NS6detail17trampoline_kernelINS0_14default_configENS1_36segmented_radix_sort_config_selectorIllEEZNS1_25segmented_radix_sort_implIS3_Lb1EPKlPlS8_S9_N2at6native12_GLOBAL__N_18offset_tEEE10hipError_tPvRmT1_PNSt15iterator_traitsISH_E10value_typeET2_T3_PNSI_ISN_E10value_typeET4_jRbjT5_ST_jjP12ihipStream_tbEUlT_E1_NS1_11comp_targetILNS1_3genE2ELNS1_11target_archE906ELNS1_3gpuE6ELNS1_3repE0EEENS1_59segmented_radix_sort_warp_sort_small_config_static_selectorELNS0_4arch9wavefront6targetE0EEEvSH_, .Lfunc_end728-_ZN7rocprim17ROCPRIM_400000_NS6detail17trampoline_kernelINS0_14default_configENS1_36segmented_radix_sort_config_selectorIllEEZNS1_25segmented_radix_sort_implIS3_Lb1EPKlPlS8_S9_N2at6native12_GLOBAL__N_18offset_tEEE10hipError_tPvRmT1_PNSt15iterator_traitsISH_E10value_typeET2_T3_PNSI_ISN_E10value_typeET4_jRbjT5_ST_jjP12ihipStream_tbEUlT_E1_NS1_11comp_targetILNS1_3genE2ELNS1_11target_archE906ELNS1_3gpuE6ELNS1_3repE0EEENS1_59segmented_radix_sort_warp_sort_small_config_static_selectorELNS0_4arch9wavefront6targetE0EEEvSH_
                                        ; -- End function
	.section	.AMDGPU.csdata,"",@progbits
; Kernel info:
; codeLenInByte = 0
; NumSgprs: 0
; NumVgprs: 0
; ScratchSize: 0
; MemoryBound: 0
; FloatMode: 240
; IeeeMode: 1
; LDSByteSize: 0 bytes/workgroup (compile time only)
; SGPRBlocks: 0
; VGPRBlocks: 0
; NumSGPRsForWavesPerEU: 1
; NumVGPRsForWavesPerEU: 1
; Occupancy: 16
; WaveLimiterHint : 0
; COMPUTE_PGM_RSRC2:SCRATCH_EN: 0
; COMPUTE_PGM_RSRC2:USER_SGPR: 15
; COMPUTE_PGM_RSRC2:TRAP_HANDLER: 0
; COMPUTE_PGM_RSRC2:TGID_X_EN: 1
; COMPUTE_PGM_RSRC2:TGID_Y_EN: 0
; COMPUTE_PGM_RSRC2:TGID_Z_EN: 0
; COMPUTE_PGM_RSRC2:TIDIG_COMP_CNT: 0
	.section	.text._ZN7rocprim17ROCPRIM_400000_NS6detail17trampoline_kernelINS0_14default_configENS1_36segmented_radix_sort_config_selectorIllEEZNS1_25segmented_radix_sort_implIS3_Lb1EPKlPlS8_S9_N2at6native12_GLOBAL__N_18offset_tEEE10hipError_tPvRmT1_PNSt15iterator_traitsISH_E10value_typeET2_T3_PNSI_ISN_E10value_typeET4_jRbjT5_ST_jjP12ihipStream_tbEUlT_E1_NS1_11comp_targetILNS1_3genE10ELNS1_11target_archE1201ELNS1_3gpuE5ELNS1_3repE0EEENS1_59segmented_radix_sort_warp_sort_small_config_static_selectorELNS0_4arch9wavefront6targetE0EEEvSH_,"axG",@progbits,_ZN7rocprim17ROCPRIM_400000_NS6detail17trampoline_kernelINS0_14default_configENS1_36segmented_radix_sort_config_selectorIllEEZNS1_25segmented_radix_sort_implIS3_Lb1EPKlPlS8_S9_N2at6native12_GLOBAL__N_18offset_tEEE10hipError_tPvRmT1_PNSt15iterator_traitsISH_E10value_typeET2_T3_PNSI_ISN_E10value_typeET4_jRbjT5_ST_jjP12ihipStream_tbEUlT_E1_NS1_11comp_targetILNS1_3genE10ELNS1_11target_archE1201ELNS1_3gpuE5ELNS1_3repE0EEENS1_59segmented_radix_sort_warp_sort_small_config_static_selectorELNS0_4arch9wavefront6targetE0EEEvSH_,comdat
	.globl	_ZN7rocprim17ROCPRIM_400000_NS6detail17trampoline_kernelINS0_14default_configENS1_36segmented_radix_sort_config_selectorIllEEZNS1_25segmented_radix_sort_implIS3_Lb1EPKlPlS8_S9_N2at6native12_GLOBAL__N_18offset_tEEE10hipError_tPvRmT1_PNSt15iterator_traitsISH_E10value_typeET2_T3_PNSI_ISN_E10value_typeET4_jRbjT5_ST_jjP12ihipStream_tbEUlT_E1_NS1_11comp_targetILNS1_3genE10ELNS1_11target_archE1201ELNS1_3gpuE5ELNS1_3repE0EEENS1_59segmented_radix_sort_warp_sort_small_config_static_selectorELNS0_4arch9wavefront6targetE0EEEvSH_ ; -- Begin function _ZN7rocprim17ROCPRIM_400000_NS6detail17trampoline_kernelINS0_14default_configENS1_36segmented_radix_sort_config_selectorIllEEZNS1_25segmented_radix_sort_implIS3_Lb1EPKlPlS8_S9_N2at6native12_GLOBAL__N_18offset_tEEE10hipError_tPvRmT1_PNSt15iterator_traitsISH_E10value_typeET2_T3_PNSI_ISN_E10value_typeET4_jRbjT5_ST_jjP12ihipStream_tbEUlT_E1_NS1_11comp_targetILNS1_3genE10ELNS1_11target_archE1201ELNS1_3gpuE5ELNS1_3repE0EEENS1_59segmented_radix_sort_warp_sort_small_config_static_selectorELNS0_4arch9wavefront6targetE0EEEvSH_
	.p2align	8
	.type	_ZN7rocprim17ROCPRIM_400000_NS6detail17trampoline_kernelINS0_14default_configENS1_36segmented_radix_sort_config_selectorIllEEZNS1_25segmented_radix_sort_implIS3_Lb1EPKlPlS8_S9_N2at6native12_GLOBAL__N_18offset_tEEE10hipError_tPvRmT1_PNSt15iterator_traitsISH_E10value_typeET2_T3_PNSI_ISN_E10value_typeET4_jRbjT5_ST_jjP12ihipStream_tbEUlT_E1_NS1_11comp_targetILNS1_3genE10ELNS1_11target_archE1201ELNS1_3gpuE5ELNS1_3repE0EEENS1_59segmented_radix_sort_warp_sort_small_config_static_selectorELNS0_4arch9wavefront6targetE0EEEvSH_,@function
_ZN7rocprim17ROCPRIM_400000_NS6detail17trampoline_kernelINS0_14default_configENS1_36segmented_radix_sort_config_selectorIllEEZNS1_25segmented_radix_sort_implIS3_Lb1EPKlPlS8_S9_N2at6native12_GLOBAL__N_18offset_tEEE10hipError_tPvRmT1_PNSt15iterator_traitsISH_E10value_typeET2_T3_PNSI_ISN_E10value_typeET4_jRbjT5_ST_jjP12ihipStream_tbEUlT_E1_NS1_11comp_targetILNS1_3genE10ELNS1_11target_archE1201ELNS1_3gpuE5ELNS1_3repE0EEENS1_59segmented_radix_sort_warp_sort_small_config_static_selectorELNS0_4arch9wavefront6targetE0EEEvSH_: ; @_ZN7rocprim17ROCPRIM_400000_NS6detail17trampoline_kernelINS0_14default_configENS1_36segmented_radix_sort_config_selectorIllEEZNS1_25segmented_radix_sort_implIS3_Lb1EPKlPlS8_S9_N2at6native12_GLOBAL__N_18offset_tEEE10hipError_tPvRmT1_PNSt15iterator_traitsISH_E10value_typeET2_T3_PNSI_ISN_E10value_typeET4_jRbjT5_ST_jjP12ihipStream_tbEUlT_E1_NS1_11comp_targetILNS1_3genE10ELNS1_11target_archE1201ELNS1_3gpuE5ELNS1_3repE0EEENS1_59segmented_radix_sort_warp_sort_small_config_static_selectorELNS0_4arch9wavefront6targetE0EEEvSH_
; %bb.0:
	.section	.rodata,"a",@progbits
	.p2align	6, 0x0
	.amdhsa_kernel _ZN7rocprim17ROCPRIM_400000_NS6detail17trampoline_kernelINS0_14default_configENS1_36segmented_radix_sort_config_selectorIllEEZNS1_25segmented_radix_sort_implIS3_Lb1EPKlPlS8_S9_N2at6native12_GLOBAL__N_18offset_tEEE10hipError_tPvRmT1_PNSt15iterator_traitsISH_E10value_typeET2_T3_PNSI_ISN_E10value_typeET4_jRbjT5_ST_jjP12ihipStream_tbEUlT_E1_NS1_11comp_targetILNS1_3genE10ELNS1_11target_archE1201ELNS1_3gpuE5ELNS1_3repE0EEENS1_59segmented_radix_sort_warp_sort_small_config_static_selectorELNS0_4arch9wavefront6targetE0EEEvSH_
		.amdhsa_group_segment_fixed_size 0
		.amdhsa_private_segment_fixed_size 0
		.amdhsa_kernarg_size 88
		.amdhsa_user_sgpr_count 15
		.amdhsa_user_sgpr_dispatch_ptr 0
		.amdhsa_user_sgpr_queue_ptr 0
		.amdhsa_user_sgpr_kernarg_segment_ptr 1
		.amdhsa_user_sgpr_dispatch_id 0
		.amdhsa_user_sgpr_private_segment_size 0
		.amdhsa_wavefront_size32 1
		.amdhsa_uses_dynamic_stack 0
		.amdhsa_enable_private_segment 0
		.amdhsa_system_sgpr_workgroup_id_x 1
		.amdhsa_system_sgpr_workgroup_id_y 0
		.amdhsa_system_sgpr_workgroup_id_z 0
		.amdhsa_system_sgpr_workgroup_info 0
		.amdhsa_system_vgpr_workitem_id 0
		.amdhsa_next_free_vgpr 1
		.amdhsa_next_free_sgpr 1
		.amdhsa_reserve_vcc 0
		.amdhsa_float_round_mode_32 0
		.amdhsa_float_round_mode_16_64 0
		.amdhsa_float_denorm_mode_32 3
		.amdhsa_float_denorm_mode_16_64 3
		.amdhsa_dx10_clamp 1
		.amdhsa_ieee_mode 1
		.amdhsa_fp16_overflow 0
		.amdhsa_workgroup_processor_mode 1
		.amdhsa_memory_ordered 1
		.amdhsa_forward_progress 0
		.amdhsa_shared_vgpr_count 0
		.amdhsa_exception_fp_ieee_invalid_op 0
		.amdhsa_exception_fp_denorm_src 0
		.amdhsa_exception_fp_ieee_div_zero 0
		.amdhsa_exception_fp_ieee_overflow 0
		.amdhsa_exception_fp_ieee_underflow 0
		.amdhsa_exception_fp_ieee_inexact 0
		.amdhsa_exception_int_div_zero 0
	.end_amdhsa_kernel
	.section	.text._ZN7rocprim17ROCPRIM_400000_NS6detail17trampoline_kernelINS0_14default_configENS1_36segmented_radix_sort_config_selectorIllEEZNS1_25segmented_radix_sort_implIS3_Lb1EPKlPlS8_S9_N2at6native12_GLOBAL__N_18offset_tEEE10hipError_tPvRmT1_PNSt15iterator_traitsISH_E10value_typeET2_T3_PNSI_ISN_E10value_typeET4_jRbjT5_ST_jjP12ihipStream_tbEUlT_E1_NS1_11comp_targetILNS1_3genE10ELNS1_11target_archE1201ELNS1_3gpuE5ELNS1_3repE0EEENS1_59segmented_radix_sort_warp_sort_small_config_static_selectorELNS0_4arch9wavefront6targetE0EEEvSH_,"axG",@progbits,_ZN7rocprim17ROCPRIM_400000_NS6detail17trampoline_kernelINS0_14default_configENS1_36segmented_radix_sort_config_selectorIllEEZNS1_25segmented_radix_sort_implIS3_Lb1EPKlPlS8_S9_N2at6native12_GLOBAL__N_18offset_tEEE10hipError_tPvRmT1_PNSt15iterator_traitsISH_E10value_typeET2_T3_PNSI_ISN_E10value_typeET4_jRbjT5_ST_jjP12ihipStream_tbEUlT_E1_NS1_11comp_targetILNS1_3genE10ELNS1_11target_archE1201ELNS1_3gpuE5ELNS1_3repE0EEENS1_59segmented_radix_sort_warp_sort_small_config_static_selectorELNS0_4arch9wavefront6targetE0EEEvSH_,comdat
.Lfunc_end729:
	.size	_ZN7rocprim17ROCPRIM_400000_NS6detail17trampoline_kernelINS0_14default_configENS1_36segmented_radix_sort_config_selectorIllEEZNS1_25segmented_radix_sort_implIS3_Lb1EPKlPlS8_S9_N2at6native12_GLOBAL__N_18offset_tEEE10hipError_tPvRmT1_PNSt15iterator_traitsISH_E10value_typeET2_T3_PNSI_ISN_E10value_typeET4_jRbjT5_ST_jjP12ihipStream_tbEUlT_E1_NS1_11comp_targetILNS1_3genE10ELNS1_11target_archE1201ELNS1_3gpuE5ELNS1_3repE0EEENS1_59segmented_radix_sort_warp_sort_small_config_static_selectorELNS0_4arch9wavefront6targetE0EEEvSH_, .Lfunc_end729-_ZN7rocprim17ROCPRIM_400000_NS6detail17trampoline_kernelINS0_14default_configENS1_36segmented_radix_sort_config_selectorIllEEZNS1_25segmented_radix_sort_implIS3_Lb1EPKlPlS8_S9_N2at6native12_GLOBAL__N_18offset_tEEE10hipError_tPvRmT1_PNSt15iterator_traitsISH_E10value_typeET2_T3_PNSI_ISN_E10value_typeET4_jRbjT5_ST_jjP12ihipStream_tbEUlT_E1_NS1_11comp_targetILNS1_3genE10ELNS1_11target_archE1201ELNS1_3gpuE5ELNS1_3repE0EEENS1_59segmented_radix_sort_warp_sort_small_config_static_selectorELNS0_4arch9wavefront6targetE0EEEvSH_
                                        ; -- End function
	.section	.AMDGPU.csdata,"",@progbits
; Kernel info:
; codeLenInByte = 0
; NumSgprs: 0
; NumVgprs: 0
; ScratchSize: 0
; MemoryBound: 0
; FloatMode: 240
; IeeeMode: 1
; LDSByteSize: 0 bytes/workgroup (compile time only)
; SGPRBlocks: 0
; VGPRBlocks: 0
; NumSGPRsForWavesPerEU: 1
; NumVGPRsForWavesPerEU: 1
; Occupancy: 16
; WaveLimiterHint : 0
; COMPUTE_PGM_RSRC2:SCRATCH_EN: 0
; COMPUTE_PGM_RSRC2:USER_SGPR: 15
; COMPUTE_PGM_RSRC2:TRAP_HANDLER: 0
; COMPUTE_PGM_RSRC2:TGID_X_EN: 1
; COMPUTE_PGM_RSRC2:TGID_Y_EN: 0
; COMPUTE_PGM_RSRC2:TGID_Z_EN: 0
; COMPUTE_PGM_RSRC2:TIDIG_COMP_CNT: 0
	.section	.text._ZN7rocprim17ROCPRIM_400000_NS6detail17trampoline_kernelINS0_14default_configENS1_36segmented_radix_sort_config_selectorIllEEZNS1_25segmented_radix_sort_implIS3_Lb1EPKlPlS8_S9_N2at6native12_GLOBAL__N_18offset_tEEE10hipError_tPvRmT1_PNSt15iterator_traitsISH_E10value_typeET2_T3_PNSI_ISN_E10value_typeET4_jRbjT5_ST_jjP12ihipStream_tbEUlT_E1_NS1_11comp_targetILNS1_3genE10ELNS1_11target_archE1200ELNS1_3gpuE4ELNS1_3repE0EEENS1_59segmented_radix_sort_warp_sort_small_config_static_selectorELNS0_4arch9wavefront6targetE0EEEvSH_,"axG",@progbits,_ZN7rocprim17ROCPRIM_400000_NS6detail17trampoline_kernelINS0_14default_configENS1_36segmented_radix_sort_config_selectorIllEEZNS1_25segmented_radix_sort_implIS3_Lb1EPKlPlS8_S9_N2at6native12_GLOBAL__N_18offset_tEEE10hipError_tPvRmT1_PNSt15iterator_traitsISH_E10value_typeET2_T3_PNSI_ISN_E10value_typeET4_jRbjT5_ST_jjP12ihipStream_tbEUlT_E1_NS1_11comp_targetILNS1_3genE10ELNS1_11target_archE1200ELNS1_3gpuE4ELNS1_3repE0EEENS1_59segmented_radix_sort_warp_sort_small_config_static_selectorELNS0_4arch9wavefront6targetE0EEEvSH_,comdat
	.globl	_ZN7rocprim17ROCPRIM_400000_NS6detail17trampoline_kernelINS0_14default_configENS1_36segmented_radix_sort_config_selectorIllEEZNS1_25segmented_radix_sort_implIS3_Lb1EPKlPlS8_S9_N2at6native12_GLOBAL__N_18offset_tEEE10hipError_tPvRmT1_PNSt15iterator_traitsISH_E10value_typeET2_T3_PNSI_ISN_E10value_typeET4_jRbjT5_ST_jjP12ihipStream_tbEUlT_E1_NS1_11comp_targetILNS1_3genE10ELNS1_11target_archE1200ELNS1_3gpuE4ELNS1_3repE0EEENS1_59segmented_radix_sort_warp_sort_small_config_static_selectorELNS0_4arch9wavefront6targetE0EEEvSH_ ; -- Begin function _ZN7rocprim17ROCPRIM_400000_NS6detail17trampoline_kernelINS0_14default_configENS1_36segmented_radix_sort_config_selectorIllEEZNS1_25segmented_radix_sort_implIS3_Lb1EPKlPlS8_S9_N2at6native12_GLOBAL__N_18offset_tEEE10hipError_tPvRmT1_PNSt15iterator_traitsISH_E10value_typeET2_T3_PNSI_ISN_E10value_typeET4_jRbjT5_ST_jjP12ihipStream_tbEUlT_E1_NS1_11comp_targetILNS1_3genE10ELNS1_11target_archE1200ELNS1_3gpuE4ELNS1_3repE0EEENS1_59segmented_radix_sort_warp_sort_small_config_static_selectorELNS0_4arch9wavefront6targetE0EEEvSH_
	.p2align	8
	.type	_ZN7rocprim17ROCPRIM_400000_NS6detail17trampoline_kernelINS0_14default_configENS1_36segmented_radix_sort_config_selectorIllEEZNS1_25segmented_radix_sort_implIS3_Lb1EPKlPlS8_S9_N2at6native12_GLOBAL__N_18offset_tEEE10hipError_tPvRmT1_PNSt15iterator_traitsISH_E10value_typeET2_T3_PNSI_ISN_E10value_typeET4_jRbjT5_ST_jjP12ihipStream_tbEUlT_E1_NS1_11comp_targetILNS1_3genE10ELNS1_11target_archE1200ELNS1_3gpuE4ELNS1_3repE0EEENS1_59segmented_radix_sort_warp_sort_small_config_static_selectorELNS0_4arch9wavefront6targetE0EEEvSH_,@function
_ZN7rocprim17ROCPRIM_400000_NS6detail17trampoline_kernelINS0_14default_configENS1_36segmented_radix_sort_config_selectorIllEEZNS1_25segmented_radix_sort_implIS3_Lb1EPKlPlS8_S9_N2at6native12_GLOBAL__N_18offset_tEEE10hipError_tPvRmT1_PNSt15iterator_traitsISH_E10value_typeET2_T3_PNSI_ISN_E10value_typeET4_jRbjT5_ST_jjP12ihipStream_tbEUlT_E1_NS1_11comp_targetILNS1_3genE10ELNS1_11target_archE1200ELNS1_3gpuE4ELNS1_3repE0EEENS1_59segmented_radix_sort_warp_sort_small_config_static_selectorELNS0_4arch9wavefront6targetE0EEEvSH_: ; @_ZN7rocprim17ROCPRIM_400000_NS6detail17trampoline_kernelINS0_14default_configENS1_36segmented_radix_sort_config_selectorIllEEZNS1_25segmented_radix_sort_implIS3_Lb1EPKlPlS8_S9_N2at6native12_GLOBAL__N_18offset_tEEE10hipError_tPvRmT1_PNSt15iterator_traitsISH_E10value_typeET2_T3_PNSI_ISN_E10value_typeET4_jRbjT5_ST_jjP12ihipStream_tbEUlT_E1_NS1_11comp_targetILNS1_3genE10ELNS1_11target_archE1200ELNS1_3gpuE4ELNS1_3repE0EEENS1_59segmented_radix_sort_warp_sort_small_config_static_selectorELNS0_4arch9wavefront6targetE0EEEvSH_
; %bb.0:
	.section	.rodata,"a",@progbits
	.p2align	6, 0x0
	.amdhsa_kernel _ZN7rocprim17ROCPRIM_400000_NS6detail17trampoline_kernelINS0_14default_configENS1_36segmented_radix_sort_config_selectorIllEEZNS1_25segmented_radix_sort_implIS3_Lb1EPKlPlS8_S9_N2at6native12_GLOBAL__N_18offset_tEEE10hipError_tPvRmT1_PNSt15iterator_traitsISH_E10value_typeET2_T3_PNSI_ISN_E10value_typeET4_jRbjT5_ST_jjP12ihipStream_tbEUlT_E1_NS1_11comp_targetILNS1_3genE10ELNS1_11target_archE1200ELNS1_3gpuE4ELNS1_3repE0EEENS1_59segmented_radix_sort_warp_sort_small_config_static_selectorELNS0_4arch9wavefront6targetE0EEEvSH_
		.amdhsa_group_segment_fixed_size 0
		.amdhsa_private_segment_fixed_size 0
		.amdhsa_kernarg_size 88
		.amdhsa_user_sgpr_count 15
		.amdhsa_user_sgpr_dispatch_ptr 0
		.amdhsa_user_sgpr_queue_ptr 0
		.amdhsa_user_sgpr_kernarg_segment_ptr 1
		.amdhsa_user_sgpr_dispatch_id 0
		.amdhsa_user_sgpr_private_segment_size 0
		.amdhsa_wavefront_size32 1
		.amdhsa_uses_dynamic_stack 0
		.amdhsa_enable_private_segment 0
		.amdhsa_system_sgpr_workgroup_id_x 1
		.amdhsa_system_sgpr_workgroup_id_y 0
		.amdhsa_system_sgpr_workgroup_id_z 0
		.amdhsa_system_sgpr_workgroup_info 0
		.amdhsa_system_vgpr_workitem_id 0
		.amdhsa_next_free_vgpr 1
		.amdhsa_next_free_sgpr 1
		.amdhsa_reserve_vcc 0
		.amdhsa_float_round_mode_32 0
		.amdhsa_float_round_mode_16_64 0
		.amdhsa_float_denorm_mode_32 3
		.amdhsa_float_denorm_mode_16_64 3
		.amdhsa_dx10_clamp 1
		.amdhsa_ieee_mode 1
		.amdhsa_fp16_overflow 0
		.amdhsa_workgroup_processor_mode 1
		.amdhsa_memory_ordered 1
		.amdhsa_forward_progress 0
		.amdhsa_shared_vgpr_count 0
		.amdhsa_exception_fp_ieee_invalid_op 0
		.amdhsa_exception_fp_denorm_src 0
		.amdhsa_exception_fp_ieee_div_zero 0
		.amdhsa_exception_fp_ieee_overflow 0
		.amdhsa_exception_fp_ieee_underflow 0
		.amdhsa_exception_fp_ieee_inexact 0
		.amdhsa_exception_int_div_zero 0
	.end_amdhsa_kernel
	.section	.text._ZN7rocprim17ROCPRIM_400000_NS6detail17trampoline_kernelINS0_14default_configENS1_36segmented_radix_sort_config_selectorIllEEZNS1_25segmented_radix_sort_implIS3_Lb1EPKlPlS8_S9_N2at6native12_GLOBAL__N_18offset_tEEE10hipError_tPvRmT1_PNSt15iterator_traitsISH_E10value_typeET2_T3_PNSI_ISN_E10value_typeET4_jRbjT5_ST_jjP12ihipStream_tbEUlT_E1_NS1_11comp_targetILNS1_3genE10ELNS1_11target_archE1200ELNS1_3gpuE4ELNS1_3repE0EEENS1_59segmented_radix_sort_warp_sort_small_config_static_selectorELNS0_4arch9wavefront6targetE0EEEvSH_,"axG",@progbits,_ZN7rocprim17ROCPRIM_400000_NS6detail17trampoline_kernelINS0_14default_configENS1_36segmented_radix_sort_config_selectorIllEEZNS1_25segmented_radix_sort_implIS3_Lb1EPKlPlS8_S9_N2at6native12_GLOBAL__N_18offset_tEEE10hipError_tPvRmT1_PNSt15iterator_traitsISH_E10value_typeET2_T3_PNSI_ISN_E10value_typeET4_jRbjT5_ST_jjP12ihipStream_tbEUlT_E1_NS1_11comp_targetILNS1_3genE10ELNS1_11target_archE1200ELNS1_3gpuE4ELNS1_3repE0EEENS1_59segmented_radix_sort_warp_sort_small_config_static_selectorELNS0_4arch9wavefront6targetE0EEEvSH_,comdat
.Lfunc_end730:
	.size	_ZN7rocprim17ROCPRIM_400000_NS6detail17trampoline_kernelINS0_14default_configENS1_36segmented_radix_sort_config_selectorIllEEZNS1_25segmented_radix_sort_implIS3_Lb1EPKlPlS8_S9_N2at6native12_GLOBAL__N_18offset_tEEE10hipError_tPvRmT1_PNSt15iterator_traitsISH_E10value_typeET2_T3_PNSI_ISN_E10value_typeET4_jRbjT5_ST_jjP12ihipStream_tbEUlT_E1_NS1_11comp_targetILNS1_3genE10ELNS1_11target_archE1200ELNS1_3gpuE4ELNS1_3repE0EEENS1_59segmented_radix_sort_warp_sort_small_config_static_selectorELNS0_4arch9wavefront6targetE0EEEvSH_, .Lfunc_end730-_ZN7rocprim17ROCPRIM_400000_NS6detail17trampoline_kernelINS0_14default_configENS1_36segmented_radix_sort_config_selectorIllEEZNS1_25segmented_radix_sort_implIS3_Lb1EPKlPlS8_S9_N2at6native12_GLOBAL__N_18offset_tEEE10hipError_tPvRmT1_PNSt15iterator_traitsISH_E10value_typeET2_T3_PNSI_ISN_E10value_typeET4_jRbjT5_ST_jjP12ihipStream_tbEUlT_E1_NS1_11comp_targetILNS1_3genE10ELNS1_11target_archE1200ELNS1_3gpuE4ELNS1_3repE0EEENS1_59segmented_radix_sort_warp_sort_small_config_static_selectorELNS0_4arch9wavefront6targetE0EEEvSH_
                                        ; -- End function
	.section	.AMDGPU.csdata,"",@progbits
; Kernel info:
; codeLenInByte = 0
; NumSgprs: 0
; NumVgprs: 0
; ScratchSize: 0
; MemoryBound: 0
; FloatMode: 240
; IeeeMode: 1
; LDSByteSize: 0 bytes/workgroup (compile time only)
; SGPRBlocks: 0
; VGPRBlocks: 0
; NumSGPRsForWavesPerEU: 1
; NumVGPRsForWavesPerEU: 1
; Occupancy: 16
; WaveLimiterHint : 0
; COMPUTE_PGM_RSRC2:SCRATCH_EN: 0
; COMPUTE_PGM_RSRC2:USER_SGPR: 15
; COMPUTE_PGM_RSRC2:TRAP_HANDLER: 0
; COMPUTE_PGM_RSRC2:TGID_X_EN: 1
; COMPUTE_PGM_RSRC2:TGID_Y_EN: 0
; COMPUTE_PGM_RSRC2:TGID_Z_EN: 0
; COMPUTE_PGM_RSRC2:TIDIG_COMP_CNT: 0
	.text
	.p2align	2                               ; -- Begin function _ZN7rocprim17ROCPRIM_400000_NS6detail26segmented_warp_sort_helperINS1_20WarpSortHelperConfigILj8ELj4ELj256EEEllLi256ELb1EvE4sortIPKlPlS8_S9_EEvT_T0_T1_T2_jjjjRNS5_12storage_typeE
	.type	_ZN7rocprim17ROCPRIM_400000_NS6detail26segmented_warp_sort_helperINS1_20WarpSortHelperConfigILj8ELj4ELj256EEEllLi256ELb1EvE4sortIPKlPlS8_S9_EEvT_T0_T1_T2_jjjjRNS5_12storage_typeE,@function
_ZN7rocprim17ROCPRIM_400000_NS6detail26segmented_warp_sort_helperINS1_20WarpSortHelperConfigILj8ELj4ELj256EEEllLi256ELb1EvE4sortIPKlPlS8_S9_EEvT_T0_T1_T2_jjjjRNS5_12storage_typeE: ; @_ZN7rocprim17ROCPRIM_400000_NS6detail26segmented_warp_sort_helperINS1_20WarpSortHelperConfigILj8ELj4ELj256EEEllLi256ELb1EvE4sortIPKlPlS8_S9_EEvT_T0_T1_T2_jjjjRNS5_12storage_typeE
; %bb.0:
	s_waitcnt vmcnt(0) expcnt(0) lgkmcnt(0)
	v_mov_b32_e32 v14, v9
	v_mbcnt_lo_u32_b32 v9, -1, 0
	s_mov_b32 s2, 0
	s_brev_b32 s3, 1
	s_delay_alu instid0(VALU_DEP_1) | instskip(SKIP_2) | instid1(VALU_DEP_3)
	v_lshlrev_b32_e32 v87, 2, v9
	v_mov_b32_e32 v9, 0
	v_sub_nc_u32_e32 v18, v14, v8
	v_and_b32_e32 v96, 28, v87
	s_delay_alu instid0(VALU_DEP_3) | instskip(SKIP_1) | instid1(VALU_DEP_3)
	v_lshlrev_b64 v[84:85], 3, v[8:9]
	v_dual_mov_b32 v9, s3 :: v_dual_mov_b32 v8, s2
	v_lshlrev_b32_e32 v86, 3, v96
	s_delay_alu instid0(VALU_DEP_3) | instskip(NEXT) | instid1(VALU_DEP_4)
	v_add_co_u32 v0, vcc_lo, v0, v84
	v_add_co_ci_u32_e32 v1, vcc_lo, v1, v85, vcc_lo
	s_delay_alu instid0(VALU_DEP_2) | instskip(NEXT) | instid1(VALU_DEP_2)
	v_add_co_u32 v16, vcc_lo, v0, v86
	v_add_co_ci_u32_e32 v17, vcc_lo, 0, v1, vcc_lo
	v_cmp_lt_u32_e32 vcc_lo, v96, v18
	s_and_saveexec_b32 s0, vcc_lo
	s_cbranch_execz .LBB731_2
; %bb.1:
	flat_load_b64 v[8:9], v[16:17]
.LBB731_2:
	s_or_b32 exec_lo, exec_lo, s0
	v_or_b32_e32 v0, 1, v96
	v_dual_mov_b32 v50, s2 :: v_dual_mov_b32 v51, s3
	v_dual_mov_b32 v26, s2 :: v_dual_mov_b32 v27, s3
	v_dual_mov_b32 v34, s2 :: v_dual_mov_b32 v35, s3
	s_delay_alu instid0(VALU_DEP_4) | instskip(SKIP_1) | instid1(VALU_DEP_2)
	v_cmp_lt_u32_e64 s0, v0, v18
	v_dual_mov_b32 v0, s2 :: v_dual_mov_b32 v1, s3
	s_and_saveexec_b32 s1, s0
	s_cbranch_execz .LBB731_4
; %bb.3:
	flat_load_b64 v[50:51], v[16:17] offset:8
	s_mov_b32 s2, 0
	s_brev_b32 s3, 1
	s_delay_alu instid0(SALU_CYCLE_1)
	v_dual_mov_b32 v26, s2 :: v_dual_mov_b32 v27, s3
	v_dual_mov_b32 v34, s2 :: v_dual_mov_b32 v35, s3
	s_waitcnt vmcnt(0) lgkmcnt(0)
	v_dual_mov_b32 v0, v50 :: v_dual_mov_b32 v1, v51
.LBB731_4:
	s_or_b32 exec_lo, exec_lo, s1
	v_or_b32_e32 v14, 2, v96
	s_mov_b32 s4, 0
	s_brev_b32 s5, 1
	s_delay_alu instid0(VALU_DEP_1) | instskip(SKIP_1) | instid1(VALU_DEP_2)
	v_cmp_lt_u32_e64 s1, v14, v18
	v_dual_mov_b32 v15, s5 :: v_dual_mov_b32 v14, s4
	s_and_saveexec_b32 s2, s1
	s_cbranch_execz .LBB731_6
; %bb.5:
	flat_load_b64 v[26:27], v[16:17] offset:16
	v_dual_mov_b32 v34, s4 :: v_dual_mov_b32 v35, s5
	s_waitcnt vmcnt(0) lgkmcnt(0)
	v_dual_mov_b32 v14, v26 :: v_dual_mov_b32 v15, v27
.LBB731_6:
	s_or_b32 exec_lo, exec_lo, s2
	v_or_b32_e32 v19, 3, v96
	v_dual_mov_b32 v21, s5 :: v_dual_mov_b32 v20, s4
	s_delay_alu instid0(VALU_DEP_2) | instskip(NEXT) | instid1(VALU_DEP_1)
	v_cmp_lt_u32_e64 s2, v19, v18
	s_and_saveexec_b32 s3, s2
	s_cbranch_execz .LBB731_8
; %bb.7:
	flat_load_b64 v[34:35], v[16:17] offset:24
	s_waitcnt vmcnt(0) lgkmcnt(0)
	v_dual_mov_b32 v20, v34 :: v_dual_mov_b32 v21, v35
.LBB731_8:
	s_or_b32 exec_lo, exec_lo, s3
	v_add_co_u32 v4, s3, v4, v84
	s_delay_alu instid0(VALU_DEP_1) | instskip(NEXT) | instid1(VALU_DEP_2)
	v_add_co_ci_u32_e64 v5, s3, v5, v85, s3
	v_add_co_u32 v4, s3, v4, v86
	s_delay_alu instid0(VALU_DEP_1)
	v_add_co_ci_u32_e64 v5, s3, 0, v5, s3
	; wave barrier
                                        ; implicit-def: $vgpr36_vgpr37
	s_and_saveexec_b32 s3, vcc_lo
	s_cbranch_execnz .LBB731_107
; %bb.9:
	s_or_b32 exec_lo, exec_lo, s3
	s_and_saveexec_b32 s3, s0
	s_cbranch_execnz .LBB731_108
.LBB731_10:
	s_or_b32 exec_lo, exec_lo, s3
                                        ; implicit-def: $vgpr80_vgpr81
	s_and_saveexec_b32 s3, s1
	s_cbranch_execnz .LBB731_109
.LBB731_11:
	s_or_b32 exec_lo, exec_lo, s3
	s_and_saveexec_b32 s3, s2
	s_cbranch_execz .LBB731_13
.LBB731_12:
	flat_load_b64 v[82:83], v[4:5] offset:24
.LBB731_13:
	s_or_b32 exec_lo, exec_lo, s3
	v_cmp_ne_u32_e64 s3, 0, v10
	v_cmp_ne_u32_e64 s4, 64, v11
	v_bfe_u32 v5, v31, 10, 10
	v_bfe_u32 v16, v31, 20, 10
	v_and_b32_e32 v4, 0x3ff, v31
	s_delay_alu instid0(VALU_DEP_4) | instskip(NEXT) | instid1(SALU_CYCLE_1)
	s_or_b32 s3, s3, s4
	; wave barrier
	s_and_saveexec_b32 s4, s3
	s_delay_alu instid0(SALU_CYCLE_1)
	s_xor_b32 s11, exec_lo, s4
	s_cbranch_execz .LBB731_55
; %bb.14:
	s_load_b64 s[4:5], s[8:9], 0x0
	v_mov_b32_e32 v17, 0
	s_waitcnt lgkmcnt(0)
	s_cmp_lt_u32 s13, s5
	s_cselect_b32 s3, 14, 20
	s_delay_alu instid0(SALU_CYCLE_1)
	s_add_u32 s6, s8, s3
	s_addc_u32 s7, s9, 0
	s_cmp_lt_u32 s12, s4
	global_load_u16 v18, v17, s[6:7]
	s_cselect_b32 s3, 12, 18
	s_mov_b32 s6, exec_lo
	s_add_u32 s4, s8, s3
	s_addc_u32 s5, s9, 0
	global_load_u16 v17, v17, s[4:5]
	s_waitcnt vmcnt(1)
	v_mad_u32_u24 v5, v16, v18, v5
	s_waitcnt vmcnt(0)
	s_delay_alu instid0(VALU_DEP_1) | instskip(SKIP_2) | instid1(VALU_DEP_1)
	v_mul_lo_u32 v5, v5, v17
	v_lshlrev_b64 v[16:17], v11, -1
	v_lshlrev_b64 v[10:11], v10, -1
	v_xor_b32_e32 v29, v17, v11
	s_delay_alu instid0(VALU_DEP_4) | instskip(NEXT) | instid1(VALU_DEP_3)
	v_add_lshl_u32 v30, v5, v4, 2
	v_xor_b32_e32 v28, v16, v10
	s_delay_alu instid0(VALU_DEP_2)
	v_cmpx_gt_u32_e32 0x400, v30
	s_cbranch_execz .LBB731_24
; %bb.15:
	v_and_b32_e32 v1, v1, v29
	s_delay_alu instid0(VALU_DEP_3)
	v_dual_mov_b32 v71, v35 :: v_dual_and_b32 v0, v0, v28
	v_and_b32_e32 v5, v9, v29
	v_and_b32_e32 v4, v8, v28
	v_dual_mov_b32 v69, v27 :: v_dual_and_b32 v10, v26, v28
	v_mov_b32_e32 v70, v34
	v_mov_b32_e32 v68, v26
	s_delay_alu instid0(VALU_DEP_4)
	v_cmp_gt_u64_e64 s3, v[0:1], v[4:5]
	v_dual_mov_b32 v4, v80 :: v_dual_and_b32 v1, v35, v29
	v_and_b32_e32 v0, v34, v28
	v_and_b32_e32 v11, v27, v29
	v_mov_b32_e32 v5, v81
	v_cndmask_b32_e64 v67, v51, v9, s3
	v_cndmask_b32_e64 v66, v50, v8, s3
	;; [unrolled: 1-line block ×4, first 2 shown]
	s_mov_b32 s5, exec_lo
	v_cmpx_gt_u64_e64 v[0:1], v[10:11]
; %bb.16:
	v_dual_mov_b32 v8, v26 :: v_dual_mov_b32 v9, v27
	v_dual_mov_b32 v4, v82 :: v_dual_mov_b32 v5, v83
	v_dual_mov_b32 v83, v81 :: v_dual_mov_b32 v82, v80
	v_dual_mov_b32 v11, v1 :: v_dual_mov_b32 v10, v0
	v_dual_mov_b32 v26, v70 :: v_dual_mov_b32 v27, v71
	v_dual_mov_b32 v69, v35 :: v_dual_mov_b32 v68, v34
	v_dual_mov_b32 v71, v9 :: v_dual_mov_b32 v70, v8
; %bb.17:
	s_or_b32 exec_lo, exec_lo, s5
	v_dual_mov_b32 v14, v64 :: v_dual_and_b32 v1, v67, v29
	v_dual_mov_b32 v15, v65 :: v_dual_and_b32 v0, v66, v28
	v_cndmask_b32_e64 v9, v39, v37, s3
	v_cndmask_b32_e64 v8, v38, v36, s3
	v_dual_mov_b32 v16, v66 :: v_dual_mov_b32 v17, v67
	s_delay_alu instid0(VALU_DEP_4) | instskip(SKIP_3) | instid1(VALU_DEP_4)
	v_cmp_gt_i64_e64 s4, v[10:11], v[0:1]
	v_dual_mov_b32 v18, v68 :: v_dual_mov_b32 v19, v69
	v_dual_mov_b32 v20, v70 :: v_dual_mov_b32 v21, v71
	;; [unrolled: 1-line block ×3, first 2 shown]
	s_and_saveexec_b32 s5, s4
	s_delay_alu instid0(SALU_CYCLE_1)
	s_xor_b32 s4, exec_lo, s5
; %bb.18:
	v_dual_mov_b32 v14, v64 :: v_dual_and_b32 v1, v27, v29
	v_dual_mov_b32 v16, v66 :: v_dual_mov_b32 v17, v67
	v_dual_mov_b32 v18, v68 :: v_dual_mov_b32 v19, v69
	;; [unrolled: 1-line block ×3, first 2 shown]
	v_dual_mov_b32 v15, v65 :: v_dual_and_b32 v0, v26, v28
	v_dual_mov_b32 v16, v26 :: v_dual_mov_b32 v17, v27
	v_dual_mov_b32 v18, v66 :: v_dual_mov_b32 v19, v67
	;; [unrolled: 1-line block ×6, first 2 shown]
; %bb.19:
	s_or_b32 exec_lo, exec_lo, s4
	v_and_b32_e32 v9, v65, v29
	v_and_b32_e32 v8, v64, v28
	;; [unrolled: 1-line block ×6, first 2 shown]
	v_cmp_gt_i64_e64 s4, v[0:1], v[8:9]
	s_mov_b32 s7, exec_lo
	s_delay_alu instid0(VALU_DEP_1)
	v_cndmask_b32_e64 v1, v17, v15, s4
	v_cndmask_b32_e64 v0, v16, v14, s4
	;; [unrolled: 1-line block ×4, first 2 shown]
	v_dual_mov_b32 v17, v5 :: v_dual_mov_b32 v14, v18
	v_dual_mov_b32 v15, v19 :: v_dual_mov_b32 v16, v4
	v_cmpx_gt_u64_e64 v[24:25], v[22:23]
; %bb.20:
	v_dual_mov_b32 v27, v19 :: v_dual_mov_b32 v26, v18
	v_dual_mov_b32 v16, v82 :: v_dual_mov_b32 v17, v83
	;; [unrolled: 1-line block ×7, first 2 shown]
; %bb.21:
	s_or_b32 exec_lo, exec_lo, s7
	v_cndmask_b32_e64 v24, v37, v39, s3
	v_cndmask_b32_e64 v25, v36, v38, s3
	v_dual_mov_b32 v81, v17 :: v_dual_and_b32 v4, v0, v28
	v_dual_mov_b32 v80, v16 :: v_dual_and_b32 v5, v1, v29
	s_delay_alu instid0(VALU_DEP_4) | instskip(NEXT) | instid1(VALU_DEP_4)
	v_cndmask_b32_e64 v37, v24, v11, s4
	v_cndmask_b32_e64 v36, v25, v10, s4
	;; [unrolled: 1-line block ×4, first 2 shown]
	s_mov_b32 s4, exec_lo
	v_cmpx_gt_i64_e64 v[22:23], v[4:5]
; %bb.22:
	v_dual_mov_b32 v15, v1 :: v_dual_mov_b32 v14, v0
	v_dual_mov_b32 v0, v18 :: v_dual_mov_b32 v1, v19
	v_dual_mov_b32 v81, v39 :: v_dual_mov_b32 v80, v38
	v_dual_mov_b32 v39, v17 :: v_dual_mov_b32 v38, v16
; %bb.23:
	s_or_b32 exec_lo, exec_lo, s4
.LBB731_24:
	s_delay_alu instid0(SALU_CYCLE_1) | instskip(SKIP_3) | instid1(VALU_DEP_3)
	s_or_b32 exec_lo, exec_lo, s6
	v_dual_mov_b32 v18, 0 :: v_dual_and_b32 v17, 0xffffff80, v30
	v_or_b32_e32 v4, 4, v87
	v_dual_mov_b32 v10, v0 :: v_dual_and_b32 v19, 4, v87
	v_sub_nc_u32_e64 v25, 0x400, v17 clamp
	v_and_b32_e32 v30, 0x78, v87
	v_dual_mov_b32 v11, v1 :: v_dual_lshlrev_b32 v34, 3, v87
	v_mov_b32_e32 v16, v20
	s_delay_alu instid0(VALU_DEP_4)
	v_min_u32_e32 v26, v25, v4
	v_lshlrev_b64 v[4:5], 3, v[17:18]
	v_mov_b32_e32 v17, v21
	v_min_u32_e32 v31, v25, v19
	s_mov_b32 s4, exec_lo
	v_add_nc_u32_e32 v19, 4, v26
	s_delay_alu instid0(VALU_DEP_4) | instskip(NEXT) | instid1(VALU_DEP_1)
	v_add_co_u32 v23, s3, v12, v4
	v_add_co_ci_u32_e64 v24, s3, v13, v5, s3
	s_delay_alu instid0(VALU_DEP_3) | instskip(NEXT) | instid1(VALU_DEP_3)
	v_min_u32_e32 v27, v25, v19
	v_add_co_u32 v19, s3, 0x2000, v23
	v_sub_nc_u32_e32 v12, v26, v30
	s_delay_alu instid0(VALU_DEP_4) | instskip(NEXT) | instid1(VALU_DEP_4)
	v_add_co_ci_u32_e64 v22, s3, 0, v24, s3
	v_sub_nc_u32_e32 v13, v27, v26
	v_add_co_u32 v4, s3, v23, v34
	s_delay_alu instid0(VALU_DEP_1)
	v_add_co_ci_u32_e64 v5, s3, 0, v24, s3
	v_min_u32_e32 v33, v31, v12
	v_add_co_u32 v12, s3, v19, v34
	v_sub_nc_u32_e64 v32, v31, v13 clamp
	v_add_co_ci_u32_e64 v13, s3, 0, v22, s3
	s_clause 0x3
	flat_store_b128 v[4:5], v[8:11]
	flat_store_b128 v[4:5], v[14:17] offset:16
	flat_store_b128 v[12:13], v[36:39]
	flat_store_b128 v[12:13], v[80:83] offset:16
	; wave barrier
	v_cmpx_lt_u32_e64 v32, v33
	s_cbranch_execz .LBB731_28
; %bb.25:
	v_lshlrev_b32_e32 v10, 3, v30
	v_lshlrev_b32_e32 v16, 3, v26
	s_mov_b32 s5, 0
	s_delay_alu instid0(VALU_DEP_2) | instskip(NEXT) | instid1(VALU_DEP_1)
	v_add_co_u32 v10, s3, v23, v10
	v_add_co_ci_u32_e64 v11, s3, 0, v24, s3
	s_delay_alu instid0(VALU_DEP_3) | instskip(NEXT) | instid1(VALU_DEP_1)
	v_add_co_u32 v16, s3, v23, v16
	v_add_co_ci_u32_e64 v34, s3, 0, v24, s3
	s_set_inst_prefetch_distance 0x1
	.p2align	6
.LBB731_26:                             ; =>This Inner Loop Header: Depth=1
	v_add_nc_u32_e32 v17, v33, v32
	v_mov_b32_e32 v49, v18
	s_delay_alu instid0(VALU_DEP_2) | instskip(NEXT) | instid1(VALU_DEP_1)
	v_lshrrev_b32_e32 v17, 1, v17
	v_xad_u32 v48, v17, -1, v31
	v_lshlrev_b64 v[50:51], 3, v[17:18]
	v_add_nc_u32_e32 v35, 1, v17
	s_delay_alu instid0(VALU_DEP_3) | instskip(NEXT) | instid1(VALU_DEP_3)
	v_lshlrev_b64 v[48:49], 3, v[48:49]
	v_add_co_u32 v50, s3, v10, v50
	s_delay_alu instid0(VALU_DEP_1) | instskip(NEXT) | instid1(VALU_DEP_3)
	v_add_co_ci_u32_e64 v51, s3, v11, v51, s3
	v_add_co_u32 v48, s3, v16, v48
	s_delay_alu instid0(VALU_DEP_1)
	v_add_co_ci_u32_e64 v49, s3, v34, v49, s3
	s_clause 0x1
	flat_load_b64 v[50:51], v[50:51]
	flat_load_b64 v[48:49], v[48:49]
	s_waitcnt vmcnt(1) lgkmcnt(1)
	v_and_b32_e32 v51, v51, v29
	s_waitcnt vmcnt(0) lgkmcnt(0)
	v_and_b32_e32 v48, v48, v28
	v_and_b32_e32 v50, v50, v28
	;; [unrolled: 1-line block ×3, first 2 shown]
	s_delay_alu instid0(VALU_DEP_1) | instskip(NEXT) | instid1(VALU_DEP_1)
	v_cmp_gt_u64_e64 s3, v[48:49], v[50:51]
	v_cndmask_b32_e64 v33, v33, v17, s3
	v_cndmask_b32_e64 v32, v35, v32, s3
	s_delay_alu instid0(VALU_DEP_1) | instskip(NEXT) | instid1(VALU_DEP_1)
	v_cmp_ge_u32_e64 s3, v32, v33
	s_or_b32 s5, s3, s5
	s_delay_alu instid0(SALU_CYCLE_1)
	s_and_not1_b32 exec_lo, exec_lo, s5
	s_cbranch_execnz .LBB731_26
; %bb.27:
	s_set_inst_prefetch_distance 0x2
	s_or_b32 exec_lo, exec_lo, s5
.LBB731_28:
	s_delay_alu instid0(SALU_CYCLE_1) | instskip(SKIP_2) | instid1(VALU_DEP_2)
	s_or_b32 exec_lo, exec_lo, s4
	v_add_nc_u32_e32 v10, v26, v31
	v_add_nc_u32_e32 v16, v32, v30
	v_sub_nc_u32_e32 v10, v10, v32
	s_delay_alu instid0(VALU_DEP_2) | instskip(NEXT) | instid1(VALU_DEP_2)
	v_cmp_le_u32_e64 s3, v16, v26
	v_cmp_le_u32_e64 s4, v10, v27
	s_delay_alu instid0(VALU_DEP_1) | instskip(NEXT) | instid1(SALU_CYCLE_1)
	s_or_b32 s3, s3, s4
	s_and_saveexec_b32 s14, s3
	s_cbranch_execz .LBB731_34
; %bb.29:
	v_cmp_lt_u32_e64 s3, v16, v26
                                        ; implicit-def: $vgpr0_vgpr1
	s_delay_alu instid0(VALU_DEP_1)
	s_and_saveexec_b32 s5, s3
	s_cbranch_execz .LBB731_31
; %bb.30:
	v_mov_b32_e32 v17, 0
	s_delay_alu instid0(VALU_DEP_1) | instskip(NEXT) | instid1(VALU_DEP_1)
	v_lshlrev_b64 v[0:1], 3, v[16:17]
	v_add_co_u32 v0, s4, v23, v0
	s_delay_alu instid0(VALU_DEP_1)
	v_add_co_ci_u32_e64 v1, s4, v24, v1, s4
	flat_load_b64 v[0:1], v[0:1]
.LBB731_31:
	s_or_b32 exec_lo, exec_lo, s5
	v_cmp_ge_u32_e64 s4, v10, v27
	s_mov_b32 s6, exec_lo
                                        ; implicit-def: $vgpr8_vgpr9
	v_cmpx_lt_u32_e64 v10, v27
	s_cbranch_execz .LBB731_33
; %bb.32:
	v_mov_b32_e32 v11, 0
	s_delay_alu instid0(VALU_DEP_1) | instskip(NEXT) | instid1(VALU_DEP_1)
	v_lshlrev_b64 v[8:9], 3, v[10:11]
	v_add_co_u32 v8, s5, v23, v8
	s_delay_alu instid0(VALU_DEP_1)
	v_add_co_ci_u32_e64 v9, s5, v24, v9, s5
	flat_load_b64 v[8:9], v[8:9]
.LBB731_33:
	s_or_b32 exec_lo, exec_lo, s6
	s_waitcnt vmcnt(0) lgkmcnt(0)
	v_and_b32_e32 v15, v9, v29
	v_and_b32_e32 v14, v8, v28
	;; [unrolled: 1-line block ×4, first 2 shown]
	s_delay_alu instid0(VALU_DEP_1) | instskip(SKIP_1) | instid1(VALU_DEP_2)
	v_cmp_le_u64_e64 s5, v[14:15], v[17:18]
	v_mov_b32_e32 v15, 0
	s_and_b32 s3, s3, s5
	s_delay_alu instid0(SALU_CYCLE_1) | instskip(NEXT) | instid1(SALU_CYCLE_1)
	s_or_b32 s3, s4, s3
	v_cndmask_b32_e64 v14, v10, v16, s3
	v_cndmask_b32_e64 v11, v27, v26, s3
	s_delay_alu instid0(VALU_DEP_2) | instskip(NEXT) | instid1(VALU_DEP_2)
	v_add_nc_u32_e32 v32, 1, v14
	v_add_nc_u32_e32 v11, -1, v11
	v_lshlrev_b64 v[17:18], 3, v[14:15]
	s_delay_alu instid0(VALU_DEP_3) | instskip(NEXT) | instid1(VALU_DEP_3)
	v_cndmask_b32_e64 v16, v16, v32, s3
	v_min_u32_e32 v14, v32, v11
	v_cndmask_b32_e64 v32, v32, v10, s3
	s_delay_alu instid0(VALU_DEP_3) | instskip(NEXT) | instid1(VALU_DEP_3)
	v_cmp_lt_u32_e64 s5, v16, v26
	v_lshlrev_b64 v[20:21], 3, v[14:15]
	s_delay_alu instid0(VALU_DEP_3) | instskip(NEXT) | instid1(VALU_DEP_2)
	v_cmp_ge_u32_e64 s6, v32, v27
	v_add_co_u32 v20, s4, v23, v20
	s_delay_alu instid0(VALU_DEP_1)
	v_add_co_ci_u32_e64 v21, s4, v24, v21, s4
	flat_load_b64 v[20:21], v[20:21]
	s_waitcnt vmcnt(0) lgkmcnt(0)
	v_cndmask_b32_e64 v34, v21, v9, s3
	v_cndmask_b32_e64 v35, v20, v8, s3
	;; [unrolled: 1-line block ×5, first 2 shown]
	v_and_b32_e32 v21, v34, v29
	v_and_b32_e32 v20, v35, v28
	;; [unrolled: 1-line block ×4, first 2 shown]
	v_cndmask_b32_e64 v8, v8, v0, s3
	s_delay_alu instid0(VALU_DEP_2) | instskip(NEXT) | instid1(VALU_DEP_1)
	v_cmp_le_u64_e64 s4, v[20:21], v[30:31]
	s_and_b32 s4, s5, s4
	s_delay_alu instid0(SALU_CYCLE_1) | instskip(NEXT) | instid1(SALU_CYCLE_1)
	s_or_b32 s4, s6, s4
	v_cndmask_b32_e64 v14, v32, v16, s4
	v_cndmask_b32_e64 v10, v27, v26, s4
	;; [unrolled: 1-line block ×4, first 2 shown]
	s_delay_alu instid0(VALU_DEP_4) | instskip(NEXT) | instid1(VALU_DEP_4)
	v_add_nc_u32_e32 v33, 1, v14
	v_add_nc_u32_e32 v20, -1, v10
	v_lshlrev_b64 v[10:11], 3, v[14:15]
	s_delay_alu instid0(VALU_DEP_3) | instskip(NEXT) | instid1(VALU_DEP_3)
	v_cndmask_b32_e64 v16, v16, v33, s4
	v_min_u32_e32 v14, v33, v20
	v_cndmask_b32_e64 v36, v33, v32, s4
	s_delay_alu instid0(VALU_DEP_3) | instskip(NEXT) | instid1(VALU_DEP_3)
	v_cmp_lt_u32_e64 s6, v16, v26
	v_lshlrev_b64 v[20:21], 3, v[14:15]
	s_delay_alu instid0(VALU_DEP_3) | instskip(NEXT) | instid1(VALU_DEP_2)
	v_cmp_ge_u32_e64 s7, v36, v27
	v_add_co_u32 v20, s5, v23, v20
	s_delay_alu instid0(VALU_DEP_1)
	v_add_co_ci_u32_e64 v21, s5, v24, v21, s5
	flat_load_b64 v[20:21], v[20:21]
	s_waitcnt vmcnt(0) lgkmcnt(0)
	v_cndmask_b32_e64 v50, v21, v34, s4
	v_cndmask_b32_e64 v51, v20, v35, s4
	;; [unrolled: 1-line block ×4, first 2 shown]
	s_delay_alu instid0(VALU_DEP_4) | instskip(NEXT) | instid1(VALU_DEP_4)
	v_and_b32_e32 v21, v50, v29
	v_and_b32_e32 v20, v51, v28
	s_delay_alu instid0(VALU_DEP_4) | instskip(NEXT) | instid1(VALU_DEP_4)
	v_and_b32_e32 v31, v52, v29
	v_and_b32_e32 v30, v53, v28
	s_delay_alu instid0(VALU_DEP_1) | instskip(NEXT) | instid1(VALU_DEP_1)
	v_cmp_le_u64_e64 s5, v[20:21], v[30:31]
	s_and_b32 s5, s6, s5
	s_delay_alu instid0(SALU_CYCLE_1) | instskip(NEXT) | instid1(SALU_CYCLE_1)
	s_or_b32 s5, s7, s5
	v_cndmask_b32_e64 v14, v36, v16, s5
	v_cndmask_b32_e64 v20, v27, v26, s5
	s_delay_alu instid0(VALU_DEP_2) | instskip(NEXT) | instid1(VALU_DEP_2)
	v_add_nc_u32_e32 v37, 1, v14
	v_add_nc_u32_e32 v30, -1, v20
	v_lshlrev_b64 v[20:21], 3, v[14:15]
	s_delay_alu instid0(VALU_DEP_3) | instskip(NEXT) | instid1(VALU_DEP_3)
	v_cndmask_b32_e64 v36, v37, v36, s5
	v_min_u32_e32 v14, v37, v30
	s_delay_alu instid0(VALU_DEP_2) | instskip(NEXT) | instid1(VALU_DEP_2)
	v_cmp_ge_u32_e64 s10, v36, v27
	v_lshlrev_b64 v[30:31], 3, v[14:15]
	v_cndmask_b32_e64 v14, v16, v37, s5
	s_delay_alu instid0(VALU_DEP_2) | instskip(NEXT) | instid1(VALU_DEP_1)
	v_add_co_u32 v30, s6, v23, v30
	v_add_co_ci_u32_e64 v31, s6, v24, v31, s6
	s_delay_alu instid0(VALU_DEP_3)
	v_cmp_lt_u32_e64 s7, v14, v26
	flat_load_b64 v[30:31], v[30:31]
	s_waitcnt vmcnt(0) lgkmcnt(0)
	v_cndmask_b32_e64 v54, v31, v50, s5
	v_cndmask_b32_e64 v55, v30, v51, s5
	;; [unrolled: 1-line block ×4, first 2 shown]
	s_delay_alu instid0(VALU_DEP_4) | instskip(NEXT) | instid1(VALU_DEP_4)
	v_and_b32_e32 v31, v54, v29
	v_and_b32_e32 v30, v55, v28
	s_delay_alu instid0(VALU_DEP_4) | instskip(NEXT) | instid1(VALU_DEP_4)
	v_and_b32_e32 v33, v64, v29
	v_and_b32_e32 v32, v65, v28
	s_delay_alu instid0(VALU_DEP_1) | instskip(NEXT) | instid1(VALU_DEP_1)
	v_cmp_le_u64_e64 s6, v[30:31], v[32:33]
	s_and_b32 s7, s7, s6
	v_add_co_u32 v16, s6, v19, v17
	s_delay_alu instid0(VALU_DEP_1)
	v_add_co_ci_u32_e64 v17, s6, v22, v18, s6
	s_or_b32 s6, s10, s7
	v_add_co_u32 v10, s7, v19, v10
	v_cndmask_b32_e64 v14, v36, v14, s6
	v_add_co_ci_u32_e64 v11, s7, v22, v11, s7
	v_add_co_u32 v20, s7, v19, v20
	s_delay_alu instid0(VALU_DEP_3) | instskip(SKIP_1) | instid1(VALU_DEP_2)
	v_lshlrev_b64 v[14:15], 3, v[14:15]
	v_add_co_ci_u32_e64 v21, s7, v22, v21, s7
	v_add_co_u32 v14, s7, v19, v14
	s_delay_alu instid0(VALU_DEP_1)
	v_add_co_ci_u32_e64 v15, s7, v22, v15, s7
	s_clause 0x3
	flat_load_b64 v[36:37], v[16:17]
	flat_load_b64 v[38:39], v[10:11]
	;; [unrolled: 1-line block ×4, first 2 shown]
	v_cndmask_b32_e64 v15, v50, v52, s5
	v_cndmask_b32_e64 v14, v51, v53, s5
	;; [unrolled: 1-line block ×4, first 2 shown]
.LBB731_34:
	s_or_b32 exec_lo, exec_lo, s14
	v_and_b32_e32 v27, 0x70, v87
	s_delay_alu instid0(VALU_DEP_2) | instskip(SKIP_2) | instid1(VALU_DEP_3)
	v_dual_mov_b32 v16, v20 :: v_dual_and_b32 v11, 12, v87
	v_mov_b32_e32 v17, v21
	s_mov_b32 s4, exec_lo
	v_or_b32_e32 v10, 8, v27
	s_delay_alu instid0(VALU_DEP_3) | instskip(SKIP_1) | instid1(VALU_DEP_3)
	v_min_u32_e32 v30, v25, v11
	; wave barrier
	v_mov_b32_e32 v11, v1
	v_min_u32_e32 v18, v25, v10
	s_delay_alu instid0(VALU_DEP_1) | instskip(NEXT) | instid1(VALU_DEP_1)
	v_add_nc_u32_e32 v10, 8, v18
	v_min_u32_e32 v26, v25, v10
	v_mov_b32_e32 v10, v0
	v_sub_nc_u32_e32 v32, v18, v27
	s_clause 0x1
	flat_store_b128 v[4:5], v[8:11]
	flat_store_b128 v[4:5], v[14:17] offset:16
	s_waitcnt vmcnt(2) lgkmcnt(4)
	flat_store_b128 v[12:13], v[36:39]
	s_waitcnt vmcnt(0) lgkmcnt(3)
	flat_store_b128 v[12:13], v[80:83] offset:16
	v_sub_nc_u32_e32 v31, v26, v18
	v_min_u32_e32 v32, v30, v32
	; wave barrier
	s_delay_alu instid0(VALU_DEP_2) | instskip(NEXT) | instid1(VALU_DEP_1)
	v_sub_nc_u32_e64 v31, v30, v31 clamp
	v_cmpx_lt_u32_e64 v31, v32
	s_cbranch_execz .LBB731_38
; %bb.35:
	v_lshlrev_b32_e32 v10, 3, v27
	v_lshlrev_b32_e32 v11, 3, v18
	s_mov_b32 s5, 0
	s_delay_alu instid0(VALU_DEP_2) | instskip(NEXT) | instid1(VALU_DEP_1)
	v_add_co_u32 v16, s3, v23, v10
	v_add_co_ci_u32_e64 v17, s3, 0, v24, s3
	s_delay_alu instid0(VALU_DEP_3)
	v_add_co_u32 v33, s3, v23, v11
	v_mov_b32_e32 v11, 0
	v_add_co_ci_u32_e64 v34, s3, 0, v24, s3
	s_set_inst_prefetch_distance 0x1
	.p2align	6
.LBB731_36:                             ; =>This Inner Loop Header: Depth=1
	s_delay_alu instid0(VALU_DEP_2) | instskip(NEXT) | instid1(VALU_DEP_1)
	v_dual_mov_b32 v49, v11 :: v_dual_add_nc_u32 v10, v32, v31
	v_lshrrev_b32_e32 v10, 1, v10
	s_delay_alu instid0(VALU_DEP_1) | instskip(SKIP_2) | instid1(VALU_DEP_3)
	v_xad_u32 v48, v10, -1, v30
	v_lshlrev_b64 v[50:51], 3, v[10:11]
	v_add_nc_u32_e32 v35, 1, v10
	v_lshlrev_b64 v[48:49], 3, v[48:49]
	s_delay_alu instid0(VALU_DEP_3) | instskip(NEXT) | instid1(VALU_DEP_1)
	v_add_co_u32 v50, s3, v16, v50
	v_add_co_ci_u32_e64 v51, s3, v17, v51, s3
	s_delay_alu instid0(VALU_DEP_3) | instskip(NEXT) | instid1(VALU_DEP_1)
	v_add_co_u32 v48, s3, v33, v48
	v_add_co_ci_u32_e64 v49, s3, v34, v49, s3
	s_clause 0x1
	flat_load_b64 v[50:51], v[50:51]
	flat_load_b64 v[48:49], v[48:49]
	s_waitcnt vmcnt(1) lgkmcnt(1)
	v_and_b32_e32 v51, v51, v29
	v_and_b32_e32 v50, v50, v28
	s_waitcnt vmcnt(0) lgkmcnt(0)
	v_and_b32_e32 v49, v49, v29
	v_and_b32_e32 v48, v48, v28
	s_delay_alu instid0(VALU_DEP_1) | instskip(NEXT) | instid1(VALU_DEP_1)
	v_cmp_gt_u64_e64 s3, v[48:49], v[50:51]
	v_cndmask_b32_e64 v32, v32, v10, s3
	v_cndmask_b32_e64 v31, v35, v31, s3
	s_delay_alu instid0(VALU_DEP_1) | instskip(NEXT) | instid1(VALU_DEP_1)
	v_cmp_ge_u32_e64 s3, v31, v32
	s_or_b32 s5, s3, s5
	s_delay_alu instid0(SALU_CYCLE_1)
	s_and_not1_b32 exec_lo, exec_lo, s5
	s_cbranch_execnz .LBB731_36
; %bb.37:
	s_set_inst_prefetch_distance 0x2
	s_or_b32 exec_lo, exec_lo, s5
.LBB731_38:
	s_delay_alu instid0(SALU_CYCLE_1) | instskip(SKIP_2) | instid1(VALU_DEP_2)
	s_or_b32 exec_lo, exec_lo, s4
	v_add_nc_u32_e32 v10, v18, v30
	v_add_nc_u32_e32 v16, v31, v27
	v_sub_nc_u32_e32 v10, v10, v31
	s_delay_alu instid0(VALU_DEP_2) | instskip(NEXT) | instid1(VALU_DEP_2)
	v_cmp_le_u32_e64 s3, v16, v18
	v_cmp_le_u32_e64 s4, v10, v26
	s_delay_alu instid0(VALU_DEP_1) | instskip(NEXT) | instid1(SALU_CYCLE_1)
	s_or_b32 s3, s3, s4
	s_and_saveexec_b32 s14, s3
	s_cbranch_execz .LBB731_44
; %bb.39:
	v_cmp_lt_u32_e64 s3, v16, v18
                                        ; implicit-def: $vgpr0_vgpr1
	s_delay_alu instid0(VALU_DEP_1)
	s_and_saveexec_b32 s5, s3
	s_cbranch_execz .LBB731_41
; %bb.40:
	v_mov_b32_e32 v17, 0
	s_delay_alu instid0(VALU_DEP_1) | instskip(NEXT) | instid1(VALU_DEP_1)
	v_lshlrev_b64 v[0:1], 3, v[16:17]
	v_add_co_u32 v0, s4, v23, v0
	s_delay_alu instid0(VALU_DEP_1)
	v_add_co_ci_u32_e64 v1, s4, v24, v1, s4
	flat_load_b64 v[0:1], v[0:1]
.LBB731_41:
	s_or_b32 exec_lo, exec_lo, s5
	v_cmp_ge_u32_e64 s4, v10, v26
	s_mov_b32 s6, exec_lo
                                        ; implicit-def: $vgpr8_vgpr9
	v_cmpx_lt_u32_e64 v10, v26
	s_cbranch_execz .LBB731_43
; %bb.42:
	v_mov_b32_e32 v11, 0
	s_delay_alu instid0(VALU_DEP_1) | instskip(NEXT) | instid1(VALU_DEP_1)
	v_lshlrev_b64 v[8:9], 3, v[10:11]
	v_add_co_u32 v8, s5, v23, v8
	s_delay_alu instid0(VALU_DEP_1)
	v_add_co_ci_u32_e64 v9, s5, v24, v9, s5
	flat_load_b64 v[8:9], v[8:9]
.LBB731_43:
	s_or_b32 exec_lo, exec_lo, s6
	s_waitcnt vmcnt(0) lgkmcnt(0)
	v_and_b32_e32 v15, v9, v29
	v_and_b32_e32 v14, v8, v28
	;; [unrolled: 1-line block ×4, first 2 shown]
	s_delay_alu instid0(VALU_DEP_1) | instskip(SKIP_1) | instid1(VALU_DEP_2)
	v_cmp_le_u64_e64 s5, v[14:15], v[20:21]
	v_mov_b32_e32 v15, 0
	s_and_b32 s3, s3, s5
	s_delay_alu instid0(SALU_CYCLE_1) | instskip(NEXT) | instid1(SALU_CYCLE_1)
	s_or_b32 s3, s4, s3
	v_cndmask_b32_e64 v14, v10, v16, s3
	v_cndmask_b32_e64 v11, v26, v18, s3
	s_delay_alu instid0(VALU_DEP_2) | instskip(NEXT) | instid1(VALU_DEP_2)
	v_add_nc_u32_e32 v17, 1, v14
	v_add_nc_u32_e32 v11, -1, v11
	v_lshlrev_b64 v[20:21], 3, v[14:15]
	s_delay_alu instid0(VALU_DEP_3) | instskip(NEXT) | instid1(VALU_DEP_3)
	v_cndmask_b32_e64 v36, v16, v17, s3
	v_min_u32_e32 v14, v17, v11
	v_cndmask_b32_e64 v37, v17, v10, s3
	s_delay_alu instid0(VALU_DEP_3) | instskip(NEXT) | instid1(VALU_DEP_3)
	v_cmp_lt_u32_e64 s5, v36, v18
	v_lshlrev_b64 v[30:31], 3, v[14:15]
	s_delay_alu instid0(VALU_DEP_3) | instskip(NEXT) | instid1(VALU_DEP_2)
	v_cmp_ge_u32_e64 s6, v37, v26
	v_add_co_u32 v30, s4, v23, v30
	s_delay_alu instid0(VALU_DEP_1)
	v_add_co_ci_u32_e64 v31, s4, v24, v31, s4
	flat_load_b64 v[30:31], v[30:31]
	s_waitcnt vmcnt(0) lgkmcnt(0)
	v_cndmask_b32_e64 v27, v31, v9, s3
	v_cndmask_b32_e64 v34, v30, v8, s3
	;; [unrolled: 1-line block ×5, first 2 shown]
	v_and_b32_e32 v31, v27, v29
	v_and_b32_e32 v30, v34, v28
	;; [unrolled: 1-line block ×4, first 2 shown]
	v_cndmask_b32_e64 v8, v8, v0, s3
	s_delay_alu instid0(VALU_DEP_2) | instskip(NEXT) | instid1(VALU_DEP_1)
	v_cmp_le_u64_e64 s4, v[30:31], v[32:33]
	s_and_b32 s4, s5, s4
	s_delay_alu instid0(SALU_CYCLE_1) | instskip(NEXT) | instid1(SALU_CYCLE_1)
	s_or_b32 s4, s6, s4
	v_cndmask_b32_e64 v14, v37, v36, s4
	v_cndmask_b32_e64 v10, v26, v18, s4
	;; [unrolled: 1-line block ×4, first 2 shown]
	s_delay_alu instid0(VALU_DEP_4) | instskip(NEXT) | instid1(VALU_DEP_4)
	v_add_nc_u32_e32 v32, 1, v14
	v_add_nc_u32_e32 v16, -1, v10
	v_lshlrev_b64 v[10:11], 3, v[14:15]
	s_delay_alu instid0(VALU_DEP_3) | instskip(NEXT) | instid1(VALU_DEP_3)
	v_cndmask_b32_e64 v36, v36, v32, s4
	v_min_u32_e32 v14, v32, v16
	v_cndmask_b32_e64 v37, v32, v37, s4
	s_delay_alu instid0(VALU_DEP_3) | instskip(NEXT) | instid1(VALU_DEP_3)
	v_cmp_lt_u32_e64 s6, v36, v18
	v_lshlrev_b64 v[16:17], 3, v[14:15]
	s_delay_alu instid0(VALU_DEP_3) | instskip(NEXT) | instid1(VALU_DEP_2)
	v_cmp_ge_u32_e64 s7, v37, v26
	v_add_co_u32 v16, s5, v23, v16
	s_delay_alu instid0(VALU_DEP_1)
	v_add_co_ci_u32_e64 v17, s5, v24, v17, s5
	flat_load_b64 v[16:17], v[16:17]
	s_waitcnt vmcnt(0) lgkmcnt(0)
	v_cndmask_b32_e64 v49, v17, v27, s4
	v_cndmask_b32_e64 v50, v16, v34, s4
	;; [unrolled: 1-line block ×4, first 2 shown]
	s_delay_alu instid0(VALU_DEP_4) | instskip(NEXT) | instid1(VALU_DEP_4)
	v_and_b32_e32 v17, v49, v29
	v_and_b32_e32 v16, v50, v28
	s_delay_alu instid0(VALU_DEP_4) | instskip(NEXT) | instid1(VALU_DEP_4)
	v_and_b32_e32 v31, v51, v29
	v_and_b32_e32 v30, v52, v28
	s_delay_alu instid0(VALU_DEP_1) | instskip(NEXT) | instid1(VALU_DEP_1)
	v_cmp_le_u64_e64 s5, v[16:17], v[30:31]
	s_and_b32 s5, s6, s5
	s_delay_alu instid0(SALU_CYCLE_1) | instskip(NEXT) | instid1(SALU_CYCLE_1)
	s_or_b32 s5, s7, s5
	v_cndmask_b32_e64 v14, v37, v36, s5
	v_cndmask_b32_e64 v16, v26, v18, s5
	s_delay_alu instid0(VALU_DEP_2) | instskip(NEXT) | instid1(VALU_DEP_2)
	v_add_nc_u32_e32 v38, 1, v14
	v_add_nc_u32_e32 v30, -1, v16
	v_lshlrev_b64 v[16:17], 3, v[14:15]
	s_delay_alu instid0(VALU_DEP_2) | instskip(NEXT) | instid1(VALU_DEP_1)
	v_min_u32_e32 v14, v38, v30
	v_lshlrev_b64 v[30:31], 3, v[14:15]
	v_cndmask_b32_e64 v14, v36, v38, s5
	v_cndmask_b32_e64 v36, v38, v37, s5
	s_delay_alu instid0(VALU_DEP_3) | instskip(NEXT) | instid1(VALU_DEP_1)
	v_add_co_u32 v30, s6, v23, v30
	v_add_co_ci_u32_e64 v31, s6, v24, v31, s6
	s_delay_alu instid0(VALU_DEP_4) | instskip(NEXT) | instid1(VALU_DEP_4)
	v_cmp_lt_u32_e64 s7, v14, v18
	v_cmp_ge_u32_e64 s10, v36, v26
	flat_load_b64 v[30:31], v[30:31]
	s_waitcnt vmcnt(0) lgkmcnt(0)
	v_cndmask_b32_e64 v53, v31, v49, s5
	v_cndmask_b32_e64 v54, v30, v50, s5
	;; [unrolled: 1-line block ×4, first 2 shown]
	s_delay_alu instid0(VALU_DEP_4) | instskip(NEXT) | instid1(VALU_DEP_4)
	v_and_b32_e32 v31, v53, v29
	v_and_b32_e32 v30, v54, v28
	s_delay_alu instid0(VALU_DEP_4) | instskip(NEXT) | instid1(VALU_DEP_4)
	v_and_b32_e32 v33, v55, v29
	v_and_b32_e32 v32, v64, v28
	s_delay_alu instid0(VALU_DEP_1) | instskip(NEXT) | instid1(VALU_DEP_1)
	v_cmp_le_u64_e64 s6, v[30:31], v[32:33]
	s_and_b32 s7, s7, s6
	v_add_co_u32 v20, s6, v19, v20
	s_delay_alu instid0(VALU_DEP_1)
	v_add_co_ci_u32_e64 v21, s6, v22, v21, s6
	s_or_b32 s6, s10, s7
	v_add_co_u32 v10, s7, v19, v10
	v_cndmask_b32_e64 v14, v36, v14, s6
	v_add_co_ci_u32_e64 v11, s7, v22, v11, s7
	v_add_co_u32 v16, s7, v19, v16
	s_delay_alu instid0(VALU_DEP_3) | instskip(SKIP_1) | instid1(VALU_DEP_2)
	v_lshlrev_b64 v[14:15], 3, v[14:15]
	v_add_co_ci_u32_e64 v17, s7, v22, v17, s7
	v_add_co_u32 v14, s7, v19, v14
	s_delay_alu instid0(VALU_DEP_1)
	v_add_co_ci_u32_e64 v15, s7, v22, v15, s7
	s_clause 0x3
	flat_load_b64 v[36:37], v[20:21]
	flat_load_b64 v[38:39], v[10:11]
	;; [unrolled: 1-line block ×4, first 2 shown]
	v_cndmask_b32_e64 v15, v49, v51, s5
	v_cndmask_b32_e64 v14, v50, v52, s5
	;; [unrolled: 1-line block ×4, first 2 shown]
.LBB731_44:
	s_or_b32 exec_lo, exec_lo, s14
	s_delay_alu instid0(VALU_DEP_1) | instskip(NEXT) | instid1(VALU_DEP_3)
	v_dual_mov_b32 v16, v20 :: v_dual_and_b32 v27, 0x60, v87
	v_mov_b32_e32 v17, v21
	s_mov_b32 s4, exec_lo
	s_delay_alu instid0(VALU_DEP_2) | instskip(SKIP_1) | instid1(VALU_DEP_2)
	v_or_b32_e32 v10, 16, v27
	; wave barrier
	v_mov_b32_e32 v11, v1
	v_min_u32_e32 v18, v25, v10
	s_delay_alu instid0(VALU_DEP_1) | instskip(NEXT) | instid1(VALU_DEP_1)
	v_add_nc_u32_e32 v10, 16, v18
	v_min_u32_e32 v26, v25, v10
	v_mov_b32_e32 v10, v0
	v_min_u32_e32 v25, v25, v96
	v_sub_nc_u32_e32 v31, v18, v27
	s_clause 0x1
	flat_store_b128 v[4:5], v[8:11]
	flat_store_b128 v[4:5], v[14:17] offset:16
	s_waitcnt vmcnt(2) lgkmcnt(4)
	flat_store_b128 v[12:13], v[36:39]
	s_waitcnt vmcnt(0) lgkmcnt(3)
	flat_store_b128 v[12:13], v[80:83] offset:16
	v_sub_nc_u32_e32 v30, v26, v18
	v_min_u32_e32 v31, v25, v31
	; wave barrier
	s_delay_alu instid0(VALU_DEP_2) | instskip(NEXT) | instid1(VALU_DEP_1)
	v_sub_nc_u32_e64 v30, v25, v30 clamp
	v_cmpx_lt_u32_e64 v30, v31
	s_cbranch_execz .LBB731_48
; %bb.45:
	v_lshlrev_b32_e32 v4, 3, v27
	v_lshlrev_b32_e32 v5, 3, v18
	s_mov_b32 s5, 0
	s_delay_alu instid0(VALU_DEP_2) | instskip(NEXT) | instid1(VALU_DEP_1)
	v_add_co_u32 v10, s3, v23, v4
	v_add_co_ci_u32_e64 v11, s3, 0, v24, s3
	s_delay_alu instid0(VALU_DEP_3)
	v_add_co_u32 v12, s3, v23, v5
	v_mov_b32_e32 v5, 0
	v_add_co_ci_u32_e64 v13, s3, 0, v24, s3
	s_set_inst_prefetch_distance 0x1
	.p2align	6
.LBB731_46:                             ; =>This Inner Loop Header: Depth=1
	s_delay_alu instid0(VALU_DEP_2) | instskip(NEXT) | instid1(VALU_DEP_1)
	v_dual_mov_b32 v17, v5 :: v_dual_add_nc_u32 v4, v31, v30
	v_lshrrev_b32_e32 v4, 1, v4
	s_delay_alu instid0(VALU_DEP_1) | instskip(SKIP_1) | instid1(VALU_DEP_2)
	v_xad_u32 v16, v4, -1, v25
	v_lshlrev_b64 v[32:33], 3, v[4:5]
	v_lshlrev_b64 v[16:17], 3, v[16:17]
	s_delay_alu instid0(VALU_DEP_2) | instskip(NEXT) | instid1(VALU_DEP_1)
	v_add_co_u32 v32, s3, v10, v32
	v_add_co_ci_u32_e64 v33, s3, v11, v33, s3
	s_delay_alu instid0(VALU_DEP_3) | instskip(NEXT) | instid1(VALU_DEP_1)
	v_add_co_u32 v16, s3, v12, v16
	v_add_co_ci_u32_e64 v17, s3, v13, v17, s3
	s_clause 0x1
	flat_load_b64 v[32:33], v[32:33]
	flat_load_b64 v[16:17], v[16:17]
	s_waitcnt vmcnt(1) lgkmcnt(1)
	v_and_b32_e32 v33, v33, v29
	v_and_b32_e32 v32, v32, v28
	s_waitcnt vmcnt(0) lgkmcnt(0)
	v_and_b32_e32 v17, v17, v29
	v_and_b32_e32 v16, v16, v28
	s_delay_alu instid0(VALU_DEP_1) | instskip(SKIP_1) | instid1(VALU_DEP_2)
	v_cmp_gt_u64_e64 s3, v[16:17], v[32:33]
	v_add_nc_u32_e32 v16, 1, v4
	v_cndmask_b32_e64 v31, v31, v4, s3
	s_delay_alu instid0(VALU_DEP_2) | instskip(NEXT) | instid1(VALU_DEP_1)
	v_cndmask_b32_e64 v30, v16, v30, s3
	v_cmp_ge_u32_e64 s3, v30, v31
	s_delay_alu instid0(VALU_DEP_1) | instskip(NEXT) | instid1(SALU_CYCLE_1)
	s_or_b32 s5, s3, s5
	s_and_not1_b32 exec_lo, exec_lo, s5
	s_cbranch_execnz .LBB731_46
; %bb.47:
	s_set_inst_prefetch_distance 0x2
	s_or_b32 exec_lo, exec_lo, s5
.LBB731_48:
	s_delay_alu instid0(SALU_CYCLE_1) | instskip(SKIP_2) | instid1(VALU_DEP_2)
	s_or_b32 exec_lo, exec_lo, s4
	v_add_nc_u32_e32 v4, v18, v25
	v_add_nc_u32_e32 v12, v30, v27
	v_sub_nc_u32_e32 v10, v4, v30
	s_delay_alu instid0(VALU_DEP_2) | instskip(NEXT) | instid1(VALU_DEP_2)
	v_cmp_le_u32_e64 s3, v12, v18
	v_cmp_le_u32_e64 s4, v10, v26
	s_delay_alu instid0(VALU_DEP_1) | instskip(NEXT) | instid1(SALU_CYCLE_1)
	s_or_b32 s3, s3, s4
	s_and_saveexec_b32 s14, s3
	s_cbranch_execz .LBB731_54
; %bb.49:
	v_cmp_lt_u32_e64 s3, v12, v18
                                        ; implicit-def: $vgpr0_vgpr1
	s_delay_alu instid0(VALU_DEP_1)
	s_and_saveexec_b32 s5, s3
	s_cbranch_execz .LBB731_51
; %bb.50:
	v_mov_b32_e32 v13, 0
	s_delay_alu instid0(VALU_DEP_1) | instskip(NEXT) | instid1(VALU_DEP_1)
	v_lshlrev_b64 v[0:1], 3, v[12:13]
	v_add_co_u32 v0, s4, v23, v0
	s_delay_alu instid0(VALU_DEP_1)
	v_add_co_ci_u32_e64 v1, s4, v24, v1, s4
	flat_load_b64 v[0:1], v[0:1]
.LBB731_51:
	s_or_b32 exec_lo, exec_lo, s5
	v_cmp_ge_u32_e64 s4, v10, v26
	s_mov_b32 s6, exec_lo
                                        ; implicit-def: $vgpr4_vgpr5
	v_cmpx_lt_u32_e64 v10, v26
	s_cbranch_execz .LBB731_53
; %bb.52:
	v_mov_b32_e32 v11, 0
	s_delay_alu instid0(VALU_DEP_1) | instskip(NEXT) | instid1(VALU_DEP_1)
	v_lshlrev_b64 v[4:5], 3, v[10:11]
	v_add_co_u32 v4, s5, v23, v4
	s_delay_alu instid0(VALU_DEP_1)
	v_add_co_ci_u32_e64 v5, s5, v24, v5, s5
	flat_load_b64 v[4:5], v[4:5]
.LBB731_53:
	s_or_b32 exec_lo, exec_lo, s6
	s_waitcnt vmcnt(0) lgkmcnt(0)
	v_and_b32_e32 v9, v5, v29
	v_and_b32_e32 v8, v4, v28
	;; [unrolled: 1-line block ×4, first 2 shown]
	s_delay_alu instid0(VALU_DEP_1) | instskip(SKIP_1) | instid1(VALU_DEP_2)
	v_cmp_le_u64_e64 s5, v[8:9], v[13:14]
	v_mov_b32_e32 v9, 0
	s_and_b32 s3, s3, s5
	s_delay_alu instid0(SALU_CYCLE_1) | instskip(NEXT) | instid1(SALU_CYCLE_1)
	s_or_b32 s3, s4, s3
	v_cndmask_b32_e64 v8, v10, v12, s3
	v_cndmask_b32_e64 v11, v26, v18, s3
	s_delay_alu instid0(VALU_DEP_2) | instskip(NEXT) | instid1(VALU_DEP_2)
	v_add_nc_u32_e32 v17, 1, v8
	v_add_nc_u32_e32 v11, -1, v11
	v_lshlrev_b64 v[13:14], 3, v[8:9]
	s_delay_alu instid0(VALU_DEP_3) | instskip(NEXT) | instid1(VALU_DEP_3)
	v_cndmask_b32_e64 v12, v12, v17, s3
	v_min_u32_e32 v8, v17, v11
	v_cndmask_b32_e64 v17, v17, v10, s3
	s_delay_alu instid0(VALU_DEP_3) | instskip(NEXT) | instid1(VALU_DEP_3)
	v_cmp_lt_u32_e64 s5, v12, v18
	v_lshlrev_b64 v[15:16], 3, v[8:9]
	s_delay_alu instid0(VALU_DEP_3) | instskip(NEXT) | instid1(VALU_DEP_2)
	v_cmp_ge_u32_e64 s6, v17, v26
	v_add_co_u32 v15, s4, v23, v15
	s_delay_alu instid0(VALU_DEP_1)
	v_add_co_ci_u32_e64 v16, s4, v24, v16, s4
	flat_load_b64 v[15:16], v[15:16]
	s_waitcnt vmcnt(0) lgkmcnt(0)
	v_cndmask_b32_e64 v25, v16, v5, s3
	v_cndmask_b32_e64 v27, v15, v4, s3
	;; [unrolled: 1-line block ×4, first 2 shown]
	s_delay_alu instid0(VALU_DEP_4) | instskip(NEXT) | instid1(VALU_DEP_4)
	v_and_b32_e32 v16, v25, v29
	v_and_b32_e32 v15, v27, v28
	s_delay_alu instid0(VALU_DEP_4) | instskip(NEXT) | instid1(VALU_DEP_4)
	v_and_b32_e32 v21, v30, v29
	v_and_b32_e32 v20, v31, v28
	s_delay_alu instid0(VALU_DEP_1) | instskip(NEXT) | instid1(VALU_DEP_1)
	v_cmp_le_u64_e64 s4, v[15:16], v[20:21]
	s_and_b32 s4, s5, s4
	s_delay_alu instid0(SALU_CYCLE_1) | instskip(NEXT) | instid1(SALU_CYCLE_1)
	s_or_b32 s4, s6, s4
	v_cndmask_b32_e64 v8, v17, v12, s4
	v_cndmask_b32_e64 v10, v26, v18, s4
	s_delay_alu instid0(VALU_DEP_2) | instskip(NEXT) | instid1(VALU_DEP_2)
	v_add_nc_u32_e32 v32, 1, v8
	v_add_nc_u32_e32 v15, -1, v10
	v_lshlrev_b64 v[10:11], 3, v[8:9]
	s_delay_alu instid0(VALU_DEP_3) | instskip(NEXT) | instid1(VALU_DEP_3)
	v_cndmask_b32_e64 v12, v12, v32, s4
	v_min_u32_e32 v8, v32, v15
	v_cndmask_b32_e64 v17, v32, v17, s4
	s_delay_alu instid0(VALU_DEP_3) | instskip(NEXT) | instid1(VALU_DEP_3)
	v_cmp_lt_u32_e64 s6, v12, v18
	v_lshlrev_b64 v[15:16], 3, v[8:9]
	s_delay_alu instid0(VALU_DEP_3) | instskip(NEXT) | instid1(VALU_DEP_2)
	v_cmp_ge_u32_e64 s7, v17, v26
	v_add_co_u32 v15, s5, v23, v15
	s_delay_alu instid0(VALU_DEP_1)
	v_add_co_ci_u32_e64 v16, s5, v24, v16, s5
	flat_load_b64 v[15:16], v[15:16]
	s_waitcnt vmcnt(0) lgkmcnt(0)
	v_cndmask_b32_e64 v33, v16, v25, s4
	v_cndmask_b32_e64 v34, v15, v27, s4
	;; [unrolled: 1-line block ×4, first 2 shown]
	s_delay_alu instid0(VALU_DEP_4) | instskip(NEXT) | instid1(VALU_DEP_4)
	v_and_b32_e32 v16, v33, v29
	v_and_b32_e32 v15, v34, v28
	s_delay_alu instid0(VALU_DEP_4) | instskip(NEXT) | instid1(VALU_DEP_4)
	v_and_b32_e32 v21, v35, v29
	v_and_b32_e32 v20, v48, v28
	s_delay_alu instid0(VALU_DEP_1) | instskip(NEXT) | instid1(VALU_DEP_1)
	v_cmp_le_u64_e64 s5, v[15:16], v[20:21]
	s_and_b32 s5, s6, s5
	s_delay_alu instid0(SALU_CYCLE_1) | instskip(NEXT) | instid1(SALU_CYCLE_1)
	s_or_b32 s5, s7, s5
	v_cndmask_b32_e64 v8, v17, v12, s5
	v_cndmask_b32_e64 v15, v26, v18, s5
	s_delay_alu instid0(VALU_DEP_2) | instskip(NEXT) | instid1(VALU_DEP_2)
	v_add_nc_u32_e32 v32, 1, v8
	v_add_nc_u32_e32 v20, -1, v15
	v_lshlrev_b64 v[15:16], 3, v[8:9]
	s_delay_alu instid0(VALU_DEP_3) | instskip(NEXT) | instid1(VALU_DEP_3)
	v_cndmask_b32_e64 v17, v32, v17, s5
	v_min_u32_e32 v8, v32, v20
	s_delay_alu instid0(VALU_DEP_2) | instskip(NEXT) | instid1(VALU_DEP_2)
	v_cmp_ge_u32_e64 s10, v17, v26
	v_lshlrev_b64 v[20:21], 3, v[8:9]
	v_cndmask_b32_e64 v8, v12, v32, s5
	s_delay_alu instid0(VALU_DEP_2) | instskip(NEXT) | instid1(VALU_DEP_1)
	v_add_co_u32 v20, s6, v23, v20
	v_add_co_ci_u32_e64 v21, s6, v24, v21, s6
	s_delay_alu instid0(VALU_DEP_3)
	v_cmp_lt_u32_e64 s7, v8, v18
	flat_load_b64 v[20:21], v[20:21]
	s_waitcnt vmcnt(0) lgkmcnt(0)
	v_cndmask_b32_e64 v49, v21, v33, s5
	v_cndmask_b32_e64 v50, v20, v34, s5
	v_cndmask_b32_e64 v51, v35, v21, s5
	v_cndmask_b32_e64 v52, v48, v20, s5
	s_delay_alu instid0(VALU_DEP_4) | instskip(NEXT) | instid1(VALU_DEP_4)
	v_and_b32_e32 v21, v49, v29
	v_and_b32_e32 v20, v50, v28
	s_delay_alu instid0(VALU_DEP_4) | instskip(NEXT) | instid1(VALU_DEP_4)
	v_and_b32_e32 v24, v51, v29
	v_and_b32_e32 v23, v52, v28
	s_delay_alu instid0(VALU_DEP_1) | instskip(NEXT) | instid1(VALU_DEP_1)
	v_cmp_le_u64_e64 s6, v[20:21], v[23:24]
	s_and_b32 s7, s7, s6
	v_add_co_u32 v12, s6, v19, v13
	s_delay_alu instid0(VALU_DEP_1)
	v_add_co_ci_u32_e64 v13, s6, v22, v14, s6
	s_or_b32 s6, s10, s7
	v_add_co_u32 v10, s7, v19, v10
	v_cndmask_b32_e64 v8, v17, v8, s6
	v_add_co_ci_u32_e64 v11, s7, v22, v11, s7
	v_add_co_u32 v14, s7, v19, v15
	s_delay_alu instid0(VALU_DEP_3) | instskip(SKIP_3) | instid1(VALU_DEP_4)
	v_lshlrev_b64 v[8:9], 3, v[8:9]
	v_add_co_ci_u32_e64 v15, s7, v22, v16, s7
	v_cndmask_b32_e64 v21, v49, v51, s6
	v_cndmask_b32_e64 v20, v50, v52, s6
	v_add_co_u32 v8, s7, v19, v8
	s_delay_alu instid0(VALU_DEP_1)
	v_add_co_ci_u32_e64 v9, s7, v22, v9, s7
	s_clause 0x3
	flat_load_b64 v[36:37], v[12:13]
	flat_load_b64 v[38:39], v[10:11]
	;; [unrolled: 1-line block ×4, first 2 shown]
	v_cndmask_b32_e64 v9, v5, v1, s3
	v_cndmask_b32_e64 v8, v4, v0, s3
	;; [unrolled: 1-line block ×6, first 2 shown]
.LBB731_54:
	s_or_b32 exec_lo, exec_lo, s14
                                        ; implicit-def: $vgpr22_vgpr23_vgpr24_vgpr25_vgpr26_vgpr27_vgpr28_vgpr29
	; wave barrier
	s_waitcnt vmcnt(0) lgkmcnt(0)
	s_waitcnt_vscnt null, 0x0
	s_barrier
                                        ; implicit-def: $vgpr87
                                        ; implicit-def: $vgpr12
                                        ; implicit-def: $vgpr13
                                        ; implicit-def: $vgpr96
                                        ; implicit-def: $vgpr5
                                        ; implicit-def: $vgpr16
                                        ; implicit-def: $vgpr4
                                        ; implicit-def: $vgpr48_vgpr49_vgpr50_vgpr51_vgpr52_vgpr53_vgpr54_vgpr55
                                        ; implicit-def: $vgpr28_vgpr29_vgpr30_vgpr31_vgpr32_vgpr33_vgpr34_vgpr35
.LBB731_55:
	s_and_not1_saveexec_b32 s10, s11
	s_cbranch_execz .LBB731_97
; %bb.56:
	s_load_b64 s[4:5], s[8:9], 0x0
	v_mov_b32_e32 v10, 0
	s_waitcnt lgkmcnt(0)
	s_cmp_lt_u32 s13, s5
	s_cselect_b32 s3, 14, 20
	s_delay_alu instid0(SALU_CYCLE_1)
	s_add_u32 s6, s8, s3
	s_addc_u32 s7, s9, 0
	s_cmp_lt_u32 s12, s4
	global_load_u16 v11, v10, s[6:7]
	s_cselect_b32 s3, 12, 18
	s_mov_b32 s6, exec_lo
	s_add_u32 s4, s8, s3
	s_addc_u32 s5, s9, 0
	global_load_u16 v10, v10, s[4:5]
	s_waitcnt vmcnt(1)
	v_mad_u32_u24 v5, v16, v11, v5
	s_waitcnt vmcnt(0)
	s_delay_alu instid0(VALU_DEP_1) | instskip(NEXT) | instid1(VALU_DEP_1)
	v_mul_lo_u32 v5, v5, v10
	v_add_lshl_u32 v24, v5, v4, 2
	s_delay_alu instid0(VALU_DEP_1)
	v_cmpx_gt_u32_e32 0x400, v24
	s_cbranch_execz .LBB731_66
; %bb.57:
	v_cmp_gt_i64_e64 s3, v[0:1], v[8:9]
	v_dual_mov_b32 v71, v35 :: v_dual_mov_b32 v70, v34
	v_dual_mov_b32 v4, v80 :: v_dual_mov_b32 v5, v81
	;; [unrolled: 1-line block ×3, first 2 shown]
	s_delay_alu instid0(VALU_DEP_4)
	v_cndmask_b32_e64 v67, v51, v9, s3
	v_cndmask_b32_e64 v66, v50, v8, s3
	;; [unrolled: 1-line block ×4, first 2 shown]
	s_mov_b32 s5, exec_lo
	v_cmpx_gt_i64_e64 v[34:35], v[26:27]
; %bb.58:
	v_dual_mov_b32 v0, v26 :: v_dual_mov_b32 v1, v27
	v_dual_mov_b32 v4, v82 :: v_dual_mov_b32 v5, v83
	;; [unrolled: 1-line block ×6, first 2 shown]
; %bb.59:
	s_or_b32 exec_lo, exec_lo, s5
	v_cndmask_b32_e64 v1, v39, v37, s3
	v_cndmask_b32_e64 v0, v38, v36, s3
	v_cmp_gt_i64_e64 s4, v[26:27], v[66:67]
	v_dual_mov_b32 v14, v64 :: v_dual_mov_b32 v15, v65
	v_dual_mov_b32 v16, v66 :: v_dual_mov_b32 v17, v67
	;; [unrolled: 1-line block ×5, first 2 shown]
	s_and_saveexec_b32 s5, s4
	s_delay_alu instid0(SALU_CYCLE_1)
	s_xor_b32 s4, exec_lo, s5
; %bb.60:
	v_dual_mov_b32 v14, v64 :: v_dual_mov_b32 v15, v65
	v_dual_mov_b32 v16, v66 :: v_dual_mov_b32 v17, v67
	v_dual_mov_b32 v18, v68 :: v_dual_mov_b32 v19, v69
	v_dual_mov_b32 v20, v70 :: v_dual_mov_b32 v21, v71
	v_dual_mov_b32 v16, v26 :: v_dual_mov_b32 v17, v27
	v_dual_mov_b32 v18, v66 :: v_dual_mov_b32 v19, v67
	v_dual_mov_b32 v20, v70 :: v_dual_mov_b32 v21, v71
	v_dual_mov_b32 v11, v5 :: v_dual_mov_b32 v10, v4
	v_dual_mov_b32 v5, v1 :: v_dual_mov_b32 v4, v0
	v_dual_mov_b32 v67, v27 :: v_dual_mov_b32 v66, v26
; %bb.61:
	s_or_b32 exec_lo, exec_lo, s4
	s_delay_alu instid0(VALU_DEP_1) | instskip(NEXT) | instid1(VALU_DEP_3)
	v_cmp_gt_i64_e64 s4, v[66:67], v[64:65]
	v_dual_mov_b32 v23, v5 :: v_dual_mov_b32 v22, v4
	s_mov_b32 s7, exec_lo
	s_delay_alu instid0(VALU_DEP_2)
	v_cndmask_b32_e64 v1, v17, v15, s4
	v_cndmask_b32_e64 v0, v16, v14, s4
	;; [unrolled: 1-line block ×4, first 2 shown]
	v_dual_mov_b32 v14, v18 :: v_dual_mov_b32 v15, v19
	v_cmpx_gt_i64_e64 v[20:21], v[18:19]
; %bb.62:
	v_dual_mov_b32 v16, v18 :: v_dual_mov_b32 v17, v19
	v_dual_mov_b32 v22, v82 :: v_dual_mov_b32 v23, v83
	;; [unrolled: 1-line block ×6, first 2 shown]
; %bb.63:
	s_or_b32 exec_lo, exec_lo, s7
	v_cndmask_b32_e64 v4, v37, v39, s3
	v_cndmask_b32_e64 v5, v36, v38, s3
	v_dual_mov_b32 v81, v23 :: v_dual_mov_b32 v80, v22
	s_delay_alu instid0(VALU_DEP_3) | instskip(NEXT) | instid1(VALU_DEP_3)
	v_cndmask_b32_e64 v37, v4, v11, s4
	v_cndmask_b32_e64 v36, v5, v10, s4
	;; [unrolled: 1-line block ×4, first 2 shown]
	s_mov_b32 s4, exec_lo
	v_cmpx_gt_i64_e64 v[18:19], v[0:1]
; %bb.64:
	v_dual_mov_b32 v15, v1 :: v_dual_mov_b32 v14, v0
	v_dual_mov_b32 v0, v18 :: v_dual_mov_b32 v1, v19
	;; [unrolled: 1-line block ×4, first 2 shown]
; %bb.65:
	s_or_b32 exec_lo, exec_lo, s4
.LBB731_66:
	s_delay_alu instid0(SALU_CYCLE_1) | instskip(SKIP_3) | instid1(VALU_DEP_3)
	s_or_b32 exec_lo, exec_lo, s6
	v_dual_mov_b32 v18, 0 :: v_dual_and_b32 v17, 0xffffff80, v24
	v_or_b32_e32 v4, 4, v87
	v_dual_mov_b32 v10, v0 :: v_dual_and_b32 v19, 4, v87
	v_sub_nc_u32_e64 v25, 0x400, v17 clamp
	v_and_b32_e32 v28, 0x78, v87
	v_dual_mov_b32 v11, v1 :: v_dual_lshlrev_b32 v32, 3, v87
	v_mov_b32_e32 v16, v20
	s_delay_alu instid0(VALU_DEP_4)
	v_min_u32_e32 v26, v25, v4
	v_lshlrev_b64 v[4:5], 3, v[17:18]
	v_mov_b32_e32 v17, v21
	v_min_u32_e32 v29, v25, v19
	s_mov_b32 s4, exec_lo
	v_add_nc_u32_e32 v19, 4, v26
	s_delay_alu instid0(VALU_DEP_4) | instskip(NEXT) | instid1(VALU_DEP_1)
	v_add_co_u32 v23, s3, v12, v4
	v_add_co_ci_u32_e64 v24, s3, v13, v5, s3
	s_delay_alu instid0(VALU_DEP_3) | instskip(NEXT) | instid1(VALU_DEP_3)
	v_min_u32_e32 v27, v25, v19
	v_add_co_u32 v19, s3, 0x2000, v23
	v_sub_nc_u32_e32 v12, v26, v28
	s_delay_alu instid0(VALU_DEP_4) | instskip(NEXT) | instid1(VALU_DEP_4)
	v_add_co_ci_u32_e64 v22, s3, 0, v24, s3
	v_sub_nc_u32_e32 v13, v27, v26
	v_add_co_u32 v4, s3, v23, v32
	s_delay_alu instid0(VALU_DEP_1)
	v_add_co_ci_u32_e64 v5, s3, 0, v24, s3
	v_min_u32_e32 v31, v29, v12
	v_add_co_u32 v12, s3, v19, v32
	v_sub_nc_u32_e64 v30, v29, v13 clamp
	v_add_co_ci_u32_e64 v13, s3, 0, v22, s3
	s_clause 0x3
	flat_store_b128 v[4:5], v[8:11]
	flat_store_b128 v[4:5], v[14:17] offset:16
	flat_store_b128 v[12:13], v[36:39]
	flat_store_b128 v[12:13], v[80:83] offset:16
	; wave barrier
	v_cmpx_lt_u32_e64 v30, v31
	s_cbranch_execz .LBB731_70
; %bb.67:
	v_lshlrev_b32_e32 v10, 3, v28
	v_lshlrev_b32_e32 v16, 3, v26
	s_mov_b32 s5, 0
	s_delay_alu instid0(VALU_DEP_2) | instskip(NEXT) | instid1(VALU_DEP_1)
	v_add_co_u32 v10, s3, v23, v10
	v_add_co_ci_u32_e64 v11, s3, 0, v24, s3
	s_delay_alu instid0(VALU_DEP_3) | instskip(NEXT) | instid1(VALU_DEP_1)
	v_add_co_u32 v16, s3, v23, v16
	v_add_co_ci_u32_e64 v32, s3, 0, v24, s3
	s_set_inst_prefetch_distance 0x1
	.p2align	6
.LBB731_68:                             ; =>This Inner Loop Header: Depth=1
	v_dual_mov_b32 v34, v18 :: v_dual_add_nc_u32 v17, v31, v30
	s_delay_alu instid0(VALU_DEP_1) | instskip(NEXT) | instid1(VALU_DEP_1)
	v_lshrrev_b32_e32 v17, 1, v17
	v_xad_u32 v33, v17, -1, v29
	v_lshlrev_b64 v[48:49], 3, v[17:18]
	s_delay_alu instid0(VALU_DEP_2) | instskip(NEXT) | instid1(VALU_DEP_2)
	v_lshlrev_b64 v[33:34], 3, v[33:34]
	v_add_co_u32 v48, s3, v10, v48
	s_delay_alu instid0(VALU_DEP_1) | instskip(NEXT) | instid1(VALU_DEP_3)
	v_add_co_ci_u32_e64 v49, s3, v11, v49, s3
	v_add_co_u32 v33, s3, v16, v33
	s_delay_alu instid0(VALU_DEP_1)
	v_add_co_ci_u32_e64 v34, s3, v32, v34, s3
	s_clause 0x1
	flat_load_b64 v[48:49], v[48:49]
	flat_load_b64 v[33:34], v[33:34]
	s_waitcnt vmcnt(0) lgkmcnt(0)
	v_cmp_gt_i64_e64 s3, v[33:34], v[48:49]
	v_add_nc_u32_e32 v33, 1, v17
	s_delay_alu instid0(VALU_DEP_2) | instskip(NEXT) | instid1(VALU_DEP_2)
	v_cndmask_b32_e64 v31, v31, v17, s3
	v_cndmask_b32_e64 v30, v33, v30, s3
	s_delay_alu instid0(VALU_DEP_1) | instskip(NEXT) | instid1(VALU_DEP_1)
	v_cmp_ge_u32_e64 s3, v30, v31
	s_or_b32 s5, s3, s5
	s_delay_alu instid0(SALU_CYCLE_1)
	s_and_not1_b32 exec_lo, exec_lo, s5
	s_cbranch_execnz .LBB731_68
; %bb.69:
	s_set_inst_prefetch_distance 0x2
	s_or_b32 exec_lo, exec_lo, s5
.LBB731_70:
	s_delay_alu instid0(SALU_CYCLE_1) | instskip(SKIP_2) | instid1(VALU_DEP_2)
	s_or_b32 exec_lo, exec_lo, s4
	v_add_nc_u32_e32 v10, v26, v29
	v_add_nc_u32_e32 v16, v30, v28
	v_sub_nc_u32_e32 v10, v10, v30
	s_delay_alu instid0(VALU_DEP_2) | instskip(NEXT) | instid1(VALU_DEP_2)
	v_cmp_le_u32_e64 s3, v16, v26
	v_cmp_le_u32_e64 s4, v10, v27
	s_delay_alu instid0(VALU_DEP_1) | instskip(NEXT) | instid1(SALU_CYCLE_1)
	s_or_b32 s3, s3, s4
	s_and_saveexec_b32 s9, s3
	s_cbranch_execz .LBB731_76
; %bb.71:
	v_cmp_lt_u32_e64 s3, v16, v26
                                        ; implicit-def: $vgpr0_vgpr1
	s_delay_alu instid0(VALU_DEP_1)
	s_and_saveexec_b32 s5, s3
	s_cbranch_execz .LBB731_73
; %bb.72:
	v_mov_b32_e32 v17, 0
	s_delay_alu instid0(VALU_DEP_1) | instskip(NEXT) | instid1(VALU_DEP_1)
	v_lshlrev_b64 v[0:1], 3, v[16:17]
	v_add_co_u32 v0, s4, v23, v0
	s_delay_alu instid0(VALU_DEP_1)
	v_add_co_ci_u32_e64 v1, s4, v24, v1, s4
	flat_load_b64 v[0:1], v[0:1]
.LBB731_73:
	s_or_b32 exec_lo, exec_lo, s5
	v_cmp_ge_u32_e64 s4, v10, v27
	s_mov_b32 s6, exec_lo
                                        ; implicit-def: $vgpr8_vgpr9
	v_cmpx_lt_u32_e64 v10, v27
	s_cbranch_execz .LBB731_75
; %bb.74:
	v_mov_b32_e32 v11, 0
	s_delay_alu instid0(VALU_DEP_1) | instskip(NEXT) | instid1(VALU_DEP_1)
	v_lshlrev_b64 v[8:9], 3, v[10:11]
	v_add_co_u32 v8, s5, v23, v8
	s_delay_alu instid0(VALU_DEP_1)
	v_add_co_ci_u32_e64 v9, s5, v24, v9, s5
	flat_load_b64 v[8:9], v[8:9]
.LBB731_75:
	s_or_b32 exec_lo, exec_lo, s6
	s_waitcnt vmcnt(0) lgkmcnt(0)
	v_cmp_le_i64_e64 s5, v[8:9], v[0:1]
	s_delay_alu instid0(VALU_DEP_1) | instskip(NEXT) | instid1(SALU_CYCLE_1)
	s_and_b32 s3, s3, s5
	s_or_b32 s3, s4, s3
	s_delay_alu instid0(SALU_CYCLE_1) | instskip(SKIP_1) | instid1(VALU_DEP_2)
	v_cndmask_b32_e64 v14, v10, v16, s3
	v_cndmask_b32_e64 v11, v27, v26, s3
	v_dual_mov_b32 v15, 0 :: v_dual_add_nc_u32 v30, 1, v14
	s_delay_alu instid0(VALU_DEP_2) | instskip(NEXT) | instid1(VALU_DEP_2)
	v_add_nc_u32_e32 v11, -1, v11
	v_lshlrev_b64 v[17:18], 3, v[14:15]
	s_delay_alu instid0(VALU_DEP_3) | instskip(NEXT) | instid1(VALU_DEP_3)
	v_cndmask_b32_e64 v16, v16, v30, s3
	v_min_u32_e32 v14, v30, v11
	v_cndmask_b32_e64 v34, v30, v10, s3
	s_delay_alu instid0(VALU_DEP_3) | instskip(NEXT) | instid1(VALU_DEP_3)
	v_cmp_lt_u32_e64 s5, v16, v26
	v_lshlrev_b64 v[20:21], 3, v[14:15]
	s_delay_alu instid0(VALU_DEP_3) | instskip(NEXT) | instid1(VALU_DEP_2)
	v_cmp_ge_u32_e64 s6, v34, v27
	v_add_co_u32 v20, s4, v23, v20
	s_delay_alu instid0(VALU_DEP_1)
	v_add_co_ci_u32_e64 v21, s4, v24, v21, s4
	flat_load_b64 v[20:21], v[20:21]
	s_waitcnt vmcnt(0) lgkmcnt(0)
	v_cndmask_b32_e64 v29, v21, v9, s3
	v_cndmask_b32_e64 v28, v20, v8, s3
	;; [unrolled: 1-line block ×6, first 2 shown]
	s_delay_alu instid0(VALU_DEP_3) | instskip(NEXT) | instid1(VALU_DEP_1)
	v_cmp_le_i64_e64 s4, v[28:29], v[20:21]
	s_and_b32 s4, s5, s4
	s_delay_alu instid0(SALU_CYCLE_1) | instskip(NEXT) | instid1(SALU_CYCLE_1)
	s_or_b32 s4, s6, s4
	v_cndmask_b32_e64 v14, v34, v16, s4
	v_cndmask_b32_e64 v10, v27, v26, s4
	;; [unrolled: 1-line block ×4, first 2 shown]
	s_delay_alu instid0(VALU_DEP_4) | instskip(NEXT) | instid1(VALU_DEP_4)
	v_add_nc_u32_e32 v35, 1, v14
	v_add_nc_u32_e32 v30, -1, v10
	v_lshlrev_b64 v[10:11], 3, v[14:15]
	s_delay_alu instid0(VALU_DEP_3) | instskip(NEXT) | instid1(VALU_DEP_3)
	v_cndmask_b32_e64 v16, v16, v35, s4
	v_min_u32_e32 v14, v35, v30
	v_cndmask_b32_e64 v38, v35, v34, s4
	s_delay_alu instid0(VALU_DEP_3) | instskip(NEXT) | instid1(VALU_DEP_3)
	v_cmp_lt_u32_e64 s6, v16, v26
	v_lshlrev_b64 v[30:31], 3, v[14:15]
	s_delay_alu instid0(VALU_DEP_3) | instskip(NEXT) | instid1(VALU_DEP_2)
	v_cmp_ge_u32_e64 s7, v38, v27
	v_add_co_u32 v30, s5, v23, v30
	s_delay_alu instid0(VALU_DEP_1)
	v_add_co_ci_u32_e64 v31, s5, v24, v31, s5
	flat_load_b64 v[30:31], v[30:31]
	s_waitcnt vmcnt(0) lgkmcnt(0)
	v_cndmask_b32_e64 v33, v31, v29, s4
	v_cndmask_b32_e64 v32, v30, v28, s4
	;; [unrolled: 1-line block ×4, first 2 shown]
	s_delay_alu instid0(VALU_DEP_1) | instskip(NEXT) | instid1(VALU_DEP_1)
	v_cmp_le_i64_e64 s5, v[32:33], v[30:31]
	s_and_b32 s5, s6, s5
	s_delay_alu instid0(SALU_CYCLE_1) | instskip(NEXT) | instid1(SALU_CYCLE_1)
	s_or_b32 s5, s7, s5
	v_cndmask_b32_e64 v14, v38, v16, s5
	v_cndmask_b32_e64 v34, v27, v26, s5
	s_delay_alu instid0(VALU_DEP_2) | instskip(NEXT) | instid1(VALU_DEP_2)
	v_add_nc_u32_e32 v39, 1, v14
	v_add_nc_u32_e32 v36, -1, v34
	v_lshlrev_b64 v[34:35], 3, v[14:15]
	s_delay_alu instid0(VALU_DEP_2) | instskip(NEXT) | instid1(VALU_DEP_1)
	v_min_u32_e32 v14, v39, v36
	v_lshlrev_b64 v[36:37], 3, v[14:15]
	v_cndmask_b32_e64 v14, v16, v39, s5
	s_delay_alu instid0(VALU_DEP_2) | instskip(NEXT) | instid1(VALU_DEP_1)
	v_add_co_u32 v36, s6, v23, v36
	v_add_co_ci_u32_e64 v37, s6, v24, v37, s6
	s_delay_alu instid0(VALU_DEP_3)
	v_cmp_lt_u32_e64 s7, v14, v26
	flat_load_b64 v[36:37], v[36:37]
	s_waitcnt vmcnt(0) lgkmcnt(0)
	v_cndmask_b32_e64 v49, v37, v33, s5
	v_cndmask_b32_e64 v48, v36, v32, s5
	;; [unrolled: 1-line block ×5, first 2 shown]
	s_delay_alu instid0(VALU_DEP_2) | instskip(NEXT) | instid1(VALU_DEP_2)
	v_cmp_le_i64_e64 s6, v[48:49], v[50:51]
	v_cmp_ge_u32_e64 s8, v36, v27
	s_delay_alu instid0(VALU_DEP_2) | instskip(SKIP_1) | instid1(VALU_DEP_1)
	s_and_b32 s7, s7, s6
	v_add_co_u32 v16, s6, v19, v17
	v_add_co_ci_u32_e64 v17, s6, v22, v18, s6
	s_delay_alu instid0(VALU_DEP_3) | instskip(SKIP_4) | instid1(VALU_DEP_3)
	s_or_b32 s6, s8, s7
	v_add_co_u32 v10, s7, v19, v10
	v_cndmask_b32_e64 v14, v36, v14, s6
	v_add_co_ci_u32_e64 v11, s7, v22, v11, s7
	v_add_co_u32 v26, s7, v19, v34
	v_lshlrev_b64 v[14:15], 3, v[14:15]
	v_add_co_ci_u32_e64 v27, s7, v22, v35, s7
	v_cndmask_b32_e64 v21, v49, v51, s6
	v_cndmask_b32_e64 v20, v48, v50, s6
	s_delay_alu instid0(VALU_DEP_4) | instskip(NEXT) | instid1(VALU_DEP_1)
	v_add_co_u32 v14, s7, v19, v14
	v_add_co_ci_u32_e64 v15, s7, v22, v15, s7
	s_clause 0x3
	flat_load_b64 v[36:37], v[16:17]
	flat_load_b64 v[38:39], v[10:11]
	;; [unrolled: 1-line block ×4, first 2 shown]
	v_cndmask_b32_e64 v15, v33, v31, s5
	v_cndmask_b32_e64 v14, v32, v30, s5
.LBB731_76:
	s_or_b32 exec_lo, exec_lo, s9
	v_and_b32_e32 v27, 0x70, v87
	v_dual_mov_b32 v16, v20 :: v_dual_and_b32 v11, 12, v87
	v_mov_b32_e32 v17, v21
	s_mov_b32 s4, exec_lo
	s_delay_alu instid0(VALU_DEP_3) | instskip(NEXT) | instid1(VALU_DEP_3)
	v_or_b32_e32 v10, 8, v27
	v_min_u32_e32 v28, v25, v11
	; wave barrier
	v_mov_b32_e32 v11, v1
	s_delay_alu instid0(VALU_DEP_3) | instskip(NEXT) | instid1(VALU_DEP_1)
	v_min_u32_e32 v18, v25, v10
	v_add_nc_u32_e32 v10, 8, v18
	s_delay_alu instid0(VALU_DEP_1)
	v_min_u32_e32 v26, v25, v10
	v_mov_b32_e32 v10, v0
	v_sub_nc_u32_e32 v30, v18, v27
	s_clause 0x1
	flat_store_b128 v[4:5], v[8:11]
	flat_store_b128 v[4:5], v[14:17] offset:16
	s_waitcnt vmcnt(2) lgkmcnt(4)
	flat_store_b128 v[12:13], v[36:39]
	s_waitcnt vmcnt(0) lgkmcnt(3)
	flat_store_b128 v[12:13], v[80:83] offset:16
	v_sub_nc_u32_e32 v29, v26, v18
	v_min_u32_e32 v30, v28, v30
	; wave barrier
	s_delay_alu instid0(VALU_DEP_2) | instskip(NEXT) | instid1(VALU_DEP_1)
	v_sub_nc_u32_e64 v29, v28, v29 clamp
	v_cmpx_lt_u32_e64 v29, v30
	s_cbranch_execz .LBB731_80
; %bb.77:
	v_lshlrev_b32_e32 v10, 3, v27
	v_lshlrev_b32_e32 v11, 3, v18
	s_mov_b32 s5, 0
	s_delay_alu instid0(VALU_DEP_2) | instskip(NEXT) | instid1(VALU_DEP_1)
	v_add_co_u32 v16, s3, v23, v10
	v_add_co_ci_u32_e64 v17, s3, 0, v24, s3
	s_delay_alu instid0(VALU_DEP_3)
	v_add_co_u32 v31, s3, v23, v11
	v_mov_b32_e32 v11, 0
	v_add_co_ci_u32_e64 v32, s3, 0, v24, s3
	s_set_inst_prefetch_distance 0x1
	.p2align	6
.LBB731_78:                             ; =>This Inner Loop Header: Depth=1
	v_add_nc_u32_e32 v10, v30, v29
	s_delay_alu instid0(VALU_DEP_1) | instskip(SKIP_1) | instid1(VALU_DEP_2)
	v_lshrrev_b32_e32 v10, 1, v10
	v_mov_b32_e32 v34, v11
	v_xad_u32 v33, v10, -1, v28
	v_lshlrev_b64 v[48:49], 3, v[10:11]
	s_delay_alu instid0(VALU_DEP_2) | instskip(NEXT) | instid1(VALU_DEP_2)
	v_lshlrev_b64 v[33:34], 3, v[33:34]
	v_add_co_u32 v48, s3, v16, v48
	s_delay_alu instid0(VALU_DEP_1) | instskip(NEXT) | instid1(VALU_DEP_3)
	v_add_co_ci_u32_e64 v49, s3, v17, v49, s3
	v_add_co_u32 v33, s3, v31, v33
	s_delay_alu instid0(VALU_DEP_1)
	v_add_co_ci_u32_e64 v34, s3, v32, v34, s3
	s_clause 0x1
	flat_load_b64 v[48:49], v[48:49]
	flat_load_b64 v[33:34], v[33:34]
	s_waitcnt vmcnt(0) lgkmcnt(0)
	v_cmp_gt_i64_e64 s3, v[33:34], v[48:49]
	v_add_nc_u32_e32 v33, 1, v10
	s_delay_alu instid0(VALU_DEP_2) | instskip(NEXT) | instid1(VALU_DEP_2)
	v_cndmask_b32_e64 v30, v30, v10, s3
	v_cndmask_b32_e64 v29, v33, v29, s3
	s_delay_alu instid0(VALU_DEP_1) | instskip(NEXT) | instid1(VALU_DEP_1)
	v_cmp_ge_u32_e64 s3, v29, v30
	s_or_b32 s5, s3, s5
	s_delay_alu instid0(SALU_CYCLE_1)
	s_and_not1_b32 exec_lo, exec_lo, s5
	s_cbranch_execnz .LBB731_78
; %bb.79:
	s_set_inst_prefetch_distance 0x2
	s_or_b32 exec_lo, exec_lo, s5
.LBB731_80:
	s_delay_alu instid0(SALU_CYCLE_1) | instskip(SKIP_2) | instid1(VALU_DEP_2)
	s_or_b32 exec_lo, exec_lo, s4
	v_add_nc_u32_e32 v10, v18, v28
	v_add_nc_u32_e32 v16, v29, v27
	v_sub_nc_u32_e32 v10, v10, v29
	s_delay_alu instid0(VALU_DEP_2) | instskip(NEXT) | instid1(VALU_DEP_2)
	v_cmp_le_u32_e64 s3, v16, v18
	v_cmp_le_u32_e64 s4, v10, v26
	s_delay_alu instid0(VALU_DEP_1) | instskip(NEXT) | instid1(SALU_CYCLE_1)
	s_or_b32 s3, s3, s4
	s_and_saveexec_b32 s9, s3
	s_cbranch_execz .LBB731_86
; %bb.81:
	v_cmp_lt_u32_e64 s3, v16, v18
                                        ; implicit-def: $vgpr0_vgpr1
	s_delay_alu instid0(VALU_DEP_1)
	s_and_saveexec_b32 s5, s3
	s_cbranch_execz .LBB731_83
; %bb.82:
	v_mov_b32_e32 v17, 0
	s_delay_alu instid0(VALU_DEP_1) | instskip(NEXT) | instid1(VALU_DEP_1)
	v_lshlrev_b64 v[0:1], 3, v[16:17]
	v_add_co_u32 v0, s4, v23, v0
	s_delay_alu instid0(VALU_DEP_1)
	v_add_co_ci_u32_e64 v1, s4, v24, v1, s4
	flat_load_b64 v[0:1], v[0:1]
.LBB731_83:
	s_or_b32 exec_lo, exec_lo, s5
	v_cmp_ge_u32_e64 s4, v10, v26
	s_mov_b32 s6, exec_lo
                                        ; implicit-def: $vgpr8_vgpr9
	v_cmpx_lt_u32_e64 v10, v26
	s_cbranch_execz .LBB731_85
; %bb.84:
	v_mov_b32_e32 v11, 0
	s_delay_alu instid0(VALU_DEP_1) | instskip(NEXT) | instid1(VALU_DEP_1)
	v_lshlrev_b64 v[8:9], 3, v[10:11]
	v_add_co_u32 v8, s5, v23, v8
	s_delay_alu instid0(VALU_DEP_1)
	v_add_co_ci_u32_e64 v9, s5, v24, v9, s5
	flat_load_b64 v[8:9], v[8:9]
.LBB731_85:
	s_or_b32 exec_lo, exec_lo, s6
	s_waitcnt vmcnt(0) lgkmcnt(0)
	v_cmp_le_i64_e64 s5, v[8:9], v[0:1]
	v_mov_b32_e32 v15, 0
	s_delay_alu instid0(VALU_DEP_2) | instskip(NEXT) | instid1(SALU_CYCLE_1)
	s_and_b32 s3, s3, s5
	s_or_b32 s3, s4, s3
	s_delay_alu instid0(SALU_CYCLE_1) | instskip(SKIP_1) | instid1(VALU_DEP_2)
	v_cndmask_b32_e64 v14, v10, v16, s3
	v_cndmask_b32_e64 v11, v26, v18, s3
	v_add_nc_u32_e32 v17, 1, v14
	s_delay_alu instid0(VALU_DEP_2) | instskip(SKIP_1) | instid1(VALU_DEP_3)
	v_add_nc_u32_e32 v11, -1, v11
	v_lshlrev_b64 v[20:21], 3, v[14:15]
	v_cndmask_b32_e64 v33, v16, v17, s3
	s_delay_alu instid0(VALU_DEP_3) | instskip(SKIP_1) | instid1(VALU_DEP_3)
	v_min_u32_e32 v14, v17, v11
	v_cndmask_b32_e64 v34, v17, v10, s3
	v_cmp_lt_u32_e64 s5, v33, v18
	s_delay_alu instid0(VALU_DEP_3) | instskip(NEXT) | instid1(VALU_DEP_3)
	v_lshlrev_b64 v[27:28], 3, v[14:15]
	v_cmp_ge_u32_e64 s6, v34, v26
	s_delay_alu instid0(VALU_DEP_2) | instskip(NEXT) | instid1(VALU_DEP_1)
	v_add_co_u32 v27, s4, v23, v27
	v_add_co_ci_u32_e64 v28, s4, v24, v28, s4
	flat_load_b64 v[27:28], v[27:28]
	s_waitcnt vmcnt(0) lgkmcnt(0)
	v_cndmask_b32_e64 v30, v28, v9, s3
	v_cndmask_b32_e64 v29, v27, v8, s3
	;; [unrolled: 1-line block ×6, first 2 shown]
	s_delay_alu instid0(VALU_DEP_3) | instskip(NEXT) | instid1(VALU_DEP_1)
	v_cmp_le_i64_e64 s4, v[29:30], v[27:28]
	s_and_b32 s4, s5, s4
	s_delay_alu instid0(SALU_CYCLE_1) | instskip(NEXT) | instid1(SALU_CYCLE_1)
	s_or_b32 s4, s6, s4
	v_cndmask_b32_e64 v14, v34, v33, s4
	v_cndmask_b32_e64 v10, v26, v18, s4
	;; [unrolled: 1-line block ×4, first 2 shown]
	s_delay_alu instid0(VALU_DEP_4) | instskip(NEXT) | instid1(VALU_DEP_4)
	v_add_nc_u32_e32 v35, 1, v14
	v_add_nc_u32_e32 v16, -1, v10
	v_lshlrev_b64 v[10:11], 3, v[14:15]
	s_delay_alu instid0(VALU_DEP_3) | instskip(NEXT) | instid1(VALU_DEP_3)
	v_cndmask_b32_e64 v37, v33, v35, s4
	v_min_u32_e32 v14, v35, v16
	v_cndmask_b32_e64 v38, v35, v34, s4
	s_delay_alu instid0(VALU_DEP_3) | instskip(NEXT) | instid1(VALU_DEP_3)
	v_cmp_lt_u32_e64 s6, v37, v18
	v_lshlrev_b64 v[16:17], 3, v[14:15]
	s_delay_alu instid0(VALU_DEP_3) | instskip(NEXT) | instid1(VALU_DEP_2)
	v_cmp_ge_u32_e64 s7, v38, v26
	v_add_co_u32 v16, s5, v23, v16
	s_delay_alu instid0(VALU_DEP_1)
	v_add_co_ci_u32_e64 v17, s5, v24, v17, s5
	flat_load_b64 v[16:17], v[16:17]
	s_waitcnt vmcnt(0) lgkmcnt(0)
	v_cndmask_b32_e64 v32, v17, v30, s4
	v_cndmask_b32_e64 v31, v16, v29, s4
	;; [unrolled: 1-line block ×4, first 2 shown]
	s_delay_alu instid0(VALU_DEP_1) | instskip(NEXT) | instid1(VALU_DEP_1)
	v_cmp_le_i64_e64 s5, v[31:32], v[16:17]
	s_and_b32 s5, s6, s5
	s_delay_alu instid0(SALU_CYCLE_1) | instskip(NEXT) | instid1(SALU_CYCLE_1)
	s_or_b32 s5, s7, s5
	v_cndmask_b32_e64 v14, v38, v37, s5
	v_cndmask_b32_e64 v33, v26, v18, s5
	s_delay_alu instid0(VALU_DEP_2) | instskip(NEXT) | instid1(VALU_DEP_2)
	v_add_nc_u32_e32 v39, 1, v14
	v_add_nc_u32_e32 v35, -1, v33
	v_lshlrev_b64 v[33:34], 3, v[14:15]
	s_delay_alu instid0(VALU_DEP_2) | instskip(NEXT) | instid1(VALU_DEP_1)
	v_min_u32_e32 v14, v39, v35
	v_lshlrev_b64 v[35:36], 3, v[14:15]
	v_cndmask_b32_e64 v14, v37, v39, s5
	s_delay_alu instid0(VALU_DEP_2) | instskip(NEXT) | instid1(VALU_DEP_1)
	v_add_co_u32 v35, s6, v23, v35
	v_add_co_ci_u32_e64 v36, s6, v24, v36, s6
	s_delay_alu instid0(VALU_DEP_3)
	v_cmp_lt_u32_e64 s7, v14, v18
	flat_load_b64 v[35:36], v[35:36]
	s_waitcnt vmcnt(0) lgkmcnt(0)
	v_cndmask_b32_e64 v49, v36, v32, s5
	v_cndmask_b32_e64 v48, v35, v31, s5
	;; [unrolled: 1-line block ×5, first 2 shown]
	s_delay_alu instid0(VALU_DEP_2) | instskip(NEXT) | instid1(VALU_DEP_2)
	v_cmp_le_i64_e64 s6, v[48:49], v[50:51]
	v_cmp_ge_u32_e64 s8, v35, v26
	s_delay_alu instid0(VALU_DEP_2) | instskip(SKIP_1) | instid1(VALU_DEP_1)
	s_and_b32 s7, s7, s6
	v_add_co_u32 v20, s6, v19, v20
	v_add_co_ci_u32_e64 v21, s6, v22, v21, s6
	s_delay_alu instid0(VALU_DEP_3) | instskip(SKIP_4) | instid1(VALU_DEP_3)
	s_or_b32 s6, s8, s7
	v_add_co_u32 v10, s7, v19, v10
	v_cndmask_b32_e64 v14, v35, v14, s6
	v_add_co_ci_u32_e64 v11, s7, v22, v11, s7
	v_add_co_u32 v33, s7, v19, v33
	v_lshlrev_b64 v[14:15], 3, v[14:15]
	v_add_co_ci_u32_e64 v34, s7, v22, v34, s7
	s_delay_alu instid0(VALU_DEP_2) | instskip(NEXT) | instid1(VALU_DEP_1)
	v_add_co_u32 v14, s7, v19, v14
	v_add_co_ci_u32_e64 v15, s7, v22, v15, s7
	s_clause 0x3
	flat_load_b64 v[36:37], v[20:21]
	flat_load_b64 v[38:39], v[10:11]
	;; [unrolled: 1-line block ×4, first 2 shown]
	v_cndmask_b32_e64 v15, v32, v17, s5
	v_cndmask_b32_e64 v14, v31, v16, s5
	;; [unrolled: 1-line block ×4, first 2 shown]
.LBB731_86:
	s_or_b32 exec_lo, exec_lo, s9
	s_delay_alu instid0(VALU_DEP_1) | instskip(NEXT) | instid1(VALU_DEP_3)
	v_dual_mov_b32 v16, v20 :: v_dual_and_b32 v27, 0x60, v87
	v_mov_b32_e32 v17, v21
	s_mov_b32 s4, exec_lo
	s_delay_alu instid0(VALU_DEP_2) | instskip(SKIP_1) | instid1(VALU_DEP_2)
	v_or_b32_e32 v10, 16, v27
	; wave barrier
	v_mov_b32_e32 v11, v1
	v_min_u32_e32 v18, v25, v10
	s_delay_alu instid0(VALU_DEP_1) | instskip(NEXT) | instid1(VALU_DEP_1)
	v_add_nc_u32_e32 v10, 16, v18
	v_min_u32_e32 v26, v25, v10
	v_mov_b32_e32 v10, v0
	v_min_u32_e32 v25, v25, v96
	v_sub_nc_u32_e32 v29, v18, v27
	s_clause 0x1
	flat_store_b128 v[4:5], v[8:11]
	flat_store_b128 v[4:5], v[14:17] offset:16
	s_waitcnt vmcnt(2) lgkmcnt(4)
	flat_store_b128 v[12:13], v[36:39]
	s_waitcnt vmcnt(0) lgkmcnt(3)
	flat_store_b128 v[12:13], v[80:83] offset:16
	v_sub_nc_u32_e32 v28, v26, v18
	v_min_u32_e32 v29, v25, v29
	; wave barrier
	s_delay_alu instid0(VALU_DEP_2) | instskip(NEXT) | instid1(VALU_DEP_1)
	v_sub_nc_u32_e64 v28, v25, v28 clamp
	v_cmpx_lt_u32_e64 v28, v29
	s_cbranch_execz .LBB731_90
; %bb.87:
	v_lshlrev_b32_e32 v4, 3, v27
	v_lshlrev_b32_e32 v5, 3, v18
	s_mov_b32 s5, 0
	s_delay_alu instid0(VALU_DEP_2) | instskip(NEXT) | instid1(VALU_DEP_1)
	v_add_co_u32 v10, s3, v23, v4
	v_add_co_ci_u32_e64 v11, s3, 0, v24, s3
	s_delay_alu instid0(VALU_DEP_3)
	v_add_co_u32 v12, s3, v23, v5
	v_mov_b32_e32 v5, 0
	v_add_co_ci_u32_e64 v13, s3, 0, v24, s3
	s_set_inst_prefetch_distance 0x1
	.p2align	6
.LBB731_88:                             ; =>This Inner Loop Header: Depth=1
	v_add_nc_u32_e32 v4, v29, v28
	s_delay_alu instid0(VALU_DEP_1) | instskip(SKIP_1) | instid1(VALU_DEP_2)
	v_lshrrev_b32_e32 v4, 1, v4
	v_mov_b32_e32 v17, v5
	v_xad_u32 v16, v4, -1, v25
	v_lshlrev_b64 v[30:31], 3, v[4:5]
	s_delay_alu instid0(VALU_DEP_2) | instskip(NEXT) | instid1(VALU_DEP_2)
	v_lshlrev_b64 v[16:17], 3, v[16:17]
	v_add_co_u32 v30, s3, v10, v30
	s_delay_alu instid0(VALU_DEP_1) | instskip(NEXT) | instid1(VALU_DEP_3)
	v_add_co_ci_u32_e64 v31, s3, v11, v31, s3
	v_add_co_u32 v16, s3, v12, v16
	s_delay_alu instid0(VALU_DEP_1)
	v_add_co_ci_u32_e64 v17, s3, v13, v17, s3
	s_clause 0x1
	flat_load_b64 v[30:31], v[30:31]
	flat_load_b64 v[16:17], v[16:17]
	s_waitcnt vmcnt(0) lgkmcnt(0)
	v_cmp_gt_i64_e64 s3, v[16:17], v[30:31]
	v_add_nc_u32_e32 v16, 1, v4
	s_delay_alu instid0(VALU_DEP_2) | instskip(NEXT) | instid1(VALU_DEP_2)
	v_cndmask_b32_e64 v29, v29, v4, s3
	v_cndmask_b32_e64 v28, v16, v28, s3
	s_delay_alu instid0(VALU_DEP_1) | instskip(NEXT) | instid1(VALU_DEP_1)
	v_cmp_ge_u32_e64 s3, v28, v29
	s_or_b32 s5, s3, s5
	s_delay_alu instid0(SALU_CYCLE_1)
	s_and_not1_b32 exec_lo, exec_lo, s5
	s_cbranch_execnz .LBB731_88
; %bb.89:
	s_set_inst_prefetch_distance 0x2
	s_or_b32 exec_lo, exec_lo, s5
.LBB731_90:
	s_delay_alu instid0(SALU_CYCLE_1) | instskip(SKIP_2) | instid1(VALU_DEP_2)
	s_or_b32 exec_lo, exec_lo, s4
	v_add_nc_u32_e32 v4, v18, v25
	v_add_nc_u32_e32 v12, v28, v27
	v_sub_nc_u32_e32 v10, v4, v28
	s_delay_alu instid0(VALU_DEP_2) | instskip(NEXT) | instid1(VALU_DEP_2)
	v_cmp_le_u32_e64 s3, v12, v18
	v_cmp_le_u32_e64 s4, v10, v26
	s_delay_alu instid0(VALU_DEP_1) | instskip(NEXT) | instid1(SALU_CYCLE_1)
	s_or_b32 s3, s3, s4
	s_and_saveexec_b32 s9, s3
	s_cbranch_execz .LBB731_96
; %bb.91:
	v_cmp_lt_u32_e64 s3, v12, v18
                                        ; implicit-def: $vgpr0_vgpr1
	s_delay_alu instid0(VALU_DEP_1)
	s_and_saveexec_b32 s5, s3
	s_cbranch_execz .LBB731_93
; %bb.92:
	v_mov_b32_e32 v13, 0
	s_delay_alu instid0(VALU_DEP_1) | instskip(NEXT) | instid1(VALU_DEP_1)
	v_lshlrev_b64 v[0:1], 3, v[12:13]
	v_add_co_u32 v0, s4, v23, v0
	s_delay_alu instid0(VALU_DEP_1)
	v_add_co_ci_u32_e64 v1, s4, v24, v1, s4
	flat_load_b64 v[0:1], v[0:1]
.LBB731_93:
	s_or_b32 exec_lo, exec_lo, s5
	v_cmp_ge_u32_e64 s4, v10, v26
	s_mov_b32 s6, exec_lo
                                        ; implicit-def: $vgpr4_vgpr5
	v_cmpx_lt_u32_e64 v10, v26
	s_cbranch_execz .LBB731_95
; %bb.94:
	v_mov_b32_e32 v11, 0
	s_delay_alu instid0(VALU_DEP_1) | instskip(NEXT) | instid1(VALU_DEP_1)
	v_lshlrev_b64 v[4:5], 3, v[10:11]
	v_add_co_u32 v4, s5, v23, v4
	s_delay_alu instid0(VALU_DEP_1)
	v_add_co_ci_u32_e64 v5, s5, v24, v5, s5
	flat_load_b64 v[4:5], v[4:5]
.LBB731_95:
	s_or_b32 exec_lo, exec_lo, s6
	s_waitcnt vmcnt(0) lgkmcnt(0)
	v_cmp_le_i64_e64 s5, v[4:5], v[0:1]
	v_mov_b32_e32 v9, 0
	s_delay_alu instid0(VALU_DEP_2) | instskip(NEXT) | instid1(SALU_CYCLE_1)
	s_and_b32 s3, s3, s5
	s_or_b32 s3, s4, s3
	s_delay_alu instid0(SALU_CYCLE_1) | instskip(SKIP_1) | instid1(VALU_DEP_2)
	v_cndmask_b32_e64 v8, v10, v12, s3
	v_cndmask_b32_e64 v11, v26, v18, s3
	v_add_nc_u32_e32 v17, 1, v8
	s_delay_alu instid0(VALU_DEP_2) | instskip(SKIP_1) | instid1(VALU_DEP_3)
	v_add_nc_u32_e32 v11, -1, v11
	v_lshlrev_b64 v[13:14], 3, v[8:9]
	v_cndmask_b32_e64 v12, v12, v17, s3
	s_delay_alu instid0(VALU_DEP_3) | instskip(SKIP_1) | instid1(VALU_DEP_3)
	v_min_u32_e32 v8, v17, v11
	v_cndmask_b32_e64 v17, v17, v10, s3
	v_cmp_lt_u32_e64 s5, v12, v18
	s_delay_alu instid0(VALU_DEP_3) | instskip(NEXT) | instid1(VALU_DEP_3)
	v_lshlrev_b64 v[15:16], 3, v[8:9]
	v_cmp_ge_u32_e64 s6, v17, v26
	s_delay_alu instid0(VALU_DEP_2) | instskip(NEXT) | instid1(VALU_DEP_1)
	v_add_co_u32 v15, s4, v23, v15
	v_add_co_ci_u32_e64 v16, s4, v24, v16, s4
	flat_load_b64 v[15:16], v[15:16]
	s_waitcnt vmcnt(0) lgkmcnt(0)
	v_cndmask_b32_e64 v21, v16, v5, s3
	v_cndmask_b32_e64 v20, v15, v4, s3
	;; [unrolled: 1-line block ×4, first 2 shown]
	s_delay_alu instid0(VALU_DEP_1) | instskip(NEXT) | instid1(VALU_DEP_1)
	v_cmp_le_i64_e64 s4, v[20:21], v[15:16]
	s_and_b32 s4, s5, s4
	s_delay_alu instid0(SALU_CYCLE_1) | instskip(NEXT) | instid1(SALU_CYCLE_1)
	s_or_b32 s4, s6, s4
	v_cndmask_b32_e64 v8, v17, v12, s4
	v_cndmask_b32_e64 v10, v26, v18, s4
	s_delay_alu instid0(VALU_DEP_2) | instskip(NEXT) | instid1(VALU_DEP_2)
	v_add_nc_u32_e32 v25, 1, v8
	v_add_nc_u32_e32 v27, -1, v10
	v_lshlrev_b64 v[10:11], 3, v[8:9]
	s_delay_alu instid0(VALU_DEP_3) | instskip(NEXT) | instid1(VALU_DEP_3)
	v_cndmask_b32_e64 v12, v12, v25, s4
	v_min_u32_e32 v8, v25, v27
	v_cndmask_b32_e64 v17, v25, v17, s4
	s_delay_alu instid0(VALU_DEP_3) | instskip(NEXT) | instid1(VALU_DEP_3)
	v_cmp_lt_u32_e64 s6, v12, v18
	v_lshlrev_b64 v[27:28], 3, v[8:9]
	s_delay_alu instid0(VALU_DEP_3) | instskip(NEXT) | instid1(VALU_DEP_2)
	v_cmp_ge_u32_e64 s7, v17, v26
	v_add_co_u32 v27, s5, v23, v27
	s_delay_alu instid0(VALU_DEP_1)
	v_add_co_ci_u32_e64 v28, s5, v24, v28, s5
	flat_load_b64 v[27:28], v[27:28]
	s_waitcnt vmcnt(0) lgkmcnt(0)
	v_cndmask_b32_e64 v30, v28, v21, s4
	v_cndmask_b32_e64 v29, v27, v20, s4
	;; [unrolled: 1-line block ×4, first 2 shown]
	s_delay_alu instid0(VALU_DEP_1) | instskip(NEXT) | instid1(VALU_DEP_1)
	v_cmp_le_i64_e64 s5, v[29:30], v[27:28]
	s_and_b32 s5, s6, s5
	s_delay_alu instid0(SALU_CYCLE_1) | instskip(NEXT) | instid1(SALU_CYCLE_1)
	s_or_b32 s5, s7, s5
	v_cndmask_b32_e64 v8, v17, v12, s5
	v_cndmask_b32_e64 v25, v26, v18, s5
	s_delay_alu instid0(VALU_DEP_2) | instskip(NEXT) | instid1(VALU_DEP_2)
	v_add_nc_u32_e32 v35, 1, v8
	v_add_nc_u32_e32 v25, -1, v25
	v_lshlrev_b64 v[31:32], 3, v[8:9]
	s_delay_alu instid0(VALU_DEP_3) | instskip(NEXT) | instid1(VALU_DEP_3)
	v_cndmask_b32_e64 v17, v35, v17, s5
	v_min_u32_e32 v8, v35, v25
	s_delay_alu instid0(VALU_DEP_2) | instskip(NEXT) | instid1(VALU_DEP_2)
	v_cmp_ge_u32_e64 s8, v17, v26
	v_lshlrev_b64 v[33:34], 3, v[8:9]
	v_cndmask_b32_e64 v8, v12, v35, s5
	s_delay_alu instid0(VALU_DEP_2) | instskip(NEXT) | instid1(VALU_DEP_1)
	v_add_co_u32 v23, s6, v23, v33
	v_add_co_ci_u32_e64 v24, s6, v24, v34, s6
	s_delay_alu instid0(VALU_DEP_3)
	v_cmp_lt_u32_e64 s7, v8, v18
	flat_load_b64 v[23:24], v[23:24]
	s_waitcnt vmcnt(0) lgkmcnt(0)
	v_cndmask_b32_e64 v34, v24, v30, s5
	v_cndmask_b32_e64 v33, v23, v29, s5
	;; [unrolled: 1-line block ×4, first 2 shown]
	s_delay_alu instid0(VALU_DEP_1) | instskip(NEXT) | instid1(VALU_DEP_1)
	v_cmp_le_i64_e64 s6, v[33:34], v[23:24]
	s_and_b32 s7, s7, s6
	v_add_co_u32 v12, s6, v19, v13
	s_delay_alu instid0(VALU_DEP_1)
	v_add_co_ci_u32_e64 v13, s6, v22, v14, s6
	s_or_b32 s6, s8, s7
	v_add_co_u32 v10, s7, v19, v10
	v_cndmask_b32_e64 v8, v17, v8, s6
	v_add_co_ci_u32_e64 v11, s7, v22, v11, s7
	v_add_co_u32 v17, s7, v19, v31
	s_delay_alu instid0(VALU_DEP_3) | instskip(SKIP_2) | instid1(VALU_DEP_3)
	v_lshlrev_b64 v[8:9], 3, v[8:9]
	v_add_co_ci_u32_e64 v18, s7, v22, v32, s7
	v_cndmask_b32_e64 v14, v29, v27, s5
	v_add_co_u32 v8, s7, v19, v8
	s_delay_alu instid0(VALU_DEP_1)
	v_add_co_ci_u32_e64 v9, s7, v22, v9, s7
	s_clause 0x3
	flat_load_b64 v[36:37], v[12:13]
	flat_load_b64 v[38:39], v[10:11]
	;; [unrolled: 1-line block ×4, first 2 shown]
	v_cndmask_b32_e64 v9, v5, v1, s3
	v_cndmask_b32_e64 v8, v4, v0, s3
	;; [unrolled: 1-line block ×7, first 2 shown]
.LBB731_96:
	s_or_b32 exec_lo, exec_lo, s9
	; wave barrier
	s_waitcnt vmcnt(0) lgkmcnt(0)
	s_waitcnt_vscnt null, 0x0
	s_barrier
.LBB731_97:
	s_or_b32 exec_lo, exec_lo, s10
	v_add_co_u32 v2, s3, v2, v84
	s_delay_alu instid0(VALU_DEP_1) | instskip(SKIP_4) | instid1(VALU_DEP_1)
	v_add_co_ci_u32_e64 v3, s3, v3, v85, s3
	s_waitcnt vmcnt(0) lgkmcnt(0)
	s_waitcnt_vscnt null, 0x0
	buffer_gl0_inv
	v_add_co_u32 v2, s3, v2, v86
	v_add_co_ci_u32_e64 v3, s3, 0, v3, s3
	; wave barrier
	s_and_saveexec_b32 s3, vcc_lo
	s_cbranch_execnz .LBB731_110
; %bb.98:
	s_or_b32 exec_lo, exec_lo, s3
	s_and_saveexec_b32 s3, s0
	s_cbranch_execnz .LBB731_111
.LBB731_99:
	s_or_b32 exec_lo, exec_lo, s3
	s_and_saveexec_b32 s3, s1
	s_cbranch_execnz .LBB731_112
.LBB731_100:
	s_or_b32 exec_lo, exec_lo, s3
	s_and_saveexec_b32 s3, s2
	s_cbranch_execz .LBB731_102
.LBB731_101:
	flat_store_b64 v[2:3], v[20:21] offset:24
.LBB731_102:
	s_or_b32 exec_lo, exec_lo, s3
	v_add_co_u32 v0, s3, v6, v84
	s_delay_alu instid0(VALU_DEP_1) | instskip(NEXT) | instid1(VALU_DEP_2)
	v_add_co_ci_u32_e64 v1, s3, v7, v85, s3
	v_add_co_u32 v0, s3, v0, v86
	s_delay_alu instid0(VALU_DEP_1)
	v_add_co_ci_u32_e64 v1, s3, 0, v1, s3
	; wave barrier
	s_and_saveexec_b32 s3, vcc_lo
	s_cbranch_execnz .LBB731_113
; %bb.103:
	s_or_b32 exec_lo, exec_lo, s3
	s_and_saveexec_b32 s3, s0
	s_cbranch_execnz .LBB731_114
.LBB731_104:
	s_or_b32 exec_lo, exec_lo, s3
	s_and_saveexec_b32 s0, s1
	s_cbranch_execnz .LBB731_115
.LBB731_105:
	s_or_b32 exec_lo, exec_lo, s0
	s_and_saveexec_b32 s0, s2
	s_cbranch_execnz .LBB731_116
.LBB731_106:
	s_or_b32 exec_lo, exec_lo, s0
	s_waitcnt lgkmcnt(0)
	s_setpc_b64 s[30:31]
.LBB731_107:
	flat_load_b64 v[36:37], v[4:5]
	s_or_b32 exec_lo, exec_lo, s3
	s_and_saveexec_b32 s3, s0
	s_cbranch_execz .LBB731_10
.LBB731_108:
	flat_load_b64 v[38:39], v[4:5] offset:8
	s_or_b32 exec_lo, exec_lo, s3
                                        ; implicit-def: $vgpr80_vgpr81
	s_and_saveexec_b32 s3, s1
	s_cbranch_execz .LBB731_11
.LBB731_109:
	flat_load_b64 v[80:81], v[4:5] offset:16
	s_or_b32 exec_lo, exec_lo, s3
	s_and_saveexec_b32 s3, s2
	s_cbranch_execnz .LBB731_12
	s_branch .LBB731_13
.LBB731_110:
	flat_store_b64 v[2:3], v[8:9]
	s_or_b32 exec_lo, exec_lo, s3
	s_and_saveexec_b32 s3, s0
	s_cbranch_execz .LBB731_99
.LBB731_111:
	flat_store_b64 v[2:3], v[0:1] offset:8
	s_or_b32 exec_lo, exec_lo, s3
	s_and_saveexec_b32 s3, s1
	s_cbranch_execz .LBB731_100
.LBB731_112:
	flat_store_b64 v[2:3], v[14:15] offset:16
	s_or_b32 exec_lo, exec_lo, s3
	s_and_saveexec_b32 s3, s2
	s_cbranch_execnz .LBB731_101
	s_branch .LBB731_102
.LBB731_113:
	flat_store_b64 v[0:1], v[36:37]
	s_or_b32 exec_lo, exec_lo, s3
	s_and_saveexec_b32 s3, s0
	s_cbranch_execz .LBB731_104
.LBB731_114:
	flat_store_b64 v[0:1], v[38:39] offset:8
	s_or_b32 exec_lo, exec_lo, s3
	s_and_saveexec_b32 s0, s1
	s_cbranch_execz .LBB731_105
.LBB731_115:
	flat_store_b64 v[0:1], v[80:81] offset:16
	s_or_b32 exec_lo, exec_lo, s0
	s_and_saveexec_b32 s0, s2
	s_cbranch_execz .LBB731_106
.LBB731_116:
	flat_store_b64 v[0:1], v[82:83] offset:24
	s_or_b32 exec_lo, exec_lo, s0
	s_waitcnt lgkmcnt(0)
	s_setpc_b64 s[30:31]
.Lfunc_end731:
	.size	_ZN7rocprim17ROCPRIM_400000_NS6detail26segmented_warp_sort_helperINS1_20WarpSortHelperConfigILj8ELj4ELj256EEEllLi256ELb1EvE4sortIPKlPlS8_S9_EEvT_T0_T1_T2_jjjjRNS5_12storage_typeE, .Lfunc_end731-_ZN7rocprim17ROCPRIM_400000_NS6detail26segmented_warp_sort_helperINS1_20WarpSortHelperConfigILj8ELj4ELj256EEEllLi256ELb1EvE4sortIPKlPlS8_S9_EEvT_T0_T1_T2_jjjjRNS5_12storage_typeE
                                        ; -- End function
	.section	.AMDGPU.csdata,"",@progbits
; Function info:
; codeLenInByte = 10928
; NumSgprs: 34
; NumVgprs: 97
; ScratchSize: 0
; MemoryBound: 1
	.section	.text._ZN7rocprim17ROCPRIM_400000_NS6detail17trampoline_kernelINS0_14default_configENS1_36segmented_radix_sort_config_selectorIllEEZNS1_25segmented_radix_sort_implIS3_Lb1EPKlPlS8_S9_N2at6native12_GLOBAL__N_18offset_tEEE10hipError_tPvRmT1_PNSt15iterator_traitsISH_E10value_typeET2_T3_PNSI_ISN_E10value_typeET4_jRbjT5_ST_jjP12ihipStream_tbEUlT_E1_NS1_11comp_targetILNS1_3genE9ELNS1_11target_archE1100ELNS1_3gpuE3ELNS1_3repE0EEENS1_59segmented_radix_sort_warp_sort_small_config_static_selectorELNS0_4arch9wavefront6targetE0EEEvSH_,"axG",@progbits,_ZN7rocprim17ROCPRIM_400000_NS6detail17trampoline_kernelINS0_14default_configENS1_36segmented_radix_sort_config_selectorIllEEZNS1_25segmented_radix_sort_implIS3_Lb1EPKlPlS8_S9_N2at6native12_GLOBAL__N_18offset_tEEE10hipError_tPvRmT1_PNSt15iterator_traitsISH_E10value_typeET2_T3_PNSI_ISN_E10value_typeET4_jRbjT5_ST_jjP12ihipStream_tbEUlT_E1_NS1_11comp_targetILNS1_3genE9ELNS1_11target_archE1100ELNS1_3gpuE3ELNS1_3repE0EEENS1_59segmented_radix_sort_warp_sort_small_config_static_selectorELNS0_4arch9wavefront6targetE0EEEvSH_,comdat
	.globl	_ZN7rocprim17ROCPRIM_400000_NS6detail17trampoline_kernelINS0_14default_configENS1_36segmented_radix_sort_config_selectorIllEEZNS1_25segmented_radix_sort_implIS3_Lb1EPKlPlS8_S9_N2at6native12_GLOBAL__N_18offset_tEEE10hipError_tPvRmT1_PNSt15iterator_traitsISH_E10value_typeET2_T3_PNSI_ISN_E10value_typeET4_jRbjT5_ST_jjP12ihipStream_tbEUlT_E1_NS1_11comp_targetILNS1_3genE9ELNS1_11target_archE1100ELNS1_3gpuE3ELNS1_3repE0EEENS1_59segmented_radix_sort_warp_sort_small_config_static_selectorELNS0_4arch9wavefront6targetE0EEEvSH_ ; -- Begin function _ZN7rocprim17ROCPRIM_400000_NS6detail17trampoline_kernelINS0_14default_configENS1_36segmented_radix_sort_config_selectorIllEEZNS1_25segmented_radix_sort_implIS3_Lb1EPKlPlS8_S9_N2at6native12_GLOBAL__N_18offset_tEEE10hipError_tPvRmT1_PNSt15iterator_traitsISH_E10value_typeET2_T3_PNSI_ISN_E10value_typeET4_jRbjT5_ST_jjP12ihipStream_tbEUlT_E1_NS1_11comp_targetILNS1_3genE9ELNS1_11target_archE1100ELNS1_3gpuE3ELNS1_3repE0EEENS1_59segmented_radix_sort_warp_sort_small_config_static_selectorELNS0_4arch9wavefront6targetE0EEEvSH_
	.p2align	8
	.type	_ZN7rocprim17ROCPRIM_400000_NS6detail17trampoline_kernelINS0_14default_configENS1_36segmented_radix_sort_config_selectorIllEEZNS1_25segmented_radix_sort_implIS3_Lb1EPKlPlS8_S9_N2at6native12_GLOBAL__N_18offset_tEEE10hipError_tPvRmT1_PNSt15iterator_traitsISH_E10value_typeET2_T3_PNSI_ISN_E10value_typeET4_jRbjT5_ST_jjP12ihipStream_tbEUlT_E1_NS1_11comp_targetILNS1_3genE9ELNS1_11target_archE1100ELNS1_3gpuE3ELNS1_3repE0EEENS1_59segmented_radix_sort_warp_sort_small_config_static_selectorELNS0_4arch9wavefront6targetE0EEEvSH_,@function
_ZN7rocprim17ROCPRIM_400000_NS6detail17trampoline_kernelINS0_14default_configENS1_36segmented_radix_sort_config_selectorIllEEZNS1_25segmented_radix_sort_implIS3_Lb1EPKlPlS8_S9_N2at6native12_GLOBAL__N_18offset_tEEE10hipError_tPvRmT1_PNSt15iterator_traitsISH_E10value_typeET2_T3_PNSI_ISN_E10value_typeET4_jRbjT5_ST_jjP12ihipStream_tbEUlT_E1_NS1_11comp_targetILNS1_3genE9ELNS1_11target_archE1100ELNS1_3gpuE3ELNS1_3repE0EEENS1_59segmented_radix_sort_warp_sort_small_config_static_selectorELNS0_4arch9wavefront6targetE0EEEvSH_: ; @_ZN7rocprim17ROCPRIM_400000_NS6detail17trampoline_kernelINS0_14default_configENS1_36segmented_radix_sort_config_selectorIllEEZNS1_25segmented_radix_sort_implIS3_Lb1EPKlPlS8_S9_N2at6native12_GLOBAL__N_18offset_tEEE10hipError_tPvRmT1_PNSt15iterator_traitsISH_E10value_typeET2_T3_PNSI_ISN_E10value_typeET4_jRbjT5_ST_jjP12ihipStream_tbEUlT_E1_NS1_11comp_targetILNS1_3genE9ELNS1_11target_archE1100ELNS1_3gpuE3ELNS1_3repE0EEENS1_59segmented_radix_sort_warp_sort_small_config_static_selectorELNS0_4arch9wavefront6targetE0EEEvSH_
; %bb.0:
	s_load_b32 s2, s[0:1], 0x64
	v_bfe_u32 v1, v0, 10, 10
	v_bfe_u32 v2, v0, 20, 10
	s_mov_b32 s12, s14
	s_mov_b32 s32, 0
	s_waitcnt lgkmcnt(0)
	s_lshr_b32 s3, s2, 16
	s_and_b32 s2, s2, 0xffff
	v_mad_u32_u24 v4, v2, s3, v1
	v_and_b32_e32 v1, 0x3ff, v0
	s_load_b32 s3, s[0:1], 0x34
	s_delay_alu instid0(VALU_DEP_1) | instskip(SKIP_1) | instid1(VALU_DEP_1)
	v_mad_u64_u32 v[2:3], null, v4, s2, v[1:2]
	s_mov_b32 s2, exec_lo
	v_lshrrev_b32_e32 v1, 3, v2
	s_delay_alu instid0(VALU_DEP_1) | instskip(SKIP_1) | instid1(VALU_DEP_1)
	v_lshl_add_u32 v1, s12, 5, v1
	s_waitcnt lgkmcnt(0)
	v_cmpx_gt_u32_e64 s3, v1
	s_cbranch_execz .LBB732_6
; %bb.1:
	s_clause 0x1
	s_load_b64 s[2:3], s[0:1], 0x38
	s_load_b128 s[4:7], s[0:1], 0x40
	v_mov_b32_e32 v2, 0
	s_delay_alu instid0(VALU_DEP_1) | instskip(SKIP_1) | instid1(VALU_DEP_1)
	v_lshlrev_b64 v[1:2], 2, v[1:2]
	s_waitcnt lgkmcnt(0)
	v_sub_co_u32 v1, vcc_lo, s2, v1
	s_delay_alu instid0(VALU_DEP_2) | instskip(SKIP_4) | instid1(VALU_DEP_2)
	v_sub_co_ci_u32_e32 v2, vcc_lo, s3, v2, vcc_lo
	global_load_b32 v1, v[1:2], off offset:-4
	s_waitcnt vmcnt(0)
	v_add_nc_u32_e32 v2, s5, v1
	v_add_nc_u32_e32 v1, s7, v1
	v_mul_lo_u32 v40, v2, s4
	s_delay_alu instid0(VALU_DEP_2) | instskip(NEXT) | instid1(VALU_DEP_1)
	v_mul_lo_u32 v41, v1, s6
	v_cmp_gt_u32_e32 vcc_lo, v41, v40
	s_and_b32 exec_lo, exec_lo, vcc_lo
	s_cbranch_execz .LBB732_6
; %bb.2:
	s_clause 0x3
	s_load_b32 s2, s[0:1], 0x30
	s_load_b128 s[24:27], s[0:1], 0x20
	s_load_b256 s[16:23], s[0:1], 0x0
	s_load_b64 s[28:29], s[0:1], 0x50
	s_waitcnt lgkmcnt(0)
	s_bitcmp0_b32 s2, 0
	s_mov_b32 s2, -1
	s_cbranch_scc0 .LBB732_4
; %bb.3:
	s_mov_b64 s[2:3], src_shared_base
	v_mov_b32_e32 v31, v0
	v_dual_mov_b32 v42, v0 :: v_dual_mov_b32 v1, s17
	v_mov_b32_e32 v0, s16
	v_dual_mov_b32 v2, s18 :: v_dual_mov_b32 v3, s19
	v_dual_mov_b32 v4, s22 :: v_dual_mov_b32 v5, s23
	;; [unrolled: 1-line block ×6, first 2 shown]
	s_add_u32 s8, s0, 0x58
	s_addc_u32 s9, s1, 0
	s_mov_b32 s13, s15
	s_getpc_b64 s[4:5]
	s_add_u32 s4, s4, _ZN7rocprim17ROCPRIM_400000_NS6detail26segmented_warp_sort_helperINS1_20WarpSortHelperConfigILj8ELj4ELj256EEEllLi256ELb1EvE4sortIPKlPlS8_S9_EEvT_T0_T1_T2_jjjjRNS5_12storage_typeE@rel32@lo+4
	s_addc_u32 s5, s5, _ZN7rocprim17ROCPRIM_400000_NS6detail26segmented_warp_sort_helperINS1_20WarpSortHelperConfigILj8ELj4ELj256EEEllLi256ELb1EvE4sortIPKlPlS8_S9_EEvT_T0_T1_T2_jjjjRNS5_12storage_typeE@rel32@hi+12
	s_mov_b64 s[18:19], s[0:1]
	s_swappc_b64 s[30:31], s[4:5]
	v_mov_b32_e32 v0, v42
	s_mov_b64 s[0:1], s[18:19]
	s_mov_b32 s2, 0
.LBB732_4:
	s_delay_alu instid0(SALU_CYCLE_1)
	s_and_not1_b32 vcc_lo, exec_lo, s2
	s_cbranch_vccnz .LBB732_6
; %bb.5:
	s_add_u32 s8, s0, 0x58
	s_addc_u32 s9, s1, 0
	s_mov_b64 s[0:1], src_shared_base
	v_dual_mov_b32 v31, v0 :: v_dual_mov_b32 v0, s16
	v_dual_mov_b32 v1, s17 :: v_dual_mov_b32 v2, s20
	;; [unrolled: 1-line block ×7, first 2 shown]
	v_mov_b32_e32 v13, s1
	s_mov_b32 s13, s15
	s_getpc_b64 s[2:3]
	s_add_u32 s2, s2, _ZN7rocprim17ROCPRIM_400000_NS6detail26segmented_warp_sort_helperINS1_20WarpSortHelperConfigILj8ELj4ELj256EEEllLi256ELb1EvE4sortIPKlPlS8_S9_EEvT_T0_T1_T2_jjjjRNS5_12storage_typeE@rel32@lo+4
	s_addc_u32 s3, s3, _ZN7rocprim17ROCPRIM_400000_NS6detail26segmented_warp_sort_helperINS1_20WarpSortHelperConfigILj8ELj4ELj256EEEllLi256ELb1EvE4sortIPKlPlS8_S9_EEvT_T0_T1_T2_jjjjRNS5_12storage_typeE@rel32@hi+12
	s_delay_alu instid0(SALU_CYCLE_1)
	s_swappc_b64 s[30:31], s[2:3]
.LBB732_6:
	s_endpgm
	.section	.rodata,"a",@progbits
	.p2align	6, 0x0
	.amdhsa_kernel _ZN7rocprim17ROCPRIM_400000_NS6detail17trampoline_kernelINS0_14default_configENS1_36segmented_radix_sort_config_selectorIllEEZNS1_25segmented_radix_sort_implIS3_Lb1EPKlPlS8_S9_N2at6native12_GLOBAL__N_18offset_tEEE10hipError_tPvRmT1_PNSt15iterator_traitsISH_E10value_typeET2_T3_PNSI_ISN_E10value_typeET4_jRbjT5_ST_jjP12ihipStream_tbEUlT_E1_NS1_11comp_targetILNS1_3genE9ELNS1_11target_archE1100ELNS1_3gpuE3ELNS1_3repE0EEENS1_59segmented_radix_sort_warp_sort_small_config_static_selectorELNS0_4arch9wavefront6targetE0EEEvSH_
		.amdhsa_group_segment_fixed_size 16384
		.amdhsa_private_segment_fixed_size 0
		.amdhsa_kernarg_size 344
		.amdhsa_user_sgpr_count 14
		.amdhsa_user_sgpr_dispatch_ptr 0
		.amdhsa_user_sgpr_queue_ptr 0
		.amdhsa_user_sgpr_kernarg_segment_ptr 1
		.amdhsa_user_sgpr_dispatch_id 0
		.amdhsa_user_sgpr_private_segment_size 0
		.amdhsa_wavefront_size32 1
		.amdhsa_uses_dynamic_stack 0
		.amdhsa_enable_private_segment 0
		.amdhsa_system_sgpr_workgroup_id_x 1
		.amdhsa_system_sgpr_workgroup_id_y 1
		.amdhsa_system_sgpr_workgroup_id_z 0
		.amdhsa_system_sgpr_workgroup_info 0
		.amdhsa_system_vgpr_workitem_id 2
		.amdhsa_next_free_vgpr 97
		.amdhsa_next_free_sgpr 33
		.amdhsa_reserve_vcc 1
		.amdhsa_float_round_mode_32 0
		.amdhsa_float_round_mode_16_64 0
		.amdhsa_float_denorm_mode_32 3
		.amdhsa_float_denorm_mode_16_64 3
		.amdhsa_dx10_clamp 1
		.amdhsa_ieee_mode 1
		.amdhsa_fp16_overflow 0
		.amdhsa_workgroup_processor_mode 1
		.amdhsa_memory_ordered 1
		.amdhsa_forward_progress 0
		.amdhsa_shared_vgpr_count 0
		.amdhsa_exception_fp_ieee_invalid_op 0
		.amdhsa_exception_fp_denorm_src 0
		.amdhsa_exception_fp_ieee_div_zero 0
		.amdhsa_exception_fp_ieee_overflow 0
		.amdhsa_exception_fp_ieee_underflow 0
		.amdhsa_exception_fp_ieee_inexact 0
		.amdhsa_exception_int_div_zero 0
	.end_amdhsa_kernel
	.section	.text._ZN7rocprim17ROCPRIM_400000_NS6detail17trampoline_kernelINS0_14default_configENS1_36segmented_radix_sort_config_selectorIllEEZNS1_25segmented_radix_sort_implIS3_Lb1EPKlPlS8_S9_N2at6native12_GLOBAL__N_18offset_tEEE10hipError_tPvRmT1_PNSt15iterator_traitsISH_E10value_typeET2_T3_PNSI_ISN_E10value_typeET4_jRbjT5_ST_jjP12ihipStream_tbEUlT_E1_NS1_11comp_targetILNS1_3genE9ELNS1_11target_archE1100ELNS1_3gpuE3ELNS1_3repE0EEENS1_59segmented_radix_sort_warp_sort_small_config_static_selectorELNS0_4arch9wavefront6targetE0EEEvSH_,"axG",@progbits,_ZN7rocprim17ROCPRIM_400000_NS6detail17trampoline_kernelINS0_14default_configENS1_36segmented_radix_sort_config_selectorIllEEZNS1_25segmented_radix_sort_implIS3_Lb1EPKlPlS8_S9_N2at6native12_GLOBAL__N_18offset_tEEE10hipError_tPvRmT1_PNSt15iterator_traitsISH_E10value_typeET2_T3_PNSI_ISN_E10value_typeET4_jRbjT5_ST_jjP12ihipStream_tbEUlT_E1_NS1_11comp_targetILNS1_3genE9ELNS1_11target_archE1100ELNS1_3gpuE3ELNS1_3repE0EEENS1_59segmented_radix_sort_warp_sort_small_config_static_selectorELNS0_4arch9wavefront6targetE0EEEvSH_,comdat
.Lfunc_end732:
	.size	_ZN7rocprim17ROCPRIM_400000_NS6detail17trampoline_kernelINS0_14default_configENS1_36segmented_radix_sort_config_selectorIllEEZNS1_25segmented_radix_sort_implIS3_Lb1EPKlPlS8_S9_N2at6native12_GLOBAL__N_18offset_tEEE10hipError_tPvRmT1_PNSt15iterator_traitsISH_E10value_typeET2_T3_PNSI_ISN_E10value_typeET4_jRbjT5_ST_jjP12ihipStream_tbEUlT_E1_NS1_11comp_targetILNS1_3genE9ELNS1_11target_archE1100ELNS1_3gpuE3ELNS1_3repE0EEENS1_59segmented_radix_sort_warp_sort_small_config_static_selectorELNS0_4arch9wavefront6targetE0EEEvSH_, .Lfunc_end732-_ZN7rocprim17ROCPRIM_400000_NS6detail17trampoline_kernelINS0_14default_configENS1_36segmented_radix_sort_config_selectorIllEEZNS1_25segmented_radix_sort_implIS3_Lb1EPKlPlS8_S9_N2at6native12_GLOBAL__N_18offset_tEEE10hipError_tPvRmT1_PNSt15iterator_traitsISH_E10value_typeET2_T3_PNSI_ISN_E10value_typeET4_jRbjT5_ST_jjP12ihipStream_tbEUlT_E1_NS1_11comp_targetILNS1_3genE9ELNS1_11target_archE1100ELNS1_3gpuE3ELNS1_3repE0EEENS1_59segmented_radix_sort_warp_sort_small_config_static_selectorELNS0_4arch9wavefront6targetE0EEEvSH_
                                        ; -- End function
	.section	.AMDGPU.csdata,"",@progbits
; Kernel info:
; codeLenInByte = 528
; NumSgprs: 35
; NumVgprs: 97
; ScratchSize: 0
; MemoryBound: 0
; FloatMode: 240
; IeeeMode: 1
; LDSByteSize: 16384 bytes/workgroup (compile time only)
; SGPRBlocks: 4
; VGPRBlocks: 12
; NumSGPRsForWavesPerEU: 35
; NumVGPRsForWavesPerEU: 97
; Occupancy: 12
; WaveLimiterHint : 0
; COMPUTE_PGM_RSRC2:SCRATCH_EN: 0
; COMPUTE_PGM_RSRC2:USER_SGPR: 14
; COMPUTE_PGM_RSRC2:TRAP_HANDLER: 0
; COMPUTE_PGM_RSRC2:TGID_X_EN: 1
; COMPUTE_PGM_RSRC2:TGID_Y_EN: 1
; COMPUTE_PGM_RSRC2:TGID_Z_EN: 0
; COMPUTE_PGM_RSRC2:TIDIG_COMP_CNT: 2
	.section	.text._ZN7rocprim17ROCPRIM_400000_NS6detail17trampoline_kernelINS0_14default_configENS1_36segmented_radix_sort_config_selectorIllEEZNS1_25segmented_radix_sort_implIS3_Lb1EPKlPlS8_S9_N2at6native12_GLOBAL__N_18offset_tEEE10hipError_tPvRmT1_PNSt15iterator_traitsISH_E10value_typeET2_T3_PNSI_ISN_E10value_typeET4_jRbjT5_ST_jjP12ihipStream_tbEUlT_E1_NS1_11comp_targetILNS1_3genE8ELNS1_11target_archE1030ELNS1_3gpuE2ELNS1_3repE0EEENS1_59segmented_radix_sort_warp_sort_small_config_static_selectorELNS0_4arch9wavefront6targetE0EEEvSH_,"axG",@progbits,_ZN7rocprim17ROCPRIM_400000_NS6detail17trampoline_kernelINS0_14default_configENS1_36segmented_radix_sort_config_selectorIllEEZNS1_25segmented_radix_sort_implIS3_Lb1EPKlPlS8_S9_N2at6native12_GLOBAL__N_18offset_tEEE10hipError_tPvRmT1_PNSt15iterator_traitsISH_E10value_typeET2_T3_PNSI_ISN_E10value_typeET4_jRbjT5_ST_jjP12ihipStream_tbEUlT_E1_NS1_11comp_targetILNS1_3genE8ELNS1_11target_archE1030ELNS1_3gpuE2ELNS1_3repE0EEENS1_59segmented_radix_sort_warp_sort_small_config_static_selectorELNS0_4arch9wavefront6targetE0EEEvSH_,comdat
	.globl	_ZN7rocprim17ROCPRIM_400000_NS6detail17trampoline_kernelINS0_14default_configENS1_36segmented_radix_sort_config_selectorIllEEZNS1_25segmented_radix_sort_implIS3_Lb1EPKlPlS8_S9_N2at6native12_GLOBAL__N_18offset_tEEE10hipError_tPvRmT1_PNSt15iterator_traitsISH_E10value_typeET2_T3_PNSI_ISN_E10value_typeET4_jRbjT5_ST_jjP12ihipStream_tbEUlT_E1_NS1_11comp_targetILNS1_3genE8ELNS1_11target_archE1030ELNS1_3gpuE2ELNS1_3repE0EEENS1_59segmented_radix_sort_warp_sort_small_config_static_selectorELNS0_4arch9wavefront6targetE0EEEvSH_ ; -- Begin function _ZN7rocprim17ROCPRIM_400000_NS6detail17trampoline_kernelINS0_14default_configENS1_36segmented_radix_sort_config_selectorIllEEZNS1_25segmented_radix_sort_implIS3_Lb1EPKlPlS8_S9_N2at6native12_GLOBAL__N_18offset_tEEE10hipError_tPvRmT1_PNSt15iterator_traitsISH_E10value_typeET2_T3_PNSI_ISN_E10value_typeET4_jRbjT5_ST_jjP12ihipStream_tbEUlT_E1_NS1_11comp_targetILNS1_3genE8ELNS1_11target_archE1030ELNS1_3gpuE2ELNS1_3repE0EEENS1_59segmented_radix_sort_warp_sort_small_config_static_selectorELNS0_4arch9wavefront6targetE0EEEvSH_
	.p2align	8
	.type	_ZN7rocprim17ROCPRIM_400000_NS6detail17trampoline_kernelINS0_14default_configENS1_36segmented_radix_sort_config_selectorIllEEZNS1_25segmented_radix_sort_implIS3_Lb1EPKlPlS8_S9_N2at6native12_GLOBAL__N_18offset_tEEE10hipError_tPvRmT1_PNSt15iterator_traitsISH_E10value_typeET2_T3_PNSI_ISN_E10value_typeET4_jRbjT5_ST_jjP12ihipStream_tbEUlT_E1_NS1_11comp_targetILNS1_3genE8ELNS1_11target_archE1030ELNS1_3gpuE2ELNS1_3repE0EEENS1_59segmented_radix_sort_warp_sort_small_config_static_selectorELNS0_4arch9wavefront6targetE0EEEvSH_,@function
_ZN7rocprim17ROCPRIM_400000_NS6detail17trampoline_kernelINS0_14default_configENS1_36segmented_radix_sort_config_selectorIllEEZNS1_25segmented_radix_sort_implIS3_Lb1EPKlPlS8_S9_N2at6native12_GLOBAL__N_18offset_tEEE10hipError_tPvRmT1_PNSt15iterator_traitsISH_E10value_typeET2_T3_PNSI_ISN_E10value_typeET4_jRbjT5_ST_jjP12ihipStream_tbEUlT_E1_NS1_11comp_targetILNS1_3genE8ELNS1_11target_archE1030ELNS1_3gpuE2ELNS1_3repE0EEENS1_59segmented_radix_sort_warp_sort_small_config_static_selectorELNS0_4arch9wavefront6targetE0EEEvSH_: ; @_ZN7rocprim17ROCPRIM_400000_NS6detail17trampoline_kernelINS0_14default_configENS1_36segmented_radix_sort_config_selectorIllEEZNS1_25segmented_radix_sort_implIS3_Lb1EPKlPlS8_S9_N2at6native12_GLOBAL__N_18offset_tEEE10hipError_tPvRmT1_PNSt15iterator_traitsISH_E10value_typeET2_T3_PNSI_ISN_E10value_typeET4_jRbjT5_ST_jjP12ihipStream_tbEUlT_E1_NS1_11comp_targetILNS1_3genE8ELNS1_11target_archE1030ELNS1_3gpuE2ELNS1_3repE0EEENS1_59segmented_radix_sort_warp_sort_small_config_static_selectorELNS0_4arch9wavefront6targetE0EEEvSH_
; %bb.0:
	.section	.rodata,"a",@progbits
	.p2align	6, 0x0
	.amdhsa_kernel _ZN7rocprim17ROCPRIM_400000_NS6detail17trampoline_kernelINS0_14default_configENS1_36segmented_radix_sort_config_selectorIllEEZNS1_25segmented_radix_sort_implIS3_Lb1EPKlPlS8_S9_N2at6native12_GLOBAL__N_18offset_tEEE10hipError_tPvRmT1_PNSt15iterator_traitsISH_E10value_typeET2_T3_PNSI_ISN_E10value_typeET4_jRbjT5_ST_jjP12ihipStream_tbEUlT_E1_NS1_11comp_targetILNS1_3genE8ELNS1_11target_archE1030ELNS1_3gpuE2ELNS1_3repE0EEENS1_59segmented_radix_sort_warp_sort_small_config_static_selectorELNS0_4arch9wavefront6targetE0EEEvSH_
		.amdhsa_group_segment_fixed_size 0
		.amdhsa_private_segment_fixed_size 0
		.amdhsa_kernarg_size 88
		.amdhsa_user_sgpr_count 15
		.amdhsa_user_sgpr_dispatch_ptr 0
		.amdhsa_user_sgpr_queue_ptr 0
		.amdhsa_user_sgpr_kernarg_segment_ptr 1
		.amdhsa_user_sgpr_dispatch_id 0
		.amdhsa_user_sgpr_private_segment_size 0
		.amdhsa_wavefront_size32 1
		.amdhsa_uses_dynamic_stack 0
		.amdhsa_enable_private_segment 0
		.amdhsa_system_sgpr_workgroup_id_x 1
		.amdhsa_system_sgpr_workgroup_id_y 0
		.amdhsa_system_sgpr_workgroup_id_z 0
		.amdhsa_system_sgpr_workgroup_info 0
		.amdhsa_system_vgpr_workitem_id 0
		.amdhsa_next_free_vgpr 1
		.amdhsa_next_free_sgpr 1
		.amdhsa_reserve_vcc 0
		.amdhsa_float_round_mode_32 0
		.amdhsa_float_round_mode_16_64 0
		.amdhsa_float_denorm_mode_32 3
		.amdhsa_float_denorm_mode_16_64 3
		.amdhsa_dx10_clamp 1
		.amdhsa_ieee_mode 1
		.amdhsa_fp16_overflow 0
		.amdhsa_workgroup_processor_mode 1
		.amdhsa_memory_ordered 1
		.amdhsa_forward_progress 0
		.amdhsa_shared_vgpr_count 0
		.amdhsa_exception_fp_ieee_invalid_op 0
		.amdhsa_exception_fp_denorm_src 0
		.amdhsa_exception_fp_ieee_div_zero 0
		.amdhsa_exception_fp_ieee_overflow 0
		.amdhsa_exception_fp_ieee_underflow 0
		.amdhsa_exception_fp_ieee_inexact 0
		.amdhsa_exception_int_div_zero 0
	.end_amdhsa_kernel
	.section	.text._ZN7rocprim17ROCPRIM_400000_NS6detail17trampoline_kernelINS0_14default_configENS1_36segmented_radix_sort_config_selectorIllEEZNS1_25segmented_radix_sort_implIS3_Lb1EPKlPlS8_S9_N2at6native12_GLOBAL__N_18offset_tEEE10hipError_tPvRmT1_PNSt15iterator_traitsISH_E10value_typeET2_T3_PNSI_ISN_E10value_typeET4_jRbjT5_ST_jjP12ihipStream_tbEUlT_E1_NS1_11comp_targetILNS1_3genE8ELNS1_11target_archE1030ELNS1_3gpuE2ELNS1_3repE0EEENS1_59segmented_radix_sort_warp_sort_small_config_static_selectorELNS0_4arch9wavefront6targetE0EEEvSH_,"axG",@progbits,_ZN7rocprim17ROCPRIM_400000_NS6detail17trampoline_kernelINS0_14default_configENS1_36segmented_radix_sort_config_selectorIllEEZNS1_25segmented_radix_sort_implIS3_Lb1EPKlPlS8_S9_N2at6native12_GLOBAL__N_18offset_tEEE10hipError_tPvRmT1_PNSt15iterator_traitsISH_E10value_typeET2_T3_PNSI_ISN_E10value_typeET4_jRbjT5_ST_jjP12ihipStream_tbEUlT_E1_NS1_11comp_targetILNS1_3genE8ELNS1_11target_archE1030ELNS1_3gpuE2ELNS1_3repE0EEENS1_59segmented_radix_sort_warp_sort_small_config_static_selectorELNS0_4arch9wavefront6targetE0EEEvSH_,comdat
.Lfunc_end733:
	.size	_ZN7rocprim17ROCPRIM_400000_NS6detail17trampoline_kernelINS0_14default_configENS1_36segmented_radix_sort_config_selectorIllEEZNS1_25segmented_radix_sort_implIS3_Lb1EPKlPlS8_S9_N2at6native12_GLOBAL__N_18offset_tEEE10hipError_tPvRmT1_PNSt15iterator_traitsISH_E10value_typeET2_T3_PNSI_ISN_E10value_typeET4_jRbjT5_ST_jjP12ihipStream_tbEUlT_E1_NS1_11comp_targetILNS1_3genE8ELNS1_11target_archE1030ELNS1_3gpuE2ELNS1_3repE0EEENS1_59segmented_radix_sort_warp_sort_small_config_static_selectorELNS0_4arch9wavefront6targetE0EEEvSH_, .Lfunc_end733-_ZN7rocprim17ROCPRIM_400000_NS6detail17trampoline_kernelINS0_14default_configENS1_36segmented_radix_sort_config_selectorIllEEZNS1_25segmented_radix_sort_implIS3_Lb1EPKlPlS8_S9_N2at6native12_GLOBAL__N_18offset_tEEE10hipError_tPvRmT1_PNSt15iterator_traitsISH_E10value_typeET2_T3_PNSI_ISN_E10value_typeET4_jRbjT5_ST_jjP12ihipStream_tbEUlT_E1_NS1_11comp_targetILNS1_3genE8ELNS1_11target_archE1030ELNS1_3gpuE2ELNS1_3repE0EEENS1_59segmented_radix_sort_warp_sort_small_config_static_selectorELNS0_4arch9wavefront6targetE0EEEvSH_
                                        ; -- End function
	.section	.AMDGPU.csdata,"",@progbits
; Kernel info:
; codeLenInByte = 0
; NumSgprs: 0
; NumVgprs: 0
; ScratchSize: 0
; MemoryBound: 0
; FloatMode: 240
; IeeeMode: 1
; LDSByteSize: 0 bytes/workgroup (compile time only)
; SGPRBlocks: 0
; VGPRBlocks: 0
; NumSGPRsForWavesPerEU: 1
; NumVGPRsForWavesPerEU: 1
; Occupancy: 16
; WaveLimiterHint : 0
; COMPUTE_PGM_RSRC2:SCRATCH_EN: 0
; COMPUTE_PGM_RSRC2:USER_SGPR: 15
; COMPUTE_PGM_RSRC2:TRAP_HANDLER: 0
; COMPUTE_PGM_RSRC2:TGID_X_EN: 1
; COMPUTE_PGM_RSRC2:TGID_Y_EN: 0
; COMPUTE_PGM_RSRC2:TGID_Z_EN: 0
; COMPUTE_PGM_RSRC2:TIDIG_COMP_CNT: 0
	.section	.text._ZN7rocprim17ROCPRIM_400000_NS6detail17trampoline_kernelINS0_14default_configENS1_36segmented_radix_sort_config_selectorIllEEZNS1_25segmented_radix_sort_implIS3_Lb1EPKlPlS8_S9_N2at6native12_GLOBAL__N_18offset_tEEE10hipError_tPvRmT1_PNSt15iterator_traitsISH_E10value_typeET2_T3_PNSI_ISN_E10value_typeET4_jRbjT5_ST_jjP12ihipStream_tbEUlT_E2_NS1_11comp_targetILNS1_3genE0ELNS1_11target_archE4294967295ELNS1_3gpuE0ELNS1_3repE0EEENS1_30default_config_static_selectorELNS0_4arch9wavefront6targetE0EEEvSH_,"axG",@progbits,_ZN7rocprim17ROCPRIM_400000_NS6detail17trampoline_kernelINS0_14default_configENS1_36segmented_radix_sort_config_selectorIllEEZNS1_25segmented_radix_sort_implIS3_Lb1EPKlPlS8_S9_N2at6native12_GLOBAL__N_18offset_tEEE10hipError_tPvRmT1_PNSt15iterator_traitsISH_E10value_typeET2_T3_PNSI_ISN_E10value_typeET4_jRbjT5_ST_jjP12ihipStream_tbEUlT_E2_NS1_11comp_targetILNS1_3genE0ELNS1_11target_archE4294967295ELNS1_3gpuE0ELNS1_3repE0EEENS1_30default_config_static_selectorELNS0_4arch9wavefront6targetE0EEEvSH_,comdat
	.globl	_ZN7rocprim17ROCPRIM_400000_NS6detail17trampoline_kernelINS0_14default_configENS1_36segmented_radix_sort_config_selectorIllEEZNS1_25segmented_radix_sort_implIS3_Lb1EPKlPlS8_S9_N2at6native12_GLOBAL__N_18offset_tEEE10hipError_tPvRmT1_PNSt15iterator_traitsISH_E10value_typeET2_T3_PNSI_ISN_E10value_typeET4_jRbjT5_ST_jjP12ihipStream_tbEUlT_E2_NS1_11comp_targetILNS1_3genE0ELNS1_11target_archE4294967295ELNS1_3gpuE0ELNS1_3repE0EEENS1_30default_config_static_selectorELNS0_4arch9wavefront6targetE0EEEvSH_ ; -- Begin function _ZN7rocprim17ROCPRIM_400000_NS6detail17trampoline_kernelINS0_14default_configENS1_36segmented_radix_sort_config_selectorIllEEZNS1_25segmented_radix_sort_implIS3_Lb1EPKlPlS8_S9_N2at6native12_GLOBAL__N_18offset_tEEE10hipError_tPvRmT1_PNSt15iterator_traitsISH_E10value_typeET2_T3_PNSI_ISN_E10value_typeET4_jRbjT5_ST_jjP12ihipStream_tbEUlT_E2_NS1_11comp_targetILNS1_3genE0ELNS1_11target_archE4294967295ELNS1_3gpuE0ELNS1_3repE0EEENS1_30default_config_static_selectorELNS0_4arch9wavefront6targetE0EEEvSH_
	.p2align	8
	.type	_ZN7rocprim17ROCPRIM_400000_NS6detail17trampoline_kernelINS0_14default_configENS1_36segmented_radix_sort_config_selectorIllEEZNS1_25segmented_radix_sort_implIS3_Lb1EPKlPlS8_S9_N2at6native12_GLOBAL__N_18offset_tEEE10hipError_tPvRmT1_PNSt15iterator_traitsISH_E10value_typeET2_T3_PNSI_ISN_E10value_typeET4_jRbjT5_ST_jjP12ihipStream_tbEUlT_E2_NS1_11comp_targetILNS1_3genE0ELNS1_11target_archE4294967295ELNS1_3gpuE0ELNS1_3repE0EEENS1_30default_config_static_selectorELNS0_4arch9wavefront6targetE0EEEvSH_,@function
_ZN7rocprim17ROCPRIM_400000_NS6detail17trampoline_kernelINS0_14default_configENS1_36segmented_radix_sort_config_selectorIllEEZNS1_25segmented_radix_sort_implIS3_Lb1EPKlPlS8_S9_N2at6native12_GLOBAL__N_18offset_tEEE10hipError_tPvRmT1_PNSt15iterator_traitsISH_E10value_typeET2_T3_PNSI_ISN_E10value_typeET4_jRbjT5_ST_jjP12ihipStream_tbEUlT_E2_NS1_11comp_targetILNS1_3genE0ELNS1_11target_archE4294967295ELNS1_3gpuE0ELNS1_3repE0EEENS1_30default_config_static_selectorELNS0_4arch9wavefront6targetE0EEEvSH_: ; @_ZN7rocprim17ROCPRIM_400000_NS6detail17trampoline_kernelINS0_14default_configENS1_36segmented_radix_sort_config_selectorIllEEZNS1_25segmented_radix_sort_implIS3_Lb1EPKlPlS8_S9_N2at6native12_GLOBAL__N_18offset_tEEE10hipError_tPvRmT1_PNSt15iterator_traitsISH_E10value_typeET2_T3_PNSI_ISN_E10value_typeET4_jRbjT5_ST_jjP12ihipStream_tbEUlT_E2_NS1_11comp_targetILNS1_3genE0ELNS1_11target_archE4294967295ELNS1_3gpuE0ELNS1_3repE0EEENS1_30default_config_static_selectorELNS0_4arch9wavefront6targetE0EEEvSH_
; %bb.0:
	.section	.rodata,"a",@progbits
	.p2align	6, 0x0
	.amdhsa_kernel _ZN7rocprim17ROCPRIM_400000_NS6detail17trampoline_kernelINS0_14default_configENS1_36segmented_radix_sort_config_selectorIllEEZNS1_25segmented_radix_sort_implIS3_Lb1EPKlPlS8_S9_N2at6native12_GLOBAL__N_18offset_tEEE10hipError_tPvRmT1_PNSt15iterator_traitsISH_E10value_typeET2_T3_PNSI_ISN_E10value_typeET4_jRbjT5_ST_jjP12ihipStream_tbEUlT_E2_NS1_11comp_targetILNS1_3genE0ELNS1_11target_archE4294967295ELNS1_3gpuE0ELNS1_3repE0EEENS1_30default_config_static_selectorELNS0_4arch9wavefront6targetE0EEEvSH_
		.amdhsa_group_segment_fixed_size 0
		.amdhsa_private_segment_fixed_size 0
		.amdhsa_kernarg_size 80
		.amdhsa_user_sgpr_count 15
		.amdhsa_user_sgpr_dispatch_ptr 0
		.amdhsa_user_sgpr_queue_ptr 0
		.amdhsa_user_sgpr_kernarg_segment_ptr 1
		.amdhsa_user_sgpr_dispatch_id 0
		.amdhsa_user_sgpr_private_segment_size 0
		.amdhsa_wavefront_size32 1
		.amdhsa_uses_dynamic_stack 0
		.amdhsa_enable_private_segment 0
		.amdhsa_system_sgpr_workgroup_id_x 1
		.amdhsa_system_sgpr_workgroup_id_y 0
		.amdhsa_system_sgpr_workgroup_id_z 0
		.amdhsa_system_sgpr_workgroup_info 0
		.amdhsa_system_vgpr_workitem_id 0
		.amdhsa_next_free_vgpr 1
		.amdhsa_next_free_sgpr 1
		.amdhsa_reserve_vcc 0
		.amdhsa_float_round_mode_32 0
		.amdhsa_float_round_mode_16_64 0
		.amdhsa_float_denorm_mode_32 3
		.amdhsa_float_denorm_mode_16_64 3
		.amdhsa_dx10_clamp 1
		.amdhsa_ieee_mode 1
		.amdhsa_fp16_overflow 0
		.amdhsa_workgroup_processor_mode 1
		.amdhsa_memory_ordered 1
		.amdhsa_forward_progress 0
		.amdhsa_shared_vgpr_count 0
		.amdhsa_exception_fp_ieee_invalid_op 0
		.amdhsa_exception_fp_denorm_src 0
		.amdhsa_exception_fp_ieee_div_zero 0
		.amdhsa_exception_fp_ieee_overflow 0
		.amdhsa_exception_fp_ieee_underflow 0
		.amdhsa_exception_fp_ieee_inexact 0
		.amdhsa_exception_int_div_zero 0
	.end_amdhsa_kernel
	.section	.text._ZN7rocprim17ROCPRIM_400000_NS6detail17trampoline_kernelINS0_14default_configENS1_36segmented_radix_sort_config_selectorIllEEZNS1_25segmented_radix_sort_implIS3_Lb1EPKlPlS8_S9_N2at6native12_GLOBAL__N_18offset_tEEE10hipError_tPvRmT1_PNSt15iterator_traitsISH_E10value_typeET2_T3_PNSI_ISN_E10value_typeET4_jRbjT5_ST_jjP12ihipStream_tbEUlT_E2_NS1_11comp_targetILNS1_3genE0ELNS1_11target_archE4294967295ELNS1_3gpuE0ELNS1_3repE0EEENS1_30default_config_static_selectorELNS0_4arch9wavefront6targetE0EEEvSH_,"axG",@progbits,_ZN7rocprim17ROCPRIM_400000_NS6detail17trampoline_kernelINS0_14default_configENS1_36segmented_radix_sort_config_selectorIllEEZNS1_25segmented_radix_sort_implIS3_Lb1EPKlPlS8_S9_N2at6native12_GLOBAL__N_18offset_tEEE10hipError_tPvRmT1_PNSt15iterator_traitsISH_E10value_typeET2_T3_PNSI_ISN_E10value_typeET4_jRbjT5_ST_jjP12ihipStream_tbEUlT_E2_NS1_11comp_targetILNS1_3genE0ELNS1_11target_archE4294967295ELNS1_3gpuE0ELNS1_3repE0EEENS1_30default_config_static_selectorELNS0_4arch9wavefront6targetE0EEEvSH_,comdat
.Lfunc_end734:
	.size	_ZN7rocprim17ROCPRIM_400000_NS6detail17trampoline_kernelINS0_14default_configENS1_36segmented_radix_sort_config_selectorIllEEZNS1_25segmented_radix_sort_implIS3_Lb1EPKlPlS8_S9_N2at6native12_GLOBAL__N_18offset_tEEE10hipError_tPvRmT1_PNSt15iterator_traitsISH_E10value_typeET2_T3_PNSI_ISN_E10value_typeET4_jRbjT5_ST_jjP12ihipStream_tbEUlT_E2_NS1_11comp_targetILNS1_3genE0ELNS1_11target_archE4294967295ELNS1_3gpuE0ELNS1_3repE0EEENS1_30default_config_static_selectorELNS0_4arch9wavefront6targetE0EEEvSH_, .Lfunc_end734-_ZN7rocprim17ROCPRIM_400000_NS6detail17trampoline_kernelINS0_14default_configENS1_36segmented_radix_sort_config_selectorIllEEZNS1_25segmented_radix_sort_implIS3_Lb1EPKlPlS8_S9_N2at6native12_GLOBAL__N_18offset_tEEE10hipError_tPvRmT1_PNSt15iterator_traitsISH_E10value_typeET2_T3_PNSI_ISN_E10value_typeET4_jRbjT5_ST_jjP12ihipStream_tbEUlT_E2_NS1_11comp_targetILNS1_3genE0ELNS1_11target_archE4294967295ELNS1_3gpuE0ELNS1_3repE0EEENS1_30default_config_static_selectorELNS0_4arch9wavefront6targetE0EEEvSH_
                                        ; -- End function
	.section	.AMDGPU.csdata,"",@progbits
; Kernel info:
; codeLenInByte = 0
; NumSgprs: 0
; NumVgprs: 0
; ScratchSize: 0
; MemoryBound: 0
; FloatMode: 240
; IeeeMode: 1
; LDSByteSize: 0 bytes/workgroup (compile time only)
; SGPRBlocks: 0
; VGPRBlocks: 0
; NumSGPRsForWavesPerEU: 1
; NumVGPRsForWavesPerEU: 1
; Occupancy: 16
; WaveLimiterHint : 0
; COMPUTE_PGM_RSRC2:SCRATCH_EN: 0
; COMPUTE_PGM_RSRC2:USER_SGPR: 15
; COMPUTE_PGM_RSRC2:TRAP_HANDLER: 0
; COMPUTE_PGM_RSRC2:TGID_X_EN: 1
; COMPUTE_PGM_RSRC2:TGID_Y_EN: 0
; COMPUTE_PGM_RSRC2:TGID_Z_EN: 0
; COMPUTE_PGM_RSRC2:TIDIG_COMP_CNT: 0
	.section	.text._ZN7rocprim17ROCPRIM_400000_NS6detail17trampoline_kernelINS0_14default_configENS1_36segmented_radix_sort_config_selectorIllEEZNS1_25segmented_radix_sort_implIS3_Lb1EPKlPlS8_S9_N2at6native12_GLOBAL__N_18offset_tEEE10hipError_tPvRmT1_PNSt15iterator_traitsISH_E10value_typeET2_T3_PNSI_ISN_E10value_typeET4_jRbjT5_ST_jjP12ihipStream_tbEUlT_E2_NS1_11comp_targetILNS1_3genE5ELNS1_11target_archE942ELNS1_3gpuE9ELNS1_3repE0EEENS1_30default_config_static_selectorELNS0_4arch9wavefront6targetE0EEEvSH_,"axG",@progbits,_ZN7rocprim17ROCPRIM_400000_NS6detail17trampoline_kernelINS0_14default_configENS1_36segmented_radix_sort_config_selectorIllEEZNS1_25segmented_radix_sort_implIS3_Lb1EPKlPlS8_S9_N2at6native12_GLOBAL__N_18offset_tEEE10hipError_tPvRmT1_PNSt15iterator_traitsISH_E10value_typeET2_T3_PNSI_ISN_E10value_typeET4_jRbjT5_ST_jjP12ihipStream_tbEUlT_E2_NS1_11comp_targetILNS1_3genE5ELNS1_11target_archE942ELNS1_3gpuE9ELNS1_3repE0EEENS1_30default_config_static_selectorELNS0_4arch9wavefront6targetE0EEEvSH_,comdat
	.globl	_ZN7rocprim17ROCPRIM_400000_NS6detail17trampoline_kernelINS0_14default_configENS1_36segmented_radix_sort_config_selectorIllEEZNS1_25segmented_radix_sort_implIS3_Lb1EPKlPlS8_S9_N2at6native12_GLOBAL__N_18offset_tEEE10hipError_tPvRmT1_PNSt15iterator_traitsISH_E10value_typeET2_T3_PNSI_ISN_E10value_typeET4_jRbjT5_ST_jjP12ihipStream_tbEUlT_E2_NS1_11comp_targetILNS1_3genE5ELNS1_11target_archE942ELNS1_3gpuE9ELNS1_3repE0EEENS1_30default_config_static_selectorELNS0_4arch9wavefront6targetE0EEEvSH_ ; -- Begin function _ZN7rocprim17ROCPRIM_400000_NS6detail17trampoline_kernelINS0_14default_configENS1_36segmented_radix_sort_config_selectorIllEEZNS1_25segmented_radix_sort_implIS3_Lb1EPKlPlS8_S9_N2at6native12_GLOBAL__N_18offset_tEEE10hipError_tPvRmT1_PNSt15iterator_traitsISH_E10value_typeET2_T3_PNSI_ISN_E10value_typeET4_jRbjT5_ST_jjP12ihipStream_tbEUlT_E2_NS1_11comp_targetILNS1_3genE5ELNS1_11target_archE942ELNS1_3gpuE9ELNS1_3repE0EEENS1_30default_config_static_selectorELNS0_4arch9wavefront6targetE0EEEvSH_
	.p2align	8
	.type	_ZN7rocprim17ROCPRIM_400000_NS6detail17trampoline_kernelINS0_14default_configENS1_36segmented_radix_sort_config_selectorIllEEZNS1_25segmented_radix_sort_implIS3_Lb1EPKlPlS8_S9_N2at6native12_GLOBAL__N_18offset_tEEE10hipError_tPvRmT1_PNSt15iterator_traitsISH_E10value_typeET2_T3_PNSI_ISN_E10value_typeET4_jRbjT5_ST_jjP12ihipStream_tbEUlT_E2_NS1_11comp_targetILNS1_3genE5ELNS1_11target_archE942ELNS1_3gpuE9ELNS1_3repE0EEENS1_30default_config_static_selectorELNS0_4arch9wavefront6targetE0EEEvSH_,@function
_ZN7rocprim17ROCPRIM_400000_NS6detail17trampoline_kernelINS0_14default_configENS1_36segmented_radix_sort_config_selectorIllEEZNS1_25segmented_radix_sort_implIS3_Lb1EPKlPlS8_S9_N2at6native12_GLOBAL__N_18offset_tEEE10hipError_tPvRmT1_PNSt15iterator_traitsISH_E10value_typeET2_T3_PNSI_ISN_E10value_typeET4_jRbjT5_ST_jjP12ihipStream_tbEUlT_E2_NS1_11comp_targetILNS1_3genE5ELNS1_11target_archE942ELNS1_3gpuE9ELNS1_3repE0EEENS1_30default_config_static_selectorELNS0_4arch9wavefront6targetE0EEEvSH_: ; @_ZN7rocprim17ROCPRIM_400000_NS6detail17trampoline_kernelINS0_14default_configENS1_36segmented_radix_sort_config_selectorIllEEZNS1_25segmented_radix_sort_implIS3_Lb1EPKlPlS8_S9_N2at6native12_GLOBAL__N_18offset_tEEE10hipError_tPvRmT1_PNSt15iterator_traitsISH_E10value_typeET2_T3_PNSI_ISN_E10value_typeET4_jRbjT5_ST_jjP12ihipStream_tbEUlT_E2_NS1_11comp_targetILNS1_3genE5ELNS1_11target_archE942ELNS1_3gpuE9ELNS1_3repE0EEENS1_30default_config_static_selectorELNS0_4arch9wavefront6targetE0EEEvSH_
; %bb.0:
	.section	.rodata,"a",@progbits
	.p2align	6, 0x0
	.amdhsa_kernel _ZN7rocprim17ROCPRIM_400000_NS6detail17trampoline_kernelINS0_14default_configENS1_36segmented_radix_sort_config_selectorIllEEZNS1_25segmented_radix_sort_implIS3_Lb1EPKlPlS8_S9_N2at6native12_GLOBAL__N_18offset_tEEE10hipError_tPvRmT1_PNSt15iterator_traitsISH_E10value_typeET2_T3_PNSI_ISN_E10value_typeET4_jRbjT5_ST_jjP12ihipStream_tbEUlT_E2_NS1_11comp_targetILNS1_3genE5ELNS1_11target_archE942ELNS1_3gpuE9ELNS1_3repE0EEENS1_30default_config_static_selectorELNS0_4arch9wavefront6targetE0EEEvSH_
		.amdhsa_group_segment_fixed_size 0
		.amdhsa_private_segment_fixed_size 0
		.amdhsa_kernarg_size 80
		.amdhsa_user_sgpr_count 15
		.amdhsa_user_sgpr_dispatch_ptr 0
		.amdhsa_user_sgpr_queue_ptr 0
		.amdhsa_user_sgpr_kernarg_segment_ptr 1
		.amdhsa_user_sgpr_dispatch_id 0
		.amdhsa_user_sgpr_private_segment_size 0
		.amdhsa_wavefront_size32 1
		.amdhsa_uses_dynamic_stack 0
		.amdhsa_enable_private_segment 0
		.amdhsa_system_sgpr_workgroup_id_x 1
		.amdhsa_system_sgpr_workgroup_id_y 0
		.amdhsa_system_sgpr_workgroup_id_z 0
		.amdhsa_system_sgpr_workgroup_info 0
		.amdhsa_system_vgpr_workitem_id 0
		.amdhsa_next_free_vgpr 1
		.amdhsa_next_free_sgpr 1
		.amdhsa_reserve_vcc 0
		.amdhsa_float_round_mode_32 0
		.amdhsa_float_round_mode_16_64 0
		.amdhsa_float_denorm_mode_32 3
		.amdhsa_float_denorm_mode_16_64 3
		.amdhsa_dx10_clamp 1
		.amdhsa_ieee_mode 1
		.amdhsa_fp16_overflow 0
		.amdhsa_workgroup_processor_mode 1
		.amdhsa_memory_ordered 1
		.amdhsa_forward_progress 0
		.amdhsa_shared_vgpr_count 0
		.amdhsa_exception_fp_ieee_invalid_op 0
		.amdhsa_exception_fp_denorm_src 0
		.amdhsa_exception_fp_ieee_div_zero 0
		.amdhsa_exception_fp_ieee_overflow 0
		.amdhsa_exception_fp_ieee_underflow 0
		.amdhsa_exception_fp_ieee_inexact 0
		.amdhsa_exception_int_div_zero 0
	.end_amdhsa_kernel
	.section	.text._ZN7rocprim17ROCPRIM_400000_NS6detail17trampoline_kernelINS0_14default_configENS1_36segmented_radix_sort_config_selectorIllEEZNS1_25segmented_radix_sort_implIS3_Lb1EPKlPlS8_S9_N2at6native12_GLOBAL__N_18offset_tEEE10hipError_tPvRmT1_PNSt15iterator_traitsISH_E10value_typeET2_T3_PNSI_ISN_E10value_typeET4_jRbjT5_ST_jjP12ihipStream_tbEUlT_E2_NS1_11comp_targetILNS1_3genE5ELNS1_11target_archE942ELNS1_3gpuE9ELNS1_3repE0EEENS1_30default_config_static_selectorELNS0_4arch9wavefront6targetE0EEEvSH_,"axG",@progbits,_ZN7rocprim17ROCPRIM_400000_NS6detail17trampoline_kernelINS0_14default_configENS1_36segmented_radix_sort_config_selectorIllEEZNS1_25segmented_radix_sort_implIS3_Lb1EPKlPlS8_S9_N2at6native12_GLOBAL__N_18offset_tEEE10hipError_tPvRmT1_PNSt15iterator_traitsISH_E10value_typeET2_T3_PNSI_ISN_E10value_typeET4_jRbjT5_ST_jjP12ihipStream_tbEUlT_E2_NS1_11comp_targetILNS1_3genE5ELNS1_11target_archE942ELNS1_3gpuE9ELNS1_3repE0EEENS1_30default_config_static_selectorELNS0_4arch9wavefront6targetE0EEEvSH_,comdat
.Lfunc_end735:
	.size	_ZN7rocprim17ROCPRIM_400000_NS6detail17trampoline_kernelINS0_14default_configENS1_36segmented_radix_sort_config_selectorIllEEZNS1_25segmented_radix_sort_implIS3_Lb1EPKlPlS8_S9_N2at6native12_GLOBAL__N_18offset_tEEE10hipError_tPvRmT1_PNSt15iterator_traitsISH_E10value_typeET2_T3_PNSI_ISN_E10value_typeET4_jRbjT5_ST_jjP12ihipStream_tbEUlT_E2_NS1_11comp_targetILNS1_3genE5ELNS1_11target_archE942ELNS1_3gpuE9ELNS1_3repE0EEENS1_30default_config_static_selectorELNS0_4arch9wavefront6targetE0EEEvSH_, .Lfunc_end735-_ZN7rocprim17ROCPRIM_400000_NS6detail17trampoline_kernelINS0_14default_configENS1_36segmented_radix_sort_config_selectorIllEEZNS1_25segmented_radix_sort_implIS3_Lb1EPKlPlS8_S9_N2at6native12_GLOBAL__N_18offset_tEEE10hipError_tPvRmT1_PNSt15iterator_traitsISH_E10value_typeET2_T3_PNSI_ISN_E10value_typeET4_jRbjT5_ST_jjP12ihipStream_tbEUlT_E2_NS1_11comp_targetILNS1_3genE5ELNS1_11target_archE942ELNS1_3gpuE9ELNS1_3repE0EEENS1_30default_config_static_selectorELNS0_4arch9wavefront6targetE0EEEvSH_
                                        ; -- End function
	.section	.AMDGPU.csdata,"",@progbits
; Kernel info:
; codeLenInByte = 0
; NumSgprs: 0
; NumVgprs: 0
; ScratchSize: 0
; MemoryBound: 0
; FloatMode: 240
; IeeeMode: 1
; LDSByteSize: 0 bytes/workgroup (compile time only)
; SGPRBlocks: 0
; VGPRBlocks: 0
; NumSGPRsForWavesPerEU: 1
; NumVGPRsForWavesPerEU: 1
; Occupancy: 16
; WaveLimiterHint : 0
; COMPUTE_PGM_RSRC2:SCRATCH_EN: 0
; COMPUTE_PGM_RSRC2:USER_SGPR: 15
; COMPUTE_PGM_RSRC2:TRAP_HANDLER: 0
; COMPUTE_PGM_RSRC2:TGID_X_EN: 1
; COMPUTE_PGM_RSRC2:TGID_Y_EN: 0
; COMPUTE_PGM_RSRC2:TGID_Z_EN: 0
; COMPUTE_PGM_RSRC2:TIDIG_COMP_CNT: 0
	.section	.text._ZN7rocprim17ROCPRIM_400000_NS6detail17trampoline_kernelINS0_14default_configENS1_36segmented_radix_sort_config_selectorIllEEZNS1_25segmented_radix_sort_implIS3_Lb1EPKlPlS8_S9_N2at6native12_GLOBAL__N_18offset_tEEE10hipError_tPvRmT1_PNSt15iterator_traitsISH_E10value_typeET2_T3_PNSI_ISN_E10value_typeET4_jRbjT5_ST_jjP12ihipStream_tbEUlT_E2_NS1_11comp_targetILNS1_3genE4ELNS1_11target_archE910ELNS1_3gpuE8ELNS1_3repE0EEENS1_30default_config_static_selectorELNS0_4arch9wavefront6targetE0EEEvSH_,"axG",@progbits,_ZN7rocprim17ROCPRIM_400000_NS6detail17trampoline_kernelINS0_14default_configENS1_36segmented_radix_sort_config_selectorIllEEZNS1_25segmented_radix_sort_implIS3_Lb1EPKlPlS8_S9_N2at6native12_GLOBAL__N_18offset_tEEE10hipError_tPvRmT1_PNSt15iterator_traitsISH_E10value_typeET2_T3_PNSI_ISN_E10value_typeET4_jRbjT5_ST_jjP12ihipStream_tbEUlT_E2_NS1_11comp_targetILNS1_3genE4ELNS1_11target_archE910ELNS1_3gpuE8ELNS1_3repE0EEENS1_30default_config_static_selectorELNS0_4arch9wavefront6targetE0EEEvSH_,comdat
	.globl	_ZN7rocprim17ROCPRIM_400000_NS6detail17trampoline_kernelINS0_14default_configENS1_36segmented_radix_sort_config_selectorIllEEZNS1_25segmented_radix_sort_implIS3_Lb1EPKlPlS8_S9_N2at6native12_GLOBAL__N_18offset_tEEE10hipError_tPvRmT1_PNSt15iterator_traitsISH_E10value_typeET2_T3_PNSI_ISN_E10value_typeET4_jRbjT5_ST_jjP12ihipStream_tbEUlT_E2_NS1_11comp_targetILNS1_3genE4ELNS1_11target_archE910ELNS1_3gpuE8ELNS1_3repE0EEENS1_30default_config_static_selectorELNS0_4arch9wavefront6targetE0EEEvSH_ ; -- Begin function _ZN7rocprim17ROCPRIM_400000_NS6detail17trampoline_kernelINS0_14default_configENS1_36segmented_radix_sort_config_selectorIllEEZNS1_25segmented_radix_sort_implIS3_Lb1EPKlPlS8_S9_N2at6native12_GLOBAL__N_18offset_tEEE10hipError_tPvRmT1_PNSt15iterator_traitsISH_E10value_typeET2_T3_PNSI_ISN_E10value_typeET4_jRbjT5_ST_jjP12ihipStream_tbEUlT_E2_NS1_11comp_targetILNS1_3genE4ELNS1_11target_archE910ELNS1_3gpuE8ELNS1_3repE0EEENS1_30default_config_static_selectorELNS0_4arch9wavefront6targetE0EEEvSH_
	.p2align	8
	.type	_ZN7rocprim17ROCPRIM_400000_NS6detail17trampoline_kernelINS0_14default_configENS1_36segmented_radix_sort_config_selectorIllEEZNS1_25segmented_radix_sort_implIS3_Lb1EPKlPlS8_S9_N2at6native12_GLOBAL__N_18offset_tEEE10hipError_tPvRmT1_PNSt15iterator_traitsISH_E10value_typeET2_T3_PNSI_ISN_E10value_typeET4_jRbjT5_ST_jjP12ihipStream_tbEUlT_E2_NS1_11comp_targetILNS1_3genE4ELNS1_11target_archE910ELNS1_3gpuE8ELNS1_3repE0EEENS1_30default_config_static_selectorELNS0_4arch9wavefront6targetE0EEEvSH_,@function
_ZN7rocprim17ROCPRIM_400000_NS6detail17trampoline_kernelINS0_14default_configENS1_36segmented_radix_sort_config_selectorIllEEZNS1_25segmented_radix_sort_implIS3_Lb1EPKlPlS8_S9_N2at6native12_GLOBAL__N_18offset_tEEE10hipError_tPvRmT1_PNSt15iterator_traitsISH_E10value_typeET2_T3_PNSI_ISN_E10value_typeET4_jRbjT5_ST_jjP12ihipStream_tbEUlT_E2_NS1_11comp_targetILNS1_3genE4ELNS1_11target_archE910ELNS1_3gpuE8ELNS1_3repE0EEENS1_30default_config_static_selectorELNS0_4arch9wavefront6targetE0EEEvSH_: ; @_ZN7rocprim17ROCPRIM_400000_NS6detail17trampoline_kernelINS0_14default_configENS1_36segmented_radix_sort_config_selectorIllEEZNS1_25segmented_radix_sort_implIS3_Lb1EPKlPlS8_S9_N2at6native12_GLOBAL__N_18offset_tEEE10hipError_tPvRmT1_PNSt15iterator_traitsISH_E10value_typeET2_T3_PNSI_ISN_E10value_typeET4_jRbjT5_ST_jjP12ihipStream_tbEUlT_E2_NS1_11comp_targetILNS1_3genE4ELNS1_11target_archE910ELNS1_3gpuE8ELNS1_3repE0EEENS1_30default_config_static_selectorELNS0_4arch9wavefront6targetE0EEEvSH_
; %bb.0:
	.section	.rodata,"a",@progbits
	.p2align	6, 0x0
	.amdhsa_kernel _ZN7rocprim17ROCPRIM_400000_NS6detail17trampoline_kernelINS0_14default_configENS1_36segmented_radix_sort_config_selectorIllEEZNS1_25segmented_radix_sort_implIS3_Lb1EPKlPlS8_S9_N2at6native12_GLOBAL__N_18offset_tEEE10hipError_tPvRmT1_PNSt15iterator_traitsISH_E10value_typeET2_T3_PNSI_ISN_E10value_typeET4_jRbjT5_ST_jjP12ihipStream_tbEUlT_E2_NS1_11comp_targetILNS1_3genE4ELNS1_11target_archE910ELNS1_3gpuE8ELNS1_3repE0EEENS1_30default_config_static_selectorELNS0_4arch9wavefront6targetE0EEEvSH_
		.amdhsa_group_segment_fixed_size 0
		.amdhsa_private_segment_fixed_size 0
		.amdhsa_kernarg_size 80
		.amdhsa_user_sgpr_count 15
		.amdhsa_user_sgpr_dispatch_ptr 0
		.amdhsa_user_sgpr_queue_ptr 0
		.amdhsa_user_sgpr_kernarg_segment_ptr 1
		.amdhsa_user_sgpr_dispatch_id 0
		.amdhsa_user_sgpr_private_segment_size 0
		.amdhsa_wavefront_size32 1
		.amdhsa_uses_dynamic_stack 0
		.amdhsa_enable_private_segment 0
		.amdhsa_system_sgpr_workgroup_id_x 1
		.amdhsa_system_sgpr_workgroup_id_y 0
		.amdhsa_system_sgpr_workgroup_id_z 0
		.amdhsa_system_sgpr_workgroup_info 0
		.amdhsa_system_vgpr_workitem_id 0
		.amdhsa_next_free_vgpr 1
		.amdhsa_next_free_sgpr 1
		.amdhsa_reserve_vcc 0
		.amdhsa_float_round_mode_32 0
		.amdhsa_float_round_mode_16_64 0
		.amdhsa_float_denorm_mode_32 3
		.amdhsa_float_denorm_mode_16_64 3
		.amdhsa_dx10_clamp 1
		.amdhsa_ieee_mode 1
		.amdhsa_fp16_overflow 0
		.amdhsa_workgroup_processor_mode 1
		.amdhsa_memory_ordered 1
		.amdhsa_forward_progress 0
		.amdhsa_shared_vgpr_count 0
		.amdhsa_exception_fp_ieee_invalid_op 0
		.amdhsa_exception_fp_denorm_src 0
		.amdhsa_exception_fp_ieee_div_zero 0
		.amdhsa_exception_fp_ieee_overflow 0
		.amdhsa_exception_fp_ieee_underflow 0
		.amdhsa_exception_fp_ieee_inexact 0
		.amdhsa_exception_int_div_zero 0
	.end_amdhsa_kernel
	.section	.text._ZN7rocprim17ROCPRIM_400000_NS6detail17trampoline_kernelINS0_14default_configENS1_36segmented_radix_sort_config_selectorIllEEZNS1_25segmented_radix_sort_implIS3_Lb1EPKlPlS8_S9_N2at6native12_GLOBAL__N_18offset_tEEE10hipError_tPvRmT1_PNSt15iterator_traitsISH_E10value_typeET2_T3_PNSI_ISN_E10value_typeET4_jRbjT5_ST_jjP12ihipStream_tbEUlT_E2_NS1_11comp_targetILNS1_3genE4ELNS1_11target_archE910ELNS1_3gpuE8ELNS1_3repE0EEENS1_30default_config_static_selectorELNS0_4arch9wavefront6targetE0EEEvSH_,"axG",@progbits,_ZN7rocprim17ROCPRIM_400000_NS6detail17trampoline_kernelINS0_14default_configENS1_36segmented_radix_sort_config_selectorIllEEZNS1_25segmented_radix_sort_implIS3_Lb1EPKlPlS8_S9_N2at6native12_GLOBAL__N_18offset_tEEE10hipError_tPvRmT1_PNSt15iterator_traitsISH_E10value_typeET2_T3_PNSI_ISN_E10value_typeET4_jRbjT5_ST_jjP12ihipStream_tbEUlT_E2_NS1_11comp_targetILNS1_3genE4ELNS1_11target_archE910ELNS1_3gpuE8ELNS1_3repE0EEENS1_30default_config_static_selectorELNS0_4arch9wavefront6targetE0EEEvSH_,comdat
.Lfunc_end736:
	.size	_ZN7rocprim17ROCPRIM_400000_NS6detail17trampoline_kernelINS0_14default_configENS1_36segmented_radix_sort_config_selectorIllEEZNS1_25segmented_radix_sort_implIS3_Lb1EPKlPlS8_S9_N2at6native12_GLOBAL__N_18offset_tEEE10hipError_tPvRmT1_PNSt15iterator_traitsISH_E10value_typeET2_T3_PNSI_ISN_E10value_typeET4_jRbjT5_ST_jjP12ihipStream_tbEUlT_E2_NS1_11comp_targetILNS1_3genE4ELNS1_11target_archE910ELNS1_3gpuE8ELNS1_3repE0EEENS1_30default_config_static_selectorELNS0_4arch9wavefront6targetE0EEEvSH_, .Lfunc_end736-_ZN7rocprim17ROCPRIM_400000_NS6detail17trampoline_kernelINS0_14default_configENS1_36segmented_radix_sort_config_selectorIllEEZNS1_25segmented_radix_sort_implIS3_Lb1EPKlPlS8_S9_N2at6native12_GLOBAL__N_18offset_tEEE10hipError_tPvRmT1_PNSt15iterator_traitsISH_E10value_typeET2_T3_PNSI_ISN_E10value_typeET4_jRbjT5_ST_jjP12ihipStream_tbEUlT_E2_NS1_11comp_targetILNS1_3genE4ELNS1_11target_archE910ELNS1_3gpuE8ELNS1_3repE0EEENS1_30default_config_static_selectorELNS0_4arch9wavefront6targetE0EEEvSH_
                                        ; -- End function
	.section	.AMDGPU.csdata,"",@progbits
; Kernel info:
; codeLenInByte = 0
; NumSgprs: 0
; NumVgprs: 0
; ScratchSize: 0
; MemoryBound: 0
; FloatMode: 240
; IeeeMode: 1
; LDSByteSize: 0 bytes/workgroup (compile time only)
; SGPRBlocks: 0
; VGPRBlocks: 0
; NumSGPRsForWavesPerEU: 1
; NumVGPRsForWavesPerEU: 1
; Occupancy: 16
; WaveLimiterHint : 0
; COMPUTE_PGM_RSRC2:SCRATCH_EN: 0
; COMPUTE_PGM_RSRC2:USER_SGPR: 15
; COMPUTE_PGM_RSRC2:TRAP_HANDLER: 0
; COMPUTE_PGM_RSRC2:TGID_X_EN: 1
; COMPUTE_PGM_RSRC2:TGID_Y_EN: 0
; COMPUTE_PGM_RSRC2:TGID_Z_EN: 0
; COMPUTE_PGM_RSRC2:TIDIG_COMP_CNT: 0
	.section	.text._ZN7rocprim17ROCPRIM_400000_NS6detail17trampoline_kernelINS0_14default_configENS1_36segmented_radix_sort_config_selectorIllEEZNS1_25segmented_radix_sort_implIS3_Lb1EPKlPlS8_S9_N2at6native12_GLOBAL__N_18offset_tEEE10hipError_tPvRmT1_PNSt15iterator_traitsISH_E10value_typeET2_T3_PNSI_ISN_E10value_typeET4_jRbjT5_ST_jjP12ihipStream_tbEUlT_E2_NS1_11comp_targetILNS1_3genE3ELNS1_11target_archE908ELNS1_3gpuE7ELNS1_3repE0EEENS1_30default_config_static_selectorELNS0_4arch9wavefront6targetE0EEEvSH_,"axG",@progbits,_ZN7rocprim17ROCPRIM_400000_NS6detail17trampoline_kernelINS0_14default_configENS1_36segmented_radix_sort_config_selectorIllEEZNS1_25segmented_radix_sort_implIS3_Lb1EPKlPlS8_S9_N2at6native12_GLOBAL__N_18offset_tEEE10hipError_tPvRmT1_PNSt15iterator_traitsISH_E10value_typeET2_T3_PNSI_ISN_E10value_typeET4_jRbjT5_ST_jjP12ihipStream_tbEUlT_E2_NS1_11comp_targetILNS1_3genE3ELNS1_11target_archE908ELNS1_3gpuE7ELNS1_3repE0EEENS1_30default_config_static_selectorELNS0_4arch9wavefront6targetE0EEEvSH_,comdat
	.globl	_ZN7rocprim17ROCPRIM_400000_NS6detail17trampoline_kernelINS0_14default_configENS1_36segmented_radix_sort_config_selectorIllEEZNS1_25segmented_radix_sort_implIS3_Lb1EPKlPlS8_S9_N2at6native12_GLOBAL__N_18offset_tEEE10hipError_tPvRmT1_PNSt15iterator_traitsISH_E10value_typeET2_T3_PNSI_ISN_E10value_typeET4_jRbjT5_ST_jjP12ihipStream_tbEUlT_E2_NS1_11comp_targetILNS1_3genE3ELNS1_11target_archE908ELNS1_3gpuE7ELNS1_3repE0EEENS1_30default_config_static_selectorELNS0_4arch9wavefront6targetE0EEEvSH_ ; -- Begin function _ZN7rocprim17ROCPRIM_400000_NS6detail17trampoline_kernelINS0_14default_configENS1_36segmented_radix_sort_config_selectorIllEEZNS1_25segmented_radix_sort_implIS3_Lb1EPKlPlS8_S9_N2at6native12_GLOBAL__N_18offset_tEEE10hipError_tPvRmT1_PNSt15iterator_traitsISH_E10value_typeET2_T3_PNSI_ISN_E10value_typeET4_jRbjT5_ST_jjP12ihipStream_tbEUlT_E2_NS1_11comp_targetILNS1_3genE3ELNS1_11target_archE908ELNS1_3gpuE7ELNS1_3repE0EEENS1_30default_config_static_selectorELNS0_4arch9wavefront6targetE0EEEvSH_
	.p2align	8
	.type	_ZN7rocprim17ROCPRIM_400000_NS6detail17trampoline_kernelINS0_14default_configENS1_36segmented_radix_sort_config_selectorIllEEZNS1_25segmented_radix_sort_implIS3_Lb1EPKlPlS8_S9_N2at6native12_GLOBAL__N_18offset_tEEE10hipError_tPvRmT1_PNSt15iterator_traitsISH_E10value_typeET2_T3_PNSI_ISN_E10value_typeET4_jRbjT5_ST_jjP12ihipStream_tbEUlT_E2_NS1_11comp_targetILNS1_3genE3ELNS1_11target_archE908ELNS1_3gpuE7ELNS1_3repE0EEENS1_30default_config_static_selectorELNS0_4arch9wavefront6targetE0EEEvSH_,@function
_ZN7rocprim17ROCPRIM_400000_NS6detail17trampoline_kernelINS0_14default_configENS1_36segmented_radix_sort_config_selectorIllEEZNS1_25segmented_radix_sort_implIS3_Lb1EPKlPlS8_S9_N2at6native12_GLOBAL__N_18offset_tEEE10hipError_tPvRmT1_PNSt15iterator_traitsISH_E10value_typeET2_T3_PNSI_ISN_E10value_typeET4_jRbjT5_ST_jjP12ihipStream_tbEUlT_E2_NS1_11comp_targetILNS1_3genE3ELNS1_11target_archE908ELNS1_3gpuE7ELNS1_3repE0EEENS1_30default_config_static_selectorELNS0_4arch9wavefront6targetE0EEEvSH_: ; @_ZN7rocprim17ROCPRIM_400000_NS6detail17trampoline_kernelINS0_14default_configENS1_36segmented_radix_sort_config_selectorIllEEZNS1_25segmented_radix_sort_implIS3_Lb1EPKlPlS8_S9_N2at6native12_GLOBAL__N_18offset_tEEE10hipError_tPvRmT1_PNSt15iterator_traitsISH_E10value_typeET2_T3_PNSI_ISN_E10value_typeET4_jRbjT5_ST_jjP12ihipStream_tbEUlT_E2_NS1_11comp_targetILNS1_3genE3ELNS1_11target_archE908ELNS1_3gpuE7ELNS1_3repE0EEENS1_30default_config_static_selectorELNS0_4arch9wavefront6targetE0EEEvSH_
; %bb.0:
	.section	.rodata,"a",@progbits
	.p2align	6, 0x0
	.amdhsa_kernel _ZN7rocprim17ROCPRIM_400000_NS6detail17trampoline_kernelINS0_14default_configENS1_36segmented_radix_sort_config_selectorIllEEZNS1_25segmented_radix_sort_implIS3_Lb1EPKlPlS8_S9_N2at6native12_GLOBAL__N_18offset_tEEE10hipError_tPvRmT1_PNSt15iterator_traitsISH_E10value_typeET2_T3_PNSI_ISN_E10value_typeET4_jRbjT5_ST_jjP12ihipStream_tbEUlT_E2_NS1_11comp_targetILNS1_3genE3ELNS1_11target_archE908ELNS1_3gpuE7ELNS1_3repE0EEENS1_30default_config_static_selectorELNS0_4arch9wavefront6targetE0EEEvSH_
		.amdhsa_group_segment_fixed_size 0
		.amdhsa_private_segment_fixed_size 0
		.amdhsa_kernarg_size 80
		.amdhsa_user_sgpr_count 15
		.amdhsa_user_sgpr_dispatch_ptr 0
		.amdhsa_user_sgpr_queue_ptr 0
		.amdhsa_user_sgpr_kernarg_segment_ptr 1
		.amdhsa_user_sgpr_dispatch_id 0
		.amdhsa_user_sgpr_private_segment_size 0
		.amdhsa_wavefront_size32 1
		.amdhsa_uses_dynamic_stack 0
		.amdhsa_enable_private_segment 0
		.amdhsa_system_sgpr_workgroup_id_x 1
		.amdhsa_system_sgpr_workgroup_id_y 0
		.amdhsa_system_sgpr_workgroup_id_z 0
		.amdhsa_system_sgpr_workgroup_info 0
		.amdhsa_system_vgpr_workitem_id 0
		.amdhsa_next_free_vgpr 1
		.amdhsa_next_free_sgpr 1
		.amdhsa_reserve_vcc 0
		.amdhsa_float_round_mode_32 0
		.amdhsa_float_round_mode_16_64 0
		.amdhsa_float_denorm_mode_32 3
		.amdhsa_float_denorm_mode_16_64 3
		.amdhsa_dx10_clamp 1
		.amdhsa_ieee_mode 1
		.amdhsa_fp16_overflow 0
		.amdhsa_workgroup_processor_mode 1
		.amdhsa_memory_ordered 1
		.amdhsa_forward_progress 0
		.amdhsa_shared_vgpr_count 0
		.amdhsa_exception_fp_ieee_invalid_op 0
		.amdhsa_exception_fp_denorm_src 0
		.amdhsa_exception_fp_ieee_div_zero 0
		.amdhsa_exception_fp_ieee_overflow 0
		.amdhsa_exception_fp_ieee_underflow 0
		.amdhsa_exception_fp_ieee_inexact 0
		.amdhsa_exception_int_div_zero 0
	.end_amdhsa_kernel
	.section	.text._ZN7rocprim17ROCPRIM_400000_NS6detail17trampoline_kernelINS0_14default_configENS1_36segmented_radix_sort_config_selectorIllEEZNS1_25segmented_radix_sort_implIS3_Lb1EPKlPlS8_S9_N2at6native12_GLOBAL__N_18offset_tEEE10hipError_tPvRmT1_PNSt15iterator_traitsISH_E10value_typeET2_T3_PNSI_ISN_E10value_typeET4_jRbjT5_ST_jjP12ihipStream_tbEUlT_E2_NS1_11comp_targetILNS1_3genE3ELNS1_11target_archE908ELNS1_3gpuE7ELNS1_3repE0EEENS1_30default_config_static_selectorELNS0_4arch9wavefront6targetE0EEEvSH_,"axG",@progbits,_ZN7rocprim17ROCPRIM_400000_NS6detail17trampoline_kernelINS0_14default_configENS1_36segmented_radix_sort_config_selectorIllEEZNS1_25segmented_radix_sort_implIS3_Lb1EPKlPlS8_S9_N2at6native12_GLOBAL__N_18offset_tEEE10hipError_tPvRmT1_PNSt15iterator_traitsISH_E10value_typeET2_T3_PNSI_ISN_E10value_typeET4_jRbjT5_ST_jjP12ihipStream_tbEUlT_E2_NS1_11comp_targetILNS1_3genE3ELNS1_11target_archE908ELNS1_3gpuE7ELNS1_3repE0EEENS1_30default_config_static_selectorELNS0_4arch9wavefront6targetE0EEEvSH_,comdat
.Lfunc_end737:
	.size	_ZN7rocprim17ROCPRIM_400000_NS6detail17trampoline_kernelINS0_14default_configENS1_36segmented_radix_sort_config_selectorIllEEZNS1_25segmented_radix_sort_implIS3_Lb1EPKlPlS8_S9_N2at6native12_GLOBAL__N_18offset_tEEE10hipError_tPvRmT1_PNSt15iterator_traitsISH_E10value_typeET2_T3_PNSI_ISN_E10value_typeET4_jRbjT5_ST_jjP12ihipStream_tbEUlT_E2_NS1_11comp_targetILNS1_3genE3ELNS1_11target_archE908ELNS1_3gpuE7ELNS1_3repE0EEENS1_30default_config_static_selectorELNS0_4arch9wavefront6targetE0EEEvSH_, .Lfunc_end737-_ZN7rocprim17ROCPRIM_400000_NS6detail17trampoline_kernelINS0_14default_configENS1_36segmented_radix_sort_config_selectorIllEEZNS1_25segmented_radix_sort_implIS3_Lb1EPKlPlS8_S9_N2at6native12_GLOBAL__N_18offset_tEEE10hipError_tPvRmT1_PNSt15iterator_traitsISH_E10value_typeET2_T3_PNSI_ISN_E10value_typeET4_jRbjT5_ST_jjP12ihipStream_tbEUlT_E2_NS1_11comp_targetILNS1_3genE3ELNS1_11target_archE908ELNS1_3gpuE7ELNS1_3repE0EEENS1_30default_config_static_selectorELNS0_4arch9wavefront6targetE0EEEvSH_
                                        ; -- End function
	.section	.AMDGPU.csdata,"",@progbits
; Kernel info:
; codeLenInByte = 0
; NumSgprs: 0
; NumVgprs: 0
; ScratchSize: 0
; MemoryBound: 0
; FloatMode: 240
; IeeeMode: 1
; LDSByteSize: 0 bytes/workgroup (compile time only)
; SGPRBlocks: 0
; VGPRBlocks: 0
; NumSGPRsForWavesPerEU: 1
; NumVGPRsForWavesPerEU: 1
; Occupancy: 16
; WaveLimiterHint : 0
; COMPUTE_PGM_RSRC2:SCRATCH_EN: 0
; COMPUTE_PGM_RSRC2:USER_SGPR: 15
; COMPUTE_PGM_RSRC2:TRAP_HANDLER: 0
; COMPUTE_PGM_RSRC2:TGID_X_EN: 1
; COMPUTE_PGM_RSRC2:TGID_Y_EN: 0
; COMPUTE_PGM_RSRC2:TGID_Z_EN: 0
; COMPUTE_PGM_RSRC2:TIDIG_COMP_CNT: 0
	.section	.text._ZN7rocprim17ROCPRIM_400000_NS6detail17trampoline_kernelINS0_14default_configENS1_36segmented_radix_sort_config_selectorIllEEZNS1_25segmented_radix_sort_implIS3_Lb1EPKlPlS8_S9_N2at6native12_GLOBAL__N_18offset_tEEE10hipError_tPvRmT1_PNSt15iterator_traitsISH_E10value_typeET2_T3_PNSI_ISN_E10value_typeET4_jRbjT5_ST_jjP12ihipStream_tbEUlT_E2_NS1_11comp_targetILNS1_3genE2ELNS1_11target_archE906ELNS1_3gpuE6ELNS1_3repE0EEENS1_30default_config_static_selectorELNS0_4arch9wavefront6targetE0EEEvSH_,"axG",@progbits,_ZN7rocprim17ROCPRIM_400000_NS6detail17trampoline_kernelINS0_14default_configENS1_36segmented_radix_sort_config_selectorIllEEZNS1_25segmented_radix_sort_implIS3_Lb1EPKlPlS8_S9_N2at6native12_GLOBAL__N_18offset_tEEE10hipError_tPvRmT1_PNSt15iterator_traitsISH_E10value_typeET2_T3_PNSI_ISN_E10value_typeET4_jRbjT5_ST_jjP12ihipStream_tbEUlT_E2_NS1_11comp_targetILNS1_3genE2ELNS1_11target_archE906ELNS1_3gpuE6ELNS1_3repE0EEENS1_30default_config_static_selectorELNS0_4arch9wavefront6targetE0EEEvSH_,comdat
	.globl	_ZN7rocprim17ROCPRIM_400000_NS6detail17trampoline_kernelINS0_14default_configENS1_36segmented_radix_sort_config_selectorIllEEZNS1_25segmented_radix_sort_implIS3_Lb1EPKlPlS8_S9_N2at6native12_GLOBAL__N_18offset_tEEE10hipError_tPvRmT1_PNSt15iterator_traitsISH_E10value_typeET2_T3_PNSI_ISN_E10value_typeET4_jRbjT5_ST_jjP12ihipStream_tbEUlT_E2_NS1_11comp_targetILNS1_3genE2ELNS1_11target_archE906ELNS1_3gpuE6ELNS1_3repE0EEENS1_30default_config_static_selectorELNS0_4arch9wavefront6targetE0EEEvSH_ ; -- Begin function _ZN7rocprim17ROCPRIM_400000_NS6detail17trampoline_kernelINS0_14default_configENS1_36segmented_radix_sort_config_selectorIllEEZNS1_25segmented_radix_sort_implIS3_Lb1EPKlPlS8_S9_N2at6native12_GLOBAL__N_18offset_tEEE10hipError_tPvRmT1_PNSt15iterator_traitsISH_E10value_typeET2_T3_PNSI_ISN_E10value_typeET4_jRbjT5_ST_jjP12ihipStream_tbEUlT_E2_NS1_11comp_targetILNS1_3genE2ELNS1_11target_archE906ELNS1_3gpuE6ELNS1_3repE0EEENS1_30default_config_static_selectorELNS0_4arch9wavefront6targetE0EEEvSH_
	.p2align	8
	.type	_ZN7rocprim17ROCPRIM_400000_NS6detail17trampoline_kernelINS0_14default_configENS1_36segmented_radix_sort_config_selectorIllEEZNS1_25segmented_radix_sort_implIS3_Lb1EPKlPlS8_S9_N2at6native12_GLOBAL__N_18offset_tEEE10hipError_tPvRmT1_PNSt15iterator_traitsISH_E10value_typeET2_T3_PNSI_ISN_E10value_typeET4_jRbjT5_ST_jjP12ihipStream_tbEUlT_E2_NS1_11comp_targetILNS1_3genE2ELNS1_11target_archE906ELNS1_3gpuE6ELNS1_3repE0EEENS1_30default_config_static_selectorELNS0_4arch9wavefront6targetE0EEEvSH_,@function
_ZN7rocprim17ROCPRIM_400000_NS6detail17trampoline_kernelINS0_14default_configENS1_36segmented_radix_sort_config_selectorIllEEZNS1_25segmented_radix_sort_implIS3_Lb1EPKlPlS8_S9_N2at6native12_GLOBAL__N_18offset_tEEE10hipError_tPvRmT1_PNSt15iterator_traitsISH_E10value_typeET2_T3_PNSI_ISN_E10value_typeET4_jRbjT5_ST_jjP12ihipStream_tbEUlT_E2_NS1_11comp_targetILNS1_3genE2ELNS1_11target_archE906ELNS1_3gpuE6ELNS1_3repE0EEENS1_30default_config_static_selectorELNS0_4arch9wavefront6targetE0EEEvSH_: ; @_ZN7rocprim17ROCPRIM_400000_NS6detail17trampoline_kernelINS0_14default_configENS1_36segmented_radix_sort_config_selectorIllEEZNS1_25segmented_radix_sort_implIS3_Lb1EPKlPlS8_S9_N2at6native12_GLOBAL__N_18offset_tEEE10hipError_tPvRmT1_PNSt15iterator_traitsISH_E10value_typeET2_T3_PNSI_ISN_E10value_typeET4_jRbjT5_ST_jjP12ihipStream_tbEUlT_E2_NS1_11comp_targetILNS1_3genE2ELNS1_11target_archE906ELNS1_3gpuE6ELNS1_3repE0EEENS1_30default_config_static_selectorELNS0_4arch9wavefront6targetE0EEEvSH_
; %bb.0:
	.section	.rodata,"a",@progbits
	.p2align	6, 0x0
	.amdhsa_kernel _ZN7rocprim17ROCPRIM_400000_NS6detail17trampoline_kernelINS0_14default_configENS1_36segmented_radix_sort_config_selectorIllEEZNS1_25segmented_radix_sort_implIS3_Lb1EPKlPlS8_S9_N2at6native12_GLOBAL__N_18offset_tEEE10hipError_tPvRmT1_PNSt15iterator_traitsISH_E10value_typeET2_T3_PNSI_ISN_E10value_typeET4_jRbjT5_ST_jjP12ihipStream_tbEUlT_E2_NS1_11comp_targetILNS1_3genE2ELNS1_11target_archE906ELNS1_3gpuE6ELNS1_3repE0EEENS1_30default_config_static_selectorELNS0_4arch9wavefront6targetE0EEEvSH_
		.amdhsa_group_segment_fixed_size 0
		.amdhsa_private_segment_fixed_size 0
		.amdhsa_kernarg_size 80
		.amdhsa_user_sgpr_count 15
		.amdhsa_user_sgpr_dispatch_ptr 0
		.amdhsa_user_sgpr_queue_ptr 0
		.amdhsa_user_sgpr_kernarg_segment_ptr 1
		.amdhsa_user_sgpr_dispatch_id 0
		.amdhsa_user_sgpr_private_segment_size 0
		.amdhsa_wavefront_size32 1
		.amdhsa_uses_dynamic_stack 0
		.amdhsa_enable_private_segment 0
		.amdhsa_system_sgpr_workgroup_id_x 1
		.amdhsa_system_sgpr_workgroup_id_y 0
		.amdhsa_system_sgpr_workgroup_id_z 0
		.amdhsa_system_sgpr_workgroup_info 0
		.amdhsa_system_vgpr_workitem_id 0
		.amdhsa_next_free_vgpr 1
		.amdhsa_next_free_sgpr 1
		.amdhsa_reserve_vcc 0
		.amdhsa_float_round_mode_32 0
		.amdhsa_float_round_mode_16_64 0
		.amdhsa_float_denorm_mode_32 3
		.amdhsa_float_denorm_mode_16_64 3
		.amdhsa_dx10_clamp 1
		.amdhsa_ieee_mode 1
		.amdhsa_fp16_overflow 0
		.amdhsa_workgroup_processor_mode 1
		.amdhsa_memory_ordered 1
		.amdhsa_forward_progress 0
		.amdhsa_shared_vgpr_count 0
		.amdhsa_exception_fp_ieee_invalid_op 0
		.amdhsa_exception_fp_denorm_src 0
		.amdhsa_exception_fp_ieee_div_zero 0
		.amdhsa_exception_fp_ieee_overflow 0
		.amdhsa_exception_fp_ieee_underflow 0
		.amdhsa_exception_fp_ieee_inexact 0
		.amdhsa_exception_int_div_zero 0
	.end_amdhsa_kernel
	.section	.text._ZN7rocprim17ROCPRIM_400000_NS6detail17trampoline_kernelINS0_14default_configENS1_36segmented_radix_sort_config_selectorIllEEZNS1_25segmented_radix_sort_implIS3_Lb1EPKlPlS8_S9_N2at6native12_GLOBAL__N_18offset_tEEE10hipError_tPvRmT1_PNSt15iterator_traitsISH_E10value_typeET2_T3_PNSI_ISN_E10value_typeET4_jRbjT5_ST_jjP12ihipStream_tbEUlT_E2_NS1_11comp_targetILNS1_3genE2ELNS1_11target_archE906ELNS1_3gpuE6ELNS1_3repE0EEENS1_30default_config_static_selectorELNS0_4arch9wavefront6targetE0EEEvSH_,"axG",@progbits,_ZN7rocprim17ROCPRIM_400000_NS6detail17trampoline_kernelINS0_14default_configENS1_36segmented_radix_sort_config_selectorIllEEZNS1_25segmented_radix_sort_implIS3_Lb1EPKlPlS8_S9_N2at6native12_GLOBAL__N_18offset_tEEE10hipError_tPvRmT1_PNSt15iterator_traitsISH_E10value_typeET2_T3_PNSI_ISN_E10value_typeET4_jRbjT5_ST_jjP12ihipStream_tbEUlT_E2_NS1_11comp_targetILNS1_3genE2ELNS1_11target_archE906ELNS1_3gpuE6ELNS1_3repE0EEENS1_30default_config_static_selectorELNS0_4arch9wavefront6targetE0EEEvSH_,comdat
.Lfunc_end738:
	.size	_ZN7rocprim17ROCPRIM_400000_NS6detail17trampoline_kernelINS0_14default_configENS1_36segmented_radix_sort_config_selectorIllEEZNS1_25segmented_radix_sort_implIS3_Lb1EPKlPlS8_S9_N2at6native12_GLOBAL__N_18offset_tEEE10hipError_tPvRmT1_PNSt15iterator_traitsISH_E10value_typeET2_T3_PNSI_ISN_E10value_typeET4_jRbjT5_ST_jjP12ihipStream_tbEUlT_E2_NS1_11comp_targetILNS1_3genE2ELNS1_11target_archE906ELNS1_3gpuE6ELNS1_3repE0EEENS1_30default_config_static_selectorELNS0_4arch9wavefront6targetE0EEEvSH_, .Lfunc_end738-_ZN7rocprim17ROCPRIM_400000_NS6detail17trampoline_kernelINS0_14default_configENS1_36segmented_radix_sort_config_selectorIllEEZNS1_25segmented_radix_sort_implIS3_Lb1EPKlPlS8_S9_N2at6native12_GLOBAL__N_18offset_tEEE10hipError_tPvRmT1_PNSt15iterator_traitsISH_E10value_typeET2_T3_PNSI_ISN_E10value_typeET4_jRbjT5_ST_jjP12ihipStream_tbEUlT_E2_NS1_11comp_targetILNS1_3genE2ELNS1_11target_archE906ELNS1_3gpuE6ELNS1_3repE0EEENS1_30default_config_static_selectorELNS0_4arch9wavefront6targetE0EEEvSH_
                                        ; -- End function
	.section	.AMDGPU.csdata,"",@progbits
; Kernel info:
; codeLenInByte = 0
; NumSgprs: 0
; NumVgprs: 0
; ScratchSize: 0
; MemoryBound: 0
; FloatMode: 240
; IeeeMode: 1
; LDSByteSize: 0 bytes/workgroup (compile time only)
; SGPRBlocks: 0
; VGPRBlocks: 0
; NumSGPRsForWavesPerEU: 1
; NumVGPRsForWavesPerEU: 1
; Occupancy: 16
; WaveLimiterHint : 0
; COMPUTE_PGM_RSRC2:SCRATCH_EN: 0
; COMPUTE_PGM_RSRC2:USER_SGPR: 15
; COMPUTE_PGM_RSRC2:TRAP_HANDLER: 0
; COMPUTE_PGM_RSRC2:TGID_X_EN: 1
; COMPUTE_PGM_RSRC2:TGID_Y_EN: 0
; COMPUTE_PGM_RSRC2:TGID_Z_EN: 0
; COMPUTE_PGM_RSRC2:TIDIG_COMP_CNT: 0
	.section	.text._ZN7rocprim17ROCPRIM_400000_NS6detail17trampoline_kernelINS0_14default_configENS1_36segmented_radix_sort_config_selectorIllEEZNS1_25segmented_radix_sort_implIS3_Lb1EPKlPlS8_S9_N2at6native12_GLOBAL__N_18offset_tEEE10hipError_tPvRmT1_PNSt15iterator_traitsISH_E10value_typeET2_T3_PNSI_ISN_E10value_typeET4_jRbjT5_ST_jjP12ihipStream_tbEUlT_E2_NS1_11comp_targetILNS1_3genE10ELNS1_11target_archE1201ELNS1_3gpuE5ELNS1_3repE0EEENS1_30default_config_static_selectorELNS0_4arch9wavefront6targetE0EEEvSH_,"axG",@progbits,_ZN7rocprim17ROCPRIM_400000_NS6detail17trampoline_kernelINS0_14default_configENS1_36segmented_radix_sort_config_selectorIllEEZNS1_25segmented_radix_sort_implIS3_Lb1EPKlPlS8_S9_N2at6native12_GLOBAL__N_18offset_tEEE10hipError_tPvRmT1_PNSt15iterator_traitsISH_E10value_typeET2_T3_PNSI_ISN_E10value_typeET4_jRbjT5_ST_jjP12ihipStream_tbEUlT_E2_NS1_11comp_targetILNS1_3genE10ELNS1_11target_archE1201ELNS1_3gpuE5ELNS1_3repE0EEENS1_30default_config_static_selectorELNS0_4arch9wavefront6targetE0EEEvSH_,comdat
	.globl	_ZN7rocprim17ROCPRIM_400000_NS6detail17trampoline_kernelINS0_14default_configENS1_36segmented_radix_sort_config_selectorIllEEZNS1_25segmented_radix_sort_implIS3_Lb1EPKlPlS8_S9_N2at6native12_GLOBAL__N_18offset_tEEE10hipError_tPvRmT1_PNSt15iterator_traitsISH_E10value_typeET2_T3_PNSI_ISN_E10value_typeET4_jRbjT5_ST_jjP12ihipStream_tbEUlT_E2_NS1_11comp_targetILNS1_3genE10ELNS1_11target_archE1201ELNS1_3gpuE5ELNS1_3repE0EEENS1_30default_config_static_selectorELNS0_4arch9wavefront6targetE0EEEvSH_ ; -- Begin function _ZN7rocprim17ROCPRIM_400000_NS6detail17trampoline_kernelINS0_14default_configENS1_36segmented_radix_sort_config_selectorIllEEZNS1_25segmented_radix_sort_implIS3_Lb1EPKlPlS8_S9_N2at6native12_GLOBAL__N_18offset_tEEE10hipError_tPvRmT1_PNSt15iterator_traitsISH_E10value_typeET2_T3_PNSI_ISN_E10value_typeET4_jRbjT5_ST_jjP12ihipStream_tbEUlT_E2_NS1_11comp_targetILNS1_3genE10ELNS1_11target_archE1201ELNS1_3gpuE5ELNS1_3repE0EEENS1_30default_config_static_selectorELNS0_4arch9wavefront6targetE0EEEvSH_
	.p2align	8
	.type	_ZN7rocprim17ROCPRIM_400000_NS6detail17trampoline_kernelINS0_14default_configENS1_36segmented_radix_sort_config_selectorIllEEZNS1_25segmented_radix_sort_implIS3_Lb1EPKlPlS8_S9_N2at6native12_GLOBAL__N_18offset_tEEE10hipError_tPvRmT1_PNSt15iterator_traitsISH_E10value_typeET2_T3_PNSI_ISN_E10value_typeET4_jRbjT5_ST_jjP12ihipStream_tbEUlT_E2_NS1_11comp_targetILNS1_3genE10ELNS1_11target_archE1201ELNS1_3gpuE5ELNS1_3repE0EEENS1_30default_config_static_selectorELNS0_4arch9wavefront6targetE0EEEvSH_,@function
_ZN7rocprim17ROCPRIM_400000_NS6detail17trampoline_kernelINS0_14default_configENS1_36segmented_radix_sort_config_selectorIllEEZNS1_25segmented_radix_sort_implIS3_Lb1EPKlPlS8_S9_N2at6native12_GLOBAL__N_18offset_tEEE10hipError_tPvRmT1_PNSt15iterator_traitsISH_E10value_typeET2_T3_PNSI_ISN_E10value_typeET4_jRbjT5_ST_jjP12ihipStream_tbEUlT_E2_NS1_11comp_targetILNS1_3genE10ELNS1_11target_archE1201ELNS1_3gpuE5ELNS1_3repE0EEENS1_30default_config_static_selectorELNS0_4arch9wavefront6targetE0EEEvSH_: ; @_ZN7rocprim17ROCPRIM_400000_NS6detail17trampoline_kernelINS0_14default_configENS1_36segmented_radix_sort_config_selectorIllEEZNS1_25segmented_radix_sort_implIS3_Lb1EPKlPlS8_S9_N2at6native12_GLOBAL__N_18offset_tEEE10hipError_tPvRmT1_PNSt15iterator_traitsISH_E10value_typeET2_T3_PNSI_ISN_E10value_typeET4_jRbjT5_ST_jjP12ihipStream_tbEUlT_E2_NS1_11comp_targetILNS1_3genE10ELNS1_11target_archE1201ELNS1_3gpuE5ELNS1_3repE0EEENS1_30default_config_static_selectorELNS0_4arch9wavefront6targetE0EEEvSH_
; %bb.0:
	.section	.rodata,"a",@progbits
	.p2align	6, 0x0
	.amdhsa_kernel _ZN7rocprim17ROCPRIM_400000_NS6detail17trampoline_kernelINS0_14default_configENS1_36segmented_radix_sort_config_selectorIllEEZNS1_25segmented_radix_sort_implIS3_Lb1EPKlPlS8_S9_N2at6native12_GLOBAL__N_18offset_tEEE10hipError_tPvRmT1_PNSt15iterator_traitsISH_E10value_typeET2_T3_PNSI_ISN_E10value_typeET4_jRbjT5_ST_jjP12ihipStream_tbEUlT_E2_NS1_11comp_targetILNS1_3genE10ELNS1_11target_archE1201ELNS1_3gpuE5ELNS1_3repE0EEENS1_30default_config_static_selectorELNS0_4arch9wavefront6targetE0EEEvSH_
		.amdhsa_group_segment_fixed_size 0
		.amdhsa_private_segment_fixed_size 0
		.amdhsa_kernarg_size 80
		.amdhsa_user_sgpr_count 15
		.amdhsa_user_sgpr_dispatch_ptr 0
		.amdhsa_user_sgpr_queue_ptr 0
		.amdhsa_user_sgpr_kernarg_segment_ptr 1
		.amdhsa_user_sgpr_dispatch_id 0
		.amdhsa_user_sgpr_private_segment_size 0
		.amdhsa_wavefront_size32 1
		.amdhsa_uses_dynamic_stack 0
		.amdhsa_enable_private_segment 0
		.amdhsa_system_sgpr_workgroup_id_x 1
		.amdhsa_system_sgpr_workgroup_id_y 0
		.amdhsa_system_sgpr_workgroup_id_z 0
		.amdhsa_system_sgpr_workgroup_info 0
		.amdhsa_system_vgpr_workitem_id 0
		.amdhsa_next_free_vgpr 1
		.amdhsa_next_free_sgpr 1
		.amdhsa_reserve_vcc 0
		.amdhsa_float_round_mode_32 0
		.amdhsa_float_round_mode_16_64 0
		.amdhsa_float_denorm_mode_32 3
		.amdhsa_float_denorm_mode_16_64 3
		.amdhsa_dx10_clamp 1
		.amdhsa_ieee_mode 1
		.amdhsa_fp16_overflow 0
		.amdhsa_workgroup_processor_mode 1
		.amdhsa_memory_ordered 1
		.amdhsa_forward_progress 0
		.amdhsa_shared_vgpr_count 0
		.amdhsa_exception_fp_ieee_invalid_op 0
		.amdhsa_exception_fp_denorm_src 0
		.amdhsa_exception_fp_ieee_div_zero 0
		.amdhsa_exception_fp_ieee_overflow 0
		.amdhsa_exception_fp_ieee_underflow 0
		.amdhsa_exception_fp_ieee_inexact 0
		.amdhsa_exception_int_div_zero 0
	.end_amdhsa_kernel
	.section	.text._ZN7rocprim17ROCPRIM_400000_NS6detail17trampoline_kernelINS0_14default_configENS1_36segmented_radix_sort_config_selectorIllEEZNS1_25segmented_radix_sort_implIS3_Lb1EPKlPlS8_S9_N2at6native12_GLOBAL__N_18offset_tEEE10hipError_tPvRmT1_PNSt15iterator_traitsISH_E10value_typeET2_T3_PNSI_ISN_E10value_typeET4_jRbjT5_ST_jjP12ihipStream_tbEUlT_E2_NS1_11comp_targetILNS1_3genE10ELNS1_11target_archE1201ELNS1_3gpuE5ELNS1_3repE0EEENS1_30default_config_static_selectorELNS0_4arch9wavefront6targetE0EEEvSH_,"axG",@progbits,_ZN7rocprim17ROCPRIM_400000_NS6detail17trampoline_kernelINS0_14default_configENS1_36segmented_radix_sort_config_selectorIllEEZNS1_25segmented_radix_sort_implIS3_Lb1EPKlPlS8_S9_N2at6native12_GLOBAL__N_18offset_tEEE10hipError_tPvRmT1_PNSt15iterator_traitsISH_E10value_typeET2_T3_PNSI_ISN_E10value_typeET4_jRbjT5_ST_jjP12ihipStream_tbEUlT_E2_NS1_11comp_targetILNS1_3genE10ELNS1_11target_archE1201ELNS1_3gpuE5ELNS1_3repE0EEENS1_30default_config_static_selectorELNS0_4arch9wavefront6targetE0EEEvSH_,comdat
.Lfunc_end739:
	.size	_ZN7rocprim17ROCPRIM_400000_NS6detail17trampoline_kernelINS0_14default_configENS1_36segmented_radix_sort_config_selectorIllEEZNS1_25segmented_radix_sort_implIS3_Lb1EPKlPlS8_S9_N2at6native12_GLOBAL__N_18offset_tEEE10hipError_tPvRmT1_PNSt15iterator_traitsISH_E10value_typeET2_T3_PNSI_ISN_E10value_typeET4_jRbjT5_ST_jjP12ihipStream_tbEUlT_E2_NS1_11comp_targetILNS1_3genE10ELNS1_11target_archE1201ELNS1_3gpuE5ELNS1_3repE0EEENS1_30default_config_static_selectorELNS0_4arch9wavefront6targetE0EEEvSH_, .Lfunc_end739-_ZN7rocprim17ROCPRIM_400000_NS6detail17trampoline_kernelINS0_14default_configENS1_36segmented_radix_sort_config_selectorIllEEZNS1_25segmented_radix_sort_implIS3_Lb1EPKlPlS8_S9_N2at6native12_GLOBAL__N_18offset_tEEE10hipError_tPvRmT1_PNSt15iterator_traitsISH_E10value_typeET2_T3_PNSI_ISN_E10value_typeET4_jRbjT5_ST_jjP12ihipStream_tbEUlT_E2_NS1_11comp_targetILNS1_3genE10ELNS1_11target_archE1201ELNS1_3gpuE5ELNS1_3repE0EEENS1_30default_config_static_selectorELNS0_4arch9wavefront6targetE0EEEvSH_
                                        ; -- End function
	.section	.AMDGPU.csdata,"",@progbits
; Kernel info:
; codeLenInByte = 0
; NumSgprs: 0
; NumVgprs: 0
; ScratchSize: 0
; MemoryBound: 0
; FloatMode: 240
; IeeeMode: 1
; LDSByteSize: 0 bytes/workgroup (compile time only)
; SGPRBlocks: 0
; VGPRBlocks: 0
; NumSGPRsForWavesPerEU: 1
; NumVGPRsForWavesPerEU: 1
; Occupancy: 16
; WaveLimiterHint : 0
; COMPUTE_PGM_RSRC2:SCRATCH_EN: 0
; COMPUTE_PGM_RSRC2:USER_SGPR: 15
; COMPUTE_PGM_RSRC2:TRAP_HANDLER: 0
; COMPUTE_PGM_RSRC2:TGID_X_EN: 1
; COMPUTE_PGM_RSRC2:TGID_Y_EN: 0
; COMPUTE_PGM_RSRC2:TGID_Z_EN: 0
; COMPUTE_PGM_RSRC2:TIDIG_COMP_CNT: 0
	.section	.text._ZN7rocprim17ROCPRIM_400000_NS6detail17trampoline_kernelINS0_14default_configENS1_36segmented_radix_sort_config_selectorIllEEZNS1_25segmented_radix_sort_implIS3_Lb1EPKlPlS8_S9_N2at6native12_GLOBAL__N_18offset_tEEE10hipError_tPvRmT1_PNSt15iterator_traitsISH_E10value_typeET2_T3_PNSI_ISN_E10value_typeET4_jRbjT5_ST_jjP12ihipStream_tbEUlT_E2_NS1_11comp_targetILNS1_3genE10ELNS1_11target_archE1200ELNS1_3gpuE4ELNS1_3repE0EEENS1_30default_config_static_selectorELNS0_4arch9wavefront6targetE0EEEvSH_,"axG",@progbits,_ZN7rocprim17ROCPRIM_400000_NS6detail17trampoline_kernelINS0_14default_configENS1_36segmented_radix_sort_config_selectorIllEEZNS1_25segmented_radix_sort_implIS3_Lb1EPKlPlS8_S9_N2at6native12_GLOBAL__N_18offset_tEEE10hipError_tPvRmT1_PNSt15iterator_traitsISH_E10value_typeET2_T3_PNSI_ISN_E10value_typeET4_jRbjT5_ST_jjP12ihipStream_tbEUlT_E2_NS1_11comp_targetILNS1_3genE10ELNS1_11target_archE1200ELNS1_3gpuE4ELNS1_3repE0EEENS1_30default_config_static_selectorELNS0_4arch9wavefront6targetE0EEEvSH_,comdat
	.globl	_ZN7rocprim17ROCPRIM_400000_NS6detail17trampoline_kernelINS0_14default_configENS1_36segmented_radix_sort_config_selectorIllEEZNS1_25segmented_radix_sort_implIS3_Lb1EPKlPlS8_S9_N2at6native12_GLOBAL__N_18offset_tEEE10hipError_tPvRmT1_PNSt15iterator_traitsISH_E10value_typeET2_T3_PNSI_ISN_E10value_typeET4_jRbjT5_ST_jjP12ihipStream_tbEUlT_E2_NS1_11comp_targetILNS1_3genE10ELNS1_11target_archE1200ELNS1_3gpuE4ELNS1_3repE0EEENS1_30default_config_static_selectorELNS0_4arch9wavefront6targetE0EEEvSH_ ; -- Begin function _ZN7rocprim17ROCPRIM_400000_NS6detail17trampoline_kernelINS0_14default_configENS1_36segmented_radix_sort_config_selectorIllEEZNS1_25segmented_radix_sort_implIS3_Lb1EPKlPlS8_S9_N2at6native12_GLOBAL__N_18offset_tEEE10hipError_tPvRmT1_PNSt15iterator_traitsISH_E10value_typeET2_T3_PNSI_ISN_E10value_typeET4_jRbjT5_ST_jjP12ihipStream_tbEUlT_E2_NS1_11comp_targetILNS1_3genE10ELNS1_11target_archE1200ELNS1_3gpuE4ELNS1_3repE0EEENS1_30default_config_static_selectorELNS0_4arch9wavefront6targetE0EEEvSH_
	.p2align	8
	.type	_ZN7rocprim17ROCPRIM_400000_NS6detail17trampoline_kernelINS0_14default_configENS1_36segmented_radix_sort_config_selectorIllEEZNS1_25segmented_radix_sort_implIS3_Lb1EPKlPlS8_S9_N2at6native12_GLOBAL__N_18offset_tEEE10hipError_tPvRmT1_PNSt15iterator_traitsISH_E10value_typeET2_T3_PNSI_ISN_E10value_typeET4_jRbjT5_ST_jjP12ihipStream_tbEUlT_E2_NS1_11comp_targetILNS1_3genE10ELNS1_11target_archE1200ELNS1_3gpuE4ELNS1_3repE0EEENS1_30default_config_static_selectorELNS0_4arch9wavefront6targetE0EEEvSH_,@function
_ZN7rocprim17ROCPRIM_400000_NS6detail17trampoline_kernelINS0_14default_configENS1_36segmented_radix_sort_config_selectorIllEEZNS1_25segmented_radix_sort_implIS3_Lb1EPKlPlS8_S9_N2at6native12_GLOBAL__N_18offset_tEEE10hipError_tPvRmT1_PNSt15iterator_traitsISH_E10value_typeET2_T3_PNSI_ISN_E10value_typeET4_jRbjT5_ST_jjP12ihipStream_tbEUlT_E2_NS1_11comp_targetILNS1_3genE10ELNS1_11target_archE1200ELNS1_3gpuE4ELNS1_3repE0EEENS1_30default_config_static_selectorELNS0_4arch9wavefront6targetE0EEEvSH_: ; @_ZN7rocprim17ROCPRIM_400000_NS6detail17trampoline_kernelINS0_14default_configENS1_36segmented_radix_sort_config_selectorIllEEZNS1_25segmented_radix_sort_implIS3_Lb1EPKlPlS8_S9_N2at6native12_GLOBAL__N_18offset_tEEE10hipError_tPvRmT1_PNSt15iterator_traitsISH_E10value_typeET2_T3_PNSI_ISN_E10value_typeET4_jRbjT5_ST_jjP12ihipStream_tbEUlT_E2_NS1_11comp_targetILNS1_3genE10ELNS1_11target_archE1200ELNS1_3gpuE4ELNS1_3repE0EEENS1_30default_config_static_selectorELNS0_4arch9wavefront6targetE0EEEvSH_
; %bb.0:
	.section	.rodata,"a",@progbits
	.p2align	6, 0x0
	.amdhsa_kernel _ZN7rocprim17ROCPRIM_400000_NS6detail17trampoline_kernelINS0_14default_configENS1_36segmented_radix_sort_config_selectorIllEEZNS1_25segmented_radix_sort_implIS3_Lb1EPKlPlS8_S9_N2at6native12_GLOBAL__N_18offset_tEEE10hipError_tPvRmT1_PNSt15iterator_traitsISH_E10value_typeET2_T3_PNSI_ISN_E10value_typeET4_jRbjT5_ST_jjP12ihipStream_tbEUlT_E2_NS1_11comp_targetILNS1_3genE10ELNS1_11target_archE1200ELNS1_3gpuE4ELNS1_3repE0EEENS1_30default_config_static_selectorELNS0_4arch9wavefront6targetE0EEEvSH_
		.amdhsa_group_segment_fixed_size 0
		.amdhsa_private_segment_fixed_size 0
		.amdhsa_kernarg_size 80
		.amdhsa_user_sgpr_count 15
		.amdhsa_user_sgpr_dispatch_ptr 0
		.amdhsa_user_sgpr_queue_ptr 0
		.amdhsa_user_sgpr_kernarg_segment_ptr 1
		.amdhsa_user_sgpr_dispatch_id 0
		.amdhsa_user_sgpr_private_segment_size 0
		.amdhsa_wavefront_size32 1
		.amdhsa_uses_dynamic_stack 0
		.amdhsa_enable_private_segment 0
		.amdhsa_system_sgpr_workgroup_id_x 1
		.amdhsa_system_sgpr_workgroup_id_y 0
		.amdhsa_system_sgpr_workgroup_id_z 0
		.amdhsa_system_sgpr_workgroup_info 0
		.amdhsa_system_vgpr_workitem_id 0
		.amdhsa_next_free_vgpr 1
		.amdhsa_next_free_sgpr 1
		.amdhsa_reserve_vcc 0
		.amdhsa_float_round_mode_32 0
		.amdhsa_float_round_mode_16_64 0
		.amdhsa_float_denorm_mode_32 3
		.amdhsa_float_denorm_mode_16_64 3
		.amdhsa_dx10_clamp 1
		.amdhsa_ieee_mode 1
		.amdhsa_fp16_overflow 0
		.amdhsa_workgroup_processor_mode 1
		.amdhsa_memory_ordered 1
		.amdhsa_forward_progress 0
		.amdhsa_shared_vgpr_count 0
		.amdhsa_exception_fp_ieee_invalid_op 0
		.amdhsa_exception_fp_denorm_src 0
		.amdhsa_exception_fp_ieee_div_zero 0
		.amdhsa_exception_fp_ieee_overflow 0
		.amdhsa_exception_fp_ieee_underflow 0
		.amdhsa_exception_fp_ieee_inexact 0
		.amdhsa_exception_int_div_zero 0
	.end_amdhsa_kernel
	.section	.text._ZN7rocprim17ROCPRIM_400000_NS6detail17trampoline_kernelINS0_14default_configENS1_36segmented_radix_sort_config_selectorIllEEZNS1_25segmented_radix_sort_implIS3_Lb1EPKlPlS8_S9_N2at6native12_GLOBAL__N_18offset_tEEE10hipError_tPvRmT1_PNSt15iterator_traitsISH_E10value_typeET2_T3_PNSI_ISN_E10value_typeET4_jRbjT5_ST_jjP12ihipStream_tbEUlT_E2_NS1_11comp_targetILNS1_3genE10ELNS1_11target_archE1200ELNS1_3gpuE4ELNS1_3repE0EEENS1_30default_config_static_selectorELNS0_4arch9wavefront6targetE0EEEvSH_,"axG",@progbits,_ZN7rocprim17ROCPRIM_400000_NS6detail17trampoline_kernelINS0_14default_configENS1_36segmented_radix_sort_config_selectorIllEEZNS1_25segmented_radix_sort_implIS3_Lb1EPKlPlS8_S9_N2at6native12_GLOBAL__N_18offset_tEEE10hipError_tPvRmT1_PNSt15iterator_traitsISH_E10value_typeET2_T3_PNSI_ISN_E10value_typeET4_jRbjT5_ST_jjP12ihipStream_tbEUlT_E2_NS1_11comp_targetILNS1_3genE10ELNS1_11target_archE1200ELNS1_3gpuE4ELNS1_3repE0EEENS1_30default_config_static_selectorELNS0_4arch9wavefront6targetE0EEEvSH_,comdat
.Lfunc_end740:
	.size	_ZN7rocprim17ROCPRIM_400000_NS6detail17trampoline_kernelINS0_14default_configENS1_36segmented_radix_sort_config_selectorIllEEZNS1_25segmented_radix_sort_implIS3_Lb1EPKlPlS8_S9_N2at6native12_GLOBAL__N_18offset_tEEE10hipError_tPvRmT1_PNSt15iterator_traitsISH_E10value_typeET2_T3_PNSI_ISN_E10value_typeET4_jRbjT5_ST_jjP12ihipStream_tbEUlT_E2_NS1_11comp_targetILNS1_3genE10ELNS1_11target_archE1200ELNS1_3gpuE4ELNS1_3repE0EEENS1_30default_config_static_selectorELNS0_4arch9wavefront6targetE0EEEvSH_, .Lfunc_end740-_ZN7rocprim17ROCPRIM_400000_NS6detail17trampoline_kernelINS0_14default_configENS1_36segmented_radix_sort_config_selectorIllEEZNS1_25segmented_radix_sort_implIS3_Lb1EPKlPlS8_S9_N2at6native12_GLOBAL__N_18offset_tEEE10hipError_tPvRmT1_PNSt15iterator_traitsISH_E10value_typeET2_T3_PNSI_ISN_E10value_typeET4_jRbjT5_ST_jjP12ihipStream_tbEUlT_E2_NS1_11comp_targetILNS1_3genE10ELNS1_11target_archE1200ELNS1_3gpuE4ELNS1_3repE0EEENS1_30default_config_static_selectorELNS0_4arch9wavefront6targetE0EEEvSH_
                                        ; -- End function
	.section	.AMDGPU.csdata,"",@progbits
; Kernel info:
; codeLenInByte = 0
; NumSgprs: 0
; NumVgprs: 0
; ScratchSize: 0
; MemoryBound: 0
; FloatMode: 240
; IeeeMode: 1
; LDSByteSize: 0 bytes/workgroup (compile time only)
; SGPRBlocks: 0
; VGPRBlocks: 0
; NumSGPRsForWavesPerEU: 1
; NumVGPRsForWavesPerEU: 1
; Occupancy: 16
; WaveLimiterHint : 0
; COMPUTE_PGM_RSRC2:SCRATCH_EN: 0
; COMPUTE_PGM_RSRC2:USER_SGPR: 15
; COMPUTE_PGM_RSRC2:TRAP_HANDLER: 0
; COMPUTE_PGM_RSRC2:TGID_X_EN: 1
; COMPUTE_PGM_RSRC2:TGID_Y_EN: 0
; COMPUTE_PGM_RSRC2:TGID_Z_EN: 0
; COMPUTE_PGM_RSRC2:TIDIG_COMP_CNT: 0
	.section	.text._ZN7rocprim17ROCPRIM_400000_NS6detail17trampoline_kernelINS0_14default_configENS1_36segmented_radix_sort_config_selectorIllEEZNS1_25segmented_radix_sort_implIS3_Lb1EPKlPlS8_S9_N2at6native12_GLOBAL__N_18offset_tEEE10hipError_tPvRmT1_PNSt15iterator_traitsISH_E10value_typeET2_T3_PNSI_ISN_E10value_typeET4_jRbjT5_ST_jjP12ihipStream_tbEUlT_E2_NS1_11comp_targetILNS1_3genE9ELNS1_11target_archE1100ELNS1_3gpuE3ELNS1_3repE0EEENS1_30default_config_static_selectorELNS0_4arch9wavefront6targetE0EEEvSH_,"axG",@progbits,_ZN7rocprim17ROCPRIM_400000_NS6detail17trampoline_kernelINS0_14default_configENS1_36segmented_radix_sort_config_selectorIllEEZNS1_25segmented_radix_sort_implIS3_Lb1EPKlPlS8_S9_N2at6native12_GLOBAL__N_18offset_tEEE10hipError_tPvRmT1_PNSt15iterator_traitsISH_E10value_typeET2_T3_PNSI_ISN_E10value_typeET4_jRbjT5_ST_jjP12ihipStream_tbEUlT_E2_NS1_11comp_targetILNS1_3genE9ELNS1_11target_archE1100ELNS1_3gpuE3ELNS1_3repE0EEENS1_30default_config_static_selectorELNS0_4arch9wavefront6targetE0EEEvSH_,comdat
	.globl	_ZN7rocprim17ROCPRIM_400000_NS6detail17trampoline_kernelINS0_14default_configENS1_36segmented_radix_sort_config_selectorIllEEZNS1_25segmented_radix_sort_implIS3_Lb1EPKlPlS8_S9_N2at6native12_GLOBAL__N_18offset_tEEE10hipError_tPvRmT1_PNSt15iterator_traitsISH_E10value_typeET2_T3_PNSI_ISN_E10value_typeET4_jRbjT5_ST_jjP12ihipStream_tbEUlT_E2_NS1_11comp_targetILNS1_3genE9ELNS1_11target_archE1100ELNS1_3gpuE3ELNS1_3repE0EEENS1_30default_config_static_selectorELNS0_4arch9wavefront6targetE0EEEvSH_ ; -- Begin function _ZN7rocprim17ROCPRIM_400000_NS6detail17trampoline_kernelINS0_14default_configENS1_36segmented_radix_sort_config_selectorIllEEZNS1_25segmented_radix_sort_implIS3_Lb1EPKlPlS8_S9_N2at6native12_GLOBAL__N_18offset_tEEE10hipError_tPvRmT1_PNSt15iterator_traitsISH_E10value_typeET2_T3_PNSI_ISN_E10value_typeET4_jRbjT5_ST_jjP12ihipStream_tbEUlT_E2_NS1_11comp_targetILNS1_3genE9ELNS1_11target_archE1100ELNS1_3gpuE3ELNS1_3repE0EEENS1_30default_config_static_selectorELNS0_4arch9wavefront6targetE0EEEvSH_
	.p2align	8
	.type	_ZN7rocprim17ROCPRIM_400000_NS6detail17trampoline_kernelINS0_14default_configENS1_36segmented_radix_sort_config_selectorIllEEZNS1_25segmented_radix_sort_implIS3_Lb1EPKlPlS8_S9_N2at6native12_GLOBAL__N_18offset_tEEE10hipError_tPvRmT1_PNSt15iterator_traitsISH_E10value_typeET2_T3_PNSI_ISN_E10value_typeET4_jRbjT5_ST_jjP12ihipStream_tbEUlT_E2_NS1_11comp_targetILNS1_3genE9ELNS1_11target_archE1100ELNS1_3gpuE3ELNS1_3repE0EEENS1_30default_config_static_selectorELNS0_4arch9wavefront6targetE0EEEvSH_,@function
_ZN7rocprim17ROCPRIM_400000_NS6detail17trampoline_kernelINS0_14default_configENS1_36segmented_radix_sort_config_selectorIllEEZNS1_25segmented_radix_sort_implIS3_Lb1EPKlPlS8_S9_N2at6native12_GLOBAL__N_18offset_tEEE10hipError_tPvRmT1_PNSt15iterator_traitsISH_E10value_typeET2_T3_PNSI_ISN_E10value_typeET4_jRbjT5_ST_jjP12ihipStream_tbEUlT_E2_NS1_11comp_targetILNS1_3genE9ELNS1_11target_archE1100ELNS1_3gpuE3ELNS1_3repE0EEENS1_30default_config_static_selectorELNS0_4arch9wavefront6targetE0EEEvSH_: ; @_ZN7rocprim17ROCPRIM_400000_NS6detail17trampoline_kernelINS0_14default_configENS1_36segmented_radix_sort_config_selectorIllEEZNS1_25segmented_radix_sort_implIS3_Lb1EPKlPlS8_S9_N2at6native12_GLOBAL__N_18offset_tEEE10hipError_tPvRmT1_PNSt15iterator_traitsISH_E10value_typeET2_T3_PNSI_ISN_E10value_typeET4_jRbjT5_ST_jjP12ihipStream_tbEUlT_E2_NS1_11comp_targetILNS1_3genE9ELNS1_11target_archE1100ELNS1_3gpuE3ELNS1_3repE0EEENS1_30default_config_static_selectorELNS0_4arch9wavefront6targetE0EEEvSH_
; %bb.0:
	s_load_b128 s[4:7], s[0:1], 0x34
	s_mov_b32 s32, 0
	s_waitcnt lgkmcnt(0)
	s_add_i32 s60, s5, s14
	s_add_i32 s61, s7, s14
	s_mul_i32 s60, s60, s4
	s_mul_i32 s61, s61, s6
	s_delay_alu instid0(SALU_CYCLE_1)
	s_cmp_le_u32 s61, s60
	s_cbranch_scc1 .LBB741_1198
; %bb.1:
	s_clause 0x3
	s_load_b32 s2, s[0:1], 0x30
	s_load_b128 s[52:55], s[0:1], 0x20
	s_load_b128 s[56:59], s[0:1], 0x44
	s_load_b256 s[44:51], s[0:1], 0x0
	s_waitcnt lgkmcnt(0)
	s_bitcmp1_b32 s2, 0
	s_mov_b32 s2, -1
	s_cselect_b32 s59, -1, 0
	s_sub_i32 s62, s61, s60
	s_delay_alu instid0(SALU_CYCLE_1)
	s_cmpk_lt_u32 s62, 0x1001
	s_cbranch_scc0 .LBB741_15
; %bb.2:
	s_cmp_lt_u32 s62, 33
	s_cbranch_scc0 .LBB741_9
; %bb.3:
	s_load_b32 s2, s[0:1], 0x5c
	v_bfe_u32 v1, v0, 10, 10
	v_bfe_u32 v2, v0, 20, 10
	s_mov_b32 s18, exec_lo
	s_waitcnt lgkmcnt(0)
	s_lshr_b32 s3, s2, 16
	s_and_b32 s2, s2, 0xffff
	v_mad_u32_u24 v4, v2, s3, v1
	v_and_b32_e32 v1, 0x3ff, v0
	s_delay_alu instid0(VALU_DEP_1) | instskip(NEXT) | instid1(VALU_DEP_1)
	v_mad_u64_u32 v[2:3], null, v4, s2, v[1:2]
	v_cmpx_gt_u32_e32 8, v2
	s_cbranch_execz .LBB741_8
; %bb.4:
	v_cndmask_b32_e64 v1, 0, 1, s59
	s_and_b32 s2, s56, 1
	s_delay_alu instid0(VALU_DEP_1) | instid1(SALU_CYCLE_1)
	v_cmp_ne_u32_e32 vcc_lo, s2, v1
	s_mov_b32 s2, -1
	s_cbranch_vccnz .LBB741_6
; %bb.5:
	s_mov_b64 s[2:3], src_shared_base
	v_mov_b32_e32 v31, v0
	v_dual_mov_b32 v40, v0 :: v_dual_mov_b32 v1, s45
	v_mov_b32_e32 v0, s44
	v_dual_mov_b32 v2, s48 :: v_dual_mov_b32 v3, s49
	v_dual_mov_b32 v4, s50 :: v_dual_mov_b32 v5, s51
	;; [unrolled: 1-line block ×6, first 2 shown]
	s_add_u32 s8, s0, 0x50
	s_addc_u32 s9, s1, 0
	s_mov_b32 s12, s14
	s_mov_b32 s13, s15
	s_getpc_b64 s[4:5]
	s_add_u32 s4, s4, _ZN7rocprim17ROCPRIM_400000_NS6detail26segmented_warp_sort_helperINS1_20WarpSortHelperConfigILj8ELj4ELj256EEEllLi256ELb1EvE4sortIPKlPlS8_S9_EEvT_T0_T1_T2_jjjjRNS5_12storage_typeE@rel32@lo+4
	s_addc_u32 s5, s5, _ZN7rocprim17ROCPRIM_400000_NS6detail26segmented_warp_sort_helperINS1_20WarpSortHelperConfigILj8ELj4ELj256EEEllLi256ELb1EvE4sortIPKlPlS8_S9_EEvT_T0_T1_T2_jjjjRNS5_12storage_typeE@rel32@hi+12
	s_mov_b64 s[16:17], s[0:1]
	s_mov_b32 s19, s14
	s_swappc_b64 s[30:31], s[4:5]
	v_mov_b32_e32 v0, v40
	s_mov_b32 s14, s19
	s_mov_b64 s[0:1], s[16:17]
	s_mov_b32 s2, 0
.LBB741_6:
	s_delay_alu instid0(SALU_CYCLE_1)
	s_and_not1_b32 vcc_lo, exec_lo, s2
	s_cbranch_vccnz .LBB741_8
; %bb.7:
	s_mov_b64 s[2:3], src_shared_base
	v_mov_b32_e32 v31, v0
	v_dual_mov_b32 v40, v0 :: v_dual_mov_b32 v1, s45
	v_mov_b32_e32 v0, s44
	v_dual_mov_b32 v2, s46 :: v_dual_mov_b32 v3, s47
	v_dual_mov_b32 v4, s50 :: v_dual_mov_b32 v5, s51
	;; [unrolled: 1-line block ×6, first 2 shown]
	s_add_u32 s8, s0, 0x50
	s_addc_u32 s9, s1, 0
	s_mov_b32 s12, s14
	s_mov_b32 s13, s15
	s_getpc_b64 s[4:5]
	s_add_u32 s4, s4, _ZN7rocprim17ROCPRIM_400000_NS6detail26segmented_warp_sort_helperINS1_20WarpSortHelperConfigILj8ELj4ELj256EEEllLi256ELb1EvE4sortIPKlPlS8_S9_EEvT_T0_T1_T2_jjjjRNS5_12storage_typeE@rel32@lo+4
	s_addc_u32 s5, s5, _ZN7rocprim17ROCPRIM_400000_NS6detail26segmented_warp_sort_helperINS1_20WarpSortHelperConfigILj8ELj4ELj256EEEllLi256ELb1EvE4sortIPKlPlS8_S9_EEvT_T0_T1_T2_jjjjRNS5_12storage_typeE@rel32@hi+12
	s_mov_b64 s[16:17], s[0:1]
	s_mov_b32 s19, s14
	s_swappc_b64 s[30:31], s[4:5]
	v_mov_b32_e32 v0, v40
	s_mov_b32 s14, s19
	s_mov_b64 s[0:1], s[16:17]
.LBB741_8:
	s_or_b32 exec_lo, exec_lo, s18
	s_mov_b32 s2, 0
.LBB741_9:
	s_delay_alu instid0(SALU_CYCLE_1)
	s_and_not1_b32 vcc_lo, exec_lo, s2
	s_cbranch_vccnz .LBB741_14
; %bb.10:
	v_cndmask_b32_e64 v1, 0, 1, s59
	s_and_b32 s2, s56, 1
	s_delay_alu instid0(VALU_DEP_1) | instid1(SALU_CYCLE_1)
	v_cmp_ne_u32_e32 vcc_lo, s2, v1
	s_mov_b32 s2, -1
	s_cbranch_vccnz .LBB741_12
; %bb.11:
	s_mov_b64 s[2:3], src_shared_base
	v_mov_b32_e32 v31, v0
	v_dual_mov_b32 v40, v0 :: v_dual_mov_b32 v1, s45
	v_mov_b32_e32 v0, s44
	v_dual_mov_b32 v2, s48 :: v_dual_mov_b32 v3, s49
	v_dual_mov_b32 v4, s50 :: v_dual_mov_b32 v5, s51
	;; [unrolled: 1-line block ×6, first 2 shown]
	s_add_u32 s8, s0, 0x50
	s_addc_u32 s9, s1, 0
	s_mov_b32 s12, s14
	s_mov_b32 s13, s15
	s_getpc_b64 s[4:5]
	s_add_u32 s4, s4, _ZN7rocprim17ROCPRIM_400000_NS6detail40segmented_radix_sort_single_block_helperIllLj256ELj16ELb1EE4sortIPKlPlS6_S7_EEbT_T0_T1_T2_jjjjRNS3_12storage_typeE@rel32@lo+4
	s_addc_u32 s5, s5, _ZN7rocprim17ROCPRIM_400000_NS6detail40segmented_radix_sort_single_block_helperIllLj256ELj16ELb1EE4sortIPKlPlS6_S7_EEbT_T0_T1_T2_jjjjRNS3_12storage_typeE@rel32@hi+12
	s_mov_b64 s[28:29], s[0:1]
	s_mov_b32 s27, s15
	s_mov_b32 s33, s14
	s_swappc_b64 s[30:31], s[4:5]
	v_mov_b32_e32 v0, v40
	s_mov_b32 s14, s33
	s_mov_b32 s15, s27
	s_mov_b64 s[0:1], s[28:29]
	s_mov_b32 s2, 0
.LBB741_12:
	s_delay_alu instid0(SALU_CYCLE_1)
	s_and_not1_b32 vcc_lo, exec_lo, s2
	s_cbranch_vccnz .LBB741_14
; %bb.13:
	s_mov_b64 s[2:3], src_shared_base
	v_mov_b32_e32 v31, v0
	v_dual_mov_b32 v40, v0 :: v_dual_mov_b32 v1, s45
	v_mov_b32_e32 v0, s44
	v_dual_mov_b32 v2, s46 :: v_dual_mov_b32 v3, s47
	v_dual_mov_b32 v4, s50 :: v_dual_mov_b32 v5, s51
	;; [unrolled: 1-line block ×6, first 2 shown]
	s_add_u32 s8, s0, 0x50
	s_addc_u32 s9, s1, 0
	s_mov_b32 s12, s14
	s_mov_b32 s13, s15
	s_getpc_b64 s[4:5]
	s_add_u32 s4, s4, _ZN7rocprim17ROCPRIM_400000_NS6detail40segmented_radix_sort_single_block_helperIllLj256ELj16ELb1EE4sortIPKlPlS6_S7_EEbT_T0_T1_T2_jjjjRNS3_12storage_typeE@rel32@lo+4
	s_addc_u32 s5, s5, _ZN7rocprim17ROCPRIM_400000_NS6detail40segmented_radix_sort_single_block_helperIllLj256ELj16ELb1EE4sortIPKlPlS6_S7_EEbT_T0_T1_T2_jjjjRNS3_12storage_typeE@rel32@hi+12
	s_mov_b64 s[28:29], s[0:1]
	s_mov_b32 s33, s15
	s_mov_b32 s27, s14
	s_swappc_b64 s[30:31], s[4:5]
	v_mov_b32_e32 v0, v40
	s_mov_b32 s14, s27
	s_mov_b32 s15, s33
	s_mov_b64 s[0:1], s[28:29]
.LBB741_14:
	s_mov_b32 s2, 0
.LBB741_15:
	s_delay_alu instid0(SALU_CYCLE_1)
	s_and_not1_b32 vcc_lo, exec_lo, s2
	s_cbranch_vccnz .LBB741_1198
; %bb.16:
	s_cmp_ge_u32 s57, s58
	s_cbranch_scc1 .LBB741_1198
; %bb.17:
	v_and_b32_e32 v1, 0x3ff, v0
	v_mov_b32_e32 v3, 0
	v_bfe_u32 v101, v0, 20, 10
	s_add_u32 s36, s0, 0x50
	v_bfe_u32 v0, v0, 10, 10
	v_lshlrev_b32_e32 v76, 2, v1
	v_lshrrev_b32_e32 v4, 3, v1
	v_lshlrev_b32_e32 v6, 5, v1
	v_dual_mov_b32 v123, 1 :: v_dual_lshlrev_b32 v2, 3, v1
	s_delay_alu instid0(VALU_DEP_4) | instskip(NEXT) | instid1(VALU_DEP_4)
	v_mad_u32_u24 v96, v1, 12, v76
	v_and_b32_e32 v94, 28, v4
	v_lshlrev_b32_e32 v4, 4, v1
	v_or_b32_e32 v5, 31, v1
	v_or_b32_e32 v78, 0x200, v1
	v_mad_u32_u24 v102, v1, 20, v96
	v_or_b32_e32 v79, 0x300, v1
	v_and_b32_e32 v100, 0xe00, v4
	v_cmp_eq_u32_e64 s3, v5, v1
	v_mul_u32_u24_e32 v4, 9, v1
	v_sub_nc_u32_e32 v104, v102, v6
	v_add_nc_u32_e32 v5, 1, v1
	v_lshlrev_b32_e32 v6, 3, v100
	v_or_b32_e32 v83, 0x400, v1
	v_or_b32_e32 v84, 0x500, v1
	;; [unrolled: 1-line block ×4, first 2 shown]
	v_add_co_u32 v106, s7, s54, v6
	s_delay_alu instid0(VALU_DEP_1) | instskip(SKIP_1) | instid1(VALU_DEP_1)
	v_add_co_ci_u32_e64 v107, null, s55, 0, s7
	v_add_co_u32 v108, s7, s48, v6
	v_add_co_ci_u32_e64 v109, null, s49, 0, s7
	v_add_co_u32 v111, s7, s46, v2
	s_delay_alu instid0(VALU_DEP_1) | instskip(SKIP_1) | instid1(VALU_DEP_1)
	v_add_co_ci_u32_e64 v112, null, s47, 0, s7
	v_add_co_u32 v113, s7, s52, v6
	v_add_co_ci_u32_e64 v114, null, s53, 0, s7
	v_add_co_u32 v115, s7, s46, v6
	s_delay_alu instid0(VALU_DEP_1)
	v_add_co_ci_u32_e64 v116, null, s47, 0, s7
	v_add_co_u32 v117, s7, s44, v2
	v_or_b32_e32 v87, 0x800, v1
	v_or_b32_e32 v88, 0x900, v1
	;; [unrolled: 1-line block ×5, first 2 shown]
	v_lshl_add_u32 v103, v4, 2, 0x420
	v_mul_u32_u24_e32 v4, 9, v5
	v_add_co_ci_u32_e64 v118, null, s45, 0, s7
	v_add_co_u32 v119, s7, s50, v6
	v_add_co_u32 v81, s2, s48, v2
	v_add_co_ci_u32_e64 v120, null, s51, 0, s7
	v_add_co_u32 v121, s7, s44, v6
	v_or_b32_e32 v77, 0x100, v1
	v_and_b32_e32 v80, 3, v1
	v_add_co_ci_u32_e64 v82, null, s49, 0, s2
	v_or_b32_e32 v92, 0xd00, v1
	v_or_b32_e32 v93, 0xe00, v1
	;; [unrolled: 1-line block ×3, first 2 shown]
	v_cmp_gt_u32_e64 s2, 0x100, v1
	v_or_b32_e32 v97, 0x8400, v94
	v_cmp_gt_u32_e64 s4, 8, v1
	v_add_nc_u32_e32 v98, 0x8400, v76
	v_cmp_lt_u32_e64 s5, 31, v1
	v_add_nc_u32_e32 v99, 0x83fc, v94
	v_cmp_eq_u32_e64 s0, 0, v1
	v_cmp_ne_u32_e64 s6, 0x100, v5
	v_lshlrev_b32_e32 v105, 2, v4
	v_add_nc_u32_e32 v110, 0x400, v2
	v_add_co_ci_u32_e64 v122, null, s45, 0, s7
	v_lshlrev_b32_e32 v124, 3, v1
	v_lshlrev_b32_e32 v125, 3, v78
	;; [unrolled: 1-line block ×12, first 2 shown]
	v_mbcnt_lo_u32_b32 v136, -1, 0
	s_mov_b32 s34, 0
	s_brev_b32 s35, 1
	s_addc_u32 s37, s1, 0
	s_mov_b32 s40, s57
	s_mov_b32 s41, s57
	s_branch .LBB741_20
.LBB741_18:                             ;   in Loop: Header=BB741_20 Depth=1
	s_waitcnt lgkmcnt(0)
	s_barrier
.LBB741_19:                             ;   in Loop: Header=BB741_20 Depth=1
	s_add_i32 s41, s41, 8
	buffer_gl0_inv
	s_cmp_ge_u32 s41, s58
	s_cbranch_scc1 .LBB741_1198
.LBB741_20:                             ; =>This Loop Header: Depth=1
                                        ;     Child Loop BB741_24 Depth 2
                                        ;     Child Loop BB741_106 Depth 2
	;; [unrolled: 1-line block ×8, first 2 shown]
	s_sub_i32 s1, s58, s41
	s_xor_b32 s59, s59, -1
	s_min_u32 s42, s1, 8
	s_cmp_lg_u32 s41, s57
	s_mov_b32 s1, -1
	ds_store_2addr_stride64_b32 v76, v3, v3 offset1:4
	ds_store_2addr_stride64_b32 v76, v3, v3 offset0:8 offset1:12
	s_waitcnt lgkmcnt(0)
	s_waitcnt_vscnt null, 0x0
	s_cbranch_scc0 .LBB741_610
; %bb.21:                               ;   in Loop: Header=BB741_20 Depth=1
	s_lshl_b32 s1, -1, s42
	s_and_b32 vcc_lo, exec_lo, s59
	s_not_b32 s43, s1
	s_mov_b32 s1, -1
	s_cbranch_vccz .LBB741_315
; %bb.22:                               ;   in Loop: Header=BB741_20 Depth=1
	s_mov_b32 s1, s62
	s_mov_b32 s8, s60
	s_barrier
	buffer_gl0_inv
                                        ; implicit-def: $vgpr34_vgpr35
                                        ; implicit-def: $vgpr4_vgpr5
                                        ; implicit-def: $vgpr6_vgpr7
                                        ; implicit-def: $vgpr8_vgpr9
                                        ; implicit-def: $vgpr10_vgpr11
                                        ; implicit-def: $vgpr12_vgpr13
                                        ; implicit-def: $vgpr14_vgpr15
                                        ; implicit-def: $vgpr16_vgpr17
                                        ; implicit-def: $vgpr18_vgpr19
                                        ; implicit-def: $vgpr20_vgpr21
                                        ; implicit-def: $vgpr22_vgpr23
                                        ; implicit-def: $vgpr24_vgpr25
                                        ; implicit-def: $vgpr26_vgpr27
                                        ; implicit-def: $vgpr28_vgpr29
                                        ; implicit-def: $vgpr30_vgpr31
                                        ; implicit-def: $vgpr32_vgpr33
	s_branch .LBB741_24
.LBB741_23:                             ;   in Loop: Header=BB741_24 Depth=2
	s_or_b32 exec_lo, exec_lo, s8
	s_addk_i32 s1, 0xf000
	s_cmp_ge_u32 s7, s61
	s_mov_b32 s8, s7
	s_cbranch_scc1 .LBB741_94
.LBB741_24:                             ;   Parent Loop BB741_20 Depth=1
                                        ; =>  This Inner Loop Header: Depth=2
	s_add_i32 s7, s8, 0x1000
	s_delay_alu instid0(SALU_CYCLE_1)
	s_cmp_gt_u32 s7, s61
	s_cbranch_scc1 .LBB741_27
; %bb.25:                               ;   in Loop: Header=BB741_24 Depth=2
	s_mov_b32 s9, 0
	s_movk_i32 s13, 0x1000
	s_lshl_b64 s[10:11], s[8:9], 3
	s_mov_b32 s12, -1
	v_add_co_u32 v36, vcc_lo, v81, s10
	v_add_co_ci_u32_e32 v37, vcc_lo, s11, v82, vcc_lo
	s_waitcnt vmcnt(12)
	s_delay_alu instid0(VALU_DEP_2) | instskip(NEXT) | instid1(VALU_DEP_2)
	v_add_co_u32 v42, vcc_lo, 0x1000, v36
	v_add_co_ci_u32_e32 v43, vcc_lo, 0, v37, vcc_lo
	s_waitcnt vmcnt(11)
	v_add_co_u32 v44, vcc_lo, 0x2000, v36
	v_add_co_ci_u32_e32 v45, vcc_lo, 0, v37, vcc_lo
	s_waitcnt vmcnt(1)
	v_add_co_u32 v50, vcc_lo, v36, 0x2000
	v_add_co_ci_u32_e32 v51, vcc_lo, 0, v37, vcc_lo
	v_add_co_u32 v52, vcc_lo, v36, 0x4000
	v_add_co_ci_u32_e32 v53, vcc_lo, 0, v37, vcc_lo
	;; [unrolled: 2-line block ×7, first 2 shown]
	s_waitcnt vmcnt(0)
	v_add_co_u32 v66, vcc_lo, 0x7000, v36
	v_add_co_ci_u32_e32 v67, vcc_lo, 0, v37, vcc_lo
	s_clause 0xe
	global_load_b64 v[38:39], v[36:37], off
	global_load_b64 v[40:41], v[36:37], off offset:2048
	global_load_b64 v[42:43], v[42:43], off offset:2048
	global_load_b64 v[44:45], v[44:45], off offset:2048
	global_load_b64 v[46:47], v[50:51], off
	global_load_b64 v[48:49], v[52:53], off offset:-4096
	global_load_b64 v[52:53], v[52:53], off
	global_load_b64 v[56:57], v[60:61], off offset:-4096
	global_load_b64 v[60:61], v[60:61], off
	global_load_b64 v[54:55], v[54:55], off offset:2048
	global_load_b64 v[58:59], v[58:59], off offset:2048
	;; [unrolled: 1-line block ×4, first 2 shown]
	global_load_b64 v[50:51], v[50:51], off offset:-4096
	global_load_b64 v[66:67], v[66:67], off
	v_add_co_u32 v36, vcc_lo, 0x7800, v36
	v_add_co_ci_u32_e32 v37, vcc_lo, 0, v37, vcc_lo
	s_cbranch_execz .LBB741_28
; %bb.26:                               ;   in Loop: Header=BB741_24 Depth=2
                                        ; implicit-def: $vgpr32_vgpr33
                                        ; implicit-def: $vgpr30_vgpr31
                                        ; implicit-def: $vgpr28_vgpr29
                                        ; implicit-def: $vgpr26_vgpr27
                                        ; implicit-def: $vgpr24_vgpr25
                                        ; implicit-def: $vgpr22_vgpr23
                                        ; implicit-def: $vgpr20_vgpr21
                                        ; implicit-def: $vgpr18_vgpr19
                                        ; implicit-def: $vgpr16_vgpr17
                                        ; implicit-def: $vgpr14_vgpr15
                                        ; implicit-def: $vgpr12_vgpr13
                                        ; implicit-def: $vgpr10_vgpr11
                                        ; implicit-def: $vgpr8_vgpr9
                                        ; implicit-def: $vgpr6_vgpr7
                                        ; implicit-def: $vgpr4_vgpr5
                                        ; implicit-def: $vgpr34_vgpr35
	v_mov_b32_e32 v2, s1
	s_and_saveexec_b32 s8, s12
	s_cbranch_execnz .LBB741_47
	s_branch .LBB741_48
.LBB741_27:                             ;   in Loop: Header=BB741_24 Depth=2
	s_mov_b32 s12, 0
                                        ; implicit-def: $sgpr13
                                        ; implicit-def: $vgpr38_vgpr39
                                        ; implicit-def: $vgpr40_vgpr41
                                        ; implicit-def: $vgpr50_vgpr51
                                        ; implicit-def: $vgpr42_vgpr43
                                        ; implicit-def: $vgpr46_vgpr47
                                        ; implicit-def: $vgpr44_vgpr45
                                        ; implicit-def: $vgpr48_vgpr49
                                        ; implicit-def: $vgpr54_vgpr55
                                        ; implicit-def: $vgpr52_vgpr53
                                        ; implicit-def: $vgpr58_vgpr59
                                        ; implicit-def: $vgpr56_vgpr57
                                        ; implicit-def: $vgpr62_vgpr63
                                        ; implicit-def: $vgpr60_vgpr61
                                        ; implicit-def: $vgpr64_vgpr65
                                        ; implicit-def: $vgpr66_vgpr67
                                        ; implicit-def: $vgpr36_vgpr37
.LBB741_28:                             ;   in Loop: Header=BB741_24 Depth=2
	s_mov_b32 s9, s34
	s_delay_alu instid0(SALU_CYCLE_1)
	s_lshl_b64 s[10:11], s[8:9], 3
	s_mov_b32 s9, exec_lo
	s_add_u32 s10, s48, s10
	s_addc_u32 s11, s49, s11
	v_cmpx_gt_u32_e64 s1, v1
	s_cbranch_execz .LBB741_80
; %bb.29:                               ;   in Loop: Header=BB741_24 Depth=2
	global_load_b64 v[32:33], v124, s[10:11]
	s_or_b32 exec_lo, exec_lo, s9
	s_delay_alu instid0(SALU_CYCLE_1)
	s_mov_b32 s9, exec_lo
	v_cmpx_gt_u32_e64 s1, v77
	s_cbranch_execnz .LBB741_81
.LBB741_30:                             ;   in Loop: Header=BB741_24 Depth=2
	s_or_b32 exec_lo, exec_lo, s9
	s_delay_alu instid0(SALU_CYCLE_1)
	s_mov_b32 s9, exec_lo
	v_cmpx_gt_u32_e64 s1, v78
	s_cbranch_execz .LBB741_82
.LBB741_31:                             ;   in Loop: Header=BB741_24 Depth=2
	global_load_b64 v[28:29], v125, s[10:11]
	s_or_b32 exec_lo, exec_lo, s9
	s_delay_alu instid0(SALU_CYCLE_1)
	s_mov_b32 s9, exec_lo
	v_cmpx_gt_u32_e64 s1, v79
	s_cbranch_execnz .LBB741_83
.LBB741_32:                             ;   in Loop: Header=BB741_24 Depth=2
	s_or_b32 exec_lo, exec_lo, s9
	s_delay_alu instid0(SALU_CYCLE_1)
	s_mov_b32 s9, exec_lo
	v_cmpx_gt_u32_e64 s1, v83
	s_cbranch_execz .LBB741_84
.LBB741_33:                             ;   in Loop: Header=BB741_24 Depth=2
	global_load_b64 v[24:25], v127, s[10:11]
	s_or_b32 exec_lo, exec_lo, s9
	s_delay_alu instid0(SALU_CYCLE_1)
	s_mov_b32 s9, exec_lo
	v_cmpx_gt_u32_e64 s1, v84
	s_cbranch_execnz .LBB741_85
.LBB741_34:                             ;   in Loop: Header=BB741_24 Depth=2
	s_or_b32 exec_lo, exec_lo, s9
	s_delay_alu instid0(SALU_CYCLE_1)
	s_mov_b32 s9, exec_lo
	v_cmpx_gt_u32_e64 s1, v85
	s_cbranch_execz .LBB741_86
.LBB741_35:                             ;   in Loop: Header=BB741_24 Depth=2
	global_load_b64 v[20:21], v129, s[10:11]
	s_or_b32 exec_lo, exec_lo, s9
	s_delay_alu instid0(SALU_CYCLE_1)
	s_mov_b32 s9, exec_lo
	v_cmpx_gt_u32_e64 s1, v86
	s_cbranch_execnz .LBB741_87
.LBB741_36:                             ;   in Loop: Header=BB741_24 Depth=2
	s_or_b32 exec_lo, exec_lo, s9
	s_delay_alu instid0(SALU_CYCLE_1)
	s_mov_b32 s9, exec_lo
	v_cmpx_gt_u32_e64 s1, v87
	s_cbranch_execz .LBB741_88
.LBB741_37:                             ;   in Loop: Header=BB741_24 Depth=2
	global_load_b64 v[16:17], v131, s[10:11]
	s_or_b32 exec_lo, exec_lo, s9
	s_delay_alu instid0(SALU_CYCLE_1)
	s_mov_b32 s9, exec_lo
	v_cmpx_gt_u32_e64 s1, v88
	s_cbranch_execnz .LBB741_89
.LBB741_38:                             ;   in Loop: Header=BB741_24 Depth=2
	s_or_b32 exec_lo, exec_lo, s9
	s_delay_alu instid0(SALU_CYCLE_1)
	s_mov_b32 s9, exec_lo
	v_cmpx_gt_u32_e64 s1, v89
	s_cbranch_execz .LBB741_90
.LBB741_39:                             ;   in Loop: Header=BB741_24 Depth=2
	global_load_b64 v[12:13], v133, s[10:11]
	s_or_b32 exec_lo, exec_lo, s9
	s_delay_alu instid0(SALU_CYCLE_1)
	s_mov_b32 s9, exec_lo
	v_cmpx_gt_u32_e64 s1, v90
	s_cbranch_execnz .LBB741_91
.LBB741_40:                             ;   in Loop: Header=BB741_24 Depth=2
	s_or_b32 exec_lo, exec_lo, s9
	s_delay_alu instid0(SALU_CYCLE_1)
	s_mov_b32 s9, exec_lo
	v_cmpx_gt_u32_e64 s1, v91
	s_cbranch_execz .LBB741_92
.LBB741_41:                             ;   in Loop: Header=BB741_24 Depth=2
	global_load_b64 v[8:9], v135, s[10:11]
	s_or_b32 exec_lo, exec_lo, s9
	s_delay_alu instid0(SALU_CYCLE_1)
	s_mov_b32 s9, exec_lo
	v_cmpx_gt_u32_e64 s1, v92
	s_cbranch_execnz .LBB741_93
.LBB741_42:                             ;   in Loop: Header=BB741_24 Depth=2
	s_or_b32 exec_lo, exec_lo, s9
	s_delay_alu instid0(SALU_CYCLE_1)
	s_mov_b32 s9, exec_lo
	v_cmpx_gt_u32_e64 s1, v93
	s_cbranch_execz .LBB741_44
.LBB741_43:                             ;   in Loop: Header=BB741_24 Depth=2
	v_lshlrev_b32_e32 v2, 3, v93
	global_load_b64 v[4:5], v2, s[10:11]
.LBB741_44:                             ;   in Loop: Header=BB741_24 Depth=2
	s_or_b32 exec_lo, exec_lo, s9
	s_delay_alu instid0(SALU_CYCLE_1)
	s_mov_b32 s9, exec_lo
                                        ; implicit-def: $sgpr13
                                        ; implicit-def: $vgpr36_vgpr37
	v_cmpx_gt_u32_e64 s1, v95
; %bb.45:                               ;   in Loop: Header=BB741_24 Depth=2
	v_lshlrev_b32_e32 v2, 3, v95
	s_sub_i32 s13, s61, s8
	s_or_b32 s12, s12, exec_lo
                                        ; implicit-def: $vgpr34_vgpr35
	s_delay_alu instid0(VALU_DEP_1) | instskip(NEXT) | instid1(VALU_DEP_1)
	v_add_co_u32 v36, s10, s10, v2
	v_add_co_ci_u32_e64 v37, null, s11, 0, s10
; %bb.46:                               ;   in Loop: Header=BB741_24 Depth=2
	s_or_b32 exec_lo, exec_lo, s9
	s_waitcnt vmcnt(0)
	v_dual_mov_b32 v39, v33 :: v_dual_mov_b32 v38, v32
	v_dual_mov_b32 v41, v31 :: v_dual_mov_b32 v40, v30
	;; [unrolled: 1-line block ×15, first 2 shown]
	v_mov_b32_e32 v2, s1
	s_and_saveexec_b32 s8, s12
	s_cbranch_execz .LBB741_48
.LBB741_47:                             ;   in Loop: Header=BB741_24 Depth=2
	global_load_b64 v[34:35], v[36:37], off
	s_waitcnt vmcnt(1)
	v_mov_b32_e32 v4, v66
	v_mov_b32_e32 v6, v64
	;; [unrolled: 1-line block ×14, first 2 shown]
	v_dual_mov_b32 v32, v38 :: v_dual_mov_b32 v33, v39
	v_dual_mov_b32 v2, s13 :: v_dual_mov_b32 v5, v67
	v_mov_b32_e32 v7, v65
	v_mov_b32_e32 v9, v61
	;; [unrolled: 1-line block ×13, first 2 shown]
.LBB741_48:                             ;   in Loop: Header=BB741_24 Depth=2
	s_or_b32 exec_lo, exec_lo, s8
	s_delay_alu instid0(SALU_CYCLE_1)
	s_mov_b32 s8, exec_lo
	v_cmpx_lt_u32_e64 v1, v2
	s_cbranch_execz .LBB741_64
; %bb.49:                               ;   in Loop: Header=BB741_24 Depth=2
	v_xor_b32_e32 v37, 0x7fffffff, v33
	v_not_b32_e32 v36, v32
	s_delay_alu instid0(VALU_DEP_1) | instskip(SKIP_1) | instid1(VALU_DEP_2)
	v_lshrrev_b64 v[36:37], s41, v[36:37]
	v_lshlrev_b32_e32 v37, 2, v80
	v_and_b32_e32 v36, s43, v36
	s_delay_alu instid0(VALU_DEP_1) | instskip(SKIP_2) | instid1(SALU_CYCLE_1)
	v_lshl_or_b32 v36, v36, 4, v37
	ds_add_u32 v36, v123
	s_or_b32 exec_lo, exec_lo, s8
	s_mov_b32 s8, exec_lo
	v_cmpx_lt_u32_e64 v77, v2
	s_cbranch_execnz .LBB741_65
.LBB741_50:                             ;   in Loop: Header=BB741_24 Depth=2
	s_or_b32 exec_lo, exec_lo, s8
	s_delay_alu instid0(SALU_CYCLE_1)
	s_mov_b32 s8, exec_lo
	v_cmpx_lt_u32_e64 v78, v2
	s_cbranch_execz .LBB741_66
.LBB741_51:                             ;   in Loop: Header=BB741_24 Depth=2
	v_xor_b32_e32 v37, 0x7fffffff, v29
	v_not_b32_e32 v36, v28
	s_delay_alu instid0(VALU_DEP_1) | instskip(SKIP_1) | instid1(VALU_DEP_2)
	v_lshrrev_b64 v[36:37], s41, v[36:37]
	v_lshlrev_b32_e32 v37, 2, v80
	v_and_b32_e32 v36, s43, v36
	s_delay_alu instid0(VALU_DEP_1) | instskip(SKIP_2) | instid1(SALU_CYCLE_1)
	v_lshl_or_b32 v36, v36, 4, v37
	ds_add_u32 v36, v123
	s_or_b32 exec_lo, exec_lo, s8
	s_mov_b32 s8, exec_lo
	v_cmpx_lt_u32_e64 v79, v2
	s_cbranch_execnz .LBB741_67
.LBB741_52:                             ;   in Loop: Header=BB741_24 Depth=2
	s_or_b32 exec_lo, exec_lo, s8
	s_delay_alu instid0(SALU_CYCLE_1)
	s_mov_b32 s8, exec_lo
	v_cmpx_lt_u32_e64 v83, v2
	s_cbranch_execz .LBB741_68
.LBB741_53:                             ;   in Loop: Header=BB741_24 Depth=2
	v_xor_b32_e32 v37, 0x7fffffff, v25
	v_not_b32_e32 v36, v24
	s_delay_alu instid0(VALU_DEP_1) | instskip(SKIP_1) | instid1(VALU_DEP_2)
	v_lshrrev_b64 v[36:37], s41, v[36:37]
	v_lshlrev_b32_e32 v37, 2, v80
	v_and_b32_e32 v36, s43, v36
	s_delay_alu instid0(VALU_DEP_1) | instskip(SKIP_2) | instid1(SALU_CYCLE_1)
	v_lshl_or_b32 v36, v36, 4, v37
	ds_add_u32 v36, v123
	s_or_b32 exec_lo, exec_lo, s8
	s_mov_b32 s8, exec_lo
	v_cmpx_lt_u32_e64 v84, v2
	s_cbranch_execnz .LBB741_69
.LBB741_54:                             ;   in Loop: Header=BB741_24 Depth=2
	s_or_b32 exec_lo, exec_lo, s8
	s_delay_alu instid0(SALU_CYCLE_1)
	s_mov_b32 s8, exec_lo
	v_cmpx_lt_u32_e64 v85, v2
	s_cbranch_execz .LBB741_70
.LBB741_55:                             ;   in Loop: Header=BB741_24 Depth=2
	v_xor_b32_e32 v37, 0x7fffffff, v21
	v_not_b32_e32 v36, v20
	s_delay_alu instid0(VALU_DEP_1) | instskip(SKIP_1) | instid1(VALU_DEP_2)
	v_lshrrev_b64 v[36:37], s41, v[36:37]
	v_lshlrev_b32_e32 v37, 2, v80
	v_and_b32_e32 v36, s43, v36
	s_delay_alu instid0(VALU_DEP_1) | instskip(SKIP_2) | instid1(SALU_CYCLE_1)
	v_lshl_or_b32 v36, v36, 4, v37
	ds_add_u32 v36, v123
	s_or_b32 exec_lo, exec_lo, s8
	s_mov_b32 s8, exec_lo
	v_cmpx_lt_u32_e64 v86, v2
	s_cbranch_execnz .LBB741_71
.LBB741_56:                             ;   in Loop: Header=BB741_24 Depth=2
	s_or_b32 exec_lo, exec_lo, s8
	s_delay_alu instid0(SALU_CYCLE_1)
	s_mov_b32 s8, exec_lo
	v_cmpx_lt_u32_e64 v87, v2
	s_cbranch_execz .LBB741_72
.LBB741_57:                             ;   in Loop: Header=BB741_24 Depth=2
	v_xor_b32_e32 v37, 0x7fffffff, v17
	v_not_b32_e32 v36, v16
	s_delay_alu instid0(VALU_DEP_1) | instskip(SKIP_1) | instid1(VALU_DEP_2)
	v_lshrrev_b64 v[36:37], s41, v[36:37]
	v_lshlrev_b32_e32 v37, 2, v80
	v_and_b32_e32 v36, s43, v36
	s_delay_alu instid0(VALU_DEP_1) | instskip(SKIP_2) | instid1(SALU_CYCLE_1)
	v_lshl_or_b32 v36, v36, 4, v37
	ds_add_u32 v36, v123
	s_or_b32 exec_lo, exec_lo, s8
	s_mov_b32 s8, exec_lo
	v_cmpx_lt_u32_e64 v88, v2
	s_cbranch_execnz .LBB741_73
.LBB741_58:                             ;   in Loop: Header=BB741_24 Depth=2
	s_or_b32 exec_lo, exec_lo, s8
	s_delay_alu instid0(SALU_CYCLE_1)
	s_mov_b32 s8, exec_lo
	v_cmpx_lt_u32_e64 v89, v2
	s_cbranch_execz .LBB741_74
.LBB741_59:                             ;   in Loop: Header=BB741_24 Depth=2
	v_xor_b32_e32 v37, 0x7fffffff, v13
	v_not_b32_e32 v36, v12
	s_delay_alu instid0(VALU_DEP_1) | instskip(SKIP_1) | instid1(VALU_DEP_2)
	v_lshrrev_b64 v[36:37], s41, v[36:37]
	v_lshlrev_b32_e32 v37, 2, v80
	v_and_b32_e32 v36, s43, v36
	s_delay_alu instid0(VALU_DEP_1) | instskip(SKIP_2) | instid1(SALU_CYCLE_1)
	v_lshl_or_b32 v36, v36, 4, v37
	ds_add_u32 v36, v123
	s_or_b32 exec_lo, exec_lo, s8
	s_mov_b32 s8, exec_lo
	v_cmpx_lt_u32_e64 v90, v2
	s_cbranch_execnz .LBB741_75
.LBB741_60:                             ;   in Loop: Header=BB741_24 Depth=2
	s_or_b32 exec_lo, exec_lo, s8
	s_delay_alu instid0(SALU_CYCLE_1)
	s_mov_b32 s8, exec_lo
	v_cmpx_lt_u32_e64 v91, v2
	s_cbranch_execz .LBB741_76
.LBB741_61:                             ;   in Loop: Header=BB741_24 Depth=2
	v_xor_b32_e32 v37, 0x7fffffff, v9
	v_not_b32_e32 v36, v8
	s_delay_alu instid0(VALU_DEP_1) | instskip(SKIP_1) | instid1(VALU_DEP_2)
	v_lshrrev_b64 v[36:37], s41, v[36:37]
	v_lshlrev_b32_e32 v37, 2, v80
	v_and_b32_e32 v36, s43, v36
	s_delay_alu instid0(VALU_DEP_1) | instskip(SKIP_2) | instid1(SALU_CYCLE_1)
	v_lshl_or_b32 v36, v36, 4, v37
	ds_add_u32 v36, v123
	s_or_b32 exec_lo, exec_lo, s8
	s_mov_b32 s8, exec_lo
	v_cmpx_lt_u32_e64 v92, v2
	s_cbranch_execnz .LBB741_77
.LBB741_62:                             ;   in Loop: Header=BB741_24 Depth=2
	s_or_b32 exec_lo, exec_lo, s8
	s_delay_alu instid0(SALU_CYCLE_1)
	s_mov_b32 s8, exec_lo
	v_cmpx_lt_u32_e64 v93, v2
	s_cbranch_execz .LBB741_78
.LBB741_63:                             ;   in Loop: Header=BB741_24 Depth=2
	v_xor_b32_e32 v37, 0x7fffffff, v5
	v_not_b32_e32 v36, v4
	s_delay_alu instid0(VALU_DEP_1) | instskip(SKIP_1) | instid1(VALU_DEP_2)
	v_lshrrev_b64 v[36:37], s41, v[36:37]
	v_lshlrev_b32_e32 v37, 2, v80
	v_and_b32_e32 v36, s43, v36
	s_delay_alu instid0(VALU_DEP_1) | instskip(SKIP_2) | instid1(SALU_CYCLE_1)
	v_lshl_or_b32 v36, v36, 4, v37
	ds_add_u32 v36, v123
	s_or_b32 exec_lo, exec_lo, s8
	s_mov_b32 s8, exec_lo
	v_cmpx_lt_u32_e64 v95, v2
	s_cbranch_execz .LBB741_23
	s_branch .LBB741_79
.LBB741_64:                             ;   in Loop: Header=BB741_24 Depth=2
	s_or_b32 exec_lo, exec_lo, s8
	s_delay_alu instid0(SALU_CYCLE_1)
	s_mov_b32 s8, exec_lo
	v_cmpx_lt_u32_e64 v77, v2
	s_cbranch_execz .LBB741_50
.LBB741_65:                             ;   in Loop: Header=BB741_24 Depth=2
	v_xor_b32_e32 v37, 0x7fffffff, v31
	v_not_b32_e32 v36, v30
	s_delay_alu instid0(VALU_DEP_1) | instskip(SKIP_1) | instid1(VALU_DEP_2)
	v_lshrrev_b64 v[36:37], s41, v[36:37]
	v_lshlrev_b32_e32 v37, 2, v80
	v_and_b32_e32 v36, s43, v36
	s_delay_alu instid0(VALU_DEP_1) | instskip(SKIP_2) | instid1(SALU_CYCLE_1)
	v_lshl_or_b32 v36, v36, 4, v37
	ds_add_u32 v36, v123
	s_or_b32 exec_lo, exec_lo, s8
	s_mov_b32 s8, exec_lo
	v_cmpx_lt_u32_e64 v78, v2
	s_cbranch_execnz .LBB741_51
.LBB741_66:                             ;   in Loop: Header=BB741_24 Depth=2
	s_or_b32 exec_lo, exec_lo, s8
	s_delay_alu instid0(SALU_CYCLE_1)
	s_mov_b32 s8, exec_lo
	v_cmpx_lt_u32_e64 v79, v2
	s_cbranch_execz .LBB741_52
.LBB741_67:                             ;   in Loop: Header=BB741_24 Depth=2
	v_xor_b32_e32 v37, 0x7fffffff, v27
	v_not_b32_e32 v36, v26
	s_delay_alu instid0(VALU_DEP_1) | instskip(SKIP_1) | instid1(VALU_DEP_2)
	v_lshrrev_b64 v[36:37], s41, v[36:37]
	v_lshlrev_b32_e32 v37, 2, v80
	v_and_b32_e32 v36, s43, v36
	s_delay_alu instid0(VALU_DEP_1) | instskip(SKIP_2) | instid1(SALU_CYCLE_1)
	v_lshl_or_b32 v36, v36, 4, v37
	ds_add_u32 v36, v123
	s_or_b32 exec_lo, exec_lo, s8
	s_mov_b32 s8, exec_lo
	v_cmpx_lt_u32_e64 v83, v2
	s_cbranch_execnz .LBB741_53
.LBB741_68:                             ;   in Loop: Header=BB741_24 Depth=2
	s_or_b32 exec_lo, exec_lo, s8
	s_delay_alu instid0(SALU_CYCLE_1)
	s_mov_b32 s8, exec_lo
	v_cmpx_lt_u32_e64 v84, v2
	s_cbranch_execz .LBB741_54
.LBB741_69:                             ;   in Loop: Header=BB741_24 Depth=2
	v_xor_b32_e32 v37, 0x7fffffff, v23
	v_not_b32_e32 v36, v22
	s_delay_alu instid0(VALU_DEP_1) | instskip(SKIP_1) | instid1(VALU_DEP_2)
	v_lshrrev_b64 v[36:37], s41, v[36:37]
	v_lshlrev_b32_e32 v37, 2, v80
	v_and_b32_e32 v36, s43, v36
	s_delay_alu instid0(VALU_DEP_1) | instskip(SKIP_2) | instid1(SALU_CYCLE_1)
	v_lshl_or_b32 v36, v36, 4, v37
	ds_add_u32 v36, v123
	s_or_b32 exec_lo, exec_lo, s8
	s_mov_b32 s8, exec_lo
	v_cmpx_lt_u32_e64 v85, v2
	s_cbranch_execnz .LBB741_55
.LBB741_70:                             ;   in Loop: Header=BB741_24 Depth=2
	s_or_b32 exec_lo, exec_lo, s8
	s_delay_alu instid0(SALU_CYCLE_1)
	s_mov_b32 s8, exec_lo
	v_cmpx_lt_u32_e64 v86, v2
	s_cbranch_execz .LBB741_56
.LBB741_71:                             ;   in Loop: Header=BB741_24 Depth=2
	v_xor_b32_e32 v37, 0x7fffffff, v19
	v_not_b32_e32 v36, v18
	s_delay_alu instid0(VALU_DEP_1) | instskip(SKIP_1) | instid1(VALU_DEP_2)
	v_lshrrev_b64 v[36:37], s41, v[36:37]
	v_lshlrev_b32_e32 v37, 2, v80
	v_and_b32_e32 v36, s43, v36
	s_delay_alu instid0(VALU_DEP_1) | instskip(SKIP_2) | instid1(SALU_CYCLE_1)
	v_lshl_or_b32 v36, v36, 4, v37
	ds_add_u32 v36, v123
	s_or_b32 exec_lo, exec_lo, s8
	s_mov_b32 s8, exec_lo
	v_cmpx_lt_u32_e64 v87, v2
	s_cbranch_execnz .LBB741_57
.LBB741_72:                             ;   in Loop: Header=BB741_24 Depth=2
	s_or_b32 exec_lo, exec_lo, s8
	s_delay_alu instid0(SALU_CYCLE_1)
	s_mov_b32 s8, exec_lo
	v_cmpx_lt_u32_e64 v88, v2
	s_cbranch_execz .LBB741_58
.LBB741_73:                             ;   in Loop: Header=BB741_24 Depth=2
	v_xor_b32_e32 v37, 0x7fffffff, v15
	v_not_b32_e32 v36, v14
	s_delay_alu instid0(VALU_DEP_1) | instskip(SKIP_1) | instid1(VALU_DEP_2)
	v_lshrrev_b64 v[36:37], s41, v[36:37]
	v_lshlrev_b32_e32 v37, 2, v80
	v_and_b32_e32 v36, s43, v36
	s_delay_alu instid0(VALU_DEP_1) | instskip(SKIP_2) | instid1(SALU_CYCLE_1)
	v_lshl_or_b32 v36, v36, 4, v37
	ds_add_u32 v36, v123
	s_or_b32 exec_lo, exec_lo, s8
	s_mov_b32 s8, exec_lo
	v_cmpx_lt_u32_e64 v89, v2
	s_cbranch_execnz .LBB741_59
.LBB741_74:                             ;   in Loop: Header=BB741_24 Depth=2
	s_or_b32 exec_lo, exec_lo, s8
	s_delay_alu instid0(SALU_CYCLE_1)
	s_mov_b32 s8, exec_lo
	v_cmpx_lt_u32_e64 v90, v2
	s_cbranch_execz .LBB741_60
.LBB741_75:                             ;   in Loop: Header=BB741_24 Depth=2
	v_xor_b32_e32 v37, 0x7fffffff, v11
	v_not_b32_e32 v36, v10
	s_delay_alu instid0(VALU_DEP_1) | instskip(SKIP_1) | instid1(VALU_DEP_2)
	v_lshrrev_b64 v[36:37], s41, v[36:37]
	v_lshlrev_b32_e32 v37, 2, v80
	v_and_b32_e32 v36, s43, v36
	s_delay_alu instid0(VALU_DEP_1) | instskip(SKIP_2) | instid1(SALU_CYCLE_1)
	v_lshl_or_b32 v36, v36, 4, v37
	ds_add_u32 v36, v123
	s_or_b32 exec_lo, exec_lo, s8
	s_mov_b32 s8, exec_lo
	v_cmpx_lt_u32_e64 v91, v2
	s_cbranch_execnz .LBB741_61
.LBB741_76:                             ;   in Loop: Header=BB741_24 Depth=2
	s_or_b32 exec_lo, exec_lo, s8
	s_delay_alu instid0(SALU_CYCLE_1)
	s_mov_b32 s8, exec_lo
	v_cmpx_lt_u32_e64 v92, v2
	s_cbranch_execz .LBB741_62
.LBB741_77:                             ;   in Loop: Header=BB741_24 Depth=2
	v_xor_b32_e32 v37, 0x7fffffff, v7
	v_not_b32_e32 v36, v6
	s_delay_alu instid0(VALU_DEP_1) | instskip(SKIP_1) | instid1(VALU_DEP_2)
	v_lshrrev_b64 v[36:37], s41, v[36:37]
	v_lshlrev_b32_e32 v37, 2, v80
	v_and_b32_e32 v36, s43, v36
	s_delay_alu instid0(VALU_DEP_1) | instskip(SKIP_2) | instid1(SALU_CYCLE_1)
	v_lshl_or_b32 v36, v36, 4, v37
	ds_add_u32 v36, v123
	s_or_b32 exec_lo, exec_lo, s8
	s_mov_b32 s8, exec_lo
	v_cmpx_lt_u32_e64 v93, v2
	s_cbranch_execnz .LBB741_63
.LBB741_78:                             ;   in Loop: Header=BB741_24 Depth=2
	s_or_b32 exec_lo, exec_lo, s8
	s_delay_alu instid0(SALU_CYCLE_1)
	s_mov_b32 s8, exec_lo
	v_cmpx_lt_u32_e64 v95, v2
	s_cbranch_execz .LBB741_23
.LBB741_79:                             ;   in Loop: Header=BB741_24 Depth=2
	s_waitcnt vmcnt(0)
	v_xor_b32_e32 v37, 0x7fffffff, v35
	v_not_b32_e32 v36, v34
	s_delay_alu instid0(VALU_DEP_1) | instskip(NEXT) | instid1(VALU_DEP_1)
	v_lshrrev_b64 v[36:37], s41, v[36:37]
	v_and_b32_e32 v2, s43, v36
	v_lshlrev_b32_e32 v36, 2, v80
	s_delay_alu instid0(VALU_DEP_1)
	v_lshl_or_b32 v2, v2, 4, v36
	ds_add_u32 v2, v123
	s_branch .LBB741_23
.LBB741_80:                             ;   in Loop: Header=BB741_24 Depth=2
	s_or_b32 exec_lo, exec_lo, s9
	s_delay_alu instid0(SALU_CYCLE_1)
	s_mov_b32 s9, exec_lo
	v_cmpx_gt_u32_e64 s1, v77
	s_cbranch_execz .LBB741_30
.LBB741_81:                             ;   in Loop: Header=BB741_24 Depth=2
	global_load_b64 v[30:31], v124, s[10:11] offset:2048
	s_or_b32 exec_lo, exec_lo, s9
	s_delay_alu instid0(SALU_CYCLE_1)
	s_mov_b32 s9, exec_lo
	v_cmpx_gt_u32_e64 s1, v78
	s_cbranch_execnz .LBB741_31
.LBB741_82:                             ;   in Loop: Header=BB741_24 Depth=2
	s_or_b32 exec_lo, exec_lo, s9
	s_delay_alu instid0(SALU_CYCLE_1)
	s_mov_b32 s9, exec_lo
	v_cmpx_gt_u32_e64 s1, v79
	s_cbranch_execz .LBB741_32
.LBB741_83:                             ;   in Loop: Header=BB741_24 Depth=2
	global_load_b64 v[26:27], v126, s[10:11]
	s_or_b32 exec_lo, exec_lo, s9
	s_delay_alu instid0(SALU_CYCLE_1)
	s_mov_b32 s9, exec_lo
	v_cmpx_gt_u32_e64 s1, v83
	s_cbranch_execnz .LBB741_33
.LBB741_84:                             ;   in Loop: Header=BB741_24 Depth=2
	s_or_b32 exec_lo, exec_lo, s9
	s_delay_alu instid0(SALU_CYCLE_1)
	s_mov_b32 s9, exec_lo
	v_cmpx_gt_u32_e64 s1, v84
	s_cbranch_execz .LBB741_34
.LBB741_85:                             ;   in Loop: Header=BB741_24 Depth=2
	global_load_b64 v[22:23], v128, s[10:11]
	s_or_b32 exec_lo, exec_lo, s9
	s_delay_alu instid0(SALU_CYCLE_1)
	s_mov_b32 s9, exec_lo
	v_cmpx_gt_u32_e64 s1, v85
	s_cbranch_execnz .LBB741_35
.LBB741_86:                             ;   in Loop: Header=BB741_24 Depth=2
	s_or_b32 exec_lo, exec_lo, s9
	s_delay_alu instid0(SALU_CYCLE_1)
	s_mov_b32 s9, exec_lo
	v_cmpx_gt_u32_e64 s1, v86
	s_cbranch_execz .LBB741_36
.LBB741_87:                             ;   in Loop: Header=BB741_24 Depth=2
	global_load_b64 v[18:19], v130, s[10:11]
	s_or_b32 exec_lo, exec_lo, s9
	s_delay_alu instid0(SALU_CYCLE_1)
	s_mov_b32 s9, exec_lo
	v_cmpx_gt_u32_e64 s1, v87
	s_cbranch_execnz .LBB741_37
.LBB741_88:                             ;   in Loop: Header=BB741_24 Depth=2
	s_or_b32 exec_lo, exec_lo, s9
	s_delay_alu instid0(SALU_CYCLE_1)
	s_mov_b32 s9, exec_lo
	v_cmpx_gt_u32_e64 s1, v88
	s_cbranch_execz .LBB741_38
.LBB741_89:                             ;   in Loop: Header=BB741_24 Depth=2
	global_load_b64 v[14:15], v132, s[10:11]
	s_or_b32 exec_lo, exec_lo, s9
	s_delay_alu instid0(SALU_CYCLE_1)
	s_mov_b32 s9, exec_lo
	v_cmpx_gt_u32_e64 s1, v89
	s_cbranch_execnz .LBB741_39
.LBB741_90:                             ;   in Loop: Header=BB741_24 Depth=2
	s_or_b32 exec_lo, exec_lo, s9
	s_delay_alu instid0(SALU_CYCLE_1)
	s_mov_b32 s9, exec_lo
	v_cmpx_gt_u32_e64 s1, v90
	s_cbranch_execz .LBB741_40
.LBB741_91:                             ;   in Loop: Header=BB741_24 Depth=2
	global_load_b64 v[10:11], v134, s[10:11]
	s_or_b32 exec_lo, exec_lo, s9
	s_delay_alu instid0(SALU_CYCLE_1)
	s_mov_b32 s9, exec_lo
	v_cmpx_gt_u32_e64 s1, v91
	s_cbranch_execnz .LBB741_41
.LBB741_92:                             ;   in Loop: Header=BB741_24 Depth=2
	s_or_b32 exec_lo, exec_lo, s9
	s_delay_alu instid0(SALU_CYCLE_1)
	s_mov_b32 s9, exec_lo
	v_cmpx_gt_u32_e64 s1, v92
	s_cbranch_execz .LBB741_42
.LBB741_93:                             ;   in Loop: Header=BB741_24 Depth=2
	v_lshlrev_b32_e32 v2, 3, v92
	global_load_b64 v[6:7], v2, s[10:11]
	s_or_b32 exec_lo, exec_lo, s9
	s_delay_alu instid0(SALU_CYCLE_1)
	s_mov_b32 s9, exec_lo
	v_cmpx_gt_u32_e64 s1, v93
	s_cbranch_execz .LBB741_44
	s_branch .LBB741_43
.LBB741_94:                             ;   in Loop: Header=BB741_20 Depth=1
	v_mov_b32_e32 v2, 0
	s_waitcnt vmcnt(0) lgkmcnt(0)
	s_barrier
	buffer_gl0_inv
	s_and_saveexec_b32 s1, s2
	s_cbranch_execz .LBB741_96
; %bb.95:                               ;   in Loop: Header=BB741_20 Depth=1
	ds_load_2addr_b64 v[4:7], v96 offset1:1
	s_waitcnt lgkmcnt(0)
	v_add_nc_u32_e32 v2, v5, v4
	s_delay_alu instid0(VALU_DEP_1)
	v_add3_u32 v2, v2, v6, v7
.LBB741_96:                             ;   in Loop: Header=BB741_20 Depth=1
	s_or_b32 exec_lo, exec_lo, s1
	v_and_b32_e32 v4, 15, v136
	s_delay_alu instid0(VALU_DEP_2) | instskip(SKIP_1) | instid1(VALU_DEP_3)
	v_mov_b32_dpp v5, v2 row_shr:1 row_mask:0xf bank_mask:0xf
	v_and_b32_e32 v6, 16, v136
	v_cmp_eq_u32_e64 s1, 0, v4
	v_cmp_lt_u32_e64 s7, 1, v4
	v_cmp_lt_u32_e64 s8, 3, v4
	;; [unrolled: 1-line block ×3, first 2 shown]
	v_cmp_eq_u32_e64 s10, 0, v6
	v_cndmask_b32_e64 v5, v5, 0, s1
	s_delay_alu instid0(VALU_DEP_1) | instskip(NEXT) | instid1(VALU_DEP_1)
	v_add_nc_u32_e32 v2, v5, v2
	v_mov_b32_dpp v5, v2 row_shr:2 row_mask:0xf bank_mask:0xf
	s_delay_alu instid0(VALU_DEP_1) | instskip(NEXT) | instid1(VALU_DEP_1)
	v_cndmask_b32_e64 v5, 0, v5, s7
	v_add_nc_u32_e32 v2, v2, v5
	s_delay_alu instid0(VALU_DEP_1) | instskip(NEXT) | instid1(VALU_DEP_1)
	v_mov_b32_dpp v5, v2 row_shr:4 row_mask:0xf bank_mask:0xf
	v_cndmask_b32_e64 v5, 0, v5, s8
	s_delay_alu instid0(VALU_DEP_1) | instskip(NEXT) | instid1(VALU_DEP_1)
	v_add_nc_u32_e32 v2, v2, v5
	v_mov_b32_dpp v5, v2 row_shr:8 row_mask:0xf bank_mask:0xf
	s_delay_alu instid0(VALU_DEP_1) | instskip(SKIP_1) | instid1(VALU_DEP_2)
	v_cndmask_b32_e64 v4, 0, v5, s9
	v_bfe_i32 v5, v136, 4, 1
	v_add_nc_u32_e32 v2, v2, v4
	ds_swizzle_b32 v4, v2 offset:swizzle(BROADCAST,32,15)
	s_waitcnt lgkmcnt(0)
	v_and_b32_e32 v4, v5, v4
	s_delay_alu instid0(VALU_DEP_1)
	v_add_nc_u32_e32 v4, v2, v4
	s_and_saveexec_b32 s11, s3
	s_cbranch_execz .LBB741_98
; %bb.97:                               ;   in Loop: Header=BB741_20 Depth=1
	ds_store_b32 v97, v4
.LBB741_98:                             ;   in Loop: Header=BB741_20 Depth=1
	s_or_b32 exec_lo, exec_lo, s11
	v_and_b32_e32 v2, 7, v136
	s_waitcnt lgkmcnt(0)
	s_barrier
	buffer_gl0_inv
	s_and_saveexec_b32 s11, s4
	s_cbranch_execz .LBB741_100
; %bb.99:                               ;   in Loop: Header=BB741_20 Depth=1
	ds_load_b32 v5, v98
	v_cmp_ne_u32_e32 vcc_lo, 0, v2
	s_waitcnt lgkmcnt(0)
	v_mov_b32_dpp v6, v5 row_shr:1 row_mask:0xf bank_mask:0xf
	s_delay_alu instid0(VALU_DEP_1) | instskip(SKIP_1) | instid1(VALU_DEP_2)
	v_cndmask_b32_e32 v6, 0, v6, vcc_lo
	v_cmp_lt_u32_e32 vcc_lo, 1, v2
	v_add_nc_u32_e32 v5, v6, v5
	s_delay_alu instid0(VALU_DEP_1) | instskip(NEXT) | instid1(VALU_DEP_1)
	v_mov_b32_dpp v6, v5 row_shr:2 row_mask:0xf bank_mask:0xf
	v_cndmask_b32_e32 v6, 0, v6, vcc_lo
	v_cmp_lt_u32_e32 vcc_lo, 3, v2
	s_delay_alu instid0(VALU_DEP_2) | instskip(NEXT) | instid1(VALU_DEP_1)
	v_add_nc_u32_e32 v5, v5, v6
	v_mov_b32_dpp v6, v5 row_shr:4 row_mask:0xf bank_mask:0xf
	s_delay_alu instid0(VALU_DEP_1) | instskip(NEXT) | instid1(VALU_DEP_1)
	v_cndmask_b32_e32 v6, 0, v6, vcc_lo
	v_add_nc_u32_e32 v5, v5, v6
	ds_store_b32 v98, v5
.LBB741_100:                            ;   in Loop: Header=BB741_20 Depth=1
	s_or_b32 exec_lo, exec_lo, s11
	v_mov_b32_e32 v5, 0
	s_waitcnt lgkmcnt(0)
	s_barrier
	buffer_gl0_inv
	s_and_saveexec_b32 s11, s5
	s_cbranch_execz .LBB741_102
; %bb.101:                              ;   in Loop: Header=BB741_20 Depth=1
	ds_load_b32 v5, v99
.LBB741_102:                            ;   in Loop: Header=BB741_20 Depth=1
	s_or_b32 exec_lo, exec_lo, s11
	v_add_nc_u32_e32 v6, -1, v136
	s_waitcnt lgkmcnt(0)
	v_add_nc_u32_e32 v4, v5, v4
	v_cmp_eq_u32_e64 s11, 0, v136
	s_barrier
	v_cmp_gt_i32_e32 vcc_lo, 0, v6
	buffer_gl0_inv
	v_cndmask_b32_e32 v6, v6, v136, vcc_lo
	s_delay_alu instid0(VALU_DEP_1)
	v_lshlrev_b32_e32 v137, 2, v6
	ds_bpermute_b32 v4, v137, v4
	s_and_saveexec_b32 s12, s2
	s_cbranch_execz .LBB741_104
; %bb.103:                              ;   in Loop: Header=BB741_20 Depth=1
	s_waitcnt lgkmcnt(0)
	v_cndmask_b32_e64 v4, v4, v5, s11
	s_delay_alu instid0(VALU_DEP_1)
	v_add_nc_u32_e32 v4, s60, v4
	ds_store_b32 v76, v4
.LBB741_104:                            ;   in Loop: Header=BB741_20 Depth=1
	s_or_b32 exec_lo, exec_lo, s12
	s_clause 0x1
	s_load_b32 s12, s[36:37], 0x4
	s_load_b32 s17, s[36:37], 0xc
	v_lshlrev_b32_e32 v6, 3, v136
	v_cmp_lt_u32_e64 s16, 3, v2
	v_or_b32_e32 v138, v136, v100
	s_mov_b32 s50, s62
	s_mov_b32 s38, s60
	v_add_co_u32 v139, vcc_lo, v106, v6
	v_add_co_ci_u32_e32 v140, vcc_lo, 0, v107, vcc_lo
	v_add_co_u32 v156, vcc_lo, v108, v6
	v_add_co_ci_u32_e32 v157, vcc_lo, 0, v109, vcc_lo
	v_or_b32_e32 v141, 32, v138
	s_delay_alu instid0(VALU_DEP_3)
	v_add_co_u32 v159, vcc_lo, 0xf00, v156
	v_or_b32_e32 v142, 64, v138
	v_or_b32_e32 v143, 0x60, v138
	s_waitcnt lgkmcnt(0)
	s_cmp_lt_u32 s15, s12
	v_or_b32_e32 v144, 0x80, v138
	s_cselect_b32 s12, 14, 20
	v_or_b32_e32 v145, 0xa0, v138
	s_add_u32 s12, s36, s12
	s_addc_u32 s13, s37, 0
	s_and_b32 s17, s17, 0xffff
	global_load_u16 v4, v3, s[12:13]
	v_cmp_eq_u32_e64 s12, 0, v2
	v_cmp_lt_u32_e64 s13, 1, v2
	v_or_b32_e32 v146, 0xc0, v138
	v_or_b32_e32 v147, 0xe0, v138
	;; [unrolled: 1-line block ×10, first 2 shown]
	v_add_co_ci_u32_e32 v160, vcc_lo, 0, v157, vcc_lo
                                        ; implicit-def: $vgpr6_vgpr7
                                        ; implicit-def: $vgpr8_vgpr9
                                        ; implicit-def: $vgpr10_vgpr11
                                        ; implicit-def: $vgpr12_vgpr13
                                        ; implicit-def: $vgpr14_vgpr15
                                        ; implicit-def: $vgpr16_vgpr17
                                        ; implicit-def: $vgpr18_vgpr19
                                        ; implicit-def: $vgpr20_vgpr21
                                        ; implicit-def: $vgpr22_vgpr23
                                        ; implicit-def: $vgpr24_vgpr25
                                        ; implicit-def: $vgpr26_vgpr27
                                        ; implicit-def: $vgpr28_vgpr29
                                        ; implicit-def: $vgpr30_vgpr31
                                        ; implicit-def: $vgpr32_vgpr33
                                        ; implicit-def: $vgpr34_vgpr35
                                        ; implicit-def: $vgpr161
                                        ; implicit-def: $vgpr162
                                        ; implicit-def: $vgpr163
                                        ; implicit-def: $vgpr164
                                        ; implicit-def: $vgpr165
                                        ; implicit-def: $vgpr166
                                        ; implicit-def: $vgpr167
                                        ; implicit-def: $vgpr168
                                        ; implicit-def: $vgpr169
                                        ; implicit-def: $vgpr170
                                        ; implicit-def: $vgpr171
                                        ; implicit-def: $vgpr172
                                        ; implicit-def: $vgpr173
                                        ; implicit-def: $vgpr174
                                        ; implicit-def: $vgpr175
                                        ; implicit-def: $vgpr176
	s_waitcnt vmcnt(0)
	v_mad_u32_u24 v2, v101, v4, v0
	s_delay_alu instid0(VALU_DEP_1) | instskip(NEXT) | instid1(VALU_DEP_1)
	v_mad_u64_u32 v[4:5], null, v2, s17, v[1:2]
	v_lshrrev_b32_e32 v158, 5, v4
                                        ; implicit-def: $vgpr4_vgpr5
	s_branch .LBB741_106
.LBB741_105:                            ;   in Loop: Header=BB741_106 Depth=2
	s_or_b32 exec_lo, exec_lo, s17
	s_addk_i32 s50, 0xf000
	s_cmp_lt_u32 s51, s61
	s_mov_b32 s38, s51
	s_cbranch_scc0 .LBB741_314
.LBB741_106:                            ;   Parent Loop BB741_20 Depth=1
                                        ; =>  This Inner Loop Header: Depth=2
	s_add_i32 s51, s38, 0x1000
	s_delay_alu instid0(SALU_CYCLE_1)
	s_cmp_gt_u32 s51, s61
	s_cbranch_scc1 .LBB741_108
; %bb.107:                              ;   in Loop: Header=BB741_106 Depth=2
	s_mov_b32 s39, 0
	s_movk_i32 s17, 0x1000
	s_lshl_b64 s[18:19], s[38:39], 3
	s_delay_alu instid0(SALU_CYCLE_1)
	v_add_co_u32 v40, vcc_lo, v156, s18
	v_add_co_ci_u32_e32 v41, vcc_lo, s19, v157, vcc_lo
	s_mov_b32 s18, -1
	s_clause 0xe
	global_load_b64 v[36:37], v[40:41], off
	global_load_b64 v[38:39], v[40:41], off offset:256
	global_load_b64 v[44:45], v[40:41], off offset:512
	;; [unrolled: 1-line block ×14, first 2 shown]
	s_cbranch_execz .LBB741_109
	s_branch .LBB741_140
.LBB741_108:                            ;   in Loop: Header=BB741_106 Depth=2
	s_mov_b32 s39, -1
	s_mov_b32 s18, 0
                                        ; implicit-def: $sgpr17
                                        ; implicit-def: $vgpr36_vgpr37
                                        ; implicit-def: $vgpr38_vgpr39
                                        ; implicit-def: $vgpr44_vgpr45
                                        ; implicit-def: $vgpr48_vgpr49
                                        ; implicit-def: $vgpr54_vgpr55
                                        ; implicit-def: $vgpr58_vgpr59
                                        ; implicit-def: $vgpr62_vgpr63
                                        ; implicit-def: $vgpr66_vgpr67
                                        ; implicit-def: $vgpr64_vgpr65
                                        ; implicit-def: $vgpr60_vgpr61
                                        ; implicit-def: $vgpr56_vgpr57
                                        ; implicit-def: $vgpr52_vgpr53
                                        ; implicit-def: $vgpr50_vgpr51
                                        ; implicit-def: $vgpr46_vgpr47
                                        ; implicit-def: $vgpr40_vgpr41
.LBB741_109:                            ;   in Loop: Header=BB741_106 Depth=2
	s_mov_b32 s39, s34
	s_waitcnt vmcnt(14)
	v_dual_mov_b32 v37, s35 :: v_dual_mov_b32 v36, s34
	s_lshl_b64 s[18:19], s[38:39], 3
	s_mov_b32 s17, exec_lo
	v_add_co_u32 v42, vcc_lo, v156, s18
	v_add_co_ci_u32_e32 v43, vcc_lo, s19, v157, vcc_lo
	v_cmpx_gt_u32_e64 s50, v138
	s_cbranch_execz .LBB741_111
; %bb.110:                              ;   in Loop: Header=BB741_106 Depth=2
	global_load_b64 v[36:37], v[42:43], off
.LBB741_111:                            ;   in Loop: Header=BB741_106 Depth=2
	s_or_b32 exec_lo, exec_lo, s17
	s_waitcnt vmcnt(13)
	v_dual_mov_b32 v39, s35 :: v_dual_mov_b32 v38, s34
	s_mov_b32 s17, exec_lo
	v_cmpx_gt_u32_e64 s50, v141
	s_cbranch_execz .LBB741_113
; %bb.112:                              ;   in Loop: Header=BB741_106 Depth=2
	global_load_b64 v[38:39], v[42:43], off offset:256
.LBB741_113:                            ;   in Loop: Header=BB741_106 Depth=2
	s_or_b32 exec_lo, exec_lo, s17
	s_waitcnt vmcnt(12)
	v_dual_mov_b32 v45, s35 :: v_dual_mov_b32 v44, s34
	s_mov_b32 s17, exec_lo
	v_cmpx_gt_u32_e64 s50, v142
	s_cbranch_execz .LBB741_115
; %bb.114:                              ;   in Loop: Header=BB741_106 Depth=2
	global_load_b64 v[44:45], v[42:43], off offset:512
.LBB741_115:                            ;   in Loop: Header=BB741_106 Depth=2
	;; [unrolled: 9-line block ×14, first 2 shown]
	s_or_b32 exec_lo, exec_lo, s17
	v_cmp_gt_u32_e64 s18, s50, v155
	s_sub_i32 s17, s61, s38
.LBB741_140:                            ;   in Loop: Header=BB741_106 Depth=2
	v_dual_mov_b32 v43, s35 :: v_dual_mov_b32 v42, s34
	v_mov_b32_e32 v177, s50
	s_delay_alu instid0(VALU_DEP_3)
	s_and_saveexec_b32 s19, s18
	s_cbranch_execz .LBB741_142
; %bb.141:                              ;   in Loop: Header=BB741_106 Depth=2
	s_lshl_b64 s[20:21], s[38:39], 3
	v_mov_b32_e32 v177, s17
	v_add_co_u32 v42, vcc_lo, v159, s20
	v_add_co_ci_u32_e32 v43, vcc_lo, s21, v160, vcc_lo
	global_load_b64 v[42:43], v[42:43], off
.LBB741_142:                            ;   in Loop: Header=BB741_106 Depth=2
	s_or_b32 exec_lo, exec_lo, s19
	s_waitcnt vmcnt(14)
	v_xor_b32_e32 v37, 0x7fffffff, v37
	v_not_b32_e32 v36, v36
	ds_store_b32 v102, v3 offset:1056
	ds_store_2addr_b32 v103, v3, v3 offset0:1 offset1:2
	ds_store_2addr_b32 v103, v3, v3 offset0:3 offset1:4
	;; [unrolled: 1-line block ×4, first 2 shown]
	s_waitcnt vmcnt(0) lgkmcnt(0)
	s_barrier
	v_lshrrev_b64 v[68:69], s41, v[36:37]
	buffer_gl0_inv
	; wave barrier
	v_and_b32_e32 v69, s43, v68
	s_delay_alu instid0(VALU_DEP_1)
	v_and_b32_e32 v2, 1, v69
	v_lshlrev_b32_e32 v68, 30, v69
	v_lshlrev_b32_e32 v70, 29, v69
	;; [unrolled: 1-line block ×4, first 2 shown]
	v_add_co_u32 v2, s17, v2, -1
	s_delay_alu instid0(VALU_DEP_1)
	v_cndmask_b32_e64 v72, 0, 1, s17
	v_not_b32_e32 v178, v68
	v_cmp_gt_i32_e64 s17, 0, v68
	v_not_b32_e32 v68, v70
	v_lshlrev_b32_e32 v74, 26, v69
	v_cmp_ne_u32_e32 vcc_lo, 0, v72
	v_ashrrev_i32_e32 v178, 31, v178
	v_lshlrev_b32_e32 v75, 25, v69
	v_ashrrev_i32_e32 v68, 31, v68
	v_lshlrev_b32_e32 v72, 24, v69
	v_xor_b32_e32 v2, vcc_lo, v2
	v_cmp_gt_i32_e32 vcc_lo, 0, v70
	v_not_b32_e32 v70, v71
	v_xor_b32_e32 v178, s17, v178
	v_cmp_gt_i32_e64 s17, 0, v71
	v_and_b32_e32 v2, exec_lo, v2
	v_not_b32_e32 v71, v73
	v_ashrrev_i32_e32 v70, 31, v70
	v_xor_b32_e32 v68, vcc_lo, v68
	v_cmp_gt_i32_e32 vcc_lo, 0, v73
	v_and_b32_e32 v2, v2, v178
	v_not_b32_e32 v73, v74
	v_ashrrev_i32_e32 v71, 31, v71
	v_xor_b32_e32 v70, s17, v70
	v_cmp_gt_i32_e64 s17, 0, v74
	v_and_b32_e32 v2, v2, v68
	v_not_b32_e32 v68, v75
	v_ashrrev_i32_e32 v73, 31, v73
	v_xor_b32_e32 v71, vcc_lo, v71
	v_cmp_gt_i32_e32 vcc_lo, 0, v75
	v_and_b32_e32 v2, v2, v70
	v_not_b32_e32 v70, v72
	v_ashrrev_i32_e32 v68, 31, v68
	v_xor_b32_e32 v73, s17, v73
	v_cmp_gt_i32_e64 s17, 0, v72
	v_and_b32_e32 v2, v2, v71
	v_ashrrev_i32_e32 v70, 31, v70
	v_xor_b32_e32 v68, vcc_lo, v68
	v_mad_u32_u24 v69, v69, 9, v158
	s_delay_alu instid0(VALU_DEP_4) | instskip(NEXT) | instid1(VALU_DEP_4)
	v_and_b32_e32 v2, v2, v73
	v_xor_b32_e32 v70, s17, v70
	s_delay_alu instid0(VALU_DEP_3) | instskip(NEXT) | instid1(VALU_DEP_3)
	v_lshl_add_u32 v178, v69, 2, 0x420
	v_and_b32_e32 v2, v2, v68
	s_delay_alu instid0(VALU_DEP_1) | instskip(NEXT) | instid1(VALU_DEP_1)
	v_and_b32_e32 v68, v2, v70
	v_mbcnt_lo_u32_b32 v2, v68, 0
	v_cmp_ne_u32_e64 s17, 0, v68
	s_delay_alu instid0(VALU_DEP_2) | instskip(NEXT) | instid1(VALU_DEP_2)
	v_cmp_eq_u32_e32 vcc_lo, 0, v2
	s_and_b32 s18, s17, vcc_lo
	s_delay_alu instid0(SALU_CYCLE_1)
	s_and_saveexec_b32 s17, s18
	s_cbranch_execz .LBB741_144
; %bb.143:                              ;   in Loop: Header=BB741_106 Depth=2
	v_bcnt_u32_b32 v68, v68, 0
	ds_store_b32 v178, v68
.LBB741_144:                            ;   in Loop: Header=BB741_106 Depth=2
	s_or_b32 exec_lo, exec_lo, s17
	v_xor_b32_e32 v39, 0x7fffffff, v39
	v_not_b32_e32 v38, v38
	; wave barrier
	s_delay_alu instid0(VALU_DEP_1) | instskip(NEXT) | instid1(VALU_DEP_1)
	v_lshrrev_b64 v[68:69], s41, v[38:39]
	v_and_b32_e32 v68, s43, v68
	s_delay_alu instid0(VALU_DEP_1)
	v_and_b32_e32 v69, 1, v68
	v_lshlrev_b32_e32 v70, 30, v68
	v_lshlrev_b32_e32 v71, 29, v68
	;; [unrolled: 1-line block ×4, first 2 shown]
	v_add_co_u32 v69, s17, v69, -1
	s_delay_alu instid0(VALU_DEP_1)
	v_cndmask_b32_e64 v73, 0, 1, s17
	v_not_b32_e32 v180, v70
	v_cmp_gt_i32_e64 s17, 0, v70
	v_not_b32_e32 v70, v71
	v_lshlrev_b32_e32 v75, 26, v68
	v_cmp_ne_u32_e32 vcc_lo, 0, v73
	v_ashrrev_i32_e32 v180, 31, v180
	v_lshlrev_b32_e32 v179, 25, v68
	v_ashrrev_i32_e32 v70, 31, v70
	v_lshlrev_b32_e32 v73, 24, v68
	v_xor_b32_e32 v69, vcc_lo, v69
	v_cmp_gt_i32_e32 vcc_lo, 0, v71
	v_not_b32_e32 v71, v72
	v_xor_b32_e32 v180, s17, v180
	v_cmp_gt_i32_e64 s17, 0, v72
	v_and_b32_e32 v69, exec_lo, v69
	v_not_b32_e32 v72, v74
	v_ashrrev_i32_e32 v71, 31, v71
	v_xor_b32_e32 v70, vcc_lo, v70
	v_cmp_gt_i32_e32 vcc_lo, 0, v74
	v_and_b32_e32 v69, v69, v180
	v_not_b32_e32 v74, v75
	v_ashrrev_i32_e32 v72, 31, v72
	v_xor_b32_e32 v71, s17, v71
	v_cmp_gt_i32_e64 s17, 0, v75
	v_and_b32_e32 v69, v69, v70
	v_not_b32_e32 v70, v179
	v_ashrrev_i32_e32 v74, 31, v74
	v_xor_b32_e32 v72, vcc_lo, v72
	v_cmp_gt_i32_e32 vcc_lo, 0, v179
	v_and_b32_e32 v69, v69, v71
	v_not_b32_e32 v71, v73
	v_ashrrev_i32_e32 v70, 31, v70
	v_xor_b32_e32 v74, s17, v74
	v_mul_u32_u24_e32 v68, 9, v68
	v_and_b32_e32 v69, v69, v72
	v_cmp_gt_i32_e64 s17, 0, v73
	v_ashrrev_i32_e32 v71, 31, v71
	v_xor_b32_e32 v70, vcc_lo, v70
	v_add_lshl_u32 v72, v68, v158, 2
	v_and_b32_e32 v69, v69, v74
	s_delay_alu instid0(VALU_DEP_4) | instskip(SKIP_3) | instid1(VALU_DEP_2)
	v_xor_b32_e32 v68, s17, v71
	ds_load_b32 v179, v72 offset:1056
	v_and_b32_e32 v69, v69, v70
	v_add_nc_u32_e32 v181, 0x420, v72
	; wave barrier
	v_and_b32_e32 v68, v69, v68
	s_delay_alu instid0(VALU_DEP_1) | instskip(SKIP_1) | instid1(VALU_DEP_2)
	v_mbcnt_lo_u32_b32 v180, v68, 0
	v_cmp_ne_u32_e64 s17, 0, v68
	v_cmp_eq_u32_e32 vcc_lo, 0, v180
	s_delay_alu instid0(VALU_DEP_2) | instskip(NEXT) | instid1(SALU_CYCLE_1)
	s_and_b32 s18, s17, vcc_lo
	s_and_saveexec_b32 s17, s18
	s_cbranch_execz .LBB741_146
; %bb.145:                              ;   in Loop: Header=BB741_106 Depth=2
	s_waitcnt lgkmcnt(0)
	v_bcnt_u32_b32 v68, v68, v179
	ds_store_b32 v181, v68
.LBB741_146:                            ;   in Loop: Header=BB741_106 Depth=2
	s_or_b32 exec_lo, exec_lo, s17
	v_xor_b32_e32 v45, 0x7fffffff, v45
	v_not_b32_e32 v44, v44
	; wave barrier
	s_delay_alu instid0(VALU_DEP_1) | instskip(NEXT) | instid1(VALU_DEP_1)
	v_lshrrev_b64 v[68:69], s41, v[44:45]
	v_and_b32_e32 v68, s43, v68
	s_delay_alu instid0(VALU_DEP_1)
	v_and_b32_e32 v69, 1, v68
	v_lshlrev_b32_e32 v70, 30, v68
	v_lshlrev_b32_e32 v71, 29, v68
	;; [unrolled: 1-line block ×4, first 2 shown]
	v_add_co_u32 v69, s17, v69, -1
	s_delay_alu instid0(VALU_DEP_1)
	v_cndmask_b32_e64 v73, 0, 1, s17
	v_not_b32_e32 v183, v70
	v_cmp_gt_i32_e64 s17, 0, v70
	v_not_b32_e32 v70, v71
	v_lshlrev_b32_e32 v75, 26, v68
	v_cmp_ne_u32_e32 vcc_lo, 0, v73
	v_ashrrev_i32_e32 v183, 31, v183
	v_lshlrev_b32_e32 v182, 25, v68
	v_ashrrev_i32_e32 v70, 31, v70
	v_lshlrev_b32_e32 v73, 24, v68
	v_xor_b32_e32 v69, vcc_lo, v69
	v_cmp_gt_i32_e32 vcc_lo, 0, v71
	v_not_b32_e32 v71, v72
	v_xor_b32_e32 v183, s17, v183
	v_cmp_gt_i32_e64 s17, 0, v72
	v_and_b32_e32 v69, exec_lo, v69
	v_not_b32_e32 v72, v74
	v_ashrrev_i32_e32 v71, 31, v71
	v_xor_b32_e32 v70, vcc_lo, v70
	v_cmp_gt_i32_e32 vcc_lo, 0, v74
	v_and_b32_e32 v69, v69, v183
	v_not_b32_e32 v74, v75
	v_ashrrev_i32_e32 v72, 31, v72
	v_xor_b32_e32 v71, s17, v71
	v_cmp_gt_i32_e64 s17, 0, v75
	v_and_b32_e32 v69, v69, v70
	v_not_b32_e32 v70, v182
	v_ashrrev_i32_e32 v74, 31, v74
	v_xor_b32_e32 v72, vcc_lo, v72
	v_cmp_gt_i32_e32 vcc_lo, 0, v182
	v_and_b32_e32 v69, v69, v71
	v_not_b32_e32 v71, v73
	v_ashrrev_i32_e32 v70, 31, v70
	v_xor_b32_e32 v74, s17, v74
	v_mul_u32_u24_e32 v68, 9, v68
	v_and_b32_e32 v69, v69, v72
	v_cmp_gt_i32_e64 s17, 0, v73
	v_ashrrev_i32_e32 v71, 31, v71
	v_xor_b32_e32 v70, vcc_lo, v70
	v_add_lshl_u32 v72, v68, v158, 2
	v_and_b32_e32 v69, v69, v74
	s_delay_alu instid0(VALU_DEP_4) | instskip(SKIP_3) | instid1(VALU_DEP_2)
	v_xor_b32_e32 v68, s17, v71
	ds_load_b32 v182, v72 offset:1056
	v_and_b32_e32 v69, v69, v70
	v_add_nc_u32_e32 v184, 0x420, v72
	; wave barrier
	v_and_b32_e32 v68, v69, v68
	s_delay_alu instid0(VALU_DEP_1) | instskip(SKIP_1) | instid1(VALU_DEP_2)
	v_mbcnt_lo_u32_b32 v183, v68, 0
	v_cmp_ne_u32_e64 s17, 0, v68
	v_cmp_eq_u32_e32 vcc_lo, 0, v183
	s_delay_alu instid0(VALU_DEP_2) | instskip(NEXT) | instid1(SALU_CYCLE_1)
	s_and_b32 s18, s17, vcc_lo
	s_and_saveexec_b32 s17, s18
	s_cbranch_execz .LBB741_148
; %bb.147:                              ;   in Loop: Header=BB741_106 Depth=2
	s_waitcnt lgkmcnt(0)
	v_bcnt_u32_b32 v68, v68, v182
	ds_store_b32 v184, v68
.LBB741_148:                            ;   in Loop: Header=BB741_106 Depth=2
	s_or_b32 exec_lo, exec_lo, s17
	v_xor_b32_e32 v49, 0x7fffffff, v49
	v_not_b32_e32 v48, v48
	; wave barrier
	s_delay_alu instid0(VALU_DEP_1) | instskip(NEXT) | instid1(VALU_DEP_1)
	v_lshrrev_b64 v[68:69], s41, v[48:49]
	v_and_b32_e32 v68, s43, v68
	s_delay_alu instid0(VALU_DEP_1)
	v_and_b32_e32 v69, 1, v68
	v_lshlrev_b32_e32 v70, 30, v68
	v_lshlrev_b32_e32 v71, 29, v68
	;; [unrolled: 1-line block ×4, first 2 shown]
	v_add_co_u32 v69, s17, v69, -1
	s_delay_alu instid0(VALU_DEP_1)
	v_cndmask_b32_e64 v73, 0, 1, s17
	v_not_b32_e32 v186, v70
	v_cmp_gt_i32_e64 s17, 0, v70
	v_not_b32_e32 v70, v71
	v_lshlrev_b32_e32 v75, 26, v68
	v_cmp_ne_u32_e32 vcc_lo, 0, v73
	v_ashrrev_i32_e32 v186, 31, v186
	v_lshlrev_b32_e32 v185, 25, v68
	v_ashrrev_i32_e32 v70, 31, v70
	v_lshlrev_b32_e32 v73, 24, v68
	v_xor_b32_e32 v69, vcc_lo, v69
	v_cmp_gt_i32_e32 vcc_lo, 0, v71
	v_not_b32_e32 v71, v72
	v_xor_b32_e32 v186, s17, v186
	v_cmp_gt_i32_e64 s17, 0, v72
	v_and_b32_e32 v69, exec_lo, v69
	v_not_b32_e32 v72, v74
	v_ashrrev_i32_e32 v71, 31, v71
	v_xor_b32_e32 v70, vcc_lo, v70
	v_cmp_gt_i32_e32 vcc_lo, 0, v74
	v_and_b32_e32 v69, v69, v186
	v_not_b32_e32 v74, v75
	v_ashrrev_i32_e32 v72, 31, v72
	v_xor_b32_e32 v71, s17, v71
	v_cmp_gt_i32_e64 s17, 0, v75
	v_and_b32_e32 v69, v69, v70
	v_not_b32_e32 v70, v185
	v_ashrrev_i32_e32 v74, 31, v74
	v_xor_b32_e32 v72, vcc_lo, v72
	v_cmp_gt_i32_e32 vcc_lo, 0, v185
	v_and_b32_e32 v69, v69, v71
	v_not_b32_e32 v71, v73
	v_ashrrev_i32_e32 v70, 31, v70
	v_xor_b32_e32 v74, s17, v74
	v_mul_u32_u24_e32 v68, 9, v68
	v_and_b32_e32 v69, v69, v72
	v_cmp_gt_i32_e64 s17, 0, v73
	v_ashrrev_i32_e32 v71, 31, v71
	v_xor_b32_e32 v70, vcc_lo, v70
	v_add_lshl_u32 v72, v68, v158, 2
	v_and_b32_e32 v69, v69, v74
	s_delay_alu instid0(VALU_DEP_4) | instskip(SKIP_3) | instid1(VALU_DEP_2)
	v_xor_b32_e32 v68, s17, v71
	ds_load_b32 v185, v72 offset:1056
	v_and_b32_e32 v69, v69, v70
	v_add_nc_u32_e32 v187, 0x420, v72
	; wave barrier
	v_and_b32_e32 v68, v69, v68
	s_delay_alu instid0(VALU_DEP_1) | instskip(SKIP_1) | instid1(VALU_DEP_2)
	v_mbcnt_lo_u32_b32 v186, v68, 0
	v_cmp_ne_u32_e64 s17, 0, v68
	v_cmp_eq_u32_e32 vcc_lo, 0, v186
	s_delay_alu instid0(VALU_DEP_2) | instskip(NEXT) | instid1(SALU_CYCLE_1)
	s_and_b32 s18, s17, vcc_lo
	s_and_saveexec_b32 s17, s18
	s_cbranch_execz .LBB741_150
; %bb.149:                              ;   in Loop: Header=BB741_106 Depth=2
	s_waitcnt lgkmcnt(0)
	v_bcnt_u32_b32 v68, v68, v185
	ds_store_b32 v187, v68
.LBB741_150:                            ;   in Loop: Header=BB741_106 Depth=2
	s_or_b32 exec_lo, exec_lo, s17
	v_xor_b32_e32 v55, 0x7fffffff, v55
	v_not_b32_e32 v54, v54
	; wave barrier
	s_delay_alu instid0(VALU_DEP_1) | instskip(NEXT) | instid1(VALU_DEP_1)
	v_lshrrev_b64 v[68:69], s41, v[54:55]
	v_and_b32_e32 v68, s43, v68
	s_delay_alu instid0(VALU_DEP_1)
	v_and_b32_e32 v69, 1, v68
	v_lshlrev_b32_e32 v70, 30, v68
	v_lshlrev_b32_e32 v71, 29, v68
	;; [unrolled: 1-line block ×4, first 2 shown]
	v_add_co_u32 v69, s17, v69, -1
	s_delay_alu instid0(VALU_DEP_1)
	v_cndmask_b32_e64 v73, 0, 1, s17
	v_not_b32_e32 v189, v70
	v_cmp_gt_i32_e64 s17, 0, v70
	v_not_b32_e32 v70, v71
	v_lshlrev_b32_e32 v75, 26, v68
	v_cmp_ne_u32_e32 vcc_lo, 0, v73
	v_ashrrev_i32_e32 v189, 31, v189
	v_lshlrev_b32_e32 v188, 25, v68
	v_ashrrev_i32_e32 v70, 31, v70
	v_lshlrev_b32_e32 v73, 24, v68
	v_xor_b32_e32 v69, vcc_lo, v69
	v_cmp_gt_i32_e32 vcc_lo, 0, v71
	v_not_b32_e32 v71, v72
	v_xor_b32_e32 v189, s17, v189
	v_cmp_gt_i32_e64 s17, 0, v72
	v_and_b32_e32 v69, exec_lo, v69
	v_not_b32_e32 v72, v74
	v_ashrrev_i32_e32 v71, 31, v71
	v_xor_b32_e32 v70, vcc_lo, v70
	v_cmp_gt_i32_e32 vcc_lo, 0, v74
	v_and_b32_e32 v69, v69, v189
	v_not_b32_e32 v74, v75
	v_ashrrev_i32_e32 v72, 31, v72
	v_xor_b32_e32 v71, s17, v71
	v_cmp_gt_i32_e64 s17, 0, v75
	v_and_b32_e32 v69, v69, v70
	v_not_b32_e32 v70, v188
	v_ashrrev_i32_e32 v74, 31, v74
	v_xor_b32_e32 v72, vcc_lo, v72
	v_cmp_gt_i32_e32 vcc_lo, 0, v188
	v_and_b32_e32 v69, v69, v71
	v_not_b32_e32 v71, v73
	v_ashrrev_i32_e32 v70, 31, v70
	v_xor_b32_e32 v74, s17, v74
	v_mul_u32_u24_e32 v68, 9, v68
	v_and_b32_e32 v69, v69, v72
	v_cmp_gt_i32_e64 s17, 0, v73
	v_ashrrev_i32_e32 v71, 31, v71
	v_xor_b32_e32 v70, vcc_lo, v70
	v_add_lshl_u32 v72, v68, v158, 2
	v_and_b32_e32 v69, v69, v74
	s_delay_alu instid0(VALU_DEP_4) | instskip(SKIP_3) | instid1(VALU_DEP_2)
	v_xor_b32_e32 v68, s17, v71
	ds_load_b32 v188, v72 offset:1056
	v_and_b32_e32 v69, v69, v70
	v_add_nc_u32_e32 v190, 0x420, v72
	; wave barrier
	v_and_b32_e32 v68, v69, v68
	s_delay_alu instid0(VALU_DEP_1) | instskip(SKIP_1) | instid1(VALU_DEP_2)
	v_mbcnt_lo_u32_b32 v189, v68, 0
	v_cmp_ne_u32_e64 s17, 0, v68
	v_cmp_eq_u32_e32 vcc_lo, 0, v189
	s_delay_alu instid0(VALU_DEP_2) | instskip(NEXT) | instid1(SALU_CYCLE_1)
	s_and_b32 s18, s17, vcc_lo
	s_and_saveexec_b32 s17, s18
	s_cbranch_execz .LBB741_152
; %bb.151:                              ;   in Loop: Header=BB741_106 Depth=2
	s_waitcnt lgkmcnt(0)
	v_bcnt_u32_b32 v68, v68, v188
	ds_store_b32 v190, v68
.LBB741_152:                            ;   in Loop: Header=BB741_106 Depth=2
	s_or_b32 exec_lo, exec_lo, s17
	v_xor_b32_e32 v59, 0x7fffffff, v59
	v_not_b32_e32 v58, v58
	; wave barrier
	s_delay_alu instid0(VALU_DEP_1) | instskip(NEXT) | instid1(VALU_DEP_1)
	v_lshrrev_b64 v[68:69], s41, v[58:59]
	v_and_b32_e32 v68, s43, v68
	s_delay_alu instid0(VALU_DEP_1)
	v_and_b32_e32 v69, 1, v68
	v_lshlrev_b32_e32 v70, 30, v68
	v_lshlrev_b32_e32 v71, 29, v68
	;; [unrolled: 1-line block ×4, first 2 shown]
	v_add_co_u32 v69, s17, v69, -1
	s_delay_alu instid0(VALU_DEP_1)
	v_cndmask_b32_e64 v73, 0, 1, s17
	v_not_b32_e32 v192, v70
	v_cmp_gt_i32_e64 s17, 0, v70
	v_not_b32_e32 v70, v71
	v_lshlrev_b32_e32 v75, 26, v68
	v_cmp_ne_u32_e32 vcc_lo, 0, v73
	v_ashrrev_i32_e32 v192, 31, v192
	v_lshlrev_b32_e32 v191, 25, v68
	v_ashrrev_i32_e32 v70, 31, v70
	v_lshlrev_b32_e32 v73, 24, v68
	v_xor_b32_e32 v69, vcc_lo, v69
	v_cmp_gt_i32_e32 vcc_lo, 0, v71
	v_not_b32_e32 v71, v72
	v_xor_b32_e32 v192, s17, v192
	v_cmp_gt_i32_e64 s17, 0, v72
	v_and_b32_e32 v69, exec_lo, v69
	v_not_b32_e32 v72, v74
	v_ashrrev_i32_e32 v71, 31, v71
	v_xor_b32_e32 v70, vcc_lo, v70
	v_cmp_gt_i32_e32 vcc_lo, 0, v74
	v_and_b32_e32 v69, v69, v192
	v_not_b32_e32 v74, v75
	v_ashrrev_i32_e32 v72, 31, v72
	v_xor_b32_e32 v71, s17, v71
	v_cmp_gt_i32_e64 s17, 0, v75
	v_and_b32_e32 v69, v69, v70
	v_not_b32_e32 v70, v191
	v_ashrrev_i32_e32 v74, 31, v74
	v_xor_b32_e32 v72, vcc_lo, v72
	v_cmp_gt_i32_e32 vcc_lo, 0, v191
	v_and_b32_e32 v69, v69, v71
	v_not_b32_e32 v71, v73
	v_ashrrev_i32_e32 v70, 31, v70
	v_xor_b32_e32 v74, s17, v74
	v_mul_u32_u24_e32 v68, 9, v68
	v_and_b32_e32 v69, v69, v72
	v_cmp_gt_i32_e64 s17, 0, v73
	v_ashrrev_i32_e32 v71, 31, v71
	v_xor_b32_e32 v70, vcc_lo, v70
	v_add_lshl_u32 v72, v68, v158, 2
	v_and_b32_e32 v69, v69, v74
	s_delay_alu instid0(VALU_DEP_4) | instskip(SKIP_3) | instid1(VALU_DEP_2)
	v_xor_b32_e32 v68, s17, v71
	ds_load_b32 v191, v72 offset:1056
	v_and_b32_e32 v69, v69, v70
	v_add_nc_u32_e32 v193, 0x420, v72
	; wave barrier
	v_and_b32_e32 v68, v69, v68
	s_delay_alu instid0(VALU_DEP_1) | instskip(SKIP_1) | instid1(VALU_DEP_2)
	v_mbcnt_lo_u32_b32 v192, v68, 0
	v_cmp_ne_u32_e64 s17, 0, v68
	v_cmp_eq_u32_e32 vcc_lo, 0, v192
	s_delay_alu instid0(VALU_DEP_2) | instskip(NEXT) | instid1(SALU_CYCLE_1)
	s_and_b32 s18, s17, vcc_lo
	s_and_saveexec_b32 s17, s18
	s_cbranch_execz .LBB741_154
; %bb.153:                              ;   in Loop: Header=BB741_106 Depth=2
	s_waitcnt lgkmcnt(0)
	v_bcnt_u32_b32 v68, v68, v191
	ds_store_b32 v193, v68
.LBB741_154:                            ;   in Loop: Header=BB741_106 Depth=2
	s_or_b32 exec_lo, exec_lo, s17
	v_xor_b32_e32 v63, 0x7fffffff, v63
	v_not_b32_e32 v62, v62
	; wave barrier
	s_delay_alu instid0(VALU_DEP_1) | instskip(NEXT) | instid1(VALU_DEP_1)
	v_lshrrev_b64 v[68:69], s41, v[62:63]
	v_and_b32_e32 v68, s43, v68
	s_delay_alu instid0(VALU_DEP_1)
	v_and_b32_e32 v69, 1, v68
	v_lshlrev_b32_e32 v70, 30, v68
	v_lshlrev_b32_e32 v71, 29, v68
	;; [unrolled: 1-line block ×4, first 2 shown]
	v_add_co_u32 v69, s17, v69, -1
	s_delay_alu instid0(VALU_DEP_1)
	v_cndmask_b32_e64 v73, 0, 1, s17
	v_not_b32_e32 v195, v70
	v_cmp_gt_i32_e64 s17, 0, v70
	v_not_b32_e32 v70, v71
	v_lshlrev_b32_e32 v75, 26, v68
	v_cmp_ne_u32_e32 vcc_lo, 0, v73
	v_ashrrev_i32_e32 v195, 31, v195
	v_lshlrev_b32_e32 v194, 25, v68
	v_ashrrev_i32_e32 v70, 31, v70
	v_lshlrev_b32_e32 v73, 24, v68
	v_xor_b32_e32 v69, vcc_lo, v69
	v_cmp_gt_i32_e32 vcc_lo, 0, v71
	v_not_b32_e32 v71, v72
	v_xor_b32_e32 v195, s17, v195
	v_cmp_gt_i32_e64 s17, 0, v72
	v_and_b32_e32 v69, exec_lo, v69
	v_not_b32_e32 v72, v74
	v_ashrrev_i32_e32 v71, 31, v71
	v_xor_b32_e32 v70, vcc_lo, v70
	v_cmp_gt_i32_e32 vcc_lo, 0, v74
	v_and_b32_e32 v69, v69, v195
	v_not_b32_e32 v74, v75
	v_ashrrev_i32_e32 v72, 31, v72
	v_xor_b32_e32 v71, s17, v71
	v_cmp_gt_i32_e64 s17, 0, v75
	v_and_b32_e32 v69, v69, v70
	v_not_b32_e32 v70, v194
	v_ashrrev_i32_e32 v74, 31, v74
	v_xor_b32_e32 v72, vcc_lo, v72
	v_cmp_gt_i32_e32 vcc_lo, 0, v194
	v_and_b32_e32 v69, v69, v71
	v_not_b32_e32 v71, v73
	v_ashrrev_i32_e32 v70, 31, v70
	v_xor_b32_e32 v74, s17, v74
	v_mul_u32_u24_e32 v68, 9, v68
	v_and_b32_e32 v69, v69, v72
	v_cmp_gt_i32_e64 s17, 0, v73
	v_ashrrev_i32_e32 v71, 31, v71
	v_xor_b32_e32 v70, vcc_lo, v70
	v_add_lshl_u32 v72, v68, v158, 2
	v_and_b32_e32 v69, v69, v74
	s_delay_alu instid0(VALU_DEP_4) | instskip(SKIP_3) | instid1(VALU_DEP_2)
	v_xor_b32_e32 v68, s17, v71
	ds_load_b32 v194, v72 offset:1056
	v_and_b32_e32 v69, v69, v70
	v_add_nc_u32_e32 v196, 0x420, v72
	; wave barrier
	v_and_b32_e32 v68, v69, v68
	s_delay_alu instid0(VALU_DEP_1) | instskip(SKIP_1) | instid1(VALU_DEP_2)
	v_mbcnt_lo_u32_b32 v195, v68, 0
	v_cmp_ne_u32_e64 s17, 0, v68
	v_cmp_eq_u32_e32 vcc_lo, 0, v195
	s_delay_alu instid0(VALU_DEP_2) | instskip(NEXT) | instid1(SALU_CYCLE_1)
	s_and_b32 s18, s17, vcc_lo
	s_and_saveexec_b32 s17, s18
	s_cbranch_execz .LBB741_156
; %bb.155:                              ;   in Loop: Header=BB741_106 Depth=2
	s_waitcnt lgkmcnt(0)
	v_bcnt_u32_b32 v68, v68, v194
	ds_store_b32 v196, v68
.LBB741_156:                            ;   in Loop: Header=BB741_106 Depth=2
	s_or_b32 exec_lo, exec_lo, s17
	v_xor_b32_e32 v67, 0x7fffffff, v67
	v_not_b32_e32 v66, v66
	; wave barrier
	s_delay_alu instid0(VALU_DEP_1) | instskip(NEXT) | instid1(VALU_DEP_1)
	v_lshrrev_b64 v[68:69], s41, v[66:67]
	v_and_b32_e32 v68, s43, v68
	s_delay_alu instid0(VALU_DEP_1)
	v_and_b32_e32 v69, 1, v68
	v_lshlrev_b32_e32 v70, 30, v68
	v_lshlrev_b32_e32 v71, 29, v68
	;; [unrolled: 1-line block ×4, first 2 shown]
	v_add_co_u32 v69, s17, v69, -1
	s_delay_alu instid0(VALU_DEP_1)
	v_cndmask_b32_e64 v73, 0, 1, s17
	v_not_b32_e32 v198, v70
	v_cmp_gt_i32_e64 s17, 0, v70
	v_not_b32_e32 v70, v71
	v_lshlrev_b32_e32 v75, 26, v68
	v_cmp_ne_u32_e32 vcc_lo, 0, v73
	v_ashrrev_i32_e32 v198, 31, v198
	v_lshlrev_b32_e32 v197, 25, v68
	v_ashrrev_i32_e32 v70, 31, v70
	v_lshlrev_b32_e32 v73, 24, v68
	v_xor_b32_e32 v69, vcc_lo, v69
	v_cmp_gt_i32_e32 vcc_lo, 0, v71
	v_not_b32_e32 v71, v72
	v_xor_b32_e32 v198, s17, v198
	v_cmp_gt_i32_e64 s17, 0, v72
	v_and_b32_e32 v69, exec_lo, v69
	v_not_b32_e32 v72, v74
	v_ashrrev_i32_e32 v71, 31, v71
	v_xor_b32_e32 v70, vcc_lo, v70
	v_cmp_gt_i32_e32 vcc_lo, 0, v74
	v_and_b32_e32 v69, v69, v198
	v_not_b32_e32 v74, v75
	v_ashrrev_i32_e32 v72, 31, v72
	v_xor_b32_e32 v71, s17, v71
	v_cmp_gt_i32_e64 s17, 0, v75
	v_and_b32_e32 v69, v69, v70
	v_not_b32_e32 v70, v197
	v_ashrrev_i32_e32 v74, 31, v74
	v_xor_b32_e32 v72, vcc_lo, v72
	v_cmp_gt_i32_e32 vcc_lo, 0, v197
	v_and_b32_e32 v69, v69, v71
	v_not_b32_e32 v71, v73
	v_ashrrev_i32_e32 v70, 31, v70
	v_xor_b32_e32 v74, s17, v74
	v_mul_u32_u24_e32 v68, 9, v68
	v_and_b32_e32 v69, v69, v72
	v_cmp_gt_i32_e64 s17, 0, v73
	v_ashrrev_i32_e32 v71, 31, v71
	v_xor_b32_e32 v70, vcc_lo, v70
	v_add_lshl_u32 v72, v68, v158, 2
	v_and_b32_e32 v69, v69, v74
	s_delay_alu instid0(VALU_DEP_4) | instskip(SKIP_3) | instid1(VALU_DEP_2)
	v_xor_b32_e32 v68, s17, v71
	ds_load_b32 v197, v72 offset:1056
	v_and_b32_e32 v69, v69, v70
	v_add_nc_u32_e32 v199, 0x420, v72
	; wave barrier
	v_and_b32_e32 v68, v69, v68
	s_delay_alu instid0(VALU_DEP_1) | instskip(SKIP_1) | instid1(VALU_DEP_2)
	v_mbcnt_lo_u32_b32 v198, v68, 0
	v_cmp_ne_u32_e64 s17, 0, v68
	v_cmp_eq_u32_e32 vcc_lo, 0, v198
	s_delay_alu instid0(VALU_DEP_2) | instskip(NEXT) | instid1(SALU_CYCLE_1)
	s_and_b32 s18, s17, vcc_lo
	s_and_saveexec_b32 s17, s18
	s_cbranch_execz .LBB741_158
; %bb.157:                              ;   in Loop: Header=BB741_106 Depth=2
	s_waitcnt lgkmcnt(0)
	v_bcnt_u32_b32 v68, v68, v197
	ds_store_b32 v199, v68
.LBB741_158:                            ;   in Loop: Header=BB741_106 Depth=2
	s_or_b32 exec_lo, exec_lo, s17
	v_xor_b32_e32 v65, 0x7fffffff, v65
	v_not_b32_e32 v64, v64
	; wave barrier
	s_delay_alu instid0(VALU_DEP_1) | instskip(NEXT) | instid1(VALU_DEP_1)
	v_lshrrev_b64 v[68:69], s41, v[64:65]
	v_and_b32_e32 v68, s43, v68
	s_delay_alu instid0(VALU_DEP_1)
	v_and_b32_e32 v69, 1, v68
	v_lshlrev_b32_e32 v70, 30, v68
	v_lshlrev_b32_e32 v71, 29, v68
	;; [unrolled: 1-line block ×4, first 2 shown]
	v_add_co_u32 v69, s17, v69, -1
	s_delay_alu instid0(VALU_DEP_1)
	v_cndmask_b32_e64 v73, 0, 1, s17
	v_not_b32_e32 v201, v70
	v_cmp_gt_i32_e64 s17, 0, v70
	v_not_b32_e32 v70, v71
	v_lshlrev_b32_e32 v75, 26, v68
	v_cmp_ne_u32_e32 vcc_lo, 0, v73
	v_ashrrev_i32_e32 v201, 31, v201
	v_lshlrev_b32_e32 v200, 25, v68
	v_ashrrev_i32_e32 v70, 31, v70
	v_lshlrev_b32_e32 v73, 24, v68
	v_xor_b32_e32 v69, vcc_lo, v69
	v_cmp_gt_i32_e32 vcc_lo, 0, v71
	v_not_b32_e32 v71, v72
	v_xor_b32_e32 v201, s17, v201
	v_cmp_gt_i32_e64 s17, 0, v72
	v_and_b32_e32 v69, exec_lo, v69
	v_not_b32_e32 v72, v74
	v_ashrrev_i32_e32 v71, 31, v71
	v_xor_b32_e32 v70, vcc_lo, v70
	v_cmp_gt_i32_e32 vcc_lo, 0, v74
	v_and_b32_e32 v69, v69, v201
	v_not_b32_e32 v74, v75
	v_ashrrev_i32_e32 v72, 31, v72
	v_xor_b32_e32 v71, s17, v71
	v_cmp_gt_i32_e64 s17, 0, v75
	v_and_b32_e32 v69, v69, v70
	v_not_b32_e32 v70, v200
	v_ashrrev_i32_e32 v74, 31, v74
	v_xor_b32_e32 v72, vcc_lo, v72
	v_cmp_gt_i32_e32 vcc_lo, 0, v200
	v_and_b32_e32 v69, v69, v71
	v_not_b32_e32 v71, v73
	v_ashrrev_i32_e32 v70, 31, v70
	v_xor_b32_e32 v74, s17, v74
	v_mul_u32_u24_e32 v68, 9, v68
	v_and_b32_e32 v69, v69, v72
	v_cmp_gt_i32_e64 s17, 0, v73
	v_ashrrev_i32_e32 v71, 31, v71
	v_xor_b32_e32 v70, vcc_lo, v70
	v_add_lshl_u32 v72, v68, v158, 2
	v_and_b32_e32 v69, v69, v74
	s_delay_alu instid0(VALU_DEP_4) | instskip(SKIP_3) | instid1(VALU_DEP_2)
	v_xor_b32_e32 v68, s17, v71
	ds_load_b32 v200, v72 offset:1056
	v_and_b32_e32 v69, v69, v70
	v_add_nc_u32_e32 v202, 0x420, v72
	; wave barrier
	v_and_b32_e32 v68, v69, v68
	s_delay_alu instid0(VALU_DEP_1) | instskip(SKIP_1) | instid1(VALU_DEP_2)
	v_mbcnt_lo_u32_b32 v201, v68, 0
	v_cmp_ne_u32_e64 s17, 0, v68
	v_cmp_eq_u32_e32 vcc_lo, 0, v201
	s_delay_alu instid0(VALU_DEP_2) | instskip(NEXT) | instid1(SALU_CYCLE_1)
	s_and_b32 s18, s17, vcc_lo
	s_and_saveexec_b32 s17, s18
	s_cbranch_execz .LBB741_160
; %bb.159:                              ;   in Loop: Header=BB741_106 Depth=2
	s_waitcnt lgkmcnt(0)
	v_bcnt_u32_b32 v68, v68, v200
	ds_store_b32 v202, v68
.LBB741_160:                            ;   in Loop: Header=BB741_106 Depth=2
	s_or_b32 exec_lo, exec_lo, s17
	v_xor_b32_e32 v61, 0x7fffffff, v61
	v_not_b32_e32 v60, v60
	; wave barrier
	s_delay_alu instid0(VALU_DEP_1) | instskip(NEXT) | instid1(VALU_DEP_1)
	v_lshrrev_b64 v[68:69], s41, v[60:61]
	v_and_b32_e32 v68, s43, v68
	s_delay_alu instid0(VALU_DEP_1)
	v_and_b32_e32 v69, 1, v68
	v_lshlrev_b32_e32 v70, 30, v68
	v_lshlrev_b32_e32 v71, 29, v68
	v_lshlrev_b32_e32 v72, 28, v68
	v_lshlrev_b32_e32 v74, 27, v68
	v_add_co_u32 v69, s17, v69, -1
	s_delay_alu instid0(VALU_DEP_1)
	v_cndmask_b32_e64 v73, 0, 1, s17
	v_not_b32_e32 v204, v70
	v_cmp_gt_i32_e64 s17, 0, v70
	v_not_b32_e32 v70, v71
	v_lshlrev_b32_e32 v75, 26, v68
	v_cmp_ne_u32_e32 vcc_lo, 0, v73
	v_ashrrev_i32_e32 v204, 31, v204
	v_lshlrev_b32_e32 v203, 25, v68
	v_ashrrev_i32_e32 v70, 31, v70
	v_lshlrev_b32_e32 v73, 24, v68
	v_xor_b32_e32 v69, vcc_lo, v69
	v_cmp_gt_i32_e32 vcc_lo, 0, v71
	v_not_b32_e32 v71, v72
	v_xor_b32_e32 v204, s17, v204
	v_cmp_gt_i32_e64 s17, 0, v72
	v_and_b32_e32 v69, exec_lo, v69
	v_not_b32_e32 v72, v74
	v_ashrrev_i32_e32 v71, 31, v71
	v_xor_b32_e32 v70, vcc_lo, v70
	v_cmp_gt_i32_e32 vcc_lo, 0, v74
	v_and_b32_e32 v69, v69, v204
	v_not_b32_e32 v74, v75
	v_ashrrev_i32_e32 v72, 31, v72
	v_xor_b32_e32 v71, s17, v71
	v_cmp_gt_i32_e64 s17, 0, v75
	v_and_b32_e32 v69, v69, v70
	v_not_b32_e32 v70, v203
	v_ashrrev_i32_e32 v74, 31, v74
	v_xor_b32_e32 v72, vcc_lo, v72
	v_cmp_gt_i32_e32 vcc_lo, 0, v203
	v_and_b32_e32 v69, v69, v71
	v_not_b32_e32 v71, v73
	v_ashrrev_i32_e32 v70, 31, v70
	v_xor_b32_e32 v74, s17, v74
	v_mul_u32_u24_e32 v68, 9, v68
	v_and_b32_e32 v69, v69, v72
	v_cmp_gt_i32_e64 s17, 0, v73
	v_ashrrev_i32_e32 v71, 31, v71
	v_xor_b32_e32 v70, vcc_lo, v70
	v_add_lshl_u32 v72, v68, v158, 2
	v_and_b32_e32 v69, v69, v74
	s_delay_alu instid0(VALU_DEP_4) | instskip(SKIP_3) | instid1(VALU_DEP_2)
	v_xor_b32_e32 v68, s17, v71
	ds_load_b32 v203, v72 offset:1056
	v_and_b32_e32 v69, v69, v70
	v_add_nc_u32_e32 v205, 0x420, v72
	; wave barrier
	v_and_b32_e32 v68, v69, v68
	s_delay_alu instid0(VALU_DEP_1) | instskip(SKIP_1) | instid1(VALU_DEP_2)
	v_mbcnt_lo_u32_b32 v204, v68, 0
	v_cmp_ne_u32_e64 s17, 0, v68
	v_cmp_eq_u32_e32 vcc_lo, 0, v204
	s_delay_alu instid0(VALU_DEP_2) | instskip(NEXT) | instid1(SALU_CYCLE_1)
	s_and_b32 s18, s17, vcc_lo
	s_and_saveexec_b32 s17, s18
	s_cbranch_execz .LBB741_162
; %bb.161:                              ;   in Loop: Header=BB741_106 Depth=2
	s_waitcnt lgkmcnt(0)
	v_bcnt_u32_b32 v68, v68, v203
	ds_store_b32 v205, v68
.LBB741_162:                            ;   in Loop: Header=BB741_106 Depth=2
	s_or_b32 exec_lo, exec_lo, s17
	v_xor_b32_e32 v57, 0x7fffffff, v57
	v_not_b32_e32 v56, v56
	; wave barrier
	s_delay_alu instid0(VALU_DEP_1) | instskip(NEXT) | instid1(VALU_DEP_1)
	v_lshrrev_b64 v[68:69], s41, v[56:57]
	v_and_b32_e32 v68, s43, v68
	s_delay_alu instid0(VALU_DEP_1)
	v_and_b32_e32 v69, 1, v68
	v_lshlrev_b32_e32 v70, 30, v68
	v_lshlrev_b32_e32 v71, 29, v68
	;; [unrolled: 1-line block ×4, first 2 shown]
	v_add_co_u32 v69, s17, v69, -1
	s_delay_alu instid0(VALU_DEP_1)
	v_cndmask_b32_e64 v73, 0, 1, s17
	v_not_b32_e32 v207, v70
	v_cmp_gt_i32_e64 s17, 0, v70
	v_not_b32_e32 v70, v71
	v_lshlrev_b32_e32 v75, 26, v68
	v_cmp_ne_u32_e32 vcc_lo, 0, v73
	v_ashrrev_i32_e32 v207, 31, v207
	v_lshlrev_b32_e32 v206, 25, v68
	v_ashrrev_i32_e32 v70, 31, v70
	v_lshlrev_b32_e32 v73, 24, v68
	v_xor_b32_e32 v69, vcc_lo, v69
	v_cmp_gt_i32_e32 vcc_lo, 0, v71
	v_not_b32_e32 v71, v72
	v_xor_b32_e32 v207, s17, v207
	v_cmp_gt_i32_e64 s17, 0, v72
	v_and_b32_e32 v69, exec_lo, v69
	v_not_b32_e32 v72, v74
	v_ashrrev_i32_e32 v71, 31, v71
	v_xor_b32_e32 v70, vcc_lo, v70
	v_cmp_gt_i32_e32 vcc_lo, 0, v74
	v_and_b32_e32 v69, v69, v207
	v_not_b32_e32 v74, v75
	v_ashrrev_i32_e32 v72, 31, v72
	v_xor_b32_e32 v71, s17, v71
	v_cmp_gt_i32_e64 s17, 0, v75
	v_and_b32_e32 v69, v69, v70
	v_not_b32_e32 v70, v206
	v_ashrrev_i32_e32 v74, 31, v74
	v_xor_b32_e32 v72, vcc_lo, v72
	v_cmp_gt_i32_e32 vcc_lo, 0, v206
	v_and_b32_e32 v69, v69, v71
	v_not_b32_e32 v71, v73
	v_ashrrev_i32_e32 v70, 31, v70
	v_xor_b32_e32 v74, s17, v74
	v_mul_u32_u24_e32 v68, 9, v68
	v_and_b32_e32 v69, v69, v72
	v_cmp_gt_i32_e64 s17, 0, v73
	v_ashrrev_i32_e32 v71, 31, v71
	v_xor_b32_e32 v70, vcc_lo, v70
	v_add_lshl_u32 v72, v68, v158, 2
	v_and_b32_e32 v69, v69, v74
	s_delay_alu instid0(VALU_DEP_4) | instskip(SKIP_3) | instid1(VALU_DEP_2)
	v_xor_b32_e32 v68, s17, v71
	ds_load_b32 v206, v72 offset:1056
	v_and_b32_e32 v69, v69, v70
	v_add_nc_u32_e32 v208, 0x420, v72
	; wave barrier
	v_and_b32_e32 v68, v69, v68
	s_delay_alu instid0(VALU_DEP_1) | instskip(SKIP_1) | instid1(VALU_DEP_2)
	v_mbcnt_lo_u32_b32 v207, v68, 0
	v_cmp_ne_u32_e64 s17, 0, v68
	v_cmp_eq_u32_e32 vcc_lo, 0, v207
	s_delay_alu instid0(VALU_DEP_2) | instskip(NEXT) | instid1(SALU_CYCLE_1)
	s_and_b32 s18, s17, vcc_lo
	s_and_saveexec_b32 s17, s18
	s_cbranch_execz .LBB741_164
; %bb.163:                              ;   in Loop: Header=BB741_106 Depth=2
	s_waitcnt lgkmcnt(0)
	v_bcnt_u32_b32 v68, v68, v206
	ds_store_b32 v208, v68
.LBB741_164:                            ;   in Loop: Header=BB741_106 Depth=2
	s_or_b32 exec_lo, exec_lo, s17
	v_xor_b32_e32 v53, 0x7fffffff, v53
	v_not_b32_e32 v52, v52
	; wave barrier
	s_delay_alu instid0(VALU_DEP_1) | instskip(NEXT) | instid1(VALU_DEP_1)
	v_lshrrev_b64 v[68:69], s41, v[52:53]
	v_and_b32_e32 v68, s43, v68
	s_delay_alu instid0(VALU_DEP_1)
	v_and_b32_e32 v69, 1, v68
	v_lshlrev_b32_e32 v70, 30, v68
	v_lshlrev_b32_e32 v71, 29, v68
	v_lshlrev_b32_e32 v72, 28, v68
	v_lshlrev_b32_e32 v74, 27, v68
	v_add_co_u32 v69, s17, v69, -1
	s_delay_alu instid0(VALU_DEP_1)
	v_cndmask_b32_e64 v73, 0, 1, s17
	v_not_b32_e32 v210, v70
	v_cmp_gt_i32_e64 s17, 0, v70
	v_not_b32_e32 v70, v71
	v_lshlrev_b32_e32 v75, 26, v68
	v_cmp_ne_u32_e32 vcc_lo, 0, v73
	v_ashrrev_i32_e32 v210, 31, v210
	v_lshlrev_b32_e32 v209, 25, v68
	v_ashrrev_i32_e32 v70, 31, v70
	v_lshlrev_b32_e32 v73, 24, v68
	v_xor_b32_e32 v69, vcc_lo, v69
	v_cmp_gt_i32_e32 vcc_lo, 0, v71
	v_not_b32_e32 v71, v72
	v_xor_b32_e32 v210, s17, v210
	v_cmp_gt_i32_e64 s17, 0, v72
	v_and_b32_e32 v69, exec_lo, v69
	v_not_b32_e32 v72, v74
	v_ashrrev_i32_e32 v71, 31, v71
	v_xor_b32_e32 v70, vcc_lo, v70
	v_cmp_gt_i32_e32 vcc_lo, 0, v74
	v_and_b32_e32 v69, v69, v210
	v_not_b32_e32 v74, v75
	v_ashrrev_i32_e32 v72, 31, v72
	v_xor_b32_e32 v71, s17, v71
	v_cmp_gt_i32_e64 s17, 0, v75
	v_and_b32_e32 v69, v69, v70
	v_not_b32_e32 v70, v209
	v_ashrrev_i32_e32 v74, 31, v74
	v_xor_b32_e32 v72, vcc_lo, v72
	v_cmp_gt_i32_e32 vcc_lo, 0, v209
	v_and_b32_e32 v69, v69, v71
	v_not_b32_e32 v71, v73
	v_ashrrev_i32_e32 v70, 31, v70
	v_xor_b32_e32 v74, s17, v74
	v_mul_u32_u24_e32 v68, 9, v68
	v_and_b32_e32 v69, v69, v72
	v_cmp_gt_i32_e64 s17, 0, v73
	v_ashrrev_i32_e32 v71, 31, v71
	v_xor_b32_e32 v70, vcc_lo, v70
	v_add_lshl_u32 v72, v68, v158, 2
	v_and_b32_e32 v69, v69, v74
	s_delay_alu instid0(VALU_DEP_4) | instskip(SKIP_3) | instid1(VALU_DEP_2)
	v_xor_b32_e32 v68, s17, v71
	ds_load_b32 v209, v72 offset:1056
	v_and_b32_e32 v69, v69, v70
	v_add_nc_u32_e32 v211, 0x420, v72
	; wave barrier
	v_and_b32_e32 v68, v69, v68
	s_delay_alu instid0(VALU_DEP_1) | instskip(SKIP_1) | instid1(VALU_DEP_2)
	v_mbcnt_lo_u32_b32 v210, v68, 0
	v_cmp_ne_u32_e64 s17, 0, v68
	v_cmp_eq_u32_e32 vcc_lo, 0, v210
	s_delay_alu instid0(VALU_DEP_2) | instskip(NEXT) | instid1(SALU_CYCLE_1)
	s_and_b32 s18, s17, vcc_lo
	s_and_saveexec_b32 s17, s18
	s_cbranch_execz .LBB741_166
; %bb.165:                              ;   in Loop: Header=BB741_106 Depth=2
	s_waitcnt lgkmcnt(0)
	v_bcnt_u32_b32 v68, v68, v209
	ds_store_b32 v211, v68
.LBB741_166:                            ;   in Loop: Header=BB741_106 Depth=2
	s_or_b32 exec_lo, exec_lo, s17
	v_xor_b32_e32 v51, 0x7fffffff, v51
	v_not_b32_e32 v50, v50
	; wave barrier
	s_delay_alu instid0(VALU_DEP_1) | instskip(NEXT) | instid1(VALU_DEP_1)
	v_lshrrev_b64 v[68:69], s41, v[50:51]
	v_and_b32_e32 v68, s43, v68
	s_delay_alu instid0(VALU_DEP_1)
	v_and_b32_e32 v69, 1, v68
	v_lshlrev_b32_e32 v70, 30, v68
	v_lshlrev_b32_e32 v71, 29, v68
	;; [unrolled: 1-line block ×4, first 2 shown]
	v_add_co_u32 v69, s17, v69, -1
	s_delay_alu instid0(VALU_DEP_1)
	v_cndmask_b32_e64 v73, 0, 1, s17
	v_not_b32_e32 v213, v70
	v_cmp_gt_i32_e64 s17, 0, v70
	v_not_b32_e32 v70, v71
	v_lshlrev_b32_e32 v75, 26, v68
	v_cmp_ne_u32_e32 vcc_lo, 0, v73
	v_ashrrev_i32_e32 v213, 31, v213
	v_lshlrev_b32_e32 v212, 25, v68
	v_ashrrev_i32_e32 v70, 31, v70
	v_lshlrev_b32_e32 v73, 24, v68
	v_xor_b32_e32 v69, vcc_lo, v69
	v_cmp_gt_i32_e32 vcc_lo, 0, v71
	v_not_b32_e32 v71, v72
	v_xor_b32_e32 v213, s17, v213
	v_cmp_gt_i32_e64 s17, 0, v72
	v_and_b32_e32 v69, exec_lo, v69
	v_not_b32_e32 v72, v74
	v_ashrrev_i32_e32 v71, 31, v71
	v_xor_b32_e32 v70, vcc_lo, v70
	v_cmp_gt_i32_e32 vcc_lo, 0, v74
	v_and_b32_e32 v69, v69, v213
	v_not_b32_e32 v74, v75
	v_ashrrev_i32_e32 v72, 31, v72
	v_xor_b32_e32 v71, s17, v71
	v_cmp_gt_i32_e64 s17, 0, v75
	v_and_b32_e32 v69, v69, v70
	v_not_b32_e32 v70, v212
	v_ashrrev_i32_e32 v74, 31, v74
	v_xor_b32_e32 v72, vcc_lo, v72
	v_cmp_gt_i32_e32 vcc_lo, 0, v212
	v_and_b32_e32 v69, v69, v71
	v_not_b32_e32 v71, v73
	v_ashrrev_i32_e32 v70, 31, v70
	v_xor_b32_e32 v74, s17, v74
	v_mul_u32_u24_e32 v68, 9, v68
	v_and_b32_e32 v69, v69, v72
	v_cmp_gt_i32_e64 s17, 0, v73
	v_ashrrev_i32_e32 v71, 31, v71
	v_xor_b32_e32 v70, vcc_lo, v70
	v_add_lshl_u32 v72, v68, v158, 2
	v_and_b32_e32 v69, v69, v74
	s_delay_alu instid0(VALU_DEP_4) | instskip(SKIP_3) | instid1(VALU_DEP_2)
	v_xor_b32_e32 v68, s17, v71
	ds_load_b32 v212, v72 offset:1056
	v_and_b32_e32 v69, v69, v70
	v_add_nc_u32_e32 v214, 0x420, v72
	; wave barrier
	v_and_b32_e32 v68, v69, v68
	s_delay_alu instid0(VALU_DEP_1) | instskip(SKIP_1) | instid1(VALU_DEP_2)
	v_mbcnt_lo_u32_b32 v213, v68, 0
	v_cmp_ne_u32_e64 s17, 0, v68
	v_cmp_eq_u32_e32 vcc_lo, 0, v213
	s_delay_alu instid0(VALU_DEP_2) | instskip(NEXT) | instid1(SALU_CYCLE_1)
	s_and_b32 s18, s17, vcc_lo
	s_and_saveexec_b32 s17, s18
	s_cbranch_execz .LBB741_168
; %bb.167:                              ;   in Loop: Header=BB741_106 Depth=2
	s_waitcnt lgkmcnt(0)
	v_bcnt_u32_b32 v68, v68, v212
	ds_store_b32 v214, v68
.LBB741_168:                            ;   in Loop: Header=BB741_106 Depth=2
	s_or_b32 exec_lo, exec_lo, s17
	v_xor_b32_e32 v47, 0x7fffffff, v47
	v_not_b32_e32 v46, v46
	; wave barrier
	s_delay_alu instid0(VALU_DEP_1) | instskip(NEXT) | instid1(VALU_DEP_1)
	v_lshrrev_b64 v[68:69], s41, v[46:47]
	v_and_b32_e32 v68, s43, v68
	s_delay_alu instid0(VALU_DEP_1)
	v_and_b32_e32 v69, 1, v68
	v_lshlrev_b32_e32 v70, 30, v68
	v_lshlrev_b32_e32 v71, 29, v68
	;; [unrolled: 1-line block ×4, first 2 shown]
	v_add_co_u32 v69, s17, v69, -1
	s_delay_alu instid0(VALU_DEP_1)
	v_cndmask_b32_e64 v73, 0, 1, s17
	v_not_b32_e32 v216, v70
	v_cmp_gt_i32_e64 s17, 0, v70
	v_not_b32_e32 v70, v71
	v_lshlrev_b32_e32 v75, 26, v68
	v_cmp_ne_u32_e32 vcc_lo, 0, v73
	v_ashrrev_i32_e32 v216, 31, v216
	v_lshlrev_b32_e32 v215, 25, v68
	v_ashrrev_i32_e32 v70, 31, v70
	v_lshlrev_b32_e32 v73, 24, v68
	v_xor_b32_e32 v69, vcc_lo, v69
	v_cmp_gt_i32_e32 vcc_lo, 0, v71
	v_not_b32_e32 v71, v72
	v_xor_b32_e32 v216, s17, v216
	v_cmp_gt_i32_e64 s17, 0, v72
	v_and_b32_e32 v69, exec_lo, v69
	v_not_b32_e32 v72, v74
	v_ashrrev_i32_e32 v71, 31, v71
	v_xor_b32_e32 v70, vcc_lo, v70
	v_cmp_gt_i32_e32 vcc_lo, 0, v74
	v_and_b32_e32 v69, v69, v216
	v_not_b32_e32 v74, v75
	v_ashrrev_i32_e32 v72, 31, v72
	v_xor_b32_e32 v71, s17, v71
	v_cmp_gt_i32_e64 s17, 0, v75
	v_and_b32_e32 v69, v69, v70
	v_not_b32_e32 v70, v215
	v_ashrrev_i32_e32 v74, 31, v74
	v_xor_b32_e32 v72, vcc_lo, v72
	v_cmp_gt_i32_e32 vcc_lo, 0, v215
	v_and_b32_e32 v69, v69, v71
	v_not_b32_e32 v71, v73
	v_ashrrev_i32_e32 v70, 31, v70
	v_xor_b32_e32 v74, s17, v74
	v_mul_u32_u24_e32 v68, 9, v68
	v_and_b32_e32 v69, v69, v72
	v_cmp_gt_i32_e64 s17, 0, v73
	v_ashrrev_i32_e32 v71, 31, v71
	v_xor_b32_e32 v70, vcc_lo, v70
	v_add_lshl_u32 v72, v68, v158, 2
	v_and_b32_e32 v69, v69, v74
	s_delay_alu instid0(VALU_DEP_4) | instskip(SKIP_3) | instid1(VALU_DEP_2)
	v_xor_b32_e32 v68, s17, v71
	ds_load_b32 v215, v72 offset:1056
	v_and_b32_e32 v69, v69, v70
	v_add_nc_u32_e32 v217, 0x420, v72
	; wave barrier
	v_and_b32_e32 v68, v69, v68
	s_delay_alu instid0(VALU_DEP_1) | instskip(SKIP_1) | instid1(VALU_DEP_2)
	v_mbcnt_lo_u32_b32 v216, v68, 0
	v_cmp_ne_u32_e64 s17, 0, v68
	v_cmp_eq_u32_e32 vcc_lo, 0, v216
	s_delay_alu instid0(VALU_DEP_2) | instskip(NEXT) | instid1(SALU_CYCLE_1)
	s_and_b32 s18, s17, vcc_lo
	s_and_saveexec_b32 s17, s18
	s_cbranch_execz .LBB741_170
; %bb.169:                              ;   in Loop: Header=BB741_106 Depth=2
	s_waitcnt lgkmcnt(0)
	v_bcnt_u32_b32 v68, v68, v215
	ds_store_b32 v217, v68
.LBB741_170:                            ;   in Loop: Header=BB741_106 Depth=2
	s_or_b32 exec_lo, exec_lo, s17
	v_xor_b32_e32 v41, 0x7fffffff, v41
	v_not_b32_e32 v40, v40
	; wave barrier
	s_delay_alu instid0(VALU_DEP_1) | instskip(NEXT) | instid1(VALU_DEP_1)
	v_lshrrev_b64 v[68:69], s41, v[40:41]
	v_and_b32_e32 v68, s43, v68
	s_delay_alu instid0(VALU_DEP_1)
	v_and_b32_e32 v69, 1, v68
	v_lshlrev_b32_e32 v70, 30, v68
	v_lshlrev_b32_e32 v71, 29, v68
	;; [unrolled: 1-line block ×4, first 2 shown]
	v_add_co_u32 v69, s17, v69, -1
	s_delay_alu instid0(VALU_DEP_1)
	v_cndmask_b32_e64 v73, 0, 1, s17
	v_not_b32_e32 v219, v70
	v_cmp_gt_i32_e64 s17, 0, v70
	v_not_b32_e32 v70, v71
	v_lshlrev_b32_e32 v75, 26, v68
	v_cmp_ne_u32_e32 vcc_lo, 0, v73
	v_ashrrev_i32_e32 v219, 31, v219
	v_lshlrev_b32_e32 v218, 25, v68
	v_ashrrev_i32_e32 v70, 31, v70
	v_lshlrev_b32_e32 v73, 24, v68
	v_xor_b32_e32 v69, vcc_lo, v69
	v_cmp_gt_i32_e32 vcc_lo, 0, v71
	v_not_b32_e32 v71, v72
	v_xor_b32_e32 v219, s17, v219
	v_cmp_gt_i32_e64 s17, 0, v72
	v_and_b32_e32 v69, exec_lo, v69
	v_not_b32_e32 v72, v74
	v_ashrrev_i32_e32 v71, 31, v71
	v_xor_b32_e32 v70, vcc_lo, v70
	v_cmp_gt_i32_e32 vcc_lo, 0, v74
	v_and_b32_e32 v69, v69, v219
	v_not_b32_e32 v74, v75
	v_ashrrev_i32_e32 v72, 31, v72
	v_xor_b32_e32 v71, s17, v71
	v_cmp_gt_i32_e64 s17, 0, v75
	v_and_b32_e32 v69, v69, v70
	v_not_b32_e32 v70, v218
	v_ashrrev_i32_e32 v74, 31, v74
	v_xor_b32_e32 v72, vcc_lo, v72
	v_cmp_gt_i32_e32 vcc_lo, 0, v218
	v_and_b32_e32 v69, v69, v71
	v_not_b32_e32 v71, v73
	v_ashrrev_i32_e32 v70, 31, v70
	v_xor_b32_e32 v74, s17, v74
	v_mul_u32_u24_e32 v68, 9, v68
	v_and_b32_e32 v69, v69, v72
	v_cmp_gt_i32_e64 s17, 0, v73
	v_ashrrev_i32_e32 v71, 31, v71
	v_xor_b32_e32 v70, vcc_lo, v70
	v_add_lshl_u32 v72, v68, v158, 2
	v_and_b32_e32 v69, v69, v74
	s_delay_alu instid0(VALU_DEP_4) | instskip(SKIP_3) | instid1(VALU_DEP_2)
	v_xor_b32_e32 v68, s17, v71
	ds_load_b32 v218, v72 offset:1056
	v_and_b32_e32 v69, v69, v70
	v_add_nc_u32_e32 v220, 0x420, v72
	; wave barrier
	v_and_b32_e32 v68, v69, v68
	s_delay_alu instid0(VALU_DEP_1) | instskip(SKIP_1) | instid1(VALU_DEP_2)
	v_mbcnt_lo_u32_b32 v219, v68, 0
	v_cmp_ne_u32_e64 s17, 0, v68
	v_cmp_eq_u32_e32 vcc_lo, 0, v219
	s_delay_alu instid0(VALU_DEP_2) | instskip(NEXT) | instid1(SALU_CYCLE_1)
	s_and_b32 s18, s17, vcc_lo
	s_and_saveexec_b32 s17, s18
	s_cbranch_execz .LBB741_172
; %bb.171:                              ;   in Loop: Header=BB741_106 Depth=2
	s_waitcnt lgkmcnt(0)
	v_bcnt_u32_b32 v68, v68, v218
	ds_store_b32 v220, v68
.LBB741_172:                            ;   in Loop: Header=BB741_106 Depth=2
	s_or_b32 exec_lo, exec_lo, s17
	v_xor_b32_e32 v43, 0x7fffffff, v43
	v_not_b32_e32 v42, v42
	; wave barrier
	s_delay_alu instid0(VALU_DEP_1) | instskip(NEXT) | instid1(VALU_DEP_1)
	v_lshrrev_b64 v[68:69], s41, v[42:43]
	v_and_b32_e32 v68, s43, v68
	s_delay_alu instid0(VALU_DEP_1)
	v_and_b32_e32 v69, 1, v68
	v_lshlrev_b32_e32 v70, 30, v68
	v_lshlrev_b32_e32 v71, 29, v68
	;; [unrolled: 1-line block ×4, first 2 shown]
	v_add_co_u32 v69, s17, v69, -1
	s_delay_alu instid0(VALU_DEP_1)
	v_cndmask_b32_e64 v73, 0, 1, s17
	v_not_b32_e32 v222, v70
	v_cmp_gt_i32_e64 s17, 0, v70
	v_not_b32_e32 v70, v71
	v_lshlrev_b32_e32 v75, 26, v68
	v_cmp_ne_u32_e32 vcc_lo, 0, v73
	v_ashrrev_i32_e32 v222, 31, v222
	v_lshlrev_b32_e32 v221, 25, v68
	v_ashrrev_i32_e32 v70, 31, v70
	v_lshlrev_b32_e32 v73, 24, v68
	v_xor_b32_e32 v69, vcc_lo, v69
	v_cmp_gt_i32_e32 vcc_lo, 0, v71
	v_not_b32_e32 v71, v72
	v_xor_b32_e32 v222, s17, v222
	v_cmp_gt_i32_e64 s17, 0, v72
	v_and_b32_e32 v69, exec_lo, v69
	v_not_b32_e32 v72, v74
	v_ashrrev_i32_e32 v71, 31, v71
	v_xor_b32_e32 v70, vcc_lo, v70
	v_cmp_gt_i32_e32 vcc_lo, 0, v74
	v_and_b32_e32 v69, v69, v222
	v_not_b32_e32 v74, v75
	v_ashrrev_i32_e32 v72, 31, v72
	v_xor_b32_e32 v71, s17, v71
	v_cmp_gt_i32_e64 s17, 0, v75
	v_and_b32_e32 v69, v69, v70
	v_not_b32_e32 v70, v221
	v_ashrrev_i32_e32 v74, 31, v74
	v_xor_b32_e32 v72, vcc_lo, v72
	v_cmp_gt_i32_e32 vcc_lo, 0, v221
	v_and_b32_e32 v69, v69, v71
	v_not_b32_e32 v71, v73
	v_ashrrev_i32_e32 v70, 31, v70
	v_xor_b32_e32 v74, s17, v74
	v_mul_u32_u24_e32 v68, 9, v68
	v_and_b32_e32 v69, v69, v72
	v_cmp_gt_i32_e64 s17, 0, v73
	v_ashrrev_i32_e32 v71, 31, v71
	v_xor_b32_e32 v70, vcc_lo, v70
	v_add_lshl_u32 v72, v68, v158, 2
	v_and_b32_e32 v69, v69, v74
	s_delay_alu instid0(VALU_DEP_4) | instskip(SKIP_3) | instid1(VALU_DEP_2)
	v_xor_b32_e32 v68, s17, v71
	ds_load_b32 v221, v72 offset:1056
	v_and_b32_e32 v69, v69, v70
	v_add_nc_u32_e32 v223, 0x420, v72
	; wave barrier
	v_and_b32_e32 v68, v69, v68
	s_delay_alu instid0(VALU_DEP_1) | instskip(SKIP_1) | instid1(VALU_DEP_2)
	v_mbcnt_lo_u32_b32 v222, v68, 0
	v_cmp_ne_u32_e64 s17, 0, v68
	v_cmp_eq_u32_e32 vcc_lo, 0, v222
	s_delay_alu instid0(VALU_DEP_2) | instskip(NEXT) | instid1(SALU_CYCLE_1)
	s_and_b32 s18, s17, vcc_lo
	s_and_saveexec_b32 s17, s18
	s_cbranch_execz .LBB741_174
; %bb.173:                              ;   in Loop: Header=BB741_106 Depth=2
	s_waitcnt lgkmcnt(0)
	v_bcnt_u32_b32 v68, v68, v221
	ds_store_b32 v223, v68
.LBB741_174:                            ;   in Loop: Header=BB741_106 Depth=2
	s_or_b32 exec_lo, exec_lo, s17
	; wave barrier
	s_waitcnt lgkmcnt(0)
	s_barrier
	buffer_gl0_inv
	ds_load_b32 v224, v102 offset:1056
	ds_load_2addr_b32 v[74:75], v103 offset0:1 offset1:2
	ds_load_2addr_b32 v[72:73], v103 offset0:3 offset1:4
	;; [unrolled: 1-line block ×4, first 2 shown]
	s_waitcnt lgkmcnt(3)
	v_add3_u32 v225, v74, v224, v75
	s_waitcnt lgkmcnt(2)
	s_delay_alu instid0(VALU_DEP_1) | instskip(SKIP_1) | instid1(VALU_DEP_1)
	v_add3_u32 v225, v225, v72, v73
	s_waitcnt lgkmcnt(1)
	v_add3_u32 v225, v225, v68, v69
	s_waitcnt lgkmcnt(0)
	s_delay_alu instid0(VALU_DEP_1) | instskip(NEXT) | instid1(VALU_DEP_1)
	v_add3_u32 v71, v225, v70, v71
	v_mov_b32_dpp v225, v71 row_shr:1 row_mask:0xf bank_mask:0xf
	s_delay_alu instid0(VALU_DEP_1) | instskip(NEXT) | instid1(VALU_DEP_1)
	v_cndmask_b32_e64 v225, v225, 0, s1
	v_add_nc_u32_e32 v71, v225, v71
	s_delay_alu instid0(VALU_DEP_1) | instskip(NEXT) | instid1(VALU_DEP_1)
	v_mov_b32_dpp v225, v71 row_shr:2 row_mask:0xf bank_mask:0xf
	v_cndmask_b32_e64 v225, 0, v225, s7
	s_delay_alu instid0(VALU_DEP_1) | instskip(NEXT) | instid1(VALU_DEP_1)
	v_add_nc_u32_e32 v71, v71, v225
	v_mov_b32_dpp v225, v71 row_shr:4 row_mask:0xf bank_mask:0xf
	s_delay_alu instid0(VALU_DEP_1) | instskip(NEXT) | instid1(VALU_DEP_1)
	v_cndmask_b32_e64 v225, 0, v225, s8
	v_add_nc_u32_e32 v71, v71, v225
	s_delay_alu instid0(VALU_DEP_1) | instskip(NEXT) | instid1(VALU_DEP_1)
	v_mov_b32_dpp v225, v71 row_shr:8 row_mask:0xf bank_mask:0xf
	v_cndmask_b32_e64 v225, 0, v225, s9
	s_delay_alu instid0(VALU_DEP_1) | instskip(SKIP_3) | instid1(VALU_DEP_1)
	v_add_nc_u32_e32 v71, v71, v225
	ds_swizzle_b32 v225, v71 offset:swizzle(BROADCAST,32,15)
	s_waitcnt lgkmcnt(0)
	v_cndmask_b32_e64 v225, v225, 0, s10
	v_add_nc_u32_e32 v71, v71, v225
	s_and_saveexec_b32 s17, s3
	s_cbranch_execz .LBB741_176
; %bb.175:                              ;   in Loop: Header=BB741_106 Depth=2
	ds_store_b32 v94, v71 offset:1024
.LBB741_176:                            ;   in Loop: Header=BB741_106 Depth=2
	s_or_b32 exec_lo, exec_lo, s17
	s_waitcnt lgkmcnt(0)
	s_barrier
	buffer_gl0_inv
	s_and_saveexec_b32 s17, s4
	s_cbranch_execz .LBB741_178
; %bb.177:                              ;   in Loop: Header=BB741_106 Depth=2
	ds_load_b32 v225, v104 offset:1024
	s_waitcnt lgkmcnt(0)
	v_mov_b32_dpp v226, v225 row_shr:1 row_mask:0xf bank_mask:0xf
	s_delay_alu instid0(VALU_DEP_1) | instskip(NEXT) | instid1(VALU_DEP_1)
	v_cndmask_b32_e64 v226, v226, 0, s12
	v_add_nc_u32_e32 v225, v226, v225
	s_delay_alu instid0(VALU_DEP_1) | instskip(NEXT) | instid1(VALU_DEP_1)
	v_mov_b32_dpp v226, v225 row_shr:2 row_mask:0xf bank_mask:0xf
	v_cndmask_b32_e64 v226, 0, v226, s13
	s_delay_alu instid0(VALU_DEP_1) | instskip(NEXT) | instid1(VALU_DEP_1)
	v_add_nc_u32_e32 v225, v225, v226
	v_mov_b32_dpp v226, v225 row_shr:4 row_mask:0xf bank_mask:0xf
	s_delay_alu instid0(VALU_DEP_1) | instskip(NEXT) | instid1(VALU_DEP_1)
	v_cndmask_b32_e64 v226, 0, v226, s16
	v_add_nc_u32_e32 v225, v225, v226
	ds_store_b32 v104, v225 offset:1024
.LBB741_178:                            ;   in Loop: Header=BB741_106 Depth=2
	s_or_b32 exec_lo, exec_lo, s17
	v_mov_b32_e32 v225, 0
	s_waitcnt lgkmcnt(0)
	s_barrier
	buffer_gl0_inv
	s_and_saveexec_b32 s17, s5
	s_cbranch_execz .LBB741_180
; %bb.179:                              ;   in Loop: Header=BB741_106 Depth=2
	ds_load_b32 v225, v94 offset:1020
.LBB741_180:                            ;   in Loop: Header=BB741_106 Depth=2
	s_or_b32 exec_lo, exec_lo, s17
	s_waitcnt lgkmcnt(0)
	v_add_nc_u32_e32 v71, v225, v71
	ds_bpermute_b32 v71, v137, v71
	s_waitcnt lgkmcnt(0)
	v_cndmask_b32_e64 v71, v71, v225, s11
	s_delay_alu instid0(VALU_DEP_1) | instskip(NEXT) | instid1(VALU_DEP_1)
	v_cndmask_b32_e64 v71, v71, 0, s0
	v_add_nc_u32_e32 v224, v71, v224
	s_delay_alu instid0(VALU_DEP_1) | instskip(NEXT) | instid1(VALU_DEP_1)
	v_add_nc_u32_e32 v74, v224, v74
	v_add_nc_u32_e32 v75, v74, v75
	s_delay_alu instid0(VALU_DEP_1) | instskip(NEXT) | instid1(VALU_DEP_1)
	v_add_nc_u32_e32 v72, v75, v72
	;; [unrolled: 3-line block ×3, first 2 shown]
	v_add_nc_u32_e32 v69, v68, v69
	s_delay_alu instid0(VALU_DEP_1)
	v_add_nc_u32_e32 v70, v69, v70
	ds_store_b32 v102, v71 offset:1056
	ds_store_2addr_b32 v103, v224, v74 offset0:1 offset1:2
	ds_store_2addr_b32 v103, v75, v72 offset0:3 offset1:4
	;; [unrolled: 1-line block ×4, first 2 shown]
	v_mov_b32_e32 v68, 0x1000
	s_waitcnt lgkmcnt(0)
	s_barrier
	buffer_gl0_inv
	ds_load_b32 v70, v181
	ds_load_b32 v71, v184
	;; [unrolled: 1-line block ×16, first 2 shown]
	ds_load_b32 v178, v102 offset:1056
	s_and_saveexec_b32 s17, s6
	s_cbranch_execz .LBB741_182
; %bb.181:                              ;   in Loop: Header=BB741_106 Depth=2
	ds_load_b32 v68, v105 offset:1056
.LBB741_182:                            ;   in Loop: Header=BB741_106 Depth=2
	s_or_b32 exec_lo, exec_lo, s17
	s_waitcnt lgkmcnt(0)
	s_barrier
	buffer_gl0_inv
	s_and_saveexec_b32 s17, s2
	s_cbranch_execz .LBB741_184
; %bb.183:                              ;   in Loop: Header=BB741_106 Depth=2
	ds_load_b32 v202, v76
	s_waitcnt lgkmcnt(0)
	v_sub_nc_u32_e32 v178, v202, v178
	ds_store_b32 v76, v178
.LBB741_184:                            ;   in Loop: Header=BB741_106 Depth=2
	s_or_b32 exec_lo, exec_lo, s17
	v_add_nc_u32_e32 v179, v180, v179
	v_add_lshl_u32 v69, v69, v2, 3
	v_add_nc_u32_e32 v2, v183, v182
	v_add_nc_u32_e32 v180, v186, v185
	;; [unrolled: 1-line block ×8, first 2 shown]
	v_add_lshl_u32 v70, v179, v70, 3
	v_add_lshl_u32 v71, v2, v71, 3
	v_add_nc_u32_e32 v200, v201, v200
	v_add_lshl_u32 v72, v180, v72, 3
	v_add_nc_u32_e32 v203, v204, v203
	;; [unrolled: 2-line block ×3, first 2 shown]
	v_add_nc_u32_e32 v202, v219, v218
	v_add_nc_u32_e32 v205, v216, v215
	v_add_nc_u32_e32 v208, v213, v212
	ds_store_b64 v69, v[36:37] offset:1024
	ds_store_b64 v70, v[38:39] offset:1024
	v_add_lshl_u32 v38, v191, v225, 3
	ds_store_b64 v71, v[44:45] offset:1024
	ds_store_b64 v72, v[48:49] offset:1024
	;; [unrolled: 1-line block ×3, first 2 shown]
	v_add_lshl_u32 v39, v194, v224, 3
	v_add_lshl_u32 v44, v197, v199, 3
	;; [unrolled: 1-line block ×6, first 2 shown]
	ds_store_b64 v38, v[58:59] offset:1024
	ds_store_b64 v39, v[62:63] offset:1024
	;; [unrolled: 1-line block ×6, first 2 shown]
	v_add_lshl_u32 v55, v208, v184, 3
	v_add_lshl_u32 v56, v205, v181, 3
	;; [unrolled: 1-line block ×3, first 2 shown]
	ds_store_b64 v54, v[52:53] offset:1024
	v_add_lshl_u32 v52, v178, v74, 3
	v_cmp_lt_u32_e32 vcc_lo, v1, v177
	ds_store_b64 v55, v[50:51] offset:1024
	ds_store_b64 v56, v[46:47] offset:1024
	;; [unrolled: 1-line block ×4, first 2 shown]
	s_waitcnt lgkmcnt(0)
	s_barrier
	buffer_gl0_inv
	s_and_saveexec_b32 s18, vcc_lo
	s_cbranch_execz .LBB741_200
; %bb.185:                              ;   in Loop: Header=BB741_106 Depth=2
	v_add_nc_u32_e32 v2, v104, v76
	ds_load_b64 v[36:37], v2 offset:1024
	s_waitcnt lgkmcnt(0)
	v_lshrrev_b64 v[40:41], s41, v[36:37]
	v_xor_b32_e32 v37, 0x7fffffff, v37
	v_not_b32_e32 v36, v36
	s_delay_alu instid0(VALU_DEP_3) | instskip(NEXT) | instid1(VALU_DEP_1)
	v_and_b32_e32 v2, s43, v40
	v_lshlrev_b32_e32 v2, 2, v2
	ds_load_b32 v2, v2
	s_waitcnt lgkmcnt(0)
	v_add_nc_u32_e32 v2, v2, v1
	s_delay_alu instid0(VALU_DEP_1) | instskip(NEXT) | instid1(VALU_DEP_1)
	v_lshlrev_b64 v[40:41], 3, v[2:3]
	v_add_co_u32 v40, s17, s46, v40
	s_delay_alu instid0(VALU_DEP_1) | instskip(SKIP_3) | instid1(VALU_DEP_1)
	v_add_co_ci_u32_e64 v41, s17, s47, v41, s17
	global_store_b64 v[40:41], v[36:37], off
	s_or_b32 exec_lo, exec_lo, s18
	v_cmp_lt_u32_e64 s17, v77, v177
	s_and_saveexec_b32 s19, s17
	s_cbranch_execnz .LBB741_201
.LBB741_186:                            ;   in Loop: Header=BB741_106 Depth=2
	s_or_b32 exec_lo, exec_lo, s19
	v_cmp_lt_u32_e64 s18, v78, v177
	s_delay_alu instid0(VALU_DEP_1)
	s_and_saveexec_b32 s20, s18
	s_cbranch_execz .LBB741_202
.LBB741_187:                            ;   in Loop: Header=BB741_106 Depth=2
	ds_load_b64 v[36:37], v110 offset:4096
	s_waitcnt lgkmcnt(0)
	v_lshrrev_b64 v[40:41], s41, v[36:37]
	v_xor_b32_e32 v37, 0x7fffffff, v37
	v_not_b32_e32 v36, v36
	s_delay_alu instid0(VALU_DEP_3) | instskip(NEXT) | instid1(VALU_DEP_1)
	v_and_b32_e32 v2, s43, v40
	v_lshlrev_b32_e32 v2, 2, v2
	ds_load_b32 v2, v2
	s_waitcnt lgkmcnt(0)
	v_add_nc_u32_e32 v2, v2, v78
	s_delay_alu instid0(VALU_DEP_1) | instskip(NEXT) | instid1(VALU_DEP_1)
	v_lshlrev_b64 v[40:41], 3, v[2:3]
	v_add_co_u32 v40, s19, s46, v40
	s_delay_alu instid0(VALU_DEP_1) | instskip(SKIP_3) | instid1(VALU_DEP_1)
	v_add_co_ci_u32_e64 v41, s19, s47, v41, s19
	global_store_b64 v[40:41], v[36:37], off
	s_or_b32 exec_lo, exec_lo, s20
	v_cmp_lt_u32_e64 s19, v79, v177
	s_and_saveexec_b32 s21, s19
	s_cbranch_execnz .LBB741_203
.LBB741_188:                            ;   in Loop: Header=BB741_106 Depth=2
	s_or_b32 exec_lo, exec_lo, s21
	v_cmp_lt_u32_e64 s20, v83, v177
	s_delay_alu instid0(VALU_DEP_1)
	s_and_saveexec_b32 s22, s20
	s_cbranch_execz .LBB741_204
.LBB741_189:                            ;   in Loop: Header=BB741_106 Depth=2
	ds_load_b64 v[36:37], v110 offset:8192
	s_waitcnt lgkmcnt(0)
	v_lshrrev_b64 v[40:41], s41, v[36:37]
	v_xor_b32_e32 v37, 0x7fffffff, v37
	v_not_b32_e32 v36, v36
	s_delay_alu instid0(VALU_DEP_3) | instskip(NEXT) | instid1(VALU_DEP_1)
	v_and_b32_e32 v2, s43, v40
	v_lshlrev_b32_e32 v2, 2, v2
	ds_load_b32 v2, v2
	s_waitcnt lgkmcnt(0)
	v_add_nc_u32_e32 v2, v2, v83
	s_delay_alu instid0(VALU_DEP_1) | instskip(NEXT) | instid1(VALU_DEP_1)
	v_lshlrev_b64 v[40:41], 3, v[2:3]
	v_add_co_u32 v40, s21, s46, v40
	s_delay_alu instid0(VALU_DEP_1) | instskip(SKIP_3) | instid1(VALU_DEP_1)
	v_add_co_ci_u32_e64 v41, s21, s47, v41, s21
	global_store_b64 v[40:41], v[36:37], off
	s_or_b32 exec_lo, exec_lo, s22
	v_cmp_lt_u32_e64 s21, v84, v177
	s_and_saveexec_b32 s23, s21
	s_cbranch_execnz .LBB741_205
.LBB741_190:                            ;   in Loop: Header=BB741_106 Depth=2
	s_or_b32 exec_lo, exec_lo, s23
	v_cmp_lt_u32_e64 s22, v85, v177
	s_delay_alu instid0(VALU_DEP_1)
	s_and_saveexec_b32 s24, s22
	s_cbranch_execz .LBB741_206
.LBB741_191:                            ;   in Loop: Header=BB741_106 Depth=2
	ds_load_b64 v[36:37], v110 offset:12288
	s_waitcnt lgkmcnt(0)
	v_lshrrev_b64 v[40:41], s41, v[36:37]
	v_xor_b32_e32 v37, 0x7fffffff, v37
	v_not_b32_e32 v36, v36
	s_delay_alu instid0(VALU_DEP_3) | instskip(NEXT) | instid1(VALU_DEP_1)
	v_and_b32_e32 v2, s43, v40
	v_lshlrev_b32_e32 v2, 2, v2
	ds_load_b32 v2, v2
	s_waitcnt lgkmcnt(0)
	v_add_nc_u32_e32 v2, v2, v85
	s_delay_alu instid0(VALU_DEP_1) | instskip(NEXT) | instid1(VALU_DEP_1)
	v_lshlrev_b64 v[40:41], 3, v[2:3]
	v_add_co_u32 v40, s23, s46, v40
	s_delay_alu instid0(VALU_DEP_1) | instskip(SKIP_3) | instid1(VALU_DEP_1)
	v_add_co_ci_u32_e64 v41, s23, s47, v41, s23
	global_store_b64 v[40:41], v[36:37], off
	s_or_b32 exec_lo, exec_lo, s24
	v_cmp_lt_u32_e64 s23, v86, v177
	s_and_saveexec_b32 s25, s23
	s_cbranch_execnz .LBB741_207
.LBB741_192:                            ;   in Loop: Header=BB741_106 Depth=2
	s_or_b32 exec_lo, exec_lo, s25
	v_cmp_lt_u32_e64 s24, v87, v177
	s_delay_alu instid0(VALU_DEP_1)
	s_and_saveexec_b32 s26, s24
	s_cbranch_execz .LBB741_208
.LBB741_193:                            ;   in Loop: Header=BB741_106 Depth=2
	ds_load_b64 v[36:37], v110 offset:16384
	s_waitcnt lgkmcnt(0)
	v_lshrrev_b64 v[40:41], s41, v[36:37]
	v_xor_b32_e32 v37, 0x7fffffff, v37
	v_not_b32_e32 v36, v36
	s_delay_alu instid0(VALU_DEP_3) | instskip(NEXT) | instid1(VALU_DEP_1)
	v_and_b32_e32 v2, s43, v40
	v_lshlrev_b32_e32 v2, 2, v2
	ds_load_b32 v2, v2
	s_waitcnt lgkmcnt(0)
	v_add_nc_u32_e32 v2, v2, v87
	s_delay_alu instid0(VALU_DEP_1) | instskip(NEXT) | instid1(VALU_DEP_1)
	v_lshlrev_b64 v[40:41], 3, v[2:3]
	v_add_co_u32 v40, s25, s46, v40
	s_delay_alu instid0(VALU_DEP_1) | instskip(SKIP_3) | instid1(VALU_DEP_1)
	v_add_co_ci_u32_e64 v41, s25, s47, v41, s25
	global_store_b64 v[40:41], v[36:37], off
	s_or_b32 exec_lo, exec_lo, s26
	v_cmp_lt_u32_e64 s25, v88, v177
	s_and_saveexec_b32 s27, s25
	s_cbranch_execnz .LBB741_209
.LBB741_194:                            ;   in Loop: Header=BB741_106 Depth=2
	s_or_b32 exec_lo, exec_lo, s27
	v_cmp_lt_u32_e64 s26, v89, v177
	s_delay_alu instid0(VALU_DEP_1)
	s_and_saveexec_b32 s28, s26
	s_cbranch_execz .LBB741_210
.LBB741_195:                            ;   in Loop: Header=BB741_106 Depth=2
	ds_load_b64 v[36:37], v110 offset:20480
	s_waitcnt lgkmcnt(0)
	v_lshrrev_b64 v[40:41], s41, v[36:37]
	v_xor_b32_e32 v37, 0x7fffffff, v37
	v_not_b32_e32 v36, v36
	s_delay_alu instid0(VALU_DEP_3) | instskip(NEXT) | instid1(VALU_DEP_1)
	v_and_b32_e32 v2, s43, v40
	v_lshlrev_b32_e32 v2, 2, v2
	ds_load_b32 v2, v2
	s_waitcnt lgkmcnt(0)
	v_add_nc_u32_e32 v2, v2, v89
	s_delay_alu instid0(VALU_DEP_1) | instskip(NEXT) | instid1(VALU_DEP_1)
	v_lshlrev_b64 v[40:41], 3, v[2:3]
	v_add_co_u32 v40, s27, s46, v40
	s_delay_alu instid0(VALU_DEP_1) | instskip(SKIP_3) | instid1(VALU_DEP_1)
	v_add_co_ci_u32_e64 v41, s27, s47, v41, s27
	global_store_b64 v[40:41], v[36:37], off
	s_or_b32 exec_lo, exec_lo, s28
	v_cmp_lt_u32_e64 s27, v90, v177
	s_and_saveexec_b32 s29, s27
	s_cbranch_execnz .LBB741_211
.LBB741_196:                            ;   in Loop: Header=BB741_106 Depth=2
	s_or_b32 exec_lo, exec_lo, s29
	v_cmp_lt_u32_e64 s28, v91, v177
	s_delay_alu instid0(VALU_DEP_1)
	s_and_saveexec_b32 s30, s28
	s_cbranch_execz .LBB741_212
.LBB741_197:                            ;   in Loop: Header=BB741_106 Depth=2
	ds_load_b64 v[36:37], v110 offset:24576
	s_waitcnt lgkmcnt(0)
	v_lshrrev_b64 v[40:41], s41, v[36:37]
	v_xor_b32_e32 v37, 0x7fffffff, v37
	v_not_b32_e32 v36, v36
	s_delay_alu instid0(VALU_DEP_3) | instskip(NEXT) | instid1(VALU_DEP_1)
	v_and_b32_e32 v2, s43, v40
	v_lshlrev_b32_e32 v2, 2, v2
	ds_load_b32 v2, v2
	s_waitcnt lgkmcnt(0)
	v_add_nc_u32_e32 v2, v2, v91
	s_delay_alu instid0(VALU_DEP_1) | instskip(NEXT) | instid1(VALU_DEP_1)
	v_lshlrev_b64 v[40:41], 3, v[2:3]
	v_add_co_u32 v40, s29, s46, v40
	s_delay_alu instid0(VALU_DEP_1) | instskip(SKIP_3) | instid1(VALU_DEP_1)
	v_add_co_ci_u32_e64 v41, s29, s47, v41, s29
	global_store_b64 v[40:41], v[36:37], off
	s_or_b32 exec_lo, exec_lo, s30
	v_cmp_lt_u32_e64 s29, v92, v177
	s_and_saveexec_b32 s31, s29
	s_cbranch_execnz .LBB741_213
.LBB741_198:                            ;   in Loop: Header=BB741_106 Depth=2
	s_or_b32 exec_lo, exec_lo, s31
	v_cmp_lt_u32_e64 s30, v93, v177
	s_delay_alu instid0(VALU_DEP_1)
	s_and_saveexec_b32 s33, s30
	s_cbranch_execz .LBB741_214
.LBB741_199:                            ;   in Loop: Header=BB741_106 Depth=2
	ds_load_b64 v[36:37], v110 offset:28672
	s_waitcnt lgkmcnt(0)
	v_lshrrev_b64 v[40:41], s41, v[36:37]
	v_xor_b32_e32 v37, 0x7fffffff, v37
	v_not_b32_e32 v36, v36
	s_delay_alu instid0(VALU_DEP_3) | instskip(NEXT) | instid1(VALU_DEP_1)
	v_and_b32_e32 v2, s43, v40
	v_lshlrev_b32_e32 v2, 2, v2
	ds_load_b32 v2, v2
	s_waitcnt lgkmcnt(0)
	v_add_nc_u32_e32 v2, v2, v93
	s_delay_alu instid0(VALU_DEP_1) | instskip(NEXT) | instid1(VALU_DEP_1)
	v_lshlrev_b64 v[40:41], 3, v[2:3]
	v_add_co_u32 v40, s31, s46, v40
	s_delay_alu instid0(VALU_DEP_1) | instskip(SKIP_3) | instid1(VALU_DEP_1)
	v_add_co_ci_u32_e64 v41, s31, s47, v41, s31
	global_store_b64 v[40:41], v[36:37], off
	s_or_b32 exec_lo, exec_lo, s33
	v_cmp_lt_u32_e64 s31, v95, v177
	s_and_saveexec_b32 s39, s31
	s_cbranch_execnz .LBB741_215
	s_branch .LBB741_216
.LBB741_200:                            ;   in Loop: Header=BB741_106 Depth=2
	s_or_b32 exec_lo, exec_lo, s18
	v_cmp_lt_u32_e64 s17, v77, v177
	s_delay_alu instid0(VALU_DEP_1)
	s_and_saveexec_b32 s19, s17
	s_cbranch_execz .LBB741_186
.LBB741_201:                            ;   in Loop: Header=BB741_106 Depth=2
	ds_load_b64 v[36:37], v110 offset:2048
	s_waitcnt lgkmcnt(0)
	v_lshrrev_b64 v[40:41], s41, v[36:37]
	v_xor_b32_e32 v37, 0x7fffffff, v37
	v_not_b32_e32 v36, v36
	s_delay_alu instid0(VALU_DEP_3) | instskip(NEXT) | instid1(VALU_DEP_1)
	v_and_b32_e32 v2, s43, v40
	v_lshlrev_b32_e32 v2, 2, v2
	ds_load_b32 v2, v2
	s_waitcnt lgkmcnt(0)
	v_add_nc_u32_e32 v2, v2, v77
	s_delay_alu instid0(VALU_DEP_1) | instskip(NEXT) | instid1(VALU_DEP_1)
	v_lshlrev_b64 v[40:41], 3, v[2:3]
	v_add_co_u32 v40, s18, s46, v40
	s_delay_alu instid0(VALU_DEP_1) | instskip(SKIP_3) | instid1(VALU_DEP_1)
	v_add_co_ci_u32_e64 v41, s18, s47, v41, s18
	global_store_b64 v[40:41], v[36:37], off
	s_or_b32 exec_lo, exec_lo, s19
	v_cmp_lt_u32_e64 s18, v78, v177
	s_and_saveexec_b32 s20, s18
	s_cbranch_execnz .LBB741_187
.LBB741_202:                            ;   in Loop: Header=BB741_106 Depth=2
	s_or_b32 exec_lo, exec_lo, s20
	v_cmp_lt_u32_e64 s19, v79, v177
	s_delay_alu instid0(VALU_DEP_1)
	s_and_saveexec_b32 s21, s19
	s_cbranch_execz .LBB741_188
.LBB741_203:                            ;   in Loop: Header=BB741_106 Depth=2
	ds_load_b64 v[36:37], v110 offset:6144
	s_waitcnt lgkmcnt(0)
	v_lshrrev_b64 v[40:41], s41, v[36:37]
	v_xor_b32_e32 v37, 0x7fffffff, v37
	v_not_b32_e32 v36, v36
	s_delay_alu instid0(VALU_DEP_3) | instskip(NEXT) | instid1(VALU_DEP_1)
	v_and_b32_e32 v2, s43, v40
	v_lshlrev_b32_e32 v2, 2, v2
	ds_load_b32 v2, v2
	s_waitcnt lgkmcnt(0)
	v_add_nc_u32_e32 v2, v2, v79
	s_delay_alu instid0(VALU_DEP_1) | instskip(NEXT) | instid1(VALU_DEP_1)
	v_lshlrev_b64 v[40:41], 3, v[2:3]
	v_add_co_u32 v40, s20, s46, v40
	s_delay_alu instid0(VALU_DEP_1) | instskip(SKIP_3) | instid1(VALU_DEP_1)
	v_add_co_ci_u32_e64 v41, s20, s47, v41, s20
	global_store_b64 v[40:41], v[36:37], off
	s_or_b32 exec_lo, exec_lo, s21
	v_cmp_lt_u32_e64 s20, v83, v177
	s_and_saveexec_b32 s22, s20
	s_cbranch_execnz .LBB741_189
.LBB741_204:                            ;   in Loop: Header=BB741_106 Depth=2
	s_or_b32 exec_lo, exec_lo, s22
	v_cmp_lt_u32_e64 s21, v84, v177
	s_delay_alu instid0(VALU_DEP_1)
	s_and_saveexec_b32 s23, s21
	s_cbranch_execz .LBB741_190
.LBB741_205:                            ;   in Loop: Header=BB741_106 Depth=2
	ds_load_b64 v[36:37], v110 offset:10240
	s_waitcnt lgkmcnt(0)
	v_lshrrev_b64 v[40:41], s41, v[36:37]
	v_xor_b32_e32 v37, 0x7fffffff, v37
	v_not_b32_e32 v36, v36
	s_delay_alu instid0(VALU_DEP_3) | instskip(NEXT) | instid1(VALU_DEP_1)
	v_and_b32_e32 v2, s43, v40
	v_lshlrev_b32_e32 v2, 2, v2
	ds_load_b32 v2, v2
	s_waitcnt lgkmcnt(0)
	v_add_nc_u32_e32 v2, v2, v84
	s_delay_alu instid0(VALU_DEP_1) | instskip(NEXT) | instid1(VALU_DEP_1)
	v_lshlrev_b64 v[40:41], 3, v[2:3]
	v_add_co_u32 v40, s22, s46, v40
	s_delay_alu instid0(VALU_DEP_1) | instskip(SKIP_3) | instid1(VALU_DEP_1)
	v_add_co_ci_u32_e64 v41, s22, s47, v41, s22
	global_store_b64 v[40:41], v[36:37], off
	s_or_b32 exec_lo, exec_lo, s23
	v_cmp_lt_u32_e64 s22, v85, v177
	s_and_saveexec_b32 s24, s22
	s_cbranch_execnz .LBB741_191
.LBB741_206:                            ;   in Loop: Header=BB741_106 Depth=2
	s_or_b32 exec_lo, exec_lo, s24
	v_cmp_lt_u32_e64 s23, v86, v177
	s_delay_alu instid0(VALU_DEP_1)
	s_and_saveexec_b32 s25, s23
	s_cbranch_execz .LBB741_192
.LBB741_207:                            ;   in Loop: Header=BB741_106 Depth=2
	ds_load_b64 v[36:37], v110 offset:14336
	s_waitcnt lgkmcnt(0)
	v_lshrrev_b64 v[40:41], s41, v[36:37]
	v_xor_b32_e32 v37, 0x7fffffff, v37
	v_not_b32_e32 v36, v36
	s_delay_alu instid0(VALU_DEP_3) | instskip(NEXT) | instid1(VALU_DEP_1)
	v_and_b32_e32 v2, s43, v40
	v_lshlrev_b32_e32 v2, 2, v2
	ds_load_b32 v2, v2
	s_waitcnt lgkmcnt(0)
	v_add_nc_u32_e32 v2, v2, v86
	s_delay_alu instid0(VALU_DEP_1) | instskip(NEXT) | instid1(VALU_DEP_1)
	v_lshlrev_b64 v[40:41], 3, v[2:3]
	v_add_co_u32 v40, s24, s46, v40
	s_delay_alu instid0(VALU_DEP_1) | instskip(SKIP_3) | instid1(VALU_DEP_1)
	v_add_co_ci_u32_e64 v41, s24, s47, v41, s24
	global_store_b64 v[40:41], v[36:37], off
	s_or_b32 exec_lo, exec_lo, s25
	v_cmp_lt_u32_e64 s24, v87, v177
	s_and_saveexec_b32 s26, s24
	s_cbranch_execnz .LBB741_193
.LBB741_208:                            ;   in Loop: Header=BB741_106 Depth=2
	s_or_b32 exec_lo, exec_lo, s26
	v_cmp_lt_u32_e64 s25, v88, v177
	s_delay_alu instid0(VALU_DEP_1)
	s_and_saveexec_b32 s27, s25
	s_cbranch_execz .LBB741_194
.LBB741_209:                            ;   in Loop: Header=BB741_106 Depth=2
	ds_load_b64 v[36:37], v110 offset:18432
	s_waitcnt lgkmcnt(0)
	v_lshrrev_b64 v[40:41], s41, v[36:37]
	v_xor_b32_e32 v37, 0x7fffffff, v37
	v_not_b32_e32 v36, v36
	s_delay_alu instid0(VALU_DEP_3) | instskip(NEXT) | instid1(VALU_DEP_1)
	v_and_b32_e32 v2, s43, v40
	v_lshlrev_b32_e32 v2, 2, v2
	ds_load_b32 v2, v2
	s_waitcnt lgkmcnt(0)
	v_add_nc_u32_e32 v2, v2, v88
	s_delay_alu instid0(VALU_DEP_1) | instskip(NEXT) | instid1(VALU_DEP_1)
	v_lshlrev_b64 v[40:41], 3, v[2:3]
	v_add_co_u32 v40, s26, s46, v40
	s_delay_alu instid0(VALU_DEP_1) | instskip(SKIP_3) | instid1(VALU_DEP_1)
	v_add_co_ci_u32_e64 v41, s26, s47, v41, s26
	global_store_b64 v[40:41], v[36:37], off
	s_or_b32 exec_lo, exec_lo, s27
	v_cmp_lt_u32_e64 s26, v89, v177
	s_and_saveexec_b32 s28, s26
	s_cbranch_execnz .LBB741_195
.LBB741_210:                            ;   in Loop: Header=BB741_106 Depth=2
	s_or_b32 exec_lo, exec_lo, s28
	v_cmp_lt_u32_e64 s27, v90, v177
	s_delay_alu instid0(VALU_DEP_1)
	s_and_saveexec_b32 s29, s27
	s_cbranch_execz .LBB741_196
.LBB741_211:                            ;   in Loop: Header=BB741_106 Depth=2
	ds_load_b64 v[36:37], v110 offset:22528
	s_waitcnt lgkmcnt(0)
	v_lshrrev_b64 v[40:41], s41, v[36:37]
	v_xor_b32_e32 v37, 0x7fffffff, v37
	v_not_b32_e32 v36, v36
	s_delay_alu instid0(VALU_DEP_3) | instskip(NEXT) | instid1(VALU_DEP_1)
	v_and_b32_e32 v2, s43, v40
	v_lshlrev_b32_e32 v2, 2, v2
	ds_load_b32 v2, v2
	s_waitcnt lgkmcnt(0)
	v_add_nc_u32_e32 v2, v2, v90
	s_delay_alu instid0(VALU_DEP_1) | instskip(NEXT) | instid1(VALU_DEP_1)
	v_lshlrev_b64 v[40:41], 3, v[2:3]
	v_add_co_u32 v40, s28, s46, v40
	s_delay_alu instid0(VALU_DEP_1) | instskip(SKIP_3) | instid1(VALU_DEP_1)
	v_add_co_ci_u32_e64 v41, s28, s47, v41, s28
	global_store_b64 v[40:41], v[36:37], off
	s_or_b32 exec_lo, exec_lo, s29
	v_cmp_lt_u32_e64 s28, v91, v177
	s_and_saveexec_b32 s30, s28
	s_cbranch_execnz .LBB741_197
.LBB741_212:                            ;   in Loop: Header=BB741_106 Depth=2
	s_or_b32 exec_lo, exec_lo, s30
	v_cmp_lt_u32_e64 s29, v92, v177
	s_delay_alu instid0(VALU_DEP_1)
	s_and_saveexec_b32 s31, s29
	s_cbranch_execz .LBB741_198
.LBB741_213:                            ;   in Loop: Header=BB741_106 Depth=2
	ds_load_b64 v[36:37], v110 offset:26624
	s_waitcnt lgkmcnt(0)
	v_lshrrev_b64 v[40:41], s41, v[36:37]
	v_xor_b32_e32 v37, 0x7fffffff, v37
	v_not_b32_e32 v36, v36
	s_delay_alu instid0(VALU_DEP_3) | instskip(NEXT) | instid1(VALU_DEP_1)
	v_and_b32_e32 v2, s43, v40
	v_lshlrev_b32_e32 v2, 2, v2
	ds_load_b32 v2, v2
	s_waitcnt lgkmcnt(0)
	v_add_nc_u32_e32 v2, v2, v92
	s_delay_alu instid0(VALU_DEP_1) | instskip(NEXT) | instid1(VALU_DEP_1)
	v_lshlrev_b64 v[40:41], 3, v[2:3]
	v_add_co_u32 v40, s30, s46, v40
	s_delay_alu instid0(VALU_DEP_1) | instskip(SKIP_3) | instid1(VALU_DEP_1)
	v_add_co_ci_u32_e64 v41, s30, s47, v41, s30
	global_store_b64 v[40:41], v[36:37], off
	s_or_b32 exec_lo, exec_lo, s31
	v_cmp_lt_u32_e64 s30, v93, v177
	s_and_saveexec_b32 s33, s30
	s_cbranch_execnz .LBB741_199
.LBB741_214:                            ;   in Loop: Header=BB741_106 Depth=2
	s_or_b32 exec_lo, exec_lo, s33
	v_cmp_lt_u32_e64 s31, v95, v177
	s_delay_alu instid0(VALU_DEP_1)
	s_and_saveexec_b32 s39, s31
	s_cbranch_execz .LBB741_216
.LBB741_215:                            ;   in Loop: Header=BB741_106 Depth=2
	ds_load_b64 v[36:37], v110 offset:30720
	s_waitcnt lgkmcnt(0)
	v_lshrrev_b64 v[40:41], s41, v[36:37]
	v_xor_b32_e32 v37, 0x7fffffff, v37
	v_not_b32_e32 v36, v36
	s_delay_alu instid0(VALU_DEP_3) | instskip(NEXT) | instid1(VALU_DEP_1)
	v_and_b32_e32 v2, s43, v40
	v_lshlrev_b32_e32 v2, 2, v2
	ds_load_b32 v2, v2
	s_waitcnt lgkmcnt(0)
	v_add_nc_u32_e32 v2, v2, v95
	s_delay_alu instid0(VALU_DEP_1) | instskip(NEXT) | instid1(VALU_DEP_1)
	v_lshlrev_b64 v[40:41], 3, v[2:3]
	v_add_co_u32 v40, s33, s46, v40
	s_delay_alu instid0(VALU_DEP_1)
	v_add_co_ci_u32_e64 v41, s33, s47, v41, s33
	global_store_b64 v[40:41], v[36:37], off
.LBB741_216:                            ;   in Loop: Header=BB741_106 Depth=2
	s_or_b32 exec_lo, exec_lo, s39
	s_mov_b32 s39, s34
	s_delay_alu instid0(SALU_CYCLE_1) | instskip(NEXT) | instid1(SALU_CYCLE_1)
	s_lshl_b64 s[38:39], s[38:39], 3
	v_add_co_u32 v36, s33, v139, s38
	s_delay_alu instid0(VALU_DEP_1) | instskip(SKIP_1) | instid1(VALU_DEP_1)
	v_add_co_ci_u32_e64 v37, s33, s39, v140, s33
	v_cmp_lt_u32_e64 s33, v138, v177
	s_and_saveexec_b32 s38, s33
	s_delay_alu instid0(SALU_CYCLE_1)
	s_xor_b32 s33, exec_lo, s38
	s_cbranch_execz .LBB741_248
; %bb.217:                              ;   in Loop: Header=BB741_106 Depth=2
	global_load_b64 v[34:35], v[36:37], off
	s_or_b32 exec_lo, exec_lo, s33
	s_delay_alu instid0(SALU_CYCLE_1)
	s_mov_b32 s38, exec_lo
	v_cmpx_lt_u32_e64 v141, v177
	s_cbranch_execnz .LBB741_249
.LBB741_218:                            ;   in Loop: Header=BB741_106 Depth=2
	s_or_b32 exec_lo, exec_lo, s38
	s_delay_alu instid0(SALU_CYCLE_1)
	s_mov_b32 s38, exec_lo
	v_cmpx_lt_u32_e64 v142, v177
	s_cbranch_execz .LBB741_250
.LBB741_219:                            ;   in Loop: Header=BB741_106 Depth=2
	global_load_b64 v[30:31], v[36:37], off offset:512
	s_or_b32 exec_lo, exec_lo, s38
	s_delay_alu instid0(SALU_CYCLE_1)
	s_mov_b32 s38, exec_lo
	v_cmpx_lt_u32_e64 v143, v177
	s_cbranch_execnz .LBB741_251
.LBB741_220:                            ;   in Loop: Header=BB741_106 Depth=2
	s_or_b32 exec_lo, exec_lo, s38
	s_delay_alu instid0(SALU_CYCLE_1)
	s_mov_b32 s38, exec_lo
	v_cmpx_lt_u32_e64 v144, v177
	s_cbranch_execz .LBB741_252
.LBB741_221:                            ;   in Loop: Header=BB741_106 Depth=2
	global_load_b64 v[26:27], v[36:37], off offset:1024
	s_or_b32 exec_lo, exec_lo, s38
	s_delay_alu instid0(SALU_CYCLE_1)
	s_mov_b32 s38, exec_lo
	v_cmpx_lt_u32_e64 v145, v177
	s_cbranch_execnz .LBB741_253
.LBB741_222:                            ;   in Loop: Header=BB741_106 Depth=2
	s_or_b32 exec_lo, exec_lo, s38
	s_delay_alu instid0(SALU_CYCLE_1)
	s_mov_b32 s38, exec_lo
	v_cmpx_lt_u32_e64 v146, v177
	s_cbranch_execz .LBB741_254
.LBB741_223:                            ;   in Loop: Header=BB741_106 Depth=2
	global_load_b64 v[22:23], v[36:37], off offset:1536
	s_or_b32 exec_lo, exec_lo, s38
	s_delay_alu instid0(SALU_CYCLE_1)
	s_mov_b32 s38, exec_lo
	v_cmpx_lt_u32_e64 v147, v177
	s_cbranch_execnz .LBB741_255
.LBB741_224:                            ;   in Loop: Header=BB741_106 Depth=2
	s_or_b32 exec_lo, exec_lo, s38
	s_delay_alu instid0(SALU_CYCLE_1)
	s_mov_b32 s38, exec_lo
	v_cmpx_lt_u32_e64 v148, v177
	s_cbranch_execz .LBB741_256
.LBB741_225:                            ;   in Loop: Header=BB741_106 Depth=2
	global_load_b64 v[18:19], v[36:37], off offset:2048
	s_or_b32 exec_lo, exec_lo, s38
	s_delay_alu instid0(SALU_CYCLE_1)
	s_mov_b32 s38, exec_lo
	v_cmpx_lt_u32_e64 v149, v177
	s_cbranch_execnz .LBB741_257
.LBB741_226:                            ;   in Loop: Header=BB741_106 Depth=2
	s_or_b32 exec_lo, exec_lo, s38
	s_delay_alu instid0(SALU_CYCLE_1)
	s_mov_b32 s38, exec_lo
	v_cmpx_lt_u32_e64 v150, v177
	s_cbranch_execz .LBB741_258
.LBB741_227:                            ;   in Loop: Header=BB741_106 Depth=2
	global_load_b64 v[14:15], v[36:37], off offset:2560
	s_or_b32 exec_lo, exec_lo, s38
	s_delay_alu instid0(SALU_CYCLE_1)
	s_mov_b32 s38, exec_lo
	v_cmpx_lt_u32_e64 v151, v177
	s_cbranch_execnz .LBB741_259
.LBB741_228:                            ;   in Loop: Header=BB741_106 Depth=2
	s_or_b32 exec_lo, exec_lo, s38
	s_delay_alu instid0(SALU_CYCLE_1)
	s_mov_b32 s38, exec_lo
	v_cmpx_lt_u32_e64 v152, v177
	s_cbranch_execz .LBB741_260
.LBB741_229:                            ;   in Loop: Header=BB741_106 Depth=2
	global_load_b64 v[10:11], v[36:37], off offset:3072
	s_or_b32 exec_lo, exec_lo, s38
	s_delay_alu instid0(SALU_CYCLE_1)
	s_mov_b32 s38, exec_lo
	v_cmpx_lt_u32_e64 v153, v177
	s_cbranch_execnz .LBB741_261
.LBB741_230:                            ;   in Loop: Header=BB741_106 Depth=2
	s_or_b32 exec_lo, exec_lo, s38
	s_delay_alu instid0(SALU_CYCLE_1)
	s_mov_b32 s38, exec_lo
	v_cmpx_lt_u32_e64 v154, v177
	s_cbranch_execz .LBB741_262
.LBB741_231:                            ;   in Loop: Header=BB741_106 Depth=2
	global_load_b64 v[6:7], v[36:37], off offset:3584
	s_or_b32 exec_lo, exec_lo, s38
	s_delay_alu instid0(SALU_CYCLE_1)
	s_mov_b32 s38, exec_lo
	v_cmpx_lt_u32_e64 v155, v177
	s_cbranch_execnz .LBB741_263
.LBB741_232:                            ;   in Loop: Header=BB741_106 Depth=2
	s_or_b32 exec_lo, exec_lo, s38
	s_and_saveexec_b32 s33, vcc_lo
	s_cbranch_execz .LBB741_264
.LBB741_233:                            ;   in Loop: Header=BB741_106 Depth=2
	v_add_nc_u32_e32 v2, v104, v76
	ds_load_b64 v[36:37], v2 offset:1024
	s_waitcnt lgkmcnt(0)
	v_lshrrev_b64 v[36:37], s41, v[36:37]
	s_delay_alu instid0(VALU_DEP_1)
	v_and_b32_e32 v176, s43, v36
	s_or_b32 exec_lo, exec_lo, s33
	s_and_saveexec_b32 s33, s17
	s_cbranch_execnz .LBB741_265
.LBB741_234:                            ;   in Loop: Header=BB741_106 Depth=2
	s_or_b32 exec_lo, exec_lo, s33
	s_and_saveexec_b32 s33, s18
	s_cbranch_execz .LBB741_266
.LBB741_235:                            ;   in Loop: Header=BB741_106 Depth=2
	ds_load_b64 v[36:37], v110 offset:4096
	s_waitcnt lgkmcnt(0)
	v_lshrrev_b64 v[36:37], s41, v[36:37]
	s_delay_alu instid0(VALU_DEP_1)
	v_and_b32_e32 v174, s43, v36
	s_or_b32 exec_lo, exec_lo, s33
	s_and_saveexec_b32 s33, s19
	s_cbranch_execnz .LBB741_267
.LBB741_236:                            ;   in Loop: Header=BB741_106 Depth=2
	s_or_b32 exec_lo, exec_lo, s33
	s_and_saveexec_b32 s33, s20
	s_cbranch_execz .LBB741_268
.LBB741_237:                            ;   in Loop: Header=BB741_106 Depth=2
	ds_load_b64 v[36:37], v110 offset:8192
	s_waitcnt lgkmcnt(0)
	v_lshrrev_b64 v[36:37], s41, v[36:37]
	s_delay_alu instid0(VALU_DEP_1)
	v_and_b32_e32 v172, s43, v36
	s_or_b32 exec_lo, exec_lo, s33
	s_and_saveexec_b32 s33, s21
	s_cbranch_execnz .LBB741_269
.LBB741_238:                            ;   in Loop: Header=BB741_106 Depth=2
	s_or_b32 exec_lo, exec_lo, s33
	s_and_saveexec_b32 s33, s22
	s_cbranch_execz .LBB741_270
.LBB741_239:                            ;   in Loop: Header=BB741_106 Depth=2
	ds_load_b64 v[36:37], v110 offset:12288
	s_waitcnt lgkmcnt(0)
	v_lshrrev_b64 v[36:37], s41, v[36:37]
	s_delay_alu instid0(VALU_DEP_1)
	v_and_b32_e32 v170, s43, v36
	s_or_b32 exec_lo, exec_lo, s33
	s_and_saveexec_b32 s33, s23
	s_cbranch_execnz .LBB741_271
.LBB741_240:                            ;   in Loop: Header=BB741_106 Depth=2
	s_or_b32 exec_lo, exec_lo, s33
	s_and_saveexec_b32 s33, s24
	s_cbranch_execz .LBB741_272
.LBB741_241:                            ;   in Loop: Header=BB741_106 Depth=2
	ds_load_b64 v[36:37], v110 offset:16384
	s_waitcnt lgkmcnt(0)
	v_lshrrev_b64 v[36:37], s41, v[36:37]
	s_delay_alu instid0(VALU_DEP_1)
	v_and_b32_e32 v168, s43, v36
	s_or_b32 exec_lo, exec_lo, s33
	s_and_saveexec_b32 s33, s25
	s_cbranch_execnz .LBB741_273
.LBB741_242:                            ;   in Loop: Header=BB741_106 Depth=2
	s_or_b32 exec_lo, exec_lo, s33
	s_and_saveexec_b32 s33, s26
	s_cbranch_execz .LBB741_274
.LBB741_243:                            ;   in Loop: Header=BB741_106 Depth=2
	ds_load_b64 v[36:37], v110 offset:20480
	s_waitcnt lgkmcnt(0)
	v_lshrrev_b64 v[36:37], s41, v[36:37]
	s_delay_alu instid0(VALU_DEP_1)
	v_and_b32_e32 v166, s43, v36
	s_or_b32 exec_lo, exec_lo, s33
	s_and_saveexec_b32 s33, s27
	s_cbranch_execnz .LBB741_275
.LBB741_244:                            ;   in Loop: Header=BB741_106 Depth=2
	s_or_b32 exec_lo, exec_lo, s33
	s_and_saveexec_b32 s33, s28
	s_cbranch_execz .LBB741_276
.LBB741_245:                            ;   in Loop: Header=BB741_106 Depth=2
	ds_load_b64 v[36:37], v110 offset:24576
	s_waitcnt lgkmcnt(0)
	v_lshrrev_b64 v[36:37], s41, v[36:37]
	s_delay_alu instid0(VALU_DEP_1)
	v_and_b32_e32 v164, s43, v36
	s_or_b32 exec_lo, exec_lo, s33
	s_and_saveexec_b32 s33, s29
	s_cbranch_execnz .LBB741_277
.LBB741_246:                            ;   in Loop: Header=BB741_106 Depth=2
	s_or_b32 exec_lo, exec_lo, s33
	s_and_saveexec_b32 s33, s30
	s_cbranch_execz .LBB741_278
.LBB741_247:                            ;   in Loop: Header=BB741_106 Depth=2
	ds_load_b64 v[36:37], v110 offset:28672
	s_waitcnt lgkmcnt(0)
	v_lshrrev_b64 v[36:37], s41, v[36:37]
	s_delay_alu instid0(VALU_DEP_1)
	v_and_b32_e32 v162, s43, v36
	s_or_b32 exec_lo, exec_lo, s33
	s_and_saveexec_b32 s33, s31
	s_cbranch_execnz .LBB741_279
	s_branch .LBB741_280
.LBB741_248:                            ;   in Loop: Header=BB741_106 Depth=2
	s_or_b32 exec_lo, exec_lo, s33
	s_delay_alu instid0(SALU_CYCLE_1)
	s_mov_b32 s38, exec_lo
	v_cmpx_lt_u32_e64 v141, v177
	s_cbranch_execz .LBB741_218
.LBB741_249:                            ;   in Loop: Header=BB741_106 Depth=2
	global_load_b64 v[32:33], v[36:37], off offset:256
	s_or_b32 exec_lo, exec_lo, s38
	s_delay_alu instid0(SALU_CYCLE_1)
	s_mov_b32 s38, exec_lo
	v_cmpx_lt_u32_e64 v142, v177
	s_cbranch_execnz .LBB741_219
.LBB741_250:                            ;   in Loop: Header=BB741_106 Depth=2
	s_or_b32 exec_lo, exec_lo, s38
	s_delay_alu instid0(SALU_CYCLE_1)
	s_mov_b32 s38, exec_lo
	v_cmpx_lt_u32_e64 v143, v177
	s_cbranch_execz .LBB741_220
.LBB741_251:                            ;   in Loop: Header=BB741_106 Depth=2
	global_load_b64 v[28:29], v[36:37], off offset:768
	s_or_b32 exec_lo, exec_lo, s38
	s_delay_alu instid0(SALU_CYCLE_1)
	s_mov_b32 s38, exec_lo
	v_cmpx_lt_u32_e64 v144, v177
	s_cbranch_execnz .LBB741_221
.LBB741_252:                            ;   in Loop: Header=BB741_106 Depth=2
	s_or_b32 exec_lo, exec_lo, s38
	s_delay_alu instid0(SALU_CYCLE_1)
	s_mov_b32 s38, exec_lo
	v_cmpx_lt_u32_e64 v145, v177
	s_cbranch_execz .LBB741_222
.LBB741_253:                            ;   in Loop: Header=BB741_106 Depth=2
	global_load_b64 v[24:25], v[36:37], off offset:1280
	s_or_b32 exec_lo, exec_lo, s38
	s_delay_alu instid0(SALU_CYCLE_1)
	s_mov_b32 s38, exec_lo
	v_cmpx_lt_u32_e64 v146, v177
	s_cbranch_execnz .LBB741_223
.LBB741_254:                            ;   in Loop: Header=BB741_106 Depth=2
	s_or_b32 exec_lo, exec_lo, s38
	s_delay_alu instid0(SALU_CYCLE_1)
	s_mov_b32 s38, exec_lo
	v_cmpx_lt_u32_e64 v147, v177
	s_cbranch_execz .LBB741_224
.LBB741_255:                            ;   in Loop: Header=BB741_106 Depth=2
	global_load_b64 v[20:21], v[36:37], off offset:1792
	s_or_b32 exec_lo, exec_lo, s38
	s_delay_alu instid0(SALU_CYCLE_1)
	s_mov_b32 s38, exec_lo
	v_cmpx_lt_u32_e64 v148, v177
	s_cbranch_execnz .LBB741_225
.LBB741_256:                            ;   in Loop: Header=BB741_106 Depth=2
	s_or_b32 exec_lo, exec_lo, s38
	s_delay_alu instid0(SALU_CYCLE_1)
	s_mov_b32 s38, exec_lo
	v_cmpx_lt_u32_e64 v149, v177
	s_cbranch_execz .LBB741_226
.LBB741_257:                            ;   in Loop: Header=BB741_106 Depth=2
	global_load_b64 v[16:17], v[36:37], off offset:2304
	s_or_b32 exec_lo, exec_lo, s38
	s_delay_alu instid0(SALU_CYCLE_1)
	s_mov_b32 s38, exec_lo
	v_cmpx_lt_u32_e64 v150, v177
	s_cbranch_execnz .LBB741_227
.LBB741_258:                            ;   in Loop: Header=BB741_106 Depth=2
	s_or_b32 exec_lo, exec_lo, s38
	s_delay_alu instid0(SALU_CYCLE_1)
	s_mov_b32 s38, exec_lo
	v_cmpx_lt_u32_e64 v151, v177
	s_cbranch_execz .LBB741_228
.LBB741_259:                            ;   in Loop: Header=BB741_106 Depth=2
	global_load_b64 v[12:13], v[36:37], off offset:2816
	s_or_b32 exec_lo, exec_lo, s38
	s_delay_alu instid0(SALU_CYCLE_1)
	s_mov_b32 s38, exec_lo
	v_cmpx_lt_u32_e64 v152, v177
	s_cbranch_execnz .LBB741_229
.LBB741_260:                            ;   in Loop: Header=BB741_106 Depth=2
	s_or_b32 exec_lo, exec_lo, s38
	s_delay_alu instid0(SALU_CYCLE_1)
	s_mov_b32 s38, exec_lo
	v_cmpx_lt_u32_e64 v153, v177
	s_cbranch_execz .LBB741_230
.LBB741_261:                            ;   in Loop: Header=BB741_106 Depth=2
	global_load_b64 v[8:9], v[36:37], off offset:3328
	s_or_b32 exec_lo, exec_lo, s38
	s_delay_alu instid0(SALU_CYCLE_1)
	s_mov_b32 s38, exec_lo
	v_cmpx_lt_u32_e64 v154, v177
	s_cbranch_execnz .LBB741_231
.LBB741_262:                            ;   in Loop: Header=BB741_106 Depth=2
	s_or_b32 exec_lo, exec_lo, s38
	s_delay_alu instid0(SALU_CYCLE_1)
	s_mov_b32 s38, exec_lo
	v_cmpx_lt_u32_e64 v155, v177
	s_cbranch_execz .LBB741_232
.LBB741_263:                            ;   in Loop: Header=BB741_106 Depth=2
	global_load_b64 v[4:5], v[36:37], off offset:3840
	s_or_b32 exec_lo, exec_lo, s38
	s_and_saveexec_b32 s33, vcc_lo
	s_cbranch_execnz .LBB741_233
.LBB741_264:                            ;   in Loop: Header=BB741_106 Depth=2
	s_or_b32 exec_lo, exec_lo, s33
	s_and_saveexec_b32 s33, s17
	s_cbranch_execz .LBB741_234
.LBB741_265:                            ;   in Loop: Header=BB741_106 Depth=2
	ds_load_b64 v[36:37], v110 offset:2048
	s_waitcnt lgkmcnt(0)
	v_lshrrev_b64 v[36:37], s41, v[36:37]
	s_delay_alu instid0(VALU_DEP_1)
	v_and_b32_e32 v175, s43, v36
	s_or_b32 exec_lo, exec_lo, s33
	s_and_saveexec_b32 s33, s18
	s_cbranch_execnz .LBB741_235
.LBB741_266:                            ;   in Loop: Header=BB741_106 Depth=2
	s_or_b32 exec_lo, exec_lo, s33
	s_and_saveexec_b32 s33, s19
	s_cbranch_execz .LBB741_236
.LBB741_267:                            ;   in Loop: Header=BB741_106 Depth=2
	ds_load_b64 v[36:37], v110 offset:6144
	s_waitcnt lgkmcnt(0)
	v_lshrrev_b64 v[36:37], s41, v[36:37]
	s_delay_alu instid0(VALU_DEP_1)
	v_and_b32_e32 v173, s43, v36
	s_or_b32 exec_lo, exec_lo, s33
	s_and_saveexec_b32 s33, s20
	s_cbranch_execnz .LBB741_237
.LBB741_268:                            ;   in Loop: Header=BB741_106 Depth=2
	s_or_b32 exec_lo, exec_lo, s33
	s_and_saveexec_b32 s33, s21
	s_cbranch_execz .LBB741_238
.LBB741_269:                            ;   in Loop: Header=BB741_106 Depth=2
	ds_load_b64 v[36:37], v110 offset:10240
	s_waitcnt lgkmcnt(0)
	v_lshrrev_b64 v[36:37], s41, v[36:37]
	s_delay_alu instid0(VALU_DEP_1)
	v_and_b32_e32 v171, s43, v36
	s_or_b32 exec_lo, exec_lo, s33
	s_and_saveexec_b32 s33, s22
	s_cbranch_execnz .LBB741_239
.LBB741_270:                            ;   in Loop: Header=BB741_106 Depth=2
	s_or_b32 exec_lo, exec_lo, s33
	s_and_saveexec_b32 s33, s23
	s_cbranch_execz .LBB741_240
.LBB741_271:                            ;   in Loop: Header=BB741_106 Depth=2
	ds_load_b64 v[36:37], v110 offset:14336
	s_waitcnt lgkmcnt(0)
	v_lshrrev_b64 v[36:37], s41, v[36:37]
	s_delay_alu instid0(VALU_DEP_1)
	v_and_b32_e32 v169, s43, v36
	s_or_b32 exec_lo, exec_lo, s33
	s_and_saveexec_b32 s33, s24
	s_cbranch_execnz .LBB741_241
.LBB741_272:                            ;   in Loop: Header=BB741_106 Depth=2
	s_or_b32 exec_lo, exec_lo, s33
	s_and_saveexec_b32 s33, s25
	s_cbranch_execz .LBB741_242
.LBB741_273:                            ;   in Loop: Header=BB741_106 Depth=2
	ds_load_b64 v[36:37], v110 offset:18432
	s_waitcnt lgkmcnt(0)
	v_lshrrev_b64 v[36:37], s41, v[36:37]
	s_delay_alu instid0(VALU_DEP_1)
	v_and_b32_e32 v167, s43, v36
	s_or_b32 exec_lo, exec_lo, s33
	s_and_saveexec_b32 s33, s26
	s_cbranch_execnz .LBB741_243
.LBB741_274:                            ;   in Loop: Header=BB741_106 Depth=2
	s_or_b32 exec_lo, exec_lo, s33
	s_and_saveexec_b32 s33, s27
	s_cbranch_execz .LBB741_244
.LBB741_275:                            ;   in Loop: Header=BB741_106 Depth=2
	ds_load_b64 v[36:37], v110 offset:22528
	s_waitcnt lgkmcnt(0)
	v_lshrrev_b64 v[36:37], s41, v[36:37]
	s_delay_alu instid0(VALU_DEP_1)
	v_and_b32_e32 v165, s43, v36
	s_or_b32 exec_lo, exec_lo, s33
	s_and_saveexec_b32 s33, s28
	s_cbranch_execnz .LBB741_245
.LBB741_276:                            ;   in Loop: Header=BB741_106 Depth=2
	s_or_b32 exec_lo, exec_lo, s33
	s_and_saveexec_b32 s33, s29
	s_cbranch_execz .LBB741_246
.LBB741_277:                            ;   in Loop: Header=BB741_106 Depth=2
	ds_load_b64 v[36:37], v110 offset:26624
	s_waitcnt lgkmcnt(0)
	v_lshrrev_b64 v[36:37], s41, v[36:37]
	s_delay_alu instid0(VALU_DEP_1)
	v_and_b32_e32 v163, s43, v36
	s_or_b32 exec_lo, exec_lo, s33
	s_and_saveexec_b32 s33, s30
	s_cbranch_execnz .LBB741_247
.LBB741_278:                            ;   in Loop: Header=BB741_106 Depth=2
	s_or_b32 exec_lo, exec_lo, s33
	s_and_saveexec_b32 s33, s31
	s_cbranch_execz .LBB741_280
.LBB741_279:                            ;   in Loop: Header=BB741_106 Depth=2
	ds_load_b64 v[36:37], v110 offset:30720
	s_waitcnt lgkmcnt(0)
	v_lshrrev_b64 v[36:37], s41, v[36:37]
	s_delay_alu instid0(VALU_DEP_1)
	v_and_b32_e32 v161, s43, v36
.LBB741_280:                            ;   in Loop: Header=BB741_106 Depth=2
	s_or_b32 exec_lo, exec_lo, s33
	v_add_nc_u32_e32 v2, 0x400, v69
	v_add_nc_u32_e32 v36, 0x400, v70
	v_add_nc_u32_e32 v37, 0x400, v71
	v_add_nc_u32_e32 v40, 0x400, v72
	v_add_nc_u32_e32 v41, 0x400, v73
	v_add_nc_u32_e32 v38, 0x400, v38
	v_add_nc_u32_e32 v39, 0x400, v39
	v_add_nc_u32_e32 v42, 0x400, v44
	v_add_nc_u32_e32 v43, 0x400, v45
	v_add_nc_u32_e32 v44, 0x400, v48
	v_add_nc_u32_e32 v45, 0x400, v49
	v_add_nc_u32_e32 v46, 0x400, v54
	v_add_nc_u32_e32 v47, 0x400, v55
	v_add_nc_u32_e32 v48, 0x400, v56
	v_add_nc_u32_e32 v49, 0x400, v57
	v_add_nc_u32_e32 v50, 0x400, v52
	s_waitcnt vmcnt(0)
	s_waitcnt_vscnt null, 0x0
	s_barrier
	buffer_gl0_inv
	ds_store_b64 v2, v[34:35]
	ds_store_b64 v36, v[32:33]
	ds_store_b64 v37, v[30:31]
	ds_store_b64 v40, v[28:29]
	ds_store_b64 v41, v[26:27]
	ds_store_b64 v38, v[24:25]
	ds_store_b64 v39, v[22:23]
	ds_store_b64 v42, v[20:21]
	ds_store_b64 v43, v[18:19]
	ds_store_b64 v44, v[16:17]
	ds_store_b64 v45, v[14:15]
	ds_store_b64 v46, v[12:13]
	ds_store_b64 v47, v[10:11]
	ds_store_b64 v48, v[8:9]
	ds_store_b64 v49, v[6:7]
	ds_store_b64 v50, v[4:5]
	s_waitcnt lgkmcnt(0)
	s_barrier
	buffer_gl0_inv
	s_and_saveexec_b32 s33, vcc_lo
	s_cbranch_execz .LBB741_296
; %bb.281:                              ;   in Loop: Header=BB741_106 Depth=2
	v_lshlrev_b32_e32 v2, 2, v176
	v_add_nc_u32_e32 v36, v104, v76
	ds_load_b32 v2, v2
	ds_load_b64 v[36:37], v36 offset:1024
	s_waitcnt lgkmcnt(1)
	v_add_nc_u32_e32 v2, v2, v1
	s_delay_alu instid0(VALU_DEP_1) | instskip(NEXT) | instid1(VALU_DEP_1)
	v_lshlrev_b64 v[38:39], 3, v[2:3]
	v_add_co_u32 v38, vcc_lo, s52, v38
	s_delay_alu instid0(VALU_DEP_2)
	v_add_co_ci_u32_e32 v39, vcc_lo, s53, v39, vcc_lo
	s_waitcnt lgkmcnt(0)
	global_store_b64 v[38:39], v[36:37], off
	s_or_b32 exec_lo, exec_lo, s33
	s_and_saveexec_b32 s33, s17
	s_cbranch_execnz .LBB741_297
.LBB741_282:                            ;   in Loop: Header=BB741_106 Depth=2
	s_or_b32 exec_lo, exec_lo, s33
	s_and_saveexec_b32 s17, s18
	s_cbranch_execz .LBB741_298
.LBB741_283:                            ;   in Loop: Header=BB741_106 Depth=2
	v_lshlrev_b32_e32 v2, 2, v174
	ds_load_b32 v2, v2
	ds_load_b64 v[36:37], v110 offset:4096
	s_waitcnt lgkmcnt(1)
	v_add_nc_u32_e32 v2, v2, v78
	s_delay_alu instid0(VALU_DEP_1) | instskip(NEXT) | instid1(VALU_DEP_1)
	v_lshlrev_b64 v[38:39], 3, v[2:3]
	v_add_co_u32 v38, vcc_lo, s52, v38
	s_delay_alu instid0(VALU_DEP_2)
	v_add_co_ci_u32_e32 v39, vcc_lo, s53, v39, vcc_lo
	s_waitcnt lgkmcnt(0)
	global_store_b64 v[38:39], v[36:37], off
	s_or_b32 exec_lo, exec_lo, s17
	s_and_saveexec_b32 s17, s19
	s_cbranch_execnz .LBB741_299
.LBB741_284:                            ;   in Loop: Header=BB741_106 Depth=2
	s_or_b32 exec_lo, exec_lo, s17
	s_and_saveexec_b32 s17, s20
	s_cbranch_execz .LBB741_300
.LBB741_285:                            ;   in Loop: Header=BB741_106 Depth=2
	v_lshlrev_b32_e32 v2, 2, v172
	ds_load_b32 v2, v2
	ds_load_b64 v[36:37], v110 offset:8192
	s_waitcnt lgkmcnt(1)
	v_add_nc_u32_e32 v2, v2, v83
	s_delay_alu instid0(VALU_DEP_1) | instskip(NEXT) | instid1(VALU_DEP_1)
	v_lshlrev_b64 v[38:39], 3, v[2:3]
	v_add_co_u32 v38, vcc_lo, s52, v38
	s_delay_alu instid0(VALU_DEP_2)
	v_add_co_ci_u32_e32 v39, vcc_lo, s53, v39, vcc_lo
	s_waitcnt lgkmcnt(0)
	global_store_b64 v[38:39], v[36:37], off
	s_or_b32 exec_lo, exec_lo, s17
	s_and_saveexec_b32 s17, s21
	s_cbranch_execnz .LBB741_301
.LBB741_286:                            ;   in Loop: Header=BB741_106 Depth=2
	s_or_b32 exec_lo, exec_lo, s17
	s_and_saveexec_b32 s17, s22
	s_cbranch_execz .LBB741_302
.LBB741_287:                            ;   in Loop: Header=BB741_106 Depth=2
	v_lshlrev_b32_e32 v2, 2, v170
	ds_load_b32 v2, v2
	ds_load_b64 v[36:37], v110 offset:12288
	s_waitcnt lgkmcnt(1)
	v_add_nc_u32_e32 v2, v2, v85
	s_delay_alu instid0(VALU_DEP_1) | instskip(NEXT) | instid1(VALU_DEP_1)
	v_lshlrev_b64 v[38:39], 3, v[2:3]
	v_add_co_u32 v38, vcc_lo, s52, v38
	s_delay_alu instid0(VALU_DEP_2)
	v_add_co_ci_u32_e32 v39, vcc_lo, s53, v39, vcc_lo
	s_waitcnt lgkmcnt(0)
	global_store_b64 v[38:39], v[36:37], off
	s_or_b32 exec_lo, exec_lo, s17
	s_and_saveexec_b32 s17, s23
	s_cbranch_execnz .LBB741_303
.LBB741_288:                            ;   in Loop: Header=BB741_106 Depth=2
	s_or_b32 exec_lo, exec_lo, s17
	s_and_saveexec_b32 s17, s24
	s_cbranch_execz .LBB741_304
.LBB741_289:                            ;   in Loop: Header=BB741_106 Depth=2
	v_lshlrev_b32_e32 v2, 2, v168
	ds_load_b32 v2, v2
	ds_load_b64 v[36:37], v110 offset:16384
	s_waitcnt lgkmcnt(1)
	v_add_nc_u32_e32 v2, v2, v87
	s_delay_alu instid0(VALU_DEP_1) | instskip(NEXT) | instid1(VALU_DEP_1)
	v_lshlrev_b64 v[38:39], 3, v[2:3]
	v_add_co_u32 v38, vcc_lo, s52, v38
	s_delay_alu instid0(VALU_DEP_2)
	v_add_co_ci_u32_e32 v39, vcc_lo, s53, v39, vcc_lo
	s_waitcnt lgkmcnt(0)
	global_store_b64 v[38:39], v[36:37], off
	s_or_b32 exec_lo, exec_lo, s17
	s_and_saveexec_b32 s17, s25
	s_cbranch_execnz .LBB741_305
.LBB741_290:                            ;   in Loop: Header=BB741_106 Depth=2
	s_or_b32 exec_lo, exec_lo, s17
	s_and_saveexec_b32 s17, s26
	s_cbranch_execz .LBB741_306
.LBB741_291:                            ;   in Loop: Header=BB741_106 Depth=2
	v_lshlrev_b32_e32 v2, 2, v166
	ds_load_b32 v2, v2
	ds_load_b64 v[36:37], v110 offset:20480
	s_waitcnt lgkmcnt(1)
	v_add_nc_u32_e32 v2, v2, v89
	s_delay_alu instid0(VALU_DEP_1) | instskip(NEXT) | instid1(VALU_DEP_1)
	v_lshlrev_b64 v[38:39], 3, v[2:3]
	v_add_co_u32 v38, vcc_lo, s52, v38
	s_delay_alu instid0(VALU_DEP_2)
	v_add_co_ci_u32_e32 v39, vcc_lo, s53, v39, vcc_lo
	s_waitcnt lgkmcnt(0)
	global_store_b64 v[38:39], v[36:37], off
	s_or_b32 exec_lo, exec_lo, s17
	s_and_saveexec_b32 s17, s27
	s_cbranch_execnz .LBB741_307
.LBB741_292:                            ;   in Loop: Header=BB741_106 Depth=2
	s_or_b32 exec_lo, exec_lo, s17
	s_and_saveexec_b32 s17, s28
	s_cbranch_execz .LBB741_308
.LBB741_293:                            ;   in Loop: Header=BB741_106 Depth=2
	v_lshlrev_b32_e32 v2, 2, v164
	ds_load_b32 v2, v2
	ds_load_b64 v[36:37], v110 offset:24576
	s_waitcnt lgkmcnt(1)
	v_add_nc_u32_e32 v2, v2, v91
	s_delay_alu instid0(VALU_DEP_1) | instskip(NEXT) | instid1(VALU_DEP_1)
	v_lshlrev_b64 v[38:39], 3, v[2:3]
	v_add_co_u32 v38, vcc_lo, s52, v38
	s_delay_alu instid0(VALU_DEP_2)
	v_add_co_ci_u32_e32 v39, vcc_lo, s53, v39, vcc_lo
	s_waitcnt lgkmcnt(0)
	global_store_b64 v[38:39], v[36:37], off
	s_or_b32 exec_lo, exec_lo, s17
	s_and_saveexec_b32 s17, s29
	s_cbranch_execnz .LBB741_309
.LBB741_294:                            ;   in Loop: Header=BB741_106 Depth=2
	s_or_b32 exec_lo, exec_lo, s17
	s_and_saveexec_b32 s17, s30
	s_cbranch_execz .LBB741_310
.LBB741_295:                            ;   in Loop: Header=BB741_106 Depth=2
	v_lshlrev_b32_e32 v2, 2, v162
	ds_load_b32 v2, v2
	ds_load_b64 v[36:37], v110 offset:28672
	s_waitcnt lgkmcnt(1)
	v_add_nc_u32_e32 v2, v2, v93
	s_delay_alu instid0(VALU_DEP_1) | instskip(NEXT) | instid1(VALU_DEP_1)
	v_lshlrev_b64 v[38:39], 3, v[2:3]
	v_add_co_u32 v38, vcc_lo, s52, v38
	s_delay_alu instid0(VALU_DEP_2)
	v_add_co_ci_u32_e32 v39, vcc_lo, s53, v39, vcc_lo
	s_waitcnt lgkmcnt(0)
	global_store_b64 v[38:39], v[36:37], off
	s_or_b32 exec_lo, exec_lo, s17
	s_and_saveexec_b32 s17, s31
	s_cbranch_execnz .LBB741_311
	s_branch .LBB741_312
.LBB741_296:                            ;   in Loop: Header=BB741_106 Depth=2
	s_or_b32 exec_lo, exec_lo, s33
	s_and_saveexec_b32 s33, s17
	s_cbranch_execz .LBB741_282
.LBB741_297:                            ;   in Loop: Header=BB741_106 Depth=2
	v_lshlrev_b32_e32 v2, 2, v175
	ds_load_b32 v2, v2
	ds_load_b64 v[36:37], v110 offset:2048
	s_waitcnt lgkmcnt(1)
	v_add_nc_u32_e32 v2, v2, v77
	s_delay_alu instid0(VALU_DEP_1) | instskip(NEXT) | instid1(VALU_DEP_1)
	v_lshlrev_b64 v[38:39], 3, v[2:3]
	v_add_co_u32 v38, vcc_lo, s52, v38
	s_delay_alu instid0(VALU_DEP_2)
	v_add_co_ci_u32_e32 v39, vcc_lo, s53, v39, vcc_lo
	s_waitcnt lgkmcnt(0)
	global_store_b64 v[38:39], v[36:37], off
	s_or_b32 exec_lo, exec_lo, s33
	s_and_saveexec_b32 s17, s18
	s_cbranch_execnz .LBB741_283
.LBB741_298:                            ;   in Loop: Header=BB741_106 Depth=2
	s_or_b32 exec_lo, exec_lo, s17
	s_and_saveexec_b32 s17, s19
	s_cbranch_execz .LBB741_284
.LBB741_299:                            ;   in Loop: Header=BB741_106 Depth=2
	v_lshlrev_b32_e32 v2, 2, v173
	ds_load_b32 v2, v2
	ds_load_b64 v[36:37], v110 offset:6144
	s_waitcnt lgkmcnt(1)
	v_add_nc_u32_e32 v2, v2, v79
	s_delay_alu instid0(VALU_DEP_1) | instskip(NEXT) | instid1(VALU_DEP_1)
	v_lshlrev_b64 v[38:39], 3, v[2:3]
	v_add_co_u32 v38, vcc_lo, s52, v38
	s_delay_alu instid0(VALU_DEP_2)
	v_add_co_ci_u32_e32 v39, vcc_lo, s53, v39, vcc_lo
	s_waitcnt lgkmcnt(0)
	global_store_b64 v[38:39], v[36:37], off
	s_or_b32 exec_lo, exec_lo, s17
	s_and_saveexec_b32 s17, s20
	s_cbranch_execnz .LBB741_285
.LBB741_300:                            ;   in Loop: Header=BB741_106 Depth=2
	s_or_b32 exec_lo, exec_lo, s17
	s_and_saveexec_b32 s17, s21
	s_cbranch_execz .LBB741_286
.LBB741_301:                            ;   in Loop: Header=BB741_106 Depth=2
	v_lshlrev_b32_e32 v2, 2, v171
	ds_load_b32 v2, v2
	ds_load_b64 v[36:37], v110 offset:10240
	s_waitcnt lgkmcnt(1)
	v_add_nc_u32_e32 v2, v2, v84
	s_delay_alu instid0(VALU_DEP_1) | instskip(NEXT) | instid1(VALU_DEP_1)
	v_lshlrev_b64 v[38:39], 3, v[2:3]
	v_add_co_u32 v38, vcc_lo, s52, v38
	s_delay_alu instid0(VALU_DEP_2)
	v_add_co_ci_u32_e32 v39, vcc_lo, s53, v39, vcc_lo
	s_waitcnt lgkmcnt(0)
	global_store_b64 v[38:39], v[36:37], off
	s_or_b32 exec_lo, exec_lo, s17
	s_and_saveexec_b32 s17, s22
	s_cbranch_execnz .LBB741_287
.LBB741_302:                            ;   in Loop: Header=BB741_106 Depth=2
	s_or_b32 exec_lo, exec_lo, s17
	s_and_saveexec_b32 s17, s23
	s_cbranch_execz .LBB741_288
.LBB741_303:                            ;   in Loop: Header=BB741_106 Depth=2
	v_lshlrev_b32_e32 v2, 2, v169
	ds_load_b32 v2, v2
	ds_load_b64 v[36:37], v110 offset:14336
	s_waitcnt lgkmcnt(1)
	v_add_nc_u32_e32 v2, v2, v86
	s_delay_alu instid0(VALU_DEP_1) | instskip(NEXT) | instid1(VALU_DEP_1)
	v_lshlrev_b64 v[38:39], 3, v[2:3]
	v_add_co_u32 v38, vcc_lo, s52, v38
	s_delay_alu instid0(VALU_DEP_2)
	v_add_co_ci_u32_e32 v39, vcc_lo, s53, v39, vcc_lo
	s_waitcnt lgkmcnt(0)
	global_store_b64 v[38:39], v[36:37], off
	s_or_b32 exec_lo, exec_lo, s17
	s_and_saveexec_b32 s17, s24
	s_cbranch_execnz .LBB741_289
.LBB741_304:                            ;   in Loop: Header=BB741_106 Depth=2
	s_or_b32 exec_lo, exec_lo, s17
	s_and_saveexec_b32 s17, s25
	s_cbranch_execz .LBB741_290
.LBB741_305:                            ;   in Loop: Header=BB741_106 Depth=2
	v_lshlrev_b32_e32 v2, 2, v167
	ds_load_b32 v2, v2
	ds_load_b64 v[36:37], v110 offset:18432
	s_waitcnt lgkmcnt(1)
	v_add_nc_u32_e32 v2, v2, v88
	s_delay_alu instid0(VALU_DEP_1) | instskip(NEXT) | instid1(VALU_DEP_1)
	v_lshlrev_b64 v[38:39], 3, v[2:3]
	v_add_co_u32 v38, vcc_lo, s52, v38
	s_delay_alu instid0(VALU_DEP_2)
	v_add_co_ci_u32_e32 v39, vcc_lo, s53, v39, vcc_lo
	s_waitcnt lgkmcnt(0)
	global_store_b64 v[38:39], v[36:37], off
	s_or_b32 exec_lo, exec_lo, s17
	s_and_saveexec_b32 s17, s26
	s_cbranch_execnz .LBB741_291
.LBB741_306:                            ;   in Loop: Header=BB741_106 Depth=2
	s_or_b32 exec_lo, exec_lo, s17
	s_and_saveexec_b32 s17, s27
	s_cbranch_execz .LBB741_292
.LBB741_307:                            ;   in Loop: Header=BB741_106 Depth=2
	v_lshlrev_b32_e32 v2, 2, v165
	ds_load_b32 v2, v2
	ds_load_b64 v[36:37], v110 offset:22528
	s_waitcnt lgkmcnt(1)
	v_add_nc_u32_e32 v2, v2, v90
	s_delay_alu instid0(VALU_DEP_1) | instskip(NEXT) | instid1(VALU_DEP_1)
	v_lshlrev_b64 v[38:39], 3, v[2:3]
	v_add_co_u32 v38, vcc_lo, s52, v38
	s_delay_alu instid0(VALU_DEP_2)
	v_add_co_ci_u32_e32 v39, vcc_lo, s53, v39, vcc_lo
	s_waitcnt lgkmcnt(0)
	global_store_b64 v[38:39], v[36:37], off
	s_or_b32 exec_lo, exec_lo, s17
	s_and_saveexec_b32 s17, s28
	s_cbranch_execnz .LBB741_293
.LBB741_308:                            ;   in Loop: Header=BB741_106 Depth=2
	s_or_b32 exec_lo, exec_lo, s17
	s_and_saveexec_b32 s17, s29
	s_cbranch_execz .LBB741_294
.LBB741_309:                            ;   in Loop: Header=BB741_106 Depth=2
	v_lshlrev_b32_e32 v2, 2, v163
	ds_load_b32 v2, v2
	ds_load_b64 v[36:37], v110 offset:26624
	s_waitcnt lgkmcnt(1)
	v_add_nc_u32_e32 v2, v2, v92
	s_delay_alu instid0(VALU_DEP_1) | instskip(NEXT) | instid1(VALU_DEP_1)
	v_lshlrev_b64 v[38:39], 3, v[2:3]
	v_add_co_u32 v38, vcc_lo, s52, v38
	s_delay_alu instid0(VALU_DEP_2)
	v_add_co_ci_u32_e32 v39, vcc_lo, s53, v39, vcc_lo
	s_waitcnt lgkmcnt(0)
	global_store_b64 v[38:39], v[36:37], off
	s_or_b32 exec_lo, exec_lo, s17
	s_and_saveexec_b32 s17, s30
	s_cbranch_execnz .LBB741_295
.LBB741_310:                            ;   in Loop: Header=BB741_106 Depth=2
	s_or_b32 exec_lo, exec_lo, s17
	s_and_saveexec_b32 s17, s31
	s_cbranch_execz .LBB741_312
.LBB741_311:                            ;   in Loop: Header=BB741_106 Depth=2
	v_lshlrev_b32_e32 v2, 2, v161
	ds_load_b32 v2, v2
	ds_load_b64 v[36:37], v110 offset:30720
	s_waitcnt lgkmcnt(1)
	v_add_nc_u32_e32 v2, v2, v95
	s_delay_alu instid0(VALU_DEP_1) | instskip(NEXT) | instid1(VALU_DEP_1)
	v_lshlrev_b64 v[38:39], 3, v[2:3]
	v_add_co_u32 v38, vcc_lo, s52, v38
	s_delay_alu instid0(VALU_DEP_2)
	v_add_co_ci_u32_e32 v39, vcc_lo, s53, v39, vcc_lo
	s_waitcnt lgkmcnt(0)
	global_store_b64 v[38:39], v[36:37], off
.LBB741_312:                            ;   in Loop: Header=BB741_106 Depth=2
	s_or_b32 exec_lo, exec_lo, s17
	s_waitcnt_vscnt null, 0x0
	s_barrier
	buffer_gl0_inv
	s_and_saveexec_b32 s17, s2
	s_cbranch_execz .LBB741_105
; %bb.313:                              ;   in Loop: Header=BB741_106 Depth=2
	ds_load_b32 v2, v76
	s_waitcnt lgkmcnt(0)
	v_add_nc_u32_e32 v2, v2, v68
	ds_store_b32 v76, v2
	s_branch .LBB741_105
.LBB741_314:                            ;   in Loop: Header=BB741_20 Depth=1
	s_waitcnt lgkmcnt(0)
	s_mov_b32 s1, 0
	s_barrier
.LBB741_315:                            ;   in Loop: Header=BB741_20 Depth=1
	s_and_b32 vcc_lo, exec_lo, s1
	s_cbranch_vccz .LBB741_609
; %bb.316:                              ;   in Loop: Header=BB741_20 Depth=1
	s_mov_b32 s1, s62
	s_mov_b32 s8, s60
	s_barrier
	buffer_gl0_inv
                                        ; implicit-def: $vgpr34_vgpr35
                                        ; implicit-def: $vgpr4_vgpr5
                                        ; implicit-def: $vgpr6_vgpr7
                                        ; implicit-def: $vgpr8_vgpr9
                                        ; implicit-def: $vgpr10_vgpr11
                                        ; implicit-def: $vgpr12_vgpr13
                                        ; implicit-def: $vgpr14_vgpr15
                                        ; implicit-def: $vgpr16_vgpr17
                                        ; implicit-def: $vgpr18_vgpr19
                                        ; implicit-def: $vgpr20_vgpr21
                                        ; implicit-def: $vgpr22_vgpr23
                                        ; implicit-def: $vgpr24_vgpr25
                                        ; implicit-def: $vgpr26_vgpr27
                                        ; implicit-def: $vgpr28_vgpr29
                                        ; implicit-def: $vgpr30_vgpr31
                                        ; implicit-def: $vgpr32_vgpr33
	s_branch .LBB741_318
.LBB741_317:                            ;   in Loop: Header=BB741_318 Depth=2
	s_or_b32 exec_lo, exec_lo, s8
	s_addk_i32 s1, 0xf000
	s_cmp_ge_u32 s7, s61
	s_mov_b32 s8, s7
	s_cbranch_scc1 .LBB741_388
.LBB741_318:                            ;   Parent Loop BB741_20 Depth=1
                                        ; =>  This Inner Loop Header: Depth=2
	s_add_i32 s7, s8, 0x1000
	s_delay_alu instid0(SALU_CYCLE_1)
	s_cmp_gt_u32 s7, s61
	s_cbranch_scc1 .LBB741_321
; %bb.319:                              ;   in Loop: Header=BB741_318 Depth=2
	s_mov_b32 s9, 0
	s_movk_i32 s13, 0x1000
	s_lshl_b64 s[10:11], s[8:9], 3
	s_mov_b32 s12, -1
	v_add_co_u32 v36, vcc_lo, v111, s10
	v_add_co_ci_u32_e32 v37, vcc_lo, s11, v112, vcc_lo
	s_waitcnt vmcnt(12)
	s_delay_alu instid0(VALU_DEP_2) | instskip(NEXT) | instid1(VALU_DEP_2)
	v_add_co_u32 v42, vcc_lo, 0x1000, v36
	v_add_co_ci_u32_e32 v43, vcc_lo, 0, v37, vcc_lo
	s_waitcnt vmcnt(11)
	v_add_co_u32 v44, vcc_lo, 0x2000, v36
	v_add_co_ci_u32_e32 v45, vcc_lo, 0, v37, vcc_lo
	s_waitcnt vmcnt(1)
	v_add_co_u32 v50, vcc_lo, v36, 0x2000
	v_add_co_ci_u32_e32 v51, vcc_lo, 0, v37, vcc_lo
	v_add_co_u32 v52, vcc_lo, v36, 0x4000
	v_add_co_ci_u32_e32 v53, vcc_lo, 0, v37, vcc_lo
	;; [unrolled: 2-line block ×7, first 2 shown]
	s_waitcnt vmcnt(0)
	v_add_co_u32 v66, vcc_lo, 0x7000, v36
	v_add_co_ci_u32_e32 v67, vcc_lo, 0, v37, vcc_lo
	s_clause 0xe
	global_load_b64 v[38:39], v[36:37], off
	global_load_b64 v[40:41], v[36:37], off offset:2048
	global_load_b64 v[42:43], v[42:43], off offset:2048
	;; [unrolled: 1-line block ×3, first 2 shown]
	global_load_b64 v[46:47], v[50:51], off
	global_load_b64 v[48:49], v[52:53], off offset:-4096
	global_load_b64 v[52:53], v[52:53], off
	global_load_b64 v[56:57], v[60:61], off offset:-4096
	global_load_b64 v[60:61], v[60:61], off
	global_load_b64 v[54:55], v[54:55], off offset:2048
	global_load_b64 v[58:59], v[58:59], off offset:2048
	;; [unrolled: 1-line block ×4, first 2 shown]
	global_load_b64 v[50:51], v[50:51], off offset:-4096
	global_load_b64 v[66:67], v[66:67], off
	v_add_co_u32 v36, vcc_lo, 0x7800, v36
	v_add_co_ci_u32_e32 v37, vcc_lo, 0, v37, vcc_lo
	s_cbranch_execz .LBB741_322
; %bb.320:                              ;   in Loop: Header=BB741_318 Depth=2
                                        ; implicit-def: $vgpr32_vgpr33
                                        ; implicit-def: $vgpr30_vgpr31
                                        ; implicit-def: $vgpr28_vgpr29
                                        ; implicit-def: $vgpr26_vgpr27
                                        ; implicit-def: $vgpr24_vgpr25
                                        ; implicit-def: $vgpr22_vgpr23
                                        ; implicit-def: $vgpr20_vgpr21
                                        ; implicit-def: $vgpr18_vgpr19
                                        ; implicit-def: $vgpr16_vgpr17
                                        ; implicit-def: $vgpr14_vgpr15
                                        ; implicit-def: $vgpr12_vgpr13
                                        ; implicit-def: $vgpr10_vgpr11
                                        ; implicit-def: $vgpr8_vgpr9
                                        ; implicit-def: $vgpr6_vgpr7
                                        ; implicit-def: $vgpr4_vgpr5
                                        ; implicit-def: $vgpr34_vgpr35
	v_mov_b32_e32 v2, s1
	s_and_saveexec_b32 s8, s12
	s_cbranch_execnz .LBB741_341
	s_branch .LBB741_342
.LBB741_321:                            ;   in Loop: Header=BB741_318 Depth=2
	s_mov_b32 s12, 0
                                        ; implicit-def: $sgpr13
                                        ; implicit-def: $vgpr38_vgpr39
                                        ; implicit-def: $vgpr40_vgpr41
                                        ; implicit-def: $vgpr50_vgpr51
                                        ; implicit-def: $vgpr42_vgpr43
                                        ; implicit-def: $vgpr46_vgpr47
                                        ; implicit-def: $vgpr44_vgpr45
                                        ; implicit-def: $vgpr48_vgpr49
                                        ; implicit-def: $vgpr54_vgpr55
                                        ; implicit-def: $vgpr52_vgpr53
                                        ; implicit-def: $vgpr58_vgpr59
                                        ; implicit-def: $vgpr56_vgpr57
                                        ; implicit-def: $vgpr62_vgpr63
                                        ; implicit-def: $vgpr60_vgpr61
                                        ; implicit-def: $vgpr64_vgpr65
                                        ; implicit-def: $vgpr66_vgpr67
                                        ; implicit-def: $vgpr36_vgpr37
.LBB741_322:                            ;   in Loop: Header=BB741_318 Depth=2
	s_mov_b32 s9, s34
	s_delay_alu instid0(SALU_CYCLE_1)
	s_lshl_b64 s[10:11], s[8:9], 3
	s_mov_b32 s9, exec_lo
	s_add_u32 s10, s46, s10
	s_addc_u32 s11, s47, s11
	v_cmpx_gt_u32_e64 s1, v1
	s_cbranch_execz .LBB741_374
; %bb.323:                              ;   in Loop: Header=BB741_318 Depth=2
	global_load_b64 v[32:33], v124, s[10:11]
	s_or_b32 exec_lo, exec_lo, s9
	s_delay_alu instid0(SALU_CYCLE_1)
	s_mov_b32 s9, exec_lo
	v_cmpx_gt_u32_e64 s1, v77
	s_cbranch_execnz .LBB741_375
.LBB741_324:                            ;   in Loop: Header=BB741_318 Depth=2
	s_or_b32 exec_lo, exec_lo, s9
	s_delay_alu instid0(SALU_CYCLE_1)
	s_mov_b32 s9, exec_lo
	v_cmpx_gt_u32_e64 s1, v78
	s_cbranch_execz .LBB741_376
.LBB741_325:                            ;   in Loop: Header=BB741_318 Depth=2
	global_load_b64 v[28:29], v125, s[10:11]
	s_or_b32 exec_lo, exec_lo, s9
	s_delay_alu instid0(SALU_CYCLE_1)
	s_mov_b32 s9, exec_lo
	v_cmpx_gt_u32_e64 s1, v79
	s_cbranch_execnz .LBB741_377
.LBB741_326:                            ;   in Loop: Header=BB741_318 Depth=2
	s_or_b32 exec_lo, exec_lo, s9
	s_delay_alu instid0(SALU_CYCLE_1)
	s_mov_b32 s9, exec_lo
	v_cmpx_gt_u32_e64 s1, v83
	s_cbranch_execz .LBB741_378
.LBB741_327:                            ;   in Loop: Header=BB741_318 Depth=2
	global_load_b64 v[24:25], v127, s[10:11]
	s_or_b32 exec_lo, exec_lo, s9
	s_delay_alu instid0(SALU_CYCLE_1)
	s_mov_b32 s9, exec_lo
	v_cmpx_gt_u32_e64 s1, v84
	s_cbranch_execnz .LBB741_379
.LBB741_328:                            ;   in Loop: Header=BB741_318 Depth=2
	s_or_b32 exec_lo, exec_lo, s9
	s_delay_alu instid0(SALU_CYCLE_1)
	s_mov_b32 s9, exec_lo
	v_cmpx_gt_u32_e64 s1, v85
	s_cbranch_execz .LBB741_380
.LBB741_329:                            ;   in Loop: Header=BB741_318 Depth=2
	global_load_b64 v[20:21], v129, s[10:11]
	s_or_b32 exec_lo, exec_lo, s9
	s_delay_alu instid0(SALU_CYCLE_1)
	s_mov_b32 s9, exec_lo
	v_cmpx_gt_u32_e64 s1, v86
	s_cbranch_execnz .LBB741_381
.LBB741_330:                            ;   in Loop: Header=BB741_318 Depth=2
	s_or_b32 exec_lo, exec_lo, s9
	s_delay_alu instid0(SALU_CYCLE_1)
	s_mov_b32 s9, exec_lo
	v_cmpx_gt_u32_e64 s1, v87
	s_cbranch_execz .LBB741_382
.LBB741_331:                            ;   in Loop: Header=BB741_318 Depth=2
	global_load_b64 v[16:17], v131, s[10:11]
	s_or_b32 exec_lo, exec_lo, s9
	s_delay_alu instid0(SALU_CYCLE_1)
	s_mov_b32 s9, exec_lo
	v_cmpx_gt_u32_e64 s1, v88
	s_cbranch_execnz .LBB741_383
.LBB741_332:                            ;   in Loop: Header=BB741_318 Depth=2
	s_or_b32 exec_lo, exec_lo, s9
	s_delay_alu instid0(SALU_CYCLE_1)
	s_mov_b32 s9, exec_lo
	v_cmpx_gt_u32_e64 s1, v89
	s_cbranch_execz .LBB741_384
.LBB741_333:                            ;   in Loop: Header=BB741_318 Depth=2
	global_load_b64 v[12:13], v133, s[10:11]
	s_or_b32 exec_lo, exec_lo, s9
	s_delay_alu instid0(SALU_CYCLE_1)
	s_mov_b32 s9, exec_lo
	v_cmpx_gt_u32_e64 s1, v90
	s_cbranch_execnz .LBB741_385
.LBB741_334:                            ;   in Loop: Header=BB741_318 Depth=2
	s_or_b32 exec_lo, exec_lo, s9
	s_delay_alu instid0(SALU_CYCLE_1)
	s_mov_b32 s9, exec_lo
	v_cmpx_gt_u32_e64 s1, v91
	s_cbranch_execz .LBB741_386
.LBB741_335:                            ;   in Loop: Header=BB741_318 Depth=2
	global_load_b64 v[8:9], v135, s[10:11]
	s_or_b32 exec_lo, exec_lo, s9
	s_delay_alu instid0(SALU_CYCLE_1)
	s_mov_b32 s9, exec_lo
	v_cmpx_gt_u32_e64 s1, v92
	s_cbranch_execnz .LBB741_387
.LBB741_336:                            ;   in Loop: Header=BB741_318 Depth=2
	s_or_b32 exec_lo, exec_lo, s9
	s_delay_alu instid0(SALU_CYCLE_1)
	s_mov_b32 s9, exec_lo
	v_cmpx_gt_u32_e64 s1, v93
	s_cbranch_execz .LBB741_338
.LBB741_337:                            ;   in Loop: Header=BB741_318 Depth=2
	v_lshlrev_b32_e32 v2, 3, v93
	global_load_b64 v[4:5], v2, s[10:11]
.LBB741_338:                            ;   in Loop: Header=BB741_318 Depth=2
	s_or_b32 exec_lo, exec_lo, s9
	s_delay_alu instid0(SALU_CYCLE_1)
	s_mov_b32 s9, exec_lo
                                        ; implicit-def: $sgpr13
                                        ; implicit-def: $vgpr36_vgpr37
	v_cmpx_gt_u32_e64 s1, v95
; %bb.339:                              ;   in Loop: Header=BB741_318 Depth=2
	v_lshlrev_b32_e32 v2, 3, v95
	s_sub_i32 s13, s61, s8
	s_or_b32 s12, s12, exec_lo
                                        ; implicit-def: $vgpr34_vgpr35
	s_delay_alu instid0(VALU_DEP_1) | instskip(NEXT) | instid1(VALU_DEP_1)
	v_add_co_u32 v36, s10, s10, v2
	v_add_co_ci_u32_e64 v37, null, s11, 0, s10
; %bb.340:                              ;   in Loop: Header=BB741_318 Depth=2
	s_or_b32 exec_lo, exec_lo, s9
	s_waitcnt vmcnt(0)
	v_dual_mov_b32 v39, v33 :: v_dual_mov_b32 v38, v32
	v_dual_mov_b32 v41, v31 :: v_dual_mov_b32 v40, v30
	;; [unrolled: 1-line block ×15, first 2 shown]
	v_mov_b32_e32 v2, s1
	s_and_saveexec_b32 s8, s12
	s_cbranch_execz .LBB741_342
.LBB741_341:                            ;   in Loop: Header=BB741_318 Depth=2
	global_load_b64 v[34:35], v[36:37], off
	s_waitcnt vmcnt(1)
	v_mov_b32_e32 v4, v66
	v_mov_b32_e32 v6, v64
	v_mov_b32_e32 v8, v60
	v_mov_b32_e32 v10, v62
	v_mov_b32_e32 v12, v56
	v_mov_b32_e32 v14, v58
	v_mov_b32_e32 v16, v52
	v_mov_b32_e32 v18, v54
	v_mov_b32_e32 v20, v48
	v_mov_b32_e32 v22, v44
	v_mov_b32_e32 v24, v46
	v_mov_b32_e32 v26, v42
	v_mov_b32_e32 v28, v50
	v_mov_b32_e32 v30, v40
	v_dual_mov_b32 v32, v38 :: v_dual_mov_b32 v33, v39
	v_dual_mov_b32 v2, s13 :: v_dual_mov_b32 v5, v67
	v_mov_b32_e32 v7, v65
	v_mov_b32_e32 v9, v61
	v_mov_b32_e32 v11, v63
	v_mov_b32_e32 v13, v57
	v_mov_b32_e32 v15, v59
	v_mov_b32_e32 v17, v53
	v_mov_b32_e32 v19, v55
	v_mov_b32_e32 v21, v49
	v_mov_b32_e32 v23, v45
	v_mov_b32_e32 v25, v47
	v_mov_b32_e32 v27, v43
	v_mov_b32_e32 v29, v51
	v_mov_b32_e32 v31, v41
.LBB741_342:                            ;   in Loop: Header=BB741_318 Depth=2
	s_or_b32 exec_lo, exec_lo, s8
	s_delay_alu instid0(SALU_CYCLE_1)
	s_mov_b32 s8, exec_lo
	v_cmpx_lt_u32_e64 v1, v2
	s_cbranch_execz .LBB741_358
; %bb.343:                              ;   in Loop: Header=BB741_318 Depth=2
	v_xor_b32_e32 v37, 0x7fffffff, v33
	v_not_b32_e32 v36, v32
	s_delay_alu instid0(VALU_DEP_1) | instskip(SKIP_1) | instid1(VALU_DEP_2)
	v_lshrrev_b64 v[36:37], s41, v[36:37]
	v_lshlrev_b32_e32 v37, 2, v80
	v_and_b32_e32 v36, s43, v36
	s_delay_alu instid0(VALU_DEP_1) | instskip(SKIP_2) | instid1(SALU_CYCLE_1)
	v_lshl_or_b32 v36, v36, 4, v37
	ds_add_u32 v36, v123
	s_or_b32 exec_lo, exec_lo, s8
	s_mov_b32 s8, exec_lo
	v_cmpx_lt_u32_e64 v77, v2
	s_cbranch_execnz .LBB741_359
.LBB741_344:                            ;   in Loop: Header=BB741_318 Depth=2
	s_or_b32 exec_lo, exec_lo, s8
	s_delay_alu instid0(SALU_CYCLE_1)
	s_mov_b32 s8, exec_lo
	v_cmpx_lt_u32_e64 v78, v2
	s_cbranch_execz .LBB741_360
.LBB741_345:                            ;   in Loop: Header=BB741_318 Depth=2
	v_xor_b32_e32 v37, 0x7fffffff, v29
	v_not_b32_e32 v36, v28
	s_delay_alu instid0(VALU_DEP_1) | instskip(SKIP_1) | instid1(VALU_DEP_2)
	v_lshrrev_b64 v[36:37], s41, v[36:37]
	v_lshlrev_b32_e32 v37, 2, v80
	v_and_b32_e32 v36, s43, v36
	s_delay_alu instid0(VALU_DEP_1) | instskip(SKIP_2) | instid1(SALU_CYCLE_1)
	v_lshl_or_b32 v36, v36, 4, v37
	ds_add_u32 v36, v123
	s_or_b32 exec_lo, exec_lo, s8
	s_mov_b32 s8, exec_lo
	v_cmpx_lt_u32_e64 v79, v2
	s_cbranch_execnz .LBB741_361
.LBB741_346:                            ;   in Loop: Header=BB741_318 Depth=2
	s_or_b32 exec_lo, exec_lo, s8
	s_delay_alu instid0(SALU_CYCLE_1)
	s_mov_b32 s8, exec_lo
	v_cmpx_lt_u32_e64 v83, v2
	s_cbranch_execz .LBB741_362
.LBB741_347:                            ;   in Loop: Header=BB741_318 Depth=2
	v_xor_b32_e32 v37, 0x7fffffff, v25
	v_not_b32_e32 v36, v24
	s_delay_alu instid0(VALU_DEP_1) | instskip(SKIP_1) | instid1(VALU_DEP_2)
	v_lshrrev_b64 v[36:37], s41, v[36:37]
	v_lshlrev_b32_e32 v37, 2, v80
	v_and_b32_e32 v36, s43, v36
	s_delay_alu instid0(VALU_DEP_1) | instskip(SKIP_2) | instid1(SALU_CYCLE_1)
	v_lshl_or_b32 v36, v36, 4, v37
	ds_add_u32 v36, v123
	s_or_b32 exec_lo, exec_lo, s8
	s_mov_b32 s8, exec_lo
	v_cmpx_lt_u32_e64 v84, v2
	s_cbranch_execnz .LBB741_363
.LBB741_348:                            ;   in Loop: Header=BB741_318 Depth=2
	s_or_b32 exec_lo, exec_lo, s8
	s_delay_alu instid0(SALU_CYCLE_1)
	s_mov_b32 s8, exec_lo
	v_cmpx_lt_u32_e64 v85, v2
	s_cbranch_execz .LBB741_364
.LBB741_349:                            ;   in Loop: Header=BB741_318 Depth=2
	v_xor_b32_e32 v37, 0x7fffffff, v21
	v_not_b32_e32 v36, v20
	s_delay_alu instid0(VALU_DEP_1) | instskip(SKIP_1) | instid1(VALU_DEP_2)
	v_lshrrev_b64 v[36:37], s41, v[36:37]
	v_lshlrev_b32_e32 v37, 2, v80
	v_and_b32_e32 v36, s43, v36
	s_delay_alu instid0(VALU_DEP_1) | instskip(SKIP_2) | instid1(SALU_CYCLE_1)
	v_lshl_or_b32 v36, v36, 4, v37
	ds_add_u32 v36, v123
	s_or_b32 exec_lo, exec_lo, s8
	s_mov_b32 s8, exec_lo
	v_cmpx_lt_u32_e64 v86, v2
	s_cbranch_execnz .LBB741_365
.LBB741_350:                            ;   in Loop: Header=BB741_318 Depth=2
	s_or_b32 exec_lo, exec_lo, s8
	s_delay_alu instid0(SALU_CYCLE_1)
	s_mov_b32 s8, exec_lo
	v_cmpx_lt_u32_e64 v87, v2
	s_cbranch_execz .LBB741_366
.LBB741_351:                            ;   in Loop: Header=BB741_318 Depth=2
	v_xor_b32_e32 v37, 0x7fffffff, v17
	v_not_b32_e32 v36, v16
	s_delay_alu instid0(VALU_DEP_1) | instskip(SKIP_1) | instid1(VALU_DEP_2)
	v_lshrrev_b64 v[36:37], s41, v[36:37]
	v_lshlrev_b32_e32 v37, 2, v80
	v_and_b32_e32 v36, s43, v36
	s_delay_alu instid0(VALU_DEP_1) | instskip(SKIP_2) | instid1(SALU_CYCLE_1)
	v_lshl_or_b32 v36, v36, 4, v37
	ds_add_u32 v36, v123
	s_or_b32 exec_lo, exec_lo, s8
	s_mov_b32 s8, exec_lo
	v_cmpx_lt_u32_e64 v88, v2
	s_cbranch_execnz .LBB741_367
.LBB741_352:                            ;   in Loop: Header=BB741_318 Depth=2
	s_or_b32 exec_lo, exec_lo, s8
	s_delay_alu instid0(SALU_CYCLE_1)
	s_mov_b32 s8, exec_lo
	v_cmpx_lt_u32_e64 v89, v2
	s_cbranch_execz .LBB741_368
.LBB741_353:                            ;   in Loop: Header=BB741_318 Depth=2
	v_xor_b32_e32 v37, 0x7fffffff, v13
	v_not_b32_e32 v36, v12
	s_delay_alu instid0(VALU_DEP_1) | instskip(SKIP_1) | instid1(VALU_DEP_2)
	v_lshrrev_b64 v[36:37], s41, v[36:37]
	v_lshlrev_b32_e32 v37, 2, v80
	v_and_b32_e32 v36, s43, v36
	s_delay_alu instid0(VALU_DEP_1) | instskip(SKIP_2) | instid1(SALU_CYCLE_1)
	v_lshl_or_b32 v36, v36, 4, v37
	ds_add_u32 v36, v123
	s_or_b32 exec_lo, exec_lo, s8
	s_mov_b32 s8, exec_lo
	v_cmpx_lt_u32_e64 v90, v2
	s_cbranch_execnz .LBB741_369
.LBB741_354:                            ;   in Loop: Header=BB741_318 Depth=2
	s_or_b32 exec_lo, exec_lo, s8
	s_delay_alu instid0(SALU_CYCLE_1)
	s_mov_b32 s8, exec_lo
	v_cmpx_lt_u32_e64 v91, v2
	s_cbranch_execz .LBB741_370
.LBB741_355:                            ;   in Loop: Header=BB741_318 Depth=2
	v_xor_b32_e32 v37, 0x7fffffff, v9
	v_not_b32_e32 v36, v8
	s_delay_alu instid0(VALU_DEP_1) | instskip(SKIP_1) | instid1(VALU_DEP_2)
	v_lshrrev_b64 v[36:37], s41, v[36:37]
	v_lshlrev_b32_e32 v37, 2, v80
	v_and_b32_e32 v36, s43, v36
	s_delay_alu instid0(VALU_DEP_1) | instskip(SKIP_2) | instid1(SALU_CYCLE_1)
	v_lshl_or_b32 v36, v36, 4, v37
	ds_add_u32 v36, v123
	s_or_b32 exec_lo, exec_lo, s8
	s_mov_b32 s8, exec_lo
	v_cmpx_lt_u32_e64 v92, v2
	s_cbranch_execnz .LBB741_371
.LBB741_356:                            ;   in Loop: Header=BB741_318 Depth=2
	s_or_b32 exec_lo, exec_lo, s8
	s_delay_alu instid0(SALU_CYCLE_1)
	s_mov_b32 s8, exec_lo
	v_cmpx_lt_u32_e64 v93, v2
	s_cbranch_execz .LBB741_372
.LBB741_357:                            ;   in Loop: Header=BB741_318 Depth=2
	v_xor_b32_e32 v37, 0x7fffffff, v5
	v_not_b32_e32 v36, v4
	s_delay_alu instid0(VALU_DEP_1) | instskip(SKIP_1) | instid1(VALU_DEP_2)
	v_lshrrev_b64 v[36:37], s41, v[36:37]
	v_lshlrev_b32_e32 v37, 2, v80
	v_and_b32_e32 v36, s43, v36
	s_delay_alu instid0(VALU_DEP_1) | instskip(SKIP_2) | instid1(SALU_CYCLE_1)
	v_lshl_or_b32 v36, v36, 4, v37
	ds_add_u32 v36, v123
	s_or_b32 exec_lo, exec_lo, s8
	s_mov_b32 s8, exec_lo
	v_cmpx_lt_u32_e64 v95, v2
	s_cbranch_execz .LBB741_317
	s_branch .LBB741_373
.LBB741_358:                            ;   in Loop: Header=BB741_318 Depth=2
	s_or_b32 exec_lo, exec_lo, s8
	s_delay_alu instid0(SALU_CYCLE_1)
	s_mov_b32 s8, exec_lo
	v_cmpx_lt_u32_e64 v77, v2
	s_cbranch_execz .LBB741_344
.LBB741_359:                            ;   in Loop: Header=BB741_318 Depth=2
	v_xor_b32_e32 v37, 0x7fffffff, v31
	v_not_b32_e32 v36, v30
	s_delay_alu instid0(VALU_DEP_1) | instskip(SKIP_1) | instid1(VALU_DEP_2)
	v_lshrrev_b64 v[36:37], s41, v[36:37]
	v_lshlrev_b32_e32 v37, 2, v80
	v_and_b32_e32 v36, s43, v36
	s_delay_alu instid0(VALU_DEP_1) | instskip(SKIP_2) | instid1(SALU_CYCLE_1)
	v_lshl_or_b32 v36, v36, 4, v37
	ds_add_u32 v36, v123
	s_or_b32 exec_lo, exec_lo, s8
	s_mov_b32 s8, exec_lo
	v_cmpx_lt_u32_e64 v78, v2
	s_cbranch_execnz .LBB741_345
.LBB741_360:                            ;   in Loop: Header=BB741_318 Depth=2
	s_or_b32 exec_lo, exec_lo, s8
	s_delay_alu instid0(SALU_CYCLE_1)
	s_mov_b32 s8, exec_lo
	v_cmpx_lt_u32_e64 v79, v2
	s_cbranch_execz .LBB741_346
.LBB741_361:                            ;   in Loop: Header=BB741_318 Depth=2
	v_xor_b32_e32 v37, 0x7fffffff, v27
	v_not_b32_e32 v36, v26
	s_delay_alu instid0(VALU_DEP_1) | instskip(SKIP_1) | instid1(VALU_DEP_2)
	v_lshrrev_b64 v[36:37], s41, v[36:37]
	v_lshlrev_b32_e32 v37, 2, v80
	v_and_b32_e32 v36, s43, v36
	s_delay_alu instid0(VALU_DEP_1) | instskip(SKIP_2) | instid1(SALU_CYCLE_1)
	v_lshl_or_b32 v36, v36, 4, v37
	ds_add_u32 v36, v123
	s_or_b32 exec_lo, exec_lo, s8
	s_mov_b32 s8, exec_lo
	v_cmpx_lt_u32_e64 v83, v2
	s_cbranch_execnz .LBB741_347
.LBB741_362:                            ;   in Loop: Header=BB741_318 Depth=2
	s_or_b32 exec_lo, exec_lo, s8
	s_delay_alu instid0(SALU_CYCLE_1)
	s_mov_b32 s8, exec_lo
	v_cmpx_lt_u32_e64 v84, v2
	s_cbranch_execz .LBB741_348
.LBB741_363:                            ;   in Loop: Header=BB741_318 Depth=2
	v_xor_b32_e32 v37, 0x7fffffff, v23
	v_not_b32_e32 v36, v22
	s_delay_alu instid0(VALU_DEP_1) | instskip(SKIP_1) | instid1(VALU_DEP_2)
	v_lshrrev_b64 v[36:37], s41, v[36:37]
	v_lshlrev_b32_e32 v37, 2, v80
	v_and_b32_e32 v36, s43, v36
	s_delay_alu instid0(VALU_DEP_1) | instskip(SKIP_2) | instid1(SALU_CYCLE_1)
	v_lshl_or_b32 v36, v36, 4, v37
	ds_add_u32 v36, v123
	s_or_b32 exec_lo, exec_lo, s8
	s_mov_b32 s8, exec_lo
	v_cmpx_lt_u32_e64 v85, v2
	s_cbranch_execnz .LBB741_349
.LBB741_364:                            ;   in Loop: Header=BB741_318 Depth=2
	s_or_b32 exec_lo, exec_lo, s8
	s_delay_alu instid0(SALU_CYCLE_1)
	s_mov_b32 s8, exec_lo
	v_cmpx_lt_u32_e64 v86, v2
	s_cbranch_execz .LBB741_350
.LBB741_365:                            ;   in Loop: Header=BB741_318 Depth=2
	v_xor_b32_e32 v37, 0x7fffffff, v19
	v_not_b32_e32 v36, v18
	s_delay_alu instid0(VALU_DEP_1) | instskip(SKIP_1) | instid1(VALU_DEP_2)
	v_lshrrev_b64 v[36:37], s41, v[36:37]
	v_lshlrev_b32_e32 v37, 2, v80
	v_and_b32_e32 v36, s43, v36
	s_delay_alu instid0(VALU_DEP_1) | instskip(SKIP_2) | instid1(SALU_CYCLE_1)
	v_lshl_or_b32 v36, v36, 4, v37
	ds_add_u32 v36, v123
	s_or_b32 exec_lo, exec_lo, s8
	s_mov_b32 s8, exec_lo
	v_cmpx_lt_u32_e64 v87, v2
	s_cbranch_execnz .LBB741_351
.LBB741_366:                            ;   in Loop: Header=BB741_318 Depth=2
	s_or_b32 exec_lo, exec_lo, s8
	s_delay_alu instid0(SALU_CYCLE_1)
	s_mov_b32 s8, exec_lo
	v_cmpx_lt_u32_e64 v88, v2
	s_cbranch_execz .LBB741_352
.LBB741_367:                            ;   in Loop: Header=BB741_318 Depth=2
	v_xor_b32_e32 v37, 0x7fffffff, v15
	v_not_b32_e32 v36, v14
	s_delay_alu instid0(VALU_DEP_1) | instskip(SKIP_1) | instid1(VALU_DEP_2)
	v_lshrrev_b64 v[36:37], s41, v[36:37]
	v_lshlrev_b32_e32 v37, 2, v80
	v_and_b32_e32 v36, s43, v36
	s_delay_alu instid0(VALU_DEP_1) | instskip(SKIP_2) | instid1(SALU_CYCLE_1)
	v_lshl_or_b32 v36, v36, 4, v37
	ds_add_u32 v36, v123
	s_or_b32 exec_lo, exec_lo, s8
	s_mov_b32 s8, exec_lo
	v_cmpx_lt_u32_e64 v89, v2
	s_cbranch_execnz .LBB741_353
.LBB741_368:                            ;   in Loop: Header=BB741_318 Depth=2
	s_or_b32 exec_lo, exec_lo, s8
	s_delay_alu instid0(SALU_CYCLE_1)
	s_mov_b32 s8, exec_lo
	v_cmpx_lt_u32_e64 v90, v2
	s_cbranch_execz .LBB741_354
.LBB741_369:                            ;   in Loop: Header=BB741_318 Depth=2
	v_xor_b32_e32 v37, 0x7fffffff, v11
	v_not_b32_e32 v36, v10
	s_delay_alu instid0(VALU_DEP_1) | instskip(SKIP_1) | instid1(VALU_DEP_2)
	v_lshrrev_b64 v[36:37], s41, v[36:37]
	v_lshlrev_b32_e32 v37, 2, v80
	v_and_b32_e32 v36, s43, v36
	s_delay_alu instid0(VALU_DEP_1) | instskip(SKIP_2) | instid1(SALU_CYCLE_1)
	v_lshl_or_b32 v36, v36, 4, v37
	ds_add_u32 v36, v123
	s_or_b32 exec_lo, exec_lo, s8
	s_mov_b32 s8, exec_lo
	v_cmpx_lt_u32_e64 v91, v2
	s_cbranch_execnz .LBB741_355
.LBB741_370:                            ;   in Loop: Header=BB741_318 Depth=2
	s_or_b32 exec_lo, exec_lo, s8
	s_delay_alu instid0(SALU_CYCLE_1)
	s_mov_b32 s8, exec_lo
	v_cmpx_lt_u32_e64 v92, v2
	s_cbranch_execz .LBB741_356
.LBB741_371:                            ;   in Loop: Header=BB741_318 Depth=2
	v_xor_b32_e32 v37, 0x7fffffff, v7
	v_not_b32_e32 v36, v6
	s_delay_alu instid0(VALU_DEP_1) | instskip(SKIP_1) | instid1(VALU_DEP_2)
	v_lshrrev_b64 v[36:37], s41, v[36:37]
	v_lshlrev_b32_e32 v37, 2, v80
	v_and_b32_e32 v36, s43, v36
	s_delay_alu instid0(VALU_DEP_1) | instskip(SKIP_2) | instid1(SALU_CYCLE_1)
	v_lshl_or_b32 v36, v36, 4, v37
	ds_add_u32 v36, v123
	s_or_b32 exec_lo, exec_lo, s8
	s_mov_b32 s8, exec_lo
	v_cmpx_lt_u32_e64 v93, v2
	s_cbranch_execnz .LBB741_357
.LBB741_372:                            ;   in Loop: Header=BB741_318 Depth=2
	s_or_b32 exec_lo, exec_lo, s8
	s_delay_alu instid0(SALU_CYCLE_1)
	s_mov_b32 s8, exec_lo
	v_cmpx_lt_u32_e64 v95, v2
	s_cbranch_execz .LBB741_317
.LBB741_373:                            ;   in Loop: Header=BB741_318 Depth=2
	s_waitcnt vmcnt(0)
	v_xor_b32_e32 v37, 0x7fffffff, v35
	v_not_b32_e32 v36, v34
	s_delay_alu instid0(VALU_DEP_1) | instskip(NEXT) | instid1(VALU_DEP_1)
	v_lshrrev_b64 v[36:37], s41, v[36:37]
	v_and_b32_e32 v2, s43, v36
	v_lshlrev_b32_e32 v36, 2, v80
	s_delay_alu instid0(VALU_DEP_1)
	v_lshl_or_b32 v2, v2, 4, v36
	ds_add_u32 v2, v123
	s_branch .LBB741_317
.LBB741_374:                            ;   in Loop: Header=BB741_318 Depth=2
	s_or_b32 exec_lo, exec_lo, s9
	s_delay_alu instid0(SALU_CYCLE_1)
	s_mov_b32 s9, exec_lo
	v_cmpx_gt_u32_e64 s1, v77
	s_cbranch_execz .LBB741_324
.LBB741_375:                            ;   in Loop: Header=BB741_318 Depth=2
	global_load_b64 v[30:31], v124, s[10:11] offset:2048
	s_or_b32 exec_lo, exec_lo, s9
	s_delay_alu instid0(SALU_CYCLE_1)
	s_mov_b32 s9, exec_lo
	v_cmpx_gt_u32_e64 s1, v78
	s_cbranch_execnz .LBB741_325
.LBB741_376:                            ;   in Loop: Header=BB741_318 Depth=2
	s_or_b32 exec_lo, exec_lo, s9
	s_delay_alu instid0(SALU_CYCLE_1)
	s_mov_b32 s9, exec_lo
	v_cmpx_gt_u32_e64 s1, v79
	s_cbranch_execz .LBB741_326
.LBB741_377:                            ;   in Loop: Header=BB741_318 Depth=2
	global_load_b64 v[26:27], v126, s[10:11]
	s_or_b32 exec_lo, exec_lo, s9
	s_delay_alu instid0(SALU_CYCLE_1)
	s_mov_b32 s9, exec_lo
	v_cmpx_gt_u32_e64 s1, v83
	s_cbranch_execnz .LBB741_327
.LBB741_378:                            ;   in Loop: Header=BB741_318 Depth=2
	s_or_b32 exec_lo, exec_lo, s9
	s_delay_alu instid0(SALU_CYCLE_1)
	s_mov_b32 s9, exec_lo
	v_cmpx_gt_u32_e64 s1, v84
	s_cbranch_execz .LBB741_328
.LBB741_379:                            ;   in Loop: Header=BB741_318 Depth=2
	global_load_b64 v[22:23], v128, s[10:11]
	s_or_b32 exec_lo, exec_lo, s9
	s_delay_alu instid0(SALU_CYCLE_1)
	s_mov_b32 s9, exec_lo
	v_cmpx_gt_u32_e64 s1, v85
	s_cbranch_execnz .LBB741_329
.LBB741_380:                            ;   in Loop: Header=BB741_318 Depth=2
	s_or_b32 exec_lo, exec_lo, s9
	s_delay_alu instid0(SALU_CYCLE_1)
	s_mov_b32 s9, exec_lo
	v_cmpx_gt_u32_e64 s1, v86
	s_cbranch_execz .LBB741_330
.LBB741_381:                            ;   in Loop: Header=BB741_318 Depth=2
	global_load_b64 v[18:19], v130, s[10:11]
	s_or_b32 exec_lo, exec_lo, s9
	s_delay_alu instid0(SALU_CYCLE_1)
	s_mov_b32 s9, exec_lo
	v_cmpx_gt_u32_e64 s1, v87
	s_cbranch_execnz .LBB741_331
.LBB741_382:                            ;   in Loop: Header=BB741_318 Depth=2
	s_or_b32 exec_lo, exec_lo, s9
	s_delay_alu instid0(SALU_CYCLE_1)
	s_mov_b32 s9, exec_lo
	v_cmpx_gt_u32_e64 s1, v88
	s_cbranch_execz .LBB741_332
.LBB741_383:                            ;   in Loop: Header=BB741_318 Depth=2
	global_load_b64 v[14:15], v132, s[10:11]
	s_or_b32 exec_lo, exec_lo, s9
	s_delay_alu instid0(SALU_CYCLE_1)
	s_mov_b32 s9, exec_lo
	v_cmpx_gt_u32_e64 s1, v89
	s_cbranch_execnz .LBB741_333
.LBB741_384:                            ;   in Loop: Header=BB741_318 Depth=2
	s_or_b32 exec_lo, exec_lo, s9
	s_delay_alu instid0(SALU_CYCLE_1)
	s_mov_b32 s9, exec_lo
	v_cmpx_gt_u32_e64 s1, v90
	s_cbranch_execz .LBB741_334
.LBB741_385:                            ;   in Loop: Header=BB741_318 Depth=2
	global_load_b64 v[10:11], v134, s[10:11]
	s_or_b32 exec_lo, exec_lo, s9
	s_delay_alu instid0(SALU_CYCLE_1)
	s_mov_b32 s9, exec_lo
	v_cmpx_gt_u32_e64 s1, v91
	s_cbranch_execnz .LBB741_335
.LBB741_386:                            ;   in Loop: Header=BB741_318 Depth=2
	s_or_b32 exec_lo, exec_lo, s9
	s_delay_alu instid0(SALU_CYCLE_1)
	s_mov_b32 s9, exec_lo
	v_cmpx_gt_u32_e64 s1, v92
	s_cbranch_execz .LBB741_336
.LBB741_387:                            ;   in Loop: Header=BB741_318 Depth=2
	v_lshlrev_b32_e32 v2, 3, v92
	global_load_b64 v[6:7], v2, s[10:11]
	s_or_b32 exec_lo, exec_lo, s9
	s_delay_alu instid0(SALU_CYCLE_1)
	s_mov_b32 s9, exec_lo
	v_cmpx_gt_u32_e64 s1, v93
	s_cbranch_execz .LBB741_338
	s_branch .LBB741_337
.LBB741_388:                            ;   in Loop: Header=BB741_20 Depth=1
	v_mov_b32_e32 v2, 0
	s_waitcnt vmcnt(0) lgkmcnt(0)
	s_barrier
	buffer_gl0_inv
	s_and_saveexec_b32 s1, s2
	s_cbranch_execz .LBB741_390
; %bb.389:                              ;   in Loop: Header=BB741_20 Depth=1
	ds_load_2addr_b64 v[4:7], v96 offset1:1
	s_waitcnt lgkmcnt(0)
	v_add_nc_u32_e32 v2, v5, v4
	s_delay_alu instid0(VALU_DEP_1)
	v_add3_u32 v2, v2, v6, v7
.LBB741_390:                            ;   in Loop: Header=BB741_20 Depth=1
	s_or_b32 exec_lo, exec_lo, s1
	v_and_b32_e32 v4, 15, v136
	s_delay_alu instid0(VALU_DEP_2) | instskip(SKIP_1) | instid1(VALU_DEP_3)
	v_mov_b32_dpp v5, v2 row_shr:1 row_mask:0xf bank_mask:0xf
	v_and_b32_e32 v6, 16, v136
	v_cmp_eq_u32_e64 s1, 0, v4
	v_cmp_lt_u32_e64 s7, 1, v4
	v_cmp_lt_u32_e64 s8, 3, v4
	;; [unrolled: 1-line block ×3, first 2 shown]
	v_cmp_eq_u32_e64 s10, 0, v6
	v_cndmask_b32_e64 v5, v5, 0, s1
	s_delay_alu instid0(VALU_DEP_1) | instskip(NEXT) | instid1(VALU_DEP_1)
	v_add_nc_u32_e32 v2, v5, v2
	v_mov_b32_dpp v5, v2 row_shr:2 row_mask:0xf bank_mask:0xf
	s_delay_alu instid0(VALU_DEP_1) | instskip(NEXT) | instid1(VALU_DEP_1)
	v_cndmask_b32_e64 v5, 0, v5, s7
	v_add_nc_u32_e32 v2, v2, v5
	s_delay_alu instid0(VALU_DEP_1) | instskip(NEXT) | instid1(VALU_DEP_1)
	v_mov_b32_dpp v5, v2 row_shr:4 row_mask:0xf bank_mask:0xf
	v_cndmask_b32_e64 v5, 0, v5, s8
	s_delay_alu instid0(VALU_DEP_1) | instskip(NEXT) | instid1(VALU_DEP_1)
	v_add_nc_u32_e32 v2, v2, v5
	v_mov_b32_dpp v5, v2 row_shr:8 row_mask:0xf bank_mask:0xf
	s_delay_alu instid0(VALU_DEP_1) | instskip(SKIP_1) | instid1(VALU_DEP_2)
	v_cndmask_b32_e64 v4, 0, v5, s9
	v_bfe_i32 v5, v136, 4, 1
	v_add_nc_u32_e32 v2, v2, v4
	ds_swizzle_b32 v4, v2 offset:swizzle(BROADCAST,32,15)
	s_waitcnt lgkmcnt(0)
	v_and_b32_e32 v4, v5, v4
	s_delay_alu instid0(VALU_DEP_1)
	v_add_nc_u32_e32 v4, v2, v4
	s_and_saveexec_b32 s11, s3
	s_cbranch_execz .LBB741_392
; %bb.391:                              ;   in Loop: Header=BB741_20 Depth=1
	ds_store_b32 v97, v4
.LBB741_392:                            ;   in Loop: Header=BB741_20 Depth=1
	s_or_b32 exec_lo, exec_lo, s11
	v_and_b32_e32 v2, 7, v136
	s_waitcnt lgkmcnt(0)
	s_barrier
	buffer_gl0_inv
	s_and_saveexec_b32 s11, s4
	s_cbranch_execz .LBB741_394
; %bb.393:                              ;   in Loop: Header=BB741_20 Depth=1
	ds_load_b32 v5, v98
	v_cmp_ne_u32_e32 vcc_lo, 0, v2
	s_waitcnt lgkmcnt(0)
	v_mov_b32_dpp v6, v5 row_shr:1 row_mask:0xf bank_mask:0xf
	s_delay_alu instid0(VALU_DEP_1) | instskip(SKIP_1) | instid1(VALU_DEP_2)
	v_cndmask_b32_e32 v6, 0, v6, vcc_lo
	v_cmp_lt_u32_e32 vcc_lo, 1, v2
	v_add_nc_u32_e32 v5, v6, v5
	s_delay_alu instid0(VALU_DEP_1) | instskip(NEXT) | instid1(VALU_DEP_1)
	v_mov_b32_dpp v6, v5 row_shr:2 row_mask:0xf bank_mask:0xf
	v_cndmask_b32_e32 v6, 0, v6, vcc_lo
	v_cmp_lt_u32_e32 vcc_lo, 3, v2
	s_delay_alu instid0(VALU_DEP_2) | instskip(NEXT) | instid1(VALU_DEP_1)
	v_add_nc_u32_e32 v5, v5, v6
	v_mov_b32_dpp v6, v5 row_shr:4 row_mask:0xf bank_mask:0xf
	s_delay_alu instid0(VALU_DEP_1) | instskip(NEXT) | instid1(VALU_DEP_1)
	v_cndmask_b32_e32 v6, 0, v6, vcc_lo
	v_add_nc_u32_e32 v5, v5, v6
	ds_store_b32 v98, v5
.LBB741_394:                            ;   in Loop: Header=BB741_20 Depth=1
	s_or_b32 exec_lo, exec_lo, s11
	v_mov_b32_e32 v5, 0
	s_waitcnt lgkmcnt(0)
	s_barrier
	buffer_gl0_inv
	s_and_saveexec_b32 s11, s5
	s_cbranch_execz .LBB741_396
; %bb.395:                              ;   in Loop: Header=BB741_20 Depth=1
	ds_load_b32 v5, v99
.LBB741_396:                            ;   in Loop: Header=BB741_20 Depth=1
	s_or_b32 exec_lo, exec_lo, s11
	v_add_nc_u32_e32 v6, -1, v136
	s_waitcnt lgkmcnt(0)
	v_add_nc_u32_e32 v4, v5, v4
	v_cmp_eq_u32_e64 s11, 0, v136
	s_barrier
	v_cmp_gt_i32_e32 vcc_lo, 0, v6
	buffer_gl0_inv
	v_cndmask_b32_e32 v6, v6, v136, vcc_lo
	s_delay_alu instid0(VALU_DEP_1)
	v_lshlrev_b32_e32 v137, 2, v6
	ds_bpermute_b32 v4, v137, v4
	s_and_saveexec_b32 s12, s2
	s_cbranch_execz .LBB741_398
; %bb.397:                              ;   in Loop: Header=BB741_20 Depth=1
	s_waitcnt lgkmcnt(0)
	v_cndmask_b32_e64 v4, v4, v5, s11
	s_delay_alu instid0(VALU_DEP_1)
	v_add_nc_u32_e32 v4, s60, v4
	ds_store_b32 v76, v4
.LBB741_398:                            ;   in Loop: Header=BB741_20 Depth=1
	s_or_b32 exec_lo, exec_lo, s12
	s_load_b64 s[12:13], s[36:37], 0x0
	v_lshlrev_b32_e32 v7, 3, v136
	v_or_b32_e32 v138, v136, v100
	s_mov_b32 s50, s62
	s_mov_b32 s38, s60
                                        ; implicit-def: $vgpr8_vgpr9
                                        ; implicit-def: $vgpr10_vgpr11
                                        ; implicit-def: $vgpr12_vgpr13
                                        ; implicit-def: $vgpr14_vgpr15
                                        ; implicit-def: $vgpr16_vgpr17
                                        ; implicit-def: $vgpr18_vgpr19
                                        ; implicit-def: $vgpr20_vgpr21
                                        ; implicit-def: $vgpr22_vgpr23
                                        ; implicit-def: $vgpr24_vgpr25
                                        ; implicit-def: $vgpr26_vgpr27
                                        ; implicit-def: $vgpr28_vgpr29
                                        ; implicit-def: $vgpr30_vgpr31
                                        ; implicit-def: $vgpr32_vgpr33
                                        ; implicit-def: $vgpr34_vgpr35
                                        ; implicit-def: $vgpr161
                                        ; implicit-def: $vgpr162
                                        ; implicit-def: $vgpr163
                                        ; implicit-def: $vgpr164
                                        ; implicit-def: $vgpr165
                                        ; implicit-def: $vgpr166
                                        ; implicit-def: $vgpr167
                                        ; implicit-def: $vgpr168
                                        ; implicit-def: $vgpr169
                                        ; implicit-def: $vgpr170
                                        ; implicit-def: $vgpr171
                                        ; implicit-def: $vgpr172
                                        ; implicit-def: $vgpr173
                                        ; implicit-def: $vgpr174
                                        ; implicit-def: $vgpr175
                                        ; implicit-def: $vgpr176
	s_delay_alu instid0(VALU_DEP_2) | instskip(SKIP_4) | instid1(VALU_DEP_3)
	v_add_co_u32 v139, vcc_lo, v113, v7
	v_add_co_ci_u32_e32 v140, vcc_lo, 0, v114, vcc_lo
	v_add_co_u32 v156, vcc_lo, v115, v7
	v_add_co_ci_u32_e32 v157, vcc_lo, 0, v116, vcc_lo
	v_or_b32_e32 v141, 32, v138
	v_add_co_u32 v159, vcc_lo, 0xf00, v156
	v_or_b32_e32 v142, 64, v138
	v_or_b32_e32 v143, 0x60, v138
	;; [unrolled: 1-line block ×3, first 2 shown]
	s_waitcnt lgkmcnt(0)
	s_cmp_lt_u32 s15, s13
	v_or_b32_e32 v145, 0xa0, v138
	s_cselect_b32 s13, 14, 20
	v_or_b32_e32 v146, 0xc0, v138
	s_add_u32 s16, s36, s13
	s_addc_u32 s17, s37, 0
	s_cmp_lt_u32 s14, s12
	global_load_u16 v4, v3, s[16:17]
	s_cselect_b32 s12, 12, 18
	v_or_b32_e32 v147, 0xe0, v138
	s_add_u32 s12, s36, s12
	s_addc_u32 s13, s37, 0
	v_or_b32_e32 v148, 0x100, v138
	global_load_u16 v6, v3, s[12:13]
	v_cmp_eq_u32_e64 s12, 0, v2
	v_cmp_lt_u32_e64 s13, 1, v2
	v_cmp_lt_u32_e64 s16, 3, v2
	v_or_b32_e32 v149, 0x120, v138
	v_or_b32_e32 v150, 0x140, v138
	;; [unrolled: 1-line block ×7, first 2 shown]
	v_add_co_ci_u32_e32 v160, vcc_lo, 0, v157, vcc_lo
	s_waitcnt vmcnt(1)
	v_mad_u32_u24 v2, v101, v4, v0
	s_waitcnt vmcnt(0)
	s_delay_alu instid0(VALU_DEP_1) | instskip(NEXT) | instid1(VALU_DEP_1)
	v_mad_u64_u32 v[4:5], null, v2, v6, v[1:2]
                                        ; implicit-def: $vgpr6_vgpr7
	v_lshrrev_b32_e32 v158, 5, v4
                                        ; implicit-def: $vgpr4_vgpr5
	s_branch .LBB741_400
.LBB741_399:                            ;   in Loop: Header=BB741_400 Depth=2
	s_or_b32 exec_lo, exec_lo, s17
	s_addk_i32 s50, 0xf000
	s_cmp_lt_u32 s51, s61
	s_mov_b32 s38, s51
	s_cbranch_scc0 .LBB741_608
.LBB741_400:                            ;   Parent Loop BB741_20 Depth=1
                                        ; =>  This Inner Loop Header: Depth=2
	s_add_i32 s51, s38, 0x1000
	s_delay_alu instid0(SALU_CYCLE_1)
	s_cmp_gt_u32 s51, s61
	s_cbranch_scc1 .LBB741_402
; %bb.401:                              ;   in Loop: Header=BB741_400 Depth=2
	s_mov_b32 s39, 0
	s_movk_i32 s17, 0x1000
	s_lshl_b64 s[18:19], s[38:39], 3
	s_delay_alu instid0(SALU_CYCLE_1)
	v_add_co_u32 v40, vcc_lo, v156, s18
	v_add_co_ci_u32_e32 v41, vcc_lo, s19, v157, vcc_lo
	s_mov_b32 s18, -1
	s_clause 0xe
	global_load_b64 v[36:37], v[40:41], off
	global_load_b64 v[38:39], v[40:41], off offset:256
	global_load_b64 v[44:45], v[40:41], off offset:512
	global_load_b64 v[48:49], v[40:41], off offset:768
	global_load_b64 v[54:55], v[40:41], off offset:1024
	global_load_b64 v[58:59], v[40:41], off offset:1280
	global_load_b64 v[62:63], v[40:41], off offset:1536
	global_load_b64 v[66:67], v[40:41], off offset:1792
	global_load_b64 v[64:65], v[40:41], off offset:2048
	global_load_b64 v[60:61], v[40:41], off offset:2304
	global_load_b64 v[56:57], v[40:41], off offset:2560
	global_load_b64 v[52:53], v[40:41], off offset:2816
	global_load_b64 v[50:51], v[40:41], off offset:3072
	global_load_b64 v[46:47], v[40:41], off offset:3328
	global_load_b64 v[40:41], v[40:41], off offset:3584
	s_cbranch_execz .LBB741_403
	s_branch .LBB741_434
.LBB741_402:                            ;   in Loop: Header=BB741_400 Depth=2
	s_mov_b32 s39, -1
	s_mov_b32 s18, 0
                                        ; implicit-def: $sgpr17
                                        ; implicit-def: $vgpr36_vgpr37
                                        ; implicit-def: $vgpr38_vgpr39
                                        ; implicit-def: $vgpr44_vgpr45
                                        ; implicit-def: $vgpr48_vgpr49
                                        ; implicit-def: $vgpr54_vgpr55
                                        ; implicit-def: $vgpr58_vgpr59
                                        ; implicit-def: $vgpr62_vgpr63
                                        ; implicit-def: $vgpr66_vgpr67
                                        ; implicit-def: $vgpr64_vgpr65
                                        ; implicit-def: $vgpr60_vgpr61
                                        ; implicit-def: $vgpr56_vgpr57
                                        ; implicit-def: $vgpr52_vgpr53
                                        ; implicit-def: $vgpr50_vgpr51
                                        ; implicit-def: $vgpr46_vgpr47
                                        ; implicit-def: $vgpr40_vgpr41
.LBB741_403:                            ;   in Loop: Header=BB741_400 Depth=2
	s_mov_b32 s39, s34
	s_waitcnt vmcnt(14)
	v_dual_mov_b32 v37, s35 :: v_dual_mov_b32 v36, s34
	s_lshl_b64 s[18:19], s[38:39], 3
	s_mov_b32 s17, exec_lo
	v_add_co_u32 v42, vcc_lo, v156, s18
	v_add_co_ci_u32_e32 v43, vcc_lo, s19, v157, vcc_lo
	v_cmpx_gt_u32_e64 s50, v138
	s_cbranch_execz .LBB741_405
; %bb.404:                              ;   in Loop: Header=BB741_400 Depth=2
	global_load_b64 v[36:37], v[42:43], off
.LBB741_405:                            ;   in Loop: Header=BB741_400 Depth=2
	s_or_b32 exec_lo, exec_lo, s17
	s_waitcnt vmcnt(13)
	v_dual_mov_b32 v39, s35 :: v_dual_mov_b32 v38, s34
	s_mov_b32 s17, exec_lo
	v_cmpx_gt_u32_e64 s50, v141
	s_cbranch_execz .LBB741_407
; %bb.406:                              ;   in Loop: Header=BB741_400 Depth=2
	global_load_b64 v[38:39], v[42:43], off offset:256
.LBB741_407:                            ;   in Loop: Header=BB741_400 Depth=2
	s_or_b32 exec_lo, exec_lo, s17
	s_waitcnt vmcnt(12)
	v_dual_mov_b32 v45, s35 :: v_dual_mov_b32 v44, s34
	s_mov_b32 s17, exec_lo
	v_cmpx_gt_u32_e64 s50, v142
	s_cbranch_execz .LBB741_409
; %bb.408:                              ;   in Loop: Header=BB741_400 Depth=2
	global_load_b64 v[44:45], v[42:43], off offset:512
.LBB741_409:                            ;   in Loop: Header=BB741_400 Depth=2
	;; [unrolled: 9-line block ×14, first 2 shown]
	s_or_b32 exec_lo, exec_lo, s17
	v_cmp_gt_u32_e64 s18, s50, v155
	s_sub_i32 s17, s61, s38
.LBB741_434:                            ;   in Loop: Header=BB741_400 Depth=2
	v_dual_mov_b32 v43, s35 :: v_dual_mov_b32 v42, s34
	v_mov_b32_e32 v177, s50
	s_delay_alu instid0(VALU_DEP_3)
	s_and_saveexec_b32 s19, s18
	s_cbranch_execz .LBB741_436
; %bb.435:                              ;   in Loop: Header=BB741_400 Depth=2
	s_lshl_b64 s[20:21], s[38:39], 3
	v_mov_b32_e32 v177, s17
	v_add_co_u32 v42, vcc_lo, v159, s20
	v_add_co_ci_u32_e32 v43, vcc_lo, s21, v160, vcc_lo
	global_load_b64 v[42:43], v[42:43], off
.LBB741_436:                            ;   in Loop: Header=BB741_400 Depth=2
	s_or_b32 exec_lo, exec_lo, s19
	s_waitcnt vmcnt(14)
	v_xor_b32_e32 v37, 0x7fffffff, v37
	v_not_b32_e32 v36, v36
	ds_store_b32 v102, v3 offset:1056
	ds_store_2addr_b32 v103, v3, v3 offset0:1 offset1:2
	ds_store_2addr_b32 v103, v3, v3 offset0:3 offset1:4
	;; [unrolled: 1-line block ×4, first 2 shown]
	s_waitcnt vmcnt(0) lgkmcnt(0)
	s_barrier
	v_lshrrev_b64 v[68:69], s41, v[36:37]
	buffer_gl0_inv
	; wave barrier
	v_and_b32_e32 v69, s43, v68
	s_delay_alu instid0(VALU_DEP_1)
	v_and_b32_e32 v2, 1, v69
	v_lshlrev_b32_e32 v68, 30, v69
	v_lshlrev_b32_e32 v70, 29, v69
	;; [unrolled: 1-line block ×4, first 2 shown]
	v_add_co_u32 v2, s17, v2, -1
	s_delay_alu instid0(VALU_DEP_1)
	v_cndmask_b32_e64 v72, 0, 1, s17
	v_not_b32_e32 v178, v68
	v_cmp_gt_i32_e64 s17, 0, v68
	v_not_b32_e32 v68, v70
	v_lshlrev_b32_e32 v74, 26, v69
	v_cmp_ne_u32_e32 vcc_lo, 0, v72
	v_ashrrev_i32_e32 v178, 31, v178
	v_lshlrev_b32_e32 v75, 25, v69
	v_ashrrev_i32_e32 v68, 31, v68
	v_lshlrev_b32_e32 v72, 24, v69
	v_xor_b32_e32 v2, vcc_lo, v2
	v_cmp_gt_i32_e32 vcc_lo, 0, v70
	v_not_b32_e32 v70, v71
	v_xor_b32_e32 v178, s17, v178
	v_cmp_gt_i32_e64 s17, 0, v71
	v_and_b32_e32 v2, exec_lo, v2
	v_not_b32_e32 v71, v73
	v_ashrrev_i32_e32 v70, 31, v70
	v_xor_b32_e32 v68, vcc_lo, v68
	v_cmp_gt_i32_e32 vcc_lo, 0, v73
	v_and_b32_e32 v2, v2, v178
	v_not_b32_e32 v73, v74
	v_ashrrev_i32_e32 v71, 31, v71
	v_xor_b32_e32 v70, s17, v70
	v_cmp_gt_i32_e64 s17, 0, v74
	v_and_b32_e32 v2, v2, v68
	v_not_b32_e32 v68, v75
	v_ashrrev_i32_e32 v73, 31, v73
	v_xor_b32_e32 v71, vcc_lo, v71
	v_cmp_gt_i32_e32 vcc_lo, 0, v75
	v_and_b32_e32 v2, v2, v70
	v_not_b32_e32 v70, v72
	v_ashrrev_i32_e32 v68, 31, v68
	v_xor_b32_e32 v73, s17, v73
	v_cmp_gt_i32_e64 s17, 0, v72
	v_and_b32_e32 v2, v2, v71
	v_ashrrev_i32_e32 v70, 31, v70
	v_xor_b32_e32 v68, vcc_lo, v68
	v_mad_u32_u24 v69, v69, 9, v158
	s_delay_alu instid0(VALU_DEP_4) | instskip(NEXT) | instid1(VALU_DEP_4)
	v_and_b32_e32 v2, v2, v73
	v_xor_b32_e32 v70, s17, v70
	s_delay_alu instid0(VALU_DEP_3) | instskip(NEXT) | instid1(VALU_DEP_3)
	v_lshl_add_u32 v178, v69, 2, 0x420
	v_and_b32_e32 v2, v2, v68
	s_delay_alu instid0(VALU_DEP_1) | instskip(NEXT) | instid1(VALU_DEP_1)
	v_and_b32_e32 v68, v2, v70
	v_mbcnt_lo_u32_b32 v2, v68, 0
	v_cmp_ne_u32_e64 s17, 0, v68
	s_delay_alu instid0(VALU_DEP_2) | instskip(NEXT) | instid1(VALU_DEP_2)
	v_cmp_eq_u32_e32 vcc_lo, 0, v2
	s_and_b32 s18, s17, vcc_lo
	s_delay_alu instid0(SALU_CYCLE_1)
	s_and_saveexec_b32 s17, s18
	s_cbranch_execz .LBB741_438
; %bb.437:                              ;   in Loop: Header=BB741_400 Depth=2
	v_bcnt_u32_b32 v68, v68, 0
	ds_store_b32 v178, v68
.LBB741_438:                            ;   in Loop: Header=BB741_400 Depth=2
	s_or_b32 exec_lo, exec_lo, s17
	v_xor_b32_e32 v39, 0x7fffffff, v39
	v_not_b32_e32 v38, v38
	; wave barrier
	s_delay_alu instid0(VALU_DEP_1) | instskip(NEXT) | instid1(VALU_DEP_1)
	v_lshrrev_b64 v[68:69], s41, v[38:39]
	v_and_b32_e32 v68, s43, v68
	s_delay_alu instid0(VALU_DEP_1)
	v_and_b32_e32 v69, 1, v68
	v_lshlrev_b32_e32 v70, 30, v68
	v_lshlrev_b32_e32 v71, 29, v68
	;; [unrolled: 1-line block ×4, first 2 shown]
	v_add_co_u32 v69, s17, v69, -1
	s_delay_alu instid0(VALU_DEP_1)
	v_cndmask_b32_e64 v73, 0, 1, s17
	v_not_b32_e32 v180, v70
	v_cmp_gt_i32_e64 s17, 0, v70
	v_not_b32_e32 v70, v71
	v_lshlrev_b32_e32 v75, 26, v68
	v_cmp_ne_u32_e32 vcc_lo, 0, v73
	v_ashrrev_i32_e32 v180, 31, v180
	v_lshlrev_b32_e32 v179, 25, v68
	v_ashrrev_i32_e32 v70, 31, v70
	v_lshlrev_b32_e32 v73, 24, v68
	v_xor_b32_e32 v69, vcc_lo, v69
	v_cmp_gt_i32_e32 vcc_lo, 0, v71
	v_not_b32_e32 v71, v72
	v_xor_b32_e32 v180, s17, v180
	v_cmp_gt_i32_e64 s17, 0, v72
	v_and_b32_e32 v69, exec_lo, v69
	v_not_b32_e32 v72, v74
	v_ashrrev_i32_e32 v71, 31, v71
	v_xor_b32_e32 v70, vcc_lo, v70
	v_cmp_gt_i32_e32 vcc_lo, 0, v74
	v_and_b32_e32 v69, v69, v180
	v_not_b32_e32 v74, v75
	v_ashrrev_i32_e32 v72, 31, v72
	v_xor_b32_e32 v71, s17, v71
	v_cmp_gt_i32_e64 s17, 0, v75
	v_and_b32_e32 v69, v69, v70
	v_not_b32_e32 v70, v179
	v_ashrrev_i32_e32 v74, 31, v74
	v_xor_b32_e32 v72, vcc_lo, v72
	v_cmp_gt_i32_e32 vcc_lo, 0, v179
	v_and_b32_e32 v69, v69, v71
	v_not_b32_e32 v71, v73
	v_ashrrev_i32_e32 v70, 31, v70
	v_xor_b32_e32 v74, s17, v74
	v_mul_u32_u24_e32 v68, 9, v68
	v_and_b32_e32 v69, v69, v72
	v_cmp_gt_i32_e64 s17, 0, v73
	v_ashrrev_i32_e32 v71, 31, v71
	v_xor_b32_e32 v70, vcc_lo, v70
	v_add_lshl_u32 v72, v68, v158, 2
	v_and_b32_e32 v69, v69, v74
	s_delay_alu instid0(VALU_DEP_4) | instskip(SKIP_3) | instid1(VALU_DEP_2)
	v_xor_b32_e32 v68, s17, v71
	ds_load_b32 v179, v72 offset:1056
	v_and_b32_e32 v69, v69, v70
	v_add_nc_u32_e32 v181, 0x420, v72
	; wave barrier
	v_and_b32_e32 v68, v69, v68
	s_delay_alu instid0(VALU_DEP_1) | instskip(SKIP_1) | instid1(VALU_DEP_2)
	v_mbcnt_lo_u32_b32 v180, v68, 0
	v_cmp_ne_u32_e64 s17, 0, v68
	v_cmp_eq_u32_e32 vcc_lo, 0, v180
	s_delay_alu instid0(VALU_DEP_2) | instskip(NEXT) | instid1(SALU_CYCLE_1)
	s_and_b32 s18, s17, vcc_lo
	s_and_saveexec_b32 s17, s18
	s_cbranch_execz .LBB741_440
; %bb.439:                              ;   in Loop: Header=BB741_400 Depth=2
	s_waitcnt lgkmcnt(0)
	v_bcnt_u32_b32 v68, v68, v179
	ds_store_b32 v181, v68
.LBB741_440:                            ;   in Loop: Header=BB741_400 Depth=2
	s_or_b32 exec_lo, exec_lo, s17
	v_xor_b32_e32 v45, 0x7fffffff, v45
	v_not_b32_e32 v44, v44
	; wave barrier
	s_delay_alu instid0(VALU_DEP_1) | instskip(NEXT) | instid1(VALU_DEP_1)
	v_lshrrev_b64 v[68:69], s41, v[44:45]
	v_and_b32_e32 v68, s43, v68
	s_delay_alu instid0(VALU_DEP_1)
	v_and_b32_e32 v69, 1, v68
	v_lshlrev_b32_e32 v70, 30, v68
	v_lshlrev_b32_e32 v71, 29, v68
	;; [unrolled: 1-line block ×4, first 2 shown]
	v_add_co_u32 v69, s17, v69, -1
	s_delay_alu instid0(VALU_DEP_1)
	v_cndmask_b32_e64 v73, 0, 1, s17
	v_not_b32_e32 v183, v70
	v_cmp_gt_i32_e64 s17, 0, v70
	v_not_b32_e32 v70, v71
	v_lshlrev_b32_e32 v75, 26, v68
	v_cmp_ne_u32_e32 vcc_lo, 0, v73
	v_ashrrev_i32_e32 v183, 31, v183
	v_lshlrev_b32_e32 v182, 25, v68
	v_ashrrev_i32_e32 v70, 31, v70
	v_lshlrev_b32_e32 v73, 24, v68
	v_xor_b32_e32 v69, vcc_lo, v69
	v_cmp_gt_i32_e32 vcc_lo, 0, v71
	v_not_b32_e32 v71, v72
	v_xor_b32_e32 v183, s17, v183
	v_cmp_gt_i32_e64 s17, 0, v72
	v_and_b32_e32 v69, exec_lo, v69
	v_not_b32_e32 v72, v74
	v_ashrrev_i32_e32 v71, 31, v71
	v_xor_b32_e32 v70, vcc_lo, v70
	v_cmp_gt_i32_e32 vcc_lo, 0, v74
	v_and_b32_e32 v69, v69, v183
	v_not_b32_e32 v74, v75
	v_ashrrev_i32_e32 v72, 31, v72
	v_xor_b32_e32 v71, s17, v71
	v_cmp_gt_i32_e64 s17, 0, v75
	v_and_b32_e32 v69, v69, v70
	v_not_b32_e32 v70, v182
	v_ashrrev_i32_e32 v74, 31, v74
	v_xor_b32_e32 v72, vcc_lo, v72
	v_cmp_gt_i32_e32 vcc_lo, 0, v182
	v_and_b32_e32 v69, v69, v71
	v_not_b32_e32 v71, v73
	v_ashrrev_i32_e32 v70, 31, v70
	v_xor_b32_e32 v74, s17, v74
	v_mul_u32_u24_e32 v68, 9, v68
	v_and_b32_e32 v69, v69, v72
	v_cmp_gt_i32_e64 s17, 0, v73
	v_ashrrev_i32_e32 v71, 31, v71
	v_xor_b32_e32 v70, vcc_lo, v70
	v_add_lshl_u32 v72, v68, v158, 2
	v_and_b32_e32 v69, v69, v74
	s_delay_alu instid0(VALU_DEP_4) | instskip(SKIP_3) | instid1(VALU_DEP_2)
	v_xor_b32_e32 v68, s17, v71
	ds_load_b32 v182, v72 offset:1056
	v_and_b32_e32 v69, v69, v70
	v_add_nc_u32_e32 v184, 0x420, v72
	; wave barrier
	v_and_b32_e32 v68, v69, v68
	s_delay_alu instid0(VALU_DEP_1) | instskip(SKIP_1) | instid1(VALU_DEP_2)
	v_mbcnt_lo_u32_b32 v183, v68, 0
	v_cmp_ne_u32_e64 s17, 0, v68
	v_cmp_eq_u32_e32 vcc_lo, 0, v183
	s_delay_alu instid0(VALU_DEP_2) | instskip(NEXT) | instid1(SALU_CYCLE_1)
	s_and_b32 s18, s17, vcc_lo
	s_and_saveexec_b32 s17, s18
	s_cbranch_execz .LBB741_442
; %bb.441:                              ;   in Loop: Header=BB741_400 Depth=2
	s_waitcnt lgkmcnt(0)
	v_bcnt_u32_b32 v68, v68, v182
	ds_store_b32 v184, v68
.LBB741_442:                            ;   in Loop: Header=BB741_400 Depth=2
	s_or_b32 exec_lo, exec_lo, s17
	v_xor_b32_e32 v49, 0x7fffffff, v49
	v_not_b32_e32 v48, v48
	; wave barrier
	s_delay_alu instid0(VALU_DEP_1) | instskip(NEXT) | instid1(VALU_DEP_1)
	v_lshrrev_b64 v[68:69], s41, v[48:49]
	v_and_b32_e32 v68, s43, v68
	s_delay_alu instid0(VALU_DEP_1)
	v_and_b32_e32 v69, 1, v68
	v_lshlrev_b32_e32 v70, 30, v68
	v_lshlrev_b32_e32 v71, 29, v68
	;; [unrolled: 1-line block ×4, first 2 shown]
	v_add_co_u32 v69, s17, v69, -1
	s_delay_alu instid0(VALU_DEP_1)
	v_cndmask_b32_e64 v73, 0, 1, s17
	v_not_b32_e32 v186, v70
	v_cmp_gt_i32_e64 s17, 0, v70
	v_not_b32_e32 v70, v71
	v_lshlrev_b32_e32 v75, 26, v68
	v_cmp_ne_u32_e32 vcc_lo, 0, v73
	v_ashrrev_i32_e32 v186, 31, v186
	v_lshlrev_b32_e32 v185, 25, v68
	v_ashrrev_i32_e32 v70, 31, v70
	v_lshlrev_b32_e32 v73, 24, v68
	v_xor_b32_e32 v69, vcc_lo, v69
	v_cmp_gt_i32_e32 vcc_lo, 0, v71
	v_not_b32_e32 v71, v72
	v_xor_b32_e32 v186, s17, v186
	v_cmp_gt_i32_e64 s17, 0, v72
	v_and_b32_e32 v69, exec_lo, v69
	v_not_b32_e32 v72, v74
	v_ashrrev_i32_e32 v71, 31, v71
	v_xor_b32_e32 v70, vcc_lo, v70
	v_cmp_gt_i32_e32 vcc_lo, 0, v74
	v_and_b32_e32 v69, v69, v186
	v_not_b32_e32 v74, v75
	v_ashrrev_i32_e32 v72, 31, v72
	v_xor_b32_e32 v71, s17, v71
	v_cmp_gt_i32_e64 s17, 0, v75
	v_and_b32_e32 v69, v69, v70
	v_not_b32_e32 v70, v185
	v_ashrrev_i32_e32 v74, 31, v74
	v_xor_b32_e32 v72, vcc_lo, v72
	v_cmp_gt_i32_e32 vcc_lo, 0, v185
	v_and_b32_e32 v69, v69, v71
	v_not_b32_e32 v71, v73
	v_ashrrev_i32_e32 v70, 31, v70
	v_xor_b32_e32 v74, s17, v74
	v_mul_u32_u24_e32 v68, 9, v68
	v_and_b32_e32 v69, v69, v72
	v_cmp_gt_i32_e64 s17, 0, v73
	v_ashrrev_i32_e32 v71, 31, v71
	v_xor_b32_e32 v70, vcc_lo, v70
	v_add_lshl_u32 v72, v68, v158, 2
	v_and_b32_e32 v69, v69, v74
	s_delay_alu instid0(VALU_DEP_4) | instskip(SKIP_3) | instid1(VALU_DEP_2)
	v_xor_b32_e32 v68, s17, v71
	ds_load_b32 v185, v72 offset:1056
	v_and_b32_e32 v69, v69, v70
	v_add_nc_u32_e32 v187, 0x420, v72
	; wave barrier
	v_and_b32_e32 v68, v69, v68
	s_delay_alu instid0(VALU_DEP_1) | instskip(SKIP_1) | instid1(VALU_DEP_2)
	v_mbcnt_lo_u32_b32 v186, v68, 0
	v_cmp_ne_u32_e64 s17, 0, v68
	v_cmp_eq_u32_e32 vcc_lo, 0, v186
	s_delay_alu instid0(VALU_DEP_2) | instskip(NEXT) | instid1(SALU_CYCLE_1)
	s_and_b32 s18, s17, vcc_lo
	s_and_saveexec_b32 s17, s18
	s_cbranch_execz .LBB741_444
; %bb.443:                              ;   in Loop: Header=BB741_400 Depth=2
	s_waitcnt lgkmcnt(0)
	v_bcnt_u32_b32 v68, v68, v185
	ds_store_b32 v187, v68
.LBB741_444:                            ;   in Loop: Header=BB741_400 Depth=2
	s_or_b32 exec_lo, exec_lo, s17
	v_xor_b32_e32 v55, 0x7fffffff, v55
	v_not_b32_e32 v54, v54
	; wave barrier
	s_delay_alu instid0(VALU_DEP_1) | instskip(NEXT) | instid1(VALU_DEP_1)
	v_lshrrev_b64 v[68:69], s41, v[54:55]
	v_and_b32_e32 v68, s43, v68
	s_delay_alu instid0(VALU_DEP_1)
	v_and_b32_e32 v69, 1, v68
	v_lshlrev_b32_e32 v70, 30, v68
	v_lshlrev_b32_e32 v71, 29, v68
	;; [unrolled: 1-line block ×4, first 2 shown]
	v_add_co_u32 v69, s17, v69, -1
	s_delay_alu instid0(VALU_DEP_1)
	v_cndmask_b32_e64 v73, 0, 1, s17
	v_not_b32_e32 v189, v70
	v_cmp_gt_i32_e64 s17, 0, v70
	v_not_b32_e32 v70, v71
	v_lshlrev_b32_e32 v75, 26, v68
	v_cmp_ne_u32_e32 vcc_lo, 0, v73
	v_ashrrev_i32_e32 v189, 31, v189
	v_lshlrev_b32_e32 v188, 25, v68
	v_ashrrev_i32_e32 v70, 31, v70
	v_lshlrev_b32_e32 v73, 24, v68
	v_xor_b32_e32 v69, vcc_lo, v69
	v_cmp_gt_i32_e32 vcc_lo, 0, v71
	v_not_b32_e32 v71, v72
	v_xor_b32_e32 v189, s17, v189
	v_cmp_gt_i32_e64 s17, 0, v72
	v_and_b32_e32 v69, exec_lo, v69
	v_not_b32_e32 v72, v74
	v_ashrrev_i32_e32 v71, 31, v71
	v_xor_b32_e32 v70, vcc_lo, v70
	v_cmp_gt_i32_e32 vcc_lo, 0, v74
	v_and_b32_e32 v69, v69, v189
	v_not_b32_e32 v74, v75
	v_ashrrev_i32_e32 v72, 31, v72
	v_xor_b32_e32 v71, s17, v71
	v_cmp_gt_i32_e64 s17, 0, v75
	v_and_b32_e32 v69, v69, v70
	v_not_b32_e32 v70, v188
	v_ashrrev_i32_e32 v74, 31, v74
	v_xor_b32_e32 v72, vcc_lo, v72
	v_cmp_gt_i32_e32 vcc_lo, 0, v188
	v_and_b32_e32 v69, v69, v71
	v_not_b32_e32 v71, v73
	v_ashrrev_i32_e32 v70, 31, v70
	v_xor_b32_e32 v74, s17, v74
	v_mul_u32_u24_e32 v68, 9, v68
	v_and_b32_e32 v69, v69, v72
	v_cmp_gt_i32_e64 s17, 0, v73
	v_ashrrev_i32_e32 v71, 31, v71
	v_xor_b32_e32 v70, vcc_lo, v70
	v_add_lshl_u32 v72, v68, v158, 2
	v_and_b32_e32 v69, v69, v74
	s_delay_alu instid0(VALU_DEP_4) | instskip(SKIP_3) | instid1(VALU_DEP_2)
	v_xor_b32_e32 v68, s17, v71
	ds_load_b32 v188, v72 offset:1056
	v_and_b32_e32 v69, v69, v70
	v_add_nc_u32_e32 v190, 0x420, v72
	; wave barrier
	v_and_b32_e32 v68, v69, v68
	s_delay_alu instid0(VALU_DEP_1) | instskip(SKIP_1) | instid1(VALU_DEP_2)
	v_mbcnt_lo_u32_b32 v189, v68, 0
	v_cmp_ne_u32_e64 s17, 0, v68
	v_cmp_eq_u32_e32 vcc_lo, 0, v189
	s_delay_alu instid0(VALU_DEP_2) | instskip(NEXT) | instid1(SALU_CYCLE_1)
	s_and_b32 s18, s17, vcc_lo
	s_and_saveexec_b32 s17, s18
	s_cbranch_execz .LBB741_446
; %bb.445:                              ;   in Loop: Header=BB741_400 Depth=2
	s_waitcnt lgkmcnt(0)
	v_bcnt_u32_b32 v68, v68, v188
	ds_store_b32 v190, v68
.LBB741_446:                            ;   in Loop: Header=BB741_400 Depth=2
	s_or_b32 exec_lo, exec_lo, s17
	v_xor_b32_e32 v59, 0x7fffffff, v59
	v_not_b32_e32 v58, v58
	; wave barrier
	s_delay_alu instid0(VALU_DEP_1) | instskip(NEXT) | instid1(VALU_DEP_1)
	v_lshrrev_b64 v[68:69], s41, v[58:59]
	v_and_b32_e32 v68, s43, v68
	s_delay_alu instid0(VALU_DEP_1)
	v_and_b32_e32 v69, 1, v68
	v_lshlrev_b32_e32 v70, 30, v68
	v_lshlrev_b32_e32 v71, 29, v68
	;; [unrolled: 1-line block ×4, first 2 shown]
	v_add_co_u32 v69, s17, v69, -1
	s_delay_alu instid0(VALU_DEP_1)
	v_cndmask_b32_e64 v73, 0, 1, s17
	v_not_b32_e32 v192, v70
	v_cmp_gt_i32_e64 s17, 0, v70
	v_not_b32_e32 v70, v71
	v_lshlrev_b32_e32 v75, 26, v68
	v_cmp_ne_u32_e32 vcc_lo, 0, v73
	v_ashrrev_i32_e32 v192, 31, v192
	v_lshlrev_b32_e32 v191, 25, v68
	v_ashrrev_i32_e32 v70, 31, v70
	v_lshlrev_b32_e32 v73, 24, v68
	v_xor_b32_e32 v69, vcc_lo, v69
	v_cmp_gt_i32_e32 vcc_lo, 0, v71
	v_not_b32_e32 v71, v72
	v_xor_b32_e32 v192, s17, v192
	v_cmp_gt_i32_e64 s17, 0, v72
	v_and_b32_e32 v69, exec_lo, v69
	v_not_b32_e32 v72, v74
	v_ashrrev_i32_e32 v71, 31, v71
	v_xor_b32_e32 v70, vcc_lo, v70
	v_cmp_gt_i32_e32 vcc_lo, 0, v74
	v_and_b32_e32 v69, v69, v192
	v_not_b32_e32 v74, v75
	v_ashrrev_i32_e32 v72, 31, v72
	v_xor_b32_e32 v71, s17, v71
	v_cmp_gt_i32_e64 s17, 0, v75
	v_and_b32_e32 v69, v69, v70
	v_not_b32_e32 v70, v191
	v_ashrrev_i32_e32 v74, 31, v74
	v_xor_b32_e32 v72, vcc_lo, v72
	v_cmp_gt_i32_e32 vcc_lo, 0, v191
	v_and_b32_e32 v69, v69, v71
	v_not_b32_e32 v71, v73
	v_ashrrev_i32_e32 v70, 31, v70
	v_xor_b32_e32 v74, s17, v74
	v_mul_u32_u24_e32 v68, 9, v68
	v_and_b32_e32 v69, v69, v72
	v_cmp_gt_i32_e64 s17, 0, v73
	v_ashrrev_i32_e32 v71, 31, v71
	v_xor_b32_e32 v70, vcc_lo, v70
	v_add_lshl_u32 v72, v68, v158, 2
	v_and_b32_e32 v69, v69, v74
	s_delay_alu instid0(VALU_DEP_4) | instskip(SKIP_3) | instid1(VALU_DEP_2)
	v_xor_b32_e32 v68, s17, v71
	ds_load_b32 v191, v72 offset:1056
	v_and_b32_e32 v69, v69, v70
	v_add_nc_u32_e32 v193, 0x420, v72
	; wave barrier
	v_and_b32_e32 v68, v69, v68
	s_delay_alu instid0(VALU_DEP_1) | instskip(SKIP_1) | instid1(VALU_DEP_2)
	v_mbcnt_lo_u32_b32 v192, v68, 0
	v_cmp_ne_u32_e64 s17, 0, v68
	v_cmp_eq_u32_e32 vcc_lo, 0, v192
	s_delay_alu instid0(VALU_DEP_2) | instskip(NEXT) | instid1(SALU_CYCLE_1)
	s_and_b32 s18, s17, vcc_lo
	s_and_saveexec_b32 s17, s18
	s_cbranch_execz .LBB741_448
; %bb.447:                              ;   in Loop: Header=BB741_400 Depth=2
	s_waitcnt lgkmcnt(0)
	v_bcnt_u32_b32 v68, v68, v191
	ds_store_b32 v193, v68
.LBB741_448:                            ;   in Loop: Header=BB741_400 Depth=2
	s_or_b32 exec_lo, exec_lo, s17
	v_xor_b32_e32 v63, 0x7fffffff, v63
	v_not_b32_e32 v62, v62
	; wave barrier
	s_delay_alu instid0(VALU_DEP_1) | instskip(NEXT) | instid1(VALU_DEP_1)
	v_lshrrev_b64 v[68:69], s41, v[62:63]
	v_and_b32_e32 v68, s43, v68
	s_delay_alu instid0(VALU_DEP_1)
	v_and_b32_e32 v69, 1, v68
	v_lshlrev_b32_e32 v70, 30, v68
	v_lshlrev_b32_e32 v71, 29, v68
	;; [unrolled: 1-line block ×4, first 2 shown]
	v_add_co_u32 v69, s17, v69, -1
	s_delay_alu instid0(VALU_DEP_1)
	v_cndmask_b32_e64 v73, 0, 1, s17
	v_not_b32_e32 v195, v70
	v_cmp_gt_i32_e64 s17, 0, v70
	v_not_b32_e32 v70, v71
	v_lshlrev_b32_e32 v75, 26, v68
	v_cmp_ne_u32_e32 vcc_lo, 0, v73
	v_ashrrev_i32_e32 v195, 31, v195
	v_lshlrev_b32_e32 v194, 25, v68
	v_ashrrev_i32_e32 v70, 31, v70
	v_lshlrev_b32_e32 v73, 24, v68
	v_xor_b32_e32 v69, vcc_lo, v69
	v_cmp_gt_i32_e32 vcc_lo, 0, v71
	v_not_b32_e32 v71, v72
	v_xor_b32_e32 v195, s17, v195
	v_cmp_gt_i32_e64 s17, 0, v72
	v_and_b32_e32 v69, exec_lo, v69
	v_not_b32_e32 v72, v74
	v_ashrrev_i32_e32 v71, 31, v71
	v_xor_b32_e32 v70, vcc_lo, v70
	v_cmp_gt_i32_e32 vcc_lo, 0, v74
	v_and_b32_e32 v69, v69, v195
	v_not_b32_e32 v74, v75
	v_ashrrev_i32_e32 v72, 31, v72
	v_xor_b32_e32 v71, s17, v71
	v_cmp_gt_i32_e64 s17, 0, v75
	v_and_b32_e32 v69, v69, v70
	v_not_b32_e32 v70, v194
	v_ashrrev_i32_e32 v74, 31, v74
	v_xor_b32_e32 v72, vcc_lo, v72
	v_cmp_gt_i32_e32 vcc_lo, 0, v194
	v_and_b32_e32 v69, v69, v71
	v_not_b32_e32 v71, v73
	v_ashrrev_i32_e32 v70, 31, v70
	v_xor_b32_e32 v74, s17, v74
	v_mul_u32_u24_e32 v68, 9, v68
	v_and_b32_e32 v69, v69, v72
	v_cmp_gt_i32_e64 s17, 0, v73
	v_ashrrev_i32_e32 v71, 31, v71
	v_xor_b32_e32 v70, vcc_lo, v70
	v_add_lshl_u32 v72, v68, v158, 2
	v_and_b32_e32 v69, v69, v74
	s_delay_alu instid0(VALU_DEP_4) | instskip(SKIP_3) | instid1(VALU_DEP_2)
	v_xor_b32_e32 v68, s17, v71
	ds_load_b32 v194, v72 offset:1056
	v_and_b32_e32 v69, v69, v70
	v_add_nc_u32_e32 v196, 0x420, v72
	; wave barrier
	v_and_b32_e32 v68, v69, v68
	s_delay_alu instid0(VALU_DEP_1) | instskip(SKIP_1) | instid1(VALU_DEP_2)
	v_mbcnt_lo_u32_b32 v195, v68, 0
	v_cmp_ne_u32_e64 s17, 0, v68
	v_cmp_eq_u32_e32 vcc_lo, 0, v195
	s_delay_alu instid0(VALU_DEP_2) | instskip(NEXT) | instid1(SALU_CYCLE_1)
	s_and_b32 s18, s17, vcc_lo
	s_and_saveexec_b32 s17, s18
	s_cbranch_execz .LBB741_450
; %bb.449:                              ;   in Loop: Header=BB741_400 Depth=2
	s_waitcnt lgkmcnt(0)
	v_bcnt_u32_b32 v68, v68, v194
	ds_store_b32 v196, v68
.LBB741_450:                            ;   in Loop: Header=BB741_400 Depth=2
	s_or_b32 exec_lo, exec_lo, s17
	v_xor_b32_e32 v67, 0x7fffffff, v67
	v_not_b32_e32 v66, v66
	; wave barrier
	s_delay_alu instid0(VALU_DEP_1) | instskip(NEXT) | instid1(VALU_DEP_1)
	v_lshrrev_b64 v[68:69], s41, v[66:67]
	v_and_b32_e32 v68, s43, v68
	s_delay_alu instid0(VALU_DEP_1)
	v_and_b32_e32 v69, 1, v68
	v_lshlrev_b32_e32 v70, 30, v68
	v_lshlrev_b32_e32 v71, 29, v68
	;; [unrolled: 1-line block ×4, first 2 shown]
	v_add_co_u32 v69, s17, v69, -1
	s_delay_alu instid0(VALU_DEP_1)
	v_cndmask_b32_e64 v73, 0, 1, s17
	v_not_b32_e32 v198, v70
	v_cmp_gt_i32_e64 s17, 0, v70
	v_not_b32_e32 v70, v71
	v_lshlrev_b32_e32 v75, 26, v68
	v_cmp_ne_u32_e32 vcc_lo, 0, v73
	v_ashrrev_i32_e32 v198, 31, v198
	v_lshlrev_b32_e32 v197, 25, v68
	v_ashrrev_i32_e32 v70, 31, v70
	v_lshlrev_b32_e32 v73, 24, v68
	v_xor_b32_e32 v69, vcc_lo, v69
	v_cmp_gt_i32_e32 vcc_lo, 0, v71
	v_not_b32_e32 v71, v72
	v_xor_b32_e32 v198, s17, v198
	v_cmp_gt_i32_e64 s17, 0, v72
	v_and_b32_e32 v69, exec_lo, v69
	v_not_b32_e32 v72, v74
	v_ashrrev_i32_e32 v71, 31, v71
	v_xor_b32_e32 v70, vcc_lo, v70
	v_cmp_gt_i32_e32 vcc_lo, 0, v74
	v_and_b32_e32 v69, v69, v198
	v_not_b32_e32 v74, v75
	v_ashrrev_i32_e32 v72, 31, v72
	v_xor_b32_e32 v71, s17, v71
	v_cmp_gt_i32_e64 s17, 0, v75
	v_and_b32_e32 v69, v69, v70
	v_not_b32_e32 v70, v197
	v_ashrrev_i32_e32 v74, 31, v74
	v_xor_b32_e32 v72, vcc_lo, v72
	v_cmp_gt_i32_e32 vcc_lo, 0, v197
	v_and_b32_e32 v69, v69, v71
	v_not_b32_e32 v71, v73
	v_ashrrev_i32_e32 v70, 31, v70
	v_xor_b32_e32 v74, s17, v74
	v_mul_u32_u24_e32 v68, 9, v68
	v_and_b32_e32 v69, v69, v72
	v_cmp_gt_i32_e64 s17, 0, v73
	v_ashrrev_i32_e32 v71, 31, v71
	v_xor_b32_e32 v70, vcc_lo, v70
	v_add_lshl_u32 v72, v68, v158, 2
	v_and_b32_e32 v69, v69, v74
	s_delay_alu instid0(VALU_DEP_4) | instskip(SKIP_3) | instid1(VALU_DEP_2)
	v_xor_b32_e32 v68, s17, v71
	ds_load_b32 v197, v72 offset:1056
	v_and_b32_e32 v69, v69, v70
	v_add_nc_u32_e32 v199, 0x420, v72
	; wave barrier
	v_and_b32_e32 v68, v69, v68
	s_delay_alu instid0(VALU_DEP_1) | instskip(SKIP_1) | instid1(VALU_DEP_2)
	v_mbcnt_lo_u32_b32 v198, v68, 0
	v_cmp_ne_u32_e64 s17, 0, v68
	v_cmp_eq_u32_e32 vcc_lo, 0, v198
	s_delay_alu instid0(VALU_DEP_2) | instskip(NEXT) | instid1(SALU_CYCLE_1)
	s_and_b32 s18, s17, vcc_lo
	s_and_saveexec_b32 s17, s18
	s_cbranch_execz .LBB741_452
; %bb.451:                              ;   in Loop: Header=BB741_400 Depth=2
	s_waitcnt lgkmcnt(0)
	v_bcnt_u32_b32 v68, v68, v197
	ds_store_b32 v199, v68
.LBB741_452:                            ;   in Loop: Header=BB741_400 Depth=2
	s_or_b32 exec_lo, exec_lo, s17
	v_xor_b32_e32 v65, 0x7fffffff, v65
	v_not_b32_e32 v64, v64
	; wave barrier
	s_delay_alu instid0(VALU_DEP_1) | instskip(NEXT) | instid1(VALU_DEP_1)
	v_lshrrev_b64 v[68:69], s41, v[64:65]
	v_and_b32_e32 v68, s43, v68
	s_delay_alu instid0(VALU_DEP_1)
	v_and_b32_e32 v69, 1, v68
	v_lshlrev_b32_e32 v70, 30, v68
	v_lshlrev_b32_e32 v71, 29, v68
	;; [unrolled: 1-line block ×4, first 2 shown]
	v_add_co_u32 v69, s17, v69, -1
	s_delay_alu instid0(VALU_DEP_1)
	v_cndmask_b32_e64 v73, 0, 1, s17
	v_not_b32_e32 v201, v70
	v_cmp_gt_i32_e64 s17, 0, v70
	v_not_b32_e32 v70, v71
	v_lshlrev_b32_e32 v75, 26, v68
	v_cmp_ne_u32_e32 vcc_lo, 0, v73
	v_ashrrev_i32_e32 v201, 31, v201
	v_lshlrev_b32_e32 v200, 25, v68
	v_ashrrev_i32_e32 v70, 31, v70
	v_lshlrev_b32_e32 v73, 24, v68
	v_xor_b32_e32 v69, vcc_lo, v69
	v_cmp_gt_i32_e32 vcc_lo, 0, v71
	v_not_b32_e32 v71, v72
	v_xor_b32_e32 v201, s17, v201
	v_cmp_gt_i32_e64 s17, 0, v72
	v_and_b32_e32 v69, exec_lo, v69
	v_not_b32_e32 v72, v74
	v_ashrrev_i32_e32 v71, 31, v71
	v_xor_b32_e32 v70, vcc_lo, v70
	v_cmp_gt_i32_e32 vcc_lo, 0, v74
	v_and_b32_e32 v69, v69, v201
	v_not_b32_e32 v74, v75
	v_ashrrev_i32_e32 v72, 31, v72
	v_xor_b32_e32 v71, s17, v71
	v_cmp_gt_i32_e64 s17, 0, v75
	v_and_b32_e32 v69, v69, v70
	v_not_b32_e32 v70, v200
	v_ashrrev_i32_e32 v74, 31, v74
	v_xor_b32_e32 v72, vcc_lo, v72
	v_cmp_gt_i32_e32 vcc_lo, 0, v200
	v_and_b32_e32 v69, v69, v71
	v_not_b32_e32 v71, v73
	v_ashrrev_i32_e32 v70, 31, v70
	v_xor_b32_e32 v74, s17, v74
	v_mul_u32_u24_e32 v68, 9, v68
	v_and_b32_e32 v69, v69, v72
	v_cmp_gt_i32_e64 s17, 0, v73
	v_ashrrev_i32_e32 v71, 31, v71
	v_xor_b32_e32 v70, vcc_lo, v70
	v_add_lshl_u32 v72, v68, v158, 2
	v_and_b32_e32 v69, v69, v74
	s_delay_alu instid0(VALU_DEP_4) | instskip(SKIP_3) | instid1(VALU_DEP_2)
	v_xor_b32_e32 v68, s17, v71
	ds_load_b32 v200, v72 offset:1056
	v_and_b32_e32 v69, v69, v70
	v_add_nc_u32_e32 v202, 0x420, v72
	; wave barrier
	v_and_b32_e32 v68, v69, v68
	s_delay_alu instid0(VALU_DEP_1) | instskip(SKIP_1) | instid1(VALU_DEP_2)
	v_mbcnt_lo_u32_b32 v201, v68, 0
	v_cmp_ne_u32_e64 s17, 0, v68
	v_cmp_eq_u32_e32 vcc_lo, 0, v201
	s_delay_alu instid0(VALU_DEP_2) | instskip(NEXT) | instid1(SALU_CYCLE_1)
	s_and_b32 s18, s17, vcc_lo
	s_and_saveexec_b32 s17, s18
	s_cbranch_execz .LBB741_454
; %bb.453:                              ;   in Loop: Header=BB741_400 Depth=2
	s_waitcnt lgkmcnt(0)
	v_bcnt_u32_b32 v68, v68, v200
	ds_store_b32 v202, v68
.LBB741_454:                            ;   in Loop: Header=BB741_400 Depth=2
	s_or_b32 exec_lo, exec_lo, s17
	v_xor_b32_e32 v61, 0x7fffffff, v61
	v_not_b32_e32 v60, v60
	; wave barrier
	s_delay_alu instid0(VALU_DEP_1) | instskip(NEXT) | instid1(VALU_DEP_1)
	v_lshrrev_b64 v[68:69], s41, v[60:61]
	v_and_b32_e32 v68, s43, v68
	s_delay_alu instid0(VALU_DEP_1)
	v_and_b32_e32 v69, 1, v68
	v_lshlrev_b32_e32 v70, 30, v68
	v_lshlrev_b32_e32 v71, 29, v68
	;; [unrolled: 1-line block ×4, first 2 shown]
	v_add_co_u32 v69, s17, v69, -1
	s_delay_alu instid0(VALU_DEP_1)
	v_cndmask_b32_e64 v73, 0, 1, s17
	v_not_b32_e32 v204, v70
	v_cmp_gt_i32_e64 s17, 0, v70
	v_not_b32_e32 v70, v71
	v_lshlrev_b32_e32 v75, 26, v68
	v_cmp_ne_u32_e32 vcc_lo, 0, v73
	v_ashrrev_i32_e32 v204, 31, v204
	v_lshlrev_b32_e32 v203, 25, v68
	v_ashrrev_i32_e32 v70, 31, v70
	v_lshlrev_b32_e32 v73, 24, v68
	v_xor_b32_e32 v69, vcc_lo, v69
	v_cmp_gt_i32_e32 vcc_lo, 0, v71
	v_not_b32_e32 v71, v72
	v_xor_b32_e32 v204, s17, v204
	v_cmp_gt_i32_e64 s17, 0, v72
	v_and_b32_e32 v69, exec_lo, v69
	v_not_b32_e32 v72, v74
	v_ashrrev_i32_e32 v71, 31, v71
	v_xor_b32_e32 v70, vcc_lo, v70
	v_cmp_gt_i32_e32 vcc_lo, 0, v74
	v_and_b32_e32 v69, v69, v204
	v_not_b32_e32 v74, v75
	v_ashrrev_i32_e32 v72, 31, v72
	v_xor_b32_e32 v71, s17, v71
	v_cmp_gt_i32_e64 s17, 0, v75
	v_and_b32_e32 v69, v69, v70
	v_not_b32_e32 v70, v203
	v_ashrrev_i32_e32 v74, 31, v74
	v_xor_b32_e32 v72, vcc_lo, v72
	v_cmp_gt_i32_e32 vcc_lo, 0, v203
	v_and_b32_e32 v69, v69, v71
	v_not_b32_e32 v71, v73
	v_ashrrev_i32_e32 v70, 31, v70
	v_xor_b32_e32 v74, s17, v74
	v_mul_u32_u24_e32 v68, 9, v68
	v_and_b32_e32 v69, v69, v72
	v_cmp_gt_i32_e64 s17, 0, v73
	v_ashrrev_i32_e32 v71, 31, v71
	v_xor_b32_e32 v70, vcc_lo, v70
	v_add_lshl_u32 v72, v68, v158, 2
	v_and_b32_e32 v69, v69, v74
	s_delay_alu instid0(VALU_DEP_4) | instskip(SKIP_3) | instid1(VALU_DEP_2)
	v_xor_b32_e32 v68, s17, v71
	ds_load_b32 v203, v72 offset:1056
	v_and_b32_e32 v69, v69, v70
	v_add_nc_u32_e32 v205, 0x420, v72
	; wave barrier
	v_and_b32_e32 v68, v69, v68
	s_delay_alu instid0(VALU_DEP_1) | instskip(SKIP_1) | instid1(VALU_DEP_2)
	v_mbcnt_lo_u32_b32 v204, v68, 0
	v_cmp_ne_u32_e64 s17, 0, v68
	v_cmp_eq_u32_e32 vcc_lo, 0, v204
	s_delay_alu instid0(VALU_DEP_2) | instskip(NEXT) | instid1(SALU_CYCLE_1)
	s_and_b32 s18, s17, vcc_lo
	s_and_saveexec_b32 s17, s18
	s_cbranch_execz .LBB741_456
; %bb.455:                              ;   in Loop: Header=BB741_400 Depth=2
	s_waitcnt lgkmcnt(0)
	v_bcnt_u32_b32 v68, v68, v203
	ds_store_b32 v205, v68
.LBB741_456:                            ;   in Loop: Header=BB741_400 Depth=2
	s_or_b32 exec_lo, exec_lo, s17
	v_xor_b32_e32 v57, 0x7fffffff, v57
	v_not_b32_e32 v56, v56
	; wave barrier
	s_delay_alu instid0(VALU_DEP_1) | instskip(NEXT) | instid1(VALU_DEP_1)
	v_lshrrev_b64 v[68:69], s41, v[56:57]
	v_and_b32_e32 v68, s43, v68
	s_delay_alu instid0(VALU_DEP_1)
	v_and_b32_e32 v69, 1, v68
	v_lshlrev_b32_e32 v70, 30, v68
	v_lshlrev_b32_e32 v71, 29, v68
	v_lshlrev_b32_e32 v72, 28, v68
	v_lshlrev_b32_e32 v74, 27, v68
	v_add_co_u32 v69, s17, v69, -1
	s_delay_alu instid0(VALU_DEP_1)
	v_cndmask_b32_e64 v73, 0, 1, s17
	v_not_b32_e32 v207, v70
	v_cmp_gt_i32_e64 s17, 0, v70
	v_not_b32_e32 v70, v71
	v_lshlrev_b32_e32 v75, 26, v68
	v_cmp_ne_u32_e32 vcc_lo, 0, v73
	v_ashrrev_i32_e32 v207, 31, v207
	v_lshlrev_b32_e32 v206, 25, v68
	v_ashrrev_i32_e32 v70, 31, v70
	v_lshlrev_b32_e32 v73, 24, v68
	v_xor_b32_e32 v69, vcc_lo, v69
	v_cmp_gt_i32_e32 vcc_lo, 0, v71
	v_not_b32_e32 v71, v72
	v_xor_b32_e32 v207, s17, v207
	v_cmp_gt_i32_e64 s17, 0, v72
	v_and_b32_e32 v69, exec_lo, v69
	v_not_b32_e32 v72, v74
	v_ashrrev_i32_e32 v71, 31, v71
	v_xor_b32_e32 v70, vcc_lo, v70
	v_cmp_gt_i32_e32 vcc_lo, 0, v74
	v_and_b32_e32 v69, v69, v207
	v_not_b32_e32 v74, v75
	v_ashrrev_i32_e32 v72, 31, v72
	v_xor_b32_e32 v71, s17, v71
	v_cmp_gt_i32_e64 s17, 0, v75
	v_and_b32_e32 v69, v69, v70
	v_not_b32_e32 v70, v206
	v_ashrrev_i32_e32 v74, 31, v74
	v_xor_b32_e32 v72, vcc_lo, v72
	v_cmp_gt_i32_e32 vcc_lo, 0, v206
	v_and_b32_e32 v69, v69, v71
	v_not_b32_e32 v71, v73
	v_ashrrev_i32_e32 v70, 31, v70
	v_xor_b32_e32 v74, s17, v74
	v_mul_u32_u24_e32 v68, 9, v68
	v_and_b32_e32 v69, v69, v72
	v_cmp_gt_i32_e64 s17, 0, v73
	v_ashrrev_i32_e32 v71, 31, v71
	v_xor_b32_e32 v70, vcc_lo, v70
	v_add_lshl_u32 v72, v68, v158, 2
	v_and_b32_e32 v69, v69, v74
	s_delay_alu instid0(VALU_DEP_4) | instskip(SKIP_3) | instid1(VALU_DEP_2)
	v_xor_b32_e32 v68, s17, v71
	ds_load_b32 v206, v72 offset:1056
	v_and_b32_e32 v69, v69, v70
	v_add_nc_u32_e32 v208, 0x420, v72
	; wave barrier
	v_and_b32_e32 v68, v69, v68
	s_delay_alu instid0(VALU_DEP_1) | instskip(SKIP_1) | instid1(VALU_DEP_2)
	v_mbcnt_lo_u32_b32 v207, v68, 0
	v_cmp_ne_u32_e64 s17, 0, v68
	v_cmp_eq_u32_e32 vcc_lo, 0, v207
	s_delay_alu instid0(VALU_DEP_2) | instskip(NEXT) | instid1(SALU_CYCLE_1)
	s_and_b32 s18, s17, vcc_lo
	s_and_saveexec_b32 s17, s18
	s_cbranch_execz .LBB741_458
; %bb.457:                              ;   in Loop: Header=BB741_400 Depth=2
	s_waitcnt lgkmcnt(0)
	v_bcnt_u32_b32 v68, v68, v206
	ds_store_b32 v208, v68
.LBB741_458:                            ;   in Loop: Header=BB741_400 Depth=2
	s_or_b32 exec_lo, exec_lo, s17
	v_xor_b32_e32 v53, 0x7fffffff, v53
	v_not_b32_e32 v52, v52
	; wave barrier
	s_delay_alu instid0(VALU_DEP_1) | instskip(NEXT) | instid1(VALU_DEP_1)
	v_lshrrev_b64 v[68:69], s41, v[52:53]
	v_and_b32_e32 v68, s43, v68
	s_delay_alu instid0(VALU_DEP_1)
	v_and_b32_e32 v69, 1, v68
	v_lshlrev_b32_e32 v70, 30, v68
	v_lshlrev_b32_e32 v71, 29, v68
	;; [unrolled: 1-line block ×4, first 2 shown]
	v_add_co_u32 v69, s17, v69, -1
	s_delay_alu instid0(VALU_DEP_1)
	v_cndmask_b32_e64 v73, 0, 1, s17
	v_not_b32_e32 v210, v70
	v_cmp_gt_i32_e64 s17, 0, v70
	v_not_b32_e32 v70, v71
	v_lshlrev_b32_e32 v75, 26, v68
	v_cmp_ne_u32_e32 vcc_lo, 0, v73
	v_ashrrev_i32_e32 v210, 31, v210
	v_lshlrev_b32_e32 v209, 25, v68
	v_ashrrev_i32_e32 v70, 31, v70
	v_lshlrev_b32_e32 v73, 24, v68
	v_xor_b32_e32 v69, vcc_lo, v69
	v_cmp_gt_i32_e32 vcc_lo, 0, v71
	v_not_b32_e32 v71, v72
	v_xor_b32_e32 v210, s17, v210
	v_cmp_gt_i32_e64 s17, 0, v72
	v_and_b32_e32 v69, exec_lo, v69
	v_not_b32_e32 v72, v74
	v_ashrrev_i32_e32 v71, 31, v71
	v_xor_b32_e32 v70, vcc_lo, v70
	v_cmp_gt_i32_e32 vcc_lo, 0, v74
	v_and_b32_e32 v69, v69, v210
	v_not_b32_e32 v74, v75
	v_ashrrev_i32_e32 v72, 31, v72
	v_xor_b32_e32 v71, s17, v71
	v_cmp_gt_i32_e64 s17, 0, v75
	v_and_b32_e32 v69, v69, v70
	v_not_b32_e32 v70, v209
	v_ashrrev_i32_e32 v74, 31, v74
	v_xor_b32_e32 v72, vcc_lo, v72
	v_cmp_gt_i32_e32 vcc_lo, 0, v209
	v_and_b32_e32 v69, v69, v71
	v_not_b32_e32 v71, v73
	v_ashrrev_i32_e32 v70, 31, v70
	v_xor_b32_e32 v74, s17, v74
	v_mul_u32_u24_e32 v68, 9, v68
	v_and_b32_e32 v69, v69, v72
	v_cmp_gt_i32_e64 s17, 0, v73
	v_ashrrev_i32_e32 v71, 31, v71
	v_xor_b32_e32 v70, vcc_lo, v70
	v_add_lshl_u32 v72, v68, v158, 2
	v_and_b32_e32 v69, v69, v74
	s_delay_alu instid0(VALU_DEP_4) | instskip(SKIP_3) | instid1(VALU_DEP_2)
	v_xor_b32_e32 v68, s17, v71
	ds_load_b32 v209, v72 offset:1056
	v_and_b32_e32 v69, v69, v70
	v_add_nc_u32_e32 v211, 0x420, v72
	; wave barrier
	v_and_b32_e32 v68, v69, v68
	s_delay_alu instid0(VALU_DEP_1) | instskip(SKIP_1) | instid1(VALU_DEP_2)
	v_mbcnt_lo_u32_b32 v210, v68, 0
	v_cmp_ne_u32_e64 s17, 0, v68
	v_cmp_eq_u32_e32 vcc_lo, 0, v210
	s_delay_alu instid0(VALU_DEP_2) | instskip(NEXT) | instid1(SALU_CYCLE_1)
	s_and_b32 s18, s17, vcc_lo
	s_and_saveexec_b32 s17, s18
	s_cbranch_execz .LBB741_460
; %bb.459:                              ;   in Loop: Header=BB741_400 Depth=2
	s_waitcnt lgkmcnt(0)
	v_bcnt_u32_b32 v68, v68, v209
	ds_store_b32 v211, v68
.LBB741_460:                            ;   in Loop: Header=BB741_400 Depth=2
	s_or_b32 exec_lo, exec_lo, s17
	v_xor_b32_e32 v51, 0x7fffffff, v51
	v_not_b32_e32 v50, v50
	; wave barrier
	s_delay_alu instid0(VALU_DEP_1) | instskip(NEXT) | instid1(VALU_DEP_1)
	v_lshrrev_b64 v[68:69], s41, v[50:51]
	v_and_b32_e32 v68, s43, v68
	s_delay_alu instid0(VALU_DEP_1)
	v_and_b32_e32 v69, 1, v68
	v_lshlrev_b32_e32 v70, 30, v68
	v_lshlrev_b32_e32 v71, 29, v68
	;; [unrolled: 1-line block ×4, first 2 shown]
	v_add_co_u32 v69, s17, v69, -1
	s_delay_alu instid0(VALU_DEP_1)
	v_cndmask_b32_e64 v73, 0, 1, s17
	v_not_b32_e32 v213, v70
	v_cmp_gt_i32_e64 s17, 0, v70
	v_not_b32_e32 v70, v71
	v_lshlrev_b32_e32 v75, 26, v68
	v_cmp_ne_u32_e32 vcc_lo, 0, v73
	v_ashrrev_i32_e32 v213, 31, v213
	v_lshlrev_b32_e32 v212, 25, v68
	v_ashrrev_i32_e32 v70, 31, v70
	v_lshlrev_b32_e32 v73, 24, v68
	v_xor_b32_e32 v69, vcc_lo, v69
	v_cmp_gt_i32_e32 vcc_lo, 0, v71
	v_not_b32_e32 v71, v72
	v_xor_b32_e32 v213, s17, v213
	v_cmp_gt_i32_e64 s17, 0, v72
	v_and_b32_e32 v69, exec_lo, v69
	v_not_b32_e32 v72, v74
	v_ashrrev_i32_e32 v71, 31, v71
	v_xor_b32_e32 v70, vcc_lo, v70
	v_cmp_gt_i32_e32 vcc_lo, 0, v74
	v_and_b32_e32 v69, v69, v213
	v_not_b32_e32 v74, v75
	v_ashrrev_i32_e32 v72, 31, v72
	v_xor_b32_e32 v71, s17, v71
	v_cmp_gt_i32_e64 s17, 0, v75
	v_and_b32_e32 v69, v69, v70
	v_not_b32_e32 v70, v212
	v_ashrrev_i32_e32 v74, 31, v74
	v_xor_b32_e32 v72, vcc_lo, v72
	v_cmp_gt_i32_e32 vcc_lo, 0, v212
	v_and_b32_e32 v69, v69, v71
	v_not_b32_e32 v71, v73
	v_ashrrev_i32_e32 v70, 31, v70
	v_xor_b32_e32 v74, s17, v74
	v_mul_u32_u24_e32 v68, 9, v68
	v_and_b32_e32 v69, v69, v72
	v_cmp_gt_i32_e64 s17, 0, v73
	v_ashrrev_i32_e32 v71, 31, v71
	v_xor_b32_e32 v70, vcc_lo, v70
	v_add_lshl_u32 v72, v68, v158, 2
	v_and_b32_e32 v69, v69, v74
	s_delay_alu instid0(VALU_DEP_4) | instskip(SKIP_3) | instid1(VALU_DEP_2)
	v_xor_b32_e32 v68, s17, v71
	ds_load_b32 v212, v72 offset:1056
	v_and_b32_e32 v69, v69, v70
	v_add_nc_u32_e32 v214, 0x420, v72
	; wave barrier
	v_and_b32_e32 v68, v69, v68
	s_delay_alu instid0(VALU_DEP_1) | instskip(SKIP_1) | instid1(VALU_DEP_2)
	v_mbcnt_lo_u32_b32 v213, v68, 0
	v_cmp_ne_u32_e64 s17, 0, v68
	v_cmp_eq_u32_e32 vcc_lo, 0, v213
	s_delay_alu instid0(VALU_DEP_2) | instskip(NEXT) | instid1(SALU_CYCLE_1)
	s_and_b32 s18, s17, vcc_lo
	s_and_saveexec_b32 s17, s18
	s_cbranch_execz .LBB741_462
; %bb.461:                              ;   in Loop: Header=BB741_400 Depth=2
	s_waitcnt lgkmcnt(0)
	v_bcnt_u32_b32 v68, v68, v212
	ds_store_b32 v214, v68
.LBB741_462:                            ;   in Loop: Header=BB741_400 Depth=2
	s_or_b32 exec_lo, exec_lo, s17
	v_xor_b32_e32 v47, 0x7fffffff, v47
	v_not_b32_e32 v46, v46
	; wave barrier
	s_delay_alu instid0(VALU_DEP_1) | instskip(NEXT) | instid1(VALU_DEP_1)
	v_lshrrev_b64 v[68:69], s41, v[46:47]
	v_and_b32_e32 v68, s43, v68
	s_delay_alu instid0(VALU_DEP_1)
	v_and_b32_e32 v69, 1, v68
	v_lshlrev_b32_e32 v70, 30, v68
	v_lshlrev_b32_e32 v71, 29, v68
	;; [unrolled: 1-line block ×4, first 2 shown]
	v_add_co_u32 v69, s17, v69, -1
	s_delay_alu instid0(VALU_DEP_1)
	v_cndmask_b32_e64 v73, 0, 1, s17
	v_not_b32_e32 v216, v70
	v_cmp_gt_i32_e64 s17, 0, v70
	v_not_b32_e32 v70, v71
	v_lshlrev_b32_e32 v75, 26, v68
	v_cmp_ne_u32_e32 vcc_lo, 0, v73
	v_ashrrev_i32_e32 v216, 31, v216
	v_lshlrev_b32_e32 v215, 25, v68
	v_ashrrev_i32_e32 v70, 31, v70
	v_lshlrev_b32_e32 v73, 24, v68
	v_xor_b32_e32 v69, vcc_lo, v69
	v_cmp_gt_i32_e32 vcc_lo, 0, v71
	v_not_b32_e32 v71, v72
	v_xor_b32_e32 v216, s17, v216
	v_cmp_gt_i32_e64 s17, 0, v72
	v_and_b32_e32 v69, exec_lo, v69
	v_not_b32_e32 v72, v74
	v_ashrrev_i32_e32 v71, 31, v71
	v_xor_b32_e32 v70, vcc_lo, v70
	v_cmp_gt_i32_e32 vcc_lo, 0, v74
	v_and_b32_e32 v69, v69, v216
	v_not_b32_e32 v74, v75
	v_ashrrev_i32_e32 v72, 31, v72
	v_xor_b32_e32 v71, s17, v71
	v_cmp_gt_i32_e64 s17, 0, v75
	v_and_b32_e32 v69, v69, v70
	v_not_b32_e32 v70, v215
	v_ashrrev_i32_e32 v74, 31, v74
	v_xor_b32_e32 v72, vcc_lo, v72
	v_cmp_gt_i32_e32 vcc_lo, 0, v215
	v_and_b32_e32 v69, v69, v71
	v_not_b32_e32 v71, v73
	v_ashrrev_i32_e32 v70, 31, v70
	v_xor_b32_e32 v74, s17, v74
	v_mul_u32_u24_e32 v68, 9, v68
	v_and_b32_e32 v69, v69, v72
	v_cmp_gt_i32_e64 s17, 0, v73
	v_ashrrev_i32_e32 v71, 31, v71
	v_xor_b32_e32 v70, vcc_lo, v70
	v_add_lshl_u32 v72, v68, v158, 2
	v_and_b32_e32 v69, v69, v74
	s_delay_alu instid0(VALU_DEP_4) | instskip(SKIP_3) | instid1(VALU_DEP_2)
	v_xor_b32_e32 v68, s17, v71
	ds_load_b32 v215, v72 offset:1056
	v_and_b32_e32 v69, v69, v70
	v_add_nc_u32_e32 v217, 0x420, v72
	; wave barrier
	v_and_b32_e32 v68, v69, v68
	s_delay_alu instid0(VALU_DEP_1) | instskip(SKIP_1) | instid1(VALU_DEP_2)
	v_mbcnt_lo_u32_b32 v216, v68, 0
	v_cmp_ne_u32_e64 s17, 0, v68
	v_cmp_eq_u32_e32 vcc_lo, 0, v216
	s_delay_alu instid0(VALU_DEP_2) | instskip(NEXT) | instid1(SALU_CYCLE_1)
	s_and_b32 s18, s17, vcc_lo
	s_and_saveexec_b32 s17, s18
	s_cbranch_execz .LBB741_464
; %bb.463:                              ;   in Loop: Header=BB741_400 Depth=2
	s_waitcnt lgkmcnt(0)
	v_bcnt_u32_b32 v68, v68, v215
	ds_store_b32 v217, v68
.LBB741_464:                            ;   in Loop: Header=BB741_400 Depth=2
	s_or_b32 exec_lo, exec_lo, s17
	v_xor_b32_e32 v41, 0x7fffffff, v41
	v_not_b32_e32 v40, v40
	; wave barrier
	s_delay_alu instid0(VALU_DEP_1) | instskip(NEXT) | instid1(VALU_DEP_1)
	v_lshrrev_b64 v[68:69], s41, v[40:41]
	v_and_b32_e32 v68, s43, v68
	s_delay_alu instid0(VALU_DEP_1)
	v_and_b32_e32 v69, 1, v68
	v_lshlrev_b32_e32 v70, 30, v68
	v_lshlrev_b32_e32 v71, 29, v68
	;; [unrolled: 1-line block ×4, first 2 shown]
	v_add_co_u32 v69, s17, v69, -1
	s_delay_alu instid0(VALU_DEP_1)
	v_cndmask_b32_e64 v73, 0, 1, s17
	v_not_b32_e32 v219, v70
	v_cmp_gt_i32_e64 s17, 0, v70
	v_not_b32_e32 v70, v71
	v_lshlrev_b32_e32 v75, 26, v68
	v_cmp_ne_u32_e32 vcc_lo, 0, v73
	v_ashrrev_i32_e32 v219, 31, v219
	v_lshlrev_b32_e32 v218, 25, v68
	v_ashrrev_i32_e32 v70, 31, v70
	v_lshlrev_b32_e32 v73, 24, v68
	v_xor_b32_e32 v69, vcc_lo, v69
	v_cmp_gt_i32_e32 vcc_lo, 0, v71
	v_not_b32_e32 v71, v72
	v_xor_b32_e32 v219, s17, v219
	v_cmp_gt_i32_e64 s17, 0, v72
	v_and_b32_e32 v69, exec_lo, v69
	v_not_b32_e32 v72, v74
	v_ashrrev_i32_e32 v71, 31, v71
	v_xor_b32_e32 v70, vcc_lo, v70
	v_cmp_gt_i32_e32 vcc_lo, 0, v74
	v_and_b32_e32 v69, v69, v219
	v_not_b32_e32 v74, v75
	v_ashrrev_i32_e32 v72, 31, v72
	v_xor_b32_e32 v71, s17, v71
	v_cmp_gt_i32_e64 s17, 0, v75
	v_and_b32_e32 v69, v69, v70
	v_not_b32_e32 v70, v218
	v_ashrrev_i32_e32 v74, 31, v74
	v_xor_b32_e32 v72, vcc_lo, v72
	v_cmp_gt_i32_e32 vcc_lo, 0, v218
	v_and_b32_e32 v69, v69, v71
	v_not_b32_e32 v71, v73
	v_ashrrev_i32_e32 v70, 31, v70
	v_xor_b32_e32 v74, s17, v74
	v_mul_u32_u24_e32 v68, 9, v68
	v_and_b32_e32 v69, v69, v72
	v_cmp_gt_i32_e64 s17, 0, v73
	v_ashrrev_i32_e32 v71, 31, v71
	v_xor_b32_e32 v70, vcc_lo, v70
	v_add_lshl_u32 v72, v68, v158, 2
	v_and_b32_e32 v69, v69, v74
	s_delay_alu instid0(VALU_DEP_4) | instskip(SKIP_3) | instid1(VALU_DEP_2)
	v_xor_b32_e32 v68, s17, v71
	ds_load_b32 v218, v72 offset:1056
	v_and_b32_e32 v69, v69, v70
	v_add_nc_u32_e32 v220, 0x420, v72
	; wave barrier
	v_and_b32_e32 v68, v69, v68
	s_delay_alu instid0(VALU_DEP_1) | instskip(SKIP_1) | instid1(VALU_DEP_2)
	v_mbcnt_lo_u32_b32 v219, v68, 0
	v_cmp_ne_u32_e64 s17, 0, v68
	v_cmp_eq_u32_e32 vcc_lo, 0, v219
	s_delay_alu instid0(VALU_DEP_2) | instskip(NEXT) | instid1(SALU_CYCLE_1)
	s_and_b32 s18, s17, vcc_lo
	s_and_saveexec_b32 s17, s18
	s_cbranch_execz .LBB741_466
; %bb.465:                              ;   in Loop: Header=BB741_400 Depth=2
	s_waitcnt lgkmcnt(0)
	v_bcnt_u32_b32 v68, v68, v218
	ds_store_b32 v220, v68
.LBB741_466:                            ;   in Loop: Header=BB741_400 Depth=2
	s_or_b32 exec_lo, exec_lo, s17
	v_xor_b32_e32 v43, 0x7fffffff, v43
	v_not_b32_e32 v42, v42
	; wave barrier
	s_delay_alu instid0(VALU_DEP_1) | instskip(NEXT) | instid1(VALU_DEP_1)
	v_lshrrev_b64 v[68:69], s41, v[42:43]
	v_and_b32_e32 v68, s43, v68
	s_delay_alu instid0(VALU_DEP_1)
	v_and_b32_e32 v69, 1, v68
	v_lshlrev_b32_e32 v70, 30, v68
	v_lshlrev_b32_e32 v71, 29, v68
	v_lshlrev_b32_e32 v72, 28, v68
	v_lshlrev_b32_e32 v74, 27, v68
	v_add_co_u32 v69, s17, v69, -1
	s_delay_alu instid0(VALU_DEP_1)
	v_cndmask_b32_e64 v73, 0, 1, s17
	v_not_b32_e32 v222, v70
	v_cmp_gt_i32_e64 s17, 0, v70
	v_not_b32_e32 v70, v71
	v_lshlrev_b32_e32 v75, 26, v68
	v_cmp_ne_u32_e32 vcc_lo, 0, v73
	v_ashrrev_i32_e32 v222, 31, v222
	v_lshlrev_b32_e32 v221, 25, v68
	v_ashrrev_i32_e32 v70, 31, v70
	v_lshlrev_b32_e32 v73, 24, v68
	v_xor_b32_e32 v69, vcc_lo, v69
	v_cmp_gt_i32_e32 vcc_lo, 0, v71
	v_not_b32_e32 v71, v72
	v_xor_b32_e32 v222, s17, v222
	v_cmp_gt_i32_e64 s17, 0, v72
	v_and_b32_e32 v69, exec_lo, v69
	v_not_b32_e32 v72, v74
	v_ashrrev_i32_e32 v71, 31, v71
	v_xor_b32_e32 v70, vcc_lo, v70
	v_cmp_gt_i32_e32 vcc_lo, 0, v74
	v_and_b32_e32 v69, v69, v222
	v_not_b32_e32 v74, v75
	v_ashrrev_i32_e32 v72, 31, v72
	v_xor_b32_e32 v71, s17, v71
	v_cmp_gt_i32_e64 s17, 0, v75
	v_and_b32_e32 v69, v69, v70
	v_not_b32_e32 v70, v221
	v_ashrrev_i32_e32 v74, 31, v74
	v_xor_b32_e32 v72, vcc_lo, v72
	v_cmp_gt_i32_e32 vcc_lo, 0, v221
	v_and_b32_e32 v69, v69, v71
	v_not_b32_e32 v71, v73
	v_ashrrev_i32_e32 v70, 31, v70
	v_xor_b32_e32 v74, s17, v74
	v_mul_u32_u24_e32 v68, 9, v68
	v_and_b32_e32 v69, v69, v72
	v_cmp_gt_i32_e64 s17, 0, v73
	v_ashrrev_i32_e32 v71, 31, v71
	v_xor_b32_e32 v70, vcc_lo, v70
	v_add_lshl_u32 v72, v68, v158, 2
	v_and_b32_e32 v69, v69, v74
	s_delay_alu instid0(VALU_DEP_4) | instskip(SKIP_3) | instid1(VALU_DEP_2)
	v_xor_b32_e32 v68, s17, v71
	ds_load_b32 v221, v72 offset:1056
	v_and_b32_e32 v69, v69, v70
	v_add_nc_u32_e32 v223, 0x420, v72
	; wave barrier
	v_and_b32_e32 v68, v69, v68
	s_delay_alu instid0(VALU_DEP_1) | instskip(SKIP_1) | instid1(VALU_DEP_2)
	v_mbcnt_lo_u32_b32 v222, v68, 0
	v_cmp_ne_u32_e64 s17, 0, v68
	v_cmp_eq_u32_e32 vcc_lo, 0, v222
	s_delay_alu instid0(VALU_DEP_2) | instskip(NEXT) | instid1(SALU_CYCLE_1)
	s_and_b32 s18, s17, vcc_lo
	s_and_saveexec_b32 s17, s18
	s_cbranch_execz .LBB741_468
; %bb.467:                              ;   in Loop: Header=BB741_400 Depth=2
	s_waitcnt lgkmcnt(0)
	v_bcnt_u32_b32 v68, v68, v221
	ds_store_b32 v223, v68
.LBB741_468:                            ;   in Loop: Header=BB741_400 Depth=2
	s_or_b32 exec_lo, exec_lo, s17
	; wave barrier
	s_waitcnt lgkmcnt(0)
	s_barrier
	buffer_gl0_inv
	ds_load_b32 v224, v102 offset:1056
	ds_load_2addr_b32 v[74:75], v103 offset0:1 offset1:2
	ds_load_2addr_b32 v[72:73], v103 offset0:3 offset1:4
	;; [unrolled: 1-line block ×4, first 2 shown]
	s_waitcnt lgkmcnt(3)
	v_add3_u32 v225, v74, v224, v75
	s_waitcnt lgkmcnt(2)
	s_delay_alu instid0(VALU_DEP_1) | instskip(SKIP_1) | instid1(VALU_DEP_1)
	v_add3_u32 v225, v225, v72, v73
	s_waitcnt lgkmcnt(1)
	v_add3_u32 v225, v225, v68, v69
	s_waitcnt lgkmcnt(0)
	s_delay_alu instid0(VALU_DEP_1) | instskip(NEXT) | instid1(VALU_DEP_1)
	v_add3_u32 v71, v225, v70, v71
	v_mov_b32_dpp v225, v71 row_shr:1 row_mask:0xf bank_mask:0xf
	s_delay_alu instid0(VALU_DEP_1) | instskip(NEXT) | instid1(VALU_DEP_1)
	v_cndmask_b32_e64 v225, v225, 0, s1
	v_add_nc_u32_e32 v71, v225, v71
	s_delay_alu instid0(VALU_DEP_1) | instskip(NEXT) | instid1(VALU_DEP_1)
	v_mov_b32_dpp v225, v71 row_shr:2 row_mask:0xf bank_mask:0xf
	v_cndmask_b32_e64 v225, 0, v225, s7
	s_delay_alu instid0(VALU_DEP_1) | instskip(NEXT) | instid1(VALU_DEP_1)
	v_add_nc_u32_e32 v71, v71, v225
	v_mov_b32_dpp v225, v71 row_shr:4 row_mask:0xf bank_mask:0xf
	s_delay_alu instid0(VALU_DEP_1) | instskip(NEXT) | instid1(VALU_DEP_1)
	v_cndmask_b32_e64 v225, 0, v225, s8
	v_add_nc_u32_e32 v71, v71, v225
	s_delay_alu instid0(VALU_DEP_1) | instskip(NEXT) | instid1(VALU_DEP_1)
	v_mov_b32_dpp v225, v71 row_shr:8 row_mask:0xf bank_mask:0xf
	v_cndmask_b32_e64 v225, 0, v225, s9
	s_delay_alu instid0(VALU_DEP_1) | instskip(SKIP_3) | instid1(VALU_DEP_1)
	v_add_nc_u32_e32 v71, v71, v225
	ds_swizzle_b32 v225, v71 offset:swizzle(BROADCAST,32,15)
	s_waitcnt lgkmcnt(0)
	v_cndmask_b32_e64 v225, v225, 0, s10
	v_add_nc_u32_e32 v71, v71, v225
	s_and_saveexec_b32 s17, s3
	s_cbranch_execz .LBB741_470
; %bb.469:                              ;   in Loop: Header=BB741_400 Depth=2
	ds_store_b32 v94, v71 offset:1024
.LBB741_470:                            ;   in Loop: Header=BB741_400 Depth=2
	s_or_b32 exec_lo, exec_lo, s17
	s_waitcnt lgkmcnt(0)
	s_barrier
	buffer_gl0_inv
	s_and_saveexec_b32 s17, s4
	s_cbranch_execz .LBB741_472
; %bb.471:                              ;   in Loop: Header=BB741_400 Depth=2
	ds_load_b32 v225, v104 offset:1024
	s_waitcnt lgkmcnt(0)
	v_mov_b32_dpp v226, v225 row_shr:1 row_mask:0xf bank_mask:0xf
	s_delay_alu instid0(VALU_DEP_1) | instskip(NEXT) | instid1(VALU_DEP_1)
	v_cndmask_b32_e64 v226, v226, 0, s12
	v_add_nc_u32_e32 v225, v226, v225
	s_delay_alu instid0(VALU_DEP_1) | instskip(NEXT) | instid1(VALU_DEP_1)
	v_mov_b32_dpp v226, v225 row_shr:2 row_mask:0xf bank_mask:0xf
	v_cndmask_b32_e64 v226, 0, v226, s13
	s_delay_alu instid0(VALU_DEP_1) | instskip(NEXT) | instid1(VALU_DEP_1)
	v_add_nc_u32_e32 v225, v225, v226
	v_mov_b32_dpp v226, v225 row_shr:4 row_mask:0xf bank_mask:0xf
	s_delay_alu instid0(VALU_DEP_1) | instskip(NEXT) | instid1(VALU_DEP_1)
	v_cndmask_b32_e64 v226, 0, v226, s16
	v_add_nc_u32_e32 v225, v225, v226
	ds_store_b32 v104, v225 offset:1024
.LBB741_472:                            ;   in Loop: Header=BB741_400 Depth=2
	s_or_b32 exec_lo, exec_lo, s17
	v_mov_b32_e32 v225, 0
	s_waitcnt lgkmcnt(0)
	s_barrier
	buffer_gl0_inv
	s_and_saveexec_b32 s17, s5
	s_cbranch_execz .LBB741_474
; %bb.473:                              ;   in Loop: Header=BB741_400 Depth=2
	ds_load_b32 v225, v94 offset:1020
.LBB741_474:                            ;   in Loop: Header=BB741_400 Depth=2
	s_or_b32 exec_lo, exec_lo, s17
	s_waitcnt lgkmcnt(0)
	v_add_nc_u32_e32 v71, v225, v71
	ds_bpermute_b32 v71, v137, v71
	s_waitcnt lgkmcnt(0)
	v_cndmask_b32_e64 v71, v71, v225, s11
	s_delay_alu instid0(VALU_DEP_1) | instskip(NEXT) | instid1(VALU_DEP_1)
	v_cndmask_b32_e64 v71, v71, 0, s0
	v_add_nc_u32_e32 v224, v71, v224
	s_delay_alu instid0(VALU_DEP_1) | instskip(NEXT) | instid1(VALU_DEP_1)
	v_add_nc_u32_e32 v74, v224, v74
	v_add_nc_u32_e32 v75, v74, v75
	s_delay_alu instid0(VALU_DEP_1) | instskip(NEXT) | instid1(VALU_DEP_1)
	v_add_nc_u32_e32 v72, v75, v72
	;; [unrolled: 3-line block ×3, first 2 shown]
	v_add_nc_u32_e32 v69, v68, v69
	s_delay_alu instid0(VALU_DEP_1)
	v_add_nc_u32_e32 v70, v69, v70
	ds_store_b32 v102, v71 offset:1056
	ds_store_2addr_b32 v103, v224, v74 offset0:1 offset1:2
	ds_store_2addr_b32 v103, v75, v72 offset0:3 offset1:4
	;; [unrolled: 1-line block ×4, first 2 shown]
	v_mov_b32_e32 v68, 0x1000
	s_waitcnt lgkmcnt(0)
	s_barrier
	buffer_gl0_inv
	ds_load_b32 v70, v181
	ds_load_b32 v71, v184
	;; [unrolled: 1-line block ×16, first 2 shown]
	ds_load_b32 v178, v102 offset:1056
	s_and_saveexec_b32 s17, s6
	s_cbranch_execz .LBB741_476
; %bb.475:                              ;   in Loop: Header=BB741_400 Depth=2
	ds_load_b32 v68, v105 offset:1056
.LBB741_476:                            ;   in Loop: Header=BB741_400 Depth=2
	s_or_b32 exec_lo, exec_lo, s17
	s_waitcnt lgkmcnt(0)
	s_barrier
	buffer_gl0_inv
	s_and_saveexec_b32 s17, s2
	s_cbranch_execz .LBB741_478
; %bb.477:                              ;   in Loop: Header=BB741_400 Depth=2
	ds_load_b32 v202, v76
	s_waitcnt lgkmcnt(0)
	v_sub_nc_u32_e32 v178, v202, v178
	ds_store_b32 v76, v178
.LBB741_478:                            ;   in Loop: Header=BB741_400 Depth=2
	s_or_b32 exec_lo, exec_lo, s17
	v_add_nc_u32_e32 v179, v180, v179
	v_add_lshl_u32 v69, v69, v2, 3
	v_add_nc_u32_e32 v2, v183, v182
	v_add_nc_u32_e32 v180, v186, v185
	;; [unrolled: 1-line block ×8, first 2 shown]
	v_add_lshl_u32 v70, v179, v70, 3
	v_add_lshl_u32 v71, v2, v71, 3
	v_add_nc_u32_e32 v200, v201, v200
	v_add_lshl_u32 v72, v180, v72, 3
	v_add_nc_u32_e32 v203, v204, v203
	;; [unrolled: 2-line block ×3, first 2 shown]
	v_add_nc_u32_e32 v202, v219, v218
	v_add_nc_u32_e32 v205, v216, v215
	;; [unrolled: 1-line block ×3, first 2 shown]
	ds_store_b64 v69, v[36:37] offset:1024
	ds_store_b64 v70, v[38:39] offset:1024
	v_add_lshl_u32 v38, v191, v225, 3
	ds_store_b64 v71, v[44:45] offset:1024
	ds_store_b64 v72, v[48:49] offset:1024
	;; [unrolled: 1-line block ×3, first 2 shown]
	v_add_lshl_u32 v39, v194, v224, 3
	v_add_lshl_u32 v44, v197, v199, 3
	;; [unrolled: 1-line block ×6, first 2 shown]
	ds_store_b64 v38, v[58:59] offset:1024
	ds_store_b64 v39, v[62:63] offset:1024
	ds_store_b64 v44, v[66:67] offset:1024
	ds_store_b64 v45, v[64:65] offset:1024
	ds_store_b64 v48, v[60:61] offset:1024
	ds_store_b64 v49, v[56:57] offset:1024
	v_add_lshl_u32 v55, v208, v184, 3
	v_add_lshl_u32 v56, v205, v181, 3
	;; [unrolled: 1-line block ×3, first 2 shown]
	ds_store_b64 v54, v[52:53] offset:1024
	v_add_lshl_u32 v52, v178, v74, 3
	v_cmp_lt_u32_e32 vcc_lo, v1, v177
	ds_store_b64 v55, v[50:51] offset:1024
	ds_store_b64 v56, v[46:47] offset:1024
	;; [unrolled: 1-line block ×4, first 2 shown]
	s_waitcnt lgkmcnt(0)
	s_barrier
	buffer_gl0_inv
	s_and_saveexec_b32 s18, vcc_lo
	s_cbranch_execz .LBB741_494
; %bb.479:                              ;   in Loop: Header=BB741_400 Depth=2
	v_add_nc_u32_e32 v2, v104, v76
	ds_load_b64 v[36:37], v2 offset:1024
	s_waitcnt lgkmcnt(0)
	v_lshrrev_b64 v[40:41], s41, v[36:37]
	v_xor_b32_e32 v37, 0x7fffffff, v37
	v_not_b32_e32 v36, v36
	s_delay_alu instid0(VALU_DEP_3) | instskip(NEXT) | instid1(VALU_DEP_1)
	v_and_b32_e32 v2, s43, v40
	v_lshlrev_b32_e32 v2, 2, v2
	ds_load_b32 v2, v2
	s_waitcnt lgkmcnt(0)
	v_add_nc_u32_e32 v2, v2, v1
	s_delay_alu instid0(VALU_DEP_1) | instskip(NEXT) | instid1(VALU_DEP_1)
	v_lshlrev_b64 v[40:41], 3, v[2:3]
	v_add_co_u32 v40, s17, s48, v40
	s_delay_alu instid0(VALU_DEP_1) | instskip(SKIP_3) | instid1(VALU_DEP_1)
	v_add_co_ci_u32_e64 v41, s17, s49, v41, s17
	global_store_b64 v[40:41], v[36:37], off
	s_or_b32 exec_lo, exec_lo, s18
	v_cmp_lt_u32_e64 s17, v77, v177
	s_and_saveexec_b32 s19, s17
	s_cbranch_execnz .LBB741_495
.LBB741_480:                            ;   in Loop: Header=BB741_400 Depth=2
	s_or_b32 exec_lo, exec_lo, s19
	v_cmp_lt_u32_e64 s18, v78, v177
	s_delay_alu instid0(VALU_DEP_1)
	s_and_saveexec_b32 s20, s18
	s_cbranch_execz .LBB741_496
.LBB741_481:                            ;   in Loop: Header=BB741_400 Depth=2
	ds_load_b64 v[36:37], v110 offset:4096
	s_waitcnt lgkmcnt(0)
	v_lshrrev_b64 v[40:41], s41, v[36:37]
	v_xor_b32_e32 v37, 0x7fffffff, v37
	v_not_b32_e32 v36, v36
	s_delay_alu instid0(VALU_DEP_3) | instskip(NEXT) | instid1(VALU_DEP_1)
	v_and_b32_e32 v2, s43, v40
	v_lshlrev_b32_e32 v2, 2, v2
	ds_load_b32 v2, v2
	s_waitcnt lgkmcnt(0)
	v_add_nc_u32_e32 v2, v2, v78
	s_delay_alu instid0(VALU_DEP_1) | instskip(NEXT) | instid1(VALU_DEP_1)
	v_lshlrev_b64 v[40:41], 3, v[2:3]
	v_add_co_u32 v40, s19, s48, v40
	s_delay_alu instid0(VALU_DEP_1) | instskip(SKIP_3) | instid1(VALU_DEP_1)
	v_add_co_ci_u32_e64 v41, s19, s49, v41, s19
	global_store_b64 v[40:41], v[36:37], off
	s_or_b32 exec_lo, exec_lo, s20
	v_cmp_lt_u32_e64 s19, v79, v177
	s_and_saveexec_b32 s21, s19
	s_cbranch_execnz .LBB741_497
.LBB741_482:                            ;   in Loop: Header=BB741_400 Depth=2
	s_or_b32 exec_lo, exec_lo, s21
	v_cmp_lt_u32_e64 s20, v83, v177
	s_delay_alu instid0(VALU_DEP_1)
	s_and_saveexec_b32 s22, s20
	s_cbranch_execz .LBB741_498
.LBB741_483:                            ;   in Loop: Header=BB741_400 Depth=2
	ds_load_b64 v[36:37], v110 offset:8192
	s_waitcnt lgkmcnt(0)
	v_lshrrev_b64 v[40:41], s41, v[36:37]
	v_xor_b32_e32 v37, 0x7fffffff, v37
	v_not_b32_e32 v36, v36
	s_delay_alu instid0(VALU_DEP_3) | instskip(NEXT) | instid1(VALU_DEP_1)
	v_and_b32_e32 v2, s43, v40
	v_lshlrev_b32_e32 v2, 2, v2
	ds_load_b32 v2, v2
	s_waitcnt lgkmcnt(0)
	v_add_nc_u32_e32 v2, v2, v83
	s_delay_alu instid0(VALU_DEP_1) | instskip(NEXT) | instid1(VALU_DEP_1)
	v_lshlrev_b64 v[40:41], 3, v[2:3]
	v_add_co_u32 v40, s21, s48, v40
	s_delay_alu instid0(VALU_DEP_1) | instskip(SKIP_3) | instid1(VALU_DEP_1)
	v_add_co_ci_u32_e64 v41, s21, s49, v41, s21
	global_store_b64 v[40:41], v[36:37], off
	s_or_b32 exec_lo, exec_lo, s22
	v_cmp_lt_u32_e64 s21, v84, v177
	s_and_saveexec_b32 s23, s21
	s_cbranch_execnz .LBB741_499
.LBB741_484:                            ;   in Loop: Header=BB741_400 Depth=2
	s_or_b32 exec_lo, exec_lo, s23
	v_cmp_lt_u32_e64 s22, v85, v177
	s_delay_alu instid0(VALU_DEP_1)
	s_and_saveexec_b32 s24, s22
	s_cbranch_execz .LBB741_500
.LBB741_485:                            ;   in Loop: Header=BB741_400 Depth=2
	ds_load_b64 v[36:37], v110 offset:12288
	s_waitcnt lgkmcnt(0)
	v_lshrrev_b64 v[40:41], s41, v[36:37]
	v_xor_b32_e32 v37, 0x7fffffff, v37
	v_not_b32_e32 v36, v36
	s_delay_alu instid0(VALU_DEP_3) | instskip(NEXT) | instid1(VALU_DEP_1)
	v_and_b32_e32 v2, s43, v40
	v_lshlrev_b32_e32 v2, 2, v2
	ds_load_b32 v2, v2
	s_waitcnt lgkmcnt(0)
	v_add_nc_u32_e32 v2, v2, v85
	s_delay_alu instid0(VALU_DEP_1) | instskip(NEXT) | instid1(VALU_DEP_1)
	v_lshlrev_b64 v[40:41], 3, v[2:3]
	v_add_co_u32 v40, s23, s48, v40
	s_delay_alu instid0(VALU_DEP_1) | instskip(SKIP_3) | instid1(VALU_DEP_1)
	v_add_co_ci_u32_e64 v41, s23, s49, v41, s23
	global_store_b64 v[40:41], v[36:37], off
	s_or_b32 exec_lo, exec_lo, s24
	v_cmp_lt_u32_e64 s23, v86, v177
	s_and_saveexec_b32 s25, s23
	s_cbranch_execnz .LBB741_501
.LBB741_486:                            ;   in Loop: Header=BB741_400 Depth=2
	s_or_b32 exec_lo, exec_lo, s25
	v_cmp_lt_u32_e64 s24, v87, v177
	s_delay_alu instid0(VALU_DEP_1)
	s_and_saveexec_b32 s26, s24
	s_cbranch_execz .LBB741_502
.LBB741_487:                            ;   in Loop: Header=BB741_400 Depth=2
	ds_load_b64 v[36:37], v110 offset:16384
	s_waitcnt lgkmcnt(0)
	v_lshrrev_b64 v[40:41], s41, v[36:37]
	v_xor_b32_e32 v37, 0x7fffffff, v37
	v_not_b32_e32 v36, v36
	s_delay_alu instid0(VALU_DEP_3) | instskip(NEXT) | instid1(VALU_DEP_1)
	v_and_b32_e32 v2, s43, v40
	v_lshlrev_b32_e32 v2, 2, v2
	ds_load_b32 v2, v2
	s_waitcnt lgkmcnt(0)
	v_add_nc_u32_e32 v2, v2, v87
	s_delay_alu instid0(VALU_DEP_1) | instskip(NEXT) | instid1(VALU_DEP_1)
	v_lshlrev_b64 v[40:41], 3, v[2:3]
	v_add_co_u32 v40, s25, s48, v40
	s_delay_alu instid0(VALU_DEP_1) | instskip(SKIP_3) | instid1(VALU_DEP_1)
	v_add_co_ci_u32_e64 v41, s25, s49, v41, s25
	global_store_b64 v[40:41], v[36:37], off
	s_or_b32 exec_lo, exec_lo, s26
	v_cmp_lt_u32_e64 s25, v88, v177
	s_and_saveexec_b32 s27, s25
	s_cbranch_execnz .LBB741_503
.LBB741_488:                            ;   in Loop: Header=BB741_400 Depth=2
	s_or_b32 exec_lo, exec_lo, s27
	v_cmp_lt_u32_e64 s26, v89, v177
	s_delay_alu instid0(VALU_DEP_1)
	s_and_saveexec_b32 s28, s26
	s_cbranch_execz .LBB741_504
.LBB741_489:                            ;   in Loop: Header=BB741_400 Depth=2
	ds_load_b64 v[36:37], v110 offset:20480
	s_waitcnt lgkmcnt(0)
	v_lshrrev_b64 v[40:41], s41, v[36:37]
	v_xor_b32_e32 v37, 0x7fffffff, v37
	v_not_b32_e32 v36, v36
	s_delay_alu instid0(VALU_DEP_3) | instskip(NEXT) | instid1(VALU_DEP_1)
	v_and_b32_e32 v2, s43, v40
	v_lshlrev_b32_e32 v2, 2, v2
	ds_load_b32 v2, v2
	s_waitcnt lgkmcnt(0)
	v_add_nc_u32_e32 v2, v2, v89
	s_delay_alu instid0(VALU_DEP_1) | instskip(NEXT) | instid1(VALU_DEP_1)
	v_lshlrev_b64 v[40:41], 3, v[2:3]
	v_add_co_u32 v40, s27, s48, v40
	s_delay_alu instid0(VALU_DEP_1) | instskip(SKIP_3) | instid1(VALU_DEP_1)
	v_add_co_ci_u32_e64 v41, s27, s49, v41, s27
	global_store_b64 v[40:41], v[36:37], off
	s_or_b32 exec_lo, exec_lo, s28
	v_cmp_lt_u32_e64 s27, v90, v177
	s_and_saveexec_b32 s29, s27
	s_cbranch_execnz .LBB741_505
.LBB741_490:                            ;   in Loop: Header=BB741_400 Depth=2
	s_or_b32 exec_lo, exec_lo, s29
	v_cmp_lt_u32_e64 s28, v91, v177
	s_delay_alu instid0(VALU_DEP_1)
	s_and_saveexec_b32 s30, s28
	s_cbranch_execz .LBB741_506
.LBB741_491:                            ;   in Loop: Header=BB741_400 Depth=2
	ds_load_b64 v[36:37], v110 offset:24576
	s_waitcnt lgkmcnt(0)
	v_lshrrev_b64 v[40:41], s41, v[36:37]
	v_xor_b32_e32 v37, 0x7fffffff, v37
	v_not_b32_e32 v36, v36
	s_delay_alu instid0(VALU_DEP_3) | instskip(NEXT) | instid1(VALU_DEP_1)
	v_and_b32_e32 v2, s43, v40
	v_lshlrev_b32_e32 v2, 2, v2
	ds_load_b32 v2, v2
	s_waitcnt lgkmcnt(0)
	v_add_nc_u32_e32 v2, v2, v91
	s_delay_alu instid0(VALU_DEP_1) | instskip(NEXT) | instid1(VALU_DEP_1)
	v_lshlrev_b64 v[40:41], 3, v[2:3]
	v_add_co_u32 v40, s29, s48, v40
	s_delay_alu instid0(VALU_DEP_1) | instskip(SKIP_3) | instid1(VALU_DEP_1)
	v_add_co_ci_u32_e64 v41, s29, s49, v41, s29
	global_store_b64 v[40:41], v[36:37], off
	s_or_b32 exec_lo, exec_lo, s30
	v_cmp_lt_u32_e64 s29, v92, v177
	s_and_saveexec_b32 s31, s29
	s_cbranch_execnz .LBB741_507
.LBB741_492:                            ;   in Loop: Header=BB741_400 Depth=2
	s_or_b32 exec_lo, exec_lo, s31
	v_cmp_lt_u32_e64 s30, v93, v177
	s_delay_alu instid0(VALU_DEP_1)
	s_and_saveexec_b32 s33, s30
	s_cbranch_execz .LBB741_508
.LBB741_493:                            ;   in Loop: Header=BB741_400 Depth=2
	ds_load_b64 v[36:37], v110 offset:28672
	s_waitcnt lgkmcnt(0)
	v_lshrrev_b64 v[40:41], s41, v[36:37]
	v_xor_b32_e32 v37, 0x7fffffff, v37
	v_not_b32_e32 v36, v36
	s_delay_alu instid0(VALU_DEP_3) | instskip(NEXT) | instid1(VALU_DEP_1)
	v_and_b32_e32 v2, s43, v40
	v_lshlrev_b32_e32 v2, 2, v2
	ds_load_b32 v2, v2
	s_waitcnt lgkmcnt(0)
	v_add_nc_u32_e32 v2, v2, v93
	s_delay_alu instid0(VALU_DEP_1) | instskip(NEXT) | instid1(VALU_DEP_1)
	v_lshlrev_b64 v[40:41], 3, v[2:3]
	v_add_co_u32 v40, s31, s48, v40
	s_delay_alu instid0(VALU_DEP_1) | instskip(SKIP_3) | instid1(VALU_DEP_1)
	v_add_co_ci_u32_e64 v41, s31, s49, v41, s31
	global_store_b64 v[40:41], v[36:37], off
	s_or_b32 exec_lo, exec_lo, s33
	v_cmp_lt_u32_e64 s31, v95, v177
	s_and_saveexec_b32 s39, s31
	s_cbranch_execnz .LBB741_509
	s_branch .LBB741_510
.LBB741_494:                            ;   in Loop: Header=BB741_400 Depth=2
	s_or_b32 exec_lo, exec_lo, s18
	v_cmp_lt_u32_e64 s17, v77, v177
	s_delay_alu instid0(VALU_DEP_1)
	s_and_saveexec_b32 s19, s17
	s_cbranch_execz .LBB741_480
.LBB741_495:                            ;   in Loop: Header=BB741_400 Depth=2
	ds_load_b64 v[36:37], v110 offset:2048
	s_waitcnt lgkmcnt(0)
	v_lshrrev_b64 v[40:41], s41, v[36:37]
	v_xor_b32_e32 v37, 0x7fffffff, v37
	v_not_b32_e32 v36, v36
	s_delay_alu instid0(VALU_DEP_3) | instskip(NEXT) | instid1(VALU_DEP_1)
	v_and_b32_e32 v2, s43, v40
	v_lshlrev_b32_e32 v2, 2, v2
	ds_load_b32 v2, v2
	s_waitcnt lgkmcnt(0)
	v_add_nc_u32_e32 v2, v2, v77
	s_delay_alu instid0(VALU_DEP_1) | instskip(NEXT) | instid1(VALU_DEP_1)
	v_lshlrev_b64 v[40:41], 3, v[2:3]
	v_add_co_u32 v40, s18, s48, v40
	s_delay_alu instid0(VALU_DEP_1) | instskip(SKIP_3) | instid1(VALU_DEP_1)
	v_add_co_ci_u32_e64 v41, s18, s49, v41, s18
	global_store_b64 v[40:41], v[36:37], off
	s_or_b32 exec_lo, exec_lo, s19
	v_cmp_lt_u32_e64 s18, v78, v177
	s_and_saveexec_b32 s20, s18
	s_cbranch_execnz .LBB741_481
.LBB741_496:                            ;   in Loop: Header=BB741_400 Depth=2
	s_or_b32 exec_lo, exec_lo, s20
	v_cmp_lt_u32_e64 s19, v79, v177
	s_delay_alu instid0(VALU_DEP_1)
	s_and_saveexec_b32 s21, s19
	s_cbranch_execz .LBB741_482
.LBB741_497:                            ;   in Loop: Header=BB741_400 Depth=2
	ds_load_b64 v[36:37], v110 offset:6144
	s_waitcnt lgkmcnt(0)
	v_lshrrev_b64 v[40:41], s41, v[36:37]
	v_xor_b32_e32 v37, 0x7fffffff, v37
	v_not_b32_e32 v36, v36
	s_delay_alu instid0(VALU_DEP_3) | instskip(NEXT) | instid1(VALU_DEP_1)
	v_and_b32_e32 v2, s43, v40
	v_lshlrev_b32_e32 v2, 2, v2
	ds_load_b32 v2, v2
	s_waitcnt lgkmcnt(0)
	v_add_nc_u32_e32 v2, v2, v79
	s_delay_alu instid0(VALU_DEP_1) | instskip(NEXT) | instid1(VALU_DEP_1)
	v_lshlrev_b64 v[40:41], 3, v[2:3]
	v_add_co_u32 v40, s20, s48, v40
	s_delay_alu instid0(VALU_DEP_1) | instskip(SKIP_3) | instid1(VALU_DEP_1)
	v_add_co_ci_u32_e64 v41, s20, s49, v41, s20
	global_store_b64 v[40:41], v[36:37], off
	s_or_b32 exec_lo, exec_lo, s21
	v_cmp_lt_u32_e64 s20, v83, v177
	s_and_saveexec_b32 s22, s20
	s_cbranch_execnz .LBB741_483
.LBB741_498:                            ;   in Loop: Header=BB741_400 Depth=2
	s_or_b32 exec_lo, exec_lo, s22
	v_cmp_lt_u32_e64 s21, v84, v177
	s_delay_alu instid0(VALU_DEP_1)
	s_and_saveexec_b32 s23, s21
	s_cbranch_execz .LBB741_484
.LBB741_499:                            ;   in Loop: Header=BB741_400 Depth=2
	ds_load_b64 v[36:37], v110 offset:10240
	s_waitcnt lgkmcnt(0)
	v_lshrrev_b64 v[40:41], s41, v[36:37]
	v_xor_b32_e32 v37, 0x7fffffff, v37
	v_not_b32_e32 v36, v36
	s_delay_alu instid0(VALU_DEP_3) | instskip(NEXT) | instid1(VALU_DEP_1)
	v_and_b32_e32 v2, s43, v40
	v_lshlrev_b32_e32 v2, 2, v2
	ds_load_b32 v2, v2
	s_waitcnt lgkmcnt(0)
	v_add_nc_u32_e32 v2, v2, v84
	s_delay_alu instid0(VALU_DEP_1) | instskip(NEXT) | instid1(VALU_DEP_1)
	v_lshlrev_b64 v[40:41], 3, v[2:3]
	v_add_co_u32 v40, s22, s48, v40
	s_delay_alu instid0(VALU_DEP_1) | instskip(SKIP_3) | instid1(VALU_DEP_1)
	v_add_co_ci_u32_e64 v41, s22, s49, v41, s22
	global_store_b64 v[40:41], v[36:37], off
	s_or_b32 exec_lo, exec_lo, s23
	v_cmp_lt_u32_e64 s22, v85, v177
	s_and_saveexec_b32 s24, s22
	s_cbranch_execnz .LBB741_485
.LBB741_500:                            ;   in Loop: Header=BB741_400 Depth=2
	s_or_b32 exec_lo, exec_lo, s24
	v_cmp_lt_u32_e64 s23, v86, v177
	s_delay_alu instid0(VALU_DEP_1)
	s_and_saveexec_b32 s25, s23
	s_cbranch_execz .LBB741_486
.LBB741_501:                            ;   in Loop: Header=BB741_400 Depth=2
	ds_load_b64 v[36:37], v110 offset:14336
	s_waitcnt lgkmcnt(0)
	v_lshrrev_b64 v[40:41], s41, v[36:37]
	v_xor_b32_e32 v37, 0x7fffffff, v37
	v_not_b32_e32 v36, v36
	s_delay_alu instid0(VALU_DEP_3) | instskip(NEXT) | instid1(VALU_DEP_1)
	v_and_b32_e32 v2, s43, v40
	v_lshlrev_b32_e32 v2, 2, v2
	ds_load_b32 v2, v2
	s_waitcnt lgkmcnt(0)
	v_add_nc_u32_e32 v2, v2, v86
	s_delay_alu instid0(VALU_DEP_1) | instskip(NEXT) | instid1(VALU_DEP_1)
	v_lshlrev_b64 v[40:41], 3, v[2:3]
	v_add_co_u32 v40, s24, s48, v40
	s_delay_alu instid0(VALU_DEP_1) | instskip(SKIP_3) | instid1(VALU_DEP_1)
	v_add_co_ci_u32_e64 v41, s24, s49, v41, s24
	global_store_b64 v[40:41], v[36:37], off
	s_or_b32 exec_lo, exec_lo, s25
	v_cmp_lt_u32_e64 s24, v87, v177
	s_and_saveexec_b32 s26, s24
	s_cbranch_execnz .LBB741_487
.LBB741_502:                            ;   in Loop: Header=BB741_400 Depth=2
	s_or_b32 exec_lo, exec_lo, s26
	v_cmp_lt_u32_e64 s25, v88, v177
	s_delay_alu instid0(VALU_DEP_1)
	s_and_saveexec_b32 s27, s25
	s_cbranch_execz .LBB741_488
.LBB741_503:                            ;   in Loop: Header=BB741_400 Depth=2
	ds_load_b64 v[36:37], v110 offset:18432
	s_waitcnt lgkmcnt(0)
	v_lshrrev_b64 v[40:41], s41, v[36:37]
	v_xor_b32_e32 v37, 0x7fffffff, v37
	v_not_b32_e32 v36, v36
	s_delay_alu instid0(VALU_DEP_3) | instskip(NEXT) | instid1(VALU_DEP_1)
	v_and_b32_e32 v2, s43, v40
	v_lshlrev_b32_e32 v2, 2, v2
	ds_load_b32 v2, v2
	s_waitcnt lgkmcnt(0)
	v_add_nc_u32_e32 v2, v2, v88
	s_delay_alu instid0(VALU_DEP_1) | instskip(NEXT) | instid1(VALU_DEP_1)
	v_lshlrev_b64 v[40:41], 3, v[2:3]
	v_add_co_u32 v40, s26, s48, v40
	s_delay_alu instid0(VALU_DEP_1) | instskip(SKIP_3) | instid1(VALU_DEP_1)
	v_add_co_ci_u32_e64 v41, s26, s49, v41, s26
	global_store_b64 v[40:41], v[36:37], off
	s_or_b32 exec_lo, exec_lo, s27
	v_cmp_lt_u32_e64 s26, v89, v177
	s_and_saveexec_b32 s28, s26
	s_cbranch_execnz .LBB741_489
.LBB741_504:                            ;   in Loop: Header=BB741_400 Depth=2
	s_or_b32 exec_lo, exec_lo, s28
	v_cmp_lt_u32_e64 s27, v90, v177
	s_delay_alu instid0(VALU_DEP_1)
	s_and_saveexec_b32 s29, s27
	s_cbranch_execz .LBB741_490
.LBB741_505:                            ;   in Loop: Header=BB741_400 Depth=2
	ds_load_b64 v[36:37], v110 offset:22528
	s_waitcnt lgkmcnt(0)
	v_lshrrev_b64 v[40:41], s41, v[36:37]
	v_xor_b32_e32 v37, 0x7fffffff, v37
	v_not_b32_e32 v36, v36
	s_delay_alu instid0(VALU_DEP_3) | instskip(NEXT) | instid1(VALU_DEP_1)
	v_and_b32_e32 v2, s43, v40
	v_lshlrev_b32_e32 v2, 2, v2
	ds_load_b32 v2, v2
	s_waitcnt lgkmcnt(0)
	v_add_nc_u32_e32 v2, v2, v90
	s_delay_alu instid0(VALU_DEP_1) | instskip(NEXT) | instid1(VALU_DEP_1)
	v_lshlrev_b64 v[40:41], 3, v[2:3]
	v_add_co_u32 v40, s28, s48, v40
	s_delay_alu instid0(VALU_DEP_1) | instskip(SKIP_3) | instid1(VALU_DEP_1)
	v_add_co_ci_u32_e64 v41, s28, s49, v41, s28
	global_store_b64 v[40:41], v[36:37], off
	s_or_b32 exec_lo, exec_lo, s29
	v_cmp_lt_u32_e64 s28, v91, v177
	s_and_saveexec_b32 s30, s28
	s_cbranch_execnz .LBB741_491
.LBB741_506:                            ;   in Loop: Header=BB741_400 Depth=2
	s_or_b32 exec_lo, exec_lo, s30
	v_cmp_lt_u32_e64 s29, v92, v177
	s_delay_alu instid0(VALU_DEP_1)
	s_and_saveexec_b32 s31, s29
	s_cbranch_execz .LBB741_492
.LBB741_507:                            ;   in Loop: Header=BB741_400 Depth=2
	ds_load_b64 v[36:37], v110 offset:26624
	s_waitcnt lgkmcnt(0)
	v_lshrrev_b64 v[40:41], s41, v[36:37]
	v_xor_b32_e32 v37, 0x7fffffff, v37
	v_not_b32_e32 v36, v36
	s_delay_alu instid0(VALU_DEP_3) | instskip(NEXT) | instid1(VALU_DEP_1)
	v_and_b32_e32 v2, s43, v40
	v_lshlrev_b32_e32 v2, 2, v2
	ds_load_b32 v2, v2
	s_waitcnt lgkmcnt(0)
	v_add_nc_u32_e32 v2, v2, v92
	s_delay_alu instid0(VALU_DEP_1) | instskip(NEXT) | instid1(VALU_DEP_1)
	v_lshlrev_b64 v[40:41], 3, v[2:3]
	v_add_co_u32 v40, s30, s48, v40
	s_delay_alu instid0(VALU_DEP_1) | instskip(SKIP_3) | instid1(VALU_DEP_1)
	v_add_co_ci_u32_e64 v41, s30, s49, v41, s30
	global_store_b64 v[40:41], v[36:37], off
	s_or_b32 exec_lo, exec_lo, s31
	v_cmp_lt_u32_e64 s30, v93, v177
	s_and_saveexec_b32 s33, s30
	s_cbranch_execnz .LBB741_493
.LBB741_508:                            ;   in Loop: Header=BB741_400 Depth=2
	s_or_b32 exec_lo, exec_lo, s33
	v_cmp_lt_u32_e64 s31, v95, v177
	s_delay_alu instid0(VALU_DEP_1)
	s_and_saveexec_b32 s39, s31
	s_cbranch_execz .LBB741_510
.LBB741_509:                            ;   in Loop: Header=BB741_400 Depth=2
	ds_load_b64 v[36:37], v110 offset:30720
	s_waitcnt lgkmcnt(0)
	v_lshrrev_b64 v[40:41], s41, v[36:37]
	v_xor_b32_e32 v37, 0x7fffffff, v37
	v_not_b32_e32 v36, v36
	s_delay_alu instid0(VALU_DEP_3) | instskip(NEXT) | instid1(VALU_DEP_1)
	v_and_b32_e32 v2, s43, v40
	v_lshlrev_b32_e32 v2, 2, v2
	ds_load_b32 v2, v2
	s_waitcnt lgkmcnt(0)
	v_add_nc_u32_e32 v2, v2, v95
	s_delay_alu instid0(VALU_DEP_1) | instskip(NEXT) | instid1(VALU_DEP_1)
	v_lshlrev_b64 v[40:41], 3, v[2:3]
	v_add_co_u32 v40, s33, s48, v40
	s_delay_alu instid0(VALU_DEP_1)
	v_add_co_ci_u32_e64 v41, s33, s49, v41, s33
	global_store_b64 v[40:41], v[36:37], off
.LBB741_510:                            ;   in Loop: Header=BB741_400 Depth=2
	s_or_b32 exec_lo, exec_lo, s39
	s_mov_b32 s39, s34
	s_delay_alu instid0(SALU_CYCLE_1) | instskip(NEXT) | instid1(SALU_CYCLE_1)
	s_lshl_b64 s[38:39], s[38:39], 3
	v_add_co_u32 v36, s33, v139, s38
	s_delay_alu instid0(VALU_DEP_1) | instskip(SKIP_1) | instid1(VALU_DEP_1)
	v_add_co_ci_u32_e64 v37, s33, s39, v140, s33
	v_cmp_lt_u32_e64 s33, v138, v177
	s_and_saveexec_b32 s38, s33
	s_delay_alu instid0(SALU_CYCLE_1)
	s_xor_b32 s33, exec_lo, s38
	s_cbranch_execz .LBB741_542
; %bb.511:                              ;   in Loop: Header=BB741_400 Depth=2
	global_load_b64 v[34:35], v[36:37], off
	s_or_b32 exec_lo, exec_lo, s33
	s_delay_alu instid0(SALU_CYCLE_1)
	s_mov_b32 s38, exec_lo
	v_cmpx_lt_u32_e64 v141, v177
	s_cbranch_execnz .LBB741_543
.LBB741_512:                            ;   in Loop: Header=BB741_400 Depth=2
	s_or_b32 exec_lo, exec_lo, s38
	s_delay_alu instid0(SALU_CYCLE_1)
	s_mov_b32 s38, exec_lo
	v_cmpx_lt_u32_e64 v142, v177
	s_cbranch_execz .LBB741_544
.LBB741_513:                            ;   in Loop: Header=BB741_400 Depth=2
	global_load_b64 v[30:31], v[36:37], off offset:512
	s_or_b32 exec_lo, exec_lo, s38
	s_delay_alu instid0(SALU_CYCLE_1)
	s_mov_b32 s38, exec_lo
	v_cmpx_lt_u32_e64 v143, v177
	s_cbranch_execnz .LBB741_545
.LBB741_514:                            ;   in Loop: Header=BB741_400 Depth=2
	s_or_b32 exec_lo, exec_lo, s38
	s_delay_alu instid0(SALU_CYCLE_1)
	s_mov_b32 s38, exec_lo
	v_cmpx_lt_u32_e64 v144, v177
	s_cbranch_execz .LBB741_546
.LBB741_515:                            ;   in Loop: Header=BB741_400 Depth=2
	global_load_b64 v[26:27], v[36:37], off offset:1024
	s_or_b32 exec_lo, exec_lo, s38
	s_delay_alu instid0(SALU_CYCLE_1)
	s_mov_b32 s38, exec_lo
	v_cmpx_lt_u32_e64 v145, v177
	s_cbranch_execnz .LBB741_547
.LBB741_516:                            ;   in Loop: Header=BB741_400 Depth=2
	s_or_b32 exec_lo, exec_lo, s38
	s_delay_alu instid0(SALU_CYCLE_1)
	s_mov_b32 s38, exec_lo
	v_cmpx_lt_u32_e64 v146, v177
	s_cbranch_execz .LBB741_548
.LBB741_517:                            ;   in Loop: Header=BB741_400 Depth=2
	global_load_b64 v[22:23], v[36:37], off offset:1536
	s_or_b32 exec_lo, exec_lo, s38
	s_delay_alu instid0(SALU_CYCLE_1)
	s_mov_b32 s38, exec_lo
	v_cmpx_lt_u32_e64 v147, v177
	s_cbranch_execnz .LBB741_549
.LBB741_518:                            ;   in Loop: Header=BB741_400 Depth=2
	s_or_b32 exec_lo, exec_lo, s38
	s_delay_alu instid0(SALU_CYCLE_1)
	s_mov_b32 s38, exec_lo
	v_cmpx_lt_u32_e64 v148, v177
	s_cbranch_execz .LBB741_550
.LBB741_519:                            ;   in Loop: Header=BB741_400 Depth=2
	global_load_b64 v[18:19], v[36:37], off offset:2048
	s_or_b32 exec_lo, exec_lo, s38
	s_delay_alu instid0(SALU_CYCLE_1)
	s_mov_b32 s38, exec_lo
	v_cmpx_lt_u32_e64 v149, v177
	s_cbranch_execnz .LBB741_551
.LBB741_520:                            ;   in Loop: Header=BB741_400 Depth=2
	s_or_b32 exec_lo, exec_lo, s38
	s_delay_alu instid0(SALU_CYCLE_1)
	s_mov_b32 s38, exec_lo
	v_cmpx_lt_u32_e64 v150, v177
	s_cbranch_execz .LBB741_552
.LBB741_521:                            ;   in Loop: Header=BB741_400 Depth=2
	global_load_b64 v[14:15], v[36:37], off offset:2560
	s_or_b32 exec_lo, exec_lo, s38
	s_delay_alu instid0(SALU_CYCLE_1)
	s_mov_b32 s38, exec_lo
	v_cmpx_lt_u32_e64 v151, v177
	s_cbranch_execnz .LBB741_553
.LBB741_522:                            ;   in Loop: Header=BB741_400 Depth=2
	s_or_b32 exec_lo, exec_lo, s38
	s_delay_alu instid0(SALU_CYCLE_1)
	s_mov_b32 s38, exec_lo
	v_cmpx_lt_u32_e64 v152, v177
	s_cbranch_execz .LBB741_554
.LBB741_523:                            ;   in Loop: Header=BB741_400 Depth=2
	global_load_b64 v[10:11], v[36:37], off offset:3072
	s_or_b32 exec_lo, exec_lo, s38
	s_delay_alu instid0(SALU_CYCLE_1)
	s_mov_b32 s38, exec_lo
	v_cmpx_lt_u32_e64 v153, v177
	s_cbranch_execnz .LBB741_555
.LBB741_524:                            ;   in Loop: Header=BB741_400 Depth=2
	s_or_b32 exec_lo, exec_lo, s38
	s_delay_alu instid0(SALU_CYCLE_1)
	s_mov_b32 s38, exec_lo
	v_cmpx_lt_u32_e64 v154, v177
	s_cbranch_execz .LBB741_556
.LBB741_525:                            ;   in Loop: Header=BB741_400 Depth=2
	global_load_b64 v[6:7], v[36:37], off offset:3584
	s_or_b32 exec_lo, exec_lo, s38
	s_delay_alu instid0(SALU_CYCLE_1)
	s_mov_b32 s38, exec_lo
	v_cmpx_lt_u32_e64 v155, v177
	s_cbranch_execnz .LBB741_557
.LBB741_526:                            ;   in Loop: Header=BB741_400 Depth=2
	s_or_b32 exec_lo, exec_lo, s38
	s_and_saveexec_b32 s33, vcc_lo
	s_cbranch_execz .LBB741_558
.LBB741_527:                            ;   in Loop: Header=BB741_400 Depth=2
	v_add_nc_u32_e32 v2, v104, v76
	ds_load_b64 v[36:37], v2 offset:1024
	s_waitcnt lgkmcnt(0)
	v_lshrrev_b64 v[36:37], s41, v[36:37]
	s_delay_alu instid0(VALU_DEP_1)
	v_and_b32_e32 v176, s43, v36
	s_or_b32 exec_lo, exec_lo, s33
	s_and_saveexec_b32 s33, s17
	s_cbranch_execnz .LBB741_559
.LBB741_528:                            ;   in Loop: Header=BB741_400 Depth=2
	s_or_b32 exec_lo, exec_lo, s33
	s_and_saveexec_b32 s33, s18
	s_cbranch_execz .LBB741_560
.LBB741_529:                            ;   in Loop: Header=BB741_400 Depth=2
	ds_load_b64 v[36:37], v110 offset:4096
	s_waitcnt lgkmcnt(0)
	v_lshrrev_b64 v[36:37], s41, v[36:37]
	s_delay_alu instid0(VALU_DEP_1)
	v_and_b32_e32 v174, s43, v36
	s_or_b32 exec_lo, exec_lo, s33
	s_and_saveexec_b32 s33, s19
	s_cbranch_execnz .LBB741_561
.LBB741_530:                            ;   in Loop: Header=BB741_400 Depth=2
	s_or_b32 exec_lo, exec_lo, s33
	s_and_saveexec_b32 s33, s20
	s_cbranch_execz .LBB741_562
.LBB741_531:                            ;   in Loop: Header=BB741_400 Depth=2
	ds_load_b64 v[36:37], v110 offset:8192
	s_waitcnt lgkmcnt(0)
	v_lshrrev_b64 v[36:37], s41, v[36:37]
	s_delay_alu instid0(VALU_DEP_1)
	v_and_b32_e32 v172, s43, v36
	s_or_b32 exec_lo, exec_lo, s33
	s_and_saveexec_b32 s33, s21
	s_cbranch_execnz .LBB741_563
.LBB741_532:                            ;   in Loop: Header=BB741_400 Depth=2
	s_or_b32 exec_lo, exec_lo, s33
	s_and_saveexec_b32 s33, s22
	s_cbranch_execz .LBB741_564
.LBB741_533:                            ;   in Loop: Header=BB741_400 Depth=2
	ds_load_b64 v[36:37], v110 offset:12288
	s_waitcnt lgkmcnt(0)
	v_lshrrev_b64 v[36:37], s41, v[36:37]
	s_delay_alu instid0(VALU_DEP_1)
	v_and_b32_e32 v170, s43, v36
	s_or_b32 exec_lo, exec_lo, s33
	s_and_saveexec_b32 s33, s23
	s_cbranch_execnz .LBB741_565
.LBB741_534:                            ;   in Loop: Header=BB741_400 Depth=2
	s_or_b32 exec_lo, exec_lo, s33
	s_and_saveexec_b32 s33, s24
	s_cbranch_execz .LBB741_566
.LBB741_535:                            ;   in Loop: Header=BB741_400 Depth=2
	ds_load_b64 v[36:37], v110 offset:16384
	s_waitcnt lgkmcnt(0)
	v_lshrrev_b64 v[36:37], s41, v[36:37]
	s_delay_alu instid0(VALU_DEP_1)
	v_and_b32_e32 v168, s43, v36
	s_or_b32 exec_lo, exec_lo, s33
	s_and_saveexec_b32 s33, s25
	s_cbranch_execnz .LBB741_567
.LBB741_536:                            ;   in Loop: Header=BB741_400 Depth=2
	s_or_b32 exec_lo, exec_lo, s33
	s_and_saveexec_b32 s33, s26
	s_cbranch_execz .LBB741_568
.LBB741_537:                            ;   in Loop: Header=BB741_400 Depth=2
	ds_load_b64 v[36:37], v110 offset:20480
	s_waitcnt lgkmcnt(0)
	v_lshrrev_b64 v[36:37], s41, v[36:37]
	s_delay_alu instid0(VALU_DEP_1)
	v_and_b32_e32 v166, s43, v36
	s_or_b32 exec_lo, exec_lo, s33
	s_and_saveexec_b32 s33, s27
	s_cbranch_execnz .LBB741_569
.LBB741_538:                            ;   in Loop: Header=BB741_400 Depth=2
	s_or_b32 exec_lo, exec_lo, s33
	s_and_saveexec_b32 s33, s28
	s_cbranch_execz .LBB741_570
.LBB741_539:                            ;   in Loop: Header=BB741_400 Depth=2
	ds_load_b64 v[36:37], v110 offset:24576
	s_waitcnt lgkmcnt(0)
	v_lshrrev_b64 v[36:37], s41, v[36:37]
	s_delay_alu instid0(VALU_DEP_1)
	v_and_b32_e32 v164, s43, v36
	s_or_b32 exec_lo, exec_lo, s33
	s_and_saveexec_b32 s33, s29
	s_cbranch_execnz .LBB741_571
.LBB741_540:                            ;   in Loop: Header=BB741_400 Depth=2
	s_or_b32 exec_lo, exec_lo, s33
	s_and_saveexec_b32 s33, s30
	s_cbranch_execz .LBB741_572
.LBB741_541:                            ;   in Loop: Header=BB741_400 Depth=2
	ds_load_b64 v[36:37], v110 offset:28672
	s_waitcnt lgkmcnt(0)
	v_lshrrev_b64 v[36:37], s41, v[36:37]
	s_delay_alu instid0(VALU_DEP_1)
	v_and_b32_e32 v162, s43, v36
	s_or_b32 exec_lo, exec_lo, s33
	s_and_saveexec_b32 s33, s31
	s_cbranch_execnz .LBB741_573
	s_branch .LBB741_574
.LBB741_542:                            ;   in Loop: Header=BB741_400 Depth=2
	s_or_b32 exec_lo, exec_lo, s33
	s_delay_alu instid0(SALU_CYCLE_1)
	s_mov_b32 s38, exec_lo
	v_cmpx_lt_u32_e64 v141, v177
	s_cbranch_execz .LBB741_512
.LBB741_543:                            ;   in Loop: Header=BB741_400 Depth=2
	global_load_b64 v[32:33], v[36:37], off offset:256
	s_or_b32 exec_lo, exec_lo, s38
	s_delay_alu instid0(SALU_CYCLE_1)
	s_mov_b32 s38, exec_lo
	v_cmpx_lt_u32_e64 v142, v177
	s_cbranch_execnz .LBB741_513
.LBB741_544:                            ;   in Loop: Header=BB741_400 Depth=2
	s_or_b32 exec_lo, exec_lo, s38
	s_delay_alu instid0(SALU_CYCLE_1)
	s_mov_b32 s38, exec_lo
	v_cmpx_lt_u32_e64 v143, v177
	s_cbranch_execz .LBB741_514
.LBB741_545:                            ;   in Loop: Header=BB741_400 Depth=2
	global_load_b64 v[28:29], v[36:37], off offset:768
	s_or_b32 exec_lo, exec_lo, s38
	s_delay_alu instid0(SALU_CYCLE_1)
	s_mov_b32 s38, exec_lo
	v_cmpx_lt_u32_e64 v144, v177
	s_cbranch_execnz .LBB741_515
.LBB741_546:                            ;   in Loop: Header=BB741_400 Depth=2
	s_or_b32 exec_lo, exec_lo, s38
	s_delay_alu instid0(SALU_CYCLE_1)
	s_mov_b32 s38, exec_lo
	v_cmpx_lt_u32_e64 v145, v177
	s_cbranch_execz .LBB741_516
.LBB741_547:                            ;   in Loop: Header=BB741_400 Depth=2
	global_load_b64 v[24:25], v[36:37], off offset:1280
	s_or_b32 exec_lo, exec_lo, s38
	s_delay_alu instid0(SALU_CYCLE_1)
	s_mov_b32 s38, exec_lo
	v_cmpx_lt_u32_e64 v146, v177
	s_cbranch_execnz .LBB741_517
.LBB741_548:                            ;   in Loop: Header=BB741_400 Depth=2
	s_or_b32 exec_lo, exec_lo, s38
	s_delay_alu instid0(SALU_CYCLE_1)
	s_mov_b32 s38, exec_lo
	v_cmpx_lt_u32_e64 v147, v177
	s_cbranch_execz .LBB741_518
.LBB741_549:                            ;   in Loop: Header=BB741_400 Depth=2
	global_load_b64 v[20:21], v[36:37], off offset:1792
	s_or_b32 exec_lo, exec_lo, s38
	s_delay_alu instid0(SALU_CYCLE_1)
	s_mov_b32 s38, exec_lo
	v_cmpx_lt_u32_e64 v148, v177
	s_cbranch_execnz .LBB741_519
.LBB741_550:                            ;   in Loop: Header=BB741_400 Depth=2
	s_or_b32 exec_lo, exec_lo, s38
	s_delay_alu instid0(SALU_CYCLE_1)
	s_mov_b32 s38, exec_lo
	v_cmpx_lt_u32_e64 v149, v177
	s_cbranch_execz .LBB741_520
.LBB741_551:                            ;   in Loop: Header=BB741_400 Depth=2
	global_load_b64 v[16:17], v[36:37], off offset:2304
	s_or_b32 exec_lo, exec_lo, s38
	s_delay_alu instid0(SALU_CYCLE_1)
	s_mov_b32 s38, exec_lo
	v_cmpx_lt_u32_e64 v150, v177
	s_cbranch_execnz .LBB741_521
.LBB741_552:                            ;   in Loop: Header=BB741_400 Depth=2
	s_or_b32 exec_lo, exec_lo, s38
	s_delay_alu instid0(SALU_CYCLE_1)
	s_mov_b32 s38, exec_lo
	v_cmpx_lt_u32_e64 v151, v177
	s_cbranch_execz .LBB741_522
.LBB741_553:                            ;   in Loop: Header=BB741_400 Depth=2
	global_load_b64 v[12:13], v[36:37], off offset:2816
	s_or_b32 exec_lo, exec_lo, s38
	s_delay_alu instid0(SALU_CYCLE_1)
	s_mov_b32 s38, exec_lo
	v_cmpx_lt_u32_e64 v152, v177
	s_cbranch_execnz .LBB741_523
.LBB741_554:                            ;   in Loop: Header=BB741_400 Depth=2
	s_or_b32 exec_lo, exec_lo, s38
	s_delay_alu instid0(SALU_CYCLE_1)
	s_mov_b32 s38, exec_lo
	v_cmpx_lt_u32_e64 v153, v177
	s_cbranch_execz .LBB741_524
.LBB741_555:                            ;   in Loop: Header=BB741_400 Depth=2
	global_load_b64 v[8:9], v[36:37], off offset:3328
	s_or_b32 exec_lo, exec_lo, s38
	s_delay_alu instid0(SALU_CYCLE_1)
	s_mov_b32 s38, exec_lo
	v_cmpx_lt_u32_e64 v154, v177
	s_cbranch_execnz .LBB741_525
.LBB741_556:                            ;   in Loop: Header=BB741_400 Depth=2
	s_or_b32 exec_lo, exec_lo, s38
	s_delay_alu instid0(SALU_CYCLE_1)
	s_mov_b32 s38, exec_lo
	v_cmpx_lt_u32_e64 v155, v177
	s_cbranch_execz .LBB741_526
.LBB741_557:                            ;   in Loop: Header=BB741_400 Depth=2
	global_load_b64 v[4:5], v[36:37], off offset:3840
	s_or_b32 exec_lo, exec_lo, s38
	s_and_saveexec_b32 s33, vcc_lo
	s_cbranch_execnz .LBB741_527
.LBB741_558:                            ;   in Loop: Header=BB741_400 Depth=2
	s_or_b32 exec_lo, exec_lo, s33
	s_and_saveexec_b32 s33, s17
	s_cbranch_execz .LBB741_528
.LBB741_559:                            ;   in Loop: Header=BB741_400 Depth=2
	ds_load_b64 v[36:37], v110 offset:2048
	s_waitcnt lgkmcnt(0)
	v_lshrrev_b64 v[36:37], s41, v[36:37]
	s_delay_alu instid0(VALU_DEP_1)
	v_and_b32_e32 v175, s43, v36
	s_or_b32 exec_lo, exec_lo, s33
	s_and_saveexec_b32 s33, s18
	s_cbranch_execnz .LBB741_529
.LBB741_560:                            ;   in Loop: Header=BB741_400 Depth=2
	s_or_b32 exec_lo, exec_lo, s33
	s_and_saveexec_b32 s33, s19
	s_cbranch_execz .LBB741_530
.LBB741_561:                            ;   in Loop: Header=BB741_400 Depth=2
	ds_load_b64 v[36:37], v110 offset:6144
	s_waitcnt lgkmcnt(0)
	v_lshrrev_b64 v[36:37], s41, v[36:37]
	s_delay_alu instid0(VALU_DEP_1)
	v_and_b32_e32 v173, s43, v36
	s_or_b32 exec_lo, exec_lo, s33
	s_and_saveexec_b32 s33, s20
	s_cbranch_execnz .LBB741_531
.LBB741_562:                            ;   in Loop: Header=BB741_400 Depth=2
	s_or_b32 exec_lo, exec_lo, s33
	s_and_saveexec_b32 s33, s21
	s_cbranch_execz .LBB741_532
.LBB741_563:                            ;   in Loop: Header=BB741_400 Depth=2
	ds_load_b64 v[36:37], v110 offset:10240
	s_waitcnt lgkmcnt(0)
	v_lshrrev_b64 v[36:37], s41, v[36:37]
	s_delay_alu instid0(VALU_DEP_1)
	v_and_b32_e32 v171, s43, v36
	s_or_b32 exec_lo, exec_lo, s33
	s_and_saveexec_b32 s33, s22
	s_cbranch_execnz .LBB741_533
.LBB741_564:                            ;   in Loop: Header=BB741_400 Depth=2
	s_or_b32 exec_lo, exec_lo, s33
	s_and_saveexec_b32 s33, s23
	s_cbranch_execz .LBB741_534
.LBB741_565:                            ;   in Loop: Header=BB741_400 Depth=2
	ds_load_b64 v[36:37], v110 offset:14336
	s_waitcnt lgkmcnt(0)
	v_lshrrev_b64 v[36:37], s41, v[36:37]
	s_delay_alu instid0(VALU_DEP_1)
	v_and_b32_e32 v169, s43, v36
	s_or_b32 exec_lo, exec_lo, s33
	s_and_saveexec_b32 s33, s24
	s_cbranch_execnz .LBB741_535
.LBB741_566:                            ;   in Loop: Header=BB741_400 Depth=2
	s_or_b32 exec_lo, exec_lo, s33
	s_and_saveexec_b32 s33, s25
	s_cbranch_execz .LBB741_536
.LBB741_567:                            ;   in Loop: Header=BB741_400 Depth=2
	ds_load_b64 v[36:37], v110 offset:18432
	s_waitcnt lgkmcnt(0)
	v_lshrrev_b64 v[36:37], s41, v[36:37]
	s_delay_alu instid0(VALU_DEP_1)
	v_and_b32_e32 v167, s43, v36
	s_or_b32 exec_lo, exec_lo, s33
	s_and_saveexec_b32 s33, s26
	s_cbranch_execnz .LBB741_537
.LBB741_568:                            ;   in Loop: Header=BB741_400 Depth=2
	s_or_b32 exec_lo, exec_lo, s33
	s_and_saveexec_b32 s33, s27
	s_cbranch_execz .LBB741_538
.LBB741_569:                            ;   in Loop: Header=BB741_400 Depth=2
	ds_load_b64 v[36:37], v110 offset:22528
	s_waitcnt lgkmcnt(0)
	v_lshrrev_b64 v[36:37], s41, v[36:37]
	s_delay_alu instid0(VALU_DEP_1)
	v_and_b32_e32 v165, s43, v36
	s_or_b32 exec_lo, exec_lo, s33
	s_and_saveexec_b32 s33, s28
	s_cbranch_execnz .LBB741_539
.LBB741_570:                            ;   in Loop: Header=BB741_400 Depth=2
	s_or_b32 exec_lo, exec_lo, s33
	s_and_saveexec_b32 s33, s29
	s_cbranch_execz .LBB741_540
.LBB741_571:                            ;   in Loop: Header=BB741_400 Depth=2
	ds_load_b64 v[36:37], v110 offset:26624
	s_waitcnt lgkmcnt(0)
	v_lshrrev_b64 v[36:37], s41, v[36:37]
	s_delay_alu instid0(VALU_DEP_1)
	v_and_b32_e32 v163, s43, v36
	s_or_b32 exec_lo, exec_lo, s33
	s_and_saveexec_b32 s33, s30
	s_cbranch_execnz .LBB741_541
.LBB741_572:                            ;   in Loop: Header=BB741_400 Depth=2
	s_or_b32 exec_lo, exec_lo, s33
	s_and_saveexec_b32 s33, s31
	s_cbranch_execz .LBB741_574
.LBB741_573:                            ;   in Loop: Header=BB741_400 Depth=2
	ds_load_b64 v[36:37], v110 offset:30720
	s_waitcnt lgkmcnt(0)
	v_lshrrev_b64 v[36:37], s41, v[36:37]
	s_delay_alu instid0(VALU_DEP_1)
	v_and_b32_e32 v161, s43, v36
.LBB741_574:                            ;   in Loop: Header=BB741_400 Depth=2
	s_or_b32 exec_lo, exec_lo, s33
	v_add_nc_u32_e32 v2, 0x400, v69
	v_add_nc_u32_e32 v36, 0x400, v70
	;; [unrolled: 1-line block ×16, first 2 shown]
	s_waitcnt vmcnt(0)
	s_waitcnt_vscnt null, 0x0
	s_barrier
	buffer_gl0_inv
	ds_store_b64 v2, v[34:35]
	ds_store_b64 v36, v[32:33]
	;; [unrolled: 1-line block ×16, first 2 shown]
	s_waitcnt lgkmcnt(0)
	s_barrier
	buffer_gl0_inv
	s_and_saveexec_b32 s33, vcc_lo
	s_cbranch_execz .LBB741_590
; %bb.575:                              ;   in Loop: Header=BB741_400 Depth=2
	v_lshlrev_b32_e32 v2, 2, v176
	v_add_nc_u32_e32 v36, v104, v76
	ds_load_b32 v2, v2
	ds_load_b64 v[36:37], v36 offset:1024
	s_waitcnt lgkmcnt(1)
	v_add_nc_u32_e32 v2, v2, v1
	s_delay_alu instid0(VALU_DEP_1) | instskip(NEXT) | instid1(VALU_DEP_1)
	v_lshlrev_b64 v[38:39], 3, v[2:3]
	v_add_co_u32 v38, vcc_lo, s54, v38
	s_delay_alu instid0(VALU_DEP_2)
	v_add_co_ci_u32_e32 v39, vcc_lo, s55, v39, vcc_lo
	s_waitcnt lgkmcnt(0)
	global_store_b64 v[38:39], v[36:37], off
	s_or_b32 exec_lo, exec_lo, s33
	s_and_saveexec_b32 s33, s17
	s_cbranch_execnz .LBB741_591
.LBB741_576:                            ;   in Loop: Header=BB741_400 Depth=2
	s_or_b32 exec_lo, exec_lo, s33
	s_and_saveexec_b32 s17, s18
	s_cbranch_execz .LBB741_592
.LBB741_577:                            ;   in Loop: Header=BB741_400 Depth=2
	v_lshlrev_b32_e32 v2, 2, v174
	ds_load_b32 v2, v2
	ds_load_b64 v[36:37], v110 offset:4096
	s_waitcnt lgkmcnt(1)
	v_add_nc_u32_e32 v2, v2, v78
	s_delay_alu instid0(VALU_DEP_1) | instskip(NEXT) | instid1(VALU_DEP_1)
	v_lshlrev_b64 v[38:39], 3, v[2:3]
	v_add_co_u32 v38, vcc_lo, s54, v38
	s_delay_alu instid0(VALU_DEP_2)
	v_add_co_ci_u32_e32 v39, vcc_lo, s55, v39, vcc_lo
	s_waitcnt lgkmcnt(0)
	global_store_b64 v[38:39], v[36:37], off
	s_or_b32 exec_lo, exec_lo, s17
	s_and_saveexec_b32 s17, s19
	s_cbranch_execnz .LBB741_593
.LBB741_578:                            ;   in Loop: Header=BB741_400 Depth=2
	s_or_b32 exec_lo, exec_lo, s17
	s_and_saveexec_b32 s17, s20
	s_cbranch_execz .LBB741_594
.LBB741_579:                            ;   in Loop: Header=BB741_400 Depth=2
	v_lshlrev_b32_e32 v2, 2, v172
	ds_load_b32 v2, v2
	ds_load_b64 v[36:37], v110 offset:8192
	s_waitcnt lgkmcnt(1)
	v_add_nc_u32_e32 v2, v2, v83
	s_delay_alu instid0(VALU_DEP_1) | instskip(NEXT) | instid1(VALU_DEP_1)
	v_lshlrev_b64 v[38:39], 3, v[2:3]
	v_add_co_u32 v38, vcc_lo, s54, v38
	s_delay_alu instid0(VALU_DEP_2)
	v_add_co_ci_u32_e32 v39, vcc_lo, s55, v39, vcc_lo
	s_waitcnt lgkmcnt(0)
	global_store_b64 v[38:39], v[36:37], off
	s_or_b32 exec_lo, exec_lo, s17
	s_and_saveexec_b32 s17, s21
	s_cbranch_execnz .LBB741_595
.LBB741_580:                            ;   in Loop: Header=BB741_400 Depth=2
	s_or_b32 exec_lo, exec_lo, s17
	s_and_saveexec_b32 s17, s22
	s_cbranch_execz .LBB741_596
.LBB741_581:                            ;   in Loop: Header=BB741_400 Depth=2
	v_lshlrev_b32_e32 v2, 2, v170
	ds_load_b32 v2, v2
	ds_load_b64 v[36:37], v110 offset:12288
	s_waitcnt lgkmcnt(1)
	v_add_nc_u32_e32 v2, v2, v85
	s_delay_alu instid0(VALU_DEP_1) | instskip(NEXT) | instid1(VALU_DEP_1)
	v_lshlrev_b64 v[38:39], 3, v[2:3]
	v_add_co_u32 v38, vcc_lo, s54, v38
	s_delay_alu instid0(VALU_DEP_2)
	v_add_co_ci_u32_e32 v39, vcc_lo, s55, v39, vcc_lo
	s_waitcnt lgkmcnt(0)
	global_store_b64 v[38:39], v[36:37], off
	s_or_b32 exec_lo, exec_lo, s17
	s_and_saveexec_b32 s17, s23
	s_cbranch_execnz .LBB741_597
.LBB741_582:                            ;   in Loop: Header=BB741_400 Depth=2
	s_or_b32 exec_lo, exec_lo, s17
	s_and_saveexec_b32 s17, s24
	s_cbranch_execz .LBB741_598
.LBB741_583:                            ;   in Loop: Header=BB741_400 Depth=2
	v_lshlrev_b32_e32 v2, 2, v168
	ds_load_b32 v2, v2
	ds_load_b64 v[36:37], v110 offset:16384
	s_waitcnt lgkmcnt(1)
	v_add_nc_u32_e32 v2, v2, v87
	s_delay_alu instid0(VALU_DEP_1) | instskip(NEXT) | instid1(VALU_DEP_1)
	v_lshlrev_b64 v[38:39], 3, v[2:3]
	v_add_co_u32 v38, vcc_lo, s54, v38
	s_delay_alu instid0(VALU_DEP_2)
	v_add_co_ci_u32_e32 v39, vcc_lo, s55, v39, vcc_lo
	s_waitcnt lgkmcnt(0)
	global_store_b64 v[38:39], v[36:37], off
	s_or_b32 exec_lo, exec_lo, s17
	s_and_saveexec_b32 s17, s25
	s_cbranch_execnz .LBB741_599
.LBB741_584:                            ;   in Loop: Header=BB741_400 Depth=2
	s_or_b32 exec_lo, exec_lo, s17
	s_and_saveexec_b32 s17, s26
	s_cbranch_execz .LBB741_600
.LBB741_585:                            ;   in Loop: Header=BB741_400 Depth=2
	v_lshlrev_b32_e32 v2, 2, v166
	ds_load_b32 v2, v2
	ds_load_b64 v[36:37], v110 offset:20480
	s_waitcnt lgkmcnt(1)
	v_add_nc_u32_e32 v2, v2, v89
	s_delay_alu instid0(VALU_DEP_1) | instskip(NEXT) | instid1(VALU_DEP_1)
	v_lshlrev_b64 v[38:39], 3, v[2:3]
	v_add_co_u32 v38, vcc_lo, s54, v38
	s_delay_alu instid0(VALU_DEP_2)
	v_add_co_ci_u32_e32 v39, vcc_lo, s55, v39, vcc_lo
	s_waitcnt lgkmcnt(0)
	global_store_b64 v[38:39], v[36:37], off
	s_or_b32 exec_lo, exec_lo, s17
	s_and_saveexec_b32 s17, s27
	s_cbranch_execnz .LBB741_601
.LBB741_586:                            ;   in Loop: Header=BB741_400 Depth=2
	s_or_b32 exec_lo, exec_lo, s17
	s_and_saveexec_b32 s17, s28
	s_cbranch_execz .LBB741_602
.LBB741_587:                            ;   in Loop: Header=BB741_400 Depth=2
	v_lshlrev_b32_e32 v2, 2, v164
	ds_load_b32 v2, v2
	ds_load_b64 v[36:37], v110 offset:24576
	s_waitcnt lgkmcnt(1)
	v_add_nc_u32_e32 v2, v2, v91
	s_delay_alu instid0(VALU_DEP_1) | instskip(NEXT) | instid1(VALU_DEP_1)
	v_lshlrev_b64 v[38:39], 3, v[2:3]
	v_add_co_u32 v38, vcc_lo, s54, v38
	s_delay_alu instid0(VALU_DEP_2)
	v_add_co_ci_u32_e32 v39, vcc_lo, s55, v39, vcc_lo
	s_waitcnt lgkmcnt(0)
	global_store_b64 v[38:39], v[36:37], off
	s_or_b32 exec_lo, exec_lo, s17
	s_and_saveexec_b32 s17, s29
	s_cbranch_execnz .LBB741_603
.LBB741_588:                            ;   in Loop: Header=BB741_400 Depth=2
	s_or_b32 exec_lo, exec_lo, s17
	s_and_saveexec_b32 s17, s30
	s_cbranch_execz .LBB741_604
.LBB741_589:                            ;   in Loop: Header=BB741_400 Depth=2
	v_lshlrev_b32_e32 v2, 2, v162
	ds_load_b32 v2, v2
	ds_load_b64 v[36:37], v110 offset:28672
	s_waitcnt lgkmcnt(1)
	v_add_nc_u32_e32 v2, v2, v93
	s_delay_alu instid0(VALU_DEP_1) | instskip(NEXT) | instid1(VALU_DEP_1)
	v_lshlrev_b64 v[38:39], 3, v[2:3]
	v_add_co_u32 v38, vcc_lo, s54, v38
	s_delay_alu instid0(VALU_DEP_2)
	v_add_co_ci_u32_e32 v39, vcc_lo, s55, v39, vcc_lo
	s_waitcnt lgkmcnt(0)
	global_store_b64 v[38:39], v[36:37], off
	s_or_b32 exec_lo, exec_lo, s17
	s_and_saveexec_b32 s17, s31
	s_cbranch_execnz .LBB741_605
	s_branch .LBB741_606
.LBB741_590:                            ;   in Loop: Header=BB741_400 Depth=2
	s_or_b32 exec_lo, exec_lo, s33
	s_and_saveexec_b32 s33, s17
	s_cbranch_execz .LBB741_576
.LBB741_591:                            ;   in Loop: Header=BB741_400 Depth=2
	v_lshlrev_b32_e32 v2, 2, v175
	ds_load_b32 v2, v2
	ds_load_b64 v[36:37], v110 offset:2048
	s_waitcnt lgkmcnt(1)
	v_add_nc_u32_e32 v2, v2, v77
	s_delay_alu instid0(VALU_DEP_1) | instskip(NEXT) | instid1(VALU_DEP_1)
	v_lshlrev_b64 v[38:39], 3, v[2:3]
	v_add_co_u32 v38, vcc_lo, s54, v38
	s_delay_alu instid0(VALU_DEP_2)
	v_add_co_ci_u32_e32 v39, vcc_lo, s55, v39, vcc_lo
	s_waitcnt lgkmcnt(0)
	global_store_b64 v[38:39], v[36:37], off
	s_or_b32 exec_lo, exec_lo, s33
	s_and_saveexec_b32 s17, s18
	s_cbranch_execnz .LBB741_577
.LBB741_592:                            ;   in Loop: Header=BB741_400 Depth=2
	s_or_b32 exec_lo, exec_lo, s17
	s_and_saveexec_b32 s17, s19
	s_cbranch_execz .LBB741_578
.LBB741_593:                            ;   in Loop: Header=BB741_400 Depth=2
	v_lshlrev_b32_e32 v2, 2, v173
	ds_load_b32 v2, v2
	ds_load_b64 v[36:37], v110 offset:6144
	s_waitcnt lgkmcnt(1)
	v_add_nc_u32_e32 v2, v2, v79
	s_delay_alu instid0(VALU_DEP_1) | instskip(NEXT) | instid1(VALU_DEP_1)
	v_lshlrev_b64 v[38:39], 3, v[2:3]
	v_add_co_u32 v38, vcc_lo, s54, v38
	s_delay_alu instid0(VALU_DEP_2)
	v_add_co_ci_u32_e32 v39, vcc_lo, s55, v39, vcc_lo
	s_waitcnt lgkmcnt(0)
	global_store_b64 v[38:39], v[36:37], off
	s_or_b32 exec_lo, exec_lo, s17
	s_and_saveexec_b32 s17, s20
	s_cbranch_execnz .LBB741_579
.LBB741_594:                            ;   in Loop: Header=BB741_400 Depth=2
	s_or_b32 exec_lo, exec_lo, s17
	s_and_saveexec_b32 s17, s21
	s_cbranch_execz .LBB741_580
.LBB741_595:                            ;   in Loop: Header=BB741_400 Depth=2
	v_lshlrev_b32_e32 v2, 2, v171
	ds_load_b32 v2, v2
	ds_load_b64 v[36:37], v110 offset:10240
	s_waitcnt lgkmcnt(1)
	v_add_nc_u32_e32 v2, v2, v84
	s_delay_alu instid0(VALU_DEP_1) | instskip(NEXT) | instid1(VALU_DEP_1)
	v_lshlrev_b64 v[38:39], 3, v[2:3]
	v_add_co_u32 v38, vcc_lo, s54, v38
	s_delay_alu instid0(VALU_DEP_2)
	v_add_co_ci_u32_e32 v39, vcc_lo, s55, v39, vcc_lo
	s_waitcnt lgkmcnt(0)
	global_store_b64 v[38:39], v[36:37], off
	s_or_b32 exec_lo, exec_lo, s17
	s_and_saveexec_b32 s17, s22
	s_cbranch_execnz .LBB741_581
.LBB741_596:                            ;   in Loop: Header=BB741_400 Depth=2
	s_or_b32 exec_lo, exec_lo, s17
	s_and_saveexec_b32 s17, s23
	s_cbranch_execz .LBB741_582
.LBB741_597:                            ;   in Loop: Header=BB741_400 Depth=2
	v_lshlrev_b32_e32 v2, 2, v169
	ds_load_b32 v2, v2
	ds_load_b64 v[36:37], v110 offset:14336
	s_waitcnt lgkmcnt(1)
	v_add_nc_u32_e32 v2, v2, v86
	s_delay_alu instid0(VALU_DEP_1) | instskip(NEXT) | instid1(VALU_DEP_1)
	v_lshlrev_b64 v[38:39], 3, v[2:3]
	v_add_co_u32 v38, vcc_lo, s54, v38
	s_delay_alu instid0(VALU_DEP_2)
	v_add_co_ci_u32_e32 v39, vcc_lo, s55, v39, vcc_lo
	s_waitcnt lgkmcnt(0)
	global_store_b64 v[38:39], v[36:37], off
	s_or_b32 exec_lo, exec_lo, s17
	s_and_saveexec_b32 s17, s24
	s_cbranch_execnz .LBB741_583
.LBB741_598:                            ;   in Loop: Header=BB741_400 Depth=2
	s_or_b32 exec_lo, exec_lo, s17
	s_and_saveexec_b32 s17, s25
	s_cbranch_execz .LBB741_584
.LBB741_599:                            ;   in Loop: Header=BB741_400 Depth=2
	v_lshlrev_b32_e32 v2, 2, v167
	ds_load_b32 v2, v2
	ds_load_b64 v[36:37], v110 offset:18432
	s_waitcnt lgkmcnt(1)
	v_add_nc_u32_e32 v2, v2, v88
	s_delay_alu instid0(VALU_DEP_1) | instskip(NEXT) | instid1(VALU_DEP_1)
	v_lshlrev_b64 v[38:39], 3, v[2:3]
	v_add_co_u32 v38, vcc_lo, s54, v38
	s_delay_alu instid0(VALU_DEP_2)
	v_add_co_ci_u32_e32 v39, vcc_lo, s55, v39, vcc_lo
	s_waitcnt lgkmcnt(0)
	global_store_b64 v[38:39], v[36:37], off
	s_or_b32 exec_lo, exec_lo, s17
	s_and_saveexec_b32 s17, s26
	s_cbranch_execnz .LBB741_585
.LBB741_600:                            ;   in Loop: Header=BB741_400 Depth=2
	s_or_b32 exec_lo, exec_lo, s17
	s_and_saveexec_b32 s17, s27
	s_cbranch_execz .LBB741_586
.LBB741_601:                            ;   in Loop: Header=BB741_400 Depth=2
	v_lshlrev_b32_e32 v2, 2, v165
	ds_load_b32 v2, v2
	ds_load_b64 v[36:37], v110 offset:22528
	s_waitcnt lgkmcnt(1)
	v_add_nc_u32_e32 v2, v2, v90
	s_delay_alu instid0(VALU_DEP_1) | instskip(NEXT) | instid1(VALU_DEP_1)
	v_lshlrev_b64 v[38:39], 3, v[2:3]
	v_add_co_u32 v38, vcc_lo, s54, v38
	s_delay_alu instid0(VALU_DEP_2)
	v_add_co_ci_u32_e32 v39, vcc_lo, s55, v39, vcc_lo
	s_waitcnt lgkmcnt(0)
	global_store_b64 v[38:39], v[36:37], off
	s_or_b32 exec_lo, exec_lo, s17
	s_and_saveexec_b32 s17, s28
	s_cbranch_execnz .LBB741_587
.LBB741_602:                            ;   in Loop: Header=BB741_400 Depth=2
	s_or_b32 exec_lo, exec_lo, s17
	s_and_saveexec_b32 s17, s29
	s_cbranch_execz .LBB741_588
.LBB741_603:                            ;   in Loop: Header=BB741_400 Depth=2
	v_lshlrev_b32_e32 v2, 2, v163
	ds_load_b32 v2, v2
	ds_load_b64 v[36:37], v110 offset:26624
	s_waitcnt lgkmcnt(1)
	v_add_nc_u32_e32 v2, v2, v92
	s_delay_alu instid0(VALU_DEP_1) | instskip(NEXT) | instid1(VALU_DEP_1)
	v_lshlrev_b64 v[38:39], 3, v[2:3]
	v_add_co_u32 v38, vcc_lo, s54, v38
	s_delay_alu instid0(VALU_DEP_2)
	v_add_co_ci_u32_e32 v39, vcc_lo, s55, v39, vcc_lo
	s_waitcnt lgkmcnt(0)
	global_store_b64 v[38:39], v[36:37], off
	s_or_b32 exec_lo, exec_lo, s17
	s_and_saveexec_b32 s17, s30
	s_cbranch_execnz .LBB741_589
.LBB741_604:                            ;   in Loop: Header=BB741_400 Depth=2
	s_or_b32 exec_lo, exec_lo, s17
	s_and_saveexec_b32 s17, s31
	s_cbranch_execz .LBB741_606
.LBB741_605:                            ;   in Loop: Header=BB741_400 Depth=2
	v_lshlrev_b32_e32 v2, 2, v161
	ds_load_b32 v2, v2
	ds_load_b64 v[36:37], v110 offset:30720
	s_waitcnt lgkmcnt(1)
	v_add_nc_u32_e32 v2, v2, v95
	s_delay_alu instid0(VALU_DEP_1) | instskip(NEXT) | instid1(VALU_DEP_1)
	v_lshlrev_b64 v[38:39], 3, v[2:3]
	v_add_co_u32 v38, vcc_lo, s54, v38
	s_delay_alu instid0(VALU_DEP_2)
	v_add_co_ci_u32_e32 v39, vcc_lo, s55, v39, vcc_lo
	s_waitcnt lgkmcnt(0)
	global_store_b64 v[38:39], v[36:37], off
.LBB741_606:                            ;   in Loop: Header=BB741_400 Depth=2
	s_or_b32 exec_lo, exec_lo, s17
	s_waitcnt_vscnt null, 0x0
	s_barrier
	buffer_gl0_inv
	s_and_saveexec_b32 s17, s2
	s_cbranch_execz .LBB741_399
; %bb.607:                              ;   in Loop: Header=BB741_400 Depth=2
	ds_load_b32 v2, v76
	s_waitcnt lgkmcnt(0)
	v_add_nc_u32_e32 v2, v2, v68
	ds_store_b32 v76, v2
	s_branch .LBB741_399
.LBB741_608:                            ;   in Loop: Header=BB741_20 Depth=1
	s_waitcnt lgkmcnt(0)
	s_barrier
.LBB741_609:                            ;   in Loop: Header=BB741_20 Depth=1
	s_mov_b32 s1, 0
.LBB741_610:                            ;   in Loop: Header=BB741_20 Depth=1
	s_delay_alu instid0(SALU_CYCLE_1)
	s_and_not1_b32 vcc_lo, exec_lo, s1
	s_cbranch_vccnz .LBB741_19
; %bb.611:                              ;   in Loop: Header=BB741_20 Depth=1
	s_lshl_b32 s1, -1, s42
	s_and_b32 vcc_lo, exec_lo, s59
	s_not_b32 s42, s1
	s_mov_b32 s1, -1
	s_cbranch_vccz .LBB741_905
; %bb.612:                              ;   in Loop: Header=BB741_20 Depth=1
	s_mov_b32 s1, s62
	s_mov_b32 s8, s60
	s_barrier
	buffer_gl0_inv
                                        ; implicit-def: $vgpr34_vgpr35
                                        ; implicit-def: $vgpr4_vgpr5
                                        ; implicit-def: $vgpr6_vgpr7
                                        ; implicit-def: $vgpr8_vgpr9
                                        ; implicit-def: $vgpr10_vgpr11
                                        ; implicit-def: $vgpr12_vgpr13
                                        ; implicit-def: $vgpr14_vgpr15
                                        ; implicit-def: $vgpr16_vgpr17
                                        ; implicit-def: $vgpr18_vgpr19
                                        ; implicit-def: $vgpr20_vgpr21
                                        ; implicit-def: $vgpr22_vgpr23
                                        ; implicit-def: $vgpr24_vgpr25
                                        ; implicit-def: $vgpr26_vgpr27
                                        ; implicit-def: $vgpr28_vgpr29
                                        ; implicit-def: $vgpr30_vgpr31
                                        ; implicit-def: $vgpr32_vgpr33
	s_branch .LBB741_614
.LBB741_613:                            ;   in Loop: Header=BB741_614 Depth=2
	s_or_b32 exec_lo, exec_lo, s8
	s_addk_i32 s1, 0xf000
	s_cmp_ge_u32 s7, s61
	s_mov_b32 s8, s7
	s_cbranch_scc1 .LBB741_684
.LBB741_614:                            ;   Parent Loop BB741_20 Depth=1
                                        ; =>  This Inner Loop Header: Depth=2
	s_add_i32 s7, s8, 0x1000
	s_delay_alu instid0(SALU_CYCLE_1)
	s_cmp_gt_u32 s7, s61
	s_cbranch_scc1 .LBB741_617
; %bb.615:                              ;   in Loop: Header=BB741_614 Depth=2
	s_mov_b32 s9, 0
	s_movk_i32 s13, 0x1000
	s_lshl_b64 s[10:11], s[8:9], 3
	s_mov_b32 s12, -1
	v_add_co_u32 v36, vcc_lo, v117, s10
	v_add_co_ci_u32_e32 v37, vcc_lo, s11, v118, vcc_lo
	s_waitcnt vmcnt(12)
	s_delay_alu instid0(VALU_DEP_2) | instskip(NEXT) | instid1(VALU_DEP_2)
	v_add_co_u32 v42, vcc_lo, 0x1000, v36
	v_add_co_ci_u32_e32 v43, vcc_lo, 0, v37, vcc_lo
	s_waitcnt vmcnt(11)
	v_add_co_u32 v44, vcc_lo, 0x2000, v36
	v_add_co_ci_u32_e32 v45, vcc_lo, 0, v37, vcc_lo
	s_waitcnt vmcnt(1)
	v_add_co_u32 v50, vcc_lo, v36, 0x2000
	v_add_co_ci_u32_e32 v51, vcc_lo, 0, v37, vcc_lo
	v_add_co_u32 v52, vcc_lo, v36, 0x4000
	v_add_co_ci_u32_e32 v53, vcc_lo, 0, v37, vcc_lo
	;; [unrolled: 2-line block ×7, first 2 shown]
	s_waitcnt vmcnt(0)
	v_add_co_u32 v66, vcc_lo, 0x7000, v36
	v_add_co_ci_u32_e32 v67, vcc_lo, 0, v37, vcc_lo
	s_clause 0xe
	global_load_b64 v[38:39], v[36:37], off
	global_load_b64 v[40:41], v[36:37], off offset:2048
	global_load_b64 v[42:43], v[42:43], off offset:2048
	;; [unrolled: 1-line block ×3, first 2 shown]
	global_load_b64 v[46:47], v[50:51], off
	global_load_b64 v[48:49], v[52:53], off offset:-4096
	global_load_b64 v[52:53], v[52:53], off
	global_load_b64 v[56:57], v[60:61], off offset:-4096
	global_load_b64 v[60:61], v[60:61], off
	global_load_b64 v[54:55], v[54:55], off offset:2048
	global_load_b64 v[58:59], v[58:59], off offset:2048
	;; [unrolled: 1-line block ×4, first 2 shown]
	global_load_b64 v[50:51], v[50:51], off offset:-4096
	global_load_b64 v[66:67], v[66:67], off
	v_add_co_u32 v36, vcc_lo, 0x7800, v36
	v_add_co_ci_u32_e32 v37, vcc_lo, 0, v37, vcc_lo
	s_cbranch_execz .LBB741_618
; %bb.616:                              ;   in Loop: Header=BB741_614 Depth=2
                                        ; implicit-def: $vgpr32_vgpr33
                                        ; implicit-def: $vgpr30_vgpr31
                                        ; implicit-def: $vgpr28_vgpr29
                                        ; implicit-def: $vgpr26_vgpr27
                                        ; implicit-def: $vgpr24_vgpr25
                                        ; implicit-def: $vgpr22_vgpr23
                                        ; implicit-def: $vgpr20_vgpr21
                                        ; implicit-def: $vgpr18_vgpr19
                                        ; implicit-def: $vgpr16_vgpr17
                                        ; implicit-def: $vgpr14_vgpr15
                                        ; implicit-def: $vgpr12_vgpr13
                                        ; implicit-def: $vgpr10_vgpr11
                                        ; implicit-def: $vgpr8_vgpr9
                                        ; implicit-def: $vgpr6_vgpr7
                                        ; implicit-def: $vgpr4_vgpr5
                                        ; implicit-def: $vgpr34_vgpr35
	v_mov_b32_e32 v2, s1
	s_and_saveexec_b32 s8, s12
	s_cbranch_execnz .LBB741_637
	s_branch .LBB741_638
.LBB741_617:                            ;   in Loop: Header=BB741_614 Depth=2
	s_mov_b32 s12, 0
                                        ; implicit-def: $sgpr13
                                        ; implicit-def: $vgpr38_vgpr39
                                        ; implicit-def: $vgpr40_vgpr41
                                        ; implicit-def: $vgpr50_vgpr51
                                        ; implicit-def: $vgpr42_vgpr43
                                        ; implicit-def: $vgpr46_vgpr47
                                        ; implicit-def: $vgpr44_vgpr45
                                        ; implicit-def: $vgpr48_vgpr49
                                        ; implicit-def: $vgpr54_vgpr55
                                        ; implicit-def: $vgpr52_vgpr53
                                        ; implicit-def: $vgpr58_vgpr59
                                        ; implicit-def: $vgpr56_vgpr57
                                        ; implicit-def: $vgpr62_vgpr63
                                        ; implicit-def: $vgpr60_vgpr61
                                        ; implicit-def: $vgpr64_vgpr65
                                        ; implicit-def: $vgpr66_vgpr67
                                        ; implicit-def: $vgpr36_vgpr37
.LBB741_618:                            ;   in Loop: Header=BB741_614 Depth=2
	s_mov_b32 s9, s34
	s_delay_alu instid0(SALU_CYCLE_1)
	s_lshl_b64 s[10:11], s[8:9], 3
	s_mov_b32 s9, exec_lo
	s_add_u32 s10, s44, s10
	s_addc_u32 s11, s45, s11
	v_cmpx_gt_u32_e64 s1, v1
	s_cbranch_execz .LBB741_670
; %bb.619:                              ;   in Loop: Header=BB741_614 Depth=2
	global_load_b64 v[32:33], v124, s[10:11]
	s_or_b32 exec_lo, exec_lo, s9
	s_delay_alu instid0(SALU_CYCLE_1)
	s_mov_b32 s9, exec_lo
	v_cmpx_gt_u32_e64 s1, v77
	s_cbranch_execnz .LBB741_671
.LBB741_620:                            ;   in Loop: Header=BB741_614 Depth=2
	s_or_b32 exec_lo, exec_lo, s9
	s_delay_alu instid0(SALU_CYCLE_1)
	s_mov_b32 s9, exec_lo
	v_cmpx_gt_u32_e64 s1, v78
	s_cbranch_execz .LBB741_672
.LBB741_621:                            ;   in Loop: Header=BB741_614 Depth=2
	global_load_b64 v[28:29], v125, s[10:11]
	s_or_b32 exec_lo, exec_lo, s9
	s_delay_alu instid0(SALU_CYCLE_1)
	s_mov_b32 s9, exec_lo
	v_cmpx_gt_u32_e64 s1, v79
	s_cbranch_execnz .LBB741_673
.LBB741_622:                            ;   in Loop: Header=BB741_614 Depth=2
	s_or_b32 exec_lo, exec_lo, s9
	s_delay_alu instid0(SALU_CYCLE_1)
	s_mov_b32 s9, exec_lo
	v_cmpx_gt_u32_e64 s1, v83
	s_cbranch_execz .LBB741_674
.LBB741_623:                            ;   in Loop: Header=BB741_614 Depth=2
	global_load_b64 v[24:25], v127, s[10:11]
	s_or_b32 exec_lo, exec_lo, s9
	s_delay_alu instid0(SALU_CYCLE_1)
	s_mov_b32 s9, exec_lo
	v_cmpx_gt_u32_e64 s1, v84
	s_cbranch_execnz .LBB741_675
.LBB741_624:                            ;   in Loop: Header=BB741_614 Depth=2
	s_or_b32 exec_lo, exec_lo, s9
	s_delay_alu instid0(SALU_CYCLE_1)
	s_mov_b32 s9, exec_lo
	v_cmpx_gt_u32_e64 s1, v85
	s_cbranch_execz .LBB741_676
.LBB741_625:                            ;   in Loop: Header=BB741_614 Depth=2
	global_load_b64 v[20:21], v129, s[10:11]
	s_or_b32 exec_lo, exec_lo, s9
	s_delay_alu instid0(SALU_CYCLE_1)
	s_mov_b32 s9, exec_lo
	v_cmpx_gt_u32_e64 s1, v86
	s_cbranch_execnz .LBB741_677
.LBB741_626:                            ;   in Loop: Header=BB741_614 Depth=2
	s_or_b32 exec_lo, exec_lo, s9
	s_delay_alu instid0(SALU_CYCLE_1)
	s_mov_b32 s9, exec_lo
	v_cmpx_gt_u32_e64 s1, v87
	s_cbranch_execz .LBB741_678
.LBB741_627:                            ;   in Loop: Header=BB741_614 Depth=2
	global_load_b64 v[16:17], v131, s[10:11]
	s_or_b32 exec_lo, exec_lo, s9
	s_delay_alu instid0(SALU_CYCLE_1)
	s_mov_b32 s9, exec_lo
	v_cmpx_gt_u32_e64 s1, v88
	s_cbranch_execnz .LBB741_679
.LBB741_628:                            ;   in Loop: Header=BB741_614 Depth=2
	s_or_b32 exec_lo, exec_lo, s9
	s_delay_alu instid0(SALU_CYCLE_1)
	s_mov_b32 s9, exec_lo
	v_cmpx_gt_u32_e64 s1, v89
	s_cbranch_execz .LBB741_680
.LBB741_629:                            ;   in Loop: Header=BB741_614 Depth=2
	global_load_b64 v[12:13], v133, s[10:11]
	s_or_b32 exec_lo, exec_lo, s9
	s_delay_alu instid0(SALU_CYCLE_1)
	s_mov_b32 s9, exec_lo
	v_cmpx_gt_u32_e64 s1, v90
	s_cbranch_execnz .LBB741_681
.LBB741_630:                            ;   in Loop: Header=BB741_614 Depth=2
	s_or_b32 exec_lo, exec_lo, s9
	s_delay_alu instid0(SALU_CYCLE_1)
	s_mov_b32 s9, exec_lo
	v_cmpx_gt_u32_e64 s1, v91
	s_cbranch_execz .LBB741_682
.LBB741_631:                            ;   in Loop: Header=BB741_614 Depth=2
	global_load_b64 v[8:9], v135, s[10:11]
	s_or_b32 exec_lo, exec_lo, s9
	s_delay_alu instid0(SALU_CYCLE_1)
	s_mov_b32 s9, exec_lo
	v_cmpx_gt_u32_e64 s1, v92
	s_cbranch_execnz .LBB741_683
.LBB741_632:                            ;   in Loop: Header=BB741_614 Depth=2
	s_or_b32 exec_lo, exec_lo, s9
	s_delay_alu instid0(SALU_CYCLE_1)
	s_mov_b32 s9, exec_lo
	v_cmpx_gt_u32_e64 s1, v93
	s_cbranch_execz .LBB741_634
.LBB741_633:                            ;   in Loop: Header=BB741_614 Depth=2
	v_lshlrev_b32_e32 v2, 3, v93
	global_load_b64 v[4:5], v2, s[10:11]
.LBB741_634:                            ;   in Loop: Header=BB741_614 Depth=2
	s_or_b32 exec_lo, exec_lo, s9
	s_delay_alu instid0(SALU_CYCLE_1)
	s_mov_b32 s9, exec_lo
                                        ; implicit-def: $sgpr13
                                        ; implicit-def: $vgpr36_vgpr37
	v_cmpx_gt_u32_e64 s1, v95
; %bb.635:                              ;   in Loop: Header=BB741_614 Depth=2
	v_lshlrev_b32_e32 v2, 3, v95
	s_sub_i32 s13, s61, s8
	s_or_b32 s12, s12, exec_lo
                                        ; implicit-def: $vgpr34_vgpr35
	s_delay_alu instid0(VALU_DEP_1) | instskip(NEXT) | instid1(VALU_DEP_1)
	v_add_co_u32 v36, s10, s10, v2
	v_add_co_ci_u32_e64 v37, null, s11, 0, s10
; %bb.636:                              ;   in Loop: Header=BB741_614 Depth=2
	s_or_b32 exec_lo, exec_lo, s9
	s_waitcnt vmcnt(0)
	v_dual_mov_b32 v39, v33 :: v_dual_mov_b32 v38, v32
	v_dual_mov_b32 v41, v31 :: v_dual_mov_b32 v40, v30
	v_dual_mov_b32 v51, v29 :: v_dual_mov_b32 v50, v28
	v_dual_mov_b32 v43, v27 :: v_dual_mov_b32 v42, v26
	v_dual_mov_b32 v47, v25 :: v_dual_mov_b32 v46, v24
	v_dual_mov_b32 v45, v23 :: v_dual_mov_b32 v44, v22
	v_dual_mov_b32 v49, v21 :: v_dual_mov_b32 v48, v20
	v_dual_mov_b32 v55, v19 :: v_dual_mov_b32 v54, v18
	v_dual_mov_b32 v53, v17 :: v_dual_mov_b32 v52, v16
	v_dual_mov_b32 v59, v15 :: v_dual_mov_b32 v58, v14
	v_dual_mov_b32 v57, v13 :: v_dual_mov_b32 v56, v12
	v_dual_mov_b32 v63, v11 :: v_dual_mov_b32 v62, v10
	v_dual_mov_b32 v61, v9 :: v_dual_mov_b32 v60, v8
	v_dual_mov_b32 v65, v7 :: v_dual_mov_b32 v64, v6
	v_dual_mov_b32 v67, v5 :: v_dual_mov_b32 v66, v4
	v_mov_b32_e32 v2, s1
	s_and_saveexec_b32 s8, s12
	s_cbranch_execz .LBB741_638
.LBB741_637:                            ;   in Loop: Header=BB741_614 Depth=2
	global_load_b64 v[34:35], v[36:37], off
	s_waitcnt vmcnt(1)
	v_mov_b32_e32 v4, v66
	v_mov_b32_e32 v6, v64
	;; [unrolled: 1-line block ×14, first 2 shown]
	v_dual_mov_b32 v32, v38 :: v_dual_mov_b32 v33, v39
	v_dual_mov_b32 v2, s13 :: v_dual_mov_b32 v5, v67
	v_mov_b32_e32 v7, v65
	v_mov_b32_e32 v9, v61
	;; [unrolled: 1-line block ×13, first 2 shown]
.LBB741_638:                            ;   in Loop: Header=BB741_614 Depth=2
	s_or_b32 exec_lo, exec_lo, s8
	s_delay_alu instid0(SALU_CYCLE_1)
	s_mov_b32 s8, exec_lo
	v_cmpx_lt_u32_e64 v1, v2
	s_cbranch_execz .LBB741_654
; %bb.639:                              ;   in Loop: Header=BB741_614 Depth=2
	v_xor_b32_e32 v37, 0x7fffffff, v33
	v_not_b32_e32 v36, v32
	s_delay_alu instid0(VALU_DEP_1) | instskip(SKIP_1) | instid1(VALU_DEP_2)
	v_lshrrev_b64 v[36:37], s40, v[36:37]
	v_lshlrev_b32_e32 v37, 2, v80
	v_and_b32_e32 v36, s42, v36
	s_delay_alu instid0(VALU_DEP_1) | instskip(SKIP_2) | instid1(SALU_CYCLE_1)
	v_lshl_or_b32 v36, v36, 4, v37
	ds_add_u32 v36, v123
	s_or_b32 exec_lo, exec_lo, s8
	s_mov_b32 s8, exec_lo
	v_cmpx_lt_u32_e64 v77, v2
	s_cbranch_execnz .LBB741_655
.LBB741_640:                            ;   in Loop: Header=BB741_614 Depth=2
	s_or_b32 exec_lo, exec_lo, s8
	s_delay_alu instid0(SALU_CYCLE_1)
	s_mov_b32 s8, exec_lo
	v_cmpx_lt_u32_e64 v78, v2
	s_cbranch_execz .LBB741_656
.LBB741_641:                            ;   in Loop: Header=BB741_614 Depth=2
	v_xor_b32_e32 v37, 0x7fffffff, v29
	v_not_b32_e32 v36, v28
	s_delay_alu instid0(VALU_DEP_1) | instskip(SKIP_1) | instid1(VALU_DEP_2)
	v_lshrrev_b64 v[36:37], s40, v[36:37]
	v_lshlrev_b32_e32 v37, 2, v80
	v_and_b32_e32 v36, s42, v36
	s_delay_alu instid0(VALU_DEP_1) | instskip(SKIP_2) | instid1(SALU_CYCLE_1)
	v_lshl_or_b32 v36, v36, 4, v37
	ds_add_u32 v36, v123
	s_or_b32 exec_lo, exec_lo, s8
	s_mov_b32 s8, exec_lo
	v_cmpx_lt_u32_e64 v79, v2
	s_cbranch_execnz .LBB741_657
.LBB741_642:                            ;   in Loop: Header=BB741_614 Depth=2
	s_or_b32 exec_lo, exec_lo, s8
	s_delay_alu instid0(SALU_CYCLE_1)
	s_mov_b32 s8, exec_lo
	v_cmpx_lt_u32_e64 v83, v2
	s_cbranch_execz .LBB741_658
.LBB741_643:                            ;   in Loop: Header=BB741_614 Depth=2
	v_xor_b32_e32 v37, 0x7fffffff, v25
	v_not_b32_e32 v36, v24
	s_delay_alu instid0(VALU_DEP_1) | instskip(SKIP_1) | instid1(VALU_DEP_2)
	v_lshrrev_b64 v[36:37], s40, v[36:37]
	v_lshlrev_b32_e32 v37, 2, v80
	v_and_b32_e32 v36, s42, v36
	s_delay_alu instid0(VALU_DEP_1) | instskip(SKIP_2) | instid1(SALU_CYCLE_1)
	v_lshl_or_b32 v36, v36, 4, v37
	ds_add_u32 v36, v123
	s_or_b32 exec_lo, exec_lo, s8
	s_mov_b32 s8, exec_lo
	v_cmpx_lt_u32_e64 v84, v2
	s_cbranch_execnz .LBB741_659
.LBB741_644:                            ;   in Loop: Header=BB741_614 Depth=2
	s_or_b32 exec_lo, exec_lo, s8
	s_delay_alu instid0(SALU_CYCLE_1)
	s_mov_b32 s8, exec_lo
	v_cmpx_lt_u32_e64 v85, v2
	s_cbranch_execz .LBB741_660
.LBB741_645:                            ;   in Loop: Header=BB741_614 Depth=2
	v_xor_b32_e32 v37, 0x7fffffff, v21
	v_not_b32_e32 v36, v20
	s_delay_alu instid0(VALU_DEP_1) | instskip(SKIP_1) | instid1(VALU_DEP_2)
	v_lshrrev_b64 v[36:37], s40, v[36:37]
	v_lshlrev_b32_e32 v37, 2, v80
	v_and_b32_e32 v36, s42, v36
	s_delay_alu instid0(VALU_DEP_1) | instskip(SKIP_2) | instid1(SALU_CYCLE_1)
	v_lshl_or_b32 v36, v36, 4, v37
	ds_add_u32 v36, v123
	s_or_b32 exec_lo, exec_lo, s8
	s_mov_b32 s8, exec_lo
	v_cmpx_lt_u32_e64 v86, v2
	s_cbranch_execnz .LBB741_661
.LBB741_646:                            ;   in Loop: Header=BB741_614 Depth=2
	s_or_b32 exec_lo, exec_lo, s8
	s_delay_alu instid0(SALU_CYCLE_1)
	s_mov_b32 s8, exec_lo
	v_cmpx_lt_u32_e64 v87, v2
	s_cbranch_execz .LBB741_662
.LBB741_647:                            ;   in Loop: Header=BB741_614 Depth=2
	v_xor_b32_e32 v37, 0x7fffffff, v17
	v_not_b32_e32 v36, v16
	s_delay_alu instid0(VALU_DEP_1) | instskip(SKIP_1) | instid1(VALU_DEP_2)
	v_lshrrev_b64 v[36:37], s40, v[36:37]
	v_lshlrev_b32_e32 v37, 2, v80
	v_and_b32_e32 v36, s42, v36
	s_delay_alu instid0(VALU_DEP_1) | instskip(SKIP_2) | instid1(SALU_CYCLE_1)
	v_lshl_or_b32 v36, v36, 4, v37
	ds_add_u32 v36, v123
	s_or_b32 exec_lo, exec_lo, s8
	s_mov_b32 s8, exec_lo
	v_cmpx_lt_u32_e64 v88, v2
	s_cbranch_execnz .LBB741_663
.LBB741_648:                            ;   in Loop: Header=BB741_614 Depth=2
	s_or_b32 exec_lo, exec_lo, s8
	s_delay_alu instid0(SALU_CYCLE_1)
	s_mov_b32 s8, exec_lo
	v_cmpx_lt_u32_e64 v89, v2
	s_cbranch_execz .LBB741_664
.LBB741_649:                            ;   in Loop: Header=BB741_614 Depth=2
	v_xor_b32_e32 v37, 0x7fffffff, v13
	v_not_b32_e32 v36, v12
	s_delay_alu instid0(VALU_DEP_1) | instskip(SKIP_1) | instid1(VALU_DEP_2)
	v_lshrrev_b64 v[36:37], s40, v[36:37]
	v_lshlrev_b32_e32 v37, 2, v80
	v_and_b32_e32 v36, s42, v36
	s_delay_alu instid0(VALU_DEP_1) | instskip(SKIP_2) | instid1(SALU_CYCLE_1)
	v_lshl_or_b32 v36, v36, 4, v37
	ds_add_u32 v36, v123
	s_or_b32 exec_lo, exec_lo, s8
	s_mov_b32 s8, exec_lo
	v_cmpx_lt_u32_e64 v90, v2
	s_cbranch_execnz .LBB741_665
.LBB741_650:                            ;   in Loop: Header=BB741_614 Depth=2
	s_or_b32 exec_lo, exec_lo, s8
	s_delay_alu instid0(SALU_CYCLE_1)
	s_mov_b32 s8, exec_lo
	v_cmpx_lt_u32_e64 v91, v2
	s_cbranch_execz .LBB741_666
.LBB741_651:                            ;   in Loop: Header=BB741_614 Depth=2
	v_xor_b32_e32 v37, 0x7fffffff, v9
	v_not_b32_e32 v36, v8
	s_delay_alu instid0(VALU_DEP_1) | instskip(SKIP_1) | instid1(VALU_DEP_2)
	v_lshrrev_b64 v[36:37], s40, v[36:37]
	v_lshlrev_b32_e32 v37, 2, v80
	v_and_b32_e32 v36, s42, v36
	s_delay_alu instid0(VALU_DEP_1) | instskip(SKIP_2) | instid1(SALU_CYCLE_1)
	v_lshl_or_b32 v36, v36, 4, v37
	ds_add_u32 v36, v123
	s_or_b32 exec_lo, exec_lo, s8
	s_mov_b32 s8, exec_lo
	v_cmpx_lt_u32_e64 v92, v2
	s_cbranch_execnz .LBB741_667
.LBB741_652:                            ;   in Loop: Header=BB741_614 Depth=2
	s_or_b32 exec_lo, exec_lo, s8
	s_delay_alu instid0(SALU_CYCLE_1)
	s_mov_b32 s8, exec_lo
	v_cmpx_lt_u32_e64 v93, v2
	s_cbranch_execz .LBB741_668
.LBB741_653:                            ;   in Loop: Header=BB741_614 Depth=2
	v_xor_b32_e32 v37, 0x7fffffff, v5
	v_not_b32_e32 v36, v4
	s_delay_alu instid0(VALU_DEP_1) | instskip(SKIP_1) | instid1(VALU_DEP_2)
	v_lshrrev_b64 v[36:37], s40, v[36:37]
	v_lshlrev_b32_e32 v37, 2, v80
	v_and_b32_e32 v36, s42, v36
	s_delay_alu instid0(VALU_DEP_1) | instskip(SKIP_2) | instid1(SALU_CYCLE_1)
	v_lshl_or_b32 v36, v36, 4, v37
	ds_add_u32 v36, v123
	s_or_b32 exec_lo, exec_lo, s8
	s_mov_b32 s8, exec_lo
	v_cmpx_lt_u32_e64 v95, v2
	s_cbranch_execz .LBB741_613
	s_branch .LBB741_669
.LBB741_654:                            ;   in Loop: Header=BB741_614 Depth=2
	s_or_b32 exec_lo, exec_lo, s8
	s_delay_alu instid0(SALU_CYCLE_1)
	s_mov_b32 s8, exec_lo
	v_cmpx_lt_u32_e64 v77, v2
	s_cbranch_execz .LBB741_640
.LBB741_655:                            ;   in Loop: Header=BB741_614 Depth=2
	v_xor_b32_e32 v37, 0x7fffffff, v31
	v_not_b32_e32 v36, v30
	s_delay_alu instid0(VALU_DEP_1) | instskip(SKIP_1) | instid1(VALU_DEP_2)
	v_lshrrev_b64 v[36:37], s40, v[36:37]
	v_lshlrev_b32_e32 v37, 2, v80
	v_and_b32_e32 v36, s42, v36
	s_delay_alu instid0(VALU_DEP_1) | instskip(SKIP_2) | instid1(SALU_CYCLE_1)
	v_lshl_or_b32 v36, v36, 4, v37
	ds_add_u32 v36, v123
	s_or_b32 exec_lo, exec_lo, s8
	s_mov_b32 s8, exec_lo
	v_cmpx_lt_u32_e64 v78, v2
	s_cbranch_execnz .LBB741_641
.LBB741_656:                            ;   in Loop: Header=BB741_614 Depth=2
	s_or_b32 exec_lo, exec_lo, s8
	s_delay_alu instid0(SALU_CYCLE_1)
	s_mov_b32 s8, exec_lo
	v_cmpx_lt_u32_e64 v79, v2
	s_cbranch_execz .LBB741_642
.LBB741_657:                            ;   in Loop: Header=BB741_614 Depth=2
	v_xor_b32_e32 v37, 0x7fffffff, v27
	v_not_b32_e32 v36, v26
	s_delay_alu instid0(VALU_DEP_1) | instskip(SKIP_1) | instid1(VALU_DEP_2)
	v_lshrrev_b64 v[36:37], s40, v[36:37]
	v_lshlrev_b32_e32 v37, 2, v80
	v_and_b32_e32 v36, s42, v36
	s_delay_alu instid0(VALU_DEP_1) | instskip(SKIP_2) | instid1(SALU_CYCLE_1)
	v_lshl_or_b32 v36, v36, 4, v37
	ds_add_u32 v36, v123
	s_or_b32 exec_lo, exec_lo, s8
	s_mov_b32 s8, exec_lo
	v_cmpx_lt_u32_e64 v83, v2
	s_cbranch_execnz .LBB741_643
.LBB741_658:                            ;   in Loop: Header=BB741_614 Depth=2
	s_or_b32 exec_lo, exec_lo, s8
	s_delay_alu instid0(SALU_CYCLE_1)
	s_mov_b32 s8, exec_lo
	v_cmpx_lt_u32_e64 v84, v2
	s_cbranch_execz .LBB741_644
.LBB741_659:                            ;   in Loop: Header=BB741_614 Depth=2
	v_xor_b32_e32 v37, 0x7fffffff, v23
	v_not_b32_e32 v36, v22
	s_delay_alu instid0(VALU_DEP_1) | instskip(SKIP_1) | instid1(VALU_DEP_2)
	v_lshrrev_b64 v[36:37], s40, v[36:37]
	v_lshlrev_b32_e32 v37, 2, v80
	v_and_b32_e32 v36, s42, v36
	s_delay_alu instid0(VALU_DEP_1) | instskip(SKIP_2) | instid1(SALU_CYCLE_1)
	v_lshl_or_b32 v36, v36, 4, v37
	ds_add_u32 v36, v123
	s_or_b32 exec_lo, exec_lo, s8
	s_mov_b32 s8, exec_lo
	v_cmpx_lt_u32_e64 v85, v2
	s_cbranch_execnz .LBB741_645
.LBB741_660:                            ;   in Loop: Header=BB741_614 Depth=2
	s_or_b32 exec_lo, exec_lo, s8
	s_delay_alu instid0(SALU_CYCLE_1)
	s_mov_b32 s8, exec_lo
	v_cmpx_lt_u32_e64 v86, v2
	s_cbranch_execz .LBB741_646
.LBB741_661:                            ;   in Loop: Header=BB741_614 Depth=2
	v_xor_b32_e32 v37, 0x7fffffff, v19
	v_not_b32_e32 v36, v18
	s_delay_alu instid0(VALU_DEP_1) | instskip(SKIP_1) | instid1(VALU_DEP_2)
	v_lshrrev_b64 v[36:37], s40, v[36:37]
	v_lshlrev_b32_e32 v37, 2, v80
	v_and_b32_e32 v36, s42, v36
	s_delay_alu instid0(VALU_DEP_1) | instskip(SKIP_2) | instid1(SALU_CYCLE_1)
	v_lshl_or_b32 v36, v36, 4, v37
	ds_add_u32 v36, v123
	s_or_b32 exec_lo, exec_lo, s8
	s_mov_b32 s8, exec_lo
	v_cmpx_lt_u32_e64 v87, v2
	s_cbranch_execnz .LBB741_647
.LBB741_662:                            ;   in Loop: Header=BB741_614 Depth=2
	s_or_b32 exec_lo, exec_lo, s8
	s_delay_alu instid0(SALU_CYCLE_1)
	s_mov_b32 s8, exec_lo
	v_cmpx_lt_u32_e64 v88, v2
	s_cbranch_execz .LBB741_648
.LBB741_663:                            ;   in Loop: Header=BB741_614 Depth=2
	v_xor_b32_e32 v37, 0x7fffffff, v15
	v_not_b32_e32 v36, v14
	s_delay_alu instid0(VALU_DEP_1) | instskip(SKIP_1) | instid1(VALU_DEP_2)
	v_lshrrev_b64 v[36:37], s40, v[36:37]
	v_lshlrev_b32_e32 v37, 2, v80
	v_and_b32_e32 v36, s42, v36
	s_delay_alu instid0(VALU_DEP_1) | instskip(SKIP_2) | instid1(SALU_CYCLE_1)
	v_lshl_or_b32 v36, v36, 4, v37
	ds_add_u32 v36, v123
	s_or_b32 exec_lo, exec_lo, s8
	s_mov_b32 s8, exec_lo
	v_cmpx_lt_u32_e64 v89, v2
	s_cbranch_execnz .LBB741_649
.LBB741_664:                            ;   in Loop: Header=BB741_614 Depth=2
	s_or_b32 exec_lo, exec_lo, s8
	s_delay_alu instid0(SALU_CYCLE_1)
	s_mov_b32 s8, exec_lo
	v_cmpx_lt_u32_e64 v90, v2
	s_cbranch_execz .LBB741_650
.LBB741_665:                            ;   in Loop: Header=BB741_614 Depth=2
	v_xor_b32_e32 v37, 0x7fffffff, v11
	v_not_b32_e32 v36, v10
	s_delay_alu instid0(VALU_DEP_1) | instskip(SKIP_1) | instid1(VALU_DEP_2)
	v_lshrrev_b64 v[36:37], s40, v[36:37]
	v_lshlrev_b32_e32 v37, 2, v80
	v_and_b32_e32 v36, s42, v36
	s_delay_alu instid0(VALU_DEP_1) | instskip(SKIP_2) | instid1(SALU_CYCLE_1)
	v_lshl_or_b32 v36, v36, 4, v37
	ds_add_u32 v36, v123
	s_or_b32 exec_lo, exec_lo, s8
	s_mov_b32 s8, exec_lo
	v_cmpx_lt_u32_e64 v91, v2
	s_cbranch_execnz .LBB741_651
.LBB741_666:                            ;   in Loop: Header=BB741_614 Depth=2
	s_or_b32 exec_lo, exec_lo, s8
	s_delay_alu instid0(SALU_CYCLE_1)
	s_mov_b32 s8, exec_lo
	v_cmpx_lt_u32_e64 v92, v2
	s_cbranch_execz .LBB741_652
.LBB741_667:                            ;   in Loop: Header=BB741_614 Depth=2
	v_xor_b32_e32 v37, 0x7fffffff, v7
	v_not_b32_e32 v36, v6
	s_delay_alu instid0(VALU_DEP_1) | instskip(SKIP_1) | instid1(VALU_DEP_2)
	v_lshrrev_b64 v[36:37], s40, v[36:37]
	v_lshlrev_b32_e32 v37, 2, v80
	v_and_b32_e32 v36, s42, v36
	s_delay_alu instid0(VALU_DEP_1) | instskip(SKIP_2) | instid1(SALU_CYCLE_1)
	v_lshl_or_b32 v36, v36, 4, v37
	ds_add_u32 v36, v123
	s_or_b32 exec_lo, exec_lo, s8
	s_mov_b32 s8, exec_lo
	v_cmpx_lt_u32_e64 v93, v2
	s_cbranch_execnz .LBB741_653
.LBB741_668:                            ;   in Loop: Header=BB741_614 Depth=2
	s_or_b32 exec_lo, exec_lo, s8
	s_delay_alu instid0(SALU_CYCLE_1)
	s_mov_b32 s8, exec_lo
	v_cmpx_lt_u32_e64 v95, v2
	s_cbranch_execz .LBB741_613
.LBB741_669:                            ;   in Loop: Header=BB741_614 Depth=2
	s_waitcnt vmcnt(0)
	v_xor_b32_e32 v37, 0x7fffffff, v35
	v_not_b32_e32 v36, v34
	s_delay_alu instid0(VALU_DEP_1) | instskip(NEXT) | instid1(VALU_DEP_1)
	v_lshrrev_b64 v[36:37], s40, v[36:37]
	v_and_b32_e32 v2, s42, v36
	v_lshlrev_b32_e32 v36, 2, v80
	s_delay_alu instid0(VALU_DEP_1)
	v_lshl_or_b32 v2, v2, 4, v36
	ds_add_u32 v2, v123
	s_branch .LBB741_613
.LBB741_670:                            ;   in Loop: Header=BB741_614 Depth=2
	s_or_b32 exec_lo, exec_lo, s9
	s_delay_alu instid0(SALU_CYCLE_1)
	s_mov_b32 s9, exec_lo
	v_cmpx_gt_u32_e64 s1, v77
	s_cbranch_execz .LBB741_620
.LBB741_671:                            ;   in Loop: Header=BB741_614 Depth=2
	global_load_b64 v[30:31], v124, s[10:11] offset:2048
	s_or_b32 exec_lo, exec_lo, s9
	s_delay_alu instid0(SALU_CYCLE_1)
	s_mov_b32 s9, exec_lo
	v_cmpx_gt_u32_e64 s1, v78
	s_cbranch_execnz .LBB741_621
.LBB741_672:                            ;   in Loop: Header=BB741_614 Depth=2
	s_or_b32 exec_lo, exec_lo, s9
	s_delay_alu instid0(SALU_CYCLE_1)
	s_mov_b32 s9, exec_lo
	v_cmpx_gt_u32_e64 s1, v79
	s_cbranch_execz .LBB741_622
.LBB741_673:                            ;   in Loop: Header=BB741_614 Depth=2
	global_load_b64 v[26:27], v126, s[10:11]
	s_or_b32 exec_lo, exec_lo, s9
	s_delay_alu instid0(SALU_CYCLE_1)
	s_mov_b32 s9, exec_lo
	v_cmpx_gt_u32_e64 s1, v83
	s_cbranch_execnz .LBB741_623
.LBB741_674:                            ;   in Loop: Header=BB741_614 Depth=2
	s_or_b32 exec_lo, exec_lo, s9
	s_delay_alu instid0(SALU_CYCLE_1)
	s_mov_b32 s9, exec_lo
	v_cmpx_gt_u32_e64 s1, v84
	s_cbranch_execz .LBB741_624
.LBB741_675:                            ;   in Loop: Header=BB741_614 Depth=2
	global_load_b64 v[22:23], v128, s[10:11]
	s_or_b32 exec_lo, exec_lo, s9
	s_delay_alu instid0(SALU_CYCLE_1)
	s_mov_b32 s9, exec_lo
	v_cmpx_gt_u32_e64 s1, v85
	s_cbranch_execnz .LBB741_625
.LBB741_676:                            ;   in Loop: Header=BB741_614 Depth=2
	s_or_b32 exec_lo, exec_lo, s9
	s_delay_alu instid0(SALU_CYCLE_1)
	s_mov_b32 s9, exec_lo
	v_cmpx_gt_u32_e64 s1, v86
	s_cbranch_execz .LBB741_626
.LBB741_677:                            ;   in Loop: Header=BB741_614 Depth=2
	global_load_b64 v[18:19], v130, s[10:11]
	s_or_b32 exec_lo, exec_lo, s9
	s_delay_alu instid0(SALU_CYCLE_1)
	s_mov_b32 s9, exec_lo
	v_cmpx_gt_u32_e64 s1, v87
	s_cbranch_execnz .LBB741_627
.LBB741_678:                            ;   in Loop: Header=BB741_614 Depth=2
	s_or_b32 exec_lo, exec_lo, s9
	s_delay_alu instid0(SALU_CYCLE_1)
	s_mov_b32 s9, exec_lo
	v_cmpx_gt_u32_e64 s1, v88
	s_cbranch_execz .LBB741_628
.LBB741_679:                            ;   in Loop: Header=BB741_614 Depth=2
	global_load_b64 v[14:15], v132, s[10:11]
	s_or_b32 exec_lo, exec_lo, s9
	s_delay_alu instid0(SALU_CYCLE_1)
	s_mov_b32 s9, exec_lo
	v_cmpx_gt_u32_e64 s1, v89
	s_cbranch_execnz .LBB741_629
.LBB741_680:                            ;   in Loop: Header=BB741_614 Depth=2
	s_or_b32 exec_lo, exec_lo, s9
	s_delay_alu instid0(SALU_CYCLE_1)
	s_mov_b32 s9, exec_lo
	v_cmpx_gt_u32_e64 s1, v90
	s_cbranch_execz .LBB741_630
.LBB741_681:                            ;   in Loop: Header=BB741_614 Depth=2
	global_load_b64 v[10:11], v134, s[10:11]
	s_or_b32 exec_lo, exec_lo, s9
	s_delay_alu instid0(SALU_CYCLE_1)
	s_mov_b32 s9, exec_lo
	v_cmpx_gt_u32_e64 s1, v91
	s_cbranch_execnz .LBB741_631
.LBB741_682:                            ;   in Loop: Header=BB741_614 Depth=2
	s_or_b32 exec_lo, exec_lo, s9
	s_delay_alu instid0(SALU_CYCLE_1)
	s_mov_b32 s9, exec_lo
	v_cmpx_gt_u32_e64 s1, v92
	s_cbranch_execz .LBB741_632
.LBB741_683:                            ;   in Loop: Header=BB741_614 Depth=2
	v_lshlrev_b32_e32 v2, 3, v92
	global_load_b64 v[6:7], v2, s[10:11]
	s_or_b32 exec_lo, exec_lo, s9
	s_delay_alu instid0(SALU_CYCLE_1)
	s_mov_b32 s9, exec_lo
	v_cmpx_gt_u32_e64 s1, v93
	s_cbranch_execz .LBB741_634
	s_branch .LBB741_633
.LBB741_684:                            ;   in Loop: Header=BB741_20 Depth=1
	v_mov_b32_e32 v2, 0
	s_waitcnt vmcnt(0) lgkmcnt(0)
	s_barrier
	buffer_gl0_inv
	s_and_saveexec_b32 s1, s2
	s_cbranch_execz .LBB741_686
; %bb.685:                              ;   in Loop: Header=BB741_20 Depth=1
	ds_load_2addr_b64 v[4:7], v96 offset1:1
	s_waitcnt lgkmcnt(0)
	v_add_nc_u32_e32 v2, v5, v4
	s_delay_alu instid0(VALU_DEP_1)
	v_add3_u32 v2, v2, v6, v7
.LBB741_686:                            ;   in Loop: Header=BB741_20 Depth=1
	s_or_b32 exec_lo, exec_lo, s1
	v_and_b32_e32 v4, 15, v136
	s_delay_alu instid0(VALU_DEP_2) | instskip(SKIP_1) | instid1(VALU_DEP_3)
	v_mov_b32_dpp v5, v2 row_shr:1 row_mask:0xf bank_mask:0xf
	v_and_b32_e32 v6, 16, v136
	v_cmp_eq_u32_e64 s1, 0, v4
	v_cmp_lt_u32_e64 s7, 1, v4
	v_cmp_lt_u32_e64 s8, 3, v4
	v_cmp_lt_u32_e64 s9, 7, v4
	v_cmp_eq_u32_e64 s10, 0, v6
	v_cndmask_b32_e64 v5, v5, 0, s1
	s_delay_alu instid0(VALU_DEP_1) | instskip(NEXT) | instid1(VALU_DEP_1)
	v_add_nc_u32_e32 v2, v5, v2
	v_mov_b32_dpp v5, v2 row_shr:2 row_mask:0xf bank_mask:0xf
	s_delay_alu instid0(VALU_DEP_1) | instskip(NEXT) | instid1(VALU_DEP_1)
	v_cndmask_b32_e64 v5, 0, v5, s7
	v_add_nc_u32_e32 v2, v2, v5
	s_delay_alu instid0(VALU_DEP_1) | instskip(NEXT) | instid1(VALU_DEP_1)
	v_mov_b32_dpp v5, v2 row_shr:4 row_mask:0xf bank_mask:0xf
	v_cndmask_b32_e64 v5, 0, v5, s8
	s_delay_alu instid0(VALU_DEP_1) | instskip(NEXT) | instid1(VALU_DEP_1)
	v_add_nc_u32_e32 v2, v2, v5
	v_mov_b32_dpp v5, v2 row_shr:8 row_mask:0xf bank_mask:0xf
	s_delay_alu instid0(VALU_DEP_1) | instskip(SKIP_1) | instid1(VALU_DEP_2)
	v_cndmask_b32_e64 v4, 0, v5, s9
	v_bfe_i32 v5, v136, 4, 1
	v_add_nc_u32_e32 v2, v2, v4
	ds_swizzle_b32 v4, v2 offset:swizzle(BROADCAST,32,15)
	s_waitcnt lgkmcnt(0)
	v_and_b32_e32 v4, v5, v4
	s_delay_alu instid0(VALU_DEP_1)
	v_add_nc_u32_e32 v4, v2, v4
	s_and_saveexec_b32 s11, s3
	s_cbranch_execz .LBB741_688
; %bb.687:                              ;   in Loop: Header=BB741_20 Depth=1
	ds_store_b32 v97, v4
.LBB741_688:                            ;   in Loop: Header=BB741_20 Depth=1
	s_or_b32 exec_lo, exec_lo, s11
	v_and_b32_e32 v2, 7, v136
	s_waitcnt lgkmcnt(0)
	s_barrier
	buffer_gl0_inv
	s_and_saveexec_b32 s11, s4
	s_cbranch_execz .LBB741_690
; %bb.689:                              ;   in Loop: Header=BB741_20 Depth=1
	ds_load_b32 v5, v98
	v_cmp_ne_u32_e32 vcc_lo, 0, v2
	s_waitcnt lgkmcnt(0)
	v_mov_b32_dpp v6, v5 row_shr:1 row_mask:0xf bank_mask:0xf
	s_delay_alu instid0(VALU_DEP_1) | instskip(SKIP_1) | instid1(VALU_DEP_2)
	v_cndmask_b32_e32 v6, 0, v6, vcc_lo
	v_cmp_lt_u32_e32 vcc_lo, 1, v2
	v_add_nc_u32_e32 v5, v6, v5
	s_delay_alu instid0(VALU_DEP_1) | instskip(NEXT) | instid1(VALU_DEP_1)
	v_mov_b32_dpp v6, v5 row_shr:2 row_mask:0xf bank_mask:0xf
	v_cndmask_b32_e32 v6, 0, v6, vcc_lo
	v_cmp_lt_u32_e32 vcc_lo, 3, v2
	s_delay_alu instid0(VALU_DEP_2) | instskip(NEXT) | instid1(VALU_DEP_1)
	v_add_nc_u32_e32 v5, v5, v6
	v_mov_b32_dpp v6, v5 row_shr:4 row_mask:0xf bank_mask:0xf
	s_delay_alu instid0(VALU_DEP_1) | instskip(NEXT) | instid1(VALU_DEP_1)
	v_cndmask_b32_e32 v6, 0, v6, vcc_lo
	v_add_nc_u32_e32 v5, v5, v6
	ds_store_b32 v98, v5
.LBB741_690:                            ;   in Loop: Header=BB741_20 Depth=1
	s_or_b32 exec_lo, exec_lo, s11
	v_mov_b32_e32 v5, 0
	s_waitcnt lgkmcnt(0)
	s_barrier
	buffer_gl0_inv
	s_and_saveexec_b32 s11, s5
	s_cbranch_execz .LBB741_692
; %bb.691:                              ;   in Loop: Header=BB741_20 Depth=1
	ds_load_b32 v5, v99
.LBB741_692:                            ;   in Loop: Header=BB741_20 Depth=1
	s_or_b32 exec_lo, exec_lo, s11
	v_add_nc_u32_e32 v6, -1, v136
	s_waitcnt lgkmcnt(0)
	v_add_nc_u32_e32 v4, v5, v4
	v_cmp_eq_u32_e64 s11, 0, v136
	s_barrier
	v_cmp_gt_i32_e32 vcc_lo, 0, v6
	buffer_gl0_inv
	v_cndmask_b32_e32 v6, v6, v136, vcc_lo
	s_delay_alu instid0(VALU_DEP_1)
	v_lshlrev_b32_e32 v137, 2, v6
	ds_bpermute_b32 v4, v137, v4
	s_and_saveexec_b32 s12, s2
	s_cbranch_execz .LBB741_694
; %bb.693:                              ;   in Loop: Header=BB741_20 Depth=1
	s_waitcnt lgkmcnt(0)
	v_cndmask_b32_e64 v4, v4, v5, s11
	s_delay_alu instid0(VALU_DEP_1)
	v_add_nc_u32_e32 v4, s60, v4
	ds_store_b32 v76, v4
.LBB741_694:                            ;   in Loop: Header=BB741_20 Depth=1
	s_or_b32 exec_lo, exec_lo, s12
	s_load_b64 s[12:13], s[36:37], 0x0
	v_lshlrev_b32_e32 v7, 3, v136
	v_or_b32_e32 v138, v136, v100
	s_mov_b32 s43, s62
	s_mov_b32 s38, s60
                                        ; implicit-def: $vgpr8_vgpr9
                                        ; implicit-def: $vgpr10_vgpr11
                                        ; implicit-def: $vgpr12_vgpr13
                                        ; implicit-def: $vgpr14_vgpr15
                                        ; implicit-def: $vgpr16_vgpr17
                                        ; implicit-def: $vgpr18_vgpr19
                                        ; implicit-def: $vgpr20_vgpr21
                                        ; implicit-def: $vgpr22_vgpr23
                                        ; implicit-def: $vgpr24_vgpr25
                                        ; implicit-def: $vgpr26_vgpr27
                                        ; implicit-def: $vgpr28_vgpr29
                                        ; implicit-def: $vgpr30_vgpr31
                                        ; implicit-def: $vgpr32_vgpr33
                                        ; implicit-def: $vgpr34_vgpr35
                                        ; implicit-def: $vgpr161
                                        ; implicit-def: $vgpr162
                                        ; implicit-def: $vgpr163
                                        ; implicit-def: $vgpr164
                                        ; implicit-def: $vgpr165
                                        ; implicit-def: $vgpr166
                                        ; implicit-def: $vgpr167
                                        ; implicit-def: $vgpr168
                                        ; implicit-def: $vgpr169
                                        ; implicit-def: $vgpr170
                                        ; implicit-def: $vgpr171
                                        ; implicit-def: $vgpr172
                                        ; implicit-def: $vgpr173
                                        ; implicit-def: $vgpr174
                                        ; implicit-def: $vgpr175
                                        ; implicit-def: $vgpr176
	s_delay_alu instid0(VALU_DEP_2) | instskip(SKIP_4) | instid1(VALU_DEP_3)
	v_add_co_u32 v139, vcc_lo, v119, v7
	v_add_co_ci_u32_e32 v140, vcc_lo, 0, v120, vcc_lo
	v_add_co_u32 v156, vcc_lo, v121, v7
	v_add_co_ci_u32_e32 v157, vcc_lo, 0, v122, vcc_lo
	v_or_b32_e32 v141, 32, v138
	v_add_co_u32 v159, vcc_lo, 0xf00, v156
	v_or_b32_e32 v142, 64, v138
	v_or_b32_e32 v143, 0x60, v138
	;; [unrolled: 1-line block ×3, first 2 shown]
	s_waitcnt lgkmcnt(0)
	s_cmp_lt_u32 s15, s13
	v_or_b32_e32 v145, 0xa0, v138
	s_cselect_b32 s13, 14, 20
	v_or_b32_e32 v146, 0xc0, v138
	s_add_u32 s16, s36, s13
	s_addc_u32 s17, s37, 0
	s_cmp_lt_u32 s14, s12
	global_load_u16 v4, v3, s[16:17]
	s_cselect_b32 s12, 12, 18
	v_or_b32_e32 v147, 0xe0, v138
	s_add_u32 s12, s36, s12
	s_addc_u32 s13, s37, 0
	v_or_b32_e32 v148, 0x100, v138
	global_load_u16 v6, v3, s[12:13]
	v_cmp_eq_u32_e64 s12, 0, v2
	v_cmp_lt_u32_e64 s13, 1, v2
	v_cmp_lt_u32_e64 s16, 3, v2
	v_or_b32_e32 v149, 0x120, v138
	v_or_b32_e32 v150, 0x140, v138
	;; [unrolled: 1-line block ×7, first 2 shown]
	v_add_co_ci_u32_e32 v160, vcc_lo, 0, v157, vcc_lo
	s_waitcnt vmcnt(1)
	v_mad_u32_u24 v2, v101, v4, v0
	s_waitcnt vmcnt(0)
	s_delay_alu instid0(VALU_DEP_1) | instskip(NEXT) | instid1(VALU_DEP_1)
	v_mad_u64_u32 v[4:5], null, v2, v6, v[1:2]
                                        ; implicit-def: $vgpr6_vgpr7
	v_lshrrev_b32_e32 v158, 5, v4
                                        ; implicit-def: $vgpr4_vgpr5
	s_branch .LBB741_696
.LBB741_695:                            ;   in Loop: Header=BB741_696 Depth=2
	s_or_b32 exec_lo, exec_lo, s17
	s_addk_i32 s43, 0xf000
	s_cmp_lt_u32 s50, s61
	s_mov_b32 s38, s50
	s_cbranch_scc0 .LBB741_904
.LBB741_696:                            ;   Parent Loop BB741_20 Depth=1
                                        ; =>  This Inner Loop Header: Depth=2
	s_add_i32 s50, s38, 0x1000
	s_delay_alu instid0(SALU_CYCLE_1)
	s_cmp_gt_u32 s50, s61
	s_cbranch_scc1 .LBB741_698
; %bb.697:                              ;   in Loop: Header=BB741_696 Depth=2
	s_mov_b32 s39, 0
	s_movk_i32 s17, 0x1000
	s_lshl_b64 s[18:19], s[38:39], 3
	s_delay_alu instid0(SALU_CYCLE_1)
	v_add_co_u32 v40, vcc_lo, v156, s18
	v_add_co_ci_u32_e32 v41, vcc_lo, s19, v157, vcc_lo
	s_mov_b32 s18, -1
	s_clause 0xe
	global_load_b64 v[36:37], v[40:41], off
	global_load_b64 v[38:39], v[40:41], off offset:256
	global_load_b64 v[44:45], v[40:41], off offset:512
	;; [unrolled: 1-line block ×14, first 2 shown]
	s_cbranch_execz .LBB741_699
	s_branch .LBB741_730
.LBB741_698:                            ;   in Loop: Header=BB741_696 Depth=2
	s_mov_b32 s39, -1
	s_mov_b32 s18, 0
                                        ; implicit-def: $sgpr17
                                        ; implicit-def: $vgpr36_vgpr37
                                        ; implicit-def: $vgpr38_vgpr39
                                        ; implicit-def: $vgpr44_vgpr45
                                        ; implicit-def: $vgpr48_vgpr49
                                        ; implicit-def: $vgpr54_vgpr55
                                        ; implicit-def: $vgpr58_vgpr59
                                        ; implicit-def: $vgpr62_vgpr63
                                        ; implicit-def: $vgpr66_vgpr67
                                        ; implicit-def: $vgpr64_vgpr65
                                        ; implicit-def: $vgpr60_vgpr61
                                        ; implicit-def: $vgpr56_vgpr57
                                        ; implicit-def: $vgpr52_vgpr53
                                        ; implicit-def: $vgpr50_vgpr51
                                        ; implicit-def: $vgpr46_vgpr47
                                        ; implicit-def: $vgpr40_vgpr41
.LBB741_699:                            ;   in Loop: Header=BB741_696 Depth=2
	s_mov_b32 s39, s34
	s_waitcnt vmcnt(14)
	v_dual_mov_b32 v37, s35 :: v_dual_mov_b32 v36, s34
	s_lshl_b64 s[18:19], s[38:39], 3
	s_mov_b32 s17, exec_lo
	v_add_co_u32 v42, vcc_lo, v156, s18
	v_add_co_ci_u32_e32 v43, vcc_lo, s19, v157, vcc_lo
	v_cmpx_gt_u32_e64 s43, v138
	s_cbranch_execz .LBB741_701
; %bb.700:                              ;   in Loop: Header=BB741_696 Depth=2
	global_load_b64 v[36:37], v[42:43], off
.LBB741_701:                            ;   in Loop: Header=BB741_696 Depth=2
	s_or_b32 exec_lo, exec_lo, s17
	s_waitcnt vmcnt(13)
	v_dual_mov_b32 v39, s35 :: v_dual_mov_b32 v38, s34
	s_mov_b32 s17, exec_lo
	v_cmpx_gt_u32_e64 s43, v141
	s_cbranch_execz .LBB741_703
; %bb.702:                              ;   in Loop: Header=BB741_696 Depth=2
	global_load_b64 v[38:39], v[42:43], off offset:256
.LBB741_703:                            ;   in Loop: Header=BB741_696 Depth=2
	s_or_b32 exec_lo, exec_lo, s17
	s_waitcnt vmcnt(12)
	v_dual_mov_b32 v45, s35 :: v_dual_mov_b32 v44, s34
	s_mov_b32 s17, exec_lo
	v_cmpx_gt_u32_e64 s43, v142
	s_cbranch_execz .LBB741_705
; %bb.704:                              ;   in Loop: Header=BB741_696 Depth=2
	global_load_b64 v[44:45], v[42:43], off offset:512
.LBB741_705:                            ;   in Loop: Header=BB741_696 Depth=2
	;; [unrolled: 9-line block ×14, first 2 shown]
	s_or_b32 exec_lo, exec_lo, s17
	v_cmp_gt_u32_e64 s18, s43, v155
	s_sub_i32 s17, s61, s38
.LBB741_730:                            ;   in Loop: Header=BB741_696 Depth=2
	v_dual_mov_b32 v43, s35 :: v_dual_mov_b32 v42, s34
	v_mov_b32_e32 v177, s43
	s_delay_alu instid0(VALU_DEP_3)
	s_and_saveexec_b32 s19, s18
	s_cbranch_execz .LBB741_732
; %bb.731:                              ;   in Loop: Header=BB741_696 Depth=2
	s_lshl_b64 s[20:21], s[38:39], 3
	v_mov_b32_e32 v177, s17
	v_add_co_u32 v42, vcc_lo, v159, s20
	v_add_co_ci_u32_e32 v43, vcc_lo, s21, v160, vcc_lo
	global_load_b64 v[42:43], v[42:43], off
.LBB741_732:                            ;   in Loop: Header=BB741_696 Depth=2
	s_or_b32 exec_lo, exec_lo, s19
	s_waitcnt vmcnt(14)
	v_xor_b32_e32 v37, 0x7fffffff, v37
	v_not_b32_e32 v36, v36
	ds_store_b32 v102, v3 offset:1056
	ds_store_2addr_b32 v103, v3, v3 offset0:1 offset1:2
	ds_store_2addr_b32 v103, v3, v3 offset0:3 offset1:4
	;; [unrolled: 1-line block ×4, first 2 shown]
	s_waitcnt vmcnt(0) lgkmcnt(0)
	s_barrier
	v_lshrrev_b64 v[68:69], s40, v[36:37]
	buffer_gl0_inv
	; wave barrier
	v_and_b32_e32 v69, s42, v68
	s_delay_alu instid0(VALU_DEP_1)
	v_and_b32_e32 v2, 1, v69
	v_lshlrev_b32_e32 v68, 30, v69
	v_lshlrev_b32_e32 v70, 29, v69
	;; [unrolled: 1-line block ×4, first 2 shown]
	v_add_co_u32 v2, s17, v2, -1
	s_delay_alu instid0(VALU_DEP_1)
	v_cndmask_b32_e64 v72, 0, 1, s17
	v_not_b32_e32 v178, v68
	v_cmp_gt_i32_e64 s17, 0, v68
	v_not_b32_e32 v68, v70
	v_lshlrev_b32_e32 v74, 26, v69
	v_cmp_ne_u32_e32 vcc_lo, 0, v72
	v_ashrrev_i32_e32 v178, 31, v178
	v_lshlrev_b32_e32 v75, 25, v69
	v_ashrrev_i32_e32 v68, 31, v68
	v_lshlrev_b32_e32 v72, 24, v69
	v_xor_b32_e32 v2, vcc_lo, v2
	v_cmp_gt_i32_e32 vcc_lo, 0, v70
	v_not_b32_e32 v70, v71
	v_xor_b32_e32 v178, s17, v178
	v_cmp_gt_i32_e64 s17, 0, v71
	v_and_b32_e32 v2, exec_lo, v2
	v_not_b32_e32 v71, v73
	v_ashrrev_i32_e32 v70, 31, v70
	v_xor_b32_e32 v68, vcc_lo, v68
	v_cmp_gt_i32_e32 vcc_lo, 0, v73
	v_and_b32_e32 v2, v2, v178
	v_not_b32_e32 v73, v74
	v_ashrrev_i32_e32 v71, 31, v71
	v_xor_b32_e32 v70, s17, v70
	v_cmp_gt_i32_e64 s17, 0, v74
	v_and_b32_e32 v2, v2, v68
	v_not_b32_e32 v68, v75
	v_ashrrev_i32_e32 v73, 31, v73
	v_xor_b32_e32 v71, vcc_lo, v71
	v_cmp_gt_i32_e32 vcc_lo, 0, v75
	v_and_b32_e32 v2, v2, v70
	v_not_b32_e32 v70, v72
	v_ashrrev_i32_e32 v68, 31, v68
	v_xor_b32_e32 v73, s17, v73
	v_cmp_gt_i32_e64 s17, 0, v72
	v_and_b32_e32 v2, v2, v71
	v_ashrrev_i32_e32 v70, 31, v70
	v_xor_b32_e32 v68, vcc_lo, v68
	v_mad_u32_u24 v69, v69, 9, v158
	s_delay_alu instid0(VALU_DEP_4) | instskip(NEXT) | instid1(VALU_DEP_4)
	v_and_b32_e32 v2, v2, v73
	v_xor_b32_e32 v70, s17, v70
	s_delay_alu instid0(VALU_DEP_3) | instskip(NEXT) | instid1(VALU_DEP_3)
	v_lshl_add_u32 v178, v69, 2, 0x420
	v_and_b32_e32 v2, v2, v68
	s_delay_alu instid0(VALU_DEP_1) | instskip(NEXT) | instid1(VALU_DEP_1)
	v_and_b32_e32 v68, v2, v70
	v_mbcnt_lo_u32_b32 v2, v68, 0
	v_cmp_ne_u32_e64 s17, 0, v68
	s_delay_alu instid0(VALU_DEP_2) | instskip(NEXT) | instid1(VALU_DEP_2)
	v_cmp_eq_u32_e32 vcc_lo, 0, v2
	s_and_b32 s18, s17, vcc_lo
	s_delay_alu instid0(SALU_CYCLE_1)
	s_and_saveexec_b32 s17, s18
	s_cbranch_execz .LBB741_734
; %bb.733:                              ;   in Loop: Header=BB741_696 Depth=2
	v_bcnt_u32_b32 v68, v68, 0
	ds_store_b32 v178, v68
.LBB741_734:                            ;   in Loop: Header=BB741_696 Depth=2
	s_or_b32 exec_lo, exec_lo, s17
	v_xor_b32_e32 v39, 0x7fffffff, v39
	v_not_b32_e32 v38, v38
	; wave barrier
	s_delay_alu instid0(VALU_DEP_1) | instskip(NEXT) | instid1(VALU_DEP_1)
	v_lshrrev_b64 v[68:69], s40, v[38:39]
	v_and_b32_e32 v68, s42, v68
	s_delay_alu instid0(VALU_DEP_1)
	v_and_b32_e32 v69, 1, v68
	v_lshlrev_b32_e32 v70, 30, v68
	v_lshlrev_b32_e32 v71, 29, v68
	;; [unrolled: 1-line block ×4, first 2 shown]
	v_add_co_u32 v69, s17, v69, -1
	s_delay_alu instid0(VALU_DEP_1)
	v_cndmask_b32_e64 v73, 0, 1, s17
	v_not_b32_e32 v180, v70
	v_cmp_gt_i32_e64 s17, 0, v70
	v_not_b32_e32 v70, v71
	v_lshlrev_b32_e32 v75, 26, v68
	v_cmp_ne_u32_e32 vcc_lo, 0, v73
	v_ashrrev_i32_e32 v180, 31, v180
	v_lshlrev_b32_e32 v179, 25, v68
	v_ashrrev_i32_e32 v70, 31, v70
	v_lshlrev_b32_e32 v73, 24, v68
	v_xor_b32_e32 v69, vcc_lo, v69
	v_cmp_gt_i32_e32 vcc_lo, 0, v71
	v_not_b32_e32 v71, v72
	v_xor_b32_e32 v180, s17, v180
	v_cmp_gt_i32_e64 s17, 0, v72
	v_and_b32_e32 v69, exec_lo, v69
	v_not_b32_e32 v72, v74
	v_ashrrev_i32_e32 v71, 31, v71
	v_xor_b32_e32 v70, vcc_lo, v70
	v_cmp_gt_i32_e32 vcc_lo, 0, v74
	v_and_b32_e32 v69, v69, v180
	v_not_b32_e32 v74, v75
	v_ashrrev_i32_e32 v72, 31, v72
	v_xor_b32_e32 v71, s17, v71
	v_cmp_gt_i32_e64 s17, 0, v75
	v_and_b32_e32 v69, v69, v70
	v_not_b32_e32 v70, v179
	v_ashrrev_i32_e32 v74, 31, v74
	v_xor_b32_e32 v72, vcc_lo, v72
	v_cmp_gt_i32_e32 vcc_lo, 0, v179
	v_and_b32_e32 v69, v69, v71
	v_not_b32_e32 v71, v73
	v_ashrrev_i32_e32 v70, 31, v70
	v_xor_b32_e32 v74, s17, v74
	v_mul_u32_u24_e32 v68, 9, v68
	v_and_b32_e32 v69, v69, v72
	v_cmp_gt_i32_e64 s17, 0, v73
	v_ashrrev_i32_e32 v71, 31, v71
	v_xor_b32_e32 v70, vcc_lo, v70
	v_add_lshl_u32 v72, v68, v158, 2
	v_and_b32_e32 v69, v69, v74
	s_delay_alu instid0(VALU_DEP_4) | instskip(SKIP_3) | instid1(VALU_DEP_2)
	v_xor_b32_e32 v68, s17, v71
	ds_load_b32 v179, v72 offset:1056
	v_and_b32_e32 v69, v69, v70
	v_add_nc_u32_e32 v181, 0x420, v72
	; wave barrier
	v_and_b32_e32 v68, v69, v68
	s_delay_alu instid0(VALU_DEP_1) | instskip(SKIP_1) | instid1(VALU_DEP_2)
	v_mbcnt_lo_u32_b32 v180, v68, 0
	v_cmp_ne_u32_e64 s17, 0, v68
	v_cmp_eq_u32_e32 vcc_lo, 0, v180
	s_delay_alu instid0(VALU_DEP_2) | instskip(NEXT) | instid1(SALU_CYCLE_1)
	s_and_b32 s18, s17, vcc_lo
	s_and_saveexec_b32 s17, s18
	s_cbranch_execz .LBB741_736
; %bb.735:                              ;   in Loop: Header=BB741_696 Depth=2
	s_waitcnt lgkmcnt(0)
	v_bcnt_u32_b32 v68, v68, v179
	ds_store_b32 v181, v68
.LBB741_736:                            ;   in Loop: Header=BB741_696 Depth=2
	s_or_b32 exec_lo, exec_lo, s17
	v_xor_b32_e32 v45, 0x7fffffff, v45
	v_not_b32_e32 v44, v44
	; wave barrier
	s_delay_alu instid0(VALU_DEP_1) | instskip(NEXT) | instid1(VALU_DEP_1)
	v_lshrrev_b64 v[68:69], s40, v[44:45]
	v_and_b32_e32 v68, s42, v68
	s_delay_alu instid0(VALU_DEP_1)
	v_and_b32_e32 v69, 1, v68
	v_lshlrev_b32_e32 v70, 30, v68
	v_lshlrev_b32_e32 v71, 29, v68
	;; [unrolled: 1-line block ×4, first 2 shown]
	v_add_co_u32 v69, s17, v69, -1
	s_delay_alu instid0(VALU_DEP_1)
	v_cndmask_b32_e64 v73, 0, 1, s17
	v_not_b32_e32 v183, v70
	v_cmp_gt_i32_e64 s17, 0, v70
	v_not_b32_e32 v70, v71
	v_lshlrev_b32_e32 v75, 26, v68
	v_cmp_ne_u32_e32 vcc_lo, 0, v73
	v_ashrrev_i32_e32 v183, 31, v183
	v_lshlrev_b32_e32 v182, 25, v68
	v_ashrrev_i32_e32 v70, 31, v70
	v_lshlrev_b32_e32 v73, 24, v68
	v_xor_b32_e32 v69, vcc_lo, v69
	v_cmp_gt_i32_e32 vcc_lo, 0, v71
	v_not_b32_e32 v71, v72
	v_xor_b32_e32 v183, s17, v183
	v_cmp_gt_i32_e64 s17, 0, v72
	v_and_b32_e32 v69, exec_lo, v69
	v_not_b32_e32 v72, v74
	v_ashrrev_i32_e32 v71, 31, v71
	v_xor_b32_e32 v70, vcc_lo, v70
	v_cmp_gt_i32_e32 vcc_lo, 0, v74
	v_and_b32_e32 v69, v69, v183
	v_not_b32_e32 v74, v75
	v_ashrrev_i32_e32 v72, 31, v72
	v_xor_b32_e32 v71, s17, v71
	v_cmp_gt_i32_e64 s17, 0, v75
	v_and_b32_e32 v69, v69, v70
	v_not_b32_e32 v70, v182
	v_ashrrev_i32_e32 v74, 31, v74
	v_xor_b32_e32 v72, vcc_lo, v72
	v_cmp_gt_i32_e32 vcc_lo, 0, v182
	v_and_b32_e32 v69, v69, v71
	v_not_b32_e32 v71, v73
	v_ashrrev_i32_e32 v70, 31, v70
	v_xor_b32_e32 v74, s17, v74
	v_mul_u32_u24_e32 v68, 9, v68
	v_and_b32_e32 v69, v69, v72
	v_cmp_gt_i32_e64 s17, 0, v73
	v_ashrrev_i32_e32 v71, 31, v71
	v_xor_b32_e32 v70, vcc_lo, v70
	v_add_lshl_u32 v72, v68, v158, 2
	v_and_b32_e32 v69, v69, v74
	s_delay_alu instid0(VALU_DEP_4) | instskip(SKIP_3) | instid1(VALU_DEP_2)
	v_xor_b32_e32 v68, s17, v71
	ds_load_b32 v182, v72 offset:1056
	v_and_b32_e32 v69, v69, v70
	v_add_nc_u32_e32 v184, 0x420, v72
	; wave barrier
	v_and_b32_e32 v68, v69, v68
	s_delay_alu instid0(VALU_DEP_1) | instskip(SKIP_1) | instid1(VALU_DEP_2)
	v_mbcnt_lo_u32_b32 v183, v68, 0
	v_cmp_ne_u32_e64 s17, 0, v68
	v_cmp_eq_u32_e32 vcc_lo, 0, v183
	s_delay_alu instid0(VALU_DEP_2) | instskip(NEXT) | instid1(SALU_CYCLE_1)
	s_and_b32 s18, s17, vcc_lo
	s_and_saveexec_b32 s17, s18
	s_cbranch_execz .LBB741_738
; %bb.737:                              ;   in Loop: Header=BB741_696 Depth=2
	s_waitcnt lgkmcnt(0)
	v_bcnt_u32_b32 v68, v68, v182
	ds_store_b32 v184, v68
.LBB741_738:                            ;   in Loop: Header=BB741_696 Depth=2
	s_or_b32 exec_lo, exec_lo, s17
	v_xor_b32_e32 v49, 0x7fffffff, v49
	v_not_b32_e32 v48, v48
	; wave barrier
	s_delay_alu instid0(VALU_DEP_1) | instskip(NEXT) | instid1(VALU_DEP_1)
	v_lshrrev_b64 v[68:69], s40, v[48:49]
	v_and_b32_e32 v68, s42, v68
	s_delay_alu instid0(VALU_DEP_1)
	v_and_b32_e32 v69, 1, v68
	v_lshlrev_b32_e32 v70, 30, v68
	v_lshlrev_b32_e32 v71, 29, v68
	;; [unrolled: 1-line block ×4, first 2 shown]
	v_add_co_u32 v69, s17, v69, -1
	s_delay_alu instid0(VALU_DEP_1)
	v_cndmask_b32_e64 v73, 0, 1, s17
	v_not_b32_e32 v186, v70
	v_cmp_gt_i32_e64 s17, 0, v70
	v_not_b32_e32 v70, v71
	v_lshlrev_b32_e32 v75, 26, v68
	v_cmp_ne_u32_e32 vcc_lo, 0, v73
	v_ashrrev_i32_e32 v186, 31, v186
	v_lshlrev_b32_e32 v185, 25, v68
	v_ashrrev_i32_e32 v70, 31, v70
	v_lshlrev_b32_e32 v73, 24, v68
	v_xor_b32_e32 v69, vcc_lo, v69
	v_cmp_gt_i32_e32 vcc_lo, 0, v71
	v_not_b32_e32 v71, v72
	v_xor_b32_e32 v186, s17, v186
	v_cmp_gt_i32_e64 s17, 0, v72
	v_and_b32_e32 v69, exec_lo, v69
	v_not_b32_e32 v72, v74
	v_ashrrev_i32_e32 v71, 31, v71
	v_xor_b32_e32 v70, vcc_lo, v70
	v_cmp_gt_i32_e32 vcc_lo, 0, v74
	v_and_b32_e32 v69, v69, v186
	v_not_b32_e32 v74, v75
	v_ashrrev_i32_e32 v72, 31, v72
	v_xor_b32_e32 v71, s17, v71
	v_cmp_gt_i32_e64 s17, 0, v75
	v_and_b32_e32 v69, v69, v70
	v_not_b32_e32 v70, v185
	v_ashrrev_i32_e32 v74, 31, v74
	v_xor_b32_e32 v72, vcc_lo, v72
	v_cmp_gt_i32_e32 vcc_lo, 0, v185
	v_and_b32_e32 v69, v69, v71
	v_not_b32_e32 v71, v73
	v_ashrrev_i32_e32 v70, 31, v70
	v_xor_b32_e32 v74, s17, v74
	v_mul_u32_u24_e32 v68, 9, v68
	v_and_b32_e32 v69, v69, v72
	v_cmp_gt_i32_e64 s17, 0, v73
	v_ashrrev_i32_e32 v71, 31, v71
	v_xor_b32_e32 v70, vcc_lo, v70
	v_add_lshl_u32 v72, v68, v158, 2
	v_and_b32_e32 v69, v69, v74
	s_delay_alu instid0(VALU_DEP_4) | instskip(SKIP_3) | instid1(VALU_DEP_2)
	v_xor_b32_e32 v68, s17, v71
	ds_load_b32 v185, v72 offset:1056
	v_and_b32_e32 v69, v69, v70
	v_add_nc_u32_e32 v187, 0x420, v72
	; wave barrier
	v_and_b32_e32 v68, v69, v68
	s_delay_alu instid0(VALU_DEP_1) | instskip(SKIP_1) | instid1(VALU_DEP_2)
	v_mbcnt_lo_u32_b32 v186, v68, 0
	v_cmp_ne_u32_e64 s17, 0, v68
	v_cmp_eq_u32_e32 vcc_lo, 0, v186
	s_delay_alu instid0(VALU_DEP_2) | instskip(NEXT) | instid1(SALU_CYCLE_1)
	s_and_b32 s18, s17, vcc_lo
	s_and_saveexec_b32 s17, s18
	s_cbranch_execz .LBB741_740
; %bb.739:                              ;   in Loop: Header=BB741_696 Depth=2
	s_waitcnt lgkmcnt(0)
	v_bcnt_u32_b32 v68, v68, v185
	ds_store_b32 v187, v68
.LBB741_740:                            ;   in Loop: Header=BB741_696 Depth=2
	s_or_b32 exec_lo, exec_lo, s17
	v_xor_b32_e32 v55, 0x7fffffff, v55
	v_not_b32_e32 v54, v54
	; wave barrier
	s_delay_alu instid0(VALU_DEP_1) | instskip(NEXT) | instid1(VALU_DEP_1)
	v_lshrrev_b64 v[68:69], s40, v[54:55]
	v_and_b32_e32 v68, s42, v68
	s_delay_alu instid0(VALU_DEP_1)
	v_and_b32_e32 v69, 1, v68
	v_lshlrev_b32_e32 v70, 30, v68
	v_lshlrev_b32_e32 v71, 29, v68
	;; [unrolled: 1-line block ×4, first 2 shown]
	v_add_co_u32 v69, s17, v69, -1
	s_delay_alu instid0(VALU_DEP_1)
	v_cndmask_b32_e64 v73, 0, 1, s17
	v_not_b32_e32 v189, v70
	v_cmp_gt_i32_e64 s17, 0, v70
	v_not_b32_e32 v70, v71
	v_lshlrev_b32_e32 v75, 26, v68
	v_cmp_ne_u32_e32 vcc_lo, 0, v73
	v_ashrrev_i32_e32 v189, 31, v189
	v_lshlrev_b32_e32 v188, 25, v68
	v_ashrrev_i32_e32 v70, 31, v70
	v_lshlrev_b32_e32 v73, 24, v68
	v_xor_b32_e32 v69, vcc_lo, v69
	v_cmp_gt_i32_e32 vcc_lo, 0, v71
	v_not_b32_e32 v71, v72
	v_xor_b32_e32 v189, s17, v189
	v_cmp_gt_i32_e64 s17, 0, v72
	v_and_b32_e32 v69, exec_lo, v69
	v_not_b32_e32 v72, v74
	v_ashrrev_i32_e32 v71, 31, v71
	v_xor_b32_e32 v70, vcc_lo, v70
	v_cmp_gt_i32_e32 vcc_lo, 0, v74
	v_and_b32_e32 v69, v69, v189
	v_not_b32_e32 v74, v75
	v_ashrrev_i32_e32 v72, 31, v72
	v_xor_b32_e32 v71, s17, v71
	v_cmp_gt_i32_e64 s17, 0, v75
	v_and_b32_e32 v69, v69, v70
	v_not_b32_e32 v70, v188
	v_ashrrev_i32_e32 v74, 31, v74
	v_xor_b32_e32 v72, vcc_lo, v72
	v_cmp_gt_i32_e32 vcc_lo, 0, v188
	v_and_b32_e32 v69, v69, v71
	v_not_b32_e32 v71, v73
	v_ashrrev_i32_e32 v70, 31, v70
	v_xor_b32_e32 v74, s17, v74
	v_mul_u32_u24_e32 v68, 9, v68
	v_and_b32_e32 v69, v69, v72
	v_cmp_gt_i32_e64 s17, 0, v73
	v_ashrrev_i32_e32 v71, 31, v71
	v_xor_b32_e32 v70, vcc_lo, v70
	v_add_lshl_u32 v72, v68, v158, 2
	v_and_b32_e32 v69, v69, v74
	s_delay_alu instid0(VALU_DEP_4) | instskip(SKIP_3) | instid1(VALU_DEP_2)
	v_xor_b32_e32 v68, s17, v71
	ds_load_b32 v188, v72 offset:1056
	v_and_b32_e32 v69, v69, v70
	v_add_nc_u32_e32 v190, 0x420, v72
	; wave barrier
	v_and_b32_e32 v68, v69, v68
	s_delay_alu instid0(VALU_DEP_1) | instskip(SKIP_1) | instid1(VALU_DEP_2)
	v_mbcnt_lo_u32_b32 v189, v68, 0
	v_cmp_ne_u32_e64 s17, 0, v68
	v_cmp_eq_u32_e32 vcc_lo, 0, v189
	s_delay_alu instid0(VALU_DEP_2) | instskip(NEXT) | instid1(SALU_CYCLE_1)
	s_and_b32 s18, s17, vcc_lo
	s_and_saveexec_b32 s17, s18
	s_cbranch_execz .LBB741_742
; %bb.741:                              ;   in Loop: Header=BB741_696 Depth=2
	s_waitcnt lgkmcnt(0)
	v_bcnt_u32_b32 v68, v68, v188
	ds_store_b32 v190, v68
.LBB741_742:                            ;   in Loop: Header=BB741_696 Depth=2
	s_or_b32 exec_lo, exec_lo, s17
	v_xor_b32_e32 v59, 0x7fffffff, v59
	v_not_b32_e32 v58, v58
	; wave barrier
	s_delay_alu instid0(VALU_DEP_1) | instskip(NEXT) | instid1(VALU_DEP_1)
	v_lshrrev_b64 v[68:69], s40, v[58:59]
	v_and_b32_e32 v68, s42, v68
	s_delay_alu instid0(VALU_DEP_1)
	v_and_b32_e32 v69, 1, v68
	v_lshlrev_b32_e32 v70, 30, v68
	v_lshlrev_b32_e32 v71, 29, v68
	;; [unrolled: 1-line block ×4, first 2 shown]
	v_add_co_u32 v69, s17, v69, -1
	s_delay_alu instid0(VALU_DEP_1)
	v_cndmask_b32_e64 v73, 0, 1, s17
	v_not_b32_e32 v192, v70
	v_cmp_gt_i32_e64 s17, 0, v70
	v_not_b32_e32 v70, v71
	v_lshlrev_b32_e32 v75, 26, v68
	v_cmp_ne_u32_e32 vcc_lo, 0, v73
	v_ashrrev_i32_e32 v192, 31, v192
	v_lshlrev_b32_e32 v191, 25, v68
	v_ashrrev_i32_e32 v70, 31, v70
	v_lshlrev_b32_e32 v73, 24, v68
	v_xor_b32_e32 v69, vcc_lo, v69
	v_cmp_gt_i32_e32 vcc_lo, 0, v71
	v_not_b32_e32 v71, v72
	v_xor_b32_e32 v192, s17, v192
	v_cmp_gt_i32_e64 s17, 0, v72
	v_and_b32_e32 v69, exec_lo, v69
	v_not_b32_e32 v72, v74
	v_ashrrev_i32_e32 v71, 31, v71
	v_xor_b32_e32 v70, vcc_lo, v70
	v_cmp_gt_i32_e32 vcc_lo, 0, v74
	v_and_b32_e32 v69, v69, v192
	v_not_b32_e32 v74, v75
	v_ashrrev_i32_e32 v72, 31, v72
	v_xor_b32_e32 v71, s17, v71
	v_cmp_gt_i32_e64 s17, 0, v75
	v_and_b32_e32 v69, v69, v70
	v_not_b32_e32 v70, v191
	v_ashrrev_i32_e32 v74, 31, v74
	v_xor_b32_e32 v72, vcc_lo, v72
	v_cmp_gt_i32_e32 vcc_lo, 0, v191
	v_and_b32_e32 v69, v69, v71
	v_not_b32_e32 v71, v73
	v_ashrrev_i32_e32 v70, 31, v70
	v_xor_b32_e32 v74, s17, v74
	v_mul_u32_u24_e32 v68, 9, v68
	v_and_b32_e32 v69, v69, v72
	v_cmp_gt_i32_e64 s17, 0, v73
	v_ashrrev_i32_e32 v71, 31, v71
	v_xor_b32_e32 v70, vcc_lo, v70
	v_add_lshl_u32 v72, v68, v158, 2
	v_and_b32_e32 v69, v69, v74
	s_delay_alu instid0(VALU_DEP_4) | instskip(SKIP_3) | instid1(VALU_DEP_2)
	v_xor_b32_e32 v68, s17, v71
	ds_load_b32 v191, v72 offset:1056
	v_and_b32_e32 v69, v69, v70
	v_add_nc_u32_e32 v193, 0x420, v72
	; wave barrier
	v_and_b32_e32 v68, v69, v68
	s_delay_alu instid0(VALU_DEP_1) | instskip(SKIP_1) | instid1(VALU_DEP_2)
	v_mbcnt_lo_u32_b32 v192, v68, 0
	v_cmp_ne_u32_e64 s17, 0, v68
	v_cmp_eq_u32_e32 vcc_lo, 0, v192
	s_delay_alu instid0(VALU_DEP_2) | instskip(NEXT) | instid1(SALU_CYCLE_1)
	s_and_b32 s18, s17, vcc_lo
	s_and_saveexec_b32 s17, s18
	s_cbranch_execz .LBB741_744
; %bb.743:                              ;   in Loop: Header=BB741_696 Depth=2
	s_waitcnt lgkmcnt(0)
	v_bcnt_u32_b32 v68, v68, v191
	ds_store_b32 v193, v68
.LBB741_744:                            ;   in Loop: Header=BB741_696 Depth=2
	s_or_b32 exec_lo, exec_lo, s17
	v_xor_b32_e32 v63, 0x7fffffff, v63
	v_not_b32_e32 v62, v62
	; wave barrier
	s_delay_alu instid0(VALU_DEP_1) | instskip(NEXT) | instid1(VALU_DEP_1)
	v_lshrrev_b64 v[68:69], s40, v[62:63]
	v_and_b32_e32 v68, s42, v68
	s_delay_alu instid0(VALU_DEP_1)
	v_and_b32_e32 v69, 1, v68
	v_lshlrev_b32_e32 v70, 30, v68
	v_lshlrev_b32_e32 v71, 29, v68
	;; [unrolled: 1-line block ×4, first 2 shown]
	v_add_co_u32 v69, s17, v69, -1
	s_delay_alu instid0(VALU_DEP_1)
	v_cndmask_b32_e64 v73, 0, 1, s17
	v_not_b32_e32 v195, v70
	v_cmp_gt_i32_e64 s17, 0, v70
	v_not_b32_e32 v70, v71
	v_lshlrev_b32_e32 v75, 26, v68
	v_cmp_ne_u32_e32 vcc_lo, 0, v73
	v_ashrrev_i32_e32 v195, 31, v195
	v_lshlrev_b32_e32 v194, 25, v68
	v_ashrrev_i32_e32 v70, 31, v70
	v_lshlrev_b32_e32 v73, 24, v68
	v_xor_b32_e32 v69, vcc_lo, v69
	v_cmp_gt_i32_e32 vcc_lo, 0, v71
	v_not_b32_e32 v71, v72
	v_xor_b32_e32 v195, s17, v195
	v_cmp_gt_i32_e64 s17, 0, v72
	v_and_b32_e32 v69, exec_lo, v69
	v_not_b32_e32 v72, v74
	v_ashrrev_i32_e32 v71, 31, v71
	v_xor_b32_e32 v70, vcc_lo, v70
	v_cmp_gt_i32_e32 vcc_lo, 0, v74
	v_and_b32_e32 v69, v69, v195
	v_not_b32_e32 v74, v75
	v_ashrrev_i32_e32 v72, 31, v72
	v_xor_b32_e32 v71, s17, v71
	v_cmp_gt_i32_e64 s17, 0, v75
	v_and_b32_e32 v69, v69, v70
	v_not_b32_e32 v70, v194
	v_ashrrev_i32_e32 v74, 31, v74
	v_xor_b32_e32 v72, vcc_lo, v72
	v_cmp_gt_i32_e32 vcc_lo, 0, v194
	v_and_b32_e32 v69, v69, v71
	v_not_b32_e32 v71, v73
	v_ashrrev_i32_e32 v70, 31, v70
	v_xor_b32_e32 v74, s17, v74
	v_mul_u32_u24_e32 v68, 9, v68
	v_and_b32_e32 v69, v69, v72
	v_cmp_gt_i32_e64 s17, 0, v73
	v_ashrrev_i32_e32 v71, 31, v71
	v_xor_b32_e32 v70, vcc_lo, v70
	v_add_lshl_u32 v72, v68, v158, 2
	v_and_b32_e32 v69, v69, v74
	s_delay_alu instid0(VALU_DEP_4) | instskip(SKIP_3) | instid1(VALU_DEP_2)
	v_xor_b32_e32 v68, s17, v71
	ds_load_b32 v194, v72 offset:1056
	v_and_b32_e32 v69, v69, v70
	v_add_nc_u32_e32 v196, 0x420, v72
	; wave barrier
	v_and_b32_e32 v68, v69, v68
	s_delay_alu instid0(VALU_DEP_1) | instskip(SKIP_1) | instid1(VALU_DEP_2)
	v_mbcnt_lo_u32_b32 v195, v68, 0
	v_cmp_ne_u32_e64 s17, 0, v68
	v_cmp_eq_u32_e32 vcc_lo, 0, v195
	s_delay_alu instid0(VALU_DEP_2) | instskip(NEXT) | instid1(SALU_CYCLE_1)
	s_and_b32 s18, s17, vcc_lo
	s_and_saveexec_b32 s17, s18
	s_cbranch_execz .LBB741_746
; %bb.745:                              ;   in Loop: Header=BB741_696 Depth=2
	s_waitcnt lgkmcnt(0)
	v_bcnt_u32_b32 v68, v68, v194
	ds_store_b32 v196, v68
.LBB741_746:                            ;   in Loop: Header=BB741_696 Depth=2
	s_or_b32 exec_lo, exec_lo, s17
	v_xor_b32_e32 v67, 0x7fffffff, v67
	v_not_b32_e32 v66, v66
	; wave barrier
	s_delay_alu instid0(VALU_DEP_1) | instskip(NEXT) | instid1(VALU_DEP_1)
	v_lshrrev_b64 v[68:69], s40, v[66:67]
	v_and_b32_e32 v68, s42, v68
	s_delay_alu instid0(VALU_DEP_1)
	v_and_b32_e32 v69, 1, v68
	v_lshlrev_b32_e32 v70, 30, v68
	v_lshlrev_b32_e32 v71, 29, v68
	;; [unrolled: 1-line block ×4, first 2 shown]
	v_add_co_u32 v69, s17, v69, -1
	s_delay_alu instid0(VALU_DEP_1)
	v_cndmask_b32_e64 v73, 0, 1, s17
	v_not_b32_e32 v198, v70
	v_cmp_gt_i32_e64 s17, 0, v70
	v_not_b32_e32 v70, v71
	v_lshlrev_b32_e32 v75, 26, v68
	v_cmp_ne_u32_e32 vcc_lo, 0, v73
	v_ashrrev_i32_e32 v198, 31, v198
	v_lshlrev_b32_e32 v197, 25, v68
	v_ashrrev_i32_e32 v70, 31, v70
	v_lshlrev_b32_e32 v73, 24, v68
	v_xor_b32_e32 v69, vcc_lo, v69
	v_cmp_gt_i32_e32 vcc_lo, 0, v71
	v_not_b32_e32 v71, v72
	v_xor_b32_e32 v198, s17, v198
	v_cmp_gt_i32_e64 s17, 0, v72
	v_and_b32_e32 v69, exec_lo, v69
	v_not_b32_e32 v72, v74
	v_ashrrev_i32_e32 v71, 31, v71
	v_xor_b32_e32 v70, vcc_lo, v70
	v_cmp_gt_i32_e32 vcc_lo, 0, v74
	v_and_b32_e32 v69, v69, v198
	v_not_b32_e32 v74, v75
	v_ashrrev_i32_e32 v72, 31, v72
	v_xor_b32_e32 v71, s17, v71
	v_cmp_gt_i32_e64 s17, 0, v75
	v_and_b32_e32 v69, v69, v70
	v_not_b32_e32 v70, v197
	v_ashrrev_i32_e32 v74, 31, v74
	v_xor_b32_e32 v72, vcc_lo, v72
	v_cmp_gt_i32_e32 vcc_lo, 0, v197
	v_and_b32_e32 v69, v69, v71
	v_not_b32_e32 v71, v73
	v_ashrrev_i32_e32 v70, 31, v70
	v_xor_b32_e32 v74, s17, v74
	v_mul_u32_u24_e32 v68, 9, v68
	v_and_b32_e32 v69, v69, v72
	v_cmp_gt_i32_e64 s17, 0, v73
	v_ashrrev_i32_e32 v71, 31, v71
	v_xor_b32_e32 v70, vcc_lo, v70
	v_add_lshl_u32 v72, v68, v158, 2
	v_and_b32_e32 v69, v69, v74
	s_delay_alu instid0(VALU_DEP_4) | instskip(SKIP_3) | instid1(VALU_DEP_2)
	v_xor_b32_e32 v68, s17, v71
	ds_load_b32 v197, v72 offset:1056
	v_and_b32_e32 v69, v69, v70
	v_add_nc_u32_e32 v199, 0x420, v72
	; wave barrier
	v_and_b32_e32 v68, v69, v68
	s_delay_alu instid0(VALU_DEP_1) | instskip(SKIP_1) | instid1(VALU_DEP_2)
	v_mbcnt_lo_u32_b32 v198, v68, 0
	v_cmp_ne_u32_e64 s17, 0, v68
	v_cmp_eq_u32_e32 vcc_lo, 0, v198
	s_delay_alu instid0(VALU_DEP_2) | instskip(NEXT) | instid1(SALU_CYCLE_1)
	s_and_b32 s18, s17, vcc_lo
	s_and_saveexec_b32 s17, s18
	s_cbranch_execz .LBB741_748
; %bb.747:                              ;   in Loop: Header=BB741_696 Depth=2
	s_waitcnt lgkmcnt(0)
	v_bcnt_u32_b32 v68, v68, v197
	ds_store_b32 v199, v68
.LBB741_748:                            ;   in Loop: Header=BB741_696 Depth=2
	s_or_b32 exec_lo, exec_lo, s17
	v_xor_b32_e32 v65, 0x7fffffff, v65
	v_not_b32_e32 v64, v64
	; wave barrier
	s_delay_alu instid0(VALU_DEP_1) | instskip(NEXT) | instid1(VALU_DEP_1)
	v_lshrrev_b64 v[68:69], s40, v[64:65]
	v_and_b32_e32 v68, s42, v68
	s_delay_alu instid0(VALU_DEP_1)
	v_and_b32_e32 v69, 1, v68
	v_lshlrev_b32_e32 v70, 30, v68
	v_lshlrev_b32_e32 v71, 29, v68
	;; [unrolled: 1-line block ×4, first 2 shown]
	v_add_co_u32 v69, s17, v69, -1
	s_delay_alu instid0(VALU_DEP_1)
	v_cndmask_b32_e64 v73, 0, 1, s17
	v_not_b32_e32 v201, v70
	v_cmp_gt_i32_e64 s17, 0, v70
	v_not_b32_e32 v70, v71
	v_lshlrev_b32_e32 v75, 26, v68
	v_cmp_ne_u32_e32 vcc_lo, 0, v73
	v_ashrrev_i32_e32 v201, 31, v201
	v_lshlrev_b32_e32 v200, 25, v68
	v_ashrrev_i32_e32 v70, 31, v70
	v_lshlrev_b32_e32 v73, 24, v68
	v_xor_b32_e32 v69, vcc_lo, v69
	v_cmp_gt_i32_e32 vcc_lo, 0, v71
	v_not_b32_e32 v71, v72
	v_xor_b32_e32 v201, s17, v201
	v_cmp_gt_i32_e64 s17, 0, v72
	v_and_b32_e32 v69, exec_lo, v69
	v_not_b32_e32 v72, v74
	v_ashrrev_i32_e32 v71, 31, v71
	v_xor_b32_e32 v70, vcc_lo, v70
	v_cmp_gt_i32_e32 vcc_lo, 0, v74
	v_and_b32_e32 v69, v69, v201
	v_not_b32_e32 v74, v75
	v_ashrrev_i32_e32 v72, 31, v72
	v_xor_b32_e32 v71, s17, v71
	v_cmp_gt_i32_e64 s17, 0, v75
	v_and_b32_e32 v69, v69, v70
	v_not_b32_e32 v70, v200
	v_ashrrev_i32_e32 v74, 31, v74
	v_xor_b32_e32 v72, vcc_lo, v72
	v_cmp_gt_i32_e32 vcc_lo, 0, v200
	v_and_b32_e32 v69, v69, v71
	v_not_b32_e32 v71, v73
	v_ashrrev_i32_e32 v70, 31, v70
	v_xor_b32_e32 v74, s17, v74
	v_mul_u32_u24_e32 v68, 9, v68
	v_and_b32_e32 v69, v69, v72
	v_cmp_gt_i32_e64 s17, 0, v73
	v_ashrrev_i32_e32 v71, 31, v71
	v_xor_b32_e32 v70, vcc_lo, v70
	v_add_lshl_u32 v72, v68, v158, 2
	v_and_b32_e32 v69, v69, v74
	s_delay_alu instid0(VALU_DEP_4) | instskip(SKIP_3) | instid1(VALU_DEP_2)
	v_xor_b32_e32 v68, s17, v71
	ds_load_b32 v200, v72 offset:1056
	v_and_b32_e32 v69, v69, v70
	v_add_nc_u32_e32 v202, 0x420, v72
	; wave barrier
	v_and_b32_e32 v68, v69, v68
	s_delay_alu instid0(VALU_DEP_1) | instskip(SKIP_1) | instid1(VALU_DEP_2)
	v_mbcnt_lo_u32_b32 v201, v68, 0
	v_cmp_ne_u32_e64 s17, 0, v68
	v_cmp_eq_u32_e32 vcc_lo, 0, v201
	s_delay_alu instid0(VALU_DEP_2) | instskip(NEXT) | instid1(SALU_CYCLE_1)
	s_and_b32 s18, s17, vcc_lo
	s_and_saveexec_b32 s17, s18
	s_cbranch_execz .LBB741_750
; %bb.749:                              ;   in Loop: Header=BB741_696 Depth=2
	s_waitcnt lgkmcnt(0)
	v_bcnt_u32_b32 v68, v68, v200
	ds_store_b32 v202, v68
.LBB741_750:                            ;   in Loop: Header=BB741_696 Depth=2
	s_or_b32 exec_lo, exec_lo, s17
	v_xor_b32_e32 v61, 0x7fffffff, v61
	v_not_b32_e32 v60, v60
	; wave barrier
	s_delay_alu instid0(VALU_DEP_1) | instskip(NEXT) | instid1(VALU_DEP_1)
	v_lshrrev_b64 v[68:69], s40, v[60:61]
	v_and_b32_e32 v68, s42, v68
	s_delay_alu instid0(VALU_DEP_1)
	v_and_b32_e32 v69, 1, v68
	v_lshlrev_b32_e32 v70, 30, v68
	v_lshlrev_b32_e32 v71, 29, v68
	v_lshlrev_b32_e32 v72, 28, v68
	v_lshlrev_b32_e32 v74, 27, v68
	v_add_co_u32 v69, s17, v69, -1
	s_delay_alu instid0(VALU_DEP_1)
	v_cndmask_b32_e64 v73, 0, 1, s17
	v_not_b32_e32 v204, v70
	v_cmp_gt_i32_e64 s17, 0, v70
	v_not_b32_e32 v70, v71
	v_lshlrev_b32_e32 v75, 26, v68
	v_cmp_ne_u32_e32 vcc_lo, 0, v73
	v_ashrrev_i32_e32 v204, 31, v204
	v_lshlrev_b32_e32 v203, 25, v68
	v_ashrrev_i32_e32 v70, 31, v70
	v_lshlrev_b32_e32 v73, 24, v68
	v_xor_b32_e32 v69, vcc_lo, v69
	v_cmp_gt_i32_e32 vcc_lo, 0, v71
	v_not_b32_e32 v71, v72
	v_xor_b32_e32 v204, s17, v204
	v_cmp_gt_i32_e64 s17, 0, v72
	v_and_b32_e32 v69, exec_lo, v69
	v_not_b32_e32 v72, v74
	v_ashrrev_i32_e32 v71, 31, v71
	v_xor_b32_e32 v70, vcc_lo, v70
	v_cmp_gt_i32_e32 vcc_lo, 0, v74
	v_and_b32_e32 v69, v69, v204
	v_not_b32_e32 v74, v75
	v_ashrrev_i32_e32 v72, 31, v72
	v_xor_b32_e32 v71, s17, v71
	v_cmp_gt_i32_e64 s17, 0, v75
	v_and_b32_e32 v69, v69, v70
	v_not_b32_e32 v70, v203
	v_ashrrev_i32_e32 v74, 31, v74
	v_xor_b32_e32 v72, vcc_lo, v72
	v_cmp_gt_i32_e32 vcc_lo, 0, v203
	v_and_b32_e32 v69, v69, v71
	v_not_b32_e32 v71, v73
	v_ashrrev_i32_e32 v70, 31, v70
	v_xor_b32_e32 v74, s17, v74
	v_mul_u32_u24_e32 v68, 9, v68
	v_and_b32_e32 v69, v69, v72
	v_cmp_gt_i32_e64 s17, 0, v73
	v_ashrrev_i32_e32 v71, 31, v71
	v_xor_b32_e32 v70, vcc_lo, v70
	v_add_lshl_u32 v72, v68, v158, 2
	v_and_b32_e32 v69, v69, v74
	s_delay_alu instid0(VALU_DEP_4) | instskip(SKIP_3) | instid1(VALU_DEP_2)
	v_xor_b32_e32 v68, s17, v71
	ds_load_b32 v203, v72 offset:1056
	v_and_b32_e32 v69, v69, v70
	v_add_nc_u32_e32 v205, 0x420, v72
	; wave barrier
	v_and_b32_e32 v68, v69, v68
	s_delay_alu instid0(VALU_DEP_1) | instskip(SKIP_1) | instid1(VALU_DEP_2)
	v_mbcnt_lo_u32_b32 v204, v68, 0
	v_cmp_ne_u32_e64 s17, 0, v68
	v_cmp_eq_u32_e32 vcc_lo, 0, v204
	s_delay_alu instid0(VALU_DEP_2) | instskip(NEXT) | instid1(SALU_CYCLE_1)
	s_and_b32 s18, s17, vcc_lo
	s_and_saveexec_b32 s17, s18
	s_cbranch_execz .LBB741_752
; %bb.751:                              ;   in Loop: Header=BB741_696 Depth=2
	s_waitcnt lgkmcnt(0)
	v_bcnt_u32_b32 v68, v68, v203
	ds_store_b32 v205, v68
.LBB741_752:                            ;   in Loop: Header=BB741_696 Depth=2
	s_or_b32 exec_lo, exec_lo, s17
	v_xor_b32_e32 v57, 0x7fffffff, v57
	v_not_b32_e32 v56, v56
	; wave barrier
	s_delay_alu instid0(VALU_DEP_1) | instskip(NEXT) | instid1(VALU_DEP_1)
	v_lshrrev_b64 v[68:69], s40, v[56:57]
	v_and_b32_e32 v68, s42, v68
	s_delay_alu instid0(VALU_DEP_1)
	v_and_b32_e32 v69, 1, v68
	v_lshlrev_b32_e32 v70, 30, v68
	v_lshlrev_b32_e32 v71, 29, v68
	;; [unrolled: 1-line block ×4, first 2 shown]
	v_add_co_u32 v69, s17, v69, -1
	s_delay_alu instid0(VALU_DEP_1)
	v_cndmask_b32_e64 v73, 0, 1, s17
	v_not_b32_e32 v207, v70
	v_cmp_gt_i32_e64 s17, 0, v70
	v_not_b32_e32 v70, v71
	v_lshlrev_b32_e32 v75, 26, v68
	v_cmp_ne_u32_e32 vcc_lo, 0, v73
	v_ashrrev_i32_e32 v207, 31, v207
	v_lshlrev_b32_e32 v206, 25, v68
	v_ashrrev_i32_e32 v70, 31, v70
	v_lshlrev_b32_e32 v73, 24, v68
	v_xor_b32_e32 v69, vcc_lo, v69
	v_cmp_gt_i32_e32 vcc_lo, 0, v71
	v_not_b32_e32 v71, v72
	v_xor_b32_e32 v207, s17, v207
	v_cmp_gt_i32_e64 s17, 0, v72
	v_and_b32_e32 v69, exec_lo, v69
	v_not_b32_e32 v72, v74
	v_ashrrev_i32_e32 v71, 31, v71
	v_xor_b32_e32 v70, vcc_lo, v70
	v_cmp_gt_i32_e32 vcc_lo, 0, v74
	v_and_b32_e32 v69, v69, v207
	v_not_b32_e32 v74, v75
	v_ashrrev_i32_e32 v72, 31, v72
	v_xor_b32_e32 v71, s17, v71
	v_cmp_gt_i32_e64 s17, 0, v75
	v_and_b32_e32 v69, v69, v70
	v_not_b32_e32 v70, v206
	v_ashrrev_i32_e32 v74, 31, v74
	v_xor_b32_e32 v72, vcc_lo, v72
	v_cmp_gt_i32_e32 vcc_lo, 0, v206
	v_and_b32_e32 v69, v69, v71
	v_not_b32_e32 v71, v73
	v_ashrrev_i32_e32 v70, 31, v70
	v_xor_b32_e32 v74, s17, v74
	v_mul_u32_u24_e32 v68, 9, v68
	v_and_b32_e32 v69, v69, v72
	v_cmp_gt_i32_e64 s17, 0, v73
	v_ashrrev_i32_e32 v71, 31, v71
	v_xor_b32_e32 v70, vcc_lo, v70
	v_add_lshl_u32 v72, v68, v158, 2
	v_and_b32_e32 v69, v69, v74
	s_delay_alu instid0(VALU_DEP_4) | instskip(SKIP_3) | instid1(VALU_DEP_2)
	v_xor_b32_e32 v68, s17, v71
	ds_load_b32 v206, v72 offset:1056
	v_and_b32_e32 v69, v69, v70
	v_add_nc_u32_e32 v208, 0x420, v72
	; wave barrier
	v_and_b32_e32 v68, v69, v68
	s_delay_alu instid0(VALU_DEP_1) | instskip(SKIP_1) | instid1(VALU_DEP_2)
	v_mbcnt_lo_u32_b32 v207, v68, 0
	v_cmp_ne_u32_e64 s17, 0, v68
	v_cmp_eq_u32_e32 vcc_lo, 0, v207
	s_delay_alu instid0(VALU_DEP_2) | instskip(NEXT) | instid1(SALU_CYCLE_1)
	s_and_b32 s18, s17, vcc_lo
	s_and_saveexec_b32 s17, s18
	s_cbranch_execz .LBB741_754
; %bb.753:                              ;   in Loop: Header=BB741_696 Depth=2
	s_waitcnt lgkmcnt(0)
	v_bcnt_u32_b32 v68, v68, v206
	ds_store_b32 v208, v68
.LBB741_754:                            ;   in Loop: Header=BB741_696 Depth=2
	s_or_b32 exec_lo, exec_lo, s17
	v_xor_b32_e32 v53, 0x7fffffff, v53
	v_not_b32_e32 v52, v52
	; wave barrier
	s_delay_alu instid0(VALU_DEP_1) | instskip(NEXT) | instid1(VALU_DEP_1)
	v_lshrrev_b64 v[68:69], s40, v[52:53]
	v_and_b32_e32 v68, s42, v68
	s_delay_alu instid0(VALU_DEP_1)
	v_and_b32_e32 v69, 1, v68
	v_lshlrev_b32_e32 v70, 30, v68
	v_lshlrev_b32_e32 v71, 29, v68
	;; [unrolled: 1-line block ×4, first 2 shown]
	v_add_co_u32 v69, s17, v69, -1
	s_delay_alu instid0(VALU_DEP_1)
	v_cndmask_b32_e64 v73, 0, 1, s17
	v_not_b32_e32 v210, v70
	v_cmp_gt_i32_e64 s17, 0, v70
	v_not_b32_e32 v70, v71
	v_lshlrev_b32_e32 v75, 26, v68
	v_cmp_ne_u32_e32 vcc_lo, 0, v73
	v_ashrrev_i32_e32 v210, 31, v210
	v_lshlrev_b32_e32 v209, 25, v68
	v_ashrrev_i32_e32 v70, 31, v70
	v_lshlrev_b32_e32 v73, 24, v68
	v_xor_b32_e32 v69, vcc_lo, v69
	v_cmp_gt_i32_e32 vcc_lo, 0, v71
	v_not_b32_e32 v71, v72
	v_xor_b32_e32 v210, s17, v210
	v_cmp_gt_i32_e64 s17, 0, v72
	v_and_b32_e32 v69, exec_lo, v69
	v_not_b32_e32 v72, v74
	v_ashrrev_i32_e32 v71, 31, v71
	v_xor_b32_e32 v70, vcc_lo, v70
	v_cmp_gt_i32_e32 vcc_lo, 0, v74
	v_and_b32_e32 v69, v69, v210
	v_not_b32_e32 v74, v75
	v_ashrrev_i32_e32 v72, 31, v72
	v_xor_b32_e32 v71, s17, v71
	v_cmp_gt_i32_e64 s17, 0, v75
	v_and_b32_e32 v69, v69, v70
	v_not_b32_e32 v70, v209
	v_ashrrev_i32_e32 v74, 31, v74
	v_xor_b32_e32 v72, vcc_lo, v72
	v_cmp_gt_i32_e32 vcc_lo, 0, v209
	v_and_b32_e32 v69, v69, v71
	v_not_b32_e32 v71, v73
	v_ashrrev_i32_e32 v70, 31, v70
	v_xor_b32_e32 v74, s17, v74
	v_mul_u32_u24_e32 v68, 9, v68
	v_and_b32_e32 v69, v69, v72
	v_cmp_gt_i32_e64 s17, 0, v73
	v_ashrrev_i32_e32 v71, 31, v71
	v_xor_b32_e32 v70, vcc_lo, v70
	v_add_lshl_u32 v72, v68, v158, 2
	v_and_b32_e32 v69, v69, v74
	s_delay_alu instid0(VALU_DEP_4) | instskip(SKIP_3) | instid1(VALU_DEP_2)
	v_xor_b32_e32 v68, s17, v71
	ds_load_b32 v209, v72 offset:1056
	v_and_b32_e32 v69, v69, v70
	v_add_nc_u32_e32 v211, 0x420, v72
	; wave barrier
	v_and_b32_e32 v68, v69, v68
	s_delay_alu instid0(VALU_DEP_1) | instskip(SKIP_1) | instid1(VALU_DEP_2)
	v_mbcnt_lo_u32_b32 v210, v68, 0
	v_cmp_ne_u32_e64 s17, 0, v68
	v_cmp_eq_u32_e32 vcc_lo, 0, v210
	s_delay_alu instid0(VALU_DEP_2) | instskip(NEXT) | instid1(SALU_CYCLE_1)
	s_and_b32 s18, s17, vcc_lo
	s_and_saveexec_b32 s17, s18
	s_cbranch_execz .LBB741_756
; %bb.755:                              ;   in Loop: Header=BB741_696 Depth=2
	s_waitcnt lgkmcnt(0)
	v_bcnt_u32_b32 v68, v68, v209
	ds_store_b32 v211, v68
.LBB741_756:                            ;   in Loop: Header=BB741_696 Depth=2
	s_or_b32 exec_lo, exec_lo, s17
	v_xor_b32_e32 v51, 0x7fffffff, v51
	v_not_b32_e32 v50, v50
	; wave barrier
	s_delay_alu instid0(VALU_DEP_1) | instskip(NEXT) | instid1(VALU_DEP_1)
	v_lshrrev_b64 v[68:69], s40, v[50:51]
	v_and_b32_e32 v68, s42, v68
	s_delay_alu instid0(VALU_DEP_1)
	v_and_b32_e32 v69, 1, v68
	v_lshlrev_b32_e32 v70, 30, v68
	v_lshlrev_b32_e32 v71, 29, v68
	;; [unrolled: 1-line block ×4, first 2 shown]
	v_add_co_u32 v69, s17, v69, -1
	s_delay_alu instid0(VALU_DEP_1)
	v_cndmask_b32_e64 v73, 0, 1, s17
	v_not_b32_e32 v213, v70
	v_cmp_gt_i32_e64 s17, 0, v70
	v_not_b32_e32 v70, v71
	v_lshlrev_b32_e32 v75, 26, v68
	v_cmp_ne_u32_e32 vcc_lo, 0, v73
	v_ashrrev_i32_e32 v213, 31, v213
	v_lshlrev_b32_e32 v212, 25, v68
	v_ashrrev_i32_e32 v70, 31, v70
	v_lshlrev_b32_e32 v73, 24, v68
	v_xor_b32_e32 v69, vcc_lo, v69
	v_cmp_gt_i32_e32 vcc_lo, 0, v71
	v_not_b32_e32 v71, v72
	v_xor_b32_e32 v213, s17, v213
	v_cmp_gt_i32_e64 s17, 0, v72
	v_and_b32_e32 v69, exec_lo, v69
	v_not_b32_e32 v72, v74
	v_ashrrev_i32_e32 v71, 31, v71
	v_xor_b32_e32 v70, vcc_lo, v70
	v_cmp_gt_i32_e32 vcc_lo, 0, v74
	v_and_b32_e32 v69, v69, v213
	v_not_b32_e32 v74, v75
	v_ashrrev_i32_e32 v72, 31, v72
	v_xor_b32_e32 v71, s17, v71
	v_cmp_gt_i32_e64 s17, 0, v75
	v_and_b32_e32 v69, v69, v70
	v_not_b32_e32 v70, v212
	v_ashrrev_i32_e32 v74, 31, v74
	v_xor_b32_e32 v72, vcc_lo, v72
	v_cmp_gt_i32_e32 vcc_lo, 0, v212
	v_and_b32_e32 v69, v69, v71
	v_not_b32_e32 v71, v73
	v_ashrrev_i32_e32 v70, 31, v70
	v_xor_b32_e32 v74, s17, v74
	v_mul_u32_u24_e32 v68, 9, v68
	v_and_b32_e32 v69, v69, v72
	v_cmp_gt_i32_e64 s17, 0, v73
	v_ashrrev_i32_e32 v71, 31, v71
	v_xor_b32_e32 v70, vcc_lo, v70
	v_add_lshl_u32 v72, v68, v158, 2
	v_and_b32_e32 v69, v69, v74
	s_delay_alu instid0(VALU_DEP_4) | instskip(SKIP_3) | instid1(VALU_DEP_2)
	v_xor_b32_e32 v68, s17, v71
	ds_load_b32 v212, v72 offset:1056
	v_and_b32_e32 v69, v69, v70
	v_add_nc_u32_e32 v214, 0x420, v72
	; wave barrier
	v_and_b32_e32 v68, v69, v68
	s_delay_alu instid0(VALU_DEP_1) | instskip(SKIP_1) | instid1(VALU_DEP_2)
	v_mbcnt_lo_u32_b32 v213, v68, 0
	v_cmp_ne_u32_e64 s17, 0, v68
	v_cmp_eq_u32_e32 vcc_lo, 0, v213
	s_delay_alu instid0(VALU_DEP_2) | instskip(NEXT) | instid1(SALU_CYCLE_1)
	s_and_b32 s18, s17, vcc_lo
	s_and_saveexec_b32 s17, s18
	s_cbranch_execz .LBB741_758
; %bb.757:                              ;   in Loop: Header=BB741_696 Depth=2
	s_waitcnt lgkmcnt(0)
	v_bcnt_u32_b32 v68, v68, v212
	ds_store_b32 v214, v68
.LBB741_758:                            ;   in Loop: Header=BB741_696 Depth=2
	s_or_b32 exec_lo, exec_lo, s17
	v_xor_b32_e32 v47, 0x7fffffff, v47
	v_not_b32_e32 v46, v46
	; wave barrier
	s_delay_alu instid0(VALU_DEP_1) | instskip(NEXT) | instid1(VALU_DEP_1)
	v_lshrrev_b64 v[68:69], s40, v[46:47]
	v_and_b32_e32 v68, s42, v68
	s_delay_alu instid0(VALU_DEP_1)
	v_and_b32_e32 v69, 1, v68
	v_lshlrev_b32_e32 v70, 30, v68
	v_lshlrev_b32_e32 v71, 29, v68
	;; [unrolled: 1-line block ×4, first 2 shown]
	v_add_co_u32 v69, s17, v69, -1
	s_delay_alu instid0(VALU_DEP_1)
	v_cndmask_b32_e64 v73, 0, 1, s17
	v_not_b32_e32 v216, v70
	v_cmp_gt_i32_e64 s17, 0, v70
	v_not_b32_e32 v70, v71
	v_lshlrev_b32_e32 v75, 26, v68
	v_cmp_ne_u32_e32 vcc_lo, 0, v73
	v_ashrrev_i32_e32 v216, 31, v216
	v_lshlrev_b32_e32 v215, 25, v68
	v_ashrrev_i32_e32 v70, 31, v70
	v_lshlrev_b32_e32 v73, 24, v68
	v_xor_b32_e32 v69, vcc_lo, v69
	v_cmp_gt_i32_e32 vcc_lo, 0, v71
	v_not_b32_e32 v71, v72
	v_xor_b32_e32 v216, s17, v216
	v_cmp_gt_i32_e64 s17, 0, v72
	v_and_b32_e32 v69, exec_lo, v69
	v_not_b32_e32 v72, v74
	v_ashrrev_i32_e32 v71, 31, v71
	v_xor_b32_e32 v70, vcc_lo, v70
	v_cmp_gt_i32_e32 vcc_lo, 0, v74
	v_and_b32_e32 v69, v69, v216
	v_not_b32_e32 v74, v75
	v_ashrrev_i32_e32 v72, 31, v72
	v_xor_b32_e32 v71, s17, v71
	v_cmp_gt_i32_e64 s17, 0, v75
	v_and_b32_e32 v69, v69, v70
	v_not_b32_e32 v70, v215
	v_ashrrev_i32_e32 v74, 31, v74
	v_xor_b32_e32 v72, vcc_lo, v72
	v_cmp_gt_i32_e32 vcc_lo, 0, v215
	v_and_b32_e32 v69, v69, v71
	v_not_b32_e32 v71, v73
	v_ashrrev_i32_e32 v70, 31, v70
	v_xor_b32_e32 v74, s17, v74
	v_mul_u32_u24_e32 v68, 9, v68
	v_and_b32_e32 v69, v69, v72
	v_cmp_gt_i32_e64 s17, 0, v73
	v_ashrrev_i32_e32 v71, 31, v71
	v_xor_b32_e32 v70, vcc_lo, v70
	v_add_lshl_u32 v72, v68, v158, 2
	v_and_b32_e32 v69, v69, v74
	s_delay_alu instid0(VALU_DEP_4) | instskip(SKIP_3) | instid1(VALU_DEP_2)
	v_xor_b32_e32 v68, s17, v71
	ds_load_b32 v215, v72 offset:1056
	v_and_b32_e32 v69, v69, v70
	v_add_nc_u32_e32 v217, 0x420, v72
	; wave barrier
	v_and_b32_e32 v68, v69, v68
	s_delay_alu instid0(VALU_DEP_1) | instskip(SKIP_1) | instid1(VALU_DEP_2)
	v_mbcnt_lo_u32_b32 v216, v68, 0
	v_cmp_ne_u32_e64 s17, 0, v68
	v_cmp_eq_u32_e32 vcc_lo, 0, v216
	s_delay_alu instid0(VALU_DEP_2) | instskip(NEXT) | instid1(SALU_CYCLE_1)
	s_and_b32 s18, s17, vcc_lo
	s_and_saveexec_b32 s17, s18
	s_cbranch_execz .LBB741_760
; %bb.759:                              ;   in Loop: Header=BB741_696 Depth=2
	s_waitcnt lgkmcnt(0)
	v_bcnt_u32_b32 v68, v68, v215
	ds_store_b32 v217, v68
.LBB741_760:                            ;   in Loop: Header=BB741_696 Depth=2
	s_or_b32 exec_lo, exec_lo, s17
	v_xor_b32_e32 v41, 0x7fffffff, v41
	v_not_b32_e32 v40, v40
	; wave barrier
	s_delay_alu instid0(VALU_DEP_1) | instskip(NEXT) | instid1(VALU_DEP_1)
	v_lshrrev_b64 v[68:69], s40, v[40:41]
	v_and_b32_e32 v68, s42, v68
	s_delay_alu instid0(VALU_DEP_1)
	v_and_b32_e32 v69, 1, v68
	v_lshlrev_b32_e32 v70, 30, v68
	v_lshlrev_b32_e32 v71, 29, v68
	;; [unrolled: 1-line block ×4, first 2 shown]
	v_add_co_u32 v69, s17, v69, -1
	s_delay_alu instid0(VALU_DEP_1)
	v_cndmask_b32_e64 v73, 0, 1, s17
	v_not_b32_e32 v219, v70
	v_cmp_gt_i32_e64 s17, 0, v70
	v_not_b32_e32 v70, v71
	v_lshlrev_b32_e32 v75, 26, v68
	v_cmp_ne_u32_e32 vcc_lo, 0, v73
	v_ashrrev_i32_e32 v219, 31, v219
	v_lshlrev_b32_e32 v218, 25, v68
	v_ashrrev_i32_e32 v70, 31, v70
	v_lshlrev_b32_e32 v73, 24, v68
	v_xor_b32_e32 v69, vcc_lo, v69
	v_cmp_gt_i32_e32 vcc_lo, 0, v71
	v_not_b32_e32 v71, v72
	v_xor_b32_e32 v219, s17, v219
	v_cmp_gt_i32_e64 s17, 0, v72
	v_and_b32_e32 v69, exec_lo, v69
	v_not_b32_e32 v72, v74
	v_ashrrev_i32_e32 v71, 31, v71
	v_xor_b32_e32 v70, vcc_lo, v70
	v_cmp_gt_i32_e32 vcc_lo, 0, v74
	v_and_b32_e32 v69, v69, v219
	v_not_b32_e32 v74, v75
	v_ashrrev_i32_e32 v72, 31, v72
	v_xor_b32_e32 v71, s17, v71
	v_cmp_gt_i32_e64 s17, 0, v75
	v_and_b32_e32 v69, v69, v70
	v_not_b32_e32 v70, v218
	v_ashrrev_i32_e32 v74, 31, v74
	v_xor_b32_e32 v72, vcc_lo, v72
	v_cmp_gt_i32_e32 vcc_lo, 0, v218
	v_and_b32_e32 v69, v69, v71
	v_not_b32_e32 v71, v73
	v_ashrrev_i32_e32 v70, 31, v70
	v_xor_b32_e32 v74, s17, v74
	v_mul_u32_u24_e32 v68, 9, v68
	v_and_b32_e32 v69, v69, v72
	v_cmp_gt_i32_e64 s17, 0, v73
	v_ashrrev_i32_e32 v71, 31, v71
	v_xor_b32_e32 v70, vcc_lo, v70
	v_add_lshl_u32 v72, v68, v158, 2
	v_and_b32_e32 v69, v69, v74
	s_delay_alu instid0(VALU_DEP_4) | instskip(SKIP_3) | instid1(VALU_DEP_2)
	v_xor_b32_e32 v68, s17, v71
	ds_load_b32 v218, v72 offset:1056
	v_and_b32_e32 v69, v69, v70
	v_add_nc_u32_e32 v220, 0x420, v72
	; wave barrier
	v_and_b32_e32 v68, v69, v68
	s_delay_alu instid0(VALU_DEP_1) | instskip(SKIP_1) | instid1(VALU_DEP_2)
	v_mbcnt_lo_u32_b32 v219, v68, 0
	v_cmp_ne_u32_e64 s17, 0, v68
	v_cmp_eq_u32_e32 vcc_lo, 0, v219
	s_delay_alu instid0(VALU_DEP_2) | instskip(NEXT) | instid1(SALU_CYCLE_1)
	s_and_b32 s18, s17, vcc_lo
	s_and_saveexec_b32 s17, s18
	s_cbranch_execz .LBB741_762
; %bb.761:                              ;   in Loop: Header=BB741_696 Depth=2
	s_waitcnt lgkmcnt(0)
	v_bcnt_u32_b32 v68, v68, v218
	ds_store_b32 v220, v68
.LBB741_762:                            ;   in Loop: Header=BB741_696 Depth=2
	s_or_b32 exec_lo, exec_lo, s17
	v_xor_b32_e32 v43, 0x7fffffff, v43
	v_not_b32_e32 v42, v42
	; wave barrier
	s_delay_alu instid0(VALU_DEP_1) | instskip(NEXT) | instid1(VALU_DEP_1)
	v_lshrrev_b64 v[68:69], s40, v[42:43]
	v_and_b32_e32 v68, s42, v68
	s_delay_alu instid0(VALU_DEP_1)
	v_and_b32_e32 v69, 1, v68
	v_lshlrev_b32_e32 v70, 30, v68
	v_lshlrev_b32_e32 v71, 29, v68
	;; [unrolled: 1-line block ×4, first 2 shown]
	v_add_co_u32 v69, s17, v69, -1
	s_delay_alu instid0(VALU_DEP_1)
	v_cndmask_b32_e64 v73, 0, 1, s17
	v_not_b32_e32 v222, v70
	v_cmp_gt_i32_e64 s17, 0, v70
	v_not_b32_e32 v70, v71
	v_lshlrev_b32_e32 v75, 26, v68
	v_cmp_ne_u32_e32 vcc_lo, 0, v73
	v_ashrrev_i32_e32 v222, 31, v222
	v_lshlrev_b32_e32 v221, 25, v68
	v_ashrrev_i32_e32 v70, 31, v70
	v_lshlrev_b32_e32 v73, 24, v68
	v_xor_b32_e32 v69, vcc_lo, v69
	v_cmp_gt_i32_e32 vcc_lo, 0, v71
	v_not_b32_e32 v71, v72
	v_xor_b32_e32 v222, s17, v222
	v_cmp_gt_i32_e64 s17, 0, v72
	v_and_b32_e32 v69, exec_lo, v69
	v_not_b32_e32 v72, v74
	v_ashrrev_i32_e32 v71, 31, v71
	v_xor_b32_e32 v70, vcc_lo, v70
	v_cmp_gt_i32_e32 vcc_lo, 0, v74
	v_and_b32_e32 v69, v69, v222
	v_not_b32_e32 v74, v75
	v_ashrrev_i32_e32 v72, 31, v72
	v_xor_b32_e32 v71, s17, v71
	v_cmp_gt_i32_e64 s17, 0, v75
	v_and_b32_e32 v69, v69, v70
	v_not_b32_e32 v70, v221
	v_ashrrev_i32_e32 v74, 31, v74
	v_xor_b32_e32 v72, vcc_lo, v72
	v_cmp_gt_i32_e32 vcc_lo, 0, v221
	v_and_b32_e32 v69, v69, v71
	v_not_b32_e32 v71, v73
	v_ashrrev_i32_e32 v70, 31, v70
	v_xor_b32_e32 v74, s17, v74
	v_mul_u32_u24_e32 v68, 9, v68
	v_and_b32_e32 v69, v69, v72
	v_cmp_gt_i32_e64 s17, 0, v73
	v_ashrrev_i32_e32 v71, 31, v71
	v_xor_b32_e32 v70, vcc_lo, v70
	v_add_lshl_u32 v72, v68, v158, 2
	v_and_b32_e32 v69, v69, v74
	s_delay_alu instid0(VALU_DEP_4) | instskip(SKIP_3) | instid1(VALU_DEP_2)
	v_xor_b32_e32 v68, s17, v71
	ds_load_b32 v221, v72 offset:1056
	v_and_b32_e32 v69, v69, v70
	v_add_nc_u32_e32 v223, 0x420, v72
	; wave barrier
	v_and_b32_e32 v68, v69, v68
	s_delay_alu instid0(VALU_DEP_1) | instskip(SKIP_1) | instid1(VALU_DEP_2)
	v_mbcnt_lo_u32_b32 v222, v68, 0
	v_cmp_ne_u32_e64 s17, 0, v68
	v_cmp_eq_u32_e32 vcc_lo, 0, v222
	s_delay_alu instid0(VALU_DEP_2) | instskip(NEXT) | instid1(SALU_CYCLE_1)
	s_and_b32 s18, s17, vcc_lo
	s_and_saveexec_b32 s17, s18
	s_cbranch_execz .LBB741_764
; %bb.763:                              ;   in Loop: Header=BB741_696 Depth=2
	s_waitcnt lgkmcnt(0)
	v_bcnt_u32_b32 v68, v68, v221
	ds_store_b32 v223, v68
.LBB741_764:                            ;   in Loop: Header=BB741_696 Depth=2
	s_or_b32 exec_lo, exec_lo, s17
	; wave barrier
	s_waitcnt lgkmcnt(0)
	s_barrier
	buffer_gl0_inv
	ds_load_b32 v224, v102 offset:1056
	ds_load_2addr_b32 v[74:75], v103 offset0:1 offset1:2
	ds_load_2addr_b32 v[72:73], v103 offset0:3 offset1:4
	;; [unrolled: 1-line block ×4, first 2 shown]
	s_waitcnt lgkmcnt(3)
	v_add3_u32 v225, v74, v224, v75
	s_waitcnt lgkmcnt(2)
	s_delay_alu instid0(VALU_DEP_1) | instskip(SKIP_1) | instid1(VALU_DEP_1)
	v_add3_u32 v225, v225, v72, v73
	s_waitcnt lgkmcnt(1)
	v_add3_u32 v225, v225, v68, v69
	s_waitcnt lgkmcnt(0)
	s_delay_alu instid0(VALU_DEP_1) | instskip(NEXT) | instid1(VALU_DEP_1)
	v_add3_u32 v71, v225, v70, v71
	v_mov_b32_dpp v225, v71 row_shr:1 row_mask:0xf bank_mask:0xf
	s_delay_alu instid0(VALU_DEP_1) | instskip(NEXT) | instid1(VALU_DEP_1)
	v_cndmask_b32_e64 v225, v225, 0, s1
	v_add_nc_u32_e32 v71, v225, v71
	s_delay_alu instid0(VALU_DEP_1) | instskip(NEXT) | instid1(VALU_DEP_1)
	v_mov_b32_dpp v225, v71 row_shr:2 row_mask:0xf bank_mask:0xf
	v_cndmask_b32_e64 v225, 0, v225, s7
	s_delay_alu instid0(VALU_DEP_1) | instskip(NEXT) | instid1(VALU_DEP_1)
	v_add_nc_u32_e32 v71, v71, v225
	v_mov_b32_dpp v225, v71 row_shr:4 row_mask:0xf bank_mask:0xf
	s_delay_alu instid0(VALU_DEP_1) | instskip(NEXT) | instid1(VALU_DEP_1)
	v_cndmask_b32_e64 v225, 0, v225, s8
	v_add_nc_u32_e32 v71, v71, v225
	s_delay_alu instid0(VALU_DEP_1) | instskip(NEXT) | instid1(VALU_DEP_1)
	v_mov_b32_dpp v225, v71 row_shr:8 row_mask:0xf bank_mask:0xf
	v_cndmask_b32_e64 v225, 0, v225, s9
	s_delay_alu instid0(VALU_DEP_1) | instskip(SKIP_3) | instid1(VALU_DEP_1)
	v_add_nc_u32_e32 v71, v71, v225
	ds_swizzle_b32 v225, v71 offset:swizzle(BROADCAST,32,15)
	s_waitcnt lgkmcnt(0)
	v_cndmask_b32_e64 v225, v225, 0, s10
	v_add_nc_u32_e32 v71, v71, v225
	s_and_saveexec_b32 s17, s3
	s_cbranch_execz .LBB741_766
; %bb.765:                              ;   in Loop: Header=BB741_696 Depth=2
	ds_store_b32 v94, v71 offset:1024
.LBB741_766:                            ;   in Loop: Header=BB741_696 Depth=2
	s_or_b32 exec_lo, exec_lo, s17
	s_waitcnt lgkmcnt(0)
	s_barrier
	buffer_gl0_inv
	s_and_saveexec_b32 s17, s4
	s_cbranch_execz .LBB741_768
; %bb.767:                              ;   in Loop: Header=BB741_696 Depth=2
	ds_load_b32 v225, v104 offset:1024
	s_waitcnt lgkmcnt(0)
	v_mov_b32_dpp v226, v225 row_shr:1 row_mask:0xf bank_mask:0xf
	s_delay_alu instid0(VALU_DEP_1) | instskip(NEXT) | instid1(VALU_DEP_1)
	v_cndmask_b32_e64 v226, v226, 0, s12
	v_add_nc_u32_e32 v225, v226, v225
	s_delay_alu instid0(VALU_DEP_1) | instskip(NEXT) | instid1(VALU_DEP_1)
	v_mov_b32_dpp v226, v225 row_shr:2 row_mask:0xf bank_mask:0xf
	v_cndmask_b32_e64 v226, 0, v226, s13
	s_delay_alu instid0(VALU_DEP_1) | instskip(NEXT) | instid1(VALU_DEP_1)
	v_add_nc_u32_e32 v225, v225, v226
	v_mov_b32_dpp v226, v225 row_shr:4 row_mask:0xf bank_mask:0xf
	s_delay_alu instid0(VALU_DEP_1) | instskip(NEXT) | instid1(VALU_DEP_1)
	v_cndmask_b32_e64 v226, 0, v226, s16
	v_add_nc_u32_e32 v225, v225, v226
	ds_store_b32 v104, v225 offset:1024
.LBB741_768:                            ;   in Loop: Header=BB741_696 Depth=2
	s_or_b32 exec_lo, exec_lo, s17
	v_mov_b32_e32 v225, 0
	s_waitcnt lgkmcnt(0)
	s_barrier
	buffer_gl0_inv
	s_and_saveexec_b32 s17, s5
	s_cbranch_execz .LBB741_770
; %bb.769:                              ;   in Loop: Header=BB741_696 Depth=2
	ds_load_b32 v225, v94 offset:1020
.LBB741_770:                            ;   in Loop: Header=BB741_696 Depth=2
	s_or_b32 exec_lo, exec_lo, s17
	s_waitcnt lgkmcnt(0)
	v_add_nc_u32_e32 v71, v225, v71
	ds_bpermute_b32 v71, v137, v71
	s_waitcnt lgkmcnt(0)
	v_cndmask_b32_e64 v71, v71, v225, s11
	s_delay_alu instid0(VALU_DEP_1) | instskip(NEXT) | instid1(VALU_DEP_1)
	v_cndmask_b32_e64 v71, v71, 0, s0
	v_add_nc_u32_e32 v224, v71, v224
	s_delay_alu instid0(VALU_DEP_1) | instskip(NEXT) | instid1(VALU_DEP_1)
	v_add_nc_u32_e32 v74, v224, v74
	v_add_nc_u32_e32 v75, v74, v75
	s_delay_alu instid0(VALU_DEP_1) | instskip(NEXT) | instid1(VALU_DEP_1)
	v_add_nc_u32_e32 v72, v75, v72
	;; [unrolled: 3-line block ×3, first 2 shown]
	v_add_nc_u32_e32 v69, v68, v69
	s_delay_alu instid0(VALU_DEP_1)
	v_add_nc_u32_e32 v70, v69, v70
	ds_store_b32 v102, v71 offset:1056
	ds_store_2addr_b32 v103, v224, v74 offset0:1 offset1:2
	ds_store_2addr_b32 v103, v75, v72 offset0:3 offset1:4
	;; [unrolled: 1-line block ×4, first 2 shown]
	v_mov_b32_e32 v68, 0x1000
	s_waitcnt lgkmcnt(0)
	s_barrier
	buffer_gl0_inv
	ds_load_b32 v70, v181
	ds_load_b32 v71, v184
	;; [unrolled: 1-line block ×16, first 2 shown]
	ds_load_b32 v178, v102 offset:1056
	s_and_saveexec_b32 s17, s6
	s_cbranch_execz .LBB741_772
; %bb.771:                              ;   in Loop: Header=BB741_696 Depth=2
	ds_load_b32 v68, v105 offset:1056
.LBB741_772:                            ;   in Loop: Header=BB741_696 Depth=2
	s_or_b32 exec_lo, exec_lo, s17
	s_waitcnt lgkmcnt(0)
	s_barrier
	buffer_gl0_inv
	s_and_saveexec_b32 s17, s2
	s_cbranch_execz .LBB741_774
; %bb.773:                              ;   in Loop: Header=BB741_696 Depth=2
	ds_load_b32 v202, v76
	s_waitcnt lgkmcnt(0)
	v_sub_nc_u32_e32 v178, v202, v178
	ds_store_b32 v76, v178
.LBB741_774:                            ;   in Loop: Header=BB741_696 Depth=2
	s_or_b32 exec_lo, exec_lo, s17
	v_add_nc_u32_e32 v179, v180, v179
	v_add_lshl_u32 v69, v69, v2, 3
	v_add_nc_u32_e32 v2, v183, v182
	v_add_nc_u32_e32 v180, v186, v185
	;; [unrolled: 1-line block ×8, first 2 shown]
	v_add_lshl_u32 v70, v179, v70, 3
	v_add_lshl_u32 v71, v2, v71, 3
	v_add_nc_u32_e32 v200, v201, v200
	v_add_lshl_u32 v72, v180, v72, 3
	v_add_nc_u32_e32 v203, v204, v203
	v_add_lshl_u32 v73, v182, v73, 3
	v_add_nc_u32_e32 v178, v222, v221
	v_add_nc_u32_e32 v202, v219, v218
	v_add_nc_u32_e32 v205, v216, v215
	;; [unrolled: 1-line block ×3, first 2 shown]
	ds_store_b64 v69, v[36:37] offset:1024
	ds_store_b64 v70, v[38:39] offset:1024
	v_add_lshl_u32 v38, v191, v225, 3
	ds_store_b64 v71, v[44:45] offset:1024
	ds_store_b64 v72, v[48:49] offset:1024
	;; [unrolled: 1-line block ×3, first 2 shown]
	v_add_lshl_u32 v39, v194, v224, 3
	v_add_lshl_u32 v44, v197, v199, 3
	;; [unrolled: 1-line block ×6, first 2 shown]
	ds_store_b64 v38, v[58:59] offset:1024
	ds_store_b64 v39, v[62:63] offset:1024
	;; [unrolled: 1-line block ×6, first 2 shown]
	v_add_lshl_u32 v55, v208, v184, 3
	v_add_lshl_u32 v56, v205, v181, 3
	;; [unrolled: 1-line block ×3, first 2 shown]
	ds_store_b64 v54, v[52:53] offset:1024
	v_add_lshl_u32 v52, v178, v74, 3
	v_cmp_lt_u32_e32 vcc_lo, v1, v177
	ds_store_b64 v55, v[50:51] offset:1024
	ds_store_b64 v56, v[46:47] offset:1024
	;; [unrolled: 1-line block ×4, first 2 shown]
	s_waitcnt lgkmcnt(0)
	s_barrier
	buffer_gl0_inv
	s_and_saveexec_b32 s18, vcc_lo
	s_cbranch_execz .LBB741_790
; %bb.775:                              ;   in Loop: Header=BB741_696 Depth=2
	v_add_nc_u32_e32 v2, v104, v76
	ds_load_b64 v[36:37], v2 offset:1024
	s_waitcnt lgkmcnt(0)
	v_lshrrev_b64 v[40:41], s40, v[36:37]
	v_xor_b32_e32 v37, 0x7fffffff, v37
	v_not_b32_e32 v36, v36
	s_delay_alu instid0(VALU_DEP_3) | instskip(NEXT) | instid1(VALU_DEP_1)
	v_and_b32_e32 v2, s42, v40
	v_lshlrev_b32_e32 v2, 2, v2
	ds_load_b32 v2, v2
	s_waitcnt lgkmcnt(0)
	v_add_nc_u32_e32 v2, v2, v1
	s_delay_alu instid0(VALU_DEP_1) | instskip(NEXT) | instid1(VALU_DEP_1)
	v_lshlrev_b64 v[40:41], 3, v[2:3]
	v_add_co_u32 v40, s17, s46, v40
	s_delay_alu instid0(VALU_DEP_1) | instskip(SKIP_3) | instid1(VALU_DEP_1)
	v_add_co_ci_u32_e64 v41, s17, s47, v41, s17
	global_store_b64 v[40:41], v[36:37], off
	s_or_b32 exec_lo, exec_lo, s18
	v_cmp_lt_u32_e64 s17, v77, v177
	s_and_saveexec_b32 s19, s17
	s_cbranch_execnz .LBB741_791
.LBB741_776:                            ;   in Loop: Header=BB741_696 Depth=2
	s_or_b32 exec_lo, exec_lo, s19
	v_cmp_lt_u32_e64 s18, v78, v177
	s_delay_alu instid0(VALU_DEP_1)
	s_and_saveexec_b32 s20, s18
	s_cbranch_execz .LBB741_792
.LBB741_777:                            ;   in Loop: Header=BB741_696 Depth=2
	ds_load_b64 v[36:37], v110 offset:4096
	s_waitcnt lgkmcnt(0)
	v_lshrrev_b64 v[40:41], s40, v[36:37]
	v_xor_b32_e32 v37, 0x7fffffff, v37
	v_not_b32_e32 v36, v36
	s_delay_alu instid0(VALU_DEP_3) | instskip(NEXT) | instid1(VALU_DEP_1)
	v_and_b32_e32 v2, s42, v40
	v_lshlrev_b32_e32 v2, 2, v2
	ds_load_b32 v2, v2
	s_waitcnt lgkmcnt(0)
	v_add_nc_u32_e32 v2, v2, v78
	s_delay_alu instid0(VALU_DEP_1) | instskip(NEXT) | instid1(VALU_DEP_1)
	v_lshlrev_b64 v[40:41], 3, v[2:3]
	v_add_co_u32 v40, s19, s46, v40
	s_delay_alu instid0(VALU_DEP_1) | instskip(SKIP_3) | instid1(VALU_DEP_1)
	v_add_co_ci_u32_e64 v41, s19, s47, v41, s19
	global_store_b64 v[40:41], v[36:37], off
	s_or_b32 exec_lo, exec_lo, s20
	v_cmp_lt_u32_e64 s19, v79, v177
	s_and_saveexec_b32 s21, s19
	s_cbranch_execnz .LBB741_793
.LBB741_778:                            ;   in Loop: Header=BB741_696 Depth=2
	s_or_b32 exec_lo, exec_lo, s21
	v_cmp_lt_u32_e64 s20, v83, v177
	s_delay_alu instid0(VALU_DEP_1)
	s_and_saveexec_b32 s22, s20
	s_cbranch_execz .LBB741_794
.LBB741_779:                            ;   in Loop: Header=BB741_696 Depth=2
	ds_load_b64 v[36:37], v110 offset:8192
	s_waitcnt lgkmcnt(0)
	v_lshrrev_b64 v[40:41], s40, v[36:37]
	v_xor_b32_e32 v37, 0x7fffffff, v37
	v_not_b32_e32 v36, v36
	s_delay_alu instid0(VALU_DEP_3) | instskip(NEXT) | instid1(VALU_DEP_1)
	v_and_b32_e32 v2, s42, v40
	v_lshlrev_b32_e32 v2, 2, v2
	ds_load_b32 v2, v2
	s_waitcnt lgkmcnt(0)
	v_add_nc_u32_e32 v2, v2, v83
	s_delay_alu instid0(VALU_DEP_1) | instskip(NEXT) | instid1(VALU_DEP_1)
	v_lshlrev_b64 v[40:41], 3, v[2:3]
	v_add_co_u32 v40, s21, s46, v40
	s_delay_alu instid0(VALU_DEP_1) | instskip(SKIP_3) | instid1(VALU_DEP_1)
	v_add_co_ci_u32_e64 v41, s21, s47, v41, s21
	global_store_b64 v[40:41], v[36:37], off
	s_or_b32 exec_lo, exec_lo, s22
	v_cmp_lt_u32_e64 s21, v84, v177
	s_and_saveexec_b32 s23, s21
	s_cbranch_execnz .LBB741_795
.LBB741_780:                            ;   in Loop: Header=BB741_696 Depth=2
	s_or_b32 exec_lo, exec_lo, s23
	v_cmp_lt_u32_e64 s22, v85, v177
	s_delay_alu instid0(VALU_DEP_1)
	s_and_saveexec_b32 s24, s22
	s_cbranch_execz .LBB741_796
.LBB741_781:                            ;   in Loop: Header=BB741_696 Depth=2
	ds_load_b64 v[36:37], v110 offset:12288
	s_waitcnt lgkmcnt(0)
	v_lshrrev_b64 v[40:41], s40, v[36:37]
	v_xor_b32_e32 v37, 0x7fffffff, v37
	v_not_b32_e32 v36, v36
	s_delay_alu instid0(VALU_DEP_3) | instskip(NEXT) | instid1(VALU_DEP_1)
	v_and_b32_e32 v2, s42, v40
	v_lshlrev_b32_e32 v2, 2, v2
	ds_load_b32 v2, v2
	s_waitcnt lgkmcnt(0)
	v_add_nc_u32_e32 v2, v2, v85
	s_delay_alu instid0(VALU_DEP_1) | instskip(NEXT) | instid1(VALU_DEP_1)
	v_lshlrev_b64 v[40:41], 3, v[2:3]
	v_add_co_u32 v40, s23, s46, v40
	s_delay_alu instid0(VALU_DEP_1) | instskip(SKIP_3) | instid1(VALU_DEP_1)
	v_add_co_ci_u32_e64 v41, s23, s47, v41, s23
	global_store_b64 v[40:41], v[36:37], off
	s_or_b32 exec_lo, exec_lo, s24
	v_cmp_lt_u32_e64 s23, v86, v177
	s_and_saveexec_b32 s25, s23
	s_cbranch_execnz .LBB741_797
.LBB741_782:                            ;   in Loop: Header=BB741_696 Depth=2
	s_or_b32 exec_lo, exec_lo, s25
	v_cmp_lt_u32_e64 s24, v87, v177
	s_delay_alu instid0(VALU_DEP_1)
	s_and_saveexec_b32 s26, s24
	s_cbranch_execz .LBB741_798
.LBB741_783:                            ;   in Loop: Header=BB741_696 Depth=2
	ds_load_b64 v[36:37], v110 offset:16384
	s_waitcnt lgkmcnt(0)
	v_lshrrev_b64 v[40:41], s40, v[36:37]
	v_xor_b32_e32 v37, 0x7fffffff, v37
	v_not_b32_e32 v36, v36
	s_delay_alu instid0(VALU_DEP_3) | instskip(NEXT) | instid1(VALU_DEP_1)
	v_and_b32_e32 v2, s42, v40
	v_lshlrev_b32_e32 v2, 2, v2
	ds_load_b32 v2, v2
	s_waitcnt lgkmcnt(0)
	v_add_nc_u32_e32 v2, v2, v87
	s_delay_alu instid0(VALU_DEP_1) | instskip(NEXT) | instid1(VALU_DEP_1)
	v_lshlrev_b64 v[40:41], 3, v[2:3]
	v_add_co_u32 v40, s25, s46, v40
	s_delay_alu instid0(VALU_DEP_1) | instskip(SKIP_3) | instid1(VALU_DEP_1)
	v_add_co_ci_u32_e64 v41, s25, s47, v41, s25
	global_store_b64 v[40:41], v[36:37], off
	s_or_b32 exec_lo, exec_lo, s26
	v_cmp_lt_u32_e64 s25, v88, v177
	s_and_saveexec_b32 s27, s25
	s_cbranch_execnz .LBB741_799
.LBB741_784:                            ;   in Loop: Header=BB741_696 Depth=2
	s_or_b32 exec_lo, exec_lo, s27
	v_cmp_lt_u32_e64 s26, v89, v177
	s_delay_alu instid0(VALU_DEP_1)
	s_and_saveexec_b32 s28, s26
	s_cbranch_execz .LBB741_800
.LBB741_785:                            ;   in Loop: Header=BB741_696 Depth=2
	ds_load_b64 v[36:37], v110 offset:20480
	s_waitcnt lgkmcnt(0)
	v_lshrrev_b64 v[40:41], s40, v[36:37]
	v_xor_b32_e32 v37, 0x7fffffff, v37
	v_not_b32_e32 v36, v36
	s_delay_alu instid0(VALU_DEP_3) | instskip(NEXT) | instid1(VALU_DEP_1)
	v_and_b32_e32 v2, s42, v40
	v_lshlrev_b32_e32 v2, 2, v2
	ds_load_b32 v2, v2
	s_waitcnt lgkmcnt(0)
	v_add_nc_u32_e32 v2, v2, v89
	s_delay_alu instid0(VALU_DEP_1) | instskip(NEXT) | instid1(VALU_DEP_1)
	v_lshlrev_b64 v[40:41], 3, v[2:3]
	v_add_co_u32 v40, s27, s46, v40
	s_delay_alu instid0(VALU_DEP_1) | instskip(SKIP_3) | instid1(VALU_DEP_1)
	v_add_co_ci_u32_e64 v41, s27, s47, v41, s27
	global_store_b64 v[40:41], v[36:37], off
	s_or_b32 exec_lo, exec_lo, s28
	v_cmp_lt_u32_e64 s27, v90, v177
	s_and_saveexec_b32 s29, s27
	s_cbranch_execnz .LBB741_801
.LBB741_786:                            ;   in Loop: Header=BB741_696 Depth=2
	s_or_b32 exec_lo, exec_lo, s29
	v_cmp_lt_u32_e64 s28, v91, v177
	s_delay_alu instid0(VALU_DEP_1)
	s_and_saveexec_b32 s30, s28
	s_cbranch_execz .LBB741_802
.LBB741_787:                            ;   in Loop: Header=BB741_696 Depth=2
	ds_load_b64 v[36:37], v110 offset:24576
	s_waitcnt lgkmcnt(0)
	v_lshrrev_b64 v[40:41], s40, v[36:37]
	v_xor_b32_e32 v37, 0x7fffffff, v37
	v_not_b32_e32 v36, v36
	s_delay_alu instid0(VALU_DEP_3) | instskip(NEXT) | instid1(VALU_DEP_1)
	v_and_b32_e32 v2, s42, v40
	v_lshlrev_b32_e32 v2, 2, v2
	ds_load_b32 v2, v2
	s_waitcnt lgkmcnt(0)
	v_add_nc_u32_e32 v2, v2, v91
	s_delay_alu instid0(VALU_DEP_1) | instskip(NEXT) | instid1(VALU_DEP_1)
	v_lshlrev_b64 v[40:41], 3, v[2:3]
	v_add_co_u32 v40, s29, s46, v40
	s_delay_alu instid0(VALU_DEP_1) | instskip(SKIP_3) | instid1(VALU_DEP_1)
	v_add_co_ci_u32_e64 v41, s29, s47, v41, s29
	global_store_b64 v[40:41], v[36:37], off
	s_or_b32 exec_lo, exec_lo, s30
	v_cmp_lt_u32_e64 s29, v92, v177
	s_and_saveexec_b32 s31, s29
	s_cbranch_execnz .LBB741_803
.LBB741_788:                            ;   in Loop: Header=BB741_696 Depth=2
	s_or_b32 exec_lo, exec_lo, s31
	v_cmp_lt_u32_e64 s30, v93, v177
	s_delay_alu instid0(VALU_DEP_1)
	s_and_saveexec_b32 s33, s30
	s_cbranch_execz .LBB741_804
.LBB741_789:                            ;   in Loop: Header=BB741_696 Depth=2
	ds_load_b64 v[36:37], v110 offset:28672
	s_waitcnt lgkmcnt(0)
	v_lshrrev_b64 v[40:41], s40, v[36:37]
	v_xor_b32_e32 v37, 0x7fffffff, v37
	v_not_b32_e32 v36, v36
	s_delay_alu instid0(VALU_DEP_3) | instskip(NEXT) | instid1(VALU_DEP_1)
	v_and_b32_e32 v2, s42, v40
	v_lshlrev_b32_e32 v2, 2, v2
	ds_load_b32 v2, v2
	s_waitcnt lgkmcnt(0)
	v_add_nc_u32_e32 v2, v2, v93
	s_delay_alu instid0(VALU_DEP_1) | instskip(NEXT) | instid1(VALU_DEP_1)
	v_lshlrev_b64 v[40:41], 3, v[2:3]
	v_add_co_u32 v40, s31, s46, v40
	s_delay_alu instid0(VALU_DEP_1) | instskip(SKIP_3) | instid1(VALU_DEP_1)
	v_add_co_ci_u32_e64 v41, s31, s47, v41, s31
	global_store_b64 v[40:41], v[36:37], off
	s_or_b32 exec_lo, exec_lo, s33
	v_cmp_lt_u32_e64 s31, v95, v177
	s_and_saveexec_b32 s39, s31
	s_cbranch_execnz .LBB741_805
	s_branch .LBB741_806
.LBB741_790:                            ;   in Loop: Header=BB741_696 Depth=2
	s_or_b32 exec_lo, exec_lo, s18
	v_cmp_lt_u32_e64 s17, v77, v177
	s_delay_alu instid0(VALU_DEP_1)
	s_and_saveexec_b32 s19, s17
	s_cbranch_execz .LBB741_776
.LBB741_791:                            ;   in Loop: Header=BB741_696 Depth=2
	ds_load_b64 v[36:37], v110 offset:2048
	s_waitcnt lgkmcnt(0)
	v_lshrrev_b64 v[40:41], s40, v[36:37]
	v_xor_b32_e32 v37, 0x7fffffff, v37
	v_not_b32_e32 v36, v36
	s_delay_alu instid0(VALU_DEP_3) | instskip(NEXT) | instid1(VALU_DEP_1)
	v_and_b32_e32 v2, s42, v40
	v_lshlrev_b32_e32 v2, 2, v2
	ds_load_b32 v2, v2
	s_waitcnt lgkmcnt(0)
	v_add_nc_u32_e32 v2, v2, v77
	s_delay_alu instid0(VALU_DEP_1) | instskip(NEXT) | instid1(VALU_DEP_1)
	v_lshlrev_b64 v[40:41], 3, v[2:3]
	v_add_co_u32 v40, s18, s46, v40
	s_delay_alu instid0(VALU_DEP_1) | instskip(SKIP_3) | instid1(VALU_DEP_1)
	v_add_co_ci_u32_e64 v41, s18, s47, v41, s18
	global_store_b64 v[40:41], v[36:37], off
	s_or_b32 exec_lo, exec_lo, s19
	v_cmp_lt_u32_e64 s18, v78, v177
	s_and_saveexec_b32 s20, s18
	s_cbranch_execnz .LBB741_777
.LBB741_792:                            ;   in Loop: Header=BB741_696 Depth=2
	s_or_b32 exec_lo, exec_lo, s20
	v_cmp_lt_u32_e64 s19, v79, v177
	s_delay_alu instid0(VALU_DEP_1)
	s_and_saveexec_b32 s21, s19
	s_cbranch_execz .LBB741_778
.LBB741_793:                            ;   in Loop: Header=BB741_696 Depth=2
	ds_load_b64 v[36:37], v110 offset:6144
	s_waitcnt lgkmcnt(0)
	v_lshrrev_b64 v[40:41], s40, v[36:37]
	v_xor_b32_e32 v37, 0x7fffffff, v37
	v_not_b32_e32 v36, v36
	s_delay_alu instid0(VALU_DEP_3) | instskip(NEXT) | instid1(VALU_DEP_1)
	v_and_b32_e32 v2, s42, v40
	v_lshlrev_b32_e32 v2, 2, v2
	ds_load_b32 v2, v2
	s_waitcnt lgkmcnt(0)
	v_add_nc_u32_e32 v2, v2, v79
	s_delay_alu instid0(VALU_DEP_1) | instskip(NEXT) | instid1(VALU_DEP_1)
	v_lshlrev_b64 v[40:41], 3, v[2:3]
	v_add_co_u32 v40, s20, s46, v40
	s_delay_alu instid0(VALU_DEP_1) | instskip(SKIP_3) | instid1(VALU_DEP_1)
	v_add_co_ci_u32_e64 v41, s20, s47, v41, s20
	global_store_b64 v[40:41], v[36:37], off
	s_or_b32 exec_lo, exec_lo, s21
	v_cmp_lt_u32_e64 s20, v83, v177
	s_and_saveexec_b32 s22, s20
	s_cbranch_execnz .LBB741_779
.LBB741_794:                            ;   in Loop: Header=BB741_696 Depth=2
	s_or_b32 exec_lo, exec_lo, s22
	v_cmp_lt_u32_e64 s21, v84, v177
	s_delay_alu instid0(VALU_DEP_1)
	s_and_saveexec_b32 s23, s21
	s_cbranch_execz .LBB741_780
.LBB741_795:                            ;   in Loop: Header=BB741_696 Depth=2
	ds_load_b64 v[36:37], v110 offset:10240
	s_waitcnt lgkmcnt(0)
	v_lshrrev_b64 v[40:41], s40, v[36:37]
	v_xor_b32_e32 v37, 0x7fffffff, v37
	v_not_b32_e32 v36, v36
	s_delay_alu instid0(VALU_DEP_3) | instskip(NEXT) | instid1(VALU_DEP_1)
	v_and_b32_e32 v2, s42, v40
	v_lshlrev_b32_e32 v2, 2, v2
	ds_load_b32 v2, v2
	s_waitcnt lgkmcnt(0)
	v_add_nc_u32_e32 v2, v2, v84
	s_delay_alu instid0(VALU_DEP_1) | instskip(NEXT) | instid1(VALU_DEP_1)
	v_lshlrev_b64 v[40:41], 3, v[2:3]
	v_add_co_u32 v40, s22, s46, v40
	s_delay_alu instid0(VALU_DEP_1) | instskip(SKIP_3) | instid1(VALU_DEP_1)
	v_add_co_ci_u32_e64 v41, s22, s47, v41, s22
	global_store_b64 v[40:41], v[36:37], off
	s_or_b32 exec_lo, exec_lo, s23
	v_cmp_lt_u32_e64 s22, v85, v177
	s_and_saveexec_b32 s24, s22
	s_cbranch_execnz .LBB741_781
.LBB741_796:                            ;   in Loop: Header=BB741_696 Depth=2
	s_or_b32 exec_lo, exec_lo, s24
	v_cmp_lt_u32_e64 s23, v86, v177
	s_delay_alu instid0(VALU_DEP_1)
	s_and_saveexec_b32 s25, s23
	s_cbranch_execz .LBB741_782
.LBB741_797:                            ;   in Loop: Header=BB741_696 Depth=2
	ds_load_b64 v[36:37], v110 offset:14336
	s_waitcnt lgkmcnt(0)
	v_lshrrev_b64 v[40:41], s40, v[36:37]
	v_xor_b32_e32 v37, 0x7fffffff, v37
	v_not_b32_e32 v36, v36
	s_delay_alu instid0(VALU_DEP_3) | instskip(NEXT) | instid1(VALU_DEP_1)
	v_and_b32_e32 v2, s42, v40
	v_lshlrev_b32_e32 v2, 2, v2
	ds_load_b32 v2, v2
	s_waitcnt lgkmcnt(0)
	v_add_nc_u32_e32 v2, v2, v86
	s_delay_alu instid0(VALU_DEP_1) | instskip(NEXT) | instid1(VALU_DEP_1)
	v_lshlrev_b64 v[40:41], 3, v[2:3]
	v_add_co_u32 v40, s24, s46, v40
	s_delay_alu instid0(VALU_DEP_1) | instskip(SKIP_3) | instid1(VALU_DEP_1)
	v_add_co_ci_u32_e64 v41, s24, s47, v41, s24
	global_store_b64 v[40:41], v[36:37], off
	s_or_b32 exec_lo, exec_lo, s25
	v_cmp_lt_u32_e64 s24, v87, v177
	s_and_saveexec_b32 s26, s24
	s_cbranch_execnz .LBB741_783
.LBB741_798:                            ;   in Loop: Header=BB741_696 Depth=2
	s_or_b32 exec_lo, exec_lo, s26
	v_cmp_lt_u32_e64 s25, v88, v177
	s_delay_alu instid0(VALU_DEP_1)
	s_and_saveexec_b32 s27, s25
	s_cbranch_execz .LBB741_784
.LBB741_799:                            ;   in Loop: Header=BB741_696 Depth=2
	ds_load_b64 v[36:37], v110 offset:18432
	s_waitcnt lgkmcnt(0)
	v_lshrrev_b64 v[40:41], s40, v[36:37]
	v_xor_b32_e32 v37, 0x7fffffff, v37
	v_not_b32_e32 v36, v36
	s_delay_alu instid0(VALU_DEP_3) | instskip(NEXT) | instid1(VALU_DEP_1)
	v_and_b32_e32 v2, s42, v40
	v_lshlrev_b32_e32 v2, 2, v2
	ds_load_b32 v2, v2
	s_waitcnt lgkmcnt(0)
	v_add_nc_u32_e32 v2, v2, v88
	s_delay_alu instid0(VALU_DEP_1) | instskip(NEXT) | instid1(VALU_DEP_1)
	v_lshlrev_b64 v[40:41], 3, v[2:3]
	v_add_co_u32 v40, s26, s46, v40
	s_delay_alu instid0(VALU_DEP_1) | instskip(SKIP_3) | instid1(VALU_DEP_1)
	v_add_co_ci_u32_e64 v41, s26, s47, v41, s26
	global_store_b64 v[40:41], v[36:37], off
	s_or_b32 exec_lo, exec_lo, s27
	v_cmp_lt_u32_e64 s26, v89, v177
	s_and_saveexec_b32 s28, s26
	s_cbranch_execnz .LBB741_785
.LBB741_800:                            ;   in Loop: Header=BB741_696 Depth=2
	s_or_b32 exec_lo, exec_lo, s28
	v_cmp_lt_u32_e64 s27, v90, v177
	s_delay_alu instid0(VALU_DEP_1)
	s_and_saveexec_b32 s29, s27
	s_cbranch_execz .LBB741_786
.LBB741_801:                            ;   in Loop: Header=BB741_696 Depth=2
	ds_load_b64 v[36:37], v110 offset:22528
	s_waitcnt lgkmcnt(0)
	v_lshrrev_b64 v[40:41], s40, v[36:37]
	v_xor_b32_e32 v37, 0x7fffffff, v37
	v_not_b32_e32 v36, v36
	s_delay_alu instid0(VALU_DEP_3) | instskip(NEXT) | instid1(VALU_DEP_1)
	v_and_b32_e32 v2, s42, v40
	v_lshlrev_b32_e32 v2, 2, v2
	ds_load_b32 v2, v2
	s_waitcnt lgkmcnt(0)
	v_add_nc_u32_e32 v2, v2, v90
	s_delay_alu instid0(VALU_DEP_1) | instskip(NEXT) | instid1(VALU_DEP_1)
	v_lshlrev_b64 v[40:41], 3, v[2:3]
	v_add_co_u32 v40, s28, s46, v40
	s_delay_alu instid0(VALU_DEP_1) | instskip(SKIP_3) | instid1(VALU_DEP_1)
	v_add_co_ci_u32_e64 v41, s28, s47, v41, s28
	global_store_b64 v[40:41], v[36:37], off
	s_or_b32 exec_lo, exec_lo, s29
	v_cmp_lt_u32_e64 s28, v91, v177
	s_and_saveexec_b32 s30, s28
	s_cbranch_execnz .LBB741_787
.LBB741_802:                            ;   in Loop: Header=BB741_696 Depth=2
	s_or_b32 exec_lo, exec_lo, s30
	v_cmp_lt_u32_e64 s29, v92, v177
	s_delay_alu instid0(VALU_DEP_1)
	s_and_saveexec_b32 s31, s29
	s_cbranch_execz .LBB741_788
.LBB741_803:                            ;   in Loop: Header=BB741_696 Depth=2
	ds_load_b64 v[36:37], v110 offset:26624
	s_waitcnt lgkmcnt(0)
	v_lshrrev_b64 v[40:41], s40, v[36:37]
	v_xor_b32_e32 v37, 0x7fffffff, v37
	v_not_b32_e32 v36, v36
	s_delay_alu instid0(VALU_DEP_3) | instskip(NEXT) | instid1(VALU_DEP_1)
	v_and_b32_e32 v2, s42, v40
	v_lshlrev_b32_e32 v2, 2, v2
	ds_load_b32 v2, v2
	s_waitcnt lgkmcnt(0)
	v_add_nc_u32_e32 v2, v2, v92
	s_delay_alu instid0(VALU_DEP_1) | instskip(NEXT) | instid1(VALU_DEP_1)
	v_lshlrev_b64 v[40:41], 3, v[2:3]
	v_add_co_u32 v40, s30, s46, v40
	s_delay_alu instid0(VALU_DEP_1) | instskip(SKIP_3) | instid1(VALU_DEP_1)
	v_add_co_ci_u32_e64 v41, s30, s47, v41, s30
	global_store_b64 v[40:41], v[36:37], off
	s_or_b32 exec_lo, exec_lo, s31
	v_cmp_lt_u32_e64 s30, v93, v177
	s_and_saveexec_b32 s33, s30
	s_cbranch_execnz .LBB741_789
.LBB741_804:                            ;   in Loop: Header=BB741_696 Depth=2
	s_or_b32 exec_lo, exec_lo, s33
	v_cmp_lt_u32_e64 s31, v95, v177
	s_delay_alu instid0(VALU_DEP_1)
	s_and_saveexec_b32 s39, s31
	s_cbranch_execz .LBB741_806
.LBB741_805:                            ;   in Loop: Header=BB741_696 Depth=2
	ds_load_b64 v[36:37], v110 offset:30720
	s_waitcnt lgkmcnt(0)
	v_lshrrev_b64 v[40:41], s40, v[36:37]
	v_xor_b32_e32 v37, 0x7fffffff, v37
	v_not_b32_e32 v36, v36
	s_delay_alu instid0(VALU_DEP_3) | instskip(NEXT) | instid1(VALU_DEP_1)
	v_and_b32_e32 v2, s42, v40
	v_lshlrev_b32_e32 v2, 2, v2
	ds_load_b32 v2, v2
	s_waitcnt lgkmcnt(0)
	v_add_nc_u32_e32 v2, v2, v95
	s_delay_alu instid0(VALU_DEP_1) | instskip(NEXT) | instid1(VALU_DEP_1)
	v_lshlrev_b64 v[40:41], 3, v[2:3]
	v_add_co_u32 v40, s33, s46, v40
	s_delay_alu instid0(VALU_DEP_1)
	v_add_co_ci_u32_e64 v41, s33, s47, v41, s33
	global_store_b64 v[40:41], v[36:37], off
.LBB741_806:                            ;   in Loop: Header=BB741_696 Depth=2
	s_or_b32 exec_lo, exec_lo, s39
	s_mov_b32 s39, s34
	s_delay_alu instid0(SALU_CYCLE_1) | instskip(NEXT) | instid1(SALU_CYCLE_1)
	s_lshl_b64 s[38:39], s[38:39], 3
	v_add_co_u32 v36, s33, v139, s38
	s_delay_alu instid0(VALU_DEP_1) | instskip(SKIP_1) | instid1(VALU_DEP_1)
	v_add_co_ci_u32_e64 v37, s33, s39, v140, s33
	v_cmp_lt_u32_e64 s33, v138, v177
	s_and_saveexec_b32 s38, s33
	s_delay_alu instid0(SALU_CYCLE_1)
	s_xor_b32 s33, exec_lo, s38
	s_cbranch_execz .LBB741_838
; %bb.807:                              ;   in Loop: Header=BB741_696 Depth=2
	global_load_b64 v[34:35], v[36:37], off
	s_or_b32 exec_lo, exec_lo, s33
	s_delay_alu instid0(SALU_CYCLE_1)
	s_mov_b32 s38, exec_lo
	v_cmpx_lt_u32_e64 v141, v177
	s_cbranch_execnz .LBB741_839
.LBB741_808:                            ;   in Loop: Header=BB741_696 Depth=2
	s_or_b32 exec_lo, exec_lo, s38
	s_delay_alu instid0(SALU_CYCLE_1)
	s_mov_b32 s38, exec_lo
	v_cmpx_lt_u32_e64 v142, v177
	s_cbranch_execz .LBB741_840
.LBB741_809:                            ;   in Loop: Header=BB741_696 Depth=2
	global_load_b64 v[30:31], v[36:37], off offset:512
	s_or_b32 exec_lo, exec_lo, s38
	s_delay_alu instid0(SALU_CYCLE_1)
	s_mov_b32 s38, exec_lo
	v_cmpx_lt_u32_e64 v143, v177
	s_cbranch_execnz .LBB741_841
.LBB741_810:                            ;   in Loop: Header=BB741_696 Depth=2
	s_or_b32 exec_lo, exec_lo, s38
	s_delay_alu instid0(SALU_CYCLE_1)
	s_mov_b32 s38, exec_lo
	v_cmpx_lt_u32_e64 v144, v177
	s_cbranch_execz .LBB741_842
.LBB741_811:                            ;   in Loop: Header=BB741_696 Depth=2
	global_load_b64 v[26:27], v[36:37], off offset:1024
	s_or_b32 exec_lo, exec_lo, s38
	s_delay_alu instid0(SALU_CYCLE_1)
	s_mov_b32 s38, exec_lo
	v_cmpx_lt_u32_e64 v145, v177
	s_cbranch_execnz .LBB741_843
.LBB741_812:                            ;   in Loop: Header=BB741_696 Depth=2
	s_or_b32 exec_lo, exec_lo, s38
	s_delay_alu instid0(SALU_CYCLE_1)
	s_mov_b32 s38, exec_lo
	v_cmpx_lt_u32_e64 v146, v177
	s_cbranch_execz .LBB741_844
.LBB741_813:                            ;   in Loop: Header=BB741_696 Depth=2
	global_load_b64 v[22:23], v[36:37], off offset:1536
	s_or_b32 exec_lo, exec_lo, s38
	s_delay_alu instid0(SALU_CYCLE_1)
	s_mov_b32 s38, exec_lo
	v_cmpx_lt_u32_e64 v147, v177
	s_cbranch_execnz .LBB741_845
.LBB741_814:                            ;   in Loop: Header=BB741_696 Depth=2
	s_or_b32 exec_lo, exec_lo, s38
	s_delay_alu instid0(SALU_CYCLE_1)
	s_mov_b32 s38, exec_lo
	v_cmpx_lt_u32_e64 v148, v177
	s_cbranch_execz .LBB741_846
.LBB741_815:                            ;   in Loop: Header=BB741_696 Depth=2
	global_load_b64 v[18:19], v[36:37], off offset:2048
	s_or_b32 exec_lo, exec_lo, s38
	s_delay_alu instid0(SALU_CYCLE_1)
	s_mov_b32 s38, exec_lo
	v_cmpx_lt_u32_e64 v149, v177
	s_cbranch_execnz .LBB741_847
.LBB741_816:                            ;   in Loop: Header=BB741_696 Depth=2
	s_or_b32 exec_lo, exec_lo, s38
	s_delay_alu instid0(SALU_CYCLE_1)
	s_mov_b32 s38, exec_lo
	v_cmpx_lt_u32_e64 v150, v177
	s_cbranch_execz .LBB741_848
.LBB741_817:                            ;   in Loop: Header=BB741_696 Depth=2
	global_load_b64 v[14:15], v[36:37], off offset:2560
	s_or_b32 exec_lo, exec_lo, s38
	s_delay_alu instid0(SALU_CYCLE_1)
	s_mov_b32 s38, exec_lo
	v_cmpx_lt_u32_e64 v151, v177
	s_cbranch_execnz .LBB741_849
.LBB741_818:                            ;   in Loop: Header=BB741_696 Depth=2
	s_or_b32 exec_lo, exec_lo, s38
	s_delay_alu instid0(SALU_CYCLE_1)
	s_mov_b32 s38, exec_lo
	v_cmpx_lt_u32_e64 v152, v177
	s_cbranch_execz .LBB741_850
.LBB741_819:                            ;   in Loop: Header=BB741_696 Depth=2
	global_load_b64 v[10:11], v[36:37], off offset:3072
	s_or_b32 exec_lo, exec_lo, s38
	s_delay_alu instid0(SALU_CYCLE_1)
	s_mov_b32 s38, exec_lo
	v_cmpx_lt_u32_e64 v153, v177
	s_cbranch_execnz .LBB741_851
.LBB741_820:                            ;   in Loop: Header=BB741_696 Depth=2
	s_or_b32 exec_lo, exec_lo, s38
	s_delay_alu instid0(SALU_CYCLE_1)
	s_mov_b32 s38, exec_lo
	v_cmpx_lt_u32_e64 v154, v177
	s_cbranch_execz .LBB741_852
.LBB741_821:                            ;   in Loop: Header=BB741_696 Depth=2
	global_load_b64 v[6:7], v[36:37], off offset:3584
	s_or_b32 exec_lo, exec_lo, s38
	s_delay_alu instid0(SALU_CYCLE_1)
	s_mov_b32 s38, exec_lo
	v_cmpx_lt_u32_e64 v155, v177
	s_cbranch_execnz .LBB741_853
.LBB741_822:                            ;   in Loop: Header=BB741_696 Depth=2
	s_or_b32 exec_lo, exec_lo, s38
	s_and_saveexec_b32 s33, vcc_lo
	s_cbranch_execz .LBB741_854
.LBB741_823:                            ;   in Loop: Header=BB741_696 Depth=2
	v_add_nc_u32_e32 v2, v104, v76
	ds_load_b64 v[36:37], v2 offset:1024
	s_waitcnt lgkmcnt(0)
	v_lshrrev_b64 v[36:37], s40, v[36:37]
	s_delay_alu instid0(VALU_DEP_1)
	v_and_b32_e32 v176, s42, v36
	s_or_b32 exec_lo, exec_lo, s33
	s_and_saveexec_b32 s33, s17
	s_cbranch_execnz .LBB741_855
.LBB741_824:                            ;   in Loop: Header=BB741_696 Depth=2
	s_or_b32 exec_lo, exec_lo, s33
	s_and_saveexec_b32 s33, s18
	s_cbranch_execz .LBB741_856
.LBB741_825:                            ;   in Loop: Header=BB741_696 Depth=2
	ds_load_b64 v[36:37], v110 offset:4096
	s_waitcnt lgkmcnt(0)
	v_lshrrev_b64 v[36:37], s40, v[36:37]
	s_delay_alu instid0(VALU_DEP_1)
	v_and_b32_e32 v174, s42, v36
	s_or_b32 exec_lo, exec_lo, s33
	s_and_saveexec_b32 s33, s19
	s_cbranch_execnz .LBB741_857
.LBB741_826:                            ;   in Loop: Header=BB741_696 Depth=2
	s_or_b32 exec_lo, exec_lo, s33
	s_and_saveexec_b32 s33, s20
	s_cbranch_execz .LBB741_858
.LBB741_827:                            ;   in Loop: Header=BB741_696 Depth=2
	ds_load_b64 v[36:37], v110 offset:8192
	s_waitcnt lgkmcnt(0)
	v_lshrrev_b64 v[36:37], s40, v[36:37]
	s_delay_alu instid0(VALU_DEP_1)
	v_and_b32_e32 v172, s42, v36
	s_or_b32 exec_lo, exec_lo, s33
	s_and_saveexec_b32 s33, s21
	s_cbranch_execnz .LBB741_859
.LBB741_828:                            ;   in Loop: Header=BB741_696 Depth=2
	s_or_b32 exec_lo, exec_lo, s33
	s_and_saveexec_b32 s33, s22
	s_cbranch_execz .LBB741_860
.LBB741_829:                            ;   in Loop: Header=BB741_696 Depth=2
	ds_load_b64 v[36:37], v110 offset:12288
	s_waitcnt lgkmcnt(0)
	v_lshrrev_b64 v[36:37], s40, v[36:37]
	s_delay_alu instid0(VALU_DEP_1)
	v_and_b32_e32 v170, s42, v36
	s_or_b32 exec_lo, exec_lo, s33
	s_and_saveexec_b32 s33, s23
	s_cbranch_execnz .LBB741_861
.LBB741_830:                            ;   in Loop: Header=BB741_696 Depth=2
	s_or_b32 exec_lo, exec_lo, s33
	s_and_saveexec_b32 s33, s24
	s_cbranch_execz .LBB741_862
.LBB741_831:                            ;   in Loop: Header=BB741_696 Depth=2
	ds_load_b64 v[36:37], v110 offset:16384
	s_waitcnt lgkmcnt(0)
	v_lshrrev_b64 v[36:37], s40, v[36:37]
	s_delay_alu instid0(VALU_DEP_1)
	v_and_b32_e32 v168, s42, v36
	s_or_b32 exec_lo, exec_lo, s33
	s_and_saveexec_b32 s33, s25
	s_cbranch_execnz .LBB741_863
.LBB741_832:                            ;   in Loop: Header=BB741_696 Depth=2
	s_or_b32 exec_lo, exec_lo, s33
	s_and_saveexec_b32 s33, s26
	s_cbranch_execz .LBB741_864
.LBB741_833:                            ;   in Loop: Header=BB741_696 Depth=2
	ds_load_b64 v[36:37], v110 offset:20480
	s_waitcnt lgkmcnt(0)
	v_lshrrev_b64 v[36:37], s40, v[36:37]
	s_delay_alu instid0(VALU_DEP_1)
	v_and_b32_e32 v166, s42, v36
	s_or_b32 exec_lo, exec_lo, s33
	s_and_saveexec_b32 s33, s27
	s_cbranch_execnz .LBB741_865
.LBB741_834:                            ;   in Loop: Header=BB741_696 Depth=2
	s_or_b32 exec_lo, exec_lo, s33
	s_and_saveexec_b32 s33, s28
	s_cbranch_execz .LBB741_866
.LBB741_835:                            ;   in Loop: Header=BB741_696 Depth=2
	ds_load_b64 v[36:37], v110 offset:24576
	s_waitcnt lgkmcnt(0)
	v_lshrrev_b64 v[36:37], s40, v[36:37]
	s_delay_alu instid0(VALU_DEP_1)
	v_and_b32_e32 v164, s42, v36
	s_or_b32 exec_lo, exec_lo, s33
	s_and_saveexec_b32 s33, s29
	s_cbranch_execnz .LBB741_867
.LBB741_836:                            ;   in Loop: Header=BB741_696 Depth=2
	s_or_b32 exec_lo, exec_lo, s33
	s_and_saveexec_b32 s33, s30
	s_cbranch_execz .LBB741_868
.LBB741_837:                            ;   in Loop: Header=BB741_696 Depth=2
	ds_load_b64 v[36:37], v110 offset:28672
	s_waitcnt lgkmcnt(0)
	v_lshrrev_b64 v[36:37], s40, v[36:37]
	s_delay_alu instid0(VALU_DEP_1)
	v_and_b32_e32 v162, s42, v36
	s_or_b32 exec_lo, exec_lo, s33
	s_and_saveexec_b32 s33, s31
	s_cbranch_execnz .LBB741_869
	s_branch .LBB741_870
.LBB741_838:                            ;   in Loop: Header=BB741_696 Depth=2
	s_or_b32 exec_lo, exec_lo, s33
	s_delay_alu instid0(SALU_CYCLE_1)
	s_mov_b32 s38, exec_lo
	v_cmpx_lt_u32_e64 v141, v177
	s_cbranch_execz .LBB741_808
.LBB741_839:                            ;   in Loop: Header=BB741_696 Depth=2
	global_load_b64 v[32:33], v[36:37], off offset:256
	s_or_b32 exec_lo, exec_lo, s38
	s_delay_alu instid0(SALU_CYCLE_1)
	s_mov_b32 s38, exec_lo
	v_cmpx_lt_u32_e64 v142, v177
	s_cbranch_execnz .LBB741_809
.LBB741_840:                            ;   in Loop: Header=BB741_696 Depth=2
	s_or_b32 exec_lo, exec_lo, s38
	s_delay_alu instid0(SALU_CYCLE_1)
	s_mov_b32 s38, exec_lo
	v_cmpx_lt_u32_e64 v143, v177
	s_cbranch_execz .LBB741_810
.LBB741_841:                            ;   in Loop: Header=BB741_696 Depth=2
	global_load_b64 v[28:29], v[36:37], off offset:768
	s_or_b32 exec_lo, exec_lo, s38
	s_delay_alu instid0(SALU_CYCLE_1)
	s_mov_b32 s38, exec_lo
	v_cmpx_lt_u32_e64 v144, v177
	s_cbranch_execnz .LBB741_811
.LBB741_842:                            ;   in Loop: Header=BB741_696 Depth=2
	s_or_b32 exec_lo, exec_lo, s38
	s_delay_alu instid0(SALU_CYCLE_1)
	s_mov_b32 s38, exec_lo
	v_cmpx_lt_u32_e64 v145, v177
	s_cbranch_execz .LBB741_812
.LBB741_843:                            ;   in Loop: Header=BB741_696 Depth=2
	global_load_b64 v[24:25], v[36:37], off offset:1280
	s_or_b32 exec_lo, exec_lo, s38
	s_delay_alu instid0(SALU_CYCLE_1)
	s_mov_b32 s38, exec_lo
	v_cmpx_lt_u32_e64 v146, v177
	s_cbranch_execnz .LBB741_813
.LBB741_844:                            ;   in Loop: Header=BB741_696 Depth=2
	s_or_b32 exec_lo, exec_lo, s38
	s_delay_alu instid0(SALU_CYCLE_1)
	s_mov_b32 s38, exec_lo
	v_cmpx_lt_u32_e64 v147, v177
	s_cbranch_execz .LBB741_814
.LBB741_845:                            ;   in Loop: Header=BB741_696 Depth=2
	global_load_b64 v[20:21], v[36:37], off offset:1792
	s_or_b32 exec_lo, exec_lo, s38
	s_delay_alu instid0(SALU_CYCLE_1)
	s_mov_b32 s38, exec_lo
	v_cmpx_lt_u32_e64 v148, v177
	s_cbranch_execnz .LBB741_815
.LBB741_846:                            ;   in Loop: Header=BB741_696 Depth=2
	s_or_b32 exec_lo, exec_lo, s38
	s_delay_alu instid0(SALU_CYCLE_1)
	s_mov_b32 s38, exec_lo
	v_cmpx_lt_u32_e64 v149, v177
	s_cbranch_execz .LBB741_816
.LBB741_847:                            ;   in Loop: Header=BB741_696 Depth=2
	global_load_b64 v[16:17], v[36:37], off offset:2304
	s_or_b32 exec_lo, exec_lo, s38
	s_delay_alu instid0(SALU_CYCLE_1)
	s_mov_b32 s38, exec_lo
	v_cmpx_lt_u32_e64 v150, v177
	s_cbranch_execnz .LBB741_817
.LBB741_848:                            ;   in Loop: Header=BB741_696 Depth=2
	s_or_b32 exec_lo, exec_lo, s38
	s_delay_alu instid0(SALU_CYCLE_1)
	s_mov_b32 s38, exec_lo
	v_cmpx_lt_u32_e64 v151, v177
	s_cbranch_execz .LBB741_818
.LBB741_849:                            ;   in Loop: Header=BB741_696 Depth=2
	global_load_b64 v[12:13], v[36:37], off offset:2816
	s_or_b32 exec_lo, exec_lo, s38
	s_delay_alu instid0(SALU_CYCLE_1)
	s_mov_b32 s38, exec_lo
	v_cmpx_lt_u32_e64 v152, v177
	s_cbranch_execnz .LBB741_819
.LBB741_850:                            ;   in Loop: Header=BB741_696 Depth=2
	s_or_b32 exec_lo, exec_lo, s38
	s_delay_alu instid0(SALU_CYCLE_1)
	s_mov_b32 s38, exec_lo
	v_cmpx_lt_u32_e64 v153, v177
	s_cbranch_execz .LBB741_820
.LBB741_851:                            ;   in Loop: Header=BB741_696 Depth=2
	global_load_b64 v[8:9], v[36:37], off offset:3328
	s_or_b32 exec_lo, exec_lo, s38
	s_delay_alu instid0(SALU_CYCLE_1)
	s_mov_b32 s38, exec_lo
	v_cmpx_lt_u32_e64 v154, v177
	s_cbranch_execnz .LBB741_821
.LBB741_852:                            ;   in Loop: Header=BB741_696 Depth=2
	s_or_b32 exec_lo, exec_lo, s38
	s_delay_alu instid0(SALU_CYCLE_1)
	s_mov_b32 s38, exec_lo
	v_cmpx_lt_u32_e64 v155, v177
	s_cbranch_execz .LBB741_822
.LBB741_853:                            ;   in Loop: Header=BB741_696 Depth=2
	global_load_b64 v[4:5], v[36:37], off offset:3840
	s_or_b32 exec_lo, exec_lo, s38
	s_and_saveexec_b32 s33, vcc_lo
	s_cbranch_execnz .LBB741_823
.LBB741_854:                            ;   in Loop: Header=BB741_696 Depth=2
	s_or_b32 exec_lo, exec_lo, s33
	s_and_saveexec_b32 s33, s17
	s_cbranch_execz .LBB741_824
.LBB741_855:                            ;   in Loop: Header=BB741_696 Depth=2
	ds_load_b64 v[36:37], v110 offset:2048
	s_waitcnt lgkmcnt(0)
	v_lshrrev_b64 v[36:37], s40, v[36:37]
	s_delay_alu instid0(VALU_DEP_1)
	v_and_b32_e32 v175, s42, v36
	s_or_b32 exec_lo, exec_lo, s33
	s_and_saveexec_b32 s33, s18
	s_cbranch_execnz .LBB741_825
.LBB741_856:                            ;   in Loop: Header=BB741_696 Depth=2
	s_or_b32 exec_lo, exec_lo, s33
	s_and_saveexec_b32 s33, s19
	s_cbranch_execz .LBB741_826
.LBB741_857:                            ;   in Loop: Header=BB741_696 Depth=2
	ds_load_b64 v[36:37], v110 offset:6144
	s_waitcnt lgkmcnt(0)
	v_lshrrev_b64 v[36:37], s40, v[36:37]
	s_delay_alu instid0(VALU_DEP_1)
	v_and_b32_e32 v173, s42, v36
	s_or_b32 exec_lo, exec_lo, s33
	s_and_saveexec_b32 s33, s20
	s_cbranch_execnz .LBB741_827
.LBB741_858:                            ;   in Loop: Header=BB741_696 Depth=2
	s_or_b32 exec_lo, exec_lo, s33
	s_and_saveexec_b32 s33, s21
	s_cbranch_execz .LBB741_828
.LBB741_859:                            ;   in Loop: Header=BB741_696 Depth=2
	ds_load_b64 v[36:37], v110 offset:10240
	s_waitcnt lgkmcnt(0)
	v_lshrrev_b64 v[36:37], s40, v[36:37]
	s_delay_alu instid0(VALU_DEP_1)
	v_and_b32_e32 v171, s42, v36
	s_or_b32 exec_lo, exec_lo, s33
	s_and_saveexec_b32 s33, s22
	s_cbranch_execnz .LBB741_829
.LBB741_860:                            ;   in Loop: Header=BB741_696 Depth=2
	s_or_b32 exec_lo, exec_lo, s33
	s_and_saveexec_b32 s33, s23
	s_cbranch_execz .LBB741_830
.LBB741_861:                            ;   in Loop: Header=BB741_696 Depth=2
	ds_load_b64 v[36:37], v110 offset:14336
	s_waitcnt lgkmcnt(0)
	v_lshrrev_b64 v[36:37], s40, v[36:37]
	s_delay_alu instid0(VALU_DEP_1)
	v_and_b32_e32 v169, s42, v36
	s_or_b32 exec_lo, exec_lo, s33
	s_and_saveexec_b32 s33, s24
	s_cbranch_execnz .LBB741_831
.LBB741_862:                            ;   in Loop: Header=BB741_696 Depth=2
	s_or_b32 exec_lo, exec_lo, s33
	s_and_saveexec_b32 s33, s25
	s_cbranch_execz .LBB741_832
.LBB741_863:                            ;   in Loop: Header=BB741_696 Depth=2
	ds_load_b64 v[36:37], v110 offset:18432
	s_waitcnt lgkmcnt(0)
	v_lshrrev_b64 v[36:37], s40, v[36:37]
	s_delay_alu instid0(VALU_DEP_1)
	v_and_b32_e32 v167, s42, v36
	s_or_b32 exec_lo, exec_lo, s33
	s_and_saveexec_b32 s33, s26
	s_cbranch_execnz .LBB741_833
.LBB741_864:                            ;   in Loop: Header=BB741_696 Depth=2
	s_or_b32 exec_lo, exec_lo, s33
	s_and_saveexec_b32 s33, s27
	s_cbranch_execz .LBB741_834
.LBB741_865:                            ;   in Loop: Header=BB741_696 Depth=2
	ds_load_b64 v[36:37], v110 offset:22528
	s_waitcnt lgkmcnt(0)
	v_lshrrev_b64 v[36:37], s40, v[36:37]
	s_delay_alu instid0(VALU_DEP_1)
	v_and_b32_e32 v165, s42, v36
	s_or_b32 exec_lo, exec_lo, s33
	s_and_saveexec_b32 s33, s28
	s_cbranch_execnz .LBB741_835
.LBB741_866:                            ;   in Loop: Header=BB741_696 Depth=2
	s_or_b32 exec_lo, exec_lo, s33
	s_and_saveexec_b32 s33, s29
	s_cbranch_execz .LBB741_836
.LBB741_867:                            ;   in Loop: Header=BB741_696 Depth=2
	ds_load_b64 v[36:37], v110 offset:26624
	s_waitcnt lgkmcnt(0)
	v_lshrrev_b64 v[36:37], s40, v[36:37]
	s_delay_alu instid0(VALU_DEP_1)
	v_and_b32_e32 v163, s42, v36
	s_or_b32 exec_lo, exec_lo, s33
	s_and_saveexec_b32 s33, s30
	s_cbranch_execnz .LBB741_837
.LBB741_868:                            ;   in Loop: Header=BB741_696 Depth=2
	s_or_b32 exec_lo, exec_lo, s33
	s_and_saveexec_b32 s33, s31
	s_cbranch_execz .LBB741_870
.LBB741_869:                            ;   in Loop: Header=BB741_696 Depth=2
	ds_load_b64 v[36:37], v110 offset:30720
	s_waitcnt lgkmcnt(0)
	v_lshrrev_b64 v[36:37], s40, v[36:37]
	s_delay_alu instid0(VALU_DEP_1)
	v_and_b32_e32 v161, s42, v36
.LBB741_870:                            ;   in Loop: Header=BB741_696 Depth=2
	s_or_b32 exec_lo, exec_lo, s33
	v_add_nc_u32_e32 v2, 0x400, v69
	v_add_nc_u32_e32 v36, 0x400, v70
	;; [unrolled: 1-line block ×16, first 2 shown]
	s_waitcnt vmcnt(0)
	s_waitcnt_vscnt null, 0x0
	s_barrier
	buffer_gl0_inv
	ds_store_b64 v2, v[34:35]
	ds_store_b64 v36, v[32:33]
	ds_store_b64 v37, v[30:31]
	ds_store_b64 v40, v[28:29]
	ds_store_b64 v41, v[26:27]
	ds_store_b64 v38, v[24:25]
	ds_store_b64 v39, v[22:23]
	ds_store_b64 v42, v[20:21]
	ds_store_b64 v43, v[18:19]
	ds_store_b64 v44, v[16:17]
	ds_store_b64 v45, v[14:15]
	ds_store_b64 v46, v[12:13]
	ds_store_b64 v47, v[10:11]
	ds_store_b64 v48, v[8:9]
	ds_store_b64 v49, v[6:7]
	ds_store_b64 v50, v[4:5]
	s_waitcnt lgkmcnt(0)
	s_barrier
	buffer_gl0_inv
	s_and_saveexec_b32 s33, vcc_lo
	s_cbranch_execz .LBB741_886
; %bb.871:                              ;   in Loop: Header=BB741_696 Depth=2
	v_lshlrev_b32_e32 v2, 2, v176
	v_add_nc_u32_e32 v36, v104, v76
	ds_load_b32 v2, v2
	ds_load_b64 v[36:37], v36 offset:1024
	s_waitcnt lgkmcnt(1)
	v_add_nc_u32_e32 v2, v2, v1
	s_delay_alu instid0(VALU_DEP_1) | instskip(NEXT) | instid1(VALU_DEP_1)
	v_lshlrev_b64 v[38:39], 3, v[2:3]
	v_add_co_u32 v38, vcc_lo, s52, v38
	s_delay_alu instid0(VALU_DEP_2)
	v_add_co_ci_u32_e32 v39, vcc_lo, s53, v39, vcc_lo
	s_waitcnt lgkmcnt(0)
	global_store_b64 v[38:39], v[36:37], off
	s_or_b32 exec_lo, exec_lo, s33
	s_and_saveexec_b32 s33, s17
	s_cbranch_execnz .LBB741_887
.LBB741_872:                            ;   in Loop: Header=BB741_696 Depth=2
	s_or_b32 exec_lo, exec_lo, s33
	s_and_saveexec_b32 s17, s18
	s_cbranch_execz .LBB741_888
.LBB741_873:                            ;   in Loop: Header=BB741_696 Depth=2
	v_lshlrev_b32_e32 v2, 2, v174
	ds_load_b32 v2, v2
	ds_load_b64 v[36:37], v110 offset:4096
	s_waitcnt lgkmcnt(1)
	v_add_nc_u32_e32 v2, v2, v78
	s_delay_alu instid0(VALU_DEP_1) | instskip(NEXT) | instid1(VALU_DEP_1)
	v_lshlrev_b64 v[38:39], 3, v[2:3]
	v_add_co_u32 v38, vcc_lo, s52, v38
	s_delay_alu instid0(VALU_DEP_2)
	v_add_co_ci_u32_e32 v39, vcc_lo, s53, v39, vcc_lo
	s_waitcnt lgkmcnt(0)
	global_store_b64 v[38:39], v[36:37], off
	s_or_b32 exec_lo, exec_lo, s17
	s_and_saveexec_b32 s17, s19
	s_cbranch_execnz .LBB741_889
.LBB741_874:                            ;   in Loop: Header=BB741_696 Depth=2
	s_or_b32 exec_lo, exec_lo, s17
	s_and_saveexec_b32 s17, s20
	s_cbranch_execz .LBB741_890
.LBB741_875:                            ;   in Loop: Header=BB741_696 Depth=2
	v_lshlrev_b32_e32 v2, 2, v172
	ds_load_b32 v2, v2
	ds_load_b64 v[36:37], v110 offset:8192
	s_waitcnt lgkmcnt(1)
	v_add_nc_u32_e32 v2, v2, v83
	s_delay_alu instid0(VALU_DEP_1) | instskip(NEXT) | instid1(VALU_DEP_1)
	v_lshlrev_b64 v[38:39], 3, v[2:3]
	v_add_co_u32 v38, vcc_lo, s52, v38
	s_delay_alu instid0(VALU_DEP_2)
	v_add_co_ci_u32_e32 v39, vcc_lo, s53, v39, vcc_lo
	s_waitcnt lgkmcnt(0)
	global_store_b64 v[38:39], v[36:37], off
	s_or_b32 exec_lo, exec_lo, s17
	s_and_saveexec_b32 s17, s21
	s_cbranch_execnz .LBB741_891
.LBB741_876:                            ;   in Loop: Header=BB741_696 Depth=2
	s_or_b32 exec_lo, exec_lo, s17
	s_and_saveexec_b32 s17, s22
	s_cbranch_execz .LBB741_892
.LBB741_877:                            ;   in Loop: Header=BB741_696 Depth=2
	v_lshlrev_b32_e32 v2, 2, v170
	ds_load_b32 v2, v2
	ds_load_b64 v[36:37], v110 offset:12288
	s_waitcnt lgkmcnt(1)
	v_add_nc_u32_e32 v2, v2, v85
	s_delay_alu instid0(VALU_DEP_1) | instskip(NEXT) | instid1(VALU_DEP_1)
	v_lshlrev_b64 v[38:39], 3, v[2:3]
	v_add_co_u32 v38, vcc_lo, s52, v38
	s_delay_alu instid0(VALU_DEP_2)
	v_add_co_ci_u32_e32 v39, vcc_lo, s53, v39, vcc_lo
	s_waitcnt lgkmcnt(0)
	global_store_b64 v[38:39], v[36:37], off
	s_or_b32 exec_lo, exec_lo, s17
	s_and_saveexec_b32 s17, s23
	s_cbranch_execnz .LBB741_893
.LBB741_878:                            ;   in Loop: Header=BB741_696 Depth=2
	s_or_b32 exec_lo, exec_lo, s17
	s_and_saveexec_b32 s17, s24
	s_cbranch_execz .LBB741_894
.LBB741_879:                            ;   in Loop: Header=BB741_696 Depth=2
	v_lshlrev_b32_e32 v2, 2, v168
	ds_load_b32 v2, v2
	ds_load_b64 v[36:37], v110 offset:16384
	s_waitcnt lgkmcnt(1)
	v_add_nc_u32_e32 v2, v2, v87
	s_delay_alu instid0(VALU_DEP_1) | instskip(NEXT) | instid1(VALU_DEP_1)
	v_lshlrev_b64 v[38:39], 3, v[2:3]
	v_add_co_u32 v38, vcc_lo, s52, v38
	s_delay_alu instid0(VALU_DEP_2)
	v_add_co_ci_u32_e32 v39, vcc_lo, s53, v39, vcc_lo
	s_waitcnt lgkmcnt(0)
	global_store_b64 v[38:39], v[36:37], off
	s_or_b32 exec_lo, exec_lo, s17
	s_and_saveexec_b32 s17, s25
	s_cbranch_execnz .LBB741_895
.LBB741_880:                            ;   in Loop: Header=BB741_696 Depth=2
	s_or_b32 exec_lo, exec_lo, s17
	s_and_saveexec_b32 s17, s26
	s_cbranch_execz .LBB741_896
.LBB741_881:                            ;   in Loop: Header=BB741_696 Depth=2
	v_lshlrev_b32_e32 v2, 2, v166
	ds_load_b32 v2, v2
	ds_load_b64 v[36:37], v110 offset:20480
	s_waitcnt lgkmcnt(1)
	v_add_nc_u32_e32 v2, v2, v89
	s_delay_alu instid0(VALU_DEP_1) | instskip(NEXT) | instid1(VALU_DEP_1)
	v_lshlrev_b64 v[38:39], 3, v[2:3]
	v_add_co_u32 v38, vcc_lo, s52, v38
	s_delay_alu instid0(VALU_DEP_2)
	v_add_co_ci_u32_e32 v39, vcc_lo, s53, v39, vcc_lo
	s_waitcnt lgkmcnt(0)
	global_store_b64 v[38:39], v[36:37], off
	s_or_b32 exec_lo, exec_lo, s17
	s_and_saveexec_b32 s17, s27
	s_cbranch_execnz .LBB741_897
.LBB741_882:                            ;   in Loop: Header=BB741_696 Depth=2
	s_or_b32 exec_lo, exec_lo, s17
	s_and_saveexec_b32 s17, s28
	s_cbranch_execz .LBB741_898
.LBB741_883:                            ;   in Loop: Header=BB741_696 Depth=2
	v_lshlrev_b32_e32 v2, 2, v164
	ds_load_b32 v2, v2
	ds_load_b64 v[36:37], v110 offset:24576
	s_waitcnt lgkmcnt(1)
	v_add_nc_u32_e32 v2, v2, v91
	s_delay_alu instid0(VALU_DEP_1) | instskip(NEXT) | instid1(VALU_DEP_1)
	v_lshlrev_b64 v[38:39], 3, v[2:3]
	v_add_co_u32 v38, vcc_lo, s52, v38
	s_delay_alu instid0(VALU_DEP_2)
	v_add_co_ci_u32_e32 v39, vcc_lo, s53, v39, vcc_lo
	s_waitcnt lgkmcnt(0)
	global_store_b64 v[38:39], v[36:37], off
	s_or_b32 exec_lo, exec_lo, s17
	s_and_saveexec_b32 s17, s29
	s_cbranch_execnz .LBB741_899
.LBB741_884:                            ;   in Loop: Header=BB741_696 Depth=2
	s_or_b32 exec_lo, exec_lo, s17
	s_and_saveexec_b32 s17, s30
	s_cbranch_execz .LBB741_900
.LBB741_885:                            ;   in Loop: Header=BB741_696 Depth=2
	v_lshlrev_b32_e32 v2, 2, v162
	ds_load_b32 v2, v2
	ds_load_b64 v[36:37], v110 offset:28672
	s_waitcnt lgkmcnt(1)
	v_add_nc_u32_e32 v2, v2, v93
	s_delay_alu instid0(VALU_DEP_1) | instskip(NEXT) | instid1(VALU_DEP_1)
	v_lshlrev_b64 v[38:39], 3, v[2:3]
	v_add_co_u32 v38, vcc_lo, s52, v38
	s_delay_alu instid0(VALU_DEP_2)
	v_add_co_ci_u32_e32 v39, vcc_lo, s53, v39, vcc_lo
	s_waitcnt lgkmcnt(0)
	global_store_b64 v[38:39], v[36:37], off
	s_or_b32 exec_lo, exec_lo, s17
	s_and_saveexec_b32 s17, s31
	s_cbranch_execnz .LBB741_901
	s_branch .LBB741_902
.LBB741_886:                            ;   in Loop: Header=BB741_696 Depth=2
	s_or_b32 exec_lo, exec_lo, s33
	s_and_saveexec_b32 s33, s17
	s_cbranch_execz .LBB741_872
.LBB741_887:                            ;   in Loop: Header=BB741_696 Depth=2
	v_lshlrev_b32_e32 v2, 2, v175
	ds_load_b32 v2, v2
	ds_load_b64 v[36:37], v110 offset:2048
	s_waitcnt lgkmcnt(1)
	v_add_nc_u32_e32 v2, v2, v77
	s_delay_alu instid0(VALU_DEP_1) | instskip(NEXT) | instid1(VALU_DEP_1)
	v_lshlrev_b64 v[38:39], 3, v[2:3]
	v_add_co_u32 v38, vcc_lo, s52, v38
	s_delay_alu instid0(VALU_DEP_2)
	v_add_co_ci_u32_e32 v39, vcc_lo, s53, v39, vcc_lo
	s_waitcnt lgkmcnt(0)
	global_store_b64 v[38:39], v[36:37], off
	s_or_b32 exec_lo, exec_lo, s33
	s_and_saveexec_b32 s17, s18
	s_cbranch_execnz .LBB741_873
.LBB741_888:                            ;   in Loop: Header=BB741_696 Depth=2
	s_or_b32 exec_lo, exec_lo, s17
	s_and_saveexec_b32 s17, s19
	s_cbranch_execz .LBB741_874
.LBB741_889:                            ;   in Loop: Header=BB741_696 Depth=2
	v_lshlrev_b32_e32 v2, 2, v173
	ds_load_b32 v2, v2
	ds_load_b64 v[36:37], v110 offset:6144
	s_waitcnt lgkmcnt(1)
	v_add_nc_u32_e32 v2, v2, v79
	s_delay_alu instid0(VALU_DEP_1) | instskip(NEXT) | instid1(VALU_DEP_1)
	v_lshlrev_b64 v[38:39], 3, v[2:3]
	v_add_co_u32 v38, vcc_lo, s52, v38
	s_delay_alu instid0(VALU_DEP_2)
	v_add_co_ci_u32_e32 v39, vcc_lo, s53, v39, vcc_lo
	s_waitcnt lgkmcnt(0)
	global_store_b64 v[38:39], v[36:37], off
	s_or_b32 exec_lo, exec_lo, s17
	s_and_saveexec_b32 s17, s20
	s_cbranch_execnz .LBB741_875
.LBB741_890:                            ;   in Loop: Header=BB741_696 Depth=2
	s_or_b32 exec_lo, exec_lo, s17
	s_and_saveexec_b32 s17, s21
	s_cbranch_execz .LBB741_876
.LBB741_891:                            ;   in Loop: Header=BB741_696 Depth=2
	v_lshlrev_b32_e32 v2, 2, v171
	ds_load_b32 v2, v2
	ds_load_b64 v[36:37], v110 offset:10240
	s_waitcnt lgkmcnt(1)
	v_add_nc_u32_e32 v2, v2, v84
	s_delay_alu instid0(VALU_DEP_1) | instskip(NEXT) | instid1(VALU_DEP_1)
	v_lshlrev_b64 v[38:39], 3, v[2:3]
	v_add_co_u32 v38, vcc_lo, s52, v38
	s_delay_alu instid0(VALU_DEP_2)
	v_add_co_ci_u32_e32 v39, vcc_lo, s53, v39, vcc_lo
	s_waitcnt lgkmcnt(0)
	global_store_b64 v[38:39], v[36:37], off
	s_or_b32 exec_lo, exec_lo, s17
	s_and_saveexec_b32 s17, s22
	s_cbranch_execnz .LBB741_877
.LBB741_892:                            ;   in Loop: Header=BB741_696 Depth=2
	s_or_b32 exec_lo, exec_lo, s17
	s_and_saveexec_b32 s17, s23
	s_cbranch_execz .LBB741_878
.LBB741_893:                            ;   in Loop: Header=BB741_696 Depth=2
	v_lshlrev_b32_e32 v2, 2, v169
	ds_load_b32 v2, v2
	ds_load_b64 v[36:37], v110 offset:14336
	s_waitcnt lgkmcnt(1)
	v_add_nc_u32_e32 v2, v2, v86
	s_delay_alu instid0(VALU_DEP_1) | instskip(NEXT) | instid1(VALU_DEP_1)
	v_lshlrev_b64 v[38:39], 3, v[2:3]
	v_add_co_u32 v38, vcc_lo, s52, v38
	s_delay_alu instid0(VALU_DEP_2)
	v_add_co_ci_u32_e32 v39, vcc_lo, s53, v39, vcc_lo
	s_waitcnt lgkmcnt(0)
	global_store_b64 v[38:39], v[36:37], off
	s_or_b32 exec_lo, exec_lo, s17
	s_and_saveexec_b32 s17, s24
	s_cbranch_execnz .LBB741_879
.LBB741_894:                            ;   in Loop: Header=BB741_696 Depth=2
	s_or_b32 exec_lo, exec_lo, s17
	s_and_saveexec_b32 s17, s25
	s_cbranch_execz .LBB741_880
.LBB741_895:                            ;   in Loop: Header=BB741_696 Depth=2
	v_lshlrev_b32_e32 v2, 2, v167
	ds_load_b32 v2, v2
	ds_load_b64 v[36:37], v110 offset:18432
	s_waitcnt lgkmcnt(1)
	v_add_nc_u32_e32 v2, v2, v88
	s_delay_alu instid0(VALU_DEP_1) | instskip(NEXT) | instid1(VALU_DEP_1)
	v_lshlrev_b64 v[38:39], 3, v[2:3]
	v_add_co_u32 v38, vcc_lo, s52, v38
	s_delay_alu instid0(VALU_DEP_2)
	v_add_co_ci_u32_e32 v39, vcc_lo, s53, v39, vcc_lo
	s_waitcnt lgkmcnt(0)
	global_store_b64 v[38:39], v[36:37], off
	s_or_b32 exec_lo, exec_lo, s17
	s_and_saveexec_b32 s17, s26
	s_cbranch_execnz .LBB741_881
.LBB741_896:                            ;   in Loop: Header=BB741_696 Depth=2
	s_or_b32 exec_lo, exec_lo, s17
	s_and_saveexec_b32 s17, s27
	s_cbranch_execz .LBB741_882
.LBB741_897:                            ;   in Loop: Header=BB741_696 Depth=2
	v_lshlrev_b32_e32 v2, 2, v165
	ds_load_b32 v2, v2
	ds_load_b64 v[36:37], v110 offset:22528
	s_waitcnt lgkmcnt(1)
	v_add_nc_u32_e32 v2, v2, v90
	s_delay_alu instid0(VALU_DEP_1) | instskip(NEXT) | instid1(VALU_DEP_1)
	v_lshlrev_b64 v[38:39], 3, v[2:3]
	v_add_co_u32 v38, vcc_lo, s52, v38
	s_delay_alu instid0(VALU_DEP_2)
	v_add_co_ci_u32_e32 v39, vcc_lo, s53, v39, vcc_lo
	s_waitcnt lgkmcnt(0)
	global_store_b64 v[38:39], v[36:37], off
	s_or_b32 exec_lo, exec_lo, s17
	s_and_saveexec_b32 s17, s28
	s_cbranch_execnz .LBB741_883
.LBB741_898:                            ;   in Loop: Header=BB741_696 Depth=2
	s_or_b32 exec_lo, exec_lo, s17
	s_and_saveexec_b32 s17, s29
	s_cbranch_execz .LBB741_884
.LBB741_899:                            ;   in Loop: Header=BB741_696 Depth=2
	v_lshlrev_b32_e32 v2, 2, v163
	ds_load_b32 v2, v2
	ds_load_b64 v[36:37], v110 offset:26624
	s_waitcnt lgkmcnt(1)
	v_add_nc_u32_e32 v2, v2, v92
	s_delay_alu instid0(VALU_DEP_1) | instskip(NEXT) | instid1(VALU_DEP_1)
	v_lshlrev_b64 v[38:39], 3, v[2:3]
	v_add_co_u32 v38, vcc_lo, s52, v38
	s_delay_alu instid0(VALU_DEP_2)
	v_add_co_ci_u32_e32 v39, vcc_lo, s53, v39, vcc_lo
	s_waitcnt lgkmcnt(0)
	global_store_b64 v[38:39], v[36:37], off
	s_or_b32 exec_lo, exec_lo, s17
	s_and_saveexec_b32 s17, s30
	s_cbranch_execnz .LBB741_885
.LBB741_900:                            ;   in Loop: Header=BB741_696 Depth=2
	s_or_b32 exec_lo, exec_lo, s17
	s_and_saveexec_b32 s17, s31
	s_cbranch_execz .LBB741_902
.LBB741_901:                            ;   in Loop: Header=BB741_696 Depth=2
	v_lshlrev_b32_e32 v2, 2, v161
	ds_load_b32 v2, v2
	ds_load_b64 v[36:37], v110 offset:30720
	s_waitcnt lgkmcnt(1)
	v_add_nc_u32_e32 v2, v2, v95
	s_delay_alu instid0(VALU_DEP_1) | instskip(NEXT) | instid1(VALU_DEP_1)
	v_lshlrev_b64 v[38:39], 3, v[2:3]
	v_add_co_u32 v38, vcc_lo, s52, v38
	s_delay_alu instid0(VALU_DEP_2)
	v_add_co_ci_u32_e32 v39, vcc_lo, s53, v39, vcc_lo
	s_waitcnt lgkmcnt(0)
	global_store_b64 v[38:39], v[36:37], off
.LBB741_902:                            ;   in Loop: Header=BB741_696 Depth=2
	s_or_b32 exec_lo, exec_lo, s17
	s_waitcnt_vscnt null, 0x0
	s_barrier
	buffer_gl0_inv
	s_and_saveexec_b32 s17, s2
	s_cbranch_execz .LBB741_695
; %bb.903:                              ;   in Loop: Header=BB741_696 Depth=2
	ds_load_b32 v2, v76
	s_waitcnt lgkmcnt(0)
	v_add_nc_u32_e32 v2, v2, v68
	ds_store_b32 v76, v2
	s_branch .LBB741_695
.LBB741_904:                            ;   in Loop: Header=BB741_20 Depth=1
	s_waitcnt lgkmcnt(0)
	s_mov_b32 s1, 0
	s_barrier
.LBB741_905:                            ;   in Loop: Header=BB741_20 Depth=1
	s_and_b32 vcc_lo, exec_lo, s1
	s_cbranch_vccz .LBB741_19
; %bb.906:                              ;   in Loop: Header=BB741_20 Depth=1
	s_mov_b32 s1, s62
	s_mov_b32 s8, s60
	s_barrier
	buffer_gl0_inv
                                        ; implicit-def: $vgpr34_vgpr35
                                        ; implicit-def: $vgpr4_vgpr5
                                        ; implicit-def: $vgpr6_vgpr7
                                        ; implicit-def: $vgpr8_vgpr9
                                        ; implicit-def: $vgpr10_vgpr11
                                        ; implicit-def: $vgpr12_vgpr13
                                        ; implicit-def: $vgpr14_vgpr15
                                        ; implicit-def: $vgpr16_vgpr17
                                        ; implicit-def: $vgpr18_vgpr19
                                        ; implicit-def: $vgpr20_vgpr21
                                        ; implicit-def: $vgpr22_vgpr23
                                        ; implicit-def: $vgpr24_vgpr25
                                        ; implicit-def: $vgpr26_vgpr27
                                        ; implicit-def: $vgpr28_vgpr29
                                        ; implicit-def: $vgpr30_vgpr31
                                        ; implicit-def: $vgpr32_vgpr33
	s_branch .LBB741_908
.LBB741_907:                            ;   in Loop: Header=BB741_908 Depth=2
	s_or_b32 exec_lo, exec_lo, s8
	s_addk_i32 s1, 0xf000
	s_cmp_ge_u32 s7, s61
	s_mov_b32 s8, s7
	s_cbranch_scc1 .LBB741_978
.LBB741_908:                            ;   Parent Loop BB741_20 Depth=1
                                        ; =>  This Inner Loop Header: Depth=2
	s_add_i32 s7, s8, 0x1000
	s_delay_alu instid0(SALU_CYCLE_1)
	s_cmp_gt_u32 s7, s61
	s_cbranch_scc1 .LBB741_911
; %bb.909:                              ;   in Loop: Header=BB741_908 Depth=2
	s_mov_b32 s9, 0
	s_movk_i32 s13, 0x1000
	s_lshl_b64 s[10:11], s[8:9], 3
	s_mov_b32 s12, -1
	v_add_co_u32 v36, vcc_lo, v117, s10
	v_add_co_ci_u32_e32 v37, vcc_lo, s11, v118, vcc_lo
	s_waitcnt vmcnt(12)
	s_delay_alu instid0(VALU_DEP_2) | instskip(NEXT) | instid1(VALU_DEP_2)
	v_add_co_u32 v42, vcc_lo, 0x1000, v36
	v_add_co_ci_u32_e32 v43, vcc_lo, 0, v37, vcc_lo
	s_waitcnt vmcnt(11)
	v_add_co_u32 v44, vcc_lo, 0x2000, v36
	v_add_co_ci_u32_e32 v45, vcc_lo, 0, v37, vcc_lo
	s_waitcnt vmcnt(1)
	v_add_co_u32 v50, vcc_lo, v36, 0x2000
	v_add_co_ci_u32_e32 v51, vcc_lo, 0, v37, vcc_lo
	v_add_co_u32 v52, vcc_lo, v36, 0x4000
	v_add_co_ci_u32_e32 v53, vcc_lo, 0, v37, vcc_lo
	v_add_co_u32 v54, vcc_lo, 0x3000, v36
	v_add_co_ci_u32_e32 v55, vcc_lo, 0, v37, vcc_lo
	v_add_co_u32 v58, vcc_lo, 0x4000, v36
	v_add_co_ci_u32_e32 v59, vcc_lo, 0, v37, vcc_lo
	v_add_co_u32 v62, vcc_lo, 0x5000, v36
	v_add_co_ci_u32_e32 v63, vcc_lo, 0, v37, vcc_lo
	v_add_co_u32 v60, vcc_lo, v36, 0x6000
	v_add_co_ci_u32_e32 v61, vcc_lo, 0, v37, vcc_lo
	v_add_co_u32 v64, vcc_lo, 0x6000, v36
	v_add_co_ci_u32_e32 v65, vcc_lo, 0, v37, vcc_lo
	s_waitcnt vmcnt(0)
	v_add_co_u32 v66, vcc_lo, 0x7000, v36
	v_add_co_ci_u32_e32 v67, vcc_lo, 0, v37, vcc_lo
	s_clause 0xe
	global_load_b64 v[38:39], v[36:37], off
	global_load_b64 v[40:41], v[36:37], off offset:2048
	global_load_b64 v[42:43], v[42:43], off offset:2048
	;; [unrolled: 1-line block ×3, first 2 shown]
	global_load_b64 v[46:47], v[50:51], off
	global_load_b64 v[48:49], v[52:53], off offset:-4096
	global_load_b64 v[52:53], v[52:53], off
	global_load_b64 v[56:57], v[60:61], off offset:-4096
	global_load_b64 v[60:61], v[60:61], off
	global_load_b64 v[54:55], v[54:55], off offset:2048
	global_load_b64 v[58:59], v[58:59], off offset:2048
	;; [unrolled: 1-line block ×4, first 2 shown]
	global_load_b64 v[50:51], v[50:51], off offset:-4096
	global_load_b64 v[66:67], v[66:67], off
	v_add_co_u32 v36, vcc_lo, 0x7800, v36
	v_add_co_ci_u32_e32 v37, vcc_lo, 0, v37, vcc_lo
	s_cbranch_execz .LBB741_912
; %bb.910:                              ;   in Loop: Header=BB741_908 Depth=2
                                        ; implicit-def: $vgpr32_vgpr33
                                        ; implicit-def: $vgpr30_vgpr31
                                        ; implicit-def: $vgpr28_vgpr29
                                        ; implicit-def: $vgpr26_vgpr27
                                        ; implicit-def: $vgpr24_vgpr25
                                        ; implicit-def: $vgpr22_vgpr23
                                        ; implicit-def: $vgpr20_vgpr21
                                        ; implicit-def: $vgpr18_vgpr19
                                        ; implicit-def: $vgpr16_vgpr17
                                        ; implicit-def: $vgpr14_vgpr15
                                        ; implicit-def: $vgpr12_vgpr13
                                        ; implicit-def: $vgpr10_vgpr11
                                        ; implicit-def: $vgpr8_vgpr9
                                        ; implicit-def: $vgpr6_vgpr7
                                        ; implicit-def: $vgpr4_vgpr5
                                        ; implicit-def: $vgpr34_vgpr35
	v_mov_b32_e32 v2, s1
	s_and_saveexec_b32 s8, s12
	s_cbranch_execnz .LBB741_931
	s_branch .LBB741_932
.LBB741_911:                            ;   in Loop: Header=BB741_908 Depth=2
	s_mov_b32 s12, 0
                                        ; implicit-def: $sgpr13
                                        ; implicit-def: $vgpr38_vgpr39
                                        ; implicit-def: $vgpr40_vgpr41
                                        ; implicit-def: $vgpr50_vgpr51
                                        ; implicit-def: $vgpr42_vgpr43
                                        ; implicit-def: $vgpr46_vgpr47
                                        ; implicit-def: $vgpr44_vgpr45
                                        ; implicit-def: $vgpr48_vgpr49
                                        ; implicit-def: $vgpr54_vgpr55
                                        ; implicit-def: $vgpr52_vgpr53
                                        ; implicit-def: $vgpr58_vgpr59
                                        ; implicit-def: $vgpr56_vgpr57
                                        ; implicit-def: $vgpr62_vgpr63
                                        ; implicit-def: $vgpr60_vgpr61
                                        ; implicit-def: $vgpr64_vgpr65
                                        ; implicit-def: $vgpr66_vgpr67
                                        ; implicit-def: $vgpr36_vgpr37
.LBB741_912:                            ;   in Loop: Header=BB741_908 Depth=2
	s_mov_b32 s9, s34
	s_delay_alu instid0(SALU_CYCLE_1)
	s_lshl_b64 s[10:11], s[8:9], 3
	s_mov_b32 s9, exec_lo
	s_add_u32 s10, s44, s10
	s_addc_u32 s11, s45, s11
	v_cmpx_gt_u32_e64 s1, v1
	s_cbranch_execz .LBB741_964
; %bb.913:                              ;   in Loop: Header=BB741_908 Depth=2
	global_load_b64 v[32:33], v124, s[10:11]
	s_or_b32 exec_lo, exec_lo, s9
	s_delay_alu instid0(SALU_CYCLE_1)
	s_mov_b32 s9, exec_lo
	v_cmpx_gt_u32_e64 s1, v77
	s_cbranch_execnz .LBB741_965
.LBB741_914:                            ;   in Loop: Header=BB741_908 Depth=2
	s_or_b32 exec_lo, exec_lo, s9
	s_delay_alu instid0(SALU_CYCLE_1)
	s_mov_b32 s9, exec_lo
	v_cmpx_gt_u32_e64 s1, v78
	s_cbranch_execz .LBB741_966
.LBB741_915:                            ;   in Loop: Header=BB741_908 Depth=2
	global_load_b64 v[28:29], v125, s[10:11]
	s_or_b32 exec_lo, exec_lo, s9
	s_delay_alu instid0(SALU_CYCLE_1)
	s_mov_b32 s9, exec_lo
	v_cmpx_gt_u32_e64 s1, v79
	s_cbranch_execnz .LBB741_967
.LBB741_916:                            ;   in Loop: Header=BB741_908 Depth=2
	s_or_b32 exec_lo, exec_lo, s9
	s_delay_alu instid0(SALU_CYCLE_1)
	s_mov_b32 s9, exec_lo
	v_cmpx_gt_u32_e64 s1, v83
	s_cbranch_execz .LBB741_968
.LBB741_917:                            ;   in Loop: Header=BB741_908 Depth=2
	global_load_b64 v[24:25], v127, s[10:11]
	s_or_b32 exec_lo, exec_lo, s9
	s_delay_alu instid0(SALU_CYCLE_1)
	s_mov_b32 s9, exec_lo
	v_cmpx_gt_u32_e64 s1, v84
	s_cbranch_execnz .LBB741_969
.LBB741_918:                            ;   in Loop: Header=BB741_908 Depth=2
	s_or_b32 exec_lo, exec_lo, s9
	s_delay_alu instid0(SALU_CYCLE_1)
	s_mov_b32 s9, exec_lo
	v_cmpx_gt_u32_e64 s1, v85
	s_cbranch_execz .LBB741_970
.LBB741_919:                            ;   in Loop: Header=BB741_908 Depth=2
	global_load_b64 v[20:21], v129, s[10:11]
	s_or_b32 exec_lo, exec_lo, s9
	s_delay_alu instid0(SALU_CYCLE_1)
	s_mov_b32 s9, exec_lo
	v_cmpx_gt_u32_e64 s1, v86
	s_cbranch_execnz .LBB741_971
.LBB741_920:                            ;   in Loop: Header=BB741_908 Depth=2
	s_or_b32 exec_lo, exec_lo, s9
	s_delay_alu instid0(SALU_CYCLE_1)
	s_mov_b32 s9, exec_lo
	v_cmpx_gt_u32_e64 s1, v87
	s_cbranch_execz .LBB741_972
.LBB741_921:                            ;   in Loop: Header=BB741_908 Depth=2
	global_load_b64 v[16:17], v131, s[10:11]
	s_or_b32 exec_lo, exec_lo, s9
	s_delay_alu instid0(SALU_CYCLE_1)
	s_mov_b32 s9, exec_lo
	v_cmpx_gt_u32_e64 s1, v88
	s_cbranch_execnz .LBB741_973
.LBB741_922:                            ;   in Loop: Header=BB741_908 Depth=2
	s_or_b32 exec_lo, exec_lo, s9
	s_delay_alu instid0(SALU_CYCLE_1)
	s_mov_b32 s9, exec_lo
	v_cmpx_gt_u32_e64 s1, v89
	s_cbranch_execz .LBB741_974
.LBB741_923:                            ;   in Loop: Header=BB741_908 Depth=2
	global_load_b64 v[12:13], v133, s[10:11]
	s_or_b32 exec_lo, exec_lo, s9
	s_delay_alu instid0(SALU_CYCLE_1)
	s_mov_b32 s9, exec_lo
	v_cmpx_gt_u32_e64 s1, v90
	s_cbranch_execnz .LBB741_975
.LBB741_924:                            ;   in Loop: Header=BB741_908 Depth=2
	s_or_b32 exec_lo, exec_lo, s9
	s_delay_alu instid0(SALU_CYCLE_1)
	s_mov_b32 s9, exec_lo
	v_cmpx_gt_u32_e64 s1, v91
	s_cbranch_execz .LBB741_976
.LBB741_925:                            ;   in Loop: Header=BB741_908 Depth=2
	global_load_b64 v[8:9], v135, s[10:11]
	s_or_b32 exec_lo, exec_lo, s9
	s_delay_alu instid0(SALU_CYCLE_1)
	s_mov_b32 s9, exec_lo
	v_cmpx_gt_u32_e64 s1, v92
	s_cbranch_execnz .LBB741_977
.LBB741_926:                            ;   in Loop: Header=BB741_908 Depth=2
	s_or_b32 exec_lo, exec_lo, s9
	s_delay_alu instid0(SALU_CYCLE_1)
	s_mov_b32 s9, exec_lo
	v_cmpx_gt_u32_e64 s1, v93
	s_cbranch_execz .LBB741_928
.LBB741_927:                            ;   in Loop: Header=BB741_908 Depth=2
	v_lshlrev_b32_e32 v2, 3, v93
	global_load_b64 v[4:5], v2, s[10:11]
.LBB741_928:                            ;   in Loop: Header=BB741_908 Depth=2
	s_or_b32 exec_lo, exec_lo, s9
	s_delay_alu instid0(SALU_CYCLE_1)
	s_mov_b32 s9, exec_lo
                                        ; implicit-def: $sgpr13
                                        ; implicit-def: $vgpr36_vgpr37
	v_cmpx_gt_u32_e64 s1, v95
; %bb.929:                              ;   in Loop: Header=BB741_908 Depth=2
	v_lshlrev_b32_e32 v2, 3, v95
	s_sub_i32 s13, s61, s8
	s_or_b32 s12, s12, exec_lo
                                        ; implicit-def: $vgpr34_vgpr35
	s_delay_alu instid0(VALU_DEP_1) | instskip(NEXT) | instid1(VALU_DEP_1)
	v_add_co_u32 v36, s10, s10, v2
	v_add_co_ci_u32_e64 v37, null, s11, 0, s10
; %bb.930:                              ;   in Loop: Header=BB741_908 Depth=2
	s_or_b32 exec_lo, exec_lo, s9
	s_waitcnt vmcnt(0)
	v_dual_mov_b32 v39, v33 :: v_dual_mov_b32 v38, v32
	v_dual_mov_b32 v41, v31 :: v_dual_mov_b32 v40, v30
	;; [unrolled: 1-line block ×15, first 2 shown]
	v_mov_b32_e32 v2, s1
	s_and_saveexec_b32 s8, s12
	s_cbranch_execz .LBB741_932
.LBB741_931:                            ;   in Loop: Header=BB741_908 Depth=2
	global_load_b64 v[34:35], v[36:37], off
	s_waitcnt vmcnt(1)
	v_mov_b32_e32 v4, v66
	v_mov_b32_e32 v6, v64
	;; [unrolled: 1-line block ×14, first 2 shown]
	v_dual_mov_b32 v32, v38 :: v_dual_mov_b32 v33, v39
	v_dual_mov_b32 v2, s13 :: v_dual_mov_b32 v5, v67
	v_mov_b32_e32 v7, v65
	v_mov_b32_e32 v9, v61
	;; [unrolled: 1-line block ×13, first 2 shown]
.LBB741_932:                            ;   in Loop: Header=BB741_908 Depth=2
	s_or_b32 exec_lo, exec_lo, s8
	v_lshlrev_b32_e32 v36, 2, v80
	s_mov_b32 s8, exec_lo
	v_cmpx_lt_u32_e64 v1, v2
	s_cbranch_execz .LBB741_948
; %bb.933:                              ;   in Loop: Header=BB741_908 Depth=2
	s_waitcnt vmcnt(14)
	v_xor_b32_e32 v38, 0x7fffffff, v33
	v_not_b32_e32 v37, v32
	s_delay_alu instid0(VALU_DEP_1) | instskip(NEXT) | instid1(VALU_DEP_1)
	v_lshrrev_b64 v[37:38], s40, v[37:38]
	v_and_b32_e32 v37, s42, v37
	s_delay_alu instid0(VALU_DEP_1) | instskip(SKIP_2) | instid1(SALU_CYCLE_1)
	v_lshl_or_b32 v37, v37, 4, v36
	ds_add_u32 v37, v123
	s_or_b32 exec_lo, exec_lo, s8
	s_mov_b32 s8, exec_lo
	v_cmpx_lt_u32_e64 v77, v2
	s_cbranch_execnz .LBB741_949
.LBB741_934:                            ;   in Loop: Header=BB741_908 Depth=2
	s_or_b32 exec_lo, exec_lo, s8
	s_delay_alu instid0(SALU_CYCLE_1)
	s_mov_b32 s8, exec_lo
	v_cmpx_lt_u32_e64 v78, v2
	s_cbranch_execz .LBB741_950
.LBB741_935:                            ;   in Loop: Header=BB741_908 Depth=2
	s_waitcnt vmcnt(14)
	v_xor_b32_e32 v38, 0x7fffffff, v29
	v_not_b32_e32 v37, v28
	s_delay_alu instid0(VALU_DEP_1) | instskip(NEXT) | instid1(VALU_DEP_1)
	v_lshrrev_b64 v[37:38], s40, v[37:38]
	v_and_b32_e32 v37, s42, v37
	s_delay_alu instid0(VALU_DEP_1) | instskip(SKIP_2) | instid1(SALU_CYCLE_1)
	v_lshl_or_b32 v37, v37, 4, v36
	ds_add_u32 v37, v123
	s_or_b32 exec_lo, exec_lo, s8
	s_mov_b32 s8, exec_lo
	v_cmpx_lt_u32_e64 v79, v2
	s_cbranch_execnz .LBB741_951
.LBB741_936:                            ;   in Loop: Header=BB741_908 Depth=2
	s_or_b32 exec_lo, exec_lo, s8
	s_delay_alu instid0(SALU_CYCLE_1)
	s_mov_b32 s8, exec_lo
	v_cmpx_lt_u32_e64 v83, v2
	s_cbranch_execz .LBB741_952
.LBB741_937:                            ;   in Loop: Header=BB741_908 Depth=2
	s_waitcnt vmcnt(14)
	v_xor_b32_e32 v38, 0x7fffffff, v25
	v_not_b32_e32 v37, v24
	s_delay_alu instid0(VALU_DEP_1) | instskip(NEXT) | instid1(VALU_DEP_1)
	v_lshrrev_b64 v[37:38], s40, v[37:38]
	v_and_b32_e32 v37, s42, v37
	s_delay_alu instid0(VALU_DEP_1) | instskip(SKIP_2) | instid1(SALU_CYCLE_1)
	v_lshl_or_b32 v37, v37, 4, v36
	ds_add_u32 v37, v123
	s_or_b32 exec_lo, exec_lo, s8
	s_mov_b32 s8, exec_lo
	v_cmpx_lt_u32_e64 v84, v2
	s_cbranch_execnz .LBB741_953
.LBB741_938:                            ;   in Loop: Header=BB741_908 Depth=2
	s_or_b32 exec_lo, exec_lo, s8
	s_delay_alu instid0(SALU_CYCLE_1)
	s_mov_b32 s8, exec_lo
	v_cmpx_lt_u32_e64 v85, v2
	s_cbranch_execz .LBB741_954
.LBB741_939:                            ;   in Loop: Header=BB741_908 Depth=2
	s_waitcnt vmcnt(14)
	v_xor_b32_e32 v38, 0x7fffffff, v21
	v_not_b32_e32 v37, v20
	s_delay_alu instid0(VALU_DEP_1) | instskip(NEXT) | instid1(VALU_DEP_1)
	v_lshrrev_b64 v[37:38], s40, v[37:38]
	v_and_b32_e32 v37, s42, v37
	s_delay_alu instid0(VALU_DEP_1) | instskip(SKIP_2) | instid1(SALU_CYCLE_1)
	v_lshl_or_b32 v37, v37, 4, v36
	ds_add_u32 v37, v123
	s_or_b32 exec_lo, exec_lo, s8
	s_mov_b32 s8, exec_lo
	v_cmpx_lt_u32_e64 v86, v2
	s_cbranch_execnz .LBB741_955
.LBB741_940:                            ;   in Loop: Header=BB741_908 Depth=2
	s_or_b32 exec_lo, exec_lo, s8
	s_delay_alu instid0(SALU_CYCLE_1)
	s_mov_b32 s8, exec_lo
	v_cmpx_lt_u32_e64 v87, v2
	s_cbranch_execz .LBB741_956
.LBB741_941:                            ;   in Loop: Header=BB741_908 Depth=2
	s_waitcnt vmcnt(14)
	v_xor_b32_e32 v38, 0x7fffffff, v17
	v_not_b32_e32 v37, v16
	s_delay_alu instid0(VALU_DEP_1) | instskip(NEXT) | instid1(VALU_DEP_1)
	v_lshrrev_b64 v[37:38], s40, v[37:38]
	v_and_b32_e32 v37, s42, v37
	s_delay_alu instid0(VALU_DEP_1) | instskip(SKIP_2) | instid1(SALU_CYCLE_1)
	v_lshl_or_b32 v37, v37, 4, v36
	ds_add_u32 v37, v123
	s_or_b32 exec_lo, exec_lo, s8
	s_mov_b32 s8, exec_lo
	v_cmpx_lt_u32_e64 v88, v2
	s_cbranch_execnz .LBB741_957
.LBB741_942:                            ;   in Loop: Header=BB741_908 Depth=2
	s_or_b32 exec_lo, exec_lo, s8
	s_delay_alu instid0(SALU_CYCLE_1)
	s_mov_b32 s8, exec_lo
	v_cmpx_lt_u32_e64 v89, v2
	s_cbranch_execz .LBB741_958
.LBB741_943:                            ;   in Loop: Header=BB741_908 Depth=2
	s_waitcnt vmcnt(14)
	v_xor_b32_e32 v38, 0x7fffffff, v13
	v_not_b32_e32 v37, v12
	s_delay_alu instid0(VALU_DEP_1) | instskip(NEXT) | instid1(VALU_DEP_1)
	v_lshrrev_b64 v[37:38], s40, v[37:38]
	v_and_b32_e32 v37, s42, v37
	s_delay_alu instid0(VALU_DEP_1) | instskip(SKIP_2) | instid1(SALU_CYCLE_1)
	v_lshl_or_b32 v37, v37, 4, v36
	ds_add_u32 v37, v123
	s_or_b32 exec_lo, exec_lo, s8
	s_mov_b32 s8, exec_lo
	v_cmpx_lt_u32_e64 v90, v2
	s_cbranch_execnz .LBB741_959
.LBB741_944:                            ;   in Loop: Header=BB741_908 Depth=2
	s_or_b32 exec_lo, exec_lo, s8
	s_delay_alu instid0(SALU_CYCLE_1)
	s_mov_b32 s8, exec_lo
	v_cmpx_lt_u32_e64 v91, v2
	s_cbranch_execz .LBB741_960
.LBB741_945:                            ;   in Loop: Header=BB741_908 Depth=2
	s_waitcnt vmcnt(14)
	v_xor_b32_e32 v38, 0x7fffffff, v9
	v_not_b32_e32 v37, v8
	s_delay_alu instid0(VALU_DEP_1) | instskip(NEXT) | instid1(VALU_DEP_1)
	v_lshrrev_b64 v[37:38], s40, v[37:38]
	v_and_b32_e32 v37, s42, v37
	s_delay_alu instid0(VALU_DEP_1) | instskip(SKIP_2) | instid1(SALU_CYCLE_1)
	v_lshl_or_b32 v37, v37, 4, v36
	ds_add_u32 v37, v123
	s_or_b32 exec_lo, exec_lo, s8
	s_mov_b32 s8, exec_lo
	v_cmpx_lt_u32_e64 v92, v2
	s_cbranch_execnz .LBB741_961
.LBB741_946:                            ;   in Loop: Header=BB741_908 Depth=2
	s_or_b32 exec_lo, exec_lo, s8
	s_delay_alu instid0(SALU_CYCLE_1)
	s_mov_b32 s8, exec_lo
	v_cmpx_lt_u32_e64 v93, v2
	s_cbranch_execz .LBB741_962
.LBB741_947:                            ;   in Loop: Header=BB741_908 Depth=2
	s_waitcnt vmcnt(14)
	v_xor_b32_e32 v38, 0x7fffffff, v5
	v_not_b32_e32 v37, v4
	s_delay_alu instid0(VALU_DEP_1) | instskip(NEXT) | instid1(VALU_DEP_1)
	v_lshrrev_b64 v[37:38], s40, v[37:38]
	v_and_b32_e32 v37, s42, v37
	s_delay_alu instid0(VALU_DEP_1) | instskip(SKIP_2) | instid1(SALU_CYCLE_1)
	v_lshl_or_b32 v37, v37, 4, v36
	ds_add_u32 v37, v123
	s_or_b32 exec_lo, exec_lo, s8
	s_mov_b32 s8, exec_lo
	v_cmpx_lt_u32_e64 v95, v2
	s_cbranch_execz .LBB741_907
	s_branch .LBB741_963
.LBB741_948:                            ;   in Loop: Header=BB741_908 Depth=2
	s_or_b32 exec_lo, exec_lo, s8
	s_delay_alu instid0(SALU_CYCLE_1)
	s_mov_b32 s8, exec_lo
	v_cmpx_lt_u32_e64 v77, v2
	s_cbranch_execz .LBB741_934
.LBB741_949:                            ;   in Loop: Header=BB741_908 Depth=2
	s_waitcnt vmcnt(14)
	v_xor_b32_e32 v38, 0x7fffffff, v31
	v_not_b32_e32 v37, v30
	s_delay_alu instid0(VALU_DEP_1) | instskip(NEXT) | instid1(VALU_DEP_1)
	v_lshrrev_b64 v[37:38], s40, v[37:38]
	v_and_b32_e32 v37, s42, v37
	s_delay_alu instid0(VALU_DEP_1) | instskip(SKIP_2) | instid1(SALU_CYCLE_1)
	v_lshl_or_b32 v37, v37, 4, v36
	ds_add_u32 v37, v123
	s_or_b32 exec_lo, exec_lo, s8
	s_mov_b32 s8, exec_lo
	v_cmpx_lt_u32_e64 v78, v2
	s_cbranch_execnz .LBB741_935
.LBB741_950:                            ;   in Loop: Header=BB741_908 Depth=2
	s_or_b32 exec_lo, exec_lo, s8
	s_delay_alu instid0(SALU_CYCLE_1)
	s_mov_b32 s8, exec_lo
	v_cmpx_lt_u32_e64 v79, v2
	s_cbranch_execz .LBB741_936
.LBB741_951:                            ;   in Loop: Header=BB741_908 Depth=2
	s_waitcnt vmcnt(14)
	v_xor_b32_e32 v38, 0x7fffffff, v27
	v_not_b32_e32 v37, v26
	s_delay_alu instid0(VALU_DEP_1) | instskip(NEXT) | instid1(VALU_DEP_1)
	v_lshrrev_b64 v[37:38], s40, v[37:38]
	v_and_b32_e32 v37, s42, v37
	s_delay_alu instid0(VALU_DEP_1) | instskip(SKIP_2) | instid1(SALU_CYCLE_1)
	v_lshl_or_b32 v37, v37, 4, v36
	ds_add_u32 v37, v123
	s_or_b32 exec_lo, exec_lo, s8
	s_mov_b32 s8, exec_lo
	v_cmpx_lt_u32_e64 v83, v2
	s_cbranch_execnz .LBB741_937
.LBB741_952:                            ;   in Loop: Header=BB741_908 Depth=2
	s_or_b32 exec_lo, exec_lo, s8
	s_delay_alu instid0(SALU_CYCLE_1)
	s_mov_b32 s8, exec_lo
	v_cmpx_lt_u32_e64 v84, v2
	s_cbranch_execz .LBB741_938
.LBB741_953:                            ;   in Loop: Header=BB741_908 Depth=2
	s_waitcnt vmcnt(14)
	v_xor_b32_e32 v38, 0x7fffffff, v23
	v_not_b32_e32 v37, v22
	s_delay_alu instid0(VALU_DEP_1) | instskip(NEXT) | instid1(VALU_DEP_1)
	v_lshrrev_b64 v[37:38], s40, v[37:38]
	v_and_b32_e32 v37, s42, v37
	s_delay_alu instid0(VALU_DEP_1) | instskip(SKIP_2) | instid1(SALU_CYCLE_1)
	v_lshl_or_b32 v37, v37, 4, v36
	ds_add_u32 v37, v123
	s_or_b32 exec_lo, exec_lo, s8
	s_mov_b32 s8, exec_lo
	v_cmpx_lt_u32_e64 v85, v2
	s_cbranch_execnz .LBB741_939
.LBB741_954:                            ;   in Loop: Header=BB741_908 Depth=2
	s_or_b32 exec_lo, exec_lo, s8
	s_delay_alu instid0(SALU_CYCLE_1)
	s_mov_b32 s8, exec_lo
	v_cmpx_lt_u32_e64 v86, v2
	s_cbranch_execz .LBB741_940
.LBB741_955:                            ;   in Loop: Header=BB741_908 Depth=2
	s_waitcnt vmcnt(14)
	v_xor_b32_e32 v38, 0x7fffffff, v19
	v_not_b32_e32 v37, v18
	s_delay_alu instid0(VALU_DEP_1) | instskip(NEXT) | instid1(VALU_DEP_1)
	v_lshrrev_b64 v[37:38], s40, v[37:38]
	v_and_b32_e32 v37, s42, v37
	s_delay_alu instid0(VALU_DEP_1) | instskip(SKIP_2) | instid1(SALU_CYCLE_1)
	v_lshl_or_b32 v37, v37, 4, v36
	ds_add_u32 v37, v123
	s_or_b32 exec_lo, exec_lo, s8
	s_mov_b32 s8, exec_lo
	v_cmpx_lt_u32_e64 v87, v2
	s_cbranch_execnz .LBB741_941
.LBB741_956:                            ;   in Loop: Header=BB741_908 Depth=2
	s_or_b32 exec_lo, exec_lo, s8
	s_delay_alu instid0(SALU_CYCLE_1)
	s_mov_b32 s8, exec_lo
	v_cmpx_lt_u32_e64 v88, v2
	s_cbranch_execz .LBB741_942
.LBB741_957:                            ;   in Loop: Header=BB741_908 Depth=2
	s_waitcnt vmcnt(14)
	v_xor_b32_e32 v38, 0x7fffffff, v15
	v_not_b32_e32 v37, v14
	s_delay_alu instid0(VALU_DEP_1) | instskip(NEXT) | instid1(VALU_DEP_1)
	v_lshrrev_b64 v[37:38], s40, v[37:38]
	v_and_b32_e32 v37, s42, v37
	s_delay_alu instid0(VALU_DEP_1) | instskip(SKIP_2) | instid1(SALU_CYCLE_1)
	v_lshl_or_b32 v37, v37, 4, v36
	ds_add_u32 v37, v123
	s_or_b32 exec_lo, exec_lo, s8
	s_mov_b32 s8, exec_lo
	v_cmpx_lt_u32_e64 v89, v2
	s_cbranch_execnz .LBB741_943
.LBB741_958:                            ;   in Loop: Header=BB741_908 Depth=2
	s_or_b32 exec_lo, exec_lo, s8
	s_delay_alu instid0(SALU_CYCLE_1)
	s_mov_b32 s8, exec_lo
	v_cmpx_lt_u32_e64 v90, v2
	s_cbranch_execz .LBB741_944
.LBB741_959:                            ;   in Loop: Header=BB741_908 Depth=2
	s_waitcnt vmcnt(14)
	v_xor_b32_e32 v38, 0x7fffffff, v11
	v_not_b32_e32 v37, v10
	s_delay_alu instid0(VALU_DEP_1) | instskip(NEXT) | instid1(VALU_DEP_1)
	v_lshrrev_b64 v[37:38], s40, v[37:38]
	v_and_b32_e32 v37, s42, v37
	s_delay_alu instid0(VALU_DEP_1) | instskip(SKIP_2) | instid1(SALU_CYCLE_1)
	v_lshl_or_b32 v37, v37, 4, v36
	ds_add_u32 v37, v123
	s_or_b32 exec_lo, exec_lo, s8
	s_mov_b32 s8, exec_lo
	v_cmpx_lt_u32_e64 v91, v2
	s_cbranch_execnz .LBB741_945
.LBB741_960:                            ;   in Loop: Header=BB741_908 Depth=2
	s_or_b32 exec_lo, exec_lo, s8
	s_delay_alu instid0(SALU_CYCLE_1)
	s_mov_b32 s8, exec_lo
	v_cmpx_lt_u32_e64 v92, v2
	s_cbranch_execz .LBB741_946
.LBB741_961:                            ;   in Loop: Header=BB741_908 Depth=2
	s_waitcnt vmcnt(14)
	v_xor_b32_e32 v38, 0x7fffffff, v7
	v_not_b32_e32 v37, v6
	s_delay_alu instid0(VALU_DEP_1) | instskip(NEXT) | instid1(VALU_DEP_1)
	v_lshrrev_b64 v[37:38], s40, v[37:38]
	v_and_b32_e32 v37, s42, v37
	s_delay_alu instid0(VALU_DEP_1) | instskip(SKIP_2) | instid1(SALU_CYCLE_1)
	v_lshl_or_b32 v37, v37, 4, v36
	ds_add_u32 v37, v123
	s_or_b32 exec_lo, exec_lo, s8
	s_mov_b32 s8, exec_lo
	v_cmpx_lt_u32_e64 v93, v2
	s_cbranch_execnz .LBB741_947
.LBB741_962:                            ;   in Loop: Header=BB741_908 Depth=2
	s_or_b32 exec_lo, exec_lo, s8
	s_delay_alu instid0(SALU_CYCLE_1)
	s_mov_b32 s8, exec_lo
	v_cmpx_lt_u32_e64 v95, v2
	s_cbranch_execz .LBB741_907
.LBB741_963:                            ;   in Loop: Header=BB741_908 Depth=2
	s_waitcnt vmcnt(0)
	v_xor_b32_e32 v38, 0x7fffffff, v35
	v_not_b32_e32 v37, v34
	s_delay_alu instid0(VALU_DEP_1) | instskip(NEXT) | instid1(VALU_DEP_1)
	v_lshrrev_b64 v[37:38], s40, v[37:38]
	v_and_b32_e32 v2, s42, v37
	s_delay_alu instid0(VALU_DEP_1)
	v_lshl_or_b32 v2, v2, 4, v36
	ds_add_u32 v2, v123
	s_branch .LBB741_907
.LBB741_964:                            ;   in Loop: Header=BB741_908 Depth=2
	s_or_b32 exec_lo, exec_lo, s9
	s_delay_alu instid0(SALU_CYCLE_1)
	s_mov_b32 s9, exec_lo
	v_cmpx_gt_u32_e64 s1, v77
	s_cbranch_execz .LBB741_914
.LBB741_965:                            ;   in Loop: Header=BB741_908 Depth=2
	global_load_b64 v[30:31], v124, s[10:11] offset:2048
	s_or_b32 exec_lo, exec_lo, s9
	s_delay_alu instid0(SALU_CYCLE_1)
	s_mov_b32 s9, exec_lo
	v_cmpx_gt_u32_e64 s1, v78
	s_cbranch_execnz .LBB741_915
.LBB741_966:                            ;   in Loop: Header=BB741_908 Depth=2
	s_or_b32 exec_lo, exec_lo, s9
	s_delay_alu instid0(SALU_CYCLE_1)
	s_mov_b32 s9, exec_lo
	v_cmpx_gt_u32_e64 s1, v79
	s_cbranch_execz .LBB741_916
.LBB741_967:                            ;   in Loop: Header=BB741_908 Depth=2
	global_load_b64 v[26:27], v126, s[10:11]
	s_or_b32 exec_lo, exec_lo, s9
	s_delay_alu instid0(SALU_CYCLE_1)
	s_mov_b32 s9, exec_lo
	v_cmpx_gt_u32_e64 s1, v83
	s_cbranch_execnz .LBB741_917
.LBB741_968:                            ;   in Loop: Header=BB741_908 Depth=2
	s_or_b32 exec_lo, exec_lo, s9
	s_delay_alu instid0(SALU_CYCLE_1)
	s_mov_b32 s9, exec_lo
	v_cmpx_gt_u32_e64 s1, v84
	s_cbranch_execz .LBB741_918
.LBB741_969:                            ;   in Loop: Header=BB741_908 Depth=2
	global_load_b64 v[22:23], v128, s[10:11]
	s_or_b32 exec_lo, exec_lo, s9
	s_delay_alu instid0(SALU_CYCLE_1)
	s_mov_b32 s9, exec_lo
	v_cmpx_gt_u32_e64 s1, v85
	s_cbranch_execnz .LBB741_919
.LBB741_970:                            ;   in Loop: Header=BB741_908 Depth=2
	s_or_b32 exec_lo, exec_lo, s9
	s_delay_alu instid0(SALU_CYCLE_1)
	s_mov_b32 s9, exec_lo
	v_cmpx_gt_u32_e64 s1, v86
	s_cbranch_execz .LBB741_920
.LBB741_971:                            ;   in Loop: Header=BB741_908 Depth=2
	global_load_b64 v[18:19], v130, s[10:11]
	s_or_b32 exec_lo, exec_lo, s9
	s_delay_alu instid0(SALU_CYCLE_1)
	s_mov_b32 s9, exec_lo
	v_cmpx_gt_u32_e64 s1, v87
	s_cbranch_execnz .LBB741_921
.LBB741_972:                            ;   in Loop: Header=BB741_908 Depth=2
	s_or_b32 exec_lo, exec_lo, s9
	s_delay_alu instid0(SALU_CYCLE_1)
	s_mov_b32 s9, exec_lo
	v_cmpx_gt_u32_e64 s1, v88
	s_cbranch_execz .LBB741_922
.LBB741_973:                            ;   in Loop: Header=BB741_908 Depth=2
	global_load_b64 v[14:15], v132, s[10:11]
	s_or_b32 exec_lo, exec_lo, s9
	s_delay_alu instid0(SALU_CYCLE_1)
	s_mov_b32 s9, exec_lo
	v_cmpx_gt_u32_e64 s1, v89
	s_cbranch_execnz .LBB741_923
.LBB741_974:                            ;   in Loop: Header=BB741_908 Depth=2
	s_or_b32 exec_lo, exec_lo, s9
	s_delay_alu instid0(SALU_CYCLE_1)
	s_mov_b32 s9, exec_lo
	v_cmpx_gt_u32_e64 s1, v90
	s_cbranch_execz .LBB741_924
.LBB741_975:                            ;   in Loop: Header=BB741_908 Depth=2
	global_load_b64 v[10:11], v134, s[10:11]
	s_or_b32 exec_lo, exec_lo, s9
	s_delay_alu instid0(SALU_CYCLE_1)
	s_mov_b32 s9, exec_lo
	v_cmpx_gt_u32_e64 s1, v91
	s_cbranch_execnz .LBB741_925
.LBB741_976:                            ;   in Loop: Header=BB741_908 Depth=2
	s_or_b32 exec_lo, exec_lo, s9
	s_delay_alu instid0(SALU_CYCLE_1)
	s_mov_b32 s9, exec_lo
	v_cmpx_gt_u32_e64 s1, v92
	s_cbranch_execz .LBB741_926
.LBB741_977:                            ;   in Loop: Header=BB741_908 Depth=2
	v_lshlrev_b32_e32 v2, 3, v92
	global_load_b64 v[6:7], v2, s[10:11]
	s_or_b32 exec_lo, exec_lo, s9
	s_delay_alu instid0(SALU_CYCLE_1)
	s_mov_b32 s9, exec_lo
	v_cmpx_gt_u32_e64 s1, v93
	s_cbranch_execz .LBB741_928
	s_branch .LBB741_927
.LBB741_978:                            ;   in Loop: Header=BB741_20 Depth=1
	v_mov_b32_e32 v2, 0
	s_waitcnt vmcnt(0) lgkmcnt(0)
	s_barrier
	buffer_gl0_inv
	s_and_saveexec_b32 s1, s2
	s_cbranch_execz .LBB741_980
; %bb.979:                              ;   in Loop: Header=BB741_20 Depth=1
	ds_load_2addr_b64 v[4:7], v96 offset1:1
	s_waitcnt lgkmcnt(0)
	v_add_nc_u32_e32 v2, v5, v4
	s_delay_alu instid0(VALU_DEP_1)
	v_add3_u32 v2, v2, v6, v7
.LBB741_980:                            ;   in Loop: Header=BB741_20 Depth=1
	s_or_b32 exec_lo, exec_lo, s1
	v_and_b32_e32 v4, 15, v136
	s_delay_alu instid0(VALU_DEP_2) | instskip(SKIP_1) | instid1(VALU_DEP_3)
	v_mov_b32_dpp v5, v2 row_shr:1 row_mask:0xf bank_mask:0xf
	v_and_b32_e32 v6, 16, v136
	v_cmp_eq_u32_e64 s1, 0, v4
	v_cmp_lt_u32_e64 s7, 1, v4
	v_cmp_lt_u32_e64 s8, 3, v4
	;; [unrolled: 1-line block ×3, first 2 shown]
	v_cmp_eq_u32_e64 s10, 0, v6
	v_cndmask_b32_e64 v5, v5, 0, s1
	s_delay_alu instid0(VALU_DEP_1) | instskip(NEXT) | instid1(VALU_DEP_1)
	v_add_nc_u32_e32 v2, v5, v2
	v_mov_b32_dpp v5, v2 row_shr:2 row_mask:0xf bank_mask:0xf
	s_delay_alu instid0(VALU_DEP_1) | instskip(NEXT) | instid1(VALU_DEP_1)
	v_cndmask_b32_e64 v5, 0, v5, s7
	v_add_nc_u32_e32 v2, v2, v5
	s_delay_alu instid0(VALU_DEP_1) | instskip(NEXT) | instid1(VALU_DEP_1)
	v_mov_b32_dpp v5, v2 row_shr:4 row_mask:0xf bank_mask:0xf
	v_cndmask_b32_e64 v5, 0, v5, s8
	s_delay_alu instid0(VALU_DEP_1) | instskip(NEXT) | instid1(VALU_DEP_1)
	v_add_nc_u32_e32 v2, v2, v5
	v_mov_b32_dpp v5, v2 row_shr:8 row_mask:0xf bank_mask:0xf
	s_delay_alu instid0(VALU_DEP_1) | instskip(SKIP_1) | instid1(VALU_DEP_2)
	v_cndmask_b32_e64 v4, 0, v5, s9
	v_bfe_i32 v5, v136, 4, 1
	v_add_nc_u32_e32 v2, v2, v4
	ds_swizzle_b32 v4, v2 offset:swizzle(BROADCAST,32,15)
	s_waitcnt lgkmcnt(0)
	v_and_b32_e32 v4, v5, v4
	s_delay_alu instid0(VALU_DEP_1)
	v_add_nc_u32_e32 v4, v2, v4
	s_and_saveexec_b32 s11, s3
	s_cbranch_execz .LBB741_982
; %bb.981:                              ;   in Loop: Header=BB741_20 Depth=1
	ds_store_b32 v97, v4
.LBB741_982:                            ;   in Loop: Header=BB741_20 Depth=1
	s_or_b32 exec_lo, exec_lo, s11
	v_and_b32_e32 v2, 7, v136
	s_waitcnt lgkmcnt(0)
	s_barrier
	buffer_gl0_inv
	s_and_saveexec_b32 s11, s4
	s_cbranch_execz .LBB741_984
; %bb.983:                              ;   in Loop: Header=BB741_20 Depth=1
	ds_load_b32 v5, v98
	v_cmp_ne_u32_e32 vcc_lo, 0, v2
	s_waitcnt lgkmcnt(0)
	v_mov_b32_dpp v6, v5 row_shr:1 row_mask:0xf bank_mask:0xf
	s_delay_alu instid0(VALU_DEP_1) | instskip(SKIP_1) | instid1(VALU_DEP_2)
	v_cndmask_b32_e32 v6, 0, v6, vcc_lo
	v_cmp_lt_u32_e32 vcc_lo, 1, v2
	v_add_nc_u32_e32 v5, v6, v5
	s_delay_alu instid0(VALU_DEP_1) | instskip(NEXT) | instid1(VALU_DEP_1)
	v_mov_b32_dpp v6, v5 row_shr:2 row_mask:0xf bank_mask:0xf
	v_cndmask_b32_e32 v6, 0, v6, vcc_lo
	v_cmp_lt_u32_e32 vcc_lo, 3, v2
	s_delay_alu instid0(VALU_DEP_2) | instskip(NEXT) | instid1(VALU_DEP_1)
	v_add_nc_u32_e32 v5, v5, v6
	v_mov_b32_dpp v6, v5 row_shr:4 row_mask:0xf bank_mask:0xf
	s_delay_alu instid0(VALU_DEP_1) | instskip(NEXT) | instid1(VALU_DEP_1)
	v_cndmask_b32_e32 v6, 0, v6, vcc_lo
	v_add_nc_u32_e32 v5, v5, v6
	ds_store_b32 v98, v5
.LBB741_984:                            ;   in Loop: Header=BB741_20 Depth=1
	s_or_b32 exec_lo, exec_lo, s11
	v_mov_b32_e32 v5, 0
	s_waitcnt lgkmcnt(0)
	s_barrier
	buffer_gl0_inv
	s_and_saveexec_b32 s11, s5
	s_cbranch_execz .LBB741_986
; %bb.985:                              ;   in Loop: Header=BB741_20 Depth=1
	ds_load_b32 v5, v99
.LBB741_986:                            ;   in Loop: Header=BB741_20 Depth=1
	s_or_b32 exec_lo, exec_lo, s11
	v_add_nc_u32_e32 v6, -1, v136
	s_waitcnt lgkmcnt(0)
	v_add_nc_u32_e32 v4, v5, v4
	v_cmp_eq_u32_e64 s11, 0, v136
	s_barrier
	v_cmp_gt_i32_e32 vcc_lo, 0, v6
	buffer_gl0_inv
	v_cndmask_b32_e32 v6, v6, v136, vcc_lo
	s_delay_alu instid0(VALU_DEP_1)
	v_lshlrev_b32_e32 v137, 2, v6
	ds_bpermute_b32 v4, v137, v4
	s_and_saveexec_b32 s12, s2
	s_cbranch_execz .LBB741_988
; %bb.987:                              ;   in Loop: Header=BB741_20 Depth=1
	s_waitcnt lgkmcnt(0)
	v_cndmask_b32_e64 v4, v4, v5, s11
	s_delay_alu instid0(VALU_DEP_1)
	v_add_nc_u32_e32 v4, s60, v4
	ds_store_b32 v76, v4
.LBB741_988:                            ;   in Loop: Header=BB741_20 Depth=1
	s_or_b32 exec_lo, exec_lo, s12
	s_load_b64 s[12:13], s[36:37], 0x0
	v_lshlrev_b32_e32 v7, 3, v136
	v_or_b32_e32 v138, v136, v100
	s_mov_b32 s43, s62
	s_mov_b32 s38, s60
                                        ; implicit-def: $vgpr8_vgpr9
                                        ; implicit-def: $vgpr10_vgpr11
                                        ; implicit-def: $vgpr12_vgpr13
                                        ; implicit-def: $vgpr14_vgpr15
                                        ; implicit-def: $vgpr16_vgpr17
                                        ; implicit-def: $vgpr18_vgpr19
                                        ; implicit-def: $vgpr20_vgpr21
                                        ; implicit-def: $vgpr22_vgpr23
                                        ; implicit-def: $vgpr24_vgpr25
                                        ; implicit-def: $vgpr26_vgpr27
                                        ; implicit-def: $vgpr28_vgpr29
                                        ; implicit-def: $vgpr30_vgpr31
                                        ; implicit-def: $vgpr32_vgpr33
                                        ; implicit-def: $vgpr34_vgpr35
                                        ; implicit-def: $vgpr161
                                        ; implicit-def: $vgpr162
                                        ; implicit-def: $vgpr163
                                        ; implicit-def: $vgpr164
                                        ; implicit-def: $vgpr165
                                        ; implicit-def: $vgpr166
                                        ; implicit-def: $vgpr167
                                        ; implicit-def: $vgpr168
                                        ; implicit-def: $vgpr169
                                        ; implicit-def: $vgpr170
                                        ; implicit-def: $vgpr171
                                        ; implicit-def: $vgpr172
                                        ; implicit-def: $vgpr173
                                        ; implicit-def: $vgpr174
                                        ; implicit-def: $vgpr175
                                        ; implicit-def: $vgpr176
	s_delay_alu instid0(VALU_DEP_2) | instskip(SKIP_4) | instid1(VALU_DEP_3)
	v_add_co_u32 v139, vcc_lo, v119, v7
	v_add_co_ci_u32_e32 v140, vcc_lo, 0, v120, vcc_lo
	v_add_co_u32 v156, vcc_lo, v121, v7
	v_add_co_ci_u32_e32 v157, vcc_lo, 0, v122, vcc_lo
	v_or_b32_e32 v141, 32, v138
	v_add_co_u32 v159, vcc_lo, 0xf00, v156
	v_or_b32_e32 v142, 64, v138
	v_or_b32_e32 v143, 0x60, v138
	v_or_b32_e32 v144, 0x80, v138
	s_waitcnt lgkmcnt(0)
	s_cmp_lt_u32 s15, s13
	v_or_b32_e32 v145, 0xa0, v138
	s_cselect_b32 s13, 14, 20
	v_or_b32_e32 v146, 0xc0, v138
	s_add_u32 s16, s36, s13
	s_addc_u32 s17, s37, 0
	s_cmp_lt_u32 s14, s12
	global_load_u16 v4, v3, s[16:17]
	s_cselect_b32 s12, 12, 18
	v_or_b32_e32 v147, 0xe0, v138
	s_add_u32 s12, s36, s12
	s_addc_u32 s13, s37, 0
	v_or_b32_e32 v148, 0x100, v138
	global_load_u16 v6, v3, s[12:13]
	v_cmp_eq_u32_e64 s12, 0, v2
	v_cmp_lt_u32_e64 s13, 1, v2
	v_cmp_lt_u32_e64 s16, 3, v2
	v_or_b32_e32 v149, 0x120, v138
	v_or_b32_e32 v150, 0x140, v138
	;; [unrolled: 1-line block ×7, first 2 shown]
	v_add_co_ci_u32_e32 v160, vcc_lo, 0, v157, vcc_lo
	s_waitcnt vmcnt(1)
	v_mad_u32_u24 v2, v101, v4, v0
	s_waitcnt vmcnt(0)
	s_delay_alu instid0(VALU_DEP_1) | instskip(NEXT) | instid1(VALU_DEP_1)
	v_mad_u64_u32 v[4:5], null, v2, v6, v[1:2]
                                        ; implicit-def: $vgpr6_vgpr7
	v_lshrrev_b32_e32 v158, 5, v4
                                        ; implicit-def: $vgpr4_vgpr5
	s_branch .LBB741_990
.LBB741_989:                            ;   in Loop: Header=BB741_990 Depth=2
	s_or_b32 exec_lo, exec_lo, s17
	s_addk_i32 s43, 0xf000
	s_cmp_lt_u32 s50, s61
	s_mov_b32 s38, s50
	s_cbranch_scc0 .LBB741_18
.LBB741_990:                            ;   Parent Loop BB741_20 Depth=1
                                        ; =>  This Inner Loop Header: Depth=2
	s_add_i32 s50, s38, 0x1000
	s_delay_alu instid0(SALU_CYCLE_1)
	s_cmp_gt_u32 s50, s61
	s_cbranch_scc1 .LBB741_992
; %bb.991:                              ;   in Loop: Header=BB741_990 Depth=2
	s_mov_b32 s39, 0
	s_movk_i32 s17, 0x1000
	s_lshl_b64 s[18:19], s[38:39], 3
	s_delay_alu instid0(SALU_CYCLE_1)
	v_add_co_u32 v40, vcc_lo, v156, s18
	v_add_co_ci_u32_e32 v41, vcc_lo, s19, v157, vcc_lo
	s_mov_b32 s18, -1
	s_clause 0xe
	global_load_b64 v[36:37], v[40:41], off
	global_load_b64 v[38:39], v[40:41], off offset:256
	global_load_b64 v[44:45], v[40:41], off offset:512
	;; [unrolled: 1-line block ×14, first 2 shown]
	s_cbranch_execz .LBB741_993
	s_branch .LBB741_1024
.LBB741_992:                            ;   in Loop: Header=BB741_990 Depth=2
	s_mov_b32 s39, -1
	s_mov_b32 s18, 0
                                        ; implicit-def: $sgpr17
                                        ; implicit-def: $vgpr36_vgpr37
                                        ; implicit-def: $vgpr38_vgpr39
                                        ; implicit-def: $vgpr44_vgpr45
                                        ; implicit-def: $vgpr48_vgpr49
                                        ; implicit-def: $vgpr54_vgpr55
                                        ; implicit-def: $vgpr58_vgpr59
                                        ; implicit-def: $vgpr62_vgpr63
                                        ; implicit-def: $vgpr66_vgpr67
                                        ; implicit-def: $vgpr64_vgpr65
                                        ; implicit-def: $vgpr60_vgpr61
                                        ; implicit-def: $vgpr56_vgpr57
                                        ; implicit-def: $vgpr52_vgpr53
                                        ; implicit-def: $vgpr50_vgpr51
                                        ; implicit-def: $vgpr46_vgpr47
                                        ; implicit-def: $vgpr40_vgpr41
.LBB741_993:                            ;   in Loop: Header=BB741_990 Depth=2
	s_mov_b32 s39, s34
	s_waitcnt vmcnt(14)
	v_dual_mov_b32 v37, s35 :: v_dual_mov_b32 v36, s34
	s_lshl_b64 s[18:19], s[38:39], 3
	s_mov_b32 s17, exec_lo
	v_add_co_u32 v42, vcc_lo, v156, s18
	v_add_co_ci_u32_e32 v43, vcc_lo, s19, v157, vcc_lo
	v_cmpx_gt_u32_e64 s43, v138
	s_cbranch_execz .LBB741_995
; %bb.994:                              ;   in Loop: Header=BB741_990 Depth=2
	global_load_b64 v[36:37], v[42:43], off
.LBB741_995:                            ;   in Loop: Header=BB741_990 Depth=2
	s_or_b32 exec_lo, exec_lo, s17
	s_waitcnt vmcnt(13)
	v_dual_mov_b32 v39, s35 :: v_dual_mov_b32 v38, s34
	s_mov_b32 s17, exec_lo
	v_cmpx_gt_u32_e64 s43, v141
	s_cbranch_execz .LBB741_997
; %bb.996:                              ;   in Loop: Header=BB741_990 Depth=2
	global_load_b64 v[38:39], v[42:43], off offset:256
.LBB741_997:                            ;   in Loop: Header=BB741_990 Depth=2
	s_or_b32 exec_lo, exec_lo, s17
	s_waitcnt vmcnt(12)
	v_dual_mov_b32 v45, s35 :: v_dual_mov_b32 v44, s34
	s_mov_b32 s17, exec_lo
	v_cmpx_gt_u32_e64 s43, v142
	s_cbranch_execz .LBB741_999
; %bb.998:                              ;   in Loop: Header=BB741_990 Depth=2
	global_load_b64 v[44:45], v[42:43], off offset:512
.LBB741_999:                            ;   in Loop: Header=BB741_990 Depth=2
	s_or_b32 exec_lo, exec_lo, s17
	s_waitcnt vmcnt(11)
	v_dual_mov_b32 v49, s35 :: v_dual_mov_b32 v48, s34
	s_mov_b32 s17, exec_lo
	v_cmpx_gt_u32_e64 s43, v143
	s_cbranch_execz .LBB741_1001
; %bb.1000:                             ;   in Loop: Header=BB741_990 Depth=2
	global_load_b64 v[48:49], v[42:43], off offset:768
.LBB741_1001:                           ;   in Loop: Header=BB741_990 Depth=2
	s_or_b32 exec_lo, exec_lo, s17
	s_waitcnt vmcnt(10)
	v_dual_mov_b32 v55, s35 :: v_dual_mov_b32 v54, s34
	s_mov_b32 s17, exec_lo
	v_cmpx_gt_u32_e64 s43, v144
	s_cbranch_execz .LBB741_1003
; %bb.1002:                             ;   in Loop: Header=BB741_990 Depth=2
	global_load_b64 v[54:55], v[42:43], off offset:1024
.LBB741_1003:                           ;   in Loop: Header=BB741_990 Depth=2
	;; [unrolled: 9-line block ×12, first 2 shown]
	s_or_b32 exec_lo, exec_lo, s17
	v_cmp_gt_u32_e64 s18, s43, v155
	s_sub_i32 s17, s61, s38
.LBB741_1024:                           ;   in Loop: Header=BB741_990 Depth=2
	v_dual_mov_b32 v43, s35 :: v_dual_mov_b32 v42, s34
	v_mov_b32_e32 v177, s43
	s_delay_alu instid0(VALU_DEP_3)
	s_and_saveexec_b32 s19, s18
	s_cbranch_execz .LBB741_1026
; %bb.1025:                             ;   in Loop: Header=BB741_990 Depth=2
	s_lshl_b64 s[20:21], s[38:39], 3
	v_mov_b32_e32 v177, s17
	v_add_co_u32 v42, vcc_lo, v159, s20
	v_add_co_ci_u32_e32 v43, vcc_lo, s21, v160, vcc_lo
	global_load_b64 v[42:43], v[42:43], off
.LBB741_1026:                           ;   in Loop: Header=BB741_990 Depth=2
	s_or_b32 exec_lo, exec_lo, s19
	s_waitcnt vmcnt(14)
	v_xor_b32_e32 v37, 0x7fffffff, v37
	v_not_b32_e32 v36, v36
	ds_store_b32 v102, v3 offset:1056
	ds_store_2addr_b32 v103, v3, v3 offset0:1 offset1:2
	ds_store_2addr_b32 v103, v3, v3 offset0:3 offset1:4
	ds_store_2addr_b32 v103, v3, v3 offset0:5 offset1:6
	ds_store_2addr_b32 v103, v3, v3 offset0:7 offset1:8
	s_waitcnt vmcnt(0) lgkmcnt(0)
	s_barrier
	v_lshrrev_b64 v[68:69], s40, v[36:37]
	buffer_gl0_inv
	; wave barrier
	v_and_b32_e32 v69, s42, v68
	s_delay_alu instid0(VALU_DEP_1)
	v_and_b32_e32 v2, 1, v69
	v_lshlrev_b32_e32 v68, 30, v69
	v_lshlrev_b32_e32 v70, 29, v69
	;; [unrolled: 1-line block ×4, first 2 shown]
	v_add_co_u32 v2, s17, v2, -1
	s_delay_alu instid0(VALU_DEP_1)
	v_cndmask_b32_e64 v72, 0, 1, s17
	v_not_b32_e32 v178, v68
	v_cmp_gt_i32_e64 s17, 0, v68
	v_not_b32_e32 v68, v70
	v_lshlrev_b32_e32 v74, 26, v69
	v_cmp_ne_u32_e32 vcc_lo, 0, v72
	v_ashrrev_i32_e32 v178, 31, v178
	v_lshlrev_b32_e32 v75, 25, v69
	v_ashrrev_i32_e32 v68, 31, v68
	v_lshlrev_b32_e32 v72, 24, v69
	v_xor_b32_e32 v2, vcc_lo, v2
	v_cmp_gt_i32_e32 vcc_lo, 0, v70
	v_not_b32_e32 v70, v71
	v_xor_b32_e32 v178, s17, v178
	v_cmp_gt_i32_e64 s17, 0, v71
	v_and_b32_e32 v2, exec_lo, v2
	v_not_b32_e32 v71, v73
	v_ashrrev_i32_e32 v70, 31, v70
	v_xor_b32_e32 v68, vcc_lo, v68
	v_cmp_gt_i32_e32 vcc_lo, 0, v73
	v_and_b32_e32 v2, v2, v178
	v_not_b32_e32 v73, v74
	v_ashrrev_i32_e32 v71, 31, v71
	v_xor_b32_e32 v70, s17, v70
	v_cmp_gt_i32_e64 s17, 0, v74
	v_and_b32_e32 v2, v2, v68
	v_not_b32_e32 v68, v75
	v_ashrrev_i32_e32 v73, 31, v73
	v_xor_b32_e32 v71, vcc_lo, v71
	v_cmp_gt_i32_e32 vcc_lo, 0, v75
	v_and_b32_e32 v2, v2, v70
	v_not_b32_e32 v70, v72
	v_ashrrev_i32_e32 v68, 31, v68
	v_xor_b32_e32 v73, s17, v73
	v_cmp_gt_i32_e64 s17, 0, v72
	v_and_b32_e32 v2, v2, v71
	v_ashrrev_i32_e32 v70, 31, v70
	v_xor_b32_e32 v68, vcc_lo, v68
	v_mad_u32_u24 v69, v69, 9, v158
	s_delay_alu instid0(VALU_DEP_4) | instskip(NEXT) | instid1(VALU_DEP_4)
	v_and_b32_e32 v2, v2, v73
	v_xor_b32_e32 v70, s17, v70
	s_delay_alu instid0(VALU_DEP_3) | instskip(NEXT) | instid1(VALU_DEP_3)
	v_lshl_add_u32 v178, v69, 2, 0x420
	v_and_b32_e32 v2, v2, v68
	s_delay_alu instid0(VALU_DEP_1) | instskip(NEXT) | instid1(VALU_DEP_1)
	v_and_b32_e32 v68, v2, v70
	v_mbcnt_lo_u32_b32 v2, v68, 0
	v_cmp_ne_u32_e64 s17, 0, v68
	s_delay_alu instid0(VALU_DEP_2) | instskip(NEXT) | instid1(VALU_DEP_2)
	v_cmp_eq_u32_e32 vcc_lo, 0, v2
	s_and_b32 s18, s17, vcc_lo
	s_delay_alu instid0(SALU_CYCLE_1)
	s_and_saveexec_b32 s17, s18
	s_cbranch_execz .LBB741_1028
; %bb.1027:                             ;   in Loop: Header=BB741_990 Depth=2
	v_bcnt_u32_b32 v68, v68, 0
	ds_store_b32 v178, v68
.LBB741_1028:                           ;   in Loop: Header=BB741_990 Depth=2
	s_or_b32 exec_lo, exec_lo, s17
	v_xor_b32_e32 v39, 0x7fffffff, v39
	v_not_b32_e32 v38, v38
	; wave barrier
	s_delay_alu instid0(VALU_DEP_1) | instskip(NEXT) | instid1(VALU_DEP_1)
	v_lshrrev_b64 v[68:69], s40, v[38:39]
	v_and_b32_e32 v68, s42, v68
	s_delay_alu instid0(VALU_DEP_1)
	v_and_b32_e32 v69, 1, v68
	v_lshlrev_b32_e32 v70, 30, v68
	v_lshlrev_b32_e32 v71, 29, v68
	;; [unrolled: 1-line block ×4, first 2 shown]
	v_add_co_u32 v69, s17, v69, -1
	s_delay_alu instid0(VALU_DEP_1)
	v_cndmask_b32_e64 v73, 0, 1, s17
	v_not_b32_e32 v180, v70
	v_cmp_gt_i32_e64 s17, 0, v70
	v_not_b32_e32 v70, v71
	v_lshlrev_b32_e32 v75, 26, v68
	v_cmp_ne_u32_e32 vcc_lo, 0, v73
	v_ashrrev_i32_e32 v180, 31, v180
	v_lshlrev_b32_e32 v179, 25, v68
	v_ashrrev_i32_e32 v70, 31, v70
	v_lshlrev_b32_e32 v73, 24, v68
	v_xor_b32_e32 v69, vcc_lo, v69
	v_cmp_gt_i32_e32 vcc_lo, 0, v71
	v_not_b32_e32 v71, v72
	v_xor_b32_e32 v180, s17, v180
	v_cmp_gt_i32_e64 s17, 0, v72
	v_and_b32_e32 v69, exec_lo, v69
	v_not_b32_e32 v72, v74
	v_ashrrev_i32_e32 v71, 31, v71
	v_xor_b32_e32 v70, vcc_lo, v70
	v_cmp_gt_i32_e32 vcc_lo, 0, v74
	v_and_b32_e32 v69, v69, v180
	v_not_b32_e32 v74, v75
	v_ashrrev_i32_e32 v72, 31, v72
	v_xor_b32_e32 v71, s17, v71
	v_cmp_gt_i32_e64 s17, 0, v75
	v_and_b32_e32 v69, v69, v70
	v_not_b32_e32 v70, v179
	v_ashrrev_i32_e32 v74, 31, v74
	v_xor_b32_e32 v72, vcc_lo, v72
	v_cmp_gt_i32_e32 vcc_lo, 0, v179
	v_and_b32_e32 v69, v69, v71
	v_not_b32_e32 v71, v73
	v_ashrrev_i32_e32 v70, 31, v70
	v_xor_b32_e32 v74, s17, v74
	v_mul_u32_u24_e32 v68, 9, v68
	v_and_b32_e32 v69, v69, v72
	v_cmp_gt_i32_e64 s17, 0, v73
	v_ashrrev_i32_e32 v71, 31, v71
	v_xor_b32_e32 v70, vcc_lo, v70
	v_add_lshl_u32 v72, v68, v158, 2
	v_and_b32_e32 v69, v69, v74
	s_delay_alu instid0(VALU_DEP_4) | instskip(SKIP_3) | instid1(VALU_DEP_2)
	v_xor_b32_e32 v68, s17, v71
	ds_load_b32 v179, v72 offset:1056
	v_and_b32_e32 v69, v69, v70
	v_add_nc_u32_e32 v181, 0x420, v72
	; wave barrier
	v_and_b32_e32 v68, v69, v68
	s_delay_alu instid0(VALU_DEP_1) | instskip(SKIP_1) | instid1(VALU_DEP_2)
	v_mbcnt_lo_u32_b32 v180, v68, 0
	v_cmp_ne_u32_e64 s17, 0, v68
	v_cmp_eq_u32_e32 vcc_lo, 0, v180
	s_delay_alu instid0(VALU_DEP_2) | instskip(NEXT) | instid1(SALU_CYCLE_1)
	s_and_b32 s18, s17, vcc_lo
	s_and_saveexec_b32 s17, s18
	s_cbranch_execz .LBB741_1030
; %bb.1029:                             ;   in Loop: Header=BB741_990 Depth=2
	s_waitcnt lgkmcnt(0)
	v_bcnt_u32_b32 v68, v68, v179
	ds_store_b32 v181, v68
.LBB741_1030:                           ;   in Loop: Header=BB741_990 Depth=2
	s_or_b32 exec_lo, exec_lo, s17
	v_xor_b32_e32 v45, 0x7fffffff, v45
	v_not_b32_e32 v44, v44
	; wave barrier
	s_delay_alu instid0(VALU_DEP_1) | instskip(NEXT) | instid1(VALU_DEP_1)
	v_lshrrev_b64 v[68:69], s40, v[44:45]
	v_and_b32_e32 v68, s42, v68
	s_delay_alu instid0(VALU_DEP_1)
	v_and_b32_e32 v69, 1, v68
	v_lshlrev_b32_e32 v70, 30, v68
	v_lshlrev_b32_e32 v71, 29, v68
	;; [unrolled: 1-line block ×4, first 2 shown]
	v_add_co_u32 v69, s17, v69, -1
	s_delay_alu instid0(VALU_DEP_1)
	v_cndmask_b32_e64 v73, 0, 1, s17
	v_not_b32_e32 v183, v70
	v_cmp_gt_i32_e64 s17, 0, v70
	v_not_b32_e32 v70, v71
	v_lshlrev_b32_e32 v75, 26, v68
	v_cmp_ne_u32_e32 vcc_lo, 0, v73
	v_ashrrev_i32_e32 v183, 31, v183
	v_lshlrev_b32_e32 v182, 25, v68
	v_ashrrev_i32_e32 v70, 31, v70
	v_lshlrev_b32_e32 v73, 24, v68
	v_xor_b32_e32 v69, vcc_lo, v69
	v_cmp_gt_i32_e32 vcc_lo, 0, v71
	v_not_b32_e32 v71, v72
	v_xor_b32_e32 v183, s17, v183
	v_cmp_gt_i32_e64 s17, 0, v72
	v_and_b32_e32 v69, exec_lo, v69
	v_not_b32_e32 v72, v74
	v_ashrrev_i32_e32 v71, 31, v71
	v_xor_b32_e32 v70, vcc_lo, v70
	v_cmp_gt_i32_e32 vcc_lo, 0, v74
	v_and_b32_e32 v69, v69, v183
	v_not_b32_e32 v74, v75
	v_ashrrev_i32_e32 v72, 31, v72
	v_xor_b32_e32 v71, s17, v71
	v_cmp_gt_i32_e64 s17, 0, v75
	v_and_b32_e32 v69, v69, v70
	v_not_b32_e32 v70, v182
	v_ashrrev_i32_e32 v74, 31, v74
	v_xor_b32_e32 v72, vcc_lo, v72
	v_cmp_gt_i32_e32 vcc_lo, 0, v182
	v_and_b32_e32 v69, v69, v71
	v_not_b32_e32 v71, v73
	v_ashrrev_i32_e32 v70, 31, v70
	v_xor_b32_e32 v74, s17, v74
	v_mul_u32_u24_e32 v68, 9, v68
	v_and_b32_e32 v69, v69, v72
	v_cmp_gt_i32_e64 s17, 0, v73
	v_ashrrev_i32_e32 v71, 31, v71
	v_xor_b32_e32 v70, vcc_lo, v70
	v_add_lshl_u32 v72, v68, v158, 2
	v_and_b32_e32 v69, v69, v74
	s_delay_alu instid0(VALU_DEP_4) | instskip(SKIP_3) | instid1(VALU_DEP_2)
	v_xor_b32_e32 v68, s17, v71
	ds_load_b32 v182, v72 offset:1056
	v_and_b32_e32 v69, v69, v70
	v_add_nc_u32_e32 v184, 0x420, v72
	; wave barrier
	v_and_b32_e32 v68, v69, v68
	s_delay_alu instid0(VALU_DEP_1) | instskip(SKIP_1) | instid1(VALU_DEP_2)
	v_mbcnt_lo_u32_b32 v183, v68, 0
	v_cmp_ne_u32_e64 s17, 0, v68
	v_cmp_eq_u32_e32 vcc_lo, 0, v183
	s_delay_alu instid0(VALU_DEP_2) | instskip(NEXT) | instid1(SALU_CYCLE_1)
	s_and_b32 s18, s17, vcc_lo
	s_and_saveexec_b32 s17, s18
	s_cbranch_execz .LBB741_1032
; %bb.1031:                             ;   in Loop: Header=BB741_990 Depth=2
	s_waitcnt lgkmcnt(0)
	v_bcnt_u32_b32 v68, v68, v182
	ds_store_b32 v184, v68
.LBB741_1032:                           ;   in Loop: Header=BB741_990 Depth=2
	s_or_b32 exec_lo, exec_lo, s17
	v_xor_b32_e32 v49, 0x7fffffff, v49
	v_not_b32_e32 v48, v48
	; wave barrier
	s_delay_alu instid0(VALU_DEP_1) | instskip(NEXT) | instid1(VALU_DEP_1)
	v_lshrrev_b64 v[68:69], s40, v[48:49]
	v_and_b32_e32 v68, s42, v68
	s_delay_alu instid0(VALU_DEP_1)
	v_and_b32_e32 v69, 1, v68
	v_lshlrev_b32_e32 v70, 30, v68
	v_lshlrev_b32_e32 v71, 29, v68
	;; [unrolled: 1-line block ×4, first 2 shown]
	v_add_co_u32 v69, s17, v69, -1
	s_delay_alu instid0(VALU_DEP_1)
	v_cndmask_b32_e64 v73, 0, 1, s17
	v_not_b32_e32 v186, v70
	v_cmp_gt_i32_e64 s17, 0, v70
	v_not_b32_e32 v70, v71
	v_lshlrev_b32_e32 v75, 26, v68
	v_cmp_ne_u32_e32 vcc_lo, 0, v73
	v_ashrrev_i32_e32 v186, 31, v186
	v_lshlrev_b32_e32 v185, 25, v68
	v_ashrrev_i32_e32 v70, 31, v70
	v_lshlrev_b32_e32 v73, 24, v68
	v_xor_b32_e32 v69, vcc_lo, v69
	v_cmp_gt_i32_e32 vcc_lo, 0, v71
	v_not_b32_e32 v71, v72
	v_xor_b32_e32 v186, s17, v186
	v_cmp_gt_i32_e64 s17, 0, v72
	v_and_b32_e32 v69, exec_lo, v69
	v_not_b32_e32 v72, v74
	v_ashrrev_i32_e32 v71, 31, v71
	v_xor_b32_e32 v70, vcc_lo, v70
	v_cmp_gt_i32_e32 vcc_lo, 0, v74
	v_and_b32_e32 v69, v69, v186
	v_not_b32_e32 v74, v75
	v_ashrrev_i32_e32 v72, 31, v72
	v_xor_b32_e32 v71, s17, v71
	v_cmp_gt_i32_e64 s17, 0, v75
	v_and_b32_e32 v69, v69, v70
	v_not_b32_e32 v70, v185
	v_ashrrev_i32_e32 v74, 31, v74
	v_xor_b32_e32 v72, vcc_lo, v72
	v_cmp_gt_i32_e32 vcc_lo, 0, v185
	v_and_b32_e32 v69, v69, v71
	v_not_b32_e32 v71, v73
	v_ashrrev_i32_e32 v70, 31, v70
	v_xor_b32_e32 v74, s17, v74
	v_mul_u32_u24_e32 v68, 9, v68
	v_and_b32_e32 v69, v69, v72
	v_cmp_gt_i32_e64 s17, 0, v73
	v_ashrrev_i32_e32 v71, 31, v71
	v_xor_b32_e32 v70, vcc_lo, v70
	v_add_lshl_u32 v72, v68, v158, 2
	v_and_b32_e32 v69, v69, v74
	s_delay_alu instid0(VALU_DEP_4) | instskip(SKIP_3) | instid1(VALU_DEP_2)
	v_xor_b32_e32 v68, s17, v71
	ds_load_b32 v185, v72 offset:1056
	v_and_b32_e32 v69, v69, v70
	v_add_nc_u32_e32 v187, 0x420, v72
	; wave barrier
	v_and_b32_e32 v68, v69, v68
	s_delay_alu instid0(VALU_DEP_1) | instskip(SKIP_1) | instid1(VALU_DEP_2)
	v_mbcnt_lo_u32_b32 v186, v68, 0
	v_cmp_ne_u32_e64 s17, 0, v68
	v_cmp_eq_u32_e32 vcc_lo, 0, v186
	s_delay_alu instid0(VALU_DEP_2) | instskip(NEXT) | instid1(SALU_CYCLE_1)
	s_and_b32 s18, s17, vcc_lo
	s_and_saveexec_b32 s17, s18
	s_cbranch_execz .LBB741_1034
; %bb.1033:                             ;   in Loop: Header=BB741_990 Depth=2
	s_waitcnt lgkmcnt(0)
	v_bcnt_u32_b32 v68, v68, v185
	ds_store_b32 v187, v68
.LBB741_1034:                           ;   in Loop: Header=BB741_990 Depth=2
	s_or_b32 exec_lo, exec_lo, s17
	v_xor_b32_e32 v55, 0x7fffffff, v55
	v_not_b32_e32 v54, v54
	; wave barrier
	s_delay_alu instid0(VALU_DEP_1) | instskip(NEXT) | instid1(VALU_DEP_1)
	v_lshrrev_b64 v[68:69], s40, v[54:55]
	v_and_b32_e32 v68, s42, v68
	s_delay_alu instid0(VALU_DEP_1)
	v_and_b32_e32 v69, 1, v68
	v_lshlrev_b32_e32 v70, 30, v68
	v_lshlrev_b32_e32 v71, 29, v68
	;; [unrolled: 1-line block ×4, first 2 shown]
	v_add_co_u32 v69, s17, v69, -1
	s_delay_alu instid0(VALU_DEP_1)
	v_cndmask_b32_e64 v73, 0, 1, s17
	v_not_b32_e32 v189, v70
	v_cmp_gt_i32_e64 s17, 0, v70
	v_not_b32_e32 v70, v71
	v_lshlrev_b32_e32 v75, 26, v68
	v_cmp_ne_u32_e32 vcc_lo, 0, v73
	v_ashrrev_i32_e32 v189, 31, v189
	v_lshlrev_b32_e32 v188, 25, v68
	v_ashrrev_i32_e32 v70, 31, v70
	v_lshlrev_b32_e32 v73, 24, v68
	v_xor_b32_e32 v69, vcc_lo, v69
	v_cmp_gt_i32_e32 vcc_lo, 0, v71
	v_not_b32_e32 v71, v72
	v_xor_b32_e32 v189, s17, v189
	v_cmp_gt_i32_e64 s17, 0, v72
	v_and_b32_e32 v69, exec_lo, v69
	v_not_b32_e32 v72, v74
	v_ashrrev_i32_e32 v71, 31, v71
	v_xor_b32_e32 v70, vcc_lo, v70
	v_cmp_gt_i32_e32 vcc_lo, 0, v74
	v_and_b32_e32 v69, v69, v189
	v_not_b32_e32 v74, v75
	v_ashrrev_i32_e32 v72, 31, v72
	v_xor_b32_e32 v71, s17, v71
	v_cmp_gt_i32_e64 s17, 0, v75
	v_and_b32_e32 v69, v69, v70
	v_not_b32_e32 v70, v188
	v_ashrrev_i32_e32 v74, 31, v74
	v_xor_b32_e32 v72, vcc_lo, v72
	v_cmp_gt_i32_e32 vcc_lo, 0, v188
	v_and_b32_e32 v69, v69, v71
	v_not_b32_e32 v71, v73
	v_ashrrev_i32_e32 v70, 31, v70
	v_xor_b32_e32 v74, s17, v74
	v_mul_u32_u24_e32 v68, 9, v68
	v_and_b32_e32 v69, v69, v72
	v_cmp_gt_i32_e64 s17, 0, v73
	v_ashrrev_i32_e32 v71, 31, v71
	v_xor_b32_e32 v70, vcc_lo, v70
	v_add_lshl_u32 v72, v68, v158, 2
	v_and_b32_e32 v69, v69, v74
	s_delay_alu instid0(VALU_DEP_4) | instskip(SKIP_3) | instid1(VALU_DEP_2)
	v_xor_b32_e32 v68, s17, v71
	ds_load_b32 v188, v72 offset:1056
	v_and_b32_e32 v69, v69, v70
	v_add_nc_u32_e32 v190, 0x420, v72
	; wave barrier
	v_and_b32_e32 v68, v69, v68
	s_delay_alu instid0(VALU_DEP_1) | instskip(SKIP_1) | instid1(VALU_DEP_2)
	v_mbcnt_lo_u32_b32 v189, v68, 0
	v_cmp_ne_u32_e64 s17, 0, v68
	v_cmp_eq_u32_e32 vcc_lo, 0, v189
	s_delay_alu instid0(VALU_DEP_2) | instskip(NEXT) | instid1(SALU_CYCLE_1)
	s_and_b32 s18, s17, vcc_lo
	s_and_saveexec_b32 s17, s18
	s_cbranch_execz .LBB741_1036
; %bb.1035:                             ;   in Loop: Header=BB741_990 Depth=2
	s_waitcnt lgkmcnt(0)
	v_bcnt_u32_b32 v68, v68, v188
	ds_store_b32 v190, v68
.LBB741_1036:                           ;   in Loop: Header=BB741_990 Depth=2
	s_or_b32 exec_lo, exec_lo, s17
	v_xor_b32_e32 v59, 0x7fffffff, v59
	v_not_b32_e32 v58, v58
	; wave barrier
	s_delay_alu instid0(VALU_DEP_1) | instskip(NEXT) | instid1(VALU_DEP_1)
	v_lshrrev_b64 v[68:69], s40, v[58:59]
	v_and_b32_e32 v68, s42, v68
	s_delay_alu instid0(VALU_DEP_1)
	v_and_b32_e32 v69, 1, v68
	v_lshlrev_b32_e32 v70, 30, v68
	v_lshlrev_b32_e32 v71, 29, v68
	v_lshlrev_b32_e32 v72, 28, v68
	v_lshlrev_b32_e32 v74, 27, v68
	v_add_co_u32 v69, s17, v69, -1
	s_delay_alu instid0(VALU_DEP_1)
	v_cndmask_b32_e64 v73, 0, 1, s17
	v_not_b32_e32 v192, v70
	v_cmp_gt_i32_e64 s17, 0, v70
	v_not_b32_e32 v70, v71
	v_lshlrev_b32_e32 v75, 26, v68
	v_cmp_ne_u32_e32 vcc_lo, 0, v73
	v_ashrrev_i32_e32 v192, 31, v192
	v_lshlrev_b32_e32 v191, 25, v68
	v_ashrrev_i32_e32 v70, 31, v70
	v_lshlrev_b32_e32 v73, 24, v68
	v_xor_b32_e32 v69, vcc_lo, v69
	v_cmp_gt_i32_e32 vcc_lo, 0, v71
	v_not_b32_e32 v71, v72
	v_xor_b32_e32 v192, s17, v192
	v_cmp_gt_i32_e64 s17, 0, v72
	v_and_b32_e32 v69, exec_lo, v69
	v_not_b32_e32 v72, v74
	v_ashrrev_i32_e32 v71, 31, v71
	v_xor_b32_e32 v70, vcc_lo, v70
	v_cmp_gt_i32_e32 vcc_lo, 0, v74
	v_and_b32_e32 v69, v69, v192
	v_not_b32_e32 v74, v75
	v_ashrrev_i32_e32 v72, 31, v72
	v_xor_b32_e32 v71, s17, v71
	v_cmp_gt_i32_e64 s17, 0, v75
	v_and_b32_e32 v69, v69, v70
	v_not_b32_e32 v70, v191
	v_ashrrev_i32_e32 v74, 31, v74
	v_xor_b32_e32 v72, vcc_lo, v72
	v_cmp_gt_i32_e32 vcc_lo, 0, v191
	v_and_b32_e32 v69, v69, v71
	v_not_b32_e32 v71, v73
	v_ashrrev_i32_e32 v70, 31, v70
	v_xor_b32_e32 v74, s17, v74
	v_mul_u32_u24_e32 v68, 9, v68
	v_and_b32_e32 v69, v69, v72
	v_cmp_gt_i32_e64 s17, 0, v73
	v_ashrrev_i32_e32 v71, 31, v71
	v_xor_b32_e32 v70, vcc_lo, v70
	v_add_lshl_u32 v72, v68, v158, 2
	v_and_b32_e32 v69, v69, v74
	s_delay_alu instid0(VALU_DEP_4) | instskip(SKIP_3) | instid1(VALU_DEP_2)
	v_xor_b32_e32 v68, s17, v71
	ds_load_b32 v191, v72 offset:1056
	v_and_b32_e32 v69, v69, v70
	v_add_nc_u32_e32 v193, 0x420, v72
	; wave barrier
	v_and_b32_e32 v68, v69, v68
	s_delay_alu instid0(VALU_DEP_1) | instskip(SKIP_1) | instid1(VALU_DEP_2)
	v_mbcnt_lo_u32_b32 v192, v68, 0
	v_cmp_ne_u32_e64 s17, 0, v68
	v_cmp_eq_u32_e32 vcc_lo, 0, v192
	s_delay_alu instid0(VALU_DEP_2) | instskip(NEXT) | instid1(SALU_CYCLE_1)
	s_and_b32 s18, s17, vcc_lo
	s_and_saveexec_b32 s17, s18
	s_cbranch_execz .LBB741_1038
; %bb.1037:                             ;   in Loop: Header=BB741_990 Depth=2
	s_waitcnt lgkmcnt(0)
	v_bcnt_u32_b32 v68, v68, v191
	ds_store_b32 v193, v68
.LBB741_1038:                           ;   in Loop: Header=BB741_990 Depth=2
	s_or_b32 exec_lo, exec_lo, s17
	v_xor_b32_e32 v63, 0x7fffffff, v63
	v_not_b32_e32 v62, v62
	; wave barrier
	s_delay_alu instid0(VALU_DEP_1) | instskip(NEXT) | instid1(VALU_DEP_1)
	v_lshrrev_b64 v[68:69], s40, v[62:63]
	v_and_b32_e32 v68, s42, v68
	s_delay_alu instid0(VALU_DEP_1)
	v_and_b32_e32 v69, 1, v68
	v_lshlrev_b32_e32 v70, 30, v68
	v_lshlrev_b32_e32 v71, 29, v68
	;; [unrolled: 1-line block ×4, first 2 shown]
	v_add_co_u32 v69, s17, v69, -1
	s_delay_alu instid0(VALU_DEP_1)
	v_cndmask_b32_e64 v73, 0, 1, s17
	v_not_b32_e32 v195, v70
	v_cmp_gt_i32_e64 s17, 0, v70
	v_not_b32_e32 v70, v71
	v_lshlrev_b32_e32 v75, 26, v68
	v_cmp_ne_u32_e32 vcc_lo, 0, v73
	v_ashrrev_i32_e32 v195, 31, v195
	v_lshlrev_b32_e32 v194, 25, v68
	v_ashrrev_i32_e32 v70, 31, v70
	v_lshlrev_b32_e32 v73, 24, v68
	v_xor_b32_e32 v69, vcc_lo, v69
	v_cmp_gt_i32_e32 vcc_lo, 0, v71
	v_not_b32_e32 v71, v72
	v_xor_b32_e32 v195, s17, v195
	v_cmp_gt_i32_e64 s17, 0, v72
	v_and_b32_e32 v69, exec_lo, v69
	v_not_b32_e32 v72, v74
	v_ashrrev_i32_e32 v71, 31, v71
	v_xor_b32_e32 v70, vcc_lo, v70
	v_cmp_gt_i32_e32 vcc_lo, 0, v74
	v_and_b32_e32 v69, v69, v195
	v_not_b32_e32 v74, v75
	v_ashrrev_i32_e32 v72, 31, v72
	v_xor_b32_e32 v71, s17, v71
	v_cmp_gt_i32_e64 s17, 0, v75
	v_and_b32_e32 v69, v69, v70
	v_not_b32_e32 v70, v194
	v_ashrrev_i32_e32 v74, 31, v74
	v_xor_b32_e32 v72, vcc_lo, v72
	v_cmp_gt_i32_e32 vcc_lo, 0, v194
	v_and_b32_e32 v69, v69, v71
	v_not_b32_e32 v71, v73
	v_ashrrev_i32_e32 v70, 31, v70
	v_xor_b32_e32 v74, s17, v74
	v_mul_u32_u24_e32 v68, 9, v68
	v_and_b32_e32 v69, v69, v72
	v_cmp_gt_i32_e64 s17, 0, v73
	v_ashrrev_i32_e32 v71, 31, v71
	v_xor_b32_e32 v70, vcc_lo, v70
	v_add_lshl_u32 v72, v68, v158, 2
	v_and_b32_e32 v69, v69, v74
	s_delay_alu instid0(VALU_DEP_4) | instskip(SKIP_3) | instid1(VALU_DEP_2)
	v_xor_b32_e32 v68, s17, v71
	ds_load_b32 v194, v72 offset:1056
	v_and_b32_e32 v69, v69, v70
	v_add_nc_u32_e32 v196, 0x420, v72
	; wave barrier
	v_and_b32_e32 v68, v69, v68
	s_delay_alu instid0(VALU_DEP_1) | instskip(SKIP_1) | instid1(VALU_DEP_2)
	v_mbcnt_lo_u32_b32 v195, v68, 0
	v_cmp_ne_u32_e64 s17, 0, v68
	v_cmp_eq_u32_e32 vcc_lo, 0, v195
	s_delay_alu instid0(VALU_DEP_2) | instskip(NEXT) | instid1(SALU_CYCLE_1)
	s_and_b32 s18, s17, vcc_lo
	s_and_saveexec_b32 s17, s18
	s_cbranch_execz .LBB741_1040
; %bb.1039:                             ;   in Loop: Header=BB741_990 Depth=2
	s_waitcnt lgkmcnt(0)
	v_bcnt_u32_b32 v68, v68, v194
	ds_store_b32 v196, v68
.LBB741_1040:                           ;   in Loop: Header=BB741_990 Depth=2
	s_or_b32 exec_lo, exec_lo, s17
	v_xor_b32_e32 v67, 0x7fffffff, v67
	v_not_b32_e32 v66, v66
	; wave barrier
	s_delay_alu instid0(VALU_DEP_1) | instskip(NEXT) | instid1(VALU_DEP_1)
	v_lshrrev_b64 v[68:69], s40, v[66:67]
	v_and_b32_e32 v68, s42, v68
	s_delay_alu instid0(VALU_DEP_1)
	v_and_b32_e32 v69, 1, v68
	v_lshlrev_b32_e32 v70, 30, v68
	v_lshlrev_b32_e32 v71, 29, v68
	;; [unrolled: 1-line block ×4, first 2 shown]
	v_add_co_u32 v69, s17, v69, -1
	s_delay_alu instid0(VALU_DEP_1)
	v_cndmask_b32_e64 v73, 0, 1, s17
	v_not_b32_e32 v198, v70
	v_cmp_gt_i32_e64 s17, 0, v70
	v_not_b32_e32 v70, v71
	v_lshlrev_b32_e32 v75, 26, v68
	v_cmp_ne_u32_e32 vcc_lo, 0, v73
	v_ashrrev_i32_e32 v198, 31, v198
	v_lshlrev_b32_e32 v197, 25, v68
	v_ashrrev_i32_e32 v70, 31, v70
	v_lshlrev_b32_e32 v73, 24, v68
	v_xor_b32_e32 v69, vcc_lo, v69
	v_cmp_gt_i32_e32 vcc_lo, 0, v71
	v_not_b32_e32 v71, v72
	v_xor_b32_e32 v198, s17, v198
	v_cmp_gt_i32_e64 s17, 0, v72
	v_and_b32_e32 v69, exec_lo, v69
	v_not_b32_e32 v72, v74
	v_ashrrev_i32_e32 v71, 31, v71
	v_xor_b32_e32 v70, vcc_lo, v70
	v_cmp_gt_i32_e32 vcc_lo, 0, v74
	v_and_b32_e32 v69, v69, v198
	v_not_b32_e32 v74, v75
	v_ashrrev_i32_e32 v72, 31, v72
	v_xor_b32_e32 v71, s17, v71
	v_cmp_gt_i32_e64 s17, 0, v75
	v_and_b32_e32 v69, v69, v70
	v_not_b32_e32 v70, v197
	v_ashrrev_i32_e32 v74, 31, v74
	v_xor_b32_e32 v72, vcc_lo, v72
	v_cmp_gt_i32_e32 vcc_lo, 0, v197
	v_and_b32_e32 v69, v69, v71
	v_not_b32_e32 v71, v73
	v_ashrrev_i32_e32 v70, 31, v70
	v_xor_b32_e32 v74, s17, v74
	v_mul_u32_u24_e32 v68, 9, v68
	v_and_b32_e32 v69, v69, v72
	v_cmp_gt_i32_e64 s17, 0, v73
	v_ashrrev_i32_e32 v71, 31, v71
	v_xor_b32_e32 v70, vcc_lo, v70
	v_add_lshl_u32 v72, v68, v158, 2
	v_and_b32_e32 v69, v69, v74
	s_delay_alu instid0(VALU_DEP_4) | instskip(SKIP_3) | instid1(VALU_DEP_2)
	v_xor_b32_e32 v68, s17, v71
	ds_load_b32 v197, v72 offset:1056
	v_and_b32_e32 v69, v69, v70
	v_add_nc_u32_e32 v199, 0x420, v72
	; wave barrier
	v_and_b32_e32 v68, v69, v68
	s_delay_alu instid0(VALU_DEP_1) | instskip(SKIP_1) | instid1(VALU_DEP_2)
	v_mbcnt_lo_u32_b32 v198, v68, 0
	v_cmp_ne_u32_e64 s17, 0, v68
	v_cmp_eq_u32_e32 vcc_lo, 0, v198
	s_delay_alu instid0(VALU_DEP_2) | instskip(NEXT) | instid1(SALU_CYCLE_1)
	s_and_b32 s18, s17, vcc_lo
	s_and_saveexec_b32 s17, s18
	s_cbranch_execz .LBB741_1042
; %bb.1041:                             ;   in Loop: Header=BB741_990 Depth=2
	s_waitcnt lgkmcnt(0)
	v_bcnt_u32_b32 v68, v68, v197
	ds_store_b32 v199, v68
.LBB741_1042:                           ;   in Loop: Header=BB741_990 Depth=2
	s_or_b32 exec_lo, exec_lo, s17
	v_xor_b32_e32 v65, 0x7fffffff, v65
	v_not_b32_e32 v64, v64
	; wave barrier
	s_delay_alu instid0(VALU_DEP_1) | instskip(NEXT) | instid1(VALU_DEP_1)
	v_lshrrev_b64 v[68:69], s40, v[64:65]
	v_and_b32_e32 v68, s42, v68
	s_delay_alu instid0(VALU_DEP_1)
	v_and_b32_e32 v69, 1, v68
	v_lshlrev_b32_e32 v70, 30, v68
	v_lshlrev_b32_e32 v71, 29, v68
	;; [unrolled: 1-line block ×4, first 2 shown]
	v_add_co_u32 v69, s17, v69, -1
	s_delay_alu instid0(VALU_DEP_1)
	v_cndmask_b32_e64 v73, 0, 1, s17
	v_not_b32_e32 v201, v70
	v_cmp_gt_i32_e64 s17, 0, v70
	v_not_b32_e32 v70, v71
	v_lshlrev_b32_e32 v75, 26, v68
	v_cmp_ne_u32_e32 vcc_lo, 0, v73
	v_ashrrev_i32_e32 v201, 31, v201
	v_lshlrev_b32_e32 v200, 25, v68
	v_ashrrev_i32_e32 v70, 31, v70
	v_lshlrev_b32_e32 v73, 24, v68
	v_xor_b32_e32 v69, vcc_lo, v69
	v_cmp_gt_i32_e32 vcc_lo, 0, v71
	v_not_b32_e32 v71, v72
	v_xor_b32_e32 v201, s17, v201
	v_cmp_gt_i32_e64 s17, 0, v72
	v_and_b32_e32 v69, exec_lo, v69
	v_not_b32_e32 v72, v74
	v_ashrrev_i32_e32 v71, 31, v71
	v_xor_b32_e32 v70, vcc_lo, v70
	v_cmp_gt_i32_e32 vcc_lo, 0, v74
	v_and_b32_e32 v69, v69, v201
	v_not_b32_e32 v74, v75
	v_ashrrev_i32_e32 v72, 31, v72
	v_xor_b32_e32 v71, s17, v71
	v_cmp_gt_i32_e64 s17, 0, v75
	v_and_b32_e32 v69, v69, v70
	v_not_b32_e32 v70, v200
	v_ashrrev_i32_e32 v74, 31, v74
	v_xor_b32_e32 v72, vcc_lo, v72
	v_cmp_gt_i32_e32 vcc_lo, 0, v200
	v_and_b32_e32 v69, v69, v71
	v_not_b32_e32 v71, v73
	v_ashrrev_i32_e32 v70, 31, v70
	v_xor_b32_e32 v74, s17, v74
	v_mul_u32_u24_e32 v68, 9, v68
	v_and_b32_e32 v69, v69, v72
	v_cmp_gt_i32_e64 s17, 0, v73
	v_ashrrev_i32_e32 v71, 31, v71
	v_xor_b32_e32 v70, vcc_lo, v70
	v_add_lshl_u32 v72, v68, v158, 2
	v_and_b32_e32 v69, v69, v74
	s_delay_alu instid0(VALU_DEP_4) | instskip(SKIP_3) | instid1(VALU_DEP_2)
	v_xor_b32_e32 v68, s17, v71
	ds_load_b32 v200, v72 offset:1056
	v_and_b32_e32 v69, v69, v70
	v_add_nc_u32_e32 v202, 0x420, v72
	; wave barrier
	v_and_b32_e32 v68, v69, v68
	s_delay_alu instid0(VALU_DEP_1) | instskip(SKIP_1) | instid1(VALU_DEP_2)
	v_mbcnt_lo_u32_b32 v201, v68, 0
	v_cmp_ne_u32_e64 s17, 0, v68
	v_cmp_eq_u32_e32 vcc_lo, 0, v201
	s_delay_alu instid0(VALU_DEP_2) | instskip(NEXT) | instid1(SALU_CYCLE_1)
	s_and_b32 s18, s17, vcc_lo
	s_and_saveexec_b32 s17, s18
	s_cbranch_execz .LBB741_1044
; %bb.1043:                             ;   in Loop: Header=BB741_990 Depth=2
	s_waitcnt lgkmcnt(0)
	v_bcnt_u32_b32 v68, v68, v200
	ds_store_b32 v202, v68
.LBB741_1044:                           ;   in Loop: Header=BB741_990 Depth=2
	s_or_b32 exec_lo, exec_lo, s17
	v_xor_b32_e32 v61, 0x7fffffff, v61
	v_not_b32_e32 v60, v60
	; wave barrier
	s_delay_alu instid0(VALU_DEP_1) | instskip(NEXT) | instid1(VALU_DEP_1)
	v_lshrrev_b64 v[68:69], s40, v[60:61]
	v_and_b32_e32 v68, s42, v68
	s_delay_alu instid0(VALU_DEP_1)
	v_and_b32_e32 v69, 1, v68
	v_lshlrev_b32_e32 v70, 30, v68
	v_lshlrev_b32_e32 v71, 29, v68
	;; [unrolled: 1-line block ×4, first 2 shown]
	v_add_co_u32 v69, s17, v69, -1
	s_delay_alu instid0(VALU_DEP_1)
	v_cndmask_b32_e64 v73, 0, 1, s17
	v_not_b32_e32 v204, v70
	v_cmp_gt_i32_e64 s17, 0, v70
	v_not_b32_e32 v70, v71
	v_lshlrev_b32_e32 v75, 26, v68
	v_cmp_ne_u32_e32 vcc_lo, 0, v73
	v_ashrrev_i32_e32 v204, 31, v204
	v_lshlrev_b32_e32 v203, 25, v68
	v_ashrrev_i32_e32 v70, 31, v70
	v_lshlrev_b32_e32 v73, 24, v68
	v_xor_b32_e32 v69, vcc_lo, v69
	v_cmp_gt_i32_e32 vcc_lo, 0, v71
	v_not_b32_e32 v71, v72
	v_xor_b32_e32 v204, s17, v204
	v_cmp_gt_i32_e64 s17, 0, v72
	v_and_b32_e32 v69, exec_lo, v69
	v_not_b32_e32 v72, v74
	v_ashrrev_i32_e32 v71, 31, v71
	v_xor_b32_e32 v70, vcc_lo, v70
	v_cmp_gt_i32_e32 vcc_lo, 0, v74
	v_and_b32_e32 v69, v69, v204
	v_not_b32_e32 v74, v75
	v_ashrrev_i32_e32 v72, 31, v72
	v_xor_b32_e32 v71, s17, v71
	v_cmp_gt_i32_e64 s17, 0, v75
	v_and_b32_e32 v69, v69, v70
	v_not_b32_e32 v70, v203
	v_ashrrev_i32_e32 v74, 31, v74
	v_xor_b32_e32 v72, vcc_lo, v72
	v_cmp_gt_i32_e32 vcc_lo, 0, v203
	v_and_b32_e32 v69, v69, v71
	v_not_b32_e32 v71, v73
	v_ashrrev_i32_e32 v70, 31, v70
	v_xor_b32_e32 v74, s17, v74
	v_mul_u32_u24_e32 v68, 9, v68
	v_and_b32_e32 v69, v69, v72
	v_cmp_gt_i32_e64 s17, 0, v73
	v_ashrrev_i32_e32 v71, 31, v71
	v_xor_b32_e32 v70, vcc_lo, v70
	v_add_lshl_u32 v72, v68, v158, 2
	v_and_b32_e32 v69, v69, v74
	s_delay_alu instid0(VALU_DEP_4) | instskip(SKIP_3) | instid1(VALU_DEP_2)
	v_xor_b32_e32 v68, s17, v71
	ds_load_b32 v203, v72 offset:1056
	v_and_b32_e32 v69, v69, v70
	v_add_nc_u32_e32 v205, 0x420, v72
	; wave barrier
	v_and_b32_e32 v68, v69, v68
	s_delay_alu instid0(VALU_DEP_1) | instskip(SKIP_1) | instid1(VALU_DEP_2)
	v_mbcnt_lo_u32_b32 v204, v68, 0
	v_cmp_ne_u32_e64 s17, 0, v68
	v_cmp_eq_u32_e32 vcc_lo, 0, v204
	s_delay_alu instid0(VALU_DEP_2) | instskip(NEXT) | instid1(SALU_CYCLE_1)
	s_and_b32 s18, s17, vcc_lo
	s_and_saveexec_b32 s17, s18
	s_cbranch_execz .LBB741_1046
; %bb.1045:                             ;   in Loop: Header=BB741_990 Depth=2
	s_waitcnt lgkmcnt(0)
	v_bcnt_u32_b32 v68, v68, v203
	ds_store_b32 v205, v68
.LBB741_1046:                           ;   in Loop: Header=BB741_990 Depth=2
	s_or_b32 exec_lo, exec_lo, s17
	v_xor_b32_e32 v57, 0x7fffffff, v57
	v_not_b32_e32 v56, v56
	; wave barrier
	s_delay_alu instid0(VALU_DEP_1) | instskip(NEXT) | instid1(VALU_DEP_1)
	v_lshrrev_b64 v[68:69], s40, v[56:57]
	v_and_b32_e32 v68, s42, v68
	s_delay_alu instid0(VALU_DEP_1)
	v_and_b32_e32 v69, 1, v68
	v_lshlrev_b32_e32 v70, 30, v68
	v_lshlrev_b32_e32 v71, 29, v68
	;; [unrolled: 1-line block ×4, first 2 shown]
	v_add_co_u32 v69, s17, v69, -1
	s_delay_alu instid0(VALU_DEP_1)
	v_cndmask_b32_e64 v73, 0, 1, s17
	v_not_b32_e32 v207, v70
	v_cmp_gt_i32_e64 s17, 0, v70
	v_not_b32_e32 v70, v71
	v_lshlrev_b32_e32 v75, 26, v68
	v_cmp_ne_u32_e32 vcc_lo, 0, v73
	v_ashrrev_i32_e32 v207, 31, v207
	v_lshlrev_b32_e32 v206, 25, v68
	v_ashrrev_i32_e32 v70, 31, v70
	v_lshlrev_b32_e32 v73, 24, v68
	v_xor_b32_e32 v69, vcc_lo, v69
	v_cmp_gt_i32_e32 vcc_lo, 0, v71
	v_not_b32_e32 v71, v72
	v_xor_b32_e32 v207, s17, v207
	v_cmp_gt_i32_e64 s17, 0, v72
	v_and_b32_e32 v69, exec_lo, v69
	v_not_b32_e32 v72, v74
	v_ashrrev_i32_e32 v71, 31, v71
	v_xor_b32_e32 v70, vcc_lo, v70
	v_cmp_gt_i32_e32 vcc_lo, 0, v74
	v_and_b32_e32 v69, v69, v207
	v_not_b32_e32 v74, v75
	v_ashrrev_i32_e32 v72, 31, v72
	v_xor_b32_e32 v71, s17, v71
	v_cmp_gt_i32_e64 s17, 0, v75
	v_and_b32_e32 v69, v69, v70
	v_not_b32_e32 v70, v206
	v_ashrrev_i32_e32 v74, 31, v74
	v_xor_b32_e32 v72, vcc_lo, v72
	v_cmp_gt_i32_e32 vcc_lo, 0, v206
	v_and_b32_e32 v69, v69, v71
	v_not_b32_e32 v71, v73
	v_ashrrev_i32_e32 v70, 31, v70
	v_xor_b32_e32 v74, s17, v74
	v_mul_u32_u24_e32 v68, 9, v68
	v_and_b32_e32 v69, v69, v72
	v_cmp_gt_i32_e64 s17, 0, v73
	v_ashrrev_i32_e32 v71, 31, v71
	v_xor_b32_e32 v70, vcc_lo, v70
	v_add_lshl_u32 v72, v68, v158, 2
	v_and_b32_e32 v69, v69, v74
	s_delay_alu instid0(VALU_DEP_4) | instskip(SKIP_3) | instid1(VALU_DEP_2)
	v_xor_b32_e32 v68, s17, v71
	ds_load_b32 v206, v72 offset:1056
	v_and_b32_e32 v69, v69, v70
	v_add_nc_u32_e32 v208, 0x420, v72
	; wave barrier
	v_and_b32_e32 v68, v69, v68
	s_delay_alu instid0(VALU_DEP_1) | instskip(SKIP_1) | instid1(VALU_DEP_2)
	v_mbcnt_lo_u32_b32 v207, v68, 0
	v_cmp_ne_u32_e64 s17, 0, v68
	v_cmp_eq_u32_e32 vcc_lo, 0, v207
	s_delay_alu instid0(VALU_DEP_2) | instskip(NEXT) | instid1(SALU_CYCLE_1)
	s_and_b32 s18, s17, vcc_lo
	s_and_saveexec_b32 s17, s18
	s_cbranch_execz .LBB741_1048
; %bb.1047:                             ;   in Loop: Header=BB741_990 Depth=2
	s_waitcnt lgkmcnt(0)
	v_bcnt_u32_b32 v68, v68, v206
	ds_store_b32 v208, v68
.LBB741_1048:                           ;   in Loop: Header=BB741_990 Depth=2
	s_or_b32 exec_lo, exec_lo, s17
	v_xor_b32_e32 v53, 0x7fffffff, v53
	v_not_b32_e32 v52, v52
	; wave barrier
	s_delay_alu instid0(VALU_DEP_1) | instskip(NEXT) | instid1(VALU_DEP_1)
	v_lshrrev_b64 v[68:69], s40, v[52:53]
	v_and_b32_e32 v68, s42, v68
	s_delay_alu instid0(VALU_DEP_1)
	v_and_b32_e32 v69, 1, v68
	v_lshlrev_b32_e32 v70, 30, v68
	v_lshlrev_b32_e32 v71, 29, v68
	;; [unrolled: 1-line block ×4, first 2 shown]
	v_add_co_u32 v69, s17, v69, -1
	s_delay_alu instid0(VALU_DEP_1)
	v_cndmask_b32_e64 v73, 0, 1, s17
	v_not_b32_e32 v210, v70
	v_cmp_gt_i32_e64 s17, 0, v70
	v_not_b32_e32 v70, v71
	v_lshlrev_b32_e32 v75, 26, v68
	v_cmp_ne_u32_e32 vcc_lo, 0, v73
	v_ashrrev_i32_e32 v210, 31, v210
	v_lshlrev_b32_e32 v209, 25, v68
	v_ashrrev_i32_e32 v70, 31, v70
	v_lshlrev_b32_e32 v73, 24, v68
	v_xor_b32_e32 v69, vcc_lo, v69
	v_cmp_gt_i32_e32 vcc_lo, 0, v71
	v_not_b32_e32 v71, v72
	v_xor_b32_e32 v210, s17, v210
	v_cmp_gt_i32_e64 s17, 0, v72
	v_and_b32_e32 v69, exec_lo, v69
	v_not_b32_e32 v72, v74
	v_ashrrev_i32_e32 v71, 31, v71
	v_xor_b32_e32 v70, vcc_lo, v70
	v_cmp_gt_i32_e32 vcc_lo, 0, v74
	v_and_b32_e32 v69, v69, v210
	v_not_b32_e32 v74, v75
	v_ashrrev_i32_e32 v72, 31, v72
	v_xor_b32_e32 v71, s17, v71
	v_cmp_gt_i32_e64 s17, 0, v75
	v_and_b32_e32 v69, v69, v70
	v_not_b32_e32 v70, v209
	v_ashrrev_i32_e32 v74, 31, v74
	v_xor_b32_e32 v72, vcc_lo, v72
	v_cmp_gt_i32_e32 vcc_lo, 0, v209
	v_and_b32_e32 v69, v69, v71
	v_not_b32_e32 v71, v73
	v_ashrrev_i32_e32 v70, 31, v70
	v_xor_b32_e32 v74, s17, v74
	v_mul_u32_u24_e32 v68, 9, v68
	v_and_b32_e32 v69, v69, v72
	v_cmp_gt_i32_e64 s17, 0, v73
	v_ashrrev_i32_e32 v71, 31, v71
	v_xor_b32_e32 v70, vcc_lo, v70
	v_add_lshl_u32 v72, v68, v158, 2
	v_and_b32_e32 v69, v69, v74
	s_delay_alu instid0(VALU_DEP_4) | instskip(SKIP_3) | instid1(VALU_DEP_2)
	v_xor_b32_e32 v68, s17, v71
	ds_load_b32 v209, v72 offset:1056
	v_and_b32_e32 v69, v69, v70
	v_add_nc_u32_e32 v211, 0x420, v72
	; wave barrier
	v_and_b32_e32 v68, v69, v68
	s_delay_alu instid0(VALU_DEP_1) | instskip(SKIP_1) | instid1(VALU_DEP_2)
	v_mbcnt_lo_u32_b32 v210, v68, 0
	v_cmp_ne_u32_e64 s17, 0, v68
	v_cmp_eq_u32_e32 vcc_lo, 0, v210
	s_delay_alu instid0(VALU_DEP_2) | instskip(NEXT) | instid1(SALU_CYCLE_1)
	s_and_b32 s18, s17, vcc_lo
	s_and_saveexec_b32 s17, s18
	s_cbranch_execz .LBB741_1050
; %bb.1049:                             ;   in Loop: Header=BB741_990 Depth=2
	s_waitcnt lgkmcnt(0)
	v_bcnt_u32_b32 v68, v68, v209
	ds_store_b32 v211, v68
.LBB741_1050:                           ;   in Loop: Header=BB741_990 Depth=2
	s_or_b32 exec_lo, exec_lo, s17
	v_xor_b32_e32 v51, 0x7fffffff, v51
	v_not_b32_e32 v50, v50
	; wave barrier
	s_delay_alu instid0(VALU_DEP_1) | instskip(NEXT) | instid1(VALU_DEP_1)
	v_lshrrev_b64 v[68:69], s40, v[50:51]
	v_and_b32_e32 v68, s42, v68
	s_delay_alu instid0(VALU_DEP_1)
	v_and_b32_e32 v69, 1, v68
	v_lshlrev_b32_e32 v70, 30, v68
	v_lshlrev_b32_e32 v71, 29, v68
	;; [unrolled: 1-line block ×4, first 2 shown]
	v_add_co_u32 v69, s17, v69, -1
	s_delay_alu instid0(VALU_DEP_1)
	v_cndmask_b32_e64 v73, 0, 1, s17
	v_not_b32_e32 v213, v70
	v_cmp_gt_i32_e64 s17, 0, v70
	v_not_b32_e32 v70, v71
	v_lshlrev_b32_e32 v75, 26, v68
	v_cmp_ne_u32_e32 vcc_lo, 0, v73
	v_ashrrev_i32_e32 v213, 31, v213
	v_lshlrev_b32_e32 v212, 25, v68
	v_ashrrev_i32_e32 v70, 31, v70
	v_lshlrev_b32_e32 v73, 24, v68
	v_xor_b32_e32 v69, vcc_lo, v69
	v_cmp_gt_i32_e32 vcc_lo, 0, v71
	v_not_b32_e32 v71, v72
	v_xor_b32_e32 v213, s17, v213
	v_cmp_gt_i32_e64 s17, 0, v72
	v_and_b32_e32 v69, exec_lo, v69
	v_not_b32_e32 v72, v74
	v_ashrrev_i32_e32 v71, 31, v71
	v_xor_b32_e32 v70, vcc_lo, v70
	v_cmp_gt_i32_e32 vcc_lo, 0, v74
	v_and_b32_e32 v69, v69, v213
	v_not_b32_e32 v74, v75
	v_ashrrev_i32_e32 v72, 31, v72
	v_xor_b32_e32 v71, s17, v71
	v_cmp_gt_i32_e64 s17, 0, v75
	v_and_b32_e32 v69, v69, v70
	v_not_b32_e32 v70, v212
	v_ashrrev_i32_e32 v74, 31, v74
	v_xor_b32_e32 v72, vcc_lo, v72
	v_cmp_gt_i32_e32 vcc_lo, 0, v212
	v_and_b32_e32 v69, v69, v71
	v_not_b32_e32 v71, v73
	v_ashrrev_i32_e32 v70, 31, v70
	v_xor_b32_e32 v74, s17, v74
	v_mul_u32_u24_e32 v68, 9, v68
	v_and_b32_e32 v69, v69, v72
	v_cmp_gt_i32_e64 s17, 0, v73
	v_ashrrev_i32_e32 v71, 31, v71
	v_xor_b32_e32 v70, vcc_lo, v70
	v_add_lshl_u32 v72, v68, v158, 2
	v_and_b32_e32 v69, v69, v74
	s_delay_alu instid0(VALU_DEP_4) | instskip(SKIP_3) | instid1(VALU_DEP_2)
	v_xor_b32_e32 v68, s17, v71
	ds_load_b32 v212, v72 offset:1056
	v_and_b32_e32 v69, v69, v70
	v_add_nc_u32_e32 v214, 0x420, v72
	; wave barrier
	v_and_b32_e32 v68, v69, v68
	s_delay_alu instid0(VALU_DEP_1) | instskip(SKIP_1) | instid1(VALU_DEP_2)
	v_mbcnt_lo_u32_b32 v213, v68, 0
	v_cmp_ne_u32_e64 s17, 0, v68
	v_cmp_eq_u32_e32 vcc_lo, 0, v213
	s_delay_alu instid0(VALU_DEP_2) | instskip(NEXT) | instid1(SALU_CYCLE_1)
	s_and_b32 s18, s17, vcc_lo
	s_and_saveexec_b32 s17, s18
	s_cbranch_execz .LBB741_1052
; %bb.1051:                             ;   in Loop: Header=BB741_990 Depth=2
	s_waitcnt lgkmcnt(0)
	v_bcnt_u32_b32 v68, v68, v212
	ds_store_b32 v214, v68
.LBB741_1052:                           ;   in Loop: Header=BB741_990 Depth=2
	s_or_b32 exec_lo, exec_lo, s17
	v_xor_b32_e32 v47, 0x7fffffff, v47
	v_not_b32_e32 v46, v46
	; wave barrier
	s_delay_alu instid0(VALU_DEP_1) | instskip(NEXT) | instid1(VALU_DEP_1)
	v_lshrrev_b64 v[68:69], s40, v[46:47]
	v_and_b32_e32 v68, s42, v68
	s_delay_alu instid0(VALU_DEP_1)
	v_and_b32_e32 v69, 1, v68
	v_lshlrev_b32_e32 v70, 30, v68
	v_lshlrev_b32_e32 v71, 29, v68
	;; [unrolled: 1-line block ×4, first 2 shown]
	v_add_co_u32 v69, s17, v69, -1
	s_delay_alu instid0(VALU_DEP_1)
	v_cndmask_b32_e64 v73, 0, 1, s17
	v_not_b32_e32 v216, v70
	v_cmp_gt_i32_e64 s17, 0, v70
	v_not_b32_e32 v70, v71
	v_lshlrev_b32_e32 v75, 26, v68
	v_cmp_ne_u32_e32 vcc_lo, 0, v73
	v_ashrrev_i32_e32 v216, 31, v216
	v_lshlrev_b32_e32 v215, 25, v68
	v_ashrrev_i32_e32 v70, 31, v70
	v_lshlrev_b32_e32 v73, 24, v68
	v_xor_b32_e32 v69, vcc_lo, v69
	v_cmp_gt_i32_e32 vcc_lo, 0, v71
	v_not_b32_e32 v71, v72
	v_xor_b32_e32 v216, s17, v216
	v_cmp_gt_i32_e64 s17, 0, v72
	v_and_b32_e32 v69, exec_lo, v69
	v_not_b32_e32 v72, v74
	v_ashrrev_i32_e32 v71, 31, v71
	v_xor_b32_e32 v70, vcc_lo, v70
	v_cmp_gt_i32_e32 vcc_lo, 0, v74
	v_and_b32_e32 v69, v69, v216
	v_not_b32_e32 v74, v75
	v_ashrrev_i32_e32 v72, 31, v72
	v_xor_b32_e32 v71, s17, v71
	v_cmp_gt_i32_e64 s17, 0, v75
	v_and_b32_e32 v69, v69, v70
	v_not_b32_e32 v70, v215
	v_ashrrev_i32_e32 v74, 31, v74
	v_xor_b32_e32 v72, vcc_lo, v72
	v_cmp_gt_i32_e32 vcc_lo, 0, v215
	v_and_b32_e32 v69, v69, v71
	v_not_b32_e32 v71, v73
	v_ashrrev_i32_e32 v70, 31, v70
	v_xor_b32_e32 v74, s17, v74
	v_mul_u32_u24_e32 v68, 9, v68
	v_and_b32_e32 v69, v69, v72
	v_cmp_gt_i32_e64 s17, 0, v73
	v_ashrrev_i32_e32 v71, 31, v71
	v_xor_b32_e32 v70, vcc_lo, v70
	v_add_lshl_u32 v72, v68, v158, 2
	v_and_b32_e32 v69, v69, v74
	s_delay_alu instid0(VALU_DEP_4) | instskip(SKIP_3) | instid1(VALU_DEP_2)
	v_xor_b32_e32 v68, s17, v71
	ds_load_b32 v215, v72 offset:1056
	v_and_b32_e32 v69, v69, v70
	v_add_nc_u32_e32 v217, 0x420, v72
	; wave barrier
	v_and_b32_e32 v68, v69, v68
	s_delay_alu instid0(VALU_DEP_1) | instskip(SKIP_1) | instid1(VALU_DEP_2)
	v_mbcnt_lo_u32_b32 v216, v68, 0
	v_cmp_ne_u32_e64 s17, 0, v68
	v_cmp_eq_u32_e32 vcc_lo, 0, v216
	s_delay_alu instid0(VALU_DEP_2) | instskip(NEXT) | instid1(SALU_CYCLE_1)
	s_and_b32 s18, s17, vcc_lo
	s_and_saveexec_b32 s17, s18
	s_cbranch_execz .LBB741_1054
; %bb.1053:                             ;   in Loop: Header=BB741_990 Depth=2
	s_waitcnt lgkmcnt(0)
	v_bcnt_u32_b32 v68, v68, v215
	ds_store_b32 v217, v68
.LBB741_1054:                           ;   in Loop: Header=BB741_990 Depth=2
	s_or_b32 exec_lo, exec_lo, s17
	v_xor_b32_e32 v41, 0x7fffffff, v41
	v_not_b32_e32 v40, v40
	; wave barrier
	s_delay_alu instid0(VALU_DEP_1) | instskip(NEXT) | instid1(VALU_DEP_1)
	v_lshrrev_b64 v[68:69], s40, v[40:41]
	v_and_b32_e32 v68, s42, v68
	s_delay_alu instid0(VALU_DEP_1)
	v_and_b32_e32 v69, 1, v68
	v_lshlrev_b32_e32 v70, 30, v68
	v_lshlrev_b32_e32 v71, 29, v68
	;; [unrolled: 1-line block ×4, first 2 shown]
	v_add_co_u32 v69, s17, v69, -1
	s_delay_alu instid0(VALU_DEP_1)
	v_cndmask_b32_e64 v73, 0, 1, s17
	v_not_b32_e32 v219, v70
	v_cmp_gt_i32_e64 s17, 0, v70
	v_not_b32_e32 v70, v71
	v_lshlrev_b32_e32 v75, 26, v68
	v_cmp_ne_u32_e32 vcc_lo, 0, v73
	v_ashrrev_i32_e32 v219, 31, v219
	v_lshlrev_b32_e32 v218, 25, v68
	v_ashrrev_i32_e32 v70, 31, v70
	v_lshlrev_b32_e32 v73, 24, v68
	v_xor_b32_e32 v69, vcc_lo, v69
	v_cmp_gt_i32_e32 vcc_lo, 0, v71
	v_not_b32_e32 v71, v72
	v_xor_b32_e32 v219, s17, v219
	v_cmp_gt_i32_e64 s17, 0, v72
	v_and_b32_e32 v69, exec_lo, v69
	v_not_b32_e32 v72, v74
	v_ashrrev_i32_e32 v71, 31, v71
	v_xor_b32_e32 v70, vcc_lo, v70
	v_cmp_gt_i32_e32 vcc_lo, 0, v74
	v_and_b32_e32 v69, v69, v219
	v_not_b32_e32 v74, v75
	v_ashrrev_i32_e32 v72, 31, v72
	v_xor_b32_e32 v71, s17, v71
	v_cmp_gt_i32_e64 s17, 0, v75
	v_and_b32_e32 v69, v69, v70
	v_not_b32_e32 v70, v218
	v_ashrrev_i32_e32 v74, 31, v74
	v_xor_b32_e32 v72, vcc_lo, v72
	v_cmp_gt_i32_e32 vcc_lo, 0, v218
	v_and_b32_e32 v69, v69, v71
	v_not_b32_e32 v71, v73
	v_ashrrev_i32_e32 v70, 31, v70
	v_xor_b32_e32 v74, s17, v74
	v_mul_u32_u24_e32 v68, 9, v68
	v_and_b32_e32 v69, v69, v72
	v_cmp_gt_i32_e64 s17, 0, v73
	v_ashrrev_i32_e32 v71, 31, v71
	v_xor_b32_e32 v70, vcc_lo, v70
	v_add_lshl_u32 v72, v68, v158, 2
	v_and_b32_e32 v69, v69, v74
	s_delay_alu instid0(VALU_DEP_4) | instskip(SKIP_3) | instid1(VALU_DEP_2)
	v_xor_b32_e32 v68, s17, v71
	ds_load_b32 v218, v72 offset:1056
	v_and_b32_e32 v69, v69, v70
	v_add_nc_u32_e32 v220, 0x420, v72
	; wave barrier
	v_and_b32_e32 v68, v69, v68
	s_delay_alu instid0(VALU_DEP_1) | instskip(SKIP_1) | instid1(VALU_DEP_2)
	v_mbcnt_lo_u32_b32 v219, v68, 0
	v_cmp_ne_u32_e64 s17, 0, v68
	v_cmp_eq_u32_e32 vcc_lo, 0, v219
	s_delay_alu instid0(VALU_DEP_2) | instskip(NEXT) | instid1(SALU_CYCLE_1)
	s_and_b32 s18, s17, vcc_lo
	s_and_saveexec_b32 s17, s18
	s_cbranch_execz .LBB741_1056
; %bb.1055:                             ;   in Loop: Header=BB741_990 Depth=2
	s_waitcnt lgkmcnt(0)
	v_bcnt_u32_b32 v68, v68, v218
	ds_store_b32 v220, v68
.LBB741_1056:                           ;   in Loop: Header=BB741_990 Depth=2
	s_or_b32 exec_lo, exec_lo, s17
	v_xor_b32_e32 v43, 0x7fffffff, v43
	v_not_b32_e32 v42, v42
	; wave barrier
	s_delay_alu instid0(VALU_DEP_1) | instskip(NEXT) | instid1(VALU_DEP_1)
	v_lshrrev_b64 v[68:69], s40, v[42:43]
	v_and_b32_e32 v68, s42, v68
	s_delay_alu instid0(VALU_DEP_1)
	v_and_b32_e32 v69, 1, v68
	v_lshlrev_b32_e32 v70, 30, v68
	v_lshlrev_b32_e32 v71, 29, v68
	;; [unrolled: 1-line block ×4, first 2 shown]
	v_add_co_u32 v69, s17, v69, -1
	s_delay_alu instid0(VALU_DEP_1)
	v_cndmask_b32_e64 v73, 0, 1, s17
	v_not_b32_e32 v222, v70
	v_cmp_gt_i32_e64 s17, 0, v70
	v_not_b32_e32 v70, v71
	v_lshlrev_b32_e32 v75, 26, v68
	v_cmp_ne_u32_e32 vcc_lo, 0, v73
	v_ashrrev_i32_e32 v222, 31, v222
	v_lshlrev_b32_e32 v221, 25, v68
	v_ashrrev_i32_e32 v70, 31, v70
	v_lshlrev_b32_e32 v73, 24, v68
	v_xor_b32_e32 v69, vcc_lo, v69
	v_cmp_gt_i32_e32 vcc_lo, 0, v71
	v_not_b32_e32 v71, v72
	v_xor_b32_e32 v222, s17, v222
	v_cmp_gt_i32_e64 s17, 0, v72
	v_and_b32_e32 v69, exec_lo, v69
	v_not_b32_e32 v72, v74
	v_ashrrev_i32_e32 v71, 31, v71
	v_xor_b32_e32 v70, vcc_lo, v70
	v_cmp_gt_i32_e32 vcc_lo, 0, v74
	v_and_b32_e32 v69, v69, v222
	v_not_b32_e32 v74, v75
	v_ashrrev_i32_e32 v72, 31, v72
	v_xor_b32_e32 v71, s17, v71
	v_cmp_gt_i32_e64 s17, 0, v75
	v_and_b32_e32 v69, v69, v70
	v_not_b32_e32 v70, v221
	v_ashrrev_i32_e32 v74, 31, v74
	v_xor_b32_e32 v72, vcc_lo, v72
	v_cmp_gt_i32_e32 vcc_lo, 0, v221
	v_and_b32_e32 v69, v69, v71
	v_not_b32_e32 v71, v73
	v_ashrrev_i32_e32 v70, 31, v70
	v_xor_b32_e32 v74, s17, v74
	v_mul_u32_u24_e32 v68, 9, v68
	v_and_b32_e32 v69, v69, v72
	v_cmp_gt_i32_e64 s17, 0, v73
	v_ashrrev_i32_e32 v71, 31, v71
	v_xor_b32_e32 v70, vcc_lo, v70
	v_add_lshl_u32 v72, v68, v158, 2
	v_and_b32_e32 v69, v69, v74
	s_delay_alu instid0(VALU_DEP_4) | instskip(SKIP_3) | instid1(VALU_DEP_2)
	v_xor_b32_e32 v68, s17, v71
	ds_load_b32 v221, v72 offset:1056
	v_and_b32_e32 v69, v69, v70
	v_add_nc_u32_e32 v223, 0x420, v72
	; wave barrier
	v_and_b32_e32 v68, v69, v68
	s_delay_alu instid0(VALU_DEP_1) | instskip(SKIP_1) | instid1(VALU_DEP_2)
	v_mbcnt_lo_u32_b32 v222, v68, 0
	v_cmp_ne_u32_e64 s17, 0, v68
	v_cmp_eq_u32_e32 vcc_lo, 0, v222
	s_delay_alu instid0(VALU_DEP_2) | instskip(NEXT) | instid1(SALU_CYCLE_1)
	s_and_b32 s18, s17, vcc_lo
	s_and_saveexec_b32 s17, s18
	s_cbranch_execz .LBB741_1058
; %bb.1057:                             ;   in Loop: Header=BB741_990 Depth=2
	s_waitcnt lgkmcnt(0)
	v_bcnt_u32_b32 v68, v68, v221
	ds_store_b32 v223, v68
.LBB741_1058:                           ;   in Loop: Header=BB741_990 Depth=2
	s_or_b32 exec_lo, exec_lo, s17
	; wave barrier
	s_waitcnt lgkmcnt(0)
	s_barrier
	buffer_gl0_inv
	ds_load_b32 v224, v102 offset:1056
	ds_load_2addr_b32 v[74:75], v103 offset0:1 offset1:2
	ds_load_2addr_b32 v[72:73], v103 offset0:3 offset1:4
	ds_load_2addr_b32 v[68:69], v103 offset0:5 offset1:6
	ds_load_2addr_b32 v[70:71], v103 offset0:7 offset1:8
	s_waitcnt lgkmcnt(3)
	v_add3_u32 v225, v74, v224, v75
	s_waitcnt lgkmcnt(2)
	s_delay_alu instid0(VALU_DEP_1) | instskip(SKIP_1) | instid1(VALU_DEP_1)
	v_add3_u32 v225, v225, v72, v73
	s_waitcnt lgkmcnt(1)
	v_add3_u32 v225, v225, v68, v69
	s_waitcnt lgkmcnt(0)
	s_delay_alu instid0(VALU_DEP_1) | instskip(NEXT) | instid1(VALU_DEP_1)
	v_add3_u32 v71, v225, v70, v71
	v_mov_b32_dpp v225, v71 row_shr:1 row_mask:0xf bank_mask:0xf
	s_delay_alu instid0(VALU_DEP_1) | instskip(NEXT) | instid1(VALU_DEP_1)
	v_cndmask_b32_e64 v225, v225, 0, s1
	v_add_nc_u32_e32 v71, v225, v71
	s_delay_alu instid0(VALU_DEP_1) | instskip(NEXT) | instid1(VALU_DEP_1)
	v_mov_b32_dpp v225, v71 row_shr:2 row_mask:0xf bank_mask:0xf
	v_cndmask_b32_e64 v225, 0, v225, s7
	s_delay_alu instid0(VALU_DEP_1) | instskip(NEXT) | instid1(VALU_DEP_1)
	v_add_nc_u32_e32 v71, v71, v225
	v_mov_b32_dpp v225, v71 row_shr:4 row_mask:0xf bank_mask:0xf
	s_delay_alu instid0(VALU_DEP_1) | instskip(NEXT) | instid1(VALU_DEP_1)
	v_cndmask_b32_e64 v225, 0, v225, s8
	v_add_nc_u32_e32 v71, v71, v225
	s_delay_alu instid0(VALU_DEP_1) | instskip(NEXT) | instid1(VALU_DEP_1)
	v_mov_b32_dpp v225, v71 row_shr:8 row_mask:0xf bank_mask:0xf
	v_cndmask_b32_e64 v225, 0, v225, s9
	s_delay_alu instid0(VALU_DEP_1) | instskip(SKIP_3) | instid1(VALU_DEP_1)
	v_add_nc_u32_e32 v71, v71, v225
	ds_swizzle_b32 v225, v71 offset:swizzle(BROADCAST,32,15)
	s_waitcnt lgkmcnt(0)
	v_cndmask_b32_e64 v225, v225, 0, s10
	v_add_nc_u32_e32 v71, v71, v225
	s_and_saveexec_b32 s17, s3
	s_cbranch_execz .LBB741_1060
; %bb.1059:                             ;   in Loop: Header=BB741_990 Depth=2
	ds_store_b32 v94, v71 offset:1024
.LBB741_1060:                           ;   in Loop: Header=BB741_990 Depth=2
	s_or_b32 exec_lo, exec_lo, s17
	s_waitcnt lgkmcnt(0)
	s_barrier
	buffer_gl0_inv
	s_and_saveexec_b32 s17, s4
	s_cbranch_execz .LBB741_1062
; %bb.1061:                             ;   in Loop: Header=BB741_990 Depth=2
	ds_load_b32 v225, v104 offset:1024
	s_waitcnt lgkmcnt(0)
	v_mov_b32_dpp v226, v225 row_shr:1 row_mask:0xf bank_mask:0xf
	s_delay_alu instid0(VALU_DEP_1) | instskip(NEXT) | instid1(VALU_DEP_1)
	v_cndmask_b32_e64 v226, v226, 0, s12
	v_add_nc_u32_e32 v225, v226, v225
	s_delay_alu instid0(VALU_DEP_1) | instskip(NEXT) | instid1(VALU_DEP_1)
	v_mov_b32_dpp v226, v225 row_shr:2 row_mask:0xf bank_mask:0xf
	v_cndmask_b32_e64 v226, 0, v226, s13
	s_delay_alu instid0(VALU_DEP_1) | instskip(NEXT) | instid1(VALU_DEP_1)
	v_add_nc_u32_e32 v225, v225, v226
	v_mov_b32_dpp v226, v225 row_shr:4 row_mask:0xf bank_mask:0xf
	s_delay_alu instid0(VALU_DEP_1) | instskip(NEXT) | instid1(VALU_DEP_1)
	v_cndmask_b32_e64 v226, 0, v226, s16
	v_add_nc_u32_e32 v225, v225, v226
	ds_store_b32 v104, v225 offset:1024
.LBB741_1062:                           ;   in Loop: Header=BB741_990 Depth=2
	s_or_b32 exec_lo, exec_lo, s17
	v_mov_b32_e32 v225, 0
	s_waitcnt lgkmcnt(0)
	s_barrier
	buffer_gl0_inv
	s_and_saveexec_b32 s17, s5
	s_cbranch_execz .LBB741_1064
; %bb.1063:                             ;   in Loop: Header=BB741_990 Depth=2
	ds_load_b32 v225, v94 offset:1020
.LBB741_1064:                           ;   in Loop: Header=BB741_990 Depth=2
	s_or_b32 exec_lo, exec_lo, s17
	s_waitcnt lgkmcnt(0)
	v_add_nc_u32_e32 v71, v225, v71
	ds_bpermute_b32 v71, v137, v71
	s_waitcnt lgkmcnt(0)
	v_cndmask_b32_e64 v71, v71, v225, s11
	s_delay_alu instid0(VALU_DEP_1) | instskip(NEXT) | instid1(VALU_DEP_1)
	v_cndmask_b32_e64 v71, v71, 0, s0
	v_add_nc_u32_e32 v224, v71, v224
	s_delay_alu instid0(VALU_DEP_1) | instskip(NEXT) | instid1(VALU_DEP_1)
	v_add_nc_u32_e32 v74, v224, v74
	v_add_nc_u32_e32 v75, v74, v75
	s_delay_alu instid0(VALU_DEP_1) | instskip(NEXT) | instid1(VALU_DEP_1)
	v_add_nc_u32_e32 v72, v75, v72
	;; [unrolled: 3-line block ×3, first 2 shown]
	v_add_nc_u32_e32 v69, v68, v69
	s_delay_alu instid0(VALU_DEP_1)
	v_add_nc_u32_e32 v70, v69, v70
	ds_store_b32 v102, v71 offset:1056
	ds_store_2addr_b32 v103, v224, v74 offset0:1 offset1:2
	ds_store_2addr_b32 v103, v75, v72 offset0:3 offset1:4
	;; [unrolled: 1-line block ×4, first 2 shown]
	v_mov_b32_e32 v68, 0x1000
	s_waitcnt lgkmcnt(0)
	s_barrier
	buffer_gl0_inv
	ds_load_b32 v70, v181
	ds_load_b32 v71, v184
	;; [unrolled: 1-line block ×16, first 2 shown]
	ds_load_b32 v178, v102 offset:1056
	s_and_saveexec_b32 s17, s6
	s_cbranch_execz .LBB741_1066
; %bb.1065:                             ;   in Loop: Header=BB741_990 Depth=2
	ds_load_b32 v68, v105 offset:1056
.LBB741_1066:                           ;   in Loop: Header=BB741_990 Depth=2
	s_or_b32 exec_lo, exec_lo, s17
	s_waitcnt lgkmcnt(0)
	s_barrier
	buffer_gl0_inv
	s_and_saveexec_b32 s17, s2
	s_cbranch_execz .LBB741_1068
; %bb.1067:                             ;   in Loop: Header=BB741_990 Depth=2
	ds_load_b32 v202, v76
	s_waitcnt lgkmcnt(0)
	v_sub_nc_u32_e32 v178, v202, v178
	ds_store_b32 v76, v178
.LBB741_1068:                           ;   in Loop: Header=BB741_990 Depth=2
	s_or_b32 exec_lo, exec_lo, s17
	v_add_nc_u32_e32 v179, v180, v179
	v_add_nc_u32_e32 v180, v183, v182
	v_add_lshl_u32 v69, v69, v2, 3
	v_add_nc_u32_e32 v2, v186, v185
	v_add_nc_u32_e32 v191, v192, v191
	;; [unrolled: 1-line block ×3, first 2 shown]
	v_add_lshl_u32 v70, v179, v70, 3
	v_add_lshl_u32 v71, v180, v71, 3
	v_add_nc_u32_e32 v209, v210, v209
	v_add_nc_u32_e32 v206, v207, v206
	;; [unrolled: 1-line block ×4, first 2 shown]
	v_add_lshl_u32 v72, v2, v72, 3
	v_add_nc_u32_e32 v208, v213, v212
	v_add_nc_u32_e32 v203, v204, v203
	;; [unrolled: 1-line block ×3, first 2 shown]
	ds_store_b64 v69, v[36:37] offset:1024
	v_add_lshl_u32 v73, v182, v73, 3
	ds_store_b64 v70, v[38:39] offset:1024
	ds_store_b64 v71, v[44:45] offset:1024
	v_add_lshl_u32 v39, v191, v225, 3
	v_add_nc_u32_e32 v178, v222, v221
	v_add_nc_u32_e32 v202, v219, v218
	;; [unrolled: 1-line block ×3, first 2 shown]
	ds_store_b64 v72, v[48:49] offset:1024
	ds_store_b64 v73, v[54:55] offset:1024
	v_add_lshl_u32 v44, v194, v224, 3
	v_add_lshl_u32 v48, v200, v196, 3
	;; [unrolled: 1-line block ×5, first 2 shown]
	ds_store_b64 v39, v[58:59] offset:1024
	v_add_lshl_u32 v49, v203, v193, 3
	v_add_lshl_u32 v58, v208, v184, 3
	ds_store_b64 v44, v[62:63] offset:1024
	ds_store_b64 v45, v[66:67] offset:1024
	ds_store_b64 v48, v[64:65] offset:1024
	ds_store_b64 v49, v[60:61] offset:1024
	ds_store_b64 v54, v[56:57] offset:1024
	v_add_lshl_u32 v56, v205, v181, 3
	v_add_lshl_u32 v57, v202, v75, 3
	ds_store_b64 v55, v[52:53] offset:1024
	ds_store_b64 v58, v[50:51] offset:1024
	v_add_lshl_u32 v50, v178, v74, 3
	v_cmp_lt_u32_e32 vcc_lo, v1, v177
	v_add_nc_u32_e32 v38, v104, v76
	ds_store_b64 v56, v[46:47] offset:1024
	ds_store_b64 v57, v[40:41] offset:1024
	ds_store_b64 v50, v[42:43] offset:1024
	s_waitcnt lgkmcnt(0)
	s_barrier
	buffer_gl0_inv
	s_and_saveexec_b32 s18, vcc_lo
	s_cbranch_execz .LBB741_1084
; %bb.1069:                             ;   in Loop: Header=BB741_990 Depth=2
	ds_load_b64 v[36:37], v38 offset:1024
	s_waitcnt lgkmcnt(0)
	v_lshrrev_b64 v[40:41], s40, v[36:37]
	v_xor_b32_e32 v37, 0x7fffffff, v37
	v_not_b32_e32 v36, v36
	s_delay_alu instid0(VALU_DEP_3) | instskip(NEXT) | instid1(VALU_DEP_1)
	v_and_b32_e32 v2, s42, v40
	v_lshlrev_b32_e32 v2, 2, v2
	ds_load_b32 v2, v2
	s_waitcnt lgkmcnt(0)
	v_add_nc_u32_e32 v2, v2, v1
	s_delay_alu instid0(VALU_DEP_1) | instskip(NEXT) | instid1(VALU_DEP_1)
	v_lshlrev_b64 v[40:41], 3, v[2:3]
	v_add_co_u32 v40, s17, s48, v40
	s_delay_alu instid0(VALU_DEP_1) | instskip(SKIP_3) | instid1(VALU_DEP_1)
	v_add_co_ci_u32_e64 v41, s17, s49, v41, s17
	global_store_b64 v[40:41], v[36:37], off
	s_or_b32 exec_lo, exec_lo, s18
	v_cmp_lt_u32_e64 s17, v77, v177
	s_and_saveexec_b32 s19, s17
	s_cbranch_execnz .LBB741_1085
.LBB741_1070:                           ;   in Loop: Header=BB741_990 Depth=2
	s_or_b32 exec_lo, exec_lo, s19
	v_cmp_lt_u32_e64 s18, v78, v177
	s_delay_alu instid0(VALU_DEP_1)
	s_and_saveexec_b32 s20, s18
	s_cbranch_execz .LBB741_1086
.LBB741_1071:                           ;   in Loop: Header=BB741_990 Depth=2
	ds_load_b64 v[36:37], v110 offset:4096
	s_waitcnt lgkmcnt(0)
	v_lshrrev_b64 v[40:41], s40, v[36:37]
	v_xor_b32_e32 v37, 0x7fffffff, v37
	v_not_b32_e32 v36, v36
	s_delay_alu instid0(VALU_DEP_3) | instskip(NEXT) | instid1(VALU_DEP_1)
	v_and_b32_e32 v2, s42, v40
	v_lshlrev_b32_e32 v2, 2, v2
	ds_load_b32 v2, v2
	s_waitcnt lgkmcnt(0)
	v_add_nc_u32_e32 v2, v2, v78
	s_delay_alu instid0(VALU_DEP_1) | instskip(NEXT) | instid1(VALU_DEP_1)
	v_lshlrev_b64 v[40:41], 3, v[2:3]
	v_add_co_u32 v40, s19, s48, v40
	s_delay_alu instid0(VALU_DEP_1) | instskip(SKIP_3) | instid1(VALU_DEP_1)
	v_add_co_ci_u32_e64 v41, s19, s49, v41, s19
	global_store_b64 v[40:41], v[36:37], off
	s_or_b32 exec_lo, exec_lo, s20
	v_cmp_lt_u32_e64 s19, v79, v177
	s_and_saveexec_b32 s21, s19
	s_cbranch_execnz .LBB741_1087
.LBB741_1072:                           ;   in Loop: Header=BB741_990 Depth=2
	s_or_b32 exec_lo, exec_lo, s21
	v_cmp_lt_u32_e64 s20, v83, v177
	s_delay_alu instid0(VALU_DEP_1)
	s_and_saveexec_b32 s22, s20
	s_cbranch_execz .LBB741_1088
.LBB741_1073:                           ;   in Loop: Header=BB741_990 Depth=2
	ds_load_b64 v[36:37], v110 offset:8192
	s_waitcnt lgkmcnt(0)
	v_lshrrev_b64 v[40:41], s40, v[36:37]
	v_xor_b32_e32 v37, 0x7fffffff, v37
	v_not_b32_e32 v36, v36
	s_delay_alu instid0(VALU_DEP_3) | instskip(NEXT) | instid1(VALU_DEP_1)
	v_and_b32_e32 v2, s42, v40
	v_lshlrev_b32_e32 v2, 2, v2
	ds_load_b32 v2, v2
	s_waitcnt lgkmcnt(0)
	v_add_nc_u32_e32 v2, v2, v83
	s_delay_alu instid0(VALU_DEP_1) | instskip(NEXT) | instid1(VALU_DEP_1)
	v_lshlrev_b64 v[40:41], 3, v[2:3]
	v_add_co_u32 v40, s21, s48, v40
	s_delay_alu instid0(VALU_DEP_1) | instskip(SKIP_3) | instid1(VALU_DEP_1)
	v_add_co_ci_u32_e64 v41, s21, s49, v41, s21
	global_store_b64 v[40:41], v[36:37], off
	s_or_b32 exec_lo, exec_lo, s22
	v_cmp_lt_u32_e64 s21, v84, v177
	s_and_saveexec_b32 s23, s21
	s_cbranch_execnz .LBB741_1089
.LBB741_1074:                           ;   in Loop: Header=BB741_990 Depth=2
	s_or_b32 exec_lo, exec_lo, s23
	v_cmp_lt_u32_e64 s22, v85, v177
	s_delay_alu instid0(VALU_DEP_1)
	s_and_saveexec_b32 s24, s22
	s_cbranch_execz .LBB741_1090
.LBB741_1075:                           ;   in Loop: Header=BB741_990 Depth=2
	ds_load_b64 v[36:37], v110 offset:12288
	s_waitcnt lgkmcnt(0)
	v_lshrrev_b64 v[40:41], s40, v[36:37]
	v_xor_b32_e32 v37, 0x7fffffff, v37
	v_not_b32_e32 v36, v36
	s_delay_alu instid0(VALU_DEP_3) | instskip(NEXT) | instid1(VALU_DEP_1)
	v_and_b32_e32 v2, s42, v40
	v_lshlrev_b32_e32 v2, 2, v2
	ds_load_b32 v2, v2
	s_waitcnt lgkmcnt(0)
	v_add_nc_u32_e32 v2, v2, v85
	s_delay_alu instid0(VALU_DEP_1) | instskip(NEXT) | instid1(VALU_DEP_1)
	v_lshlrev_b64 v[40:41], 3, v[2:3]
	v_add_co_u32 v40, s23, s48, v40
	s_delay_alu instid0(VALU_DEP_1) | instskip(SKIP_3) | instid1(VALU_DEP_1)
	v_add_co_ci_u32_e64 v41, s23, s49, v41, s23
	global_store_b64 v[40:41], v[36:37], off
	s_or_b32 exec_lo, exec_lo, s24
	v_cmp_lt_u32_e64 s23, v86, v177
	s_and_saveexec_b32 s25, s23
	s_cbranch_execnz .LBB741_1091
.LBB741_1076:                           ;   in Loop: Header=BB741_990 Depth=2
	s_or_b32 exec_lo, exec_lo, s25
	v_cmp_lt_u32_e64 s24, v87, v177
	s_delay_alu instid0(VALU_DEP_1)
	s_and_saveexec_b32 s26, s24
	s_cbranch_execz .LBB741_1092
.LBB741_1077:                           ;   in Loop: Header=BB741_990 Depth=2
	ds_load_b64 v[36:37], v110 offset:16384
	s_waitcnt lgkmcnt(0)
	v_lshrrev_b64 v[40:41], s40, v[36:37]
	v_xor_b32_e32 v37, 0x7fffffff, v37
	v_not_b32_e32 v36, v36
	s_delay_alu instid0(VALU_DEP_3) | instskip(NEXT) | instid1(VALU_DEP_1)
	v_and_b32_e32 v2, s42, v40
	v_lshlrev_b32_e32 v2, 2, v2
	ds_load_b32 v2, v2
	s_waitcnt lgkmcnt(0)
	v_add_nc_u32_e32 v2, v2, v87
	s_delay_alu instid0(VALU_DEP_1) | instskip(NEXT) | instid1(VALU_DEP_1)
	v_lshlrev_b64 v[40:41], 3, v[2:3]
	v_add_co_u32 v40, s25, s48, v40
	s_delay_alu instid0(VALU_DEP_1) | instskip(SKIP_3) | instid1(VALU_DEP_1)
	v_add_co_ci_u32_e64 v41, s25, s49, v41, s25
	global_store_b64 v[40:41], v[36:37], off
	s_or_b32 exec_lo, exec_lo, s26
	v_cmp_lt_u32_e64 s25, v88, v177
	s_and_saveexec_b32 s27, s25
	s_cbranch_execnz .LBB741_1093
.LBB741_1078:                           ;   in Loop: Header=BB741_990 Depth=2
	s_or_b32 exec_lo, exec_lo, s27
	v_cmp_lt_u32_e64 s26, v89, v177
	s_delay_alu instid0(VALU_DEP_1)
	s_and_saveexec_b32 s28, s26
	s_cbranch_execz .LBB741_1094
.LBB741_1079:                           ;   in Loop: Header=BB741_990 Depth=2
	ds_load_b64 v[36:37], v110 offset:20480
	s_waitcnt lgkmcnt(0)
	v_lshrrev_b64 v[40:41], s40, v[36:37]
	v_xor_b32_e32 v37, 0x7fffffff, v37
	v_not_b32_e32 v36, v36
	s_delay_alu instid0(VALU_DEP_3) | instskip(NEXT) | instid1(VALU_DEP_1)
	v_and_b32_e32 v2, s42, v40
	v_lshlrev_b32_e32 v2, 2, v2
	ds_load_b32 v2, v2
	s_waitcnt lgkmcnt(0)
	v_add_nc_u32_e32 v2, v2, v89
	s_delay_alu instid0(VALU_DEP_1) | instskip(NEXT) | instid1(VALU_DEP_1)
	v_lshlrev_b64 v[40:41], 3, v[2:3]
	v_add_co_u32 v40, s27, s48, v40
	s_delay_alu instid0(VALU_DEP_1) | instskip(SKIP_3) | instid1(VALU_DEP_1)
	v_add_co_ci_u32_e64 v41, s27, s49, v41, s27
	global_store_b64 v[40:41], v[36:37], off
	s_or_b32 exec_lo, exec_lo, s28
	v_cmp_lt_u32_e64 s27, v90, v177
	s_and_saveexec_b32 s29, s27
	s_cbranch_execnz .LBB741_1095
.LBB741_1080:                           ;   in Loop: Header=BB741_990 Depth=2
	s_or_b32 exec_lo, exec_lo, s29
	v_cmp_lt_u32_e64 s28, v91, v177
	s_delay_alu instid0(VALU_DEP_1)
	s_and_saveexec_b32 s30, s28
	s_cbranch_execz .LBB741_1096
.LBB741_1081:                           ;   in Loop: Header=BB741_990 Depth=2
	ds_load_b64 v[36:37], v110 offset:24576
	s_waitcnt lgkmcnt(0)
	v_lshrrev_b64 v[40:41], s40, v[36:37]
	v_xor_b32_e32 v37, 0x7fffffff, v37
	v_not_b32_e32 v36, v36
	s_delay_alu instid0(VALU_DEP_3) | instskip(NEXT) | instid1(VALU_DEP_1)
	v_and_b32_e32 v2, s42, v40
	v_lshlrev_b32_e32 v2, 2, v2
	ds_load_b32 v2, v2
	s_waitcnt lgkmcnt(0)
	v_add_nc_u32_e32 v2, v2, v91
	s_delay_alu instid0(VALU_DEP_1) | instskip(NEXT) | instid1(VALU_DEP_1)
	v_lshlrev_b64 v[40:41], 3, v[2:3]
	v_add_co_u32 v40, s29, s48, v40
	s_delay_alu instid0(VALU_DEP_1) | instskip(SKIP_3) | instid1(VALU_DEP_1)
	v_add_co_ci_u32_e64 v41, s29, s49, v41, s29
	global_store_b64 v[40:41], v[36:37], off
	s_or_b32 exec_lo, exec_lo, s30
	v_cmp_lt_u32_e64 s29, v92, v177
	s_and_saveexec_b32 s31, s29
	s_cbranch_execnz .LBB741_1097
.LBB741_1082:                           ;   in Loop: Header=BB741_990 Depth=2
	s_or_b32 exec_lo, exec_lo, s31
	v_cmp_lt_u32_e64 s30, v93, v177
	s_delay_alu instid0(VALU_DEP_1)
	s_and_saveexec_b32 s33, s30
	s_cbranch_execz .LBB741_1098
.LBB741_1083:                           ;   in Loop: Header=BB741_990 Depth=2
	ds_load_b64 v[36:37], v110 offset:28672
	s_waitcnt lgkmcnt(0)
	v_lshrrev_b64 v[40:41], s40, v[36:37]
	v_xor_b32_e32 v37, 0x7fffffff, v37
	v_not_b32_e32 v36, v36
	s_delay_alu instid0(VALU_DEP_3) | instskip(NEXT) | instid1(VALU_DEP_1)
	v_and_b32_e32 v2, s42, v40
	v_lshlrev_b32_e32 v2, 2, v2
	ds_load_b32 v2, v2
	s_waitcnt lgkmcnt(0)
	v_add_nc_u32_e32 v2, v2, v93
	s_delay_alu instid0(VALU_DEP_1) | instskip(NEXT) | instid1(VALU_DEP_1)
	v_lshlrev_b64 v[40:41], 3, v[2:3]
	v_add_co_u32 v40, s31, s48, v40
	s_delay_alu instid0(VALU_DEP_1) | instskip(SKIP_3) | instid1(VALU_DEP_1)
	v_add_co_ci_u32_e64 v41, s31, s49, v41, s31
	global_store_b64 v[40:41], v[36:37], off
	s_or_b32 exec_lo, exec_lo, s33
	v_cmp_lt_u32_e64 s31, v95, v177
	s_and_saveexec_b32 s39, s31
	s_cbranch_execnz .LBB741_1099
	s_branch .LBB741_1100
.LBB741_1084:                           ;   in Loop: Header=BB741_990 Depth=2
	s_or_b32 exec_lo, exec_lo, s18
	v_cmp_lt_u32_e64 s17, v77, v177
	s_delay_alu instid0(VALU_DEP_1)
	s_and_saveexec_b32 s19, s17
	s_cbranch_execz .LBB741_1070
.LBB741_1085:                           ;   in Loop: Header=BB741_990 Depth=2
	ds_load_b64 v[36:37], v110 offset:2048
	s_waitcnt lgkmcnt(0)
	v_lshrrev_b64 v[40:41], s40, v[36:37]
	v_xor_b32_e32 v37, 0x7fffffff, v37
	v_not_b32_e32 v36, v36
	s_delay_alu instid0(VALU_DEP_3) | instskip(NEXT) | instid1(VALU_DEP_1)
	v_and_b32_e32 v2, s42, v40
	v_lshlrev_b32_e32 v2, 2, v2
	ds_load_b32 v2, v2
	s_waitcnt lgkmcnt(0)
	v_add_nc_u32_e32 v2, v2, v77
	s_delay_alu instid0(VALU_DEP_1) | instskip(NEXT) | instid1(VALU_DEP_1)
	v_lshlrev_b64 v[40:41], 3, v[2:3]
	v_add_co_u32 v40, s18, s48, v40
	s_delay_alu instid0(VALU_DEP_1) | instskip(SKIP_3) | instid1(VALU_DEP_1)
	v_add_co_ci_u32_e64 v41, s18, s49, v41, s18
	global_store_b64 v[40:41], v[36:37], off
	s_or_b32 exec_lo, exec_lo, s19
	v_cmp_lt_u32_e64 s18, v78, v177
	s_and_saveexec_b32 s20, s18
	s_cbranch_execnz .LBB741_1071
.LBB741_1086:                           ;   in Loop: Header=BB741_990 Depth=2
	s_or_b32 exec_lo, exec_lo, s20
	v_cmp_lt_u32_e64 s19, v79, v177
	s_delay_alu instid0(VALU_DEP_1)
	s_and_saveexec_b32 s21, s19
	s_cbranch_execz .LBB741_1072
.LBB741_1087:                           ;   in Loop: Header=BB741_990 Depth=2
	ds_load_b64 v[36:37], v110 offset:6144
	s_waitcnt lgkmcnt(0)
	v_lshrrev_b64 v[40:41], s40, v[36:37]
	v_xor_b32_e32 v37, 0x7fffffff, v37
	v_not_b32_e32 v36, v36
	s_delay_alu instid0(VALU_DEP_3) | instskip(NEXT) | instid1(VALU_DEP_1)
	v_and_b32_e32 v2, s42, v40
	v_lshlrev_b32_e32 v2, 2, v2
	ds_load_b32 v2, v2
	s_waitcnt lgkmcnt(0)
	v_add_nc_u32_e32 v2, v2, v79
	s_delay_alu instid0(VALU_DEP_1) | instskip(NEXT) | instid1(VALU_DEP_1)
	v_lshlrev_b64 v[40:41], 3, v[2:3]
	v_add_co_u32 v40, s20, s48, v40
	s_delay_alu instid0(VALU_DEP_1) | instskip(SKIP_3) | instid1(VALU_DEP_1)
	v_add_co_ci_u32_e64 v41, s20, s49, v41, s20
	global_store_b64 v[40:41], v[36:37], off
	s_or_b32 exec_lo, exec_lo, s21
	v_cmp_lt_u32_e64 s20, v83, v177
	s_and_saveexec_b32 s22, s20
	s_cbranch_execnz .LBB741_1073
.LBB741_1088:                           ;   in Loop: Header=BB741_990 Depth=2
	s_or_b32 exec_lo, exec_lo, s22
	v_cmp_lt_u32_e64 s21, v84, v177
	s_delay_alu instid0(VALU_DEP_1)
	s_and_saveexec_b32 s23, s21
	s_cbranch_execz .LBB741_1074
.LBB741_1089:                           ;   in Loop: Header=BB741_990 Depth=2
	ds_load_b64 v[36:37], v110 offset:10240
	s_waitcnt lgkmcnt(0)
	v_lshrrev_b64 v[40:41], s40, v[36:37]
	v_xor_b32_e32 v37, 0x7fffffff, v37
	v_not_b32_e32 v36, v36
	s_delay_alu instid0(VALU_DEP_3) | instskip(NEXT) | instid1(VALU_DEP_1)
	v_and_b32_e32 v2, s42, v40
	v_lshlrev_b32_e32 v2, 2, v2
	ds_load_b32 v2, v2
	s_waitcnt lgkmcnt(0)
	v_add_nc_u32_e32 v2, v2, v84
	s_delay_alu instid0(VALU_DEP_1) | instskip(NEXT) | instid1(VALU_DEP_1)
	v_lshlrev_b64 v[40:41], 3, v[2:3]
	v_add_co_u32 v40, s22, s48, v40
	s_delay_alu instid0(VALU_DEP_1) | instskip(SKIP_3) | instid1(VALU_DEP_1)
	v_add_co_ci_u32_e64 v41, s22, s49, v41, s22
	global_store_b64 v[40:41], v[36:37], off
	s_or_b32 exec_lo, exec_lo, s23
	v_cmp_lt_u32_e64 s22, v85, v177
	s_and_saveexec_b32 s24, s22
	s_cbranch_execnz .LBB741_1075
.LBB741_1090:                           ;   in Loop: Header=BB741_990 Depth=2
	s_or_b32 exec_lo, exec_lo, s24
	v_cmp_lt_u32_e64 s23, v86, v177
	s_delay_alu instid0(VALU_DEP_1)
	s_and_saveexec_b32 s25, s23
	s_cbranch_execz .LBB741_1076
.LBB741_1091:                           ;   in Loop: Header=BB741_990 Depth=2
	ds_load_b64 v[36:37], v110 offset:14336
	s_waitcnt lgkmcnt(0)
	v_lshrrev_b64 v[40:41], s40, v[36:37]
	v_xor_b32_e32 v37, 0x7fffffff, v37
	v_not_b32_e32 v36, v36
	s_delay_alu instid0(VALU_DEP_3) | instskip(NEXT) | instid1(VALU_DEP_1)
	v_and_b32_e32 v2, s42, v40
	v_lshlrev_b32_e32 v2, 2, v2
	ds_load_b32 v2, v2
	s_waitcnt lgkmcnt(0)
	v_add_nc_u32_e32 v2, v2, v86
	s_delay_alu instid0(VALU_DEP_1) | instskip(NEXT) | instid1(VALU_DEP_1)
	v_lshlrev_b64 v[40:41], 3, v[2:3]
	v_add_co_u32 v40, s24, s48, v40
	s_delay_alu instid0(VALU_DEP_1) | instskip(SKIP_3) | instid1(VALU_DEP_1)
	v_add_co_ci_u32_e64 v41, s24, s49, v41, s24
	global_store_b64 v[40:41], v[36:37], off
	s_or_b32 exec_lo, exec_lo, s25
	v_cmp_lt_u32_e64 s24, v87, v177
	s_and_saveexec_b32 s26, s24
	s_cbranch_execnz .LBB741_1077
.LBB741_1092:                           ;   in Loop: Header=BB741_990 Depth=2
	s_or_b32 exec_lo, exec_lo, s26
	v_cmp_lt_u32_e64 s25, v88, v177
	s_delay_alu instid0(VALU_DEP_1)
	s_and_saveexec_b32 s27, s25
	s_cbranch_execz .LBB741_1078
.LBB741_1093:                           ;   in Loop: Header=BB741_990 Depth=2
	ds_load_b64 v[36:37], v110 offset:18432
	s_waitcnt lgkmcnt(0)
	v_lshrrev_b64 v[40:41], s40, v[36:37]
	v_xor_b32_e32 v37, 0x7fffffff, v37
	v_not_b32_e32 v36, v36
	s_delay_alu instid0(VALU_DEP_3) | instskip(NEXT) | instid1(VALU_DEP_1)
	v_and_b32_e32 v2, s42, v40
	v_lshlrev_b32_e32 v2, 2, v2
	ds_load_b32 v2, v2
	s_waitcnt lgkmcnt(0)
	v_add_nc_u32_e32 v2, v2, v88
	s_delay_alu instid0(VALU_DEP_1) | instskip(NEXT) | instid1(VALU_DEP_1)
	v_lshlrev_b64 v[40:41], 3, v[2:3]
	v_add_co_u32 v40, s26, s48, v40
	s_delay_alu instid0(VALU_DEP_1) | instskip(SKIP_3) | instid1(VALU_DEP_1)
	v_add_co_ci_u32_e64 v41, s26, s49, v41, s26
	global_store_b64 v[40:41], v[36:37], off
	s_or_b32 exec_lo, exec_lo, s27
	v_cmp_lt_u32_e64 s26, v89, v177
	s_and_saveexec_b32 s28, s26
	s_cbranch_execnz .LBB741_1079
.LBB741_1094:                           ;   in Loop: Header=BB741_990 Depth=2
	s_or_b32 exec_lo, exec_lo, s28
	v_cmp_lt_u32_e64 s27, v90, v177
	s_delay_alu instid0(VALU_DEP_1)
	s_and_saveexec_b32 s29, s27
	s_cbranch_execz .LBB741_1080
.LBB741_1095:                           ;   in Loop: Header=BB741_990 Depth=2
	ds_load_b64 v[36:37], v110 offset:22528
	s_waitcnt lgkmcnt(0)
	v_lshrrev_b64 v[40:41], s40, v[36:37]
	v_xor_b32_e32 v37, 0x7fffffff, v37
	v_not_b32_e32 v36, v36
	s_delay_alu instid0(VALU_DEP_3) | instskip(NEXT) | instid1(VALU_DEP_1)
	v_and_b32_e32 v2, s42, v40
	v_lshlrev_b32_e32 v2, 2, v2
	ds_load_b32 v2, v2
	s_waitcnt lgkmcnt(0)
	v_add_nc_u32_e32 v2, v2, v90
	s_delay_alu instid0(VALU_DEP_1) | instskip(NEXT) | instid1(VALU_DEP_1)
	v_lshlrev_b64 v[40:41], 3, v[2:3]
	v_add_co_u32 v40, s28, s48, v40
	s_delay_alu instid0(VALU_DEP_1) | instskip(SKIP_3) | instid1(VALU_DEP_1)
	v_add_co_ci_u32_e64 v41, s28, s49, v41, s28
	global_store_b64 v[40:41], v[36:37], off
	s_or_b32 exec_lo, exec_lo, s29
	v_cmp_lt_u32_e64 s28, v91, v177
	s_and_saveexec_b32 s30, s28
	s_cbranch_execnz .LBB741_1081
.LBB741_1096:                           ;   in Loop: Header=BB741_990 Depth=2
	s_or_b32 exec_lo, exec_lo, s30
	v_cmp_lt_u32_e64 s29, v92, v177
	s_delay_alu instid0(VALU_DEP_1)
	s_and_saveexec_b32 s31, s29
	s_cbranch_execz .LBB741_1082
.LBB741_1097:                           ;   in Loop: Header=BB741_990 Depth=2
	ds_load_b64 v[36:37], v110 offset:26624
	s_waitcnt lgkmcnt(0)
	v_lshrrev_b64 v[40:41], s40, v[36:37]
	v_xor_b32_e32 v37, 0x7fffffff, v37
	v_not_b32_e32 v36, v36
	s_delay_alu instid0(VALU_DEP_3) | instskip(NEXT) | instid1(VALU_DEP_1)
	v_and_b32_e32 v2, s42, v40
	v_lshlrev_b32_e32 v2, 2, v2
	ds_load_b32 v2, v2
	s_waitcnt lgkmcnt(0)
	v_add_nc_u32_e32 v2, v2, v92
	s_delay_alu instid0(VALU_DEP_1) | instskip(NEXT) | instid1(VALU_DEP_1)
	v_lshlrev_b64 v[40:41], 3, v[2:3]
	v_add_co_u32 v40, s30, s48, v40
	s_delay_alu instid0(VALU_DEP_1) | instskip(SKIP_3) | instid1(VALU_DEP_1)
	v_add_co_ci_u32_e64 v41, s30, s49, v41, s30
	global_store_b64 v[40:41], v[36:37], off
	s_or_b32 exec_lo, exec_lo, s31
	v_cmp_lt_u32_e64 s30, v93, v177
	s_and_saveexec_b32 s33, s30
	s_cbranch_execnz .LBB741_1083
.LBB741_1098:                           ;   in Loop: Header=BB741_990 Depth=2
	s_or_b32 exec_lo, exec_lo, s33
	v_cmp_lt_u32_e64 s31, v95, v177
	s_delay_alu instid0(VALU_DEP_1)
	s_and_saveexec_b32 s39, s31
	s_cbranch_execz .LBB741_1100
.LBB741_1099:                           ;   in Loop: Header=BB741_990 Depth=2
	ds_load_b64 v[36:37], v110 offset:30720
	s_waitcnt lgkmcnt(0)
	v_lshrrev_b64 v[40:41], s40, v[36:37]
	v_xor_b32_e32 v37, 0x7fffffff, v37
	v_not_b32_e32 v36, v36
	s_delay_alu instid0(VALU_DEP_3) | instskip(NEXT) | instid1(VALU_DEP_1)
	v_and_b32_e32 v2, s42, v40
	v_lshlrev_b32_e32 v2, 2, v2
	ds_load_b32 v2, v2
	s_waitcnt lgkmcnt(0)
	v_add_nc_u32_e32 v2, v2, v95
	s_delay_alu instid0(VALU_DEP_1) | instskip(NEXT) | instid1(VALU_DEP_1)
	v_lshlrev_b64 v[40:41], 3, v[2:3]
	v_add_co_u32 v40, s33, s48, v40
	s_delay_alu instid0(VALU_DEP_1)
	v_add_co_ci_u32_e64 v41, s33, s49, v41, s33
	global_store_b64 v[40:41], v[36:37], off
.LBB741_1100:                           ;   in Loop: Header=BB741_990 Depth=2
	s_or_b32 exec_lo, exec_lo, s39
	s_mov_b32 s39, s34
	s_delay_alu instid0(SALU_CYCLE_1) | instskip(NEXT) | instid1(SALU_CYCLE_1)
	s_lshl_b64 s[38:39], s[38:39], 3
	v_add_co_u32 v36, s33, v139, s38
	s_delay_alu instid0(VALU_DEP_1) | instskip(SKIP_1) | instid1(VALU_DEP_1)
	v_add_co_ci_u32_e64 v37, s33, s39, v140, s33
	v_cmp_lt_u32_e64 s33, v138, v177
	s_and_saveexec_b32 s38, s33
	s_delay_alu instid0(SALU_CYCLE_1)
	s_xor_b32 s33, exec_lo, s38
	s_cbranch_execz .LBB741_1132
; %bb.1101:                             ;   in Loop: Header=BB741_990 Depth=2
	global_load_b64 v[34:35], v[36:37], off
	s_or_b32 exec_lo, exec_lo, s33
	s_delay_alu instid0(SALU_CYCLE_1)
	s_mov_b32 s38, exec_lo
	v_cmpx_lt_u32_e64 v141, v177
	s_cbranch_execnz .LBB741_1133
.LBB741_1102:                           ;   in Loop: Header=BB741_990 Depth=2
	s_or_b32 exec_lo, exec_lo, s38
	s_delay_alu instid0(SALU_CYCLE_1)
	s_mov_b32 s38, exec_lo
	v_cmpx_lt_u32_e64 v142, v177
	s_cbranch_execz .LBB741_1134
.LBB741_1103:                           ;   in Loop: Header=BB741_990 Depth=2
	global_load_b64 v[30:31], v[36:37], off offset:512
	s_or_b32 exec_lo, exec_lo, s38
	s_delay_alu instid0(SALU_CYCLE_1)
	s_mov_b32 s38, exec_lo
	v_cmpx_lt_u32_e64 v143, v177
	s_cbranch_execnz .LBB741_1135
.LBB741_1104:                           ;   in Loop: Header=BB741_990 Depth=2
	s_or_b32 exec_lo, exec_lo, s38
	s_delay_alu instid0(SALU_CYCLE_1)
	s_mov_b32 s38, exec_lo
	v_cmpx_lt_u32_e64 v144, v177
	s_cbranch_execz .LBB741_1136
.LBB741_1105:                           ;   in Loop: Header=BB741_990 Depth=2
	global_load_b64 v[26:27], v[36:37], off offset:1024
	s_or_b32 exec_lo, exec_lo, s38
	s_delay_alu instid0(SALU_CYCLE_1)
	s_mov_b32 s38, exec_lo
	v_cmpx_lt_u32_e64 v145, v177
	s_cbranch_execnz .LBB741_1137
.LBB741_1106:                           ;   in Loop: Header=BB741_990 Depth=2
	s_or_b32 exec_lo, exec_lo, s38
	s_delay_alu instid0(SALU_CYCLE_1)
	s_mov_b32 s38, exec_lo
	v_cmpx_lt_u32_e64 v146, v177
	s_cbranch_execz .LBB741_1138
.LBB741_1107:                           ;   in Loop: Header=BB741_990 Depth=2
	global_load_b64 v[22:23], v[36:37], off offset:1536
	s_or_b32 exec_lo, exec_lo, s38
	s_delay_alu instid0(SALU_CYCLE_1)
	s_mov_b32 s38, exec_lo
	v_cmpx_lt_u32_e64 v147, v177
	s_cbranch_execnz .LBB741_1139
.LBB741_1108:                           ;   in Loop: Header=BB741_990 Depth=2
	s_or_b32 exec_lo, exec_lo, s38
	s_delay_alu instid0(SALU_CYCLE_1)
	s_mov_b32 s38, exec_lo
	v_cmpx_lt_u32_e64 v148, v177
	s_cbranch_execz .LBB741_1140
.LBB741_1109:                           ;   in Loop: Header=BB741_990 Depth=2
	global_load_b64 v[18:19], v[36:37], off offset:2048
	s_or_b32 exec_lo, exec_lo, s38
	s_delay_alu instid0(SALU_CYCLE_1)
	s_mov_b32 s38, exec_lo
	v_cmpx_lt_u32_e64 v149, v177
	s_cbranch_execnz .LBB741_1141
.LBB741_1110:                           ;   in Loop: Header=BB741_990 Depth=2
	s_or_b32 exec_lo, exec_lo, s38
	s_delay_alu instid0(SALU_CYCLE_1)
	s_mov_b32 s38, exec_lo
	v_cmpx_lt_u32_e64 v150, v177
	s_cbranch_execz .LBB741_1142
.LBB741_1111:                           ;   in Loop: Header=BB741_990 Depth=2
	global_load_b64 v[14:15], v[36:37], off offset:2560
	s_or_b32 exec_lo, exec_lo, s38
	s_delay_alu instid0(SALU_CYCLE_1)
	s_mov_b32 s38, exec_lo
	v_cmpx_lt_u32_e64 v151, v177
	s_cbranch_execnz .LBB741_1143
.LBB741_1112:                           ;   in Loop: Header=BB741_990 Depth=2
	s_or_b32 exec_lo, exec_lo, s38
	s_delay_alu instid0(SALU_CYCLE_1)
	s_mov_b32 s38, exec_lo
	v_cmpx_lt_u32_e64 v152, v177
	s_cbranch_execz .LBB741_1144
.LBB741_1113:                           ;   in Loop: Header=BB741_990 Depth=2
	global_load_b64 v[10:11], v[36:37], off offset:3072
	s_or_b32 exec_lo, exec_lo, s38
	s_delay_alu instid0(SALU_CYCLE_1)
	s_mov_b32 s38, exec_lo
	v_cmpx_lt_u32_e64 v153, v177
	s_cbranch_execnz .LBB741_1145
.LBB741_1114:                           ;   in Loop: Header=BB741_990 Depth=2
	s_or_b32 exec_lo, exec_lo, s38
	s_delay_alu instid0(SALU_CYCLE_1)
	s_mov_b32 s38, exec_lo
	v_cmpx_lt_u32_e64 v154, v177
	s_cbranch_execz .LBB741_1146
.LBB741_1115:                           ;   in Loop: Header=BB741_990 Depth=2
	global_load_b64 v[6:7], v[36:37], off offset:3584
	s_or_b32 exec_lo, exec_lo, s38
	s_delay_alu instid0(SALU_CYCLE_1)
	s_mov_b32 s38, exec_lo
	v_cmpx_lt_u32_e64 v155, v177
	s_cbranch_execnz .LBB741_1147
.LBB741_1116:                           ;   in Loop: Header=BB741_990 Depth=2
	s_or_b32 exec_lo, exec_lo, s38
	s_and_saveexec_b32 s33, vcc_lo
	s_cbranch_execz .LBB741_1148
.LBB741_1117:                           ;   in Loop: Header=BB741_990 Depth=2
	ds_load_b64 v[36:37], v38 offset:1024
	s_waitcnt lgkmcnt(0)
	v_lshrrev_b64 v[36:37], s40, v[36:37]
	s_delay_alu instid0(VALU_DEP_1)
	v_and_b32_e32 v176, s42, v36
	s_or_b32 exec_lo, exec_lo, s33
	s_and_saveexec_b32 s33, s17
	s_cbranch_execnz .LBB741_1149
.LBB741_1118:                           ;   in Loop: Header=BB741_990 Depth=2
	s_or_b32 exec_lo, exec_lo, s33
	s_and_saveexec_b32 s33, s18
	s_cbranch_execz .LBB741_1150
.LBB741_1119:                           ;   in Loop: Header=BB741_990 Depth=2
	ds_load_b64 v[36:37], v110 offset:4096
	s_waitcnt lgkmcnt(0)
	v_lshrrev_b64 v[36:37], s40, v[36:37]
	s_delay_alu instid0(VALU_DEP_1)
	v_and_b32_e32 v174, s42, v36
	s_or_b32 exec_lo, exec_lo, s33
	s_and_saveexec_b32 s33, s19
	s_cbranch_execnz .LBB741_1151
.LBB741_1120:                           ;   in Loop: Header=BB741_990 Depth=2
	s_or_b32 exec_lo, exec_lo, s33
	s_and_saveexec_b32 s33, s20
	s_cbranch_execz .LBB741_1152
.LBB741_1121:                           ;   in Loop: Header=BB741_990 Depth=2
	ds_load_b64 v[36:37], v110 offset:8192
	s_waitcnt lgkmcnt(0)
	v_lshrrev_b64 v[36:37], s40, v[36:37]
	s_delay_alu instid0(VALU_DEP_1)
	v_and_b32_e32 v172, s42, v36
	s_or_b32 exec_lo, exec_lo, s33
	s_and_saveexec_b32 s33, s21
	s_cbranch_execnz .LBB741_1153
.LBB741_1122:                           ;   in Loop: Header=BB741_990 Depth=2
	s_or_b32 exec_lo, exec_lo, s33
	s_and_saveexec_b32 s33, s22
	s_cbranch_execz .LBB741_1154
.LBB741_1123:                           ;   in Loop: Header=BB741_990 Depth=2
	ds_load_b64 v[36:37], v110 offset:12288
	s_waitcnt lgkmcnt(0)
	v_lshrrev_b64 v[36:37], s40, v[36:37]
	s_delay_alu instid0(VALU_DEP_1)
	v_and_b32_e32 v170, s42, v36
	s_or_b32 exec_lo, exec_lo, s33
	s_and_saveexec_b32 s33, s23
	s_cbranch_execnz .LBB741_1155
.LBB741_1124:                           ;   in Loop: Header=BB741_990 Depth=2
	s_or_b32 exec_lo, exec_lo, s33
	s_and_saveexec_b32 s33, s24
	s_cbranch_execz .LBB741_1156
.LBB741_1125:                           ;   in Loop: Header=BB741_990 Depth=2
	ds_load_b64 v[36:37], v110 offset:16384
	s_waitcnt lgkmcnt(0)
	v_lshrrev_b64 v[36:37], s40, v[36:37]
	s_delay_alu instid0(VALU_DEP_1)
	v_and_b32_e32 v168, s42, v36
	s_or_b32 exec_lo, exec_lo, s33
	s_and_saveexec_b32 s33, s25
	s_cbranch_execnz .LBB741_1157
.LBB741_1126:                           ;   in Loop: Header=BB741_990 Depth=2
	s_or_b32 exec_lo, exec_lo, s33
	s_and_saveexec_b32 s33, s26
	s_cbranch_execz .LBB741_1158
.LBB741_1127:                           ;   in Loop: Header=BB741_990 Depth=2
	ds_load_b64 v[36:37], v110 offset:20480
	s_waitcnt lgkmcnt(0)
	v_lshrrev_b64 v[36:37], s40, v[36:37]
	s_delay_alu instid0(VALU_DEP_1)
	v_and_b32_e32 v166, s42, v36
	s_or_b32 exec_lo, exec_lo, s33
	s_and_saveexec_b32 s33, s27
	s_cbranch_execnz .LBB741_1159
.LBB741_1128:                           ;   in Loop: Header=BB741_990 Depth=2
	s_or_b32 exec_lo, exec_lo, s33
	s_and_saveexec_b32 s33, s28
	s_cbranch_execz .LBB741_1160
.LBB741_1129:                           ;   in Loop: Header=BB741_990 Depth=2
	ds_load_b64 v[36:37], v110 offset:24576
	s_waitcnt lgkmcnt(0)
	v_lshrrev_b64 v[36:37], s40, v[36:37]
	s_delay_alu instid0(VALU_DEP_1)
	v_and_b32_e32 v164, s42, v36
	s_or_b32 exec_lo, exec_lo, s33
	s_and_saveexec_b32 s33, s29
	s_cbranch_execnz .LBB741_1161
.LBB741_1130:                           ;   in Loop: Header=BB741_990 Depth=2
	s_or_b32 exec_lo, exec_lo, s33
	s_and_saveexec_b32 s33, s30
	s_cbranch_execz .LBB741_1162
.LBB741_1131:                           ;   in Loop: Header=BB741_990 Depth=2
	ds_load_b64 v[36:37], v110 offset:28672
	s_waitcnt lgkmcnt(0)
	v_lshrrev_b64 v[36:37], s40, v[36:37]
	s_delay_alu instid0(VALU_DEP_1)
	v_and_b32_e32 v162, s42, v36
	s_or_b32 exec_lo, exec_lo, s33
	s_and_saveexec_b32 s33, s31
	s_cbranch_execnz .LBB741_1163
	s_branch .LBB741_1164
.LBB741_1132:                           ;   in Loop: Header=BB741_990 Depth=2
	s_or_b32 exec_lo, exec_lo, s33
	s_delay_alu instid0(SALU_CYCLE_1)
	s_mov_b32 s38, exec_lo
	v_cmpx_lt_u32_e64 v141, v177
	s_cbranch_execz .LBB741_1102
.LBB741_1133:                           ;   in Loop: Header=BB741_990 Depth=2
	global_load_b64 v[32:33], v[36:37], off offset:256
	s_or_b32 exec_lo, exec_lo, s38
	s_delay_alu instid0(SALU_CYCLE_1)
	s_mov_b32 s38, exec_lo
	v_cmpx_lt_u32_e64 v142, v177
	s_cbranch_execnz .LBB741_1103
.LBB741_1134:                           ;   in Loop: Header=BB741_990 Depth=2
	s_or_b32 exec_lo, exec_lo, s38
	s_delay_alu instid0(SALU_CYCLE_1)
	s_mov_b32 s38, exec_lo
	v_cmpx_lt_u32_e64 v143, v177
	s_cbranch_execz .LBB741_1104
.LBB741_1135:                           ;   in Loop: Header=BB741_990 Depth=2
	global_load_b64 v[28:29], v[36:37], off offset:768
	s_or_b32 exec_lo, exec_lo, s38
	s_delay_alu instid0(SALU_CYCLE_1)
	s_mov_b32 s38, exec_lo
	v_cmpx_lt_u32_e64 v144, v177
	s_cbranch_execnz .LBB741_1105
.LBB741_1136:                           ;   in Loop: Header=BB741_990 Depth=2
	s_or_b32 exec_lo, exec_lo, s38
	s_delay_alu instid0(SALU_CYCLE_1)
	s_mov_b32 s38, exec_lo
	v_cmpx_lt_u32_e64 v145, v177
	s_cbranch_execz .LBB741_1106
.LBB741_1137:                           ;   in Loop: Header=BB741_990 Depth=2
	global_load_b64 v[24:25], v[36:37], off offset:1280
	s_or_b32 exec_lo, exec_lo, s38
	s_delay_alu instid0(SALU_CYCLE_1)
	s_mov_b32 s38, exec_lo
	v_cmpx_lt_u32_e64 v146, v177
	s_cbranch_execnz .LBB741_1107
.LBB741_1138:                           ;   in Loop: Header=BB741_990 Depth=2
	s_or_b32 exec_lo, exec_lo, s38
	s_delay_alu instid0(SALU_CYCLE_1)
	s_mov_b32 s38, exec_lo
	v_cmpx_lt_u32_e64 v147, v177
	s_cbranch_execz .LBB741_1108
.LBB741_1139:                           ;   in Loop: Header=BB741_990 Depth=2
	global_load_b64 v[20:21], v[36:37], off offset:1792
	s_or_b32 exec_lo, exec_lo, s38
	s_delay_alu instid0(SALU_CYCLE_1)
	s_mov_b32 s38, exec_lo
	v_cmpx_lt_u32_e64 v148, v177
	s_cbranch_execnz .LBB741_1109
.LBB741_1140:                           ;   in Loop: Header=BB741_990 Depth=2
	s_or_b32 exec_lo, exec_lo, s38
	s_delay_alu instid0(SALU_CYCLE_1)
	s_mov_b32 s38, exec_lo
	v_cmpx_lt_u32_e64 v149, v177
	s_cbranch_execz .LBB741_1110
.LBB741_1141:                           ;   in Loop: Header=BB741_990 Depth=2
	global_load_b64 v[16:17], v[36:37], off offset:2304
	s_or_b32 exec_lo, exec_lo, s38
	s_delay_alu instid0(SALU_CYCLE_1)
	s_mov_b32 s38, exec_lo
	v_cmpx_lt_u32_e64 v150, v177
	s_cbranch_execnz .LBB741_1111
.LBB741_1142:                           ;   in Loop: Header=BB741_990 Depth=2
	s_or_b32 exec_lo, exec_lo, s38
	s_delay_alu instid0(SALU_CYCLE_1)
	s_mov_b32 s38, exec_lo
	v_cmpx_lt_u32_e64 v151, v177
	s_cbranch_execz .LBB741_1112
.LBB741_1143:                           ;   in Loop: Header=BB741_990 Depth=2
	global_load_b64 v[12:13], v[36:37], off offset:2816
	s_or_b32 exec_lo, exec_lo, s38
	s_delay_alu instid0(SALU_CYCLE_1)
	s_mov_b32 s38, exec_lo
	v_cmpx_lt_u32_e64 v152, v177
	s_cbranch_execnz .LBB741_1113
.LBB741_1144:                           ;   in Loop: Header=BB741_990 Depth=2
	s_or_b32 exec_lo, exec_lo, s38
	s_delay_alu instid0(SALU_CYCLE_1)
	s_mov_b32 s38, exec_lo
	v_cmpx_lt_u32_e64 v153, v177
	s_cbranch_execz .LBB741_1114
.LBB741_1145:                           ;   in Loop: Header=BB741_990 Depth=2
	global_load_b64 v[8:9], v[36:37], off offset:3328
	s_or_b32 exec_lo, exec_lo, s38
	s_delay_alu instid0(SALU_CYCLE_1)
	s_mov_b32 s38, exec_lo
	v_cmpx_lt_u32_e64 v154, v177
	s_cbranch_execnz .LBB741_1115
.LBB741_1146:                           ;   in Loop: Header=BB741_990 Depth=2
	s_or_b32 exec_lo, exec_lo, s38
	s_delay_alu instid0(SALU_CYCLE_1)
	s_mov_b32 s38, exec_lo
	v_cmpx_lt_u32_e64 v155, v177
	s_cbranch_execz .LBB741_1116
.LBB741_1147:                           ;   in Loop: Header=BB741_990 Depth=2
	global_load_b64 v[4:5], v[36:37], off offset:3840
	s_or_b32 exec_lo, exec_lo, s38
	s_and_saveexec_b32 s33, vcc_lo
	s_cbranch_execnz .LBB741_1117
.LBB741_1148:                           ;   in Loop: Header=BB741_990 Depth=2
	s_or_b32 exec_lo, exec_lo, s33
	s_and_saveexec_b32 s33, s17
	s_cbranch_execz .LBB741_1118
.LBB741_1149:                           ;   in Loop: Header=BB741_990 Depth=2
	ds_load_b64 v[36:37], v110 offset:2048
	s_waitcnt lgkmcnt(0)
	v_lshrrev_b64 v[36:37], s40, v[36:37]
	s_delay_alu instid0(VALU_DEP_1)
	v_and_b32_e32 v175, s42, v36
	s_or_b32 exec_lo, exec_lo, s33
	s_and_saveexec_b32 s33, s18
	s_cbranch_execnz .LBB741_1119
.LBB741_1150:                           ;   in Loop: Header=BB741_990 Depth=2
	s_or_b32 exec_lo, exec_lo, s33
	s_and_saveexec_b32 s33, s19
	s_cbranch_execz .LBB741_1120
.LBB741_1151:                           ;   in Loop: Header=BB741_990 Depth=2
	ds_load_b64 v[36:37], v110 offset:6144
	s_waitcnt lgkmcnt(0)
	v_lshrrev_b64 v[36:37], s40, v[36:37]
	s_delay_alu instid0(VALU_DEP_1)
	v_and_b32_e32 v173, s42, v36
	s_or_b32 exec_lo, exec_lo, s33
	s_and_saveexec_b32 s33, s20
	s_cbranch_execnz .LBB741_1121
.LBB741_1152:                           ;   in Loop: Header=BB741_990 Depth=2
	s_or_b32 exec_lo, exec_lo, s33
	s_and_saveexec_b32 s33, s21
	s_cbranch_execz .LBB741_1122
.LBB741_1153:                           ;   in Loop: Header=BB741_990 Depth=2
	ds_load_b64 v[36:37], v110 offset:10240
	s_waitcnt lgkmcnt(0)
	v_lshrrev_b64 v[36:37], s40, v[36:37]
	s_delay_alu instid0(VALU_DEP_1)
	v_and_b32_e32 v171, s42, v36
	s_or_b32 exec_lo, exec_lo, s33
	s_and_saveexec_b32 s33, s22
	s_cbranch_execnz .LBB741_1123
.LBB741_1154:                           ;   in Loop: Header=BB741_990 Depth=2
	s_or_b32 exec_lo, exec_lo, s33
	s_and_saveexec_b32 s33, s23
	s_cbranch_execz .LBB741_1124
.LBB741_1155:                           ;   in Loop: Header=BB741_990 Depth=2
	ds_load_b64 v[36:37], v110 offset:14336
	s_waitcnt lgkmcnt(0)
	v_lshrrev_b64 v[36:37], s40, v[36:37]
	s_delay_alu instid0(VALU_DEP_1)
	v_and_b32_e32 v169, s42, v36
	s_or_b32 exec_lo, exec_lo, s33
	s_and_saveexec_b32 s33, s24
	s_cbranch_execnz .LBB741_1125
.LBB741_1156:                           ;   in Loop: Header=BB741_990 Depth=2
	s_or_b32 exec_lo, exec_lo, s33
	s_and_saveexec_b32 s33, s25
	s_cbranch_execz .LBB741_1126
.LBB741_1157:                           ;   in Loop: Header=BB741_990 Depth=2
	ds_load_b64 v[36:37], v110 offset:18432
	s_waitcnt lgkmcnt(0)
	v_lshrrev_b64 v[36:37], s40, v[36:37]
	s_delay_alu instid0(VALU_DEP_1)
	v_and_b32_e32 v167, s42, v36
	s_or_b32 exec_lo, exec_lo, s33
	s_and_saveexec_b32 s33, s26
	s_cbranch_execnz .LBB741_1127
.LBB741_1158:                           ;   in Loop: Header=BB741_990 Depth=2
	s_or_b32 exec_lo, exec_lo, s33
	s_and_saveexec_b32 s33, s27
	s_cbranch_execz .LBB741_1128
.LBB741_1159:                           ;   in Loop: Header=BB741_990 Depth=2
	ds_load_b64 v[36:37], v110 offset:22528
	s_waitcnt lgkmcnt(0)
	v_lshrrev_b64 v[36:37], s40, v[36:37]
	s_delay_alu instid0(VALU_DEP_1)
	v_and_b32_e32 v165, s42, v36
	s_or_b32 exec_lo, exec_lo, s33
	s_and_saveexec_b32 s33, s28
	s_cbranch_execnz .LBB741_1129
.LBB741_1160:                           ;   in Loop: Header=BB741_990 Depth=2
	s_or_b32 exec_lo, exec_lo, s33
	s_and_saveexec_b32 s33, s29
	s_cbranch_execz .LBB741_1130
.LBB741_1161:                           ;   in Loop: Header=BB741_990 Depth=2
	ds_load_b64 v[36:37], v110 offset:26624
	s_waitcnt lgkmcnt(0)
	v_lshrrev_b64 v[36:37], s40, v[36:37]
	s_delay_alu instid0(VALU_DEP_1)
	v_and_b32_e32 v163, s42, v36
	s_or_b32 exec_lo, exec_lo, s33
	s_and_saveexec_b32 s33, s30
	s_cbranch_execnz .LBB741_1131
.LBB741_1162:                           ;   in Loop: Header=BB741_990 Depth=2
	s_or_b32 exec_lo, exec_lo, s33
	s_and_saveexec_b32 s33, s31
	s_cbranch_execz .LBB741_1164
.LBB741_1163:                           ;   in Loop: Header=BB741_990 Depth=2
	ds_load_b64 v[36:37], v110 offset:30720
	s_waitcnt lgkmcnt(0)
	v_lshrrev_b64 v[36:37], s40, v[36:37]
	s_delay_alu instid0(VALU_DEP_1)
	v_and_b32_e32 v161, s42, v36
.LBB741_1164:                           ;   in Loop: Header=BB741_990 Depth=2
	s_or_b32 exec_lo, exec_lo, s33
	v_add_nc_u32_e32 v2, 0x400, v69
	v_add_nc_u32_e32 v36, 0x400, v70
	;; [unrolled: 1-line block ×16, first 2 shown]
	s_waitcnt vmcnt(0)
	s_waitcnt_vscnt null, 0x0
	s_barrier
	buffer_gl0_inv
	ds_store_b64 v2, v[34:35]
	ds_store_b64 v36, v[32:33]
	;; [unrolled: 1-line block ×16, first 2 shown]
	s_waitcnt lgkmcnt(0)
	s_barrier
	buffer_gl0_inv
	s_and_saveexec_b32 s33, vcc_lo
	s_cbranch_execz .LBB741_1180
; %bb.1165:                             ;   in Loop: Header=BB741_990 Depth=2
	v_lshlrev_b32_e32 v2, 2, v176
	ds_load_b32 v2, v2
	ds_load_b64 v[36:37], v38 offset:1024
	s_waitcnt lgkmcnt(1)
	v_add_nc_u32_e32 v2, v2, v1
	s_delay_alu instid0(VALU_DEP_1) | instskip(NEXT) | instid1(VALU_DEP_1)
	v_lshlrev_b64 v[38:39], 3, v[2:3]
	v_add_co_u32 v38, vcc_lo, s54, v38
	s_delay_alu instid0(VALU_DEP_2)
	v_add_co_ci_u32_e32 v39, vcc_lo, s55, v39, vcc_lo
	s_waitcnt lgkmcnt(0)
	global_store_b64 v[38:39], v[36:37], off
	s_or_b32 exec_lo, exec_lo, s33
	s_and_saveexec_b32 s33, s17
	s_cbranch_execnz .LBB741_1181
.LBB741_1166:                           ;   in Loop: Header=BB741_990 Depth=2
	s_or_b32 exec_lo, exec_lo, s33
	s_and_saveexec_b32 s17, s18
	s_cbranch_execz .LBB741_1182
.LBB741_1167:                           ;   in Loop: Header=BB741_990 Depth=2
	v_lshlrev_b32_e32 v2, 2, v174
	ds_load_b32 v2, v2
	ds_load_b64 v[36:37], v110 offset:4096
	s_waitcnt lgkmcnt(1)
	v_add_nc_u32_e32 v2, v2, v78
	s_delay_alu instid0(VALU_DEP_1) | instskip(NEXT) | instid1(VALU_DEP_1)
	v_lshlrev_b64 v[38:39], 3, v[2:3]
	v_add_co_u32 v38, vcc_lo, s54, v38
	s_delay_alu instid0(VALU_DEP_2)
	v_add_co_ci_u32_e32 v39, vcc_lo, s55, v39, vcc_lo
	s_waitcnt lgkmcnt(0)
	global_store_b64 v[38:39], v[36:37], off
	s_or_b32 exec_lo, exec_lo, s17
	s_and_saveexec_b32 s17, s19
	s_cbranch_execnz .LBB741_1183
.LBB741_1168:                           ;   in Loop: Header=BB741_990 Depth=2
	s_or_b32 exec_lo, exec_lo, s17
	s_and_saveexec_b32 s17, s20
	s_cbranch_execz .LBB741_1184
.LBB741_1169:                           ;   in Loop: Header=BB741_990 Depth=2
	v_lshlrev_b32_e32 v2, 2, v172
	ds_load_b32 v2, v2
	ds_load_b64 v[36:37], v110 offset:8192
	s_waitcnt lgkmcnt(1)
	v_add_nc_u32_e32 v2, v2, v83
	s_delay_alu instid0(VALU_DEP_1) | instskip(NEXT) | instid1(VALU_DEP_1)
	v_lshlrev_b64 v[38:39], 3, v[2:3]
	v_add_co_u32 v38, vcc_lo, s54, v38
	s_delay_alu instid0(VALU_DEP_2)
	v_add_co_ci_u32_e32 v39, vcc_lo, s55, v39, vcc_lo
	s_waitcnt lgkmcnt(0)
	global_store_b64 v[38:39], v[36:37], off
	s_or_b32 exec_lo, exec_lo, s17
	s_and_saveexec_b32 s17, s21
	s_cbranch_execnz .LBB741_1185
.LBB741_1170:                           ;   in Loop: Header=BB741_990 Depth=2
	s_or_b32 exec_lo, exec_lo, s17
	s_and_saveexec_b32 s17, s22
	s_cbranch_execz .LBB741_1186
.LBB741_1171:                           ;   in Loop: Header=BB741_990 Depth=2
	v_lshlrev_b32_e32 v2, 2, v170
	ds_load_b32 v2, v2
	ds_load_b64 v[36:37], v110 offset:12288
	s_waitcnt lgkmcnt(1)
	v_add_nc_u32_e32 v2, v2, v85
	s_delay_alu instid0(VALU_DEP_1) | instskip(NEXT) | instid1(VALU_DEP_1)
	v_lshlrev_b64 v[38:39], 3, v[2:3]
	v_add_co_u32 v38, vcc_lo, s54, v38
	s_delay_alu instid0(VALU_DEP_2)
	v_add_co_ci_u32_e32 v39, vcc_lo, s55, v39, vcc_lo
	s_waitcnt lgkmcnt(0)
	global_store_b64 v[38:39], v[36:37], off
	s_or_b32 exec_lo, exec_lo, s17
	s_and_saveexec_b32 s17, s23
	s_cbranch_execnz .LBB741_1187
.LBB741_1172:                           ;   in Loop: Header=BB741_990 Depth=2
	s_or_b32 exec_lo, exec_lo, s17
	s_and_saveexec_b32 s17, s24
	s_cbranch_execz .LBB741_1188
.LBB741_1173:                           ;   in Loop: Header=BB741_990 Depth=2
	v_lshlrev_b32_e32 v2, 2, v168
	ds_load_b32 v2, v2
	ds_load_b64 v[36:37], v110 offset:16384
	s_waitcnt lgkmcnt(1)
	v_add_nc_u32_e32 v2, v2, v87
	s_delay_alu instid0(VALU_DEP_1) | instskip(NEXT) | instid1(VALU_DEP_1)
	v_lshlrev_b64 v[38:39], 3, v[2:3]
	v_add_co_u32 v38, vcc_lo, s54, v38
	s_delay_alu instid0(VALU_DEP_2)
	v_add_co_ci_u32_e32 v39, vcc_lo, s55, v39, vcc_lo
	s_waitcnt lgkmcnt(0)
	global_store_b64 v[38:39], v[36:37], off
	s_or_b32 exec_lo, exec_lo, s17
	s_and_saveexec_b32 s17, s25
	s_cbranch_execnz .LBB741_1189
.LBB741_1174:                           ;   in Loop: Header=BB741_990 Depth=2
	s_or_b32 exec_lo, exec_lo, s17
	s_and_saveexec_b32 s17, s26
	s_cbranch_execz .LBB741_1190
.LBB741_1175:                           ;   in Loop: Header=BB741_990 Depth=2
	v_lshlrev_b32_e32 v2, 2, v166
	ds_load_b32 v2, v2
	ds_load_b64 v[36:37], v110 offset:20480
	s_waitcnt lgkmcnt(1)
	v_add_nc_u32_e32 v2, v2, v89
	s_delay_alu instid0(VALU_DEP_1) | instskip(NEXT) | instid1(VALU_DEP_1)
	v_lshlrev_b64 v[38:39], 3, v[2:3]
	v_add_co_u32 v38, vcc_lo, s54, v38
	s_delay_alu instid0(VALU_DEP_2)
	v_add_co_ci_u32_e32 v39, vcc_lo, s55, v39, vcc_lo
	s_waitcnt lgkmcnt(0)
	global_store_b64 v[38:39], v[36:37], off
	s_or_b32 exec_lo, exec_lo, s17
	s_and_saveexec_b32 s17, s27
	s_cbranch_execnz .LBB741_1191
.LBB741_1176:                           ;   in Loop: Header=BB741_990 Depth=2
	s_or_b32 exec_lo, exec_lo, s17
	s_and_saveexec_b32 s17, s28
	s_cbranch_execz .LBB741_1192
.LBB741_1177:                           ;   in Loop: Header=BB741_990 Depth=2
	v_lshlrev_b32_e32 v2, 2, v164
	ds_load_b32 v2, v2
	ds_load_b64 v[36:37], v110 offset:24576
	s_waitcnt lgkmcnt(1)
	v_add_nc_u32_e32 v2, v2, v91
	s_delay_alu instid0(VALU_DEP_1) | instskip(NEXT) | instid1(VALU_DEP_1)
	v_lshlrev_b64 v[38:39], 3, v[2:3]
	v_add_co_u32 v38, vcc_lo, s54, v38
	s_delay_alu instid0(VALU_DEP_2)
	v_add_co_ci_u32_e32 v39, vcc_lo, s55, v39, vcc_lo
	s_waitcnt lgkmcnt(0)
	global_store_b64 v[38:39], v[36:37], off
	s_or_b32 exec_lo, exec_lo, s17
	s_and_saveexec_b32 s17, s29
	s_cbranch_execnz .LBB741_1193
.LBB741_1178:                           ;   in Loop: Header=BB741_990 Depth=2
	s_or_b32 exec_lo, exec_lo, s17
	s_and_saveexec_b32 s17, s30
	s_cbranch_execz .LBB741_1194
.LBB741_1179:                           ;   in Loop: Header=BB741_990 Depth=2
	v_lshlrev_b32_e32 v2, 2, v162
	ds_load_b32 v2, v2
	ds_load_b64 v[36:37], v110 offset:28672
	s_waitcnt lgkmcnt(1)
	v_add_nc_u32_e32 v2, v2, v93
	s_delay_alu instid0(VALU_DEP_1) | instskip(NEXT) | instid1(VALU_DEP_1)
	v_lshlrev_b64 v[38:39], 3, v[2:3]
	v_add_co_u32 v38, vcc_lo, s54, v38
	s_delay_alu instid0(VALU_DEP_2)
	v_add_co_ci_u32_e32 v39, vcc_lo, s55, v39, vcc_lo
	s_waitcnt lgkmcnt(0)
	global_store_b64 v[38:39], v[36:37], off
	s_or_b32 exec_lo, exec_lo, s17
	s_and_saveexec_b32 s17, s31
	s_cbranch_execnz .LBB741_1195
	s_branch .LBB741_1196
.LBB741_1180:                           ;   in Loop: Header=BB741_990 Depth=2
	s_or_b32 exec_lo, exec_lo, s33
	s_and_saveexec_b32 s33, s17
	s_cbranch_execz .LBB741_1166
.LBB741_1181:                           ;   in Loop: Header=BB741_990 Depth=2
	v_lshlrev_b32_e32 v2, 2, v175
	ds_load_b32 v2, v2
	ds_load_b64 v[36:37], v110 offset:2048
	s_waitcnt lgkmcnt(1)
	v_add_nc_u32_e32 v2, v2, v77
	s_delay_alu instid0(VALU_DEP_1) | instskip(NEXT) | instid1(VALU_DEP_1)
	v_lshlrev_b64 v[38:39], 3, v[2:3]
	v_add_co_u32 v38, vcc_lo, s54, v38
	s_delay_alu instid0(VALU_DEP_2)
	v_add_co_ci_u32_e32 v39, vcc_lo, s55, v39, vcc_lo
	s_waitcnt lgkmcnt(0)
	global_store_b64 v[38:39], v[36:37], off
	s_or_b32 exec_lo, exec_lo, s33
	s_and_saveexec_b32 s17, s18
	s_cbranch_execnz .LBB741_1167
.LBB741_1182:                           ;   in Loop: Header=BB741_990 Depth=2
	s_or_b32 exec_lo, exec_lo, s17
	s_and_saveexec_b32 s17, s19
	s_cbranch_execz .LBB741_1168
.LBB741_1183:                           ;   in Loop: Header=BB741_990 Depth=2
	v_lshlrev_b32_e32 v2, 2, v173
	ds_load_b32 v2, v2
	ds_load_b64 v[36:37], v110 offset:6144
	s_waitcnt lgkmcnt(1)
	v_add_nc_u32_e32 v2, v2, v79
	s_delay_alu instid0(VALU_DEP_1) | instskip(NEXT) | instid1(VALU_DEP_1)
	v_lshlrev_b64 v[38:39], 3, v[2:3]
	v_add_co_u32 v38, vcc_lo, s54, v38
	s_delay_alu instid0(VALU_DEP_2)
	v_add_co_ci_u32_e32 v39, vcc_lo, s55, v39, vcc_lo
	s_waitcnt lgkmcnt(0)
	global_store_b64 v[38:39], v[36:37], off
	s_or_b32 exec_lo, exec_lo, s17
	s_and_saveexec_b32 s17, s20
	s_cbranch_execnz .LBB741_1169
.LBB741_1184:                           ;   in Loop: Header=BB741_990 Depth=2
	s_or_b32 exec_lo, exec_lo, s17
	s_and_saveexec_b32 s17, s21
	s_cbranch_execz .LBB741_1170
.LBB741_1185:                           ;   in Loop: Header=BB741_990 Depth=2
	v_lshlrev_b32_e32 v2, 2, v171
	ds_load_b32 v2, v2
	ds_load_b64 v[36:37], v110 offset:10240
	s_waitcnt lgkmcnt(1)
	v_add_nc_u32_e32 v2, v2, v84
	s_delay_alu instid0(VALU_DEP_1) | instskip(NEXT) | instid1(VALU_DEP_1)
	v_lshlrev_b64 v[38:39], 3, v[2:3]
	v_add_co_u32 v38, vcc_lo, s54, v38
	s_delay_alu instid0(VALU_DEP_2)
	v_add_co_ci_u32_e32 v39, vcc_lo, s55, v39, vcc_lo
	s_waitcnt lgkmcnt(0)
	global_store_b64 v[38:39], v[36:37], off
	s_or_b32 exec_lo, exec_lo, s17
	s_and_saveexec_b32 s17, s22
	s_cbranch_execnz .LBB741_1171
.LBB741_1186:                           ;   in Loop: Header=BB741_990 Depth=2
	s_or_b32 exec_lo, exec_lo, s17
	s_and_saveexec_b32 s17, s23
	s_cbranch_execz .LBB741_1172
.LBB741_1187:                           ;   in Loop: Header=BB741_990 Depth=2
	v_lshlrev_b32_e32 v2, 2, v169
	ds_load_b32 v2, v2
	ds_load_b64 v[36:37], v110 offset:14336
	s_waitcnt lgkmcnt(1)
	v_add_nc_u32_e32 v2, v2, v86
	s_delay_alu instid0(VALU_DEP_1) | instskip(NEXT) | instid1(VALU_DEP_1)
	v_lshlrev_b64 v[38:39], 3, v[2:3]
	v_add_co_u32 v38, vcc_lo, s54, v38
	s_delay_alu instid0(VALU_DEP_2)
	v_add_co_ci_u32_e32 v39, vcc_lo, s55, v39, vcc_lo
	s_waitcnt lgkmcnt(0)
	global_store_b64 v[38:39], v[36:37], off
	s_or_b32 exec_lo, exec_lo, s17
	s_and_saveexec_b32 s17, s24
	s_cbranch_execnz .LBB741_1173
.LBB741_1188:                           ;   in Loop: Header=BB741_990 Depth=2
	s_or_b32 exec_lo, exec_lo, s17
	s_and_saveexec_b32 s17, s25
	s_cbranch_execz .LBB741_1174
.LBB741_1189:                           ;   in Loop: Header=BB741_990 Depth=2
	v_lshlrev_b32_e32 v2, 2, v167
	ds_load_b32 v2, v2
	ds_load_b64 v[36:37], v110 offset:18432
	s_waitcnt lgkmcnt(1)
	v_add_nc_u32_e32 v2, v2, v88
	s_delay_alu instid0(VALU_DEP_1) | instskip(NEXT) | instid1(VALU_DEP_1)
	v_lshlrev_b64 v[38:39], 3, v[2:3]
	v_add_co_u32 v38, vcc_lo, s54, v38
	s_delay_alu instid0(VALU_DEP_2)
	v_add_co_ci_u32_e32 v39, vcc_lo, s55, v39, vcc_lo
	s_waitcnt lgkmcnt(0)
	global_store_b64 v[38:39], v[36:37], off
	s_or_b32 exec_lo, exec_lo, s17
	s_and_saveexec_b32 s17, s26
	s_cbranch_execnz .LBB741_1175
.LBB741_1190:                           ;   in Loop: Header=BB741_990 Depth=2
	s_or_b32 exec_lo, exec_lo, s17
	s_and_saveexec_b32 s17, s27
	s_cbranch_execz .LBB741_1176
.LBB741_1191:                           ;   in Loop: Header=BB741_990 Depth=2
	v_lshlrev_b32_e32 v2, 2, v165
	ds_load_b32 v2, v2
	ds_load_b64 v[36:37], v110 offset:22528
	s_waitcnt lgkmcnt(1)
	v_add_nc_u32_e32 v2, v2, v90
	s_delay_alu instid0(VALU_DEP_1) | instskip(NEXT) | instid1(VALU_DEP_1)
	v_lshlrev_b64 v[38:39], 3, v[2:3]
	v_add_co_u32 v38, vcc_lo, s54, v38
	s_delay_alu instid0(VALU_DEP_2)
	v_add_co_ci_u32_e32 v39, vcc_lo, s55, v39, vcc_lo
	s_waitcnt lgkmcnt(0)
	global_store_b64 v[38:39], v[36:37], off
	s_or_b32 exec_lo, exec_lo, s17
	s_and_saveexec_b32 s17, s28
	s_cbranch_execnz .LBB741_1177
.LBB741_1192:                           ;   in Loop: Header=BB741_990 Depth=2
	s_or_b32 exec_lo, exec_lo, s17
	s_and_saveexec_b32 s17, s29
	s_cbranch_execz .LBB741_1178
.LBB741_1193:                           ;   in Loop: Header=BB741_990 Depth=2
	v_lshlrev_b32_e32 v2, 2, v163
	ds_load_b32 v2, v2
	ds_load_b64 v[36:37], v110 offset:26624
	s_waitcnt lgkmcnt(1)
	v_add_nc_u32_e32 v2, v2, v92
	s_delay_alu instid0(VALU_DEP_1) | instskip(NEXT) | instid1(VALU_DEP_1)
	v_lshlrev_b64 v[38:39], 3, v[2:3]
	v_add_co_u32 v38, vcc_lo, s54, v38
	s_delay_alu instid0(VALU_DEP_2)
	v_add_co_ci_u32_e32 v39, vcc_lo, s55, v39, vcc_lo
	s_waitcnt lgkmcnt(0)
	global_store_b64 v[38:39], v[36:37], off
	s_or_b32 exec_lo, exec_lo, s17
	s_and_saveexec_b32 s17, s30
	s_cbranch_execnz .LBB741_1179
.LBB741_1194:                           ;   in Loop: Header=BB741_990 Depth=2
	s_or_b32 exec_lo, exec_lo, s17
	s_and_saveexec_b32 s17, s31
	s_cbranch_execz .LBB741_1196
.LBB741_1195:                           ;   in Loop: Header=BB741_990 Depth=2
	v_lshlrev_b32_e32 v2, 2, v161
	ds_load_b32 v2, v2
	ds_load_b64 v[36:37], v110 offset:30720
	s_waitcnt lgkmcnt(1)
	v_add_nc_u32_e32 v2, v2, v95
	s_delay_alu instid0(VALU_DEP_1) | instskip(NEXT) | instid1(VALU_DEP_1)
	v_lshlrev_b64 v[38:39], 3, v[2:3]
	v_add_co_u32 v38, vcc_lo, s54, v38
	s_delay_alu instid0(VALU_DEP_2)
	v_add_co_ci_u32_e32 v39, vcc_lo, s55, v39, vcc_lo
	s_waitcnt lgkmcnt(0)
	global_store_b64 v[38:39], v[36:37], off
.LBB741_1196:                           ;   in Loop: Header=BB741_990 Depth=2
	s_or_b32 exec_lo, exec_lo, s17
	s_waitcnt_vscnt null, 0x0
	s_barrier
	buffer_gl0_inv
	s_and_saveexec_b32 s17, s2
	s_cbranch_execz .LBB741_989
; %bb.1197:                             ;   in Loop: Header=BB741_990 Depth=2
	ds_load_b32 v2, v76
	s_waitcnt lgkmcnt(0)
	v_add_nc_u32_e32 v2, v2, v68
	ds_store_b32 v76, v2
	s_branch .LBB741_989
.LBB741_1198:
	s_endpgm
	.section	.rodata,"a",@progbits
	.p2align	6, 0x0
	.amdhsa_kernel _ZN7rocprim17ROCPRIM_400000_NS6detail17trampoline_kernelINS0_14default_configENS1_36segmented_radix_sort_config_selectorIllEEZNS1_25segmented_radix_sort_implIS3_Lb1EPKlPlS8_S9_N2at6native12_GLOBAL__N_18offset_tEEE10hipError_tPvRmT1_PNSt15iterator_traitsISH_E10value_typeET2_T3_PNSI_ISN_E10value_typeET4_jRbjT5_ST_jjP12ihipStream_tbEUlT_E2_NS1_11comp_targetILNS1_3genE9ELNS1_11target_archE1100ELNS1_3gpuE3ELNS1_3repE0EEENS1_30default_config_static_selectorELNS0_4arch9wavefront6targetE0EEEvSH_
		.amdhsa_group_segment_fixed_size 33824
		.amdhsa_private_segment_fixed_size 200
		.amdhsa_kernarg_size 336
		.amdhsa_user_sgpr_count 14
		.amdhsa_user_sgpr_dispatch_ptr 0
		.amdhsa_user_sgpr_queue_ptr 0
		.amdhsa_user_sgpr_kernarg_segment_ptr 1
		.amdhsa_user_sgpr_dispatch_id 0
		.amdhsa_user_sgpr_private_segment_size 0
		.amdhsa_wavefront_size32 1
		.amdhsa_uses_dynamic_stack 0
		.amdhsa_enable_private_segment 1
		.amdhsa_system_sgpr_workgroup_id_x 1
		.amdhsa_system_sgpr_workgroup_id_y 1
		.amdhsa_system_sgpr_workgroup_id_z 0
		.amdhsa_system_sgpr_workgroup_info 0
		.amdhsa_system_vgpr_workitem_id 2
		.amdhsa_next_free_vgpr 248
		.amdhsa_next_free_sgpr 63
		.amdhsa_reserve_vcc 1
		.amdhsa_float_round_mode_32 0
		.amdhsa_float_round_mode_16_64 0
		.amdhsa_float_denorm_mode_32 3
		.amdhsa_float_denorm_mode_16_64 3
		.amdhsa_dx10_clamp 1
		.amdhsa_ieee_mode 1
		.amdhsa_fp16_overflow 0
		.amdhsa_workgroup_processor_mode 1
		.amdhsa_memory_ordered 1
		.amdhsa_forward_progress 0
		.amdhsa_shared_vgpr_count 0
		.amdhsa_exception_fp_ieee_invalid_op 0
		.amdhsa_exception_fp_denorm_src 0
		.amdhsa_exception_fp_ieee_div_zero 0
		.amdhsa_exception_fp_ieee_overflow 0
		.amdhsa_exception_fp_ieee_underflow 0
		.amdhsa_exception_fp_ieee_inexact 0
		.amdhsa_exception_int_div_zero 0
	.end_amdhsa_kernel
	.section	.text._ZN7rocprim17ROCPRIM_400000_NS6detail17trampoline_kernelINS0_14default_configENS1_36segmented_radix_sort_config_selectorIllEEZNS1_25segmented_radix_sort_implIS3_Lb1EPKlPlS8_S9_N2at6native12_GLOBAL__N_18offset_tEEE10hipError_tPvRmT1_PNSt15iterator_traitsISH_E10value_typeET2_T3_PNSI_ISN_E10value_typeET4_jRbjT5_ST_jjP12ihipStream_tbEUlT_E2_NS1_11comp_targetILNS1_3genE9ELNS1_11target_archE1100ELNS1_3gpuE3ELNS1_3repE0EEENS1_30default_config_static_selectorELNS0_4arch9wavefront6targetE0EEEvSH_,"axG",@progbits,_ZN7rocprim17ROCPRIM_400000_NS6detail17trampoline_kernelINS0_14default_configENS1_36segmented_radix_sort_config_selectorIllEEZNS1_25segmented_radix_sort_implIS3_Lb1EPKlPlS8_S9_N2at6native12_GLOBAL__N_18offset_tEEE10hipError_tPvRmT1_PNSt15iterator_traitsISH_E10value_typeET2_T3_PNSI_ISN_E10value_typeET4_jRbjT5_ST_jjP12ihipStream_tbEUlT_E2_NS1_11comp_targetILNS1_3genE9ELNS1_11target_archE1100ELNS1_3gpuE3ELNS1_3repE0EEENS1_30default_config_static_selectorELNS0_4arch9wavefront6targetE0EEEvSH_,comdat
.Lfunc_end741:
	.size	_ZN7rocprim17ROCPRIM_400000_NS6detail17trampoline_kernelINS0_14default_configENS1_36segmented_radix_sort_config_selectorIllEEZNS1_25segmented_radix_sort_implIS3_Lb1EPKlPlS8_S9_N2at6native12_GLOBAL__N_18offset_tEEE10hipError_tPvRmT1_PNSt15iterator_traitsISH_E10value_typeET2_T3_PNSI_ISN_E10value_typeET4_jRbjT5_ST_jjP12ihipStream_tbEUlT_E2_NS1_11comp_targetILNS1_3genE9ELNS1_11target_archE1100ELNS1_3gpuE3ELNS1_3repE0EEENS1_30default_config_static_selectorELNS0_4arch9wavefront6targetE0EEEvSH_, .Lfunc_end741-_ZN7rocprim17ROCPRIM_400000_NS6detail17trampoline_kernelINS0_14default_configENS1_36segmented_radix_sort_config_selectorIllEEZNS1_25segmented_radix_sort_implIS3_Lb1EPKlPlS8_S9_N2at6native12_GLOBAL__N_18offset_tEEE10hipError_tPvRmT1_PNSt15iterator_traitsISH_E10value_typeET2_T3_PNSI_ISN_E10value_typeET4_jRbjT5_ST_jjP12ihipStream_tbEUlT_E2_NS1_11comp_targetILNS1_3genE9ELNS1_11target_archE1100ELNS1_3gpuE3ELNS1_3repE0EEENS1_30default_config_static_selectorELNS0_4arch9wavefront6targetE0EEEvSH_
                                        ; -- End function
	.section	.AMDGPU.csdata,"",@progbits
; Kernel info:
; codeLenInByte = 71348
; NumSgprs: 65
; NumVgprs: 248
; ScratchSize: 200
; MemoryBound: 0
; FloatMode: 240
; IeeeMode: 1
; LDSByteSize: 33824 bytes/workgroup (compile time only)
; SGPRBlocks: 8
; VGPRBlocks: 30
; NumSGPRsForWavesPerEU: 65
; NumVGPRsForWavesPerEU: 248
; Occupancy: 5
; WaveLimiterHint : 1
; COMPUTE_PGM_RSRC2:SCRATCH_EN: 1
; COMPUTE_PGM_RSRC2:USER_SGPR: 14
; COMPUTE_PGM_RSRC2:TRAP_HANDLER: 0
; COMPUTE_PGM_RSRC2:TGID_X_EN: 1
; COMPUTE_PGM_RSRC2:TGID_Y_EN: 1
; COMPUTE_PGM_RSRC2:TGID_Z_EN: 0
; COMPUTE_PGM_RSRC2:TIDIG_COMP_CNT: 2
	.section	.text._ZN7rocprim17ROCPRIM_400000_NS6detail17trampoline_kernelINS0_14default_configENS1_36segmented_radix_sort_config_selectorIllEEZNS1_25segmented_radix_sort_implIS3_Lb1EPKlPlS8_S9_N2at6native12_GLOBAL__N_18offset_tEEE10hipError_tPvRmT1_PNSt15iterator_traitsISH_E10value_typeET2_T3_PNSI_ISN_E10value_typeET4_jRbjT5_ST_jjP12ihipStream_tbEUlT_E2_NS1_11comp_targetILNS1_3genE8ELNS1_11target_archE1030ELNS1_3gpuE2ELNS1_3repE0EEENS1_30default_config_static_selectorELNS0_4arch9wavefront6targetE0EEEvSH_,"axG",@progbits,_ZN7rocprim17ROCPRIM_400000_NS6detail17trampoline_kernelINS0_14default_configENS1_36segmented_radix_sort_config_selectorIllEEZNS1_25segmented_radix_sort_implIS3_Lb1EPKlPlS8_S9_N2at6native12_GLOBAL__N_18offset_tEEE10hipError_tPvRmT1_PNSt15iterator_traitsISH_E10value_typeET2_T3_PNSI_ISN_E10value_typeET4_jRbjT5_ST_jjP12ihipStream_tbEUlT_E2_NS1_11comp_targetILNS1_3genE8ELNS1_11target_archE1030ELNS1_3gpuE2ELNS1_3repE0EEENS1_30default_config_static_selectorELNS0_4arch9wavefront6targetE0EEEvSH_,comdat
	.globl	_ZN7rocprim17ROCPRIM_400000_NS6detail17trampoline_kernelINS0_14default_configENS1_36segmented_radix_sort_config_selectorIllEEZNS1_25segmented_radix_sort_implIS3_Lb1EPKlPlS8_S9_N2at6native12_GLOBAL__N_18offset_tEEE10hipError_tPvRmT1_PNSt15iterator_traitsISH_E10value_typeET2_T3_PNSI_ISN_E10value_typeET4_jRbjT5_ST_jjP12ihipStream_tbEUlT_E2_NS1_11comp_targetILNS1_3genE8ELNS1_11target_archE1030ELNS1_3gpuE2ELNS1_3repE0EEENS1_30default_config_static_selectorELNS0_4arch9wavefront6targetE0EEEvSH_ ; -- Begin function _ZN7rocprim17ROCPRIM_400000_NS6detail17trampoline_kernelINS0_14default_configENS1_36segmented_radix_sort_config_selectorIllEEZNS1_25segmented_radix_sort_implIS3_Lb1EPKlPlS8_S9_N2at6native12_GLOBAL__N_18offset_tEEE10hipError_tPvRmT1_PNSt15iterator_traitsISH_E10value_typeET2_T3_PNSI_ISN_E10value_typeET4_jRbjT5_ST_jjP12ihipStream_tbEUlT_E2_NS1_11comp_targetILNS1_3genE8ELNS1_11target_archE1030ELNS1_3gpuE2ELNS1_3repE0EEENS1_30default_config_static_selectorELNS0_4arch9wavefront6targetE0EEEvSH_
	.p2align	8
	.type	_ZN7rocprim17ROCPRIM_400000_NS6detail17trampoline_kernelINS0_14default_configENS1_36segmented_radix_sort_config_selectorIllEEZNS1_25segmented_radix_sort_implIS3_Lb1EPKlPlS8_S9_N2at6native12_GLOBAL__N_18offset_tEEE10hipError_tPvRmT1_PNSt15iterator_traitsISH_E10value_typeET2_T3_PNSI_ISN_E10value_typeET4_jRbjT5_ST_jjP12ihipStream_tbEUlT_E2_NS1_11comp_targetILNS1_3genE8ELNS1_11target_archE1030ELNS1_3gpuE2ELNS1_3repE0EEENS1_30default_config_static_selectorELNS0_4arch9wavefront6targetE0EEEvSH_,@function
_ZN7rocprim17ROCPRIM_400000_NS6detail17trampoline_kernelINS0_14default_configENS1_36segmented_radix_sort_config_selectorIllEEZNS1_25segmented_radix_sort_implIS3_Lb1EPKlPlS8_S9_N2at6native12_GLOBAL__N_18offset_tEEE10hipError_tPvRmT1_PNSt15iterator_traitsISH_E10value_typeET2_T3_PNSI_ISN_E10value_typeET4_jRbjT5_ST_jjP12ihipStream_tbEUlT_E2_NS1_11comp_targetILNS1_3genE8ELNS1_11target_archE1030ELNS1_3gpuE2ELNS1_3repE0EEENS1_30default_config_static_selectorELNS0_4arch9wavefront6targetE0EEEvSH_: ; @_ZN7rocprim17ROCPRIM_400000_NS6detail17trampoline_kernelINS0_14default_configENS1_36segmented_radix_sort_config_selectorIllEEZNS1_25segmented_radix_sort_implIS3_Lb1EPKlPlS8_S9_N2at6native12_GLOBAL__N_18offset_tEEE10hipError_tPvRmT1_PNSt15iterator_traitsISH_E10value_typeET2_T3_PNSI_ISN_E10value_typeET4_jRbjT5_ST_jjP12ihipStream_tbEUlT_E2_NS1_11comp_targetILNS1_3genE8ELNS1_11target_archE1030ELNS1_3gpuE2ELNS1_3repE0EEENS1_30default_config_static_selectorELNS0_4arch9wavefront6targetE0EEEvSH_
; %bb.0:
	.section	.rodata,"a",@progbits
	.p2align	6, 0x0
	.amdhsa_kernel _ZN7rocprim17ROCPRIM_400000_NS6detail17trampoline_kernelINS0_14default_configENS1_36segmented_radix_sort_config_selectorIllEEZNS1_25segmented_radix_sort_implIS3_Lb1EPKlPlS8_S9_N2at6native12_GLOBAL__N_18offset_tEEE10hipError_tPvRmT1_PNSt15iterator_traitsISH_E10value_typeET2_T3_PNSI_ISN_E10value_typeET4_jRbjT5_ST_jjP12ihipStream_tbEUlT_E2_NS1_11comp_targetILNS1_3genE8ELNS1_11target_archE1030ELNS1_3gpuE2ELNS1_3repE0EEENS1_30default_config_static_selectorELNS0_4arch9wavefront6targetE0EEEvSH_
		.amdhsa_group_segment_fixed_size 0
		.amdhsa_private_segment_fixed_size 0
		.amdhsa_kernarg_size 80
		.amdhsa_user_sgpr_count 15
		.amdhsa_user_sgpr_dispatch_ptr 0
		.amdhsa_user_sgpr_queue_ptr 0
		.amdhsa_user_sgpr_kernarg_segment_ptr 1
		.amdhsa_user_sgpr_dispatch_id 0
		.amdhsa_user_sgpr_private_segment_size 0
		.amdhsa_wavefront_size32 1
		.amdhsa_uses_dynamic_stack 0
		.amdhsa_enable_private_segment 0
		.amdhsa_system_sgpr_workgroup_id_x 1
		.amdhsa_system_sgpr_workgroup_id_y 0
		.amdhsa_system_sgpr_workgroup_id_z 0
		.amdhsa_system_sgpr_workgroup_info 0
		.amdhsa_system_vgpr_workitem_id 0
		.amdhsa_next_free_vgpr 1
		.amdhsa_next_free_sgpr 1
		.amdhsa_reserve_vcc 0
		.amdhsa_float_round_mode_32 0
		.amdhsa_float_round_mode_16_64 0
		.amdhsa_float_denorm_mode_32 3
		.amdhsa_float_denorm_mode_16_64 3
		.amdhsa_dx10_clamp 1
		.amdhsa_ieee_mode 1
		.amdhsa_fp16_overflow 0
		.amdhsa_workgroup_processor_mode 1
		.amdhsa_memory_ordered 1
		.amdhsa_forward_progress 0
		.amdhsa_shared_vgpr_count 0
		.amdhsa_exception_fp_ieee_invalid_op 0
		.amdhsa_exception_fp_denorm_src 0
		.amdhsa_exception_fp_ieee_div_zero 0
		.amdhsa_exception_fp_ieee_overflow 0
		.amdhsa_exception_fp_ieee_underflow 0
		.amdhsa_exception_fp_ieee_inexact 0
		.amdhsa_exception_int_div_zero 0
	.end_amdhsa_kernel
	.section	.text._ZN7rocprim17ROCPRIM_400000_NS6detail17trampoline_kernelINS0_14default_configENS1_36segmented_radix_sort_config_selectorIllEEZNS1_25segmented_radix_sort_implIS3_Lb1EPKlPlS8_S9_N2at6native12_GLOBAL__N_18offset_tEEE10hipError_tPvRmT1_PNSt15iterator_traitsISH_E10value_typeET2_T3_PNSI_ISN_E10value_typeET4_jRbjT5_ST_jjP12ihipStream_tbEUlT_E2_NS1_11comp_targetILNS1_3genE8ELNS1_11target_archE1030ELNS1_3gpuE2ELNS1_3repE0EEENS1_30default_config_static_selectorELNS0_4arch9wavefront6targetE0EEEvSH_,"axG",@progbits,_ZN7rocprim17ROCPRIM_400000_NS6detail17trampoline_kernelINS0_14default_configENS1_36segmented_radix_sort_config_selectorIllEEZNS1_25segmented_radix_sort_implIS3_Lb1EPKlPlS8_S9_N2at6native12_GLOBAL__N_18offset_tEEE10hipError_tPvRmT1_PNSt15iterator_traitsISH_E10value_typeET2_T3_PNSI_ISN_E10value_typeET4_jRbjT5_ST_jjP12ihipStream_tbEUlT_E2_NS1_11comp_targetILNS1_3genE8ELNS1_11target_archE1030ELNS1_3gpuE2ELNS1_3repE0EEENS1_30default_config_static_selectorELNS0_4arch9wavefront6targetE0EEEvSH_,comdat
.Lfunc_end742:
	.size	_ZN7rocprim17ROCPRIM_400000_NS6detail17trampoline_kernelINS0_14default_configENS1_36segmented_radix_sort_config_selectorIllEEZNS1_25segmented_radix_sort_implIS3_Lb1EPKlPlS8_S9_N2at6native12_GLOBAL__N_18offset_tEEE10hipError_tPvRmT1_PNSt15iterator_traitsISH_E10value_typeET2_T3_PNSI_ISN_E10value_typeET4_jRbjT5_ST_jjP12ihipStream_tbEUlT_E2_NS1_11comp_targetILNS1_3genE8ELNS1_11target_archE1030ELNS1_3gpuE2ELNS1_3repE0EEENS1_30default_config_static_selectorELNS0_4arch9wavefront6targetE0EEEvSH_, .Lfunc_end742-_ZN7rocprim17ROCPRIM_400000_NS6detail17trampoline_kernelINS0_14default_configENS1_36segmented_radix_sort_config_selectorIllEEZNS1_25segmented_radix_sort_implIS3_Lb1EPKlPlS8_S9_N2at6native12_GLOBAL__N_18offset_tEEE10hipError_tPvRmT1_PNSt15iterator_traitsISH_E10value_typeET2_T3_PNSI_ISN_E10value_typeET4_jRbjT5_ST_jjP12ihipStream_tbEUlT_E2_NS1_11comp_targetILNS1_3genE8ELNS1_11target_archE1030ELNS1_3gpuE2ELNS1_3repE0EEENS1_30default_config_static_selectorELNS0_4arch9wavefront6targetE0EEEvSH_
                                        ; -- End function
	.section	.AMDGPU.csdata,"",@progbits
; Kernel info:
; codeLenInByte = 0
; NumSgprs: 0
; NumVgprs: 0
; ScratchSize: 0
; MemoryBound: 0
; FloatMode: 240
; IeeeMode: 1
; LDSByteSize: 0 bytes/workgroup (compile time only)
; SGPRBlocks: 0
; VGPRBlocks: 0
; NumSGPRsForWavesPerEU: 1
; NumVGPRsForWavesPerEU: 1
; Occupancy: 16
; WaveLimiterHint : 0
; COMPUTE_PGM_RSRC2:SCRATCH_EN: 0
; COMPUTE_PGM_RSRC2:USER_SGPR: 15
; COMPUTE_PGM_RSRC2:TRAP_HANDLER: 0
; COMPUTE_PGM_RSRC2:TGID_X_EN: 1
; COMPUTE_PGM_RSRC2:TGID_Y_EN: 0
; COMPUTE_PGM_RSRC2:TGID_Z_EN: 0
; COMPUTE_PGM_RSRC2:TIDIG_COMP_CNT: 0
	.section	.text._ZN7rocprim17ROCPRIM_400000_NS6detail17trampoline_kernelINS0_13select_configILj256ELj13ELNS0_17block_load_methodE3ELS4_3ELS4_3ELNS0_20block_scan_algorithmE0ELj4294967295EEENS1_25partition_config_selectorILNS1_17partition_subalgoE4EjNS0_10empty_typeEbEEZZNS1_14partition_implILS8_4ELb0ES6_15HIP_vector_typeIjLj2EENS0_17counting_iteratorIjlEEPS9_SG_NS0_5tupleIJPjSI_NS0_16reverse_iteratorISI_EEEEENSH_IJSG_SG_SG_EEES9_SI_JZNS1_25segmented_radix_sort_implINS0_14default_configELb0EPKlPlSQ_SR_N2at6native12_GLOBAL__N_18offset_tEEE10hipError_tPvRmT1_PNSt15iterator_traitsISZ_E10value_typeET2_T3_PNS10_IS15_E10value_typeET4_jRbjT5_S1B_jjP12ihipStream_tbEUljE_ZNSN_ISO_Lb0ESQ_SR_SQ_SR_SV_EESW_SX_SY_SZ_S13_S14_S15_S18_S19_jS1A_jS1B_S1B_jjS1D_bEUljE0_EEESW_SX_SY_S15_S19_S1B_T6_T7_T9_mT8_S1D_bDpT10_ENKUlT_T0_E_clISt17integral_constantIbLb0EES1R_EEDaS1M_S1N_EUlS1M_E_NS1_11comp_targetILNS1_3genE0ELNS1_11target_archE4294967295ELNS1_3gpuE0ELNS1_3repE0EEENS1_30default_config_static_selectorELNS0_4arch9wavefront6targetE0EEEvSZ_,"axG",@progbits,_ZN7rocprim17ROCPRIM_400000_NS6detail17trampoline_kernelINS0_13select_configILj256ELj13ELNS0_17block_load_methodE3ELS4_3ELS4_3ELNS0_20block_scan_algorithmE0ELj4294967295EEENS1_25partition_config_selectorILNS1_17partition_subalgoE4EjNS0_10empty_typeEbEEZZNS1_14partition_implILS8_4ELb0ES6_15HIP_vector_typeIjLj2EENS0_17counting_iteratorIjlEEPS9_SG_NS0_5tupleIJPjSI_NS0_16reverse_iteratorISI_EEEEENSH_IJSG_SG_SG_EEES9_SI_JZNS1_25segmented_radix_sort_implINS0_14default_configELb0EPKlPlSQ_SR_N2at6native12_GLOBAL__N_18offset_tEEE10hipError_tPvRmT1_PNSt15iterator_traitsISZ_E10value_typeET2_T3_PNS10_IS15_E10value_typeET4_jRbjT5_S1B_jjP12ihipStream_tbEUljE_ZNSN_ISO_Lb0ESQ_SR_SQ_SR_SV_EESW_SX_SY_SZ_S13_S14_S15_S18_S19_jS1A_jS1B_S1B_jjS1D_bEUljE0_EEESW_SX_SY_S15_S19_S1B_T6_T7_T9_mT8_S1D_bDpT10_ENKUlT_T0_E_clISt17integral_constantIbLb0EES1R_EEDaS1M_S1N_EUlS1M_E_NS1_11comp_targetILNS1_3genE0ELNS1_11target_archE4294967295ELNS1_3gpuE0ELNS1_3repE0EEENS1_30default_config_static_selectorELNS0_4arch9wavefront6targetE0EEEvSZ_,comdat
	.globl	_ZN7rocprim17ROCPRIM_400000_NS6detail17trampoline_kernelINS0_13select_configILj256ELj13ELNS0_17block_load_methodE3ELS4_3ELS4_3ELNS0_20block_scan_algorithmE0ELj4294967295EEENS1_25partition_config_selectorILNS1_17partition_subalgoE4EjNS0_10empty_typeEbEEZZNS1_14partition_implILS8_4ELb0ES6_15HIP_vector_typeIjLj2EENS0_17counting_iteratorIjlEEPS9_SG_NS0_5tupleIJPjSI_NS0_16reverse_iteratorISI_EEEEENSH_IJSG_SG_SG_EEES9_SI_JZNS1_25segmented_radix_sort_implINS0_14default_configELb0EPKlPlSQ_SR_N2at6native12_GLOBAL__N_18offset_tEEE10hipError_tPvRmT1_PNSt15iterator_traitsISZ_E10value_typeET2_T3_PNS10_IS15_E10value_typeET4_jRbjT5_S1B_jjP12ihipStream_tbEUljE_ZNSN_ISO_Lb0ESQ_SR_SQ_SR_SV_EESW_SX_SY_SZ_S13_S14_S15_S18_S19_jS1A_jS1B_S1B_jjS1D_bEUljE0_EEESW_SX_SY_S15_S19_S1B_T6_T7_T9_mT8_S1D_bDpT10_ENKUlT_T0_E_clISt17integral_constantIbLb0EES1R_EEDaS1M_S1N_EUlS1M_E_NS1_11comp_targetILNS1_3genE0ELNS1_11target_archE4294967295ELNS1_3gpuE0ELNS1_3repE0EEENS1_30default_config_static_selectorELNS0_4arch9wavefront6targetE0EEEvSZ_ ; -- Begin function _ZN7rocprim17ROCPRIM_400000_NS6detail17trampoline_kernelINS0_13select_configILj256ELj13ELNS0_17block_load_methodE3ELS4_3ELS4_3ELNS0_20block_scan_algorithmE0ELj4294967295EEENS1_25partition_config_selectorILNS1_17partition_subalgoE4EjNS0_10empty_typeEbEEZZNS1_14partition_implILS8_4ELb0ES6_15HIP_vector_typeIjLj2EENS0_17counting_iteratorIjlEEPS9_SG_NS0_5tupleIJPjSI_NS0_16reverse_iteratorISI_EEEEENSH_IJSG_SG_SG_EEES9_SI_JZNS1_25segmented_radix_sort_implINS0_14default_configELb0EPKlPlSQ_SR_N2at6native12_GLOBAL__N_18offset_tEEE10hipError_tPvRmT1_PNSt15iterator_traitsISZ_E10value_typeET2_T3_PNS10_IS15_E10value_typeET4_jRbjT5_S1B_jjP12ihipStream_tbEUljE_ZNSN_ISO_Lb0ESQ_SR_SQ_SR_SV_EESW_SX_SY_SZ_S13_S14_S15_S18_S19_jS1A_jS1B_S1B_jjS1D_bEUljE0_EEESW_SX_SY_S15_S19_S1B_T6_T7_T9_mT8_S1D_bDpT10_ENKUlT_T0_E_clISt17integral_constantIbLb0EES1R_EEDaS1M_S1N_EUlS1M_E_NS1_11comp_targetILNS1_3genE0ELNS1_11target_archE4294967295ELNS1_3gpuE0ELNS1_3repE0EEENS1_30default_config_static_selectorELNS0_4arch9wavefront6targetE0EEEvSZ_
	.p2align	8
	.type	_ZN7rocprim17ROCPRIM_400000_NS6detail17trampoline_kernelINS0_13select_configILj256ELj13ELNS0_17block_load_methodE3ELS4_3ELS4_3ELNS0_20block_scan_algorithmE0ELj4294967295EEENS1_25partition_config_selectorILNS1_17partition_subalgoE4EjNS0_10empty_typeEbEEZZNS1_14partition_implILS8_4ELb0ES6_15HIP_vector_typeIjLj2EENS0_17counting_iteratorIjlEEPS9_SG_NS0_5tupleIJPjSI_NS0_16reverse_iteratorISI_EEEEENSH_IJSG_SG_SG_EEES9_SI_JZNS1_25segmented_radix_sort_implINS0_14default_configELb0EPKlPlSQ_SR_N2at6native12_GLOBAL__N_18offset_tEEE10hipError_tPvRmT1_PNSt15iterator_traitsISZ_E10value_typeET2_T3_PNS10_IS15_E10value_typeET4_jRbjT5_S1B_jjP12ihipStream_tbEUljE_ZNSN_ISO_Lb0ESQ_SR_SQ_SR_SV_EESW_SX_SY_SZ_S13_S14_S15_S18_S19_jS1A_jS1B_S1B_jjS1D_bEUljE0_EEESW_SX_SY_S15_S19_S1B_T6_T7_T9_mT8_S1D_bDpT10_ENKUlT_T0_E_clISt17integral_constantIbLb0EES1R_EEDaS1M_S1N_EUlS1M_E_NS1_11comp_targetILNS1_3genE0ELNS1_11target_archE4294967295ELNS1_3gpuE0ELNS1_3repE0EEENS1_30default_config_static_selectorELNS0_4arch9wavefront6targetE0EEEvSZ_,@function
_ZN7rocprim17ROCPRIM_400000_NS6detail17trampoline_kernelINS0_13select_configILj256ELj13ELNS0_17block_load_methodE3ELS4_3ELS4_3ELNS0_20block_scan_algorithmE0ELj4294967295EEENS1_25partition_config_selectorILNS1_17partition_subalgoE4EjNS0_10empty_typeEbEEZZNS1_14partition_implILS8_4ELb0ES6_15HIP_vector_typeIjLj2EENS0_17counting_iteratorIjlEEPS9_SG_NS0_5tupleIJPjSI_NS0_16reverse_iteratorISI_EEEEENSH_IJSG_SG_SG_EEES9_SI_JZNS1_25segmented_radix_sort_implINS0_14default_configELb0EPKlPlSQ_SR_N2at6native12_GLOBAL__N_18offset_tEEE10hipError_tPvRmT1_PNSt15iterator_traitsISZ_E10value_typeET2_T3_PNS10_IS15_E10value_typeET4_jRbjT5_S1B_jjP12ihipStream_tbEUljE_ZNSN_ISO_Lb0ESQ_SR_SQ_SR_SV_EESW_SX_SY_SZ_S13_S14_S15_S18_S19_jS1A_jS1B_S1B_jjS1D_bEUljE0_EEESW_SX_SY_S15_S19_S1B_T6_T7_T9_mT8_S1D_bDpT10_ENKUlT_T0_E_clISt17integral_constantIbLb0EES1R_EEDaS1M_S1N_EUlS1M_E_NS1_11comp_targetILNS1_3genE0ELNS1_11target_archE4294967295ELNS1_3gpuE0ELNS1_3repE0EEENS1_30default_config_static_selectorELNS0_4arch9wavefront6targetE0EEEvSZ_: ; @_ZN7rocprim17ROCPRIM_400000_NS6detail17trampoline_kernelINS0_13select_configILj256ELj13ELNS0_17block_load_methodE3ELS4_3ELS4_3ELNS0_20block_scan_algorithmE0ELj4294967295EEENS1_25partition_config_selectorILNS1_17partition_subalgoE4EjNS0_10empty_typeEbEEZZNS1_14partition_implILS8_4ELb0ES6_15HIP_vector_typeIjLj2EENS0_17counting_iteratorIjlEEPS9_SG_NS0_5tupleIJPjSI_NS0_16reverse_iteratorISI_EEEEENSH_IJSG_SG_SG_EEES9_SI_JZNS1_25segmented_radix_sort_implINS0_14default_configELb0EPKlPlSQ_SR_N2at6native12_GLOBAL__N_18offset_tEEE10hipError_tPvRmT1_PNSt15iterator_traitsISZ_E10value_typeET2_T3_PNS10_IS15_E10value_typeET4_jRbjT5_S1B_jjP12ihipStream_tbEUljE_ZNSN_ISO_Lb0ESQ_SR_SQ_SR_SV_EESW_SX_SY_SZ_S13_S14_S15_S18_S19_jS1A_jS1B_S1B_jjS1D_bEUljE0_EEESW_SX_SY_S15_S19_S1B_T6_T7_T9_mT8_S1D_bDpT10_ENKUlT_T0_E_clISt17integral_constantIbLb0EES1R_EEDaS1M_S1N_EUlS1M_E_NS1_11comp_targetILNS1_3genE0ELNS1_11target_archE4294967295ELNS1_3gpuE0ELNS1_3repE0EEENS1_30default_config_static_selectorELNS0_4arch9wavefront6targetE0EEEvSZ_
; %bb.0:
	.section	.rodata,"a",@progbits
	.p2align	6, 0x0
	.amdhsa_kernel _ZN7rocprim17ROCPRIM_400000_NS6detail17trampoline_kernelINS0_13select_configILj256ELj13ELNS0_17block_load_methodE3ELS4_3ELS4_3ELNS0_20block_scan_algorithmE0ELj4294967295EEENS1_25partition_config_selectorILNS1_17partition_subalgoE4EjNS0_10empty_typeEbEEZZNS1_14partition_implILS8_4ELb0ES6_15HIP_vector_typeIjLj2EENS0_17counting_iteratorIjlEEPS9_SG_NS0_5tupleIJPjSI_NS0_16reverse_iteratorISI_EEEEENSH_IJSG_SG_SG_EEES9_SI_JZNS1_25segmented_radix_sort_implINS0_14default_configELb0EPKlPlSQ_SR_N2at6native12_GLOBAL__N_18offset_tEEE10hipError_tPvRmT1_PNSt15iterator_traitsISZ_E10value_typeET2_T3_PNS10_IS15_E10value_typeET4_jRbjT5_S1B_jjP12ihipStream_tbEUljE_ZNSN_ISO_Lb0ESQ_SR_SQ_SR_SV_EESW_SX_SY_SZ_S13_S14_S15_S18_S19_jS1A_jS1B_S1B_jjS1D_bEUljE0_EEESW_SX_SY_S15_S19_S1B_T6_T7_T9_mT8_S1D_bDpT10_ENKUlT_T0_E_clISt17integral_constantIbLb0EES1R_EEDaS1M_S1N_EUlS1M_E_NS1_11comp_targetILNS1_3genE0ELNS1_11target_archE4294967295ELNS1_3gpuE0ELNS1_3repE0EEENS1_30default_config_static_selectorELNS0_4arch9wavefront6targetE0EEEvSZ_
		.amdhsa_group_segment_fixed_size 0
		.amdhsa_private_segment_fixed_size 0
		.amdhsa_kernarg_size 176
		.amdhsa_user_sgpr_count 15
		.amdhsa_user_sgpr_dispatch_ptr 0
		.amdhsa_user_sgpr_queue_ptr 0
		.amdhsa_user_sgpr_kernarg_segment_ptr 1
		.amdhsa_user_sgpr_dispatch_id 0
		.amdhsa_user_sgpr_private_segment_size 0
		.amdhsa_wavefront_size32 1
		.amdhsa_uses_dynamic_stack 0
		.amdhsa_enable_private_segment 0
		.amdhsa_system_sgpr_workgroup_id_x 1
		.amdhsa_system_sgpr_workgroup_id_y 0
		.amdhsa_system_sgpr_workgroup_id_z 0
		.amdhsa_system_sgpr_workgroup_info 0
		.amdhsa_system_vgpr_workitem_id 0
		.amdhsa_next_free_vgpr 1
		.amdhsa_next_free_sgpr 1
		.amdhsa_reserve_vcc 0
		.amdhsa_float_round_mode_32 0
		.amdhsa_float_round_mode_16_64 0
		.amdhsa_float_denorm_mode_32 3
		.amdhsa_float_denorm_mode_16_64 3
		.amdhsa_dx10_clamp 1
		.amdhsa_ieee_mode 1
		.amdhsa_fp16_overflow 0
		.amdhsa_workgroup_processor_mode 1
		.amdhsa_memory_ordered 1
		.amdhsa_forward_progress 0
		.amdhsa_shared_vgpr_count 0
		.amdhsa_exception_fp_ieee_invalid_op 0
		.amdhsa_exception_fp_denorm_src 0
		.amdhsa_exception_fp_ieee_div_zero 0
		.amdhsa_exception_fp_ieee_overflow 0
		.amdhsa_exception_fp_ieee_underflow 0
		.amdhsa_exception_fp_ieee_inexact 0
		.amdhsa_exception_int_div_zero 0
	.end_amdhsa_kernel
	.section	.text._ZN7rocprim17ROCPRIM_400000_NS6detail17trampoline_kernelINS0_13select_configILj256ELj13ELNS0_17block_load_methodE3ELS4_3ELS4_3ELNS0_20block_scan_algorithmE0ELj4294967295EEENS1_25partition_config_selectorILNS1_17partition_subalgoE4EjNS0_10empty_typeEbEEZZNS1_14partition_implILS8_4ELb0ES6_15HIP_vector_typeIjLj2EENS0_17counting_iteratorIjlEEPS9_SG_NS0_5tupleIJPjSI_NS0_16reverse_iteratorISI_EEEEENSH_IJSG_SG_SG_EEES9_SI_JZNS1_25segmented_radix_sort_implINS0_14default_configELb0EPKlPlSQ_SR_N2at6native12_GLOBAL__N_18offset_tEEE10hipError_tPvRmT1_PNSt15iterator_traitsISZ_E10value_typeET2_T3_PNS10_IS15_E10value_typeET4_jRbjT5_S1B_jjP12ihipStream_tbEUljE_ZNSN_ISO_Lb0ESQ_SR_SQ_SR_SV_EESW_SX_SY_SZ_S13_S14_S15_S18_S19_jS1A_jS1B_S1B_jjS1D_bEUljE0_EEESW_SX_SY_S15_S19_S1B_T6_T7_T9_mT8_S1D_bDpT10_ENKUlT_T0_E_clISt17integral_constantIbLb0EES1R_EEDaS1M_S1N_EUlS1M_E_NS1_11comp_targetILNS1_3genE0ELNS1_11target_archE4294967295ELNS1_3gpuE0ELNS1_3repE0EEENS1_30default_config_static_selectorELNS0_4arch9wavefront6targetE0EEEvSZ_,"axG",@progbits,_ZN7rocprim17ROCPRIM_400000_NS6detail17trampoline_kernelINS0_13select_configILj256ELj13ELNS0_17block_load_methodE3ELS4_3ELS4_3ELNS0_20block_scan_algorithmE0ELj4294967295EEENS1_25partition_config_selectorILNS1_17partition_subalgoE4EjNS0_10empty_typeEbEEZZNS1_14partition_implILS8_4ELb0ES6_15HIP_vector_typeIjLj2EENS0_17counting_iteratorIjlEEPS9_SG_NS0_5tupleIJPjSI_NS0_16reverse_iteratorISI_EEEEENSH_IJSG_SG_SG_EEES9_SI_JZNS1_25segmented_radix_sort_implINS0_14default_configELb0EPKlPlSQ_SR_N2at6native12_GLOBAL__N_18offset_tEEE10hipError_tPvRmT1_PNSt15iterator_traitsISZ_E10value_typeET2_T3_PNS10_IS15_E10value_typeET4_jRbjT5_S1B_jjP12ihipStream_tbEUljE_ZNSN_ISO_Lb0ESQ_SR_SQ_SR_SV_EESW_SX_SY_SZ_S13_S14_S15_S18_S19_jS1A_jS1B_S1B_jjS1D_bEUljE0_EEESW_SX_SY_S15_S19_S1B_T6_T7_T9_mT8_S1D_bDpT10_ENKUlT_T0_E_clISt17integral_constantIbLb0EES1R_EEDaS1M_S1N_EUlS1M_E_NS1_11comp_targetILNS1_3genE0ELNS1_11target_archE4294967295ELNS1_3gpuE0ELNS1_3repE0EEENS1_30default_config_static_selectorELNS0_4arch9wavefront6targetE0EEEvSZ_,comdat
.Lfunc_end743:
	.size	_ZN7rocprim17ROCPRIM_400000_NS6detail17trampoline_kernelINS0_13select_configILj256ELj13ELNS0_17block_load_methodE3ELS4_3ELS4_3ELNS0_20block_scan_algorithmE0ELj4294967295EEENS1_25partition_config_selectorILNS1_17partition_subalgoE4EjNS0_10empty_typeEbEEZZNS1_14partition_implILS8_4ELb0ES6_15HIP_vector_typeIjLj2EENS0_17counting_iteratorIjlEEPS9_SG_NS0_5tupleIJPjSI_NS0_16reverse_iteratorISI_EEEEENSH_IJSG_SG_SG_EEES9_SI_JZNS1_25segmented_radix_sort_implINS0_14default_configELb0EPKlPlSQ_SR_N2at6native12_GLOBAL__N_18offset_tEEE10hipError_tPvRmT1_PNSt15iterator_traitsISZ_E10value_typeET2_T3_PNS10_IS15_E10value_typeET4_jRbjT5_S1B_jjP12ihipStream_tbEUljE_ZNSN_ISO_Lb0ESQ_SR_SQ_SR_SV_EESW_SX_SY_SZ_S13_S14_S15_S18_S19_jS1A_jS1B_S1B_jjS1D_bEUljE0_EEESW_SX_SY_S15_S19_S1B_T6_T7_T9_mT8_S1D_bDpT10_ENKUlT_T0_E_clISt17integral_constantIbLb0EES1R_EEDaS1M_S1N_EUlS1M_E_NS1_11comp_targetILNS1_3genE0ELNS1_11target_archE4294967295ELNS1_3gpuE0ELNS1_3repE0EEENS1_30default_config_static_selectorELNS0_4arch9wavefront6targetE0EEEvSZ_, .Lfunc_end743-_ZN7rocprim17ROCPRIM_400000_NS6detail17trampoline_kernelINS0_13select_configILj256ELj13ELNS0_17block_load_methodE3ELS4_3ELS4_3ELNS0_20block_scan_algorithmE0ELj4294967295EEENS1_25partition_config_selectorILNS1_17partition_subalgoE4EjNS0_10empty_typeEbEEZZNS1_14partition_implILS8_4ELb0ES6_15HIP_vector_typeIjLj2EENS0_17counting_iteratorIjlEEPS9_SG_NS0_5tupleIJPjSI_NS0_16reverse_iteratorISI_EEEEENSH_IJSG_SG_SG_EEES9_SI_JZNS1_25segmented_radix_sort_implINS0_14default_configELb0EPKlPlSQ_SR_N2at6native12_GLOBAL__N_18offset_tEEE10hipError_tPvRmT1_PNSt15iterator_traitsISZ_E10value_typeET2_T3_PNS10_IS15_E10value_typeET4_jRbjT5_S1B_jjP12ihipStream_tbEUljE_ZNSN_ISO_Lb0ESQ_SR_SQ_SR_SV_EESW_SX_SY_SZ_S13_S14_S15_S18_S19_jS1A_jS1B_S1B_jjS1D_bEUljE0_EEESW_SX_SY_S15_S19_S1B_T6_T7_T9_mT8_S1D_bDpT10_ENKUlT_T0_E_clISt17integral_constantIbLb0EES1R_EEDaS1M_S1N_EUlS1M_E_NS1_11comp_targetILNS1_3genE0ELNS1_11target_archE4294967295ELNS1_3gpuE0ELNS1_3repE0EEENS1_30default_config_static_selectorELNS0_4arch9wavefront6targetE0EEEvSZ_
                                        ; -- End function
	.section	.AMDGPU.csdata,"",@progbits
; Kernel info:
; codeLenInByte = 0
; NumSgprs: 0
; NumVgprs: 0
; ScratchSize: 0
; MemoryBound: 0
; FloatMode: 240
; IeeeMode: 1
; LDSByteSize: 0 bytes/workgroup (compile time only)
; SGPRBlocks: 0
; VGPRBlocks: 0
; NumSGPRsForWavesPerEU: 1
; NumVGPRsForWavesPerEU: 1
; Occupancy: 16
; WaveLimiterHint : 0
; COMPUTE_PGM_RSRC2:SCRATCH_EN: 0
; COMPUTE_PGM_RSRC2:USER_SGPR: 15
; COMPUTE_PGM_RSRC2:TRAP_HANDLER: 0
; COMPUTE_PGM_RSRC2:TGID_X_EN: 1
; COMPUTE_PGM_RSRC2:TGID_Y_EN: 0
; COMPUTE_PGM_RSRC2:TGID_Z_EN: 0
; COMPUTE_PGM_RSRC2:TIDIG_COMP_CNT: 0
	.section	.text._ZN7rocprim17ROCPRIM_400000_NS6detail17trampoline_kernelINS0_13select_configILj256ELj13ELNS0_17block_load_methodE3ELS4_3ELS4_3ELNS0_20block_scan_algorithmE0ELj4294967295EEENS1_25partition_config_selectorILNS1_17partition_subalgoE4EjNS0_10empty_typeEbEEZZNS1_14partition_implILS8_4ELb0ES6_15HIP_vector_typeIjLj2EENS0_17counting_iteratorIjlEEPS9_SG_NS0_5tupleIJPjSI_NS0_16reverse_iteratorISI_EEEEENSH_IJSG_SG_SG_EEES9_SI_JZNS1_25segmented_radix_sort_implINS0_14default_configELb0EPKlPlSQ_SR_N2at6native12_GLOBAL__N_18offset_tEEE10hipError_tPvRmT1_PNSt15iterator_traitsISZ_E10value_typeET2_T3_PNS10_IS15_E10value_typeET4_jRbjT5_S1B_jjP12ihipStream_tbEUljE_ZNSN_ISO_Lb0ESQ_SR_SQ_SR_SV_EESW_SX_SY_SZ_S13_S14_S15_S18_S19_jS1A_jS1B_S1B_jjS1D_bEUljE0_EEESW_SX_SY_S15_S19_S1B_T6_T7_T9_mT8_S1D_bDpT10_ENKUlT_T0_E_clISt17integral_constantIbLb0EES1R_EEDaS1M_S1N_EUlS1M_E_NS1_11comp_targetILNS1_3genE5ELNS1_11target_archE942ELNS1_3gpuE9ELNS1_3repE0EEENS1_30default_config_static_selectorELNS0_4arch9wavefront6targetE0EEEvSZ_,"axG",@progbits,_ZN7rocprim17ROCPRIM_400000_NS6detail17trampoline_kernelINS0_13select_configILj256ELj13ELNS0_17block_load_methodE3ELS4_3ELS4_3ELNS0_20block_scan_algorithmE0ELj4294967295EEENS1_25partition_config_selectorILNS1_17partition_subalgoE4EjNS0_10empty_typeEbEEZZNS1_14partition_implILS8_4ELb0ES6_15HIP_vector_typeIjLj2EENS0_17counting_iteratorIjlEEPS9_SG_NS0_5tupleIJPjSI_NS0_16reverse_iteratorISI_EEEEENSH_IJSG_SG_SG_EEES9_SI_JZNS1_25segmented_radix_sort_implINS0_14default_configELb0EPKlPlSQ_SR_N2at6native12_GLOBAL__N_18offset_tEEE10hipError_tPvRmT1_PNSt15iterator_traitsISZ_E10value_typeET2_T3_PNS10_IS15_E10value_typeET4_jRbjT5_S1B_jjP12ihipStream_tbEUljE_ZNSN_ISO_Lb0ESQ_SR_SQ_SR_SV_EESW_SX_SY_SZ_S13_S14_S15_S18_S19_jS1A_jS1B_S1B_jjS1D_bEUljE0_EEESW_SX_SY_S15_S19_S1B_T6_T7_T9_mT8_S1D_bDpT10_ENKUlT_T0_E_clISt17integral_constantIbLb0EES1R_EEDaS1M_S1N_EUlS1M_E_NS1_11comp_targetILNS1_3genE5ELNS1_11target_archE942ELNS1_3gpuE9ELNS1_3repE0EEENS1_30default_config_static_selectorELNS0_4arch9wavefront6targetE0EEEvSZ_,comdat
	.globl	_ZN7rocprim17ROCPRIM_400000_NS6detail17trampoline_kernelINS0_13select_configILj256ELj13ELNS0_17block_load_methodE3ELS4_3ELS4_3ELNS0_20block_scan_algorithmE0ELj4294967295EEENS1_25partition_config_selectorILNS1_17partition_subalgoE4EjNS0_10empty_typeEbEEZZNS1_14partition_implILS8_4ELb0ES6_15HIP_vector_typeIjLj2EENS0_17counting_iteratorIjlEEPS9_SG_NS0_5tupleIJPjSI_NS0_16reverse_iteratorISI_EEEEENSH_IJSG_SG_SG_EEES9_SI_JZNS1_25segmented_radix_sort_implINS0_14default_configELb0EPKlPlSQ_SR_N2at6native12_GLOBAL__N_18offset_tEEE10hipError_tPvRmT1_PNSt15iterator_traitsISZ_E10value_typeET2_T3_PNS10_IS15_E10value_typeET4_jRbjT5_S1B_jjP12ihipStream_tbEUljE_ZNSN_ISO_Lb0ESQ_SR_SQ_SR_SV_EESW_SX_SY_SZ_S13_S14_S15_S18_S19_jS1A_jS1B_S1B_jjS1D_bEUljE0_EEESW_SX_SY_S15_S19_S1B_T6_T7_T9_mT8_S1D_bDpT10_ENKUlT_T0_E_clISt17integral_constantIbLb0EES1R_EEDaS1M_S1N_EUlS1M_E_NS1_11comp_targetILNS1_3genE5ELNS1_11target_archE942ELNS1_3gpuE9ELNS1_3repE0EEENS1_30default_config_static_selectorELNS0_4arch9wavefront6targetE0EEEvSZ_ ; -- Begin function _ZN7rocprim17ROCPRIM_400000_NS6detail17trampoline_kernelINS0_13select_configILj256ELj13ELNS0_17block_load_methodE3ELS4_3ELS4_3ELNS0_20block_scan_algorithmE0ELj4294967295EEENS1_25partition_config_selectorILNS1_17partition_subalgoE4EjNS0_10empty_typeEbEEZZNS1_14partition_implILS8_4ELb0ES6_15HIP_vector_typeIjLj2EENS0_17counting_iteratorIjlEEPS9_SG_NS0_5tupleIJPjSI_NS0_16reverse_iteratorISI_EEEEENSH_IJSG_SG_SG_EEES9_SI_JZNS1_25segmented_radix_sort_implINS0_14default_configELb0EPKlPlSQ_SR_N2at6native12_GLOBAL__N_18offset_tEEE10hipError_tPvRmT1_PNSt15iterator_traitsISZ_E10value_typeET2_T3_PNS10_IS15_E10value_typeET4_jRbjT5_S1B_jjP12ihipStream_tbEUljE_ZNSN_ISO_Lb0ESQ_SR_SQ_SR_SV_EESW_SX_SY_SZ_S13_S14_S15_S18_S19_jS1A_jS1B_S1B_jjS1D_bEUljE0_EEESW_SX_SY_S15_S19_S1B_T6_T7_T9_mT8_S1D_bDpT10_ENKUlT_T0_E_clISt17integral_constantIbLb0EES1R_EEDaS1M_S1N_EUlS1M_E_NS1_11comp_targetILNS1_3genE5ELNS1_11target_archE942ELNS1_3gpuE9ELNS1_3repE0EEENS1_30default_config_static_selectorELNS0_4arch9wavefront6targetE0EEEvSZ_
	.p2align	8
	.type	_ZN7rocprim17ROCPRIM_400000_NS6detail17trampoline_kernelINS0_13select_configILj256ELj13ELNS0_17block_load_methodE3ELS4_3ELS4_3ELNS0_20block_scan_algorithmE0ELj4294967295EEENS1_25partition_config_selectorILNS1_17partition_subalgoE4EjNS0_10empty_typeEbEEZZNS1_14partition_implILS8_4ELb0ES6_15HIP_vector_typeIjLj2EENS0_17counting_iteratorIjlEEPS9_SG_NS0_5tupleIJPjSI_NS0_16reverse_iteratorISI_EEEEENSH_IJSG_SG_SG_EEES9_SI_JZNS1_25segmented_radix_sort_implINS0_14default_configELb0EPKlPlSQ_SR_N2at6native12_GLOBAL__N_18offset_tEEE10hipError_tPvRmT1_PNSt15iterator_traitsISZ_E10value_typeET2_T3_PNS10_IS15_E10value_typeET4_jRbjT5_S1B_jjP12ihipStream_tbEUljE_ZNSN_ISO_Lb0ESQ_SR_SQ_SR_SV_EESW_SX_SY_SZ_S13_S14_S15_S18_S19_jS1A_jS1B_S1B_jjS1D_bEUljE0_EEESW_SX_SY_S15_S19_S1B_T6_T7_T9_mT8_S1D_bDpT10_ENKUlT_T0_E_clISt17integral_constantIbLb0EES1R_EEDaS1M_S1N_EUlS1M_E_NS1_11comp_targetILNS1_3genE5ELNS1_11target_archE942ELNS1_3gpuE9ELNS1_3repE0EEENS1_30default_config_static_selectorELNS0_4arch9wavefront6targetE0EEEvSZ_,@function
_ZN7rocprim17ROCPRIM_400000_NS6detail17trampoline_kernelINS0_13select_configILj256ELj13ELNS0_17block_load_methodE3ELS4_3ELS4_3ELNS0_20block_scan_algorithmE0ELj4294967295EEENS1_25partition_config_selectorILNS1_17partition_subalgoE4EjNS0_10empty_typeEbEEZZNS1_14partition_implILS8_4ELb0ES6_15HIP_vector_typeIjLj2EENS0_17counting_iteratorIjlEEPS9_SG_NS0_5tupleIJPjSI_NS0_16reverse_iteratorISI_EEEEENSH_IJSG_SG_SG_EEES9_SI_JZNS1_25segmented_radix_sort_implINS0_14default_configELb0EPKlPlSQ_SR_N2at6native12_GLOBAL__N_18offset_tEEE10hipError_tPvRmT1_PNSt15iterator_traitsISZ_E10value_typeET2_T3_PNS10_IS15_E10value_typeET4_jRbjT5_S1B_jjP12ihipStream_tbEUljE_ZNSN_ISO_Lb0ESQ_SR_SQ_SR_SV_EESW_SX_SY_SZ_S13_S14_S15_S18_S19_jS1A_jS1B_S1B_jjS1D_bEUljE0_EEESW_SX_SY_S15_S19_S1B_T6_T7_T9_mT8_S1D_bDpT10_ENKUlT_T0_E_clISt17integral_constantIbLb0EES1R_EEDaS1M_S1N_EUlS1M_E_NS1_11comp_targetILNS1_3genE5ELNS1_11target_archE942ELNS1_3gpuE9ELNS1_3repE0EEENS1_30default_config_static_selectorELNS0_4arch9wavefront6targetE0EEEvSZ_: ; @_ZN7rocprim17ROCPRIM_400000_NS6detail17trampoline_kernelINS0_13select_configILj256ELj13ELNS0_17block_load_methodE3ELS4_3ELS4_3ELNS0_20block_scan_algorithmE0ELj4294967295EEENS1_25partition_config_selectorILNS1_17partition_subalgoE4EjNS0_10empty_typeEbEEZZNS1_14partition_implILS8_4ELb0ES6_15HIP_vector_typeIjLj2EENS0_17counting_iteratorIjlEEPS9_SG_NS0_5tupleIJPjSI_NS0_16reverse_iteratorISI_EEEEENSH_IJSG_SG_SG_EEES9_SI_JZNS1_25segmented_radix_sort_implINS0_14default_configELb0EPKlPlSQ_SR_N2at6native12_GLOBAL__N_18offset_tEEE10hipError_tPvRmT1_PNSt15iterator_traitsISZ_E10value_typeET2_T3_PNS10_IS15_E10value_typeET4_jRbjT5_S1B_jjP12ihipStream_tbEUljE_ZNSN_ISO_Lb0ESQ_SR_SQ_SR_SV_EESW_SX_SY_SZ_S13_S14_S15_S18_S19_jS1A_jS1B_S1B_jjS1D_bEUljE0_EEESW_SX_SY_S15_S19_S1B_T6_T7_T9_mT8_S1D_bDpT10_ENKUlT_T0_E_clISt17integral_constantIbLb0EES1R_EEDaS1M_S1N_EUlS1M_E_NS1_11comp_targetILNS1_3genE5ELNS1_11target_archE942ELNS1_3gpuE9ELNS1_3repE0EEENS1_30default_config_static_selectorELNS0_4arch9wavefront6targetE0EEEvSZ_
; %bb.0:
	.section	.rodata,"a",@progbits
	.p2align	6, 0x0
	.amdhsa_kernel _ZN7rocprim17ROCPRIM_400000_NS6detail17trampoline_kernelINS0_13select_configILj256ELj13ELNS0_17block_load_methodE3ELS4_3ELS4_3ELNS0_20block_scan_algorithmE0ELj4294967295EEENS1_25partition_config_selectorILNS1_17partition_subalgoE4EjNS0_10empty_typeEbEEZZNS1_14partition_implILS8_4ELb0ES6_15HIP_vector_typeIjLj2EENS0_17counting_iteratorIjlEEPS9_SG_NS0_5tupleIJPjSI_NS0_16reverse_iteratorISI_EEEEENSH_IJSG_SG_SG_EEES9_SI_JZNS1_25segmented_radix_sort_implINS0_14default_configELb0EPKlPlSQ_SR_N2at6native12_GLOBAL__N_18offset_tEEE10hipError_tPvRmT1_PNSt15iterator_traitsISZ_E10value_typeET2_T3_PNS10_IS15_E10value_typeET4_jRbjT5_S1B_jjP12ihipStream_tbEUljE_ZNSN_ISO_Lb0ESQ_SR_SQ_SR_SV_EESW_SX_SY_SZ_S13_S14_S15_S18_S19_jS1A_jS1B_S1B_jjS1D_bEUljE0_EEESW_SX_SY_S15_S19_S1B_T6_T7_T9_mT8_S1D_bDpT10_ENKUlT_T0_E_clISt17integral_constantIbLb0EES1R_EEDaS1M_S1N_EUlS1M_E_NS1_11comp_targetILNS1_3genE5ELNS1_11target_archE942ELNS1_3gpuE9ELNS1_3repE0EEENS1_30default_config_static_selectorELNS0_4arch9wavefront6targetE0EEEvSZ_
		.amdhsa_group_segment_fixed_size 0
		.amdhsa_private_segment_fixed_size 0
		.amdhsa_kernarg_size 176
		.amdhsa_user_sgpr_count 15
		.amdhsa_user_sgpr_dispatch_ptr 0
		.amdhsa_user_sgpr_queue_ptr 0
		.amdhsa_user_sgpr_kernarg_segment_ptr 1
		.amdhsa_user_sgpr_dispatch_id 0
		.amdhsa_user_sgpr_private_segment_size 0
		.amdhsa_wavefront_size32 1
		.amdhsa_uses_dynamic_stack 0
		.amdhsa_enable_private_segment 0
		.amdhsa_system_sgpr_workgroup_id_x 1
		.amdhsa_system_sgpr_workgroup_id_y 0
		.amdhsa_system_sgpr_workgroup_id_z 0
		.amdhsa_system_sgpr_workgroup_info 0
		.amdhsa_system_vgpr_workitem_id 0
		.amdhsa_next_free_vgpr 1
		.amdhsa_next_free_sgpr 1
		.amdhsa_reserve_vcc 0
		.amdhsa_float_round_mode_32 0
		.amdhsa_float_round_mode_16_64 0
		.amdhsa_float_denorm_mode_32 3
		.amdhsa_float_denorm_mode_16_64 3
		.amdhsa_dx10_clamp 1
		.amdhsa_ieee_mode 1
		.amdhsa_fp16_overflow 0
		.amdhsa_workgroup_processor_mode 1
		.amdhsa_memory_ordered 1
		.amdhsa_forward_progress 0
		.amdhsa_shared_vgpr_count 0
		.amdhsa_exception_fp_ieee_invalid_op 0
		.amdhsa_exception_fp_denorm_src 0
		.amdhsa_exception_fp_ieee_div_zero 0
		.amdhsa_exception_fp_ieee_overflow 0
		.amdhsa_exception_fp_ieee_underflow 0
		.amdhsa_exception_fp_ieee_inexact 0
		.amdhsa_exception_int_div_zero 0
	.end_amdhsa_kernel
	.section	.text._ZN7rocprim17ROCPRIM_400000_NS6detail17trampoline_kernelINS0_13select_configILj256ELj13ELNS0_17block_load_methodE3ELS4_3ELS4_3ELNS0_20block_scan_algorithmE0ELj4294967295EEENS1_25partition_config_selectorILNS1_17partition_subalgoE4EjNS0_10empty_typeEbEEZZNS1_14partition_implILS8_4ELb0ES6_15HIP_vector_typeIjLj2EENS0_17counting_iteratorIjlEEPS9_SG_NS0_5tupleIJPjSI_NS0_16reverse_iteratorISI_EEEEENSH_IJSG_SG_SG_EEES9_SI_JZNS1_25segmented_radix_sort_implINS0_14default_configELb0EPKlPlSQ_SR_N2at6native12_GLOBAL__N_18offset_tEEE10hipError_tPvRmT1_PNSt15iterator_traitsISZ_E10value_typeET2_T3_PNS10_IS15_E10value_typeET4_jRbjT5_S1B_jjP12ihipStream_tbEUljE_ZNSN_ISO_Lb0ESQ_SR_SQ_SR_SV_EESW_SX_SY_SZ_S13_S14_S15_S18_S19_jS1A_jS1B_S1B_jjS1D_bEUljE0_EEESW_SX_SY_S15_S19_S1B_T6_T7_T9_mT8_S1D_bDpT10_ENKUlT_T0_E_clISt17integral_constantIbLb0EES1R_EEDaS1M_S1N_EUlS1M_E_NS1_11comp_targetILNS1_3genE5ELNS1_11target_archE942ELNS1_3gpuE9ELNS1_3repE0EEENS1_30default_config_static_selectorELNS0_4arch9wavefront6targetE0EEEvSZ_,"axG",@progbits,_ZN7rocprim17ROCPRIM_400000_NS6detail17trampoline_kernelINS0_13select_configILj256ELj13ELNS0_17block_load_methodE3ELS4_3ELS4_3ELNS0_20block_scan_algorithmE0ELj4294967295EEENS1_25partition_config_selectorILNS1_17partition_subalgoE4EjNS0_10empty_typeEbEEZZNS1_14partition_implILS8_4ELb0ES6_15HIP_vector_typeIjLj2EENS0_17counting_iteratorIjlEEPS9_SG_NS0_5tupleIJPjSI_NS0_16reverse_iteratorISI_EEEEENSH_IJSG_SG_SG_EEES9_SI_JZNS1_25segmented_radix_sort_implINS0_14default_configELb0EPKlPlSQ_SR_N2at6native12_GLOBAL__N_18offset_tEEE10hipError_tPvRmT1_PNSt15iterator_traitsISZ_E10value_typeET2_T3_PNS10_IS15_E10value_typeET4_jRbjT5_S1B_jjP12ihipStream_tbEUljE_ZNSN_ISO_Lb0ESQ_SR_SQ_SR_SV_EESW_SX_SY_SZ_S13_S14_S15_S18_S19_jS1A_jS1B_S1B_jjS1D_bEUljE0_EEESW_SX_SY_S15_S19_S1B_T6_T7_T9_mT8_S1D_bDpT10_ENKUlT_T0_E_clISt17integral_constantIbLb0EES1R_EEDaS1M_S1N_EUlS1M_E_NS1_11comp_targetILNS1_3genE5ELNS1_11target_archE942ELNS1_3gpuE9ELNS1_3repE0EEENS1_30default_config_static_selectorELNS0_4arch9wavefront6targetE0EEEvSZ_,comdat
.Lfunc_end744:
	.size	_ZN7rocprim17ROCPRIM_400000_NS6detail17trampoline_kernelINS0_13select_configILj256ELj13ELNS0_17block_load_methodE3ELS4_3ELS4_3ELNS0_20block_scan_algorithmE0ELj4294967295EEENS1_25partition_config_selectorILNS1_17partition_subalgoE4EjNS0_10empty_typeEbEEZZNS1_14partition_implILS8_4ELb0ES6_15HIP_vector_typeIjLj2EENS0_17counting_iteratorIjlEEPS9_SG_NS0_5tupleIJPjSI_NS0_16reverse_iteratorISI_EEEEENSH_IJSG_SG_SG_EEES9_SI_JZNS1_25segmented_radix_sort_implINS0_14default_configELb0EPKlPlSQ_SR_N2at6native12_GLOBAL__N_18offset_tEEE10hipError_tPvRmT1_PNSt15iterator_traitsISZ_E10value_typeET2_T3_PNS10_IS15_E10value_typeET4_jRbjT5_S1B_jjP12ihipStream_tbEUljE_ZNSN_ISO_Lb0ESQ_SR_SQ_SR_SV_EESW_SX_SY_SZ_S13_S14_S15_S18_S19_jS1A_jS1B_S1B_jjS1D_bEUljE0_EEESW_SX_SY_S15_S19_S1B_T6_T7_T9_mT8_S1D_bDpT10_ENKUlT_T0_E_clISt17integral_constantIbLb0EES1R_EEDaS1M_S1N_EUlS1M_E_NS1_11comp_targetILNS1_3genE5ELNS1_11target_archE942ELNS1_3gpuE9ELNS1_3repE0EEENS1_30default_config_static_selectorELNS0_4arch9wavefront6targetE0EEEvSZ_, .Lfunc_end744-_ZN7rocprim17ROCPRIM_400000_NS6detail17trampoline_kernelINS0_13select_configILj256ELj13ELNS0_17block_load_methodE3ELS4_3ELS4_3ELNS0_20block_scan_algorithmE0ELj4294967295EEENS1_25partition_config_selectorILNS1_17partition_subalgoE4EjNS0_10empty_typeEbEEZZNS1_14partition_implILS8_4ELb0ES6_15HIP_vector_typeIjLj2EENS0_17counting_iteratorIjlEEPS9_SG_NS0_5tupleIJPjSI_NS0_16reverse_iteratorISI_EEEEENSH_IJSG_SG_SG_EEES9_SI_JZNS1_25segmented_radix_sort_implINS0_14default_configELb0EPKlPlSQ_SR_N2at6native12_GLOBAL__N_18offset_tEEE10hipError_tPvRmT1_PNSt15iterator_traitsISZ_E10value_typeET2_T3_PNS10_IS15_E10value_typeET4_jRbjT5_S1B_jjP12ihipStream_tbEUljE_ZNSN_ISO_Lb0ESQ_SR_SQ_SR_SV_EESW_SX_SY_SZ_S13_S14_S15_S18_S19_jS1A_jS1B_S1B_jjS1D_bEUljE0_EEESW_SX_SY_S15_S19_S1B_T6_T7_T9_mT8_S1D_bDpT10_ENKUlT_T0_E_clISt17integral_constantIbLb0EES1R_EEDaS1M_S1N_EUlS1M_E_NS1_11comp_targetILNS1_3genE5ELNS1_11target_archE942ELNS1_3gpuE9ELNS1_3repE0EEENS1_30default_config_static_selectorELNS0_4arch9wavefront6targetE0EEEvSZ_
                                        ; -- End function
	.section	.AMDGPU.csdata,"",@progbits
; Kernel info:
; codeLenInByte = 0
; NumSgprs: 0
; NumVgprs: 0
; ScratchSize: 0
; MemoryBound: 0
; FloatMode: 240
; IeeeMode: 1
; LDSByteSize: 0 bytes/workgroup (compile time only)
; SGPRBlocks: 0
; VGPRBlocks: 0
; NumSGPRsForWavesPerEU: 1
; NumVGPRsForWavesPerEU: 1
; Occupancy: 16
; WaveLimiterHint : 0
; COMPUTE_PGM_RSRC2:SCRATCH_EN: 0
; COMPUTE_PGM_RSRC2:USER_SGPR: 15
; COMPUTE_PGM_RSRC2:TRAP_HANDLER: 0
; COMPUTE_PGM_RSRC2:TGID_X_EN: 1
; COMPUTE_PGM_RSRC2:TGID_Y_EN: 0
; COMPUTE_PGM_RSRC2:TGID_Z_EN: 0
; COMPUTE_PGM_RSRC2:TIDIG_COMP_CNT: 0
	.section	.text._ZN7rocprim17ROCPRIM_400000_NS6detail17trampoline_kernelINS0_13select_configILj256ELj13ELNS0_17block_load_methodE3ELS4_3ELS4_3ELNS0_20block_scan_algorithmE0ELj4294967295EEENS1_25partition_config_selectorILNS1_17partition_subalgoE4EjNS0_10empty_typeEbEEZZNS1_14partition_implILS8_4ELb0ES6_15HIP_vector_typeIjLj2EENS0_17counting_iteratorIjlEEPS9_SG_NS0_5tupleIJPjSI_NS0_16reverse_iteratorISI_EEEEENSH_IJSG_SG_SG_EEES9_SI_JZNS1_25segmented_radix_sort_implINS0_14default_configELb0EPKlPlSQ_SR_N2at6native12_GLOBAL__N_18offset_tEEE10hipError_tPvRmT1_PNSt15iterator_traitsISZ_E10value_typeET2_T3_PNS10_IS15_E10value_typeET4_jRbjT5_S1B_jjP12ihipStream_tbEUljE_ZNSN_ISO_Lb0ESQ_SR_SQ_SR_SV_EESW_SX_SY_SZ_S13_S14_S15_S18_S19_jS1A_jS1B_S1B_jjS1D_bEUljE0_EEESW_SX_SY_S15_S19_S1B_T6_T7_T9_mT8_S1D_bDpT10_ENKUlT_T0_E_clISt17integral_constantIbLb0EES1R_EEDaS1M_S1N_EUlS1M_E_NS1_11comp_targetILNS1_3genE4ELNS1_11target_archE910ELNS1_3gpuE8ELNS1_3repE0EEENS1_30default_config_static_selectorELNS0_4arch9wavefront6targetE0EEEvSZ_,"axG",@progbits,_ZN7rocprim17ROCPRIM_400000_NS6detail17trampoline_kernelINS0_13select_configILj256ELj13ELNS0_17block_load_methodE3ELS4_3ELS4_3ELNS0_20block_scan_algorithmE0ELj4294967295EEENS1_25partition_config_selectorILNS1_17partition_subalgoE4EjNS0_10empty_typeEbEEZZNS1_14partition_implILS8_4ELb0ES6_15HIP_vector_typeIjLj2EENS0_17counting_iteratorIjlEEPS9_SG_NS0_5tupleIJPjSI_NS0_16reverse_iteratorISI_EEEEENSH_IJSG_SG_SG_EEES9_SI_JZNS1_25segmented_radix_sort_implINS0_14default_configELb0EPKlPlSQ_SR_N2at6native12_GLOBAL__N_18offset_tEEE10hipError_tPvRmT1_PNSt15iterator_traitsISZ_E10value_typeET2_T3_PNS10_IS15_E10value_typeET4_jRbjT5_S1B_jjP12ihipStream_tbEUljE_ZNSN_ISO_Lb0ESQ_SR_SQ_SR_SV_EESW_SX_SY_SZ_S13_S14_S15_S18_S19_jS1A_jS1B_S1B_jjS1D_bEUljE0_EEESW_SX_SY_S15_S19_S1B_T6_T7_T9_mT8_S1D_bDpT10_ENKUlT_T0_E_clISt17integral_constantIbLb0EES1R_EEDaS1M_S1N_EUlS1M_E_NS1_11comp_targetILNS1_3genE4ELNS1_11target_archE910ELNS1_3gpuE8ELNS1_3repE0EEENS1_30default_config_static_selectorELNS0_4arch9wavefront6targetE0EEEvSZ_,comdat
	.globl	_ZN7rocprim17ROCPRIM_400000_NS6detail17trampoline_kernelINS0_13select_configILj256ELj13ELNS0_17block_load_methodE3ELS4_3ELS4_3ELNS0_20block_scan_algorithmE0ELj4294967295EEENS1_25partition_config_selectorILNS1_17partition_subalgoE4EjNS0_10empty_typeEbEEZZNS1_14partition_implILS8_4ELb0ES6_15HIP_vector_typeIjLj2EENS0_17counting_iteratorIjlEEPS9_SG_NS0_5tupleIJPjSI_NS0_16reverse_iteratorISI_EEEEENSH_IJSG_SG_SG_EEES9_SI_JZNS1_25segmented_radix_sort_implINS0_14default_configELb0EPKlPlSQ_SR_N2at6native12_GLOBAL__N_18offset_tEEE10hipError_tPvRmT1_PNSt15iterator_traitsISZ_E10value_typeET2_T3_PNS10_IS15_E10value_typeET4_jRbjT5_S1B_jjP12ihipStream_tbEUljE_ZNSN_ISO_Lb0ESQ_SR_SQ_SR_SV_EESW_SX_SY_SZ_S13_S14_S15_S18_S19_jS1A_jS1B_S1B_jjS1D_bEUljE0_EEESW_SX_SY_S15_S19_S1B_T6_T7_T9_mT8_S1D_bDpT10_ENKUlT_T0_E_clISt17integral_constantIbLb0EES1R_EEDaS1M_S1N_EUlS1M_E_NS1_11comp_targetILNS1_3genE4ELNS1_11target_archE910ELNS1_3gpuE8ELNS1_3repE0EEENS1_30default_config_static_selectorELNS0_4arch9wavefront6targetE0EEEvSZ_ ; -- Begin function _ZN7rocprim17ROCPRIM_400000_NS6detail17trampoline_kernelINS0_13select_configILj256ELj13ELNS0_17block_load_methodE3ELS4_3ELS4_3ELNS0_20block_scan_algorithmE0ELj4294967295EEENS1_25partition_config_selectorILNS1_17partition_subalgoE4EjNS0_10empty_typeEbEEZZNS1_14partition_implILS8_4ELb0ES6_15HIP_vector_typeIjLj2EENS0_17counting_iteratorIjlEEPS9_SG_NS0_5tupleIJPjSI_NS0_16reverse_iteratorISI_EEEEENSH_IJSG_SG_SG_EEES9_SI_JZNS1_25segmented_radix_sort_implINS0_14default_configELb0EPKlPlSQ_SR_N2at6native12_GLOBAL__N_18offset_tEEE10hipError_tPvRmT1_PNSt15iterator_traitsISZ_E10value_typeET2_T3_PNS10_IS15_E10value_typeET4_jRbjT5_S1B_jjP12ihipStream_tbEUljE_ZNSN_ISO_Lb0ESQ_SR_SQ_SR_SV_EESW_SX_SY_SZ_S13_S14_S15_S18_S19_jS1A_jS1B_S1B_jjS1D_bEUljE0_EEESW_SX_SY_S15_S19_S1B_T6_T7_T9_mT8_S1D_bDpT10_ENKUlT_T0_E_clISt17integral_constantIbLb0EES1R_EEDaS1M_S1N_EUlS1M_E_NS1_11comp_targetILNS1_3genE4ELNS1_11target_archE910ELNS1_3gpuE8ELNS1_3repE0EEENS1_30default_config_static_selectorELNS0_4arch9wavefront6targetE0EEEvSZ_
	.p2align	8
	.type	_ZN7rocprim17ROCPRIM_400000_NS6detail17trampoline_kernelINS0_13select_configILj256ELj13ELNS0_17block_load_methodE3ELS4_3ELS4_3ELNS0_20block_scan_algorithmE0ELj4294967295EEENS1_25partition_config_selectorILNS1_17partition_subalgoE4EjNS0_10empty_typeEbEEZZNS1_14partition_implILS8_4ELb0ES6_15HIP_vector_typeIjLj2EENS0_17counting_iteratorIjlEEPS9_SG_NS0_5tupleIJPjSI_NS0_16reverse_iteratorISI_EEEEENSH_IJSG_SG_SG_EEES9_SI_JZNS1_25segmented_radix_sort_implINS0_14default_configELb0EPKlPlSQ_SR_N2at6native12_GLOBAL__N_18offset_tEEE10hipError_tPvRmT1_PNSt15iterator_traitsISZ_E10value_typeET2_T3_PNS10_IS15_E10value_typeET4_jRbjT5_S1B_jjP12ihipStream_tbEUljE_ZNSN_ISO_Lb0ESQ_SR_SQ_SR_SV_EESW_SX_SY_SZ_S13_S14_S15_S18_S19_jS1A_jS1B_S1B_jjS1D_bEUljE0_EEESW_SX_SY_S15_S19_S1B_T6_T7_T9_mT8_S1D_bDpT10_ENKUlT_T0_E_clISt17integral_constantIbLb0EES1R_EEDaS1M_S1N_EUlS1M_E_NS1_11comp_targetILNS1_3genE4ELNS1_11target_archE910ELNS1_3gpuE8ELNS1_3repE0EEENS1_30default_config_static_selectorELNS0_4arch9wavefront6targetE0EEEvSZ_,@function
_ZN7rocprim17ROCPRIM_400000_NS6detail17trampoline_kernelINS0_13select_configILj256ELj13ELNS0_17block_load_methodE3ELS4_3ELS4_3ELNS0_20block_scan_algorithmE0ELj4294967295EEENS1_25partition_config_selectorILNS1_17partition_subalgoE4EjNS0_10empty_typeEbEEZZNS1_14partition_implILS8_4ELb0ES6_15HIP_vector_typeIjLj2EENS0_17counting_iteratorIjlEEPS9_SG_NS0_5tupleIJPjSI_NS0_16reverse_iteratorISI_EEEEENSH_IJSG_SG_SG_EEES9_SI_JZNS1_25segmented_radix_sort_implINS0_14default_configELb0EPKlPlSQ_SR_N2at6native12_GLOBAL__N_18offset_tEEE10hipError_tPvRmT1_PNSt15iterator_traitsISZ_E10value_typeET2_T3_PNS10_IS15_E10value_typeET4_jRbjT5_S1B_jjP12ihipStream_tbEUljE_ZNSN_ISO_Lb0ESQ_SR_SQ_SR_SV_EESW_SX_SY_SZ_S13_S14_S15_S18_S19_jS1A_jS1B_S1B_jjS1D_bEUljE0_EEESW_SX_SY_S15_S19_S1B_T6_T7_T9_mT8_S1D_bDpT10_ENKUlT_T0_E_clISt17integral_constantIbLb0EES1R_EEDaS1M_S1N_EUlS1M_E_NS1_11comp_targetILNS1_3genE4ELNS1_11target_archE910ELNS1_3gpuE8ELNS1_3repE0EEENS1_30default_config_static_selectorELNS0_4arch9wavefront6targetE0EEEvSZ_: ; @_ZN7rocprim17ROCPRIM_400000_NS6detail17trampoline_kernelINS0_13select_configILj256ELj13ELNS0_17block_load_methodE3ELS4_3ELS4_3ELNS0_20block_scan_algorithmE0ELj4294967295EEENS1_25partition_config_selectorILNS1_17partition_subalgoE4EjNS0_10empty_typeEbEEZZNS1_14partition_implILS8_4ELb0ES6_15HIP_vector_typeIjLj2EENS0_17counting_iteratorIjlEEPS9_SG_NS0_5tupleIJPjSI_NS0_16reverse_iteratorISI_EEEEENSH_IJSG_SG_SG_EEES9_SI_JZNS1_25segmented_radix_sort_implINS0_14default_configELb0EPKlPlSQ_SR_N2at6native12_GLOBAL__N_18offset_tEEE10hipError_tPvRmT1_PNSt15iterator_traitsISZ_E10value_typeET2_T3_PNS10_IS15_E10value_typeET4_jRbjT5_S1B_jjP12ihipStream_tbEUljE_ZNSN_ISO_Lb0ESQ_SR_SQ_SR_SV_EESW_SX_SY_SZ_S13_S14_S15_S18_S19_jS1A_jS1B_S1B_jjS1D_bEUljE0_EEESW_SX_SY_S15_S19_S1B_T6_T7_T9_mT8_S1D_bDpT10_ENKUlT_T0_E_clISt17integral_constantIbLb0EES1R_EEDaS1M_S1N_EUlS1M_E_NS1_11comp_targetILNS1_3genE4ELNS1_11target_archE910ELNS1_3gpuE8ELNS1_3repE0EEENS1_30default_config_static_selectorELNS0_4arch9wavefront6targetE0EEEvSZ_
; %bb.0:
	.section	.rodata,"a",@progbits
	.p2align	6, 0x0
	.amdhsa_kernel _ZN7rocprim17ROCPRIM_400000_NS6detail17trampoline_kernelINS0_13select_configILj256ELj13ELNS0_17block_load_methodE3ELS4_3ELS4_3ELNS0_20block_scan_algorithmE0ELj4294967295EEENS1_25partition_config_selectorILNS1_17partition_subalgoE4EjNS0_10empty_typeEbEEZZNS1_14partition_implILS8_4ELb0ES6_15HIP_vector_typeIjLj2EENS0_17counting_iteratorIjlEEPS9_SG_NS0_5tupleIJPjSI_NS0_16reverse_iteratorISI_EEEEENSH_IJSG_SG_SG_EEES9_SI_JZNS1_25segmented_radix_sort_implINS0_14default_configELb0EPKlPlSQ_SR_N2at6native12_GLOBAL__N_18offset_tEEE10hipError_tPvRmT1_PNSt15iterator_traitsISZ_E10value_typeET2_T3_PNS10_IS15_E10value_typeET4_jRbjT5_S1B_jjP12ihipStream_tbEUljE_ZNSN_ISO_Lb0ESQ_SR_SQ_SR_SV_EESW_SX_SY_SZ_S13_S14_S15_S18_S19_jS1A_jS1B_S1B_jjS1D_bEUljE0_EEESW_SX_SY_S15_S19_S1B_T6_T7_T9_mT8_S1D_bDpT10_ENKUlT_T0_E_clISt17integral_constantIbLb0EES1R_EEDaS1M_S1N_EUlS1M_E_NS1_11comp_targetILNS1_3genE4ELNS1_11target_archE910ELNS1_3gpuE8ELNS1_3repE0EEENS1_30default_config_static_selectorELNS0_4arch9wavefront6targetE0EEEvSZ_
		.amdhsa_group_segment_fixed_size 0
		.amdhsa_private_segment_fixed_size 0
		.amdhsa_kernarg_size 176
		.amdhsa_user_sgpr_count 15
		.amdhsa_user_sgpr_dispatch_ptr 0
		.amdhsa_user_sgpr_queue_ptr 0
		.amdhsa_user_sgpr_kernarg_segment_ptr 1
		.amdhsa_user_sgpr_dispatch_id 0
		.amdhsa_user_sgpr_private_segment_size 0
		.amdhsa_wavefront_size32 1
		.amdhsa_uses_dynamic_stack 0
		.amdhsa_enable_private_segment 0
		.amdhsa_system_sgpr_workgroup_id_x 1
		.amdhsa_system_sgpr_workgroup_id_y 0
		.amdhsa_system_sgpr_workgroup_id_z 0
		.amdhsa_system_sgpr_workgroup_info 0
		.amdhsa_system_vgpr_workitem_id 0
		.amdhsa_next_free_vgpr 1
		.amdhsa_next_free_sgpr 1
		.amdhsa_reserve_vcc 0
		.amdhsa_float_round_mode_32 0
		.amdhsa_float_round_mode_16_64 0
		.amdhsa_float_denorm_mode_32 3
		.amdhsa_float_denorm_mode_16_64 3
		.amdhsa_dx10_clamp 1
		.amdhsa_ieee_mode 1
		.amdhsa_fp16_overflow 0
		.amdhsa_workgroup_processor_mode 1
		.amdhsa_memory_ordered 1
		.amdhsa_forward_progress 0
		.amdhsa_shared_vgpr_count 0
		.amdhsa_exception_fp_ieee_invalid_op 0
		.amdhsa_exception_fp_denorm_src 0
		.amdhsa_exception_fp_ieee_div_zero 0
		.amdhsa_exception_fp_ieee_overflow 0
		.amdhsa_exception_fp_ieee_underflow 0
		.amdhsa_exception_fp_ieee_inexact 0
		.amdhsa_exception_int_div_zero 0
	.end_amdhsa_kernel
	.section	.text._ZN7rocprim17ROCPRIM_400000_NS6detail17trampoline_kernelINS0_13select_configILj256ELj13ELNS0_17block_load_methodE3ELS4_3ELS4_3ELNS0_20block_scan_algorithmE0ELj4294967295EEENS1_25partition_config_selectorILNS1_17partition_subalgoE4EjNS0_10empty_typeEbEEZZNS1_14partition_implILS8_4ELb0ES6_15HIP_vector_typeIjLj2EENS0_17counting_iteratorIjlEEPS9_SG_NS0_5tupleIJPjSI_NS0_16reverse_iteratorISI_EEEEENSH_IJSG_SG_SG_EEES9_SI_JZNS1_25segmented_radix_sort_implINS0_14default_configELb0EPKlPlSQ_SR_N2at6native12_GLOBAL__N_18offset_tEEE10hipError_tPvRmT1_PNSt15iterator_traitsISZ_E10value_typeET2_T3_PNS10_IS15_E10value_typeET4_jRbjT5_S1B_jjP12ihipStream_tbEUljE_ZNSN_ISO_Lb0ESQ_SR_SQ_SR_SV_EESW_SX_SY_SZ_S13_S14_S15_S18_S19_jS1A_jS1B_S1B_jjS1D_bEUljE0_EEESW_SX_SY_S15_S19_S1B_T6_T7_T9_mT8_S1D_bDpT10_ENKUlT_T0_E_clISt17integral_constantIbLb0EES1R_EEDaS1M_S1N_EUlS1M_E_NS1_11comp_targetILNS1_3genE4ELNS1_11target_archE910ELNS1_3gpuE8ELNS1_3repE0EEENS1_30default_config_static_selectorELNS0_4arch9wavefront6targetE0EEEvSZ_,"axG",@progbits,_ZN7rocprim17ROCPRIM_400000_NS6detail17trampoline_kernelINS0_13select_configILj256ELj13ELNS0_17block_load_methodE3ELS4_3ELS4_3ELNS0_20block_scan_algorithmE0ELj4294967295EEENS1_25partition_config_selectorILNS1_17partition_subalgoE4EjNS0_10empty_typeEbEEZZNS1_14partition_implILS8_4ELb0ES6_15HIP_vector_typeIjLj2EENS0_17counting_iteratorIjlEEPS9_SG_NS0_5tupleIJPjSI_NS0_16reverse_iteratorISI_EEEEENSH_IJSG_SG_SG_EEES9_SI_JZNS1_25segmented_radix_sort_implINS0_14default_configELb0EPKlPlSQ_SR_N2at6native12_GLOBAL__N_18offset_tEEE10hipError_tPvRmT1_PNSt15iterator_traitsISZ_E10value_typeET2_T3_PNS10_IS15_E10value_typeET4_jRbjT5_S1B_jjP12ihipStream_tbEUljE_ZNSN_ISO_Lb0ESQ_SR_SQ_SR_SV_EESW_SX_SY_SZ_S13_S14_S15_S18_S19_jS1A_jS1B_S1B_jjS1D_bEUljE0_EEESW_SX_SY_S15_S19_S1B_T6_T7_T9_mT8_S1D_bDpT10_ENKUlT_T0_E_clISt17integral_constantIbLb0EES1R_EEDaS1M_S1N_EUlS1M_E_NS1_11comp_targetILNS1_3genE4ELNS1_11target_archE910ELNS1_3gpuE8ELNS1_3repE0EEENS1_30default_config_static_selectorELNS0_4arch9wavefront6targetE0EEEvSZ_,comdat
.Lfunc_end745:
	.size	_ZN7rocprim17ROCPRIM_400000_NS6detail17trampoline_kernelINS0_13select_configILj256ELj13ELNS0_17block_load_methodE3ELS4_3ELS4_3ELNS0_20block_scan_algorithmE0ELj4294967295EEENS1_25partition_config_selectorILNS1_17partition_subalgoE4EjNS0_10empty_typeEbEEZZNS1_14partition_implILS8_4ELb0ES6_15HIP_vector_typeIjLj2EENS0_17counting_iteratorIjlEEPS9_SG_NS0_5tupleIJPjSI_NS0_16reverse_iteratorISI_EEEEENSH_IJSG_SG_SG_EEES9_SI_JZNS1_25segmented_radix_sort_implINS0_14default_configELb0EPKlPlSQ_SR_N2at6native12_GLOBAL__N_18offset_tEEE10hipError_tPvRmT1_PNSt15iterator_traitsISZ_E10value_typeET2_T3_PNS10_IS15_E10value_typeET4_jRbjT5_S1B_jjP12ihipStream_tbEUljE_ZNSN_ISO_Lb0ESQ_SR_SQ_SR_SV_EESW_SX_SY_SZ_S13_S14_S15_S18_S19_jS1A_jS1B_S1B_jjS1D_bEUljE0_EEESW_SX_SY_S15_S19_S1B_T6_T7_T9_mT8_S1D_bDpT10_ENKUlT_T0_E_clISt17integral_constantIbLb0EES1R_EEDaS1M_S1N_EUlS1M_E_NS1_11comp_targetILNS1_3genE4ELNS1_11target_archE910ELNS1_3gpuE8ELNS1_3repE0EEENS1_30default_config_static_selectorELNS0_4arch9wavefront6targetE0EEEvSZ_, .Lfunc_end745-_ZN7rocprim17ROCPRIM_400000_NS6detail17trampoline_kernelINS0_13select_configILj256ELj13ELNS0_17block_load_methodE3ELS4_3ELS4_3ELNS0_20block_scan_algorithmE0ELj4294967295EEENS1_25partition_config_selectorILNS1_17partition_subalgoE4EjNS0_10empty_typeEbEEZZNS1_14partition_implILS8_4ELb0ES6_15HIP_vector_typeIjLj2EENS0_17counting_iteratorIjlEEPS9_SG_NS0_5tupleIJPjSI_NS0_16reverse_iteratorISI_EEEEENSH_IJSG_SG_SG_EEES9_SI_JZNS1_25segmented_radix_sort_implINS0_14default_configELb0EPKlPlSQ_SR_N2at6native12_GLOBAL__N_18offset_tEEE10hipError_tPvRmT1_PNSt15iterator_traitsISZ_E10value_typeET2_T3_PNS10_IS15_E10value_typeET4_jRbjT5_S1B_jjP12ihipStream_tbEUljE_ZNSN_ISO_Lb0ESQ_SR_SQ_SR_SV_EESW_SX_SY_SZ_S13_S14_S15_S18_S19_jS1A_jS1B_S1B_jjS1D_bEUljE0_EEESW_SX_SY_S15_S19_S1B_T6_T7_T9_mT8_S1D_bDpT10_ENKUlT_T0_E_clISt17integral_constantIbLb0EES1R_EEDaS1M_S1N_EUlS1M_E_NS1_11comp_targetILNS1_3genE4ELNS1_11target_archE910ELNS1_3gpuE8ELNS1_3repE0EEENS1_30default_config_static_selectorELNS0_4arch9wavefront6targetE0EEEvSZ_
                                        ; -- End function
	.section	.AMDGPU.csdata,"",@progbits
; Kernel info:
; codeLenInByte = 0
; NumSgprs: 0
; NumVgprs: 0
; ScratchSize: 0
; MemoryBound: 0
; FloatMode: 240
; IeeeMode: 1
; LDSByteSize: 0 bytes/workgroup (compile time only)
; SGPRBlocks: 0
; VGPRBlocks: 0
; NumSGPRsForWavesPerEU: 1
; NumVGPRsForWavesPerEU: 1
; Occupancy: 16
; WaveLimiterHint : 0
; COMPUTE_PGM_RSRC2:SCRATCH_EN: 0
; COMPUTE_PGM_RSRC2:USER_SGPR: 15
; COMPUTE_PGM_RSRC2:TRAP_HANDLER: 0
; COMPUTE_PGM_RSRC2:TGID_X_EN: 1
; COMPUTE_PGM_RSRC2:TGID_Y_EN: 0
; COMPUTE_PGM_RSRC2:TGID_Z_EN: 0
; COMPUTE_PGM_RSRC2:TIDIG_COMP_CNT: 0
	.section	.text._ZN7rocprim17ROCPRIM_400000_NS6detail17trampoline_kernelINS0_13select_configILj256ELj13ELNS0_17block_load_methodE3ELS4_3ELS4_3ELNS0_20block_scan_algorithmE0ELj4294967295EEENS1_25partition_config_selectorILNS1_17partition_subalgoE4EjNS0_10empty_typeEbEEZZNS1_14partition_implILS8_4ELb0ES6_15HIP_vector_typeIjLj2EENS0_17counting_iteratorIjlEEPS9_SG_NS0_5tupleIJPjSI_NS0_16reverse_iteratorISI_EEEEENSH_IJSG_SG_SG_EEES9_SI_JZNS1_25segmented_radix_sort_implINS0_14default_configELb0EPKlPlSQ_SR_N2at6native12_GLOBAL__N_18offset_tEEE10hipError_tPvRmT1_PNSt15iterator_traitsISZ_E10value_typeET2_T3_PNS10_IS15_E10value_typeET4_jRbjT5_S1B_jjP12ihipStream_tbEUljE_ZNSN_ISO_Lb0ESQ_SR_SQ_SR_SV_EESW_SX_SY_SZ_S13_S14_S15_S18_S19_jS1A_jS1B_S1B_jjS1D_bEUljE0_EEESW_SX_SY_S15_S19_S1B_T6_T7_T9_mT8_S1D_bDpT10_ENKUlT_T0_E_clISt17integral_constantIbLb0EES1R_EEDaS1M_S1N_EUlS1M_E_NS1_11comp_targetILNS1_3genE3ELNS1_11target_archE908ELNS1_3gpuE7ELNS1_3repE0EEENS1_30default_config_static_selectorELNS0_4arch9wavefront6targetE0EEEvSZ_,"axG",@progbits,_ZN7rocprim17ROCPRIM_400000_NS6detail17trampoline_kernelINS0_13select_configILj256ELj13ELNS0_17block_load_methodE3ELS4_3ELS4_3ELNS0_20block_scan_algorithmE0ELj4294967295EEENS1_25partition_config_selectorILNS1_17partition_subalgoE4EjNS0_10empty_typeEbEEZZNS1_14partition_implILS8_4ELb0ES6_15HIP_vector_typeIjLj2EENS0_17counting_iteratorIjlEEPS9_SG_NS0_5tupleIJPjSI_NS0_16reverse_iteratorISI_EEEEENSH_IJSG_SG_SG_EEES9_SI_JZNS1_25segmented_radix_sort_implINS0_14default_configELb0EPKlPlSQ_SR_N2at6native12_GLOBAL__N_18offset_tEEE10hipError_tPvRmT1_PNSt15iterator_traitsISZ_E10value_typeET2_T3_PNS10_IS15_E10value_typeET4_jRbjT5_S1B_jjP12ihipStream_tbEUljE_ZNSN_ISO_Lb0ESQ_SR_SQ_SR_SV_EESW_SX_SY_SZ_S13_S14_S15_S18_S19_jS1A_jS1B_S1B_jjS1D_bEUljE0_EEESW_SX_SY_S15_S19_S1B_T6_T7_T9_mT8_S1D_bDpT10_ENKUlT_T0_E_clISt17integral_constantIbLb0EES1R_EEDaS1M_S1N_EUlS1M_E_NS1_11comp_targetILNS1_3genE3ELNS1_11target_archE908ELNS1_3gpuE7ELNS1_3repE0EEENS1_30default_config_static_selectorELNS0_4arch9wavefront6targetE0EEEvSZ_,comdat
	.globl	_ZN7rocprim17ROCPRIM_400000_NS6detail17trampoline_kernelINS0_13select_configILj256ELj13ELNS0_17block_load_methodE3ELS4_3ELS4_3ELNS0_20block_scan_algorithmE0ELj4294967295EEENS1_25partition_config_selectorILNS1_17partition_subalgoE4EjNS0_10empty_typeEbEEZZNS1_14partition_implILS8_4ELb0ES6_15HIP_vector_typeIjLj2EENS0_17counting_iteratorIjlEEPS9_SG_NS0_5tupleIJPjSI_NS0_16reverse_iteratorISI_EEEEENSH_IJSG_SG_SG_EEES9_SI_JZNS1_25segmented_radix_sort_implINS0_14default_configELb0EPKlPlSQ_SR_N2at6native12_GLOBAL__N_18offset_tEEE10hipError_tPvRmT1_PNSt15iterator_traitsISZ_E10value_typeET2_T3_PNS10_IS15_E10value_typeET4_jRbjT5_S1B_jjP12ihipStream_tbEUljE_ZNSN_ISO_Lb0ESQ_SR_SQ_SR_SV_EESW_SX_SY_SZ_S13_S14_S15_S18_S19_jS1A_jS1B_S1B_jjS1D_bEUljE0_EEESW_SX_SY_S15_S19_S1B_T6_T7_T9_mT8_S1D_bDpT10_ENKUlT_T0_E_clISt17integral_constantIbLb0EES1R_EEDaS1M_S1N_EUlS1M_E_NS1_11comp_targetILNS1_3genE3ELNS1_11target_archE908ELNS1_3gpuE7ELNS1_3repE0EEENS1_30default_config_static_selectorELNS0_4arch9wavefront6targetE0EEEvSZ_ ; -- Begin function _ZN7rocprim17ROCPRIM_400000_NS6detail17trampoline_kernelINS0_13select_configILj256ELj13ELNS0_17block_load_methodE3ELS4_3ELS4_3ELNS0_20block_scan_algorithmE0ELj4294967295EEENS1_25partition_config_selectorILNS1_17partition_subalgoE4EjNS0_10empty_typeEbEEZZNS1_14partition_implILS8_4ELb0ES6_15HIP_vector_typeIjLj2EENS0_17counting_iteratorIjlEEPS9_SG_NS0_5tupleIJPjSI_NS0_16reverse_iteratorISI_EEEEENSH_IJSG_SG_SG_EEES9_SI_JZNS1_25segmented_radix_sort_implINS0_14default_configELb0EPKlPlSQ_SR_N2at6native12_GLOBAL__N_18offset_tEEE10hipError_tPvRmT1_PNSt15iterator_traitsISZ_E10value_typeET2_T3_PNS10_IS15_E10value_typeET4_jRbjT5_S1B_jjP12ihipStream_tbEUljE_ZNSN_ISO_Lb0ESQ_SR_SQ_SR_SV_EESW_SX_SY_SZ_S13_S14_S15_S18_S19_jS1A_jS1B_S1B_jjS1D_bEUljE0_EEESW_SX_SY_S15_S19_S1B_T6_T7_T9_mT8_S1D_bDpT10_ENKUlT_T0_E_clISt17integral_constantIbLb0EES1R_EEDaS1M_S1N_EUlS1M_E_NS1_11comp_targetILNS1_3genE3ELNS1_11target_archE908ELNS1_3gpuE7ELNS1_3repE0EEENS1_30default_config_static_selectorELNS0_4arch9wavefront6targetE0EEEvSZ_
	.p2align	8
	.type	_ZN7rocprim17ROCPRIM_400000_NS6detail17trampoline_kernelINS0_13select_configILj256ELj13ELNS0_17block_load_methodE3ELS4_3ELS4_3ELNS0_20block_scan_algorithmE0ELj4294967295EEENS1_25partition_config_selectorILNS1_17partition_subalgoE4EjNS0_10empty_typeEbEEZZNS1_14partition_implILS8_4ELb0ES6_15HIP_vector_typeIjLj2EENS0_17counting_iteratorIjlEEPS9_SG_NS0_5tupleIJPjSI_NS0_16reverse_iteratorISI_EEEEENSH_IJSG_SG_SG_EEES9_SI_JZNS1_25segmented_radix_sort_implINS0_14default_configELb0EPKlPlSQ_SR_N2at6native12_GLOBAL__N_18offset_tEEE10hipError_tPvRmT1_PNSt15iterator_traitsISZ_E10value_typeET2_T3_PNS10_IS15_E10value_typeET4_jRbjT5_S1B_jjP12ihipStream_tbEUljE_ZNSN_ISO_Lb0ESQ_SR_SQ_SR_SV_EESW_SX_SY_SZ_S13_S14_S15_S18_S19_jS1A_jS1B_S1B_jjS1D_bEUljE0_EEESW_SX_SY_S15_S19_S1B_T6_T7_T9_mT8_S1D_bDpT10_ENKUlT_T0_E_clISt17integral_constantIbLb0EES1R_EEDaS1M_S1N_EUlS1M_E_NS1_11comp_targetILNS1_3genE3ELNS1_11target_archE908ELNS1_3gpuE7ELNS1_3repE0EEENS1_30default_config_static_selectorELNS0_4arch9wavefront6targetE0EEEvSZ_,@function
_ZN7rocprim17ROCPRIM_400000_NS6detail17trampoline_kernelINS0_13select_configILj256ELj13ELNS0_17block_load_methodE3ELS4_3ELS4_3ELNS0_20block_scan_algorithmE0ELj4294967295EEENS1_25partition_config_selectorILNS1_17partition_subalgoE4EjNS0_10empty_typeEbEEZZNS1_14partition_implILS8_4ELb0ES6_15HIP_vector_typeIjLj2EENS0_17counting_iteratorIjlEEPS9_SG_NS0_5tupleIJPjSI_NS0_16reverse_iteratorISI_EEEEENSH_IJSG_SG_SG_EEES9_SI_JZNS1_25segmented_radix_sort_implINS0_14default_configELb0EPKlPlSQ_SR_N2at6native12_GLOBAL__N_18offset_tEEE10hipError_tPvRmT1_PNSt15iterator_traitsISZ_E10value_typeET2_T3_PNS10_IS15_E10value_typeET4_jRbjT5_S1B_jjP12ihipStream_tbEUljE_ZNSN_ISO_Lb0ESQ_SR_SQ_SR_SV_EESW_SX_SY_SZ_S13_S14_S15_S18_S19_jS1A_jS1B_S1B_jjS1D_bEUljE0_EEESW_SX_SY_S15_S19_S1B_T6_T7_T9_mT8_S1D_bDpT10_ENKUlT_T0_E_clISt17integral_constantIbLb0EES1R_EEDaS1M_S1N_EUlS1M_E_NS1_11comp_targetILNS1_3genE3ELNS1_11target_archE908ELNS1_3gpuE7ELNS1_3repE0EEENS1_30default_config_static_selectorELNS0_4arch9wavefront6targetE0EEEvSZ_: ; @_ZN7rocprim17ROCPRIM_400000_NS6detail17trampoline_kernelINS0_13select_configILj256ELj13ELNS0_17block_load_methodE3ELS4_3ELS4_3ELNS0_20block_scan_algorithmE0ELj4294967295EEENS1_25partition_config_selectorILNS1_17partition_subalgoE4EjNS0_10empty_typeEbEEZZNS1_14partition_implILS8_4ELb0ES6_15HIP_vector_typeIjLj2EENS0_17counting_iteratorIjlEEPS9_SG_NS0_5tupleIJPjSI_NS0_16reverse_iteratorISI_EEEEENSH_IJSG_SG_SG_EEES9_SI_JZNS1_25segmented_radix_sort_implINS0_14default_configELb0EPKlPlSQ_SR_N2at6native12_GLOBAL__N_18offset_tEEE10hipError_tPvRmT1_PNSt15iterator_traitsISZ_E10value_typeET2_T3_PNS10_IS15_E10value_typeET4_jRbjT5_S1B_jjP12ihipStream_tbEUljE_ZNSN_ISO_Lb0ESQ_SR_SQ_SR_SV_EESW_SX_SY_SZ_S13_S14_S15_S18_S19_jS1A_jS1B_S1B_jjS1D_bEUljE0_EEESW_SX_SY_S15_S19_S1B_T6_T7_T9_mT8_S1D_bDpT10_ENKUlT_T0_E_clISt17integral_constantIbLb0EES1R_EEDaS1M_S1N_EUlS1M_E_NS1_11comp_targetILNS1_3genE3ELNS1_11target_archE908ELNS1_3gpuE7ELNS1_3repE0EEENS1_30default_config_static_selectorELNS0_4arch9wavefront6targetE0EEEvSZ_
; %bb.0:
	.section	.rodata,"a",@progbits
	.p2align	6, 0x0
	.amdhsa_kernel _ZN7rocprim17ROCPRIM_400000_NS6detail17trampoline_kernelINS0_13select_configILj256ELj13ELNS0_17block_load_methodE3ELS4_3ELS4_3ELNS0_20block_scan_algorithmE0ELj4294967295EEENS1_25partition_config_selectorILNS1_17partition_subalgoE4EjNS0_10empty_typeEbEEZZNS1_14partition_implILS8_4ELb0ES6_15HIP_vector_typeIjLj2EENS0_17counting_iteratorIjlEEPS9_SG_NS0_5tupleIJPjSI_NS0_16reverse_iteratorISI_EEEEENSH_IJSG_SG_SG_EEES9_SI_JZNS1_25segmented_radix_sort_implINS0_14default_configELb0EPKlPlSQ_SR_N2at6native12_GLOBAL__N_18offset_tEEE10hipError_tPvRmT1_PNSt15iterator_traitsISZ_E10value_typeET2_T3_PNS10_IS15_E10value_typeET4_jRbjT5_S1B_jjP12ihipStream_tbEUljE_ZNSN_ISO_Lb0ESQ_SR_SQ_SR_SV_EESW_SX_SY_SZ_S13_S14_S15_S18_S19_jS1A_jS1B_S1B_jjS1D_bEUljE0_EEESW_SX_SY_S15_S19_S1B_T6_T7_T9_mT8_S1D_bDpT10_ENKUlT_T0_E_clISt17integral_constantIbLb0EES1R_EEDaS1M_S1N_EUlS1M_E_NS1_11comp_targetILNS1_3genE3ELNS1_11target_archE908ELNS1_3gpuE7ELNS1_3repE0EEENS1_30default_config_static_selectorELNS0_4arch9wavefront6targetE0EEEvSZ_
		.amdhsa_group_segment_fixed_size 0
		.amdhsa_private_segment_fixed_size 0
		.amdhsa_kernarg_size 176
		.amdhsa_user_sgpr_count 15
		.amdhsa_user_sgpr_dispatch_ptr 0
		.amdhsa_user_sgpr_queue_ptr 0
		.amdhsa_user_sgpr_kernarg_segment_ptr 1
		.amdhsa_user_sgpr_dispatch_id 0
		.amdhsa_user_sgpr_private_segment_size 0
		.amdhsa_wavefront_size32 1
		.amdhsa_uses_dynamic_stack 0
		.amdhsa_enable_private_segment 0
		.amdhsa_system_sgpr_workgroup_id_x 1
		.amdhsa_system_sgpr_workgroup_id_y 0
		.amdhsa_system_sgpr_workgroup_id_z 0
		.amdhsa_system_sgpr_workgroup_info 0
		.amdhsa_system_vgpr_workitem_id 0
		.amdhsa_next_free_vgpr 1
		.amdhsa_next_free_sgpr 1
		.amdhsa_reserve_vcc 0
		.amdhsa_float_round_mode_32 0
		.amdhsa_float_round_mode_16_64 0
		.amdhsa_float_denorm_mode_32 3
		.amdhsa_float_denorm_mode_16_64 3
		.amdhsa_dx10_clamp 1
		.amdhsa_ieee_mode 1
		.amdhsa_fp16_overflow 0
		.amdhsa_workgroup_processor_mode 1
		.amdhsa_memory_ordered 1
		.amdhsa_forward_progress 0
		.amdhsa_shared_vgpr_count 0
		.amdhsa_exception_fp_ieee_invalid_op 0
		.amdhsa_exception_fp_denorm_src 0
		.amdhsa_exception_fp_ieee_div_zero 0
		.amdhsa_exception_fp_ieee_overflow 0
		.amdhsa_exception_fp_ieee_underflow 0
		.amdhsa_exception_fp_ieee_inexact 0
		.amdhsa_exception_int_div_zero 0
	.end_amdhsa_kernel
	.section	.text._ZN7rocprim17ROCPRIM_400000_NS6detail17trampoline_kernelINS0_13select_configILj256ELj13ELNS0_17block_load_methodE3ELS4_3ELS4_3ELNS0_20block_scan_algorithmE0ELj4294967295EEENS1_25partition_config_selectorILNS1_17partition_subalgoE4EjNS0_10empty_typeEbEEZZNS1_14partition_implILS8_4ELb0ES6_15HIP_vector_typeIjLj2EENS0_17counting_iteratorIjlEEPS9_SG_NS0_5tupleIJPjSI_NS0_16reverse_iteratorISI_EEEEENSH_IJSG_SG_SG_EEES9_SI_JZNS1_25segmented_radix_sort_implINS0_14default_configELb0EPKlPlSQ_SR_N2at6native12_GLOBAL__N_18offset_tEEE10hipError_tPvRmT1_PNSt15iterator_traitsISZ_E10value_typeET2_T3_PNS10_IS15_E10value_typeET4_jRbjT5_S1B_jjP12ihipStream_tbEUljE_ZNSN_ISO_Lb0ESQ_SR_SQ_SR_SV_EESW_SX_SY_SZ_S13_S14_S15_S18_S19_jS1A_jS1B_S1B_jjS1D_bEUljE0_EEESW_SX_SY_S15_S19_S1B_T6_T7_T9_mT8_S1D_bDpT10_ENKUlT_T0_E_clISt17integral_constantIbLb0EES1R_EEDaS1M_S1N_EUlS1M_E_NS1_11comp_targetILNS1_3genE3ELNS1_11target_archE908ELNS1_3gpuE7ELNS1_3repE0EEENS1_30default_config_static_selectorELNS0_4arch9wavefront6targetE0EEEvSZ_,"axG",@progbits,_ZN7rocprim17ROCPRIM_400000_NS6detail17trampoline_kernelINS0_13select_configILj256ELj13ELNS0_17block_load_methodE3ELS4_3ELS4_3ELNS0_20block_scan_algorithmE0ELj4294967295EEENS1_25partition_config_selectorILNS1_17partition_subalgoE4EjNS0_10empty_typeEbEEZZNS1_14partition_implILS8_4ELb0ES6_15HIP_vector_typeIjLj2EENS0_17counting_iteratorIjlEEPS9_SG_NS0_5tupleIJPjSI_NS0_16reverse_iteratorISI_EEEEENSH_IJSG_SG_SG_EEES9_SI_JZNS1_25segmented_radix_sort_implINS0_14default_configELb0EPKlPlSQ_SR_N2at6native12_GLOBAL__N_18offset_tEEE10hipError_tPvRmT1_PNSt15iterator_traitsISZ_E10value_typeET2_T3_PNS10_IS15_E10value_typeET4_jRbjT5_S1B_jjP12ihipStream_tbEUljE_ZNSN_ISO_Lb0ESQ_SR_SQ_SR_SV_EESW_SX_SY_SZ_S13_S14_S15_S18_S19_jS1A_jS1B_S1B_jjS1D_bEUljE0_EEESW_SX_SY_S15_S19_S1B_T6_T7_T9_mT8_S1D_bDpT10_ENKUlT_T0_E_clISt17integral_constantIbLb0EES1R_EEDaS1M_S1N_EUlS1M_E_NS1_11comp_targetILNS1_3genE3ELNS1_11target_archE908ELNS1_3gpuE7ELNS1_3repE0EEENS1_30default_config_static_selectorELNS0_4arch9wavefront6targetE0EEEvSZ_,comdat
.Lfunc_end746:
	.size	_ZN7rocprim17ROCPRIM_400000_NS6detail17trampoline_kernelINS0_13select_configILj256ELj13ELNS0_17block_load_methodE3ELS4_3ELS4_3ELNS0_20block_scan_algorithmE0ELj4294967295EEENS1_25partition_config_selectorILNS1_17partition_subalgoE4EjNS0_10empty_typeEbEEZZNS1_14partition_implILS8_4ELb0ES6_15HIP_vector_typeIjLj2EENS0_17counting_iteratorIjlEEPS9_SG_NS0_5tupleIJPjSI_NS0_16reverse_iteratorISI_EEEEENSH_IJSG_SG_SG_EEES9_SI_JZNS1_25segmented_radix_sort_implINS0_14default_configELb0EPKlPlSQ_SR_N2at6native12_GLOBAL__N_18offset_tEEE10hipError_tPvRmT1_PNSt15iterator_traitsISZ_E10value_typeET2_T3_PNS10_IS15_E10value_typeET4_jRbjT5_S1B_jjP12ihipStream_tbEUljE_ZNSN_ISO_Lb0ESQ_SR_SQ_SR_SV_EESW_SX_SY_SZ_S13_S14_S15_S18_S19_jS1A_jS1B_S1B_jjS1D_bEUljE0_EEESW_SX_SY_S15_S19_S1B_T6_T7_T9_mT8_S1D_bDpT10_ENKUlT_T0_E_clISt17integral_constantIbLb0EES1R_EEDaS1M_S1N_EUlS1M_E_NS1_11comp_targetILNS1_3genE3ELNS1_11target_archE908ELNS1_3gpuE7ELNS1_3repE0EEENS1_30default_config_static_selectorELNS0_4arch9wavefront6targetE0EEEvSZ_, .Lfunc_end746-_ZN7rocprim17ROCPRIM_400000_NS6detail17trampoline_kernelINS0_13select_configILj256ELj13ELNS0_17block_load_methodE3ELS4_3ELS4_3ELNS0_20block_scan_algorithmE0ELj4294967295EEENS1_25partition_config_selectorILNS1_17partition_subalgoE4EjNS0_10empty_typeEbEEZZNS1_14partition_implILS8_4ELb0ES6_15HIP_vector_typeIjLj2EENS0_17counting_iteratorIjlEEPS9_SG_NS0_5tupleIJPjSI_NS0_16reverse_iteratorISI_EEEEENSH_IJSG_SG_SG_EEES9_SI_JZNS1_25segmented_radix_sort_implINS0_14default_configELb0EPKlPlSQ_SR_N2at6native12_GLOBAL__N_18offset_tEEE10hipError_tPvRmT1_PNSt15iterator_traitsISZ_E10value_typeET2_T3_PNS10_IS15_E10value_typeET4_jRbjT5_S1B_jjP12ihipStream_tbEUljE_ZNSN_ISO_Lb0ESQ_SR_SQ_SR_SV_EESW_SX_SY_SZ_S13_S14_S15_S18_S19_jS1A_jS1B_S1B_jjS1D_bEUljE0_EEESW_SX_SY_S15_S19_S1B_T6_T7_T9_mT8_S1D_bDpT10_ENKUlT_T0_E_clISt17integral_constantIbLb0EES1R_EEDaS1M_S1N_EUlS1M_E_NS1_11comp_targetILNS1_3genE3ELNS1_11target_archE908ELNS1_3gpuE7ELNS1_3repE0EEENS1_30default_config_static_selectorELNS0_4arch9wavefront6targetE0EEEvSZ_
                                        ; -- End function
	.section	.AMDGPU.csdata,"",@progbits
; Kernel info:
; codeLenInByte = 0
; NumSgprs: 0
; NumVgprs: 0
; ScratchSize: 0
; MemoryBound: 0
; FloatMode: 240
; IeeeMode: 1
; LDSByteSize: 0 bytes/workgroup (compile time only)
; SGPRBlocks: 0
; VGPRBlocks: 0
; NumSGPRsForWavesPerEU: 1
; NumVGPRsForWavesPerEU: 1
; Occupancy: 16
; WaveLimiterHint : 0
; COMPUTE_PGM_RSRC2:SCRATCH_EN: 0
; COMPUTE_PGM_RSRC2:USER_SGPR: 15
; COMPUTE_PGM_RSRC2:TRAP_HANDLER: 0
; COMPUTE_PGM_RSRC2:TGID_X_EN: 1
; COMPUTE_PGM_RSRC2:TGID_Y_EN: 0
; COMPUTE_PGM_RSRC2:TGID_Z_EN: 0
; COMPUTE_PGM_RSRC2:TIDIG_COMP_CNT: 0
	.section	.text._ZN7rocprim17ROCPRIM_400000_NS6detail17trampoline_kernelINS0_13select_configILj256ELj13ELNS0_17block_load_methodE3ELS4_3ELS4_3ELNS0_20block_scan_algorithmE0ELj4294967295EEENS1_25partition_config_selectorILNS1_17partition_subalgoE4EjNS0_10empty_typeEbEEZZNS1_14partition_implILS8_4ELb0ES6_15HIP_vector_typeIjLj2EENS0_17counting_iteratorIjlEEPS9_SG_NS0_5tupleIJPjSI_NS0_16reverse_iteratorISI_EEEEENSH_IJSG_SG_SG_EEES9_SI_JZNS1_25segmented_radix_sort_implINS0_14default_configELb0EPKlPlSQ_SR_N2at6native12_GLOBAL__N_18offset_tEEE10hipError_tPvRmT1_PNSt15iterator_traitsISZ_E10value_typeET2_T3_PNS10_IS15_E10value_typeET4_jRbjT5_S1B_jjP12ihipStream_tbEUljE_ZNSN_ISO_Lb0ESQ_SR_SQ_SR_SV_EESW_SX_SY_SZ_S13_S14_S15_S18_S19_jS1A_jS1B_S1B_jjS1D_bEUljE0_EEESW_SX_SY_S15_S19_S1B_T6_T7_T9_mT8_S1D_bDpT10_ENKUlT_T0_E_clISt17integral_constantIbLb0EES1R_EEDaS1M_S1N_EUlS1M_E_NS1_11comp_targetILNS1_3genE2ELNS1_11target_archE906ELNS1_3gpuE6ELNS1_3repE0EEENS1_30default_config_static_selectorELNS0_4arch9wavefront6targetE0EEEvSZ_,"axG",@progbits,_ZN7rocprim17ROCPRIM_400000_NS6detail17trampoline_kernelINS0_13select_configILj256ELj13ELNS0_17block_load_methodE3ELS4_3ELS4_3ELNS0_20block_scan_algorithmE0ELj4294967295EEENS1_25partition_config_selectorILNS1_17partition_subalgoE4EjNS0_10empty_typeEbEEZZNS1_14partition_implILS8_4ELb0ES6_15HIP_vector_typeIjLj2EENS0_17counting_iteratorIjlEEPS9_SG_NS0_5tupleIJPjSI_NS0_16reverse_iteratorISI_EEEEENSH_IJSG_SG_SG_EEES9_SI_JZNS1_25segmented_radix_sort_implINS0_14default_configELb0EPKlPlSQ_SR_N2at6native12_GLOBAL__N_18offset_tEEE10hipError_tPvRmT1_PNSt15iterator_traitsISZ_E10value_typeET2_T3_PNS10_IS15_E10value_typeET4_jRbjT5_S1B_jjP12ihipStream_tbEUljE_ZNSN_ISO_Lb0ESQ_SR_SQ_SR_SV_EESW_SX_SY_SZ_S13_S14_S15_S18_S19_jS1A_jS1B_S1B_jjS1D_bEUljE0_EEESW_SX_SY_S15_S19_S1B_T6_T7_T9_mT8_S1D_bDpT10_ENKUlT_T0_E_clISt17integral_constantIbLb0EES1R_EEDaS1M_S1N_EUlS1M_E_NS1_11comp_targetILNS1_3genE2ELNS1_11target_archE906ELNS1_3gpuE6ELNS1_3repE0EEENS1_30default_config_static_selectorELNS0_4arch9wavefront6targetE0EEEvSZ_,comdat
	.globl	_ZN7rocprim17ROCPRIM_400000_NS6detail17trampoline_kernelINS0_13select_configILj256ELj13ELNS0_17block_load_methodE3ELS4_3ELS4_3ELNS0_20block_scan_algorithmE0ELj4294967295EEENS1_25partition_config_selectorILNS1_17partition_subalgoE4EjNS0_10empty_typeEbEEZZNS1_14partition_implILS8_4ELb0ES6_15HIP_vector_typeIjLj2EENS0_17counting_iteratorIjlEEPS9_SG_NS0_5tupleIJPjSI_NS0_16reverse_iteratorISI_EEEEENSH_IJSG_SG_SG_EEES9_SI_JZNS1_25segmented_radix_sort_implINS0_14default_configELb0EPKlPlSQ_SR_N2at6native12_GLOBAL__N_18offset_tEEE10hipError_tPvRmT1_PNSt15iterator_traitsISZ_E10value_typeET2_T3_PNS10_IS15_E10value_typeET4_jRbjT5_S1B_jjP12ihipStream_tbEUljE_ZNSN_ISO_Lb0ESQ_SR_SQ_SR_SV_EESW_SX_SY_SZ_S13_S14_S15_S18_S19_jS1A_jS1B_S1B_jjS1D_bEUljE0_EEESW_SX_SY_S15_S19_S1B_T6_T7_T9_mT8_S1D_bDpT10_ENKUlT_T0_E_clISt17integral_constantIbLb0EES1R_EEDaS1M_S1N_EUlS1M_E_NS1_11comp_targetILNS1_3genE2ELNS1_11target_archE906ELNS1_3gpuE6ELNS1_3repE0EEENS1_30default_config_static_selectorELNS0_4arch9wavefront6targetE0EEEvSZ_ ; -- Begin function _ZN7rocprim17ROCPRIM_400000_NS6detail17trampoline_kernelINS0_13select_configILj256ELj13ELNS0_17block_load_methodE3ELS4_3ELS4_3ELNS0_20block_scan_algorithmE0ELj4294967295EEENS1_25partition_config_selectorILNS1_17partition_subalgoE4EjNS0_10empty_typeEbEEZZNS1_14partition_implILS8_4ELb0ES6_15HIP_vector_typeIjLj2EENS0_17counting_iteratorIjlEEPS9_SG_NS0_5tupleIJPjSI_NS0_16reverse_iteratorISI_EEEEENSH_IJSG_SG_SG_EEES9_SI_JZNS1_25segmented_radix_sort_implINS0_14default_configELb0EPKlPlSQ_SR_N2at6native12_GLOBAL__N_18offset_tEEE10hipError_tPvRmT1_PNSt15iterator_traitsISZ_E10value_typeET2_T3_PNS10_IS15_E10value_typeET4_jRbjT5_S1B_jjP12ihipStream_tbEUljE_ZNSN_ISO_Lb0ESQ_SR_SQ_SR_SV_EESW_SX_SY_SZ_S13_S14_S15_S18_S19_jS1A_jS1B_S1B_jjS1D_bEUljE0_EEESW_SX_SY_S15_S19_S1B_T6_T7_T9_mT8_S1D_bDpT10_ENKUlT_T0_E_clISt17integral_constantIbLb0EES1R_EEDaS1M_S1N_EUlS1M_E_NS1_11comp_targetILNS1_3genE2ELNS1_11target_archE906ELNS1_3gpuE6ELNS1_3repE0EEENS1_30default_config_static_selectorELNS0_4arch9wavefront6targetE0EEEvSZ_
	.p2align	8
	.type	_ZN7rocprim17ROCPRIM_400000_NS6detail17trampoline_kernelINS0_13select_configILj256ELj13ELNS0_17block_load_methodE3ELS4_3ELS4_3ELNS0_20block_scan_algorithmE0ELj4294967295EEENS1_25partition_config_selectorILNS1_17partition_subalgoE4EjNS0_10empty_typeEbEEZZNS1_14partition_implILS8_4ELb0ES6_15HIP_vector_typeIjLj2EENS0_17counting_iteratorIjlEEPS9_SG_NS0_5tupleIJPjSI_NS0_16reverse_iteratorISI_EEEEENSH_IJSG_SG_SG_EEES9_SI_JZNS1_25segmented_radix_sort_implINS0_14default_configELb0EPKlPlSQ_SR_N2at6native12_GLOBAL__N_18offset_tEEE10hipError_tPvRmT1_PNSt15iterator_traitsISZ_E10value_typeET2_T3_PNS10_IS15_E10value_typeET4_jRbjT5_S1B_jjP12ihipStream_tbEUljE_ZNSN_ISO_Lb0ESQ_SR_SQ_SR_SV_EESW_SX_SY_SZ_S13_S14_S15_S18_S19_jS1A_jS1B_S1B_jjS1D_bEUljE0_EEESW_SX_SY_S15_S19_S1B_T6_T7_T9_mT8_S1D_bDpT10_ENKUlT_T0_E_clISt17integral_constantIbLb0EES1R_EEDaS1M_S1N_EUlS1M_E_NS1_11comp_targetILNS1_3genE2ELNS1_11target_archE906ELNS1_3gpuE6ELNS1_3repE0EEENS1_30default_config_static_selectorELNS0_4arch9wavefront6targetE0EEEvSZ_,@function
_ZN7rocprim17ROCPRIM_400000_NS6detail17trampoline_kernelINS0_13select_configILj256ELj13ELNS0_17block_load_methodE3ELS4_3ELS4_3ELNS0_20block_scan_algorithmE0ELj4294967295EEENS1_25partition_config_selectorILNS1_17partition_subalgoE4EjNS0_10empty_typeEbEEZZNS1_14partition_implILS8_4ELb0ES6_15HIP_vector_typeIjLj2EENS0_17counting_iteratorIjlEEPS9_SG_NS0_5tupleIJPjSI_NS0_16reverse_iteratorISI_EEEEENSH_IJSG_SG_SG_EEES9_SI_JZNS1_25segmented_radix_sort_implINS0_14default_configELb0EPKlPlSQ_SR_N2at6native12_GLOBAL__N_18offset_tEEE10hipError_tPvRmT1_PNSt15iterator_traitsISZ_E10value_typeET2_T3_PNS10_IS15_E10value_typeET4_jRbjT5_S1B_jjP12ihipStream_tbEUljE_ZNSN_ISO_Lb0ESQ_SR_SQ_SR_SV_EESW_SX_SY_SZ_S13_S14_S15_S18_S19_jS1A_jS1B_S1B_jjS1D_bEUljE0_EEESW_SX_SY_S15_S19_S1B_T6_T7_T9_mT8_S1D_bDpT10_ENKUlT_T0_E_clISt17integral_constantIbLb0EES1R_EEDaS1M_S1N_EUlS1M_E_NS1_11comp_targetILNS1_3genE2ELNS1_11target_archE906ELNS1_3gpuE6ELNS1_3repE0EEENS1_30default_config_static_selectorELNS0_4arch9wavefront6targetE0EEEvSZ_: ; @_ZN7rocprim17ROCPRIM_400000_NS6detail17trampoline_kernelINS0_13select_configILj256ELj13ELNS0_17block_load_methodE3ELS4_3ELS4_3ELNS0_20block_scan_algorithmE0ELj4294967295EEENS1_25partition_config_selectorILNS1_17partition_subalgoE4EjNS0_10empty_typeEbEEZZNS1_14partition_implILS8_4ELb0ES6_15HIP_vector_typeIjLj2EENS0_17counting_iteratorIjlEEPS9_SG_NS0_5tupleIJPjSI_NS0_16reverse_iteratorISI_EEEEENSH_IJSG_SG_SG_EEES9_SI_JZNS1_25segmented_radix_sort_implINS0_14default_configELb0EPKlPlSQ_SR_N2at6native12_GLOBAL__N_18offset_tEEE10hipError_tPvRmT1_PNSt15iterator_traitsISZ_E10value_typeET2_T3_PNS10_IS15_E10value_typeET4_jRbjT5_S1B_jjP12ihipStream_tbEUljE_ZNSN_ISO_Lb0ESQ_SR_SQ_SR_SV_EESW_SX_SY_SZ_S13_S14_S15_S18_S19_jS1A_jS1B_S1B_jjS1D_bEUljE0_EEESW_SX_SY_S15_S19_S1B_T6_T7_T9_mT8_S1D_bDpT10_ENKUlT_T0_E_clISt17integral_constantIbLb0EES1R_EEDaS1M_S1N_EUlS1M_E_NS1_11comp_targetILNS1_3genE2ELNS1_11target_archE906ELNS1_3gpuE6ELNS1_3repE0EEENS1_30default_config_static_selectorELNS0_4arch9wavefront6targetE0EEEvSZ_
; %bb.0:
	.section	.rodata,"a",@progbits
	.p2align	6, 0x0
	.amdhsa_kernel _ZN7rocprim17ROCPRIM_400000_NS6detail17trampoline_kernelINS0_13select_configILj256ELj13ELNS0_17block_load_methodE3ELS4_3ELS4_3ELNS0_20block_scan_algorithmE0ELj4294967295EEENS1_25partition_config_selectorILNS1_17partition_subalgoE4EjNS0_10empty_typeEbEEZZNS1_14partition_implILS8_4ELb0ES6_15HIP_vector_typeIjLj2EENS0_17counting_iteratorIjlEEPS9_SG_NS0_5tupleIJPjSI_NS0_16reverse_iteratorISI_EEEEENSH_IJSG_SG_SG_EEES9_SI_JZNS1_25segmented_radix_sort_implINS0_14default_configELb0EPKlPlSQ_SR_N2at6native12_GLOBAL__N_18offset_tEEE10hipError_tPvRmT1_PNSt15iterator_traitsISZ_E10value_typeET2_T3_PNS10_IS15_E10value_typeET4_jRbjT5_S1B_jjP12ihipStream_tbEUljE_ZNSN_ISO_Lb0ESQ_SR_SQ_SR_SV_EESW_SX_SY_SZ_S13_S14_S15_S18_S19_jS1A_jS1B_S1B_jjS1D_bEUljE0_EEESW_SX_SY_S15_S19_S1B_T6_T7_T9_mT8_S1D_bDpT10_ENKUlT_T0_E_clISt17integral_constantIbLb0EES1R_EEDaS1M_S1N_EUlS1M_E_NS1_11comp_targetILNS1_3genE2ELNS1_11target_archE906ELNS1_3gpuE6ELNS1_3repE0EEENS1_30default_config_static_selectorELNS0_4arch9wavefront6targetE0EEEvSZ_
		.amdhsa_group_segment_fixed_size 0
		.amdhsa_private_segment_fixed_size 0
		.amdhsa_kernarg_size 176
		.amdhsa_user_sgpr_count 15
		.amdhsa_user_sgpr_dispatch_ptr 0
		.amdhsa_user_sgpr_queue_ptr 0
		.amdhsa_user_sgpr_kernarg_segment_ptr 1
		.amdhsa_user_sgpr_dispatch_id 0
		.amdhsa_user_sgpr_private_segment_size 0
		.amdhsa_wavefront_size32 1
		.amdhsa_uses_dynamic_stack 0
		.amdhsa_enable_private_segment 0
		.amdhsa_system_sgpr_workgroup_id_x 1
		.amdhsa_system_sgpr_workgroup_id_y 0
		.amdhsa_system_sgpr_workgroup_id_z 0
		.amdhsa_system_sgpr_workgroup_info 0
		.amdhsa_system_vgpr_workitem_id 0
		.amdhsa_next_free_vgpr 1
		.amdhsa_next_free_sgpr 1
		.amdhsa_reserve_vcc 0
		.amdhsa_float_round_mode_32 0
		.amdhsa_float_round_mode_16_64 0
		.amdhsa_float_denorm_mode_32 3
		.amdhsa_float_denorm_mode_16_64 3
		.amdhsa_dx10_clamp 1
		.amdhsa_ieee_mode 1
		.amdhsa_fp16_overflow 0
		.amdhsa_workgroup_processor_mode 1
		.amdhsa_memory_ordered 1
		.amdhsa_forward_progress 0
		.amdhsa_shared_vgpr_count 0
		.amdhsa_exception_fp_ieee_invalid_op 0
		.amdhsa_exception_fp_denorm_src 0
		.amdhsa_exception_fp_ieee_div_zero 0
		.amdhsa_exception_fp_ieee_overflow 0
		.amdhsa_exception_fp_ieee_underflow 0
		.amdhsa_exception_fp_ieee_inexact 0
		.amdhsa_exception_int_div_zero 0
	.end_amdhsa_kernel
	.section	.text._ZN7rocprim17ROCPRIM_400000_NS6detail17trampoline_kernelINS0_13select_configILj256ELj13ELNS0_17block_load_methodE3ELS4_3ELS4_3ELNS0_20block_scan_algorithmE0ELj4294967295EEENS1_25partition_config_selectorILNS1_17partition_subalgoE4EjNS0_10empty_typeEbEEZZNS1_14partition_implILS8_4ELb0ES6_15HIP_vector_typeIjLj2EENS0_17counting_iteratorIjlEEPS9_SG_NS0_5tupleIJPjSI_NS0_16reverse_iteratorISI_EEEEENSH_IJSG_SG_SG_EEES9_SI_JZNS1_25segmented_radix_sort_implINS0_14default_configELb0EPKlPlSQ_SR_N2at6native12_GLOBAL__N_18offset_tEEE10hipError_tPvRmT1_PNSt15iterator_traitsISZ_E10value_typeET2_T3_PNS10_IS15_E10value_typeET4_jRbjT5_S1B_jjP12ihipStream_tbEUljE_ZNSN_ISO_Lb0ESQ_SR_SQ_SR_SV_EESW_SX_SY_SZ_S13_S14_S15_S18_S19_jS1A_jS1B_S1B_jjS1D_bEUljE0_EEESW_SX_SY_S15_S19_S1B_T6_T7_T9_mT8_S1D_bDpT10_ENKUlT_T0_E_clISt17integral_constantIbLb0EES1R_EEDaS1M_S1N_EUlS1M_E_NS1_11comp_targetILNS1_3genE2ELNS1_11target_archE906ELNS1_3gpuE6ELNS1_3repE0EEENS1_30default_config_static_selectorELNS0_4arch9wavefront6targetE0EEEvSZ_,"axG",@progbits,_ZN7rocprim17ROCPRIM_400000_NS6detail17trampoline_kernelINS0_13select_configILj256ELj13ELNS0_17block_load_methodE3ELS4_3ELS4_3ELNS0_20block_scan_algorithmE0ELj4294967295EEENS1_25partition_config_selectorILNS1_17partition_subalgoE4EjNS0_10empty_typeEbEEZZNS1_14partition_implILS8_4ELb0ES6_15HIP_vector_typeIjLj2EENS0_17counting_iteratorIjlEEPS9_SG_NS0_5tupleIJPjSI_NS0_16reverse_iteratorISI_EEEEENSH_IJSG_SG_SG_EEES9_SI_JZNS1_25segmented_radix_sort_implINS0_14default_configELb0EPKlPlSQ_SR_N2at6native12_GLOBAL__N_18offset_tEEE10hipError_tPvRmT1_PNSt15iterator_traitsISZ_E10value_typeET2_T3_PNS10_IS15_E10value_typeET4_jRbjT5_S1B_jjP12ihipStream_tbEUljE_ZNSN_ISO_Lb0ESQ_SR_SQ_SR_SV_EESW_SX_SY_SZ_S13_S14_S15_S18_S19_jS1A_jS1B_S1B_jjS1D_bEUljE0_EEESW_SX_SY_S15_S19_S1B_T6_T7_T9_mT8_S1D_bDpT10_ENKUlT_T0_E_clISt17integral_constantIbLb0EES1R_EEDaS1M_S1N_EUlS1M_E_NS1_11comp_targetILNS1_3genE2ELNS1_11target_archE906ELNS1_3gpuE6ELNS1_3repE0EEENS1_30default_config_static_selectorELNS0_4arch9wavefront6targetE0EEEvSZ_,comdat
.Lfunc_end747:
	.size	_ZN7rocprim17ROCPRIM_400000_NS6detail17trampoline_kernelINS0_13select_configILj256ELj13ELNS0_17block_load_methodE3ELS4_3ELS4_3ELNS0_20block_scan_algorithmE0ELj4294967295EEENS1_25partition_config_selectorILNS1_17partition_subalgoE4EjNS0_10empty_typeEbEEZZNS1_14partition_implILS8_4ELb0ES6_15HIP_vector_typeIjLj2EENS0_17counting_iteratorIjlEEPS9_SG_NS0_5tupleIJPjSI_NS0_16reverse_iteratorISI_EEEEENSH_IJSG_SG_SG_EEES9_SI_JZNS1_25segmented_radix_sort_implINS0_14default_configELb0EPKlPlSQ_SR_N2at6native12_GLOBAL__N_18offset_tEEE10hipError_tPvRmT1_PNSt15iterator_traitsISZ_E10value_typeET2_T3_PNS10_IS15_E10value_typeET4_jRbjT5_S1B_jjP12ihipStream_tbEUljE_ZNSN_ISO_Lb0ESQ_SR_SQ_SR_SV_EESW_SX_SY_SZ_S13_S14_S15_S18_S19_jS1A_jS1B_S1B_jjS1D_bEUljE0_EEESW_SX_SY_S15_S19_S1B_T6_T7_T9_mT8_S1D_bDpT10_ENKUlT_T0_E_clISt17integral_constantIbLb0EES1R_EEDaS1M_S1N_EUlS1M_E_NS1_11comp_targetILNS1_3genE2ELNS1_11target_archE906ELNS1_3gpuE6ELNS1_3repE0EEENS1_30default_config_static_selectorELNS0_4arch9wavefront6targetE0EEEvSZ_, .Lfunc_end747-_ZN7rocprim17ROCPRIM_400000_NS6detail17trampoline_kernelINS0_13select_configILj256ELj13ELNS0_17block_load_methodE3ELS4_3ELS4_3ELNS0_20block_scan_algorithmE0ELj4294967295EEENS1_25partition_config_selectorILNS1_17partition_subalgoE4EjNS0_10empty_typeEbEEZZNS1_14partition_implILS8_4ELb0ES6_15HIP_vector_typeIjLj2EENS0_17counting_iteratorIjlEEPS9_SG_NS0_5tupleIJPjSI_NS0_16reverse_iteratorISI_EEEEENSH_IJSG_SG_SG_EEES9_SI_JZNS1_25segmented_radix_sort_implINS0_14default_configELb0EPKlPlSQ_SR_N2at6native12_GLOBAL__N_18offset_tEEE10hipError_tPvRmT1_PNSt15iterator_traitsISZ_E10value_typeET2_T3_PNS10_IS15_E10value_typeET4_jRbjT5_S1B_jjP12ihipStream_tbEUljE_ZNSN_ISO_Lb0ESQ_SR_SQ_SR_SV_EESW_SX_SY_SZ_S13_S14_S15_S18_S19_jS1A_jS1B_S1B_jjS1D_bEUljE0_EEESW_SX_SY_S15_S19_S1B_T6_T7_T9_mT8_S1D_bDpT10_ENKUlT_T0_E_clISt17integral_constantIbLb0EES1R_EEDaS1M_S1N_EUlS1M_E_NS1_11comp_targetILNS1_3genE2ELNS1_11target_archE906ELNS1_3gpuE6ELNS1_3repE0EEENS1_30default_config_static_selectorELNS0_4arch9wavefront6targetE0EEEvSZ_
                                        ; -- End function
	.section	.AMDGPU.csdata,"",@progbits
; Kernel info:
; codeLenInByte = 0
; NumSgprs: 0
; NumVgprs: 0
; ScratchSize: 0
; MemoryBound: 0
; FloatMode: 240
; IeeeMode: 1
; LDSByteSize: 0 bytes/workgroup (compile time only)
; SGPRBlocks: 0
; VGPRBlocks: 0
; NumSGPRsForWavesPerEU: 1
; NumVGPRsForWavesPerEU: 1
; Occupancy: 16
; WaveLimiterHint : 0
; COMPUTE_PGM_RSRC2:SCRATCH_EN: 0
; COMPUTE_PGM_RSRC2:USER_SGPR: 15
; COMPUTE_PGM_RSRC2:TRAP_HANDLER: 0
; COMPUTE_PGM_RSRC2:TGID_X_EN: 1
; COMPUTE_PGM_RSRC2:TGID_Y_EN: 0
; COMPUTE_PGM_RSRC2:TGID_Z_EN: 0
; COMPUTE_PGM_RSRC2:TIDIG_COMP_CNT: 0
	.section	.text._ZN7rocprim17ROCPRIM_400000_NS6detail17trampoline_kernelINS0_13select_configILj256ELj13ELNS0_17block_load_methodE3ELS4_3ELS4_3ELNS0_20block_scan_algorithmE0ELj4294967295EEENS1_25partition_config_selectorILNS1_17partition_subalgoE4EjNS0_10empty_typeEbEEZZNS1_14partition_implILS8_4ELb0ES6_15HIP_vector_typeIjLj2EENS0_17counting_iteratorIjlEEPS9_SG_NS0_5tupleIJPjSI_NS0_16reverse_iteratorISI_EEEEENSH_IJSG_SG_SG_EEES9_SI_JZNS1_25segmented_radix_sort_implINS0_14default_configELb0EPKlPlSQ_SR_N2at6native12_GLOBAL__N_18offset_tEEE10hipError_tPvRmT1_PNSt15iterator_traitsISZ_E10value_typeET2_T3_PNS10_IS15_E10value_typeET4_jRbjT5_S1B_jjP12ihipStream_tbEUljE_ZNSN_ISO_Lb0ESQ_SR_SQ_SR_SV_EESW_SX_SY_SZ_S13_S14_S15_S18_S19_jS1A_jS1B_S1B_jjS1D_bEUljE0_EEESW_SX_SY_S15_S19_S1B_T6_T7_T9_mT8_S1D_bDpT10_ENKUlT_T0_E_clISt17integral_constantIbLb0EES1R_EEDaS1M_S1N_EUlS1M_E_NS1_11comp_targetILNS1_3genE10ELNS1_11target_archE1200ELNS1_3gpuE4ELNS1_3repE0EEENS1_30default_config_static_selectorELNS0_4arch9wavefront6targetE0EEEvSZ_,"axG",@progbits,_ZN7rocprim17ROCPRIM_400000_NS6detail17trampoline_kernelINS0_13select_configILj256ELj13ELNS0_17block_load_methodE3ELS4_3ELS4_3ELNS0_20block_scan_algorithmE0ELj4294967295EEENS1_25partition_config_selectorILNS1_17partition_subalgoE4EjNS0_10empty_typeEbEEZZNS1_14partition_implILS8_4ELb0ES6_15HIP_vector_typeIjLj2EENS0_17counting_iteratorIjlEEPS9_SG_NS0_5tupleIJPjSI_NS0_16reverse_iteratorISI_EEEEENSH_IJSG_SG_SG_EEES9_SI_JZNS1_25segmented_radix_sort_implINS0_14default_configELb0EPKlPlSQ_SR_N2at6native12_GLOBAL__N_18offset_tEEE10hipError_tPvRmT1_PNSt15iterator_traitsISZ_E10value_typeET2_T3_PNS10_IS15_E10value_typeET4_jRbjT5_S1B_jjP12ihipStream_tbEUljE_ZNSN_ISO_Lb0ESQ_SR_SQ_SR_SV_EESW_SX_SY_SZ_S13_S14_S15_S18_S19_jS1A_jS1B_S1B_jjS1D_bEUljE0_EEESW_SX_SY_S15_S19_S1B_T6_T7_T9_mT8_S1D_bDpT10_ENKUlT_T0_E_clISt17integral_constantIbLb0EES1R_EEDaS1M_S1N_EUlS1M_E_NS1_11comp_targetILNS1_3genE10ELNS1_11target_archE1200ELNS1_3gpuE4ELNS1_3repE0EEENS1_30default_config_static_selectorELNS0_4arch9wavefront6targetE0EEEvSZ_,comdat
	.globl	_ZN7rocprim17ROCPRIM_400000_NS6detail17trampoline_kernelINS0_13select_configILj256ELj13ELNS0_17block_load_methodE3ELS4_3ELS4_3ELNS0_20block_scan_algorithmE0ELj4294967295EEENS1_25partition_config_selectorILNS1_17partition_subalgoE4EjNS0_10empty_typeEbEEZZNS1_14partition_implILS8_4ELb0ES6_15HIP_vector_typeIjLj2EENS0_17counting_iteratorIjlEEPS9_SG_NS0_5tupleIJPjSI_NS0_16reverse_iteratorISI_EEEEENSH_IJSG_SG_SG_EEES9_SI_JZNS1_25segmented_radix_sort_implINS0_14default_configELb0EPKlPlSQ_SR_N2at6native12_GLOBAL__N_18offset_tEEE10hipError_tPvRmT1_PNSt15iterator_traitsISZ_E10value_typeET2_T3_PNS10_IS15_E10value_typeET4_jRbjT5_S1B_jjP12ihipStream_tbEUljE_ZNSN_ISO_Lb0ESQ_SR_SQ_SR_SV_EESW_SX_SY_SZ_S13_S14_S15_S18_S19_jS1A_jS1B_S1B_jjS1D_bEUljE0_EEESW_SX_SY_S15_S19_S1B_T6_T7_T9_mT8_S1D_bDpT10_ENKUlT_T0_E_clISt17integral_constantIbLb0EES1R_EEDaS1M_S1N_EUlS1M_E_NS1_11comp_targetILNS1_3genE10ELNS1_11target_archE1200ELNS1_3gpuE4ELNS1_3repE0EEENS1_30default_config_static_selectorELNS0_4arch9wavefront6targetE0EEEvSZ_ ; -- Begin function _ZN7rocprim17ROCPRIM_400000_NS6detail17trampoline_kernelINS0_13select_configILj256ELj13ELNS0_17block_load_methodE3ELS4_3ELS4_3ELNS0_20block_scan_algorithmE0ELj4294967295EEENS1_25partition_config_selectorILNS1_17partition_subalgoE4EjNS0_10empty_typeEbEEZZNS1_14partition_implILS8_4ELb0ES6_15HIP_vector_typeIjLj2EENS0_17counting_iteratorIjlEEPS9_SG_NS0_5tupleIJPjSI_NS0_16reverse_iteratorISI_EEEEENSH_IJSG_SG_SG_EEES9_SI_JZNS1_25segmented_radix_sort_implINS0_14default_configELb0EPKlPlSQ_SR_N2at6native12_GLOBAL__N_18offset_tEEE10hipError_tPvRmT1_PNSt15iterator_traitsISZ_E10value_typeET2_T3_PNS10_IS15_E10value_typeET4_jRbjT5_S1B_jjP12ihipStream_tbEUljE_ZNSN_ISO_Lb0ESQ_SR_SQ_SR_SV_EESW_SX_SY_SZ_S13_S14_S15_S18_S19_jS1A_jS1B_S1B_jjS1D_bEUljE0_EEESW_SX_SY_S15_S19_S1B_T6_T7_T9_mT8_S1D_bDpT10_ENKUlT_T0_E_clISt17integral_constantIbLb0EES1R_EEDaS1M_S1N_EUlS1M_E_NS1_11comp_targetILNS1_3genE10ELNS1_11target_archE1200ELNS1_3gpuE4ELNS1_3repE0EEENS1_30default_config_static_selectorELNS0_4arch9wavefront6targetE0EEEvSZ_
	.p2align	8
	.type	_ZN7rocprim17ROCPRIM_400000_NS6detail17trampoline_kernelINS0_13select_configILj256ELj13ELNS0_17block_load_methodE3ELS4_3ELS4_3ELNS0_20block_scan_algorithmE0ELj4294967295EEENS1_25partition_config_selectorILNS1_17partition_subalgoE4EjNS0_10empty_typeEbEEZZNS1_14partition_implILS8_4ELb0ES6_15HIP_vector_typeIjLj2EENS0_17counting_iteratorIjlEEPS9_SG_NS0_5tupleIJPjSI_NS0_16reverse_iteratorISI_EEEEENSH_IJSG_SG_SG_EEES9_SI_JZNS1_25segmented_radix_sort_implINS0_14default_configELb0EPKlPlSQ_SR_N2at6native12_GLOBAL__N_18offset_tEEE10hipError_tPvRmT1_PNSt15iterator_traitsISZ_E10value_typeET2_T3_PNS10_IS15_E10value_typeET4_jRbjT5_S1B_jjP12ihipStream_tbEUljE_ZNSN_ISO_Lb0ESQ_SR_SQ_SR_SV_EESW_SX_SY_SZ_S13_S14_S15_S18_S19_jS1A_jS1B_S1B_jjS1D_bEUljE0_EEESW_SX_SY_S15_S19_S1B_T6_T7_T9_mT8_S1D_bDpT10_ENKUlT_T0_E_clISt17integral_constantIbLb0EES1R_EEDaS1M_S1N_EUlS1M_E_NS1_11comp_targetILNS1_3genE10ELNS1_11target_archE1200ELNS1_3gpuE4ELNS1_3repE0EEENS1_30default_config_static_selectorELNS0_4arch9wavefront6targetE0EEEvSZ_,@function
_ZN7rocprim17ROCPRIM_400000_NS6detail17trampoline_kernelINS0_13select_configILj256ELj13ELNS0_17block_load_methodE3ELS4_3ELS4_3ELNS0_20block_scan_algorithmE0ELj4294967295EEENS1_25partition_config_selectorILNS1_17partition_subalgoE4EjNS0_10empty_typeEbEEZZNS1_14partition_implILS8_4ELb0ES6_15HIP_vector_typeIjLj2EENS0_17counting_iteratorIjlEEPS9_SG_NS0_5tupleIJPjSI_NS0_16reverse_iteratorISI_EEEEENSH_IJSG_SG_SG_EEES9_SI_JZNS1_25segmented_radix_sort_implINS0_14default_configELb0EPKlPlSQ_SR_N2at6native12_GLOBAL__N_18offset_tEEE10hipError_tPvRmT1_PNSt15iterator_traitsISZ_E10value_typeET2_T3_PNS10_IS15_E10value_typeET4_jRbjT5_S1B_jjP12ihipStream_tbEUljE_ZNSN_ISO_Lb0ESQ_SR_SQ_SR_SV_EESW_SX_SY_SZ_S13_S14_S15_S18_S19_jS1A_jS1B_S1B_jjS1D_bEUljE0_EEESW_SX_SY_S15_S19_S1B_T6_T7_T9_mT8_S1D_bDpT10_ENKUlT_T0_E_clISt17integral_constantIbLb0EES1R_EEDaS1M_S1N_EUlS1M_E_NS1_11comp_targetILNS1_3genE10ELNS1_11target_archE1200ELNS1_3gpuE4ELNS1_3repE0EEENS1_30default_config_static_selectorELNS0_4arch9wavefront6targetE0EEEvSZ_: ; @_ZN7rocprim17ROCPRIM_400000_NS6detail17trampoline_kernelINS0_13select_configILj256ELj13ELNS0_17block_load_methodE3ELS4_3ELS4_3ELNS0_20block_scan_algorithmE0ELj4294967295EEENS1_25partition_config_selectorILNS1_17partition_subalgoE4EjNS0_10empty_typeEbEEZZNS1_14partition_implILS8_4ELb0ES6_15HIP_vector_typeIjLj2EENS0_17counting_iteratorIjlEEPS9_SG_NS0_5tupleIJPjSI_NS0_16reverse_iteratorISI_EEEEENSH_IJSG_SG_SG_EEES9_SI_JZNS1_25segmented_radix_sort_implINS0_14default_configELb0EPKlPlSQ_SR_N2at6native12_GLOBAL__N_18offset_tEEE10hipError_tPvRmT1_PNSt15iterator_traitsISZ_E10value_typeET2_T3_PNS10_IS15_E10value_typeET4_jRbjT5_S1B_jjP12ihipStream_tbEUljE_ZNSN_ISO_Lb0ESQ_SR_SQ_SR_SV_EESW_SX_SY_SZ_S13_S14_S15_S18_S19_jS1A_jS1B_S1B_jjS1D_bEUljE0_EEESW_SX_SY_S15_S19_S1B_T6_T7_T9_mT8_S1D_bDpT10_ENKUlT_T0_E_clISt17integral_constantIbLb0EES1R_EEDaS1M_S1N_EUlS1M_E_NS1_11comp_targetILNS1_3genE10ELNS1_11target_archE1200ELNS1_3gpuE4ELNS1_3repE0EEENS1_30default_config_static_selectorELNS0_4arch9wavefront6targetE0EEEvSZ_
; %bb.0:
	.section	.rodata,"a",@progbits
	.p2align	6, 0x0
	.amdhsa_kernel _ZN7rocprim17ROCPRIM_400000_NS6detail17trampoline_kernelINS0_13select_configILj256ELj13ELNS0_17block_load_methodE3ELS4_3ELS4_3ELNS0_20block_scan_algorithmE0ELj4294967295EEENS1_25partition_config_selectorILNS1_17partition_subalgoE4EjNS0_10empty_typeEbEEZZNS1_14partition_implILS8_4ELb0ES6_15HIP_vector_typeIjLj2EENS0_17counting_iteratorIjlEEPS9_SG_NS0_5tupleIJPjSI_NS0_16reverse_iteratorISI_EEEEENSH_IJSG_SG_SG_EEES9_SI_JZNS1_25segmented_radix_sort_implINS0_14default_configELb0EPKlPlSQ_SR_N2at6native12_GLOBAL__N_18offset_tEEE10hipError_tPvRmT1_PNSt15iterator_traitsISZ_E10value_typeET2_T3_PNS10_IS15_E10value_typeET4_jRbjT5_S1B_jjP12ihipStream_tbEUljE_ZNSN_ISO_Lb0ESQ_SR_SQ_SR_SV_EESW_SX_SY_SZ_S13_S14_S15_S18_S19_jS1A_jS1B_S1B_jjS1D_bEUljE0_EEESW_SX_SY_S15_S19_S1B_T6_T7_T9_mT8_S1D_bDpT10_ENKUlT_T0_E_clISt17integral_constantIbLb0EES1R_EEDaS1M_S1N_EUlS1M_E_NS1_11comp_targetILNS1_3genE10ELNS1_11target_archE1200ELNS1_3gpuE4ELNS1_3repE0EEENS1_30default_config_static_selectorELNS0_4arch9wavefront6targetE0EEEvSZ_
		.amdhsa_group_segment_fixed_size 0
		.amdhsa_private_segment_fixed_size 0
		.amdhsa_kernarg_size 176
		.amdhsa_user_sgpr_count 15
		.amdhsa_user_sgpr_dispatch_ptr 0
		.amdhsa_user_sgpr_queue_ptr 0
		.amdhsa_user_sgpr_kernarg_segment_ptr 1
		.amdhsa_user_sgpr_dispatch_id 0
		.amdhsa_user_sgpr_private_segment_size 0
		.amdhsa_wavefront_size32 1
		.amdhsa_uses_dynamic_stack 0
		.amdhsa_enable_private_segment 0
		.amdhsa_system_sgpr_workgroup_id_x 1
		.amdhsa_system_sgpr_workgroup_id_y 0
		.amdhsa_system_sgpr_workgroup_id_z 0
		.amdhsa_system_sgpr_workgroup_info 0
		.amdhsa_system_vgpr_workitem_id 0
		.amdhsa_next_free_vgpr 1
		.amdhsa_next_free_sgpr 1
		.amdhsa_reserve_vcc 0
		.amdhsa_float_round_mode_32 0
		.amdhsa_float_round_mode_16_64 0
		.amdhsa_float_denorm_mode_32 3
		.amdhsa_float_denorm_mode_16_64 3
		.amdhsa_dx10_clamp 1
		.amdhsa_ieee_mode 1
		.amdhsa_fp16_overflow 0
		.amdhsa_workgroup_processor_mode 1
		.amdhsa_memory_ordered 1
		.amdhsa_forward_progress 0
		.amdhsa_shared_vgpr_count 0
		.amdhsa_exception_fp_ieee_invalid_op 0
		.amdhsa_exception_fp_denorm_src 0
		.amdhsa_exception_fp_ieee_div_zero 0
		.amdhsa_exception_fp_ieee_overflow 0
		.amdhsa_exception_fp_ieee_underflow 0
		.amdhsa_exception_fp_ieee_inexact 0
		.amdhsa_exception_int_div_zero 0
	.end_amdhsa_kernel
	.section	.text._ZN7rocprim17ROCPRIM_400000_NS6detail17trampoline_kernelINS0_13select_configILj256ELj13ELNS0_17block_load_methodE3ELS4_3ELS4_3ELNS0_20block_scan_algorithmE0ELj4294967295EEENS1_25partition_config_selectorILNS1_17partition_subalgoE4EjNS0_10empty_typeEbEEZZNS1_14partition_implILS8_4ELb0ES6_15HIP_vector_typeIjLj2EENS0_17counting_iteratorIjlEEPS9_SG_NS0_5tupleIJPjSI_NS0_16reverse_iteratorISI_EEEEENSH_IJSG_SG_SG_EEES9_SI_JZNS1_25segmented_radix_sort_implINS0_14default_configELb0EPKlPlSQ_SR_N2at6native12_GLOBAL__N_18offset_tEEE10hipError_tPvRmT1_PNSt15iterator_traitsISZ_E10value_typeET2_T3_PNS10_IS15_E10value_typeET4_jRbjT5_S1B_jjP12ihipStream_tbEUljE_ZNSN_ISO_Lb0ESQ_SR_SQ_SR_SV_EESW_SX_SY_SZ_S13_S14_S15_S18_S19_jS1A_jS1B_S1B_jjS1D_bEUljE0_EEESW_SX_SY_S15_S19_S1B_T6_T7_T9_mT8_S1D_bDpT10_ENKUlT_T0_E_clISt17integral_constantIbLb0EES1R_EEDaS1M_S1N_EUlS1M_E_NS1_11comp_targetILNS1_3genE10ELNS1_11target_archE1200ELNS1_3gpuE4ELNS1_3repE0EEENS1_30default_config_static_selectorELNS0_4arch9wavefront6targetE0EEEvSZ_,"axG",@progbits,_ZN7rocprim17ROCPRIM_400000_NS6detail17trampoline_kernelINS0_13select_configILj256ELj13ELNS0_17block_load_methodE3ELS4_3ELS4_3ELNS0_20block_scan_algorithmE0ELj4294967295EEENS1_25partition_config_selectorILNS1_17partition_subalgoE4EjNS0_10empty_typeEbEEZZNS1_14partition_implILS8_4ELb0ES6_15HIP_vector_typeIjLj2EENS0_17counting_iteratorIjlEEPS9_SG_NS0_5tupleIJPjSI_NS0_16reverse_iteratorISI_EEEEENSH_IJSG_SG_SG_EEES9_SI_JZNS1_25segmented_radix_sort_implINS0_14default_configELb0EPKlPlSQ_SR_N2at6native12_GLOBAL__N_18offset_tEEE10hipError_tPvRmT1_PNSt15iterator_traitsISZ_E10value_typeET2_T3_PNS10_IS15_E10value_typeET4_jRbjT5_S1B_jjP12ihipStream_tbEUljE_ZNSN_ISO_Lb0ESQ_SR_SQ_SR_SV_EESW_SX_SY_SZ_S13_S14_S15_S18_S19_jS1A_jS1B_S1B_jjS1D_bEUljE0_EEESW_SX_SY_S15_S19_S1B_T6_T7_T9_mT8_S1D_bDpT10_ENKUlT_T0_E_clISt17integral_constantIbLb0EES1R_EEDaS1M_S1N_EUlS1M_E_NS1_11comp_targetILNS1_3genE10ELNS1_11target_archE1200ELNS1_3gpuE4ELNS1_3repE0EEENS1_30default_config_static_selectorELNS0_4arch9wavefront6targetE0EEEvSZ_,comdat
.Lfunc_end748:
	.size	_ZN7rocprim17ROCPRIM_400000_NS6detail17trampoline_kernelINS0_13select_configILj256ELj13ELNS0_17block_load_methodE3ELS4_3ELS4_3ELNS0_20block_scan_algorithmE0ELj4294967295EEENS1_25partition_config_selectorILNS1_17partition_subalgoE4EjNS0_10empty_typeEbEEZZNS1_14partition_implILS8_4ELb0ES6_15HIP_vector_typeIjLj2EENS0_17counting_iteratorIjlEEPS9_SG_NS0_5tupleIJPjSI_NS0_16reverse_iteratorISI_EEEEENSH_IJSG_SG_SG_EEES9_SI_JZNS1_25segmented_radix_sort_implINS0_14default_configELb0EPKlPlSQ_SR_N2at6native12_GLOBAL__N_18offset_tEEE10hipError_tPvRmT1_PNSt15iterator_traitsISZ_E10value_typeET2_T3_PNS10_IS15_E10value_typeET4_jRbjT5_S1B_jjP12ihipStream_tbEUljE_ZNSN_ISO_Lb0ESQ_SR_SQ_SR_SV_EESW_SX_SY_SZ_S13_S14_S15_S18_S19_jS1A_jS1B_S1B_jjS1D_bEUljE0_EEESW_SX_SY_S15_S19_S1B_T6_T7_T9_mT8_S1D_bDpT10_ENKUlT_T0_E_clISt17integral_constantIbLb0EES1R_EEDaS1M_S1N_EUlS1M_E_NS1_11comp_targetILNS1_3genE10ELNS1_11target_archE1200ELNS1_3gpuE4ELNS1_3repE0EEENS1_30default_config_static_selectorELNS0_4arch9wavefront6targetE0EEEvSZ_, .Lfunc_end748-_ZN7rocprim17ROCPRIM_400000_NS6detail17trampoline_kernelINS0_13select_configILj256ELj13ELNS0_17block_load_methodE3ELS4_3ELS4_3ELNS0_20block_scan_algorithmE0ELj4294967295EEENS1_25partition_config_selectorILNS1_17partition_subalgoE4EjNS0_10empty_typeEbEEZZNS1_14partition_implILS8_4ELb0ES6_15HIP_vector_typeIjLj2EENS0_17counting_iteratorIjlEEPS9_SG_NS0_5tupleIJPjSI_NS0_16reverse_iteratorISI_EEEEENSH_IJSG_SG_SG_EEES9_SI_JZNS1_25segmented_radix_sort_implINS0_14default_configELb0EPKlPlSQ_SR_N2at6native12_GLOBAL__N_18offset_tEEE10hipError_tPvRmT1_PNSt15iterator_traitsISZ_E10value_typeET2_T3_PNS10_IS15_E10value_typeET4_jRbjT5_S1B_jjP12ihipStream_tbEUljE_ZNSN_ISO_Lb0ESQ_SR_SQ_SR_SV_EESW_SX_SY_SZ_S13_S14_S15_S18_S19_jS1A_jS1B_S1B_jjS1D_bEUljE0_EEESW_SX_SY_S15_S19_S1B_T6_T7_T9_mT8_S1D_bDpT10_ENKUlT_T0_E_clISt17integral_constantIbLb0EES1R_EEDaS1M_S1N_EUlS1M_E_NS1_11comp_targetILNS1_3genE10ELNS1_11target_archE1200ELNS1_3gpuE4ELNS1_3repE0EEENS1_30default_config_static_selectorELNS0_4arch9wavefront6targetE0EEEvSZ_
                                        ; -- End function
	.section	.AMDGPU.csdata,"",@progbits
; Kernel info:
; codeLenInByte = 0
; NumSgprs: 0
; NumVgprs: 0
; ScratchSize: 0
; MemoryBound: 0
; FloatMode: 240
; IeeeMode: 1
; LDSByteSize: 0 bytes/workgroup (compile time only)
; SGPRBlocks: 0
; VGPRBlocks: 0
; NumSGPRsForWavesPerEU: 1
; NumVGPRsForWavesPerEU: 1
; Occupancy: 16
; WaveLimiterHint : 0
; COMPUTE_PGM_RSRC2:SCRATCH_EN: 0
; COMPUTE_PGM_RSRC2:USER_SGPR: 15
; COMPUTE_PGM_RSRC2:TRAP_HANDLER: 0
; COMPUTE_PGM_RSRC2:TGID_X_EN: 1
; COMPUTE_PGM_RSRC2:TGID_Y_EN: 0
; COMPUTE_PGM_RSRC2:TGID_Z_EN: 0
; COMPUTE_PGM_RSRC2:TIDIG_COMP_CNT: 0
	.section	.text._ZN7rocprim17ROCPRIM_400000_NS6detail17trampoline_kernelINS0_13select_configILj256ELj13ELNS0_17block_load_methodE3ELS4_3ELS4_3ELNS0_20block_scan_algorithmE0ELj4294967295EEENS1_25partition_config_selectorILNS1_17partition_subalgoE4EjNS0_10empty_typeEbEEZZNS1_14partition_implILS8_4ELb0ES6_15HIP_vector_typeIjLj2EENS0_17counting_iteratorIjlEEPS9_SG_NS0_5tupleIJPjSI_NS0_16reverse_iteratorISI_EEEEENSH_IJSG_SG_SG_EEES9_SI_JZNS1_25segmented_radix_sort_implINS0_14default_configELb0EPKlPlSQ_SR_N2at6native12_GLOBAL__N_18offset_tEEE10hipError_tPvRmT1_PNSt15iterator_traitsISZ_E10value_typeET2_T3_PNS10_IS15_E10value_typeET4_jRbjT5_S1B_jjP12ihipStream_tbEUljE_ZNSN_ISO_Lb0ESQ_SR_SQ_SR_SV_EESW_SX_SY_SZ_S13_S14_S15_S18_S19_jS1A_jS1B_S1B_jjS1D_bEUljE0_EEESW_SX_SY_S15_S19_S1B_T6_T7_T9_mT8_S1D_bDpT10_ENKUlT_T0_E_clISt17integral_constantIbLb0EES1R_EEDaS1M_S1N_EUlS1M_E_NS1_11comp_targetILNS1_3genE9ELNS1_11target_archE1100ELNS1_3gpuE3ELNS1_3repE0EEENS1_30default_config_static_selectorELNS0_4arch9wavefront6targetE0EEEvSZ_,"axG",@progbits,_ZN7rocprim17ROCPRIM_400000_NS6detail17trampoline_kernelINS0_13select_configILj256ELj13ELNS0_17block_load_methodE3ELS4_3ELS4_3ELNS0_20block_scan_algorithmE0ELj4294967295EEENS1_25partition_config_selectorILNS1_17partition_subalgoE4EjNS0_10empty_typeEbEEZZNS1_14partition_implILS8_4ELb0ES6_15HIP_vector_typeIjLj2EENS0_17counting_iteratorIjlEEPS9_SG_NS0_5tupleIJPjSI_NS0_16reverse_iteratorISI_EEEEENSH_IJSG_SG_SG_EEES9_SI_JZNS1_25segmented_radix_sort_implINS0_14default_configELb0EPKlPlSQ_SR_N2at6native12_GLOBAL__N_18offset_tEEE10hipError_tPvRmT1_PNSt15iterator_traitsISZ_E10value_typeET2_T3_PNS10_IS15_E10value_typeET4_jRbjT5_S1B_jjP12ihipStream_tbEUljE_ZNSN_ISO_Lb0ESQ_SR_SQ_SR_SV_EESW_SX_SY_SZ_S13_S14_S15_S18_S19_jS1A_jS1B_S1B_jjS1D_bEUljE0_EEESW_SX_SY_S15_S19_S1B_T6_T7_T9_mT8_S1D_bDpT10_ENKUlT_T0_E_clISt17integral_constantIbLb0EES1R_EEDaS1M_S1N_EUlS1M_E_NS1_11comp_targetILNS1_3genE9ELNS1_11target_archE1100ELNS1_3gpuE3ELNS1_3repE0EEENS1_30default_config_static_selectorELNS0_4arch9wavefront6targetE0EEEvSZ_,comdat
	.globl	_ZN7rocprim17ROCPRIM_400000_NS6detail17trampoline_kernelINS0_13select_configILj256ELj13ELNS0_17block_load_methodE3ELS4_3ELS4_3ELNS0_20block_scan_algorithmE0ELj4294967295EEENS1_25partition_config_selectorILNS1_17partition_subalgoE4EjNS0_10empty_typeEbEEZZNS1_14partition_implILS8_4ELb0ES6_15HIP_vector_typeIjLj2EENS0_17counting_iteratorIjlEEPS9_SG_NS0_5tupleIJPjSI_NS0_16reverse_iteratorISI_EEEEENSH_IJSG_SG_SG_EEES9_SI_JZNS1_25segmented_radix_sort_implINS0_14default_configELb0EPKlPlSQ_SR_N2at6native12_GLOBAL__N_18offset_tEEE10hipError_tPvRmT1_PNSt15iterator_traitsISZ_E10value_typeET2_T3_PNS10_IS15_E10value_typeET4_jRbjT5_S1B_jjP12ihipStream_tbEUljE_ZNSN_ISO_Lb0ESQ_SR_SQ_SR_SV_EESW_SX_SY_SZ_S13_S14_S15_S18_S19_jS1A_jS1B_S1B_jjS1D_bEUljE0_EEESW_SX_SY_S15_S19_S1B_T6_T7_T9_mT8_S1D_bDpT10_ENKUlT_T0_E_clISt17integral_constantIbLb0EES1R_EEDaS1M_S1N_EUlS1M_E_NS1_11comp_targetILNS1_3genE9ELNS1_11target_archE1100ELNS1_3gpuE3ELNS1_3repE0EEENS1_30default_config_static_selectorELNS0_4arch9wavefront6targetE0EEEvSZ_ ; -- Begin function _ZN7rocprim17ROCPRIM_400000_NS6detail17trampoline_kernelINS0_13select_configILj256ELj13ELNS0_17block_load_methodE3ELS4_3ELS4_3ELNS0_20block_scan_algorithmE0ELj4294967295EEENS1_25partition_config_selectorILNS1_17partition_subalgoE4EjNS0_10empty_typeEbEEZZNS1_14partition_implILS8_4ELb0ES6_15HIP_vector_typeIjLj2EENS0_17counting_iteratorIjlEEPS9_SG_NS0_5tupleIJPjSI_NS0_16reverse_iteratorISI_EEEEENSH_IJSG_SG_SG_EEES9_SI_JZNS1_25segmented_radix_sort_implINS0_14default_configELb0EPKlPlSQ_SR_N2at6native12_GLOBAL__N_18offset_tEEE10hipError_tPvRmT1_PNSt15iterator_traitsISZ_E10value_typeET2_T3_PNS10_IS15_E10value_typeET4_jRbjT5_S1B_jjP12ihipStream_tbEUljE_ZNSN_ISO_Lb0ESQ_SR_SQ_SR_SV_EESW_SX_SY_SZ_S13_S14_S15_S18_S19_jS1A_jS1B_S1B_jjS1D_bEUljE0_EEESW_SX_SY_S15_S19_S1B_T6_T7_T9_mT8_S1D_bDpT10_ENKUlT_T0_E_clISt17integral_constantIbLb0EES1R_EEDaS1M_S1N_EUlS1M_E_NS1_11comp_targetILNS1_3genE9ELNS1_11target_archE1100ELNS1_3gpuE3ELNS1_3repE0EEENS1_30default_config_static_selectorELNS0_4arch9wavefront6targetE0EEEvSZ_
	.p2align	8
	.type	_ZN7rocprim17ROCPRIM_400000_NS6detail17trampoline_kernelINS0_13select_configILj256ELj13ELNS0_17block_load_methodE3ELS4_3ELS4_3ELNS0_20block_scan_algorithmE0ELj4294967295EEENS1_25partition_config_selectorILNS1_17partition_subalgoE4EjNS0_10empty_typeEbEEZZNS1_14partition_implILS8_4ELb0ES6_15HIP_vector_typeIjLj2EENS0_17counting_iteratorIjlEEPS9_SG_NS0_5tupleIJPjSI_NS0_16reverse_iteratorISI_EEEEENSH_IJSG_SG_SG_EEES9_SI_JZNS1_25segmented_radix_sort_implINS0_14default_configELb0EPKlPlSQ_SR_N2at6native12_GLOBAL__N_18offset_tEEE10hipError_tPvRmT1_PNSt15iterator_traitsISZ_E10value_typeET2_T3_PNS10_IS15_E10value_typeET4_jRbjT5_S1B_jjP12ihipStream_tbEUljE_ZNSN_ISO_Lb0ESQ_SR_SQ_SR_SV_EESW_SX_SY_SZ_S13_S14_S15_S18_S19_jS1A_jS1B_S1B_jjS1D_bEUljE0_EEESW_SX_SY_S15_S19_S1B_T6_T7_T9_mT8_S1D_bDpT10_ENKUlT_T0_E_clISt17integral_constantIbLb0EES1R_EEDaS1M_S1N_EUlS1M_E_NS1_11comp_targetILNS1_3genE9ELNS1_11target_archE1100ELNS1_3gpuE3ELNS1_3repE0EEENS1_30default_config_static_selectorELNS0_4arch9wavefront6targetE0EEEvSZ_,@function
_ZN7rocprim17ROCPRIM_400000_NS6detail17trampoline_kernelINS0_13select_configILj256ELj13ELNS0_17block_load_methodE3ELS4_3ELS4_3ELNS0_20block_scan_algorithmE0ELj4294967295EEENS1_25partition_config_selectorILNS1_17partition_subalgoE4EjNS0_10empty_typeEbEEZZNS1_14partition_implILS8_4ELb0ES6_15HIP_vector_typeIjLj2EENS0_17counting_iteratorIjlEEPS9_SG_NS0_5tupleIJPjSI_NS0_16reverse_iteratorISI_EEEEENSH_IJSG_SG_SG_EEES9_SI_JZNS1_25segmented_radix_sort_implINS0_14default_configELb0EPKlPlSQ_SR_N2at6native12_GLOBAL__N_18offset_tEEE10hipError_tPvRmT1_PNSt15iterator_traitsISZ_E10value_typeET2_T3_PNS10_IS15_E10value_typeET4_jRbjT5_S1B_jjP12ihipStream_tbEUljE_ZNSN_ISO_Lb0ESQ_SR_SQ_SR_SV_EESW_SX_SY_SZ_S13_S14_S15_S18_S19_jS1A_jS1B_S1B_jjS1D_bEUljE0_EEESW_SX_SY_S15_S19_S1B_T6_T7_T9_mT8_S1D_bDpT10_ENKUlT_T0_E_clISt17integral_constantIbLb0EES1R_EEDaS1M_S1N_EUlS1M_E_NS1_11comp_targetILNS1_3genE9ELNS1_11target_archE1100ELNS1_3gpuE3ELNS1_3repE0EEENS1_30default_config_static_selectorELNS0_4arch9wavefront6targetE0EEEvSZ_: ; @_ZN7rocprim17ROCPRIM_400000_NS6detail17trampoline_kernelINS0_13select_configILj256ELj13ELNS0_17block_load_methodE3ELS4_3ELS4_3ELNS0_20block_scan_algorithmE0ELj4294967295EEENS1_25partition_config_selectorILNS1_17partition_subalgoE4EjNS0_10empty_typeEbEEZZNS1_14partition_implILS8_4ELb0ES6_15HIP_vector_typeIjLj2EENS0_17counting_iteratorIjlEEPS9_SG_NS0_5tupleIJPjSI_NS0_16reverse_iteratorISI_EEEEENSH_IJSG_SG_SG_EEES9_SI_JZNS1_25segmented_radix_sort_implINS0_14default_configELb0EPKlPlSQ_SR_N2at6native12_GLOBAL__N_18offset_tEEE10hipError_tPvRmT1_PNSt15iterator_traitsISZ_E10value_typeET2_T3_PNS10_IS15_E10value_typeET4_jRbjT5_S1B_jjP12ihipStream_tbEUljE_ZNSN_ISO_Lb0ESQ_SR_SQ_SR_SV_EESW_SX_SY_SZ_S13_S14_S15_S18_S19_jS1A_jS1B_S1B_jjS1D_bEUljE0_EEESW_SX_SY_S15_S19_S1B_T6_T7_T9_mT8_S1D_bDpT10_ENKUlT_T0_E_clISt17integral_constantIbLb0EES1R_EEDaS1M_S1N_EUlS1M_E_NS1_11comp_targetILNS1_3genE9ELNS1_11target_archE1100ELNS1_3gpuE3ELNS1_3repE0EEENS1_30default_config_static_selectorELNS0_4arch9wavefront6targetE0EEEvSZ_
; %bb.0:
	s_clause 0x6
	s_load_b32 s5, s[0:1], 0x80
	s_load_b64 s[34:35], s[0:1], 0x10
	s_load_b64 s[2:3], s[0:1], 0x68
	s_load_b32 s8, s[0:1], 0x8
	s_load_b128 s[24:27], s[0:1], 0x58
	s_load_b64 s[40:41], s[0:1], 0xa8
	s_load_b256 s[16:23], s[0:1], 0x88
	s_mul_i32 s33, s15, 0xd00
	s_waitcnt lgkmcnt(0)
	s_mul_i32 s4, s5, 0xd00
	s_add_i32 s5, s5, -1
	s_add_u32 s6, s34, s4
	s_addc_u32 s7, s35, 0
	s_load_b128 s[28:31], s[26:27], 0x0
	s_cmp_eq_u32 s15, s5
	v_cmp_lt_u64_e64 s3, s[6:7], s[2:3]
	s_cselect_b32 s14, -1, 0
	s_cmp_lg_u32 s15, s5
	s_cselect_b32 s5, -1, 0
	s_add_i32 s6, s8, s33
	s_delay_alu instid0(VALU_DEP_1) | instskip(SKIP_4) | instid1(VALU_DEP_1)
	s_or_b32 s3, s5, s3
	s_add_i32 s6, s6, s34
	s_and_b32 vcc_lo, exec_lo, s3
	v_add_nc_u32_e32 v1, s6, v0
	s_mov_b32 s5, -1
	v_add_nc_u32_e32 v2, 0x100, v1
	v_add_nc_u32_e32 v3, 0x200, v1
	;; [unrolled: 1-line block ×12, first 2 shown]
	s_cbranch_vccz .LBB749_2
; %bb.1:
	v_lshlrev_b32_e32 v14, 2, v0
	s_mov_b32 s5, 0
	ds_store_2addr_stride64_b32 v14, v1, v2 offset1:4
	ds_store_2addr_stride64_b32 v14, v3, v4 offset0:8 offset1:12
	ds_store_2addr_stride64_b32 v14, v5, v6 offset0:16 offset1:20
	;; [unrolled: 1-line block ×5, first 2 shown]
	ds_store_b32 v14, v13 offset:12288
	s_waitcnt lgkmcnt(0)
	s_barrier
.LBB749_2:
	s_and_not1_b32 vcc_lo, exec_lo, s5
	s_add_i32 s4, s4, s34
	s_cbranch_vccnz .LBB749_4
; %bb.3:
	v_lshlrev_b32_e32 v14, 2, v0
	ds_store_2addr_stride64_b32 v14, v1, v2 offset1:4
	ds_store_2addr_stride64_b32 v14, v3, v4 offset0:8 offset1:12
	ds_store_2addr_stride64_b32 v14, v5, v6 offset0:16 offset1:20
	;; [unrolled: 1-line block ×5, first 2 shown]
	ds_store_b32 v14, v13 offset:12288
	s_waitcnt lgkmcnt(0)
	s_barrier
.LBB749_4:
	v_mul_u32_u24_e32 v28, 13, v0
	s_clause 0x1
	s_load_b128 s[36:39], s[0:1], 0x28
	s_load_b64 s[26:27], s[0:1], 0x38
	s_waitcnt lgkmcnt(0)
	buffer_gl0_inv
	v_cndmask_b32_e64 v26, 0, 1, s3
	s_sub_i32 s44, s2, s4
	v_lshlrev_b32_e32 v1, 2, v28
	s_and_not1_b32 vcc_lo, exec_lo, s3
	ds_load_2addr_b32 v[16:17], v1 offset1:1
	ds_load_2addr_b32 v[14:15], v1 offset0:2 offset1:3
	ds_load_2addr_b32 v[12:13], v1 offset0:4 offset1:5
	;; [unrolled: 1-line block ×5, first 2 shown]
	ds_load_b32 v27, v1 offset:48
	s_waitcnt lgkmcnt(0)
	s_barrier
	buffer_gl0_inv
	s_cbranch_vccnz .LBB749_32
; %bb.5:
	v_add_nc_u32_e32 v1, s17, v16
	v_add_nc_u32_e32 v2, s19, v16
	s_mov_b32 s46, 0
	s_mov_b32 s45, 0
	s_mov_b32 s3, exec_lo
	v_mul_lo_u32 v1, v1, s16
	v_mul_lo_u32 v2, v2, s18
	s_delay_alu instid0(VALU_DEP_1) | instskip(NEXT) | instid1(VALU_DEP_1)
	v_sub_nc_u32_e32 v1, v1, v2
	v_cmp_lt_u32_e32 vcc_lo, s20, v1
	v_cmpx_ge_u32_e64 s20, v1
; %bb.6:
	v_add_nc_u32_e32 v1, s22, v16
	v_add_nc_u32_e32 v2, s40, v16
	s_delay_alu instid0(VALU_DEP_2) | instskip(NEXT) | instid1(VALU_DEP_2)
	v_mul_lo_u32 v1, v1, s21
	v_mul_lo_u32 v2, v2, s23
	s_delay_alu instid0(VALU_DEP_1) | instskip(NEXT) | instid1(VALU_DEP_1)
	v_sub_nc_u32_e32 v1, v1, v2
	v_cmp_lt_u32_e64 s2, s41, v1
	s_delay_alu instid0(VALU_DEP_1)
	s_and_b32 s45, s2, exec_lo
; %bb.7:
	s_or_b32 exec_lo, exec_lo, s3
	v_add_nc_u32_e32 v1, s17, v17
	v_add_nc_u32_e32 v2, s19, v17
	s_mov_b32 s4, exec_lo
	s_delay_alu instid0(VALU_DEP_2) | instskip(NEXT) | instid1(VALU_DEP_2)
	v_mul_lo_u32 v1, v1, s16
	v_mul_lo_u32 v2, v2, s18
	s_delay_alu instid0(VALU_DEP_1) | instskip(NEXT) | instid1(VALU_DEP_1)
	v_sub_nc_u32_e32 v1, v1, v2
	v_cmp_lt_u32_e64 s2, s20, v1
	v_cmpx_ge_u32_e64 s20, v1
; %bb.8:
	v_add_nc_u32_e32 v1, s22, v17
	v_add_nc_u32_e32 v2, s40, v17
	s_delay_alu instid0(VALU_DEP_2) | instskip(NEXT) | instid1(VALU_DEP_2)
	v_mul_lo_u32 v1, v1, s21
	v_mul_lo_u32 v2, v2, s23
	s_delay_alu instid0(VALU_DEP_1) | instskip(NEXT) | instid1(VALU_DEP_1)
	v_sub_nc_u32_e32 v1, v1, v2
	v_cmp_lt_u32_e64 s3, s41, v1
	s_delay_alu instid0(VALU_DEP_1)
	s_and_b32 s46, s3, exec_lo
; %bb.9:
	s_or_b32 exec_lo, exec_lo, s4
	v_add_nc_u32_e32 v1, s17, v14
	v_add_nc_u32_e32 v2, s19, v14
	s_mov_b32 s48, 0
	s_mov_b32 s47, 0
	s_mov_b32 s5, exec_lo
	v_mul_lo_u32 v1, v1, s16
	v_mul_lo_u32 v2, v2, s18
	s_delay_alu instid0(VALU_DEP_1) | instskip(NEXT) | instid1(VALU_DEP_1)
	v_sub_nc_u32_e32 v1, v1, v2
	v_cmp_lt_u32_e64 s3, s20, v1
	v_cmpx_ge_u32_e64 s20, v1
; %bb.10:
	v_add_nc_u32_e32 v1, s22, v14
	v_add_nc_u32_e32 v2, s40, v14
	s_delay_alu instid0(VALU_DEP_2) | instskip(NEXT) | instid1(VALU_DEP_2)
	v_mul_lo_u32 v1, v1, s21
	v_mul_lo_u32 v2, v2, s23
	s_delay_alu instid0(VALU_DEP_1) | instskip(NEXT) | instid1(VALU_DEP_1)
	v_sub_nc_u32_e32 v1, v1, v2
	v_cmp_lt_u32_e64 s4, s41, v1
	s_delay_alu instid0(VALU_DEP_1)
	s_and_b32 s47, s4, exec_lo
; %bb.11:
	s_or_b32 exec_lo, exec_lo, s5
	v_add_nc_u32_e32 v1, s17, v15
	v_add_nc_u32_e32 v2, s19, v15
	s_mov_b32 s6, exec_lo
	s_delay_alu instid0(VALU_DEP_2) | instskip(NEXT) | instid1(VALU_DEP_2)
	v_mul_lo_u32 v1, v1, s16
	v_mul_lo_u32 v2, v2, s18
	s_delay_alu instid0(VALU_DEP_1) | instskip(NEXT) | instid1(VALU_DEP_1)
	v_sub_nc_u32_e32 v1, v1, v2
	v_cmp_lt_u32_e64 s4, s20, v1
	v_cmpx_ge_u32_e64 s20, v1
; %bb.12:
	v_add_nc_u32_e32 v1, s22, v15
	v_add_nc_u32_e32 v2, s40, v15
	s_delay_alu instid0(VALU_DEP_2) | instskip(NEXT) | instid1(VALU_DEP_2)
	v_mul_lo_u32 v1, v1, s21
	v_mul_lo_u32 v2, v2, s23
	s_delay_alu instid0(VALU_DEP_1) | instskip(NEXT) | instid1(VALU_DEP_1)
	v_sub_nc_u32_e32 v1, v1, v2
	v_cmp_lt_u32_e64 s5, s41, v1
	s_delay_alu instid0(VALU_DEP_1)
	s_and_b32 s48, s5, exec_lo
; %bb.13:
	s_or_b32 exec_lo, exec_lo, s6
	v_add_nc_u32_e32 v1, s17, v12
	v_add_nc_u32_e32 v2, s19, v12
	s_mov_b32 s50, 0
	s_mov_b32 s49, 0
	s_mov_b32 s7, exec_lo
	v_mul_lo_u32 v1, v1, s16
	v_mul_lo_u32 v2, v2, s18
	s_delay_alu instid0(VALU_DEP_1) | instskip(NEXT) | instid1(VALU_DEP_1)
	v_sub_nc_u32_e32 v1, v1, v2
	v_cmp_lt_u32_e64 s5, s20, v1
	;; [unrolled: 47-line block ×5, first 2 shown]
	v_cmpx_ge_u32_e64 s20, v1
; %bb.26:
	v_add_nc_u32_e32 v1, s22, v6
	v_add_nc_u32_e32 v2, s40, v6
	s_delay_alu instid0(VALU_DEP_2) | instskip(NEXT) | instid1(VALU_DEP_2)
	v_mul_lo_u32 v1, v1, s21
	v_mul_lo_u32 v2, v2, s23
	s_delay_alu instid0(VALU_DEP_1) | instskip(NEXT) | instid1(VALU_DEP_1)
	v_sub_nc_u32_e32 v1, v1, v2
	v_cmp_lt_u32_e64 s12, s41, v1
	s_delay_alu instid0(VALU_DEP_1)
	s_and_b32 s57, s12, exec_lo
; %bb.27:
	s_or_b32 exec_lo, exec_lo, s13
	v_add_nc_u32_e32 v1, s17, v7
	v_add_nc_u32_e32 v2, s19, v7
	s_mov_b32 s42, exec_lo
	s_delay_alu instid0(VALU_DEP_2) | instskip(NEXT) | instid1(VALU_DEP_2)
	v_mul_lo_u32 v1, v1, s16
	v_mul_lo_u32 v2, v2, s18
	s_delay_alu instid0(VALU_DEP_1) | instskip(NEXT) | instid1(VALU_DEP_1)
	v_sub_nc_u32_e32 v1, v1, v2
	v_cmp_lt_u32_e64 s12, s20, v1
	v_cmpx_ge_u32_e64 s20, v1
; %bb.28:
	v_add_nc_u32_e32 v1, s22, v7
	v_add_nc_u32_e32 v2, s40, v7
	s_delay_alu instid0(VALU_DEP_2) | instskip(NEXT) | instid1(VALU_DEP_2)
	v_mul_lo_u32 v1, v1, s21
	v_mul_lo_u32 v2, v2, s23
	s_delay_alu instid0(VALU_DEP_1) | instskip(NEXT) | instid1(VALU_DEP_1)
	v_sub_nc_u32_e32 v1, v1, v2
	v_cmp_lt_u32_e64 s13, s41, v1
	s_delay_alu instid0(VALU_DEP_1)
	s_and_b32 s56, s13, exec_lo
; %bb.29:
	s_or_b32 exec_lo, exec_lo, s42
	v_add_nc_u32_e32 v1, s17, v27
	v_add_nc_u32_e32 v2, s19, v27
	s_mov_b32 s42, -1
	s_mov_b32 s53, 0
	s_mov_b32 s43, 0
	v_mul_lo_u32 v1, v1, s16
	v_mul_lo_u32 v2, v2, s18
	s_mov_b32 s58, exec_lo
	s_delay_alu instid0(VALU_DEP_1) | instskip(NEXT) | instid1(VALU_DEP_1)
	v_sub_nc_u32_e32 v1, v1, v2
	v_cmpx_ge_u32_e64 s20, v1
; %bb.30:
	v_add_nc_u32_e32 v1, s22, v27
	v_add_nc_u32_e32 v2, s40, v27
	s_xor_b32 s42, exec_lo, -1
	s_delay_alu instid0(VALU_DEP_2) | instskip(NEXT) | instid1(VALU_DEP_2)
	v_mul_lo_u32 v1, v1, s21
	v_mul_lo_u32 v2, v2, s23
	s_delay_alu instid0(VALU_DEP_1) | instskip(NEXT) | instid1(VALU_DEP_1)
	v_sub_nc_u32_e32 v1, v1, v2
	v_cmp_lt_u32_e64 s13, s41, v1
	s_delay_alu instid0(VALU_DEP_1)
	s_and_b32 s43, s13, exec_lo
; %bb.31:
	s_or_b32 exec_lo, exec_lo, s58
	v_cndmask_b32_e64 v48, 0, 1, s57
	v_cndmask_b32_e64 v51, 0, 1, s12
	;; [unrolled: 1-line block ×22, first 2 shown]
	v_cndmask_b32_e64 v29, 0, 1, vcc_lo
	v_cndmask_b32_e64 v52, 0, 1, s56
	s_load_b64 s[4:5], s[0:1], 0x78
	s_and_b32 vcc_lo, exec_lo, s53
	s_add_i32 s3, s44, 0xd00
	s_cbranch_vccnz .LBB749_33
	s_branch .LBB749_86
.LBB749_32:
                                        ; implicit-def: $sgpr42
                                        ; implicit-def: $sgpr43
                                        ; implicit-def: $vgpr52
                                        ; implicit-def: $vgpr48
                                        ; implicit-def: $vgpr47
                                        ; implicit-def: $vgpr45
                                        ; implicit-def: $vgpr43
                                        ; implicit-def: $vgpr40
                                        ; implicit-def: $vgpr39
                                        ; implicit-def: $vgpr37
                                        ; implicit-def: $vgpr35
                                        ; implicit-def: $vgpr29
                                        ; implicit-def: $vgpr33
                                        ; implicit-def: $vgpr31
                                        ; implicit-def: $vgpr32
                                        ; implicit-def: $vgpr38
                                        ; implicit-def: $vgpr41
                                        ; implicit-def: $vgpr42
                                        ; implicit-def: $vgpr44
                                        ; implicit-def: $vgpr46
                                        ; implicit-def: $vgpr49
                                        ; implicit-def: $vgpr50
                                        ; implicit-def: $vgpr51
                                        ; implicit-def: $vgpr30
                                        ; implicit-def: $vgpr34
                                        ; implicit-def: $vgpr36
	s_load_b64 s[4:5], s[0:1], 0x78
	s_add_i32 s3, s44, 0xd00
	s_cbranch_execz .LBB749_86
.LBB749_33:
	v_dual_mov_b32 v30, 0 :: v_dual_mov_b32 v29, 0
	s_mov_b32 s2, 0
	s_mov_b32 s1, exec_lo
	v_cmpx_gt_u32_e64 s3, v28
	s_cbranch_execz .LBB749_37
; %bb.34:
	v_add_nc_u32_e32 v1, s17, v16
	v_add_nc_u32_e32 v2, s19, v16
	s_mov_b32 s6, exec_lo
	s_delay_alu instid0(VALU_DEP_2) | instskip(NEXT) | instid1(VALU_DEP_2)
	v_mul_lo_u32 v1, v1, s16
	v_mul_lo_u32 v2, v2, s18
	s_delay_alu instid0(VALU_DEP_1) | instskip(NEXT) | instid1(VALU_DEP_1)
	v_sub_nc_u32_e32 v1, v1, v2
	v_cmp_lt_u32_e32 vcc_lo, s20, v1
	v_cmpx_ge_u32_e64 s20, v1
; %bb.35:
	v_add_nc_u32_e32 v1, s22, v16
	v_add_nc_u32_e32 v2, s40, v16
	s_delay_alu instid0(VALU_DEP_2) | instskip(NEXT) | instid1(VALU_DEP_2)
	v_mul_lo_u32 v1, v1, s21
	v_mul_lo_u32 v2, v2, s23
	s_delay_alu instid0(VALU_DEP_1) | instskip(NEXT) | instid1(VALU_DEP_1)
	v_sub_nc_u32_e32 v1, v1, v2
	v_cmp_lt_u32_e64 s0, s41, v1
	s_delay_alu instid0(VALU_DEP_1)
	s_and_b32 s2, s0, exec_lo
; %bb.36:
	s_or_b32 exec_lo, exec_lo, s6
	v_cndmask_b32_e64 v29, 0, 1, vcc_lo
	v_cndmask_b32_e64 v30, 0, 1, s2
.LBB749_37:
	s_or_b32 exec_lo, exec_lo, s1
	v_dual_mov_b32 v34, 0 :: v_dual_add_nc_u32 v1, 1, v28
	v_mov_b32_e32 v33, 0
	s_mov_b32 s2, 0
	s_mov_b32 s1, exec_lo
	s_delay_alu instid0(VALU_DEP_2)
	v_cmpx_gt_u32_e64 s3, v1
	s_cbranch_execz .LBB749_41
; %bb.38:
	v_add_nc_u32_e32 v1, s17, v17
	v_add_nc_u32_e32 v2, s19, v17
	s_mov_b32 s6, exec_lo
	s_delay_alu instid0(VALU_DEP_2) | instskip(NEXT) | instid1(VALU_DEP_2)
	v_mul_lo_u32 v1, v1, s16
	v_mul_lo_u32 v2, v2, s18
	s_delay_alu instid0(VALU_DEP_1) | instskip(NEXT) | instid1(VALU_DEP_1)
	v_sub_nc_u32_e32 v1, v1, v2
	v_cmp_lt_u32_e32 vcc_lo, s20, v1
	v_cmpx_ge_u32_e64 s20, v1
; %bb.39:
	v_add_nc_u32_e32 v1, s22, v17
	v_add_nc_u32_e32 v2, s40, v17
	s_delay_alu instid0(VALU_DEP_2) | instskip(NEXT) | instid1(VALU_DEP_2)
	v_mul_lo_u32 v1, v1, s21
	v_mul_lo_u32 v2, v2, s23
	s_delay_alu instid0(VALU_DEP_1) | instskip(NEXT) | instid1(VALU_DEP_1)
	v_sub_nc_u32_e32 v1, v1, v2
	v_cmp_lt_u32_e64 s0, s41, v1
	s_delay_alu instid0(VALU_DEP_1)
	s_and_b32 s2, s0, exec_lo
; %bb.40:
	s_or_b32 exec_lo, exec_lo, s6
	v_cndmask_b32_e64 v33, 0, 1, vcc_lo
	v_cndmask_b32_e64 v34, 0, 1, s2
.LBB749_41:
	s_or_b32 exec_lo, exec_lo, s1
	v_dual_mov_b32 v36, 0 :: v_dual_add_nc_u32 v1, 2, v28
	v_mov_b32_e32 v31, 0
	s_mov_b32 s2, 0
	s_mov_b32 s1, exec_lo
	s_delay_alu instid0(VALU_DEP_2)
	;; [unrolled: 35-line block ×4, first 2 shown]
	v_cmpx_gt_u32_e64 s3, v1
	s_cbranch_execz .LBB749_53
; %bb.50:
	v_add_nc_u32_e32 v1, s17, v12
	v_add_nc_u32_e32 v2, s19, v12
	s_mov_b32 s6, exec_lo
	s_delay_alu instid0(VALU_DEP_2) | instskip(NEXT) | instid1(VALU_DEP_2)
	v_mul_lo_u32 v1, v1, s16
	v_mul_lo_u32 v2, v2, s18
	s_delay_alu instid0(VALU_DEP_1) | instskip(NEXT) | instid1(VALU_DEP_1)
	v_sub_nc_u32_e32 v1, v1, v2
	v_cmp_lt_u32_e32 vcc_lo, s20, v1
	v_cmpx_ge_u32_e64 s20, v1
; %bb.51:
	v_add_nc_u32_e32 v1, s22, v12
	v_add_nc_u32_e32 v2, s40, v12
	s_delay_alu instid0(VALU_DEP_2) | instskip(NEXT) | instid1(VALU_DEP_2)
	v_mul_lo_u32 v1, v1, s21
	v_mul_lo_u32 v2, v2, s23
	s_delay_alu instid0(VALU_DEP_1) | instskip(NEXT) | instid1(VALU_DEP_1)
	v_sub_nc_u32_e32 v1, v1, v2
	v_cmp_lt_u32_e64 s0, s41, v1
	s_delay_alu instid0(VALU_DEP_1)
	s_and_b32 s2, s0, exec_lo
; %bb.52:
	s_or_b32 exec_lo, exec_lo, s6
	v_cndmask_b32_e64 v38, 0, 1, vcc_lo
	v_cndmask_b32_e64 v37, 0, 1, s2
.LBB749_53:
	s_or_b32 exec_lo, exec_lo, s1
	v_add_nc_u32_e32 v1, 5, v28
	v_mov_b32_e32 v39, 0
	v_mov_b32_e32 v41, 0
	s_mov_b32 s2, 0
	s_mov_b32 s1, exec_lo
	v_cmpx_gt_u32_e64 s3, v1
	s_cbranch_execz .LBB749_57
; %bb.54:
	v_add_nc_u32_e32 v1, s17, v13
	v_add_nc_u32_e32 v2, s19, v13
	s_mov_b32 s6, exec_lo
	s_delay_alu instid0(VALU_DEP_2) | instskip(NEXT) | instid1(VALU_DEP_2)
	v_mul_lo_u32 v1, v1, s16
	v_mul_lo_u32 v2, v2, s18
	s_delay_alu instid0(VALU_DEP_1) | instskip(NEXT) | instid1(VALU_DEP_1)
	v_sub_nc_u32_e32 v1, v1, v2
	v_cmp_lt_u32_e32 vcc_lo, s20, v1
	v_cmpx_ge_u32_e64 s20, v1
; %bb.55:
	v_add_nc_u32_e32 v1, s22, v13
	v_add_nc_u32_e32 v2, s40, v13
	s_delay_alu instid0(VALU_DEP_2) | instskip(NEXT) | instid1(VALU_DEP_2)
	v_mul_lo_u32 v1, v1, s21
	v_mul_lo_u32 v2, v2, s23
	s_delay_alu instid0(VALU_DEP_1) | instskip(NEXT) | instid1(VALU_DEP_1)
	v_sub_nc_u32_e32 v1, v1, v2
	v_cmp_lt_u32_e64 s0, s41, v1
	s_delay_alu instid0(VALU_DEP_1)
	s_and_b32 s2, s0, exec_lo
; %bb.56:
	s_or_b32 exec_lo, exec_lo, s6
	v_cndmask_b32_e64 v41, 0, 1, vcc_lo
	v_cndmask_b32_e64 v39, 0, 1, s2
.LBB749_57:
	s_or_b32 exec_lo, exec_lo, s1
	v_dual_mov_b32 v40, 0 :: v_dual_add_nc_u32 v1, 6, v28
	v_mov_b32_e32 v42, 0
	s_mov_b32 s2, 0
	s_mov_b32 s1, exec_lo
	s_delay_alu instid0(VALU_DEP_2)
	v_cmpx_gt_u32_e64 s3, v1
	s_cbranch_execz .LBB749_61
; %bb.58:
	v_add_nc_u32_e32 v1, s17, v10
	v_add_nc_u32_e32 v2, s19, v10
	s_mov_b32 s6, exec_lo
	s_delay_alu instid0(VALU_DEP_2) | instskip(NEXT) | instid1(VALU_DEP_2)
	v_mul_lo_u32 v1, v1, s16
	v_mul_lo_u32 v2, v2, s18
	s_delay_alu instid0(VALU_DEP_1) | instskip(NEXT) | instid1(VALU_DEP_1)
	v_sub_nc_u32_e32 v1, v1, v2
	v_cmp_lt_u32_e32 vcc_lo, s20, v1
	v_cmpx_ge_u32_e64 s20, v1
; %bb.59:
	v_add_nc_u32_e32 v1, s22, v10
	v_add_nc_u32_e32 v2, s40, v10
	s_delay_alu instid0(VALU_DEP_2) | instskip(NEXT) | instid1(VALU_DEP_2)
	v_mul_lo_u32 v1, v1, s21
	v_mul_lo_u32 v2, v2, s23
	s_delay_alu instid0(VALU_DEP_1) | instskip(NEXT) | instid1(VALU_DEP_1)
	v_sub_nc_u32_e32 v1, v1, v2
	v_cmp_lt_u32_e64 s0, s41, v1
	s_delay_alu instid0(VALU_DEP_1)
	s_and_b32 s2, s0, exec_lo
; %bb.60:
	s_or_b32 exec_lo, exec_lo, s6
	v_cndmask_b32_e64 v42, 0, 1, vcc_lo
	v_cndmask_b32_e64 v40, 0, 1, s2
.LBB749_61:
	s_or_b32 exec_lo, exec_lo, s1
	v_dual_mov_b32 v44, 0 :: v_dual_add_nc_u32 v1, 7, v28
	v_mov_b32_e32 v43, 0
	s_mov_b32 s2, 0
	s_mov_b32 s1, exec_lo
	s_delay_alu instid0(VALU_DEP_2)
	;; [unrolled: 35-line block ×3, first 2 shown]
	v_cmpx_gt_u32_e64 s3, v1
	s_cbranch_execz .LBB749_69
; %bb.66:
	v_add_nc_u32_e32 v1, s17, v8
	v_add_nc_u32_e32 v2, s19, v8
	s_mov_b32 s6, exec_lo
	s_delay_alu instid0(VALU_DEP_2) | instskip(NEXT) | instid1(VALU_DEP_2)
	v_mul_lo_u32 v1, v1, s16
	v_mul_lo_u32 v2, v2, s18
	s_delay_alu instid0(VALU_DEP_1) | instskip(NEXT) | instid1(VALU_DEP_1)
	v_sub_nc_u32_e32 v1, v1, v2
	v_cmp_lt_u32_e32 vcc_lo, s20, v1
	v_cmpx_ge_u32_e64 s20, v1
; %bb.67:
	v_add_nc_u32_e32 v1, s22, v8
	v_add_nc_u32_e32 v2, s40, v8
	s_delay_alu instid0(VALU_DEP_2) | instskip(NEXT) | instid1(VALU_DEP_2)
	v_mul_lo_u32 v1, v1, s21
	v_mul_lo_u32 v2, v2, s23
	s_delay_alu instid0(VALU_DEP_1) | instskip(NEXT) | instid1(VALU_DEP_1)
	v_sub_nc_u32_e32 v1, v1, v2
	v_cmp_lt_u32_e64 s0, s41, v1
	s_delay_alu instid0(VALU_DEP_1)
	s_and_b32 s2, s0, exec_lo
; %bb.68:
	s_or_b32 exec_lo, exec_lo, s6
	v_cndmask_b32_e64 v46, 0, 1, vcc_lo
	v_cndmask_b32_e64 v45, 0, 1, s2
.LBB749_69:
	s_or_b32 exec_lo, exec_lo, s1
	v_add_nc_u32_e32 v1, 9, v28
	v_mov_b32_e32 v47, 0
	v_mov_b32_e32 v49, 0
	s_mov_b32 s2, 0
	s_mov_b32 s1, exec_lo
	v_cmpx_gt_u32_e64 s3, v1
	s_cbranch_execz .LBB749_73
; %bb.70:
	v_add_nc_u32_e32 v1, s17, v9
	v_add_nc_u32_e32 v2, s19, v9
	s_mov_b32 s6, exec_lo
	s_delay_alu instid0(VALU_DEP_2) | instskip(NEXT) | instid1(VALU_DEP_2)
	v_mul_lo_u32 v1, v1, s16
	v_mul_lo_u32 v2, v2, s18
	s_delay_alu instid0(VALU_DEP_1) | instskip(NEXT) | instid1(VALU_DEP_1)
	v_sub_nc_u32_e32 v1, v1, v2
	v_cmp_lt_u32_e32 vcc_lo, s20, v1
	v_cmpx_ge_u32_e64 s20, v1
; %bb.71:
	v_add_nc_u32_e32 v1, s22, v9
	v_add_nc_u32_e32 v2, s40, v9
	s_delay_alu instid0(VALU_DEP_2) | instskip(NEXT) | instid1(VALU_DEP_2)
	v_mul_lo_u32 v1, v1, s21
	v_mul_lo_u32 v2, v2, s23
	s_delay_alu instid0(VALU_DEP_1) | instskip(NEXT) | instid1(VALU_DEP_1)
	v_sub_nc_u32_e32 v1, v1, v2
	v_cmp_lt_u32_e64 s0, s41, v1
	s_delay_alu instid0(VALU_DEP_1)
	s_and_b32 s2, s0, exec_lo
; %bb.72:
	s_or_b32 exec_lo, exec_lo, s6
	v_cndmask_b32_e64 v49, 0, 1, vcc_lo
	v_cndmask_b32_e64 v47, 0, 1, s2
.LBB749_73:
	s_or_b32 exec_lo, exec_lo, s1
	v_dual_mov_b32 v48, 0 :: v_dual_add_nc_u32 v1, 10, v28
	v_mov_b32_e32 v50, 0
	s_mov_b32 s2, 0
	s_mov_b32 s1, exec_lo
	s_delay_alu instid0(VALU_DEP_2)
	v_cmpx_gt_u32_e64 s3, v1
	s_cbranch_execz .LBB749_77
; %bb.74:
	v_add_nc_u32_e32 v1, s17, v6
	v_add_nc_u32_e32 v2, s19, v6
	s_mov_b32 s6, exec_lo
	s_delay_alu instid0(VALU_DEP_2) | instskip(NEXT) | instid1(VALU_DEP_2)
	v_mul_lo_u32 v1, v1, s16
	v_mul_lo_u32 v2, v2, s18
	s_delay_alu instid0(VALU_DEP_1) | instskip(NEXT) | instid1(VALU_DEP_1)
	v_sub_nc_u32_e32 v1, v1, v2
	v_cmp_lt_u32_e32 vcc_lo, s20, v1
	v_cmpx_ge_u32_e64 s20, v1
; %bb.75:
	v_add_nc_u32_e32 v1, s22, v6
	v_add_nc_u32_e32 v2, s40, v6
	s_delay_alu instid0(VALU_DEP_2) | instskip(NEXT) | instid1(VALU_DEP_2)
	v_mul_lo_u32 v1, v1, s21
	v_mul_lo_u32 v2, v2, s23
	s_delay_alu instid0(VALU_DEP_1) | instskip(NEXT) | instid1(VALU_DEP_1)
	v_sub_nc_u32_e32 v1, v1, v2
	v_cmp_lt_u32_e64 s0, s41, v1
	s_delay_alu instid0(VALU_DEP_1)
	s_and_b32 s2, s0, exec_lo
; %bb.76:
	s_or_b32 exec_lo, exec_lo, s6
	v_cndmask_b32_e64 v50, 0, 1, vcc_lo
	v_cndmask_b32_e64 v48, 0, 1, s2
.LBB749_77:
	s_or_b32 exec_lo, exec_lo, s1
	v_dual_mov_b32 v52, 0 :: v_dual_add_nc_u32 v1, 11, v28
	v_mov_b32_e32 v51, 0
	s_mov_b32 s2, 0
	s_mov_b32 s1, exec_lo
	s_delay_alu instid0(VALU_DEP_2)
	v_cmpx_gt_u32_e64 s3, v1
	s_cbranch_execz .LBB749_81
; %bb.78:
	v_add_nc_u32_e32 v1, s17, v7
	v_add_nc_u32_e32 v2, s19, v7
	s_mov_b32 s6, exec_lo
	s_delay_alu instid0(VALU_DEP_2) | instskip(NEXT) | instid1(VALU_DEP_2)
	v_mul_lo_u32 v1, v1, s16
	v_mul_lo_u32 v2, v2, s18
	s_delay_alu instid0(VALU_DEP_1) | instskip(NEXT) | instid1(VALU_DEP_1)
	v_sub_nc_u32_e32 v1, v1, v2
	v_cmp_lt_u32_e32 vcc_lo, s20, v1
	v_cmpx_ge_u32_e64 s20, v1
; %bb.79:
	v_add_nc_u32_e32 v1, s22, v7
	v_add_nc_u32_e32 v2, s40, v7
	s_delay_alu instid0(VALU_DEP_2) | instskip(NEXT) | instid1(VALU_DEP_2)
	v_mul_lo_u32 v1, v1, s21
	v_mul_lo_u32 v2, v2, s23
	s_delay_alu instid0(VALU_DEP_1) | instskip(NEXT) | instid1(VALU_DEP_1)
	v_sub_nc_u32_e32 v1, v1, v2
	v_cmp_lt_u32_e64 s0, s41, v1
	s_delay_alu instid0(VALU_DEP_1)
	s_and_b32 s2, s0, exec_lo
; %bb.80:
	s_or_b32 exec_lo, exec_lo, s6
	v_cndmask_b32_e64 v51, 0, 1, vcc_lo
	v_cndmask_b32_e64 v52, 0, 1, s2
.LBB749_81:
	s_or_b32 exec_lo, exec_lo, s1
	v_add_nc_u32_e32 v1, 12, v28
	s_mov_b32 s42, 0
	s_mov_b32 s43, 0
	s_mov_b32 s0, exec_lo
	s_delay_alu instid0(VALU_DEP_1)
	v_cmpx_gt_u32_e64 s3, v1
	s_cbranch_execz .LBB749_85
; %bb.82:
	v_add_nc_u32_e32 v1, s17, v27
	v_add_nc_u32_e32 v2, s19, v27
	s_mov_b32 s2, -1
	s_mov_b32 s6, 0
	s_mov_b32 s1, exec_lo
	v_mul_lo_u32 v1, v1, s16
	v_mul_lo_u32 v2, v2, s18
	s_delay_alu instid0(VALU_DEP_1) | instskip(NEXT) | instid1(VALU_DEP_1)
	v_sub_nc_u32_e32 v1, v1, v2
	v_cmpx_ge_u32_e64 s20, v1
; %bb.83:
	v_add_nc_u32_e32 v1, s22, v27
	v_add_nc_u32_e32 v2, s40, v27
	s_xor_b32 s2, exec_lo, -1
	s_delay_alu instid0(VALU_DEP_2) | instskip(NEXT) | instid1(VALU_DEP_2)
	v_mul_lo_u32 v1, v1, s21
	v_mul_lo_u32 v2, v2, s23
	s_delay_alu instid0(VALU_DEP_1) | instskip(NEXT) | instid1(VALU_DEP_1)
	v_sub_nc_u32_e32 v1, v1, v2
	v_cmp_lt_u32_e32 vcc_lo, s41, v1
	s_and_b32 s6, vcc_lo, exec_lo
; %bb.84:
	s_or_b32 exec_lo, exec_lo, s1
	s_delay_alu instid0(SALU_CYCLE_1)
	s_and_b32 s43, s6, exec_lo
	s_and_b32 s42, s2, exec_lo
.LBB749_85:
	s_or_b32 exec_lo, exec_lo, s0
.LBB749_86:
	v_and_b32_e32 v75, 0xff, v29
	v_and_b32_e32 v76, 0xff, v30
	;; [unrolled: 1-line block ×10, first 2 shown]
	v_add3_u32 v1, v71, v73, v75
	v_add3_u32 v2, v72, v74, v76
	v_and_b32_e32 v65, 0xff, v41
	v_and_b32_e32 v66, 0xff, v39
	v_and_b32_e32 v61, 0xff, v42
	v_and_b32_e32 v62, 0xff, v40
	v_add3_u32 v1, v1, v69, v67
	v_add3_u32 v2, v2, v70, v68
	v_and_b32_e32 v63, 0xff, v44
	v_and_b32_e32 v64, 0xff, v43
	v_and_b32_e32 v59, 0xff, v46
	v_and_b32_e32 v60, 0xff, v45
	;; [unrolled: 6-line block ×3, first 2 shown]
	v_add3_u32 v1, v1, v63, v59
	v_add3_u32 v2, v2, v64, v60
	v_mbcnt_lo_u32_b32 v77, -1, 0
	v_and_b32_e32 v53, 0xff, v51
	v_and_b32_e32 v54, 0xff, v52
	v_cndmask_b32_e64 v3, 0, 1, s43
	v_add3_u32 v1, v1, v57, v55
	v_cndmask_b32_e64 v4, 0, 1, s42
	v_add3_u32 v2, v2, v58, v56
	v_and_b32_e32 v81, 15, v77
	v_and_b32_e32 v80, 16, v77
	v_lshrrev_b32_e32 v78, 5, v0
	v_add3_u32 v82, v1, v53, v4
	v_add3_u32 v83, v2, v54, v3
	v_cmp_eq_u32_e64 s1, 0, v81
	v_cmp_lt_u32_e64 s0, 1, v81
	v_cmp_lt_u32_e64 s2, 3, v81
	v_cmp_lt_u32_e32 vcc_lo, 7, v81
	v_or_b32_e32 v79, 31, v0
	s_cmp_lg_u32 s15, 0
	s_mov_b32 s6, -1
	s_cbranch_scc0 .LBB749_114
; %bb.87:
	v_mov_b32_dpp v1, v83 row_shr:1 row_mask:0xf bank_mask:0xf
	v_mov_b32_dpp v2, v82 row_shr:1 row_mask:0xf bank_mask:0xf
	s_delay_alu instid0(VALU_DEP_2) | instskip(NEXT) | instid1(VALU_DEP_1)
	v_add_nc_u32_e32 v1, v1, v83
	v_cndmask_b32_e64 v1, v1, v83, s1
	s_delay_alu instid0(VALU_DEP_1) | instskip(NEXT) | instid1(VALU_DEP_1)
	v_mov_b32_dpp v3, v1 row_shr:2 row_mask:0xf bank_mask:0xf
	v_add_nc_u32_e32 v3, v1, v3
	s_delay_alu instid0(VALU_DEP_1) | instskip(NEXT) | instid1(VALU_DEP_1)
	v_cndmask_b32_e64 v1, v1, v3, s0
	v_mov_b32_dpp v3, v1 row_shr:4 row_mask:0xf bank_mask:0xf
	s_delay_alu instid0(VALU_DEP_1) | instskip(NEXT) | instid1(VALU_DEP_1)
	v_add_nc_u32_e32 v3, v1, v3
	v_cndmask_b32_e64 v1, v1, v3, s2
	s_delay_alu instid0(VALU_DEP_1) | instskip(NEXT) | instid1(VALU_DEP_1)
	v_mov_b32_dpp v3, v1 row_shr:8 row_mask:0xf bank_mask:0xf
	v_add_nc_u32_e32 v3, v1, v3
	s_delay_alu instid0(VALU_DEP_1) | instskip(NEXT) | instid1(VALU_DEP_1)
	v_dual_cndmask_b32 v1, v1, v3 :: v_dual_add_nc_u32 v2, v2, v82
	v_cndmask_b32_e64 v2, v2, v82, s1
	s_delay_alu instid0(VALU_DEP_1) | instskip(NEXT) | instid1(VALU_DEP_1)
	v_mov_b32_dpp v4, v2 row_shr:2 row_mask:0xf bank_mask:0xf
	v_add_nc_u32_e32 v4, v2, v4
	s_delay_alu instid0(VALU_DEP_1) | instskip(NEXT) | instid1(VALU_DEP_1)
	v_cndmask_b32_e64 v2, v2, v4, s0
	v_mov_b32_dpp v4, v2 row_shr:4 row_mask:0xf bank_mask:0xf
	s_delay_alu instid0(VALU_DEP_1) | instskip(NEXT) | instid1(VALU_DEP_1)
	v_add_nc_u32_e32 v4, v2, v4
	v_cndmask_b32_e64 v2, v2, v4, s2
	s_mov_b32 s2, exec_lo
	s_delay_alu instid0(VALU_DEP_1) | instskip(NEXT) | instid1(VALU_DEP_1)
	v_mov_b32_dpp v4, v2 row_shr:8 row_mask:0xf bank_mask:0xf
	v_add_nc_u32_e32 v4, v2, v4
	s_delay_alu instid0(VALU_DEP_1)
	v_cndmask_b32_e32 v3, v2, v4, vcc_lo
	ds_swizzle_b32 v2, v1 offset:swizzle(BROADCAST,32,15)
	v_cmp_eq_u32_e32 vcc_lo, 0, v80
	s_waitcnt lgkmcnt(0)
	v_add_nc_u32_e32 v2, v1, v2
	ds_swizzle_b32 v4, v3 offset:swizzle(BROADCAST,32,15)
	v_cndmask_b32_e32 v2, v2, v1, vcc_lo
	s_waitcnt lgkmcnt(0)
	v_add_nc_u32_e32 v4, v3, v4
	s_delay_alu instid0(VALU_DEP_1)
	v_cndmask_b32_e32 v1, v4, v3, vcc_lo
	v_cmpx_eq_u32_e64 v79, v0
	s_cbranch_execz .LBB749_89
; %bb.88:
	v_lshlrev_b32_e32 v3, 3, v78
	ds_store_b64 v3, v[1:2]
.LBB749_89:
	s_or_b32 exec_lo, exec_lo, s2
	s_delay_alu instid0(SALU_CYCLE_1)
	s_mov_b32 s2, exec_lo
	s_waitcnt lgkmcnt(0)
	s_barrier
	buffer_gl0_inv
	v_cmpx_gt_u32_e32 8, v0
	s_cbranch_execz .LBB749_91
; %bb.90:
	v_lshlrev_b32_e32 v5, 3, v0
	ds_load_b64 v[3:4], v5
	s_waitcnt lgkmcnt(0)
	v_mov_b32_dpp v18, v3 row_shr:1 row_mask:0xf bank_mask:0xf
	v_mov_b32_dpp v19, v4 row_shr:1 row_mask:0xf bank_mask:0xf
	s_delay_alu instid0(VALU_DEP_2) | instskip(SKIP_1) | instid1(VALU_DEP_3)
	v_add_nc_u32_e32 v18, v18, v3
	v_and_b32_e32 v20, 7, v77
	v_add_nc_u32_e32 v19, v19, v4
	s_delay_alu instid0(VALU_DEP_2) | instskip(NEXT) | instid1(VALU_DEP_2)
	v_cmp_eq_u32_e32 vcc_lo, 0, v20
	v_dual_cndmask_b32 v4, v19, v4 :: v_dual_cndmask_b32 v3, v18, v3
	v_cmp_lt_u32_e32 vcc_lo, 1, v20
	s_delay_alu instid0(VALU_DEP_2) | instskip(NEXT) | instid1(VALU_DEP_3)
	v_mov_b32_dpp v19, v4 row_shr:2 row_mask:0xf bank_mask:0xf
	v_mov_b32_dpp v18, v3 row_shr:2 row_mask:0xf bank_mask:0xf
	s_delay_alu instid0(VALU_DEP_2) | instskip(NEXT) | instid1(VALU_DEP_2)
	v_add_nc_u32_e32 v19, v4, v19
	v_add_nc_u32_e32 v18, v3, v18
	s_delay_alu instid0(VALU_DEP_1) | instskip(SKIP_1) | instid1(VALU_DEP_2)
	v_dual_cndmask_b32 v4, v4, v19 :: v_dual_cndmask_b32 v3, v3, v18
	v_cmp_lt_u32_e32 vcc_lo, 3, v20
	v_mov_b32_dpp v19, v4 row_shr:4 row_mask:0xf bank_mask:0xf
	s_delay_alu instid0(VALU_DEP_3) | instskip(NEXT) | instid1(VALU_DEP_1)
	v_mov_b32_dpp v18, v3 row_shr:4 row_mask:0xf bank_mask:0xf
	v_dual_cndmask_b32 v19, 0, v19 :: v_dual_cndmask_b32 v18, 0, v18
	s_delay_alu instid0(VALU_DEP_1) | instskip(NEXT) | instid1(VALU_DEP_2)
	v_add_nc_u32_e32 v4, v19, v4
	v_add_nc_u32_e32 v3, v18, v3
	ds_store_b64 v5, v[3:4]
.LBB749_91:
	s_or_b32 exec_lo, exec_lo, s2
	v_cmp_gt_u32_e32 vcc_lo, 32, v0
	v_cmp_lt_u32_e64 s2, 31, v0
	s_waitcnt lgkmcnt(0)
	s_barrier
	buffer_gl0_inv
                                        ; implicit-def: $vgpr19
	s_and_saveexec_b32 s6, s2
	s_delay_alu instid0(SALU_CYCLE_1)
	s_xor_b32 s2, exec_lo, s6
	s_cbranch_execz .LBB749_93
; %bb.92:
	v_lshl_add_u32 v3, v78, 3, -8
	ds_load_b64 v[18:19], v3
	s_waitcnt lgkmcnt(0)
	v_add_nc_u32_e32 v2, v19, v2
	v_add_nc_u32_e32 v1, v18, v1
.LBB749_93:
	s_and_not1_saveexec_b32 s2, s2
; %bb.94:
                                        ; implicit-def: $vgpr18
; %bb.95:
	s_delay_alu instid0(SALU_CYCLE_1) | instskip(SKIP_1) | instid1(VALU_DEP_1)
	s_or_b32 exec_lo, exec_lo, s2
	v_add_nc_u32_e32 v3, -1, v77
	v_cmp_gt_i32_e64 s2, 0, v3
	s_delay_alu instid0(VALU_DEP_1) | instskip(SKIP_1) | instid1(VALU_DEP_2)
	v_cndmask_b32_e64 v3, v3, v77, s2
	v_cmp_eq_u32_e64 s2, 0, v77
	v_lshlrev_b32_e32 v3, 2, v3
	ds_bpermute_b32 v84, v3, v1
	ds_bpermute_b32 v85, v3, v2
	s_and_saveexec_b32 s6, vcc_lo
	s_cbranch_execz .LBB749_113
; %bb.96:
	v_mov_b32_e32 v4, 0
	ds_load_b64 v[1:2], v4 offset:56
	s_waitcnt lgkmcnt(0)
	v_readfirstlane_b32 s7, v2
	s_and_saveexec_b32 s8, s2
	s_cbranch_execz .LBB749_98
; %bb.97:
	s_add_i32 s10, s15, 32
	s_mov_b32 s11, 0
	v_mov_b32_e32 v3, 1
	s_lshl_b64 s[12:13], s[10:11], 4
	s_mov_b32 s16, s11
	s_add_u32 s12, s4, s12
	s_addc_u32 s13, s5, s13
	s_and_b32 s17, s7, 0xff000000
	s_and_b32 s19, s7, 0xff0000
	s_mov_b32 s18, s11
	v_dual_mov_b32 v21, s13 :: v_dual_mov_b32 v20, s12
	s_or_b64 s[16:17], s[18:19], s[16:17]
	s_and_b32 s19, s7, 0xff00
	s_delay_alu instid0(SALU_CYCLE_1) | instskip(SKIP_1) | instid1(SALU_CYCLE_1)
	s_or_b64 s[16:17], s[16:17], s[18:19]
	s_and_b32 s19, s7, 0xff
	s_or_b64 s[10:11], s[16:17], s[18:19]
	s_delay_alu instid0(SALU_CYCLE_1)
	v_mov_b32_e32 v2, s11
	;;#ASMSTART
	global_store_dwordx4 v[20:21], v[1:4] off	
s_waitcnt vmcnt(0)
	;;#ASMEND
.LBB749_98:
	s_or_b32 exec_lo, exec_lo, s8
	v_xad_u32 v20, v77, -1, s15
	s_mov_b32 s9, 0
	s_mov_b32 s8, exec_lo
	s_delay_alu instid0(VALU_DEP_1) | instskip(NEXT) | instid1(VALU_DEP_1)
	v_add_nc_u32_e32 v3, 32, v20
	v_lshlrev_b64 v[2:3], 4, v[3:4]
	s_delay_alu instid0(VALU_DEP_1) | instskip(NEXT) | instid1(VALU_DEP_2)
	v_add_co_u32 v21, vcc_lo, s4, v2
	v_add_co_ci_u32_e32 v22, vcc_lo, s5, v3, vcc_lo
	;;#ASMSTART
	global_load_dwordx4 v[2:5], v[21:22] off glc	
s_waitcnt vmcnt(0)
	;;#ASMEND
	v_and_b32_e32 v5, 0xff, v3
	v_and_b32_e32 v23, 0xff00, v3
	v_or3_b32 v2, v2, 0, 0
	v_and_b32_e32 v24, 0xff000000, v3
	v_and_b32_e32 v3, 0xff0000, v3
	s_delay_alu instid0(VALU_DEP_4) | instskip(SKIP_2) | instid1(VALU_DEP_3)
	v_or3_b32 v5, 0, v5, v23
	v_and_b32_e32 v23, 0xff, v4
	v_or3_b32 v2, v2, 0, 0
	v_or3_b32 v3, v5, v3, v24
	s_delay_alu instid0(VALU_DEP_3)
	v_cmpx_eq_u16_e32 0, v23
	s_cbranch_execz .LBB749_101
.LBB749_99:                             ; =>This Inner Loop Header: Depth=1
	;;#ASMSTART
	global_load_dwordx4 v[2:5], v[21:22] off glc	
s_waitcnt vmcnt(0)
	;;#ASMEND
	v_and_b32_e32 v5, 0xff, v4
	s_delay_alu instid0(VALU_DEP_1) | instskip(SKIP_1) | instid1(SALU_CYCLE_1)
	v_cmp_ne_u16_e32 vcc_lo, 0, v5
	s_or_b32 s9, vcc_lo, s9
	s_and_not1_b32 exec_lo, exec_lo, s9
	s_cbranch_execnz .LBB749_99
; %bb.100:
	s_or_b32 exec_lo, exec_lo, s9
.LBB749_101:
	s_delay_alu instid0(SALU_CYCLE_1)
	s_or_b32 exec_lo, exec_lo, s8
	v_cmp_ne_u32_e32 vcc_lo, 31, v77
	v_lshlrev_b32_e64 v87, v77, -1
	v_add_nc_u32_e32 v91, 4, v77
	v_add_nc_u32_e32 v93, 8, v77
	;; [unrolled: 1-line block ×3, first 2 shown]
	v_add_co_ci_u32_e32 v5, vcc_lo, 0, v77, vcc_lo
	s_delay_alu instid0(VALU_DEP_1)
	v_lshlrev_b32_e32 v86, 2, v5
	ds_bpermute_b32 v21, v86, v3
	ds_bpermute_b32 v5, v86, v2
	s_waitcnt lgkmcnt(1)
	v_add_nc_u32_e32 v21, v21, v3
	v_and_b32_e32 v22, 0xff, v4
	s_waitcnt lgkmcnt(0)
	v_add_nc_u32_e32 v5, v5, v2
	s_delay_alu instid0(VALU_DEP_2) | instskip(SKIP_2) | instid1(VALU_DEP_2)
	v_cmp_eq_u16_e32 vcc_lo, 2, v22
	v_and_or_b32 v22, vcc_lo, v87, 0x80000000
	v_cmp_gt_u32_e32 vcc_lo, 30, v77
	v_ctz_i32_b32_e32 v22, v22
	v_cndmask_b32_e64 v23, 0, 1, vcc_lo
	s_delay_alu instid0(VALU_DEP_2) | instskip(NEXT) | instid1(VALU_DEP_2)
	v_cmp_lt_u32_e32 vcc_lo, v77, v22
	v_dual_cndmask_b32 v2, v2, v5 :: v_dual_lshlrev_b32 v23, 1, v23
	s_delay_alu instid0(VALU_DEP_1)
	v_add_lshl_u32 v88, v23, v77, 2
	v_cndmask_b32_e32 v3, v3, v21, vcc_lo
	v_cmp_gt_u32_e32 vcc_lo, 28, v77
	ds_bpermute_b32 v5, v88, v2
	ds_bpermute_b32 v21, v88, v3
	v_cndmask_b32_e64 v23, 0, 1, vcc_lo
	s_waitcnt lgkmcnt(1)
	v_add_nc_u32_e32 v5, v2, v5
	v_add_nc_u32_e32 v89, 2, v77
	s_waitcnt lgkmcnt(0)
	v_add_nc_u32_e32 v21, v3, v21
	s_delay_alu instid0(VALU_DEP_2) | instskip(SKIP_1) | instid1(VALU_DEP_3)
	v_cmp_gt_u32_e32 vcc_lo, v89, v22
	v_dual_cndmask_b32 v2, v5, v2 :: v_dual_lshlrev_b32 v23, 2, v23
	v_cndmask_b32_e32 v3, v21, v3, vcc_lo
	v_cmp_gt_u32_e32 vcc_lo, 24, v77
	s_delay_alu instid0(VALU_DEP_3)
	v_add_lshl_u32 v90, v23, v77, 2
	v_cndmask_b32_e64 v23, 0, 1, vcc_lo
	v_cmp_gt_u32_e32 vcc_lo, v91, v22
	ds_bpermute_b32 v5, v90, v2
	ds_bpermute_b32 v21, v90, v3
	v_lshlrev_b32_e32 v23, 3, v23
	s_delay_alu instid0(VALU_DEP_1) | instskip(SKIP_3) | instid1(VALU_DEP_1)
	v_add_lshl_u32 v92, v23, v77, 2
	s_waitcnt lgkmcnt(1)
	v_add_nc_u32_e32 v5, v2, v5
	s_waitcnt lgkmcnt(0)
	v_dual_cndmask_b32 v2, v5, v2 :: v_dual_add_nc_u32 v21, v3, v21
	s_delay_alu instid0(VALU_DEP_1)
	v_cndmask_b32_e32 v3, v21, v3, vcc_lo
	v_cmp_gt_u32_e32 vcc_lo, 16, v77
	ds_bpermute_b32 v5, v92, v2
	ds_bpermute_b32 v21, v92, v3
	v_cndmask_b32_e64 v23, 0, 1, vcc_lo
	v_cmp_gt_u32_e32 vcc_lo, v93, v22
	s_delay_alu instid0(VALU_DEP_2) | instskip(NEXT) | instid1(VALU_DEP_1)
	v_lshlrev_b32_e32 v23, 4, v23
	v_add_lshl_u32 v94, v23, v77, 2
	s_waitcnt lgkmcnt(1)
	v_add_nc_u32_e32 v5, v2, v5
	s_waitcnt lgkmcnt(0)
	s_delay_alu instid0(VALU_DEP_1) | instskip(NEXT) | instid1(VALU_DEP_1)
	v_dual_cndmask_b32 v2, v5, v2 :: v_dual_add_nc_u32 v21, v3, v21
	v_cndmask_b32_e32 v3, v21, v3, vcc_lo
	v_cmp_le_u32_e32 vcc_lo, v95, v22
	ds_bpermute_b32 v5, v94, v2
	ds_bpermute_b32 v21, v94, v3
	s_waitcnt lgkmcnt(1)
	v_cndmask_b32_e32 v5, 0, v5, vcc_lo
	s_waitcnt lgkmcnt(0)
	s_delay_alu instid0(VALU_DEP_1) | instskip(NEXT) | instid1(VALU_DEP_1)
	v_dual_cndmask_b32 v21, 0, v21 :: v_dual_add_nc_u32 v2, v5, v2
	v_add_nc_u32_e32 v3, v21, v3
	v_mov_b32_e32 v21, 0
	s_branch .LBB749_103
.LBB749_102:                            ;   in Loop: Header=BB749_103 Depth=1
	s_or_b32 exec_lo, exec_lo, s8
	ds_bpermute_b32 v5, v86, v2
	ds_bpermute_b32 v24, v86, v3
	v_subrev_nc_u32_e32 v20, 32, v20
	s_waitcnt lgkmcnt(1)
	v_add_nc_u32_e32 v5, v5, v2
	v_and_b32_e32 v25, 0xff, v4
	s_waitcnt lgkmcnt(0)
	v_add_nc_u32_e32 v24, v24, v3
	s_delay_alu instid0(VALU_DEP_2) | instskip(SKIP_1) | instid1(VALU_DEP_1)
	v_cmp_eq_u16_e32 vcc_lo, 2, v25
	v_and_or_b32 v25, vcc_lo, v87, 0x80000000
	v_ctz_i32_b32_e32 v25, v25
	s_delay_alu instid0(VALU_DEP_1)
	v_cmp_lt_u32_e32 vcc_lo, v77, v25
	v_cndmask_b32_e32 v2, v2, v5, vcc_lo
	ds_bpermute_b32 v5, v88, v2
	s_waitcnt lgkmcnt(0)
	v_add_nc_u32_e32 v5, v2, v5
	v_cndmask_b32_e32 v3, v3, v24, vcc_lo
	v_cmp_gt_u32_e32 vcc_lo, v89, v25
	s_delay_alu instid0(VALU_DEP_3)
	v_cndmask_b32_e32 v2, v5, v2, vcc_lo
	ds_bpermute_b32 v24, v88, v3
	ds_bpermute_b32 v5, v90, v2
	s_waitcnt lgkmcnt(1)
	v_add_nc_u32_e32 v24, v3, v24
	s_waitcnt lgkmcnt(0)
	v_add_nc_u32_e32 v5, v2, v5
	s_delay_alu instid0(VALU_DEP_2) | instskip(SKIP_1) | instid1(VALU_DEP_3)
	v_cndmask_b32_e32 v3, v24, v3, vcc_lo
	v_cmp_gt_u32_e32 vcc_lo, v91, v25
	v_cndmask_b32_e32 v2, v5, v2, vcc_lo
	ds_bpermute_b32 v24, v90, v3
	ds_bpermute_b32 v5, v92, v2
	s_waitcnt lgkmcnt(1)
	v_add_nc_u32_e32 v24, v3, v24
	s_waitcnt lgkmcnt(0)
	v_add_nc_u32_e32 v5, v2, v5
	s_delay_alu instid0(VALU_DEP_2) | instskip(SKIP_1) | instid1(VALU_DEP_3)
	v_cndmask_b32_e32 v3, v24, v3, vcc_lo
	v_cmp_gt_u32_e32 vcc_lo, v93, v25
	v_cndmask_b32_e32 v2, v5, v2, vcc_lo
	ds_bpermute_b32 v24, v92, v3
	ds_bpermute_b32 v5, v94, v2
	s_waitcnt lgkmcnt(1)
	v_add_nc_u32_e32 v24, v3, v24
	s_delay_alu instid0(VALU_DEP_1) | instskip(SKIP_4) | instid1(VALU_DEP_1)
	v_cndmask_b32_e32 v3, v24, v3, vcc_lo
	v_cmp_le_u32_e32 vcc_lo, v95, v25
	ds_bpermute_b32 v24, v94, v3
	s_waitcnt lgkmcnt(1)
	v_cndmask_b32_e32 v5, 0, v5, vcc_lo
	v_add3_u32 v2, v2, v22, v5
	s_waitcnt lgkmcnt(0)
	v_cndmask_b32_e32 v24, 0, v24, vcc_lo
	s_delay_alu instid0(VALU_DEP_1)
	v_add3_u32 v3, v3, v23, v24
.LBB749_103:                            ; =>This Loop Header: Depth=1
                                        ;     Child Loop BB749_106 Depth 2
	s_delay_alu instid0(VALU_DEP_1) | instskip(SKIP_1) | instid1(VALU_DEP_2)
	v_dual_mov_b32 v23, v3 :: v_dual_and_b32 v4, 0xff, v4
	v_mov_b32_e32 v22, v2
	v_cmp_ne_u16_e32 vcc_lo, 2, v4
	v_cndmask_b32_e64 v4, 0, 1, vcc_lo
	;;#ASMSTART
	;;#ASMEND
	s_delay_alu instid0(VALU_DEP_1)
	v_cmp_ne_u32_e32 vcc_lo, 0, v4
	s_cmp_lg_u32 vcc_lo, exec_lo
	s_cbranch_scc1 .LBB749_108
; %bb.104:                              ;   in Loop: Header=BB749_103 Depth=1
	v_lshlrev_b64 v[2:3], 4, v[20:21]
	s_mov_b32 s8, exec_lo
	s_delay_alu instid0(VALU_DEP_1) | instskip(NEXT) | instid1(VALU_DEP_2)
	v_add_co_u32 v24, vcc_lo, s4, v2
	v_add_co_ci_u32_e32 v25, vcc_lo, s5, v3, vcc_lo
	;;#ASMSTART
	global_load_dwordx4 v[2:5], v[24:25] off glc	
s_waitcnt vmcnt(0)
	;;#ASMEND
	v_and_b32_e32 v5, 0xff, v3
	v_and_b32_e32 v96, 0xff00, v3
	v_or3_b32 v2, v2, 0, 0
	v_and_b32_e32 v97, 0xff000000, v3
	v_and_b32_e32 v3, 0xff0000, v3
	s_delay_alu instid0(VALU_DEP_4) | instskip(SKIP_2) | instid1(VALU_DEP_3)
	v_or3_b32 v5, 0, v5, v96
	v_and_b32_e32 v96, 0xff, v4
	v_or3_b32 v2, v2, 0, 0
	v_or3_b32 v3, v5, v3, v97
	s_delay_alu instid0(VALU_DEP_3)
	v_cmpx_eq_u16_e32 0, v96
	s_cbranch_execz .LBB749_102
; %bb.105:                              ;   in Loop: Header=BB749_103 Depth=1
	s_mov_b32 s9, 0
.LBB749_106:                            ;   Parent Loop BB749_103 Depth=1
                                        ; =>  This Inner Loop Header: Depth=2
	;;#ASMSTART
	global_load_dwordx4 v[2:5], v[24:25] off glc	
s_waitcnt vmcnt(0)
	;;#ASMEND
	v_and_b32_e32 v5, 0xff, v4
	s_delay_alu instid0(VALU_DEP_1) | instskip(SKIP_1) | instid1(SALU_CYCLE_1)
	v_cmp_ne_u16_e32 vcc_lo, 0, v5
	s_or_b32 s9, vcc_lo, s9
	s_and_not1_b32 exec_lo, exec_lo, s9
	s_cbranch_execnz .LBB749_106
; %bb.107:                              ;   in Loop: Header=BB749_103 Depth=1
	s_or_b32 exec_lo, exec_lo, s9
	s_branch .LBB749_102
.LBB749_108:                            ;   in Loop: Header=BB749_103 Depth=1
                                        ; implicit-def: $vgpr4
                                        ; implicit-def: $vgpr2_vgpr3
	s_cbranch_execz .LBB749_103
; %bb.109:
	s_and_saveexec_b32 s8, s2
	s_cbranch_execnz .LBB749_352
; %bb.110:
	s_or_b32 exec_lo, exec_lo, s8
	s_and_saveexec_b32 s8, s2
	s_cbranch_execnz .LBB749_353
.LBB749_111:
	s_or_b32 exec_lo, exec_lo, s8
	v_cmp_eq_u32_e32 vcc_lo, 0, v0
	s_and_b32 exec_lo, exec_lo, vcc_lo
	s_cbranch_execz .LBB749_113
.LBB749_112:
	v_mov_b32_e32 v1, 0
	ds_store_b64 v1, v[22:23] offset:56
.LBB749_113:
	s_or_b32 exec_lo, exec_lo, s6
	v_cmp_eq_u32_e32 vcc_lo, 0, v0
	v_mov_b32_e32 v1, 0
	s_waitcnt lgkmcnt(0)
	s_barrier
	buffer_gl0_inv
	v_add_nc_u32_e64 v3, 0x3400, 0
	ds_load_b64 v[20:21], v1 offset:56
	s_waitcnt lgkmcnt(0)
	s_barrier
	buffer_gl0_inv
	ds_load_2addr_b32 v[1:2], v3 offset1:2
	ds_load_2addr_b32 v[3:4], v3 offset0:4 offset1:6
	v_cndmask_b32_e64 v5, v84, v18, s2
	v_cndmask_b32_e64 v18, v85, v19, s2
	s_delay_alu instid0(VALU_DEP_2) | instskip(NEXT) | instid1(VALU_DEP_1)
	v_add_nc_u32_e32 v19, v20, v5
	v_dual_cndmask_b32 v20, v19, v20 :: v_dual_add_nc_u32 v5, v21, v18
	s_delay_alu instid0(VALU_DEP_1)
	v_cndmask_b32_e32 v5, v5, v21, vcc_lo
	s_branch .LBB749_124
.LBB749_114:
                                        ; implicit-def: $vgpr5
                                        ; implicit-def: $vgpr3
                                        ; implicit-def: $vgpr1
                                        ; implicit-def: $vgpr20_vgpr21
	s_and_b32 vcc_lo, exec_lo, s6
	s_cbranch_vccz .LBB749_124
; %bb.115:
	s_waitcnt lgkmcnt(0)
	v_mov_b32_dpp v2, v83 row_shr:1 row_mask:0xf bank_mask:0xf
	v_cmp_lt_u32_e32 vcc_lo, 3, v81
	v_mov_b32_dpp v1, v82 row_shr:1 row_mask:0xf bank_mask:0xf
	s_delay_alu instid0(VALU_DEP_3) | instskip(NEXT) | instid1(VALU_DEP_1)
	v_add_nc_u32_e32 v2, v2, v83
	v_cndmask_b32_e64 v2, v2, v83, s1
	s_delay_alu instid0(VALU_DEP_1) | instskip(NEXT) | instid1(VALU_DEP_1)
	v_mov_b32_dpp v4, v2 row_shr:2 row_mask:0xf bank_mask:0xf
	v_add_nc_u32_e32 v4, v2, v4
	s_delay_alu instid0(VALU_DEP_1) | instskip(NEXT) | instid1(VALU_DEP_1)
	v_cndmask_b32_e64 v2, v2, v4, s0
	v_mov_b32_dpp v4, v2 row_shr:4 row_mask:0xf bank_mask:0xf
	s_delay_alu instid0(VALU_DEP_1) | instskip(NEXT) | instid1(VALU_DEP_1)
	v_add_nc_u32_e32 v4, v2, v4
	v_dual_cndmask_b32 v2, v2, v4 :: v_dual_add_nc_u32 v1, v1, v82
	s_delay_alu instid0(VALU_DEP_1) | instskip(NEXT) | instid1(VALU_DEP_2)
	v_cndmask_b32_e64 v1, v1, v82, s1
	v_mov_b32_dpp v4, v2 row_shr:8 row_mask:0xf bank_mask:0xf
	s_delay_alu instid0(VALU_DEP_2) | instskip(NEXT) | instid1(VALU_DEP_2)
	v_mov_b32_dpp v3, v1 row_shr:2 row_mask:0xf bank_mask:0xf
	v_add_nc_u32_e32 v4, v2, v4
	s_delay_alu instid0(VALU_DEP_2) | instskip(NEXT) | instid1(VALU_DEP_1)
	v_add_nc_u32_e32 v3, v1, v3
	v_cndmask_b32_e64 v1, v1, v3, s0
	s_mov_b32 s0, exec_lo
	s_delay_alu instid0(VALU_DEP_1) | instskip(NEXT) | instid1(VALU_DEP_1)
	v_mov_b32_dpp v3, v1 row_shr:4 row_mask:0xf bank_mask:0xf
	v_add_nc_u32_e32 v3, v1, v3
	s_delay_alu instid0(VALU_DEP_1) | instskip(SKIP_1) | instid1(VALU_DEP_2)
	v_cndmask_b32_e32 v1, v1, v3, vcc_lo
	v_cmp_lt_u32_e32 vcc_lo, 7, v81
	v_mov_b32_dpp v3, v1 row_shr:8 row_mask:0xf bank_mask:0xf
	s_delay_alu instid0(VALU_DEP_1) | instskip(NEXT) | instid1(VALU_DEP_1)
	v_dual_cndmask_b32 v2, v2, v4 :: v_dual_add_nc_u32 v3, v1, v3
	v_cndmask_b32_e32 v1, v1, v3, vcc_lo
	ds_swizzle_b32 v3, v2 offset:swizzle(BROADCAST,32,15)
	v_cmp_eq_u32_e32 vcc_lo, 0, v80
	ds_swizzle_b32 v4, v1 offset:swizzle(BROADCAST,32,15)
	s_waitcnt lgkmcnt(1)
	v_add_nc_u32_e32 v3, v2, v3
	s_waitcnt lgkmcnt(0)
	v_add_nc_u32_e32 v4, v1, v4
	s_delay_alu instid0(VALU_DEP_1)
	v_dual_cndmask_b32 v2, v3, v2 :: v_dual_cndmask_b32 v1, v4, v1
	v_cmpx_eq_u32_e64 v79, v0
	s_cbranch_execz .LBB749_117
; %bb.116:
	v_lshlrev_b32_e32 v3, 3, v78
	ds_store_b64 v3, v[1:2]
.LBB749_117:
	s_or_b32 exec_lo, exec_lo, s0
	s_delay_alu instid0(SALU_CYCLE_1)
	s_mov_b32 s0, exec_lo
	s_waitcnt lgkmcnt(0)
	s_barrier
	buffer_gl0_inv
	v_cmpx_gt_u32_e32 8, v0
	s_cbranch_execz .LBB749_119
; %bb.118:
	v_lshlrev_b32_e32 v5, 3, v0
	ds_load_b64 v[3:4], v5
	s_waitcnt lgkmcnt(0)
	v_mov_b32_dpp v18, v3 row_shr:1 row_mask:0xf bank_mask:0xf
	v_mov_b32_dpp v19, v4 row_shr:1 row_mask:0xf bank_mask:0xf
	s_delay_alu instid0(VALU_DEP_2) | instskip(SKIP_1) | instid1(VALU_DEP_3)
	v_add_nc_u32_e32 v18, v18, v3
	v_and_b32_e32 v20, 7, v77
	v_add_nc_u32_e32 v19, v19, v4
	s_delay_alu instid0(VALU_DEP_2) | instskip(NEXT) | instid1(VALU_DEP_2)
	v_cmp_eq_u32_e32 vcc_lo, 0, v20
	v_dual_cndmask_b32 v4, v19, v4 :: v_dual_cndmask_b32 v3, v18, v3
	v_cmp_lt_u32_e32 vcc_lo, 1, v20
	s_delay_alu instid0(VALU_DEP_2) | instskip(NEXT) | instid1(VALU_DEP_3)
	v_mov_b32_dpp v19, v4 row_shr:2 row_mask:0xf bank_mask:0xf
	v_mov_b32_dpp v18, v3 row_shr:2 row_mask:0xf bank_mask:0xf
	s_delay_alu instid0(VALU_DEP_2) | instskip(NEXT) | instid1(VALU_DEP_2)
	v_add_nc_u32_e32 v19, v4, v19
	v_add_nc_u32_e32 v18, v3, v18
	s_delay_alu instid0(VALU_DEP_1) | instskip(SKIP_1) | instid1(VALU_DEP_2)
	v_dual_cndmask_b32 v4, v4, v19 :: v_dual_cndmask_b32 v3, v3, v18
	v_cmp_lt_u32_e32 vcc_lo, 3, v20
	v_mov_b32_dpp v19, v4 row_shr:4 row_mask:0xf bank_mask:0xf
	s_delay_alu instid0(VALU_DEP_3) | instskip(NEXT) | instid1(VALU_DEP_1)
	v_mov_b32_dpp v18, v3 row_shr:4 row_mask:0xf bank_mask:0xf
	v_dual_cndmask_b32 v19, 0, v19 :: v_dual_cndmask_b32 v18, 0, v18
	s_delay_alu instid0(VALU_DEP_1) | instskip(NEXT) | instid1(VALU_DEP_2)
	v_add_nc_u32_e32 v4, v19, v4
	v_add_nc_u32_e32 v3, v18, v3
	ds_store_b64 v5, v[3:4]
.LBB749_119:
	s_or_b32 exec_lo, exec_lo, s0
	v_dual_mov_b32 v3, 0 :: v_dual_mov_b32 v18, 0
	v_mov_b32_e32 v19, 0
	s_mov_b32 s0, exec_lo
	s_waitcnt lgkmcnt(0)
	s_barrier
	buffer_gl0_inv
	v_cmpx_lt_u32_e32 31, v0
	s_cbranch_execz .LBB749_121
; %bb.120:
	v_lshl_add_u32 v4, v78, 3, -8
	ds_load_b64 v[18:19], v4
.LBB749_121:
	s_or_b32 exec_lo, exec_lo, s0
	v_add_nc_u32_e32 v4, -1, v77
	s_waitcnt lgkmcnt(0)
	v_add_nc_u32_e32 v20, v19, v2
	v_add_nc_u32_e32 v5, v18, v1
	ds_load_b64 v[1:2], v3 offset:56
	v_cmp_gt_i32_e32 vcc_lo, 0, v4
	v_cndmask_b32_e32 v4, v4, v77, vcc_lo
	v_cmp_eq_u32_e32 vcc_lo, 0, v0
	s_delay_alu instid0(VALU_DEP_2)
	v_lshlrev_b32_e32 v4, 2, v4
	ds_bpermute_b32 v5, v4, v5
	ds_bpermute_b32 v20, v4, v20
	s_waitcnt lgkmcnt(2)
	v_readfirstlane_b32 s1, v2
	s_and_saveexec_b32 s0, vcc_lo
	s_cbranch_execz .LBB749_123
; %bb.122:
	s_mov_b32 s6, 0
	s_add_u32 s4, s4, 0x200
	s_addc_u32 s5, s5, 0
	s_and_b32 s7, s1, 0xff000000
	s_and_b32 s9, s1, 0xff0000
	s_mov_b32 s8, s6
	v_mov_b32_e32 v22, s5
	s_or_b64 s[8:9], s[8:9], s[6:7]
	s_and_b32 s7, s1, 0xff00
	v_dual_mov_b32 v4, 0 :: v_dual_mov_b32 v21, s4
	s_or_b64 s[8:9], s[8:9], s[6:7]
	s_and_b32 s7, s1, 0xff
	v_mov_b32_e32 v3, 2
	s_or_b64 s[6:7], s[8:9], s[6:7]
	s_delay_alu instid0(SALU_CYCLE_1)
	v_mov_b32_e32 v2, s7
	;;#ASMSTART
	global_store_dwordx4 v[21:22], v[1:4] off	
s_waitcnt vmcnt(0)
	;;#ASMEND
.LBB749_123:
	s_or_b32 exec_lo, exec_lo, s0
	v_cmp_eq_u32_e64 s0, 0, v77
	v_dual_mov_b32 v3, 0 :: v_dual_mov_b32 v2, s1
	s_waitcnt lgkmcnt(0)
	s_barrier
	s_delay_alu instid0(VALU_DEP_2)
	v_cndmask_b32_e64 v4, v5, v18, s0
	v_cndmask_b32_e64 v5, v20, v19, s0
	buffer_gl0_inv
	v_cndmask_b32_e64 v20, v4, 0, vcc_lo
	v_cndmask_b32_e64 v5, v5, 0, vcc_lo
	v_mov_b32_e32 v4, 0
.LBB749_124:
	v_and_b32_e32 v30, 1, v30
	v_and_b32_e32 v34, 1, v34
	;; [unrolled: 1-line block ×4, first 2 shown]
	s_waitcnt lgkmcnt(0)
	v_add_co_u32 v18, s0, s28, v3
	v_cmp_eq_u32_e32 vcc_lo, 1, v30
	v_add_nc_u32_e32 v22, v5, v76
	v_sub_nc_u32_e32 v5, v5, v4
	v_add_co_ci_u32_e64 v19, null, s29, 0, s0
	s_mov_b32 s2, -1
	s_delay_alu instid0(VALU_DEP_3) | instskip(SKIP_3) | instid1(VALU_DEP_3)
	v_add_nc_u32_e32 v24, v22, v72
	v_sub_nc_u32_e32 v22, v22, v4
	v_add_nc_u32_e32 v5, v5, v1
	v_sub_co_u32 v72, s0, s30, v1
	v_add_nc_u32_e32 v22, v22, v1
	v_add_nc_u32_e32 v21, v20, v75
	v_sub_nc_u32_e32 v20, v20, v3
	s_delay_alu instid0(VALU_DEP_2)
	v_add_nc_u32_e32 v23, v21, v71
	v_add_nc_u32_e32 v71, v24, v74
	v_lshlrev_b32_e32 v74, 1, v1
	v_sub_nc_u32_e32 v21, v21, v3
	v_add_nc_u32_e32 v75, v20, v5
	v_sub_nc_u32_e32 v24, v24, v4
	s_delay_alu instid0(VALU_DEP_4) | instskip(NEXT) | instid1(VALU_DEP_4)
	v_add3_u32 v28, v74, v2, v28
	v_add_nc_u32_e32 v76, v22, v21
	s_delay_alu instid0(VALU_DEP_3) | instskip(NEXT) | instid1(VALU_DEP_3)
	v_add_nc_u32_e32 v24, v24, v1
	v_sub_nc_u32_e32 v75, v28, v75
	s_delay_alu instid0(VALU_DEP_3) | instskip(NEXT) | instid1(VALU_DEP_1)
	v_sub_nc_u32_e32 v76, v28, v76
	v_dual_cndmask_b32 v5, v75, v5 :: v_dual_add_nc_u32 v30, 1, v76
	v_cmp_eq_u32_e32 vcc_lo, 1, v34
	s_delay_alu instid0(VALU_DEP_2) | instskip(SKIP_1) | instid1(VALU_DEP_4)
	v_cndmask_b32_e32 v22, v30, v22, vcc_lo
	v_cmp_eq_u32_e32 vcc_lo, 1, v29
	v_cndmask_b32_e32 v5, v5, v20, vcc_lo
	v_and_b32_e32 v20, 1, v36
	v_cmp_eq_u32_e32 vcc_lo, 1, v33
	s_delay_alu instid0(VALU_DEP_3) | instskip(SKIP_1) | instid1(VALU_DEP_4)
	v_lshlrev_b32_e32 v5, 2, v5
	v_cndmask_b32_e32 v21, v22, v21, vcc_lo
	v_cmp_eq_u32_e32 vcc_lo, 1, v20
	v_add_nc_u32_e32 v25, v23, v73
	v_sub_nc_u32_e32 v23, v23, v3
	v_and_b32_e32 v22, 1, v31
	v_sub_co_ci_u32_e64 v73, null, s31, 0, s0
	v_and_b32_e32 v31, 1, v32
	s_delay_alu instid0(VALU_DEP_4) | instskip(NEXT) | instid1(VALU_DEP_1)
	v_add_nc_u32_e32 v77, v24, v23
	v_sub_nc_u32_e32 v75, v28, v77
	s_delay_alu instid0(VALU_DEP_1) | instskip(NEXT) | instid1(VALU_DEP_1)
	v_add_nc_u32_e32 v29, 2, v75
	v_cndmask_b32_e32 v20, v29, v24, vcc_lo
	v_sub_nc_u32_e32 v24, v71, v4
	v_cmp_eq_u32_e32 vcc_lo, 1, v22
	v_add_nc_u32_e32 v69, v25, v69
	v_lshlrev_b32_e32 v29, 2, v21
	ds_store_b32 v5, v16
	ds_store_b32 v29, v17
	v_cndmask_b32_e32 v22, v20, v23, vcc_lo
	v_sub_nc_u32_e32 v23, v25, v3
	v_add_nc_u32_e32 v24, v24, v1
	v_add_co_u32 v20, vcc_lo, v72, v4
	s_delay_alu instid0(VALU_DEP_4) | instskip(SKIP_1) | instid1(VALU_DEP_4)
	v_lshlrev_b32_e32 v5, 2, v22
	v_and_b32_e32 v22, 1, v35
	v_add_nc_u32_e32 v25, v23, v24
	v_add_co_ci_u32_e32 v21, vcc_lo, 0, v73, vcc_lo
	ds_store_b32 v5, v14
	v_cmp_eq_u32_e32 vcc_lo, 1, v22
	v_sub_nc_u32_e32 v17, v28, v25
	v_sub_nc_u32_e32 v29, v69, v3
	v_add_nc_u32_e32 v67, v69, v67
	s_delay_alu instid0(VALU_DEP_3) | instskip(NEXT) | instid1(VALU_DEP_2)
	v_add_nc_u32_e32 v17, 3, v17
	v_sub_nc_u32_e32 v30, v67, v3
	s_delay_alu instid0(VALU_DEP_2) | instskip(SKIP_2) | instid1(VALU_DEP_3)
	v_cndmask_b32_e32 v17, v17, v24, vcc_lo
	v_cmp_eq_u32_e32 vcc_lo, 1, v31
	v_and_b32_e32 v24, 1, v39
	v_cndmask_b32_e32 v14, v17, v23, vcc_lo
	v_add_nc_u32_e32 v70, v71, v70
	v_and_b32_e32 v23, 1, v38
	s_delay_alu instid0(VALU_DEP_3) | instskip(NEXT) | instid1(VALU_DEP_3)
	v_lshlrev_b32_e32 v14, 2, v14
	v_add_nc_u32_e32 v68, v70, v68
	v_sub_nc_u32_e32 v16, v70, v4
	ds_store_b32 v14, v15
	v_sub_nc_u32_e32 v25, v68, v4
	v_add_nc_u32_e32 v16, v16, v1
	s_delay_alu instid0(VALU_DEP_2) | instskip(NEXT) | instid1(VALU_DEP_2)
	v_add_nc_u32_e32 v25, v25, v1
	v_add_nc_u32_e32 v32, v29, v16
	s_delay_alu instid0(VALU_DEP_2) | instskip(NEXT) | instid1(VALU_DEP_2)
	v_add_nc_u32_e32 v22, v30, v25
	v_sub_nc_u32_e32 v5, v28, v32
	s_delay_alu instid0(VALU_DEP_2) | instskip(SKIP_1) | instid1(VALU_DEP_3)
	v_sub_nc_u32_e32 v17, v28, v22
	v_and_b32_e32 v22, 1, v37
	v_add_nc_u32_e32 v5, 4, v5
	s_delay_alu instid0(VALU_DEP_3) | instskip(NEXT) | instid1(VALU_DEP_3)
	v_add_nc_u32_e32 v17, 5, v17
	v_cmp_eq_u32_e32 vcc_lo, 1, v22
	s_delay_alu instid0(VALU_DEP_3)
	v_cndmask_b32_e32 v5, v5, v16, vcc_lo
	v_cmp_eq_u32_e32 vcc_lo, 1, v24
	v_and_b32_e32 v16, 1, v41
	v_cndmask_b32_e32 v17, v17, v25, vcc_lo
	v_cmp_eq_u32_e32 vcc_lo, 1, v23
	v_cndmask_b32_e32 v5, v5, v29, vcc_lo
	s_delay_alu instid0(VALU_DEP_4) | instskip(SKIP_1) | instid1(VALU_DEP_3)
	v_cmp_eq_u32_e32 vcc_lo, 1, v16
	v_add_nc_u32_e32 v66, v68, v66
	v_dual_cndmask_b32 v16, v17, v30 :: v_dual_lshlrev_b32 v5, 2, v5
	s_delay_alu instid0(VALU_DEP_2) | instskip(SKIP_1) | instid1(VALU_DEP_3)
	v_sub_nc_u32_e32 v22, v66, v4
	v_add_nc_u32_e32 v62, v66, v62
	v_lshlrev_b32_e32 v16, 2, v16
	ds_store_b32 v5, v12
	ds_store_b32 v16, v13
	v_and_b32_e32 v12, 1, v40
	v_add_nc_u32_e32 v22, v22, v1
	v_add_nc_u32_e32 v64, v62, v64
	v_sub_nc_u32_e32 v17, v62, v4
	v_and_b32_e32 v16, 1, v43
	v_cmp_eq_u32_e32 vcc_lo, 1, v12
	v_add_nc_u32_e32 v65, v67, v65
	v_sub_nc_u32_e32 v15, v64, v4
	v_add_nc_u32_e32 v17, v17, v1
	s_delay_alu instid0(VALU_DEP_3) | instskip(NEXT) | instid1(VALU_DEP_3)
	v_sub_nc_u32_e32 v23, v65, v3
	v_add_nc_u32_e32 v15, v15, v1
	s_delay_alu instid0(VALU_DEP_2) | instskip(NEXT) | instid1(VALU_DEP_1)
	v_add_nc_u32_e32 v24, v23, v22
	v_sub_nc_u32_e32 v14, v28, v24
	v_and_b32_e32 v24, 1, v48
	s_delay_alu instid0(VALU_DEP_2) | instskip(SKIP_1) | instid1(VALU_DEP_2)
	v_add_nc_u32_e32 v13, 6, v14
	v_and_b32_e32 v14, 1, v42
	v_cndmask_b32_e32 v12, v13, v22, vcc_lo
	v_add_nc_u32_e32 v61, v65, v61
	s_delay_alu instid0(VALU_DEP_3) | instskip(SKIP_1) | instid1(VALU_DEP_3)
	v_cmp_eq_u32_e32 vcc_lo, 1, v14
	v_and_b32_e32 v22, 1, v44
	v_sub_nc_u32_e32 v25, v61, v3
	v_add_nc_u32_e32 v63, v61, v63
	v_cndmask_b32_e32 v12, v12, v23, vcc_lo
	v_cmp_eq_u32_e32 vcc_lo, 1, v16
	v_and_b32_e32 v23, 1, v46
	v_add_nc_u32_e32 v5, v25, v17
	v_sub_nc_u32_e32 v13, v63, v3
	v_lshlrev_b32_e32 v12, 2, v12
	v_add_nc_u32_e32 v59, v63, v59
	s_delay_alu instid0(VALU_DEP_4) | instskip(NEXT) | instid1(VALU_DEP_4)
	v_sub_nc_u32_e32 v5, v28, v5
	v_add_nc_u32_e32 v14, v13, v15
	s_delay_alu instid0(VALU_DEP_3) | instskip(NEXT) | instid1(VALU_DEP_3)
	v_add_nc_u32_e32 v57, v59, v57
	v_add_nc_u32_e32 v5, 7, v5
	s_delay_alu instid0(VALU_DEP_3) | instskip(NEXT) | instid1(VALU_DEP_3)
	v_sub_nc_u32_e32 v14, v28, v14
	v_add_nc_u32_e32 v55, v57, v55
	s_delay_alu instid0(VALU_DEP_3)
	v_cndmask_b32_e32 v5, v5, v17, vcc_lo
	v_cmp_eq_u32_e32 vcc_lo, 1, v22
	v_and_b32_e32 v17, 1, v45
	v_add_nc_u32_e32 v14, 8, v14
	v_sub_nc_u32_e32 v22, v59, v3
	v_add_nc_u32_e32 v53, v55, v53
	v_cndmask_b32_e32 v5, v5, v25, vcc_lo
	v_cmp_eq_u32_e32 vcc_lo, 1, v17
	v_sub_nc_u32_e32 v17, v55, v3
	v_and_b32_e32 v25, 1, v52
	s_delay_alu instid0(VALU_DEP_4)
	v_dual_cndmask_b32 v14, v14, v15 :: v_dual_lshlrev_b32 v5, 2, v5
	v_cmp_eq_u32_e32 vcc_lo, 1, v23
	v_add_nc_u32_e32 v60, v64, v60
	ds_store_b32 v12, v10
	ds_store_b32 v5, v11
	v_and_b32_e32 v11, 1, v49
	v_cndmask_b32_e32 v5, v14, v13, vcc_lo
	v_sub_nc_u32_e32 v16, v60, v4
	v_add_nc_u32_e32 v58, v60, v58
	v_and_b32_e32 v13, 1, v47
	s_delay_alu instid0(VALU_DEP_4) | instskip(NEXT) | instid1(VALU_DEP_4)
	v_lshlrev_b32_e32 v5, 2, v5
	v_add_nc_u32_e32 v16, v16, v1
	s_delay_alu instid0(VALU_DEP_4) | instskip(SKIP_2) | instid1(VALU_DEP_4)
	v_add_nc_u32_e32 v56, v58, v56
	v_sub_nc_u32_e32 v12, v58, v4
	v_cmp_eq_u32_e32 vcc_lo, 1, v13
	v_add_nc_u32_e32 v15, v22, v16
	s_delay_alu instid0(VALU_DEP_4) | instskip(NEXT) | instid1(VALU_DEP_4)
	v_sub_nc_u32_e32 v14, v56, v4
	v_add_nc_u32_e32 v12, v12, v1
	v_add_nc_u32_e32 v54, v56, v54
	s_delay_alu instid0(VALU_DEP_4) | instskip(SKIP_2) | instid1(VALU_DEP_4)
	v_sub_nc_u32_e32 v10, v28, v15
	v_sub_nc_u32_e32 v15, v57, v3
	v_add_nc_u32_e32 v14, v14, v1
	v_sub_nc_u32_e32 v23, v54, v4
	v_sub_nc_u32_e32 v3, v53, v3
	v_add_nc_u32_e32 v10, 9, v10
	v_add_nc_u32_e32 v13, v15, v12
	s_delay_alu instid0(VALU_DEP_2) | instskip(SKIP_2) | instid1(VALU_DEP_4)
	v_dual_cndmask_b32 v10, v10, v16 :: v_dual_add_nc_u32 v23, v23, v1
	v_add_nc_u32_e32 v16, v17, v14
	v_cmp_eq_u32_e32 vcc_lo, 1, v11
	v_sub_nc_u32_e32 v11, v28, v13
	v_and_b32_e32 v13, 1, v50
	s_delay_alu instid0(VALU_DEP_4) | instskip(NEXT) | instid1(VALU_DEP_3)
	v_sub_nc_u32_e32 v16, v28, v16
	v_dual_cndmask_b32 v10, v10, v22 :: v_dual_add_nc_u32 v11, 10, v11
	v_cmp_eq_u32_e32 vcc_lo, 1, v24
	v_add_nc_u32_e32 v22, v3, v23
	s_delay_alu instid0(VALU_DEP_4) | instskip(NEXT) | instid1(VALU_DEP_4)
	v_add_nc_u32_e32 v16, 11, v16
	v_dual_cndmask_b32 v11, v11, v12 :: v_dual_lshlrev_b32 v10, 2, v10
	v_cmp_eq_u32_e32 vcc_lo, 1, v25
	s_delay_alu instid0(VALU_DEP_4) | instskip(SKIP_3) | instid1(VALU_DEP_4)
	v_sub_nc_u32_e32 v22, v28, v22
	v_and_b32_e32 v12, 1, v51
	v_cndmask_b32_e32 v14, v16, v14, vcc_lo
	v_cmp_eq_u32_e32 vcc_lo, 1, v13
	v_dual_cndmask_b32 v11, v11, v15 :: v_dual_add_nc_u32 v16, 12, v22
	s_delay_alu instid0(VALU_DEP_4) | instskip(NEXT) | instid1(VALU_DEP_2)
	v_cmp_eq_u32_e32 vcc_lo, 1, v12
	v_cndmask_b32_e64 v13, v16, v23, s43
	s_delay_alu instid0(VALU_DEP_3) | instskip(NEXT) | instid1(VALU_DEP_2)
	v_dual_cndmask_b32 v12, v14, v17 :: v_dual_lshlrev_b32 v11, 2, v11
	v_cndmask_b32_e64 v3, v13, v3, s42
	s_delay_alu instid0(VALU_DEP_2)
	v_lshlrev_b32_e32 v12, 2, v12
	ds_store_b32 v5, v8
	ds_store_b32 v10, v9
	;; [unrolled: 1-line block ×4, first 2 shown]
	v_lshlrev_b32_e32 v3, 2, v3
	v_add_co_u32 v5, s0, v2, v74
	s_delay_alu instid0(VALU_DEP_1) | instskip(SKIP_4) | instid1(VALU_DEP_2)
	v_add_co_ci_u32_e64 v6, null, 0, 0, s0
	ds_store_b32 v3, v27
	v_add_co_u32 v3, vcc_lo, v5, v20
	v_add_co_ci_u32_e32 v5, vcc_lo, v6, v21, vcc_lo
	s_add_u32 s0, s34, s33
	v_add_co_u32 v3, vcc_lo, v3, v18
	s_delay_alu instid0(VALU_DEP_2) | instskip(SKIP_1) | instid1(VALU_DEP_2)
	v_add_co_ci_u32_e32 v5, vcc_lo, v5, v19, vcc_lo
	s_addc_u32 s1, s35, 0
	v_sub_co_u32 v3, vcc_lo, s0, v3
	s_delay_alu instid0(VALU_DEP_2)
	v_sub_co_ci_u32_e32 v9, vcc_lo, s1, v5, vcc_lo
	v_lshlrev_b64 v[5:6], 2, v[20:21]
	v_lshlrev_b64 v[7:8], 2, v[18:19]
	v_add_nc_u32_e32 v10, v1, v2
	s_add_u32 s1, s26, -4
	s_waitcnt lgkmcnt(0)
	s_barrier
	v_add_co_u32 v5, vcc_lo, s38, v5
	v_add_co_ci_u32_e32 v6, vcc_lo, s39, v6, vcc_lo
	v_cmp_ne_u32_e32 vcc_lo, 1, v26
	v_add_co_u32 v7, s0, s36, v7
	s_delay_alu instid0(VALU_DEP_1)
	v_add_co_ci_u32_e64 v8, s0, s37, v8, s0
	s_addc_u32 s0, s27, -1
	buffer_gl0_inv
	s_cbranch_vccz .LBB749_128
; %bb.125:
	s_and_b32 vcc_lo, exec_lo, s2
	s_cbranch_vccnz .LBB749_233
.LBB749_126:
	v_cmp_eq_u32_e32 vcc_lo, 0, v0
	s_and_b32 s0, vcc_lo, s14
	s_delay_alu instid0(SALU_CYCLE_1)
	s_and_saveexec_b32 s1, s0
	s_cbranch_execnz .LBB749_351
.LBB749_127:
	s_nop 0
	s_sendmsg sendmsg(MSG_DEALLOC_VGPRS)
	s_endpgm
.LBB749_128:
	s_mov_b32 s2, exec_lo
	v_cmpx_le_u32_e64 v1, v0
	s_xor_b32 s2, exec_lo, s2
	s_cbranch_execz .LBB749_134
; %bb.129:
	s_mov_b32 s4, exec_lo
	v_cmpx_le_u32_e64 v10, v0
	s_xor_b32 s4, exec_lo, s4
	s_cbranch_execz .LBB749_131
; %bb.130:
	v_lshlrev_b32_e32 v11, 2, v0
	ds_load_b32 v13, v11
	v_add_co_u32 v11, vcc_lo, v3, v0
	v_add_co_ci_u32_e32 v12, vcc_lo, 0, v9, vcc_lo
	s_delay_alu instid0(VALU_DEP_1) | instskip(NEXT) | instid1(VALU_DEP_1)
	v_lshlrev_b64 v[11:12], 2, v[11:12]
	v_sub_co_u32 v11, vcc_lo, s26, v11
	s_delay_alu instid0(VALU_DEP_2)
	v_sub_co_ci_u32_e32 v12, vcc_lo, s27, v12, vcc_lo
	s_waitcnt lgkmcnt(0)
	global_store_b32 v[11:12], v13, off offset:-4
.LBB749_131:
	s_and_not1_saveexec_b32 s4, s4
	s_cbranch_execz .LBB749_133
; %bb.132:
	v_lshlrev_b32_e32 v11, 2, v0
	v_readfirstlane_b32 s6, v5
	v_readfirstlane_b32 s7, v6
	ds_load_b32 v12, v11
	s_waitcnt lgkmcnt(0)
	global_store_b32 v11, v12, s[6:7]
.LBB749_133:
	s_or_b32 exec_lo, exec_lo, s4
.LBB749_134:
	s_and_not1_saveexec_b32 s2, s2
	s_cbranch_execz .LBB749_136
; %bb.135:
	v_lshlrev_b32_e32 v11, 2, v0
	v_readfirstlane_b32 s4, v7
	v_readfirstlane_b32 s5, v8
	ds_load_b32 v12, v11
	s_waitcnt lgkmcnt(0)
	global_store_b32 v11, v12, s[4:5]
.LBB749_136:
	s_or_b32 exec_lo, exec_lo, s2
	v_or_b32_e32 v11, 0x100, v0
	s_mov_b32 s2, exec_lo
	s_delay_alu instid0(VALU_DEP_1)
	v_cmpx_le_u32_e64 v1, v11
	s_xor_b32 s2, exec_lo, s2
	s_cbranch_execz .LBB749_142
; %bb.137:
	s_mov_b32 s4, exec_lo
	v_cmpx_le_u32_e64 v10, v11
	s_xor_b32 s4, exec_lo, s4
	s_cbranch_execz .LBB749_139
; %bb.138:
	v_lshlrev_b32_e32 v11, 2, v0
	ds_load_b32 v13, v11 offset:1024
	v_add_co_u32 v11, vcc_lo, v3, v0
	v_add_co_ci_u32_e32 v12, vcc_lo, 0, v9, vcc_lo
	s_delay_alu instid0(VALU_DEP_1) | instskip(NEXT) | instid1(VALU_DEP_1)
	v_lshlrev_b64 v[11:12], 2, v[11:12]
	v_sub_co_u32 v11, vcc_lo, s1, v11
	s_delay_alu instid0(VALU_DEP_2)
	v_sub_co_ci_u32_e32 v12, vcc_lo, s0, v12, vcc_lo
	s_waitcnt lgkmcnt(0)
	global_store_b32 v[11:12], v13, off offset:-1024
.LBB749_139:
	s_and_not1_saveexec_b32 s4, s4
	s_cbranch_execz .LBB749_141
; %bb.140:
	v_lshlrev_b32_e32 v11, 2, v0
	v_readfirstlane_b32 s6, v5
	v_readfirstlane_b32 s7, v6
	ds_load_b32 v12, v11 offset:1024
	s_waitcnt lgkmcnt(0)
	global_store_b32 v11, v12, s[6:7] offset:1024
.LBB749_141:
	s_or_b32 exec_lo, exec_lo, s4
.LBB749_142:
	s_and_not1_saveexec_b32 s2, s2
	s_cbranch_execz .LBB749_144
; %bb.143:
	v_lshlrev_b32_e32 v11, 2, v0
	v_readfirstlane_b32 s4, v7
	v_readfirstlane_b32 s5, v8
	ds_load_b32 v12, v11 offset:1024
	s_waitcnt lgkmcnt(0)
	global_store_b32 v11, v12, s[4:5] offset:1024
.LBB749_144:
	s_or_b32 exec_lo, exec_lo, s2
	v_or_b32_e32 v11, 0x200, v0
	s_mov_b32 s2, exec_lo
	s_delay_alu instid0(VALU_DEP_1)
	v_cmpx_le_u32_e64 v1, v11
	s_xor_b32 s2, exec_lo, s2
	s_cbranch_execz .LBB749_150
; %bb.145:
	s_mov_b32 s4, exec_lo
	v_cmpx_le_u32_e64 v10, v11
	s_xor_b32 s4, exec_lo, s4
	s_cbranch_execz .LBB749_147
; %bb.146:
	v_lshlrev_b32_e32 v11, 2, v0
	ds_load_b32 v13, v11 offset:2048
	v_add_co_u32 v11, vcc_lo, v3, v0
	v_add_co_ci_u32_e32 v12, vcc_lo, 0, v9, vcc_lo
	s_delay_alu instid0(VALU_DEP_1) | instskip(NEXT) | instid1(VALU_DEP_1)
	v_lshlrev_b64 v[11:12], 2, v[11:12]
	v_sub_co_u32 v11, vcc_lo, s1, v11
	s_delay_alu instid0(VALU_DEP_2)
	v_sub_co_ci_u32_e32 v12, vcc_lo, s0, v12, vcc_lo
	s_waitcnt lgkmcnt(0)
	global_store_b32 v[11:12], v13, off offset:-2048
.LBB749_147:
	s_and_not1_saveexec_b32 s4, s4
	s_cbranch_execz .LBB749_149
; %bb.148:
	v_lshlrev_b32_e32 v11, 2, v0
	v_readfirstlane_b32 s6, v5
	v_readfirstlane_b32 s7, v6
	ds_load_b32 v12, v11 offset:2048
	s_waitcnt lgkmcnt(0)
	global_store_b32 v11, v12, s[6:7] offset:2048
.LBB749_149:
	s_or_b32 exec_lo, exec_lo, s4
.LBB749_150:
	s_and_not1_saveexec_b32 s2, s2
	s_cbranch_execz .LBB749_152
; %bb.151:
	v_lshlrev_b32_e32 v11, 2, v0
	v_readfirstlane_b32 s4, v7
	v_readfirstlane_b32 s5, v8
	ds_load_b32 v12, v11 offset:2048
	s_waitcnt lgkmcnt(0)
	global_store_b32 v11, v12, s[4:5] offset:2048
.LBB749_152:
	;; [unrolled: 47-line block ×3, first 2 shown]
	s_or_b32 exec_lo, exec_lo, s2
	v_or_b32_e32 v11, 0x400, v0
	s_mov_b32 s2, exec_lo
	s_delay_alu instid0(VALU_DEP_1)
	v_cmpx_le_u32_e64 v1, v11
	s_xor_b32 s2, exec_lo, s2
	s_cbranch_execz .LBB749_166
; %bb.161:
	s_mov_b32 s4, exec_lo
	v_cmpx_le_u32_e64 v10, v11
	s_xor_b32 s4, exec_lo, s4
	s_cbranch_execz .LBB749_163
; %bb.162:
	v_lshlrev_b32_e32 v11, 2, v0
	ds_load_b32 v13, v11 offset:4096
	v_add_co_u32 v11, vcc_lo, v3, v0
	v_add_co_ci_u32_e32 v12, vcc_lo, 0, v9, vcc_lo
	s_delay_alu instid0(VALU_DEP_1) | instskip(NEXT) | instid1(VALU_DEP_1)
	v_lshlrev_b64 v[11:12], 2, v[11:12]
	v_sub_co_u32 v11, vcc_lo, s1, v11
	s_delay_alu instid0(VALU_DEP_2)
	v_sub_co_ci_u32_e32 v12, vcc_lo, s0, v12, vcc_lo
	s_waitcnt lgkmcnt(0)
	global_store_b32 v[11:12], v13, off offset:-4096
                                        ; implicit-def: $vgpr11
.LBB749_163:
	s_and_not1_saveexec_b32 s4, s4
	s_cbranch_execz .LBB749_165
; %bb.164:
	v_lshlrev_b32_e32 v12, 2, v0
	v_lshlrev_b32_e32 v11, 2, v11
	v_readfirstlane_b32 s6, v5
	v_readfirstlane_b32 s7, v6
	ds_load_b32 v12, v12 offset:4096
	s_waitcnt lgkmcnt(0)
	global_store_b32 v11, v12, s[6:7]
.LBB749_165:
	s_or_b32 exec_lo, exec_lo, s4
                                        ; implicit-def: $vgpr11
.LBB749_166:
	s_and_not1_saveexec_b32 s2, s2
	s_cbranch_execz .LBB749_168
; %bb.167:
	v_lshlrev_b32_e32 v12, 2, v0
	v_lshlrev_b32_e32 v11, 2, v11
	v_readfirstlane_b32 s4, v7
	v_readfirstlane_b32 s5, v8
	ds_load_b32 v12, v12 offset:4096
	s_waitcnt lgkmcnt(0)
	global_store_b32 v11, v12, s[4:5]
.LBB749_168:
	s_or_b32 exec_lo, exec_lo, s2
	v_or_b32_e32 v11, 0x500, v0
	s_mov_b32 s2, exec_lo
	s_delay_alu instid0(VALU_DEP_1)
	v_cmpx_le_u32_e64 v1, v11
	s_xor_b32 s2, exec_lo, s2
	s_cbranch_execz .LBB749_174
; %bb.169:
	s_mov_b32 s4, exec_lo
	v_cmpx_le_u32_e64 v10, v11
	s_xor_b32 s4, exec_lo, s4
	s_cbranch_execz .LBB749_171
; %bb.170:
	v_lshlrev_b32_e32 v12, 2, v0
	v_add_co_u32 v11, vcc_lo, v3, v11
	ds_load_b32 v13, v12 offset:5120
	v_add_co_ci_u32_e32 v12, vcc_lo, 0, v9, vcc_lo
	s_delay_alu instid0(VALU_DEP_1) | instskip(NEXT) | instid1(VALU_DEP_1)
	v_lshlrev_b64 v[11:12], 2, v[11:12]
	v_sub_co_u32 v11, vcc_lo, s1, v11
	s_delay_alu instid0(VALU_DEP_2)
	v_sub_co_ci_u32_e32 v12, vcc_lo, s0, v12, vcc_lo
	s_waitcnt lgkmcnt(0)
	global_store_b32 v[11:12], v13, off
                                        ; implicit-def: $vgpr11
.LBB749_171:
	s_and_not1_saveexec_b32 s4, s4
	s_cbranch_execz .LBB749_173
; %bb.172:
	v_lshlrev_b32_e32 v12, 2, v0
	v_lshlrev_b32_e32 v11, 2, v11
	v_readfirstlane_b32 s6, v5
	v_readfirstlane_b32 s7, v6
	ds_load_b32 v12, v12 offset:5120
	s_waitcnt lgkmcnt(0)
	global_store_b32 v11, v12, s[6:7]
.LBB749_173:
	s_or_b32 exec_lo, exec_lo, s4
                                        ; implicit-def: $vgpr11
.LBB749_174:
	s_and_not1_saveexec_b32 s2, s2
	s_cbranch_execz .LBB749_176
; %bb.175:
	v_lshlrev_b32_e32 v12, 2, v0
	v_lshlrev_b32_e32 v11, 2, v11
	v_readfirstlane_b32 s4, v7
	v_readfirstlane_b32 s5, v8
	ds_load_b32 v12, v12 offset:5120
	s_waitcnt lgkmcnt(0)
	global_store_b32 v11, v12, s[4:5]
.LBB749_176:
	s_or_b32 exec_lo, exec_lo, s2
	v_or_b32_e32 v11, 0x600, v0
	s_mov_b32 s2, exec_lo
	s_delay_alu instid0(VALU_DEP_1)
	v_cmpx_le_u32_e64 v1, v11
	s_xor_b32 s2, exec_lo, s2
	s_cbranch_execz .LBB749_182
; %bb.177:
	s_mov_b32 s4, exec_lo
	v_cmpx_le_u32_e64 v10, v11
	s_xor_b32 s4, exec_lo, s4
	s_cbranch_execz .LBB749_179
; %bb.178:
	v_lshlrev_b32_e32 v12, 2, v0
	v_add_co_u32 v11, vcc_lo, v3, v11
	ds_load_b32 v13, v12 offset:6144
	v_add_co_ci_u32_e32 v12, vcc_lo, 0, v9, vcc_lo
	s_delay_alu instid0(VALU_DEP_1) | instskip(NEXT) | instid1(VALU_DEP_1)
	v_lshlrev_b64 v[11:12], 2, v[11:12]
	v_sub_co_u32 v11, vcc_lo, s1, v11
	s_delay_alu instid0(VALU_DEP_2)
	v_sub_co_ci_u32_e32 v12, vcc_lo, s0, v12, vcc_lo
	s_waitcnt lgkmcnt(0)
	global_store_b32 v[11:12], v13, off
                                        ; implicit-def: $vgpr11
.LBB749_179:
	s_and_not1_saveexec_b32 s4, s4
	s_cbranch_execz .LBB749_181
; %bb.180:
	v_lshlrev_b32_e32 v12, 2, v0
	v_lshlrev_b32_e32 v11, 2, v11
	v_readfirstlane_b32 s6, v5
	v_readfirstlane_b32 s7, v6
	ds_load_b32 v12, v12 offset:6144
	s_waitcnt lgkmcnt(0)
	global_store_b32 v11, v12, s[6:7]
.LBB749_181:
	s_or_b32 exec_lo, exec_lo, s4
                                        ; implicit-def: $vgpr11
.LBB749_182:
	;; [unrolled: 51-line block ×8, first 2 shown]
	s_and_not1_saveexec_b32 s2, s2
	s_cbranch_execz .LBB749_232
; %bb.231:
	v_lshlrev_b32_e32 v12, 2, v0
	v_lshlrev_b32_e32 v11, 2, v11
	v_readfirstlane_b32 s4, v7
	v_readfirstlane_b32 s5, v8
	ds_load_b32 v12, v12 offset:12288
	s_waitcnt lgkmcnt(0)
	global_store_b32 v11, v12, s[4:5]
.LBB749_232:
	s_or_b32 exec_lo, exec_lo, s2
	s_branch .LBB749_126
.LBB749_233:
	s_mov_b32 s2, exec_lo
	v_cmpx_gt_u32_e64 s3, v0
	s_cbranch_execz .LBB749_242
; %bb.234:
	s_mov_b32 s4, exec_lo
	v_cmpx_le_u32_e64 v1, v0
	s_xor_b32 s4, exec_lo, s4
	s_cbranch_execz .LBB749_240
; %bb.235:
	s_mov_b32 s5, exec_lo
	v_cmpx_le_u32_e64 v10, v0
	s_xor_b32 s5, exec_lo, s5
	s_cbranch_execz .LBB749_237
; %bb.236:
	v_lshlrev_b32_e32 v11, 2, v0
	ds_load_b32 v13, v11
	v_add_co_u32 v11, vcc_lo, v3, v0
	v_add_co_ci_u32_e32 v12, vcc_lo, 0, v9, vcc_lo
	s_delay_alu instid0(VALU_DEP_1) | instskip(NEXT) | instid1(VALU_DEP_1)
	v_lshlrev_b64 v[11:12], 2, v[11:12]
	v_sub_co_u32 v11, vcc_lo, s26, v11
	s_delay_alu instid0(VALU_DEP_2)
	v_sub_co_ci_u32_e32 v12, vcc_lo, s27, v12, vcc_lo
	s_waitcnt lgkmcnt(0)
	global_store_b32 v[11:12], v13, off offset:-4
.LBB749_237:
	s_and_not1_saveexec_b32 s5, s5
	s_cbranch_execz .LBB749_239
; %bb.238:
	v_lshlrev_b32_e32 v11, 2, v0
	v_readfirstlane_b32 s6, v5
	v_readfirstlane_b32 s7, v6
	ds_load_b32 v12, v11
	s_waitcnt lgkmcnt(0)
	global_store_b32 v11, v12, s[6:7]
.LBB749_239:
	s_or_b32 exec_lo, exec_lo, s5
.LBB749_240:
	s_and_not1_saveexec_b32 s4, s4
	s_cbranch_execz .LBB749_242
; %bb.241:
	v_lshlrev_b32_e32 v11, 2, v0
	v_readfirstlane_b32 s4, v7
	v_readfirstlane_b32 s5, v8
	ds_load_b32 v12, v11
	s_waitcnt lgkmcnt(0)
	global_store_b32 v11, v12, s[4:5]
.LBB749_242:
	s_or_b32 exec_lo, exec_lo, s2
	v_or_b32_e32 v11, 0x100, v0
	s_mov_b32 s2, exec_lo
	s_delay_alu instid0(VALU_DEP_1)
	v_cmpx_gt_u32_e64 s3, v11
	s_cbranch_execz .LBB749_251
; %bb.243:
	s_mov_b32 s4, exec_lo
	v_cmpx_le_u32_e64 v1, v11
	s_xor_b32 s4, exec_lo, s4
	s_cbranch_execz .LBB749_249
; %bb.244:
	s_mov_b32 s5, exec_lo
	v_cmpx_le_u32_e64 v10, v11
	s_xor_b32 s5, exec_lo, s5
	s_cbranch_execz .LBB749_246
; %bb.245:
	v_lshlrev_b32_e32 v11, 2, v0
	ds_load_b32 v13, v11 offset:1024
	v_add_co_u32 v11, vcc_lo, v3, v0
	v_add_co_ci_u32_e32 v12, vcc_lo, 0, v9, vcc_lo
	s_delay_alu instid0(VALU_DEP_1) | instskip(NEXT) | instid1(VALU_DEP_1)
	v_lshlrev_b64 v[11:12], 2, v[11:12]
	v_sub_co_u32 v11, vcc_lo, s1, v11
	s_delay_alu instid0(VALU_DEP_2)
	v_sub_co_ci_u32_e32 v12, vcc_lo, s0, v12, vcc_lo
	s_waitcnt lgkmcnt(0)
	global_store_b32 v[11:12], v13, off offset:-1024
.LBB749_246:
	s_and_not1_saveexec_b32 s5, s5
	s_cbranch_execz .LBB749_248
; %bb.247:
	v_lshlrev_b32_e32 v11, 2, v0
	v_readfirstlane_b32 s6, v5
	v_readfirstlane_b32 s7, v6
	ds_load_b32 v12, v11 offset:1024
	s_waitcnt lgkmcnt(0)
	global_store_b32 v11, v12, s[6:7] offset:1024
.LBB749_248:
	s_or_b32 exec_lo, exec_lo, s5
.LBB749_249:
	s_and_not1_saveexec_b32 s4, s4
	s_cbranch_execz .LBB749_251
; %bb.250:
	v_lshlrev_b32_e32 v11, 2, v0
	v_readfirstlane_b32 s4, v7
	v_readfirstlane_b32 s5, v8
	ds_load_b32 v12, v11 offset:1024
	s_waitcnt lgkmcnt(0)
	global_store_b32 v11, v12, s[4:5] offset:1024
.LBB749_251:
	s_or_b32 exec_lo, exec_lo, s2
	v_or_b32_e32 v11, 0x200, v0
	s_mov_b32 s2, exec_lo
	s_delay_alu instid0(VALU_DEP_1)
	v_cmpx_gt_u32_e64 s3, v11
	s_cbranch_execz .LBB749_260
; %bb.252:
	s_mov_b32 s4, exec_lo
	v_cmpx_le_u32_e64 v1, v11
	s_xor_b32 s4, exec_lo, s4
	s_cbranch_execz .LBB749_258
; %bb.253:
	s_mov_b32 s5, exec_lo
	v_cmpx_le_u32_e64 v10, v11
	s_xor_b32 s5, exec_lo, s5
	s_cbranch_execz .LBB749_255
; %bb.254:
	v_lshlrev_b32_e32 v11, 2, v0
	ds_load_b32 v13, v11 offset:2048
	v_add_co_u32 v11, vcc_lo, v3, v0
	v_add_co_ci_u32_e32 v12, vcc_lo, 0, v9, vcc_lo
	s_delay_alu instid0(VALU_DEP_1) | instskip(NEXT) | instid1(VALU_DEP_1)
	v_lshlrev_b64 v[11:12], 2, v[11:12]
	v_sub_co_u32 v11, vcc_lo, s1, v11
	s_delay_alu instid0(VALU_DEP_2)
	v_sub_co_ci_u32_e32 v12, vcc_lo, s0, v12, vcc_lo
	s_waitcnt lgkmcnt(0)
	global_store_b32 v[11:12], v13, off offset:-2048
.LBB749_255:
	s_and_not1_saveexec_b32 s5, s5
	s_cbranch_execz .LBB749_257
; %bb.256:
	v_lshlrev_b32_e32 v11, 2, v0
	v_readfirstlane_b32 s6, v5
	v_readfirstlane_b32 s7, v6
	ds_load_b32 v12, v11 offset:2048
	s_waitcnt lgkmcnt(0)
	global_store_b32 v11, v12, s[6:7] offset:2048
.LBB749_257:
	s_or_b32 exec_lo, exec_lo, s5
.LBB749_258:
	s_and_not1_saveexec_b32 s4, s4
	s_cbranch_execz .LBB749_260
; %bb.259:
	v_lshlrev_b32_e32 v11, 2, v0
	v_readfirstlane_b32 s4, v7
	v_readfirstlane_b32 s5, v8
	ds_load_b32 v12, v11 offset:2048
	s_waitcnt lgkmcnt(0)
	global_store_b32 v11, v12, s[4:5] offset:2048
.LBB749_260:
	;; [unrolled: 51-line block ×3, first 2 shown]
	s_or_b32 exec_lo, exec_lo, s2
	v_or_b32_e32 v11, 0x400, v0
	s_mov_b32 s2, exec_lo
	s_delay_alu instid0(VALU_DEP_1)
	v_cmpx_gt_u32_e64 s3, v11
	s_cbranch_execz .LBB749_278
; %bb.270:
	s_mov_b32 s4, exec_lo
	v_cmpx_le_u32_e64 v1, v11
	s_xor_b32 s4, exec_lo, s4
	s_cbranch_execz .LBB749_276
; %bb.271:
	s_mov_b32 s5, exec_lo
	v_cmpx_le_u32_e64 v10, v11
	s_xor_b32 s5, exec_lo, s5
	s_cbranch_execz .LBB749_273
; %bb.272:
	v_lshlrev_b32_e32 v11, 2, v0
	ds_load_b32 v13, v11 offset:4096
	v_add_co_u32 v11, vcc_lo, v3, v0
	v_add_co_ci_u32_e32 v12, vcc_lo, 0, v9, vcc_lo
	s_delay_alu instid0(VALU_DEP_1) | instskip(NEXT) | instid1(VALU_DEP_1)
	v_lshlrev_b64 v[11:12], 2, v[11:12]
	v_sub_co_u32 v11, vcc_lo, s1, v11
	s_delay_alu instid0(VALU_DEP_2)
	v_sub_co_ci_u32_e32 v12, vcc_lo, s0, v12, vcc_lo
	s_waitcnt lgkmcnt(0)
	global_store_b32 v[11:12], v13, off offset:-4096
                                        ; implicit-def: $vgpr11
.LBB749_273:
	s_and_not1_saveexec_b32 s5, s5
	s_cbranch_execz .LBB749_275
; %bb.274:
	v_lshlrev_b32_e32 v12, 2, v0
	v_lshlrev_b32_e32 v11, 2, v11
	v_readfirstlane_b32 s6, v5
	v_readfirstlane_b32 s7, v6
	ds_load_b32 v12, v12 offset:4096
	s_waitcnt lgkmcnt(0)
	global_store_b32 v11, v12, s[6:7]
.LBB749_275:
	s_or_b32 exec_lo, exec_lo, s5
                                        ; implicit-def: $vgpr11
.LBB749_276:
	s_and_not1_saveexec_b32 s4, s4
	s_cbranch_execz .LBB749_278
; %bb.277:
	v_lshlrev_b32_e32 v12, 2, v0
	v_lshlrev_b32_e32 v11, 2, v11
	v_readfirstlane_b32 s4, v7
	v_readfirstlane_b32 s5, v8
	ds_load_b32 v12, v12 offset:4096
	s_waitcnt lgkmcnt(0)
	global_store_b32 v11, v12, s[4:5]
.LBB749_278:
	s_or_b32 exec_lo, exec_lo, s2
	v_or_b32_e32 v11, 0x500, v0
	s_mov_b32 s2, exec_lo
	s_delay_alu instid0(VALU_DEP_1)
	v_cmpx_gt_u32_e64 s3, v11
	s_cbranch_execz .LBB749_287
; %bb.279:
	s_mov_b32 s4, exec_lo
	v_cmpx_le_u32_e64 v1, v11
	s_xor_b32 s4, exec_lo, s4
	s_cbranch_execz .LBB749_285
; %bb.280:
	s_mov_b32 s5, exec_lo
	v_cmpx_le_u32_e64 v10, v11
	s_xor_b32 s5, exec_lo, s5
	s_cbranch_execz .LBB749_282
; %bb.281:
	v_lshlrev_b32_e32 v12, 2, v0
	v_add_co_u32 v11, vcc_lo, v3, v11
	ds_load_b32 v13, v12 offset:5120
	v_add_co_ci_u32_e32 v12, vcc_lo, 0, v9, vcc_lo
	s_delay_alu instid0(VALU_DEP_1) | instskip(NEXT) | instid1(VALU_DEP_1)
	v_lshlrev_b64 v[11:12], 2, v[11:12]
	v_sub_co_u32 v11, vcc_lo, s1, v11
	s_delay_alu instid0(VALU_DEP_2)
	v_sub_co_ci_u32_e32 v12, vcc_lo, s0, v12, vcc_lo
	s_waitcnt lgkmcnt(0)
	global_store_b32 v[11:12], v13, off
                                        ; implicit-def: $vgpr11
.LBB749_282:
	s_and_not1_saveexec_b32 s5, s5
	s_cbranch_execz .LBB749_284
; %bb.283:
	v_lshlrev_b32_e32 v12, 2, v0
	v_lshlrev_b32_e32 v11, 2, v11
	v_readfirstlane_b32 s6, v5
	v_readfirstlane_b32 s7, v6
	ds_load_b32 v12, v12 offset:5120
	s_waitcnt lgkmcnt(0)
	global_store_b32 v11, v12, s[6:7]
.LBB749_284:
	s_or_b32 exec_lo, exec_lo, s5
                                        ; implicit-def: $vgpr11
.LBB749_285:
	s_and_not1_saveexec_b32 s4, s4
	s_cbranch_execz .LBB749_287
; %bb.286:
	v_lshlrev_b32_e32 v12, 2, v0
	v_lshlrev_b32_e32 v11, 2, v11
	v_readfirstlane_b32 s4, v7
	v_readfirstlane_b32 s5, v8
	ds_load_b32 v12, v12 offset:5120
	s_waitcnt lgkmcnt(0)
	global_store_b32 v11, v12, s[4:5]
.LBB749_287:
	s_or_b32 exec_lo, exec_lo, s2
	v_or_b32_e32 v11, 0x600, v0
	s_mov_b32 s2, exec_lo
	s_delay_alu instid0(VALU_DEP_1)
	v_cmpx_gt_u32_e64 s3, v11
	s_cbranch_execz .LBB749_296
; %bb.288:
	s_mov_b32 s4, exec_lo
	v_cmpx_le_u32_e64 v1, v11
	s_xor_b32 s4, exec_lo, s4
	s_cbranch_execz .LBB749_294
; %bb.289:
	s_mov_b32 s5, exec_lo
	v_cmpx_le_u32_e64 v10, v11
	s_xor_b32 s5, exec_lo, s5
	s_cbranch_execz .LBB749_291
; %bb.290:
	v_lshlrev_b32_e32 v12, 2, v0
	v_add_co_u32 v11, vcc_lo, v3, v11
	ds_load_b32 v13, v12 offset:6144
	v_add_co_ci_u32_e32 v12, vcc_lo, 0, v9, vcc_lo
	s_delay_alu instid0(VALU_DEP_1) | instskip(NEXT) | instid1(VALU_DEP_1)
	v_lshlrev_b64 v[11:12], 2, v[11:12]
	v_sub_co_u32 v11, vcc_lo, s1, v11
	s_delay_alu instid0(VALU_DEP_2)
	v_sub_co_ci_u32_e32 v12, vcc_lo, s0, v12, vcc_lo
	s_waitcnt lgkmcnt(0)
	global_store_b32 v[11:12], v13, off
                                        ; implicit-def: $vgpr11
.LBB749_291:
	s_and_not1_saveexec_b32 s5, s5
	s_cbranch_execz .LBB749_293
; %bb.292:
	v_lshlrev_b32_e32 v12, 2, v0
	v_lshlrev_b32_e32 v11, 2, v11
	v_readfirstlane_b32 s6, v5
	v_readfirstlane_b32 s7, v6
	ds_load_b32 v12, v12 offset:6144
	s_waitcnt lgkmcnt(0)
	global_store_b32 v11, v12, s[6:7]
.LBB749_293:
	s_or_b32 exec_lo, exec_lo, s5
                                        ; implicit-def: $vgpr11
.LBB749_294:
	s_and_not1_saveexec_b32 s4, s4
	s_cbranch_execz .LBB749_296
; %bb.295:
	v_lshlrev_b32_e32 v12, 2, v0
	v_lshlrev_b32_e32 v11, 2, v11
	v_readfirstlane_b32 s4, v7
	v_readfirstlane_b32 s5, v8
	ds_load_b32 v12, v12 offset:6144
	s_waitcnt lgkmcnt(0)
	global_store_b32 v11, v12, s[4:5]
.LBB749_296:
	;; [unrolled: 55-line block ×7, first 2 shown]
	s_or_b32 exec_lo, exec_lo, s2
	v_or_b32_e32 v11, 0xc00, v0
	s_mov_b32 s2, exec_lo
	s_delay_alu instid0(VALU_DEP_1)
	v_cmpx_gt_u32_e64 s3, v11
	s_cbranch_execz .LBB749_350
; %bb.342:
	s_mov_b32 s3, exec_lo
	v_cmpx_le_u32_e64 v1, v11
	s_xor_b32 s3, exec_lo, s3
	s_cbranch_execz .LBB749_348
; %bb.343:
	s_mov_b32 s4, exec_lo
	v_cmpx_le_u32_e64 v10, v11
	s_xor_b32 s4, exec_lo, s4
	s_cbranch_execz .LBB749_345
; %bb.344:
	v_lshlrev_b32_e32 v5, 2, v0
	ds_load_b32 v7, v5 offset:12288
	v_add_co_u32 v5, vcc_lo, v3, v11
	v_add_co_ci_u32_e32 v6, vcc_lo, 0, v9, vcc_lo
                                        ; implicit-def: $vgpr11
	s_delay_alu instid0(VALU_DEP_1) | instskip(NEXT) | instid1(VALU_DEP_1)
	v_lshlrev_b64 v[5:6], 2, v[5:6]
	v_sub_co_u32 v5, vcc_lo, s1, v5
	s_delay_alu instid0(VALU_DEP_2)
	v_sub_co_ci_u32_e32 v6, vcc_lo, s0, v6, vcc_lo
	s_waitcnt lgkmcnt(0)
	global_store_b32 v[5:6], v7, off
                                        ; implicit-def: $vgpr5_vgpr6
.LBB749_345:
	s_and_not1_saveexec_b32 s0, s4
	s_cbranch_execz .LBB749_347
; %bb.346:
	v_lshlrev_b32_e32 v3, 2, v0
	v_lshlrev_b32_e32 v7, 2, v11
	v_readfirstlane_b32 s4, v5
	v_readfirstlane_b32 s5, v6
	ds_load_b32 v3, v3 offset:12288
	s_waitcnt lgkmcnt(0)
	global_store_b32 v7, v3, s[4:5]
.LBB749_347:
	s_or_b32 exec_lo, exec_lo, s0
                                        ; implicit-def: $vgpr11
                                        ; implicit-def: $vgpr7_vgpr8
.LBB749_348:
	s_and_not1_saveexec_b32 s0, s3
	s_cbranch_execz .LBB749_350
; %bb.349:
	v_lshlrev_b32_e32 v3, 2, v0
	v_lshlrev_b32_e32 v5, 2, v11
	v_readfirstlane_b32 s0, v7
	v_readfirstlane_b32 s1, v8
	ds_load_b32 v3, v3 offset:12288
	s_waitcnt lgkmcnt(0)
	global_store_b32 v5, v3, s[0:1]
.LBB749_350:
	s_or_b32 exec_lo, exec_lo, s2
	v_cmp_eq_u32_e32 vcc_lo, 0, v0
	s_and_b32 s0, vcc_lo, s14
	s_delay_alu instid0(SALU_CYCLE_1)
	s_and_saveexec_b32 s1, s0
	s_cbranch_execz .LBB749_127
.LBB749_351:
	v_add_co_u32 v2, s0, s30, v2
	s_delay_alu instid0(VALU_DEP_1) | instskip(SKIP_2) | instid1(VALU_DEP_4)
	v_add_co_ci_u32_e64 v3, null, s31, 0, s0
	v_add_co_u32 v0, vcc_lo, v18, v1
	v_add_co_ci_u32_e32 v1, vcc_lo, 0, v19, vcc_lo
	v_add_co_u32 v2, vcc_lo, v2, v4
	v_mov_b32_e32 v5, 0
	v_add_co_ci_u32_e32 v3, vcc_lo, 0, v3, vcc_lo
	global_store_b128 v5, v[0:3], s[24:25]
	s_nop 0
	s_sendmsg sendmsg(MSG_DEALLOC_VGPRS)
	s_endpgm
.LBB749_352:
	v_add_nc_u32_e32 v3, s7, v23
	s_add_i32 s10, s15, 32
	s_mov_b32 s11, 0
	v_dual_mov_b32 v5, 0 :: v_dual_add_nc_u32 v2, v22, v1
	s_lshl_b64 s[10:11], s[10:11], 4
	v_and_b32_e32 v20, 0xff0000, v3
	s_add_u32 s10, s4, s10
	s_addc_u32 s11, s5, s11
	v_and_b32_e32 v4, 0xff000000, v3
	s_delay_alu instid0(VALU_DEP_1) | instskip(SKIP_2) | instid1(VALU_DEP_1)
	v_or_b32_e32 v20, v20, v4
	v_dual_mov_b32 v4, 2 :: v_dual_and_b32 v21, 0xff00, v3
	v_and_b32_e32 v3, 0xff, v3
	v_or3_b32 v3, v20, v21, v3
	v_dual_mov_b32 v21, s11 :: v_dual_mov_b32 v20, s10
	;;#ASMSTART
	global_store_dwordx4 v[20:21], v[2:5] off	
s_waitcnt vmcnt(0)
	;;#ASMEND
	s_or_b32 exec_lo, exec_lo, s8
	s_and_saveexec_b32 s8, s2
	s_cbranch_execz .LBB749_111
.LBB749_353:
	v_mov_b32_e32 v2, s7
	v_add_nc_u32_e64 v3, 0x3400, 0
	ds_store_2addr_b32 v3, v1, v2 offset1:2
	ds_store_2addr_b32 v3, v22, v23 offset0:4 offset1:6
	s_or_b32 exec_lo, exec_lo, s8
	v_cmp_eq_u32_e32 vcc_lo, 0, v0
	s_and_b32 exec_lo, exec_lo, vcc_lo
	s_cbranch_execnz .LBB749_112
	s_branch .LBB749_113
	.section	.rodata,"a",@progbits
	.p2align	6, 0x0
	.amdhsa_kernel _ZN7rocprim17ROCPRIM_400000_NS6detail17trampoline_kernelINS0_13select_configILj256ELj13ELNS0_17block_load_methodE3ELS4_3ELS4_3ELNS0_20block_scan_algorithmE0ELj4294967295EEENS1_25partition_config_selectorILNS1_17partition_subalgoE4EjNS0_10empty_typeEbEEZZNS1_14partition_implILS8_4ELb0ES6_15HIP_vector_typeIjLj2EENS0_17counting_iteratorIjlEEPS9_SG_NS0_5tupleIJPjSI_NS0_16reverse_iteratorISI_EEEEENSH_IJSG_SG_SG_EEES9_SI_JZNS1_25segmented_radix_sort_implINS0_14default_configELb0EPKlPlSQ_SR_N2at6native12_GLOBAL__N_18offset_tEEE10hipError_tPvRmT1_PNSt15iterator_traitsISZ_E10value_typeET2_T3_PNS10_IS15_E10value_typeET4_jRbjT5_S1B_jjP12ihipStream_tbEUljE_ZNSN_ISO_Lb0ESQ_SR_SQ_SR_SV_EESW_SX_SY_SZ_S13_S14_S15_S18_S19_jS1A_jS1B_S1B_jjS1D_bEUljE0_EEESW_SX_SY_S15_S19_S1B_T6_T7_T9_mT8_S1D_bDpT10_ENKUlT_T0_E_clISt17integral_constantIbLb0EES1R_EEDaS1M_S1N_EUlS1M_E_NS1_11comp_targetILNS1_3genE9ELNS1_11target_archE1100ELNS1_3gpuE3ELNS1_3repE0EEENS1_30default_config_static_selectorELNS0_4arch9wavefront6targetE0EEEvSZ_
		.amdhsa_group_segment_fixed_size 13340
		.amdhsa_private_segment_fixed_size 0
		.amdhsa_kernarg_size 176
		.amdhsa_user_sgpr_count 15
		.amdhsa_user_sgpr_dispatch_ptr 0
		.amdhsa_user_sgpr_queue_ptr 0
		.amdhsa_user_sgpr_kernarg_segment_ptr 1
		.amdhsa_user_sgpr_dispatch_id 0
		.amdhsa_user_sgpr_private_segment_size 0
		.amdhsa_wavefront_size32 1
		.amdhsa_uses_dynamic_stack 0
		.amdhsa_enable_private_segment 0
		.amdhsa_system_sgpr_workgroup_id_x 1
		.amdhsa_system_sgpr_workgroup_id_y 0
		.amdhsa_system_sgpr_workgroup_id_z 0
		.amdhsa_system_sgpr_workgroup_info 0
		.amdhsa_system_vgpr_workitem_id 0
		.amdhsa_next_free_vgpr 98
		.amdhsa_next_free_sgpr 59
		.amdhsa_reserve_vcc 1
		.amdhsa_float_round_mode_32 0
		.amdhsa_float_round_mode_16_64 0
		.amdhsa_float_denorm_mode_32 3
		.amdhsa_float_denorm_mode_16_64 3
		.amdhsa_dx10_clamp 1
		.amdhsa_ieee_mode 1
		.amdhsa_fp16_overflow 0
		.amdhsa_workgroup_processor_mode 1
		.amdhsa_memory_ordered 1
		.amdhsa_forward_progress 0
		.amdhsa_shared_vgpr_count 0
		.amdhsa_exception_fp_ieee_invalid_op 0
		.amdhsa_exception_fp_denorm_src 0
		.amdhsa_exception_fp_ieee_div_zero 0
		.amdhsa_exception_fp_ieee_overflow 0
		.amdhsa_exception_fp_ieee_underflow 0
		.amdhsa_exception_fp_ieee_inexact 0
		.amdhsa_exception_int_div_zero 0
	.end_amdhsa_kernel
	.section	.text._ZN7rocprim17ROCPRIM_400000_NS6detail17trampoline_kernelINS0_13select_configILj256ELj13ELNS0_17block_load_methodE3ELS4_3ELS4_3ELNS0_20block_scan_algorithmE0ELj4294967295EEENS1_25partition_config_selectorILNS1_17partition_subalgoE4EjNS0_10empty_typeEbEEZZNS1_14partition_implILS8_4ELb0ES6_15HIP_vector_typeIjLj2EENS0_17counting_iteratorIjlEEPS9_SG_NS0_5tupleIJPjSI_NS0_16reverse_iteratorISI_EEEEENSH_IJSG_SG_SG_EEES9_SI_JZNS1_25segmented_radix_sort_implINS0_14default_configELb0EPKlPlSQ_SR_N2at6native12_GLOBAL__N_18offset_tEEE10hipError_tPvRmT1_PNSt15iterator_traitsISZ_E10value_typeET2_T3_PNS10_IS15_E10value_typeET4_jRbjT5_S1B_jjP12ihipStream_tbEUljE_ZNSN_ISO_Lb0ESQ_SR_SQ_SR_SV_EESW_SX_SY_SZ_S13_S14_S15_S18_S19_jS1A_jS1B_S1B_jjS1D_bEUljE0_EEESW_SX_SY_S15_S19_S1B_T6_T7_T9_mT8_S1D_bDpT10_ENKUlT_T0_E_clISt17integral_constantIbLb0EES1R_EEDaS1M_S1N_EUlS1M_E_NS1_11comp_targetILNS1_3genE9ELNS1_11target_archE1100ELNS1_3gpuE3ELNS1_3repE0EEENS1_30default_config_static_selectorELNS0_4arch9wavefront6targetE0EEEvSZ_,"axG",@progbits,_ZN7rocprim17ROCPRIM_400000_NS6detail17trampoline_kernelINS0_13select_configILj256ELj13ELNS0_17block_load_methodE3ELS4_3ELS4_3ELNS0_20block_scan_algorithmE0ELj4294967295EEENS1_25partition_config_selectorILNS1_17partition_subalgoE4EjNS0_10empty_typeEbEEZZNS1_14partition_implILS8_4ELb0ES6_15HIP_vector_typeIjLj2EENS0_17counting_iteratorIjlEEPS9_SG_NS0_5tupleIJPjSI_NS0_16reverse_iteratorISI_EEEEENSH_IJSG_SG_SG_EEES9_SI_JZNS1_25segmented_radix_sort_implINS0_14default_configELb0EPKlPlSQ_SR_N2at6native12_GLOBAL__N_18offset_tEEE10hipError_tPvRmT1_PNSt15iterator_traitsISZ_E10value_typeET2_T3_PNS10_IS15_E10value_typeET4_jRbjT5_S1B_jjP12ihipStream_tbEUljE_ZNSN_ISO_Lb0ESQ_SR_SQ_SR_SV_EESW_SX_SY_SZ_S13_S14_S15_S18_S19_jS1A_jS1B_S1B_jjS1D_bEUljE0_EEESW_SX_SY_S15_S19_S1B_T6_T7_T9_mT8_S1D_bDpT10_ENKUlT_T0_E_clISt17integral_constantIbLb0EES1R_EEDaS1M_S1N_EUlS1M_E_NS1_11comp_targetILNS1_3genE9ELNS1_11target_archE1100ELNS1_3gpuE3ELNS1_3repE0EEENS1_30default_config_static_selectorELNS0_4arch9wavefront6targetE0EEEvSZ_,comdat
.Lfunc_end749:
	.size	_ZN7rocprim17ROCPRIM_400000_NS6detail17trampoline_kernelINS0_13select_configILj256ELj13ELNS0_17block_load_methodE3ELS4_3ELS4_3ELNS0_20block_scan_algorithmE0ELj4294967295EEENS1_25partition_config_selectorILNS1_17partition_subalgoE4EjNS0_10empty_typeEbEEZZNS1_14partition_implILS8_4ELb0ES6_15HIP_vector_typeIjLj2EENS0_17counting_iteratorIjlEEPS9_SG_NS0_5tupleIJPjSI_NS0_16reverse_iteratorISI_EEEEENSH_IJSG_SG_SG_EEES9_SI_JZNS1_25segmented_radix_sort_implINS0_14default_configELb0EPKlPlSQ_SR_N2at6native12_GLOBAL__N_18offset_tEEE10hipError_tPvRmT1_PNSt15iterator_traitsISZ_E10value_typeET2_T3_PNS10_IS15_E10value_typeET4_jRbjT5_S1B_jjP12ihipStream_tbEUljE_ZNSN_ISO_Lb0ESQ_SR_SQ_SR_SV_EESW_SX_SY_SZ_S13_S14_S15_S18_S19_jS1A_jS1B_S1B_jjS1D_bEUljE0_EEESW_SX_SY_S15_S19_S1B_T6_T7_T9_mT8_S1D_bDpT10_ENKUlT_T0_E_clISt17integral_constantIbLb0EES1R_EEDaS1M_S1N_EUlS1M_E_NS1_11comp_targetILNS1_3genE9ELNS1_11target_archE1100ELNS1_3gpuE3ELNS1_3repE0EEENS1_30default_config_static_selectorELNS0_4arch9wavefront6targetE0EEEvSZ_, .Lfunc_end749-_ZN7rocprim17ROCPRIM_400000_NS6detail17trampoline_kernelINS0_13select_configILj256ELj13ELNS0_17block_load_methodE3ELS4_3ELS4_3ELNS0_20block_scan_algorithmE0ELj4294967295EEENS1_25partition_config_selectorILNS1_17partition_subalgoE4EjNS0_10empty_typeEbEEZZNS1_14partition_implILS8_4ELb0ES6_15HIP_vector_typeIjLj2EENS0_17counting_iteratorIjlEEPS9_SG_NS0_5tupleIJPjSI_NS0_16reverse_iteratorISI_EEEEENSH_IJSG_SG_SG_EEES9_SI_JZNS1_25segmented_radix_sort_implINS0_14default_configELb0EPKlPlSQ_SR_N2at6native12_GLOBAL__N_18offset_tEEE10hipError_tPvRmT1_PNSt15iterator_traitsISZ_E10value_typeET2_T3_PNS10_IS15_E10value_typeET4_jRbjT5_S1B_jjP12ihipStream_tbEUljE_ZNSN_ISO_Lb0ESQ_SR_SQ_SR_SV_EESW_SX_SY_SZ_S13_S14_S15_S18_S19_jS1A_jS1B_S1B_jjS1D_bEUljE0_EEESW_SX_SY_S15_S19_S1B_T6_T7_T9_mT8_S1D_bDpT10_ENKUlT_T0_E_clISt17integral_constantIbLb0EES1R_EEDaS1M_S1N_EUlS1M_E_NS1_11comp_targetILNS1_3genE9ELNS1_11target_archE1100ELNS1_3gpuE3ELNS1_3repE0EEENS1_30default_config_static_selectorELNS0_4arch9wavefront6targetE0EEEvSZ_
                                        ; -- End function
	.section	.AMDGPU.csdata,"",@progbits
; Kernel info:
; codeLenInByte = 14984
; NumSgprs: 61
; NumVgprs: 98
; ScratchSize: 0
; MemoryBound: 0
; FloatMode: 240
; IeeeMode: 1
; LDSByteSize: 13340 bytes/workgroup (compile time only)
; SGPRBlocks: 7
; VGPRBlocks: 12
; NumSGPRsForWavesPerEU: 61
; NumVGPRsForWavesPerEU: 98
; Occupancy: 12
; WaveLimiterHint : 1
; COMPUTE_PGM_RSRC2:SCRATCH_EN: 0
; COMPUTE_PGM_RSRC2:USER_SGPR: 15
; COMPUTE_PGM_RSRC2:TRAP_HANDLER: 0
; COMPUTE_PGM_RSRC2:TGID_X_EN: 1
; COMPUTE_PGM_RSRC2:TGID_Y_EN: 0
; COMPUTE_PGM_RSRC2:TGID_Z_EN: 0
; COMPUTE_PGM_RSRC2:TIDIG_COMP_CNT: 0
	.section	.text._ZN7rocprim17ROCPRIM_400000_NS6detail17trampoline_kernelINS0_13select_configILj256ELj13ELNS0_17block_load_methodE3ELS4_3ELS4_3ELNS0_20block_scan_algorithmE0ELj4294967295EEENS1_25partition_config_selectorILNS1_17partition_subalgoE4EjNS0_10empty_typeEbEEZZNS1_14partition_implILS8_4ELb0ES6_15HIP_vector_typeIjLj2EENS0_17counting_iteratorIjlEEPS9_SG_NS0_5tupleIJPjSI_NS0_16reverse_iteratorISI_EEEEENSH_IJSG_SG_SG_EEES9_SI_JZNS1_25segmented_radix_sort_implINS0_14default_configELb0EPKlPlSQ_SR_N2at6native12_GLOBAL__N_18offset_tEEE10hipError_tPvRmT1_PNSt15iterator_traitsISZ_E10value_typeET2_T3_PNS10_IS15_E10value_typeET4_jRbjT5_S1B_jjP12ihipStream_tbEUljE_ZNSN_ISO_Lb0ESQ_SR_SQ_SR_SV_EESW_SX_SY_SZ_S13_S14_S15_S18_S19_jS1A_jS1B_S1B_jjS1D_bEUljE0_EEESW_SX_SY_S15_S19_S1B_T6_T7_T9_mT8_S1D_bDpT10_ENKUlT_T0_E_clISt17integral_constantIbLb0EES1R_EEDaS1M_S1N_EUlS1M_E_NS1_11comp_targetILNS1_3genE8ELNS1_11target_archE1030ELNS1_3gpuE2ELNS1_3repE0EEENS1_30default_config_static_selectorELNS0_4arch9wavefront6targetE0EEEvSZ_,"axG",@progbits,_ZN7rocprim17ROCPRIM_400000_NS6detail17trampoline_kernelINS0_13select_configILj256ELj13ELNS0_17block_load_methodE3ELS4_3ELS4_3ELNS0_20block_scan_algorithmE0ELj4294967295EEENS1_25partition_config_selectorILNS1_17partition_subalgoE4EjNS0_10empty_typeEbEEZZNS1_14partition_implILS8_4ELb0ES6_15HIP_vector_typeIjLj2EENS0_17counting_iteratorIjlEEPS9_SG_NS0_5tupleIJPjSI_NS0_16reverse_iteratorISI_EEEEENSH_IJSG_SG_SG_EEES9_SI_JZNS1_25segmented_radix_sort_implINS0_14default_configELb0EPKlPlSQ_SR_N2at6native12_GLOBAL__N_18offset_tEEE10hipError_tPvRmT1_PNSt15iterator_traitsISZ_E10value_typeET2_T3_PNS10_IS15_E10value_typeET4_jRbjT5_S1B_jjP12ihipStream_tbEUljE_ZNSN_ISO_Lb0ESQ_SR_SQ_SR_SV_EESW_SX_SY_SZ_S13_S14_S15_S18_S19_jS1A_jS1B_S1B_jjS1D_bEUljE0_EEESW_SX_SY_S15_S19_S1B_T6_T7_T9_mT8_S1D_bDpT10_ENKUlT_T0_E_clISt17integral_constantIbLb0EES1R_EEDaS1M_S1N_EUlS1M_E_NS1_11comp_targetILNS1_3genE8ELNS1_11target_archE1030ELNS1_3gpuE2ELNS1_3repE0EEENS1_30default_config_static_selectorELNS0_4arch9wavefront6targetE0EEEvSZ_,comdat
	.globl	_ZN7rocprim17ROCPRIM_400000_NS6detail17trampoline_kernelINS0_13select_configILj256ELj13ELNS0_17block_load_methodE3ELS4_3ELS4_3ELNS0_20block_scan_algorithmE0ELj4294967295EEENS1_25partition_config_selectorILNS1_17partition_subalgoE4EjNS0_10empty_typeEbEEZZNS1_14partition_implILS8_4ELb0ES6_15HIP_vector_typeIjLj2EENS0_17counting_iteratorIjlEEPS9_SG_NS0_5tupleIJPjSI_NS0_16reverse_iteratorISI_EEEEENSH_IJSG_SG_SG_EEES9_SI_JZNS1_25segmented_radix_sort_implINS0_14default_configELb0EPKlPlSQ_SR_N2at6native12_GLOBAL__N_18offset_tEEE10hipError_tPvRmT1_PNSt15iterator_traitsISZ_E10value_typeET2_T3_PNS10_IS15_E10value_typeET4_jRbjT5_S1B_jjP12ihipStream_tbEUljE_ZNSN_ISO_Lb0ESQ_SR_SQ_SR_SV_EESW_SX_SY_SZ_S13_S14_S15_S18_S19_jS1A_jS1B_S1B_jjS1D_bEUljE0_EEESW_SX_SY_S15_S19_S1B_T6_T7_T9_mT8_S1D_bDpT10_ENKUlT_T0_E_clISt17integral_constantIbLb0EES1R_EEDaS1M_S1N_EUlS1M_E_NS1_11comp_targetILNS1_3genE8ELNS1_11target_archE1030ELNS1_3gpuE2ELNS1_3repE0EEENS1_30default_config_static_selectorELNS0_4arch9wavefront6targetE0EEEvSZ_ ; -- Begin function _ZN7rocprim17ROCPRIM_400000_NS6detail17trampoline_kernelINS0_13select_configILj256ELj13ELNS0_17block_load_methodE3ELS4_3ELS4_3ELNS0_20block_scan_algorithmE0ELj4294967295EEENS1_25partition_config_selectorILNS1_17partition_subalgoE4EjNS0_10empty_typeEbEEZZNS1_14partition_implILS8_4ELb0ES6_15HIP_vector_typeIjLj2EENS0_17counting_iteratorIjlEEPS9_SG_NS0_5tupleIJPjSI_NS0_16reverse_iteratorISI_EEEEENSH_IJSG_SG_SG_EEES9_SI_JZNS1_25segmented_radix_sort_implINS0_14default_configELb0EPKlPlSQ_SR_N2at6native12_GLOBAL__N_18offset_tEEE10hipError_tPvRmT1_PNSt15iterator_traitsISZ_E10value_typeET2_T3_PNS10_IS15_E10value_typeET4_jRbjT5_S1B_jjP12ihipStream_tbEUljE_ZNSN_ISO_Lb0ESQ_SR_SQ_SR_SV_EESW_SX_SY_SZ_S13_S14_S15_S18_S19_jS1A_jS1B_S1B_jjS1D_bEUljE0_EEESW_SX_SY_S15_S19_S1B_T6_T7_T9_mT8_S1D_bDpT10_ENKUlT_T0_E_clISt17integral_constantIbLb0EES1R_EEDaS1M_S1N_EUlS1M_E_NS1_11comp_targetILNS1_3genE8ELNS1_11target_archE1030ELNS1_3gpuE2ELNS1_3repE0EEENS1_30default_config_static_selectorELNS0_4arch9wavefront6targetE0EEEvSZ_
	.p2align	8
	.type	_ZN7rocprim17ROCPRIM_400000_NS6detail17trampoline_kernelINS0_13select_configILj256ELj13ELNS0_17block_load_methodE3ELS4_3ELS4_3ELNS0_20block_scan_algorithmE0ELj4294967295EEENS1_25partition_config_selectorILNS1_17partition_subalgoE4EjNS0_10empty_typeEbEEZZNS1_14partition_implILS8_4ELb0ES6_15HIP_vector_typeIjLj2EENS0_17counting_iteratorIjlEEPS9_SG_NS0_5tupleIJPjSI_NS0_16reverse_iteratorISI_EEEEENSH_IJSG_SG_SG_EEES9_SI_JZNS1_25segmented_radix_sort_implINS0_14default_configELb0EPKlPlSQ_SR_N2at6native12_GLOBAL__N_18offset_tEEE10hipError_tPvRmT1_PNSt15iterator_traitsISZ_E10value_typeET2_T3_PNS10_IS15_E10value_typeET4_jRbjT5_S1B_jjP12ihipStream_tbEUljE_ZNSN_ISO_Lb0ESQ_SR_SQ_SR_SV_EESW_SX_SY_SZ_S13_S14_S15_S18_S19_jS1A_jS1B_S1B_jjS1D_bEUljE0_EEESW_SX_SY_S15_S19_S1B_T6_T7_T9_mT8_S1D_bDpT10_ENKUlT_T0_E_clISt17integral_constantIbLb0EES1R_EEDaS1M_S1N_EUlS1M_E_NS1_11comp_targetILNS1_3genE8ELNS1_11target_archE1030ELNS1_3gpuE2ELNS1_3repE0EEENS1_30default_config_static_selectorELNS0_4arch9wavefront6targetE0EEEvSZ_,@function
_ZN7rocprim17ROCPRIM_400000_NS6detail17trampoline_kernelINS0_13select_configILj256ELj13ELNS0_17block_load_methodE3ELS4_3ELS4_3ELNS0_20block_scan_algorithmE0ELj4294967295EEENS1_25partition_config_selectorILNS1_17partition_subalgoE4EjNS0_10empty_typeEbEEZZNS1_14partition_implILS8_4ELb0ES6_15HIP_vector_typeIjLj2EENS0_17counting_iteratorIjlEEPS9_SG_NS0_5tupleIJPjSI_NS0_16reverse_iteratorISI_EEEEENSH_IJSG_SG_SG_EEES9_SI_JZNS1_25segmented_radix_sort_implINS0_14default_configELb0EPKlPlSQ_SR_N2at6native12_GLOBAL__N_18offset_tEEE10hipError_tPvRmT1_PNSt15iterator_traitsISZ_E10value_typeET2_T3_PNS10_IS15_E10value_typeET4_jRbjT5_S1B_jjP12ihipStream_tbEUljE_ZNSN_ISO_Lb0ESQ_SR_SQ_SR_SV_EESW_SX_SY_SZ_S13_S14_S15_S18_S19_jS1A_jS1B_S1B_jjS1D_bEUljE0_EEESW_SX_SY_S15_S19_S1B_T6_T7_T9_mT8_S1D_bDpT10_ENKUlT_T0_E_clISt17integral_constantIbLb0EES1R_EEDaS1M_S1N_EUlS1M_E_NS1_11comp_targetILNS1_3genE8ELNS1_11target_archE1030ELNS1_3gpuE2ELNS1_3repE0EEENS1_30default_config_static_selectorELNS0_4arch9wavefront6targetE0EEEvSZ_: ; @_ZN7rocprim17ROCPRIM_400000_NS6detail17trampoline_kernelINS0_13select_configILj256ELj13ELNS0_17block_load_methodE3ELS4_3ELS4_3ELNS0_20block_scan_algorithmE0ELj4294967295EEENS1_25partition_config_selectorILNS1_17partition_subalgoE4EjNS0_10empty_typeEbEEZZNS1_14partition_implILS8_4ELb0ES6_15HIP_vector_typeIjLj2EENS0_17counting_iteratorIjlEEPS9_SG_NS0_5tupleIJPjSI_NS0_16reverse_iteratorISI_EEEEENSH_IJSG_SG_SG_EEES9_SI_JZNS1_25segmented_radix_sort_implINS0_14default_configELb0EPKlPlSQ_SR_N2at6native12_GLOBAL__N_18offset_tEEE10hipError_tPvRmT1_PNSt15iterator_traitsISZ_E10value_typeET2_T3_PNS10_IS15_E10value_typeET4_jRbjT5_S1B_jjP12ihipStream_tbEUljE_ZNSN_ISO_Lb0ESQ_SR_SQ_SR_SV_EESW_SX_SY_SZ_S13_S14_S15_S18_S19_jS1A_jS1B_S1B_jjS1D_bEUljE0_EEESW_SX_SY_S15_S19_S1B_T6_T7_T9_mT8_S1D_bDpT10_ENKUlT_T0_E_clISt17integral_constantIbLb0EES1R_EEDaS1M_S1N_EUlS1M_E_NS1_11comp_targetILNS1_3genE8ELNS1_11target_archE1030ELNS1_3gpuE2ELNS1_3repE0EEENS1_30default_config_static_selectorELNS0_4arch9wavefront6targetE0EEEvSZ_
; %bb.0:
	.section	.rodata,"a",@progbits
	.p2align	6, 0x0
	.amdhsa_kernel _ZN7rocprim17ROCPRIM_400000_NS6detail17trampoline_kernelINS0_13select_configILj256ELj13ELNS0_17block_load_methodE3ELS4_3ELS4_3ELNS0_20block_scan_algorithmE0ELj4294967295EEENS1_25partition_config_selectorILNS1_17partition_subalgoE4EjNS0_10empty_typeEbEEZZNS1_14partition_implILS8_4ELb0ES6_15HIP_vector_typeIjLj2EENS0_17counting_iteratorIjlEEPS9_SG_NS0_5tupleIJPjSI_NS0_16reverse_iteratorISI_EEEEENSH_IJSG_SG_SG_EEES9_SI_JZNS1_25segmented_radix_sort_implINS0_14default_configELb0EPKlPlSQ_SR_N2at6native12_GLOBAL__N_18offset_tEEE10hipError_tPvRmT1_PNSt15iterator_traitsISZ_E10value_typeET2_T3_PNS10_IS15_E10value_typeET4_jRbjT5_S1B_jjP12ihipStream_tbEUljE_ZNSN_ISO_Lb0ESQ_SR_SQ_SR_SV_EESW_SX_SY_SZ_S13_S14_S15_S18_S19_jS1A_jS1B_S1B_jjS1D_bEUljE0_EEESW_SX_SY_S15_S19_S1B_T6_T7_T9_mT8_S1D_bDpT10_ENKUlT_T0_E_clISt17integral_constantIbLb0EES1R_EEDaS1M_S1N_EUlS1M_E_NS1_11comp_targetILNS1_3genE8ELNS1_11target_archE1030ELNS1_3gpuE2ELNS1_3repE0EEENS1_30default_config_static_selectorELNS0_4arch9wavefront6targetE0EEEvSZ_
		.amdhsa_group_segment_fixed_size 0
		.amdhsa_private_segment_fixed_size 0
		.amdhsa_kernarg_size 176
		.amdhsa_user_sgpr_count 15
		.amdhsa_user_sgpr_dispatch_ptr 0
		.amdhsa_user_sgpr_queue_ptr 0
		.amdhsa_user_sgpr_kernarg_segment_ptr 1
		.amdhsa_user_sgpr_dispatch_id 0
		.amdhsa_user_sgpr_private_segment_size 0
		.amdhsa_wavefront_size32 1
		.amdhsa_uses_dynamic_stack 0
		.amdhsa_enable_private_segment 0
		.amdhsa_system_sgpr_workgroup_id_x 1
		.amdhsa_system_sgpr_workgroup_id_y 0
		.amdhsa_system_sgpr_workgroup_id_z 0
		.amdhsa_system_sgpr_workgroup_info 0
		.amdhsa_system_vgpr_workitem_id 0
		.amdhsa_next_free_vgpr 1
		.amdhsa_next_free_sgpr 1
		.amdhsa_reserve_vcc 0
		.amdhsa_float_round_mode_32 0
		.amdhsa_float_round_mode_16_64 0
		.amdhsa_float_denorm_mode_32 3
		.amdhsa_float_denorm_mode_16_64 3
		.amdhsa_dx10_clamp 1
		.amdhsa_ieee_mode 1
		.amdhsa_fp16_overflow 0
		.amdhsa_workgroup_processor_mode 1
		.amdhsa_memory_ordered 1
		.amdhsa_forward_progress 0
		.amdhsa_shared_vgpr_count 0
		.amdhsa_exception_fp_ieee_invalid_op 0
		.amdhsa_exception_fp_denorm_src 0
		.amdhsa_exception_fp_ieee_div_zero 0
		.amdhsa_exception_fp_ieee_overflow 0
		.amdhsa_exception_fp_ieee_underflow 0
		.amdhsa_exception_fp_ieee_inexact 0
		.amdhsa_exception_int_div_zero 0
	.end_amdhsa_kernel
	.section	.text._ZN7rocprim17ROCPRIM_400000_NS6detail17trampoline_kernelINS0_13select_configILj256ELj13ELNS0_17block_load_methodE3ELS4_3ELS4_3ELNS0_20block_scan_algorithmE0ELj4294967295EEENS1_25partition_config_selectorILNS1_17partition_subalgoE4EjNS0_10empty_typeEbEEZZNS1_14partition_implILS8_4ELb0ES6_15HIP_vector_typeIjLj2EENS0_17counting_iteratorIjlEEPS9_SG_NS0_5tupleIJPjSI_NS0_16reverse_iteratorISI_EEEEENSH_IJSG_SG_SG_EEES9_SI_JZNS1_25segmented_radix_sort_implINS0_14default_configELb0EPKlPlSQ_SR_N2at6native12_GLOBAL__N_18offset_tEEE10hipError_tPvRmT1_PNSt15iterator_traitsISZ_E10value_typeET2_T3_PNS10_IS15_E10value_typeET4_jRbjT5_S1B_jjP12ihipStream_tbEUljE_ZNSN_ISO_Lb0ESQ_SR_SQ_SR_SV_EESW_SX_SY_SZ_S13_S14_S15_S18_S19_jS1A_jS1B_S1B_jjS1D_bEUljE0_EEESW_SX_SY_S15_S19_S1B_T6_T7_T9_mT8_S1D_bDpT10_ENKUlT_T0_E_clISt17integral_constantIbLb0EES1R_EEDaS1M_S1N_EUlS1M_E_NS1_11comp_targetILNS1_3genE8ELNS1_11target_archE1030ELNS1_3gpuE2ELNS1_3repE0EEENS1_30default_config_static_selectorELNS0_4arch9wavefront6targetE0EEEvSZ_,"axG",@progbits,_ZN7rocprim17ROCPRIM_400000_NS6detail17trampoline_kernelINS0_13select_configILj256ELj13ELNS0_17block_load_methodE3ELS4_3ELS4_3ELNS0_20block_scan_algorithmE0ELj4294967295EEENS1_25partition_config_selectorILNS1_17partition_subalgoE4EjNS0_10empty_typeEbEEZZNS1_14partition_implILS8_4ELb0ES6_15HIP_vector_typeIjLj2EENS0_17counting_iteratorIjlEEPS9_SG_NS0_5tupleIJPjSI_NS0_16reverse_iteratorISI_EEEEENSH_IJSG_SG_SG_EEES9_SI_JZNS1_25segmented_radix_sort_implINS0_14default_configELb0EPKlPlSQ_SR_N2at6native12_GLOBAL__N_18offset_tEEE10hipError_tPvRmT1_PNSt15iterator_traitsISZ_E10value_typeET2_T3_PNS10_IS15_E10value_typeET4_jRbjT5_S1B_jjP12ihipStream_tbEUljE_ZNSN_ISO_Lb0ESQ_SR_SQ_SR_SV_EESW_SX_SY_SZ_S13_S14_S15_S18_S19_jS1A_jS1B_S1B_jjS1D_bEUljE0_EEESW_SX_SY_S15_S19_S1B_T6_T7_T9_mT8_S1D_bDpT10_ENKUlT_T0_E_clISt17integral_constantIbLb0EES1R_EEDaS1M_S1N_EUlS1M_E_NS1_11comp_targetILNS1_3genE8ELNS1_11target_archE1030ELNS1_3gpuE2ELNS1_3repE0EEENS1_30default_config_static_selectorELNS0_4arch9wavefront6targetE0EEEvSZ_,comdat
.Lfunc_end750:
	.size	_ZN7rocprim17ROCPRIM_400000_NS6detail17trampoline_kernelINS0_13select_configILj256ELj13ELNS0_17block_load_methodE3ELS4_3ELS4_3ELNS0_20block_scan_algorithmE0ELj4294967295EEENS1_25partition_config_selectorILNS1_17partition_subalgoE4EjNS0_10empty_typeEbEEZZNS1_14partition_implILS8_4ELb0ES6_15HIP_vector_typeIjLj2EENS0_17counting_iteratorIjlEEPS9_SG_NS0_5tupleIJPjSI_NS0_16reverse_iteratorISI_EEEEENSH_IJSG_SG_SG_EEES9_SI_JZNS1_25segmented_radix_sort_implINS0_14default_configELb0EPKlPlSQ_SR_N2at6native12_GLOBAL__N_18offset_tEEE10hipError_tPvRmT1_PNSt15iterator_traitsISZ_E10value_typeET2_T3_PNS10_IS15_E10value_typeET4_jRbjT5_S1B_jjP12ihipStream_tbEUljE_ZNSN_ISO_Lb0ESQ_SR_SQ_SR_SV_EESW_SX_SY_SZ_S13_S14_S15_S18_S19_jS1A_jS1B_S1B_jjS1D_bEUljE0_EEESW_SX_SY_S15_S19_S1B_T6_T7_T9_mT8_S1D_bDpT10_ENKUlT_T0_E_clISt17integral_constantIbLb0EES1R_EEDaS1M_S1N_EUlS1M_E_NS1_11comp_targetILNS1_3genE8ELNS1_11target_archE1030ELNS1_3gpuE2ELNS1_3repE0EEENS1_30default_config_static_selectorELNS0_4arch9wavefront6targetE0EEEvSZ_, .Lfunc_end750-_ZN7rocprim17ROCPRIM_400000_NS6detail17trampoline_kernelINS0_13select_configILj256ELj13ELNS0_17block_load_methodE3ELS4_3ELS4_3ELNS0_20block_scan_algorithmE0ELj4294967295EEENS1_25partition_config_selectorILNS1_17partition_subalgoE4EjNS0_10empty_typeEbEEZZNS1_14partition_implILS8_4ELb0ES6_15HIP_vector_typeIjLj2EENS0_17counting_iteratorIjlEEPS9_SG_NS0_5tupleIJPjSI_NS0_16reverse_iteratorISI_EEEEENSH_IJSG_SG_SG_EEES9_SI_JZNS1_25segmented_radix_sort_implINS0_14default_configELb0EPKlPlSQ_SR_N2at6native12_GLOBAL__N_18offset_tEEE10hipError_tPvRmT1_PNSt15iterator_traitsISZ_E10value_typeET2_T3_PNS10_IS15_E10value_typeET4_jRbjT5_S1B_jjP12ihipStream_tbEUljE_ZNSN_ISO_Lb0ESQ_SR_SQ_SR_SV_EESW_SX_SY_SZ_S13_S14_S15_S18_S19_jS1A_jS1B_S1B_jjS1D_bEUljE0_EEESW_SX_SY_S15_S19_S1B_T6_T7_T9_mT8_S1D_bDpT10_ENKUlT_T0_E_clISt17integral_constantIbLb0EES1R_EEDaS1M_S1N_EUlS1M_E_NS1_11comp_targetILNS1_3genE8ELNS1_11target_archE1030ELNS1_3gpuE2ELNS1_3repE0EEENS1_30default_config_static_selectorELNS0_4arch9wavefront6targetE0EEEvSZ_
                                        ; -- End function
	.section	.AMDGPU.csdata,"",@progbits
; Kernel info:
; codeLenInByte = 0
; NumSgprs: 0
; NumVgprs: 0
; ScratchSize: 0
; MemoryBound: 0
; FloatMode: 240
; IeeeMode: 1
; LDSByteSize: 0 bytes/workgroup (compile time only)
; SGPRBlocks: 0
; VGPRBlocks: 0
; NumSGPRsForWavesPerEU: 1
; NumVGPRsForWavesPerEU: 1
; Occupancy: 16
; WaveLimiterHint : 0
; COMPUTE_PGM_RSRC2:SCRATCH_EN: 0
; COMPUTE_PGM_RSRC2:USER_SGPR: 15
; COMPUTE_PGM_RSRC2:TRAP_HANDLER: 0
; COMPUTE_PGM_RSRC2:TGID_X_EN: 1
; COMPUTE_PGM_RSRC2:TGID_Y_EN: 0
; COMPUTE_PGM_RSRC2:TGID_Z_EN: 0
; COMPUTE_PGM_RSRC2:TIDIG_COMP_CNT: 0
	.section	.text._ZN7rocprim17ROCPRIM_400000_NS6detail17trampoline_kernelINS0_13select_configILj256ELj13ELNS0_17block_load_methodE3ELS4_3ELS4_3ELNS0_20block_scan_algorithmE0ELj4294967295EEENS1_25partition_config_selectorILNS1_17partition_subalgoE4EjNS0_10empty_typeEbEEZZNS1_14partition_implILS8_4ELb0ES6_15HIP_vector_typeIjLj2EENS0_17counting_iteratorIjlEEPS9_SG_NS0_5tupleIJPjSI_NS0_16reverse_iteratorISI_EEEEENSH_IJSG_SG_SG_EEES9_SI_JZNS1_25segmented_radix_sort_implINS0_14default_configELb0EPKlPlSQ_SR_N2at6native12_GLOBAL__N_18offset_tEEE10hipError_tPvRmT1_PNSt15iterator_traitsISZ_E10value_typeET2_T3_PNS10_IS15_E10value_typeET4_jRbjT5_S1B_jjP12ihipStream_tbEUljE_ZNSN_ISO_Lb0ESQ_SR_SQ_SR_SV_EESW_SX_SY_SZ_S13_S14_S15_S18_S19_jS1A_jS1B_S1B_jjS1D_bEUljE0_EEESW_SX_SY_S15_S19_S1B_T6_T7_T9_mT8_S1D_bDpT10_ENKUlT_T0_E_clISt17integral_constantIbLb1EES1R_EEDaS1M_S1N_EUlS1M_E_NS1_11comp_targetILNS1_3genE0ELNS1_11target_archE4294967295ELNS1_3gpuE0ELNS1_3repE0EEENS1_30default_config_static_selectorELNS0_4arch9wavefront6targetE0EEEvSZ_,"axG",@progbits,_ZN7rocprim17ROCPRIM_400000_NS6detail17trampoline_kernelINS0_13select_configILj256ELj13ELNS0_17block_load_methodE3ELS4_3ELS4_3ELNS0_20block_scan_algorithmE0ELj4294967295EEENS1_25partition_config_selectorILNS1_17partition_subalgoE4EjNS0_10empty_typeEbEEZZNS1_14partition_implILS8_4ELb0ES6_15HIP_vector_typeIjLj2EENS0_17counting_iteratorIjlEEPS9_SG_NS0_5tupleIJPjSI_NS0_16reverse_iteratorISI_EEEEENSH_IJSG_SG_SG_EEES9_SI_JZNS1_25segmented_radix_sort_implINS0_14default_configELb0EPKlPlSQ_SR_N2at6native12_GLOBAL__N_18offset_tEEE10hipError_tPvRmT1_PNSt15iterator_traitsISZ_E10value_typeET2_T3_PNS10_IS15_E10value_typeET4_jRbjT5_S1B_jjP12ihipStream_tbEUljE_ZNSN_ISO_Lb0ESQ_SR_SQ_SR_SV_EESW_SX_SY_SZ_S13_S14_S15_S18_S19_jS1A_jS1B_S1B_jjS1D_bEUljE0_EEESW_SX_SY_S15_S19_S1B_T6_T7_T9_mT8_S1D_bDpT10_ENKUlT_T0_E_clISt17integral_constantIbLb1EES1R_EEDaS1M_S1N_EUlS1M_E_NS1_11comp_targetILNS1_3genE0ELNS1_11target_archE4294967295ELNS1_3gpuE0ELNS1_3repE0EEENS1_30default_config_static_selectorELNS0_4arch9wavefront6targetE0EEEvSZ_,comdat
	.globl	_ZN7rocprim17ROCPRIM_400000_NS6detail17trampoline_kernelINS0_13select_configILj256ELj13ELNS0_17block_load_methodE3ELS4_3ELS4_3ELNS0_20block_scan_algorithmE0ELj4294967295EEENS1_25partition_config_selectorILNS1_17partition_subalgoE4EjNS0_10empty_typeEbEEZZNS1_14partition_implILS8_4ELb0ES6_15HIP_vector_typeIjLj2EENS0_17counting_iteratorIjlEEPS9_SG_NS0_5tupleIJPjSI_NS0_16reverse_iteratorISI_EEEEENSH_IJSG_SG_SG_EEES9_SI_JZNS1_25segmented_radix_sort_implINS0_14default_configELb0EPKlPlSQ_SR_N2at6native12_GLOBAL__N_18offset_tEEE10hipError_tPvRmT1_PNSt15iterator_traitsISZ_E10value_typeET2_T3_PNS10_IS15_E10value_typeET4_jRbjT5_S1B_jjP12ihipStream_tbEUljE_ZNSN_ISO_Lb0ESQ_SR_SQ_SR_SV_EESW_SX_SY_SZ_S13_S14_S15_S18_S19_jS1A_jS1B_S1B_jjS1D_bEUljE0_EEESW_SX_SY_S15_S19_S1B_T6_T7_T9_mT8_S1D_bDpT10_ENKUlT_T0_E_clISt17integral_constantIbLb1EES1R_EEDaS1M_S1N_EUlS1M_E_NS1_11comp_targetILNS1_3genE0ELNS1_11target_archE4294967295ELNS1_3gpuE0ELNS1_3repE0EEENS1_30default_config_static_selectorELNS0_4arch9wavefront6targetE0EEEvSZ_ ; -- Begin function _ZN7rocprim17ROCPRIM_400000_NS6detail17trampoline_kernelINS0_13select_configILj256ELj13ELNS0_17block_load_methodE3ELS4_3ELS4_3ELNS0_20block_scan_algorithmE0ELj4294967295EEENS1_25partition_config_selectorILNS1_17partition_subalgoE4EjNS0_10empty_typeEbEEZZNS1_14partition_implILS8_4ELb0ES6_15HIP_vector_typeIjLj2EENS0_17counting_iteratorIjlEEPS9_SG_NS0_5tupleIJPjSI_NS0_16reverse_iteratorISI_EEEEENSH_IJSG_SG_SG_EEES9_SI_JZNS1_25segmented_radix_sort_implINS0_14default_configELb0EPKlPlSQ_SR_N2at6native12_GLOBAL__N_18offset_tEEE10hipError_tPvRmT1_PNSt15iterator_traitsISZ_E10value_typeET2_T3_PNS10_IS15_E10value_typeET4_jRbjT5_S1B_jjP12ihipStream_tbEUljE_ZNSN_ISO_Lb0ESQ_SR_SQ_SR_SV_EESW_SX_SY_SZ_S13_S14_S15_S18_S19_jS1A_jS1B_S1B_jjS1D_bEUljE0_EEESW_SX_SY_S15_S19_S1B_T6_T7_T9_mT8_S1D_bDpT10_ENKUlT_T0_E_clISt17integral_constantIbLb1EES1R_EEDaS1M_S1N_EUlS1M_E_NS1_11comp_targetILNS1_3genE0ELNS1_11target_archE4294967295ELNS1_3gpuE0ELNS1_3repE0EEENS1_30default_config_static_selectorELNS0_4arch9wavefront6targetE0EEEvSZ_
	.p2align	8
	.type	_ZN7rocprim17ROCPRIM_400000_NS6detail17trampoline_kernelINS0_13select_configILj256ELj13ELNS0_17block_load_methodE3ELS4_3ELS4_3ELNS0_20block_scan_algorithmE0ELj4294967295EEENS1_25partition_config_selectorILNS1_17partition_subalgoE4EjNS0_10empty_typeEbEEZZNS1_14partition_implILS8_4ELb0ES6_15HIP_vector_typeIjLj2EENS0_17counting_iteratorIjlEEPS9_SG_NS0_5tupleIJPjSI_NS0_16reverse_iteratorISI_EEEEENSH_IJSG_SG_SG_EEES9_SI_JZNS1_25segmented_radix_sort_implINS0_14default_configELb0EPKlPlSQ_SR_N2at6native12_GLOBAL__N_18offset_tEEE10hipError_tPvRmT1_PNSt15iterator_traitsISZ_E10value_typeET2_T3_PNS10_IS15_E10value_typeET4_jRbjT5_S1B_jjP12ihipStream_tbEUljE_ZNSN_ISO_Lb0ESQ_SR_SQ_SR_SV_EESW_SX_SY_SZ_S13_S14_S15_S18_S19_jS1A_jS1B_S1B_jjS1D_bEUljE0_EEESW_SX_SY_S15_S19_S1B_T6_T7_T9_mT8_S1D_bDpT10_ENKUlT_T0_E_clISt17integral_constantIbLb1EES1R_EEDaS1M_S1N_EUlS1M_E_NS1_11comp_targetILNS1_3genE0ELNS1_11target_archE4294967295ELNS1_3gpuE0ELNS1_3repE0EEENS1_30default_config_static_selectorELNS0_4arch9wavefront6targetE0EEEvSZ_,@function
_ZN7rocprim17ROCPRIM_400000_NS6detail17trampoline_kernelINS0_13select_configILj256ELj13ELNS0_17block_load_methodE3ELS4_3ELS4_3ELNS0_20block_scan_algorithmE0ELj4294967295EEENS1_25partition_config_selectorILNS1_17partition_subalgoE4EjNS0_10empty_typeEbEEZZNS1_14partition_implILS8_4ELb0ES6_15HIP_vector_typeIjLj2EENS0_17counting_iteratorIjlEEPS9_SG_NS0_5tupleIJPjSI_NS0_16reverse_iteratorISI_EEEEENSH_IJSG_SG_SG_EEES9_SI_JZNS1_25segmented_radix_sort_implINS0_14default_configELb0EPKlPlSQ_SR_N2at6native12_GLOBAL__N_18offset_tEEE10hipError_tPvRmT1_PNSt15iterator_traitsISZ_E10value_typeET2_T3_PNS10_IS15_E10value_typeET4_jRbjT5_S1B_jjP12ihipStream_tbEUljE_ZNSN_ISO_Lb0ESQ_SR_SQ_SR_SV_EESW_SX_SY_SZ_S13_S14_S15_S18_S19_jS1A_jS1B_S1B_jjS1D_bEUljE0_EEESW_SX_SY_S15_S19_S1B_T6_T7_T9_mT8_S1D_bDpT10_ENKUlT_T0_E_clISt17integral_constantIbLb1EES1R_EEDaS1M_S1N_EUlS1M_E_NS1_11comp_targetILNS1_3genE0ELNS1_11target_archE4294967295ELNS1_3gpuE0ELNS1_3repE0EEENS1_30default_config_static_selectorELNS0_4arch9wavefront6targetE0EEEvSZ_: ; @_ZN7rocprim17ROCPRIM_400000_NS6detail17trampoline_kernelINS0_13select_configILj256ELj13ELNS0_17block_load_methodE3ELS4_3ELS4_3ELNS0_20block_scan_algorithmE0ELj4294967295EEENS1_25partition_config_selectorILNS1_17partition_subalgoE4EjNS0_10empty_typeEbEEZZNS1_14partition_implILS8_4ELb0ES6_15HIP_vector_typeIjLj2EENS0_17counting_iteratorIjlEEPS9_SG_NS0_5tupleIJPjSI_NS0_16reverse_iteratorISI_EEEEENSH_IJSG_SG_SG_EEES9_SI_JZNS1_25segmented_radix_sort_implINS0_14default_configELb0EPKlPlSQ_SR_N2at6native12_GLOBAL__N_18offset_tEEE10hipError_tPvRmT1_PNSt15iterator_traitsISZ_E10value_typeET2_T3_PNS10_IS15_E10value_typeET4_jRbjT5_S1B_jjP12ihipStream_tbEUljE_ZNSN_ISO_Lb0ESQ_SR_SQ_SR_SV_EESW_SX_SY_SZ_S13_S14_S15_S18_S19_jS1A_jS1B_S1B_jjS1D_bEUljE0_EEESW_SX_SY_S15_S19_S1B_T6_T7_T9_mT8_S1D_bDpT10_ENKUlT_T0_E_clISt17integral_constantIbLb1EES1R_EEDaS1M_S1N_EUlS1M_E_NS1_11comp_targetILNS1_3genE0ELNS1_11target_archE4294967295ELNS1_3gpuE0ELNS1_3repE0EEENS1_30default_config_static_selectorELNS0_4arch9wavefront6targetE0EEEvSZ_
; %bb.0:
	.section	.rodata,"a",@progbits
	.p2align	6, 0x0
	.amdhsa_kernel _ZN7rocprim17ROCPRIM_400000_NS6detail17trampoline_kernelINS0_13select_configILj256ELj13ELNS0_17block_load_methodE3ELS4_3ELS4_3ELNS0_20block_scan_algorithmE0ELj4294967295EEENS1_25partition_config_selectorILNS1_17partition_subalgoE4EjNS0_10empty_typeEbEEZZNS1_14partition_implILS8_4ELb0ES6_15HIP_vector_typeIjLj2EENS0_17counting_iteratorIjlEEPS9_SG_NS0_5tupleIJPjSI_NS0_16reverse_iteratorISI_EEEEENSH_IJSG_SG_SG_EEES9_SI_JZNS1_25segmented_radix_sort_implINS0_14default_configELb0EPKlPlSQ_SR_N2at6native12_GLOBAL__N_18offset_tEEE10hipError_tPvRmT1_PNSt15iterator_traitsISZ_E10value_typeET2_T3_PNS10_IS15_E10value_typeET4_jRbjT5_S1B_jjP12ihipStream_tbEUljE_ZNSN_ISO_Lb0ESQ_SR_SQ_SR_SV_EESW_SX_SY_SZ_S13_S14_S15_S18_S19_jS1A_jS1B_S1B_jjS1D_bEUljE0_EEESW_SX_SY_S15_S19_S1B_T6_T7_T9_mT8_S1D_bDpT10_ENKUlT_T0_E_clISt17integral_constantIbLb1EES1R_EEDaS1M_S1N_EUlS1M_E_NS1_11comp_targetILNS1_3genE0ELNS1_11target_archE4294967295ELNS1_3gpuE0ELNS1_3repE0EEENS1_30default_config_static_selectorELNS0_4arch9wavefront6targetE0EEEvSZ_
		.amdhsa_group_segment_fixed_size 0
		.amdhsa_private_segment_fixed_size 0
		.amdhsa_kernarg_size 184
		.amdhsa_user_sgpr_count 15
		.amdhsa_user_sgpr_dispatch_ptr 0
		.amdhsa_user_sgpr_queue_ptr 0
		.amdhsa_user_sgpr_kernarg_segment_ptr 1
		.amdhsa_user_sgpr_dispatch_id 0
		.amdhsa_user_sgpr_private_segment_size 0
		.amdhsa_wavefront_size32 1
		.amdhsa_uses_dynamic_stack 0
		.amdhsa_enable_private_segment 0
		.amdhsa_system_sgpr_workgroup_id_x 1
		.amdhsa_system_sgpr_workgroup_id_y 0
		.amdhsa_system_sgpr_workgroup_id_z 0
		.amdhsa_system_sgpr_workgroup_info 0
		.amdhsa_system_vgpr_workitem_id 0
		.amdhsa_next_free_vgpr 1
		.amdhsa_next_free_sgpr 1
		.amdhsa_reserve_vcc 0
		.amdhsa_float_round_mode_32 0
		.amdhsa_float_round_mode_16_64 0
		.amdhsa_float_denorm_mode_32 3
		.amdhsa_float_denorm_mode_16_64 3
		.amdhsa_dx10_clamp 1
		.amdhsa_ieee_mode 1
		.amdhsa_fp16_overflow 0
		.amdhsa_workgroup_processor_mode 1
		.amdhsa_memory_ordered 1
		.amdhsa_forward_progress 0
		.amdhsa_shared_vgpr_count 0
		.amdhsa_exception_fp_ieee_invalid_op 0
		.amdhsa_exception_fp_denorm_src 0
		.amdhsa_exception_fp_ieee_div_zero 0
		.amdhsa_exception_fp_ieee_overflow 0
		.amdhsa_exception_fp_ieee_underflow 0
		.amdhsa_exception_fp_ieee_inexact 0
		.amdhsa_exception_int_div_zero 0
	.end_amdhsa_kernel
	.section	.text._ZN7rocprim17ROCPRIM_400000_NS6detail17trampoline_kernelINS0_13select_configILj256ELj13ELNS0_17block_load_methodE3ELS4_3ELS4_3ELNS0_20block_scan_algorithmE0ELj4294967295EEENS1_25partition_config_selectorILNS1_17partition_subalgoE4EjNS0_10empty_typeEbEEZZNS1_14partition_implILS8_4ELb0ES6_15HIP_vector_typeIjLj2EENS0_17counting_iteratorIjlEEPS9_SG_NS0_5tupleIJPjSI_NS0_16reverse_iteratorISI_EEEEENSH_IJSG_SG_SG_EEES9_SI_JZNS1_25segmented_radix_sort_implINS0_14default_configELb0EPKlPlSQ_SR_N2at6native12_GLOBAL__N_18offset_tEEE10hipError_tPvRmT1_PNSt15iterator_traitsISZ_E10value_typeET2_T3_PNS10_IS15_E10value_typeET4_jRbjT5_S1B_jjP12ihipStream_tbEUljE_ZNSN_ISO_Lb0ESQ_SR_SQ_SR_SV_EESW_SX_SY_SZ_S13_S14_S15_S18_S19_jS1A_jS1B_S1B_jjS1D_bEUljE0_EEESW_SX_SY_S15_S19_S1B_T6_T7_T9_mT8_S1D_bDpT10_ENKUlT_T0_E_clISt17integral_constantIbLb1EES1R_EEDaS1M_S1N_EUlS1M_E_NS1_11comp_targetILNS1_3genE0ELNS1_11target_archE4294967295ELNS1_3gpuE0ELNS1_3repE0EEENS1_30default_config_static_selectorELNS0_4arch9wavefront6targetE0EEEvSZ_,"axG",@progbits,_ZN7rocprim17ROCPRIM_400000_NS6detail17trampoline_kernelINS0_13select_configILj256ELj13ELNS0_17block_load_methodE3ELS4_3ELS4_3ELNS0_20block_scan_algorithmE0ELj4294967295EEENS1_25partition_config_selectorILNS1_17partition_subalgoE4EjNS0_10empty_typeEbEEZZNS1_14partition_implILS8_4ELb0ES6_15HIP_vector_typeIjLj2EENS0_17counting_iteratorIjlEEPS9_SG_NS0_5tupleIJPjSI_NS0_16reverse_iteratorISI_EEEEENSH_IJSG_SG_SG_EEES9_SI_JZNS1_25segmented_radix_sort_implINS0_14default_configELb0EPKlPlSQ_SR_N2at6native12_GLOBAL__N_18offset_tEEE10hipError_tPvRmT1_PNSt15iterator_traitsISZ_E10value_typeET2_T3_PNS10_IS15_E10value_typeET4_jRbjT5_S1B_jjP12ihipStream_tbEUljE_ZNSN_ISO_Lb0ESQ_SR_SQ_SR_SV_EESW_SX_SY_SZ_S13_S14_S15_S18_S19_jS1A_jS1B_S1B_jjS1D_bEUljE0_EEESW_SX_SY_S15_S19_S1B_T6_T7_T9_mT8_S1D_bDpT10_ENKUlT_T0_E_clISt17integral_constantIbLb1EES1R_EEDaS1M_S1N_EUlS1M_E_NS1_11comp_targetILNS1_3genE0ELNS1_11target_archE4294967295ELNS1_3gpuE0ELNS1_3repE0EEENS1_30default_config_static_selectorELNS0_4arch9wavefront6targetE0EEEvSZ_,comdat
.Lfunc_end751:
	.size	_ZN7rocprim17ROCPRIM_400000_NS6detail17trampoline_kernelINS0_13select_configILj256ELj13ELNS0_17block_load_methodE3ELS4_3ELS4_3ELNS0_20block_scan_algorithmE0ELj4294967295EEENS1_25partition_config_selectorILNS1_17partition_subalgoE4EjNS0_10empty_typeEbEEZZNS1_14partition_implILS8_4ELb0ES6_15HIP_vector_typeIjLj2EENS0_17counting_iteratorIjlEEPS9_SG_NS0_5tupleIJPjSI_NS0_16reverse_iteratorISI_EEEEENSH_IJSG_SG_SG_EEES9_SI_JZNS1_25segmented_radix_sort_implINS0_14default_configELb0EPKlPlSQ_SR_N2at6native12_GLOBAL__N_18offset_tEEE10hipError_tPvRmT1_PNSt15iterator_traitsISZ_E10value_typeET2_T3_PNS10_IS15_E10value_typeET4_jRbjT5_S1B_jjP12ihipStream_tbEUljE_ZNSN_ISO_Lb0ESQ_SR_SQ_SR_SV_EESW_SX_SY_SZ_S13_S14_S15_S18_S19_jS1A_jS1B_S1B_jjS1D_bEUljE0_EEESW_SX_SY_S15_S19_S1B_T6_T7_T9_mT8_S1D_bDpT10_ENKUlT_T0_E_clISt17integral_constantIbLb1EES1R_EEDaS1M_S1N_EUlS1M_E_NS1_11comp_targetILNS1_3genE0ELNS1_11target_archE4294967295ELNS1_3gpuE0ELNS1_3repE0EEENS1_30default_config_static_selectorELNS0_4arch9wavefront6targetE0EEEvSZ_, .Lfunc_end751-_ZN7rocprim17ROCPRIM_400000_NS6detail17trampoline_kernelINS0_13select_configILj256ELj13ELNS0_17block_load_methodE3ELS4_3ELS4_3ELNS0_20block_scan_algorithmE0ELj4294967295EEENS1_25partition_config_selectorILNS1_17partition_subalgoE4EjNS0_10empty_typeEbEEZZNS1_14partition_implILS8_4ELb0ES6_15HIP_vector_typeIjLj2EENS0_17counting_iteratorIjlEEPS9_SG_NS0_5tupleIJPjSI_NS0_16reverse_iteratorISI_EEEEENSH_IJSG_SG_SG_EEES9_SI_JZNS1_25segmented_radix_sort_implINS0_14default_configELb0EPKlPlSQ_SR_N2at6native12_GLOBAL__N_18offset_tEEE10hipError_tPvRmT1_PNSt15iterator_traitsISZ_E10value_typeET2_T3_PNS10_IS15_E10value_typeET4_jRbjT5_S1B_jjP12ihipStream_tbEUljE_ZNSN_ISO_Lb0ESQ_SR_SQ_SR_SV_EESW_SX_SY_SZ_S13_S14_S15_S18_S19_jS1A_jS1B_S1B_jjS1D_bEUljE0_EEESW_SX_SY_S15_S19_S1B_T6_T7_T9_mT8_S1D_bDpT10_ENKUlT_T0_E_clISt17integral_constantIbLb1EES1R_EEDaS1M_S1N_EUlS1M_E_NS1_11comp_targetILNS1_3genE0ELNS1_11target_archE4294967295ELNS1_3gpuE0ELNS1_3repE0EEENS1_30default_config_static_selectorELNS0_4arch9wavefront6targetE0EEEvSZ_
                                        ; -- End function
	.section	.AMDGPU.csdata,"",@progbits
; Kernel info:
; codeLenInByte = 0
; NumSgprs: 0
; NumVgprs: 0
; ScratchSize: 0
; MemoryBound: 0
; FloatMode: 240
; IeeeMode: 1
; LDSByteSize: 0 bytes/workgroup (compile time only)
; SGPRBlocks: 0
; VGPRBlocks: 0
; NumSGPRsForWavesPerEU: 1
; NumVGPRsForWavesPerEU: 1
; Occupancy: 16
; WaveLimiterHint : 0
; COMPUTE_PGM_RSRC2:SCRATCH_EN: 0
; COMPUTE_PGM_RSRC2:USER_SGPR: 15
; COMPUTE_PGM_RSRC2:TRAP_HANDLER: 0
; COMPUTE_PGM_RSRC2:TGID_X_EN: 1
; COMPUTE_PGM_RSRC2:TGID_Y_EN: 0
; COMPUTE_PGM_RSRC2:TGID_Z_EN: 0
; COMPUTE_PGM_RSRC2:TIDIG_COMP_CNT: 0
	.section	.text._ZN7rocprim17ROCPRIM_400000_NS6detail17trampoline_kernelINS0_13select_configILj256ELj13ELNS0_17block_load_methodE3ELS4_3ELS4_3ELNS0_20block_scan_algorithmE0ELj4294967295EEENS1_25partition_config_selectorILNS1_17partition_subalgoE4EjNS0_10empty_typeEbEEZZNS1_14partition_implILS8_4ELb0ES6_15HIP_vector_typeIjLj2EENS0_17counting_iteratorIjlEEPS9_SG_NS0_5tupleIJPjSI_NS0_16reverse_iteratorISI_EEEEENSH_IJSG_SG_SG_EEES9_SI_JZNS1_25segmented_radix_sort_implINS0_14default_configELb0EPKlPlSQ_SR_N2at6native12_GLOBAL__N_18offset_tEEE10hipError_tPvRmT1_PNSt15iterator_traitsISZ_E10value_typeET2_T3_PNS10_IS15_E10value_typeET4_jRbjT5_S1B_jjP12ihipStream_tbEUljE_ZNSN_ISO_Lb0ESQ_SR_SQ_SR_SV_EESW_SX_SY_SZ_S13_S14_S15_S18_S19_jS1A_jS1B_S1B_jjS1D_bEUljE0_EEESW_SX_SY_S15_S19_S1B_T6_T7_T9_mT8_S1D_bDpT10_ENKUlT_T0_E_clISt17integral_constantIbLb1EES1R_EEDaS1M_S1N_EUlS1M_E_NS1_11comp_targetILNS1_3genE5ELNS1_11target_archE942ELNS1_3gpuE9ELNS1_3repE0EEENS1_30default_config_static_selectorELNS0_4arch9wavefront6targetE0EEEvSZ_,"axG",@progbits,_ZN7rocprim17ROCPRIM_400000_NS6detail17trampoline_kernelINS0_13select_configILj256ELj13ELNS0_17block_load_methodE3ELS4_3ELS4_3ELNS0_20block_scan_algorithmE0ELj4294967295EEENS1_25partition_config_selectorILNS1_17partition_subalgoE4EjNS0_10empty_typeEbEEZZNS1_14partition_implILS8_4ELb0ES6_15HIP_vector_typeIjLj2EENS0_17counting_iteratorIjlEEPS9_SG_NS0_5tupleIJPjSI_NS0_16reverse_iteratorISI_EEEEENSH_IJSG_SG_SG_EEES9_SI_JZNS1_25segmented_radix_sort_implINS0_14default_configELb0EPKlPlSQ_SR_N2at6native12_GLOBAL__N_18offset_tEEE10hipError_tPvRmT1_PNSt15iterator_traitsISZ_E10value_typeET2_T3_PNS10_IS15_E10value_typeET4_jRbjT5_S1B_jjP12ihipStream_tbEUljE_ZNSN_ISO_Lb0ESQ_SR_SQ_SR_SV_EESW_SX_SY_SZ_S13_S14_S15_S18_S19_jS1A_jS1B_S1B_jjS1D_bEUljE0_EEESW_SX_SY_S15_S19_S1B_T6_T7_T9_mT8_S1D_bDpT10_ENKUlT_T0_E_clISt17integral_constantIbLb1EES1R_EEDaS1M_S1N_EUlS1M_E_NS1_11comp_targetILNS1_3genE5ELNS1_11target_archE942ELNS1_3gpuE9ELNS1_3repE0EEENS1_30default_config_static_selectorELNS0_4arch9wavefront6targetE0EEEvSZ_,comdat
	.globl	_ZN7rocprim17ROCPRIM_400000_NS6detail17trampoline_kernelINS0_13select_configILj256ELj13ELNS0_17block_load_methodE3ELS4_3ELS4_3ELNS0_20block_scan_algorithmE0ELj4294967295EEENS1_25partition_config_selectorILNS1_17partition_subalgoE4EjNS0_10empty_typeEbEEZZNS1_14partition_implILS8_4ELb0ES6_15HIP_vector_typeIjLj2EENS0_17counting_iteratorIjlEEPS9_SG_NS0_5tupleIJPjSI_NS0_16reverse_iteratorISI_EEEEENSH_IJSG_SG_SG_EEES9_SI_JZNS1_25segmented_radix_sort_implINS0_14default_configELb0EPKlPlSQ_SR_N2at6native12_GLOBAL__N_18offset_tEEE10hipError_tPvRmT1_PNSt15iterator_traitsISZ_E10value_typeET2_T3_PNS10_IS15_E10value_typeET4_jRbjT5_S1B_jjP12ihipStream_tbEUljE_ZNSN_ISO_Lb0ESQ_SR_SQ_SR_SV_EESW_SX_SY_SZ_S13_S14_S15_S18_S19_jS1A_jS1B_S1B_jjS1D_bEUljE0_EEESW_SX_SY_S15_S19_S1B_T6_T7_T9_mT8_S1D_bDpT10_ENKUlT_T0_E_clISt17integral_constantIbLb1EES1R_EEDaS1M_S1N_EUlS1M_E_NS1_11comp_targetILNS1_3genE5ELNS1_11target_archE942ELNS1_3gpuE9ELNS1_3repE0EEENS1_30default_config_static_selectorELNS0_4arch9wavefront6targetE0EEEvSZ_ ; -- Begin function _ZN7rocprim17ROCPRIM_400000_NS6detail17trampoline_kernelINS0_13select_configILj256ELj13ELNS0_17block_load_methodE3ELS4_3ELS4_3ELNS0_20block_scan_algorithmE0ELj4294967295EEENS1_25partition_config_selectorILNS1_17partition_subalgoE4EjNS0_10empty_typeEbEEZZNS1_14partition_implILS8_4ELb0ES6_15HIP_vector_typeIjLj2EENS0_17counting_iteratorIjlEEPS9_SG_NS0_5tupleIJPjSI_NS0_16reverse_iteratorISI_EEEEENSH_IJSG_SG_SG_EEES9_SI_JZNS1_25segmented_radix_sort_implINS0_14default_configELb0EPKlPlSQ_SR_N2at6native12_GLOBAL__N_18offset_tEEE10hipError_tPvRmT1_PNSt15iterator_traitsISZ_E10value_typeET2_T3_PNS10_IS15_E10value_typeET4_jRbjT5_S1B_jjP12ihipStream_tbEUljE_ZNSN_ISO_Lb0ESQ_SR_SQ_SR_SV_EESW_SX_SY_SZ_S13_S14_S15_S18_S19_jS1A_jS1B_S1B_jjS1D_bEUljE0_EEESW_SX_SY_S15_S19_S1B_T6_T7_T9_mT8_S1D_bDpT10_ENKUlT_T0_E_clISt17integral_constantIbLb1EES1R_EEDaS1M_S1N_EUlS1M_E_NS1_11comp_targetILNS1_3genE5ELNS1_11target_archE942ELNS1_3gpuE9ELNS1_3repE0EEENS1_30default_config_static_selectorELNS0_4arch9wavefront6targetE0EEEvSZ_
	.p2align	8
	.type	_ZN7rocprim17ROCPRIM_400000_NS6detail17trampoline_kernelINS0_13select_configILj256ELj13ELNS0_17block_load_methodE3ELS4_3ELS4_3ELNS0_20block_scan_algorithmE0ELj4294967295EEENS1_25partition_config_selectorILNS1_17partition_subalgoE4EjNS0_10empty_typeEbEEZZNS1_14partition_implILS8_4ELb0ES6_15HIP_vector_typeIjLj2EENS0_17counting_iteratorIjlEEPS9_SG_NS0_5tupleIJPjSI_NS0_16reverse_iteratorISI_EEEEENSH_IJSG_SG_SG_EEES9_SI_JZNS1_25segmented_radix_sort_implINS0_14default_configELb0EPKlPlSQ_SR_N2at6native12_GLOBAL__N_18offset_tEEE10hipError_tPvRmT1_PNSt15iterator_traitsISZ_E10value_typeET2_T3_PNS10_IS15_E10value_typeET4_jRbjT5_S1B_jjP12ihipStream_tbEUljE_ZNSN_ISO_Lb0ESQ_SR_SQ_SR_SV_EESW_SX_SY_SZ_S13_S14_S15_S18_S19_jS1A_jS1B_S1B_jjS1D_bEUljE0_EEESW_SX_SY_S15_S19_S1B_T6_T7_T9_mT8_S1D_bDpT10_ENKUlT_T0_E_clISt17integral_constantIbLb1EES1R_EEDaS1M_S1N_EUlS1M_E_NS1_11comp_targetILNS1_3genE5ELNS1_11target_archE942ELNS1_3gpuE9ELNS1_3repE0EEENS1_30default_config_static_selectorELNS0_4arch9wavefront6targetE0EEEvSZ_,@function
_ZN7rocprim17ROCPRIM_400000_NS6detail17trampoline_kernelINS0_13select_configILj256ELj13ELNS0_17block_load_methodE3ELS4_3ELS4_3ELNS0_20block_scan_algorithmE0ELj4294967295EEENS1_25partition_config_selectorILNS1_17partition_subalgoE4EjNS0_10empty_typeEbEEZZNS1_14partition_implILS8_4ELb0ES6_15HIP_vector_typeIjLj2EENS0_17counting_iteratorIjlEEPS9_SG_NS0_5tupleIJPjSI_NS0_16reverse_iteratorISI_EEEEENSH_IJSG_SG_SG_EEES9_SI_JZNS1_25segmented_radix_sort_implINS0_14default_configELb0EPKlPlSQ_SR_N2at6native12_GLOBAL__N_18offset_tEEE10hipError_tPvRmT1_PNSt15iterator_traitsISZ_E10value_typeET2_T3_PNS10_IS15_E10value_typeET4_jRbjT5_S1B_jjP12ihipStream_tbEUljE_ZNSN_ISO_Lb0ESQ_SR_SQ_SR_SV_EESW_SX_SY_SZ_S13_S14_S15_S18_S19_jS1A_jS1B_S1B_jjS1D_bEUljE0_EEESW_SX_SY_S15_S19_S1B_T6_T7_T9_mT8_S1D_bDpT10_ENKUlT_T0_E_clISt17integral_constantIbLb1EES1R_EEDaS1M_S1N_EUlS1M_E_NS1_11comp_targetILNS1_3genE5ELNS1_11target_archE942ELNS1_3gpuE9ELNS1_3repE0EEENS1_30default_config_static_selectorELNS0_4arch9wavefront6targetE0EEEvSZ_: ; @_ZN7rocprim17ROCPRIM_400000_NS6detail17trampoline_kernelINS0_13select_configILj256ELj13ELNS0_17block_load_methodE3ELS4_3ELS4_3ELNS0_20block_scan_algorithmE0ELj4294967295EEENS1_25partition_config_selectorILNS1_17partition_subalgoE4EjNS0_10empty_typeEbEEZZNS1_14partition_implILS8_4ELb0ES6_15HIP_vector_typeIjLj2EENS0_17counting_iteratorIjlEEPS9_SG_NS0_5tupleIJPjSI_NS0_16reverse_iteratorISI_EEEEENSH_IJSG_SG_SG_EEES9_SI_JZNS1_25segmented_radix_sort_implINS0_14default_configELb0EPKlPlSQ_SR_N2at6native12_GLOBAL__N_18offset_tEEE10hipError_tPvRmT1_PNSt15iterator_traitsISZ_E10value_typeET2_T3_PNS10_IS15_E10value_typeET4_jRbjT5_S1B_jjP12ihipStream_tbEUljE_ZNSN_ISO_Lb0ESQ_SR_SQ_SR_SV_EESW_SX_SY_SZ_S13_S14_S15_S18_S19_jS1A_jS1B_S1B_jjS1D_bEUljE0_EEESW_SX_SY_S15_S19_S1B_T6_T7_T9_mT8_S1D_bDpT10_ENKUlT_T0_E_clISt17integral_constantIbLb1EES1R_EEDaS1M_S1N_EUlS1M_E_NS1_11comp_targetILNS1_3genE5ELNS1_11target_archE942ELNS1_3gpuE9ELNS1_3repE0EEENS1_30default_config_static_selectorELNS0_4arch9wavefront6targetE0EEEvSZ_
; %bb.0:
	.section	.rodata,"a",@progbits
	.p2align	6, 0x0
	.amdhsa_kernel _ZN7rocprim17ROCPRIM_400000_NS6detail17trampoline_kernelINS0_13select_configILj256ELj13ELNS0_17block_load_methodE3ELS4_3ELS4_3ELNS0_20block_scan_algorithmE0ELj4294967295EEENS1_25partition_config_selectorILNS1_17partition_subalgoE4EjNS0_10empty_typeEbEEZZNS1_14partition_implILS8_4ELb0ES6_15HIP_vector_typeIjLj2EENS0_17counting_iteratorIjlEEPS9_SG_NS0_5tupleIJPjSI_NS0_16reverse_iteratorISI_EEEEENSH_IJSG_SG_SG_EEES9_SI_JZNS1_25segmented_radix_sort_implINS0_14default_configELb0EPKlPlSQ_SR_N2at6native12_GLOBAL__N_18offset_tEEE10hipError_tPvRmT1_PNSt15iterator_traitsISZ_E10value_typeET2_T3_PNS10_IS15_E10value_typeET4_jRbjT5_S1B_jjP12ihipStream_tbEUljE_ZNSN_ISO_Lb0ESQ_SR_SQ_SR_SV_EESW_SX_SY_SZ_S13_S14_S15_S18_S19_jS1A_jS1B_S1B_jjS1D_bEUljE0_EEESW_SX_SY_S15_S19_S1B_T6_T7_T9_mT8_S1D_bDpT10_ENKUlT_T0_E_clISt17integral_constantIbLb1EES1R_EEDaS1M_S1N_EUlS1M_E_NS1_11comp_targetILNS1_3genE5ELNS1_11target_archE942ELNS1_3gpuE9ELNS1_3repE0EEENS1_30default_config_static_selectorELNS0_4arch9wavefront6targetE0EEEvSZ_
		.amdhsa_group_segment_fixed_size 0
		.amdhsa_private_segment_fixed_size 0
		.amdhsa_kernarg_size 184
		.amdhsa_user_sgpr_count 15
		.amdhsa_user_sgpr_dispatch_ptr 0
		.amdhsa_user_sgpr_queue_ptr 0
		.amdhsa_user_sgpr_kernarg_segment_ptr 1
		.amdhsa_user_sgpr_dispatch_id 0
		.amdhsa_user_sgpr_private_segment_size 0
		.amdhsa_wavefront_size32 1
		.amdhsa_uses_dynamic_stack 0
		.amdhsa_enable_private_segment 0
		.amdhsa_system_sgpr_workgroup_id_x 1
		.amdhsa_system_sgpr_workgroup_id_y 0
		.amdhsa_system_sgpr_workgroup_id_z 0
		.amdhsa_system_sgpr_workgroup_info 0
		.amdhsa_system_vgpr_workitem_id 0
		.amdhsa_next_free_vgpr 1
		.amdhsa_next_free_sgpr 1
		.amdhsa_reserve_vcc 0
		.amdhsa_float_round_mode_32 0
		.amdhsa_float_round_mode_16_64 0
		.amdhsa_float_denorm_mode_32 3
		.amdhsa_float_denorm_mode_16_64 3
		.amdhsa_dx10_clamp 1
		.amdhsa_ieee_mode 1
		.amdhsa_fp16_overflow 0
		.amdhsa_workgroup_processor_mode 1
		.amdhsa_memory_ordered 1
		.amdhsa_forward_progress 0
		.amdhsa_shared_vgpr_count 0
		.amdhsa_exception_fp_ieee_invalid_op 0
		.amdhsa_exception_fp_denorm_src 0
		.amdhsa_exception_fp_ieee_div_zero 0
		.amdhsa_exception_fp_ieee_overflow 0
		.amdhsa_exception_fp_ieee_underflow 0
		.amdhsa_exception_fp_ieee_inexact 0
		.amdhsa_exception_int_div_zero 0
	.end_amdhsa_kernel
	.section	.text._ZN7rocprim17ROCPRIM_400000_NS6detail17trampoline_kernelINS0_13select_configILj256ELj13ELNS0_17block_load_methodE3ELS4_3ELS4_3ELNS0_20block_scan_algorithmE0ELj4294967295EEENS1_25partition_config_selectorILNS1_17partition_subalgoE4EjNS0_10empty_typeEbEEZZNS1_14partition_implILS8_4ELb0ES6_15HIP_vector_typeIjLj2EENS0_17counting_iteratorIjlEEPS9_SG_NS0_5tupleIJPjSI_NS0_16reverse_iteratorISI_EEEEENSH_IJSG_SG_SG_EEES9_SI_JZNS1_25segmented_radix_sort_implINS0_14default_configELb0EPKlPlSQ_SR_N2at6native12_GLOBAL__N_18offset_tEEE10hipError_tPvRmT1_PNSt15iterator_traitsISZ_E10value_typeET2_T3_PNS10_IS15_E10value_typeET4_jRbjT5_S1B_jjP12ihipStream_tbEUljE_ZNSN_ISO_Lb0ESQ_SR_SQ_SR_SV_EESW_SX_SY_SZ_S13_S14_S15_S18_S19_jS1A_jS1B_S1B_jjS1D_bEUljE0_EEESW_SX_SY_S15_S19_S1B_T6_T7_T9_mT8_S1D_bDpT10_ENKUlT_T0_E_clISt17integral_constantIbLb1EES1R_EEDaS1M_S1N_EUlS1M_E_NS1_11comp_targetILNS1_3genE5ELNS1_11target_archE942ELNS1_3gpuE9ELNS1_3repE0EEENS1_30default_config_static_selectorELNS0_4arch9wavefront6targetE0EEEvSZ_,"axG",@progbits,_ZN7rocprim17ROCPRIM_400000_NS6detail17trampoline_kernelINS0_13select_configILj256ELj13ELNS0_17block_load_methodE3ELS4_3ELS4_3ELNS0_20block_scan_algorithmE0ELj4294967295EEENS1_25partition_config_selectorILNS1_17partition_subalgoE4EjNS0_10empty_typeEbEEZZNS1_14partition_implILS8_4ELb0ES6_15HIP_vector_typeIjLj2EENS0_17counting_iteratorIjlEEPS9_SG_NS0_5tupleIJPjSI_NS0_16reverse_iteratorISI_EEEEENSH_IJSG_SG_SG_EEES9_SI_JZNS1_25segmented_radix_sort_implINS0_14default_configELb0EPKlPlSQ_SR_N2at6native12_GLOBAL__N_18offset_tEEE10hipError_tPvRmT1_PNSt15iterator_traitsISZ_E10value_typeET2_T3_PNS10_IS15_E10value_typeET4_jRbjT5_S1B_jjP12ihipStream_tbEUljE_ZNSN_ISO_Lb0ESQ_SR_SQ_SR_SV_EESW_SX_SY_SZ_S13_S14_S15_S18_S19_jS1A_jS1B_S1B_jjS1D_bEUljE0_EEESW_SX_SY_S15_S19_S1B_T6_T7_T9_mT8_S1D_bDpT10_ENKUlT_T0_E_clISt17integral_constantIbLb1EES1R_EEDaS1M_S1N_EUlS1M_E_NS1_11comp_targetILNS1_3genE5ELNS1_11target_archE942ELNS1_3gpuE9ELNS1_3repE0EEENS1_30default_config_static_selectorELNS0_4arch9wavefront6targetE0EEEvSZ_,comdat
.Lfunc_end752:
	.size	_ZN7rocprim17ROCPRIM_400000_NS6detail17trampoline_kernelINS0_13select_configILj256ELj13ELNS0_17block_load_methodE3ELS4_3ELS4_3ELNS0_20block_scan_algorithmE0ELj4294967295EEENS1_25partition_config_selectorILNS1_17partition_subalgoE4EjNS0_10empty_typeEbEEZZNS1_14partition_implILS8_4ELb0ES6_15HIP_vector_typeIjLj2EENS0_17counting_iteratorIjlEEPS9_SG_NS0_5tupleIJPjSI_NS0_16reverse_iteratorISI_EEEEENSH_IJSG_SG_SG_EEES9_SI_JZNS1_25segmented_radix_sort_implINS0_14default_configELb0EPKlPlSQ_SR_N2at6native12_GLOBAL__N_18offset_tEEE10hipError_tPvRmT1_PNSt15iterator_traitsISZ_E10value_typeET2_T3_PNS10_IS15_E10value_typeET4_jRbjT5_S1B_jjP12ihipStream_tbEUljE_ZNSN_ISO_Lb0ESQ_SR_SQ_SR_SV_EESW_SX_SY_SZ_S13_S14_S15_S18_S19_jS1A_jS1B_S1B_jjS1D_bEUljE0_EEESW_SX_SY_S15_S19_S1B_T6_T7_T9_mT8_S1D_bDpT10_ENKUlT_T0_E_clISt17integral_constantIbLb1EES1R_EEDaS1M_S1N_EUlS1M_E_NS1_11comp_targetILNS1_3genE5ELNS1_11target_archE942ELNS1_3gpuE9ELNS1_3repE0EEENS1_30default_config_static_selectorELNS0_4arch9wavefront6targetE0EEEvSZ_, .Lfunc_end752-_ZN7rocprim17ROCPRIM_400000_NS6detail17trampoline_kernelINS0_13select_configILj256ELj13ELNS0_17block_load_methodE3ELS4_3ELS4_3ELNS0_20block_scan_algorithmE0ELj4294967295EEENS1_25partition_config_selectorILNS1_17partition_subalgoE4EjNS0_10empty_typeEbEEZZNS1_14partition_implILS8_4ELb0ES6_15HIP_vector_typeIjLj2EENS0_17counting_iteratorIjlEEPS9_SG_NS0_5tupleIJPjSI_NS0_16reverse_iteratorISI_EEEEENSH_IJSG_SG_SG_EEES9_SI_JZNS1_25segmented_radix_sort_implINS0_14default_configELb0EPKlPlSQ_SR_N2at6native12_GLOBAL__N_18offset_tEEE10hipError_tPvRmT1_PNSt15iterator_traitsISZ_E10value_typeET2_T3_PNS10_IS15_E10value_typeET4_jRbjT5_S1B_jjP12ihipStream_tbEUljE_ZNSN_ISO_Lb0ESQ_SR_SQ_SR_SV_EESW_SX_SY_SZ_S13_S14_S15_S18_S19_jS1A_jS1B_S1B_jjS1D_bEUljE0_EEESW_SX_SY_S15_S19_S1B_T6_T7_T9_mT8_S1D_bDpT10_ENKUlT_T0_E_clISt17integral_constantIbLb1EES1R_EEDaS1M_S1N_EUlS1M_E_NS1_11comp_targetILNS1_3genE5ELNS1_11target_archE942ELNS1_3gpuE9ELNS1_3repE0EEENS1_30default_config_static_selectorELNS0_4arch9wavefront6targetE0EEEvSZ_
                                        ; -- End function
	.section	.AMDGPU.csdata,"",@progbits
; Kernel info:
; codeLenInByte = 0
; NumSgprs: 0
; NumVgprs: 0
; ScratchSize: 0
; MemoryBound: 0
; FloatMode: 240
; IeeeMode: 1
; LDSByteSize: 0 bytes/workgroup (compile time only)
; SGPRBlocks: 0
; VGPRBlocks: 0
; NumSGPRsForWavesPerEU: 1
; NumVGPRsForWavesPerEU: 1
; Occupancy: 16
; WaveLimiterHint : 0
; COMPUTE_PGM_RSRC2:SCRATCH_EN: 0
; COMPUTE_PGM_RSRC2:USER_SGPR: 15
; COMPUTE_PGM_RSRC2:TRAP_HANDLER: 0
; COMPUTE_PGM_RSRC2:TGID_X_EN: 1
; COMPUTE_PGM_RSRC2:TGID_Y_EN: 0
; COMPUTE_PGM_RSRC2:TGID_Z_EN: 0
; COMPUTE_PGM_RSRC2:TIDIG_COMP_CNT: 0
	.section	.text._ZN7rocprim17ROCPRIM_400000_NS6detail17trampoline_kernelINS0_13select_configILj256ELj13ELNS0_17block_load_methodE3ELS4_3ELS4_3ELNS0_20block_scan_algorithmE0ELj4294967295EEENS1_25partition_config_selectorILNS1_17partition_subalgoE4EjNS0_10empty_typeEbEEZZNS1_14partition_implILS8_4ELb0ES6_15HIP_vector_typeIjLj2EENS0_17counting_iteratorIjlEEPS9_SG_NS0_5tupleIJPjSI_NS0_16reverse_iteratorISI_EEEEENSH_IJSG_SG_SG_EEES9_SI_JZNS1_25segmented_radix_sort_implINS0_14default_configELb0EPKlPlSQ_SR_N2at6native12_GLOBAL__N_18offset_tEEE10hipError_tPvRmT1_PNSt15iterator_traitsISZ_E10value_typeET2_T3_PNS10_IS15_E10value_typeET4_jRbjT5_S1B_jjP12ihipStream_tbEUljE_ZNSN_ISO_Lb0ESQ_SR_SQ_SR_SV_EESW_SX_SY_SZ_S13_S14_S15_S18_S19_jS1A_jS1B_S1B_jjS1D_bEUljE0_EEESW_SX_SY_S15_S19_S1B_T6_T7_T9_mT8_S1D_bDpT10_ENKUlT_T0_E_clISt17integral_constantIbLb1EES1R_EEDaS1M_S1N_EUlS1M_E_NS1_11comp_targetILNS1_3genE4ELNS1_11target_archE910ELNS1_3gpuE8ELNS1_3repE0EEENS1_30default_config_static_selectorELNS0_4arch9wavefront6targetE0EEEvSZ_,"axG",@progbits,_ZN7rocprim17ROCPRIM_400000_NS6detail17trampoline_kernelINS0_13select_configILj256ELj13ELNS0_17block_load_methodE3ELS4_3ELS4_3ELNS0_20block_scan_algorithmE0ELj4294967295EEENS1_25partition_config_selectorILNS1_17partition_subalgoE4EjNS0_10empty_typeEbEEZZNS1_14partition_implILS8_4ELb0ES6_15HIP_vector_typeIjLj2EENS0_17counting_iteratorIjlEEPS9_SG_NS0_5tupleIJPjSI_NS0_16reverse_iteratorISI_EEEEENSH_IJSG_SG_SG_EEES9_SI_JZNS1_25segmented_radix_sort_implINS0_14default_configELb0EPKlPlSQ_SR_N2at6native12_GLOBAL__N_18offset_tEEE10hipError_tPvRmT1_PNSt15iterator_traitsISZ_E10value_typeET2_T3_PNS10_IS15_E10value_typeET4_jRbjT5_S1B_jjP12ihipStream_tbEUljE_ZNSN_ISO_Lb0ESQ_SR_SQ_SR_SV_EESW_SX_SY_SZ_S13_S14_S15_S18_S19_jS1A_jS1B_S1B_jjS1D_bEUljE0_EEESW_SX_SY_S15_S19_S1B_T6_T7_T9_mT8_S1D_bDpT10_ENKUlT_T0_E_clISt17integral_constantIbLb1EES1R_EEDaS1M_S1N_EUlS1M_E_NS1_11comp_targetILNS1_3genE4ELNS1_11target_archE910ELNS1_3gpuE8ELNS1_3repE0EEENS1_30default_config_static_selectorELNS0_4arch9wavefront6targetE0EEEvSZ_,comdat
	.globl	_ZN7rocprim17ROCPRIM_400000_NS6detail17trampoline_kernelINS0_13select_configILj256ELj13ELNS0_17block_load_methodE3ELS4_3ELS4_3ELNS0_20block_scan_algorithmE0ELj4294967295EEENS1_25partition_config_selectorILNS1_17partition_subalgoE4EjNS0_10empty_typeEbEEZZNS1_14partition_implILS8_4ELb0ES6_15HIP_vector_typeIjLj2EENS0_17counting_iteratorIjlEEPS9_SG_NS0_5tupleIJPjSI_NS0_16reverse_iteratorISI_EEEEENSH_IJSG_SG_SG_EEES9_SI_JZNS1_25segmented_radix_sort_implINS0_14default_configELb0EPKlPlSQ_SR_N2at6native12_GLOBAL__N_18offset_tEEE10hipError_tPvRmT1_PNSt15iterator_traitsISZ_E10value_typeET2_T3_PNS10_IS15_E10value_typeET4_jRbjT5_S1B_jjP12ihipStream_tbEUljE_ZNSN_ISO_Lb0ESQ_SR_SQ_SR_SV_EESW_SX_SY_SZ_S13_S14_S15_S18_S19_jS1A_jS1B_S1B_jjS1D_bEUljE0_EEESW_SX_SY_S15_S19_S1B_T6_T7_T9_mT8_S1D_bDpT10_ENKUlT_T0_E_clISt17integral_constantIbLb1EES1R_EEDaS1M_S1N_EUlS1M_E_NS1_11comp_targetILNS1_3genE4ELNS1_11target_archE910ELNS1_3gpuE8ELNS1_3repE0EEENS1_30default_config_static_selectorELNS0_4arch9wavefront6targetE0EEEvSZ_ ; -- Begin function _ZN7rocprim17ROCPRIM_400000_NS6detail17trampoline_kernelINS0_13select_configILj256ELj13ELNS0_17block_load_methodE3ELS4_3ELS4_3ELNS0_20block_scan_algorithmE0ELj4294967295EEENS1_25partition_config_selectorILNS1_17partition_subalgoE4EjNS0_10empty_typeEbEEZZNS1_14partition_implILS8_4ELb0ES6_15HIP_vector_typeIjLj2EENS0_17counting_iteratorIjlEEPS9_SG_NS0_5tupleIJPjSI_NS0_16reverse_iteratorISI_EEEEENSH_IJSG_SG_SG_EEES9_SI_JZNS1_25segmented_radix_sort_implINS0_14default_configELb0EPKlPlSQ_SR_N2at6native12_GLOBAL__N_18offset_tEEE10hipError_tPvRmT1_PNSt15iterator_traitsISZ_E10value_typeET2_T3_PNS10_IS15_E10value_typeET4_jRbjT5_S1B_jjP12ihipStream_tbEUljE_ZNSN_ISO_Lb0ESQ_SR_SQ_SR_SV_EESW_SX_SY_SZ_S13_S14_S15_S18_S19_jS1A_jS1B_S1B_jjS1D_bEUljE0_EEESW_SX_SY_S15_S19_S1B_T6_T7_T9_mT8_S1D_bDpT10_ENKUlT_T0_E_clISt17integral_constantIbLb1EES1R_EEDaS1M_S1N_EUlS1M_E_NS1_11comp_targetILNS1_3genE4ELNS1_11target_archE910ELNS1_3gpuE8ELNS1_3repE0EEENS1_30default_config_static_selectorELNS0_4arch9wavefront6targetE0EEEvSZ_
	.p2align	8
	.type	_ZN7rocprim17ROCPRIM_400000_NS6detail17trampoline_kernelINS0_13select_configILj256ELj13ELNS0_17block_load_methodE3ELS4_3ELS4_3ELNS0_20block_scan_algorithmE0ELj4294967295EEENS1_25partition_config_selectorILNS1_17partition_subalgoE4EjNS0_10empty_typeEbEEZZNS1_14partition_implILS8_4ELb0ES6_15HIP_vector_typeIjLj2EENS0_17counting_iteratorIjlEEPS9_SG_NS0_5tupleIJPjSI_NS0_16reverse_iteratorISI_EEEEENSH_IJSG_SG_SG_EEES9_SI_JZNS1_25segmented_radix_sort_implINS0_14default_configELb0EPKlPlSQ_SR_N2at6native12_GLOBAL__N_18offset_tEEE10hipError_tPvRmT1_PNSt15iterator_traitsISZ_E10value_typeET2_T3_PNS10_IS15_E10value_typeET4_jRbjT5_S1B_jjP12ihipStream_tbEUljE_ZNSN_ISO_Lb0ESQ_SR_SQ_SR_SV_EESW_SX_SY_SZ_S13_S14_S15_S18_S19_jS1A_jS1B_S1B_jjS1D_bEUljE0_EEESW_SX_SY_S15_S19_S1B_T6_T7_T9_mT8_S1D_bDpT10_ENKUlT_T0_E_clISt17integral_constantIbLb1EES1R_EEDaS1M_S1N_EUlS1M_E_NS1_11comp_targetILNS1_3genE4ELNS1_11target_archE910ELNS1_3gpuE8ELNS1_3repE0EEENS1_30default_config_static_selectorELNS0_4arch9wavefront6targetE0EEEvSZ_,@function
_ZN7rocprim17ROCPRIM_400000_NS6detail17trampoline_kernelINS0_13select_configILj256ELj13ELNS0_17block_load_methodE3ELS4_3ELS4_3ELNS0_20block_scan_algorithmE0ELj4294967295EEENS1_25partition_config_selectorILNS1_17partition_subalgoE4EjNS0_10empty_typeEbEEZZNS1_14partition_implILS8_4ELb0ES6_15HIP_vector_typeIjLj2EENS0_17counting_iteratorIjlEEPS9_SG_NS0_5tupleIJPjSI_NS0_16reverse_iteratorISI_EEEEENSH_IJSG_SG_SG_EEES9_SI_JZNS1_25segmented_radix_sort_implINS0_14default_configELb0EPKlPlSQ_SR_N2at6native12_GLOBAL__N_18offset_tEEE10hipError_tPvRmT1_PNSt15iterator_traitsISZ_E10value_typeET2_T3_PNS10_IS15_E10value_typeET4_jRbjT5_S1B_jjP12ihipStream_tbEUljE_ZNSN_ISO_Lb0ESQ_SR_SQ_SR_SV_EESW_SX_SY_SZ_S13_S14_S15_S18_S19_jS1A_jS1B_S1B_jjS1D_bEUljE0_EEESW_SX_SY_S15_S19_S1B_T6_T7_T9_mT8_S1D_bDpT10_ENKUlT_T0_E_clISt17integral_constantIbLb1EES1R_EEDaS1M_S1N_EUlS1M_E_NS1_11comp_targetILNS1_3genE4ELNS1_11target_archE910ELNS1_3gpuE8ELNS1_3repE0EEENS1_30default_config_static_selectorELNS0_4arch9wavefront6targetE0EEEvSZ_: ; @_ZN7rocprim17ROCPRIM_400000_NS6detail17trampoline_kernelINS0_13select_configILj256ELj13ELNS0_17block_load_methodE3ELS4_3ELS4_3ELNS0_20block_scan_algorithmE0ELj4294967295EEENS1_25partition_config_selectorILNS1_17partition_subalgoE4EjNS0_10empty_typeEbEEZZNS1_14partition_implILS8_4ELb0ES6_15HIP_vector_typeIjLj2EENS0_17counting_iteratorIjlEEPS9_SG_NS0_5tupleIJPjSI_NS0_16reverse_iteratorISI_EEEEENSH_IJSG_SG_SG_EEES9_SI_JZNS1_25segmented_radix_sort_implINS0_14default_configELb0EPKlPlSQ_SR_N2at6native12_GLOBAL__N_18offset_tEEE10hipError_tPvRmT1_PNSt15iterator_traitsISZ_E10value_typeET2_T3_PNS10_IS15_E10value_typeET4_jRbjT5_S1B_jjP12ihipStream_tbEUljE_ZNSN_ISO_Lb0ESQ_SR_SQ_SR_SV_EESW_SX_SY_SZ_S13_S14_S15_S18_S19_jS1A_jS1B_S1B_jjS1D_bEUljE0_EEESW_SX_SY_S15_S19_S1B_T6_T7_T9_mT8_S1D_bDpT10_ENKUlT_T0_E_clISt17integral_constantIbLb1EES1R_EEDaS1M_S1N_EUlS1M_E_NS1_11comp_targetILNS1_3genE4ELNS1_11target_archE910ELNS1_3gpuE8ELNS1_3repE0EEENS1_30default_config_static_selectorELNS0_4arch9wavefront6targetE0EEEvSZ_
; %bb.0:
	.section	.rodata,"a",@progbits
	.p2align	6, 0x0
	.amdhsa_kernel _ZN7rocprim17ROCPRIM_400000_NS6detail17trampoline_kernelINS0_13select_configILj256ELj13ELNS0_17block_load_methodE3ELS4_3ELS4_3ELNS0_20block_scan_algorithmE0ELj4294967295EEENS1_25partition_config_selectorILNS1_17partition_subalgoE4EjNS0_10empty_typeEbEEZZNS1_14partition_implILS8_4ELb0ES6_15HIP_vector_typeIjLj2EENS0_17counting_iteratorIjlEEPS9_SG_NS0_5tupleIJPjSI_NS0_16reverse_iteratorISI_EEEEENSH_IJSG_SG_SG_EEES9_SI_JZNS1_25segmented_radix_sort_implINS0_14default_configELb0EPKlPlSQ_SR_N2at6native12_GLOBAL__N_18offset_tEEE10hipError_tPvRmT1_PNSt15iterator_traitsISZ_E10value_typeET2_T3_PNS10_IS15_E10value_typeET4_jRbjT5_S1B_jjP12ihipStream_tbEUljE_ZNSN_ISO_Lb0ESQ_SR_SQ_SR_SV_EESW_SX_SY_SZ_S13_S14_S15_S18_S19_jS1A_jS1B_S1B_jjS1D_bEUljE0_EEESW_SX_SY_S15_S19_S1B_T6_T7_T9_mT8_S1D_bDpT10_ENKUlT_T0_E_clISt17integral_constantIbLb1EES1R_EEDaS1M_S1N_EUlS1M_E_NS1_11comp_targetILNS1_3genE4ELNS1_11target_archE910ELNS1_3gpuE8ELNS1_3repE0EEENS1_30default_config_static_selectorELNS0_4arch9wavefront6targetE0EEEvSZ_
		.amdhsa_group_segment_fixed_size 0
		.amdhsa_private_segment_fixed_size 0
		.amdhsa_kernarg_size 184
		.amdhsa_user_sgpr_count 15
		.amdhsa_user_sgpr_dispatch_ptr 0
		.amdhsa_user_sgpr_queue_ptr 0
		.amdhsa_user_sgpr_kernarg_segment_ptr 1
		.amdhsa_user_sgpr_dispatch_id 0
		.amdhsa_user_sgpr_private_segment_size 0
		.amdhsa_wavefront_size32 1
		.amdhsa_uses_dynamic_stack 0
		.amdhsa_enable_private_segment 0
		.amdhsa_system_sgpr_workgroup_id_x 1
		.amdhsa_system_sgpr_workgroup_id_y 0
		.amdhsa_system_sgpr_workgroup_id_z 0
		.amdhsa_system_sgpr_workgroup_info 0
		.amdhsa_system_vgpr_workitem_id 0
		.amdhsa_next_free_vgpr 1
		.amdhsa_next_free_sgpr 1
		.amdhsa_reserve_vcc 0
		.amdhsa_float_round_mode_32 0
		.amdhsa_float_round_mode_16_64 0
		.amdhsa_float_denorm_mode_32 3
		.amdhsa_float_denorm_mode_16_64 3
		.amdhsa_dx10_clamp 1
		.amdhsa_ieee_mode 1
		.amdhsa_fp16_overflow 0
		.amdhsa_workgroup_processor_mode 1
		.amdhsa_memory_ordered 1
		.amdhsa_forward_progress 0
		.amdhsa_shared_vgpr_count 0
		.amdhsa_exception_fp_ieee_invalid_op 0
		.amdhsa_exception_fp_denorm_src 0
		.amdhsa_exception_fp_ieee_div_zero 0
		.amdhsa_exception_fp_ieee_overflow 0
		.amdhsa_exception_fp_ieee_underflow 0
		.amdhsa_exception_fp_ieee_inexact 0
		.amdhsa_exception_int_div_zero 0
	.end_amdhsa_kernel
	.section	.text._ZN7rocprim17ROCPRIM_400000_NS6detail17trampoline_kernelINS0_13select_configILj256ELj13ELNS0_17block_load_methodE3ELS4_3ELS4_3ELNS0_20block_scan_algorithmE0ELj4294967295EEENS1_25partition_config_selectorILNS1_17partition_subalgoE4EjNS0_10empty_typeEbEEZZNS1_14partition_implILS8_4ELb0ES6_15HIP_vector_typeIjLj2EENS0_17counting_iteratorIjlEEPS9_SG_NS0_5tupleIJPjSI_NS0_16reverse_iteratorISI_EEEEENSH_IJSG_SG_SG_EEES9_SI_JZNS1_25segmented_radix_sort_implINS0_14default_configELb0EPKlPlSQ_SR_N2at6native12_GLOBAL__N_18offset_tEEE10hipError_tPvRmT1_PNSt15iterator_traitsISZ_E10value_typeET2_T3_PNS10_IS15_E10value_typeET4_jRbjT5_S1B_jjP12ihipStream_tbEUljE_ZNSN_ISO_Lb0ESQ_SR_SQ_SR_SV_EESW_SX_SY_SZ_S13_S14_S15_S18_S19_jS1A_jS1B_S1B_jjS1D_bEUljE0_EEESW_SX_SY_S15_S19_S1B_T6_T7_T9_mT8_S1D_bDpT10_ENKUlT_T0_E_clISt17integral_constantIbLb1EES1R_EEDaS1M_S1N_EUlS1M_E_NS1_11comp_targetILNS1_3genE4ELNS1_11target_archE910ELNS1_3gpuE8ELNS1_3repE0EEENS1_30default_config_static_selectorELNS0_4arch9wavefront6targetE0EEEvSZ_,"axG",@progbits,_ZN7rocprim17ROCPRIM_400000_NS6detail17trampoline_kernelINS0_13select_configILj256ELj13ELNS0_17block_load_methodE3ELS4_3ELS4_3ELNS0_20block_scan_algorithmE0ELj4294967295EEENS1_25partition_config_selectorILNS1_17partition_subalgoE4EjNS0_10empty_typeEbEEZZNS1_14partition_implILS8_4ELb0ES6_15HIP_vector_typeIjLj2EENS0_17counting_iteratorIjlEEPS9_SG_NS0_5tupleIJPjSI_NS0_16reverse_iteratorISI_EEEEENSH_IJSG_SG_SG_EEES9_SI_JZNS1_25segmented_radix_sort_implINS0_14default_configELb0EPKlPlSQ_SR_N2at6native12_GLOBAL__N_18offset_tEEE10hipError_tPvRmT1_PNSt15iterator_traitsISZ_E10value_typeET2_T3_PNS10_IS15_E10value_typeET4_jRbjT5_S1B_jjP12ihipStream_tbEUljE_ZNSN_ISO_Lb0ESQ_SR_SQ_SR_SV_EESW_SX_SY_SZ_S13_S14_S15_S18_S19_jS1A_jS1B_S1B_jjS1D_bEUljE0_EEESW_SX_SY_S15_S19_S1B_T6_T7_T9_mT8_S1D_bDpT10_ENKUlT_T0_E_clISt17integral_constantIbLb1EES1R_EEDaS1M_S1N_EUlS1M_E_NS1_11comp_targetILNS1_3genE4ELNS1_11target_archE910ELNS1_3gpuE8ELNS1_3repE0EEENS1_30default_config_static_selectorELNS0_4arch9wavefront6targetE0EEEvSZ_,comdat
.Lfunc_end753:
	.size	_ZN7rocprim17ROCPRIM_400000_NS6detail17trampoline_kernelINS0_13select_configILj256ELj13ELNS0_17block_load_methodE3ELS4_3ELS4_3ELNS0_20block_scan_algorithmE0ELj4294967295EEENS1_25partition_config_selectorILNS1_17partition_subalgoE4EjNS0_10empty_typeEbEEZZNS1_14partition_implILS8_4ELb0ES6_15HIP_vector_typeIjLj2EENS0_17counting_iteratorIjlEEPS9_SG_NS0_5tupleIJPjSI_NS0_16reverse_iteratorISI_EEEEENSH_IJSG_SG_SG_EEES9_SI_JZNS1_25segmented_radix_sort_implINS0_14default_configELb0EPKlPlSQ_SR_N2at6native12_GLOBAL__N_18offset_tEEE10hipError_tPvRmT1_PNSt15iterator_traitsISZ_E10value_typeET2_T3_PNS10_IS15_E10value_typeET4_jRbjT5_S1B_jjP12ihipStream_tbEUljE_ZNSN_ISO_Lb0ESQ_SR_SQ_SR_SV_EESW_SX_SY_SZ_S13_S14_S15_S18_S19_jS1A_jS1B_S1B_jjS1D_bEUljE0_EEESW_SX_SY_S15_S19_S1B_T6_T7_T9_mT8_S1D_bDpT10_ENKUlT_T0_E_clISt17integral_constantIbLb1EES1R_EEDaS1M_S1N_EUlS1M_E_NS1_11comp_targetILNS1_3genE4ELNS1_11target_archE910ELNS1_3gpuE8ELNS1_3repE0EEENS1_30default_config_static_selectorELNS0_4arch9wavefront6targetE0EEEvSZ_, .Lfunc_end753-_ZN7rocprim17ROCPRIM_400000_NS6detail17trampoline_kernelINS0_13select_configILj256ELj13ELNS0_17block_load_methodE3ELS4_3ELS4_3ELNS0_20block_scan_algorithmE0ELj4294967295EEENS1_25partition_config_selectorILNS1_17partition_subalgoE4EjNS0_10empty_typeEbEEZZNS1_14partition_implILS8_4ELb0ES6_15HIP_vector_typeIjLj2EENS0_17counting_iteratorIjlEEPS9_SG_NS0_5tupleIJPjSI_NS0_16reverse_iteratorISI_EEEEENSH_IJSG_SG_SG_EEES9_SI_JZNS1_25segmented_radix_sort_implINS0_14default_configELb0EPKlPlSQ_SR_N2at6native12_GLOBAL__N_18offset_tEEE10hipError_tPvRmT1_PNSt15iterator_traitsISZ_E10value_typeET2_T3_PNS10_IS15_E10value_typeET4_jRbjT5_S1B_jjP12ihipStream_tbEUljE_ZNSN_ISO_Lb0ESQ_SR_SQ_SR_SV_EESW_SX_SY_SZ_S13_S14_S15_S18_S19_jS1A_jS1B_S1B_jjS1D_bEUljE0_EEESW_SX_SY_S15_S19_S1B_T6_T7_T9_mT8_S1D_bDpT10_ENKUlT_T0_E_clISt17integral_constantIbLb1EES1R_EEDaS1M_S1N_EUlS1M_E_NS1_11comp_targetILNS1_3genE4ELNS1_11target_archE910ELNS1_3gpuE8ELNS1_3repE0EEENS1_30default_config_static_selectorELNS0_4arch9wavefront6targetE0EEEvSZ_
                                        ; -- End function
	.section	.AMDGPU.csdata,"",@progbits
; Kernel info:
; codeLenInByte = 0
; NumSgprs: 0
; NumVgprs: 0
; ScratchSize: 0
; MemoryBound: 0
; FloatMode: 240
; IeeeMode: 1
; LDSByteSize: 0 bytes/workgroup (compile time only)
; SGPRBlocks: 0
; VGPRBlocks: 0
; NumSGPRsForWavesPerEU: 1
; NumVGPRsForWavesPerEU: 1
; Occupancy: 16
; WaveLimiterHint : 0
; COMPUTE_PGM_RSRC2:SCRATCH_EN: 0
; COMPUTE_PGM_RSRC2:USER_SGPR: 15
; COMPUTE_PGM_RSRC2:TRAP_HANDLER: 0
; COMPUTE_PGM_RSRC2:TGID_X_EN: 1
; COMPUTE_PGM_RSRC2:TGID_Y_EN: 0
; COMPUTE_PGM_RSRC2:TGID_Z_EN: 0
; COMPUTE_PGM_RSRC2:TIDIG_COMP_CNT: 0
	.section	.text._ZN7rocprim17ROCPRIM_400000_NS6detail17trampoline_kernelINS0_13select_configILj256ELj13ELNS0_17block_load_methodE3ELS4_3ELS4_3ELNS0_20block_scan_algorithmE0ELj4294967295EEENS1_25partition_config_selectorILNS1_17partition_subalgoE4EjNS0_10empty_typeEbEEZZNS1_14partition_implILS8_4ELb0ES6_15HIP_vector_typeIjLj2EENS0_17counting_iteratorIjlEEPS9_SG_NS0_5tupleIJPjSI_NS0_16reverse_iteratorISI_EEEEENSH_IJSG_SG_SG_EEES9_SI_JZNS1_25segmented_radix_sort_implINS0_14default_configELb0EPKlPlSQ_SR_N2at6native12_GLOBAL__N_18offset_tEEE10hipError_tPvRmT1_PNSt15iterator_traitsISZ_E10value_typeET2_T3_PNS10_IS15_E10value_typeET4_jRbjT5_S1B_jjP12ihipStream_tbEUljE_ZNSN_ISO_Lb0ESQ_SR_SQ_SR_SV_EESW_SX_SY_SZ_S13_S14_S15_S18_S19_jS1A_jS1B_S1B_jjS1D_bEUljE0_EEESW_SX_SY_S15_S19_S1B_T6_T7_T9_mT8_S1D_bDpT10_ENKUlT_T0_E_clISt17integral_constantIbLb1EES1R_EEDaS1M_S1N_EUlS1M_E_NS1_11comp_targetILNS1_3genE3ELNS1_11target_archE908ELNS1_3gpuE7ELNS1_3repE0EEENS1_30default_config_static_selectorELNS0_4arch9wavefront6targetE0EEEvSZ_,"axG",@progbits,_ZN7rocprim17ROCPRIM_400000_NS6detail17trampoline_kernelINS0_13select_configILj256ELj13ELNS0_17block_load_methodE3ELS4_3ELS4_3ELNS0_20block_scan_algorithmE0ELj4294967295EEENS1_25partition_config_selectorILNS1_17partition_subalgoE4EjNS0_10empty_typeEbEEZZNS1_14partition_implILS8_4ELb0ES6_15HIP_vector_typeIjLj2EENS0_17counting_iteratorIjlEEPS9_SG_NS0_5tupleIJPjSI_NS0_16reverse_iteratorISI_EEEEENSH_IJSG_SG_SG_EEES9_SI_JZNS1_25segmented_radix_sort_implINS0_14default_configELb0EPKlPlSQ_SR_N2at6native12_GLOBAL__N_18offset_tEEE10hipError_tPvRmT1_PNSt15iterator_traitsISZ_E10value_typeET2_T3_PNS10_IS15_E10value_typeET4_jRbjT5_S1B_jjP12ihipStream_tbEUljE_ZNSN_ISO_Lb0ESQ_SR_SQ_SR_SV_EESW_SX_SY_SZ_S13_S14_S15_S18_S19_jS1A_jS1B_S1B_jjS1D_bEUljE0_EEESW_SX_SY_S15_S19_S1B_T6_T7_T9_mT8_S1D_bDpT10_ENKUlT_T0_E_clISt17integral_constantIbLb1EES1R_EEDaS1M_S1N_EUlS1M_E_NS1_11comp_targetILNS1_3genE3ELNS1_11target_archE908ELNS1_3gpuE7ELNS1_3repE0EEENS1_30default_config_static_selectorELNS0_4arch9wavefront6targetE0EEEvSZ_,comdat
	.globl	_ZN7rocprim17ROCPRIM_400000_NS6detail17trampoline_kernelINS0_13select_configILj256ELj13ELNS0_17block_load_methodE3ELS4_3ELS4_3ELNS0_20block_scan_algorithmE0ELj4294967295EEENS1_25partition_config_selectorILNS1_17partition_subalgoE4EjNS0_10empty_typeEbEEZZNS1_14partition_implILS8_4ELb0ES6_15HIP_vector_typeIjLj2EENS0_17counting_iteratorIjlEEPS9_SG_NS0_5tupleIJPjSI_NS0_16reverse_iteratorISI_EEEEENSH_IJSG_SG_SG_EEES9_SI_JZNS1_25segmented_radix_sort_implINS0_14default_configELb0EPKlPlSQ_SR_N2at6native12_GLOBAL__N_18offset_tEEE10hipError_tPvRmT1_PNSt15iterator_traitsISZ_E10value_typeET2_T3_PNS10_IS15_E10value_typeET4_jRbjT5_S1B_jjP12ihipStream_tbEUljE_ZNSN_ISO_Lb0ESQ_SR_SQ_SR_SV_EESW_SX_SY_SZ_S13_S14_S15_S18_S19_jS1A_jS1B_S1B_jjS1D_bEUljE0_EEESW_SX_SY_S15_S19_S1B_T6_T7_T9_mT8_S1D_bDpT10_ENKUlT_T0_E_clISt17integral_constantIbLb1EES1R_EEDaS1M_S1N_EUlS1M_E_NS1_11comp_targetILNS1_3genE3ELNS1_11target_archE908ELNS1_3gpuE7ELNS1_3repE0EEENS1_30default_config_static_selectorELNS0_4arch9wavefront6targetE0EEEvSZ_ ; -- Begin function _ZN7rocprim17ROCPRIM_400000_NS6detail17trampoline_kernelINS0_13select_configILj256ELj13ELNS0_17block_load_methodE3ELS4_3ELS4_3ELNS0_20block_scan_algorithmE0ELj4294967295EEENS1_25partition_config_selectorILNS1_17partition_subalgoE4EjNS0_10empty_typeEbEEZZNS1_14partition_implILS8_4ELb0ES6_15HIP_vector_typeIjLj2EENS0_17counting_iteratorIjlEEPS9_SG_NS0_5tupleIJPjSI_NS0_16reverse_iteratorISI_EEEEENSH_IJSG_SG_SG_EEES9_SI_JZNS1_25segmented_radix_sort_implINS0_14default_configELb0EPKlPlSQ_SR_N2at6native12_GLOBAL__N_18offset_tEEE10hipError_tPvRmT1_PNSt15iterator_traitsISZ_E10value_typeET2_T3_PNS10_IS15_E10value_typeET4_jRbjT5_S1B_jjP12ihipStream_tbEUljE_ZNSN_ISO_Lb0ESQ_SR_SQ_SR_SV_EESW_SX_SY_SZ_S13_S14_S15_S18_S19_jS1A_jS1B_S1B_jjS1D_bEUljE0_EEESW_SX_SY_S15_S19_S1B_T6_T7_T9_mT8_S1D_bDpT10_ENKUlT_T0_E_clISt17integral_constantIbLb1EES1R_EEDaS1M_S1N_EUlS1M_E_NS1_11comp_targetILNS1_3genE3ELNS1_11target_archE908ELNS1_3gpuE7ELNS1_3repE0EEENS1_30default_config_static_selectorELNS0_4arch9wavefront6targetE0EEEvSZ_
	.p2align	8
	.type	_ZN7rocprim17ROCPRIM_400000_NS6detail17trampoline_kernelINS0_13select_configILj256ELj13ELNS0_17block_load_methodE3ELS4_3ELS4_3ELNS0_20block_scan_algorithmE0ELj4294967295EEENS1_25partition_config_selectorILNS1_17partition_subalgoE4EjNS0_10empty_typeEbEEZZNS1_14partition_implILS8_4ELb0ES6_15HIP_vector_typeIjLj2EENS0_17counting_iteratorIjlEEPS9_SG_NS0_5tupleIJPjSI_NS0_16reverse_iteratorISI_EEEEENSH_IJSG_SG_SG_EEES9_SI_JZNS1_25segmented_radix_sort_implINS0_14default_configELb0EPKlPlSQ_SR_N2at6native12_GLOBAL__N_18offset_tEEE10hipError_tPvRmT1_PNSt15iterator_traitsISZ_E10value_typeET2_T3_PNS10_IS15_E10value_typeET4_jRbjT5_S1B_jjP12ihipStream_tbEUljE_ZNSN_ISO_Lb0ESQ_SR_SQ_SR_SV_EESW_SX_SY_SZ_S13_S14_S15_S18_S19_jS1A_jS1B_S1B_jjS1D_bEUljE0_EEESW_SX_SY_S15_S19_S1B_T6_T7_T9_mT8_S1D_bDpT10_ENKUlT_T0_E_clISt17integral_constantIbLb1EES1R_EEDaS1M_S1N_EUlS1M_E_NS1_11comp_targetILNS1_3genE3ELNS1_11target_archE908ELNS1_3gpuE7ELNS1_3repE0EEENS1_30default_config_static_selectorELNS0_4arch9wavefront6targetE0EEEvSZ_,@function
_ZN7rocprim17ROCPRIM_400000_NS6detail17trampoline_kernelINS0_13select_configILj256ELj13ELNS0_17block_load_methodE3ELS4_3ELS4_3ELNS0_20block_scan_algorithmE0ELj4294967295EEENS1_25partition_config_selectorILNS1_17partition_subalgoE4EjNS0_10empty_typeEbEEZZNS1_14partition_implILS8_4ELb0ES6_15HIP_vector_typeIjLj2EENS0_17counting_iteratorIjlEEPS9_SG_NS0_5tupleIJPjSI_NS0_16reverse_iteratorISI_EEEEENSH_IJSG_SG_SG_EEES9_SI_JZNS1_25segmented_radix_sort_implINS0_14default_configELb0EPKlPlSQ_SR_N2at6native12_GLOBAL__N_18offset_tEEE10hipError_tPvRmT1_PNSt15iterator_traitsISZ_E10value_typeET2_T3_PNS10_IS15_E10value_typeET4_jRbjT5_S1B_jjP12ihipStream_tbEUljE_ZNSN_ISO_Lb0ESQ_SR_SQ_SR_SV_EESW_SX_SY_SZ_S13_S14_S15_S18_S19_jS1A_jS1B_S1B_jjS1D_bEUljE0_EEESW_SX_SY_S15_S19_S1B_T6_T7_T9_mT8_S1D_bDpT10_ENKUlT_T0_E_clISt17integral_constantIbLb1EES1R_EEDaS1M_S1N_EUlS1M_E_NS1_11comp_targetILNS1_3genE3ELNS1_11target_archE908ELNS1_3gpuE7ELNS1_3repE0EEENS1_30default_config_static_selectorELNS0_4arch9wavefront6targetE0EEEvSZ_: ; @_ZN7rocprim17ROCPRIM_400000_NS6detail17trampoline_kernelINS0_13select_configILj256ELj13ELNS0_17block_load_methodE3ELS4_3ELS4_3ELNS0_20block_scan_algorithmE0ELj4294967295EEENS1_25partition_config_selectorILNS1_17partition_subalgoE4EjNS0_10empty_typeEbEEZZNS1_14partition_implILS8_4ELb0ES6_15HIP_vector_typeIjLj2EENS0_17counting_iteratorIjlEEPS9_SG_NS0_5tupleIJPjSI_NS0_16reverse_iteratorISI_EEEEENSH_IJSG_SG_SG_EEES9_SI_JZNS1_25segmented_radix_sort_implINS0_14default_configELb0EPKlPlSQ_SR_N2at6native12_GLOBAL__N_18offset_tEEE10hipError_tPvRmT1_PNSt15iterator_traitsISZ_E10value_typeET2_T3_PNS10_IS15_E10value_typeET4_jRbjT5_S1B_jjP12ihipStream_tbEUljE_ZNSN_ISO_Lb0ESQ_SR_SQ_SR_SV_EESW_SX_SY_SZ_S13_S14_S15_S18_S19_jS1A_jS1B_S1B_jjS1D_bEUljE0_EEESW_SX_SY_S15_S19_S1B_T6_T7_T9_mT8_S1D_bDpT10_ENKUlT_T0_E_clISt17integral_constantIbLb1EES1R_EEDaS1M_S1N_EUlS1M_E_NS1_11comp_targetILNS1_3genE3ELNS1_11target_archE908ELNS1_3gpuE7ELNS1_3repE0EEENS1_30default_config_static_selectorELNS0_4arch9wavefront6targetE0EEEvSZ_
; %bb.0:
	.section	.rodata,"a",@progbits
	.p2align	6, 0x0
	.amdhsa_kernel _ZN7rocprim17ROCPRIM_400000_NS6detail17trampoline_kernelINS0_13select_configILj256ELj13ELNS0_17block_load_methodE3ELS4_3ELS4_3ELNS0_20block_scan_algorithmE0ELj4294967295EEENS1_25partition_config_selectorILNS1_17partition_subalgoE4EjNS0_10empty_typeEbEEZZNS1_14partition_implILS8_4ELb0ES6_15HIP_vector_typeIjLj2EENS0_17counting_iteratorIjlEEPS9_SG_NS0_5tupleIJPjSI_NS0_16reverse_iteratorISI_EEEEENSH_IJSG_SG_SG_EEES9_SI_JZNS1_25segmented_radix_sort_implINS0_14default_configELb0EPKlPlSQ_SR_N2at6native12_GLOBAL__N_18offset_tEEE10hipError_tPvRmT1_PNSt15iterator_traitsISZ_E10value_typeET2_T3_PNS10_IS15_E10value_typeET4_jRbjT5_S1B_jjP12ihipStream_tbEUljE_ZNSN_ISO_Lb0ESQ_SR_SQ_SR_SV_EESW_SX_SY_SZ_S13_S14_S15_S18_S19_jS1A_jS1B_S1B_jjS1D_bEUljE0_EEESW_SX_SY_S15_S19_S1B_T6_T7_T9_mT8_S1D_bDpT10_ENKUlT_T0_E_clISt17integral_constantIbLb1EES1R_EEDaS1M_S1N_EUlS1M_E_NS1_11comp_targetILNS1_3genE3ELNS1_11target_archE908ELNS1_3gpuE7ELNS1_3repE0EEENS1_30default_config_static_selectorELNS0_4arch9wavefront6targetE0EEEvSZ_
		.amdhsa_group_segment_fixed_size 0
		.amdhsa_private_segment_fixed_size 0
		.amdhsa_kernarg_size 184
		.amdhsa_user_sgpr_count 15
		.amdhsa_user_sgpr_dispatch_ptr 0
		.amdhsa_user_sgpr_queue_ptr 0
		.amdhsa_user_sgpr_kernarg_segment_ptr 1
		.amdhsa_user_sgpr_dispatch_id 0
		.amdhsa_user_sgpr_private_segment_size 0
		.amdhsa_wavefront_size32 1
		.amdhsa_uses_dynamic_stack 0
		.amdhsa_enable_private_segment 0
		.amdhsa_system_sgpr_workgroup_id_x 1
		.amdhsa_system_sgpr_workgroup_id_y 0
		.amdhsa_system_sgpr_workgroup_id_z 0
		.amdhsa_system_sgpr_workgroup_info 0
		.amdhsa_system_vgpr_workitem_id 0
		.amdhsa_next_free_vgpr 1
		.amdhsa_next_free_sgpr 1
		.amdhsa_reserve_vcc 0
		.amdhsa_float_round_mode_32 0
		.amdhsa_float_round_mode_16_64 0
		.amdhsa_float_denorm_mode_32 3
		.amdhsa_float_denorm_mode_16_64 3
		.amdhsa_dx10_clamp 1
		.amdhsa_ieee_mode 1
		.amdhsa_fp16_overflow 0
		.amdhsa_workgroup_processor_mode 1
		.amdhsa_memory_ordered 1
		.amdhsa_forward_progress 0
		.amdhsa_shared_vgpr_count 0
		.amdhsa_exception_fp_ieee_invalid_op 0
		.amdhsa_exception_fp_denorm_src 0
		.amdhsa_exception_fp_ieee_div_zero 0
		.amdhsa_exception_fp_ieee_overflow 0
		.amdhsa_exception_fp_ieee_underflow 0
		.amdhsa_exception_fp_ieee_inexact 0
		.amdhsa_exception_int_div_zero 0
	.end_amdhsa_kernel
	.section	.text._ZN7rocprim17ROCPRIM_400000_NS6detail17trampoline_kernelINS0_13select_configILj256ELj13ELNS0_17block_load_methodE3ELS4_3ELS4_3ELNS0_20block_scan_algorithmE0ELj4294967295EEENS1_25partition_config_selectorILNS1_17partition_subalgoE4EjNS0_10empty_typeEbEEZZNS1_14partition_implILS8_4ELb0ES6_15HIP_vector_typeIjLj2EENS0_17counting_iteratorIjlEEPS9_SG_NS0_5tupleIJPjSI_NS0_16reverse_iteratorISI_EEEEENSH_IJSG_SG_SG_EEES9_SI_JZNS1_25segmented_radix_sort_implINS0_14default_configELb0EPKlPlSQ_SR_N2at6native12_GLOBAL__N_18offset_tEEE10hipError_tPvRmT1_PNSt15iterator_traitsISZ_E10value_typeET2_T3_PNS10_IS15_E10value_typeET4_jRbjT5_S1B_jjP12ihipStream_tbEUljE_ZNSN_ISO_Lb0ESQ_SR_SQ_SR_SV_EESW_SX_SY_SZ_S13_S14_S15_S18_S19_jS1A_jS1B_S1B_jjS1D_bEUljE0_EEESW_SX_SY_S15_S19_S1B_T6_T7_T9_mT8_S1D_bDpT10_ENKUlT_T0_E_clISt17integral_constantIbLb1EES1R_EEDaS1M_S1N_EUlS1M_E_NS1_11comp_targetILNS1_3genE3ELNS1_11target_archE908ELNS1_3gpuE7ELNS1_3repE0EEENS1_30default_config_static_selectorELNS0_4arch9wavefront6targetE0EEEvSZ_,"axG",@progbits,_ZN7rocprim17ROCPRIM_400000_NS6detail17trampoline_kernelINS0_13select_configILj256ELj13ELNS0_17block_load_methodE3ELS4_3ELS4_3ELNS0_20block_scan_algorithmE0ELj4294967295EEENS1_25partition_config_selectorILNS1_17partition_subalgoE4EjNS0_10empty_typeEbEEZZNS1_14partition_implILS8_4ELb0ES6_15HIP_vector_typeIjLj2EENS0_17counting_iteratorIjlEEPS9_SG_NS0_5tupleIJPjSI_NS0_16reverse_iteratorISI_EEEEENSH_IJSG_SG_SG_EEES9_SI_JZNS1_25segmented_radix_sort_implINS0_14default_configELb0EPKlPlSQ_SR_N2at6native12_GLOBAL__N_18offset_tEEE10hipError_tPvRmT1_PNSt15iterator_traitsISZ_E10value_typeET2_T3_PNS10_IS15_E10value_typeET4_jRbjT5_S1B_jjP12ihipStream_tbEUljE_ZNSN_ISO_Lb0ESQ_SR_SQ_SR_SV_EESW_SX_SY_SZ_S13_S14_S15_S18_S19_jS1A_jS1B_S1B_jjS1D_bEUljE0_EEESW_SX_SY_S15_S19_S1B_T6_T7_T9_mT8_S1D_bDpT10_ENKUlT_T0_E_clISt17integral_constantIbLb1EES1R_EEDaS1M_S1N_EUlS1M_E_NS1_11comp_targetILNS1_3genE3ELNS1_11target_archE908ELNS1_3gpuE7ELNS1_3repE0EEENS1_30default_config_static_selectorELNS0_4arch9wavefront6targetE0EEEvSZ_,comdat
.Lfunc_end754:
	.size	_ZN7rocprim17ROCPRIM_400000_NS6detail17trampoline_kernelINS0_13select_configILj256ELj13ELNS0_17block_load_methodE3ELS4_3ELS4_3ELNS0_20block_scan_algorithmE0ELj4294967295EEENS1_25partition_config_selectorILNS1_17partition_subalgoE4EjNS0_10empty_typeEbEEZZNS1_14partition_implILS8_4ELb0ES6_15HIP_vector_typeIjLj2EENS0_17counting_iteratorIjlEEPS9_SG_NS0_5tupleIJPjSI_NS0_16reverse_iteratorISI_EEEEENSH_IJSG_SG_SG_EEES9_SI_JZNS1_25segmented_radix_sort_implINS0_14default_configELb0EPKlPlSQ_SR_N2at6native12_GLOBAL__N_18offset_tEEE10hipError_tPvRmT1_PNSt15iterator_traitsISZ_E10value_typeET2_T3_PNS10_IS15_E10value_typeET4_jRbjT5_S1B_jjP12ihipStream_tbEUljE_ZNSN_ISO_Lb0ESQ_SR_SQ_SR_SV_EESW_SX_SY_SZ_S13_S14_S15_S18_S19_jS1A_jS1B_S1B_jjS1D_bEUljE0_EEESW_SX_SY_S15_S19_S1B_T6_T7_T9_mT8_S1D_bDpT10_ENKUlT_T0_E_clISt17integral_constantIbLb1EES1R_EEDaS1M_S1N_EUlS1M_E_NS1_11comp_targetILNS1_3genE3ELNS1_11target_archE908ELNS1_3gpuE7ELNS1_3repE0EEENS1_30default_config_static_selectorELNS0_4arch9wavefront6targetE0EEEvSZ_, .Lfunc_end754-_ZN7rocprim17ROCPRIM_400000_NS6detail17trampoline_kernelINS0_13select_configILj256ELj13ELNS0_17block_load_methodE3ELS4_3ELS4_3ELNS0_20block_scan_algorithmE0ELj4294967295EEENS1_25partition_config_selectorILNS1_17partition_subalgoE4EjNS0_10empty_typeEbEEZZNS1_14partition_implILS8_4ELb0ES6_15HIP_vector_typeIjLj2EENS0_17counting_iteratorIjlEEPS9_SG_NS0_5tupleIJPjSI_NS0_16reverse_iteratorISI_EEEEENSH_IJSG_SG_SG_EEES9_SI_JZNS1_25segmented_radix_sort_implINS0_14default_configELb0EPKlPlSQ_SR_N2at6native12_GLOBAL__N_18offset_tEEE10hipError_tPvRmT1_PNSt15iterator_traitsISZ_E10value_typeET2_T3_PNS10_IS15_E10value_typeET4_jRbjT5_S1B_jjP12ihipStream_tbEUljE_ZNSN_ISO_Lb0ESQ_SR_SQ_SR_SV_EESW_SX_SY_SZ_S13_S14_S15_S18_S19_jS1A_jS1B_S1B_jjS1D_bEUljE0_EEESW_SX_SY_S15_S19_S1B_T6_T7_T9_mT8_S1D_bDpT10_ENKUlT_T0_E_clISt17integral_constantIbLb1EES1R_EEDaS1M_S1N_EUlS1M_E_NS1_11comp_targetILNS1_3genE3ELNS1_11target_archE908ELNS1_3gpuE7ELNS1_3repE0EEENS1_30default_config_static_selectorELNS0_4arch9wavefront6targetE0EEEvSZ_
                                        ; -- End function
	.section	.AMDGPU.csdata,"",@progbits
; Kernel info:
; codeLenInByte = 0
; NumSgprs: 0
; NumVgprs: 0
; ScratchSize: 0
; MemoryBound: 0
; FloatMode: 240
; IeeeMode: 1
; LDSByteSize: 0 bytes/workgroup (compile time only)
; SGPRBlocks: 0
; VGPRBlocks: 0
; NumSGPRsForWavesPerEU: 1
; NumVGPRsForWavesPerEU: 1
; Occupancy: 16
; WaveLimiterHint : 0
; COMPUTE_PGM_RSRC2:SCRATCH_EN: 0
; COMPUTE_PGM_RSRC2:USER_SGPR: 15
; COMPUTE_PGM_RSRC2:TRAP_HANDLER: 0
; COMPUTE_PGM_RSRC2:TGID_X_EN: 1
; COMPUTE_PGM_RSRC2:TGID_Y_EN: 0
; COMPUTE_PGM_RSRC2:TGID_Z_EN: 0
; COMPUTE_PGM_RSRC2:TIDIG_COMP_CNT: 0
	.section	.text._ZN7rocprim17ROCPRIM_400000_NS6detail17trampoline_kernelINS0_13select_configILj256ELj13ELNS0_17block_load_methodE3ELS4_3ELS4_3ELNS0_20block_scan_algorithmE0ELj4294967295EEENS1_25partition_config_selectorILNS1_17partition_subalgoE4EjNS0_10empty_typeEbEEZZNS1_14partition_implILS8_4ELb0ES6_15HIP_vector_typeIjLj2EENS0_17counting_iteratorIjlEEPS9_SG_NS0_5tupleIJPjSI_NS0_16reverse_iteratorISI_EEEEENSH_IJSG_SG_SG_EEES9_SI_JZNS1_25segmented_radix_sort_implINS0_14default_configELb0EPKlPlSQ_SR_N2at6native12_GLOBAL__N_18offset_tEEE10hipError_tPvRmT1_PNSt15iterator_traitsISZ_E10value_typeET2_T3_PNS10_IS15_E10value_typeET4_jRbjT5_S1B_jjP12ihipStream_tbEUljE_ZNSN_ISO_Lb0ESQ_SR_SQ_SR_SV_EESW_SX_SY_SZ_S13_S14_S15_S18_S19_jS1A_jS1B_S1B_jjS1D_bEUljE0_EEESW_SX_SY_S15_S19_S1B_T6_T7_T9_mT8_S1D_bDpT10_ENKUlT_T0_E_clISt17integral_constantIbLb1EES1R_EEDaS1M_S1N_EUlS1M_E_NS1_11comp_targetILNS1_3genE2ELNS1_11target_archE906ELNS1_3gpuE6ELNS1_3repE0EEENS1_30default_config_static_selectorELNS0_4arch9wavefront6targetE0EEEvSZ_,"axG",@progbits,_ZN7rocprim17ROCPRIM_400000_NS6detail17trampoline_kernelINS0_13select_configILj256ELj13ELNS0_17block_load_methodE3ELS4_3ELS4_3ELNS0_20block_scan_algorithmE0ELj4294967295EEENS1_25partition_config_selectorILNS1_17partition_subalgoE4EjNS0_10empty_typeEbEEZZNS1_14partition_implILS8_4ELb0ES6_15HIP_vector_typeIjLj2EENS0_17counting_iteratorIjlEEPS9_SG_NS0_5tupleIJPjSI_NS0_16reverse_iteratorISI_EEEEENSH_IJSG_SG_SG_EEES9_SI_JZNS1_25segmented_radix_sort_implINS0_14default_configELb0EPKlPlSQ_SR_N2at6native12_GLOBAL__N_18offset_tEEE10hipError_tPvRmT1_PNSt15iterator_traitsISZ_E10value_typeET2_T3_PNS10_IS15_E10value_typeET4_jRbjT5_S1B_jjP12ihipStream_tbEUljE_ZNSN_ISO_Lb0ESQ_SR_SQ_SR_SV_EESW_SX_SY_SZ_S13_S14_S15_S18_S19_jS1A_jS1B_S1B_jjS1D_bEUljE0_EEESW_SX_SY_S15_S19_S1B_T6_T7_T9_mT8_S1D_bDpT10_ENKUlT_T0_E_clISt17integral_constantIbLb1EES1R_EEDaS1M_S1N_EUlS1M_E_NS1_11comp_targetILNS1_3genE2ELNS1_11target_archE906ELNS1_3gpuE6ELNS1_3repE0EEENS1_30default_config_static_selectorELNS0_4arch9wavefront6targetE0EEEvSZ_,comdat
	.globl	_ZN7rocprim17ROCPRIM_400000_NS6detail17trampoline_kernelINS0_13select_configILj256ELj13ELNS0_17block_load_methodE3ELS4_3ELS4_3ELNS0_20block_scan_algorithmE0ELj4294967295EEENS1_25partition_config_selectorILNS1_17partition_subalgoE4EjNS0_10empty_typeEbEEZZNS1_14partition_implILS8_4ELb0ES6_15HIP_vector_typeIjLj2EENS0_17counting_iteratorIjlEEPS9_SG_NS0_5tupleIJPjSI_NS0_16reverse_iteratorISI_EEEEENSH_IJSG_SG_SG_EEES9_SI_JZNS1_25segmented_radix_sort_implINS0_14default_configELb0EPKlPlSQ_SR_N2at6native12_GLOBAL__N_18offset_tEEE10hipError_tPvRmT1_PNSt15iterator_traitsISZ_E10value_typeET2_T3_PNS10_IS15_E10value_typeET4_jRbjT5_S1B_jjP12ihipStream_tbEUljE_ZNSN_ISO_Lb0ESQ_SR_SQ_SR_SV_EESW_SX_SY_SZ_S13_S14_S15_S18_S19_jS1A_jS1B_S1B_jjS1D_bEUljE0_EEESW_SX_SY_S15_S19_S1B_T6_T7_T9_mT8_S1D_bDpT10_ENKUlT_T0_E_clISt17integral_constantIbLb1EES1R_EEDaS1M_S1N_EUlS1M_E_NS1_11comp_targetILNS1_3genE2ELNS1_11target_archE906ELNS1_3gpuE6ELNS1_3repE0EEENS1_30default_config_static_selectorELNS0_4arch9wavefront6targetE0EEEvSZ_ ; -- Begin function _ZN7rocprim17ROCPRIM_400000_NS6detail17trampoline_kernelINS0_13select_configILj256ELj13ELNS0_17block_load_methodE3ELS4_3ELS4_3ELNS0_20block_scan_algorithmE0ELj4294967295EEENS1_25partition_config_selectorILNS1_17partition_subalgoE4EjNS0_10empty_typeEbEEZZNS1_14partition_implILS8_4ELb0ES6_15HIP_vector_typeIjLj2EENS0_17counting_iteratorIjlEEPS9_SG_NS0_5tupleIJPjSI_NS0_16reverse_iteratorISI_EEEEENSH_IJSG_SG_SG_EEES9_SI_JZNS1_25segmented_radix_sort_implINS0_14default_configELb0EPKlPlSQ_SR_N2at6native12_GLOBAL__N_18offset_tEEE10hipError_tPvRmT1_PNSt15iterator_traitsISZ_E10value_typeET2_T3_PNS10_IS15_E10value_typeET4_jRbjT5_S1B_jjP12ihipStream_tbEUljE_ZNSN_ISO_Lb0ESQ_SR_SQ_SR_SV_EESW_SX_SY_SZ_S13_S14_S15_S18_S19_jS1A_jS1B_S1B_jjS1D_bEUljE0_EEESW_SX_SY_S15_S19_S1B_T6_T7_T9_mT8_S1D_bDpT10_ENKUlT_T0_E_clISt17integral_constantIbLb1EES1R_EEDaS1M_S1N_EUlS1M_E_NS1_11comp_targetILNS1_3genE2ELNS1_11target_archE906ELNS1_3gpuE6ELNS1_3repE0EEENS1_30default_config_static_selectorELNS0_4arch9wavefront6targetE0EEEvSZ_
	.p2align	8
	.type	_ZN7rocprim17ROCPRIM_400000_NS6detail17trampoline_kernelINS0_13select_configILj256ELj13ELNS0_17block_load_methodE3ELS4_3ELS4_3ELNS0_20block_scan_algorithmE0ELj4294967295EEENS1_25partition_config_selectorILNS1_17partition_subalgoE4EjNS0_10empty_typeEbEEZZNS1_14partition_implILS8_4ELb0ES6_15HIP_vector_typeIjLj2EENS0_17counting_iteratorIjlEEPS9_SG_NS0_5tupleIJPjSI_NS0_16reverse_iteratorISI_EEEEENSH_IJSG_SG_SG_EEES9_SI_JZNS1_25segmented_radix_sort_implINS0_14default_configELb0EPKlPlSQ_SR_N2at6native12_GLOBAL__N_18offset_tEEE10hipError_tPvRmT1_PNSt15iterator_traitsISZ_E10value_typeET2_T3_PNS10_IS15_E10value_typeET4_jRbjT5_S1B_jjP12ihipStream_tbEUljE_ZNSN_ISO_Lb0ESQ_SR_SQ_SR_SV_EESW_SX_SY_SZ_S13_S14_S15_S18_S19_jS1A_jS1B_S1B_jjS1D_bEUljE0_EEESW_SX_SY_S15_S19_S1B_T6_T7_T9_mT8_S1D_bDpT10_ENKUlT_T0_E_clISt17integral_constantIbLb1EES1R_EEDaS1M_S1N_EUlS1M_E_NS1_11comp_targetILNS1_3genE2ELNS1_11target_archE906ELNS1_3gpuE6ELNS1_3repE0EEENS1_30default_config_static_selectorELNS0_4arch9wavefront6targetE0EEEvSZ_,@function
_ZN7rocprim17ROCPRIM_400000_NS6detail17trampoline_kernelINS0_13select_configILj256ELj13ELNS0_17block_load_methodE3ELS4_3ELS4_3ELNS0_20block_scan_algorithmE0ELj4294967295EEENS1_25partition_config_selectorILNS1_17partition_subalgoE4EjNS0_10empty_typeEbEEZZNS1_14partition_implILS8_4ELb0ES6_15HIP_vector_typeIjLj2EENS0_17counting_iteratorIjlEEPS9_SG_NS0_5tupleIJPjSI_NS0_16reverse_iteratorISI_EEEEENSH_IJSG_SG_SG_EEES9_SI_JZNS1_25segmented_radix_sort_implINS0_14default_configELb0EPKlPlSQ_SR_N2at6native12_GLOBAL__N_18offset_tEEE10hipError_tPvRmT1_PNSt15iterator_traitsISZ_E10value_typeET2_T3_PNS10_IS15_E10value_typeET4_jRbjT5_S1B_jjP12ihipStream_tbEUljE_ZNSN_ISO_Lb0ESQ_SR_SQ_SR_SV_EESW_SX_SY_SZ_S13_S14_S15_S18_S19_jS1A_jS1B_S1B_jjS1D_bEUljE0_EEESW_SX_SY_S15_S19_S1B_T6_T7_T9_mT8_S1D_bDpT10_ENKUlT_T0_E_clISt17integral_constantIbLb1EES1R_EEDaS1M_S1N_EUlS1M_E_NS1_11comp_targetILNS1_3genE2ELNS1_11target_archE906ELNS1_3gpuE6ELNS1_3repE0EEENS1_30default_config_static_selectorELNS0_4arch9wavefront6targetE0EEEvSZ_: ; @_ZN7rocprim17ROCPRIM_400000_NS6detail17trampoline_kernelINS0_13select_configILj256ELj13ELNS0_17block_load_methodE3ELS4_3ELS4_3ELNS0_20block_scan_algorithmE0ELj4294967295EEENS1_25partition_config_selectorILNS1_17partition_subalgoE4EjNS0_10empty_typeEbEEZZNS1_14partition_implILS8_4ELb0ES6_15HIP_vector_typeIjLj2EENS0_17counting_iteratorIjlEEPS9_SG_NS0_5tupleIJPjSI_NS0_16reverse_iteratorISI_EEEEENSH_IJSG_SG_SG_EEES9_SI_JZNS1_25segmented_radix_sort_implINS0_14default_configELb0EPKlPlSQ_SR_N2at6native12_GLOBAL__N_18offset_tEEE10hipError_tPvRmT1_PNSt15iterator_traitsISZ_E10value_typeET2_T3_PNS10_IS15_E10value_typeET4_jRbjT5_S1B_jjP12ihipStream_tbEUljE_ZNSN_ISO_Lb0ESQ_SR_SQ_SR_SV_EESW_SX_SY_SZ_S13_S14_S15_S18_S19_jS1A_jS1B_S1B_jjS1D_bEUljE0_EEESW_SX_SY_S15_S19_S1B_T6_T7_T9_mT8_S1D_bDpT10_ENKUlT_T0_E_clISt17integral_constantIbLb1EES1R_EEDaS1M_S1N_EUlS1M_E_NS1_11comp_targetILNS1_3genE2ELNS1_11target_archE906ELNS1_3gpuE6ELNS1_3repE0EEENS1_30default_config_static_selectorELNS0_4arch9wavefront6targetE0EEEvSZ_
; %bb.0:
	.section	.rodata,"a",@progbits
	.p2align	6, 0x0
	.amdhsa_kernel _ZN7rocprim17ROCPRIM_400000_NS6detail17trampoline_kernelINS0_13select_configILj256ELj13ELNS0_17block_load_methodE3ELS4_3ELS4_3ELNS0_20block_scan_algorithmE0ELj4294967295EEENS1_25partition_config_selectorILNS1_17partition_subalgoE4EjNS0_10empty_typeEbEEZZNS1_14partition_implILS8_4ELb0ES6_15HIP_vector_typeIjLj2EENS0_17counting_iteratorIjlEEPS9_SG_NS0_5tupleIJPjSI_NS0_16reverse_iteratorISI_EEEEENSH_IJSG_SG_SG_EEES9_SI_JZNS1_25segmented_radix_sort_implINS0_14default_configELb0EPKlPlSQ_SR_N2at6native12_GLOBAL__N_18offset_tEEE10hipError_tPvRmT1_PNSt15iterator_traitsISZ_E10value_typeET2_T3_PNS10_IS15_E10value_typeET4_jRbjT5_S1B_jjP12ihipStream_tbEUljE_ZNSN_ISO_Lb0ESQ_SR_SQ_SR_SV_EESW_SX_SY_SZ_S13_S14_S15_S18_S19_jS1A_jS1B_S1B_jjS1D_bEUljE0_EEESW_SX_SY_S15_S19_S1B_T6_T7_T9_mT8_S1D_bDpT10_ENKUlT_T0_E_clISt17integral_constantIbLb1EES1R_EEDaS1M_S1N_EUlS1M_E_NS1_11comp_targetILNS1_3genE2ELNS1_11target_archE906ELNS1_3gpuE6ELNS1_3repE0EEENS1_30default_config_static_selectorELNS0_4arch9wavefront6targetE0EEEvSZ_
		.amdhsa_group_segment_fixed_size 0
		.amdhsa_private_segment_fixed_size 0
		.amdhsa_kernarg_size 184
		.amdhsa_user_sgpr_count 15
		.amdhsa_user_sgpr_dispatch_ptr 0
		.amdhsa_user_sgpr_queue_ptr 0
		.amdhsa_user_sgpr_kernarg_segment_ptr 1
		.amdhsa_user_sgpr_dispatch_id 0
		.amdhsa_user_sgpr_private_segment_size 0
		.amdhsa_wavefront_size32 1
		.amdhsa_uses_dynamic_stack 0
		.amdhsa_enable_private_segment 0
		.amdhsa_system_sgpr_workgroup_id_x 1
		.amdhsa_system_sgpr_workgroup_id_y 0
		.amdhsa_system_sgpr_workgroup_id_z 0
		.amdhsa_system_sgpr_workgroup_info 0
		.amdhsa_system_vgpr_workitem_id 0
		.amdhsa_next_free_vgpr 1
		.amdhsa_next_free_sgpr 1
		.amdhsa_reserve_vcc 0
		.amdhsa_float_round_mode_32 0
		.amdhsa_float_round_mode_16_64 0
		.amdhsa_float_denorm_mode_32 3
		.amdhsa_float_denorm_mode_16_64 3
		.amdhsa_dx10_clamp 1
		.amdhsa_ieee_mode 1
		.amdhsa_fp16_overflow 0
		.amdhsa_workgroup_processor_mode 1
		.amdhsa_memory_ordered 1
		.amdhsa_forward_progress 0
		.amdhsa_shared_vgpr_count 0
		.amdhsa_exception_fp_ieee_invalid_op 0
		.amdhsa_exception_fp_denorm_src 0
		.amdhsa_exception_fp_ieee_div_zero 0
		.amdhsa_exception_fp_ieee_overflow 0
		.amdhsa_exception_fp_ieee_underflow 0
		.amdhsa_exception_fp_ieee_inexact 0
		.amdhsa_exception_int_div_zero 0
	.end_amdhsa_kernel
	.section	.text._ZN7rocprim17ROCPRIM_400000_NS6detail17trampoline_kernelINS0_13select_configILj256ELj13ELNS0_17block_load_methodE3ELS4_3ELS4_3ELNS0_20block_scan_algorithmE0ELj4294967295EEENS1_25partition_config_selectorILNS1_17partition_subalgoE4EjNS0_10empty_typeEbEEZZNS1_14partition_implILS8_4ELb0ES6_15HIP_vector_typeIjLj2EENS0_17counting_iteratorIjlEEPS9_SG_NS0_5tupleIJPjSI_NS0_16reverse_iteratorISI_EEEEENSH_IJSG_SG_SG_EEES9_SI_JZNS1_25segmented_radix_sort_implINS0_14default_configELb0EPKlPlSQ_SR_N2at6native12_GLOBAL__N_18offset_tEEE10hipError_tPvRmT1_PNSt15iterator_traitsISZ_E10value_typeET2_T3_PNS10_IS15_E10value_typeET4_jRbjT5_S1B_jjP12ihipStream_tbEUljE_ZNSN_ISO_Lb0ESQ_SR_SQ_SR_SV_EESW_SX_SY_SZ_S13_S14_S15_S18_S19_jS1A_jS1B_S1B_jjS1D_bEUljE0_EEESW_SX_SY_S15_S19_S1B_T6_T7_T9_mT8_S1D_bDpT10_ENKUlT_T0_E_clISt17integral_constantIbLb1EES1R_EEDaS1M_S1N_EUlS1M_E_NS1_11comp_targetILNS1_3genE2ELNS1_11target_archE906ELNS1_3gpuE6ELNS1_3repE0EEENS1_30default_config_static_selectorELNS0_4arch9wavefront6targetE0EEEvSZ_,"axG",@progbits,_ZN7rocprim17ROCPRIM_400000_NS6detail17trampoline_kernelINS0_13select_configILj256ELj13ELNS0_17block_load_methodE3ELS4_3ELS4_3ELNS0_20block_scan_algorithmE0ELj4294967295EEENS1_25partition_config_selectorILNS1_17partition_subalgoE4EjNS0_10empty_typeEbEEZZNS1_14partition_implILS8_4ELb0ES6_15HIP_vector_typeIjLj2EENS0_17counting_iteratorIjlEEPS9_SG_NS0_5tupleIJPjSI_NS0_16reverse_iteratorISI_EEEEENSH_IJSG_SG_SG_EEES9_SI_JZNS1_25segmented_radix_sort_implINS0_14default_configELb0EPKlPlSQ_SR_N2at6native12_GLOBAL__N_18offset_tEEE10hipError_tPvRmT1_PNSt15iterator_traitsISZ_E10value_typeET2_T3_PNS10_IS15_E10value_typeET4_jRbjT5_S1B_jjP12ihipStream_tbEUljE_ZNSN_ISO_Lb0ESQ_SR_SQ_SR_SV_EESW_SX_SY_SZ_S13_S14_S15_S18_S19_jS1A_jS1B_S1B_jjS1D_bEUljE0_EEESW_SX_SY_S15_S19_S1B_T6_T7_T9_mT8_S1D_bDpT10_ENKUlT_T0_E_clISt17integral_constantIbLb1EES1R_EEDaS1M_S1N_EUlS1M_E_NS1_11comp_targetILNS1_3genE2ELNS1_11target_archE906ELNS1_3gpuE6ELNS1_3repE0EEENS1_30default_config_static_selectorELNS0_4arch9wavefront6targetE0EEEvSZ_,comdat
.Lfunc_end755:
	.size	_ZN7rocprim17ROCPRIM_400000_NS6detail17trampoline_kernelINS0_13select_configILj256ELj13ELNS0_17block_load_methodE3ELS4_3ELS4_3ELNS0_20block_scan_algorithmE0ELj4294967295EEENS1_25partition_config_selectorILNS1_17partition_subalgoE4EjNS0_10empty_typeEbEEZZNS1_14partition_implILS8_4ELb0ES6_15HIP_vector_typeIjLj2EENS0_17counting_iteratorIjlEEPS9_SG_NS0_5tupleIJPjSI_NS0_16reverse_iteratorISI_EEEEENSH_IJSG_SG_SG_EEES9_SI_JZNS1_25segmented_radix_sort_implINS0_14default_configELb0EPKlPlSQ_SR_N2at6native12_GLOBAL__N_18offset_tEEE10hipError_tPvRmT1_PNSt15iterator_traitsISZ_E10value_typeET2_T3_PNS10_IS15_E10value_typeET4_jRbjT5_S1B_jjP12ihipStream_tbEUljE_ZNSN_ISO_Lb0ESQ_SR_SQ_SR_SV_EESW_SX_SY_SZ_S13_S14_S15_S18_S19_jS1A_jS1B_S1B_jjS1D_bEUljE0_EEESW_SX_SY_S15_S19_S1B_T6_T7_T9_mT8_S1D_bDpT10_ENKUlT_T0_E_clISt17integral_constantIbLb1EES1R_EEDaS1M_S1N_EUlS1M_E_NS1_11comp_targetILNS1_3genE2ELNS1_11target_archE906ELNS1_3gpuE6ELNS1_3repE0EEENS1_30default_config_static_selectorELNS0_4arch9wavefront6targetE0EEEvSZ_, .Lfunc_end755-_ZN7rocprim17ROCPRIM_400000_NS6detail17trampoline_kernelINS0_13select_configILj256ELj13ELNS0_17block_load_methodE3ELS4_3ELS4_3ELNS0_20block_scan_algorithmE0ELj4294967295EEENS1_25partition_config_selectorILNS1_17partition_subalgoE4EjNS0_10empty_typeEbEEZZNS1_14partition_implILS8_4ELb0ES6_15HIP_vector_typeIjLj2EENS0_17counting_iteratorIjlEEPS9_SG_NS0_5tupleIJPjSI_NS0_16reverse_iteratorISI_EEEEENSH_IJSG_SG_SG_EEES9_SI_JZNS1_25segmented_radix_sort_implINS0_14default_configELb0EPKlPlSQ_SR_N2at6native12_GLOBAL__N_18offset_tEEE10hipError_tPvRmT1_PNSt15iterator_traitsISZ_E10value_typeET2_T3_PNS10_IS15_E10value_typeET4_jRbjT5_S1B_jjP12ihipStream_tbEUljE_ZNSN_ISO_Lb0ESQ_SR_SQ_SR_SV_EESW_SX_SY_SZ_S13_S14_S15_S18_S19_jS1A_jS1B_S1B_jjS1D_bEUljE0_EEESW_SX_SY_S15_S19_S1B_T6_T7_T9_mT8_S1D_bDpT10_ENKUlT_T0_E_clISt17integral_constantIbLb1EES1R_EEDaS1M_S1N_EUlS1M_E_NS1_11comp_targetILNS1_3genE2ELNS1_11target_archE906ELNS1_3gpuE6ELNS1_3repE0EEENS1_30default_config_static_selectorELNS0_4arch9wavefront6targetE0EEEvSZ_
                                        ; -- End function
	.section	.AMDGPU.csdata,"",@progbits
; Kernel info:
; codeLenInByte = 0
; NumSgprs: 0
; NumVgprs: 0
; ScratchSize: 0
; MemoryBound: 0
; FloatMode: 240
; IeeeMode: 1
; LDSByteSize: 0 bytes/workgroup (compile time only)
; SGPRBlocks: 0
; VGPRBlocks: 0
; NumSGPRsForWavesPerEU: 1
; NumVGPRsForWavesPerEU: 1
; Occupancy: 16
; WaveLimiterHint : 0
; COMPUTE_PGM_RSRC2:SCRATCH_EN: 0
; COMPUTE_PGM_RSRC2:USER_SGPR: 15
; COMPUTE_PGM_RSRC2:TRAP_HANDLER: 0
; COMPUTE_PGM_RSRC2:TGID_X_EN: 1
; COMPUTE_PGM_RSRC2:TGID_Y_EN: 0
; COMPUTE_PGM_RSRC2:TGID_Z_EN: 0
; COMPUTE_PGM_RSRC2:TIDIG_COMP_CNT: 0
	.section	.text._ZN7rocprim17ROCPRIM_400000_NS6detail17trampoline_kernelINS0_13select_configILj256ELj13ELNS0_17block_load_methodE3ELS4_3ELS4_3ELNS0_20block_scan_algorithmE0ELj4294967295EEENS1_25partition_config_selectorILNS1_17partition_subalgoE4EjNS0_10empty_typeEbEEZZNS1_14partition_implILS8_4ELb0ES6_15HIP_vector_typeIjLj2EENS0_17counting_iteratorIjlEEPS9_SG_NS0_5tupleIJPjSI_NS0_16reverse_iteratorISI_EEEEENSH_IJSG_SG_SG_EEES9_SI_JZNS1_25segmented_radix_sort_implINS0_14default_configELb0EPKlPlSQ_SR_N2at6native12_GLOBAL__N_18offset_tEEE10hipError_tPvRmT1_PNSt15iterator_traitsISZ_E10value_typeET2_T3_PNS10_IS15_E10value_typeET4_jRbjT5_S1B_jjP12ihipStream_tbEUljE_ZNSN_ISO_Lb0ESQ_SR_SQ_SR_SV_EESW_SX_SY_SZ_S13_S14_S15_S18_S19_jS1A_jS1B_S1B_jjS1D_bEUljE0_EEESW_SX_SY_S15_S19_S1B_T6_T7_T9_mT8_S1D_bDpT10_ENKUlT_T0_E_clISt17integral_constantIbLb1EES1R_EEDaS1M_S1N_EUlS1M_E_NS1_11comp_targetILNS1_3genE10ELNS1_11target_archE1200ELNS1_3gpuE4ELNS1_3repE0EEENS1_30default_config_static_selectorELNS0_4arch9wavefront6targetE0EEEvSZ_,"axG",@progbits,_ZN7rocprim17ROCPRIM_400000_NS6detail17trampoline_kernelINS0_13select_configILj256ELj13ELNS0_17block_load_methodE3ELS4_3ELS4_3ELNS0_20block_scan_algorithmE0ELj4294967295EEENS1_25partition_config_selectorILNS1_17partition_subalgoE4EjNS0_10empty_typeEbEEZZNS1_14partition_implILS8_4ELb0ES6_15HIP_vector_typeIjLj2EENS0_17counting_iteratorIjlEEPS9_SG_NS0_5tupleIJPjSI_NS0_16reverse_iteratorISI_EEEEENSH_IJSG_SG_SG_EEES9_SI_JZNS1_25segmented_radix_sort_implINS0_14default_configELb0EPKlPlSQ_SR_N2at6native12_GLOBAL__N_18offset_tEEE10hipError_tPvRmT1_PNSt15iterator_traitsISZ_E10value_typeET2_T3_PNS10_IS15_E10value_typeET4_jRbjT5_S1B_jjP12ihipStream_tbEUljE_ZNSN_ISO_Lb0ESQ_SR_SQ_SR_SV_EESW_SX_SY_SZ_S13_S14_S15_S18_S19_jS1A_jS1B_S1B_jjS1D_bEUljE0_EEESW_SX_SY_S15_S19_S1B_T6_T7_T9_mT8_S1D_bDpT10_ENKUlT_T0_E_clISt17integral_constantIbLb1EES1R_EEDaS1M_S1N_EUlS1M_E_NS1_11comp_targetILNS1_3genE10ELNS1_11target_archE1200ELNS1_3gpuE4ELNS1_3repE0EEENS1_30default_config_static_selectorELNS0_4arch9wavefront6targetE0EEEvSZ_,comdat
	.globl	_ZN7rocprim17ROCPRIM_400000_NS6detail17trampoline_kernelINS0_13select_configILj256ELj13ELNS0_17block_load_methodE3ELS4_3ELS4_3ELNS0_20block_scan_algorithmE0ELj4294967295EEENS1_25partition_config_selectorILNS1_17partition_subalgoE4EjNS0_10empty_typeEbEEZZNS1_14partition_implILS8_4ELb0ES6_15HIP_vector_typeIjLj2EENS0_17counting_iteratorIjlEEPS9_SG_NS0_5tupleIJPjSI_NS0_16reverse_iteratorISI_EEEEENSH_IJSG_SG_SG_EEES9_SI_JZNS1_25segmented_radix_sort_implINS0_14default_configELb0EPKlPlSQ_SR_N2at6native12_GLOBAL__N_18offset_tEEE10hipError_tPvRmT1_PNSt15iterator_traitsISZ_E10value_typeET2_T3_PNS10_IS15_E10value_typeET4_jRbjT5_S1B_jjP12ihipStream_tbEUljE_ZNSN_ISO_Lb0ESQ_SR_SQ_SR_SV_EESW_SX_SY_SZ_S13_S14_S15_S18_S19_jS1A_jS1B_S1B_jjS1D_bEUljE0_EEESW_SX_SY_S15_S19_S1B_T6_T7_T9_mT8_S1D_bDpT10_ENKUlT_T0_E_clISt17integral_constantIbLb1EES1R_EEDaS1M_S1N_EUlS1M_E_NS1_11comp_targetILNS1_3genE10ELNS1_11target_archE1200ELNS1_3gpuE4ELNS1_3repE0EEENS1_30default_config_static_selectorELNS0_4arch9wavefront6targetE0EEEvSZ_ ; -- Begin function _ZN7rocprim17ROCPRIM_400000_NS6detail17trampoline_kernelINS0_13select_configILj256ELj13ELNS0_17block_load_methodE3ELS4_3ELS4_3ELNS0_20block_scan_algorithmE0ELj4294967295EEENS1_25partition_config_selectorILNS1_17partition_subalgoE4EjNS0_10empty_typeEbEEZZNS1_14partition_implILS8_4ELb0ES6_15HIP_vector_typeIjLj2EENS0_17counting_iteratorIjlEEPS9_SG_NS0_5tupleIJPjSI_NS0_16reverse_iteratorISI_EEEEENSH_IJSG_SG_SG_EEES9_SI_JZNS1_25segmented_radix_sort_implINS0_14default_configELb0EPKlPlSQ_SR_N2at6native12_GLOBAL__N_18offset_tEEE10hipError_tPvRmT1_PNSt15iterator_traitsISZ_E10value_typeET2_T3_PNS10_IS15_E10value_typeET4_jRbjT5_S1B_jjP12ihipStream_tbEUljE_ZNSN_ISO_Lb0ESQ_SR_SQ_SR_SV_EESW_SX_SY_SZ_S13_S14_S15_S18_S19_jS1A_jS1B_S1B_jjS1D_bEUljE0_EEESW_SX_SY_S15_S19_S1B_T6_T7_T9_mT8_S1D_bDpT10_ENKUlT_T0_E_clISt17integral_constantIbLb1EES1R_EEDaS1M_S1N_EUlS1M_E_NS1_11comp_targetILNS1_3genE10ELNS1_11target_archE1200ELNS1_3gpuE4ELNS1_3repE0EEENS1_30default_config_static_selectorELNS0_4arch9wavefront6targetE0EEEvSZ_
	.p2align	8
	.type	_ZN7rocprim17ROCPRIM_400000_NS6detail17trampoline_kernelINS0_13select_configILj256ELj13ELNS0_17block_load_methodE3ELS4_3ELS4_3ELNS0_20block_scan_algorithmE0ELj4294967295EEENS1_25partition_config_selectorILNS1_17partition_subalgoE4EjNS0_10empty_typeEbEEZZNS1_14partition_implILS8_4ELb0ES6_15HIP_vector_typeIjLj2EENS0_17counting_iteratorIjlEEPS9_SG_NS0_5tupleIJPjSI_NS0_16reverse_iteratorISI_EEEEENSH_IJSG_SG_SG_EEES9_SI_JZNS1_25segmented_radix_sort_implINS0_14default_configELb0EPKlPlSQ_SR_N2at6native12_GLOBAL__N_18offset_tEEE10hipError_tPvRmT1_PNSt15iterator_traitsISZ_E10value_typeET2_T3_PNS10_IS15_E10value_typeET4_jRbjT5_S1B_jjP12ihipStream_tbEUljE_ZNSN_ISO_Lb0ESQ_SR_SQ_SR_SV_EESW_SX_SY_SZ_S13_S14_S15_S18_S19_jS1A_jS1B_S1B_jjS1D_bEUljE0_EEESW_SX_SY_S15_S19_S1B_T6_T7_T9_mT8_S1D_bDpT10_ENKUlT_T0_E_clISt17integral_constantIbLb1EES1R_EEDaS1M_S1N_EUlS1M_E_NS1_11comp_targetILNS1_3genE10ELNS1_11target_archE1200ELNS1_3gpuE4ELNS1_3repE0EEENS1_30default_config_static_selectorELNS0_4arch9wavefront6targetE0EEEvSZ_,@function
_ZN7rocprim17ROCPRIM_400000_NS6detail17trampoline_kernelINS0_13select_configILj256ELj13ELNS0_17block_load_methodE3ELS4_3ELS4_3ELNS0_20block_scan_algorithmE0ELj4294967295EEENS1_25partition_config_selectorILNS1_17partition_subalgoE4EjNS0_10empty_typeEbEEZZNS1_14partition_implILS8_4ELb0ES6_15HIP_vector_typeIjLj2EENS0_17counting_iteratorIjlEEPS9_SG_NS0_5tupleIJPjSI_NS0_16reverse_iteratorISI_EEEEENSH_IJSG_SG_SG_EEES9_SI_JZNS1_25segmented_radix_sort_implINS0_14default_configELb0EPKlPlSQ_SR_N2at6native12_GLOBAL__N_18offset_tEEE10hipError_tPvRmT1_PNSt15iterator_traitsISZ_E10value_typeET2_T3_PNS10_IS15_E10value_typeET4_jRbjT5_S1B_jjP12ihipStream_tbEUljE_ZNSN_ISO_Lb0ESQ_SR_SQ_SR_SV_EESW_SX_SY_SZ_S13_S14_S15_S18_S19_jS1A_jS1B_S1B_jjS1D_bEUljE0_EEESW_SX_SY_S15_S19_S1B_T6_T7_T9_mT8_S1D_bDpT10_ENKUlT_T0_E_clISt17integral_constantIbLb1EES1R_EEDaS1M_S1N_EUlS1M_E_NS1_11comp_targetILNS1_3genE10ELNS1_11target_archE1200ELNS1_3gpuE4ELNS1_3repE0EEENS1_30default_config_static_selectorELNS0_4arch9wavefront6targetE0EEEvSZ_: ; @_ZN7rocprim17ROCPRIM_400000_NS6detail17trampoline_kernelINS0_13select_configILj256ELj13ELNS0_17block_load_methodE3ELS4_3ELS4_3ELNS0_20block_scan_algorithmE0ELj4294967295EEENS1_25partition_config_selectorILNS1_17partition_subalgoE4EjNS0_10empty_typeEbEEZZNS1_14partition_implILS8_4ELb0ES6_15HIP_vector_typeIjLj2EENS0_17counting_iteratorIjlEEPS9_SG_NS0_5tupleIJPjSI_NS0_16reverse_iteratorISI_EEEEENSH_IJSG_SG_SG_EEES9_SI_JZNS1_25segmented_radix_sort_implINS0_14default_configELb0EPKlPlSQ_SR_N2at6native12_GLOBAL__N_18offset_tEEE10hipError_tPvRmT1_PNSt15iterator_traitsISZ_E10value_typeET2_T3_PNS10_IS15_E10value_typeET4_jRbjT5_S1B_jjP12ihipStream_tbEUljE_ZNSN_ISO_Lb0ESQ_SR_SQ_SR_SV_EESW_SX_SY_SZ_S13_S14_S15_S18_S19_jS1A_jS1B_S1B_jjS1D_bEUljE0_EEESW_SX_SY_S15_S19_S1B_T6_T7_T9_mT8_S1D_bDpT10_ENKUlT_T0_E_clISt17integral_constantIbLb1EES1R_EEDaS1M_S1N_EUlS1M_E_NS1_11comp_targetILNS1_3genE10ELNS1_11target_archE1200ELNS1_3gpuE4ELNS1_3repE0EEENS1_30default_config_static_selectorELNS0_4arch9wavefront6targetE0EEEvSZ_
; %bb.0:
	.section	.rodata,"a",@progbits
	.p2align	6, 0x0
	.amdhsa_kernel _ZN7rocprim17ROCPRIM_400000_NS6detail17trampoline_kernelINS0_13select_configILj256ELj13ELNS0_17block_load_methodE3ELS4_3ELS4_3ELNS0_20block_scan_algorithmE0ELj4294967295EEENS1_25partition_config_selectorILNS1_17partition_subalgoE4EjNS0_10empty_typeEbEEZZNS1_14partition_implILS8_4ELb0ES6_15HIP_vector_typeIjLj2EENS0_17counting_iteratorIjlEEPS9_SG_NS0_5tupleIJPjSI_NS0_16reverse_iteratorISI_EEEEENSH_IJSG_SG_SG_EEES9_SI_JZNS1_25segmented_radix_sort_implINS0_14default_configELb0EPKlPlSQ_SR_N2at6native12_GLOBAL__N_18offset_tEEE10hipError_tPvRmT1_PNSt15iterator_traitsISZ_E10value_typeET2_T3_PNS10_IS15_E10value_typeET4_jRbjT5_S1B_jjP12ihipStream_tbEUljE_ZNSN_ISO_Lb0ESQ_SR_SQ_SR_SV_EESW_SX_SY_SZ_S13_S14_S15_S18_S19_jS1A_jS1B_S1B_jjS1D_bEUljE0_EEESW_SX_SY_S15_S19_S1B_T6_T7_T9_mT8_S1D_bDpT10_ENKUlT_T0_E_clISt17integral_constantIbLb1EES1R_EEDaS1M_S1N_EUlS1M_E_NS1_11comp_targetILNS1_3genE10ELNS1_11target_archE1200ELNS1_3gpuE4ELNS1_3repE0EEENS1_30default_config_static_selectorELNS0_4arch9wavefront6targetE0EEEvSZ_
		.amdhsa_group_segment_fixed_size 0
		.amdhsa_private_segment_fixed_size 0
		.amdhsa_kernarg_size 184
		.amdhsa_user_sgpr_count 15
		.amdhsa_user_sgpr_dispatch_ptr 0
		.amdhsa_user_sgpr_queue_ptr 0
		.amdhsa_user_sgpr_kernarg_segment_ptr 1
		.amdhsa_user_sgpr_dispatch_id 0
		.amdhsa_user_sgpr_private_segment_size 0
		.amdhsa_wavefront_size32 1
		.amdhsa_uses_dynamic_stack 0
		.amdhsa_enable_private_segment 0
		.amdhsa_system_sgpr_workgroup_id_x 1
		.amdhsa_system_sgpr_workgroup_id_y 0
		.amdhsa_system_sgpr_workgroup_id_z 0
		.amdhsa_system_sgpr_workgroup_info 0
		.amdhsa_system_vgpr_workitem_id 0
		.amdhsa_next_free_vgpr 1
		.amdhsa_next_free_sgpr 1
		.amdhsa_reserve_vcc 0
		.amdhsa_float_round_mode_32 0
		.amdhsa_float_round_mode_16_64 0
		.amdhsa_float_denorm_mode_32 3
		.amdhsa_float_denorm_mode_16_64 3
		.amdhsa_dx10_clamp 1
		.amdhsa_ieee_mode 1
		.amdhsa_fp16_overflow 0
		.amdhsa_workgroup_processor_mode 1
		.amdhsa_memory_ordered 1
		.amdhsa_forward_progress 0
		.amdhsa_shared_vgpr_count 0
		.amdhsa_exception_fp_ieee_invalid_op 0
		.amdhsa_exception_fp_denorm_src 0
		.amdhsa_exception_fp_ieee_div_zero 0
		.amdhsa_exception_fp_ieee_overflow 0
		.amdhsa_exception_fp_ieee_underflow 0
		.amdhsa_exception_fp_ieee_inexact 0
		.amdhsa_exception_int_div_zero 0
	.end_amdhsa_kernel
	.section	.text._ZN7rocprim17ROCPRIM_400000_NS6detail17trampoline_kernelINS0_13select_configILj256ELj13ELNS0_17block_load_methodE3ELS4_3ELS4_3ELNS0_20block_scan_algorithmE0ELj4294967295EEENS1_25partition_config_selectorILNS1_17partition_subalgoE4EjNS0_10empty_typeEbEEZZNS1_14partition_implILS8_4ELb0ES6_15HIP_vector_typeIjLj2EENS0_17counting_iteratorIjlEEPS9_SG_NS0_5tupleIJPjSI_NS0_16reverse_iteratorISI_EEEEENSH_IJSG_SG_SG_EEES9_SI_JZNS1_25segmented_radix_sort_implINS0_14default_configELb0EPKlPlSQ_SR_N2at6native12_GLOBAL__N_18offset_tEEE10hipError_tPvRmT1_PNSt15iterator_traitsISZ_E10value_typeET2_T3_PNS10_IS15_E10value_typeET4_jRbjT5_S1B_jjP12ihipStream_tbEUljE_ZNSN_ISO_Lb0ESQ_SR_SQ_SR_SV_EESW_SX_SY_SZ_S13_S14_S15_S18_S19_jS1A_jS1B_S1B_jjS1D_bEUljE0_EEESW_SX_SY_S15_S19_S1B_T6_T7_T9_mT8_S1D_bDpT10_ENKUlT_T0_E_clISt17integral_constantIbLb1EES1R_EEDaS1M_S1N_EUlS1M_E_NS1_11comp_targetILNS1_3genE10ELNS1_11target_archE1200ELNS1_3gpuE4ELNS1_3repE0EEENS1_30default_config_static_selectorELNS0_4arch9wavefront6targetE0EEEvSZ_,"axG",@progbits,_ZN7rocprim17ROCPRIM_400000_NS6detail17trampoline_kernelINS0_13select_configILj256ELj13ELNS0_17block_load_methodE3ELS4_3ELS4_3ELNS0_20block_scan_algorithmE0ELj4294967295EEENS1_25partition_config_selectorILNS1_17partition_subalgoE4EjNS0_10empty_typeEbEEZZNS1_14partition_implILS8_4ELb0ES6_15HIP_vector_typeIjLj2EENS0_17counting_iteratorIjlEEPS9_SG_NS0_5tupleIJPjSI_NS0_16reverse_iteratorISI_EEEEENSH_IJSG_SG_SG_EEES9_SI_JZNS1_25segmented_radix_sort_implINS0_14default_configELb0EPKlPlSQ_SR_N2at6native12_GLOBAL__N_18offset_tEEE10hipError_tPvRmT1_PNSt15iterator_traitsISZ_E10value_typeET2_T3_PNS10_IS15_E10value_typeET4_jRbjT5_S1B_jjP12ihipStream_tbEUljE_ZNSN_ISO_Lb0ESQ_SR_SQ_SR_SV_EESW_SX_SY_SZ_S13_S14_S15_S18_S19_jS1A_jS1B_S1B_jjS1D_bEUljE0_EEESW_SX_SY_S15_S19_S1B_T6_T7_T9_mT8_S1D_bDpT10_ENKUlT_T0_E_clISt17integral_constantIbLb1EES1R_EEDaS1M_S1N_EUlS1M_E_NS1_11comp_targetILNS1_3genE10ELNS1_11target_archE1200ELNS1_3gpuE4ELNS1_3repE0EEENS1_30default_config_static_selectorELNS0_4arch9wavefront6targetE0EEEvSZ_,comdat
.Lfunc_end756:
	.size	_ZN7rocprim17ROCPRIM_400000_NS6detail17trampoline_kernelINS0_13select_configILj256ELj13ELNS0_17block_load_methodE3ELS4_3ELS4_3ELNS0_20block_scan_algorithmE0ELj4294967295EEENS1_25partition_config_selectorILNS1_17partition_subalgoE4EjNS0_10empty_typeEbEEZZNS1_14partition_implILS8_4ELb0ES6_15HIP_vector_typeIjLj2EENS0_17counting_iteratorIjlEEPS9_SG_NS0_5tupleIJPjSI_NS0_16reverse_iteratorISI_EEEEENSH_IJSG_SG_SG_EEES9_SI_JZNS1_25segmented_radix_sort_implINS0_14default_configELb0EPKlPlSQ_SR_N2at6native12_GLOBAL__N_18offset_tEEE10hipError_tPvRmT1_PNSt15iterator_traitsISZ_E10value_typeET2_T3_PNS10_IS15_E10value_typeET4_jRbjT5_S1B_jjP12ihipStream_tbEUljE_ZNSN_ISO_Lb0ESQ_SR_SQ_SR_SV_EESW_SX_SY_SZ_S13_S14_S15_S18_S19_jS1A_jS1B_S1B_jjS1D_bEUljE0_EEESW_SX_SY_S15_S19_S1B_T6_T7_T9_mT8_S1D_bDpT10_ENKUlT_T0_E_clISt17integral_constantIbLb1EES1R_EEDaS1M_S1N_EUlS1M_E_NS1_11comp_targetILNS1_3genE10ELNS1_11target_archE1200ELNS1_3gpuE4ELNS1_3repE0EEENS1_30default_config_static_selectorELNS0_4arch9wavefront6targetE0EEEvSZ_, .Lfunc_end756-_ZN7rocprim17ROCPRIM_400000_NS6detail17trampoline_kernelINS0_13select_configILj256ELj13ELNS0_17block_load_methodE3ELS4_3ELS4_3ELNS0_20block_scan_algorithmE0ELj4294967295EEENS1_25partition_config_selectorILNS1_17partition_subalgoE4EjNS0_10empty_typeEbEEZZNS1_14partition_implILS8_4ELb0ES6_15HIP_vector_typeIjLj2EENS0_17counting_iteratorIjlEEPS9_SG_NS0_5tupleIJPjSI_NS0_16reverse_iteratorISI_EEEEENSH_IJSG_SG_SG_EEES9_SI_JZNS1_25segmented_radix_sort_implINS0_14default_configELb0EPKlPlSQ_SR_N2at6native12_GLOBAL__N_18offset_tEEE10hipError_tPvRmT1_PNSt15iterator_traitsISZ_E10value_typeET2_T3_PNS10_IS15_E10value_typeET4_jRbjT5_S1B_jjP12ihipStream_tbEUljE_ZNSN_ISO_Lb0ESQ_SR_SQ_SR_SV_EESW_SX_SY_SZ_S13_S14_S15_S18_S19_jS1A_jS1B_S1B_jjS1D_bEUljE0_EEESW_SX_SY_S15_S19_S1B_T6_T7_T9_mT8_S1D_bDpT10_ENKUlT_T0_E_clISt17integral_constantIbLb1EES1R_EEDaS1M_S1N_EUlS1M_E_NS1_11comp_targetILNS1_3genE10ELNS1_11target_archE1200ELNS1_3gpuE4ELNS1_3repE0EEENS1_30default_config_static_selectorELNS0_4arch9wavefront6targetE0EEEvSZ_
                                        ; -- End function
	.section	.AMDGPU.csdata,"",@progbits
; Kernel info:
; codeLenInByte = 0
; NumSgprs: 0
; NumVgprs: 0
; ScratchSize: 0
; MemoryBound: 0
; FloatMode: 240
; IeeeMode: 1
; LDSByteSize: 0 bytes/workgroup (compile time only)
; SGPRBlocks: 0
; VGPRBlocks: 0
; NumSGPRsForWavesPerEU: 1
; NumVGPRsForWavesPerEU: 1
; Occupancy: 16
; WaveLimiterHint : 0
; COMPUTE_PGM_RSRC2:SCRATCH_EN: 0
; COMPUTE_PGM_RSRC2:USER_SGPR: 15
; COMPUTE_PGM_RSRC2:TRAP_HANDLER: 0
; COMPUTE_PGM_RSRC2:TGID_X_EN: 1
; COMPUTE_PGM_RSRC2:TGID_Y_EN: 0
; COMPUTE_PGM_RSRC2:TGID_Z_EN: 0
; COMPUTE_PGM_RSRC2:TIDIG_COMP_CNT: 0
	.section	.text._ZN7rocprim17ROCPRIM_400000_NS6detail17trampoline_kernelINS0_13select_configILj256ELj13ELNS0_17block_load_methodE3ELS4_3ELS4_3ELNS0_20block_scan_algorithmE0ELj4294967295EEENS1_25partition_config_selectorILNS1_17partition_subalgoE4EjNS0_10empty_typeEbEEZZNS1_14partition_implILS8_4ELb0ES6_15HIP_vector_typeIjLj2EENS0_17counting_iteratorIjlEEPS9_SG_NS0_5tupleIJPjSI_NS0_16reverse_iteratorISI_EEEEENSH_IJSG_SG_SG_EEES9_SI_JZNS1_25segmented_radix_sort_implINS0_14default_configELb0EPKlPlSQ_SR_N2at6native12_GLOBAL__N_18offset_tEEE10hipError_tPvRmT1_PNSt15iterator_traitsISZ_E10value_typeET2_T3_PNS10_IS15_E10value_typeET4_jRbjT5_S1B_jjP12ihipStream_tbEUljE_ZNSN_ISO_Lb0ESQ_SR_SQ_SR_SV_EESW_SX_SY_SZ_S13_S14_S15_S18_S19_jS1A_jS1B_S1B_jjS1D_bEUljE0_EEESW_SX_SY_S15_S19_S1B_T6_T7_T9_mT8_S1D_bDpT10_ENKUlT_T0_E_clISt17integral_constantIbLb1EES1R_EEDaS1M_S1N_EUlS1M_E_NS1_11comp_targetILNS1_3genE9ELNS1_11target_archE1100ELNS1_3gpuE3ELNS1_3repE0EEENS1_30default_config_static_selectorELNS0_4arch9wavefront6targetE0EEEvSZ_,"axG",@progbits,_ZN7rocprim17ROCPRIM_400000_NS6detail17trampoline_kernelINS0_13select_configILj256ELj13ELNS0_17block_load_methodE3ELS4_3ELS4_3ELNS0_20block_scan_algorithmE0ELj4294967295EEENS1_25partition_config_selectorILNS1_17partition_subalgoE4EjNS0_10empty_typeEbEEZZNS1_14partition_implILS8_4ELb0ES6_15HIP_vector_typeIjLj2EENS0_17counting_iteratorIjlEEPS9_SG_NS0_5tupleIJPjSI_NS0_16reverse_iteratorISI_EEEEENSH_IJSG_SG_SG_EEES9_SI_JZNS1_25segmented_radix_sort_implINS0_14default_configELb0EPKlPlSQ_SR_N2at6native12_GLOBAL__N_18offset_tEEE10hipError_tPvRmT1_PNSt15iterator_traitsISZ_E10value_typeET2_T3_PNS10_IS15_E10value_typeET4_jRbjT5_S1B_jjP12ihipStream_tbEUljE_ZNSN_ISO_Lb0ESQ_SR_SQ_SR_SV_EESW_SX_SY_SZ_S13_S14_S15_S18_S19_jS1A_jS1B_S1B_jjS1D_bEUljE0_EEESW_SX_SY_S15_S19_S1B_T6_T7_T9_mT8_S1D_bDpT10_ENKUlT_T0_E_clISt17integral_constantIbLb1EES1R_EEDaS1M_S1N_EUlS1M_E_NS1_11comp_targetILNS1_3genE9ELNS1_11target_archE1100ELNS1_3gpuE3ELNS1_3repE0EEENS1_30default_config_static_selectorELNS0_4arch9wavefront6targetE0EEEvSZ_,comdat
	.globl	_ZN7rocprim17ROCPRIM_400000_NS6detail17trampoline_kernelINS0_13select_configILj256ELj13ELNS0_17block_load_methodE3ELS4_3ELS4_3ELNS0_20block_scan_algorithmE0ELj4294967295EEENS1_25partition_config_selectorILNS1_17partition_subalgoE4EjNS0_10empty_typeEbEEZZNS1_14partition_implILS8_4ELb0ES6_15HIP_vector_typeIjLj2EENS0_17counting_iteratorIjlEEPS9_SG_NS0_5tupleIJPjSI_NS0_16reverse_iteratorISI_EEEEENSH_IJSG_SG_SG_EEES9_SI_JZNS1_25segmented_radix_sort_implINS0_14default_configELb0EPKlPlSQ_SR_N2at6native12_GLOBAL__N_18offset_tEEE10hipError_tPvRmT1_PNSt15iterator_traitsISZ_E10value_typeET2_T3_PNS10_IS15_E10value_typeET4_jRbjT5_S1B_jjP12ihipStream_tbEUljE_ZNSN_ISO_Lb0ESQ_SR_SQ_SR_SV_EESW_SX_SY_SZ_S13_S14_S15_S18_S19_jS1A_jS1B_S1B_jjS1D_bEUljE0_EEESW_SX_SY_S15_S19_S1B_T6_T7_T9_mT8_S1D_bDpT10_ENKUlT_T0_E_clISt17integral_constantIbLb1EES1R_EEDaS1M_S1N_EUlS1M_E_NS1_11comp_targetILNS1_3genE9ELNS1_11target_archE1100ELNS1_3gpuE3ELNS1_3repE0EEENS1_30default_config_static_selectorELNS0_4arch9wavefront6targetE0EEEvSZ_ ; -- Begin function _ZN7rocprim17ROCPRIM_400000_NS6detail17trampoline_kernelINS0_13select_configILj256ELj13ELNS0_17block_load_methodE3ELS4_3ELS4_3ELNS0_20block_scan_algorithmE0ELj4294967295EEENS1_25partition_config_selectorILNS1_17partition_subalgoE4EjNS0_10empty_typeEbEEZZNS1_14partition_implILS8_4ELb0ES6_15HIP_vector_typeIjLj2EENS0_17counting_iteratorIjlEEPS9_SG_NS0_5tupleIJPjSI_NS0_16reverse_iteratorISI_EEEEENSH_IJSG_SG_SG_EEES9_SI_JZNS1_25segmented_radix_sort_implINS0_14default_configELb0EPKlPlSQ_SR_N2at6native12_GLOBAL__N_18offset_tEEE10hipError_tPvRmT1_PNSt15iterator_traitsISZ_E10value_typeET2_T3_PNS10_IS15_E10value_typeET4_jRbjT5_S1B_jjP12ihipStream_tbEUljE_ZNSN_ISO_Lb0ESQ_SR_SQ_SR_SV_EESW_SX_SY_SZ_S13_S14_S15_S18_S19_jS1A_jS1B_S1B_jjS1D_bEUljE0_EEESW_SX_SY_S15_S19_S1B_T6_T7_T9_mT8_S1D_bDpT10_ENKUlT_T0_E_clISt17integral_constantIbLb1EES1R_EEDaS1M_S1N_EUlS1M_E_NS1_11comp_targetILNS1_3genE9ELNS1_11target_archE1100ELNS1_3gpuE3ELNS1_3repE0EEENS1_30default_config_static_selectorELNS0_4arch9wavefront6targetE0EEEvSZ_
	.p2align	8
	.type	_ZN7rocprim17ROCPRIM_400000_NS6detail17trampoline_kernelINS0_13select_configILj256ELj13ELNS0_17block_load_methodE3ELS4_3ELS4_3ELNS0_20block_scan_algorithmE0ELj4294967295EEENS1_25partition_config_selectorILNS1_17partition_subalgoE4EjNS0_10empty_typeEbEEZZNS1_14partition_implILS8_4ELb0ES6_15HIP_vector_typeIjLj2EENS0_17counting_iteratorIjlEEPS9_SG_NS0_5tupleIJPjSI_NS0_16reverse_iteratorISI_EEEEENSH_IJSG_SG_SG_EEES9_SI_JZNS1_25segmented_radix_sort_implINS0_14default_configELb0EPKlPlSQ_SR_N2at6native12_GLOBAL__N_18offset_tEEE10hipError_tPvRmT1_PNSt15iterator_traitsISZ_E10value_typeET2_T3_PNS10_IS15_E10value_typeET4_jRbjT5_S1B_jjP12ihipStream_tbEUljE_ZNSN_ISO_Lb0ESQ_SR_SQ_SR_SV_EESW_SX_SY_SZ_S13_S14_S15_S18_S19_jS1A_jS1B_S1B_jjS1D_bEUljE0_EEESW_SX_SY_S15_S19_S1B_T6_T7_T9_mT8_S1D_bDpT10_ENKUlT_T0_E_clISt17integral_constantIbLb1EES1R_EEDaS1M_S1N_EUlS1M_E_NS1_11comp_targetILNS1_3genE9ELNS1_11target_archE1100ELNS1_3gpuE3ELNS1_3repE0EEENS1_30default_config_static_selectorELNS0_4arch9wavefront6targetE0EEEvSZ_,@function
_ZN7rocprim17ROCPRIM_400000_NS6detail17trampoline_kernelINS0_13select_configILj256ELj13ELNS0_17block_load_methodE3ELS4_3ELS4_3ELNS0_20block_scan_algorithmE0ELj4294967295EEENS1_25partition_config_selectorILNS1_17partition_subalgoE4EjNS0_10empty_typeEbEEZZNS1_14partition_implILS8_4ELb0ES6_15HIP_vector_typeIjLj2EENS0_17counting_iteratorIjlEEPS9_SG_NS0_5tupleIJPjSI_NS0_16reverse_iteratorISI_EEEEENSH_IJSG_SG_SG_EEES9_SI_JZNS1_25segmented_radix_sort_implINS0_14default_configELb0EPKlPlSQ_SR_N2at6native12_GLOBAL__N_18offset_tEEE10hipError_tPvRmT1_PNSt15iterator_traitsISZ_E10value_typeET2_T3_PNS10_IS15_E10value_typeET4_jRbjT5_S1B_jjP12ihipStream_tbEUljE_ZNSN_ISO_Lb0ESQ_SR_SQ_SR_SV_EESW_SX_SY_SZ_S13_S14_S15_S18_S19_jS1A_jS1B_S1B_jjS1D_bEUljE0_EEESW_SX_SY_S15_S19_S1B_T6_T7_T9_mT8_S1D_bDpT10_ENKUlT_T0_E_clISt17integral_constantIbLb1EES1R_EEDaS1M_S1N_EUlS1M_E_NS1_11comp_targetILNS1_3genE9ELNS1_11target_archE1100ELNS1_3gpuE3ELNS1_3repE0EEENS1_30default_config_static_selectorELNS0_4arch9wavefront6targetE0EEEvSZ_: ; @_ZN7rocprim17ROCPRIM_400000_NS6detail17trampoline_kernelINS0_13select_configILj256ELj13ELNS0_17block_load_methodE3ELS4_3ELS4_3ELNS0_20block_scan_algorithmE0ELj4294967295EEENS1_25partition_config_selectorILNS1_17partition_subalgoE4EjNS0_10empty_typeEbEEZZNS1_14partition_implILS8_4ELb0ES6_15HIP_vector_typeIjLj2EENS0_17counting_iteratorIjlEEPS9_SG_NS0_5tupleIJPjSI_NS0_16reverse_iteratorISI_EEEEENSH_IJSG_SG_SG_EEES9_SI_JZNS1_25segmented_radix_sort_implINS0_14default_configELb0EPKlPlSQ_SR_N2at6native12_GLOBAL__N_18offset_tEEE10hipError_tPvRmT1_PNSt15iterator_traitsISZ_E10value_typeET2_T3_PNS10_IS15_E10value_typeET4_jRbjT5_S1B_jjP12ihipStream_tbEUljE_ZNSN_ISO_Lb0ESQ_SR_SQ_SR_SV_EESW_SX_SY_SZ_S13_S14_S15_S18_S19_jS1A_jS1B_S1B_jjS1D_bEUljE0_EEESW_SX_SY_S15_S19_S1B_T6_T7_T9_mT8_S1D_bDpT10_ENKUlT_T0_E_clISt17integral_constantIbLb1EES1R_EEDaS1M_S1N_EUlS1M_E_NS1_11comp_targetILNS1_3genE9ELNS1_11target_archE1100ELNS1_3gpuE3ELNS1_3repE0EEENS1_30default_config_static_selectorELNS0_4arch9wavefront6targetE0EEEvSZ_
; %bb.0:
	s_clause 0x7
	s_load_b64 s[34:35], s[0:1], 0x10
	s_load_b128 s[28:31], s[0:1], 0x28
	s_load_b64 s[14:15], s[0:1], 0x38
	s_load_b128 s[24:27], s[0:1], 0x58
	s_load_b64 s[4:5], s[0:1], 0x68
	s_load_b64 s[36:37], s[0:1], 0x78
	;; [unrolled: 1-line block ×3, first 2 shown]
	s_load_b256 s[16:23], s[0:1], 0x90
	v_cmp_eq_u32_e64 s2, 0, v0
	s_delay_alu instid0(VALU_DEP_1)
	s_and_saveexec_b32 s3, s2
	s_cbranch_execz .LBB757_4
; %bb.1:
	s_mov_b32 s7, exec_lo
	s_mov_b32 s6, exec_lo
	v_mbcnt_lo_u32_b32 v1, s7, 0
                                        ; implicit-def: $vgpr2
	s_delay_alu instid0(VALU_DEP_1)
	v_cmpx_eq_u32_e32 0, v1
	s_cbranch_execz .LBB757_3
; %bb.2:
	s_load_b64 s[8:9], s[0:1], 0x88
	s_bcnt1_i32_b32 s7, s7
	s_delay_alu instid0(SALU_CYCLE_1)
	v_dual_mov_b32 v2, 0 :: v_dual_mov_b32 v3, s7
	s_waitcnt lgkmcnt(0)
	global_atomic_add_u32 v2, v2, v3, s[8:9] glc
.LBB757_3:
	s_or_b32 exec_lo, exec_lo, s6
	s_waitcnt vmcnt(0)
	v_readfirstlane_b32 s6, v2
	s_delay_alu instid0(VALU_DEP_1)
	v_dual_mov_b32 v2, 0 :: v_dual_add_nc_u32 v1, s6, v1
	ds_store_b32 v2, v1
.LBB757_4:
	s_or_b32 exec_lo, exec_lo, s3
	v_mov_b32_e32 v1, 0
	s_clause 0x1
	s_load_b32 s3, s[0:1], 0x8
	s_load_b32 s0, s[0:1], 0x80
	s_waitcnt lgkmcnt(0)
	s_barrier
	buffer_gl0_inv
	ds_load_b32 v5, v1
	s_waitcnt lgkmcnt(0)
	s_barrier
	buffer_gl0_inv
	global_load_b128 v[1:4], v1, s[26:27]
	s_add_i32 s3, s3, s34
	s_mul_i32 s1, s0, 0xd00
	s_add_i32 s0, s0, -1
	s_add_u32 s6, s34, s1
	s_addc_u32 s7, s35, 0
	v_mul_lo_u32 v30, 0xd00, v5
	v_readfirstlane_b32 s26, v5
	v_cmp_lt_u64_e64 s5, s[6:7], s[4:5]
	v_cmp_ne_u32_e32 vcc_lo, s0, v5
	s_delay_alu instid0(VALU_DEP_3) | instskip(SKIP_1) | instid1(VALU_DEP_4)
	s_cmp_eq_u32 s26, s0
	s_cselect_b32 s13, -1, 0
	v_add3_u32 v5, v30, s3, v0
	s_delay_alu instid0(VALU_DEP_3) | instskip(SKIP_2) | instid1(VALU_DEP_1)
	s_or_b32 s0, s5, vcc_lo
	s_mov_b32 s3, -1
	s_and_b32 vcc_lo, exec_lo, s0
	v_add_nc_u32_e32 v6, 0x100, v5
	v_add_nc_u32_e32 v7, 0x200, v5
	;; [unrolled: 1-line block ×12, first 2 shown]
	s_cbranch_vccz .LBB757_6
; %bb.5:
	v_lshlrev_b32_e32 v18, 2, v0
	s_mov_b32 s3, 0
	ds_store_2addr_stride64_b32 v18, v5, v6 offset1:4
	ds_store_2addr_stride64_b32 v18, v7, v8 offset0:8 offset1:12
	ds_store_2addr_stride64_b32 v18, v9, v10 offset0:16 offset1:20
	ds_store_2addr_stride64_b32 v18, v11, v12 offset0:24 offset1:28
	ds_store_2addr_stride64_b32 v18, v13, v14 offset0:32 offset1:36
	ds_store_2addr_stride64_b32 v18, v15, v16 offset0:40 offset1:44
	ds_store_b32 v18, v17 offset:12288
	s_waitcnt vmcnt(0) lgkmcnt(0)
	s_barrier
.LBB757_6:
	s_and_not1_b32 vcc_lo, exec_lo, s3
	s_add_i32 s1, s1, s34
	s_cbranch_vccnz .LBB757_8
; %bb.7:
	v_lshlrev_b32_e32 v18, 2, v0
	ds_store_2addr_stride64_b32 v18, v5, v6 offset1:4
	ds_store_2addr_stride64_b32 v18, v7, v8 offset0:8 offset1:12
	ds_store_2addr_stride64_b32 v18, v9, v10 offset0:16 offset1:20
	;; [unrolled: 1-line block ×5, first 2 shown]
	ds_store_b32 v18, v17 offset:12288
	s_waitcnt vmcnt(0) lgkmcnt(0)
	s_barrier
.LBB757_8:
	v_mul_u32_u24_e32 v33, 13, v0
	s_waitcnt vmcnt(0)
	buffer_gl0_inv
	v_cndmask_b32_e64 v31, 0, 1, s0
	s_sub_i32 s40, s4, s1
	s_and_not1_b32 vcc_lo, exec_lo, s0
	v_lshlrev_b32_e32 v5, 2, v33
	ds_load_2addr_b32 v[20:21], v5 offset1:1
	ds_load_2addr_b32 v[18:19], v5 offset0:2 offset1:3
	ds_load_2addr_b32 v[16:17], v5 offset0:4 offset1:5
	;; [unrolled: 1-line block ×5, first 2 shown]
	ds_load_b32 v32, v5 offset:48
	s_waitcnt lgkmcnt(0)
	s_barrier
	buffer_gl0_inv
	s_cbranch_vccnz .LBB757_36
; %bb.9:
	v_add_nc_u32_e32 v5, s17, v20
	v_add_nc_u32_e32 v6, s19, v20
	s_mov_b32 s42, 0
	s_mov_b32 s41, 0
	s_mov_b32 s1, exec_lo
	v_mul_lo_u32 v5, v5, s16
	v_mul_lo_u32 v6, v6, s18
	s_delay_alu instid0(VALU_DEP_1) | instskip(NEXT) | instid1(VALU_DEP_1)
	v_sub_nc_u32_e32 v5, v5, v6
	v_cmp_lt_u32_e32 vcc_lo, s20, v5
	v_cmpx_ge_u32_e64 s20, v5
; %bb.10:
	v_add_nc_u32_e32 v5, s22, v20
	v_add_nc_u32_e32 v6, s38, v20
	s_delay_alu instid0(VALU_DEP_2) | instskip(NEXT) | instid1(VALU_DEP_2)
	v_mul_lo_u32 v5, v5, s21
	v_mul_lo_u32 v6, v6, s23
	s_delay_alu instid0(VALU_DEP_1) | instskip(NEXT) | instid1(VALU_DEP_1)
	v_sub_nc_u32_e32 v5, v5, v6
	v_cmp_lt_u32_e64 s0, s39, v5
	s_delay_alu instid0(VALU_DEP_1)
	s_and_b32 s41, s0, exec_lo
; %bb.11:
	s_or_b32 exec_lo, exec_lo, s1
	v_add_nc_u32_e32 v5, s17, v21
	v_add_nc_u32_e32 v6, s19, v21
	s_mov_b32 s3, exec_lo
	s_delay_alu instid0(VALU_DEP_2) | instskip(NEXT) | instid1(VALU_DEP_2)
	v_mul_lo_u32 v5, v5, s16
	v_mul_lo_u32 v6, v6, s18
	s_delay_alu instid0(VALU_DEP_1) | instskip(NEXT) | instid1(VALU_DEP_1)
	v_sub_nc_u32_e32 v5, v5, v6
	v_cmp_lt_u32_e64 s0, s20, v5
	v_cmpx_ge_u32_e64 s20, v5
; %bb.12:
	v_add_nc_u32_e32 v5, s22, v21
	v_add_nc_u32_e32 v6, s38, v21
	s_delay_alu instid0(VALU_DEP_2) | instskip(NEXT) | instid1(VALU_DEP_2)
	v_mul_lo_u32 v5, v5, s21
	v_mul_lo_u32 v6, v6, s23
	s_delay_alu instid0(VALU_DEP_1) | instskip(NEXT) | instid1(VALU_DEP_1)
	v_sub_nc_u32_e32 v5, v5, v6
	v_cmp_lt_u32_e64 s1, s39, v5
	s_delay_alu instid0(VALU_DEP_1)
	s_and_b32 s42, s1, exec_lo
; %bb.13:
	s_or_b32 exec_lo, exec_lo, s3
	v_add_nc_u32_e32 v5, s17, v18
	v_add_nc_u32_e32 v6, s19, v18
	s_mov_b32 s44, 0
	s_mov_b32 s43, 0
	s_mov_b32 s4, exec_lo
	v_mul_lo_u32 v5, v5, s16
	v_mul_lo_u32 v6, v6, s18
	s_delay_alu instid0(VALU_DEP_1) | instskip(NEXT) | instid1(VALU_DEP_1)
	v_sub_nc_u32_e32 v5, v5, v6
	v_cmp_lt_u32_e64 s1, s20, v5
	v_cmpx_ge_u32_e64 s20, v5
; %bb.14:
	v_add_nc_u32_e32 v5, s22, v18
	v_add_nc_u32_e32 v6, s38, v18
	s_delay_alu instid0(VALU_DEP_2) | instskip(NEXT) | instid1(VALU_DEP_2)
	v_mul_lo_u32 v5, v5, s21
	v_mul_lo_u32 v6, v6, s23
	s_delay_alu instid0(VALU_DEP_1) | instskip(NEXT) | instid1(VALU_DEP_1)
	v_sub_nc_u32_e32 v5, v5, v6
	v_cmp_lt_u32_e64 s3, s39, v5
	s_delay_alu instid0(VALU_DEP_1)
	s_and_b32 s43, s3, exec_lo
; %bb.15:
	s_or_b32 exec_lo, exec_lo, s4
	v_add_nc_u32_e32 v5, s17, v19
	v_add_nc_u32_e32 v6, s19, v19
	s_mov_b32 s5, exec_lo
	s_delay_alu instid0(VALU_DEP_2) | instskip(NEXT) | instid1(VALU_DEP_2)
	v_mul_lo_u32 v5, v5, s16
	v_mul_lo_u32 v6, v6, s18
	s_delay_alu instid0(VALU_DEP_1) | instskip(NEXT) | instid1(VALU_DEP_1)
	v_sub_nc_u32_e32 v5, v5, v6
	v_cmp_lt_u32_e64 s3, s20, v5
	v_cmpx_ge_u32_e64 s20, v5
; %bb.16:
	v_add_nc_u32_e32 v5, s22, v19
	v_add_nc_u32_e32 v6, s38, v19
	s_delay_alu instid0(VALU_DEP_2) | instskip(NEXT) | instid1(VALU_DEP_2)
	v_mul_lo_u32 v5, v5, s21
	v_mul_lo_u32 v6, v6, s23
	s_delay_alu instid0(VALU_DEP_1) | instskip(NEXT) | instid1(VALU_DEP_1)
	v_sub_nc_u32_e32 v5, v5, v6
	v_cmp_lt_u32_e64 s4, s39, v5
	s_delay_alu instid0(VALU_DEP_1)
	s_and_b32 s44, s4, exec_lo
; %bb.17:
	s_or_b32 exec_lo, exec_lo, s5
	v_add_nc_u32_e32 v5, s17, v16
	v_add_nc_u32_e32 v6, s19, v16
	s_mov_b32 s46, 0
	s_mov_b32 s45, 0
	s_mov_b32 s6, exec_lo
	v_mul_lo_u32 v5, v5, s16
	v_mul_lo_u32 v6, v6, s18
	s_delay_alu instid0(VALU_DEP_1) | instskip(NEXT) | instid1(VALU_DEP_1)
	v_sub_nc_u32_e32 v5, v5, v6
	v_cmp_lt_u32_e64 s4, s20, v5
	v_cmpx_ge_u32_e64 s20, v5
; %bb.18:
	v_add_nc_u32_e32 v5, s22, v16
	v_add_nc_u32_e32 v6, s38, v16
	s_delay_alu instid0(VALU_DEP_2) | instskip(NEXT) | instid1(VALU_DEP_2)
	v_mul_lo_u32 v5, v5, s21
	v_mul_lo_u32 v6, v6, s23
	s_delay_alu instid0(VALU_DEP_1) | instskip(NEXT) | instid1(VALU_DEP_1)
	v_sub_nc_u32_e32 v5, v5, v6
	v_cmp_lt_u32_e64 s5, s39, v5
	s_delay_alu instid0(VALU_DEP_1)
	s_and_b32 s45, s5, exec_lo
; %bb.19:
	s_or_b32 exec_lo, exec_lo, s6
	v_add_nc_u32_e32 v5, s17, v17
	v_add_nc_u32_e32 v6, s19, v17
	s_mov_b32 s7, exec_lo
	s_delay_alu instid0(VALU_DEP_2) | instskip(NEXT) | instid1(VALU_DEP_2)
	v_mul_lo_u32 v5, v5, s16
	v_mul_lo_u32 v6, v6, s18
	s_delay_alu instid0(VALU_DEP_1) | instskip(NEXT) | instid1(VALU_DEP_1)
	v_sub_nc_u32_e32 v5, v5, v6
	v_cmp_lt_u32_e64 s5, s20, v5
	v_cmpx_ge_u32_e64 s20, v5
; %bb.20:
	v_add_nc_u32_e32 v5, s22, v17
	v_add_nc_u32_e32 v6, s38, v17
	s_delay_alu instid0(VALU_DEP_2) | instskip(NEXT) | instid1(VALU_DEP_2)
	v_mul_lo_u32 v5, v5, s21
	v_mul_lo_u32 v6, v6, s23
	s_delay_alu instid0(VALU_DEP_1) | instskip(NEXT) | instid1(VALU_DEP_1)
	v_sub_nc_u32_e32 v5, v5, v6
	v_cmp_lt_u32_e64 s6, s39, v5
	s_delay_alu instid0(VALU_DEP_1)
	s_and_b32 s46, s6, exec_lo
; %bb.21:
	s_or_b32 exec_lo, exec_lo, s7
	v_add_nc_u32_e32 v5, s17, v14
	v_add_nc_u32_e32 v6, s19, v14
	s_mov_b32 s48, 0
	s_mov_b32 s47, 0
	s_mov_b32 s8, exec_lo
	v_mul_lo_u32 v5, v5, s16
	v_mul_lo_u32 v6, v6, s18
	s_delay_alu instid0(VALU_DEP_1) | instskip(NEXT) | instid1(VALU_DEP_1)
	v_sub_nc_u32_e32 v5, v5, v6
	v_cmp_lt_u32_e64 s6, s20, v5
	v_cmpx_ge_u32_e64 s20, v5
; %bb.22:
	v_add_nc_u32_e32 v5, s22, v14
	v_add_nc_u32_e32 v6, s38, v14
	s_delay_alu instid0(VALU_DEP_2) | instskip(NEXT) | instid1(VALU_DEP_2)
	v_mul_lo_u32 v5, v5, s21
	v_mul_lo_u32 v6, v6, s23
	s_delay_alu instid0(VALU_DEP_1) | instskip(NEXT) | instid1(VALU_DEP_1)
	v_sub_nc_u32_e32 v5, v5, v6
	v_cmp_lt_u32_e64 s7, s39, v5
	s_delay_alu instid0(VALU_DEP_1)
	s_and_b32 s47, s7, exec_lo
; %bb.23:
	s_or_b32 exec_lo, exec_lo, s8
	v_add_nc_u32_e32 v5, s17, v15
	v_add_nc_u32_e32 v6, s19, v15
	s_mov_b32 s9, exec_lo
	s_delay_alu instid0(VALU_DEP_2) | instskip(NEXT) | instid1(VALU_DEP_2)
	v_mul_lo_u32 v5, v5, s16
	v_mul_lo_u32 v6, v6, s18
	s_delay_alu instid0(VALU_DEP_1) | instskip(NEXT) | instid1(VALU_DEP_1)
	v_sub_nc_u32_e32 v5, v5, v6
	v_cmp_lt_u32_e64 s7, s20, v5
	v_cmpx_ge_u32_e64 s20, v5
; %bb.24:
	v_add_nc_u32_e32 v5, s22, v15
	v_add_nc_u32_e32 v6, s38, v15
	s_delay_alu instid0(VALU_DEP_2) | instskip(NEXT) | instid1(VALU_DEP_2)
	v_mul_lo_u32 v5, v5, s21
	v_mul_lo_u32 v6, v6, s23
	s_delay_alu instid0(VALU_DEP_1) | instskip(NEXT) | instid1(VALU_DEP_1)
	v_sub_nc_u32_e32 v5, v5, v6
	v_cmp_lt_u32_e64 s8, s39, v5
	s_delay_alu instid0(VALU_DEP_1)
	s_and_b32 s48, s8, exec_lo
; %bb.25:
	s_or_b32 exec_lo, exec_lo, s9
	v_add_nc_u32_e32 v5, s17, v12
	v_add_nc_u32_e32 v6, s19, v12
	s_mov_b32 s51, 0
	s_mov_b32 s50, 0
	s_mov_b32 s10, exec_lo
	v_mul_lo_u32 v5, v5, s16
	v_mul_lo_u32 v6, v6, s18
	s_delay_alu instid0(VALU_DEP_1) | instskip(NEXT) | instid1(VALU_DEP_1)
	v_sub_nc_u32_e32 v5, v5, v6
	v_cmp_lt_u32_e64 s8, s20, v5
	v_cmpx_ge_u32_e64 s20, v5
; %bb.26:
	v_add_nc_u32_e32 v5, s22, v12
	v_add_nc_u32_e32 v6, s38, v12
	s_delay_alu instid0(VALU_DEP_2) | instskip(NEXT) | instid1(VALU_DEP_2)
	v_mul_lo_u32 v5, v5, s21
	v_mul_lo_u32 v6, v6, s23
	s_delay_alu instid0(VALU_DEP_1) | instskip(NEXT) | instid1(VALU_DEP_1)
	v_sub_nc_u32_e32 v5, v5, v6
	v_cmp_lt_u32_e64 s9, s39, v5
	s_delay_alu instid0(VALU_DEP_1)
	s_and_b32 s50, s9, exec_lo
; %bb.27:
	s_or_b32 exec_lo, exec_lo, s10
	v_add_nc_u32_e32 v5, s17, v13
	v_add_nc_u32_e32 v6, s19, v13
	s_mov_b32 s11, exec_lo
	s_delay_alu instid0(VALU_DEP_2) | instskip(NEXT) | instid1(VALU_DEP_2)
	v_mul_lo_u32 v5, v5, s16
	v_mul_lo_u32 v6, v6, s18
	s_delay_alu instid0(VALU_DEP_1) | instskip(NEXT) | instid1(VALU_DEP_1)
	v_sub_nc_u32_e32 v5, v5, v6
	v_cmp_lt_u32_e64 s9, s20, v5
	v_cmpx_ge_u32_e64 s20, v5
; %bb.28:
	v_add_nc_u32_e32 v5, s22, v13
	v_add_nc_u32_e32 v6, s38, v13
	s_delay_alu instid0(VALU_DEP_2) | instskip(NEXT) | instid1(VALU_DEP_2)
	v_mul_lo_u32 v5, v5, s21
	v_mul_lo_u32 v6, v6, s23
	s_delay_alu instid0(VALU_DEP_1) | instskip(NEXT) | instid1(VALU_DEP_1)
	v_sub_nc_u32_e32 v5, v5, v6
	v_cmp_lt_u32_e64 s10, s39, v5
	s_delay_alu instid0(VALU_DEP_1)
	s_and_b32 s51, s10, exec_lo
; %bb.29:
	s_or_b32 exec_lo, exec_lo, s11
	v_add_nc_u32_e32 v5, s17, v10
	v_add_nc_u32_e32 v6, s19, v10
	s_mov_b32 s52, 0
	s_mov_b32 s53, 0
	s_mov_b32 s12, exec_lo
	v_mul_lo_u32 v5, v5, s16
	v_mul_lo_u32 v6, v6, s18
	s_delay_alu instid0(VALU_DEP_1) | instskip(NEXT) | instid1(VALU_DEP_1)
	v_sub_nc_u32_e32 v5, v5, v6
	v_cmp_lt_u32_e64 s10, s20, v5
	v_cmpx_ge_u32_e64 s20, v5
; %bb.30:
	v_add_nc_u32_e32 v5, s22, v10
	v_add_nc_u32_e32 v6, s38, v10
	s_delay_alu instid0(VALU_DEP_2) | instskip(NEXT) | instid1(VALU_DEP_2)
	v_mul_lo_u32 v5, v5, s21
	v_mul_lo_u32 v6, v6, s23
	s_delay_alu instid0(VALU_DEP_1) | instskip(NEXT) | instid1(VALU_DEP_1)
	v_sub_nc_u32_e32 v5, v5, v6
	v_cmp_lt_u32_e64 s11, s39, v5
	s_delay_alu instid0(VALU_DEP_1)
	s_and_b32 s53, s11, exec_lo
; %bb.31:
	s_or_b32 exec_lo, exec_lo, s12
	v_add_nc_u32_e32 v5, s17, v11
	v_add_nc_u32_e32 v6, s19, v11
	s_mov_b32 s27, exec_lo
	s_delay_alu instid0(VALU_DEP_2) | instskip(NEXT) | instid1(VALU_DEP_2)
	v_mul_lo_u32 v5, v5, s16
	v_mul_lo_u32 v6, v6, s18
	s_delay_alu instid0(VALU_DEP_1) | instskip(NEXT) | instid1(VALU_DEP_1)
	v_sub_nc_u32_e32 v5, v5, v6
	v_cmp_lt_u32_e64 s11, s20, v5
	v_cmpx_ge_u32_e64 s20, v5
; %bb.32:
	v_add_nc_u32_e32 v5, s22, v11
	v_add_nc_u32_e32 v6, s38, v11
	s_delay_alu instid0(VALU_DEP_2) | instskip(NEXT) | instid1(VALU_DEP_2)
	v_mul_lo_u32 v5, v5, s21
	v_mul_lo_u32 v6, v6, s23
	s_delay_alu instid0(VALU_DEP_1) | instskip(NEXT) | instid1(VALU_DEP_1)
	v_sub_nc_u32_e32 v5, v5, v6
	v_cmp_lt_u32_e64 s12, s39, v5
	s_delay_alu instid0(VALU_DEP_1)
	s_and_b32 s52, s12, exec_lo
; %bb.33:
	s_or_b32 exec_lo, exec_lo, s27
	v_add_nc_u32_e32 v5, s17, v32
	v_add_nc_u32_e32 v6, s19, v32
	s_mov_b32 s27, -1
	s_mov_b32 s49, 0
	s_mov_b32 s33, 0
	v_mul_lo_u32 v5, v5, s16
	v_mul_lo_u32 v6, v6, s18
	s_mov_b32 s54, exec_lo
	s_delay_alu instid0(VALU_DEP_1) | instskip(NEXT) | instid1(VALU_DEP_1)
	v_sub_nc_u32_e32 v5, v5, v6
	v_cmpx_ge_u32_e64 s20, v5
; %bb.34:
	v_add_nc_u32_e32 v5, s22, v32
	v_add_nc_u32_e32 v6, s38, v32
	s_xor_b32 s27, exec_lo, -1
	s_delay_alu instid0(VALU_DEP_2) | instskip(NEXT) | instid1(VALU_DEP_2)
	v_mul_lo_u32 v5, v5, s21
	v_mul_lo_u32 v6, v6, s23
	s_delay_alu instid0(VALU_DEP_1) | instskip(NEXT) | instid1(VALU_DEP_1)
	v_sub_nc_u32_e32 v5, v5, v6
	v_cmp_lt_u32_e64 s12, s39, v5
	s_delay_alu instid0(VALU_DEP_1)
	s_and_b32 s33, s12, exec_lo
; %bb.35:
	s_or_b32 exec_lo, exec_lo, s54
	v_cndmask_b32_e64 v53, 0, 1, s53
	v_cndmask_b32_e64 v56, 0, 1, s11
	;; [unrolled: 1-line block ×22, first 2 shown]
	v_cndmask_b32_e64 v34, 0, 1, vcc_lo
	v_cndmask_b32_e64 v57, 0, 1, s52
	s_and_b32 vcc_lo, exec_lo, s49
	s_add_i32 s4, s40, 0xd00
	s_cbranch_vccnz .LBB757_37
	s_branch .LBB757_90
.LBB757_36:
                                        ; implicit-def: $sgpr27
                                        ; implicit-def: $sgpr33
                                        ; implicit-def: $vgpr57
                                        ; implicit-def: $vgpr53
                                        ; implicit-def: $vgpr52
                                        ; implicit-def: $vgpr50
                                        ; implicit-def: $vgpr48
                                        ; implicit-def: $vgpr46
                                        ; implicit-def: $vgpr44
                                        ; implicit-def: $vgpr42
                                        ; implicit-def: $vgpr39
                                        ; implicit-def: $vgpr34
                                        ; implicit-def: $vgpr37
                                        ; implicit-def: $vgpr36
                                        ; implicit-def: $vgpr41
                                        ; implicit-def: $vgpr43
                                        ; implicit-def: $vgpr45
                                        ; implicit-def: $vgpr47
                                        ; implicit-def: $vgpr49
                                        ; implicit-def: $vgpr51
                                        ; implicit-def: $vgpr54
                                        ; implicit-def: $vgpr55
                                        ; implicit-def: $vgpr56
                                        ; implicit-def: $vgpr35
                                        ; implicit-def: $vgpr40
                                        ; implicit-def: $vgpr38
	s_add_i32 s4, s40, 0xd00
	s_cbranch_execz .LBB757_90
.LBB757_37:
	v_dual_mov_b32 v35, 0 :: v_dual_mov_b32 v34, 0
	s_mov_b32 s3, 0
	s_mov_b32 s1, exec_lo
	v_cmpx_gt_u32_e64 s4, v33
	s_cbranch_execz .LBB757_41
; %bb.38:
	v_add_nc_u32_e32 v5, s17, v20
	v_add_nc_u32_e32 v6, s19, v20
	s_mov_b32 s5, exec_lo
	s_delay_alu instid0(VALU_DEP_2) | instskip(NEXT) | instid1(VALU_DEP_2)
	v_mul_lo_u32 v5, v5, s16
	v_mul_lo_u32 v6, v6, s18
	s_delay_alu instid0(VALU_DEP_1) | instskip(NEXT) | instid1(VALU_DEP_1)
	v_sub_nc_u32_e32 v5, v5, v6
	v_cmp_lt_u32_e32 vcc_lo, s20, v5
	v_cmpx_ge_u32_e64 s20, v5
; %bb.39:
	v_add_nc_u32_e32 v5, s22, v20
	v_add_nc_u32_e32 v6, s38, v20
	s_delay_alu instid0(VALU_DEP_2) | instskip(NEXT) | instid1(VALU_DEP_2)
	v_mul_lo_u32 v5, v5, s21
	v_mul_lo_u32 v6, v6, s23
	s_delay_alu instid0(VALU_DEP_1) | instskip(NEXT) | instid1(VALU_DEP_1)
	v_sub_nc_u32_e32 v5, v5, v6
	v_cmp_lt_u32_e64 s0, s39, v5
	s_delay_alu instid0(VALU_DEP_1)
	s_and_b32 s3, s0, exec_lo
; %bb.40:
	s_or_b32 exec_lo, exec_lo, s5
	v_cndmask_b32_e64 v34, 0, 1, vcc_lo
	v_cndmask_b32_e64 v35, 0, 1, s3
.LBB757_41:
	s_or_b32 exec_lo, exec_lo, s1
	v_dual_mov_b32 v40, 0 :: v_dual_add_nc_u32 v5, 1, v33
	v_mov_b32_e32 v37, 0
	s_mov_b32 s3, 0
	s_mov_b32 s1, exec_lo
	s_delay_alu instid0(VALU_DEP_2)
	v_cmpx_gt_u32_e64 s4, v5
	s_cbranch_execz .LBB757_45
; %bb.42:
	v_add_nc_u32_e32 v5, s17, v21
	v_add_nc_u32_e32 v6, s19, v21
	s_mov_b32 s5, exec_lo
	s_delay_alu instid0(VALU_DEP_2) | instskip(NEXT) | instid1(VALU_DEP_2)
	v_mul_lo_u32 v5, v5, s16
	v_mul_lo_u32 v6, v6, s18
	s_delay_alu instid0(VALU_DEP_1) | instskip(NEXT) | instid1(VALU_DEP_1)
	v_sub_nc_u32_e32 v5, v5, v6
	v_cmp_lt_u32_e32 vcc_lo, s20, v5
	v_cmpx_ge_u32_e64 s20, v5
; %bb.43:
	v_add_nc_u32_e32 v5, s22, v21
	v_add_nc_u32_e32 v6, s38, v21
	s_delay_alu instid0(VALU_DEP_2) | instskip(NEXT) | instid1(VALU_DEP_2)
	v_mul_lo_u32 v5, v5, s21
	v_mul_lo_u32 v6, v6, s23
	s_delay_alu instid0(VALU_DEP_1) | instskip(NEXT) | instid1(VALU_DEP_1)
	v_sub_nc_u32_e32 v5, v5, v6
	v_cmp_lt_u32_e64 s0, s39, v5
	s_delay_alu instid0(VALU_DEP_1)
	s_and_b32 s3, s0, exec_lo
; %bb.44:
	s_or_b32 exec_lo, exec_lo, s5
	v_cndmask_b32_e64 v37, 0, 1, vcc_lo
	v_cndmask_b32_e64 v40, 0, 1, s3
.LBB757_45:
	s_or_b32 exec_lo, exec_lo, s1
	v_dual_mov_b32 v36, 0 :: v_dual_add_nc_u32 v5, 2, v33
	v_mov_b32_e32 v38, 0
	s_mov_b32 s3, 0
	s_mov_b32 s1, exec_lo
	s_delay_alu instid0(VALU_DEP_2)
	v_cmpx_gt_u32_e64 s4, v5
	s_cbranch_execz .LBB757_49
; %bb.46:
	v_add_nc_u32_e32 v5, s17, v18
	v_add_nc_u32_e32 v6, s19, v18
	s_mov_b32 s5, exec_lo
	s_delay_alu instid0(VALU_DEP_2) | instskip(NEXT) | instid1(VALU_DEP_2)
	v_mul_lo_u32 v5, v5, s16
	v_mul_lo_u32 v6, v6, s18
	s_delay_alu instid0(VALU_DEP_1) | instskip(NEXT) | instid1(VALU_DEP_1)
	v_sub_nc_u32_e32 v5, v5, v6
	v_cmp_lt_u32_e32 vcc_lo, s20, v5
	v_cmpx_ge_u32_e64 s20, v5
; %bb.47:
	v_add_nc_u32_e32 v5, s22, v18
	v_add_nc_u32_e32 v6, s38, v18
	s_delay_alu instid0(VALU_DEP_2) | instskip(NEXT) | instid1(VALU_DEP_2)
	v_mul_lo_u32 v5, v5, s21
	v_mul_lo_u32 v6, v6, s23
	s_delay_alu instid0(VALU_DEP_1) | instskip(NEXT) | instid1(VALU_DEP_1)
	v_sub_nc_u32_e32 v5, v5, v6
	v_cmp_lt_u32_e64 s0, s39, v5
	s_delay_alu instid0(VALU_DEP_1)
	s_and_b32 s3, s0, exec_lo
; %bb.48:
	s_or_b32 exec_lo, exec_lo, s5
	v_cndmask_b32_e64 v36, 0, 1, vcc_lo
	v_cndmask_b32_e64 v38, 0, 1, s3
.LBB757_49:
	s_or_b32 exec_lo, exec_lo, s1
	v_add_nc_u32_e32 v5, 3, v33
	v_mov_b32_e32 v39, 0
	v_mov_b32_e32 v41, 0
	s_mov_b32 s3, 0
	s_mov_b32 s1, exec_lo
	v_cmpx_gt_u32_e64 s4, v5
	s_cbranch_execz .LBB757_53
; %bb.50:
	v_add_nc_u32_e32 v5, s17, v19
	v_add_nc_u32_e32 v6, s19, v19
	s_mov_b32 s5, exec_lo
	s_delay_alu instid0(VALU_DEP_2) | instskip(NEXT) | instid1(VALU_DEP_2)
	v_mul_lo_u32 v5, v5, s16
	v_mul_lo_u32 v6, v6, s18
	s_delay_alu instid0(VALU_DEP_1) | instskip(NEXT) | instid1(VALU_DEP_1)
	v_sub_nc_u32_e32 v5, v5, v6
	v_cmp_lt_u32_e32 vcc_lo, s20, v5
	v_cmpx_ge_u32_e64 s20, v5
; %bb.51:
	v_add_nc_u32_e32 v5, s22, v19
	v_add_nc_u32_e32 v6, s38, v19
	s_delay_alu instid0(VALU_DEP_2) | instskip(NEXT) | instid1(VALU_DEP_2)
	v_mul_lo_u32 v5, v5, s21
	v_mul_lo_u32 v6, v6, s23
	s_delay_alu instid0(VALU_DEP_1) | instskip(NEXT) | instid1(VALU_DEP_1)
	v_sub_nc_u32_e32 v5, v5, v6
	v_cmp_lt_u32_e64 s0, s39, v5
	s_delay_alu instid0(VALU_DEP_1)
	s_and_b32 s3, s0, exec_lo
; %bb.52:
	s_or_b32 exec_lo, exec_lo, s5
	v_cndmask_b32_e64 v41, 0, 1, vcc_lo
	v_cndmask_b32_e64 v39, 0, 1, s3
.LBB757_53:
	s_or_b32 exec_lo, exec_lo, s1
	v_dual_mov_b32 v42, 0 :: v_dual_add_nc_u32 v5, 4, v33
	v_mov_b32_e32 v43, 0
	s_mov_b32 s3, 0
	s_mov_b32 s1, exec_lo
	s_delay_alu instid0(VALU_DEP_2)
	v_cmpx_gt_u32_e64 s4, v5
	s_cbranch_execz .LBB757_57
; %bb.54:
	v_add_nc_u32_e32 v5, s17, v16
	v_add_nc_u32_e32 v6, s19, v16
	s_mov_b32 s5, exec_lo
	s_delay_alu instid0(VALU_DEP_2) | instskip(NEXT) | instid1(VALU_DEP_2)
	v_mul_lo_u32 v5, v5, s16
	v_mul_lo_u32 v6, v6, s18
	s_delay_alu instid0(VALU_DEP_1) | instskip(NEXT) | instid1(VALU_DEP_1)
	v_sub_nc_u32_e32 v5, v5, v6
	v_cmp_lt_u32_e32 vcc_lo, s20, v5
	v_cmpx_ge_u32_e64 s20, v5
; %bb.55:
	v_add_nc_u32_e32 v5, s22, v16
	v_add_nc_u32_e32 v6, s38, v16
	s_delay_alu instid0(VALU_DEP_2) | instskip(NEXT) | instid1(VALU_DEP_2)
	v_mul_lo_u32 v5, v5, s21
	v_mul_lo_u32 v6, v6, s23
	s_delay_alu instid0(VALU_DEP_1) | instskip(NEXT) | instid1(VALU_DEP_1)
	v_sub_nc_u32_e32 v5, v5, v6
	v_cmp_lt_u32_e64 s0, s39, v5
	s_delay_alu instid0(VALU_DEP_1)
	s_and_b32 s3, s0, exec_lo
; %bb.56:
	s_or_b32 exec_lo, exec_lo, s5
	v_cndmask_b32_e64 v43, 0, 1, vcc_lo
	v_cndmask_b32_e64 v42, 0, 1, s3
.LBB757_57:
	s_or_b32 exec_lo, exec_lo, s1
	v_dual_mov_b32 v44, 0 :: v_dual_add_nc_u32 v5, 5, v33
	v_mov_b32_e32 v45, 0
	s_mov_b32 s3, 0
	s_mov_b32 s1, exec_lo
	s_delay_alu instid0(VALU_DEP_2)
	;; [unrolled: 35-line block ×6, first 2 shown]
	v_cmpx_gt_u32_e64 s4, v5
	s_cbranch_execz .LBB757_77
; %bb.74:
	v_add_nc_u32_e32 v5, s17, v13
	v_add_nc_u32_e32 v6, s19, v13
	s_mov_b32 s5, exec_lo
	s_delay_alu instid0(VALU_DEP_2) | instskip(NEXT) | instid1(VALU_DEP_2)
	v_mul_lo_u32 v5, v5, s16
	v_mul_lo_u32 v6, v6, s18
	s_delay_alu instid0(VALU_DEP_1) | instskip(NEXT) | instid1(VALU_DEP_1)
	v_sub_nc_u32_e32 v5, v5, v6
	v_cmp_lt_u32_e32 vcc_lo, s20, v5
	v_cmpx_ge_u32_e64 s20, v5
; %bb.75:
	v_add_nc_u32_e32 v5, s22, v13
	v_add_nc_u32_e32 v6, s38, v13
	s_delay_alu instid0(VALU_DEP_2) | instskip(NEXT) | instid1(VALU_DEP_2)
	v_mul_lo_u32 v5, v5, s21
	v_mul_lo_u32 v6, v6, s23
	s_delay_alu instid0(VALU_DEP_1) | instskip(NEXT) | instid1(VALU_DEP_1)
	v_sub_nc_u32_e32 v5, v5, v6
	v_cmp_lt_u32_e64 s0, s39, v5
	s_delay_alu instid0(VALU_DEP_1)
	s_and_b32 s3, s0, exec_lo
; %bb.76:
	s_or_b32 exec_lo, exec_lo, s5
	v_cndmask_b32_e64 v54, 0, 1, vcc_lo
	v_cndmask_b32_e64 v52, 0, 1, s3
.LBB757_77:
	s_or_b32 exec_lo, exec_lo, s1
	v_add_nc_u32_e32 v5, 10, v33
	v_mov_b32_e32 v53, 0
	v_mov_b32_e32 v55, 0
	s_mov_b32 s3, 0
	s_mov_b32 s1, exec_lo
	v_cmpx_gt_u32_e64 s4, v5
	s_cbranch_execz .LBB757_81
; %bb.78:
	v_add_nc_u32_e32 v5, s17, v10
	v_add_nc_u32_e32 v6, s19, v10
	s_mov_b32 s5, exec_lo
	s_delay_alu instid0(VALU_DEP_2) | instskip(NEXT) | instid1(VALU_DEP_2)
	v_mul_lo_u32 v5, v5, s16
	v_mul_lo_u32 v6, v6, s18
	s_delay_alu instid0(VALU_DEP_1) | instskip(NEXT) | instid1(VALU_DEP_1)
	v_sub_nc_u32_e32 v5, v5, v6
	v_cmp_lt_u32_e32 vcc_lo, s20, v5
	v_cmpx_ge_u32_e64 s20, v5
; %bb.79:
	v_add_nc_u32_e32 v5, s22, v10
	v_add_nc_u32_e32 v6, s38, v10
	s_delay_alu instid0(VALU_DEP_2) | instskip(NEXT) | instid1(VALU_DEP_2)
	v_mul_lo_u32 v5, v5, s21
	v_mul_lo_u32 v6, v6, s23
	s_delay_alu instid0(VALU_DEP_1) | instskip(NEXT) | instid1(VALU_DEP_1)
	v_sub_nc_u32_e32 v5, v5, v6
	v_cmp_lt_u32_e64 s0, s39, v5
	s_delay_alu instid0(VALU_DEP_1)
	s_and_b32 s3, s0, exec_lo
; %bb.80:
	s_or_b32 exec_lo, exec_lo, s5
	v_cndmask_b32_e64 v55, 0, 1, vcc_lo
	v_cndmask_b32_e64 v53, 0, 1, s3
.LBB757_81:
	s_or_b32 exec_lo, exec_lo, s1
	v_dual_mov_b32 v56, 0 :: v_dual_add_nc_u32 v5, 11, v33
	v_mov_b32_e32 v57, 0
	s_mov_b32 s3, 0
	s_mov_b32 s1, exec_lo
	s_delay_alu instid0(VALU_DEP_2)
	v_cmpx_gt_u32_e64 s4, v5
	s_cbranch_execz .LBB757_85
; %bb.82:
	v_add_nc_u32_e32 v5, s17, v11
	v_add_nc_u32_e32 v6, s19, v11
	s_mov_b32 s5, exec_lo
	s_delay_alu instid0(VALU_DEP_2) | instskip(NEXT) | instid1(VALU_DEP_2)
	v_mul_lo_u32 v5, v5, s16
	v_mul_lo_u32 v6, v6, s18
	s_delay_alu instid0(VALU_DEP_1) | instskip(NEXT) | instid1(VALU_DEP_1)
	v_sub_nc_u32_e32 v5, v5, v6
	v_cmp_lt_u32_e32 vcc_lo, s20, v5
	v_cmpx_ge_u32_e64 s20, v5
; %bb.83:
	v_add_nc_u32_e32 v5, s22, v11
	v_add_nc_u32_e32 v6, s38, v11
	s_delay_alu instid0(VALU_DEP_2) | instskip(NEXT) | instid1(VALU_DEP_2)
	v_mul_lo_u32 v5, v5, s21
	v_mul_lo_u32 v6, v6, s23
	s_delay_alu instid0(VALU_DEP_1) | instskip(NEXT) | instid1(VALU_DEP_1)
	v_sub_nc_u32_e32 v5, v5, v6
	v_cmp_lt_u32_e64 s0, s39, v5
	s_delay_alu instid0(VALU_DEP_1)
	s_and_b32 s3, s0, exec_lo
; %bb.84:
	s_or_b32 exec_lo, exec_lo, s5
	v_cndmask_b32_e64 v56, 0, 1, vcc_lo
	v_cndmask_b32_e64 v57, 0, 1, s3
.LBB757_85:
	s_or_b32 exec_lo, exec_lo, s1
	v_add_nc_u32_e32 v5, 12, v33
	s_mov_b32 s27, 0
	s_mov_b32 s33, 0
	s_mov_b32 s0, exec_lo
	s_delay_alu instid0(VALU_DEP_1)
	v_cmpx_gt_u32_e64 s4, v5
	s_cbranch_execz .LBB757_89
; %bb.86:
	v_add_nc_u32_e32 v5, s17, v32
	v_add_nc_u32_e32 v6, s19, v32
	s_mov_b32 s3, -1
	s_mov_b32 s5, 0
	s_mov_b32 s1, exec_lo
	v_mul_lo_u32 v5, v5, s16
	v_mul_lo_u32 v6, v6, s18
	s_delay_alu instid0(VALU_DEP_1) | instskip(NEXT) | instid1(VALU_DEP_1)
	v_sub_nc_u32_e32 v5, v5, v6
	v_cmpx_ge_u32_e64 s20, v5
; %bb.87:
	v_add_nc_u32_e32 v5, s22, v32
	v_add_nc_u32_e32 v6, s38, v32
	s_xor_b32 s3, exec_lo, -1
	s_delay_alu instid0(VALU_DEP_2) | instskip(NEXT) | instid1(VALU_DEP_2)
	v_mul_lo_u32 v5, v5, s21
	v_mul_lo_u32 v6, v6, s23
	s_delay_alu instid0(VALU_DEP_1) | instskip(NEXT) | instid1(VALU_DEP_1)
	v_sub_nc_u32_e32 v5, v5, v6
	v_cmp_lt_u32_e32 vcc_lo, s39, v5
	s_and_b32 s5, vcc_lo, exec_lo
; %bb.88:
	s_or_b32 exec_lo, exec_lo, s1
	s_delay_alu instid0(SALU_CYCLE_1)
	s_and_b32 s33, s5, exec_lo
	s_and_b32 s27, s3, exec_lo
.LBB757_89:
	s_or_b32 exec_lo, exec_lo, s0
.LBB757_90:
	v_and_b32_e32 v80, 0xff, v34
	v_and_b32_e32 v81, 0xff, v35
	;; [unrolled: 1-line block ×10, first 2 shown]
	v_add3_u32 v5, v76, v78, v80
	v_add3_u32 v6, v77, v79, v81
	v_and_b32_e32 v70, 0xff, v45
	v_and_b32_e32 v71, 0xff, v44
	v_and_b32_e32 v64, 0xff, v47
	v_and_b32_e32 v65, 0xff, v46
	v_add3_u32 v5, v5, v74, v72
	v_add3_u32 v6, v6, v75, v73
	v_and_b32_e32 v68, 0xff, v49
	v_and_b32_e32 v69, 0xff, v48
	v_and_b32_e32 v66, 0xff, v51
	v_and_b32_e32 v67, 0xff, v50
	;; [unrolled: 6-line block ×3, first 2 shown]
	v_add3_u32 v5, v5, v68, v66
	v_add3_u32 v6, v6, v69, v67
	v_mbcnt_lo_u32_b32 v82, -1, 0
	v_and_b32_e32 v58, 0xff, v56
	v_and_b32_e32 v59, 0xff, v57
	v_cndmask_b32_e64 v7, 0, 1, s33
	v_add3_u32 v5, v5, v61, v60
	v_cndmask_b32_e64 v8, 0, 1, s27
	v_add3_u32 v6, v6, v62, v63
	v_and_b32_e32 v86, 15, v82
	v_and_b32_e32 v85, 16, v82
	v_lshrrev_b32_e32 v83, 5, v0
	v_add3_u32 v87, v5, v58, v8
	v_add3_u32 v88, v6, v59, v7
	v_cmp_eq_u32_e64 s1, 0, v86
	v_cmp_lt_u32_e64 s0, 1, v86
	v_cmp_lt_u32_e64 s3, 3, v86
	v_cmp_lt_u32_e32 vcc_lo, 7, v86
	v_or_b32_e32 v84, 31, v0
	s_cmp_lg_u32 s26, 0
	s_mov_b32 s5, -1
	s_cbranch_scc0 .LBB757_123
; %bb.91:
	v_mov_b32_dpp v5, v88 row_shr:1 row_mask:0xf bank_mask:0xf
	v_mov_b32_dpp v6, v87 row_shr:1 row_mask:0xf bank_mask:0xf
	s_delay_alu instid0(VALU_DEP_2) | instskip(NEXT) | instid1(VALU_DEP_2)
	v_add_nc_u32_e32 v5, v5, v88
	v_add_nc_u32_e32 v6, v6, v87
	s_delay_alu instid0(VALU_DEP_2) | instskip(NEXT) | instid1(VALU_DEP_2)
	v_cndmask_b32_e64 v5, v5, v88, s1
	v_cndmask_b32_e64 v6, v6, v87, s1
	s_delay_alu instid0(VALU_DEP_2) | instskip(NEXT) | instid1(VALU_DEP_2)
	v_mov_b32_dpp v7, v5 row_shr:2 row_mask:0xf bank_mask:0xf
	v_mov_b32_dpp v8, v6 row_shr:2 row_mask:0xf bank_mask:0xf
	s_delay_alu instid0(VALU_DEP_2) | instskip(NEXT) | instid1(VALU_DEP_1)
	v_add_nc_u32_e32 v7, v5, v7
	v_cndmask_b32_e64 v5, v5, v7, s0
	s_delay_alu instid0(VALU_DEP_1) | instskip(NEXT) | instid1(VALU_DEP_1)
	v_mov_b32_dpp v7, v5 row_shr:4 row_mask:0xf bank_mask:0xf
	v_add_nc_u32_e32 v7, v5, v7
	s_delay_alu instid0(VALU_DEP_1) | instskip(NEXT) | instid1(VALU_DEP_1)
	v_cndmask_b32_e64 v5, v5, v7, s3
	v_mov_b32_dpp v7, v5 row_shr:8 row_mask:0xf bank_mask:0xf
	s_delay_alu instid0(VALU_DEP_1) | instskip(NEXT) | instid1(VALU_DEP_1)
	v_add_nc_u32_e32 v7, v5, v7
	v_dual_cndmask_b32 v5, v5, v7 :: v_dual_add_nc_u32 v8, v6, v8
	s_delay_alu instid0(VALU_DEP_1) | instskip(NEXT) | instid1(VALU_DEP_1)
	v_cndmask_b32_e64 v6, v6, v8, s0
	v_mov_b32_dpp v8, v6 row_shr:4 row_mask:0xf bank_mask:0xf
	s_delay_alu instid0(VALU_DEP_1) | instskip(NEXT) | instid1(VALU_DEP_1)
	v_add_nc_u32_e32 v8, v6, v8
	v_cndmask_b32_e64 v6, v6, v8, s3
	s_mov_b32 s3, exec_lo
	s_delay_alu instid0(VALU_DEP_1) | instskip(NEXT) | instid1(VALU_DEP_1)
	v_mov_b32_dpp v8, v6 row_shr:8 row_mask:0xf bank_mask:0xf
	v_add_nc_u32_e32 v8, v6, v8
	s_delay_alu instid0(VALU_DEP_1)
	v_cndmask_b32_e32 v7, v6, v8, vcc_lo
	ds_swizzle_b32 v6, v5 offset:swizzle(BROADCAST,32,15)
	v_cmp_eq_u32_e32 vcc_lo, 0, v85
	s_waitcnt lgkmcnt(0)
	v_add_nc_u32_e32 v6, v5, v6
	ds_swizzle_b32 v8, v7 offset:swizzle(BROADCAST,32,15)
	v_cndmask_b32_e32 v6, v6, v5, vcc_lo
	s_waitcnt lgkmcnt(0)
	v_add_nc_u32_e32 v8, v7, v8
	s_delay_alu instid0(VALU_DEP_1)
	v_cndmask_b32_e32 v5, v8, v7, vcc_lo
	v_cmpx_eq_u32_e64 v84, v0
	s_cbranch_execz .LBB757_93
; %bb.92:
	v_lshlrev_b32_e32 v7, 3, v83
	ds_store_b64 v7, v[5:6]
.LBB757_93:
	s_or_b32 exec_lo, exec_lo, s3
	s_delay_alu instid0(SALU_CYCLE_1)
	s_mov_b32 s3, exec_lo
	s_waitcnt lgkmcnt(0)
	s_barrier
	buffer_gl0_inv
	v_cmpx_gt_u32_e32 8, v0
	s_cbranch_execz .LBB757_95
; %bb.94:
	v_lshlrev_b32_e32 v9, 3, v0
	ds_load_b64 v[7:8], v9
	s_waitcnt lgkmcnt(0)
	v_mov_b32_dpp v22, v7 row_shr:1 row_mask:0xf bank_mask:0xf
	v_mov_b32_dpp v23, v8 row_shr:1 row_mask:0xf bank_mask:0xf
	s_delay_alu instid0(VALU_DEP_2) | instskip(SKIP_1) | instid1(VALU_DEP_3)
	v_add_nc_u32_e32 v22, v22, v7
	v_and_b32_e32 v24, 7, v82
	v_add_nc_u32_e32 v23, v23, v8
	s_delay_alu instid0(VALU_DEP_2) | instskip(NEXT) | instid1(VALU_DEP_2)
	v_cmp_eq_u32_e32 vcc_lo, 0, v24
	v_dual_cndmask_b32 v8, v23, v8 :: v_dual_cndmask_b32 v7, v22, v7
	v_cmp_lt_u32_e32 vcc_lo, 1, v24
	s_delay_alu instid0(VALU_DEP_2) | instskip(NEXT) | instid1(VALU_DEP_3)
	v_mov_b32_dpp v23, v8 row_shr:2 row_mask:0xf bank_mask:0xf
	v_mov_b32_dpp v22, v7 row_shr:2 row_mask:0xf bank_mask:0xf
	s_delay_alu instid0(VALU_DEP_2) | instskip(NEXT) | instid1(VALU_DEP_2)
	v_add_nc_u32_e32 v23, v8, v23
	v_add_nc_u32_e32 v22, v7, v22
	s_delay_alu instid0(VALU_DEP_1) | instskip(SKIP_1) | instid1(VALU_DEP_2)
	v_dual_cndmask_b32 v8, v8, v23 :: v_dual_cndmask_b32 v7, v7, v22
	v_cmp_lt_u32_e32 vcc_lo, 3, v24
	v_mov_b32_dpp v23, v8 row_shr:4 row_mask:0xf bank_mask:0xf
	s_delay_alu instid0(VALU_DEP_3) | instskip(NEXT) | instid1(VALU_DEP_1)
	v_mov_b32_dpp v22, v7 row_shr:4 row_mask:0xf bank_mask:0xf
	v_dual_cndmask_b32 v23, 0, v23 :: v_dual_cndmask_b32 v22, 0, v22
	s_delay_alu instid0(VALU_DEP_1) | instskip(NEXT) | instid1(VALU_DEP_2)
	v_add_nc_u32_e32 v8, v23, v8
	v_add_nc_u32_e32 v7, v22, v7
	ds_store_b64 v9, v[7:8]
.LBB757_95:
	s_or_b32 exec_lo, exec_lo, s3
	v_cmp_gt_u32_e32 vcc_lo, 32, v0
	v_cmp_lt_u32_e64 s3, 31, v0
	s_waitcnt lgkmcnt(0)
	s_barrier
	buffer_gl0_inv
                                        ; implicit-def: $vgpr23
	s_and_saveexec_b32 s5, s3
	s_delay_alu instid0(SALU_CYCLE_1)
	s_xor_b32 s3, exec_lo, s5
	s_cbranch_execz .LBB757_97
; %bb.96:
	v_lshl_add_u32 v7, v83, 3, -8
	ds_load_b64 v[22:23], v7
	s_waitcnt lgkmcnt(0)
	v_add_nc_u32_e32 v6, v23, v6
	v_add_nc_u32_e32 v5, v22, v5
.LBB757_97:
	s_and_not1_saveexec_b32 s3, s3
; %bb.98:
                                        ; implicit-def: $vgpr22
; %bb.99:
	s_delay_alu instid0(SALU_CYCLE_1) | instskip(SKIP_1) | instid1(VALU_DEP_1)
	s_or_b32 exec_lo, exec_lo, s3
	v_add_nc_u32_e32 v7, -1, v82
	v_cmp_gt_i32_e64 s3, 0, v7
	s_delay_alu instid0(VALU_DEP_1) | instskip(SKIP_1) | instid1(VALU_DEP_2)
	v_cndmask_b32_e64 v7, v7, v82, s3
	v_cmp_eq_u32_e64 s3, 0, v82
	v_lshlrev_b32_e32 v7, 2, v7
	ds_bpermute_b32 v89, v7, v5
	ds_bpermute_b32 v90, v7, v6
	s_and_saveexec_b32 s5, vcc_lo
	s_cbranch_execz .LBB757_122
; %bb.100:
	v_mov_b32_e32 v8, 0
	ds_load_b64 v[5:6], v8 offset:56
	s_waitcnt lgkmcnt(0)
	v_readfirstlane_b32 s6, v6
	s_and_saveexec_b32 s7, s3
	s_cbranch_execz .LBB757_102
; %bb.101:
	s_add_i32 s8, s26, 32
	s_mov_b32 s9, 0
	v_mov_b32_e32 v7, 1
	s_lshl_b64 s[10:11], s[8:9], 4
	s_mov_b32 s16, s9
	s_add_u32 s10, s36, s10
	s_addc_u32 s11, s37, s11
	s_and_b32 s17, s6, 0xff000000
	s_and_b32 s19, s6, 0xff0000
	s_mov_b32 s18, s9
	v_dual_mov_b32 v25, s11 :: v_dual_mov_b32 v24, s10
	s_or_b64 s[16:17], s[18:19], s[16:17]
	s_and_b32 s19, s6, 0xff00
	s_delay_alu instid0(SALU_CYCLE_1) | instskip(SKIP_1) | instid1(SALU_CYCLE_1)
	s_or_b64 s[16:17], s[16:17], s[18:19]
	s_and_b32 s19, s6, 0xff
	s_or_b64 s[8:9], s[16:17], s[18:19]
	s_delay_alu instid0(SALU_CYCLE_1)
	v_mov_b32_e32 v6, s9
	;;#ASMSTART
	global_store_dwordx4 v[24:25], v[5:8] off	
s_waitcnt vmcnt(0)
	;;#ASMEND
.LBB757_102:
	s_or_b32 exec_lo, exec_lo, s7
	v_xad_u32 v24, v82, -1, s26
	s_mov_b32 s8, 0
	s_mov_b32 s7, exec_lo
	s_delay_alu instid0(VALU_DEP_1) | instskip(NEXT) | instid1(VALU_DEP_1)
	v_add_nc_u32_e32 v7, 32, v24
	v_lshlrev_b64 v[6:7], 4, v[7:8]
	s_delay_alu instid0(VALU_DEP_1) | instskip(NEXT) | instid1(VALU_DEP_2)
	v_add_co_u32 v25, vcc_lo, s36, v6
	v_add_co_ci_u32_e32 v26, vcc_lo, s37, v7, vcc_lo
	;;#ASMSTART
	global_load_dwordx4 v[6:9], v[25:26] off glc	
s_waitcnt vmcnt(0)
	;;#ASMEND
	v_and_b32_e32 v9, 0xff, v7
	v_and_b32_e32 v27, 0xff00, v7
	v_or3_b32 v6, v6, 0, 0
	v_and_b32_e32 v28, 0xff000000, v7
	v_and_b32_e32 v7, 0xff0000, v7
	s_delay_alu instid0(VALU_DEP_4) | instskip(SKIP_2) | instid1(VALU_DEP_3)
	v_or3_b32 v9, 0, v9, v27
	v_and_b32_e32 v27, 0xff, v8
	v_or3_b32 v6, v6, 0, 0
	v_or3_b32 v7, v9, v7, v28
	s_delay_alu instid0(VALU_DEP_3)
	v_cmpx_eq_u16_e32 0, v27
	s_cbranch_execz .LBB757_108
; %bb.103:
	s_mov_b32 s9, 1
	.p2align	6
.LBB757_104:                            ; =>This Loop Header: Depth=1
                                        ;     Child Loop BB757_105 Depth 2
	s_delay_alu instid0(SALU_CYCLE_1)
	s_max_u32 s10, s9, 1
.LBB757_105:                            ;   Parent Loop BB757_104 Depth=1
                                        ; =>  This Inner Loop Header: Depth=2
	s_delay_alu instid0(SALU_CYCLE_1)
	s_add_i32 s10, s10, -1
	s_sleep 1
	s_cmp_eq_u32 s10, 0
	s_cbranch_scc0 .LBB757_105
; %bb.106:                              ;   in Loop: Header=BB757_104 Depth=1
	;;#ASMSTART
	global_load_dwordx4 v[6:9], v[25:26] off glc	
s_waitcnt vmcnt(0)
	;;#ASMEND
	v_and_b32_e32 v9, 0xff, v8
	s_cmp_lt_u32 s9, 32
	s_cselect_b32 s10, -1, 0
	s_delay_alu instid0(SALU_CYCLE_1) | instskip(NEXT) | instid1(VALU_DEP_1)
	s_cmp_lg_u32 s10, 0
	v_cmp_ne_u16_e32 vcc_lo, 0, v9
	s_addc_u32 s9, s9, 0
	s_or_b32 s8, vcc_lo, s8
	s_delay_alu instid0(SALU_CYCLE_1)
	s_and_not1_b32 exec_lo, exec_lo, s8
	s_cbranch_execnz .LBB757_104
; %bb.107:
	s_or_b32 exec_lo, exec_lo, s8
.LBB757_108:
	s_delay_alu instid0(SALU_CYCLE_1) | instskip(SKIP_3) | instid1(VALU_DEP_1)
	s_or_b32 exec_lo, exec_lo, s7
	v_cmp_ne_u32_e32 vcc_lo, 31, v82
	v_lshlrev_b32_e64 v92, v82, -1
	v_add_co_ci_u32_e32 v9, vcc_lo, 0, v82, vcc_lo
	v_lshlrev_b32_e32 v91, 2, v9
	ds_bpermute_b32 v25, v91, v7
	ds_bpermute_b32 v9, v91, v6
	s_waitcnt lgkmcnt(1)
	v_add_nc_u32_e32 v25, v25, v7
	v_and_b32_e32 v26, 0xff, v8
	s_waitcnt lgkmcnt(0)
	v_add_nc_u32_e32 v9, v9, v6
	s_delay_alu instid0(VALU_DEP_2) | instskip(SKIP_2) | instid1(VALU_DEP_2)
	v_cmp_eq_u16_e32 vcc_lo, 2, v26
	v_and_or_b32 v26, vcc_lo, v92, 0x80000000
	v_cmp_gt_u32_e32 vcc_lo, 30, v82
	v_ctz_i32_b32_e32 v26, v26
	v_cndmask_b32_e64 v27, 0, 1, vcc_lo
	s_delay_alu instid0(VALU_DEP_2) | instskip(NEXT) | instid1(VALU_DEP_2)
	v_cmp_lt_u32_e32 vcc_lo, v82, v26
	v_dual_cndmask_b32 v6, v6, v9 :: v_dual_lshlrev_b32 v27, 1, v27
	s_delay_alu instid0(VALU_DEP_1)
	v_add_lshl_u32 v93, v27, v82, 2
	v_cndmask_b32_e32 v7, v7, v25, vcc_lo
	v_cmp_gt_u32_e32 vcc_lo, 28, v82
	ds_bpermute_b32 v9, v93, v6
	ds_bpermute_b32 v25, v93, v7
	v_cndmask_b32_e64 v27, 0, 1, vcc_lo
	s_waitcnt lgkmcnt(1)
	v_add_nc_u32_e32 v9, v6, v9
	s_waitcnt lgkmcnt(0)
	v_add_nc_u32_e32 v25, v7, v25
	v_add_nc_u32_e32 v94, 2, v82
	s_delay_alu instid0(VALU_DEP_1) | instskip(NEXT) | instid1(VALU_DEP_3)
	v_cmp_gt_u32_e32 vcc_lo, v94, v26
	v_cndmask_b32_e32 v7, v25, v7, vcc_lo
	v_dual_cndmask_b32 v6, v9, v6 :: v_dual_lshlrev_b32 v27, 2, v27
	v_cmp_gt_u32_e32 vcc_lo, 24, v82
	s_delay_alu instid0(VALU_DEP_2) | instskip(SKIP_4) | instid1(VALU_DEP_1)
	v_add_lshl_u32 v95, v27, v82, 2
	v_cndmask_b32_e64 v27, 0, 1, vcc_lo
	ds_bpermute_b32 v25, v95, v7
	ds_bpermute_b32 v9, v95, v6
	v_lshlrev_b32_e32 v27, 3, v27
	v_add_lshl_u32 v97, v27, v82, 2
	s_waitcnt lgkmcnt(1)
	v_add_nc_u32_e32 v25, v7, v25
	v_add_nc_u32_e32 v96, 4, v82
	s_waitcnt lgkmcnt(0)
	v_add_nc_u32_e32 v9, v6, v9
	s_delay_alu instid0(VALU_DEP_2) | instskip(SKIP_1) | instid1(VALU_DEP_3)
	v_cmp_gt_u32_e32 vcc_lo, v96, v26
	v_cndmask_b32_e32 v7, v25, v7, vcc_lo
	v_cndmask_b32_e32 v6, v9, v6, vcc_lo
	v_cmp_gt_u32_e32 vcc_lo, 16, v82
	ds_bpermute_b32 v25, v97, v7
	ds_bpermute_b32 v9, v97, v6
	v_cndmask_b32_e64 v27, 0, 1, vcc_lo
	s_delay_alu instid0(VALU_DEP_1) | instskip(NEXT) | instid1(VALU_DEP_1)
	v_lshlrev_b32_e32 v27, 4, v27
	v_add_lshl_u32 v99, v27, v82, 2
	s_waitcnt lgkmcnt(1)
	v_add_nc_u32_e32 v25, v7, v25
	v_add_nc_u32_e32 v98, 8, v82
	s_waitcnt lgkmcnt(0)
	v_add_nc_u32_e32 v9, v6, v9
	s_delay_alu instid0(VALU_DEP_2) | instskip(SKIP_1) | instid1(VALU_DEP_3)
	v_cmp_gt_u32_e32 vcc_lo, v98, v26
	v_cndmask_b32_e32 v7, v25, v7, vcc_lo
	v_cndmask_b32_e32 v6, v9, v6, vcc_lo
	ds_bpermute_b32 v25, v99, v7
	ds_bpermute_b32 v9, v99, v6
	v_add_nc_u32_e32 v100, 16, v82
	s_delay_alu instid0(VALU_DEP_1) | instskip(SKIP_2) | instid1(VALU_DEP_1)
	v_cmp_le_u32_e32 vcc_lo, v100, v26
	s_waitcnt lgkmcnt(0)
	v_cndmask_b32_e32 v9, 0, v9, vcc_lo
	v_dual_cndmask_b32 v25, 0, v25 :: v_dual_add_nc_u32 v6, v9, v6
	s_delay_alu instid0(VALU_DEP_1)
	v_add_nc_u32_e32 v7, v25, v7
	v_mov_b32_e32 v25, 0
	s_branch .LBB757_110
.LBB757_109:                            ;   in Loop: Header=BB757_110 Depth=1
	s_or_b32 exec_lo, exec_lo, s7
	ds_bpermute_b32 v9, v91, v6
	ds_bpermute_b32 v28, v91, v7
	v_subrev_nc_u32_e32 v24, 32, v24
	s_waitcnt lgkmcnt(1)
	v_add_nc_u32_e32 v9, v9, v6
	v_and_b32_e32 v29, 0xff, v8
	s_waitcnt lgkmcnt(0)
	v_add_nc_u32_e32 v28, v28, v7
	s_delay_alu instid0(VALU_DEP_2) | instskip(SKIP_1) | instid1(VALU_DEP_1)
	v_cmp_eq_u16_e32 vcc_lo, 2, v29
	v_and_or_b32 v29, vcc_lo, v92, 0x80000000
	v_ctz_i32_b32_e32 v29, v29
	s_delay_alu instid0(VALU_DEP_1)
	v_cmp_lt_u32_e32 vcc_lo, v82, v29
	v_cndmask_b32_e32 v6, v6, v9, vcc_lo
	ds_bpermute_b32 v9, v93, v6
	s_waitcnt lgkmcnt(0)
	v_add_nc_u32_e32 v9, v6, v9
	v_cndmask_b32_e32 v7, v7, v28, vcc_lo
	v_cmp_gt_u32_e32 vcc_lo, v94, v29
	s_delay_alu instid0(VALU_DEP_3)
	v_cndmask_b32_e32 v6, v9, v6, vcc_lo
	ds_bpermute_b32 v28, v93, v7
	ds_bpermute_b32 v9, v95, v6
	s_waitcnt lgkmcnt(1)
	v_add_nc_u32_e32 v28, v7, v28
	s_waitcnt lgkmcnt(0)
	v_add_nc_u32_e32 v9, v6, v9
	s_delay_alu instid0(VALU_DEP_2) | instskip(SKIP_1) | instid1(VALU_DEP_3)
	v_cndmask_b32_e32 v7, v28, v7, vcc_lo
	v_cmp_gt_u32_e32 vcc_lo, v96, v29
	v_cndmask_b32_e32 v6, v9, v6, vcc_lo
	ds_bpermute_b32 v28, v95, v7
	ds_bpermute_b32 v9, v97, v6
	s_waitcnt lgkmcnt(1)
	v_add_nc_u32_e32 v28, v7, v28
	s_waitcnt lgkmcnt(0)
	v_add_nc_u32_e32 v9, v6, v9
	s_delay_alu instid0(VALU_DEP_2) | instskip(SKIP_1) | instid1(VALU_DEP_3)
	v_cndmask_b32_e32 v7, v28, v7, vcc_lo
	v_cmp_gt_u32_e32 vcc_lo, v98, v29
	v_cndmask_b32_e32 v6, v9, v6, vcc_lo
	ds_bpermute_b32 v28, v97, v7
	ds_bpermute_b32 v9, v99, v6
	s_waitcnt lgkmcnt(1)
	v_add_nc_u32_e32 v28, v7, v28
	s_delay_alu instid0(VALU_DEP_1) | instskip(SKIP_4) | instid1(VALU_DEP_1)
	v_cndmask_b32_e32 v7, v28, v7, vcc_lo
	v_cmp_le_u32_e32 vcc_lo, v100, v29
	ds_bpermute_b32 v28, v99, v7
	s_waitcnt lgkmcnt(1)
	v_cndmask_b32_e32 v9, 0, v9, vcc_lo
	v_add3_u32 v6, v6, v26, v9
	s_waitcnt lgkmcnt(0)
	v_cndmask_b32_e32 v28, 0, v28, vcc_lo
	s_delay_alu instid0(VALU_DEP_1)
	v_add3_u32 v7, v7, v27, v28
.LBB757_110:                            ; =>This Loop Header: Depth=1
                                        ;     Child Loop BB757_113 Depth 2
                                        ;       Child Loop BB757_114 Depth 3
	s_delay_alu instid0(VALU_DEP_1) | instskip(SKIP_1) | instid1(VALU_DEP_2)
	v_dual_mov_b32 v27, v7 :: v_dual_and_b32 v8, 0xff, v8
	v_mov_b32_e32 v26, v6
	v_cmp_ne_u16_e32 vcc_lo, 2, v8
	v_cndmask_b32_e64 v8, 0, 1, vcc_lo
	;;#ASMSTART
	;;#ASMEND
	s_delay_alu instid0(VALU_DEP_1)
	v_cmp_ne_u32_e32 vcc_lo, 0, v8
	s_cmp_lg_u32 vcc_lo, exec_lo
	s_cbranch_scc1 .LBB757_117
; %bb.111:                              ;   in Loop: Header=BB757_110 Depth=1
	v_lshlrev_b64 v[6:7], 4, v[24:25]
	s_mov_b32 s7, exec_lo
	s_delay_alu instid0(VALU_DEP_1) | instskip(NEXT) | instid1(VALU_DEP_2)
	v_add_co_u32 v28, vcc_lo, s36, v6
	v_add_co_ci_u32_e32 v29, vcc_lo, s37, v7, vcc_lo
	;;#ASMSTART
	global_load_dwordx4 v[6:9], v[28:29] off glc	
s_waitcnt vmcnt(0)
	;;#ASMEND
	v_and_b32_e32 v9, 0xff, v7
	v_and_b32_e32 v101, 0xff00, v7
	v_or3_b32 v6, v6, 0, 0
	v_and_b32_e32 v102, 0xff000000, v7
	v_and_b32_e32 v7, 0xff0000, v7
	s_delay_alu instid0(VALU_DEP_4) | instskip(SKIP_2) | instid1(VALU_DEP_3)
	v_or3_b32 v9, 0, v9, v101
	v_and_b32_e32 v101, 0xff, v8
	v_or3_b32 v6, v6, 0, 0
	v_or3_b32 v7, v9, v7, v102
	s_delay_alu instid0(VALU_DEP_3)
	v_cmpx_eq_u16_e32 0, v101
	s_cbranch_execz .LBB757_109
; %bb.112:                              ;   in Loop: Header=BB757_110 Depth=1
	s_mov_b32 s9, 1
	s_mov_b32 s8, 0
	.p2align	6
.LBB757_113:                            ;   Parent Loop BB757_110 Depth=1
                                        ; =>  This Loop Header: Depth=2
                                        ;       Child Loop BB757_114 Depth 3
	s_max_u32 s10, s9, 1
.LBB757_114:                            ;   Parent Loop BB757_110 Depth=1
                                        ;     Parent Loop BB757_113 Depth=2
                                        ; =>    This Inner Loop Header: Depth=3
	s_delay_alu instid0(SALU_CYCLE_1)
	s_add_i32 s10, s10, -1
	s_sleep 1
	s_cmp_eq_u32 s10, 0
	s_cbranch_scc0 .LBB757_114
; %bb.115:                              ;   in Loop: Header=BB757_113 Depth=2
	;;#ASMSTART
	global_load_dwordx4 v[6:9], v[28:29] off glc	
s_waitcnt vmcnt(0)
	;;#ASMEND
	v_and_b32_e32 v9, 0xff, v8
	s_cmp_lt_u32 s9, 32
	s_cselect_b32 s10, -1, 0
	s_delay_alu instid0(SALU_CYCLE_1) | instskip(NEXT) | instid1(VALU_DEP_1)
	s_cmp_lg_u32 s10, 0
	v_cmp_ne_u16_e32 vcc_lo, 0, v9
	s_addc_u32 s9, s9, 0
	s_or_b32 s8, vcc_lo, s8
	s_delay_alu instid0(SALU_CYCLE_1)
	s_and_not1_b32 exec_lo, exec_lo, s8
	s_cbranch_execnz .LBB757_113
; %bb.116:                              ;   in Loop: Header=BB757_110 Depth=1
	s_or_b32 exec_lo, exec_lo, s8
	s_branch .LBB757_109
.LBB757_117:                            ;   in Loop: Header=BB757_110 Depth=1
                                        ; implicit-def: $vgpr8
                                        ; implicit-def: $vgpr6_vgpr7
	s_cbranch_execz .LBB757_110
; %bb.118:
	s_and_saveexec_b32 s7, s3
	s_cbranch_execnz .LBB757_361
; %bb.119:
	s_or_b32 exec_lo, exec_lo, s7
	s_and_saveexec_b32 s7, s3
	s_cbranch_execnz .LBB757_362
.LBB757_120:
	s_or_b32 exec_lo, exec_lo, s7
	s_delay_alu instid0(SALU_CYCLE_1)
	s_and_b32 exec_lo, exec_lo, s2
	s_cbranch_execz .LBB757_122
.LBB757_121:
	v_mov_b32_e32 v5, 0
	ds_store_b64 v5, v[26:27] offset:56
.LBB757_122:
	s_or_b32 exec_lo, exec_lo, s5
	s_waitcnt lgkmcnt(1)
	v_cndmask_b32_e64 v22, v89, v22, s3
	v_mov_b32_e32 v5, 0
	s_waitcnt lgkmcnt(0)
	s_barrier
	buffer_gl0_inv
	v_add_nc_u32_e64 v7, 0x3400, 0
	ds_load_b64 v[24:25], v5 offset:56
	s_waitcnt lgkmcnt(0)
	s_barrier
	buffer_gl0_inv
	ds_load_2addr_b32 v[5:6], v7 offset1:2
	ds_load_2addr_b32 v[7:8], v7 offset0:4 offset1:6
	v_cndmask_b32_e64 v9, v90, v23, s3
	v_add_nc_u32_e32 v22, v24, v22
	s_delay_alu instid0(VALU_DEP_2) | instskip(NEXT) | instid1(VALU_DEP_2)
	v_add_nc_u32_e32 v9, v25, v9
	v_cndmask_b32_e64 v22, v22, v24, s2
	s_delay_alu instid0(VALU_DEP_2)
	v_cndmask_b32_e64 v9, v9, v25, s2
	s_branch .LBB757_133
.LBB757_123:
                                        ; implicit-def: $vgpr9
                                        ; implicit-def: $vgpr7
                                        ; implicit-def: $vgpr5
                                        ; implicit-def: $vgpr22_vgpr23
	s_and_b32 vcc_lo, exec_lo, s5
	s_cbranch_vccz .LBB757_133
; %bb.124:
	s_waitcnt lgkmcnt(1)
	v_mov_b32_dpp v6, v88 row_shr:1 row_mask:0xf bank_mask:0xf
	v_cmp_lt_u32_e32 vcc_lo, 3, v86
	v_mov_b32_dpp v5, v87 row_shr:1 row_mask:0xf bank_mask:0xf
	s_delay_alu instid0(VALU_DEP_3) | instskip(NEXT) | instid1(VALU_DEP_1)
	v_add_nc_u32_e32 v6, v6, v88
	v_cndmask_b32_e64 v6, v6, v88, s1
	s_waitcnt lgkmcnt(0)
	s_delay_alu instid0(VALU_DEP_1) | instskip(NEXT) | instid1(VALU_DEP_1)
	v_mov_b32_dpp v8, v6 row_shr:2 row_mask:0xf bank_mask:0xf
	v_add_nc_u32_e32 v8, v6, v8
	s_delay_alu instid0(VALU_DEP_1) | instskip(NEXT) | instid1(VALU_DEP_1)
	v_cndmask_b32_e64 v6, v6, v8, s0
	v_mov_b32_dpp v8, v6 row_shr:4 row_mask:0xf bank_mask:0xf
	s_delay_alu instid0(VALU_DEP_1) | instskip(NEXT) | instid1(VALU_DEP_1)
	v_add_nc_u32_e32 v8, v6, v8
	v_dual_cndmask_b32 v6, v6, v8 :: v_dual_add_nc_u32 v5, v5, v87
	s_delay_alu instid0(VALU_DEP_1) | instskip(NEXT) | instid1(VALU_DEP_2)
	v_cndmask_b32_e64 v5, v5, v87, s1
	v_mov_b32_dpp v8, v6 row_shr:8 row_mask:0xf bank_mask:0xf
	s_delay_alu instid0(VALU_DEP_2) | instskip(NEXT) | instid1(VALU_DEP_2)
	v_mov_b32_dpp v7, v5 row_shr:2 row_mask:0xf bank_mask:0xf
	v_add_nc_u32_e32 v8, v6, v8
	s_delay_alu instid0(VALU_DEP_2) | instskip(NEXT) | instid1(VALU_DEP_1)
	v_add_nc_u32_e32 v7, v5, v7
	v_cndmask_b32_e64 v5, v5, v7, s0
	s_mov_b32 s0, exec_lo
	s_delay_alu instid0(VALU_DEP_1) | instskip(NEXT) | instid1(VALU_DEP_1)
	v_mov_b32_dpp v7, v5 row_shr:4 row_mask:0xf bank_mask:0xf
	v_add_nc_u32_e32 v7, v5, v7
	s_delay_alu instid0(VALU_DEP_1) | instskip(SKIP_1) | instid1(VALU_DEP_2)
	v_cndmask_b32_e32 v5, v5, v7, vcc_lo
	v_cmp_lt_u32_e32 vcc_lo, 7, v86
	v_mov_b32_dpp v7, v5 row_shr:8 row_mask:0xf bank_mask:0xf
	s_delay_alu instid0(VALU_DEP_1) | instskip(NEXT) | instid1(VALU_DEP_1)
	v_dual_cndmask_b32 v6, v6, v8 :: v_dual_add_nc_u32 v7, v5, v7
	v_cndmask_b32_e32 v5, v5, v7, vcc_lo
	ds_swizzle_b32 v7, v6 offset:swizzle(BROADCAST,32,15)
	v_cmp_eq_u32_e32 vcc_lo, 0, v85
	ds_swizzle_b32 v8, v5 offset:swizzle(BROADCAST,32,15)
	s_waitcnt lgkmcnt(1)
	v_add_nc_u32_e32 v7, v6, v7
	s_waitcnt lgkmcnt(0)
	v_add_nc_u32_e32 v8, v5, v8
	s_delay_alu instid0(VALU_DEP_1)
	v_dual_cndmask_b32 v6, v7, v6 :: v_dual_cndmask_b32 v5, v8, v5
	v_cmpx_eq_u32_e64 v84, v0
	s_cbranch_execz .LBB757_126
; %bb.125:
	v_lshlrev_b32_e32 v7, 3, v83
	ds_store_b64 v7, v[5:6]
.LBB757_126:
	s_or_b32 exec_lo, exec_lo, s0
	s_delay_alu instid0(SALU_CYCLE_1)
	s_mov_b32 s0, exec_lo
	s_waitcnt lgkmcnt(0)
	s_barrier
	buffer_gl0_inv
	v_cmpx_gt_u32_e32 8, v0
	s_cbranch_execz .LBB757_128
; %bb.127:
	v_lshlrev_b32_e32 v9, 3, v0
	ds_load_b64 v[7:8], v9
	s_waitcnt lgkmcnt(0)
	v_mov_b32_dpp v22, v7 row_shr:1 row_mask:0xf bank_mask:0xf
	v_mov_b32_dpp v23, v8 row_shr:1 row_mask:0xf bank_mask:0xf
	s_delay_alu instid0(VALU_DEP_2) | instskip(SKIP_1) | instid1(VALU_DEP_3)
	v_add_nc_u32_e32 v22, v22, v7
	v_and_b32_e32 v24, 7, v82
	v_add_nc_u32_e32 v23, v23, v8
	s_delay_alu instid0(VALU_DEP_2) | instskip(NEXT) | instid1(VALU_DEP_2)
	v_cmp_eq_u32_e32 vcc_lo, 0, v24
	v_dual_cndmask_b32 v8, v23, v8 :: v_dual_cndmask_b32 v7, v22, v7
	v_cmp_lt_u32_e32 vcc_lo, 1, v24
	s_delay_alu instid0(VALU_DEP_2) | instskip(NEXT) | instid1(VALU_DEP_3)
	v_mov_b32_dpp v23, v8 row_shr:2 row_mask:0xf bank_mask:0xf
	v_mov_b32_dpp v22, v7 row_shr:2 row_mask:0xf bank_mask:0xf
	s_delay_alu instid0(VALU_DEP_2) | instskip(NEXT) | instid1(VALU_DEP_2)
	v_add_nc_u32_e32 v23, v8, v23
	v_add_nc_u32_e32 v22, v7, v22
	s_delay_alu instid0(VALU_DEP_1) | instskip(SKIP_1) | instid1(VALU_DEP_2)
	v_dual_cndmask_b32 v8, v8, v23 :: v_dual_cndmask_b32 v7, v7, v22
	v_cmp_lt_u32_e32 vcc_lo, 3, v24
	v_mov_b32_dpp v23, v8 row_shr:4 row_mask:0xf bank_mask:0xf
	s_delay_alu instid0(VALU_DEP_3) | instskip(NEXT) | instid1(VALU_DEP_1)
	v_mov_b32_dpp v22, v7 row_shr:4 row_mask:0xf bank_mask:0xf
	v_dual_cndmask_b32 v23, 0, v23 :: v_dual_cndmask_b32 v22, 0, v22
	s_delay_alu instid0(VALU_DEP_1) | instskip(NEXT) | instid1(VALU_DEP_2)
	v_add_nc_u32_e32 v8, v23, v8
	v_add_nc_u32_e32 v7, v22, v7
	ds_store_b64 v9, v[7:8]
.LBB757_128:
	s_or_b32 exec_lo, exec_lo, s0
	v_dual_mov_b32 v7, 0 :: v_dual_mov_b32 v22, 0
	v_mov_b32_e32 v23, 0
	s_mov_b32 s0, exec_lo
	s_waitcnt lgkmcnt(0)
	s_barrier
	buffer_gl0_inv
	v_cmpx_lt_u32_e32 31, v0
	s_cbranch_execz .LBB757_130
; %bb.129:
	v_lshl_add_u32 v8, v83, 3, -8
	ds_load_b64 v[22:23], v8
.LBB757_130:
	s_or_b32 exec_lo, exec_lo, s0
	v_add_nc_u32_e32 v8, -1, v82
	s_waitcnt lgkmcnt(0)
	v_add_nc_u32_e32 v24, v23, v6
	v_add_nc_u32_e32 v9, v22, v5
	ds_load_b64 v[5:6], v7 offset:56
	v_cmp_gt_i32_e32 vcc_lo, 0, v8
	v_cndmask_b32_e32 v8, v8, v82, vcc_lo
	s_delay_alu instid0(VALU_DEP_1)
	v_lshlrev_b32_e32 v8, 2, v8
	ds_bpermute_b32 v9, v8, v9
	ds_bpermute_b32 v24, v8, v24
	s_waitcnt lgkmcnt(2)
	v_readfirstlane_b32 s0, v6
	s_and_saveexec_b32 s1, s2
	s_cbranch_execz .LBB757_132
; %bb.131:
	s_mov_b32 s8, 0
	s_add_u32 s6, s36, 0x200
	s_addc_u32 s7, s37, 0
	s_and_b32 s9, s0, 0xff000000
	s_and_b32 s11, s0, 0xff0000
	s_mov_b32 s10, s8
	v_mov_b32_e32 v26, s7
	s_or_b64 s[10:11], s[10:11], s[8:9]
	s_and_b32 s9, s0, 0xff00
	v_dual_mov_b32 v8, 0 :: v_dual_mov_b32 v25, s6
	s_or_b64 s[10:11], s[10:11], s[8:9]
	s_and_b32 s9, s0, 0xff
	v_mov_b32_e32 v7, 2
	s_or_b64 s[8:9], s[10:11], s[8:9]
	s_delay_alu instid0(SALU_CYCLE_1)
	v_mov_b32_e32 v6, s9
	;;#ASMSTART
	global_store_dwordx4 v[25:26], v[5:8] off	
s_waitcnt vmcnt(0)
	;;#ASMEND
.LBB757_132:
	s_or_b32 exec_lo, exec_lo, s1
	v_cmp_eq_u32_e32 vcc_lo, 0, v82
	v_dual_mov_b32 v7, 0 :: v_dual_mov_b32 v6, s0
	s_waitcnt lgkmcnt(0)
	s_barrier
	v_dual_cndmask_b32 v8, v9, v22 :: v_dual_cndmask_b32 v9, v24, v23
	buffer_gl0_inv
	v_cndmask_b32_e64 v22, v8, 0, s2
	v_cndmask_b32_e64 v9, v9, 0, s2
	v_mov_b32_e32 v8, 0
.LBB757_133:
	s_delay_alu instid0(VALU_DEP_1) | instskip(SKIP_1) | instid1(VALU_DEP_2)
	v_add_nc_u32_e32 v24, v9, v81
	s_waitcnt lgkmcnt(0)
	v_sub_nc_u32_e32 v9, v9, v8
	v_add_co_u32 v1, vcc_lo, v1, v7
	v_and_b32_e32 v35, 1, v35
	v_add_nc_u32_e32 v26, v24, v77
	v_sub_nc_u32_e32 v24, v24, v8
	v_lshlrev_b32_e32 v77, 1, v5
	v_add_nc_u32_e32 v9, v9, v5
	v_add_co_ci_u32_e32 v2, vcc_lo, 0, v2, vcc_lo
	v_add_nc_u32_e32 v28, v26, v79
	s_delay_alu instid0(VALU_DEP_4)
	v_add3_u32 v33, v77, v6, v33
	v_and_b32_e32 v40, 1, v40
	v_and_b32_e32 v37, 1, v37
	;; [unrolled: 1-line block ×3, first 2 shown]
	v_add_nc_u32_e32 v29, v28, v75
	v_sub_nc_u32_e32 v28, v28, v8
	v_sub_co_u32 v75, vcc_lo, v3, v5
	s_add_u32 s1, s14, -4
	s_delay_alu instid0(VALU_DEP_3) | instskip(SKIP_4) | instid1(VALU_DEP_3)
	v_add_nc_u32_e32 v73, v29, v73
	v_sub_nc_u32_e32 v29, v29, v8
	v_add_nc_u32_e32 v28, v28, v5
	v_add_nc_u32_e32 v24, v24, v5
	s_mov_b32 s3, -1
	v_add_nc_u32_e32 v29, v29, v5
	v_add_nc_u32_e32 v23, v22, v80
	v_sub_nc_u32_e32 v22, v22, v7
	s_delay_alu instid0(VALU_DEP_2) | instskip(SKIP_3) | instid1(VALU_DEP_3)
	v_add_nc_u32_e32 v25, v23, v76
	v_sub_nc_u32_e32 v23, v23, v7
	v_subrev_co_ci_u32_e32 v76, vcc_lo, 0, v4, vcc_lo
	v_cmp_eq_u32_e32 vcc_lo, 1, v35
	v_add_nc_u32_e32 v79, v24, v23
	s_delay_alu instid0(VALU_DEP_1) | instskip(NEXT) | instid1(VALU_DEP_1)
	v_sub_nc_u32_e32 v79, v33, v79
	v_add_nc_u32_e32 v79, 1, v79
	v_add_nc_u32_e32 v27, v25, v78
	;; [unrolled: 1-line block ×3, first 2 shown]
	s_delay_alu instid0(VALU_DEP_1) | instskip(NEXT) | instid1(VALU_DEP_1)
	v_sub_nc_u32_e32 v78, v33, v78
	v_dual_cndmask_b32 v9, v78, v9 :: v_dual_and_b32 v34, 1, v34
	v_cmp_eq_u32_e32 vcc_lo, 1, v40
	v_cndmask_b32_e32 v24, v79, v24, vcc_lo
	s_delay_alu instid0(VALU_DEP_3) | instskip(NEXT) | instid1(VALU_DEP_4)
	v_cmp_eq_u32_e32 vcc_lo, 1, v34
	v_cndmask_b32_e32 v9, v9, v22, vcc_lo
	v_sub_nc_u32_e32 v26, v26, v8
	v_cmp_eq_u32_e32 vcc_lo, 1, v37
	v_and_b32_e32 v37, 1, v38
	s_delay_alu instid0(VALU_DEP_4) | instskip(NEXT) | instid1(VALU_DEP_4)
	v_lshlrev_b32_e32 v9, 2, v9
	v_add_nc_u32_e32 v26, v26, v5
	v_cndmask_b32_e32 v24, v24, v23, vcc_lo
	v_sub_nc_u32_e32 v25, v25, v7
	v_add_co_u32 v22, vcc_lo, v75, v8
	v_add_co_ci_u32_e32 v23, vcc_lo, 0, v76, vcc_lo
	s_delay_alu instid0(VALU_DEP_3)
	v_add_nc_u32_e32 v34, v26, v25
	v_cmp_eq_u32_e32 vcc_lo, 1, v37
	v_lshlrev_b32_e32 v24, 2, v24
	ds_store_b32 v9, v20
	v_sub_nc_u32_e32 v34, v33, v34
	ds_store_b32 v24, v21
	v_and_b32_e32 v24, 1, v39
	v_add_nc_u32_e32 v34, 2, v34
	s_delay_alu instid0(VALU_DEP_1) | instskip(SKIP_3) | instid1(VALU_DEP_4)
	v_cndmask_b32_e32 v26, v34, v26, vcc_lo
	v_cmp_eq_u32_e32 vcc_lo, 1, v36
	v_add_nc_u32_e32 v74, v27, v74
	v_sub_nc_u32_e32 v27, v27, v7
	v_cndmask_b32_e32 v25, v26, v25, vcc_lo
	s_delay_alu instid0(VALU_DEP_3) | instskip(NEXT) | instid1(VALU_DEP_3)
	v_sub_nc_u32_e32 v37, v74, v7
	v_add_nc_u32_e32 v34, v27, v28
	v_cmp_eq_u32_e32 vcc_lo, 1, v24
	v_sub_nc_u32_e32 v26, v73, v8
	v_lshlrev_b32_e32 v21, 2, v25
	v_and_b32_e32 v25, 1, v41
	v_sub_nc_u32_e32 v9, v33, v34
	v_add_nc_u32_e32 v20, v37, v29
	v_and_b32_e32 v24, 1, v42
	v_add_nc_u32_e32 v26, v26, v5
	ds_store_b32 v21, v18
	v_add_nc_u32_e32 v9, 3, v9
	v_sub_nc_u32_e32 v20, v33, v20
	s_delay_alu instid0(VALU_DEP_2) | instskip(SKIP_2) | instid1(VALU_DEP_4)
	v_cndmask_b32_e32 v9, v9, v28, vcc_lo
	v_cmp_eq_u32_e32 vcc_lo, 1, v25
	v_add_nc_u32_e32 v72, v74, v72
	v_add_nc_u32_e32 v20, 4, v20
	v_and_b32_e32 v25, 1, v43
	v_cndmask_b32_e32 v9, v9, v27, vcc_lo
	s_delay_alu instid0(VALU_DEP_4)
	v_sub_nc_u32_e32 v28, v72, v7
	v_cmp_eq_u32_e32 vcc_lo, 1, v24
	v_and_b32_e32 v24, 1, v44
	v_add_nc_u32_e32 v70, v72, v70
	v_lshlrev_b32_e32 v9, 2, v9
	v_add_nc_u32_e32 v27, v28, v26
	v_cndmask_b32_e32 v20, v20, v29, vcc_lo
	v_cmp_eq_u32_e32 vcc_lo, 1, v25
	v_and_b32_e32 v25, 1, v45
	v_add_nc_u32_e32 v64, v70, v64
	v_sub_nc_u32_e32 v18, v33, v27
	v_sub_nc_u32_e32 v27, v70, v7
	v_cndmask_b32_e32 v20, v20, v37, vcc_lo
	v_cmp_eq_u32_e32 vcc_lo, 1, v24
	ds_store_b32 v9, v19
	v_add_nc_u32_e32 v18, 5, v18
	v_and_b32_e32 v19, 1, v46
	v_lshlrev_b32_e32 v20, 2, v20
	v_add_nc_u32_e32 v68, v64, v68
	s_delay_alu instid0(VALU_DEP_4)
	v_cndmask_b32_e32 v18, v18, v26, vcc_lo
	v_cmp_eq_u32_e32 vcc_lo, 1, v25
	v_sub_nc_u32_e32 v25, v64, v7
	ds_store_b32 v20, v16
	v_and_b32_e32 v20, 1, v49
	v_add_nc_u32_e32 v66, v68, v66
	v_dual_cndmask_b32 v18, v18, v28 :: v_dual_add_nc_u32 v71, v73, v71
	v_cmp_eq_u32_e32 vcc_lo, 1, v19
	v_and_b32_e32 v19, 1, v48
	s_delay_alu instid0(VALU_DEP_4) | instskip(NEXT) | instid1(VALU_DEP_4)
	v_add_nc_u32_e32 v61, v66, v61
	v_lshlrev_b32_e32 v18, 2, v18
	v_add_nc_u32_e32 v65, v71, v65
	v_sub_nc_u32_e32 v21, v71, v8
	s_delay_alu instid0(VALU_DEP_4)
	v_add_nc_u32_e32 v60, v61, v60
	ds_store_b32 v18, v17
	v_sub_nc_u32_e32 v24, v65, v8
	v_add_nc_u32_e32 v21, v21, v5
	v_add_nc_u32_e32 v69, v65, v69
	v_and_b32_e32 v17, 1, v47
	s_delay_alu instid0(VALU_DEP_4) | instskip(NEXT) | instid1(VALU_DEP_4)
	v_add_nc_u32_e32 v24, v24, v5
	v_add_nc_u32_e32 v26, v27, v21
	s_delay_alu instid0(VALU_DEP_4) | instskip(NEXT) | instid1(VALU_DEP_3)
	v_sub_nc_u32_e32 v18, v69, v8
	v_add_nc_u32_e32 v16, v25, v24
	s_delay_alu instid0(VALU_DEP_3) | instskip(NEXT) | instid1(VALU_DEP_3)
	v_sub_nc_u32_e32 v9, v33, v26
	v_add_nc_u32_e32 v18, v18, v5
	v_sub_nc_u32_e32 v26, v60, v7
	s_delay_alu instid0(VALU_DEP_4) | instskip(NEXT) | instid1(VALU_DEP_4)
	v_sub_nc_u32_e32 v16, v33, v16
	v_add_nc_u32_e32 v9, 6, v9
	s_delay_alu instid0(VALU_DEP_1) | instskip(SKIP_2) | instid1(VALU_DEP_3)
	v_dual_cndmask_b32 v9, v9, v21 :: v_dual_add_nc_u32 v16, 7, v16
	v_cmp_eq_u32_e32 vcc_lo, 1, v19
	v_sub_nc_u32_e32 v21, v68, v7
	v_cndmask_b32_e32 v16, v16, v24, vcc_lo
	v_cmp_eq_u32_e32 vcc_lo, 1, v17
	s_delay_alu instid0(VALU_DEP_3) | instskip(SKIP_3) | instid1(VALU_DEP_4)
	v_add_nc_u32_e32 v17, v21, v18
	v_cndmask_b32_e32 v9, v9, v27, vcc_lo
	v_cmp_eq_u32_e32 vcc_lo, 1, v20
	v_add_nc_u32_e32 v67, v69, v67
	v_sub_nc_u32_e32 v17, v33, v17
	v_sub_nc_u32_e32 v20, v66, v7
	v_lshlrev_b32_e32 v9, 2, v9
	v_cndmask_b32_e32 v16, v16, v25, vcc_lo
	v_sub_nc_u32_e32 v19, v67, v8
	v_add_nc_u32_e32 v62, v67, v62
	v_sub_nc_u32_e32 v25, v61, v7
	ds_store_b32 v9, v14
	v_and_b32_e32 v9, 1, v50
	v_add_nc_u32_e32 v19, v19, v5
	v_add_nc_u32_e32 v14, 8, v17
	v_lshlrev_b32_e32 v16, 2, v16
	v_add_nc_u32_e32 v63, v62, v63
	v_cmp_eq_u32_e32 vcc_lo, 1, v9
	v_add_nc_u32_e32 v17, v20, v19
	ds_store_b32 v16, v15
	v_and_b32_e32 v15, 1, v51
	v_cndmask_b32_e32 v9, v14, v18, vcc_lo
	v_sub_nc_u32_e32 v14, v33, v17
	v_and_b32_e32 v18, 1, v52
	v_sub_nc_u32_e32 v17, v62, v8
	v_and_b32_e32 v16, 1, v54
	v_sub_nc_u32_e32 v24, v63, v8
	v_add_nc_u32_e32 v14, 9, v14
	v_cmp_eq_u32_e32 vcc_lo, 1, v18
	v_add_nc_u32_e32 v17, v17, v5
	v_add_nc_u32_e32 v35, v63, v59
	;; [unrolled: 1-line block ×3, first 2 shown]
	v_cndmask_b32_e32 v14, v14, v19, vcc_lo
	v_cmp_eq_u32_e32 vcc_lo, 1, v15
	v_add_nc_u32_e32 v15, v25, v17
	s_delay_alu instid0(VALU_DEP_4)
	v_add_nc_u32_e32 v18, v26, v24
	v_and_b32_e32 v19, 1, v55
	v_cndmask_b32_e32 v9, v9, v21, vcc_lo
	v_cmp_eq_u32_e32 vcc_lo, 1, v16
	v_sub_nc_u32_e32 v15, v33, v15
	v_sub_nc_u32_e32 v18, v33, v18
	v_and_b32_e32 v21, 1, v57
	v_sub_nc_u32_e32 v16, v35, v8
	v_cndmask_b32_e32 v14, v14, v20, vcc_lo
	v_and_b32_e32 v20, 1, v53
	v_add_nc_u32_e32 v15, 10, v15
	v_add_nc_u32_e32 v18, 11, v18
	;; [unrolled: 1-line block ×3, first 2 shown]
	v_lshlrev_b32_e32 v9, 2, v9
	v_cmp_eq_u32_e32 vcc_lo, 1, v20
	v_dual_cndmask_b32 v15, v15, v17 :: v_dual_lshlrev_b32 v14, 2, v14
	v_cmp_eq_u32_e32 vcc_lo, 1, v21
	v_and_b32_e32 v17, 1, v56
	v_cndmask_b32_e32 v18, v18, v24, vcc_lo
	v_cmp_eq_u32_e32 vcc_lo, 1, v19
	v_cndmask_b32_e32 v15, v15, v25, vcc_lo
	s_delay_alu instid0(VALU_DEP_4) | instskip(NEXT) | instid1(VALU_DEP_2)
	v_cmp_eq_u32_e32 vcc_lo, 1, v17
	v_lshlrev_b32_e32 v15, 2, v15
	v_cndmask_b32_e32 v17, v18, v26, vcc_lo
	v_add_nc_u32_e32 v40, v60, v58
	s_delay_alu instid0(VALU_DEP_2) | instskip(NEXT) | instid1(VALU_DEP_2)
	v_lshlrev_b32_e32 v17, 2, v17
	v_sub_nc_u32_e32 v7, v40, v7
	ds_store_b32 v9, v12
	ds_store_b32 v14, v13
	;; [unrolled: 1-line block ×4, first 2 shown]
	v_add_co_u32 v9, s0, v6, v77
	s_delay_alu instid0(VALU_DEP_1) | instskip(SKIP_1) | instid1(VALU_DEP_3)
	v_add_co_ci_u32_e64 v10, null, 0, 0, s0
	v_add_nc_u32_e32 v27, v7, v16
	v_add_co_u32 v9, vcc_lo, v9, v22
	s_delay_alu instid0(VALU_DEP_3) | instskip(NEXT) | instid1(VALU_DEP_3)
	v_add_co_ci_u32_e32 v10, vcc_lo, v10, v23, vcc_lo
	v_sub_nc_u32_e32 v20, v33, v27
	v_add_co_u32 v11, s0, s34, v30
	s_delay_alu instid0(VALU_DEP_4) | instskip(NEXT) | instid1(VALU_DEP_3)
	v_add_co_u32 v9, vcc_lo, v9, v1
	v_add_nc_u32_e32 v18, 12, v20
	v_add_co_ci_u32_e64 v12, null, s35, 0, s0
	v_add_co_ci_u32_e32 v10, vcc_lo, v10, v2, vcc_lo
	s_delay_alu instid0(VALU_DEP_3) | instskip(SKIP_1) | instid1(VALU_DEP_2)
	v_cndmask_b32_e64 v16, v18, v16, s33
	v_add_nc_u32_e32 v14, v5, v6
	v_cndmask_b32_e64 v7, v16, v7, s27
	s_delay_alu instid0(VALU_DEP_1)
	v_lshlrev_b32_e32 v7, 2, v7
	ds_store_b32 v7, v32
	v_sub_co_u32 v7, vcc_lo, v11, v9
	v_sub_co_ci_u32_e32 v13, vcc_lo, v12, v10, vcc_lo
	v_lshlrev_b64 v[9:10], 2, v[22:23]
	v_lshlrev_b64 v[11:12], 2, v[1:2]
	s_waitcnt lgkmcnt(0)
	s_barrier
	buffer_gl0_inv
	v_add_co_u32 v9, vcc_lo, s30, v9
	v_add_co_ci_u32_e32 v10, vcc_lo, s31, v10, vcc_lo
	v_cmp_ne_u32_e32 vcc_lo, 1, v31
	v_add_co_u32 v11, s0, s28, v11
	s_delay_alu instid0(VALU_DEP_1)
	v_add_co_ci_u32_e64 v12, s0, s29, v12, s0
	s_addc_u32 s0, s15, -1
	s_cbranch_vccz .LBB757_137
; %bb.134:
	s_and_b32 vcc_lo, exec_lo, s3
	s_cbranch_vccnz .LBB757_242
.LBB757_135:
	s_and_b32 s0, s2, s13
	s_delay_alu instid0(SALU_CYCLE_1)
	s_and_saveexec_b32 s1, s0
	s_cbranch_execnz .LBB757_360
.LBB757_136:
	s_nop 0
	s_sendmsg sendmsg(MSG_DEALLOC_VGPRS)
	s_endpgm
.LBB757_137:
	s_mov_b32 s3, exec_lo
	v_cmpx_le_u32_e64 v5, v0
	s_xor_b32 s3, exec_lo, s3
	s_cbranch_execz .LBB757_143
; %bb.138:
	s_mov_b32 s5, exec_lo
	v_cmpx_le_u32_e64 v14, v0
	s_xor_b32 s5, exec_lo, s5
	s_cbranch_execz .LBB757_140
; %bb.139:
	v_lshlrev_b32_e32 v15, 2, v0
	ds_load_b32 v17, v15
	v_add_co_u32 v15, vcc_lo, v7, v0
	v_add_co_ci_u32_e32 v16, vcc_lo, 0, v13, vcc_lo
	s_delay_alu instid0(VALU_DEP_1) | instskip(NEXT) | instid1(VALU_DEP_1)
	v_lshlrev_b64 v[15:16], 2, v[15:16]
	v_sub_co_u32 v15, vcc_lo, s14, v15
	s_delay_alu instid0(VALU_DEP_2)
	v_sub_co_ci_u32_e32 v16, vcc_lo, s15, v16, vcc_lo
	s_waitcnt lgkmcnt(0)
	global_store_b32 v[15:16], v17, off offset:-4
.LBB757_140:
	s_and_not1_saveexec_b32 s5, s5
	s_cbranch_execz .LBB757_142
; %bb.141:
	v_lshlrev_b32_e32 v15, 2, v0
	v_readfirstlane_b32 s6, v9
	v_readfirstlane_b32 s7, v10
	ds_load_b32 v16, v15
	s_waitcnt lgkmcnt(0)
	global_store_b32 v15, v16, s[6:7]
.LBB757_142:
	s_or_b32 exec_lo, exec_lo, s5
.LBB757_143:
	s_and_not1_saveexec_b32 s3, s3
	s_cbranch_execz .LBB757_145
; %bb.144:
	v_lshlrev_b32_e32 v15, 2, v0
	v_readfirstlane_b32 s6, v11
	v_readfirstlane_b32 s7, v12
	ds_load_b32 v16, v15
	s_waitcnt lgkmcnt(0)
	global_store_b32 v15, v16, s[6:7]
.LBB757_145:
	s_or_b32 exec_lo, exec_lo, s3
	v_or_b32_e32 v15, 0x100, v0
	s_mov_b32 s3, exec_lo
	s_delay_alu instid0(VALU_DEP_1)
	v_cmpx_le_u32_e64 v5, v15
	s_xor_b32 s3, exec_lo, s3
	s_cbranch_execz .LBB757_151
; %bb.146:
	s_mov_b32 s5, exec_lo
	v_cmpx_le_u32_e64 v14, v15
	s_xor_b32 s5, exec_lo, s5
	s_cbranch_execz .LBB757_148
; %bb.147:
	v_lshlrev_b32_e32 v15, 2, v0
	ds_load_b32 v17, v15 offset:1024
	v_add_co_u32 v15, vcc_lo, v7, v0
	v_add_co_ci_u32_e32 v16, vcc_lo, 0, v13, vcc_lo
	s_delay_alu instid0(VALU_DEP_1) | instskip(NEXT) | instid1(VALU_DEP_1)
	v_lshlrev_b64 v[15:16], 2, v[15:16]
	v_sub_co_u32 v15, vcc_lo, s1, v15
	s_delay_alu instid0(VALU_DEP_2)
	v_sub_co_ci_u32_e32 v16, vcc_lo, s0, v16, vcc_lo
	s_waitcnt lgkmcnt(0)
	global_store_b32 v[15:16], v17, off offset:-1024
.LBB757_148:
	s_and_not1_saveexec_b32 s5, s5
	s_cbranch_execz .LBB757_150
; %bb.149:
	v_lshlrev_b32_e32 v15, 2, v0
	v_readfirstlane_b32 s6, v9
	v_readfirstlane_b32 s7, v10
	ds_load_b32 v16, v15 offset:1024
	s_waitcnt lgkmcnt(0)
	global_store_b32 v15, v16, s[6:7] offset:1024
.LBB757_150:
	s_or_b32 exec_lo, exec_lo, s5
.LBB757_151:
	s_and_not1_saveexec_b32 s3, s3
	s_cbranch_execz .LBB757_153
; %bb.152:
	v_lshlrev_b32_e32 v15, 2, v0
	v_readfirstlane_b32 s6, v11
	v_readfirstlane_b32 s7, v12
	ds_load_b32 v16, v15 offset:1024
	s_waitcnt lgkmcnt(0)
	global_store_b32 v15, v16, s[6:7] offset:1024
.LBB757_153:
	s_or_b32 exec_lo, exec_lo, s3
	v_or_b32_e32 v15, 0x200, v0
	s_mov_b32 s3, exec_lo
	s_delay_alu instid0(VALU_DEP_1)
	v_cmpx_le_u32_e64 v5, v15
	s_xor_b32 s3, exec_lo, s3
	s_cbranch_execz .LBB757_159
; %bb.154:
	s_mov_b32 s5, exec_lo
	v_cmpx_le_u32_e64 v14, v15
	s_xor_b32 s5, exec_lo, s5
	s_cbranch_execz .LBB757_156
; %bb.155:
	v_lshlrev_b32_e32 v15, 2, v0
	ds_load_b32 v17, v15 offset:2048
	v_add_co_u32 v15, vcc_lo, v7, v0
	v_add_co_ci_u32_e32 v16, vcc_lo, 0, v13, vcc_lo
	s_delay_alu instid0(VALU_DEP_1) | instskip(NEXT) | instid1(VALU_DEP_1)
	v_lshlrev_b64 v[15:16], 2, v[15:16]
	v_sub_co_u32 v15, vcc_lo, s1, v15
	s_delay_alu instid0(VALU_DEP_2)
	v_sub_co_ci_u32_e32 v16, vcc_lo, s0, v16, vcc_lo
	s_waitcnt lgkmcnt(0)
	global_store_b32 v[15:16], v17, off offset:-2048
.LBB757_156:
	s_and_not1_saveexec_b32 s5, s5
	s_cbranch_execz .LBB757_158
; %bb.157:
	v_lshlrev_b32_e32 v15, 2, v0
	v_readfirstlane_b32 s6, v9
	v_readfirstlane_b32 s7, v10
	ds_load_b32 v16, v15 offset:2048
	s_waitcnt lgkmcnt(0)
	global_store_b32 v15, v16, s[6:7] offset:2048
.LBB757_158:
	s_or_b32 exec_lo, exec_lo, s5
.LBB757_159:
	s_and_not1_saveexec_b32 s3, s3
	s_cbranch_execz .LBB757_161
; %bb.160:
	v_lshlrev_b32_e32 v15, 2, v0
	v_readfirstlane_b32 s6, v11
	v_readfirstlane_b32 s7, v12
	ds_load_b32 v16, v15 offset:2048
	s_waitcnt lgkmcnt(0)
	global_store_b32 v15, v16, s[6:7] offset:2048
.LBB757_161:
	;; [unrolled: 47-line block ×3, first 2 shown]
	s_or_b32 exec_lo, exec_lo, s3
	v_or_b32_e32 v15, 0x400, v0
	s_mov_b32 s3, exec_lo
	s_delay_alu instid0(VALU_DEP_1)
	v_cmpx_le_u32_e64 v5, v15
	s_xor_b32 s3, exec_lo, s3
	s_cbranch_execz .LBB757_175
; %bb.170:
	s_mov_b32 s5, exec_lo
	v_cmpx_le_u32_e64 v14, v15
	s_xor_b32 s5, exec_lo, s5
	s_cbranch_execz .LBB757_172
; %bb.171:
	v_lshlrev_b32_e32 v15, 2, v0
	ds_load_b32 v17, v15 offset:4096
	v_add_co_u32 v15, vcc_lo, v7, v0
	v_add_co_ci_u32_e32 v16, vcc_lo, 0, v13, vcc_lo
	s_delay_alu instid0(VALU_DEP_1) | instskip(NEXT) | instid1(VALU_DEP_1)
	v_lshlrev_b64 v[15:16], 2, v[15:16]
	v_sub_co_u32 v15, vcc_lo, s1, v15
	s_delay_alu instid0(VALU_DEP_2)
	v_sub_co_ci_u32_e32 v16, vcc_lo, s0, v16, vcc_lo
	s_waitcnt lgkmcnt(0)
	global_store_b32 v[15:16], v17, off offset:-4096
                                        ; implicit-def: $vgpr15
.LBB757_172:
	s_and_not1_saveexec_b32 s5, s5
	s_cbranch_execz .LBB757_174
; %bb.173:
	v_lshlrev_b32_e32 v16, 2, v0
	v_lshlrev_b32_e32 v15, 2, v15
	v_readfirstlane_b32 s6, v9
	v_readfirstlane_b32 s7, v10
	ds_load_b32 v16, v16 offset:4096
	s_waitcnt lgkmcnt(0)
	global_store_b32 v15, v16, s[6:7]
.LBB757_174:
	s_or_b32 exec_lo, exec_lo, s5
                                        ; implicit-def: $vgpr15
.LBB757_175:
	s_and_not1_saveexec_b32 s3, s3
	s_cbranch_execz .LBB757_177
; %bb.176:
	v_lshlrev_b32_e32 v16, 2, v0
	v_lshlrev_b32_e32 v15, 2, v15
	v_readfirstlane_b32 s6, v11
	v_readfirstlane_b32 s7, v12
	ds_load_b32 v16, v16 offset:4096
	s_waitcnt lgkmcnt(0)
	global_store_b32 v15, v16, s[6:7]
.LBB757_177:
	s_or_b32 exec_lo, exec_lo, s3
	v_or_b32_e32 v15, 0x500, v0
	s_mov_b32 s3, exec_lo
	s_delay_alu instid0(VALU_DEP_1)
	v_cmpx_le_u32_e64 v5, v15
	s_xor_b32 s3, exec_lo, s3
	s_cbranch_execz .LBB757_183
; %bb.178:
	s_mov_b32 s5, exec_lo
	v_cmpx_le_u32_e64 v14, v15
	s_xor_b32 s5, exec_lo, s5
	s_cbranch_execz .LBB757_180
; %bb.179:
	v_lshlrev_b32_e32 v16, 2, v0
	v_add_co_u32 v15, vcc_lo, v7, v15
	ds_load_b32 v17, v16 offset:5120
	v_add_co_ci_u32_e32 v16, vcc_lo, 0, v13, vcc_lo
	s_delay_alu instid0(VALU_DEP_1) | instskip(NEXT) | instid1(VALU_DEP_1)
	v_lshlrev_b64 v[15:16], 2, v[15:16]
	v_sub_co_u32 v15, vcc_lo, s1, v15
	s_delay_alu instid0(VALU_DEP_2)
	v_sub_co_ci_u32_e32 v16, vcc_lo, s0, v16, vcc_lo
	s_waitcnt lgkmcnt(0)
	global_store_b32 v[15:16], v17, off
                                        ; implicit-def: $vgpr15
.LBB757_180:
	s_and_not1_saveexec_b32 s5, s5
	s_cbranch_execz .LBB757_182
; %bb.181:
	v_lshlrev_b32_e32 v16, 2, v0
	v_lshlrev_b32_e32 v15, 2, v15
	v_readfirstlane_b32 s6, v9
	v_readfirstlane_b32 s7, v10
	ds_load_b32 v16, v16 offset:5120
	s_waitcnt lgkmcnt(0)
	global_store_b32 v15, v16, s[6:7]
.LBB757_182:
	s_or_b32 exec_lo, exec_lo, s5
                                        ; implicit-def: $vgpr15
.LBB757_183:
	s_and_not1_saveexec_b32 s3, s3
	s_cbranch_execz .LBB757_185
; %bb.184:
	v_lshlrev_b32_e32 v16, 2, v0
	v_lshlrev_b32_e32 v15, 2, v15
	v_readfirstlane_b32 s6, v11
	v_readfirstlane_b32 s7, v12
	ds_load_b32 v16, v16 offset:5120
	s_waitcnt lgkmcnt(0)
	global_store_b32 v15, v16, s[6:7]
.LBB757_185:
	s_or_b32 exec_lo, exec_lo, s3
	v_or_b32_e32 v15, 0x600, v0
	s_mov_b32 s3, exec_lo
	s_delay_alu instid0(VALU_DEP_1)
	v_cmpx_le_u32_e64 v5, v15
	s_xor_b32 s3, exec_lo, s3
	s_cbranch_execz .LBB757_191
; %bb.186:
	s_mov_b32 s5, exec_lo
	v_cmpx_le_u32_e64 v14, v15
	s_xor_b32 s5, exec_lo, s5
	s_cbranch_execz .LBB757_188
; %bb.187:
	v_lshlrev_b32_e32 v16, 2, v0
	v_add_co_u32 v15, vcc_lo, v7, v15
	ds_load_b32 v17, v16 offset:6144
	v_add_co_ci_u32_e32 v16, vcc_lo, 0, v13, vcc_lo
	s_delay_alu instid0(VALU_DEP_1) | instskip(NEXT) | instid1(VALU_DEP_1)
	v_lshlrev_b64 v[15:16], 2, v[15:16]
	v_sub_co_u32 v15, vcc_lo, s1, v15
	s_delay_alu instid0(VALU_DEP_2)
	v_sub_co_ci_u32_e32 v16, vcc_lo, s0, v16, vcc_lo
	s_waitcnt lgkmcnt(0)
	global_store_b32 v[15:16], v17, off
                                        ; implicit-def: $vgpr15
.LBB757_188:
	s_and_not1_saveexec_b32 s5, s5
	s_cbranch_execz .LBB757_190
; %bb.189:
	v_lshlrev_b32_e32 v16, 2, v0
	v_lshlrev_b32_e32 v15, 2, v15
	v_readfirstlane_b32 s6, v9
	v_readfirstlane_b32 s7, v10
	ds_load_b32 v16, v16 offset:6144
	s_waitcnt lgkmcnt(0)
	global_store_b32 v15, v16, s[6:7]
.LBB757_190:
	s_or_b32 exec_lo, exec_lo, s5
                                        ; implicit-def: $vgpr15
.LBB757_191:
	;; [unrolled: 51-line block ×8, first 2 shown]
	s_and_not1_saveexec_b32 s3, s3
	s_cbranch_execz .LBB757_241
; %bb.240:
	v_lshlrev_b32_e32 v16, 2, v0
	v_lshlrev_b32_e32 v15, 2, v15
	v_readfirstlane_b32 s6, v11
	v_readfirstlane_b32 s7, v12
	ds_load_b32 v16, v16 offset:12288
	s_waitcnt lgkmcnt(0)
	global_store_b32 v15, v16, s[6:7]
.LBB757_241:
	s_or_b32 exec_lo, exec_lo, s3
	s_branch .LBB757_135
.LBB757_242:
	s_mov_b32 s3, exec_lo
	v_cmpx_gt_u32_e64 s4, v0
	s_cbranch_execz .LBB757_251
; %bb.243:
	s_mov_b32 s5, exec_lo
	v_cmpx_le_u32_e64 v5, v0
	s_xor_b32 s5, exec_lo, s5
	s_cbranch_execz .LBB757_249
; %bb.244:
	s_mov_b32 s6, exec_lo
	v_cmpx_le_u32_e64 v14, v0
	s_xor_b32 s6, exec_lo, s6
	s_cbranch_execz .LBB757_246
; %bb.245:
	v_lshlrev_b32_e32 v15, 2, v0
	ds_load_b32 v17, v15
	v_add_co_u32 v15, vcc_lo, v7, v0
	v_add_co_ci_u32_e32 v16, vcc_lo, 0, v13, vcc_lo
	s_delay_alu instid0(VALU_DEP_1) | instskip(NEXT) | instid1(VALU_DEP_1)
	v_lshlrev_b64 v[15:16], 2, v[15:16]
	v_sub_co_u32 v15, vcc_lo, s14, v15
	s_delay_alu instid0(VALU_DEP_2)
	v_sub_co_ci_u32_e32 v16, vcc_lo, s15, v16, vcc_lo
	s_waitcnt lgkmcnt(0)
	global_store_b32 v[15:16], v17, off offset:-4
.LBB757_246:
	s_and_not1_saveexec_b32 s6, s6
	s_cbranch_execz .LBB757_248
; %bb.247:
	v_lshlrev_b32_e32 v15, 2, v0
	v_readfirstlane_b32 s8, v9
	v_readfirstlane_b32 s9, v10
	ds_load_b32 v16, v15
	s_waitcnt lgkmcnt(0)
	global_store_b32 v15, v16, s[8:9]
.LBB757_248:
	s_or_b32 exec_lo, exec_lo, s6
.LBB757_249:
	s_and_not1_saveexec_b32 s5, s5
	s_cbranch_execz .LBB757_251
; %bb.250:
	v_lshlrev_b32_e32 v15, 2, v0
	v_readfirstlane_b32 s6, v11
	v_readfirstlane_b32 s7, v12
	ds_load_b32 v16, v15
	s_waitcnt lgkmcnt(0)
	global_store_b32 v15, v16, s[6:7]
.LBB757_251:
	s_or_b32 exec_lo, exec_lo, s3
	v_or_b32_e32 v15, 0x100, v0
	s_mov_b32 s3, exec_lo
	s_delay_alu instid0(VALU_DEP_1)
	v_cmpx_gt_u32_e64 s4, v15
	s_cbranch_execz .LBB757_260
; %bb.252:
	s_mov_b32 s5, exec_lo
	v_cmpx_le_u32_e64 v5, v15
	s_xor_b32 s5, exec_lo, s5
	s_cbranch_execz .LBB757_258
; %bb.253:
	s_mov_b32 s6, exec_lo
	v_cmpx_le_u32_e64 v14, v15
	s_xor_b32 s6, exec_lo, s6
	s_cbranch_execz .LBB757_255
; %bb.254:
	v_lshlrev_b32_e32 v15, 2, v0
	ds_load_b32 v17, v15 offset:1024
	v_add_co_u32 v15, vcc_lo, v7, v0
	v_add_co_ci_u32_e32 v16, vcc_lo, 0, v13, vcc_lo
	s_delay_alu instid0(VALU_DEP_1) | instskip(NEXT) | instid1(VALU_DEP_1)
	v_lshlrev_b64 v[15:16], 2, v[15:16]
	v_sub_co_u32 v15, vcc_lo, s1, v15
	s_delay_alu instid0(VALU_DEP_2)
	v_sub_co_ci_u32_e32 v16, vcc_lo, s0, v16, vcc_lo
	s_waitcnt lgkmcnt(0)
	global_store_b32 v[15:16], v17, off offset:-1024
.LBB757_255:
	s_and_not1_saveexec_b32 s6, s6
	s_cbranch_execz .LBB757_257
; %bb.256:
	v_lshlrev_b32_e32 v15, 2, v0
	v_readfirstlane_b32 s8, v9
	v_readfirstlane_b32 s9, v10
	ds_load_b32 v16, v15 offset:1024
	s_waitcnt lgkmcnt(0)
	global_store_b32 v15, v16, s[8:9] offset:1024
.LBB757_257:
	s_or_b32 exec_lo, exec_lo, s6
.LBB757_258:
	s_and_not1_saveexec_b32 s5, s5
	s_cbranch_execz .LBB757_260
; %bb.259:
	v_lshlrev_b32_e32 v15, 2, v0
	v_readfirstlane_b32 s6, v11
	v_readfirstlane_b32 s7, v12
	ds_load_b32 v16, v15 offset:1024
	s_waitcnt lgkmcnt(0)
	global_store_b32 v15, v16, s[6:7] offset:1024
.LBB757_260:
	s_or_b32 exec_lo, exec_lo, s3
	v_or_b32_e32 v15, 0x200, v0
	s_mov_b32 s3, exec_lo
	s_delay_alu instid0(VALU_DEP_1)
	v_cmpx_gt_u32_e64 s4, v15
	s_cbranch_execz .LBB757_269
; %bb.261:
	s_mov_b32 s5, exec_lo
	v_cmpx_le_u32_e64 v5, v15
	s_xor_b32 s5, exec_lo, s5
	s_cbranch_execz .LBB757_267
; %bb.262:
	s_mov_b32 s6, exec_lo
	v_cmpx_le_u32_e64 v14, v15
	s_xor_b32 s6, exec_lo, s6
	s_cbranch_execz .LBB757_264
; %bb.263:
	v_lshlrev_b32_e32 v15, 2, v0
	ds_load_b32 v17, v15 offset:2048
	v_add_co_u32 v15, vcc_lo, v7, v0
	v_add_co_ci_u32_e32 v16, vcc_lo, 0, v13, vcc_lo
	s_delay_alu instid0(VALU_DEP_1) | instskip(NEXT) | instid1(VALU_DEP_1)
	v_lshlrev_b64 v[15:16], 2, v[15:16]
	v_sub_co_u32 v15, vcc_lo, s1, v15
	s_delay_alu instid0(VALU_DEP_2)
	v_sub_co_ci_u32_e32 v16, vcc_lo, s0, v16, vcc_lo
	s_waitcnt lgkmcnt(0)
	global_store_b32 v[15:16], v17, off offset:-2048
.LBB757_264:
	s_and_not1_saveexec_b32 s6, s6
	s_cbranch_execz .LBB757_266
; %bb.265:
	v_lshlrev_b32_e32 v15, 2, v0
	v_readfirstlane_b32 s8, v9
	v_readfirstlane_b32 s9, v10
	ds_load_b32 v16, v15 offset:2048
	s_waitcnt lgkmcnt(0)
	global_store_b32 v15, v16, s[8:9] offset:2048
.LBB757_266:
	s_or_b32 exec_lo, exec_lo, s6
.LBB757_267:
	s_and_not1_saveexec_b32 s5, s5
	s_cbranch_execz .LBB757_269
; %bb.268:
	v_lshlrev_b32_e32 v15, 2, v0
	v_readfirstlane_b32 s6, v11
	v_readfirstlane_b32 s7, v12
	ds_load_b32 v16, v15 offset:2048
	s_waitcnt lgkmcnt(0)
	global_store_b32 v15, v16, s[6:7] offset:2048
.LBB757_269:
	;; [unrolled: 51-line block ×3, first 2 shown]
	s_or_b32 exec_lo, exec_lo, s3
	v_or_b32_e32 v15, 0x400, v0
	s_mov_b32 s3, exec_lo
	s_delay_alu instid0(VALU_DEP_1)
	v_cmpx_gt_u32_e64 s4, v15
	s_cbranch_execz .LBB757_287
; %bb.279:
	s_mov_b32 s5, exec_lo
	v_cmpx_le_u32_e64 v5, v15
	s_xor_b32 s5, exec_lo, s5
	s_cbranch_execz .LBB757_285
; %bb.280:
	s_mov_b32 s6, exec_lo
	v_cmpx_le_u32_e64 v14, v15
	s_xor_b32 s6, exec_lo, s6
	s_cbranch_execz .LBB757_282
; %bb.281:
	v_lshlrev_b32_e32 v15, 2, v0
	ds_load_b32 v17, v15 offset:4096
	v_add_co_u32 v15, vcc_lo, v7, v0
	v_add_co_ci_u32_e32 v16, vcc_lo, 0, v13, vcc_lo
	s_delay_alu instid0(VALU_DEP_1) | instskip(NEXT) | instid1(VALU_DEP_1)
	v_lshlrev_b64 v[15:16], 2, v[15:16]
	v_sub_co_u32 v15, vcc_lo, s1, v15
	s_delay_alu instid0(VALU_DEP_2)
	v_sub_co_ci_u32_e32 v16, vcc_lo, s0, v16, vcc_lo
	s_waitcnt lgkmcnt(0)
	global_store_b32 v[15:16], v17, off offset:-4096
                                        ; implicit-def: $vgpr15
.LBB757_282:
	s_and_not1_saveexec_b32 s6, s6
	s_cbranch_execz .LBB757_284
; %bb.283:
	v_lshlrev_b32_e32 v16, 2, v0
	v_lshlrev_b32_e32 v15, 2, v15
	v_readfirstlane_b32 s8, v9
	v_readfirstlane_b32 s9, v10
	ds_load_b32 v16, v16 offset:4096
	s_waitcnt lgkmcnt(0)
	global_store_b32 v15, v16, s[8:9]
.LBB757_284:
	s_or_b32 exec_lo, exec_lo, s6
                                        ; implicit-def: $vgpr15
.LBB757_285:
	s_and_not1_saveexec_b32 s5, s5
	s_cbranch_execz .LBB757_287
; %bb.286:
	v_lshlrev_b32_e32 v16, 2, v0
	v_lshlrev_b32_e32 v15, 2, v15
	v_readfirstlane_b32 s6, v11
	v_readfirstlane_b32 s7, v12
	ds_load_b32 v16, v16 offset:4096
	s_waitcnt lgkmcnt(0)
	global_store_b32 v15, v16, s[6:7]
.LBB757_287:
	s_or_b32 exec_lo, exec_lo, s3
	v_or_b32_e32 v15, 0x500, v0
	s_mov_b32 s3, exec_lo
	s_delay_alu instid0(VALU_DEP_1)
	v_cmpx_gt_u32_e64 s4, v15
	s_cbranch_execz .LBB757_296
; %bb.288:
	s_mov_b32 s5, exec_lo
	v_cmpx_le_u32_e64 v5, v15
	s_xor_b32 s5, exec_lo, s5
	s_cbranch_execz .LBB757_294
; %bb.289:
	s_mov_b32 s6, exec_lo
	v_cmpx_le_u32_e64 v14, v15
	s_xor_b32 s6, exec_lo, s6
	s_cbranch_execz .LBB757_291
; %bb.290:
	v_lshlrev_b32_e32 v16, 2, v0
	v_add_co_u32 v15, vcc_lo, v7, v15
	ds_load_b32 v17, v16 offset:5120
	v_add_co_ci_u32_e32 v16, vcc_lo, 0, v13, vcc_lo
	s_delay_alu instid0(VALU_DEP_1) | instskip(NEXT) | instid1(VALU_DEP_1)
	v_lshlrev_b64 v[15:16], 2, v[15:16]
	v_sub_co_u32 v15, vcc_lo, s1, v15
	s_delay_alu instid0(VALU_DEP_2)
	v_sub_co_ci_u32_e32 v16, vcc_lo, s0, v16, vcc_lo
	s_waitcnt lgkmcnt(0)
	global_store_b32 v[15:16], v17, off
                                        ; implicit-def: $vgpr15
.LBB757_291:
	s_and_not1_saveexec_b32 s6, s6
	s_cbranch_execz .LBB757_293
; %bb.292:
	v_lshlrev_b32_e32 v16, 2, v0
	v_lshlrev_b32_e32 v15, 2, v15
	v_readfirstlane_b32 s8, v9
	v_readfirstlane_b32 s9, v10
	ds_load_b32 v16, v16 offset:5120
	s_waitcnt lgkmcnt(0)
	global_store_b32 v15, v16, s[8:9]
.LBB757_293:
	s_or_b32 exec_lo, exec_lo, s6
                                        ; implicit-def: $vgpr15
.LBB757_294:
	s_and_not1_saveexec_b32 s5, s5
	s_cbranch_execz .LBB757_296
; %bb.295:
	v_lshlrev_b32_e32 v16, 2, v0
	v_lshlrev_b32_e32 v15, 2, v15
	v_readfirstlane_b32 s6, v11
	v_readfirstlane_b32 s7, v12
	ds_load_b32 v16, v16 offset:5120
	s_waitcnt lgkmcnt(0)
	global_store_b32 v15, v16, s[6:7]
.LBB757_296:
	s_or_b32 exec_lo, exec_lo, s3
	v_or_b32_e32 v15, 0x600, v0
	s_mov_b32 s3, exec_lo
	s_delay_alu instid0(VALU_DEP_1)
	v_cmpx_gt_u32_e64 s4, v15
	s_cbranch_execz .LBB757_305
; %bb.297:
	s_mov_b32 s5, exec_lo
	v_cmpx_le_u32_e64 v5, v15
	s_xor_b32 s5, exec_lo, s5
	s_cbranch_execz .LBB757_303
; %bb.298:
	s_mov_b32 s6, exec_lo
	v_cmpx_le_u32_e64 v14, v15
	s_xor_b32 s6, exec_lo, s6
	s_cbranch_execz .LBB757_300
; %bb.299:
	v_lshlrev_b32_e32 v16, 2, v0
	v_add_co_u32 v15, vcc_lo, v7, v15
	ds_load_b32 v17, v16 offset:6144
	v_add_co_ci_u32_e32 v16, vcc_lo, 0, v13, vcc_lo
	s_delay_alu instid0(VALU_DEP_1) | instskip(NEXT) | instid1(VALU_DEP_1)
	v_lshlrev_b64 v[15:16], 2, v[15:16]
	v_sub_co_u32 v15, vcc_lo, s1, v15
	s_delay_alu instid0(VALU_DEP_2)
	v_sub_co_ci_u32_e32 v16, vcc_lo, s0, v16, vcc_lo
	s_waitcnt lgkmcnt(0)
	global_store_b32 v[15:16], v17, off
                                        ; implicit-def: $vgpr15
.LBB757_300:
	s_and_not1_saveexec_b32 s6, s6
	s_cbranch_execz .LBB757_302
; %bb.301:
	v_lshlrev_b32_e32 v16, 2, v0
	v_lshlrev_b32_e32 v15, 2, v15
	v_readfirstlane_b32 s8, v9
	v_readfirstlane_b32 s9, v10
	ds_load_b32 v16, v16 offset:6144
	s_waitcnt lgkmcnt(0)
	global_store_b32 v15, v16, s[8:9]
.LBB757_302:
	s_or_b32 exec_lo, exec_lo, s6
                                        ; implicit-def: $vgpr15
.LBB757_303:
	s_and_not1_saveexec_b32 s5, s5
	s_cbranch_execz .LBB757_305
; %bb.304:
	v_lshlrev_b32_e32 v16, 2, v0
	v_lshlrev_b32_e32 v15, 2, v15
	v_readfirstlane_b32 s6, v11
	v_readfirstlane_b32 s7, v12
	ds_load_b32 v16, v16 offset:6144
	s_waitcnt lgkmcnt(0)
	global_store_b32 v15, v16, s[6:7]
.LBB757_305:
	;; [unrolled: 55-line block ×7, first 2 shown]
	s_or_b32 exec_lo, exec_lo, s3
	v_or_b32_e32 v15, 0xc00, v0
	s_mov_b32 s3, exec_lo
	s_delay_alu instid0(VALU_DEP_1)
	v_cmpx_gt_u32_e64 s4, v15
	s_cbranch_execz .LBB757_359
; %bb.351:
	s_mov_b32 s4, exec_lo
	v_cmpx_le_u32_e64 v5, v15
	s_xor_b32 s4, exec_lo, s4
	s_cbranch_execz .LBB757_357
; %bb.352:
	s_mov_b32 s5, exec_lo
	v_cmpx_le_u32_e64 v14, v15
	s_xor_b32 s5, exec_lo, s5
	s_cbranch_execz .LBB757_354
; %bb.353:
	v_lshlrev_b32_e32 v0, 2, v0
	v_add_co_u32 v9, vcc_lo, v7, v15
	v_add_co_ci_u32_e32 v10, vcc_lo, 0, v13, vcc_lo
	ds_load_b32 v0, v0 offset:12288
                                        ; implicit-def: $vgpr15
	v_lshlrev_b64 v[9:10], 2, v[9:10]
	s_delay_alu instid0(VALU_DEP_1) | instskip(NEXT) | instid1(VALU_DEP_2)
	v_sub_co_u32 v9, vcc_lo, s1, v9
	v_sub_co_ci_u32_e32 v10, vcc_lo, s0, v10, vcc_lo
	s_waitcnt lgkmcnt(0)
	global_store_b32 v[9:10], v0, off
                                        ; implicit-def: $vgpr0
                                        ; implicit-def: $vgpr9_vgpr10
.LBB757_354:
	s_and_not1_saveexec_b32 s0, s5
	s_cbranch_execz .LBB757_356
; %bb.355:
	v_lshlrev_b32_e32 v0, 2, v0
	v_lshlrev_b32_e32 v7, 2, v15
	v_readfirstlane_b32 s6, v9
	v_readfirstlane_b32 s7, v10
	ds_load_b32 v0, v0 offset:12288
	s_waitcnt lgkmcnt(0)
	global_store_b32 v7, v0, s[6:7]
.LBB757_356:
	s_or_b32 exec_lo, exec_lo, s0
                                        ; implicit-def: $vgpr0
                                        ; implicit-def: $vgpr15
                                        ; implicit-def: $vgpr11_vgpr12
.LBB757_357:
	s_and_not1_saveexec_b32 s0, s4
	s_cbranch_execz .LBB757_359
; %bb.358:
	v_lshlrev_b32_e32 v0, 2, v0
	v_lshlrev_b32_e32 v7, 2, v15
	v_readfirstlane_b32 s0, v11
	v_readfirstlane_b32 s1, v12
	ds_load_b32 v0, v0 offset:12288
	s_waitcnt lgkmcnt(0)
	global_store_b32 v7, v0, s[0:1]
.LBB757_359:
	s_or_b32 exec_lo, exec_lo, s3
	s_and_b32 s0, s2, s13
	s_delay_alu instid0(SALU_CYCLE_1)
	s_and_saveexec_b32 s1, s0
	s_cbranch_execz .LBB757_136
.LBB757_360:
	v_add_co_u32 v3, vcc_lo, v3, v6
	v_add_co_ci_u32_e32 v4, vcc_lo, 0, v4, vcc_lo
	v_add_co_u32 v0, vcc_lo, v1, v5
	v_add_co_ci_u32_e32 v1, vcc_lo, 0, v2, vcc_lo
	s_delay_alu instid0(VALU_DEP_4)
	v_add_co_u32 v2, vcc_lo, v3, v8
	v_mov_b32_e32 v7, 0
	v_add_co_ci_u32_e32 v3, vcc_lo, 0, v4, vcc_lo
	global_store_b128 v7, v[0:3], s[24:25]
	s_nop 0
	s_sendmsg sendmsg(MSG_DEALLOC_VGPRS)
	s_endpgm
.LBB757_361:
	v_add_nc_u32_e32 v7, s6, v27
	s_add_i32 s8, s26, 32
	s_mov_b32 s9, 0
	v_dual_mov_b32 v9, 0 :: v_dual_add_nc_u32 v6, v26, v5
	s_lshl_b64 s[8:9], s[8:9], 4
	v_and_b32_e32 v24, 0xff0000, v7
	s_add_u32 s8, s36, s8
	s_addc_u32 s9, s37, s9
	v_and_b32_e32 v8, 0xff000000, v7
	s_delay_alu instid0(VALU_DEP_1) | instskip(SKIP_2) | instid1(VALU_DEP_1)
	v_or_b32_e32 v24, v24, v8
	v_dual_mov_b32 v8, 2 :: v_dual_and_b32 v25, 0xff00, v7
	v_and_b32_e32 v7, 0xff, v7
	v_or3_b32 v7, v24, v25, v7
	v_dual_mov_b32 v25, s9 :: v_dual_mov_b32 v24, s8
	;;#ASMSTART
	global_store_dwordx4 v[24:25], v[6:9] off	
s_waitcnt vmcnt(0)
	;;#ASMEND
	s_or_b32 exec_lo, exec_lo, s7
	s_and_saveexec_b32 s7, s3
	s_cbranch_execz .LBB757_120
.LBB757_362:
	v_mov_b32_e32 v6, s6
	v_add_nc_u32_e64 v7, 0x3400, 0
	ds_store_2addr_b32 v7, v5, v6 offset1:2
	ds_store_2addr_b32 v7, v26, v27 offset0:4 offset1:6
	s_or_b32 exec_lo, exec_lo, s7
	s_delay_alu instid0(SALU_CYCLE_1)
	s_and_b32 exec_lo, exec_lo, s2
	s_cbranch_execnz .LBB757_121
	s_branch .LBB757_122
	.section	.rodata,"a",@progbits
	.p2align	6, 0x0
	.amdhsa_kernel _ZN7rocprim17ROCPRIM_400000_NS6detail17trampoline_kernelINS0_13select_configILj256ELj13ELNS0_17block_load_methodE3ELS4_3ELS4_3ELNS0_20block_scan_algorithmE0ELj4294967295EEENS1_25partition_config_selectorILNS1_17partition_subalgoE4EjNS0_10empty_typeEbEEZZNS1_14partition_implILS8_4ELb0ES6_15HIP_vector_typeIjLj2EENS0_17counting_iteratorIjlEEPS9_SG_NS0_5tupleIJPjSI_NS0_16reverse_iteratorISI_EEEEENSH_IJSG_SG_SG_EEES9_SI_JZNS1_25segmented_radix_sort_implINS0_14default_configELb0EPKlPlSQ_SR_N2at6native12_GLOBAL__N_18offset_tEEE10hipError_tPvRmT1_PNSt15iterator_traitsISZ_E10value_typeET2_T3_PNS10_IS15_E10value_typeET4_jRbjT5_S1B_jjP12ihipStream_tbEUljE_ZNSN_ISO_Lb0ESQ_SR_SQ_SR_SV_EESW_SX_SY_SZ_S13_S14_S15_S18_S19_jS1A_jS1B_S1B_jjS1D_bEUljE0_EEESW_SX_SY_S15_S19_S1B_T6_T7_T9_mT8_S1D_bDpT10_ENKUlT_T0_E_clISt17integral_constantIbLb1EES1R_EEDaS1M_S1N_EUlS1M_E_NS1_11comp_targetILNS1_3genE9ELNS1_11target_archE1100ELNS1_3gpuE3ELNS1_3repE0EEENS1_30default_config_static_selectorELNS0_4arch9wavefront6targetE0EEEvSZ_
		.amdhsa_group_segment_fixed_size 13340
		.amdhsa_private_segment_fixed_size 0
		.amdhsa_kernarg_size 184
		.amdhsa_user_sgpr_count 15
		.amdhsa_user_sgpr_dispatch_ptr 0
		.amdhsa_user_sgpr_queue_ptr 0
		.amdhsa_user_sgpr_kernarg_segment_ptr 1
		.amdhsa_user_sgpr_dispatch_id 0
		.amdhsa_user_sgpr_private_segment_size 0
		.amdhsa_wavefront_size32 1
		.amdhsa_uses_dynamic_stack 0
		.amdhsa_enable_private_segment 0
		.amdhsa_system_sgpr_workgroup_id_x 1
		.amdhsa_system_sgpr_workgroup_id_y 0
		.amdhsa_system_sgpr_workgroup_id_z 0
		.amdhsa_system_sgpr_workgroup_info 0
		.amdhsa_system_vgpr_workitem_id 0
		.amdhsa_next_free_vgpr 103
		.amdhsa_next_free_sgpr 55
		.amdhsa_reserve_vcc 1
		.amdhsa_float_round_mode_32 0
		.amdhsa_float_round_mode_16_64 0
		.amdhsa_float_denorm_mode_32 3
		.amdhsa_float_denorm_mode_16_64 3
		.amdhsa_dx10_clamp 1
		.amdhsa_ieee_mode 1
		.amdhsa_fp16_overflow 0
		.amdhsa_workgroup_processor_mode 1
		.amdhsa_memory_ordered 1
		.amdhsa_forward_progress 0
		.amdhsa_shared_vgpr_count 0
		.amdhsa_exception_fp_ieee_invalid_op 0
		.amdhsa_exception_fp_denorm_src 0
		.amdhsa_exception_fp_ieee_div_zero 0
		.amdhsa_exception_fp_ieee_overflow 0
		.amdhsa_exception_fp_ieee_underflow 0
		.amdhsa_exception_fp_ieee_inexact 0
		.amdhsa_exception_int_div_zero 0
	.end_amdhsa_kernel
	.section	.text._ZN7rocprim17ROCPRIM_400000_NS6detail17trampoline_kernelINS0_13select_configILj256ELj13ELNS0_17block_load_methodE3ELS4_3ELS4_3ELNS0_20block_scan_algorithmE0ELj4294967295EEENS1_25partition_config_selectorILNS1_17partition_subalgoE4EjNS0_10empty_typeEbEEZZNS1_14partition_implILS8_4ELb0ES6_15HIP_vector_typeIjLj2EENS0_17counting_iteratorIjlEEPS9_SG_NS0_5tupleIJPjSI_NS0_16reverse_iteratorISI_EEEEENSH_IJSG_SG_SG_EEES9_SI_JZNS1_25segmented_radix_sort_implINS0_14default_configELb0EPKlPlSQ_SR_N2at6native12_GLOBAL__N_18offset_tEEE10hipError_tPvRmT1_PNSt15iterator_traitsISZ_E10value_typeET2_T3_PNS10_IS15_E10value_typeET4_jRbjT5_S1B_jjP12ihipStream_tbEUljE_ZNSN_ISO_Lb0ESQ_SR_SQ_SR_SV_EESW_SX_SY_SZ_S13_S14_S15_S18_S19_jS1A_jS1B_S1B_jjS1D_bEUljE0_EEESW_SX_SY_S15_S19_S1B_T6_T7_T9_mT8_S1D_bDpT10_ENKUlT_T0_E_clISt17integral_constantIbLb1EES1R_EEDaS1M_S1N_EUlS1M_E_NS1_11comp_targetILNS1_3genE9ELNS1_11target_archE1100ELNS1_3gpuE3ELNS1_3repE0EEENS1_30default_config_static_selectorELNS0_4arch9wavefront6targetE0EEEvSZ_,"axG",@progbits,_ZN7rocprim17ROCPRIM_400000_NS6detail17trampoline_kernelINS0_13select_configILj256ELj13ELNS0_17block_load_methodE3ELS4_3ELS4_3ELNS0_20block_scan_algorithmE0ELj4294967295EEENS1_25partition_config_selectorILNS1_17partition_subalgoE4EjNS0_10empty_typeEbEEZZNS1_14partition_implILS8_4ELb0ES6_15HIP_vector_typeIjLj2EENS0_17counting_iteratorIjlEEPS9_SG_NS0_5tupleIJPjSI_NS0_16reverse_iteratorISI_EEEEENSH_IJSG_SG_SG_EEES9_SI_JZNS1_25segmented_radix_sort_implINS0_14default_configELb0EPKlPlSQ_SR_N2at6native12_GLOBAL__N_18offset_tEEE10hipError_tPvRmT1_PNSt15iterator_traitsISZ_E10value_typeET2_T3_PNS10_IS15_E10value_typeET4_jRbjT5_S1B_jjP12ihipStream_tbEUljE_ZNSN_ISO_Lb0ESQ_SR_SQ_SR_SV_EESW_SX_SY_SZ_S13_S14_S15_S18_S19_jS1A_jS1B_S1B_jjS1D_bEUljE0_EEESW_SX_SY_S15_S19_S1B_T6_T7_T9_mT8_S1D_bDpT10_ENKUlT_T0_E_clISt17integral_constantIbLb1EES1R_EEDaS1M_S1N_EUlS1M_E_NS1_11comp_targetILNS1_3genE9ELNS1_11target_archE1100ELNS1_3gpuE3ELNS1_3repE0EEENS1_30default_config_static_selectorELNS0_4arch9wavefront6targetE0EEEvSZ_,comdat
.Lfunc_end757:
	.size	_ZN7rocprim17ROCPRIM_400000_NS6detail17trampoline_kernelINS0_13select_configILj256ELj13ELNS0_17block_load_methodE3ELS4_3ELS4_3ELNS0_20block_scan_algorithmE0ELj4294967295EEENS1_25partition_config_selectorILNS1_17partition_subalgoE4EjNS0_10empty_typeEbEEZZNS1_14partition_implILS8_4ELb0ES6_15HIP_vector_typeIjLj2EENS0_17counting_iteratorIjlEEPS9_SG_NS0_5tupleIJPjSI_NS0_16reverse_iteratorISI_EEEEENSH_IJSG_SG_SG_EEES9_SI_JZNS1_25segmented_radix_sort_implINS0_14default_configELb0EPKlPlSQ_SR_N2at6native12_GLOBAL__N_18offset_tEEE10hipError_tPvRmT1_PNSt15iterator_traitsISZ_E10value_typeET2_T3_PNS10_IS15_E10value_typeET4_jRbjT5_S1B_jjP12ihipStream_tbEUljE_ZNSN_ISO_Lb0ESQ_SR_SQ_SR_SV_EESW_SX_SY_SZ_S13_S14_S15_S18_S19_jS1A_jS1B_S1B_jjS1D_bEUljE0_EEESW_SX_SY_S15_S19_S1B_T6_T7_T9_mT8_S1D_bDpT10_ENKUlT_T0_E_clISt17integral_constantIbLb1EES1R_EEDaS1M_S1N_EUlS1M_E_NS1_11comp_targetILNS1_3genE9ELNS1_11target_archE1100ELNS1_3gpuE3ELNS1_3repE0EEENS1_30default_config_static_selectorELNS0_4arch9wavefront6targetE0EEEvSZ_, .Lfunc_end757-_ZN7rocprim17ROCPRIM_400000_NS6detail17trampoline_kernelINS0_13select_configILj256ELj13ELNS0_17block_load_methodE3ELS4_3ELS4_3ELNS0_20block_scan_algorithmE0ELj4294967295EEENS1_25partition_config_selectorILNS1_17partition_subalgoE4EjNS0_10empty_typeEbEEZZNS1_14partition_implILS8_4ELb0ES6_15HIP_vector_typeIjLj2EENS0_17counting_iteratorIjlEEPS9_SG_NS0_5tupleIJPjSI_NS0_16reverse_iteratorISI_EEEEENSH_IJSG_SG_SG_EEES9_SI_JZNS1_25segmented_radix_sort_implINS0_14default_configELb0EPKlPlSQ_SR_N2at6native12_GLOBAL__N_18offset_tEEE10hipError_tPvRmT1_PNSt15iterator_traitsISZ_E10value_typeET2_T3_PNS10_IS15_E10value_typeET4_jRbjT5_S1B_jjP12ihipStream_tbEUljE_ZNSN_ISO_Lb0ESQ_SR_SQ_SR_SV_EESW_SX_SY_SZ_S13_S14_S15_S18_S19_jS1A_jS1B_S1B_jjS1D_bEUljE0_EEESW_SX_SY_S15_S19_S1B_T6_T7_T9_mT8_S1D_bDpT10_ENKUlT_T0_E_clISt17integral_constantIbLb1EES1R_EEDaS1M_S1N_EUlS1M_E_NS1_11comp_targetILNS1_3genE9ELNS1_11target_archE1100ELNS1_3gpuE3ELNS1_3repE0EEENS1_30default_config_static_selectorELNS0_4arch9wavefront6targetE0EEEvSZ_
                                        ; -- End function
	.section	.AMDGPU.csdata,"",@progbits
; Kernel info:
; codeLenInByte = 15160
; NumSgprs: 57
; NumVgprs: 103
; ScratchSize: 0
; MemoryBound: 0
; FloatMode: 240
; IeeeMode: 1
; LDSByteSize: 13340 bytes/workgroup (compile time only)
; SGPRBlocks: 7
; VGPRBlocks: 12
; NumSGPRsForWavesPerEU: 57
; NumVGPRsForWavesPerEU: 103
; Occupancy: 12
; WaveLimiterHint : 1
; COMPUTE_PGM_RSRC2:SCRATCH_EN: 0
; COMPUTE_PGM_RSRC2:USER_SGPR: 15
; COMPUTE_PGM_RSRC2:TRAP_HANDLER: 0
; COMPUTE_PGM_RSRC2:TGID_X_EN: 1
; COMPUTE_PGM_RSRC2:TGID_Y_EN: 0
; COMPUTE_PGM_RSRC2:TGID_Z_EN: 0
; COMPUTE_PGM_RSRC2:TIDIG_COMP_CNT: 0
	.section	.text._ZN7rocprim17ROCPRIM_400000_NS6detail17trampoline_kernelINS0_13select_configILj256ELj13ELNS0_17block_load_methodE3ELS4_3ELS4_3ELNS0_20block_scan_algorithmE0ELj4294967295EEENS1_25partition_config_selectorILNS1_17partition_subalgoE4EjNS0_10empty_typeEbEEZZNS1_14partition_implILS8_4ELb0ES6_15HIP_vector_typeIjLj2EENS0_17counting_iteratorIjlEEPS9_SG_NS0_5tupleIJPjSI_NS0_16reverse_iteratorISI_EEEEENSH_IJSG_SG_SG_EEES9_SI_JZNS1_25segmented_radix_sort_implINS0_14default_configELb0EPKlPlSQ_SR_N2at6native12_GLOBAL__N_18offset_tEEE10hipError_tPvRmT1_PNSt15iterator_traitsISZ_E10value_typeET2_T3_PNS10_IS15_E10value_typeET4_jRbjT5_S1B_jjP12ihipStream_tbEUljE_ZNSN_ISO_Lb0ESQ_SR_SQ_SR_SV_EESW_SX_SY_SZ_S13_S14_S15_S18_S19_jS1A_jS1B_S1B_jjS1D_bEUljE0_EEESW_SX_SY_S15_S19_S1B_T6_T7_T9_mT8_S1D_bDpT10_ENKUlT_T0_E_clISt17integral_constantIbLb1EES1R_EEDaS1M_S1N_EUlS1M_E_NS1_11comp_targetILNS1_3genE8ELNS1_11target_archE1030ELNS1_3gpuE2ELNS1_3repE0EEENS1_30default_config_static_selectorELNS0_4arch9wavefront6targetE0EEEvSZ_,"axG",@progbits,_ZN7rocprim17ROCPRIM_400000_NS6detail17trampoline_kernelINS0_13select_configILj256ELj13ELNS0_17block_load_methodE3ELS4_3ELS4_3ELNS0_20block_scan_algorithmE0ELj4294967295EEENS1_25partition_config_selectorILNS1_17partition_subalgoE4EjNS0_10empty_typeEbEEZZNS1_14partition_implILS8_4ELb0ES6_15HIP_vector_typeIjLj2EENS0_17counting_iteratorIjlEEPS9_SG_NS0_5tupleIJPjSI_NS0_16reverse_iteratorISI_EEEEENSH_IJSG_SG_SG_EEES9_SI_JZNS1_25segmented_radix_sort_implINS0_14default_configELb0EPKlPlSQ_SR_N2at6native12_GLOBAL__N_18offset_tEEE10hipError_tPvRmT1_PNSt15iterator_traitsISZ_E10value_typeET2_T3_PNS10_IS15_E10value_typeET4_jRbjT5_S1B_jjP12ihipStream_tbEUljE_ZNSN_ISO_Lb0ESQ_SR_SQ_SR_SV_EESW_SX_SY_SZ_S13_S14_S15_S18_S19_jS1A_jS1B_S1B_jjS1D_bEUljE0_EEESW_SX_SY_S15_S19_S1B_T6_T7_T9_mT8_S1D_bDpT10_ENKUlT_T0_E_clISt17integral_constantIbLb1EES1R_EEDaS1M_S1N_EUlS1M_E_NS1_11comp_targetILNS1_3genE8ELNS1_11target_archE1030ELNS1_3gpuE2ELNS1_3repE0EEENS1_30default_config_static_selectorELNS0_4arch9wavefront6targetE0EEEvSZ_,comdat
	.globl	_ZN7rocprim17ROCPRIM_400000_NS6detail17trampoline_kernelINS0_13select_configILj256ELj13ELNS0_17block_load_methodE3ELS4_3ELS4_3ELNS0_20block_scan_algorithmE0ELj4294967295EEENS1_25partition_config_selectorILNS1_17partition_subalgoE4EjNS0_10empty_typeEbEEZZNS1_14partition_implILS8_4ELb0ES6_15HIP_vector_typeIjLj2EENS0_17counting_iteratorIjlEEPS9_SG_NS0_5tupleIJPjSI_NS0_16reverse_iteratorISI_EEEEENSH_IJSG_SG_SG_EEES9_SI_JZNS1_25segmented_radix_sort_implINS0_14default_configELb0EPKlPlSQ_SR_N2at6native12_GLOBAL__N_18offset_tEEE10hipError_tPvRmT1_PNSt15iterator_traitsISZ_E10value_typeET2_T3_PNS10_IS15_E10value_typeET4_jRbjT5_S1B_jjP12ihipStream_tbEUljE_ZNSN_ISO_Lb0ESQ_SR_SQ_SR_SV_EESW_SX_SY_SZ_S13_S14_S15_S18_S19_jS1A_jS1B_S1B_jjS1D_bEUljE0_EEESW_SX_SY_S15_S19_S1B_T6_T7_T9_mT8_S1D_bDpT10_ENKUlT_T0_E_clISt17integral_constantIbLb1EES1R_EEDaS1M_S1N_EUlS1M_E_NS1_11comp_targetILNS1_3genE8ELNS1_11target_archE1030ELNS1_3gpuE2ELNS1_3repE0EEENS1_30default_config_static_selectorELNS0_4arch9wavefront6targetE0EEEvSZ_ ; -- Begin function _ZN7rocprim17ROCPRIM_400000_NS6detail17trampoline_kernelINS0_13select_configILj256ELj13ELNS0_17block_load_methodE3ELS4_3ELS4_3ELNS0_20block_scan_algorithmE0ELj4294967295EEENS1_25partition_config_selectorILNS1_17partition_subalgoE4EjNS0_10empty_typeEbEEZZNS1_14partition_implILS8_4ELb0ES6_15HIP_vector_typeIjLj2EENS0_17counting_iteratorIjlEEPS9_SG_NS0_5tupleIJPjSI_NS0_16reverse_iteratorISI_EEEEENSH_IJSG_SG_SG_EEES9_SI_JZNS1_25segmented_radix_sort_implINS0_14default_configELb0EPKlPlSQ_SR_N2at6native12_GLOBAL__N_18offset_tEEE10hipError_tPvRmT1_PNSt15iterator_traitsISZ_E10value_typeET2_T3_PNS10_IS15_E10value_typeET4_jRbjT5_S1B_jjP12ihipStream_tbEUljE_ZNSN_ISO_Lb0ESQ_SR_SQ_SR_SV_EESW_SX_SY_SZ_S13_S14_S15_S18_S19_jS1A_jS1B_S1B_jjS1D_bEUljE0_EEESW_SX_SY_S15_S19_S1B_T6_T7_T9_mT8_S1D_bDpT10_ENKUlT_T0_E_clISt17integral_constantIbLb1EES1R_EEDaS1M_S1N_EUlS1M_E_NS1_11comp_targetILNS1_3genE8ELNS1_11target_archE1030ELNS1_3gpuE2ELNS1_3repE0EEENS1_30default_config_static_selectorELNS0_4arch9wavefront6targetE0EEEvSZ_
	.p2align	8
	.type	_ZN7rocprim17ROCPRIM_400000_NS6detail17trampoline_kernelINS0_13select_configILj256ELj13ELNS0_17block_load_methodE3ELS4_3ELS4_3ELNS0_20block_scan_algorithmE0ELj4294967295EEENS1_25partition_config_selectorILNS1_17partition_subalgoE4EjNS0_10empty_typeEbEEZZNS1_14partition_implILS8_4ELb0ES6_15HIP_vector_typeIjLj2EENS0_17counting_iteratorIjlEEPS9_SG_NS0_5tupleIJPjSI_NS0_16reverse_iteratorISI_EEEEENSH_IJSG_SG_SG_EEES9_SI_JZNS1_25segmented_radix_sort_implINS0_14default_configELb0EPKlPlSQ_SR_N2at6native12_GLOBAL__N_18offset_tEEE10hipError_tPvRmT1_PNSt15iterator_traitsISZ_E10value_typeET2_T3_PNS10_IS15_E10value_typeET4_jRbjT5_S1B_jjP12ihipStream_tbEUljE_ZNSN_ISO_Lb0ESQ_SR_SQ_SR_SV_EESW_SX_SY_SZ_S13_S14_S15_S18_S19_jS1A_jS1B_S1B_jjS1D_bEUljE0_EEESW_SX_SY_S15_S19_S1B_T6_T7_T9_mT8_S1D_bDpT10_ENKUlT_T0_E_clISt17integral_constantIbLb1EES1R_EEDaS1M_S1N_EUlS1M_E_NS1_11comp_targetILNS1_3genE8ELNS1_11target_archE1030ELNS1_3gpuE2ELNS1_3repE0EEENS1_30default_config_static_selectorELNS0_4arch9wavefront6targetE0EEEvSZ_,@function
_ZN7rocprim17ROCPRIM_400000_NS6detail17trampoline_kernelINS0_13select_configILj256ELj13ELNS0_17block_load_methodE3ELS4_3ELS4_3ELNS0_20block_scan_algorithmE0ELj4294967295EEENS1_25partition_config_selectorILNS1_17partition_subalgoE4EjNS0_10empty_typeEbEEZZNS1_14partition_implILS8_4ELb0ES6_15HIP_vector_typeIjLj2EENS0_17counting_iteratorIjlEEPS9_SG_NS0_5tupleIJPjSI_NS0_16reverse_iteratorISI_EEEEENSH_IJSG_SG_SG_EEES9_SI_JZNS1_25segmented_radix_sort_implINS0_14default_configELb0EPKlPlSQ_SR_N2at6native12_GLOBAL__N_18offset_tEEE10hipError_tPvRmT1_PNSt15iterator_traitsISZ_E10value_typeET2_T3_PNS10_IS15_E10value_typeET4_jRbjT5_S1B_jjP12ihipStream_tbEUljE_ZNSN_ISO_Lb0ESQ_SR_SQ_SR_SV_EESW_SX_SY_SZ_S13_S14_S15_S18_S19_jS1A_jS1B_S1B_jjS1D_bEUljE0_EEESW_SX_SY_S15_S19_S1B_T6_T7_T9_mT8_S1D_bDpT10_ENKUlT_T0_E_clISt17integral_constantIbLb1EES1R_EEDaS1M_S1N_EUlS1M_E_NS1_11comp_targetILNS1_3genE8ELNS1_11target_archE1030ELNS1_3gpuE2ELNS1_3repE0EEENS1_30default_config_static_selectorELNS0_4arch9wavefront6targetE0EEEvSZ_: ; @_ZN7rocprim17ROCPRIM_400000_NS6detail17trampoline_kernelINS0_13select_configILj256ELj13ELNS0_17block_load_methodE3ELS4_3ELS4_3ELNS0_20block_scan_algorithmE0ELj4294967295EEENS1_25partition_config_selectorILNS1_17partition_subalgoE4EjNS0_10empty_typeEbEEZZNS1_14partition_implILS8_4ELb0ES6_15HIP_vector_typeIjLj2EENS0_17counting_iteratorIjlEEPS9_SG_NS0_5tupleIJPjSI_NS0_16reverse_iteratorISI_EEEEENSH_IJSG_SG_SG_EEES9_SI_JZNS1_25segmented_radix_sort_implINS0_14default_configELb0EPKlPlSQ_SR_N2at6native12_GLOBAL__N_18offset_tEEE10hipError_tPvRmT1_PNSt15iterator_traitsISZ_E10value_typeET2_T3_PNS10_IS15_E10value_typeET4_jRbjT5_S1B_jjP12ihipStream_tbEUljE_ZNSN_ISO_Lb0ESQ_SR_SQ_SR_SV_EESW_SX_SY_SZ_S13_S14_S15_S18_S19_jS1A_jS1B_S1B_jjS1D_bEUljE0_EEESW_SX_SY_S15_S19_S1B_T6_T7_T9_mT8_S1D_bDpT10_ENKUlT_T0_E_clISt17integral_constantIbLb1EES1R_EEDaS1M_S1N_EUlS1M_E_NS1_11comp_targetILNS1_3genE8ELNS1_11target_archE1030ELNS1_3gpuE2ELNS1_3repE0EEENS1_30default_config_static_selectorELNS0_4arch9wavefront6targetE0EEEvSZ_
; %bb.0:
	.section	.rodata,"a",@progbits
	.p2align	6, 0x0
	.amdhsa_kernel _ZN7rocprim17ROCPRIM_400000_NS6detail17trampoline_kernelINS0_13select_configILj256ELj13ELNS0_17block_load_methodE3ELS4_3ELS4_3ELNS0_20block_scan_algorithmE0ELj4294967295EEENS1_25partition_config_selectorILNS1_17partition_subalgoE4EjNS0_10empty_typeEbEEZZNS1_14partition_implILS8_4ELb0ES6_15HIP_vector_typeIjLj2EENS0_17counting_iteratorIjlEEPS9_SG_NS0_5tupleIJPjSI_NS0_16reverse_iteratorISI_EEEEENSH_IJSG_SG_SG_EEES9_SI_JZNS1_25segmented_radix_sort_implINS0_14default_configELb0EPKlPlSQ_SR_N2at6native12_GLOBAL__N_18offset_tEEE10hipError_tPvRmT1_PNSt15iterator_traitsISZ_E10value_typeET2_T3_PNS10_IS15_E10value_typeET4_jRbjT5_S1B_jjP12ihipStream_tbEUljE_ZNSN_ISO_Lb0ESQ_SR_SQ_SR_SV_EESW_SX_SY_SZ_S13_S14_S15_S18_S19_jS1A_jS1B_S1B_jjS1D_bEUljE0_EEESW_SX_SY_S15_S19_S1B_T6_T7_T9_mT8_S1D_bDpT10_ENKUlT_T0_E_clISt17integral_constantIbLb1EES1R_EEDaS1M_S1N_EUlS1M_E_NS1_11comp_targetILNS1_3genE8ELNS1_11target_archE1030ELNS1_3gpuE2ELNS1_3repE0EEENS1_30default_config_static_selectorELNS0_4arch9wavefront6targetE0EEEvSZ_
		.amdhsa_group_segment_fixed_size 0
		.amdhsa_private_segment_fixed_size 0
		.amdhsa_kernarg_size 184
		.amdhsa_user_sgpr_count 15
		.amdhsa_user_sgpr_dispatch_ptr 0
		.amdhsa_user_sgpr_queue_ptr 0
		.amdhsa_user_sgpr_kernarg_segment_ptr 1
		.amdhsa_user_sgpr_dispatch_id 0
		.amdhsa_user_sgpr_private_segment_size 0
		.amdhsa_wavefront_size32 1
		.amdhsa_uses_dynamic_stack 0
		.amdhsa_enable_private_segment 0
		.amdhsa_system_sgpr_workgroup_id_x 1
		.amdhsa_system_sgpr_workgroup_id_y 0
		.amdhsa_system_sgpr_workgroup_id_z 0
		.amdhsa_system_sgpr_workgroup_info 0
		.amdhsa_system_vgpr_workitem_id 0
		.amdhsa_next_free_vgpr 1
		.amdhsa_next_free_sgpr 1
		.amdhsa_reserve_vcc 0
		.amdhsa_float_round_mode_32 0
		.amdhsa_float_round_mode_16_64 0
		.amdhsa_float_denorm_mode_32 3
		.amdhsa_float_denorm_mode_16_64 3
		.amdhsa_dx10_clamp 1
		.amdhsa_ieee_mode 1
		.amdhsa_fp16_overflow 0
		.amdhsa_workgroup_processor_mode 1
		.amdhsa_memory_ordered 1
		.amdhsa_forward_progress 0
		.amdhsa_shared_vgpr_count 0
		.amdhsa_exception_fp_ieee_invalid_op 0
		.amdhsa_exception_fp_denorm_src 0
		.amdhsa_exception_fp_ieee_div_zero 0
		.amdhsa_exception_fp_ieee_overflow 0
		.amdhsa_exception_fp_ieee_underflow 0
		.amdhsa_exception_fp_ieee_inexact 0
		.amdhsa_exception_int_div_zero 0
	.end_amdhsa_kernel
	.section	.text._ZN7rocprim17ROCPRIM_400000_NS6detail17trampoline_kernelINS0_13select_configILj256ELj13ELNS0_17block_load_methodE3ELS4_3ELS4_3ELNS0_20block_scan_algorithmE0ELj4294967295EEENS1_25partition_config_selectorILNS1_17partition_subalgoE4EjNS0_10empty_typeEbEEZZNS1_14partition_implILS8_4ELb0ES6_15HIP_vector_typeIjLj2EENS0_17counting_iteratorIjlEEPS9_SG_NS0_5tupleIJPjSI_NS0_16reverse_iteratorISI_EEEEENSH_IJSG_SG_SG_EEES9_SI_JZNS1_25segmented_radix_sort_implINS0_14default_configELb0EPKlPlSQ_SR_N2at6native12_GLOBAL__N_18offset_tEEE10hipError_tPvRmT1_PNSt15iterator_traitsISZ_E10value_typeET2_T3_PNS10_IS15_E10value_typeET4_jRbjT5_S1B_jjP12ihipStream_tbEUljE_ZNSN_ISO_Lb0ESQ_SR_SQ_SR_SV_EESW_SX_SY_SZ_S13_S14_S15_S18_S19_jS1A_jS1B_S1B_jjS1D_bEUljE0_EEESW_SX_SY_S15_S19_S1B_T6_T7_T9_mT8_S1D_bDpT10_ENKUlT_T0_E_clISt17integral_constantIbLb1EES1R_EEDaS1M_S1N_EUlS1M_E_NS1_11comp_targetILNS1_3genE8ELNS1_11target_archE1030ELNS1_3gpuE2ELNS1_3repE0EEENS1_30default_config_static_selectorELNS0_4arch9wavefront6targetE0EEEvSZ_,"axG",@progbits,_ZN7rocprim17ROCPRIM_400000_NS6detail17trampoline_kernelINS0_13select_configILj256ELj13ELNS0_17block_load_methodE3ELS4_3ELS4_3ELNS0_20block_scan_algorithmE0ELj4294967295EEENS1_25partition_config_selectorILNS1_17partition_subalgoE4EjNS0_10empty_typeEbEEZZNS1_14partition_implILS8_4ELb0ES6_15HIP_vector_typeIjLj2EENS0_17counting_iteratorIjlEEPS9_SG_NS0_5tupleIJPjSI_NS0_16reverse_iteratorISI_EEEEENSH_IJSG_SG_SG_EEES9_SI_JZNS1_25segmented_radix_sort_implINS0_14default_configELb0EPKlPlSQ_SR_N2at6native12_GLOBAL__N_18offset_tEEE10hipError_tPvRmT1_PNSt15iterator_traitsISZ_E10value_typeET2_T3_PNS10_IS15_E10value_typeET4_jRbjT5_S1B_jjP12ihipStream_tbEUljE_ZNSN_ISO_Lb0ESQ_SR_SQ_SR_SV_EESW_SX_SY_SZ_S13_S14_S15_S18_S19_jS1A_jS1B_S1B_jjS1D_bEUljE0_EEESW_SX_SY_S15_S19_S1B_T6_T7_T9_mT8_S1D_bDpT10_ENKUlT_T0_E_clISt17integral_constantIbLb1EES1R_EEDaS1M_S1N_EUlS1M_E_NS1_11comp_targetILNS1_3genE8ELNS1_11target_archE1030ELNS1_3gpuE2ELNS1_3repE0EEENS1_30default_config_static_selectorELNS0_4arch9wavefront6targetE0EEEvSZ_,comdat
.Lfunc_end758:
	.size	_ZN7rocprim17ROCPRIM_400000_NS6detail17trampoline_kernelINS0_13select_configILj256ELj13ELNS0_17block_load_methodE3ELS4_3ELS4_3ELNS0_20block_scan_algorithmE0ELj4294967295EEENS1_25partition_config_selectorILNS1_17partition_subalgoE4EjNS0_10empty_typeEbEEZZNS1_14partition_implILS8_4ELb0ES6_15HIP_vector_typeIjLj2EENS0_17counting_iteratorIjlEEPS9_SG_NS0_5tupleIJPjSI_NS0_16reverse_iteratorISI_EEEEENSH_IJSG_SG_SG_EEES9_SI_JZNS1_25segmented_radix_sort_implINS0_14default_configELb0EPKlPlSQ_SR_N2at6native12_GLOBAL__N_18offset_tEEE10hipError_tPvRmT1_PNSt15iterator_traitsISZ_E10value_typeET2_T3_PNS10_IS15_E10value_typeET4_jRbjT5_S1B_jjP12ihipStream_tbEUljE_ZNSN_ISO_Lb0ESQ_SR_SQ_SR_SV_EESW_SX_SY_SZ_S13_S14_S15_S18_S19_jS1A_jS1B_S1B_jjS1D_bEUljE0_EEESW_SX_SY_S15_S19_S1B_T6_T7_T9_mT8_S1D_bDpT10_ENKUlT_T0_E_clISt17integral_constantIbLb1EES1R_EEDaS1M_S1N_EUlS1M_E_NS1_11comp_targetILNS1_3genE8ELNS1_11target_archE1030ELNS1_3gpuE2ELNS1_3repE0EEENS1_30default_config_static_selectorELNS0_4arch9wavefront6targetE0EEEvSZ_, .Lfunc_end758-_ZN7rocprim17ROCPRIM_400000_NS6detail17trampoline_kernelINS0_13select_configILj256ELj13ELNS0_17block_load_methodE3ELS4_3ELS4_3ELNS0_20block_scan_algorithmE0ELj4294967295EEENS1_25partition_config_selectorILNS1_17partition_subalgoE4EjNS0_10empty_typeEbEEZZNS1_14partition_implILS8_4ELb0ES6_15HIP_vector_typeIjLj2EENS0_17counting_iteratorIjlEEPS9_SG_NS0_5tupleIJPjSI_NS0_16reverse_iteratorISI_EEEEENSH_IJSG_SG_SG_EEES9_SI_JZNS1_25segmented_radix_sort_implINS0_14default_configELb0EPKlPlSQ_SR_N2at6native12_GLOBAL__N_18offset_tEEE10hipError_tPvRmT1_PNSt15iterator_traitsISZ_E10value_typeET2_T3_PNS10_IS15_E10value_typeET4_jRbjT5_S1B_jjP12ihipStream_tbEUljE_ZNSN_ISO_Lb0ESQ_SR_SQ_SR_SV_EESW_SX_SY_SZ_S13_S14_S15_S18_S19_jS1A_jS1B_S1B_jjS1D_bEUljE0_EEESW_SX_SY_S15_S19_S1B_T6_T7_T9_mT8_S1D_bDpT10_ENKUlT_T0_E_clISt17integral_constantIbLb1EES1R_EEDaS1M_S1N_EUlS1M_E_NS1_11comp_targetILNS1_3genE8ELNS1_11target_archE1030ELNS1_3gpuE2ELNS1_3repE0EEENS1_30default_config_static_selectorELNS0_4arch9wavefront6targetE0EEEvSZ_
                                        ; -- End function
	.section	.AMDGPU.csdata,"",@progbits
; Kernel info:
; codeLenInByte = 0
; NumSgprs: 0
; NumVgprs: 0
; ScratchSize: 0
; MemoryBound: 0
; FloatMode: 240
; IeeeMode: 1
; LDSByteSize: 0 bytes/workgroup (compile time only)
; SGPRBlocks: 0
; VGPRBlocks: 0
; NumSGPRsForWavesPerEU: 1
; NumVGPRsForWavesPerEU: 1
; Occupancy: 16
; WaveLimiterHint : 0
; COMPUTE_PGM_RSRC2:SCRATCH_EN: 0
; COMPUTE_PGM_RSRC2:USER_SGPR: 15
; COMPUTE_PGM_RSRC2:TRAP_HANDLER: 0
; COMPUTE_PGM_RSRC2:TGID_X_EN: 1
; COMPUTE_PGM_RSRC2:TGID_Y_EN: 0
; COMPUTE_PGM_RSRC2:TGID_Z_EN: 0
; COMPUTE_PGM_RSRC2:TIDIG_COMP_CNT: 0
	.section	.text._ZN7rocprim17ROCPRIM_400000_NS6detail17trampoline_kernelINS0_13select_configILj256ELj13ELNS0_17block_load_methodE3ELS4_3ELS4_3ELNS0_20block_scan_algorithmE0ELj4294967295EEENS1_25partition_config_selectorILNS1_17partition_subalgoE4EjNS0_10empty_typeEbEEZZNS1_14partition_implILS8_4ELb0ES6_15HIP_vector_typeIjLj2EENS0_17counting_iteratorIjlEEPS9_SG_NS0_5tupleIJPjSI_NS0_16reverse_iteratorISI_EEEEENSH_IJSG_SG_SG_EEES9_SI_JZNS1_25segmented_radix_sort_implINS0_14default_configELb0EPKlPlSQ_SR_N2at6native12_GLOBAL__N_18offset_tEEE10hipError_tPvRmT1_PNSt15iterator_traitsISZ_E10value_typeET2_T3_PNS10_IS15_E10value_typeET4_jRbjT5_S1B_jjP12ihipStream_tbEUljE_ZNSN_ISO_Lb0ESQ_SR_SQ_SR_SV_EESW_SX_SY_SZ_S13_S14_S15_S18_S19_jS1A_jS1B_S1B_jjS1D_bEUljE0_EEESW_SX_SY_S15_S19_S1B_T6_T7_T9_mT8_S1D_bDpT10_ENKUlT_T0_E_clISt17integral_constantIbLb1EES1Q_IbLb0EEEEDaS1M_S1N_EUlS1M_E_NS1_11comp_targetILNS1_3genE0ELNS1_11target_archE4294967295ELNS1_3gpuE0ELNS1_3repE0EEENS1_30default_config_static_selectorELNS0_4arch9wavefront6targetE0EEEvSZ_,"axG",@progbits,_ZN7rocprim17ROCPRIM_400000_NS6detail17trampoline_kernelINS0_13select_configILj256ELj13ELNS0_17block_load_methodE3ELS4_3ELS4_3ELNS0_20block_scan_algorithmE0ELj4294967295EEENS1_25partition_config_selectorILNS1_17partition_subalgoE4EjNS0_10empty_typeEbEEZZNS1_14partition_implILS8_4ELb0ES6_15HIP_vector_typeIjLj2EENS0_17counting_iteratorIjlEEPS9_SG_NS0_5tupleIJPjSI_NS0_16reverse_iteratorISI_EEEEENSH_IJSG_SG_SG_EEES9_SI_JZNS1_25segmented_radix_sort_implINS0_14default_configELb0EPKlPlSQ_SR_N2at6native12_GLOBAL__N_18offset_tEEE10hipError_tPvRmT1_PNSt15iterator_traitsISZ_E10value_typeET2_T3_PNS10_IS15_E10value_typeET4_jRbjT5_S1B_jjP12ihipStream_tbEUljE_ZNSN_ISO_Lb0ESQ_SR_SQ_SR_SV_EESW_SX_SY_SZ_S13_S14_S15_S18_S19_jS1A_jS1B_S1B_jjS1D_bEUljE0_EEESW_SX_SY_S15_S19_S1B_T6_T7_T9_mT8_S1D_bDpT10_ENKUlT_T0_E_clISt17integral_constantIbLb1EES1Q_IbLb0EEEEDaS1M_S1N_EUlS1M_E_NS1_11comp_targetILNS1_3genE0ELNS1_11target_archE4294967295ELNS1_3gpuE0ELNS1_3repE0EEENS1_30default_config_static_selectorELNS0_4arch9wavefront6targetE0EEEvSZ_,comdat
	.globl	_ZN7rocprim17ROCPRIM_400000_NS6detail17trampoline_kernelINS0_13select_configILj256ELj13ELNS0_17block_load_methodE3ELS4_3ELS4_3ELNS0_20block_scan_algorithmE0ELj4294967295EEENS1_25partition_config_selectorILNS1_17partition_subalgoE4EjNS0_10empty_typeEbEEZZNS1_14partition_implILS8_4ELb0ES6_15HIP_vector_typeIjLj2EENS0_17counting_iteratorIjlEEPS9_SG_NS0_5tupleIJPjSI_NS0_16reverse_iteratorISI_EEEEENSH_IJSG_SG_SG_EEES9_SI_JZNS1_25segmented_radix_sort_implINS0_14default_configELb0EPKlPlSQ_SR_N2at6native12_GLOBAL__N_18offset_tEEE10hipError_tPvRmT1_PNSt15iterator_traitsISZ_E10value_typeET2_T3_PNS10_IS15_E10value_typeET4_jRbjT5_S1B_jjP12ihipStream_tbEUljE_ZNSN_ISO_Lb0ESQ_SR_SQ_SR_SV_EESW_SX_SY_SZ_S13_S14_S15_S18_S19_jS1A_jS1B_S1B_jjS1D_bEUljE0_EEESW_SX_SY_S15_S19_S1B_T6_T7_T9_mT8_S1D_bDpT10_ENKUlT_T0_E_clISt17integral_constantIbLb1EES1Q_IbLb0EEEEDaS1M_S1N_EUlS1M_E_NS1_11comp_targetILNS1_3genE0ELNS1_11target_archE4294967295ELNS1_3gpuE0ELNS1_3repE0EEENS1_30default_config_static_selectorELNS0_4arch9wavefront6targetE0EEEvSZ_ ; -- Begin function _ZN7rocprim17ROCPRIM_400000_NS6detail17trampoline_kernelINS0_13select_configILj256ELj13ELNS0_17block_load_methodE3ELS4_3ELS4_3ELNS0_20block_scan_algorithmE0ELj4294967295EEENS1_25partition_config_selectorILNS1_17partition_subalgoE4EjNS0_10empty_typeEbEEZZNS1_14partition_implILS8_4ELb0ES6_15HIP_vector_typeIjLj2EENS0_17counting_iteratorIjlEEPS9_SG_NS0_5tupleIJPjSI_NS0_16reverse_iteratorISI_EEEEENSH_IJSG_SG_SG_EEES9_SI_JZNS1_25segmented_radix_sort_implINS0_14default_configELb0EPKlPlSQ_SR_N2at6native12_GLOBAL__N_18offset_tEEE10hipError_tPvRmT1_PNSt15iterator_traitsISZ_E10value_typeET2_T3_PNS10_IS15_E10value_typeET4_jRbjT5_S1B_jjP12ihipStream_tbEUljE_ZNSN_ISO_Lb0ESQ_SR_SQ_SR_SV_EESW_SX_SY_SZ_S13_S14_S15_S18_S19_jS1A_jS1B_S1B_jjS1D_bEUljE0_EEESW_SX_SY_S15_S19_S1B_T6_T7_T9_mT8_S1D_bDpT10_ENKUlT_T0_E_clISt17integral_constantIbLb1EES1Q_IbLb0EEEEDaS1M_S1N_EUlS1M_E_NS1_11comp_targetILNS1_3genE0ELNS1_11target_archE4294967295ELNS1_3gpuE0ELNS1_3repE0EEENS1_30default_config_static_selectorELNS0_4arch9wavefront6targetE0EEEvSZ_
	.p2align	8
	.type	_ZN7rocprim17ROCPRIM_400000_NS6detail17trampoline_kernelINS0_13select_configILj256ELj13ELNS0_17block_load_methodE3ELS4_3ELS4_3ELNS0_20block_scan_algorithmE0ELj4294967295EEENS1_25partition_config_selectorILNS1_17partition_subalgoE4EjNS0_10empty_typeEbEEZZNS1_14partition_implILS8_4ELb0ES6_15HIP_vector_typeIjLj2EENS0_17counting_iteratorIjlEEPS9_SG_NS0_5tupleIJPjSI_NS0_16reverse_iteratorISI_EEEEENSH_IJSG_SG_SG_EEES9_SI_JZNS1_25segmented_radix_sort_implINS0_14default_configELb0EPKlPlSQ_SR_N2at6native12_GLOBAL__N_18offset_tEEE10hipError_tPvRmT1_PNSt15iterator_traitsISZ_E10value_typeET2_T3_PNS10_IS15_E10value_typeET4_jRbjT5_S1B_jjP12ihipStream_tbEUljE_ZNSN_ISO_Lb0ESQ_SR_SQ_SR_SV_EESW_SX_SY_SZ_S13_S14_S15_S18_S19_jS1A_jS1B_S1B_jjS1D_bEUljE0_EEESW_SX_SY_S15_S19_S1B_T6_T7_T9_mT8_S1D_bDpT10_ENKUlT_T0_E_clISt17integral_constantIbLb1EES1Q_IbLb0EEEEDaS1M_S1N_EUlS1M_E_NS1_11comp_targetILNS1_3genE0ELNS1_11target_archE4294967295ELNS1_3gpuE0ELNS1_3repE0EEENS1_30default_config_static_selectorELNS0_4arch9wavefront6targetE0EEEvSZ_,@function
_ZN7rocprim17ROCPRIM_400000_NS6detail17trampoline_kernelINS0_13select_configILj256ELj13ELNS0_17block_load_methodE3ELS4_3ELS4_3ELNS0_20block_scan_algorithmE0ELj4294967295EEENS1_25partition_config_selectorILNS1_17partition_subalgoE4EjNS0_10empty_typeEbEEZZNS1_14partition_implILS8_4ELb0ES6_15HIP_vector_typeIjLj2EENS0_17counting_iteratorIjlEEPS9_SG_NS0_5tupleIJPjSI_NS0_16reverse_iteratorISI_EEEEENSH_IJSG_SG_SG_EEES9_SI_JZNS1_25segmented_radix_sort_implINS0_14default_configELb0EPKlPlSQ_SR_N2at6native12_GLOBAL__N_18offset_tEEE10hipError_tPvRmT1_PNSt15iterator_traitsISZ_E10value_typeET2_T3_PNS10_IS15_E10value_typeET4_jRbjT5_S1B_jjP12ihipStream_tbEUljE_ZNSN_ISO_Lb0ESQ_SR_SQ_SR_SV_EESW_SX_SY_SZ_S13_S14_S15_S18_S19_jS1A_jS1B_S1B_jjS1D_bEUljE0_EEESW_SX_SY_S15_S19_S1B_T6_T7_T9_mT8_S1D_bDpT10_ENKUlT_T0_E_clISt17integral_constantIbLb1EES1Q_IbLb0EEEEDaS1M_S1N_EUlS1M_E_NS1_11comp_targetILNS1_3genE0ELNS1_11target_archE4294967295ELNS1_3gpuE0ELNS1_3repE0EEENS1_30default_config_static_selectorELNS0_4arch9wavefront6targetE0EEEvSZ_: ; @_ZN7rocprim17ROCPRIM_400000_NS6detail17trampoline_kernelINS0_13select_configILj256ELj13ELNS0_17block_load_methodE3ELS4_3ELS4_3ELNS0_20block_scan_algorithmE0ELj4294967295EEENS1_25partition_config_selectorILNS1_17partition_subalgoE4EjNS0_10empty_typeEbEEZZNS1_14partition_implILS8_4ELb0ES6_15HIP_vector_typeIjLj2EENS0_17counting_iteratorIjlEEPS9_SG_NS0_5tupleIJPjSI_NS0_16reverse_iteratorISI_EEEEENSH_IJSG_SG_SG_EEES9_SI_JZNS1_25segmented_radix_sort_implINS0_14default_configELb0EPKlPlSQ_SR_N2at6native12_GLOBAL__N_18offset_tEEE10hipError_tPvRmT1_PNSt15iterator_traitsISZ_E10value_typeET2_T3_PNS10_IS15_E10value_typeET4_jRbjT5_S1B_jjP12ihipStream_tbEUljE_ZNSN_ISO_Lb0ESQ_SR_SQ_SR_SV_EESW_SX_SY_SZ_S13_S14_S15_S18_S19_jS1A_jS1B_S1B_jjS1D_bEUljE0_EEESW_SX_SY_S15_S19_S1B_T6_T7_T9_mT8_S1D_bDpT10_ENKUlT_T0_E_clISt17integral_constantIbLb1EES1Q_IbLb0EEEEDaS1M_S1N_EUlS1M_E_NS1_11comp_targetILNS1_3genE0ELNS1_11target_archE4294967295ELNS1_3gpuE0ELNS1_3repE0EEENS1_30default_config_static_selectorELNS0_4arch9wavefront6targetE0EEEvSZ_
; %bb.0:
	.section	.rodata,"a",@progbits
	.p2align	6, 0x0
	.amdhsa_kernel _ZN7rocprim17ROCPRIM_400000_NS6detail17trampoline_kernelINS0_13select_configILj256ELj13ELNS0_17block_load_methodE3ELS4_3ELS4_3ELNS0_20block_scan_algorithmE0ELj4294967295EEENS1_25partition_config_selectorILNS1_17partition_subalgoE4EjNS0_10empty_typeEbEEZZNS1_14partition_implILS8_4ELb0ES6_15HIP_vector_typeIjLj2EENS0_17counting_iteratorIjlEEPS9_SG_NS0_5tupleIJPjSI_NS0_16reverse_iteratorISI_EEEEENSH_IJSG_SG_SG_EEES9_SI_JZNS1_25segmented_radix_sort_implINS0_14default_configELb0EPKlPlSQ_SR_N2at6native12_GLOBAL__N_18offset_tEEE10hipError_tPvRmT1_PNSt15iterator_traitsISZ_E10value_typeET2_T3_PNS10_IS15_E10value_typeET4_jRbjT5_S1B_jjP12ihipStream_tbEUljE_ZNSN_ISO_Lb0ESQ_SR_SQ_SR_SV_EESW_SX_SY_SZ_S13_S14_S15_S18_S19_jS1A_jS1B_S1B_jjS1D_bEUljE0_EEESW_SX_SY_S15_S19_S1B_T6_T7_T9_mT8_S1D_bDpT10_ENKUlT_T0_E_clISt17integral_constantIbLb1EES1Q_IbLb0EEEEDaS1M_S1N_EUlS1M_E_NS1_11comp_targetILNS1_3genE0ELNS1_11target_archE4294967295ELNS1_3gpuE0ELNS1_3repE0EEENS1_30default_config_static_selectorELNS0_4arch9wavefront6targetE0EEEvSZ_
		.amdhsa_group_segment_fixed_size 0
		.amdhsa_private_segment_fixed_size 0
		.amdhsa_kernarg_size 176
		.amdhsa_user_sgpr_count 15
		.amdhsa_user_sgpr_dispatch_ptr 0
		.amdhsa_user_sgpr_queue_ptr 0
		.amdhsa_user_sgpr_kernarg_segment_ptr 1
		.amdhsa_user_sgpr_dispatch_id 0
		.amdhsa_user_sgpr_private_segment_size 0
		.amdhsa_wavefront_size32 1
		.amdhsa_uses_dynamic_stack 0
		.amdhsa_enable_private_segment 0
		.amdhsa_system_sgpr_workgroup_id_x 1
		.amdhsa_system_sgpr_workgroup_id_y 0
		.amdhsa_system_sgpr_workgroup_id_z 0
		.amdhsa_system_sgpr_workgroup_info 0
		.amdhsa_system_vgpr_workitem_id 0
		.amdhsa_next_free_vgpr 1
		.amdhsa_next_free_sgpr 1
		.amdhsa_reserve_vcc 0
		.amdhsa_float_round_mode_32 0
		.amdhsa_float_round_mode_16_64 0
		.amdhsa_float_denorm_mode_32 3
		.amdhsa_float_denorm_mode_16_64 3
		.amdhsa_dx10_clamp 1
		.amdhsa_ieee_mode 1
		.amdhsa_fp16_overflow 0
		.amdhsa_workgroup_processor_mode 1
		.amdhsa_memory_ordered 1
		.amdhsa_forward_progress 0
		.amdhsa_shared_vgpr_count 0
		.amdhsa_exception_fp_ieee_invalid_op 0
		.amdhsa_exception_fp_denorm_src 0
		.amdhsa_exception_fp_ieee_div_zero 0
		.amdhsa_exception_fp_ieee_overflow 0
		.amdhsa_exception_fp_ieee_underflow 0
		.amdhsa_exception_fp_ieee_inexact 0
		.amdhsa_exception_int_div_zero 0
	.end_amdhsa_kernel
	.section	.text._ZN7rocprim17ROCPRIM_400000_NS6detail17trampoline_kernelINS0_13select_configILj256ELj13ELNS0_17block_load_methodE3ELS4_3ELS4_3ELNS0_20block_scan_algorithmE0ELj4294967295EEENS1_25partition_config_selectorILNS1_17partition_subalgoE4EjNS0_10empty_typeEbEEZZNS1_14partition_implILS8_4ELb0ES6_15HIP_vector_typeIjLj2EENS0_17counting_iteratorIjlEEPS9_SG_NS0_5tupleIJPjSI_NS0_16reverse_iteratorISI_EEEEENSH_IJSG_SG_SG_EEES9_SI_JZNS1_25segmented_radix_sort_implINS0_14default_configELb0EPKlPlSQ_SR_N2at6native12_GLOBAL__N_18offset_tEEE10hipError_tPvRmT1_PNSt15iterator_traitsISZ_E10value_typeET2_T3_PNS10_IS15_E10value_typeET4_jRbjT5_S1B_jjP12ihipStream_tbEUljE_ZNSN_ISO_Lb0ESQ_SR_SQ_SR_SV_EESW_SX_SY_SZ_S13_S14_S15_S18_S19_jS1A_jS1B_S1B_jjS1D_bEUljE0_EEESW_SX_SY_S15_S19_S1B_T6_T7_T9_mT8_S1D_bDpT10_ENKUlT_T0_E_clISt17integral_constantIbLb1EES1Q_IbLb0EEEEDaS1M_S1N_EUlS1M_E_NS1_11comp_targetILNS1_3genE0ELNS1_11target_archE4294967295ELNS1_3gpuE0ELNS1_3repE0EEENS1_30default_config_static_selectorELNS0_4arch9wavefront6targetE0EEEvSZ_,"axG",@progbits,_ZN7rocprim17ROCPRIM_400000_NS6detail17trampoline_kernelINS0_13select_configILj256ELj13ELNS0_17block_load_methodE3ELS4_3ELS4_3ELNS0_20block_scan_algorithmE0ELj4294967295EEENS1_25partition_config_selectorILNS1_17partition_subalgoE4EjNS0_10empty_typeEbEEZZNS1_14partition_implILS8_4ELb0ES6_15HIP_vector_typeIjLj2EENS0_17counting_iteratorIjlEEPS9_SG_NS0_5tupleIJPjSI_NS0_16reverse_iteratorISI_EEEEENSH_IJSG_SG_SG_EEES9_SI_JZNS1_25segmented_radix_sort_implINS0_14default_configELb0EPKlPlSQ_SR_N2at6native12_GLOBAL__N_18offset_tEEE10hipError_tPvRmT1_PNSt15iterator_traitsISZ_E10value_typeET2_T3_PNS10_IS15_E10value_typeET4_jRbjT5_S1B_jjP12ihipStream_tbEUljE_ZNSN_ISO_Lb0ESQ_SR_SQ_SR_SV_EESW_SX_SY_SZ_S13_S14_S15_S18_S19_jS1A_jS1B_S1B_jjS1D_bEUljE0_EEESW_SX_SY_S15_S19_S1B_T6_T7_T9_mT8_S1D_bDpT10_ENKUlT_T0_E_clISt17integral_constantIbLb1EES1Q_IbLb0EEEEDaS1M_S1N_EUlS1M_E_NS1_11comp_targetILNS1_3genE0ELNS1_11target_archE4294967295ELNS1_3gpuE0ELNS1_3repE0EEENS1_30default_config_static_selectorELNS0_4arch9wavefront6targetE0EEEvSZ_,comdat
.Lfunc_end759:
	.size	_ZN7rocprim17ROCPRIM_400000_NS6detail17trampoline_kernelINS0_13select_configILj256ELj13ELNS0_17block_load_methodE3ELS4_3ELS4_3ELNS0_20block_scan_algorithmE0ELj4294967295EEENS1_25partition_config_selectorILNS1_17partition_subalgoE4EjNS0_10empty_typeEbEEZZNS1_14partition_implILS8_4ELb0ES6_15HIP_vector_typeIjLj2EENS0_17counting_iteratorIjlEEPS9_SG_NS0_5tupleIJPjSI_NS0_16reverse_iteratorISI_EEEEENSH_IJSG_SG_SG_EEES9_SI_JZNS1_25segmented_radix_sort_implINS0_14default_configELb0EPKlPlSQ_SR_N2at6native12_GLOBAL__N_18offset_tEEE10hipError_tPvRmT1_PNSt15iterator_traitsISZ_E10value_typeET2_T3_PNS10_IS15_E10value_typeET4_jRbjT5_S1B_jjP12ihipStream_tbEUljE_ZNSN_ISO_Lb0ESQ_SR_SQ_SR_SV_EESW_SX_SY_SZ_S13_S14_S15_S18_S19_jS1A_jS1B_S1B_jjS1D_bEUljE0_EEESW_SX_SY_S15_S19_S1B_T6_T7_T9_mT8_S1D_bDpT10_ENKUlT_T0_E_clISt17integral_constantIbLb1EES1Q_IbLb0EEEEDaS1M_S1N_EUlS1M_E_NS1_11comp_targetILNS1_3genE0ELNS1_11target_archE4294967295ELNS1_3gpuE0ELNS1_3repE0EEENS1_30default_config_static_selectorELNS0_4arch9wavefront6targetE0EEEvSZ_, .Lfunc_end759-_ZN7rocprim17ROCPRIM_400000_NS6detail17trampoline_kernelINS0_13select_configILj256ELj13ELNS0_17block_load_methodE3ELS4_3ELS4_3ELNS0_20block_scan_algorithmE0ELj4294967295EEENS1_25partition_config_selectorILNS1_17partition_subalgoE4EjNS0_10empty_typeEbEEZZNS1_14partition_implILS8_4ELb0ES6_15HIP_vector_typeIjLj2EENS0_17counting_iteratorIjlEEPS9_SG_NS0_5tupleIJPjSI_NS0_16reverse_iteratorISI_EEEEENSH_IJSG_SG_SG_EEES9_SI_JZNS1_25segmented_radix_sort_implINS0_14default_configELb0EPKlPlSQ_SR_N2at6native12_GLOBAL__N_18offset_tEEE10hipError_tPvRmT1_PNSt15iterator_traitsISZ_E10value_typeET2_T3_PNS10_IS15_E10value_typeET4_jRbjT5_S1B_jjP12ihipStream_tbEUljE_ZNSN_ISO_Lb0ESQ_SR_SQ_SR_SV_EESW_SX_SY_SZ_S13_S14_S15_S18_S19_jS1A_jS1B_S1B_jjS1D_bEUljE0_EEESW_SX_SY_S15_S19_S1B_T6_T7_T9_mT8_S1D_bDpT10_ENKUlT_T0_E_clISt17integral_constantIbLb1EES1Q_IbLb0EEEEDaS1M_S1N_EUlS1M_E_NS1_11comp_targetILNS1_3genE0ELNS1_11target_archE4294967295ELNS1_3gpuE0ELNS1_3repE0EEENS1_30default_config_static_selectorELNS0_4arch9wavefront6targetE0EEEvSZ_
                                        ; -- End function
	.section	.AMDGPU.csdata,"",@progbits
; Kernel info:
; codeLenInByte = 0
; NumSgprs: 0
; NumVgprs: 0
; ScratchSize: 0
; MemoryBound: 0
; FloatMode: 240
; IeeeMode: 1
; LDSByteSize: 0 bytes/workgroup (compile time only)
; SGPRBlocks: 0
; VGPRBlocks: 0
; NumSGPRsForWavesPerEU: 1
; NumVGPRsForWavesPerEU: 1
; Occupancy: 16
; WaveLimiterHint : 0
; COMPUTE_PGM_RSRC2:SCRATCH_EN: 0
; COMPUTE_PGM_RSRC2:USER_SGPR: 15
; COMPUTE_PGM_RSRC2:TRAP_HANDLER: 0
; COMPUTE_PGM_RSRC2:TGID_X_EN: 1
; COMPUTE_PGM_RSRC2:TGID_Y_EN: 0
; COMPUTE_PGM_RSRC2:TGID_Z_EN: 0
; COMPUTE_PGM_RSRC2:TIDIG_COMP_CNT: 0
	.section	.text._ZN7rocprim17ROCPRIM_400000_NS6detail17trampoline_kernelINS0_13select_configILj256ELj13ELNS0_17block_load_methodE3ELS4_3ELS4_3ELNS0_20block_scan_algorithmE0ELj4294967295EEENS1_25partition_config_selectorILNS1_17partition_subalgoE4EjNS0_10empty_typeEbEEZZNS1_14partition_implILS8_4ELb0ES6_15HIP_vector_typeIjLj2EENS0_17counting_iteratorIjlEEPS9_SG_NS0_5tupleIJPjSI_NS0_16reverse_iteratorISI_EEEEENSH_IJSG_SG_SG_EEES9_SI_JZNS1_25segmented_radix_sort_implINS0_14default_configELb0EPKlPlSQ_SR_N2at6native12_GLOBAL__N_18offset_tEEE10hipError_tPvRmT1_PNSt15iterator_traitsISZ_E10value_typeET2_T3_PNS10_IS15_E10value_typeET4_jRbjT5_S1B_jjP12ihipStream_tbEUljE_ZNSN_ISO_Lb0ESQ_SR_SQ_SR_SV_EESW_SX_SY_SZ_S13_S14_S15_S18_S19_jS1A_jS1B_S1B_jjS1D_bEUljE0_EEESW_SX_SY_S15_S19_S1B_T6_T7_T9_mT8_S1D_bDpT10_ENKUlT_T0_E_clISt17integral_constantIbLb1EES1Q_IbLb0EEEEDaS1M_S1N_EUlS1M_E_NS1_11comp_targetILNS1_3genE5ELNS1_11target_archE942ELNS1_3gpuE9ELNS1_3repE0EEENS1_30default_config_static_selectorELNS0_4arch9wavefront6targetE0EEEvSZ_,"axG",@progbits,_ZN7rocprim17ROCPRIM_400000_NS6detail17trampoline_kernelINS0_13select_configILj256ELj13ELNS0_17block_load_methodE3ELS4_3ELS4_3ELNS0_20block_scan_algorithmE0ELj4294967295EEENS1_25partition_config_selectorILNS1_17partition_subalgoE4EjNS0_10empty_typeEbEEZZNS1_14partition_implILS8_4ELb0ES6_15HIP_vector_typeIjLj2EENS0_17counting_iteratorIjlEEPS9_SG_NS0_5tupleIJPjSI_NS0_16reverse_iteratorISI_EEEEENSH_IJSG_SG_SG_EEES9_SI_JZNS1_25segmented_radix_sort_implINS0_14default_configELb0EPKlPlSQ_SR_N2at6native12_GLOBAL__N_18offset_tEEE10hipError_tPvRmT1_PNSt15iterator_traitsISZ_E10value_typeET2_T3_PNS10_IS15_E10value_typeET4_jRbjT5_S1B_jjP12ihipStream_tbEUljE_ZNSN_ISO_Lb0ESQ_SR_SQ_SR_SV_EESW_SX_SY_SZ_S13_S14_S15_S18_S19_jS1A_jS1B_S1B_jjS1D_bEUljE0_EEESW_SX_SY_S15_S19_S1B_T6_T7_T9_mT8_S1D_bDpT10_ENKUlT_T0_E_clISt17integral_constantIbLb1EES1Q_IbLb0EEEEDaS1M_S1N_EUlS1M_E_NS1_11comp_targetILNS1_3genE5ELNS1_11target_archE942ELNS1_3gpuE9ELNS1_3repE0EEENS1_30default_config_static_selectorELNS0_4arch9wavefront6targetE0EEEvSZ_,comdat
	.globl	_ZN7rocprim17ROCPRIM_400000_NS6detail17trampoline_kernelINS0_13select_configILj256ELj13ELNS0_17block_load_methodE3ELS4_3ELS4_3ELNS0_20block_scan_algorithmE0ELj4294967295EEENS1_25partition_config_selectorILNS1_17partition_subalgoE4EjNS0_10empty_typeEbEEZZNS1_14partition_implILS8_4ELb0ES6_15HIP_vector_typeIjLj2EENS0_17counting_iteratorIjlEEPS9_SG_NS0_5tupleIJPjSI_NS0_16reverse_iteratorISI_EEEEENSH_IJSG_SG_SG_EEES9_SI_JZNS1_25segmented_radix_sort_implINS0_14default_configELb0EPKlPlSQ_SR_N2at6native12_GLOBAL__N_18offset_tEEE10hipError_tPvRmT1_PNSt15iterator_traitsISZ_E10value_typeET2_T3_PNS10_IS15_E10value_typeET4_jRbjT5_S1B_jjP12ihipStream_tbEUljE_ZNSN_ISO_Lb0ESQ_SR_SQ_SR_SV_EESW_SX_SY_SZ_S13_S14_S15_S18_S19_jS1A_jS1B_S1B_jjS1D_bEUljE0_EEESW_SX_SY_S15_S19_S1B_T6_T7_T9_mT8_S1D_bDpT10_ENKUlT_T0_E_clISt17integral_constantIbLb1EES1Q_IbLb0EEEEDaS1M_S1N_EUlS1M_E_NS1_11comp_targetILNS1_3genE5ELNS1_11target_archE942ELNS1_3gpuE9ELNS1_3repE0EEENS1_30default_config_static_selectorELNS0_4arch9wavefront6targetE0EEEvSZ_ ; -- Begin function _ZN7rocprim17ROCPRIM_400000_NS6detail17trampoline_kernelINS0_13select_configILj256ELj13ELNS0_17block_load_methodE3ELS4_3ELS4_3ELNS0_20block_scan_algorithmE0ELj4294967295EEENS1_25partition_config_selectorILNS1_17partition_subalgoE4EjNS0_10empty_typeEbEEZZNS1_14partition_implILS8_4ELb0ES6_15HIP_vector_typeIjLj2EENS0_17counting_iteratorIjlEEPS9_SG_NS0_5tupleIJPjSI_NS0_16reverse_iteratorISI_EEEEENSH_IJSG_SG_SG_EEES9_SI_JZNS1_25segmented_radix_sort_implINS0_14default_configELb0EPKlPlSQ_SR_N2at6native12_GLOBAL__N_18offset_tEEE10hipError_tPvRmT1_PNSt15iterator_traitsISZ_E10value_typeET2_T3_PNS10_IS15_E10value_typeET4_jRbjT5_S1B_jjP12ihipStream_tbEUljE_ZNSN_ISO_Lb0ESQ_SR_SQ_SR_SV_EESW_SX_SY_SZ_S13_S14_S15_S18_S19_jS1A_jS1B_S1B_jjS1D_bEUljE0_EEESW_SX_SY_S15_S19_S1B_T6_T7_T9_mT8_S1D_bDpT10_ENKUlT_T0_E_clISt17integral_constantIbLb1EES1Q_IbLb0EEEEDaS1M_S1N_EUlS1M_E_NS1_11comp_targetILNS1_3genE5ELNS1_11target_archE942ELNS1_3gpuE9ELNS1_3repE0EEENS1_30default_config_static_selectorELNS0_4arch9wavefront6targetE0EEEvSZ_
	.p2align	8
	.type	_ZN7rocprim17ROCPRIM_400000_NS6detail17trampoline_kernelINS0_13select_configILj256ELj13ELNS0_17block_load_methodE3ELS4_3ELS4_3ELNS0_20block_scan_algorithmE0ELj4294967295EEENS1_25partition_config_selectorILNS1_17partition_subalgoE4EjNS0_10empty_typeEbEEZZNS1_14partition_implILS8_4ELb0ES6_15HIP_vector_typeIjLj2EENS0_17counting_iteratorIjlEEPS9_SG_NS0_5tupleIJPjSI_NS0_16reverse_iteratorISI_EEEEENSH_IJSG_SG_SG_EEES9_SI_JZNS1_25segmented_radix_sort_implINS0_14default_configELb0EPKlPlSQ_SR_N2at6native12_GLOBAL__N_18offset_tEEE10hipError_tPvRmT1_PNSt15iterator_traitsISZ_E10value_typeET2_T3_PNS10_IS15_E10value_typeET4_jRbjT5_S1B_jjP12ihipStream_tbEUljE_ZNSN_ISO_Lb0ESQ_SR_SQ_SR_SV_EESW_SX_SY_SZ_S13_S14_S15_S18_S19_jS1A_jS1B_S1B_jjS1D_bEUljE0_EEESW_SX_SY_S15_S19_S1B_T6_T7_T9_mT8_S1D_bDpT10_ENKUlT_T0_E_clISt17integral_constantIbLb1EES1Q_IbLb0EEEEDaS1M_S1N_EUlS1M_E_NS1_11comp_targetILNS1_3genE5ELNS1_11target_archE942ELNS1_3gpuE9ELNS1_3repE0EEENS1_30default_config_static_selectorELNS0_4arch9wavefront6targetE0EEEvSZ_,@function
_ZN7rocprim17ROCPRIM_400000_NS6detail17trampoline_kernelINS0_13select_configILj256ELj13ELNS0_17block_load_methodE3ELS4_3ELS4_3ELNS0_20block_scan_algorithmE0ELj4294967295EEENS1_25partition_config_selectorILNS1_17partition_subalgoE4EjNS0_10empty_typeEbEEZZNS1_14partition_implILS8_4ELb0ES6_15HIP_vector_typeIjLj2EENS0_17counting_iteratorIjlEEPS9_SG_NS0_5tupleIJPjSI_NS0_16reverse_iteratorISI_EEEEENSH_IJSG_SG_SG_EEES9_SI_JZNS1_25segmented_radix_sort_implINS0_14default_configELb0EPKlPlSQ_SR_N2at6native12_GLOBAL__N_18offset_tEEE10hipError_tPvRmT1_PNSt15iterator_traitsISZ_E10value_typeET2_T3_PNS10_IS15_E10value_typeET4_jRbjT5_S1B_jjP12ihipStream_tbEUljE_ZNSN_ISO_Lb0ESQ_SR_SQ_SR_SV_EESW_SX_SY_SZ_S13_S14_S15_S18_S19_jS1A_jS1B_S1B_jjS1D_bEUljE0_EEESW_SX_SY_S15_S19_S1B_T6_T7_T9_mT8_S1D_bDpT10_ENKUlT_T0_E_clISt17integral_constantIbLb1EES1Q_IbLb0EEEEDaS1M_S1N_EUlS1M_E_NS1_11comp_targetILNS1_3genE5ELNS1_11target_archE942ELNS1_3gpuE9ELNS1_3repE0EEENS1_30default_config_static_selectorELNS0_4arch9wavefront6targetE0EEEvSZ_: ; @_ZN7rocprim17ROCPRIM_400000_NS6detail17trampoline_kernelINS0_13select_configILj256ELj13ELNS0_17block_load_methodE3ELS4_3ELS4_3ELNS0_20block_scan_algorithmE0ELj4294967295EEENS1_25partition_config_selectorILNS1_17partition_subalgoE4EjNS0_10empty_typeEbEEZZNS1_14partition_implILS8_4ELb0ES6_15HIP_vector_typeIjLj2EENS0_17counting_iteratorIjlEEPS9_SG_NS0_5tupleIJPjSI_NS0_16reverse_iteratorISI_EEEEENSH_IJSG_SG_SG_EEES9_SI_JZNS1_25segmented_radix_sort_implINS0_14default_configELb0EPKlPlSQ_SR_N2at6native12_GLOBAL__N_18offset_tEEE10hipError_tPvRmT1_PNSt15iterator_traitsISZ_E10value_typeET2_T3_PNS10_IS15_E10value_typeET4_jRbjT5_S1B_jjP12ihipStream_tbEUljE_ZNSN_ISO_Lb0ESQ_SR_SQ_SR_SV_EESW_SX_SY_SZ_S13_S14_S15_S18_S19_jS1A_jS1B_S1B_jjS1D_bEUljE0_EEESW_SX_SY_S15_S19_S1B_T6_T7_T9_mT8_S1D_bDpT10_ENKUlT_T0_E_clISt17integral_constantIbLb1EES1Q_IbLb0EEEEDaS1M_S1N_EUlS1M_E_NS1_11comp_targetILNS1_3genE5ELNS1_11target_archE942ELNS1_3gpuE9ELNS1_3repE0EEENS1_30default_config_static_selectorELNS0_4arch9wavefront6targetE0EEEvSZ_
; %bb.0:
	.section	.rodata,"a",@progbits
	.p2align	6, 0x0
	.amdhsa_kernel _ZN7rocprim17ROCPRIM_400000_NS6detail17trampoline_kernelINS0_13select_configILj256ELj13ELNS0_17block_load_methodE3ELS4_3ELS4_3ELNS0_20block_scan_algorithmE0ELj4294967295EEENS1_25partition_config_selectorILNS1_17partition_subalgoE4EjNS0_10empty_typeEbEEZZNS1_14partition_implILS8_4ELb0ES6_15HIP_vector_typeIjLj2EENS0_17counting_iteratorIjlEEPS9_SG_NS0_5tupleIJPjSI_NS0_16reverse_iteratorISI_EEEEENSH_IJSG_SG_SG_EEES9_SI_JZNS1_25segmented_radix_sort_implINS0_14default_configELb0EPKlPlSQ_SR_N2at6native12_GLOBAL__N_18offset_tEEE10hipError_tPvRmT1_PNSt15iterator_traitsISZ_E10value_typeET2_T3_PNS10_IS15_E10value_typeET4_jRbjT5_S1B_jjP12ihipStream_tbEUljE_ZNSN_ISO_Lb0ESQ_SR_SQ_SR_SV_EESW_SX_SY_SZ_S13_S14_S15_S18_S19_jS1A_jS1B_S1B_jjS1D_bEUljE0_EEESW_SX_SY_S15_S19_S1B_T6_T7_T9_mT8_S1D_bDpT10_ENKUlT_T0_E_clISt17integral_constantIbLb1EES1Q_IbLb0EEEEDaS1M_S1N_EUlS1M_E_NS1_11comp_targetILNS1_3genE5ELNS1_11target_archE942ELNS1_3gpuE9ELNS1_3repE0EEENS1_30default_config_static_selectorELNS0_4arch9wavefront6targetE0EEEvSZ_
		.amdhsa_group_segment_fixed_size 0
		.amdhsa_private_segment_fixed_size 0
		.amdhsa_kernarg_size 176
		.amdhsa_user_sgpr_count 15
		.amdhsa_user_sgpr_dispatch_ptr 0
		.amdhsa_user_sgpr_queue_ptr 0
		.amdhsa_user_sgpr_kernarg_segment_ptr 1
		.amdhsa_user_sgpr_dispatch_id 0
		.amdhsa_user_sgpr_private_segment_size 0
		.amdhsa_wavefront_size32 1
		.amdhsa_uses_dynamic_stack 0
		.amdhsa_enable_private_segment 0
		.amdhsa_system_sgpr_workgroup_id_x 1
		.amdhsa_system_sgpr_workgroup_id_y 0
		.amdhsa_system_sgpr_workgroup_id_z 0
		.amdhsa_system_sgpr_workgroup_info 0
		.amdhsa_system_vgpr_workitem_id 0
		.amdhsa_next_free_vgpr 1
		.amdhsa_next_free_sgpr 1
		.amdhsa_reserve_vcc 0
		.amdhsa_float_round_mode_32 0
		.amdhsa_float_round_mode_16_64 0
		.amdhsa_float_denorm_mode_32 3
		.amdhsa_float_denorm_mode_16_64 3
		.amdhsa_dx10_clamp 1
		.amdhsa_ieee_mode 1
		.amdhsa_fp16_overflow 0
		.amdhsa_workgroup_processor_mode 1
		.amdhsa_memory_ordered 1
		.amdhsa_forward_progress 0
		.amdhsa_shared_vgpr_count 0
		.amdhsa_exception_fp_ieee_invalid_op 0
		.amdhsa_exception_fp_denorm_src 0
		.amdhsa_exception_fp_ieee_div_zero 0
		.amdhsa_exception_fp_ieee_overflow 0
		.amdhsa_exception_fp_ieee_underflow 0
		.amdhsa_exception_fp_ieee_inexact 0
		.amdhsa_exception_int_div_zero 0
	.end_amdhsa_kernel
	.section	.text._ZN7rocprim17ROCPRIM_400000_NS6detail17trampoline_kernelINS0_13select_configILj256ELj13ELNS0_17block_load_methodE3ELS4_3ELS4_3ELNS0_20block_scan_algorithmE0ELj4294967295EEENS1_25partition_config_selectorILNS1_17partition_subalgoE4EjNS0_10empty_typeEbEEZZNS1_14partition_implILS8_4ELb0ES6_15HIP_vector_typeIjLj2EENS0_17counting_iteratorIjlEEPS9_SG_NS0_5tupleIJPjSI_NS0_16reverse_iteratorISI_EEEEENSH_IJSG_SG_SG_EEES9_SI_JZNS1_25segmented_radix_sort_implINS0_14default_configELb0EPKlPlSQ_SR_N2at6native12_GLOBAL__N_18offset_tEEE10hipError_tPvRmT1_PNSt15iterator_traitsISZ_E10value_typeET2_T3_PNS10_IS15_E10value_typeET4_jRbjT5_S1B_jjP12ihipStream_tbEUljE_ZNSN_ISO_Lb0ESQ_SR_SQ_SR_SV_EESW_SX_SY_SZ_S13_S14_S15_S18_S19_jS1A_jS1B_S1B_jjS1D_bEUljE0_EEESW_SX_SY_S15_S19_S1B_T6_T7_T9_mT8_S1D_bDpT10_ENKUlT_T0_E_clISt17integral_constantIbLb1EES1Q_IbLb0EEEEDaS1M_S1N_EUlS1M_E_NS1_11comp_targetILNS1_3genE5ELNS1_11target_archE942ELNS1_3gpuE9ELNS1_3repE0EEENS1_30default_config_static_selectorELNS0_4arch9wavefront6targetE0EEEvSZ_,"axG",@progbits,_ZN7rocprim17ROCPRIM_400000_NS6detail17trampoline_kernelINS0_13select_configILj256ELj13ELNS0_17block_load_methodE3ELS4_3ELS4_3ELNS0_20block_scan_algorithmE0ELj4294967295EEENS1_25partition_config_selectorILNS1_17partition_subalgoE4EjNS0_10empty_typeEbEEZZNS1_14partition_implILS8_4ELb0ES6_15HIP_vector_typeIjLj2EENS0_17counting_iteratorIjlEEPS9_SG_NS0_5tupleIJPjSI_NS0_16reverse_iteratorISI_EEEEENSH_IJSG_SG_SG_EEES9_SI_JZNS1_25segmented_radix_sort_implINS0_14default_configELb0EPKlPlSQ_SR_N2at6native12_GLOBAL__N_18offset_tEEE10hipError_tPvRmT1_PNSt15iterator_traitsISZ_E10value_typeET2_T3_PNS10_IS15_E10value_typeET4_jRbjT5_S1B_jjP12ihipStream_tbEUljE_ZNSN_ISO_Lb0ESQ_SR_SQ_SR_SV_EESW_SX_SY_SZ_S13_S14_S15_S18_S19_jS1A_jS1B_S1B_jjS1D_bEUljE0_EEESW_SX_SY_S15_S19_S1B_T6_T7_T9_mT8_S1D_bDpT10_ENKUlT_T0_E_clISt17integral_constantIbLb1EES1Q_IbLb0EEEEDaS1M_S1N_EUlS1M_E_NS1_11comp_targetILNS1_3genE5ELNS1_11target_archE942ELNS1_3gpuE9ELNS1_3repE0EEENS1_30default_config_static_selectorELNS0_4arch9wavefront6targetE0EEEvSZ_,comdat
.Lfunc_end760:
	.size	_ZN7rocprim17ROCPRIM_400000_NS6detail17trampoline_kernelINS0_13select_configILj256ELj13ELNS0_17block_load_methodE3ELS4_3ELS4_3ELNS0_20block_scan_algorithmE0ELj4294967295EEENS1_25partition_config_selectorILNS1_17partition_subalgoE4EjNS0_10empty_typeEbEEZZNS1_14partition_implILS8_4ELb0ES6_15HIP_vector_typeIjLj2EENS0_17counting_iteratorIjlEEPS9_SG_NS0_5tupleIJPjSI_NS0_16reverse_iteratorISI_EEEEENSH_IJSG_SG_SG_EEES9_SI_JZNS1_25segmented_radix_sort_implINS0_14default_configELb0EPKlPlSQ_SR_N2at6native12_GLOBAL__N_18offset_tEEE10hipError_tPvRmT1_PNSt15iterator_traitsISZ_E10value_typeET2_T3_PNS10_IS15_E10value_typeET4_jRbjT5_S1B_jjP12ihipStream_tbEUljE_ZNSN_ISO_Lb0ESQ_SR_SQ_SR_SV_EESW_SX_SY_SZ_S13_S14_S15_S18_S19_jS1A_jS1B_S1B_jjS1D_bEUljE0_EEESW_SX_SY_S15_S19_S1B_T6_T7_T9_mT8_S1D_bDpT10_ENKUlT_T0_E_clISt17integral_constantIbLb1EES1Q_IbLb0EEEEDaS1M_S1N_EUlS1M_E_NS1_11comp_targetILNS1_3genE5ELNS1_11target_archE942ELNS1_3gpuE9ELNS1_3repE0EEENS1_30default_config_static_selectorELNS0_4arch9wavefront6targetE0EEEvSZ_, .Lfunc_end760-_ZN7rocprim17ROCPRIM_400000_NS6detail17trampoline_kernelINS0_13select_configILj256ELj13ELNS0_17block_load_methodE3ELS4_3ELS4_3ELNS0_20block_scan_algorithmE0ELj4294967295EEENS1_25partition_config_selectorILNS1_17partition_subalgoE4EjNS0_10empty_typeEbEEZZNS1_14partition_implILS8_4ELb0ES6_15HIP_vector_typeIjLj2EENS0_17counting_iteratorIjlEEPS9_SG_NS0_5tupleIJPjSI_NS0_16reverse_iteratorISI_EEEEENSH_IJSG_SG_SG_EEES9_SI_JZNS1_25segmented_radix_sort_implINS0_14default_configELb0EPKlPlSQ_SR_N2at6native12_GLOBAL__N_18offset_tEEE10hipError_tPvRmT1_PNSt15iterator_traitsISZ_E10value_typeET2_T3_PNS10_IS15_E10value_typeET4_jRbjT5_S1B_jjP12ihipStream_tbEUljE_ZNSN_ISO_Lb0ESQ_SR_SQ_SR_SV_EESW_SX_SY_SZ_S13_S14_S15_S18_S19_jS1A_jS1B_S1B_jjS1D_bEUljE0_EEESW_SX_SY_S15_S19_S1B_T6_T7_T9_mT8_S1D_bDpT10_ENKUlT_T0_E_clISt17integral_constantIbLb1EES1Q_IbLb0EEEEDaS1M_S1N_EUlS1M_E_NS1_11comp_targetILNS1_3genE5ELNS1_11target_archE942ELNS1_3gpuE9ELNS1_3repE0EEENS1_30default_config_static_selectorELNS0_4arch9wavefront6targetE0EEEvSZ_
                                        ; -- End function
	.section	.AMDGPU.csdata,"",@progbits
; Kernel info:
; codeLenInByte = 0
; NumSgprs: 0
; NumVgprs: 0
; ScratchSize: 0
; MemoryBound: 0
; FloatMode: 240
; IeeeMode: 1
; LDSByteSize: 0 bytes/workgroup (compile time only)
; SGPRBlocks: 0
; VGPRBlocks: 0
; NumSGPRsForWavesPerEU: 1
; NumVGPRsForWavesPerEU: 1
; Occupancy: 16
; WaveLimiterHint : 0
; COMPUTE_PGM_RSRC2:SCRATCH_EN: 0
; COMPUTE_PGM_RSRC2:USER_SGPR: 15
; COMPUTE_PGM_RSRC2:TRAP_HANDLER: 0
; COMPUTE_PGM_RSRC2:TGID_X_EN: 1
; COMPUTE_PGM_RSRC2:TGID_Y_EN: 0
; COMPUTE_PGM_RSRC2:TGID_Z_EN: 0
; COMPUTE_PGM_RSRC2:TIDIG_COMP_CNT: 0
	.section	.text._ZN7rocprim17ROCPRIM_400000_NS6detail17trampoline_kernelINS0_13select_configILj256ELj13ELNS0_17block_load_methodE3ELS4_3ELS4_3ELNS0_20block_scan_algorithmE0ELj4294967295EEENS1_25partition_config_selectorILNS1_17partition_subalgoE4EjNS0_10empty_typeEbEEZZNS1_14partition_implILS8_4ELb0ES6_15HIP_vector_typeIjLj2EENS0_17counting_iteratorIjlEEPS9_SG_NS0_5tupleIJPjSI_NS0_16reverse_iteratorISI_EEEEENSH_IJSG_SG_SG_EEES9_SI_JZNS1_25segmented_radix_sort_implINS0_14default_configELb0EPKlPlSQ_SR_N2at6native12_GLOBAL__N_18offset_tEEE10hipError_tPvRmT1_PNSt15iterator_traitsISZ_E10value_typeET2_T3_PNS10_IS15_E10value_typeET4_jRbjT5_S1B_jjP12ihipStream_tbEUljE_ZNSN_ISO_Lb0ESQ_SR_SQ_SR_SV_EESW_SX_SY_SZ_S13_S14_S15_S18_S19_jS1A_jS1B_S1B_jjS1D_bEUljE0_EEESW_SX_SY_S15_S19_S1B_T6_T7_T9_mT8_S1D_bDpT10_ENKUlT_T0_E_clISt17integral_constantIbLb1EES1Q_IbLb0EEEEDaS1M_S1N_EUlS1M_E_NS1_11comp_targetILNS1_3genE4ELNS1_11target_archE910ELNS1_3gpuE8ELNS1_3repE0EEENS1_30default_config_static_selectorELNS0_4arch9wavefront6targetE0EEEvSZ_,"axG",@progbits,_ZN7rocprim17ROCPRIM_400000_NS6detail17trampoline_kernelINS0_13select_configILj256ELj13ELNS0_17block_load_methodE3ELS4_3ELS4_3ELNS0_20block_scan_algorithmE0ELj4294967295EEENS1_25partition_config_selectorILNS1_17partition_subalgoE4EjNS0_10empty_typeEbEEZZNS1_14partition_implILS8_4ELb0ES6_15HIP_vector_typeIjLj2EENS0_17counting_iteratorIjlEEPS9_SG_NS0_5tupleIJPjSI_NS0_16reverse_iteratorISI_EEEEENSH_IJSG_SG_SG_EEES9_SI_JZNS1_25segmented_radix_sort_implINS0_14default_configELb0EPKlPlSQ_SR_N2at6native12_GLOBAL__N_18offset_tEEE10hipError_tPvRmT1_PNSt15iterator_traitsISZ_E10value_typeET2_T3_PNS10_IS15_E10value_typeET4_jRbjT5_S1B_jjP12ihipStream_tbEUljE_ZNSN_ISO_Lb0ESQ_SR_SQ_SR_SV_EESW_SX_SY_SZ_S13_S14_S15_S18_S19_jS1A_jS1B_S1B_jjS1D_bEUljE0_EEESW_SX_SY_S15_S19_S1B_T6_T7_T9_mT8_S1D_bDpT10_ENKUlT_T0_E_clISt17integral_constantIbLb1EES1Q_IbLb0EEEEDaS1M_S1N_EUlS1M_E_NS1_11comp_targetILNS1_3genE4ELNS1_11target_archE910ELNS1_3gpuE8ELNS1_3repE0EEENS1_30default_config_static_selectorELNS0_4arch9wavefront6targetE0EEEvSZ_,comdat
	.globl	_ZN7rocprim17ROCPRIM_400000_NS6detail17trampoline_kernelINS0_13select_configILj256ELj13ELNS0_17block_load_methodE3ELS4_3ELS4_3ELNS0_20block_scan_algorithmE0ELj4294967295EEENS1_25partition_config_selectorILNS1_17partition_subalgoE4EjNS0_10empty_typeEbEEZZNS1_14partition_implILS8_4ELb0ES6_15HIP_vector_typeIjLj2EENS0_17counting_iteratorIjlEEPS9_SG_NS0_5tupleIJPjSI_NS0_16reverse_iteratorISI_EEEEENSH_IJSG_SG_SG_EEES9_SI_JZNS1_25segmented_radix_sort_implINS0_14default_configELb0EPKlPlSQ_SR_N2at6native12_GLOBAL__N_18offset_tEEE10hipError_tPvRmT1_PNSt15iterator_traitsISZ_E10value_typeET2_T3_PNS10_IS15_E10value_typeET4_jRbjT5_S1B_jjP12ihipStream_tbEUljE_ZNSN_ISO_Lb0ESQ_SR_SQ_SR_SV_EESW_SX_SY_SZ_S13_S14_S15_S18_S19_jS1A_jS1B_S1B_jjS1D_bEUljE0_EEESW_SX_SY_S15_S19_S1B_T6_T7_T9_mT8_S1D_bDpT10_ENKUlT_T0_E_clISt17integral_constantIbLb1EES1Q_IbLb0EEEEDaS1M_S1N_EUlS1M_E_NS1_11comp_targetILNS1_3genE4ELNS1_11target_archE910ELNS1_3gpuE8ELNS1_3repE0EEENS1_30default_config_static_selectorELNS0_4arch9wavefront6targetE0EEEvSZ_ ; -- Begin function _ZN7rocprim17ROCPRIM_400000_NS6detail17trampoline_kernelINS0_13select_configILj256ELj13ELNS0_17block_load_methodE3ELS4_3ELS4_3ELNS0_20block_scan_algorithmE0ELj4294967295EEENS1_25partition_config_selectorILNS1_17partition_subalgoE4EjNS0_10empty_typeEbEEZZNS1_14partition_implILS8_4ELb0ES6_15HIP_vector_typeIjLj2EENS0_17counting_iteratorIjlEEPS9_SG_NS0_5tupleIJPjSI_NS0_16reverse_iteratorISI_EEEEENSH_IJSG_SG_SG_EEES9_SI_JZNS1_25segmented_radix_sort_implINS0_14default_configELb0EPKlPlSQ_SR_N2at6native12_GLOBAL__N_18offset_tEEE10hipError_tPvRmT1_PNSt15iterator_traitsISZ_E10value_typeET2_T3_PNS10_IS15_E10value_typeET4_jRbjT5_S1B_jjP12ihipStream_tbEUljE_ZNSN_ISO_Lb0ESQ_SR_SQ_SR_SV_EESW_SX_SY_SZ_S13_S14_S15_S18_S19_jS1A_jS1B_S1B_jjS1D_bEUljE0_EEESW_SX_SY_S15_S19_S1B_T6_T7_T9_mT8_S1D_bDpT10_ENKUlT_T0_E_clISt17integral_constantIbLb1EES1Q_IbLb0EEEEDaS1M_S1N_EUlS1M_E_NS1_11comp_targetILNS1_3genE4ELNS1_11target_archE910ELNS1_3gpuE8ELNS1_3repE0EEENS1_30default_config_static_selectorELNS0_4arch9wavefront6targetE0EEEvSZ_
	.p2align	8
	.type	_ZN7rocprim17ROCPRIM_400000_NS6detail17trampoline_kernelINS0_13select_configILj256ELj13ELNS0_17block_load_methodE3ELS4_3ELS4_3ELNS0_20block_scan_algorithmE0ELj4294967295EEENS1_25partition_config_selectorILNS1_17partition_subalgoE4EjNS0_10empty_typeEbEEZZNS1_14partition_implILS8_4ELb0ES6_15HIP_vector_typeIjLj2EENS0_17counting_iteratorIjlEEPS9_SG_NS0_5tupleIJPjSI_NS0_16reverse_iteratorISI_EEEEENSH_IJSG_SG_SG_EEES9_SI_JZNS1_25segmented_radix_sort_implINS0_14default_configELb0EPKlPlSQ_SR_N2at6native12_GLOBAL__N_18offset_tEEE10hipError_tPvRmT1_PNSt15iterator_traitsISZ_E10value_typeET2_T3_PNS10_IS15_E10value_typeET4_jRbjT5_S1B_jjP12ihipStream_tbEUljE_ZNSN_ISO_Lb0ESQ_SR_SQ_SR_SV_EESW_SX_SY_SZ_S13_S14_S15_S18_S19_jS1A_jS1B_S1B_jjS1D_bEUljE0_EEESW_SX_SY_S15_S19_S1B_T6_T7_T9_mT8_S1D_bDpT10_ENKUlT_T0_E_clISt17integral_constantIbLb1EES1Q_IbLb0EEEEDaS1M_S1N_EUlS1M_E_NS1_11comp_targetILNS1_3genE4ELNS1_11target_archE910ELNS1_3gpuE8ELNS1_3repE0EEENS1_30default_config_static_selectorELNS0_4arch9wavefront6targetE0EEEvSZ_,@function
_ZN7rocprim17ROCPRIM_400000_NS6detail17trampoline_kernelINS0_13select_configILj256ELj13ELNS0_17block_load_methodE3ELS4_3ELS4_3ELNS0_20block_scan_algorithmE0ELj4294967295EEENS1_25partition_config_selectorILNS1_17partition_subalgoE4EjNS0_10empty_typeEbEEZZNS1_14partition_implILS8_4ELb0ES6_15HIP_vector_typeIjLj2EENS0_17counting_iteratorIjlEEPS9_SG_NS0_5tupleIJPjSI_NS0_16reverse_iteratorISI_EEEEENSH_IJSG_SG_SG_EEES9_SI_JZNS1_25segmented_radix_sort_implINS0_14default_configELb0EPKlPlSQ_SR_N2at6native12_GLOBAL__N_18offset_tEEE10hipError_tPvRmT1_PNSt15iterator_traitsISZ_E10value_typeET2_T3_PNS10_IS15_E10value_typeET4_jRbjT5_S1B_jjP12ihipStream_tbEUljE_ZNSN_ISO_Lb0ESQ_SR_SQ_SR_SV_EESW_SX_SY_SZ_S13_S14_S15_S18_S19_jS1A_jS1B_S1B_jjS1D_bEUljE0_EEESW_SX_SY_S15_S19_S1B_T6_T7_T9_mT8_S1D_bDpT10_ENKUlT_T0_E_clISt17integral_constantIbLb1EES1Q_IbLb0EEEEDaS1M_S1N_EUlS1M_E_NS1_11comp_targetILNS1_3genE4ELNS1_11target_archE910ELNS1_3gpuE8ELNS1_3repE0EEENS1_30default_config_static_selectorELNS0_4arch9wavefront6targetE0EEEvSZ_: ; @_ZN7rocprim17ROCPRIM_400000_NS6detail17trampoline_kernelINS0_13select_configILj256ELj13ELNS0_17block_load_methodE3ELS4_3ELS4_3ELNS0_20block_scan_algorithmE0ELj4294967295EEENS1_25partition_config_selectorILNS1_17partition_subalgoE4EjNS0_10empty_typeEbEEZZNS1_14partition_implILS8_4ELb0ES6_15HIP_vector_typeIjLj2EENS0_17counting_iteratorIjlEEPS9_SG_NS0_5tupleIJPjSI_NS0_16reverse_iteratorISI_EEEEENSH_IJSG_SG_SG_EEES9_SI_JZNS1_25segmented_radix_sort_implINS0_14default_configELb0EPKlPlSQ_SR_N2at6native12_GLOBAL__N_18offset_tEEE10hipError_tPvRmT1_PNSt15iterator_traitsISZ_E10value_typeET2_T3_PNS10_IS15_E10value_typeET4_jRbjT5_S1B_jjP12ihipStream_tbEUljE_ZNSN_ISO_Lb0ESQ_SR_SQ_SR_SV_EESW_SX_SY_SZ_S13_S14_S15_S18_S19_jS1A_jS1B_S1B_jjS1D_bEUljE0_EEESW_SX_SY_S15_S19_S1B_T6_T7_T9_mT8_S1D_bDpT10_ENKUlT_T0_E_clISt17integral_constantIbLb1EES1Q_IbLb0EEEEDaS1M_S1N_EUlS1M_E_NS1_11comp_targetILNS1_3genE4ELNS1_11target_archE910ELNS1_3gpuE8ELNS1_3repE0EEENS1_30default_config_static_selectorELNS0_4arch9wavefront6targetE0EEEvSZ_
; %bb.0:
	.section	.rodata,"a",@progbits
	.p2align	6, 0x0
	.amdhsa_kernel _ZN7rocprim17ROCPRIM_400000_NS6detail17trampoline_kernelINS0_13select_configILj256ELj13ELNS0_17block_load_methodE3ELS4_3ELS4_3ELNS0_20block_scan_algorithmE0ELj4294967295EEENS1_25partition_config_selectorILNS1_17partition_subalgoE4EjNS0_10empty_typeEbEEZZNS1_14partition_implILS8_4ELb0ES6_15HIP_vector_typeIjLj2EENS0_17counting_iteratorIjlEEPS9_SG_NS0_5tupleIJPjSI_NS0_16reverse_iteratorISI_EEEEENSH_IJSG_SG_SG_EEES9_SI_JZNS1_25segmented_radix_sort_implINS0_14default_configELb0EPKlPlSQ_SR_N2at6native12_GLOBAL__N_18offset_tEEE10hipError_tPvRmT1_PNSt15iterator_traitsISZ_E10value_typeET2_T3_PNS10_IS15_E10value_typeET4_jRbjT5_S1B_jjP12ihipStream_tbEUljE_ZNSN_ISO_Lb0ESQ_SR_SQ_SR_SV_EESW_SX_SY_SZ_S13_S14_S15_S18_S19_jS1A_jS1B_S1B_jjS1D_bEUljE0_EEESW_SX_SY_S15_S19_S1B_T6_T7_T9_mT8_S1D_bDpT10_ENKUlT_T0_E_clISt17integral_constantIbLb1EES1Q_IbLb0EEEEDaS1M_S1N_EUlS1M_E_NS1_11comp_targetILNS1_3genE4ELNS1_11target_archE910ELNS1_3gpuE8ELNS1_3repE0EEENS1_30default_config_static_selectorELNS0_4arch9wavefront6targetE0EEEvSZ_
		.amdhsa_group_segment_fixed_size 0
		.amdhsa_private_segment_fixed_size 0
		.amdhsa_kernarg_size 176
		.amdhsa_user_sgpr_count 15
		.amdhsa_user_sgpr_dispatch_ptr 0
		.amdhsa_user_sgpr_queue_ptr 0
		.amdhsa_user_sgpr_kernarg_segment_ptr 1
		.amdhsa_user_sgpr_dispatch_id 0
		.amdhsa_user_sgpr_private_segment_size 0
		.amdhsa_wavefront_size32 1
		.amdhsa_uses_dynamic_stack 0
		.amdhsa_enable_private_segment 0
		.amdhsa_system_sgpr_workgroup_id_x 1
		.amdhsa_system_sgpr_workgroup_id_y 0
		.amdhsa_system_sgpr_workgroup_id_z 0
		.amdhsa_system_sgpr_workgroup_info 0
		.amdhsa_system_vgpr_workitem_id 0
		.amdhsa_next_free_vgpr 1
		.amdhsa_next_free_sgpr 1
		.amdhsa_reserve_vcc 0
		.amdhsa_float_round_mode_32 0
		.amdhsa_float_round_mode_16_64 0
		.amdhsa_float_denorm_mode_32 3
		.amdhsa_float_denorm_mode_16_64 3
		.amdhsa_dx10_clamp 1
		.amdhsa_ieee_mode 1
		.amdhsa_fp16_overflow 0
		.amdhsa_workgroup_processor_mode 1
		.amdhsa_memory_ordered 1
		.amdhsa_forward_progress 0
		.amdhsa_shared_vgpr_count 0
		.amdhsa_exception_fp_ieee_invalid_op 0
		.amdhsa_exception_fp_denorm_src 0
		.amdhsa_exception_fp_ieee_div_zero 0
		.amdhsa_exception_fp_ieee_overflow 0
		.amdhsa_exception_fp_ieee_underflow 0
		.amdhsa_exception_fp_ieee_inexact 0
		.amdhsa_exception_int_div_zero 0
	.end_amdhsa_kernel
	.section	.text._ZN7rocprim17ROCPRIM_400000_NS6detail17trampoline_kernelINS0_13select_configILj256ELj13ELNS0_17block_load_methodE3ELS4_3ELS4_3ELNS0_20block_scan_algorithmE0ELj4294967295EEENS1_25partition_config_selectorILNS1_17partition_subalgoE4EjNS0_10empty_typeEbEEZZNS1_14partition_implILS8_4ELb0ES6_15HIP_vector_typeIjLj2EENS0_17counting_iteratorIjlEEPS9_SG_NS0_5tupleIJPjSI_NS0_16reverse_iteratorISI_EEEEENSH_IJSG_SG_SG_EEES9_SI_JZNS1_25segmented_radix_sort_implINS0_14default_configELb0EPKlPlSQ_SR_N2at6native12_GLOBAL__N_18offset_tEEE10hipError_tPvRmT1_PNSt15iterator_traitsISZ_E10value_typeET2_T3_PNS10_IS15_E10value_typeET4_jRbjT5_S1B_jjP12ihipStream_tbEUljE_ZNSN_ISO_Lb0ESQ_SR_SQ_SR_SV_EESW_SX_SY_SZ_S13_S14_S15_S18_S19_jS1A_jS1B_S1B_jjS1D_bEUljE0_EEESW_SX_SY_S15_S19_S1B_T6_T7_T9_mT8_S1D_bDpT10_ENKUlT_T0_E_clISt17integral_constantIbLb1EES1Q_IbLb0EEEEDaS1M_S1N_EUlS1M_E_NS1_11comp_targetILNS1_3genE4ELNS1_11target_archE910ELNS1_3gpuE8ELNS1_3repE0EEENS1_30default_config_static_selectorELNS0_4arch9wavefront6targetE0EEEvSZ_,"axG",@progbits,_ZN7rocprim17ROCPRIM_400000_NS6detail17trampoline_kernelINS0_13select_configILj256ELj13ELNS0_17block_load_methodE3ELS4_3ELS4_3ELNS0_20block_scan_algorithmE0ELj4294967295EEENS1_25partition_config_selectorILNS1_17partition_subalgoE4EjNS0_10empty_typeEbEEZZNS1_14partition_implILS8_4ELb0ES6_15HIP_vector_typeIjLj2EENS0_17counting_iteratorIjlEEPS9_SG_NS0_5tupleIJPjSI_NS0_16reverse_iteratorISI_EEEEENSH_IJSG_SG_SG_EEES9_SI_JZNS1_25segmented_radix_sort_implINS0_14default_configELb0EPKlPlSQ_SR_N2at6native12_GLOBAL__N_18offset_tEEE10hipError_tPvRmT1_PNSt15iterator_traitsISZ_E10value_typeET2_T3_PNS10_IS15_E10value_typeET4_jRbjT5_S1B_jjP12ihipStream_tbEUljE_ZNSN_ISO_Lb0ESQ_SR_SQ_SR_SV_EESW_SX_SY_SZ_S13_S14_S15_S18_S19_jS1A_jS1B_S1B_jjS1D_bEUljE0_EEESW_SX_SY_S15_S19_S1B_T6_T7_T9_mT8_S1D_bDpT10_ENKUlT_T0_E_clISt17integral_constantIbLb1EES1Q_IbLb0EEEEDaS1M_S1N_EUlS1M_E_NS1_11comp_targetILNS1_3genE4ELNS1_11target_archE910ELNS1_3gpuE8ELNS1_3repE0EEENS1_30default_config_static_selectorELNS0_4arch9wavefront6targetE0EEEvSZ_,comdat
.Lfunc_end761:
	.size	_ZN7rocprim17ROCPRIM_400000_NS6detail17trampoline_kernelINS0_13select_configILj256ELj13ELNS0_17block_load_methodE3ELS4_3ELS4_3ELNS0_20block_scan_algorithmE0ELj4294967295EEENS1_25partition_config_selectorILNS1_17partition_subalgoE4EjNS0_10empty_typeEbEEZZNS1_14partition_implILS8_4ELb0ES6_15HIP_vector_typeIjLj2EENS0_17counting_iteratorIjlEEPS9_SG_NS0_5tupleIJPjSI_NS0_16reverse_iteratorISI_EEEEENSH_IJSG_SG_SG_EEES9_SI_JZNS1_25segmented_radix_sort_implINS0_14default_configELb0EPKlPlSQ_SR_N2at6native12_GLOBAL__N_18offset_tEEE10hipError_tPvRmT1_PNSt15iterator_traitsISZ_E10value_typeET2_T3_PNS10_IS15_E10value_typeET4_jRbjT5_S1B_jjP12ihipStream_tbEUljE_ZNSN_ISO_Lb0ESQ_SR_SQ_SR_SV_EESW_SX_SY_SZ_S13_S14_S15_S18_S19_jS1A_jS1B_S1B_jjS1D_bEUljE0_EEESW_SX_SY_S15_S19_S1B_T6_T7_T9_mT8_S1D_bDpT10_ENKUlT_T0_E_clISt17integral_constantIbLb1EES1Q_IbLb0EEEEDaS1M_S1N_EUlS1M_E_NS1_11comp_targetILNS1_3genE4ELNS1_11target_archE910ELNS1_3gpuE8ELNS1_3repE0EEENS1_30default_config_static_selectorELNS0_4arch9wavefront6targetE0EEEvSZ_, .Lfunc_end761-_ZN7rocprim17ROCPRIM_400000_NS6detail17trampoline_kernelINS0_13select_configILj256ELj13ELNS0_17block_load_methodE3ELS4_3ELS4_3ELNS0_20block_scan_algorithmE0ELj4294967295EEENS1_25partition_config_selectorILNS1_17partition_subalgoE4EjNS0_10empty_typeEbEEZZNS1_14partition_implILS8_4ELb0ES6_15HIP_vector_typeIjLj2EENS0_17counting_iteratorIjlEEPS9_SG_NS0_5tupleIJPjSI_NS0_16reverse_iteratorISI_EEEEENSH_IJSG_SG_SG_EEES9_SI_JZNS1_25segmented_radix_sort_implINS0_14default_configELb0EPKlPlSQ_SR_N2at6native12_GLOBAL__N_18offset_tEEE10hipError_tPvRmT1_PNSt15iterator_traitsISZ_E10value_typeET2_T3_PNS10_IS15_E10value_typeET4_jRbjT5_S1B_jjP12ihipStream_tbEUljE_ZNSN_ISO_Lb0ESQ_SR_SQ_SR_SV_EESW_SX_SY_SZ_S13_S14_S15_S18_S19_jS1A_jS1B_S1B_jjS1D_bEUljE0_EEESW_SX_SY_S15_S19_S1B_T6_T7_T9_mT8_S1D_bDpT10_ENKUlT_T0_E_clISt17integral_constantIbLb1EES1Q_IbLb0EEEEDaS1M_S1N_EUlS1M_E_NS1_11comp_targetILNS1_3genE4ELNS1_11target_archE910ELNS1_3gpuE8ELNS1_3repE0EEENS1_30default_config_static_selectorELNS0_4arch9wavefront6targetE0EEEvSZ_
                                        ; -- End function
	.section	.AMDGPU.csdata,"",@progbits
; Kernel info:
; codeLenInByte = 0
; NumSgprs: 0
; NumVgprs: 0
; ScratchSize: 0
; MemoryBound: 0
; FloatMode: 240
; IeeeMode: 1
; LDSByteSize: 0 bytes/workgroup (compile time only)
; SGPRBlocks: 0
; VGPRBlocks: 0
; NumSGPRsForWavesPerEU: 1
; NumVGPRsForWavesPerEU: 1
; Occupancy: 16
; WaveLimiterHint : 0
; COMPUTE_PGM_RSRC2:SCRATCH_EN: 0
; COMPUTE_PGM_RSRC2:USER_SGPR: 15
; COMPUTE_PGM_RSRC2:TRAP_HANDLER: 0
; COMPUTE_PGM_RSRC2:TGID_X_EN: 1
; COMPUTE_PGM_RSRC2:TGID_Y_EN: 0
; COMPUTE_PGM_RSRC2:TGID_Z_EN: 0
; COMPUTE_PGM_RSRC2:TIDIG_COMP_CNT: 0
	.section	.text._ZN7rocprim17ROCPRIM_400000_NS6detail17trampoline_kernelINS0_13select_configILj256ELj13ELNS0_17block_load_methodE3ELS4_3ELS4_3ELNS0_20block_scan_algorithmE0ELj4294967295EEENS1_25partition_config_selectorILNS1_17partition_subalgoE4EjNS0_10empty_typeEbEEZZNS1_14partition_implILS8_4ELb0ES6_15HIP_vector_typeIjLj2EENS0_17counting_iteratorIjlEEPS9_SG_NS0_5tupleIJPjSI_NS0_16reverse_iteratorISI_EEEEENSH_IJSG_SG_SG_EEES9_SI_JZNS1_25segmented_radix_sort_implINS0_14default_configELb0EPKlPlSQ_SR_N2at6native12_GLOBAL__N_18offset_tEEE10hipError_tPvRmT1_PNSt15iterator_traitsISZ_E10value_typeET2_T3_PNS10_IS15_E10value_typeET4_jRbjT5_S1B_jjP12ihipStream_tbEUljE_ZNSN_ISO_Lb0ESQ_SR_SQ_SR_SV_EESW_SX_SY_SZ_S13_S14_S15_S18_S19_jS1A_jS1B_S1B_jjS1D_bEUljE0_EEESW_SX_SY_S15_S19_S1B_T6_T7_T9_mT8_S1D_bDpT10_ENKUlT_T0_E_clISt17integral_constantIbLb1EES1Q_IbLb0EEEEDaS1M_S1N_EUlS1M_E_NS1_11comp_targetILNS1_3genE3ELNS1_11target_archE908ELNS1_3gpuE7ELNS1_3repE0EEENS1_30default_config_static_selectorELNS0_4arch9wavefront6targetE0EEEvSZ_,"axG",@progbits,_ZN7rocprim17ROCPRIM_400000_NS6detail17trampoline_kernelINS0_13select_configILj256ELj13ELNS0_17block_load_methodE3ELS4_3ELS4_3ELNS0_20block_scan_algorithmE0ELj4294967295EEENS1_25partition_config_selectorILNS1_17partition_subalgoE4EjNS0_10empty_typeEbEEZZNS1_14partition_implILS8_4ELb0ES6_15HIP_vector_typeIjLj2EENS0_17counting_iteratorIjlEEPS9_SG_NS0_5tupleIJPjSI_NS0_16reverse_iteratorISI_EEEEENSH_IJSG_SG_SG_EEES9_SI_JZNS1_25segmented_radix_sort_implINS0_14default_configELb0EPKlPlSQ_SR_N2at6native12_GLOBAL__N_18offset_tEEE10hipError_tPvRmT1_PNSt15iterator_traitsISZ_E10value_typeET2_T3_PNS10_IS15_E10value_typeET4_jRbjT5_S1B_jjP12ihipStream_tbEUljE_ZNSN_ISO_Lb0ESQ_SR_SQ_SR_SV_EESW_SX_SY_SZ_S13_S14_S15_S18_S19_jS1A_jS1B_S1B_jjS1D_bEUljE0_EEESW_SX_SY_S15_S19_S1B_T6_T7_T9_mT8_S1D_bDpT10_ENKUlT_T0_E_clISt17integral_constantIbLb1EES1Q_IbLb0EEEEDaS1M_S1N_EUlS1M_E_NS1_11comp_targetILNS1_3genE3ELNS1_11target_archE908ELNS1_3gpuE7ELNS1_3repE0EEENS1_30default_config_static_selectorELNS0_4arch9wavefront6targetE0EEEvSZ_,comdat
	.globl	_ZN7rocprim17ROCPRIM_400000_NS6detail17trampoline_kernelINS0_13select_configILj256ELj13ELNS0_17block_load_methodE3ELS4_3ELS4_3ELNS0_20block_scan_algorithmE0ELj4294967295EEENS1_25partition_config_selectorILNS1_17partition_subalgoE4EjNS0_10empty_typeEbEEZZNS1_14partition_implILS8_4ELb0ES6_15HIP_vector_typeIjLj2EENS0_17counting_iteratorIjlEEPS9_SG_NS0_5tupleIJPjSI_NS0_16reverse_iteratorISI_EEEEENSH_IJSG_SG_SG_EEES9_SI_JZNS1_25segmented_radix_sort_implINS0_14default_configELb0EPKlPlSQ_SR_N2at6native12_GLOBAL__N_18offset_tEEE10hipError_tPvRmT1_PNSt15iterator_traitsISZ_E10value_typeET2_T3_PNS10_IS15_E10value_typeET4_jRbjT5_S1B_jjP12ihipStream_tbEUljE_ZNSN_ISO_Lb0ESQ_SR_SQ_SR_SV_EESW_SX_SY_SZ_S13_S14_S15_S18_S19_jS1A_jS1B_S1B_jjS1D_bEUljE0_EEESW_SX_SY_S15_S19_S1B_T6_T7_T9_mT8_S1D_bDpT10_ENKUlT_T0_E_clISt17integral_constantIbLb1EES1Q_IbLb0EEEEDaS1M_S1N_EUlS1M_E_NS1_11comp_targetILNS1_3genE3ELNS1_11target_archE908ELNS1_3gpuE7ELNS1_3repE0EEENS1_30default_config_static_selectorELNS0_4arch9wavefront6targetE0EEEvSZ_ ; -- Begin function _ZN7rocprim17ROCPRIM_400000_NS6detail17trampoline_kernelINS0_13select_configILj256ELj13ELNS0_17block_load_methodE3ELS4_3ELS4_3ELNS0_20block_scan_algorithmE0ELj4294967295EEENS1_25partition_config_selectorILNS1_17partition_subalgoE4EjNS0_10empty_typeEbEEZZNS1_14partition_implILS8_4ELb0ES6_15HIP_vector_typeIjLj2EENS0_17counting_iteratorIjlEEPS9_SG_NS0_5tupleIJPjSI_NS0_16reverse_iteratorISI_EEEEENSH_IJSG_SG_SG_EEES9_SI_JZNS1_25segmented_radix_sort_implINS0_14default_configELb0EPKlPlSQ_SR_N2at6native12_GLOBAL__N_18offset_tEEE10hipError_tPvRmT1_PNSt15iterator_traitsISZ_E10value_typeET2_T3_PNS10_IS15_E10value_typeET4_jRbjT5_S1B_jjP12ihipStream_tbEUljE_ZNSN_ISO_Lb0ESQ_SR_SQ_SR_SV_EESW_SX_SY_SZ_S13_S14_S15_S18_S19_jS1A_jS1B_S1B_jjS1D_bEUljE0_EEESW_SX_SY_S15_S19_S1B_T6_T7_T9_mT8_S1D_bDpT10_ENKUlT_T0_E_clISt17integral_constantIbLb1EES1Q_IbLb0EEEEDaS1M_S1N_EUlS1M_E_NS1_11comp_targetILNS1_3genE3ELNS1_11target_archE908ELNS1_3gpuE7ELNS1_3repE0EEENS1_30default_config_static_selectorELNS0_4arch9wavefront6targetE0EEEvSZ_
	.p2align	8
	.type	_ZN7rocprim17ROCPRIM_400000_NS6detail17trampoline_kernelINS0_13select_configILj256ELj13ELNS0_17block_load_methodE3ELS4_3ELS4_3ELNS0_20block_scan_algorithmE0ELj4294967295EEENS1_25partition_config_selectorILNS1_17partition_subalgoE4EjNS0_10empty_typeEbEEZZNS1_14partition_implILS8_4ELb0ES6_15HIP_vector_typeIjLj2EENS0_17counting_iteratorIjlEEPS9_SG_NS0_5tupleIJPjSI_NS0_16reverse_iteratorISI_EEEEENSH_IJSG_SG_SG_EEES9_SI_JZNS1_25segmented_radix_sort_implINS0_14default_configELb0EPKlPlSQ_SR_N2at6native12_GLOBAL__N_18offset_tEEE10hipError_tPvRmT1_PNSt15iterator_traitsISZ_E10value_typeET2_T3_PNS10_IS15_E10value_typeET4_jRbjT5_S1B_jjP12ihipStream_tbEUljE_ZNSN_ISO_Lb0ESQ_SR_SQ_SR_SV_EESW_SX_SY_SZ_S13_S14_S15_S18_S19_jS1A_jS1B_S1B_jjS1D_bEUljE0_EEESW_SX_SY_S15_S19_S1B_T6_T7_T9_mT8_S1D_bDpT10_ENKUlT_T0_E_clISt17integral_constantIbLb1EES1Q_IbLb0EEEEDaS1M_S1N_EUlS1M_E_NS1_11comp_targetILNS1_3genE3ELNS1_11target_archE908ELNS1_3gpuE7ELNS1_3repE0EEENS1_30default_config_static_selectorELNS0_4arch9wavefront6targetE0EEEvSZ_,@function
_ZN7rocprim17ROCPRIM_400000_NS6detail17trampoline_kernelINS0_13select_configILj256ELj13ELNS0_17block_load_methodE3ELS4_3ELS4_3ELNS0_20block_scan_algorithmE0ELj4294967295EEENS1_25partition_config_selectorILNS1_17partition_subalgoE4EjNS0_10empty_typeEbEEZZNS1_14partition_implILS8_4ELb0ES6_15HIP_vector_typeIjLj2EENS0_17counting_iteratorIjlEEPS9_SG_NS0_5tupleIJPjSI_NS0_16reverse_iteratorISI_EEEEENSH_IJSG_SG_SG_EEES9_SI_JZNS1_25segmented_radix_sort_implINS0_14default_configELb0EPKlPlSQ_SR_N2at6native12_GLOBAL__N_18offset_tEEE10hipError_tPvRmT1_PNSt15iterator_traitsISZ_E10value_typeET2_T3_PNS10_IS15_E10value_typeET4_jRbjT5_S1B_jjP12ihipStream_tbEUljE_ZNSN_ISO_Lb0ESQ_SR_SQ_SR_SV_EESW_SX_SY_SZ_S13_S14_S15_S18_S19_jS1A_jS1B_S1B_jjS1D_bEUljE0_EEESW_SX_SY_S15_S19_S1B_T6_T7_T9_mT8_S1D_bDpT10_ENKUlT_T0_E_clISt17integral_constantIbLb1EES1Q_IbLb0EEEEDaS1M_S1N_EUlS1M_E_NS1_11comp_targetILNS1_3genE3ELNS1_11target_archE908ELNS1_3gpuE7ELNS1_3repE0EEENS1_30default_config_static_selectorELNS0_4arch9wavefront6targetE0EEEvSZ_: ; @_ZN7rocprim17ROCPRIM_400000_NS6detail17trampoline_kernelINS0_13select_configILj256ELj13ELNS0_17block_load_methodE3ELS4_3ELS4_3ELNS0_20block_scan_algorithmE0ELj4294967295EEENS1_25partition_config_selectorILNS1_17partition_subalgoE4EjNS0_10empty_typeEbEEZZNS1_14partition_implILS8_4ELb0ES6_15HIP_vector_typeIjLj2EENS0_17counting_iteratorIjlEEPS9_SG_NS0_5tupleIJPjSI_NS0_16reverse_iteratorISI_EEEEENSH_IJSG_SG_SG_EEES9_SI_JZNS1_25segmented_radix_sort_implINS0_14default_configELb0EPKlPlSQ_SR_N2at6native12_GLOBAL__N_18offset_tEEE10hipError_tPvRmT1_PNSt15iterator_traitsISZ_E10value_typeET2_T3_PNS10_IS15_E10value_typeET4_jRbjT5_S1B_jjP12ihipStream_tbEUljE_ZNSN_ISO_Lb0ESQ_SR_SQ_SR_SV_EESW_SX_SY_SZ_S13_S14_S15_S18_S19_jS1A_jS1B_S1B_jjS1D_bEUljE0_EEESW_SX_SY_S15_S19_S1B_T6_T7_T9_mT8_S1D_bDpT10_ENKUlT_T0_E_clISt17integral_constantIbLb1EES1Q_IbLb0EEEEDaS1M_S1N_EUlS1M_E_NS1_11comp_targetILNS1_3genE3ELNS1_11target_archE908ELNS1_3gpuE7ELNS1_3repE0EEENS1_30default_config_static_selectorELNS0_4arch9wavefront6targetE0EEEvSZ_
; %bb.0:
	.section	.rodata,"a",@progbits
	.p2align	6, 0x0
	.amdhsa_kernel _ZN7rocprim17ROCPRIM_400000_NS6detail17trampoline_kernelINS0_13select_configILj256ELj13ELNS0_17block_load_methodE3ELS4_3ELS4_3ELNS0_20block_scan_algorithmE0ELj4294967295EEENS1_25partition_config_selectorILNS1_17partition_subalgoE4EjNS0_10empty_typeEbEEZZNS1_14partition_implILS8_4ELb0ES6_15HIP_vector_typeIjLj2EENS0_17counting_iteratorIjlEEPS9_SG_NS0_5tupleIJPjSI_NS0_16reverse_iteratorISI_EEEEENSH_IJSG_SG_SG_EEES9_SI_JZNS1_25segmented_radix_sort_implINS0_14default_configELb0EPKlPlSQ_SR_N2at6native12_GLOBAL__N_18offset_tEEE10hipError_tPvRmT1_PNSt15iterator_traitsISZ_E10value_typeET2_T3_PNS10_IS15_E10value_typeET4_jRbjT5_S1B_jjP12ihipStream_tbEUljE_ZNSN_ISO_Lb0ESQ_SR_SQ_SR_SV_EESW_SX_SY_SZ_S13_S14_S15_S18_S19_jS1A_jS1B_S1B_jjS1D_bEUljE0_EEESW_SX_SY_S15_S19_S1B_T6_T7_T9_mT8_S1D_bDpT10_ENKUlT_T0_E_clISt17integral_constantIbLb1EES1Q_IbLb0EEEEDaS1M_S1N_EUlS1M_E_NS1_11comp_targetILNS1_3genE3ELNS1_11target_archE908ELNS1_3gpuE7ELNS1_3repE0EEENS1_30default_config_static_selectorELNS0_4arch9wavefront6targetE0EEEvSZ_
		.amdhsa_group_segment_fixed_size 0
		.amdhsa_private_segment_fixed_size 0
		.amdhsa_kernarg_size 176
		.amdhsa_user_sgpr_count 15
		.amdhsa_user_sgpr_dispatch_ptr 0
		.amdhsa_user_sgpr_queue_ptr 0
		.amdhsa_user_sgpr_kernarg_segment_ptr 1
		.amdhsa_user_sgpr_dispatch_id 0
		.amdhsa_user_sgpr_private_segment_size 0
		.amdhsa_wavefront_size32 1
		.amdhsa_uses_dynamic_stack 0
		.amdhsa_enable_private_segment 0
		.amdhsa_system_sgpr_workgroup_id_x 1
		.amdhsa_system_sgpr_workgroup_id_y 0
		.amdhsa_system_sgpr_workgroup_id_z 0
		.amdhsa_system_sgpr_workgroup_info 0
		.amdhsa_system_vgpr_workitem_id 0
		.amdhsa_next_free_vgpr 1
		.amdhsa_next_free_sgpr 1
		.amdhsa_reserve_vcc 0
		.amdhsa_float_round_mode_32 0
		.amdhsa_float_round_mode_16_64 0
		.amdhsa_float_denorm_mode_32 3
		.amdhsa_float_denorm_mode_16_64 3
		.amdhsa_dx10_clamp 1
		.amdhsa_ieee_mode 1
		.amdhsa_fp16_overflow 0
		.amdhsa_workgroup_processor_mode 1
		.amdhsa_memory_ordered 1
		.amdhsa_forward_progress 0
		.amdhsa_shared_vgpr_count 0
		.amdhsa_exception_fp_ieee_invalid_op 0
		.amdhsa_exception_fp_denorm_src 0
		.amdhsa_exception_fp_ieee_div_zero 0
		.amdhsa_exception_fp_ieee_overflow 0
		.amdhsa_exception_fp_ieee_underflow 0
		.amdhsa_exception_fp_ieee_inexact 0
		.amdhsa_exception_int_div_zero 0
	.end_amdhsa_kernel
	.section	.text._ZN7rocprim17ROCPRIM_400000_NS6detail17trampoline_kernelINS0_13select_configILj256ELj13ELNS0_17block_load_methodE3ELS4_3ELS4_3ELNS0_20block_scan_algorithmE0ELj4294967295EEENS1_25partition_config_selectorILNS1_17partition_subalgoE4EjNS0_10empty_typeEbEEZZNS1_14partition_implILS8_4ELb0ES6_15HIP_vector_typeIjLj2EENS0_17counting_iteratorIjlEEPS9_SG_NS0_5tupleIJPjSI_NS0_16reverse_iteratorISI_EEEEENSH_IJSG_SG_SG_EEES9_SI_JZNS1_25segmented_radix_sort_implINS0_14default_configELb0EPKlPlSQ_SR_N2at6native12_GLOBAL__N_18offset_tEEE10hipError_tPvRmT1_PNSt15iterator_traitsISZ_E10value_typeET2_T3_PNS10_IS15_E10value_typeET4_jRbjT5_S1B_jjP12ihipStream_tbEUljE_ZNSN_ISO_Lb0ESQ_SR_SQ_SR_SV_EESW_SX_SY_SZ_S13_S14_S15_S18_S19_jS1A_jS1B_S1B_jjS1D_bEUljE0_EEESW_SX_SY_S15_S19_S1B_T6_T7_T9_mT8_S1D_bDpT10_ENKUlT_T0_E_clISt17integral_constantIbLb1EES1Q_IbLb0EEEEDaS1M_S1N_EUlS1M_E_NS1_11comp_targetILNS1_3genE3ELNS1_11target_archE908ELNS1_3gpuE7ELNS1_3repE0EEENS1_30default_config_static_selectorELNS0_4arch9wavefront6targetE0EEEvSZ_,"axG",@progbits,_ZN7rocprim17ROCPRIM_400000_NS6detail17trampoline_kernelINS0_13select_configILj256ELj13ELNS0_17block_load_methodE3ELS4_3ELS4_3ELNS0_20block_scan_algorithmE0ELj4294967295EEENS1_25partition_config_selectorILNS1_17partition_subalgoE4EjNS0_10empty_typeEbEEZZNS1_14partition_implILS8_4ELb0ES6_15HIP_vector_typeIjLj2EENS0_17counting_iteratorIjlEEPS9_SG_NS0_5tupleIJPjSI_NS0_16reverse_iteratorISI_EEEEENSH_IJSG_SG_SG_EEES9_SI_JZNS1_25segmented_radix_sort_implINS0_14default_configELb0EPKlPlSQ_SR_N2at6native12_GLOBAL__N_18offset_tEEE10hipError_tPvRmT1_PNSt15iterator_traitsISZ_E10value_typeET2_T3_PNS10_IS15_E10value_typeET4_jRbjT5_S1B_jjP12ihipStream_tbEUljE_ZNSN_ISO_Lb0ESQ_SR_SQ_SR_SV_EESW_SX_SY_SZ_S13_S14_S15_S18_S19_jS1A_jS1B_S1B_jjS1D_bEUljE0_EEESW_SX_SY_S15_S19_S1B_T6_T7_T9_mT8_S1D_bDpT10_ENKUlT_T0_E_clISt17integral_constantIbLb1EES1Q_IbLb0EEEEDaS1M_S1N_EUlS1M_E_NS1_11comp_targetILNS1_3genE3ELNS1_11target_archE908ELNS1_3gpuE7ELNS1_3repE0EEENS1_30default_config_static_selectorELNS0_4arch9wavefront6targetE0EEEvSZ_,comdat
.Lfunc_end762:
	.size	_ZN7rocprim17ROCPRIM_400000_NS6detail17trampoline_kernelINS0_13select_configILj256ELj13ELNS0_17block_load_methodE3ELS4_3ELS4_3ELNS0_20block_scan_algorithmE0ELj4294967295EEENS1_25partition_config_selectorILNS1_17partition_subalgoE4EjNS0_10empty_typeEbEEZZNS1_14partition_implILS8_4ELb0ES6_15HIP_vector_typeIjLj2EENS0_17counting_iteratorIjlEEPS9_SG_NS0_5tupleIJPjSI_NS0_16reverse_iteratorISI_EEEEENSH_IJSG_SG_SG_EEES9_SI_JZNS1_25segmented_radix_sort_implINS0_14default_configELb0EPKlPlSQ_SR_N2at6native12_GLOBAL__N_18offset_tEEE10hipError_tPvRmT1_PNSt15iterator_traitsISZ_E10value_typeET2_T3_PNS10_IS15_E10value_typeET4_jRbjT5_S1B_jjP12ihipStream_tbEUljE_ZNSN_ISO_Lb0ESQ_SR_SQ_SR_SV_EESW_SX_SY_SZ_S13_S14_S15_S18_S19_jS1A_jS1B_S1B_jjS1D_bEUljE0_EEESW_SX_SY_S15_S19_S1B_T6_T7_T9_mT8_S1D_bDpT10_ENKUlT_T0_E_clISt17integral_constantIbLb1EES1Q_IbLb0EEEEDaS1M_S1N_EUlS1M_E_NS1_11comp_targetILNS1_3genE3ELNS1_11target_archE908ELNS1_3gpuE7ELNS1_3repE0EEENS1_30default_config_static_selectorELNS0_4arch9wavefront6targetE0EEEvSZ_, .Lfunc_end762-_ZN7rocprim17ROCPRIM_400000_NS6detail17trampoline_kernelINS0_13select_configILj256ELj13ELNS0_17block_load_methodE3ELS4_3ELS4_3ELNS0_20block_scan_algorithmE0ELj4294967295EEENS1_25partition_config_selectorILNS1_17partition_subalgoE4EjNS0_10empty_typeEbEEZZNS1_14partition_implILS8_4ELb0ES6_15HIP_vector_typeIjLj2EENS0_17counting_iteratorIjlEEPS9_SG_NS0_5tupleIJPjSI_NS0_16reverse_iteratorISI_EEEEENSH_IJSG_SG_SG_EEES9_SI_JZNS1_25segmented_radix_sort_implINS0_14default_configELb0EPKlPlSQ_SR_N2at6native12_GLOBAL__N_18offset_tEEE10hipError_tPvRmT1_PNSt15iterator_traitsISZ_E10value_typeET2_T3_PNS10_IS15_E10value_typeET4_jRbjT5_S1B_jjP12ihipStream_tbEUljE_ZNSN_ISO_Lb0ESQ_SR_SQ_SR_SV_EESW_SX_SY_SZ_S13_S14_S15_S18_S19_jS1A_jS1B_S1B_jjS1D_bEUljE0_EEESW_SX_SY_S15_S19_S1B_T6_T7_T9_mT8_S1D_bDpT10_ENKUlT_T0_E_clISt17integral_constantIbLb1EES1Q_IbLb0EEEEDaS1M_S1N_EUlS1M_E_NS1_11comp_targetILNS1_3genE3ELNS1_11target_archE908ELNS1_3gpuE7ELNS1_3repE0EEENS1_30default_config_static_selectorELNS0_4arch9wavefront6targetE0EEEvSZ_
                                        ; -- End function
	.section	.AMDGPU.csdata,"",@progbits
; Kernel info:
; codeLenInByte = 0
; NumSgprs: 0
; NumVgprs: 0
; ScratchSize: 0
; MemoryBound: 0
; FloatMode: 240
; IeeeMode: 1
; LDSByteSize: 0 bytes/workgroup (compile time only)
; SGPRBlocks: 0
; VGPRBlocks: 0
; NumSGPRsForWavesPerEU: 1
; NumVGPRsForWavesPerEU: 1
; Occupancy: 16
; WaveLimiterHint : 0
; COMPUTE_PGM_RSRC2:SCRATCH_EN: 0
; COMPUTE_PGM_RSRC2:USER_SGPR: 15
; COMPUTE_PGM_RSRC2:TRAP_HANDLER: 0
; COMPUTE_PGM_RSRC2:TGID_X_EN: 1
; COMPUTE_PGM_RSRC2:TGID_Y_EN: 0
; COMPUTE_PGM_RSRC2:TGID_Z_EN: 0
; COMPUTE_PGM_RSRC2:TIDIG_COMP_CNT: 0
	.section	.text._ZN7rocprim17ROCPRIM_400000_NS6detail17trampoline_kernelINS0_13select_configILj256ELj13ELNS0_17block_load_methodE3ELS4_3ELS4_3ELNS0_20block_scan_algorithmE0ELj4294967295EEENS1_25partition_config_selectorILNS1_17partition_subalgoE4EjNS0_10empty_typeEbEEZZNS1_14partition_implILS8_4ELb0ES6_15HIP_vector_typeIjLj2EENS0_17counting_iteratorIjlEEPS9_SG_NS0_5tupleIJPjSI_NS0_16reverse_iteratorISI_EEEEENSH_IJSG_SG_SG_EEES9_SI_JZNS1_25segmented_radix_sort_implINS0_14default_configELb0EPKlPlSQ_SR_N2at6native12_GLOBAL__N_18offset_tEEE10hipError_tPvRmT1_PNSt15iterator_traitsISZ_E10value_typeET2_T3_PNS10_IS15_E10value_typeET4_jRbjT5_S1B_jjP12ihipStream_tbEUljE_ZNSN_ISO_Lb0ESQ_SR_SQ_SR_SV_EESW_SX_SY_SZ_S13_S14_S15_S18_S19_jS1A_jS1B_S1B_jjS1D_bEUljE0_EEESW_SX_SY_S15_S19_S1B_T6_T7_T9_mT8_S1D_bDpT10_ENKUlT_T0_E_clISt17integral_constantIbLb1EES1Q_IbLb0EEEEDaS1M_S1N_EUlS1M_E_NS1_11comp_targetILNS1_3genE2ELNS1_11target_archE906ELNS1_3gpuE6ELNS1_3repE0EEENS1_30default_config_static_selectorELNS0_4arch9wavefront6targetE0EEEvSZ_,"axG",@progbits,_ZN7rocprim17ROCPRIM_400000_NS6detail17trampoline_kernelINS0_13select_configILj256ELj13ELNS0_17block_load_methodE3ELS4_3ELS4_3ELNS0_20block_scan_algorithmE0ELj4294967295EEENS1_25partition_config_selectorILNS1_17partition_subalgoE4EjNS0_10empty_typeEbEEZZNS1_14partition_implILS8_4ELb0ES6_15HIP_vector_typeIjLj2EENS0_17counting_iteratorIjlEEPS9_SG_NS0_5tupleIJPjSI_NS0_16reverse_iteratorISI_EEEEENSH_IJSG_SG_SG_EEES9_SI_JZNS1_25segmented_radix_sort_implINS0_14default_configELb0EPKlPlSQ_SR_N2at6native12_GLOBAL__N_18offset_tEEE10hipError_tPvRmT1_PNSt15iterator_traitsISZ_E10value_typeET2_T3_PNS10_IS15_E10value_typeET4_jRbjT5_S1B_jjP12ihipStream_tbEUljE_ZNSN_ISO_Lb0ESQ_SR_SQ_SR_SV_EESW_SX_SY_SZ_S13_S14_S15_S18_S19_jS1A_jS1B_S1B_jjS1D_bEUljE0_EEESW_SX_SY_S15_S19_S1B_T6_T7_T9_mT8_S1D_bDpT10_ENKUlT_T0_E_clISt17integral_constantIbLb1EES1Q_IbLb0EEEEDaS1M_S1N_EUlS1M_E_NS1_11comp_targetILNS1_3genE2ELNS1_11target_archE906ELNS1_3gpuE6ELNS1_3repE0EEENS1_30default_config_static_selectorELNS0_4arch9wavefront6targetE0EEEvSZ_,comdat
	.globl	_ZN7rocprim17ROCPRIM_400000_NS6detail17trampoline_kernelINS0_13select_configILj256ELj13ELNS0_17block_load_methodE3ELS4_3ELS4_3ELNS0_20block_scan_algorithmE0ELj4294967295EEENS1_25partition_config_selectorILNS1_17partition_subalgoE4EjNS0_10empty_typeEbEEZZNS1_14partition_implILS8_4ELb0ES6_15HIP_vector_typeIjLj2EENS0_17counting_iteratorIjlEEPS9_SG_NS0_5tupleIJPjSI_NS0_16reverse_iteratorISI_EEEEENSH_IJSG_SG_SG_EEES9_SI_JZNS1_25segmented_radix_sort_implINS0_14default_configELb0EPKlPlSQ_SR_N2at6native12_GLOBAL__N_18offset_tEEE10hipError_tPvRmT1_PNSt15iterator_traitsISZ_E10value_typeET2_T3_PNS10_IS15_E10value_typeET4_jRbjT5_S1B_jjP12ihipStream_tbEUljE_ZNSN_ISO_Lb0ESQ_SR_SQ_SR_SV_EESW_SX_SY_SZ_S13_S14_S15_S18_S19_jS1A_jS1B_S1B_jjS1D_bEUljE0_EEESW_SX_SY_S15_S19_S1B_T6_T7_T9_mT8_S1D_bDpT10_ENKUlT_T0_E_clISt17integral_constantIbLb1EES1Q_IbLb0EEEEDaS1M_S1N_EUlS1M_E_NS1_11comp_targetILNS1_3genE2ELNS1_11target_archE906ELNS1_3gpuE6ELNS1_3repE0EEENS1_30default_config_static_selectorELNS0_4arch9wavefront6targetE0EEEvSZ_ ; -- Begin function _ZN7rocprim17ROCPRIM_400000_NS6detail17trampoline_kernelINS0_13select_configILj256ELj13ELNS0_17block_load_methodE3ELS4_3ELS4_3ELNS0_20block_scan_algorithmE0ELj4294967295EEENS1_25partition_config_selectorILNS1_17partition_subalgoE4EjNS0_10empty_typeEbEEZZNS1_14partition_implILS8_4ELb0ES6_15HIP_vector_typeIjLj2EENS0_17counting_iteratorIjlEEPS9_SG_NS0_5tupleIJPjSI_NS0_16reverse_iteratorISI_EEEEENSH_IJSG_SG_SG_EEES9_SI_JZNS1_25segmented_radix_sort_implINS0_14default_configELb0EPKlPlSQ_SR_N2at6native12_GLOBAL__N_18offset_tEEE10hipError_tPvRmT1_PNSt15iterator_traitsISZ_E10value_typeET2_T3_PNS10_IS15_E10value_typeET4_jRbjT5_S1B_jjP12ihipStream_tbEUljE_ZNSN_ISO_Lb0ESQ_SR_SQ_SR_SV_EESW_SX_SY_SZ_S13_S14_S15_S18_S19_jS1A_jS1B_S1B_jjS1D_bEUljE0_EEESW_SX_SY_S15_S19_S1B_T6_T7_T9_mT8_S1D_bDpT10_ENKUlT_T0_E_clISt17integral_constantIbLb1EES1Q_IbLb0EEEEDaS1M_S1N_EUlS1M_E_NS1_11comp_targetILNS1_3genE2ELNS1_11target_archE906ELNS1_3gpuE6ELNS1_3repE0EEENS1_30default_config_static_selectorELNS0_4arch9wavefront6targetE0EEEvSZ_
	.p2align	8
	.type	_ZN7rocprim17ROCPRIM_400000_NS6detail17trampoline_kernelINS0_13select_configILj256ELj13ELNS0_17block_load_methodE3ELS4_3ELS4_3ELNS0_20block_scan_algorithmE0ELj4294967295EEENS1_25partition_config_selectorILNS1_17partition_subalgoE4EjNS0_10empty_typeEbEEZZNS1_14partition_implILS8_4ELb0ES6_15HIP_vector_typeIjLj2EENS0_17counting_iteratorIjlEEPS9_SG_NS0_5tupleIJPjSI_NS0_16reverse_iteratorISI_EEEEENSH_IJSG_SG_SG_EEES9_SI_JZNS1_25segmented_radix_sort_implINS0_14default_configELb0EPKlPlSQ_SR_N2at6native12_GLOBAL__N_18offset_tEEE10hipError_tPvRmT1_PNSt15iterator_traitsISZ_E10value_typeET2_T3_PNS10_IS15_E10value_typeET4_jRbjT5_S1B_jjP12ihipStream_tbEUljE_ZNSN_ISO_Lb0ESQ_SR_SQ_SR_SV_EESW_SX_SY_SZ_S13_S14_S15_S18_S19_jS1A_jS1B_S1B_jjS1D_bEUljE0_EEESW_SX_SY_S15_S19_S1B_T6_T7_T9_mT8_S1D_bDpT10_ENKUlT_T0_E_clISt17integral_constantIbLb1EES1Q_IbLb0EEEEDaS1M_S1N_EUlS1M_E_NS1_11comp_targetILNS1_3genE2ELNS1_11target_archE906ELNS1_3gpuE6ELNS1_3repE0EEENS1_30default_config_static_selectorELNS0_4arch9wavefront6targetE0EEEvSZ_,@function
_ZN7rocprim17ROCPRIM_400000_NS6detail17trampoline_kernelINS0_13select_configILj256ELj13ELNS0_17block_load_methodE3ELS4_3ELS4_3ELNS0_20block_scan_algorithmE0ELj4294967295EEENS1_25partition_config_selectorILNS1_17partition_subalgoE4EjNS0_10empty_typeEbEEZZNS1_14partition_implILS8_4ELb0ES6_15HIP_vector_typeIjLj2EENS0_17counting_iteratorIjlEEPS9_SG_NS0_5tupleIJPjSI_NS0_16reverse_iteratorISI_EEEEENSH_IJSG_SG_SG_EEES9_SI_JZNS1_25segmented_radix_sort_implINS0_14default_configELb0EPKlPlSQ_SR_N2at6native12_GLOBAL__N_18offset_tEEE10hipError_tPvRmT1_PNSt15iterator_traitsISZ_E10value_typeET2_T3_PNS10_IS15_E10value_typeET4_jRbjT5_S1B_jjP12ihipStream_tbEUljE_ZNSN_ISO_Lb0ESQ_SR_SQ_SR_SV_EESW_SX_SY_SZ_S13_S14_S15_S18_S19_jS1A_jS1B_S1B_jjS1D_bEUljE0_EEESW_SX_SY_S15_S19_S1B_T6_T7_T9_mT8_S1D_bDpT10_ENKUlT_T0_E_clISt17integral_constantIbLb1EES1Q_IbLb0EEEEDaS1M_S1N_EUlS1M_E_NS1_11comp_targetILNS1_3genE2ELNS1_11target_archE906ELNS1_3gpuE6ELNS1_3repE0EEENS1_30default_config_static_selectorELNS0_4arch9wavefront6targetE0EEEvSZ_: ; @_ZN7rocprim17ROCPRIM_400000_NS6detail17trampoline_kernelINS0_13select_configILj256ELj13ELNS0_17block_load_methodE3ELS4_3ELS4_3ELNS0_20block_scan_algorithmE0ELj4294967295EEENS1_25partition_config_selectorILNS1_17partition_subalgoE4EjNS0_10empty_typeEbEEZZNS1_14partition_implILS8_4ELb0ES6_15HIP_vector_typeIjLj2EENS0_17counting_iteratorIjlEEPS9_SG_NS0_5tupleIJPjSI_NS0_16reverse_iteratorISI_EEEEENSH_IJSG_SG_SG_EEES9_SI_JZNS1_25segmented_radix_sort_implINS0_14default_configELb0EPKlPlSQ_SR_N2at6native12_GLOBAL__N_18offset_tEEE10hipError_tPvRmT1_PNSt15iterator_traitsISZ_E10value_typeET2_T3_PNS10_IS15_E10value_typeET4_jRbjT5_S1B_jjP12ihipStream_tbEUljE_ZNSN_ISO_Lb0ESQ_SR_SQ_SR_SV_EESW_SX_SY_SZ_S13_S14_S15_S18_S19_jS1A_jS1B_S1B_jjS1D_bEUljE0_EEESW_SX_SY_S15_S19_S1B_T6_T7_T9_mT8_S1D_bDpT10_ENKUlT_T0_E_clISt17integral_constantIbLb1EES1Q_IbLb0EEEEDaS1M_S1N_EUlS1M_E_NS1_11comp_targetILNS1_3genE2ELNS1_11target_archE906ELNS1_3gpuE6ELNS1_3repE0EEENS1_30default_config_static_selectorELNS0_4arch9wavefront6targetE0EEEvSZ_
; %bb.0:
	.section	.rodata,"a",@progbits
	.p2align	6, 0x0
	.amdhsa_kernel _ZN7rocprim17ROCPRIM_400000_NS6detail17trampoline_kernelINS0_13select_configILj256ELj13ELNS0_17block_load_methodE3ELS4_3ELS4_3ELNS0_20block_scan_algorithmE0ELj4294967295EEENS1_25partition_config_selectorILNS1_17partition_subalgoE4EjNS0_10empty_typeEbEEZZNS1_14partition_implILS8_4ELb0ES6_15HIP_vector_typeIjLj2EENS0_17counting_iteratorIjlEEPS9_SG_NS0_5tupleIJPjSI_NS0_16reverse_iteratorISI_EEEEENSH_IJSG_SG_SG_EEES9_SI_JZNS1_25segmented_radix_sort_implINS0_14default_configELb0EPKlPlSQ_SR_N2at6native12_GLOBAL__N_18offset_tEEE10hipError_tPvRmT1_PNSt15iterator_traitsISZ_E10value_typeET2_T3_PNS10_IS15_E10value_typeET4_jRbjT5_S1B_jjP12ihipStream_tbEUljE_ZNSN_ISO_Lb0ESQ_SR_SQ_SR_SV_EESW_SX_SY_SZ_S13_S14_S15_S18_S19_jS1A_jS1B_S1B_jjS1D_bEUljE0_EEESW_SX_SY_S15_S19_S1B_T6_T7_T9_mT8_S1D_bDpT10_ENKUlT_T0_E_clISt17integral_constantIbLb1EES1Q_IbLb0EEEEDaS1M_S1N_EUlS1M_E_NS1_11comp_targetILNS1_3genE2ELNS1_11target_archE906ELNS1_3gpuE6ELNS1_3repE0EEENS1_30default_config_static_selectorELNS0_4arch9wavefront6targetE0EEEvSZ_
		.amdhsa_group_segment_fixed_size 0
		.amdhsa_private_segment_fixed_size 0
		.amdhsa_kernarg_size 176
		.amdhsa_user_sgpr_count 15
		.amdhsa_user_sgpr_dispatch_ptr 0
		.amdhsa_user_sgpr_queue_ptr 0
		.amdhsa_user_sgpr_kernarg_segment_ptr 1
		.amdhsa_user_sgpr_dispatch_id 0
		.amdhsa_user_sgpr_private_segment_size 0
		.amdhsa_wavefront_size32 1
		.amdhsa_uses_dynamic_stack 0
		.amdhsa_enable_private_segment 0
		.amdhsa_system_sgpr_workgroup_id_x 1
		.amdhsa_system_sgpr_workgroup_id_y 0
		.amdhsa_system_sgpr_workgroup_id_z 0
		.amdhsa_system_sgpr_workgroup_info 0
		.amdhsa_system_vgpr_workitem_id 0
		.amdhsa_next_free_vgpr 1
		.amdhsa_next_free_sgpr 1
		.amdhsa_reserve_vcc 0
		.amdhsa_float_round_mode_32 0
		.amdhsa_float_round_mode_16_64 0
		.amdhsa_float_denorm_mode_32 3
		.amdhsa_float_denorm_mode_16_64 3
		.amdhsa_dx10_clamp 1
		.amdhsa_ieee_mode 1
		.amdhsa_fp16_overflow 0
		.amdhsa_workgroup_processor_mode 1
		.amdhsa_memory_ordered 1
		.amdhsa_forward_progress 0
		.amdhsa_shared_vgpr_count 0
		.amdhsa_exception_fp_ieee_invalid_op 0
		.amdhsa_exception_fp_denorm_src 0
		.amdhsa_exception_fp_ieee_div_zero 0
		.amdhsa_exception_fp_ieee_overflow 0
		.amdhsa_exception_fp_ieee_underflow 0
		.amdhsa_exception_fp_ieee_inexact 0
		.amdhsa_exception_int_div_zero 0
	.end_amdhsa_kernel
	.section	.text._ZN7rocprim17ROCPRIM_400000_NS6detail17trampoline_kernelINS0_13select_configILj256ELj13ELNS0_17block_load_methodE3ELS4_3ELS4_3ELNS0_20block_scan_algorithmE0ELj4294967295EEENS1_25partition_config_selectorILNS1_17partition_subalgoE4EjNS0_10empty_typeEbEEZZNS1_14partition_implILS8_4ELb0ES6_15HIP_vector_typeIjLj2EENS0_17counting_iteratorIjlEEPS9_SG_NS0_5tupleIJPjSI_NS0_16reverse_iteratorISI_EEEEENSH_IJSG_SG_SG_EEES9_SI_JZNS1_25segmented_radix_sort_implINS0_14default_configELb0EPKlPlSQ_SR_N2at6native12_GLOBAL__N_18offset_tEEE10hipError_tPvRmT1_PNSt15iterator_traitsISZ_E10value_typeET2_T3_PNS10_IS15_E10value_typeET4_jRbjT5_S1B_jjP12ihipStream_tbEUljE_ZNSN_ISO_Lb0ESQ_SR_SQ_SR_SV_EESW_SX_SY_SZ_S13_S14_S15_S18_S19_jS1A_jS1B_S1B_jjS1D_bEUljE0_EEESW_SX_SY_S15_S19_S1B_T6_T7_T9_mT8_S1D_bDpT10_ENKUlT_T0_E_clISt17integral_constantIbLb1EES1Q_IbLb0EEEEDaS1M_S1N_EUlS1M_E_NS1_11comp_targetILNS1_3genE2ELNS1_11target_archE906ELNS1_3gpuE6ELNS1_3repE0EEENS1_30default_config_static_selectorELNS0_4arch9wavefront6targetE0EEEvSZ_,"axG",@progbits,_ZN7rocprim17ROCPRIM_400000_NS6detail17trampoline_kernelINS0_13select_configILj256ELj13ELNS0_17block_load_methodE3ELS4_3ELS4_3ELNS0_20block_scan_algorithmE0ELj4294967295EEENS1_25partition_config_selectorILNS1_17partition_subalgoE4EjNS0_10empty_typeEbEEZZNS1_14partition_implILS8_4ELb0ES6_15HIP_vector_typeIjLj2EENS0_17counting_iteratorIjlEEPS9_SG_NS0_5tupleIJPjSI_NS0_16reverse_iteratorISI_EEEEENSH_IJSG_SG_SG_EEES9_SI_JZNS1_25segmented_radix_sort_implINS0_14default_configELb0EPKlPlSQ_SR_N2at6native12_GLOBAL__N_18offset_tEEE10hipError_tPvRmT1_PNSt15iterator_traitsISZ_E10value_typeET2_T3_PNS10_IS15_E10value_typeET4_jRbjT5_S1B_jjP12ihipStream_tbEUljE_ZNSN_ISO_Lb0ESQ_SR_SQ_SR_SV_EESW_SX_SY_SZ_S13_S14_S15_S18_S19_jS1A_jS1B_S1B_jjS1D_bEUljE0_EEESW_SX_SY_S15_S19_S1B_T6_T7_T9_mT8_S1D_bDpT10_ENKUlT_T0_E_clISt17integral_constantIbLb1EES1Q_IbLb0EEEEDaS1M_S1N_EUlS1M_E_NS1_11comp_targetILNS1_3genE2ELNS1_11target_archE906ELNS1_3gpuE6ELNS1_3repE0EEENS1_30default_config_static_selectorELNS0_4arch9wavefront6targetE0EEEvSZ_,comdat
.Lfunc_end763:
	.size	_ZN7rocprim17ROCPRIM_400000_NS6detail17trampoline_kernelINS0_13select_configILj256ELj13ELNS0_17block_load_methodE3ELS4_3ELS4_3ELNS0_20block_scan_algorithmE0ELj4294967295EEENS1_25partition_config_selectorILNS1_17partition_subalgoE4EjNS0_10empty_typeEbEEZZNS1_14partition_implILS8_4ELb0ES6_15HIP_vector_typeIjLj2EENS0_17counting_iteratorIjlEEPS9_SG_NS0_5tupleIJPjSI_NS0_16reverse_iteratorISI_EEEEENSH_IJSG_SG_SG_EEES9_SI_JZNS1_25segmented_radix_sort_implINS0_14default_configELb0EPKlPlSQ_SR_N2at6native12_GLOBAL__N_18offset_tEEE10hipError_tPvRmT1_PNSt15iterator_traitsISZ_E10value_typeET2_T3_PNS10_IS15_E10value_typeET4_jRbjT5_S1B_jjP12ihipStream_tbEUljE_ZNSN_ISO_Lb0ESQ_SR_SQ_SR_SV_EESW_SX_SY_SZ_S13_S14_S15_S18_S19_jS1A_jS1B_S1B_jjS1D_bEUljE0_EEESW_SX_SY_S15_S19_S1B_T6_T7_T9_mT8_S1D_bDpT10_ENKUlT_T0_E_clISt17integral_constantIbLb1EES1Q_IbLb0EEEEDaS1M_S1N_EUlS1M_E_NS1_11comp_targetILNS1_3genE2ELNS1_11target_archE906ELNS1_3gpuE6ELNS1_3repE0EEENS1_30default_config_static_selectorELNS0_4arch9wavefront6targetE0EEEvSZ_, .Lfunc_end763-_ZN7rocprim17ROCPRIM_400000_NS6detail17trampoline_kernelINS0_13select_configILj256ELj13ELNS0_17block_load_methodE3ELS4_3ELS4_3ELNS0_20block_scan_algorithmE0ELj4294967295EEENS1_25partition_config_selectorILNS1_17partition_subalgoE4EjNS0_10empty_typeEbEEZZNS1_14partition_implILS8_4ELb0ES6_15HIP_vector_typeIjLj2EENS0_17counting_iteratorIjlEEPS9_SG_NS0_5tupleIJPjSI_NS0_16reverse_iteratorISI_EEEEENSH_IJSG_SG_SG_EEES9_SI_JZNS1_25segmented_radix_sort_implINS0_14default_configELb0EPKlPlSQ_SR_N2at6native12_GLOBAL__N_18offset_tEEE10hipError_tPvRmT1_PNSt15iterator_traitsISZ_E10value_typeET2_T3_PNS10_IS15_E10value_typeET4_jRbjT5_S1B_jjP12ihipStream_tbEUljE_ZNSN_ISO_Lb0ESQ_SR_SQ_SR_SV_EESW_SX_SY_SZ_S13_S14_S15_S18_S19_jS1A_jS1B_S1B_jjS1D_bEUljE0_EEESW_SX_SY_S15_S19_S1B_T6_T7_T9_mT8_S1D_bDpT10_ENKUlT_T0_E_clISt17integral_constantIbLb1EES1Q_IbLb0EEEEDaS1M_S1N_EUlS1M_E_NS1_11comp_targetILNS1_3genE2ELNS1_11target_archE906ELNS1_3gpuE6ELNS1_3repE0EEENS1_30default_config_static_selectorELNS0_4arch9wavefront6targetE0EEEvSZ_
                                        ; -- End function
	.section	.AMDGPU.csdata,"",@progbits
; Kernel info:
; codeLenInByte = 0
; NumSgprs: 0
; NumVgprs: 0
; ScratchSize: 0
; MemoryBound: 0
; FloatMode: 240
; IeeeMode: 1
; LDSByteSize: 0 bytes/workgroup (compile time only)
; SGPRBlocks: 0
; VGPRBlocks: 0
; NumSGPRsForWavesPerEU: 1
; NumVGPRsForWavesPerEU: 1
; Occupancy: 16
; WaveLimiterHint : 0
; COMPUTE_PGM_RSRC2:SCRATCH_EN: 0
; COMPUTE_PGM_RSRC2:USER_SGPR: 15
; COMPUTE_PGM_RSRC2:TRAP_HANDLER: 0
; COMPUTE_PGM_RSRC2:TGID_X_EN: 1
; COMPUTE_PGM_RSRC2:TGID_Y_EN: 0
; COMPUTE_PGM_RSRC2:TGID_Z_EN: 0
; COMPUTE_PGM_RSRC2:TIDIG_COMP_CNT: 0
	.section	.text._ZN7rocprim17ROCPRIM_400000_NS6detail17trampoline_kernelINS0_13select_configILj256ELj13ELNS0_17block_load_methodE3ELS4_3ELS4_3ELNS0_20block_scan_algorithmE0ELj4294967295EEENS1_25partition_config_selectorILNS1_17partition_subalgoE4EjNS0_10empty_typeEbEEZZNS1_14partition_implILS8_4ELb0ES6_15HIP_vector_typeIjLj2EENS0_17counting_iteratorIjlEEPS9_SG_NS0_5tupleIJPjSI_NS0_16reverse_iteratorISI_EEEEENSH_IJSG_SG_SG_EEES9_SI_JZNS1_25segmented_radix_sort_implINS0_14default_configELb0EPKlPlSQ_SR_N2at6native12_GLOBAL__N_18offset_tEEE10hipError_tPvRmT1_PNSt15iterator_traitsISZ_E10value_typeET2_T3_PNS10_IS15_E10value_typeET4_jRbjT5_S1B_jjP12ihipStream_tbEUljE_ZNSN_ISO_Lb0ESQ_SR_SQ_SR_SV_EESW_SX_SY_SZ_S13_S14_S15_S18_S19_jS1A_jS1B_S1B_jjS1D_bEUljE0_EEESW_SX_SY_S15_S19_S1B_T6_T7_T9_mT8_S1D_bDpT10_ENKUlT_T0_E_clISt17integral_constantIbLb1EES1Q_IbLb0EEEEDaS1M_S1N_EUlS1M_E_NS1_11comp_targetILNS1_3genE10ELNS1_11target_archE1200ELNS1_3gpuE4ELNS1_3repE0EEENS1_30default_config_static_selectorELNS0_4arch9wavefront6targetE0EEEvSZ_,"axG",@progbits,_ZN7rocprim17ROCPRIM_400000_NS6detail17trampoline_kernelINS0_13select_configILj256ELj13ELNS0_17block_load_methodE3ELS4_3ELS4_3ELNS0_20block_scan_algorithmE0ELj4294967295EEENS1_25partition_config_selectorILNS1_17partition_subalgoE4EjNS0_10empty_typeEbEEZZNS1_14partition_implILS8_4ELb0ES6_15HIP_vector_typeIjLj2EENS0_17counting_iteratorIjlEEPS9_SG_NS0_5tupleIJPjSI_NS0_16reverse_iteratorISI_EEEEENSH_IJSG_SG_SG_EEES9_SI_JZNS1_25segmented_radix_sort_implINS0_14default_configELb0EPKlPlSQ_SR_N2at6native12_GLOBAL__N_18offset_tEEE10hipError_tPvRmT1_PNSt15iterator_traitsISZ_E10value_typeET2_T3_PNS10_IS15_E10value_typeET4_jRbjT5_S1B_jjP12ihipStream_tbEUljE_ZNSN_ISO_Lb0ESQ_SR_SQ_SR_SV_EESW_SX_SY_SZ_S13_S14_S15_S18_S19_jS1A_jS1B_S1B_jjS1D_bEUljE0_EEESW_SX_SY_S15_S19_S1B_T6_T7_T9_mT8_S1D_bDpT10_ENKUlT_T0_E_clISt17integral_constantIbLb1EES1Q_IbLb0EEEEDaS1M_S1N_EUlS1M_E_NS1_11comp_targetILNS1_3genE10ELNS1_11target_archE1200ELNS1_3gpuE4ELNS1_3repE0EEENS1_30default_config_static_selectorELNS0_4arch9wavefront6targetE0EEEvSZ_,comdat
	.globl	_ZN7rocprim17ROCPRIM_400000_NS6detail17trampoline_kernelINS0_13select_configILj256ELj13ELNS0_17block_load_methodE3ELS4_3ELS4_3ELNS0_20block_scan_algorithmE0ELj4294967295EEENS1_25partition_config_selectorILNS1_17partition_subalgoE4EjNS0_10empty_typeEbEEZZNS1_14partition_implILS8_4ELb0ES6_15HIP_vector_typeIjLj2EENS0_17counting_iteratorIjlEEPS9_SG_NS0_5tupleIJPjSI_NS0_16reverse_iteratorISI_EEEEENSH_IJSG_SG_SG_EEES9_SI_JZNS1_25segmented_radix_sort_implINS0_14default_configELb0EPKlPlSQ_SR_N2at6native12_GLOBAL__N_18offset_tEEE10hipError_tPvRmT1_PNSt15iterator_traitsISZ_E10value_typeET2_T3_PNS10_IS15_E10value_typeET4_jRbjT5_S1B_jjP12ihipStream_tbEUljE_ZNSN_ISO_Lb0ESQ_SR_SQ_SR_SV_EESW_SX_SY_SZ_S13_S14_S15_S18_S19_jS1A_jS1B_S1B_jjS1D_bEUljE0_EEESW_SX_SY_S15_S19_S1B_T6_T7_T9_mT8_S1D_bDpT10_ENKUlT_T0_E_clISt17integral_constantIbLb1EES1Q_IbLb0EEEEDaS1M_S1N_EUlS1M_E_NS1_11comp_targetILNS1_3genE10ELNS1_11target_archE1200ELNS1_3gpuE4ELNS1_3repE0EEENS1_30default_config_static_selectorELNS0_4arch9wavefront6targetE0EEEvSZ_ ; -- Begin function _ZN7rocprim17ROCPRIM_400000_NS6detail17trampoline_kernelINS0_13select_configILj256ELj13ELNS0_17block_load_methodE3ELS4_3ELS4_3ELNS0_20block_scan_algorithmE0ELj4294967295EEENS1_25partition_config_selectorILNS1_17partition_subalgoE4EjNS0_10empty_typeEbEEZZNS1_14partition_implILS8_4ELb0ES6_15HIP_vector_typeIjLj2EENS0_17counting_iteratorIjlEEPS9_SG_NS0_5tupleIJPjSI_NS0_16reverse_iteratorISI_EEEEENSH_IJSG_SG_SG_EEES9_SI_JZNS1_25segmented_radix_sort_implINS0_14default_configELb0EPKlPlSQ_SR_N2at6native12_GLOBAL__N_18offset_tEEE10hipError_tPvRmT1_PNSt15iterator_traitsISZ_E10value_typeET2_T3_PNS10_IS15_E10value_typeET4_jRbjT5_S1B_jjP12ihipStream_tbEUljE_ZNSN_ISO_Lb0ESQ_SR_SQ_SR_SV_EESW_SX_SY_SZ_S13_S14_S15_S18_S19_jS1A_jS1B_S1B_jjS1D_bEUljE0_EEESW_SX_SY_S15_S19_S1B_T6_T7_T9_mT8_S1D_bDpT10_ENKUlT_T0_E_clISt17integral_constantIbLb1EES1Q_IbLb0EEEEDaS1M_S1N_EUlS1M_E_NS1_11comp_targetILNS1_3genE10ELNS1_11target_archE1200ELNS1_3gpuE4ELNS1_3repE0EEENS1_30default_config_static_selectorELNS0_4arch9wavefront6targetE0EEEvSZ_
	.p2align	8
	.type	_ZN7rocprim17ROCPRIM_400000_NS6detail17trampoline_kernelINS0_13select_configILj256ELj13ELNS0_17block_load_methodE3ELS4_3ELS4_3ELNS0_20block_scan_algorithmE0ELj4294967295EEENS1_25partition_config_selectorILNS1_17partition_subalgoE4EjNS0_10empty_typeEbEEZZNS1_14partition_implILS8_4ELb0ES6_15HIP_vector_typeIjLj2EENS0_17counting_iteratorIjlEEPS9_SG_NS0_5tupleIJPjSI_NS0_16reverse_iteratorISI_EEEEENSH_IJSG_SG_SG_EEES9_SI_JZNS1_25segmented_radix_sort_implINS0_14default_configELb0EPKlPlSQ_SR_N2at6native12_GLOBAL__N_18offset_tEEE10hipError_tPvRmT1_PNSt15iterator_traitsISZ_E10value_typeET2_T3_PNS10_IS15_E10value_typeET4_jRbjT5_S1B_jjP12ihipStream_tbEUljE_ZNSN_ISO_Lb0ESQ_SR_SQ_SR_SV_EESW_SX_SY_SZ_S13_S14_S15_S18_S19_jS1A_jS1B_S1B_jjS1D_bEUljE0_EEESW_SX_SY_S15_S19_S1B_T6_T7_T9_mT8_S1D_bDpT10_ENKUlT_T0_E_clISt17integral_constantIbLb1EES1Q_IbLb0EEEEDaS1M_S1N_EUlS1M_E_NS1_11comp_targetILNS1_3genE10ELNS1_11target_archE1200ELNS1_3gpuE4ELNS1_3repE0EEENS1_30default_config_static_selectorELNS0_4arch9wavefront6targetE0EEEvSZ_,@function
_ZN7rocprim17ROCPRIM_400000_NS6detail17trampoline_kernelINS0_13select_configILj256ELj13ELNS0_17block_load_methodE3ELS4_3ELS4_3ELNS0_20block_scan_algorithmE0ELj4294967295EEENS1_25partition_config_selectorILNS1_17partition_subalgoE4EjNS0_10empty_typeEbEEZZNS1_14partition_implILS8_4ELb0ES6_15HIP_vector_typeIjLj2EENS0_17counting_iteratorIjlEEPS9_SG_NS0_5tupleIJPjSI_NS0_16reverse_iteratorISI_EEEEENSH_IJSG_SG_SG_EEES9_SI_JZNS1_25segmented_radix_sort_implINS0_14default_configELb0EPKlPlSQ_SR_N2at6native12_GLOBAL__N_18offset_tEEE10hipError_tPvRmT1_PNSt15iterator_traitsISZ_E10value_typeET2_T3_PNS10_IS15_E10value_typeET4_jRbjT5_S1B_jjP12ihipStream_tbEUljE_ZNSN_ISO_Lb0ESQ_SR_SQ_SR_SV_EESW_SX_SY_SZ_S13_S14_S15_S18_S19_jS1A_jS1B_S1B_jjS1D_bEUljE0_EEESW_SX_SY_S15_S19_S1B_T6_T7_T9_mT8_S1D_bDpT10_ENKUlT_T0_E_clISt17integral_constantIbLb1EES1Q_IbLb0EEEEDaS1M_S1N_EUlS1M_E_NS1_11comp_targetILNS1_3genE10ELNS1_11target_archE1200ELNS1_3gpuE4ELNS1_3repE0EEENS1_30default_config_static_selectorELNS0_4arch9wavefront6targetE0EEEvSZ_: ; @_ZN7rocprim17ROCPRIM_400000_NS6detail17trampoline_kernelINS0_13select_configILj256ELj13ELNS0_17block_load_methodE3ELS4_3ELS4_3ELNS0_20block_scan_algorithmE0ELj4294967295EEENS1_25partition_config_selectorILNS1_17partition_subalgoE4EjNS0_10empty_typeEbEEZZNS1_14partition_implILS8_4ELb0ES6_15HIP_vector_typeIjLj2EENS0_17counting_iteratorIjlEEPS9_SG_NS0_5tupleIJPjSI_NS0_16reverse_iteratorISI_EEEEENSH_IJSG_SG_SG_EEES9_SI_JZNS1_25segmented_radix_sort_implINS0_14default_configELb0EPKlPlSQ_SR_N2at6native12_GLOBAL__N_18offset_tEEE10hipError_tPvRmT1_PNSt15iterator_traitsISZ_E10value_typeET2_T3_PNS10_IS15_E10value_typeET4_jRbjT5_S1B_jjP12ihipStream_tbEUljE_ZNSN_ISO_Lb0ESQ_SR_SQ_SR_SV_EESW_SX_SY_SZ_S13_S14_S15_S18_S19_jS1A_jS1B_S1B_jjS1D_bEUljE0_EEESW_SX_SY_S15_S19_S1B_T6_T7_T9_mT8_S1D_bDpT10_ENKUlT_T0_E_clISt17integral_constantIbLb1EES1Q_IbLb0EEEEDaS1M_S1N_EUlS1M_E_NS1_11comp_targetILNS1_3genE10ELNS1_11target_archE1200ELNS1_3gpuE4ELNS1_3repE0EEENS1_30default_config_static_selectorELNS0_4arch9wavefront6targetE0EEEvSZ_
; %bb.0:
	.section	.rodata,"a",@progbits
	.p2align	6, 0x0
	.amdhsa_kernel _ZN7rocprim17ROCPRIM_400000_NS6detail17trampoline_kernelINS0_13select_configILj256ELj13ELNS0_17block_load_methodE3ELS4_3ELS4_3ELNS0_20block_scan_algorithmE0ELj4294967295EEENS1_25partition_config_selectorILNS1_17partition_subalgoE4EjNS0_10empty_typeEbEEZZNS1_14partition_implILS8_4ELb0ES6_15HIP_vector_typeIjLj2EENS0_17counting_iteratorIjlEEPS9_SG_NS0_5tupleIJPjSI_NS0_16reverse_iteratorISI_EEEEENSH_IJSG_SG_SG_EEES9_SI_JZNS1_25segmented_radix_sort_implINS0_14default_configELb0EPKlPlSQ_SR_N2at6native12_GLOBAL__N_18offset_tEEE10hipError_tPvRmT1_PNSt15iterator_traitsISZ_E10value_typeET2_T3_PNS10_IS15_E10value_typeET4_jRbjT5_S1B_jjP12ihipStream_tbEUljE_ZNSN_ISO_Lb0ESQ_SR_SQ_SR_SV_EESW_SX_SY_SZ_S13_S14_S15_S18_S19_jS1A_jS1B_S1B_jjS1D_bEUljE0_EEESW_SX_SY_S15_S19_S1B_T6_T7_T9_mT8_S1D_bDpT10_ENKUlT_T0_E_clISt17integral_constantIbLb1EES1Q_IbLb0EEEEDaS1M_S1N_EUlS1M_E_NS1_11comp_targetILNS1_3genE10ELNS1_11target_archE1200ELNS1_3gpuE4ELNS1_3repE0EEENS1_30default_config_static_selectorELNS0_4arch9wavefront6targetE0EEEvSZ_
		.amdhsa_group_segment_fixed_size 0
		.amdhsa_private_segment_fixed_size 0
		.amdhsa_kernarg_size 176
		.amdhsa_user_sgpr_count 15
		.amdhsa_user_sgpr_dispatch_ptr 0
		.amdhsa_user_sgpr_queue_ptr 0
		.amdhsa_user_sgpr_kernarg_segment_ptr 1
		.amdhsa_user_sgpr_dispatch_id 0
		.amdhsa_user_sgpr_private_segment_size 0
		.amdhsa_wavefront_size32 1
		.amdhsa_uses_dynamic_stack 0
		.amdhsa_enable_private_segment 0
		.amdhsa_system_sgpr_workgroup_id_x 1
		.amdhsa_system_sgpr_workgroup_id_y 0
		.amdhsa_system_sgpr_workgroup_id_z 0
		.amdhsa_system_sgpr_workgroup_info 0
		.amdhsa_system_vgpr_workitem_id 0
		.amdhsa_next_free_vgpr 1
		.amdhsa_next_free_sgpr 1
		.amdhsa_reserve_vcc 0
		.amdhsa_float_round_mode_32 0
		.amdhsa_float_round_mode_16_64 0
		.amdhsa_float_denorm_mode_32 3
		.amdhsa_float_denorm_mode_16_64 3
		.amdhsa_dx10_clamp 1
		.amdhsa_ieee_mode 1
		.amdhsa_fp16_overflow 0
		.amdhsa_workgroup_processor_mode 1
		.amdhsa_memory_ordered 1
		.amdhsa_forward_progress 0
		.amdhsa_shared_vgpr_count 0
		.amdhsa_exception_fp_ieee_invalid_op 0
		.amdhsa_exception_fp_denorm_src 0
		.amdhsa_exception_fp_ieee_div_zero 0
		.amdhsa_exception_fp_ieee_overflow 0
		.amdhsa_exception_fp_ieee_underflow 0
		.amdhsa_exception_fp_ieee_inexact 0
		.amdhsa_exception_int_div_zero 0
	.end_amdhsa_kernel
	.section	.text._ZN7rocprim17ROCPRIM_400000_NS6detail17trampoline_kernelINS0_13select_configILj256ELj13ELNS0_17block_load_methodE3ELS4_3ELS4_3ELNS0_20block_scan_algorithmE0ELj4294967295EEENS1_25partition_config_selectorILNS1_17partition_subalgoE4EjNS0_10empty_typeEbEEZZNS1_14partition_implILS8_4ELb0ES6_15HIP_vector_typeIjLj2EENS0_17counting_iteratorIjlEEPS9_SG_NS0_5tupleIJPjSI_NS0_16reverse_iteratorISI_EEEEENSH_IJSG_SG_SG_EEES9_SI_JZNS1_25segmented_radix_sort_implINS0_14default_configELb0EPKlPlSQ_SR_N2at6native12_GLOBAL__N_18offset_tEEE10hipError_tPvRmT1_PNSt15iterator_traitsISZ_E10value_typeET2_T3_PNS10_IS15_E10value_typeET4_jRbjT5_S1B_jjP12ihipStream_tbEUljE_ZNSN_ISO_Lb0ESQ_SR_SQ_SR_SV_EESW_SX_SY_SZ_S13_S14_S15_S18_S19_jS1A_jS1B_S1B_jjS1D_bEUljE0_EEESW_SX_SY_S15_S19_S1B_T6_T7_T9_mT8_S1D_bDpT10_ENKUlT_T0_E_clISt17integral_constantIbLb1EES1Q_IbLb0EEEEDaS1M_S1N_EUlS1M_E_NS1_11comp_targetILNS1_3genE10ELNS1_11target_archE1200ELNS1_3gpuE4ELNS1_3repE0EEENS1_30default_config_static_selectorELNS0_4arch9wavefront6targetE0EEEvSZ_,"axG",@progbits,_ZN7rocprim17ROCPRIM_400000_NS6detail17trampoline_kernelINS0_13select_configILj256ELj13ELNS0_17block_load_methodE3ELS4_3ELS4_3ELNS0_20block_scan_algorithmE0ELj4294967295EEENS1_25partition_config_selectorILNS1_17partition_subalgoE4EjNS0_10empty_typeEbEEZZNS1_14partition_implILS8_4ELb0ES6_15HIP_vector_typeIjLj2EENS0_17counting_iteratorIjlEEPS9_SG_NS0_5tupleIJPjSI_NS0_16reverse_iteratorISI_EEEEENSH_IJSG_SG_SG_EEES9_SI_JZNS1_25segmented_radix_sort_implINS0_14default_configELb0EPKlPlSQ_SR_N2at6native12_GLOBAL__N_18offset_tEEE10hipError_tPvRmT1_PNSt15iterator_traitsISZ_E10value_typeET2_T3_PNS10_IS15_E10value_typeET4_jRbjT5_S1B_jjP12ihipStream_tbEUljE_ZNSN_ISO_Lb0ESQ_SR_SQ_SR_SV_EESW_SX_SY_SZ_S13_S14_S15_S18_S19_jS1A_jS1B_S1B_jjS1D_bEUljE0_EEESW_SX_SY_S15_S19_S1B_T6_T7_T9_mT8_S1D_bDpT10_ENKUlT_T0_E_clISt17integral_constantIbLb1EES1Q_IbLb0EEEEDaS1M_S1N_EUlS1M_E_NS1_11comp_targetILNS1_3genE10ELNS1_11target_archE1200ELNS1_3gpuE4ELNS1_3repE0EEENS1_30default_config_static_selectorELNS0_4arch9wavefront6targetE0EEEvSZ_,comdat
.Lfunc_end764:
	.size	_ZN7rocprim17ROCPRIM_400000_NS6detail17trampoline_kernelINS0_13select_configILj256ELj13ELNS0_17block_load_methodE3ELS4_3ELS4_3ELNS0_20block_scan_algorithmE0ELj4294967295EEENS1_25partition_config_selectorILNS1_17partition_subalgoE4EjNS0_10empty_typeEbEEZZNS1_14partition_implILS8_4ELb0ES6_15HIP_vector_typeIjLj2EENS0_17counting_iteratorIjlEEPS9_SG_NS0_5tupleIJPjSI_NS0_16reverse_iteratorISI_EEEEENSH_IJSG_SG_SG_EEES9_SI_JZNS1_25segmented_radix_sort_implINS0_14default_configELb0EPKlPlSQ_SR_N2at6native12_GLOBAL__N_18offset_tEEE10hipError_tPvRmT1_PNSt15iterator_traitsISZ_E10value_typeET2_T3_PNS10_IS15_E10value_typeET4_jRbjT5_S1B_jjP12ihipStream_tbEUljE_ZNSN_ISO_Lb0ESQ_SR_SQ_SR_SV_EESW_SX_SY_SZ_S13_S14_S15_S18_S19_jS1A_jS1B_S1B_jjS1D_bEUljE0_EEESW_SX_SY_S15_S19_S1B_T6_T7_T9_mT8_S1D_bDpT10_ENKUlT_T0_E_clISt17integral_constantIbLb1EES1Q_IbLb0EEEEDaS1M_S1N_EUlS1M_E_NS1_11comp_targetILNS1_3genE10ELNS1_11target_archE1200ELNS1_3gpuE4ELNS1_3repE0EEENS1_30default_config_static_selectorELNS0_4arch9wavefront6targetE0EEEvSZ_, .Lfunc_end764-_ZN7rocprim17ROCPRIM_400000_NS6detail17trampoline_kernelINS0_13select_configILj256ELj13ELNS0_17block_load_methodE3ELS4_3ELS4_3ELNS0_20block_scan_algorithmE0ELj4294967295EEENS1_25partition_config_selectorILNS1_17partition_subalgoE4EjNS0_10empty_typeEbEEZZNS1_14partition_implILS8_4ELb0ES6_15HIP_vector_typeIjLj2EENS0_17counting_iteratorIjlEEPS9_SG_NS0_5tupleIJPjSI_NS0_16reverse_iteratorISI_EEEEENSH_IJSG_SG_SG_EEES9_SI_JZNS1_25segmented_radix_sort_implINS0_14default_configELb0EPKlPlSQ_SR_N2at6native12_GLOBAL__N_18offset_tEEE10hipError_tPvRmT1_PNSt15iterator_traitsISZ_E10value_typeET2_T3_PNS10_IS15_E10value_typeET4_jRbjT5_S1B_jjP12ihipStream_tbEUljE_ZNSN_ISO_Lb0ESQ_SR_SQ_SR_SV_EESW_SX_SY_SZ_S13_S14_S15_S18_S19_jS1A_jS1B_S1B_jjS1D_bEUljE0_EEESW_SX_SY_S15_S19_S1B_T6_T7_T9_mT8_S1D_bDpT10_ENKUlT_T0_E_clISt17integral_constantIbLb1EES1Q_IbLb0EEEEDaS1M_S1N_EUlS1M_E_NS1_11comp_targetILNS1_3genE10ELNS1_11target_archE1200ELNS1_3gpuE4ELNS1_3repE0EEENS1_30default_config_static_selectorELNS0_4arch9wavefront6targetE0EEEvSZ_
                                        ; -- End function
	.section	.AMDGPU.csdata,"",@progbits
; Kernel info:
; codeLenInByte = 0
; NumSgprs: 0
; NumVgprs: 0
; ScratchSize: 0
; MemoryBound: 0
; FloatMode: 240
; IeeeMode: 1
; LDSByteSize: 0 bytes/workgroup (compile time only)
; SGPRBlocks: 0
; VGPRBlocks: 0
; NumSGPRsForWavesPerEU: 1
; NumVGPRsForWavesPerEU: 1
; Occupancy: 16
; WaveLimiterHint : 0
; COMPUTE_PGM_RSRC2:SCRATCH_EN: 0
; COMPUTE_PGM_RSRC2:USER_SGPR: 15
; COMPUTE_PGM_RSRC2:TRAP_HANDLER: 0
; COMPUTE_PGM_RSRC2:TGID_X_EN: 1
; COMPUTE_PGM_RSRC2:TGID_Y_EN: 0
; COMPUTE_PGM_RSRC2:TGID_Z_EN: 0
; COMPUTE_PGM_RSRC2:TIDIG_COMP_CNT: 0
	.section	.text._ZN7rocprim17ROCPRIM_400000_NS6detail17trampoline_kernelINS0_13select_configILj256ELj13ELNS0_17block_load_methodE3ELS4_3ELS4_3ELNS0_20block_scan_algorithmE0ELj4294967295EEENS1_25partition_config_selectorILNS1_17partition_subalgoE4EjNS0_10empty_typeEbEEZZNS1_14partition_implILS8_4ELb0ES6_15HIP_vector_typeIjLj2EENS0_17counting_iteratorIjlEEPS9_SG_NS0_5tupleIJPjSI_NS0_16reverse_iteratorISI_EEEEENSH_IJSG_SG_SG_EEES9_SI_JZNS1_25segmented_radix_sort_implINS0_14default_configELb0EPKlPlSQ_SR_N2at6native12_GLOBAL__N_18offset_tEEE10hipError_tPvRmT1_PNSt15iterator_traitsISZ_E10value_typeET2_T3_PNS10_IS15_E10value_typeET4_jRbjT5_S1B_jjP12ihipStream_tbEUljE_ZNSN_ISO_Lb0ESQ_SR_SQ_SR_SV_EESW_SX_SY_SZ_S13_S14_S15_S18_S19_jS1A_jS1B_S1B_jjS1D_bEUljE0_EEESW_SX_SY_S15_S19_S1B_T6_T7_T9_mT8_S1D_bDpT10_ENKUlT_T0_E_clISt17integral_constantIbLb1EES1Q_IbLb0EEEEDaS1M_S1N_EUlS1M_E_NS1_11comp_targetILNS1_3genE9ELNS1_11target_archE1100ELNS1_3gpuE3ELNS1_3repE0EEENS1_30default_config_static_selectorELNS0_4arch9wavefront6targetE0EEEvSZ_,"axG",@progbits,_ZN7rocprim17ROCPRIM_400000_NS6detail17trampoline_kernelINS0_13select_configILj256ELj13ELNS0_17block_load_methodE3ELS4_3ELS4_3ELNS0_20block_scan_algorithmE0ELj4294967295EEENS1_25partition_config_selectorILNS1_17partition_subalgoE4EjNS0_10empty_typeEbEEZZNS1_14partition_implILS8_4ELb0ES6_15HIP_vector_typeIjLj2EENS0_17counting_iteratorIjlEEPS9_SG_NS0_5tupleIJPjSI_NS0_16reverse_iteratorISI_EEEEENSH_IJSG_SG_SG_EEES9_SI_JZNS1_25segmented_radix_sort_implINS0_14default_configELb0EPKlPlSQ_SR_N2at6native12_GLOBAL__N_18offset_tEEE10hipError_tPvRmT1_PNSt15iterator_traitsISZ_E10value_typeET2_T3_PNS10_IS15_E10value_typeET4_jRbjT5_S1B_jjP12ihipStream_tbEUljE_ZNSN_ISO_Lb0ESQ_SR_SQ_SR_SV_EESW_SX_SY_SZ_S13_S14_S15_S18_S19_jS1A_jS1B_S1B_jjS1D_bEUljE0_EEESW_SX_SY_S15_S19_S1B_T6_T7_T9_mT8_S1D_bDpT10_ENKUlT_T0_E_clISt17integral_constantIbLb1EES1Q_IbLb0EEEEDaS1M_S1N_EUlS1M_E_NS1_11comp_targetILNS1_3genE9ELNS1_11target_archE1100ELNS1_3gpuE3ELNS1_3repE0EEENS1_30default_config_static_selectorELNS0_4arch9wavefront6targetE0EEEvSZ_,comdat
	.globl	_ZN7rocprim17ROCPRIM_400000_NS6detail17trampoline_kernelINS0_13select_configILj256ELj13ELNS0_17block_load_methodE3ELS4_3ELS4_3ELNS0_20block_scan_algorithmE0ELj4294967295EEENS1_25partition_config_selectorILNS1_17partition_subalgoE4EjNS0_10empty_typeEbEEZZNS1_14partition_implILS8_4ELb0ES6_15HIP_vector_typeIjLj2EENS0_17counting_iteratorIjlEEPS9_SG_NS0_5tupleIJPjSI_NS0_16reverse_iteratorISI_EEEEENSH_IJSG_SG_SG_EEES9_SI_JZNS1_25segmented_radix_sort_implINS0_14default_configELb0EPKlPlSQ_SR_N2at6native12_GLOBAL__N_18offset_tEEE10hipError_tPvRmT1_PNSt15iterator_traitsISZ_E10value_typeET2_T3_PNS10_IS15_E10value_typeET4_jRbjT5_S1B_jjP12ihipStream_tbEUljE_ZNSN_ISO_Lb0ESQ_SR_SQ_SR_SV_EESW_SX_SY_SZ_S13_S14_S15_S18_S19_jS1A_jS1B_S1B_jjS1D_bEUljE0_EEESW_SX_SY_S15_S19_S1B_T6_T7_T9_mT8_S1D_bDpT10_ENKUlT_T0_E_clISt17integral_constantIbLb1EES1Q_IbLb0EEEEDaS1M_S1N_EUlS1M_E_NS1_11comp_targetILNS1_3genE9ELNS1_11target_archE1100ELNS1_3gpuE3ELNS1_3repE0EEENS1_30default_config_static_selectorELNS0_4arch9wavefront6targetE0EEEvSZ_ ; -- Begin function _ZN7rocprim17ROCPRIM_400000_NS6detail17trampoline_kernelINS0_13select_configILj256ELj13ELNS0_17block_load_methodE3ELS4_3ELS4_3ELNS0_20block_scan_algorithmE0ELj4294967295EEENS1_25partition_config_selectorILNS1_17partition_subalgoE4EjNS0_10empty_typeEbEEZZNS1_14partition_implILS8_4ELb0ES6_15HIP_vector_typeIjLj2EENS0_17counting_iteratorIjlEEPS9_SG_NS0_5tupleIJPjSI_NS0_16reverse_iteratorISI_EEEEENSH_IJSG_SG_SG_EEES9_SI_JZNS1_25segmented_radix_sort_implINS0_14default_configELb0EPKlPlSQ_SR_N2at6native12_GLOBAL__N_18offset_tEEE10hipError_tPvRmT1_PNSt15iterator_traitsISZ_E10value_typeET2_T3_PNS10_IS15_E10value_typeET4_jRbjT5_S1B_jjP12ihipStream_tbEUljE_ZNSN_ISO_Lb0ESQ_SR_SQ_SR_SV_EESW_SX_SY_SZ_S13_S14_S15_S18_S19_jS1A_jS1B_S1B_jjS1D_bEUljE0_EEESW_SX_SY_S15_S19_S1B_T6_T7_T9_mT8_S1D_bDpT10_ENKUlT_T0_E_clISt17integral_constantIbLb1EES1Q_IbLb0EEEEDaS1M_S1N_EUlS1M_E_NS1_11comp_targetILNS1_3genE9ELNS1_11target_archE1100ELNS1_3gpuE3ELNS1_3repE0EEENS1_30default_config_static_selectorELNS0_4arch9wavefront6targetE0EEEvSZ_
	.p2align	8
	.type	_ZN7rocprim17ROCPRIM_400000_NS6detail17trampoline_kernelINS0_13select_configILj256ELj13ELNS0_17block_load_methodE3ELS4_3ELS4_3ELNS0_20block_scan_algorithmE0ELj4294967295EEENS1_25partition_config_selectorILNS1_17partition_subalgoE4EjNS0_10empty_typeEbEEZZNS1_14partition_implILS8_4ELb0ES6_15HIP_vector_typeIjLj2EENS0_17counting_iteratorIjlEEPS9_SG_NS0_5tupleIJPjSI_NS0_16reverse_iteratorISI_EEEEENSH_IJSG_SG_SG_EEES9_SI_JZNS1_25segmented_radix_sort_implINS0_14default_configELb0EPKlPlSQ_SR_N2at6native12_GLOBAL__N_18offset_tEEE10hipError_tPvRmT1_PNSt15iterator_traitsISZ_E10value_typeET2_T3_PNS10_IS15_E10value_typeET4_jRbjT5_S1B_jjP12ihipStream_tbEUljE_ZNSN_ISO_Lb0ESQ_SR_SQ_SR_SV_EESW_SX_SY_SZ_S13_S14_S15_S18_S19_jS1A_jS1B_S1B_jjS1D_bEUljE0_EEESW_SX_SY_S15_S19_S1B_T6_T7_T9_mT8_S1D_bDpT10_ENKUlT_T0_E_clISt17integral_constantIbLb1EES1Q_IbLb0EEEEDaS1M_S1N_EUlS1M_E_NS1_11comp_targetILNS1_3genE9ELNS1_11target_archE1100ELNS1_3gpuE3ELNS1_3repE0EEENS1_30default_config_static_selectorELNS0_4arch9wavefront6targetE0EEEvSZ_,@function
_ZN7rocprim17ROCPRIM_400000_NS6detail17trampoline_kernelINS0_13select_configILj256ELj13ELNS0_17block_load_methodE3ELS4_3ELS4_3ELNS0_20block_scan_algorithmE0ELj4294967295EEENS1_25partition_config_selectorILNS1_17partition_subalgoE4EjNS0_10empty_typeEbEEZZNS1_14partition_implILS8_4ELb0ES6_15HIP_vector_typeIjLj2EENS0_17counting_iteratorIjlEEPS9_SG_NS0_5tupleIJPjSI_NS0_16reverse_iteratorISI_EEEEENSH_IJSG_SG_SG_EEES9_SI_JZNS1_25segmented_radix_sort_implINS0_14default_configELb0EPKlPlSQ_SR_N2at6native12_GLOBAL__N_18offset_tEEE10hipError_tPvRmT1_PNSt15iterator_traitsISZ_E10value_typeET2_T3_PNS10_IS15_E10value_typeET4_jRbjT5_S1B_jjP12ihipStream_tbEUljE_ZNSN_ISO_Lb0ESQ_SR_SQ_SR_SV_EESW_SX_SY_SZ_S13_S14_S15_S18_S19_jS1A_jS1B_S1B_jjS1D_bEUljE0_EEESW_SX_SY_S15_S19_S1B_T6_T7_T9_mT8_S1D_bDpT10_ENKUlT_T0_E_clISt17integral_constantIbLb1EES1Q_IbLb0EEEEDaS1M_S1N_EUlS1M_E_NS1_11comp_targetILNS1_3genE9ELNS1_11target_archE1100ELNS1_3gpuE3ELNS1_3repE0EEENS1_30default_config_static_selectorELNS0_4arch9wavefront6targetE0EEEvSZ_: ; @_ZN7rocprim17ROCPRIM_400000_NS6detail17trampoline_kernelINS0_13select_configILj256ELj13ELNS0_17block_load_methodE3ELS4_3ELS4_3ELNS0_20block_scan_algorithmE0ELj4294967295EEENS1_25partition_config_selectorILNS1_17partition_subalgoE4EjNS0_10empty_typeEbEEZZNS1_14partition_implILS8_4ELb0ES6_15HIP_vector_typeIjLj2EENS0_17counting_iteratorIjlEEPS9_SG_NS0_5tupleIJPjSI_NS0_16reverse_iteratorISI_EEEEENSH_IJSG_SG_SG_EEES9_SI_JZNS1_25segmented_radix_sort_implINS0_14default_configELb0EPKlPlSQ_SR_N2at6native12_GLOBAL__N_18offset_tEEE10hipError_tPvRmT1_PNSt15iterator_traitsISZ_E10value_typeET2_T3_PNS10_IS15_E10value_typeET4_jRbjT5_S1B_jjP12ihipStream_tbEUljE_ZNSN_ISO_Lb0ESQ_SR_SQ_SR_SV_EESW_SX_SY_SZ_S13_S14_S15_S18_S19_jS1A_jS1B_S1B_jjS1D_bEUljE0_EEESW_SX_SY_S15_S19_S1B_T6_T7_T9_mT8_S1D_bDpT10_ENKUlT_T0_E_clISt17integral_constantIbLb1EES1Q_IbLb0EEEEDaS1M_S1N_EUlS1M_E_NS1_11comp_targetILNS1_3genE9ELNS1_11target_archE1100ELNS1_3gpuE3ELNS1_3repE0EEENS1_30default_config_static_selectorELNS0_4arch9wavefront6targetE0EEEvSZ_
; %bb.0:
	s_clause 0x6
	s_load_b32 s5, s[0:1], 0x80
	s_load_b64 s[34:35], s[0:1], 0x10
	s_load_b64 s[2:3], s[0:1], 0x68
	s_load_b32 s8, s[0:1], 0x8
	s_load_b128 s[24:27], s[0:1], 0x58
	s_load_b64 s[40:41], s[0:1], 0xa8
	s_load_b256 s[16:23], s[0:1], 0x88
	s_mul_i32 s33, s15, 0xd00
	s_waitcnt lgkmcnt(0)
	s_mul_i32 s4, s5, 0xd00
	s_add_i32 s5, s5, -1
	s_add_u32 s6, s34, s4
	s_addc_u32 s7, s35, 0
	s_load_b128 s[28:31], s[26:27], 0x0
	s_cmp_eq_u32 s15, s5
	v_cmp_lt_u64_e64 s3, s[6:7], s[2:3]
	s_cselect_b32 s14, -1, 0
	s_cmp_lg_u32 s15, s5
	s_cselect_b32 s5, -1, 0
	s_add_i32 s6, s8, s33
	s_delay_alu instid0(VALU_DEP_1) | instskip(SKIP_4) | instid1(VALU_DEP_1)
	s_or_b32 s3, s5, s3
	s_add_i32 s6, s6, s34
	s_and_b32 vcc_lo, exec_lo, s3
	v_add_nc_u32_e32 v1, s6, v0
	s_mov_b32 s5, -1
	v_add_nc_u32_e32 v2, 0x100, v1
	v_add_nc_u32_e32 v3, 0x200, v1
	v_add_nc_u32_e32 v4, 0x300, v1
	v_add_nc_u32_e32 v5, 0x400, v1
	v_add_nc_u32_e32 v6, 0x500, v1
	v_add_nc_u32_e32 v7, 0x600, v1
	v_add_nc_u32_e32 v8, 0x700, v1
	v_add_nc_u32_e32 v9, 0x800, v1
	v_add_nc_u32_e32 v10, 0x900, v1
	v_add_nc_u32_e32 v11, 0xa00, v1
	v_add_nc_u32_e32 v12, 0xb00, v1
	v_add_nc_u32_e32 v13, 0xc00, v1
	s_cbranch_vccz .LBB765_2
; %bb.1:
	v_lshlrev_b32_e32 v14, 2, v0
	s_mov_b32 s5, 0
	ds_store_2addr_stride64_b32 v14, v1, v2 offset1:4
	ds_store_2addr_stride64_b32 v14, v3, v4 offset0:8 offset1:12
	ds_store_2addr_stride64_b32 v14, v5, v6 offset0:16 offset1:20
	;; [unrolled: 1-line block ×5, first 2 shown]
	ds_store_b32 v14, v13 offset:12288
	s_waitcnt lgkmcnt(0)
	s_barrier
.LBB765_2:
	s_and_not1_b32 vcc_lo, exec_lo, s5
	s_add_i32 s4, s4, s34
	s_cbranch_vccnz .LBB765_4
; %bb.3:
	v_lshlrev_b32_e32 v14, 2, v0
	ds_store_2addr_stride64_b32 v14, v1, v2 offset1:4
	ds_store_2addr_stride64_b32 v14, v3, v4 offset0:8 offset1:12
	ds_store_2addr_stride64_b32 v14, v5, v6 offset0:16 offset1:20
	;; [unrolled: 1-line block ×5, first 2 shown]
	ds_store_b32 v14, v13 offset:12288
	s_waitcnt lgkmcnt(0)
	s_barrier
.LBB765_4:
	v_mul_u32_u24_e32 v28, 13, v0
	s_clause 0x1
	s_load_b128 s[36:39], s[0:1], 0x28
	s_load_b64 s[26:27], s[0:1], 0x38
	s_waitcnt lgkmcnt(0)
	buffer_gl0_inv
	v_cndmask_b32_e64 v26, 0, 1, s3
	s_sub_i32 s44, s2, s4
	v_lshlrev_b32_e32 v1, 2, v28
	s_and_not1_b32 vcc_lo, exec_lo, s3
	ds_load_2addr_b32 v[16:17], v1 offset1:1
	ds_load_2addr_b32 v[14:15], v1 offset0:2 offset1:3
	ds_load_2addr_b32 v[12:13], v1 offset0:4 offset1:5
	;; [unrolled: 1-line block ×5, first 2 shown]
	ds_load_b32 v27, v1 offset:48
	s_waitcnt lgkmcnt(0)
	s_barrier
	buffer_gl0_inv
	s_cbranch_vccnz .LBB765_32
; %bb.5:
	v_add_nc_u32_e32 v1, s17, v16
	v_add_nc_u32_e32 v2, s19, v16
	s_mov_b32 s46, 0
	s_mov_b32 s45, 0
	s_mov_b32 s3, exec_lo
	v_mul_lo_u32 v1, v1, s16
	v_mul_lo_u32 v2, v2, s18
	s_delay_alu instid0(VALU_DEP_1) | instskip(NEXT) | instid1(VALU_DEP_1)
	v_sub_nc_u32_e32 v1, v1, v2
	v_cmp_lt_u32_e32 vcc_lo, s20, v1
	v_cmpx_ge_u32_e64 s20, v1
; %bb.6:
	v_add_nc_u32_e32 v1, s22, v16
	v_add_nc_u32_e32 v2, s40, v16
	s_delay_alu instid0(VALU_DEP_2) | instskip(NEXT) | instid1(VALU_DEP_2)
	v_mul_lo_u32 v1, v1, s21
	v_mul_lo_u32 v2, v2, s23
	s_delay_alu instid0(VALU_DEP_1) | instskip(NEXT) | instid1(VALU_DEP_1)
	v_sub_nc_u32_e32 v1, v1, v2
	v_cmp_lt_u32_e64 s2, s41, v1
	s_delay_alu instid0(VALU_DEP_1)
	s_and_b32 s45, s2, exec_lo
; %bb.7:
	s_or_b32 exec_lo, exec_lo, s3
	v_add_nc_u32_e32 v1, s17, v17
	v_add_nc_u32_e32 v2, s19, v17
	s_mov_b32 s4, exec_lo
	s_delay_alu instid0(VALU_DEP_2) | instskip(NEXT) | instid1(VALU_DEP_2)
	v_mul_lo_u32 v1, v1, s16
	v_mul_lo_u32 v2, v2, s18
	s_delay_alu instid0(VALU_DEP_1) | instskip(NEXT) | instid1(VALU_DEP_1)
	v_sub_nc_u32_e32 v1, v1, v2
	v_cmp_lt_u32_e64 s2, s20, v1
	v_cmpx_ge_u32_e64 s20, v1
; %bb.8:
	v_add_nc_u32_e32 v1, s22, v17
	v_add_nc_u32_e32 v2, s40, v17
	s_delay_alu instid0(VALU_DEP_2) | instskip(NEXT) | instid1(VALU_DEP_2)
	v_mul_lo_u32 v1, v1, s21
	v_mul_lo_u32 v2, v2, s23
	s_delay_alu instid0(VALU_DEP_1) | instskip(NEXT) | instid1(VALU_DEP_1)
	v_sub_nc_u32_e32 v1, v1, v2
	v_cmp_lt_u32_e64 s3, s41, v1
	s_delay_alu instid0(VALU_DEP_1)
	s_and_b32 s46, s3, exec_lo
; %bb.9:
	s_or_b32 exec_lo, exec_lo, s4
	v_add_nc_u32_e32 v1, s17, v14
	v_add_nc_u32_e32 v2, s19, v14
	s_mov_b32 s48, 0
	s_mov_b32 s47, 0
	s_mov_b32 s5, exec_lo
	v_mul_lo_u32 v1, v1, s16
	v_mul_lo_u32 v2, v2, s18
	s_delay_alu instid0(VALU_DEP_1) | instskip(NEXT) | instid1(VALU_DEP_1)
	v_sub_nc_u32_e32 v1, v1, v2
	v_cmp_lt_u32_e64 s3, s20, v1
	v_cmpx_ge_u32_e64 s20, v1
; %bb.10:
	v_add_nc_u32_e32 v1, s22, v14
	v_add_nc_u32_e32 v2, s40, v14
	s_delay_alu instid0(VALU_DEP_2) | instskip(NEXT) | instid1(VALU_DEP_2)
	v_mul_lo_u32 v1, v1, s21
	v_mul_lo_u32 v2, v2, s23
	s_delay_alu instid0(VALU_DEP_1) | instskip(NEXT) | instid1(VALU_DEP_1)
	v_sub_nc_u32_e32 v1, v1, v2
	v_cmp_lt_u32_e64 s4, s41, v1
	s_delay_alu instid0(VALU_DEP_1)
	s_and_b32 s47, s4, exec_lo
; %bb.11:
	s_or_b32 exec_lo, exec_lo, s5
	v_add_nc_u32_e32 v1, s17, v15
	v_add_nc_u32_e32 v2, s19, v15
	s_mov_b32 s6, exec_lo
	s_delay_alu instid0(VALU_DEP_2) | instskip(NEXT) | instid1(VALU_DEP_2)
	v_mul_lo_u32 v1, v1, s16
	v_mul_lo_u32 v2, v2, s18
	s_delay_alu instid0(VALU_DEP_1) | instskip(NEXT) | instid1(VALU_DEP_1)
	v_sub_nc_u32_e32 v1, v1, v2
	v_cmp_lt_u32_e64 s4, s20, v1
	v_cmpx_ge_u32_e64 s20, v1
; %bb.12:
	v_add_nc_u32_e32 v1, s22, v15
	v_add_nc_u32_e32 v2, s40, v15
	s_delay_alu instid0(VALU_DEP_2) | instskip(NEXT) | instid1(VALU_DEP_2)
	v_mul_lo_u32 v1, v1, s21
	v_mul_lo_u32 v2, v2, s23
	s_delay_alu instid0(VALU_DEP_1) | instskip(NEXT) | instid1(VALU_DEP_1)
	v_sub_nc_u32_e32 v1, v1, v2
	v_cmp_lt_u32_e64 s5, s41, v1
	s_delay_alu instid0(VALU_DEP_1)
	s_and_b32 s48, s5, exec_lo
; %bb.13:
	s_or_b32 exec_lo, exec_lo, s6
	v_add_nc_u32_e32 v1, s17, v12
	v_add_nc_u32_e32 v2, s19, v12
	s_mov_b32 s50, 0
	s_mov_b32 s49, 0
	s_mov_b32 s7, exec_lo
	v_mul_lo_u32 v1, v1, s16
	v_mul_lo_u32 v2, v2, s18
	s_delay_alu instid0(VALU_DEP_1) | instskip(NEXT) | instid1(VALU_DEP_1)
	v_sub_nc_u32_e32 v1, v1, v2
	v_cmp_lt_u32_e64 s5, s20, v1
	;; [unrolled: 47-line block ×5, first 2 shown]
	v_cmpx_ge_u32_e64 s20, v1
; %bb.26:
	v_add_nc_u32_e32 v1, s22, v6
	v_add_nc_u32_e32 v2, s40, v6
	s_delay_alu instid0(VALU_DEP_2) | instskip(NEXT) | instid1(VALU_DEP_2)
	v_mul_lo_u32 v1, v1, s21
	v_mul_lo_u32 v2, v2, s23
	s_delay_alu instid0(VALU_DEP_1) | instskip(NEXT) | instid1(VALU_DEP_1)
	v_sub_nc_u32_e32 v1, v1, v2
	v_cmp_lt_u32_e64 s12, s41, v1
	s_delay_alu instid0(VALU_DEP_1)
	s_and_b32 s57, s12, exec_lo
; %bb.27:
	s_or_b32 exec_lo, exec_lo, s13
	v_add_nc_u32_e32 v1, s17, v7
	v_add_nc_u32_e32 v2, s19, v7
	s_mov_b32 s42, exec_lo
	s_delay_alu instid0(VALU_DEP_2) | instskip(NEXT) | instid1(VALU_DEP_2)
	v_mul_lo_u32 v1, v1, s16
	v_mul_lo_u32 v2, v2, s18
	s_delay_alu instid0(VALU_DEP_1) | instskip(NEXT) | instid1(VALU_DEP_1)
	v_sub_nc_u32_e32 v1, v1, v2
	v_cmp_lt_u32_e64 s12, s20, v1
	v_cmpx_ge_u32_e64 s20, v1
; %bb.28:
	v_add_nc_u32_e32 v1, s22, v7
	v_add_nc_u32_e32 v2, s40, v7
	s_delay_alu instid0(VALU_DEP_2) | instskip(NEXT) | instid1(VALU_DEP_2)
	v_mul_lo_u32 v1, v1, s21
	v_mul_lo_u32 v2, v2, s23
	s_delay_alu instid0(VALU_DEP_1) | instskip(NEXT) | instid1(VALU_DEP_1)
	v_sub_nc_u32_e32 v1, v1, v2
	v_cmp_lt_u32_e64 s13, s41, v1
	s_delay_alu instid0(VALU_DEP_1)
	s_and_b32 s56, s13, exec_lo
; %bb.29:
	s_or_b32 exec_lo, exec_lo, s42
	v_add_nc_u32_e32 v1, s17, v27
	v_add_nc_u32_e32 v2, s19, v27
	s_mov_b32 s42, -1
	s_mov_b32 s53, 0
	s_mov_b32 s43, 0
	v_mul_lo_u32 v1, v1, s16
	v_mul_lo_u32 v2, v2, s18
	s_mov_b32 s58, exec_lo
	s_delay_alu instid0(VALU_DEP_1) | instskip(NEXT) | instid1(VALU_DEP_1)
	v_sub_nc_u32_e32 v1, v1, v2
	v_cmpx_ge_u32_e64 s20, v1
; %bb.30:
	v_add_nc_u32_e32 v1, s22, v27
	v_add_nc_u32_e32 v2, s40, v27
	s_xor_b32 s42, exec_lo, -1
	s_delay_alu instid0(VALU_DEP_2) | instskip(NEXT) | instid1(VALU_DEP_2)
	v_mul_lo_u32 v1, v1, s21
	v_mul_lo_u32 v2, v2, s23
	s_delay_alu instid0(VALU_DEP_1) | instskip(NEXT) | instid1(VALU_DEP_1)
	v_sub_nc_u32_e32 v1, v1, v2
	v_cmp_lt_u32_e64 s13, s41, v1
	s_delay_alu instid0(VALU_DEP_1)
	s_and_b32 s43, s13, exec_lo
; %bb.31:
	s_or_b32 exec_lo, exec_lo, s58
	v_cndmask_b32_e64 v48, 0, 1, s57
	v_cndmask_b32_e64 v51, 0, 1, s12
	;; [unrolled: 1-line block ×22, first 2 shown]
	v_cndmask_b32_e64 v29, 0, 1, vcc_lo
	v_cndmask_b32_e64 v52, 0, 1, s56
	s_load_b64 s[4:5], s[0:1], 0x78
	s_and_b32 vcc_lo, exec_lo, s53
	s_add_i32 s3, s44, 0xd00
	s_cbranch_vccnz .LBB765_33
	s_branch .LBB765_86
.LBB765_32:
                                        ; implicit-def: $sgpr42
                                        ; implicit-def: $sgpr43
                                        ; implicit-def: $vgpr52
                                        ; implicit-def: $vgpr48
                                        ; implicit-def: $vgpr47
                                        ; implicit-def: $vgpr45
                                        ; implicit-def: $vgpr43
                                        ; implicit-def: $vgpr40
                                        ; implicit-def: $vgpr39
                                        ; implicit-def: $vgpr37
                                        ; implicit-def: $vgpr35
                                        ; implicit-def: $vgpr29
                                        ; implicit-def: $vgpr33
                                        ; implicit-def: $vgpr31
                                        ; implicit-def: $vgpr32
                                        ; implicit-def: $vgpr38
                                        ; implicit-def: $vgpr41
                                        ; implicit-def: $vgpr42
                                        ; implicit-def: $vgpr44
                                        ; implicit-def: $vgpr46
                                        ; implicit-def: $vgpr49
                                        ; implicit-def: $vgpr50
                                        ; implicit-def: $vgpr51
                                        ; implicit-def: $vgpr30
                                        ; implicit-def: $vgpr34
                                        ; implicit-def: $vgpr36
	s_load_b64 s[4:5], s[0:1], 0x78
	s_add_i32 s3, s44, 0xd00
	s_cbranch_execz .LBB765_86
.LBB765_33:
	v_dual_mov_b32 v30, 0 :: v_dual_mov_b32 v29, 0
	s_mov_b32 s2, 0
	s_mov_b32 s1, exec_lo
	v_cmpx_gt_u32_e64 s3, v28
	s_cbranch_execz .LBB765_37
; %bb.34:
	v_add_nc_u32_e32 v1, s17, v16
	v_add_nc_u32_e32 v2, s19, v16
	s_mov_b32 s6, exec_lo
	s_delay_alu instid0(VALU_DEP_2) | instskip(NEXT) | instid1(VALU_DEP_2)
	v_mul_lo_u32 v1, v1, s16
	v_mul_lo_u32 v2, v2, s18
	s_delay_alu instid0(VALU_DEP_1) | instskip(NEXT) | instid1(VALU_DEP_1)
	v_sub_nc_u32_e32 v1, v1, v2
	v_cmp_lt_u32_e32 vcc_lo, s20, v1
	v_cmpx_ge_u32_e64 s20, v1
; %bb.35:
	v_add_nc_u32_e32 v1, s22, v16
	v_add_nc_u32_e32 v2, s40, v16
	s_delay_alu instid0(VALU_DEP_2) | instskip(NEXT) | instid1(VALU_DEP_2)
	v_mul_lo_u32 v1, v1, s21
	v_mul_lo_u32 v2, v2, s23
	s_delay_alu instid0(VALU_DEP_1) | instskip(NEXT) | instid1(VALU_DEP_1)
	v_sub_nc_u32_e32 v1, v1, v2
	v_cmp_lt_u32_e64 s0, s41, v1
	s_delay_alu instid0(VALU_DEP_1)
	s_and_b32 s2, s0, exec_lo
; %bb.36:
	s_or_b32 exec_lo, exec_lo, s6
	v_cndmask_b32_e64 v29, 0, 1, vcc_lo
	v_cndmask_b32_e64 v30, 0, 1, s2
.LBB765_37:
	s_or_b32 exec_lo, exec_lo, s1
	v_dual_mov_b32 v34, 0 :: v_dual_add_nc_u32 v1, 1, v28
	v_mov_b32_e32 v33, 0
	s_mov_b32 s2, 0
	s_mov_b32 s1, exec_lo
	s_delay_alu instid0(VALU_DEP_2)
	v_cmpx_gt_u32_e64 s3, v1
	s_cbranch_execz .LBB765_41
; %bb.38:
	v_add_nc_u32_e32 v1, s17, v17
	v_add_nc_u32_e32 v2, s19, v17
	s_mov_b32 s6, exec_lo
	s_delay_alu instid0(VALU_DEP_2) | instskip(NEXT) | instid1(VALU_DEP_2)
	v_mul_lo_u32 v1, v1, s16
	v_mul_lo_u32 v2, v2, s18
	s_delay_alu instid0(VALU_DEP_1) | instskip(NEXT) | instid1(VALU_DEP_1)
	v_sub_nc_u32_e32 v1, v1, v2
	v_cmp_lt_u32_e32 vcc_lo, s20, v1
	v_cmpx_ge_u32_e64 s20, v1
; %bb.39:
	v_add_nc_u32_e32 v1, s22, v17
	v_add_nc_u32_e32 v2, s40, v17
	s_delay_alu instid0(VALU_DEP_2) | instskip(NEXT) | instid1(VALU_DEP_2)
	v_mul_lo_u32 v1, v1, s21
	v_mul_lo_u32 v2, v2, s23
	s_delay_alu instid0(VALU_DEP_1) | instskip(NEXT) | instid1(VALU_DEP_1)
	v_sub_nc_u32_e32 v1, v1, v2
	v_cmp_lt_u32_e64 s0, s41, v1
	s_delay_alu instid0(VALU_DEP_1)
	s_and_b32 s2, s0, exec_lo
; %bb.40:
	s_or_b32 exec_lo, exec_lo, s6
	v_cndmask_b32_e64 v33, 0, 1, vcc_lo
	v_cndmask_b32_e64 v34, 0, 1, s2
.LBB765_41:
	s_or_b32 exec_lo, exec_lo, s1
	v_dual_mov_b32 v36, 0 :: v_dual_add_nc_u32 v1, 2, v28
	v_mov_b32_e32 v31, 0
	s_mov_b32 s2, 0
	s_mov_b32 s1, exec_lo
	s_delay_alu instid0(VALU_DEP_2)
	;; [unrolled: 35-line block ×4, first 2 shown]
	v_cmpx_gt_u32_e64 s3, v1
	s_cbranch_execz .LBB765_53
; %bb.50:
	v_add_nc_u32_e32 v1, s17, v12
	v_add_nc_u32_e32 v2, s19, v12
	s_mov_b32 s6, exec_lo
	s_delay_alu instid0(VALU_DEP_2) | instskip(NEXT) | instid1(VALU_DEP_2)
	v_mul_lo_u32 v1, v1, s16
	v_mul_lo_u32 v2, v2, s18
	s_delay_alu instid0(VALU_DEP_1) | instskip(NEXT) | instid1(VALU_DEP_1)
	v_sub_nc_u32_e32 v1, v1, v2
	v_cmp_lt_u32_e32 vcc_lo, s20, v1
	v_cmpx_ge_u32_e64 s20, v1
; %bb.51:
	v_add_nc_u32_e32 v1, s22, v12
	v_add_nc_u32_e32 v2, s40, v12
	s_delay_alu instid0(VALU_DEP_2) | instskip(NEXT) | instid1(VALU_DEP_2)
	v_mul_lo_u32 v1, v1, s21
	v_mul_lo_u32 v2, v2, s23
	s_delay_alu instid0(VALU_DEP_1) | instskip(NEXT) | instid1(VALU_DEP_1)
	v_sub_nc_u32_e32 v1, v1, v2
	v_cmp_lt_u32_e64 s0, s41, v1
	s_delay_alu instid0(VALU_DEP_1)
	s_and_b32 s2, s0, exec_lo
; %bb.52:
	s_or_b32 exec_lo, exec_lo, s6
	v_cndmask_b32_e64 v38, 0, 1, vcc_lo
	v_cndmask_b32_e64 v37, 0, 1, s2
.LBB765_53:
	s_or_b32 exec_lo, exec_lo, s1
	v_add_nc_u32_e32 v1, 5, v28
	v_mov_b32_e32 v39, 0
	v_mov_b32_e32 v41, 0
	s_mov_b32 s2, 0
	s_mov_b32 s1, exec_lo
	v_cmpx_gt_u32_e64 s3, v1
	s_cbranch_execz .LBB765_57
; %bb.54:
	v_add_nc_u32_e32 v1, s17, v13
	v_add_nc_u32_e32 v2, s19, v13
	s_mov_b32 s6, exec_lo
	s_delay_alu instid0(VALU_DEP_2) | instskip(NEXT) | instid1(VALU_DEP_2)
	v_mul_lo_u32 v1, v1, s16
	v_mul_lo_u32 v2, v2, s18
	s_delay_alu instid0(VALU_DEP_1) | instskip(NEXT) | instid1(VALU_DEP_1)
	v_sub_nc_u32_e32 v1, v1, v2
	v_cmp_lt_u32_e32 vcc_lo, s20, v1
	v_cmpx_ge_u32_e64 s20, v1
; %bb.55:
	v_add_nc_u32_e32 v1, s22, v13
	v_add_nc_u32_e32 v2, s40, v13
	s_delay_alu instid0(VALU_DEP_2) | instskip(NEXT) | instid1(VALU_DEP_2)
	v_mul_lo_u32 v1, v1, s21
	v_mul_lo_u32 v2, v2, s23
	s_delay_alu instid0(VALU_DEP_1) | instskip(NEXT) | instid1(VALU_DEP_1)
	v_sub_nc_u32_e32 v1, v1, v2
	v_cmp_lt_u32_e64 s0, s41, v1
	s_delay_alu instid0(VALU_DEP_1)
	s_and_b32 s2, s0, exec_lo
; %bb.56:
	s_or_b32 exec_lo, exec_lo, s6
	v_cndmask_b32_e64 v41, 0, 1, vcc_lo
	v_cndmask_b32_e64 v39, 0, 1, s2
.LBB765_57:
	s_or_b32 exec_lo, exec_lo, s1
	v_dual_mov_b32 v40, 0 :: v_dual_add_nc_u32 v1, 6, v28
	v_mov_b32_e32 v42, 0
	s_mov_b32 s2, 0
	s_mov_b32 s1, exec_lo
	s_delay_alu instid0(VALU_DEP_2)
	v_cmpx_gt_u32_e64 s3, v1
	s_cbranch_execz .LBB765_61
; %bb.58:
	v_add_nc_u32_e32 v1, s17, v10
	v_add_nc_u32_e32 v2, s19, v10
	s_mov_b32 s6, exec_lo
	s_delay_alu instid0(VALU_DEP_2) | instskip(NEXT) | instid1(VALU_DEP_2)
	v_mul_lo_u32 v1, v1, s16
	v_mul_lo_u32 v2, v2, s18
	s_delay_alu instid0(VALU_DEP_1) | instskip(NEXT) | instid1(VALU_DEP_1)
	v_sub_nc_u32_e32 v1, v1, v2
	v_cmp_lt_u32_e32 vcc_lo, s20, v1
	v_cmpx_ge_u32_e64 s20, v1
; %bb.59:
	v_add_nc_u32_e32 v1, s22, v10
	v_add_nc_u32_e32 v2, s40, v10
	s_delay_alu instid0(VALU_DEP_2) | instskip(NEXT) | instid1(VALU_DEP_2)
	v_mul_lo_u32 v1, v1, s21
	v_mul_lo_u32 v2, v2, s23
	s_delay_alu instid0(VALU_DEP_1) | instskip(NEXT) | instid1(VALU_DEP_1)
	v_sub_nc_u32_e32 v1, v1, v2
	v_cmp_lt_u32_e64 s0, s41, v1
	s_delay_alu instid0(VALU_DEP_1)
	s_and_b32 s2, s0, exec_lo
; %bb.60:
	s_or_b32 exec_lo, exec_lo, s6
	v_cndmask_b32_e64 v42, 0, 1, vcc_lo
	v_cndmask_b32_e64 v40, 0, 1, s2
.LBB765_61:
	s_or_b32 exec_lo, exec_lo, s1
	v_dual_mov_b32 v44, 0 :: v_dual_add_nc_u32 v1, 7, v28
	v_mov_b32_e32 v43, 0
	s_mov_b32 s2, 0
	s_mov_b32 s1, exec_lo
	s_delay_alu instid0(VALU_DEP_2)
	v_cmpx_gt_u32_e64 s3, v1
	s_cbranch_execz .LBB765_65
; %bb.62:
	v_add_nc_u32_e32 v1, s17, v11
	v_add_nc_u32_e32 v2, s19, v11
	s_mov_b32 s6, exec_lo
	s_delay_alu instid0(VALU_DEP_2) | instskip(NEXT) | instid1(VALU_DEP_2)
	v_mul_lo_u32 v1, v1, s16
	v_mul_lo_u32 v2, v2, s18
	s_delay_alu instid0(VALU_DEP_1) | instskip(NEXT) | instid1(VALU_DEP_1)
	v_sub_nc_u32_e32 v1, v1, v2
	v_cmp_lt_u32_e32 vcc_lo, s20, v1
	v_cmpx_ge_u32_e64 s20, v1
; %bb.63:
	v_add_nc_u32_e32 v1, s22, v11
	v_add_nc_u32_e32 v2, s40, v11
	s_delay_alu instid0(VALU_DEP_2) | instskip(NEXT) | instid1(VALU_DEP_2)
	v_mul_lo_u32 v1, v1, s21
	v_mul_lo_u32 v2, v2, s23
	s_delay_alu instid0(VALU_DEP_1) | instskip(NEXT) | instid1(VALU_DEP_1)
	v_sub_nc_u32_e32 v1, v1, v2
	v_cmp_lt_u32_e64 s0, s41, v1
	s_delay_alu instid0(VALU_DEP_1)
	s_and_b32 s2, s0, exec_lo
; %bb.64:
	s_or_b32 exec_lo, exec_lo, s6
	v_cndmask_b32_e64 v44, 0, 1, vcc_lo
	v_cndmask_b32_e64 v43, 0, 1, s2
.LBB765_65:
	s_or_b32 exec_lo, exec_lo, s1
	v_dual_mov_b32 v46, 0 :: v_dual_add_nc_u32 v1, 8, v28
	v_mov_b32_e32 v45, 0
	s_mov_b32 s2, 0
	s_mov_b32 s1, exec_lo
	s_delay_alu instid0(VALU_DEP_2)
	v_cmpx_gt_u32_e64 s3, v1
	s_cbranch_execz .LBB765_69
; %bb.66:
	v_add_nc_u32_e32 v1, s17, v8
	v_add_nc_u32_e32 v2, s19, v8
	s_mov_b32 s6, exec_lo
	s_delay_alu instid0(VALU_DEP_2) | instskip(NEXT) | instid1(VALU_DEP_2)
	v_mul_lo_u32 v1, v1, s16
	v_mul_lo_u32 v2, v2, s18
	s_delay_alu instid0(VALU_DEP_1) | instskip(NEXT) | instid1(VALU_DEP_1)
	v_sub_nc_u32_e32 v1, v1, v2
	v_cmp_lt_u32_e32 vcc_lo, s20, v1
	v_cmpx_ge_u32_e64 s20, v1
; %bb.67:
	v_add_nc_u32_e32 v1, s22, v8
	v_add_nc_u32_e32 v2, s40, v8
	s_delay_alu instid0(VALU_DEP_2) | instskip(NEXT) | instid1(VALU_DEP_2)
	v_mul_lo_u32 v1, v1, s21
	v_mul_lo_u32 v2, v2, s23
	s_delay_alu instid0(VALU_DEP_1) | instskip(NEXT) | instid1(VALU_DEP_1)
	v_sub_nc_u32_e32 v1, v1, v2
	v_cmp_lt_u32_e64 s0, s41, v1
	s_delay_alu instid0(VALU_DEP_1)
	s_and_b32 s2, s0, exec_lo
; %bb.68:
	s_or_b32 exec_lo, exec_lo, s6
	v_cndmask_b32_e64 v46, 0, 1, vcc_lo
	v_cndmask_b32_e64 v45, 0, 1, s2
.LBB765_69:
	s_or_b32 exec_lo, exec_lo, s1
	v_add_nc_u32_e32 v1, 9, v28
	v_mov_b32_e32 v47, 0
	v_mov_b32_e32 v49, 0
	s_mov_b32 s2, 0
	s_mov_b32 s1, exec_lo
	v_cmpx_gt_u32_e64 s3, v1
	s_cbranch_execz .LBB765_73
; %bb.70:
	v_add_nc_u32_e32 v1, s17, v9
	v_add_nc_u32_e32 v2, s19, v9
	s_mov_b32 s6, exec_lo
	s_delay_alu instid0(VALU_DEP_2) | instskip(NEXT) | instid1(VALU_DEP_2)
	v_mul_lo_u32 v1, v1, s16
	v_mul_lo_u32 v2, v2, s18
	s_delay_alu instid0(VALU_DEP_1) | instskip(NEXT) | instid1(VALU_DEP_1)
	v_sub_nc_u32_e32 v1, v1, v2
	v_cmp_lt_u32_e32 vcc_lo, s20, v1
	v_cmpx_ge_u32_e64 s20, v1
; %bb.71:
	v_add_nc_u32_e32 v1, s22, v9
	v_add_nc_u32_e32 v2, s40, v9
	s_delay_alu instid0(VALU_DEP_2) | instskip(NEXT) | instid1(VALU_DEP_2)
	v_mul_lo_u32 v1, v1, s21
	v_mul_lo_u32 v2, v2, s23
	s_delay_alu instid0(VALU_DEP_1) | instskip(NEXT) | instid1(VALU_DEP_1)
	v_sub_nc_u32_e32 v1, v1, v2
	v_cmp_lt_u32_e64 s0, s41, v1
	s_delay_alu instid0(VALU_DEP_1)
	s_and_b32 s2, s0, exec_lo
; %bb.72:
	s_or_b32 exec_lo, exec_lo, s6
	v_cndmask_b32_e64 v49, 0, 1, vcc_lo
	v_cndmask_b32_e64 v47, 0, 1, s2
.LBB765_73:
	s_or_b32 exec_lo, exec_lo, s1
	v_dual_mov_b32 v48, 0 :: v_dual_add_nc_u32 v1, 10, v28
	v_mov_b32_e32 v50, 0
	s_mov_b32 s2, 0
	s_mov_b32 s1, exec_lo
	s_delay_alu instid0(VALU_DEP_2)
	v_cmpx_gt_u32_e64 s3, v1
	s_cbranch_execz .LBB765_77
; %bb.74:
	v_add_nc_u32_e32 v1, s17, v6
	v_add_nc_u32_e32 v2, s19, v6
	s_mov_b32 s6, exec_lo
	s_delay_alu instid0(VALU_DEP_2) | instskip(NEXT) | instid1(VALU_DEP_2)
	v_mul_lo_u32 v1, v1, s16
	v_mul_lo_u32 v2, v2, s18
	s_delay_alu instid0(VALU_DEP_1) | instskip(NEXT) | instid1(VALU_DEP_1)
	v_sub_nc_u32_e32 v1, v1, v2
	v_cmp_lt_u32_e32 vcc_lo, s20, v1
	v_cmpx_ge_u32_e64 s20, v1
; %bb.75:
	v_add_nc_u32_e32 v1, s22, v6
	v_add_nc_u32_e32 v2, s40, v6
	s_delay_alu instid0(VALU_DEP_2) | instskip(NEXT) | instid1(VALU_DEP_2)
	v_mul_lo_u32 v1, v1, s21
	v_mul_lo_u32 v2, v2, s23
	s_delay_alu instid0(VALU_DEP_1) | instskip(NEXT) | instid1(VALU_DEP_1)
	v_sub_nc_u32_e32 v1, v1, v2
	v_cmp_lt_u32_e64 s0, s41, v1
	s_delay_alu instid0(VALU_DEP_1)
	s_and_b32 s2, s0, exec_lo
; %bb.76:
	s_or_b32 exec_lo, exec_lo, s6
	v_cndmask_b32_e64 v50, 0, 1, vcc_lo
	v_cndmask_b32_e64 v48, 0, 1, s2
.LBB765_77:
	s_or_b32 exec_lo, exec_lo, s1
	v_dual_mov_b32 v52, 0 :: v_dual_add_nc_u32 v1, 11, v28
	v_mov_b32_e32 v51, 0
	s_mov_b32 s2, 0
	s_mov_b32 s1, exec_lo
	s_delay_alu instid0(VALU_DEP_2)
	v_cmpx_gt_u32_e64 s3, v1
	s_cbranch_execz .LBB765_81
; %bb.78:
	v_add_nc_u32_e32 v1, s17, v7
	v_add_nc_u32_e32 v2, s19, v7
	s_mov_b32 s6, exec_lo
	s_delay_alu instid0(VALU_DEP_2) | instskip(NEXT) | instid1(VALU_DEP_2)
	v_mul_lo_u32 v1, v1, s16
	v_mul_lo_u32 v2, v2, s18
	s_delay_alu instid0(VALU_DEP_1) | instskip(NEXT) | instid1(VALU_DEP_1)
	v_sub_nc_u32_e32 v1, v1, v2
	v_cmp_lt_u32_e32 vcc_lo, s20, v1
	v_cmpx_ge_u32_e64 s20, v1
; %bb.79:
	v_add_nc_u32_e32 v1, s22, v7
	v_add_nc_u32_e32 v2, s40, v7
	s_delay_alu instid0(VALU_DEP_2) | instskip(NEXT) | instid1(VALU_DEP_2)
	v_mul_lo_u32 v1, v1, s21
	v_mul_lo_u32 v2, v2, s23
	s_delay_alu instid0(VALU_DEP_1) | instskip(NEXT) | instid1(VALU_DEP_1)
	v_sub_nc_u32_e32 v1, v1, v2
	v_cmp_lt_u32_e64 s0, s41, v1
	s_delay_alu instid0(VALU_DEP_1)
	s_and_b32 s2, s0, exec_lo
; %bb.80:
	s_or_b32 exec_lo, exec_lo, s6
	v_cndmask_b32_e64 v51, 0, 1, vcc_lo
	v_cndmask_b32_e64 v52, 0, 1, s2
.LBB765_81:
	s_or_b32 exec_lo, exec_lo, s1
	v_add_nc_u32_e32 v1, 12, v28
	s_mov_b32 s42, 0
	s_mov_b32 s43, 0
	s_mov_b32 s0, exec_lo
	s_delay_alu instid0(VALU_DEP_1)
	v_cmpx_gt_u32_e64 s3, v1
	s_cbranch_execz .LBB765_85
; %bb.82:
	v_add_nc_u32_e32 v1, s17, v27
	v_add_nc_u32_e32 v2, s19, v27
	s_mov_b32 s2, -1
	s_mov_b32 s6, 0
	s_mov_b32 s1, exec_lo
	v_mul_lo_u32 v1, v1, s16
	v_mul_lo_u32 v2, v2, s18
	s_delay_alu instid0(VALU_DEP_1) | instskip(NEXT) | instid1(VALU_DEP_1)
	v_sub_nc_u32_e32 v1, v1, v2
	v_cmpx_ge_u32_e64 s20, v1
; %bb.83:
	v_add_nc_u32_e32 v1, s22, v27
	v_add_nc_u32_e32 v2, s40, v27
	s_xor_b32 s2, exec_lo, -1
	s_delay_alu instid0(VALU_DEP_2) | instskip(NEXT) | instid1(VALU_DEP_2)
	v_mul_lo_u32 v1, v1, s21
	v_mul_lo_u32 v2, v2, s23
	s_delay_alu instid0(VALU_DEP_1) | instskip(NEXT) | instid1(VALU_DEP_1)
	v_sub_nc_u32_e32 v1, v1, v2
	v_cmp_lt_u32_e32 vcc_lo, s41, v1
	s_and_b32 s6, vcc_lo, exec_lo
; %bb.84:
	s_or_b32 exec_lo, exec_lo, s1
	s_delay_alu instid0(SALU_CYCLE_1)
	s_and_b32 s43, s6, exec_lo
	s_and_b32 s42, s2, exec_lo
.LBB765_85:
	s_or_b32 exec_lo, exec_lo, s0
.LBB765_86:
	v_and_b32_e32 v75, 0xff, v29
	v_and_b32_e32 v76, 0xff, v30
	;; [unrolled: 1-line block ×10, first 2 shown]
	v_add3_u32 v1, v71, v73, v75
	v_add3_u32 v2, v72, v74, v76
	v_and_b32_e32 v65, 0xff, v41
	v_and_b32_e32 v66, 0xff, v39
	v_and_b32_e32 v61, 0xff, v42
	v_and_b32_e32 v62, 0xff, v40
	v_add3_u32 v1, v1, v69, v67
	v_add3_u32 v2, v2, v70, v68
	v_and_b32_e32 v63, 0xff, v44
	v_and_b32_e32 v64, 0xff, v43
	v_and_b32_e32 v59, 0xff, v46
	v_and_b32_e32 v60, 0xff, v45
	;; [unrolled: 6-line block ×3, first 2 shown]
	v_add3_u32 v1, v1, v63, v59
	v_add3_u32 v2, v2, v64, v60
	v_mbcnt_lo_u32_b32 v77, -1, 0
	v_and_b32_e32 v53, 0xff, v51
	v_and_b32_e32 v54, 0xff, v52
	v_cndmask_b32_e64 v3, 0, 1, s43
	v_add3_u32 v1, v1, v57, v55
	v_cndmask_b32_e64 v4, 0, 1, s42
	v_add3_u32 v2, v2, v58, v56
	v_and_b32_e32 v81, 15, v77
	v_and_b32_e32 v80, 16, v77
	v_lshrrev_b32_e32 v78, 5, v0
	v_add3_u32 v82, v1, v53, v4
	v_add3_u32 v83, v2, v54, v3
	v_cmp_eq_u32_e64 s1, 0, v81
	v_cmp_lt_u32_e64 s0, 1, v81
	v_cmp_lt_u32_e64 s2, 3, v81
	v_cmp_lt_u32_e32 vcc_lo, 7, v81
	v_or_b32_e32 v79, 31, v0
	s_cmp_lg_u32 s15, 0
	s_mov_b32 s6, -1
	s_cbranch_scc0 .LBB765_119
; %bb.87:
	v_mov_b32_dpp v1, v83 row_shr:1 row_mask:0xf bank_mask:0xf
	v_mov_b32_dpp v2, v82 row_shr:1 row_mask:0xf bank_mask:0xf
	s_delay_alu instid0(VALU_DEP_2) | instskip(NEXT) | instid1(VALU_DEP_1)
	v_add_nc_u32_e32 v1, v1, v83
	v_cndmask_b32_e64 v1, v1, v83, s1
	s_delay_alu instid0(VALU_DEP_1) | instskip(NEXT) | instid1(VALU_DEP_1)
	v_mov_b32_dpp v3, v1 row_shr:2 row_mask:0xf bank_mask:0xf
	v_add_nc_u32_e32 v3, v1, v3
	s_delay_alu instid0(VALU_DEP_1) | instskip(NEXT) | instid1(VALU_DEP_1)
	v_cndmask_b32_e64 v1, v1, v3, s0
	v_mov_b32_dpp v3, v1 row_shr:4 row_mask:0xf bank_mask:0xf
	s_delay_alu instid0(VALU_DEP_1) | instskip(NEXT) | instid1(VALU_DEP_1)
	v_add_nc_u32_e32 v3, v1, v3
	v_cndmask_b32_e64 v1, v1, v3, s2
	s_delay_alu instid0(VALU_DEP_1) | instskip(NEXT) | instid1(VALU_DEP_1)
	v_mov_b32_dpp v3, v1 row_shr:8 row_mask:0xf bank_mask:0xf
	v_add_nc_u32_e32 v3, v1, v3
	s_delay_alu instid0(VALU_DEP_1) | instskip(NEXT) | instid1(VALU_DEP_1)
	v_dual_cndmask_b32 v1, v1, v3 :: v_dual_add_nc_u32 v2, v2, v82
	v_cndmask_b32_e64 v2, v2, v82, s1
	s_delay_alu instid0(VALU_DEP_1) | instskip(NEXT) | instid1(VALU_DEP_1)
	v_mov_b32_dpp v4, v2 row_shr:2 row_mask:0xf bank_mask:0xf
	v_add_nc_u32_e32 v4, v2, v4
	s_delay_alu instid0(VALU_DEP_1) | instskip(NEXT) | instid1(VALU_DEP_1)
	v_cndmask_b32_e64 v2, v2, v4, s0
	v_mov_b32_dpp v4, v2 row_shr:4 row_mask:0xf bank_mask:0xf
	s_delay_alu instid0(VALU_DEP_1) | instskip(NEXT) | instid1(VALU_DEP_1)
	v_add_nc_u32_e32 v4, v2, v4
	v_cndmask_b32_e64 v2, v2, v4, s2
	s_mov_b32 s2, exec_lo
	s_delay_alu instid0(VALU_DEP_1) | instskip(NEXT) | instid1(VALU_DEP_1)
	v_mov_b32_dpp v4, v2 row_shr:8 row_mask:0xf bank_mask:0xf
	v_add_nc_u32_e32 v4, v2, v4
	s_delay_alu instid0(VALU_DEP_1)
	v_cndmask_b32_e32 v3, v2, v4, vcc_lo
	ds_swizzle_b32 v2, v1 offset:swizzle(BROADCAST,32,15)
	v_cmp_eq_u32_e32 vcc_lo, 0, v80
	s_waitcnt lgkmcnt(0)
	v_add_nc_u32_e32 v2, v1, v2
	ds_swizzle_b32 v4, v3 offset:swizzle(BROADCAST,32,15)
	v_cndmask_b32_e32 v2, v2, v1, vcc_lo
	s_waitcnt lgkmcnt(0)
	v_add_nc_u32_e32 v4, v3, v4
	s_delay_alu instid0(VALU_DEP_1)
	v_cndmask_b32_e32 v1, v4, v3, vcc_lo
	v_cmpx_eq_u32_e64 v79, v0
	s_cbranch_execz .LBB765_89
; %bb.88:
	v_lshlrev_b32_e32 v3, 3, v78
	ds_store_b64 v3, v[1:2]
.LBB765_89:
	s_or_b32 exec_lo, exec_lo, s2
	s_delay_alu instid0(SALU_CYCLE_1)
	s_mov_b32 s2, exec_lo
	s_waitcnt lgkmcnt(0)
	s_barrier
	buffer_gl0_inv
	v_cmpx_gt_u32_e32 8, v0
	s_cbranch_execz .LBB765_91
; %bb.90:
	v_lshlrev_b32_e32 v5, 3, v0
	ds_load_b64 v[3:4], v5
	s_waitcnt lgkmcnt(0)
	v_mov_b32_dpp v18, v3 row_shr:1 row_mask:0xf bank_mask:0xf
	v_mov_b32_dpp v19, v4 row_shr:1 row_mask:0xf bank_mask:0xf
	s_delay_alu instid0(VALU_DEP_2) | instskip(SKIP_1) | instid1(VALU_DEP_3)
	v_add_nc_u32_e32 v18, v18, v3
	v_and_b32_e32 v20, 7, v77
	v_add_nc_u32_e32 v19, v19, v4
	s_delay_alu instid0(VALU_DEP_2) | instskip(NEXT) | instid1(VALU_DEP_2)
	v_cmp_eq_u32_e32 vcc_lo, 0, v20
	v_dual_cndmask_b32 v4, v19, v4 :: v_dual_cndmask_b32 v3, v18, v3
	v_cmp_lt_u32_e32 vcc_lo, 1, v20
	s_delay_alu instid0(VALU_DEP_2) | instskip(NEXT) | instid1(VALU_DEP_3)
	v_mov_b32_dpp v19, v4 row_shr:2 row_mask:0xf bank_mask:0xf
	v_mov_b32_dpp v18, v3 row_shr:2 row_mask:0xf bank_mask:0xf
	s_delay_alu instid0(VALU_DEP_2) | instskip(NEXT) | instid1(VALU_DEP_2)
	v_add_nc_u32_e32 v19, v4, v19
	v_add_nc_u32_e32 v18, v3, v18
	s_delay_alu instid0(VALU_DEP_1) | instskip(SKIP_1) | instid1(VALU_DEP_2)
	v_dual_cndmask_b32 v4, v4, v19 :: v_dual_cndmask_b32 v3, v3, v18
	v_cmp_lt_u32_e32 vcc_lo, 3, v20
	v_mov_b32_dpp v19, v4 row_shr:4 row_mask:0xf bank_mask:0xf
	s_delay_alu instid0(VALU_DEP_3) | instskip(NEXT) | instid1(VALU_DEP_1)
	v_mov_b32_dpp v18, v3 row_shr:4 row_mask:0xf bank_mask:0xf
	v_dual_cndmask_b32 v19, 0, v19 :: v_dual_cndmask_b32 v18, 0, v18
	s_delay_alu instid0(VALU_DEP_1) | instskip(NEXT) | instid1(VALU_DEP_2)
	v_add_nc_u32_e32 v4, v19, v4
	v_add_nc_u32_e32 v3, v18, v3
	ds_store_b64 v5, v[3:4]
.LBB765_91:
	s_or_b32 exec_lo, exec_lo, s2
	v_cmp_gt_u32_e32 vcc_lo, 32, v0
	v_cmp_lt_u32_e64 s2, 31, v0
	s_waitcnt lgkmcnt(0)
	s_barrier
	buffer_gl0_inv
                                        ; implicit-def: $vgpr19
	s_and_saveexec_b32 s6, s2
	s_delay_alu instid0(SALU_CYCLE_1)
	s_xor_b32 s2, exec_lo, s6
	s_cbranch_execz .LBB765_93
; %bb.92:
	v_lshl_add_u32 v3, v78, 3, -8
	ds_load_b64 v[18:19], v3
	s_waitcnt lgkmcnt(0)
	v_add_nc_u32_e32 v2, v19, v2
	v_add_nc_u32_e32 v1, v18, v1
.LBB765_93:
	s_and_not1_saveexec_b32 s2, s2
; %bb.94:
                                        ; implicit-def: $vgpr18
; %bb.95:
	s_delay_alu instid0(SALU_CYCLE_1) | instskip(SKIP_1) | instid1(VALU_DEP_1)
	s_or_b32 exec_lo, exec_lo, s2
	v_add_nc_u32_e32 v3, -1, v77
	v_cmp_gt_i32_e64 s2, 0, v3
	s_delay_alu instid0(VALU_DEP_1) | instskip(SKIP_1) | instid1(VALU_DEP_2)
	v_cndmask_b32_e64 v3, v3, v77, s2
	v_cmp_eq_u32_e64 s2, 0, v77
	v_lshlrev_b32_e32 v3, 2, v3
	ds_bpermute_b32 v84, v3, v1
	ds_bpermute_b32 v85, v3, v2
	s_and_saveexec_b32 s6, vcc_lo
	s_cbranch_execz .LBB765_118
; %bb.96:
	v_mov_b32_e32 v4, 0
	ds_load_b64 v[1:2], v4 offset:56
	s_waitcnt lgkmcnt(0)
	v_readfirstlane_b32 s7, v2
	s_and_saveexec_b32 s8, s2
	s_cbranch_execz .LBB765_98
; %bb.97:
	s_add_i32 s10, s15, 32
	s_mov_b32 s11, 0
	v_mov_b32_e32 v3, 1
	s_lshl_b64 s[12:13], s[10:11], 4
	s_mov_b32 s16, s11
	s_add_u32 s12, s4, s12
	s_addc_u32 s13, s5, s13
	s_and_b32 s17, s7, 0xff000000
	s_and_b32 s19, s7, 0xff0000
	s_mov_b32 s18, s11
	v_dual_mov_b32 v21, s13 :: v_dual_mov_b32 v20, s12
	s_or_b64 s[16:17], s[18:19], s[16:17]
	s_and_b32 s19, s7, 0xff00
	s_delay_alu instid0(SALU_CYCLE_1) | instskip(SKIP_1) | instid1(SALU_CYCLE_1)
	s_or_b64 s[16:17], s[16:17], s[18:19]
	s_and_b32 s19, s7, 0xff
	s_or_b64 s[10:11], s[16:17], s[18:19]
	s_delay_alu instid0(SALU_CYCLE_1)
	v_mov_b32_e32 v2, s11
	;;#ASMSTART
	global_store_dwordx4 v[20:21], v[1:4] off	
s_waitcnt vmcnt(0)
	;;#ASMEND
.LBB765_98:
	s_or_b32 exec_lo, exec_lo, s8
	v_xad_u32 v20, v77, -1, s15
	s_mov_b32 s9, 0
	s_mov_b32 s8, exec_lo
	s_delay_alu instid0(VALU_DEP_1) | instskip(NEXT) | instid1(VALU_DEP_1)
	v_add_nc_u32_e32 v3, 32, v20
	v_lshlrev_b64 v[2:3], 4, v[3:4]
	s_delay_alu instid0(VALU_DEP_1) | instskip(NEXT) | instid1(VALU_DEP_2)
	v_add_co_u32 v21, vcc_lo, s4, v2
	v_add_co_ci_u32_e32 v22, vcc_lo, s5, v3, vcc_lo
	;;#ASMSTART
	global_load_dwordx4 v[2:5], v[21:22] off glc	
s_waitcnt vmcnt(0)
	;;#ASMEND
	v_and_b32_e32 v5, 0xff, v3
	v_and_b32_e32 v23, 0xff00, v3
	v_or3_b32 v2, v2, 0, 0
	v_and_b32_e32 v24, 0xff000000, v3
	v_and_b32_e32 v3, 0xff0000, v3
	s_delay_alu instid0(VALU_DEP_4) | instskip(SKIP_2) | instid1(VALU_DEP_3)
	v_or3_b32 v5, 0, v5, v23
	v_and_b32_e32 v23, 0xff, v4
	v_or3_b32 v2, v2, 0, 0
	v_or3_b32 v3, v5, v3, v24
	s_delay_alu instid0(VALU_DEP_3)
	v_cmpx_eq_u16_e32 0, v23
	s_cbranch_execz .LBB765_104
; %bb.99:
	s_mov_b32 s10, 1
	.p2align	6
.LBB765_100:                            ; =>This Loop Header: Depth=1
                                        ;     Child Loop BB765_101 Depth 2
	s_delay_alu instid0(SALU_CYCLE_1)
	s_max_u32 s11, s10, 1
.LBB765_101:                            ;   Parent Loop BB765_100 Depth=1
                                        ; =>  This Inner Loop Header: Depth=2
	s_delay_alu instid0(SALU_CYCLE_1)
	s_add_i32 s11, s11, -1
	s_sleep 1
	s_cmp_eq_u32 s11, 0
	s_cbranch_scc0 .LBB765_101
; %bb.102:                              ;   in Loop: Header=BB765_100 Depth=1
	;;#ASMSTART
	global_load_dwordx4 v[2:5], v[21:22] off glc	
s_waitcnt vmcnt(0)
	;;#ASMEND
	v_and_b32_e32 v5, 0xff, v4
	s_cmp_lt_u32 s10, 32
	s_cselect_b32 s11, -1, 0
	s_delay_alu instid0(SALU_CYCLE_1) | instskip(NEXT) | instid1(VALU_DEP_1)
	s_cmp_lg_u32 s11, 0
	v_cmp_ne_u16_e32 vcc_lo, 0, v5
	s_addc_u32 s10, s10, 0
	s_or_b32 s9, vcc_lo, s9
	s_delay_alu instid0(SALU_CYCLE_1)
	s_and_not1_b32 exec_lo, exec_lo, s9
	s_cbranch_execnz .LBB765_100
; %bb.103:
	s_or_b32 exec_lo, exec_lo, s9
.LBB765_104:
	s_delay_alu instid0(SALU_CYCLE_1)
	s_or_b32 exec_lo, exec_lo, s8
	v_cmp_ne_u32_e32 vcc_lo, 31, v77
	v_lshlrev_b32_e64 v87, v77, -1
	v_add_nc_u32_e32 v91, 4, v77
	v_add_nc_u32_e32 v93, 8, v77
	;; [unrolled: 1-line block ×3, first 2 shown]
	v_add_co_ci_u32_e32 v5, vcc_lo, 0, v77, vcc_lo
	s_delay_alu instid0(VALU_DEP_1)
	v_lshlrev_b32_e32 v86, 2, v5
	ds_bpermute_b32 v21, v86, v3
	ds_bpermute_b32 v5, v86, v2
	s_waitcnt lgkmcnt(1)
	v_add_nc_u32_e32 v21, v21, v3
	v_and_b32_e32 v22, 0xff, v4
	s_waitcnt lgkmcnt(0)
	v_add_nc_u32_e32 v5, v5, v2
	s_delay_alu instid0(VALU_DEP_2) | instskip(SKIP_2) | instid1(VALU_DEP_2)
	v_cmp_eq_u16_e32 vcc_lo, 2, v22
	v_and_or_b32 v22, vcc_lo, v87, 0x80000000
	v_cmp_gt_u32_e32 vcc_lo, 30, v77
	v_ctz_i32_b32_e32 v22, v22
	v_cndmask_b32_e64 v23, 0, 1, vcc_lo
	s_delay_alu instid0(VALU_DEP_2) | instskip(NEXT) | instid1(VALU_DEP_2)
	v_cmp_lt_u32_e32 vcc_lo, v77, v22
	v_dual_cndmask_b32 v2, v2, v5 :: v_dual_lshlrev_b32 v23, 1, v23
	s_delay_alu instid0(VALU_DEP_1)
	v_add_lshl_u32 v88, v23, v77, 2
	v_cndmask_b32_e32 v3, v3, v21, vcc_lo
	v_cmp_gt_u32_e32 vcc_lo, 28, v77
	ds_bpermute_b32 v5, v88, v2
	ds_bpermute_b32 v21, v88, v3
	v_cndmask_b32_e64 v23, 0, 1, vcc_lo
	s_waitcnt lgkmcnt(1)
	v_add_nc_u32_e32 v5, v2, v5
	v_add_nc_u32_e32 v89, 2, v77
	s_waitcnt lgkmcnt(0)
	v_add_nc_u32_e32 v21, v3, v21
	s_delay_alu instid0(VALU_DEP_2) | instskip(SKIP_1) | instid1(VALU_DEP_3)
	v_cmp_gt_u32_e32 vcc_lo, v89, v22
	v_dual_cndmask_b32 v2, v5, v2 :: v_dual_lshlrev_b32 v23, 2, v23
	v_cndmask_b32_e32 v3, v21, v3, vcc_lo
	v_cmp_gt_u32_e32 vcc_lo, 24, v77
	s_delay_alu instid0(VALU_DEP_3)
	v_add_lshl_u32 v90, v23, v77, 2
	v_cndmask_b32_e64 v23, 0, 1, vcc_lo
	v_cmp_gt_u32_e32 vcc_lo, v91, v22
	ds_bpermute_b32 v5, v90, v2
	ds_bpermute_b32 v21, v90, v3
	v_lshlrev_b32_e32 v23, 3, v23
	s_delay_alu instid0(VALU_DEP_1) | instskip(SKIP_3) | instid1(VALU_DEP_1)
	v_add_lshl_u32 v92, v23, v77, 2
	s_waitcnt lgkmcnt(1)
	v_add_nc_u32_e32 v5, v2, v5
	s_waitcnt lgkmcnt(0)
	v_dual_cndmask_b32 v2, v5, v2 :: v_dual_add_nc_u32 v21, v3, v21
	s_delay_alu instid0(VALU_DEP_1)
	v_cndmask_b32_e32 v3, v21, v3, vcc_lo
	v_cmp_gt_u32_e32 vcc_lo, 16, v77
	ds_bpermute_b32 v5, v92, v2
	ds_bpermute_b32 v21, v92, v3
	v_cndmask_b32_e64 v23, 0, 1, vcc_lo
	v_cmp_gt_u32_e32 vcc_lo, v93, v22
	s_delay_alu instid0(VALU_DEP_2) | instskip(NEXT) | instid1(VALU_DEP_1)
	v_lshlrev_b32_e32 v23, 4, v23
	v_add_lshl_u32 v94, v23, v77, 2
	s_waitcnt lgkmcnt(1)
	v_add_nc_u32_e32 v5, v2, v5
	s_waitcnt lgkmcnt(0)
	s_delay_alu instid0(VALU_DEP_1) | instskip(NEXT) | instid1(VALU_DEP_1)
	v_dual_cndmask_b32 v2, v5, v2 :: v_dual_add_nc_u32 v21, v3, v21
	v_cndmask_b32_e32 v3, v21, v3, vcc_lo
	v_cmp_le_u32_e32 vcc_lo, v95, v22
	ds_bpermute_b32 v5, v94, v2
	ds_bpermute_b32 v21, v94, v3
	s_waitcnt lgkmcnt(1)
	v_cndmask_b32_e32 v5, 0, v5, vcc_lo
	s_waitcnt lgkmcnt(0)
	s_delay_alu instid0(VALU_DEP_1) | instskip(NEXT) | instid1(VALU_DEP_1)
	v_dual_cndmask_b32 v21, 0, v21 :: v_dual_add_nc_u32 v2, v5, v2
	v_add_nc_u32_e32 v3, v21, v3
	v_mov_b32_e32 v21, 0
	s_branch .LBB765_106
.LBB765_105:                            ;   in Loop: Header=BB765_106 Depth=1
	s_or_b32 exec_lo, exec_lo, s8
	ds_bpermute_b32 v5, v86, v2
	ds_bpermute_b32 v24, v86, v3
	v_subrev_nc_u32_e32 v20, 32, v20
	s_waitcnt lgkmcnt(1)
	v_add_nc_u32_e32 v5, v5, v2
	v_and_b32_e32 v25, 0xff, v4
	s_waitcnt lgkmcnt(0)
	v_add_nc_u32_e32 v24, v24, v3
	s_delay_alu instid0(VALU_DEP_2) | instskip(SKIP_1) | instid1(VALU_DEP_1)
	v_cmp_eq_u16_e32 vcc_lo, 2, v25
	v_and_or_b32 v25, vcc_lo, v87, 0x80000000
	v_ctz_i32_b32_e32 v25, v25
	s_delay_alu instid0(VALU_DEP_1)
	v_cmp_lt_u32_e32 vcc_lo, v77, v25
	v_cndmask_b32_e32 v2, v2, v5, vcc_lo
	ds_bpermute_b32 v5, v88, v2
	s_waitcnt lgkmcnt(0)
	v_add_nc_u32_e32 v5, v2, v5
	v_cndmask_b32_e32 v3, v3, v24, vcc_lo
	v_cmp_gt_u32_e32 vcc_lo, v89, v25
	s_delay_alu instid0(VALU_DEP_3)
	v_cndmask_b32_e32 v2, v5, v2, vcc_lo
	ds_bpermute_b32 v24, v88, v3
	ds_bpermute_b32 v5, v90, v2
	s_waitcnt lgkmcnt(1)
	v_add_nc_u32_e32 v24, v3, v24
	s_waitcnt lgkmcnt(0)
	v_add_nc_u32_e32 v5, v2, v5
	s_delay_alu instid0(VALU_DEP_2) | instskip(SKIP_1) | instid1(VALU_DEP_3)
	v_cndmask_b32_e32 v3, v24, v3, vcc_lo
	v_cmp_gt_u32_e32 vcc_lo, v91, v25
	v_cndmask_b32_e32 v2, v5, v2, vcc_lo
	ds_bpermute_b32 v24, v90, v3
	ds_bpermute_b32 v5, v92, v2
	s_waitcnt lgkmcnt(1)
	v_add_nc_u32_e32 v24, v3, v24
	s_waitcnt lgkmcnt(0)
	v_add_nc_u32_e32 v5, v2, v5
	s_delay_alu instid0(VALU_DEP_2) | instskip(SKIP_1) | instid1(VALU_DEP_3)
	v_cndmask_b32_e32 v3, v24, v3, vcc_lo
	v_cmp_gt_u32_e32 vcc_lo, v93, v25
	v_cndmask_b32_e32 v2, v5, v2, vcc_lo
	ds_bpermute_b32 v24, v92, v3
	ds_bpermute_b32 v5, v94, v2
	s_waitcnt lgkmcnt(1)
	v_add_nc_u32_e32 v24, v3, v24
	s_delay_alu instid0(VALU_DEP_1) | instskip(SKIP_4) | instid1(VALU_DEP_1)
	v_cndmask_b32_e32 v3, v24, v3, vcc_lo
	v_cmp_le_u32_e32 vcc_lo, v95, v25
	ds_bpermute_b32 v24, v94, v3
	s_waitcnt lgkmcnt(1)
	v_cndmask_b32_e32 v5, 0, v5, vcc_lo
	v_add3_u32 v2, v2, v22, v5
	s_waitcnt lgkmcnt(0)
	v_cndmask_b32_e32 v24, 0, v24, vcc_lo
	s_delay_alu instid0(VALU_DEP_1)
	v_add3_u32 v3, v3, v23, v24
.LBB765_106:                            ; =>This Loop Header: Depth=1
                                        ;     Child Loop BB765_109 Depth 2
                                        ;       Child Loop BB765_110 Depth 3
	s_delay_alu instid0(VALU_DEP_1) | instskip(SKIP_1) | instid1(VALU_DEP_2)
	v_dual_mov_b32 v23, v3 :: v_dual_and_b32 v4, 0xff, v4
	v_mov_b32_e32 v22, v2
	v_cmp_ne_u16_e32 vcc_lo, 2, v4
	v_cndmask_b32_e64 v4, 0, 1, vcc_lo
	;;#ASMSTART
	;;#ASMEND
	s_delay_alu instid0(VALU_DEP_1)
	v_cmp_ne_u32_e32 vcc_lo, 0, v4
	s_cmp_lg_u32 vcc_lo, exec_lo
	s_cbranch_scc1 .LBB765_113
; %bb.107:                              ;   in Loop: Header=BB765_106 Depth=1
	v_lshlrev_b64 v[2:3], 4, v[20:21]
	s_mov_b32 s8, exec_lo
	s_delay_alu instid0(VALU_DEP_1) | instskip(NEXT) | instid1(VALU_DEP_2)
	v_add_co_u32 v24, vcc_lo, s4, v2
	v_add_co_ci_u32_e32 v25, vcc_lo, s5, v3, vcc_lo
	;;#ASMSTART
	global_load_dwordx4 v[2:5], v[24:25] off glc	
s_waitcnt vmcnt(0)
	;;#ASMEND
	v_and_b32_e32 v5, 0xff, v3
	v_and_b32_e32 v96, 0xff00, v3
	v_or3_b32 v2, v2, 0, 0
	v_and_b32_e32 v97, 0xff000000, v3
	v_and_b32_e32 v3, 0xff0000, v3
	s_delay_alu instid0(VALU_DEP_4) | instskip(SKIP_2) | instid1(VALU_DEP_3)
	v_or3_b32 v5, 0, v5, v96
	v_and_b32_e32 v96, 0xff, v4
	v_or3_b32 v2, v2, 0, 0
	v_or3_b32 v3, v5, v3, v97
	s_delay_alu instid0(VALU_DEP_3)
	v_cmpx_eq_u16_e32 0, v96
	s_cbranch_execz .LBB765_105
; %bb.108:                              ;   in Loop: Header=BB765_106 Depth=1
	s_mov_b32 s10, 1
	s_mov_b32 s9, 0
	.p2align	6
.LBB765_109:                            ;   Parent Loop BB765_106 Depth=1
                                        ; =>  This Loop Header: Depth=2
                                        ;       Child Loop BB765_110 Depth 3
	s_max_u32 s11, s10, 1
.LBB765_110:                            ;   Parent Loop BB765_106 Depth=1
                                        ;     Parent Loop BB765_109 Depth=2
                                        ; =>    This Inner Loop Header: Depth=3
	s_delay_alu instid0(SALU_CYCLE_1)
	s_add_i32 s11, s11, -1
	s_sleep 1
	s_cmp_eq_u32 s11, 0
	s_cbranch_scc0 .LBB765_110
; %bb.111:                              ;   in Loop: Header=BB765_109 Depth=2
	;;#ASMSTART
	global_load_dwordx4 v[2:5], v[24:25] off glc	
s_waitcnt vmcnt(0)
	;;#ASMEND
	v_and_b32_e32 v5, 0xff, v4
	s_cmp_lt_u32 s10, 32
	s_cselect_b32 s11, -1, 0
	s_delay_alu instid0(SALU_CYCLE_1) | instskip(NEXT) | instid1(VALU_DEP_1)
	s_cmp_lg_u32 s11, 0
	v_cmp_ne_u16_e32 vcc_lo, 0, v5
	s_addc_u32 s10, s10, 0
	s_or_b32 s9, vcc_lo, s9
	s_delay_alu instid0(SALU_CYCLE_1)
	s_and_not1_b32 exec_lo, exec_lo, s9
	s_cbranch_execnz .LBB765_109
; %bb.112:                              ;   in Loop: Header=BB765_106 Depth=1
	s_or_b32 exec_lo, exec_lo, s9
	s_branch .LBB765_105
.LBB765_113:                            ;   in Loop: Header=BB765_106 Depth=1
                                        ; implicit-def: $vgpr4
                                        ; implicit-def: $vgpr2_vgpr3
	s_cbranch_execz .LBB765_106
; %bb.114:
	s_and_saveexec_b32 s8, s2
	s_cbranch_execnz .LBB765_357
; %bb.115:
	s_or_b32 exec_lo, exec_lo, s8
	s_and_saveexec_b32 s8, s2
	s_cbranch_execnz .LBB765_358
.LBB765_116:
	s_or_b32 exec_lo, exec_lo, s8
	v_cmp_eq_u32_e32 vcc_lo, 0, v0
	s_and_b32 exec_lo, exec_lo, vcc_lo
	s_cbranch_execz .LBB765_118
.LBB765_117:
	v_mov_b32_e32 v1, 0
	ds_store_b64 v1, v[22:23] offset:56
.LBB765_118:
	s_or_b32 exec_lo, exec_lo, s6
	v_cmp_eq_u32_e32 vcc_lo, 0, v0
	v_mov_b32_e32 v1, 0
	s_waitcnt lgkmcnt(0)
	s_barrier
	buffer_gl0_inv
	v_add_nc_u32_e64 v3, 0x3400, 0
	ds_load_b64 v[20:21], v1 offset:56
	s_waitcnt lgkmcnt(0)
	s_barrier
	buffer_gl0_inv
	ds_load_2addr_b32 v[1:2], v3 offset1:2
	ds_load_2addr_b32 v[3:4], v3 offset0:4 offset1:6
	v_cndmask_b32_e64 v5, v84, v18, s2
	v_cndmask_b32_e64 v18, v85, v19, s2
	s_delay_alu instid0(VALU_DEP_2) | instskip(NEXT) | instid1(VALU_DEP_1)
	v_add_nc_u32_e32 v19, v20, v5
	v_dual_cndmask_b32 v20, v19, v20 :: v_dual_add_nc_u32 v5, v21, v18
	s_delay_alu instid0(VALU_DEP_1)
	v_cndmask_b32_e32 v5, v5, v21, vcc_lo
	s_branch .LBB765_129
.LBB765_119:
                                        ; implicit-def: $vgpr5
                                        ; implicit-def: $vgpr3
                                        ; implicit-def: $vgpr1
                                        ; implicit-def: $vgpr20_vgpr21
	s_and_b32 vcc_lo, exec_lo, s6
	s_cbranch_vccz .LBB765_129
; %bb.120:
	s_waitcnt lgkmcnt(0)
	v_mov_b32_dpp v2, v83 row_shr:1 row_mask:0xf bank_mask:0xf
	v_cmp_lt_u32_e32 vcc_lo, 3, v81
	v_mov_b32_dpp v1, v82 row_shr:1 row_mask:0xf bank_mask:0xf
	s_delay_alu instid0(VALU_DEP_3) | instskip(NEXT) | instid1(VALU_DEP_1)
	v_add_nc_u32_e32 v2, v2, v83
	v_cndmask_b32_e64 v2, v2, v83, s1
	s_delay_alu instid0(VALU_DEP_1) | instskip(NEXT) | instid1(VALU_DEP_1)
	v_mov_b32_dpp v4, v2 row_shr:2 row_mask:0xf bank_mask:0xf
	v_add_nc_u32_e32 v4, v2, v4
	s_delay_alu instid0(VALU_DEP_1) | instskip(NEXT) | instid1(VALU_DEP_1)
	v_cndmask_b32_e64 v2, v2, v4, s0
	v_mov_b32_dpp v4, v2 row_shr:4 row_mask:0xf bank_mask:0xf
	s_delay_alu instid0(VALU_DEP_1) | instskip(NEXT) | instid1(VALU_DEP_1)
	v_add_nc_u32_e32 v4, v2, v4
	v_dual_cndmask_b32 v2, v2, v4 :: v_dual_add_nc_u32 v1, v1, v82
	s_delay_alu instid0(VALU_DEP_1) | instskip(NEXT) | instid1(VALU_DEP_2)
	v_cndmask_b32_e64 v1, v1, v82, s1
	v_mov_b32_dpp v4, v2 row_shr:8 row_mask:0xf bank_mask:0xf
	s_delay_alu instid0(VALU_DEP_2) | instskip(NEXT) | instid1(VALU_DEP_2)
	v_mov_b32_dpp v3, v1 row_shr:2 row_mask:0xf bank_mask:0xf
	v_add_nc_u32_e32 v4, v2, v4
	s_delay_alu instid0(VALU_DEP_2) | instskip(NEXT) | instid1(VALU_DEP_1)
	v_add_nc_u32_e32 v3, v1, v3
	v_cndmask_b32_e64 v1, v1, v3, s0
	s_mov_b32 s0, exec_lo
	s_delay_alu instid0(VALU_DEP_1) | instskip(NEXT) | instid1(VALU_DEP_1)
	v_mov_b32_dpp v3, v1 row_shr:4 row_mask:0xf bank_mask:0xf
	v_add_nc_u32_e32 v3, v1, v3
	s_delay_alu instid0(VALU_DEP_1) | instskip(SKIP_1) | instid1(VALU_DEP_2)
	v_cndmask_b32_e32 v1, v1, v3, vcc_lo
	v_cmp_lt_u32_e32 vcc_lo, 7, v81
	v_mov_b32_dpp v3, v1 row_shr:8 row_mask:0xf bank_mask:0xf
	s_delay_alu instid0(VALU_DEP_1) | instskip(NEXT) | instid1(VALU_DEP_1)
	v_dual_cndmask_b32 v2, v2, v4 :: v_dual_add_nc_u32 v3, v1, v3
	v_cndmask_b32_e32 v1, v1, v3, vcc_lo
	ds_swizzle_b32 v3, v2 offset:swizzle(BROADCAST,32,15)
	v_cmp_eq_u32_e32 vcc_lo, 0, v80
	ds_swizzle_b32 v4, v1 offset:swizzle(BROADCAST,32,15)
	s_waitcnt lgkmcnt(1)
	v_add_nc_u32_e32 v3, v2, v3
	s_waitcnt lgkmcnt(0)
	v_add_nc_u32_e32 v4, v1, v4
	s_delay_alu instid0(VALU_DEP_1)
	v_dual_cndmask_b32 v2, v3, v2 :: v_dual_cndmask_b32 v1, v4, v1
	v_cmpx_eq_u32_e64 v79, v0
	s_cbranch_execz .LBB765_122
; %bb.121:
	v_lshlrev_b32_e32 v3, 3, v78
	ds_store_b64 v3, v[1:2]
.LBB765_122:
	s_or_b32 exec_lo, exec_lo, s0
	s_delay_alu instid0(SALU_CYCLE_1)
	s_mov_b32 s0, exec_lo
	s_waitcnt lgkmcnt(0)
	s_barrier
	buffer_gl0_inv
	v_cmpx_gt_u32_e32 8, v0
	s_cbranch_execz .LBB765_124
; %bb.123:
	v_lshlrev_b32_e32 v5, 3, v0
	ds_load_b64 v[3:4], v5
	s_waitcnt lgkmcnt(0)
	v_mov_b32_dpp v18, v3 row_shr:1 row_mask:0xf bank_mask:0xf
	v_mov_b32_dpp v19, v4 row_shr:1 row_mask:0xf bank_mask:0xf
	s_delay_alu instid0(VALU_DEP_2) | instskip(SKIP_1) | instid1(VALU_DEP_3)
	v_add_nc_u32_e32 v18, v18, v3
	v_and_b32_e32 v20, 7, v77
	v_add_nc_u32_e32 v19, v19, v4
	s_delay_alu instid0(VALU_DEP_2) | instskip(NEXT) | instid1(VALU_DEP_2)
	v_cmp_eq_u32_e32 vcc_lo, 0, v20
	v_dual_cndmask_b32 v4, v19, v4 :: v_dual_cndmask_b32 v3, v18, v3
	v_cmp_lt_u32_e32 vcc_lo, 1, v20
	s_delay_alu instid0(VALU_DEP_2) | instskip(NEXT) | instid1(VALU_DEP_3)
	v_mov_b32_dpp v19, v4 row_shr:2 row_mask:0xf bank_mask:0xf
	v_mov_b32_dpp v18, v3 row_shr:2 row_mask:0xf bank_mask:0xf
	s_delay_alu instid0(VALU_DEP_2) | instskip(NEXT) | instid1(VALU_DEP_2)
	v_add_nc_u32_e32 v19, v4, v19
	v_add_nc_u32_e32 v18, v3, v18
	s_delay_alu instid0(VALU_DEP_1) | instskip(SKIP_1) | instid1(VALU_DEP_2)
	v_dual_cndmask_b32 v4, v4, v19 :: v_dual_cndmask_b32 v3, v3, v18
	v_cmp_lt_u32_e32 vcc_lo, 3, v20
	v_mov_b32_dpp v19, v4 row_shr:4 row_mask:0xf bank_mask:0xf
	s_delay_alu instid0(VALU_DEP_3) | instskip(NEXT) | instid1(VALU_DEP_1)
	v_mov_b32_dpp v18, v3 row_shr:4 row_mask:0xf bank_mask:0xf
	v_dual_cndmask_b32 v19, 0, v19 :: v_dual_cndmask_b32 v18, 0, v18
	s_delay_alu instid0(VALU_DEP_1) | instskip(NEXT) | instid1(VALU_DEP_2)
	v_add_nc_u32_e32 v4, v19, v4
	v_add_nc_u32_e32 v3, v18, v3
	ds_store_b64 v5, v[3:4]
.LBB765_124:
	s_or_b32 exec_lo, exec_lo, s0
	v_dual_mov_b32 v3, 0 :: v_dual_mov_b32 v18, 0
	v_mov_b32_e32 v19, 0
	s_mov_b32 s0, exec_lo
	s_waitcnt lgkmcnt(0)
	s_barrier
	buffer_gl0_inv
	v_cmpx_lt_u32_e32 31, v0
	s_cbranch_execz .LBB765_126
; %bb.125:
	v_lshl_add_u32 v4, v78, 3, -8
	ds_load_b64 v[18:19], v4
.LBB765_126:
	s_or_b32 exec_lo, exec_lo, s0
	v_add_nc_u32_e32 v4, -1, v77
	s_waitcnt lgkmcnt(0)
	v_add_nc_u32_e32 v20, v19, v2
	v_add_nc_u32_e32 v5, v18, v1
	ds_load_b64 v[1:2], v3 offset:56
	v_cmp_gt_i32_e32 vcc_lo, 0, v4
	v_cndmask_b32_e32 v4, v4, v77, vcc_lo
	v_cmp_eq_u32_e32 vcc_lo, 0, v0
	s_delay_alu instid0(VALU_DEP_2)
	v_lshlrev_b32_e32 v4, 2, v4
	ds_bpermute_b32 v5, v4, v5
	ds_bpermute_b32 v20, v4, v20
	s_waitcnt lgkmcnt(2)
	v_readfirstlane_b32 s1, v2
	s_and_saveexec_b32 s0, vcc_lo
	s_cbranch_execz .LBB765_128
; %bb.127:
	s_mov_b32 s6, 0
	s_add_u32 s4, s4, 0x200
	s_addc_u32 s5, s5, 0
	s_and_b32 s7, s1, 0xff000000
	s_and_b32 s9, s1, 0xff0000
	s_mov_b32 s8, s6
	v_mov_b32_e32 v22, s5
	s_or_b64 s[8:9], s[8:9], s[6:7]
	s_and_b32 s7, s1, 0xff00
	v_dual_mov_b32 v4, 0 :: v_dual_mov_b32 v21, s4
	s_or_b64 s[8:9], s[8:9], s[6:7]
	s_and_b32 s7, s1, 0xff
	v_mov_b32_e32 v3, 2
	s_or_b64 s[6:7], s[8:9], s[6:7]
	s_delay_alu instid0(SALU_CYCLE_1)
	v_mov_b32_e32 v2, s7
	;;#ASMSTART
	global_store_dwordx4 v[21:22], v[1:4] off	
s_waitcnt vmcnt(0)
	;;#ASMEND
.LBB765_128:
	s_or_b32 exec_lo, exec_lo, s0
	v_cmp_eq_u32_e64 s0, 0, v77
	v_dual_mov_b32 v3, 0 :: v_dual_mov_b32 v2, s1
	s_waitcnt lgkmcnt(0)
	s_barrier
	s_delay_alu instid0(VALU_DEP_2)
	v_cndmask_b32_e64 v4, v5, v18, s0
	v_cndmask_b32_e64 v5, v20, v19, s0
	buffer_gl0_inv
	v_cndmask_b32_e64 v20, v4, 0, vcc_lo
	v_cndmask_b32_e64 v5, v5, 0, vcc_lo
	v_mov_b32_e32 v4, 0
.LBB765_129:
	v_and_b32_e32 v30, 1, v30
	v_and_b32_e32 v34, 1, v34
	;; [unrolled: 1-line block ×4, first 2 shown]
	s_waitcnt lgkmcnt(0)
	v_add_co_u32 v18, s0, s28, v3
	v_cmp_eq_u32_e32 vcc_lo, 1, v30
	v_add_nc_u32_e32 v22, v5, v76
	v_sub_nc_u32_e32 v5, v5, v4
	v_add_co_ci_u32_e64 v19, null, s29, 0, s0
	s_mov_b32 s2, -1
	s_delay_alu instid0(VALU_DEP_3) | instskip(SKIP_3) | instid1(VALU_DEP_3)
	v_add_nc_u32_e32 v24, v22, v72
	v_sub_nc_u32_e32 v22, v22, v4
	v_add_nc_u32_e32 v5, v5, v1
	v_sub_co_u32 v72, s0, s30, v1
	v_add_nc_u32_e32 v22, v22, v1
	v_add_nc_u32_e32 v21, v20, v75
	v_sub_nc_u32_e32 v20, v20, v3
	s_delay_alu instid0(VALU_DEP_2)
	v_add_nc_u32_e32 v23, v21, v71
	v_add_nc_u32_e32 v71, v24, v74
	v_lshlrev_b32_e32 v74, 1, v1
	v_sub_nc_u32_e32 v21, v21, v3
	v_add_nc_u32_e32 v75, v20, v5
	v_sub_nc_u32_e32 v24, v24, v4
	s_delay_alu instid0(VALU_DEP_4) | instskip(NEXT) | instid1(VALU_DEP_4)
	v_add3_u32 v28, v74, v2, v28
	v_add_nc_u32_e32 v76, v22, v21
	s_delay_alu instid0(VALU_DEP_3) | instskip(NEXT) | instid1(VALU_DEP_3)
	v_add_nc_u32_e32 v24, v24, v1
	v_sub_nc_u32_e32 v75, v28, v75
	s_delay_alu instid0(VALU_DEP_3) | instskip(NEXT) | instid1(VALU_DEP_1)
	v_sub_nc_u32_e32 v76, v28, v76
	v_dual_cndmask_b32 v5, v75, v5 :: v_dual_add_nc_u32 v30, 1, v76
	v_cmp_eq_u32_e32 vcc_lo, 1, v34
	s_delay_alu instid0(VALU_DEP_2) | instskip(SKIP_1) | instid1(VALU_DEP_4)
	v_cndmask_b32_e32 v22, v30, v22, vcc_lo
	v_cmp_eq_u32_e32 vcc_lo, 1, v29
	v_cndmask_b32_e32 v5, v5, v20, vcc_lo
	v_and_b32_e32 v20, 1, v36
	v_cmp_eq_u32_e32 vcc_lo, 1, v33
	s_delay_alu instid0(VALU_DEP_3) | instskip(SKIP_1) | instid1(VALU_DEP_4)
	v_lshlrev_b32_e32 v5, 2, v5
	v_cndmask_b32_e32 v21, v22, v21, vcc_lo
	v_cmp_eq_u32_e32 vcc_lo, 1, v20
	v_add_nc_u32_e32 v25, v23, v73
	v_sub_nc_u32_e32 v23, v23, v3
	v_and_b32_e32 v22, 1, v31
	v_sub_co_ci_u32_e64 v73, null, s31, 0, s0
	v_and_b32_e32 v31, 1, v32
	s_delay_alu instid0(VALU_DEP_4) | instskip(NEXT) | instid1(VALU_DEP_1)
	v_add_nc_u32_e32 v77, v24, v23
	v_sub_nc_u32_e32 v75, v28, v77
	s_delay_alu instid0(VALU_DEP_1) | instskip(NEXT) | instid1(VALU_DEP_1)
	v_add_nc_u32_e32 v29, 2, v75
	v_cndmask_b32_e32 v20, v29, v24, vcc_lo
	v_sub_nc_u32_e32 v24, v71, v4
	v_cmp_eq_u32_e32 vcc_lo, 1, v22
	v_add_nc_u32_e32 v69, v25, v69
	v_lshlrev_b32_e32 v29, 2, v21
	ds_store_b32 v5, v16
	ds_store_b32 v29, v17
	v_cndmask_b32_e32 v22, v20, v23, vcc_lo
	v_sub_nc_u32_e32 v23, v25, v3
	v_add_nc_u32_e32 v24, v24, v1
	v_add_co_u32 v20, vcc_lo, v72, v4
	s_delay_alu instid0(VALU_DEP_4) | instskip(SKIP_1) | instid1(VALU_DEP_4)
	v_lshlrev_b32_e32 v5, 2, v22
	v_and_b32_e32 v22, 1, v35
	v_add_nc_u32_e32 v25, v23, v24
	v_add_co_ci_u32_e32 v21, vcc_lo, 0, v73, vcc_lo
	ds_store_b32 v5, v14
	v_cmp_eq_u32_e32 vcc_lo, 1, v22
	v_sub_nc_u32_e32 v17, v28, v25
	v_sub_nc_u32_e32 v29, v69, v3
	v_add_nc_u32_e32 v67, v69, v67
	s_delay_alu instid0(VALU_DEP_3) | instskip(NEXT) | instid1(VALU_DEP_2)
	v_add_nc_u32_e32 v17, 3, v17
	v_sub_nc_u32_e32 v30, v67, v3
	s_delay_alu instid0(VALU_DEP_2) | instskip(SKIP_2) | instid1(VALU_DEP_3)
	v_cndmask_b32_e32 v17, v17, v24, vcc_lo
	v_cmp_eq_u32_e32 vcc_lo, 1, v31
	v_and_b32_e32 v24, 1, v39
	v_cndmask_b32_e32 v14, v17, v23, vcc_lo
	v_add_nc_u32_e32 v70, v71, v70
	v_and_b32_e32 v23, 1, v38
	s_delay_alu instid0(VALU_DEP_3) | instskip(NEXT) | instid1(VALU_DEP_3)
	v_lshlrev_b32_e32 v14, 2, v14
	v_add_nc_u32_e32 v68, v70, v68
	v_sub_nc_u32_e32 v16, v70, v4
	ds_store_b32 v14, v15
	v_sub_nc_u32_e32 v25, v68, v4
	v_add_nc_u32_e32 v16, v16, v1
	s_delay_alu instid0(VALU_DEP_2) | instskip(NEXT) | instid1(VALU_DEP_2)
	v_add_nc_u32_e32 v25, v25, v1
	v_add_nc_u32_e32 v32, v29, v16
	s_delay_alu instid0(VALU_DEP_2) | instskip(NEXT) | instid1(VALU_DEP_2)
	v_add_nc_u32_e32 v22, v30, v25
	v_sub_nc_u32_e32 v5, v28, v32
	s_delay_alu instid0(VALU_DEP_2) | instskip(SKIP_1) | instid1(VALU_DEP_3)
	v_sub_nc_u32_e32 v17, v28, v22
	v_and_b32_e32 v22, 1, v37
	v_add_nc_u32_e32 v5, 4, v5
	s_delay_alu instid0(VALU_DEP_3) | instskip(NEXT) | instid1(VALU_DEP_3)
	v_add_nc_u32_e32 v17, 5, v17
	v_cmp_eq_u32_e32 vcc_lo, 1, v22
	s_delay_alu instid0(VALU_DEP_3)
	v_cndmask_b32_e32 v5, v5, v16, vcc_lo
	v_cmp_eq_u32_e32 vcc_lo, 1, v24
	v_and_b32_e32 v16, 1, v41
	v_cndmask_b32_e32 v17, v17, v25, vcc_lo
	v_cmp_eq_u32_e32 vcc_lo, 1, v23
	v_cndmask_b32_e32 v5, v5, v29, vcc_lo
	s_delay_alu instid0(VALU_DEP_4) | instskip(SKIP_1) | instid1(VALU_DEP_3)
	v_cmp_eq_u32_e32 vcc_lo, 1, v16
	v_add_nc_u32_e32 v66, v68, v66
	v_dual_cndmask_b32 v16, v17, v30 :: v_dual_lshlrev_b32 v5, 2, v5
	s_delay_alu instid0(VALU_DEP_2) | instskip(SKIP_1) | instid1(VALU_DEP_3)
	v_sub_nc_u32_e32 v22, v66, v4
	v_add_nc_u32_e32 v62, v66, v62
	v_lshlrev_b32_e32 v16, 2, v16
	ds_store_b32 v5, v12
	ds_store_b32 v16, v13
	v_and_b32_e32 v12, 1, v40
	v_add_nc_u32_e32 v22, v22, v1
	v_add_nc_u32_e32 v64, v62, v64
	v_sub_nc_u32_e32 v17, v62, v4
	v_and_b32_e32 v16, 1, v43
	v_cmp_eq_u32_e32 vcc_lo, 1, v12
	v_add_nc_u32_e32 v65, v67, v65
	v_sub_nc_u32_e32 v15, v64, v4
	v_add_nc_u32_e32 v17, v17, v1
	s_delay_alu instid0(VALU_DEP_3) | instskip(NEXT) | instid1(VALU_DEP_3)
	v_sub_nc_u32_e32 v23, v65, v3
	v_add_nc_u32_e32 v15, v15, v1
	s_delay_alu instid0(VALU_DEP_2) | instskip(NEXT) | instid1(VALU_DEP_1)
	v_add_nc_u32_e32 v24, v23, v22
	v_sub_nc_u32_e32 v14, v28, v24
	v_and_b32_e32 v24, 1, v48
	s_delay_alu instid0(VALU_DEP_2) | instskip(SKIP_1) | instid1(VALU_DEP_2)
	v_add_nc_u32_e32 v13, 6, v14
	v_and_b32_e32 v14, 1, v42
	v_cndmask_b32_e32 v12, v13, v22, vcc_lo
	v_add_nc_u32_e32 v61, v65, v61
	s_delay_alu instid0(VALU_DEP_3) | instskip(SKIP_1) | instid1(VALU_DEP_3)
	v_cmp_eq_u32_e32 vcc_lo, 1, v14
	v_and_b32_e32 v22, 1, v44
	v_sub_nc_u32_e32 v25, v61, v3
	v_add_nc_u32_e32 v63, v61, v63
	v_cndmask_b32_e32 v12, v12, v23, vcc_lo
	v_cmp_eq_u32_e32 vcc_lo, 1, v16
	v_and_b32_e32 v23, 1, v46
	v_add_nc_u32_e32 v5, v25, v17
	v_sub_nc_u32_e32 v13, v63, v3
	v_lshlrev_b32_e32 v12, 2, v12
	v_add_nc_u32_e32 v59, v63, v59
	s_delay_alu instid0(VALU_DEP_4) | instskip(NEXT) | instid1(VALU_DEP_4)
	v_sub_nc_u32_e32 v5, v28, v5
	v_add_nc_u32_e32 v14, v13, v15
	s_delay_alu instid0(VALU_DEP_3) | instskip(NEXT) | instid1(VALU_DEP_3)
	v_add_nc_u32_e32 v57, v59, v57
	v_add_nc_u32_e32 v5, 7, v5
	s_delay_alu instid0(VALU_DEP_3) | instskip(NEXT) | instid1(VALU_DEP_3)
	v_sub_nc_u32_e32 v14, v28, v14
	v_add_nc_u32_e32 v55, v57, v55
	s_delay_alu instid0(VALU_DEP_3)
	v_cndmask_b32_e32 v5, v5, v17, vcc_lo
	v_cmp_eq_u32_e32 vcc_lo, 1, v22
	v_and_b32_e32 v17, 1, v45
	v_add_nc_u32_e32 v14, 8, v14
	v_sub_nc_u32_e32 v22, v59, v3
	v_add_nc_u32_e32 v53, v55, v53
	v_cndmask_b32_e32 v5, v5, v25, vcc_lo
	v_cmp_eq_u32_e32 vcc_lo, 1, v17
	v_sub_nc_u32_e32 v17, v55, v3
	v_and_b32_e32 v25, 1, v52
	s_delay_alu instid0(VALU_DEP_4)
	v_dual_cndmask_b32 v14, v14, v15 :: v_dual_lshlrev_b32 v5, 2, v5
	v_cmp_eq_u32_e32 vcc_lo, 1, v23
	v_add_nc_u32_e32 v60, v64, v60
	ds_store_b32 v12, v10
	ds_store_b32 v5, v11
	v_and_b32_e32 v11, 1, v49
	v_cndmask_b32_e32 v5, v14, v13, vcc_lo
	v_sub_nc_u32_e32 v16, v60, v4
	v_add_nc_u32_e32 v58, v60, v58
	v_and_b32_e32 v13, 1, v47
	s_delay_alu instid0(VALU_DEP_4) | instskip(NEXT) | instid1(VALU_DEP_4)
	v_lshlrev_b32_e32 v5, 2, v5
	v_add_nc_u32_e32 v16, v16, v1
	s_delay_alu instid0(VALU_DEP_4) | instskip(SKIP_2) | instid1(VALU_DEP_4)
	v_add_nc_u32_e32 v56, v58, v56
	v_sub_nc_u32_e32 v12, v58, v4
	v_cmp_eq_u32_e32 vcc_lo, 1, v13
	v_add_nc_u32_e32 v15, v22, v16
	s_delay_alu instid0(VALU_DEP_4) | instskip(NEXT) | instid1(VALU_DEP_4)
	v_sub_nc_u32_e32 v14, v56, v4
	v_add_nc_u32_e32 v12, v12, v1
	v_add_nc_u32_e32 v54, v56, v54
	s_delay_alu instid0(VALU_DEP_4) | instskip(SKIP_2) | instid1(VALU_DEP_4)
	v_sub_nc_u32_e32 v10, v28, v15
	v_sub_nc_u32_e32 v15, v57, v3
	v_add_nc_u32_e32 v14, v14, v1
	v_sub_nc_u32_e32 v23, v54, v4
	v_sub_nc_u32_e32 v3, v53, v3
	v_add_nc_u32_e32 v10, 9, v10
	v_add_nc_u32_e32 v13, v15, v12
	s_delay_alu instid0(VALU_DEP_2) | instskip(SKIP_2) | instid1(VALU_DEP_4)
	v_dual_cndmask_b32 v10, v10, v16 :: v_dual_add_nc_u32 v23, v23, v1
	v_add_nc_u32_e32 v16, v17, v14
	v_cmp_eq_u32_e32 vcc_lo, 1, v11
	v_sub_nc_u32_e32 v11, v28, v13
	v_and_b32_e32 v13, 1, v50
	s_delay_alu instid0(VALU_DEP_4) | instskip(NEXT) | instid1(VALU_DEP_3)
	v_sub_nc_u32_e32 v16, v28, v16
	v_dual_cndmask_b32 v10, v10, v22 :: v_dual_add_nc_u32 v11, 10, v11
	v_cmp_eq_u32_e32 vcc_lo, 1, v24
	v_add_nc_u32_e32 v22, v3, v23
	s_delay_alu instid0(VALU_DEP_4) | instskip(NEXT) | instid1(VALU_DEP_4)
	v_add_nc_u32_e32 v16, 11, v16
	v_dual_cndmask_b32 v11, v11, v12 :: v_dual_lshlrev_b32 v10, 2, v10
	v_cmp_eq_u32_e32 vcc_lo, 1, v25
	s_delay_alu instid0(VALU_DEP_4) | instskip(SKIP_3) | instid1(VALU_DEP_4)
	v_sub_nc_u32_e32 v22, v28, v22
	v_and_b32_e32 v12, 1, v51
	v_cndmask_b32_e32 v14, v16, v14, vcc_lo
	v_cmp_eq_u32_e32 vcc_lo, 1, v13
	v_dual_cndmask_b32 v11, v11, v15 :: v_dual_add_nc_u32 v16, 12, v22
	s_delay_alu instid0(VALU_DEP_4) | instskip(NEXT) | instid1(VALU_DEP_2)
	v_cmp_eq_u32_e32 vcc_lo, 1, v12
	v_cndmask_b32_e64 v13, v16, v23, s43
	s_delay_alu instid0(VALU_DEP_3) | instskip(NEXT) | instid1(VALU_DEP_2)
	v_dual_cndmask_b32 v12, v14, v17 :: v_dual_lshlrev_b32 v11, 2, v11
	v_cndmask_b32_e64 v3, v13, v3, s42
	s_delay_alu instid0(VALU_DEP_2)
	v_lshlrev_b32_e32 v12, 2, v12
	ds_store_b32 v5, v8
	ds_store_b32 v10, v9
	;; [unrolled: 1-line block ×4, first 2 shown]
	v_lshlrev_b32_e32 v3, 2, v3
	v_add_co_u32 v5, s0, v2, v74
	s_delay_alu instid0(VALU_DEP_1) | instskip(SKIP_4) | instid1(VALU_DEP_2)
	v_add_co_ci_u32_e64 v6, null, 0, 0, s0
	ds_store_b32 v3, v27
	v_add_co_u32 v3, vcc_lo, v5, v20
	v_add_co_ci_u32_e32 v5, vcc_lo, v6, v21, vcc_lo
	s_add_u32 s0, s34, s33
	v_add_co_u32 v3, vcc_lo, v3, v18
	s_delay_alu instid0(VALU_DEP_2) | instskip(SKIP_1) | instid1(VALU_DEP_2)
	v_add_co_ci_u32_e32 v5, vcc_lo, v5, v19, vcc_lo
	s_addc_u32 s1, s35, 0
	v_sub_co_u32 v3, vcc_lo, s0, v3
	s_delay_alu instid0(VALU_DEP_2)
	v_sub_co_ci_u32_e32 v9, vcc_lo, s1, v5, vcc_lo
	v_lshlrev_b64 v[5:6], 2, v[20:21]
	v_lshlrev_b64 v[7:8], 2, v[18:19]
	v_add_nc_u32_e32 v10, v1, v2
	s_add_u32 s1, s26, -4
	s_waitcnt lgkmcnt(0)
	s_barrier
	v_add_co_u32 v5, vcc_lo, s38, v5
	v_add_co_ci_u32_e32 v6, vcc_lo, s39, v6, vcc_lo
	v_cmp_ne_u32_e32 vcc_lo, 1, v26
	v_add_co_u32 v7, s0, s36, v7
	s_delay_alu instid0(VALU_DEP_1)
	v_add_co_ci_u32_e64 v8, s0, s37, v8, s0
	s_addc_u32 s0, s27, -1
	buffer_gl0_inv
	s_cbranch_vccz .LBB765_133
; %bb.130:
	s_and_b32 vcc_lo, exec_lo, s2
	s_cbranch_vccnz .LBB765_238
.LBB765_131:
	v_cmp_eq_u32_e32 vcc_lo, 0, v0
	s_and_b32 s0, vcc_lo, s14
	s_delay_alu instid0(SALU_CYCLE_1)
	s_and_saveexec_b32 s1, s0
	s_cbranch_execnz .LBB765_356
.LBB765_132:
	s_nop 0
	s_sendmsg sendmsg(MSG_DEALLOC_VGPRS)
	s_endpgm
.LBB765_133:
	s_mov_b32 s2, exec_lo
	v_cmpx_le_u32_e64 v1, v0
	s_xor_b32 s2, exec_lo, s2
	s_cbranch_execz .LBB765_139
; %bb.134:
	s_mov_b32 s4, exec_lo
	v_cmpx_le_u32_e64 v10, v0
	s_xor_b32 s4, exec_lo, s4
	s_cbranch_execz .LBB765_136
; %bb.135:
	v_lshlrev_b32_e32 v11, 2, v0
	ds_load_b32 v13, v11
	v_add_co_u32 v11, vcc_lo, v3, v0
	v_add_co_ci_u32_e32 v12, vcc_lo, 0, v9, vcc_lo
	s_delay_alu instid0(VALU_DEP_1) | instskip(NEXT) | instid1(VALU_DEP_1)
	v_lshlrev_b64 v[11:12], 2, v[11:12]
	v_sub_co_u32 v11, vcc_lo, s26, v11
	s_delay_alu instid0(VALU_DEP_2)
	v_sub_co_ci_u32_e32 v12, vcc_lo, s27, v12, vcc_lo
	s_waitcnt lgkmcnt(0)
	global_store_b32 v[11:12], v13, off offset:-4
.LBB765_136:
	s_and_not1_saveexec_b32 s4, s4
	s_cbranch_execz .LBB765_138
; %bb.137:
	v_lshlrev_b32_e32 v11, 2, v0
	v_readfirstlane_b32 s6, v5
	v_readfirstlane_b32 s7, v6
	ds_load_b32 v12, v11
	s_waitcnt lgkmcnt(0)
	global_store_b32 v11, v12, s[6:7]
.LBB765_138:
	s_or_b32 exec_lo, exec_lo, s4
.LBB765_139:
	s_and_not1_saveexec_b32 s2, s2
	s_cbranch_execz .LBB765_141
; %bb.140:
	v_lshlrev_b32_e32 v11, 2, v0
	v_readfirstlane_b32 s4, v7
	v_readfirstlane_b32 s5, v8
	ds_load_b32 v12, v11
	s_waitcnt lgkmcnt(0)
	global_store_b32 v11, v12, s[4:5]
.LBB765_141:
	s_or_b32 exec_lo, exec_lo, s2
	v_or_b32_e32 v11, 0x100, v0
	s_mov_b32 s2, exec_lo
	s_delay_alu instid0(VALU_DEP_1)
	v_cmpx_le_u32_e64 v1, v11
	s_xor_b32 s2, exec_lo, s2
	s_cbranch_execz .LBB765_147
; %bb.142:
	s_mov_b32 s4, exec_lo
	v_cmpx_le_u32_e64 v10, v11
	s_xor_b32 s4, exec_lo, s4
	s_cbranch_execz .LBB765_144
; %bb.143:
	v_lshlrev_b32_e32 v11, 2, v0
	ds_load_b32 v13, v11 offset:1024
	v_add_co_u32 v11, vcc_lo, v3, v0
	v_add_co_ci_u32_e32 v12, vcc_lo, 0, v9, vcc_lo
	s_delay_alu instid0(VALU_DEP_1) | instskip(NEXT) | instid1(VALU_DEP_1)
	v_lshlrev_b64 v[11:12], 2, v[11:12]
	v_sub_co_u32 v11, vcc_lo, s1, v11
	s_delay_alu instid0(VALU_DEP_2)
	v_sub_co_ci_u32_e32 v12, vcc_lo, s0, v12, vcc_lo
	s_waitcnt lgkmcnt(0)
	global_store_b32 v[11:12], v13, off offset:-1024
.LBB765_144:
	s_and_not1_saveexec_b32 s4, s4
	s_cbranch_execz .LBB765_146
; %bb.145:
	v_lshlrev_b32_e32 v11, 2, v0
	v_readfirstlane_b32 s6, v5
	v_readfirstlane_b32 s7, v6
	ds_load_b32 v12, v11 offset:1024
	s_waitcnt lgkmcnt(0)
	global_store_b32 v11, v12, s[6:7] offset:1024
.LBB765_146:
	s_or_b32 exec_lo, exec_lo, s4
.LBB765_147:
	s_and_not1_saveexec_b32 s2, s2
	s_cbranch_execz .LBB765_149
; %bb.148:
	v_lshlrev_b32_e32 v11, 2, v0
	v_readfirstlane_b32 s4, v7
	v_readfirstlane_b32 s5, v8
	ds_load_b32 v12, v11 offset:1024
	s_waitcnt lgkmcnt(0)
	global_store_b32 v11, v12, s[4:5] offset:1024
.LBB765_149:
	s_or_b32 exec_lo, exec_lo, s2
	v_or_b32_e32 v11, 0x200, v0
	s_mov_b32 s2, exec_lo
	s_delay_alu instid0(VALU_DEP_1)
	v_cmpx_le_u32_e64 v1, v11
	s_xor_b32 s2, exec_lo, s2
	s_cbranch_execz .LBB765_155
; %bb.150:
	s_mov_b32 s4, exec_lo
	v_cmpx_le_u32_e64 v10, v11
	s_xor_b32 s4, exec_lo, s4
	s_cbranch_execz .LBB765_152
; %bb.151:
	v_lshlrev_b32_e32 v11, 2, v0
	ds_load_b32 v13, v11 offset:2048
	v_add_co_u32 v11, vcc_lo, v3, v0
	v_add_co_ci_u32_e32 v12, vcc_lo, 0, v9, vcc_lo
	s_delay_alu instid0(VALU_DEP_1) | instskip(NEXT) | instid1(VALU_DEP_1)
	v_lshlrev_b64 v[11:12], 2, v[11:12]
	v_sub_co_u32 v11, vcc_lo, s1, v11
	s_delay_alu instid0(VALU_DEP_2)
	v_sub_co_ci_u32_e32 v12, vcc_lo, s0, v12, vcc_lo
	s_waitcnt lgkmcnt(0)
	global_store_b32 v[11:12], v13, off offset:-2048
.LBB765_152:
	s_and_not1_saveexec_b32 s4, s4
	s_cbranch_execz .LBB765_154
; %bb.153:
	v_lshlrev_b32_e32 v11, 2, v0
	v_readfirstlane_b32 s6, v5
	v_readfirstlane_b32 s7, v6
	ds_load_b32 v12, v11 offset:2048
	s_waitcnt lgkmcnt(0)
	global_store_b32 v11, v12, s[6:7] offset:2048
.LBB765_154:
	s_or_b32 exec_lo, exec_lo, s4
.LBB765_155:
	s_and_not1_saveexec_b32 s2, s2
	s_cbranch_execz .LBB765_157
; %bb.156:
	v_lshlrev_b32_e32 v11, 2, v0
	v_readfirstlane_b32 s4, v7
	v_readfirstlane_b32 s5, v8
	ds_load_b32 v12, v11 offset:2048
	s_waitcnt lgkmcnt(0)
	global_store_b32 v11, v12, s[4:5] offset:2048
.LBB765_157:
	;; [unrolled: 47-line block ×3, first 2 shown]
	s_or_b32 exec_lo, exec_lo, s2
	v_or_b32_e32 v11, 0x400, v0
	s_mov_b32 s2, exec_lo
	s_delay_alu instid0(VALU_DEP_1)
	v_cmpx_le_u32_e64 v1, v11
	s_xor_b32 s2, exec_lo, s2
	s_cbranch_execz .LBB765_171
; %bb.166:
	s_mov_b32 s4, exec_lo
	v_cmpx_le_u32_e64 v10, v11
	s_xor_b32 s4, exec_lo, s4
	s_cbranch_execz .LBB765_168
; %bb.167:
	v_lshlrev_b32_e32 v11, 2, v0
	ds_load_b32 v13, v11 offset:4096
	v_add_co_u32 v11, vcc_lo, v3, v0
	v_add_co_ci_u32_e32 v12, vcc_lo, 0, v9, vcc_lo
	s_delay_alu instid0(VALU_DEP_1) | instskip(NEXT) | instid1(VALU_DEP_1)
	v_lshlrev_b64 v[11:12], 2, v[11:12]
	v_sub_co_u32 v11, vcc_lo, s1, v11
	s_delay_alu instid0(VALU_DEP_2)
	v_sub_co_ci_u32_e32 v12, vcc_lo, s0, v12, vcc_lo
	s_waitcnt lgkmcnt(0)
	global_store_b32 v[11:12], v13, off offset:-4096
                                        ; implicit-def: $vgpr11
.LBB765_168:
	s_and_not1_saveexec_b32 s4, s4
	s_cbranch_execz .LBB765_170
; %bb.169:
	v_lshlrev_b32_e32 v12, 2, v0
	v_lshlrev_b32_e32 v11, 2, v11
	v_readfirstlane_b32 s6, v5
	v_readfirstlane_b32 s7, v6
	ds_load_b32 v12, v12 offset:4096
	s_waitcnt lgkmcnt(0)
	global_store_b32 v11, v12, s[6:7]
.LBB765_170:
	s_or_b32 exec_lo, exec_lo, s4
                                        ; implicit-def: $vgpr11
.LBB765_171:
	s_and_not1_saveexec_b32 s2, s2
	s_cbranch_execz .LBB765_173
; %bb.172:
	v_lshlrev_b32_e32 v12, 2, v0
	v_lshlrev_b32_e32 v11, 2, v11
	v_readfirstlane_b32 s4, v7
	v_readfirstlane_b32 s5, v8
	ds_load_b32 v12, v12 offset:4096
	s_waitcnt lgkmcnt(0)
	global_store_b32 v11, v12, s[4:5]
.LBB765_173:
	s_or_b32 exec_lo, exec_lo, s2
	v_or_b32_e32 v11, 0x500, v0
	s_mov_b32 s2, exec_lo
	s_delay_alu instid0(VALU_DEP_1)
	v_cmpx_le_u32_e64 v1, v11
	s_xor_b32 s2, exec_lo, s2
	s_cbranch_execz .LBB765_179
; %bb.174:
	s_mov_b32 s4, exec_lo
	v_cmpx_le_u32_e64 v10, v11
	s_xor_b32 s4, exec_lo, s4
	s_cbranch_execz .LBB765_176
; %bb.175:
	v_lshlrev_b32_e32 v12, 2, v0
	v_add_co_u32 v11, vcc_lo, v3, v11
	ds_load_b32 v13, v12 offset:5120
	v_add_co_ci_u32_e32 v12, vcc_lo, 0, v9, vcc_lo
	s_delay_alu instid0(VALU_DEP_1) | instskip(NEXT) | instid1(VALU_DEP_1)
	v_lshlrev_b64 v[11:12], 2, v[11:12]
	v_sub_co_u32 v11, vcc_lo, s1, v11
	s_delay_alu instid0(VALU_DEP_2)
	v_sub_co_ci_u32_e32 v12, vcc_lo, s0, v12, vcc_lo
	s_waitcnt lgkmcnt(0)
	global_store_b32 v[11:12], v13, off
                                        ; implicit-def: $vgpr11
.LBB765_176:
	s_and_not1_saveexec_b32 s4, s4
	s_cbranch_execz .LBB765_178
; %bb.177:
	v_lshlrev_b32_e32 v12, 2, v0
	v_lshlrev_b32_e32 v11, 2, v11
	v_readfirstlane_b32 s6, v5
	v_readfirstlane_b32 s7, v6
	ds_load_b32 v12, v12 offset:5120
	s_waitcnt lgkmcnt(0)
	global_store_b32 v11, v12, s[6:7]
.LBB765_178:
	s_or_b32 exec_lo, exec_lo, s4
                                        ; implicit-def: $vgpr11
.LBB765_179:
	s_and_not1_saveexec_b32 s2, s2
	s_cbranch_execz .LBB765_181
; %bb.180:
	v_lshlrev_b32_e32 v12, 2, v0
	v_lshlrev_b32_e32 v11, 2, v11
	v_readfirstlane_b32 s4, v7
	v_readfirstlane_b32 s5, v8
	ds_load_b32 v12, v12 offset:5120
	s_waitcnt lgkmcnt(0)
	global_store_b32 v11, v12, s[4:5]
.LBB765_181:
	s_or_b32 exec_lo, exec_lo, s2
	v_or_b32_e32 v11, 0x600, v0
	s_mov_b32 s2, exec_lo
	s_delay_alu instid0(VALU_DEP_1)
	v_cmpx_le_u32_e64 v1, v11
	s_xor_b32 s2, exec_lo, s2
	s_cbranch_execz .LBB765_187
; %bb.182:
	s_mov_b32 s4, exec_lo
	v_cmpx_le_u32_e64 v10, v11
	s_xor_b32 s4, exec_lo, s4
	s_cbranch_execz .LBB765_184
; %bb.183:
	v_lshlrev_b32_e32 v12, 2, v0
	v_add_co_u32 v11, vcc_lo, v3, v11
	ds_load_b32 v13, v12 offset:6144
	v_add_co_ci_u32_e32 v12, vcc_lo, 0, v9, vcc_lo
	s_delay_alu instid0(VALU_DEP_1) | instskip(NEXT) | instid1(VALU_DEP_1)
	v_lshlrev_b64 v[11:12], 2, v[11:12]
	v_sub_co_u32 v11, vcc_lo, s1, v11
	s_delay_alu instid0(VALU_DEP_2)
	v_sub_co_ci_u32_e32 v12, vcc_lo, s0, v12, vcc_lo
	s_waitcnt lgkmcnt(0)
	global_store_b32 v[11:12], v13, off
                                        ; implicit-def: $vgpr11
.LBB765_184:
	s_and_not1_saveexec_b32 s4, s4
	s_cbranch_execz .LBB765_186
; %bb.185:
	v_lshlrev_b32_e32 v12, 2, v0
	v_lshlrev_b32_e32 v11, 2, v11
	v_readfirstlane_b32 s6, v5
	v_readfirstlane_b32 s7, v6
	ds_load_b32 v12, v12 offset:6144
	s_waitcnt lgkmcnt(0)
	global_store_b32 v11, v12, s[6:7]
.LBB765_186:
	s_or_b32 exec_lo, exec_lo, s4
                                        ; implicit-def: $vgpr11
.LBB765_187:
	;; [unrolled: 51-line block ×8, first 2 shown]
	s_and_not1_saveexec_b32 s2, s2
	s_cbranch_execz .LBB765_237
; %bb.236:
	v_lshlrev_b32_e32 v12, 2, v0
	v_lshlrev_b32_e32 v11, 2, v11
	v_readfirstlane_b32 s4, v7
	v_readfirstlane_b32 s5, v8
	ds_load_b32 v12, v12 offset:12288
	s_waitcnt lgkmcnt(0)
	global_store_b32 v11, v12, s[4:5]
.LBB765_237:
	s_or_b32 exec_lo, exec_lo, s2
	s_branch .LBB765_131
.LBB765_238:
	s_mov_b32 s2, exec_lo
	v_cmpx_gt_u32_e64 s3, v0
	s_cbranch_execz .LBB765_247
; %bb.239:
	s_mov_b32 s4, exec_lo
	v_cmpx_le_u32_e64 v1, v0
	s_xor_b32 s4, exec_lo, s4
	s_cbranch_execz .LBB765_245
; %bb.240:
	s_mov_b32 s5, exec_lo
	v_cmpx_le_u32_e64 v10, v0
	s_xor_b32 s5, exec_lo, s5
	s_cbranch_execz .LBB765_242
; %bb.241:
	v_lshlrev_b32_e32 v11, 2, v0
	ds_load_b32 v13, v11
	v_add_co_u32 v11, vcc_lo, v3, v0
	v_add_co_ci_u32_e32 v12, vcc_lo, 0, v9, vcc_lo
	s_delay_alu instid0(VALU_DEP_1) | instskip(NEXT) | instid1(VALU_DEP_1)
	v_lshlrev_b64 v[11:12], 2, v[11:12]
	v_sub_co_u32 v11, vcc_lo, s26, v11
	s_delay_alu instid0(VALU_DEP_2)
	v_sub_co_ci_u32_e32 v12, vcc_lo, s27, v12, vcc_lo
	s_waitcnt lgkmcnt(0)
	global_store_b32 v[11:12], v13, off offset:-4
.LBB765_242:
	s_and_not1_saveexec_b32 s5, s5
	s_cbranch_execz .LBB765_244
; %bb.243:
	v_lshlrev_b32_e32 v11, 2, v0
	v_readfirstlane_b32 s6, v5
	v_readfirstlane_b32 s7, v6
	ds_load_b32 v12, v11
	s_waitcnt lgkmcnt(0)
	global_store_b32 v11, v12, s[6:7]
.LBB765_244:
	s_or_b32 exec_lo, exec_lo, s5
.LBB765_245:
	s_and_not1_saveexec_b32 s4, s4
	s_cbranch_execz .LBB765_247
; %bb.246:
	v_lshlrev_b32_e32 v11, 2, v0
	v_readfirstlane_b32 s4, v7
	v_readfirstlane_b32 s5, v8
	ds_load_b32 v12, v11
	s_waitcnt lgkmcnt(0)
	global_store_b32 v11, v12, s[4:5]
.LBB765_247:
	s_or_b32 exec_lo, exec_lo, s2
	v_or_b32_e32 v11, 0x100, v0
	s_mov_b32 s2, exec_lo
	s_delay_alu instid0(VALU_DEP_1)
	v_cmpx_gt_u32_e64 s3, v11
	s_cbranch_execz .LBB765_256
; %bb.248:
	s_mov_b32 s4, exec_lo
	v_cmpx_le_u32_e64 v1, v11
	s_xor_b32 s4, exec_lo, s4
	s_cbranch_execz .LBB765_254
; %bb.249:
	s_mov_b32 s5, exec_lo
	v_cmpx_le_u32_e64 v10, v11
	s_xor_b32 s5, exec_lo, s5
	s_cbranch_execz .LBB765_251
; %bb.250:
	v_lshlrev_b32_e32 v11, 2, v0
	ds_load_b32 v13, v11 offset:1024
	v_add_co_u32 v11, vcc_lo, v3, v0
	v_add_co_ci_u32_e32 v12, vcc_lo, 0, v9, vcc_lo
	s_delay_alu instid0(VALU_DEP_1) | instskip(NEXT) | instid1(VALU_DEP_1)
	v_lshlrev_b64 v[11:12], 2, v[11:12]
	v_sub_co_u32 v11, vcc_lo, s1, v11
	s_delay_alu instid0(VALU_DEP_2)
	v_sub_co_ci_u32_e32 v12, vcc_lo, s0, v12, vcc_lo
	s_waitcnt lgkmcnt(0)
	global_store_b32 v[11:12], v13, off offset:-1024
.LBB765_251:
	s_and_not1_saveexec_b32 s5, s5
	s_cbranch_execz .LBB765_253
; %bb.252:
	v_lshlrev_b32_e32 v11, 2, v0
	v_readfirstlane_b32 s6, v5
	v_readfirstlane_b32 s7, v6
	ds_load_b32 v12, v11 offset:1024
	s_waitcnt lgkmcnt(0)
	global_store_b32 v11, v12, s[6:7] offset:1024
.LBB765_253:
	s_or_b32 exec_lo, exec_lo, s5
.LBB765_254:
	s_and_not1_saveexec_b32 s4, s4
	s_cbranch_execz .LBB765_256
; %bb.255:
	v_lshlrev_b32_e32 v11, 2, v0
	v_readfirstlane_b32 s4, v7
	v_readfirstlane_b32 s5, v8
	ds_load_b32 v12, v11 offset:1024
	s_waitcnt lgkmcnt(0)
	global_store_b32 v11, v12, s[4:5] offset:1024
.LBB765_256:
	s_or_b32 exec_lo, exec_lo, s2
	v_or_b32_e32 v11, 0x200, v0
	s_mov_b32 s2, exec_lo
	s_delay_alu instid0(VALU_DEP_1)
	v_cmpx_gt_u32_e64 s3, v11
	s_cbranch_execz .LBB765_265
; %bb.257:
	s_mov_b32 s4, exec_lo
	v_cmpx_le_u32_e64 v1, v11
	s_xor_b32 s4, exec_lo, s4
	s_cbranch_execz .LBB765_263
; %bb.258:
	s_mov_b32 s5, exec_lo
	v_cmpx_le_u32_e64 v10, v11
	s_xor_b32 s5, exec_lo, s5
	s_cbranch_execz .LBB765_260
; %bb.259:
	v_lshlrev_b32_e32 v11, 2, v0
	ds_load_b32 v13, v11 offset:2048
	v_add_co_u32 v11, vcc_lo, v3, v0
	v_add_co_ci_u32_e32 v12, vcc_lo, 0, v9, vcc_lo
	s_delay_alu instid0(VALU_DEP_1) | instskip(NEXT) | instid1(VALU_DEP_1)
	v_lshlrev_b64 v[11:12], 2, v[11:12]
	v_sub_co_u32 v11, vcc_lo, s1, v11
	s_delay_alu instid0(VALU_DEP_2)
	v_sub_co_ci_u32_e32 v12, vcc_lo, s0, v12, vcc_lo
	s_waitcnt lgkmcnt(0)
	global_store_b32 v[11:12], v13, off offset:-2048
.LBB765_260:
	s_and_not1_saveexec_b32 s5, s5
	s_cbranch_execz .LBB765_262
; %bb.261:
	v_lshlrev_b32_e32 v11, 2, v0
	v_readfirstlane_b32 s6, v5
	v_readfirstlane_b32 s7, v6
	ds_load_b32 v12, v11 offset:2048
	s_waitcnt lgkmcnt(0)
	global_store_b32 v11, v12, s[6:7] offset:2048
.LBB765_262:
	s_or_b32 exec_lo, exec_lo, s5
.LBB765_263:
	s_and_not1_saveexec_b32 s4, s4
	s_cbranch_execz .LBB765_265
; %bb.264:
	v_lshlrev_b32_e32 v11, 2, v0
	v_readfirstlane_b32 s4, v7
	v_readfirstlane_b32 s5, v8
	ds_load_b32 v12, v11 offset:2048
	s_waitcnt lgkmcnt(0)
	global_store_b32 v11, v12, s[4:5] offset:2048
.LBB765_265:
	;; [unrolled: 51-line block ×3, first 2 shown]
	s_or_b32 exec_lo, exec_lo, s2
	v_or_b32_e32 v11, 0x400, v0
	s_mov_b32 s2, exec_lo
	s_delay_alu instid0(VALU_DEP_1)
	v_cmpx_gt_u32_e64 s3, v11
	s_cbranch_execz .LBB765_283
; %bb.275:
	s_mov_b32 s4, exec_lo
	v_cmpx_le_u32_e64 v1, v11
	s_xor_b32 s4, exec_lo, s4
	s_cbranch_execz .LBB765_281
; %bb.276:
	s_mov_b32 s5, exec_lo
	v_cmpx_le_u32_e64 v10, v11
	s_xor_b32 s5, exec_lo, s5
	s_cbranch_execz .LBB765_278
; %bb.277:
	v_lshlrev_b32_e32 v11, 2, v0
	ds_load_b32 v13, v11 offset:4096
	v_add_co_u32 v11, vcc_lo, v3, v0
	v_add_co_ci_u32_e32 v12, vcc_lo, 0, v9, vcc_lo
	s_delay_alu instid0(VALU_DEP_1) | instskip(NEXT) | instid1(VALU_DEP_1)
	v_lshlrev_b64 v[11:12], 2, v[11:12]
	v_sub_co_u32 v11, vcc_lo, s1, v11
	s_delay_alu instid0(VALU_DEP_2)
	v_sub_co_ci_u32_e32 v12, vcc_lo, s0, v12, vcc_lo
	s_waitcnt lgkmcnt(0)
	global_store_b32 v[11:12], v13, off offset:-4096
                                        ; implicit-def: $vgpr11
.LBB765_278:
	s_and_not1_saveexec_b32 s5, s5
	s_cbranch_execz .LBB765_280
; %bb.279:
	v_lshlrev_b32_e32 v12, 2, v0
	v_lshlrev_b32_e32 v11, 2, v11
	v_readfirstlane_b32 s6, v5
	v_readfirstlane_b32 s7, v6
	ds_load_b32 v12, v12 offset:4096
	s_waitcnt lgkmcnt(0)
	global_store_b32 v11, v12, s[6:7]
.LBB765_280:
	s_or_b32 exec_lo, exec_lo, s5
                                        ; implicit-def: $vgpr11
.LBB765_281:
	s_and_not1_saveexec_b32 s4, s4
	s_cbranch_execz .LBB765_283
; %bb.282:
	v_lshlrev_b32_e32 v12, 2, v0
	v_lshlrev_b32_e32 v11, 2, v11
	v_readfirstlane_b32 s4, v7
	v_readfirstlane_b32 s5, v8
	ds_load_b32 v12, v12 offset:4096
	s_waitcnt lgkmcnt(0)
	global_store_b32 v11, v12, s[4:5]
.LBB765_283:
	s_or_b32 exec_lo, exec_lo, s2
	v_or_b32_e32 v11, 0x500, v0
	s_mov_b32 s2, exec_lo
	s_delay_alu instid0(VALU_DEP_1)
	v_cmpx_gt_u32_e64 s3, v11
	s_cbranch_execz .LBB765_292
; %bb.284:
	s_mov_b32 s4, exec_lo
	v_cmpx_le_u32_e64 v1, v11
	s_xor_b32 s4, exec_lo, s4
	s_cbranch_execz .LBB765_290
; %bb.285:
	s_mov_b32 s5, exec_lo
	v_cmpx_le_u32_e64 v10, v11
	s_xor_b32 s5, exec_lo, s5
	s_cbranch_execz .LBB765_287
; %bb.286:
	v_lshlrev_b32_e32 v12, 2, v0
	v_add_co_u32 v11, vcc_lo, v3, v11
	ds_load_b32 v13, v12 offset:5120
	v_add_co_ci_u32_e32 v12, vcc_lo, 0, v9, vcc_lo
	s_delay_alu instid0(VALU_DEP_1) | instskip(NEXT) | instid1(VALU_DEP_1)
	v_lshlrev_b64 v[11:12], 2, v[11:12]
	v_sub_co_u32 v11, vcc_lo, s1, v11
	s_delay_alu instid0(VALU_DEP_2)
	v_sub_co_ci_u32_e32 v12, vcc_lo, s0, v12, vcc_lo
	s_waitcnt lgkmcnt(0)
	global_store_b32 v[11:12], v13, off
                                        ; implicit-def: $vgpr11
.LBB765_287:
	s_and_not1_saveexec_b32 s5, s5
	s_cbranch_execz .LBB765_289
; %bb.288:
	v_lshlrev_b32_e32 v12, 2, v0
	v_lshlrev_b32_e32 v11, 2, v11
	v_readfirstlane_b32 s6, v5
	v_readfirstlane_b32 s7, v6
	ds_load_b32 v12, v12 offset:5120
	s_waitcnt lgkmcnt(0)
	global_store_b32 v11, v12, s[6:7]
.LBB765_289:
	s_or_b32 exec_lo, exec_lo, s5
                                        ; implicit-def: $vgpr11
.LBB765_290:
	s_and_not1_saveexec_b32 s4, s4
	s_cbranch_execz .LBB765_292
; %bb.291:
	v_lshlrev_b32_e32 v12, 2, v0
	v_lshlrev_b32_e32 v11, 2, v11
	v_readfirstlane_b32 s4, v7
	v_readfirstlane_b32 s5, v8
	ds_load_b32 v12, v12 offset:5120
	s_waitcnt lgkmcnt(0)
	global_store_b32 v11, v12, s[4:5]
.LBB765_292:
	s_or_b32 exec_lo, exec_lo, s2
	v_or_b32_e32 v11, 0x600, v0
	s_mov_b32 s2, exec_lo
	s_delay_alu instid0(VALU_DEP_1)
	v_cmpx_gt_u32_e64 s3, v11
	s_cbranch_execz .LBB765_301
; %bb.293:
	s_mov_b32 s4, exec_lo
	v_cmpx_le_u32_e64 v1, v11
	s_xor_b32 s4, exec_lo, s4
	s_cbranch_execz .LBB765_299
; %bb.294:
	s_mov_b32 s5, exec_lo
	v_cmpx_le_u32_e64 v10, v11
	s_xor_b32 s5, exec_lo, s5
	s_cbranch_execz .LBB765_296
; %bb.295:
	v_lshlrev_b32_e32 v12, 2, v0
	v_add_co_u32 v11, vcc_lo, v3, v11
	ds_load_b32 v13, v12 offset:6144
	v_add_co_ci_u32_e32 v12, vcc_lo, 0, v9, vcc_lo
	s_delay_alu instid0(VALU_DEP_1) | instskip(NEXT) | instid1(VALU_DEP_1)
	v_lshlrev_b64 v[11:12], 2, v[11:12]
	v_sub_co_u32 v11, vcc_lo, s1, v11
	s_delay_alu instid0(VALU_DEP_2)
	v_sub_co_ci_u32_e32 v12, vcc_lo, s0, v12, vcc_lo
	s_waitcnt lgkmcnt(0)
	global_store_b32 v[11:12], v13, off
                                        ; implicit-def: $vgpr11
.LBB765_296:
	s_and_not1_saveexec_b32 s5, s5
	s_cbranch_execz .LBB765_298
; %bb.297:
	v_lshlrev_b32_e32 v12, 2, v0
	v_lshlrev_b32_e32 v11, 2, v11
	v_readfirstlane_b32 s6, v5
	v_readfirstlane_b32 s7, v6
	ds_load_b32 v12, v12 offset:6144
	s_waitcnt lgkmcnt(0)
	global_store_b32 v11, v12, s[6:7]
.LBB765_298:
	s_or_b32 exec_lo, exec_lo, s5
                                        ; implicit-def: $vgpr11
.LBB765_299:
	s_and_not1_saveexec_b32 s4, s4
	s_cbranch_execz .LBB765_301
; %bb.300:
	v_lshlrev_b32_e32 v12, 2, v0
	v_lshlrev_b32_e32 v11, 2, v11
	v_readfirstlane_b32 s4, v7
	v_readfirstlane_b32 s5, v8
	ds_load_b32 v12, v12 offset:6144
	s_waitcnt lgkmcnt(0)
	global_store_b32 v11, v12, s[4:5]
.LBB765_301:
	;; [unrolled: 55-line block ×7, first 2 shown]
	s_or_b32 exec_lo, exec_lo, s2
	v_or_b32_e32 v11, 0xc00, v0
	s_mov_b32 s2, exec_lo
	s_delay_alu instid0(VALU_DEP_1)
	v_cmpx_gt_u32_e64 s3, v11
	s_cbranch_execz .LBB765_355
; %bb.347:
	s_mov_b32 s3, exec_lo
	v_cmpx_le_u32_e64 v1, v11
	s_xor_b32 s3, exec_lo, s3
	s_cbranch_execz .LBB765_353
; %bb.348:
	s_mov_b32 s4, exec_lo
	v_cmpx_le_u32_e64 v10, v11
	s_xor_b32 s4, exec_lo, s4
	s_cbranch_execz .LBB765_350
; %bb.349:
	v_lshlrev_b32_e32 v5, 2, v0
	ds_load_b32 v7, v5 offset:12288
	v_add_co_u32 v5, vcc_lo, v3, v11
	v_add_co_ci_u32_e32 v6, vcc_lo, 0, v9, vcc_lo
                                        ; implicit-def: $vgpr11
	s_delay_alu instid0(VALU_DEP_1) | instskip(NEXT) | instid1(VALU_DEP_1)
	v_lshlrev_b64 v[5:6], 2, v[5:6]
	v_sub_co_u32 v5, vcc_lo, s1, v5
	s_delay_alu instid0(VALU_DEP_2)
	v_sub_co_ci_u32_e32 v6, vcc_lo, s0, v6, vcc_lo
	s_waitcnt lgkmcnt(0)
	global_store_b32 v[5:6], v7, off
                                        ; implicit-def: $vgpr5_vgpr6
.LBB765_350:
	s_and_not1_saveexec_b32 s0, s4
	s_cbranch_execz .LBB765_352
; %bb.351:
	v_lshlrev_b32_e32 v3, 2, v0
	v_lshlrev_b32_e32 v7, 2, v11
	v_readfirstlane_b32 s4, v5
	v_readfirstlane_b32 s5, v6
	ds_load_b32 v3, v3 offset:12288
	s_waitcnt lgkmcnt(0)
	global_store_b32 v7, v3, s[4:5]
.LBB765_352:
	s_or_b32 exec_lo, exec_lo, s0
                                        ; implicit-def: $vgpr11
                                        ; implicit-def: $vgpr7_vgpr8
.LBB765_353:
	s_and_not1_saveexec_b32 s0, s3
	s_cbranch_execz .LBB765_355
; %bb.354:
	v_lshlrev_b32_e32 v3, 2, v0
	v_lshlrev_b32_e32 v5, 2, v11
	v_readfirstlane_b32 s0, v7
	v_readfirstlane_b32 s1, v8
	ds_load_b32 v3, v3 offset:12288
	s_waitcnt lgkmcnt(0)
	global_store_b32 v5, v3, s[0:1]
.LBB765_355:
	s_or_b32 exec_lo, exec_lo, s2
	v_cmp_eq_u32_e32 vcc_lo, 0, v0
	s_and_b32 s0, vcc_lo, s14
	s_delay_alu instid0(SALU_CYCLE_1)
	s_and_saveexec_b32 s1, s0
	s_cbranch_execz .LBB765_132
.LBB765_356:
	v_add_co_u32 v2, s0, s30, v2
	s_delay_alu instid0(VALU_DEP_1) | instskip(SKIP_2) | instid1(VALU_DEP_4)
	v_add_co_ci_u32_e64 v3, null, s31, 0, s0
	v_add_co_u32 v0, vcc_lo, v18, v1
	v_add_co_ci_u32_e32 v1, vcc_lo, 0, v19, vcc_lo
	v_add_co_u32 v2, vcc_lo, v2, v4
	v_mov_b32_e32 v5, 0
	v_add_co_ci_u32_e32 v3, vcc_lo, 0, v3, vcc_lo
	global_store_b128 v5, v[0:3], s[24:25]
	s_nop 0
	s_sendmsg sendmsg(MSG_DEALLOC_VGPRS)
	s_endpgm
.LBB765_357:
	v_add_nc_u32_e32 v3, s7, v23
	s_add_i32 s10, s15, 32
	s_mov_b32 s11, 0
	v_dual_mov_b32 v5, 0 :: v_dual_add_nc_u32 v2, v22, v1
	s_lshl_b64 s[10:11], s[10:11], 4
	v_and_b32_e32 v20, 0xff0000, v3
	s_add_u32 s10, s4, s10
	s_addc_u32 s11, s5, s11
	v_and_b32_e32 v4, 0xff000000, v3
	s_delay_alu instid0(VALU_DEP_1) | instskip(SKIP_2) | instid1(VALU_DEP_1)
	v_or_b32_e32 v20, v20, v4
	v_dual_mov_b32 v4, 2 :: v_dual_and_b32 v21, 0xff00, v3
	v_and_b32_e32 v3, 0xff, v3
	v_or3_b32 v3, v20, v21, v3
	v_dual_mov_b32 v21, s11 :: v_dual_mov_b32 v20, s10
	;;#ASMSTART
	global_store_dwordx4 v[20:21], v[2:5] off	
s_waitcnt vmcnt(0)
	;;#ASMEND
	s_or_b32 exec_lo, exec_lo, s8
	s_and_saveexec_b32 s8, s2
	s_cbranch_execz .LBB765_116
.LBB765_358:
	v_mov_b32_e32 v2, s7
	v_add_nc_u32_e64 v3, 0x3400, 0
	ds_store_2addr_b32 v3, v1, v2 offset1:2
	ds_store_2addr_b32 v3, v22, v23 offset0:4 offset1:6
	s_or_b32 exec_lo, exec_lo, s8
	v_cmp_eq_u32_e32 vcc_lo, 0, v0
	s_and_b32 exec_lo, exec_lo, vcc_lo
	s_cbranch_execnz .LBB765_117
	s_branch .LBB765_118
	.section	.rodata,"a",@progbits
	.p2align	6, 0x0
	.amdhsa_kernel _ZN7rocprim17ROCPRIM_400000_NS6detail17trampoline_kernelINS0_13select_configILj256ELj13ELNS0_17block_load_methodE3ELS4_3ELS4_3ELNS0_20block_scan_algorithmE0ELj4294967295EEENS1_25partition_config_selectorILNS1_17partition_subalgoE4EjNS0_10empty_typeEbEEZZNS1_14partition_implILS8_4ELb0ES6_15HIP_vector_typeIjLj2EENS0_17counting_iteratorIjlEEPS9_SG_NS0_5tupleIJPjSI_NS0_16reverse_iteratorISI_EEEEENSH_IJSG_SG_SG_EEES9_SI_JZNS1_25segmented_radix_sort_implINS0_14default_configELb0EPKlPlSQ_SR_N2at6native12_GLOBAL__N_18offset_tEEE10hipError_tPvRmT1_PNSt15iterator_traitsISZ_E10value_typeET2_T3_PNS10_IS15_E10value_typeET4_jRbjT5_S1B_jjP12ihipStream_tbEUljE_ZNSN_ISO_Lb0ESQ_SR_SQ_SR_SV_EESW_SX_SY_SZ_S13_S14_S15_S18_S19_jS1A_jS1B_S1B_jjS1D_bEUljE0_EEESW_SX_SY_S15_S19_S1B_T6_T7_T9_mT8_S1D_bDpT10_ENKUlT_T0_E_clISt17integral_constantIbLb1EES1Q_IbLb0EEEEDaS1M_S1N_EUlS1M_E_NS1_11comp_targetILNS1_3genE9ELNS1_11target_archE1100ELNS1_3gpuE3ELNS1_3repE0EEENS1_30default_config_static_selectorELNS0_4arch9wavefront6targetE0EEEvSZ_
		.amdhsa_group_segment_fixed_size 13340
		.amdhsa_private_segment_fixed_size 0
		.amdhsa_kernarg_size 176
		.amdhsa_user_sgpr_count 15
		.amdhsa_user_sgpr_dispatch_ptr 0
		.amdhsa_user_sgpr_queue_ptr 0
		.amdhsa_user_sgpr_kernarg_segment_ptr 1
		.amdhsa_user_sgpr_dispatch_id 0
		.amdhsa_user_sgpr_private_segment_size 0
		.amdhsa_wavefront_size32 1
		.amdhsa_uses_dynamic_stack 0
		.amdhsa_enable_private_segment 0
		.amdhsa_system_sgpr_workgroup_id_x 1
		.amdhsa_system_sgpr_workgroup_id_y 0
		.amdhsa_system_sgpr_workgroup_id_z 0
		.amdhsa_system_sgpr_workgroup_info 0
		.amdhsa_system_vgpr_workitem_id 0
		.amdhsa_next_free_vgpr 98
		.amdhsa_next_free_sgpr 59
		.amdhsa_reserve_vcc 1
		.amdhsa_float_round_mode_32 0
		.amdhsa_float_round_mode_16_64 0
		.amdhsa_float_denorm_mode_32 3
		.amdhsa_float_denorm_mode_16_64 3
		.amdhsa_dx10_clamp 1
		.amdhsa_ieee_mode 1
		.amdhsa_fp16_overflow 0
		.amdhsa_workgroup_processor_mode 1
		.amdhsa_memory_ordered 1
		.amdhsa_forward_progress 0
		.amdhsa_shared_vgpr_count 0
		.amdhsa_exception_fp_ieee_invalid_op 0
		.amdhsa_exception_fp_denorm_src 0
		.amdhsa_exception_fp_ieee_div_zero 0
		.amdhsa_exception_fp_ieee_overflow 0
		.amdhsa_exception_fp_ieee_underflow 0
		.amdhsa_exception_fp_ieee_inexact 0
		.amdhsa_exception_int_div_zero 0
	.end_amdhsa_kernel
	.section	.text._ZN7rocprim17ROCPRIM_400000_NS6detail17trampoline_kernelINS0_13select_configILj256ELj13ELNS0_17block_load_methodE3ELS4_3ELS4_3ELNS0_20block_scan_algorithmE0ELj4294967295EEENS1_25partition_config_selectorILNS1_17partition_subalgoE4EjNS0_10empty_typeEbEEZZNS1_14partition_implILS8_4ELb0ES6_15HIP_vector_typeIjLj2EENS0_17counting_iteratorIjlEEPS9_SG_NS0_5tupleIJPjSI_NS0_16reverse_iteratorISI_EEEEENSH_IJSG_SG_SG_EEES9_SI_JZNS1_25segmented_radix_sort_implINS0_14default_configELb0EPKlPlSQ_SR_N2at6native12_GLOBAL__N_18offset_tEEE10hipError_tPvRmT1_PNSt15iterator_traitsISZ_E10value_typeET2_T3_PNS10_IS15_E10value_typeET4_jRbjT5_S1B_jjP12ihipStream_tbEUljE_ZNSN_ISO_Lb0ESQ_SR_SQ_SR_SV_EESW_SX_SY_SZ_S13_S14_S15_S18_S19_jS1A_jS1B_S1B_jjS1D_bEUljE0_EEESW_SX_SY_S15_S19_S1B_T6_T7_T9_mT8_S1D_bDpT10_ENKUlT_T0_E_clISt17integral_constantIbLb1EES1Q_IbLb0EEEEDaS1M_S1N_EUlS1M_E_NS1_11comp_targetILNS1_3genE9ELNS1_11target_archE1100ELNS1_3gpuE3ELNS1_3repE0EEENS1_30default_config_static_selectorELNS0_4arch9wavefront6targetE0EEEvSZ_,"axG",@progbits,_ZN7rocprim17ROCPRIM_400000_NS6detail17trampoline_kernelINS0_13select_configILj256ELj13ELNS0_17block_load_methodE3ELS4_3ELS4_3ELNS0_20block_scan_algorithmE0ELj4294967295EEENS1_25partition_config_selectorILNS1_17partition_subalgoE4EjNS0_10empty_typeEbEEZZNS1_14partition_implILS8_4ELb0ES6_15HIP_vector_typeIjLj2EENS0_17counting_iteratorIjlEEPS9_SG_NS0_5tupleIJPjSI_NS0_16reverse_iteratorISI_EEEEENSH_IJSG_SG_SG_EEES9_SI_JZNS1_25segmented_radix_sort_implINS0_14default_configELb0EPKlPlSQ_SR_N2at6native12_GLOBAL__N_18offset_tEEE10hipError_tPvRmT1_PNSt15iterator_traitsISZ_E10value_typeET2_T3_PNS10_IS15_E10value_typeET4_jRbjT5_S1B_jjP12ihipStream_tbEUljE_ZNSN_ISO_Lb0ESQ_SR_SQ_SR_SV_EESW_SX_SY_SZ_S13_S14_S15_S18_S19_jS1A_jS1B_S1B_jjS1D_bEUljE0_EEESW_SX_SY_S15_S19_S1B_T6_T7_T9_mT8_S1D_bDpT10_ENKUlT_T0_E_clISt17integral_constantIbLb1EES1Q_IbLb0EEEEDaS1M_S1N_EUlS1M_E_NS1_11comp_targetILNS1_3genE9ELNS1_11target_archE1100ELNS1_3gpuE3ELNS1_3repE0EEENS1_30default_config_static_selectorELNS0_4arch9wavefront6targetE0EEEvSZ_,comdat
.Lfunc_end765:
	.size	_ZN7rocprim17ROCPRIM_400000_NS6detail17trampoline_kernelINS0_13select_configILj256ELj13ELNS0_17block_load_methodE3ELS4_3ELS4_3ELNS0_20block_scan_algorithmE0ELj4294967295EEENS1_25partition_config_selectorILNS1_17partition_subalgoE4EjNS0_10empty_typeEbEEZZNS1_14partition_implILS8_4ELb0ES6_15HIP_vector_typeIjLj2EENS0_17counting_iteratorIjlEEPS9_SG_NS0_5tupleIJPjSI_NS0_16reverse_iteratorISI_EEEEENSH_IJSG_SG_SG_EEES9_SI_JZNS1_25segmented_radix_sort_implINS0_14default_configELb0EPKlPlSQ_SR_N2at6native12_GLOBAL__N_18offset_tEEE10hipError_tPvRmT1_PNSt15iterator_traitsISZ_E10value_typeET2_T3_PNS10_IS15_E10value_typeET4_jRbjT5_S1B_jjP12ihipStream_tbEUljE_ZNSN_ISO_Lb0ESQ_SR_SQ_SR_SV_EESW_SX_SY_SZ_S13_S14_S15_S18_S19_jS1A_jS1B_S1B_jjS1D_bEUljE0_EEESW_SX_SY_S15_S19_S1B_T6_T7_T9_mT8_S1D_bDpT10_ENKUlT_T0_E_clISt17integral_constantIbLb1EES1Q_IbLb0EEEEDaS1M_S1N_EUlS1M_E_NS1_11comp_targetILNS1_3genE9ELNS1_11target_archE1100ELNS1_3gpuE3ELNS1_3repE0EEENS1_30default_config_static_selectorELNS0_4arch9wavefront6targetE0EEEvSZ_, .Lfunc_end765-_ZN7rocprim17ROCPRIM_400000_NS6detail17trampoline_kernelINS0_13select_configILj256ELj13ELNS0_17block_load_methodE3ELS4_3ELS4_3ELNS0_20block_scan_algorithmE0ELj4294967295EEENS1_25partition_config_selectorILNS1_17partition_subalgoE4EjNS0_10empty_typeEbEEZZNS1_14partition_implILS8_4ELb0ES6_15HIP_vector_typeIjLj2EENS0_17counting_iteratorIjlEEPS9_SG_NS0_5tupleIJPjSI_NS0_16reverse_iteratorISI_EEEEENSH_IJSG_SG_SG_EEES9_SI_JZNS1_25segmented_radix_sort_implINS0_14default_configELb0EPKlPlSQ_SR_N2at6native12_GLOBAL__N_18offset_tEEE10hipError_tPvRmT1_PNSt15iterator_traitsISZ_E10value_typeET2_T3_PNS10_IS15_E10value_typeET4_jRbjT5_S1B_jjP12ihipStream_tbEUljE_ZNSN_ISO_Lb0ESQ_SR_SQ_SR_SV_EESW_SX_SY_SZ_S13_S14_S15_S18_S19_jS1A_jS1B_S1B_jjS1D_bEUljE0_EEESW_SX_SY_S15_S19_S1B_T6_T7_T9_mT8_S1D_bDpT10_ENKUlT_T0_E_clISt17integral_constantIbLb1EES1Q_IbLb0EEEEDaS1M_S1N_EUlS1M_E_NS1_11comp_targetILNS1_3genE9ELNS1_11target_archE1100ELNS1_3gpuE3ELNS1_3repE0EEENS1_30default_config_static_selectorELNS0_4arch9wavefront6targetE0EEEvSZ_
                                        ; -- End function
	.section	.AMDGPU.csdata,"",@progbits
; Kernel info:
; codeLenInByte = 15084
; NumSgprs: 61
; NumVgprs: 98
; ScratchSize: 0
; MemoryBound: 0
; FloatMode: 240
; IeeeMode: 1
; LDSByteSize: 13340 bytes/workgroup (compile time only)
; SGPRBlocks: 7
; VGPRBlocks: 12
; NumSGPRsForWavesPerEU: 61
; NumVGPRsForWavesPerEU: 98
; Occupancy: 12
; WaveLimiterHint : 1
; COMPUTE_PGM_RSRC2:SCRATCH_EN: 0
; COMPUTE_PGM_RSRC2:USER_SGPR: 15
; COMPUTE_PGM_RSRC2:TRAP_HANDLER: 0
; COMPUTE_PGM_RSRC2:TGID_X_EN: 1
; COMPUTE_PGM_RSRC2:TGID_Y_EN: 0
; COMPUTE_PGM_RSRC2:TGID_Z_EN: 0
; COMPUTE_PGM_RSRC2:TIDIG_COMP_CNT: 0
	.section	.text._ZN7rocprim17ROCPRIM_400000_NS6detail17trampoline_kernelINS0_13select_configILj256ELj13ELNS0_17block_load_methodE3ELS4_3ELS4_3ELNS0_20block_scan_algorithmE0ELj4294967295EEENS1_25partition_config_selectorILNS1_17partition_subalgoE4EjNS0_10empty_typeEbEEZZNS1_14partition_implILS8_4ELb0ES6_15HIP_vector_typeIjLj2EENS0_17counting_iteratorIjlEEPS9_SG_NS0_5tupleIJPjSI_NS0_16reverse_iteratorISI_EEEEENSH_IJSG_SG_SG_EEES9_SI_JZNS1_25segmented_radix_sort_implINS0_14default_configELb0EPKlPlSQ_SR_N2at6native12_GLOBAL__N_18offset_tEEE10hipError_tPvRmT1_PNSt15iterator_traitsISZ_E10value_typeET2_T3_PNS10_IS15_E10value_typeET4_jRbjT5_S1B_jjP12ihipStream_tbEUljE_ZNSN_ISO_Lb0ESQ_SR_SQ_SR_SV_EESW_SX_SY_SZ_S13_S14_S15_S18_S19_jS1A_jS1B_S1B_jjS1D_bEUljE0_EEESW_SX_SY_S15_S19_S1B_T6_T7_T9_mT8_S1D_bDpT10_ENKUlT_T0_E_clISt17integral_constantIbLb1EES1Q_IbLb0EEEEDaS1M_S1N_EUlS1M_E_NS1_11comp_targetILNS1_3genE8ELNS1_11target_archE1030ELNS1_3gpuE2ELNS1_3repE0EEENS1_30default_config_static_selectorELNS0_4arch9wavefront6targetE0EEEvSZ_,"axG",@progbits,_ZN7rocprim17ROCPRIM_400000_NS6detail17trampoline_kernelINS0_13select_configILj256ELj13ELNS0_17block_load_methodE3ELS4_3ELS4_3ELNS0_20block_scan_algorithmE0ELj4294967295EEENS1_25partition_config_selectorILNS1_17partition_subalgoE4EjNS0_10empty_typeEbEEZZNS1_14partition_implILS8_4ELb0ES6_15HIP_vector_typeIjLj2EENS0_17counting_iteratorIjlEEPS9_SG_NS0_5tupleIJPjSI_NS0_16reverse_iteratorISI_EEEEENSH_IJSG_SG_SG_EEES9_SI_JZNS1_25segmented_radix_sort_implINS0_14default_configELb0EPKlPlSQ_SR_N2at6native12_GLOBAL__N_18offset_tEEE10hipError_tPvRmT1_PNSt15iterator_traitsISZ_E10value_typeET2_T3_PNS10_IS15_E10value_typeET4_jRbjT5_S1B_jjP12ihipStream_tbEUljE_ZNSN_ISO_Lb0ESQ_SR_SQ_SR_SV_EESW_SX_SY_SZ_S13_S14_S15_S18_S19_jS1A_jS1B_S1B_jjS1D_bEUljE0_EEESW_SX_SY_S15_S19_S1B_T6_T7_T9_mT8_S1D_bDpT10_ENKUlT_T0_E_clISt17integral_constantIbLb1EES1Q_IbLb0EEEEDaS1M_S1N_EUlS1M_E_NS1_11comp_targetILNS1_3genE8ELNS1_11target_archE1030ELNS1_3gpuE2ELNS1_3repE0EEENS1_30default_config_static_selectorELNS0_4arch9wavefront6targetE0EEEvSZ_,comdat
	.globl	_ZN7rocprim17ROCPRIM_400000_NS6detail17trampoline_kernelINS0_13select_configILj256ELj13ELNS0_17block_load_methodE3ELS4_3ELS4_3ELNS0_20block_scan_algorithmE0ELj4294967295EEENS1_25partition_config_selectorILNS1_17partition_subalgoE4EjNS0_10empty_typeEbEEZZNS1_14partition_implILS8_4ELb0ES6_15HIP_vector_typeIjLj2EENS0_17counting_iteratorIjlEEPS9_SG_NS0_5tupleIJPjSI_NS0_16reverse_iteratorISI_EEEEENSH_IJSG_SG_SG_EEES9_SI_JZNS1_25segmented_radix_sort_implINS0_14default_configELb0EPKlPlSQ_SR_N2at6native12_GLOBAL__N_18offset_tEEE10hipError_tPvRmT1_PNSt15iterator_traitsISZ_E10value_typeET2_T3_PNS10_IS15_E10value_typeET4_jRbjT5_S1B_jjP12ihipStream_tbEUljE_ZNSN_ISO_Lb0ESQ_SR_SQ_SR_SV_EESW_SX_SY_SZ_S13_S14_S15_S18_S19_jS1A_jS1B_S1B_jjS1D_bEUljE0_EEESW_SX_SY_S15_S19_S1B_T6_T7_T9_mT8_S1D_bDpT10_ENKUlT_T0_E_clISt17integral_constantIbLb1EES1Q_IbLb0EEEEDaS1M_S1N_EUlS1M_E_NS1_11comp_targetILNS1_3genE8ELNS1_11target_archE1030ELNS1_3gpuE2ELNS1_3repE0EEENS1_30default_config_static_selectorELNS0_4arch9wavefront6targetE0EEEvSZ_ ; -- Begin function _ZN7rocprim17ROCPRIM_400000_NS6detail17trampoline_kernelINS0_13select_configILj256ELj13ELNS0_17block_load_methodE3ELS4_3ELS4_3ELNS0_20block_scan_algorithmE0ELj4294967295EEENS1_25partition_config_selectorILNS1_17partition_subalgoE4EjNS0_10empty_typeEbEEZZNS1_14partition_implILS8_4ELb0ES6_15HIP_vector_typeIjLj2EENS0_17counting_iteratorIjlEEPS9_SG_NS0_5tupleIJPjSI_NS0_16reverse_iteratorISI_EEEEENSH_IJSG_SG_SG_EEES9_SI_JZNS1_25segmented_radix_sort_implINS0_14default_configELb0EPKlPlSQ_SR_N2at6native12_GLOBAL__N_18offset_tEEE10hipError_tPvRmT1_PNSt15iterator_traitsISZ_E10value_typeET2_T3_PNS10_IS15_E10value_typeET4_jRbjT5_S1B_jjP12ihipStream_tbEUljE_ZNSN_ISO_Lb0ESQ_SR_SQ_SR_SV_EESW_SX_SY_SZ_S13_S14_S15_S18_S19_jS1A_jS1B_S1B_jjS1D_bEUljE0_EEESW_SX_SY_S15_S19_S1B_T6_T7_T9_mT8_S1D_bDpT10_ENKUlT_T0_E_clISt17integral_constantIbLb1EES1Q_IbLb0EEEEDaS1M_S1N_EUlS1M_E_NS1_11comp_targetILNS1_3genE8ELNS1_11target_archE1030ELNS1_3gpuE2ELNS1_3repE0EEENS1_30default_config_static_selectorELNS0_4arch9wavefront6targetE0EEEvSZ_
	.p2align	8
	.type	_ZN7rocprim17ROCPRIM_400000_NS6detail17trampoline_kernelINS0_13select_configILj256ELj13ELNS0_17block_load_methodE3ELS4_3ELS4_3ELNS0_20block_scan_algorithmE0ELj4294967295EEENS1_25partition_config_selectorILNS1_17partition_subalgoE4EjNS0_10empty_typeEbEEZZNS1_14partition_implILS8_4ELb0ES6_15HIP_vector_typeIjLj2EENS0_17counting_iteratorIjlEEPS9_SG_NS0_5tupleIJPjSI_NS0_16reverse_iteratorISI_EEEEENSH_IJSG_SG_SG_EEES9_SI_JZNS1_25segmented_radix_sort_implINS0_14default_configELb0EPKlPlSQ_SR_N2at6native12_GLOBAL__N_18offset_tEEE10hipError_tPvRmT1_PNSt15iterator_traitsISZ_E10value_typeET2_T3_PNS10_IS15_E10value_typeET4_jRbjT5_S1B_jjP12ihipStream_tbEUljE_ZNSN_ISO_Lb0ESQ_SR_SQ_SR_SV_EESW_SX_SY_SZ_S13_S14_S15_S18_S19_jS1A_jS1B_S1B_jjS1D_bEUljE0_EEESW_SX_SY_S15_S19_S1B_T6_T7_T9_mT8_S1D_bDpT10_ENKUlT_T0_E_clISt17integral_constantIbLb1EES1Q_IbLb0EEEEDaS1M_S1N_EUlS1M_E_NS1_11comp_targetILNS1_3genE8ELNS1_11target_archE1030ELNS1_3gpuE2ELNS1_3repE0EEENS1_30default_config_static_selectorELNS0_4arch9wavefront6targetE0EEEvSZ_,@function
_ZN7rocprim17ROCPRIM_400000_NS6detail17trampoline_kernelINS0_13select_configILj256ELj13ELNS0_17block_load_methodE3ELS4_3ELS4_3ELNS0_20block_scan_algorithmE0ELj4294967295EEENS1_25partition_config_selectorILNS1_17partition_subalgoE4EjNS0_10empty_typeEbEEZZNS1_14partition_implILS8_4ELb0ES6_15HIP_vector_typeIjLj2EENS0_17counting_iteratorIjlEEPS9_SG_NS0_5tupleIJPjSI_NS0_16reverse_iteratorISI_EEEEENSH_IJSG_SG_SG_EEES9_SI_JZNS1_25segmented_radix_sort_implINS0_14default_configELb0EPKlPlSQ_SR_N2at6native12_GLOBAL__N_18offset_tEEE10hipError_tPvRmT1_PNSt15iterator_traitsISZ_E10value_typeET2_T3_PNS10_IS15_E10value_typeET4_jRbjT5_S1B_jjP12ihipStream_tbEUljE_ZNSN_ISO_Lb0ESQ_SR_SQ_SR_SV_EESW_SX_SY_SZ_S13_S14_S15_S18_S19_jS1A_jS1B_S1B_jjS1D_bEUljE0_EEESW_SX_SY_S15_S19_S1B_T6_T7_T9_mT8_S1D_bDpT10_ENKUlT_T0_E_clISt17integral_constantIbLb1EES1Q_IbLb0EEEEDaS1M_S1N_EUlS1M_E_NS1_11comp_targetILNS1_3genE8ELNS1_11target_archE1030ELNS1_3gpuE2ELNS1_3repE0EEENS1_30default_config_static_selectorELNS0_4arch9wavefront6targetE0EEEvSZ_: ; @_ZN7rocprim17ROCPRIM_400000_NS6detail17trampoline_kernelINS0_13select_configILj256ELj13ELNS0_17block_load_methodE3ELS4_3ELS4_3ELNS0_20block_scan_algorithmE0ELj4294967295EEENS1_25partition_config_selectorILNS1_17partition_subalgoE4EjNS0_10empty_typeEbEEZZNS1_14partition_implILS8_4ELb0ES6_15HIP_vector_typeIjLj2EENS0_17counting_iteratorIjlEEPS9_SG_NS0_5tupleIJPjSI_NS0_16reverse_iteratorISI_EEEEENSH_IJSG_SG_SG_EEES9_SI_JZNS1_25segmented_radix_sort_implINS0_14default_configELb0EPKlPlSQ_SR_N2at6native12_GLOBAL__N_18offset_tEEE10hipError_tPvRmT1_PNSt15iterator_traitsISZ_E10value_typeET2_T3_PNS10_IS15_E10value_typeET4_jRbjT5_S1B_jjP12ihipStream_tbEUljE_ZNSN_ISO_Lb0ESQ_SR_SQ_SR_SV_EESW_SX_SY_SZ_S13_S14_S15_S18_S19_jS1A_jS1B_S1B_jjS1D_bEUljE0_EEESW_SX_SY_S15_S19_S1B_T6_T7_T9_mT8_S1D_bDpT10_ENKUlT_T0_E_clISt17integral_constantIbLb1EES1Q_IbLb0EEEEDaS1M_S1N_EUlS1M_E_NS1_11comp_targetILNS1_3genE8ELNS1_11target_archE1030ELNS1_3gpuE2ELNS1_3repE0EEENS1_30default_config_static_selectorELNS0_4arch9wavefront6targetE0EEEvSZ_
; %bb.0:
	.section	.rodata,"a",@progbits
	.p2align	6, 0x0
	.amdhsa_kernel _ZN7rocprim17ROCPRIM_400000_NS6detail17trampoline_kernelINS0_13select_configILj256ELj13ELNS0_17block_load_methodE3ELS4_3ELS4_3ELNS0_20block_scan_algorithmE0ELj4294967295EEENS1_25partition_config_selectorILNS1_17partition_subalgoE4EjNS0_10empty_typeEbEEZZNS1_14partition_implILS8_4ELb0ES6_15HIP_vector_typeIjLj2EENS0_17counting_iteratorIjlEEPS9_SG_NS0_5tupleIJPjSI_NS0_16reverse_iteratorISI_EEEEENSH_IJSG_SG_SG_EEES9_SI_JZNS1_25segmented_radix_sort_implINS0_14default_configELb0EPKlPlSQ_SR_N2at6native12_GLOBAL__N_18offset_tEEE10hipError_tPvRmT1_PNSt15iterator_traitsISZ_E10value_typeET2_T3_PNS10_IS15_E10value_typeET4_jRbjT5_S1B_jjP12ihipStream_tbEUljE_ZNSN_ISO_Lb0ESQ_SR_SQ_SR_SV_EESW_SX_SY_SZ_S13_S14_S15_S18_S19_jS1A_jS1B_S1B_jjS1D_bEUljE0_EEESW_SX_SY_S15_S19_S1B_T6_T7_T9_mT8_S1D_bDpT10_ENKUlT_T0_E_clISt17integral_constantIbLb1EES1Q_IbLb0EEEEDaS1M_S1N_EUlS1M_E_NS1_11comp_targetILNS1_3genE8ELNS1_11target_archE1030ELNS1_3gpuE2ELNS1_3repE0EEENS1_30default_config_static_selectorELNS0_4arch9wavefront6targetE0EEEvSZ_
		.amdhsa_group_segment_fixed_size 0
		.amdhsa_private_segment_fixed_size 0
		.amdhsa_kernarg_size 176
		.amdhsa_user_sgpr_count 15
		.amdhsa_user_sgpr_dispatch_ptr 0
		.amdhsa_user_sgpr_queue_ptr 0
		.amdhsa_user_sgpr_kernarg_segment_ptr 1
		.amdhsa_user_sgpr_dispatch_id 0
		.amdhsa_user_sgpr_private_segment_size 0
		.amdhsa_wavefront_size32 1
		.amdhsa_uses_dynamic_stack 0
		.amdhsa_enable_private_segment 0
		.amdhsa_system_sgpr_workgroup_id_x 1
		.amdhsa_system_sgpr_workgroup_id_y 0
		.amdhsa_system_sgpr_workgroup_id_z 0
		.amdhsa_system_sgpr_workgroup_info 0
		.amdhsa_system_vgpr_workitem_id 0
		.amdhsa_next_free_vgpr 1
		.amdhsa_next_free_sgpr 1
		.amdhsa_reserve_vcc 0
		.amdhsa_float_round_mode_32 0
		.amdhsa_float_round_mode_16_64 0
		.amdhsa_float_denorm_mode_32 3
		.amdhsa_float_denorm_mode_16_64 3
		.amdhsa_dx10_clamp 1
		.amdhsa_ieee_mode 1
		.amdhsa_fp16_overflow 0
		.amdhsa_workgroup_processor_mode 1
		.amdhsa_memory_ordered 1
		.amdhsa_forward_progress 0
		.amdhsa_shared_vgpr_count 0
		.amdhsa_exception_fp_ieee_invalid_op 0
		.amdhsa_exception_fp_denorm_src 0
		.amdhsa_exception_fp_ieee_div_zero 0
		.amdhsa_exception_fp_ieee_overflow 0
		.amdhsa_exception_fp_ieee_underflow 0
		.amdhsa_exception_fp_ieee_inexact 0
		.amdhsa_exception_int_div_zero 0
	.end_amdhsa_kernel
	.section	.text._ZN7rocprim17ROCPRIM_400000_NS6detail17trampoline_kernelINS0_13select_configILj256ELj13ELNS0_17block_load_methodE3ELS4_3ELS4_3ELNS0_20block_scan_algorithmE0ELj4294967295EEENS1_25partition_config_selectorILNS1_17partition_subalgoE4EjNS0_10empty_typeEbEEZZNS1_14partition_implILS8_4ELb0ES6_15HIP_vector_typeIjLj2EENS0_17counting_iteratorIjlEEPS9_SG_NS0_5tupleIJPjSI_NS0_16reverse_iteratorISI_EEEEENSH_IJSG_SG_SG_EEES9_SI_JZNS1_25segmented_radix_sort_implINS0_14default_configELb0EPKlPlSQ_SR_N2at6native12_GLOBAL__N_18offset_tEEE10hipError_tPvRmT1_PNSt15iterator_traitsISZ_E10value_typeET2_T3_PNS10_IS15_E10value_typeET4_jRbjT5_S1B_jjP12ihipStream_tbEUljE_ZNSN_ISO_Lb0ESQ_SR_SQ_SR_SV_EESW_SX_SY_SZ_S13_S14_S15_S18_S19_jS1A_jS1B_S1B_jjS1D_bEUljE0_EEESW_SX_SY_S15_S19_S1B_T6_T7_T9_mT8_S1D_bDpT10_ENKUlT_T0_E_clISt17integral_constantIbLb1EES1Q_IbLb0EEEEDaS1M_S1N_EUlS1M_E_NS1_11comp_targetILNS1_3genE8ELNS1_11target_archE1030ELNS1_3gpuE2ELNS1_3repE0EEENS1_30default_config_static_selectorELNS0_4arch9wavefront6targetE0EEEvSZ_,"axG",@progbits,_ZN7rocprim17ROCPRIM_400000_NS6detail17trampoline_kernelINS0_13select_configILj256ELj13ELNS0_17block_load_methodE3ELS4_3ELS4_3ELNS0_20block_scan_algorithmE0ELj4294967295EEENS1_25partition_config_selectorILNS1_17partition_subalgoE4EjNS0_10empty_typeEbEEZZNS1_14partition_implILS8_4ELb0ES6_15HIP_vector_typeIjLj2EENS0_17counting_iteratorIjlEEPS9_SG_NS0_5tupleIJPjSI_NS0_16reverse_iteratorISI_EEEEENSH_IJSG_SG_SG_EEES9_SI_JZNS1_25segmented_radix_sort_implINS0_14default_configELb0EPKlPlSQ_SR_N2at6native12_GLOBAL__N_18offset_tEEE10hipError_tPvRmT1_PNSt15iterator_traitsISZ_E10value_typeET2_T3_PNS10_IS15_E10value_typeET4_jRbjT5_S1B_jjP12ihipStream_tbEUljE_ZNSN_ISO_Lb0ESQ_SR_SQ_SR_SV_EESW_SX_SY_SZ_S13_S14_S15_S18_S19_jS1A_jS1B_S1B_jjS1D_bEUljE0_EEESW_SX_SY_S15_S19_S1B_T6_T7_T9_mT8_S1D_bDpT10_ENKUlT_T0_E_clISt17integral_constantIbLb1EES1Q_IbLb0EEEEDaS1M_S1N_EUlS1M_E_NS1_11comp_targetILNS1_3genE8ELNS1_11target_archE1030ELNS1_3gpuE2ELNS1_3repE0EEENS1_30default_config_static_selectorELNS0_4arch9wavefront6targetE0EEEvSZ_,comdat
.Lfunc_end766:
	.size	_ZN7rocprim17ROCPRIM_400000_NS6detail17trampoline_kernelINS0_13select_configILj256ELj13ELNS0_17block_load_methodE3ELS4_3ELS4_3ELNS0_20block_scan_algorithmE0ELj4294967295EEENS1_25partition_config_selectorILNS1_17partition_subalgoE4EjNS0_10empty_typeEbEEZZNS1_14partition_implILS8_4ELb0ES6_15HIP_vector_typeIjLj2EENS0_17counting_iteratorIjlEEPS9_SG_NS0_5tupleIJPjSI_NS0_16reverse_iteratorISI_EEEEENSH_IJSG_SG_SG_EEES9_SI_JZNS1_25segmented_radix_sort_implINS0_14default_configELb0EPKlPlSQ_SR_N2at6native12_GLOBAL__N_18offset_tEEE10hipError_tPvRmT1_PNSt15iterator_traitsISZ_E10value_typeET2_T3_PNS10_IS15_E10value_typeET4_jRbjT5_S1B_jjP12ihipStream_tbEUljE_ZNSN_ISO_Lb0ESQ_SR_SQ_SR_SV_EESW_SX_SY_SZ_S13_S14_S15_S18_S19_jS1A_jS1B_S1B_jjS1D_bEUljE0_EEESW_SX_SY_S15_S19_S1B_T6_T7_T9_mT8_S1D_bDpT10_ENKUlT_T0_E_clISt17integral_constantIbLb1EES1Q_IbLb0EEEEDaS1M_S1N_EUlS1M_E_NS1_11comp_targetILNS1_3genE8ELNS1_11target_archE1030ELNS1_3gpuE2ELNS1_3repE0EEENS1_30default_config_static_selectorELNS0_4arch9wavefront6targetE0EEEvSZ_, .Lfunc_end766-_ZN7rocprim17ROCPRIM_400000_NS6detail17trampoline_kernelINS0_13select_configILj256ELj13ELNS0_17block_load_methodE3ELS4_3ELS4_3ELNS0_20block_scan_algorithmE0ELj4294967295EEENS1_25partition_config_selectorILNS1_17partition_subalgoE4EjNS0_10empty_typeEbEEZZNS1_14partition_implILS8_4ELb0ES6_15HIP_vector_typeIjLj2EENS0_17counting_iteratorIjlEEPS9_SG_NS0_5tupleIJPjSI_NS0_16reverse_iteratorISI_EEEEENSH_IJSG_SG_SG_EEES9_SI_JZNS1_25segmented_radix_sort_implINS0_14default_configELb0EPKlPlSQ_SR_N2at6native12_GLOBAL__N_18offset_tEEE10hipError_tPvRmT1_PNSt15iterator_traitsISZ_E10value_typeET2_T3_PNS10_IS15_E10value_typeET4_jRbjT5_S1B_jjP12ihipStream_tbEUljE_ZNSN_ISO_Lb0ESQ_SR_SQ_SR_SV_EESW_SX_SY_SZ_S13_S14_S15_S18_S19_jS1A_jS1B_S1B_jjS1D_bEUljE0_EEESW_SX_SY_S15_S19_S1B_T6_T7_T9_mT8_S1D_bDpT10_ENKUlT_T0_E_clISt17integral_constantIbLb1EES1Q_IbLb0EEEEDaS1M_S1N_EUlS1M_E_NS1_11comp_targetILNS1_3genE8ELNS1_11target_archE1030ELNS1_3gpuE2ELNS1_3repE0EEENS1_30default_config_static_selectorELNS0_4arch9wavefront6targetE0EEEvSZ_
                                        ; -- End function
	.section	.AMDGPU.csdata,"",@progbits
; Kernel info:
; codeLenInByte = 0
; NumSgprs: 0
; NumVgprs: 0
; ScratchSize: 0
; MemoryBound: 0
; FloatMode: 240
; IeeeMode: 1
; LDSByteSize: 0 bytes/workgroup (compile time only)
; SGPRBlocks: 0
; VGPRBlocks: 0
; NumSGPRsForWavesPerEU: 1
; NumVGPRsForWavesPerEU: 1
; Occupancy: 16
; WaveLimiterHint : 0
; COMPUTE_PGM_RSRC2:SCRATCH_EN: 0
; COMPUTE_PGM_RSRC2:USER_SGPR: 15
; COMPUTE_PGM_RSRC2:TRAP_HANDLER: 0
; COMPUTE_PGM_RSRC2:TGID_X_EN: 1
; COMPUTE_PGM_RSRC2:TGID_Y_EN: 0
; COMPUTE_PGM_RSRC2:TGID_Z_EN: 0
; COMPUTE_PGM_RSRC2:TIDIG_COMP_CNT: 0
	.section	.text._ZN7rocprim17ROCPRIM_400000_NS6detail17trampoline_kernelINS0_13select_configILj256ELj13ELNS0_17block_load_methodE3ELS4_3ELS4_3ELNS0_20block_scan_algorithmE0ELj4294967295EEENS1_25partition_config_selectorILNS1_17partition_subalgoE4EjNS0_10empty_typeEbEEZZNS1_14partition_implILS8_4ELb0ES6_15HIP_vector_typeIjLj2EENS0_17counting_iteratorIjlEEPS9_SG_NS0_5tupleIJPjSI_NS0_16reverse_iteratorISI_EEEEENSH_IJSG_SG_SG_EEES9_SI_JZNS1_25segmented_radix_sort_implINS0_14default_configELb0EPKlPlSQ_SR_N2at6native12_GLOBAL__N_18offset_tEEE10hipError_tPvRmT1_PNSt15iterator_traitsISZ_E10value_typeET2_T3_PNS10_IS15_E10value_typeET4_jRbjT5_S1B_jjP12ihipStream_tbEUljE_ZNSN_ISO_Lb0ESQ_SR_SQ_SR_SV_EESW_SX_SY_SZ_S13_S14_S15_S18_S19_jS1A_jS1B_S1B_jjS1D_bEUljE0_EEESW_SX_SY_S15_S19_S1B_T6_T7_T9_mT8_S1D_bDpT10_ENKUlT_T0_E_clISt17integral_constantIbLb0EES1Q_IbLb1EEEEDaS1M_S1N_EUlS1M_E_NS1_11comp_targetILNS1_3genE0ELNS1_11target_archE4294967295ELNS1_3gpuE0ELNS1_3repE0EEENS1_30default_config_static_selectorELNS0_4arch9wavefront6targetE0EEEvSZ_,"axG",@progbits,_ZN7rocprim17ROCPRIM_400000_NS6detail17trampoline_kernelINS0_13select_configILj256ELj13ELNS0_17block_load_methodE3ELS4_3ELS4_3ELNS0_20block_scan_algorithmE0ELj4294967295EEENS1_25partition_config_selectorILNS1_17partition_subalgoE4EjNS0_10empty_typeEbEEZZNS1_14partition_implILS8_4ELb0ES6_15HIP_vector_typeIjLj2EENS0_17counting_iteratorIjlEEPS9_SG_NS0_5tupleIJPjSI_NS0_16reverse_iteratorISI_EEEEENSH_IJSG_SG_SG_EEES9_SI_JZNS1_25segmented_radix_sort_implINS0_14default_configELb0EPKlPlSQ_SR_N2at6native12_GLOBAL__N_18offset_tEEE10hipError_tPvRmT1_PNSt15iterator_traitsISZ_E10value_typeET2_T3_PNS10_IS15_E10value_typeET4_jRbjT5_S1B_jjP12ihipStream_tbEUljE_ZNSN_ISO_Lb0ESQ_SR_SQ_SR_SV_EESW_SX_SY_SZ_S13_S14_S15_S18_S19_jS1A_jS1B_S1B_jjS1D_bEUljE0_EEESW_SX_SY_S15_S19_S1B_T6_T7_T9_mT8_S1D_bDpT10_ENKUlT_T0_E_clISt17integral_constantIbLb0EES1Q_IbLb1EEEEDaS1M_S1N_EUlS1M_E_NS1_11comp_targetILNS1_3genE0ELNS1_11target_archE4294967295ELNS1_3gpuE0ELNS1_3repE0EEENS1_30default_config_static_selectorELNS0_4arch9wavefront6targetE0EEEvSZ_,comdat
	.globl	_ZN7rocprim17ROCPRIM_400000_NS6detail17trampoline_kernelINS0_13select_configILj256ELj13ELNS0_17block_load_methodE3ELS4_3ELS4_3ELNS0_20block_scan_algorithmE0ELj4294967295EEENS1_25partition_config_selectorILNS1_17partition_subalgoE4EjNS0_10empty_typeEbEEZZNS1_14partition_implILS8_4ELb0ES6_15HIP_vector_typeIjLj2EENS0_17counting_iteratorIjlEEPS9_SG_NS0_5tupleIJPjSI_NS0_16reverse_iteratorISI_EEEEENSH_IJSG_SG_SG_EEES9_SI_JZNS1_25segmented_radix_sort_implINS0_14default_configELb0EPKlPlSQ_SR_N2at6native12_GLOBAL__N_18offset_tEEE10hipError_tPvRmT1_PNSt15iterator_traitsISZ_E10value_typeET2_T3_PNS10_IS15_E10value_typeET4_jRbjT5_S1B_jjP12ihipStream_tbEUljE_ZNSN_ISO_Lb0ESQ_SR_SQ_SR_SV_EESW_SX_SY_SZ_S13_S14_S15_S18_S19_jS1A_jS1B_S1B_jjS1D_bEUljE0_EEESW_SX_SY_S15_S19_S1B_T6_T7_T9_mT8_S1D_bDpT10_ENKUlT_T0_E_clISt17integral_constantIbLb0EES1Q_IbLb1EEEEDaS1M_S1N_EUlS1M_E_NS1_11comp_targetILNS1_3genE0ELNS1_11target_archE4294967295ELNS1_3gpuE0ELNS1_3repE0EEENS1_30default_config_static_selectorELNS0_4arch9wavefront6targetE0EEEvSZ_ ; -- Begin function _ZN7rocprim17ROCPRIM_400000_NS6detail17trampoline_kernelINS0_13select_configILj256ELj13ELNS0_17block_load_methodE3ELS4_3ELS4_3ELNS0_20block_scan_algorithmE0ELj4294967295EEENS1_25partition_config_selectorILNS1_17partition_subalgoE4EjNS0_10empty_typeEbEEZZNS1_14partition_implILS8_4ELb0ES6_15HIP_vector_typeIjLj2EENS0_17counting_iteratorIjlEEPS9_SG_NS0_5tupleIJPjSI_NS0_16reverse_iteratorISI_EEEEENSH_IJSG_SG_SG_EEES9_SI_JZNS1_25segmented_radix_sort_implINS0_14default_configELb0EPKlPlSQ_SR_N2at6native12_GLOBAL__N_18offset_tEEE10hipError_tPvRmT1_PNSt15iterator_traitsISZ_E10value_typeET2_T3_PNS10_IS15_E10value_typeET4_jRbjT5_S1B_jjP12ihipStream_tbEUljE_ZNSN_ISO_Lb0ESQ_SR_SQ_SR_SV_EESW_SX_SY_SZ_S13_S14_S15_S18_S19_jS1A_jS1B_S1B_jjS1D_bEUljE0_EEESW_SX_SY_S15_S19_S1B_T6_T7_T9_mT8_S1D_bDpT10_ENKUlT_T0_E_clISt17integral_constantIbLb0EES1Q_IbLb1EEEEDaS1M_S1N_EUlS1M_E_NS1_11comp_targetILNS1_3genE0ELNS1_11target_archE4294967295ELNS1_3gpuE0ELNS1_3repE0EEENS1_30default_config_static_selectorELNS0_4arch9wavefront6targetE0EEEvSZ_
	.p2align	8
	.type	_ZN7rocprim17ROCPRIM_400000_NS6detail17trampoline_kernelINS0_13select_configILj256ELj13ELNS0_17block_load_methodE3ELS4_3ELS4_3ELNS0_20block_scan_algorithmE0ELj4294967295EEENS1_25partition_config_selectorILNS1_17partition_subalgoE4EjNS0_10empty_typeEbEEZZNS1_14partition_implILS8_4ELb0ES6_15HIP_vector_typeIjLj2EENS0_17counting_iteratorIjlEEPS9_SG_NS0_5tupleIJPjSI_NS0_16reverse_iteratorISI_EEEEENSH_IJSG_SG_SG_EEES9_SI_JZNS1_25segmented_radix_sort_implINS0_14default_configELb0EPKlPlSQ_SR_N2at6native12_GLOBAL__N_18offset_tEEE10hipError_tPvRmT1_PNSt15iterator_traitsISZ_E10value_typeET2_T3_PNS10_IS15_E10value_typeET4_jRbjT5_S1B_jjP12ihipStream_tbEUljE_ZNSN_ISO_Lb0ESQ_SR_SQ_SR_SV_EESW_SX_SY_SZ_S13_S14_S15_S18_S19_jS1A_jS1B_S1B_jjS1D_bEUljE0_EEESW_SX_SY_S15_S19_S1B_T6_T7_T9_mT8_S1D_bDpT10_ENKUlT_T0_E_clISt17integral_constantIbLb0EES1Q_IbLb1EEEEDaS1M_S1N_EUlS1M_E_NS1_11comp_targetILNS1_3genE0ELNS1_11target_archE4294967295ELNS1_3gpuE0ELNS1_3repE0EEENS1_30default_config_static_selectorELNS0_4arch9wavefront6targetE0EEEvSZ_,@function
_ZN7rocprim17ROCPRIM_400000_NS6detail17trampoline_kernelINS0_13select_configILj256ELj13ELNS0_17block_load_methodE3ELS4_3ELS4_3ELNS0_20block_scan_algorithmE0ELj4294967295EEENS1_25partition_config_selectorILNS1_17partition_subalgoE4EjNS0_10empty_typeEbEEZZNS1_14partition_implILS8_4ELb0ES6_15HIP_vector_typeIjLj2EENS0_17counting_iteratorIjlEEPS9_SG_NS0_5tupleIJPjSI_NS0_16reverse_iteratorISI_EEEEENSH_IJSG_SG_SG_EEES9_SI_JZNS1_25segmented_radix_sort_implINS0_14default_configELb0EPKlPlSQ_SR_N2at6native12_GLOBAL__N_18offset_tEEE10hipError_tPvRmT1_PNSt15iterator_traitsISZ_E10value_typeET2_T3_PNS10_IS15_E10value_typeET4_jRbjT5_S1B_jjP12ihipStream_tbEUljE_ZNSN_ISO_Lb0ESQ_SR_SQ_SR_SV_EESW_SX_SY_SZ_S13_S14_S15_S18_S19_jS1A_jS1B_S1B_jjS1D_bEUljE0_EEESW_SX_SY_S15_S19_S1B_T6_T7_T9_mT8_S1D_bDpT10_ENKUlT_T0_E_clISt17integral_constantIbLb0EES1Q_IbLb1EEEEDaS1M_S1N_EUlS1M_E_NS1_11comp_targetILNS1_3genE0ELNS1_11target_archE4294967295ELNS1_3gpuE0ELNS1_3repE0EEENS1_30default_config_static_selectorELNS0_4arch9wavefront6targetE0EEEvSZ_: ; @_ZN7rocprim17ROCPRIM_400000_NS6detail17trampoline_kernelINS0_13select_configILj256ELj13ELNS0_17block_load_methodE3ELS4_3ELS4_3ELNS0_20block_scan_algorithmE0ELj4294967295EEENS1_25partition_config_selectorILNS1_17partition_subalgoE4EjNS0_10empty_typeEbEEZZNS1_14partition_implILS8_4ELb0ES6_15HIP_vector_typeIjLj2EENS0_17counting_iteratorIjlEEPS9_SG_NS0_5tupleIJPjSI_NS0_16reverse_iteratorISI_EEEEENSH_IJSG_SG_SG_EEES9_SI_JZNS1_25segmented_radix_sort_implINS0_14default_configELb0EPKlPlSQ_SR_N2at6native12_GLOBAL__N_18offset_tEEE10hipError_tPvRmT1_PNSt15iterator_traitsISZ_E10value_typeET2_T3_PNS10_IS15_E10value_typeET4_jRbjT5_S1B_jjP12ihipStream_tbEUljE_ZNSN_ISO_Lb0ESQ_SR_SQ_SR_SV_EESW_SX_SY_SZ_S13_S14_S15_S18_S19_jS1A_jS1B_S1B_jjS1D_bEUljE0_EEESW_SX_SY_S15_S19_S1B_T6_T7_T9_mT8_S1D_bDpT10_ENKUlT_T0_E_clISt17integral_constantIbLb0EES1Q_IbLb1EEEEDaS1M_S1N_EUlS1M_E_NS1_11comp_targetILNS1_3genE0ELNS1_11target_archE4294967295ELNS1_3gpuE0ELNS1_3repE0EEENS1_30default_config_static_selectorELNS0_4arch9wavefront6targetE0EEEvSZ_
; %bb.0:
	.section	.rodata,"a",@progbits
	.p2align	6, 0x0
	.amdhsa_kernel _ZN7rocprim17ROCPRIM_400000_NS6detail17trampoline_kernelINS0_13select_configILj256ELj13ELNS0_17block_load_methodE3ELS4_3ELS4_3ELNS0_20block_scan_algorithmE0ELj4294967295EEENS1_25partition_config_selectorILNS1_17partition_subalgoE4EjNS0_10empty_typeEbEEZZNS1_14partition_implILS8_4ELb0ES6_15HIP_vector_typeIjLj2EENS0_17counting_iteratorIjlEEPS9_SG_NS0_5tupleIJPjSI_NS0_16reverse_iteratorISI_EEEEENSH_IJSG_SG_SG_EEES9_SI_JZNS1_25segmented_radix_sort_implINS0_14default_configELb0EPKlPlSQ_SR_N2at6native12_GLOBAL__N_18offset_tEEE10hipError_tPvRmT1_PNSt15iterator_traitsISZ_E10value_typeET2_T3_PNS10_IS15_E10value_typeET4_jRbjT5_S1B_jjP12ihipStream_tbEUljE_ZNSN_ISO_Lb0ESQ_SR_SQ_SR_SV_EESW_SX_SY_SZ_S13_S14_S15_S18_S19_jS1A_jS1B_S1B_jjS1D_bEUljE0_EEESW_SX_SY_S15_S19_S1B_T6_T7_T9_mT8_S1D_bDpT10_ENKUlT_T0_E_clISt17integral_constantIbLb0EES1Q_IbLb1EEEEDaS1M_S1N_EUlS1M_E_NS1_11comp_targetILNS1_3genE0ELNS1_11target_archE4294967295ELNS1_3gpuE0ELNS1_3repE0EEENS1_30default_config_static_selectorELNS0_4arch9wavefront6targetE0EEEvSZ_
		.amdhsa_group_segment_fixed_size 0
		.amdhsa_private_segment_fixed_size 0
		.amdhsa_kernarg_size 184
		.amdhsa_user_sgpr_count 15
		.amdhsa_user_sgpr_dispatch_ptr 0
		.amdhsa_user_sgpr_queue_ptr 0
		.amdhsa_user_sgpr_kernarg_segment_ptr 1
		.amdhsa_user_sgpr_dispatch_id 0
		.amdhsa_user_sgpr_private_segment_size 0
		.amdhsa_wavefront_size32 1
		.amdhsa_uses_dynamic_stack 0
		.amdhsa_enable_private_segment 0
		.amdhsa_system_sgpr_workgroup_id_x 1
		.amdhsa_system_sgpr_workgroup_id_y 0
		.amdhsa_system_sgpr_workgroup_id_z 0
		.amdhsa_system_sgpr_workgroup_info 0
		.amdhsa_system_vgpr_workitem_id 0
		.amdhsa_next_free_vgpr 1
		.amdhsa_next_free_sgpr 1
		.amdhsa_reserve_vcc 0
		.amdhsa_float_round_mode_32 0
		.amdhsa_float_round_mode_16_64 0
		.amdhsa_float_denorm_mode_32 3
		.amdhsa_float_denorm_mode_16_64 3
		.amdhsa_dx10_clamp 1
		.amdhsa_ieee_mode 1
		.amdhsa_fp16_overflow 0
		.amdhsa_workgroup_processor_mode 1
		.amdhsa_memory_ordered 1
		.amdhsa_forward_progress 0
		.amdhsa_shared_vgpr_count 0
		.amdhsa_exception_fp_ieee_invalid_op 0
		.amdhsa_exception_fp_denorm_src 0
		.amdhsa_exception_fp_ieee_div_zero 0
		.amdhsa_exception_fp_ieee_overflow 0
		.amdhsa_exception_fp_ieee_underflow 0
		.amdhsa_exception_fp_ieee_inexact 0
		.amdhsa_exception_int_div_zero 0
	.end_amdhsa_kernel
	.section	.text._ZN7rocprim17ROCPRIM_400000_NS6detail17trampoline_kernelINS0_13select_configILj256ELj13ELNS0_17block_load_methodE3ELS4_3ELS4_3ELNS0_20block_scan_algorithmE0ELj4294967295EEENS1_25partition_config_selectorILNS1_17partition_subalgoE4EjNS0_10empty_typeEbEEZZNS1_14partition_implILS8_4ELb0ES6_15HIP_vector_typeIjLj2EENS0_17counting_iteratorIjlEEPS9_SG_NS0_5tupleIJPjSI_NS0_16reverse_iteratorISI_EEEEENSH_IJSG_SG_SG_EEES9_SI_JZNS1_25segmented_radix_sort_implINS0_14default_configELb0EPKlPlSQ_SR_N2at6native12_GLOBAL__N_18offset_tEEE10hipError_tPvRmT1_PNSt15iterator_traitsISZ_E10value_typeET2_T3_PNS10_IS15_E10value_typeET4_jRbjT5_S1B_jjP12ihipStream_tbEUljE_ZNSN_ISO_Lb0ESQ_SR_SQ_SR_SV_EESW_SX_SY_SZ_S13_S14_S15_S18_S19_jS1A_jS1B_S1B_jjS1D_bEUljE0_EEESW_SX_SY_S15_S19_S1B_T6_T7_T9_mT8_S1D_bDpT10_ENKUlT_T0_E_clISt17integral_constantIbLb0EES1Q_IbLb1EEEEDaS1M_S1N_EUlS1M_E_NS1_11comp_targetILNS1_3genE0ELNS1_11target_archE4294967295ELNS1_3gpuE0ELNS1_3repE0EEENS1_30default_config_static_selectorELNS0_4arch9wavefront6targetE0EEEvSZ_,"axG",@progbits,_ZN7rocprim17ROCPRIM_400000_NS6detail17trampoline_kernelINS0_13select_configILj256ELj13ELNS0_17block_load_methodE3ELS4_3ELS4_3ELNS0_20block_scan_algorithmE0ELj4294967295EEENS1_25partition_config_selectorILNS1_17partition_subalgoE4EjNS0_10empty_typeEbEEZZNS1_14partition_implILS8_4ELb0ES6_15HIP_vector_typeIjLj2EENS0_17counting_iteratorIjlEEPS9_SG_NS0_5tupleIJPjSI_NS0_16reverse_iteratorISI_EEEEENSH_IJSG_SG_SG_EEES9_SI_JZNS1_25segmented_radix_sort_implINS0_14default_configELb0EPKlPlSQ_SR_N2at6native12_GLOBAL__N_18offset_tEEE10hipError_tPvRmT1_PNSt15iterator_traitsISZ_E10value_typeET2_T3_PNS10_IS15_E10value_typeET4_jRbjT5_S1B_jjP12ihipStream_tbEUljE_ZNSN_ISO_Lb0ESQ_SR_SQ_SR_SV_EESW_SX_SY_SZ_S13_S14_S15_S18_S19_jS1A_jS1B_S1B_jjS1D_bEUljE0_EEESW_SX_SY_S15_S19_S1B_T6_T7_T9_mT8_S1D_bDpT10_ENKUlT_T0_E_clISt17integral_constantIbLb0EES1Q_IbLb1EEEEDaS1M_S1N_EUlS1M_E_NS1_11comp_targetILNS1_3genE0ELNS1_11target_archE4294967295ELNS1_3gpuE0ELNS1_3repE0EEENS1_30default_config_static_selectorELNS0_4arch9wavefront6targetE0EEEvSZ_,comdat
.Lfunc_end767:
	.size	_ZN7rocprim17ROCPRIM_400000_NS6detail17trampoline_kernelINS0_13select_configILj256ELj13ELNS0_17block_load_methodE3ELS4_3ELS4_3ELNS0_20block_scan_algorithmE0ELj4294967295EEENS1_25partition_config_selectorILNS1_17partition_subalgoE4EjNS0_10empty_typeEbEEZZNS1_14partition_implILS8_4ELb0ES6_15HIP_vector_typeIjLj2EENS0_17counting_iteratorIjlEEPS9_SG_NS0_5tupleIJPjSI_NS0_16reverse_iteratorISI_EEEEENSH_IJSG_SG_SG_EEES9_SI_JZNS1_25segmented_radix_sort_implINS0_14default_configELb0EPKlPlSQ_SR_N2at6native12_GLOBAL__N_18offset_tEEE10hipError_tPvRmT1_PNSt15iterator_traitsISZ_E10value_typeET2_T3_PNS10_IS15_E10value_typeET4_jRbjT5_S1B_jjP12ihipStream_tbEUljE_ZNSN_ISO_Lb0ESQ_SR_SQ_SR_SV_EESW_SX_SY_SZ_S13_S14_S15_S18_S19_jS1A_jS1B_S1B_jjS1D_bEUljE0_EEESW_SX_SY_S15_S19_S1B_T6_T7_T9_mT8_S1D_bDpT10_ENKUlT_T0_E_clISt17integral_constantIbLb0EES1Q_IbLb1EEEEDaS1M_S1N_EUlS1M_E_NS1_11comp_targetILNS1_3genE0ELNS1_11target_archE4294967295ELNS1_3gpuE0ELNS1_3repE0EEENS1_30default_config_static_selectorELNS0_4arch9wavefront6targetE0EEEvSZ_, .Lfunc_end767-_ZN7rocprim17ROCPRIM_400000_NS6detail17trampoline_kernelINS0_13select_configILj256ELj13ELNS0_17block_load_methodE3ELS4_3ELS4_3ELNS0_20block_scan_algorithmE0ELj4294967295EEENS1_25partition_config_selectorILNS1_17partition_subalgoE4EjNS0_10empty_typeEbEEZZNS1_14partition_implILS8_4ELb0ES6_15HIP_vector_typeIjLj2EENS0_17counting_iteratorIjlEEPS9_SG_NS0_5tupleIJPjSI_NS0_16reverse_iteratorISI_EEEEENSH_IJSG_SG_SG_EEES9_SI_JZNS1_25segmented_radix_sort_implINS0_14default_configELb0EPKlPlSQ_SR_N2at6native12_GLOBAL__N_18offset_tEEE10hipError_tPvRmT1_PNSt15iterator_traitsISZ_E10value_typeET2_T3_PNS10_IS15_E10value_typeET4_jRbjT5_S1B_jjP12ihipStream_tbEUljE_ZNSN_ISO_Lb0ESQ_SR_SQ_SR_SV_EESW_SX_SY_SZ_S13_S14_S15_S18_S19_jS1A_jS1B_S1B_jjS1D_bEUljE0_EEESW_SX_SY_S15_S19_S1B_T6_T7_T9_mT8_S1D_bDpT10_ENKUlT_T0_E_clISt17integral_constantIbLb0EES1Q_IbLb1EEEEDaS1M_S1N_EUlS1M_E_NS1_11comp_targetILNS1_3genE0ELNS1_11target_archE4294967295ELNS1_3gpuE0ELNS1_3repE0EEENS1_30default_config_static_selectorELNS0_4arch9wavefront6targetE0EEEvSZ_
                                        ; -- End function
	.section	.AMDGPU.csdata,"",@progbits
; Kernel info:
; codeLenInByte = 0
; NumSgprs: 0
; NumVgprs: 0
; ScratchSize: 0
; MemoryBound: 0
; FloatMode: 240
; IeeeMode: 1
; LDSByteSize: 0 bytes/workgroup (compile time only)
; SGPRBlocks: 0
; VGPRBlocks: 0
; NumSGPRsForWavesPerEU: 1
; NumVGPRsForWavesPerEU: 1
; Occupancy: 16
; WaveLimiterHint : 0
; COMPUTE_PGM_RSRC2:SCRATCH_EN: 0
; COMPUTE_PGM_RSRC2:USER_SGPR: 15
; COMPUTE_PGM_RSRC2:TRAP_HANDLER: 0
; COMPUTE_PGM_RSRC2:TGID_X_EN: 1
; COMPUTE_PGM_RSRC2:TGID_Y_EN: 0
; COMPUTE_PGM_RSRC2:TGID_Z_EN: 0
; COMPUTE_PGM_RSRC2:TIDIG_COMP_CNT: 0
	.section	.text._ZN7rocprim17ROCPRIM_400000_NS6detail17trampoline_kernelINS0_13select_configILj256ELj13ELNS0_17block_load_methodE3ELS4_3ELS4_3ELNS0_20block_scan_algorithmE0ELj4294967295EEENS1_25partition_config_selectorILNS1_17partition_subalgoE4EjNS0_10empty_typeEbEEZZNS1_14partition_implILS8_4ELb0ES6_15HIP_vector_typeIjLj2EENS0_17counting_iteratorIjlEEPS9_SG_NS0_5tupleIJPjSI_NS0_16reverse_iteratorISI_EEEEENSH_IJSG_SG_SG_EEES9_SI_JZNS1_25segmented_radix_sort_implINS0_14default_configELb0EPKlPlSQ_SR_N2at6native12_GLOBAL__N_18offset_tEEE10hipError_tPvRmT1_PNSt15iterator_traitsISZ_E10value_typeET2_T3_PNS10_IS15_E10value_typeET4_jRbjT5_S1B_jjP12ihipStream_tbEUljE_ZNSN_ISO_Lb0ESQ_SR_SQ_SR_SV_EESW_SX_SY_SZ_S13_S14_S15_S18_S19_jS1A_jS1B_S1B_jjS1D_bEUljE0_EEESW_SX_SY_S15_S19_S1B_T6_T7_T9_mT8_S1D_bDpT10_ENKUlT_T0_E_clISt17integral_constantIbLb0EES1Q_IbLb1EEEEDaS1M_S1N_EUlS1M_E_NS1_11comp_targetILNS1_3genE5ELNS1_11target_archE942ELNS1_3gpuE9ELNS1_3repE0EEENS1_30default_config_static_selectorELNS0_4arch9wavefront6targetE0EEEvSZ_,"axG",@progbits,_ZN7rocprim17ROCPRIM_400000_NS6detail17trampoline_kernelINS0_13select_configILj256ELj13ELNS0_17block_load_methodE3ELS4_3ELS4_3ELNS0_20block_scan_algorithmE0ELj4294967295EEENS1_25partition_config_selectorILNS1_17partition_subalgoE4EjNS0_10empty_typeEbEEZZNS1_14partition_implILS8_4ELb0ES6_15HIP_vector_typeIjLj2EENS0_17counting_iteratorIjlEEPS9_SG_NS0_5tupleIJPjSI_NS0_16reverse_iteratorISI_EEEEENSH_IJSG_SG_SG_EEES9_SI_JZNS1_25segmented_radix_sort_implINS0_14default_configELb0EPKlPlSQ_SR_N2at6native12_GLOBAL__N_18offset_tEEE10hipError_tPvRmT1_PNSt15iterator_traitsISZ_E10value_typeET2_T3_PNS10_IS15_E10value_typeET4_jRbjT5_S1B_jjP12ihipStream_tbEUljE_ZNSN_ISO_Lb0ESQ_SR_SQ_SR_SV_EESW_SX_SY_SZ_S13_S14_S15_S18_S19_jS1A_jS1B_S1B_jjS1D_bEUljE0_EEESW_SX_SY_S15_S19_S1B_T6_T7_T9_mT8_S1D_bDpT10_ENKUlT_T0_E_clISt17integral_constantIbLb0EES1Q_IbLb1EEEEDaS1M_S1N_EUlS1M_E_NS1_11comp_targetILNS1_3genE5ELNS1_11target_archE942ELNS1_3gpuE9ELNS1_3repE0EEENS1_30default_config_static_selectorELNS0_4arch9wavefront6targetE0EEEvSZ_,comdat
	.globl	_ZN7rocprim17ROCPRIM_400000_NS6detail17trampoline_kernelINS0_13select_configILj256ELj13ELNS0_17block_load_methodE3ELS4_3ELS4_3ELNS0_20block_scan_algorithmE0ELj4294967295EEENS1_25partition_config_selectorILNS1_17partition_subalgoE4EjNS0_10empty_typeEbEEZZNS1_14partition_implILS8_4ELb0ES6_15HIP_vector_typeIjLj2EENS0_17counting_iteratorIjlEEPS9_SG_NS0_5tupleIJPjSI_NS0_16reverse_iteratorISI_EEEEENSH_IJSG_SG_SG_EEES9_SI_JZNS1_25segmented_radix_sort_implINS0_14default_configELb0EPKlPlSQ_SR_N2at6native12_GLOBAL__N_18offset_tEEE10hipError_tPvRmT1_PNSt15iterator_traitsISZ_E10value_typeET2_T3_PNS10_IS15_E10value_typeET4_jRbjT5_S1B_jjP12ihipStream_tbEUljE_ZNSN_ISO_Lb0ESQ_SR_SQ_SR_SV_EESW_SX_SY_SZ_S13_S14_S15_S18_S19_jS1A_jS1B_S1B_jjS1D_bEUljE0_EEESW_SX_SY_S15_S19_S1B_T6_T7_T9_mT8_S1D_bDpT10_ENKUlT_T0_E_clISt17integral_constantIbLb0EES1Q_IbLb1EEEEDaS1M_S1N_EUlS1M_E_NS1_11comp_targetILNS1_3genE5ELNS1_11target_archE942ELNS1_3gpuE9ELNS1_3repE0EEENS1_30default_config_static_selectorELNS0_4arch9wavefront6targetE0EEEvSZ_ ; -- Begin function _ZN7rocprim17ROCPRIM_400000_NS6detail17trampoline_kernelINS0_13select_configILj256ELj13ELNS0_17block_load_methodE3ELS4_3ELS4_3ELNS0_20block_scan_algorithmE0ELj4294967295EEENS1_25partition_config_selectorILNS1_17partition_subalgoE4EjNS0_10empty_typeEbEEZZNS1_14partition_implILS8_4ELb0ES6_15HIP_vector_typeIjLj2EENS0_17counting_iteratorIjlEEPS9_SG_NS0_5tupleIJPjSI_NS0_16reverse_iteratorISI_EEEEENSH_IJSG_SG_SG_EEES9_SI_JZNS1_25segmented_radix_sort_implINS0_14default_configELb0EPKlPlSQ_SR_N2at6native12_GLOBAL__N_18offset_tEEE10hipError_tPvRmT1_PNSt15iterator_traitsISZ_E10value_typeET2_T3_PNS10_IS15_E10value_typeET4_jRbjT5_S1B_jjP12ihipStream_tbEUljE_ZNSN_ISO_Lb0ESQ_SR_SQ_SR_SV_EESW_SX_SY_SZ_S13_S14_S15_S18_S19_jS1A_jS1B_S1B_jjS1D_bEUljE0_EEESW_SX_SY_S15_S19_S1B_T6_T7_T9_mT8_S1D_bDpT10_ENKUlT_T0_E_clISt17integral_constantIbLb0EES1Q_IbLb1EEEEDaS1M_S1N_EUlS1M_E_NS1_11comp_targetILNS1_3genE5ELNS1_11target_archE942ELNS1_3gpuE9ELNS1_3repE0EEENS1_30default_config_static_selectorELNS0_4arch9wavefront6targetE0EEEvSZ_
	.p2align	8
	.type	_ZN7rocprim17ROCPRIM_400000_NS6detail17trampoline_kernelINS0_13select_configILj256ELj13ELNS0_17block_load_methodE3ELS4_3ELS4_3ELNS0_20block_scan_algorithmE0ELj4294967295EEENS1_25partition_config_selectorILNS1_17partition_subalgoE4EjNS0_10empty_typeEbEEZZNS1_14partition_implILS8_4ELb0ES6_15HIP_vector_typeIjLj2EENS0_17counting_iteratorIjlEEPS9_SG_NS0_5tupleIJPjSI_NS0_16reverse_iteratorISI_EEEEENSH_IJSG_SG_SG_EEES9_SI_JZNS1_25segmented_radix_sort_implINS0_14default_configELb0EPKlPlSQ_SR_N2at6native12_GLOBAL__N_18offset_tEEE10hipError_tPvRmT1_PNSt15iterator_traitsISZ_E10value_typeET2_T3_PNS10_IS15_E10value_typeET4_jRbjT5_S1B_jjP12ihipStream_tbEUljE_ZNSN_ISO_Lb0ESQ_SR_SQ_SR_SV_EESW_SX_SY_SZ_S13_S14_S15_S18_S19_jS1A_jS1B_S1B_jjS1D_bEUljE0_EEESW_SX_SY_S15_S19_S1B_T6_T7_T9_mT8_S1D_bDpT10_ENKUlT_T0_E_clISt17integral_constantIbLb0EES1Q_IbLb1EEEEDaS1M_S1N_EUlS1M_E_NS1_11comp_targetILNS1_3genE5ELNS1_11target_archE942ELNS1_3gpuE9ELNS1_3repE0EEENS1_30default_config_static_selectorELNS0_4arch9wavefront6targetE0EEEvSZ_,@function
_ZN7rocprim17ROCPRIM_400000_NS6detail17trampoline_kernelINS0_13select_configILj256ELj13ELNS0_17block_load_methodE3ELS4_3ELS4_3ELNS0_20block_scan_algorithmE0ELj4294967295EEENS1_25partition_config_selectorILNS1_17partition_subalgoE4EjNS0_10empty_typeEbEEZZNS1_14partition_implILS8_4ELb0ES6_15HIP_vector_typeIjLj2EENS0_17counting_iteratorIjlEEPS9_SG_NS0_5tupleIJPjSI_NS0_16reverse_iteratorISI_EEEEENSH_IJSG_SG_SG_EEES9_SI_JZNS1_25segmented_radix_sort_implINS0_14default_configELb0EPKlPlSQ_SR_N2at6native12_GLOBAL__N_18offset_tEEE10hipError_tPvRmT1_PNSt15iterator_traitsISZ_E10value_typeET2_T3_PNS10_IS15_E10value_typeET4_jRbjT5_S1B_jjP12ihipStream_tbEUljE_ZNSN_ISO_Lb0ESQ_SR_SQ_SR_SV_EESW_SX_SY_SZ_S13_S14_S15_S18_S19_jS1A_jS1B_S1B_jjS1D_bEUljE0_EEESW_SX_SY_S15_S19_S1B_T6_T7_T9_mT8_S1D_bDpT10_ENKUlT_T0_E_clISt17integral_constantIbLb0EES1Q_IbLb1EEEEDaS1M_S1N_EUlS1M_E_NS1_11comp_targetILNS1_3genE5ELNS1_11target_archE942ELNS1_3gpuE9ELNS1_3repE0EEENS1_30default_config_static_selectorELNS0_4arch9wavefront6targetE0EEEvSZ_: ; @_ZN7rocprim17ROCPRIM_400000_NS6detail17trampoline_kernelINS0_13select_configILj256ELj13ELNS0_17block_load_methodE3ELS4_3ELS4_3ELNS0_20block_scan_algorithmE0ELj4294967295EEENS1_25partition_config_selectorILNS1_17partition_subalgoE4EjNS0_10empty_typeEbEEZZNS1_14partition_implILS8_4ELb0ES6_15HIP_vector_typeIjLj2EENS0_17counting_iteratorIjlEEPS9_SG_NS0_5tupleIJPjSI_NS0_16reverse_iteratorISI_EEEEENSH_IJSG_SG_SG_EEES9_SI_JZNS1_25segmented_radix_sort_implINS0_14default_configELb0EPKlPlSQ_SR_N2at6native12_GLOBAL__N_18offset_tEEE10hipError_tPvRmT1_PNSt15iterator_traitsISZ_E10value_typeET2_T3_PNS10_IS15_E10value_typeET4_jRbjT5_S1B_jjP12ihipStream_tbEUljE_ZNSN_ISO_Lb0ESQ_SR_SQ_SR_SV_EESW_SX_SY_SZ_S13_S14_S15_S18_S19_jS1A_jS1B_S1B_jjS1D_bEUljE0_EEESW_SX_SY_S15_S19_S1B_T6_T7_T9_mT8_S1D_bDpT10_ENKUlT_T0_E_clISt17integral_constantIbLb0EES1Q_IbLb1EEEEDaS1M_S1N_EUlS1M_E_NS1_11comp_targetILNS1_3genE5ELNS1_11target_archE942ELNS1_3gpuE9ELNS1_3repE0EEENS1_30default_config_static_selectorELNS0_4arch9wavefront6targetE0EEEvSZ_
; %bb.0:
	.section	.rodata,"a",@progbits
	.p2align	6, 0x0
	.amdhsa_kernel _ZN7rocprim17ROCPRIM_400000_NS6detail17trampoline_kernelINS0_13select_configILj256ELj13ELNS0_17block_load_methodE3ELS4_3ELS4_3ELNS0_20block_scan_algorithmE0ELj4294967295EEENS1_25partition_config_selectorILNS1_17partition_subalgoE4EjNS0_10empty_typeEbEEZZNS1_14partition_implILS8_4ELb0ES6_15HIP_vector_typeIjLj2EENS0_17counting_iteratorIjlEEPS9_SG_NS0_5tupleIJPjSI_NS0_16reverse_iteratorISI_EEEEENSH_IJSG_SG_SG_EEES9_SI_JZNS1_25segmented_radix_sort_implINS0_14default_configELb0EPKlPlSQ_SR_N2at6native12_GLOBAL__N_18offset_tEEE10hipError_tPvRmT1_PNSt15iterator_traitsISZ_E10value_typeET2_T3_PNS10_IS15_E10value_typeET4_jRbjT5_S1B_jjP12ihipStream_tbEUljE_ZNSN_ISO_Lb0ESQ_SR_SQ_SR_SV_EESW_SX_SY_SZ_S13_S14_S15_S18_S19_jS1A_jS1B_S1B_jjS1D_bEUljE0_EEESW_SX_SY_S15_S19_S1B_T6_T7_T9_mT8_S1D_bDpT10_ENKUlT_T0_E_clISt17integral_constantIbLb0EES1Q_IbLb1EEEEDaS1M_S1N_EUlS1M_E_NS1_11comp_targetILNS1_3genE5ELNS1_11target_archE942ELNS1_3gpuE9ELNS1_3repE0EEENS1_30default_config_static_selectorELNS0_4arch9wavefront6targetE0EEEvSZ_
		.amdhsa_group_segment_fixed_size 0
		.amdhsa_private_segment_fixed_size 0
		.amdhsa_kernarg_size 184
		.amdhsa_user_sgpr_count 15
		.amdhsa_user_sgpr_dispatch_ptr 0
		.amdhsa_user_sgpr_queue_ptr 0
		.amdhsa_user_sgpr_kernarg_segment_ptr 1
		.amdhsa_user_sgpr_dispatch_id 0
		.amdhsa_user_sgpr_private_segment_size 0
		.amdhsa_wavefront_size32 1
		.amdhsa_uses_dynamic_stack 0
		.amdhsa_enable_private_segment 0
		.amdhsa_system_sgpr_workgroup_id_x 1
		.amdhsa_system_sgpr_workgroup_id_y 0
		.amdhsa_system_sgpr_workgroup_id_z 0
		.amdhsa_system_sgpr_workgroup_info 0
		.amdhsa_system_vgpr_workitem_id 0
		.amdhsa_next_free_vgpr 1
		.amdhsa_next_free_sgpr 1
		.amdhsa_reserve_vcc 0
		.amdhsa_float_round_mode_32 0
		.amdhsa_float_round_mode_16_64 0
		.amdhsa_float_denorm_mode_32 3
		.amdhsa_float_denorm_mode_16_64 3
		.amdhsa_dx10_clamp 1
		.amdhsa_ieee_mode 1
		.amdhsa_fp16_overflow 0
		.amdhsa_workgroup_processor_mode 1
		.amdhsa_memory_ordered 1
		.amdhsa_forward_progress 0
		.amdhsa_shared_vgpr_count 0
		.amdhsa_exception_fp_ieee_invalid_op 0
		.amdhsa_exception_fp_denorm_src 0
		.amdhsa_exception_fp_ieee_div_zero 0
		.amdhsa_exception_fp_ieee_overflow 0
		.amdhsa_exception_fp_ieee_underflow 0
		.amdhsa_exception_fp_ieee_inexact 0
		.amdhsa_exception_int_div_zero 0
	.end_amdhsa_kernel
	.section	.text._ZN7rocprim17ROCPRIM_400000_NS6detail17trampoline_kernelINS0_13select_configILj256ELj13ELNS0_17block_load_methodE3ELS4_3ELS4_3ELNS0_20block_scan_algorithmE0ELj4294967295EEENS1_25partition_config_selectorILNS1_17partition_subalgoE4EjNS0_10empty_typeEbEEZZNS1_14partition_implILS8_4ELb0ES6_15HIP_vector_typeIjLj2EENS0_17counting_iteratorIjlEEPS9_SG_NS0_5tupleIJPjSI_NS0_16reverse_iteratorISI_EEEEENSH_IJSG_SG_SG_EEES9_SI_JZNS1_25segmented_radix_sort_implINS0_14default_configELb0EPKlPlSQ_SR_N2at6native12_GLOBAL__N_18offset_tEEE10hipError_tPvRmT1_PNSt15iterator_traitsISZ_E10value_typeET2_T3_PNS10_IS15_E10value_typeET4_jRbjT5_S1B_jjP12ihipStream_tbEUljE_ZNSN_ISO_Lb0ESQ_SR_SQ_SR_SV_EESW_SX_SY_SZ_S13_S14_S15_S18_S19_jS1A_jS1B_S1B_jjS1D_bEUljE0_EEESW_SX_SY_S15_S19_S1B_T6_T7_T9_mT8_S1D_bDpT10_ENKUlT_T0_E_clISt17integral_constantIbLb0EES1Q_IbLb1EEEEDaS1M_S1N_EUlS1M_E_NS1_11comp_targetILNS1_3genE5ELNS1_11target_archE942ELNS1_3gpuE9ELNS1_3repE0EEENS1_30default_config_static_selectorELNS0_4arch9wavefront6targetE0EEEvSZ_,"axG",@progbits,_ZN7rocprim17ROCPRIM_400000_NS6detail17trampoline_kernelINS0_13select_configILj256ELj13ELNS0_17block_load_methodE3ELS4_3ELS4_3ELNS0_20block_scan_algorithmE0ELj4294967295EEENS1_25partition_config_selectorILNS1_17partition_subalgoE4EjNS0_10empty_typeEbEEZZNS1_14partition_implILS8_4ELb0ES6_15HIP_vector_typeIjLj2EENS0_17counting_iteratorIjlEEPS9_SG_NS0_5tupleIJPjSI_NS0_16reverse_iteratorISI_EEEEENSH_IJSG_SG_SG_EEES9_SI_JZNS1_25segmented_radix_sort_implINS0_14default_configELb0EPKlPlSQ_SR_N2at6native12_GLOBAL__N_18offset_tEEE10hipError_tPvRmT1_PNSt15iterator_traitsISZ_E10value_typeET2_T3_PNS10_IS15_E10value_typeET4_jRbjT5_S1B_jjP12ihipStream_tbEUljE_ZNSN_ISO_Lb0ESQ_SR_SQ_SR_SV_EESW_SX_SY_SZ_S13_S14_S15_S18_S19_jS1A_jS1B_S1B_jjS1D_bEUljE0_EEESW_SX_SY_S15_S19_S1B_T6_T7_T9_mT8_S1D_bDpT10_ENKUlT_T0_E_clISt17integral_constantIbLb0EES1Q_IbLb1EEEEDaS1M_S1N_EUlS1M_E_NS1_11comp_targetILNS1_3genE5ELNS1_11target_archE942ELNS1_3gpuE9ELNS1_3repE0EEENS1_30default_config_static_selectorELNS0_4arch9wavefront6targetE0EEEvSZ_,comdat
.Lfunc_end768:
	.size	_ZN7rocprim17ROCPRIM_400000_NS6detail17trampoline_kernelINS0_13select_configILj256ELj13ELNS0_17block_load_methodE3ELS4_3ELS4_3ELNS0_20block_scan_algorithmE0ELj4294967295EEENS1_25partition_config_selectorILNS1_17partition_subalgoE4EjNS0_10empty_typeEbEEZZNS1_14partition_implILS8_4ELb0ES6_15HIP_vector_typeIjLj2EENS0_17counting_iteratorIjlEEPS9_SG_NS0_5tupleIJPjSI_NS0_16reverse_iteratorISI_EEEEENSH_IJSG_SG_SG_EEES9_SI_JZNS1_25segmented_radix_sort_implINS0_14default_configELb0EPKlPlSQ_SR_N2at6native12_GLOBAL__N_18offset_tEEE10hipError_tPvRmT1_PNSt15iterator_traitsISZ_E10value_typeET2_T3_PNS10_IS15_E10value_typeET4_jRbjT5_S1B_jjP12ihipStream_tbEUljE_ZNSN_ISO_Lb0ESQ_SR_SQ_SR_SV_EESW_SX_SY_SZ_S13_S14_S15_S18_S19_jS1A_jS1B_S1B_jjS1D_bEUljE0_EEESW_SX_SY_S15_S19_S1B_T6_T7_T9_mT8_S1D_bDpT10_ENKUlT_T0_E_clISt17integral_constantIbLb0EES1Q_IbLb1EEEEDaS1M_S1N_EUlS1M_E_NS1_11comp_targetILNS1_3genE5ELNS1_11target_archE942ELNS1_3gpuE9ELNS1_3repE0EEENS1_30default_config_static_selectorELNS0_4arch9wavefront6targetE0EEEvSZ_, .Lfunc_end768-_ZN7rocprim17ROCPRIM_400000_NS6detail17trampoline_kernelINS0_13select_configILj256ELj13ELNS0_17block_load_methodE3ELS4_3ELS4_3ELNS0_20block_scan_algorithmE0ELj4294967295EEENS1_25partition_config_selectorILNS1_17partition_subalgoE4EjNS0_10empty_typeEbEEZZNS1_14partition_implILS8_4ELb0ES6_15HIP_vector_typeIjLj2EENS0_17counting_iteratorIjlEEPS9_SG_NS0_5tupleIJPjSI_NS0_16reverse_iteratorISI_EEEEENSH_IJSG_SG_SG_EEES9_SI_JZNS1_25segmented_radix_sort_implINS0_14default_configELb0EPKlPlSQ_SR_N2at6native12_GLOBAL__N_18offset_tEEE10hipError_tPvRmT1_PNSt15iterator_traitsISZ_E10value_typeET2_T3_PNS10_IS15_E10value_typeET4_jRbjT5_S1B_jjP12ihipStream_tbEUljE_ZNSN_ISO_Lb0ESQ_SR_SQ_SR_SV_EESW_SX_SY_SZ_S13_S14_S15_S18_S19_jS1A_jS1B_S1B_jjS1D_bEUljE0_EEESW_SX_SY_S15_S19_S1B_T6_T7_T9_mT8_S1D_bDpT10_ENKUlT_T0_E_clISt17integral_constantIbLb0EES1Q_IbLb1EEEEDaS1M_S1N_EUlS1M_E_NS1_11comp_targetILNS1_3genE5ELNS1_11target_archE942ELNS1_3gpuE9ELNS1_3repE0EEENS1_30default_config_static_selectorELNS0_4arch9wavefront6targetE0EEEvSZ_
                                        ; -- End function
	.section	.AMDGPU.csdata,"",@progbits
; Kernel info:
; codeLenInByte = 0
; NumSgprs: 0
; NumVgprs: 0
; ScratchSize: 0
; MemoryBound: 0
; FloatMode: 240
; IeeeMode: 1
; LDSByteSize: 0 bytes/workgroup (compile time only)
; SGPRBlocks: 0
; VGPRBlocks: 0
; NumSGPRsForWavesPerEU: 1
; NumVGPRsForWavesPerEU: 1
; Occupancy: 16
; WaveLimiterHint : 0
; COMPUTE_PGM_RSRC2:SCRATCH_EN: 0
; COMPUTE_PGM_RSRC2:USER_SGPR: 15
; COMPUTE_PGM_RSRC2:TRAP_HANDLER: 0
; COMPUTE_PGM_RSRC2:TGID_X_EN: 1
; COMPUTE_PGM_RSRC2:TGID_Y_EN: 0
; COMPUTE_PGM_RSRC2:TGID_Z_EN: 0
; COMPUTE_PGM_RSRC2:TIDIG_COMP_CNT: 0
	.section	.text._ZN7rocprim17ROCPRIM_400000_NS6detail17trampoline_kernelINS0_13select_configILj256ELj13ELNS0_17block_load_methodE3ELS4_3ELS4_3ELNS0_20block_scan_algorithmE0ELj4294967295EEENS1_25partition_config_selectorILNS1_17partition_subalgoE4EjNS0_10empty_typeEbEEZZNS1_14partition_implILS8_4ELb0ES6_15HIP_vector_typeIjLj2EENS0_17counting_iteratorIjlEEPS9_SG_NS0_5tupleIJPjSI_NS0_16reverse_iteratorISI_EEEEENSH_IJSG_SG_SG_EEES9_SI_JZNS1_25segmented_radix_sort_implINS0_14default_configELb0EPKlPlSQ_SR_N2at6native12_GLOBAL__N_18offset_tEEE10hipError_tPvRmT1_PNSt15iterator_traitsISZ_E10value_typeET2_T3_PNS10_IS15_E10value_typeET4_jRbjT5_S1B_jjP12ihipStream_tbEUljE_ZNSN_ISO_Lb0ESQ_SR_SQ_SR_SV_EESW_SX_SY_SZ_S13_S14_S15_S18_S19_jS1A_jS1B_S1B_jjS1D_bEUljE0_EEESW_SX_SY_S15_S19_S1B_T6_T7_T9_mT8_S1D_bDpT10_ENKUlT_T0_E_clISt17integral_constantIbLb0EES1Q_IbLb1EEEEDaS1M_S1N_EUlS1M_E_NS1_11comp_targetILNS1_3genE4ELNS1_11target_archE910ELNS1_3gpuE8ELNS1_3repE0EEENS1_30default_config_static_selectorELNS0_4arch9wavefront6targetE0EEEvSZ_,"axG",@progbits,_ZN7rocprim17ROCPRIM_400000_NS6detail17trampoline_kernelINS0_13select_configILj256ELj13ELNS0_17block_load_methodE3ELS4_3ELS4_3ELNS0_20block_scan_algorithmE0ELj4294967295EEENS1_25partition_config_selectorILNS1_17partition_subalgoE4EjNS0_10empty_typeEbEEZZNS1_14partition_implILS8_4ELb0ES6_15HIP_vector_typeIjLj2EENS0_17counting_iteratorIjlEEPS9_SG_NS0_5tupleIJPjSI_NS0_16reverse_iteratorISI_EEEEENSH_IJSG_SG_SG_EEES9_SI_JZNS1_25segmented_radix_sort_implINS0_14default_configELb0EPKlPlSQ_SR_N2at6native12_GLOBAL__N_18offset_tEEE10hipError_tPvRmT1_PNSt15iterator_traitsISZ_E10value_typeET2_T3_PNS10_IS15_E10value_typeET4_jRbjT5_S1B_jjP12ihipStream_tbEUljE_ZNSN_ISO_Lb0ESQ_SR_SQ_SR_SV_EESW_SX_SY_SZ_S13_S14_S15_S18_S19_jS1A_jS1B_S1B_jjS1D_bEUljE0_EEESW_SX_SY_S15_S19_S1B_T6_T7_T9_mT8_S1D_bDpT10_ENKUlT_T0_E_clISt17integral_constantIbLb0EES1Q_IbLb1EEEEDaS1M_S1N_EUlS1M_E_NS1_11comp_targetILNS1_3genE4ELNS1_11target_archE910ELNS1_3gpuE8ELNS1_3repE0EEENS1_30default_config_static_selectorELNS0_4arch9wavefront6targetE0EEEvSZ_,comdat
	.globl	_ZN7rocprim17ROCPRIM_400000_NS6detail17trampoline_kernelINS0_13select_configILj256ELj13ELNS0_17block_load_methodE3ELS4_3ELS4_3ELNS0_20block_scan_algorithmE0ELj4294967295EEENS1_25partition_config_selectorILNS1_17partition_subalgoE4EjNS0_10empty_typeEbEEZZNS1_14partition_implILS8_4ELb0ES6_15HIP_vector_typeIjLj2EENS0_17counting_iteratorIjlEEPS9_SG_NS0_5tupleIJPjSI_NS0_16reverse_iteratorISI_EEEEENSH_IJSG_SG_SG_EEES9_SI_JZNS1_25segmented_radix_sort_implINS0_14default_configELb0EPKlPlSQ_SR_N2at6native12_GLOBAL__N_18offset_tEEE10hipError_tPvRmT1_PNSt15iterator_traitsISZ_E10value_typeET2_T3_PNS10_IS15_E10value_typeET4_jRbjT5_S1B_jjP12ihipStream_tbEUljE_ZNSN_ISO_Lb0ESQ_SR_SQ_SR_SV_EESW_SX_SY_SZ_S13_S14_S15_S18_S19_jS1A_jS1B_S1B_jjS1D_bEUljE0_EEESW_SX_SY_S15_S19_S1B_T6_T7_T9_mT8_S1D_bDpT10_ENKUlT_T0_E_clISt17integral_constantIbLb0EES1Q_IbLb1EEEEDaS1M_S1N_EUlS1M_E_NS1_11comp_targetILNS1_3genE4ELNS1_11target_archE910ELNS1_3gpuE8ELNS1_3repE0EEENS1_30default_config_static_selectorELNS0_4arch9wavefront6targetE0EEEvSZ_ ; -- Begin function _ZN7rocprim17ROCPRIM_400000_NS6detail17trampoline_kernelINS0_13select_configILj256ELj13ELNS0_17block_load_methodE3ELS4_3ELS4_3ELNS0_20block_scan_algorithmE0ELj4294967295EEENS1_25partition_config_selectorILNS1_17partition_subalgoE4EjNS0_10empty_typeEbEEZZNS1_14partition_implILS8_4ELb0ES6_15HIP_vector_typeIjLj2EENS0_17counting_iteratorIjlEEPS9_SG_NS0_5tupleIJPjSI_NS0_16reverse_iteratorISI_EEEEENSH_IJSG_SG_SG_EEES9_SI_JZNS1_25segmented_radix_sort_implINS0_14default_configELb0EPKlPlSQ_SR_N2at6native12_GLOBAL__N_18offset_tEEE10hipError_tPvRmT1_PNSt15iterator_traitsISZ_E10value_typeET2_T3_PNS10_IS15_E10value_typeET4_jRbjT5_S1B_jjP12ihipStream_tbEUljE_ZNSN_ISO_Lb0ESQ_SR_SQ_SR_SV_EESW_SX_SY_SZ_S13_S14_S15_S18_S19_jS1A_jS1B_S1B_jjS1D_bEUljE0_EEESW_SX_SY_S15_S19_S1B_T6_T7_T9_mT8_S1D_bDpT10_ENKUlT_T0_E_clISt17integral_constantIbLb0EES1Q_IbLb1EEEEDaS1M_S1N_EUlS1M_E_NS1_11comp_targetILNS1_3genE4ELNS1_11target_archE910ELNS1_3gpuE8ELNS1_3repE0EEENS1_30default_config_static_selectorELNS0_4arch9wavefront6targetE0EEEvSZ_
	.p2align	8
	.type	_ZN7rocprim17ROCPRIM_400000_NS6detail17trampoline_kernelINS0_13select_configILj256ELj13ELNS0_17block_load_methodE3ELS4_3ELS4_3ELNS0_20block_scan_algorithmE0ELj4294967295EEENS1_25partition_config_selectorILNS1_17partition_subalgoE4EjNS0_10empty_typeEbEEZZNS1_14partition_implILS8_4ELb0ES6_15HIP_vector_typeIjLj2EENS0_17counting_iteratorIjlEEPS9_SG_NS0_5tupleIJPjSI_NS0_16reverse_iteratorISI_EEEEENSH_IJSG_SG_SG_EEES9_SI_JZNS1_25segmented_radix_sort_implINS0_14default_configELb0EPKlPlSQ_SR_N2at6native12_GLOBAL__N_18offset_tEEE10hipError_tPvRmT1_PNSt15iterator_traitsISZ_E10value_typeET2_T3_PNS10_IS15_E10value_typeET4_jRbjT5_S1B_jjP12ihipStream_tbEUljE_ZNSN_ISO_Lb0ESQ_SR_SQ_SR_SV_EESW_SX_SY_SZ_S13_S14_S15_S18_S19_jS1A_jS1B_S1B_jjS1D_bEUljE0_EEESW_SX_SY_S15_S19_S1B_T6_T7_T9_mT8_S1D_bDpT10_ENKUlT_T0_E_clISt17integral_constantIbLb0EES1Q_IbLb1EEEEDaS1M_S1N_EUlS1M_E_NS1_11comp_targetILNS1_3genE4ELNS1_11target_archE910ELNS1_3gpuE8ELNS1_3repE0EEENS1_30default_config_static_selectorELNS0_4arch9wavefront6targetE0EEEvSZ_,@function
_ZN7rocprim17ROCPRIM_400000_NS6detail17trampoline_kernelINS0_13select_configILj256ELj13ELNS0_17block_load_methodE3ELS4_3ELS4_3ELNS0_20block_scan_algorithmE0ELj4294967295EEENS1_25partition_config_selectorILNS1_17partition_subalgoE4EjNS0_10empty_typeEbEEZZNS1_14partition_implILS8_4ELb0ES6_15HIP_vector_typeIjLj2EENS0_17counting_iteratorIjlEEPS9_SG_NS0_5tupleIJPjSI_NS0_16reverse_iteratorISI_EEEEENSH_IJSG_SG_SG_EEES9_SI_JZNS1_25segmented_radix_sort_implINS0_14default_configELb0EPKlPlSQ_SR_N2at6native12_GLOBAL__N_18offset_tEEE10hipError_tPvRmT1_PNSt15iterator_traitsISZ_E10value_typeET2_T3_PNS10_IS15_E10value_typeET4_jRbjT5_S1B_jjP12ihipStream_tbEUljE_ZNSN_ISO_Lb0ESQ_SR_SQ_SR_SV_EESW_SX_SY_SZ_S13_S14_S15_S18_S19_jS1A_jS1B_S1B_jjS1D_bEUljE0_EEESW_SX_SY_S15_S19_S1B_T6_T7_T9_mT8_S1D_bDpT10_ENKUlT_T0_E_clISt17integral_constantIbLb0EES1Q_IbLb1EEEEDaS1M_S1N_EUlS1M_E_NS1_11comp_targetILNS1_3genE4ELNS1_11target_archE910ELNS1_3gpuE8ELNS1_3repE0EEENS1_30default_config_static_selectorELNS0_4arch9wavefront6targetE0EEEvSZ_: ; @_ZN7rocprim17ROCPRIM_400000_NS6detail17trampoline_kernelINS0_13select_configILj256ELj13ELNS0_17block_load_methodE3ELS4_3ELS4_3ELNS0_20block_scan_algorithmE0ELj4294967295EEENS1_25partition_config_selectorILNS1_17partition_subalgoE4EjNS0_10empty_typeEbEEZZNS1_14partition_implILS8_4ELb0ES6_15HIP_vector_typeIjLj2EENS0_17counting_iteratorIjlEEPS9_SG_NS0_5tupleIJPjSI_NS0_16reverse_iteratorISI_EEEEENSH_IJSG_SG_SG_EEES9_SI_JZNS1_25segmented_radix_sort_implINS0_14default_configELb0EPKlPlSQ_SR_N2at6native12_GLOBAL__N_18offset_tEEE10hipError_tPvRmT1_PNSt15iterator_traitsISZ_E10value_typeET2_T3_PNS10_IS15_E10value_typeET4_jRbjT5_S1B_jjP12ihipStream_tbEUljE_ZNSN_ISO_Lb0ESQ_SR_SQ_SR_SV_EESW_SX_SY_SZ_S13_S14_S15_S18_S19_jS1A_jS1B_S1B_jjS1D_bEUljE0_EEESW_SX_SY_S15_S19_S1B_T6_T7_T9_mT8_S1D_bDpT10_ENKUlT_T0_E_clISt17integral_constantIbLb0EES1Q_IbLb1EEEEDaS1M_S1N_EUlS1M_E_NS1_11comp_targetILNS1_3genE4ELNS1_11target_archE910ELNS1_3gpuE8ELNS1_3repE0EEENS1_30default_config_static_selectorELNS0_4arch9wavefront6targetE0EEEvSZ_
; %bb.0:
	.section	.rodata,"a",@progbits
	.p2align	6, 0x0
	.amdhsa_kernel _ZN7rocprim17ROCPRIM_400000_NS6detail17trampoline_kernelINS0_13select_configILj256ELj13ELNS0_17block_load_methodE3ELS4_3ELS4_3ELNS0_20block_scan_algorithmE0ELj4294967295EEENS1_25partition_config_selectorILNS1_17partition_subalgoE4EjNS0_10empty_typeEbEEZZNS1_14partition_implILS8_4ELb0ES6_15HIP_vector_typeIjLj2EENS0_17counting_iteratorIjlEEPS9_SG_NS0_5tupleIJPjSI_NS0_16reverse_iteratorISI_EEEEENSH_IJSG_SG_SG_EEES9_SI_JZNS1_25segmented_radix_sort_implINS0_14default_configELb0EPKlPlSQ_SR_N2at6native12_GLOBAL__N_18offset_tEEE10hipError_tPvRmT1_PNSt15iterator_traitsISZ_E10value_typeET2_T3_PNS10_IS15_E10value_typeET4_jRbjT5_S1B_jjP12ihipStream_tbEUljE_ZNSN_ISO_Lb0ESQ_SR_SQ_SR_SV_EESW_SX_SY_SZ_S13_S14_S15_S18_S19_jS1A_jS1B_S1B_jjS1D_bEUljE0_EEESW_SX_SY_S15_S19_S1B_T6_T7_T9_mT8_S1D_bDpT10_ENKUlT_T0_E_clISt17integral_constantIbLb0EES1Q_IbLb1EEEEDaS1M_S1N_EUlS1M_E_NS1_11comp_targetILNS1_3genE4ELNS1_11target_archE910ELNS1_3gpuE8ELNS1_3repE0EEENS1_30default_config_static_selectorELNS0_4arch9wavefront6targetE0EEEvSZ_
		.amdhsa_group_segment_fixed_size 0
		.amdhsa_private_segment_fixed_size 0
		.amdhsa_kernarg_size 184
		.amdhsa_user_sgpr_count 15
		.amdhsa_user_sgpr_dispatch_ptr 0
		.amdhsa_user_sgpr_queue_ptr 0
		.amdhsa_user_sgpr_kernarg_segment_ptr 1
		.amdhsa_user_sgpr_dispatch_id 0
		.amdhsa_user_sgpr_private_segment_size 0
		.amdhsa_wavefront_size32 1
		.amdhsa_uses_dynamic_stack 0
		.amdhsa_enable_private_segment 0
		.amdhsa_system_sgpr_workgroup_id_x 1
		.amdhsa_system_sgpr_workgroup_id_y 0
		.amdhsa_system_sgpr_workgroup_id_z 0
		.amdhsa_system_sgpr_workgroup_info 0
		.amdhsa_system_vgpr_workitem_id 0
		.amdhsa_next_free_vgpr 1
		.amdhsa_next_free_sgpr 1
		.amdhsa_reserve_vcc 0
		.amdhsa_float_round_mode_32 0
		.amdhsa_float_round_mode_16_64 0
		.amdhsa_float_denorm_mode_32 3
		.amdhsa_float_denorm_mode_16_64 3
		.amdhsa_dx10_clamp 1
		.amdhsa_ieee_mode 1
		.amdhsa_fp16_overflow 0
		.amdhsa_workgroup_processor_mode 1
		.amdhsa_memory_ordered 1
		.amdhsa_forward_progress 0
		.amdhsa_shared_vgpr_count 0
		.amdhsa_exception_fp_ieee_invalid_op 0
		.amdhsa_exception_fp_denorm_src 0
		.amdhsa_exception_fp_ieee_div_zero 0
		.amdhsa_exception_fp_ieee_overflow 0
		.amdhsa_exception_fp_ieee_underflow 0
		.amdhsa_exception_fp_ieee_inexact 0
		.amdhsa_exception_int_div_zero 0
	.end_amdhsa_kernel
	.section	.text._ZN7rocprim17ROCPRIM_400000_NS6detail17trampoline_kernelINS0_13select_configILj256ELj13ELNS0_17block_load_methodE3ELS4_3ELS4_3ELNS0_20block_scan_algorithmE0ELj4294967295EEENS1_25partition_config_selectorILNS1_17partition_subalgoE4EjNS0_10empty_typeEbEEZZNS1_14partition_implILS8_4ELb0ES6_15HIP_vector_typeIjLj2EENS0_17counting_iteratorIjlEEPS9_SG_NS0_5tupleIJPjSI_NS0_16reverse_iteratorISI_EEEEENSH_IJSG_SG_SG_EEES9_SI_JZNS1_25segmented_radix_sort_implINS0_14default_configELb0EPKlPlSQ_SR_N2at6native12_GLOBAL__N_18offset_tEEE10hipError_tPvRmT1_PNSt15iterator_traitsISZ_E10value_typeET2_T3_PNS10_IS15_E10value_typeET4_jRbjT5_S1B_jjP12ihipStream_tbEUljE_ZNSN_ISO_Lb0ESQ_SR_SQ_SR_SV_EESW_SX_SY_SZ_S13_S14_S15_S18_S19_jS1A_jS1B_S1B_jjS1D_bEUljE0_EEESW_SX_SY_S15_S19_S1B_T6_T7_T9_mT8_S1D_bDpT10_ENKUlT_T0_E_clISt17integral_constantIbLb0EES1Q_IbLb1EEEEDaS1M_S1N_EUlS1M_E_NS1_11comp_targetILNS1_3genE4ELNS1_11target_archE910ELNS1_3gpuE8ELNS1_3repE0EEENS1_30default_config_static_selectorELNS0_4arch9wavefront6targetE0EEEvSZ_,"axG",@progbits,_ZN7rocprim17ROCPRIM_400000_NS6detail17trampoline_kernelINS0_13select_configILj256ELj13ELNS0_17block_load_methodE3ELS4_3ELS4_3ELNS0_20block_scan_algorithmE0ELj4294967295EEENS1_25partition_config_selectorILNS1_17partition_subalgoE4EjNS0_10empty_typeEbEEZZNS1_14partition_implILS8_4ELb0ES6_15HIP_vector_typeIjLj2EENS0_17counting_iteratorIjlEEPS9_SG_NS0_5tupleIJPjSI_NS0_16reverse_iteratorISI_EEEEENSH_IJSG_SG_SG_EEES9_SI_JZNS1_25segmented_radix_sort_implINS0_14default_configELb0EPKlPlSQ_SR_N2at6native12_GLOBAL__N_18offset_tEEE10hipError_tPvRmT1_PNSt15iterator_traitsISZ_E10value_typeET2_T3_PNS10_IS15_E10value_typeET4_jRbjT5_S1B_jjP12ihipStream_tbEUljE_ZNSN_ISO_Lb0ESQ_SR_SQ_SR_SV_EESW_SX_SY_SZ_S13_S14_S15_S18_S19_jS1A_jS1B_S1B_jjS1D_bEUljE0_EEESW_SX_SY_S15_S19_S1B_T6_T7_T9_mT8_S1D_bDpT10_ENKUlT_T0_E_clISt17integral_constantIbLb0EES1Q_IbLb1EEEEDaS1M_S1N_EUlS1M_E_NS1_11comp_targetILNS1_3genE4ELNS1_11target_archE910ELNS1_3gpuE8ELNS1_3repE0EEENS1_30default_config_static_selectorELNS0_4arch9wavefront6targetE0EEEvSZ_,comdat
.Lfunc_end769:
	.size	_ZN7rocprim17ROCPRIM_400000_NS6detail17trampoline_kernelINS0_13select_configILj256ELj13ELNS0_17block_load_methodE3ELS4_3ELS4_3ELNS0_20block_scan_algorithmE0ELj4294967295EEENS1_25partition_config_selectorILNS1_17partition_subalgoE4EjNS0_10empty_typeEbEEZZNS1_14partition_implILS8_4ELb0ES6_15HIP_vector_typeIjLj2EENS0_17counting_iteratorIjlEEPS9_SG_NS0_5tupleIJPjSI_NS0_16reverse_iteratorISI_EEEEENSH_IJSG_SG_SG_EEES9_SI_JZNS1_25segmented_radix_sort_implINS0_14default_configELb0EPKlPlSQ_SR_N2at6native12_GLOBAL__N_18offset_tEEE10hipError_tPvRmT1_PNSt15iterator_traitsISZ_E10value_typeET2_T3_PNS10_IS15_E10value_typeET4_jRbjT5_S1B_jjP12ihipStream_tbEUljE_ZNSN_ISO_Lb0ESQ_SR_SQ_SR_SV_EESW_SX_SY_SZ_S13_S14_S15_S18_S19_jS1A_jS1B_S1B_jjS1D_bEUljE0_EEESW_SX_SY_S15_S19_S1B_T6_T7_T9_mT8_S1D_bDpT10_ENKUlT_T0_E_clISt17integral_constantIbLb0EES1Q_IbLb1EEEEDaS1M_S1N_EUlS1M_E_NS1_11comp_targetILNS1_3genE4ELNS1_11target_archE910ELNS1_3gpuE8ELNS1_3repE0EEENS1_30default_config_static_selectorELNS0_4arch9wavefront6targetE0EEEvSZ_, .Lfunc_end769-_ZN7rocprim17ROCPRIM_400000_NS6detail17trampoline_kernelINS0_13select_configILj256ELj13ELNS0_17block_load_methodE3ELS4_3ELS4_3ELNS0_20block_scan_algorithmE0ELj4294967295EEENS1_25partition_config_selectorILNS1_17partition_subalgoE4EjNS0_10empty_typeEbEEZZNS1_14partition_implILS8_4ELb0ES6_15HIP_vector_typeIjLj2EENS0_17counting_iteratorIjlEEPS9_SG_NS0_5tupleIJPjSI_NS0_16reverse_iteratorISI_EEEEENSH_IJSG_SG_SG_EEES9_SI_JZNS1_25segmented_radix_sort_implINS0_14default_configELb0EPKlPlSQ_SR_N2at6native12_GLOBAL__N_18offset_tEEE10hipError_tPvRmT1_PNSt15iterator_traitsISZ_E10value_typeET2_T3_PNS10_IS15_E10value_typeET4_jRbjT5_S1B_jjP12ihipStream_tbEUljE_ZNSN_ISO_Lb0ESQ_SR_SQ_SR_SV_EESW_SX_SY_SZ_S13_S14_S15_S18_S19_jS1A_jS1B_S1B_jjS1D_bEUljE0_EEESW_SX_SY_S15_S19_S1B_T6_T7_T9_mT8_S1D_bDpT10_ENKUlT_T0_E_clISt17integral_constantIbLb0EES1Q_IbLb1EEEEDaS1M_S1N_EUlS1M_E_NS1_11comp_targetILNS1_3genE4ELNS1_11target_archE910ELNS1_3gpuE8ELNS1_3repE0EEENS1_30default_config_static_selectorELNS0_4arch9wavefront6targetE0EEEvSZ_
                                        ; -- End function
	.section	.AMDGPU.csdata,"",@progbits
; Kernel info:
; codeLenInByte = 0
; NumSgprs: 0
; NumVgprs: 0
; ScratchSize: 0
; MemoryBound: 0
; FloatMode: 240
; IeeeMode: 1
; LDSByteSize: 0 bytes/workgroup (compile time only)
; SGPRBlocks: 0
; VGPRBlocks: 0
; NumSGPRsForWavesPerEU: 1
; NumVGPRsForWavesPerEU: 1
; Occupancy: 16
; WaveLimiterHint : 0
; COMPUTE_PGM_RSRC2:SCRATCH_EN: 0
; COMPUTE_PGM_RSRC2:USER_SGPR: 15
; COMPUTE_PGM_RSRC2:TRAP_HANDLER: 0
; COMPUTE_PGM_RSRC2:TGID_X_EN: 1
; COMPUTE_PGM_RSRC2:TGID_Y_EN: 0
; COMPUTE_PGM_RSRC2:TGID_Z_EN: 0
; COMPUTE_PGM_RSRC2:TIDIG_COMP_CNT: 0
	.section	.text._ZN7rocprim17ROCPRIM_400000_NS6detail17trampoline_kernelINS0_13select_configILj256ELj13ELNS0_17block_load_methodE3ELS4_3ELS4_3ELNS0_20block_scan_algorithmE0ELj4294967295EEENS1_25partition_config_selectorILNS1_17partition_subalgoE4EjNS0_10empty_typeEbEEZZNS1_14partition_implILS8_4ELb0ES6_15HIP_vector_typeIjLj2EENS0_17counting_iteratorIjlEEPS9_SG_NS0_5tupleIJPjSI_NS0_16reverse_iteratorISI_EEEEENSH_IJSG_SG_SG_EEES9_SI_JZNS1_25segmented_radix_sort_implINS0_14default_configELb0EPKlPlSQ_SR_N2at6native12_GLOBAL__N_18offset_tEEE10hipError_tPvRmT1_PNSt15iterator_traitsISZ_E10value_typeET2_T3_PNS10_IS15_E10value_typeET4_jRbjT5_S1B_jjP12ihipStream_tbEUljE_ZNSN_ISO_Lb0ESQ_SR_SQ_SR_SV_EESW_SX_SY_SZ_S13_S14_S15_S18_S19_jS1A_jS1B_S1B_jjS1D_bEUljE0_EEESW_SX_SY_S15_S19_S1B_T6_T7_T9_mT8_S1D_bDpT10_ENKUlT_T0_E_clISt17integral_constantIbLb0EES1Q_IbLb1EEEEDaS1M_S1N_EUlS1M_E_NS1_11comp_targetILNS1_3genE3ELNS1_11target_archE908ELNS1_3gpuE7ELNS1_3repE0EEENS1_30default_config_static_selectorELNS0_4arch9wavefront6targetE0EEEvSZ_,"axG",@progbits,_ZN7rocprim17ROCPRIM_400000_NS6detail17trampoline_kernelINS0_13select_configILj256ELj13ELNS0_17block_load_methodE3ELS4_3ELS4_3ELNS0_20block_scan_algorithmE0ELj4294967295EEENS1_25partition_config_selectorILNS1_17partition_subalgoE4EjNS0_10empty_typeEbEEZZNS1_14partition_implILS8_4ELb0ES6_15HIP_vector_typeIjLj2EENS0_17counting_iteratorIjlEEPS9_SG_NS0_5tupleIJPjSI_NS0_16reverse_iteratorISI_EEEEENSH_IJSG_SG_SG_EEES9_SI_JZNS1_25segmented_radix_sort_implINS0_14default_configELb0EPKlPlSQ_SR_N2at6native12_GLOBAL__N_18offset_tEEE10hipError_tPvRmT1_PNSt15iterator_traitsISZ_E10value_typeET2_T3_PNS10_IS15_E10value_typeET4_jRbjT5_S1B_jjP12ihipStream_tbEUljE_ZNSN_ISO_Lb0ESQ_SR_SQ_SR_SV_EESW_SX_SY_SZ_S13_S14_S15_S18_S19_jS1A_jS1B_S1B_jjS1D_bEUljE0_EEESW_SX_SY_S15_S19_S1B_T6_T7_T9_mT8_S1D_bDpT10_ENKUlT_T0_E_clISt17integral_constantIbLb0EES1Q_IbLb1EEEEDaS1M_S1N_EUlS1M_E_NS1_11comp_targetILNS1_3genE3ELNS1_11target_archE908ELNS1_3gpuE7ELNS1_3repE0EEENS1_30default_config_static_selectorELNS0_4arch9wavefront6targetE0EEEvSZ_,comdat
	.globl	_ZN7rocprim17ROCPRIM_400000_NS6detail17trampoline_kernelINS0_13select_configILj256ELj13ELNS0_17block_load_methodE3ELS4_3ELS4_3ELNS0_20block_scan_algorithmE0ELj4294967295EEENS1_25partition_config_selectorILNS1_17partition_subalgoE4EjNS0_10empty_typeEbEEZZNS1_14partition_implILS8_4ELb0ES6_15HIP_vector_typeIjLj2EENS0_17counting_iteratorIjlEEPS9_SG_NS0_5tupleIJPjSI_NS0_16reverse_iteratorISI_EEEEENSH_IJSG_SG_SG_EEES9_SI_JZNS1_25segmented_radix_sort_implINS0_14default_configELb0EPKlPlSQ_SR_N2at6native12_GLOBAL__N_18offset_tEEE10hipError_tPvRmT1_PNSt15iterator_traitsISZ_E10value_typeET2_T3_PNS10_IS15_E10value_typeET4_jRbjT5_S1B_jjP12ihipStream_tbEUljE_ZNSN_ISO_Lb0ESQ_SR_SQ_SR_SV_EESW_SX_SY_SZ_S13_S14_S15_S18_S19_jS1A_jS1B_S1B_jjS1D_bEUljE0_EEESW_SX_SY_S15_S19_S1B_T6_T7_T9_mT8_S1D_bDpT10_ENKUlT_T0_E_clISt17integral_constantIbLb0EES1Q_IbLb1EEEEDaS1M_S1N_EUlS1M_E_NS1_11comp_targetILNS1_3genE3ELNS1_11target_archE908ELNS1_3gpuE7ELNS1_3repE0EEENS1_30default_config_static_selectorELNS0_4arch9wavefront6targetE0EEEvSZ_ ; -- Begin function _ZN7rocprim17ROCPRIM_400000_NS6detail17trampoline_kernelINS0_13select_configILj256ELj13ELNS0_17block_load_methodE3ELS4_3ELS4_3ELNS0_20block_scan_algorithmE0ELj4294967295EEENS1_25partition_config_selectorILNS1_17partition_subalgoE4EjNS0_10empty_typeEbEEZZNS1_14partition_implILS8_4ELb0ES6_15HIP_vector_typeIjLj2EENS0_17counting_iteratorIjlEEPS9_SG_NS0_5tupleIJPjSI_NS0_16reverse_iteratorISI_EEEEENSH_IJSG_SG_SG_EEES9_SI_JZNS1_25segmented_radix_sort_implINS0_14default_configELb0EPKlPlSQ_SR_N2at6native12_GLOBAL__N_18offset_tEEE10hipError_tPvRmT1_PNSt15iterator_traitsISZ_E10value_typeET2_T3_PNS10_IS15_E10value_typeET4_jRbjT5_S1B_jjP12ihipStream_tbEUljE_ZNSN_ISO_Lb0ESQ_SR_SQ_SR_SV_EESW_SX_SY_SZ_S13_S14_S15_S18_S19_jS1A_jS1B_S1B_jjS1D_bEUljE0_EEESW_SX_SY_S15_S19_S1B_T6_T7_T9_mT8_S1D_bDpT10_ENKUlT_T0_E_clISt17integral_constantIbLb0EES1Q_IbLb1EEEEDaS1M_S1N_EUlS1M_E_NS1_11comp_targetILNS1_3genE3ELNS1_11target_archE908ELNS1_3gpuE7ELNS1_3repE0EEENS1_30default_config_static_selectorELNS0_4arch9wavefront6targetE0EEEvSZ_
	.p2align	8
	.type	_ZN7rocprim17ROCPRIM_400000_NS6detail17trampoline_kernelINS0_13select_configILj256ELj13ELNS0_17block_load_methodE3ELS4_3ELS4_3ELNS0_20block_scan_algorithmE0ELj4294967295EEENS1_25partition_config_selectorILNS1_17partition_subalgoE4EjNS0_10empty_typeEbEEZZNS1_14partition_implILS8_4ELb0ES6_15HIP_vector_typeIjLj2EENS0_17counting_iteratorIjlEEPS9_SG_NS0_5tupleIJPjSI_NS0_16reverse_iteratorISI_EEEEENSH_IJSG_SG_SG_EEES9_SI_JZNS1_25segmented_radix_sort_implINS0_14default_configELb0EPKlPlSQ_SR_N2at6native12_GLOBAL__N_18offset_tEEE10hipError_tPvRmT1_PNSt15iterator_traitsISZ_E10value_typeET2_T3_PNS10_IS15_E10value_typeET4_jRbjT5_S1B_jjP12ihipStream_tbEUljE_ZNSN_ISO_Lb0ESQ_SR_SQ_SR_SV_EESW_SX_SY_SZ_S13_S14_S15_S18_S19_jS1A_jS1B_S1B_jjS1D_bEUljE0_EEESW_SX_SY_S15_S19_S1B_T6_T7_T9_mT8_S1D_bDpT10_ENKUlT_T0_E_clISt17integral_constantIbLb0EES1Q_IbLb1EEEEDaS1M_S1N_EUlS1M_E_NS1_11comp_targetILNS1_3genE3ELNS1_11target_archE908ELNS1_3gpuE7ELNS1_3repE0EEENS1_30default_config_static_selectorELNS0_4arch9wavefront6targetE0EEEvSZ_,@function
_ZN7rocprim17ROCPRIM_400000_NS6detail17trampoline_kernelINS0_13select_configILj256ELj13ELNS0_17block_load_methodE3ELS4_3ELS4_3ELNS0_20block_scan_algorithmE0ELj4294967295EEENS1_25partition_config_selectorILNS1_17partition_subalgoE4EjNS0_10empty_typeEbEEZZNS1_14partition_implILS8_4ELb0ES6_15HIP_vector_typeIjLj2EENS0_17counting_iteratorIjlEEPS9_SG_NS0_5tupleIJPjSI_NS0_16reverse_iteratorISI_EEEEENSH_IJSG_SG_SG_EEES9_SI_JZNS1_25segmented_radix_sort_implINS0_14default_configELb0EPKlPlSQ_SR_N2at6native12_GLOBAL__N_18offset_tEEE10hipError_tPvRmT1_PNSt15iterator_traitsISZ_E10value_typeET2_T3_PNS10_IS15_E10value_typeET4_jRbjT5_S1B_jjP12ihipStream_tbEUljE_ZNSN_ISO_Lb0ESQ_SR_SQ_SR_SV_EESW_SX_SY_SZ_S13_S14_S15_S18_S19_jS1A_jS1B_S1B_jjS1D_bEUljE0_EEESW_SX_SY_S15_S19_S1B_T6_T7_T9_mT8_S1D_bDpT10_ENKUlT_T0_E_clISt17integral_constantIbLb0EES1Q_IbLb1EEEEDaS1M_S1N_EUlS1M_E_NS1_11comp_targetILNS1_3genE3ELNS1_11target_archE908ELNS1_3gpuE7ELNS1_3repE0EEENS1_30default_config_static_selectorELNS0_4arch9wavefront6targetE0EEEvSZ_: ; @_ZN7rocprim17ROCPRIM_400000_NS6detail17trampoline_kernelINS0_13select_configILj256ELj13ELNS0_17block_load_methodE3ELS4_3ELS4_3ELNS0_20block_scan_algorithmE0ELj4294967295EEENS1_25partition_config_selectorILNS1_17partition_subalgoE4EjNS0_10empty_typeEbEEZZNS1_14partition_implILS8_4ELb0ES6_15HIP_vector_typeIjLj2EENS0_17counting_iteratorIjlEEPS9_SG_NS0_5tupleIJPjSI_NS0_16reverse_iteratorISI_EEEEENSH_IJSG_SG_SG_EEES9_SI_JZNS1_25segmented_radix_sort_implINS0_14default_configELb0EPKlPlSQ_SR_N2at6native12_GLOBAL__N_18offset_tEEE10hipError_tPvRmT1_PNSt15iterator_traitsISZ_E10value_typeET2_T3_PNS10_IS15_E10value_typeET4_jRbjT5_S1B_jjP12ihipStream_tbEUljE_ZNSN_ISO_Lb0ESQ_SR_SQ_SR_SV_EESW_SX_SY_SZ_S13_S14_S15_S18_S19_jS1A_jS1B_S1B_jjS1D_bEUljE0_EEESW_SX_SY_S15_S19_S1B_T6_T7_T9_mT8_S1D_bDpT10_ENKUlT_T0_E_clISt17integral_constantIbLb0EES1Q_IbLb1EEEEDaS1M_S1N_EUlS1M_E_NS1_11comp_targetILNS1_3genE3ELNS1_11target_archE908ELNS1_3gpuE7ELNS1_3repE0EEENS1_30default_config_static_selectorELNS0_4arch9wavefront6targetE0EEEvSZ_
; %bb.0:
	.section	.rodata,"a",@progbits
	.p2align	6, 0x0
	.amdhsa_kernel _ZN7rocprim17ROCPRIM_400000_NS6detail17trampoline_kernelINS0_13select_configILj256ELj13ELNS0_17block_load_methodE3ELS4_3ELS4_3ELNS0_20block_scan_algorithmE0ELj4294967295EEENS1_25partition_config_selectorILNS1_17partition_subalgoE4EjNS0_10empty_typeEbEEZZNS1_14partition_implILS8_4ELb0ES6_15HIP_vector_typeIjLj2EENS0_17counting_iteratorIjlEEPS9_SG_NS0_5tupleIJPjSI_NS0_16reverse_iteratorISI_EEEEENSH_IJSG_SG_SG_EEES9_SI_JZNS1_25segmented_radix_sort_implINS0_14default_configELb0EPKlPlSQ_SR_N2at6native12_GLOBAL__N_18offset_tEEE10hipError_tPvRmT1_PNSt15iterator_traitsISZ_E10value_typeET2_T3_PNS10_IS15_E10value_typeET4_jRbjT5_S1B_jjP12ihipStream_tbEUljE_ZNSN_ISO_Lb0ESQ_SR_SQ_SR_SV_EESW_SX_SY_SZ_S13_S14_S15_S18_S19_jS1A_jS1B_S1B_jjS1D_bEUljE0_EEESW_SX_SY_S15_S19_S1B_T6_T7_T9_mT8_S1D_bDpT10_ENKUlT_T0_E_clISt17integral_constantIbLb0EES1Q_IbLb1EEEEDaS1M_S1N_EUlS1M_E_NS1_11comp_targetILNS1_3genE3ELNS1_11target_archE908ELNS1_3gpuE7ELNS1_3repE0EEENS1_30default_config_static_selectorELNS0_4arch9wavefront6targetE0EEEvSZ_
		.amdhsa_group_segment_fixed_size 0
		.amdhsa_private_segment_fixed_size 0
		.amdhsa_kernarg_size 184
		.amdhsa_user_sgpr_count 15
		.amdhsa_user_sgpr_dispatch_ptr 0
		.amdhsa_user_sgpr_queue_ptr 0
		.amdhsa_user_sgpr_kernarg_segment_ptr 1
		.amdhsa_user_sgpr_dispatch_id 0
		.amdhsa_user_sgpr_private_segment_size 0
		.amdhsa_wavefront_size32 1
		.amdhsa_uses_dynamic_stack 0
		.amdhsa_enable_private_segment 0
		.amdhsa_system_sgpr_workgroup_id_x 1
		.amdhsa_system_sgpr_workgroup_id_y 0
		.amdhsa_system_sgpr_workgroup_id_z 0
		.amdhsa_system_sgpr_workgroup_info 0
		.amdhsa_system_vgpr_workitem_id 0
		.amdhsa_next_free_vgpr 1
		.amdhsa_next_free_sgpr 1
		.amdhsa_reserve_vcc 0
		.amdhsa_float_round_mode_32 0
		.amdhsa_float_round_mode_16_64 0
		.amdhsa_float_denorm_mode_32 3
		.amdhsa_float_denorm_mode_16_64 3
		.amdhsa_dx10_clamp 1
		.amdhsa_ieee_mode 1
		.amdhsa_fp16_overflow 0
		.amdhsa_workgroup_processor_mode 1
		.amdhsa_memory_ordered 1
		.amdhsa_forward_progress 0
		.amdhsa_shared_vgpr_count 0
		.amdhsa_exception_fp_ieee_invalid_op 0
		.amdhsa_exception_fp_denorm_src 0
		.amdhsa_exception_fp_ieee_div_zero 0
		.amdhsa_exception_fp_ieee_overflow 0
		.amdhsa_exception_fp_ieee_underflow 0
		.amdhsa_exception_fp_ieee_inexact 0
		.amdhsa_exception_int_div_zero 0
	.end_amdhsa_kernel
	.section	.text._ZN7rocprim17ROCPRIM_400000_NS6detail17trampoline_kernelINS0_13select_configILj256ELj13ELNS0_17block_load_methodE3ELS4_3ELS4_3ELNS0_20block_scan_algorithmE0ELj4294967295EEENS1_25partition_config_selectorILNS1_17partition_subalgoE4EjNS0_10empty_typeEbEEZZNS1_14partition_implILS8_4ELb0ES6_15HIP_vector_typeIjLj2EENS0_17counting_iteratorIjlEEPS9_SG_NS0_5tupleIJPjSI_NS0_16reverse_iteratorISI_EEEEENSH_IJSG_SG_SG_EEES9_SI_JZNS1_25segmented_radix_sort_implINS0_14default_configELb0EPKlPlSQ_SR_N2at6native12_GLOBAL__N_18offset_tEEE10hipError_tPvRmT1_PNSt15iterator_traitsISZ_E10value_typeET2_T3_PNS10_IS15_E10value_typeET4_jRbjT5_S1B_jjP12ihipStream_tbEUljE_ZNSN_ISO_Lb0ESQ_SR_SQ_SR_SV_EESW_SX_SY_SZ_S13_S14_S15_S18_S19_jS1A_jS1B_S1B_jjS1D_bEUljE0_EEESW_SX_SY_S15_S19_S1B_T6_T7_T9_mT8_S1D_bDpT10_ENKUlT_T0_E_clISt17integral_constantIbLb0EES1Q_IbLb1EEEEDaS1M_S1N_EUlS1M_E_NS1_11comp_targetILNS1_3genE3ELNS1_11target_archE908ELNS1_3gpuE7ELNS1_3repE0EEENS1_30default_config_static_selectorELNS0_4arch9wavefront6targetE0EEEvSZ_,"axG",@progbits,_ZN7rocprim17ROCPRIM_400000_NS6detail17trampoline_kernelINS0_13select_configILj256ELj13ELNS0_17block_load_methodE3ELS4_3ELS4_3ELNS0_20block_scan_algorithmE0ELj4294967295EEENS1_25partition_config_selectorILNS1_17partition_subalgoE4EjNS0_10empty_typeEbEEZZNS1_14partition_implILS8_4ELb0ES6_15HIP_vector_typeIjLj2EENS0_17counting_iteratorIjlEEPS9_SG_NS0_5tupleIJPjSI_NS0_16reverse_iteratorISI_EEEEENSH_IJSG_SG_SG_EEES9_SI_JZNS1_25segmented_radix_sort_implINS0_14default_configELb0EPKlPlSQ_SR_N2at6native12_GLOBAL__N_18offset_tEEE10hipError_tPvRmT1_PNSt15iterator_traitsISZ_E10value_typeET2_T3_PNS10_IS15_E10value_typeET4_jRbjT5_S1B_jjP12ihipStream_tbEUljE_ZNSN_ISO_Lb0ESQ_SR_SQ_SR_SV_EESW_SX_SY_SZ_S13_S14_S15_S18_S19_jS1A_jS1B_S1B_jjS1D_bEUljE0_EEESW_SX_SY_S15_S19_S1B_T6_T7_T9_mT8_S1D_bDpT10_ENKUlT_T0_E_clISt17integral_constantIbLb0EES1Q_IbLb1EEEEDaS1M_S1N_EUlS1M_E_NS1_11comp_targetILNS1_3genE3ELNS1_11target_archE908ELNS1_3gpuE7ELNS1_3repE0EEENS1_30default_config_static_selectorELNS0_4arch9wavefront6targetE0EEEvSZ_,comdat
.Lfunc_end770:
	.size	_ZN7rocprim17ROCPRIM_400000_NS6detail17trampoline_kernelINS0_13select_configILj256ELj13ELNS0_17block_load_methodE3ELS4_3ELS4_3ELNS0_20block_scan_algorithmE0ELj4294967295EEENS1_25partition_config_selectorILNS1_17partition_subalgoE4EjNS0_10empty_typeEbEEZZNS1_14partition_implILS8_4ELb0ES6_15HIP_vector_typeIjLj2EENS0_17counting_iteratorIjlEEPS9_SG_NS0_5tupleIJPjSI_NS0_16reverse_iteratorISI_EEEEENSH_IJSG_SG_SG_EEES9_SI_JZNS1_25segmented_radix_sort_implINS0_14default_configELb0EPKlPlSQ_SR_N2at6native12_GLOBAL__N_18offset_tEEE10hipError_tPvRmT1_PNSt15iterator_traitsISZ_E10value_typeET2_T3_PNS10_IS15_E10value_typeET4_jRbjT5_S1B_jjP12ihipStream_tbEUljE_ZNSN_ISO_Lb0ESQ_SR_SQ_SR_SV_EESW_SX_SY_SZ_S13_S14_S15_S18_S19_jS1A_jS1B_S1B_jjS1D_bEUljE0_EEESW_SX_SY_S15_S19_S1B_T6_T7_T9_mT8_S1D_bDpT10_ENKUlT_T0_E_clISt17integral_constantIbLb0EES1Q_IbLb1EEEEDaS1M_S1N_EUlS1M_E_NS1_11comp_targetILNS1_3genE3ELNS1_11target_archE908ELNS1_3gpuE7ELNS1_3repE0EEENS1_30default_config_static_selectorELNS0_4arch9wavefront6targetE0EEEvSZ_, .Lfunc_end770-_ZN7rocprim17ROCPRIM_400000_NS6detail17trampoline_kernelINS0_13select_configILj256ELj13ELNS0_17block_load_methodE3ELS4_3ELS4_3ELNS0_20block_scan_algorithmE0ELj4294967295EEENS1_25partition_config_selectorILNS1_17partition_subalgoE4EjNS0_10empty_typeEbEEZZNS1_14partition_implILS8_4ELb0ES6_15HIP_vector_typeIjLj2EENS0_17counting_iteratorIjlEEPS9_SG_NS0_5tupleIJPjSI_NS0_16reverse_iteratorISI_EEEEENSH_IJSG_SG_SG_EEES9_SI_JZNS1_25segmented_radix_sort_implINS0_14default_configELb0EPKlPlSQ_SR_N2at6native12_GLOBAL__N_18offset_tEEE10hipError_tPvRmT1_PNSt15iterator_traitsISZ_E10value_typeET2_T3_PNS10_IS15_E10value_typeET4_jRbjT5_S1B_jjP12ihipStream_tbEUljE_ZNSN_ISO_Lb0ESQ_SR_SQ_SR_SV_EESW_SX_SY_SZ_S13_S14_S15_S18_S19_jS1A_jS1B_S1B_jjS1D_bEUljE0_EEESW_SX_SY_S15_S19_S1B_T6_T7_T9_mT8_S1D_bDpT10_ENKUlT_T0_E_clISt17integral_constantIbLb0EES1Q_IbLb1EEEEDaS1M_S1N_EUlS1M_E_NS1_11comp_targetILNS1_3genE3ELNS1_11target_archE908ELNS1_3gpuE7ELNS1_3repE0EEENS1_30default_config_static_selectorELNS0_4arch9wavefront6targetE0EEEvSZ_
                                        ; -- End function
	.section	.AMDGPU.csdata,"",@progbits
; Kernel info:
; codeLenInByte = 0
; NumSgprs: 0
; NumVgprs: 0
; ScratchSize: 0
; MemoryBound: 0
; FloatMode: 240
; IeeeMode: 1
; LDSByteSize: 0 bytes/workgroup (compile time only)
; SGPRBlocks: 0
; VGPRBlocks: 0
; NumSGPRsForWavesPerEU: 1
; NumVGPRsForWavesPerEU: 1
; Occupancy: 16
; WaveLimiterHint : 0
; COMPUTE_PGM_RSRC2:SCRATCH_EN: 0
; COMPUTE_PGM_RSRC2:USER_SGPR: 15
; COMPUTE_PGM_RSRC2:TRAP_HANDLER: 0
; COMPUTE_PGM_RSRC2:TGID_X_EN: 1
; COMPUTE_PGM_RSRC2:TGID_Y_EN: 0
; COMPUTE_PGM_RSRC2:TGID_Z_EN: 0
; COMPUTE_PGM_RSRC2:TIDIG_COMP_CNT: 0
	.section	.text._ZN7rocprim17ROCPRIM_400000_NS6detail17trampoline_kernelINS0_13select_configILj256ELj13ELNS0_17block_load_methodE3ELS4_3ELS4_3ELNS0_20block_scan_algorithmE0ELj4294967295EEENS1_25partition_config_selectorILNS1_17partition_subalgoE4EjNS0_10empty_typeEbEEZZNS1_14partition_implILS8_4ELb0ES6_15HIP_vector_typeIjLj2EENS0_17counting_iteratorIjlEEPS9_SG_NS0_5tupleIJPjSI_NS0_16reverse_iteratorISI_EEEEENSH_IJSG_SG_SG_EEES9_SI_JZNS1_25segmented_radix_sort_implINS0_14default_configELb0EPKlPlSQ_SR_N2at6native12_GLOBAL__N_18offset_tEEE10hipError_tPvRmT1_PNSt15iterator_traitsISZ_E10value_typeET2_T3_PNS10_IS15_E10value_typeET4_jRbjT5_S1B_jjP12ihipStream_tbEUljE_ZNSN_ISO_Lb0ESQ_SR_SQ_SR_SV_EESW_SX_SY_SZ_S13_S14_S15_S18_S19_jS1A_jS1B_S1B_jjS1D_bEUljE0_EEESW_SX_SY_S15_S19_S1B_T6_T7_T9_mT8_S1D_bDpT10_ENKUlT_T0_E_clISt17integral_constantIbLb0EES1Q_IbLb1EEEEDaS1M_S1N_EUlS1M_E_NS1_11comp_targetILNS1_3genE2ELNS1_11target_archE906ELNS1_3gpuE6ELNS1_3repE0EEENS1_30default_config_static_selectorELNS0_4arch9wavefront6targetE0EEEvSZ_,"axG",@progbits,_ZN7rocprim17ROCPRIM_400000_NS6detail17trampoline_kernelINS0_13select_configILj256ELj13ELNS0_17block_load_methodE3ELS4_3ELS4_3ELNS0_20block_scan_algorithmE0ELj4294967295EEENS1_25partition_config_selectorILNS1_17partition_subalgoE4EjNS0_10empty_typeEbEEZZNS1_14partition_implILS8_4ELb0ES6_15HIP_vector_typeIjLj2EENS0_17counting_iteratorIjlEEPS9_SG_NS0_5tupleIJPjSI_NS0_16reverse_iteratorISI_EEEEENSH_IJSG_SG_SG_EEES9_SI_JZNS1_25segmented_radix_sort_implINS0_14default_configELb0EPKlPlSQ_SR_N2at6native12_GLOBAL__N_18offset_tEEE10hipError_tPvRmT1_PNSt15iterator_traitsISZ_E10value_typeET2_T3_PNS10_IS15_E10value_typeET4_jRbjT5_S1B_jjP12ihipStream_tbEUljE_ZNSN_ISO_Lb0ESQ_SR_SQ_SR_SV_EESW_SX_SY_SZ_S13_S14_S15_S18_S19_jS1A_jS1B_S1B_jjS1D_bEUljE0_EEESW_SX_SY_S15_S19_S1B_T6_T7_T9_mT8_S1D_bDpT10_ENKUlT_T0_E_clISt17integral_constantIbLb0EES1Q_IbLb1EEEEDaS1M_S1N_EUlS1M_E_NS1_11comp_targetILNS1_3genE2ELNS1_11target_archE906ELNS1_3gpuE6ELNS1_3repE0EEENS1_30default_config_static_selectorELNS0_4arch9wavefront6targetE0EEEvSZ_,comdat
	.globl	_ZN7rocprim17ROCPRIM_400000_NS6detail17trampoline_kernelINS0_13select_configILj256ELj13ELNS0_17block_load_methodE3ELS4_3ELS4_3ELNS0_20block_scan_algorithmE0ELj4294967295EEENS1_25partition_config_selectorILNS1_17partition_subalgoE4EjNS0_10empty_typeEbEEZZNS1_14partition_implILS8_4ELb0ES6_15HIP_vector_typeIjLj2EENS0_17counting_iteratorIjlEEPS9_SG_NS0_5tupleIJPjSI_NS0_16reverse_iteratorISI_EEEEENSH_IJSG_SG_SG_EEES9_SI_JZNS1_25segmented_radix_sort_implINS0_14default_configELb0EPKlPlSQ_SR_N2at6native12_GLOBAL__N_18offset_tEEE10hipError_tPvRmT1_PNSt15iterator_traitsISZ_E10value_typeET2_T3_PNS10_IS15_E10value_typeET4_jRbjT5_S1B_jjP12ihipStream_tbEUljE_ZNSN_ISO_Lb0ESQ_SR_SQ_SR_SV_EESW_SX_SY_SZ_S13_S14_S15_S18_S19_jS1A_jS1B_S1B_jjS1D_bEUljE0_EEESW_SX_SY_S15_S19_S1B_T6_T7_T9_mT8_S1D_bDpT10_ENKUlT_T0_E_clISt17integral_constantIbLb0EES1Q_IbLb1EEEEDaS1M_S1N_EUlS1M_E_NS1_11comp_targetILNS1_3genE2ELNS1_11target_archE906ELNS1_3gpuE6ELNS1_3repE0EEENS1_30default_config_static_selectorELNS0_4arch9wavefront6targetE0EEEvSZ_ ; -- Begin function _ZN7rocprim17ROCPRIM_400000_NS6detail17trampoline_kernelINS0_13select_configILj256ELj13ELNS0_17block_load_methodE3ELS4_3ELS4_3ELNS0_20block_scan_algorithmE0ELj4294967295EEENS1_25partition_config_selectorILNS1_17partition_subalgoE4EjNS0_10empty_typeEbEEZZNS1_14partition_implILS8_4ELb0ES6_15HIP_vector_typeIjLj2EENS0_17counting_iteratorIjlEEPS9_SG_NS0_5tupleIJPjSI_NS0_16reverse_iteratorISI_EEEEENSH_IJSG_SG_SG_EEES9_SI_JZNS1_25segmented_radix_sort_implINS0_14default_configELb0EPKlPlSQ_SR_N2at6native12_GLOBAL__N_18offset_tEEE10hipError_tPvRmT1_PNSt15iterator_traitsISZ_E10value_typeET2_T3_PNS10_IS15_E10value_typeET4_jRbjT5_S1B_jjP12ihipStream_tbEUljE_ZNSN_ISO_Lb0ESQ_SR_SQ_SR_SV_EESW_SX_SY_SZ_S13_S14_S15_S18_S19_jS1A_jS1B_S1B_jjS1D_bEUljE0_EEESW_SX_SY_S15_S19_S1B_T6_T7_T9_mT8_S1D_bDpT10_ENKUlT_T0_E_clISt17integral_constantIbLb0EES1Q_IbLb1EEEEDaS1M_S1N_EUlS1M_E_NS1_11comp_targetILNS1_3genE2ELNS1_11target_archE906ELNS1_3gpuE6ELNS1_3repE0EEENS1_30default_config_static_selectorELNS0_4arch9wavefront6targetE0EEEvSZ_
	.p2align	8
	.type	_ZN7rocprim17ROCPRIM_400000_NS6detail17trampoline_kernelINS0_13select_configILj256ELj13ELNS0_17block_load_methodE3ELS4_3ELS4_3ELNS0_20block_scan_algorithmE0ELj4294967295EEENS1_25partition_config_selectorILNS1_17partition_subalgoE4EjNS0_10empty_typeEbEEZZNS1_14partition_implILS8_4ELb0ES6_15HIP_vector_typeIjLj2EENS0_17counting_iteratorIjlEEPS9_SG_NS0_5tupleIJPjSI_NS0_16reverse_iteratorISI_EEEEENSH_IJSG_SG_SG_EEES9_SI_JZNS1_25segmented_radix_sort_implINS0_14default_configELb0EPKlPlSQ_SR_N2at6native12_GLOBAL__N_18offset_tEEE10hipError_tPvRmT1_PNSt15iterator_traitsISZ_E10value_typeET2_T3_PNS10_IS15_E10value_typeET4_jRbjT5_S1B_jjP12ihipStream_tbEUljE_ZNSN_ISO_Lb0ESQ_SR_SQ_SR_SV_EESW_SX_SY_SZ_S13_S14_S15_S18_S19_jS1A_jS1B_S1B_jjS1D_bEUljE0_EEESW_SX_SY_S15_S19_S1B_T6_T7_T9_mT8_S1D_bDpT10_ENKUlT_T0_E_clISt17integral_constantIbLb0EES1Q_IbLb1EEEEDaS1M_S1N_EUlS1M_E_NS1_11comp_targetILNS1_3genE2ELNS1_11target_archE906ELNS1_3gpuE6ELNS1_3repE0EEENS1_30default_config_static_selectorELNS0_4arch9wavefront6targetE0EEEvSZ_,@function
_ZN7rocprim17ROCPRIM_400000_NS6detail17trampoline_kernelINS0_13select_configILj256ELj13ELNS0_17block_load_methodE3ELS4_3ELS4_3ELNS0_20block_scan_algorithmE0ELj4294967295EEENS1_25partition_config_selectorILNS1_17partition_subalgoE4EjNS0_10empty_typeEbEEZZNS1_14partition_implILS8_4ELb0ES6_15HIP_vector_typeIjLj2EENS0_17counting_iteratorIjlEEPS9_SG_NS0_5tupleIJPjSI_NS0_16reverse_iteratorISI_EEEEENSH_IJSG_SG_SG_EEES9_SI_JZNS1_25segmented_radix_sort_implINS0_14default_configELb0EPKlPlSQ_SR_N2at6native12_GLOBAL__N_18offset_tEEE10hipError_tPvRmT1_PNSt15iterator_traitsISZ_E10value_typeET2_T3_PNS10_IS15_E10value_typeET4_jRbjT5_S1B_jjP12ihipStream_tbEUljE_ZNSN_ISO_Lb0ESQ_SR_SQ_SR_SV_EESW_SX_SY_SZ_S13_S14_S15_S18_S19_jS1A_jS1B_S1B_jjS1D_bEUljE0_EEESW_SX_SY_S15_S19_S1B_T6_T7_T9_mT8_S1D_bDpT10_ENKUlT_T0_E_clISt17integral_constantIbLb0EES1Q_IbLb1EEEEDaS1M_S1N_EUlS1M_E_NS1_11comp_targetILNS1_3genE2ELNS1_11target_archE906ELNS1_3gpuE6ELNS1_3repE0EEENS1_30default_config_static_selectorELNS0_4arch9wavefront6targetE0EEEvSZ_: ; @_ZN7rocprim17ROCPRIM_400000_NS6detail17trampoline_kernelINS0_13select_configILj256ELj13ELNS0_17block_load_methodE3ELS4_3ELS4_3ELNS0_20block_scan_algorithmE0ELj4294967295EEENS1_25partition_config_selectorILNS1_17partition_subalgoE4EjNS0_10empty_typeEbEEZZNS1_14partition_implILS8_4ELb0ES6_15HIP_vector_typeIjLj2EENS0_17counting_iteratorIjlEEPS9_SG_NS0_5tupleIJPjSI_NS0_16reverse_iteratorISI_EEEEENSH_IJSG_SG_SG_EEES9_SI_JZNS1_25segmented_radix_sort_implINS0_14default_configELb0EPKlPlSQ_SR_N2at6native12_GLOBAL__N_18offset_tEEE10hipError_tPvRmT1_PNSt15iterator_traitsISZ_E10value_typeET2_T3_PNS10_IS15_E10value_typeET4_jRbjT5_S1B_jjP12ihipStream_tbEUljE_ZNSN_ISO_Lb0ESQ_SR_SQ_SR_SV_EESW_SX_SY_SZ_S13_S14_S15_S18_S19_jS1A_jS1B_S1B_jjS1D_bEUljE0_EEESW_SX_SY_S15_S19_S1B_T6_T7_T9_mT8_S1D_bDpT10_ENKUlT_T0_E_clISt17integral_constantIbLb0EES1Q_IbLb1EEEEDaS1M_S1N_EUlS1M_E_NS1_11comp_targetILNS1_3genE2ELNS1_11target_archE906ELNS1_3gpuE6ELNS1_3repE0EEENS1_30default_config_static_selectorELNS0_4arch9wavefront6targetE0EEEvSZ_
; %bb.0:
	.section	.rodata,"a",@progbits
	.p2align	6, 0x0
	.amdhsa_kernel _ZN7rocprim17ROCPRIM_400000_NS6detail17trampoline_kernelINS0_13select_configILj256ELj13ELNS0_17block_load_methodE3ELS4_3ELS4_3ELNS0_20block_scan_algorithmE0ELj4294967295EEENS1_25partition_config_selectorILNS1_17partition_subalgoE4EjNS0_10empty_typeEbEEZZNS1_14partition_implILS8_4ELb0ES6_15HIP_vector_typeIjLj2EENS0_17counting_iteratorIjlEEPS9_SG_NS0_5tupleIJPjSI_NS0_16reverse_iteratorISI_EEEEENSH_IJSG_SG_SG_EEES9_SI_JZNS1_25segmented_radix_sort_implINS0_14default_configELb0EPKlPlSQ_SR_N2at6native12_GLOBAL__N_18offset_tEEE10hipError_tPvRmT1_PNSt15iterator_traitsISZ_E10value_typeET2_T3_PNS10_IS15_E10value_typeET4_jRbjT5_S1B_jjP12ihipStream_tbEUljE_ZNSN_ISO_Lb0ESQ_SR_SQ_SR_SV_EESW_SX_SY_SZ_S13_S14_S15_S18_S19_jS1A_jS1B_S1B_jjS1D_bEUljE0_EEESW_SX_SY_S15_S19_S1B_T6_T7_T9_mT8_S1D_bDpT10_ENKUlT_T0_E_clISt17integral_constantIbLb0EES1Q_IbLb1EEEEDaS1M_S1N_EUlS1M_E_NS1_11comp_targetILNS1_3genE2ELNS1_11target_archE906ELNS1_3gpuE6ELNS1_3repE0EEENS1_30default_config_static_selectorELNS0_4arch9wavefront6targetE0EEEvSZ_
		.amdhsa_group_segment_fixed_size 0
		.amdhsa_private_segment_fixed_size 0
		.amdhsa_kernarg_size 184
		.amdhsa_user_sgpr_count 15
		.amdhsa_user_sgpr_dispatch_ptr 0
		.amdhsa_user_sgpr_queue_ptr 0
		.amdhsa_user_sgpr_kernarg_segment_ptr 1
		.amdhsa_user_sgpr_dispatch_id 0
		.amdhsa_user_sgpr_private_segment_size 0
		.amdhsa_wavefront_size32 1
		.amdhsa_uses_dynamic_stack 0
		.amdhsa_enable_private_segment 0
		.amdhsa_system_sgpr_workgroup_id_x 1
		.amdhsa_system_sgpr_workgroup_id_y 0
		.amdhsa_system_sgpr_workgroup_id_z 0
		.amdhsa_system_sgpr_workgroup_info 0
		.amdhsa_system_vgpr_workitem_id 0
		.amdhsa_next_free_vgpr 1
		.amdhsa_next_free_sgpr 1
		.amdhsa_reserve_vcc 0
		.amdhsa_float_round_mode_32 0
		.amdhsa_float_round_mode_16_64 0
		.amdhsa_float_denorm_mode_32 3
		.amdhsa_float_denorm_mode_16_64 3
		.amdhsa_dx10_clamp 1
		.amdhsa_ieee_mode 1
		.amdhsa_fp16_overflow 0
		.amdhsa_workgroup_processor_mode 1
		.amdhsa_memory_ordered 1
		.amdhsa_forward_progress 0
		.amdhsa_shared_vgpr_count 0
		.amdhsa_exception_fp_ieee_invalid_op 0
		.amdhsa_exception_fp_denorm_src 0
		.amdhsa_exception_fp_ieee_div_zero 0
		.amdhsa_exception_fp_ieee_overflow 0
		.amdhsa_exception_fp_ieee_underflow 0
		.amdhsa_exception_fp_ieee_inexact 0
		.amdhsa_exception_int_div_zero 0
	.end_amdhsa_kernel
	.section	.text._ZN7rocprim17ROCPRIM_400000_NS6detail17trampoline_kernelINS0_13select_configILj256ELj13ELNS0_17block_load_methodE3ELS4_3ELS4_3ELNS0_20block_scan_algorithmE0ELj4294967295EEENS1_25partition_config_selectorILNS1_17partition_subalgoE4EjNS0_10empty_typeEbEEZZNS1_14partition_implILS8_4ELb0ES6_15HIP_vector_typeIjLj2EENS0_17counting_iteratorIjlEEPS9_SG_NS0_5tupleIJPjSI_NS0_16reverse_iteratorISI_EEEEENSH_IJSG_SG_SG_EEES9_SI_JZNS1_25segmented_radix_sort_implINS0_14default_configELb0EPKlPlSQ_SR_N2at6native12_GLOBAL__N_18offset_tEEE10hipError_tPvRmT1_PNSt15iterator_traitsISZ_E10value_typeET2_T3_PNS10_IS15_E10value_typeET4_jRbjT5_S1B_jjP12ihipStream_tbEUljE_ZNSN_ISO_Lb0ESQ_SR_SQ_SR_SV_EESW_SX_SY_SZ_S13_S14_S15_S18_S19_jS1A_jS1B_S1B_jjS1D_bEUljE0_EEESW_SX_SY_S15_S19_S1B_T6_T7_T9_mT8_S1D_bDpT10_ENKUlT_T0_E_clISt17integral_constantIbLb0EES1Q_IbLb1EEEEDaS1M_S1N_EUlS1M_E_NS1_11comp_targetILNS1_3genE2ELNS1_11target_archE906ELNS1_3gpuE6ELNS1_3repE0EEENS1_30default_config_static_selectorELNS0_4arch9wavefront6targetE0EEEvSZ_,"axG",@progbits,_ZN7rocprim17ROCPRIM_400000_NS6detail17trampoline_kernelINS0_13select_configILj256ELj13ELNS0_17block_load_methodE3ELS4_3ELS4_3ELNS0_20block_scan_algorithmE0ELj4294967295EEENS1_25partition_config_selectorILNS1_17partition_subalgoE4EjNS0_10empty_typeEbEEZZNS1_14partition_implILS8_4ELb0ES6_15HIP_vector_typeIjLj2EENS0_17counting_iteratorIjlEEPS9_SG_NS0_5tupleIJPjSI_NS0_16reverse_iteratorISI_EEEEENSH_IJSG_SG_SG_EEES9_SI_JZNS1_25segmented_radix_sort_implINS0_14default_configELb0EPKlPlSQ_SR_N2at6native12_GLOBAL__N_18offset_tEEE10hipError_tPvRmT1_PNSt15iterator_traitsISZ_E10value_typeET2_T3_PNS10_IS15_E10value_typeET4_jRbjT5_S1B_jjP12ihipStream_tbEUljE_ZNSN_ISO_Lb0ESQ_SR_SQ_SR_SV_EESW_SX_SY_SZ_S13_S14_S15_S18_S19_jS1A_jS1B_S1B_jjS1D_bEUljE0_EEESW_SX_SY_S15_S19_S1B_T6_T7_T9_mT8_S1D_bDpT10_ENKUlT_T0_E_clISt17integral_constantIbLb0EES1Q_IbLb1EEEEDaS1M_S1N_EUlS1M_E_NS1_11comp_targetILNS1_3genE2ELNS1_11target_archE906ELNS1_3gpuE6ELNS1_3repE0EEENS1_30default_config_static_selectorELNS0_4arch9wavefront6targetE0EEEvSZ_,comdat
.Lfunc_end771:
	.size	_ZN7rocprim17ROCPRIM_400000_NS6detail17trampoline_kernelINS0_13select_configILj256ELj13ELNS0_17block_load_methodE3ELS4_3ELS4_3ELNS0_20block_scan_algorithmE0ELj4294967295EEENS1_25partition_config_selectorILNS1_17partition_subalgoE4EjNS0_10empty_typeEbEEZZNS1_14partition_implILS8_4ELb0ES6_15HIP_vector_typeIjLj2EENS0_17counting_iteratorIjlEEPS9_SG_NS0_5tupleIJPjSI_NS0_16reverse_iteratorISI_EEEEENSH_IJSG_SG_SG_EEES9_SI_JZNS1_25segmented_radix_sort_implINS0_14default_configELb0EPKlPlSQ_SR_N2at6native12_GLOBAL__N_18offset_tEEE10hipError_tPvRmT1_PNSt15iterator_traitsISZ_E10value_typeET2_T3_PNS10_IS15_E10value_typeET4_jRbjT5_S1B_jjP12ihipStream_tbEUljE_ZNSN_ISO_Lb0ESQ_SR_SQ_SR_SV_EESW_SX_SY_SZ_S13_S14_S15_S18_S19_jS1A_jS1B_S1B_jjS1D_bEUljE0_EEESW_SX_SY_S15_S19_S1B_T6_T7_T9_mT8_S1D_bDpT10_ENKUlT_T0_E_clISt17integral_constantIbLb0EES1Q_IbLb1EEEEDaS1M_S1N_EUlS1M_E_NS1_11comp_targetILNS1_3genE2ELNS1_11target_archE906ELNS1_3gpuE6ELNS1_3repE0EEENS1_30default_config_static_selectorELNS0_4arch9wavefront6targetE0EEEvSZ_, .Lfunc_end771-_ZN7rocprim17ROCPRIM_400000_NS6detail17trampoline_kernelINS0_13select_configILj256ELj13ELNS0_17block_load_methodE3ELS4_3ELS4_3ELNS0_20block_scan_algorithmE0ELj4294967295EEENS1_25partition_config_selectorILNS1_17partition_subalgoE4EjNS0_10empty_typeEbEEZZNS1_14partition_implILS8_4ELb0ES6_15HIP_vector_typeIjLj2EENS0_17counting_iteratorIjlEEPS9_SG_NS0_5tupleIJPjSI_NS0_16reverse_iteratorISI_EEEEENSH_IJSG_SG_SG_EEES9_SI_JZNS1_25segmented_radix_sort_implINS0_14default_configELb0EPKlPlSQ_SR_N2at6native12_GLOBAL__N_18offset_tEEE10hipError_tPvRmT1_PNSt15iterator_traitsISZ_E10value_typeET2_T3_PNS10_IS15_E10value_typeET4_jRbjT5_S1B_jjP12ihipStream_tbEUljE_ZNSN_ISO_Lb0ESQ_SR_SQ_SR_SV_EESW_SX_SY_SZ_S13_S14_S15_S18_S19_jS1A_jS1B_S1B_jjS1D_bEUljE0_EEESW_SX_SY_S15_S19_S1B_T6_T7_T9_mT8_S1D_bDpT10_ENKUlT_T0_E_clISt17integral_constantIbLb0EES1Q_IbLb1EEEEDaS1M_S1N_EUlS1M_E_NS1_11comp_targetILNS1_3genE2ELNS1_11target_archE906ELNS1_3gpuE6ELNS1_3repE0EEENS1_30default_config_static_selectorELNS0_4arch9wavefront6targetE0EEEvSZ_
                                        ; -- End function
	.section	.AMDGPU.csdata,"",@progbits
; Kernel info:
; codeLenInByte = 0
; NumSgprs: 0
; NumVgprs: 0
; ScratchSize: 0
; MemoryBound: 0
; FloatMode: 240
; IeeeMode: 1
; LDSByteSize: 0 bytes/workgroup (compile time only)
; SGPRBlocks: 0
; VGPRBlocks: 0
; NumSGPRsForWavesPerEU: 1
; NumVGPRsForWavesPerEU: 1
; Occupancy: 16
; WaveLimiterHint : 0
; COMPUTE_PGM_RSRC2:SCRATCH_EN: 0
; COMPUTE_PGM_RSRC2:USER_SGPR: 15
; COMPUTE_PGM_RSRC2:TRAP_HANDLER: 0
; COMPUTE_PGM_RSRC2:TGID_X_EN: 1
; COMPUTE_PGM_RSRC2:TGID_Y_EN: 0
; COMPUTE_PGM_RSRC2:TGID_Z_EN: 0
; COMPUTE_PGM_RSRC2:TIDIG_COMP_CNT: 0
	.section	.text._ZN7rocprim17ROCPRIM_400000_NS6detail17trampoline_kernelINS0_13select_configILj256ELj13ELNS0_17block_load_methodE3ELS4_3ELS4_3ELNS0_20block_scan_algorithmE0ELj4294967295EEENS1_25partition_config_selectorILNS1_17partition_subalgoE4EjNS0_10empty_typeEbEEZZNS1_14partition_implILS8_4ELb0ES6_15HIP_vector_typeIjLj2EENS0_17counting_iteratorIjlEEPS9_SG_NS0_5tupleIJPjSI_NS0_16reverse_iteratorISI_EEEEENSH_IJSG_SG_SG_EEES9_SI_JZNS1_25segmented_radix_sort_implINS0_14default_configELb0EPKlPlSQ_SR_N2at6native12_GLOBAL__N_18offset_tEEE10hipError_tPvRmT1_PNSt15iterator_traitsISZ_E10value_typeET2_T3_PNS10_IS15_E10value_typeET4_jRbjT5_S1B_jjP12ihipStream_tbEUljE_ZNSN_ISO_Lb0ESQ_SR_SQ_SR_SV_EESW_SX_SY_SZ_S13_S14_S15_S18_S19_jS1A_jS1B_S1B_jjS1D_bEUljE0_EEESW_SX_SY_S15_S19_S1B_T6_T7_T9_mT8_S1D_bDpT10_ENKUlT_T0_E_clISt17integral_constantIbLb0EES1Q_IbLb1EEEEDaS1M_S1N_EUlS1M_E_NS1_11comp_targetILNS1_3genE10ELNS1_11target_archE1200ELNS1_3gpuE4ELNS1_3repE0EEENS1_30default_config_static_selectorELNS0_4arch9wavefront6targetE0EEEvSZ_,"axG",@progbits,_ZN7rocprim17ROCPRIM_400000_NS6detail17trampoline_kernelINS0_13select_configILj256ELj13ELNS0_17block_load_methodE3ELS4_3ELS4_3ELNS0_20block_scan_algorithmE0ELj4294967295EEENS1_25partition_config_selectorILNS1_17partition_subalgoE4EjNS0_10empty_typeEbEEZZNS1_14partition_implILS8_4ELb0ES6_15HIP_vector_typeIjLj2EENS0_17counting_iteratorIjlEEPS9_SG_NS0_5tupleIJPjSI_NS0_16reverse_iteratorISI_EEEEENSH_IJSG_SG_SG_EEES9_SI_JZNS1_25segmented_radix_sort_implINS0_14default_configELb0EPKlPlSQ_SR_N2at6native12_GLOBAL__N_18offset_tEEE10hipError_tPvRmT1_PNSt15iterator_traitsISZ_E10value_typeET2_T3_PNS10_IS15_E10value_typeET4_jRbjT5_S1B_jjP12ihipStream_tbEUljE_ZNSN_ISO_Lb0ESQ_SR_SQ_SR_SV_EESW_SX_SY_SZ_S13_S14_S15_S18_S19_jS1A_jS1B_S1B_jjS1D_bEUljE0_EEESW_SX_SY_S15_S19_S1B_T6_T7_T9_mT8_S1D_bDpT10_ENKUlT_T0_E_clISt17integral_constantIbLb0EES1Q_IbLb1EEEEDaS1M_S1N_EUlS1M_E_NS1_11comp_targetILNS1_3genE10ELNS1_11target_archE1200ELNS1_3gpuE4ELNS1_3repE0EEENS1_30default_config_static_selectorELNS0_4arch9wavefront6targetE0EEEvSZ_,comdat
	.globl	_ZN7rocprim17ROCPRIM_400000_NS6detail17trampoline_kernelINS0_13select_configILj256ELj13ELNS0_17block_load_methodE3ELS4_3ELS4_3ELNS0_20block_scan_algorithmE0ELj4294967295EEENS1_25partition_config_selectorILNS1_17partition_subalgoE4EjNS0_10empty_typeEbEEZZNS1_14partition_implILS8_4ELb0ES6_15HIP_vector_typeIjLj2EENS0_17counting_iteratorIjlEEPS9_SG_NS0_5tupleIJPjSI_NS0_16reverse_iteratorISI_EEEEENSH_IJSG_SG_SG_EEES9_SI_JZNS1_25segmented_radix_sort_implINS0_14default_configELb0EPKlPlSQ_SR_N2at6native12_GLOBAL__N_18offset_tEEE10hipError_tPvRmT1_PNSt15iterator_traitsISZ_E10value_typeET2_T3_PNS10_IS15_E10value_typeET4_jRbjT5_S1B_jjP12ihipStream_tbEUljE_ZNSN_ISO_Lb0ESQ_SR_SQ_SR_SV_EESW_SX_SY_SZ_S13_S14_S15_S18_S19_jS1A_jS1B_S1B_jjS1D_bEUljE0_EEESW_SX_SY_S15_S19_S1B_T6_T7_T9_mT8_S1D_bDpT10_ENKUlT_T0_E_clISt17integral_constantIbLb0EES1Q_IbLb1EEEEDaS1M_S1N_EUlS1M_E_NS1_11comp_targetILNS1_3genE10ELNS1_11target_archE1200ELNS1_3gpuE4ELNS1_3repE0EEENS1_30default_config_static_selectorELNS0_4arch9wavefront6targetE0EEEvSZ_ ; -- Begin function _ZN7rocprim17ROCPRIM_400000_NS6detail17trampoline_kernelINS0_13select_configILj256ELj13ELNS0_17block_load_methodE3ELS4_3ELS4_3ELNS0_20block_scan_algorithmE0ELj4294967295EEENS1_25partition_config_selectorILNS1_17partition_subalgoE4EjNS0_10empty_typeEbEEZZNS1_14partition_implILS8_4ELb0ES6_15HIP_vector_typeIjLj2EENS0_17counting_iteratorIjlEEPS9_SG_NS0_5tupleIJPjSI_NS0_16reverse_iteratorISI_EEEEENSH_IJSG_SG_SG_EEES9_SI_JZNS1_25segmented_radix_sort_implINS0_14default_configELb0EPKlPlSQ_SR_N2at6native12_GLOBAL__N_18offset_tEEE10hipError_tPvRmT1_PNSt15iterator_traitsISZ_E10value_typeET2_T3_PNS10_IS15_E10value_typeET4_jRbjT5_S1B_jjP12ihipStream_tbEUljE_ZNSN_ISO_Lb0ESQ_SR_SQ_SR_SV_EESW_SX_SY_SZ_S13_S14_S15_S18_S19_jS1A_jS1B_S1B_jjS1D_bEUljE0_EEESW_SX_SY_S15_S19_S1B_T6_T7_T9_mT8_S1D_bDpT10_ENKUlT_T0_E_clISt17integral_constantIbLb0EES1Q_IbLb1EEEEDaS1M_S1N_EUlS1M_E_NS1_11comp_targetILNS1_3genE10ELNS1_11target_archE1200ELNS1_3gpuE4ELNS1_3repE0EEENS1_30default_config_static_selectorELNS0_4arch9wavefront6targetE0EEEvSZ_
	.p2align	8
	.type	_ZN7rocprim17ROCPRIM_400000_NS6detail17trampoline_kernelINS0_13select_configILj256ELj13ELNS0_17block_load_methodE3ELS4_3ELS4_3ELNS0_20block_scan_algorithmE0ELj4294967295EEENS1_25partition_config_selectorILNS1_17partition_subalgoE4EjNS0_10empty_typeEbEEZZNS1_14partition_implILS8_4ELb0ES6_15HIP_vector_typeIjLj2EENS0_17counting_iteratorIjlEEPS9_SG_NS0_5tupleIJPjSI_NS0_16reverse_iteratorISI_EEEEENSH_IJSG_SG_SG_EEES9_SI_JZNS1_25segmented_radix_sort_implINS0_14default_configELb0EPKlPlSQ_SR_N2at6native12_GLOBAL__N_18offset_tEEE10hipError_tPvRmT1_PNSt15iterator_traitsISZ_E10value_typeET2_T3_PNS10_IS15_E10value_typeET4_jRbjT5_S1B_jjP12ihipStream_tbEUljE_ZNSN_ISO_Lb0ESQ_SR_SQ_SR_SV_EESW_SX_SY_SZ_S13_S14_S15_S18_S19_jS1A_jS1B_S1B_jjS1D_bEUljE0_EEESW_SX_SY_S15_S19_S1B_T6_T7_T9_mT8_S1D_bDpT10_ENKUlT_T0_E_clISt17integral_constantIbLb0EES1Q_IbLb1EEEEDaS1M_S1N_EUlS1M_E_NS1_11comp_targetILNS1_3genE10ELNS1_11target_archE1200ELNS1_3gpuE4ELNS1_3repE0EEENS1_30default_config_static_selectorELNS0_4arch9wavefront6targetE0EEEvSZ_,@function
_ZN7rocprim17ROCPRIM_400000_NS6detail17trampoline_kernelINS0_13select_configILj256ELj13ELNS0_17block_load_methodE3ELS4_3ELS4_3ELNS0_20block_scan_algorithmE0ELj4294967295EEENS1_25partition_config_selectorILNS1_17partition_subalgoE4EjNS0_10empty_typeEbEEZZNS1_14partition_implILS8_4ELb0ES6_15HIP_vector_typeIjLj2EENS0_17counting_iteratorIjlEEPS9_SG_NS0_5tupleIJPjSI_NS0_16reverse_iteratorISI_EEEEENSH_IJSG_SG_SG_EEES9_SI_JZNS1_25segmented_radix_sort_implINS0_14default_configELb0EPKlPlSQ_SR_N2at6native12_GLOBAL__N_18offset_tEEE10hipError_tPvRmT1_PNSt15iterator_traitsISZ_E10value_typeET2_T3_PNS10_IS15_E10value_typeET4_jRbjT5_S1B_jjP12ihipStream_tbEUljE_ZNSN_ISO_Lb0ESQ_SR_SQ_SR_SV_EESW_SX_SY_SZ_S13_S14_S15_S18_S19_jS1A_jS1B_S1B_jjS1D_bEUljE0_EEESW_SX_SY_S15_S19_S1B_T6_T7_T9_mT8_S1D_bDpT10_ENKUlT_T0_E_clISt17integral_constantIbLb0EES1Q_IbLb1EEEEDaS1M_S1N_EUlS1M_E_NS1_11comp_targetILNS1_3genE10ELNS1_11target_archE1200ELNS1_3gpuE4ELNS1_3repE0EEENS1_30default_config_static_selectorELNS0_4arch9wavefront6targetE0EEEvSZ_: ; @_ZN7rocprim17ROCPRIM_400000_NS6detail17trampoline_kernelINS0_13select_configILj256ELj13ELNS0_17block_load_methodE3ELS4_3ELS4_3ELNS0_20block_scan_algorithmE0ELj4294967295EEENS1_25partition_config_selectorILNS1_17partition_subalgoE4EjNS0_10empty_typeEbEEZZNS1_14partition_implILS8_4ELb0ES6_15HIP_vector_typeIjLj2EENS0_17counting_iteratorIjlEEPS9_SG_NS0_5tupleIJPjSI_NS0_16reverse_iteratorISI_EEEEENSH_IJSG_SG_SG_EEES9_SI_JZNS1_25segmented_radix_sort_implINS0_14default_configELb0EPKlPlSQ_SR_N2at6native12_GLOBAL__N_18offset_tEEE10hipError_tPvRmT1_PNSt15iterator_traitsISZ_E10value_typeET2_T3_PNS10_IS15_E10value_typeET4_jRbjT5_S1B_jjP12ihipStream_tbEUljE_ZNSN_ISO_Lb0ESQ_SR_SQ_SR_SV_EESW_SX_SY_SZ_S13_S14_S15_S18_S19_jS1A_jS1B_S1B_jjS1D_bEUljE0_EEESW_SX_SY_S15_S19_S1B_T6_T7_T9_mT8_S1D_bDpT10_ENKUlT_T0_E_clISt17integral_constantIbLb0EES1Q_IbLb1EEEEDaS1M_S1N_EUlS1M_E_NS1_11comp_targetILNS1_3genE10ELNS1_11target_archE1200ELNS1_3gpuE4ELNS1_3repE0EEENS1_30default_config_static_selectorELNS0_4arch9wavefront6targetE0EEEvSZ_
; %bb.0:
	.section	.rodata,"a",@progbits
	.p2align	6, 0x0
	.amdhsa_kernel _ZN7rocprim17ROCPRIM_400000_NS6detail17trampoline_kernelINS0_13select_configILj256ELj13ELNS0_17block_load_methodE3ELS4_3ELS4_3ELNS0_20block_scan_algorithmE0ELj4294967295EEENS1_25partition_config_selectorILNS1_17partition_subalgoE4EjNS0_10empty_typeEbEEZZNS1_14partition_implILS8_4ELb0ES6_15HIP_vector_typeIjLj2EENS0_17counting_iteratorIjlEEPS9_SG_NS0_5tupleIJPjSI_NS0_16reverse_iteratorISI_EEEEENSH_IJSG_SG_SG_EEES9_SI_JZNS1_25segmented_radix_sort_implINS0_14default_configELb0EPKlPlSQ_SR_N2at6native12_GLOBAL__N_18offset_tEEE10hipError_tPvRmT1_PNSt15iterator_traitsISZ_E10value_typeET2_T3_PNS10_IS15_E10value_typeET4_jRbjT5_S1B_jjP12ihipStream_tbEUljE_ZNSN_ISO_Lb0ESQ_SR_SQ_SR_SV_EESW_SX_SY_SZ_S13_S14_S15_S18_S19_jS1A_jS1B_S1B_jjS1D_bEUljE0_EEESW_SX_SY_S15_S19_S1B_T6_T7_T9_mT8_S1D_bDpT10_ENKUlT_T0_E_clISt17integral_constantIbLb0EES1Q_IbLb1EEEEDaS1M_S1N_EUlS1M_E_NS1_11comp_targetILNS1_3genE10ELNS1_11target_archE1200ELNS1_3gpuE4ELNS1_3repE0EEENS1_30default_config_static_selectorELNS0_4arch9wavefront6targetE0EEEvSZ_
		.amdhsa_group_segment_fixed_size 0
		.amdhsa_private_segment_fixed_size 0
		.amdhsa_kernarg_size 184
		.amdhsa_user_sgpr_count 15
		.amdhsa_user_sgpr_dispatch_ptr 0
		.amdhsa_user_sgpr_queue_ptr 0
		.amdhsa_user_sgpr_kernarg_segment_ptr 1
		.amdhsa_user_sgpr_dispatch_id 0
		.amdhsa_user_sgpr_private_segment_size 0
		.amdhsa_wavefront_size32 1
		.amdhsa_uses_dynamic_stack 0
		.amdhsa_enable_private_segment 0
		.amdhsa_system_sgpr_workgroup_id_x 1
		.amdhsa_system_sgpr_workgroup_id_y 0
		.amdhsa_system_sgpr_workgroup_id_z 0
		.amdhsa_system_sgpr_workgroup_info 0
		.amdhsa_system_vgpr_workitem_id 0
		.amdhsa_next_free_vgpr 1
		.amdhsa_next_free_sgpr 1
		.amdhsa_reserve_vcc 0
		.amdhsa_float_round_mode_32 0
		.amdhsa_float_round_mode_16_64 0
		.amdhsa_float_denorm_mode_32 3
		.amdhsa_float_denorm_mode_16_64 3
		.amdhsa_dx10_clamp 1
		.amdhsa_ieee_mode 1
		.amdhsa_fp16_overflow 0
		.amdhsa_workgroup_processor_mode 1
		.amdhsa_memory_ordered 1
		.amdhsa_forward_progress 0
		.amdhsa_shared_vgpr_count 0
		.amdhsa_exception_fp_ieee_invalid_op 0
		.amdhsa_exception_fp_denorm_src 0
		.amdhsa_exception_fp_ieee_div_zero 0
		.amdhsa_exception_fp_ieee_overflow 0
		.amdhsa_exception_fp_ieee_underflow 0
		.amdhsa_exception_fp_ieee_inexact 0
		.amdhsa_exception_int_div_zero 0
	.end_amdhsa_kernel
	.section	.text._ZN7rocprim17ROCPRIM_400000_NS6detail17trampoline_kernelINS0_13select_configILj256ELj13ELNS0_17block_load_methodE3ELS4_3ELS4_3ELNS0_20block_scan_algorithmE0ELj4294967295EEENS1_25partition_config_selectorILNS1_17partition_subalgoE4EjNS0_10empty_typeEbEEZZNS1_14partition_implILS8_4ELb0ES6_15HIP_vector_typeIjLj2EENS0_17counting_iteratorIjlEEPS9_SG_NS0_5tupleIJPjSI_NS0_16reverse_iteratorISI_EEEEENSH_IJSG_SG_SG_EEES9_SI_JZNS1_25segmented_radix_sort_implINS0_14default_configELb0EPKlPlSQ_SR_N2at6native12_GLOBAL__N_18offset_tEEE10hipError_tPvRmT1_PNSt15iterator_traitsISZ_E10value_typeET2_T3_PNS10_IS15_E10value_typeET4_jRbjT5_S1B_jjP12ihipStream_tbEUljE_ZNSN_ISO_Lb0ESQ_SR_SQ_SR_SV_EESW_SX_SY_SZ_S13_S14_S15_S18_S19_jS1A_jS1B_S1B_jjS1D_bEUljE0_EEESW_SX_SY_S15_S19_S1B_T6_T7_T9_mT8_S1D_bDpT10_ENKUlT_T0_E_clISt17integral_constantIbLb0EES1Q_IbLb1EEEEDaS1M_S1N_EUlS1M_E_NS1_11comp_targetILNS1_3genE10ELNS1_11target_archE1200ELNS1_3gpuE4ELNS1_3repE0EEENS1_30default_config_static_selectorELNS0_4arch9wavefront6targetE0EEEvSZ_,"axG",@progbits,_ZN7rocprim17ROCPRIM_400000_NS6detail17trampoline_kernelINS0_13select_configILj256ELj13ELNS0_17block_load_methodE3ELS4_3ELS4_3ELNS0_20block_scan_algorithmE0ELj4294967295EEENS1_25partition_config_selectorILNS1_17partition_subalgoE4EjNS0_10empty_typeEbEEZZNS1_14partition_implILS8_4ELb0ES6_15HIP_vector_typeIjLj2EENS0_17counting_iteratorIjlEEPS9_SG_NS0_5tupleIJPjSI_NS0_16reverse_iteratorISI_EEEEENSH_IJSG_SG_SG_EEES9_SI_JZNS1_25segmented_radix_sort_implINS0_14default_configELb0EPKlPlSQ_SR_N2at6native12_GLOBAL__N_18offset_tEEE10hipError_tPvRmT1_PNSt15iterator_traitsISZ_E10value_typeET2_T3_PNS10_IS15_E10value_typeET4_jRbjT5_S1B_jjP12ihipStream_tbEUljE_ZNSN_ISO_Lb0ESQ_SR_SQ_SR_SV_EESW_SX_SY_SZ_S13_S14_S15_S18_S19_jS1A_jS1B_S1B_jjS1D_bEUljE0_EEESW_SX_SY_S15_S19_S1B_T6_T7_T9_mT8_S1D_bDpT10_ENKUlT_T0_E_clISt17integral_constantIbLb0EES1Q_IbLb1EEEEDaS1M_S1N_EUlS1M_E_NS1_11comp_targetILNS1_3genE10ELNS1_11target_archE1200ELNS1_3gpuE4ELNS1_3repE0EEENS1_30default_config_static_selectorELNS0_4arch9wavefront6targetE0EEEvSZ_,comdat
.Lfunc_end772:
	.size	_ZN7rocprim17ROCPRIM_400000_NS6detail17trampoline_kernelINS0_13select_configILj256ELj13ELNS0_17block_load_methodE3ELS4_3ELS4_3ELNS0_20block_scan_algorithmE0ELj4294967295EEENS1_25partition_config_selectorILNS1_17partition_subalgoE4EjNS0_10empty_typeEbEEZZNS1_14partition_implILS8_4ELb0ES6_15HIP_vector_typeIjLj2EENS0_17counting_iteratorIjlEEPS9_SG_NS0_5tupleIJPjSI_NS0_16reverse_iteratorISI_EEEEENSH_IJSG_SG_SG_EEES9_SI_JZNS1_25segmented_radix_sort_implINS0_14default_configELb0EPKlPlSQ_SR_N2at6native12_GLOBAL__N_18offset_tEEE10hipError_tPvRmT1_PNSt15iterator_traitsISZ_E10value_typeET2_T3_PNS10_IS15_E10value_typeET4_jRbjT5_S1B_jjP12ihipStream_tbEUljE_ZNSN_ISO_Lb0ESQ_SR_SQ_SR_SV_EESW_SX_SY_SZ_S13_S14_S15_S18_S19_jS1A_jS1B_S1B_jjS1D_bEUljE0_EEESW_SX_SY_S15_S19_S1B_T6_T7_T9_mT8_S1D_bDpT10_ENKUlT_T0_E_clISt17integral_constantIbLb0EES1Q_IbLb1EEEEDaS1M_S1N_EUlS1M_E_NS1_11comp_targetILNS1_3genE10ELNS1_11target_archE1200ELNS1_3gpuE4ELNS1_3repE0EEENS1_30default_config_static_selectorELNS0_4arch9wavefront6targetE0EEEvSZ_, .Lfunc_end772-_ZN7rocprim17ROCPRIM_400000_NS6detail17trampoline_kernelINS0_13select_configILj256ELj13ELNS0_17block_load_methodE3ELS4_3ELS4_3ELNS0_20block_scan_algorithmE0ELj4294967295EEENS1_25partition_config_selectorILNS1_17partition_subalgoE4EjNS0_10empty_typeEbEEZZNS1_14partition_implILS8_4ELb0ES6_15HIP_vector_typeIjLj2EENS0_17counting_iteratorIjlEEPS9_SG_NS0_5tupleIJPjSI_NS0_16reverse_iteratorISI_EEEEENSH_IJSG_SG_SG_EEES9_SI_JZNS1_25segmented_radix_sort_implINS0_14default_configELb0EPKlPlSQ_SR_N2at6native12_GLOBAL__N_18offset_tEEE10hipError_tPvRmT1_PNSt15iterator_traitsISZ_E10value_typeET2_T3_PNS10_IS15_E10value_typeET4_jRbjT5_S1B_jjP12ihipStream_tbEUljE_ZNSN_ISO_Lb0ESQ_SR_SQ_SR_SV_EESW_SX_SY_SZ_S13_S14_S15_S18_S19_jS1A_jS1B_S1B_jjS1D_bEUljE0_EEESW_SX_SY_S15_S19_S1B_T6_T7_T9_mT8_S1D_bDpT10_ENKUlT_T0_E_clISt17integral_constantIbLb0EES1Q_IbLb1EEEEDaS1M_S1N_EUlS1M_E_NS1_11comp_targetILNS1_3genE10ELNS1_11target_archE1200ELNS1_3gpuE4ELNS1_3repE0EEENS1_30default_config_static_selectorELNS0_4arch9wavefront6targetE0EEEvSZ_
                                        ; -- End function
	.section	.AMDGPU.csdata,"",@progbits
; Kernel info:
; codeLenInByte = 0
; NumSgprs: 0
; NumVgprs: 0
; ScratchSize: 0
; MemoryBound: 0
; FloatMode: 240
; IeeeMode: 1
; LDSByteSize: 0 bytes/workgroup (compile time only)
; SGPRBlocks: 0
; VGPRBlocks: 0
; NumSGPRsForWavesPerEU: 1
; NumVGPRsForWavesPerEU: 1
; Occupancy: 16
; WaveLimiterHint : 0
; COMPUTE_PGM_RSRC2:SCRATCH_EN: 0
; COMPUTE_PGM_RSRC2:USER_SGPR: 15
; COMPUTE_PGM_RSRC2:TRAP_HANDLER: 0
; COMPUTE_PGM_RSRC2:TGID_X_EN: 1
; COMPUTE_PGM_RSRC2:TGID_Y_EN: 0
; COMPUTE_PGM_RSRC2:TGID_Z_EN: 0
; COMPUTE_PGM_RSRC2:TIDIG_COMP_CNT: 0
	.section	.text._ZN7rocprim17ROCPRIM_400000_NS6detail17trampoline_kernelINS0_13select_configILj256ELj13ELNS0_17block_load_methodE3ELS4_3ELS4_3ELNS0_20block_scan_algorithmE0ELj4294967295EEENS1_25partition_config_selectorILNS1_17partition_subalgoE4EjNS0_10empty_typeEbEEZZNS1_14partition_implILS8_4ELb0ES6_15HIP_vector_typeIjLj2EENS0_17counting_iteratorIjlEEPS9_SG_NS0_5tupleIJPjSI_NS0_16reverse_iteratorISI_EEEEENSH_IJSG_SG_SG_EEES9_SI_JZNS1_25segmented_radix_sort_implINS0_14default_configELb0EPKlPlSQ_SR_N2at6native12_GLOBAL__N_18offset_tEEE10hipError_tPvRmT1_PNSt15iterator_traitsISZ_E10value_typeET2_T3_PNS10_IS15_E10value_typeET4_jRbjT5_S1B_jjP12ihipStream_tbEUljE_ZNSN_ISO_Lb0ESQ_SR_SQ_SR_SV_EESW_SX_SY_SZ_S13_S14_S15_S18_S19_jS1A_jS1B_S1B_jjS1D_bEUljE0_EEESW_SX_SY_S15_S19_S1B_T6_T7_T9_mT8_S1D_bDpT10_ENKUlT_T0_E_clISt17integral_constantIbLb0EES1Q_IbLb1EEEEDaS1M_S1N_EUlS1M_E_NS1_11comp_targetILNS1_3genE9ELNS1_11target_archE1100ELNS1_3gpuE3ELNS1_3repE0EEENS1_30default_config_static_selectorELNS0_4arch9wavefront6targetE0EEEvSZ_,"axG",@progbits,_ZN7rocprim17ROCPRIM_400000_NS6detail17trampoline_kernelINS0_13select_configILj256ELj13ELNS0_17block_load_methodE3ELS4_3ELS4_3ELNS0_20block_scan_algorithmE0ELj4294967295EEENS1_25partition_config_selectorILNS1_17partition_subalgoE4EjNS0_10empty_typeEbEEZZNS1_14partition_implILS8_4ELb0ES6_15HIP_vector_typeIjLj2EENS0_17counting_iteratorIjlEEPS9_SG_NS0_5tupleIJPjSI_NS0_16reverse_iteratorISI_EEEEENSH_IJSG_SG_SG_EEES9_SI_JZNS1_25segmented_radix_sort_implINS0_14default_configELb0EPKlPlSQ_SR_N2at6native12_GLOBAL__N_18offset_tEEE10hipError_tPvRmT1_PNSt15iterator_traitsISZ_E10value_typeET2_T3_PNS10_IS15_E10value_typeET4_jRbjT5_S1B_jjP12ihipStream_tbEUljE_ZNSN_ISO_Lb0ESQ_SR_SQ_SR_SV_EESW_SX_SY_SZ_S13_S14_S15_S18_S19_jS1A_jS1B_S1B_jjS1D_bEUljE0_EEESW_SX_SY_S15_S19_S1B_T6_T7_T9_mT8_S1D_bDpT10_ENKUlT_T0_E_clISt17integral_constantIbLb0EES1Q_IbLb1EEEEDaS1M_S1N_EUlS1M_E_NS1_11comp_targetILNS1_3genE9ELNS1_11target_archE1100ELNS1_3gpuE3ELNS1_3repE0EEENS1_30default_config_static_selectorELNS0_4arch9wavefront6targetE0EEEvSZ_,comdat
	.globl	_ZN7rocprim17ROCPRIM_400000_NS6detail17trampoline_kernelINS0_13select_configILj256ELj13ELNS0_17block_load_methodE3ELS4_3ELS4_3ELNS0_20block_scan_algorithmE0ELj4294967295EEENS1_25partition_config_selectorILNS1_17partition_subalgoE4EjNS0_10empty_typeEbEEZZNS1_14partition_implILS8_4ELb0ES6_15HIP_vector_typeIjLj2EENS0_17counting_iteratorIjlEEPS9_SG_NS0_5tupleIJPjSI_NS0_16reverse_iteratorISI_EEEEENSH_IJSG_SG_SG_EEES9_SI_JZNS1_25segmented_radix_sort_implINS0_14default_configELb0EPKlPlSQ_SR_N2at6native12_GLOBAL__N_18offset_tEEE10hipError_tPvRmT1_PNSt15iterator_traitsISZ_E10value_typeET2_T3_PNS10_IS15_E10value_typeET4_jRbjT5_S1B_jjP12ihipStream_tbEUljE_ZNSN_ISO_Lb0ESQ_SR_SQ_SR_SV_EESW_SX_SY_SZ_S13_S14_S15_S18_S19_jS1A_jS1B_S1B_jjS1D_bEUljE0_EEESW_SX_SY_S15_S19_S1B_T6_T7_T9_mT8_S1D_bDpT10_ENKUlT_T0_E_clISt17integral_constantIbLb0EES1Q_IbLb1EEEEDaS1M_S1N_EUlS1M_E_NS1_11comp_targetILNS1_3genE9ELNS1_11target_archE1100ELNS1_3gpuE3ELNS1_3repE0EEENS1_30default_config_static_selectorELNS0_4arch9wavefront6targetE0EEEvSZ_ ; -- Begin function _ZN7rocprim17ROCPRIM_400000_NS6detail17trampoline_kernelINS0_13select_configILj256ELj13ELNS0_17block_load_methodE3ELS4_3ELS4_3ELNS0_20block_scan_algorithmE0ELj4294967295EEENS1_25partition_config_selectorILNS1_17partition_subalgoE4EjNS0_10empty_typeEbEEZZNS1_14partition_implILS8_4ELb0ES6_15HIP_vector_typeIjLj2EENS0_17counting_iteratorIjlEEPS9_SG_NS0_5tupleIJPjSI_NS0_16reverse_iteratorISI_EEEEENSH_IJSG_SG_SG_EEES9_SI_JZNS1_25segmented_radix_sort_implINS0_14default_configELb0EPKlPlSQ_SR_N2at6native12_GLOBAL__N_18offset_tEEE10hipError_tPvRmT1_PNSt15iterator_traitsISZ_E10value_typeET2_T3_PNS10_IS15_E10value_typeET4_jRbjT5_S1B_jjP12ihipStream_tbEUljE_ZNSN_ISO_Lb0ESQ_SR_SQ_SR_SV_EESW_SX_SY_SZ_S13_S14_S15_S18_S19_jS1A_jS1B_S1B_jjS1D_bEUljE0_EEESW_SX_SY_S15_S19_S1B_T6_T7_T9_mT8_S1D_bDpT10_ENKUlT_T0_E_clISt17integral_constantIbLb0EES1Q_IbLb1EEEEDaS1M_S1N_EUlS1M_E_NS1_11comp_targetILNS1_3genE9ELNS1_11target_archE1100ELNS1_3gpuE3ELNS1_3repE0EEENS1_30default_config_static_selectorELNS0_4arch9wavefront6targetE0EEEvSZ_
	.p2align	8
	.type	_ZN7rocprim17ROCPRIM_400000_NS6detail17trampoline_kernelINS0_13select_configILj256ELj13ELNS0_17block_load_methodE3ELS4_3ELS4_3ELNS0_20block_scan_algorithmE0ELj4294967295EEENS1_25partition_config_selectorILNS1_17partition_subalgoE4EjNS0_10empty_typeEbEEZZNS1_14partition_implILS8_4ELb0ES6_15HIP_vector_typeIjLj2EENS0_17counting_iteratorIjlEEPS9_SG_NS0_5tupleIJPjSI_NS0_16reverse_iteratorISI_EEEEENSH_IJSG_SG_SG_EEES9_SI_JZNS1_25segmented_radix_sort_implINS0_14default_configELb0EPKlPlSQ_SR_N2at6native12_GLOBAL__N_18offset_tEEE10hipError_tPvRmT1_PNSt15iterator_traitsISZ_E10value_typeET2_T3_PNS10_IS15_E10value_typeET4_jRbjT5_S1B_jjP12ihipStream_tbEUljE_ZNSN_ISO_Lb0ESQ_SR_SQ_SR_SV_EESW_SX_SY_SZ_S13_S14_S15_S18_S19_jS1A_jS1B_S1B_jjS1D_bEUljE0_EEESW_SX_SY_S15_S19_S1B_T6_T7_T9_mT8_S1D_bDpT10_ENKUlT_T0_E_clISt17integral_constantIbLb0EES1Q_IbLb1EEEEDaS1M_S1N_EUlS1M_E_NS1_11comp_targetILNS1_3genE9ELNS1_11target_archE1100ELNS1_3gpuE3ELNS1_3repE0EEENS1_30default_config_static_selectorELNS0_4arch9wavefront6targetE0EEEvSZ_,@function
_ZN7rocprim17ROCPRIM_400000_NS6detail17trampoline_kernelINS0_13select_configILj256ELj13ELNS0_17block_load_methodE3ELS4_3ELS4_3ELNS0_20block_scan_algorithmE0ELj4294967295EEENS1_25partition_config_selectorILNS1_17partition_subalgoE4EjNS0_10empty_typeEbEEZZNS1_14partition_implILS8_4ELb0ES6_15HIP_vector_typeIjLj2EENS0_17counting_iteratorIjlEEPS9_SG_NS0_5tupleIJPjSI_NS0_16reverse_iteratorISI_EEEEENSH_IJSG_SG_SG_EEES9_SI_JZNS1_25segmented_radix_sort_implINS0_14default_configELb0EPKlPlSQ_SR_N2at6native12_GLOBAL__N_18offset_tEEE10hipError_tPvRmT1_PNSt15iterator_traitsISZ_E10value_typeET2_T3_PNS10_IS15_E10value_typeET4_jRbjT5_S1B_jjP12ihipStream_tbEUljE_ZNSN_ISO_Lb0ESQ_SR_SQ_SR_SV_EESW_SX_SY_SZ_S13_S14_S15_S18_S19_jS1A_jS1B_S1B_jjS1D_bEUljE0_EEESW_SX_SY_S15_S19_S1B_T6_T7_T9_mT8_S1D_bDpT10_ENKUlT_T0_E_clISt17integral_constantIbLb0EES1Q_IbLb1EEEEDaS1M_S1N_EUlS1M_E_NS1_11comp_targetILNS1_3genE9ELNS1_11target_archE1100ELNS1_3gpuE3ELNS1_3repE0EEENS1_30default_config_static_selectorELNS0_4arch9wavefront6targetE0EEEvSZ_: ; @_ZN7rocprim17ROCPRIM_400000_NS6detail17trampoline_kernelINS0_13select_configILj256ELj13ELNS0_17block_load_methodE3ELS4_3ELS4_3ELNS0_20block_scan_algorithmE0ELj4294967295EEENS1_25partition_config_selectorILNS1_17partition_subalgoE4EjNS0_10empty_typeEbEEZZNS1_14partition_implILS8_4ELb0ES6_15HIP_vector_typeIjLj2EENS0_17counting_iteratorIjlEEPS9_SG_NS0_5tupleIJPjSI_NS0_16reverse_iteratorISI_EEEEENSH_IJSG_SG_SG_EEES9_SI_JZNS1_25segmented_radix_sort_implINS0_14default_configELb0EPKlPlSQ_SR_N2at6native12_GLOBAL__N_18offset_tEEE10hipError_tPvRmT1_PNSt15iterator_traitsISZ_E10value_typeET2_T3_PNS10_IS15_E10value_typeET4_jRbjT5_S1B_jjP12ihipStream_tbEUljE_ZNSN_ISO_Lb0ESQ_SR_SQ_SR_SV_EESW_SX_SY_SZ_S13_S14_S15_S18_S19_jS1A_jS1B_S1B_jjS1D_bEUljE0_EEESW_SX_SY_S15_S19_S1B_T6_T7_T9_mT8_S1D_bDpT10_ENKUlT_T0_E_clISt17integral_constantIbLb0EES1Q_IbLb1EEEEDaS1M_S1N_EUlS1M_E_NS1_11comp_targetILNS1_3genE9ELNS1_11target_archE1100ELNS1_3gpuE3ELNS1_3repE0EEENS1_30default_config_static_selectorELNS0_4arch9wavefront6targetE0EEEvSZ_
; %bb.0:
	s_clause 0x7
	s_load_b64 s[34:35], s[0:1], 0x10
	s_load_b128 s[28:31], s[0:1], 0x28
	s_load_b64 s[14:15], s[0:1], 0x38
	s_load_b128 s[24:27], s[0:1], 0x58
	s_load_b64 s[4:5], s[0:1], 0x68
	s_load_b64 s[36:37], s[0:1], 0x78
	;; [unrolled: 1-line block ×3, first 2 shown]
	s_load_b256 s[16:23], s[0:1], 0x90
	v_cmp_eq_u32_e64 s2, 0, v0
	s_delay_alu instid0(VALU_DEP_1)
	s_and_saveexec_b32 s3, s2
	s_cbranch_execz .LBB773_4
; %bb.1:
	s_mov_b32 s7, exec_lo
	s_mov_b32 s6, exec_lo
	v_mbcnt_lo_u32_b32 v1, s7, 0
                                        ; implicit-def: $vgpr2
	s_delay_alu instid0(VALU_DEP_1)
	v_cmpx_eq_u32_e32 0, v1
	s_cbranch_execz .LBB773_3
; %bb.2:
	s_load_b64 s[8:9], s[0:1], 0x88
	s_bcnt1_i32_b32 s7, s7
	s_delay_alu instid0(SALU_CYCLE_1)
	v_dual_mov_b32 v2, 0 :: v_dual_mov_b32 v3, s7
	s_waitcnt lgkmcnt(0)
	global_atomic_add_u32 v2, v2, v3, s[8:9] glc
.LBB773_3:
	s_or_b32 exec_lo, exec_lo, s6
	s_waitcnt vmcnt(0)
	v_readfirstlane_b32 s6, v2
	s_delay_alu instid0(VALU_DEP_1)
	v_dual_mov_b32 v2, 0 :: v_dual_add_nc_u32 v1, s6, v1
	ds_store_b32 v2, v1
.LBB773_4:
	s_or_b32 exec_lo, exec_lo, s3
	v_mov_b32_e32 v1, 0
	s_clause 0x1
	s_load_b32 s3, s[0:1], 0x8
	s_load_b32 s0, s[0:1], 0x80
	s_waitcnt lgkmcnt(0)
	s_barrier
	buffer_gl0_inv
	ds_load_b32 v5, v1
	s_waitcnt lgkmcnt(0)
	s_barrier
	buffer_gl0_inv
	global_load_b128 v[1:4], v1, s[26:27]
	s_add_i32 s3, s3, s34
	s_mul_i32 s1, s0, 0xd00
	s_add_i32 s0, s0, -1
	s_add_u32 s6, s34, s1
	s_addc_u32 s7, s35, 0
	v_mul_lo_u32 v30, 0xd00, v5
	v_readfirstlane_b32 s26, v5
	v_cmp_lt_u64_e64 s5, s[6:7], s[4:5]
	v_cmp_ne_u32_e32 vcc_lo, s0, v5
	s_delay_alu instid0(VALU_DEP_3) | instskip(SKIP_1) | instid1(VALU_DEP_4)
	s_cmp_eq_u32 s26, s0
	s_cselect_b32 s13, -1, 0
	v_add3_u32 v5, v30, s3, v0
	s_delay_alu instid0(VALU_DEP_3) | instskip(SKIP_2) | instid1(VALU_DEP_1)
	s_or_b32 s0, s5, vcc_lo
	s_mov_b32 s3, -1
	s_and_b32 vcc_lo, exec_lo, s0
	v_add_nc_u32_e32 v6, 0x100, v5
	v_add_nc_u32_e32 v7, 0x200, v5
	;; [unrolled: 1-line block ×12, first 2 shown]
	s_cbranch_vccz .LBB773_6
; %bb.5:
	v_lshlrev_b32_e32 v18, 2, v0
	s_mov_b32 s3, 0
	ds_store_2addr_stride64_b32 v18, v5, v6 offset1:4
	ds_store_2addr_stride64_b32 v18, v7, v8 offset0:8 offset1:12
	ds_store_2addr_stride64_b32 v18, v9, v10 offset0:16 offset1:20
	;; [unrolled: 1-line block ×5, first 2 shown]
	ds_store_b32 v18, v17 offset:12288
	s_waitcnt vmcnt(0) lgkmcnt(0)
	s_barrier
.LBB773_6:
	s_and_not1_b32 vcc_lo, exec_lo, s3
	s_add_i32 s1, s1, s34
	s_cbranch_vccnz .LBB773_8
; %bb.7:
	v_lshlrev_b32_e32 v18, 2, v0
	ds_store_2addr_stride64_b32 v18, v5, v6 offset1:4
	ds_store_2addr_stride64_b32 v18, v7, v8 offset0:8 offset1:12
	ds_store_2addr_stride64_b32 v18, v9, v10 offset0:16 offset1:20
	;; [unrolled: 1-line block ×5, first 2 shown]
	ds_store_b32 v18, v17 offset:12288
	s_waitcnt vmcnt(0) lgkmcnt(0)
	s_barrier
.LBB773_8:
	v_mul_u32_u24_e32 v33, 13, v0
	s_waitcnt vmcnt(0)
	buffer_gl0_inv
	v_cndmask_b32_e64 v31, 0, 1, s0
	s_sub_i32 s40, s4, s1
	s_and_not1_b32 vcc_lo, exec_lo, s0
	v_lshlrev_b32_e32 v5, 2, v33
	ds_load_2addr_b32 v[20:21], v5 offset1:1
	ds_load_2addr_b32 v[18:19], v5 offset0:2 offset1:3
	ds_load_2addr_b32 v[16:17], v5 offset0:4 offset1:5
	;; [unrolled: 1-line block ×5, first 2 shown]
	ds_load_b32 v32, v5 offset:48
	s_waitcnt lgkmcnt(0)
	s_barrier
	buffer_gl0_inv
	s_cbranch_vccnz .LBB773_36
; %bb.9:
	v_add_nc_u32_e32 v5, s17, v20
	v_add_nc_u32_e32 v6, s19, v20
	s_mov_b32 s42, 0
	s_mov_b32 s41, 0
	s_mov_b32 s1, exec_lo
	v_mul_lo_u32 v5, v5, s16
	v_mul_lo_u32 v6, v6, s18
	s_delay_alu instid0(VALU_DEP_1) | instskip(NEXT) | instid1(VALU_DEP_1)
	v_sub_nc_u32_e32 v5, v5, v6
	v_cmp_lt_u32_e32 vcc_lo, s20, v5
	v_cmpx_ge_u32_e64 s20, v5
; %bb.10:
	v_add_nc_u32_e32 v5, s22, v20
	v_add_nc_u32_e32 v6, s38, v20
	s_delay_alu instid0(VALU_DEP_2) | instskip(NEXT) | instid1(VALU_DEP_2)
	v_mul_lo_u32 v5, v5, s21
	v_mul_lo_u32 v6, v6, s23
	s_delay_alu instid0(VALU_DEP_1) | instskip(NEXT) | instid1(VALU_DEP_1)
	v_sub_nc_u32_e32 v5, v5, v6
	v_cmp_lt_u32_e64 s0, s39, v5
	s_delay_alu instid0(VALU_DEP_1)
	s_and_b32 s41, s0, exec_lo
; %bb.11:
	s_or_b32 exec_lo, exec_lo, s1
	v_add_nc_u32_e32 v5, s17, v21
	v_add_nc_u32_e32 v6, s19, v21
	s_mov_b32 s3, exec_lo
	s_delay_alu instid0(VALU_DEP_2) | instskip(NEXT) | instid1(VALU_DEP_2)
	v_mul_lo_u32 v5, v5, s16
	v_mul_lo_u32 v6, v6, s18
	s_delay_alu instid0(VALU_DEP_1) | instskip(NEXT) | instid1(VALU_DEP_1)
	v_sub_nc_u32_e32 v5, v5, v6
	v_cmp_lt_u32_e64 s0, s20, v5
	v_cmpx_ge_u32_e64 s20, v5
; %bb.12:
	v_add_nc_u32_e32 v5, s22, v21
	v_add_nc_u32_e32 v6, s38, v21
	s_delay_alu instid0(VALU_DEP_2) | instskip(NEXT) | instid1(VALU_DEP_2)
	v_mul_lo_u32 v5, v5, s21
	v_mul_lo_u32 v6, v6, s23
	s_delay_alu instid0(VALU_DEP_1) | instskip(NEXT) | instid1(VALU_DEP_1)
	v_sub_nc_u32_e32 v5, v5, v6
	v_cmp_lt_u32_e64 s1, s39, v5
	s_delay_alu instid0(VALU_DEP_1)
	s_and_b32 s42, s1, exec_lo
; %bb.13:
	s_or_b32 exec_lo, exec_lo, s3
	v_add_nc_u32_e32 v5, s17, v18
	v_add_nc_u32_e32 v6, s19, v18
	s_mov_b32 s44, 0
	s_mov_b32 s43, 0
	s_mov_b32 s4, exec_lo
	v_mul_lo_u32 v5, v5, s16
	v_mul_lo_u32 v6, v6, s18
	s_delay_alu instid0(VALU_DEP_1) | instskip(NEXT) | instid1(VALU_DEP_1)
	v_sub_nc_u32_e32 v5, v5, v6
	v_cmp_lt_u32_e64 s1, s20, v5
	v_cmpx_ge_u32_e64 s20, v5
; %bb.14:
	v_add_nc_u32_e32 v5, s22, v18
	v_add_nc_u32_e32 v6, s38, v18
	s_delay_alu instid0(VALU_DEP_2) | instskip(NEXT) | instid1(VALU_DEP_2)
	v_mul_lo_u32 v5, v5, s21
	v_mul_lo_u32 v6, v6, s23
	s_delay_alu instid0(VALU_DEP_1) | instskip(NEXT) | instid1(VALU_DEP_1)
	v_sub_nc_u32_e32 v5, v5, v6
	v_cmp_lt_u32_e64 s3, s39, v5
	s_delay_alu instid0(VALU_DEP_1)
	s_and_b32 s43, s3, exec_lo
; %bb.15:
	s_or_b32 exec_lo, exec_lo, s4
	v_add_nc_u32_e32 v5, s17, v19
	v_add_nc_u32_e32 v6, s19, v19
	s_mov_b32 s5, exec_lo
	s_delay_alu instid0(VALU_DEP_2) | instskip(NEXT) | instid1(VALU_DEP_2)
	v_mul_lo_u32 v5, v5, s16
	v_mul_lo_u32 v6, v6, s18
	s_delay_alu instid0(VALU_DEP_1) | instskip(NEXT) | instid1(VALU_DEP_1)
	v_sub_nc_u32_e32 v5, v5, v6
	v_cmp_lt_u32_e64 s3, s20, v5
	v_cmpx_ge_u32_e64 s20, v5
; %bb.16:
	v_add_nc_u32_e32 v5, s22, v19
	v_add_nc_u32_e32 v6, s38, v19
	s_delay_alu instid0(VALU_DEP_2) | instskip(NEXT) | instid1(VALU_DEP_2)
	v_mul_lo_u32 v5, v5, s21
	v_mul_lo_u32 v6, v6, s23
	s_delay_alu instid0(VALU_DEP_1) | instskip(NEXT) | instid1(VALU_DEP_1)
	v_sub_nc_u32_e32 v5, v5, v6
	v_cmp_lt_u32_e64 s4, s39, v5
	s_delay_alu instid0(VALU_DEP_1)
	s_and_b32 s44, s4, exec_lo
; %bb.17:
	s_or_b32 exec_lo, exec_lo, s5
	v_add_nc_u32_e32 v5, s17, v16
	v_add_nc_u32_e32 v6, s19, v16
	s_mov_b32 s46, 0
	s_mov_b32 s45, 0
	s_mov_b32 s6, exec_lo
	v_mul_lo_u32 v5, v5, s16
	v_mul_lo_u32 v6, v6, s18
	s_delay_alu instid0(VALU_DEP_1) | instskip(NEXT) | instid1(VALU_DEP_1)
	v_sub_nc_u32_e32 v5, v5, v6
	v_cmp_lt_u32_e64 s4, s20, v5
	;; [unrolled: 47-line block ×5, first 2 shown]
	v_cmpx_ge_u32_e64 s20, v5
; %bb.30:
	v_add_nc_u32_e32 v5, s22, v10
	v_add_nc_u32_e32 v6, s38, v10
	s_delay_alu instid0(VALU_DEP_2) | instskip(NEXT) | instid1(VALU_DEP_2)
	v_mul_lo_u32 v5, v5, s21
	v_mul_lo_u32 v6, v6, s23
	s_delay_alu instid0(VALU_DEP_1) | instskip(NEXT) | instid1(VALU_DEP_1)
	v_sub_nc_u32_e32 v5, v5, v6
	v_cmp_lt_u32_e64 s11, s39, v5
	s_delay_alu instid0(VALU_DEP_1)
	s_and_b32 s53, s11, exec_lo
; %bb.31:
	s_or_b32 exec_lo, exec_lo, s12
	v_add_nc_u32_e32 v5, s17, v11
	v_add_nc_u32_e32 v6, s19, v11
	s_mov_b32 s27, exec_lo
	s_delay_alu instid0(VALU_DEP_2) | instskip(NEXT) | instid1(VALU_DEP_2)
	v_mul_lo_u32 v5, v5, s16
	v_mul_lo_u32 v6, v6, s18
	s_delay_alu instid0(VALU_DEP_1) | instskip(NEXT) | instid1(VALU_DEP_1)
	v_sub_nc_u32_e32 v5, v5, v6
	v_cmp_lt_u32_e64 s11, s20, v5
	v_cmpx_ge_u32_e64 s20, v5
; %bb.32:
	v_add_nc_u32_e32 v5, s22, v11
	v_add_nc_u32_e32 v6, s38, v11
	s_delay_alu instid0(VALU_DEP_2) | instskip(NEXT) | instid1(VALU_DEP_2)
	v_mul_lo_u32 v5, v5, s21
	v_mul_lo_u32 v6, v6, s23
	s_delay_alu instid0(VALU_DEP_1) | instskip(NEXT) | instid1(VALU_DEP_1)
	v_sub_nc_u32_e32 v5, v5, v6
	v_cmp_lt_u32_e64 s12, s39, v5
	s_delay_alu instid0(VALU_DEP_1)
	s_and_b32 s52, s12, exec_lo
; %bb.33:
	s_or_b32 exec_lo, exec_lo, s27
	v_add_nc_u32_e32 v5, s17, v32
	v_add_nc_u32_e32 v6, s19, v32
	s_mov_b32 s27, -1
	s_mov_b32 s49, 0
	s_mov_b32 s33, 0
	v_mul_lo_u32 v5, v5, s16
	v_mul_lo_u32 v6, v6, s18
	s_mov_b32 s54, exec_lo
	s_delay_alu instid0(VALU_DEP_1) | instskip(NEXT) | instid1(VALU_DEP_1)
	v_sub_nc_u32_e32 v5, v5, v6
	v_cmpx_ge_u32_e64 s20, v5
; %bb.34:
	v_add_nc_u32_e32 v5, s22, v32
	v_add_nc_u32_e32 v6, s38, v32
	s_xor_b32 s27, exec_lo, -1
	s_delay_alu instid0(VALU_DEP_2) | instskip(NEXT) | instid1(VALU_DEP_2)
	v_mul_lo_u32 v5, v5, s21
	v_mul_lo_u32 v6, v6, s23
	s_delay_alu instid0(VALU_DEP_1) | instskip(NEXT) | instid1(VALU_DEP_1)
	v_sub_nc_u32_e32 v5, v5, v6
	v_cmp_lt_u32_e64 s12, s39, v5
	s_delay_alu instid0(VALU_DEP_1)
	s_and_b32 s33, s12, exec_lo
; %bb.35:
	s_or_b32 exec_lo, exec_lo, s54
	v_cndmask_b32_e64 v53, 0, 1, s53
	v_cndmask_b32_e64 v56, 0, 1, s11
	;; [unrolled: 1-line block ×22, first 2 shown]
	v_cndmask_b32_e64 v34, 0, 1, vcc_lo
	v_cndmask_b32_e64 v57, 0, 1, s52
	s_and_b32 vcc_lo, exec_lo, s49
	s_add_i32 s4, s40, 0xd00
	s_cbranch_vccnz .LBB773_37
	s_branch .LBB773_90
.LBB773_36:
                                        ; implicit-def: $sgpr27
                                        ; implicit-def: $sgpr33
                                        ; implicit-def: $vgpr57
                                        ; implicit-def: $vgpr53
                                        ; implicit-def: $vgpr52
                                        ; implicit-def: $vgpr50
                                        ; implicit-def: $vgpr48
                                        ; implicit-def: $vgpr46
                                        ; implicit-def: $vgpr44
                                        ; implicit-def: $vgpr42
                                        ; implicit-def: $vgpr39
                                        ; implicit-def: $vgpr34
                                        ; implicit-def: $vgpr37
                                        ; implicit-def: $vgpr36
                                        ; implicit-def: $vgpr41
                                        ; implicit-def: $vgpr43
                                        ; implicit-def: $vgpr45
                                        ; implicit-def: $vgpr47
                                        ; implicit-def: $vgpr49
                                        ; implicit-def: $vgpr51
                                        ; implicit-def: $vgpr54
                                        ; implicit-def: $vgpr55
                                        ; implicit-def: $vgpr56
                                        ; implicit-def: $vgpr35
                                        ; implicit-def: $vgpr40
                                        ; implicit-def: $vgpr38
	s_add_i32 s4, s40, 0xd00
	s_cbranch_execz .LBB773_90
.LBB773_37:
	v_dual_mov_b32 v35, 0 :: v_dual_mov_b32 v34, 0
	s_mov_b32 s3, 0
	s_mov_b32 s1, exec_lo
	v_cmpx_gt_u32_e64 s4, v33
	s_cbranch_execz .LBB773_41
; %bb.38:
	v_add_nc_u32_e32 v5, s17, v20
	v_add_nc_u32_e32 v6, s19, v20
	s_mov_b32 s5, exec_lo
	s_delay_alu instid0(VALU_DEP_2) | instskip(NEXT) | instid1(VALU_DEP_2)
	v_mul_lo_u32 v5, v5, s16
	v_mul_lo_u32 v6, v6, s18
	s_delay_alu instid0(VALU_DEP_1) | instskip(NEXT) | instid1(VALU_DEP_1)
	v_sub_nc_u32_e32 v5, v5, v6
	v_cmp_lt_u32_e32 vcc_lo, s20, v5
	v_cmpx_ge_u32_e64 s20, v5
; %bb.39:
	v_add_nc_u32_e32 v5, s22, v20
	v_add_nc_u32_e32 v6, s38, v20
	s_delay_alu instid0(VALU_DEP_2) | instskip(NEXT) | instid1(VALU_DEP_2)
	v_mul_lo_u32 v5, v5, s21
	v_mul_lo_u32 v6, v6, s23
	s_delay_alu instid0(VALU_DEP_1) | instskip(NEXT) | instid1(VALU_DEP_1)
	v_sub_nc_u32_e32 v5, v5, v6
	v_cmp_lt_u32_e64 s0, s39, v5
	s_delay_alu instid0(VALU_DEP_1)
	s_and_b32 s3, s0, exec_lo
; %bb.40:
	s_or_b32 exec_lo, exec_lo, s5
	v_cndmask_b32_e64 v34, 0, 1, vcc_lo
	v_cndmask_b32_e64 v35, 0, 1, s3
.LBB773_41:
	s_or_b32 exec_lo, exec_lo, s1
	v_dual_mov_b32 v40, 0 :: v_dual_add_nc_u32 v5, 1, v33
	v_mov_b32_e32 v37, 0
	s_mov_b32 s3, 0
	s_mov_b32 s1, exec_lo
	s_delay_alu instid0(VALU_DEP_2)
	v_cmpx_gt_u32_e64 s4, v5
	s_cbranch_execz .LBB773_45
; %bb.42:
	v_add_nc_u32_e32 v5, s17, v21
	v_add_nc_u32_e32 v6, s19, v21
	s_mov_b32 s5, exec_lo
	s_delay_alu instid0(VALU_DEP_2) | instskip(NEXT) | instid1(VALU_DEP_2)
	v_mul_lo_u32 v5, v5, s16
	v_mul_lo_u32 v6, v6, s18
	s_delay_alu instid0(VALU_DEP_1) | instskip(NEXT) | instid1(VALU_DEP_1)
	v_sub_nc_u32_e32 v5, v5, v6
	v_cmp_lt_u32_e32 vcc_lo, s20, v5
	v_cmpx_ge_u32_e64 s20, v5
; %bb.43:
	v_add_nc_u32_e32 v5, s22, v21
	v_add_nc_u32_e32 v6, s38, v21
	s_delay_alu instid0(VALU_DEP_2) | instskip(NEXT) | instid1(VALU_DEP_2)
	v_mul_lo_u32 v5, v5, s21
	v_mul_lo_u32 v6, v6, s23
	s_delay_alu instid0(VALU_DEP_1) | instskip(NEXT) | instid1(VALU_DEP_1)
	v_sub_nc_u32_e32 v5, v5, v6
	v_cmp_lt_u32_e64 s0, s39, v5
	s_delay_alu instid0(VALU_DEP_1)
	s_and_b32 s3, s0, exec_lo
; %bb.44:
	s_or_b32 exec_lo, exec_lo, s5
	v_cndmask_b32_e64 v37, 0, 1, vcc_lo
	v_cndmask_b32_e64 v40, 0, 1, s3
.LBB773_45:
	s_or_b32 exec_lo, exec_lo, s1
	v_dual_mov_b32 v36, 0 :: v_dual_add_nc_u32 v5, 2, v33
	v_mov_b32_e32 v38, 0
	s_mov_b32 s3, 0
	s_mov_b32 s1, exec_lo
	s_delay_alu instid0(VALU_DEP_2)
	v_cmpx_gt_u32_e64 s4, v5
	s_cbranch_execz .LBB773_49
; %bb.46:
	v_add_nc_u32_e32 v5, s17, v18
	v_add_nc_u32_e32 v6, s19, v18
	s_mov_b32 s5, exec_lo
	s_delay_alu instid0(VALU_DEP_2) | instskip(NEXT) | instid1(VALU_DEP_2)
	v_mul_lo_u32 v5, v5, s16
	v_mul_lo_u32 v6, v6, s18
	s_delay_alu instid0(VALU_DEP_1) | instskip(NEXT) | instid1(VALU_DEP_1)
	v_sub_nc_u32_e32 v5, v5, v6
	v_cmp_lt_u32_e32 vcc_lo, s20, v5
	v_cmpx_ge_u32_e64 s20, v5
; %bb.47:
	v_add_nc_u32_e32 v5, s22, v18
	v_add_nc_u32_e32 v6, s38, v18
	s_delay_alu instid0(VALU_DEP_2) | instskip(NEXT) | instid1(VALU_DEP_2)
	v_mul_lo_u32 v5, v5, s21
	v_mul_lo_u32 v6, v6, s23
	s_delay_alu instid0(VALU_DEP_1) | instskip(NEXT) | instid1(VALU_DEP_1)
	v_sub_nc_u32_e32 v5, v5, v6
	v_cmp_lt_u32_e64 s0, s39, v5
	s_delay_alu instid0(VALU_DEP_1)
	s_and_b32 s3, s0, exec_lo
; %bb.48:
	s_or_b32 exec_lo, exec_lo, s5
	v_cndmask_b32_e64 v36, 0, 1, vcc_lo
	v_cndmask_b32_e64 v38, 0, 1, s3
.LBB773_49:
	s_or_b32 exec_lo, exec_lo, s1
	v_add_nc_u32_e32 v5, 3, v33
	v_mov_b32_e32 v39, 0
	v_mov_b32_e32 v41, 0
	s_mov_b32 s3, 0
	s_mov_b32 s1, exec_lo
	v_cmpx_gt_u32_e64 s4, v5
	s_cbranch_execz .LBB773_53
; %bb.50:
	v_add_nc_u32_e32 v5, s17, v19
	v_add_nc_u32_e32 v6, s19, v19
	s_mov_b32 s5, exec_lo
	s_delay_alu instid0(VALU_DEP_2) | instskip(NEXT) | instid1(VALU_DEP_2)
	v_mul_lo_u32 v5, v5, s16
	v_mul_lo_u32 v6, v6, s18
	s_delay_alu instid0(VALU_DEP_1) | instskip(NEXT) | instid1(VALU_DEP_1)
	v_sub_nc_u32_e32 v5, v5, v6
	v_cmp_lt_u32_e32 vcc_lo, s20, v5
	v_cmpx_ge_u32_e64 s20, v5
; %bb.51:
	v_add_nc_u32_e32 v5, s22, v19
	v_add_nc_u32_e32 v6, s38, v19
	s_delay_alu instid0(VALU_DEP_2) | instskip(NEXT) | instid1(VALU_DEP_2)
	v_mul_lo_u32 v5, v5, s21
	v_mul_lo_u32 v6, v6, s23
	s_delay_alu instid0(VALU_DEP_1) | instskip(NEXT) | instid1(VALU_DEP_1)
	v_sub_nc_u32_e32 v5, v5, v6
	v_cmp_lt_u32_e64 s0, s39, v5
	s_delay_alu instid0(VALU_DEP_1)
	s_and_b32 s3, s0, exec_lo
; %bb.52:
	s_or_b32 exec_lo, exec_lo, s5
	v_cndmask_b32_e64 v41, 0, 1, vcc_lo
	v_cndmask_b32_e64 v39, 0, 1, s3
.LBB773_53:
	s_or_b32 exec_lo, exec_lo, s1
	v_dual_mov_b32 v42, 0 :: v_dual_add_nc_u32 v5, 4, v33
	v_mov_b32_e32 v43, 0
	s_mov_b32 s3, 0
	s_mov_b32 s1, exec_lo
	s_delay_alu instid0(VALU_DEP_2)
	v_cmpx_gt_u32_e64 s4, v5
	s_cbranch_execz .LBB773_57
; %bb.54:
	v_add_nc_u32_e32 v5, s17, v16
	v_add_nc_u32_e32 v6, s19, v16
	s_mov_b32 s5, exec_lo
	s_delay_alu instid0(VALU_DEP_2) | instskip(NEXT) | instid1(VALU_DEP_2)
	v_mul_lo_u32 v5, v5, s16
	v_mul_lo_u32 v6, v6, s18
	s_delay_alu instid0(VALU_DEP_1) | instskip(NEXT) | instid1(VALU_DEP_1)
	v_sub_nc_u32_e32 v5, v5, v6
	v_cmp_lt_u32_e32 vcc_lo, s20, v5
	v_cmpx_ge_u32_e64 s20, v5
; %bb.55:
	v_add_nc_u32_e32 v5, s22, v16
	v_add_nc_u32_e32 v6, s38, v16
	s_delay_alu instid0(VALU_DEP_2) | instskip(NEXT) | instid1(VALU_DEP_2)
	v_mul_lo_u32 v5, v5, s21
	v_mul_lo_u32 v6, v6, s23
	s_delay_alu instid0(VALU_DEP_1) | instskip(NEXT) | instid1(VALU_DEP_1)
	v_sub_nc_u32_e32 v5, v5, v6
	v_cmp_lt_u32_e64 s0, s39, v5
	s_delay_alu instid0(VALU_DEP_1)
	s_and_b32 s3, s0, exec_lo
; %bb.56:
	s_or_b32 exec_lo, exec_lo, s5
	v_cndmask_b32_e64 v43, 0, 1, vcc_lo
	v_cndmask_b32_e64 v42, 0, 1, s3
.LBB773_57:
	s_or_b32 exec_lo, exec_lo, s1
	v_dual_mov_b32 v44, 0 :: v_dual_add_nc_u32 v5, 5, v33
	v_mov_b32_e32 v45, 0
	s_mov_b32 s3, 0
	s_mov_b32 s1, exec_lo
	s_delay_alu instid0(VALU_DEP_2)
	;; [unrolled: 35-line block ×6, first 2 shown]
	v_cmpx_gt_u32_e64 s4, v5
	s_cbranch_execz .LBB773_77
; %bb.74:
	v_add_nc_u32_e32 v5, s17, v13
	v_add_nc_u32_e32 v6, s19, v13
	s_mov_b32 s5, exec_lo
	s_delay_alu instid0(VALU_DEP_2) | instskip(NEXT) | instid1(VALU_DEP_2)
	v_mul_lo_u32 v5, v5, s16
	v_mul_lo_u32 v6, v6, s18
	s_delay_alu instid0(VALU_DEP_1) | instskip(NEXT) | instid1(VALU_DEP_1)
	v_sub_nc_u32_e32 v5, v5, v6
	v_cmp_lt_u32_e32 vcc_lo, s20, v5
	v_cmpx_ge_u32_e64 s20, v5
; %bb.75:
	v_add_nc_u32_e32 v5, s22, v13
	v_add_nc_u32_e32 v6, s38, v13
	s_delay_alu instid0(VALU_DEP_2) | instskip(NEXT) | instid1(VALU_DEP_2)
	v_mul_lo_u32 v5, v5, s21
	v_mul_lo_u32 v6, v6, s23
	s_delay_alu instid0(VALU_DEP_1) | instskip(NEXT) | instid1(VALU_DEP_1)
	v_sub_nc_u32_e32 v5, v5, v6
	v_cmp_lt_u32_e64 s0, s39, v5
	s_delay_alu instid0(VALU_DEP_1)
	s_and_b32 s3, s0, exec_lo
; %bb.76:
	s_or_b32 exec_lo, exec_lo, s5
	v_cndmask_b32_e64 v54, 0, 1, vcc_lo
	v_cndmask_b32_e64 v52, 0, 1, s3
.LBB773_77:
	s_or_b32 exec_lo, exec_lo, s1
	v_add_nc_u32_e32 v5, 10, v33
	v_mov_b32_e32 v53, 0
	v_mov_b32_e32 v55, 0
	s_mov_b32 s3, 0
	s_mov_b32 s1, exec_lo
	v_cmpx_gt_u32_e64 s4, v5
	s_cbranch_execz .LBB773_81
; %bb.78:
	v_add_nc_u32_e32 v5, s17, v10
	v_add_nc_u32_e32 v6, s19, v10
	s_mov_b32 s5, exec_lo
	s_delay_alu instid0(VALU_DEP_2) | instskip(NEXT) | instid1(VALU_DEP_2)
	v_mul_lo_u32 v5, v5, s16
	v_mul_lo_u32 v6, v6, s18
	s_delay_alu instid0(VALU_DEP_1) | instskip(NEXT) | instid1(VALU_DEP_1)
	v_sub_nc_u32_e32 v5, v5, v6
	v_cmp_lt_u32_e32 vcc_lo, s20, v5
	v_cmpx_ge_u32_e64 s20, v5
; %bb.79:
	v_add_nc_u32_e32 v5, s22, v10
	v_add_nc_u32_e32 v6, s38, v10
	s_delay_alu instid0(VALU_DEP_2) | instskip(NEXT) | instid1(VALU_DEP_2)
	v_mul_lo_u32 v5, v5, s21
	v_mul_lo_u32 v6, v6, s23
	s_delay_alu instid0(VALU_DEP_1) | instskip(NEXT) | instid1(VALU_DEP_1)
	v_sub_nc_u32_e32 v5, v5, v6
	v_cmp_lt_u32_e64 s0, s39, v5
	s_delay_alu instid0(VALU_DEP_1)
	s_and_b32 s3, s0, exec_lo
; %bb.80:
	s_or_b32 exec_lo, exec_lo, s5
	v_cndmask_b32_e64 v55, 0, 1, vcc_lo
	v_cndmask_b32_e64 v53, 0, 1, s3
.LBB773_81:
	s_or_b32 exec_lo, exec_lo, s1
	v_dual_mov_b32 v56, 0 :: v_dual_add_nc_u32 v5, 11, v33
	v_mov_b32_e32 v57, 0
	s_mov_b32 s3, 0
	s_mov_b32 s1, exec_lo
	s_delay_alu instid0(VALU_DEP_2)
	v_cmpx_gt_u32_e64 s4, v5
	s_cbranch_execz .LBB773_85
; %bb.82:
	v_add_nc_u32_e32 v5, s17, v11
	v_add_nc_u32_e32 v6, s19, v11
	s_mov_b32 s5, exec_lo
	s_delay_alu instid0(VALU_DEP_2) | instskip(NEXT) | instid1(VALU_DEP_2)
	v_mul_lo_u32 v5, v5, s16
	v_mul_lo_u32 v6, v6, s18
	s_delay_alu instid0(VALU_DEP_1) | instskip(NEXT) | instid1(VALU_DEP_1)
	v_sub_nc_u32_e32 v5, v5, v6
	v_cmp_lt_u32_e32 vcc_lo, s20, v5
	v_cmpx_ge_u32_e64 s20, v5
; %bb.83:
	v_add_nc_u32_e32 v5, s22, v11
	v_add_nc_u32_e32 v6, s38, v11
	s_delay_alu instid0(VALU_DEP_2) | instskip(NEXT) | instid1(VALU_DEP_2)
	v_mul_lo_u32 v5, v5, s21
	v_mul_lo_u32 v6, v6, s23
	s_delay_alu instid0(VALU_DEP_1) | instskip(NEXT) | instid1(VALU_DEP_1)
	v_sub_nc_u32_e32 v5, v5, v6
	v_cmp_lt_u32_e64 s0, s39, v5
	s_delay_alu instid0(VALU_DEP_1)
	s_and_b32 s3, s0, exec_lo
; %bb.84:
	s_or_b32 exec_lo, exec_lo, s5
	v_cndmask_b32_e64 v56, 0, 1, vcc_lo
	v_cndmask_b32_e64 v57, 0, 1, s3
.LBB773_85:
	s_or_b32 exec_lo, exec_lo, s1
	v_add_nc_u32_e32 v5, 12, v33
	s_mov_b32 s27, 0
	s_mov_b32 s33, 0
	s_mov_b32 s0, exec_lo
	s_delay_alu instid0(VALU_DEP_1)
	v_cmpx_gt_u32_e64 s4, v5
	s_cbranch_execz .LBB773_89
; %bb.86:
	v_add_nc_u32_e32 v5, s17, v32
	v_add_nc_u32_e32 v6, s19, v32
	s_mov_b32 s3, -1
	s_mov_b32 s5, 0
	s_mov_b32 s1, exec_lo
	v_mul_lo_u32 v5, v5, s16
	v_mul_lo_u32 v6, v6, s18
	s_delay_alu instid0(VALU_DEP_1) | instskip(NEXT) | instid1(VALU_DEP_1)
	v_sub_nc_u32_e32 v5, v5, v6
	v_cmpx_ge_u32_e64 s20, v5
; %bb.87:
	v_add_nc_u32_e32 v5, s22, v32
	v_add_nc_u32_e32 v6, s38, v32
	s_xor_b32 s3, exec_lo, -1
	s_delay_alu instid0(VALU_DEP_2) | instskip(NEXT) | instid1(VALU_DEP_2)
	v_mul_lo_u32 v5, v5, s21
	v_mul_lo_u32 v6, v6, s23
	s_delay_alu instid0(VALU_DEP_1) | instskip(NEXT) | instid1(VALU_DEP_1)
	v_sub_nc_u32_e32 v5, v5, v6
	v_cmp_lt_u32_e32 vcc_lo, s39, v5
	s_and_b32 s5, vcc_lo, exec_lo
; %bb.88:
	s_or_b32 exec_lo, exec_lo, s1
	s_delay_alu instid0(SALU_CYCLE_1)
	s_and_b32 s33, s5, exec_lo
	s_and_b32 s27, s3, exec_lo
.LBB773_89:
	s_or_b32 exec_lo, exec_lo, s0
.LBB773_90:
	v_and_b32_e32 v80, 0xff, v34
	v_and_b32_e32 v81, 0xff, v35
	;; [unrolled: 1-line block ×10, first 2 shown]
	v_add3_u32 v5, v76, v78, v80
	v_add3_u32 v6, v77, v79, v81
	v_and_b32_e32 v70, 0xff, v45
	v_and_b32_e32 v71, 0xff, v44
	v_and_b32_e32 v64, 0xff, v47
	v_and_b32_e32 v65, 0xff, v46
	v_add3_u32 v5, v5, v74, v72
	v_add3_u32 v6, v6, v75, v73
	v_and_b32_e32 v68, 0xff, v49
	v_and_b32_e32 v69, 0xff, v48
	v_and_b32_e32 v66, 0xff, v51
	v_and_b32_e32 v67, 0xff, v50
	;; [unrolled: 6-line block ×3, first 2 shown]
	v_add3_u32 v5, v5, v68, v66
	v_add3_u32 v6, v6, v69, v67
	v_mbcnt_lo_u32_b32 v82, -1, 0
	v_and_b32_e32 v58, 0xff, v56
	v_and_b32_e32 v59, 0xff, v57
	v_cndmask_b32_e64 v7, 0, 1, s33
	v_add3_u32 v5, v5, v61, v60
	v_cndmask_b32_e64 v8, 0, 1, s27
	v_add3_u32 v6, v6, v62, v63
	v_and_b32_e32 v86, 15, v82
	v_and_b32_e32 v85, 16, v82
	v_lshrrev_b32_e32 v83, 5, v0
	v_add3_u32 v87, v5, v58, v8
	v_add3_u32 v88, v6, v59, v7
	v_cmp_eq_u32_e64 s1, 0, v86
	v_cmp_lt_u32_e64 s0, 1, v86
	v_cmp_lt_u32_e64 s3, 3, v86
	v_cmp_lt_u32_e32 vcc_lo, 7, v86
	v_or_b32_e32 v84, 31, v0
	s_cmp_lg_u32 s26, 0
	s_mov_b32 s5, -1
	s_cbranch_scc0 .LBB773_118
; %bb.91:
	v_mov_b32_dpp v5, v88 row_shr:1 row_mask:0xf bank_mask:0xf
	v_mov_b32_dpp v6, v87 row_shr:1 row_mask:0xf bank_mask:0xf
	s_delay_alu instid0(VALU_DEP_2) | instskip(NEXT) | instid1(VALU_DEP_2)
	v_add_nc_u32_e32 v5, v5, v88
	v_add_nc_u32_e32 v6, v6, v87
	s_delay_alu instid0(VALU_DEP_2) | instskip(NEXT) | instid1(VALU_DEP_2)
	v_cndmask_b32_e64 v5, v5, v88, s1
	v_cndmask_b32_e64 v6, v6, v87, s1
	s_delay_alu instid0(VALU_DEP_2) | instskip(NEXT) | instid1(VALU_DEP_2)
	v_mov_b32_dpp v7, v5 row_shr:2 row_mask:0xf bank_mask:0xf
	v_mov_b32_dpp v8, v6 row_shr:2 row_mask:0xf bank_mask:0xf
	s_delay_alu instid0(VALU_DEP_2) | instskip(NEXT) | instid1(VALU_DEP_1)
	v_add_nc_u32_e32 v7, v5, v7
	v_cndmask_b32_e64 v5, v5, v7, s0
	s_delay_alu instid0(VALU_DEP_1) | instskip(NEXT) | instid1(VALU_DEP_1)
	v_mov_b32_dpp v7, v5 row_shr:4 row_mask:0xf bank_mask:0xf
	v_add_nc_u32_e32 v7, v5, v7
	s_delay_alu instid0(VALU_DEP_1) | instskip(NEXT) | instid1(VALU_DEP_1)
	v_cndmask_b32_e64 v5, v5, v7, s3
	v_mov_b32_dpp v7, v5 row_shr:8 row_mask:0xf bank_mask:0xf
	s_delay_alu instid0(VALU_DEP_1) | instskip(NEXT) | instid1(VALU_DEP_1)
	v_add_nc_u32_e32 v7, v5, v7
	v_dual_cndmask_b32 v5, v5, v7 :: v_dual_add_nc_u32 v8, v6, v8
	s_delay_alu instid0(VALU_DEP_1) | instskip(NEXT) | instid1(VALU_DEP_1)
	v_cndmask_b32_e64 v6, v6, v8, s0
	v_mov_b32_dpp v8, v6 row_shr:4 row_mask:0xf bank_mask:0xf
	s_delay_alu instid0(VALU_DEP_1) | instskip(NEXT) | instid1(VALU_DEP_1)
	v_add_nc_u32_e32 v8, v6, v8
	v_cndmask_b32_e64 v6, v6, v8, s3
	s_mov_b32 s3, exec_lo
	s_delay_alu instid0(VALU_DEP_1) | instskip(NEXT) | instid1(VALU_DEP_1)
	v_mov_b32_dpp v8, v6 row_shr:8 row_mask:0xf bank_mask:0xf
	v_add_nc_u32_e32 v8, v6, v8
	s_delay_alu instid0(VALU_DEP_1)
	v_cndmask_b32_e32 v7, v6, v8, vcc_lo
	ds_swizzle_b32 v6, v5 offset:swizzle(BROADCAST,32,15)
	v_cmp_eq_u32_e32 vcc_lo, 0, v85
	s_waitcnt lgkmcnt(0)
	v_add_nc_u32_e32 v6, v5, v6
	ds_swizzle_b32 v8, v7 offset:swizzle(BROADCAST,32,15)
	v_cndmask_b32_e32 v6, v6, v5, vcc_lo
	s_waitcnt lgkmcnt(0)
	v_add_nc_u32_e32 v8, v7, v8
	s_delay_alu instid0(VALU_DEP_1)
	v_cndmask_b32_e32 v5, v8, v7, vcc_lo
	v_cmpx_eq_u32_e64 v84, v0
	s_cbranch_execz .LBB773_93
; %bb.92:
	v_lshlrev_b32_e32 v7, 3, v83
	ds_store_b64 v7, v[5:6]
.LBB773_93:
	s_or_b32 exec_lo, exec_lo, s3
	s_delay_alu instid0(SALU_CYCLE_1)
	s_mov_b32 s3, exec_lo
	s_waitcnt lgkmcnt(0)
	s_barrier
	buffer_gl0_inv
	v_cmpx_gt_u32_e32 8, v0
	s_cbranch_execz .LBB773_95
; %bb.94:
	v_lshlrev_b32_e32 v9, 3, v0
	ds_load_b64 v[7:8], v9
	s_waitcnt lgkmcnt(0)
	v_mov_b32_dpp v22, v7 row_shr:1 row_mask:0xf bank_mask:0xf
	v_mov_b32_dpp v23, v8 row_shr:1 row_mask:0xf bank_mask:0xf
	s_delay_alu instid0(VALU_DEP_2) | instskip(SKIP_1) | instid1(VALU_DEP_3)
	v_add_nc_u32_e32 v22, v22, v7
	v_and_b32_e32 v24, 7, v82
	v_add_nc_u32_e32 v23, v23, v8
	s_delay_alu instid0(VALU_DEP_2) | instskip(NEXT) | instid1(VALU_DEP_2)
	v_cmp_eq_u32_e32 vcc_lo, 0, v24
	v_dual_cndmask_b32 v8, v23, v8 :: v_dual_cndmask_b32 v7, v22, v7
	v_cmp_lt_u32_e32 vcc_lo, 1, v24
	s_delay_alu instid0(VALU_DEP_2) | instskip(NEXT) | instid1(VALU_DEP_3)
	v_mov_b32_dpp v23, v8 row_shr:2 row_mask:0xf bank_mask:0xf
	v_mov_b32_dpp v22, v7 row_shr:2 row_mask:0xf bank_mask:0xf
	s_delay_alu instid0(VALU_DEP_2) | instskip(NEXT) | instid1(VALU_DEP_2)
	v_add_nc_u32_e32 v23, v8, v23
	v_add_nc_u32_e32 v22, v7, v22
	s_delay_alu instid0(VALU_DEP_1) | instskip(SKIP_1) | instid1(VALU_DEP_2)
	v_dual_cndmask_b32 v8, v8, v23 :: v_dual_cndmask_b32 v7, v7, v22
	v_cmp_lt_u32_e32 vcc_lo, 3, v24
	v_mov_b32_dpp v23, v8 row_shr:4 row_mask:0xf bank_mask:0xf
	s_delay_alu instid0(VALU_DEP_3) | instskip(NEXT) | instid1(VALU_DEP_1)
	v_mov_b32_dpp v22, v7 row_shr:4 row_mask:0xf bank_mask:0xf
	v_dual_cndmask_b32 v23, 0, v23 :: v_dual_cndmask_b32 v22, 0, v22
	s_delay_alu instid0(VALU_DEP_1) | instskip(NEXT) | instid1(VALU_DEP_2)
	v_add_nc_u32_e32 v8, v23, v8
	v_add_nc_u32_e32 v7, v22, v7
	ds_store_b64 v9, v[7:8]
.LBB773_95:
	s_or_b32 exec_lo, exec_lo, s3
	v_cmp_gt_u32_e32 vcc_lo, 32, v0
	v_cmp_lt_u32_e64 s3, 31, v0
	s_waitcnt lgkmcnt(0)
	s_barrier
	buffer_gl0_inv
                                        ; implicit-def: $vgpr23
	s_and_saveexec_b32 s5, s3
	s_delay_alu instid0(SALU_CYCLE_1)
	s_xor_b32 s3, exec_lo, s5
	s_cbranch_execz .LBB773_97
; %bb.96:
	v_lshl_add_u32 v7, v83, 3, -8
	ds_load_b64 v[22:23], v7
	s_waitcnt lgkmcnt(0)
	v_add_nc_u32_e32 v6, v23, v6
	v_add_nc_u32_e32 v5, v22, v5
.LBB773_97:
	s_and_not1_saveexec_b32 s3, s3
; %bb.98:
                                        ; implicit-def: $vgpr22
; %bb.99:
	s_delay_alu instid0(SALU_CYCLE_1) | instskip(SKIP_1) | instid1(VALU_DEP_1)
	s_or_b32 exec_lo, exec_lo, s3
	v_add_nc_u32_e32 v7, -1, v82
	v_cmp_gt_i32_e64 s3, 0, v7
	s_delay_alu instid0(VALU_DEP_1) | instskip(SKIP_1) | instid1(VALU_DEP_2)
	v_cndmask_b32_e64 v7, v7, v82, s3
	v_cmp_eq_u32_e64 s3, 0, v82
	v_lshlrev_b32_e32 v7, 2, v7
	ds_bpermute_b32 v89, v7, v5
	ds_bpermute_b32 v90, v7, v6
	s_and_saveexec_b32 s5, vcc_lo
	s_cbranch_execz .LBB773_117
; %bb.100:
	v_mov_b32_e32 v8, 0
	ds_load_b64 v[5:6], v8 offset:56
	s_waitcnt lgkmcnt(0)
	v_readfirstlane_b32 s6, v6
	s_and_saveexec_b32 s7, s3
	s_cbranch_execz .LBB773_102
; %bb.101:
	s_add_i32 s8, s26, 32
	s_mov_b32 s9, 0
	v_mov_b32_e32 v7, 1
	s_lshl_b64 s[10:11], s[8:9], 4
	s_mov_b32 s16, s9
	s_add_u32 s10, s36, s10
	s_addc_u32 s11, s37, s11
	s_and_b32 s17, s6, 0xff000000
	s_and_b32 s19, s6, 0xff0000
	s_mov_b32 s18, s9
	v_dual_mov_b32 v25, s11 :: v_dual_mov_b32 v24, s10
	s_or_b64 s[16:17], s[18:19], s[16:17]
	s_and_b32 s19, s6, 0xff00
	s_delay_alu instid0(SALU_CYCLE_1) | instskip(SKIP_1) | instid1(SALU_CYCLE_1)
	s_or_b64 s[16:17], s[16:17], s[18:19]
	s_and_b32 s19, s6, 0xff
	s_or_b64 s[8:9], s[16:17], s[18:19]
	s_delay_alu instid0(SALU_CYCLE_1)
	v_mov_b32_e32 v6, s9
	;;#ASMSTART
	global_store_dwordx4 v[24:25], v[5:8] off	
s_waitcnt vmcnt(0)
	;;#ASMEND
.LBB773_102:
	s_or_b32 exec_lo, exec_lo, s7
	v_xad_u32 v24, v82, -1, s26
	s_mov_b32 s8, 0
	s_mov_b32 s7, exec_lo
	s_delay_alu instid0(VALU_DEP_1) | instskip(NEXT) | instid1(VALU_DEP_1)
	v_add_nc_u32_e32 v7, 32, v24
	v_lshlrev_b64 v[6:7], 4, v[7:8]
	s_delay_alu instid0(VALU_DEP_1) | instskip(NEXT) | instid1(VALU_DEP_2)
	v_add_co_u32 v25, vcc_lo, s36, v6
	v_add_co_ci_u32_e32 v26, vcc_lo, s37, v7, vcc_lo
	;;#ASMSTART
	global_load_dwordx4 v[6:9], v[25:26] off glc	
s_waitcnt vmcnt(0)
	;;#ASMEND
	v_and_b32_e32 v9, 0xff, v7
	v_and_b32_e32 v27, 0xff00, v7
	v_or3_b32 v6, v6, 0, 0
	v_and_b32_e32 v28, 0xff000000, v7
	v_and_b32_e32 v7, 0xff0000, v7
	s_delay_alu instid0(VALU_DEP_4) | instskip(SKIP_2) | instid1(VALU_DEP_3)
	v_or3_b32 v9, 0, v9, v27
	v_and_b32_e32 v27, 0xff, v8
	v_or3_b32 v6, v6, 0, 0
	v_or3_b32 v7, v9, v7, v28
	s_delay_alu instid0(VALU_DEP_3)
	v_cmpx_eq_u16_e32 0, v27
	s_cbranch_execz .LBB773_105
.LBB773_103:                            ; =>This Inner Loop Header: Depth=1
	;;#ASMSTART
	global_load_dwordx4 v[6:9], v[25:26] off glc	
s_waitcnt vmcnt(0)
	;;#ASMEND
	v_and_b32_e32 v9, 0xff, v8
	s_delay_alu instid0(VALU_DEP_1) | instskip(SKIP_1) | instid1(SALU_CYCLE_1)
	v_cmp_ne_u16_e32 vcc_lo, 0, v9
	s_or_b32 s8, vcc_lo, s8
	s_and_not1_b32 exec_lo, exec_lo, s8
	s_cbranch_execnz .LBB773_103
; %bb.104:
	s_or_b32 exec_lo, exec_lo, s8
.LBB773_105:
	s_delay_alu instid0(SALU_CYCLE_1) | instskip(SKIP_3) | instid1(VALU_DEP_1)
	s_or_b32 exec_lo, exec_lo, s7
	v_cmp_ne_u32_e32 vcc_lo, 31, v82
	v_lshlrev_b32_e64 v92, v82, -1
	v_add_co_ci_u32_e32 v9, vcc_lo, 0, v82, vcc_lo
	v_lshlrev_b32_e32 v91, 2, v9
	ds_bpermute_b32 v25, v91, v7
	ds_bpermute_b32 v9, v91, v6
	s_waitcnt lgkmcnt(1)
	v_add_nc_u32_e32 v25, v25, v7
	v_and_b32_e32 v26, 0xff, v8
	s_waitcnt lgkmcnt(0)
	v_add_nc_u32_e32 v9, v9, v6
	s_delay_alu instid0(VALU_DEP_2) | instskip(SKIP_2) | instid1(VALU_DEP_2)
	v_cmp_eq_u16_e32 vcc_lo, 2, v26
	v_and_or_b32 v26, vcc_lo, v92, 0x80000000
	v_cmp_gt_u32_e32 vcc_lo, 30, v82
	v_ctz_i32_b32_e32 v26, v26
	v_cndmask_b32_e64 v27, 0, 1, vcc_lo
	s_delay_alu instid0(VALU_DEP_2) | instskip(NEXT) | instid1(VALU_DEP_2)
	v_cmp_lt_u32_e32 vcc_lo, v82, v26
	v_dual_cndmask_b32 v6, v6, v9 :: v_dual_lshlrev_b32 v27, 1, v27
	s_delay_alu instid0(VALU_DEP_1)
	v_add_lshl_u32 v93, v27, v82, 2
	v_cndmask_b32_e32 v7, v7, v25, vcc_lo
	v_cmp_gt_u32_e32 vcc_lo, 28, v82
	ds_bpermute_b32 v9, v93, v6
	ds_bpermute_b32 v25, v93, v7
	v_cndmask_b32_e64 v27, 0, 1, vcc_lo
	s_waitcnt lgkmcnt(1)
	v_add_nc_u32_e32 v9, v6, v9
	s_waitcnt lgkmcnt(0)
	v_add_nc_u32_e32 v25, v7, v25
	v_add_nc_u32_e32 v94, 2, v82
	s_delay_alu instid0(VALU_DEP_1) | instskip(NEXT) | instid1(VALU_DEP_3)
	v_cmp_gt_u32_e32 vcc_lo, v94, v26
	v_cndmask_b32_e32 v7, v25, v7, vcc_lo
	v_dual_cndmask_b32 v6, v9, v6 :: v_dual_lshlrev_b32 v27, 2, v27
	v_cmp_gt_u32_e32 vcc_lo, 24, v82
	s_delay_alu instid0(VALU_DEP_2) | instskip(SKIP_4) | instid1(VALU_DEP_1)
	v_add_lshl_u32 v95, v27, v82, 2
	v_cndmask_b32_e64 v27, 0, 1, vcc_lo
	ds_bpermute_b32 v25, v95, v7
	ds_bpermute_b32 v9, v95, v6
	v_lshlrev_b32_e32 v27, 3, v27
	v_add_lshl_u32 v97, v27, v82, 2
	s_waitcnt lgkmcnt(1)
	v_add_nc_u32_e32 v25, v7, v25
	v_add_nc_u32_e32 v96, 4, v82
	s_waitcnt lgkmcnt(0)
	v_add_nc_u32_e32 v9, v6, v9
	s_delay_alu instid0(VALU_DEP_2) | instskip(SKIP_1) | instid1(VALU_DEP_3)
	v_cmp_gt_u32_e32 vcc_lo, v96, v26
	v_cndmask_b32_e32 v7, v25, v7, vcc_lo
	v_cndmask_b32_e32 v6, v9, v6, vcc_lo
	v_cmp_gt_u32_e32 vcc_lo, 16, v82
	ds_bpermute_b32 v25, v97, v7
	ds_bpermute_b32 v9, v97, v6
	v_cndmask_b32_e64 v27, 0, 1, vcc_lo
	s_delay_alu instid0(VALU_DEP_1) | instskip(NEXT) | instid1(VALU_DEP_1)
	v_lshlrev_b32_e32 v27, 4, v27
	v_add_lshl_u32 v99, v27, v82, 2
	s_waitcnt lgkmcnt(1)
	v_add_nc_u32_e32 v25, v7, v25
	v_add_nc_u32_e32 v98, 8, v82
	s_waitcnt lgkmcnt(0)
	v_add_nc_u32_e32 v9, v6, v9
	s_delay_alu instid0(VALU_DEP_2) | instskip(SKIP_1) | instid1(VALU_DEP_3)
	v_cmp_gt_u32_e32 vcc_lo, v98, v26
	v_cndmask_b32_e32 v7, v25, v7, vcc_lo
	v_cndmask_b32_e32 v6, v9, v6, vcc_lo
	ds_bpermute_b32 v25, v99, v7
	ds_bpermute_b32 v9, v99, v6
	v_add_nc_u32_e32 v100, 16, v82
	s_delay_alu instid0(VALU_DEP_1) | instskip(SKIP_2) | instid1(VALU_DEP_1)
	v_cmp_le_u32_e32 vcc_lo, v100, v26
	s_waitcnt lgkmcnt(0)
	v_cndmask_b32_e32 v9, 0, v9, vcc_lo
	v_dual_cndmask_b32 v25, 0, v25 :: v_dual_add_nc_u32 v6, v9, v6
	s_delay_alu instid0(VALU_DEP_1)
	v_add_nc_u32_e32 v7, v25, v7
	v_mov_b32_e32 v25, 0
	s_branch .LBB773_107
.LBB773_106:                            ;   in Loop: Header=BB773_107 Depth=1
	s_or_b32 exec_lo, exec_lo, s7
	ds_bpermute_b32 v9, v91, v6
	ds_bpermute_b32 v28, v91, v7
	v_subrev_nc_u32_e32 v24, 32, v24
	s_waitcnt lgkmcnt(1)
	v_add_nc_u32_e32 v9, v9, v6
	v_and_b32_e32 v29, 0xff, v8
	s_waitcnt lgkmcnt(0)
	v_add_nc_u32_e32 v28, v28, v7
	s_delay_alu instid0(VALU_DEP_2) | instskip(SKIP_1) | instid1(VALU_DEP_1)
	v_cmp_eq_u16_e32 vcc_lo, 2, v29
	v_and_or_b32 v29, vcc_lo, v92, 0x80000000
	v_ctz_i32_b32_e32 v29, v29
	s_delay_alu instid0(VALU_DEP_1)
	v_cmp_lt_u32_e32 vcc_lo, v82, v29
	v_cndmask_b32_e32 v6, v6, v9, vcc_lo
	ds_bpermute_b32 v9, v93, v6
	s_waitcnt lgkmcnt(0)
	v_add_nc_u32_e32 v9, v6, v9
	v_cndmask_b32_e32 v7, v7, v28, vcc_lo
	v_cmp_gt_u32_e32 vcc_lo, v94, v29
	s_delay_alu instid0(VALU_DEP_3)
	v_cndmask_b32_e32 v6, v9, v6, vcc_lo
	ds_bpermute_b32 v28, v93, v7
	ds_bpermute_b32 v9, v95, v6
	s_waitcnt lgkmcnt(1)
	v_add_nc_u32_e32 v28, v7, v28
	s_waitcnt lgkmcnt(0)
	v_add_nc_u32_e32 v9, v6, v9
	s_delay_alu instid0(VALU_DEP_2) | instskip(SKIP_1) | instid1(VALU_DEP_3)
	v_cndmask_b32_e32 v7, v28, v7, vcc_lo
	v_cmp_gt_u32_e32 vcc_lo, v96, v29
	v_cndmask_b32_e32 v6, v9, v6, vcc_lo
	ds_bpermute_b32 v28, v95, v7
	ds_bpermute_b32 v9, v97, v6
	s_waitcnt lgkmcnt(1)
	v_add_nc_u32_e32 v28, v7, v28
	s_waitcnt lgkmcnt(0)
	v_add_nc_u32_e32 v9, v6, v9
	s_delay_alu instid0(VALU_DEP_2) | instskip(SKIP_1) | instid1(VALU_DEP_3)
	v_cndmask_b32_e32 v7, v28, v7, vcc_lo
	v_cmp_gt_u32_e32 vcc_lo, v98, v29
	v_cndmask_b32_e32 v6, v9, v6, vcc_lo
	ds_bpermute_b32 v28, v97, v7
	ds_bpermute_b32 v9, v99, v6
	s_waitcnt lgkmcnt(1)
	v_add_nc_u32_e32 v28, v7, v28
	s_delay_alu instid0(VALU_DEP_1) | instskip(SKIP_4) | instid1(VALU_DEP_1)
	v_cndmask_b32_e32 v7, v28, v7, vcc_lo
	v_cmp_le_u32_e32 vcc_lo, v100, v29
	ds_bpermute_b32 v28, v99, v7
	s_waitcnt lgkmcnt(1)
	v_cndmask_b32_e32 v9, 0, v9, vcc_lo
	v_add3_u32 v6, v6, v26, v9
	s_waitcnt lgkmcnt(0)
	v_cndmask_b32_e32 v28, 0, v28, vcc_lo
	s_delay_alu instid0(VALU_DEP_1)
	v_add3_u32 v7, v7, v27, v28
.LBB773_107:                            ; =>This Loop Header: Depth=1
                                        ;     Child Loop BB773_110 Depth 2
	s_delay_alu instid0(VALU_DEP_1) | instskip(SKIP_1) | instid1(VALU_DEP_2)
	v_dual_mov_b32 v27, v7 :: v_dual_and_b32 v8, 0xff, v8
	v_mov_b32_e32 v26, v6
	v_cmp_ne_u16_e32 vcc_lo, 2, v8
	v_cndmask_b32_e64 v8, 0, 1, vcc_lo
	;;#ASMSTART
	;;#ASMEND
	s_delay_alu instid0(VALU_DEP_1)
	v_cmp_ne_u32_e32 vcc_lo, 0, v8
	s_cmp_lg_u32 vcc_lo, exec_lo
	s_cbranch_scc1 .LBB773_112
; %bb.108:                              ;   in Loop: Header=BB773_107 Depth=1
	v_lshlrev_b64 v[6:7], 4, v[24:25]
	s_mov_b32 s7, exec_lo
	s_delay_alu instid0(VALU_DEP_1) | instskip(NEXT) | instid1(VALU_DEP_2)
	v_add_co_u32 v28, vcc_lo, s36, v6
	v_add_co_ci_u32_e32 v29, vcc_lo, s37, v7, vcc_lo
	;;#ASMSTART
	global_load_dwordx4 v[6:9], v[28:29] off glc	
s_waitcnt vmcnt(0)
	;;#ASMEND
	v_and_b32_e32 v9, 0xff, v7
	v_and_b32_e32 v101, 0xff00, v7
	v_or3_b32 v6, v6, 0, 0
	v_and_b32_e32 v102, 0xff000000, v7
	v_and_b32_e32 v7, 0xff0000, v7
	s_delay_alu instid0(VALU_DEP_4) | instskip(SKIP_2) | instid1(VALU_DEP_3)
	v_or3_b32 v9, 0, v9, v101
	v_and_b32_e32 v101, 0xff, v8
	v_or3_b32 v6, v6, 0, 0
	v_or3_b32 v7, v9, v7, v102
	s_delay_alu instid0(VALU_DEP_3)
	v_cmpx_eq_u16_e32 0, v101
	s_cbranch_execz .LBB773_106
; %bb.109:                              ;   in Loop: Header=BB773_107 Depth=1
	s_mov_b32 s8, 0
.LBB773_110:                            ;   Parent Loop BB773_107 Depth=1
                                        ; =>  This Inner Loop Header: Depth=2
	;;#ASMSTART
	global_load_dwordx4 v[6:9], v[28:29] off glc	
s_waitcnt vmcnt(0)
	;;#ASMEND
	v_and_b32_e32 v9, 0xff, v8
	s_delay_alu instid0(VALU_DEP_1) | instskip(SKIP_1) | instid1(SALU_CYCLE_1)
	v_cmp_ne_u16_e32 vcc_lo, 0, v9
	s_or_b32 s8, vcc_lo, s8
	s_and_not1_b32 exec_lo, exec_lo, s8
	s_cbranch_execnz .LBB773_110
; %bb.111:                              ;   in Loop: Header=BB773_107 Depth=1
	s_or_b32 exec_lo, exec_lo, s8
	s_branch .LBB773_106
.LBB773_112:                            ;   in Loop: Header=BB773_107 Depth=1
                                        ; implicit-def: $vgpr8
                                        ; implicit-def: $vgpr6_vgpr7
	s_cbranch_execz .LBB773_107
; %bb.113:
	s_and_saveexec_b32 s7, s3
	s_cbranch_execnz .LBB773_356
; %bb.114:
	s_or_b32 exec_lo, exec_lo, s7
	s_and_saveexec_b32 s7, s3
	s_cbranch_execnz .LBB773_357
.LBB773_115:
	s_or_b32 exec_lo, exec_lo, s7
	s_delay_alu instid0(SALU_CYCLE_1)
	s_and_b32 exec_lo, exec_lo, s2
	s_cbranch_execz .LBB773_117
.LBB773_116:
	v_mov_b32_e32 v5, 0
	ds_store_b64 v5, v[26:27] offset:56
.LBB773_117:
	s_or_b32 exec_lo, exec_lo, s5
	s_waitcnt lgkmcnt(1)
	v_cndmask_b32_e64 v22, v89, v22, s3
	v_mov_b32_e32 v5, 0
	s_waitcnt lgkmcnt(0)
	s_barrier
	buffer_gl0_inv
	v_add_nc_u32_e64 v7, 0x3400, 0
	ds_load_b64 v[24:25], v5 offset:56
	s_waitcnt lgkmcnt(0)
	s_barrier
	buffer_gl0_inv
	ds_load_2addr_b32 v[5:6], v7 offset1:2
	ds_load_2addr_b32 v[7:8], v7 offset0:4 offset1:6
	v_cndmask_b32_e64 v9, v90, v23, s3
	v_add_nc_u32_e32 v22, v24, v22
	s_delay_alu instid0(VALU_DEP_2) | instskip(NEXT) | instid1(VALU_DEP_2)
	v_add_nc_u32_e32 v9, v25, v9
	v_cndmask_b32_e64 v22, v22, v24, s2
	s_delay_alu instid0(VALU_DEP_2)
	v_cndmask_b32_e64 v9, v9, v25, s2
	s_branch .LBB773_128
.LBB773_118:
                                        ; implicit-def: $vgpr9
                                        ; implicit-def: $vgpr7
                                        ; implicit-def: $vgpr5
                                        ; implicit-def: $vgpr22_vgpr23
	s_and_b32 vcc_lo, exec_lo, s5
	s_cbranch_vccz .LBB773_128
; %bb.119:
	s_waitcnt lgkmcnt(1)
	v_mov_b32_dpp v6, v88 row_shr:1 row_mask:0xf bank_mask:0xf
	v_cmp_lt_u32_e32 vcc_lo, 3, v86
	v_mov_b32_dpp v5, v87 row_shr:1 row_mask:0xf bank_mask:0xf
	s_delay_alu instid0(VALU_DEP_3) | instskip(NEXT) | instid1(VALU_DEP_1)
	v_add_nc_u32_e32 v6, v6, v88
	v_cndmask_b32_e64 v6, v6, v88, s1
	s_waitcnt lgkmcnt(0)
	s_delay_alu instid0(VALU_DEP_1) | instskip(NEXT) | instid1(VALU_DEP_1)
	v_mov_b32_dpp v8, v6 row_shr:2 row_mask:0xf bank_mask:0xf
	v_add_nc_u32_e32 v8, v6, v8
	s_delay_alu instid0(VALU_DEP_1) | instskip(NEXT) | instid1(VALU_DEP_1)
	v_cndmask_b32_e64 v6, v6, v8, s0
	v_mov_b32_dpp v8, v6 row_shr:4 row_mask:0xf bank_mask:0xf
	s_delay_alu instid0(VALU_DEP_1) | instskip(NEXT) | instid1(VALU_DEP_1)
	v_add_nc_u32_e32 v8, v6, v8
	v_dual_cndmask_b32 v6, v6, v8 :: v_dual_add_nc_u32 v5, v5, v87
	s_delay_alu instid0(VALU_DEP_1) | instskip(NEXT) | instid1(VALU_DEP_2)
	v_cndmask_b32_e64 v5, v5, v87, s1
	v_mov_b32_dpp v8, v6 row_shr:8 row_mask:0xf bank_mask:0xf
	s_delay_alu instid0(VALU_DEP_2) | instskip(NEXT) | instid1(VALU_DEP_2)
	v_mov_b32_dpp v7, v5 row_shr:2 row_mask:0xf bank_mask:0xf
	v_add_nc_u32_e32 v8, v6, v8
	s_delay_alu instid0(VALU_DEP_2) | instskip(NEXT) | instid1(VALU_DEP_1)
	v_add_nc_u32_e32 v7, v5, v7
	v_cndmask_b32_e64 v5, v5, v7, s0
	s_mov_b32 s0, exec_lo
	s_delay_alu instid0(VALU_DEP_1) | instskip(NEXT) | instid1(VALU_DEP_1)
	v_mov_b32_dpp v7, v5 row_shr:4 row_mask:0xf bank_mask:0xf
	v_add_nc_u32_e32 v7, v5, v7
	s_delay_alu instid0(VALU_DEP_1) | instskip(SKIP_1) | instid1(VALU_DEP_2)
	v_cndmask_b32_e32 v5, v5, v7, vcc_lo
	v_cmp_lt_u32_e32 vcc_lo, 7, v86
	v_mov_b32_dpp v7, v5 row_shr:8 row_mask:0xf bank_mask:0xf
	s_delay_alu instid0(VALU_DEP_1) | instskip(NEXT) | instid1(VALU_DEP_1)
	v_dual_cndmask_b32 v6, v6, v8 :: v_dual_add_nc_u32 v7, v5, v7
	v_cndmask_b32_e32 v5, v5, v7, vcc_lo
	ds_swizzle_b32 v7, v6 offset:swizzle(BROADCAST,32,15)
	v_cmp_eq_u32_e32 vcc_lo, 0, v85
	ds_swizzle_b32 v8, v5 offset:swizzle(BROADCAST,32,15)
	s_waitcnt lgkmcnt(1)
	v_add_nc_u32_e32 v7, v6, v7
	s_waitcnt lgkmcnt(0)
	v_add_nc_u32_e32 v8, v5, v8
	s_delay_alu instid0(VALU_DEP_1)
	v_dual_cndmask_b32 v6, v7, v6 :: v_dual_cndmask_b32 v5, v8, v5
	v_cmpx_eq_u32_e64 v84, v0
	s_cbranch_execz .LBB773_121
; %bb.120:
	v_lshlrev_b32_e32 v7, 3, v83
	ds_store_b64 v7, v[5:6]
.LBB773_121:
	s_or_b32 exec_lo, exec_lo, s0
	s_delay_alu instid0(SALU_CYCLE_1)
	s_mov_b32 s0, exec_lo
	s_waitcnt lgkmcnt(0)
	s_barrier
	buffer_gl0_inv
	v_cmpx_gt_u32_e32 8, v0
	s_cbranch_execz .LBB773_123
; %bb.122:
	v_lshlrev_b32_e32 v9, 3, v0
	ds_load_b64 v[7:8], v9
	s_waitcnt lgkmcnt(0)
	v_mov_b32_dpp v22, v7 row_shr:1 row_mask:0xf bank_mask:0xf
	v_mov_b32_dpp v23, v8 row_shr:1 row_mask:0xf bank_mask:0xf
	s_delay_alu instid0(VALU_DEP_2) | instskip(SKIP_1) | instid1(VALU_DEP_3)
	v_add_nc_u32_e32 v22, v22, v7
	v_and_b32_e32 v24, 7, v82
	v_add_nc_u32_e32 v23, v23, v8
	s_delay_alu instid0(VALU_DEP_2) | instskip(NEXT) | instid1(VALU_DEP_2)
	v_cmp_eq_u32_e32 vcc_lo, 0, v24
	v_dual_cndmask_b32 v8, v23, v8 :: v_dual_cndmask_b32 v7, v22, v7
	v_cmp_lt_u32_e32 vcc_lo, 1, v24
	s_delay_alu instid0(VALU_DEP_2) | instskip(NEXT) | instid1(VALU_DEP_3)
	v_mov_b32_dpp v23, v8 row_shr:2 row_mask:0xf bank_mask:0xf
	v_mov_b32_dpp v22, v7 row_shr:2 row_mask:0xf bank_mask:0xf
	s_delay_alu instid0(VALU_DEP_2) | instskip(NEXT) | instid1(VALU_DEP_2)
	v_add_nc_u32_e32 v23, v8, v23
	v_add_nc_u32_e32 v22, v7, v22
	s_delay_alu instid0(VALU_DEP_1) | instskip(SKIP_1) | instid1(VALU_DEP_2)
	v_dual_cndmask_b32 v8, v8, v23 :: v_dual_cndmask_b32 v7, v7, v22
	v_cmp_lt_u32_e32 vcc_lo, 3, v24
	v_mov_b32_dpp v23, v8 row_shr:4 row_mask:0xf bank_mask:0xf
	s_delay_alu instid0(VALU_DEP_3) | instskip(NEXT) | instid1(VALU_DEP_1)
	v_mov_b32_dpp v22, v7 row_shr:4 row_mask:0xf bank_mask:0xf
	v_dual_cndmask_b32 v23, 0, v23 :: v_dual_cndmask_b32 v22, 0, v22
	s_delay_alu instid0(VALU_DEP_1) | instskip(NEXT) | instid1(VALU_DEP_2)
	v_add_nc_u32_e32 v8, v23, v8
	v_add_nc_u32_e32 v7, v22, v7
	ds_store_b64 v9, v[7:8]
.LBB773_123:
	s_or_b32 exec_lo, exec_lo, s0
	v_dual_mov_b32 v7, 0 :: v_dual_mov_b32 v22, 0
	v_mov_b32_e32 v23, 0
	s_mov_b32 s0, exec_lo
	s_waitcnt lgkmcnt(0)
	s_barrier
	buffer_gl0_inv
	v_cmpx_lt_u32_e32 31, v0
	s_cbranch_execz .LBB773_125
; %bb.124:
	v_lshl_add_u32 v8, v83, 3, -8
	ds_load_b64 v[22:23], v8
.LBB773_125:
	s_or_b32 exec_lo, exec_lo, s0
	v_add_nc_u32_e32 v8, -1, v82
	s_waitcnt lgkmcnt(0)
	v_add_nc_u32_e32 v24, v23, v6
	v_add_nc_u32_e32 v9, v22, v5
	ds_load_b64 v[5:6], v7 offset:56
	v_cmp_gt_i32_e32 vcc_lo, 0, v8
	v_cndmask_b32_e32 v8, v8, v82, vcc_lo
	s_delay_alu instid0(VALU_DEP_1)
	v_lshlrev_b32_e32 v8, 2, v8
	ds_bpermute_b32 v9, v8, v9
	ds_bpermute_b32 v24, v8, v24
	s_waitcnt lgkmcnt(2)
	v_readfirstlane_b32 s0, v6
	s_and_saveexec_b32 s1, s2
	s_cbranch_execz .LBB773_127
; %bb.126:
	s_mov_b32 s8, 0
	s_add_u32 s6, s36, 0x200
	s_addc_u32 s7, s37, 0
	s_and_b32 s9, s0, 0xff000000
	s_and_b32 s11, s0, 0xff0000
	s_mov_b32 s10, s8
	v_mov_b32_e32 v26, s7
	s_or_b64 s[10:11], s[10:11], s[8:9]
	s_and_b32 s9, s0, 0xff00
	v_dual_mov_b32 v8, 0 :: v_dual_mov_b32 v25, s6
	s_or_b64 s[10:11], s[10:11], s[8:9]
	s_and_b32 s9, s0, 0xff
	v_mov_b32_e32 v7, 2
	s_or_b64 s[8:9], s[10:11], s[8:9]
	s_delay_alu instid0(SALU_CYCLE_1)
	v_mov_b32_e32 v6, s9
	;;#ASMSTART
	global_store_dwordx4 v[25:26], v[5:8] off	
s_waitcnt vmcnt(0)
	;;#ASMEND
.LBB773_127:
	s_or_b32 exec_lo, exec_lo, s1
	v_cmp_eq_u32_e32 vcc_lo, 0, v82
	v_dual_mov_b32 v7, 0 :: v_dual_mov_b32 v6, s0
	s_waitcnt lgkmcnt(0)
	s_barrier
	v_dual_cndmask_b32 v8, v9, v22 :: v_dual_cndmask_b32 v9, v24, v23
	buffer_gl0_inv
	v_cndmask_b32_e64 v22, v8, 0, s2
	v_cndmask_b32_e64 v9, v9, 0, s2
	v_mov_b32_e32 v8, 0
.LBB773_128:
	s_delay_alu instid0(VALU_DEP_1) | instskip(SKIP_1) | instid1(VALU_DEP_2)
	v_add_nc_u32_e32 v24, v9, v81
	s_waitcnt lgkmcnt(0)
	v_sub_nc_u32_e32 v9, v9, v8
	v_add_co_u32 v1, vcc_lo, v1, v7
	v_and_b32_e32 v35, 1, v35
	v_add_nc_u32_e32 v26, v24, v77
	v_sub_nc_u32_e32 v24, v24, v8
	v_lshlrev_b32_e32 v77, 1, v5
	v_add_nc_u32_e32 v9, v9, v5
	v_add_co_ci_u32_e32 v2, vcc_lo, 0, v2, vcc_lo
	v_add_nc_u32_e32 v28, v26, v79
	s_delay_alu instid0(VALU_DEP_4)
	v_add3_u32 v33, v77, v6, v33
	v_and_b32_e32 v40, 1, v40
	v_and_b32_e32 v37, 1, v37
	;; [unrolled: 1-line block ×3, first 2 shown]
	v_add_nc_u32_e32 v29, v28, v75
	v_sub_nc_u32_e32 v28, v28, v8
	v_sub_co_u32 v75, vcc_lo, v3, v5
	s_add_u32 s1, s14, -4
	s_delay_alu instid0(VALU_DEP_3) | instskip(SKIP_4) | instid1(VALU_DEP_3)
	v_add_nc_u32_e32 v73, v29, v73
	v_sub_nc_u32_e32 v29, v29, v8
	v_add_nc_u32_e32 v28, v28, v5
	v_add_nc_u32_e32 v24, v24, v5
	s_mov_b32 s3, -1
	v_add_nc_u32_e32 v29, v29, v5
	v_add_nc_u32_e32 v23, v22, v80
	v_sub_nc_u32_e32 v22, v22, v7
	s_delay_alu instid0(VALU_DEP_2) | instskip(SKIP_3) | instid1(VALU_DEP_3)
	v_add_nc_u32_e32 v25, v23, v76
	v_sub_nc_u32_e32 v23, v23, v7
	v_subrev_co_ci_u32_e32 v76, vcc_lo, 0, v4, vcc_lo
	v_cmp_eq_u32_e32 vcc_lo, 1, v35
	v_add_nc_u32_e32 v79, v24, v23
	s_delay_alu instid0(VALU_DEP_1) | instskip(NEXT) | instid1(VALU_DEP_1)
	v_sub_nc_u32_e32 v79, v33, v79
	v_add_nc_u32_e32 v79, 1, v79
	v_add_nc_u32_e32 v27, v25, v78
	;; [unrolled: 1-line block ×3, first 2 shown]
	s_delay_alu instid0(VALU_DEP_1) | instskip(NEXT) | instid1(VALU_DEP_1)
	v_sub_nc_u32_e32 v78, v33, v78
	v_dual_cndmask_b32 v9, v78, v9 :: v_dual_and_b32 v34, 1, v34
	v_cmp_eq_u32_e32 vcc_lo, 1, v40
	v_cndmask_b32_e32 v24, v79, v24, vcc_lo
	s_delay_alu instid0(VALU_DEP_3) | instskip(NEXT) | instid1(VALU_DEP_4)
	v_cmp_eq_u32_e32 vcc_lo, 1, v34
	v_cndmask_b32_e32 v9, v9, v22, vcc_lo
	v_sub_nc_u32_e32 v26, v26, v8
	v_cmp_eq_u32_e32 vcc_lo, 1, v37
	v_and_b32_e32 v37, 1, v38
	s_delay_alu instid0(VALU_DEP_4) | instskip(NEXT) | instid1(VALU_DEP_4)
	v_lshlrev_b32_e32 v9, 2, v9
	v_add_nc_u32_e32 v26, v26, v5
	v_cndmask_b32_e32 v24, v24, v23, vcc_lo
	v_sub_nc_u32_e32 v25, v25, v7
	v_add_co_u32 v22, vcc_lo, v75, v8
	v_add_co_ci_u32_e32 v23, vcc_lo, 0, v76, vcc_lo
	s_delay_alu instid0(VALU_DEP_3)
	v_add_nc_u32_e32 v34, v26, v25
	v_cmp_eq_u32_e32 vcc_lo, 1, v37
	v_lshlrev_b32_e32 v24, 2, v24
	ds_store_b32 v9, v20
	v_sub_nc_u32_e32 v34, v33, v34
	ds_store_b32 v24, v21
	v_and_b32_e32 v24, 1, v39
	v_add_nc_u32_e32 v34, 2, v34
	s_delay_alu instid0(VALU_DEP_1) | instskip(SKIP_3) | instid1(VALU_DEP_4)
	v_cndmask_b32_e32 v26, v34, v26, vcc_lo
	v_cmp_eq_u32_e32 vcc_lo, 1, v36
	v_add_nc_u32_e32 v74, v27, v74
	v_sub_nc_u32_e32 v27, v27, v7
	v_cndmask_b32_e32 v25, v26, v25, vcc_lo
	s_delay_alu instid0(VALU_DEP_3) | instskip(NEXT) | instid1(VALU_DEP_3)
	v_sub_nc_u32_e32 v37, v74, v7
	v_add_nc_u32_e32 v34, v27, v28
	v_cmp_eq_u32_e32 vcc_lo, 1, v24
	v_sub_nc_u32_e32 v26, v73, v8
	v_lshlrev_b32_e32 v21, 2, v25
	v_and_b32_e32 v25, 1, v41
	v_sub_nc_u32_e32 v9, v33, v34
	v_add_nc_u32_e32 v20, v37, v29
	v_and_b32_e32 v24, 1, v42
	v_add_nc_u32_e32 v26, v26, v5
	ds_store_b32 v21, v18
	v_add_nc_u32_e32 v9, 3, v9
	v_sub_nc_u32_e32 v20, v33, v20
	s_delay_alu instid0(VALU_DEP_2) | instskip(SKIP_2) | instid1(VALU_DEP_4)
	v_cndmask_b32_e32 v9, v9, v28, vcc_lo
	v_cmp_eq_u32_e32 vcc_lo, 1, v25
	v_add_nc_u32_e32 v72, v74, v72
	v_add_nc_u32_e32 v20, 4, v20
	v_and_b32_e32 v25, 1, v43
	v_cndmask_b32_e32 v9, v9, v27, vcc_lo
	s_delay_alu instid0(VALU_DEP_4)
	v_sub_nc_u32_e32 v28, v72, v7
	v_cmp_eq_u32_e32 vcc_lo, 1, v24
	v_and_b32_e32 v24, 1, v44
	v_add_nc_u32_e32 v70, v72, v70
	v_lshlrev_b32_e32 v9, 2, v9
	v_add_nc_u32_e32 v27, v28, v26
	v_cndmask_b32_e32 v20, v20, v29, vcc_lo
	v_cmp_eq_u32_e32 vcc_lo, 1, v25
	v_and_b32_e32 v25, 1, v45
	v_add_nc_u32_e32 v64, v70, v64
	v_sub_nc_u32_e32 v18, v33, v27
	v_sub_nc_u32_e32 v27, v70, v7
	v_cndmask_b32_e32 v20, v20, v37, vcc_lo
	v_cmp_eq_u32_e32 vcc_lo, 1, v24
	ds_store_b32 v9, v19
	v_add_nc_u32_e32 v18, 5, v18
	v_and_b32_e32 v19, 1, v46
	v_lshlrev_b32_e32 v20, 2, v20
	v_add_nc_u32_e32 v68, v64, v68
	s_delay_alu instid0(VALU_DEP_4)
	v_cndmask_b32_e32 v18, v18, v26, vcc_lo
	v_cmp_eq_u32_e32 vcc_lo, 1, v25
	v_sub_nc_u32_e32 v25, v64, v7
	ds_store_b32 v20, v16
	v_and_b32_e32 v20, 1, v49
	v_add_nc_u32_e32 v66, v68, v66
	v_dual_cndmask_b32 v18, v18, v28 :: v_dual_add_nc_u32 v71, v73, v71
	v_cmp_eq_u32_e32 vcc_lo, 1, v19
	v_and_b32_e32 v19, 1, v48
	s_delay_alu instid0(VALU_DEP_4) | instskip(NEXT) | instid1(VALU_DEP_4)
	v_add_nc_u32_e32 v61, v66, v61
	v_lshlrev_b32_e32 v18, 2, v18
	v_add_nc_u32_e32 v65, v71, v65
	v_sub_nc_u32_e32 v21, v71, v8
	s_delay_alu instid0(VALU_DEP_4)
	v_add_nc_u32_e32 v60, v61, v60
	ds_store_b32 v18, v17
	v_sub_nc_u32_e32 v24, v65, v8
	v_add_nc_u32_e32 v21, v21, v5
	v_add_nc_u32_e32 v69, v65, v69
	v_and_b32_e32 v17, 1, v47
	s_delay_alu instid0(VALU_DEP_4) | instskip(NEXT) | instid1(VALU_DEP_4)
	v_add_nc_u32_e32 v24, v24, v5
	v_add_nc_u32_e32 v26, v27, v21
	s_delay_alu instid0(VALU_DEP_4) | instskip(NEXT) | instid1(VALU_DEP_3)
	v_sub_nc_u32_e32 v18, v69, v8
	v_add_nc_u32_e32 v16, v25, v24
	s_delay_alu instid0(VALU_DEP_3) | instskip(NEXT) | instid1(VALU_DEP_3)
	v_sub_nc_u32_e32 v9, v33, v26
	v_add_nc_u32_e32 v18, v18, v5
	v_sub_nc_u32_e32 v26, v60, v7
	s_delay_alu instid0(VALU_DEP_4) | instskip(NEXT) | instid1(VALU_DEP_4)
	v_sub_nc_u32_e32 v16, v33, v16
	v_add_nc_u32_e32 v9, 6, v9
	s_delay_alu instid0(VALU_DEP_1) | instskip(SKIP_2) | instid1(VALU_DEP_3)
	v_dual_cndmask_b32 v9, v9, v21 :: v_dual_add_nc_u32 v16, 7, v16
	v_cmp_eq_u32_e32 vcc_lo, 1, v19
	v_sub_nc_u32_e32 v21, v68, v7
	v_cndmask_b32_e32 v16, v16, v24, vcc_lo
	v_cmp_eq_u32_e32 vcc_lo, 1, v17
	s_delay_alu instid0(VALU_DEP_3) | instskip(SKIP_3) | instid1(VALU_DEP_4)
	v_add_nc_u32_e32 v17, v21, v18
	v_cndmask_b32_e32 v9, v9, v27, vcc_lo
	v_cmp_eq_u32_e32 vcc_lo, 1, v20
	v_add_nc_u32_e32 v67, v69, v67
	v_sub_nc_u32_e32 v17, v33, v17
	v_sub_nc_u32_e32 v20, v66, v7
	v_lshlrev_b32_e32 v9, 2, v9
	v_cndmask_b32_e32 v16, v16, v25, vcc_lo
	v_sub_nc_u32_e32 v19, v67, v8
	v_add_nc_u32_e32 v62, v67, v62
	v_sub_nc_u32_e32 v25, v61, v7
	ds_store_b32 v9, v14
	v_and_b32_e32 v9, 1, v50
	v_add_nc_u32_e32 v19, v19, v5
	v_add_nc_u32_e32 v14, 8, v17
	v_lshlrev_b32_e32 v16, 2, v16
	v_add_nc_u32_e32 v63, v62, v63
	v_cmp_eq_u32_e32 vcc_lo, 1, v9
	v_add_nc_u32_e32 v17, v20, v19
	ds_store_b32 v16, v15
	v_and_b32_e32 v15, 1, v51
	v_cndmask_b32_e32 v9, v14, v18, vcc_lo
	v_sub_nc_u32_e32 v14, v33, v17
	v_and_b32_e32 v18, 1, v52
	v_sub_nc_u32_e32 v17, v62, v8
	v_and_b32_e32 v16, 1, v54
	v_sub_nc_u32_e32 v24, v63, v8
	v_add_nc_u32_e32 v14, 9, v14
	v_cmp_eq_u32_e32 vcc_lo, 1, v18
	v_add_nc_u32_e32 v17, v17, v5
	v_add_nc_u32_e32 v35, v63, v59
	;; [unrolled: 1-line block ×3, first 2 shown]
	v_cndmask_b32_e32 v14, v14, v19, vcc_lo
	v_cmp_eq_u32_e32 vcc_lo, 1, v15
	v_add_nc_u32_e32 v15, v25, v17
	s_delay_alu instid0(VALU_DEP_4)
	v_add_nc_u32_e32 v18, v26, v24
	v_and_b32_e32 v19, 1, v55
	v_cndmask_b32_e32 v9, v9, v21, vcc_lo
	v_cmp_eq_u32_e32 vcc_lo, 1, v16
	v_sub_nc_u32_e32 v15, v33, v15
	v_sub_nc_u32_e32 v18, v33, v18
	v_and_b32_e32 v21, 1, v57
	v_sub_nc_u32_e32 v16, v35, v8
	v_cndmask_b32_e32 v14, v14, v20, vcc_lo
	v_and_b32_e32 v20, 1, v53
	v_add_nc_u32_e32 v15, 10, v15
	v_add_nc_u32_e32 v18, 11, v18
	;; [unrolled: 1-line block ×3, first 2 shown]
	v_lshlrev_b32_e32 v9, 2, v9
	v_cmp_eq_u32_e32 vcc_lo, 1, v20
	v_dual_cndmask_b32 v15, v15, v17 :: v_dual_lshlrev_b32 v14, 2, v14
	v_cmp_eq_u32_e32 vcc_lo, 1, v21
	v_and_b32_e32 v17, 1, v56
	v_cndmask_b32_e32 v18, v18, v24, vcc_lo
	v_cmp_eq_u32_e32 vcc_lo, 1, v19
	v_cndmask_b32_e32 v15, v15, v25, vcc_lo
	s_delay_alu instid0(VALU_DEP_4) | instskip(NEXT) | instid1(VALU_DEP_2)
	v_cmp_eq_u32_e32 vcc_lo, 1, v17
	v_lshlrev_b32_e32 v15, 2, v15
	v_cndmask_b32_e32 v17, v18, v26, vcc_lo
	v_add_nc_u32_e32 v40, v60, v58
	s_delay_alu instid0(VALU_DEP_2) | instskip(NEXT) | instid1(VALU_DEP_2)
	v_lshlrev_b32_e32 v17, 2, v17
	v_sub_nc_u32_e32 v7, v40, v7
	ds_store_b32 v9, v12
	ds_store_b32 v14, v13
	;; [unrolled: 1-line block ×4, first 2 shown]
	v_add_co_u32 v9, s0, v6, v77
	s_delay_alu instid0(VALU_DEP_1) | instskip(SKIP_1) | instid1(VALU_DEP_3)
	v_add_co_ci_u32_e64 v10, null, 0, 0, s0
	v_add_nc_u32_e32 v27, v7, v16
	v_add_co_u32 v9, vcc_lo, v9, v22
	s_delay_alu instid0(VALU_DEP_3) | instskip(NEXT) | instid1(VALU_DEP_3)
	v_add_co_ci_u32_e32 v10, vcc_lo, v10, v23, vcc_lo
	v_sub_nc_u32_e32 v20, v33, v27
	v_add_co_u32 v11, s0, s34, v30
	s_delay_alu instid0(VALU_DEP_4) | instskip(NEXT) | instid1(VALU_DEP_3)
	v_add_co_u32 v9, vcc_lo, v9, v1
	v_add_nc_u32_e32 v18, 12, v20
	v_add_co_ci_u32_e64 v12, null, s35, 0, s0
	v_add_co_ci_u32_e32 v10, vcc_lo, v10, v2, vcc_lo
	s_delay_alu instid0(VALU_DEP_3) | instskip(SKIP_1) | instid1(VALU_DEP_2)
	v_cndmask_b32_e64 v16, v18, v16, s33
	v_add_nc_u32_e32 v14, v5, v6
	v_cndmask_b32_e64 v7, v16, v7, s27
	s_delay_alu instid0(VALU_DEP_1)
	v_lshlrev_b32_e32 v7, 2, v7
	ds_store_b32 v7, v32
	v_sub_co_u32 v7, vcc_lo, v11, v9
	v_sub_co_ci_u32_e32 v13, vcc_lo, v12, v10, vcc_lo
	v_lshlrev_b64 v[9:10], 2, v[22:23]
	v_lshlrev_b64 v[11:12], 2, v[1:2]
	s_waitcnt lgkmcnt(0)
	s_barrier
	buffer_gl0_inv
	v_add_co_u32 v9, vcc_lo, s30, v9
	v_add_co_ci_u32_e32 v10, vcc_lo, s31, v10, vcc_lo
	v_cmp_ne_u32_e32 vcc_lo, 1, v31
	v_add_co_u32 v11, s0, s28, v11
	s_delay_alu instid0(VALU_DEP_1)
	v_add_co_ci_u32_e64 v12, s0, s29, v12, s0
	s_addc_u32 s0, s15, -1
	s_cbranch_vccz .LBB773_132
; %bb.129:
	s_and_b32 vcc_lo, exec_lo, s3
	s_cbranch_vccnz .LBB773_237
.LBB773_130:
	s_and_b32 s0, s2, s13
	s_delay_alu instid0(SALU_CYCLE_1)
	s_and_saveexec_b32 s1, s0
	s_cbranch_execnz .LBB773_355
.LBB773_131:
	s_nop 0
	s_sendmsg sendmsg(MSG_DEALLOC_VGPRS)
	s_endpgm
.LBB773_132:
	s_mov_b32 s3, exec_lo
	v_cmpx_le_u32_e64 v5, v0
	s_xor_b32 s3, exec_lo, s3
	s_cbranch_execz .LBB773_138
; %bb.133:
	s_mov_b32 s5, exec_lo
	v_cmpx_le_u32_e64 v14, v0
	s_xor_b32 s5, exec_lo, s5
	s_cbranch_execz .LBB773_135
; %bb.134:
	v_lshlrev_b32_e32 v15, 2, v0
	ds_load_b32 v17, v15
	v_add_co_u32 v15, vcc_lo, v7, v0
	v_add_co_ci_u32_e32 v16, vcc_lo, 0, v13, vcc_lo
	s_delay_alu instid0(VALU_DEP_1) | instskip(NEXT) | instid1(VALU_DEP_1)
	v_lshlrev_b64 v[15:16], 2, v[15:16]
	v_sub_co_u32 v15, vcc_lo, s14, v15
	s_delay_alu instid0(VALU_DEP_2)
	v_sub_co_ci_u32_e32 v16, vcc_lo, s15, v16, vcc_lo
	s_waitcnt lgkmcnt(0)
	global_store_b32 v[15:16], v17, off offset:-4
.LBB773_135:
	s_and_not1_saveexec_b32 s5, s5
	s_cbranch_execz .LBB773_137
; %bb.136:
	v_lshlrev_b32_e32 v15, 2, v0
	v_readfirstlane_b32 s6, v9
	v_readfirstlane_b32 s7, v10
	ds_load_b32 v16, v15
	s_waitcnt lgkmcnt(0)
	global_store_b32 v15, v16, s[6:7]
.LBB773_137:
	s_or_b32 exec_lo, exec_lo, s5
.LBB773_138:
	s_and_not1_saveexec_b32 s3, s3
	s_cbranch_execz .LBB773_140
; %bb.139:
	v_lshlrev_b32_e32 v15, 2, v0
	v_readfirstlane_b32 s6, v11
	v_readfirstlane_b32 s7, v12
	ds_load_b32 v16, v15
	s_waitcnt lgkmcnt(0)
	global_store_b32 v15, v16, s[6:7]
.LBB773_140:
	s_or_b32 exec_lo, exec_lo, s3
	v_or_b32_e32 v15, 0x100, v0
	s_mov_b32 s3, exec_lo
	s_delay_alu instid0(VALU_DEP_1)
	v_cmpx_le_u32_e64 v5, v15
	s_xor_b32 s3, exec_lo, s3
	s_cbranch_execz .LBB773_146
; %bb.141:
	s_mov_b32 s5, exec_lo
	v_cmpx_le_u32_e64 v14, v15
	s_xor_b32 s5, exec_lo, s5
	s_cbranch_execz .LBB773_143
; %bb.142:
	v_lshlrev_b32_e32 v15, 2, v0
	ds_load_b32 v17, v15 offset:1024
	v_add_co_u32 v15, vcc_lo, v7, v0
	v_add_co_ci_u32_e32 v16, vcc_lo, 0, v13, vcc_lo
	s_delay_alu instid0(VALU_DEP_1) | instskip(NEXT) | instid1(VALU_DEP_1)
	v_lshlrev_b64 v[15:16], 2, v[15:16]
	v_sub_co_u32 v15, vcc_lo, s1, v15
	s_delay_alu instid0(VALU_DEP_2)
	v_sub_co_ci_u32_e32 v16, vcc_lo, s0, v16, vcc_lo
	s_waitcnt lgkmcnt(0)
	global_store_b32 v[15:16], v17, off offset:-1024
.LBB773_143:
	s_and_not1_saveexec_b32 s5, s5
	s_cbranch_execz .LBB773_145
; %bb.144:
	v_lshlrev_b32_e32 v15, 2, v0
	v_readfirstlane_b32 s6, v9
	v_readfirstlane_b32 s7, v10
	ds_load_b32 v16, v15 offset:1024
	s_waitcnt lgkmcnt(0)
	global_store_b32 v15, v16, s[6:7] offset:1024
.LBB773_145:
	s_or_b32 exec_lo, exec_lo, s5
.LBB773_146:
	s_and_not1_saveexec_b32 s3, s3
	s_cbranch_execz .LBB773_148
; %bb.147:
	v_lshlrev_b32_e32 v15, 2, v0
	v_readfirstlane_b32 s6, v11
	v_readfirstlane_b32 s7, v12
	ds_load_b32 v16, v15 offset:1024
	s_waitcnt lgkmcnt(0)
	global_store_b32 v15, v16, s[6:7] offset:1024
.LBB773_148:
	s_or_b32 exec_lo, exec_lo, s3
	v_or_b32_e32 v15, 0x200, v0
	s_mov_b32 s3, exec_lo
	s_delay_alu instid0(VALU_DEP_1)
	v_cmpx_le_u32_e64 v5, v15
	s_xor_b32 s3, exec_lo, s3
	s_cbranch_execz .LBB773_154
; %bb.149:
	s_mov_b32 s5, exec_lo
	v_cmpx_le_u32_e64 v14, v15
	s_xor_b32 s5, exec_lo, s5
	s_cbranch_execz .LBB773_151
; %bb.150:
	v_lshlrev_b32_e32 v15, 2, v0
	ds_load_b32 v17, v15 offset:2048
	v_add_co_u32 v15, vcc_lo, v7, v0
	v_add_co_ci_u32_e32 v16, vcc_lo, 0, v13, vcc_lo
	s_delay_alu instid0(VALU_DEP_1) | instskip(NEXT) | instid1(VALU_DEP_1)
	v_lshlrev_b64 v[15:16], 2, v[15:16]
	v_sub_co_u32 v15, vcc_lo, s1, v15
	s_delay_alu instid0(VALU_DEP_2)
	v_sub_co_ci_u32_e32 v16, vcc_lo, s0, v16, vcc_lo
	s_waitcnt lgkmcnt(0)
	global_store_b32 v[15:16], v17, off offset:-2048
.LBB773_151:
	s_and_not1_saveexec_b32 s5, s5
	s_cbranch_execz .LBB773_153
; %bb.152:
	v_lshlrev_b32_e32 v15, 2, v0
	v_readfirstlane_b32 s6, v9
	v_readfirstlane_b32 s7, v10
	ds_load_b32 v16, v15 offset:2048
	s_waitcnt lgkmcnt(0)
	global_store_b32 v15, v16, s[6:7] offset:2048
.LBB773_153:
	s_or_b32 exec_lo, exec_lo, s5
.LBB773_154:
	s_and_not1_saveexec_b32 s3, s3
	s_cbranch_execz .LBB773_156
; %bb.155:
	v_lshlrev_b32_e32 v15, 2, v0
	v_readfirstlane_b32 s6, v11
	v_readfirstlane_b32 s7, v12
	ds_load_b32 v16, v15 offset:2048
	s_waitcnt lgkmcnt(0)
	global_store_b32 v15, v16, s[6:7] offset:2048
.LBB773_156:
	;; [unrolled: 47-line block ×3, first 2 shown]
	s_or_b32 exec_lo, exec_lo, s3
	v_or_b32_e32 v15, 0x400, v0
	s_mov_b32 s3, exec_lo
	s_delay_alu instid0(VALU_DEP_1)
	v_cmpx_le_u32_e64 v5, v15
	s_xor_b32 s3, exec_lo, s3
	s_cbranch_execz .LBB773_170
; %bb.165:
	s_mov_b32 s5, exec_lo
	v_cmpx_le_u32_e64 v14, v15
	s_xor_b32 s5, exec_lo, s5
	s_cbranch_execz .LBB773_167
; %bb.166:
	v_lshlrev_b32_e32 v15, 2, v0
	ds_load_b32 v17, v15 offset:4096
	v_add_co_u32 v15, vcc_lo, v7, v0
	v_add_co_ci_u32_e32 v16, vcc_lo, 0, v13, vcc_lo
	s_delay_alu instid0(VALU_DEP_1) | instskip(NEXT) | instid1(VALU_DEP_1)
	v_lshlrev_b64 v[15:16], 2, v[15:16]
	v_sub_co_u32 v15, vcc_lo, s1, v15
	s_delay_alu instid0(VALU_DEP_2)
	v_sub_co_ci_u32_e32 v16, vcc_lo, s0, v16, vcc_lo
	s_waitcnt lgkmcnt(0)
	global_store_b32 v[15:16], v17, off offset:-4096
                                        ; implicit-def: $vgpr15
.LBB773_167:
	s_and_not1_saveexec_b32 s5, s5
	s_cbranch_execz .LBB773_169
; %bb.168:
	v_lshlrev_b32_e32 v16, 2, v0
	v_lshlrev_b32_e32 v15, 2, v15
	v_readfirstlane_b32 s6, v9
	v_readfirstlane_b32 s7, v10
	ds_load_b32 v16, v16 offset:4096
	s_waitcnt lgkmcnt(0)
	global_store_b32 v15, v16, s[6:7]
.LBB773_169:
	s_or_b32 exec_lo, exec_lo, s5
                                        ; implicit-def: $vgpr15
.LBB773_170:
	s_and_not1_saveexec_b32 s3, s3
	s_cbranch_execz .LBB773_172
; %bb.171:
	v_lshlrev_b32_e32 v16, 2, v0
	v_lshlrev_b32_e32 v15, 2, v15
	v_readfirstlane_b32 s6, v11
	v_readfirstlane_b32 s7, v12
	ds_load_b32 v16, v16 offset:4096
	s_waitcnt lgkmcnt(0)
	global_store_b32 v15, v16, s[6:7]
.LBB773_172:
	s_or_b32 exec_lo, exec_lo, s3
	v_or_b32_e32 v15, 0x500, v0
	s_mov_b32 s3, exec_lo
	s_delay_alu instid0(VALU_DEP_1)
	v_cmpx_le_u32_e64 v5, v15
	s_xor_b32 s3, exec_lo, s3
	s_cbranch_execz .LBB773_178
; %bb.173:
	s_mov_b32 s5, exec_lo
	v_cmpx_le_u32_e64 v14, v15
	s_xor_b32 s5, exec_lo, s5
	s_cbranch_execz .LBB773_175
; %bb.174:
	v_lshlrev_b32_e32 v16, 2, v0
	v_add_co_u32 v15, vcc_lo, v7, v15
	ds_load_b32 v17, v16 offset:5120
	v_add_co_ci_u32_e32 v16, vcc_lo, 0, v13, vcc_lo
	s_delay_alu instid0(VALU_DEP_1) | instskip(NEXT) | instid1(VALU_DEP_1)
	v_lshlrev_b64 v[15:16], 2, v[15:16]
	v_sub_co_u32 v15, vcc_lo, s1, v15
	s_delay_alu instid0(VALU_DEP_2)
	v_sub_co_ci_u32_e32 v16, vcc_lo, s0, v16, vcc_lo
	s_waitcnt lgkmcnt(0)
	global_store_b32 v[15:16], v17, off
                                        ; implicit-def: $vgpr15
.LBB773_175:
	s_and_not1_saveexec_b32 s5, s5
	s_cbranch_execz .LBB773_177
; %bb.176:
	v_lshlrev_b32_e32 v16, 2, v0
	v_lshlrev_b32_e32 v15, 2, v15
	v_readfirstlane_b32 s6, v9
	v_readfirstlane_b32 s7, v10
	ds_load_b32 v16, v16 offset:5120
	s_waitcnt lgkmcnt(0)
	global_store_b32 v15, v16, s[6:7]
.LBB773_177:
	s_or_b32 exec_lo, exec_lo, s5
                                        ; implicit-def: $vgpr15
.LBB773_178:
	s_and_not1_saveexec_b32 s3, s3
	s_cbranch_execz .LBB773_180
; %bb.179:
	v_lshlrev_b32_e32 v16, 2, v0
	v_lshlrev_b32_e32 v15, 2, v15
	v_readfirstlane_b32 s6, v11
	v_readfirstlane_b32 s7, v12
	ds_load_b32 v16, v16 offset:5120
	s_waitcnt lgkmcnt(0)
	global_store_b32 v15, v16, s[6:7]
.LBB773_180:
	s_or_b32 exec_lo, exec_lo, s3
	v_or_b32_e32 v15, 0x600, v0
	s_mov_b32 s3, exec_lo
	s_delay_alu instid0(VALU_DEP_1)
	v_cmpx_le_u32_e64 v5, v15
	s_xor_b32 s3, exec_lo, s3
	s_cbranch_execz .LBB773_186
; %bb.181:
	s_mov_b32 s5, exec_lo
	v_cmpx_le_u32_e64 v14, v15
	s_xor_b32 s5, exec_lo, s5
	s_cbranch_execz .LBB773_183
; %bb.182:
	v_lshlrev_b32_e32 v16, 2, v0
	v_add_co_u32 v15, vcc_lo, v7, v15
	ds_load_b32 v17, v16 offset:6144
	v_add_co_ci_u32_e32 v16, vcc_lo, 0, v13, vcc_lo
	s_delay_alu instid0(VALU_DEP_1) | instskip(NEXT) | instid1(VALU_DEP_1)
	v_lshlrev_b64 v[15:16], 2, v[15:16]
	v_sub_co_u32 v15, vcc_lo, s1, v15
	s_delay_alu instid0(VALU_DEP_2)
	v_sub_co_ci_u32_e32 v16, vcc_lo, s0, v16, vcc_lo
	s_waitcnt lgkmcnt(0)
	global_store_b32 v[15:16], v17, off
                                        ; implicit-def: $vgpr15
.LBB773_183:
	s_and_not1_saveexec_b32 s5, s5
	s_cbranch_execz .LBB773_185
; %bb.184:
	v_lshlrev_b32_e32 v16, 2, v0
	v_lshlrev_b32_e32 v15, 2, v15
	v_readfirstlane_b32 s6, v9
	v_readfirstlane_b32 s7, v10
	ds_load_b32 v16, v16 offset:6144
	s_waitcnt lgkmcnt(0)
	global_store_b32 v15, v16, s[6:7]
.LBB773_185:
	s_or_b32 exec_lo, exec_lo, s5
                                        ; implicit-def: $vgpr15
.LBB773_186:
	;; [unrolled: 51-line block ×8, first 2 shown]
	s_and_not1_saveexec_b32 s3, s3
	s_cbranch_execz .LBB773_236
; %bb.235:
	v_lshlrev_b32_e32 v16, 2, v0
	v_lshlrev_b32_e32 v15, 2, v15
	v_readfirstlane_b32 s6, v11
	v_readfirstlane_b32 s7, v12
	ds_load_b32 v16, v16 offset:12288
	s_waitcnt lgkmcnt(0)
	global_store_b32 v15, v16, s[6:7]
.LBB773_236:
	s_or_b32 exec_lo, exec_lo, s3
	s_branch .LBB773_130
.LBB773_237:
	s_mov_b32 s3, exec_lo
	v_cmpx_gt_u32_e64 s4, v0
	s_cbranch_execz .LBB773_246
; %bb.238:
	s_mov_b32 s5, exec_lo
	v_cmpx_le_u32_e64 v5, v0
	s_xor_b32 s5, exec_lo, s5
	s_cbranch_execz .LBB773_244
; %bb.239:
	s_mov_b32 s6, exec_lo
	v_cmpx_le_u32_e64 v14, v0
	s_xor_b32 s6, exec_lo, s6
	s_cbranch_execz .LBB773_241
; %bb.240:
	v_lshlrev_b32_e32 v15, 2, v0
	ds_load_b32 v17, v15
	v_add_co_u32 v15, vcc_lo, v7, v0
	v_add_co_ci_u32_e32 v16, vcc_lo, 0, v13, vcc_lo
	s_delay_alu instid0(VALU_DEP_1) | instskip(NEXT) | instid1(VALU_DEP_1)
	v_lshlrev_b64 v[15:16], 2, v[15:16]
	v_sub_co_u32 v15, vcc_lo, s14, v15
	s_delay_alu instid0(VALU_DEP_2)
	v_sub_co_ci_u32_e32 v16, vcc_lo, s15, v16, vcc_lo
	s_waitcnt lgkmcnt(0)
	global_store_b32 v[15:16], v17, off offset:-4
.LBB773_241:
	s_and_not1_saveexec_b32 s6, s6
	s_cbranch_execz .LBB773_243
; %bb.242:
	v_lshlrev_b32_e32 v15, 2, v0
	v_readfirstlane_b32 s8, v9
	v_readfirstlane_b32 s9, v10
	ds_load_b32 v16, v15
	s_waitcnt lgkmcnt(0)
	global_store_b32 v15, v16, s[8:9]
.LBB773_243:
	s_or_b32 exec_lo, exec_lo, s6
.LBB773_244:
	s_and_not1_saveexec_b32 s5, s5
	s_cbranch_execz .LBB773_246
; %bb.245:
	v_lshlrev_b32_e32 v15, 2, v0
	v_readfirstlane_b32 s6, v11
	v_readfirstlane_b32 s7, v12
	ds_load_b32 v16, v15
	s_waitcnt lgkmcnt(0)
	global_store_b32 v15, v16, s[6:7]
.LBB773_246:
	s_or_b32 exec_lo, exec_lo, s3
	v_or_b32_e32 v15, 0x100, v0
	s_mov_b32 s3, exec_lo
	s_delay_alu instid0(VALU_DEP_1)
	v_cmpx_gt_u32_e64 s4, v15
	s_cbranch_execz .LBB773_255
; %bb.247:
	s_mov_b32 s5, exec_lo
	v_cmpx_le_u32_e64 v5, v15
	s_xor_b32 s5, exec_lo, s5
	s_cbranch_execz .LBB773_253
; %bb.248:
	s_mov_b32 s6, exec_lo
	v_cmpx_le_u32_e64 v14, v15
	s_xor_b32 s6, exec_lo, s6
	s_cbranch_execz .LBB773_250
; %bb.249:
	v_lshlrev_b32_e32 v15, 2, v0
	ds_load_b32 v17, v15 offset:1024
	v_add_co_u32 v15, vcc_lo, v7, v0
	v_add_co_ci_u32_e32 v16, vcc_lo, 0, v13, vcc_lo
	s_delay_alu instid0(VALU_DEP_1) | instskip(NEXT) | instid1(VALU_DEP_1)
	v_lshlrev_b64 v[15:16], 2, v[15:16]
	v_sub_co_u32 v15, vcc_lo, s1, v15
	s_delay_alu instid0(VALU_DEP_2)
	v_sub_co_ci_u32_e32 v16, vcc_lo, s0, v16, vcc_lo
	s_waitcnt lgkmcnt(0)
	global_store_b32 v[15:16], v17, off offset:-1024
.LBB773_250:
	s_and_not1_saveexec_b32 s6, s6
	s_cbranch_execz .LBB773_252
; %bb.251:
	v_lshlrev_b32_e32 v15, 2, v0
	v_readfirstlane_b32 s8, v9
	v_readfirstlane_b32 s9, v10
	ds_load_b32 v16, v15 offset:1024
	s_waitcnt lgkmcnt(0)
	global_store_b32 v15, v16, s[8:9] offset:1024
.LBB773_252:
	s_or_b32 exec_lo, exec_lo, s6
.LBB773_253:
	s_and_not1_saveexec_b32 s5, s5
	s_cbranch_execz .LBB773_255
; %bb.254:
	v_lshlrev_b32_e32 v15, 2, v0
	v_readfirstlane_b32 s6, v11
	v_readfirstlane_b32 s7, v12
	ds_load_b32 v16, v15 offset:1024
	s_waitcnt lgkmcnt(0)
	global_store_b32 v15, v16, s[6:7] offset:1024
.LBB773_255:
	s_or_b32 exec_lo, exec_lo, s3
	v_or_b32_e32 v15, 0x200, v0
	s_mov_b32 s3, exec_lo
	s_delay_alu instid0(VALU_DEP_1)
	v_cmpx_gt_u32_e64 s4, v15
	s_cbranch_execz .LBB773_264
; %bb.256:
	s_mov_b32 s5, exec_lo
	v_cmpx_le_u32_e64 v5, v15
	s_xor_b32 s5, exec_lo, s5
	s_cbranch_execz .LBB773_262
; %bb.257:
	s_mov_b32 s6, exec_lo
	v_cmpx_le_u32_e64 v14, v15
	s_xor_b32 s6, exec_lo, s6
	s_cbranch_execz .LBB773_259
; %bb.258:
	v_lshlrev_b32_e32 v15, 2, v0
	ds_load_b32 v17, v15 offset:2048
	v_add_co_u32 v15, vcc_lo, v7, v0
	v_add_co_ci_u32_e32 v16, vcc_lo, 0, v13, vcc_lo
	s_delay_alu instid0(VALU_DEP_1) | instskip(NEXT) | instid1(VALU_DEP_1)
	v_lshlrev_b64 v[15:16], 2, v[15:16]
	v_sub_co_u32 v15, vcc_lo, s1, v15
	s_delay_alu instid0(VALU_DEP_2)
	v_sub_co_ci_u32_e32 v16, vcc_lo, s0, v16, vcc_lo
	s_waitcnt lgkmcnt(0)
	global_store_b32 v[15:16], v17, off offset:-2048
.LBB773_259:
	s_and_not1_saveexec_b32 s6, s6
	s_cbranch_execz .LBB773_261
; %bb.260:
	v_lshlrev_b32_e32 v15, 2, v0
	v_readfirstlane_b32 s8, v9
	v_readfirstlane_b32 s9, v10
	ds_load_b32 v16, v15 offset:2048
	s_waitcnt lgkmcnt(0)
	global_store_b32 v15, v16, s[8:9] offset:2048
.LBB773_261:
	s_or_b32 exec_lo, exec_lo, s6
.LBB773_262:
	s_and_not1_saveexec_b32 s5, s5
	s_cbranch_execz .LBB773_264
; %bb.263:
	v_lshlrev_b32_e32 v15, 2, v0
	v_readfirstlane_b32 s6, v11
	v_readfirstlane_b32 s7, v12
	ds_load_b32 v16, v15 offset:2048
	s_waitcnt lgkmcnt(0)
	global_store_b32 v15, v16, s[6:7] offset:2048
.LBB773_264:
	;; [unrolled: 51-line block ×3, first 2 shown]
	s_or_b32 exec_lo, exec_lo, s3
	v_or_b32_e32 v15, 0x400, v0
	s_mov_b32 s3, exec_lo
	s_delay_alu instid0(VALU_DEP_1)
	v_cmpx_gt_u32_e64 s4, v15
	s_cbranch_execz .LBB773_282
; %bb.274:
	s_mov_b32 s5, exec_lo
	v_cmpx_le_u32_e64 v5, v15
	s_xor_b32 s5, exec_lo, s5
	s_cbranch_execz .LBB773_280
; %bb.275:
	s_mov_b32 s6, exec_lo
	v_cmpx_le_u32_e64 v14, v15
	s_xor_b32 s6, exec_lo, s6
	s_cbranch_execz .LBB773_277
; %bb.276:
	v_lshlrev_b32_e32 v15, 2, v0
	ds_load_b32 v17, v15 offset:4096
	v_add_co_u32 v15, vcc_lo, v7, v0
	v_add_co_ci_u32_e32 v16, vcc_lo, 0, v13, vcc_lo
	s_delay_alu instid0(VALU_DEP_1) | instskip(NEXT) | instid1(VALU_DEP_1)
	v_lshlrev_b64 v[15:16], 2, v[15:16]
	v_sub_co_u32 v15, vcc_lo, s1, v15
	s_delay_alu instid0(VALU_DEP_2)
	v_sub_co_ci_u32_e32 v16, vcc_lo, s0, v16, vcc_lo
	s_waitcnt lgkmcnt(0)
	global_store_b32 v[15:16], v17, off offset:-4096
                                        ; implicit-def: $vgpr15
.LBB773_277:
	s_and_not1_saveexec_b32 s6, s6
	s_cbranch_execz .LBB773_279
; %bb.278:
	v_lshlrev_b32_e32 v16, 2, v0
	v_lshlrev_b32_e32 v15, 2, v15
	v_readfirstlane_b32 s8, v9
	v_readfirstlane_b32 s9, v10
	ds_load_b32 v16, v16 offset:4096
	s_waitcnt lgkmcnt(0)
	global_store_b32 v15, v16, s[8:9]
.LBB773_279:
	s_or_b32 exec_lo, exec_lo, s6
                                        ; implicit-def: $vgpr15
.LBB773_280:
	s_and_not1_saveexec_b32 s5, s5
	s_cbranch_execz .LBB773_282
; %bb.281:
	v_lshlrev_b32_e32 v16, 2, v0
	v_lshlrev_b32_e32 v15, 2, v15
	v_readfirstlane_b32 s6, v11
	v_readfirstlane_b32 s7, v12
	ds_load_b32 v16, v16 offset:4096
	s_waitcnt lgkmcnt(0)
	global_store_b32 v15, v16, s[6:7]
.LBB773_282:
	s_or_b32 exec_lo, exec_lo, s3
	v_or_b32_e32 v15, 0x500, v0
	s_mov_b32 s3, exec_lo
	s_delay_alu instid0(VALU_DEP_1)
	v_cmpx_gt_u32_e64 s4, v15
	s_cbranch_execz .LBB773_291
; %bb.283:
	s_mov_b32 s5, exec_lo
	v_cmpx_le_u32_e64 v5, v15
	s_xor_b32 s5, exec_lo, s5
	s_cbranch_execz .LBB773_289
; %bb.284:
	s_mov_b32 s6, exec_lo
	v_cmpx_le_u32_e64 v14, v15
	s_xor_b32 s6, exec_lo, s6
	s_cbranch_execz .LBB773_286
; %bb.285:
	v_lshlrev_b32_e32 v16, 2, v0
	v_add_co_u32 v15, vcc_lo, v7, v15
	ds_load_b32 v17, v16 offset:5120
	v_add_co_ci_u32_e32 v16, vcc_lo, 0, v13, vcc_lo
	s_delay_alu instid0(VALU_DEP_1) | instskip(NEXT) | instid1(VALU_DEP_1)
	v_lshlrev_b64 v[15:16], 2, v[15:16]
	v_sub_co_u32 v15, vcc_lo, s1, v15
	s_delay_alu instid0(VALU_DEP_2)
	v_sub_co_ci_u32_e32 v16, vcc_lo, s0, v16, vcc_lo
	s_waitcnt lgkmcnt(0)
	global_store_b32 v[15:16], v17, off
                                        ; implicit-def: $vgpr15
.LBB773_286:
	s_and_not1_saveexec_b32 s6, s6
	s_cbranch_execz .LBB773_288
; %bb.287:
	v_lshlrev_b32_e32 v16, 2, v0
	v_lshlrev_b32_e32 v15, 2, v15
	v_readfirstlane_b32 s8, v9
	v_readfirstlane_b32 s9, v10
	ds_load_b32 v16, v16 offset:5120
	s_waitcnt lgkmcnt(0)
	global_store_b32 v15, v16, s[8:9]
.LBB773_288:
	s_or_b32 exec_lo, exec_lo, s6
                                        ; implicit-def: $vgpr15
.LBB773_289:
	s_and_not1_saveexec_b32 s5, s5
	s_cbranch_execz .LBB773_291
; %bb.290:
	v_lshlrev_b32_e32 v16, 2, v0
	v_lshlrev_b32_e32 v15, 2, v15
	v_readfirstlane_b32 s6, v11
	v_readfirstlane_b32 s7, v12
	ds_load_b32 v16, v16 offset:5120
	s_waitcnt lgkmcnt(0)
	global_store_b32 v15, v16, s[6:7]
.LBB773_291:
	s_or_b32 exec_lo, exec_lo, s3
	v_or_b32_e32 v15, 0x600, v0
	s_mov_b32 s3, exec_lo
	s_delay_alu instid0(VALU_DEP_1)
	v_cmpx_gt_u32_e64 s4, v15
	s_cbranch_execz .LBB773_300
; %bb.292:
	s_mov_b32 s5, exec_lo
	v_cmpx_le_u32_e64 v5, v15
	s_xor_b32 s5, exec_lo, s5
	s_cbranch_execz .LBB773_298
; %bb.293:
	s_mov_b32 s6, exec_lo
	v_cmpx_le_u32_e64 v14, v15
	s_xor_b32 s6, exec_lo, s6
	s_cbranch_execz .LBB773_295
; %bb.294:
	v_lshlrev_b32_e32 v16, 2, v0
	v_add_co_u32 v15, vcc_lo, v7, v15
	ds_load_b32 v17, v16 offset:6144
	v_add_co_ci_u32_e32 v16, vcc_lo, 0, v13, vcc_lo
	s_delay_alu instid0(VALU_DEP_1) | instskip(NEXT) | instid1(VALU_DEP_1)
	v_lshlrev_b64 v[15:16], 2, v[15:16]
	v_sub_co_u32 v15, vcc_lo, s1, v15
	s_delay_alu instid0(VALU_DEP_2)
	v_sub_co_ci_u32_e32 v16, vcc_lo, s0, v16, vcc_lo
	s_waitcnt lgkmcnt(0)
	global_store_b32 v[15:16], v17, off
                                        ; implicit-def: $vgpr15
.LBB773_295:
	s_and_not1_saveexec_b32 s6, s6
	s_cbranch_execz .LBB773_297
; %bb.296:
	v_lshlrev_b32_e32 v16, 2, v0
	v_lshlrev_b32_e32 v15, 2, v15
	v_readfirstlane_b32 s8, v9
	v_readfirstlane_b32 s9, v10
	ds_load_b32 v16, v16 offset:6144
	s_waitcnt lgkmcnt(0)
	global_store_b32 v15, v16, s[8:9]
.LBB773_297:
	s_or_b32 exec_lo, exec_lo, s6
                                        ; implicit-def: $vgpr15
.LBB773_298:
	s_and_not1_saveexec_b32 s5, s5
	s_cbranch_execz .LBB773_300
; %bb.299:
	v_lshlrev_b32_e32 v16, 2, v0
	v_lshlrev_b32_e32 v15, 2, v15
	v_readfirstlane_b32 s6, v11
	v_readfirstlane_b32 s7, v12
	ds_load_b32 v16, v16 offset:6144
	s_waitcnt lgkmcnt(0)
	global_store_b32 v15, v16, s[6:7]
.LBB773_300:
	;; [unrolled: 55-line block ×7, first 2 shown]
	s_or_b32 exec_lo, exec_lo, s3
	v_or_b32_e32 v15, 0xc00, v0
	s_mov_b32 s3, exec_lo
	s_delay_alu instid0(VALU_DEP_1)
	v_cmpx_gt_u32_e64 s4, v15
	s_cbranch_execz .LBB773_354
; %bb.346:
	s_mov_b32 s4, exec_lo
	v_cmpx_le_u32_e64 v5, v15
	s_xor_b32 s4, exec_lo, s4
	s_cbranch_execz .LBB773_352
; %bb.347:
	s_mov_b32 s5, exec_lo
	v_cmpx_le_u32_e64 v14, v15
	s_xor_b32 s5, exec_lo, s5
	s_cbranch_execz .LBB773_349
; %bb.348:
	v_lshlrev_b32_e32 v0, 2, v0
	v_add_co_u32 v9, vcc_lo, v7, v15
	v_add_co_ci_u32_e32 v10, vcc_lo, 0, v13, vcc_lo
	ds_load_b32 v0, v0 offset:12288
                                        ; implicit-def: $vgpr15
	v_lshlrev_b64 v[9:10], 2, v[9:10]
	s_delay_alu instid0(VALU_DEP_1) | instskip(NEXT) | instid1(VALU_DEP_2)
	v_sub_co_u32 v9, vcc_lo, s1, v9
	v_sub_co_ci_u32_e32 v10, vcc_lo, s0, v10, vcc_lo
	s_waitcnt lgkmcnt(0)
	global_store_b32 v[9:10], v0, off
                                        ; implicit-def: $vgpr0
                                        ; implicit-def: $vgpr9_vgpr10
.LBB773_349:
	s_and_not1_saveexec_b32 s0, s5
	s_cbranch_execz .LBB773_351
; %bb.350:
	v_lshlrev_b32_e32 v0, 2, v0
	v_lshlrev_b32_e32 v7, 2, v15
	v_readfirstlane_b32 s6, v9
	v_readfirstlane_b32 s7, v10
	ds_load_b32 v0, v0 offset:12288
	s_waitcnt lgkmcnt(0)
	global_store_b32 v7, v0, s[6:7]
.LBB773_351:
	s_or_b32 exec_lo, exec_lo, s0
                                        ; implicit-def: $vgpr0
                                        ; implicit-def: $vgpr15
                                        ; implicit-def: $vgpr11_vgpr12
.LBB773_352:
	s_and_not1_saveexec_b32 s0, s4
	s_cbranch_execz .LBB773_354
; %bb.353:
	v_lshlrev_b32_e32 v0, 2, v0
	v_lshlrev_b32_e32 v7, 2, v15
	v_readfirstlane_b32 s0, v11
	v_readfirstlane_b32 s1, v12
	ds_load_b32 v0, v0 offset:12288
	s_waitcnt lgkmcnt(0)
	global_store_b32 v7, v0, s[0:1]
.LBB773_354:
	s_or_b32 exec_lo, exec_lo, s3
	s_and_b32 s0, s2, s13
	s_delay_alu instid0(SALU_CYCLE_1)
	s_and_saveexec_b32 s1, s0
	s_cbranch_execz .LBB773_131
.LBB773_355:
	v_add_co_u32 v3, vcc_lo, v3, v6
	v_add_co_ci_u32_e32 v4, vcc_lo, 0, v4, vcc_lo
	v_add_co_u32 v0, vcc_lo, v1, v5
	v_add_co_ci_u32_e32 v1, vcc_lo, 0, v2, vcc_lo
	s_delay_alu instid0(VALU_DEP_4)
	v_add_co_u32 v2, vcc_lo, v3, v8
	v_mov_b32_e32 v7, 0
	v_add_co_ci_u32_e32 v3, vcc_lo, 0, v4, vcc_lo
	global_store_b128 v7, v[0:3], s[24:25]
	s_nop 0
	s_sendmsg sendmsg(MSG_DEALLOC_VGPRS)
	s_endpgm
.LBB773_356:
	v_add_nc_u32_e32 v7, s6, v27
	s_add_i32 s8, s26, 32
	s_mov_b32 s9, 0
	v_dual_mov_b32 v9, 0 :: v_dual_add_nc_u32 v6, v26, v5
	s_lshl_b64 s[8:9], s[8:9], 4
	v_and_b32_e32 v24, 0xff0000, v7
	s_add_u32 s8, s36, s8
	s_addc_u32 s9, s37, s9
	v_and_b32_e32 v8, 0xff000000, v7
	s_delay_alu instid0(VALU_DEP_1) | instskip(SKIP_2) | instid1(VALU_DEP_1)
	v_or_b32_e32 v24, v24, v8
	v_dual_mov_b32 v8, 2 :: v_dual_and_b32 v25, 0xff00, v7
	v_and_b32_e32 v7, 0xff, v7
	v_or3_b32 v7, v24, v25, v7
	v_dual_mov_b32 v25, s9 :: v_dual_mov_b32 v24, s8
	;;#ASMSTART
	global_store_dwordx4 v[24:25], v[6:9] off	
s_waitcnt vmcnt(0)
	;;#ASMEND
	s_or_b32 exec_lo, exec_lo, s7
	s_and_saveexec_b32 s7, s3
	s_cbranch_execz .LBB773_115
.LBB773_357:
	v_mov_b32_e32 v6, s6
	v_add_nc_u32_e64 v7, 0x3400, 0
	ds_store_2addr_b32 v7, v5, v6 offset1:2
	ds_store_2addr_b32 v7, v26, v27 offset0:4 offset1:6
	s_or_b32 exec_lo, exec_lo, s7
	s_delay_alu instid0(SALU_CYCLE_1)
	s_and_b32 exec_lo, exec_lo, s2
	s_cbranch_execnz .LBB773_116
	s_branch .LBB773_117
	.section	.rodata,"a",@progbits
	.p2align	6, 0x0
	.amdhsa_kernel _ZN7rocprim17ROCPRIM_400000_NS6detail17trampoline_kernelINS0_13select_configILj256ELj13ELNS0_17block_load_methodE3ELS4_3ELS4_3ELNS0_20block_scan_algorithmE0ELj4294967295EEENS1_25partition_config_selectorILNS1_17partition_subalgoE4EjNS0_10empty_typeEbEEZZNS1_14partition_implILS8_4ELb0ES6_15HIP_vector_typeIjLj2EENS0_17counting_iteratorIjlEEPS9_SG_NS0_5tupleIJPjSI_NS0_16reverse_iteratorISI_EEEEENSH_IJSG_SG_SG_EEES9_SI_JZNS1_25segmented_radix_sort_implINS0_14default_configELb0EPKlPlSQ_SR_N2at6native12_GLOBAL__N_18offset_tEEE10hipError_tPvRmT1_PNSt15iterator_traitsISZ_E10value_typeET2_T3_PNS10_IS15_E10value_typeET4_jRbjT5_S1B_jjP12ihipStream_tbEUljE_ZNSN_ISO_Lb0ESQ_SR_SQ_SR_SV_EESW_SX_SY_SZ_S13_S14_S15_S18_S19_jS1A_jS1B_S1B_jjS1D_bEUljE0_EEESW_SX_SY_S15_S19_S1B_T6_T7_T9_mT8_S1D_bDpT10_ENKUlT_T0_E_clISt17integral_constantIbLb0EES1Q_IbLb1EEEEDaS1M_S1N_EUlS1M_E_NS1_11comp_targetILNS1_3genE9ELNS1_11target_archE1100ELNS1_3gpuE3ELNS1_3repE0EEENS1_30default_config_static_selectorELNS0_4arch9wavefront6targetE0EEEvSZ_
		.amdhsa_group_segment_fixed_size 13340
		.amdhsa_private_segment_fixed_size 0
		.amdhsa_kernarg_size 184
		.amdhsa_user_sgpr_count 15
		.amdhsa_user_sgpr_dispatch_ptr 0
		.amdhsa_user_sgpr_queue_ptr 0
		.amdhsa_user_sgpr_kernarg_segment_ptr 1
		.amdhsa_user_sgpr_dispatch_id 0
		.amdhsa_user_sgpr_private_segment_size 0
		.amdhsa_wavefront_size32 1
		.amdhsa_uses_dynamic_stack 0
		.amdhsa_enable_private_segment 0
		.amdhsa_system_sgpr_workgroup_id_x 1
		.amdhsa_system_sgpr_workgroup_id_y 0
		.amdhsa_system_sgpr_workgroup_id_z 0
		.amdhsa_system_sgpr_workgroup_info 0
		.amdhsa_system_vgpr_workitem_id 0
		.amdhsa_next_free_vgpr 103
		.amdhsa_next_free_sgpr 55
		.amdhsa_reserve_vcc 1
		.amdhsa_float_round_mode_32 0
		.amdhsa_float_round_mode_16_64 0
		.amdhsa_float_denorm_mode_32 3
		.amdhsa_float_denorm_mode_16_64 3
		.amdhsa_dx10_clamp 1
		.amdhsa_ieee_mode 1
		.amdhsa_fp16_overflow 0
		.amdhsa_workgroup_processor_mode 1
		.amdhsa_memory_ordered 1
		.amdhsa_forward_progress 0
		.amdhsa_shared_vgpr_count 0
		.amdhsa_exception_fp_ieee_invalid_op 0
		.amdhsa_exception_fp_denorm_src 0
		.amdhsa_exception_fp_ieee_div_zero 0
		.amdhsa_exception_fp_ieee_overflow 0
		.amdhsa_exception_fp_ieee_underflow 0
		.amdhsa_exception_fp_ieee_inexact 0
		.amdhsa_exception_int_div_zero 0
	.end_amdhsa_kernel
	.section	.text._ZN7rocprim17ROCPRIM_400000_NS6detail17trampoline_kernelINS0_13select_configILj256ELj13ELNS0_17block_load_methodE3ELS4_3ELS4_3ELNS0_20block_scan_algorithmE0ELj4294967295EEENS1_25partition_config_selectorILNS1_17partition_subalgoE4EjNS0_10empty_typeEbEEZZNS1_14partition_implILS8_4ELb0ES6_15HIP_vector_typeIjLj2EENS0_17counting_iteratorIjlEEPS9_SG_NS0_5tupleIJPjSI_NS0_16reverse_iteratorISI_EEEEENSH_IJSG_SG_SG_EEES9_SI_JZNS1_25segmented_radix_sort_implINS0_14default_configELb0EPKlPlSQ_SR_N2at6native12_GLOBAL__N_18offset_tEEE10hipError_tPvRmT1_PNSt15iterator_traitsISZ_E10value_typeET2_T3_PNS10_IS15_E10value_typeET4_jRbjT5_S1B_jjP12ihipStream_tbEUljE_ZNSN_ISO_Lb0ESQ_SR_SQ_SR_SV_EESW_SX_SY_SZ_S13_S14_S15_S18_S19_jS1A_jS1B_S1B_jjS1D_bEUljE0_EEESW_SX_SY_S15_S19_S1B_T6_T7_T9_mT8_S1D_bDpT10_ENKUlT_T0_E_clISt17integral_constantIbLb0EES1Q_IbLb1EEEEDaS1M_S1N_EUlS1M_E_NS1_11comp_targetILNS1_3genE9ELNS1_11target_archE1100ELNS1_3gpuE3ELNS1_3repE0EEENS1_30default_config_static_selectorELNS0_4arch9wavefront6targetE0EEEvSZ_,"axG",@progbits,_ZN7rocprim17ROCPRIM_400000_NS6detail17trampoline_kernelINS0_13select_configILj256ELj13ELNS0_17block_load_methodE3ELS4_3ELS4_3ELNS0_20block_scan_algorithmE0ELj4294967295EEENS1_25partition_config_selectorILNS1_17partition_subalgoE4EjNS0_10empty_typeEbEEZZNS1_14partition_implILS8_4ELb0ES6_15HIP_vector_typeIjLj2EENS0_17counting_iteratorIjlEEPS9_SG_NS0_5tupleIJPjSI_NS0_16reverse_iteratorISI_EEEEENSH_IJSG_SG_SG_EEES9_SI_JZNS1_25segmented_radix_sort_implINS0_14default_configELb0EPKlPlSQ_SR_N2at6native12_GLOBAL__N_18offset_tEEE10hipError_tPvRmT1_PNSt15iterator_traitsISZ_E10value_typeET2_T3_PNS10_IS15_E10value_typeET4_jRbjT5_S1B_jjP12ihipStream_tbEUljE_ZNSN_ISO_Lb0ESQ_SR_SQ_SR_SV_EESW_SX_SY_SZ_S13_S14_S15_S18_S19_jS1A_jS1B_S1B_jjS1D_bEUljE0_EEESW_SX_SY_S15_S19_S1B_T6_T7_T9_mT8_S1D_bDpT10_ENKUlT_T0_E_clISt17integral_constantIbLb0EES1Q_IbLb1EEEEDaS1M_S1N_EUlS1M_E_NS1_11comp_targetILNS1_3genE9ELNS1_11target_archE1100ELNS1_3gpuE3ELNS1_3repE0EEENS1_30default_config_static_selectorELNS0_4arch9wavefront6targetE0EEEvSZ_,comdat
.Lfunc_end773:
	.size	_ZN7rocprim17ROCPRIM_400000_NS6detail17trampoline_kernelINS0_13select_configILj256ELj13ELNS0_17block_load_methodE3ELS4_3ELS4_3ELNS0_20block_scan_algorithmE0ELj4294967295EEENS1_25partition_config_selectorILNS1_17partition_subalgoE4EjNS0_10empty_typeEbEEZZNS1_14partition_implILS8_4ELb0ES6_15HIP_vector_typeIjLj2EENS0_17counting_iteratorIjlEEPS9_SG_NS0_5tupleIJPjSI_NS0_16reverse_iteratorISI_EEEEENSH_IJSG_SG_SG_EEES9_SI_JZNS1_25segmented_radix_sort_implINS0_14default_configELb0EPKlPlSQ_SR_N2at6native12_GLOBAL__N_18offset_tEEE10hipError_tPvRmT1_PNSt15iterator_traitsISZ_E10value_typeET2_T3_PNS10_IS15_E10value_typeET4_jRbjT5_S1B_jjP12ihipStream_tbEUljE_ZNSN_ISO_Lb0ESQ_SR_SQ_SR_SV_EESW_SX_SY_SZ_S13_S14_S15_S18_S19_jS1A_jS1B_S1B_jjS1D_bEUljE0_EEESW_SX_SY_S15_S19_S1B_T6_T7_T9_mT8_S1D_bDpT10_ENKUlT_T0_E_clISt17integral_constantIbLb0EES1Q_IbLb1EEEEDaS1M_S1N_EUlS1M_E_NS1_11comp_targetILNS1_3genE9ELNS1_11target_archE1100ELNS1_3gpuE3ELNS1_3repE0EEENS1_30default_config_static_selectorELNS0_4arch9wavefront6targetE0EEEvSZ_, .Lfunc_end773-_ZN7rocprim17ROCPRIM_400000_NS6detail17trampoline_kernelINS0_13select_configILj256ELj13ELNS0_17block_load_methodE3ELS4_3ELS4_3ELNS0_20block_scan_algorithmE0ELj4294967295EEENS1_25partition_config_selectorILNS1_17partition_subalgoE4EjNS0_10empty_typeEbEEZZNS1_14partition_implILS8_4ELb0ES6_15HIP_vector_typeIjLj2EENS0_17counting_iteratorIjlEEPS9_SG_NS0_5tupleIJPjSI_NS0_16reverse_iteratorISI_EEEEENSH_IJSG_SG_SG_EEES9_SI_JZNS1_25segmented_radix_sort_implINS0_14default_configELb0EPKlPlSQ_SR_N2at6native12_GLOBAL__N_18offset_tEEE10hipError_tPvRmT1_PNSt15iterator_traitsISZ_E10value_typeET2_T3_PNS10_IS15_E10value_typeET4_jRbjT5_S1B_jjP12ihipStream_tbEUljE_ZNSN_ISO_Lb0ESQ_SR_SQ_SR_SV_EESW_SX_SY_SZ_S13_S14_S15_S18_S19_jS1A_jS1B_S1B_jjS1D_bEUljE0_EEESW_SX_SY_S15_S19_S1B_T6_T7_T9_mT8_S1D_bDpT10_ENKUlT_T0_E_clISt17integral_constantIbLb0EES1Q_IbLb1EEEEDaS1M_S1N_EUlS1M_E_NS1_11comp_targetILNS1_3genE9ELNS1_11target_archE1100ELNS1_3gpuE3ELNS1_3repE0EEENS1_30default_config_static_selectorELNS0_4arch9wavefront6targetE0EEEvSZ_
                                        ; -- End function
	.section	.AMDGPU.csdata,"",@progbits
; Kernel info:
; codeLenInByte = 15060
; NumSgprs: 57
; NumVgprs: 103
; ScratchSize: 0
; MemoryBound: 0
; FloatMode: 240
; IeeeMode: 1
; LDSByteSize: 13340 bytes/workgroup (compile time only)
; SGPRBlocks: 7
; VGPRBlocks: 12
; NumSGPRsForWavesPerEU: 57
; NumVGPRsForWavesPerEU: 103
; Occupancy: 12
; WaveLimiterHint : 1
; COMPUTE_PGM_RSRC2:SCRATCH_EN: 0
; COMPUTE_PGM_RSRC2:USER_SGPR: 15
; COMPUTE_PGM_RSRC2:TRAP_HANDLER: 0
; COMPUTE_PGM_RSRC2:TGID_X_EN: 1
; COMPUTE_PGM_RSRC2:TGID_Y_EN: 0
; COMPUTE_PGM_RSRC2:TGID_Z_EN: 0
; COMPUTE_PGM_RSRC2:TIDIG_COMP_CNT: 0
	.section	.text._ZN7rocprim17ROCPRIM_400000_NS6detail17trampoline_kernelINS0_13select_configILj256ELj13ELNS0_17block_load_methodE3ELS4_3ELS4_3ELNS0_20block_scan_algorithmE0ELj4294967295EEENS1_25partition_config_selectorILNS1_17partition_subalgoE4EjNS0_10empty_typeEbEEZZNS1_14partition_implILS8_4ELb0ES6_15HIP_vector_typeIjLj2EENS0_17counting_iteratorIjlEEPS9_SG_NS0_5tupleIJPjSI_NS0_16reverse_iteratorISI_EEEEENSH_IJSG_SG_SG_EEES9_SI_JZNS1_25segmented_radix_sort_implINS0_14default_configELb0EPKlPlSQ_SR_N2at6native12_GLOBAL__N_18offset_tEEE10hipError_tPvRmT1_PNSt15iterator_traitsISZ_E10value_typeET2_T3_PNS10_IS15_E10value_typeET4_jRbjT5_S1B_jjP12ihipStream_tbEUljE_ZNSN_ISO_Lb0ESQ_SR_SQ_SR_SV_EESW_SX_SY_SZ_S13_S14_S15_S18_S19_jS1A_jS1B_S1B_jjS1D_bEUljE0_EEESW_SX_SY_S15_S19_S1B_T6_T7_T9_mT8_S1D_bDpT10_ENKUlT_T0_E_clISt17integral_constantIbLb0EES1Q_IbLb1EEEEDaS1M_S1N_EUlS1M_E_NS1_11comp_targetILNS1_3genE8ELNS1_11target_archE1030ELNS1_3gpuE2ELNS1_3repE0EEENS1_30default_config_static_selectorELNS0_4arch9wavefront6targetE0EEEvSZ_,"axG",@progbits,_ZN7rocprim17ROCPRIM_400000_NS6detail17trampoline_kernelINS0_13select_configILj256ELj13ELNS0_17block_load_methodE3ELS4_3ELS4_3ELNS0_20block_scan_algorithmE0ELj4294967295EEENS1_25partition_config_selectorILNS1_17partition_subalgoE4EjNS0_10empty_typeEbEEZZNS1_14partition_implILS8_4ELb0ES6_15HIP_vector_typeIjLj2EENS0_17counting_iteratorIjlEEPS9_SG_NS0_5tupleIJPjSI_NS0_16reverse_iteratorISI_EEEEENSH_IJSG_SG_SG_EEES9_SI_JZNS1_25segmented_radix_sort_implINS0_14default_configELb0EPKlPlSQ_SR_N2at6native12_GLOBAL__N_18offset_tEEE10hipError_tPvRmT1_PNSt15iterator_traitsISZ_E10value_typeET2_T3_PNS10_IS15_E10value_typeET4_jRbjT5_S1B_jjP12ihipStream_tbEUljE_ZNSN_ISO_Lb0ESQ_SR_SQ_SR_SV_EESW_SX_SY_SZ_S13_S14_S15_S18_S19_jS1A_jS1B_S1B_jjS1D_bEUljE0_EEESW_SX_SY_S15_S19_S1B_T6_T7_T9_mT8_S1D_bDpT10_ENKUlT_T0_E_clISt17integral_constantIbLb0EES1Q_IbLb1EEEEDaS1M_S1N_EUlS1M_E_NS1_11comp_targetILNS1_3genE8ELNS1_11target_archE1030ELNS1_3gpuE2ELNS1_3repE0EEENS1_30default_config_static_selectorELNS0_4arch9wavefront6targetE0EEEvSZ_,comdat
	.globl	_ZN7rocprim17ROCPRIM_400000_NS6detail17trampoline_kernelINS0_13select_configILj256ELj13ELNS0_17block_load_methodE3ELS4_3ELS4_3ELNS0_20block_scan_algorithmE0ELj4294967295EEENS1_25partition_config_selectorILNS1_17partition_subalgoE4EjNS0_10empty_typeEbEEZZNS1_14partition_implILS8_4ELb0ES6_15HIP_vector_typeIjLj2EENS0_17counting_iteratorIjlEEPS9_SG_NS0_5tupleIJPjSI_NS0_16reverse_iteratorISI_EEEEENSH_IJSG_SG_SG_EEES9_SI_JZNS1_25segmented_radix_sort_implINS0_14default_configELb0EPKlPlSQ_SR_N2at6native12_GLOBAL__N_18offset_tEEE10hipError_tPvRmT1_PNSt15iterator_traitsISZ_E10value_typeET2_T3_PNS10_IS15_E10value_typeET4_jRbjT5_S1B_jjP12ihipStream_tbEUljE_ZNSN_ISO_Lb0ESQ_SR_SQ_SR_SV_EESW_SX_SY_SZ_S13_S14_S15_S18_S19_jS1A_jS1B_S1B_jjS1D_bEUljE0_EEESW_SX_SY_S15_S19_S1B_T6_T7_T9_mT8_S1D_bDpT10_ENKUlT_T0_E_clISt17integral_constantIbLb0EES1Q_IbLb1EEEEDaS1M_S1N_EUlS1M_E_NS1_11comp_targetILNS1_3genE8ELNS1_11target_archE1030ELNS1_3gpuE2ELNS1_3repE0EEENS1_30default_config_static_selectorELNS0_4arch9wavefront6targetE0EEEvSZ_ ; -- Begin function _ZN7rocprim17ROCPRIM_400000_NS6detail17trampoline_kernelINS0_13select_configILj256ELj13ELNS0_17block_load_methodE3ELS4_3ELS4_3ELNS0_20block_scan_algorithmE0ELj4294967295EEENS1_25partition_config_selectorILNS1_17partition_subalgoE4EjNS0_10empty_typeEbEEZZNS1_14partition_implILS8_4ELb0ES6_15HIP_vector_typeIjLj2EENS0_17counting_iteratorIjlEEPS9_SG_NS0_5tupleIJPjSI_NS0_16reverse_iteratorISI_EEEEENSH_IJSG_SG_SG_EEES9_SI_JZNS1_25segmented_radix_sort_implINS0_14default_configELb0EPKlPlSQ_SR_N2at6native12_GLOBAL__N_18offset_tEEE10hipError_tPvRmT1_PNSt15iterator_traitsISZ_E10value_typeET2_T3_PNS10_IS15_E10value_typeET4_jRbjT5_S1B_jjP12ihipStream_tbEUljE_ZNSN_ISO_Lb0ESQ_SR_SQ_SR_SV_EESW_SX_SY_SZ_S13_S14_S15_S18_S19_jS1A_jS1B_S1B_jjS1D_bEUljE0_EEESW_SX_SY_S15_S19_S1B_T6_T7_T9_mT8_S1D_bDpT10_ENKUlT_T0_E_clISt17integral_constantIbLb0EES1Q_IbLb1EEEEDaS1M_S1N_EUlS1M_E_NS1_11comp_targetILNS1_3genE8ELNS1_11target_archE1030ELNS1_3gpuE2ELNS1_3repE0EEENS1_30default_config_static_selectorELNS0_4arch9wavefront6targetE0EEEvSZ_
	.p2align	8
	.type	_ZN7rocprim17ROCPRIM_400000_NS6detail17trampoline_kernelINS0_13select_configILj256ELj13ELNS0_17block_load_methodE3ELS4_3ELS4_3ELNS0_20block_scan_algorithmE0ELj4294967295EEENS1_25partition_config_selectorILNS1_17partition_subalgoE4EjNS0_10empty_typeEbEEZZNS1_14partition_implILS8_4ELb0ES6_15HIP_vector_typeIjLj2EENS0_17counting_iteratorIjlEEPS9_SG_NS0_5tupleIJPjSI_NS0_16reverse_iteratorISI_EEEEENSH_IJSG_SG_SG_EEES9_SI_JZNS1_25segmented_radix_sort_implINS0_14default_configELb0EPKlPlSQ_SR_N2at6native12_GLOBAL__N_18offset_tEEE10hipError_tPvRmT1_PNSt15iterator_traitsISZ_E10value_typeET2_T3_PNS10_IS15_E10value_typeET4_jRbjT5_S1B_jjP12ihipStream_tbEUljE_ZNSN_ISO_Lb0ESQ_SR_SQ_SR_SV_EESW_SX_SY_SZ_S13_S14_S15_S18_S19_jS1A_jS1B_S1B_jjS1D_bEUljE0_EEESW_SX_SY_S15_S19_S1B_T6_T7_T9_mT8_S1D_bDpT10_ENKUlT_T0_E_clISt17integral_constantIbLb0EES1Q_IbLb1EEEEDaS1M_S1N_EUlS1M_E_NS1_11comp_targetILNS1_3genE8ELNS1_11target_archE1030ELNS1_3gpuE2ELNS1_3repE0EEENS1_30default_config_static_selectorELNS0_4arch9wavefront6targetE0EEEvSZ_,@function
_ZN7rocprim17ROCPRIM_400000_NS6detail17trampoline_kernelINS0_13select_configILj256ELj13ELNS0_17block_load_methodE3ELS4_3ELS4_3ELNS0_20block_scan_algorithmE0ELj4294967295EEENS1_25partition_config_selectorILNS1_17partition_subalgoE4EjNS0_10empty_typeEbEEZZNS1_14partition_implILS8_4ELb0ES6_15HIP_vector_typeIjLj2EENS0_17counting_iteratorIjlEEPS9_SG_NS0_5tupleIJPjSI_NS0_16reverse_iteratorISI_EEEEENSH_IJSG_SG_SG_EEES9_SI_JZNS1_25segmented_radix_sort_implINS0_14default_configELb0EPKlPlSQ_SR_N2at6native12_GLOBAL__N_18offset_tEEE10hipError_tPvRmT1_PNSt15iterator_traitsISZ_E10value_typeET2_T3_PNS10_IS15_E10value_typeET4_jRbjT5_S1B_jjP12ihipStream_tbEUljE_ZNSN_ISO_Lb0ESQ_SR_SQ_SR_SV_EESW_SX_SY_SZ_S13_S14_S15_S18_S19_jS1A_jS1B_S1B_jjS1D_bEUljE0_EEESW_SX_SY_S15_S19_S1B_T6_T7_T9_mT8_S1D_bDpT10_ENKUlT_T0_E_clISt17integral_constantIbLb0EES1Q_IbLb1EEEEDaS1M_S1N_EUlS1M_E_NS1_11comp_targetILNS1_3genE8ELNS1_11target_archE1030ELNS1_3gpuE2ELNS1_3repE0EEENS1_30default_config_static_selectorELNS0_4arch9wavefront6targetE0EEEvSZ_: ; @_ZN7rocprim17ROCPRIM_400000_NS6detail17trampoline_kernelINS0_13select_configILj256ELj13ELNS0_17block_load_methodE3ELS4_3ELS4_3ELNS0_20block_scan_algorithmE0ELj4294967295EEENS1_25partition_config_selectorILNS1_17partition_subalgoE4EjNS0_10empty_typeEbEEZZNS1_14partition_implILS8_4ELb0ES6_15HIP_vector_typeIjLj2EENS0_17counting_iteratorIjlEEPS9_SG_NS0_5tupleIJPjSI_NS0_16reverse_iteratorISI_EEEEENSH_IJSG_SG_SG_EEES9_SI_JZNS1_25segmented_radix_sort_implINS0_14default_configELb0EPKlPlSQ_SR_N2at6native12_GLOBAL__N_18offset_tEEE10hipError_tPvRmT1_PNSt15iterator_traitsISZ_E10value_typeET2_T3_PNS10_IS15_E10value_typeET4_jRbjT5_S1B_jjP12ihipStream_tbEUljE_ZNSN_ISO_Lb0ESQ_SR_SQ_SR_SV_EESW_SX_SY_SZ_S13_S14_S15_S18_S19_jS1A_jS1B_S1B_jjS1D_bEUljE0_EEESW_SX_SY_S15_S19_S1B_T6_T7_T9_mT8_S1D_bDpT10_ENKUlT_T0_E_clISt17integral_constantIbLb0EES1Q_IbLb1EEEEDaS1M_S1N_EUlS1M_E_NS1_11comp_targetILNS1_3genE8ELNS1_11target_archE1030ELNS1_3gpuE2ELNS1_3repE0EEENS1_30default_config_static_selectorELNS0_4arch9wavefront6targetE0EEEvSZ_
; %bb.0:
	.section	.rodata,"a",@progbits
	.p2align	6, 0x0
	.amdhsa_kernel _ZN7rocprim17ROCPRIM_400000_NS6detail17trampoline_kernelINS0_13select_configILj256ELj13ELNS0_17block_load_methodE3ELS4_3ELS4_3ELNS0_20block_scan_algorithmE0ELj4294967295EEENS1_25partition_config_selectorILNS1_17partition_subalgoE4EjNS0_10empty_typeEbEEZZNS1_14partition_implILS8_4ELb0ES6_15HIP_vector_typeIjLj2EENS0_17counting_iteratorIjlEEPS9_SG_NS0_5tupleIJPjSI_NS0_16reverse_iteratorISI_EEEEENSH_IJSG_SG_SG_EEES9_SI_JZNS1_25segmented_radix_sort_implINS0_14default_configELb0EPKlPlSQ_SR_N2at6native12_GLOBAL__N_18offset_tEEE10hipError_tPvRmT1_PNSt15iterator_traitsISZ_E10value_typeET2_T3_PNS10_IS15_E10value_typeET4_jRbjT5_S1B_jjP12ihipStream_tbEUljE_ZNSN_ISO_Lb0ESQ_SR_SQ_SR_SV_EESW_SX_SY_SZ_S13_S14_S15_S18_S19_jS1A_jS1B_S1B_jjS1D_bEUljE0_EEESW_SX_SY_S15_S19_S1B_T6_T7_T9_mT8_S1D_bDpT10_ENKUlT_T0_E_clISt17integral_constantIbLb0EES1Q_IbLb1EEEEDaS1M_S1N_EUlS1M_E_NS1_11comp_targetILNS1_3genE8ELNS1_11target_archE1030ELNS1_3gpuE2ELNS1_3repE0EEENS1_30default_config_static_selectorELNS0_4arch9wavefront6targetE0EEEvSZ_
		.amdhsa_group_segment_fixed_size 0
		.amdhsa_private_segment_fixed_size 0
		.amdhsa_kernarg_size 184
		.amdhsa_user_sgpr_count 15
		.amdhsa_user_sgpr_dispatch_ptr 0
		.amdhsa_user_sgpr_queue_ptr 0
		.amdhsa_user_sgpr_kernarg_segment_ptr 1
		.amdhsa_user_sgpr_dispatch_id 0
		.amdhsa_user_sgpr_private_segment_size 0
		.amdhsa_wavefront_size32 1
		.amdhsa_uses_dynamic_stack 0
		.amdhsa_enable_private_segment 0
		.amdhsa_system_sgpr_workgroup_id_x 1
		.amdhsa_system_sgpr_workgroup_id_y 0
		.amdhsa_system_sgpr_workgroup_id_z 0
		.amdhsa_system_sgpr_workgroup_info 0
		.amdhsa_system_vgpr_workitem_id 0
		.amdhsa_next_free_vgpr 1
		.amdhsa_next_free_sgpr 1
		.amdhsa_reserve_vcc 0
		.amdhsa_float_round_mode_32 0
		.amdhsa_float_round_mode_16_64 0
		.amdhsa_float_denorm_mode_32 3
		.amdhsa_float_denorm_mode_16_64 3
		.amdhsa_dx10_clamp 1
		.amdhsa_ieee_mode 1
		.amdhsa_fp16_overflow 0
		.amdhsa_workgroup_processor_mode 1
		.amdhsa_memory_ordered 1
		.amdhsa_forward_progress 0
		.amdhsa_shared_vgpr_count 0
		.amdhsa_exception_fp_ieee_invalid_op 0
		.amdhsa_exception_fp_denorm_src 0
		.amdhsa_exception_fp_ieee_div_zero 0
		.amdhsa_exception_fp_ieee_overflow 0
		.amdhsa_exception_fp_ieee_underflow 0
		.amdhsa_exception_fp_ieee_inexact 0
		.amdhsa_exception_int_div_zero 0
	.end_amdhsa_kernel
	.section	.text._ZN7rocprim17ROCPRIM_400000_NS6detail17trampoline_kernelINS0_13select_configILj256ELj13ELNS0_17block_load_methodE3ELS4_3ELS4_3ELNS0_20block_scan_algorithmE0ELj4294967295EEENS1_25partition_config_selectorILNS1_17partition_subalgoE4EjNS0_10empty_typeEbEEZZNS1_14partition_implILS8_4ELb0ES6_15HIP_vector_typeIjLj2EENS0_17counting_iteratorIjlEEPS9_SG_NS0_5tupleIJPjSI_NS0_16reverse_iteratorISI_EEEEENSH_IJSG_SG_SG_EEES9_SI_JZNS1_25segmented_radix_sort_implINS0_14default_configELb0EPKlPlSQ_SR_N2at6native12_GLOBAL__N_18offset_tEEE10hipError_tPvRmT1_PNSt15iterator_traitsISZ_E10value_typeET2_T3_PNS10_IS15_E10value_typeET4_jRbjT5_S1B_jjP12ihipStream_tbEUljE_ZNSN_ISO_Lb0ESQ_SR_SQ_SR_SV_EESW_SX_SY_SZ_S13_S14_S15_S18_S19_jS1A_jS1B_S1B_jjS1D_bEUljE0_EEESW_SX_SY_S15_S19_S1B_T6_T7_T9_mT8_S1D_bDpT10_ENKUlT_T0_E_clISt17integral_constantIbLb0EES1Q_IbLb1EEEEDaS1M_S1N_EUlS1M_E_NS1_11comp_targetILNS1_3genE8ELNS1_11target_archE1030ELNS1_3gpuE2ELNS1_3repE0EEENS1_30default_config_static_selectorELNS0_4arch9wavefront6targetE0EEEvSZ_,"axG",@progbits,_ZN7rocprim17ROCPRIM_400000_NS6detail17trampoline_kernelINS0_13select_configILj256ELj13ELNS0_17block_load_methodE3ELS4_3ELS4_3ELNS0_20block_scan_algorithmE0ELj4294967295EEENS1_25partition_config_selectorILNS1_17partition_subalgoE4EjNS0_10empty_typeEbEEZZNS1_14partition_implILS8_4ELb0ES6_15HIP_vector_typeIjLj2EENS0_17counting_iteratorIjlEEPS9_SG_NS0_5tupleIJPjSI_NS0_16reverse_iteratorISI_EEEEENSH_IJSG_SG_SG_EEES9_SI_JZNS1_25segmented_radix_sort_implINS0_14default_configELb0EPKlPlSQ_SR_N2at6native12_GLOBAL__N_18offset_tEEE10hipError_tPvRmT1_PNSt15iterator_traitsISZ_E10value_typeET2_T3_PNS10_IS15_E10value_typeET4_jRbjT5_S1B_jjP12ihipStream_tbEUljE_ZNSN_ISO_Lb0ESQ_SR_SQ_SR_SV_EESW_SX_SY_SZ_S13_S14_S15_S18_S19_jS1A_jS1B_S1B_jjS1D_bEUljE0_EEESW_SX_SY_S15_S19_S1B_T6_T7_T9_mT8_S1D_bDpT10_ENKUlT_T0_E_clISt17integral_constantIbLb0EES1Q_IbLb1EEEEDaS1M_S1N_EUlS1M_E_NS1_11comp_targetILNS1_3genE8ELNS1_11target_archE1030ELNS1_3gpuE2ELNS1_3repE0EEENS1_30default_config_static_selectorELNS0_4arch9wavefront6targetE0EEEvSZ_,comdat
.Lfunc_end774:
	.size	_ZN7rocprim17ROCPRIM_400000_NS6detail17trampoline_kernelINS0_13select_configILj256ELj13ELNS0_17block_load_methodE3ELS4_3ELS4_3ELNS0_20block_scan_algorithmE0ELj4294967295EEENS1_25partition_config_selectorILNS1_17partition_subalgoE4EjNS0_10empty_typeEbEEZZNS1_14partition_implILS8_4ELb0ES6_15HIP_vector_typeIjLj2EENS0_17counting_iteratorIjlEEPS9_SG_NS0_5tupleIJPjSI_NS0_16reverse_iteratorISI_EEEEENSH_IJSG_SG_SG_EEES9_SI_JZNS1_25segmented_radix_sort_implINS0_14default_configELb0EPKlPlSQ_SR_N2at6native12_GLOBAL__N_18offset_tEEE10hipError_tPvRmT1_PNSt15iterator_traitsISZ_E10value_typeET2_T3_PNS10_IS15_E10value_typeET4_jRbjT5_S1B_jjP12ihipStream_tbEUljE_ZNSN_ISO_Lb0ESQ_SR_SQ_SR_SV_EESW_SX_SY_SZ_S13_S14_S15_S18_S19_jS1A_jS1B_S1B_jjS1D_bEUljE0_EEESW_SX_SY_S15_S19_S1B_T6_T7_T9_mT8_S1D_bDpT10_ENKUlT_T0_E_clISt17integral_constantIbLb0EES1Q_IbLb1EEEEDaS1M_S1N_EUlS1M_E_NS1_11comp_targetILNS1_3genE8ELNS1_11target_archE1030ELNS1_3gpuE2ELNS1_3repE0EEENS1_30default_config_static_selectorELNS0_4arch9wavefront6targetE0EEEvSZ_, .Lfunc_end774-_ZN7rocprim17ROCPRIM_400000_NS6detail17trampoline_kernelINS0_13select_configILj256ELj13ELNS0_17block_load_methodE3ELS4_3ELS4_3ELNS0_20block_scan_algorithmE0ELj4294967295EEENS1_25partition_config_selectorILNS1_17partition_subalgoE4EjNS0_10empty_typeEbEEZZNS1_14partition_implILS8_4ELb0ES6_15HIP_vector_typeIjLj2EENS0_17counting_iteratorIjlEEPS9_SG_NS0_5tupleIJPjSI_NS0_16reverse_iteratorISI_EEEEENSH_IJSG_SG_SG_EEES9_SI_JZNS1_25segmented_radix_sort_implINS0_14default_configELb0EPKlPlSQ_SR_N2at6native12_GLOBAL__N_18offset_tEEE10hipError_tPvRmT1_PNSt15iterator_traitsISZ_E10value_typeET2_T3_PNS10_IS15_E10value_typeET4_jRbjT5_S1B_jjP12ihipStream_tbEUljE_ZNSN_ISO_Lb0ESQ_SR_SQ_SR_SV_EESW_SX_SY_SZ_S13_S14_S15_S18_S19_jS1A_jS1B_S1B_jjS1D_bEUljE0_EEESW_SX_SY_S15_S19_S1B_T6_T7_T9_mT8_S1D_bDpT10_ENKUlT_T0_E_clISt17integral_constantIbLb0EES1Q_IbLb1EEEEDaS1M_S1N_EUlS1M_E_NS1_11comp_targetILNS1_3genE8ELNS1_11target_archE1030ELNS1_3gpuE2ELNS1_3repE0EEENS1_30default_config_static_selectorELNS0_4arch9wavefront6targetE0EEEvSZ_
                                        ; -- End function
	.section	.AMDGPU.csdata,"",@progbits
; Kernel info:
; codeLenInByte = 0
; NumSgprs: 0
; NumVgprs: 0
; ScratchSize: 0
; MemoryBound: 0
; FloatMode: 240
; IeeeMode: 1
; LDSByteSize: 0 bytes/workgroup (compile time only)
; SGPRBlocks: 0
; VGPRBlocks: 0
; NumSGPRsForWavesPerEU: 1
; NumVGPRsForWavesPerEU: 1
; Occupancy: 16
; WaveLimiterHint : 0
; COMPUTE_PGM_RSRC2:SCRATCH_EN: 0
; COMPUTE_PGM_RSRC2:USER_SGPR: 15
; COMPUTE_PGM_RSRC2:TRAP_HANDLER: 0
; COMPUTE_PGM_RSRC2:TGID_X_EN: 1
; COMPUTE_PGM_RSRC2:TGID_Y_EN: 0
; COMPUTE_PGM_RSRC2:TGID_Z_EN: 0
; COMPUTE_PGM_RSRC2:TIDIG_COMP_CNT: 0
	.section	.text._ZN7rocprim17ROCPRIM_400000_NS6detail17trampoline_kernelINS0_13select_configILj256ELj13ELNS0_17block_load_methodE3ELS4_3ELS4_3ELNS0_20block_scan_algorithmE0ELj4294967295EEENS1_25partition_config_selectorILNS1_17partition_subalgoE3EjNS0_10empty_typeEbEEZZNS1_14partition_implILS8_3ELb0ES6_jNS0_17counting_iteratorIjlEEPS9_SE_NS0_5tupleIJPjSE_EEENSF_IJSE_SE_EEES9_SG_JZNS1_25segmented_radix_sort_implINS0_14default_configELb0EPKlPlSM_SN_N2at6native12_GLOBAL__N_18offset_tEEE10hipError_tPvRmT1_PNSt15iterator_traitsISV_E10value_typeET2_T3_PNSW_IS11_E10value_typeET4_jRbjT5_S17_jjP12ihipStream_tbEUljE_EEESS_ST_SU_S11_S15_S17_T6_T7_T9_mT8_S19_bDpT10_ENKUlT_T0_E_clISt17integral_constantIbLb0EES1M_EEDaS1H_S1I_EUlS1H_E_NS1_11comp_targetILNS1_3genE0ELNS1_11target_archE4294967295ELNS1_3gpuE0ELNS1_3repE0EEENS1_30default_config_static_selectorELNS0_4arch9wavefront6targetE0EEEvSV_,"axG",@progbits,_ZN7rocprim17ROCPRIM_400000_NS6detail17trampoline_kernelINS0_13select_configILj256ELj13ELNS0_17block_load_methodE3ELS4_3ELS4_3ELNS0_20block_scan_algorithmE0ELj4294967295EEENS1_25partition_config_selectorILNS1_17partition_subalgoE3EjNS0_10empty_typeEbEEZZNS1_14partition_implILS8_3ELb0ES6_jNS0_17counting_iteratorIjlEEPS9_SE_NS0_5tupleIJPjSE_EEENSF_IJSE_SE_EEES9_SG_JZNS1_25segmented_radix_sort_implINS0_14default_configELb0EPKlPlSM_SN_N2at6native12_GLOBAL__N_18offset_tEEE10hipError_tPvRmT1_PNSt15iterator_traitsISV_E10value_typeET2_T3_PNSW_IS11_E10value_typeET4_jRbjT5_S17_jjP12ihipStream_tbEUljE_EEESS_ST_SU_S11_S15_S17_T6_T7_T9_mT8_S19_bDpT10_ENKUlT_T0_E_clISt17integral_constantIbLb0EES1M_EEDaS1H_S1I_EUlS1H_E_NS1_11comp_targetILNS1_3genE0ELNS1_11target_archE4294967295ELNS1_3gpuE0ELNS1_3repE0EEENS1_30default_config_static_selectorELNS0_4arch9wavefront6targetE0EEEvSV_,comdat
	.globl	_ZN7rocprim17ROCPRIM_400000_NS6detail17trampoline_kernelINS0_13select_configILj256ELj13ELNS0_17block_load_methodE3ELS4_3ELS4_3ELNS0_20block_scan_algorithmE0ELj4294967295EEENS1_25partition_config_selectorILNS1_17partition_subalgoE3EjNS0_10empty_typeEbEEZZNS1_14partition_implILS8_3ELb0ES6_jNS0_17counting_iteratorIjlEEPS9_SE_NS0_5tupleIJPjSE_EEENSF_IJSE_SE_EEES9_SG_JZNS1_25segmented_radix_sort_implINS0_14default_configELb0EPKlPlSM_SN_N2at6native12_GLOBAL__N_18offset_tEEE10hipError_tPvRmT1_PNSt15iterator_traitsISV_E10value_typeET2_T3_PNSW_IS11_E10value_typeET4_jRbjT5_S17_jjP12ihipStream_tbEUljE_EEESS_ST_SU_S11_S15_S17_T6_T7_T9_mT8_S19_bDpT10_ENKUlT_T0_E_clISt17integral_constantIbLb0EES1M_EEDaS1H_S1I_EUlS1H_E_NS1_11comp_targetILNS1_3genE0ELNS1_11target_archE4294967295ELNS1_3gpuE0ELNS1_3repE0EEENS1_30default_config_static_selectorELNS0_4arch9wavefront6targetE0EEEvSV_ ; -- Begin function _ZN7rocprim17ROCPRIM_400000_NS6detail17trampoline_kernelINS0_13select_configILj256ELj13ELNS0_17block_load_methodE3ELS4_3ELS4_3ELNS0_20block_scan_algorithmE0ELj4294967295EEENS1_25partition_config_selectorILNS1_17partition_subalgoE3EjNS0_10empty_typeEbEEZZNS1_14partition_implILS8_3ELb0ES6_jNS0_17counting_iteratorIjlEEPS9_SE_NS0_5tupleIJPjSE_EEENSF_IJSE_SE_EEES9_SG_JZNS1_25segmented_radix_sort_implINS0_14default_configELb0EPKlPlSM_SN_N2at6native12_GLOBAL__N_18offset_tEEE10hipError_tPvRmT1_PNSt15iterator_traitsISV_E10value_typeET2_T3_PNSW_IS11_E10value_typeET4_jRbjT5_S17_jjP12ihipStream_tbEUljE_EEESS_ST_SU_S11_S15_S17_T6_T7_T9_mT8_S19_bDpT10_ENKUlT_T0_E_clISt17integral_constantIbLb0EES1M_EEDaS1H_S1I_EUlS1H_E_NS1_11comp_targetILNS1_3genE0ELNS1_11target_archE4294967295ELNS1_3gpuE0ELNS1_3repE0EEENS1_30default_config_static_selectorELNS0_4arch9wavefront6targetE0EEEvSV_
	.p2align	8
	.type	_ZN7rocprim17ROCPRIM_400000_NS6detail17trampoline_kernelINS0_13select_configILj256ELj13ELNS0_17block_load_methodE3ELS4_3ELS4_3ELNS0_20block_scan_algorithmE0ELj4294967295EEENS1_25partition_config_selectorILNS1_17partition_subalgoE3EjNS0_10empty_typeEbEEZZNS1_14partition_implILS8_3ELb0ES6_jNS0_17counting_iteratorIjlEEPS9_SE_NS0_5tupleIJPjSE_EEENSF_IJSE_SE_EEES9_SG_JZNS1_25segmented_radix_sort_implINS0_14default_configELb0EPKlPlSM_SN_N2at6native12_GLOBAL__N_18offset_tEEE10hipError_tPvRmT1_PNSt15iterator_traitsISV_E10value_typeET2_T3_PNSW_IS11_E10value_typeET4_jRbjT5_S17_jjP12ihipStream_tbEUljE_EEESS_ST_SU_S11_S15_S17_T6_T7_T9_mT8_S19_bDpT10_ENKUlT_T0_E_clISt17integral_constantIbLb0EES1M_EEDaS1H_S1I_EUlS1H_E_NS1_11comp_targetILNS1_3genE0ELNS1_11target_archE4294967295ELNS1_3gpuE0ELNS1_3repE0EEENS1_30default_config_static_selectorELNS0_4arch9wavefront6targetE0EEEvSV_,@function
_ZN7rocprim17ROCPRIM_400000_NS6detail17trampoline_kernelINS0_13select_configILj256ELj13ELNS0_17block_load_methodE3ELS4_3ELS4_3ELNS0_20block_scan_algorithmE0ELj4294967295EEENS1_25partition_config_selectorILNS1_17partition_subalgoE3EjNS0_10empty_typeEbEEZZNS1_14partition_implILS8_3ELb0ES6_jNS0_17counting_iteratorIjlEEPS9_SE_NS0_5tupleIJPjSE_EEENSF_IJSE_SE_EEES9_SG_JZNS1_25segmented_radix_sort_implINS0_14default_configELb0EPKlPlSM_SN_N2at6native12_GLOBAL__N_18offset_tEEE10hipError_tPvRmT1_PNSt15iterator_traitsISV_E10value_typeET2_T3_PNSW_IS11_E10value_typeET4_jRbjT5_S17_jjP12ihipStream_tbEUljE_EEESS_ST_SU_S11_S15_S17_T6_T7_T9_mT8_S19_bDpT10_ENKUlT_T0_E_clISt17integral_constantIbLb0EES1M_EEDaS1H_S1I_EUlS1H_E_NS1_11comp_targetILNS1_3genE0ELNS1_11target_archE4294967295ELNS1_3gpuE0ELNS1_3repE0EEENS1_30default_config_static_selectorELNS0_4arch9wavefront6targetE0EEEvSV_: ; @_ZN7rocprim17ROCPRIM_400000_NS6detail17trampoline_kernelINS0_13select_configILj256ELj13ELNS0_17block_load_methodE3ELS4_3ELS4_3ELNS0_20block_scan_algorithmE0ELj4294967295EEENS1_25partition_config_selectorILNS1_17partition_subalgoE3EjNS0_10empty_typeEbEEZZNS1_14partition_implILS8_3ELb0ES6_jNS0_17counting_iteratorIjlEEPS9_SE_NS0_5tupleIJPjSE_EEENSF_IJSE_SE_EEES9_SG_JZNS1_25segmented_radix_sort_implINS0_14default_configELb0EPKlPlSM_SN_N2at6native12_GLOBAL__N_18offset_tEEE10hipError_tPvRmT1_PNSt15iterator_traitsISV_E10value_typeET2_T3_PNSW_IS11_E10value_typeET4_jRbjT5_S17_jjP12ihipStream_tbEUljE_EEESS_ST_SU_S11_S15_S17_T6_T7_T9_mT8_S19_bDpT10_ENKUlT_T0_E_clISt17integral_constantIbLb0EES1M_EEDaS1H_S1I_EUlS1H_E_NS1_11comp_targetILNS1_3genE0ELNS1_11target_archE4294967295ELNS1_3gpuE0ELNS1_3repE0EEENS1_30default_config_static_selectorELNS0_4arch9wavefront6targetE0EEEvSV_
; %bb.0:
	.section	.rodata,"a",@progbits
	.p2align	6, 0x0
	.amdhsa_kernel _ZN7rocprim17ROCPRIM_400000_NS6detail17trampoline_kernelINS0_13select_configILj256ELj13ELNS0_17block_load_methodE3ELS4_3ELS4_3ELNS0_20block_scan_algorithmE0ELj4294967295EEENS1_25partition_config_selectorILNS1_17partition_subalgoE3EjNS0_10empty_typeEbEEZZNS1_14partition_implILS8_3ELb0ES6_jNS0_17counting_iteratorIjlEEPS9_SE_NS0_5tupleIJPjSE_EEENSF_IJSE_SE_EEES9_SG_JZNS1_25segmented_radix_sort_implINS0_14default_configELb0EPKlPlSM_SN_N2at6native12_GLOBAL__N_18offset_tEEE10hipError_tPvRmT1_PNSt15iterator_traitsISV_E10value_typeET2_T3_PNSW_IS11_E10value_typeET4_jRbjT5_S17_jjP12ihipStream_tbEUljE_EEESS_ST_SU_S11_S15_S17_T6_T7_T9_mT8_S19_bDpT10_ENKUlT_T0_E_clISt17integral_constantIbLb0EES1M_EEDaS1H_S1I_EUlS1H_E_NS1_11comp_targetILNS1_3genE0ELNS1_11target_archE4294967295ELNS1_3gpuE0ELNS1_3repE0EEENS1_30default_config_static_selectorELNS0_4arch9wavefront6targetE0EEEvSV_
		.amdhsa_group_segment_fixed_size 0
		.amdhsa_private_segment_fixed_size 0
		.amdhsa_kernarg_size 144
		.amdhsa_user_sgpr_count 15
		.amdhsa_user_sgpr_dispatch_ptr 0
		.amdhsa_user_sgpr_queue_ptr 0
		.amdhsa_user_sgpr_kernarg_segment_ptr 1
		.amdhsa_user_sgpr_dispatch_id 0
		.amdhsa_user_sgpr_private_segment_size 0
		.amdhsa_wavefront_size32 1
		.amdhsa_uses_dynamic_stack 0
		.amdhsa_enable_private_segment 0
		.amdhsa_system_sgpr_workgroup_id_x 1
		.amdhsa_system_sgpr_workgroup_id_y 0
		.amdhsa_system_sgpr_workgroup_id_z 0
		.amdhsa_system_sgpr_workgroup_info 0
		.amdhsa_system_vgpr_workitem_id 0
		.amdhsa_next_free_vgpr 1
		.amdhsa_next_free_sgpr 1
		.amdhsa_reserve_vcc 0
		.amdhsa_float_round_mode_32 0
		.amdhsa_float_round_mode_16_64 0
		.amdhsa_float_denorm_mode_32 3
		.amdhsa_float_denorm_mode_16_64 3
		.amdhsa_dx10_clamp 1
		.amdhsa_ieee_mode 1
		.amdhsa_fp16_overflow 0
		.amdhsa_workgroup_processor_mode 1
		.amdhsa_memory_ordered 1
		.amdhsa_forward_progress 0
		.amdhsa_shared_vgpr_count 0
		.amdhsa_exception_fp_ieee_invalid_op 0
		.amdhsa_exception_fp_denorm_src 0
		.amdhsa_exception_fp_ieee_div_zero 0
		.amdhsa_exception_fp_ieee_overflow 0
		.amdhsa_exception_fp_ieee_underflow 0
		.amdhsa_exception_fp_ieee_inexact 0
		.amdhsa_exception_int_div_zero 0
	.end_amdhsa_kernel
	.section	.text._ZN7rocprim17ROCPRIM_400000_NS6detail17trampoline_kernelINS0_13select_configILj256ELj13ELNS0_17block_load_methodE3ELS4_3ELS4_3ELNS0_20block_scan_algorithmE0ELj4294967295EEENS1_25partition_config_selectorILNS1_17partition_subalgoE3EjNS0_10empty_typeEbEEZZNS1_14partition_implILS8_3ELb0ES6_jNS0_17counting_iteratorIjlEEPS9_SE_NS0_5tupleIJPjSE_EEENSF_IJSE_SE_EEES9_SG_JZNS1_25segmented_radix_sort_implINS0_14default_configELb0EPKlPlSM_SN_N2at6native12_GLOBAL__N_18offset_tEEE10hipError_tPvRmT1_PNSt15iterator_traitsISV_E10value_typeET2_T3_PNSW_IS11_E10value_typeET4_jRbjT5_S17_jjP12ihipStream_tbEUljE_EEESS_ST_SU_S11_S15_S17_T6_T7_T9_mT8_S19_bDpT10_ENKUlT_T0_E_clISt17integral_constantIbLb0EES1M_EEDaS1H_S1I_EUlS1H_E_NS1_11comp_targetILNS1_3genE0ELNS1_11target_archE4294967295ELNS1_3gpuE0ELNS1_3repE0EEENS1_30default_config_static_selectorELNS0_4arch9wavefront6targetE0EEEvSV_,"axG",@progbits,_ZN7rocprim17ROCPRIM_400000_NS6detail17trampoline_kernelINS0_13select_configILj256ELj13ELNS0_17block_load_methodE3ELS4_3ELS4_3ELNS0_20block_scan_algorithmE0ELj4294967295EEENS1_25partition_config_selectorILNS1_17partition_subalgoE3EjNS0_10empty_typeEbEEZZNS1_14partition_implILS8_3ELb0ES6_jNS0_17counting_iteratorIjlEEPS9_SE_NS0_5tupleIJPjSE_EEENSF_IJSE_SE_EEES9_SG_JZNS1_25segmented_radix_sort_implINS0_14default_configELb0EPKlPlSM_SN_N2at6native12_GLOBAL__N_18offset_tEEE10hipError_tPvRmT1_PNSt15iterator_traitsISV_E10value_typeET2_T3_PNSW_IS11_E10value_typeET4_jRbjT5_S17_jjP12ihipStream_tbEUljE_EEESS_ST_SU_S11_S15_S17_T6_T7_T9_mT8_S19_bDpT10_ENKUlT_T0_E_clISt17integral_constantIbLb0EES1M_EEDaS1H_S1I_EUlS1H_E_NS1_11comp_targetILNS1_3genE0ELNS1_11target_archE4294967295ELNS1_3gpuE0ELNS1_3repE0EEENS1_30default_config_static_selectorELNS0_4arch9wavefront6targetE0EEEvSV_,comdat
.Lfunc_end775:
	.size	_ZN7rocprim17ROCPRIM_400000_NS6detail17trampoline_kernelINS0_13select_configILj256ELj13ELNS0_17block_load_methodE3ELS4_3ELS4_3ELNS0_20block_scan_algorithmE0ELj4294967295EEENS1_25partition_config_selectorILNS1_17partition_subalgoE3EjNS0_10empty_typeEbEEZZNS1_14partition_implILS8_3ELb0ES6_jNS0_17counting_iteratorIjlEEPS9_SE_NS0_5tupleIJPjSE_EEENSF_IJSE_SE_EEES9_SG_JZNS1_25segmented_radix_sort_implINS0_14default_configELb0EPKlPlSM_SN_N2at6native12_GLOBAL__N_18offset_tEEE10hipError_tPvRmT1_PNSt15iterator_traitsISV_E10value_typeET2_T3_PNSW_IS11_E10value_typeET4_jRbjT5_S17_jjP12ihipStream_tbEUljE_EEESS_ST_SU_S11_S15_S17_T6_T7_T9_mT8_S19_bDpT10_ENKUlT_T0_E_clISt17integral_constantIbLb0EES1M_EEDaS1H_S1I_EUlS1H_E_NS1_11comp_targetILNS1_3genE0ELNS1_11target_archE4294967295ELNS1_3gpuE0ELNS1_3repE0EEENS1_30default_config_static_selectorELNS0_4arch9wavefront6targetE0EEEvSV_, .Lfunc_end775-_ZN7rocprim17ROCPRIM_400000_NS6detail17trampoline_kernelINS0_13select_configILj256ELj13ELNS0_17block_load_methodE3ELS4_3ELS4_3ELNS0_20block_scan_algorithmE0ELj4294967295EEENS1_25partition_config_selectorILNS1_17partition_subalgoE3EjNS0_10empty_typeEbEEZZNS1_14partition_implILS8_3ELb0ES6_jNS0_17counting_iteratorIjlEEPS9_SE_NS0_5tupleIJPjSE_EEENSF_IJSE_SE_EEES9_SG_JZNS1_25segmented_radix_sort_implINS0_14default_configELb0EPKlPlSM_SN_N2at6native12_GLOBAL__N_18offset_tEEE10hipError_tPvRmT1_PNSt15iterator_traitsISV_E10value_typeET2_T3_PNSW_IS11_E10value_typeET4_jRbjT5_S17_jjP12ihipStream_tbEUljE_EEESS_ST_SU_S11_S15_S17_T6_T7_T9_mT8_S19_bDpT10_ENKUlT_T0_E_clISt17integral_constantIbLb0EES1M_EEDaS1H_S1I_EUlS1H_E_NS1_11comp_targetILNS1_3genE0ELNS1_11target_archE4294967295ELNS1_3gpuE0ELNS1_3repE0EEENS1_30default_config_static_selectorELNS0_4arch9wavefront6targetE0EEEvSV_
                                        ; -- End function
	.section	.AMDGPU.csdata,"",@progbits
; Kernel info:
; codeLenInByte = 0
; NumSgprs: 0
; NumVgprs: 0
; ScratchSize: 0
; MemoryBound: 0
; FloatMode: 240
; IeeeMode: 1
; LDSByteSize: 0 bytes/workgroup (compile time only)
; SGPRBlocks: 0
; VGPRBlocks: 0
; NumSGPRsForWavesPerEU: 1
; NumVGPRsForWavesPerEU: 1
; Occupancy: 16
; WaveLimiterHint : 0
; COMPUTE_PGM_RSRC2:SCRATCH_EN: 0
; COMPUTE_PGM_RSRC2:USER_SGPR: 15
; COMPUTE_PGM_RSRC2:TRAP_HANDLER: 0
; COMPUTE_PGM_RSRC2:TGID_X_EN: 1
; COMPUTE_PGM_RSRC2:TGID_Y_EN: 0
; COMPUTE_PGM_RSRC2:TGID_Z_EN: 0
; COMPUTE_PGM_RSRC2:TIDIG_COMP_CNT: 0
	.section	.text._ZN7rocprim17ROCPRIM_400000_NS6detail17trampoline_kernelINS0_13select_configILj256ELj13ELNS0_17block_load_methodE3ELS4_3ELS4_3ELNS0_20block_scan_algorithmE0ELj4294967295EEENS1_25partition_config_selectorILNS1_17partition_subalgoE3EjNS0_10empty_typeEbEEZZNS1_14partition_implILS8_3ELb0ES6_jNS0_17counting_iteratorIjlEEPS9_SE_NS0_5tupleIJPjSE_EEENSF_IJSE_SE_EEES9_SG_JZNS1_25segmented_radix_sort_implINS0_14default_configELb0EPKlPlSM_SN_N2at6native12_GLOBAL__N_18offset_tEEE10hipError_tPvRmT1_PNSt15iterator_traitsISV_E10value_typeET2_T3_PNSW_IS11_E10value_typeET4_jRbjT5_S17_jjP12ihipStream_tbEUljE_EEESS_ST_SU_S11_S15_S17_T6_T7_T9_mT8_S19_bDpT10_ENKUlT_T0_E_clISt17integral_constantIbLb0EES1M_EEDaS1H_S1I_EUlS1H_E_NS1_11comp_targetILNS1_3genE5ELNS1_11target_archE942ELNS1_3gpuE9ELNS1_3repE0EEENS1_30default_config_static_selectorELNS0_4arch9wavefront6targetE0EEEvSV_,"axG",@progbits,_ZN7rocprim17ROCPRIM_400000_NS6detail17trampoline_kernelINS0_13select_configILj256ELj13ELNS0_17block_load_methodE3ELS4_3ELS4_3ELNS0_20block_scan_algorithmE0ELj4294967295EEENS1_25partition_config_selectorILNS1_17partition_subalgoE3EjNS0_10empty_typeEbEEZZNS1_14partition_implILS8_3ELb0ES6_jNS0_17counting_iteratorIjlEEPS9_SE_NS0_5tupleIJPjSE_EEENSF_IJSE_SE_EEES9_SG_JZNS1_25segmented_radix_sort_implINS0_14default_configELb0EPKlPlSM_SN_N2at6native12_GLOBAL__N_18offset_tEEE10hipError_tPvRmT1_PNSt15iterator_traitsISV_E10value_typeET2_T3_PNSW_IS11_E10value_typeET4_jRbjT5_S17_jjP12ihipStream_tbEUljE_EEESS_ST_SU_S11_S15_S17_T6_T7_T9_mT8_S19_bDpT10_ENKUlT_T0_E_clISt17integral_constantIbLb0EES1M_EEDaS1H_S1I_EUlS1H_E_NS1_11comp_targetILNS1_3genE5ELNS1_11target_archE942ELNS1_3gpuE9ELNS1_3repE0EEENS1_30default_config_static_selectorELNS0_4arch9wavefront6targetE0EEEvSV_,comdat
	.globl	_ZN7rocprim17ROCPRIM_400000_NS6detail17trampoline_kernelINS0_13select_configILj256ELj13ELNS0_17block_load_methodE3ELS4_3ELS4_3ELNS0_20block_scan_algorithmE0ELj4294967295EEENS1_25partition_config_selectorILNS1_17partition_subalgoE3EjNS0_10empty_typeEbEEZZNS1_14partition_implILS8_3ELb0ES6_jNS0_17counting_iteratorIjlEEPS9_SE_NS0_5tupleIJPjSE_EEENSF_IJSE_SE_EEES9_SG_JZNS1_25segmented_radix_sort_implINS0_14default_configELb0EPKlPlSM_SN_N2at6native12_GLOBAL__N_18offset_tEEE10hipError_tPvRmT1_PNSt15iterator_traitsISV_E10value_typeET2_T3_PNSW_IS11_E10value_typeET4_jRbjT5_S17_jjP12ihipStream_tbEUljE_EEESS_ST_SU_S11_S15_S17_T6_T7_T9_mT8_S19_bDpT10_ENKUlT_T0_E_clISt17integral_constantIbLb0EES1M_EEDaS1H_S1I_EUlS1H_E_NS1_11comp_targetILNS1_3genE5ELNS1_11target_archE942ELNS1_3gpuE9ELNS1_3repE0EEENS1_30default_config_static_selectorELNS0_4arch9wavefront6targetE0EEEvSV_ ; -- Begin function _ZN7rocprim17ROCPRIM_400000_NS6detail17trampoline_kernelINS0_13select_configILj256ELj13ELNS0_17block_load_methodE3ELS4_3ELS4_3ELNS0_20block_scan_algorithmE0ELj4294967295EEENS1_25partition_config_selectorILNS1_17partition_subalgoE3EjNS0_10empty_typeEbEEZZNS1_14partition_implILS8_3ELb0ES6_jNS0_17counting_iteratorIjlEEPS9_SE_NS0_5tupleIJPjSE_EEENSF_IJSE_SE_EEES9_SG_JZNS1_25segmented_radix_sort_implINS0_14default_configELb0EPKlPlSM_SN_N2at6native12_GLOBAL__N_18offset_tEEE10hipError_tPvRmT1_PNSt15iterator_traitsISV_E10value_typeET2_T3_PNSW_IS11_E10value_typeET4_jRbjT5_S17_jjP12ihipStream_tbEUljE_EEESS_ST_SU_S11_S15_S17_T6_T7_T9_mT8_S19_bDpT10_ENKUlT_T0_E_clISt17integral_constantIbLb0EES1M_EEDaS1H_S1I_EUlS1H_E_NS1_11comp_targetILNS1_3genE5ELNS1_11target_archE942ELNS1_3gpuE9ELNS1_3repE0EEENS1_30default_config_static_selectorELNS0_4arch9wavefront6targetE0EEEvSV_
	.p2align	8
	.type	_ZN7rocprim17ROCPRIM_400000_NS6detail17trampoline_kernelINS0_13select_configILj256ELj13ELNS0_17block_load_methodE3ELS4_3ELS4_3ELNS0_20block_scan_algorithmE0ELj4294967295EEENS1_25partition_config_selectorILNS1_17partition_subalgoE3EjNS0_10empty_typeEbEEZZNS1_14partition_implILS8_3ELb0ES6_jNS0_17counting_iteratorIjlEEPS9_SE_NS0_5tupleIJPjSE_EEENSF_IJSE_SE_EEES9_SG_JZNS1_25segmented_radix_sort_implINS0_14default_configELb0EPKlPlSM_SN_N2at6native12_GLOBAL__N_18offset_tEEE10hipError_tPvRmT1_PNSt15iterator_traitsISV_E10value_typeET2_T3_PNSW_IS11_E10value_typeET4_jRbjT5_S17_jjP12ihipStream_tbEUljE_EEESS_ST_SU_S11_S15_S17_T6_T7_T9_mT8_S19_bDpT10_ENKUlT_T0_E_clISt17integral_constantIbLb0EES1M_EEDaS1H_S1I_EUlS1H_E_NS1_11comp_targetILNS1_3genE5ELNS1_11target_archE942ELNS1_3gpuE9ELNS1_3repE0EEENS1_30default_config_static_selectorELNS0_4arch9wavefront6targetE0EEEvSV_,@function
_ZN7rocprim17ROCPRIM_400000_NS6detail17trampoline_kernelINS0_13select_configILj256ELj13ELNS0_17block_load_methodE3ELS4_3ELS4_3ELNS0_20block_scan_algorithmE0ELj4294967295EEENS1_25partition_config_selectorILNS1_17partition_subalgoE3EjNS0_10empty_typeEbEEZZNS1_14partition_implILS8_3ELb0ES6_jNS0_17counting_iteratorIjlEEPS9_SE_NS0_5tupleIJPjSE_EEENSF_IJSE_SE_EEES9_SG_JZNS1_25segmented_radix_sort_implINS0_14default_configELb0EPKlPlSM_SN_N2at6native12_GLOBAL__N_18offset_tEEE10hipError_tPvRmT1_PNSt15iterator_traitsISV_E10value_typeET2_T3_PNSW_IS11_E10value_typeET4_jRbjT5_S17_jjP12ihipStream_tbEUljE_EEESS_ST_SU_S11_S15_S17_T6_T7_T9_mT8_S19_bDpT10_ENKUlT_T0_E_clISt17integral_constantIbLb0EES1M_EEDaS1H_S1I_EUlS1H_E_NS1_11comp_targetILNS1_3genE5ELNS1_11target_archE942ELNS1_3gpuE9ELNS1_3repE0EEENS1_30default_config_static_selectorELNS0_4arch9wavefront6targetE0EEEvSV_: ; @_ZN7rocprim17ROCPRIM_400000_NS6detail17trampoline_kernelINS0_13select_configILj256ELj13ELNS0_17block_load_methodE3ELS4_3ELS4_3ELNS0_20block_scan_algorithmE0ELj4294967295EEENS1_25partition_config_selectorILNS1_17partition_subalgoE3EjNS0_10empty_typeEbEEZZNS1_14partition_implILS8_3ELb0ES6_jNS0_17counting_iteratorIjlEEPS9_SE_NS0_5tupleIJPjSE_EEENSF_IJSE_SE_EEES9_SG_JZNS1_25segmented_radix_sort_implINS0_14default_configELb0EPKlPlSM_SN_N2at6native12_GLOBAL__N_18offset_tEEE10hipError_tPvRmT1_PNSt15iterator_traitsISV_E10value_typeET2_T3_PNSW_IS11_E10value_typeET4_jRbjT5_S17_jjP12ihipStream_tbEUljE_EEESS_ST_SU_S11_S15_S17_T6_T7_T9_mT8_S19_bDpT10_ENKUlT_T0_E_clISt17integral_constantIbLb0EES1M_EEDaS1H_S1I_EUlS1H_E_NS1_11comp_targetILNS1_3genE5ELNS1_11target_archE942ELNS1_3gpuE9ELNS1_3repE0EEENS1_30default_config_static_selectorELNS0_4arch9wavefront6targetE0EEEvSV_
; %bb.0:
	.section	.rodata,"a",@progbits
	.p2align	6, 0x0
	.amdhsa_kernel _ZN7rocprim17ROCPRIM_400000_NS6detail17trampoline_kernelINS0_13select_configILj256ELj13ELNS0_17block_load_methodE3ELS4_3ELS4_3ELNS0_20block_scan_algorithmE0ELj4294967295EEENS1_25partition_config_selectorILNS1_17partition_subalgoE3EjNS0_10empty_typeEbEEZZNS1_14partition_implILS8_3ELb0ES6_jNS0_17counting_iteratorIjlEEPS9_SE_NS0_5tupleIJPjSE_EEENSF_IJSE_SE_EEES9_SG_JZNS1_25segmented_radix_sort_implINS0_14default_configELb0EPKlPlSM_SN_N2at6native12_GLOBAL__N_18offset_tEEE10hipError_tPvRmT1_PNSt15iterator_traitsISV_E10value_typeET2_T3_PNSW_IS11_E10value_typeET4_jRbjT5_S17_jjP12ihipStream_tbEUljE_EEESS_ST_SU_S11_S15_S17_T6_T7_T9_mT8_S19_bDpT10_ENKUlT_T0_E_clISt17integral_constantIbLb0EES1M_EEDaS1H_S1I_EUlS1H_E_NS1_11comp_targetILNS1_3genE5ELNS1_11target_archE942ELNS1_3gpuE9ELNS1_3repE0EEENS1_30default_config_static_selectorELNS0_4arch9wavefront6targetE0EEEvSV_
		.amdhsa_group_segment_fixed_size 0
		.amdhsa_private_segment_fixed_size 0
		.amdhsa_kernarg_size 144
		.amdhsa_user_sgpr_count 15
		.amdhsa_user_sgpr_dispatch_ptr 0
		.amdhsa_user_sgpr_queue_ptr 0
		.amdhsa_user_sgpr_kernarg_segment_ptr 1
		.amdhsa_user_sgpr_dispatch_id 0
		.amdhsa_user_sgpr_private_segment_size 0
		.amdhsa_wavefront_size32 1
		.amdhsa_uses_dynamic_stack 0
		.amdhsa_enable_private_segment 0
		.amdhsa_system_sgpr_workgroup_id_x 1
		.amdhsa_system_sgpr_workgroup_id_y 0
		.amdhsa_system_sgpr_workgroup_id_z 0
		.amdhsa_system_sgpr_workgroup_info 0
		.amdhsa_system_vgpr_workitem_id 0
		.amdhsa_next_free_vgpr 1
		.amdhsa_next_free_sgpr 1
		.amdhsa_reserve_vcc 0
		.amdhsa_float_round_mode_32 0
		.amdhsa_float_round_mode_16_64 0
		.amdhsa_float_denorm_mode_32 3
		.amdhsa_float_denorm_mode_16_64 3
		.amdhsa_dx10_clamp 1
		.amdhsa_ieee_mode 1
		.amdhsa_fp16_overflow 0
		.amdhsa_workgroup_processor_mode 1
		.amdhsa_memory_ordered 1
		.amdhsa_forward_progress 0
		.amdhsa_shared_vgpr_count 0
		.amdhsa_exception_fp_ieee_invalid_op 0
		.amdhsa_exception_fp_denorm_src 0
		.amdhsa_exception_fp_ieee_div_zero 0
		.amdhsa_exception_fp_ieee_overflow 0
		.amdhsa_exception_fp_ieee_underflow 0
		.amdhsa_exception_fp_ieee_inexact 0
		.amdhsa_exception_int_div_zero 0
	.end_amdhsa_kernel
	.section	.text._ZN7rocprim17ROCPRIM_400000_NS6detail17trampoline_kernelINS0_13select_configILj256ELj13ELNS0_17block_load_methodE3ELS4_3ELS4_3ELNS0_20block_scan_algorithmE0ELj4294967295EEENS1_25partition_config_selectorILNS1_17partition_subalgoE3EjNS0_10empty_typeEbEEZZNS1_14partition_implILS8_3ELb0ES6_jNS0_17counting_iteratorIjlEEPS9_SE_NS0_5tupleIJPjSE_EEENSF_IJSE_SE_EEES9_SG_JZNS1_25segmented_radix_sort_implINS0_14default_configELb0EPKlPlSM_SN_N2at6native12_GLOBAL__N_18offset_tEEE10hipError_tPvRmT1_PNSt15iterator_traitsISV_E10value_typeET2_T3_PNSW_IS11_E10value_typeET4_jRbjT5_S17_jjP12ihipStream_tbEUljE_EEESS_ST_SU_S11_S15_S17_T6_T7_T9_mT8_S19_bDpT10_ENKUlT_T0_E_clISt17integral_constantIbLb0EES1M_EEDaS1H_S1I_EUlS1H_E_NS1_11comp_targetILNS1_3genE5ELNS1_11target_archE942ELNS1_3gpuE9ELNS1_3repE0EEENS1_30default_config_static_selectorELNS0_4arch9wavefront6targetE0EEEvSV_,"axG",@progbits,_ZN7rocprim17ROCPRIM_400000_NS6detail17trampoline_kernelINS0_13select_configILj256ELj13ELNS0_17block_load_methodE3ELS4_3ELS4_3ELNS0_20block_scan_algorithmE0ELj4294967295EEENS1_25partition_config_selectorILNS1_17partition_subalgoE3EjNS0_10empty_typeEbEEZZNS1_14partition_implILS8_3ELb0ES6_jNS0_17counting_iteratorIjlEEPS9_SE_NS0_5tupleIJPjSE_EEENSF_IJSE_SE_EEES9_SG_JZNS1_25segmented_radix_sort_implINS0_14default_configELb0EPKlPlSM_SN_N2at6native12_GLOBAL__N_18offset_tEEE10hipError_tPvRmT1_PNSt15iterator_traitsISV_E10value_typeET2_T3_PNSW_IS11_E10value_typeET4_jRbjT5_S17_jjP12ihipStream_tbEUljE_EEESS_ST_SU_S11_S15_S17_T6_T7_T9_mT8_S19_bDpT10_ENKUlT_T0_E_clISt17integral_constantIbLb0EES1M_EEDaS1H_S1I_EUlS1H_E_NS1_11comp_targetILNS1_3genE5ELNS1_11target_archE942ELNS1_3gpuE9ELNS1_3repE0EEENS1_30default_config_static_selectorELNS0_4arch9wavefront6targetE0EEEvSV_,comdat
.Lfunc_end776:
	.size	_ZN7rocprim17ROCPRIM_400000_NS6detail17trampoline_kernelINS0_13select_configILj256ELj13ELNS0_17block_load_methodE3ELS4_3ELS4_3ELNS0_20block_scan_algorithmE0ELj4294967295EEENS1_25partition_config_selectorILNS1_17partition_subalgoE3EjNS0_10empty_typeEbEEZZNS1_14partition_implILS8_3ELb0ES6_jNS0_17counting_iteratorIjlEEPS9_SE_NS0_5tupleIJPjSE_EEENSF_IJSE_SE_EEES9_SG_JZNS1_25segmented_radix_sort_implINS0_14default_configELb0EPKlPlSM_SN_N2at6native12_GLOBAL__N_18offset_tEEE10hipError_tPvRmT1_PNSt15iterator_traitsISV_E10value_typeET2_T3_PNSW_IS11_E10value_typeET4_jRbjT5_S17_jjP12ihipStream_tbEUljE_EEESS_ST_SU_S11_S15_S17_T6_T7_T9_mT8_S19_bDpT10_ENKUlT_T0_E_clISt17integral_constantIbLb0EES1M_EEDaS1H_S1I_EUlS1H_E_NS1_11comp_targetILNS1_3genE5ELNS1_11target_archE942ELNS1_3gpuE9ELNS1_3repE0EEENS1_30default_config_static_selectorELNS0_4arch9wavefront6targetE0EEEvSV_, .Lfunc_end776-_ZN7rocprim17ROCPRIM_400000_NS6detail17trampoline_kernelINS0_13select_configILj256ELj13ELNS0_17block_load_methodE3ELS4_3ELS4_3ELNS0_20block_scan_algorithmE0ELj4294967295EEENS1_25partition_config_selectorILNS1_17partition_subalgoE3EjNS0_10empty_typeEbEEZZNS1_14partition_implILS8_3ELb0ES6_jNS0_17counting_iteratorIjlEEPS9_SE_NS0_5tupleIJPjSE_EEENSF_IJSE_SE_EEES9_SG_JZNS1_25segmented_radix_sort_implINS0_14default_configELb0EPKlPlSM_SN_N2at6native12_GLOBAL__N_18offset_tEEE10hipError_tPvRmT1_PNSt15iterator_traitsISV_E10value_typeET2_T3_PNSW_IS11_E10value_typeET4_jRbjT5_S17_jjP12ihipStream_tbEUljE_EEESS_ST_SU_S11_S15_S17_T6_T7_T9_mT8_S19_bDpT10_ENKUlT_T0_E_clISt17integral_constantIbLb0EES1M_EEDaS1H_S1I_EUlS1H_E_NS1_11comp_targetILNS1_3genE5ELNS1_11target_archE942ELNS1_3gpuE9ELNS1_3repE0EEENS1_30default_config_static_selectorELNS0_4arch9wavefront6targetE0EEEvSV_
                                        ; -- End function
	.section	.AMDGPU.csdata,"",@progbits
; Kernel info:
; codeLenInByte = 0
; NumSgprs: 0
; NumVgprs: 0
; ScratchSize: 0
; MemoryBound: 0
; FloatMode: 240
; IeeeMode: 1
; LDSByteSize: 0 bytes/workgroup (compile time only)
; SGPRBlocks: 0
; VGPRBlocks: 0
; NumSGPRsForWavesPerEU: 1
; NumVGPRsForWavesPerEU: 1
; Occupancy: 16
; WaveLimiterHint : 0
; COMPUTE_PGM_RSRC2:SCRATCH_EN: 0
; COMPUTE_PGM_RSRC2:USER_SGPR: 15
; COMPUTE_PGM_RSRC2:TRAP_HANDLER: 0
; COMPUTE_PGM_RSRC2:TGID_X_EN: 1
; COMPUTE_PGM_RSRC2:TGID_Y_EN: 0
; COMPUTE_PGM_RSRC2:TGID_Z_EN: 0
; COMPUTE_PGM_RSRC2:TIDIG_COMP_CNT: 0
	.section	.text._ZN7rocprim17ROCPRIM_400000_NS6detail17trampoline_kernelINS0_13select_configILj256ELj13ELNS0_17block_load_methodE3ELS4_3ELS4_3ELNS0_20block_scan_algorithmE0ELj4294967295EEENS1_25partition_config_selectorILNS1_17partition_subalgoE3EjNS0_10empty_typeEbEEZZNS1_14partition_implILS8_3ELb0ES6_jNS0_17counting_iteratorIjlEEPS9_SE_NS0_5tupleIJPjSE_EEENSF_IJSE_SE_EEES9_SG_JZNS1_25segmented_radix_sort_implINS0_14default_configELb0EPKlPlSM_SN_N2at6native12_GLOBAL__N_18offset_tEEE10hipError_tPvRmT1_PNSt15iterator_traitsISV_E10value_typeET2_T3_PNSW_IS11_E10value_typeET4_jRbjT5_S17_jjP12ihipStream_tbEUljE_EEESS_ST_SU_S11_S15_S17_T6_T7_T9_mT8_S19_bDpT10_ENKUlT_T0_E_clISt17integral_constantIbLb0EES1M_EEDaS1H_S1I_EUlS1H_E_NS1_11comp_targetILNS1_3genE4ELNS1_11target_archE910ELNS1_3gpuE8ELNS1_3repE0EEENS1_30default_config_static_selectorELNS0_4arch9wavefront6targetE0EEEvSV_,"axG",@progbits,_ZN7rocprim17ROCPRIM_400000_NS6detail17trampoline_kernelINS0_13select_configILj256ELj13ELNS0_17block_load_methodE3ELS4_3ELS4_3ELNS0_20block_scan_algorithmE0ELj4294967295EEENS1_25partition_config_selectorILNS1_17partition_subalgoE3EjNS0_10empty_typeEbEEZZNS1_14partition_implILS8_3ELb0ES6_jNS0_17counting_iteratorIjlEEPS9_SE_NS0_5tupleIJPjSE_EEENSF_IJSE_SE_EEES9_SG_JZNS1_25segmented_radix_sort_implINS0_14default_configELb0EPKlPlSM_SN_N2at6native12_GLOBAL__N_18offset_tEEE10hipError_tPvRmT1_PNSt15iterator_traitsISV_E10value_typeET2_T3_PNSW_IS11_E10value_typeET4_jRbjT5_S17_jjP12ihipStream_tbEUljE_EEESS_ST_SU_S11_S15_S17_T6_T7_T9_mT8_S19_bDpT10_ENKUlT_T0_E_clISt17integral_constantIbLb0EES1M_EEDaS1H_S1I_EUlS1H_E_NS1_11comp_targetILNS1_3genE4ELNS1_11target_archE910ELNS1_3gpuE8ELNS1_3repE0EEENS1_30default_config_static_selectorELNS0_4arch9wavefront6targetE0EEEvSV_,comdat
	.globl	_ZN7rocprim17ROCPRIM_400000_NS6detail17trampoline_kernelINS0_13select_configILj256ELj13ELNS0_17block_load_methodE3ELS4_3ELS4_3ELNS0_20block_scan_algorithmE0ELj4294967295EEENS1_25partition_config_selectorILNS1_17partition_subalgoE3EjNS0_10empty_typeEbEEZZNS1_14partition_implILS8_3ELb0ES6_jNS0_17counting_iteratorIjlEEPS9_SE_NS0_5tupleIJPjSE_EEENSF_IJSE_SE_EEES9_SG_JZNS1_25segmented_radix_sort_implINS0_14default_configELb0EPKlPlSM_SN_N2at6native12_GLOBAL__N_18offset_tEEE10hipError_tPvRmT1_PNSt15iterator_traitsISV_E10value_typeET2_T3_PNSW_IS11_E10value_typeET4_jRbjT5_S17_jjP12ihipStream_tbEUljE_EEESS_ST_SU_S11_S15_S17_T6_T7_T9_mT8_S19_bDpT10_ENKUlT_T0_E_clISt17integral_constantIbLb0EES1M_EEDaS1H_S1I_EUlS1H_E_NS1_11comp_targetILNS1_3genE4ELNS1_11target_archE910ELNS1_3gpuE8ELNS1_3repE0EEENS1_30default_config_static_selectorELNS0_4arch9wavefront6targetE0EEEvSV_ ; -- Begin function _ZN7rocprim17ROCPRIM_400000_NS6detail17trampoline_kernelINS0_13select_configILj256ELj13ELNS0_17block_load_methodE3ELS4_3ELS4_3ELNS0_20block_scan_algorithmE0ELj4294967295EEENS1_25partition_config_selectorILNS1_17partition_subalgoE3EjNS0_10empty_typeEbEEZZNS1_14partition_implILS8_3ELb0ES6_jNS0_17counting_iteratorIjlEEPS9_SE_NS0_5tupleIJPjSE_EEENSF_IJSE_SE_EEES9_SG_JZNS1_25segmented_radix_sort_implINS0_14default_configELb0EPKlPlSM_SN_N2at6native12_GLOBAL__N_18offset_tEEE10hipError_tPvRmT1_PNSt15iterator_traitsISV_E10value_typeET2_T3_PNSW_IS11_E10value_typeET4_jRbjT5_S17_jjP12ihipStream_tbEUljE_EEESS_ST_SU_S11_S15_S17_T6_T7_T9_mT8_S19_bDpT10_ENKUlT_T0_E_clISt17integral_constantIbLb0EES1M_EEDaS1H_S1I_EUlS1H_E_NS1_11comp_targetILNS1_3genE4ELNS1_11target_archE910ELNS1_3gpuE8ELNS1_3repE0EEENS1_30default_config_static_selectorELNS0_4arch9wavefront6targetE0EEEvSV_
	.p2align	8
	.type	_ZN7rocprim17ROCPRIM_400000_NS6detail17trampoline_kernelINS0_13select_configILj256ELj13ELNS0_17block_load_methodE3ELS4_3ELS4_3ELNS0_20block_scan_algorithmE0ELj4294967295EEENS1_25partition_config_selectorILNS1_17partition_subalgoE3EjNS0_10empty_typeEbEEZZNS1_14partition_implILS8_3ELb0ES6_jNS0_17counting_iteratorIjlEEPS9_SE_NS0_5tupleIJPjSE_EEENSF_IJSE_SE_EEES9_SG_JZNS1_25segmented_radix_sort_implINS0_14default_configELb0EPKlPlSM_SN_N2at6native12_GLOBAL__N_18offset_tEEE10hipError_tPvRmT1_PNSt15iterator_traitsISV_E10value_typeET2_T3_PNSW_IS11_E10value_typeET4_jRbjT5_S17_jjP12ihipStream_tbEUljE_EEESS_ST_SU_S11_S15_S17_T6_T7_T9_mT8_S19_bDpT10_ENKUlT_T0_E_clISt17integral_constantIbLb0EES1M_EEDaS1H_S1I_EUlS1H_E_NS1_11comp_targetILNS1_3genE4ELNS1_11target_archE910ELNS1_3gpuE8ELNS1_3repE0EEENS1_30default_config_static_selectorELNS0_4arch9wavefront6targetE0EEEvSV_,@function
_ZN7rocprim17ROCPRIM_400000_NS6detail17trampoline_kernelINS0_13select_configILj256ELj13ELNS0_17block_load_methodE3ELS4_3ELS4_3ELNS0_20block_scan_algorithmE0ELj4294967295EEENS1_25partition_config_selectorILNS1_17partition_subalgoE3EjNS0_10empty_typeEbEEZZNS1_14partition_implILS8_3ELb0ES6_jNS0_17counting_iteratorIjlEEPS9_SE_NS0_5tupleIJPjSE_EEENSF_IJSE_SE_EEES9_SG_JZNS1_25segmented_radix_sort_implINS0_14default_configELb0EPKlPlSM_SN_N2at6native12_GLOBAL__N_18offset_tEEE10hipError_tPvRmT1_PNSt15iterator_traitsISV_E10value_typeET2_T3_PNSW_IS11_E10value_typeET4_jRbjT5_S17_jjP12ihipStream_tbEUljE_EEESS_ST_SU_S11_S15_S17_T6_T7_T9_mT8_S19_bDpT10_ENKUlT_T0_E_clISt17integral_constantIbLb0EES1M_EEDaS1H_S1I_EUlS1H_E_NS1_11comp_targetILNS1_3genE4ELNS1_11target_archE910ELNS1_3gpuE8ELNS1_3repE0EEENS1_30default_config_static_selectorELNS0_4arch9wavefront6targetE0EEEvSV_: ; @_ZN7rocprim17ROCPRIM_400000_NS6detail17trampoline_kernelINS0_13select_configILj256ELj13ELNS0_17block_load_methodE3ELS4_3ELS4_3ELNS0_20block_scan_algorithmE0ELj4294967295EEENS1_25partition_config_selectorILNS1_17partition_subalgoE3EjNS0_10empty_typeEbEEZZNS1_14partition_implILS8_3ELb0ES6_jNS0_17counting_iteratorIjlEEPS9_SE_NS0_5tupleIJPjSE_EEENSF_IJSE_SE_EEES9_SG_JZNS1_25segmented_radix_sort_implINS0_14default_configELb0EPKlPlSM_SN_N2at6native12_GLOBAL__N_18offset_tEEE10hipError_tPvRmT1_PNSt15iterator_traitsISV_E10value_typeET2_T3_PNSW_IS11_E10value_typeET4_jRbjT5_S17_jjP12ihipStream_tbEUljE_EEESS_ST_SU_S11_S15_S17_T6_T7_T9_mT8_S19_bDpT10_ENKUlT_T0_E_clISt17integral_constantIbLb0EES1M_EEDaS1H_S1I_EUlS1H_E_NS1_11comp_targetILNS1_3genE4ELNS1_11target_archE910ELNS1_3gpuE8ELNS1_3repE0EEENS1_30default_config_static_selectorELNS0_4arch9wavefront6targetE0EEEvSV_
; %bb.0:
	.section	.rodata,"a",@progbits
	.p2align	6, 0x0
	.amdhsa_kernel _ZN7rocprim17ROCPRIM_400000_NS6detail17trampoline_kernelINS0_13select_configILj256ELj13ELNS0_17block_load_methodE3ELS4_3ELS4_3ELNS0_20block_scan_algorithmE0ELj4294967295EEENS1_25partition_config_selectorILNS1_17partition_subalgoE3EjNS0_10empty_typeEbEEZZNS1_14partition_implILS8_3ELb0ES6_jNS0_17counting_iteratorIjlEEPS9_SE_NS0_5tupleIJPjSE_EEENSF_IJSE_SE_EEES9_SG_JZNS1_25segmented_radix_sort_implINS0_14default_configELb0EPKlPlSM_SN_N2at6native12_GLOBAL__N_18offset_tEEE10hipError_tPvRmT1_PNSt15iterator_traitsISV_E10value_typeET2_T3_PNSW_IS11_E10value_typeET4_jRbjT5_S17_jjP12ihipStream_tbEUljE_EEESS_ST_SU_S11_S15_S17_T6_T7_T9_mT8_S19_bDpT10_ENKUlT_T0_E_clISt17integral_constantIbLb0EES1M_EEDaS1H_S1I_EUlS1H_E_NS1_11comp_targetILNS1_3genE4ELNS1_11target_archE910ELNS1_3gpuE8ELNS1_3repE0EEENS1_30default_config_static_selectorELNS0_4arch9wavefront6targetE0EEEvSV_
		.amdhsa_group_segment_fixed_size 0
		.amdhsa_private_segment_fixed_size 0
		.amdhsa_kernarg_size 144
		.amdhsa_user_sgpr_count 15
		.amdhsa_user_sgpr_dispatch_ptr 0
		.amdhsa_user_sgpr_queue_ptr 0
		.amdhsa_user_sgpr_kernarg_segment_ptr 1
		.amdhsa_user_sgpr_dispatch_id 0
		.amdhsa_user_sgpr_private_segment_size 0
		.amdhsa_wavefront_size32 1
		.amdhsa_uses_dynamic_stack 0
		.amdhsa_enable_private_segment 0
		.amdhsa_system_sgpr_workgroup_id_x 1
		.amdhsa_system_sgpr_workgroup_id_y 0
		.amdhsa_system_sgpr_workgroup_id_z 0
		.amdhsa_system_sgpr_workgroup_info 0
		.amdhsa_system_vgpr_workitem_id 0
		.amdhsa_next_free_vgpr 1
		.amdhsa_next_free_sgpr 1
		.amdhsa_reserve_vcc 0
		.amdhsa_float_round_mode_32 0
		.amdhsa_float_round_mode_16_64 0
		.amdhsa_float_denorm_mode_32 3
		.amdhsa_float_denorm_mode_16_64 3
		.amdhsa_dx10_clamp 1
		.amdhsa_ieee_mode 1
		.amdhsa_fp16_overflow 0
		.amdhsa_workgroup_processor_mode 1
		.amdhsa_memory_ordered 1
		.amdhsa_forward_progress 0
		.amdhsa_shared_vgpr_count 0
		.amdhsa_exception_fp_ieee_invalid_op 0
		.amdhsa_exception_fp_denorm_src 0
		.amdhsa_exception_fp_ieee_div_zero 0
		.amdhsa_exception_fp_ieee_overflow 0
		.amdhsa_exception_fp_ieee_underflow 0
		.amdhsa_exception_fp_ieee_inexact 0
		.amdhsa_exception_int_div_zero 0
	.end_amdhsa_kernel
	.section	.text._ZN7rocprim17ROCPRIM_400000_NS6detail17trampoline_kernelINS0_13select_configILj256ELj13ELNS0_17block_load_methodE3ELS4_3ELS4_3ELNS0_20block_scan_algorithmE0ELj4294967295EEENS1_25partition_config_selectorILNS1_17partition_subalgoE3EjNS0_10empty_typeEbEEZZNS1_14partition_implILS8_3ELb0ES6_jNS0_17counting_iteratorIjlEEPS9_SE_NS0_5tupleIJPjSE_EEENSF_IJSE_SE_EEES9_SG_JZNS1_25segmented_radix_sort_implINS0_14default_configELb0EPKlPlSM_SN_N2at6native12_GLOBAL__N_18offset_tEEE10hipError_tPvRmT1_PNSt15iterator_traitsISV_E10value_typeET2_T3_PNSW_IS11_E10value_typeET4_jRbjT5_S17_jjP12ihipStream_tbEUljE_EEESS_ST_SU_S11_S15_S17_T6_T7_T9_mT8_S19_bDpT10_ENKUlT_T0_E_clISt17integral_constantIbLb0EES1M_EEDaS1H_S1I_EUlS1H_E_NS1_11comp_targetILNS1_3genE4ELNS1_11target_archE910ELNS1_3gpuE8ELNS1_3repE0EEENS1_30default_config_static_selectorELNS0_4arch9wavefront6targetE0EEEvSV_,"axG",@progbits,_ZN7rocprim17ROCPRIM_400000_NS6detail17trampoline_kernelINS0_13select_configILj256ELj13ELNS0_17block_load_methodE3ELS4_3ELS4_3ELNS0_20block_scan_algorithmE0ELj4294967295EEENS1_25partition_config_selectorILNS1_17partition_subalgoE3EjNS0_10empty_typeEbEEZZNS1_14partition_implILS8_3ELb0ES6_jNS0_17counting_iteratorIjlEEPS9_SE_NS0_5tupleIJPjSE_EEENSF_IJSE_SE_EEES9_SG_JZNS1_25segmented_radix_sort_implINS0_14default_configELb0EPKlPlSM_SN_N2at6native12_GLOBAL__N_18offset_tEEE10hipError_tPvRmT1_PNSt15iterator_traitsISV_E10value_typeET2_T3_PNSW_IS11_E10value_typeET4_jRbjT5_S17_jjP12ihipStream_tbEUljE_EEESS_ST_SU_S11_S15_S17_T6_T7_T9_mT8_S19_bDpT10_ENKUlT_T0_E_clISt17integral_constantIbLb0EES1M_EEDaS1H_S1I_EUlS1H_E_NS1_11comp_targetILNS1_3genE4ELNS1_11target_archE910ELNS1_3gpuE8ELNS1_3repE0EEENS1_30default_config_static_selectorELNS0_4arch9wavefront6targetE0EEEvSV_,comdat
.Lfunc_end777:
	.size	_ZN7rocprim17ROCPRIM_400000_NS6detail17trampoline_kernelINS0_13select_configILj256ELj13ELNS0_17block_load_methodE3ELS4_3ELS4_3ELNS0_20block_scan_algorithmE0ELj4294967295EEENS1_25partition_config_selectorILNS1_17partition_subalgoE3EjNS0_10empty_typeEbEEZZNS1_14partition_implILS8_3ELb0ES6_jNS0_17counting_iteratorIjlEEPS9_SE_NS0_5tupleIJPjSE_EEENSF_IJSE_SE_EEES9_SG_JZNS1_25segmented_radix_sort_implINS0_14default_configELb0EPKlPlSM_SN_N2at6native12_GLOBAL__N_18offset_tEEE10hipError_tPvRmT1_PNSt15iterator_traitsISV_E10value_typeET2_T3_PNSW_IS11_E10value_typeET4_jRbjT5_S17_jjP12ihipStream_tbEUljE_EEESS_ST_SU_S11_S15_S17_T6_T7_T9_mT8_S19_bDpT10_ENKUlT_T0_E_clISt17integral_constantIbLb0EES1M_EEDaS1H_S1I_EUlS1H_E_NS1_11comp_targetILNS1_3genE4ELNS1_11target_archE910ELNS1_3gpuE8ELNS1_3repE0EEENS1_30default_config_static_selectorELNS0_4arch9wavefront6targetE0EEEvSV_, .Lfunc_end777-_ZN7rocprim17ROCPRIM_400000_NS6detail17trampoline_kernelINS0_13select_configILj256ELj13ELNS0_17block_load_methodE3ELS4_3ELS4_3ELNS0_20block_scan_algorithmE0ELj4294967295EEENS1_25partition_config_selectorILNS1_17partition_subalgoE3EjNS0_10empty_typeEbEEZZNS1_14partition_implILS8_3ELb0ES6_jNS0_17counting_iteratorIjlEEPS9_SE_NS0_5tupleIJPjSE_EEENSF_IJSE_SE_EEES9_SG_JZNS1_25segmented_radix_sort_implINS0_14default_configELb0EPKlPlSM_SN_N2at6native12_GLOBAL__N_18offset_tEEE10hipError_tPvRmT1_PNSt15iterator_traitsISV_E10value_typeET2_T3_PNSW_IS11_E10value_typeET4_jRbjT5_S17_jjP12ihipStream_tbEUljE_EEESS_ST_SU_S11_S15_S17_T6_T7_T9_mT8_S19_bDpT10_ENKUlT_T0_E_clISt17integral_constantIbLb0EES1M_EEDaS1H_S1I_EUlS1H_E_NS1_11comp_targetILNS1_3genE4ELNS1_11target_archE910ELNS1_3gpuE8ELNS1_3repE0EEENS1_30default_config_static_selectorELNS0_4arch9wavefront6targetE0EEEvSV_
                                        ; -- End function
	.section	.AMDGPU.csdata,"",@progbits
; Kernel info:
; codeLenInByte = 0
; NumSgprs: 0
; NumVgprs: 0
; ScratchSize: 0
; MemoryBound: 0
; FloatMode: 240
; IeeeMode: 1
; LDSByteSize: 0 bytes/workgroup (compile time only)
; SGPRBlocks: 0
; VGPRBlocks: 0
; NumSGPRsForWavesPerEU: 1
; NumVGPRsForWavesPerEU: 1
; Occupancy: 16
; WaveLimiterHint : 0
; COMPUTE_PGM_RSRC2:SCRATCH_EN: 0
; COMPUTE_PGM_RSRC2:USER_SGPR: 15
; COMPUTE_PGM_RSRC2:TRAP_HANDLER: 0
; COMPUTE_PGM_RSRC2:TGID_X_EN: 1
; COMPUTE_PGM_RSRC2:TGID_Y_EN: 0
; COMPUTE_PGM_RSRC2:TGID_Z_EN: 0
; COMPUTE_PGM_RSRC2:TIDIG_COMP_CNT: 0
	.section	.text._ZN7rocprim17ROCPRIM_400000_NS6detail17trampoline_kernelINS0_13select_configILj256ELj13ELNS0_17block_load_methodE3ELS4_3ELS4_3ELNS0_20block_scan_algorithmE0ELj4294967295EEENS1_25partition_config_selectorILNS1_17partition_subalgoE3EjNS0_10empty_typeEbEEZZNS1_14partition_implILS8_3ELb0ES6_jNS0_17counting_iteratorIjlEEPS9_SE_NS0_5tupleIJPjSE_EEENSF_IJSE_SE_EEES9_SG_JZNS1_25segmented_radix_sort_implINS0_14default_configELb0EPKlPlSM_SN_N2at6native12_GLOBAL__N_18offset_tEEE10hipError_tPvRmT1_PNSt15iterator_traitsISV_E10value_typeET2_T3_PNSW_IS11_E10value_typeET4_jRbjT5_S17_jjP12ihipStream_tbEUljE_EEESS_ST_SU_S11_S15_S17_T6_T7_T9_mT8_S19_bDpT10_ENKUlT_T0_E_clISt17integral_constantIbLb0EES1M_EEDaS1H_S1I_EUlS1H_E_NS1_11comp_targetILNS1_3genE3ELNS1_11target_archE908ELNS1_3gpuE7ELNS1_3repE0EEENS1_30default_config_static_selectorELNS0_4arch9wavefront6targetE0EEEvSV_,"axG",@progbits,_ZN7rocprim17ROCPRIM_400000_NS6detail17trampoline_kernelINS0_13select_configILj256ELj13ELNS0_17block_load_methodE3ELS4_3ELS4_3ELNS0_20block_scan_algorithmE0ELj4294967295EEENS1_25partition_config_selectorILNS1_17partition_subalgoE3EjNS0_10empty_typeEbEEZZNS1_14partition_implILS8_3ELb0ES6_jNS0_17counting_iteratorIjlEEPS9_SE_NS0_5tupleIJPjSE_EEENSF_IJSE_SE_EEES9_SG_JZNS1_25segmented_radix_sort_implINS0_14default_configELb0EPKlPlSM_SN_N2at6native12_GLOBAL__N_18offset_tEEE10hipError_tPvRmT1_PNSt15iterator_traitsISV_E10value_typeET2_T3_PNSW_IS11_E10value_typeET4_jRbjT5_S17_jjP12ihipStream_tbEUljE_EEESS_ST_SU_S11_S15_S17_T6_T7_T9_mT8_S19_bDpT10_ENKUlT_T0_E_clISt17integral_constantIbLb0EES1M_EEDaS1H_S1I_EUlS1H_E_NS1_11comp_targetILNS1_3genE3ELNS1_11target_archE908ELNS1_3gpuE7ELNS1_3repE0EEENS1_30default_config_static_selectorELNS0_4arch9wavefront6targetE0EEEvSV_,comdat
	.globl	_ZN7rocprim17ROCPRIM_400000_NS6detail17trampoline_kernelINS0_13select_configILj256ELj13ELNS0_17block_load_methodE3ELS4_3ELS4_3ELNS0_20block_scan_algorithmE0ELj4294967295EEENS1_25partition_config_selectorILNS1_17partition_subalgoE3EjNS0_10empty_typeEbEEZZNS1_14partition_implILS8_3ELb0ES6_jNS0_17counting_iteratorIjlEEPS9_SE_NS0_5tupleIJPjSE_EEENSF_IJSE_SE_EEES9_SG_JZNS1_25segmented_radix_sort_implINS0_14default_configELb0EPKlPlSM_SN_N2at6native12_GLOBAL__N_18offset_tEEE10hipError_tPvRmT1_PNSt15iterator_traitsISV_E10value_typeET2_T3_PNSW_IS11_E10value_typeET4_jRbjT5_S17_jjP12ihipStream_tbEUljE_EEESS_ST_SU_S11_S15_S17_T6_T7_T9_mT8_S19_bDpT10_ENKUlT_T0_E_clISt17integral_constantIbLb0EES1M_EEDaS1H_S1I_EUlS1H_E_NS1_11comp_targetILNS1_3genE3ELNS1_11target_archE908ELNS1_3gpuE7ELNS1_3repE0EEENS1_30default_config_static_selectorELNS0_4arch9wavefront6targetE0EEEvSV_ ; -- Begin function _ZN7rocprim17ROCPRIM_400000_NS6detail17trampoline_kernelINS0_13select_configILj256ELj13ELNS0_17block_load_methodE3ELS4_3ELS4_3ELNS0_20block_scan_algorithmE0ELj4294967295EEENS1_25partition_config_selectorILNS1_17partition_subalgoE3EjNS0_10empty_typeEbEEZZNS1_14partition_implILS8_3ELb0ES6_jNS0_17counting_iteratorIjlEEPS9_SE_NS0_5tupleIJPjSE_EEENSF_IJSE_SE_EEES9_SG_JZNS1_25segmented_radix_sort_implINS0_14default_configELb0EPKlPlSM_SN_N2at6native12_GLOBAL__N_18offset_tEEE10hipError_tPvRmT1_PNSt15iterator_traitsISV_E10value_typeET2_T3_PNSW_IS11_E10value_typeET4_jRbjT5_S17_jjP12ihipStream_tbEUljE_EEESS_ST_SU_S11_S15_S17_T6_T7_T9_mT8_S19_bDpT10_ENKUlT_T0_E_clISt17integral_constantIbLb0EES1M_EEDaS1H_S1I_EUlS1H_E_NS1_11comp_targetILNS1_3genE3ELNS1_11target_archE908ELNS1_3gpuE7ELNS1_3repE0EEENS1_30default_config_static_selectorELNS0_4arch9wavefront6targetE0EEEvSV_
	.p2align	8
	.type	_ZN7rocprim17ROCPRIM_400000_NS6detail17trampoline_kernelINS0_13select_configILj256ELj13ELNS0_17block_load_methodE3ELS4_3ELS4_3ELNS0_20block_scan_algorithmE0ELj4294967295EEENS1_25partition_config_selectorILNS1_17partition_subalgoE3EjNS0_10empty_typeEbEEZZNS1_14partition_implILS8_3ELb0ES6_jNS0_17counting_iteratorIjlEEPS9_SE_NS0_5tupleIJPjSE_EEENSF_IJSE_SE_EEES9_SG_JZNS1_25segmented_radix_sort_implINS0_14default_configELb0EPKlPlSM_SN_N2at6native12_GLOBAL__N_18offset_tEEE10hipError_tPvRmT1_PNSt15iterator_traitsISV_E10value_typeET2_T3_PNSW_IS11_E10value_typeET4_jRbjT5_S17_jjP12ihipStream_tbEUljE_EEESS_ST_SU_S11_S15_S17_T6_T7_T9_mT8_S19_bDpT10_ENKUlT_T0_E_clISt17integral_constantIbLb0EES1M_EEDaS1H_S1I_EUlS1H_E_NS1_11comp_targetILNS1_3genE3ELNS1_11target_archE908ELNS1_3gpuE7ELNS1_3repE0EEENS1_30default_config_static_selectorELNS0_4arch9wavefront6targetE0EEEvSV_,@function
_ZN7rocprim17ROCPRIM_400000_NS6detail17trampoline_kernelINS0_13select_configILj256ELj13ELNS0_17block_load_methodE3ELS4_3ELS4_3ELNS0_20block_scan_algorithmE0ELj4294967295EEENS1_25partition_config_selectorILNS1_17partition_subalgoE3EjNS0_10empty_typeEbEEZZNS1_14partition_implILS8_3ELb0ES6_jNS0_17counting_iteratorIjlEEPS9_SE_NS0_5tupleIJPjSE_EEENSF_IJSE_SE_EEES9_SG_JZNS1_25segmented_radix_sort_implINS0_14default_configELb0EPKlPlSM_SN_N2at6native12_GLOBAL__N_18offset_tEEE10hipError_tPvRmT1_PNSt15iterator_traitsISV_E10value_typeET2_T3_PNSW_IS11_E10value_typeET4_jRbjT5_S17_jjP12ihipStream_tbEUljE_EEESS_ST_SU_S11_S15_S17_T6_T7_T9_mT8_S19_bDpT10_ENKUlT_T0_E_clISt17integral_constantIbLb0EES1M_EEDaS1H_S1I_EUlS1H_E_NS1_11comp_targetILNS1_3genE3ELNS1_11target_archE908ELNS1_3gpuE7ELNS1_3repE0EEENS1_30default_config_static_selectorELNS0_4arch9wavefront6targetE0EEEvSV_: ; @_ZN7rocprim17ROCPRIM_400000_NS6detail17trampoline_kernelINS0_13select_configILj256ELj13ELNS0_17block_load_methodE3ELS4_3ELS4_3ELNS0_20block_scan_algorithmE0ELj4294967295EEENS1_25partition_config_selectorILNS1_17partition_subalgoE3EjNS0_10empty_typeEbEEZZNS1_14partition_implILS8_3ELb0ES6_jNS0_17counting_iteratorIjlEEPS9_SE_NS0_5tupleIJPjSE_EEENSF_IJSE_SE_EEES9_SG_JZNS1_25segmented_radix_sort_implINS0_14default_configELb0EPKlPlSM_SN_N2at6native12_GLOBAL__N_18offset_tEEE10hipError_tPvRmT1_PNSt15iterator_traitsISV_E10value_typeET2_T3_PNSW_IS11_E10value_typeET4_jRbjT5_S17_jjP12ihipStream_tbEUljE_EEESS_ST_SU_S11_S15_S17_T6_T7_T9_mT8_S19_bDpT10_ENKUlT_T0_E_clISt17integral_constantIbLb0EES1M_EEDaS1H_S1I_EUlS1H_E_NS1_11comp_targetILNS1_3genE3ELNS1_11target_archE908ELNS1_3gpuE7ELNS1_3repE0EEENS1_30default_config_static_selectorELNS0_4arch9wavefront6targetE0EEEvSV_
; %bb.0:
	.section	.rodata,"a",@progbits
	.p2align	6, 0x0
	.amdhsa_kernel _ZN7rocprim17ROCPRIM_400000_NS6detail17trampoline_kernelINS0_13select_configILj256ELj13ELNS0_17block_load_methodE3ELS4_3ELS4_3ELNS0_20block_scan_algorithmE0ELj4294967295EEENS1_25partition_config_selectorILNS1_17partition_subalgoE3EjNS0_10empty_typeEbEEZZNS1_14partition_implILS8_3ELb0ES6_jNS0_17counting_iteratorIjlEEPS9_SE_NS0_5tupleIJPjSE_EEENSF_IJSE_SE_EEES9_SG_JZNS1_25segmented_radix_sort_implINS0_14default_configELb0EPKlPlSM_SN_N2at6native12_GLOBAL__N_18offset_tEEE10hipError_tPvRmT1_PNSt15iterator_traitsISV_E10value_typeET2_T3_PNSW_IS11_E10value_typeET4_jRbjT5_S17_jjP12ihipStream_tbEUljE_EEESS_ST_SU_S11_S15_S17_T6_T7_T9_mT8_S19_bDpT10_ENKUlT_T0_E_clISt17integral_constantIbLb0EES1M_EEDaS1H_S1I_EUlS1H_E_NS1_11comp_targetILNS1_3genE3ELNS1_11target_archE908ELNS1_3gpuE7ELNS1_3repE0EEENS1_30default_config_static_selectorELNS0_4arch9wavefront6targetE0EEEvSV_
		.amdhsa_group_segment_fixed_size 0
		.amdhsa_private_segment_fixed_size 0
		.amdhsa_kernarg_size 144
		.amdhsa_user_sgpr_count 15
		.amdhsa_user_sgpr_dispatch_ptr 0
		.amdhsa_user_sgpr_queue_ptr 0
		.amdhsa_user_sgpr_kernarg_segment_ptr 1
		.amdhsa_user_sgpr_dispatch_id 0
		.amdhsa_user_sgpr_private_segment_size 0
		.amdhsa_wavefront_size32 1
		.amdhsa_uses_dynamic_stack 0
		.amdhsa_enable_private_segment 0
		.amdhsa_system_sgpr_workgroup_id_x 1
		.amdhsa_system_sgpr_workgroup_id_y 0
		.amdhsa_system_sgpr_workgroup_id_z 0
		.amdhsa_system_sgpr_workgroup_info 0
		.amdhsa_system_vgpr_workitem_id 0
		.amdhsa_next_free_vgpr 1
		.amdhsa_next_free_sgpr 1
		.amdhsa_reserve_vcc 0
		.amdhsa_float_round_mode_32 0
		.amdhsa_float_round_mode_16_64 0
		.amdhsa_float_denorm_mode_32 3
		.amdhsa_float_denorm_mode_16_64 3
		.amdhsa_dx10_clamp 1
		.amdhsa_ieee_mode 1
		.amdhsa_fp16_overflow 0
		.amdhsa_workgroup_processor_mode 1
		.amdhsa_memory_ordered 1
		.amdhsa_forward_progress 0
		.amdhsa_shared_vgpr_count 0
		.amdhsa_exception_fp_ieee_invalid_op 0
		.amdhsa_exception_fp_denorm_src 0
		.amdhsa_exception_fp_ieee_div_zero 0
		.amdhsa_exception_fp_ieee_overflow 0
		.amdhsa_exception_fp_ieee_underflow 0
		.amdhsa_exception_fp_ieee_inexact 0
		.amdhsa_exception_int_div_zero 0
	.end_amdhsa_kernel
	.section	.text._ZN7rocprim17ROCPRIM_400000_NS6detail17trampoline_kernelINS0_13select_configILj256ELj13ELNS0_17block_load_methodE3ELS4_3ELS4_3ELNS0_20block_scan_algorithmE0ELj4294967295EEENS1_25partition_config_selectorILNS1_17partition_subalgoE3EjNS0_10empty_typeEbEEZZNS1_14partition_implILS8_3ELb0ES6_jNS0_17counting_iteratorIjlEEPS9_SE_NS0_5tupleIJPjSE_EEENSF_IJSE_SE_EEES9_SG_JZNS1_25segmented_radix_sort_implINS0_14default_configELb0EPKlPlSM_SN_N2at6native12_GLOBAL__N_18offset_tEEE10hipError_tPvRmT1_PNSt15iterator_traitsISV_E10value_typeET2_T3_PNSW_IS11_E10value_typeET4_jRbjT5_S17_jjP12ihipStream_tbEUljE_EEESS_ST_SU_S11_S15_S17_T6_T7_T9_mT8_S19_bDpT10_ENKUlT_T0_E_clISt17integral_constantIbLb0EES1M_EEDaS1H_S1I_EUlS1H_E_NS1_11comp_targetILNS1_3genE3ELNS1_11target_archE908ELNS1_3gpuE7ELNS1_3repE0EEENS1_30default_config_static_selectorELNS0_4arch9wavefront6targetE0EEEvSV_,"axG",@progbits,_ZN7rocprim17ROCPRIM_400000_NS6detail17trampoline_kernelINS0_13select_configILj256ELj13ELNS0_17block_load_methodE3ELS4_3ELS4_3ELNS0_20block_scan_algorithmE0ELj4294967295EEENS1_25partition_config_selectorILNS1_17partition_subalgoE3EjNS0_10empty_typeEbEEZZNS1_14partition_implILS8_3ELb0ES6_jNS0_17counting_iteratorIjlEEPS9_SE_NS0_5tupleIJPjSE_EEENSF_IJSE_SE_EEES9_SG_JZNS1_25segmented_radix_sort_implINS0_14default_configELb0EPKlPlSM_SN_N2at6native12_GLOBAL__N_18offset_tEEE10hipError_tPvRmT1_PNSt15iterator_traitsISV_E10value_typeET2_T3_PNSW_IS11_E10value_typeET4_jRbjT5_S17_jjP12ihipStream_tbEUljE_EEESS_ST_SU_S11_S15_S17_T6_T7_T9_mT8_S19_bDpT10_ENKUlT_T0_E_clISt17integral_constantIbLb0EES1M_EEDaS1H_S1I_EUlS1H_E_NS1_11comp_targetILNS1_3genE3ELNS1_11target_archE908ELNS1_3gpuE7ELNS1_3repE0EEENS1_30default_config_static_selectorELNS0_4arch9wavefront6targetE0EEEvSV_,comdat
.Lfunc_end778:
	.size	_ZN7rocprim17ROCPRIM_400000_NS6detail17trampoline_kernelINS0_13select_configILj256ELj13ELNS0_17block_load_methodE3ELS4_3ELS4_3ELNS0_20block_scan_algorithmE0ELj4294967295EEENS1_25partition_config_selectorILNS1_17partition_subalgoE3EjNS0_10empty_typeEbEEZZNS1_14partition_implILS8_3ELb0ES6_jNS0_17counting_iteratorIjlEEPS9_SE_NS0_5tupleIJPjSE_EEENSF_IJSE_SE_EEES9_SG_JZNS1_25segmented_radix_sort_implINS0_14default_configELb0EPKlPlSM_SN_N2at6native12_GLOBAL__N_18offset_tEEE10hipError_tPvRmT1_PNSt15iterator_traitsISV_E10value_typeET2_T3_PNSW_IS11_E10value_typeET4_jRbjT5_S17_jjP12ihipStream_tbEUljE_EEESS_ST_SU_S11_S15_S17_T6_T7_T9_mT8_S19_bDpT10_ENKUlT_T0_E_clISt17integral_constantIbLb0EES1M_EEDaS1H_S1I_EUlS1H_E_NS1_11comp_targetILNS1_3genE3ELNS1_11target_archE908ELNS1_3gpuE7ELNS1_3repE0EEENS1_30default_config_static_selectorELNS0_4arch9wavefront6targetE0EEEvSV_, .Lfunc_end778-_ZN7rocprim17ROCPRIM_400000_NS6detail17trampoline_kernelINS0_13select_configILj256ELj13ELNS0_17block_load_methodE3ELS4_3ELS4_3ELNS0_20block_scan_algorithmE0ELj4294967295EEENS1_25partition_config_selectorILNS1_17partition_subalgoE3EjNS0_10empty_typeEbEEZZNS1_14partition_implILS8_3ELb0ES6_jNS0_17counting_iteratorIjlEEPS9_SE_NS0_5tupleIJPjSE_EEENSF_IJSE_SE_EEES9_SG_JZNS1_25segmented_radix_sort_implINS0_14default_configELb0EPKlPlSM_SN_N2at6native12_GLOBAL__N_18offset_tEEE10hipError_tPvRmT1_PNSt15iterator_traitsISV_E10value_typeET2_T3_PNSW_IS11_E10value_typeET4_jRbjT5_S17_jjP12ihipStream_tbEUljE_EEESS_ST_SU_S11_S15_S17_T6_T7_T9_mT8_S19_bDpT10_ENKUlT_T0_E_clISt17integral_constantIbLb0EES1M_EEDaS1H_S1I_EUlS1H_E_NS1_11comp_targetILNS1_3genE3ELNS1_11target_archE908ELNS1_3gpuE7ELNS1_3repE0EEENS1_30default_config_static_selectorELNS0_4arch9wavefront6targetE0EEEvSV_
                                        ; -- End function
	.section	.AMDGPU.csdata,"",@progbits
; Kernel info:
; codeLenInByte = 0
; NumSgprs: 0
; NumVgprs: 0
; ScratchSize: 0
; MemoryBound: 0
; FloatMode: 240
; IeeeMode: 1
; LDSByteSize: 0 bytes/workgroup (compile time only)
; SGPRBlocks: 0
; VGPRBlocks: 0
; NumSGPRsForWavesPerEU: 1
; NumVGPRsForWavesPerEU: 1
; Occupancy: 16
; WaveLimiterHint : 0
; COMPUTE_PGM_RSRC2:SCRATCH_EN: 0
; COMPUTE_PGM_RSRC2:USER_SGPR: 15
; COMPUTE_PGM_RSRC2:TRAP_HANDLER: 0
; COMPUTE_PGM_RSRC2:TGID_X_EN: 1
; COMPUTE_PGM_RSRC2:TGID_Y_EN: 0
; COMPUTE_PGM_RSRC2:TGID_Z_EN: 0
; COMPUTE_PGM_RSRC2:TIDIG_COMP_CNT: 0
	.section	.text._ZN7rocprim17ROCPRIM_400000_NS6detail17trampoline_kernelINS0_13select_configILj256ELj13ELNS0_17block_load_methodE3ELS4_3ELS4_3ELNS0_20block_scan_algorithmE0ELj4294967295EEENS1_25partition_config_selectorILNS1_17partition_subalgoE3EjNS0_10empty_typeEbEEZZNS1_14partition_implILS8_3ELb0ES6_jNS0_17counting_iteratorIjlEEPS9_SE_NS0_5tupleIJPjSE_EEENSF_IJSE_SE_EEES9_SG_JZNS1_25segmented_radix_sort_implINS0_14default_configELb0EPKlPlSM_SN_N2at6native12_GLOBAL__N_18offset_tEEE10hipError_tPvRmT1_PNSt15iterator_traitsISV_E10value_typeET2_T3_PNSW_IS11_E10value_typeET4_jRbjT5_S17_jjP12ihipStream_tbEUljE_EEESS_ST_SU_S11_S15_S17_T6_T7_T9_mT8_S19_bDpT10_ENKUlT_T0_E_clISt17integral_constantIbLb0EES1M_EEDaS1H_S1I_EUlS1H_E_NS1_11comp_targetILNS1_3genE2ELNS1_11target_archE906ELNS1_3gpuE6ELNS1_3repE0EEENS1_30default_config_static_selectorELNS0_4arch9wavefront6targetE0EEEvSV_,"axG",@progbits,_ZN7rocprim17ROCPRIM_400000_NS6detail17trampoline_kernelINS0_13select_configILj256ELj13ELNS0_17block_load_methodE3ELS4_3ELS4_3ELNS0_20block_scan_algorithmE0ELj4294967295EEENS1_25partition_config_selectorILNS1_17partition_subalgoE3EjNS0_10empty_typeEbEEZZNS1_14partition_implILS8_3ELb0ES6_jNS0_17counting_iteratorIjlEEPS9_SE_NS0_5tupleIJPjSE_EEENSF_IJSE_SE_EEES9_SG_JZNS1_25segmented_radix_sort_implINS0_14default_configELb0EPKlPlSM_SN_N2at6native12_GLOBAL__N_18offset_tEEE10hipError_tPvRmT1_PNSt15iterator_traitsISV_E10value_typeET2_T3_PNSW_IS11_E10value_typeET4_jRbjT5_S17_jjP12ihipStream_tbEUljE_EEESS_ST_SU_S11_S15_S17_T6_T7_T9_mT8_S19_bDpT10_ENKUlT_T0_E_clISt17integral_constantIbLb0EES1M_EEDaS1H_S1I_EUlS1H_E_NS1_11comp_targetILNS1_3genE2ELNS1_11target_archE906ELNS1_3gpuE6ELNS1_3repE0EEENS1_30default_config_static_selectorELNS0_4arch9wavefront6targetE0EEEvSV_,comdat
	.globl	_ZN7rocprim17ROCPRIM_400000_NS6detail17trampoline_kernelINS0_13select_configILj256ELj13ELNS0_17block_load_methodE3ELS4_3ELS4_3ELNS0_20block_scan_algorithmE0ELj4294967295EEENS1_25partition_config_selectorILNS1_17partition_subalgoE3EjNS0_10empty_typeEbEEZZNS1_14partition_implILS8_3ELb0ES6_jNS0_17counting_iteratorIjlEEPS9_SE_NS0_5tupleIJPjSE_EEENSF_IJSE_SE_EEES9_SG_JZNS1_25segmented_radix_sort_implINS0_14default_configELb0EPKlPlSM_SN_N2at6native12_GLOBAL__N_18offset_tEEE10hipError_tPvRmT1_PNSt15iterator_traitsISV_E10value_typeET2_T3_PNSW_IS11_E10value_typeET4_jRbjT5_S17_jjP12ihipStream_tbEUljE_EEESS_ST_SU_S11_S15_S17_T6_T7_T9_mT8_S19_bDpT10_ENKUlT_T0_E_clISt17integral_constantIbLb0EES1M_EEDaS1H_S1I_EUlS1H_E_NS1_11comp_targetILNS1_3genE2ELNS1_11target_archE906ELNS1_3gpuE6ELNS1_3repE0EEENS1_30default_config_static_selectorELNS0_4arch9wavefront6targetE0EEEvSV_ ; -- Begin function _ZN7rocprim17ROCPRIM_400000_NS6detail17trampoline_kernelINS0_13select_configILj256ELj13ELNS0_17block_load_methodE3ELS4_3ELS4_3ELNS0_20block_scan_algorithmE0ELj4294967295EEENS1_25partition_config_selectorILNS1_17partition_subalgoE3EjNS0_10empty_typeEbEEZZNS1_14partition_implILS8_3ELb0ES6_jNS0_17counting_iteratorIjlEEPS9_SE_NS0_5tupleIJPjSE_EEENSF_IJSE_SE_EEES9_SG_JZNS1_25segmented_radix_sort_implINS0_14default_configELb0EPKlPlSM_SN_N2at6native12_GLOBAL__N_18offset_tEEE10hipError_tPvRmT1_PNSt15iterator_traitsISV_E10value_typeET2_T3_PNSW_IS11_E10value_typeET4_jRbjT5_S17_jjP12ihipStream_tbEUljE_EEESS_ST_SU_S11_S15_S17_T6_T7_T9_mT8_S19_bDpT10_ENKUlT_T0_E_clISt17integral_constantIbLb0EES1M_EEDaS1H_S1I_EUlS1H_E_NS1_11comp_targetILNS1_3genE2ELNS1_11target_archE906ELNS1_3gpuE6ELNS1_3repE0EEENS1_30default_config_static_selectorELNS0_4arch9wavefront6targetE0EEEvSV_
	.p2align	8
	.type	_ZN7rocprim17ROCPRIM_400000_NS6detail17trampoline_kernelINS0_13select_configILj256ELj13ELNS0_17block_load_methodE3ELS4_3ELS4_3ELNS0_20block_scan_algorithmE0ELj4294967295EEENS1_25partition_config_selectorILNS1_17partition_subalgoE3EjNS0_10empty_typeEbEEZZNS1_14partition_implILS8_3ELb0ES6_jNS0_17counting_iteratorIjlEEPS9_SE_NS0_5tupleIJPjSE_EEENSF_IJSE_SE_EEES9_SG_JZNS1_25segmented_radix_sort_implINS0_14default_configELb0EPKlPlSM_SN_N2at6native12_GLOBAL__N_18offset_tEEE10hipError_tPvRmT1_PNSt15iterator_traitsISV_E10value_typeET2_T3_PNSW_IS11_E10value_typeET4_jRbjT5_S17_jjP12ihipStream_tbEUljE_EEESS_ST_SU_S11_S15_S17_T6_T7_T9_mT8_S19_bDpT10_ENKUlT_T0_E_clISt17integral_constantIbLb0EES1M_EEDaS1H_S1I_EUlS1H_E_NS1_11comp_targetILNS1_3genE2ELNS1_11target_archE906ELNS1_3gpuE6ELNS1_3repE0EEENS1_30default_config_static_selectorELNS0_4arch9wavefront6targetE0EEEvSV_,@function
_ZN7rocprim17ROCPRIM_400000_NS6detail17trampoline_kernelINS0_13select_configILj256ELj13ELNS0_17block_load_methodE3ELS4_3ELS4_3ELNS0_20block_scan_algorithmE0ELj4294967295EEENS1_25partition_config_selectorILNS1_17partition_subalgoE3EjNS0_10empty_typeEbEEZZNS1_14partition_implILS8_3ELb0ES6_jNS0_17counting_iteratorIjlEEPS9_SE_NS0_5tupleIJPjSE_EEENSF_IJSE_SE_EEES9_SG_JZNS1_25segmented_radix_sort_implINS0_14default_configELb0EPKlPlSM_SN_N2at6native12_GLOBAL__N_18offset_tEEE10hipError_tPvRmT1_PNSt15iterator_traitsISV_E10value_typeET2_T3_PNSW_IS11_E10value_typeET4_jRbjT5_S17_jjP12ihipStream_tbEUljE_EEESS_ST_SU_S11_S15_S17_T6_T7_T9_mT8_S19_bDpT10_ENKUlT_T0_E_clISt17integral_constantIbLb0EES1M_EEDaS1H_S1I_EUlS1H_E_NS1_11comp_targetILNS1_3genE2ELNS1_11target_archE906ELNS1_3gpuE6ELNS1_3repE0EEENS1_30default_config_static_selectorELNS0_4arch9wavefront6targetE0EEEvSV_: ; @_ZN7rocprim17ROCPRIM_400000_NS6detail17trampoline_kernelINS0_13select_configILj256ELj13ELNS0_17block_load_methodE3ELS4_3ELS4_3ELNS0_20block_scan_algorithmE0ELj4294967295EEENS1_25partition_config_selectorILNS1_17partition_subalgoE3EjNS0_10empty_typeEbEEZZNS1_14partition_implILS8_3ELb0ES6_jNS0_17counting_iteratorIjlEEPS9_SE_NS0_5tupleIJPjSE_EEENSF_IJSE_SE_EEES9_SG_JZNS1_25segmented_radix_sort_implINS0_14default_configELb0EPKlPlSM_SN_N2at6native12_GLOBAL__N_18offset_tEEE10hipError_tPvRmT1_PNSt15iterator_traitsISV_E10value_typeET2_T3_PNSW_IS11_E10value_typeET4_jRbjT5_S17_jjP12ihipStream_tbEUljE_EEESS_ST_SU_S11_S15_S17_T6_T7_T9_mT8_S19_bDpT10_ENKUlT_T0_E_clISt17integral_constantIbLb0EES1M_EEDaS1H_S1I_EUlS1H_E_NS1_11comp_targetILNS1_3genE2ELNS1_11target_archE906ELNS1_3gpuE6ELNS1_3repE0EEENS1_30default_config_static_selectorELNS0_4arch9wavefront6targetE0EEEvSV_
; %bb.0:
	.section	.rodata,"a",@progbits
	.p2align	6, 0x0
	.amdhsa_kernel _ZN7rocprim17ROCPRIM_400000_NS6detail17trampoline_kernelINS0_13select_configILj256ELj13ELNS0_17block_load_methodE3ELS4_3ELS4_3ELNS0_20block_scan_algorithmE0ELj4294967295EEENS1_25partition_config_selectorILNS1_17partition_subalgoE3EjNS0_10empty_typeEbEEZZNS1_14partition_implILS8_3ELb0ES6_jNS0_17counting_iteratorIjlEEPS9_SE_NS0_5tupleIJPjSE_EEENSF_IJSE_SE_EEES9_SG_JZNS1_25segmented_radix_sort_implINS0_14default_configELb0EPKlPlSM_SN_N2at6native12_GLOBAL__N_18offset_tEEE10hipError_tPvRmT1_PNSt15iterator_traitsISV_E10value_typeET2_T3_PNSW_IS11_E10value_typeET4_jRbjT5_S17_jjP12ihipStream_tbEUljE_EEESS_ST_SU_S11_S15_S17_T6_T7_T9_mT8_S19_bDpT10_ENKUlT_T0_E_clISt17integral_constantIbLb0EES1M_EEDaS1H_S1I_EUlS1H_E_NS1_11comp_targetILNS1_3genE2ELNS1_11target_archE906ELNS1_3gpuE6ELNS1_3repE0EEENS1_30default_config_static_selectorELNS0_4arch9wavefront6targetE0EEEvSV_
		.amdhsa_group_segment_fixed_size 0
		.amdhsa_private_segment_fixed_size 0
		.amdhsa_kernarg_size 144
		.amdhsa_user_sgpr_count 15
		.amdhsa_user_sgpr_dispatch_ptr 0
		.amdhsa_user_sgpr_queue_ptr 0
		.amdhsa_user_sgpr_kernarg_segment_ptr 1
		.amdhsa_user_sgpr_dispatch_id 0
		.amdhsa_user_sgpr_private_segment_size 0
		.amdhsa_wavefront_size32 1
		.amdhsa_uses_dynamic_stack 0
		.amdhsa_enable_private_segment 0
		.amdhsa_system_sgpr_workgroup_id_x 1
		.amdhsa_system_sgpr_workgroup_id_y 0
		.amdhsa_system_sgpr_workgroup_id_z 0
		.amdhsa_system_sgpr_workgroup_info 0
		.amdhsa_system_vgpr_workitem_id 0
		.amdhsa_next_free_vgpr 1
		.amdhsa_next_free_sgpr 1
		.amdhsa_reserve_vcc 0
		.amdhsa_float_round_mode_32 0
		.amdhsa_float_round_mode_16_64 0
		.amdhsa_float_denorm_mode_32 3
		.amdhsa_float_denorm_mode_16_64 3
		.amdhsa_dx10_clamp 1
		.amdhsa_ieee_mode 1
		.amdhsa_fp16_overflow 0
		.amdhsa_workgroup_processor_mode 1
		.amdhsa_memory_ordered 1
		.amdhsa_forward_progress 0
		.amdhsa_shared_vgpr_count 0
		.amdhsa_exception_fp_ieee_invalid_op 0
		.amdhsa_exception_fp_denorm_src 0
		.amdhsa_exception_fp_ieee_div_zero 0
		.amdhsa_exception_fp_ieee_overflow 0
		.amdhsa_exception_fp_ieee_underflow 0
		.amdhsa_exception_fp_ieee_inexact 0
		.amdhsa_exception_int_div_zero 0
	.end_amdhsa_kernel
	.section	.text._ZN7rocprim17ROCPRIM_400000_NS6detail17trampoline_kernelINS0_13select_configILj256ELj13ELNS0_17block_load_methodE3ELS4_3ELS4_3ELNS0_20block_scan_algorithmE0ELj4294967295EEENS1_25partition_config_selectorILNS1_17partition_subalgoE3EjNS0_10empty_typeEbEEZZNS1_14partition_implILS8_3ELb0ES6_jNS0_17counting_iteratorIjlEEPS9_SE_NS0_5tupleIJPjSE_EEENSF_IJSE_SE_EEES9_SG_JZNS1_25segmented_radix_sort_implINS0_14default_configELb0EPKlPlSM_SN_N2at6native12_GLOBAL__N_18offset_tEEE10hipError_tPvRmT1_PNSt15iterator_traitsISV_E10value_typeET2_T3_PNSW_IS11_E10value_typeET4_jRbjT5_S17_jjP12ihipStream_tbEUljE_EEESS_ST_SU_S11_S15_S17_T6_T7_T9_mT8_S19_bDpT10_ENKUlT_T0_E_clISt17integral_constantIbLb0EES1M_EEDaS1H_S1I_EUlS1H_E_NS1_11comp_targetILNS1_3genE2ELNS1_11target_archE906ELNS1_3gpuE6ELNS1_3repE0EEENS1_30default_config_static_selectorELNS0_4arch9wavefront6targetE0EEEvSV_,"axG",@progbits,_ZN7rocprim17ROCPRIM_400000_NS6detail17trampoline_kernelINS0_13select_configILj256ELj13ELNS0_17block_load_methodE3ELS4_3ELS4_3ELNS0_20block_scan_algorithmE0ELj4294967295EEENS1_25partition_config_selectorILNS1_17partition_subalgoE3EjNS0_10empty_typeEbEEZZNS1_14partition_implILS8_3ELb0ES6_jNS0_17counting_iteratorIjlEEPS9_SE_NS0_5tupleIJPjSE_EEENSF_IJSE_SE_EEES9_SG_JZNS1_25segmented_radix_sort_implINS0_14default_configELb0EPKlPlSM_SN_N2at6native12_GLOBAL__N_18offset_tEEE10hipError_tPvRmT1_PNSt15iterator_traitsISV_E10value_typeET2_T3_PNSW_IS11_E10value_typeET4_jRbjT5_S17_jjP12ihipStream_tbEUljE_EEESS_ST_SU_S11_S15_S17_T6_T7_T9_mT8_S19_bDpT10_ENKUlT_T0_E_clISt17integral_constantIbLb0EES1M_EEDaS1H_S1I_EUlS1H_E_NS1_11comp_targetILNS1_3genE2ELNS1_11target_archE906ELNS1_3gpuE6ELNS1_3repE0EEENS1_30default_config_static_selectorELNS0_4arch9wavefront6targetE0EEEvSV_,comdat
.Lfunc_end779:
	.size	_ZN7rocprim17ROCPRIM_400000_NS6detail17trampoline_kernelINS0_13select_configILj256ELj13ELNS0_17block_load_methodE3ELS4_3ELS4_3ELNS0_20block_scan_algorithmE0ELj4294967295EEENS1_25partition_config_selectorILNS1_17partition_subalgoE3EjNS0_10empty_typeEbEEZZNS1_14partition_implILS8_3ELb0ES6_jNS0_17counting_iteratorIjlEEPS9_SE_NS0_5tupleIJPjSE_EEENSF_IJSE_SE_EEES9_SG_JZNS1_25segmented_radix_sort_implINS0_14default_configELb0EPKlPlSM_SN_N2at6native12_GLOBAL__N_18offset_tEEE10hipError_tPvRmT1_PNSt15iterator_traitsISV_E10value_typeET2_T3_PNSW_IS11_E10value_typeET4_jRbjT5_S17_jjP12ihipStream_tbEUljE_EEESS_ST_SU_S11_S15_S17_T6_T7_T9_mT8_S19_bDpT10_ENKUlT_T0_E_clISt17integral_constantIbLb0EES1M_EEDaS1H_S1I_EUlS1H_E_NS1_11comp_targetILNS1_3genE2ELNS1_11target_archE906ELNS1_3gpuE6ELNS1_3repE0EEENS1_30default_config_static_selectorELNS0_4arch9wavefront6targetE0EEEvSV_, .Lfunc_end779-_ZN7rocprim17ROCPRIM_400000_NS6detail17trampoline_kernelINS0_13select_configILj256ELj13ELNS0_17block_load_methodE3ELS4_3ELS4_3ELNS0_20block_scan_algorithmE0ELj4294967295EEENS1_25partition_config_selectorILNS1_17partition_subalgoE3EjNS0_10empty_typeEbEEZZNS1_14partition_implILS8_3ELb0ES6_jNS0_17counting_iteratorIjlEEPS9_SE_NS0_5tupleIJPjSE_EEENSF_IJSE_SE_EEES9_SG_JZNS1_25segmented_radix_sort_implINS0_14default_configELb0EPKlPlSM_SN_N2at6native12_GLOBAL__N_18offset_tEEE10hipError_tPvRmT1_PNSt15iterator_traitsISV_E10value_typeET2_T3_PNSW_IS11_E10value_typeET4_jRbjT5_S17_jjP12ihipStream_tbEUljE_EEESS_ST_SU_S11_S15_S17_T6_T7_T9_mT8_S19_bDpT10_ENKUlT_T0_E_clISt17integral_constantIbLb0EES1M_EEDaS1H_S1I_EUlS1H_E_NS1_11comp_targetILNS1_3genE2ELNS1_11target_archE906ELNS1_3gpuE6ELNS1_3repE0EEENS1_30default_config_static_selectorELNS0_4arch9wavefront6targetE0EEEvSV_
                                        ; -- End function
	.section	.AMDGPU.csdata,"",@progbits
; Kernel info:
; codeLenInByte = 0
; NumSgprs: 0
; NumVgprs: 0
; ScratchSize: 0
; MemoryBound: 0
; FloatMode: 240
; IeeeMode: 1
; LDSByteSize: 0 bytes/workgroup (compile time only)
; SGPRBlocks: 0
; VGPRBlocks: 0
; NumSGPRsForWavesPerEU: 1
; NumVGPRsForWavesPerEU: 1
; Occupancy: 16
; WaveLimiterHint : 0
; COMPUTE_PGM_RSRC2:SCRATCH_EN: 0
; COMPUTE_PGM_RSRC2:USER_SGPR: 15
; COMPUTE_PGM_RSRC2:TRAP_HANDLER: 0
; COMPUTE_PGM_RSRC2:TGID_X_EN: 1
; COMPUTE_PGM_RSRC2:TGID_Y_EN: 0
; COMPUTE_PGM_RSRC2:TGID_Z_EN: 0
; COMPUTE_PGM_RSRC2:TIDIG_COMP_CNT: 0
	.section	.text._ZN7rocprim17ROCPRIM_400000_NS6detail17trampoline_kernelINS0_13select_configILj256ELj13ELNS0_17block_load_methodE3ELS4_3ELS4_3ELNS0_20block_scan_algorithmE0ELj4294967295EEENS1_25partition_config_selectorILNS1_17partition_subalgoE3EjNS0_10empty_typeEbEEZZNS1_14partition_implILS8_3ELb0ES6_jNS0_17counting_iteratorIjlEEPS9_SE_NS0_5tupleIJPjSE_EEENSF_IJSE_SE_EEES9_SG_JZNS1_25segmented_radix_sort_implINS0_14default_configELb0EPKlPlSM_SN_N2at6native12_GLOBAL__N_18offset_tEEE10hipError_tPvRmT1_PNSt15iterator_traitsISV_E10value_typeET2_T3_PNSW_IS11_E10value_typeET4_jRbjT5_S17_jjP12ihipStream_tbEUljE_EEESS_ST_SU_S11_S15_S17_T6_T7_T9_mT8_S19_bDpT10_ENKUlT_T0_E_clISt17integral_constantIbLb0EES1M_EEDaS1H_S1I_EUlS1H_E_NS1_11comp_targetILNS1_3genE10ELNS1_11target_archE1200ELNS1_3gpuE4ELNS1_3repE0EEENS1_30default_config_static_selectorELNS0_4arch9wavefront6targetE0EEEvSV_,"axG",@progbits,_ZN7rocprim17ROCPRIM_400000_NS6detail17trampoline_kernelINS0_13select_configILj256ELj13ELNS0_17block_load_methodE3ELS4_3ELS4_3ELNS0_20block_scan_algorithmE0ELj4294967295EEENS1_25partition_config_selectorILNS1_17partition_subalgoE3EjNS0_10empty_typeEbEEZZNS1_14partition_implILS8_3ELb0ES6_jNS0_17counting_iteratorIjlEEPS9_SE_NS0_5tupleIJPjSE_EEENSF_IJSE_SE_EEES9_SG_JZNS1_25segmented_radix_sort_implINS0_14default_configELb0EPKlPlSM_SN_N2at6native12_GLOBAL__N_18offset_tEEE10hipError_tPvRmT1_PNSt15iterator_traitsISV_E10value_typeET2_T3_PNSW_IS11_E10value_typeET4_jRbjT5_S17_jjP12ihipStream_tbEUljE_EEESS_ST_SU_S11_S15_S17_T6_T7_T9_mT8_S19_bDpT10_ENKUlT_T0_E_clISt17integral_constantIbLb0EES1M_EEDaS1H_S1I_EUlS1H_E_NS1_11comp_targetILNS1_3genE10ELNS1_11target_archE1200ELNS1_3gpuE4ELNS1_3repE0EEENS1_30default_config_static_selectorELNS0_4arch9wavefront6targetE0EEEvSV_,comdat
	.globl	_ZN7rocprim17ROCPRIM_400000_NS6detail17trampoline_kernelINS0_13select_configILj256ELj13ELNS0_17block_load_methodE3ELS4_3ELS4_3ELNS0_20block_scan_algorithmE0ELj4294967295EEENS1_25partition_config_selectorILNS1_17partition_subalgoE3EjNS0_10empty_typeEbEEZZNS1_14partition_implILS8_3ELb0ES6_jNS0_17counting_iteratorIjlEEPS9_SE_NS0_5tupleIJPjSE_EEENSF_IJSE_SE_EEES9_SG_JZNS1_25segmented_radix_sort_implINS0_14default_configELb0EPKlPlSM_SN_N2at6native12_GLOBAL__N_18offset_tEEE10hipError_tPvRmT1_PNSt15iterator_traitsISV_E10value_typeET2_T3_PNSW_IS11_E10value_typeET4_jRbjT5_S17_jjP12ihipStream_tbEUljE_EEESS_ST_SU_S11_S15_S17_T6_T7_T9_mT8_S19_bDpT10_ENKUlT_T0_E_clISt17integral_constantIbLb0EES1M_EEDaS1H_S1I_EUlS1H_E_NS1_11comp_targetILNS1_3genE10ELNS1_11target_archE1200ELNS1_3gpuE4ELNS1_3repE0EEENS1_30default_config_static_selectorELNS0_4arch9wavefront6targetE0EEEvSV_ ; -- Begin function _ZN7rocprim17ROCPRIM_400000_NS6detail17trampoline_kernelINS0_13select_configILj256ELj13ELNS0_17block_load_methodE3ELS4_3ELS4_3ELNS0_20block_scan_algorithmE0ELj4294967295EEENS1_25partition_config_selectorILNS1_17partition_subalgoE3EjNS0_10empty_typeEbEEZZNS1_14partition_implILS8_3ELb0ES6_jNS0_17counting_iteratorIjlEEPS9_SE_NS0_5tupleIJPjSE_EEENSF_IJSE_SE_EEES9_SG_JZNS1_25segmented_radix_sort_implINS0_14default_configELb0EPKlPlSM_SN_N2at6native12_GLOBAL__N_18offset_tEEE10hipError_tPvRmT1_PNSt15iterator_traitsISV_E10value_typeET2_T3_PNSW_IS11_E10value_typeET4_jRbjT5_S17_jjP12ihipStream_tbEUljE_EEESS_ST_SU_S11_S15_S17_T6_T7_T9_mT8_S19_bDpT10_ENKUlT_T0_E_clISt17integral_constantIbLb0EES1M_EEDaS1H_S1I_EUlS1H_E_NS1_11comp_targetILNS1_3genE10ELNS1_11target_archE1200ELNS1_3gpuE4ELNS1_3repE0EEENS1_30default_config_static_selectorELNS0_4arch9wavefront6targetE0EEEvSV_
	.p2align	8
	.type	_ZN7rocprim17ROCPRIM_400000_NS6detail17trampoline_kernelINS0_13select_configILj256ELj13ELNS0_17block_load_methodE3ELS4_3ELS4_3ELNS0_20block_scan_algorithmE0ELj4294967295EEENS1_25partition_config_selectorILNS1_17partition_subalgoE3EjNS0_10empty_typeEbEEZZNS1_14partition_implILS8_3ELb0ES6_jNS0_17counting_iteratorIjlEEPS9_SE_NS0_5tupleIJPjSE_EEENSF_IJSE_SE_EEES9_SG_JZNS1_25segmented_radix_sort_implINS0_14default_configELb0EPKlPlSM_SN_N2at6native12_GLOBAL__N_18offset_tEEE10hipError_tPvRmT1_PNSt15iterator_traitsISV_E10value_typeET2_T3_PNSW_IS11_E10value_typeET4_jRbjT5_S17_jjP12ihipStream_tbEUljE_EEESS_ST_SU_S11_S15_S17_T6_T7_T9_mT8_S19_bDpT10_ENKUlT_T0_E_clISt17integral_constantIbLb0EES1M_EEDaS1H_S1I_EUlS1H_E_NS1_11comp_targetILNS1_3genE10ELNS1_11target_archE1200ELNS1_3gpuE4ELNS1_3repE0EEENS1_30default_config_static_selectorELNS0_4arch9wavefront6targetE0EEEvSV_,@function
_ZN7rocprim17ROCPRIM_400000_NS6detail17trampoline_kernelINS0_13select_configILj256ELj13ELNS0_17block_load_methodE3ELS4_3ELS4_3ELNS0_20block_scan_algorithmE0ELj4294967295EEENS1_25partition_config_selectorILNS1_17partition_subalgoE3EjNS0_10empty_typeEbEEZZNS1_14partition_implILS8_3ELb0ES6_jNS0_17counting_iteratorIjlEEPS9_SE_NS0_5tupleIJPjSE_EEENSF_IJSE_SE_EEES9_SG_JZNS1_25segmented_radix_sort_implINS0_14default_configELb0EPKlPlSM_SN_N2at6native12_GLOBAL__N_18offset_tEEE10hipError_tPvRmT1_PNSt15iterator_traitsISV_E10value_typeET2_T3_PNSW_IS11_E10value_typeET4_jRbjT5_S17_jjP12ihipStream_tbEUljE_EEESS_ST_SU_S11_S15_S17_T6_T7_T9_mT8_S19_bDpT10_ENKUlT_T0_E_clISt17integral_constantIbLb0EES1M_EEDaS1H_S1I_EUlS1H_E_NS1_11comp_targetILNS1_3genE10ELNS1_11target_archE1200ELNS1_3gpuE4ELNS1_3repE0EEENS1_30default_config_static_selectorELNS0_4arch9wavefront6targetE0EEEvSV_: ; @_ZN7rocprim17ROCPRIM_400000_NS6detail17trampoline_kernelINS0_13select_configILj256ELj13ELNS0_17block_load_methodE3ELS4_3ELS4_3ELNS0_20block_scan_algorithmE0ELj4294967295EEENS1_25partition_config_selectorILNS1_17partition_subalgoE3EjNS0_10empty_typeEbEEZZNS1_14partition_implILS8_3ELb0ES6_jNS0_17counting_iteratorIjlEEPS9_SE_NS0_5tupleIJPjSE_EEENSF_IJSE_SE_EEES9_SG_JZNS1_25segmented_radix_sort_implINS0_14default_configELb0EPKlPlSM_SN_N2at6native12_GLOBAL__N_18offset_tEEE10hipError_tPvRmT1_PNSt15iterator_traitsISV_E10value_typeET2_T3_PNSW_IS11_E10value_typeET4_jRbjT5_S17_jjP12ihipStream_tbEUljE_EEESS_ST_SU_S11_S15_S17_T6_T7_T9_mT8_S19_bDpT10_ENKUlT_T0_E_clISt17integral_constantIbLb0EES1M_EEDaS1H_S1I_EUlS1H_E_NS1_11comp_targetILNS1_3genE10ELNS1_11target_archE1200ELNS1_3gpuE4ELNS1_3repE0EEENS1_30default_config_static_selectorELNS0_4arch9wavefront6targetE0EEEvSV_
; %bb.0:
	.section	.rodata,"a",@progbits
	.p2align	6, 0x0
	.amdhsa_kernel _ZN7rocprim17ROCPRIM_400000_NS6detail17trampoline_kernelINS0_13select_configILj256ELj13ELNS0_17block_load_methodE3ELS4_3ELS4_3ELNS0_20block_scan_algorithmE0ELj4294967295EEENS1_25partition_config_selectorILNS1_17partition_subalgoE3EjNS0_10empty_typeEbEEZZNS1_14partition_implILS8_3ELb0ES6_jNS0_17counting_iteratorIjlEEPS9_SE_NS0_5tupleIJPjSE_EEENSF_IJSE_SE_EEES9_SG_JZNS1_25segmented_radix_sort_implINS0_14default_configELb0EPKlPlSM_SN_N2at6native12_GLOBAL__N_18offset_tEEE10hipError_tPvRmT1_PNSt15iterator_traitsISV_E10value_typeET2_T3_PNSW_IS11_E10value_typeET4_jRbjT5_S17_jjP12ihipStream_tbEUljE_EEESS_ST_SU_S11_S15_S17_T6_T7_T9_mT8_S19_bDpT10_ENKUlT_T0_E_clISt17integral_constantIbLb0EES1M_EEDaS1H_S1I_EUlS1H_E_NS1_11comp_targetILNS1_3genE10ELNS1_11target_archE1200ELNS1_3gpuE4ELNS1_3repE0EEENS1_30default_config_static_selectorELNS0_4arch9wavefront6targetE0EEEvSV_
		.amdhsa_group_segment_fixed_size 0
		.amdhsa_private_segment_fixed_size 0
		.amdhsa_kernarg_size 144
		.amdhsa_user_sgpr_count 15
		.amdhsa_user_sgpr_dispatch_ptr 0
		.amdhsa_user_sgpr_queue_ptr 0
		.amdhsa_user_sgpr_kernarg_segment_ptr 1
		.amdhsa_user_sgpr_dispatch_id 0
		.amdhsa_user_sgpr_private_segment_size 0
		.amdhsa_wavefront_size32 1
		.amdhsa_uses_dynamic_stack 0
		.amdhsa_enable_private_segment 0
		.amdhsa_system_sgpr_workgroup_id_x 1
		.amdhsa_system_sgpr_workgroup_id_y 0
		.amdhsa_system_sgpr_workgroup_id_z 0
		.amdhsa_system_sgpr_workgroup_info 0
		.amdhsa_system_vgpr_workitem_id 0
		.amdhsa_next_free_vgpr 1
		.amdhsa_next_free_sgpr 1
		.amdhsa_reserve_vcc 0
		.amdhsa_float_round_mode_32 0
		.amdhsa_float_round_mode_16_64 0
		.amdhsa_float_denorm_mode_32 3
		.amdhsa_float_denorm_mode_16_64 3
		.amdhsa_dx10_clamp 1
		.amdhsa_ieee_mode 1
		.amdhsa_fp16_overflow 0
		.amdhsa_workgroup_processor_mode 1
		.amdhsa_memory_ordered 1
		.amdhsa_forward_progress 0
		.amdhsa_shared_vgpr_count 0
		.amdhsa_exception_fp_ieee_invalid_op 0
		.amdhsa_exception_fp_denorm_src 0
		.amdhsa_exception_fp_ieee_div_zero 0
		.amdhsa_exception_fp_ieee_overflow 0
		.amdhsa_exception_fp_ieee_underflow 0
		.amdhsa_exception_fp_ieee_inexact 0
		.amdhsa_exception_int_div_zero 0
	.end_amdhsa_kernel
	.section	.text._ZN7rocprim17ROCPRIM_400000_NS6detail17trampoline_kernelINS0_13select_configILj256ELj13ELNS0_17block_load_methodE3ELS4_3ELS4_3ELNS0_20block_scan_algorithmE0ELj4294967295EEENS1_25partition_config_selectorILNS1_17partition_subalgoE3EjNS0_10empty_typeEbEEZZNS1_14partition_implILS8_3ELb0ES6_jNS0_17counting_iteratorIjlEEPS9_SE_NS0_5tupleIJPjSE_EEENSF_IJSE_SE_EEES9_SG_JZNS1_25segmented_radix_sort_implINS0_14default_configELb0EPKlPlSM_SN_N2at6native12_GLOBAL__N_18offset_tEEE10hipError_tPvRmT1_PNSt15iterator_traitsISV_E10value_typeET2_T3_PNSW_IS11_E10value_typeET4_jRbjT5_S17_jjP12ihipStream_tbEUljE_EEESS_ST_SU_S11_S15_S17_T6_T7_T9_mT8_S19_bDpT10_ENKUlT_T0_E_clISt17integral_constantIbLb0EES1M_EEDaS1H_S1I_EUlS1H_E_NS1_11comp_targetILNS1_3genE10ELNS1_11target_archE1200ELNS1_3gpuE4ELNS1_3repE0EEENS1_30default_config_static_selectorELNS0_4arch9wavefront6targetE0EEEvSV_,"axG",@progbits,_ZN7rocprim17ROCPRIM_400000_NS6detail17trampoline_kernelINS0_13select_configILj256ELj13ELNS0_17block_load_methodE3ELS4_3ELS4_3ELNS0_20block_scan_algorithmE0ELj4294967295EEENS1_25partition_config_selectorILNS1_17partition_subalgoE3EjNS0_10empty_typeEbEEZZNS1_14partition_implILS8_3ELb0ES6_jNS0_17counting_iteratorIjlEEPS9_SE_NS0_5tupleIJPjSE_EEENSF_IJSE_SE_EEES9_SG_JZNS1_25segmented_radix_sort_implINS0_14default_configELb0EPKlPlSM_SN_N2at6native12_GLOBAL__N_18offset_tEEE10hipError_tPvRmT1_PNSt15iterator_traitsISV_E10value_typeET2_T3_PNSW_IS11_E10value_typeET4_jRbjT5_S17_jjP12ihipStream_tbEUljE_EEESS_ST_SU_S11_S15_S17_T6_T7_T9_mT8_S19_bDpT10_ENKUlT_T0_E_clISt17integral_constantIbLb0EES1M_EEDaS1H_S1I_EUlS1H_E_NS1_11comp_targetILNS1_3genE10ELNS1_11target_archE1200ELNS1_3gpuE4ELNS1_3repE0EEENS1_30default_config_static_selectorELNS0_4arch9wavefront6targetE0EEEvSV_,comdat
.Lfunc_end780:
	.size	_ZN7rocprim17ROCPRIM_400000_NS6detail17trampoline_kernelINS0_13select_configILj256ELj13ELNS0_17block_load_methodE3ELS4_3ELS4_3ELNS0_20block_scan_algorithmE0ELj4294967295EEENS1_25partition_config_selectorILNS1_17partition_subalgoE3EjNS0_10empty_typeEbEEZZNS1_14partition_implILS8_3ELb0ES6_jNS0_17counting_iteratorIjlEEPS9_SE_NS0_5tupleIJPjSE_EEENSF_IJSE_SE_EEES9_SG_JZNS1_25segmented_radix_sort_implINS0_14default_configELb0EPKlPlSM_SN_N2at6native12_GLOBAL__N_18offset_tEEE10hipError_tPvRmT1_PNSt15iterator_traitsISV_E10value_typeET2_T3_PNSW_IS11_E10value_typeET4_jRbjT5_S17_jjP12ihipStream_tbEUljE_EEESS_ST_SU_S11_S15_S17_T6_T7_T9_mT8_S19_bDpT10_ENKUlT_T0_E_clISt17integral_constantIbLb0EES1M_EEDaS1H_S1I_EUlS1H_E_NS1_11comp_targetILNS1_3genE10ELNS1_11target_archE1200ELNS1_3gpuE4ELNS1_3repE0EEENS1_30default_config_static_selectorELNS0_4arch9wavefront6targetE0EEEvSV_, .Lfunc_end780-_ZN7rocprim17ROCPRIM_400000_NS6detail17trampoline_kernelINS0_13select_configILj256ELj13ELNS0_17block_load_methodE3ELS4_3ELS4_3ELNS0_20block_scan_algorithmE0ELj4294967295EEENS1_25partition_config_selectorILNS1_17partition_subalgoE3EjNS0_10empty_typeEbEEZZNS1_14partition_implILS8_3ELb0ES6_jNS0_17counting_iteratorIjlEEPS9_SE_NS0_5tupleIJPjSE_EEENSF_IJSE_SE_EEES9_SG_JZNS1_25segmented_radix_sort_implINS0_14default_configELb0EPKlPlSM_SN_N2at6native12_GLOBAL__N_18offset_tEEE10hipError_tPvRmT1_PNSt15iterator_traitsISV_E10value_typeET2_T3_PNSW_IS11_E10value_typeET4_jRbjT5_S17_jjP12ihipStream_tbEUljE_EEESS_ST_SU_S11_S15_S17_T6_T7_T9_mT8_S19_bDpT10_ENKUlT_T0_E_clISt17integral_constantIbLb0EES1M_EEDaS1H_S1I_EUlS1H_E_NS1_11comp_targetILNS1_3genE10ELNS1_11target_archE1200ELNS1_3gpuE4ELNS1_3repE0EEENS1_30default_config_static_selectorELNS0_4arch9wavefront6targetE0EEEvSV_
                                        ; -- End function
	.section	.AMDGPU.csdata,"",@progbits
; Kernel info:
; codeLenInByte = 0
; NumSgprs: 0
; NumVgprs: 0
; ScratchSize: 0
; MemoryBound: 0
; FloatMode: 240
; IeeeMode: 1
; LDSByteSize: 0 bytes/workgroup (compile time only)
; SGPRBlocks: 0
; VGPRBlocks: 0
; NumSGPRsForWavesPerEU: 1
; NumVGPRsForWavesPerEU: 1
; Occupancy: 16
; WaveLimiterHint : 0
; COMPUTE_PGM_RSRC2:SCRATCH_EN: 0
; COMPUTE_PGM_RSRC2:USER_SGPR: 15
; COMPUTE_PGM_RSRC2:TRAP_HANDLER: 0
; COMPUTE_PGM_RSRC2:TGID_X_EN: 1
; COMPUTE_PGM_RSRC2:TGID_Y_EN: 0
; COMPUTE_PGM_RSRC2:TGID_Z_EN: 0
; COMPUTE_PGM_RSRC2:TIDIG_COMP_CNT: 0
	.section	.text._ZN7rocprim17ROCPRIM_400000_NS6detail17trampoline_kernelINS0_13select_configILj256ELj13ELNS0_17block_load_methodE3ELS4_3ELS4_3ELNS0_20block_scan_algorithmE0ELj4294967295EEENS1_25partition_config_selectorILNS1_17partition_subalgoE3EjNS0_10empty_typeEbEEZZNS1_14partition_implILS8_3ELb0ES6_jNS0_17counting_iteratorIjlEEPS9_SE_NS0_5tupleIJPjSE_EEENSF_IJSE_SE_EEES9_SG_JZNS1_25segmented_radix_sort_implINS0_14default_configELb0EPKlPlSM_SN_N2at6native12_GLOBAL__N_18offset_tEEE10hipError_tPvRmT1_PNSt15iterator_traitsISV_E10value_typeET2_T3_PNSW_IS11_E10value_typeET4_jRbjT5_S17_jjP12ihipStream_tbEUljE_EEESS_ST_SU_S11_S15_S17_T6_T7_T9_mT8_S19_bDpT10_ENKUlT_T0_E_clISt17integral_constantIbLb0EES1M_EEDaS1H_S1I_EUlS1H_E_NS1_11comp_targetILNS1_3genE9ELNS1_11target_archE1100ELNS1_3gpuE3ELNS1_3repE0EEENS1_30default_config_static_selectorELNS0_4arch9wavefront6targetE0EEEvSV_,"axG",@progbits,_ZN7rocprim17ROCPRIM_400000_NS6detail17trampoline_kernelINS0_13select_configILj256ELj13ELNS0_17block_load_methodE3ELS4_3ELS4_3ELNS0_20block_scan_algorithmE0ELj4294967295EEENS1_25partition_config_selectorILNS1_17partition_subalgoE3EjNS0_10empty_typeEbEEZZNS1_14partition_implILS8_3ELb0ES6_jNS0_17counting_iteratorIjlEEPS9_SE_NS0_5tupleIJPjSE_EEENSF_IJSE_SE_EEES9_SG_JZNS1_25segmented_radix_sort_implINS0_14default_configELb0EPKlPlSM_SN_N2at6native12_GLOBAL__N_18offset_tEEE10hipError_tPvRmT1_PNSt15iterator_traitsISV_E10value_typeET2_T3_PNSW_IS11_E10value_typeET4_jRbjT5_S17_jjP12ihipStream_tbEUljE_EEESS_ST_SU_S11_S15_S17_T6_T7_T9_mT8_S19_bDpT10_ENKUlT_T0_E_clISt17integral_constantIbLb0EES1M_EEDaS1H_S1I_EUlS1H_E_NS1_11comp_targetILNS1_3genE9ELNS1_11target_archE1100ELNS1_3gpuE3ELNS1_3repE0EEENS1_30default_config_static_selectorELNS0_4arch9wavefront6targetE0EEEvSV_,comdat
	.globl	_ZN7rocprim17ROCPRIM_400000_NS6detail17trampoline_kernelINS0_13select_configILj256ELj13ELNS0_17block_load_methodE3ELS4_3ELS4_3ELNS0_20block_scan_algorithmE0ELj4294967295EEENS1_25partition_config_selectorILNS1_17partition_subalgoE3EjNS0_10empty_typeEbEEZZNS1_14partition_implILS8_3ELb0ES6_jNS0_17counting_iteratorIjlEEPS9_SE_NS0_5tupleIJPjSE_EEENSF_IJSE_SE_EEES9_SG_JZNS1_25segmented_radix_sort_implINS0_14default_configELb0EPKlPlSM_SN_N2at6native12_GLOBAL__N_18offset_tEEE10hipError_tPvRmT1_PNSt15iterator_traitsISV_E10value_typeET2_T3_PNSW_IS11_E10value_typeET4_jRbjT5_S17_jjP12ihipStream_tbEUljE_EEESS_ST_SU_S11_S15_S17_T6_T7_T9_mT8_S19_bDpT10_ENKUlT_T0_E_clISt17integral_constantIbLb0EES1M_EEDaS1H_S1I_EUlS1H_E_NS1_11comp_targetILNS1_3genE9ELNS1_11target_archE1100ELNS1_3gpuE3ELNS1_3repE0EEENS1_30default_config_static_selectorELNS0_4arch9wavefront6targetE0EEEvSV_ ; -- Begin function _ZN7rocprim17ROCPRIM_400000_NS6detail17trampoline_kernelINS0_13select_configILj256ELj13ELNS0_17block_load_methodE3ELS4_3ELS4_3ELNS0_20block_scan_algorithmE0ELj4294967295EEENS1_25partition_config_selectorILNS1_17partition_subalgoE3EjNS0_10empty_typeEbEEZZNS1_14partition_implILS8_3ELb0ES6_jNS0_17counting_iteratorIjlEEPS9_SE_NS0_5tupleIJPjSE_EEENSF_IJSE_SE_EEES9_SG_JZNS1_25segmented_radix_sort_implINS0_14default_configELb0EPKlPlSM_SN_N2at6native12_GLOBAL__N_18offset_tEEE10hipError_tPvRmT1_PNSt15iterator_traitsISV_E10value_typeET2_T3_PNSW_IS11_E10value_typeET4_jRbjT5_S17_jjP12ihipStream_tbEUljE_EEESS_ST_SU_S11_S15_S17_T6_T7_T9_mT8_S19_bDpT10_ENKUlT_T0_E_clISt17integral_constantIbLb0EES1M_EEDaS1H_S1I_EUlS1H_E_NS1_11comp_targetILNS1_3genE9ELNS1_11target_archE1100ELNS1_3gpuE3ELNS1_3repE0EEENS1_30default_config_static_selectorELNS0_4arch9wavefront6targetE0EEEvSV_
	.p2align	8
	.type	_ZN7rocprim17ROCPRIM_400000_NS6detail17trampoline_kernelINS0_13select_configILj256ELj13ELNS0_17block_load_methodE3ELS4_3ELS4_3ELNS0_20block_scan_algorithmE0ELj4294967295EEENS1_25partition_config_selectorILNS1_17partition_subalgoE3EjNS0_10empty_typeEbEEZZNS1_14partition_implILS8_3ELb0ES6_jNS0_17counting_iteratorIjlEEPS9_SE_NS0_5tupleIJPjSE_EEENSF_IJSE_SE_EEES9_SG_JZNS1_25segmented_radix_sort_implINS0_14default_configELb0EPKlPlSM_SN_N2at6native12_GLOBAL__N_18offset_tEEE10hipError_tPvRmT1_PNSt15iterator_traitsISV_E10value_typeET2_T3_PNSW_IS11_E10value_typeET4_jRbjT5_S17_jjP12ihipStream_tbEUljE_EEESS_ST_SU_S11_S15_S17_T6_T7_T9_mT8_S19_bDpT10_ENKUlT_T0_E_clISt17integral_constantIbLb0EES1M_EEDaS1H_S1I_EUlS1H_E_NS1_11comp_targetILNS1_3genE9ELNS1_11target_archE1100ELNS1_3gpuE3ELNS1_3repE0EEENS1_30default_config_static_selectorELNS0_4arch9wavefront6targetE0EEEvSV_,@function
_ZN7rocprim17ROCPRIM_400000_NS6detail17trampoline_kernelINS0_13select_configILj256ELj13ELNS0_17block_load_methodE3ELS4_3ELS4_3ELNS0_20block_scan_algorithmE0ELj4294967295EEENS1_25partition_config_selectorILNS1_17partition_subalgoE3EjNS0_10empty_typeEbEEZZNS1_14partition_implILS8_3ELb0ES6_jNS0_17counting_iteratorIjlEEPS9_SE_NS0_5tupleIJPjSE_EEENSF_IJSE_SE_EEES9_SG_JZNS1_25segmented_radix_sort_implINS0_14default_configELb0EPKlPlSM_SN_N2at6native12_GLOBAL__N_18offset_tEEE10hipError_tPvRmT1_PNSt15iterator_traitsISV_E10value_typeET2_T3_PNSW_IS11_E10value_typeET4_jRbjT5_S17_jjP12ihipStream_tbEUljE_EEESS_ST_SU_S11_S15_S17_T6_T7_T9_mT8_S19_bDpT10_ENKUlT_T0_E_clISt17integral_constantIbLb0EES1M_EEDaS1H_S1I_EUlS1H_E_NS1_11comp_targetILNS1_3genE9ELNS1_11target_archE1100ELNS1_3gpuE3ELNS1_3repE0EEENS1_30default_config_static_selectorELNS0_4arch9wavefront6targetE0EEEvSV_: ; @_ZN7rocprim17ROCPRIM_400000_NS6detail17trampoline_kernelINS0_13select_configILj256ELj13ELNS0_17block_load_methodE3ELS4_3ELS4_3ELNS0_20block_scan_algorithmE0ELj4294967295EEENS1_25partition_config_selectorILNS1_17partition_subalgoE3EjNS0_10empty_typeEbEEZZNS1_14partition_implILS8_3ELb0ES6_jNS0_17counting_iteratorIjlEEPS9_SE_NS0_5tupleIJPjSE_EEENSF_IJSE_SE_EEES9_SG_JZNS1_25segmented_radix_sort_implINS0_14default_configELb0EPKlPlSM_SN_N2at6native12_GLOBAL__N_18offset_tEEE10hipError_tPvRmT1_PNSt15iterator_traitsISV_E10value_typeET2_T3_PNSW_IS11_E10value_typeET4_jRbjT5_S17_jjP12ihipStream_tbEUljE_EEESS_ST_SU_S11_S15_S17_T6_T7_T9_mT8_S19_bDpT10_ENKUlT_T0_E_clISt17integral_constantIbLb0EES1M_EEDaS1H_S1I_EUlS1H_E_NS1_11comp_targetILNS1_3genE9ELNS1_11target_archE1100ELNS1_3gpuE3ELNS1_3repE0EEENS1_30default_config_static_selectorELNS0_4arch9wavefront6targetE0EEEvSV_
; %bb.0:
	s_clause 0x5
	s_load_b32 s2, s[0:1], 0x70
	s_load_b64 s[16:17], s[0:1], 0x10
	s_load_b64 s[12:13], s[0:1], 0x58
	s_load_b32 s18, s[0:1], 0x8
	s_load_b128 s[8:11], s[0:1], 0x48
	s_load_b128 s[4:7], s[0:1], 0x78
	s_mul_i32 s23, s15, 0xd00
	v_lshlrev_b32_e32 v30, 2, v0
	s_waitcnt lgkmcnt(0)
	s_mul_i32 s20, s2, 0xd00
	s_add_i32 s19, s2, -1
	s_add_u32 s2, s16, s20
	s_addc_u32 s3, s17, 0
	s_cmp_eq_u32 s15, s19
	v_cmp_lt_u64_e64 s3, s[2:3], s[12:13]
	s_cselect_b32 s14, -1, 0
	s_cmp_lg_u32 s15, s19
	s_cselect_b32 s21, -1, 0
	s_add_i32 s2, s18, s23
	s_delay_alu instid0(VALU_DEP_1)
	s_or_b32 s3, s21, s3
	s_add_i32 s18, s2, s16
	s_load_b32 s2, s[0:1], 0x88
	v_add_nc_u32_e32 v1, s18, v0
	s_load_b64 s[18:19], s[10:11], 0x0
	s_and_b32 vcc_lo, exec_lo, s3
	s_mov_b32 s10, -1
	s_delay_alu instid0(VALU_DEP_1)
	v_add_nc_u32_e32 v2, 0x100, v1
	v_add_nc_u32_e32 v3, 0x200, v1
	;; [unrolled: 1-line block ×12, first 2 shown]
	s_cbranch_vccz .LBB781_2
; %bb.1:
	ds_store_2addr_stride64_b32 v30, v1, v2 offset1:4
	ds_store_2addr_stride64_b32 v30, v3, v4 offset0:8 offset1:12
	ds_store_2addr_stride64_b32 v30, v5, v6 offset0:16 offset1:20
	;; [unrolled: 1-line block ×5, first 2 shown]
	ds_store_b32 v30, v13 offset:12288
	s_waitcnt lgkmcnt(0)
	s_mov_b32 s10, 0
	s_barrier
.LBB781_2:
	s_and_not1_b32 vcc_lo, exec_lo, s10
	s_add_i32 s20, s20, s16
	s_cbranch_vccnz .LBB781_4
; %bb.3:
	ds_store_2addr_stride64_b32 v30, v1, v2 offset1:4
	ds_store_2addr_stride64_b32 v30, v3, v4 offset0:8 offset1:12
	ds_store_2addr_stride64_b32 v30, v5, v6 offset0:16 offset1:20
	;; [unrolled: 1-line block ×5, first 2 shown]
	ds_store_b32 v30, v13 offset:12288
	s_waitcnt lgkmcnt(0)
	s_barrier
.LBB781_4:
	v_mul_u32_u24_e32 v33, 13, v0
	s_waitcnt lgkmcnt(0)
	buffer_gl0_inv
	v_cndmask_b32_e64 v31, 0, 1, s3
	s_sub_i32 s22, s12, s20
	s_and_not1_b32 vcc_lo, exec_lo, s3
	v_lshlrev_b32_e32 v1, 2, v33
	ds_load_2addr_b32 v[28:29], v1 offset1:1
	ds_load_2addr_b32 v[26:27], v1 offset0:2 offset1:3
	ds_load_2addr_b32 v[24:25], v1 offset0:4 offset1:5
	;; [unrolled: 1-line block ×5, first 2 shown]
	ds_load_b32 v32, v1 offset:48
	s_waitcnt lgkmcnt(0)
	s_barrier
	buffer_gl0_inv
	s_cbranch_vccnz .LBB781_6
; %bb.5:
	v_add_nc_u32_e32 v1, s5, v28
	v_add_nc_u32_e32 v2, s7, v28
	;; [unrolled: 1-line block ×5, first 2 shown]
	v_mul_lo_u32 v1, v1, s4
	v_mul_lo_u32 v2, v2, s6
	;; [unrolled: 1-line block ×4, first 2 shown]
	v_add_nc_u32_e32 v6, s7, v26
	v_add_nc_u32_e32 v7, s5, v27
	;; [unrolled: 1-line block ×3, first 2 shown]
	v_mul_lo_u32 v5, v5, s4
	v_add_nc_u32_e32 v9, s5, v22
	v_sub_nc_u32_e32 v1, v1, v2
	v_mul_lo_u32 v2, v6, s6
	v_sub_nc_u32_e32 v3, v3, v4
	v_mul_lo_u32 v4, v7, s4
	v_mul_lo_u32 v6, v8, s6
	v_add_nc_u32_e32 v7, s5, v24
	v_cmp_lt_u32_e32 vcc_lo, s2, v1
	v_add_nc_u32_e32 v8, s5, v25
	v_add_nc_u32_e32 v10, s7, v22
	v_sub_nc_u32_e32 v2, v5, v2
	v_add_nc_u32_e32 v5, s7, v24
	v_cndmask_b32_e64 v1, 0, 1, vcc_lo
	v_sub_nc_u32_e32 v4, v4, v6
	v_mul_lo_u32 v6, v7, s4
	v_add_nc_u32_e32 v7, s7, v25
	v_cmp_lt_u32_e32 vcc_lo, s2, v3
	v_mul_lo_u32 v5, v5, s6
	v_mul_lo_u32 v8, v8, s4
	;; [unrolled: 1-line block ×4, first 2 shown]
	v_cndmask_b32_e64 v3, 0, 1, vcc_lo
	v_cmp_lt_u32_e32 vcc_lo, s2, v2
	v_mul_lo_u32 v10, v10, s6
	v_add_nc_u32_e32 v11, s5, v20
	v_sub_nc_u32_e32 v5, v6, v5
	v_add_nc_u32_e32 v12, s7, v20
	v_cndmask_b32_e64 v2, 0, 1, vcc_lo
	v_sub_nc_u32_e32 v6, v8, v7
	v_add_nc_u32_e32 v7, s5, v23
	v_add_nc_u32_e32 v8, s7, v23
	v_cmp_lt_u32_e32 vcc_lo, s2, v4
	v_sub_nc_u32_e32 v9, v9, v10
	v_mul_lo_u32 v10, v11, s4
	v_mul_lo_u32 v7, v7, s4
	;; [unrolled: 1-line block ×4, first 2 shown]
	v_cndmask_b32_e64 v4, 0, 1, vcc_lo
	v_cmp_lt_u32_e32 vcc_lo, s2, v5
	v_add_nc_u32_e32 v12, s5, v21
	v_add_nc_u32_e32 v13, s7, v18
	;; [unrolled: 1-line block ×4, first 2 shown]
	v_cndmask_b32_e64 v5, 0, 1, vcc_lo
	v_cmp_lt_u32_e32 vcc_lo, s2, v6
	v_sub_nc_u32_e32 v7, v7, v8
	v_sub_nc_u32_e32 v8, v10, v11
	v_add_nc_u32_e32 v11, s7, v21
	v_mul_lo_u32 v10, v12, s4
	v_cndmask_b32_e64 v6, 0, 1, vcc_lo
	v_cmp_lt_u32_e32 vcc_lo, s2, v9
	v_add_nc_u32_e32 v12, s5, v18
	v_mul_lo_u32 v11, v11, s6
	v_mul_lo_u32 v13, v13, s6
	;; [unrolled: 1-line block ×3, first 2 shown]
	v_cndmask_b32_e64 v9, 0, 1, vcc_lo
	v_cmp_lt_u32_e32 vcc_lo, s2, v7
	v_mul_lo_u32 v12, v12, s4
	v_mul_lo_u32 v15, v15, s6
	v_lshlrev_b16 v3, 8, v3
	v_sub_nc_u32_e32 v10, v10, v11
	v_cndmask_b32_e64 v7, 0, 1, vcc_lo
	v_cmp_lt_u32_e32 vcc_lo, s2, v8
	v_add_nc_u32_e32 v11, s5, v32
	v_or_b32_e32 v1, v1, v3
	v_sub_nc_u32_e32 v12, v12, v13
	v_sub_nc_u32_e32 v13, v14, v15
	v_cndmask_b32_e64 v8, 0, 1, vcc_lo
	v_cmp_lt_u32_e32 vcc_lo, s2, v10
	v_add_nc_u32_e32 v16, s7, v32
	v_mul_lo_u32 v11, v11, s4
	v_lshlrev_b16 v4, 8, v4
	v_lshlrev_b16 v6, 8, v6
	v_cndmask_b32_e64 v10, 0, 1, vcc_lo
	v_cmp_lt_u32_e32 vcc_lo, s2, v12
	v_mul_lo_u32 v14, v16, s6
	v_lshlrev_b16 v7, 8, v7
	v_or_b32_e32 v2, v2, v4
	v_lshlrev_b16 v10, 8, v10
	v_cndmask_b32_e64 v3, 0, 1, vcc_lo
	v_cmp_lt_u32_e32 vcc_lo, s2, v13
	v_or_b32_e32 v4, v5, v6
	v_or_b32_e32 v5, v9, v7
	v_sub_nc_u32_e32 v11, v11, v14
	v_or_b32_e32 v6, v8, v10
	v_cndmask_b32_e64 v12, 0, 1, vcc_lo
	v_and_b32_e32 v1, 0xffff, v1
	v_lshlrev_b32_e32 v2, 16, v2
	v_and_b32_e32 v4, 0xffff, v4
	v_lshlrev_b32_e32 v5, 16, v5
	v_lshlrev_b16 v12, 8, v12
	v_and_b32_e32 v6, 0xffff, v6
	v_cmp_lt_u32_e32 vcc_lo, s2, v11
	v_or_b32_e32 v39, v1, v2
	v_or_b32_e32 v37, v4, v5
	;; [unrolled: 1-line block ×3, first 2 shown]
	s_mov_b32 s3, 0
	v_cndmask_b32_e64 v34, 0, 1, vcc_lo
	s_delay_alu instid0(VALU_DEP_2) | instskip(NEXT) | instid1(VALU_DEP_1)
	v_lshlrev_b32_e32 v3, 16, v3
	v_or_b32_e32 v35, v6, v3
	s_branch .LBB781_7
.LBB781_6:
	s_mov_b32 s3, -1
                                        ; implicit-def: $vgpr34
                                        ; implicit-def: $vgpr35
                                        ; implicit-def: $vgpr37
                                        ; implicit-def: $vgpr39
.LBB781_7:
	s_clause 0x1
	s_load_b64 s[10:11], s[0:1], 0x28
	s_load_b64 s[20:21], s[0:1], 0x68
	s_and_not1_b32 vcc_lo, exec_lo, s3
	s_addk_i32 s22, 0xd00
	s_cbranch_vccnz .LBB781_35
; %bb.8:
	v_dual_mov_b32 v2, 0 :: v_dual_mov_b32 v1, 0
	s_mov_b32 s0, exec_lo
	v_cmpx_gt_u32_e64 s22, v33
; %bb.9:
	v_add_nc_u32_e32 v1, s5, v28
	v_add_nc_u32_e32 v3, s7, v28
	s_delay_alu instid0(VALU_DEP_2) | instskip(NEXT) | instid1(VALU_DEP_2)
	v_mul_lo_u32 v1, v1, s4
	v_mul_lo_u32 v3, v3, s6
	s_delay_alu instid0(VALU_DEP_1) | instskip(NEXT) | instid1(VALU_DEP_1)
	v_sub_nc_u32_e32 v1, v1, v3
	v_cmp_lt_u32_e32 vcc_lo, s2, v1
	v_cndmask_b32_e64 v1, 0, 1, vcc_lo
; %bb.10:
	s_or_b32 exec_lo, exec_lo, s0
	v_add_nc_u32_e32 v3, 1, v33
	s_mov_b32 s0, exec_lo
	s_delay_alu instid0(VALU_DEP_1)
	v_cmpx_gt_u32_e64 s22, v3
; %bb.11:
	v_add_nc_u32_e32 v2, s5, v29
	v_add_nc_u32_e32 v3, s7, v29
	s_delay_alu instid0(VALU_DEP_2) | instskip(NEXT) | instid1(VALU_DEP_2)
	v_mul_lo_u32 v2, v2, s4
	v_mul_lo_u32 v3, v3, s6
	s_delay_alu instid0(VALU_DEP_1) | instskip(NEXT) | instid1(VALU_DEP_1)
	v_sub_nc_u32_e32 v2, v2, v3
	v_cmp_lt_u32_e32 vcc_lo, s2, v2
	v_cndmask_b32_e64 v2, 0, 1, vcc_lo
; %bb.12:
	s_or_b32 exec_lo, exec_lo, s0
	v_dual_mov_b32 v4, 0 :: v_dual_add_nc_u32 v3, 2, v33
	s_delay_alu instid0(VALU_DEP_1)
	v_cmp_gt_u32_e32 vcc_lo, s22, v3
	v_mov_b32_e32 v3, 0
	s_and_saveexec_b32 s0, vcc_lo
; %bb.13:
	v_add_nc_u32_e32 v3, s5, v26
	v_add_nc_u32_e32 v5, s7, v26
	s_delay_alu instid0(VALU_DEP_2) | instskip(NEXT) | instid1(VALU_DEP_2)
	v_mul_lo_u32 v3, v3, s4
	v_mul_lo_u32 v5, v5, s6
	s_delay_alu instid0(VALU_DEP_1) | instskip(NEXT) | instid1(VALU_DEP_1)
	v_sub_nc_u32_e32 v3, v3, v5
	v_cmp_lt_u32_e32 vcc_lo, s2, v3
	v_cndmask_b32_e64 v3, 0, 1, vcc_lo
; %bb.14:
	s_or_b32 exec_lo, exec_lo, s0
	v_add_nc_u32_e32 v5, 3, v33
	s_mov_b32 s0, exec_lo
	s_delay_alu instid0(VALU_DEP_1)
	v_cmpx_gt_u32_e64 s22, v5
; %bb.15:
	v_add_nc_u32_e32 v4, s5, v27
	v_add_nc_u32_e32 v5, s7, v27
	s_delay_alu instid0(VALU_DEP_2) | instskip(NEXT) | instid1(VALU_DEP_2)
	v_mul_lo_u32 v4, v4, s4
	v_mul_lo_u32 v5, v5, s6
	s_delay_alu instid0(VALU_DEP_1) | instskip(NEXT) | instid1(VALU_DEP_1)
	v_sub_nc_u32_e32 v4, v4, v5
	v_cmp_lt_u32_e32 vcc_lo, s2, v4
	v_cndmask_b32_e64 v4, 0, 1, vcc_lo
; %bb.16:
	s_or_b32 exec_lo, exec_lo, s0
	v_dual_mov_b32 v6, 0 :: v_dual_add_nc_u32 v5, 4, v33
	s_delay_alu instid0(VALU_DEP_1)
	v_cmp_gt_u32_e32 vcc_lo, s22, v5
	v_mov_b32_e32 v5, 0
	s_and_saveexec_b32 s0, vcc_lo
	;; [unrolled: 33-line block ×5, first 2 shown]
; %bb.29:
	v_add_nc_u32_e32 v11, s5, v18
	v_add_nc_u32_e32 v13, s7, v18
	s_delay_alu instid0(VALU_DEP_2) | instskip(NEXT) | instid1(VALU_DEP_2)
	v_mul_lo_u32 v11, v11, s4
	v_mul_lo_u32 v13, v13, s6
	s_delay_alu instid0(VALU_DEP_1) | instskip(NEXT) | instid1(VALU_DEP_1)
	v_sub_nc_u32_e32 v11, v11, v13
	v_cmp_lt_u32_e32 vcc_lo, s2, v11
	v_cndmask_b32_e64 v11, 0, 1, vcc_lo
; %bb.30:
	s_or_b32 exec_lo, exec_lo, s0
	v_add_nc_u32_e32 v13, 11, v33
	s_mov_b32 s0, exec_lo
	s_delay_alu instid0(VALU_DEP_1)
	v_cmpx_gt_u32_e64 s22, v13
; %bb.31:
	v_add_nc_u32_e32 v12, s5, v19
	v_add_nc_u32_e32 v13, s7, v19
	s_delay_alu instid0(VALU_DEP_2) | instskip(NEXT) | instid1(VALU_DEP_2)
	v_mul_lo_u32 v12, v12, s4
	v_mul_lo_u32 v13, v13, s6
	s_delay_alu instid0(VALU_DEP_1) | instskip(NEXT) | instid1(VALU_DEP_1)
	v_sub_nc_u32_e32 v12, v12, v13
	v_cmp_lt_u32_e32 vcc_lo, s2, v12
	v_cndmask_b32_e64 v12, 0, 1, vcc_lo
; %bb.32:
	s_or_b32 exec_lo, exec_lo, s0
	v_dual_mov_b32 v34, 0 :: v_dual_add_nc_u32 v13, 12, v33
	s_mov_b32 s0, exec_lo
	s_delay_alu instid0(VALU_DEP_1)
	v_cmpx_gt_u32_e64 s22, v13
; %bb.33:
	v_add_nc_u32_e32 v13, s5, v32
	v_add_nc_u32_e32 v14, s7, v32
	s_delay_alu instid0(VALU_DEP_2) | instskip(NEXT) | instid1(VALU_DEP_2)
	v_mul_lo_u32 v13, v13, s4
	v_mul_lo_u32 v14, v14, s6
	s_delay_alu instid0(VALU_DEP_1) | instskip(NEXT) | instid1(VALU_DEP_1)
	v_sub_nc_u32_e32 v13, v13, v14
	v_cmp_lt_u32_e32 vcc_lo, s2, v13
	v_cndmask_b32_e64 v34, 0, 1, vcc_lo
; %bb.34:
	s_or_b32 exec_lo, exec_lo, s0
	v_lshlrev_b16 v2, 8, v2
	v_lshlrev_b16 v4, 8, v4
	v_lshlrev_b16 v6, 8, v6
	v_lshlrev_b16 v8, 8, v8
	v_lshlrev_b16 v10, 8, v10
	v_or_b32_e32 v1, v1, v2
	v_lshlrev_b16 v2, 8, v12
	v_or_b32_e32 v3, v3, v4
	v_or_b32_e32 v4, v5, v6
	;; [unrolled: 1-line block ×5, first 2 shown]
	v_and_b32_e32 v1, 0xffff, v1
	v_lshlrev_b32_e32 v3, 16, v3
	v_and_b32_e32 v4, 0xffff, v4
	v_lshlrev_b32_e32 v5, 16, v5
	;; [unrolled: 2-line block ×3, first 2 shown]
	v_or_b32_e32 v39, v1, v3
	s_delay_alu instid0(VALU_DEP_4) | instskip(NEXT) | instid1(VALU_DEP_3)
	v_or_b32_e32 v37, v4, v5
	v_or_b32_e32 v35, v6, v2
.LBB781_35:
	s_delay_alu instid0(VALU_DEP_3)
	v_and_b32_e32 v41, 0xff, v39
	v_bfe_u32 v42, v39, 8, 8
	v_bfe_u32 v43, v39, 16, 8
	v_lshrrev_b32_e32 v40, 24, v39
	v_and_b32_e32 v44, 0xff, v37
	v_bfe_u32 v45, v37, 8, 8
	v_bfe_u32 v46, v37, 16, 8
	v_add3_u32 v1, v42, v41, v43
	v_lshrrev_b32_e32 v38, 24, v37
	v_and_b32_e32 v47, 0xff, v35
	v_bfe_u32 v48, v35, 8, 8
	v_mbcnt_lo_u32_b32 v50, -1, 0
	v_add3_u32 v1, v1, v40, v44
	v_bfe_u32 v49, v35, 16, 8
	v_lshrrev_b32_e32 v36, 24, v35
	v_and_b32_e32 v2, 0xff, v34
	v_and_b32_e32 v3, 15, v50
	v_add3_u32 v1, v1, v45, v46
	v_or_b32_e32 v4, 31, v0
	v_and_b32_e32 v5, 16, v50
	v_lshrrev_b32_e32 v51, 5, v0
	v_cmp_eq_u32_e64 s5, 0, v3
	v_add3_u32 v1, v1, v38, v47
	v_cmp_lt_u32_e64 s4, 1, v3
	v_cmp_lt_u32_e64 s3, 3, v3
	;; [unrolled: 1-line block ×3, first 2 shown]
	v_cmp_eq_u32_e64 s1, 0, v5
	v_add3_u32 v1, v1, v48, v49
	v_cmp_eq_u32_e64 s0, v4, v0
	s_cmp_lg_u32 s15, 0
	s_mov_b32 s6, -1
	s_delay_alu instid0(VALU_DEP_2)
	v_add3_u32 v52, v1, v36, v2
	s_cbranch_scc0 .LBB781_61
; %bb.36:
	s_delay_alu instid0(VALU_DEP_1) | instskip(NEXT) | instid1(VALU_DEP_1)
	v_mov_b32_dpp v1, v52 row_shr:1 row_mask:0xf bank_mask:0xf
	v_cndmask_b32_e64 v1, v1, 0, s5
	s_delay_alu instid0(VALU_DEP_1) | instskip(NEXT) | instid1(VALU_DEP_1)
	v_add_nc_u32_e32 v1, v1, v52
	v_mov_b32_dpp v2, v1 row_shr:2 row_mask:0xf bank_mask:0xf
	s_delay_alu instid0(VALU_DEP_1) | instskip(NEXT) | instid1(VALU_DEP_1)
	v_cndmask_b32_e64 v2, 0, v2, s4
	v_add_nc_u32_e32 v1, v1, v2
	s_delay_alu instid0(VALU_DEP_1) | instskip(NEXT) | instid1(VALU_DEP_1)
	v_mov_b32_dpp v2, v1 row_shr:4 row_mask:0xf bank_mask:0xf
	v_cndmask_b32_e64 v2, 0, v2, s3
	s_delay_alu instid0(VALU_DEP_1) | instskip(NEXT) | instid1(VALU_DEP_1)
	v_add_nc_u32_e32 v1, v1, v2
	v_mov_b32_dpp v2, v1 row_shr:8 row_mask:0xf bank_mask:0xf
	s_delay_alu instid0(VALU_DEP_1) | instskip(NEXT) | instid1(VALU_DEP_1)
	v_cndmask_b32_e64 v2, 0, v2, s2
	v_add_nc_u32_e32 v1, v1, v2
	ds_swizzle_b32 v2, v1 offset:swizzle(BROADCAST,32,15)
	s_waitcnt lgkmcnt(0)
	v_cndmask_b32_e64 v2, v2, 0, s1
	s_delay_alu instid0(VALU_DEP_1)
	v_add_nc_u32_e32 v1, v1, v2
	s_and_saveexec_b32 s6, s0
	s_cbranch_execz .LBB781_38
; %bb.37:
	v_lshlrev_b32_e32 v2, 2, v51
	ds_store_b32 v2, v1
.LBB781_38:
	s_or_b32 exec_lo, exec_lo, s6
	s_delay_alu instid0(SALU_CYCLE_1)
	s_mov_b32 s6, exec_lo
	s_waitcnt lgkmcnt(0)
	s_barrier
	buffer_gl0_inv
	v_cmpx_gt_u32_e32 8, v0
	s_cbranch_execz .LBB781_40
; %bb.39:
	ds_load_b32 v2, v30
	s_waitcnt lgkmcnt(0)
	v_mov_b32_dpp v4, v2 row_shr:1 row_mask:0xf bank_mask:0xf
	v_and_b32_e32 v3, 7, v50
	s_delay_alu instid0(VALU_DEP_1) | instskip(NEXT) | instid1(VALU_DEP_3)
	v_cmp_ne_u32_e32 vcc_lo, 0, v3
	v_cndmask_b32_e32 v4, 0, v4, vcc_lo
	v_cmp_lt_u32_e32 vcc_lo, 1, v3
	s_delay_alu instid0(VALU_DEP_2) | instskip(NEXT) | instid1(VALU_DEP_1)
	v_add_nc_u32_e32 v2, v4, v2
	v_mov_b32_dpp v4, v2 row_shr:2 row_mask:0xf bank_mask:0xf
	s_delay_alu instid0(VALU_DEP_1) | instskip(SKIP_1) | instid1(VALU_DEP_2)
	v_cndmask_b32_e32 v4, 0, v4, vcc_lo
	v_cmp_lt_u32_e32 vcc_lo, 3, v3
	v_add_nc_u32_e32 v2, v2, v4
	s_delay_alu instid0(VALU_DEP_1) | instskip(NEXT) | instid1(VALU_DEP_1)
	v_mov_b32_dpp v4, v2 row_shr:4 row_mask:0xf bank_mask:0xf
	v_cndmask_b32_e32 v3, 0, v4, vcc_lo
	s_delay_alu instid0(VALU_DEP_1)
	v_add_nc_u32_e32 v2, v2, v3
	ds_store_b32 v30, v2
.LBB781_40:
	s_or_b32 exec_lo, exec_lo, s6
	v_cmp_gt_u32_e32 vcc_lo, 32, v0
	s_mov_b32 s7, exec_lo
	s_waitcnt lgkmcnt(0)
	s_barrier
	buffer_gl0_inv
                                        ; implicit-def: $vgpr8
	v_cmpx_lt_u32_e32 31, v0
	s_cbranch_execz .LBB781_42
; %bb.41:
	v_lshl_add_u32 v2, v51, 2, -4
	ds_load_b32 v8, v2
	s_waitcnt lgkmcnt(0)
	v_add_nc_u32_e32 v1, v8, v1
.LBB781_42:
	s_or_b32 exec_lo, exec_lo, s7
	v_add_nc_u32_e32 v2, -1, v50
	s_delay_alu instid0(VALU_DEP_1) | instskip(NEXT) | instid1(VALU_DEP_1)
	v_cmp_gt_i32_e64 s6, 0, v2
	v_cndmask_b32_e64 v2, v2, v50, s6
	v_cmp_eq_u32_e64 s6, 0, v50
	s_delay_alu instid0(VALU_DEP_2)
	v_lshlrev_b32_e32 v2, 2, v2
	ds_bpermute_b32 v9, v2, v1
	s_and_saveexec_b32 s7, vcc_lo
	s_cbranch_execz .LBB781_60
; %bb.43:
	v_mov_b32_e32 v4, 0
	ds_load_b32 v1, v4 offset:28
	s_and_saveexec_b32 s24, s6
	s_cbranch_execz .LBB781_45
; %bb.44:
	s_add_i32 s26, s15, 32
	s_mov_b32 s27, 0
	v_mov_b32_e32 v2, 1
	s_lshl_b64 s[26:27], s[26:27], 3
	s_delay_alu instid0(SALU_CYCLE_1)
	s_add_u32 s26, s20, s26
	s_addc_u32 s27, s21, s27
	s_waitcnt lgkmcnt(0)
	global_store_b64 v4, v[1:2], s[26:27]
.LBB781_45:
	s_or_b32 exec_lo, exec_lo, s24
	v_xad_u32 v2, v50, -1, s15
	s_mov_b32 s25, 0
	s_mov_b32 s24, exec_lo
	s_delay_alu instid0(VALU_DEP_1) | instskip(NEXT) | instid1(VALU_DEP_1)
	v_add_nc_u32_e32 v3, 32, v2
	v_lshlrev_b64 v[3:4], 3, v[3:4]
	s_delay_alu instid0(VALU_DEP_1) | instskip(NEXT) | instid1(VALU_DEP_2)
	v_add_co_u32 v6, vcc_lo, s20, v3
	v_add_co_ci_u32_e32 v7, vcc_lo, s21, v4, vcc_lo
	global_load_b64 v[4:5], v[6:7], off glc
	s_waitcnt vmcnt(0)
	v_and_b32_e32 v3, 0xff, v5
	s_delay_alu instid0(VALU_DEP_1)
	v_cmpx_eq_u16_e32 0, v3
	s_cbranch_execz .LBB781_48
.LBB781_46:                             ; =>This Inner Loop Header: Depth=1
	global_load_b64 v[4:5], v[6:7], off glc
	s_waitcnt vmcnt(0)
	v_and_b32_e32 v3, 0xff, v5
	s_delay_alu instid0(VALU_DEP_1) | instskip(SKIP_1) | instid1(SALU_CYCLE_1)
	v_cmp_ne_u16_e32 vcc_lo, 0, v3
	s_or_b32 s25, vcc_lo, s25
	s_and_not1_b32 exec_lo, exec_lo, s25
	s_cbranch_execnz .LBB781_46
; %bb.47:
	s_or_b32 exec_lo, exec_lo, s25
.LBB781_48:
	s_delay_alu instid0(SALU_CYCLE_1)
	s_or_b32 exec_lo, exec_lo, s24
	v_cmp_ne_u32_e32 vcc_lo, 31, v50
	v_lshlrev_b32_e64 v11, v50, -1
	v_add_nc_u32_e32 v13, 2, v50
	v_add_nc_u32_e32 v16, 4, v50
	;; [unrolled: 1-line block ×3, first 2 shown]
	v_add_co_ci_u32_e32 v3, vcc_lo, 0, v50, vcc_lo
	v_add_nc_u32_e32 v55, 16, v50
	s_delay_alu instid0(VALU_DEP_2) | instskip(SKIP_2) | instid1(VALU_DEP_1)
	v_lshlrev_b32_e32 v10, 2, v3
	ds_bpermute_b32 v6, v10, v4
	v_and_b32_e32 v3, 0xff, v5
	v_cmp_eq_u16_e32 vcc_lo, 2, v3
	v_and_or_b32 v3, vcc_lo, v11, 0x80000000
	v_cmp_gt_u32_e32 vcc_lo, 30, v50
	s_delay_alu instid0(VALU_DEP_2) | instskip(SKIP_1) | instid1(VALU_DEP_2)
	v_ctz_i32_b32_e32 v3, v3
	v_cndmask_b32_e64 v7, 0, 1, vcc_lo
	v_cmp_lt_u32_e32 vcc_lo, v50, v3
	s_waitcnt lgkmcnt(0)
	s_delay_alu instid0(VALU_DEP_2) | instskip(NEXT) | instid1(VALU_DEP_1)
	v_dual_cndmask_b32 v6, 0, v6 :: v_dual_lshlrev_b32 v7, 1, v7
	v_add_lshl_u32 v12, v7, v50, 2
	v_cmp_gt_u32_e32 vcc_lo, 28, v50
	s_delay_alu instid0(VALU_DEP_3) | instskip(SKIP_4) | instid1(VALU_DEP_1)
	v_add_nc_u32_e32 v4, v6, v4
	v_cndmask_b32_e64 v7, 0, 1, vcc_lo
	v_cmp_le_u32_e32 vcc_lo, v13, v3
	ds_bpermute_b32 v6, v12, v4
	v_lshlrev_b32_e32 v7, 2, v7
	v_add_lshl_u32 v14, v7, v50, 2
	s_waitcnt lgkmcnt(0)
	v_cndmask_b32_e32 v6, 0, v6, vcc_lo
	v_cmp_gt_u32_e32 vcc_lo, 24, v50
	s_delay_alu instid0(VALU_DEP_2) | instskip(SKIP_4) | instid1(VALU_DEP_1)
	v_add_nc_u32_e32 v4, v4, v6
	v_cndmask_b32_e64 v7, 0, 1, vcc_lo
	v_cmp_le_u32_e32 vcc_lo, v16, v3
	ds_bpermute_b32 v6, v14, v4
	v_lshlrev_b32_e32 v7, 3, v7
	v_add_lshl_u32 v17, v7, v50, 2
	s_waitcnt lgkmcnt(0)
	v_cndmask_b32_e32 v6, 0, v6, vcc_lo
	v_cmp_gt_u32_e32 vcc_lo, 16, v50
	s_delay_alu instid0(VALU_DEP_2) | instskip(SKIP_4) | instid1(VALU_DEP_1)
	v_add_nc_u32_e32 v4, v4, v6
	v_cndmask_b32_e64 v7, 0, 1, vcc_lo
	v_cmp_le_u32_e32 vcc_lo, v53, v3
	ds_bpermute_b32 v6, v17, v4
	v_lshlrev_b32_e32 v7, 4, v7
	v_add_lshl_u32 v54, v7, v50, 2
	s_waitcnt lgkmcnt(0)
	v_cndmask_b32_e32 v6, 0, v6, vcc_lo
	v_cmp_le_u32_e32 vcc_lo, v55, v3
	s_delay_alu instid0(VALU_DEP_2) | instskip(SKIP_3) | instid1(VALU_DEP_1)
	v_add_nc_u32_e32 v4, v4, v6
	ds_bpermute_b32 v6, v54, v4
	s_waitcnt lgkmcnt(0)
	v_cndmask_b32_e32 v3, 0, v6, vcc_lo
	v_dual_mov_b32 v3, 0 :: v_dual_add_nc_u32 v4, v4, v3
	s_branch .LBB781_50
.LBB781_49:                             ;   in Loop: Header=BB781_50 Depth=1
	s_or_b32 exec_lo, exec_lo, s24
	ds_bpermute_b32 v7, v10, v4
	v_and_b32_e32 v6, 0xff, v5
	v_subrev_nc_u32_e32 v2, 32, v2
	s_delay_alu instid0(VALU_DEP_2) | instskip(SKIP_1) | instid1(VALU_DEP_1)
	v_cmp_eq_u16_e32 vcc_lo, 2, v6
	v_and_or_b32 v6, vcc_lo, v11, 0x80000000
	v_ctz_i32_b32_e32 v6, v6
	s_delay_alu instid0(VALU_DEP_1) | instskip(SKIP_3) | instid1(VALU_DEP_2)
	v_cmp_lt_u32_e32 vcc_lo, v50, v6
	s_waitcnt lgkmcnt(0)
	v_cndmask_b32_e32 v7, 0, v7, vcc_lo
	v_cmp_le_u32_e32 vcc_lo, v13, v6
	v_add_nc_u32_e32 v4, v7, v4
	ds_bpermute_b32 v7, v12, v4
	s_waitcnt lgkmcnt(0)
	v_cndmask_b32_e32 v7, 0, v7, vcc_lo
	v_cmp_le_u32_e32 vcc_lo, v16, v6
	s_delay_alu instid0(VALU_DEP_2) | instskip(SKIP_4) | instid1(VALU_DEP_2)
	v_add_nc_u32_e32 v4, v4, v7
	ds_bpermute_b32 v7, v14, v4
	s_waitcnt lgkmcnt(0)
	v_cndmask_b32_e32 v7, 0, v7, vcc_lo
	v_cmp_le_u32_e32 vcc_lo, v53, v6
	v_add_nc_u32_e32 v4, v4, v7
	ds_bpermute_b32 v7, v17, v4
	s_waitcnt lgkmcnt(0)
	v_cndmask_b32_e32 v7, 0, v7, vcc_lo
	v_cmp_le_u32_e32 vcc_lo, v55, v6
	s_delay_alu instid0(VALU_DEP_2) | instskip(SKIP_3) | instid1(VALU_DEP_1)
	v_add_nc_u32_e32 v4, v4, v7
	ds_bpermute_b32 v7, v54, v4
	s_waitcnt lgkmcnt(0)
	v_cndmask_b32_e32 v6, 0, v7, vcc_lo
	v_add3_u32 v4, v6, v15, v4
.LBB781_50:                             ; =>This Loop Header: Depth=1
                                        ;     Child Loop BB781_53 Depth 2
	v_and_b32_e32 v5, 0xff, v5
	s_delay_alu instid0(VALU_DEP_2) | instskip(NEXT) | instid1(VALU_DEP_2)
	v_mov_b32_e32 v15, v4
	v_cmp_ne_u16_e32 vcc_lo, 2, v5
	v_cndmask_b32_e64 v5, 0, 1, vcc_lo
	;;#ASMSTART
	;;#ASMEND
	s_delay_alu instid0(VALU_DEP_1)
	v_cmp_ne_u32_e32 vcc_lo, 0, v5
	s_cmp_lg_u32 vcc_lo, exec_lo
	s_cbranch_scc1 .LBB781_55
; %bb.51:                               ;   in Loop: Header=BB781_50 Depth=1
	v_lshlrev_b64 v[4:5], 3, v[2:3]
	s_mov_b32 s24, exec_lo
	s_delay_alu instid0(VALU_DEP_1) | instskip(NEXT) | instid1(VALU_DEP_2)
	v_add_co_u32 v6, vcc_lo, s20, v4
	v_add_co_ci_u32_e32 v7, vcc_lo, s21, v5, vcc_lo
	global_load_b64 v[4:5], v[6:7], off glc
	s_waitcnt vmcnt(0)
	v_and_b32_e32 v56, 0xff, v5
	s_delay_alu instid0(VALU_DEP_1)
	v_cmpx_eq_u16_e32 0, v56
	s_cbranch_execz .LBB781_49
; %bb.52:                               ;   in Loop: Header=BB781_50 Depth=1
	s_mov_b32 s25, 0
.LBB781_53:                             ;   Parent Loop BB781_50 Depth=1
                                        ; =>  This Inner Loop Header: Depth=2
	global_load_b64 v[4:5], v[6:7], off glc
	s_waitcnt vmcnt(0)
	v_and_b32_e32 v56, 0xff, v5
	s_delay_alu instid0(VALU_DEP_1) | instskip(SKIP_1) | instid1(SALU_CYCLE_1)
	v_cmp_ne_u16_e32 vcc_lo, 0, v56
	s_or_b32 s25, vcc_lo, s25
	s_and_not1_b32 exec_lo, exec_lo, s25
	s_cbranch_execnz .LBB781_53
; %bb.54:                               ;   in Loop: Header=BB781_50 Depth=1
	s_or_b32 exec_lo, exec_lo, s25
	s_branch .LBB781_49
.LBB781_55:                             ;   in Loop: Header=BB781_50 Depth=1
                                        ; implicit-def: $vgpr4
                                        ; implicit-def: $vgpr5
	s_cbranch_execz .LBB781_50
; %bb.56:
	s_and_saveexec_b32 s24, s6
	s_cbranch_execz .LBB781_58
; %bb.57:
	s_add_i32 s26, s15, 32
	s_mov_b32 s27, 0
	v_dual_mov_b32 v3, 2 :: v_dual_add_nc_u32 v2, v15, v1
	s_lshl_b64 s[26:27], s[26:27], 3
	v_mov_b32_e32 v4, 0
	v_add_nc_u32_e64 v5, 0x3400, 0
	s_add_u32 s26, s20, s26
	s_addc_u32 s27, s21, s27
	global_store_b64 v4, v[2:3], s[26:27]
	ds_store_2addr_b32 v5, v1, v15 offset1:2
.LBB781_58:
	s_or_b32 exec_lo, exec_lo, s24
	v_cmp_eq_u32_e32 vcc_lo, 0, v0
	s_and_b32 exec_lo, exec_lo, vcc_lo
	s_cbranch_execz .LBB781_60
; %bb.59:
	v_mov_b32_e32 v1, 0
	ds_store_b32 v1, v15 offset:28
.LBB781_60:
	s_or_b32 exec_lo, exec_lo, s7
	s_waitcnt lgkmcnt(0)
	v_cndmask_b32_e64 v2, v9, v8, s6
	v_cmp_ne_u32_e32 vcc_lo, 0, v0
	v_mov_b32_e32 v1, 0
	s_waitcnt_vscnt null, 0x0
	s_barrier
	buffer_gl0_inv
	v_cndmask_b32_e32 v2, 0, v2, vcc_lo
	ds_load_b32 v1, v1 offset:28
	v_add_nc_u32_e64 v11, 0x3400, 0
	s_waitcnt lgkmcnt(0)
	s_barrier
	buffer_gl0_inv
	ds_load_2addr_b32 v[16:17], v11 offset1:2
	v_add_nc_u32_e32 v1, v1, v2
	s_delay_alu instid0(VALU_DEP_1) | instskip(NEXT) | instid1(VALU_DEP_1)
	v_add_nc_u32_e32 v2, v1, v41
	v_add_nc_u32_e32 v3, v2, v42
	s_delay_alu instid0(VALU_DEP_1) | instskip(NEXT) | instid1(VALU_DEP_1)
	v_add_nc_u32_e32 v4, v3, v43
	;; [unrolled: 3-line block ×6, first 2 shown]
	v_add_nc_u32_e32 v13, v12, v36
	s_branch .LBB781_71
.LBB781_61:
                                        ; implicit-def: $vgpr17
                                        ; implicit-def: $vgpr1_vgpr2_vgpr3_vgpr4_vgpr5_vgpr6_vgpr7_vgpr8_vgpr9_vgpr10_vgpr11_vgpr12_vgpr13_vgpr14_vgpr15_vgpr16
	s_and_b32 vcc_lo, exec_lo, s6
	s_cbranch_vccz .LBB781_71
; %bb.62:
	s_delay_alu instid0(VALU_DEP_1) | instskip(NEXT) | instid1(VALU_DEP_1)
	v_mov_b32_dpp v1, v52 row_shr:1 row_mask:0xf bank_mask:0xf
	v_cndmask_b32_e64 v1, v1, 0, s5
	s_delay_alu instid0(VALU_DEP_1) | instskip(NEXT) | instid1(VALU_DEP_1)
	v_add_nc_u32_e32 v1, v1, v52
	v_mov_b32_dpp v2, v1 row_shr:2 row_mask:0xf bank_mask:0xf
	s_delay_alu instid0(VALU_DEP_1) | instskip(NEXT) | instid1(VALU_DEP_1)
	v_cndmask_b32_e64 v2, 0, v2, s4
	v_add_nc_u32_e32 v1, v1, v2
	s_delay_alu instid0(VALU_DEP_1) | instskip(NEXT) | instid1(VALU_DEP_1)
	v_mov_b32_dpp v2, v1 row_shr:4 row_mask:0xf bank_mask:0xf
	v_cndmask_b32_e64 v2, 0, v2, s3
	s_delay_alu instid0(VALU_DEP_1) | instskip(NEXT) | instid1(VALU_DEP_1)
	v_add_nc_u32_e32 v1, v1, v2
	v_mov_b32_dpp v2, v1 row_shr:8 row_mask:0xf bank_mask:0xf
	s_delay_alu instid0(VALU_DEP_1) | instskip(NEXT) | instid1(VALU_DEP_1)
	v_cndmask_b32_e64 v2, 0, v2, s2
	v_add_nc_u32_e32 v1, v1, v2
	ds_swizzle_b32 v2, v1 offset:swizzle(BROADCAST,32,15)
	s_waitcnt lgkmcnt(0)
	v_cndmask_b32_e64 v2, v2, 0, s1
	s_delay_alu instid0(VALU_DEP_1)
	v_add_nc_u32_e32 v1, v1, v2
	s_and_saveexec_b32 s1, s0
	s_cbranch_execz .LBB781_64
; %bb.63:
	v_lshlrev_b32_e32 v2, 2, v51
	ds_store_b32 v2, v1
.LBB781_64:
	s_or_b32 exec_lo, exec_lo, s1
	s_delay_alu instid0(SALU_CYCLE_1)
	s_mov_b32 s0, exec_lo
	s_waitcnt lgkmcnt(0)
	s_barrier
	buffer_gl0_inv
	v_cmpx_gt_u32_e32 8, v0
	s_cbranch_execz .LBB781_66
; %bb.65:
	ds_load_b32 v2, v30
	s_waitcnt lgkmcnt(0)
	v_mov_b32_dpp v4, v2 row_shr:1 row_mask:0xf bank_mask:0xf
	v_and_b32_e32 v3, 7, v50
	s_delay_alu instid0(VALU_DEP_1) | instskip(NEXT) | instid1(VALU_DEP_3)
	v_cmp_ne_u32_e32 vcc_lo, 0, v3
	v_cndmask_b32_e32 v4, 0, v4, vcc_lo
	v_cmp_lt_u32_e32 vcc_lo, 1, v3
	s_delay_alu instid0(VALU_DEP_2) | instskip(NEXT) | instid1(VALU_DEP_1)
	v_add_nc_u32_e32 v2, v4, v2
	v_mov_b32_dpp v4, v2 row_shr:2 row_mask:0xf bank_mask:0xf
	s_delay_alu instid0(VALU_DEP_1) | instskip(SKIP_1) | instid1(VALU_DEP_2)
	v_cndmask_b32_e32 v4, 0, v4, vcc_lo
	v_cmp_lt_u32_e32 vcc_lo, 3, v3
	v_add_nc_u32_e32 v2, v2, v4
	s_delay_alu instid0(VALU_DEP_1) | instskip(NEXT) | instid1(VALU_DEP_1)
	v_mov_b32_dpp v4, v2 row_shr:4 row_mask:0xf bank_mask:0xf
	v_cndmask_b32_e32 v3, 0, v4, vcc_lo
	s_delay_alu instid0(VALU_DEP_1)
	v_add_nc_u32_e32 v2, v2, v3
	ds_store_b32 v30, v2
.LBB781_66:
	s_or_b32 exec_lo, exec_lo, s0
	v_dual_mov_b32 v3, 0 :: v_dual_mov_b32 v2, 0
	s_mov_b32 s0, exec_lo
	s_waitcnt lgkmcnt(0)
	s_barrier
	buffer_gl0_inv
	v_cmpx_lt_u32_e32 31, v0
	s_cbranch_execz .LBB781_68
; %bb.67:
	v_lshl_add_u32 v2, v51, 2, -4
	ds_load_b32 v2, v2
.LBB781_68:
	s_or_b32 exec_lo, exec_lo, s0
	v_add_nc_u32_e32 v4, -1, v50
	ds_load_b32 v16, v3 offset:28
	s_waitcnt lgkmcnt(1)
	v_add_nc_u32_e32 v1, v2, v1
	v_cmp_gt_i32_e32 vcc_lo, 0, v4
	v_cndmask_b32_e32 v4, v4, v50, vcc_lo
	v_cmp_eq_u32_e32 vcc_lo, 0, v0
	s_delay_alu instid0(VALU_DEP_2)
	v_lshlrev_b32_e32 v4, 2, v4
	ds_bpermute_b32 v1, v4, v1
	s_and_saveexec_b32 s0, vcc_lo
	s_cbranch_execz .LBB781_70
; %bb.69:
	v_mov_b32_e32 v3, 0
	v_mov_b32_e32 v17, 2
	s_waitcnt lgkmcnt(1)
	global_store_b64 v3, v[16:17], s[20:21] offset:256
.LBB781_70:
	s_or_b32 exec_lo, exec_lo, s0
	v_cmp_eq_u32_e64 s0, 0, v50
	s_waitcnt lgkmcnt(0)
	s_waitcnt_vscnt null, 0x0
	s_barrier
	buffer_gl0_inv
	v_mov_b32_e32 v17, 0
	v_cndmask_b32_e64 v1, v1, v2, s0
	s_delay_alu instid0(VALU_DEP_1) | instskip(NEXT) | instid1(VALU_DEP_1)
	v_cndmask_b32_e64 v1, v1, 0, vcc_lo
	v_add_nc_u32_e32 v2, v1, v41
	s_delay_alu instid0(VALU_DEP_1) | instskip(NEXT) | instid1(VALU_DEP_1)
	v_add_nc_u32_e32 v3, v2, v42
	v_add_nc_u32_e32 v4, v3, v43
	s_delay_alu instid0(VALU_DEP_1) | instskip(NEXT) | instid1(VALU_DEP_1)
	v_add_nc_u32_e32 v5, v4, v40
	;; [unrolled: 3-line block ×5, first 2 shown]
	v_add_nc_u32_e32 v12, v11, v49
	s_delay_alu instid0(VALU_DEP_1)
	v_add_nc_u32_e32 v13, v12, v36
.LBB781_71:
	v_lshrrev_b32_e32 v44, 8, v39
	v_lshrrev_b32_e32 v43, 16, v39
	s_waitcnt lgkmcnt(0)
	v_sub_nc_u32_e32 v1, v1, v17
	v_and_b32_e32 v39, 1, v39
	v_sub_nc_u32_e32 v3, v3, v17
	v_add_nc_u32_e32 v33, v16, v33
	v_sub_nc_u32_e32 v2, v2, v17
	v_sub_nc_u32_e32 v4, v4, v17
	v_cmp_eq_u32_e32 vcc_lo, 1, v39
	v_and_b32_e32 v39, 1, v43
	v_sub_nc_u32_e32 v45, v33, v1
	v_and_b32_e32 v44, 1, v44
	v_sub_nc_u32_e32 v43, v33, v2
	v_lshrrev_b32_e32 v42, 8, v37
	v_lshrrev_b32_e32 v41, 16, v37
	v_cndmask_b32_e32 v1, v45, v1, vcc_lo
	v_sub_nc_u32_e32 v45, v33, v3
	v_add_nc_u32_e32 v43, 1, v43
	v_cmp_eq_u32_e32 vcc_lo, 1, v44
	v_and_b32_e32 v40, 1, v40
	v_lshlrev_b32_e32 v1, 2, v1
	v_add_nc_u32_e32 v45, 2, v45
	v_lshrrev_b32_e32 v15, 8, v35
	v_lshrrev_b32_e32 v14, 16, v35
	ds_store_b32 v1, v28
	v_cndmask_b32_e32 v1, v43, v2, vcc_lo
	v_cmp_eq_u32_e32 vcc_lo, 1, v39
	v_or_b32_e32 v28, 0x500, v0
	s_delay_alu instid0(VALU_DEP_3)
	v_dual_cndmask_b32 v2, v45, v3 :: v_dual_lshlrev_b32 v1, 2, v1
	v_sub_nc_u32_e32 v46, v33, v4
	v_cmp_eq_u32_e32 vcc_lo, 1, v40
	ds_store_b32 v1, v29
	v_lshlrev_b32_e32 v2, 2, v2
	v_add_nc_u32_e32 v46, 3, v46
	v_or_b32_e32 v29, 0x400, v0
	s_delay_alu instid0(VALU_DEP_2) | instskip(SKIP_2) | instid1(VALU_DEP_3)
	v_cndmask_b32_e32 v3, v46, v4, vcc_lo
	v_sub_nc_u32_e32 v4, v5, v17
	v_sub_nc_u32_e32 v5, v6, v17
	v_lshlrev_b32_e32 v3, 2, v3
	s_delay_alu instid0(VALU_DEP_3) | instskip(NEXT) | instid1(VALU_DEP_3)
	v_sub_nc_u32_e32 v1, v33, v4
	v_sub_nc_u32_e32 v6, v33, v5
	ds_store_b32 v2, v26
	ds_store_b32 v3, v27
	v_and_b32_e32 v2, 1, v37
	v_add_nc_u32_e32 v1, 4, v1
	v_add_nc_u32_e32 v3, 5, v6
	v_sub_nc_u32_e32 v6, v7, v17
	v_and_b32_e32 v7, 1, v42
	v_cmp_eq_u32_e32 vcc_lo, 1, v2
	v_sub_nc_u32_e32 v2, v8, v17
	v_and_b32_e32 v8, 1, v38
	v_or_b32_e32 v27, 0x600, v0
	v_or_b32_e32 v26, 0x700, v0
	v_cndmask_b32_e32 v1, v1, v4, vcc_lo
	v_sub_nc_u32_e32 v4, v33, v6
	v_cmp_eq_u32_e32 vcc_lo, 1, v7
	v_and_b32_e32 v7, 1, v41
	s_delay_alu instid0(VALU_DEP_4) | instskip(NEXT) | instid1(VALU_DEP_4)
	v_lshlrev_b32_e32 v1, 2, v1
	v_dual_cndmask_b32 v3, v3, v5 :: v_dual_add_nc_u32 v4, 6, v4
	v_sub_nc_u32_e32 v5, v33, v2
	s_delay_alu instid0(VALU_DEP_4) | instskip(SKIP_1) | instid1(VALU_DEP_4)
	v_cmp_eq_u32_e32 vcc_lo, 1, v7
	v_sub_nc_u32_e32 v7, v13, v17
	v_lshlrev_b32_e32 v3, 2, v3
	s_delay_alu instid0(VALU_DEP_4)
	v_dual_cndmask_b32 v4, v4, v6 :: v_dual_add_nc_u32 v5, 7, v5
	v_cmp_eq_u32_e32 vcc_lo, 1, v8
	v_sub_nc_u32_e32 v6, v9, v17
	ds_store_b32 v1, v24
	ds_store_b32 v3, v25
	v_or_b32_e32 v25, 0x800, v0
	v_dual_cndmask_b32 v2, v5, v2 :: v_dual_lshlrev_b32 v3, 2, v4
	v_and_b32_e32 v5, 1, v35
	v_sub_nc_u32_e32 v1, v33, v6
	v_sub_nc_u32_e32 v4, v10, v17
	v_and_b32_e32 v10, 1, v36
	v_or_b32_e32 v24, 0x900, v0
	v_cmp_eq_u32_e32 vcc_lo, 1, v5
	v_sub_nc_u32_e32 v5, v12, v17
	v_add_nc_u32_e32 v1, 8, v1
	s_delay_alu instid0(VALU_DEP_2) | instskip(NEXT) | instid1(VALU_DEP_2)
	v_sub_nc_u32_e32 v9, v33, v5
	v_dual_cndmask_b32 v1, v1, v6 :: v_dual_and_b32 v6, 1, v15
	v_add_co_u32 v15, s0, s18, v17
	s_delay_alu instid0(VALU_DEP_3)
	v_add_nc_u32_e32 v9, 11, v9
	v_lshlrev_b32_e32 v2, 2, v2
	ds_store_b32 v3, v22
	ds_store_b32 v2, v23
	v_sub_nc_u32_e32 v3, v11, v17
	v_sub_nc_u32_e32 v2, v33, v4
	v_cmp_eq_u32_e32 vcc_lo, 1, v6
	v_and_b32_e32 v11, 1, v34
	v_lshlrev_b32_e32 v1, 2, v1
	v_sub_nc_u32_e32 v8, v33, v3
	v_add_nc_u32_e32 v2, 9, v2
	v_add_co_ci_u32_e64 v17, null, s19, 0, s0
	s_add_u32 s0, s16, s23
	s_delay_alu instid0(VALU_DEP_3)
	v_add_nc_u32_e32 v6, 10, v8
	v_and_b32_e32 v8, 1, v14
	v_cndmask_b32_e32 v2, v2, v4, vcc_lo
	v_sub_nc_u32_e32 v4, v33, v7
	s_addc_u32 s1, s17, 0
	s_sub_u32 s0, s12, s0
	v_cmp_eq_u32_e32 vcc_lo, 1, v8
	v_lshlrev_b32_e32 v2, 2, v2
	v_add_nc_u32_e32 v4, 12, v4
	s_subb_u32 s1, s13, s1
	v_add_co_u32 v13, s0, s0, v16
	v_cndmask_b32_e32 v3, v6, v3, vcc_lo
	v_cmp_eq_u32_e32 vcc_lo, 1, v10
	v_add_co_ci_u32_e64 v14, null, s1, 0, s0
	v_or_b32_e32 v34, 0x100, v0
	s_delay_alu instid0(VALU_DEP_4)
	v_lshlrev_b32_e32 v3, 2, v3
	v_cndmask_b32_e32 v5, v9, v5, vcc_lo
	v_cmp_eq_u32_e32 vcc_lo, 1, v11
	v_or_b32_e32 v33, 0x200, v0
	v_or_b32_e32 v23, 0xa00, v0
	v_or_b32_e32 v22, 0xb00, v0
	v_dual_cndmask_b32 v4, v4, v7 :: v_dual_lshlrev_b32 v5, 2, v5
	v_cmp_ne_u32_e32 vcc_lo, 1, v31
	s_delay_alu instid0(VALU_DEP_2)
	v_lshlrev_b32_e32 v4, 2, v4
	ds_store_b32 v1, v20
	ds_store_b32 v2, v21
	;; [unrolled: 1-line block ×5, first 2 shown]
	s_waitcnt lgkmcnt(0)
	s_barrier
	buffer_gl0_inv
	ds_load_2addr_stride64_b32 v[11:12], v30 offset1:4
	ds_load_2addr_stride64_b32 v[9:10], v30 offset0:8 offset1:12
	ds_load_2addr_stride64_b32 v[7:8], v30 offset0:16 offset1:20
	;; [unrolled: 1-line block ×5, first 2 shown]
	ds_load_b32 v18, v30 offset:12288
	v_add_co_u32 v20, s0, v13, v15
	v_or_b32_e32 v32, 0x300, v0
	v_or_b32_e32 v19, 0xc00, v0
	v_add_co_ci_u32_e64 v21, s0, v14, v17, s0
	s_mov_b32 s0, 0
	s_cbranch_vccnz .LBB781_125
; %bb.72:
	s_mov_b32 s0, exec_lo
                                        ; implicit-def: $vgpr13_vgpr14
	v_cmpx_ge_u32_e64 v0, v16
	s_xor_b32 s0, exec_lo, s0
; %bb.73:
	v_not_b32_e32 v13, v0
	s_delay_alu instid0(VALU_DEP_1) | instskip(SKIP_1) | instid1(VALU_DEP_2)
	v_ashrrev_i32_e32 v14, 31, v13
	v_add_co_u32 v13, vcc_lo, v20, v13
	v_add_co_ci_u32_e32 v14, vcc_lo, v21, v14, vcc_lo
; %bb.74:
	s_and_not1_saveexec_b32 s0, s0
; %bb.75:
	v_add_co_u32 v13, vcc_lo, v15, v0
	v_add_co_ci_u32_e32 v14, vcc_lo, 0, v17, vcc_lo
; %bb.76:
	s_or_b32 exec_lo, exec_lo, s0
	s_delay_alu instid0(VALU_DEP_1) | instskip(SKIP_1) | instid1(VALU_DEP_1)
	v_lshlrev_b64 v[13:14], 2, v[13:14]
	s_mov_b32 s0, exec_lo
	v_add_co_u32 v13, vcc_lo, s10, v13
	s_delay_alu instid0(VALU_DEP_2)
	v_add_co_ci_u32_e32 v14, vcc_lo, s11, v14, vcc_lo
	s_waitcnt lgkmcnt(6)
	global_store_b32 v[13:14], v11, off
                                        ; implicit-def: $vgpr13_vgpr14
	v_cmpx_ge_u32_e64 v34, v16
	s_xor_b32 s0, exec_lo, s0
; %bb.77:
	v_xor_b32_e32 v13, 0xfffffeff, v0
	s_delay_alu instid0(VALU_DEP_1) | instskip(SKIP_1) | instid1(VALU_DEP_2)
	v_ashrrev_i32_e32 v14, 31, v13
	v_add_co_u32 v13, vcc_lo, v20, v13
	v_add_co_ci_u32_e32 v14, vcc_lo, v21, v14, vcc_lo
; %bb.78:
	s_and_not1_saveexec_b32 s0, s0
; %bb.79:
	v_add_co_u32 v13, vcc_lo, v15, v34
	v_add_co_ci_u32_e32 v14, vcc_lo, 0, v17, vcc_lo
; %bb.80:
	s_or_b32 exec_lo, exec_lo, s0
	s_delay_alu instid0(VALU_DEP_1) | instskip(SKIP_1) | instid1(VALU_DEP_1)
	v_lshlrev_b64 v[13:14], 2, v[13:14]
	s_mov_b32 s0, exec_lo
	v_add_co_u32 v13, vcc_lo, s10, v13
	s_delay_alu instid0(VALU_DEP_2)
	v_add_co_ci_u32_e32 v14, vcc_lo, s11, v14, vcc_lo
	global_store_b32 v[13:14], v12, off
                                        ; implicit-def: $vgpr13_vgpr14
	v_cmpx_ge_u32_e64 v33, v16
	s_xor_b32 s0, exec_lo, s0
; %bb.81:
	v_xor_b32_e32 v13, 0xfffffdff, v0
	s_delay_alu instid0(VALU_DEP_1) | instskip(SKIP_1) | instid1(VALU_DEP_2)
	v_ashrrev_i32_e32 v14, 31, v13
	v_add_co_u32 v13, vcc_lo, v20, v13
	v_add_co_ci_u32_e32 v14, vcc_lo, v21, v14, vcc_lo
; %bb.82:
	s_and_not1_saveexec_b32 s0, s0
; %bb.83:
	v_add_co_u32 v13, vcc_lo, v15, v33
	v_add_co_ci_u32_e32 v14, vcc_lo, 0, v17, vcc_lo
; %bb.84:
	s_or_b32 exec_lo, exec_lo, s0
	s_delay_alu instid0(VALU_DEP_1) | instskip(SKIP_1) | instid1(VALU_DEP_1)
	v_lshlrev_b64 v[13:14], 2, v[13:14]
	s_mov_b32 s0, exec_lo
	v_add_co_u32 v13, vcc_lo, s10, v13
	s_delay_alu instid0(VALU_DEP_2)
	v_add_co_ci_u32_e32 v14, vcc_lo, s11, v14, vcc_lo
	s_waitcnt lgkmcnt(5)
	global_store_b32 v[13:14], v9, off
                                        ; implicit-def: $vgpr13_vgpr14
	v_cmpx_ge_u32_e64 v32, v16
	s_xor_b32 s0, exec_lo, s0
; %bb.85:
	v_xor_b32_e32 v13, 0xfffffcff, v0
	s_delay_alu instid0(VALU_DEP_1) | instskip(SKIP_1) | instid1(VALU_DEP_2)
	v_ashrrev_i32_e32 v14, 31, v13
	v_add_co_u32 v13, vcc_lo, v20, v13
	v_add_co_ci_u32_e32 v14, vcc_lo, v21, v14, vcc_lo
; %bb.86:
	s_and_not1_saveexec_b32 s0, s0
; %bb.87:
	v_add_co_u32 v13, vcc_lo, v15, v32
	v_add_co_ci_u32_e32 v14, vcc_lo, 0, v17, vcc_lo
; %bb.88:
	s_or_b32 exec_lo, exec_lo, s0
	s_delay_alu instid0(VALU_DEP_1) | instskip(SKIP_1) | instid1(VALU_DEP_1)
	v_lshlrev_b64 v[13:14], 2, v[13:14]
	s_mov_b32 s0, exec_lo
	v_add_co_u32 v13, vcc_lo, s10, v13
	s_delay_alu instid0(VALU_DEP_2)
	v_add_co_ci_u32_e32 v14, vcc_lo, s11, v14, vcc_lo
	global_store_b32 v[13:14], v10, off
                                        ; implicit-def: $vgpr13_vgpr14
	v_cmpx_ge_u32_e64 v29, v16
	s_xor_b32 s0, exec_lo, s0
; %bb.89:
	v_xor_b32_e32 v13, 0xfffffbff, v0
	;; [unrolled: 47-line block ×6, first 2 shown]
	s_delay_alu instid0(VALU_DEP_1) | instskip(SKIP_1) | instid1(VALU_DEP_2)
	v_ashrrev_i32_e32 v14, 31, v13
	v_add_co_u32 v13, vcc_lo, v20, v13
	v_add_co_ci_u32_e32 v14, vcc_lo, v21, v14, vcc_lo
; %bb.122:
	s_and_not1_saveexec_b32 s0, s0
; %bb.123:
	v_add_co_u32 v13, vcc_lo, v15, v19
	v_add_co_ci_u32_e32 v14, vcc_lo, 0, v17, vcc_lo
; %bb.124:
	s_or_b32 exec_lo, exec_lo, s0
	s_mov_b32 s0, -1
	s_branch .LBB781_205
.LBB781_125:
                                        ; implicit-def: $vgpr13_vgpr14
	s_cbranch_execz .LBB781_205
; %bb.126:
	s_mov_b32 s1, exec_lo
	v_cmpx_gt_u32_e64 s22, v0
	s_cbranch_execz .LBB781_162
; %bb.127:
	s_mov_b32 s2, exec_lo
                                        ; implicit-def: $vgpr13_vgpr14
	v_cmpx_ge_u32_e64 v0, v16
	s_xor_b32 s2, exec_lo, s2
; %bb.128:
	v_not_b32_e32 v13, v0
	s_delay_alu instid0(VALU_DEP_1) | instskip(SKIP_1) | instid1(VALU_DEP_2)
	v_ashrrev_i32_e32 v14, 31, v13
	v_add_co_u32 v13, vcc_lo, v20, v13
	v_add_co_ci_u32_e32 v14, vcc_lo, v21, v14, vcc_lo
; %bb.129:
	s_and_not1_saveexec_b32 s2, s2
; %bb.130:
	v_add_co_u32 v13, vcc_lo, v15, v0
	v_add_co_ci_u32_e32 v14, vcc_lo, 0, v17, vcc_lo
; %bb.131:
	s_or_b32 exec_lo, exec_lo, s2
	s_delay_alu instid0(VALU_DEP_1) | instskip(NEXT) | instid1(VALU_DEP_1)
	v_lshlrev_b64 v[13:14], 2, v[13:14]
	v_add_co_u32 v13, vcc_lo, s10, v13
	s_delay_alu instid0(VALU_DEP_2) | instskip(SKIP_3) | instid1(SALU_CYCLE_1)
	v_add_co_ci_u32_e32 v14, vcc_lo, s11, v14, vcc_lo
	s_waitcnt lgkmcnt(6)
	global_store_b32 v[13:14], v11, off
	s_or_b32 exec_lo, exec_lo, s1
	s_mov_b32 s1, exec_lo
	v_cmpx_gt_u32_e64 s22, v34
	s_cbranch_execnz .LBB781_163
.LBB781_132:
	s_or_b32 exec_lo, exec_lo, s1
	s_delay_alu instid0(SALU_CYCLE_1)
	s_mov_b32 s1, exec_lo
	v_cmpx_gt_u32_e64 s22, v33
	s_cbranch_execz .LBB781_168
.LBB781_133:
	s_mov_b32 s2, exec_lo
                                        ; implicit-def: $vgpr11_vgpr12
	v_cmpx_ge_u32_e64 v33, v16
	s_xor_b32 s2, exec_lo, s2
	s_cbranch_execz .LBB781_135
; %bb.134:
	s_waitcnt lgkmcnt(6)
	v_xor_b32_e32 v11, 0xfffffdff, v0
                                        ; implicit-def: $vgpr33
	s_delay_alu instid0(VALU_DEP_1) | instskip(SKIP_1) | instid1(VALU_DEP_2)
	v_ashrrev_i32_e32 v12, 31, v11
	v_add_co_u32 v11, vcc_lo, v20, v11
	v_add_co_ci_u32_e32 v12, vcc_lo, v21, v12, vcc_lo
.LBB781_135:
	s_and_not1_saveexec_b32 s2, s2
	s_cbranch_execz .LBB781_137
; %bb.136:
	s_waitcnt lgkmcnt(6)
	v_add_co_u32 v11, vcc_lo, v15, v33
	v_add_co_ci_u32_e32 v12, vcc_lo, 0, v17, vcc_lo
.LBB781_137:
	s_or_b32 exec_lo, exec_lo, s2
	s_waitcnt lgkmcnt(6)
	s_delay_alu instid0(VALU_DEP_1) | instskip(NEXT) | instid1(VALU_DEP_1)
	v_lshlrev_b64 v[11:12], 2, v[11:12]
	v_add_co_u32 v11, vcc_lo, s10, v11
	s_delay_alu instid0(VALU_DEP_2) | instskip(SKIP_3) | instid1(SALU_CYCLE_1)
	v_add_co_ci_u32_e32 v12, vcc_lo, s11, v12, vcc_lo
	s_waitcnt lgkmcnt(5)
	global_store_b32 v[11:12], v9, off
	s_or_b32 exec_lo, exec_lo, s1
	s_mov_b32 s1, exec_lo
	v_cmpx_gt_u32_e64 s22, v32
	s_cbranch_execnz .LBB781_169
.LBB781_138:
	s_or_b32 exec_lo, exec_lo, s1
	s_delay_alu instid0(SALU_CYCLE_1)
	s_mov_b32 s1, exec_lo
	v_cmpx_gt_u32_e64 s22, v29
	s_cbranch_execz .LBB781_174
.LBB781_139:
	s_mov_b32 s2, exec_lo
                                        ; implicit-def: $vgpr9_vgpr10
	v_cmpx_ge_u32_e64 v29, v16
	s_xor_b32 s2, exec_lo, s2
	s_cbranch_execz .LBB781_141
; %bb.140:
	s_waitcnt lgkmcnt(5)
	v_xor_b32_e32 v9, 0xfffffbff, v0
                                        ; implicit-def: $vgpr29
	s_delay_alu instid0(VALU_DEP_1) | instskip(SKIP_1) | instid1(VALU_DEP_2)
	v_ashrrev_i32_e32 v10, 31, v9
	v_add_co_u32 v9, vcc_lo, v20, v9
	v_add_co_ci_u32_e32 v10, vcc_lo, v21, v10, vcc_lo
.LBB781_141:
	s_and_not1_saveexec_b32 s2, s2
	s_cbranch_execz .LBB781_143
; %bb.142:
	s_waitcnt lgkmcnt(5)
	v_add_co_u32 v9, vcc_lo, v15, v29
	v_add_co_ci_u32_e32 v10, vcc_lo, 0, v17, vcc_lo
.LBB781_143:
	s_or_b32 exec_lo, exec_lo, s2
	s_waitcnt lgkmcnt(5)
	s_delay_alu instid0(VALU_DEP_1) | instskip(NEXT) | instid1(VALU_DEP_1)
	v_lshlrev_b64 v[9:10], 2, v[9:10]
	v_add_co_u32 v9, vcc_lo, s10, v9
	s_delay_alu instid0(VALU_DEP_2) | instskip(SKIP_3) | instid1(SALU_CYCLE_1)
	v_add_co_ci_u32_e32 v10, vcc_lo, s11, v10, vcc_lo
	s_waitcnt lgkmcnt(4)
	global_store_b32 v[9:10], v7, off
	s_or_b32 exec_lo, exec_lo, s1
	s_mov_b32 s1, exec_lo
	v_cmpx_gt_u32_e64 s22, v28
	s_cbranch_execnz .LBB781_175
.LBB781_144:
	s_or_b32 exec_lo, exec_lo, s1
	s_delay_alu instid0(SALU_CYCLE_1)
	s_mov_b32 s1, exec_lo
	v_cmpx_gt_u32_e64 s22, v27
	s_cbranch_execz .LBB781_180
.LBB781_145:
	s_mov_b32 s2, exec_lo
                                        ; implicit-def: $vgpr7_vgpr8
	v_cmpx_ge_u32_e64 v27, v16
	s_xor_b32 s2, exec_lo, s2
	s_cbranch_execz .LBB781_147
; %bb.146:
	s_waitcnt lgkmcnt(4)
	v_xor_b32_e32 v7, 0xfffff9ff, v0
                                        ; implicit-def: $vgpr27
	s_delay_alu instid0(VALU_DEP_1) | instskip(SKIP_1) | instid1(VALU_DEP_2)
	v_ashrrev_i32_e32 v8, 31, v7
	v_add_co_u32 v7, vcc_lo, v20, v7
	v_add_co_ci_u32_e32 v8, vcc_lo, v21, v8, vcc_lo
.LBB781_147:
	s_and_not1_saveexec_b32 s2, s2
	s_cbranch_execz .LBB781_149
; %bb.148:
	s_waitcnt lgkmcnt(4)
	v_add_co_u32 v7, vcc_lo, v15, v27
	v_add_co_ci_u32_e32 v8, vcc_lo, 0, v17, vcc_lo
.LBB781_149:
	s_or_b32 exec_lo, exec_lo, s2
	s_waitcnt lgkmcnt(4)
	s_delay_alu instid0(VALU_DEP_1) | instskip(NEXT) | instid1(VALU_DEP_1)
	v_lshlrev_b64 v[7:8], 2, v[7:8]
	v_add_co_u32 v7, vcc_lo, s10, v7
	s_delay_alu instid0(VALU_DEP_2) | instskip(SKIP_3) | instid1(SALU_CYCLE_1)
	v_add_co_ci_u32_e32 v8, vcc_lo, s11, v8, vcc_lo
	s_waitcnt lgkmcnt(3)
	global_store_b32 v[7:8], v5, off
	s_or_b32 exec_lo, exec_lo, s1
	s_mov_b32 s1, exec_lo
	v_cmpx_gt_u32_e64 s22, v26
	s_cbranch_execnz .LBB781_181
.LBB781_150:
	s_or_b32 exec_lo, exec_lo, s1
	s_delay_alu instid0(SALU_CYCLE_1)
	s_mov_b32 s1, exec_lo
	v_cmpx_gt_u32_e64 s22, v25
	s_cbranch_execz .LBB781_186
.LBB781_151:
	s_mov_b32 s2, exec_lo
                                        ; implicit-def: $vgpr5_vgpr6
	v_cmpx_ge_u32_e64 v25, v16
	s_xor_b32 s2, exec_lo, s2
	s_cbranch_execz .LBB781_153
; %bb.152:
	s_waitcnt lgkmcnt(3)
	v_xor_b32_e32 v5, 0xfffff7ff, v0
                                        ; implicit-def: $vgpr25
	s_delay_alu instid0(VALU_DEP_1) | instskip(SKIP_1) | instid1(VALU_DEP_2)
	v_ashrrev_i32_e32 v6, 31, v5
	v_add_co_u32 v5, vcc_lo, v20, v5
	v_add_co_ci_u32_e32 v6, vcc_lo, v21, v6, vcc_lo
.LBB781_153:
	s_and_not1_saveexec_b32 s2, s2
	s_cbranch_execz .LBB781_155
; %bb.154:
	s_waitcnt lgkmcnt(3)
	v_add_co_u32 v5, vcc_lo, v15, v25
	v_add_co_ci_u32_e32 v6, vcc_lo, 0, v17, vcc_lo
.LBB781_155:
	s_or_b32 exec_lo, exec_lo, s2
	s_waitcnt lgkmcnt(3)
	s_delay_alu instid0(VALU_DEP_1) | instskip(NEXT) | instid1(VALU_DEP_1)
	v_lshlrev_b64 v[5:6], 2, v[5:6]
	v_add_co_u32 v5, vcc_lo, s10, v5
	s_delay_alu instid0(VALU_DEP_2) | instskip(SKIP_3) | instid1(SALU_CYCLE_1)
	v_add_co_ci_u32_e32 v6, vcc_lo, s11, v6, vcc_lo
	s_waitcnt lgkmcnt(2)
	global_store_b32 v[5:6], v3, off
	s_or_b32 exec_lo, exec_lo, s1
	s_mov_b32 s1, exec_lo
	v_cmpx_gt_u32_e64 s22, v24
	s_cbranch_execnz .LBB781_187
.LBB781_156:
	s_or_b32 exec_lo, exec_lo, s1
	s_delay_alu instid0(SALU_CYCLE_1)
	s_mov_b32 s1, exec_lo
	v_cmpx_gt_u32_e64 s22, v23
	s_cbranch_execz .LBB781_192
.LBB781_157:
	s_mov_b32 s2, exec_lo
                                        ; implicit-def: $vgpr3_vgpr4
	v_cmpx_ge_u32_e64 v23, v16
	s_xor_b32 s2, exec_lo, s2
	s_cbranch_execz .LBB781_159
; %bb.158:
	s_waitcnt lgkmcnt(2)
	v_xor_b32_e32 v3, 0xfffff5ff, v0
                                        ; implicit-def: $vgpr23
	s_delay_alu instid0(VALU_DEP_1) | instskip(SKIP_1) | instid1(VALU_DEP_2)
	v_ashrrev_i32_e32 v4, 31, v3
	v_add_co_u32 v3, vcc_lo, v20, v3
	v_add_co_ci_u32_e32 v4, vcc_lo, v21, v4, vcc_lo
.LBB781_159:
	s_and_not1_saveexec_b32 s2, s2
	s_cbranch_execz .LBB781_161
; %bb.160:
	s_waitcnt lgkmcnt(2)
	v_add_co_u32 v3, vcc_lo, v15, v23
	v_add_co_ci_u32_e32 v4, vcc_lo, 0, v17, vcc_lo
.LBB781_161:
	s_or_b32 exec_lo, exec_lo, s2
	s_waitcnt lgkmcnt(2)
	s_delay_alu instid0(VALU_DEP_1) | instskip(NEXT) | instid1(VALU_DEP_1)
	v_lshlrev_b64 v[3:4], 2, v[3:4]
	v_add_co_u32 v3, vcc_lo, s10, v3
	s_delay_alu instid0(VALU_DEP_2) | instskip(SKIP_3) | instid1(SALU_CYCLE_1)
	v_add_co_ci_u32_e32 v4, vcc_lo, s11, v4, vcc_lo
	s_waitcnt lgkmcnt(1)
	global_store_b32 v[3:4], v1, off
	s_or_b32 exec_lo, exec_lo, s1
	s_mov_b32 s1, exec_lo
	v_cmpx_gt_u32_e64 s22, v22
	s_cbranch_execz .LBB781_198
	s_branch .LBB781_193
.LBB781_162:
	s_or_b32 exec_lo, exec_lo, s1
	s_delay_alu instid0(SALU_CYCLE_1)
	s_mov_b32 s1, exec_lo
	v_cmpx_gt_u32_e64 s22, v34
	s_cbranch_execz .LBB781_132
.LBB781_163:
	s_mov_b32 s2, exec_lo
                                        ; implicit-def: $vgpr13_vgpr14
	v_cmpx_ge_u32_e64 v34, v16
	s_xor_b32 s2, exec_lo, s2
	s_cbranch_execz .LBB781_165
; %bb.164:
	s_waitcnt lgkmcnt(6)
	v_xor_b32_e32 v11, 0xfffffeff, v0
                                        ; implicit-def: $vgpr34
	s_delay_alu instid0(VALU_DEP_1) | instskip(SKIP_1) | instid1(VALU_DEP_2)
	v_ashrrev_i32_e32 v14, 31, v11
	v_add_co_u32 v13, vcc_lo, v20, v11
	v_add_co_ci_u32_e32 v14, vcc_lo, v21, v14, vcc_lo
.LBB781_165:
	s_and_not1_saveexec_b32 s2, s2
; %bb.166:
	v_add_co_u32 v13, vcc_lo, v15, v34
	v_add_co_ci_u32_e32 v14, vcc_lo, 0, v17, vcc_lo
; %bb.167:
	s_or_b32 exec_lo, exec_lo, s2
	s_delay_alu instid0(VALU_DEP_1) | instskip(NEXT) | instid1(VALU_DEP_1)
	v_lshlrev_b64 v[13:14], 2, v[13:14]
	v_add_co_u32 v13, vcc_lo, s10, v13
	s_delay_alu instid0(VALU_DEP_2) | instskip(SKIP_3) | instid1(SALU_CYCLE_1)
	v_add_co_ci_u32_e32 v14, vcc_lo, s11, v14, vcc_lo
	s_waitcnt lgkmcnt(6)
	global_store_b32 v[13:14], v12, off
	s_or_b32 exec_lo, exec_lo, s1
	s_mov_b32 s1, exec_lo
	v_cmpx_gt_u32_e64 s22, v33
	s_cbranch_execnz .LBB781_133
.LBB781_168:
	s_or_b32 exec_lo, exec_lo, s1
	s_delay_alu instid0(SALU_CYCLE_1)
	s_mov_b32 s1, exec_lo
	v_cmpx_gt_u32_e64 s22, v32
	s_cbranch_execz .LBB781_138
.LBB781_169:
	s_mov_b32 s2, exec_lo
                                        ; implicit-def: $vgpr11_vgpr12
	v_cmpx_ge_u32_e64 v32, v16
	s_xor_b32 s2, exec_lo, s2
	s_cbranch_execz .LBB781_171
; %bb.170:
	s_waitcnt lgkmcnt(5)
	v_xor_b32_e32 v9, 0xfffffcff, v0
                                        ; implicit-def: $vgpr32
	s_delay_alu instid0(VALU_DEP_1) | instskip(SKIP_1) | instid1(VALU_DEP_2)
	v_ashrrev_i32_e32 v12, 31, v9
	v_add_co_u32 v11, vcc_lo, v20, v9
	v_add_co_ci_u32_e32 v12, vcc_lo, v21, v12, vcc_lo
.LBB781_171:
	s_and_not1_saveexec_b32 s2, s2
	s_cbranch_execz .LBB781_173
; %bb.172:
	s_waitcnt lgkmcnt(6)
	v_add_co_u32 v11, vcc_lo, v15, v32
	v_add_co_ci_u32_e32 v12, vcc_lo, 0, v17, vcc_lo
.LBB781_173:
	s_or_b32 exec_lo, exec_lo, s2
	s_waitcnt lgkmcnt(6)
	s_delay_alu instid0(VALU_DEP_1) | instskip(NEXT) | instid1(VALU_DEP_1)
	v_lshlrev_b64 v[11:12], 2, v[11:12]
	v_add_co_u32 v11, vcc_lo, s10, v11
	s_delay_alu instid0(VALU_DEP_2) | instskip(SKIP_3) | instid1(SALU_CYCLE_1)
	v_add_co_ci_u32_e32 v12, vcc_lo, s11, v12, vcc_lo
	s_waitcnt lgkmcnt(5)
	global_store_b32 v[11:12], v10, off
	s_or_b32 exec_lo, exec_lo, s1
	s_mov_b32 s1, exec_lo
	v_cmpx_gt_u32_e64 s22, v29
	s_cbranch_execnz .LBB781_139
.LBB781_174:
	s_or_b32 exec_lo, exec_lo, s1
	s_delay_alu instid0(SALU_CYCLE_1)
	s_mov_b32 s1, exec_lo
	v_cmpx_gt_u32_e64 s22, v28
	s_cbranch_execz .LBB781_144
.LBB781_175:
	s_mov_b32 s2, exec_lo
                                        ; implicit-def: $vgpr9_vgpr10
	v_cmpx_ge_u32_e64 v28, v16
	s_xor_b32 s2, exec_lo, s2
	s_cbranch_execz .LBB781_177
; %bb.176:
	s_waitcnt lgkmcnt(4)
	v_xor_b32_e32 v7, 0xfffffaff, v0
                                        ; implicit-def: $vgpr28
	s_delay_alu instid0(VALU_DEP_1) | instskip(SKIP_1) | instid1(VALU_DEP_2)
	v_ashrrev_i32_e32 v10, 31, v7
	v_add_co_u32 v9, vcc_lo, v20, v7
	v_add_co_ci_u32_e32 v10, vcc_lo, v21, v10, vcc_lo
.LBB781_177:
	s_and_not1_saveexec_b32 s2, s2
	s_cbranch_execz .LBB781_179
; %bb.178:
	s_waitcnt lgkmcnt(5)
	v_add_co_u32 v9, vcc_lo, v15, v28
	v_add_co_ci_u32_e32 v10, vcc_lo, 0, v17, vcc_lo
.LBB781_179:
	s_or_b32 exec_lo, exec_lo, s2
	s_waitcnt lgkmcnt(5)
	s_delay_alu instid0(VALU_DEP_1) | instskip(NEXT) | instid1(VALU_DEP_1)
	v_lshlrev_b64 v[9:10], 2, v[9:10]
	v_add_co_u32 v9, vcc_lo, s10, v9
	s_delay_alu instid0(VALU_DEP_2) | instskip(SKIP_3) | instid1(SALU_CYCLE_1)
	v_add_co_ci_u32_e32 v10, vcc_lo, s11, v10, vcc_lo
	s_waitcnt lgkmcnt(4)
	global_store_b32 v[9:10], v8, off
	s_or_b32 exec_lo, exec_lo, s1
	s_mov_b32 s1, exec_lo
	v_cmpx_gt_u32_e64 s22, v27
	s_cbranch_execnz .LBB781_145
.LBB781_180:
	s_or_b32 exec_lo, exec_lo, s1
	s_delay_alu instid0(SALU_CYCLE_1)
	s_mov_b32 s1, exec_lo
	v_cmpx_gt_u32_e64 s22, v26
	s_cbranch_execz .LBB781_150
.LBB781_181:
	s_mov_b32 s2, exec_lo
                                        ; implicit-def: $vgpr7_vgpr8
	v_cmpx_ge_u32_e64 v26, v16
	s_xor_b32 s2, exec_lo, s2
	s_cbranch_execz .LBB781_183
; %bb.182:
	s_waitcnt lgkmcnt(3)
	v_xor_b32_e32 v5, 0xfffff8ff, v0
                                        ; implicit-def: $vgpr26
	s_delay_alu instid0(VALU_DEP_1) | instskip(SKIP_1) | instid1(VALU_DEP_2)
	v_ashrrev_i32_e32 v8, 31, v5
	v_add_co_u32 v7, vcc_lo, v20, v5
	v_add_co_ci_u32_e32 v8, vcc_lo, v21, v8, vcc_lo
.LBB781_183:
	s_and_not1_saveexec_b32 s2, s2
	s_cbranch_execz .LBB781_185
; %bb.184:
	s_waitcnt lgkmcnt(4)
	v_add_co_u32 v7, vcc_lo, v15, v26
	v_add_co_ci_u32_e32 v8, vcc_lo, 0, v17, vcc_lo
.LBB781_185:
	s_or_b32 exec_lo, exec_lo, s2
	s_waitcnt lgkmcnt(4)
	s_delay_alu instid0(VALU_DEP_1) | instskip(NEXT) | instid1(VALU_DEP_1)
	v_lshlrev_b64 v[7:8], 2, v[7:8]
	v_add_co_u32 v7, vcc_lo, s10, v7
	s_delay_alu instid0(VALU_DEP_2) | instskip(SKIP_3) | instid1(SALU_CYCLE_1)
	v_add_co_ci_u32_e32 v8, vcc_lo, s11, v8, vcc_lo
	s_waitcnt lgkmcnt(3)
	global_store_b32 v[7:8], v6, off
	s_or_b32 exec_lo, exec_lo, s1
	s_mov_b32 s1, exec_lo
	v_cmpx_gt_u32_e64 s22, v25
	s_cbranch_execnz .LBB781_151
.LBB781_186:
	s_or_b32 exec_lo, exec_lo, s1
	s_delay_alu instid0(SALU_CYCLE_1)
	s_mov_b32 s1, exec_lo
	v_cmpx_gt_u32_e64 s22, v24
	s_cbranch_execz .LBB781_156
.LBB781_187:
	s_mov_b32 s2, exec_lo
                                        ; implicit-def: $vgpr5_vgpr6
	v_cmpx_ge_u32_e64 v24, v16
	s_xor_b32 s2, exec_lo, s2
	s_cbranch_execz .LBB781_189
; %bb.188:
	s_waitcnt lgkmcnt(2)
	v_xor_b32_e32 v3, 0xfffff6ff, v0
                                        ; implicit-def: $vgpr24
	s_delay_alu instid0(VALU_DEP_1) | instskip(SKIP_1) | instid1(VALU_DEP_2)
	v_ashrrev_i32_e32 v6, 31, v3
	v_add_co_u32 v5, vcc_lo, v20, v3
	v_add_co_ci_u32_e32 v6, vcc_lo, v21, v6, vcc_lo
.LBB781_189:
	s_and_not1_saveexec_b32 s2, s2
	s_cbranch_execz .LBB781_191
; %bb.190:
	s_waitcnt lgkmcnt(3)
	v_add_co_u32 v5, vcc_lo, v15, v24
	v_add_co_ci_u32_e32 v6, vcc_lo, 0, v17, vcc_lo
.LBB781_191:
	s_or_b32 exec_lo, exec_lo, s2
	s_waitcnt lgkmcnt(3)
	s_delay_alu instid0(VALU_DEP_1) | instskip(NEXT) | instid1(VALU_DEP_1)
	v_lshlrev_b64 v[5:6], 2, v[5:6]
	v_add_co_u32 v5, vcc_lo, s10, v5
	s_delay_alu instid0(VALU_DEP_2) | instskip(SKIP_3) | instid1(SALU_CYCLE_1)
	v_add_co_ci_u32_e32 v6, vcc_lo, s11, v6, vcc_lo
	s_waitcnt lgkmcnt(2)
	global_store_b32 v[5:6], v4, off
	s_or_b32 exec_lo, exec_lo, s1
	s_mov_b32 s1, exec_lo
	v_cmpx_gt_u32_e64 s22, v23
	s_cbranch_execnz .LBB781_157
.LBB781_192:
	s_or_b32 exec_lo, exec_lo, s1
	s_delay_alu instid0(SALU_CYCLE_1)
	s_mov_b32 s1, exec_lo
	v_cmpx_gt_u32_e64 s22, v22
	s_cbranch_execz .LBB781_198
.LBB781_193:
	s_mov_b32 s2, exec_lo
                                        ; implicit-def: $vgpr3_vgpr4
	v_cmpx_ge_u32_e64 v22, v16
	s_xor_b32 s2, exec_lo, s2
	s_cbranch_execz .LBB781_195
; %bb.194:
	s_waitcnt lgkmcnt(1)
	v_xor_b32_e32 v1, 0xfffff4ff, v0
                                        ; implicit-def: $vgpr22
	s_delay_alu instid0(VALU_DEP_1) | instskip(SKIP_1) | instid1(VALU_DEP_2)
	v_ashrrev_i32_e32 v4, 31, v1
	v_add_co_u32 v3, vcc_lo, v20, v1
	v_add_co_ci_u32_e32 v4, vcc_lo, v21, v4, vcc_lo
.LBB781_195:
	s_and_not1_saveexec_b32 s2, s2
	s_cbranch_execz .LBB781_197
; %bb.196:
	s_waitcnt lgkmcnt(2)
	v_add_co_u32 v3, vcc_lo, v15, v22
	v_add_co_ci_u32_e32 v4, vcc_lo, 0, v17, vcc_lo
.LBB781_197:
	s_or_b32 exec_lo, exec_lo, s2
	s_waitcnt lgkmcnt(2)
	s_delay_alu instid0(VALU_DEP_1) | instskip(NEXT) | instid1(VALU_DEP_1)
	v_lshlrev_b64 v[3:4], 2, v[3:4]
	v_add_co_u32 v3, vcc_lo, s10, v3
	s_delay_alu instid0(VALU_DEP_2)
	v_add_co_ci_u32_e32 v4, vcc_lo, s11, v4, vcc_lo
	s_waitcnt lgkmcnt(1)
	global_store_b32 v[3:4], v2, off
.LBB781_198:
	s_or_b32 exec_lo, exec_lo, s1
	s_delay_alu instid0(SALU_CYCLE_1)
	s_mov_b32 s1, exec_lo
                                        ; implicit-def: $vgpr13_vgpr14
	v_cmpx_gt_u32_e64 s22, v19
	s_cbranch_execz .LBB781_204
; %bb.199:
	s_mov_b32 s2, exec_lo
                                        ; implicit-def: $vgpr13_vgpr14
	v_cmpx_ge_u32_e64 v19, v16
	s_xor_b32 s2, exec_lo, s2
	s_cbranch_execz .LBB781_201
; %bb.200:
	s_waitcnt lgkmcnt(1)
	v_xor_b32_e32 v1, 0xfffff3ff, v0
                                        ; implicit-def: $vgpr19
	s_delay_alu instid0(VALU_DEP_1) | instskip(SKIP_1) | instid1(VALU_DEP_2)
	v_ashrrev_i32_e32 v2, 31, v1
	v_add_co_u32 v13, vcc_lo, v20, v1
	v_add_co_ci_u32_e32 v14, vcc_lo, v21, v2, vcc_lo
.LBB781_201:
	s_and_not1_saveexec_b32 s2, s2
; %bb.202:
	v_add_co_u32 v13, vcc_lo, v15, v19
	v_add_co_ci_u32_e32 v14, vcc_lo, 0, v17, vcc_lo
; %bb.203:
	s_or_b32 exec_lo, exec_lo, s2
	s_delay_alu instid0(SALU_CYCLE_1)
	s_or_b32 s0, s0, exec_lo
.LBB781_204:
	s_or_b32 exec_lo, exec_lo, s1
.LBB781_205:
	s_and_saveexec_b32 s1, s0
	s_cbranch_execz .LBB781_207
; %bb.206:
	s_waitcnt lgkmcnt(1)
	v_lshlrev_b64 v[1:2], 2, v[13:14]
	s_delay_alu instid0(VALU_DEP_1) | instskip(NEXT) | instid1(VALU_DEP_2)
	v_add_co_u32 v1, vcc_lo, s10, v1
	v_add_co_ci_u32_e32 v2, vcc_lo, s11, v2, vcc_lo
	s_waitcnt lgkmcnt(0)
	global_store_b32 v[1:2], v18, off
.LBB781_207:
	s_or_b32 exec_lo, exec_lo, s1
	v_cmp_eq_u32_e32 vcc_lo, 0, v0
	s_and_b32 s0, vcc_lo, s14
	s_delay_alu instid0(SALU_CYCLE_1)
	s_and_saveexec_b32 s1, s0
	s_cbranch_execz .LBB781_209
; %bb.208:
	v_add_co_u32 v0, vcc_lo, v15, v16
	s_waitcnt lgkmcnt(1)
	v_mov_b32_e32 v2, 0
	v_add_co_ci_u32_e32 v1, vcc_lo, 0, v17, vcc_lo
	global_store_b64 v2, v[0:1], s[8:9]
.LBB781_209:
	s_nop 0
	s_sendmsg sendmsg(MSG_DEALLOC_VGPRS)
	s_endpgm
	.section	.rodata,"a",@progbits
	.p2align	6, 0x0
	.amdhsa_kernel _ZN7rocprim17ROCPRIM_400000_NS6detail17trampoline_kernelINS0_13select_configILj256ELj13ELNS0_17block_load_methodE3ELS4_3ELS4_3ELNS0_20block_scan_algorithmE0ELj4294967295EEENS1_25partition_config_selectorILNS1_17partition_subalgoE3EjNS0_10empty_typeEbEEZZNS1_14partition_implILS8_3ELb0ES6_jNS0_17counting_iteratorIjlEEPS9_SE_NS0_5tupleIJPjSE_EEENSF_IJSE_SE_EEES9_SG_JZNS1_25segmented_radix_sort_implINS0_14default_configELb0EPKlPlSM_SN_N2at6native12_GLOBAL__N_18offset_tEEE10hipError_tPvRmT1_PNSt15iterator_traitsISV_E10value_typeET2_T3_PNSW_IS11_E10value_typeET4_jRbjT5_S17_jjP12ihipStream_tbEUljE_EEESS_ST_SU_S11_S15_S17_T6_T7_T9_mT8_S19_bDpT10_ENKUlT_T0_E_clISt17integral_constantIbLb0EES1M_EEDaS1H_S1I_EUlS1H_E_NS1_11comp_targetILNS1_3genE9ELNS1_11target_archE1100ELNS1_3gpuE3ELNS1_3repE0EEENS1_30default_config_static_selectorELNS0_4arch9wavefront6targetE0EEEvSV_
		.amdhsa_group_segment_fixed_size 13324
		.amdhsa_private_segment_fixed_size 0
		.amdhsa_kernarg_size 144
		.amdhsa_user_sgpr_count 15
		.amdhsa_user_sgpr_dispatch_ptr 0
		.amdhsa_user_sgpr_queue_ptr 0
		.amdhsa_user_sgpr_kernarg_segment_ptr 1
		.amdhsa_user_sgpr_dispatch_id 0
		.amdhsa_user_sgpr_private_segment_size 0
		.amdhsa_wavefront_size32 1
		.amdhsa_uses_dynamic_stack 0
		.amdhsa_enable_private_segment 0
		.amdhsa_system_sgpr_workgroup_id_x 1
		.amdhsa_system_sgpr_workgroup_id_y 0
		.amdhsa_system_sgpr_workgroup_id_z 0
		.amdhsa_system_sgpr_workgroup_info 0
		.amdhsa_system_vgpr_workitem_id 0
		.amdhsa_next_free_vgpr 57
		.amdhsa_next_free_sgpr 28
		.amdhsa_reserve_vcc 1
		.amdhsa_float_round_mode_32 0
		.amdhsa_float_round_mode_16_64 0
		.amdhsa_float_denorm_mode_32 3
		.amdhsa_float_denorm_mode_16_64 3
		.amdhsa_dx10_clamp 1
		.amdhsa_ieee_mode 1
		.amdhsa_fp16_overflow 0
		.amdhsa_workgroup_processor_mode 1
		.amdhsa_memory_ordered 1
		.amdhsa_forward_progress 0
		.amdhsa_shared_vgpr_count 0
		.amdhsa_exception_fp_ieee_invalid_op 0
		.amdhsa_exception_fp_denorm_src 0
		.amdhsa_exception_fp_ieee_div_zero 0
		.amdhsa_exception_fp_ieee_overflow 0
		.amdhsa_exception_fp_ieee_underflow 0
		.amdhsa_exception_fp_ieee_inexact 0
		.amdhsa_exception_int_div_zero 0
	.end_amdhsa_kernel
	.section	.text._ZN7rocprim17ROCPRIM_400000_NS6detail17trampoline_kernelINS0_13select_configILj256ELj13ELNS0_17block_load_methodE3ELS4_3ELS4_3ELNS0_20block_scan_algorithmE0ELj4294967295EEENS1_25partition_config_selectorILNS1_17partition_subalgoE3EjNS0_10empty_typeEbEEZZNS1_14partition_implILS8_3ELb0ES6_jNS0_17counting_iteratorIjlEEPS9_SE_NS0_5tupleIJPjSE_EEENSF_IJSE_SE_EEES9_SG_JZNS1_25segmented_radix_sort_implINS0_14default_configELb0EPKlPlSM_SN_N2at6native12_GLOBAL__N_18offset_tEEE10hipError_tPvRmT1_PNSt15iterator_traitsISV_E10value_typeET2_T3_PNSW_IS11_E10value_typeET4_jRbjT5_S17_jjP12ihipStream_tbEUljE_EEESS_ST_SU_S11_S15_S17_T6_T7_T9_mT8_S19_bDpT10_ENKUlT_T0_E_clISt17integral_constantIbLb0EES1M_EEDaS1H_S1I_EUlS1H_E_NS1_11comp_targetILNS1_3genE9ELNS1_11target_archE1100ELNS1_3gpuE3ELNS1_3repE0EEENS1_30default_config_static_selectorELNS0_4arch9wavefront6targetE0EEEvSV_,"axG",@progbits,_ZN7rocprim17ROCPRIM_400000_NS6detail17trampoline_kernelINS0_13select_configILj256ELj13ELNS0_17block_load_methodE3ELS4_3ELS4_3ELNS0_20block_scan_algorithmE0ELj4294967295EEENS1_25partition_config_selectorILNS1_17partition_subalgoE3EjNS0_10empty_typeEbEEZZNS1_14partition_implILS8_3ELb0ES6_jNS0_17counting_iteratorIjlEEPS9_SE_NS0_5tupleIJPjSE_EEENSF_IJSE_SE_EEES9_SG_JZNS1_25segmented_radix_sort_implINS0_14default_configELb0EPKlPlSM_SN_N2at6native12_GLOBAL__N_18offset_tEEE10hipError_tPvRmT1_PNSt15iterator_traitsISV_E10value_typeET2_T3_PNSW_IS11_E10value_typeET4_jRbjT5_S17_jjP12ihipStream_tbEUljE_EEESS_ST_SU_S11_S15_S17_T6_T7_T9_mT8_S19_bDpT10_ENKUlT_T0_E_clISt17integral_constantIbLb0EES1M_EEDaS1H_S1I_EUlS1H_E_NS1_11comp_targetILNS1_3genE9ELNS1_11target_archE1100ELNS1_3gpuE3ELNS1_3repE0EEENS1_30default_config_static_selectorELNS0_4arch9wavefront6targetE0EEEvSV_,comdat
.Lfunc_end781:
	.size	_ZN7rocprim17ROCPRIM_400000_NS6detail17trampoline_kernelINS0_13select_configILj256ELj13ELNS0_17block_load_methodE3ELS4_3ELS4_3ELNS0_20block_scan_algorithmE0ELj4294967295EEENS1_25partition_config_selectorILNS1_17partition_subalgoE3EjNS0_10empty_typeEbEEZZNS1_14partition_implILS8_3ELb0ES6_jNS0_17counting_iteratorIjlEEPS9_SE_NS0_5tupleIJPjSE_EEENSF_IJSE_SE_EEES9_SG_JZNS1_25segmented_radix_sort_implINS0_14default_configELb0EPKlPlSM_SN_N2at6native12_GLOBAL__N_18offset_tEEE10hipError_tPvRmT1_PNSt15iterator_traitsISV_E10value_typeET2_T3_PNSW_IS11_E10value_typeET4_jRbjT5_S17_jjP12ihipStream_tbEUljE_EEESS_ST_SU_S11_S15_S17_T6_T7_T9_mT8_S19_bDpT10_ENKUlT_T0_E_clISt17integral_constantIbLb0EES1M_EEDaS1H_S1I_EUlS1H_E_NS1_11comp_targetILNS1_3genE9ELNS1_11target_archE1100ELNS1_3gpuE3ELNS1_3repE0EEENS1_30default_config_static_selectorELNS0_4arch9wavefront6targetE0EEEvSV_, .Lfunc_end781-_ZN7rocprim17ROCPRIM_400000_NS6detail17trampoline_kernelINS0_13select_configILj256ELj13ELNS0_17block_load_methodE3ELS4_3ELS4_3ELNS0_20block_scan_algorithmE0ELj4294967295EEENS1_25partition_config_selectorILNS1_17partition_subalgoE3EjNS0_10empty_typeEbEEZZNS1_14partition_implILS8_3ELb0ES6_jNS0_17counting_iteratorIjlEEPS9_SE_NS0_5tupleIJPjSE_EEENSF_IJSE_SE_EEES9_SG_JZNS1_25segmented_radix_sort_implINS0_14default_configELb0EPKlPlSM_SN_N2at6native12_GLOBAL__N_18offset_tEEE10hipError_tPvRmT1_PNSt15iterator_traitsISV_E10value_typeET2_T3_PNSW_IS11_E10value_typeET4_jRbjT5_S17_jjP12ihipStream_tbEUljE_EEESS_ST_SU_S11_S15_S17_T6_T7_T9_mT8_S19_bDpT10_ENKUlT_T0_E_clISt17integral_constantIbLb0EES1M_EEDaS1H_S1I_EUlS1H_E_NS1_11comp_targetILNS1_3genE9ELNS1_11target_archE1100ELNS1_3gpuE3ELNS1_3repE0EEENS1_30default_config_static_selectorELNS0_4arch9wavefront6targetE0EEEvSV_
                                        ; -- End function
	.section	.AMDGPU.csdata,"",@progbits
; Kernel info:
; codeLenInByte = 8864
; NumSgprs: 30
; NumVgprs: 57
; ScratchSize: 0
; MemoryBound: 0
; FloatMode: 240
; IeeeMode: 1
; LDSByteSize: 13324 bytes/workgroup (compile time only)
; SGPRBlocks: 3
; VGPRBlocks: 7
; NumSGPRsForWavesPerEU: 30
; NumVGPRsForWavesPerEU: 57
; Occupancy: 16
; WaveLimiterHint : 0
; COMPUTE_PGM_RSRC2:SCRATCH_EN: 0
; COMPUTE_PGM_RSRC2:USER_SGPR: 15
; COMPUTE_PGM_RSRC2:TRAP_HANDLER: 0
; COMPUTE_PGM_RSRC2:TGID_X_EN: 1
; COMPUTE_PGM_RSRC2:TGID_Y_EN: 0
; COMPUTE_PGM_RSRC2:TGID_Z_EN: 0
; COMPUTE_PGM_RSRC2:TIDIG_COMP_CNT: 0
	.section	.text._ZN7rocprim17ROCPRIM_400000_NS6detail17trampoline_kernelINS0_13select_configILj256ELj13ELNS0_17block_load_methodE3ELS4_3ELS4_3ELNS0_20block_scan_algorithmE0ELj4294967295EEENS1_25partition_config_selectorILNS1_17partition_subalgoE3EjNS0_10empty_typeEbEEZZNS1_14partition_implILS8_3ELb0ES6_jNS0_17counting_iteratorIjlEEPS9_SE_NS0_5tupleIJPjSE_EEENSF_IJSE_SE_EEES9_SG_JZNS1_25segmented_radix_sort_implINS0_14default_configELb0EPKlPlSM_SN_N2at6native12_GLOBAL__N_18offset_tEEE10hipError_tPvRmT1_PNSt15iterator_traitsISV_E10value_typeET2_T3_PNSW_IS11_E10value_typeET4_jRbjT5_S17_jjP12ihipStream_tbEUljE_EEESS_ST_SU_S11_S15_S17_T6_T7_T9_mT8_S19_bDpT10_ENKUlT_T0_E_clISt17integral_constantIbLb0EES1M_EEDaS1H_S1I_EUlS1H_E_NS1_11comp_targetILNS1_3genE8ELNS1_11target_archE1030ELNS1_3gpuE2ELNS1_3repE0EEENS1_30default_config_static_selectorELNS0_4arch9wavefront6targetE0EEEvSV_,"axG",@progbits,_ZN7rocprim17ROCPRIM_400000_NS6detail17trampoline_kernelINS0_13select_configILj256ELj13ELNS0_17block_load_methodE3ELS4_3ELS4_3ELNS0_20block_scan_algorithmE0ELj4294967295EEENS1_25partition_config_selectorILNS1_17partition_subalgoE3EjNS0_10empty_typeEbEEZZNS1_14partition_implILS8_3ELb0ES6_jNS0_17counting_iteratorIjlEEPS9_SE_NS0_5tupleIJPjSE_EEENSF_IJSE_SE_EEES9_SG_JZNS1_25segmented_radix_sort_implINS0_14default_configELb0EPKlPlSM_SN_N2at6native12_GLOBAL__N_18offset_tEEE10hipError_tPvRmT1_PNSt15iterator_traitsISV_E10value_typeET2_T3_PNSW_IS11_E10value_typeET4_jRbjT5_S17_jjP12ihipStream_tbEUljE_EEESS_ST_SU_S11_S15_S17_T6_T7_T9_mT8_S19_bDpT10_ENKUlT_T0_E_clISt17integral_constantIbLb0EES1M_EEDaS1H_S1I_EUlS1H_E_NS1_11comp_targetILNS1_3genE8ELNS1_11target_archE1030ELNS1_3gpuE2ELNS1_3repE0EEENS1_30default_config_static_selectorELNS0_4arch9wavefront6targetE0EEEvSV_,comdat
	.globl	_ZN7rocprim17ROCPRIM_400000_NS6detail17trampoline_kernelINS0_13select_configILj256ELj13ELNS0_17block_load_methodE3ELS4_3ELS4_3ELNS0_20block_scan_algorithmE0ELj4294967295EEENS1_25partition_config_selectorILNS1_17partition_subalgoE3EjNS0_10empty_typeEbEEZZNS1_14partition_implILS8_3ELb0ES6_jNS0_17counting_iteratorIjlEEPS9_SE_NS0_5tupleIJPjSE_EEENSF_IJSE_SE_EEES9_SG_JZNS1_25segmented_radix_sort_implINS0_14default_configELb0EPKlPlSM_SN_N2at6native12_GLOBAL__N_18offset_tEEE10hipError_tPvRmT1_PNSt15iterator_traitsISV_E10value_typeET2_T3_PNSW_IS11_E10value_typeET4_jRbjT5_S17_jjP12ihipStream_tbEUljE_EEESS_ST_SU_S11_S15_S17_T6_T7_T9_mT8_S19_bDpT10_ENKUlT_T0_E_clISt17integral_constantIbLb0EES1M_EEDaS1H_S1I_EUlS1H_E_NS1_11comp_targetILNS1_3genE8ELNS1_11target_archE1030ELNS1_3gpuE2ELNS1_3repE0EEENS1_30default_config_static_selectorELNS0_4arch9wavefront6targetE0EEEvSV_ ; -- Begin function _ZN7rocprim17ROCPRIM_400000_NS6detail17trampoline_kernelINS0_13select_configILj256ELj13ELNS0_17block_load_methodE3ELS4_3ELS4_3ELNS0_20block_scan_algorithmE0ELj4294967295EEENS1_25partition_config_selectorILNS1_17partition_subalgoE3EjNS0_10empty_typeEbEEZZNS1_14partition_implILS8_3ELb0ES6_jNS0_17counting_iteratorIjlEEPS9_SE_NS0_5tupleIJPjSE_EEENSF_IJSE_SE_EEES9_SG_JZNS1_25segmented_radix_sort_implINS0_14default_configELb0EPKlPlSM_SN_N2at6native12_GLOBAL__N_18offset_tEEE10hipError_tPvRmT1_PNSt15iterator_traitsISV_E10value_typeET2_T3_PNSW_IS11_E10value_typeET4_jRbjT5_S17_jjP12ihipStream_tbEUljE_EEESS_ST_SU_S11_S15_S17_T6_T7_T9_mT8_S19_bDpT10_ENKUlT_T0_E_clISt17integral_constantIbLb0EES1M_EEDaS1H_S1I_EUlS1H_E_NS1_11comp_targetILNS1_3genE8ELNS1_11target_archE1030ELNS1_3gpuE2ELNS1_3repE0EEENS1_30default_config_static_selectorELNS0_4arch9wavefront6targetE0EEEvSV_
	.p2align	8
	.type	_ZN7rocprim17ROCPRIM_400000_NS6detail17trampoline_kernelINS0_13select_configILj256ELj13ELNS0_17block_load_methodE3ELS4_3ELS4_3ELNS0_20block_scan_algorithmE0ELj4294967295EEENS1_25partition_config_selectorILNS1_17partition_subalgoE3EjNS0_10empty_typeEbEEZZNS1_14partition_implILS8_3ELb0ES6_jNS0_17counting_iteratorIjlEEPS9_SE_NS0_5tupleIJPjSE_EEENSF_IJSE_SE_EEES9_SG_JZNS1_25segmented_radix_sort_implINS0_14default_configELb0EPKlPlSM_SN_N2at6native12_GLOBAL__N_18offset_tEEE10hipError_tPvRmT1_PNSt15iterator_traitsISV_E10value_typeET2_T3_PNSW_IS11_E10value_typeET4_jRbjT5_S17_jjP12ihipStream_tbEUljE_EEESS_ST_SU_S11_S15_S17_T6_T7_T9_mT8_S19_bDpT10_ENKUlT_T0_E_clISt17integral_constantIbLb0EES1M_EEDaS1H_S1I_EUlS1H_E_NS1_11comp_targetILNS1_3genE8ELNS1_11target_archE1030ELNS1_3gpuE2ELNS1_3repE0EEENS1_30default_config_static_selectorELNS0_4arch9wavefront6targetE0EEEvSV_,@function
_ZN7rocprim17ROCPRIM_400000_NS6detail17trampoline_kernelINS0_13select_configILj256ELj13ELNS0_17block_load_methodE3ELS4_3ELS4_3ELNS0_20block_scan_algorithmE0ELj4294967295EEENS1_25partition_config_selectorILNS1_17partition_subalgoE3EjNS0_10empty_typeEbEEZZNS1_14partition_implILS8_3ELb0ES6_jNS0_17counting_iteratorIjlEEPS9_SE_NS0_5tupleIJPjSE_EEENSF_IJSE_SE_EEES9_SG_JZNS1_25segmented_radix_sort_implINS0_14default_configELb0EPKlPlSM_SN_N2at6native12_GLOBAL__N_18offset_tEEE10hipError_tPvRmT1_PNSt15iterator_traitsISV_E10value_typeET2_T3_PNSW_IS11_E10value_typeET4_jRbjT5_S17_jjP12ihipStream_tbEUljE_EEESS_ST_SU_S11_S15_S17_T6_T7_T9_mT8_S19_bDpT10_ENKUlT_T0_E_clISt17integral_constantIbLb0EES1M_EEDaS1H_S1I_EUlS1H_E_NS1_11comp_targetILNS1_3genE8ELNS1_11target_archE1030ELNS1_3gpuE2ELNS1_3repE0EEENS1_30default_config_static_selectorELNS0_4arch9wavefront6targetE0EEEvSV_: ; @_ZN7rocprim17ROCPRIM_400000_NS6detail17trampoline_kernelINS0_13select_configILj256ELj13ELNS0_17block_load_methodE3ELS4_3ELS4_3ELNS0_20block_scan_algorithmE0ELj4294967295EEENS1_25partition_config_selectorILNS1_17partition_subalgoE3EjNS0_10empty_typeEbEEZZNS1_14partition_implILS8_3ELb0ES6_jNS0_17counting_iteratorIjlEEPS9_SE_NS0_5tupleIJPjSE_EEENSF_IJSE_SE_EEES9_SG_JZNS1_25segmented_radix_sort_implINS0_14default_configELb0EPKlPlSM_SN_N2at6native12_GLOBAL__N_18offset_tEEE10hipError_tPvRmT1_PNSt15iterator_traitsISV_E10value_typeET2_T3_PNSW_IS11_E10value_typeET4_jRbjT5_S17_jjP12ihipStream_tbEUljE_EEESS_ST_SU_S11_S15_S17_T6_T7_T9_mT8_S19_bDpT10_ENKUlT_T0_E_clISt17integral_constantIbLb0EES1M_EEDaS1H_S1I_EUlS1H_E_NS1_11comp_targetILNS1_3genE8ELNS1_11target_archE1030ELNS1_3gpuE2ELNS1_3repE0EEENS1_30default_config_static_selectorELNS0_4arch9wavefront6targetE0EEEvSV_
; %bb.0:
	.section	.rodata,"a",@progbits
	.p2align	6, 0x0
	.amdhsa_kernel _ZN7rocprim17ROCPRIM_400000_NS6detail17trampoline_kernelINS0_13select_configILj256ELj13ELNS0_17block_load_methodE3ELS4_3ELS4_3ELNS0_20block_scan_algorithmE0ELj4294967295EEENS1_25partition_config_selectorILNS1_17partition_subalgoE3EjNS0_10empty_typeEbEEZZNS1_14partition_implILS8_3ELb0ES6_jNS0_17counting_iteratorIjlEEPS9_SE_NS0_5tupleIJPjSE_EEENSF_IJSE_SE_EEES9_SG_JZNS1_25segmented_radix_sort_implINS0_14default_configELb0EPKlPlSM_SN_N2at6native12_GLOBAL__N_18offset_tEEE10hipError_tPvRmT1_PNSt15iterator_traitsISV_E10value_typeET2_T3_PNSW_IS11_E10value_typeET4_jRbjT5_S17_jjP12ihipStream_tbEUljE_EEESS_ST_SU_S11_S15_S17_T6_T7_T9_mT8_S19_bDpT10_ENKUlT_T0_E_clISt17integral_constantIbLb0EES1M_EEDaS1H_S1I_EUlS1H_E_NS1_11comp_targetILNS1_3genE8ELNS1_11target_archE1030ELNS1_3gpuE2ELNS1_3repE0EEENS1_30default_config_static_selectorELNS0_4arch9wavefront6targetE0EEEvSV_
		.amdhsa_group_segment_fixed_size 0
		.amdhsa_private_segment_fixed_size 0
		.amdhsa_kernarg_size 144
		.amdhsa_user_sgpr_count 15
		.amdhsa_user_sgpr_dispatch_ptr 0
		.amdhsa_user_sgpr_queue_ptr 0
		.amdhsa_user_sgpr_kernarg_segment_ptr 1
		.amdhsa_user_sgpr_dispatch_id 0
		.amdhsa_user_sgpr_private_segment_size 0
		.amdhsa_wavefront_size32 1
		.amdhsa_uses_dynamic_stack 0
		.amdhsa_enable_private_segment 0
		.amdhsa_system_sgpr_workgroup_id_x 1
		.amdhsa_system_sgpr_workgroup_id_y 0
		.amdhsa_system_sgpr_workgroup_id_z 0
		.amdhsa_system_sgpr_workgroup_info 0
		.amdhsa_system_vgpr_workitem_id 0
		.amdhsa_next_free_vgpr 1
		.amdhsa_next_free_sgpr 1
		.amdhsa_reserve_vcc 0
		.amdhsa_float_round_mode_32 0
		.amdhsa_float_round_mode_16_64 0
		.amdhsa_float_denorm_mode_32 3
		.amdhsa_float_denorm_mode_16_64 3
		.amdhsa_dx10_clamp 1
		.amdhsa_ieee_mode 1
		.amdhsa_fp16_overflow 0
		.amdhsa_workgroup_processor_mode 1
		.amdhsa_memory_ordered 1
		.amdhsa_forward_progress 0
		.amdhsa_shared_vgpr_count 0
		.amdhsa_exception_fp_ieee_invalid_op 0
		.amdhsa_exception_fp_denorm_src 0
		.amdhsa_exception_fp_ieee_div_zero 0
		.amdhsa_exception_fp_ieee_overflow 0
		.amdhsa_exception_fp_ieee_underflow 0
		.amdhsa_exception_fp_ieee_inexact 0
		.amdhsa_exception_int_div_zero 0
	.end_amdhsa_kernel
	.section	.text._ZN7rocprim17ROCPRIM_400000_NS6detail17trampoline_kernelINS0_13select_configILj256ELj13ELNS0_17block_load_methodE3ELS4_3ELS4_3ELNS0_20block_scan_algorithmE0ELj4294967295EEENS1_25partition_config_selectorILNS1_17partition_subalgoE3EjNS0_10empty_typeEbEEZZNS1_14partition_implILS8_3ELb0ES6_jNS0_17counting_iteratorIjlEEPS9_SE_NS0_5tupleIJPjSE_EEENSF_IJSE_SE_EEES9_SG_JZNS1_25segmented_radix_sort_implINS0_14default_configELb0EPKlPlSM_SN_N2at6native12_GLOBAL__N_18offset_tEEE10hipError_tPvRmT1_PNSt15iterator_traitsISV_E10value_typeET2_T3_PNSW_IS11_E10value_typeET4_jRbjT5_S17_jjP12ihipStream_tbEUljE_EEESS_ST_SU_S11_S15_S17_T6_T7_T9_mT8_S19_bDpT10_ENKUlT_T0_E_clISt17integral_constantIbLb0EES1M_EEDaS1H_S1I_EUlS1H_E_NS1_11comp_targetILNS1_3genE8ELNS1_11target_archE1030ELNS1_3gpuE2ELNS1_3repE0EEENS1_30default_config_static_selectorELNS0_4arch9wavefront6targetE0EEEvSV_,"axG",@progbits,_ZN7rocprim17ROCPRIM_400000_NS6detail17trampoline_kernelINS0_13select_configILj256ELj13ELNS0_17block_load_methodE3ELS4_3ELS4_3ELNS0_20block_scan_algorithmE0ELj4294967295EEENS1_25partition_config_selectorILNS1_17partition_subalgoE3EjNS0_10empty_typeEbEEZZNS1_14partition_implILS8_3ELb0ES6_jNS0_17counting_iteratorIjlEEPS9_SE_NS0_5tupleIJPjSE_EEENSF_IJSE_SE_EEES9_SG_JZNS1_25segmented_radix_sort_implINS0_14default_configELb0EPKlPlSM_SN_N2at6native12_GLOBAL__N_18offset_tEEE10hipError_tPvRmT1_PNSt15iterator_traitsISV_E10value_typeET2_T3_PNSW_IS11_E10value_typeET4_jRbjT5_S17_jjP12ihipStream_tbEUljE_EEESS_ST_SU_S11_S15_S17_T6_T7_T9_mT8_S19_bDpT10_ENKUlT_T0_E_clISt17integral_constantIbLb0EES1M_EEDaS1H_S1I_EUlS1H_E_NS1_11comp_targetILNS1_3genE8ELNS1_11target_archE1030ELNS1_3gpuE2ELNS1_3repE0EEENS1_30default_config_static_selectorELNS0_4arch9wavefront6targetE0EEEvSV_,comdat
.Lfunc_end782:
	.size	_ZN7rocprim17ROCPRIM_400000_NS6detail17trampoline_kernelINS0_13select_configILj256ELj13ELNS0_17block_load_methodE3ELS4_3ELS4_3ELNS0_20block_scan_algorithmE0ELj4294967295EEENS1_25partition_config_selectorILNS1_17partition_subalgoE3EjNS0_10empty_typeEbEEZZNS1_14partition_implILS8_3ELb0ES6_jNS0_17counting_iteratorIjlEEPS9_SE_NS0_5tupleIJPjSE_EEENSF_IJSE_SE_EEES9_SG_JZNS1_25segmented_radix_sort_implINS0_14default_configELb0EPKlPlSM_SN_N2at6native12_GLOBAL__N_18offset_tEEE10hipError_tPvRmT1_PNSt15iterator_traitsISV_E10value_typeET2_T3_PNSW_IS11_E10value_typeET4_jRbjT5_S17_jjP12ihipStream_tbEUljE_EEESS_ST_SU_S11_S15_S17_T6_T7_T9_mT8_S19_bDpT10_ENKUlT_T0_E_clISt17integral_constantIbLb0EES1M_EEDaS1H_S1I_EUlS1H_E_NS1_11comp_targetILNS1_3genE8ELNS1_11target_archE1030ELNS1_3gpuE2ELNS1_3repE0EEENS1_30default_config_static_selectorELNS0_4arch9wavefront6targetE0EEEvSV_, .Lfunc_end782-_ZN7rocprim17ROCPRIM_400000_NS6detail17trampoline_kernelINS0_13select_configILj256ELj13ELNS0_17block_load_methodE3ELS4_3ELS4_3ELNS0_20block_scan_algorithmE0ELj4294967295EEENS1_25partition_config_selectorILNS1_17partition_subalgoE3EjNS0_10empty_typeEbEEZZNS1_14partition_implILS8_3ELb0ES6_jNS0_17counting_iteratorIjlEEPS9_SE_NS0_5tupleIJPjSE_EEENSF_IJSE_SE_EEES9_SG_JZNS1_25segmented_radix_sort_implINS0_14default_configELb0EPKlPlSM_SN_N2at6native12_GLOBAL__N_18offset_tEEE10hipError_tPvRmT1_PNSt15iterator_traitsISV_E10value_typeET2_T3_PNSW_IS11_E10value_typeET4_jRbjT5_S17_jjP12ihipStream_tbEUljE_EEESS_ST_SU_S11_S15_S17_T6_T7_T9_mT8_S19_bDpT10_ENKUlT_T0_E_clISt17integral_constantIbLb0EES1M_EEDaS1H_S1I_EUlS1H_E_NS1_11comp_targetILNS1_3genE8ELNS1_11target_archE1030ELNS1_3gpuE2ELNS1_3repE0EEENS1_30default_config_static_selectorELNS0_4arch9wavefront6targetE0EEEvSV_
                                        ; -- End function
	.section	.AMDGPU.csdata,"",@progbits
; Kernel info:
; codeLenInByte = 0
; NumSgprs: 0
; NumVgprs: 0
; ScratchSize: 0
; MemoryBound: 0
; FloatMode: 240
; IeeeMode: 1
; LDSByteSize: 0 bytes/workgroup (compile time only)
; SGPRBlocks: 0
; VGPRBlocks: 0
; NumSGPRsForWavesPerEU: 1
; NumVGPRsForWavesPerEU: 1
; Occupancy: 16
; WaveLimiterHint : 0
; COMPUTE_PGM_RSRC2:SCRATCH_EN: 0
; COMPUTE_PGM_RSRC2:USER_SGPR: 15
; COMPUTE_PGM_RSRC2:TRAP_HANDLER: 0
; COMPUTE_PGM_RSRC2:TGID_X_EN: 1
; COMPUTE_PGM_RSRC2:TGID_Y_EN: 0
; COMPUTE_PGM_RSRC2:TGID_Z_EN: 0
; COMPUTE_PGM_RSRC2:TIDIG_COMP_CNT: 0
	.section	.text._ZN7rocprim17ROCPRIM_400000_NS6detail17trampoline_kernelINS0_13select_configILj256ELj13ELNS0_17block_load_methodE3ELS4_3ELS4_3ELNS0_20block_scan_algorithmE0ELj4294967295EEENS1_25partition_config_selectorILNS1_17partition_subalgoE3EjNS0_10empty_typeEbEEZZNS1_14partition_implILS8_3ELb0ES6_jNS0_17counting_iteratorIjlEEPS9_SE_NS0_5tupleIJPjSE_EEENSF_IJSE_SE_EEES9_SG_JZNS1_25segmented_radix_sort_implINS0_14default_configELb0EPKlPlSM_SN_N2at6native12_GLOBAL__N_18offset_tEEE10hipError_tPvRmT1_PNSt15iterator_traitsISV_E10value_typeET2_T3_PNSW_IS11_E10value_typeET4_jRbjT5_S17_jjP12ihipStream_tbEUljE_EEESS_ST_SU_S11_S15_S17_T6_T7_T9_mT8_S19_bDpT10_ENKUlT_T0_E_clISt17integral_constantIbLb1EES1M_EEDaS1H_S1I_EUlS1H_E_NS1_11comp_targetILNS1_3genE0ELNS1_11target_archE4294967295ELNS1_3gpuE0ELNS1_3repE0EEENS1_30default_config_static_selectorELNS0_4arch9wavefront6targetE0EEEvSV_,"axG",@progbits,_ZN7rocprim17ROCPRIM_400000_NS6detail17trampoline_kernelINS0_13select_configILj256ELj13ELNS0_17block_load_methodE3ELS4_3ELS4_3ELNS0_20block_scan_algorithmE0ELj4294967295EEENS1_25partition_config_selectorILNS1_17partition_subalgoE3EjNS0_10empty_typeEbEEZZNS1_14partition_implILS8_3ELb0ES6_jNS0_17counting_iteratorIjlEEPS9_SE_NS0_5tupleIJPjSE_EEENSF_IJSE_SE_EEES9_SG_JZNS1_25segmented_radix_sort_implINS0_14default_configELb0EPKlPlSM_SN_N2at6native12_GLOBAL__N_18offset_tEEE10hipError_tPvRmT1_PNSt15iterator_traitsISV_E10value_typeET2_T3_PNSW_IS11_E10value_typeET4_jRbjT5_S17_jjP12ihipStream_tbEUljE_EEESS_ST_SU_S11_S15_S17_T6_T7_T9_mT8_S19_bDpT10_ENKUlT_T0_E_clISt17integral_constantIbLb1EES1M_EEDaS1H_S1I_EUlS1H_E_NS1_11comp_targetILNS1_3genE0ELNS1_11target_archE4294967295ELNS1_3gpuE0ELNS1_3repE0EEENS1_30default_config_static_selectorELNS0_4arch9wavefront6targetE0EEEvSV_,comdat
	.globl	_ZN7rocprim17ROCPRIM_400000_NS6detail17trampoline_kernelINS0_13select_configILj256ELj13ELNS0_17block_load_methodE3ELS4_3ELS4_3ELNS0_20block_scan_algorithmE0ELj4294967295EEENS1_25partition_config_selectorILNS1_17partition_subalgoE3EjNS0_10empty_typeEbEEZZNS1_14partition_implILS8_3ELb0ES6_jNS0_17counting_iteratorIjlEEPS9_SE_NS0_5tupleIJPjSE_EEENSF_IJSE_SE_EEES9_SG_JZNS1_25segmented_radix_sort_implINS0_14default_configELb0EPKlPlSM_SN_N2at6native12_GLOBAL__N_18offset_tEEE10hipError_tPvRmT1_PNSt15iterator_traitsISV_E10value_typeET2_T3_PNSW_IS11_E10value_typeET4_jRbjT5_S17_jjP12ihipStream_tbEUljE_EEESS_ST_SU_S11_S15_S17_T6_T7_T9_mT8_S19_bDpT10_ENKUlT_T0_E_clISt17integral_constantIbLb1EES1M_EEDaS1H_S1I_EUlS1H_E_NS1_11comp_targetILNS1_3genE0ELNS1_11target_archE4294967295ELNS1_3gpuE0ELNS1_3repE0EEENS1_30default_config_static_selectorELNS0_4arch9wavefront6targetE0EEEvSV_ ; -- Begin function _ZN7rocprim17ROCPRIM_400000_NS6detail17trampoline_kernelINS0_13select_configILj256ELj13ELNS0_17block_load_methodE3ELS4_3ELS4_3ELNS0_20block_scan_algorithmE0ELj4294967295EEENS1_25partition_config_selectorILNS1_17partition_subalgoE3EjNS0_10empty_typeEbEEZZNS1_14partition_implILS8_3ELb0ES6_jNS0_17counting_iteratorIjlEEPS9_SE_NS0_5tupleIJPjSE_EEENSF_IJSE_SE_EEES9_SG_JZNS1_25segmented_radix_sort_implINS0_14default_configELb0EPKlPlSM_SN_N2at6native12_GLOBAL__N_18offset_tEEE10hipError_tPvRmT1_PNSt15iterator_traitsISV_E10value_typeET2_T3_PNSW_IS11_E10value_typeET4_jRbjT5_S17_jjP12ihipStream_tbEUljE_EEESS_ST_SU_S11_S15_S17_T6_T7_T9_mT8_S19_bDpT10_ENKUlT_T0_E_clISt17integral_constantIbLb1EES1M_EEDaS1H_S1I_EUlS1H_E_NS1_11comp_targetILNS1_3genE0ELNS1_11target_archE4294967295ELNS1_3gpuE0ELNS1_3repE0EEENS1_30default_config_static_selectorELNS0_4arch9wavefront6targetE0EEEvSV_
	.p2align	8
	.type	_ZN7rocprim17ROCPRIM_400000_NS6detail17trampoline_kernelINS0_13select_configILj256ELj13ELNS0_17block_load_methodE3ELS4_3ELS4_3ELNS0_20block_scan_algorithmE0ELj4294967295EEENS1_25partition_config_selectorILNS1_17partition_subalgoE3EjNS0_10empty_typeEbEEZZNS1_14partition_implILS8_3ELb0ES6_jNS0_17counting_iteratorIjlEEPS9_SE_NS0_5tupleIJPjSE_EEENSF_IJSE_SE_EEES9_SG_JZNS1_25segmented_radix_sort_implINS0_14default_configELb0EPKlPlSM_SN_N2at6native12_GLOBAL__N_18offset_tEEE10hipError_tPvRmT1_PNSt15iterator_traitsISV_E10value_typeET2_T3_PNSW_IS11_E10value_typeET4_jRbjT5_S17_jjP12ihipStream_tbEUljE_EEESS_ST_SU_S11_S15_S17_T6_T7_T9_mT8_S19_bDpT10_ENKUlT_T0_E_clISt17integral_constantIbLb1EES1M_EEDaS1H_S1I_EUlS1H_E_NS1_11comp_targetILNS1_3genE0ELNS1_11target_archE4294967295ELNS1_3gpuE0ELNS1_3repE0EEENS1_30default_config_static_selectorELNS0_4arch9wavefront6targetE0EEEvSV_,@function
_ZN7rocprim17ROCPRIM_400000_NS6detail17trampoline_kernelINS0_13select_configILj256ELj13ELNS0_17block_load_methodE3ELS4_3ELS4_3ELNS0_20block_scan_algorithmE0ELj4294967295EEENS1_25partition_config_selectorILNS1_17partition_subalgoE3EjNS0_10empty_typeEbEEZZNS1_14partition_implILS8_3ELb0ES6_jNS0_17counting_iteratorIjlEEPS9_SE_NS0_5tupleIJPjSE_EEENSF_IJSE_SE_EEES9_SG_JZNS1_25segmented_radix_sort_implINS0_14default_configELb0EPKlPlSM_SN_N2at6native12_GLOBAL__N_18offset_tEEE10hipError_tPvRmT1_PNSt15iterator_traitsISV_E10value_typeET2_T3_PNSW_IS11_E10value_typeET4_jRbjT5_S17_jjP12ihipStream_tbEUljE_EEESS_ST_SU_S11_S15_S17_T6_T7_T9_mT8_S19_bDpT10_ENKUlT_T0_E_clISt17integral_constantIbLb1EES1M_EEDaS1H_S1I_EUlS1H_E_NS1_11comp_targetILNS1_3genE0ELNS1_11target_archE4294967295ELNS1_3gpuE0ELNS1_3repE0EEENS1_30default_config_static_selectorELNS0_4arch9wavefront6targetE0EEEvSV_: ; @_ZN7rocprim17ROCPRIM_400000_NS6detail17trampoline_kernelINS0_13select_configILj256ELj13ELNS0_17block_load_methodE3ELS4_3ELS4_3ELNS0_20block_scan_algorithmE0ELj4294967295EEENS1_25partition_config_selectorILNS1_17partition_subalgoE3EjNS0_10empty_typeEbEEZZNS1_14partition_implILS8_3ELb0ES6_jNS0_17counting_iteratorIjlEEPS9_SE_NS0_5tupleIJPjSE_EEENSF_IJSE_SE_EEES9_SG_JZNS1_25segmented_radix_sort_implINS0_14default_configELb0EPKlPlSM_SN_N2at6native12_GLOBAL__N_18offset_tEEE10hipError_tPvRmT1_PNSt15iterator_traitsISV_E10value_typeET2_T3_PNSW_IS11_E10value_typeET4_jRbjT5_S17_jjP12ihipStream_tbEUljE_EEESS_ST_SU_S11_S15_S17_T6_T7_T9_mT8_S19_bDpT10_ENKUlT_T0_E_clISt17integral_constantIbLb1EES1M_EEDaS1H_S1I_EUlS1H_E_NS1_11comp_targetILNS1_3genE0ELNS1_11target_archE4294967295ELNS1_3gpuE0ELNS1_3repE0EEENS1_30default_config_static_selectorELNS0_4arch9wavefront6targetE0EEEvSV_
; %bb.0:
	.section	.rodata,"a",@progbits
	.p2align	6, 0x0
	.amdhsa_kernel _ZN7rocprim17ROCPRIM_400000_NS6detail17trampoline_kernelINS0_13select_configILj256ELj13ELNS0_17block_load_methodE3ELS4_3ELS4_3ELNS0_20block_scan_algorithmE0ELj4294967295EEENS1_25partition_config_selectorILNS1_17partition_subalgoE3EjNS0_10empty_typeEbEEZZNS1_14partition_implILS8_3ELb0ES6_jNS0_17counting_iteratorIjlEEPS9_SE_NS0_5tupleIJPjSE_EEENSF_IJSE_SE_EEES9_SG_JZNS1_25segmented_radix_sort_implINS0_14default_configELb0EPKlPlSM_SN_N2at6native12_GLOBAL__N_18offset_tEEE10hipError_tPvRmT1_PNSt15iterator_traitsISV_E10value_typeET2_T3_PNSW_IS11_E10value_typeET4_jRbjT5_S17_jjP12ihipStream_tbEUljE_EEESS_ST_SU_S11_S15_S17_T6_T7_T9_mT8_S19_bDpT10_ENKUlT_T0_E_clISt17integral_constantIbLb1EES1M_EEDaS1H_S1I_EUlS1H_E_NS1_11comp_targetILNS1_3genE0ELNS1_11target_archE4294967295ELNS1_3gpuE0ELNS1_3repE0EEENS1_30default_config_static_selectorELNS0_4arch9wavefront6targetE0EEEvSV_
		.amdhsa_group_segment_fixed_size 0
		.amdhsa_private_segment_fixed_size 0
		.amdhsa_kernarg_size 152
		.amdhsa_user_sgpr_count 15
		.amdhsa_user_sgpr_dispatch_ptr 0
		.amdhsa_user_sgpr_queue_ptr 0
		.amdhsa_user_sgpr_kernarg_segment_ptr 1
		.amdhsa_user_sgpr_dispatch_id 0
		.amdhsa_user_sgpr_private_segment_size 0
		.amdhsa_wavefront_size32 1
		.amdhsa_uses_dynamic_stack 0
		.amdhsa_enable_private_segment 0
		.amdhsa_system_sgpr_workgroup_id_x 1
		.amdhsa_system_sgpr_workgroup_id_y 0
		.amdhsa_system_sgpr_workgroup_id_z 0
		.amdhsa_system_sgpr_workgroup_info 0
		.amdhsa_system_vgpr_workitem_id 0
		.amdhsa_next_free_vgpr 1
		.amdhsa_next_free_sgpr 1
		.amdhsa_reserve_vcc 0
		.amdhsa_float_round_mode_32 0
		.amdhsa_float_round_mode_16_64 0
		.amdhsa_float_denorm_mode_32 3
		.amdhsa_float_denorm_mode_16_64 3
		.amdhsa_dx10_clamp 1
		.amdhsa_ieee_mode 1
		.amdhsa_fp16_overflow 0
		.amdhsa_workgroup_processor_mode 1
		.amdhsa_memory_ordered 1
		.amdhsa_forward_progress 0
		.amdhsa_shared_vgpr_count 0
		.amdhsa_exception_fp_ieee_invalid_op 0
		.amdhsa_exception_fp_denorm_src 0
		.amdhsa_exception_fp_ieee_div_zero 0
		.amdhsa_exception_fp_ieee_overflow 0
		.amdhsa_exception_fp_ieee_underflow 0
		.amdhsa_exception_fp_ieee_inexact 0
		.amdhsa_exception_int_div_zero 0
	.end_amdhsa_kernel
	.section	.text._ZN7rocprim17ROCPRIM_400000_NS6detail17trampoline_kernelINS0_13select_configILj256ELj13ELNS0_17block_load_methodE3ELS4_3ELS4_3ELNS0_20block_scan_algorithmE0ELj4294967295EEENS1_25partition_config_selectorILNS1_17partition_subalgoE3EjNS0_10empty_typeEbEEZZNS1_14partition_implILS8_3ELb0ES6_jNS0_17counting_iteratorIjlEEPS9_SE_NS0_5tupleIJPjSE_EEENSF_IJSE_SE_EEES9_SG_JZNS1_25segmented_radix_sort_implINS0_14default_configELb0EPKlPlSM_SN_N2at6native12_GLOBAL__N_18offset_tEEE10hipError_tPvRmT1_PNSt15iterator_traitsISV_E10value_typeET2_T3_PNSW_IS11_E10value_typeET4_jRbjT5_S17_jjP12ihipStream_tbEUljE_EEESS_ST_SU_S11_S15_S17_T6_T7_T9_mT8_S19_bDpT10_ENKUlT_T0_E_clISt17integral_constantIbLb1EES1M_EEDaS1H_S1I_EUlS1H_E_NS1_11comp_targetILNS1_3genE0ELNS1_11target_archE4294967295ELNS1_3gpuE0ELNS1_3repE0EEENS1_30default_config_static_selectorELNS0_4arch9wavefront6targetE0EEEvSV_,"axG",@progbits,_ZN7rocprim17ROCPRIM_400000_NS6detail17trampoline_kernelINS0_13select_configILj256ELj13ELNS0_17block_load_methodE3ELS4_3ELS4_3ELNS0_20block_scan_algorithmE0ELj4294967295EEENS1_25partition_config_selectorILNS1_17partition_subalgoE3EjNS0_10empty_typeEbEEZZNS1_14partition_implILS8_3ELb0ES6_jNS0_17counting_iteratorIjlEEPS9_SE_NS0_5tupleIJPjSE_EEENSF_IJSE_SE_EEES9_SG_JZNS1_25segmented_radix_sort_implINS0_14default_configELb0EPKlPlSM_SN_N2at6native12_GLOBAL__N_18offset_tEEE10hipError_tPvRmT1_PNSt15iterator_traitsISV_E10value_typeET2_T3_PNSW_IS11_E10value_typeET4_jRbjT5_S17_jjP12ihipStream_tbEUljE_EEESS_ST_SU_S11_S15_S17_T6_T7_T9_mT8_S19_bDpT10_ENKUlT_T0_E_clISt17integral_constantIbLb1EES1M_EEDaS1H_S1I_EUlS1H_E_NS1_11comp_targetILNS1_3genE0ELNS1_11target_archE4294967295ELNS1_3gpuE0ELNS1_3repE0EEENS1_30default_config_static_selectorELNS0_4arch9wavefront6targetE0EEEvSV_,comdat
.Lfunc_end783:
	.size	_ZN7rocprim17ROCPRIM_400000_NS6detail17trampoline_kernelINS0_13select_configILj256ELj13ELNS0_17block_load_methodE3ELS4_3ELS4_3ELNS0_20block_scan_algorithmE0ELj4294967295EEENS1_25partition_config_selectorILNS1_17partition_subalgoE3EjNS0_10empty_typeEbEEZZNS1_14partition_implILS8_3ELb0ES6_jNS0_17counting_iteratorIjlEEPS9_SE_NS0_5tupleIJPjSE_EEENSF_IJSE_SE_EEES9_SG_JZNS1_25segmented_radix_sort_implINS0_14default_configELb0EPKlPlSM_SN_N2at6native12_GLOBAL__N_18offset_tEEE10hipError_tPvRmT1_PNSt15iterator_traitsISV_E10value_typeET2_T3_PNSW_IS11_E10value_typeET4_jRbjT5_S17_jjP12ihipStream_tbEUljE_EEESS_ST_SU_S11_S15_S17_T6_T7_T9_mT8_S19_bDpT10_ENKUlT_T0_E_clISt17integral_constantIbLb1EES1M_EEDaS1H_S1I_EUlS1H_E_NS1_11comp_targetILNS1_3genE0ELNS1_11target_archE4294967295ELNS1_3gpuE0ELNS1_3repE0EEENS1_30default_config_static_selectorELNS0_4arch9wavefront6targetE0EEEvSV_, .Lfunc_end783-_ZN7rocprim17ROCPRIM_400000_NS6detail17trampoline_kernelINS0_13select_configILj256ELj13ELNS0_17block_load_methodE3ELS4_3ELS4_3ELNS0_20block_scan_algorithmE0ELj4294967295EEENS1_25partition_config_selectorILNS1_17partition_subalgoE3EjNS0_10empty_typeEbEEZZNS1_14partition_implILS8_3ELb0ES6_jNS0_17counting_iteratorIjlEEPS9_SE_NS0_5tupleIJPjSE_EEENSF_IJSE_SE_EEES9_SG_JZNS1_25segmented_radix_sort_implINS0_14default_configELb0EPKlPlSM_SN_N2at6native12_GLOBAL__N_18offset_tEEE10hipError_tPvRmT1_PNSt15iterator_traitsISV_E10value_typeET2_T3_PNSW_IS11_E10value_typeET4_jRbjT5_S17_jjP12ihipStream_tbEUljE_EEESS_ST_SU_S11_S15_S17_T6_T7_T9_mT8_S19_bDpT10_ENKUlT_T0_E_clISt17integral_constantIbLb1EES1M_EEDaS1H_S1I_EUlS1H_E_NS1_11comp_targetILNS1_3genE0ELNS1_11target_archE4294967295ELNS1_3gpuE0ELNS1_3repE0EEENS1_30default_config_static_selectorELNS0_4arch9wavefront6targetE0EEEvSV_
                                        ; -- End function
	.section	.AMDGPU.csdata,"",@progbits
; Kernel info:
; codeLenInByte = 0
; NumSgprs: 0
; NumVgprs: 0
; ScratchSize: 0
; MemoryBound: 0
; FloatMode: 240
; IeeeMode: 1
; LDSByteSize: 0 bytes/workgroup (compile time only)
; SGPRBlocks: 0
; VGPRBlocks: 0
; NumSGPRsForWavesPerEU: 1
; NumVGPRsForWavesPerEU: 1
; Occupancy: 16
; WaveLimiterHint : 0
; COMPUTE_PGM_RSRC2:SCRATCH_EN: 0
; COMPUTE_PGM_RSRC2:USER_SGPR: 15
; COMPUTE_PGM_RSRC2:TRAP_HANDLER: 0
; COMPUTE_PGM_RSRC2:TGID_X_EN: 1
; COMPUTE_PGM_RSRC2:TGID_Y_EN: 0
; COMPUTE_PGM_RSRC2:TGID_Z_EN: 0
; COMPUTE_PGM_RSRC2:TIDIG_COMP_CNT: 0
	.section	.text._ZN7rocprim17ROCPRIM_400000_NS6detail17trampoline_kernelINS0_13select_configILj256ELj13ELNS0_17block_load_methodE3ELS4_3ELS4_3ELNS0_20block_scan_algorithmE0ELj4294967295EEENS1_25partition_config_selectorILNS1_17partition_subalgoE3EjNS0_10empty_typeEbEEZZNS1_14partition_implILS8_3ELb0ES6_jNS0_17counting_iteratorIjlEEPS9_SE_NS0_5tupleIJPjSE_EEENSF_IJSE_SE_EEES9_SG_JZNS1_25segmented_radix_sort_implINS0_14default_configELb0EPKlPlSM_SN_N2at6native12_GLOBAL__N_18offset_tEEE10hipError_tPvRmT1_PNSt15iterator_traitsISV_E10value_typeET2_T3_PNSW_IS11_E10value_typeET4_jRbjT5_S17_jjP12ihipStream_tbEUljE_EEESS_ST_SU_S11_S15_S17_T6_T7_T9_mT8_S19_bDpT10_ENKUlT_T0_E_clISt17integral_constantIbLb1EES1M_EEDaS1H_S1I_EUlS1H_E_NS1_11comp_targetILNS1_3genE5ELNS1_11target_archE942ELNS1_3gpuE9ELNS1_3repE0EEENS1_30default_config_static_selectorELNS0_4arch9wavefront6targetE0EEEvSV_,"axG",@progbits,_ZN7rocprim17ROCPRIM_400000_NS6detail17trampoline_kernelINS0_13select_configILj256ELj13ELNS0_17block_load_methodE3ELS4_3ELS4_3ELNS0_20block_scan_algorithmE0ELj4294967295EEENS1_25partition_config_selectorILNS1_17partition_subalgoE3EjNS0_10empty_typeEbEEZZNS1_14partition_implILS8_3ELb0ES6_jNS0_17counting_iteratorIjlEEPS9_SE_NS0_5tupleIJPjSE_EEENSF_IJSE_SE_EEES9_SG_JZNS1_25segmented_radix_sort_implINS0_14default_configELb0EPKlPlSM_SN_N2at6native12_GLOBAL__N_18offset_tEEE10hipError_tPvRmT1_PNSt15iterator_traitsISV_E10value_typeET2_T3_PNSW_IS11_E10value_typeET4_jRbjT5_S17_jjP12ihipStream_tbEUljE_EEESS_ST_SU_S11_S15_S17_T6_T7_T9_mT8_S19_bDpT10_ENKUlT_T0_E_clISt17integral_constantIbLb1EES1M_EEDaS1H_S1I_EUlS1H_E_NS1_11comp_targetILNS1_3genE5ELNS1_11target_archE942ELNS1_3gpuE9ELNS1_3repE0EEENS1_30default_config_static_selectorELNS0_4arch9wavefront6targetE0EEEvSV_,comdat
	.globl	_ZN7rocprim17ROCPRIM_400000_NS6detail17trampoline_kernelINS0_13select_configILj256ELj13ELNS0_17block_load_methodE3ELS4_3ELS4_3ELNS0_20block_scan_algorithmE0ELj4294967295EEENS1_25partition_config_selectorILNS1_17partition_subalgoE3EjNS0_10empty_typeEbEEZZNS1_14partition_implILS8_3ELb0ES6_jNS0_17counting_iteratorIjlEEPS9_SE_NS0_5tupleIJPjSE_EEENSF_IJSE_SE_EEES9_SG_JZNS1_25segmented_radix_sort_implINS0_14default_configELb0EPKlPlSM_SN_N2at6native12_GLOBAL__N_18offset_tEEE10hipError_tPvRmT1_PNSt15iterator_traitsISV_E10value_typeET2_T3_PNSW_IS11_E10value_typeET4_jRbjT5_S17_jjP12ihipStream_tbEUljE_EEESS_ST_SU_S11_S15_S17_T6_T7_T9_mT8_S19_bDpT10_ENKUlT_T0_E_clISt17integral_constantIbLb1EES1M_EEDaS1H_S1I_EUlS1H_E_NS1_11comp_targetILNS1_3genE5ELNS1_11target_archE942ELNS1_3gpuE9ELNS1_3repE0EEENS1_30default_config_static_selectorELNS0_4arch9wavefront6targetE0EEEvSV_ ; -- Begin function _ZN7rocprim17ROCPRIM_400000_NS6detail17trampoline_kernelINS0_13select_configILj256ELj13ELNS0_17block_load_methodE3ELS4_3ELS4_3ELNS0_20block_scan_algorithmE0ELj4294967295EEENS1_25partition_config_selectorILNS1_17partition_subalgoE3EjNS0_10empty_typeEbEEZZNS1_14partition_implILS8_3ELb0ES6_jNS0_17counting_iteratorIjlEEPS9_SE_NS0_5tupleIJPjSE_EEENSF_IJSE_SE_EEES9_SG_JZNS1_25segmented_radix_sort_implINS0_14default_configELb0EPKlPlSM_SN_N2at6native12_GLOBAL__N_18offset_tEEE10hipError_tPvRmT1_PNSt15iterator_traitsISV_E10value_typeET2_T3_PNSW_IS11_E10value_typeET4_jRbjT5_S17_jjP12ihipStream_tbEUljE_EEESS_ST_SU_S11_S15_S17_T6_T7_T9_mT8_S19_bDpT10_ENKUlT_T0_E_clISt17integral_constantIbLb1EES1M_EEDaS1H_S1I_EUlS1H_E_NS1_11comp_targetILNS1_3genE5ELNS1_11target_archE942ELNS1_3gpuE9ELNS1_3repE0EEENS1_30default_config_static_selectorELNS0_4arch9wavefront6targetE0EEEvSV_
	.p2align	8
	.type	_ZN7rocprim17ROCPRIM_400000_NS6detail17trampoline_kernelINS0_13select_configILj256ELj13ELNS0_17block_load_methodE3ELS4_3ELS4_3ELNS0_20block_scan_algorithmE0ELj4294967295EEENS1_25partition_config_selectorILNS1_17partition_subalgoE3EjNS0_10empty_typeEbEEZZNS1_14partition_implILS8_3ELb0ES6_jNS0_17counting_iteratorIjlEEPS9_SE_NS0_5tupleIJPjSE_EEENSF_IJSE_SE_EEES9_SG_JZNS1_25segmented_radix_sort_implINS0_14default_configELb0EPKlPlSM_SN_N2at6native12_GLOBAL__N_18offset_tEEE10hipError_tPvRmT1_PNSt15iterator_traitsISV_E10value_typeET2_T3_PNSW_IS11_E10value_typeET4_jRbjT5_S17_jjP12ihipStream_tbEUljE_EEESS_ST_SU_S11_S15_S17_T6_T7_T9_mT8_S19_bDpT10_ENKUlT_T0_E_clISt17integral_constantIbLb1EES1M_EEDaS1H_S1I_EUlS1H_E_NS1_11comp_targetILNS1_3genE5ELNS1_11target_archE942ELNS1_3gpuE9ELNS1_3repE0EEENS1_30default_config_static_selectorELNS0_4arch9wavefront6targetE0EEEvSV_,@function
_ZN7rocprim17ROCPRIM_400000_NS6detail17trampoline_kernelINS0_13select_configILj256ELj13ELNS0_17block_load_methodE3ELS4_3ELS4_3ELNS0_20block_scan_algorithmE0ELj4294967295EEENS1_25partition_config_selectorILNS1_17partition_subalgoE3EjNS0_10empty_typeEbEEZZNS1_14partition_implILS8_3ELb0ES6_jNS0_17counting_iteratorIjlEEPS9_SE_NS0_5tupleIJPjSE_EEENSF_IJSE_SE_EEES9_SG_JZNS1_25segmented_radix_sort_implINS0_14default_configELb0EPKlPlSM_SN_N2at6native12_GLOBAL__N_18offset_tEEE10hipError_tPvRmT1_PNSt15iterator_traitsISV_E10value_typeET2_T3_PNSW_IS11_E10value_typeET4_jRbjT5_S17_jjP12ihipStream_tbEUljE_EEESS_ST_SU_S11_S15_S17_T6_T7_T9_mT8_S19_bDpT10_ENKUlT_T0_E_clISt17integral_constantIbLb1EES1M_EEDaS1H_S1I_EUlS1H_E_NS1_11comp_targetILNS1_3genE5ELNS1_11target_archE942ELNS1_3gpuE9ELNS1_3repE0EEENS1_30default_config_static_selectorELNS0_4arch9wavefront6targetE0EEEvSV_: ; @_ZN7rocprim17ROCPRIM_400000_NS6detail17trampoline_kernelINS0_13select_configILj256ELj13ELNS0_17block_load_methodE3ELS4_3ELS4_3ELNS0_20block_scan_algorithmE0ELj4294967295EEENS1_25partition_config_selectorILNS1_17partition_subalgoE3EjNS0_10empty_typeEbEEZZNS1_14partition_implILS8_3ELb0ES6_jNS0_17counting_iteratorIjlEEPS9_SE_NS0_5tupleIJPjSE_EEENSF_IJSE_SE_EEES9_SG_JZNS1_25segmented_radix_sort_implINS0_14default_configELb0EPKlPlSM_SN_N2at6native12_GLOBAL__N_18offset_tEEE10hipError_tPvRmT1_PNSt15iterator_traitsISV_E10value_typeET2_T3_PNSW_IS11_E10value_typeET4_jRbjT5_S17_jjP12ihipStream_tbEUljE_EEESS_ST_SU_S11_S15_S17_T6_T7_T9_mT8_S19_bDpT10_ENKUlT_T0_E_clISt17integral_constantIbLb1EES1M_EEDaS1H_S1I_EUlS1H_E_NS1_11comp_targetILNS1_3genE5ELNS1_11target_archE942ELNS1_3gpuE9ELNS1_3repE0EEENS1_30default_config_static_selectorELNS0_4arch9wavefront6targetE0EEEvSV_
; %bb.0:
	.section	.rodata,"a",@progbits
	.p2align	6, 0x0
	.amdhsa_kernel _ZN7rocprim17ROCPRIM_400000_NS6detail17trampoline_kernelINS0_13select_configILj256ELj13ELNS0_17block_load_methodE3ELS4_3ELS4_3ELNS0_20block_scan_algorithmE0ELj4294967295EEENS1_25partition_config_selectorILNS1_17partition_subalgoE3EjNS0_10empty_typeEbEEZZNS1_14partition_implILS8_3ELb0ES6_jNS0_17counting_iteratorIjlEEPS9_SE_NS0_5tupleIJPjSE_EEENSF_IJSE_SE_EEES9_SG_JZNS1_25segmented_radix_sort_implINS0_14default_configELb0EPKlPlSM_SN_N2at6native12_GLOBAL__N_18offset_tEEE10hipError_tPvRmT1_PNSt15iterator_traitsISV_E10value_typeET2_T3_PNSW_IS11_E10value_typeET4_jRbjT5_S17_jjP12ihipStream_tbEUljE_EEESS_ST_SU_S11_S15_S17_T6_T7_T9_mT8_S19_bDpT10_ENKUlT_T0_E_clISt17integral_constantIbLb1EES1M_EEDaS1H_S1I_EUlS1H_E_NS1_11comp_targetILNS1_3genE5ELNS1_11target_archE942ELNS1_3gpuE9ELNS1_3repE0EEENS1_30default_config_static_selectorELNS0_4arch9wavefront6targetE0EEEvSV_
		.amdhsa_group_segment_fixed_size 0
		.amdhsa_private_segment_fixed_size 0
		.amdhsa_kernarg_size 152
		.amdhsa_user_sgpr_count 15
		.amdhsa_user_sgpr_dispatch_ptr 0
		.amdhsa_user_sgpr_queue_ptr 0
		.amdhsa_user_sgpr_kernarg_segment_ptr 1
		.amdhsa_user_sgpr_dispatch_id 0
		.amdhsa_user_sgpr_private_segment_size 0
		.amdhsa_wavefront_size32 1
		.amdhsa_uses_dynamic_stack 0
		.amdhsa_enable_private_segment 0
		.amdhsa_system_sgpr_workgroup_id_x 1
		.amdhsa_system_sgpr_workgroup_id_y 0
		.amdhsa_system_sgpr_workgroup_id_z 0
		.amdhsa_system_sgpr_workgroup_info 0
		.amdhsa_system_vgpr_workitem_id 0
		.amdhsa_next_free_vgpr 1
		.amdhsa_next_free_sgpr 1
		.amdhsa_reserve_vcc 0
		.amdhsa_float_round_mode_32 0
		.amdhsa_float_round_mode_16_64 0
		.amdhsa_float_denorm_mode_32 3
		.amdhsa_float_denorm_mode_16_64 3
		.amdhsa_dx10_clamp 1
		.amdhsa_ieee_mode 1
		.amdhsa_fp16_overflow 0
		.amdhsa_workgroup_processor_mode 1
		.amdhsa_memory_ordered 1
		.amdhsa_forward_progress 0
		.amdhsa_shared_vgpr_count 0
		.amdhsa_exception_fp_ieee_invalid_op 0
		.amdhsa_exception_fp_denorm_src 0
		.amdhsa_exception_fp_ieee_div_zero 0
		.amdhsa_exception_fp_ieee_overflow 0
		.amdhsa_exception_fp_ieee_underflow 0
		.amdhsa_exception_fp_ieee_inexact 0
		.amdhsa_exception_int_div_zero 0
	.end_amdhsa_kernel
	.section	.text._ZN7rocprim17ROCPRIM_400000_NS6detail17trampoline_kernelINS0_13select_configILj256ELj13ELNS0_17block_load_methodE3ELS4_3ELS4_3ELNS0_20block_scan_algorithmE0ELj4294967295EEENS1_25partition_config_selectorILNS1_17partition_subalgoE3EjNS0_10empty_typeEbEEZZNS1_14partition_implILS8_3ELb0ES6_jNS0_17counting_iteratorIjlEEPS9_SE_NS0_5tupleIJPjSE_EEENSF_IJSE_SE_EEES9_SG_JZNS1_25segmented_radix_sort_implINS0_14default_configELb0EPKlPlSM_SN_N2at6native12_GLOBAL__N_18offset_tEEE10hipError_tPvRmT1_PNSt15iterator_traitsISV_E10value_typeET2_T3_PNSW_IS11_E10value_typeET4_jRbjT5_S17_jjP12ihipStream_tbEUljE_EEESS_ST_SU_S11_S15_S17_T6_T7_T9_mT8_S19_bDpT10_ENKUlT_T0_E_clISt17integral_constantIbLb1EES1M_EEDaS1H_S1I_EUlS1H_E_NS1_11comp_targetILNS1_3genE5ELNS1_11target_archE942ELNS1_3gpuE9ELNS1_3repE0EEENS1_30default_config_static_selectorELNS0_4arch9wavefront6targetE0EEEvSV_,"axG",@progbits,_ZN7rocprim17ROCPRIM_400000_NS6detail17trampoline_kernelINS0_13select_configILj256ELj13ELNS0_17block_load_methodE3ELS4_3ELS4_3ELNS0_20block_scan_algorithmE0ELj4294967295EEENS1_25partition_config_selectorILNS1_17partition_subalgoE3EjNS0_10empty_typeEbEEZZNS1_14partition_implILS8_3ELb0ES6_jNS0_17counting_iteratorIjlEEPS9_SE_NS0_5tupleIJPjSE_EEENSF_IJSE_SE_EEES9_SG_JZNS1_25segmented_radix_sort_implINS0_14default_configELb0EPKlPlSM_SN_N2at6native12_GLOBAL__N_18offset_tEEE10hipError_tPvRmT1_PNSt15iterator_traitsISV_E10value_typeET2_T3_PNSW_IS11_E10value_typeET4_jRbjT5_S17_jjP12ihipStream_tbEUljE_EEESS_ST_SU_S11_S15_S17_T6_T7_T9_mT8_S19_bDpT10_ENKUlT_T0_E_clISt17integral_constantIbLb1EES1M_EEDaS1H_S1I_EUlS1H_E_NS1_11comp_targetILNS1_3genE5ELNS1_11target_archE942ELNS1_3gpuE9ELNS1_3repE0EEENS1_30default_config_static_selectorELNS0_4arch9wavefront6targetE0EEEvSV_,comdat
.Lfunc_end784:
	.size	_ZN7rocprim17ROCPRIM_400000_NS6detail17trampoline_kernelINS0_13select_configILj256ELj13ELNS0_17block_load_methodE3ELS4_3ELS4_3ELNS0_20block_scan_algorithmE0ELj4294967295EEENS1_25partition_config_selectorILNS1_17partition_subalgoE3EjNS0_10empty_typeEbEEZZNS1_14partition_implILS8_3ELb0ES6_jNS0_17counting_iteratorIjlEEPS9_SE_NS0_5tupleIJPjSE_EEENSF_IJSE_SE_EEES9_SG_JZNS1_25segmented_radix_sort_implINS0_14default_configELb0EPKlPlSM_SN_N2at6native12_GLOBAL__N_18offset_tEEE10hipError_tPvRmT1_PNSt15iterator_traitsISV_E10value_typeET2_T3_PNSW_IS11_E10value_typeET4_jRbjT5_S17_jjP12ihipStream_tbEUljE_EEESS_ST_SU_S11_S15_S17_T6_T7_T9_mT8_S19_bDpT10_ENKUlT_T0_E_clISt17integral_constantIbLb1EES1M_EEDaS1H_S1I_EUlS1H_E_NS1_11comp_targetILNS1_3genE5ELNS1_11target_archE942ELNS1_3gpuE9ELNS1_3repE0EEENS1_30default_config_static_selectorELNS0_4arch9wavefront6targetE0EEEvSV_, .Lfunc_end784-_ZN7rocprim17ROCPRIM_400000_NS6detail17trampoline_kernelINS0_13select_configILj256ELj13ELNS0_17block_load_methodE3ELS4_3ELS4_3ELNS0_20block_scan_algorithmE0ELj4294967295EEENS1_25partition_config_selectorILNS1_17partition_subalgoE3EjNS0_10empty_typeEbEEZZNS1_14partition_implILS8_3ELb0ES6_jNS0_17counting_iteratorIjlEEPS9_SE_NS0_5tupleIJPjSE_EEENSF_IJSE_SE_EEES9_SG_JZNS1_25segmented_radix_sort_implINS0_14default_configELb0EPKlPlSM_SN_N2at6native12_GLOBAL__N_18offset_tEEE10hipError_tPvRmT1_PNSt15iterator_traitsISV_E10value_typeET2_T3_PNSW_IS11_E10value_typeET4_jRbjT5_S17_jjP12ihipStream_tbEUljE_EEESS_ST_SU_S11_S15_S17_T6_T7_T9_mT8_S19_bDpT10_ENKUlT_T0_E_clISt17integral_constantIbLb1EES1M_EEDaS1H_S1I_EUlS1H_E_NS1_11comp_targetILNS1_3genE5ELNS1_11target_archE942ELNS1_3gpuE9ELNS1_3repE0EEENS1_30default_config_static_selectorELNS0_4arch9wavefront6targetE0EEEvSV_
                                        ; -- End function
	.section	.AMDGPU.csdata,"",@progbits
; Kernel info:
; codeLenInByte = 0
; NumSgprs: 0
; NumVgprs: 0
; ScratchSize: 0
; MemoryBound: 0
; FloatMode: 240
; IeeeMode: 1
; LDSByteSize: 0 bytes/workgroup (compile time only)
; SGPRBlocks: 0
; VGPRBlocks: 0
; NumSGPRsForWavesPerEU: 1
; NumVGPRsForWavesPerEU: 1
; Occupancy: 16
; WaveLimiterHint : 0
; COMPUTE_PGM_RSRC2:SCRATCH_EN: 0
; COMPUTE_PGM_RSRC2:USER_SGPR: 15
; COMPUTE_PGM_RSRC2:TRAP_HANDLER: 0
; COMPUTE_PGM_RSRC2:TGID_X_EN: 1
; COMPUTE_PGM_RSRC2:TGID_Y_EN: 0
; COMPUTE_PGM_RSRC2:TGID_Z_EN: 0
; COMPUTE_PGM_RSRC2:TIDIG_COMP_CNT: 0
	.section	.text._ZN7rocprim17ROCPRIM_400000_NS6detail17trampoline_kernelINS0_13select_configILj256ELj13ELNS0_17block_load_methodE3ELS4_3ELS4_3ELNS0_20block_scan_algorithmE0ELj4294967295EEENS1_25partition_config_selectorILNS1_17partition_subalgoE3EjNS0_10empty_typeEbEEZZNS1_14partition_implILS8_3ELb0ES6_jNS0_17counting_iteratorIjlEEPS9_SE_NS0_5tupleIJPjSE_EEENSF_IJSE_SE_EEES9_SG_JZNS1_25segmented_radix_sort_implINS0_14default_configELb0EPKlPlSM_SN_N2at6native12_GLOBAL__N_18offset_tEEE10hipError_tPvRmT1_PNSt15iterator_traitsISV_E10value_typeET2_T3_PNSW_IS11_E10value_typeET4_jRbjT5_S17_jjP12ihipStream_tbEUljE_EEESS_ST_SU_S11_S15_S17_T6_T7_T9_mT8_S19_bDpT10_ENKUlT_T0_E_clISt17integral_constantIbLb1EES1M_EEDaS1H_S1I_EUlS1H_E_NS1_11comp_targetILNS1_3genE4ELNS1_11target_archE910ELNS1_3gpuE8ELNS1_3repE0EEENS1_30default_config_static_selectorELNS0_4arch9wavefront6targetE0EEEvSV_,"axG",@progbits,_ZN7rocprim17ROCPRIM_400000_NS6detail17trampoline_kernelINS0_13select_configILj256ELj13ELNS0_17block_load_methodE3ELS4_3ELS4_3ELNS0_20block_scan_algorithmE0ELj4294967295EEENS1_25partition_config_selectorILNS1_17partition_subalgoE3EjNS0_10empty_typeEbEEZZNS1_14partition_implILS8_3ELb0ES6_jNS0_17counting_iteratorIjlEEPS9_SE_NS0_5tupleIJPjSE_EEENSF_IJSE_SE_EEES9_SG_JZNS1_25segmented_radix_sort_implINS0_14default_configELb0EPKlPlSM_SN_N2at6native12_GLOBAL__N_18offset_tEEE10hipError_tPvRmT1_PNSt15iterator_traitsISV_E10value_typeET2_T3_PNSW_IS11_E10value_typeET4_jRbjT5_S17_jjP12ihipStream_tbEUljE_EEESS_ST_SU_S11_S15_S17_T6_T7_T9_mT8_S19_bDpT10_ENKUlT_T0_E_clISt17integral_constantIbLb1EES1M_EEDaS1H_S1I_EUlS1H_E_NS1_11comp_targetILNS1_3genE4ELNS1_11target_archE910ELNS1_3gpuE8ELNS1_3repE0EEENS1_30default_config_static_selectorELNS0_4arch9wavefront6targetE0EEEvSV_,comdat
	.globl	_ZN7rocprim17ROCPRIM_400000_NS6detail17trampoline_kernelINS0_13select_configILj256ELj13ELNS0_17block_load_methodE3ELS4_3ELS4_3ELNS0_20block_scan_algorithmE0ELj4294967295EEENS1_25partition_config_selectorILNS1_17partition_subalgoE3EjNS0_10empty_typeEbEEZZNS1_14partition_implILS8_3ELb0ES6_jNS0_17counting_iteratorIjlEEPS9_SE_NS0_5tupleIJPjSE_EEENSF_IJSE_SE_EEES9_SG_JZNS1_25segmented_radix_sort_implINS0_14default_configELb0EPKlPlSM_SN_N2at6native12_GLOBAL__N_18offset_tEEE10hipError_tPvRmT1_PNSt15iterator_traitsISV_E10value_typeET2_T3_PNSW_IS11_E10value_typeET4_jRbjT5_S17_jjP12ihipStream_tbEUljE_EEESS_ST_SU_S11_S15_S17_T6_T7_T9_mT8_S19_bDpT10_ENKUlT_T0_E_clISt17integral_constantIbLb1EES1M_EEDaS1H_S1I_EUlS1H_E_NS1_11comp_targetILNS1_3genE4ELNS1_11target_archE910ELNS1_3gpuE8ELNS1_3repE0EEENS1_30default_config_static_selectorELNS0_4arch9wavefront6targetE0EEEvSV_ ; -- Begin function _ZN7rocprim17ROCPRIM_400000_NS6detail17trampoline_kernelINS0_13select_configILj256ELj13ELNS0_17block_load_methodE3ELS4_3ELS4_3ELNS0_20block_scan_algorithmE0ELj4294967295EEENS1_25partition_config_selectorILNS1_17partition_subalgoE3EjNS0_10empty_typeEbEEZZNS1_14partition_implILS8_3ELb0ES6_jNS0_17counting_iteratorIjlEEPS9_SE_NS0_5tupleIJPjSE_EEENSF_IJSE_SE_EEES9_SG_JZNS1_25segmented_radix_sort_implINS0_14default_configELb0EPKlPlSM_SN_N2at6native12_GLOBAL__N_18offset_tEEE10hipError_tPvRmT1_PNSt15iterator_traitsISV_E10value_typeET2_T3_PNSW_IS11_E10value_typeET4_jRbjT5_S17_jjP12ihipStream_tbEUljE_EEESS_ST_SU_S11_S15_S17_T6_T7_T9_mT8_S19_bDpT10_ENKUlT_T0_E_clISt17integral_constantIbLb1EES1M_EEDaS1H_S1I_EUlS1H_E_NS1_11comp_targetILNS1_3genE4ELNS1_11target_archE910ELNS1_3gpuE8ELNS1_3repE0EEENS1_30default_config_static_selectorELNS0_4arch9wavefront6targetE0EEEvSV_
	.p2align	8
	.type	_ZN7rocprim17ROCPRIM_400000_NS6detail17trampoline_kernelINS0_13select_configILj256ELj13ELNS0_17block_load_methodE3ELS4_3ELS4_3ELNS0_20block_scan_algorithmE0ELj4294967295EEENS1_25partition_config_selectorILNS1_17partition_subalgoE3EjNS0_10empty_typeEbEEZZNS1_14partition_implILS8_3ELb0ES6_jNS0_17counting_iteratorIjlEEPS9_SE_NS0_5tupleIJPjSE_EEENSF_IJSE_SE_EEES9_SG_JZNS1_25segmented_radix_sort_implINS0_14default_configELb0EPKlPlSM_SN_N2at6native12_GLOBAL__N_18offset_tEEE10hipError_tPvRmT1_PNSt15iterator_traitsISV_E10value_typeET2_T3_PNSW_IS11_E10value_typeET4_jRbjT5_S17_jjP12ihipStream_tbEUljE_EEESS_ST_SU_S11_S15_S17_T6_T7_T9_mT8_S19_bDpT10_ENKUlT_T0_E_clISt17integral_constantIbLb1EES1M_EEDaS1H_S1I_EUlS1H_E_NS1_11comp_targetILNS1_3genE4ELNS1_11target_archE910ELNS1_3gpuE8ELNS1_3repE0EEENS1_30default_config_static_selectorELNS0_4arch9wavefront6targetE0EEEvSV_,@function
_ZN7rocprim17ROCPRIM_400000_NS6detail17trampoline_kernelINS0_13select_configILj256ELj13ELNS0_17block_load_methodE3ELS4_3ELS4_3ELNS0_20block_scan_algorithmE0ELj4294967295EEENS1_25partition_config_selectorILNS1_17partition_subalgoE3EjNS0_10empty_typeEbEEZZNS1_14partition_implILS8_3ELb0ES6_jNS0_17counting_iteratorIjlEEPS9_SE_NS0_5tupleIJPjSE_EEENSF_IJSE_SE_EEES9_SG_JZNS1_25segmented_radix_sort_implINS0_14default_configELb0EPKlPlSM_SN_N2at6native12_GLOBAL__N_18offset_tEEE10hipError_tPvRmT1_PNSt15iterator_traitsISV_E10value_typeET2_T3_PNSW_IS11_E10value_typeET4_jRbjT5_S17_jjP12ihipStream_tbEUljE_EEESS_ST_SU_S11_S15_S17_T6_T7_T9_mT8_S19_bDpT10_ENKUlT_T0_E_clISt17integral_constantIbLb1EES1M_EEDaS1H_S1I_EUlS1H_E_NS1_11comp_targetILNS1_3genE4ELNS1_11target_archE910ELNS1_3gpuE8ELNS1_3repE0EEENS1_30default_config_static_selectorELNS0_4arch9wavefront6targetE0EEEvSV_: ; @_ZN7rocprim17ROCPRIM_400000_NS6detail17trampoline_kernelINS0_13select_configILj256ELj13ELNS0_17block_load_methodE3ELS4_3ELS4_3ELNS0_20block_scan_algorithmE0ELj4294967295EEENS1_25partition_config_selectorILNS1_17partition_subalgoE3EjNS0_10empty_typeEbEEZZNS1_14partition_implILS8_3ELb0ES6_jNS0_17counting_iteratorIjlEEPS9_SE_NS0_5tupleIJPjSE_EEENSF_IJSE_SE_EEES9_SG_JZNS1_25segmented_radix_sort_implINS0_14default_configELb0EPKlPlSM_SN_N2at6native12_GLOBAL__N_18offset_tEEE10hipError_tPvRmT1_PNSt15iterator_traitsISV_E10value_typeET2_T3_PNSW_IS11_E10value_typeET4_jRbjT5_S17_jjP12ihipStream_tbEUljE_EEESS_ST_SU_S11_S15_S17_T6_T7_T9_mT8_S19_bDpT10_ENKUlT_T0_E_clISt17integral_constantIbLb1EES1M_EEDaS1H_S1I_EUlS1H_E_NS1_11comp_targetILNS1_3genE4ELNS1_11target_archE910ELNS1_3gpuE8ELNS1_3repE0EEENS1_30default_config_static_selectorELNS0_4arch9wavefront6targetE0EEEvSV_
; %bb.0:
	.section	.rodata,"a",@progbits
	.p2align	6, 0x0
	.amdhsa_kernel _ZN7rocprim17ROCPRIM_400000_NS6detail17trampoline_kernelINS0_13select_configILj256ELj13ELNS0_17block_load_methodE3ELS4_3ELS4_3ELNS0_20block_scan_algorithmE0ELj4294967295EEENS1_25partition_config_selectorILNS1_17partition_subalgoE3EjNS0_10empty_typeEbEEZZNS1_14partition_implILS8_3ELb0ES6_jNS0_17counting_iteratorIjlEEPS9_SE_NS0_5tupleIJPjSE_EEENSF_IJSE_SE_EEES9_SG_JZNS1_25segmented_radix_sort_implINS0_14default_configELb0EPKlPlSM_SN_N2at6native12_GLOBAL__N_18offset_tEEE10hipError_tPvRmT1_PNSt15iterator_traitsISV_E10value_typeET2_T3_PNSW_IS11_E10value_typeET4_jRbjT5_S17_jjP12ihipStream_tbEUljE_EEESS_ST_SU_S11_S15_S17_T6_T7_T9_mT8_S19_bDpT10_ENKUlT_T0_E_clISt17integral_constantIbLb1EES1M_EEDaS1H_S1I_EUlS1H_E_NS1_11comp_targetILNS1_3genE4ELNS1_11target_archE910ELNS1_3gpuE8ELNS1_3repE0EEENS1_30default_config_static_selectorELNS0_4arch9wavefront6targetE0EEEvSV_
		.amdhsa_group_segment_fixed_size 0
		.amdhsa_private_segment_fixed_size 0
		.amdhsa_kernarg_size 152
		.amdhsa_user_sgpr_count 15
		.amdhsa_user_sgpr_dispatch_ptr 0
		.amdhsa_user_sgpr_queue_ptr 0
		.amdhsa_user_sgpr_kernarg_segment_ptr 1
		.amdhsa_user_sgpr_dispatch_id 0
		.amdhsa_user_sgpr_private_segment_size 0
		.amdhsa_wavefront_size32 1
		.amdhsa_uses_dynamic_stack 0
		.amdhsa_enable_private_segment 0
		.amdhsa_system_sgpr_workgroup_id_x 1
		.amdhsa_system_sgpr_workgroup_id_y 0
		.amdhsa_system_sgpr_workgroup_id_z 0
		.amdhsa_system_sgpr_workgroup_info 0
		.amdhsa_system_vgpr_workitem_id 0
		.amdhsa_next_free_vgpr 1
		.amdhsa_next_free_sgpr 1
		.amdhsa_reserve_vcc 0
		.amdhsa_float_round_mode_32 0
		.amdhsa_float_round_mode_16_64 0
		.amdhsa_float_denorm_mode_32 3
		.amdhsa_float_denorm_mode_16_64 3
		.amdhsa_dx10_clamp 1
		.amdhsa_ieee_mode 1
		.amdhsa_fp16_overflow 0
		.amdhsa_workgroup_processor_mode 1
		.amdhsa_memory_ordered 1
		.amdhsa_forward_progress 0
		.amdhsa_shared_vgpr_count 0
		.amdhsa_exception_fp_ieee_invalid_op 0
		.amdhsa_exception_fp_denorm_src 0
		.amdhsa_exception_fp_ieee_div_zero 0
		.amdhsa_exception_fp_ieee_overflow 0
		.amdhsa_exception_fp_ieee_underflow 0
		.amdhsa_exception_fp_ieee_inexact 0
		.amdhsa_exception_int_div_zero 0
	.end_amdhsa_kernel
	.section	.text._ZN7rocprim17ROCPRIM_400000_NS6detail17trampoline_kernelINS0_13select_configILj256ELj13ELNS0_17block_load_methodE3ELS4_3ELS4_3ELNS0_20block_scan_algorithmE0ELj4294967295EEENS1_25partition_config_selectorILNS1_17partition_subalgoE3EjNS0_10empty_typeEbEEZZNS1_14partition_implILS8_3ELb0ES6_jNS0_17counting_iteratorIjlEEPS9_SE_NS0_5tupleIJPjSE_EEENSF_IJSE_SE_EEES9_SG_JZNS1_25segmented_radix_sort_implINS0_14default_configELb0EPKlPlSM_SN_N2at6native12_GLOBAL__N_18offset_tEEE10hipError_tPvRmT1_PNSt15iterator_traitsISV_E10value_typeET2_T3_PNSW_IS11_E10value_typeET4_jRbjT5_S17_jjP12ihipStream_tbEUljE_EEESS_ST_SU_S11_S15_S17_T6_T7_T9_mT8_S19_bDpT10_ENKUlT_T0_E_clISt17integral_constantIbLb1EES1M_EEDaS1H_S1I_EUlS1H_E_NS1_11comp_targetILNS1_3genE4ELNS1_11target_archE910ELNS1_3gpuE8ELNS1_3repE0EEENS1_30default_config_static_selectorELNS0_4arch9wavefront6targetE0EEEvSV_,"axG",@progbits,_ZN7rocprim17ROCPRIM_400000_NS6detail17trampoline_kernelINS0_13select_configILj256ELj13ELNS0_17block_load_methodE3ELS4_3ELS4_3ELNS0_20block_scan_algorithmE0ELj4294967295EEENS1_25partition_config_selectorILNS1_17partition_subalgoE3EjNS0_10empty_typeEbEEZZNS1_14partition_implILS8_3ELb0ES6_jNS0_17counting_iteratorIjlEEPS9_SE_NS0_5tupleIJPjSE_EEENSF_IJSE_SE_EEES9_SG_JZNS1_25segmented_radix_sort_implINS0_14default_configELb0EPKlPlSM_SN_N2at6native12_GLOBAL__N_18offset_tEEE10hipError_tPvRmT1_PNSt15iterator_traitsISV_E10value_typeET2_T3_PNSW_IS11_E10value_typeET4_jRbjT5_S17_jjP12ihipStream_tbEUljE_EEESS_ST_SU_S11_S15_S17_T6_T7_T9_mT8_S19_bDpT10_ENKUlT_T0_E_clISt17integral_constantIbLb1EES1M_EEDaS1H_S1I_EUlS1H_E_NS1_11comp_targetILNS1_3genE4ELNS1_11target_archE910ELNS1_3gpuE8ELNS1_3repE0EEENS1_30default_config_static_selectorELNS0_4arch9wavefront6targetE0EEEvSV_,comdat
.Lfunc_end785:
	.size	_ZN7rocprim17ROCPRIM_400000_NS6detail17trampoline_kernelINS0_13select_configILj256ELj13ELNS0_17block_load_methodE3ELS4_3ELS4_3ELNS0_20block_scan_algorithmE0ELj4294967295EEENS1_25partition_config_selectorILNS1_17partition_subalgoE3EjNS0_10empty_typeEbEEZZNS1_14partition_implILS8_3ELb0ES6_jNS0_17counting_iteratorIjlEEPS9_SE_NS0_5tupleIJPjSE_EEENSF_IJSE_SE_EEES9_SG_JZNS1_25segmented_radix_sort_implINS0_14default_configELb0EPKlPlSM_SN_N2at6native12_GLOBAL__N_18offset_tEEE10hipError_tPvRmT1_PNSt15iterator_traitsISV_E10value_typeET2_T3_PNSW_IS11_E10value_typeET4_jRbjT5_S17_jjP12ihipStream_tbEUljE_EEESS_ST_SU_S11_S15_S17_T6_T7_T9_mT8_S19_bDpT10_ENKUlT_T0_E_clISt17integral_constantIbLb1EES1M_EEDaS1H_S1I_EUlS1H_E_NS1_11comp_targetILNS1_3genE4ELNS1_11target_archE910ELNS1_3gpuE8ELNS1_3repE0EEENS1_30default_config_static_selectorELNS0_4arch9wavefront6targetE0EEEvSV_, .Lfunc_end785-_ZN7rocprim17ROCPRIM_400000_NS6detail17trampoline_kernelINS0_13select_configILj256ELj13ELNS0_17block_load_methodE3ELS4_3ELS4_3ELNS0_20block_scan_algorithmE0ELj4294967295EEENS1_25partition_config_selectorILNS1_17partition_subalgoE3EjNS0_10empty_typeEbEEZZNS1_14partition_implILS8_3ELb0ES6_jNS0_17counting_iteratorIjlEEPS9_SE_NS0_5tupleIJPjSE_EEENSF_IJSE_SE_EEES9_SG_JZNS1_25segmented_radix_sort_implINS0_14default_configELb0EPKlPlSM_SN_N2at6native12_GLOBAL__N_18offset_tEEE10hipError_tPvRmT1_PNSt15iterator_traitsISV_E10value_typeET2_T3_PNSW_IS11_E10value_typeET4_jRbjT5_S17_jjP12ihipStream_tbEUljE_EEESS_ST_SU_S11_S15_S17_T6_T7_T9_mT8_S19_bDpT10_ENKUlT_T0_E_clISt17integral_constantIbLb1EES1M_EEDaS1H_S1I_EUlS1H_E_NS1_11comp_targetILNS1_3genE4ELNS1_11target_archE910ELNS1_3gpuE8ELNS1_3repE0EEENS1_30default_config_static_selectorELNS0_4arch9wavefront6targetE0EEEvSV_
                                        ; -- End function
	.section	.AMDGPU.csdata,"",@progbits
; Kernel info:
; codeLenInByte = 0
; NumSgprs: 0
; NumVgprs: 0
; ScratchSize: 0
; MemoryBound: 0
; FloatMode: 240
; IeeeMode: 1
; LDSByteSize: 0 bytes/workgroup (compile time only)
; SGPRBlocks: 0
; VGPRBlocks: 0
; NumSGPRsForWavesPerEU: 1
; NumVGPRsForWavesPerEU: 1
; Occupancy: 16
; WaveLimiterHint : 0
; COMPUTE_PGM_RSRC2:SCRATCH_EN: 0
; COMPUTE_PGM_RSRC2:USER_SGPR: 15
; COMPUTE_PGM_RSRC2:TRAP_HANDLER: 0
; COMPUTE_PGM_RSRC2:TGID_X_EN: 1
; COMPUTE_PGM_RSRC2:TGID_Y_EN: 0
; COMPUTE_PGM_RSRC2:TGID_Z_EN: 0
; COMPUTE_PGM_RSRC2:TIDIG_COMP_CNT: 0
	.section	.text._ZN7rocprim17ROCPRIM_400000_NS6detail17trampoline_kernelINS0_13select_configILj256ELj13ELNS0_17block_load_methodE3ELS4_3ELS4_3ELNS0_20block_scan_algorithmE0ELj4294967295EEENS1_25partition_config_selectorILNS1_17partition_subalgoE3EjNS0_10empty_typeEbEEZZNS1_14partition_implILS8_3ELb0ES6_jNS0_17counting_iteratorIjlEEPS9_SE_NS0_5tupleIJPjSE_EEENSF_IJSE_SE_EEES9_SG_JZNS1_25segmented_radix_sort_implINS0_14default_configELb0EPKlPlSM_SN_N2at6native12_GLOBAL__N_18offset_tEEE10hipError_tPvRmT1_PNSt15iterator_traitsISV_E10value_typeET2_T3_PNSW_IS11_E10value_typeET4_jRbjT5_S17_jjP12ihipStream_tbEUljE_EEESS_ST_SU_S11_S15_S17_T6_T7_T9_mT8_S19_bDpT10_ENKUlT_T0_E_clISt17integral_constantIbLb1EES1M_EEDaS1H_S1I_EUlS1H_E_NS1_11comp_targetILNS1_3genE3ELNS1_11target_archE908ELNS1_3gpuE7ELNS1_3repE0EEENS1_30default_config_static_selectorELNS0_4arch9wavefront6targetE0EEEvSV_,"axG",@progbits,_ZN7rocprim17ROCPRIM_400000_NS6detail17trampoline_kernelINS0_13select_configILj256ELj13ELNS0_17block_load_methodE3ELS4_3ELS4_3ELNS0_20block_scan_algorithmE0ELj4294967295EEENS1_25partition_config_selectorILNS1_17partition_subalgoE3EjNS0_10empty_typeEbEEZZNS1_14partition_implILS8_3ELb0ES6_jNS0_17counting_iteratorIjlEEPS9_SE_NS0_5tupleIJPjSE_EEENSF_IJSE_SE_EEES9_SG_JZNS1_25segmented_radix_sort_implINS0_14default_configELb0EPKlPlSM_SN_N2at6native12_GLOBAL__N_18offset_tEEE10hipError_tPvRmT1_PNSt15iterator_traitsISV_E10value_typeET2_T3_PNSW_IS11_E10value_typeET4_jRbjT5_S17_jjP12ihipStream_tbEUljE_EEESS_ST_SU_S11_S15_S17_T6_T7_T9_mT8_S19_bDpT10_ENKUlT_T0_E_clISt17integral_constantIbLb1EES1M_EEDaS1H_S1I_EUlS1H_E_NS1_11comp_targetILNS1_3genE3ELNS1_11target_archE908ELNS1_3gpuE7ELNS1_3repE0EEENS1_30default_config_static_selectorELNS0_4arch9wavefront6targetE0EEEvSV_,comdat
	.globl	_ZN7rocprim17ROCPRIM_400000_NS6detail17trampoline_kernelINS0_13select_configILj256ELj13ELNS0_17block_load_methodE3ELS4_3ELS4_3ELNS0_20block_scan_algorithmE0ELj4294967295EEENS1_25partition_config_selectorILNS1_17partition_subalgoE3EjNS0_10empty_typeEbEEZZNS1_14partition_implILS8_3ELb0ES6_jNS0_17counting_iteratorIjlEEPS9_SE_NS0_5tupleIJPjSE_EEENSF_IJSE_SE_EEES9_SG_JZNS1_25segmented_radix_sort_implINS0_14default_configELb0EPKlPlSM_SN_N2at6native12_GLOBAL__N_18offset_tEEE10hipError_tPvRmT1_PNSt15iterator_traitsISV_E10value_typeET2_T3_PNSW_IS11_E10value_typeET4_jRbjT5_S17_jjP12ihipStream_tbEUljE_EEESS_ST_SU_S11_S15_S17_T6_T7_T9_mT8_S19_bDpT10_ENKUlT_T0_E_clISt17integral_constantIbLb1EES1M_EEDaS1H_S1I_EUlS1H_E_NS1_11comp_targetILNS1_3genE3ELNS1_11target_archE908ELNS1_3gpuE7ELNS1_3repE0EEENS1_30default_config_static_selectorELNS0_4arch9wavefront6targetE0EEEvSV_ ; -- Begin function _ZN7rocprim17ROCPRIM_400000_NS6detail17trampoline_kernelINS0_13select_configILj256ELj13ELNS0_17block_load_methodE3ELS4_3ELS4_3ELNS0_20block_scan_algorithmE0ELj4294967295EEENS1_25partition_config_selectorILNS1_17partition_subalgoE3EjNS0_10empty_typeEbEEZZNS1_14partition_implILS8_3ELb0ES6_jNS0_17counting_iteratorIjlEEPS9_SE_NS0_5tupleIJPjSE_EEENSF_IJSE_SE_EEES9_SG_JZNS1_25segmented_radix_sort_implINS0_14default_configELb0EPKlPlSM_SN_N2at6native12_GLOBAL__N_18offset_tEEE10hipError_tPvRmT1_PNSt15iterator_traitsISV_E10value_typeET2_T3_PNSW_IS11_E10value_typeET4_jRbjT5_S17_jjP12ihipStream_tbEUljE_EEESS_ST_SU_S11_S15_S17_T6_T7_T9_mT8_S19_bDpT10_ENKUlT_T0_E_clISt17integral_constantIbLb1EES1M_EEDaS1H_S1I_EUlS1H_E_NS1_11comp_targetILNS1_3genE3ELNS1_11target_archE908ELNS1_3gpuE7ELNS1_3repE0EEENS1_30default_config_static_selectorELNS0_4arch9wavefront6targetE0EEEvSV_
	.p2align	8
	.type	_ZN7rocprim17ROCPRIM_400000_NS6detail17trampoline_kernelINS0_13select_configILj256ELj13ELNS0_17block_load_methodE3ELS4_3ELS4_3ELNS0_20block_scan_algorithmE0ELj4294967295EEENS1_25partition_config_selectorILNS1_17partition_subalgoE3EjNS0_10empty_typeEbEEZZNS1_14partition_implILS8_3ELb0ES6_jNS0_17counting_iteratorIjlEEPS9_SE_NS0_5tupleIJPjSE_EEENSF_IJSE_SE_EEES9_SG_JZNS1_25segmented_radix_sort_implINS0_14default_configELb0EPKlPlSM_SN_N2at6native12_GLOBAL__N_18offset_tEEE10hipError_tPvRmT1_PNSt15iterator_traitsISV_E10value_typeET2_T3_PNSW_IS11_E10value_typeET4_jRbjT5_S17_jjP12ihipStream_tbEUljE_EEESS_ST_SU_S11_S15_S17_T6_T7_T9_mT8_S19_bDpT10_ENKUlT_T0_E_clISt17integral_constantIbLb1EES1M_EEDaS1H_S1I_EUlS1H_E_NS1_11comp_targetILNS1_3genE3ELNS1_11target_archE908ELNS1_3gpuE7ELNS1_3repE0EEENS1_30default_config_static_selectorELNS0_4arch9wavefront6targetE0EEEvSV_,@function
_ZN7rocprim17ROCPRIM_400000_NS6detail17trampoline_kernelINS0_13select_configILj256ELj13ELNS0_17block_load_methodE3ELS4_3ELS4_3ELNS0_20block_scan_algorithmE0ELj4294967295EEENS1_25partition_config_selectorILNS1_17partition_subalgoE3EjNS0_10empty_typeEbEEZZNS1_14partition_implILS8_3ELb0ES6_jNS0_17counting_iteratorIjlEEPS9_SE_NS0_5tupleIJPjSE_EEENSF_IJSE_SE_EEES9_SG_JZNS1_25segmented_radix_sort_implINS0_14default_configELb0EPKlPlSM_SN_N2at6native12_GLOBAL__N_18offset_tEEE10hipError_tPvRmT1_PNSt15iterator_traitsISV_E10value_typeET2_T3_PNSW_IS11_E10value_typeET4_jRbjT5_S17_jjP12ihipStream_tbEUljE_EEESS_ST_SU_S11_S15_S17_T6_T7_T9_mT8_S19_bDpT10_ENKUlT_T0_E_clISt17integral_constantIbLb1EES1M_EEDaS1H_S1I_EUlS1H_E_NS1_11comp_targetILNS1_3genE3ELNS1_11target_archE908ELNS1_3gpuE7ELNS1_3repE0EEENS1_30default_config_static_selectorELNS0_4arch9wavefront6targetE0EEEvSV_: ; @_ZN7rocprim17ROCPRIM_400000_NS6detail17trampoline_kernelINS0_13select_configILj256ELj13ELNS0_17block_load_methodE3ELS4_3ELS4_3ELNS0_20block_scan_algorithmE0ELj4294967295EEENS1_25partition_config_selectorILNS1_17partition_subalgoE3EjNS0_10empty_typeEbEEZZNS1_14partition_implILS8_3ELb0ES6_jNS0_17counting_iteratorIjlEEPS9_SE_NS0_5tupleIJPjSE_EEENSF_IJSE_SE_EEES9_SG_JZNS1_25segmented_radix_sort_implINS0_14default_configELb0EPKlPlSM_SN_N2at6native12_GLOBAL__N_18offset_tEEE10hipError_tPvRmT1_PNSt15iterator_traitsISV_E10value_typeET2_T3_PNSW_IS11_E10value_typeET4_jRbjT5_S17_jjP12ihipStream_tbEUljE_EEESS_ST_SU_S11_S15_S17_T6_T7_T9_mT8_S19_bDpT10_ENKUlT_T0_E_clISt17integral_constantIbLb1EES1M_EEDaS1H_S1I_EUlS1H_E_NS1_11comp_targetILNS1_3genE3ELNS1_11target_archE908ELNS1_3gpuE7ELNS1_3repE0EEENS1_30default_config_static_selectorELNS0_4arch9wavefront6targetE0EEEvSV_
; %bb.0:
	.section	.rodata,"a",@progbits
	.p2align	6, 0x0
	.amdhsa_kernel _ZN7rocprim17ROCPRIM_400000_NS6detail17trampoline_kernelINS0_13select_configILj256ELj13ELNS0_17block_load_methodE3ELS4_3ELS4_3ELNS0_20block_scan_algorithmE0ELj4294967295EEENS1_25partition_config_selectorILNS1_17partition_subalgoE3EjNS0_10empty_typeEbEEZZNS1_14partition_implILS8_3ELb0ES6_jNS0_17counting_iteratorIjlEEPS9_SE_NS0_5tupleIJPjSE_EEENSF_IJSE_SE_EEES9_SG_JZNS1_25segmented_radix_sort_implINS0_14default_configELb0EPKlPlSM_SN_N2at6native12_GLOBAL__N_18offset_tEEE10hipError_tPvRmT1_PNSt15iterator_traitsISV_E10value_typeET2_T3_PNSW_IS11_E10value_typeET4_jRbjT5_S17_jjP12ihipStream_tbEUljE_EEESS_ST_SU_S11_S15_S17_T6_T7_T9_mT8_S19_bDpT10_ENKUlT_T0_E_clISt17integral_constantIbLb1EES1M_EEDaS1H_S1I_EUlS1H_E_NS1_11comp_targetILNS1_3genE3ELNS1_11target_archE908ELNS1_3gpuE7ELNS1_3repE0EEENS1_30default_config_static_selectorELNS0_4arch9wavefront6targetE0EEEvSV_
		.amdhsa_group_segment_fixed_size 0
		.amdhsa_private_segment_fixed_size 0
		.amdhsa_kernarg_size 152
		.amdhsa_user_sgpr_count 15
		.amdhsa_user_sgpr_dispatch_ptr 0
		.amdhsa_user_sgpr_queue_ptr 0
		.amdhsa_user_sgpr_kernarg_segment_ptr 1
		.amdhsa_user_sgpr_dispatch_id 0
		.amdhsa_user_sgpr_private_segment_size 0
		.amdhsa_wavefront_size32 1
		.amdhsa_uses_dynamic_stack 0
		.amdhsa_enable_private_segment 0
		.amdhsa_system_sgpr_workgroup_id_x 1
		.amdhsa_system_sgpr_workgroup_id_y 0
		.amdhsa_system_sgpr_workgroup_id_z 0
		.amdhsa_system_sgpr_workgroup_info 0
		.amdhsa_system_vgpr_workitem_id 0
		.amdhsa_next_free_vgpr 1
		.amdhsa_next_free_sgpr 1
		.amdhsa_reserve_vcc 0
		.amdhsa_float_round_mode_32 0
		.amdhsa_float_round_mode_16_64 0
		.amdhsa_float_denorm_mode_32 3
		.amdhsa_float_denorm_mode_16_64 3
		.amdhsa_dx10_clamp 1
		.amdhsa_ieee_mode 1
		.amdhsa_fp16_overflow 0
		.amdhsa_workgroup_processor_mode 1
		.amdhsa_memory_ordered 1
		.amdhsa_forward_progress 0
		.amdhsa_shared_vgpr_count 0
		.amdhsa_exception_fp_ieee_invalid_op 0
		.amdhsa_exception_fp_denorm_src 0
		.amdhsa_exception_fp_ieee_div_zero 0
		.amdhsa_exception_fp_ieee_overflow 0
		.amdhsa_exception_fp_ieee_underflow 0
		.amdhsa_exception_fp_ieee_inexact 0
		.amdhsa_exception_int_div_zero 0
	.end_amdhsa_kernel
	.section	.text._ZN7rocprim17ROCPRIM_400000_NS6detail17trampoline_kernelINS0_13select_configILj256ELj13ELNS0_17block_load_methodE3ELS4_3ELS4_3ELNS0_20block_scan_algorithmE0ELj4294967295EEENS1_25partition_config_selectorILNS1_17partition_subalgoE3EjNS0_10empty_typeEbEEZZNS1_14partition_implILS8_3ELb0ES6_jNS0_17counting_iteratorIjlEEPS9_SE_NS0_5tupleIJPjSE_EEENSF_IJSE_SE_EEES9_SG_JZNS1_25segmented_radix_sort_implINS0_14default_configELb0EPKlPlSM_SN_N2at6native12_GLOBAL__N_18offset_tEEE10hipError_tPvRmT1_PNSt15iterator_traitsISV_E10value_typeET2_T3_PNSW_IS11_E10value_typeET4_jRbjT5_S17_jjP12ihipStream_tbEUljE_EEESS_ST_SU_S11_S15_S17_T6_T7_T9_mT8_S19_bDpT10_ENKUlT_T0_E_clISt17integral_constantIbLb1EES1M_EEDaS1H_S1I_EUlS1H_E_NS1_11comp_targetILNS1_3genE3ELNS1_11target_archE908ELNS1_3gpuE7ELNS1_3repE0EEENS1_30default_config_static_selectorELNS0_4arch9wavefront6targetE0EEEvSV_,"axG",@progbits,_ZN7rocprim17ROCPRIM_400000_NS6detail17trampoline_kernelINS0_13select_configILj256ELj13ELNS0_17block_load_methodE3ELS4_3ELS4_3ELNS0_20block_scan_algorithmE0ELj4294967295EEENS1_25partition_config_selectorILNS1_17partition_subalgoE3EjNS0_10empty_typeEbEEZZNS1_14partition_implILS8_3ELb0ES6_jNS0_17counting_iteratorIjlEEPS9_SE_NS0_5tupleIJPjSE_EEENSF_IJSE_SE_EEES9_SG_JZNS1_25segmented_radix_sort_implINS0_14default_configELb0EPKlPlSM_SN_N2at6native12_GLOBAL__N_18offset_tEEE10hipError_tPvRmT1_PNSt15iterator_traitsISV_E10value_typeET2_T3_PNSW_IS11_E10value_typeET4_jRbjT5_S17_jjP12ihipStream_tbEUljE_EEESS_ST_SU_S11_S15_S17_T6_T7_T9_mT8_S19_bDpT10_ENKUlT_T0_E_clISt17integral_constantIbLb1EES1M_EEDaS1H_S1I_EUlS1H_E_NS1_11comp_targetILNS1_3genE3ELNS1_11target_archE908ELNS1_3gpuE7ELNS1_3repE0EEENS1_30default_config_static_selectorELNS0_4arch9wavefront6targetE0EEEvSV_,comdat
.Lfunc_end786:
	.size	_ZN7rocprim17ROCPRIM_400000_NS6detail17trampoline_kernelINS0_13select_configILj256ELj13ELNS0_17block_load_methodE3ELS4_3ELS4_3ELNS0_20block_scan_algorithmE0ELj4294967295EEENS1_25partition_config_selectorILNS1_17partition_subalgoE3EjNS0_10empty_typeEbEEZZNS1_14partition_implILS8_3ELb0ES6_jNS0_17counting_iteratorIjlEEPS9_SE_NS0_5tupleIJPjSE_EEENSF_IJSE_SE_EEES9_SG_JZNS1_25segmented_radix_sort_implINS0_14default_configELb0EPKlPlSM_SN_N2at6native12_GLOBAL__N_18offset_tEEE10hipError_tPvRmT1_PNSt15iterator_traitsISV_E10value_typeET2_T3_PNSW_IS11_E10value_typeET4_jRbjT5_S17_jjP12ihipStream_tbEUljE_EEESS_ST_SU_S11_S15_S17_T6_T7_T9_mT8_S19_bDpT10_ENKUlT_T0_E_clISt17integral_constantIbLb1EES1M_EEDaS1H_S1I_EUlS1H_E_NS1_11comp_targetILNS1_3genE3ELNS1_11target_archE908ELNS1_3gpuE7ELNS1_3repE0EEENS1_30default_config_static_selectorELNS0_4arch9wavefront6targetE0EEEvSV_, .Lfunc_end786-_ZN7rocprim17ROCPRIM_400000_NS6detail17trampoline_kernelINS0_13select_configILj256ELj13ELNS0_17block_load_methodE3ELS4_3ELS4_3ELNS0_20block_scan_algorithmE0ELj4294967295EEENS1_25partition_config_selectorILNS1_17partition_subalgoE3EjNS0_10empty_typeEbEEZZNS1_14partition_implILS8_3ELb0ES6_jNS0_17counting_iteratorIjlEEPS9_SE_NS0_5tupleIJPjSE_EEENSF_IJSE_SE_EEES9_SG_JZNS1_25segmented_radix_sort_implINS0_14default_configELb0EPKlPlSM_SN_N2at6native12_GLOBAL__N_18offset_tEEE10hipError_tPvRmT1_PNSt15iterator_traitsISV_E10value_typeET2_T3_PNSW_IS11_E10value_typeET4_jRbjT5_S17_jjP12ihipStream_tbEUljE_EEESS_ST_SU_S11_S15_S17_T6_T7_T9_mT8_S19_bDpT10_ENKUlT_T0_E_clISt17integral_constantIbLb1EES1M_EEDaS1H_S1I_EUlS1H_E_NS1_11comp_targetILNS1_3genE3ELNS1_11target_archE908ELNS1_3gpuE7ELNS1_3repE0EEENS1_30default_config_static_selectorELNS0_4arch9wavefront6targetE0EEEvSV_
                                        ; -- End function
	.section	.AMDGPU.csdata,"",@progbits
; Kernel info:
; codeLenInByte = 0
; NumSgprs: 0
; NumVgprs: 0
; ScratchSize: 0
; MemoryBound: 0
; FloatMode: 240
; IeeeMode: 1
; LDSByteSize: 0 bytes/workgroup (compile time only)
; SGPRBlocks: 0
; VGPRBlocks: 0
; NumSGPRsForWavesPerEU: 1
; NumVGPRsForWavesPerEU: 1
; Occupancy: 16
; WaveLimiterHint : 0
; COMPUTE_PGM_RSRC2:SCRATCH_EN: 0
; COMPUTE_PGM_RSRC2:USER_SGPR: 15
; COMPUTE_PGM_RSRC2:TRAP_HANDLER: 0
; COMPUTE_PGM_RSRC2:TGID_X_EN: 1
; COMPUTE_PGM_RSRC2:TGID_Y_EN: 0
; COMPUTE_PGM_RSRC2:TGID_Z_EN: 0
; COMPUTE_PGM_RSRC2:TIDIG_COMP_CNT: 0
	.section	.text._ZN7rocprim17ROCPRIM_400000_NS6detail17trampoline_kernelINS0_13select_configILj256ELj13ELNS0_17block_load_methodE3ELS4_3ELS4_3ELNS0_20block_scan_algorithmE0ELj4294967295EEENS1_25partition_config_selectorILNS1_17partition_subalgoE3EjNS0_10empty_typeEbEEZZNS1_14partition_implILS8_3ELb0ES6_jNS0_17counting_iteratorIjlEEPS9_SE_NS0_5tupleIJPjSE_EEENSF_IJSE_SE_EEES9_SG_JZNS1_25segmented_radix_sort_implINS0_14default_configELb0EPKlPlSM_SN_N2at6native12_GLOBAL__N_18offset_tEEE10hipError_tPvRmT1_PNSt15iterator_traitsISV_E10value_typeET2_T3_PNSW_IS11_E10value_typeET4_jRbjT5_S17_jjP12ihipStream_tbEUljE_EEESS_ST_SU_S11_S15_S17_T6_T7_T9_mT8_S19_bDpT10_ENKUlT_T0_E_clISt17integral_constantIbLb1EES1M_EEDaS1H_S1I_EUlS1H_E_NS1_11comp_targetILNS1_3genE2ELNS1_11target_archE906ELNS1_3gpuE6ELNS1_3repE0EEENS1_30default_config_static_selectorELNS0_4arch9wavefront6targetE0EEEvSV_,"axG",@progbits,_ZN7rocprim17ROCPRIM_400000_NS6detail17trampoline_kernelINS0_13select_configILj256ELj13ELNS0_17block_load_methodE3ELS4_3ELS4_3ELNS0_20block_scan_algorithmE0ELj4294967295EEENS1_25partition_config_selectorILNS1_17partition_subalgoE3EjNS0_10empty_typeEbEEZZNS1_14partition_implILS8_3ELb0ES6_jNS0_17counting_iteratorIjlEEPS9_SE_NS0_5tupleIJPjSE_EEENSF_IJSE_SE_EEES9_SG_JZNS1_25segmented_radix_sort_implINS0_14default_configELb0EPKlPlSM_SN_N2at6native12_GLOBAL__N_18offset_tEEE10hipError_tPvRmT1_PNSt15iterator_traitsISV_E10value_typeET2_T3_PNSW_IS11_E10value_typeET4_jRbjT5_S17_jjP12ihipStream_tbEUljE_EEESS_ST_SU_S11_S15_S17_T6_T7_T9_mT8_S19_bDpT10_ENKUlT_T0_E_clISt17integral_constantIbLb1EES1M_EEDaS1H_S1I_EUlS1H_E_NS1_11comp_targetILNS1_3genE2ELNS1_11target_archE906ELNS1_3gpuE6ELNS1_3repE0EEENS1_30default_config_static_selectorELNS0_4arch9wavefront6targetE0EEEvSV_,comdat
	.globl	_ZN7rocprim17ROCPRIM_400000_NS6detail17trampoline_kernelINS0_13select_configILj256ELj13ELNS0_17block_load_methodE3ELS4_3ELS4_3ELNS0_20block_scan_algorithmE0ELj4294967295EEENS1_25partition_config_selectorILNS1_17partition_subalgoE3EjNS0_10empty_typeEbEEZZNS1_14partition_implILS8_3ELb0ES6_jNS0_17counting_iteratorIjlEEPS9_SE_NS0_5tupleIJPjSE_EEENSF_IJSE_SE_EEES9_SG_JZNS1_25segmented_radix_sort_implINS0_14default_configELb0EPKlPlSM_SN_N2at6native12_GLOBAL__N_18offset_tEEE10hipError_tPvRmT1_PNSt15iterator_traitsISV_E10value_typeET2_T3_PNSW_IS11_E10value_typeET4_jRbjT5_S17_jjP12ihipStream_tbEUljE_EEESS_ST_SU_S11_S15_S17_T6_T7_T9_mT8_S19_bDpT10_ENKUlT_T0_E_clISt17integral_constantIbLb1EES1M_EEDaS1H_S1I_EUlS1H_E_NS1_11comp_targetILNS1_3genE2ELNS1_11target_archE906ELNS1_3gpuE6ELNS1_3repE0EEENS1_30default_config_static_selectorELNS0_4arch9wavefront6targetE0EEEvSV_ ; -- Begin function _ZN7rocprim17ROCPRIM_400000_NS6detail17trampoline_kernelINS0_13select_configILj256ELj13ELNS0_17block_load_methodE3ELS4_3ELS4_3ELNS0_20block_scan_algorithmE0ELj4294967295EEENS1_25partition_config_selectorILNS1_17partition_subalgoE3EjNS0_10empty_typeEbEEZZNS1_14partition_implILS8_3ELb0ES6_jNS0_17counting_iteratorIjlEEPS9_SE_NS0_5tupleIJPjSE_EEENSF_IJSE_SE_EEES9_SG_JZNS1_25segmented_radix_sort_implINS0_14default_configELb0EPKlPlSM_SN_N2at6native12_GLOBAL__N_18offset_tEEE10hipError_tPvRmT1_PNSt15iterator_traitsISV_E10value_typeET2_T3_PNSW_IS11_E10value_typeET4_jRbjT5_S17_jjP12ihipStream_tbEUljE_EEESS_ST_SU_S11_S15_S17_T6_T7_T9_mT8_S19_bDpT10_ENKUlT_T0_E_clISt17integral_constantIbLb1EES1M_EEDaS1H_S1I_EUlS1H_E_NS1_11comp_targetILNS1_3genE2ELNS1_11target_archE906ELNS1_3gpuE6ELNS1_3repE0EEENS1_30default_config_static_selectorELNS0_4arch9wavefront6targetE0EEEvSV_
	.p2align	8
	.type	_ZN7rocprim17ROCPRIM_400000_NS6detail17trampoline_kernelINS0_13select_configILj256ELj13ELNS0_17block_load_methodE3ELS4_3ELS4_3ELNS0_20block_scan_algorithmE0ELj4294967295EEENS1_25partition_config_selectorILNS1_17partition_subalgoE3EjNS0_10empty_typeEbEEZZNS1_14partition_implILS8_3ELb0ES6_jNS0_17counting_iteratorIjlEEPS9_SE_NS0_5tupleIJPjSE_EEENSF_IJSE_SE_EEES9_SG_JZNS1_25segmented_radix_sort_implINS0_14default_configELb0EPKlPlSM_SN_N2at6native12_GLOBAL__N_18offset_tEEE10hipError_tPvRmT1_PNSt15iterator_traitsISV_E10value_typeET2_T3_PNSW_IS11_E10value_typeET4_jRbjT5_S17_jjP12ihipStream_tbEUljE_EEESS_ST_SU_S11_S15_S17_T6_T7_T9_mT8_S19_bDpT10_ENKUlT_T0_E_clISt17integral_constantIbLb1EES1M_EEDaS1H_S1I_EUlS1H_E_NS1_11comp_targetILNS1_3genE2ELNS1_11target_archE906ELNS1_3gpuE6ELNS1_3repE0EEENS1_30default_config_static_selectorELNS0_4arch9wavefront6targetE0EEEvSV_,@function
_ZN7rocprim17ROCPRIM_400000_NS6detail17trampoline_kernelINS0_13select_configILj256ELj13ELNS0_17block_load_methodE3ELS4_3ELS4_3ELNS0_20block_scan_algorithmE0ELj4294967295EEENS1_25partition_config_selectorILNS1_17partition_subalgoE3EjNS0_10empty_typeEbEEZZNS1_14partition_implILS8_3ELb0ES6_jNS0_17counting_iteratorIjlEEPS9_SE_NS0_5tupleIJPjSE_EEENSF_IJSE_SE_EEES9_SG_JZNS1_25segmented_radix_sort_implINS0_14default_configELb0EPKlPlSM_SN_N2at6native12_GLOBAL__N_18offset_tEEE10hipError_tPvRmT1_PNSt15iterator_traitsISV_E10value_typeET2_T3_PNSW_IS11_E10value_typeET4_jRbjT5_S17_jjP12ihipStream_tbEUljE_EEESS_ST_SU_S11_S15_S17_T6_T7_T9_mT8_S19_bDpT10_ENKUlT_T0_E_clISt17integral_constantIbLb1EES1M_EEDaS1H_S1I_EUlS1H_E_NS1_11comp_targetILNS1_3genE2ELNS1_11target_archE906ELNS1_3gpuE6ELNS1_3repE0EEENS1_30default_config_static_selectorELNS0_4arch9wavefront6targetE0EEEvSV_: ; @_ZN7rocprim17ROCPRIM_400000_NS6detail17trampoline_kernelINS0_13select_configILj256ELj13ELNS0_17block_load_methodE3ELS4_3ELS4_3ELNS0_20block_scan_algorithmE0ELj4294967295EEENS1_25partition_config_selectorILNS1_17partition_subalgoE3EjNS0_10empty_typeEbEEZZNS1_14partition_implILS8_3ELb0ES6_jNS0_17counting_iteratorIjlEEPS9_SE_NS0_5tupleIJPjSE_EEENSF_IJSE_SE_EEES9_SG_JZNS1_25segmented_radix_sort_implINS0_14default_configELb0EPKlPlSM_SN_N2at6native12_GLOBAL__N_18offset_tEEE10hipError_tPvRmT1_PNSt15iterator_traitsISV_E10value_typeET2_T3_PNSW_IS11_E10value_typeET4_jRbjT5_S17_jjP12ihipStream_tbEUljE_EEESS_ST_SU_S11_S15_S17_T6_T7_T9_mT8_S19_bDpT10_ENKUlT_T0_E_clISt17integral_constantIbLb1EES1M_EEDaS1H_S1I_EUlS1H_E_NS1_11comp_targetILNS1_3genE2ELNS1_11target_archE906ELNS1_3gpuE6ELNS1_3repE0EEENS1_30default_config_static_selectorELNS0_4arch9wavefront6targetE0EEEvSV_
; %bb.0:
	.section	.rodata,"a",@progbits
	.p2align	6, 0x0
	.amdhsa_kernel _ZN7rocprim17ROCPRIM_400000_NS6detail17trampoline_kernelINS0_13select_configILj256ELj13ELNS0_17block_load_methodE3ELS4_3ELS4_3ELNS0_20block_scan_algorithmE0ELj4294967295EEENS1_25partition_config_selectorILNS1_17partition_subalgoE3EjNS0_10empty_typeEbEEZZNS1_14partition_implILS8_3ELb0ES6_jNS0_17counting_iteratorIjlEEPS9_SE_NS0_5tupleIJPjSE_EEENSF_IJSE_SE_EEES9_SG_JZNS1_25segmented_radix_sort_implINS0_14default_configELb0EPKlPlSM_SN_N2at6native12_GLOBAL__N_18offset_tEEE10hipError_tPvRmT1_PNSt15iterator_traitsISV_E10value_typeET2_T3_PNSW_IS11_E10value_typeET4_jRbjT5_S17_jjP12ihipStream_tbEUljE_EEESS_ST_SU_S11_S15_S17_T6_T7_T9_mT8_S19_bDpT10_ENKUlT_T0_E_clISt17integral_constantIbLb1EES1M_EEDaS1H_S1I_EUlS1H_E_NS1_11comp_targetILNS1_3genE2ELNS1_11target_archE906ELNS1_3gpuE6ELNS1_3repE0EEENS1_30default_config_static_selectorELNS0_4arch9wavefront6targetE0EEEvSV_
		.amdhsa_group_segment_fixed_size 0
		.amdhsa_private_segment_fixed_size 0
		.amdhsa_kernarg_size 152
		.amdhsa_user_sgpr_count 15
		.amdhsa_user_sgpr_dispatch_ptr 0
		.amdhsa_user_sgpr_queue_ptr 0
		.amdhsa_user_sgpr_kernarg_segment_ptr 1
		.amdhsa_user_sgpr_dispatch_id 0
		.amdhsa_user_sgpr_private_segment_size 0
		.amdhsa_wavefront_size32 1
		.amdhsa_uses_dynamic_stack 0
		.amdhsa_enable_private_segment 0
		.amdhsa_system_sgpr_workgroup_id_x 1
		.amdhsa_system_sgpr_workgroup_id_y 0
		.amdhsa_system_sgpr_workgroup_id_z 0
		.amdhsa_system_sgpr_workgroup_info 0
		.amdhsa_system_vgpr_workitem_id 0
		.amdhsa_next_free_vgpr 1
		.amdhsa_next_free_sgpr 1
		.amdhsa_reserve_vcc 0
		.amdhsa_float_round_mode_32 0
		.amdhsa_float_round_mode_16_64 0
		.amdhsa_float_denorm_mode_32 3
		.amdhsa_float_denorm_mode_16_64 3
		.amdhsa_dx10_clamp 1
		.amdhsa_ieee_mode 1
		.amdhsa_fp16_overflow 0
		.amdhsa_workgroup_processor_mode 1
		.amdhsa_memory_ordered 1
		.amdhsa_forward_progress 0
		.amdhsa_shared_vgpr_count 0
		.amdhsa_exception_fp_ieee_invalid_op 0
		.amdhsa_exception_fp_denorm_src 0
		.amdhsa_exception_fp_ieee_div_zero 0
		.amdhsa_exception_fp_ieee_overflow 0
		.amdhsa_exception_fp_ieee_underflow 0
		.amdhsa_exception_fp_ieee_inexact 0
		.amdhsa_exception_int_div_zero 0
	.end_amdhsa_kernel
	.section	.text._ZN7rocprim17ROCPRIM_400000_NS6detail17trampoline_kernelINS0_13select_configILj256ELj13ELNS0_17block_load_methodE3ELS4_3ELS4_3ELNS0_20block_scan_algorithmE0ELj4294967295EEENS1_25partition_config_selectorILNS1_17partition_subalgoE3EjNS0_10empty_typeEbEEZZNS1_14partition_implILS8_3ELb0ES6_jNS0_17counting_iteratorIjlEEPS9_SE_NS0_5tupleIJPjSE_EEENSF_IJSE_SE_EEES9_SG_JZNS1_25segmented_radix_sort_implINS0_14default_configELb0EPKlPlSM_SN_N2at6native12_GLOBAL__N_18offset_tEEE10hipError_tPvRmT1_PNSt15iterator_traitsISV_E10value_typeET2_T3_PNSW_IS11_E10value_typeET4_jRbjT5_S17_jjP12ihipStream_tbEUljE_EEESS_ST_SU_S11_S15_S17_T6_T7_T9_mT8_S19_bDpT10_ENKUlT_T0_E_clISt17integral_constantIbLb1EES1M_EEDaS1H_S1I_EUlS1H_E_NS1_11comp_targetILNS1_3genE2ELNS1_11target_archE906ELNS1_3gpuE6ELNS1_3repE0EEENS1_30default_config_static_selectorELNS0_4arch9wavefront6targetE0EEEvSV_,"axG",@progbits,_ZN7rocprim17ROCPRIM_400000_NS6detail17trampoline_kernelINS0_13select_configILj256ELj13ELNS0_17block_load_methodE3ELS4_3ELS4_3ELNS0_20block_scan_algorithmE0ELj4294967295EEENS1_25partition_config_selectorILNS1_17partition_subalgoE3EjNS0_10empty_typeEbEEZZNS1_14partition_implILS8_3ELb0ES6_jNS0_17counting_iteratorIjlEEPS9_SE_NS0_5tupleIJPjSE_EEENSF_IJSE_SE_EEES9_SG_JZNS1_25segmented_radix_sort_implINS0_14default_configELb0EPKlPlSM_SN_N2at6native12_GLOBAL__N_18offset_tEEE10hipError_tPvRmT1_PNSt15iterator_traitsISV_E10value_typeET2_T3_PNSW_IS11_E10value_typeET4_jRbjT5_S17_jjP12ihipStream_tbEUljE_EEESS_ST_SU_S11_S15_S17_T6_T7_T9_mT8_S19_bDpT10_ENKUlT_T0_E_clISt17integral_constantIbLb1EES1M_EEDaS1H_S1I_EUlS1H_E_NS1_11comp_targetILNS1_3genE2ELNS1_11target_archE906ELNS1_3gpuE6ELNS1_3repE0EEENS1_30default_config_static_selectorELNS0_4arch9wavefront6targetE0EEEvSV_,comdat
.Lfunc_end787:
	.size	_ZN7rocprim17ROCPRIM_400000_NS6detail17trampoline_kernelINS0_13select_configILj256ELj13ELNS0_17block_load_methodE3ELS4_3ELS4_3ELNS0_20block_scan_algorithmE0ELj4294967295EEENS1_25partition_config_selectorILNS1_17partition_subalgoE3EjNS0_10empty_typeEbEEZZNS1_14partition_implILS8_3ELb0ES6_jNS0_17counting_iteratorIjlEEPS9_SE_NS0_5tupleIJPjSE_EEENSF_IJSE_SE_EEES9_SG_JZNS1_25segmented_radix_sort_implINS0_14default_configELb0EPKlPlSM_SN_N2at6native12_GLOBAL__N_18offset_tEEE10hipError_tPvRmT1_PNSt15iterator_traitsISV_E10value_typeET2_T3_PNSW_IS11_E10value_typeET4_jRbjT5_S17_jjP12ihipStream_tbEUljE_EEESS_ST_SU_S11_S15_S17_T6_T7_T9_mT8_S19_bDpT10_ENKUlT_T0_E_clISt17integral_constantIbLb1EES1M_EEDaS1H_S1I_EUlS1H_E_NS1_11comp_targetILNS1_3genE2ELNS1_11target_archE906ELNS1_3gpuE6ELNS1_3repE0EEENS1_30default_config_static_selectorELNS0_4arch9wavefront6targetE0EEEvSV_, .Lfunc_end787-_ZN7rocprim17ROCPRIM_400000_NS6detail17trampoline_kernelINS0_13select_configILj256ELj13ELNS0_17block_load_methodE3ELS4_3ELS4_3ELNS0_20block_scan_algorithmE0ELj4294967295EEENS1_25partition_config_selectorILNS1_17partition_subalgoE3EjNS0_10empty_typeEbEEZZNS1_14partition_implILS8_3ELb0ES6_jNS0_17counting_iteratorIjlEEPS9_SE_NS0_5tupleIJPjSE_EEENSF_IJSE_SE_EEES9_SG_JZNS1_25segmented_radix_sort_implINS0_14default_configELb0EPKlPlSM_SN_N2at6native12_GLOBAL__N_18offset_tEEE10hipError_tPvRmT1_PNSt15iterator_traitsISV_E10value_typeET2_T3_PNSW_IS11_E10value_typeET4_jRbjT5_S17_jjP12ihipStream_tbEUljE_EEESS_ST_SU_S11_S15_S17_T6_T7_T9_mT8_S19_bDpT10_ENKUlT_T0_E_clISt17integral_constantIbLb1EES1M_EEDaS1H_S1I_EUlS1H_E_NS1_11comp_targetILNS1_3genE2ELNS1_11target_archE906ELNS1_3gpuE6ELNS1_3repE0EEENS1_30default_config_static_selectorELNS0_4arch9wavefront6targetE0EEEvSV_
                                        ; -- End function
	.section	.AMDGPU.csdata,"",@progbits
; Kernel info:
; codeLenInByte = 0
; NumSgprs: 0
; NumVgprs: 0
; ScratchSize: 0
; MemoryBound: 0
; FloatMode: 240
; IeeeMode: 1
; LDSByteSize: 0 bytes/workgroup (compile time only)
; SGPRBlocks: 0
; VGPRBlocks: 0
; NumSGPRsForWavesPerEU: 1
; NumVGPRsForWavesPerEU: 1
; Occupancy: 16
; WaveLimiterHint : 0
; COMPUTE_PGM_RSRC2:SCRATCH_EN: 0
; COMPUTE_PGM_RSRC2:USER_SGPR: 15
; COMPUTE_PGM_RSRC2:TRAP_HANDLER: 0
; COMPUTE_PGM_RSRC2:TGID_X_EN: 1
; COMPUTE_PGM_RSRC2:TGID_Y_EN: 0
; COMPUTE_PGM_RSRC2:TGID_Z_EN: 0
; COMPUTE_PGM_RSRC2:TIDIG_COMP_CNT: 0
	.section	.text._ZN7rocprim17ROCPRIM_400000_NS6detail17trampoline_kernelINS0_13select_configILj256ELj13ELNS0_17block_load_methodE3ELS4_3ELS4_3ELNS0_20block_scan_algorithmE0ELj4294967295EEENS1_25partition_config_selectorILNS1_17partition_subalgoE3EjNS0_10empty_typeEbEEZZNS1_14partition_implILS8_3ELb0ES6_jNS0_17counting_iteratorIjlEEPS9_SE_NS0_5tupleIJPjSE_EEENSF_IJSE_SE_EEES9_SG_JZNS1_25segmented_radix_sort_implINS0_14default_configELb0EPKlPlSM_SN_N2at6native12_GLOBAL__N_18offset_tEEE10hipError_tPvRmT1_PNSt15iterator_traitsISV_E10value_typeET2_T3_PNSW_IS11_E10value_typeET4_jRbjT5_S17_jjP12ihipStream_tbEUljE_EEESS_ST_SU_S11_S15_S17_T6_T7_T9_mT8_S19_bDpT10_ENKUlT_T0_E_clISt17integral_constantIbLb1EES1M_EEDaS1H_S1I_EUlS1H_E_NS1_11comp_targetILNS1_3genE10ELNS1_11target_archE1200ELNS1_3gpuE4ELNS1_3repE0EEENS1_30default_config_static_selectorELNS0_4arch9wavefront6targetE0EEEvSV_,"axG",@progbits,_ZN7rocprim17ROCPRIM_400000_NS6detail17trampoline_kernelINS0_13select_configILj256ELj13ELNS0_17block_load_methodE3ELS4_3ELS4_3ELNS0_20block_scan_algorithmE0ELj4294967295EEENS1_25partition_config_selectorILNS1_17partition_subalgoE3EjNS0_10empty_typeEbEEZZNS1_14partition_implILS8_3ELb0ES6_jNS0_17counting_iteratorIjlEEPS9_SE_NS0_5tupleIJPjSE_EEENSF_IJSE_SE_EEES9_SG_JZNS1_25segmented_radix_sort_implINS0_14default_configELb0EPKlPlSM_SN_N2at6native12_GLOBAL__N_18offset_tEEE10hipError_tPvRmT1_PNSt15iterator_traitsISV_E10value_typeET2_T3_PNSW_IS11_E10value_typeET4_jRbjT5_S17_jjP12ihipStream_tbEUljE_EEESS_ST_SU_S11_S15_S17_T6_T7_T9_mT8_S19_bDpT10_ENKUlT_T0_E_clISt17integral_constantIbLb1EES1M_EEDaS1H_S1I_EUlS1H_E_NS1_11comp_targetILNS1_3genE10ELNS1_11target_archE1200ELNS1_3gpuE4ELNS1_3repE0EEENS1_30default_config_static_selectorELNS0_4arch9wavefront6targetE0EEEvSV_,comdat
	.globl	_ZN7rocprim17ROCPRIM_400000_NS6detail17trampoline_kernelINS0_13select_configILj256ELj13ELNS0_17block_load_methodE3ELS4_3ELS4_3ELNS0_20block_scan_algorithmE0ELj4294967295EEENS1_25partition_config_selectorILNS1_17partition_subalgoE3EjNS0_10empty_typeEbEEZZNS1_14partition_implILS8_3ELb0ES6_jNS0_17counting_iteratorIjlEEPS9_SE_NS0_5tupleIJPjSE_EEENSF_IJSE_SE_EEES9_SG_JZNS1_25segmented_radix_sort_implINS0_14default_configELb0EPKlPlSM_SN_N2at6native12_GLOBAL__N_18offset_tEEE10hipError_tPvRmT1_PNSt15iterator_traitsISV_E10value_typeET2_T3_PNSW_IS11_E10value_typeET4_jRbjT5_S17_jjP12ihipStream_tbEUljE_EEESS_ST_SU_S11_S15_S17_T6_T7_T9_mT8_S19_bDpT10_ENKUlT_T0_E_clISt17integral_constantIbLb1EES1M_EEDaS1H_S1I_EUlS1H_E_NS1_11comp_targetILNS1_3genE10ELNS1_11target_archE1200ELNS1_3gpuE4ELNS1_3repE0EEENS1_30default_config_static_selectorELNS0_4arch9wavefront6targetE0EEEvSV_ ; -- Begin function _ZN7rocprim17ROCPRIM_400000_NS6detail17trampoline_kernelINS0_13select_configILj256ELj13ELNS0_17block_load_methodE3ELS4_3ELS4_3ELNS0_20block_scan_algorithmE0ELj4294967295EEENS1_25partition_config_selectorILNS1_17partition_subalgoE3EjNS0_10empty_typeEbEEZZNS1_14partition_implILS8_3ELb0ES6_jNS0_17counting_iteratorIjlEEPS9_SE_NS0_5tupleIJPjSE_EEENSF_IJSE_SE_EEES9_SG_JZNS1_25segmented_radix_sort_implINS0_14default_configELb0EPKlPlSM_SN_N2at6native12_GLOBAL__N_18offset_tEEE10hipError_tPvRmT1_PNSt15iterator_traitsISV_E10value_typeET2_T3_PNSW_IS11_E10value_typeET4_jRbjT5_S17_jjP12ihipStream_tbEUljE_EEESS_ST_SU_S11_S15_S17_T6_T7_T9_mT8_S19_bDpT10_ENKUlT_T0_E_clISt17integral_constantIbLb1EES1M_EEDaS1H_S1I_EUlS1H_E_NS1_11comp_targetILNS1_3genE10ELNS1_11target_archE1200ELNS1_3gpuE4ELNS1_3repE0EEENS1_30default_config_static_selectorELNS0_4arch9wavefront6targetE0EEEvSV_
	.p2align	8
	.type	_ZN7rocprim17ROCPRIM_400000_NS6detail17trampoline_kernelINS0_13select_configILj256ELj13ELNS0_17block_load_methodE3ELS4_3ELS4_3ELNS0_20block_scan_algorithmE0ELj4294967295EEENS1_25partition_config_selectorILNS1_17partition_subalgoE3EjNS0_10empty_typeEbEEZZNS1_14partition_implILS8_3ELb0ES6_jNS0_17counting_iteratorIjlEEPS9_SE_NS0_5tupleIJPjSE_EEENSF_IJSE_SE_EEES9_SG_JZNS1_25segmented_radix_sort_implINS0_14default_configELb0EPKlPlSM_SN_N2at6native12_GLOBAL__N_18offset_tEEE10hipError_tPvRmT1_PNSt15iterator_traitsISV_E10value_typeET2_T3_PNSW_IS11_E10value_typeET4_jRbjT5_S17_jjP12ihipStream_tbEUljE_EEESS_ST_SU_S11_S15_S17_T6_T7_T9_mT8_S19_bDpT10_ENKUlT_T0_E_clISt17integral_constantIbLb1EES1M_EEDaS1H_S1I_EUlS1H_E_NS1_11comp_targetILNS1_3genE10ELNS1_11target_archE1200ELNS1_3gpuE4ELNS1_3repE0EEENS1_30default_config_static_selectorELNS0_4arch9wavefront6targetE0EEEvSV_,@function
_ZN7rocprim17ROCPRIM_400000_NS6detail17trampoline_kernelINS0_13select_configILj256ELj13ELNS0_17block_load_methodE3ELS4_3ELS4_3ELNS0_20block_scan_algorithmE0ELj4294967295EEENS1_25partition_config_selectorILNS1_17partition_subalgoE3EjNS0_10empty_typeEbEEZZNS1_14partition_implILS8_3ELb0ES6_jNS0_17counting_iteratorIjlEEPS9_SE_NS0_5tupleIJPjSE_EEENSF_IJSE_SE_EEES9_SG_JZNS1_25segmented_radix_sort_implINS0_14default_configELb0EPKlPlSM_SN_N2at6native12_GLOBAL__N_18offset_tEEE10hipError_tPvRmT1_PNSt15iterator_traitsISV_E10value_typeET2_T3_PNSW_IS11_E10value_typeET4_jRbjT5_S17_jjP12ihipStream_tbEUljE_EEESS_ST_SU_S11_S15_S17_T6_T7_T9_mT8_S19_bDpT10_ENKUlT_T0_E_clISt17integral_constantIbLb1EES1M_EEDaS1H_S1I_EUlS1H_E_NS1_11comp_targetILNS1_3genE10ELNS1_11target_archE1200ELNS1_3gpuE4ELNS1_3repE0EEENS1_30default_config_static_selectorELNS0_4arch9wavefront6targetE0EEEvSV_: ; @_ZN7rocprim17ROCPRIM_400000_NS6detail17trampoline_kernelINS0_13select_configILj256ELj13ELNS0_17block_load_methodE3ELS4_3ELS4_3ELNS0_20block_scan_algorithmE0ELj4294967295EEENS1_25partition_config_selectorILNS1_17partition_subalgoE3EjNS0_10empty_typeEbEEZZNS1_14partition_implILS8_3ELb0ES6_jNS0_17counting_iteratorIjlEEPS9_SE_NS0_5tupleIJPjSE_EEENSF_IJSE_SE_EEES9_SG_JZNS1_25segmented_radix_sort_implINS0_14default_configELb0EPKlPlSM_SN_N2at6native12_GLOBAL__N_18offset_tEEE10hipError_tPvRmT1_PNSt15iterator_traitsISV_E10value_typeET2_T3_PNSW_IS11_E10value_typeET4_jRbjT5_S17_jjP12ihipStream_tbEUljE_EEESS_ST_SU_S11_S15_S17_T6_T7_T9_mT8_S19_bDpT10_ENKUlT_T0_E_clISt17integral_constantIbLb1EES1M_EEDaS1H_S1I_EUlS1H_E_NS1_11comp_targetILNS1_3genE10ELNS1_11target_archE1200ELNS1_3gpuE4ELNS1_3repE0EEENS1_30default_config_static_selectorELNS0_4arch9wavefront6targetE0EEEvSV_
; %bb.0:
	.section	.rodata,"a",@progbits
	.p2align	6, 0x0
	.amdhsa_kernel _ZN7rocprim17ROCPRIM_400000_NS6detail17trampoline_kernelINS0_13select_configILj256ELj13ELNS0_17block_load_methodE3ELS4_3ELS4_3ELNS0_20block_scan_algorithmE0ELj4294967295EEENS1_25partition_config_selectorILNS1_17partition_subalgoE3EjNS0_10empty_typeEbEEZZNS1_14partition_implILS8_3ELb0ES6_jNS0_17counting_iteratorIjlEEPS9_SE_NS0_5tupleIJPjSE_EEENSF_IJSE_SE_EEES9_SG_JZNS1_25segmented_radix_sort_implINS0_14default_configELb0EPKlPlSM_SN_N2at6native12_GLOBAL__N_18offset_tEEE10hipError_tPvRmT1_PNSt15iterator_traitsISV_E10value_typeET2_T3_PNSW_IS11_E10value_typeET4_jRbjT5_S17_jjP12ihipStream_tbEUljE_EEESS_ST_SU_S11_S15_S17_T6_T7_T9_mT8_S19_bDpT10_ENKUlT_T0_E_clISt17integral_constantIbLb1EES1M_EEDaS1H_S1I_EUlS1H_E_NS1_11comp_targetILNS1_3genE10ELNS1_11target_archE1200ELNS1_3gpuE4ELNS1_3repE0EEENS1_30default_config_static_selectorELNS0_4arch9wavefront6targetE0EEEvSV_
		.amdhsa_group_segment_fixed_size 0
		.amdhsa_private_segment_fixed_size 0
		.amdhsa_kernarg_size 152
		.amdhsa_user_sgpr_count 15
		.amdhsa_user_sgpr_dispatch_ptr 0
		.amdhsa_user_sgpr_queue_ptr 0
		.amdhsa_user_sgpr_kernarg_segment_ptr 1
		.amdhsa_user_sgpr_dispatch_id 0
		.amdhsa_user_sgpr_private_segment_size 0
		.amdhsa_wavefront_size32 1
		.amdhsa_uses_dynamic_stack 0
		.amdhsa_enable_private_segment 0
		.amdhsa_system_sgpr_workgroup_id_x 1
		.amdhsa_system_sgpr_workgroup_id_y 0
		.amdhsa_system_sgpr_workgroup_id_z 0
		.amdhsa_system_sgpr_workgroup_info 0
		.amdhsa_system_vgpr_workitem_id 0
		.amdhsa_next_free_vgpr 1
		.amdhsa_next_free_sgpr 1
		.amdhsa_reserve_vcc 0
		.amdhsa_float_round_mode_32 0
		.amdhsa_float_round_mode_16_64 0
		.amdhsa_float_denorm_mode_32 3
		.amdhsa_float_denorm_mode_16_64 3
		.amdhsa_dx10_clamp 1
		.amdhsa_ieee_mode 1
		.amdhsa_fp16_overflow 0
		.amdhsa_workgroup_processor_mode 1
		.amdhsa_memory_ordered 1
		.amdhsa_forward_progress 0
		.amdhsa_shared_vgpr_count 0
		.amdhsa_exception_fp_ieee_invalid_op 0
		.amdhsa_exception_fp_denorm_src 0
		.amdhsa_exception_fp_ieee_div_zero 0
		.amdhsa_exception_fp_ieee_overflow 0
		.amdhsa_exception_fp_ieee_underflow 0
		.amdhsa_exception_fp_ieee_inexact 0
		.amdhsa_exception_int_div_zero 0
	.end_amdhsa_kernel
	.section	.text._ZN7rocprim17ROCPRIM_400000_NS6detail17trampoline_kernelINS0_13select_configILj256ELj13ELNS0_17block_load_methodE3ELS4_3ELS4_3ELNS0_20block_scan_algorithmE0ELj4294967295EEENS1_25partition_config_selectorILNS1_17partition_subalgoE3EjNS0_10empty_typeEbEEZZNS1_14partition_implILS8_3ELb0ES6_jNS0_17counting_iteratorIjlEEPS9_SE_NS0_5tupleIJPjSE_EEENSF_IJSE_SE_EEES9_SG_JZNS1_25segmented_radix_sort_implINS0_14default_configELb0EPKlPlSM_SN_N2at6native12_GLOBAL__N_18offset_tEEE10hipError_tPvRmT1_PNSt15iterator_traitsISV_E10value_typeET2_T3_PNSW_IS11_E10value_typeET4_jRbjT5_S17_jjP12ihipStream_tbEUljE_EEESS_ST_SU_S11_S15_S17_T6_T7_T9_mT8_S19_bDpT10_ENKUlT_T0_E_clISt17integral_constantIbLb1EES1M_EEDaS1H_S1I_EUlS1H_E_NS1_11comp_targetILNS1_3genE10ELNS1_11target_archE1200ELNS1_3gpuE4ELNS1_3repE0EEENS1_30default_config_static_selectorELNS0_4arch9wavefront6targetE0EEEvSV_,"axG",@progbits,_ZN7rocprim17ROCPRIM_400000_NS6detail17trampoline_kernelINS0_13select_configILj256ELj13ELNS0_17block_load_methodE3ELS4_3ELS4_3ELNS0_20block_scan_algorithmE0ELj4294967295EEENS1_25partition_config_selectorILNS1_17partition_subalgoE3EjNS0_10empty_typeEbEEZZNS1_14partition_implILS8_3ELb0ES6_jNS0_17counting_iteratorIjlEEPS9_SE_NS0_5tupleIJPjSE_EEENSF_IJSE_SE_EEES9_SG_JZNS1_25segmented_radix_sort_implINS0_14default_configELb0EPKlPlSM_SN_N2at6native12_GLOBAL__N_18offset_tEEE10hipError_tPvRmT1_PNSt15iterator_traitsISV_E10value_typeET2_T3_PNSW_IS11_E10value_typeET4_jRbjT5_S17_jjP12ihipStream_tbEUljE_EEESS_ST_SU_S11_S15_S17_T6_T7_T9_mT8_S19_bDpT10_ENKUlT_T0_E_clISt17integral_constantIbLb1EES1M_EEDaS1H_S1I_EUlS1H_E_NS1_11comp_targetILNS1_3genE10ELNS1_11target_archE1200ELNS1_3gpuE4ELNS1_3repE0EEENS1_30default_config_static_selectorELNS0_4arch9wavefront6targetE0EEEvSV_,comdat
.Lfunc_end788:
	.size	_ZN7rocprim17ROCPRIM_400000_NS6detail17trampoline_kernelINS0_13select_configILj256ELj13ELNS0_17block_load_methodE3ELS4_3ELS4_3ELNS0_20block_scan_algorithmE0ELj4294967295EEENS1_25partition_config_selectorILNS1_17partition_subalgoE3EjNS0_10empty_typeEbEEZZNS1_14partition_implILS8_3ELb0ES6_jNS0_17counting_iteratorIjlEEPS9_SE_NS0_5tupleIJPjSE_EEENSF_IJSE_SE_EEES9_SG_JZNS1_25segmented_radix_sort_implINS0_14default_configELb0EPKlPlSM_SN_N2at6native12_GLOBAL__N_18offset_tEEE10hipError_tPvRmT1_PNSt15iterator_traitsISV_E10value_typeET2_T3_PNSW_IS11_E10value_typeET4_jRbjT5_S17_jjP12ihipStream_tbEUljE_EEESS_ST_SU_S11_S15_S17_T6_T7_T9_mT8_S19_bDpT10_ENKUlT_T0_E_clISt17integral_constantIbLb1EES1M_EEDaS1H_S1I_EUlS1H_E_NS1_11comp_targetILNS1_3genE10ELNS1_11target_archE1200ELNS1_3gpuE4ELNS1_3repE0EEENS1_30default_config_static_selectorELNS0_4arch9wavefront6targetE0EEEvSV_, .Lfunc_end788-_ZN7rocprim17ROCPRIM_400000_NS6detail17trampoline_kernelINS0_13select_configILj256ELj13ELNS0_17block_load_methodE3ELS4_3ELS4_3ELNS0_20block_scan_algorithmE0ELj4294967295EEENS1_25partition_config_selectorILNS1_17partition_subalgoE3EjNS0_10empty_typeEbEEZZNS1_14partition_implILS8_3ELb0ES6_jNS0_17counting_iteratorIjlEEPS9_SE_NS0_5tupleIJPjSE_EEENSF_IJSE_SE_EEES9_SG_JZNS1_25segmented_radix_sort_implINS0_14default_configELb0EPKlPlSM_SN_N2at6native12_GLOBAL__N_18offset_tEEE10hipError_tPvRmT1_PNSt15iterator_traitsISV_E10value_typeET2_T3_PNSW_IS11_E10value_typeET4_jRbjT5_S17_jjP12ihipStream_tbEUljE_EEESS_ST_SU_S11_S15_S17_T6_T7_T9_mT8_S19_bDpT10_ENKUlT_T0_E_clISt17integral_constantIbLb1EES1M_EEDaS1H_S1I_EUlS1H_E_NS1_11comp_targetILNS1_3genE10ELNS1_11target_archE1200ELNS1_3gpuE4ELNS1_3repE0EEENS1_30default_config_static_selectorELNS0_4arch9wavefront6targetE0EEEvSV_
                                        ; -- End function
	.section	.AMDGPU.csdata,"",@progbits
; Kernel info:
; codeLenInByte = 0
; NumSgprs: 0
; NumVgprs: 0
; ScratchSize: 0
; MemoryBound: 0
; FloatMode: 240
; IeeeMode: 1
; LDSByteSize: 0 bytes/workgroup (compile time only)
; SGPRBlocks: 0
; VGPRBlocks: 0
; NumSGPRsForWavesPerEU: 1
; NumVGPRsForWavesPerEU: 1
; Occupancy: 16
; WaveLimiterHint : 0
; COMPUTE_PGM_RSRC2:SCRATCH_EN: 0
; COMPUTE_PGM_RSRC2:USER_SGPR: 15
; COMPUTE_PGM_RSRC2:TRAP_HANDLER: 0
; COMPUTE_PGM_RSRC2:TGID_X_EN: 1
; COMPUTE_PGM_RSRC2:TGID_Y_EN: 0
; COMPUTE_PGM_RSRC2:TGID_Z_EN: 0
; COMPUTE_PGM_RSRC2:TIDIG_COMP_CNT: 0
	.section	.text._ZN7rocprim17ROCPRIM_400000_NS6detail17trampoline_kernelINS0_13select_configILj256ELj13ELNS0_17block_load_methodE3ELS4_3ELS4_3ELNS0_20block_scan_algorithmE0ELj4294967295EEENS1_25partition_config_selectorILNS1_17partition_subalgoE3EjNS0_10empty_typeEbEEZZNS1_14partition_implILS8_3ELb0ES6_jNS0_17counting_iteratorIjlEEPS9_SE_NS0_5tupleIJPjSE_EEENSF_IJSE_SE_EEES9_SG_JZNS1_25segmented_radix_sort_implINS0_14default_configELb0EPKlPlSM_SN_N2at6native12_GLOBAL__N_18offset_tEEE10hipError_tPvRmT1_PNSt15iterator_traitsISV_E10value_typeET2_T3_PNSW_IS11_E10value_typeET4_jRbjT5_S17_jjP12ihipStream_tbEUljE_EEESS_ST_SU_S11_S15_S17_T6_T7_T9_mT8_S19_bDpT10_ENKUlT_T0_E_clISt17integral_constantIbLb1EES1M_EEDaS1H_S1I_EUlS1H_E_NS1_11comp_targetILNS1_3genE9ELNS1_11target_archE1100ELNS1_3gpuE3ELNS1_3repE0EEENS1_30default_config_static_selectorELNS0_4arch9wavefront6targetE0EEEvSV_,"axG",@progbits,_ZN7rocprim17ROCPRIM_400000_NS6detail17trampoline_kernelINS0_13select_configILj256ELj13ELNS0_17block_load_methodE3ELS4_3ELS4_3ELNS0_20block_scan_algorithmE0ELj4294967295EEENS1_25partition_config_selectorILNS1_17partition_subalgoE3EjNS0_10empty_typeEbEEZZNS1_14partition_implILS8_3ELb0ES6_jNS0_17counting_iteratorIjlEEPS9_SE_NS0_5tupleIJPjSE_EEENSF_IJSE_SE_EEES9_SG_JZNS1_25segmented_radix_sort_implINS0_14default_configELb0EPKlPlSM_SN_N2at6native12_GLOBAL__N_18offset_tEEE10hipError_tPvRmT1_PNSt15iterator_traitsISV_E10value_typeET2_T3_PNSW_IS11_E10value_typeET4_jRbjT5_S17_jjP12ihipStream_tbEUljE_EEESS_ST_SU_S11_S15_S17_T6_T7_T9_mT8_S19_bDpT10_ENKUlT_T0_E_clISt17integral_constantIbLb1EES1M_EEDaS1H_S1I_EUlS1H_E_NS1_11comp_targetILNS1_3genE9ELNS1_11target_archE1100ELNS1_3gpuE3ELNS1_3repE0EEENS1_30default_config_static_selectorELNS0_4arch9wavefront6targetE0EEEvSV_,comdat
	.globl	_ZN7rocprim17ROCPRIM_400000_NS6detail17trampoline_kernelINS0_13select_configILj256ELj13ELNS0_17block_load_methodE3ELS4_3ELS4_3ELNS0_20block_scan_algorithmE0ELj4294967295EEENS1_25partition_config_selectorILNS1_17partition_subalgoE3EjNS0_10empty_typeEbEEZZNS1_14partition_implILS8_3ELb0ES6_jNS0_17counting_iteratorIjlEEPS9_SE_NS0_5tupleIJPjSE_EEENSF_IJSE_SE_EEES9_SG_JZNS1_25segmented_radix_sort_implINS0_14default_configELb0EPKlPlSM_SN_N2at6native12_GLOBAL__N_18offset_tEEE10hipError_tPvRmT1_PNSt15iterator_traitsISV_E10value_typeET2_T3_PNSW_IS11_E10value_typeET4_jRbjT5_S17_jjP12ihipStream_tbEUljE_EEESS_ST_SU_S11_S15_S17_T6_T7_T9_mT8_S19_bDpT10_ENKUlT_T0_E_clISt17integral_constantIbLb1EES1M_EEDaS1H_S1I_EUlS1H_E_NS1_11comp_targetILNS1_3genE9ELNS1_11target_archE1100ELNS1_3gpuE3ELNS1_3repE0EEENS1_30default_config_static_selectorELNS0_4arch9wavefront6targetE0EEEvSV_ ; -- Begin function _ZN7rocprim17ROCPRIM_400000_NS6detail17trampoline_kernelINS0_13select_configILj256ELj13ELNS0_17block_load_methodE3ELS4_3ELS4_3ELNS0_20block_scan_algorithmE0ELj4294967295EEENS1_25partition_config_selectorILNS1_17partition_subalgoE3EjNS0_10empty_typeEbEEZZNS1_14partition_implILS8_3ELb0ES6_jNS0_17counting_iteratorIjlEEPS9_SE_NS0_5tupleIJPjSE_EEENSF_IJSE_SE_EEES9_SG_JZNS1_25segmented_radix_sort_implINS0_14default_configELb0EPKlPlSM_SN_N2at6native12_GLOBAL__N_18offset_tEEE10hipError_tPvRmT1_PNSt15iterator_traitsISV_E10value_typeET2_T3_PNSW_IS11_E10value_typeET4_jRbjT5_S17_jjP12ihipStream_tbEUljE_EEESS_ST_SU_S11_S15_S17_T6_T7_T9_mT8_S19_bDpT10_ENKUlT_T0_E_clISt17integral_constantIbLb1EES1M_EEDaS1H_S1I_EUlS1H_E_NS1_11comp_targetILNS1_3genE9ELNS1_11target_archE1100ELNS1_3gpuE3ELNS1_3repE0EEENS1_30default_config_static_selectorELNS0_4arch9wavefront6targetE0EEEvSV_
	.p2align	8
	.type	_ZN7rocprim17ROCPRIM_400000_NS6detail17trampoline_kernelINS0_13select_configILj256ELj13ELNS0_17block_load_methodE3ELS4_3ELS4_3ELNS0_20block_scan_algorithmE0ELj4294967295EEENS1_25partition_config_selectorILNS1_17partition_subalgoE3EjNS0_10empty_typeEbEEZZNS1_14partition_implILS8_3ELb0ES6_jNS0_17counting_iteratorIjlEEPS9_SE_NS0_5tupleIJPjSE_EEENSF_IJSE_SE_EEES9_SG_JZNS1_25segmented_radix_sort_implINS0_14default_configELb0EPKlPlSM_SN_N2at6native12_GLOBAL__N_18offset_tEEE10hipError_tPvRmT1_PNSt15iterator_traitsISV_E10value_typeET2_T3_PNSW_IS11_E10value_typeET4_jRbjT5_S17_jjP12ihipStream_tbEUljE_EEESS_ST_SU_S11_S15_S17_T6_T7_T9_mT8_S19_bDpT10_ENKUlT_T0_E_clISt17integral_constantIbLb1EES1M_EEDaS1H_S1I_EUlS1H_E_NS1_11comp_targetILNS1_3genE9ELNS1_11target_archE1100ELNS1_3gpuE3ELNS1_3repE0EEENS1_30default_config_static_selectorELNS0_4arch9wavefront6targetE0EEEvSV_,@function
_ZN7rocprim17ROCPRIM_400000_NS6detail17trampoline_kernelINS0_13select_configILj256ELj13ELNS0_17block_load_methodE3ELS4_3ELS4_3ELNS0_20block_scan_algorithmE0ELj4294967295EEENS1_25partition_config_selectorILNS1_17partition_subalgoE3EjNS0_10empty_typeEbEEZZNS1_14partition_implILS8_3ELb0ES6_jNS0_17counting_iteratorIjlEEPS9_SE_NS0_5tupleIJPjSE_EEENSF_IJSE_SE_EEES9_SG_JZNS1_25segmented_radix_sort_implINS0_14default_configELb0EPKlPlSM_SN_N2at6native12_GLOBAL__N_18offset_tEEE10hipError_tPvRmT1_PNSt15iterator_traitsISV_E10value_typeET2_T3_PNSW_IS11_E10value_typeET4_jRbjT5_S17_jjP12ihipStream_tbEUljE_EEESS_ST_SU_S11_S15_S17_T6_T7_T9_mT8_S19_bDpT10_ENKUlT_T0_E_clISt17integral_constantIbLb1EES1M_EEDaS1H_S1I_EUlS1H_E_NS1_11comp_targetILNS1_3genE9ELNS1_11target_archE1100ELNS1_3gpuE3ELNS1_3repE0EEENS1_30default_config_static_selectorELNS0_4arch9wavefront6targetE0EEEvSV_: ; @_ZN7rocprim17ROCPRIM_400000_NS6detail17trampoline_kernelINS0_13select_configILj256ELj13ELNS0_17block_load_methodE3ELS4_3ELS4_3ELNS0_20block_scan_algorithmE0ELj4294967295EEENS1_25partition_config_selectorILNS1_17partition_subalgoE3EjNS0_10empty_typeEbEEZZNS1_14partition_implILS8_3ELb0ES6_jNS0_17counting_iteratorIjlEEPS9_SE_NS0_5tupleIJPjSE_EEENSF_IJSE_SE_EEES9_SG_JZNS1_25segmented_radix_sort_implINS0_14default_configELb0EPKlPlSM_SN_N2at6native12_GLOBAL__N_18offset_tEEE10hipError_tPvRmT1_PNSt15iterator_traitsISV_E10value_typeET2_T3_PNSW_IS11_E10value_typeET4_jRbjT5_S17_jjP12ihipStream_tbEUljE_EEESS_ST_SU_S11_S15_S17_T6_T7_T9_mT8_S19_bDpT10_ENKUlT_T0_E_clISt17integral_constantIbLb1EES1M_EEDaS1H_S1I_EUlS1H_E_NS1_11comp_targetILNS1_3genE9ELNS1_11target_archE1100ELNS1_3gpuE3ELNS1_3repE0EEENS1_30default_config_static_selectorELNS0_4arch9wavefront6targetE0EEEvSV_
; %bb.0:
	s_clause 0x6
	s_load_b64 s[16:17], s[0:1], 0x10
	s_load_b64 s[12:13], s[0:1], 0x28
	;; [unrolled: 1-line block ×3, first 2 shown]
	s_load_b128 s[8:11], s[0:1], 0x48
	s_load_b32 s3, s[0:1], 0x90
	s_load_b64 s[18:19], s[0:1], 0x68
	s_load_b128 s[4:7], s[0:1], 0x80
	v_cmp_eq_u32_e64 s2, 0, v0
	s_delay_alu instid0(VALU_DEP_1)
	s_and_saveexec_b32 s20, s2
	s_cbranch_execz .LBB789_4
; %bb.1:
	s_mov_b32 s22, exec_lo
	s_mov_b32 s21, exec_lo
	v_mbcnt_lo_u32_b32 v1, s22, 0
                                        ; implicit-def: $vgpr2
	s_delay_alu instid0(VALU_DEP_1)
	v_cmpx_eq_u32_e32 0, v1
	s_cbranch_execz .LBB789_3
; %bb.2:
	s_load_b64 s[24:25], s[0:1], 0x78
	s_bcnt1_i32_b32 s22, s22
	s_delay_alu instid0(SALU_CYCLE_1)
	v_dual_mov_b32 v2, 0 :: v_dual_mov_b32 v3, s22
	s_waitcnt lgkmcnt(0)
	global_atomic_add_u32 v2, v2, v3, s[24:25] glc
.LBB789_3:
	s_or_b32 exec_lo, exec_lo, s21
	s_waitcnt vmcnt(0)
	v_readfirstlane_b32 s21, v2
	s_delay_alu instid0(VALU_DEP_1)
	v_dual_mov_b32 v2, 0 :: v_dual_add_nc_u32 v1, s21, v1
	ds_store_b32 v2, v1
.LBB789_4:
	s_or_b32 exec_lo, exec_lo, s20
	v_mov_b32_e32 v1, 0
	s_clause 0x1
	s_load_b32 s20, s[0:1], 0x8
	s_load_b32 s0, s[0:1], 0x70
	s_waitcnt lgkmcnt(0)
	s_barrier
	buffer_gl0_inv
	ds_load_b32 v2, v1
	s_waitcnt lgkmcnt(0)
	s_barrier
	buffer_gl0_inv
	global_load_b64 v[18:19], v1, s[10:11]
	v_lshlrev_b32_e32 v33, 2, v0
	s_add_i32 s21, s20, s16
	s_mul_i32 s1, s0, 0xd00
	s_add_i32 s0, s0, -1
	s_add_u32 s10, s16, s1
	s_addc_u32 s11, s17, 0
	v_mul_lo_u32 v32, 0xd00, v2
	v_readfirstlane_b32 s20, v2
	v_cmp_lt_u64_e64 s11, s[10:11], s[14:15]
	v_cmp_ne_u32_e32 vcc_lo, s0, v2
	s_delay_alu instid0(VALU_DEP_3) | instskip(SKIP_1) | instid1(VALU_DEP_4)
	s_cmp_eq_u32 s20, s0
	s_cselect_b32 s10, -1, 0
	v_add3_u32 v1, v32, s21, v0
	s_delay_alu instid0(VALU_DEP_3) | instskip(SKIP_2) | instid1(VALU_DEP_1)
	s_or_b32 s0, s11, vcc_lo
	s_mov_b32 s11, -1
	s_and_b32 vcc_lo, exec_lo, s0
	v_add_nc_u32_e32 v2, 0x100, v1
	v_add_nc_u32_e32 v3, 0x200, v1
	;; [unrolled: 1-line block ×12, first 2 shown]
	s_cbranch_vccz .LBB789_6
; %bb.5:
	ds_store_2addr_stride64_b32 v33, v1, v2 offset1:4
	ds_store_2addr_stride64_b32 v33, v3, v4 offset0:8 offset1:12
	ds_store_2addr_stride64_b32 v33, v5, v6 offset0:16 offset1:20
	;; [unrolled: 1-line block ×5, first 2 shown]
	ds_store_b32 v33, v13 offset:12288
	s_waitcnt vmcnt(0) lgkmcnt(0)
	s_mov_b32 s11, 0
	s_barrier
.LBB789_6:
	s_and_not1_b32 vcc_lo, exec_lo, s11
	s_add_i32 s1, s1, s16
	s_cbranch_vccnz .LBB789_8
; %bb.7:
	ds_store_2addr_stride64_b32 v33, v1, v2 offset1:4
	ds_store_2addr_stride64_b32 v33, v3, v4 offset0:8 offset1:12
	ds_store_2addr_stride64_b32 v33, v5, v6 offset0:16 offset1:20
	;; [unrolled: 1-line block ×5, first 2 shown]
	ds_store_b32 v33, v13 offset:12288
	s_waitcnt vmcnt(0) lgkmcnt(0)
	s_barrier
.LBB789_8:
	v_mul_u32_u24_e32 v36, 13, v0
	s_waitcnt vmcnt(0)
	buffer_gl0_inv
	v_cndmask_b32_e64 v34, 0, 1, s0
	s_sub_i32 s11, s14, s1
	s_and_not1_b32 vcc_lo, exec_lo, s0
	v_lshlrev_b32_e32 v1, 2, v36
	ds_load_2addr_b32 v[30:31], v1 offset1:1
	ds_load_2addr_b32 v[28:29], v1 offset0:2 offset1:3
	ds_load_2addr_b32 v[26:27], v1 offset0:4 offset1:5
	;; [unrolled: 1-line block ×5, first 2 shown]
	ds_load_b32 v35, v1 offset:48
	s_waitcnt lgkmcnt(0)
	s_barrier
	buffer_gl0_inv
	s_cbranch_vccnz .LBB789_10
; %bb.9:
	v_add_nc_u32_e32 v1, s5, v30
	v_add_nc_u32_e32 v2, s7, v30
	;; [unrolled: 1-line block ×5, first 2 shown]
	v_mul_lo_u32 v1, v1, s4
	v_mul_lo_u32 v2, v2, s6
	;; [unrolled: 1-line block ×4, first 2 shown]
	v_add_nc_u32_e32 v6, s7, v28
	v_add_nc_u32_e32 v7, s5, v29
	;; [unrolled: 1-line block ×3, first 2 shown]
	v_mul_lo_u32 v5, v5, s4
	v_add_nc_u32_e32 v9, s5, v24
	v_sub_nc_u32_e32 v1, v1, v2
	v_mul_lo_u32 v2, v6, s6
	v_sub_nc_u32_e32 v3, v3, v4
	v_mul_lo_u32 v4, v7, s4
	v_mul_lo_u32 v6, v8, s6
	v_add_nc_u32_e32 v7, s5, v26
	v_cmp_lt_u32_e32 vcc_lo, s3, v1
	v_add_nc_u32_e32 v8, s5, v27
	v_add_nc_u32_e32 v10, s7, v24
	v_sub_nc_u32_e32 v2, v5, v2
	v_add_nc_u32_e32 v5, s7, v26
	v_cndmask_b32_e64 v1, 0, 1, vcc_lo
	v_sub_nc_u32_e32 v4, v4, v6
	v_mul_lo_u32 v6, v7, s4
	v_add_nc_u32_e32 v7, s7, v27
	v_cmp_lt_u32_e32 vcc_lo, s3, v3
	v_mul_lo_u32 v5, v5, s6
	v_mul_lo_u32 v8, v8, s4
	;; [unrolled: 1-line block ×4, first 2 shown]
	v_cndmask_b32_e64 v3, 0, 1, vcc_lo
	v_cmp_lt_u32_e32 vcc_lo, s3, v2
	v_mul_lo_u32 v10, v10, s6
	v_add_nc_u32_e32 v11, s5, v22
	v_sub_nc_u32_e32 v5, v6, v5
	v_add_nc_u32_e32 v12, s7, v22
	v_cndmask_b32_e64 v2, 0, 1, vcc_lo
	v_sub_nc_u32_e32 v6, v8, v7
	v_add_nc_u32_e32 v7, s5, v25
	v_add_nc_u32_e32 v8, s7, v25
	v_cmp_lt_u32_e32 vcc_lo, s3, v4
	v_sub_nc_u32_e32 v9, v9, v10
	v_mul_lo_u32 v10, v11, s4
	v_mul_lo_u32 v7, v7, s4
	;; [unrolled: 1-line block ×4, first 2 shown]
	v_cndmask_b32_e64 v4, 0, 1, vcc_lo
	v_cmp_lt_u32_e32 vcc_lo, s3, v5
	v_add_nc_u32_e32 v12, s5, v23
	v_add_nc_u32_e32 v13, s7, v20
	;; [unrolled: 1-line block ×4, first 2 shown]
	v_cndmask_b32_e64 v5, 0, 1, vcc_lo
	v_cmp_lt_u32_e32 vcc_lo, s3, v6
	v_sub_nc_u32_e32 v7, v7, v8
	v_sub_nc_u32_e32 v8, v10, v11
	v_add_nc_u32_e32 v11, s7, v23
	v_mul_lo_u32 v10, v12, s4
	v_cndmask_b32_e64 v6, 0, 1, vcc_lo
	v_cmp_lt_u32_e32 vcc_lo, s3, v9
	v_add_nc_u32_e32 v12, s5, v20
	v_mul_lo_u32 v11, v11, s6
	v_mul_lo_u32 v13, v13, s6
	;; [unrolled: 1-line block ×3, first 2 shown]
	v_cndmask_b32_e64 v9, 0, 1, vcc_lo
	v_cmp_lt_u32_e32 vcc_lo, s3, v7
	v_mul_lo_u32 v12, v12, s4
	v_mul_lo_u32 v15, v15, s6
	v_lshlrev_b16 v3, 8, v3
	v_sub_nc_u32_e32 v10, v10, v11
	v_cndmask_b32_e64 v7, 0, 1, vcc_lo
	v_cmp_lt_u32_e32 vcc_lo, s3, v8
	v_add_nc_u32_e32 v11, s5, v35
	v_or_b32_e32 v1, v1, v3
	v_sub_nc_u32_e32 v12, v12, v13
	v_sub_nc_u32_e32 v13, v14, v15
	v_cndmask_b32_e64 v8, 0, 1, vcc_lo
	v_cmp_lt_u32_e32 vcc_lo, s3, v10
	v_add_nc_u32_e32 v16, s7, v35
	v_mul_lo_u32 v11, v11, s4
	v_lshlrev_b16 v4, 8, v4
	v_lshlrev_b16 v6, 8, v6
	v_cndmask_b32_e64 v10, 0, 1, vcc_lo
	v_cmp_lt_u32_e32 vcc_lo, s3, v12
	v_mul_lo_u32 v14, v16, s6
	v_lshlrev_b16 v7, 8, v7
	v_or_b32_e32 v2, v2, v4
	v_lshlrev_b16 v10, 8, v10
	v_cndmask_b32_e64 v3, 0, 1, vcc_lo
	v_cmp_lt_u32_e32 vcc_lo, s3, v13
	v_or_b32_e32 v4, v5, v6
	v_or_b32_e32 v5, v9, v7
	v_sub_nc_u32_e32 v11, v11, v14
	v_or_b32_e32 v6, v8, v10
	v_cndmask_b32_e64 v12, 0, 1, vcc_lo
	v_and_b32_e32 v1, 0xffff, v1
	v_lshlrev_b32_e32 v2, 16, v2
	v_and_b32_e32 v4, 0xffff, v4
	v_lshlrev_b32_e32 v5, 16, v5
	v_lshlrev_b16 v12, 8, v12
	v_and_b32_e32 v6, 0xffff, v6
	v_cmp_lt_u32_e32 vcc_lo, s3, v11
	v_or_b32_e32 v42, v1, v2
	v_or_b32_e32 v40, v4, v5
	v_or_b32_e32 v3, v3, v12
	v_cndmask_b32_e64 v37, 0, 1, vcc_lo
	s_delay_alu instid0(VALU_DEP_2) | instskip(NEXT) | instid1(VALU_DEP_1)
	v_lshlrev_b32_e32 v3, 16, v3
	v_or_b32_e32 v38, v6, v3
	s_addk_i32 s11, 0xd00
	s_cbranch_execz .LBB789_11
	s_branch .LBB789_38
.LBB789_10:
                                        ; implicit-def: $vgpr37
                                        ; implicit-def: $vgpr38
                                        ; implicit-def: $vgpr40
                                        ; implicit-def: $vgpr42
	s_addk_i32 s11, 0xd00
.LBB789_11:
	v_dual_mov_b32 v2, 0 :: v_dual_mov_b32 v1, 0
	s_mov_b32 s0, exec_lo
	v_cmpx_gt_u32_e64 s11, v36
; %bb.12:
	v_add_nc_u32_e32 v1, s5, v30
	v_add_nc_u32_e32 v3, s7, v30
	s_delay_alu instid0(VALU_DEP_2) | instskip(NEXT) | instid1(VALU_DEP_2)
	v_mul_lo_u32 v1, v1, s4
	v_mul_lo_u32 v3, v3, s6
	s_delay_alu instid0(VALU_DEP_1) | instskip(NEXT) | instid1(VALU_DEP_1)
	v_sub_nc_u32_e32 v1, v1, v3
	v_cmp_lt_u32_e32 vcc_lo, s3, v1
	v_cndmask_b32_e64 v1, 0, 1, vcc_lo
; %bb.13:
	s_or_b32 exec_lo, exec_lo, s0
	v_add_nc_u32_e32 v3, 1, v36
	s_mov_b32 s0, exec_lo
	s_delay_alu instid0(VALU_DEP_1)
	v_cmpx_gt_u32_e64 s11, v3
; %bb.14:
	v_add_nc_u32_e32 v2, s5, v31
	v_add_nc_u32_e32 v3, s7, v31
	s_delay_alu instid0(VALU_DEP_2) | instskip(NEXT) | instid1(VALU_DEP_2)
	v_mul_lo_u32 v2, v2, s4
	v_mul_lo_u32 v3, v3, s6
	s_delay_alu instid0(VALU_DEP_1) | instskip(NEXT) | instid1(VALU_DEP_1)
	v_sub_nc_u32_e32 v2, v2, v3
	v_cmp_lt_u32_e32 vcc_lo, s3, v2
	v_cndmask_b32_e64 v2, 0, 1, vcc_lo
; %bb.15:
	s_or_b32 exec_lo, exec_lo, s0
	v_dual_mov_b32 v4, 0 :: v_dual_add_nc_u32 v3, 2, v36
	s_delay_alu instid0(VALU_DEP_1)
	v_cmp_gt_u32_e32 vcc_lo, s11, v3
	v_mov_b32_e32 v3, 0
	s_and_saveexec_b32 s0, vcc_lo
; %bb.16:
	v_add_nc_u32_e32 v3, s5, v28
	v_add_nc_u32_e32 v5, s7, v28
	s_delay_alu instid0(VALU_DEP_2) | instskip(NEXT) | instid1(VALU_DEP_2)
	v_mul_lo_u32 v3, v3, s4
	v_mul_lo_u32 v5, v5, s6
	s_delay_alu instid0(VALU_DEP_1) | instskip(NEXT) | instid1(VALU_DEP_1)
	v_sub_nc_u32_e32 v3, v3, v5
	v_cmp_lt_u32_e32 vcc_lo, s3, v3
	v_cndmask_b32_e64 v3, 0, 1, vcc_lo
; %bb.17:
	s_or_b32 exec_lo, exec_lo, s0
	v_add_nc_u32_e32 v5, 3, v36
	s_mov_b32 s0, exec_lo
	s_delay_alu instid0(VALU_DEP_1)
	v_cmpx_gt_u32_e64 s11, v5
; %bb.18:
	v_add_nc_u32_e32 v4, s5, v29
	v_add_nc_u32_e32 v5, s7, v29
	s_delay_alu instid0(VALU_DEP_2) | instskip(NEXT) | instid1(VALU_DEP_2)
	v_mul_lo_u32 v4, v4, s4
	v_mul_lo_u32 v5, v5, s6
	s_delay_alu instid0(VALU_DEP_1) | instskip(NEXT) | instid1(VALU_DEP_1)
	v_sub_nc_u32_e32 v4, v4, v5
	v_cmp_lt_u32_e32 vcc_lo, s3, v4
	v_cndmask_b32_e64 v4, 0, 1, vcc_lo
; %bb.19:
	s_or_b32 exec_lo, exec_lo, s0
	v_dual_mov_b32 v6, 0 :: v_dual_add_nc_u32 v5, 4, v36
	s_delay_alu instid0(VALU_DEP_1)
	v_cmp_gt_u32_e32 vcc_lo, s11, v5
	v_mov_b32_e32 v5, 0
	s_and_saveexec_b32 s0, vcc_lo
	;; [unrolled: 33-line block ×5, first 2 shown]
; %bb.32:
	v_add_nc_u32_e32 v11, s5, v20
	v_add_nc_u32_e32 v13, s7, v20
	s_delay_alu instid0(VALU_DEP_2) | instskip(NEXT) | instid1(VALU_DEP_2)
	v_mul_lo_u32 v11, v11, s4
	v_mul_lo_u32 v13, v13, s6
	s_delay_alu instid0(VALU_DEP_1) | instskip(NEXT) | instid1(VALU_DEP_1)
	v_sub_nc_u32_e32 v11, v11, v13
	v_cmp_lt_u32_e32 vcc_lo, s3, v11
	v_cndmask_b32_e64 v11, 0, 1, vcc_lo
; %bb.33:
	s_or_b32 exec_lo, exec_lo, s0
	v_add_nc_u32_e32 v13, 11, v36
	s_mov_b32 s0, exec_lo
	s_delay_alu instid0(VALU_DEP_1)
	v_cmpx_gt_u32_e64 s11, v13
; %bb.34:
	v_add_nc_u32_e32 v12, s5, v21
	v_add_nc_u32_e32 v13, s7, v21
	s_delay_alu instid0(VALU_DEP_2) | instskip(NEXT) | instid1(VALU_DEP_2)
	v_mul_lo_u32 v12, v12, s4
	v_mul_lo_u32 v13, v13, s6
	s_delay_alu instid0(VALU_DEP_1) | instskip(NEXT) | instid1(VALU_DEP_1)
	v_sub_nc_u32_e32 v12, v12, v13
	v_cmp_lt_u32_e32 vcc_lo, s3, v12
	v_cndmask_b32_e64 v12, 0, 1, vcc_lo
; %bb.35:
	s_or_b32 exec_lo, exec_lo, s0
	v_add_nc_u32_e32 v13, 12, v36
	v_mov_b32_e32 v37, 0
	s_mov_b32 s0, exec_lo
	s_delay_alu instid0(VALU_DEP_2)
	v_cmpx_gt_u32_e64 s11, v13
; %bb.36:
	v_add_nc_u32_e32 v13, s5, v35
	v_add_nc_u32_e32 v14, s7, v35
	s_delay_alu instid0(VALU_DEP_2) | instskip(NEXT) | instid1(VALU_DEP_2)
	v_mul_lo_u32 v13, v13, s4
	v_mul_lo_u32 v14, v14, s6
	s_delay_alu instid0(VALU_DEP_1) | instskip(NEXT) | instid1(VALU_DEP_1)
	v_sub_nc_u32_e32 v13, v13, v14
	v_cmp_lt_u32_e32 vcc_lo, s3, v13
	v_cndmask_b32_e64 v37, 0, 1, vcc_lo
; %bb.37:
	s_or_b32 exec_lo, exec_lo, s0
	v_lshlrev_b16 v2, 8, v2
	v_lshlrev_b16 v4, 8, v4
	v_lshlrev_b16 v6, 8, v6
	v_lshlrev_b16 v8, 8, v8
	v_lshlrev_b16 v10, 8, v10
	v_or_b32_e32 v1, v1, v2
	v_lshlrev_b16 v2, 8, v12
	v_or_b32_e32 v3, v3, v4
	v_or_b32_e32 v4, v5, v6
	;; [unrolled: 1-line block ×5, first 2 shown]
	v_and_b32_e32 v1, 0xffff, v1
	v_lshlrev_b32_e32 v3, 16, v3
	v_and_b32_e32 v4, 0xffff, v4
	v_lshlrev_b32_e32 v5, 16, v5
	;; [unrolled: 2-line block ×3, first 2 shown]
	v_or_b32_e32 v42, v1, v3
	s_delay_alu instid0(VALU_DEP_4) | instskip(NEXT) | instid1(VALU_DEP_3)
	v_or_b32_e32 v40, v4, v5
	v_or_b32_e32 v38, v6, v2
.LBB789_38:
	s_delay_alu instid0(VALU_DEP_3)
	v_and_b32_e32 v44, 0xff, v42
	v_bfe_u32 v45, v42, 8, 8
	v_bfe_u32 v46, v42, 16, 8
	v_lshrrev_b32_e32 v43, 24, v42
	v_and_b32_e32 v47, 0xff, v40
	v_bfe_u32 v48, v40, 8, 8
	v_bfe_u32 v49, v40, 16, 8
	v_add3_u32 v1, v45, v44, v46
	v_lshrrev_b32_e32 v41, 24, v40
	v_and_b32_e32 v50, 0xff, v38
	v_bfe_u32 v51, v38, 8, 8
	v_mbcnt_lo_u32_b32 v53, -1, 0
	v_add3_u32 v1, v1, v43, v47
	v_bfe_u32 v52, v38, 16, 8
	v_lshrrev_b32_e32 v39, 24, v38
	v_and_b32_e32 v2, 0xff, v37
	v_and_b32_e32 v3, 15, v53
	v_add3_u32 v1, v1, v48, v49
	v_or_b32_e32 v4, 31, v0
	v_and_b32_e32 v5, 16, v53
	v_lshrrev_b32_e32 v54, 5, v0
	v_cmp_eq_u32_e64 s6, 0, v3
	v_add3_u32 v1, v1, v41, v50
	v_cmp_lt_u32_e64 s5, 1, v3
	v_cmp_lt_u32_e64 s4, 3, v3
	;; [unrolled: 1-line block ×3, first 2 shown]
	v_cmp_eq_u32_e64 s1, 0, v5
	v_add3_u32 v1, v1, v51, v52
	v_cmp_eq_u32_e64 s0, v4, v0
	s_cmp_lg_u32 s20, 0
	s_mov_b32 s7, -1
	s_delay_alu instid0(VALU_DEP_2)
	v_add3_u32 v55, v1, v39, v2
	s_cbranch_scc0 .LBB789_69
; %bb.39:
	s_delay_alu instid0(VALU_DEP_1) | instskip(NEXT) | instid1(VALU_DEP_1)
	v_mov_b32_dpp v1, v55 row_shr:1 row_mask:0xf bank_mask:0xf
	v_cndmask_b32_e64 v1, v1, 0, s6
	s_delay_alu instid0(VALU_DEP_1) | instskip(NEXT) | instid1(VALU_DEP_1)
	v_add_nc_u32_e32 v1, v1, v55
	v_mov_b32_dpp v2, v1 row_shr:2 row_mask:0xf bank_mask:0xf
	s_delay_alu instid0(VALU_DEP_1) | instskip(NEXT) | instid1(VALU_DEP_1)
	v_cndmask_b32_e64 v2, 0, v2, s5
	v_add_nc_u32_e32 v1, v1, v2
	s_delay_alu instid0(VALU_DEP_1) | instskip(NEXT) | instid1(VALU_DEP_1)
	v_mov_b32_dpp v2, v1 row_shr:4 row_mask:0xf bank_mask:0xf
	v_cndmask_b32_e64 v2, 0, v2, s4
	s_delay_alu instid0(VALU_DEP_1) | instskip(NEXT) | instid1(VALU_DEP_1)
	v_add_nc_u32_e32 v1, v1, v2
	v_mov_b32_dpp v2, v1 row_shr:8 row_mask:0xf bank_mask:0xf
	s_delay_alu instid0(VALU_DEP_1) | instskip(NEXT) | instid1(VALU_DEP_1)
	v_cndmask_b32_e64 v2, 0, v2, s3
	v_add_nc_u32_e32 v1, v1, v2
	ds_swizzle_b32 v2, v1 offset:swizzle(BROADCAST,32,15)
	s_waitcnt lgkmcnt(0)
	v_cndmask_b32_e64 v2, v2, 0, s1
	s_delay_alu instid0(VALU_DEP_1)
	v_add_nc_u32_e32 v1, v1, v2
	s_and_saveexec_b32 s7, s0
	s_cbranch_execz .LBB789_41
; %bb.40:
	v_lshlrev_b32_e32 v2, 2, v54
	ds_store_b32 v2, v1
.LBB789_41:
	s_or_b32 exec_lo, exec_lo, s7
	s_delay_alu instid0(SALU_CYCLE_1)
	s_mov_b32 s7, exec_lo
	s_waitcnt lgkmcnt(0)
	s_barrier
	buffer_gl0_inv
	v_cmpx_gt_u32_e32 8, v0
	s_cbranch_execz .LBB789_43
; %bb.42:
	ds_load_b32 v2, v33
	s_waitcnt lgkmcnt(0)
	v_mov_b32_dpp v4, v2 row_shr:1 row_mask:0xf bank_mask:0xf
	v_and_b32_e32 v3, 7, v53
	s_delay_alu instid0(VALU_DEP_1) | instskip(NEXT) | instid1(VALU_DEP_3)
	v_cmp_ne_u32_e32 vcc_lo, 0, v3
	v_cndmask_b32_e32 v4, 0, v4, vcc_lo
	v_cmp_lt_u32_e32 vcc_lo, 1, v3
	s_delay_alu instid0(VALU_DEP_2) | instskip(NEXT) | instid1(VALU_DEP_1)
	v_add_nc_u32_e32 v2, v4, v2
	v_mov_b32_dpp v4, v2 row_shr:2 row_mask:0xf bank_mask:0xf
	s_delay_alu instid0(VALU_DEP_1) | instskip(SKIP_1) | instid1(VALU_DEP_2)
	v_cndmask_b32_e32 v4, 0, v4, vcc_lo
	v_cmp_lt_u32_e32 vcc_lo, 3, v3
	v_add_nc_u32_e32 v2, v2, v4
	s_delay_alu instid0(VALU_DEP_1) | instskip(NEXT) | instid1(VALU_DEP_1)
	v_mov_b32_dpp v4, v2 row_shr:4 row_mask:0xf bank_mask:0xf
	v_cndmask_b32_e32 v3, 0, v4, vcc_lo
	s_delay_alu instid0(VALU_DEP_1)
	v_add_nc_u32_e32 v2, v2, v3
	ds_store_b32 v33, v2
.LBB789_43:
	s_or_b32 exec_lo, exec_lo, s7
	v_cmp_gt_u32_e32 vcc_lo, 32, v0
	s_mov_b32 s21, exec_lo
	s_waitcnt lgkmcnt(0)
	s_barrier
	buffer_gl0_inv
                                        ; implicit-def: $vgpr8
	v_cmpx_lt_u32_e32 31, v0
	s_cbranch_execz .LBB789_45
; %bb.44:
	v_lshl_add_u32 v2, v54, 2, -4
	ds_load_b32 v8, v2
	s_waitcnt lgkmcnt(0)
	v_add_nc_u32_e32 v1, v8, v1
.LBB789_45:
	s_or_b32 exec_lo, exec_lo, s21
	v_add_nc_u32_e32 v2, -1, v53
	s_delay_alu instid0(VALU_DEP_1) | instskip(NEXT) | instid1(VALU_DEP_1)
	v_cmp_gt_i32_e64 s7, 0, v2
	v_cndmask_b32_e64 v2, v2, v53, s7
	v_cmp_eq_u32_e64 s7, 0, v53
	s_delay_alu instid0(VALU_DEP_2)
	v_lshlrev_b32_e32 v2, 2, v2
	ds_bpermute_b32 v9, v2, v1
	s_and_saveexec_b32 s21, vcc_lo
	s_cbranch_execz .LBB789_68
; %bb.46:
	v_mov_b32_e32 v4, 0
	ds_load_b32 v1, v4 offset:28
	s_and_saveexec_b32 s22, s7
	s_cbranch_execz .LBB789_48
; %bb.47:
	s_add_i32 s24, s20, 32
	s_mov_b32 s25, 0
	v_mov_b32_e32 v2, 1
	s_lshl_b64 s[24:25], s[24:25], 3
	s_delay_alu instid0(SALU_CYCLE_1)
	s_add_u32 s24, s18, s24
	s_addc_u32 s25, s19, s25
	s_waitcnt lgkmcnt(0)
	global_store_b64 v4, v[1:2], s[24:25]
.LBB789_48:
	s_or_b32 exec_lo, exec_lo, s22
	v_xad_u32 v2, v53, -1, s20
	s_mov_b32 s23, 0
	s_mov_b32 s22, exec_lo
	s_delay_alu instid0(VALU_DEP_1) | instskip(NEXT) | instid1(VALU_DEP_1)
	v_add_nc_u32_e32 v3, 32, v2
	v_lshlrev_b64 v[3:4], 3, v[3:4]
	s_delay_alu instid0(VALU_DEP_1) | instskip(NEXT) | instid1(VALU_DEP_2)
	v_add_co_u32 v6, vcc_lo, s18, v3
	v_add_co_ci_u32_e32 v7, vcc_lo, s19, v4, vcc_lo
	global_load_b64 v[4:5], v[6:7], off glc
	s_waitcnt vmcnt(0)
	v_and_b32_e32 v3, 0xff, v5
	s_delay_alu instid0(VALU_DEP_1)
	v_cmpx_eq_u16_e32 0, v3
	s_cbranch_execz .LBB789_54
; %bb.49:
	s_mov_b32 s24, 1
	.p2align	6
.LBB789_50:                             ; =>This Loop Header: Depth=1
                                        ;     Child Loop BB789_51 Depth 2
	s_delay_alu instid0(SALU_CYCLE_1)
	s_max_u32 s25, s24, 1
.LBB789_51:                             ;   Parent Loop BB789_50 Depth=1
                                        ; =>  This Inner Loop Header: Depth=2
	s_delay_alu instid0(SALU_CYCLE_1)
	s_add_i32 s25, s25, -1
	s_sleep 1
	s_cmp_eq_u32 s25, 0
	s_cbranch_scc0 .LBB789_51
; %bb.52:                               ;   in Loop: Header=BB789_50 Depth=1
	global_load_b64 v[4:5], v[6:7], off glc
	s_cmp_lt_u32 s24, 32
	s_cselect_b32 s25, -1, 0
	s_delay_alu instid0(SALU_CYCLE_1) | instskip(SKIP_3) | instid1(VALU_DEP_1)
	s_cmp_lg_u32 s25, 0
	s_addc_u32 s24, s24, 0
	s_waitcnt vmcnt(0)
	v_and_b32_e32 v3, 0xff, v5
	v_cmp_ne_u16_e32 vcc_lo, 0, v3
	s_or_b32 s23, vcc_lo, s23
	s_delay_alu instid0(SALU_CYCLE_1)
	s_and_not1_b32 exec_lo, exec_lo, s23
	s_cbranch_execnz .LBB789_50
; %bb.53:
	s_or_b32 exec_lo, exec_lo, s23
.LBB789_54:
	s_delay_alu instid0(SALU_CYCLE_1)
	s_or_b32 exec_lo, exec_lo, s22
	v_cmp_ne_u32_e32 vcc_lo, 31, v53
	v_lshlrev_b32_e64 v11, v53, -1
	v_add_nc_u32_e32 v13, 2, v53
	v_add_nc_u32_e32 v15, 4, v53
	;; [unrolled: 1-line block ×3, first 2 shown]
	v_add_co_ci_u32_e32 v3, vcc_lo, 0, v53, vcc_lo
	v_add_nc_u32_e32 v58, 16, v53
	s_delay_alu instid0(VALU_DEP_2) | instskip(SKIP_2) | instid1(VALU_DEP_1)
	v_lshlrev_b32_e32 v10, 2, v3
	ds_bpermute_b32 v6, v10, v4
	v_and_b32_e32 v3, 0xff, v5
	v_cmp_eq_u16_e32 vcc_lo, 2, v3
	v_and_or_b32 v3, vcc_lo, v11, 0x80000000
	v_cmp_gt_u32_e32 vcc_lo, 30, v53
	s_delay_alu instid0(VALU_DEP_2) | instskip(SKIP_1) | instid1(VALU_DEP_2)
	v_ctz_i32_b32_e32 v3, v3
	v_cndmask_b32_e64 v7, 0, 1, vcc_lo
	v_cmp_lt_u32_e32 vcc_lo, v53, v3
	s_waitcnt lgkmcnt(0)
	s_delay_alu instid0(VALU_DEP_2) | instskip(NEXT) | instid1(VALU_DEP_1)
	v_dual_cndmask_b32 v6, 0, v6 :: v_dual_lshlrev_b32 v7, 1, v7
	v_add_lshl_u32 v12, v7, v53, 2
	v_cmp_gt_u32_e32 vcc_lo, 28, v53
	s_delay_alu instid0(VALU_DEP_3) | instskip(SKIP_4) | instid1(VALU_DEP_1)
	v_add_nc_u32_e32 v4, v6, v4
	v_cndmask_b32_e64 v7, 0, 1, vcc_lo
	v_cmp_le_u32_e32 vcc_lo, v13, v3
	ds_bpermute_b32 v6, v12, v4
	v_lshlrev_b32_e32 v7, 2, v7
	v_add_lshl_u32 v14, v7, v53, 2
	s_waitcnt lgkmcnt(0)
	v_cndmask_b32_e32 v6, 0, v6, vcc_lo
	v_cmp_gt_u32_e32 vcc_lo, 24, v53
	s_delay_alu instid0(VALU_DEP_2) | instskip(SKIP_4) | instid1(VALU_DEP_1)
	v_add_nc_u32_e32 v4, v4, v6
	v_cndmask_b32_e64 v7, 0, 1, vcc_lo
	v_cmp_le_u32_e32 vcc_lo, v15, v3
	ds_bpermute_b32 v6, v14, v4
	v_lshlrev_b32_e32 v7, 3, v7
	v_add_lshl_u32 v17, v7, v53, 2
	s_waitcnt lgkmcnt(0)
	v_cndmask_b32_e32 v6, 0, v6, vcc_lo
	v_cmp_gt_u32_e32 vcc_lo, 16, v53
	s_delay_alu instid0(VALU_DEP_2) | instskip(SKIP_4) | instid1(VALU_DEP_1)
	v_add_nc_u32_e32 v4, v4, v6
	v_cndmask_b32_e64 v7, 0, 1, vcc_lo
	v_cmp_le_u32_e32 vcc_lo, v56, v3
	ds_bpermute_b32 v6, v17, v4
	v_lshlrev_b32_e32 v7, 4, v7
	v_add_lshl_u32 v57, v7, v53, 2
	s_waitcnt lgkmcnt(0)
	v_cndmask_b32_e32 v6, 0, v6, vcc_lo
	v_cmp_le_u32_e32 vcc_lo, v58, v3
	s_delay_alu instid0(VALU_DEP_2) | instskip(SKIP_3) | instid1(VALU_DEP_1)
	v_add_nc_u32_e32 v4, v4, v6
	ds_bpermute_b32 v6, v57, v4
	s_waitcnt lgkmcnt(0)
	v_cndmask_b32_e32 v3, 0, v6, vcc_lo
	v_dual_mov_b32 v3, 0 :: v_dual_add_nc_u32 v4, v4, v3
	s_branch .LBB789_56
.LBB789_55:                             ;   in Loop: Header=BB789_56 Depth=1
	s_or_b32 exec_lo, exec_lo, s22
	ds_bpermute_b32 v7, v10, v4
	v_and_b32_e32 v6, 0xff, v5
	v_subrev_nc_u32_e32 v2, 32, v2
	s_delay_alu instid0(VALU_DEP_2) | instskip(SKIP_1) | instid1(VALU_DEP_1)
	v_cmp_eq_u16_e32 vcc_lo, 2, v6
	v_and_or_b32 v6, vcc_lo, v11, 0x80000000
	v_ctz_i32_b32_e32 v6, v6
	s_delay_alu instid0(VALU_DEP_1) | instskip(SKIP_3) | instid1(VALU_DEP_2)
	v_cmp_lt_u32_e32 vcc_lo, v53, v6
	s_waitcnt lgkmcnt(0)
	v_cndmask_b32_e32 v7, 0, v7, vcc_lo
	v_cmp_le_u32_e32 vcc_lo, v13, v6
	v_add_nc_u32_e32 v4, v7, v4
	ds_bpermute_b32 v7, v12, v4
	s_waitcnt lgkmcnt(0)
	v_cndmask_b32_e32 v7, 0, v7, vcc_lo
	v_cmp_le_u32_e32 vcc_lo, v15, v6
	s_delay_alu instid0(VALU_DEP_2) | instskip(SKIP_4) | instid1(VALU_DEP_2)
	v_add_nc_u32_e32 v4, v4, v7
	ds_bpermute_b32 v7, v14, v4
	s_waitcnt lgkmcnt(0)
	v_cndmask_b32_e32 v7, 0, v7, vcc_lo
	v_cmp_le_u32_e32 vcc_lo, v56, v6
	v_add_nc_u32_e32 v4, v4, v7
	ds_bpermute_b32 v7, v17, v4
	s_waitcnt lgkmcnt(0)
	v_cndmask_b32_e32 v7, 0, v7, vcc_lo
	v_cmp_le_u32_e32 vcc_lo, v58, v6
	s_delay_alu instid0(VALU_DEP_2) | instskip(SKIP_3) | instid1(VALU_DEP_1)
	v_add_nc_u32_e32 v4, v4, v7
	ds_bpermute_b32 v7, v57, v4
	s_waitcnt lgkmcnt(0)
	v_cndmask_b32_e32 v6, 0, v7, vcc_lo
	v_add3_u32 v4, v6, v16, v4
.LBB789_56:                             ; =>This Loop Header: Depth=1
                                        ;     Child Loop BB789_59 Depth 2
                                        ;       Child Loop BB789_60 Depth 3
	s_delay_alu instid0(VALU_DEP_1) | instskip(NEXT) | instid1(VALU_DEP_1)
	v_dual_mov_b32 v16, v4 :: v_dual_and_b32 v5, 0xff, v5
	v_cmp_ne_u16_e32 vcc_lo, 2, v5
	v_cndmask_b32_e64 v5, 0, 1, vcc_lo
	;;#ASMSTART
	;;#ASMEND
	s_delay_alu instid0(VALU_DEP_1)
	v_cmp_ne_u32_e32 vcc_lo, 0, v5
	s_cmp_lg_u32 vcc_lo, exec_lo
	s_cbranch_scc1 .LBB789_63
; %bb.57:                               ;   in Loop: Header=BB789_56 Depth=1
	v_lshlrev_b64 v[4:5], 3, v[2:3]
	s_mov_b32 s22, exec_lo
	s_delay_alu instid0(VALU_DEP_1) | instskip(NEXT) | instid1(VALU_DEP_2)
	v_add_co_u32 v6, vcc_lo, s18, v4
	v_add_co_ci_u32_e32 v7, vcc_lo, s19, v5, vcc_lo
	global_load_b64 v[4:5], v[6:7], off glc
	s_waitcnt vmcnt(0)
	v_and_b32_e32 v59, 0xff, v5
	s_delay_alu instid0(VALU_DEP_1)
	v_cmpx_eq_u16_e32 0, v59
	s_cbranch_execz .LBB789_55
; %bb.58:                               ;   in Loop: Header=BB789_56 Depth=1
	s_mov_b32 s24, 1
	s_mov_b32 s23, 0
	.p2align	6
.LBB789_59:                             ;   Parent Loop BB789_56 Depth=1
                                        ; =>  This Loop Header: Depth=2
                                        ;       Child Loop BB789_60 Depth 3
	s_max_u32 s25, s24, 1
.LBB789_60:                             ;   Parent Loop BB789_56 Depth=1
                                        ;     Parent Loop BB789_59 Depth=2
                                        ; =>    This Inner Loop Header: Depth=3
	s_delay_alu instid0(SALU_CYCLE_1)
	s_add_i32 s25, s25, -1
	s_sleep 1
	s_cmp_eq_u32 s25, 0
	s_cbranch_scc0 .LBB789_60
; %bb.61:                               ;   in Loop: Header=BB789_59 Depth=2
	global_load_b64 v[4:5], v[6:7], off glc
	s_cmp_lt_u32 s24, 32
	s_cselect_b32 s25, -1, 0
	s_delay_alu instid0(SALU_CYCLE_1) | instskip(SKIP_3) | instid1(VALU_DEP_1)
	s_cmp_lg_u32 s25, 0
	s_addc_u32 s24, s24, 0
	s_waitcnt vmcnt(0)
	v_and_b32_e32 v59, 0xff, v5
	v_cmp_ne_u16_e32 vcc_lo, 0, v59
	s_or_b32 s23, vcc_lo, s23
	s_delay_alu instid0(SALU_CYCLE_1)
	s_and_not1_b32 exec_lo, exec_lo, s23
	s_cbranch_execnz .LBB789_59
; %bb.62:                               ;   in Loop: Header=BB789_56 Depth=1
	s_or_b32 exec_lo, exec_lo, s23
	s_branch .LBB789_55
.LBB789_63:                             ;   in Loop: Header=BB789_56 Depth=1
                                        ; implicit-def: $vgpr4
                                        ; implicit-def: $vgpr5
	s_cbranch_execz .LBB789_56
; %bb.64:
	s_and_saveexec_b32 s22, s7
	s_cbranch_execz .LBB789_66
; %bb.65:
	s_add_i32 s24, s20, 32
	s_mov_b32 s25, 0
	v_dual_mov_b32 v3, 2 :: v_dual_add_nc_u32 v2, v16, v1
	s_lshl_b64 s[24:25], s[24:25], 3
	v_mov_b32_e32 v4, 0
	v_add_nc_u32_e64 v5, 0x3400, 0
	s_add_u32 s24, s18, s24
	s_addc_u32 s25, s19, s25
	global_store_b64 v4, v[2:3], s[24:25]
	ds_store_2addr_b32 v5, v1, v16 offset1:2
.LBB789_66:
	s_or_b32 exec_lo, exec_lo, s22
	s_delay_alu instid0(SALU_CYCLE_1)
	s_and_b32 exec_lo, exec_lo, s2
	s_cbranch_execz .LBB789_68
; %bb.67:
	v_mov_b32_e32 v1, 0
	ds_store_b32 v1, v16 offset:28
.LBB789_68:
	s_or_b32 exec_lo, exec_lo, s21
	v_mov_b32_e32 v1, 0
	s_waitcnt lgkmcnt(0)
	s_waitcnt_vscnt null, 0x0
	s_barrier
	buffer_gl0_inv
	v_cndmask_b32_e64 v2, v9, v8, s7
	ds_load_b32 v1, v1 offset:28
	v_add_nc_u32_e64 v11, 0x3400, 0
	s_waitcnt lgkmcnt(0)
	s_barrier
	v_cndmask_b32_e64 v2, v2, 0, s2
	buffer_gl0_inv
	ds_load_2addr_b32 v[16:17], v11 offset1:2
	v_add_nc_u32_e32 v1, v1, v2
	s_delay_alu instid0(VALU_DEP_1) | instskip(NEXT) | instid1(VALU_DEP_1)
	v_add_nc_u32_e32 v2, v1, v44
	v_add_nc_u32_e32 v3, v2, v45
	s_delay_alu instid0(VALU_DEP_1) | instskip(NEXT) | instid1(VALU_DEP_1)
	v_add_nc_u32_e32 v4, v3, v46
	;; [unrolled: 3-line block ×6, first 2 shown]
	v_add_nc_u32_e32 v13, v12, v39
	s_branch .LBB789_79
.LBB789_69:
                                        ; implicit-def: $vgpr17
                                        ; implicit-def: $vgpr1_vgpr2_vgpr3_vgpr4_vgpr5_vgpr6_vgpr7_vgpr8_vgpr9_vgpr10_vgpr11_vgpr12_vgpr13_vgpr14_vgpr15_vgpr16
	s_and_b32 vcc_lo, exec_lo, s7
	s_cbranch_vccz .LBB789_79
; %bb.70:
	s_delay_alu instid0(VALU_DEP_1) | instskip(NEXT) | instid1(VALU_DEP_1)
	v_mov_b32_dpp v1, v55 row_shr:1 row_mask:0xf bank_mask:0xf
	v_cndmask_b32_e64 v1, v1, 0, s6
	s_delay_alu instid0(VALU_DEP_1) | instskip(NEXT) | instid1(VALU_DEP_1)
	v_add_nc_u32_e32 v1, v1, v55
	v_mov_b32_dpp v2, v1 row_shr:2 row_mask:0xf bank_mask:0xf
	s_delay_alu instid0(VALU_DEP_1) | instskip(NEXT) | instid1(VALU_DEP_1)
	v_cndmask_b32_e64 v2, 0, v2, s5
	v_add_nc_u32_e32 v1, v1, v2
	s_delay_alu instid0(VALU_DEP_1) | instskip(NEXT) | instid1(VALU_DEP_1)
	v_mov_b32_dpp v2, v1 row_shr:4 row_mask:0xf bank_mask:0xf
	v_cndmask_b32_e64 v2, 0, v2, s4
	s_delay_alu instid0(VALU_DEP_1) | instskip(NEXT) | instid1(VALU_DEP_1)
	v_add_nc_u32_e32 v1, v1, v2
	v_mov_b32_dpp v2, v1 row_shr:8 row_mask:0xf bank_mask:0xf
	s_delay_alu instid0(VALU_DEP_1) | instskip(NEXT) | instid1(VALU_DEP_1)
	v_cndmask_b32_e64 v2, 0, v2, s3
	v_add_nc_u32_e32 v1, v1, v2
	ds_swizzle_b32 v2, v1 offset:swizzle(BROADCAST,32,15)
	s_waitcnt lgkmcnt(0)
	v_cndmask_b32_e64 v2, v2, 0, s1
	s_delay_alu instid0(VALU_DEP_1)
	v_add_nc_u32_e32 v1, v1, v2
	s_and_saveexec_b32 s1, s0
	s_cbranch_execz .LBB789_72
; %bb.71:
	v_lshlrev_b32_e32 v2, 2, v54
	ds_store_b32 v2, v1
.LBB789_72:
	s_or_b32 exec_lo, exec_lo, s1
	s_delay_alu instid0(SALU_CYCLE_1)
	s_mov_b32 s0, exec_lo
	s_waitcnt lgkmcnt(0)
	s_barrier
	buffer_gl0_inv
	v_cmpx_gt_u32_e32 8, v0
	s_cbranch_execz .LBB789_74
; %bb.73:
	ds_load_b32 v2, v33
	s_waitcnt lgkmcnt(0)
	v_mov_b32_dpp v4, v2 row_shr:1 row_mask:0xf bank_mask:0xf
	v_and_b32_e32 v3, 7, v53
	s_delay_alu instid0(VALU_DEP_1) | instskip(NEXT) | instid1(VALU_DEP_3)
	v_cmp_ne_u32_e32 vcc_lo, 0, v3
	v_cndmask_b32_e32 v4, 0, v4, vcc_lo
	v_cmp_lt_u32_e32 vcc_lo, 1, v3
	s_delay_alu instid0(VALU_DEP_2) | instskip(NEXT) | instid1(VALU_DEP_1)
	v_add_nc_u32_e32 v2, v4, v2
	v_mov_b32_dpp v4, v2 row_shr:2 row_mask:0xf bank_mask:0xf
	s_delay_alu instid0(VALU_DEP_1) | instskip(SKIP_1) | instid1(VALU_DEP_2)
	v_cndmask_b32_e32 v4, 0, v4, vcc_lo
	v_cmp_lt_u32_e32 vcc_lo, 3, v3
	v_add_nc_u32_e32 v2, v2, v4
	s_delay_alu instid0(VALU_DEP_1) | instskip(NEXT) | instid1(VALU_DEP_1)
	v_mov_b32_dpp v4, v2 row_shr:4 row_mask:0xf bank_mask:0xf
	v_cndmask_b32_e32 v3, 0, v4, vcc_lo
	s_delay_alu instid0(VALU_DEP_1)
	v_add_nc_u32_e32 v2, v2, v3
	ds_store_b32 v33, v2
.LBB789_74:
	s_or_b32 exec_lo, exec_lo, s0
	v_dual_mov_b32 v3, 0 :: v_dual_mov_b32 v2, 0
	s_mov_b32 s0, exec_lo
	s_waitcnt lgkmcnt(0)
	s_barrier
	buffer_gl0_inv
	v_cmpx_lt_u32_e32 31, v0
	s_cbranch_execz .LBB789_76
; %bb.75:
	v_lshl_add_u32 v2, v54, 2, -4
	ds_load_b32 v2, v2
.LBB789_76:
	s_or_b32 exec_lo, exec_lo, s0
	v_add_nc_u32_e32 v4, -1, v53
	s_waitcnt lgkmcnt(0)
	v_add_nc_u32_e32 v1, v2, v1
	ds_load_b32 v16, v3 offset:28
	v_cmp_gt_i32_e32 vcc_lo, 0, v4
	v_cndmask_b32_e32 v4, v4, v53, vcc_lo
	s_delay_alu instid0(VALU_DEP_1)
	v_lshlrev_b32_e32 v4, 2, v4
	ds_bpermute_b32 v1, v4, v1
	s_and_saveexec_b32 s0, s2
	s_cbranch_execz .LBB789_78
; %bb.77:
	v_mov_b32_e32 v3, 0
	v_mov_b32_e32 v17, 2
	s_waitcnt lgkmcnt(1)
	global_store_b64 v3, v[16:17], s[18:19] offset:256
.LBB789_78:
	s_or_b32 exec_lo, exec_lo, s0
	v_cmp_eq_u32_e32 vcc_lo, 0, v53
	s_waitcnt lgkmcnt(0)
	s_waitcnt_vscnt null, 0x0
	s_barrier
	buffer_gl0_inv
	v_mov_b32_e32 v17, 0
	v_cndmask_b32_e32 v1, v1, v2, vcc_lo
	s_delay_alu instid0(VALU_DEP_1) | instskip(NEXT) | instid1(VALU_DEP_1)
	v_cndmask_b32_e64 v1, v1, 0, s2
	v_add_nc_u32_e32 v2, v1, v44
	s_delay_alu instid0(VALU_DEP_1) | instskip(NEXT) | instid1(VALU_DEP_1)
	v_add_nc_u32_e32 v3, v2, v45
	v_add_nc_u32_e32 v4, v3, v46
	s_delay_alu instid0(VALU_DEP_1) | instskip(NEXT) | instid1(VALU_DEP_1)
	v_add_nc_u32_e32 v5, v4, v43
	;; [unrolled: 3-line block ×5, first 2 shown]
	v_add_nc_u32_e32 v12, v11, v52
	s_delay_alu instid0(VALU_DEP_1)
	v_add_nc_u32_e32 v13, v12, v39
.LBB789_79:
	s_waitcnt lgkmcnt(0)
	v_sub_nc_u32_e32 v1, v1, v17
	v_sub_nc_u32_e32 v2, v2, v17
	v_add_nc_u32_e32 v36, v16, v36
	v_lshrrev_b32_e32 v47, 8, v42
	v_lshrrev_b32_e32 v46, 16, v42
	v_sub_nc_u32_e32 v4, v4, v17
	v_sub_nc_u32_e32 v3, v3, v17
	;; [unrolled: 1-line block ×3, first 2 shown]
	v_and_b32_e32 v42, 1, v42
	v_and_b32_e32 v47, 1, v47
	;; [unrolled: 1-line block ×3, first 2 shown]
	v_lshrrev_b32_e32 v45, 8, v40
	v_lshrrev_b32_e32 v44, 16, v40
	v_cmp_eq_u32_e32 vcc_lo, 1, v42
	v_and_b32_e32 v42, 1, v46
	v_sub_nc_u32_e32 v46, v36, v2
	v_lshrrev_b32_e32 v15, 8, v38
	v_lshrrev_b32_e32 v14, 16, v38
	v_cndmask_b32_e32 v1, v48, v1, vcc_lo
	v_cmp_eq_u32_e32 vcc_lo, 1, v47
	v_add_nc_u32_e32 v46, 1, v46
	s_delay_alu instid0(VALU_DEP_3)
	v_lshlrev_b32_e32 v1, 2, v1
	ds_store_b32 v1, v30
	v_cndmask_b32_e32 v1, v46, v2, vcc_lo
	v_sub_nc_u32_e32 v48, v36, v3
	v_sub_nc_u32_e32 v49, v36, v4
	v_cmp_eq_u32_e32 vcc_lo, 1, v42
	v_or_b32_e32 v30, 0x300, v0
	v_lshlrev_b32_e32 v1, 2, v1
	v_add_nc_u32_e32 v48, 2, v48
	v_add_nc_u32_e32 v49, 3, v49
	ds_store_b32 v1, v31
	v_cndmask_b32_e32 v2, v48, v3, vcc_lo
	v_cmp_eq_u32_e32 vcc_lo, 1, v43
	v_or_b32_e32 v31, 0x200, v0
	s_delay_alu instid0(VALU_DEP_3) | instskip(SKIP_2) | instid1(VALU_DEP_3)
	v_dual_cndmask_b32 v3, v49, v4 :: v_dual_lshlrev_b32 v2, 2, v2
	v_sub_nc_u32_e32 v4, v5, v17
	v_sub_nc_u32_e32 v5, v6, v17
	v_lshlrev_b32_e32 v3, 2, v3
	s_delay_alu instid0(VALU_DEP_3) | instskip(NEXT) | instid1(VALU_DEP_3)
	v_sub_nc_u32_e32 v1, v36, v4
	v_sub_nc_u32_e32 v6, v36, v5
	ds_store_b32 v2, v28
	ds_store_b32 v3, v29
	v_and_b32_e32 v2, 1, v40
	v_add_nc_u32_e32 v1, 4, v1
	v_add_nc_u32_e32 v3, 5, v6
	v_sub_nc_u32_e32 v6, v7, v17
	v_and_b32_e32 v7, 1, v45
	v_cmp_eq_u32_e32 vcc_lo, 1, v2
	v_sub_nc_u32_e32 v2, v8, v17
	v_and_b32_e32 v8, 1, v41
	v_or_b32_e32 v29, 0x400, v0
	v_or_b32_e32 v28, 0x500, v0
	v_cndmask_b32_e32 v1, v1, v4, vcc_lo
	v_sub_nc_u32_e32 v4, v36, v6
	v_cmp_eq_u32_e32 vcc_lo, 1, v7
	v_and_b32_e32 v7, 1, v44
	s_delay_alu instid0(VALU_DEP_4) | instskip(NEXT) | instid1(VALU_DEP_4)
	v_lshlrev_b32_e32 v1, 2, v1
	v_dual_cndmask_b32 v3, v3, v5 :: v_dual_add_nc_u32 v4, 6, v4
	v_sub_nc_u32_e32 v5, v36, v2
	s_delay_alu instid0(VALU_DEP_4) | instskip(SKIP_2) | instid1(VALU_DEP_4)
	v_cmp_eq_u32_e32 vcc_lo, 1, v7
	v_sub_nc_u32_e32 v7, v13, v17
	v_add_co_u32 v13, s0, s16, v32
	v_dual_cndmask_b32 v4, v4, v6 :: v_dual_add_nc_u32 v5, 7, v5
	v_cmp_eq_u32_e32 vcc_lo, 1, v8
	v_sub_nc_u32_e32 v6, v9, v17
	v_lshlrev_b32_e32 v3, 2, v3
	ds_store_b32 v1, v26
	ds_store_b32 v3, v27
	v_cndmask_b32_e32 v2, v5, v2, vcc_lo
	v_sub_nc_u32_e32 v1, v36, v6
	v_lshlrev_b32_e32 v3, 2, v4
	v_and_b32_e32 v5, 1, v38
	v_sub_nc_u32_e32 v4, v10, v17
	v_lshlrev_b32_e32 v2, 2, v2
	v_add_nc_u32_e32 v1, 8, v1
	ds_store_b32 v3, v24
	ds_store_b32 v2, v25
	v_cmp_eq_u32_e32 vcc_lo, 1, v5
	v_sub_nc_u32_e32 v3, v11, v17
	v_sub_nc_u32_e32 v2, v36, v4
	;; [unrolled: 1-line block ×3, first 2 shown]
	v_dual_cndmask_b32 v1, v1, v6 :: v_dual_and_b32 v10, 1, v39
	v_and_b32_e32 v6, 1, v15
	v_sub_nc_u32_e32 v8, v36, v3
	v_add_nc_u32_e32 v2, 9, v2
	v_sub_nc_u32_e32 v9, v36, v5
	v_and_b32_e32 v11, 1, v37
	v_cmp_eq_u32_e32 vcc_lo, 1, v6
	v_add_nc_u32_e32 v6, 10, v8
	v_and_b32_e32 v8, 1, v14
	v_add_nc_u32_e32 v9, 11, v9
	v_dual_cndmask_b32 v2, v2, v4 :: v_dual_lshlrev_b32 v1, 2, v1
	v_sub_nc_u32_e32 v4, v36, v7
	s_delay_alu instid0(VALU_DEP_4) | instskip(SKIP_1) | instid1(VALU_DEP_4)
	v_cmp_eq_u32_e32 vcc_lo, 1, v8
	v_add_co_ci_u32_e64 v14, null, s17, 0, s0
	v_lshlrev_b32_e32 v2, 2, v2
	s_delay_alu instid0(VALU_DEP_4)
	v_dual_cndmask_b32 v3, v6, v3 :: v_dual_add_nc_u32 v4, 12, v4
	v_cmp_eq_u32_e32 vcc_lo, 1, v10
	v_or_b32_e32 v27, 0x600, v0
	v_or_b32_e32 v26, 0x700, v0
	;; [unrolled: 1-line block ×3, first 2 shown]
	v_lshlrev_b32_e32 v3, 2, v3
	v_cndmask_b32_e32 v5, v9, v5, vcc_lo
	v_cmp_eq_u32_e32 vcc_lo, 1, v11
	v_or_b32_e32 v24, 0x900, v0
	s_delay_alu instid0(VALU_DEP_3) | instskip(SKIP_2) | instid1(VALU_DEP_3)
	v_dual_cndmask_b32 v4, v4, v7 :: v_dual_lshlrev_b32 v5, 2, v5
	v_sub_co_u32 v13, vcc_lo, s14, v13
	v_sub_co_ci_u32_e32 v14, vcc_lo, s15, v14, vcc_lo
	v_lshlrev_b32_e32 v4, 2, v4
	ds_store_b32 v1, v22
	ds_store_b32 v2, v23
	;; [unrolled: 1-line block ×5, first 2 shown]
	s_waitcnt lgkmcnt(0)
	s_barrier
	buffer_gl0_inv
	ds_load_2addr_stride64_b32 v[11:12], v33 offset1:4
	ds_load_2addr_stride64_b32 v[9:10], v33 offset0:8 offset1:12
	ds_load_2addr_stride64_b32 v[7:8], v33 offset0:16 offset1:20
	;; [unrolled: 1-line block ×5, first 2 shown]
	ds_load_b32 v20, v33 offset:12288
	v_add_co_u32 v15, vcc_lo, v18, v17
	v_add_co_ci_u32_e32 v17, vcc_lo, 0, v19, vcc_lo
	v_add_co_u32 v13, vcc_lo, v13, v16
	v_add_co_ci_u32_e32 v14, vcc_lo, 0, v14, vcc_lo
	v_cmp_ne_u32_e32 vcc_lo, 1, v34
	s_delay_alu instid0(VALU_DEP_3)
	v_add_co_u32 v18, s0, v13, v15
	v_or_b32_e32 v35, 0x100, v0
	v_or_b32_e32 v23, 0xa00, v0
	;; [unrolled: 1-line block ×4, first 2 shown]
	v_add_co_ci_u32_e64 v19, s0, v14, v17, s0
	s_mov_b32 s0, 0
	s_cbranch_vccnz .LBB789_136
; %bb.80:
	s_mov_b32 s0, exec_lo
                                        ; implicit-def: $vgpr13_vgpr14
	v_cmpx_ge_u32_e64 v0, v16
	s_xor_b32 s0, exec_lo, s0
; %bb.81:
	v_not_b32_e32 v13, v0
	s_delay_alu instid0(VALU_DEP_1) | instskip(SKIP_1) | instid1(VALU_DEP_2)
	v_ashrrev_i32_e32 v14, 31, v13
	v_add_co_u32 v13, vcc_lo, v18, v13
	v_add_co_ci_u32_e32 v14, vcc_lo, v19, v14, vcc_lo
; %bb.82:
	s_and_not1_saveexec_b32 s0, s0
; %bb.83:
	v_add_co_u32 v13, vcc_lo, v15, v0
	v_add_co_ci_u32_e32 v14, vcc_lo, 0, v17, vcc_lo
; %bb.84:
	s_or_b32 exec_lo, exec_lo, s0
	s_delay_alu instid0(VALU_DEP_1) | instskip(SKIP_1) | instid1(VALU_DEP_1)
	v_lshlrev_b64 v[13:14], 2, v[13:14]
	s_mov_b32 s0, exec_lo
	v_add_co_u32 v13, vcc_lo, s12, v13
	s_delay_alu instid0(VALU_DEP_2)
	v_add_co_ci_u32_e32 v14, vcc_lo, s13, v14, vcc_lo
	s_waitcnt lgkmcnt(6)
	global_store_b32 v[13:14], v11, off
                                        ; implicit-def: $vgpr13_vgpr14
	v_cmpx_ge_u32_e64 v35, v16
	s_xor_b32 s0, exec_lo, s0
; %bb.85:
	v_xor_b32_e32 v13, 0xfffffeff, v0
	s_delay_alu instid0(VALU_DEP_1) | instskip(SKIP_1) | instid1(VALU_DEP_2)
	v_ashrrev_i32_e32 v14, 31, v13
	v_add_co_u32 v13, vcc_lo, v18, v13
	v_add_co_ci_u32_e32 v14, vcc_lo, v19, v14, vcc_lo
; %bb.86:
	s_and_not1_saveexec_b32 s0, s0
; %bb.87:
	v_add_co_u32 v13, vcc_lo, v15, v35
	v_add_co_ci_u32_e32 v14, vcc_lo, 0, v17, vcc_lo
; %bb.88:
	s_or_b32 exec_lo, exec_lo, s0
	s_delay_alu instid0(VALU_DEP_1) | instskip(SKIP_1) | instid1(VALU_DEP_1)
	v_lshlrev_b64 v[13:14], 2, v[13:14]
	s_mov_b32 s0, exec_lo
	v_add_co_u32 v13, vcc_lo, s12, v13
	s_delay_alu instid0(VALU_DEP_2)
	v_add_co_ci_u32_e32 v14, vcc_lo, s13, v14, vcc_lo
	global_store_b32 v[13:14], v12, off
                                        ; implicit-def: $vgpr13_vgpr14
	v_cmpx_ge_u32_e64 v31, v16
	s_xor_b32 s0, exec_lo, s0
; %bb.89:
	v_xor_b32_e32 v13, 0xfffffdff, v0
	s_delay_alu instid0(VALU_DEP_1) | instskip(SKIP_1) | instid1(VALU_DEP_2)
	v_ashrrev_i32_e32 v14, 31, v13
	v_add_co_u32 v13, vcc_lo, v18, v13
	v_add_co_ci_u32_e32 v14, vcc_lo, v19, v14, vcc_lo
; %bb.90:
	s_and_not1_saveexec_b32 s0, s0
; %bb.91:
	v_add_co_u32 v13, vcc_lo, v15, v31
	v_add_co_ci_u32_e32 v14, vcc_lo, 0, v17, vcc_lo
; %bb.92:
	s_or_b32 exec_lo, exec_lo, s0
	s_delay_alu instid0(VALU_DEP_1) | instskip(SKIP_1) | instid1(VALU_DEP_1)
	v_lshlrev_b64 v[13:14], 2, v[13:14]
	s_mov_b32 s0, exec_lo
	v_add_co_u32 v13, vcc_lo, s12, v13
	s_delay_alu instid0(VALU_DEP_2)
	v_add_co_ci_u32_e32 v14, vcc_lo, s13, v14, vcc_lo
	s_waitcnt lgkmcnt(5)
	global_store_b32 v[13:14], v9, off
                                        ; implicit-def: $vgpr13_vgpr14
	v_cmpx_ge_u32_e64 v30, v16
	s_xor_b32 s0, exec_lo, s0
; %bb.93:
	v_xor_b32_e32 v13, 0xfffffcff, v0
	s_delay_alu instid0(VALU_DEP_1) | instskip(SKIP_1) | instid1(VALU_DEP_2)
	v_ashrrev_i32_e32 v14, 31, v13
	v_add_co_u32 v13, vcc_lo, v18, v13
	v_add_co_ci_u32_e32 v14, vcc_lo, v19, v14, vcc_lo
; %bb.94:
	s_and_not1_saveexec_b32 s0, s0
; %bb.95:
	v_add_co_u32 v13, vcc_lo, v15, v30
	v_add_co_ci_u32_e32 v14, vcc_lo, 0, v17, vcc_lo
; %bb.96:
	s_or_b32 exec_lo, exec_lo, s0
	s_delay_alu instid0(VALU_DEP_1) | instskip(SKIP_1) | instid1(VALU_DEP_1)
	v_lshlrev_b64 v[13:14], 2, v[13:14]
	s_mov_b32 s0, exec_lo
	v_add_co_u32 v13, vcc_lo, s12, v13
	s_delay_alu instid0(VALU_DEP_2)
	v_add_co_ci_u32_e32 v14, vcc_lo, s13, v14, vcc_lo
	global_store_b32 v[13:14], v10, off
                                        ; implicit-def: $vgpr13_vgpr14
	v_cmpx_ge_u32_e64 v29, v16
	s_xor_b32 s0, exec_lo, s0
; %bb.97:
	v_xor_b32_e32 v13, 0xfffffbff, v0
	;; [unrolled: 47-line block ×6, first 2 shown]
	s_delay_alu instid0(VALU_DEP_1) | instskip(SKIP_1) | instid1(VALU_DEP_2)
	v_ashrrev_i32_e32 v14, 31, v13
	v_add_co_u32 v13, vcc_lo, v18, v13
	v_add_co_ci_u32_e32 v14, vcc_lo, v19, v14, vcc_lo
; %bb.130:
	s_and_not1_saveexec_b32 s0, s0
; %bb.131:
	v_add_co_u32 v13, vcc_lo, v15, v21
	v_add_co_ci_u32_e32 v14, vcc_lo, 0, v17, vcc_lo
; %bb.132:
	s_or_b32 exec_lo, exec_lo, s0
	s_mov_b32 s0, -1
.LBB789_133:
	s_delay_alu instid0(SALU_CYCLE_1)
	s_and_saveexec_b32 s1, s0
	s_cbranch_execz .LBB789_216
.LBB789_134:
	s_waitcnt lgkmcnt(1)
	v_lshlrev_b64 v[0:1], 2, v[13:14]
	s_delay_alu instid0(VALU_DEP_1) | instskip(NEXT) | instid1(VALU_DEP_2)
	v_add_co_u32 v0, vcc_lo, s12, v0
	v_add_co_ci_u32_e32 v1, vcc_lo, s13, v1, vcc_lo
	s_waitcnt lgkmcnt(0)
	global_store_b32 v[0:1], v20, off
	s_or_b32 exec_lo, exec_lo, s1
	s_and_b32 s0, s2, s10
	s_delay_alu instid0(SALU_CYCLE_1)
	s_and_saveexec_b32 s1, s0
	s_cbranch_execnz .LBB789_217
.LBB789_135:
	s_nop 0
	s_sendmsg sendmsg(MSG_DEALLOC_VGPRS)
	s_endpgm
.LBB789_136:
                                        ; implicit-def: $vgpr13_vgpr14
	s_cbranch_execz .LBB789_133
; %bb.137:
	s_mov_b32 s1, exec_lo
	v_cmpx_gt_u32_e64 s11, v0
	s_cbranch_execz .LBB789_173
; %bb.138:
	s_mov_b32 s3, exec_lo
                                        ; implicit-def: $vgpr13_vgpr14
	v_cmpx_ge_u32_e64 v0, v16
	s_xor_b32 s3, exec_lo, s3
; %bb.139:
	v_not_b32_e32 v13, v0
	s_delay_alu instid0(VALU_DEP_1) | instskip(SKIP_1) | instid1(VALU_DEP_2)
	v_ashrrev_i32_e32 v14, 31, v13
	v_add_co_u32 v13, vcc_lo, v18, v13
	v_add_co_ci_u32_e32 v14, vcc_lo, v19, v14, vcc_lo
; %bb.140:
	s_and_not1_saveexec_b32 s3, s3
; %bb.141:
	v_add_co_u32 v13, vcc_lo, v15, v0
	v_add_co_ci_u32_e32 v14, vcc_lo, 0, v17, vcc_lo
; %bb.142:
	s_or_b32 exec_lo, exec_lo, s3
	s_delay_alu instid0(VALU_DEP_1) | instskip(NEXT) | instid1(VALU_DEP_1)
	v_lshlrev_b64 v[13:14], 2, v[13:14]
	v_add_co_u32 v13, vcc_lo, s12, v13
	s_delay_alu instid0(VALU_DEP_2) | instskip(SKIP_3) | instid1(SALU_CYCLE_1)
	v_add_co_ci_u32_e32 v14, vcc_lo, s13, v14, vcc_lo
	s_waitcnt lgkmcnt(6)
	global_store_b32 v[13:14], v11, off
	s_or_b32 exec_lo, exec_lo, s1
	s_mov_b32 s1, exec_lo
	v_cmpx_gt_u32_e64 s11, v35
	s_cbranch_execnz .LBB789_174
.LBB789_143:
	s_or_b32 exec_lo, exec_lo, s1
	s_delay_alu instid0(SALU_CYCLE_1)
	s_mov_b32 s1, exec_lo
	v_cmpx_gt_u32_e64 s11, v31
	s_cbranch_execz .LBB789_179
.LBB789_144:
	s_mov_b32 s3, exec_lo
                                        ; implicit-def: $vgpr11_vgpr12
	v_cmpx_ge_u32_e64 v31, v16
	s_xor_b32 s3, exec_lo, s3
	s_cbranch_execz .LBB789_146
; %bb.145:
	s_waitcnt lgkmcnt(6)
	v_xor_b32_e32 v11, 0xfffffdff, v0
                                        ; implicit-def: $vgpr31
	s_delay_alu instid0(VALU_DEP_1) | instskip(SKIP_1) | instid1(VALU_DEP_2)
	v_ashrrev_i32_e32 v12, 31, v11
	v_add_co_u32 v11, vcc_lo, v18, v11
	v_add_co_ci_u32_e32 v12, vcc_lo, v19, v12, vcc_lo
.LBB789_146:
	s_and_not1_saveexec_b32 s3, s3
	s_cbranch_execz .LBB789_148
; %bb.147:
	s_waitcnt lgkmcnt(6)
	v_add_co_u32 v11, vcc_lo, v15, v31
	v_add_co_ci_u32_e32 v12, vcc_lo, 0, v17, vcc_lo
.LBB789_148:
	s_or_b32 exec_lo, exec_lo, s3
	s_waitcnt lgkmcnt(6)
	s_delay_alu instid0(VALU_DEP_1) | instskip(NEXT) | instid1(VALU_DEP_1)
	v_lshlrev_b64 v[11:12], 2, v[11:12]
	v_add_co_u32 v11, vcc_lo, s12, v11
	s_delay_alu instid0(VALU_DEP_2) | instskip(SKIP_3) | instid1(SALU_CYCLE_1)
	v_add_co_ci_u32_e32 v12, vcc_lo, s13, v12, vcc_lo
	s_waitcnt lgkmcnt(5)
	global_store_b32 v[11:12], v9, off
	s_or_b32 exec_lo, exec_lo, s1
	s_mov_b32 s1, exec_lo
	v_cmpx_gt_u32_e64 s11, v30
	s_cbranch_execnz .LBB789_180
.LBB789_149:
	s_or_b32 exec_lo, exec_lo, s1
	s_delay_alu instid0(SALU_CYCLE_1)
	s_mov_b32 s1, exec_lo
	v_cmpx_gt_u32_e64 s11, v29
	s_cbranch_execz .LBB789_185
.LBB789_150:
	s_mov_b32 s3, exec_lo
                                        ; implicit-def: $vgpr9_vgpr10
	v_cmpx_ge_u32_e64 v29, v16
	s_xor_b32 s3, exec_lo, s3
	s_cbranch_execz .LBB789_152
; %bb.151:
	s_waitcnt lgkmcnt(5)
	v_xor_b32_e32 v9, 0xfffffbff, v0
                                        ; implicit-def: $vgpr29
	s_delay_alu instid0(VALU_DEP_1) | instskip(SKIP_1) | instid1(VALU_DEP_2)
	v_ashrrev_i32_e32 v10, 31, v9
	v_add_co_u32 v9, vcc_lo, v18, v9
	v_add_co_ci_u32_e32 v10, vcc_lo, v19, v10, vcc_lo
.LBB789_152:
	s_and_not1_saveexec_b32 s3, s3
	s_cbranch_execz .LBB789_154
; %bb.153:
	s_waitcnt lgkmcnt(5)
	v_add_co_u32 v9, vcc_lo, v15, v29
	v_add_co_ci_u32_e32 v10, vcc_lo, 0, v17, vcc_lo
.LBB789_154:
	s_or_b32 exec_lo, exec_lo, s3
	s_waitcnt lgkmcnt(5)
	s_delay_alu instid0(VALU_DEP_1) | instskip(NEXT) | instid1(VALU_DEP_1)
	v_lshlrev_b64 v[9:10], 2, v[9:10]
	v_add_co_u32 v9, vcc_lo, s12, v9
	s_delay_alu instid0(VALU_DEP_2) | instskip(SKIP_3) | instid1(SALU_CYCLE_1)
	v_add_co_ci_u32_e32 v10, vcc_lo, s13, v10, vcc_lo
	s_waitcnt lgkmcnt(4)
	global_store_b32 v[9:10], v7, off
	s_or_b32 exec_lo, exec_lo, s1
	s_mov_b32 s1, exec_lo
	v_cmpx_gt_u32_e64 s11, v28
	s_cbranch_execnz .LBB789_186
.LBB789_155:
	s_or_b32 exec_lo, exec_lo, s1
	s_delay_alu instid0(SALU_CYCLE_1)
	s_mov_b32 s1, exec_lo
	v_cmpx_gt_u32_e64 s11, v27
	s_cbranch_execz .LBB789_191
.LBB789_156:
	s_mov_b32 s3, exec_lo
                                        ; implicit-def: $vgpr7_vgpr8
	v_cmpx_ge_u32_e64 v27, v16
	s_xor_b32 s3, exec_lo, s3
	s_cbranch_execz .LBB789_158
; %bb.157:
	s_waitcnt lgkmcnt(4)
	v_xor_b32_e32 v7, 0xfffff9ff, v0
                                        ; implicit-def: $vgpr27
	s_delay_alu instid0(VALU_DEP_1) | instskip(SKIP_1) | instid1(VALU_DEP_2)
	v_ashrrev_i32_e32 v8, 31, v7
	v_add_co_u32 v7, vcc_lo, v18, v7
	v_add_co_ci_u32_e32 v8, vcc_lo, v19, v8, vcc_lo
.LBB789_158:
	s_and_not1_saveexec_b32 s3, s3
	s_cbranch_execz .LBB789_160
; %bb.159:
	s_waitcnt lgkmcnt(4)
	v_add_co_u32 v7, vcc_lo, v15, v27
	v_add_co_ci_u32_e32 v8, vcc_lo, 0, v17, vcc_lo
.LBB789_160:
	s_or_b32 exec_lo, exec_lo, s3
	s_waitcnt lgkmcnt(4)
	s_delay_alu instid0(VALU_DEP_1) | instskip(NEXT) | instid1(VALU_DEP_1)
	v_lshlrev_b64 v[7:8], 2, v[7:8]
	v_add_co_u32 v7, vcc_lo, s12, v7
	s_delay_alu instid0(VALU_DEP_2) | instskip(SKIP_3) | instid1(SALU_CYCLE_1)
	v_add_co_ci_u32_e32 v8, vcc_lo, s13, v8, vcc_lo
	s_waitcnt lgkmcnt(3)
	global_store_b32 v[7:8], v5, off
	s_or_b32 exec_lo, exec_lo, s1
	s_mov_b32 s1, exec_lo
	v_cmpx_gt_u32_e64 s11, v26
	s_cbranch_execnz .LBB789_192
.LBB789_161:
	s_or_b32 exec_lo, exec_lo, s1
	s_delay_alu instid0(SALU_CYCLE_1)
	s_mov_b32 s1, exec_lo
	v_cmpx_gt_u32_e64 s11, v25
	s_cbranch_execz .LBB789_197
.LBB789_162:
	s_mov_b32 s3, exec_lo
                                        ; implicit-def: $vgpr5_vgpr6
	v_cmpx_ge_u32_e64 v25, v16
	s_xor_b32 s3, exec_lo, s3
	s_cbranch_execz .LBB789_164
; %bb.163:
	s_waitcnt lgkmcnt(3)
	v_xor_b32_e32 v5, 0xfffff7ff, v0
                                        ; implicit-def: $vgpr25
	s_delay_alu instid0(VALU_DEP_1) | instskip(SKIP_1) | instid1(VALU_DEP_2)
	v_ashrrev_i32_e32 v6, 31, v5
	v_add_co_u32 v5, vcc_lo, v18, v5
	v_add_co_ci_u32_e32 v6, vcc_lo, v19, v6, vcc_lo
.LBB789_164:
	s_and_not1_saveexec_b32 s3, s3
	s_cbranch_execz .LBB789_166
; %bb.165:
	s_waitcnt lgkmcnt(3)
	v_add_co_u32 v5, vcc_lo, v15, v25
	v_add_co_ci_u32_e32 v6, vcc_lo, 0, v17, vcc_lo
.LBB789_166:
	s_or_b32 exec_lo, exec_lo, s3
	s_waitcnt lgkmcnt(3)
	s_delay_alu instid0(VALU_DEP_1) | instskip(NEXT) | instid1(VALU_DEP_1)
	v_lshlrev_b64 v[5:6], 2, v[5:6]
	v_add_co_u32 v5, vcc_lo, s12, v5
	s_delay_alu instid0(VALU_DEP_2) | instskip(SKIP_3) | instid1(SALU_CYCLE_1)
	v_add_co_ci_u32_e32 v6, vcc_lo, s13, v6, vcc_lo
	s_waitcnt lgkmcnt(2)
	global_store_b32 v[5:6], v3, off
	s_or_b32 exec_lo, exec_lo, s1
	s_mov_b32 s1, exec_lo
	v_cmpx_gt_u32_e64 s11, v24
	s_cbranch_execnz .LBB789_198
.LBB789_167:
	s_or_b32 exec_lo, exec_lo, s1
	s_delay_alu instid0(SALU_CYCLE_1)
	s_mov_b32 s1, exec_lo
	v_cmpx_gt_u32_e64 s11, v23
	s_cbranch_execz .LBB789_203
.LBB789_168:
	s_mov_b32 s3, exec_lo
                                        ; implicit-def: $vgpr3_vgpr4
	v_cmpx_ge_u32_e64 v23, v16
	s_xor_b32 s3, exec_lo, s3
	s_cbranch_execz .LBB789_170
; %bb.169:
	s_waitcnt lgkmcnt(2)
	v_xor_b32_e32 v3, 0xfffff5ff, v0
                                        ; implicit-def: $vgpr23
	s_delay_alu instid0(VALU_DEP_1) | instskip(SKIP_1) | instid1(VALU_DEP_2)
	v_ashrrev_i32_e32 v4, 31, v3
	v_add_co_u32 v3, vcc_lo, v18, v3
	v_add_co_ci_u32_e32 v4, vcc_lo, v19, v4, vcc_lo
.LBB789_170:
	s_and_not1_saveexec_b32 s3, s3
	s_cbranch_execz .LBB789_172
; %bb.171:
	s_waitcnt lgkmcnt(2)
	v_add_co_u32 v3, vcc_lo, v15, v23
	v_add_co_ci_u32_e32 v4, vcc_lo, 0, v17, vcc_lo
.LBB789_172:
	s_or_b32 exec_lo, exec_lo, s3
	s_waitcnt lgkmcnt(2)
	s_delay_alu instid0(VALU_DEP_1) | instskip(NEXT) | instid1(VALU_DEP_1)
	v_lshlrev_b64 v[3:4], 2, v[3:4]
	v_add_co_u32 v3, vcc_lo, s12, v3
	s_delay_alu instid0(VALU_DEP_2) | instskip(SKIP_3) | instid1(SALU_CYCLE_1)
	v_add_co_ci_u32_e32 v4, vcc_lo, s13, v4, vcc_lo
	s_waitcnt lgkmcnt(1)
	global_store_b32 v[3:4], v1, off
	s_or_b32 exec_lo, exec_lo, s1
	s_mov_b32 s1, exec_lo
	v_cmpx_gt_u32_e64 s11, v22
	s_cbranch_execz .LBB789_209
	s_branch .LBB789_204
.LBB789_173:
	s_or_b32 exec_lo, exec_lo, s1
	s_delay_alu instid0(SALU_CYCLE_1)
	s_mov_b32 s1, exec_lo
	v_cmpx_gt_u32_e64 s11, v35
	s_cbranch_execz .LBB789_143
.LBB789_174:
	s_mov_b32 s3, exec_lo
                                        ; implicit-def: $vgpr13_vgpr14
	v_cmpx_ge_u32_e64 v35, v16
	s_xor_b32 s3, exec_lo, s3
	s_cbranch_execz .LBB789_176
; %bb.175:
	s_waitcnt lgkmcnt(6)
	v_xor_b32_e32 v11, 0xfffffeff, v0
                                        ; implicit-def: $vgpr35
	s_delay_alu instid0(VALU_DEP_1) | instskip(SKIP_1) | instid1(VALU_DEP_2)
	v_ashrrev_i32_e32 v14, 31, v11
	v_add_co_u32 v13, vcc_lo, v18, v11
	v_add_co_ci_u32_e32 v14, vcc_lo, v19, v14, vcc_lo
.LBB789_176:
	s_and_not1_saveexec_b32 s3, s3
; %bb.177:
	v_add_co_u32 v13, vcc_lo, v15, v35
	v_add_co_ci_u32_e32 v14, vcc_lo, 0, v17, vcc_lo
; %bb.178:
	s_or_b32 exec_lo, exec_lo, s3
	s_delay_alu instid0(VALU_DEP_1) | instskip(NEXT) | instid1(VALU_DEP_1)
	v_lshlrev_b64 v[13:14], 2, v[13:14]
	v_add_co_u32 v13, vcc_lo, s12, v13
	s_delay_alu instid0(VALU_DEP_2) | instskip(SKIP_3) | instid1(SALU_CYCLE_1)
	v_add_co_ci_u32_e32 v14, vcc_lo, s13, v14, vcc_lo
	s_waitcnt lgkmcnt(6)
	global_store_b32 v[13:14], v12, off
	s_or_b32 exec_lo, exec_lo, s1
	s_mov_b32 s1, exec_lo
	v_cmpx_gt_u32_e64 s11, v31
	s_cbranch_execnz .LBB789_144
.LBB789_179:
	s_or_b32 exec_lo, exec_lo, s1
	s_delay_alu instid0(SALU_CYCLE_1)
	s_mov_b32 s1, exec_lo
	v_cmpx_gt_u32_e64 s11, v30
	s_cbranch_execz .LBB789_149
.LBB789_180:
	s_mov_b32 s3, exec_lo
                                        ; implicit-def: $vgpr11_vgpr12
	v_cmpx_ge_u32_e64 v30, v16
	s_xor_b32 s3, exec_lo, s3
	s_cbranch_execz .LBB789_182
; %bb.181:
	s_waitcnt lgkmcnt(5)
	v_xor_b32_e32 v9, 0xfffffcff, v0
                                        ; implicit-def: $vgpr30
	s_delay_alu instid0(VALU_DEP_1) | instskip(SKIP_1) | instid1(VALU_DEP_2)
	v_ashrrev_i32_e32 v12, 31, v9
	v_add_co_u32 v11, vcc_lo, v18, v9
	v_add_co_ci_u32_e32 v12, vcc_lo, v19, v12, vcc_lo
.LBB789_182:
	s_and_not1_saveexec_b32 s3, s3
	s_cbranch_execz .LBB789_184
; %bb.183:
	s_waitcnt lgkmcnt(6)
	v_add_co_u32 v11, vcc_lo, v15, v30
	v_add_co_ci_u32_e32 v12, vcc_lo, 0, v17, vcc_lo
.LBB789_184:
	s_or_b32 exec_lo, exec_lo, s3
	s_waitcnt lgkmcnt(6)
	s_delay_alu instid0(VALU_DEP_1) | instskip(NEXT) | instid1(VALU_DEP_1)
	v_lshlrev_b64 v[11:12], 2, v[11:12]
	v_add_co_u32 v11, vcc_lo, s12, v11
	s_delay_alu instid0(VALU_DEP_2) | instskip(SKIP_3) | instid1(SALU_CYCLE_1)
	v_add_co_ci_u32_e32 v12, vcc_lo, s13, v12, vcc_lo
	s_waitcnt lgkmcnt(5)
	global_store_b32 v[11:12], v10, off
	s_or_b32 exec_lo, exec_lo, s1
	s_mov_b32 s1, exec_lo
	v_cmpx_gt_u32_e64 s11, v29
	s_cbranch_execnz .LBB789_150
.LBB789_185:
	s_or_b32 exec_lo, exec_lo, s1
	s_delay_alu instid0(SALU_CYCLE_1)
	s_mov_b32 s1, exec_lo
	v_cmpx_gt_u32_e64 s11, v28
	s_cbranch_execz .LBB789_155
.LBB789_186:
	s_mov_b32 s3, exec_lo
                                        ; implicit-def: $vgpr9_vgpr10
	v_cmpx_ge_u32_e64 v28, v16
	s_xor_b32 s3, exec_lo, s3
	s_cbranch_execz .LBB789_188
; %bb.187:
	s_waitcnt lgkmcnt(4)
	v_xor_b32_e32 v7, 0xfffffaff, v0
                                        ; implicit-def: $vgpr28
	s_delay_alu instid0(VALU_DEP_1) | instskip(SKIP_1) | instid1(VALU_DEP_2)
	v_ashrrev_i32_e32 v10, 31, v7
	v_add_co_u32 v9, vcc_lo, v18, v7
	v_add_co_ci_u32_e32 v10, vcc_lo, v19, v10, vcc_lo
.LBB789_188:
	s_and_not1_saveexec_b32 s3, s3
	s_cbranch_execz .LBB789_190
; %bb.189:
	s_waitcnt lgkmcnt(5)
	v_add_co_u32 v9, vcc_lo, v15, v28
	v_add_co_ci_u32_e32 v10, vcc_lo, 0, v17, vcc_lo
.LBB789_190:
	s_or_b32 exec_lo, exec_lo, s3
	s_waitcnt lgkmcnt(5)
	s_delay_alu instid0(VALU_DEP_1) | instskip(NEXT) | instid1(VALU_DEP_1)
	v_lshlrev_b64 v[9:10], 2, v[9:10]
	v_add_co_u32 v9, vcc_lo, s12, v9
	s_delay_alu instid0(VALU_DEP_2) | instskip(SKIP_3) | instid1(SALU_CYCLE_1)
	v_add_co_ci_u32_e32 v10, vcc_lo, s13, v10, vcc_lo
	s_waitcnt lgkmcnt(4)
	global_store_b32 v[9:10], v8, off
	s_or_b32 exec_lo, exec_lo, s1
	s_mov_b32 s1, exec_lo
	v_cmpx_gt_u32_e64 s11, v27
	s_cbranch_execnz .LBB789_156
.LBB789_191:
	s_or_b32 exec_lo, exec_lo, s1
	s_delay_alu instid0(SALU_CYCLE_1)
	s_mov_b32 s1, exec_lo
	v_cmpx_gt_u32_e64 s11, v26
	s_cbranch_execz .LBB789_161
.LBB789_192:
	s_mov_b32 s3, exec_lo
                                        ; implicit-def: $vgpr7_vgpr8
	v_cmpx_ge_u32_e64 v26, v16
	s_xor_b32 s3, exec_lo, s3
	s_cbranch_execz .LBB789_194
; %bb.193:
	s_waitcnt lgkmcnt(3)
	v_xor_b32_e32 v5, 0xfffff8ff, v0
                                        ; implicit-def: $vgpr26
	s_delay_alu instid0(VALU_DEP_1) | instskip(SKIP_1) | instid1(VALU_DEP_2)
	v_ashrrev_i32_e32 v8, 31, v5
	v_add_co_u32 v7, vcc_lo, v18, v5
	v_add_co_ci_u32_e32 v8, vcc_lo, v19, v8, vcc_lo
.LBB789_194:
	s_and_not1_saveexec_b32 s3, s3
	s_cbranch_execz .LBB789_196
; %bb.195:
	s_waitcnt lgkmcnt(4)
	v_add_co_u32 v7, vcc_lo, v15, v26
	v_add_co_ci_u32_e32 v8, vcc_lo, 0, v17, vcc_lo
.LBB789_196:
	s_or_b32 exec_lo, exec_lo, s3
	s_waitcnt lgkmcnt(4)
	s_delay_alu instid0(VALU_DEP_1) | instskip(NEXT) | instid1(VALU_DEP_1)
	v_lshlrev_b64 v[7:8], 2, v[7:8]
	v_add_co_u32 v7, vcc_lo, s12, v7
	s_delay_alu instid0(VALU_DEP_2) | instskip(SKIP_3) | instid1(SALU_CYCLE_1)
	v_add_co_ci_u32_e32 v8, vcc_lo, s13, v8, vcc_lo
	s_waitcnt lgkmcnt(3)
	global_store_b32 v[7:8], v6, off
	s_or_b32 exec_lo, exec_lo, s1
	s_mov_b32 s1, exec_lo
	v_cmpx_gt_u32_e64 s11, v25
	s_cbranch_execnz .LBB789_162
.LBB789_197:
	s_or_b32 exec_lo, exec_lo, s1
	s_delay_alu instid0(SALU_CYCLE_1)
	s_mov_b32 s1, exec_lo
	v_cmpx_gt_u32_e64 s11, v24
	s_cbranch_execz .LBB789_167
.LBB789_198:
	s_mov_b32 s3, exec_lo
                                        ; implicit-def: $vgpr5_vgpr6
	v_cmpx_ge_u32_e64 v24, v16
	s_xor_b32 s3, exec_lo, s3
	s_cbranch_execz .LBB789_200
; %bb.199:
	s_waitcnt lgkmcnt(2)
	v_xor_b32_e32 v3, 0xfffff6ff, v0
                                        ; implicit-def: $vgpr24
	s_delay_alu instid0(VALU_DEP_1) | instskip(SKIP_1) | instid1(VALU_DEP_2)
	v_ashrrev_i32_e32 v6, 31, v3
	v_add_co_u32 v5, vcc_lo, v18, v3
	v_add_co_ci_u32_e32 v6, vcc_lo, v19, v6, vcc_lo
.LBB789_200:
	s_and_not1_saveexec_b32 s3, s3
	s_cbranch_execz .LBB789_202
; %bb.201:
	s_waitcnt lgkmcnt(3)
	v_add_co_u32 v5, vcc_lo, v15, v24
	v_add_co_ci_u32_e32 v6, vcc_lo, 0, v17, vcc_lo
.LBB789_202:
	s_or_b32 exec_lo, exec_lo, s3
	s_waitcnt lgkmcnt(3)
	s_delay_alu instid0(VALU_DEP_1) | instskip(NEXT) | instid1(VALU_DEP_1)
	v_lshlrev_b64 v[5:6], 2, v[5:6]
	v_add_co_u32 v5, vcc_lo, s12, v5
	s_delay_alu instid0(VALU_DEP_2) | instskip(SKIP_3) | instid1(SALU_CYCLE_1)
	v_add_co_ci_u32_e32 v6, vcc_lo, s13, v6, vcc_lo
	s_waitcnt lgkmcnt(2)
	global_store_b32 v[5:6], v4, off
	s_or_b32 exec_lo, exec_lo, s1
	s_mov_b32 s1, exec_lo
	v_cmpx_gt_u32_e64 s11, v23
	s_cbranch_execnz .LBB789_168
.LBB789_203:
	s_or_b32 exec_lo, exec_lo, s1
	s_delay_alu instid0(SALU_CYCLE_1)
	s_mov_b32 s1, exec_lo
	v_cmpx_gt_u32_e64 s11, v22
	s_cbranch_execz .LBB789_209
.LBB789_204:
	s_mov_b32 s3, exec_lo
                                        ; implicit-def: $vgpr3_vgpr4
	v_cmpx_ge_u32_e64 v22, v16
	s_xor_b32 s3, exec_lo, s3
	s_cbranch_execz .LBB789_206
; %bb.205:
	s_waitcnt lgkmcnt(1)
	v_xor_b32_e32 v1, 0xfffff4ff, v0
                                        ; implicit-def: $vgpr22
	s_delay_alu instid0(VALU_DEP_1) | instskip(SKIP_1) | instid1(VALU_DEP_2)
	v_ashrrev_i32_e32 v4, 31, v1
	v_add_co_u32 v3, vcc_lo, v18, v1
	v_add_co_ci_u32_e32 v4, vcc_lo, v19, v4, vcc_lo
.LBB789_206:
	s_and_not1_saveexec_b32 s3, s3
	s_cbranch_execz .LBB789_208
; %bb.207:
	s_waitcnt lgkmcnt(2)
	v_add_co_u32 v3, vcc_lo, v15, v22
	v_add_co_ci_u32_e32 v4, vcc_lo, 0, v17, vcc_lo
.LBB789_208:
	s_or_b32 exec_lo, exec_lo, s3
	s_waitcnt lgkmcnt(2)
	s_delay_alu instid0(VALU_DEP_1) | instskip(NEXT) | instid1(VALU_DEP_1)
	v_lshlrev_b64 v[3:4], 2, v[3:4]
	v_add_co_u32 v3, vcc_lo, s12, v3
	s_delay_alu instid0(VALU_DEP_2)
	v_add_co_ci_u32_e32 v4, vcc_lo, s13, v4, vcc_lo
	s_waitcnt lgkmcnt(1)
	global_store_b32 v[3:4], v2, off
.LBB789_209:
	s_or_b32 exec_lo, exec_lo, s1
	s_delay_alu instid0(SALU_CYCLE_1)
	s_mov_b32 s1, exec_lo
                                        ; implicit-def: $vgpr13_vgpr14
	v_cmpx_gt_u32_e64 s11, v21
	s_cbranch_execz .LBB789_215
; %bb.210:
	s_mov_b32 s3, exec_lo
                                        ; implicit-def: $vgpr13_vgpr14
	v_cmpx_ge_u32_e64 v21, v16
	s_xor_b32 s3, exec_lo, s3
	s_cbranch_execz .LBB789_212
; %bb.211:
	v_xor_b32_e32 v0, 0xfffff3ff, v0
                                        ; implicit-def: $vgpr21
	s_waitcnt lgkmcnt(1)
	s_delay_alu instid0(VALU_DEP_1) | instskip(SKIP_1) | instid1(VALU_DEP_2)
	v_ashrrev_i32_e32 v1, 31, v0
	v_add_co_u32 v13, vcc_lo, v18, v0
	v_add_co_ci_u32_e32 v14, vcc_lo, v19, v1, vcc_lo
.LBB789_212:
	s_and_not1_saveexec_b32 s3, s3
; %bb.213:
	v_add_co_u32 v13, vcc_lo, v15, v21
	v_add_co_ci_u32_e32 v14, vcc_lo, 0, v17, vcc_lo
; %bb.214:
	s_or_b32 exec_lo, exec_lo, s3
	s_delay_alu instid0(SALU_CYCLE_1)
	s_or_b32 s0, s0, exec_lo
.LBB789_215:
	s_or_b32 exec_lo, exec_lo, s1
	s_and_saveexec_b32 s1, s0
	s_cbranch_execnz .LBB789_134
.LBB789_216:
	s_or_b32 exec_lo, exec_lo, s1
	s_and_b32 s0, s2, s10
	s_delay_alu instid0(SALU_CYCLE_1)
	s_and_saveexec_b32 s1, s0
	s_cbranch_execz .LBB789_135
.LBB789_217:
	v_add_co_u32 v0, vcc_lo, v15, v16
	s_waitcnt lgkmcnt(1)
	v_mov_b32_e32 v2, 0
	v_add_co_ci_u32_e32 v1, vcc_lo, 0, v17, vcc_lo
	global_store_b64 v2, v[0:1], s[8:9]
	s_nop 0
	s_sendmsg sendmsg(MSG_DEALLOC_VGPRS)
	s_endpgm
	.section	.rodata,"a",@progbits
	.p2align	6, 0x0
	.amdhsa_kernel _ZN7rocprim17ROCPRIM_400000_NS6detail17trampoline_kernelINS0_13select_configILj256ELj13ELNS0_17block_load_methodE3ELS4_3ELS4_3ELNS0_20block_scan_algorithmE0ELj4294967295EEENS1_25partition_config_selectorILNS1_17partition_subalgoE3EjNS0_10empty_typeEbEEZZNS1_14partition_implILS8_3ELb0ES6_jNS0_17counting_iteratorIjlEEPS9_SE_NS0_5tupleIJPjSE_EEENSF_IJSE_SE_EEES9_SG_JZNS1_25segmented_radix_sort_implINS0_14default_configELb0EPKlPlSM_SN_N2at6native12_GLOBAL__N_18offset_tEEE10hipError_tPvRmT1_PNSt15iterator_traitsISV_E10value_typeET2_T3_PNSW_IS11_E10value_typeET4_jRbjT5_S17_jjP12ihipStream_tbEUljE_EEESS_ST_SU_S11_S15_S17_T6_T7_T9_mT8_S19_bDpT10_ENKUlT_T0_E_clISt17integral_constantIbLb1EES1M_EEDaS1H_S1I_EUlS1H_E_NS1_11comp_targetILNS1_3genE9ELNS1_11target_archE1100ELNS1_3gpuE3ELNS1_3repE0EEENS1_30default_config_static_selectorELNS0_4arch9wavefront6targetE0EEEvSV_
		.amdhsa_group_segment_fixed_size 13324
		.amdhsa_private_segment_fixed_size 0
		.amdhsa_kernarg_size 152
		.amdhsa_user_sgpr_count 15
		.amdhsa_user_sgpr_dispatch_ptr 0
		.amdhsa_user_sgpr_queue_ptr 0
		.amdhsa_user_sgpr_kernarg_segment_ptr 1
		.amdhsa_user_sgpr_dispatch_id 0
		.amdhsa_user_sgpr_private_segment_size 0
		.amdhsa_wavefront_size32 1
		.amdhsa_uses_dynamic_stack 0
		.amdhsa_enable_private_segment 0
		.amdhsa_system_sgpr_workgroup_id_x 1
		.amdhsa_system_sgpr_workgroup_id_y 0
		.amdhsa_system_sgpr_workgroup_id_z 0
		.amdhsa_system_sgpr_workgroup_info 0
		.amdhsa_system_vgpr_workitem_id 0
		.amdhsa_next_free_vgpr 60
		.amdhsa_next_free_sgpr 26
		.amdhsa_reserve_vcc 1
		.amdhsa_float_round_mode_32 0
		.amdhsa_float_round_mode_16_64 0
		.amdhsa_float_denorm_mode_32 3
		.amdhsa_float_denorm_mode_16_64 3
		.amdhsa_dx10_clamp 1
		.amdhsa_ieee_mode 1
		.amdhsa_fp16_overflow 0
		.amdhsa_workgroup_processor_mode 1
		.amdhsa_memory_ordered 1
		.amdhsa_forward_progress 0
		.amdhsa_shared_vgpr_count 0
		.amdhsa_exception_fp_ieee_invalid_op 0
		.amdhsa_exception_fp_denorm_src 0
		.amdhsa_exception_fp_ieee_div_zero 0
		.amdhsa_exception_fp_ieee_overflow 0
		.amdhsa_exception_fp_ieee_underflow 0
		.amdhsa_exception_fp_ieee_inexact 0
		.amdhsa_exception_int_div_zero 0
	.end_amdhsa_kernel
	.section	.text._ZN7rocprim17ROCPRIM_400000_NS6detail17trampoline_kernelINS0_13select_configILj256ELj13ELNS0_17block_load_methodE3ELS4_3ELS4_3ELNS0_20block_scan_algorithmE0ELj4294967295EEENS1_25partition_config_selectorILNS1_17partition_subalgoE3EjNS0_10empty_typeEbEEZZNS1_14partition_implILS8_3ELb0ES6_jNS0_17counting_iteratorIjlEEPS9_SE_NS0_5tupleIJPjSE_EEENSF_IJSE_SE_EEES9_SG_JZNS1_25segmented_radix_sort_implINS0_14default_configELb0EPKlPlSM_SN_N2at6native12_GLOBAL__N_18offset_tEEE10hipError_tPvRmT1_PNSt15iterator_traitsISV_E10value_typeET2_T3_PNSW_IS11_E10value_typeET4_jRbjT5_S17_jjP12ihipStream_tbEUljE_EEESS_ST_SU_S11_S15_S17_T6_T7_T9_mT8_S19_bDpT10_ENKUlT_T0_E_clISt17integral_constantIbLb1EES1M_EEDaS1H_S1I_EUlS1H_E_NS1_11comp_targetILNS1_3genE9ELNS1_11target_archE1100ELNS1_3gpuE3ELNS1_3repE0EEENS1_30default_config_static_selectorELNS0_4arch9wavefront6targetE0EEEvSV_,"axG",@progbits,_ZN7rocprim17ROCPRIM_400000_NS6detail17trampoline_kernelINS0_13select_configILj256ELj13ELNS0_17block_load_methodE3ELS4_3ELS4_3ELNS0_20block_scan_algorithmE0ELj4294967295EEENS1_25partition_config_selectorILNS1_17partition_subalgoE3EjNS0_10empty_typeEbEEZZNS1_14partition_implILS8_3ELb0ES6_jNS0_17counting_iteratorIjlEEPS9_SE_NS0_5tupleIJPjSE_EEENSF_IJSE_SE_EEES9_SG_JZNS1_25segmented_radix_sort_implINS0_14default_configELb0EPKlPlSM_SN_N2at6native12_GLOBAL__N_18offset_tEEE10hipError_tPvRmT1_PNSt15iterator_traitsISV_E10value_typeET2_T3_PNSW_IS11_E10value_typeET4_jRbjT5_S17_jjP12ihipStream_tbEUljE_EEESS_ST_SU_S11_S15_S17_T6_T7_T9_mT8_S19_bDpT10_ENKUlT_T0_E_clISt17integral_constantIbLb1EES1M_EEDaS1H_S1I_EUlS1H_E_NS1_11comp_targetILNS1_3genE9ELNS1_11target_archE1100ELNS1_3gpuE3ELNS1_3repE0EEENS1_30default_config_static_selectorELNS0_4arch9wavefront6targetE0EEEvSV_,comdat
.Lfunc_end789:
	.size	_ZN7rocprim17ROCPRIM_400000_NS6detail17trampoline_kernelINS0_13select_configILj256ELj13ELNS0_17block_load_methodE3ELS4_3ELS4_3ELNS0_20block_scan_algorithmE0ELj4294967295EEENS1_25partition_config_selectorILNS1_17partition_subalgoE3EjNS0_10empty_typeEbEEZZNS1_14partition_implILS8_3ELb0ES6_jNS0_17counting_iteratorIjlEEPS9_SE_NS0_5tupleIJPjSE_EEENSF_IJSE_SE_EEES9_SG_JZNS1_25segmented_radix_sort_implINS0_14default_configELb0EPKlPlSM_SN_N2at6native12_GLOBAL__N_18offset_tEEE10hipError_tPvRmT1_PNSt15iterator_traitsISV_E10value_typeET2_T3_PNSW_IS11_E10value_typeET4_jRbjT5_S17_jjP12ihipStream_tbEUljE_EEESS_ST_SU_S11_S15_S17_T6_T7_T9_mT8_S19_bDpT10_ENKUlT_T0_E_clISt17integral_constantIbLb1EES1M_EEDaS1H_S1I_EUlS1H_E_NS1_11comp_targetILNS1_3genE9ELNS1_11target_archE1100ELNS1_3gpuE3ELNS1_3repE0EEENS1_30default_config_static_selectorELNS0_4arch9wavefront6targetE0EEEvSV_, .Lfunc_end789-_ZN7rocprim17ROCPRIM_400000_NS6detail17trampoline_kernelINS0_13select_configILj256ELj13ELNS0_17block_load_methodE3ELS4_3ELS4_3ELNS0_20block_scan_algorithmE0ELj4294967295EEENS1_25partition_config_selectorILNS1_17partition_subalgoE3EjNS0_10empty_typeEbEEZZNS1_14partition_implILS8_3ELb0ES6_jNS0_17counting_iteratorIjlEEPS9_SE_NS0_5tupleIJPjSE_EEENSF_IJSE_SE_EEES9_SG_JZNS1_25segmented_radix_sort_implINS0_14default_configELb0EPKlPlSM_SN_N2at6native12_GLOBAL__N_18offset_tEEE10hipError_tPvRmT1_PNSt15iterator_traitsISV_E10value_typeET2_T3_PNSW_IS11_E10value_typeET4_jRbjT5_S17_jjP12ihipStream_tbEUljE_EEESS_ST_SU_S11_S15_S17_T6_T7_T9_mT8_S19_bDpT10_ENKUlT_T0_E_clISt17integral_constantIbLb1EES1M_EEDaS1H_S1I_EUlS1H_E_NS1_11comp_targetILNS1_3genE9ELNS1_11target_archE1100ELNS1_3gpuE3ELNS1_3repE0EEENS1_30default_config_static_selectorELNS0_4arch9wavefront6targetE0EEEvSV_
                                        ; -- End function
	.section	.AMDGPU.csdata,"",@progbits
; Kernel info:
; codeLenInByte = 9140
; NumSgprs: 28
; NumVgprs: 60
; ScratchSize: 0
; MemoryBound: 0
; FloatMode: 240
; IeeeMode: 1
; LDSByteSize: 13324 bytes/workgroup (compile time only)
; SGPRBlocks: 3
; VGPRBlocks: 7
; NumSGPRsForWavesPerEU: 28
; NumVGPRsForWavesPerEU: 60
; Occupancy: 16
; WaveLimiterHint : 0
; COMPUTE_PGM_RSRC2:SCRATCH_EN: 0
; COMPUTE_PGM_RSRC2:USER_SGPR: 15
; COMPUTE_PGM_RSRC2:TRAP_HANDLER: 0
; COMPUTE_PGM_RSRC2:TGID_X_EN: 1
; COMPUTE_PGM_RSRC2:TGID_Y_EN: 0
; COMPUTE_PGM_RSRC2:TGID_Z_EN: 0
; COMPUTE_PGM_RSRC2:TIDIG_COMP_CNT: 0
	.section	.text._ZN7rocprim17ROCPRIM_400000_NS6detail17trampoline_kernelINS0_13select_configILj256ELj13ELNS0_17block_load_methodE3ELS4_3ELS4_3ELNS0_20block_scan_algorithmE0ELj4294967295EEENS1_25partition_config_selectorILNS1_17partition_subalgoE3EjNS0_10empty_typeEbEEZZNS1_14partition_implILS8_3ELb0ES6_jNS0_17counting_iteratorIjlEEPS9_SE_NS0_5tupleIJPjSE_EEENSF_IJSE_SE_EEES9_SG_JZNS1_25segmented_radix_sort_implINS0_14default_configELb0EPKlPlSM_SN_N2at6native12_GLOBAL__N_18offset_tEEE10hipError_tPvRmT1_PNSt15iterator_traitsISV_E10value_typeET2_T3_PNSW_IS11_E10value_typeET4_jRbjT5_S17_jjP12ihipStream_tbEUljE_EEESS_ST_SU_S11_S15_S17_T6_T7_T9_mT8_S19_bDpT10_ENKUlT_T0_E_clISt17integral_constantIbLb1EES1M_EEDaS1H_S1I_EUlS1H_E_NS1_11comp_targetILNS1_3genE8ELNS1_11target_archE1030ELNS1_3gpuE2ELNS1_3repE0EEENS1_30default_config_static_selectorELNS0_4arch9wavefront6targetE0EEEvSV_,"axG",@progbits,_ZN7rocprim17ROCPRIM_400000_NS6detail17trampoline_kernelINS0_13select_configILj256ELj13ELNS0_17block_load_methodE3ELS4_3ELS4_3ELNS0_20block_scan_algorithmE0ELj4294967295EEENS1_25partition_config_selectorILNS1_17partition_subalgoE3EjNS0_10empty_typeEbEEZZNS1_14partition_implILS8_3ELb0ES6_jNS0_17counting_iteratorIjlEEPS9_SE_NS0_5tupleIJPjSE_EEENSF_IJSE_SE_EEES9_SG_JZNS1_25segmented_radix_sort_implINS0_14default_configELb0EPKlPlSM_SN_N2at6native12_GLOBAL__N_18offset_tEEE10hipError_tPvRmT1_PNSt15iterator_traitsISV_E10value_typeET2_T3_PNSW_IS11_E10value_typeET4_jRbjT5_S17_jjP12ihipStream_tbEUljE_EEESS_ST_SU_S11_S15_S17_T6_T7_T9_mT8_S19_bDpT10_ENKUlT_T0_E_clISt17integral_constantIbLb1EES1M_EEDaS1H_S1I_EUlS1H_E_NS1_11comp_targetILNS1_3genE8ELNS1_11target_archE1030ELNS1_3gpuE2ELNS1_3repE0EEENS1_30default_config_static_selectorELNS0_4arch9wavefront6targetE0EEEvSV_,comdat
	.globl	_ZN7rocprim17ROCPRIM_400000_NS6detail17trampoline_kernelINS0_13select_configILj256ELj13ELNS0_17block_load_methodE3ELS4_3ELS4_3ELNS0_20block_scan_algorithmE0ELj4294967295EEENS1_25partition_config_selectorILNS1_17partition_subalgoE3EjNS0_10empty_typeEbEEZZNS1_14partition_implILS8_3ELb0ES6_jNS0_17counting_iteratorIjlEEPS9_SE_NS0_5tupleIJPjSE_EEENSF_IJSE_SE_EEES9_SG_JZNS1_25segmented_radix_sort_implINS0_14default_configELb0EPKlPlSM_SN_N2at6native12_GLOBAL__N_18offset_tEEE10hipError_tPvRmT1_PNSt15iterator_traitsISV_E10value_typeET2_T3_PNSW_IS11_E10value_typeET4_jRbjT5_S17_jjP12ihipStream_tbEUljE_EEESS_ST_SU_S11_S15_S17_T6_T7_T9_mT8_S19_bDpT10_ENKUlT_T0_E_clISt17integral_constantIbLb1EES1M_EEDaS1H_S1I_EUlS1H_E_NS1_11comp_targetILNS1_3genE8ELNS1_11target_archE1030ELNS1_3gpuE2ELNS1_3repE0EEENS1_30default_config_static_selectorELNS0_4arch9wavefront6targetE0EEEvSV_ ; -- Begin function _ZN7rocprim17ROCPRIM_400000_NS6detail17trampoline_kernelINS0_13select_configILj256ELj13ELNS0_17block_load_methodE3ELS4_3ELS4_3ELNS0_20block_scan_algorithmE0ELj4294967295EEENS1_25partition_config_selectorILNS1_17partition_subalgoE3EjNS0_10empty_typeEbEEZZNS1_14partition_implILS8_3ELb0ES6_jNS0_17counting_iteratorIjlEEPS9_SE_NS0_5tupleIJPjSE_EEENSF_IJSE_SE_EEES9_SG_JZNS1_25segmented_radix_sort_implINS0_14default_configELb0EPKlPlSM_SN_N2at6native12_GLOBAL__N_18offset_tEEE10hipError_tPvRmT1_PNSt15iterator_traitsISV_E10value_typeET2_T3_PNSW_IS11_E10value_typeET4_jRbjT5_S17_jjP12ihipStream_tbEUljE_EEESS_ST_SU_S11_S15_S17_T6_T7_T9_mT8_S19_bDpT10_ENKUlT_T0_E_clISt17integral_constantIbLb1EES1M_EEDaS1H_S1I_EUlS1H_E_NS1_11comp_targetILNS1_3genE8ELNS1_11target_archE1030ELNS1_3gpuE2ELNS1_3repE0EEENS1_30default_config_static_selectorELNS0_4arch9wavefront6targetE0EEEvSV_
	.p2align	8
	.type	_ZN7rocprim17ROCPRIM_400000_NS6detail17trampoline_kernelINS0_13select_configILj256ELj13ELNS0_17block_load_methodE3ELS4_3ELS4_3ELNS0_20block_scan_algorithmE0ELj4294967295EEENS1_25partition_config_selectorILNS1_17partition_subalgoE3EjNS0_10empty_typeEbEEZZNS1_14partition_implILS8_3ELb0ES6_jNS0_17counting_iteratorIjlEEPS9_SE_NS0_5tupleIJPjSE_EEENSF_IJSE_SE_EEES9_SG_JZNS1_25segmented_radix_sort_implINS0_14default_configELb0EPKlPlSM_SN_N2at6native12_GLOBAL__N_18offset_tEEE10hipError_tPvRmT1_PNSt15iterator_traitsISV_E10value_typeET2_T3_PNSW_IS11_E10value_typeET4_jRbjT5_S17_jjP12ihipStream_tbEUljE_EEESS_ST_SU_S11_S15_S17_T6_T7_T9_mT8_S19_bDpT10_ENKUlT_T0_E_clISt17integral_constantIbLb1EES1M_EEDaS1H_S1I_EUlS1H_E_NS1_11comp_targetILNS1_3genE8ELNS1_11target_archE1030ELNS1_3gpuE2ELNS1_3repE0EEENS1_30default_config_static_selectorELNS0_4arch9wavefront6targetE0EEEvSV_,@function
_ZN7rocprim17ROCPRIM_400000_NS6detail17trampoline_kernelINS0_13select_configILj256ELj13ELNS0_17block_load_methodE3ELS4_3ELS4_3ELNS0_20block_scan_algorithmE0ELj4294967295EEENS1_25partition_config_selectorILNS1_17partition_subalgoE3EjNS0_10empty_typeEbEEZZNS1_14partition_implILS8_3ELb0ES6_jNS0_17counting_iteratorIjlEEPS9_SE_NS0_5tupleIJPjSE_EEENSF_IJSE_SE_EEES9_SG_JZNS1_25segmented_radix_sort_implINS0_14default_configELb0EPKlPlSM_SN_N2at6native12_GLOBAL__N_18offset_tEEE10hipError_tPvRmT1_PNSt15iterator_traitsISV_E10value_typeET2_T3_PNSW_IS11_E10value_typeET4_jRbjT5_S17_jjP12ihipStream_tbEUljE_EEESS_ST_SU_S11_S15_S17_T6_T7_T9_mT8_S19_bDpT10_ENKUlT_T0_E_clISt17integral_constantIbLb1EES1M_EEDaS1H_S1I_EUlS1H_E_NS1_11comp_targetILNS1_3genE8ELNS1_11target_archE1030ELNS1_3gpuE2ELNS1_3repE0EEENS1_30default_config_static_selectorELNS0_4arch9wavefront6targetE0EEEvSV_: ; @_ZN7rocprim17ROCPRIM_400000_NS6detail17trampoline_kernelINS0_13select_configILj256ELj13ELNS0_17block_load_methodE3ELS4_3ELS4_3ELNS0_20block_scan_algorithmE0ELj4294967295EEENS1_25partition_config_selectorILNS1_17partition_subalgoE3EjNS0_10empty_typeEbEEZZNS1_14partition_implILS8_3ELb0ES6_jNS0_17counting_iteratorIjlEEPS9_SE_NS0_5tupleIJPjSE_EEENSF_IJSE_SE_EEES9_SG_JZNS1_25segmented_radix_sort_implINS0_14default_configELb0EPKlPlSM_SN_N2at6native12_GLOBAL__N_18offset_tEEE10hipError_tPvRmT1_PNSt15iterator_traitsISV_E10value_typeET2_T3_PNSW_IS11_E10value_typeET4_jRbjT5_S17_jjP12ihipStream_tbEUljE_EEESS_ST_SU_S11_S15_S17_T6_T7_T9_mT8_S19_bDpT10_ENKUlT_T0_E_clISt17integral_constantIbLb1EES1M_EEDaS1H_S1I_EUlS1H_E_NS1_11comp_targetILNS1_3genE8ELNS1_11target_archE1030ELNS1_3gpuE2ELNS1_3repE0EEENS1_30default_config_static_selectorELNS0_4arch9wavefront6targetE0EEEvSV_
; %bb.0:
	.section	.rodata,"a",@progbits
	.p2align	6, 0x0
	.amdhsa_kernel _ZN7rocprim17ROCPRIM_400000_NS6detail17trampoline_kernelINS0_13select_configILj256ELj13ELNS0_17block_load_methodE3ELS4_3ELS4_3ELNS0_20block_scan_algorithmE0ELj4294967295EEENS1_25partition_config_selectorILNS1_17partition_subalgoE3EjNS0_10empty_typeEbEEZZNS1_14partition_implILS8_3ELb0ES6_jNS0_17counting_iteratorIjlEEPS9_SE_NS0_5tupleIJPjSE_EEENSF_IJSE_SE_EEES9_SG_JZNS1_25segmented_radix_sort_implINS0_14default_configELb0EPKlPlSM_SN_N2at6native12_GLOBAL__N_18offset_tEEE10hipError_tPvRmT1_PNSt15iterator_traitsISV_E10value_typeET2_T3_PNSW_IS11_E10value_typeET4_jRbjT5_S17_jjP12ihipStream_tbEUljE_EEESS_ST_SU_S11_S15_S17_T6_T7_T9_mT8_S19_bDpT10_ENKUlT_T0_E_clISt17integral_constantIbLb1EES1M_EEDaS1H_S1I_EUlS1H_E_NS1_11comp_targetILNS1_3genE8ELNS1_11target_archE1030ELNS1_3gpuE2ELNS1_3repE0EEENS1_30default_config_static_selectorELNS0_4arch9wavefront6targetE0EEEvSV_
		.amdhsa_group_segment_fixed_size 0
		.amdhsa_private_segment_fixed_size 0
		.amdhsa_kernarg_size 152
		.amdhsa_user_sgpr_count 15
		.amdhsa_user_sgpr_dispatch_ptr 0
		.amdhsa_user_sgpr_queue_ptr 0
		.amdhsa_user_sgpr_kernarg_segment_ptr 1
		.amdhsa_user_sgpr_dispatch_id 0
		.amdhsa_user_sgpr_private_segment_size 0
		.amdhsa_wavefront_size32 1
		.amdhsa_uses_dynamic_stack 0
		.amdhsa_enable_private_segment 0
		.amdhsa_system_sgpr_workgroup_id_x 1
		.amdhsa_system_sgpr_workgroup_id_y 0
		.amdhsa_system_sgpr_workgroup_id_z 0
		.amdhsa_system_sgpr_workgroup_info 0
		.amdhsa_system_vgpr_workitem_id 0
		.amdhsa_next_free_vgpr 1
		.amdhsa_next_free_sgpr 1
		.amdhsa_reserve_vcc 0
		.amdhsa_float_round_mode_32 0
		.amdhsa_float_round_mode_16_64 0
		.amdhsa_float_denorm_mode_32 3
		.amdhsa_float_denorm_mode_16_64 3
		.amdhsa_dx10_clamp 1
		.amdhsa_ieee_mode 1
		.amdhsa_fp16_overflow 0
		.amdhsa_workgroup_processor_mode 1
		.amdhsa_memory_ordered 1
		.amdhsa_forward_progress 0
		.amdhsa_shared_vgpr_count 0
		.amdhsa_exception_fp_ieee_invalid_op 0
		.amdhsa_exception_fp_denorm_src 0
		.amdhsa_exception_fp_ieee_div_zero 0
		.amdhsa_exception_fp_ieee_overflow 0
		.amdhsa_exception_fp_ieee_underflow 0
		.amdhsa_exception_fp_ieee_inexact 0
		.amdhsa_exception_int_div_zero 0
	.end_amdhsa_kernel
	.section	.text._ZN7rocprim17ROCPRIM_400000_NS6detail17trampoline_kernelINS0_13select_configILj256ELj13ELNS0_17block_load_methodE3ELS4_3ELS4_3ELNS0_20block_scan_algorithmE0ELj4294967295EEENS1_25partition_config_selectorILNS1_17partition_subalgoE3EjNS0_10empty_typeEbEEZZNS1_14partition_implILS8_3ELb0ES6_jNS0_17counting_iteratorIjlEEPS9_SE_NS0_5tupleIJPjSE_EEENSF_IJSE_SE_EEES9_SG_JZNS1_25segmented_radix_sort_implINS0_14default_configELb0EPKlPlSM_SN_N2at6native12_GLOBAL__N_18offset_tEEE10hipError_tPvRmT1_PNSt15iterator_traitsISV_E10value_typeET2_T3_PNSW_IS11_E10value_typeET4_jRbjT5_S17_jjP12ihipStream_tbEUljE_EEESS_ST_SU_S11_S15_S17_T6_T7_T9_mT8_S19_bDpT10_ENKUlT_T0_E_clISt17integral_constantIbLb1EES1M_EEDaS1H_S1I_EUlS1H_E_NS1_11comp_targetILNS1_3genE8ELNS1_11target_archE1030ELNS1_3gpuE2ELNS1_3repE0EEENS1_30default_config_static_selectorELNS0_4arch9wavefront6targetE0EEEvSV_,"axG",@progbits,_ZN7rocprim17ROCPRIM_400000_NS6detail17trampoline_kernelINS0_13select_configILj256ELj13ELNS0_17block_load_methodE3ELS4_3ELS4_3ELNS0_20block_scan_algorithmE0ELj4294967295EEENS1_25partition_config_selectorILNS1_17partition_subalgoE3EjNS0_10empty_typeEbEEZZNS1_14partition_implILS8_3ELb0ES6_jNS0_17counting_iteratorIjlEEPS9_SE_NS0_5tupleIJPjSE_EEENSF_IJSE_SE_EEES9_SG_JZNS1_25segmented_radix_sort_implINS0_14default_configELb0EPKlPlSM_SN_N2at6native12_GLOBAL__N_18offset_tEEE10hipError_tPvRmT1_PNSt15iterator_traitsISV_E10value_typeET2_T3_PNSW_IS11_E10value_typeET4_jRbjT5_S17_jjP12ihipStream_tbEUljE_EEESS_ST_SU_S11_S15_S17_T6_T7_T9_mT8_S19_bDpT10_ENKUlT_T0_E_clISt17integral_constantIbLb1EES1M_EEDaS1H_S1I_EUlS1H_E_NS1_11comp_targetILNS1_3genE8ELNS1_11target_archE1030ELNS1_3gpuE2ELNS1_3repE0EEENS1_30default_config_static_selectorELNS0_4arch9wavefront6targetE0EEEvSV_,comdat
.Lfunc_end790:
	.size	_ZN7rocprim17ROCPRIM_400000_NS6detail17trampoline_kernelINS0_13select_configILj256ELj13ELNS0_17block_load_methodE3ELS4_3ELS4_3ELNS0_20block_scan_algorithmE0ELj4294967295EEENS1_25partition_config_selectorILNS1_17partition_subalgoE3EjNS0_10empty_typeEbEEZZNS1_14partition_implILS8_3ELb0ES6_jNS0_17counting_iteratorIjlEEPS9_SE_NS0_5tupleIJPjSE_EEENSF_IJSE_SE_EEES9_SG_JZNS1_25segmented_radix_sort_implINS0_14default_configELb0EPKlPlSM_SN_N2at6native12_GLOBAL__N_18offset_tEEE10hipError_tPvRmT1_PNSt15iterator_traitsISV_E10value_typeET2_T3_PNSW_IS11_E10value_typeET4_jRbjT5_S17_jjP12ihipStream_tbEUljE_EEESS_ST_SU_S11_S15_S17_T6_T7_T9_mT8_S19_bDpT10_ENKUlT_T0_E_clISt17integral_constantIbLb1EES1M_EEDaS1H_S1I_EUlS1H_E_NS1_11comp_targetILNS1_3genE8ELNS1_11target_archE1030ELNS1_3gpuE2ELNS1_3repE0EEENS1_30default_config_static_selectorELNS0_4arch9wavefront6targetE0EEEvSV_, .Lfunc_end790-_ZN7rocprim17ROCPRIM_400000_NS6detail17trampoline_kernelINS0_13select_configILj256ELj13ELNS0_17block_load_methodE3ELS4_3ELS4_3ELNS0_20block_scan_algorithmE0ELj4294967295EEENS1_25partition_config_selectorILNS1_17partition_subalgoE3EjNS0_10empty_typeEbEEZZNS1_14partition_implILS8_3ELb0ES6_jNS0_17counting_iteratorIjlEEPS9_SE_NS0_5tupleIJPjSE_EEENSF_IJSE_SE_EEES9_SG_JZNS1_25segmented_radix_sort_implINS0_14default_configELb0EPKlPlSM_SN_N2at6native12_GLOBAL__N_18offset_tEEE10hipError_tPvRmT1_PNSt15iterator_traitsISV_E10value_typeET2_T3_PNSW_IS11_E10value_typeET4_jRbjT5_S17_jjP12ihipStream_tbEUljE_EEESS_ST_SU_S11_S15_S17_T6_T7_T9_mT8_S19_bDpT10_ENKUlT_T0_E_clISt17integral_constantIbLb1EES1M_EEDaS1H_S1I_EUlS1H_E_NS1_11comp_targetILNS1_3genE8ELNS1_11target_archE1030ELNS1_3gpuE2ELNS1_3repE0EEENS1_30default_config_static_selectorELNS0_4arch9wavefront6targetE0EEEvSV_
                                        ; -- End function
	.section	.AMDGPU.csdata,"",@progbits
; Kernel info:
; codeLenInByte = 0
; NumSgprs: 0
; NumVgprs: 0
; ScratchSize: 0
; MemoryBound: 0
; FloatMode: 240
; IeeeMode: 1
; LDSByteSize: 0 bytes/workgroup (compile time only)
; SGPRBlocks: 0
; VGPRBlocks: 0
; NumSGPRsForWavesPerEU: 1
; NumVGPRsForWavesPerEU: 1
; Occupancy: 16
; WaveLimiterHint : 0
; COMPUTE_PGM_RSRC2:SCRATCH_EN: 0
; COMPUTE_PGM_RSRC2:USER_SGPR: 15
; COMPUTE_PGM_RSRC2:TRAP_HANDLER: 0
; COMPUTE_PGM_RSRC2:TGID_X_EN: 1
; COMPUTE_PGM_RSRC2:TGID_Y_EN: 0
; COMPUTE_PGM_RSRC2:TGID_Z_EN: 0
; COMPUTE_PGM_RSRC2:TIDIG_COMP_CNT: 0
	.section	.text._ZN7rocprim17ROCPRIM_400000_NS6detail17trampoline_kernelINS0_13select_configILj256ELj13ELNS0_17block_load_methodE3ELS4_3ELS4_3ELNS0_20block_scan_algorithmE0ELj4294967295EEENS1_25partition_config_selectorILNS1_17partition_subalgoE3EjNS0_10empty_typeEbEEZZNS1_14partition_implILS8_3ELb0ES6_jNS0_17counting_iteratorIjlEEPS9_SE_NS0_5tupleIJPjSE_EEENSF_IJSE_SE_EEES9_SG_JZNS1_25segmented_radix_sort_implINS0_14default_configELb0EPKlPlSM_SN_N2at6native12_GLOBAL__N_18offset_tEEE10hipError_tPvRmT1_PNSt15iterator_traitsISV_E10value_typeET2_T3_PNSW_IS11_E10value_typeET4_jRbjT5_S17_jjP12ihipStream_tbEUljE_EEESS_ST_SU_S11_S15_S17_T6_T7_T9_mT8_S19_bDpT10_ENKUlT_T0_E_clISt17integral_constantIbLb1EES1L_IbLb0EEEEDaS1H_S1I_EUlS1H_E_NS1_11comp_targetILNS1_3genE0ELNS1_11target_archE4294967295ELNS1_3gpuE0ELNS1_3repE0EEENS1_30default_config_static_selectorELNS0_4arch9wavefront6targetE0EEEvSV_,"axG",@progbits,_ZN7rocprim17ROCPRIM_400000_NS6detail17trampoline_kernelINS0_13select_configILj256ELj13ELNS0_17block_load_methodE3ELS4_3ELS4_3ELNS0_20block_scan_algorithmE0ELj4294967295EEENS1_25partition_config_selectorILNS1_17partition_subalgoE3EjNS0_10empty_typeEbEEZZNS1_14partition_implILS8_3ELb0ES6_jNS0_17counting_iteratorIjlEEPS9_SE_NS0_5tupleIJPjSE_EEENSF_IJSE_SE_EEES9_SG_JZNS1_25segmented_radix_sort_implINS0_14default_configELb0EPKlPlSM_SN_N2at6native12_GLOBAL__N_18offset_tEEE10hipError_tPvRmT1_PNSt15iterator_traitsISV_E10value_typeET2_T3_PNSW_IS11_E10value_typeET4_jRbjT5_S17_jjP12ihipStream_tbEUljE_EEESS_ST_SU_S11_S15_S17_T6_T7_T9_mT8_S19_bDpT10_ENKUlT_T0_E_clISt17integral_constantIbLb1EES1L_IbLb0EEEEDaS1H_S1I_EUlS1H_E_NS1_11comp_targetILNS1_3genE0ELNS1_11target_archE4294967295ELNS1_3gpuE0ELNS1_3repE0EEENS1_30default_config_static_selectorELNS0_4arch9wavefront6targetE0EEEvSV_,comdat
	.globl	_ZN7rocprim17ROCPRIM_400000_NS6detail17trampoline_kernelINS0_13select_configILj256ELj13ELNS0_17block_load_methodE3ELS4_3ELS4_3ELNS0_20block_scan_algorithmE0ELj4294967295EEENS1_25partition_config_selectorILNS1_17partition_subalgoE3EjNS0_10empty_typeEbEEZZNS1_14partition_implILS8_3ELb0ES6_jNS0_17counting_iteratorIjlEEPS9_SE_NS0_5tupleIJPjSE_EEENSF_IJSE_SE_EEES9_SG_JZNS1_25segmented_radix_sort_implINS0_14default_configELb0EPKlPlSM_SN_N2at6native12_GLOBAL__N_18offset_tEEE10hipError_tPvRmT1_PNSt15iterator_traitsISV_E10value_typeET2_T3_PNSW_IS11_E10value_typeET4_jRbjT5_S17_jjP12ihipStream_tbEUljE_EEESS_ST_SU_S11_S15_S17_T6_T7_T9_mT8_S19_bDpT10_ENKUlT_T0_E_clISt17integral_constantIbLb1EES1L_IbLb0EEEEDaS1H_S1I_EUlS1H_E_NS1_11comp_targetILNS1_3genE0ELNS1_11target_archE4294967295ELNS1_3gpuE0ELNS1_3repE0EEENS1_30default_config_static_selectorELNS0_4arch9wavefront6targetE0EEEvSV_ ; -- Begin function _ZN7rocprim17ROCPRIM_400000_NS6detail17trampoline_kernelINS0_13select_configILj256ELj13ELNS0_17block_load_methodE3ELS4_3ELS4_3ELNS0_20block_scan_algorithmE0ELj4294967295EEENS1_25partition_config_selectorILNS1_17partition_subalgoE3EjNS0_10empty_typeEbEEZZNS1_14partition_implILS8_3ELb0ES6_jNS0_17counting_iteratorIjlEEPS9_SE_NS0_5tupleIJPjSE_EEENSF_IJSE_SE_EEES9_SG_JZNS1_25segmented_radix_sort_implINS0_14default_configELb0EPKlPlSM_SN_N2at6native12_GLOBAL__N_18offset_tEEE10hipError_tPvRmT1_PNSt15iterator_traitsISV_E10value_typeET2_T3_PNSW_IS11_E10value_typeET4_jRbjT5_S17_jjP12ihipStream_tbEUljE_EEESS_ST_SU_S11_S15_S17_T6_T7_T9_mT8_S19_bDpT10_ENKUlT_T0_E_clISt17integral_constantIbLb1EES1L_IbLb0EEEEDaS1H_S1I_EUlS1H_E_NS1_11comp_targetILNS1_3genE0ELNS1_11target_archE4294967295ELNS1_3gpuE0ELNS1_3repE0EEENS1_30default_config_static_selectorELNS0_4arch9wavefront6targetE0EEEvSV_
	.p2align	8
	.type	_ZN7rocprim17ROCPRIM_400000_NS6detail17trampoline_kernelINS0_13select_configILj256ELj13ELNS0_17block_load_methodE3ELS4_3ELS4_3ELNS0_20block_scan_algorithmE0ELj4294967295EEENS1_25partition_config_selectorILNS1_17partition_subalgoE3EjNS0_10empty_typeEbEEZZNS1_14partition_implILS8_3ELb0ES6_jNS0_17counting_iteratorIjlEEPS9_SE_NS0_5tupleIJPjSE_EEENSF_IJSE_SE_EEES9_SG_JZNS1_25segmented_radix_sort_implINS0_14default_configELb0EPKlPlSM_SN_N2at6native12_GLOBAL__N_18offset_tEEE10hipError_tPvRmT1_PNSt15iterator_traitsISV_E10value_typeET2_T3_PNSW_IS11_E10value_typeET4_jRbjT5_S17_jjP12ihipStream_tbEUljE_EEESS_ST_SU_S11_S15_S17_T6_T7_T9_mT8_S19_bDpT10_ENKUlT_T0_E_clISt17integral_constantIbLb1EES1L_IbLb0EEEEDaS1H_S1I_EUlS1H_E_NS1_11comp_targetILNS1_3genE0ELNS1_11target_archE4294967295ELNS1_3gpuE0ELNS1_3repE0EEENS1_30default_config_static_selectorELNS0_4arch9wavefront6targetE0EEEvSV_,@function
_ZN7rocprim17ROCPRIM_400000_NS6detail17trampoline_kernelINS0_13select_configILj256ELj13ELNS0_17block_load_methodE3ELS4_3ELS4_3ELNS0_20block_scan_algorithmE0ELj4294967295EEENS1_25partition_config_selectorILNS1_17partition_subalgoE3EjNS0_10empty_typeEbEEZZNS1_14partition_implILS8_3ELb0ES6_jNS0_17counting_iteratorIjlEEPS9_SE_NS0_5tupleIJPjSE_EEENSF_IJSE_SE_EEES9_SG_JZNS1_25segmented_radix_sort_implINS0_14default_configELb0EPKlPlSM_SN_N2at6native12_GLOBAL__N_18offset_tEEE10hipError_tPvRmT1_PNSt15iterator_traitsISV_E10value_typeET2_T3_PNSW_IS11_E10value_typeET4_jRbjT5_S17_jjP12ihipStream_tbEUljE_EEESS_ST_SU_S11_S15_S17_T6_T7_T9_mT8_S19_bDpT10_ENKUlT_T0_E_clISt17integral_constantIbLb1EES1L_IbLb0EEEEDaS1H_S1I_EUlS1H_E_NS1_11comp_targetILNS1_3genE0ELNS1_11target_archE4294967295ELNS1_3gpuE0ELNS1_3repE0EEENS1_30default_config_static_selectorELNS0_4arch9wavefront6targetE0EEEvSV_: ; @_ZN7rocprim17ROCPRIM_400000_NS6detail17trampoline_kernelINS0_13select_configILj256ELj13ELNS0_17block_load_methodE3ELS4_3ELS4_3ELNS0_20block_scan_algorithmE0ELj4294967295EEENS1_25partition_config_selectorILNS1_17partition_subalgoE3EjNS0_10empty_typeEbEEZZNS1_14partition_implILS8_3ELb0ES6_jNS0_17counting_iteratorIjlEEPS9_SE_NS0_5tupleIJPjSE_EEENSF_IJSE_SE_EEES9_SG_JZNS1_25segmented_radix_sort_implINS0_14default_configELb0EPKlPlSM_SN_N2at6native12_GLOBAL__N_18offset_tEEE10hipError_tPvRmT1_PNSt15iterator_traitsISV_E10value_typeET2_T3_PNSW_IS11_E10value_typeET4_jRbjT5_S17_jjP12ihipStream_tbEUljE_EEESS_ST_SU_S11_S15_S17_T6_T7_T9_mT8_S19_bDpT10_ENKUlT_T0_E_clISt17integral_constantIbLb1EES1L_IbLb0EEEEDaS1H_S1I_EUlS1H_E_NS1_11comp_targetILNS1_3genE0ELNS1_11target_archE4294967295ELNS1_3gpuE0ELNS1_3repE0EEENS1_30default_config_static_selectorELNS0_4arch9wavefront6targetE0EEEvSV_
; %bb.0:
	.section	.rodata,"a",@progbits
	.p2align	6, 0x0
	.amdhsa_kernel _ZN7rocprim17ROCPRIM_400000_NS6detail17trampoline_kernelINS0_13select_configILj256ELj13ELNS0_17block_load_methodE3ELS4_3ELS4_3ELNS0_20block_scan_algorithmE0ELj4294967295EEENS1_25partition_config_selectorILNS1_17partition_subalgoE3EjNS0_10empty_typeEbEEZZNS1_14partition_implILS8_3ELb0ES6_jNS0_17counting_iteratorIjlEEPS9_SE_NS0_5tupleIJPjSE_EEENSF_IJSE_SE_EEES9_SG_JZNS1_25segmented_radix_sort_implINS0_14default_configELb0EPKlPlSM_SN_N2at6native12_GLOBAL__N_18offset_tEEE10hipError_tPvRmT1_PNSt15iterator_traitsISV_E10value_typeET2_T3_PNSW_IS11_E10value_typeET4_jRbjT5_S17_jjP12ihipStream_tbEUljE_EEESS_ST_SU_S11_S15_S17_T6_T7_T9_mT8_S19_bDpT10_ENKUlT_T0_E_clISt17integral_constantIbLb1EES1L_IbLb0EEEEDaS1H_S1I_EUlS1H_E_NS1_11comp_targetILNS1_3genE0ELNS1_11target_archE4294967295ELNS1_3gpuE0ELNS1_3repE0EEENS1_30default_config_static_selectorELNS0_4arch9wavefront6targetE0EEEvSV_
		.amdhsa_group_segment_fixed_size 0
		.amdhsa_private_segment_fixed_size 0
		.amdhsa_kernarg_size 144
		.amdhsa_user_sgpr_count 15
		.amdhsa_user_sgpr_dispatch_ptr 0
		.amdhsa_user_sgpr_queue_ptr 0
		.amdhsa_user_sgpr_kernarg_segment_ptr 1
		.amdhsa_user_sgpr_dispatch_id 0
		.amdhsa_user_sgpr_private_segment_size 0
		.amdhsa_wavefront_size32 1
		.amdhsa_uses_dynamic_stack 0
		.amdhsa_enable_private_segment 0
		.amdhsa_system_sgpr_workgroup_id_x 1
		.amdhsa_system_sgpr_workgroup_id_y 0
		.amdhsa_system_sgpr_workgroup_id_z 0
		.amdhsa_system_sgpr_workgroup_info 0
		.amdhsa_system_vgpr_workitem_id 0
		.amdhsa_next_free_vgpr 1
		.amdhsa_next_free_sgpr 1
		.amdhsa_reserve_vcc 0
		.amdhsa_float_round_mode_32 0
		.amdhsa_float_round_mode_16_64 0
		.amdhsa_float_denorm_mode_32 3
		.amdhsa_float_denorm_mode_16_64 3
		.amdhsa_dx10_clamp 1
		.amdhsa_ieee_mode 1
		.amdhsa_fp16_overflow 0
		.amdhsa_workgroup_processor_mode 1
		.amdhsa_memory_ordered 1
		.amdhsa_forward_progress 0
		.amdhsa_shared_vgpr_count 0
		.amdhsa_exception_fp_ieee_invalid_op 0
		.amdhsa_exception_fp_denorm_src 0
		.amdhsa_exception_fp_ieee_div_zero 0
		.amdhsa_exception_fp_ieee_overflow 0
		.amdhsa_exception_fp_ieee_underflow 0
		.amdhsa_exception_fp_ieee_inexact 0
		.amdhsa_exception_int_div_zero 0
	.end_amdhsa_kernel
	.section	.text._ZN7rocprim17ROCPRIM_400000_NS6detail17trampoline_kernelINS0_13select_configILj256ELj13ELNS0_17block_load_methodE3ELS4_3ELS4_3ELNS0_20block_scan_algorithmE0ELj4294967295EEENS1_25partition_config_selectorILNS1_17partition_subalgoE3EjNS0_10empty_typeEbEEZZNS1_14partition_implILS8_3ELb0ES6_jNS0_17counting_iteratorIjlEEPS9_SE_NS0_5tupleIJPjSE_EEENSF_IJSE_SE_EEES9_SG_JZNS1_25segmented_radix_sort_implINS0_14default_configELb0EPKlPlSM_SN_N2at6native12_GLOBAL__N_18offset_tEEE10hipError_tPvRmT1_PNSt15iterator_traitsISV_E10value_typeET2_T3_PNSW_IS11_E10value_typeET4_jRbjT5_S17_jjP12ihipStream_tbEUljE_EEESS_ST_SU_S11_S15_S17_T6_T7_T9_mT8_S19_bDpT10_ENKUlT_T0_E_clISt17integral_constantIbLb1EES1L_IbLb0EEEEDaS1H_S1I_EUlS1H_E_NS1_11comp_targetILNS1_3genE0ELNS1_11target_archE4294967295ELNS1_3gpuE0ELNS1_3repE0EEENS1_30default_config_static_selectorELNS0_4arch9wavefront6targetE0EEEvSV_,"axG",@progbits,_ZN7rocprim17ROCPRIM_400000_NS6detail17trampoline_kernelINS0_13select_configILj256ELj13ELNS0_17block_load_methodE3ELS4_3ELS4_3ELNS0_20block_scan_algorithmE0ELj4294967295EEENS1_25partition_config_selectorILNS1_17partition_subalgoE3EjNS0_10empty_typeEbEEZZNS1_14partition_implILS8_3ELb0ES6_jNS0_17counting_iteratorIjlEEPS9_SE_NS0_5tupleIJPjSE_EEENSF_IJSE_SE_EEES9_SG_JZNS1_25segmented_radix_sort_implINS0_14default_configELb0EPKlPlSM_SN_N2at6native12_GLOBAL__N_18offset_tEEE10hipError_tPvRmT1_PNSt15iterator_traitsISV_E10value_typeET2_T3_PNSW_IS11_E10value_typeET4_jRbjT5_S17_jjP12ihipStream_tbEUljE_EEESS_ST_SU_S11_S15_S17_T6_T7_T9_mT8_S19_bDpT10_ENKUlT_T0_E_clISt17integral_constantIbLb1EES1L_IbLb0EEEEDaS1H_S1I_EUlS1H_E_NS1_11comp_targetILNS1_3genE0ELNS1_11target_archE4294967295ELNS1_3gpuE0ELNS1_3repE0EEENS1_30default_config_static_selectorELNS0_4arch9wavefront6targetE0EEEvSV_,comdat
.Lfunc_end791:
	.size	_ZN7rocprim17ROCPRIM_400000_NS6detail17trampoline_kernelINS0_13select_configILj256ELj13ELNS0_17block_load_methodE3ELS4_3ELS4_3ELNS0_20block_scan_algorithmE0ELj4294967295EEENS1_25partition_config_selectorILNS1_17partition_subalgoE3EjNS0_10empty_typeEbEEZZNS1_14partition_implILS8_3ELb0ES6_jNS0_17counting_iteratorIjlEEPS9_SE_NS0_5tupleIJPjSE_EEENSF_IJSE_SE_EEES9_SG_JZNS1_25segmented_radix_sort_implINS0_14default_configELb0EPKlPlSM_SN_N2at6native12_GLOBAL__N_18offset_tEEE10hipError_tPvRmT1_PNSt15iterator_traitsISV_E10value_typeET2_T3_PNSW_IS11_E10value_typeET4_jRbjT5_S17_jjP12ihipStream_tbEUljE_EEESS_ST_SU_S11_S15_S17_T6_T7_T9_mT8_S19_bDpT10_ENKUlT_T0_E_clISt17integral_constantIbLb1EES1L_IbLb0EEEEDaS1H_S1I_EUlS1H_E_NS1_11comp_targetILNS1_3genE0ELNS1_11target_archE4294967295ELNS1_3gpuE0ELNS1_3repE0EEENS1_30default_config_static_selectorELNS0_4arch9wavefront6targetE0EEEvSV_, .Lfunc_end791-_ZN7rocprim17ROCPRIM_400000_NS6detail17trampoline_kernelINS0_13select_configILj256ELj13ELNS0_17block_load_methodE3ELS4_3ELS4_3ELNS0_20block_scan_algorithmE0ELj4294967295EEENS1_25partition_config_selectorILNS1_17partition_subalgoE3EjNS0_10empty_typeEbEEZZNS1_14partition_implILS8_3ELb0ES6_jNS0_17counting_iteratorIjlEEPS9_SE_NS0_5tupleIJPjSE_EEENSF_IJSE_SE_EEES9_SG_JZNS1_25segmented_radix_sort_implINS0_14default_configELb0EPKlPlSM_SN_N2at6native12_GLOBAL__N_18offset_tEEE10hipError_tPvRmT1_PNSt15iterator_traitsISV_E10value_typeET2_T3_PNSW_IS11_E10value_typeET4_jRbjT5_S17_jjP12ihipStream_tbEUljE_EEESS_ST_SU_S11_S15_S17_T6_T7_T9_mT8_S19_bDpT10_ENKUlT_T0_E_clISt17integral_constantIbLb1EES1L_IbLb0EEEEDaS1H_S1I_EUlS1H_E_NS1_11comp_targetILNS1_3genE0ELNS1_11target_archE4294967295ELNS1_3gpuE0ELNS1_3repE0EEENS1_30default_config_static_selectorELNS0_4arch9wavefront6targetE0EEEvSV_
                                        ; -- End function
	.section	.AMDGPU.csdata,"",@progbits
; Kernel info:
; codeLenInByte = 0
; NumSgprs: 0
; NumVgprs: 0
; ScratchSize: 0
; MemoryBound: 0
; FloatMode: 240
; IeeeMode: 1
; LDSByteSize: 0 bytes/workgroup (compile time only)
; SGPRBlocks: 0
; VGPRBlocks: 0
; NumSGPRsForWavesPerEU: 1
; NumVGPRsForWavesPerEU: 1
; Occupancy: 16
; WaveLimiterHint : 0
; COMPUTE_PGM_RSRC2:SCRATCH_EN: 0
; COMPUTE_PGM_RSRC2:USER_SGPR: 15
; COMPUTE_PGM_RSRC2:TRAP_HANDLER: 0
; COMPUTE_PGM_RSRC2:TGID_X_EN: 1
; COMPUTE_PGM_RSRC2:TGID_Y_EN: 0
; COMPUTE_PGM_RSRC2:TGID_Z_EN: 0
; COMPUTE_PGM_RSRC2:TIDIG_COMP_CNT: 0
	.section	.text._ZN7rocprim17ROCPRIM_400000_NS6detail17trampoline_kernelINS0_13select_configILj256ELj13ELNS0_17block_load_methodE3ELS4_3ELS4_3ELNS0_20block_scan_algorithmE0ELj4294967295EEENS1_25partition_config_selectorILNS1_17partition_subalgoE3EjNS0_10empty_typeEbEEZZNS1_14partition_implILS8_3ELb0ES6_jNS0_17counting_iteratorIjlEEPS9_SE_NS0_5tupleIJPjSE_EEENSF_IJSE_SE_EEES9_SG_JZNS1_25segmented_radix_sort_implINS0_14default_configELb0EPKlPlSM_SN_N2at6native12_GLOBAL__N_18offset_tEEE10hipError_tPvRmT1_PNSt15iterator_traitsISV_E10value_typeET2_T3_PNSW_IS11_E10value_typeET4_jRbjT5_S17_jjP12ihipStream_tbEUljE_EEESS_ST_SU_S11_S15_S17_T6_T7_T9_mT8_S19_bDpT10_ENKUlT_T0_E_clISt17integral_constantIbLb1EES1L_IbLb0EEEEDaS1H_S1I_EUlS1H_E_NS1_11comp_targetILNS1_3genE5ELNS1_11target_archE942ELNS1_3gpuE9ELNS1_3repE0EEENS1_30default_config_static_selectorELNS0_4arch9wavefront6targetE0EEEvSV_,"axG",@progbits,_ZN7rocprim17ROCPRIM_400000_NS6detail17trampoline_kernelINS0_13select_configILj256ELj13ELNS0_17block_load_methodE3ELS4_3ELS4_3ELNS0_20block_scan_algorithmE0ELj4294967295EEENS1_25partition_config_selectorILNS1_17partition_subalgoE3EjNS0_10empty_typeEbEEZZNS1_14partition_implILS8_3ELb0ES6_jNS0_17counting_iteratorIjlEEPS9_SE_NS0_5tupleIJPjSE_EEENSF_IJSE_SE_EEES9_SG_JZNS1_25segmented_radix_sort_implINS0_14default_configELb0EPKlPlSM_SN_N2at6native12_GLOBAL__N_18offset_tEEE10hipError_tPvRmT1_PNSt15iterator_traitsISV_E10value_typeET2_T3_PNSW_IS11_E10value_typeET4_jRbjT5_S17_jjP12ihipStream_tbEUljE_EEESS_ST_SU_S11_S15_S17_T6_T7_T9_mT8_S19_bDpT10_ENKUlT_T0_E_clISt17integral_constantIbLb1EES1L_IbLb0EEEEDaS1H_S1I_EUlS1H_E_NS1_11comp_targetILNS1_3genE5ELNS1_11target_archE942ELNS1_3gpuE9ELNS1_3repE0EEENS1_30default_config_static_selectorELNS0_4arch9wavefront6targetE0EEEvSV_,comdat
	.globl	_ZN7rocprim17ROCPRIM_400000_NS6detail17trampoline_kernelINS0_13select_configILj256ELj13ELNS0_17block_load_methodE3ELS4_3ELS4_3ELNS0_20block_scan_algorithmE0ELj4294967295EEENS1_25partition_config_selectorILNS1_17partition_subalgoE3EjNS0_10empty_typeEbEEZZNS1_14partition_implILS8_3ELb0ES6_jNS0_17counting_iteratorIjlEEPS9_SE_NS0_5tupleIJPjSE_EEENSF_IJSE_SE_EEES9_SG_JZNS1_25segmented_radix_sort_implINS0_14default_configELb0EPKlPlSM_SN_N2at6native12_GLOBAL__N_18offset_tEEE10hipError_tPvRmT1_PNSt15iterator_traitsISV_E10value_typeET2_T3_PNSW_IS11_E10value_typeET4_jRbjT5_S17_jjP12ihipStream_tbEUljE_EEESS_ST_SU_S11_S15_S17_T6_T7_T9_mT8_S19_bDpT10_ENKUlT_T0_E_clISt17integral_constantIbLb1EES1L_IbLb0EEEEDaS1H_S1I_EUlS1H_E_NS1_11comp_targetILNS1_3genE5ELNS1_11target_archE942ELNS1_3gpuE9ELNS1_3repE0EEENS1_30default_config_static_selectorELNS0_4arch9wavefront6targetE0EEEvSV_ ; -- Begin function _ZN7rocprim17ROCPRIM_400000_NS6detail17trampoline_kernelINS0_13select_configILj256ELj13ELNS0_17block_load_methodE3ELS4_3ELS4_3ELNS0_20block_scan_algorithmE0ELj4294967295EEENS1_25partition_config_selectorILNS1_17partition_subalgoE3EjNS0_10empty_typeEbEEZZNS1_14partition_implILS8_3ELb0ES6_jNS0_17counting_iteratorIjlEEPS9_SE_NS0_5tupleIJPjSE_EEENSF_IJSE_SE_EEES9_SG_JZNS1_25segmented_radix_sort_implINS0_14default_configELb0EPKlPlSM_SN_N2at6native12_GLOBAL__N_18offset_tEEE10hipError_tPvRmT1_PNSt15iterator_traitsISV_E10value_typeET2_T3_PNSW_IS11_E10value_typeET4_jRbjT5_S17_jjP12ihipStream_tbEUljE_EEESS_ST_SU_S11_S15_S17_T6_T7_T9_mT8_S19_bDpT10_ENKUlT_T0_E_clISt17integral_constantIbLb1EES1L_IbLb0EEEEDaS1H_S1I_EUlS1H_E_NS1_11comp_targetILNS1_3genE5ELNS1_11target_archE942ELNS1_3gpuE9ELNS1_3repE0EEENS1_30default_config_static_selectorELNS0_4arch9wavefront6targetE0EEEvSV_
	.p2align	8
	.type	_ZN7rocprim17ROCPRIM_400000_NS6detail17trampoline_kernelINS0_13select_configILj256ELj13ELNS0_17block_load_methodE3ELS4_3ELS4_3ELNS0_20block_scan_algorithmE0ELj4294967295EEENS1_25partition_config_selectorILNS1_17partition_subalgoE3EjNS0_10empty_typeEbEEZZNS1_14partition_implILS8_3ELb0ES6_jNS0_17counting_iteratorIjlEEPS9_SE_NS0_5tupleIJPjSE_EEENSF_IJSE_SE_EEES9_SG_JZNS1_25segmented_radix_sort_implINS0_14default_configELb0EPKlPlSM_SN_N2at6native12_GLOBAL__N_18offset_tEEE10hipError_tPvRmT1_PNSt15iterator_traitsISV_E10value_typeET2_T3_PNSW_IS11_E10value_typeET4_jRbjT5_S17_jjP12ihipStream_tbEUljE_EEESS_ST_SU_S11_S15_S17_T6_T7_T9_mT8_S19_bDpT10_ENKUlT_T0_E_clISt17integral_constantIbLb1EES1L_IbLb0EEEEDaS1H_S1I_EUlS1H_E_NS1_11comp_targetILNS1_3genE5ELNS1_11target_archE942ELNS1_3gpuE9ELNS1_3repE0EEENS1_30default_config_static_selectorELNS0_4arch9wavefront6targetE0EEEvSV_,@function
_ZN7rocprim17ROCPRIM_400000_NS6detail17trampoline_kernelINS0_13select_configILj256ELj13ELNS0_17block_load_methodE3ELS4_3ELS4_3ELNS0_20block_scan_algorithmE0ELj4294967295EEENS1_25partition_config_selectorILNS1_17partition_subalgoE3EjNS0_10empty_typeEbEEZZNS1_14partition_implILS8_3ELb0ES6_jNS0_17counting_iteratorIjlEEPS9_SE_NS0_5tupleIJPjSE_EEENSF_IJSE_SE_EEES9_SG_JZNS1_25segmented_radix_sort_implINS0_14default_configELb0EPKlPlSM_SN_N2at6native12_GLOBAL__N_18offset_tEEE10hipError_tPvRmT1_PNSt15iterator_traitsISV_E10value_typeET2_T3_PNSW_IS11_E10value_typeET4_jRbjT5_S17_jjP12ihipStream_tbEUljE_EEESS_ST_SU_S11_S15_S17_T6_T7_T9_mT8_S19_bDpT10_ENKUlT_T0_E_clISt17integral_constantIbLb1EES1L_IbLb0EEEEDaS1H_S1I_EUlS1H_E_NS1_11comp_targetILNS1_3genE5ELNS1_11target_archE942ELNS1_3gpuE9ELNS1_3repE0EEENS1_30default_config_static_selectorELNS0_4arch9wavefront6targetE0EEEvSV_: ; @_ZN7rocprim17ROCPRIM_400000_NS6detail17trampoline_kernelINS0_13select_configILj256ELj13ELNS0_17block_load_methodE3ELS4_3ELS4_3ELNS0_20block_scan_algorithmE0ELj4294967295EEENS1_25partition_config_selectorILNS1_17partition_subalgoE3EjNS0_10empty_typeEbEEZZNS1_14partition_implILS8_3ELb0ES6_jNS0_17counting_iteratorIjlEEPS9_SE_NS0_5tupleIJPjSE_EEENSF_IJSE_SE_EEES9_SG_JZNS1_25segmented_radix_sort_implINS0_14default_configELb0EPKlPlSM_SN_N2at6native12_GLOBAL__N_18offset_tEEE10hipError_tPvRmT1_PNSt15iterator_traitsISV_E10value_typeET2_T3_PNSW_IS11_E10value_typeET4_jRbjT5_S17_jjP12ihipStream_tbEUljE_EEESS_ST_SU_S11_S15_S17_T6_T7_T9_mT8_S19_bDpT10_ENKUlT_T0_E_clISt17integral_constantIbLb1EES1L_IbLb0EEEEDaS1H_S1I_EUlS1H_E_NS1_11comp_targetILNS1_3genE5ELNS1_11target_archE942ELNS1_3gpuE9ELNS1_3repE0EEENS1_30default_config_static_selectorELNS0_4arch9wavefront6targetE0EEEvSV_
; %bb.0:
	.section	.rodata,"a",@progbits
	.p2align	6, 0x0
	.amdhsa_kernel _ZN7rocprim17ROCPRIM_400000_NS6detail17trampoline_kernelINS0_13select_configILj256ELj13ELNS0_17block_load_methodE3ELS4_3ELS4_3ELNS0_20block_scan_algorithmE0ELj4294967295EEENS1_25partition_config_selectorILNS1_17partition_subalgoE3EjNS0_10empty_typeEbEEZZNS1_14partition_implILS8_3ELb0ES6_jNS0_17counting_iteratorIjlEEPS9_SE_NS0_5tupleIJPjSE_EEENSF_IJSE_SE_EEES9_SG_JZNS1_25segmented_radix_sort_implINS0_14default_configELb0EPKlPlSM_SN_N2at6native12_GLOBAL__N_18offset_tEEE10hipError_tPvRmT1_PNSt15iterator_traitsISV_E10value_typeET2_T3_PNSW_IS11_E10value_typeET4_jRbjT5_S17_jjP12ihipStream_tbEUljE_EEESS_ST_SU_S11_S15_S17_T6_T7_T9_mT8_S19_bDpT10_ENKUlT_T0_E_clISt17integral_constantIbLb1EES1L_IbLb0EEEEDaS1H_S1I_EUlS1H_E_NS1_11comp_targetILNS1_3genE5ELNS1_11target_archE942ELNS1_3gpuE9ELNS1_3repE0EEENS1_30default_config_static_selectorELNS0_4arch9wavefront6targetE0EEEvSV_
		.amdhsa_group_segment_fixed_size 0
		.amdhsa_private_segment_fixed_size 0
		.amdhsa_kernarg_size 144
		.amdhsa_user_sgpr_count 15
		.amdhsa_user_sgpr_dispatch_ptr 0
		.amdhsa_user_sgpr_queue_ptr 0
		.amdhsa_user_sgpr_kernarg_segment_ptr 1
		.amdhsa_user_sgpr_dispatch_id 0
		.amdhsa_user_sgpr_private_segment_size 0
		.amdhsa_wavefront_size32 1
		.amdhsa_uses_dynamic_stack 0
		.amdhsa_enable_private_segment 0
		.amdhsa_system_sgpr_workgroup_id_x 1
		.amdhsa_system_sgpr_workgroup_id_y 0
		.amdhsa_system_sgpr_workgroup_id_z 0
		.amdhsa_system_sgpr_workgroup_info 0
		.amdhsa_system_vgpr_workitem_id 0
		.amdhsa_next_free_vgpr 1
		.amdhsa_next_free_sgpr 1
		.amdhsa_reserve_vcc 0
		.amdhsa_float_round_mode_32 0
		.amdhsa_float_round_mode_16_64 0
		.amdhsa_float_denorm_mode_32 3
		.amdhsa_float_denorm_mode_16_64 3
		.amdhsa_dx10_clamp 1
		.amdhsa_ieee_mode 1
		.amdhsa_fp16_overflow 0
		.amdhsa_workgroup_processor_mode 1
		.amdhsa_memory_ordered 1
		.amdhsa_forward_progress 0
		.amdhsa_shared_vgpr_count 0
		.amdhsa_exception_fp_ieee_invalid_op 0
		.amdhsa_exception_fp_denorm_src 0
		.amdhsa_exception_fp_ieee_div_zero 0
		.amdhsa_exception_fp_ieee_overflow 0
		.amdhsa_exception_fp_ieee_underflow 0
		.amdhsa_exception_fp_ieee_inexact 0
		.amdhsa_exception_int_div_zero 0
	.end_amdhsa_kernel
	.section	.text._ZN7rocprim17ROCPRIM_400000_NS6detail17trampoline_kernelINS0_13select_configILj256ELj13ELNS0_17block_load_methodE3ELS4_3ELS4_3ELNS0_20block_scan_algorithmE0ELj4294967295EEENS1_25partition_config_selectorILNS1_17partition_subalgoE3EjNS0_10empty_typeEbEEZZNS1_14partition_implILS8_3ELb0ES6_jNS0_17counting_iteratorIjlEEPS9_SE_NS0_5tupleIJPjSE_EEENSF_IJSE_SE_EEES9_SG_JZNS1_25segmented_radix_sort_implINS0_14default_configELb0EPKlPlSM_SN_N2at6native12_GLOBAL__N_18offset_tEEE10hipError_tPvRmT1_PNSt15iterator_traitsISV_E10value_typeET2_T3_PNSW_IS11_E10value_typeET4_jRbjT5_S17_jjP12ihipStream_tbEUljE_EEESS_ST_SU_S11_S15_S17_T6_T7_T9_mT8_S19_bDpT10_ENKUlT_T0_E_clISt17integral_constantIbLb1EES1L_IbLb0EEEEDaS1H_S1I_EUlS1H_E_NS1_11comp_targetILNS1_3genE5ELNS1_11target_archE942ELNS1_3gpuE9ELNS1_3repE0EEENS1_30default_config_static_selectorELNS0_4arch9wavefront6targetE0EEEvSV_,"axG",@progbits,_ZN7rocprim17ROCPRIM_400000_NS6detail17trampoline_kernelINS0_13select_configILj256ELj13ELNS0_17block_load_methodE3ELS4_3ELS4_3ELNS0_20block_scan_algorithmE0ELj4294967295EEENS1_25partition_config_selectorILNS1_17partition_subalgoE3EjNS0_10empty_typeEbEEZZNS1_14partition_implILS8_3ELb0ES6_jNS0_17counting_iteratorIjlEEPS9_SE_NS0_5tupleIJPjSE_EEENSF_IJSE_SE_EEES9_SG_JZNS1_25segmented_radix_sort_implINS0_14default_configELb0EPKlPlSM_SN_N2at6native12_GLOBAL__N_18offset_tEEE10hipError_tPvRmT1_PNSt15iterator_traitsISV_E10value_typeET2_T3_PNSW_IS11_E10value_typeET4_jRbjT5_S17_jjP12ihipStream_tbEUljE_EEESS_ST_SU_S11_S15_S17_T6_T7_T9_mT8_S19_bDpT10_ENKUlT_T0_E_clISt17integral_constantIbLb1EES1L_IbLb0EEEEDaS1H_S1I_EUlS1H_E_NS1_11comp_targetILNS1_3genE5ELNS1_11target_archE942ELNS1_3gpuE9ELNS1_3repE0EEENS1_30default_config_static_selectorELNS0_4arch9wavefront6targetE0EEEvSV_,comdat
.Lfunc_end792:
	.size	_ZN7rocprim17ROCPRIM_400000_NS6detail17trampoline_kernelINS0_13select_configILj256ELj13ELNS0_17block_load_methodE3ELS4_3ELS4_3ELNS0_20block_scan_algorithmE0ELj4294967295EEENS1_25partition_config_selectorILNS1_17partition_subalgoE3EjNS0_10empty_typeEbEEZZNS1_14partition_implILS8_3ELb0ES6_jNS0_17counting_iteratorIjlEEPS9_SE_NS0_5tupleIJPjSE_EEENSF_IJSE_SE_EEES9_SG_JZNS1_25segmented_radix_sort_implINS0_14default_configELb0EPKlPlSM_SN_N2at6native12_GLOBAL__N_18offset_tEEE10hipError_tPvRmT1_PNSt15iterator_traitsISV_E10value_typeET2_T3_PNSW_IS11_E10value_typeET4_jRbjT5_S17_jjP12ihipStream_tbEUljE_EEESS_ST_SU_S11_S15_S17_T6_T7_T9_mT8_S19_bDpT10_ENKUlT_T0_E_clISt17integral_constantIbLb1EES1L_IbLb0EEEEDaS1H_S1I_EUlS1H_E_NS1_11comp_targetILNS1_3genE5ELNS1_11target_archE942ELNS1_3gpuE9ELNS1_3repE0EEENS1_30default_config_static_selectorELNS0_4arch9wavefront6targetE0EEEvSV_, .Lfunc_end792-_ZN7rocprim17ROCPRIM_400000_NS6detail17trampoline_kernelINS0_13select_configILj256ELj13ELNS0_17block_load_methodE3ELS4_3ELS4_3ELNS0_20block_scan_algorithmE0ELj4294967295EEENS1_25partition_config_selectorILNS1_17partition_subalgoE3EjNS0_10empty_typeEbEEZZNS1_14partition_implILS8_3ELb0ES6_jNS0_17counting_iteratorIjlEEPS9_SE_NS0_5tupleIJPjSE_EEENSF_IJSE_SE_EEES9_SG_JZNS1_25segmented_radix_sort_implINS0_14default_configELb0EPKlPlSM_SN_N2at6native12_GLOBAL__N_18offset_tEEE10hipError_tPvRmT1_PNSt15iterator_traitsISV_E10value_typeET2_T3_PNSW_IS11_E10value_typeET4_jRbjT5_S17_jjP12ihipStream_tbEUljE_EEESS_ST_SU_S11_S15_S17_T6_T7_T9_mT8_S19_bDpT10_ENKUlT_T0_E_clISt17integral_constantIbLb1EES1L_IbLb0EEEEDaS1H_S1I_EUlS1H_E_NS1_11comp_targetILNS1_3genE5ELNS1_11target_archE942ELNS1_3gpuE9ELNS1_3repE0EEENS1_30default_config_static_selectorELNS0_4arch9wavefront6targetE0EEEvSV_
                                        ; -- End function
	.section	.AMDGPU.csdata,"",@progbits
; Kernel info:
; codeLenInByte = 0
; NumSgprs: 0
; NumVgprs: 0
; ScratchSize: 0
; MemoryBound: 0
; FloatMode: 240
; IeeeMode: 1
; LDSByteSize: 0 bytes/workgroup (compile time only)
; SGPRBlocks: 0
; VGPRBlocks: 0
; NumSGPRsForWavesPerEU: 1
; NumVGPRsForWavesPerEU: 1
; Occupancy: 16
; WaveLimiterHint : 0
; COMPUTE_PGM_RSRC2:SCRATCH_EN: 0
; COMPUTE_PGM_RSRC2:USER_SGPR: 15
; COMPUTE_PGM_RSRC2:TRAP_HANDLER: 0
; COMPUTE_PGM_RSRC2:TGID_X_EN: 1
; COMPUTE_PGM_RSRC2:TGID_Y_EN: 0
; COMPUTE_PGM_RSRC2:TGID_Z_EN: 0
; COMPUTE_PGM_RSRC2:TIDIG_COMP_CNT: 0
	.section	.text._ZN7rocprim17ROCPRIM_400000_NS6detail17trampoline_kernelINS0_13select_configILj256ELj13ELNS0_17block_load_methodE3ELS4_3ELS4_3ELNS0_20block_scan_algorithmE0ELj4294967295EEENS1_25partition_config_selectorILNS1_17partition_subalgoE3EjNS0_10empty_typeEbEEZZNS1_14partition_implILS8_3ELb0ES6_jNS0_17counting_iteratorIjlEEPS9_SE_NS0_5tupleIJPjSE_EEENSF_IJSE_SE_EEES9_SG_JZNS1_25segmented_radix_sort_implINS0_14default_configELb0EPKlPlSM_SN_N2at6native12_GLOBAL__N_18offset_tEEE10hipError_tPvRmT1_PNSt15iterator_traitsISV_E10value_typeET2_T3_PNSW_IS11_E10value_typeET4_jRbjT5_S17_jjP12ihipStream_tbEUljE_EEESS_ST_SU_S11_S15_S17_T6_T7_T9_mT8_S19_bDpT10_ENKUlT_T0_E_clISt17integral_constantIbLb1EES1L_IbLb0EEEEDaS1H_S1I_EUlS1H_E_NS1_11comp_targetILNS1_3genE4ELNS1_11target_archE910ELNS1_3gpuE8ELNS1_3repE0EEENS1_30default_config_static_selectorELNS0_4arch9wavefront6targetE0EEEvSV_,"axG",@progbits,_ZN7rocprim17ROCPRIM_400000_NS6detail17trampoline_kernelINS0_13select_configILj256ELj13ELNS0_17block_load_methodE3ELS4_3ELS4_3ELNS0_20block_scan_algorithmE0ELj4294967295EEENS1_25partition_config_selectorILNS1_17partition_subalgoE3EjNS0_10empty_typeEbEEZZNS1_14partition_implILS8_3ELb0ES6_jNS0_17counting_iteratorIjlEEPS9_SE_NS0_5tupleIJPjSE_EEENSF_IJSE_SE_EEES9_SG_JZNS1_25segmented_radix_sort_implINS0_14default_configELb0EPKlPlSM_SN_N2at6native12_GLOBAL__N_18offset_tEEE10hipError_tPvRmT1_PNSt15iterator_traitsISV_E10value_typeET2_T3_PNSW_IS11_E10value_typeET4_jRbjT5_S17_jjP12ihipStream_tbEUljE_EEESS_ST_SU_S11_S15_S17_T6_T7_T9_mT8_S19_bDpT10_ENKUlT_T0_E_clISt17integral_constantIbLb1EES1L_IbLb0EEEEDaS1H_S1I_EUlS1H_E_NS1_11comp_targetILNS1_3genE4ELNS1_11target_archE910ELNS1_3gpuE8ELNS1_3repE0EEENS1_30default_config_static_selectorELNS0_4arch9wavefront6targetE0EEEvSV_,comdat
	.globl	_ZN7rocprim17ROCPRIM_400000_NS6detail17trampoline_kernelINS0_13select_configILj256ELj13ELNS0_17block_load_methodE3ELS4_3ELS4_3ELNS0_20block_scan_algorithmE0ELj4294967295EEENS1_25partition_config_selectorILNS1_17partition_subalgoE3EjNS0_10empty_typeEbEEZZNS1_14partition_implILS8_3ELb0ES6_jNS0_17counting_iteratorIjlEEPS9_SE_NS0_5tupleIJPjSE_EEENSF_IJSE_SE_EEES9_SG_JZNS1_25segmented_radix_sort_implINS0_14default_configELb0EPKlPlSM_SN_N2at6native12_GLOBAL__N_18offset_tEEE10hipError_tPvRmT1_PNSt15iterator_traitsISV_E10value_typeET2_T3_PNSW_IS11_E10value_typeET4_jRbjT5_S17_jjP12ihipStream_tbEUljE_EEESS_ST_SU_S11_S15_S17_T6_T7_T9_mT8_S19_bDpT10_ENKUlT_T0_E_clISt17integral_constantIbLb1EES1L_IbLb0EEEEDaS1H_S1I_EUlS1H_E_NS1_11comp_targetILNS1_3genE4ELNS1_11target_archE910ELNS1_3gpuE8ELNS1_3repE0EEENS1_30default_config_static_selectorELNS0_4arch9wavefront6targetE0EEEvSV_ ; -- Begin function _ZN7rocprim17ROCPRIM_400000_NS6detail17trampoline_kernelINS0_13select_configILj256ELj13ELNS0_17block_load_methodE3ELS4_3ELS4_3ELNS0_20block_scan_algorithmE0ELj4294967295EEENS1_25partition_config_selectorILNS1_17partition_subalgoE3EjNS0_10empty_typeEbEEZZNS1_14partition_implILS8_3ELb0ES6_jNS0_17counting_iteratorIjlEEPS9_SE_NS0_5tupleIJPjSE_EEENSF_IJSE_SE_EEES9_SG_JZNS1_25segmented_radix_sort_implINS0_14default_configELb0EPKlPlSM_SN_N2at6native12_GLOBAL__N_18offset_tEEE10hipError_tPvRmT1_PNSt15iterator_traitsISV_E10value_typeET2_T3_PNSW_IS11_E10value_typeET4_jRbjT5_S17_jjP12ihipStream_tbEUljE_EEESS_ST_SU_S11_S15_S17_T6_T7_T9_mT8_S19_bDpT10_ENKUlT_T0_E_clISt17integral_constantIbLb1EES1L_IbLb0EEEEDaS1H_S1I_EUlS1H_E_NS1_11comp_targetILNS1_3genE4ELNS1_11target_archE910ELNS1_3gpuE8ELNS1_3repE0EEENS1_30default_config_static_selectorELNS0_4arch9wavefront6targetE0EEEvSV_
	.p2align	8
	.type	_ZN7rocprim17ROCPRIM_400000_NS6detail17trampoline_kernelINS0_13select_configILj256ELj13ELNS0_17block_load_methodE3ELS4_3ELS4_3ELNS0_20block_scan_algorithmE0ELj4294967295EEENS1_25partition_config_selectorILNS1_17partition_subalgoE3EjNS0_10empty_typeEbEEZZNS1_14partition_implILS8_3ELb0ES6_jNS0_17counting_iteratorIjlEEPS9_SE_NS0_5tupleIJPjSE_EEENSF_IJSE_SE_EEES9_SG_JZNS1_25segmented_radix_sort_implINS0_14default_configELb0EPKlPlSM_SN_N2at6native12_GLOBAL__N_18offset_tEEE10hipError_tPvRmT1_PNSt15iterator_traitsISV_E10value_typeET2_T3_PNSW_IS11_E10value_typeET4_jRbjT5_S17_jjP12ihipStream_tbEUljE_EEESS_ST_SU_S11_S15_S17_T6_T7_T9_mT8_S19_bDpT10_ENKUlT_T0_E_clISt17integral_constantIbLb1EES1L_IbLb0EEEEDaS1H_S1I_EUlS1H_E_NS1_11comp_targetILNS1_3genE4ELNS1_11target_archE910ELNS1_3gpuE8ELNS1_3repE0EEENS1_30default_config_static_selectorELNS0_4arch9wavefront6targetE0EEEvSV_,@function
_ZN7rocprim17ROCPRIM_400000_NS6detail17trampoline_kernelINS0_13select_configILj256ELj13ELNS0_17block_load_methodE3ELS4_3ELS4_3ELNS0_20block_scan_algorithmE0ELj4294967295EEENS1_25partition_config_selectorILNS1_17partition_subalgoE3EjNS0_10empty_typeEbEEZZNS1_14partition_implILS8_3ELb0ES6_jNS0_17counting_iteratorIjlEEPS9_SE_NS0_5tupleIJPjSE_EEENSF_IJSE_SE_EEES9_SG_JZNS1_25segmented_radix_sort_implINS0_14default_configELb0EPKlPlSM_SN_N2at6native12_GLOBAL__N_18offset_tEEE10hipError_tPvRmT1_PNSt15iterator_traitsISV_E10value_typeET2_T3_PNSW_IS11_E10value_typeET4_jRbjT5_S17_jjP12ihipStream_tbEUljE_EEESS_ST_SU_S11_S15_S17_T6_T7_T9_mT8_S19_bDpT10_ENKUlT_T0_E_clISt17integral_constantIbLb1EES1L_IbLb0EEEEDaS1H_S1I_EUlS1H_E_NS1_11comp_targetILNS1_3genE4ELNS1_11target_archE910ELNS1_3gpuE8ELNS1_3repE0EEENS1_30default_config_static_selectorELNS0_4arch9wavefront6targetE0EEEvSV_: ; @_ZN7rocprim17ROCPRIM_400000_NS6detail17trampoline_kernelINS0_13select_configILj256ELj13ELNS0_17block_load_methodE3ELS4_3ELS4_3ELNS0_20block_scan_algorithmE0ELj4294967295EEENS1_25partition_config_selectorILNS1_17partition_subalgoE3EjNS0_10empty_typeEbEEZZNS1_14partition_implILS8_3ELb0ES6_jNS0_17counting_iteratorIjlEEPS9_SE_NS0_5tupleIJPjSE_EEENSF_IJSE_SE_EEES9_SG_JZNS1_25segmented_radix_sort_implINS0_14default_configELb0EPKlPlSM_SN_N2at6native12_GLOBAL__N_18offset_tEEE10hipError_tPvRmT1_PNSt15iterator_traitsISV_E10value_typeET2_T3_PNSW_IS11_E10value_typeET4_jRbjT5_S17_jjP12ihipStream_tbEUljE_EEESS_ST_SU_S11_S15_S17_T6_T7_T9_mT8_S19_bDpT10_ENKUlT_T0_E_clISt17integral_constantIbLb1EES1L_IbLb0EEEEDaS1H_S1I_EUlS1H_E_NS1_11comp_targetILNS1_3genE4ELNS1_11target_archE910ELNS1_3gpuE8ELNS1_3repE0EEENS1_30default_config_static_selectorELNS0_4arch9wavefront6targetE0EEEvSV_
; %bb.0:
	.section	.rodata,"a",@progbits
	.p2align	6, 0x0
	.amdhsa_kernel _ZN7rocprim17ROCPRIM_400000_NS6detail17trampoline_kernelINS0_13select_configILj256ELj13ELNS0_17block_load_methodE3ELS4_3ELS4_3ELNS0_20block_scan_algorithmE0ELj4294967295EEENS1_25partition_config_selectorILNS1_17partition_subalgoE3EjNS0_10empty_typeEbEEZZNS1_14partition_implILS8_3ELb0ES6_jNS0_17counting_iteratorIjlEEPS9_SE_NS0_5tupleIJPjSE_EEENSF_IJSE_SE_EEES9_SG_JZNS1_25segmented_radix_sort_implINS0_14default_configELb0EPKlPlSM_SN_N2at6native12_GLOBAL__N_18offset_tEEE10hipError_tPvRmT1_PNSt15iterator_traitsISV_E10value_typeET2_T3_PNSW_IS11_E10value_typeET4_jRbjT5_S17_jjP12ihipStream_tbEUljE_EEESS_ST_SU_S11_S15_S17_T6_T7_T9_mT8_S19_bDpT10_ENKUlT_T0_E_clISt17integral_constantIbLb1EES1L_IbLb0EEEEDaS1H_S1I_EUlS1H_E_NS1_11comp_targetILNS1_3genE4ELNS1_11target_archE910ELNS1_3gpuE8ELNS1_3repE0EEENS1_30default_config_static_selectorELNS0_4arch9wavefront6targetE0EEEvSV_
		.amdhsa_group_segment_fixed_size 0
		.amdhsa_private_segment_fixed_size 0
		.amdhsa_kernarg_size 144
		.amdhsa_user_sgpr_count 15
		.amdhsa_user_sgpr_dispatch_ptr 0
		.amdhsa_user_sgpr_queue_ptr 0
		.amdhsa_user_sgpr_kernarg_segment_ptr 1
		.amdhsa_user_sgpr_dispatch_id 0
		.amdhsa_user_sgpr_private_segment_size 0
		.amdhsa_wavefront_size32 1
		.amdhsa_uses_dynamic_stack 0
		.amdhsa_enable_private_segment 0
		.amdhsa_system_sgpr_workgroup_id_x 1
		.amdhsa_system_sgpr_workgroup_id_y 0
		.amdhsa_system_sgpr_workgroup_id_z 0
		.amdhsa_system_sgpr_workgroup_info 0
		.amdhsa_system_vgpr_workitem_id 0
		.amdhsa_next_free_vgpr 1
		.amdhsa_next_free_sgpr 1
		.amdhsa_reserve_vcc 0
		.amdhsa_float_round_mode_32 0
		.amdhsa_float_round_mode_16_64 0
		.amdhsa_float_denorm_mode_32 3
		.amdhsa_float_denorm_mode_16_64 3
		.amdhsa_dx10_clamp 1
		.amdhsa_ieee_mode 1
		.amdhsa_fp16_overflow 0
		.amdhsa_workgroup_processor_mode 1
		.amdhsa_memory_ordered 1
		.amdhsa_forward_progress 0
		.amdhsa_shared_vgpr_count 0
		.amdhsa_exception_fp_ieee_invalid_op 0
		.amdhsa_exception_fp_denorm_src 0
		.amdhsa_exception_fp_ieee_div_zero 0
		.amdhsa_exception_fp_ieee_overflow 0
		.amdhsa_exception_fp_ieee_underflow 0
		.amdhsa_exception_fp_ieee_inexact 0
		.amdhsa_exception_int_div_zero 0
	.end_amdhsa_kernel
	.section	.text._ZN7rocprim17ROCPRIM_400000_NS6detail17trampoline_kernelINS0_13select_configILj256ELj13ELNS0_17block_load_methodE3ELS4_3ELS4_3ELNS0_20block_scan_algorithmE0ELj4294967295EEENS1_25partition_config_selectorILNS1_17partition_subalgoE3EjNS0_10empty_typeEbEEZZNS1_14partition_implILS8_3ELb0ES6_jNS0_17counting_iteratorIjlEEPS9_SE_NS0_5tupleIJPjSE_EEENSF_IJSE_SE_EEES9_SG_JZNS1_25segmented_radix_sort_implINS0_14default_configELb0EPKlPlSM_SN_N2at6native12_GLOBAL__N_18offset_tEEE10hipError_tPvRmT1_PNSt15iterator_traitsISV_E10value_typeET2_T3_PNSW_IS11_E10value_typeET4_jRbjT5_S17_jjP12ihipStream_tbEUljE_EEESS_ST_SU_S11_S15_S17_T6_T7_T9_mT8_S19_bDpT10_ENKUlT_T0_E_clISt17integral_constantIbLb1EES1L_IbLb0EEEEDaS1H_S1I_EUlS1H_E_NS1_11comp_targetILNS1_3genE4ELNS1_11target_archE910ELNS1_3gpuE8ELNS1_3repE0EEENS1_30default_config_static_selectorELNS0_4arch9wavefront6targetE0EEEvSV_,"axG",@progbits,_ZN7rocprim17ROCPRIM_400000_NS6detail17trampoline_kernelINS0_13select_configILj256ELj13ELNS0_17block_load_methodE3ELS4_3ELS4_3ELNS0_20block_scan_algorithmE0ELj4294967295EEENS1_25partition_config_selectorILNS1_17partition_subalgoE3EjNS0_10empty_typeEbEEZZNS1_14partition_implILS8_3ELb0ES6_jNS0_17counting_iteratorIjlEEPS9_SE_NS0_5tupleIJPjSE_EEENSF_IJSE_SE_EEES9_SG_JZNS1_25segmented_radix_sort_implINS0_14default_configELb0EPKlPlSM_SN_N2at6native12_GLOBAL__N_18offset_tEEE10hipError_tPvRmT1_PNSt15iterator_traitsISV_E10value_typeET2_T3_PNSW_IS11_E10value_typeET4_jRbjT5_S17_jjP12ihipStream_tbEUljE_EEESS_ST_SU_S11_S15_S17_T6_T7_T9_mT8_S19_bDpT10_ENKUlT_T0_E_clISt17integral_constantIbLb1EES1L_IbLb0EEEEDaS1H_S1I_EUlS1H_E_NS1_11comp_targetILNS1_3genE4ELNS1_11target_archE910ELNS1_3gpuE8ELNS1_3repE0EEENS1_30default_config_static_selectorELNS0_4arch9wavefront6targetE0EEEvSV_,comdat
.Lfunc_end793:
	.size	_ZN7rocprim17ROCPRIM_400000_NS6detail17trampoline_kernelINS0_13select_configILj256ELj13ELNS0_17block_load_methodE3ELS4_3ELS4_3ELNS0_20block_scan_algorithmE0ELj4294967295EEENS1_25partition_config_selectorILNS1_17partition_subalgoE3EjNS0_10empty_typeEbEEZZNS1_14partition_implILS8_3ELb0ES6_jNS0_17counting_iteratorIjlEEPS9_SE_NS0_5tupleIJPjSE_EEENSF_IJSE_SE_EEES9_SG_JZNS1_25segmented_radix_sort_implINS0_14default_configELb0EPKlPlSM_SN_N2at6native12_GLOBAL__N_18offset_tEEE10hipError_tPvRmT1_PNSt15iterator_traitsISV_E10value_typeET2_T3_PNSW_IS11_E10value_typeET4_jRbjT5_S17_jjP12ihipStream_tbEUljE_EEESS_ST_SU_S11_S15_S17_T6_T7_T9_mT8_S19_bDpT10_ENKUlT_T0_E_clISt17integral_constantIbLb1EES1L_IbLb0EEEEDaS1H_S1I_EUlS1H_E_NS1_11comp_targetILNS1_3genE4ELNS1_11target_archE910ELNS1_3gpuE8ELNS1_3repE0EEENS1_30default_config_static_selectorELNS0_4arch9wavefront6targetE0EEEvSV_, .Lfunc_end793-_ZN7rocprim17ROCPRIM_400000_NS6detail17trampoline_kernelINS0_13select_configILj256ELj13ELNS0_17block_load_methodE3ELS4_3ELS4_3ELNS0_20block_scan_algorithmE0ELj4294967295EEENS1_25partition_config_selectorILNS1_17partition_subalgoE3EjNS0_10empty_typeEbEEZZNS1_14partition_implILS8_3ELb0ES6_jNS0_17counting_iteratorIjlEEPS9_SE_NS0_5tupleIJPjSE_EEENSF_IJSE_SE_EEES9_SG_JZNS1_25segmented_radix_sort_implINS0_14default_configELb0EPKlPlSM_SN_N2at6native12_GLOBAL__N_18offset_tEEE10hipError_tPvRmT1_PNSt15iterator_traitsISV_E10value_typeET2_T3_PNSW_IS11_E10value_typeET4_jRbjT5_S17_jjP12ihipStream_tbEUljE_EEESS_ST_SU_S11_S15_S17_T6_T7_T9_mT8_S19_bDpT10_ENKUlT_T0_E_clISt17integral_constantIbLb1EES1L_IbLb0EEEEDaS1H_S1I_EUlS1H_E_NS1_11comp_targetILNS1_3genE4ELNS1_11target_archE910ELNS1_3gpuE8ELNS1_3repE0EEENS1_30default_config_static_selectorELNS0_4arch9wavefront6targetE0EEEvSV_
                                        ; -- End function
	.section	.AMDGPU.csdata,"",@progbits
; Kernel info:
; codeLenInByte = 0
; NumSgprs: 0
; NumVgprs: 0
; ScratchSize: 0
; MemoryBound: 0
; FloatMode: 240
; IeeeMode: 1
; LDSByteSize: 0 bytes/workgroup (compile time only)
; SGPRBlocks: 0
; VGPRBlocks: 0
; NumSGPRsForWavesPerEU: 1
; NumVGPRsForWavesPerEU: 1
; Occupancy: 16
; WaveLimiterHint : 0
; COMPUTE_PGM_RSRC2:SCRATCH_EN: 0
; COMPUTE_PGM_RSRC2:USER_SGPR: 15
; COMPUTE_PGM_RSRC2:TRAP_HANDLER: 0
; COMPUTE_PGM_RSRC2:TGID_X_EN: 1
; COMPUTE_PGM_RSRC2:TGID_Y_EN: 0
; COMPUTE_PGM_RSRC2:TGID_Z_EN: 0
; COMPUTE_PGM_RSRC2:TIDIG_COMP_CNT: 0
	.section	.text._ZN7rocprim17ROCPRIM_400000_NS6detail17trampoline_kernelINS0_13select_configILj256ELj13ELNS0_17block_load_methodE3ELS4_3ELS4_3ELNS0_20block_scan_algorithmE0ELj4294967295EEENS1_25partition_config_selectorILNS1_17partition_subalgoE3EjNS0_10empty_typeEbEEZZNS1_14partition_implILS8_3ELb0ES6_jNS0_17counting_iteratorIjlEEPS9_SE_NS0_5tupleIJPjSE_EEENSF_IJSE_SE_EEES9_SG_JZNS1_25segmented_radix_sort_implINS0_14default_configELb0EPKlPlSM_SN_N2at6native12_GLOBAL__N_18offset_tEEE10hipError_tPvRmT1_PNSt15iterator_traitsISV_E10value_typeET2_T3_PNSW_IS11_E10value_typeET4_jRbjT5_S17_jjP12ihipStream_tbEUljE_EEESS_ST_SU_S11_S15_S17_T6_T7_T9_mT8_S19_bDpT10_ENKUlT_T0_E_clISt17integral_constantIbLb1EES1L_IbLb0EEEEDaS1H_S1I_EUlS1H_E_NS1_11comp_targetILNS1_3genE3ELNS1_11target_archE908ELNS1_3gpuE7ELNS1_3repE0EEENS1_30default_config_static_selectorELNS0_4arch9wavefront6targetE0EEEvSV_,"axG",@progbits,_ZN7rocprim17ROCPRIM_400000_NS6detail17trampoline_kernelINS0_13select_configILj256ELj13ELNS0_17block_load_methodE3ELS4_3ELS4_3ELNS0_20block_scan_algorithmE0ELj4294967295EEENS1_25partition_config_selectorILNS1_17partition_subalgoE3EjNS0_10empty_typeEbEEZZNS1_14partition_implILS8_3ELb0ES6_jNS0_17counting_iteratorIjlEEPS9_SE_NS0_5tupleIJPjSE_EEENSF_IJSE_SE_EEES9_SG_JZNS1_25segmented_radix_sort_implINS0_14default_configELb0EPKlPlSM_SN_N2at6native12_GLOBAL__N_18offset_tEEE10hipError_tPvRmT1_PNSt15iterator_traitsISV_E10value_typeET2_T3_PNSW_IS11_E10value_typeET4_jRbjT5_S17_jjP12ihipStream_tbEUljE_EEESS_ST_SU_S11_S15_S17_T6_T7_T9_mT8_S19_bDpT10_ENKUlT_T0_E_clISt17integral_constantIbLb1EES1L_IbLb0EEEEDaS1H_S1I_EUlS1H_E_NS1_11comp_targetILNS1_3genE3ELNS1_11target_archE908ELNS1_3gpuE7ELNS1_3repE0EEENS1_30default_config_static_selectorELNS0_4arch9wavefront6targetE0EEEvSV_,comdat
	.globl	_ZN7rocprim17ROCPRIM_400000_NS6detail17trampoline_kernelINS0_13select_configILj256ELj13ELNS0_17block_load_methodE3ELS4_3ELS4_3ELNS0_20block_scan_algorithmE0ELj4294967295EEENS1_25partition_config_selectorILNS1_17partition_subalgoE3EjNS0_10empty_typeEbEEZZNS1_14partition_implILS8_3ELb0ES6_jNS0_17counting_iteratorIjlEEPS9_SE_NS0_5tupleIJPjSE_EEENSF_IJSE_SE_EEES9_SG_JZNS1_25segmented_radix_sort_implINS0_14default_configELb0EPKlPlSM_SN_N2at6native12_GLOBAL__N_18offset_tEEE10hipError_tPvRmT1_PNSt15iterator_traitsISV_E10value_typeET2_T3_PNSW_IS11_E10value_typeET4_jRbjT5_S17_jjP12ihipStream_tbEUljE_EEESS_ST_SU_S11_S15_S17_T6_T7_T9_mT8_S19_bDpT10_ENKUlT_T0_E_clISt17integral_constantIbLb1EES1L_IbLb0EEEEDaS1H_S1I_EUlS1H_E_NS1_11comp_targetILNS1_3genE3ELNS1_11target_archE908ELNS1_3gpuE7ELNS1_3repE0EEENS1_30default_config_static_selectorELNS0_4arch9wavefront6targetE0EEEvSV_ ; -- Begin function _ZN7rocprim17ROCPRIM_400000_NS6detail17trampoline_kernelINS0_13select_configILj256ELj13ELNS0_17block_load_methodE3ELS4_3ELS4_3ELNS0_20block_scan_algorithmE0ELj4294967295EEENS1_25partition_config_selectorILNS1_17partition_subalgoE3EjNS0_10empty_typeEbEEZZNS1_14partition_implILS8_3ELb0ES6_jNS0_17counting_iteratorIjlEEPS9_SE_NS0_5tupleIJPjSE_EEENSF_IJSE_SE_EEES9_SG_JZNS1_25segmented_radix_sort_implINS0_14default_configELb0EPKlPlSM_SN_N2at6native12_GLOBAL__N_18offset_tEEE10hipError_tPvRmT1_PNSt15iterator_traitsISV_E10value_typeET2_T3_PNSW_IS11_E10value_typeET4_jRbjT5_S17_jjP12ihipStream_tbEUljE_EEESS_ST_SU_S11_S15_S17_T6_T7_T9_mT8_S19_bDpT10_ENKUlT_T0_E_clISt17integral_constantIbLb1EES1L_IbLb0EEEEDaS1H_S1I_EUlS1H_E_NS1_11comp_targetILNS1_3genE3ELNS1_11target_archE908ELNS1_3gpuE7ELNS1_3repE0EEENS1_30default_config_static_selectorELNS0_4arch9wavefront6targetE0EEEvSV_
	.p2align	8
	.type	_ZN7rocprim17ROCPRIM_400000_NS6detail17trampoline_kernelINS0_13select_configILj256ELj13ELNS0_17block_load_methodE3ELS4_3ELS4_3ELNS0_20block_scan_algorithmE0ELj4294967295EEENS1_25partition_config_selectorILNS1_17partition_subalgoE3EjNS0_10empty_typeEbEEZZNS1_14partition_implILS8_3ELb0ES6_jNS0_17counting_iteratorIjlEEPS9_SE_NS0_5tupleIJPjSE_EEENSF_IJSE_SE_EEES9_SG_JZNS1_25segmented_radix_sort_implINS0_14default_configELb0EPKlPlSM_SN_N2at6native12_GLOBAL__N_18offset_tEEE10hipError_tPvRmT1_PNSt15iterator_traitsISV_E10value_typeET2_T3_PNSW_IS11_E10value_typeET4_jRbjT5_S17_jjP12ihipStream_tbEUljE_EEESS_ST_SU_S11_S15_S17_T6_T7_T9_mT8_S19_bDpT10_ENKUlT_T0_E_clISt17integral_constantIbLb1EES1L_IbLb0EEEEDaS1H_S1I_EUlS1H_E_NS1_11comp_targetILNS1_3genE3ELNS1_11target_archE908ELNS1_3gpuE7ELNS1_3repE0EEENS1_30default_config_static_selectorELNS0_4arch9wavefront6targetE0EEEvSV_,@function
_ZN7rocprim17ROCPRIM_400000_NS6detail17trampoline_kernelINS0_13select_configILj256ELj13ELNS0_17block_load_methodE3ELS4_3ELS4_3ELNS0_20block_scan_algorithmE0ELj4294967295EEENS1_25partition_config_selectorILNS1_17partition_subalgoE3EjNS0_10empty_typeEbEEZZNS1_14partition_implILS8_3ELb0ES6_jNS0_17counting_iteratorIjlEEPS9_SE_NS0_5tupleIJPjSE_EEENSF_IJSE_SE_EEES9_SG_JZNS1_25segmented_radix_sort_implINS0_14default_configELb0EPKlPlSM_SN_N2at6native12_GLOBAL__N_18offset_tEEE10hipError_tPvRmT1_PNSt15iterator_traitsISV_E10value_typeET2_T3_PNSW_IS11_E10value_typeET4_jRbjT5_S17_jjP12ihipStream_tbEUljE_EEESS_ST_SU_S11_S15_S17_T6_T7_T9_mT8_S19_bDpT10_ENKUlT_T0_E_clISt17integral_constantIbLb1EES1L_IbLb0EEEEDaS1H_S1I_EUlS1H_E_NS1_11comp_targetILNS1_3genE3ELNS1_11target_archE908ELNS1_3gpuE7ELNS1_3repE0EEENS1_30default_config_static_selectorELNS0_4arch9wavefront6targetE0EEEvSV_: ; @_ZN7rocprim17ROCPRIM_400000_NS6detail17trampoline_kernelINS0_13select_configILj256ELj13ELNS0_17block_load_methodE3ELS4_3ELS4_3ELNS0_20block_scan_algorithmE0ELj4294967295EEENS1_25partition_config_selectorILNS1_17partition_subalgoE3EjNS0_10empty_typeEbEEZZNS1_14partition_implILS8_3ELb0ES6_jNS0_17counting_iteratorIjlEEPS9_SE_NS0_5tupleIJPjSE_EEENSF_IJSE_SE_EEES9_SG_JZNS1_25segmented_radix_sort_implINS0_14default_configELb0EPKlPlSM_SN_N2at6native12_GLOBAL__N_18offset_tEEE10hipError_tPvRmT1_PNSt15iterator_traitsISV_E10value_typeET2_T3_PNSW_IS11_E10value_typeET4_jRbjT5_S17_jjP12ihipStream_tbEUljE_EEESS_ST_SU_S11_S15_S17_T6_T7_T9_mT8_S19_bDpT10_ENKUlT_T0_E_clISt17integral_constantIbLb1EES1L_IbLb0EEEEDaS1H_S1I_EUlS1H_E_NS1_11comp_targetILNS1_3genE3ELNS1_11target_archE908ELNS1_3gpuE7ELNS1_3repE0EEENS1_30default_config_static_selectorELNS0_4arch9wavefront6targetE0EEEvSV_
; %bb.0:
	.section	.rodata,"a",@progbits
	.p2align	6, 0x0
	.amdhsa_kernel _ZN7rocprim17ROCPRIM_400000_NS6detail17trampoline_kernelINS0_13select_configILj256ELj13ELNS0_17block_load_methodE3ELS4_3ELS4_3ELNS0_20block_scan_algorithmE0ELj4294967295EEENS1_25partition_config_selectorILNS1_17partition_subalgoE3EjNS0_10empty_typeEbEEZZNS1_14partition_implILS8_3ELb0ES6_jNS0_17counting_iteratorIjlEEPS9_SE_NS0_5tupleIJPjSE_EEENSF_IJSE_SE_EEES9_SG_JZNS1_25segmented_radix_sort_implINS0_14default_configELb0EPKlPlSM_SN_N2at6native12_GLOBAL__N_18offset_tEEE10hipError_tPvRmT1_PNSt15iterator_traitsISV_E10value_typeET2_T3_PNSW_IS11_E10value_typeET4_jRbjT5_S17_jjP12ihipStream_tbEUljE_EEESS_ST_SU_S11_S15_S17_T6_T7_T9_mT8_S19_bDpT10_ENKUlT_T0_E_clISt17integral_constantIbLb1EES1L_IbLb0EEEEDaS1H_S1I_EUlS1H_E_NS1_11comp_targetILNS1_3genE3ELNS1_11target_archE908ELNS1_3gpuE7ELNS1_3repE0EEENS1_30default_config_static_selectorELNS0_4arch9wavefront6targetE0EEEvSV_
		.amdhsa_group_segment_fixed_size 0
		.amdhsa_private_segment_fixed_size 0
		.amdhsa_kernarg_size 144
		.amdhsa_user_sgpr_count 15
		.amdhsa_user_sgpr_dispatch_ptr 0
		.amdhsa_user_sgpr_queue_ptr 0
		.amdhsa_user_sgpr_kernarg_segment_ptr 1
		.amdhsa_user_sgpr_dispatch_id 0
		.amdhsa_user_sgpr_private_segment_size 0
		.amdhsa_wavefront_size32 1
		.amdhsa_uses_dynamic_stack 0
		.amdhsa_enable_private_segment 0
		.amdhsa_system_sgpr_workgroup_id_x 1
		.amdhsa_system_sgpr_workgroup_id_y 0
		.amdhsa_system_sgpr_workgroup_id_z 0
		.amdhsa_system_sgpr_workgroup_info 0
		.amdhsa_system_vgpr_workitem_id 0
		.amdhsa_next_free_vgpr 1
		.amdhsa_next_free_sgpr 1
		.amdhsa_reserve_vcc 0
		.amdhsa_float_round_mode_32 0
		.amdhsa_float_round_mode_16_64 0
		.amdhsa_float_denorm_mode_32 3
		.amdhsa_float_denorm_mode_16_64 3
		.amdhsa_dx10_clamp 1
		.amdhsa_ieee_mode 1
		.amdhsa_fp16_overflow 0
		.amdhsa_workgroup_processor_mode 1
		.amdhsa_memory_ordered 1
		.amdhsa_forward_progress 0
		.amdhsa_shared_vgpr_count 0
		.amdhsa_exception_fp_ieee_invalid_op 0
		.amdhsa_exception_fp_denorm_src 0
		.amdhsa_exception_fp_ieee_div_zero 0
		.amdhsa_exception_fp_ieee_overflow 0
		.amdhsa_exception_fp_ieee_underflow 0
		.amdhsa_exception_fp_ieee_inexact 0
		.amdhsa_exception_int_div_zero 0
	.end_amdhsa_kernel
	.section	.text._ZN7rocprim17ROCPRIM_400000_NS6detail17trampoline_kernelINS0_13select_configILj256ELj13ELNS0_17block_load_methodE3ELS4_3ELS4_3ELNS0_20block_scan_algorithmE0ELj4294967295EEENS1_25partition_config_selectorILNS1_17partition_subalgoE3EjNS0_10empty_typeEbEEZZNS1_14partition_implILS8_3ELb0ES6_jNS0_17counting_iteratorIjlEEPS9_SE_NS0_5tupleIJPjSE_EEENSF_IJSE_SE_EEES9_SG_JZNS1_25segmented_radix_sort_implINS0_14default_configELb0EPKlPlSM_SN_N2at6native12_GLOBAL__N_18offset_tEEE10hipError_tPvRmT1_PNSt15iterator_traitsISV_E10value_typeET2_T3_PNSW_IS11_E10value_typeET4_jRbjT5_S17_jjP12ihipStream_tbEUljE_EEESS_ST_SU_S11_S15_S17_T6_T7_T9_mT8_S19_bDpT10_ENKUlT_T0_E_clISt17integral_constantIbLb1EES1L_IbLb0EEEEDaS1H_S1I_EUlS1H_E_NS1_11comp_targetILNS1_3genE3ELNS1_11target_archE908ELNS1_3gpuE7ELNS1_3repE0EEENS1_30default_config_static_selectorELNS0_4arch9wavefront6targetE0EEEvSV_,"axG",@progbits,_ZN7rocprim17ROCPRIM_400000_NS6detail17trampoline_kernelINS0_13select_configILj256ELj13ELNS0_17block_load_methodE3ELS4_3ELS4_3ELNS0_20block_scan_algorithmE0ELj4294967295EEENS1_25partition_config_selectorILNS1_17partition_subalgoE3EjNS0_10empty_typeEbEEZZNS1_14partition_implILS8_3ELb0ES6_jNS0_17counting_iteratorIjlEEPS9_SE_NS0_5tupleIJPjSE_EEENSF_IJSE_SE_EEES9_SG_JZNS1_25segmented_radix_sort_implINS0_14default_configELb0EPKlPlSM_SN_N2at6native12_GLOBAL__N_18offset_tEEE10hipError_tPvRmT1_PNSt15iterator_traitsISV_E10value_typeET2_T3_PNSW_IS11_E10value_typeET4_jRbjT5_S17_jjP12ihipStream_tbEUljE_EEESS_ST_SU_S11_S15_S17_T6_T7_T9_mT8_S19_bDpT10_ENKUlT_T0_E_clISt17integral_constantIbLb1EES1L_IbLb0EEEEDaS1H_S1I_EUlS1H_E_NS1_11comp_targetILNS1_3genE3ELNS1_11target_archE908ELNS1_3gpuE7ELNS1_3repE0EEENS1_30default_config_static_selectorELNS0_4arch9wavefront6targetE0EEEvSV_,comdat
.Lfunc_end794:
	.size	_ZN7rocprim17ROCPRIM_400000_NS6detail17trampoline_kernelINS0_13select_configILj256ELj13ELNS0_17block_load_methodE3ELS4_3ELS4_3ELNS0_20block_scan_algorithmE0ELj4294967295EEENS1_25partition_config_selectorILNS1_17partition_subalgoE3EjNS0_10empty_typeEbEEZZNS1_14partition_implILS8_3ELb0ES6_jNS0_17counting_iteratorIjlEEPS9_SE_NS0_5tupleIJPjSE_EEENSF_IJSE_SE_EEES9_SG_JZNS1_25segmented_radix_sort_implINS0_14default_configELb0EPKlPlSM_SN_N2at6native12_GLOBAL__N_18offset_tEEE10hipError_tPvRmT1_PNSt15iterator_traitsISV_E10value_typeET2_T3_PNSW_IS11_E10value_typeET4_jRbjT5_S17_jjP12ihipStream_tbEUljE_EEESS_ST_SU_S11_S15_S17_T6_T7_T9_mT8_S19_bDpT10_ENKUlT_T0_E_clISt17integral_constantIbLb1EES1L_IbLb0EEEEDaS1H_S1I_EUlS1H_E_NS1_11comp_targetILNS1_3genE3ELNS1_11target_archE908ELNS1_3gpuE7ELNS1_3repE0EEENS1_30default_config_static_selectorELNS0_4arch9wavefront6targetE0EEEvSV_, .Lfunc_end794-_ZN7rocprim17ROCPRIM_400000_NS6detail17trampoline_kernelINS0_13select_configILj256ELj13ELNS0_17block_load_methodE3ELS4_3ELS4_3ELNS0_20block_scan_algorithmE0ELj4294967295EEENS1_25partition_config_selectorILNS1_17partition_subalgoE3EjNS0_10empty_typeEbEEZZNS1_14partition_implILS8_3ELb0ES6_jNS0_17counting_iteratorIjlEEPS9_SE_NS0_5tupleIJPjSE_EEENSF_IJSE_SE_EEES9_SG_JZNS1_25segmented_radix_sort_implINS0_14default_configELb0EPKlPlSM_SN_N2at6native12_GLOBAL__N_18offset_tEEE10hipError_tPvRmT1_PNSt15iterator_traitsISV_E10value_typeET2_T3_PNSW_IS11_E10value_typeET4_jRbjT5_S17_jjP12ihipStream_tbEUljE_EEESS_ST_SU_S11_S15_S17_T6_T7_T9_mT8_S19_bDpT10_ENKUlT_T0_E_clISt17integral_constantIbLb1EES1L_IbLb0EEEEDaS1H_S1I_EUlS1H_E_NS1_11comp_targetILNS1_3genE3ELNS1_11target_archE908ELNS1_3gpuE7ELNS1_3repE0EEENS1_30default_config_static_selectorELNS0_4arch9wavefront6targetE0EEEvSV_
                                        ; -- End function
	.section	.AMDGPU.csdata,"",@progbits
; Kernel info:
; codeLenInByte = 0
; NumSgprs: 0
; NumVgprs: 0
; ScratchSize: 0
; MemoryBound: 0
; FloatMode: 240
; IeeeMode: 1
; LDSByteSize: 0 bytes/workgroup (compile time only)
; SGPRBlocks: 0
; VGPRBlocks: 0
; NumSGPRsForWavesPerEU: 1
; NumVGPRsForWavesPerEU: 1
; Occupancy: 16
; WaveLimiterHint : 0
; COMPUTE_PGM_RSRC2:SCRATCH_EN: 0
; COMPUTE_PGM_RSRC2:USER_SGPR: 15
; COMPUTE_PGM_RSRC2:TRAP_HANDLER: 0
; COMPUTE_PGM_RSRC2:TGID_X_EN: 1
; COMPUTE_PGM_RSRC2:TGID_Y_EN: 0
; COMPUTE_PGM_RSRC2:TGID_Z_EN: 0
; COMPUTE_PGM_RSRC2:TIDIG_COMP_CNT: 0
	.section	.text._ZN7rocprim17ROCPRIM_400000_NS6detail17trampoline_kernelINS0_13select_configILj256ELj13ELNS0_17block_load_methodE3ELS4_3ELS4_3ELNS0_20block_scan_algorithmE0ELj4294967295EEENS1_25partition_config_selectorILNS1_17partition_subalgoE3EjNS0_10empty_typeEbEEZZNS1_14partition_implILS8_3ELb0ES6_jNS0_17counting_iteratorIjlEEPS9_SE_NS0_5tupleIJPjSE_EEENSF_IJSE_SE_EEES9_SG_JZNS1_25segmented_radix_sort_implINS0_14default_configELb0EPKlPlSM_SN_N2at6native12_GLOBAL__N_18offset_tEEE10hipError_tPvRmT1_PNSt15iterator_traitsISV_E10value_typeET2_T3_PNSW_IS11_E10value_typeET4_jRbjT5_S17_jjP12ihipStream_tbEUljE_EEESS_ST_SU_S11_S15_S17_T6_T7_T9_mT8_S19_bDpT10_ENKUlT_T0_E_clISt17integral_constantIbLb1EES1L_IbLb0EEEEDaS1H_S1I_EUlS1H_E_NS1_11comp_targetILNS1_3genE2ELNS1_11target_archE906ELNS1_3gpuE6ELNS1_3repE0EEENS1_30default_config_static_selectorELNS0_4arch9wavefront6targetE0EEEvSV_,"axG",@progbits,_ZN7rocprim17ROCPRIM_400000_NS6detail17trampoline_kernelINS0_13select_configILj256ELj13ELNS0_17block_load_methodE3ELS4_3ELS4_3ELNS0_20block_scan_algorithmE0ELj4294967295EEENS1_25partition_config_selectorILNS1_17partition_subalgoE3EjNS0_10empty_typeEbEEZZNS1_14partition_implILS8_3ELb0ES6_jNS0_17counting_iteratorIjlEEPS9_SE_NS0_5tupleIJPjSE_EEENSF_IJSE_SE_EEES9_SG_JZNS1_25segmented_radix_sort_implINS0_14default_configELb0EPKlPlSM_SN_N2at6native12_GLOBAL__N_18offset_tEEE10hipError_tPvRmT1_PNSt15iterator_traitsISV_E10value_typeET2_T3_PNSW_IS11_E10value_typeET4_jRbjT5_S17_jjP12ihipStream_tbEUljE_EEESS_ST_SU_S11_S15_S17_T6_T7_T9_mT8_S19_bDpT10_ENKUlT_T0_E_clISt17integral_constantIbLb1EES1L_IbLb0EEEEDaS1H_S1I_EUlS1H_E_NS1_11comp_targetILNS1_3genE2ELNS1_11target_archE906ELNS1_3gpuE6ELNS1_3repE0EEENS1_30default_config_static_selectorELNS0_4arch9wavefront6targetE0EEEvSV_,comdat
	.globl	_ZN7rocprim17ROCPRIM_400000_NS6detail17trampoline_kernelINS0_13select_configILj256ELj13ELNS0_17block_load_methodE3ELS4_3ELS4_3ELNS0_20block_scan_algorithmE0ELj4294967295EEENS1_25partition_config_selectorILNS1_17partition_subalgoE3EjNS0_10empty_typeEbEEZZNS1_14partition_implILS8_3ELb0ES6_jNS0_17counting_iteratorIjlEEPS9_SE_NS0_5tupleIJPjSE_EEENSF_IJSE_SE_EEES9_SG_JZNS1_25segmented_radix_sort_implINS0_14default_configELb0EPKlPlSM_SN_N2at6native12_GLOBAL__N_18offset_tEEE10hipError_tPvRmT1_PNSt15iterator_traitsISV_E10value_typeET2_T3_PNSW_IS11_E10value_typeET4_jRbjT5_S17_jjP12ihipStream_tbEUljE_EEESS_ST_SU_S11_S15_S17_T6_T7_T9_mT8_S19_bDpT10_ENKUlT_T0_E_clISt17integral_constantIbLb1EES1L_IbLb0EEEEDaS1H_S1I_EUlS1H_E_NS1_11comp_targetILNS1_3genE2ELNS1_11target_archE906ELNS1_3gpuE6ELNS1_3repE0EEENS1_30default_config_static_selectorELNS0_4arch9wavefront6targetE0EEEvSV_ ; -- Begin function _ZN7rocprim17ROCPRIM_400000_NS6detail17trampoline_kernelINS0_13select_configILj256ELj13ELNS0_17block_load_methodE3ELS4_3ELS4_3ELNS0_20block_scan_algorithmE0ELj4294967295EEENS1_25partition_config_selectorILNS1_17partition_subalgoE3EjNS0_10empty_typeEbEEZZNS1_14partition_implILS8_3ELb0ES6_jNS0_17counting_iteratorIjlEEPS9_SE_NS0_5tupleIJPjSE_EEENSF_IJSE_SE_EEES9_SG_JZNS1_25segmented_radix_sort_implINS0_14default_configELb0EPKlPlSM_SN_N2at6native12_GLOBAL__N_18offset_tEEE10hipError_tPvRmT1_PNSt15iterator_traitsISV_E10value_typeET2_T3_PNSW_IS11_E10value_typeET4_jRbjT5_S17_jjP12ihipStream_tbEUljE_EEESS_ST_SU_S11_S15_S17_T6_T7_T9_mT8_S19_bDpT10_ENKUlT_T0_E_clISt17integral_constantIbLb1EES1L_IbLb0EEEEDaS1H_S1I_EUlS1H_E_NS1_11comp_targetILNS1_3genE2ELNS1_11target_archE906ELNS1_3gpuE6ELNS1_3repE0EEENS1_30default_config_static_selectorELNS0_4arch9wavefront6targetE0EEEvSV_
	.p2align	8
	.type	_ZN7rocprim17ROCPRIM_400000_NS6detail17trampoline_kernelINS0_13select_configILj256ELj13ELNS0_17block_load_methodE3ELS4_3ELS4_3ELNS0_20block_scan_algorithmE0ELj4294967295EEENS1_25partition_config_selectorILNS1_17partition_subalgoE3EjNS0_10empty_typeEbEEZZNS1_14partition_implILS8_3ELb0ES6_jNS0_17counting_iteratorIjlEEPS9_SE_NS0_5tupleIJPjSE_EEENSF_IJSE_SE_EEES9_SG_JZNS1_25segmented_radix_sort_implINS0_14default_configELb0EPKlPlSM_SN_N2at6native12_GLOBAL__N_18offset_tEEE10hipError_tPvRmT1_PNSt15iterator_traitsISV_E10value_typeET2_T3_PNSW_IS11_E10value_typeET4_jRbjT5_S17_jjP12ihipStream_tbEUljE_EEESS_ST_SU_S11_S15_S17_T6_T7_T9_mT8_S19_bDpT10_ENKUlT_T0_E_clISt17integral_constantIbLb1EES1L_IbLb0EEEEDaS1H_S1I_EUlS1H_E_NS1_11comp_targetILNS1_3genE2ELNS1_11target_archE906ELNS1_3gpuE6ELNS1_3repE0EEENS1_30default_config_static_selectorELNS0_4arch9wavefront6targetE0EEEvSV_,@function
_ZN7rocprim17ROCPRIM_400000_NS6detail17trampoline_kernelINS0_13select_configILj256ELj13ELNS0_17block_load_methodE3ELS4_3ELS4_3ELNS0_20block_scan_algorithmE0ELj4294967295EEENS1_25partition_config_selectorILNS1_17partition_subalgoE3EjNS0_10empty_typeEbEEZZNS1_14partition_implILS8_3ELb0ES6_jNS0_17counting_iteratorIjlEEPS9_SE_NS0_5tupleIJPjSE_EEENSF_IJSE_SE_EEES9_SG_JZNS1_25segmented_radix_sort_implINS0_14default_configELb0EPKlPlSM_SN_N2at6native12_GLOBAL__N_18offset_tEEE10hipError_tPvRmT1_PNSt15iterator_traitsISV_E10value_typeET2_T3_PNSW_IS11_E10value_typeET4_jRbjT5_S17_jjP12ihipStream_tbEUljE_EEESS_ST_SU_S11_S15_S17_T6_T7_T9_mT8_S19_bDpT10_ENKUlT_T0_E_clISt17integral_constantIbLb1EES1L_IbLb0EEEEDaS1H_S1I_EUlS1H_E_NS1_11comp_targetILNS1_3genE2ELNS1_11target_archE906ELNS1_3gpuE6ELNS1_3repE0EEENS1_30default_config_static_selectorELNS0_4arch9wavefront6targetE0EEEvSV_: ; @_ZN7rocprim17ROCPRIM_400000_NS6detail17trampoline_kernelINS0_13select_configILj256ELj13ELNS0_17block_load_methodE3ELS4_3ELS4_3ELNS0_20block_scan_algorithmE0ELj4294967295EEENS1_25partition_config_selectorILNS1_17partition_subalgoE3EjNS0_10empty_typeEbEEZZNS1_14partition_implILS8_3ELb0ES6_jNS0_17counting_iteratorIjlEEPS9_SE_NS0_5tupleIJPjSE_EEENSF_IJSE_SE_EEES9_SG_JZNS1_25segmented_radix_sort_implINS0_14default_configELb0EPKlPlSM_SN_N2at6native12_GLOBAL__N_18offset_tEEE10hipError_tPvRmT1_PNSt15iterator_traitsISV_E10value_typeET2_T3_PNSW_IS11_E10value_typeET4_jRbjT5_S17_jjP12ihipStream_tbEUljE_EEESS_ST_SU_S11_S15_S17_T6_T7_T9_mT8_S19_bDpT10_ENKUlT_T0_E_clISt17integral_constantIbLb1EES1L_IbLb0EEEEDaS1H_S1I_EUlS1H_E_NS1_11comp_targetILNS1_3genE2ELNS1_11target_archE906ELNS1_3gpuE6ELNS1_3repE0EEENS1_30default_config_static_selectorELNS0_4arch9wavefront6targetE0EEEvSV_
; %bb.0:
	.section	.rodata,"a",@progbits
	.p2align	6, 0x0
	.amdhsa_kernel _ZN7rocprim17ROCPRIM_400000_NS6detail17trampoline_kernelINS0_13select_configILj256ELj13ELNS0_17block_load_methodE3ELS4_3ELS4_3ELNS0_20block_scan_algorithmE0ELj4294967295EEENS1_25partition_config_selectorILNS1_17partition_subalgoE3EjNS0_10empty_typeEbEEZZNS1_14partition_implILS8_3ELb0ES6_jNS0_17counting_iteratorIjlEEPS9_SE_NS0_5tupleIJPjSE_EEENSF_IJSE_SE_EEES9_SG_JZNS1_25segmented_radix_sort_implINS0_14default_configELb0EPKlPlSM_SN_N2at6native12_GLOBAL__N_18offset_tEEE10hipError_tPvRmT1_PNSt15iterator_traitsISV_E10value_typeET2_T3_PNSW_IS11_E10value_typeET4_jRbjT5_S17_jjP12ihipStream_tbEUljE_EEESS_ST_SU_S11_S15_S17_T6_T7_T9_mT8_S19_bDpT10_ENKUlT_T0_E_clISt17integral_constantIbLb1EES1L_IbLb0EEEEDaS1H_S1I_EUlS1H_E_NS1_11comp_targetILNS1_3genE2ELNS1_11target_archE906ELNS1_3gpuE6ELNS1_3repE0EEENS1_30default_config_static_selectorELNS0_4arch9wavefront6targetE0EEEvSV_
		.amdhsa_group_segment_fixed_size 0
		.amdhsa_private_segment_fixed_size 0
		.amdhsa_kernarg_size 144
		.amdhsa_user_sgpr_count 15
		.amdhsa_user_sgpr_dispatch_ptr 0
		.amdhsa_user_sgpr_queue_ptr 0
		.amdhsa_user_sgpr_kernarg_segment_ptr 1
		.amdhsa_user_sgpr_dispatch_id 0
		.amdhsa_user_sgpr_private_segment_size 0
		.amdhsa_wavefront_size32 1
		.amdhsa_uses_dynamic_stack 0
		.amdhsa_enable_private_segment 0
		.amdhsa_system_sgpr_workgroup_id_x 1
		.amdhsa_system_sgpr_workgroup_id_y 0
		.amdhsa_system_sgpr_workgroup_id_z 0
		.amdhsa_system_sgpr_workgroup_info 0
		.amdhsa_system_vgpr_workitem_id 0
		.amdhsa_next_free_vgpr 1
		.amdhsa_next_free_sgpr 1
		.amdhsa_reserve_vcc 0
		.amdhsa_float_round_mode_32 0
		.amdhsa_float_round_mode_16_64 0
		.amdhsa_float_denorm_mode_32 3
		.amdhsa_float_denorm_mode_16_64 3
		.amdhsa_dx10_clamp 1
		.amdhsa_ieee_mode 1
		.amdhsa_fp16_overflow 0
		.amdhsa_workgroup_processor_mode 1
		.amdhsa_memory_ordered 1
		.amdhsa_forward_progress 0
		.amdhsa_shared_vgpr_count 0
		.amdhsa_exception_fp_ieee_invalid_op 0
		.amdhsa_exception_fp_denorm_src 0
		.amdhsa_exception_fp_ieee_div_zero 0
		.amdhsa_exception_fp_ieee_overflow 0
		.amdhsa_exception_fp_ieee_underflow 0
		.amdhsa_exception_fp_ieee_inexact 0
		.amdhsa_exception_int_div_zero 0
	.end_amdhsa_kernel
	.section	.text._ZN7rocprim17ROCPRIM_400000_NS6detail17trampoline_kernelINS0_13select_configILj256ELj13ELNS0_17block_load_methodE3ELS4_3ELS4_3ELNS0_20block_scan_algorithmE0ELj4294967295EEENS1_25partition_config_selectorILNS1_17partition_subalgoE3EjNS0_10empty_typeEbEEZZNS1_14partition_implILS8_3ELb0ES6_jNS0_17counting_iteratorIjlEEPS9_SE_NS0_5tupleIJPjSE_EEENSF_IJSE_SE_EEES9_SG_JZNS1_25segmented_radix_sort_implINS0_14default_configELb0EPKlPlSM_SN_N2at6native12_GLOBAL__N_18offset_tEEE10hipError_tPvRmT1_PNSt15iterator_traitsISV_E10value_typeET2_T3_PNSW_IS11_E10value_typeET4_jRbjT5_S17_jjP12ihipStream_tbEUljE_EEESS_ST_SU_S11_S15_S17_T6_T7_T9_mT8_S19_bDpT10_ENKUlT_T0_E_clISt17integral_constantIbLb1EES1L_IbLb0EEEEDaS1H_S1I_EUlS1H_E_NS1_11comp_targetILNS1_3genE2ELNS1_11target_archE906ELNS1_3gpuE6ELNS1_3repE0EEENS1_30default_config_static_selectorELNS0_4arch9wavefront6targetE0EEEvSV_,"axG",@progbits,_ZN7rocprim17ROCPRIM_400000_NS6detail17trampoline_kernelINS0_13select_configILj256ELj13ELNS0_17block_load_methodE3ELS4_3ELS4_3ELNS0_20block_scan_algorithmE0ELj4294967295EEENS1_25partition_config_selectorILNS1_17partition_subalgoE3EjNS0_10empty_typeEbEEZZNS1_14partition_implILS8_3ELb0ES6_jNS0_17counting_iteratorIjlEEPS9_SE_NS0_5tupleIJPjSE_EEENSF_IJSE_SE_EEES9_SG_JZNS1_25segmented_radix_sort_implINS0_14default_configELb0EPKlPlSM_SN_N2at6native12_GLOBAL__N_18offset_tEEE10hipError_tPvRmT1_PNSt15iterator_traitsISV_E10value_typeET2_T3_PNSW_IS11_E10value_typeET4_jRbjT5_S17_jjP12ihipStream_tbEUljE_EEESS_ST_SU_S11_S15_S17_T6_T7_T9_mT8_S19_bDpT10_ENKUlT_T0_E_clISt17integral_constantIbLb1EES1L_IbLb0EEEEDaS1H_S1I_EUlS1H_E_NS1_11comp_targetILNS1_3genE2ELNS1_11target_archE906ELNS1_3gpuE6ELNS1_3repE0EEENS1_30default_config_static_selectorELNS0_4arch9wavefront6targetE0EEEvSV_,comdat
.Lfunc_end795:
	.size	_ZN7rocprim17ROCPRIM_400000_NS6detail17trampoline_kernelINS0_13select_configILj256ELj13ELNS0_17block_load_methodE3ELS4_3ELS4_3ELNS0_20block_scan_algorithmE0ELj4294967295EEENS1_25partition_config_selectorILNS1_17partition_subalgoE3EjNS0_10empty_typeEbEEZZNS1_14partition_implILS8_3ELb0ES6_jNS0_17counting_iteratorIjlEEPS9_SE_NS0_5tupleIJPjSE_EEENSF_IJSE_SE_EEES9_SG_JZNS1_25segmented_radix_sort_implINS0_14default_configELb0EPKlPlSM_SN_N2at6native12_GLOBAL__N_18offset_tEEE10hipError_tPvRmT1_PNSt15iterator_traitsISV_E10value_typeET2_T3_PNSW_IS11_E10value_typeET4_jRbjT5_S17_jjP12ihipStream_tbEUljE_EEESS_ST_SU_S11_S15_S17_T6_T7_T9_mT8_S19_bDpT10_ENKUlT_T0_E_clISt17integral_constantIbLb1EES1L_IbLb0EEEEDaS1H_S1I_EUlS1H_E_NS1_11comp_targetILNS1_3genE2ELNS1_11target_archE906ELNS1_3gpuE6ELNS1_3repE0EEENS1_30default_config_static_selectorELNS0_4arch9wavefront6targetE0EEEvSV_, .Lfunc_end795-_ZN7rocprim17ROCPRIM_400000_NS6detail17trampoline_kernelINS0_13select_configILj256ELj13ELNS0_17block_load_methodE3ELS4_3ELS4_3ELNS0_20block_scan_algorithmE0ELj4294967295EEENS1_25partition_config_selectorILNS1_17partition_subalgoE3EjNS0_10empty_typeEbEEZZNS1_14partition_implILS8_3ELb0ES6_jNS0_17counting_iteratorIjlEEPS9_SE_NS0_5tupleIJPjSE_EEENSF_IJSE_SE_EEES9_SG_JZNS1_25segmented_radix_sort_implINS0_14default_configELb0EPKlPlSM_SN_N2at6native12_GLOBAL__N_18offset_tEEE10hipError_tPvRmT1_PNSt15iterator_traitsISV_E10value_typeET2_T3_PNSW_IS11_E10value_typeET4_jRbjT5_S17_jjP12ihipStream_tbEUljE_EEESS_ST_SU_S11_S15_S17_T6_T7_T9_mT8_S19_bDpT10_ENKUlT_T0_E_clISt17integral_constantIbLb1EES1L_IbLb0EEEEDaS1H_S1I_EUlS1H_E_NS1_11comp_targetILNS1_3genE2ELNS1_11target_archE906ELNS1_3gpuE6ELNS1_3repE0EEENS1_30default_config_static_selectorELNS0_4arch9wavefront6targetE0EEEvSV_
                                        ; -- End function
	.section	.AMDGPU.csdata,"",@progbits
; Kernel info:
; codeLenInByte = 0
; NumSgprs: 0
; NumVgprs: 0
; ScratchSize: 0
; MemoryBound: 0
; FloatMode: 240
; IeeeMode: 1
; LDSByteSize: 0 bytes/workgroup (compile time only)
; SGPRBlocks: 0
; VGPRBlocks: 0
; NumSGPRsForWavesPerEU: 1
; NumVGPRsForWavesPerEU: 1
; Occupancy: 16
; WaveLimiterHint : 0
; COMPUTE_PGM_RSRC2:SCRATCH_EN: 0
; COMPUTE_PGM_RSRC2:USER_SGPR: 15
; COMPUTE_PGM_RSRC2:TRAP_HANDLER: 0
; COMPUTE_PGM_RSRC2:TGID_X_EN: 1
; COMPUTE_PGM_RSRC2:TGID_Y_EN: 0
; COMPUTE_PGM_RSRC2:TGID_Z_EN: 0
; COMPUTE_PGM_RSRC2:TIDIG_COMP_CNT: 0
	.section	.text._ZN7rocprim17ROCPRIM_400000_NS6detail17trampoline_kernelINS0_13select_configILj256ELj13ELNS0_17block_load_methodE3ELS4_3ELS4_3ELNS0_20block_scan_algorithmE0ELj4294967295EEENS1_25partition_config_selectorILNS1_17partition_subalgoE3EjNS0_10empty_typeEbEEZZNS1_14partition_implILS8_3ELb0ES6_jNS0_17counting_iteratorIjlEEPS9_SE_NS0_5tupleIJPjSE_EEENSF_IJSE_SE_EEES9_SG_JZNS1_25segmented_radix_sort_implINS0_14default_configELb0EPKlPlSM_SN_N2at6native12_GLOBAL__N_18offset_tEEE10hipError_tPvRmT1_PNSt15iterator_traitsISV_E10value_typeET2_T3_PNSW_IS11_E10value_typeET4_jRbjT5_S17_jjP12ihipStream_tbEUljE_EEESS_ST_SU_S11_S15_S17_T6_T7_T9_mT8_S19_bDpT10_ENKUlT_T0_E_clISt17integral_constantIbLb1EES1L_IbLb0EEEEDaS1H_S1I_EUlS1H_E_NS1_11comp_targetILNS1_3genE10ELNS1_11target_archE1200ELNS1_3gpuE4ELNS1_3repE0EEENS1_30default_config_static_selectorELNS0_4arch9wavefront6targetE0EEEvSV_,"axG",@progbits,_ZN7rocprim17ROCPRIM_400000_NS6detail17trampoline_kernelINS0_13select_configILj256ELj13ELNS0_17block_load_methodE3ELS4_3ELS4_3ELNS0_20block_scan_algorithmE0ELj4294967295EEENS1_25partition_config_selectorILNS1_17partition_subalgoE3EjNS0_10empty_typeEbEEZZNS1_14partition_implILS8_3ELb0ES6_jNS0_17counting_iteratorIjlEEPS9_SE_NS0_5tupleIJPjSE_EEENSF_IJSE_SE_EEES9_SG_JZNS1_25segmented_radix_sort_implINS0_14default_configELb0EPKlPlSM_SN_N2at6native12_GLOBAL__N_18offset_tEEE10hipError_tPvRmT1_PNSt15iterator_traitsISV_E10value_typeET2_T3_PNSW_IS11_E10value_typeET4_jRbjT5_S17_jjP12ihipStream_tbEUljE_EEESS_ST_SU_S11_S15_S17_T6_T7_T9_mT8_S19_bDpT10_ENKUlT_T0_E_clISt17integral_constantIbLb1EES1L_IbLb0EEEEDaS1H_S1I_EUlS1H_E_NS1_11comp_targetILNS1_3genE10ELNS1_11target_archE1200ELNS1_3gpuE4ELNS1_3repE0EEENS1_30default_config_static_selectorELNS0_4arch9wavefront6targetE0EEEvSV_,comdat
	.globl	_ZN7rocprim17ROCPRIM_400000_NS6detail17trampoline_kernelINS0_13select_configILj256ELj13ELNS0_17block_load_methodE3ELS4_3ELS4_3ELNS0_20block_scan_algorithmE0ELj4294967295EEENS1_25partition_config_selectorILNS1_17partition_subalgoE3EjNS0_10empty_typeEbEEZZNS1_14partition_implILS8_3ELb0ES6_jNS0_17counting_iteratorIjlEEPS9_SE_NS0_5tupleIJPjSE_EEENSF_IJSE_SE_EEES9_SG_JZNS1_25segmented_radix_sort_implINS0_14default_configELb0EPKlPlSM_SN_N2at6native12_GLOBAL__N_18offset_tEEE10hipError_tPvRmT1_PNSt15iterator_traitsISV_E10value_typeET2_T3_PNSW_IS11_E10value_typeET4_jRbjT5_S17_jjP12ihipStream_tbEUljE_EEESS_ST_SU_S11_S15_S17_T6_T7_T9_mT8_S19_bDpT10_ENKUlT_T0_E_clISt17integral_constantIbLb1EES1L_IbLb0EEEEDaS1H_S1I_EUlS1H_E_NS1_11comp_targetILNS1_3genE10ELNS1_11target_archE1200ELNS1_3gpuE4ELNS1_3repE0EEENS1_30default_config_static_selectorELNS0_4arch9wavefront6targetE0EEEvSV_ ; -- Begin function _ZN7rocprim17ROCPRIM_400000_NS6detail17trampoline_kernelINS0_13select_configILj256ELj13ELNS0_17block_load_methodE3ELS4_3ELS4_3ELNS0_20block_scan_algorithmE0ELj4294967295EEENS1_25partition_config_selectorILNS1_17partition_subalgoE3EjNS0_10empty_typeEbEEZZNS1_14partition_implILS8_3ELb0ES6_jNS0_17counting_iteratorIjlEEPS9_SE_NS0_5tupleIJPjSE_EEENSF_IJSE_SE_EEES9_SG_JZNS1_25segmented_radix_sort_implINS0_14default_configELb0EPKlPlSM_SN_N2at6native12_GLOBAL__N_18offset_tEEE10hipError_tPvRmT1_PNSt15iterator_traitsISV_E10value_typeET2_T3_PNSW_IS11_E10value_typeET4_jRbjT5_S17_jjP12ihipStream_tbEUljE_EEESS_ST_SU_S11_S15_S17_T6_T7_T9_mT8_S19_bDpT10_ENKUlT_T0_E_clISt17integral_constantIbLb1EES1L_IbLb0EEEEDaS1H_S1I_EUlS1H_E_NS1_11comp_targetILNS1_3genE10ELNS1_11target_archE1200ELNS1_3gpuE4ELNS1_3repE0EEENS1_30default_config_static_selectorELNS0_4arch9wavefront6targetE0EEEvSV_
	.p2align	8
	.type	_ZN7rocprim17ROCPRIM_400000_NS6detail17trampoline_kernelINS0_13select_configILj256ELj13ELNS0_17block_load_methodE3ELS4_3ELS4_3ELNS0_20block_scan_algorithmE0ELj4294967295EEENS1_25partition_config_selectorILNS1_17partition_subalgoE3EjNS0_10empty_typeEbEEZZNS1_14partition_implILS8_3ELb0ES6_jNS0_17counting_iteratorIjlEEPS9_SE_NS0_5tupleIJPjSE_EEENSF_IJSE_SE_EEES9_SG_JZNS1_25segmented_radix_sort_implINS0_14default_configELb0EPKlPlSM_SN_N2at6native12_GLOBAL__N_18offset_tEEE10hipError_tPvRmT1_PNSt15iterator_traitsISV_E10value_typeET2_T3_PNSW_IS11_E10value_typeET4_jRbjT5_S17_jjP12ihipStream_tbEUljE_EEESS_ST_SU_S11_S15_S17_T6_T7_T9_mT8_S19_bDpT10_ENKUlT_T0_E_clISt17integral_constantIbLb1EES1L_IbLb0EEEEDaS1H_S1I_EUlS1H_E_NS1_11comp_targetILNS1_3genE10ELNS1_11target_archE1200ELNS1_3gpuE4ELNS1_3repE0EEENS1_30default_config_static_selectorELNS0_4arch9wavefront6targetE0EEEvSV_,@function
_ZN7rocprim17ROCPRIM_400000_NS6detail17trampoline_kernelINS0_13select_configILj256ELj13ELNS0_17block_load_methodE3ELS4_3ELS4_3ELNS0_20block_scan_algorithmE0ELj4294967295EEENS1_25partition_config_selectorILNS1_17partition_subalgoE3EjNS0_10empty_typeEbEEZZNS1_14partition_implILS8_3ELb0ES6_jNS0_17counting_iteratorIjlEEPS9_SE_NS0_5tupleIJPjSE_EEENSF_IJSE_SE_EEES9_SG_JZNS1_25segmented_radix_sort_implINS0_14default_configELb0EPKlPlSM_SN_N2at6native12_GLOBAL__N_18offset_tEEE10hipError_tPvRmT1_PNSt15iterator_traitsISV_E10value_typeET2_T3_PNSW_IS11_E10value_typeET4_jRbjT5_S17_jjP12ihipStream_tbEUljE_EEESS_ST_SU_S11_S15_S17_T6_T7_T9_mT8_S19_bDpT10_ENKUlT_T0_E_clISt17integral_constantIbLb1EES1L_IbLb0EEEEDaS1H_S1I_EUlS1H_E_NS1_11comp_targetILNS1_3genE10ELNS1_11target_archE1200ELNS1_3gpuE4ELNS1_3repE0EEENS1_30default_config_static_selectorELNS0_4arch9wavefront6targetE0EEEvSV_: ; @_ZN7rocprim17ROCPRIM_400000_NS6detail17trampoline_kernelINS0_13select_configILj256ELj13ELNS0_17block_load_methodE3ELS4_3ELS4_3ELNS0_20block_scan_algorithmE0ELj4294967295EEENS1_25partition_config_selectorILNS1_17partition_subalgoE3EjNS0_10empty_typeEbEEZZNS1_14partition_implILS8_3ELb0ES6_jNS0_17counting_iteratorIjlEEPS9_SE_NS0_5tupleIJPjSE_EEENSF_IJSE_SE_EEES9_SG_JZNS1_25segmented_radix_sort_implINS0_14default_configELb0EPKlPlSM_SN_N2at6native12_GLOBAL__N_18offset_tEEE10hipError_tPvRmT1_PNSt15iterator_traitsISV_E10value_typeET2_T3_PNSW_IS11_E10value_typeET4_jRbjT5_S17_jjP12ihipStream_tbEUljE_EEESS_ST_SU_S11_S15_S17_T6_T7_T9_mT8_S19_bDpT10_ENKUlT_T0_E_clISt17integral_constantIbLb1EES1L_IbLb0EEEEDaS1H_S1I_EUlS1H_E_NS1_11comp_targetILNS1_3genE10ELNS1_11target_archE1200ELNS1_3gpuE4ELNS1_3repE0EEENS1_30default_config_static_selectorELNS0_4arch9wavefront6targetE0EEEvSV_
; %bb.0:
	.section	.rodata,"a",@progbits
	.p2align	6, 0x0
	.amdhsa_kernel _ZN7rocprim17ROCPRIM_400000_NS6detail17trampoline_kernelINS0_13select_configILj256ELj13ELNS0_17block_load_methodE3ELS4_3ELS4_3ELNS0_20block_scan_algorithmE0ELj4294967295EEENS1_25partition_config_selectorILNS1_17partition_subalgoE3EjNS0_10empty_typeEbEEZZNS1_14partition_implILS8_3ELb0ES6_jNS0_17counting_iteratorIjlEEPS9_SE_NS0_5tupleIJPjSE_EEENSF_IJSE_SE_EEES9_SG_JZNS1_25segmented_radix_sort_implINS0_14default_configELb0EPKlPlSM_SN_N2at6native12_GLOBAL__N_18offset_tEEE10hipError_tPvRmT1_PNSt15iterator_traitsISV_E10value_typeET2_T3_PNSW_IS11_E10value_typeET4_jRbjT5_S17_jjP12ihipStream_tbEUljE_EEESS_ST_SU_S11_S15_S17_T6_T7_T9_mT8_S19_bDpT10_ENKUlT_T0_E_clISt17integral_constantIbLb1EES1L_IbLb0EEEEDaS1H_S1I_EUlS1H_E_NS1_11comp_targetILNS1_3genE10ELNS1_11target_archE1200ELNS1_3gpuE4ELNS1_3repE0EEENS1_30default_config_static_selectorELNS0_4arch9wavefront6targetE0EEEvSV_
		.amdhsa_group_segment_fixed_size 0
		.amdhsa_private_segment_fixed_size 0
		.amdhsa_kernarg_size 144
		.amdhsa_user_sgpr_count 15
		.amdhsa_user_sgpr_dispatch_ptr 0
		.amdhsa_user_sgpr_queue_ptr 0
		.amdhsa_user_sgpr_kernarg_segment_ptr 1
		.amdhsa_user_sgpr_dispatch_id 0
		.amdhsa_user_sgpr_private_segment_size 0
		.amdhsa_wavefront_size32 1
		.amdhsa_uses_dynamic_stack 0
		.amdhsa_enable_private_segment 0
		.amdhsa_system_sgpr_workgroup_id_x 1
		.amdhsa_system_sgpr_workgroup_id_y 0
		.amdhsa_system_sgpr_workgroup_id_z 0
		.amdhsa_system_sgpr_workgroup_info 0
		.amdhsa_system_vgpr_workitem_id 0
		.amdhsa_next_free_vgpr 1
		.amdhsa_next_free_sgpr 1
		.amdhsa_reserve_vcc 0
		.amdhsa_float_round_mode_32 0
		.amdhsa_float_round_mode_16_64 0
		.amdhsa_float_denorm_mode_32 3
		.amdhsa_float_denorm_mode_16_64 3
		.amdhsa_dx10_clamp 1
		.amdhsa_ieee_mode 1
		.amdhsa_fp16_overflow 0
		.amdhsa_workgroup_processor_mode 1
		.amdhsa_memory_ordered 1
		.amdhsa_forward_progress 0
		.amdhsa_shared_vgpr_count 0
		.amdhsa_exception_fp_ieee_invalid_op 0
		.amdhsa_exception_fp_denorm_src 0
		.amdhsa_exception_fp_ieee_div_zero 0
		.amdhsa_exception_fp_ieee_overflow 0
		.amdhsa_exception_fp_ieee_underflow 0
		.amdhsa_exception_fp_ieee_inexact 0
		.amdhsa_exception_int_div_zero 0
	.end_amdhsa_kernel
	.section	.text._ZN7rocprim17ROCPRIM_400000_NS6detail17trampoline_kernelINS0_13select_configILj256ELj13ELNS0_17block_load_methodE3ELS4_3ELS4_3ELNS0_20block_scan_algorithmE0ELj4294967295EEENS1_25partition_config_selectorILNS1_17partition_subalgoE3EjNS0_10empty_typeEbEEZZNS1_14partition_implILS8_3ELb0ES6_jNS0_17counting_iteratorIjlEEPS9_SE_NS0_5tupleIJPjSE_EEENSF_IJSE_SE_EEES9_SG_JZNS1_25segmented_radix_sort_implINS0_14default_configELb0EPKlPlSM_SN_N2at6native12_GLOBAL__N_18offset_tEEE10hipError_tPvRmT1_PNSt15iterator_traitsISV_E10value_typeET2_T3_PNSW_IS11_E10value_typeET4_jRbjT5_S17_jjP12ihipStream_tbEUljE_EEESS_ST_SU_S11_S15_S17_T6_T7_T9_mT8_S19_bDpT10_ENKUlT_T0_E_clISt17integral_constantIbLb1EES1L_IbLb0EEEEDaS1H_S1I_EUlS1H_E_NS1_11comp_targetILNS1_3genE10ELNS1_11target_archE1200ELNS1_3gpuE4ELNS1_3repE0EEENS1_30default_config_static_selectorELNS0_4arch9wavefront6targetE0EEEvSV_,"axG",@progbits,_ZN7rocprim17ROCPRIM_400000_NS6detail17trampoline_kernelINS0_13select_configILj256ELj13ELNS0_17block_load_methodE3ELS4_3ELS4_3ELNS0_20block_scan_algorithmE0ELj4294967295EEENS1_25partition_config_selectorILNS1_17partition_subalgoE3EjNS0_10empty_typeEbEEZZNS1_14partition_implILS8_3ELb0ES6_jNS0_17counting_iteratorIjlEEPS9_SE_NS0_5tupleIJPjSE_EEENSF_IJSE_SE_EEES9_SG_JZNS1_25segmented_radix_sort_implINS0_14default_configELb0EPKlPlSM_SN_N2at6native12_GLOBAL__N_18offset_tEEE10hipError_tPvRmT1_PNSt15iterator_traitsISV_E10value_typeET2_T3_PNSW_IS11_E10value_typeET4_jRbjT5_S17_jjP12ihipStream_tbEUljE_EEESS_ST_SU_S11_S15_S17_T6_T7_T9_mT8_S19_bDpT10_ENKUlT_T0_E_clISt17integral_constantIbLb1EES1L_IbLb0EEEEDaS1H_S1I_EUlS1H_E_NS1_11comp_targetILNS1_3genE10ELNS1_11target_archE1200ELNS1_3gpuE4ELNS1_3repE0EEENS1_30default_config_static_selectorELNS0_4arch9wavefront6targetE0EEEvSV_,comdat
.Lfunc_end796:
	.size	_ZN7rocprim17ROCPRIM_400000_NS6detail17trampoline_kernelINS0_13select_configILj256ELj13ELNS0_17block_load_methodE3ELS4_3ELS4_3ELNS0_20block_scan_algorithmE0ELj4294967295EEENS1_25partition_config_selectorILNS1_17partition_subalgoE3EjNS0_10empty_typeEbEEZZNS1_14partition_implILS8_3ELb0ES6_jNS0_17counting_iteratorIjlEEPS9_SE_NS0_5tupleIJPjSE_EEENSF_IJSE_SE_EEES9_SG_JZNS1_25segmented_radix_sort_implINS0_14default_configELb0EPKlPlSM_SN_N2at6native12_GLOBAL__N_18offset_tEEE10hipError_tPvRmT1_PNSt15iterator_traitsISV_E10value_typeET2_T3_PNSW_IS11_E10value_typeET4_jRbjT5_S17_jjP12ihipStream_tbEUljE_EEESS_ST_SU_S11_S15_S17_T6_T7_T9_mT8_S19_bDpT10_ENKUlT_T0_E_clISt17integral_constantIbLb1EES1L_IbLb0EEEEDaS1H_S1I_EUlS1H_E_NS1_11comp_targetILNS1_3genE10ELNS1_11target_archE1200ELNS1_3gpuE4ELNS1_3repE0EEENS1_30default_config_static_selectorELNS0_4arch9wavefront6targetE0EEEvSV_, .Lfunc_end796-_ZN7rocprim17ROCPRIM_400000_NS6detail17trampoline_kernelINS0_13select_configILj256ELj13ELNS0_17block_load_methodE3ELS4_3ELS4_3ELNS0_20block_scan_algorithmE0ELj4294967295EEENS1_25partition_config_selectorILNS1_17partition_subalgoE3EjNS0_10empty_typeEbEEZZNS1_14partition_implILS8_3ELb0ES6_jNS0_17counting_iteratorIjlEEPS9_SE_NS0_5tupleIJPjSE_EEENSF_IJSE_SE_EEES9_SG_JZNS1_25segmented_radix_sort_implINS0_14default_configELb0EPKlPlSM_SN_N2at6native12_GLOBAL__N_18offset_tEEE10hipError_tPvRmT1_PNSt15iterator_traitsISV_E10value_typeET2_T3_PNSW_IS11_E10value_typeET4_jRbjT5_S17_jjP12ihipStream_tbEUljE_EEESS_ST_SU_S11_S15_S17_T6_T7_T9_mT8_S19_bDpT10_ENKUlT_T0_E_clISt17integral_constantIbLb1EES1L_IbLb0EEEEDaS1H_S1I_EUlS1H_E_NS1_11comp_targetILNS1_3genE10ELNS1_11target_archE1200ELNS1_3gpuE4ELNS1_3repE0EEENS1_30default_config_static_selectorELNS0_4arch9wavefront6targetE0EEEvSV_
                                        ; -- End function
	.section	.AMDGPU.csdata,"",@progbits
; Kernel info:
; codeLenInByte = 0
; NumSgprs: 0
; NumVgprs: 0
; ScratchSize: 0
; MemoryBound: 0
; FloatMode: 240
; IeeeMode: 1
; LDSByteSize: 0 bytes/workgroup (compile time only)
; SGPRBlocks: 0
; VGPRBlocks: 0
; NumSGPRsForWavesPerEU: 1
; NumVGPRsForWavesPerEU: 1
; Occupancy: 16
; WaveLimiterHint : 0
; COMPUTE_PGM_RSRC2:SCRATCH_EN: 0
; COMPUTE_PGM_RSRC2:USER_SGPR: 15
; COMPUTE_PGM_RSRC2:TRAP_HANDLER: 0
; COMPUTE_PGM_RSRC2:TGID_X_EN: 1
; COMPUTE_PGM_RSRC2:TGID_Y_EN: 0
; COMPUTE_PGM_RSRC2:TGID_Z_EN: 0
; COMPUTE_PGM_RSRC2:TIDIG_COMP_CNT: 0
	.section	.text._ZN7rocprim17ROCPRIM_400000_NS6detail17trampoline_kernelINS0_13select_configILj256ELj13ELNS0_17block_load_methodE3ELS4_3ELS4_3ELNS0_20block_scan_algorithmE0ELj4294967295EEENS1_25partition_config_selectorILNS1_17partition_subalgoE3EjNS0_10empty_typeEbEEZZNS1_14partition_implILS8_3ELb0ES6_jNS0_17counting_iteratorIjlEEPS9_SE_NS0_5tupleIJPjSE_EEENSF_IJSE_SE_EEES9_SG_JZNS1_25segmented_radix_sort_implINS0_14default_configELb0EPKlPlSM_SN_N2at6native12_GLOBAL__N_18offset_tEEE10hipError_tPvRmT1_PNSt15iterator_traitsISV_E10value_typeET2_T3_PNSW_IS11_E10value_typeET4_jRbjT5_S17_jjP12ihipStream_tbEUljE_EEESS_ST_SU_S11_S15_S17_T6_T7_T9_mT8_S19_bDpT10_ENKUlT_T0_E_clISt17integral_constantIbLb1EES1L_IbLb0EEEEDaS1H_S1I_EUlS1H_E_NS1_11comp_targetILNS1_3genE9ELNS1_11target_archE1100ELNS1_3gpuE3ELNS1_3repE0EEENS1_30default_config_static_selectorELNS0_4arch9wavefront6targetE0EEEvSV_,"axG",@progbits,_ZN7rocprim17ROCPRIM_400000_NS6detail17trampoline_kernelINS0_13select_configILj256ELj13ELNS0_17block_load_methodE3ELS4_3ELS4_3ELNS0_20block_scan_algorithmE0ELj4294967295EEENS1_25partition_config_selectorILNS1_17partition_subalgoE3EjNS0_10empty_typeEbEEZZNS1_14partition_implILS8_3ELb0ES6_jNS0_17counting_iteratorIjlEEPS9_SE_NS0_5tupleIJPjSE_EEENSF_IJSE_SE_EEES9_SG_JZNS1_25segmented_radix_sort_implINS0_14default_configELb0EPKlPlSM_SN_N2at6native12_GLOBAL__N_18offset_tEEE10hipError_tPvRmT1_PNSt15iterator_traitsISV_E10value_typeET2_T3_PNSW_IS11_E10value_typeET4_jRbjT5_S17_jjP12ihipStream_tbEUljE_EEESS_ST_SU_S11_S15_S17_T6_T7_T9_mT8_S19_bDpT10_ENKUlT_T0_E_clISt17integral_constantIbLb1EES1L_IbLb0EEEEDaS1H_S1I_EUlS1H_E_NS1_11comp_targetILNS1_3genE9ELNS1_11target_archE1100ELNS1_3gpuE3ELNS1_3repE0EEENS1_30default_config_static_selectorELNS0_4arch9wavefront6targetE0EEEvSV_,comdat
	.globl	_ZN7rocprim17ROCPRIM_400000_NS6detail17trampoline_kernelINS0_13select_configILj256ELj13ELNS0_17block_load_methodE3ELS4_3ELS4_3ELNS0_20block_scan_algorithmE0ELj4294967295EEENS1_25partition_config_selectorILNS1_17partition_subalgoE3EjNS0_10empty_typeEbEEZZNS1_14partition_implILS8_3ELb0ES6_jNS0_17counting_iteratorIjlEEPS9_SE_NS0_5tupleIJPjSE_EEENSF_IJSE_SE_EEES9_SG_JZNS1_25segmented_radix_sort_implINS0_14default_configELb0EPKlPlSM_SN_N2at6native12_GLOBAL__N_18offset_tEEE10hipError_tPvRmT1_PNSt15iterator_traitsISV_E10value_typeET2_T3_PNSW_IS11_E10value_typeET4_jRbjT5_S17_jjP12ihipStream_tbEUljE_EEESS_ST_SU_S11_S15_S17_T6_T7_T9_mT8_S19_bDpT10_ENKUlT_T0_E_clISt17integral_constantIbLb1EES1L_IbLb0EEEEDaS1H_S1I_EUlS1H_E_NS1_11comp_targetILNS1_3genE9ELNS1_11target_archE1100ELNS1_3gpuE3ELNS1_3repE0EEENS1_30default_config_static_selectorELNS0_4arch9wavefront6targetE0EEEvSV_ ; -- Begin function _ZN7rocprim17ROCPRIM_400000_NS6detail17trampoline_kernelINS0_13select_configILj256ELj13ELNS0_17block_load_methodE3ELS4_3ELS4_3ELNS0_20block_scan_algorithmE0ELj4294967295EEENS1_25partition_config_selectorILNS1_17partition_subalgoE3EjNS0_10empty_typeEbEEZZNS1_14partition_implILS8_3ELb0ES6_jNS0_17counting_iteratorIjlEEPS9_SE_NS0_5tupleIJPjSE_EEENSF_IJSE_SE_EEES9_SG_JZNS1_25segmented_radix_sort_implINS0_14default_configELb0EPKlPlSM_SN_N2at6native12_GLOBAL__N_18offset_tEEE10hipError_tPvRmT1_PNSt15iterator_traitsISV_E10value_typeET2_T3_PNSW_IS11_E10value_typeET4_jRbjT5_S17_jjP12ihipStream_tbEUljE_EEESS_ST_SU_S11_S15_S17_T6_T7_T9_mT8_S19_bDpT10_ENKUlT_T0_E_clISt17integral_constantIbLb1EES1L_IbLb0EEEEDaS1H_S1I_EUlS1H_E_NS1_11comp_targetILNS1_3genE9ELNS1_11target_archE1100ELNS1_3gpuE3ELNS1_3repE0EEENS1_30default_config_static_selectorELNS0_4arch9wavefront6targetE0EEEvSV_
	.p2align	8
	.type	_ZN7rocprim17ROCPRIM_400000_NS6detail17trampoline_kernelINS0_13select_configILj256ELj13ELNS0_17block_load_methodE3ELS4_3ELS4_3ELNS0_20block_scan_algorithmE0ELj4294967295EEENS1_25partition_config_selectorILNS1_17partition_subalgoE3EjNS0_10empty_typeEbEEZZNS1_14partition_implILS8_3ELb0ES6_jNS0_17counting_iteratorIjlEEPS9_SE_NS0_5tupleIJPjSE_EEENSF_IJSE_SE_EEES9_SG_JZNS1_25segmented_radix_sort_implINS0_14default_configELb0EPKlPlSM_SN_N2at6native12_GLOBAL__N_18offset_tEEE10hipError_tPvRmT1_PNSt15iterator_traitsISV_E10value_typeET2_T3_PNSW_IS11_E10value_typeET4_jRbjT5_S17_jjP12ihipStream_tbEUljE_EEESS_ST_SU_S11_S15_S17_T6_T7_T9_mT8_S19_bDpT10_ENKUlT_T0_E_clISt17integral_constantIbLb1EES1L_IbLb0EEEEDaS1H_S1I_EUlS1H_E_NS1_11comp_targetILNS1_3genE9ELNS1_11target_archE1100ELNS1_3gpuE3ELNS1_3repE0EEENS1_30default_config_static_selectorELNS0_4arch9wavefront6targetE0EEEvSV_,@function
_ZN7rocprim17ROCPRIM_400000_NS6detail17trampoline_kernelINS0_13select_configILj256ELj13ELNS0_17block_load_methodE3ELS4_3ELS4_3ELNS0_20block_scan_algorithmE0ELj4294967295EEENS1_25partition_config_selectorILNS1_17partition_subalgoE3EjNS0_10empty_typeEbEEZZNS1_14partition_implILS8_3ELb0ES6_jNS0_17counting_iteratorIjlEEPS9_SE_NS0_5tupleIJPjSE_EEENSF_IJSE_SE_EEES9_SG_JZNS1_25segmented_radix_sort_implINS0_14default_configELb0EPKlPlSM_SN_N2at6native12_GLOBAL__N_18offset_tEEE10hipError_tPvRmT1_PNSt15iterator_traitsISV_E10value_typeET2_T3_PNSW_IS11_E10value_typeET4_jRbjT5_S17_jjP12ihipStream_tbEUljE_EEESS_ST_SU_S11_S15_S17_T6_T7_T9_mT8_S19_bDpT10_ENKUlT_T0_E_clISt17integral_constantIbLb1EES1L_IbLb0EEEEDaS1H_S1I_EUlS1H_E_NS1_11comp_targetILNS1_3genE9ELNS1_11target_archE1100ELNS1_3gpuE3ELNS1_3repE0EEENS1_30default_config_static_selectorELNS0_4arch9wavefront6targetE0EEEvSV_: ; @_ZN7rocprim17ROCPRIM_400000_NS6detail17trampoline_kernelINS0_13select_configILj256ELj13ELNS0_17block_load_methodE3ELS4_3ELS4_3ELNS0_20block_scan_algorithmE0ELj4294967295EEENS1_25partition_config_selectorILNS1_17partition_subalgoE3EjNS0_10empty_typeEbEEZZNS1_14partition_implILS8_3ELb0ES6_jNS0_17counting_iteratorIjlEEPS9_SE_NS0_5tupleIJPjSE_EEENSF_IJSE_SE_EEES9_SG_JZNS1_25segmented_radix_sort_implINS0_14default_configELb0EPKlPlSM_SN_N2at6native12_GLOBAL__N_18offset_tEEE10hipError_tPvRmT1_PNSt15iterator_traitsISV_E10value_typeET2_T3_PNSW_IS11_E10value_typeET4_jRbjT5_S17_jjP12ihipStream_tbEUljE_EEESS_ST_SU_S11_S15_S17_T6_T7_T9_mT8_S19_bDpT10_ENKUlT_T0_E_clISt17integral_constantIbLb1EES1L_IbLb0EEEEDaS1H_S1I_EUlS1H_E_NS1_11comp_targetILNS1_3genE9ELNS1_11target_archE1100ELNS1_3gpuE3ELNS1_3repE0EEENS1_30default_config_static_selectorELNS0_4arch9wavefront6targetE0EEEvSV_
; %bb.0:
	s_clause 0x5
	s_load_b32 s2, s[0:1], 0x70
	s_load_b64 s[16:17], s[0:1], 0x10
	s_load_b64 s[12:13], s[0:1], 0x58
	s_load_b32 s18, s[0:1], 0x8
	s_load_b128 s[8:11], s[0:1], 0x48
	s_load_b128 s[4:7], s[0:1], 0x78
	s_mul_i32 s23, s15, 0xd00
	v_lshlrev_b32_e32 v30, 2, v0
	s_waitcnt lgkmcnt(0)
	s_mul_i32 s20, s2, 0xd00
	s_add_i32 s19, s2, -1
	s_add_u32 s2, s16, s20
	s_addc_u32 s3, s17, 0
	s_cmp_eq_u32 s15, s19
	v_cmp_lt_u64_e64 s3, s[2:3], s[12:13]
	s_cselect_b32 s14, -1, 0
	s_cmp_lg_u32 s15, s19
	s_cselect_b32 s21, -1, 0
	s_add_i32 s2, s18, s23
	s_delay_alu instid0(VALU_DEP_1)
	s_or_b32 s3, s21, s3
	s_add_i32 s18, s2, s16
	s_load_b32 s2, s[0:1], 0x88
	v_add_nc_u32_e32 v1, s18, v0
	s_load_b64 s[18:19], s[10:11], 0x0
	s_and_b32 vcc_lo, exec_lo, s3
	s_mov_b32 s10, -1
	s_delay_alu instid0(VALU_DEP_1)
	v_add_nc_u32_e32 v2, 0x100, v1
	v_add_nc_u32_e32 v3, 0x200, v1
	v_add_nc_u32_e32 v4, 0x300, v1
	v_add_nc_u32_e32 v5, 0x400, v1
	v_add_nc_u32_e32 v6, 0x500, v1
	v_add_nc_u32_e32 v7, 0x600, v1
	v_add_nc_u32_e32 v8, 0x700, v1
	v_add_nc_u32_e32 v9, 0x800, v1
	v_add_nc_u32_e32 v10, 0x900, v1
	v_add_nc_u32_e32 v11, 0xa00, v1
	v_add_nc_u32_e32 v12, 0xb00, v1
	v_add_nc_u32_e32 v13, 0xc00, v1
	s_cbranch_vccz .LBB797_2
; %bb.1:
	ds_store_2addr_stride64_b32 v30, v1, v2 offset1:4
	ds_store_2addr_stride64_b32 v30, v3, v4 offset0:8 offset1:12
	ds_store_2addr_stride64_b32 v30, v5, v6 offset0:16 offset1:20
	;; [unrolled: 1-line block ×5, first 2 shown]
	ds_store_b32 v30, v13 offset:12288
	s_waitcnt lgkmcnt(0)
	s_mov_b32 s10, 0
	s_barrier
.LBB797_2:
	s_and_not1_b32 vcc_lo, exec_lo, s10
	s_add_i32 s20, s20, s16
	s_cbranch_vccnz .LBB797_4
; %bb.3:
	ds_store_2addr_stride64_b32 v30, v1, v2 offset1:4
	ds_store_2addr_stride64_b32 v30, v3, v4 offset0:8 offset1:12
	ds_store_2addr_stride64_b32 v30, v5, v6 offset0:16 offset1:20
	;; [unrolled: 1-line block ×5, first 2 shown]
	ds_store_b32 v30, v13 offset:12288
	s_waitcnt lgkmcnt(0)
	s_barrier
.LBB797_4:
	v_mul_u32_u24_e32 v33, 13, v0
	s_waitcnt lgkmcnt(0)
	buffer_gl0_inv
	v_cndmask_b32_e64 v31, 0, 1, s3
	s_sub_i32 s22, s12, s20
	s_and_not1_b32 vcc_lo, exec_lo, s3
	v_lshlrev_b32_e32 v1, 2, v33
	ds_load_2addr_b32 v[28:29], v1 offset1:1
	ds_load_2addr_b32 v[26:27], v1 offset0:2 offset1:3
	ds_load_2addr_b32 v[24:25], v1 offset0:4 offset1:5
	;; [unrolled: 1-line block ×5, first 2 shown]
	ds_load_b32 v32, v1 offset:48
	s_waitcnt lgkmcnt(0)
	s_barrier
	buffer_gl0_inv
	s_cbranch_vccnz .LBB797_6
; %bb.5:
	v_add_nc_u32_e32 v1, s5, v28
	v_add_nc_u32_e32 v2, s7, v28
	;; [unrolled: 1-line block ×5, first 2 shown]
	v_mul_lo_u32 v1, v1, s4
	v_mul_lo_u32 v2, v2, s6
	;; [unrolled: 1-line block ×4, first 2 shown]
	v_add_nc_u32_e32 v6, s7, v26
	v_add_nc_u32_e32 v7, s5, v27
	;; [unrolled: 1-line block ×3, first 2 shown]
	v_mul_lo_u32 v5, v5, s4
	v_add_nc_u32_e32 v9, s5, v22
	v_sub_nc_u32_e32 v1, v1, v2
	v_mul_lo_u32 v2, v6, s6
	v_sub_nc_u32_e32 v3, v3, v4
	v_mul_lo_u32 v4, v7, s4
	v_mul_lo_u32 v6, v8, s6
	v_add_nc_u32_e32 v7, s5, v24
	v_cmp_lt_u32_e32 vcc_lo, s2, v1
	v_add_nc_u32_e32 v8, s5, v25
	v_add_nc_u32_e32 v10, s7, v22
	v_sub_nc_u32_e32 v2, v5, v2
	v_add_nc_u32_e32 v5, s7, v24
	v_cndmask_b32_e64 v1, 0, 1, vcc_lo
	v_sub_nc_u32_e32 v4, v4, v6
	v_mul_lo_u32 v6, v7, s4
	v_add_nc_u32_e32 v7, s7, v25
	v_cmp_lt_u32_e32 vcc_lo, s2, v3
	v_mul_lo_u32 v5, v5, s6
	v_mul_lo_u32 v8, v8, s4
	v_mul_lo_u32 v9, v9, s4
	v_mul_lo_u32 v7, v7, s6
	v_cndmask_b32_e64 v3, 0, 1, vcc_lo
	v_cmp_lt_u32_e32 vcc_lo, s2, v2
	v_mul_lo_u32 v10, v10, s6
	v_add_nc_u32_e32 v11, s5, v20
	v_sub_nc_u32_e32 v5, v6, v5
	v_add_nc_u32_e32 v12, s7, v20
	v_cndmask_b32_e64 v2, 0, 1, vcc_lo
	v_sub_nc_u32_e32 v6, v8, v7
	v_add_nc_u32_e32 v7, s5, v23
	v_add_nc_u32_e32 v8, s7, v23
	v_cmp_lt_u32_e32 vcc_lo, s2, v4
	v_sub_nc_u32_e32 v9, v9, v10
	v_mul_lo_u32 v10, v11, s4
	v_mul_lo_u32 v7, v7, s4
	;; [unrolled: 1-line block ×4, first 2 shown]
	v_cndmask_b32_e64 v4, 0, 1, vcc_lo
	v_cmp_lt_u32_e32 vcc_lo, s2, v5
	v_add_nc_u32_e32 v12, s5, v21
	v_add_nc_u32_e32 v13, s7, v18
	;; [unrolled: 1-line block ×4, first 2 shown]
	v_cndmask_b32_e64 v5, 0, 1, vcc_lo
	v_cmp_lt_u32_e32 vcc_lo, s2, v6
	v_sub_nc_u32_e32 v7, v7, v8
	v_sub_nc_u32_e32 v8, v10, v11
	v_add_nc_u32_e32 v11, s7, v21
	v_mul_lo_u32 v10, v12, s4
	v_cndmask_b32_e64 v6, 0, 1, vcc_lo
	v_cmp_lt_u32_e32 vcc_lo, s2, v9
	v_add_nc_u32_e32 v12, s5, v18
	v_mul_lo_u32 v11, v11, s6
	v_mul_lo_u32 v13, v13, s6
	;; [unrolled: 1-line block ×3, first 2 shown]
	v_cndmask_b32_e64 v9, 0, 1, vcc_lo
	v_cmp_lt_u32_e32 vcc_lo, s2, v7
	v_mul_lo_u32 v12, v12, s4
	v_mul_lo_u32 v15, v15, s6
	v_lshlrev_b16 v3, 8, v3
	v_sub_nc_u32_e32 v10, v10, v11
	v_cndmask_b32_e64 v7, 0, 1, vcc_lo
	v_cmp_lt_u32_e32 vcc_lo, s2, v8
	v_add_nc_u32_e32 v11, s5, v32
	v_or_b32_e32 v1, v1, v3
	v_sub_nc_u32_e32 v12, v12, v13
	v_sub_nc_u32_e32 v13, v14, v15
	v_cndmask_b32_e64 v8, 0, 1, vcc_lo
	v_cmp_lt_u32_e32 vcc_lo, s2, v10
	v_add_nc_u32_e32 v16, s7, v32
	v_mul_lo_u32 v11, v11, s4
	v_lshlrev_b16 v4, 8, v4
	v_lshlrev_b16 v6, 8, v6
	v_cndmask_b32_e64 v10, 0, 1, vcc_lo
	v_cmp_lt_u32_e32 vcc_lo, s2, v12
	v_mul_lo_u32 v14, v16, s6
	v_lshlrev_b16 v7, 8, v7
	v_or_b32_e32 v2, v2, v4
	v_lshlrev_b16 v10, 8, v10
	v_cndmask_b32_e64 v3, 0, 1, vcc_lo
	v_cmp_lt_u32_e32 vcc_lo, s2, v13
	v_or_b32_e32 v4, v5, v6
	v_or_b32_e32 v5, v9, v7
	v_sub_nc_u32_e32 v11, v11, v14
	v_or_b32_e32 v6, v8, v10
	v_cndmask_b32_e64 v12, 0, 1, vcc_lo
	v_and_b32_e32 v1, 0xffff, v1
	v_lshlrev_b32_e32 v2, 16, v2
	v_and_b32_e32 v4, 0xffff, v4
	v_lshlrev_b32_e32 v5, 16, v5
	v_lshlrev_b16 v12, 8, v12
	v_and_b32_e32 v6, 0xffff, v6
	v_cmp_lt_u32_e32 vcc_lo, s2, v11
	v_or_b32_e32 v39, v1, v2
	v_or_b32_e32 v37, v4, v5
	;; [unrolled: 1-line block ×3, first 2 shown]
	s_mov_b32 s3, 0
	v_cndmask_b32_e64 v34, 0, 1, vcc_lo
	s_delay_alu instid0(VALU_DEP_2) | instskip(NEXT) | instid1(VALU_DEP_1)
	v_lshlrev_b32_e32 v3, 16, v3
	v_or_b32_e32 v35, v6, v3
	s_branch .LBB797_7
.LBB797_6:
	s_mov_b32 s3, -1
                                        ; implicit-def: $vgpr34
                                        ; implicit-def: $vgpr35
                                        ; implicit-def: $vgpr37
                                        ; implicit-def: $vgpr39
.LBB797_7:
	s_clause 0x1
	s_load_b64 s[10:11], s[0:1], 0x28
	s_load_b64 s[20:21], s[0:1], 0x68
	s_and_not1_b32 vcc_lo, exec_lo, s3
	s_addk_i32 s22, 0xd00
	s_cbranch_vccnz .LBB797_35
; %bb.8:
	v_dual_mov_b32 v2, 0 :: v_dual_mov_b32 v1, 0
	s_mov_b32 s0, exec_lo
	v_cmpx_gt_u32_e64 s22, v33
; %bb.9:
	v_add_nc_u32_e32 v1, s5, v28
	v_add_nc_u32_e32 v3, s7, v28
	s_delay_alu instid0(VALU_DEP_2) | instskip(NEXT) | instid1(VALU_DEP_2)
	v_mul_lo_u32 v1, v1, s4
	v_mul_lo_u32 v3, v3, s6
	s_delay_alu instid0(VALU_DEP_1) | instskip(NEXT) | instid1(VALU_DEP_1)
	v_sub_nc_u32_e32 v1, v1, v3
	v_cmp_lt_u32_e32 vcc_lo, s2, v1
	v_cndmask_b32_e64 v1, 0, 1, vcc_lo
; %bb.10:
	s_or_b32 exec_lo, exec_lo, s0
	v_add_nc_u32_e32 v3, 1, v33
	s_mov_b32 s0, exec_lo
	s_delay_alu instid0(VALU_DEP_1)
	v_cmpx_gt_u32_e64 s22, v3
; %bb.11:
	v_add_nc_u32_e32 v2, s5, v29
	v_add_nc_u32_e32 v3, s7, v29
	s_delay_alu instid0(VALU_DEP_2) | instskip(NEXT) | instid1(VALU_DEP_2)
	v_mul_lo_u32 v2, v2, s4
	v_mul_lo_u32 v3, v3, s6
	s_delay_alu instid0(VALU_DEP_1) | instskip(NEXT) | instid1(VALU_DEP_1)
	v_sub_nc_u32_e32 v2, v2, v3
	v_cmp_lt_u32_e32 vcc_lo, s2, v2
	v_cndmask_b32_e64 v2, 0, 1, vcc_lo
; %bb.12:
	s_or_b32 exec_lo, exec_lo, s0
	v_dual_mov_b32 v4, 0 :: v_dual_add_nc_u32 v3, 2, v33
	s_delay_alu instid0(VALU_DEP_1)
	v_cmp_gt_u32_e32 vcc_lo, s22, v3
	v_mov_b32_e32 v3, 0
	s_and_saveexec_b32 s0, vcc_lo
; %bb.13:
	v_add_nc_u32_e32 v3, s5, v26
	v_add_nc_u32_e32 v5, s7, v26
	s_delay_alu instid0(VALU_DEP_2) | instskip(NEXT) | instid1(VALU_DEP_2)
	v_mul_lo_u32 v3, v3, s4
	v_mul_lo_u32 v5, v5, s6
	s_delay_alu instid0(VALU_DEP_1) | instskip(NEXT) | instid1(VALU_DEP_1)
	v_sub_nc_u32_e32 v3, v3, v5
	v_cmp_lt_u32_e32 vcc_lo, s2, v3
	v_cndmask_b32_e64 v3, 0, 1, vcc_lo
; %bb.14:
	s_or_b32 exec_lo, exec_lo, s0
	v_add_nc_u32_e32 v5, 3, v33
	s_mov_b32 s0, exec_lo
	s_delay_alu instid0(VALU_DEP_1)
	v_cmpx_gt_u32_e64 s22, v5
; %bb.15:
	v_add_nc_u32_e32 v4, s5, v27
	v_add_nc_u32_e32 v5, s7, v27
	s_delay_alu instid0(VALU_DEP_2) | instskip(NEXT) | instid1(VALU_DEP_2)
	v_mul_lo_u32 v4, v4, s4
	v_mul_lo_u32 v5, v5, s6
	s_delay_alu instid0(VALU_DEP_1) | instskip(NEXT) | instid1(VALU_DEP_1)
	v_sub_nc_u32_e32 v4, v4, v5
	v_cmp_lt_u32_e32 vcc_lo, s2, v4
	v_cndmask_b32_e64 v4, 0, 1, vcc_lo
; %bb.16:
	s_or_b32 exec_lo, exec_lo, s0
	v_dual_mov_b32 v6, 0 :: v_dual_add_nc_u32 v5, 4, v33
	s_delay_alu instid0(VALU_DEP_1)
	v_cmp_gt_u32_e32 vcc_lo, s22, v5
	v_mov_b32_e32 v5, 0
	s_and_saveexec_b32 s0, vcc_lo
	;; [unrolled: 33-line block ×5, first 2 shown]
; %bb.29:
	v_add_nc_u32_e32 v11, s5, v18
	v_add_nc_u32_e32 v13, s7, v18
	s_delay_alu instid0(VALU_DEP_2) | instskip(NEXT) | instid1(VALU_DEP_2)
	v_mul_lo_u32 v11, v11, s4
	v_mul_lo_u32 v13, v13, s6
	s_delay_alu instid0(VALU_DEP_1) | instskip(NEXT) | instid1(VALU_DEP_1)
	v_sub_nc_u32_e32 v11, v11, v13
	v_cmp_lt_u32_e32 vcc_lo, s2, v11
	v_cndmask_b32_e64 v11, 0, 1, vcc_lo
; %bb.30:
	s_or_b32 exec_lo, exec_lo, s0
	v_add_nc_u32_e32 v13, 11, v33
	s_mov_b32 s0, exec_lo
	s_delay_alu instid0(VALU_DEP_1)
	v_cmpx_gt_u32_e64 s22, v13
; %bb.31:
	v_add_nc_u32_e32 v12, s5, v19
	v_add_nc_u32_e32 v13, s7, v19
	s_delay_alu instid0(VALU_DEP_2) | instskip(NEXT) | instid1(VALU_DEP_2)
	v_mul_lo_u32 v12, v12, s4
	v_mul_lo_u32 v13, v13, s6
	s_delay_alu instid0(VALU_DEP_1) | instskip(NEXT) | instid1(VALU_DEP_1)
	v_sub_nc_u32_e32 v12, v12, v13
	v_cmp_lt_u32_e32 vcc_lo, s2, v12
	v_cndmask_b32_e64 v12, 0, 1, vcc_lo
; %bb.32:
	s_or_b32 exec_lo, exec_lo, s0
	v_dual_mov_b32 v34, 0 :: v_dual_add_nc_u32 v13, 12, v33
	s_mov_b32 s0, exec_lo
	s_delay_alu instid0(VALU_DEP_1)
	v_cmpx_gt_u32_e64 s22, v13
; %bb.33:
	v_add_nc_u32_e32 v13, s5, v32
	v_add_nc_u32_e32 v14, s7, v32
	s_delay_alu instid0(VALU_DEP_2) | instskip(NEXT) | instid1(VALU_DEP_2)
	v_mul_lo_u32 v13, v13, s4
	v_mul_lo_u32 v14, v14, s6
	s_delay_alu instid0(VALU_DEP_1) | instskip(NEXT) | instid1(VALU_DEP_1)
	v_sub_nc_u32_e32 v13, v13, v14
	v_cmp_lt_u32_e32 vcc_lo, s2, v13
	v_cndmask_b32_e64 v34, 0, 1, vcc_lo
; %bb.34:
	s_or_b32 exec_lo, exec_lo, s0
	v_lshlrev_b16 v2, 8, v2
	v_lshlrev_b16 v4, 8, v4
	;; [unrolled: 1-line block ×5, first 2 shown]
	v_or_b32_e32 v1, v1, v2
	v_lshlrev_b16 v2, 8, v12
	v_or_b32_e32 v3, v3, v4
	v_or_b32_e32 v4, v5, v6
	;; [unrolled: 1-line block ×5, first 2 shown]
	v_and_b32_e32 v1, 0xffff, v1
	v_lshlrev_b32_e32 v3, 16, v3
	v_and_b32_e32 v4, 0xffff, v4
	v_lshlrev_b32_e32 v5, 16, v5
	;; [unrolled: 2-line block ×3, first 2 shown]
	v_or_b32_e32 v39, v1, v3
	s_delay_alu instid0(VALU_DEP_4) | instskip(NEXT) | instid1(VALU_DEP_3)
	v_or_b32_e32 v37, v4, v5
	v_or_b32_e32 v35, v6, v2
.LBB797_35:
	s_delay_alu instid0(VALU_DEP_3)
	v_and_b32_e32 v41, 0xff, v39
	v_bfe_u32 v42, v39, 8, 8
	v_bfe_u32 v43, v39, 16, 8
	v_lshrrev_b32_e32 v40, 24, v39
	v_and_b32_e32 v44, 0xff, v37
	v_bfe_u32 v45, v37, 8, 8
	v_bfe_u32 v46, v37, 16, 8
	v_add3_u32 v1, v42, v41, v43
	v_lshrrev_b32_e32 v38, 24, v37
	v_and_b32_e32 v47, 0xff, v35
	v_bfe_u32 v48, v35, 8, 8
	v_mbcnt_lo_u32_b32 v50, -1, 0
	v_add3_u32 v1, v1, v40, v44
	v_bfe_u32 v49, v35, 16, 8
	v_lshrrev_b32_e32 v36, 24, v35
	v_and_b32_e32 v2, 0xff, v34
	v_and_b32_e32 v3, 15, v50
	v_add3_u32 v1, v1, v45, v46
	v_or_b32_e32 v4, 31, v0
	v_and_b32_e32 v5, 16, v50
	v_lshrrev_b32_e32 v51, 5, v0
	v_cmp_eq_u32_e64 s5, 0, v3
	v_add3_u32 v1, v1, v38, v47
	v_cmp_lt_u32_e64 s4, 1, v3
	v_cmp_lt_u32_e64 s3, 3, v3
	;; [unrolled: 1-line block ×3, first 2 shown]
	v_cmp_eq_u32_e64 s1, 0, v5
	v_add3_u32 v1, v1, v48, v49
	v_cmp_eq_u32_e64 s0, v4, v0
	s_cmp_lg_u32 s15, 0
	s_mov_b32 s6, -1
	s_delay_alu instid0(VALU_DEP_2)
	v_add3_u32 v52, v1, v36, v2
	s_cbranch_scc0 .LBB797_66
; %bb.36:
	s_delay_alu instid0(VALU_DEP_1) | instskip(NEXT) | instid1(VALU_DEP_1)
	v_mov_b32_dpp v1, v52 row_shr:1 row_mask:0xf bank_mask:0xf
	v_cndmask_b32_e64 v1, v1, 0, s5
	s_delay_alu instid0(VALU_DEP_1) | instskip(NEXT) | instid1(VALU_DEP_1)
	v_add_nc_u32_e32 v1, v1, v52
	v_mov_b32_dpp v2, v1 row_shr:2 row_mask:0xf bank_mask:0xf
	s_delay_alu instid0(VALU_DEP_1) | instskip(NEXT) | instid1(VALU_DEP_1)
	v_cndmask_b32_e64 v2, 0, v2, s4
	v_add_nc_u32_e32 v1, v1, v2
	s_delay_alu instid0(VALU_DEP_1) | instskip(NEXT) | instid1(VALU_DEP_1)
	v_mov_b32_dpp v2, v1 row_shr:4 row_mask:0xf bank_mask:0xf
	v_cndmask_b32_e64 v2, 0, v2, s3
	s_delay_alu instid0(VALU_DEP_1) | instskip(NEXT) | instid1(VALU_DEP_1)
	v_add_nc_u32_e32 v1, v1, v2
	v_mov_b32_dpp v2, v1 row_shr:8 row_mask:0xf bank_mask:0xf
	s_delay_alu instid0(VALU_DEP_1) | instskip(NEXT) | instid1(VALU_DEP_1)
	v_cndmask_b32_e64 v2, 0, v2, s2
	v_add_nc_u32_e32 v1, v1, v2
	ds_swizzle_b32 v2, v1 offset:swizzle(BROADCAST,32,15)
	s_waitcnt lgkmcnt(0)
	v_cndmask_b32_e64 v2, v2, 0, s1
	s_delay_alu instid0(VALU_DEP_1)
	v_add_nc_u32_e32 v1, v1, v2
	s_and_saveexec_b32 s6, s0
	s_cbranch_execz .LBB797_38
; %bb.37:
	v_lshlrev_b32_e32 v2, 2, v51
	ds_store_b32 v2, v1
.LBB797_38:
	s_or_b32 exec_lo, exec_lo, s6
	s_delay_alu instid0(SALU_CYCLE_1)
	s_mov_b32 s6, exec_lo
	s_waitcnt lgkmcnt(0)
	s_barrier
	buffer_gl0_inv
	v_cmpx_gt_u32_e32 8, v0
	s_cbranch_execz .LBB797_40
; %bb.39:
	ds_load_b32 v2, v30
	s_waitcnt lgkmcnt(0)
	v_mov_b32_dpp v4, v2 row_shr:1 row_mask:0xf bank_mask:0xf
	v_and_b32_e32 v3, 7, v50
	s_delay_alu instid0(VALU_DEP_1) | instskip(NEXT) | instid1(VALU_DEP_3)
	v_cmp_ne_u32_e32 vcc_lo, 0, v3
	v_cndmask_b32_e32 v4, 0, v4, vcc_lo
	v_cmp_lt_u32_e32 vcc_lo, 1, v3
	s_delay_alu instid0(VALU_DEP_2) | instskip(NEXT) | instid1(VALU_DEP_1)
	v_add_nc_u32_e32 v2, v4, v2
	v_mov_b32_dpp v4, v2 row_shr:2 row_mask:0xf bank_mask:0xf
	s_delay_alu instid0(VALU_DEP_1) | instskip(SKIP_1) | instid1(VALU_DEP_2)
	v_cndmask_b32_e32 v4, 0, v4, vcc_lo
	v_cmp_lt_u32_e32 vcc_lo, 3, v3
	v_add_nc_u32_e32 v2, v2, v4
	s_delay_alu instid0(VALU_DEP_1) | instskip(NEXT) | instid1(VALU_DEP_1)
	v_mov_b32_dpp v4, v2 row_shr:4 row_mask:0xf bank_mask:0xf
	v_cndmask_b32_e32 v3, 0, v4, vcc_lo
	s_delay_alu instid0(VALU_DEP_1)
	v_add_nc_u32_e32 v2, v2, v3
	ds_store_b32 v30, v2
.LBB797_40:
	s_or_b32 exec_lo, exec_lo, s6
	v_cmp_gt_u32_e32 vcc_lo, 32, v0
	s_mov_b32 s7, exec_lo
	s_waitcnt lgkmcnt(0)
	s_barrier
	buffer_gl0_inv
                                        ; implicit-def: $vgpr8
	v_cmpx_lt_u32_e32 31, v0
	s_cbranch_execz .LBB797_42
; %bb.41:
	v_lshl_add_u32 v2, v51, 2, -4
	ds_load_b32 v8, v2
	s_waitcnt lgkmcnt(0)
	v_add_nc_u32_e32 v1, v8, v1
.LBB797_42:
	s_or_b32 exec_lo, exec_lo, s7
	v_add_nc_u32_e32 v2, -1, v50
	s_delay_alu instid0(VALU_DEP_1) | instskip(NEXT) | instid1(VALU_DEP_1)
	v_cmp_gt_i32_e64 s6, 0, v2
	v_cndmask_b32_e64 v2, v2, v50, s6
	v_cmp_eq_u32_e64 s6, 0, v50
	s_delay_alu instid0(VALU_DEP_2)
	v_lshlrev_b32_e32 v2, 2, v2
	ds_bpermute_b32 v9, v2, v1
	s_and_saveexec_b32 s7, vcc_lo
	s_cbranch_execz .LBB797_65
; %bb.43:
	v_mov_b32_e32 v4, 0
	ds_load_b32 v1, v4 offset:28
	s_and_saveexec_b32 s24, s6
	s_cbranch_execz .LBB797_45
; %bb.44:
	s_add_i32 s26, s15, 32
	s_mov_b32 s27, 0
	v_mov_b32_e32 v2, 1
	s_lshl_b64 s[26:27], s[26:27], 3
	s_delay_alu instid0(SALU_CYCLE_1)
	s_add_u32 s26, s20, s26
	s_addc_u32 s27, s21, s27
	s_waitcnt lgkmcnt(0)
	global_store_b64 v4, v[1:2], s[26:27]
.LBB797_45:
	s_or_b32 exec_lo, exec_lo, s24
	v_xad_u32 v2, v50, -1, s15
	s_mov_b32 s25, 0
	s_mov_b32 s24, exec_lo
	s_delay_alu instid0(VALU_DEP_1) | instskip(NEXT) | instid1(VALU_DEP_1)
	v_add_nc_u32_e32 v3, 32, v2
	v_lshlrev_b64 v[3:4], 3, v[3:4]
	s_delay_alu instid0(VALU_DEP_1) | instskip(NEXT) | instid1(VALU_DEP_2)
	v_add_co_u32 v6, vcc_lo, s20, v3
	v_add_co_ci_u32_e32 v7, vcc_lo, s21, v4, vcc_lo
	global_load_b64 v[4:5], v[6:7], off glc
	s_waitcnt vmcnt(0)
	v_and_b32_e32 v3, 0xff, v5
	s_delay_alu instid0(VALU_DEP_1)
	v_cmpx_eq_u16_e32 0, v3
	s_cbranch_execz .LBB797_51
; %bb.46:
	s_mov_b32 s26, 1
	.p2align	6
.LBB797_47:                             ; =>This Loop Header: Depth=1
                                        ;     Child Loop BB797_48 Depth 2
	s_delay_alu instid0(SALU_CYCLE_1)
	s_max_u32 s27, s26, 1
.LBB797_48:                             ;   Parent Loop BB797_47 Depth=1
                                        ; =>  This Inner Loop Header: Depth=2
	s_delay_alu instid0(SALU_CYCLE_1)
	s_add_i32 s27, s27, -1
	s_sleep 1
	s_cmp_eq_u32 s27, 0
	s_cbranch_scc0 .LBB797_48
; %bb.49:                               ;   in Loop: Header=BB797_47 Depth=1
	global_load_b64 v[4:5], v[6:7], off glc
	s_cmp_lt_u32 s26, 32
	s_cselect_b32 s27, -1, 0
	s_delay_alu instid0(SALU_CYCLE_1) | instskip(SKIP_3) | instid1(VALU_DEP_1)
	s_cmp_lg_u32 s27, 0
	s_addc_u32 s26, s26, 0
	s_waitcnt vmcnt(0)
	v_and_b32_e32 v3, 0xff, v5
	v_cmp_ne_u16_e32 vcc_lo, 0, v3
	s_or_b32 s25, vcc_lo, s25
	s_delay_alu instid0(SALU_CYCLE_1)
	s_and_not1_b32 exec_lo, exec_lo, s25
	s_cbranch_execnz .LBB797_47
; %bb.50:
	s_or_b32 exec_lo, exec_lo, s25
.LBB797_51:
	s_delay_alu instid0(SALU_CYCLE_1)
	s_or_b32 exec_lo, exec_lo, s24
	v_cmp_ne_u32_e32 vcc_lo, 31, v50
	v_lshlrev_b32_e64 v11, v50, -1
	v_add_nc_u32_e32 v13, 2, v50
	v_add_nc_u32_e32 v16, 4, v50
	;; [unrolled: 1-line block ×3, first 2 shown]
	v_add_co_ci_u32_e32 v3, vcc_lo, 0, v50, vcc_lo
	v_add_nc_u32_e32 v55, 16, v50
	s_delay_alu instid0(VALU_DEP_2) | instskip(SKIP_2) | instid1(VALU_DEP_1)
	v_lshlrev_b32_e32 v10, 2, v3
	ds_bpermute_b32 v6, v10, v4
	v_and_b32_e32 v3, 0xff, v5
	v_cmp_eq_u16_e32 vcc_lo, 2, v3
	v_and_or_b32 v3, vcc_lo, v11, 0x80000000
	v_cmp_gt_u32_e32 vcc_lo, 30, v50
	s_delay_alu instid0(VALU_DEP_2) | instskip(SKIP_1) | instid1(VALU_DEP_2)
	v_ctz_i32_b32_e32 v3, v3
	v_cndmask_b32_e64 v7, 0, 1, vcc_lo
	v_cmp_lt_u32_e32 vcc_lo, v50, v3
	s_waitcnt lgkmcnt(0)
	s_delay_alu instid0(VALU_DEP_2) | instskip(NEXT) | instid1(VALU_DEP_1)
	v_dual_cndmask_b32 v6, 0, v6 :: v_dual_lshlrev_b32 v7, 1, v7
	v_add_lshl_u32 v12, v7, v50, 2
	v_cmp_gt_u32_e32 vcc_lo, 28, v50
	s_delay_alu instid0(VALU_DEP_3) | instskip(SKIP_4) | instid1(VALU_DEP_1)
	v_add_nc_u32_e32 v4, v6, v4
	v_cndmask_b32_e64 v7, 0, 1, vcc_lo
	v_cmp_le_u32_e32 vcc_lo, v13, v3
	ds_bpermute_b32 v6, v12, v4
	v_lshlrev_b32_e32 v7, 2, v7
	v_add_lshl_u32 v14, v7, v50, 2
	s_waitcnt lgkmcnt(0)
	v_cndmask_b32_e32 v6, 0, v6, vcc_lo
	v_cmp_gt_u32_e32 vcc_lo, 24, v50
	s_delay_alu instid0(VALU_DEP_2) | instskip(SKIP_4) | instid1(VALU_DEP_1)
	v_add_nc_u32_e32 v4, v4, v6
	v_cndmask_b32_e64 v7, 0, 1, vcc_lo
	v_cmp_le_u32_e32 vcc_lo, v16, v3
	ds_bpermute_b32 v6, v14, v4
	v_lshlrev_b32_e32 v7, 3, v7
	v_add_lshl_u32 v17, v7, v50, 2
	s_waitcnt lgkmcnt(0)
	v_cndmask_b32_e32 v6, 0, v6, vcc_lo
	v_cmp_gt_u32_e32 vcc_lo, 16, v50
	s_delay_alu instid0(VALU_DEP_2) | instskip(SKIP_4) | instid1(VALU_DEP_1)
	v_add_nc_u32_e32 v4, v4, v6
	v_cndmask_b32_e64 v7, 0, 1, vcc_lo
	v_cmp_le_u32_e32 vcc_lo, v53, v3
	ds_bpermute_b32 v6, v17, v4
	v_lshlrev_b32_e32 v7, 4, v7
	v_add_lshl_u32 v54, v7, v50, 2
	s_waitcnt lgkmcnt(0)
	v_cndmask_b32_e32 v6, 0, v6, vcc_lo
	v_cmp_le_u32_e32 vcc_lo, v55, v3
	s_delay_alu instid0(VALU_DEP_2) | instskip(SKIP_3) | instid1(VALU_DEP_1)
	v_add_nc_u32_e32 v4, v4, v6
	ds_bpermute_b32 v6, v54, v4
	s_waitcnt lgkmcnt(0)
	v_cndmask_b32_e32 v3, 0, v6, vcc_lo
	v_dual_mov_b32 v3, 0 :: v_dual_add_nc_u32 v4, v4, v3
	s_branch .LBB797_53
.LBB797_52:                             ;   in Loop: Header=BB797_53 Depth=1
	s_or_b32 exec_lo, exec_lo, s24
	ds_bpermute_b32 v7, v10, v4
	v_and_b32_e32 v6, 0xff, v5
	v_subrev_nc_u32_e32 v2, 32, v2
	s_delay_alu instid0(VALU_DEP_2) | instskip(SKIP_1) | instid1(VALU_DEP_1)
	v_cmp_eq_u16_e32 vcc_lo, 2, v6
	v_and_or_b32 v6, vcc_lo, v11, 0x80000000
	v_ctz_i32_b32_e32 v6, v6
	s_delay_alu instid0(VALU_DEP_1) | instskip(SKIP_3) | instid1(VALU_DEP_2)
	v_cmp_lt_u32_e32 vcc_lo, v50, v6
	s_waitcnt lgkmcnt(0)
	v_cndmask_b32_e32 v7, 0, v7, vcc_lo
	v_cmp_le_u32_e32 vcc_lo, v13, v6
	v_add_nc_u32_e32 v4, v7, v4
	ds_bpermute_b32 v7, v12, v4
	s_waitcnt lgkmcnt(0)
	v_cndmask_b32_e32 v7, 0, v7, vcc_lo
	v_cmp_le_u32_e32 vcc_lo, v16, v6
	s_delay_alu instid0(VALU_DEP_2) | instskip(SKIP_4) | instid1(VALU_DEP_2)
	v_add_nc_u32_e32 v4, v4, v7
	ds_bpermute_b32 v7, v14, v4
	s_waitcnt lgkmcnt(0)
	v_cndmask_b32_e32 v7, 0, v7, vcc_lo
	v_cmp_le_u32_e32 vcc_lo, v53, v6
	v_add_nc_u32_e32 v4, v4, v7
	ds_bpermute_b32 v7, v17, v4
	s_waitcnt lgkmcnt(0)
	v_cndmask_b32_e32 v7, 0, v7, vcc_lo
	v_cmp_le_u32_e32 vcc_lo, v55, v6
	s_delay_alu instid0(VALU_DEP_2) | instskip(SKIP_3) | instid1(VALU_DEP_1)
	v_add_nc_u32_e32 v4, v4, v7
	ds_bpermute_b32 v7, v54, v4
	s_waitcnt lgkmcnt(0)
	v_cndmask_b32_e32 v6, 0, v7, vcc_lo
	v_add3_u32 v4, v6, v15, v4
.LBB797_53:                             ; =>This Loop Header: Depth=1
                                        ;     Child Loop BB797_56 Depth 2
                                        ;       Child Loop BB797_57 Depth 3
	v_and_b32_e32 v5, 0xff, v5
	s_delay_alu instid0(VALU_DEP_2) | instskip(NEXT) | instid1(VALU_DEP_2)
	v_mov_b32_e32 v15, v4
	v_cmp_ne_u16_e32 vcc_lo, 2, v5
	v_cndmask_b32_e64 v5, 0, 1, vcc_lo
	;;#ASMSTART
	;;#ASMEND
	s_delay_alu instid0(VALU_DEP_1)
	v_cmp_ne_u32_e32 vcc_lo, 0, v5
	s_cmp_lg_u32 vcc_lo, exec_lo
	s_cbranch_scc1 .LBB797_60
; %bb.54:                               ;   in Loop: Header=BB797_53 Depth=1
	v_lshlrev_b64 v[4:5], 3, v[2:3]
	s_mov_b32 s24, exec_lo
	s_delay_alu instid0(VALU_DEP_1) | instskip(NEXT) | instid1(VALU_DEP_2)
	v_add_co_u32 v6, vcc_lo, s20, v4
	v_add_co_ci_u32_e32 v7, vcc_lo, s21, v5, vcc_lo
	global_load_b64 v[4:5], v[6:7], off glc
	s_waitcnt vmcnt(0)
	v_and_b32_e32 v56, 0xff, v5
	s_delay_alu instid0(VALU_DEP_1)
	v_cmpx_eq_u16_e32 0, v56
	s_cbranch_execz .LBB797_52
; %bb.55:                               ;   in Loop: Header=BB797_53 Depth=1
	s_mov_b32 s26, 1
	s_mov_b32 s25, 0
	.p2align	6
.LBB797_56:                             ;   Parent Loop BB797_53 Depth=1
                                        ; =>  This Loop Header: Depth=2
                                        ;       Child Loop BB797_57 Depth 3
	s_max_u32 s27, s26, 1
.LBB797_57:                             ;   Parent Loop BB797_53 Depth=1
                                        ;     Parent Loop BB797_56 Depth=2
                                        ; =>    This Inner Loop Header: Depth=3
	s_delay_alu instid0(SALU_CYCLE_1)
	s_add_i32 s27, s27, -1
	s_sleep 1
	s_cmp_eq_u32 s27, 0
	s_cbranch_scc0 .LBB797_57
; %bb.58:                               ;   in Loop: Header=BB797_56 Depth=2
	global_load_b64 v[4:5], v[6:7], off glc
	s_cmp_lt_u32 s26, 32
	s_cselect_b32 s27, -1, 0
	s_delay_alu instid0(SALU_CYCLE_1) | instskip(SKIP_3) | instid1(VALU_DEP_1)
	s_cmp_lg_u32 s27, 0
	s_addc_u32 s26, s26, 0
	s_waitcnt vmcnt(0)
	v_and_b32_e32 v56, 0xff, v5
	v_cmp_ne_u16_e32 vcc_lo, 0, v56
	s_or_b32 s25, vcc_lo, s25
	s_delay_alu instid0(SALU_CYCLE_1)
	s_and_not1_b32 exec_lo, exec_lo, s25
	s_cbranch_execnz .LBB797_56
; %bb.59:                               ;   in Loop: Header=BB797_53 Depth=1
	s_or_b32 exec_lo, exec_lo, s25
	s_branch .LBB797_52
.LBB797_60:                             ;   in Loop: Header=BB797_53 Depth=1
                                        ; implicit-def: $vgpr4
                                        ; implicit-def: $vgpr5
	s_cbranch_execz .LBB797_53
; %bb.61:
	s_and_saveexec_b32 s24, s6
	s_cbranch_execz .LBB797_63
; %bb.62:
	s_add_i32 s26, s15, 32
	s_mov_b32 s27, 0
	v_dual_mov_b32 v3, 2 :: v_dual_add_nc_u32 v2, v15, v1
	s_lshl_b64 s[26:27], s[26:27], 3
	v_mov_b32_e32 v4, 0
	v_add_nc_u32_e64 v5, 0x3400, 0
	s_add_u32 s26, s20, s26
	s_addc_u32 s27, s21, s27
	global_store_b64 v4, v[2:3], s[26:27]
	ds_store_2addr_b32 v5, v1, v15 offset1:2
.LBB797_63:
	s_or_b32 exec_lo, exec_lo, s24
	v_cmp_eq_u32_e32 vcc_lo, 0, v0
	s_and_b32 exec_lo, exec_lo, vcc_lo
	s_cbranch_execz .LBB797_65
; %bb.64:
	v_mov_b32_e32 v1, 0
	ds_store_b32 v1, v15 offset:28
.LBB797_65:
	s_or_b32 exec_lo, exec_lo, s7
	s_waitcnt lgkmcnt(0)
	v_cndmask_b32_e64 v2, v9, v8, s6
	v_cmp_ne_u32_e32 vcc_lo, 0, v0
	v_mov_b32_e32 v1, 0
	s_waitcnt_vscnt null, 0x0
	s_barrier
	buffer_gl0_inv
	v_cndmask_b32_e32 v2, 0, v2, vcc_lo
	ds_load_b32 v1, v1 offset:28
	v_add_nc_u32_e64 v11, 0x3400, 0
	s_waitcnt lgkmcnt(0)
	s_barrier
	buffer_gl0_inv
	ds_load_2addr_b32 v[16:17], v11 offset1:2
	v_add_nc_u32_e32 v1, v1, v2
	s_delay_alu instid0(VALU_DEP_1) | instskip(NEXT) | instid1(VALU_DEP_1)
	v_add_nc_u32_e32 v2, v1, v41
	v_add_nc_u32_e32 v3, v2, v42
	s_delay_alu instid0(VALU_DEP_1) | instskip(NEXT) | instid1(VALU_DEP_1)
	v_add_nc_u32_e32 v4, v3, v43
	;; [unrolled: 3-line block ×6, first 2 shown]
	v_add_nc_u32_e32 v13, v12, v36
	s_branch .LBB797_76
.LBB797_66:
                                        ; implicit-def: $vgpr17
                                        ; implicit-def: $vgpr1_vgpr2_vgpr3_vgpr4_vgpr5_vgpr6_vgpr7_vgpr8_vgpr9_vgpr10_vgpr11_vgpr12_vgpr13_vgpr14_vgpr15_vgpr16
	s_and_b32 vcc_lo, exec_lo, s6
	s_cbranch_vccz .LBB797_76
; %bb.67:
	s_delay_alu instid0(VALU_DEP_1) | instskip(NEXT) | instid1(VALU_DEP_1)
	v_mov_b32_dpp v1, v52 row_shr:1 row_mask:0xf bank_mask:0xf
	v_cndmask_b32_e64 v1, v1, 0, s5
	s_delay_alu instid0(VALU_DEP_1) | instskip(NEXT) | instid1(VALU_DEP_1)
	v_add_nc_u32_e32 v1, v1, v52
	v_mov_b32_dpp v2, v1 row_shr:2 row_mask:0xf bank_mask:0xf
	s_delay_alu instid0(VALU_DEP_1) | instskip(NEXT) | instid1(VALU_DEP_1)
	v_cndmask_b32_e64 v2, 0, v2, s4
	v_add_nc_u32_e32 v1, v1, v2
	s_delay_alu instid0(VALU_DEP_1) | instskip(NEXT) | instid1(VALU_DEP_1)
	v_mov_b32_dpp v2, v1 row_shr:4 row_mask:0xf bank_mask:0xf
	v_cndmask_b32_e64 v2, 0, v2, s3
	s_delay_alu instid0(VALU_DEP_1) | instskip(NEXT) | instid1(VALU_DEP_1)
	v_add_nc_u32_e32 v1, v1, v2
	v_mov_b32_dpp v2, v1 row_shr:8 row_mask:0xf bank_mask:0xf
	s_delay_alu instid0(VALU_DEP_1) | instskip(NEXT) | instid1(VALU_DEP_1)
	v_cndmask_b32_e64 v2, 0, v2, s2
	v_add_nc_u32_e32 v1, v1, v2
	ds_swizzle_b32 v2, v1 offset:swizzle(BROADCAST,32,15)
	s_waitcnt lgkmcnt(0)
	v_cndmask_b32_e64 v2, v2, 0, s1
	s_delay_alu instid0(VALU_DEP_1)
	v_add_nc_u32_e32 v1, v1, v2
	s_and_saveexec_b32 s1, s0
	s_cbranch_execz .LBB797_69
; %bb.68:
	v_lshlrev_b32_e32 v2, 2, v51
	ds_store_b32 v2, v1
.LBB797_69:
	s_or_b32 exec_lo, exec_lo, s1
	s_delay_alu instid0(SALU_CYCLE_1)
	s_mov_b32 s0, exec_lo
	s_waitcnt lgkmcnt(0)
	s_barrier
	buffer_gl0_inv
	v_cmpx_gt_u32_e32 8, v0
	s_cbranch_execz .LBB797_71
; %bb.70:
	ds_load_b32 v2, v30
	s_waitcnt lgkmcnt(0)
	v_mov_b32_dpp v4, v2 row_shr:1 row_mask:0xf bank_mask:0xf
	v_and_b32_e32 v3, 7, v50
	s_delay_alu instid0(VALU_DEP_1) | instskip(NEXT) | instid1(VALU_DEP_3)
	v_cmp_ne_u32_e32 vcc_lo, 0, v3
	v_cndmask_b32_e32 v4, 0, v4, vcc_lo
	v_cmp_lt_u32_e32 vcc_lo, 1, v3
	s_delay_alu instid0(VALU_DEP_2) | instskip(NEXT) | instid1(VALU_DEP_1)
	v_add_nc_u32_e32 v2, v4, v2
	v_mov_b32_dpp v4, v2 row_shr:2 row_mask:0xf bank_mask:0xf
	s_delay_alu instid0(VALU_DEP_1) | instskip(SKIP_1) | instid1(VALU_DEP_2)
	v_cndmask_b32_e32 v4, 0, v4, vcc_lo
	v_cmp_lt_u32_e32 vcc_lo, 3, v3
	v_add_nc_u32_e32 v2, v2, v4
	s_delay_alu instid0(VALU_DEP_1) | instskip(NEXT) | instid1(VALU_DEP_1)
	v_mov_b32_dpp v4, v2 row_shr:4 row_mask:0xf bank_mask:0xf
	v_cndmask_b32_e32 v3, 0, v4, vcc_lo
	s_delay_alu instid0(VALU_DEP_1)
	v_add_nc_u32_e32 v2, v2, v3
	ds_store_b32 v30, v2
.LBB797_71:
	s_or_b32 exec_lo, exec_lo, s0
	v_dual_mov_b32 v3, 0 :: v_dual_mov_b32 v2, 0
	s_mov_b32 s0, exec_lo
	s_waitcnt lgkmcnt(0)
	s_barrier
	buffer_gl0_inv
	v_cmpx_lt_u32_e32 31, v0
	s_cbranch_execz .LBB797_73
; %bb.72:
	v_lshl_add_u32 v2, v51, 2, -4
	ds_load_b32 v2, v2
.LBB797_73:
	s_or_b32 exec_lo, exec_lo, s0
	v_add_nc_u32_e32 v4, -1, v50
	ds_load_b32 v16, v3 offset:28
	s_waitcnt lgkmcnt(1)
	v_add_nc_u32_e32 v1, v2, v1
	v_cmp_gt_i32_e32 vcc_lo, 0, v4
	v_cndmask_b32_e32 v4, v4, v50, vcc_lo
	v_cmp_eq_u32_e32 vcc_lo, 0, v0
	s_delay_alu instid0(VALU_DEP_2)
	v_lshlrev_b32_e32 v4, 2, v4
	ds_bpermute_b32 v1, v4, v1
	s_and_saveexec_b32 s0, vcc_lo
	s_cbranch_execz .LBB797_75
; %bb.74:
	v_mov_b32_e32 v3, 0
	v_mov_b32_e32 v17, 2
	s_waitcnt lgkmcnt(1)
	global_store_b64 v3, v[16:17], s[20:21] offset:256
.LBB797_75:
	s_or_b32 exec_lo, exec_lo, s0
	v_cmp_eq_u32_e64 s0, 0, v50
	s_waitcnt lgkmcnt(0)
	s_waitcnt_vscnt null, 0x0
	s_barrier
	buffer_gl0_inv
	v_mov_b32_e32 v17, 0
	v_cndmask_b32_e64 v1, v1, v2, s0
	s_delay_alu instid0(VALU_DEP_1) | instskip(NEXT) | instid1(VALU_DEP_1)
	v_cndmask_b32_e64 v1, v1, 0, vcc_lo
	v_add_nc_u32_e32 v2, v1, v41
	s_delay_alu instid0(VALU_DEP_1) | instskip(NEXT) | instid1(VALU_DEP_1)
	v_add_nc_u32_e32 v3, v2, v42
	v_add_nc_u32_e32 v4, v3, v43
	s_delay_alu instid0(VALU_DEP_1) | instskip(NEXT) | instid1(VALU_DEP_1)
	v_add_nc_u32_e32 v5, v4, v40
	;; [unrolled: 3-line block ×5, first 2 shown]
	v_add_nc_u32_e32 v12, v11, v49
	s_delay_alu instid0(VALU_DEP_1)
	v_add_nc_u32_e32 v13, v12, v36
.LBB797_76:
	v_lshrrev_b32_e32 v44, 8, v39
	v_lshrrev_b32_e32 v43, 16, v39
	s_waitcnt lgkmcnt(0)
	v_sub_nc_u32_e32 v1, v1, v17
	v_and_b32_e32 v39, 1, v39
	v_sub_nc_u32_e32 v3, v3, v17
	v_add_nc_u32_e32 v33, v16, v33
	v_sub_nc_u32_e32 v2, v2, v17
	v_sub_nc_u32_e32 v4, v4, v17
	v_cmp_eq_u32_e32 vcc_lo, 1, v39
	v_and_b32_e32 v39, 1, v43
	v_sub_nc_u32_e32 v45, v33, v1
	v_and_b32_e32 v44, 1, v44
	v_sub_nc_u32_e32 v43, v33, v2
	v_lshrrev_b32_e32 v42, 8, v37
	v_lshrrev_b32_e32 v41, 16, v37
	v_cndmask_b32_e32 v1, v45, v1, vcc_lo
	v_sub_nc_u32_e32 v45, v33, v3
	v_add_nc_u32_e32 v43, 1, v43
	v_cmp_eq_u32_e32 vcc_lo, 1, v44
	v_and_b32_e32 v40, 1, v40
	v_lshlrev_b32_e32 v1, 2, v1
	v_add_nc_u32_e32 v45, 2, v45
	v_lshrrev_b32_e32 v15, 8, v35
	v_lshrrev_b32_e32 v14, 16, v35
	ds_store_b32 v1, v28
	v_cndmask_b32_e32 v1, v43, v2, vcc_lo
	v_cmp_eq_u32_e32 vcc_lo, 1, v39
	v_or_b32_e32 v28, 0x500, v0
	s_delay_alu instid0(VALU_DEP_3)
	v_dual_cndmask_b32 v2, v45, v3 :: v_dual_lshlrev_b32 v1, 2, v1
	v_sub_nc_u32_e32 v46, v33, v4
	v_cmp_eq_u32_e32 vcc_lo, 1, v40
	ds_store_b32 v1, v29
	v_lshlrev_b32_e32 v2, 2, v2
	v_add_nc_u32_e32 v46, 3, v46
	v_or_b32_e32 v29, 0x400, v0
	s_delay_alu instid0(VALU_DEP_2) | instskip(SKIP_2) | instid1(VALU_DEP_3)
	v_cndmask_b32_e32 v3, v46, v4, vcc_lo
	v_sub_nc_u32_e32 v4, v5, v17
	v_sub_nc_u32_e32 v5, v6, v17
	v_lshlrev_b32_e32 v3, 2, v3
	s_delay_alu instid0(VALU_DEP_3) | instskip(NEXT) | instid1(VALU_DEP_3)
	v_sub_nc_u32_e32 v1, v33, v4
	v_sub_nc_u32_e32 v6, v33, v5
	ds_store_b32 v2, v26
	ds_store_b32 v3, v27
	v_and_b32_e32 v2, 1, v37
	v_add_nc_u32_e32 v1, 4, v1
	v_add_nc_u32_e32 v3, 5, v6
	v_sub_nc_u32_e32 v6, v7, v17
	v_and_b32_e32 v7, 1, v42
	v_cmp_eq_u32_e32 vcc_lo, 1, v2
	v_sub_nc_u32_e32 v2, v8, v17
	v_and_b32_e32 v8, 1, v38
	v_or_b32_e32 v27, 0x600, v0
	v_or_b32_e32 v26, 0x700, v0
	v_cndmask_b32_e32 v1, v1, v4, vcc_lo
	v_sub_nc_u32_e32 v4, v33, v6
	v_cmp_eq_u32_e32 vcc_lo, 1, v7
	v_and_b32_e32 v7, 1, v41
	s_delay_alu instid0(VALU_DEP_4) | instskip(NEXT) | instid1(VALU_DEP_4)
	v_lshlrev_b32_e32 v1, 2, v1
	v_dual_cndmask_b32 v3, v3, v5 :: v_dual_add_nc_u32 v4, 6, v4
	v_sub_nc_u32_e32 v5, v33, v2
	s_delay_alu instid0(VALU_DEP_4) | instskip(SKIP_1) | instid1(VALU_DEP_4)
	v_cmp_eq_u32_e32 vcc_lo, 1, v7
	v_sub_nc_u32_e32 v7, v13, v17
	v_lshlrev_b32_e32 v3, 2, v3
	s_delay_alu instid0(VALU_DEP_4)
	v_dual_cndmask_b32 v4, v4, v6 :: v_dual_add_nc_u32 v5, 7, v5
	v_cmp_eq_u32_e32 vcc_lo, 1, v8
	v_sub_nc_u32_e32 v6, v9, v17
	ds_store_b32 v1, v24
	ds_store_b32 v3, v25
	v_or_b32_e32 v25, 0x800, v0
	v_dual_cndmask_b32 v2, v5, v2 :: v_dual_lshlrev_b32 v3, 2, v4
	v_and_b32_e32 v5, 1, v35
	v_sub_nc_u32_e32 v1, v33, v6
	v_sub_nc_u32_e32 v4, v10, v17
	v_and_b32_e32 v10, 1, v36
	v_or_b32_e32 v24, 0x900, v0
	v_cmp_eq_u32_e32 vcc_lo, 1, v5
	v_sub_nc_u32_e32 v5, v12, v17
	v_add_nc_u32_e32 v1, 8, v1
	s_delay_alu instid0(VALU_DEP_2) | instskip(NEXT) | instid1(VALU_DEP_2)
	v_sub_nc_u32_e32 v9, v33, v5
	v_dual_cndmask_b32 v1, v1, v6 :: v_dual_and_b32 v6, 1, v15
	v_add_co_u32 v15, s0, s18, v17
	s_delay_alu instid0(VALU_DEP_3)
	v_add_nc_u32_e32 v9, 11, v9
	v_lshlrev_b32_e32 v2, 2, v2
	ds_store_b32 v3, v22
	ds_store_b32 v2, v23
	v_sub_nc_u32_e32 v3, v11, v17
	v_sub_nc_u32_e32 v2, v33, v4
	v_cmp_eq_u32_e32 vcc_lo, 1, v6
	v_and_b32_e32 v11, 1, v34
	v_lshlrev_b32_e32 v1, 2, v1
	v_sub_nc_u32_e32 v8, v33, v3
	v_add_nc_u32_e32 v2, 9, v2
	v_add_co_ci_u32_e64 v17, null, s19, 0, s0
	s_add_u32 s0, s16, s23
	s_delay_alu instid0(VALU_DEP_3)
	v_add_nc_u32_e32 v6, 10, v8
	v_and_b32_e32 v8, 1, v14
	v_cndmask_b32_e32 v2, v2, v4, vcc_lo
	v_sub_nc_u32_e32 v4, v33, v7
	s_addc_u32 s1, s17, 0
	s_sub_u32 s0, s12, s0
	v_cmp_eq_u32_e32 vcc_lo, 1, v8
	v_lshlrev_b32_e32 v2, 2, v2
	v_add_nc_u32_e32 v4, 12, v4
	s_subb_u32 s1, s13, s1
	v_add_co_u32 v13, s0, s0, v16
	v_cndmask_b32_e32 v3, v6, v3, vcc_lo
	v_cmp_eq_u32_e32 vcc_lo, 1, v10
	v_add_co_ci_u32_e64 v14, null, s1, 0, s0
	v_or_b32_e32 v34, 0x100, v0
	s_delay_alu instid0(VALU_DEP_4)
	v_lshlrev_b32_e32 v3, 2, v3
	v_cndmask_b32_e32 v5, v9, v5, vcc_lo
	v_cmp_eq_u32_e32 vcc_lo, 1, v11
	v_or_b32_e32 v33, 0x200, v0
	v_or_b32_e32 v23, 0xa00, v0
	;; [unrolled: 1-line block ×3, first 2 shown]
	v_dual_cndmask_b32 v4, v4, v7 :: v_dual_lshlrev_b32 v5, 2, v5
	v_cmp_ne_u32_e32 vcc_lo, 1, v31
	s_delay_alu instid0(VALU_DEP_2)
	v_lshlrev_b32_e32 v4, 2, v4
	ds_store_b32 v1, v20
	ds_store_b32 v2, v21
	;; [unrolled: 1-line block ×5, first 2 shown]
	s_waitcnt lgkmcnt(0)
	s_barrier
	buffer_gl0_inv
	ds_load_2addr_stride64_b32 v[11:12], v30 offset1:4
	ds_load_2addr_stride64_b32 v[9:10], v30 offset0:8 offset1:12
	ds_load_2addr_stride64_b32 v[7:8], v30 offset0:16 offset1:20
	;; [unrolled: 1-line block ×5, first 2 shown]
	ds_load_b32 v18, v30 offset:12288
	v_add_co_u32 v20, s0, v13, v15
	v_or_b32_e32 v32, 0x300, v0
	v_or_b32_e32 v19, 0xc00, v0
	v_add_co_ci_u32_e64 v21, s0, v14, v17, s0
	s_mov_b32 s0, 0
	s_cbranch_vccnz .LBB797_130
; %bb.77:
	s_mov_b32 s0, exec_lo
                                        ; implicit-def: $vgpr13_vgpr14
	v_cmpx_ge_u32_e64 v0, v16
	s_xor_b32 s0, exec_lo, s0
; %bb.78:
	v_not_b32_e32 v13, v0
	s_delay_alu instid0(VALU_DEP_1) | instskip(SKIP_1) | instid1(VALU_DEP_2)
	v_ashrrev_i32_e32 v14, 31, v13
	v_add_co_u32 v13, vcc_lo, v20, v13
	v_add_co_ci_u32_e32 v14, vcc_lo, v21, v14, vcc_lo
; %bb.79:
	s_and_not1_saveexec_b32 s0, s0
; %bb.80:
	v_add_co_u32 v13, vcc_lo, v15, v0
	v_add_co_ci_u32_e32 v14, vcc_lo, 0, v17, vcc_lo
; %bb.81:
	s_or_b32 exec_lo, exec_lo, s0
	s_delay_alu instid0(VALU_DEP_1) | instskip(SKIP_1) | instid1(VALU_DEP_1)
	v_lshlrev_b64 v[13:14], 2, v[13:14]
	s_mov_b32 s0, exec_lo
	v_add_co_u32 v13, vcc_lo, s10, v13
	s_delay_alu instid0(VALU_DEP_2)
	v_add_co_ci_u32_e32 v14, vcc_lo, s11, v14, vcc_lo
	s_waitcnt lgkmcnt(6)
	global_store_b32 v[13:14], v11, off
                                        ; implicit-def: $vgpr13_vgpr14
	v_cmpx_ge_u32_e64 v34, v16
	s_xor_b32 s0, exec_lo, s0
; %bb.82:
	v_xor_b32_e32 v13, 0xfffffeff, v0
	s_delay_alu instid0(VALU_DEP_1) | instskip(SKIP_1) | instid1(VALU_DEP_2)
	v_ashrrev_i32_e32 v14, 31, v13
	v_add_co_u32 v13, vcc_lo, v20, v13
	v_add_co_ci_u32_e32 v14, vcc_lo, v21, v14, vcc_lo
; %bb.83:
	s_and_not1_saveexec_b32 s0, s0
; %bb.84:
	v_add_co_u32 v13, vcc_lo, v15, v34
	v_add_co_ci_u32_e32 v14, vcc_lo, 0, v17, vcc_lo
; %bb.85:
	s_or_b32 exec_lo, exec_lo, s0
	s_delay_alu instid0(VALU_DEP_1) | instskip(SKIP_1) | instid1(VALU_DEP_1)
	v_lshlrev_b64 v[13:14], 2, v[13:14]
	s_mov_b32 s0, exec_lo
	v_add_co_u32 v13, vcc_lo, s10, v13
	s_delay_alu instid0(VALU_DEP_2)
	v_add_co_ci_u32_e32 v14, vcc_lo, s11, v14, vcc_lo
	global_store_b32 v[13:14], v12, off
                                        ; implicit-def: $vgpr13_vgpr14
	v_cmpx_ge_u32_e64 v33, v16
	s_xor_b32 s0, exec_lo, s0
; %bb.86:
	v_xor_b32_e32 v13, 0xfffffdff, v0
	s_delay_alu instid0(VALU_DEP_1) | instskip(SKIP_1) | instid1(VALU_DEP_2)
	v_ashrrev_i32_e32 v14, 31, v13
	v_add_co_u32 v13, vcc_lo, v20, v13
	v_add_co_ci_u32_e32 v14, vcc_lo, v21, v14, vcc_lo
; %bb.87:
	s_and_not1_saveexec_b32 s0, s0
; %bb.88:
	v_add_co_u32 v13, vcc_lo, v15, v33
	v_add_co_ci_u32_e32 v14, vcc_lo, 0, v17, vcc_lo
; %bb.89:
	s_or_b32 exec_lo, exec_lo, s0
	s_delay_alu instid0(VALU_DEP_1) | instskip(SKIP_1) | instid1(VALU_DEP_1)
	v_lshlrev_b64 v[13:14], 2, v[13:14]
	s_mov_b32 s0, exec_lo
	v_add_co_u32 v13, vcc_lo, s10, v13
	s_delay_alu instid0(VALU_DEP_2)
	v_add_co_ci_u32_e32 v14, vcc_lo, s11, v14, vcc_lo
	s_waitcnt lgkmcnt(5)
	global_store_b32 v[13:14], v9, off
                                        ; implicit-def: $vgpr13_vgpr14
	v_cmpx_ge_u32_e64 v32, v16
	s_xor_b32 s0, exec_lo, s0
; %bb.90:
	v_xor_b32_e32 v13, 0xfffffcff, v0
	s_delay_alu instid0(VALU_DEP_1) | instskip(SKIP_1) | instid1(VALU_DEP_2)
	v_ashrrev_i32_e32 v14, 31, v13
	v_add_co_u32 v13, vcc_lo, v20, v13
	v_add_co_ci_u32_e32 v14, vcc_lo, v21, v14, vcc_lo
; %bb.91:
	s_and_not1_saveexec_b32 s0, s0
; %bb.92:
	v_add_co_u32 v13, vcc_lo, v15, v32
	v_add_co_ci_u32_e32 v14, vcc_lo, 0, v17, vcc_lo
; %bb.93:
	s_or_b32 exec_lo, exec_lo, s0
	s_delay_alu instid0(VALU_DEP_1) | instskip(SKIP_1) | instid1(VALU_DEP_1)
	v_lshlrev_b64 v[13:14], 2, v[13:14]
	s_mov_b32 s0, exec_lo
	v_add_co_u32 v13, vcc_lo, s10, v13
	s_delay_alu instid0(VALU_DEP_2)
	v_add_co_ci_u32_e32 v14, vcc_lo, s11, v14, vcc_lo
	global_store_b32 v[13:14], v10, off
                                        ; implicit-def: $vgpr13_vgpr14
	v_cmpx_ge_u32_e64 v29, v16
	s_xor_b32 s0, exec_lo, s0
; %bb.94:
	v_xor_b32_e32 v13, 0xfffffbff, v0
	;; [unrolled: 47-line block ×6, first 2 shown]
	s_delay_alu instid0(VALU_DEP_1) | instskip(SKIP_1) | instid1(VALU_DEP_2)
	v_ashrrev_i32_e32 v14, 31, v13
	v_add_co_u32 v13, vcc_lo, v20, v13
	v_add_co_ci_u32_e32 v14, vcc_lo, v21, v14, vcc_lo
; %bb.127:
	s_and_not1_saveexec_b32 s0, s0
; %bb.128:
	v_add_co_u32 v13, vcc_lo, v15, v19
	v_add_co_ci_u32_e32 v14, vcc_lo, 0, v17, vcc_lo
; %bb.129:
	s_or_b32 exec_lo, exec_lo, s0
	s_mov_b32 s0, -1
	s_branch .LBB797_210
.LBB797_130:
                                        ; implicit-def: $vgpr13_vgpr14
	s_cbranch_execz .LBB797_210
; %bb.131:
	s_mov_b32 s1, exec_lo
	v_cmpx_gt_u32_e64 s22, v0
	s_cbranch_execz .LBB797_167
; %bb.132:
	s_mov_b32 s2, exec_lo
                                        ; implicit-def: $vgpr13_vgpr14
	v_cmpx_ge_u32_e64 v0, v16
	s_xor_b32 s2, exec_lo, s2
; %bb.133:
	v_not_b32_e32 v13, v0
	s_delay_alu instid0(VALU_DEP_1) | instskip(SKIP_1) | instid1(VALU_DEP_2)
	v_ashrrev_i32_e32 v14, 31, v13
	v_add_co_u32 v13, vcc_lo, v20, v13
	v_add_co_ci_u32_e32 v14, vcc_lo, v21, v14, vcc_lo
; %bb.134:
	s_and_not1_saveexec_b32 s2, s2
; %bb.135:
	v_add_co_u32 v13, vcc_lo, v15, v0
	v_add_co_ci_u32_e32 v14, vcc_lo, 0, v17, vcc_lo
; %bb.136:
	s_or_b32 exec_lo, exec_lo, s2
	s_delay_alu instid0(VALU_DEP_1) | instskip(NEXT) | instid1(VALU_DEP_1)
	v_lshlrev_b64 v[13:14], 2, v[13:14]
	v_add_co_u32 v13, vcc_lo, s10, v13
	s_delay_alu instid0(VALU_DEP_2) | instskip(SKIP_3) | instid1(SALU_CYCLE_1)
	v_add_co_ci_u32_e32 v14, vcc_lo, s11, v14, vcc_lo
	s_waitcnt lgkmcnt(6)
	global_store_b32 v[13:14], v11, off
	s_or_b32 exec_lo, exec_lo, s1
	s_mov_b32 s1, exec_lo
	v_cmpx_gt_u32_e64 s22, v34
	s_cbranch_execnz .LBB797_168
.LBB797_137:
	s_or_b32 exec_lo, exec_lo, s1
	s_delay_alu instid0(SALU_CYCLE_1)
	s_mov_b32 s1, exec_lo
	v_cmpx_gt_u32_e64 s22, v33
	s_cbranch_execz .LBB797_173
.LBB797_138:
	s_mov_b32 s2, exec_lo
                                        ; implicit-def: $vgpr11_vgpr12
	v_cmpx_ge_u32_e64 v33, v16
	s_xor_b32 s2, exec_lo, s2
	s_cbranch_execz .LBB797_140
; %bb.139:
	s_waitcnt lgkmcnt(6)
	v_xor_b32_e32 v11, 0xfffffdff, v0
                                        ; implicit-def: $vgpr33
	s_delay_alu instid0(VALU_DEP_1) | instskip(SKIP_1) | instid1(VALU_DEP_2)
	v_ashrrev_i32_e32 v12, 31, v11
	v_add_co_u32 v11, vcc_lo, v20, v11
	v_add_co_ci_u32_e32 v12, vcc_lo, v21, v12, vcc_lo
.LBB797_140:
	s_and_not1_saveexec_b32 s2, s2
	s_cbranch_execz .LBB797_142
; %bb.141:
	s_waitcnt lgkmcnt(6)
	v_add_co_u32 v11, vcc_lo, v15, v33
	v_add_co_ci_u32_e32 v12, vcc_lo, 0, v17, vcc_lo
.LBB797_142:
	s_or_b32 exec_lo, exec_lo, s2
	s_waitcnt lgkmcnt(6)
	s_delay_alu instid0(VALU_DEP_1) | instskip(NEXT) | instid1(VALU_DEP_1)
	v_lshlrev_b64 v[11:12], 2, v[11:12]
	v_add_co_u32 v11, vcc_lo, s10, v11
	s_delay_alu instid0(VALU_DEP_2) | instskip(SKIP_3) | instid1(SALU_CYCLE_1)
	v_add_co_ci_u32_e32 v12, vcc_lo, s11, v12, vcc_lo
	s_waitcnt lgkmcnt(5)
	global_store_b32 v[11:12], v9, off
	s_or_b32 exec_lo, exec_lo, s1
	s_mov_b32 s1, exec_lo
	v_cmpx_gt_u32_e64 s22, v32
	s_cbranch_execnz .LBB797_174
.LBB797_143:
	s_or_b32 exec_lo, exec_lo, s1
	s_delay_alu instid0(SALU_CYCLE_1)
	s_mov_b32 s1, exec_lo
	v_cmpx_gt_u32_e64 s22, v29
	s_cbranch_execz .LBB797_179
.LBB797_144:
	s_mov_b32 s2, exec_lo
                                        ; implicit-def: $vgpr9_vgpr10
	v_cmpx_ge_u32_e64 v29, v16
	s_xor_b32 s2, exec_lo, s2
	s_cbranch_execz .LBB797_146
; %bb.145:
	s_waitcnt lgkmcnt(5)
	v_xor_b32_e32 v9, 0xfffffbff, v0
                                        ; implicit-def: $vgpr29
	s_delay_alu instid0(VALU_DEP_1) | instskip(SKIP_1) | instid1(VALU_DEP_2)
	v_ashrrev_i32_e32 v10, 31, v9
	v_add_co_u32 v9, vcc_lo, v20, v9
	v_add_co_ci_u32_e32 v10, vcc_lo, v21, v10, vcc_lo
.LBB797_146:
	s_and_not1_saveexec_b32 s2, s2
	s_cbranch_execz .LBB797_148
; %bb.147:
	s_waitcnt lgkmcnt(5)
	v_add_co_u32 v9, vcc_lo, v15, v29
	v_add_co_ci_u32_e32 v10, vcc_lo, 0, v17, vcc_lo
.LBB797_148:
	s_or_b32 exec_lo, exec_lo, s2
	s_waitcnt lgkmcnt(5)
	s_delay_alu instid0(VALU_DEP_1) | instskip(NEXT) | instid1(VALU_DEP_1)
	v_lshlrev_b64 v[9:10], 2, v[9:10]
	v_add_co_u32 v9, vcc_lo, s10, v9
	s_delay_alu instid0(VALU_DEP_2) | instskip(SKIP_3) | instid1(SALU_CYCLE_1)
	v_add_co_ci_u32_e32 v10, vcc_lo, s11, v10, vcc_lo
	s_waitcnt lgkmcnt(4)
	global_store_b32 v[9:10], v7, off
	s_or_b32 exec_lo, exec_lo, s1
	s_mov_b32 s1, exec_lo
	v_cmpx_gt_u32_e64 s22, v28
	s_cbranch_execnz .LBB797_180
.LBB797_149:
	s_or_b32 exec_lo, exec_lo, s1
	s_delay_alu instid0(SALU_CYCLE_1)
	s_mov_b32 s1, exec_lo
	v_cmpx_gt_u32_e64 s22, v27
	s_cbranch_execz .LBB797_185
.LBB797_150:
	s_mov_b32 s2, exec_lo
                                        ; implicit-def: $vgpr7_vgpr8
	v_cmpx_ge_u32_e64 v27, v16
	s_xor_b32 s2, exec_lo, s2
	s_cbranch_execz .LBB797_152
; %bb.151:
	s_waitcnt lgkmcnt(4)
	v_xor_b32_e32 v7, 0xfffff9ff, v0
                                        ; implicit-def: $vgpr27
	s_delay_alu instid0(VALU_DEP_1) | instskip(SKIP_1) | instid1(VALU_DEP_2)
	v_ashrrev_i32_e32 v8, 31, v7
	v_add_co_u32 v7, vcc_lo, v20, v7
	v_add_co_ci_u32_e32 v8, vcc_lo, v21, v8, vcc_lo
.LBB797_152:
	s_and_not1_saveexec_b32 s2, s2
	s_cbranch_execz .LBB797_154
; %bb.153:
	s_waitcnt lgkmcnt(4)
	v_add_co_u32 v7, vcc_lo, v15, v27
	v_add_co_ci_u32_e32 v8, vcc_lo, 0, v17, vcc_lo
.LBB797_154:
	s_or_b32 exec_lo, exec_lo, s2
	s_waitcnt lgkmcnt(4)
	s_delay_alu instid0(VALU_DEP_1) | instskip(NEXT) | instid1(VALU_DEP_1)
	v_lshlrev_b64 v[7:8], 2, v[7:8]
	v_add_co_u32 v7, vcc_lo, s10, v7
	s_delay_alu instid0(VALU_DEP_2) | instskip(SKIP_3) | instid1(SALU_CYCLE_1)
	v_add_co_ci_u32_e32 v8, vcc_lo, s11, v8, vcc_lo
	s_waitcnt lgkmcnt(3)
	global_store_b32 v[7:8], v5, off
	s_or_b32 exec_lo, exec_lo, s1
	s_mov_b32 s1, exec_lo
	v_cmpx_gt_u32_e64 s22, v26
	s_cbranch_execnz .LBB797_186
.LBB797_155:
	s_or_b32 exec_lo, exec_lo, s1
	s_delay_alu instid0(SALU_CYCLE_1)
	s_mov_b32 s1, exec_lo
	v_cmpx_gt_u32_e64 s22, v25
	s_cbranch_execz .LBB797_191
.LBB797_156:
	s_mov_b32 s2, exec_lo
                                        ; implicit-def: $vgpr5_vgpr6
	v_cmpx_ge_u32_e64 v25, v16
	s_xor_b32 s2, exec_lo, s2
	s_cbranch_execz .LBB797_158
; %bb.157:
	s_waitcnt lgkmcnt(3)
	v_xor_b32_e32 v5, 0xfffff7ff, v0
                                        ; implicit-def: $vgpr25
	s_delay_alu instid0(VALU_DEP_1) | instskip(SKIP_1) | instid1(VALU_DEP_2)
	v_ashrrev_i32_e32 v6, 31, v5
	v_add_co_u32 v5, vcc_lo, v20, v5
	v_add_co_ci_u32_e32 v6, vcc_lo, v21, v6, vcc_lo
.LBB797_158:
	s_and_not1_saveexec_b32 s2, s2
	s_cbranch_execz .LBB797_160
; %bb.159:
	s_waitcnt lgkmcnt(3)
	v_add_co_u32 v5, vcc_lo, v15, v25
	v_add_co_ci_u32_e32 v6, vcc_lo, 0, v17, vcc_lo
.LBB797_160:
	s_or_b32 exec_lo, exec_lo, s2
	s_waitcnt lgkmcnt(3)
	s_delay_alu instid0(VALU_DEP_1) | instskip(NEXT) | instid1(VALU_DEP_1)
	v_lshlrev_b64 v[5:6], 2, v[5:6]
	v_add_co_u32 v5, vcc_lo, s10, v5
	s_delay_alu instid0(VALU_DEP_2) | instskip(SKIP_3) | instid1(SALU_CYCLE_1)
	v_add_co_ci_u32_e32 v6, vcc_lo, s11, v6, vcc_lo
	s_waitcnt lgkmcnt(2)
	global_store_b32 v[5:6], v3, off
	s_or_b32 exec_lo, exec_lo, s1
	s_mov_b32 s1, exec_lo
	v_cmpx_gt_u32_e64 s22, v24
	s_cbranch_execnz .LBB797_192
.LBB797_161:
	s_or_b32 exec_lo, exec_lo, s1
	s_delay_alu instid0(SALU_CYCLE_1)
	s_mov_b32 s1, exec_lo
	v_cmpx_gt_u32_e64 s22, v23
	s_cbranch_execz .LBB797_197
.LBB797_162:
	s_mov_b32 s2, exec_lo
                                        ; implicit-def: $vgpr3_vgpr4
	v_cmpx_ge_u32_e64 v23, v16
	s_xor_b32 s2, exec_lo, s2
	s_cbranch_execz .LBB797_164
; %bb.163:
	s_waitcnt lgkmcnt(2)
	v_xor_b32_e32 v3, 0xfffff5ff, v0
                                        ; implicit-def: $vgpr23
	s_delay_alu instid0(VALU_DEP_1) | instskip(SKIP_1) | instid1(VALU_DEP_2)
	v_ashrrev_i32_e32 v4, 31, v3
	v_add_co_u32 v3, vcc_lo, v20, v3
	v_add_co_ci_u32_e32 v4, vcc_lo, v21, v4, vcc_lo
.LBB797_164:
	s_and_not1_saveexec_b32 s2, s2
	s_cbranch_execz .LBB797_166
; %bb.165:
	s_waitcnt lgkmcnt(2)
	v_add_co_u32 v3, vcc_lo, v15, v23
	v_add_co_ci_u32_e32 v4, vcc_lo, 0, v17, vcc_lo
.LBB797_166:
	s_or_b32 exec_lo, exec_lo, s2
	s_waitcnt lgkmcnt(2)
	s_delay_alu instid0(VALU_DEP_1) | instskip(NEXT) | instid1(VALU_DEP_1)
	v_lshlrev_b64 v[3:4], 2, v[3:4]
	v_add_co_u32 v3, vcc_lo, s10, v3
	s_delay_alu instid0(VALU_DEP_2) | instskip(SKIP_3) | instid1(SALU_CYCLE_1)
	v_add_co_ci_u32_e32 v4, vcc_lo, s11, v4, vcc_lo
	s_waitcnt lgkmcnt(1)
	global_store_b32 v[3:4], v1, off
	s_or_b32 exec_lo, exec_lo, s1
	s_mov_b32 s1, exec_lo
	v_cmpx_gt_u32_e64 s22, v22
	s_cbranch_execz .LBB797_203
	s_branch .LBB797_198
.LBB797_167:
	s_or_b32 exec_lo, exec_lo, s1
	s_delay_alu instid0(SALU_CYCLE_1)
	s_mov_b32 s1, exec_lo
	v_cmpx_gt_u32_e64 s22, v34
	s_cbranch_execz .LBB797_137
.LBB797_168:
	s_mov_b32 s2, exec_lo
                                        ; implicit-def: $vgpr13_vgpr14
	v_cmpx_ge_u32_e64 v34, v16
	s_xor_b32 s2, exec_lo, s2
	s_cbranch_execz .LBB797_170
; %bb.169:
	s_waitcnt lgkmcnt(6)
	v_xor_b32_e32 v11, 0xfffffeff, v0
                                        ; implicit-def: $vgpr34
	s_delay_alu instid0(VALU_DEP_1) | instskip(SKIP_1) | instid1(VALU_DEP_2)
	v_ashrrev_i32_e32 v14, 31, v11
	v_add_co_u32 v13, vcc_lo, v20, v11
	v_add_co_ci_u32_e32 v14, vcc_lo, v21, v14, vcc_lo
.LBB797_170:
	s_and_not1_saveexec_b32 s2, s2
; %bb.171:
	v_add_co_u32 v13, vcc_lo, v15, v34
	v_add_co_ci_u32_e32 v14, vcc_lo, 0, v17, vcc_lo
; %bb.172:
	s_or_b32 exec_lo, exec_lo, s2
	s_delay_alu instid0(VALU_DEP_1) | instskip(NEXT) | instid1(VALU_DEP_1)
	v_lshlrev_b64 v[13:14], 2, v[13:14]
	v_add_co_u32 v13, vcc_lo, s10, v13
	s_delay_alu instid0(VALU_DEP_2) | instskip(SKIP_3) | instid1(SALU_CYCLE_1)
	v_add_co_ci_u32_e32 v14, vcc_lo, s11, v14, vcc_lo
	s_waitcnt lgkmcnt(6)
	global_store_b32 v[13:14], v12, off
	s_or_b32 exec_lo, exec_lo, s1
	s_mov_b32 s1, exec_lo
	v_cmpx_gt_u32_e64 s22, v33
	s_cbranch_execnz .LBB797_138
.LBB797_173:
	s_or_b32 exec_lo, exec_lo, s1
	s_delay_alu instid0(SALU_CYCLE_1)
	s_mov_b32 s1, exec_lo
	v_cmpx_gt_u32_e64 s22, v32
	s_cbranch_execz .LBB797_143
.LBB797_174:
	s_mov_b32 s2, exec_lo
                                        ; implicit-def: $vgpr11_vgpr12
	v_cmpx_ge_u32_e64 v32, v16
	s_xor_b32 s2, exec_lo, s2
	s_cbranch_execz .LBB797_176
; %bb.175:
	s_waitcnt lgkmcnt(5)
	v_xor_b32_e32 v9, 0xfffffcff, v0
                                        ; implicit-def: $vgpr32
	s_delay_alu instid0(VALU_DEP_1) | instskip(SKIP_1) | instid1(VALU_DEP_2)
	v_ashrrev_i32_e32 v12, 31, v9
	v_add_co_u32 v11, vcc_lo, v20, v9
	v_add_co_ci_u32_e32 v12, vcc_lo, v21, v12, vcc_lo
.LBB797_176:
	s_and_not1_saveexec_b32 s2, s2
	s_cbranch_execz .LBB797_178
; %bb.177:
	s_waitcnt lgkmcnt(6)
	v_add_co_u32 v11, vcc_lo, v15, v32
	v_add_co_ci_u32_e32 v12, vcc_lo, 0, v17, vcc_lo
.LBB797_178:
	s_or_b32 exec_lo, exec_lo, s2
	s_waitcnt lgkmcnt(6)
	s_delay_alu instid0(VALU_DEP_1) | instskip(NEXT) | instid1(VALU_DEP_1)
	v_lshlrev_b64 v[11:12], 2, v[11:12]
	v_add_co_u32 v11, vcc_lo, s10, v11
	s_delay_alu instid0(VALU_DEP_2) | instskip(SKIP_3) | instid1(SALU_CYCLE_1)
	v_add_co_ci_u32_e32 v12, vcc_lo, s11, v12, vcc_lo
	s_waitcnt lgkmcnt(5)
	global_store_b32 v[11:12], v10, off
	s_or_b32 exec_lo, exec_lo, s1
	s_mov_b32 s1, exec_lo
	v_cmpx_gt_u32_e64 s22, v29
	s_cbranch_execnz .LBB797_144
.LBB797_179:
	s_or_b32 exec_lo, exec_lo, s1
	s_delay_alu instid0(SALU_CYCLE_1)
	s_mov_b32 s1, exec_lo
	v_cmpx_gt_u32_e64 s22, v28
	s_cbranch_execz .LBB797_149
.LBB797_180:
	s_mov_b32 s2, exec_lo
                                        ; implicit-def: $vgpr9_vgpr10
	v_cmpx_ge_u32_e64 v28, v16
	s_xor_b32 s2, exec_lo, s2
	s_cbranch_execz .LBB797_182
; %bb.181:
	s_waitcnt lgkmcnt(4)
	v_xor_b32_e32 v7, 0xfffffaff, v0
                                        ; implicit-def: $vgpr28
	s_delay_alu instid0(VALU_DEP_1) | instskip(SKIP_1) | instid1(VALU_DEP_2)
	v_ashrrev_i32_e32 v10, 31, v7
	v_add_co_u32 v9, vcc_lo, v20, v7
	v_add_co_ci_u32_e32 v10, vcc_lo, v21, v10, vcc_lo
.LBB797_182:
	s_and_not1_saveexec_b32 s2, s2
	s_cbranch_execz .LBB797_184
; %bb.183:
	s_waitcnt lgkmcnt(5)
	v_add_co_u32 v9, vcc_lo, v15, v28
	v_add_co_ci_u32_e32 v10, vcc_lo, 0, v17, vcc_lo
.LBB797_184:
	s_or_b32 exec_lo, exec_lo, s2
	s_waitcnt lgkmcnt(5)
	s_delay_alu instid0(VALU_DEP_1) | instskip(NEXT) | instid1(VALU_DEP_1)
	v_lshlrev_b64 v[9:10], 2, v[9:10]
	v_add_co_u32 v9, vcc_lo, s10, v9
	s_delay_alu instid0(VALU_DEP_2) | instskip(SKIP_3) | instid1(SALU_CYCLE_1)
	v_add_co_ci_u32_e32 v10, vcc_lo, s11, v10, vcc_lo
	s_waitcnt lgkmcnt(4)
	global_store_b32 v[9:10], v8, off
	s_or_b32 exec_lo, exec_lo, s1
	s_mov_b32 s1, exec_lo
	v_cmpx_gt_u32_e64 s22, v27
	s_cbranch_execnz .LBB797_150
.LBB797_185:
	s_or_b32 exec_lo, exec_lo, s1
	s_delay_alu instid0(SALU_CYCLE_1)
	s_mov_b32 s1, exec_lo
	v_cmpx_gt_u32_e64 s22, v26
	s_cbranch_execz .LBB797_155
.LBB797_186:
	s_mov_b32 s2, exec_lo
                                        ; implicit-def: $vgpr7_vgpr8
	v_cmpx_ge_u32_e64 v26, v16
	s_xor_b32 s2, exec_lo, s2
	s_cbranch_execz .LBB797_188
; %bb.187:
	s_waitcnt lgkmcnt(3)
	v_xor_b32_e32 v5, 0xfffff8ff, v0
                                        ; implicit-def: $vgpr26
	s_delay_alu instid0(VALU_DEP_1) | instskip(SKIP_1) | instid1(VALU_DEP_2)
	v_ashrrev_i32_e32 v8, 31, v5
	v_add_co_u32 v7, vcc_lo, v20, v5
	v_add_co_ci_u32_e32 v8, vcc_lo, v21, v8, vcc_lo
.LBB797_188:
	s_and_not1_saveexec_b32 s2, s2
	s_cbranch_execz .LBB797_190
; %bb.189:
	s_waitcnt lgkmcnt(4)
	v_add_co_u32 v7, vcc_lo, v15, v26
	v_add_co_ci_u32_e32 v8, vcc_lo, 0, v17, vcc_lo
.LBB797_190:
	s_or_b32 exec_lo, exec_lo, s2
	s_waitcnt lgkmcnt(4)
	s_delay_alu instid0(VALU_DEP_1) | instskip(NEXT) | instid1(VALU_DEP_1)
	v_lshlrev_b64 v[7:8], 2, v[7:8]
	v_add_co_u32 v7, vcc_lo, s10, v7
	s_delay_alu instid0(VALU_DEP_2) | instskip(SKIP_3) | instid1(SALU_CYCLE_1)
	v_add_co_ci_u32_e32 v8, vcc_lo, s11, v8, vcc_lo
	s_waitcnt lgkmcnt(3)
	global_store_b32 v[7:8], v6, off
	s_or_b32 exec_lo, exec_lo, s1
	s_mov_b32 s1, exec_lo
	v_cmpx_gt_u32_e64 s22, v25
	s_cbranch_execnz .LBB797_156
.LBB797_191:
	s_or_b32 exec_lo, exec_lo, s1
	s_delay_alu instid0(SALU_CYCLE_1)
	s_mov_b32 s1, exec_lo
	v_cmpx_gt_u32_e64 s22, v24
	s_cbranch_execz .LBB797_161
.LBB797_192:
	s_mov_b32 s2, exec_lo
                                        ; implicit-def: $vgpr5_vgpr6
	v_cmpx_ge_u32_e64 v24, v16
	s_xor_b32 s2, exec_lo, s2
	s_cbranch_execz .LBB797_194
; %bb.193:
	s_waitcnt lgkmcnt(2)
	v_xor_b32_e32 v3, 0xfffff6ff, v0
                                        ; implicit-def: $vgpr24
	s_delay_alu instid0(VALU_DEP_1) | instskip(SKIP_1) | instid1(VALU_DEP_2)
	v_ashrrev_i32_e32 v6, 31, v3
	v_add_co_u32 v5, vcc_lo, v20, v3
	v_add_co_ci_u32_e32 v6, vcc_lo, v21, v6, vcc_lo
.LBB797_194:
	s_and_not1_saveexec_b32 s2, s2
	s_cbranch_execz .LBB797_196
; %bb.195:
	s_waitcnt lgkmcnt(3)
	v_add_co_u32 v5, vcc_lo, v15, v24
	v_add_co_ci_u32_e32 v6, vcc_lo, 0, v17, vcc_lo
.LBB797_196:
	s_or_b32 exec_lo, exec_lo, s2
	s_waitcnt lgkmcnt(3)
	s_delay_alu instid0(VALU_DEP_1) | instskip(NEXT) | instid1(VALU_DEP_1)
	v_lshlrev_b64 v[5:6], 2, v[5:6]
	v_add_co_u32 v5, vcc_lo, s10, v5
	s_delay_alu instid0(VALU_DEP_2) | instskip(SKIP_3) | instid1(SALU_CYCLE_1)
	v_add_co_ci_u32_e32 v6, vcc_lo, s11, v6, vcc_lo
	s_waitcnt lgkmcnt(2)
	global_store_b32 v[5:6], v4, off
	s_or_b32 exec_lo, exec_lo, s1
	s_mov_b32 s1, exec_lo
	v_cmpx_gt_u32_e64 s22, v23
	s_cbranch_execnz .LBB797_162
.LBB797_197:
	s_or_b32 exec_lo, exec_lo, s1
	s_delay_alu instid0(SALU_CYCLE_1)
	s_mov_b32 s1, exec_lo
	v_cmpx_gt_u32_e64 s22, v22
	s_cbranch_execz .LBB797_203
.LBB797_198:
	s_mov_b32 s2, exec_lo
                                        ; implicit-def: $vgpr3_vgpr4
	v_cmpx_ge_u32_e64 v22, v16
	s_xor_b32 s2, exec_lo, s2
	s_cbranch_execz .LBB797_200
; %bb.199:
	s_waitcnt lgkmcnt(1)
	v_xor_b32_e32 v1, 0xfffff4ff, v0
                                        ; implicit-def: $vgpr22
	s_delay_alu instid0(VALU_DEP_1) | instskip(SKIP_1) | instid1(VALU_DEP_2)
	v_ashrrev_i32_e32 v4, 31, v1
	v_add_co_u32 v3, vcc_lo, v20, v1
	v_add_co_ci_u32_e32 v4, vcc_lo, v21, v4, vcc_lo
.LBB797_200:
	s_and_not1_saveexec_b32 s2, s2
	s_cbranch_execz .LBB797_202
; %bb.201:
	s_waitcnt lgkmcnt(2)
	v_add_co_u32 v3, vcc_lo, v15, v22
	v_add_co_ci_u32_e32 v4, vcc_lo, 0, v17, vcc_lo
.LBB797_202:
	s_or_b32 exec_lo, exec_lo, s2
	s_waitcnt lgkmcnt(2)
	s_delay_alu instid0(VALU_DEP_1) | instskip(NEXT) | instid1(VALU_DEP_1)
	v_lshlrev_b64 v[3:4], 2, v[3:4]
	v_add_co_u32 v3, vcc_lo, s10, v3
	s_delay_alu instid0(VALU_DEP_2)
	v_add_co_ci_u32_e32 v4, vcc_lo, s11, v4, vcc_lo
	s_waitcnt lgkmcnt(1)
	global_store_b32 v[3:4], v2, off
.LBB797_203:
	s_or_b32 exec_lo, exec_lo, s1
	s_delay_alu instid0(SALU_CYCLE_1)
	s_mov_b32 s1, exec_lo
                                        ; implicit-def: $vgpr13_vgpr14
	v_cmpx_gt_u32_e64 s22, v19
	s_cbranch_execz .LBB797_209
; %bb.204:
	s_mov_b32 s2, exec_lo
                                        ; implicit-def: $vgpr13_vgpr14
	v_cmpx_ge_u32_e64 v19, v16
	s_xor_b32 s2, exec_lo, s2
	s_cbranch_execz .LBB797_206
; %bb.205:
	s_waitcnt lgkmcnt(1)
	v_xor_b32_e32 v1, 0xfffff3ff, v0
                                        ; implicit-def: $vgpr19
	s_delay_alu instid0(VALU_DEP_1) | instskip(SKIP_1) | instid1(VALU_DEP_2)
	v_ashrrev_i32_e32 v2, 31, v1
	v_add_co_u32 v13, vcc_lo, v20, v1
	v_add_co_ci_u32_e32 v14, vcc_lo, v21, v2, vcc_lo
.LBB797_206:
	s_and_not1_saveexec_b32 s2, s2
; %bb.207:
	v_add_co_u32 v13, vcc_lo, v15, v19
	v_add_co_ci_u32_e32 v14, vcc_lo, 0, v17, vcc_lo
; %bb.208:
	s_or_b32 exec_lo, exec_lo, s2
	s_delay_alu instid0(SALU_CYCLE_1)
	s_or_b32 s0, s0, exec_lo
.LBB797_209:
	s_or_b32 exec_lo, exec_lo, s1
.LBB797_210:
	s_and_saveexec_b32 s1, s0
	s_cbranch_execz .LBB797_212
; %bb.211:
	s_waitcnt lgkmcnt(1)
	v_lshlrev_b64 v[1:2], 2, v[13:14]
	s_delay_alu instid0(VALU_DEP_1) | instskip(NEXT) | instid1(VALU_DEP_2)
	v_add_co_u32 v1, vcc_lo, s10, v1
	v_add_co_ci_u32_e32 v2, vcc_lo, s11, v2, vcc_lo
	s_waitcnt lgkmcnt(0)
	global_store_b32 v[1:2], v18, off
.LBB797_212:
	s_or_b32 exec_lo, exec_lo, s1
	v_cmp_eq_u32_e32 vcc_lo, 0, v0
	s_and_b32 s0, vcc_lo, s14
	s_delay_alu instid0(SALU_CYCLE_1)
	s_and_saveexec_b32 s1, s0
	s_cbranch_execz .LBB797_214
; %bb.213:
	v_add_co_u32 v0, vcc_lo, v15, v16
	s_waitcnt lgkmcnt(1)
	v_mov_b32_e32 v2, 0
	v_add_co_ci_u32_e32 v1, vcc_lo, 0, v17, vcc_lo
	global_store_b64 v2, v[0:1], s[8:9]
.LBB797_214:
	s_nop 0
	s_sendmsg sendmsg(MSG_DEALLOC_VGPRS)
	s_endpgm
	.section	.rodata,"a",@progbits
	.p2align	6, 0x0
	.amdhsa_kernel _ZN7rocprim17ROCPRIM_400000_NS6detail17trampoline_kernelINS0_13select_configILj256ELj13ELNS0_17block_load_methodE3ELS4_3ELS4_3ELNS0_20block_scan_algorithmE0ELj4294967295EEENS1_25partition_config_selectorILNS1_17partition_subalgoE3EjNS0_10empty_typeEbEEZZNS1_14partition_implILS8_3ELb0ES6_jNS0_17counting_iteratorIjlEEPS9_SE_NS0_5tupleIJPjSE_EEENSF_IJSE_SE_EEES9_SG_JZNS1_25segmented_radix_sort_implINS0_14default_configELb0EPKlPlSM_SN_N2at6native12_GLOBAL__N_18offset_tEEE10hipError_tPvRmT1_PNSt15iterator_traitsISV_E10value_typeET2_T3_PNSW_IS11_E10value_typeET4_jRbjT5_S17_jjP12ihipStream_tbEUljE_EEESS_ST_SU_S11_S15_S17_T6_T7_T9_mT8_S19_bDpT10_ENKUlT_T0_E_clISt17integral_constantIbLb1EES1L_IbLb0EEEEDaS1H_S1I_EUlS1H_E_NS1_11comp_targetILNS1_3genE9ELNS1_11target_archE1100ELNS1_3gpuE3ELNS1_3repE0EEENS1_30default_config_static_selectorELNS0_4arch9wavefront6targetE0EEEvSV_
		.amdhsa_group_segment_fixed_size 13324
		.amdhsa_private_segment_fixed_size 0
		.amdhsa_kernarg_size 144
		.amdhsa_user_sgpr_count 15
		.amdhsa_user_sgpr_dispatch_ptr 0
		.amdhsa_user_sgpr_queue_ptr 0
		.amdhsa_user_sgpr_kernarg_segment_ptr 1
		.amdhsa_user_sgpr_dispatch_id 0
		.amdhsa_user_sgpr_private_segment_size 0
		.amdhsa_wavefront_size32 1
		.amdhsa_uses_dynamic_stack 0
		.amdhsa_enable_private_segment 0
		.amdhsa_system_sgpr_workgroup_id_x 1
		.amdhsa_system_sgpr_workgroup_id_y 0
		.amdhsa_system_sgpr_workgroup_id_z 0
		.amdhsa_system_sgpr_workgroup_info 0
		.amdhsa_system_vgpr_workitem_id 0
		.amdhsa_next_free_vgpr 57
		.amdhsa_next_free_sgpr 28
		.amdhsa_reserve_vcc 1
		.amdhsa_float_round_mode_32 0
		.amdhsa_float_round_mode_16_64 0
		.amdhsa_float_denorm_mode_32 3
		.amdhsa_float_denorm_mode_16_64 3
		.amdhsa_dx10_clamp 1
		.amdhsa_ieee_mode 1
		.amdhsa_fp16_overflow 0
		.amdhsa_workgroup_processor_mode 1
		.amdhsa_memory_ordered 1
		.amdhsa_forward_progress 0
		.amdhsa_shared_vgpr_count 0
		.amdhsa_exception_fp_ieee_invalid_op 0
		.amdhsa_exception_fp_denorm_src 0
		.amdhsa_exception_fp_ieee_div_zero 0
		.amdhsa_exception_fp_ieee_overflow 0
		.amdhsa_exception_fp_ieee_underflow 0
		.amdhsa_exception_fp_ieee_inexact 0
		.amdhsa_exception_int_div_zero 0
	.end_amdhsa_kernel
	.section	.text._ZN7rocprim17ROCPRIM_400000_NS6detail17trampoline_kernelINS0_13select_configILj256ELj13ELNS0_17block_load_methodE3ELS4_3ELS4_3ELNS0_20block_scan_algorithmE0ELj4294967295EEENS1_25partition_config_selectorILNS1_17partition_subalgoE3EjNS0_10empty_typeEbEEZZNS1_14partition_implILS8_3ELb0ES6_jNS0_17counting_iteratorIjlEEPS9_SE_NS0_5tupleIJPjSE_EEENSF_IJSE_SE_EEES9_SG_JZNS1_25segmented_radix_sort_implINS0_14default_configELb0EPKlPlSM_SN_N2at6native12_GLOBAL__N_18offset_tEEE10hipError_tPvRmT1_PNSt15iterator_traitsISV_E10value_typeET2_T3_PNSW_IS11_E10value_typeET4_jRbjT5_S17_jjP12ihipStream_tbEUljE_EEESS_ST_SU_S11_S15_S17_T6_T7_T9_mT8_S19_bDpT10_ENKUlT_T0_E_clISt17integral_constantIbLb1EES1L_IbLb0EEEEDaS1H_S1I_EUlS1H_E_NS1_11comp_targetILNS1_3genE9ELNS1_11target_archE1100ELNS1_3gpuE3ELNS1_3repE0EEENS1_30default_config_static_selectorELNS0_4arch9wavefront6targetE0EEEvSV_,"axG",@progbits,_ZN7rocprim17ROCPRIM_400000_NS6detail17trampoline_kernelINS0_13select_configILj256ELj13ELNS0_17block_load_methodE3ELS4_3ELS4_3ELNS0_20block_scan_algorithmE0ELj4294967295EEENS1_25partition_config_selectorILNS1_17partition_subalgoE3EjNS0_10empty_typeEbEEZZNS1_14partition_implILS8_3ELb0ES6_jNS0_17counting_iteratorIjlEEPS9_SE_NS0_5tupleIJPjSE_EEENSF_IJSE_SE_EEES9_SG_JZNS1_25segmented_radix_sort_implINS0_14default_configELb0EPKlPlSM_SN_N2at6native12_GLOBAL__N_18offset_tEEE10hipError_tPvRmT1_PNSt15iterator_traitsISV_E10value_typeET2_T3_PNSW_IS11_E10value_typeET4_jRbjT5_S17_jjP12ihipStream_tbEUljE_EEESS_ST_SU_S11_S15_S17_T6_T7_T9_mT8_S19_bDpT10_ENKUlT_T0_E_clISt17integral_constantIbLb1EES1L_IbLb0EEEEDaS1H_S1I_EUlS1H_E_NS1_11comp_targetILNS1_3genE9ELNS1_11target_archE1100ELNS1_3gpuE3ELNS1_3repE0EEENS1_30default_config_static_selectorELNS0_4arch9wavefront6targetE0EEEvSV_,comdat
.Lfunc_end797:
	.size	_ZN7rocprim17ROCPRIM_400000_NS6detail17trampoline_kernelINS0_13select_configILj256ELj13ELNS0_17block_load_methodE3ELS4_3ELS4_3ELNS0_20block_scan_algorithmE0ELj4294967295EEENS1_25partition_config_selectorILNS1_17partition_subalgoE3EjNS0_10empty_typeEbEEZZNS1_14partition_implILS8_3ELb0ES6_jNS0_17counting_iteratorIjlEEPS9_SE_NS0_5tupleIJPjSE_EEENSF_IJSE_SE_EEES9_SG_JZNS1_25segmented_radix_sort_implINS0_14default_configELb0EPKlPlSM_SN_N2at6native12_GLOBAL__N_18offset_tEEE10hipError_tPvRmT1_PNSt15iterator_traitsISV_E10value_typeET2_T3_PNSW_IS11_E10value_typeET4_jRbjT5_S17_jjP12ihipStream_tbEUljE_EEESS_ST_SU_S11_S15_S17_T6_T7_T9_mT8_S19_bDpT10_ENKUlT_T0_E_clISt17integral_constantIbLb1EES1L_IbLb0EEEEDaS1H_S1I_EUlS1H_E_NS1_11comp_targetILNS1_3genE9ELNS1_11target_archE1100ELNS1_3gpuE3ELNS1_3repE0EEENS1_30default_config_static_selectorELNS0_4arch9wavefront6targetE0EEEvSV_, .Lfunc_end797-_ZN7rocprim17ROCPRIM_400000_NS6detail17trampoline_kernelINS0_13select_configILj256ELj13ELNS0_17block_load_methodE3ELS4_3ELS4_3ELNS0_20block_scan_algorithmE0ELj4294967295EEENS1_25partition_config_selectorILNS1_17partition_subalgoE3EjNS0_10empty_typeEbEEZZNS1_14partition_implILS8_3ELb0ES6_jNS0_17counting_iteratorIjlEEPS9_SE_NS0_5tupleIJPjSE_EEENSF_IJSE_SE_EEES9_SG_JZNS1_25segmented_radix_sort_implINS0_14default_configELb0EPKlPlSM_SN_N2at6native12_GLOBAL__N_18offset_tEEE10hipError_tPvRmT1_PNSt15iterator_traitsISV_E10value_typeET2_T3_PNSW_IS11_E10value_typeET4_jRbjT5_S17_jjP12ihipStream_tbEUljE_EEESS_ST_SU_S11_S15_S17_T6_T7_T9_mT8_S19_bDpT10_ENKUlT_T0_E_clISt17integral_constantIbLb1EES1L_IbLb0EEEEDaS1H_S1I_EUlS1H_E_NS1_11comp_targetILNS1_3genE9ELNS1_11target_archE1100ELNS1_3gpuE3ELNS1_3repE0EEENS1_30default_config_static_selectorELNS0_4arch9wavefront6targetE0EEEvSV_
                                        ; -- End function
	.section	.AMDGPU.csdata,"",@progbits
; Kernel info:
; codeLenInByte = 8964
; NumSgprs: 30
; NumVgprs: 57
; ScratchSize: 0
; MemoryBound: 0
; FloatMode: 240
; IeeeMode: 1
; LDSByteSize: 13324 bytes/workgroup (compile time only)
; SGPRBlocks: 3
; VGPRBlocks: 7
; NumSGPRsForWavesPerEU: 30
; NumVGPRsForWavesPerEU: 57
; Occupancy: 16
; WaveLimiterHint : 0
; COMPUTE_PGM_RSRC2:SCRATCH_EN: 0
; COMPUTE_PGM_RSRC2:USER_SGPR: 15
; COMPUTE_PGM_RSRC2:TRAP_HANDLER: 0
; COMPUTE_PGM_RSRC2:TGID_X_EN: 1
; COMPUTE_PGM_RSRC2:TGID_Y_EN: 0
; COMPUTE_PGM_RSRC2:TGID_Z_EN: 0
; COMPUTE_PGM_RSRC2:TIDIG_COMP_CNT: 0
	.section	.text._ZN7rocprim17ROCPRIM_400000_NS6detail17trampoline_kernelINS0_13select_configILj256ELj13ELNS0_17block_load_methodE3ELS4_3ELS4_3ELNS0_20block_scan_algorithmE0ELj4294967295EEENS1_25partition_config_selectorILNS1_17partition_subalgoE3EjNS0_10empty_typeEbEEZZNS1_14partition_implILS8_3ELb0ES6_jNS0_17counting_iteratorIjlEEPS9_SE_NS0_5tupleIJPjSE_EEENSF_IJSE_SE_EEES9_SG_JZNS1_25segmented_radix_sort_implINS0_14default_configELb0EPKlPlSM_SN_N2at6native12_GLOBAL__N_18offset_tEEE10hipError_tPvRmT1_PNSt15iterator_traitsISV_E10value_typeET2_T3_PNSW_IS11_E10value_typeET4_jRbjT5_S17_jjP12ihipStream_tbEUljE_EEESS_ST_SU_S11_S15_S17_T6_T7_T9_mT8_S19_bDpT10_ENKUlT_T0_E_clISt17integral_constantIbLb1EES1L_IbLb0EEEEDaS1H_S1I_EUlS1H_E_NS1_11comp_targetILNS1_3genE8ELNS1_11target_archE1030ELNS1_3gpuE2ELNS1_3repE0EEENS1_30default_config_static_selectorELNS0_4arch9wavefront6targetE0EEEvSV_,"axG",@progbits,_ZN7rocprim17ROCPRIM_400000_NS6detail17trampoline_kernelINS0_13select_configILj256ELj13ELNS0_17block_load_methodE3ELS4_3ELS4_3ELNS0_20block_scan_algorithmE0ELj4294967295EEENS1_25partition_config_selectorILNS1_17partition_subalgoE3EjNS0_10empty_typeEbEEZZNS1_14partition_implILS8_3ELb0ES6_jNS0_17counting_iteratorIjlEEPS9_SE_NS0_5tupleIJPjSE_EEENSF_IJSE_SE_EEES9_SG_JZNS1_25segmented_radix_sort_implINS0_14default_configELb0EPKlPlSM_SN_N2at6native12_GLOBAL__N_18offset_tEEE10hipError_tPvRmT1_PNSt15iterator_traitsISV_E10value_typeET2_T3_PNSW_IS11_E10value_typeET4_jRbjT5_S17_jjP12ihipStream_tbEUljE_EEESS_ST_SU_S11_S15_S17_T6_T7_T9_mT8_S19_bDpT10_ENKUlT_T0_E_clISt17integral_constantIbLb1EES1L_IbLb0EEEEDaS1H_S1I_EUlS1H_E_NS1_11comp_targetILNS1_3genE8ELNS1_11target_archE1030ELNS1_3gpuE2ELNS1_3repE0EEENS1_30default_config_static_selectorELNS0_4arch9wavefront6targetE0EEEvSV_,comdat
	.globl	_ZN7rocprim17ROCPRIM_400000_NS6detail17trampoline_kernelINS0_13select_configILj256ELj13ELNS0_17block_load_methodE3ELS4_3ELS4_3ELNS0_20block_scan_algorithmE0ELj4294967295EEENS1_25partition_config_selectorILNS1_17partition_subalgoE3EjNS0_10empty_typeEbEEZZNS1_14partition_implILS8_3ELb0ES6_jNS0_17counting_iteratorIjlEEPS9_SE_NS0_5tupleIJPjSE_EEENSF_IJSE_SE_EEES9_SG_JZNS1_25segmented_radix_sort_implINS0_14default_configELb0EPKlPlSM_SN_N2at6native12_GLOBAL__N_18offset_tEEE10hipError_tPvRmT1_PNSt15iterator_traitsISV_E10value_typeET2_T3_PNSW_IS11_E10value_typeET4_jRbjT5_S17_jjP12ihipStream_tbEUljE_EEESS_ST_SU_S11_S15_S17_T6_T7_T9_mT8_S19_bDpT10_ENKUlT_T0_E_clISt17integral_constantIbLb1EES1L_IbLb0EEEEDaS1H_S1I_EUlS1H_E_NS1_11comp_targetILNS1_3genE8ELNS1_11target_archE1030ELNS1_3gpuE2ELNS1_3repE0EEENS1_30default_config_static_selectorELNS0_4arch9wavefront6targetE0EEEvSV_ ; -- Begin function _ZN7rocprim17ROCPRIM_400000_NS6detail17trampoline_kernelINS0_13select_configILj256ELj13ELNS0_17block_load_methodE3ELS4_3ELS4_3ELNS0_20block_scan_algorithmE0ELj4294967295EEENS1_25partition_config_selectorILNS1_17partition_subalgoE3EjNS0_10empty_typeEbEEZZNS1_14partition_implILS8_3ELb0ES6_jNS0_17counting_iteratorIjlEEPS9_SE_NS0_5tupleIJPjSE_EEENSF_IJSE_SE_EEES9_SG_JZNS1_25segmented_radix_sort_implINS0_14default_configELb0EPKlPlSM_SN_N2at6native12_GLOBAL__N_18offset_tEEE10hipError_tPvRmT1_PNSt15iterator_traitsISV_E10value_typeET2_T3_PNSW_IS11_E10value_typeET4_jRbjT5_S17_jjP12ihipStream_tbEUljE_EEESS_ST_SU_S11_S15_S17_T6_T7_T9_mT8_S19_bDpT10_ENKUlT_T0_E_clISt17integral_constantIbLb1EES1L_IbLb0EEEEDaS1H_S1I_EUlS1H_E_NS1_11comp_targetILNS1_3genE8ELNS1_11target_archE1030ELNS1_3gpuE2ELNS1_3repE0EEENS1_30default_config_static_selectorELNS0_4arch9wavefront6targetE0EEEvSV_
	.p2align	8
	.type	_ZN7rocprim17ROCPRIM_400000_NS6detail17trampoline_kernelINS0_13select_configILj256ELj13ELNS0_17block_load_methodE3ELS4_3ELS4_3ELNS0_20block_scan_algorithmE0ELj4294967295EEENS1_25partition_config_selectorILNS1_17partition_subalgoE3EjNS0_10empty_typeEbEEZZNS1_14partition_implILS8_3ELb0ES6_jNS0_17counting_iteratorIjlEEPS9_SE_NS0_5tupleIJPjSE_EEENSF_IJSE_SE_EEES9_SG_JZNS1_25segmented_radix_sort_implINS0_14default_configELb0EPKlPlSM_SN_N2at6native12_GLOBAL__N_18offset_tEEE10hipError_tPvRmT1_PNSt15iterator_traitsISV_E10value_typeET2_T3_PNSW_IS11_E10value_typeET4_jRbjT5_S17_jjP12ihipStream_tbEUljE_EEESS_ST_SU_S11_S15_S17_T6_T7_T9_mT8_S19_bDpT10_ENKUlT_T0_E_clISt17integral_constantIbLb1EES1L_IbLb0EEEEDaS1H_S1I_EUlS1H_E_NS1_11comp_targetILNS1_3genE8ELNS1_11target_archE1030ELNS1_3gpuE2ELNS1_3repE0EEENS1_30default_config_static_selectorELNS0_4arch9wavefront6targetE0EEEvSV_,@function
_ZN7rocprim17ROCPRIM_400000_NS6detail17trampoline_kernelINS0_13select_configILj256ELj13ELNS0_17block_load_methodE3ELS4_3ELS4_3ELNS0_20block_scan_algorithmE0ELj4294967295EEENS1_25partition_config_selectorILNS1_17partition_subalgoE3EjNS0_10empty_typeEbEEZZNS1_14partition_implILS8_3ELb0ES6_jNS0_17counting_iteratorIjlEEPS9_SE_NS0_5tupleIJPjSE_EEENSF_IJSE_SE_EEES9_SG_JZNS1_25segmented_radix_sort_implINS0_14default_configELb0EPKlPlSM_SN_N2at6native12_GLOBAL__N_18offset_tEEE10hipError_tPvRmT1_PNSt15iterator_traitsISV_E10value_typeET2_T3_PNSW_IS11_E10value_typeET4_jRbjT5_S17_jjP12ihipStream_tbEUljE_EEESS_ST_SU_S11_S15_S17_T6_T7_T9_mT8_S19_bDpT10_ENKUlT_T0_E_clISt17integral_constantIbLb1EES1L_IbLb0EEEEDaS1H_S1I_EUlS1H_E_NS1_11comp_targetILNS1_3genE8ELNS1_11target_archE1030ELNS1_3gpuE2ELNS1_3repE0EEENS1_30default_config_static_selectorELNS0_4arch9wavefront6targetE0EEEvSV_: ; @_ZN7rocprim17ROCPRIM_400000_NS6detail17trampoline_kernelINS0_13select_configILj256ELj13ELNS0_17block_load_methodE3ELS4_3ELS4_3ELNS0_20block_scan_algorithmE0ELj4294967295EEENS1_25partition_config_selectorILNS1_17partition_subalgoE3EjNS0_10empty_typeEbEEZZNS1_14partition_implILS8_3ELb0ES6_jNS0_17counting_iteratorIjlEEPS9_SE_NS0_5tupleIJPjSE_EEENSF_IJSE_SE_EEES9_SG_JZNS1_25segmented_radix_sort_implINS0_14default_configELb0EPKlPlSM_SN_N2at6native12_GLOBAL__N_18offset_tEEE10hipError_tPvRmT1_PNSt15iterator_traitsISV_E10value_typeET2_T3_PNSW_IS11_E10value_typeET4_jRbjT5_S17_jjP12ihipStream_tbEUljE_EEESS_ST_SU_S11_S15_S17_T6_T7_T9_mT8_S19_bDpT10_ENKUlT_T0_E_clISt17integral_constantIbLb1EES1L_IbLb0EEEEDaS1H_S1I_EUlS1H_E_NS1_11comp_targetILNS1_3genE8ELNS1_11target_archE1030ELNS1_3gpuE2ELNS1_3repE0EEENS1_30default_config_static_selectorELNS0_4arch9wavefront6targetE0EEEvSV_
; %bb.0:
	.section	.rodata,"a",@progbits
	.p2align	6, 0x0
	.amdhsa_kernel _ZN7rocprim17ROCPRIM_400000_NS6detail17trampoline_kernelINS0_13select_configILj256ELj13ELNS0_17block_load_methodE3ELS4_3ELS4_3ELNS0_20block_scan_algorithmE0ELj4294967295EEENS1_25partition_config_selectorILNS1_17partition_subalgoE3EjNS0_10empty_typeEbEEZZNS1_14partition_implILS8_3ELb0ES6_jNS0_17counting_iteratorIjlEEPS9_SE_NS0_5tupleIJPjSE_EEENSF_IJSE_SE_EEES9_SG_JZNS1_25segmented_radix_sort_implINS0_14default_configELb0EPKlPlSM_SN_N2at6native12_GLOBAL__N_18offset_tEEE10hipError_tPvRmT1_PNSt15iterator_traitsISV_E10value_typeET2_T3_PNSW_IS11_E10value_typeET4_jRbjT5_S17_jjP12ihipStream_tbEUljE_EEESS_ST_SU_S11_S15_S17_T6_T7_T9_mT8_S19_bDpT10_ENKUlT_T0_E_clISt17integral_constantIbLb1EES1L_IbLb0EEEEDaS1H_S1I_EUlS1H_E_NS1_11comp_targetILNS1_3genE8ELNS1_11target_archE1030ELNS1_3gpuE2ELNS1_3repE0EEENS1_30default_config_static_selectorELNS0_4arch9wavefront6targetE0EEEvSV_
		.amdhsa_group_segment_fixed_size 0
		.amdhsa_private_segment_fixed_size 0
		.amdhsa_kernarg_size 144
		.amdhsa_user_sgpr_count 15
		.amdhsa_user_sgpr_dispatch_ptr 0
		.amdhsa_user_sgpr_queue_ptr 0
		.amdhsa_user_sgpr_kernarg_segment_ptr 1
		.amdhsa_user_sgpr_dispatch_id 0
		.amdhsa_user_sgpr_private_segment_size 0
		.amdhsa_wavefront_size32 1
		.amdhsa_uses_dynamic_stack 0
		.amdhsa_enable_private_segment 0
		.amdhsa_system_sgpr_workgroup_id_x 1
		.amdhsa_system_sgpr_workgroup_id_y 0
		.amdhsa_system_sgpr_workgroup_id_z 0
		.amdhsa_system_sgpr_workgroup_info 0
		.amdhsa_system_vgpr_workitem_id 0
		.amdhsa_next_free_vgpr 1
		.amdhsa_next_free_sgpr 1
		.amdhsa_reserve_vcc 0
		.amdhsa_float_round_mode_32 0
		.amdhsa_float_round_mode_16_64 0
		.amdhsa_float_denorm_mode_32 3
		.amdhsa_float_denorm_mode_16_64 3
		.amdhsa_dx10_clamp 1
		.amdhsa_ieee_mode 1
		.amdhsa_fp16_overflow 0
		.amdhsa_workgroup_processor_mode 1
		.amdhsa_memory_ordered 1
		.amdhsa_forward_progress 0
		.amdhsa_shared_vgpr_count 0
		.amdhsa_exception_fp_ieee_invalid_op 0
		.amdhsa_exception_fp_denorm_src 0
		.amdhsa_exception_fp_ieee_div_zero 0
		.amdhsa_exception_fp_ieee_overflow 0
		.amdhsa_exception_fp_ieee_underflow 0
		.amdhsa_exception_fp_ieee_inexact 0
		.amdhsa_exception_int_div_zero 0
	.end_amdhsa_kernel
	.section	.text._ZN7rocprim17ROCPRIM_400000_NS6detail17trampoline_kernelINS0_13select_configILj256ELj13ELNS0_17block_load_methodE3ELS4_3ELS4_3ELNS0_20block_scan_algorithmE0ELj4294967295EEENS1_25partition_config_selectorILNS1_17partition_subalgoE3EjNS0_10empty_typeEbEEZZNS1_14partition_implILS8_3ELb0ES6_jNS0_17counting_iteratorIjlEEPS9_SE_NS0_5tupleIJPjSE_EEENSF_IJSE_SE_EEES9_SG_JZNS1_25segmented_radix_sort_implINS0_14default_configELb0EPKlPlSM_SN_N2at6native12_GLOBAL__N_18offset_tEEE10hipError_tPvRmT1_PNSt15iterator_traitsISV_E10value_typeET2_T3_PNSW_IS11_E10value_typeET4_jRbjT5_S17_jjP12ihipStream_tbEUljE_EEESS_ST_SU_S11_S15_S17_T6_T7_T9_mT8_S19_bDpT10_ENKUlT_T0_E_clISt17integral_constantIbLb1EES1L_IbLb0EEEEDaS1H_S1I_EUlS1H_E_NS1_11comp_targetILNS1_3genE8ELNS1_11target_archE1030ELNS1_3gpuE2ELNS1_3repE0EEENS1_30default_config_static_selectorELNS0_4arch9wavefront6targetE0EEEvSV_,"axG",@progbits,_ZN7rocprim17ROCPRIM_400000_NS6detail17trampoline_kernelINS0_13select_configILj256ELj13ELNS0_17block_load_methodE3ELS4_3ELS4_3ELNS0_20block_scan_algorithmE0ELj4294967295EEENS1_25partition_config_selectorILNS1_17partition_subalgoE3EjNS0_10empty_typeEbEEZZNS1_14partition_implILS8_3ELb0ES6_jNS0_17counting_iteratorIjlEEPS9_SE_NS0_5tupleIJPjSE_EEENSF_IJSE_SE_EEES9_SG_JZNS1_25segmented_radix_sort_implINS0_14default_configELb0EPKlPlSM_SN_N2at6native12_GLOBAL__N_18offset_tEEE10hipError_tPvRmT1_PNSt15iterator_traitsISV_E10value_typeET2_T3_PNSW_IS11_E10value_typeET4_jRbjT5_S17_jjP12ihipStream_tbEUljE_EEESS_ST_SU_S11_S15_S17_T6_T7_T9_mT8_S19_bDpT10_ENKUlT_T0_E_clISt17integral_constantIbLb1EES1L_IbLb0EEEEDaS1H_S1I_EUlS1H_E_NS1_11comp_targetILNS1_3genE8ELNS1_11target_archE1030ELNS1_3gpuE2ELNS1_3repE0EEENS1_30default_config_static_selectorELNS0_4arch9wavefront6targetE0EEEvSV_,comdat
.Lfunc_end798:
	.size	_ZN7rocprim17ROCPRIM_400000_NS6detail17trampoline_kernelINS0_13select_configILj256ELj13ELNS0_17block_load_methodE3ELS4_3ELS4_3ELNS0_20block_scan_algorithmE0ELj4294967295EEENS1_25partition_config_selectorILNS1_17partition_subalgoE3EjNS0_10empty_typeEbEEZZNS1_14partition_implILS8_3ELb0ES6_jNS0_17counting_iteratorIjlEEPS9_SE_NS0_5tupleIJPjSE_EEENSF_IJSE_SE_EEES9_SG_JZNS1_25segmented_radix_sort_implINS0_14default_configELb0EPKlPlSM_SN_N2at6native12_GLOBAL__N_18offset_tEEE10hipError_tPvRmT1_PNSt15iterator_traitsISV_E10value_typeET2_T3_PNSW_IS11_E10value_typeET4_jRbjT5_S17_jjP12ihipStream_tbEUljE_EEESS_ST_SU_S11_S15_S17_T6_T7_T9_mT8_S19_bDpT10_ENKUlT_T0_E_clISt17integral_constantIbLb1EES1L_IbLb0EEEEDaS1H_S1I_EUlS1H_E_NS1_11comp_targetILNS1_3genE8ELNS1_11target_archE1030ELNS1_3gpuE2ELNS1_3repE0EEENS1_30default_config_static_selectorELNS0_4arch9wavefront6targetE0EEEvSV_, .Lfunc_end798-_ZN7rocprim17ROCPRIM_400000_NS6detail17trampoline_kernelINS0_13select_configILj256ELj13ELNS0_17block_load_methodE3ELS4_3ELS4_3ELNS0_20block_scan_algorithmE0ELj4294967295EEENS1_25partition_config_selectorILNS1_17partition_subalgoE3EjNS0_10empty_typeEbEEZZNS1_14partition_implILS8_3ELb0ES6_jNS0_17counting_iteratorIjlEEPS9_SE_NS0_5tupleIJPjSE_EEENSF_IJSE_SE_EEES9_SG_JZNS1_25segmented_radix_sort_implINS0_14default_configELb0EPKlPlSM_SN_N2at6native12_GLOBAL__N_18offset_tEEE10hipError_tPvRmT1_PNSt15iterator_traitsISV_E10value_typeET2_T3_PNSW_IS11_E10value_typeET4_jRbjT5_S17_jjP12ihipStream_tbEUljE_EEESS_ST_SU_S11_S15_S17_T6_T7_T9_mT8_S19_bDpT10_ENKUlT_T0_E_clISt17integral_constantIbLb1EES1L_IbLb0EEEEDaS1H_S1I_EUlS1H_E_NS1_11comp_targetILNS1_3genE8ELNS1_11target_archE1030ELNS1_3gpuE2ELNS1_3repE0EEENS1_30default_config_static_selectorELNS0_4arch9wavefront6targetE0EEEvSV_
                                        ; -- End function
	.section	.AMDGPU.csdata,"",@progbits
; Kernel info:
; codeLenInByte = 0
; NumSgprs: 0
; NumVgprs: 0
; ScratchSize: 0
; MemoryBound: 0
; FloatMode: 240
; IeeeMode: 1
; LDSByteSize: 0 bytes/workgroup (compile time only)
; SGPRBlocks: 0
; VGPRBlocks: 0
; NumSGPRsForWavesPerEU: 1
; NumVGPRsForWavesPerEU: 1
; Occupancy: 16
; WaveLimiterHint : 0
; COMPUTE_PGM_RSRC2:SCRATCH_EN: 0
; COMPUTE_PGM_RSRC2:USER_SGPR: 15
; COMPUTE_PGM_RSRC2:TRAP_HANDLER: 0
; COMPUTE_PGM_RSRC2:TGID_X_EN: 1
; COMPUTE_PGM_RSRC2:TGID_Y_EN: 0
; COMPUTE_PGM_RSRC2:TGID_Z_EN: 0
; COMPUTE_PGM_RSRC2:TIDIG_COMP_CNT: 0
	.section	.text._ZN7rocprim17ROCPRIM_400000_NS6detail17trampoline_kernelINS0_13select_configILj256ELj13ELNS0_17block_load_methodE3ELS4_3ELS4_3ELNS0_20block_scan_algorithmE0ELj4294967295EEENS1_25partition_config_selectorILNS1_17partition_subalgoE3EjNS0_10empty_typeEbEEZZNS1_14partition_implILS8_3ELb0ES6_jNS0_17counting_iteratorIjlEEPS9_SE_NS0_5tupleIJPjSE_EEENSF_IJSE_SE_EEES9_SG_JZNS1_25segmented_radix_sort_implINS0_14default_configELb0EPKlPlSM_SN_N2at6native12_GLOBAL__N_18offset_tEEE10hipError_tPvRmT1_PNSt15iterator_traitsISV_E10value_typeET2_T3_PNSW_IS11_E10value_typeET4_jRbjT5_S17_jjP12ihipStream_tbEUljE_EEESS_ST_SU_S11_S15_S17_T6_T7_T9_mT8_S19_bDpT10_ENKUlT_T0_E_clISt17integral_constantIbLb0EES1L_IbLb1EEEEDaS1H_S1I_EUlS1H_E_NS1_11comp_targetILNS1_3genE0ELNS1_11target_archE4294967295ELNS1_3gpuE0ELNS1_3repE0EEENS1_30default_config_static_selectorELNS0_4arch9wavefront6targetE0EEEvSV_,"axG",@progbits,_ZN7rocprim17ROCPRIM_400000_NS6detail17trampoline_kernelINS0_13select_configILj256ELj13ELNS0_17block_load_methodE3ELS4_3ELS4_3ELNS0_20block_scan_algorithmE0ELj4294967295EEENS1_25partition_config_selectorILNS1_17partition_subalgoE3EjNS0_10empty_typeEbEEZZNS1_14partition_implILS8_3ELb0ES6_jNS0_17counting_iteratorIjlEEPS9_SE_NS0_5tupleIJPjSE_EEENSF_IJSE_SE_EEES9_SG_JZNS1_25segmented_radix_sort_implINS0_14default_configELb0EPKlPlSM_SN_N2at6native12_GLOBAL__N_18offset_tEEE10hipError_tPvRmT1_PNSt15iterator_traitsISV_E10value_typeET2_T3_PNSW_IS11_E10value_typeET4_jRbjT5_S17_jjP12ihipStream_tbEUljE_EEESS_ST_SU_S11_S15_S17_T6_T7_T9_mT8_S19_bDpT10_ENKUlT_T0_E_clISt17integral_constantIbLb0EES1L_IbLb1EEEEDaS1H_S1I_EUlS1H_E_NS1_11comp_targetILNS1_3genE0ELNS1_11target_archE4294967295ELNS1_3gpuE0ELNS1_3repE0EEENS1_30default_config_static_selectorELNS0_4arch9wavefront6targetE0EEEvSV_,comdat
	.globl	_ZN7rocprim17ROCPRIM_400000_NS6detail17trampoline_kernelINS0_13select_configILj256ELj13ELNS0_17block_load_methodE3ELS4_3ELS4_3ELNS0_20block_scan_algorithmE0ELj4294967295EEENS1_25partition_config_selectorILNS1_17partition_subalgoE3EjNS0_10empty_typeEbEEZZNS1_14partition_implILS8_3ELb0ES6_jNS0_17counting_iteratorIjlEEPS9_SE_NS0_5tupleIJPjSE_EEENSF_IJSE_SE_EEES9_SG_JZNS1_25segmented_radix_sort_implINS0_14default_configELb0EPKlPlSM_SN_N2at6native12_GLOBAL__N_18offset_tEEE10hipError_tPvRmT1_PNSt15iterator_traitsISV_E10value_typeET2_T3_PNSW_IS11_E10value_typeET4_jRbjT5_S17_jjP12ihipStream_tbEUljE_EEESS_ST_SU_S11_S15_S17_T6_T7_T9_mT8_S19_bDpT10_ENKUlT_T0_E_clISt17integral_constantIbLb0EES1L_IbLb1EEEEDaS1H_S1I_EUlS1H_E_NS1_11comp_targetILNS1_3genE0ELNS1_11target_archE4294967295ELNS1_3gpuE0ELNS1_3repE0EEENS1_30default_config_static_selectorELNS0_4arch9wavefront6targetE0EEEvSV_ ; -- Begin function _ZN7rocprim17ROCPRIM_400000_NS6detail17trampoline_kernelINS0_13select_configILj256ELj13ELNS0_17block_load_methodE3ELS4_3ELS4_3ELNS0_20block_scan_algorithmE0ELj4294967295EEENS1_25partition_config_selectorILNS1_17partition_subalgoE3EjNS0_10empty_typeEbEEZZNS1_14partition_implILS8_3ELb0ES6_jNS0_17counting_iteratorIjlEEPS9_SE_NS0_5tupleIJPjSE_EEENSF_IJSE_SE_EEES9_SG_JZNS1_25segmented_radix_sort_implINS0_14default_configELb0EPKlPlSM_SN_N2at6native12_GLOBAL__N_18offset_tEEE10hipError_tPvRmT1_PNSt15iterator_traitsISV_E10value_typeET2_T3_PNSW_IS11_E10value_typeET4_jRbjT5_S17_jjP12ihipStream_tbEUljE_EEESS_ST_SU_S11_S15_S17_T6_T7_T9_mT8_S19_bDpT10_ENKUlT_T0_E_clISt17integral_constantIbLb0EES1L_IbLb1EEEEDaS1H_S1I_EUlS1H_E_NS1_11comp_targetILNS1_3genE0ELNS1_11target_archE4294967295ELNS1_3gpuE0ELNS1_3repE0EEENS1_30default_config_static_selectorELNS0_4arch9wavefront6targetE0EEEvSV_
	.p2align	8
	.type	_ZN7rocprim17ROCPRIM_400000_NS6detail17trampoline_kernelINS0_13select_configILj256ELj13ELNS0_17block_load_methodE3ELS4_3ELS4_3ELNS0_20block_scan_algorithmE0ELj4294967295EEENS1_25partition_config_selectorILNS1_17partition_subalgoE3EjNS0_10empty_typeEbEEZZNS1_14partition_implILS8_3ELb0ES6_jNS0_17counting_iteratorIjlEEPS9_SE_NS0_5tupleIJPjSE_EEENSF_IJSE_SE_EEES9_SG_JZNS1_25segmented_radix_sort_implINS0_14default_configELb0EPKlPlSM_SN_N2at6native12_GLOBAL__N_18offset_tEEE10hipError_tPvRmT1_PNSt15iterator_traitsISV_E10value_typeET2_T3_PNSW_IS11_E10value_typeET4_jRbjT5_S17_jjP12ihipStream_tbEUljE_EEESS_ST_SU_S11_S15_S17_T6_T7_T9_mT8_S19_bDpT10_ENKUlT_T0_E_clISt17integral_constantIbLb0EES1L_IbLb1EEEEDaS1H_S1I_EUlS1H_E_NS1_11comp_targetILNS1_3genE0ELNS1_11target_archE4294967295ELNS1_3gpuE0ELNS1_3repE0EEENS1_30default_config_static_selectorELNS0_4arch9wavefront6targetE0EEEvSV_,@function
_ZN7rocprim17ROCPRIM_400000_NS6detail17trampoline_kernelINS0_13select_configILj256ELj13ELNS0_17block_load_methodE3ELS4_3ELS4_3ELNS0_20block_scan_algorithmE0ELj4294967295EEENS1_25partition_config_selectorILNS1_17partition_subalgoE3EjNS0_10empty_typeEbEEZZNS1_14partition_implILS8_3ELb0ES6_jNS0_17counting_iteratorIjlEEPS9_SE_NS0_5tupleIJPjSE_EEENSF_IJSE_SE_EEES9_SG_JZNS1_25segmented_radix_sort_implINS0_14default_configELb0EPKlPlSM_SN_N2at6native12_GLOBAL__N_18offset_tEEE10hipError_tPvRmT1_PNSt15iterator_traitsISV_E10value_typeET2_T3_PNSW_IS11_E10value_typeET4_jRbjT5_S17_jjP12ihipStream_tbEUljE_EEESS_ST_SU_S11_S15_S17_T6_T7_T9_mT8_S19_bDpT10_ENKUlT_T0_E_clISt17integral_constantIbLb0EES1L_IbLb1EEEEDaS1H_S1I_EUlS1H_E_NS1_11comp_targetILNS1_3genE0ELNS1_11target_archE4294967295ELNS1_3gpuE0ELNS1_3repE0EEENS1_30default_config_static_selectorELNS0_4arch9wavefront6targetE0EEEvSV_: ; @_ZN7rocprim17ROCPRIM_400000_NS6detail17trampoline_kernelINS0_13select_configILj256ELj13ELNS0_17block_load_methodE3ELS4_3ELS4_3ELNS0_20block_scan_algorithmE0ELj4294967295EEENS1_25partition_config_selectorILNS1_17partition_subalgoE3EjNS0_10empty_typeEbEEZZNS1_14partition_implILS8_3ELb0ES6_jNS0_17counting_iteratorIjlEEPS9_SE_NS0_5tupleIJPjSE_EEENSF_IJSE_SE_EEES9_SG_JZNS1_25segmented_radix_sort_implINS0_14default_configELb0EPKlPlSM_SN_N2at6native12_GLOBAL__N_18offset_tEEE10hipError_tPvRmT1_PNSt15iterator_traitsISV_E10value_typeET2_T3_PNSW_IS11_E10value_typeET4_jRbjT5_S17_jjP12ihipStream_tbEUljE_EEESS_ST_SU_S11_S15_S17_T6_T7_T9_mT8_S19_bDpT10_ENKUlT_T0_E_clISt17integral_constantIbLb0EES1L_IbLb1EEEEDaS1H_S1I_EUlS1H_E_NS1_11comp_targetILNS1_3genE0ELNS1_11target_archE4294967295ELNS1_3gpuE0ELNS1_3repE0EEENS1_30default_config_static_selectorELNS0_4arch9wavefront6targetE0EEEvSV_
; %bb.0:
	.section	.rodata,"a",@progbits
	.p2align	6, 0x0
	.amdhsa_kernel _ZN7rocprim17ROCPRIM_400000_NS6detail17trampoline_kernelINS0_13select_configILj256ELj13ELNS0_17block_load_methodE3ELS4_3ELS4_3ELNS0_20block_scan_algorithmE0ELj4294967295EEENS1_25partition_config_selectorILNS1_17partition_subalgoE3EjNS0_10empty_typeEbEEZZNS1_14partition_implILS8_3ELb0ES6_jNS0_17counting_iteratorIjlEEPS9_SE_NS0_5tupleIJPjSE_EEENSF_IJSE_SE_EEES9_SG_JZNS1_25segmented_radix_sort_implINS0_14default_configELb0EPKlPlSM_SN_N2at6native12_GLOBAL__N_18offset_tEEE10hipError_tPvRmT1_PNSt15iterator_traitsISV_E10value_typeET2_T3_PNSW_IS11_E10value_typeET4_jRbjT5_S17_jjP12ihipStream_tbEUljE_EEESS_ST_SU_S11_S15_S17_T6_T7_T9_mT8_S19_bDpT10_ENKUlT_T0_E_clISt17integral_constantIbLb0EES1L_IbLb1EEEEDaS1H_S1I_EUlS1H_E_NS1_11comp_targetILNS1_3genE0ELNS1_11target_archE4294967295ELNS1_3gpuE0ELNS1_3repE0EEENS1_30default_config_static_selectorELNS0_4arch9wavefront6targetE0EEEvSV_
		.amdhsa_group_segment_fixed_size 0
		.amdhsa_private_segment_fixed_size 0
		.amdhsa_kernarg_size 152
		.amdhsa_user_sgpr_count 15
		.amdhsa_user_sgpr_dispatch_ptr 0
		.amdhsa_user_sgpr_queue_ptr 0
		.amdhsa_user_sgpr_kernarg_segment_ptr 1
		.amdhsa_user_sgpr_dispatch_id 0
		.amdhsa_user_sgpr_private_segment_size 0
		.amdhsa_wavefront_size32 1
		.amdhsa_uses_dynamic_stack 0
		.amdhsa_enable_private_segment 0
		.amdhsa_system_sgpr_workgroup_id_x 1
		.amdhsa_system_sgpr_workgroup_id_y 0
		.amdhsa_system_sgpr_workgroup_id_z 0
		.amdhsa_system_sgpr_workgroup_info 0
		.amdhsa_system_vgpr_workitem_id 0
		.amdhsa_next_free_vgpr 1
		.amdhsa_next_free_sgpr 1
		.amdhsa_reserve_vcc 0
		.amdhsa_float_round_mode_32 0
		.amdhsa_float_round_mode_16_64 0
		.amdhsa_float_denorm_mode_32 3
		.amdhsa_float_denorm_mode_16_64 3
		.amdhsa_dx10_clamp 1
		.amdhsa_ieee_mode 1
		.amdhsa_fp16_overflow 0
		.amdhsa_workgroup_processor_mode 1
		.amdhsa_memory_ordered 1
		.amdhsa_forward_progress 0
		.amdhsa_shared_vgpr_count 0
		.amdhsa_exception_fp_ieee_invalid_op 0
		.amdhsa_exception_fp_denorm_src 0
		.amdhsa_exception_fp_ieee_div_zero 0
		.amdhsa_exception_fp_ieee_overflow 0
		.amdhsa_exception_fp_ieee_underflow 0
		.amdhsa_exception_fp_ieee_inexact 0
		.amdhsa_exception_int_div_zero 0
	.end_amdhsa_kernel
	.section	.text._ZN7rocprim17ROCPRIM_400000_NS6detail17trampoline_kernelINS0_13select_configILj256ELj13ELNS0_17block_load_methodE3ELS4_3ELS4_3ELNS0_20block_scan_algorithmE0ELj4294967295EEENS1_25partition_config_selectorILNS1_17partition_subalgoE3EjNS0_10empty_typeEbEEZZNS1_14partition_implILS8_3ELb0ES6_jNS0_17counting_iteratorIjlEEPS9_SE_NS0_5tupleIJPjSE_EEENSF_IJSE_SE_EEES9_SG_JZNS1_25segmented_radix_sort_implINS0_14default_configELb0EPKlPlSM_SN_N2at6native12_GLOBAL__N_18offset_tEEE10hipError_tPvRmT1_PNSt15iterator_traitsISV_E10value_typeET2_T3_PNSW_IS11_E10value_typeET4_jRbjT5_S17_jjP12ihipStream_tbEUljE_EEESS_ST_SU_S11_S15_S17_T6_T7_T9_mT8_S19_bDpT10_ENKUlT_T0_E_clISt17integral_constantIbLb0EES1L_IbLb1EEEEDaS1H_S1I_EUlS1H_E_NS1_11comp_targetILNS1_3genE0ELNS1_11target_archE4294967295ELNS1_3gpuE0ELNS1_3repE0EEENS1_30default_config_static_selectorELNS0_4arch9wavefront6targetE0EEEvSV_,"axG",@progbits,_ZN7rocprim17ROCPRIM_400000_NS6detail17trampoline_kernelINS0_13select_configILj256ELj13ELNS0_17block_load_methodE3ELS4_3ELS4_3ELNS0_20block_scan_algorithmE0ELj4294967295EEENS1_25partition_config_selectorILNS1_17partition_subalgoE3EjNS0_10empty_typeEbEEZZNS1_14partition_implILS8_3ELb0ES6_jNS0_17counting_iteratorIjlEEPS9_SE_NS0_5tupleIJPjSE_EEENSF_IJSE_SE_EEES9_SG_JZNS1_25segmented_radix_sort_implINS0_14default_configELb0EPKlPlSM_SN_N2at6native12_GLOBAL__N_18offset_tEEE10hipError_tPvRmT1_PNSt15iterator_traitsISV_E10value_typeET2_T3_PNSW_IS11_E10value_typeET4_jRbjT5_S17_jjP12ihipStream_tbEUljE_EEESS_ST_SU_S11_S15_S17_T6_T7_T9_mT8_S19_bDpT10_ENKUlT_T0_E_clISt17integral_constantIbLb0EES1L_IbLb1EEEEDaS1H_S1I_EUlS1H_E_NS1_11comp_targetILNS1_3genE0ELNS1_11target_archE4294967295ELNS1_3gpuE0ELNS1_3repE0EEENS1_30default_config_static_selectorELNS0_4arch9wavefront6targetE0EEEvSV_,comdat
.Lfunc_end799:
	.size	_ZN7rocprim17ROCPRIM_400000_NS6detail17trampoline_kernelINS0_13select_configILj256ELj13ELNS0_17block_load_methodE3ELS4_3ELS4_3ELNS0_20block_scan_algorithmE0ELj4294967295EEENS1_25partition_config_selectorILNS1_17partition_subalgoE3EjNS0_10empty_typeEbEEZZNS1_14partition_implILS8_3ELb0ES6_jNS0_17counting_iteratorIjlEEPS9_SE_NS0_5tupleIJPjSE_EEENSF_IJSE_SE_EEES9_SG_JZNS1_25segmented_radix_sort_implINS0_14default_configELb0EPKlPlSM_SN_N2at6native12_GLOBAL__N_18offset_tEEE10hipError_tPvRmT1_PNSt15iterator_traitsISV_E10value_typeET2_T3_PNSW_IS11_E10value_typeET4_jRbjT5_S17_jjP12ihipStream_tbEUljE_EEESS_ST_SU_S11_S15_S17_T6_T7_T9_mT8_S19_bDpT10_ENKUlT_T0_E_clISt17integral_constantIbLb0EES1L_IbLb1EEEEDaS1H_S1I_EUlS1H_E_NS1_11comp_targetILNS1_3genE0ELNS1_11target_archE4294967295ELNS1_3gpuE0ELNS1_3repE0EEENS1_30default_config_static_selectorELNS0_4arch9wavefront6targetE0EEEvSV_, .Lfunc_end799-_ZN7rocprim17ROCPRIM_400000_NS6detail17trampoline_kernelINS0_13select_configILj256ELj13ELNS0_17block_load_methodE3ELS4_3ELS4_3ELNS0_20block_scan_algorithmE0ELj4294967295EEENS1_25partition_config_selectorILNS1_17partition_subalgoE3EjNS0_10empty_typeEbEEZZNS1_14partition_implILS8_3ELb0ES6_jNS0_17counting_iteratorIjlEEPS9_SE_NS0_5tupleIJPjSE_EEENSF_IJSE_SE_EEES9_SG_JZNS1_25segmented_radix_sort_implINS0_14default_configELb0EPKlPlSM_SN_N2at6native12_GLOBAL__N_18offset_tEEE10hipError_tPvRmT1_PNSt15iterator_traitsISV_E10value_typeET2_T3_PNSW_IS11_E10value_typeET4_jRbjT5_S17_jjP12ihipStream_tbEUljE_EEESS_ST_SU_S11_S15_S17_T6_T7_T9_mT8_S19_bDpT10_ENKUlT_T0_E_clISt17integral_constantIbLb0EES1L_IbLb1EEEEDaS1H_S1I_EUlS1H_E_NS1_11comp_targetILNS1_3genE0ELNS1_11target_archE4294967295ELNS1_3gpuE0ELNS1_3repE0EEENS1_30default_config_static_selectorELNS0_4arch9wavefront6targetE0EEEvSV_
                                        ; -- End function
	.section	.AMDGPU.csdata,"",@progbits
; Kernel info:
; codeLenInByte = 0
; NumSgprs: 0
; NumVgprs: 0
; ScratchSize: 0
; MemoryBound: 0
; FloatMode: 240
; IeeeMode: 1
; LDSByteSize: 0 bytes/workgroup (compile time only)
; SGPRBlocks: 0
; VGPRBlocks: 0
; NumSGPRsForWavesPerEU: 1
; NumVGPRsForWavesPerEU: 1
; Occupancy: 16
; WaveLimiterHint : 0
; COMPUTE_PGM_RSRC2:SCRATCH_EN: 0
; COMPUTE_PGM_RSRC2:USER_SGPR: 15
; COMPUTE_PGM_RSRC2:TRAP_HANDLER: 0
; COMPUTE_PGM_RSRC2:TGID_X_EN: 1
; COMPUTE_PGM_RSRC2:TGID_Y_EN: 0
; COMPUTE_PGM_RSRC2:TGID_Z_EN: 0
; COMPUTE_PGM_RSRC2:TIDIG_COMP_CNT: 0
	.section	.text._ZN7rocprim17ROCPRIM_400000_NS6detail17trampoline_kernelINS0_13select_configILj256ELj13ELNS0_17block_load_methodE3ELS4_3ELS4_3ELNS0_20block_scan_algorithmE0ELj4294967295EEENS1_25partition_config_selectorILNS1_17partition_subalgoE3EjNS0_10empty_typeEbEEZZNS1_14partition_implILS8_3ELb0ES6_jNS0_17counting_iteratorIjlEEPS9_SE_NS0_5tupleIJPjSE_EEENSF_IJSE_SE_EEES9_SG_JZNS1_25segmented_radix_sort_implINS0_14default_configELb0EPKlPlSM_SN_N2at6native12_GLOBAL__N_18offset_tEEE10hipError_tPvRmT1_PNSt15iterator_traitsISV_E10value_typeET2_T3_PNSW_IS11_E10value_typeET4_jRbjT5_S17_jjP12ihipStream_tbEUljE_EEESS_ST_SU_S11_S15_S17_T6_T7_T9_mT8_S19_bDpT10_ENKUlT_T0_E_clISt17integral_constantIbLb0EES1L_IbLb1EEEEDaS1H_S1I_EUlS1H_E_NS1_11comp_targetILNS1_3genE5ELNS1_11target_archE942ELNS1_3gpuE9ELNS1_3repE0EEENS1_30default_config_static_selectorELNS0_4arch9wavefront6targetE0EEEvSV_,"axG",@progbits,_ZN7rocprim17ROCPRIM_400000_NS6detail17trampoline_kernelINS0_13select_configILj256ELj13ELNS0_17block_load_methodE3ELS4_3ELS4_3ELNS0_20block_scan_algorithmE0ELj4294967295EEENS1_25partition_config_selectorILNS1_17partition_subalgoE3EjNS0_10empty_typeEbEEZZNS1_14partition_implILS8_3ELb0ES6_jNS0_17counting_iteratorIjlEEPS9_SE_NS0_5tupleIJPjSE_EEENSF_IJSE_SE_EEES9_SG_JZNS1_25segmented_radix_sort_implINS0_14default_configELb0EPKlPlSM_SN_N2at6native12_GLOBAL__N_18offset_tEEE10hipError_tPvRmT1_PNSt15iterator_traitsISV_E10value_typeET2_T3_PNSW_IS11_E10value_typeET4_jRbjT5_S17_jjP12ihipStream_tbEUljE_EEESS_ST_SU_S11_S15_S17_T6_T7_T9_mT8_S19_bDpT10_ENKUlT_T0_E_clISt17integral_constantIbLb0EES1L_IbLb1EEEEDaS1H_S1I_EUlS1H_E_NS1_11comp_targetILNS1_3genE5ELNS1_11target_archE942ELNS1_3gpuE9ELNS1_3repE0EEENS1_30default_config_static_selectorELNS0_4arch9wavefront6targetE0EEEvSV_,comdat
	.globl	_ZN7rocprim17ROCPRIM_400000_NS6detail17trampoline_kernelINS0_13select_configILj256ELj13ELNS0_17block_load_methodE3ELS4_3ELS4_3ELNS0_20block_scan_algorithmE0ELj4294967295EEENS1_25partition_config_selectorILNS1_17partition_subalgoE3EjNS0_10empty_typeEbEEZZNS1_14partition_implILS8_3ELb0ES6_jNS0_17counting_iteratorIjlEEPS9_SE_NS0_5tupleIJPjSE_EEENSF_IJSE_SE_EEES9_SG_JZNS1_25segmented_radix_sort_implINS0_14default_configELb0EPKlPlSM_SN_N2at6native12_GLOBAL__N_18offset_tEEE10hipError_tPvRmT1_PNSt15iterator_traitsISV_E10value_typeET2_T3_PNSW_IS11_E10value_typeET4_jRbjT5_S17_jjP12ihipStream_tbEUljE_EEESS_ST_SU_S11_S15_S17_T6_T7_T9_mT8_S19_bDpT10_ENKUlT_T0_E_clISt17integral_constantIbLb0EES1L_IbLb1EEEEDaS1H_S1I_EUlS1H_E_NS1_11comp_targetILNS1_3genE5ELNS1_11target_archE942ELNS1_3gpuE9ELNS1_3repE0EEENS1_30default_config_static_selectorELNS0_4arch9wavefront6targetE0EEEvSV_ ; -- Begin function _ZN7rocprim17ROCPRIM_400000_NS6detail17trampoline_kernelINS0_13select_configILj256ELj13ELNS0_17block_load_methodE3ELS4_3ELS4_3ELNS0_20block_scan_algorithmE0ELj4294967295EEENS1_25partition_config_selectorILNS1_17partition_subalgoE3EjNS0_10empty_typeEbEEZZNS1_14partition_implILS8_3ELb0ES6_jNS0_17counting_iteratorIjlEEPS9_SE_NS0_5tupleIJPjSE_EEENSF_IJSE_SE_EEES9_SG_JZNS1_25segmented_radix_sort_implINS0_14default_configELb0EPKlPlSM_SN_N2at6native12_GLOBAL__N_18offset_tEEE10hipError_tPvRmT1_PNSt15iterator_traitsISV_E10value_typeET2_T3_PNSW_IS11_E10value_typeET4_jRbjT5_S17_jjP12ihipStream_tbEUljE_EEESS_ST_SU_S11_S15_S17_T6_T7_T9_mT8_S19_bDpT10_ENKUlT_T0_E_clISt17integral_constantIbLb0EES1L_IbLb1EEEEDaS1H_S1I_EUlS1H_E_NS1_11comp_targetILNS1_3genE5ELNS1_11target_archE942ELNS1_3gpuE9ELNS1_3repE0EEENS1_30default_config_static_selectorELNS0_4arch9wavefront6targetE0EEEvSV_
	.p2align	8
	.type	_ZN7rocprim17ROCPRIM_400000_NS6detail17trampoline_kernelINS0_13select_configILj256ELj13ELNS0_17block_load_methodE3ELS4_3ELS4_3ELNS0_20block_scan_algorithmE0ELj4294967295EEENS1_25partition_config_selectorILNS1_17partition_subalgoE3EjNS0_10empty_typeEbEEZZNS1_14partition_implILS8_3ELb0ES6_jNS0_17counting_iteratorIjlEEPS9_SE_NS0_5tupleIJPjSE_EEENSF_IJSE_SE_EEES9_SG_JZNS1_25segmented_radix_sort_implINS0_14default_configELb0EPKlPlSM_SN_N2at6native12_GLOBAL__N_18offset_tEEE10hipError_tPvRmT1_PNSt15iterator_traitsISV_E10value_typeET2_T3_PNSW_IS11_E10value_typeET4_jRbjT5_S17_jjP12ihipStream_tbEUljE_EEESS_ST_SU_S11_S15_S17_T6_T7_T9_mT8_S19_bDpT10_ENKUlT_T0_E_clISt17integral_constantIbLb0EES1L_IbLb1EEEEDaS1H_S1I_EUlS1H_E_NS1_11comp_targetILNS1_3genE5ELNS1_11target_archE942ELNS1_3gpuE9ELNS1_3repE0EEENS1_30default_config_static_selectorELNS0_4arch9wavefront6targetE0EEEvSV_,@function
_ZN7rocprim17ROCPRIM_400000_NS6detail17trampoline_kernelINS0_13select_configILj256ELj13ELNS0_17block_load_methodE3ELS4_3ELS4_3ELNS0_20block_scan_algorithmE0ELj4294967295EEENS1_25partition_config_selectorILNS1_17partition_subalgoE3EjNS0_10empty_typeEbEEZZNS1_14partition_implILS8_3ELb0ES6_jNS0_17counting_iteratorIjlEEPS9_SE_NS0_5tupleIJPjSE_EEENSF_IJSE_SE_EEES9_SG_JZNS1_25segmented_radix_sort_implINS0_14default_configELb0EPKlPlSM_SN_N2at6native12_GLOBAL__N_18offset_tEEE10hipError_tPvRmT1_PNSt15iterator_traitsISV_E10value_typeET2_T3_PNSW_IS11_E10value_typeET4_jRbjT5_S17_jjP12ihipStream_tbEUljE_EEESS_ST_SU_S11_S15_S17_T6_T7_T9_mT8_S19_bDpT10_ENKUlT_T0_E_clISt17integral_constantIbLb0EES1L_IbLb1EEEEDaS1H_S1I_EUlS1H_E_NS1_11comp_targetILNS1_3genE5ELNS1_11target_archE942ELNS1_3gpuE9ELNS1_3repE0EEENS1_30default_config_static_selectorELNS0_4arch9wavefront6targetE0EEEvSV_: ; @_ZN7rocprim17ROCPRIM_400000_NS6detail17trampoline_kernelINS0_13select_configILj256ELj13ELNS0_17block_load_methodE3ELS4_3ELS4_3ELNS0_20block_scan_algorithmE0ELj4294967295EEENS1_25partition_config_selectorILNS1_17partition_subalgoE3EjNS0_10empty_typeEbEEZZNS1_14partition_implILS8_3ELb0ES6_jNS0_17counting_iteratorIjlEEPS9_SE_NS0_5tupleIJPjSE_EEENSF_IJSE_SE_EEES9_SG_JZNS1_25segmented_radix_sort_implINS0_14default_configELb0EPKlPlSM_SN_N2at6native12_GLOBAL__N_18offset_tEEE10hipError_tPvRmT1_PNSt15iterator_traitsISV_E10value_typeET2_T3_PNSW_IS11_E10value_typeET4_jRbjT5_S17_jjP12ihipStream_tbEUljE_EEESS_ST_SU_S11_S15_S17_T6_T7_T9_mT8_S19_bDpT10_ENKUlT_T0_E_clISt17integral_constantIbLb0EES1L_IbLb1EEEEDaS1H_S1I_EUlS1H_E_NS1_11comp_targetILNS1_3genE5ELNS1_11target_archE942ELNS1_3gpuE9ELNS1_3repE0EEENS1_30default_config_static_selectorELNS0_4arch9wavefront6targetE0EEEvSV_
; %bb.0:
	.section	.rodata,"a",@progbits
	.p2align	6, 0x0
	.amdhsa_kernel _ZN7rocprim17ROCPRIM_400000_NS6detail17trampoline_kernelINS0_13select_configILj256ELj13ELNS0_17block_load_methodE3ELS4_3ELS4_3ELNS0_20block_scan_algorithmE0ELj4294967295EEENS1_25partition_config_selectorILNS1_17partition_subalgoE3EjNS0_10empty_typeEbEEZZNS1_14partition_implILS8_3ELb0ES6_jNS0_17counting_iteratorIjlEEPS9_SE_NS0_5tupleIJPjSE_EEENSF_IJSE_SE_EEES9_SG_JZNS1_25segmented_radix_sort_implINS0_14default_configELb0EPKlPlSM_SN_N2at6native12_GLOBAL__N_18offset_tEEE10hipError_tPvRmT1_PNSt15iterator_traitsISV_E10value_typeET2_T3_PNSW_IS11_E10value_typeET4_jRbjT5_S17_jjP12ihipStream_tbEUljE_EEESS_ST_SU_S11_S15_S17_T6_T7_T9_mT8_S19_bDpT10_ENKUlT_T0_E_clISt17integral_constantIbLb0EES1L_IbLb1EEEEDaS1H_S1I_EUlS1H_E_NS1_11comp_targetILNS1_3genE5ELNS1_11target_archE942ELNS1_3gpuE9ELNS1_3repE0EEENS1_30default_config_static_selectorELNS0_4arch9wavefront6targetE0EEEvSV_
		.amdhsa_group_segment_fixed_size 0
		.amdhsa_private_segment_fixed_size 0
		.amdhsa_kernarg_size 152
		.amdhsa_user_sgpr_count 15
		.amdhsa_user_sgpr_dispatch_ptr 0
		.amdhsa_user_sgpr_queue_ptr 0
		.amdhsa_user_sgpr_kernarg_segment_ptr 1
		.amdhsa_user_sgpr_dispatch_id 0
		.amdhsa_user_sgpr_private_segment_size 0
		.amdhsa_wavefront_size32 1
		.amdhsa_uses_dynamic_stack 0
		.amdhsa_enable_private_segment 0
		.amdhsa_system_sgpr_workgroup_id_x 1
		.amdhsa_system_sgpr_workgroup_id_y 0
		.amdhsa_system_sgpr_workgroup_id_z 0
		.amdhsa_system_sgpr_workgroup_info 0
		.amdhsa_system_vgpr_workitem_id 0
		.amdhsa_next_free_vgpr 1
		.amdhsa_next_free_sgpr 1
		.amdhsa_reserve_vcc 0
		.amdhsa_float_round_mode_32 0
		.amdhsa_float_round_mode_16_64 0
		.amdhsa_float_denorm_mode_32 3
		.amdhsa_float_denorm_mode_16_64 3
		.amdhsa_dx10_clamp 1
		.amdhsa_ieee_mode 1
		.amdhsa_fp16_overflow 0
		.amdhsa_workgroup_processor_mode 1
		.amdhsa_memory_ordered 1
		.amdhsa_forward_progress 0
		.amdhsa_shared_vgpr_count 0
		.amdhsa_exception_fp_ieee_invalid_op 0
		.amdhsa_exception_fp_denorm_src 0
		.amdhsa_exception_fp_ieee_div_zero 0
		.amdhsa_exception_fp_ieee_overflow 0
		.amdhsa_exception_fp_ieee_underflow 0
		.amdhsa_exception_fp_ieee_inexact 0
		.amdhsa_exception_int_div_zero 0
	.end_amdhsa_kernel
	.section	.text._ZN7rocprim17ROCPRIM_400000_NS6detail17trampoline_kernelINS0_13select_configILj256ELj13ELNS0_17block_load_methodE3ELS4_3ELS4_3ELNS0_20block_scan_algorithmE0ELj4294967295EEENS1_25partition_config_selectorILNS1_17partition_subalgoE3EjNS0_10empty_typeEbEEZZNS1_14partition_implILS8_3ELb0ES6_jNS0_17counting_iteratorIjlEEPS9_SE_NS0_5tupleIJPjSE_EEENSF_IJSE_SE_EEES9_SG_JZNS1_25segmented_radix_sort_implINS0_14default_configELb0EPKlPlSM_SN_N2at6native12_GLOBAL__N_18offset_tEEE10hipError_tPvRmT1_PNSt15iterator_traitsISV_E10value_typeET2_T3_PNSW_IS11_E10value_typeET4_jRbjT5_S17_jjP12ihipStream_tbEUljE_EEESS_ST_SU_S11_S15_S17_T6_T7_T9_mT8_S19_bDpT10_ENKUlT_T0_E_clISt17integral_constantIbLb0EES1L_IbLb1EEEEDaS1H_S1I_EUlS1H_E_NS1_11comp_targetILNS1_3genE5ELNS1_11target_archE942ELNS1_3gpuE9ELNS1_3repE0EEENS1_30default_config_static_selectorELNS0_4arch9wavefront6targetE0EEEvSV_,"axG",@progbits,_ZN7rocprim17ROCPRIM_400000_NS6detail17trampoline_kernelINS0_13select_configILj256ELj13ELNS0_17block_load_methodE3ELS4_3ELS4_3ELNS0_20block_scan_algorithmE0ELj4294967295EEENS1_25partition_config_selectorILNS1_17partition_subalgoE3EjNS0_10empty_typeEbEEZZNS1_14partition_implILS8_3ELb0ES6_jNS0_17counting_iteratorIjlEEPS9_SE_NS0_5tupleIJPjSE_EEENSF_IJSE_SE_EEES9_SG_JZNS1_25segmented_radix_sort_implINS0_14default_configELb0EPKlPlSM_SN_N2at6native12_GLOBAL__N_18offset_tEEE10hipError_tPvRmT1_PNSt15iterator_traitsISV_E10value_typeET2_T3_PNSW_IS11_E10value_typeET4_jRbjT5_S17_jjP12ihipStream_tbEUljE_EEESS_ST_SU_S11_S15_S17_T6_T7_T9_mT8_S19_bDpT10_ENKUlT_T0_E_clISt17integral_constantIbLb0EES1L_IbLb1EEEEDaS1H_S1I_EUlS1H_E_NS1_11comp_targetILNS1_3genE5ELNS1_11target_archE942ELNS1_3gpuE9ELNS1_3repE0EEENS1_30default_config_static_selectorELNS0_4arch9wavefront6targetE0EEEvSV_,comdat
.Lfunc_end800:
	.size	_ZN7rocprim17ROCPRIM_400000_NS6detail17trampoline_kernelINS0_13select_configILj256ELj13ELNS0_17block_load_methodE3ELS4_3ELS4_3ELNS0_20block_scan_algorithmE0ELj4294967295EEENS1_25partition_config_selectorILNS1_17partition_subalgoE3EjNS0_10empty_typeEbEEZZNS1_14partition_implILS8_3ELb0ES6_jNS0_17counting_iteratorIjlEEPS9_SE_NS0_5tupleIJPjSE_EEENSF_IJSE_SE_EEES9_SG_JZNS1_25segmented_radix_sort_implINS0_14default_configELb0EPKlPlSM_SN_N2at6native12_GLOBAL__N_18offset_tEEE10hipError_tPvRmT1_PNSt15iterator_traitsISV_E10value_typeET2_T3_PNSW_IS11_E10value_typeET4_jRbjT5_S17_jjP12ihipStream_tbEUljE_EEESS_ST_SU_S11_S15_S17_T6_T7_T9_mT8_S19_bDpT10_ENKUlT_T0_E_clISt17integral_constantIbLb0EES1L_IbLb1EEEEDaS1H_S1I_EUlS1H_E_NS1_11comp_targetILNS1_3genE5ELNS1_11target_archE942ELNS1_3gpuE9ELNS1_3repE0EEENS1_30default_config_static_selectorELNS0_4arch9wavefront6targetE0EEEvSV_, .Lfunc_end800-_ZN7rocprim17ROCPRIM_400000_NS6detail17trampoline_kernelINS0_13select_configILj256ELj13ELNS0_17block_load_methodE3ELS4_3ELS4_3ELNS0_20block_scan_algorithmE0ELj4294967295EEENS1_25partition_config_selectorILNS1_17partition_subalgoE3EjNS0_10empty_typeEbEEZZNS1_14partition_implILS8_3ELb0ES6_jNS0_17counting_iteratorIjlEEPS9_SE_NS0_5tupleIJPjSE_EEENSF_IJSE_SE_EEES9_SG_JZNS1_25segmented_radix_sort_implINS0_14default_configELb0EPKlPlSM_SN_N2at6native12_GLOBAL__N_18offset_tEEE10hipError_tPvRmT1_PNSt15iterator_traitsISV_E10value_typeET2_T3_PNSW_IS11_E10value_typeET4_jRbjT5_S17_jjP12ihipStream_tbEUljE_EEESS_ST_SU_S11_S15_S17_T6_T7_T9_mT8_S19_bDpT10_ENKUlT_T0_E_clISt17integral_constantIbLb0EES1L_IbLb1EEEEDaS1H_S1I_EUlS1H_E_NS1_11comp_targetILNS1_3genE5ELNS1_11target_archE942ELNS1_3gpuE9ELNS1_3repE0EEENS1_30default_config_static_selectorELNS0_4arch9wavefront6targetE0EEEvSV_
                                        ; -- End function
	.section	.AMDGPU.csdata,"",@progbits
; Kernel info:
; codeLenInByte = 0
; NumSgprs: 0
; NumVgprs: 0
; ScratchSize: 0
; MemoryBound: 0
; FloatMode: 240
; IeeeMode: 1
; LDSByteSize: 0 bytes/workgroup (compile time only)
; SGPRBlocks: 0
; VGPRBlocks: 0
; NumSGPRsForWavesPerEU: 1
; NumVGPRsForWavesPerEU: 1
; Occupancy: 16
; WaveLimiterHint : 0
; COMPUTE_PGM_RSRC2:SCRATCH_EN: 0
; COMPUTE_PGM_RSRC2:USER_SGPR: 15
; COMPUTE_PGM_RSRC2:TRAP_HANDLER: 0
; COMPUTE_PGM_RSRC2:TGID_X_EN: 1
; COMPUTE_PGM_RSRC2:TGID_Y_EN: 0
; COMPUTE_PGM_RSRC2:TGID_Z_EN: 0
; COMPUTE_PGM_RSRC2:TIDIG_COMP_CNT: 0
	.section	.text._ZN7rocprim17ROCPRIM_400000_NS6detail17trampoline_kernelINS0_13select_configILj256ELj13ELNS0_17block_load_methodE3ELS4_3ELS4_3ELNS0_20block_scan_algorithmE0ELj4294967295EEENS1_25partition_config_selectorILNS1_17partition_subalgoE3EjNS0_10empty_typeEbEEZZNS1_14partition_implILS8_3ELb0ES6_jNS0_17counting_iteratorIjlEEPS9_SE_NS0_5tupleIJPjSE_EEENSF_IJSE_SE_EEES9_SG_JZNS1_25segmented_radix_sort_implINS0_14default_configELb0EPKlPlSM_SN_N2at6native12_GLOBAL__N_18offset_tEEE10hipError_tPvRmT1_PNSt15iterator_traitsISV_E10value_typeET2_T3_PNSW_IS11_E10value_typeET4_jRbjT5_S17_jjP12ihipStream_tbEUljE_EEESS_ST_SU_S11_S15_S17_T6_T7_T9_mT8_S19_bDpT10_ENKUlT_T0_E_clISt17integral_constantIbLb0EES1L_IbLb1EEEEDaS1H_S1I_EUlS1H_E_NS1_11comp_targetILNS1_3genE4ELNS1_11target_archE910ELNS1_3gpuE8ELNS1_3repE0EEENS1_30default_config_static_selectorELNS0_4arch9wavefront6targetE0EEEvSV_,"axG",@progbits,_ZN7rocprim17ROCPRIM_400000_NS6detail17trampoline_kernelINS0_13select_configILj256ELj13ELNS0_17block_load_methodE3ELS4_3ELS4_3ELNS0_20block_scan_algorithmE0ELj4294967295EEENS1_25partition_config_selectorILNS1_17partition_subalgoE3EjNS0_10empty_typeEbEEZZNS1_14partition_implILS8_3ELb0ES6_jNS0_17counting_iteratorIjlEEPS9_SE_NS0_5tupleIJPjSE_EEENSF_IJSE_SE_EEES9_SG_JZNS1_25segmented_radix_sort_implINS0_14default_configELb0EPKlPlSM_SN_N2at6native12_GLOBAL__N_18offset_tEEE10hipError_tPvRmT1_PNSt15iterator_traitsISV_E10value_typeET2_T3_PNSW_IS11_E10value_typeET4_jRbjT5_S17_jjP12ihipStream_tbEUljE_EEESS_ST_SU_S11_S15_S17_T6_T7_T9_mT8_S19_bDpT10_ENKUlT_T0_E_clISt17integral_constantIbLb0EES1L_IbLb1EEEEDaS1H_S1I_EUlS1H_E_NS1_11comp_targetILNS1_3genE4ELNS1_11target_archE910ELNS1_3gpuE8ELNS1_3repE0EEENS1_30default_config_static_selectorELNS0_4arch9wavefront6targetE0EEEvSV_,comdat
	.globl	_ZN7rocprim17ROCPRIM_400000_NS6detail17trampoline_kernelINS0_13select_configILj256ELj13ELNS0_17block_load_methodE3ELS4_3ELS4_3ELNS0_20block_scan_algorithmE0ELj4294967295EEENS1_25partition_config_selectorILNS1_17partition_subalgoE3EjNS0_10empty_typeEbEEZZNS1_14partition_implILS8_3ELb0ES6_jNS0_17counting_iteratorIjlEEPS9_SE_NS0_5tupleIJPjSE_EEENSF_IJSE_SE_EEES9_SG_JZNS1_25segmented_radix_sort_implINS0_14default_configELb0EPKlPlSM_SN_N2at6native12_GLOBAL__N_18offset_tEEE10hipError_tPvRmT1_PNSt15iterator_traitsISV_E10value_typeET2_T3_PNSW_IS11_E10value_typeET4_jRbjT5_S17_jjP12ihipStream_tbEUljE_EEESS_ST_SU_S11_S15_S17_T6_T7_T9_mT8_S19_bDpT10_ENKUlT_T0_E_clISt17integral_constantIbLb0EES1L_IbLb1EEEEDaS1H_S1I_EUlS1H_E_NS1_11comp_targetILNS1_3genE4ELNS1_11target_archE910ELNS1_3gpuE8ELNS1_3repE0EEENS1_30default_config_static_selectorELNS0_4arch9wavefront6targetE0EEEvSV_ ; -- Begin function _ZN7rocprim17ROCPRIM_400000_NS6detail17trampoline_kernelINS0_13select_configILj256ELj13ELNS0_17block_load_methodE3ELS4_3ELS4_3ELNS0_20block_scan_algorithmE0ELj4294967295EEENS1_25partition_config_selectorILNS1_17partition_subalgoE3EjNS0_10empty_typeEbEEZZNS1_14partition_implILS8_3ELb0ES6_jNS0_17counting_iteratorIjlEEPS9_SE_NS0_5tupleIJPjSE_EEENSF_IJSE_SE_EEES9_SG_JZNS1_25segmented_radix_sort_implINS0_14default_configELb0EPKlPlSM_SN_N2at6native12_GLOBAL__N_18offset_tEEE10hipError_tPvRmT1_PNSt15iterator_traitsISV_E10value_typeET2_T3_PNSW_IS11_E10value_typeET4_jRbjT5_S17_jjP12ihipStream_tbEUljE_EEESS_ST_SU_S11_S15_S17_T6_T7_T9_mT8_S19_bDpT10_ENKUlT_T0_E_clISt17integral_constantIbLb0EES1L_IbLb1EEEEDaS1H_S1I_EUlS1H_E_NS1_11comp_targetILNS1_3genE4ELNS1_11target_archE910ELNS1_3gpuE8ELNS1_3repE0EEENS1_30default_config_static_selectorELNS0_4arch9wavefront6targetE0EEEvSV_
	.p2align	8
	.type	_ZN7rocprim17ROCPRIM_400000_NS6detail17trampoline_kernelINS0_13select_configILj256ELj13ELNS0_17block_load_methodE3ELS4_3ELS4_3ELNS0_20block_scan_algorithmE0ELj4294967295EEENS1_25partition_config_selectorILNS1_17partition_subalgoE3EjNS0_10empty_typeEbEEZZNS1_14partition_implILS8_3ELb0ES6_jNS0_17counting_iteratorIjlEEPS9_SE_NS0_5tupleIJPjSE_EEENSF_IJSE_SE_EEES9_SG_JZNS1_25segmented_radix_sort_implINS0_14default_configELb0EPKlPlSM_SN_N2at6native12_GLOBAL__N_18offset_tEEE10hipError_tPvRmT1_PNSt15iterator_traitsISV_E10value_typeET2_T3_PNSW_IS11_E10value_typeET4_jRbjT5_S17_jjP12ihipStream_tbEUljE_EEESS_ST_SU_S11_S15_S17_T6_T7_T9_mT8_S19_bDpT10_ENKUlT_T0_E_clISt17integral_constantIbLb0EES1L_IbLb1EEEEDaS1H_S1I_EUlS1H_E_NS1_11comp_targetILNS1_3genE4ELNS1_11target_archE910ELNS1_3gpuE8ELNS1_3repE0EEENS1_30default_config_static_selectorELNS0_4arch9wavefront6targetE0EEEvSV_,@function
_ZN7rocprim17ROCPRIM_400000_NS6detail17trampoline_kernelINS0_13select_configILj256ELj13ELNS0_17block_load_methodE3ELS4_3ELS4_3ELNS0_20block_scan_algorithmE0ELj4294967295EEENS1_25partition_config_selectorILNS1_17partition_subalgoE3EjNS0_10empty_typeEbEEZZNS1_14partition_implILS8_3ELb0ES6_jNS0_17counting_iteratorIjlEEPS9_SE_NS0_5tupleIJPjSE_EEENSF_IJSE_SE_EEES9_SG_JZNS1_25segmented_radix_sort_implINS0_14default_configELb0EPKlPlSM_SN_N2at6native12_GLOBAL__N_18offset_tEEE10hipError_tPvRmT1_PNSt15iterator_traitsISV_E10value_typeET2_T3_PNSW_IS11_E10value_typeET4_jRbjT5_S17_jjP12ihipStream_tbEUljE_EEESS_ST_SU_S11_S15_S17_T6_T7_T9_mT8_S19_bDpT10_ENKUlT_T0_E_clISt17integral_constantIbLb0EES1L_IbLb1EEEEDaS1H_S1I_EUlS1H_E_NS1_11comp_targetILNS1_3genE4ELNS1_11target_archE910ELNS1_3gpuE8ELNS1_3repE0EEENS1_30default_config_static_selectorELNS0_4arch9wavefront6targetE0EEEvSV_: ; @_ZN7rocprim17ROCPRIM_400000_NS6detail17trampoline_kernelINS0_13select_configILj256ELj13ELNS0_17block_load_methodE3ELS4_3ELS4_3ELNS0_20block_scan_algorithmE0ELj4294967295EEENS1_25partition_config_selectorILNS1_17partition_subalgoE3EjNS0_10empty_typeEbEEZZNS1_14partition_implILS8_3ELb0ES6_jNS0_17counting_iteratorIjlEEPS9_SE_NS0_5tupleIJPjSE_EEENSF_IJSE_SE_EEES9_SG_JZNS1_25segmented_radix_sort_implINS0_14default_configELb0EPKlPlSM_SN_N2at6native12_GLOBAL__N_18offset_tEEE10hipError_tPvRmT1_PNSt15iterator_traitsISV_E10value_typeET2_T3_PNSW_IS11_E10value_typeET4_jRbjT5_S17_jjP12ihipStream_tbEUljE_EEESS_ST_SU_S11_S15_S17_T6_T7_T9_mT8_S19_bDpT10_ENKUlT_T0_E_clISt17integral_constantIbLb0EES1L_IbLb1EEEEDaS1H_S1I_EUlS1H_E_NS1_11comp_targetILNS1_3genE4ELNS1_11target_archE910ELNS1_3gpuE8ELNS1_3repE0EEENS1_30default_config_static_selectorELNS0_4arch9wavefront6targetE0EEEvSV_
; %bb.0:
	.section	.rodata,"a",@progbits
	.p2align	6, 0x0
	.amdhsa_kernel _ZN7rocprim17ROCPRIM_400000_NS6detail17trampoline_kernelINS0_13select_configILj256ELj13ELNS0_17block_load_methodE3ELS4_3ELS4_3ELNS0_20block_scan_algorithmE0ELj4294967295EEENS1_25partition_config_selectorILNS1_17partition_subalgoE3EjNS0_10empty_typeEbEEZZNS1_14partition_implILS8_3ELb0ES6_jNS0_17counting_iteratorIjlEEPS9_SE_NS0_5tupleIJPjSE_EEENSF_IJSE_SE_EEES9_SG_JZNS1_25segmented_radix_sort_implINS0_14default_configELb0EPKlPlSM_SN_N2at6native12_GLOBAL__N_18offset_tEEE10hipError_tPvRmT1_PNSt15iterator_traitsISV_E10value_typeET2_T3_PNSW_IS11_E10value_typeET4_jRbjT5_S17_jjP12ihipStream_tbEUljE_EEESS_ST_SU_S11_S15_S17_T6_T7_T9_mT8_S19_bDpT10_ENKUlT_T0_E_clISt17integral_constantIbLb0EES1L_IbLb1EEEEDaS1H_S1I_EUlS1H_E_NS1_11comp_targetILNS1_3genE4ELNS1_11target_archE910ELNS1_3gpuE8ELNS1_3repE0EEENS1_30default_config_static_selectorELNS0_4arch9wavefront6targetE0EEEvSV_
		.amdhsa_group_segment_fixed_size 0
		.amdhsa_private_segment_fixed_size 0
		.amdhsa_kernarg_size 152
		.amdhsa_user_sgpr_count 15
		.amdhsa_user_sgpr_dispatch_ptr 0
		.amdhsa_user_sgpr_queue_ptr 0
		.amdhsa_user_sgpr_kernarg_segment_ptr 1
		.amdhsa_user_sgpr_dispatch_id 0
		.amdhsa_user_sgpr_private_segment_size 0
		.amdhsa_wavefront_size32 1
		.amdhsa_uses_dynamic_stack 0
		.amdhsa_enable_private_segment 0
		.amdhsa_system_sgpr_workgroup_id_x 1
		.amdhsa_system_sgpr_workgroup_id_y 0
		.amdhsa_system_sgpr_workgroup_id_z 0
		.amdhsa_system_sgpr_workgroup_info 0
		.amdhsa_system_vgpr_workitem_id 0
		.amdhsa_next_free_vgpr 1
		.amdhsa_next_free_sgpr 1
		.amdhsa_reserve_vcc 0
		.amdhsa_float_round_mode_32 0
		.amdhsa_float_round_mode_16_64 0
		.amdhsa_float_denorm_mode_32 3
		.amdhsa_float_denorm_mode_16_64 3
		.amdhsa_dx10_clamp 1
		.amdhsa_ieee_mode 1
		.amdhsa_fp16_overflow 0
		.amdhsa_workgroup_processor_mode 1
		.amdhsa_memory_ordered 1
		.amdhsa_forward_progress 0
		.amdhsa_shared_vgpr_count 0
		.amdhsa_exception_fp_ieee_invalid_op 0
		.amdhsa_exception_fp_denorm_src 0
		.amdhsa_exception_fp_ieee_div_zero 0
		.amdhsa_exception_fp_ieee_overflow 0
		.amdhsa_exception_fp_ieee_underflow 0
		.amdhsa_exception_fp_ieee_inexact 0
		.amdhsa_exception_int_div_zero 0
	.end_amdhsa_kernel
	.section	.text._ZN7rocprim17ROCPRIM_400000_NS6detail17trampoline_kernelINS0_13select_configILj256ELj13ELNS0_17block_load_methodE3ELS4_3ELS4_3ELNS0_20block_scan_algorithmE0ELj4294967295EEENS1_25partition_config_selectorILNS1_17partition_subalgoE3EjNS0_10empty_typeEbEEZZNS1_14partition_implILS8_3ELb0ES6_jNS0_17counting_iteratorIjlEEPS9_SE_NS0_5tupleIJPjSE_EEENSF_IJSE_SE_EEES9_SG_JZNS1_25segmented_radix_sort_implINS0_14default_configELb0EPKlPlSM_SN_N2at6native12_GLOBAL__N_18offset_tEEE10hipError_tPvRmT1_PNSt15iterator_traitsISV_E10value_typeET2_T3_PNSW_IS11_E10value_typeET4_jRbjT5_S17_jjP12ihipStream_tbEUljE_EEESS_ST_SU_S11_S15_S17_T6_T7_T9_mT8_S19_bDpT10_ENKUlT_T0_E_clISt17integral_constantIbLb0EES1L_IbLb1EEEEDaS1H_S1I_EUlS1H_E_NS1_11comp_targetILNS1_3genE4ELNS1_11target_archE910ELNS1_3gpuE8ELNS1_3repE0EEENS1_30default_config_static_selectorELNS0_4arch9wavefront6targetE0EEEvSV_,"axG",@progbits,_ZN7rocprim17ROCPRIM_400000_NS6detail17trampoline_kernelINS0_13select_configILj256ELj13ELNS0_17block_load_methodE3ELS4_3ELS4_3ELNS0_20block_scan_algorithmE0ELj4294967295EEENS1_25partition_config_selectorILNS1_17partition_subalgoE3EjNS0_10empty_typeEbEEZZNS1_14partition_implILS8_3ELb0ES6_jNS0_17counting_iteratorIjlEEPS9_SE_NS0_5tupleIJPjSE_EEENSF_IJSE_SE_EEES9_SG_JZNS1_25segmented_radix_sort_implINS0_14default_configELb0EPKlPlSM_SN_N2at6native12_GLOBAL__N_18offset_tEEE10hipError_tPvRmT1_PNSt15iterator_traitsISV_E10value_typeET2_T3_PNSW_IS11_E10value_typeET4_jRbjT5_S17_jjP12ihipStream_tbEUljE_EEESS_ST_SU_S11_S15_S17_T6_T7_T9_mT8_S19_bDpT10_ENKUlT_T0_E_clISt17integral_constantIbLb0EES1L_IbLb1EEEEDaS1H_S1I_EUlS1H_E_NS1_11comp_targetILNS1_3genE4ELNS1_11target_archE910ELNS1_3gpuE8ELNS1_3repE0EEENS1_30default_config_static_selectorELNS0_4arch9wavefront6targetE0EEEvSV_,comdat
.Lfunc_end801:
	.size	_ZN7rocprim17ROCPRIM_400000_NS6detail17trampoline_kernelINS0_13select_configILj256ELj13ELNS0_17block_load_methodE3ELS4_3ELS4_3ELNS0_20block_scan_algorithmE0ELj4294967295EEENS1_25partition_config_selectorILNS1_17partition_subalgoE3EjNS0_10empty_typeEbEEZZNS1_14partition_implILS8_3ELb0ES6_jNS0_17counting_iteratorIjlEEPS9_SE_NS0_5tupleIJPjSE_EEENSF_IJSE_SE_EEES9_SG_JZNS1_25segmented_radix_sort_implINS0_14default_configELb0EPKlPlSM_SN_N2at6native12_GLOBAL__N_18offset_tEEE10hipError_tPvRmT1_PNSt15iterator_traitsISV_E10value_typeET2_T3_PNSW_IS11_E10value_typeET4_jRbjT5_S17_jjP12ihipStream_tbEUljE_EEESS_ST_SU_S11_S15_S17_T6_T7_T9_mT8_S19_bDpT10_ENKUlT_T0_E_clISt17integral_constantIbLb0EES1L_IbLb1EEEEDaS1H_S1I_EUlS1H_E_NS1_11comp_targetILNS1_3genE4ELNS1_11target_archE910ELNS1_3gpuE8ELNS1_3repE0EEENS1_30default_config_static_selectorELNS0_4arch9wavefront6targetE0EEEvSV_, .Lfunc_end801-_ZN7rocprim17ROCPRIM_400000_NS6detail17trampoline_kernelINS0_13select_configILj256ELj13ELNS0_17block_load_methodE3ELS4_3ELS4_3ELNS0_20block_scan_algorithmE0ELj4294967295EEENS1_25partition_config_selectorILNS1_17partition_subalgoE3EjNS0_10empty_typeEbEEZZNS1_14partition_implILS8_3ELb0ES6_jNS0_17counting_iteratorIjlEEPS9_SE_NS0_5tupleIJPjSE_EEENSF_IJSE_SE_EEES9_SG_JZNS1_25segmented_radix_sort_implINS0_14default_configELb0EPKlPlSM_SN_N2at6native12_GLOBAL__N_18offset_tEEE10hipError_tPvRmT1_PNSt15iterator_traitsISV_E10value_typeET2_T3_PNSW_IS11_E10value_typeET4_jRbjT5_S17_jjP12ihipStream_tbEUljE_EEESS_ST_SU_S11_S15_S17_T6_T7_T9_mT8_S19_bDpT10_ENKUlT_T0_E_clISt17integral_constantIbLb0EES1L_IbLb1EEEEDaS1H_S1I_EUlS1H_E_NS1_11comp_targetILNS1_3genE4ELNS1_11target_archE910ELNS1_3gpuE8ELNS1_3repE0EEENS1_30default_config_static_selectorELNS0_4arch9wavefront6targetE0EEEvSV_
                                        ; -- End function
	.section	.AMDGPU.csdata,"",@progbits
; Kernel info:
; codeLenInByte = 0
; NumSgprs: 0
; NumVgprs: 0
; ScratchSize: 0
; MemoryBound: 0
; FloatMode: 240
; IeeeMode: 1
; LDSByteSize: 0 bytes/workgroup (compile time only)
; SGPRBlocks: 0
; VGPRBlocks: 0
; NumSGPRsForWavesPerEU: 1
; NumVGPRsForWavesPerEU: 1
; Occupancy: 16
; WaveLimiterHint : 0
; COMPUTE_PGM_RSRC2:SCRATCH_EN: 0
; COMPUTE_PGM_RSRC2:USER_SGPR: 15
; COMPUTE_PGM_RSRC2:TRAP_HANDLER: 0
; COMPUTE_PGM_RSRC2:TGID_X_EN: 1
; COMPUTE_PGM_RSRC2:TGID_Y_EN: 0
; COMPUTE_PGM_RSRC2:TGID_Z_EN: 0
; COMPUTE_PGM_RSRC2:TIDIG_COMP_CNT: 0
	.section	.text._ZN7rocprim17ROCPRIM_400000_NS6detail17trampoline_kernelINS0_13select_configILj256ELj13ELNS0_17block_load_methodE3ELS4_3ELS4_3ELNS0_20block_scan_algorithmE0ELj4294967295EEENS1_25partition_config_selectorILNS1_17partition_subalgoE3EjNS0_10empty_typeEbEEZZNS1_14partition_implILS8_3ELb0ES6_jNS0_17counting_iteratorIjlEEPS9_SE_NS0_5tupleIJPjSE_EEENSF_IJSE_SE_EEES9_SG_JZNS1_25segmented_radix_sort_implINS0_14default_configELb0EPKlPlSM_SN_N2at6native12_GLOBAL__N_18offset_tEEE10hipError_tPvRmT1_PNSt15iterator_traitsISV_E10value_typeET2_T3_PNSW_IS11_E10value_typeET4_jRbjT5_S17_jjP12ihipStream_tbEUljE_EEESS_ST_SU_S11_S15_S17_T6_T7_T9_mT8_S19_bDpT10_ENKUlT_T0_E_clISt17integral_constantIbLb0EES1L_IbLb1EEEEDaS1H_S1I_EUlS1H_E_NS1_11comp_targetILNS1_3genE3ELNS1_11target_archE908ELNS1_3gpuE7ELNS1_3repE0EEENS1_30default_config_static_selectorELNS0_4arch9wavefront6targetE0EEEvSV_,"axG",@progbits,_ZN7rocprim17ROCPRIM_400000_NS6detail17trampoline_kernelINS0_13select_configILj256ELj13ELNS0_17block_load_methodE3ELS4_3ELS4_3ELNS0_20block_scan_algorithmE0ELj4294967295EEENS1_25partition_config_selectorILNS1_17partition_subalgoE3EjNS0_10empty_typeEbEEZZNS1_14partition_implILS8_3ELb0ES6_jNS0_17counting_iteratorIjlEEPS9_SE_NS0_5tupleIJPjSE_EEENSF_IJSE_SE_EEES9_SG_JZNS1_25segmented_radix_sort_implINS0_14default_configELb0EPKlPlSM_SN_N2at6native12_GLOBAL__N_18offset_tEEE10hipError_tPvRmT1_PNSt15iterator_traitsISV_E10value_typeET2_T3_PNSW_IS11_E10value_typeET4_jRbjT5_S17_jjP12ihipStream_tbEUljE_EEESS_ST_SU_S11_S15_S17_T6_T7_T9_mT8_S19_bDpT10_ENKUlT_T0_E_clISt17integral_constantIbLb0EES1L_IbLb1EEEEDaS1H_S1I_EUlS1H_E_NS1_11comp_targetILNS1_3genE3ELNS1_11target_archE908ELNS1_3gpuE7ELNS1_3repE0EEENS1_30default_config_static_selectorELNS0_4arch9wavefront6targetE0EEEvSV_,comdat
	.globl	_ZN7rocprim17ROCPRIM_400000_NS6detail17trampoline_kernelINS0_13select_configILj256ELj13ELNS0_17block_load_methodE3ELS4_3ELS4_3ELNS0_20block_scan_algorithmE0ELj4294967295EEENS1_25partition_config_selectorILNS1_17partition_subalgoE3EjNS0_10empty_typeEbEEZZNS1_14partition_implILS8_3ELb0ES6_jNS0_17counting_iteratorIjlEEPS9_SE_NS0_5tupleIJPjSE_EEENSF_IJSE_SE_EEES9_SG_JZNS1_25segmented_radix_sort_implINS0_14default_configELb0EPKlPlSM_SN_N2at6native12_GLOBAL__N_18offset_tEEE10hipError_tPvRmT1_PNSt15iterator_traitsISV_E10value_typeET2_T3_PNSW_IS11_E10value_typeET4_jRbjT5_S17_jjP12ihipStream_tbEUljE_EEESS_ST_SU_S11_S15_S17_T6_T7_T9_mT8_S19_bDpT10_ENKUlT_T0_E_clISt17integral_constantIbLb0EES1L_IbLb1EEEEDaS1H_S1I_EUlS1H_E_NS1_11comp_targetILNS1_3genE3ELNS1_11target_archE908ELNS1_3gpuE7ELNS1_3repE0EEENS1_30default_config_static_selectorELNS0_4arch9wavefront6targetE0EEEvSV_ ; -- Begin function _ZN7rocprim17ROCPRIM_400000_NS6detail17trampoline_kernelINS0_13select_configILj256ELj13ELNS0_17block_load_methodE3ELS4_3ELS4_3ELNS0_20block_scan_algorithmE0ELj4294967295EEENS1_25partition_config_selectorILNS1_17partition_subalgoE3EjNS0_10empty_typeEbEEZZNS1_14partition_implILS8_3ELb0ES6_jNS0_17counting_iteratorIjlEEPS9_SE_NS0_5tupleIJPjSE_EEENSF_IJSE_SE_EEES9_SG_JZNS1_25segmented_radix_sort_implINS0_14default_configELb0EPKlPlSM_SN_N2at6native12_GLOBAL__N_18offset_tEEE10hipError_tPvRmT1_PNSt15iterator_traitsISV_E10value_typeET2_T3_PNSW_IS11_E10value_typeET4_jRbjT5_S17_jjP12ihipStream_tbEUljE_EEESS_ST_SU_S11_S15_S17_T6_T7_T9_mT8_S19_bDpT10_ENKUlT_T0_E_clISt17integral_constantIbLb0EES1L_IbLb1EEEEDaS1H_S1I_EUlS1H_E_NS1_11comp_targetILNS1_3genE3ELNS1_11target_archE908ELNS1_3gpuE7ELNS1_3repE0EEENS1_30default_config_static_selectorELNS0_4arch9wavefront6targetE0EEEvSV_
	.p2align	8
	.type	_ZN7rocprim17ROCPRIM_400000_NS6detail17trampoline_kernelINS0_13select_configILj256ELj13ELNS0_17block_load_methodE3ELS4_3ELS4_3ELNS0_20block_scan_algorithmE0ELj4294967295EEENS1_25partition_config_selectorILNS1_17partition_subalgoE3EjNS0_10empty_typeEbEEZZNS1_14partition_implILS8_3ELb0ES6_jNS0_17counting_iteratorIjlEEPS9_SE_NS0_5tupleIJPjSE_EEENSF_IJSE_SE_EEES9_SG_JZNS1_25segmented_radix_sort_implINS0_14default_configELb0EPKlPlSM_SN_N2at6native12_GLOBAL__N_18offset_tEEE10hipError_tPvRmT1_PNSt15iterator_traitsISV_E10value_typeET2_T3_PNSW_IS11_E10value_typeET4_jRbjT5_S17_jjP12ihipStream_tbEUljE_EEESS_ST_SU_S11_S15_S17_T6_T7_T9_mT8_S19_bDpT10_ENKUlT_T0_E_clISt17integral_constantIbLb0EES1L_IbLb1EEEEDaS1H_S1I_EUlS1H_E_NS1_11comp_targetILNS1_3genE3ELNS1_11target_archE908ELNS1_3gpuE7ELNS1_3repE0EEENS1_30default_config_static_selectorELNS0_4arch9wavefront6targetE0EEEvSV_,@function
_ZN7rocprim17ROCPRIM_400000_NS6detail17trampoline_kernelINS0_13select_configILj256ELj13ELNS0_17block_load_methodE3ELS4_3ELS4_3ELNS0_20block_scan_algorithmE0ELj4294967295EEENS1_25partition_config_selectorILNS1_17partition_subalgoE3EjNS0_10empty_typeEbEEZZNS1_14partition_implILS8_3ELb0ES6_jNS0_17counting_iteratorIjlEEPS9_SE_NS0_5tupleIJPjSE_EEENSF_IJSE_SE_EEES9_SG_JZNS1_25segmented_radix_sort_implINS0_14default_configELb0EPKlPlSM_SN_N2at6native12_GLOBAL__N_18offset_tEEE10hipError_tPvRmT1_PNSt15iterator_traitsISV_E10value_typeET2_T3_PNSW_IS11_E10value_typeET4_jRbjT5_S17_jjP12ihipStream_tbEUljE_EEESS_ST_SU_S11_S15_S17_T6_T7_T9_mT8_S19_bDpT10_ENKUlT_T0_E_clISt17integral_constantIbLb0EES1L_IbLb1EEEEDaS1H_S1I_EUlS1H_E_NS1_11comp_targetILNS1_3genE3ELNS1_11target_archE908ELNS1_3gpuE7ELNS1_3repE0EEENS1_30default_config_static_selectorELNS0_4arch9wavefront6targetE0EEEvSV_: ; @_ZN7rocprim17ROCPRIM_400000_NS6detail17trampoline_kernelINS0_13select_configILj256ELj13ELNS0_17block_load_methodE3ELS4_3ELS4_3ELNS0_20block_scan_algorithmE0ELj4294967295EEENS1_25partition_config_selectorILNS1_17partition_subalgoE3EjNS0_10empty_typeEbEEZZNS1_14partition_implILS8_3ELb0ES6_jNS0_17counting_iteratorIjlEEPS9_SE_NS0_5tupleIJPjSE_EEENSF_IJSE_SE_EEES9_SG_JZNS1_25segmented_radix_sort_implINS0_14default_configELb0EPKlPlSM_SN_N2at6native12_GLOBAL__N_18offset_tEEE10hipError_tPvRmT1_PNSt15iterator_traitsISV_E10value_typeET2_T3_PNSW_IS11_E10value_typeET4_jRbjT5_S17_jjP12ihipStream_tbEUljE_EEESS_ST_SU_S11_S15_S17_T6_T7_T9_mT8_S19_bDpT10_ENKUlT_T0_E_clISt17integral_constantIbLb0EES1L_IbLb1EEEEDaS1H_S1I_EUlS1H_E_NS1_11comp_targetILNS1_3genE3ELNS1_11target_archE908ELNS1_3gpuE7ELNS1_3repE0EEENS1_30default_config_static_selectorELNS0_4arch9wavefront6targetE0EEEvSV_
; %bb.0:
	.section	.rodata,"a",@progbits
	.p2align	6, 0x0
	.amdhsa_kernel _ZN7rocprim17ROCPRIM_400000_NS6detail17trampoline_kernelINS0_13select_configILj256ELj13ELNS0_17block_load_methodE3ELS4_3ELS4_3ELNS0_20block_scan_algorithmE0ELj4294967295EEENS1_25partition_config_selectorILNS1_17partition_subalgoE3EjNS0_10empty_typeEbEEZZNS1_14partition_implILS8_3ELb0ES6_jNS0_17counting_iteratorIjlEEPS9_SE_NS0_5tupleIJPjSE_EEENSF_IJSE_SE_EEES9_SG_JZNS1_25segmented_radix_sort_implINS0_14default_configELb0EPKlPlSM_SN_N2at6native12_GLOBAL__N_18offset_tEEE10hipError_tPvRmT1_PNSt15iterator_traitsISV_E10value_typeET2_T3_PNSW_IS11_E10value_typeET4_jRbjT5_S17_jjP12ihipStream_tbEUljE_EEESS_ST_SU_S11_S15_S17_T6_T7_T9_mT8_S19_bDpT10_ENKUlT_T0_E_clISt17integral_constantIbLb0EES1L_IbLb1EEEEDaS1H_S1I_EUlS1H_E_NS1_11comp_targetILNS1_3genE3ELNS1_11target_archE908ELNS1_3gpuE7ELNS1_3repE0EEENS1_30default_config_static_selectorELNS0_4arch9wavefront6targetE0EEEvSV_
		.amdhsa_group_segment_fixed_size 0
		.amdhsa_private_segment_fixed_size 0
		.amdhsa_kernarg_size 152
		.amdhsa_user_sgpr_count 15
		.amdhsa_user_sgpr_dispatch_ptr 0
		.amdhsa_user_sgpr_queue_ptr 0
		.amdhsa_user_sgpr_kernarg_segment_ptr 1
		.amdhsa_user_sgpr_dispatch_id 0
		.amdhsa_user_sgpr_private_segment_size 0
		.amdhsa_wavefront_size32 1
		.amdhsa_uses_dynamic_stack 0
		.amdhsa_enable_private_segment 0
		.amdhsa_system_sgpr_workgroup_id_x 1
		.amdhsa_system_sgpr_workgroup_id_y 0
		.amdhsa_system_sgpr_workgroup_id_z 0
		.amdhsa_system_sgpr_workgroup_info 0
		.amdhsa_system_vgpr_workitem_id 0
		.amdhsa_next_free_vgpr 1
		.amdhsa_next_free_sgpr 1
		.amdhsa_reserve_vcc 0
		.amdhsa_float_round_mode_32 0
		.amdhsa_float_round_mode_16_64 0
		.amdhsa_float_denorm_mode_32 3
		.amdhsa_float_denorm_mode_16_64 3
		.amdhsa_dx10_clamp 1
		.amdhsa_ieee_mode 1
		.amdhsa_fp16_overflow 0
		.amdhsa_workgroup_processor_mode 1
		.amdhsa_memory_ordered 1
		.amdhsa_forward_progress 0
		.amdhsa_shared_vgpr_count 0
		.amdhsa_exception_fp_ieee_invalid_op 0
		.amdhsa_exception_fp_denorm_src 0
		.amdhsa_exception_fp_ieee_div_zero 0
		.amdhsa_exception_fp_ieee_overflow 0
		.amdhsa_exception_fp_ieee_underflow 0
		.amdhsa_exception_fp_ieee_inexact 0
		.amdhsa_exception_int_div_zero 0
	.end_amdhsa_kernel
	.section	.text._ZN7rocprim17ROCPRIM_400000_NS6detail17trampoline_kernelINS0_13select_configILj256ELj13ELNS0_17block_load_methodE3ELS4_3ELS4_3ELNS0_20block_scan_algorithmE0ELj4294967295EEENS1_25partition_config_selectorILNS1_17partition_subalgoE3EjNS0_10empty_typeEbEEZZNS1_14partition_implILS8_3ELb0ES6_jNS0_17counting_iteratorIjlEEPS9_SE_NS0_5tupleIJPjSE_EEENSF_IJSE_SE_EEES9_SG_JZNS1_25segmented_radix_sort_implINS0_14default_configELb0EPKlPlSM_SN_N2at6native12_GLOBAL__N_18offset_tEEE10hipError_tPvRmT1_PNSt15iterator_traitsISV_E10value_typeET2_T3_PNSW_IS11_E10value_typeET4_jRbjT5_S17_jjP12ihipStream_tbEUljE_EEESS_ST_SU_S11_S15_S17_T6_T7_T9_mT8_S19_bDpT10_ENKUlT_T0_E_clISt17integral_constantIbLb0EES1L_IbLb1EEEEDaS1H_S1I_EUlS1H_E_NS1_11comp_targetILNS1_3genE3ELNS1_11target_archE908ELNS1_3gpuE7ELNS1_3repE0EEENS1_30default_config_static_selectorELNS0_4arch9wavefront6targetE0EEEvSV_,"axG",@progbits,_ZN7rocprim17ROCPRIM_400000_NS6detail17trampoline_kernelINS0_13select_configILj256ELj13ELNS0_17block_load_methodE3ELS4_3ELS4_3ELNS0_20block_scan_algorithmE0ELj4294967295EEENS1_25partition_config_selectorILNS1_17partition_subalgoE3EjNS0_10empty_typeEbEEZZNS1_14partition_implILS8_3ELb0ES6_jNS0_17counting_iteratorIjlEEPS9_SE_NS0_5tupleIJPjSE_EEENSF_IJSE_SE_EEES9_SG_JZNS1_25segmented_radix_sort_implINS0_14default_configELb0EPKlPlSM_SN_N2at6native12_GLOBAL__N_18offset_tEEE10hipError_tPvRmT1_PNSt15iterator_traitsISV_E10value_typeET2_T3_PNSW_IS11_E10value_typeET4_jRbjT5_S17_jjP12ihipStream_tbEUljE_EEESS_ST_SU_S11_S15_S17_T6_T7_T9_mT8_S19_bDpT10_ENKUlT_T0_E_clISt17integral_constantIbLb0EES1L_IbLb1EEEEDaS1H_S1I_EUlS1H_E_NS1_11comp_targetILNS1_3genE3ELNS1_11target_archE908ELNS1_3gpuE7ELNS1_3repE0EEENS1_30default_config_static_selectorELNS0_4arch9wavefront6targetE0EEEvSV_,comdat
.Lfunc_end802:
	.size	_ZN7rocprim17ROCPRIM_400000_NS6detail17trampoline_kernelINS0_13select_configILj256ELj13ELNS0_17block_load_methodE3ELS4_3ELS4_3ELNS0_20block_scan_algorithmE0ELj4294967295EEENS1_25partition_config_selectorILNS1_17partition_subalgoE3EjNS0_10empty_typeEbEEZZNS1_14partition_implILS8_3ELb0ES6_jNS0_17counting_iteratorIjlEEPS9_SE_NS0_5tupleIJPjSE_EEENSF_IJSE_SE_EEES9_SG_JZNS1_25segmented_radix_sort_implINS0_14default_configELb0EPKlPlSM_SN_N2at6native12_GLOBAL__N_18offset_tEEE10hipError_tPvRmT1_PNSt15iterator_traitsISV_E10value_typeET2_T3_PNSW_IS11_E10value_typeET4_jRbjT5_S17_jjP12ihipStream_tbEUljE_EEESS_ST_SU_S11_S15_S17_T6_T7_T9_mT8_S19_bDpT10_ENKUlT_T0_E_clISt17integral_constantIbLb0EES1L_IbLb1EEEEDaS1H_S1I_EUlS1H_E_NS1_11comp_targetILNS1_3genE3ELNS1_11target_archE908ELNS1_3gpuE7ELNS1_3repE0EEENS1_30default_config_static_selectorELNS0_4arch9wavefront6targetE0EEEvSV_, .Lfunc_end802-_ZN7rocprim17ROCPRIM_400000_NS6detail17trampoline_kernelINS0_13select_configILj256ELj13ELNS0_17block_load_methodE3ELS4_3ELS4_3ELNS0_20block_scan_algorithmE0ELj4294967295EEENS1_25partition_config_selectorILNS1_17partition_subalgoE3EjNS0_10empty_typeEbEEZZNS1_14partition_implILS8_3ELb0ES6_jNS0_17counting_iteratorIjlEEPS9_SE_NS0_5tupleIJPjSE_EEENSF_IJSE_SE_EEES9_SG_JZNS1_25segmented_radix_sort_implINS0_14default_configELb0EPKlPlSM_SN_N2at6native12_GLOBAL__N_18offset_tEEE10hipError_tPvRmT1_PNSt15iterator_traitsISV_E10value_typeET2_T3_PNSW_IS11_E10value_typeET4_jRbjT5_S17_jjP12ihipStream_tbEUljE_EEESS_ST_SU_S11_S15_S17_T6_T7_T9_mT8_S19_bDpT10_ENKUlT_T0_E_clISt17integral_constantIbLb0EES1L_IbLb1EEEEDaS1H_S1I_EUlS1H_E_NS1_11comp_targetILNS1_3genE3ELNS1_11target_archE908ELNS1_3gpuE7ELNS1_3repE0EEENS1_30default_config_static_selectorELNS0_4arch9wavefront6targetE0EEEvSV_
                                        ; -- End function
	.section	.AMDGPU.csdata,"",@progbits
; Kernel info:
; codeLenInByte = 0
; NumSgprs: 0
; NumVgprs: 0
; ScratchSize: 0
; MemoryBound: 0
; FloatMode: 240
; IeeeMode: 1
; LDSByteSize: 0 bytes/workgroup (compile time only)
; SGPRBlocks: 0
; VGPRBlocks: 0
; NumSGPRsForWavesPerEU: 1
; NumVGPRsForWavesPerEU: 1
; Occupancy: 16
; WaveLimiterHint : 0
; COMPUTE_PGM_RSRC2:SCRATCH_EN: 0
; COMPUTE_PGM_RSRC2:USER_SGPR: 15
; COMPUTE_PGM_RSRC2:TRAP_HANDLER: 0
; COMPUTE_PGM_RSRC2:TGID_X_EN: 1
; COMPUTE_PGM_RSRC2:TGID_Y_EN: 0
; COMPUTE_PGM_RSRC2:TGID_Z_EN: 0
; COMPUTE_PGM_RSRC2:TIDIG_COMP_CNT: 0
	.section	.text._ZN7rocprim17ROCPRIM_400000_NS6detail17trampoline_kernelINS0_13select_configILj256ELj13ELNS0_17block_load_methodE3ELS4_3ELS4_3ELNS0_20block_scan_algorithmE0ELj4294967295EEENS1_25partition_config_selectorILNS1_17partition_subalgoE3EjNS0_10empty_typeEbEEZZNS1_14partition_implILS8_3ELb0ES6_jNS0_17counting_iteratorIjlEEPS9_SE_NS0_5tupleIJPjSE_EEENSF_IJSE_SE_EEES9_SG_JZNS1_25segmented_radix_sort_implINS0_14default_configELb0EPKlPlSM_SN_N2at6native12_GLOBAL__N_18offset_tEEE10hipError_tPvRmT1_PNSt15iterator_traitsISV_E10value_typeET2_T3_PNSW_IS11_E10value_typeET4_jRbjT5_S17_jjP12ihipStream_tbEUljE_EEESS_ST_SU_S11_S15_S17_T6_T7_T9_mT8_S19_bDpT10_ENKUlT_T0_E_clISt17integral_constantIbLb0EES1L_IbLb1EEEEDaS1H_S1I_EUlS1H_E_NS1_11comp_targetILNS1_3genE2ELNS1_11target_archE906ELNS1_3gpuE6ELNS1_3repE0EEENS1_30default_config_static_selectorELNS0_4arch9wavefront6targetE0EEEvSV_,"axG",@progbits,_ZN7rocprim17ROCPRIM_400000_NS6detail17trampoline_kernelINS0_13select_configILj256ELj13ELNS0_17block_load_methodE3ELS4_3ELS4_3ELNS0_20block_scan_algorithmE0ELj4294967295EEENS1_25partition_config_selectorILNS1_17partition_subalgoE3EjNS0_10empty_typeEbEEZZNS1_14partition_implILS8_3ELb0ES6_jNS0_17counting_iteratorIjlEEPS9_SE_NS0_5tupleIJPjSE_EEENSF_IJSE_SE_EEES9_SG_JZNS1_25segmented_radix_sort_implINS0_14default_configELb0EPKlPlSM_SN_N2at6native12_GLOBAL__N_18offset_tEEE10hipError_tPvRmT1_PNSt15iterator_traitsISV_E10value_typeET2_T3_PNSW_IS11_E10value_typeET4_jRbjT5_S17_jjP12ihipStream_tbEUljE_EEESS_ST_SU_S11_S15_S17_T6_T7_T9_mT8_S19_bDpT10_ENKUlT_T0_E_clISt17integral_constantIbLb0EES1L_IbLb1EEEEDaS1H_S1I_EUlS1H_E_NS1_11comp_targetILNS1_3genE2ELNS1_11target_archE906ELNS1_3gpuE6ELNS1_3repE0EEENS1_30default_config_static_selectorELNS0_4arch9wavefront6targetE0EEEvSV_,comdat
	.globl	_ZN7rocprim17ROCPRIM_400000_NS6detail17trampoline_kernelINS0_13select_configILj256ELj13ELNS0_17block_load_methodE3ELS4_3ELS4_3ELNS0_20block_scan_algorithmE0ELj4294967295EEENS1_25partition_config_selectorILNS1_17partition_subalgoE3EjNS0_10empty_typeEbEEZZNS1_14partition_implILS8_3ELb0ES6_jNS0_17counting_iteratorIjlEEPS9_SE_NS0_5tupleIJPjSE_EEENSF_IJSE_SE_EEES9_SG_JZNS1_25segmented_radix_sort_implINS0_14default_configELb0EPKlPlSM_SN_N2at6native12_GLOBAL__N_18offset_tEEE10hipError_tPvRmT1_PNSt15iterator_traitsISV_E10value_typeET2_T3_PNSW_IS11_E10value_typeET4_jRbjT5_S17_jjP12ihipStream_tbEUljE_EEESS_ST_SU_S11_S15_S17_T6_T7_T9_mT8_S19_bDpT10_ENKUlT_T0_E_clISt17integral_constantIbLb0EES1L_IbLb1EEEEDaS1H_S1I_EUlS1H_E_NS1_11comp_targetILNS1_3genE2ELNS1_11target_archE906ELNS1_3gpuE6ELNS1_3repE0EEENS1_30default_config_static_selectorELNS0_4arch9wavefront6targetE0EEEvSV_ ; -- Begin function _ZN7rocprim17ROCPRIM_400000_NS6detail17trampoline_kernelINS0_13select_configILj256ELj13ELNS0_17block_load_methodE3ELS4_3ELS4_3ELNS0_20block_scan_algorithmE0ELj4294967295EEENS1_25partition_config_selectorILNS1_17partition_subalgoE3EjNS0_10empty_typeEbEEZZNS1_14partition_implILS8_3ELb0ES6_jNS0_17counting_iteratorIjlEEPS9_SE_NS0_5tupleIJPjSE_EEENSF_IJSE_SE_EEES9_SG_JZNS1_25segmented_radix_sort_implINS0_14default_configELb0EPKlPlSM_SN_N2at6native12_GLOBAL__N_18offset_tEEE10hipError_tPvRmT1_PNSt15iterator_traitsISV_E10value_typeET2_T3_PNSW_IS11_E10value_typeET4_jRbjT5_S17_jjP12ihipStream_tbEUljE_EEESS_ST_SU_S11_S15_S17_T6_T7_T9_mT8_S19_bDpT10_ENKUlT_T0_E_clISt17integral_constantIbLb0EES1L_IbLb1EEEEDaS1H_S1I_EUlS1H_E_NS1_11comp_targetILNS1_3genE2ELNS1_11target_archE906ELNS1_3gpuE6ELNS1_3repE0EEENS1_30default_config_static_selectorELNS0_4arch9wavefront6targetE0EEEvSV_
	.p2align	8
	.type	_ZN7rocprim17ROCPRIM_400000_NS6detail17trampoline_kernelINS0_13select_configILj256ELj13ELNS0_17block_load_methodE3ELS4_3ELS4_3ELNS0_20block_scan_algorithmE0ELj4294967295EEENS1_25partition_config_selectorILNS1_17partition_subalgoE3EjNS0_10empty_typeEbEEZZNS1_14partition_implILS8_3ELb0ES6_jNS0_17counting_iteratorIjlEEPS9_SE_NS0_5tupleIJPjSE_EEENSF_IJSE_SE_EEES9_SG_JZNS1_25segmented_radix_sort_implINS0_14default_configELb0EPKlPlSM_SN_N2at6native12_GLOBAL__N_18offset_tEEE10hipError_tPvRmT1_PNSt15iterator_traitsISV_E10value_typeET2_T3_PNSW_IS11_E10value_typeET4_jRbjT5_S17_jjP12ihipStream_tbEUljE_EEESS_ST_SU_S11_S15_S17_T6_T7_T9_mT8_S19_bDpT10_ENKUlT_T0_E_clISt17integral_constantIbLb0EES1L_IbLb1EEEEDaS1H_S1I_EUlS1H_E_NS1_11comp_targetILNS1_3genE2ELNS1_11target_archE906ELNS1_3gpuE6ELNS1_3repE0EEENS1_30default_config_static_selectorELNS0_4arch9wavefront6targetE0EEEvSV_,@function
_ZN7rocprim17ROCPRIM_400000_NS6detail17trampoline_kernelINS0_13select_configILj256ELj13ELNS0_17block_load_methodE3ELS4_3ELS4_3ELNS0_20block_scan_algorithmE0ELj4294967295EEENS1_25partition_config_selectorILNS1_17partition_subalgoE3EjNS0_10empty_typeEbEEZZNS1_14partition_implILS8_3ELb0ES6_jNS0_17counting_iteratorIjlEEPS9_SE_NS0_5tupleIJPjSE_EEENSF_IJSE_SE_EEES9_SG_JZNS1_25segmented_radix_sort_implINS0_14default_configELb0EPKlPlSM_SN_N2at6native12_GLOBAL__N_18offset_tEEE10hipError_tPvRmT1_PNSt15iterator_traitsISV_E10value_typeET2_T3_PNSW_IS11_E10value_typeET4_jRbjT5_S17_jjP12ihipStream_tbEUljE_EEESS_ST_SU_S11_S15_S17_T6_T7_T9_mT8_S19_bDpT10_ENKUlT_T0_E_clISt17integral_constantIbLb0EES1L_IbLb1EEEEDaS1H_S1I_EUlS1H_E_NS1_11comp_targetILNS1_3genE2ELNS1_11target_archE906ELNS1_3gpuE6ELNS1_3repE0EEENS1_30default_config_static_selectorELNS0_4arch9wavefront6targetE0EEEvSV_: ; @_ZN7rocprim17ROCPRIM_400000_NS6detail17trampoline_kernelINS0_13select_configILj256ELj13ELNS0_17block_load_methodE3ELS4_3ELS4_3ELNS0_20block_scan_algorithmE0ELj4294967295EEENS1_25partition_config_selectorILNS1_17partition_subalgoE3EjNS0_10empty_typeEbEEZZNS1_14partition_implILS8_3ELb0ES6_jNS0_17counting_iteratorIjlEEPS9_SE_NS0_5tupleIJPjSE_EEENSF_IJSE_SE_EEES9_SG_JZNS1_25segmented_radix_sort_implINS0_14default_configELb0EPKlPlSM_SN_N2at6native12_GLOBAL__N_18offset_tEEE10hipError_tPvRmT1_PNSt15iterator_traitsISV_E10value_typeET2_T3_PNSW_IS11_E10value_typeET4_jRbjT5_S17_jjP12ihipStream_tbEUljE_EEESS_ST_SU_S11_S15_S17_T6_T7_T9_mT8_S19_bDpT10_ENKUlT_T0_E_clISt17integral_constantIbLb0EES1L_IbLb1EEEEDaS1H_S1I_EUlS1H_E_NS1_11comp_targetILNS1_3genE2ELNS1_11target_archE906ELNS1_3gpuE6ELNS1_3repE0EEENS1_30default_config_static_selectorELNS0_4arch9wavefront6targetE0EEEvSV_
; %bb.0:
	.section	.rodata,"a",@progbits
	.p2align	6, 0x0
	.amdhsa_kernel _ZN7rocprim17ROCPRIM_400000_NS6detail17trampoline_kernelINS0_13select_configILj256ELj13ELNS0_17block_load_methodE3ELS4_3ELS4_3ELNS0_20block_scan_algorithmE0ELj4294967295EEENS1_25partition_config_selectorILNS1_17partition_subalgoE3EjNS0_10empty_typeEbEEZZNS1_14partition_implILS8_3ELb0ES6_jNS0_17counting_iteratorIjlEEPS9_SE_NS0_5tupleIJPjSE_EEENSF_IJSE_SE_EEES9_SG_JZNS1_25segmented_radix_sort_implINS0_14default_configELb0EPKlPlSM_SN_N2at6native12_GLOBAL__N_18offset_tEEE10hipError_tPvRmT1_PNSt15iterator_traitsISV_E10value_typeET2_T3_PNSW_IS11_E10value_typeET4_jRbjT5_S17_jjP12ihipStream_tbEUljE_EEESS_ST_SU_S11_S15_S17_T6_T7_T9_mT8_S19_bDpT10_ENKUlT_T0_E_clISt17integral_constantIbLb0EES1L_IbLb1EEEEDaS1H_S1I_EUlS1H_E_NS1_11comp_targetILNS1_3genE2ELNS1_11target_archE906ELNS1_3gpuE6ELNS1_3repE0EEENS1_30default_config_static_selectorELNS0_4arch9wavefront6targetE0EEEvSV_
		.amdhsa_group_segment_fixed_size 0
		.amdhsa_private_segment_fixed_size 0
		.amdhsa_kernarg_size 152
		.amdhsa_user_sgpr_count 15
		.amdhsa_user_sgpr_dispatch_ptr 0
		.amdhsa_user_sgpr_queue_ptr 0
		.amdhsa_user_sgpr_kernarg_segment_ptr 1
		.amdhsa_user_sgpr_dispatch_id 0
		.amdhsa_user_sgpr_private_segment_size 0
		.amdhsa_wavefront_size32 1
		.amdhsa_uses_dynamic_stack 0
		.amdhsa_enable_private_segment 0
		.amdhsa_system_sgpr_workgroup_id_x 1
		.amdhsa_system_sgpr_workgroup_id_y 0
		.amdhsa_system_sgpr_workgroup_id_z 0
		.amdhsa_system_sgpr_workgroup_info 0
		.amdhsa_system_vgpr_workitem_id 0
		.amdhsa_next_free_vgpr 1
		.amdhsa_next_free_sgpr 1
		.amdhsa_reserve_vcc 0
		.amdhsa_float_round_mode_32 0
		.amdhsa_float_round_mode_16_64 0
		.amdhsa_float_denorm_mode_32 3
		.amdhsa_float_denorm_mode_16_64 3
		.amdhsa_dx10_clamp 1
		.amdhsa_ieee_mode 1
		.amdhsa_fp16_overflow 0
		.amdhsa_workgroup_processor_mode 1
		.amdhsa_memory_ordered 1
		.amdhsa_forward_progress 0
		.amdhsa_shared_vgpr_count 0
		.amdhsa_exception_fp_ieee_invalid_op 0
		.amdhsa_exception_fp_denorm_src 0
		.amdhsa_exception_fp_ieee_div_zero 0
		.amdhsa_exception_fp_ieee_overflow 0
		.amdhsa_exception_fp_ieee_underflow 0
		.amdhsa_exception_fp_ieee_inexact 0
		.amdhsa_exception_int_div_zero 0
	.end_amdhsa_kernel
	.section	.text._ZN7rocprim17ROCPRIM_400000_NS6detail17trampoline_kernelINS0_13select_configILj256ELj13ELNS0_17block_load_methodE3ELS4_3ELS4_3ELNS0_20block_scan_algorithmE0ELj4294967295EEENS1_25partition_config_selectorILNS1_17partition_subalgoE3EjNS0_10empty_typeEbEEZZNS1_14partition_implILS8_3ELb0ES6_jNS0_17counting_iteratorIjlEEPS9_SE_NS0_5tupleIJPjSE_EEENSF_IJSE_SE_EEES9_SG_JZNS1_25segmented_radix_sort_implINS0_14default_configELb0EPKlPlSM_SN_N2at6native12_GLOBAL__N_18offset_tEEE10hipError_tPvRmT1_PNSt15iterator_traitsISV_E10value_typeET2_T3_PNSW_IS11_E10value_typeET4_jRbjT5_S17_jjP12ihipStream_tbEUljE_EEESS_ST_SU_S11_S15_S17_T6_T7_T9_mT8_S19_bDpT10_ENKUlT_T0_E_clISt17integral_constantIbLb0EES1L_IbLb1EEEEDaS1H_S1I_EUlS1H_E_NS1_11comp_targetILNS1_3genE2ELNS1_11target_archE906ELNS1_3gpuE6ELNS1_3repE0EEENS1_30default_config_static_selectorELNS0_4arch9wavefront6targetE0EEEvSV_,"axG",@progbits,_ZN7rocprim17ROCPRIM_400000_NS6detail17trampoline_kernelINS0_13select_configILj256ELj13ELNS0_17block_load_methodE3ELS4_3ELS4_3ELNS0_20block_scan_algorithmE0ELj4294967295EEENS1_25partition_config_selectorILNS1_17partition_subalgoE3EjNS0_10empty_typeEbEEZZNS1_14partition_implILS8_3ELb0ES6_jNS0_17counting_iteratorIjlEEPS9_SE_NS0_5tupleIJPjSE_EEENSF_IJSE_SE_EEES9_SG_JZNS1_25segmented_radix_sort_implINS0_14default_configELb0EPKlPlSM_SN_N2at6native12_GLOBAL__N_18offset_tEEE10hipError_tPvRmT1_PNSt15iterator_traitsISV_E10value_typeET2_T3_PNSW_IS11_E10value_typeET4_jRbjT5_S17_jjP12ihipStream_tbEUljE_EEESS_ST_SU_S11_S15_S17_T6_T7_T9_mT8_S19_bDpT10_ENKUlT_T0_E_clISt17integral_constantIbLb0EES1L_IbLb1EEEEDaS1H_S1I_EUlS1H_E_NS1_11comp_targetILNS1_3genE2ELNS1_11target_archE906ELNS1_3gpuE6ELNS1_3repE0EEENS1_30default_config_static_selectorELNS0_4arch9wavefront6targetE0EEEvSV_,comdat
.Lfunc_end803:
	.size	_ZN7rocprim17ROCPRIM_400000_NS6detail17trampoline_kernelINS0_13select_configILj256ELj13ELNS0_17block_load_methodE3ELS4_3ELS4_3ELNS0_20block_scan_algorithmE0ELj4294967295EEENS1_25partition_config_selectorILNS1_17partition_subalgoE3EjNS0_10empty_typeEbEEZZNS1_14partition_implILS8_3ELb0ES6_jNS0_17counting_iteratorIjlEEPS9_SE_NS0_5tupleIJPjSE_EEENSF_IJSE_SE_EEES9_SG_JZNS1_25segmented_radix_sort_implINS0_14default_configELb0EPKlPlSM_SN_N2at6native12_GLOBAL__N_18offset_tEEE10hipError_tPvRmT1_PNSt15iterator_traitsISV_E10value_typeET2_T3_PNSW_IS11_E10value_typeET4_jRbjT5_S17_jjP12ihipStream_tbEUljE_EEESS_ST_SU_S11_S15_S17_T6_T7_T9_mT8_S19_bDpT10_ENKUlT_T0_E_clISt17integral_constantIbLb0EES1L_IbLb1EEEEDaS1H_S1I_EUlS1H_E_NS1_11comp_targetILNS1_3genE2ELNS1_11target_archE906ELNS1_3gpuE6ELNS1_3repE0EEENS1_30default_config_static_selectorELNS0_4arch9wavefront6targetE0EEEvSV_, .Lfunc_end803-_ZN7rocprim17ROCPRIM_400000_NS6detail17trampoline_kernelINS0_13select_configILj256ELj13ELNS0_17block_load_methodE3ELS4_3ELS4_3ELNS0_20block_scan_algorithmE0ELj4294967295EEENS1_25partition_config_selectorILNS1_17partition_subalgoE3EjNS0_10empty_typeEbEEZZNS1_14partition_implILS8_3ELb0ES6_jNS0_17counting_iteratorIjlEEPS9_SE_NS0_5tupleIJPjSE_EEENSF_IJSE_SE_EEES9_SG_JZNS1_25segmented_radix_sort_implINS0_14default_configELb0EPKlPlSM_SN_N2at6native12_GLOBAL__N_18offset_tEEE10hipError_tPvRmT1_PNSt15iterator_traitsISV_E10value_typeET2_T3_PNSW_IS11_E10value_typeET4_jRbjT5_S17_jjP12ihipStream_tbEUljE_EEESS_ST_SU_S11_S15_S17_T6_T7_T9_mT8_S19_bDpT10_ENKUlT_T0_E_clISt17integral_constantIbLb0EES1L_IbLb1EEEEDaS1H_S1I_EUlS1H_E_NS1_11comp_targetILNS1_3genE2ELNS1_11target_archE906ELNS1_3gpuE6ELNS1_3repE0EEENS1_30default_config_static_selectorELNS0_4arch9wavefront6targetE0EEEvSV_
                                        ; -- End function
	.section	.AMDGPU.csdata,"",@progbits
; Kernel info:
; codeLenInByte = 0
; NumSgprs: 0
; NumVgprs: 0
; ScratchSize: 0
; MemoryBound: 0
; FloatMode: 240
; IeeeMode: 1
; LDSByteSize: 0 bytes/workgroup (compile time only)
; SGPRBlocks: 0
; VGPRBlocks: 0
; NumSGPRsForWavesPerEU: 1
; NumVGPRsForWavesPerEU: 1
; Occupancy: 16
; WaveLimiterHint : 0
; COMPUTE_PGM_RSRC2:SCRATCH_EN: 0
; COMPUTE_PGM_RSRC2:USER_SGPR: 15
; COMPUTE_PGM_RSRC2:TRAP_HANDLER: 0
; COMPUTE_PGM_RSRC2:TGID_X_EN: 1
; COMPUTE_PGM_RSRC2:TGID_Y_EN: 0
; COMPUTE_PGM_RSRC2:TGID_Z_EN: 0
; COMPUTE_PGM_RSRC2:TIDIG_COMP_CNT: 0
	.section	.text._ZN7rocprim17ROCPRIM_400000_NS6detail17trampoline_kernelINS0_13select_configILj256ELj13ELNS0_17block_load_methodE3ELS4_3ELS4_3ELNS0_20block_scan_algorithmE0ELj4294967295EEENS1_25partition_config_selectorILNS1_17partition_subalgoE3EjNS0_10empty_typeEbEEZZNS1_14partition_implILS8_3ELb0ES6_jNS0_17counting_iteratorIjlEEPS9_SE_NS0_5tupleIJPjSE_EEENSF_IJSE_SE_EEES9_SG_JZNS1_25segmented_radix_sort_implINS0_14default_configELb0EPKlPlSM_SN_N2at6native12_GLOBAL__N_18offset_tEEE10hipError_tPvRmT1_PNSt15iterator_traitsISV_E10value_typeET2_T3_PNSW_IS11_E10value_typeET4_jRbjT5_S17_jjP12ihipStream_tbEUljE_EEESS_ST_SU_S11_S15_S17_T6_T7_T9_mT8_S19_bDpT10_ENKUlT_T0_E_clISt17integral_constantIbLb0EES1L_IbLb1EEEEDaS1H_S1I_EUlS1H_E_NS1_11comp_targetILNS1_3genE10ELNS1_11target_archE1200ELNS1_3gpuE4ELNS1_3repE0EEENS1_30default_config_static_selectorELNS0_4arch9wavefront6targetE0EEEvSV_,"axG",@progbits,_ZN7rocprim17ROCPRIM_400000_NS6detail17trampoline_kernelINS0_13select_configILj256ELj13ELNS0_17block_load_methodE3ELS4_3ELS4_3ELNS0_20block_scan_algorithmE0ELj4294967295EEENS1_25partition_config_selectorILNS1_17partition_subalgoE3EjNS0_10empty_typeEbEEZZNS1_14partition_implILS8_3ELb0ES6_jNS0_17counting_iteratorIjlEEPS9_SE_NS0_5tupleIJPjSE_EEENSF_IJSE_SE_EEES9_SG_JZNS1_25segmented_radix_sort_implINS0_14default_configELb0EPKlPlSM_SN_N2at6native12_GLOBAL__N_18offset_tEEE10hipError_tPvRmT1_PNSt15iterator_traitsISV_E10value_typeET2_T3_PNSW_IS11_E10value_typeET4_jRbjT5_S17_jjP12ihipStream_tbEUljE_EEESS_ST_SU_S11_S15_S17_T6_T7_T9_mT8_S19_bDpT10_ENKUlT_T0_E_clISt17integral_constantIbLb0EES1L_IbLb1EEEEDaS1H_S1I_EUlS1H_E_NS1_11comp_targetILNS1_3genE10ELNS1_11target_archE1200ELNS1_3gpuE4ELNS1_3repE0EEENS1_30default_config_static_selectorELNS0_4arch9wavefront6targetE0EEEvSV_,comdat
	.globl	_ZN7rocprim17ROCPRIM_400000_NS6detail17trampoline_kernelINS0_13select_configILj256ELj13ELNS0_17block_load_methodE3ELS4_3ELS4_3ELNS0_20block_scan_algorithmE0ELj4294967295EEENS1_25partition_config_selectorILNS1_17partition_subalgoE3EjNS0_10empty_typeEbEEZZNS1_14partition_implILS8_3ELb0ES6_jNS0_17counting_iteratorIjlEEPS9_SE_NS0_5tupleIJPjSE_EEENSF_IJSE_SE_EEES9_SG_JZNS1_25segmented_radix_sort_implINS0_14default_configELb0EPKlPlSM_SN_N2at6native12_GLOBAL__N_18offset_tEEE10hipError_tPvRmT1_PNSt15iterator_traitsISV_E10value_typeET2_T3_PNSW_IS11_E10value_typeET4_jRbjT5_S17_jjP12ihipStream_tbEUljE_EEESS_ST_SU_S11_S15_S17_T6_T7_T9_mT8_S19_bDpT10_ENKUlT_T0_E_clISt17integral_constantIbLb0EES1L_IbLb1EEEEDaS1H_S1I_EUlS1H_E_NS1_11comp_targetILNS1_3genE10ELNS1_11target_archE1200ELNS1_3gpuE4ELNS1_3repE0EEENS1_30default_config_static_selectorELNS0_4arch9wavefront6targetE0EEEvSV_ ; -- Begin function _ZN7rocprim17ROCPRIM_400000_NS6detail17trampoline_kernelINS0_13select_configILj256ELj13ELNS0_17block_load_methodE3ELS4_3ELS4_3ELNS0_20block_scan_algorithmE0ELj4294967295EEENS1_25partition_config_selectorILNS1_17partition_subalgoE3EjNS0_10empty_typeEbEEZZNS1_14partition_implILS8_3ELb0ES6_jNS0_17counting_iteratorIjlEEPS9_SE_NS0_5tupleIJPjSE_EEENSF_IJSE_SE_EEES9_SG_JZNS1_25segmented_radix_sort_implINS0_14default_configELb0EPKlPlSM_SN_N2at6native12_GLOBAL__N_18offset_tEEE10hipError_tPvRmT1_PNSt15iterator_traitsISV_E10value_typeET2_T3_PNSW_IS11_E10value_typeET4_jRbjT5_S17_jjP12ihipStream_tbEUljE_EEESS_ST_SU_S11_S15_S17_T6_T7_T9_mT8_S19_bDpT10_ENKUlT_T0_E_clISt17integral_constantIbLb0EES1L_IbLb1EEEEDaS1H_S1I_EUlS1H_E_NS1_11comp_targetILNS1_3genE10ELNS1_11target_archE1200ELNS1_3gpuE4ELNS1_3repE0EEENS1_30default_config_static_selectorELNS0_4arch9wavefront6targetE0EEEvSV_
	.p2align	8
	.type	_ZN7rocprim17ROCPRIM_400000_NS6detail17trampoline_kernelINS0_13select_configILj256ELj13ELNS0_17block_load_methodE3ELS4_3ELS4_3ELNS0_20block_scan_algorithmE0ELj4294967295EEENS1_25partition_config_selectorILNS1_17partition_subalgoE3EjNS0_10empty_typeEbEEZZNS1_14partition_implILS8_3ELb0ES6_jNS0_17counting_iteratorIjlEEPS9_SE_NS0_5tupleIJPjSE_EEENSF_IJSE_SE_EEES9_SG_JZNS1_25segmented_radix_sort_implINS0_14default_configELb0EPKlPlSM_SN_N2at6native12_GLOBAL__N_18offset_tEEE10hipError_tPvRmT1_PNSt15iterator_traitsISV_E10value_typeET2_T3_PNSW_IS11_E10value_typeET4_jRbjT5_S17_jjP12ihipStream_tbEUljE_EEESS_ST_SU_S11_S15_S17_T6_T7_T9_mT8_S19_bDpT10_ENKUlT_T0_E_clISt17integral_constantIbLb0EES1L_IbLb1EEEEDaS1H_S1I_EUlS1H_E_NS1_11comp_targetILNS1_3genE10ELNS1_11target_archE1200ELNS1_3gpuE4ELNS1_3repE0EEENS1_30default_config_static_selectorELNS0_4arch9wavefront6targetE0EEEvSV_,@function
_ZN7rocprim17ROCPRIM_400000_NS6detail17trampoline_kernelINS0_13select_configILj256ELj13ELNS0_17block_load_methodE3ELS4_3ELS4_3ELNS0_20block_scan_algorithmE0ELj4294967295EEENS1_25partition_config_selectorILNS1_17partition_subalgoE3EjNS0_10empty_typeEbEEZZNS1_14partition_implILS8_3ELb0ES6_jNS0_17counting_iteratorIjlEEPS9_SE_NS0_5tupleIJPjSE_EEENSF_IJSE_SE_EEES9_SG_JZNS1_25segmented_radix_sort_implINS0_14default_configELb0EPKlPlSM_SN_N2at6native12_GLOBAL__N_18offset_tEEE10hipError_tPvRmT1_PNSt15iterator_traitsISV_E10value_typeET2_T3_PNSW_IS11_E10value_typeET4_jRbjT5_S17_jjP12ihipStream_tbEUljE_EEESS_ST_SU_S11_S15_S17_T6_T7_T9_mT8_S19_bDpT10_ENKUlT_T0_E_clISt17integral_constantIbLb0EES1L_IbLb1EEEEDaS1H_S1I_EUlS1H_E_NS1_11comp_targetILNS1_3genE10ELNS1_11target_archE1200ELNS1_3gpuE4ELNS1_3repE0EEENS1_30default_config_static_selectorELNS0_4arch9wavefront6targetE0EEEvSV_: ; @_ZN7rocprim17ROCPRIM_400000_NS6detail17trampoline_kernelINS0_13select_configILj256ELj13ELNS0_17block_load_methodE3ELS4_3ELS4_3ELNS0_20block_scan_algorithmE0ELj4294967295EEENS1_25partition_config_selectorILNS1_17partition_subalgoE3EjNS0_10empty_typeEbEEZZNS1_14partition_implILS8_3ELb0ES6_jNS0_17counting_iteratorIjlEEPS9_SE_NS0_5tupleIJPjSE_EEENSF_IJSE_SE_EEES9_SG_JZNS1_25segmented_radix_sort_implINS0_14default_configELb0EPKlPlSM_SN_N2at6native12_GLOBAL__N_18offset_tEEE10hipError_tPvRmT1_PNSt15iterator_traitsISV_E10value_typeET2_T3_PNSW_IS11_E10value_typeET4_jRbjT5_S17_jjP12ihipStream_tbEUljE_EEESS_ST_SU_S11_S15_S17_T6_T7_T9_mT8_S19_bDpT10_ENKUlT_T0_E_clISt17integral_constantIbLb0EES1L_IbLb1EEEEDaS1H_S1I_EUlS1H_E_NS1_11comp_targetILNS1_3genE10ELNS1_11target_archE1200ELNS1_3gpuE4ELNS1_3repE0EEENS1_30default_config_static_selectorELNS0_4arch9wavefront6targetE0EEEvSV_
; %bb.0:
	.section	.rodata,"a",@progbits
	.p2align	6, 0x0
	.amdhsa_kernel _ZN7rocprim17ROCPRIM_400000_NS6detail17trampoline_kernelINS0_13select_configILj256ELj13ELNS0_17block_load_methodE3ELS4_3ELS4_3ELNS0_20block_scan_algorithmE0ELj4294967295EEENS1_25partition_config_selectorILNS1_17partition_subalgoE3EjNS0_10empty_typeEbEEZZNS1_14partition_implILS8_3ELb0ES6_jNS0_17counting_iteratorIjlEEPS9_SE_NS0_5tupleIJPjSE_EEENSF_IJSE_SE_EEES9_SG_JZNS1_25segmented_radix_sort_implINS0_14default_configELb0EPKlPlSM_SN_N2at6native12_GLOBAL__N_18offset_tEEE10hipError_tPvRmT1_PNSt15iterator_traitsISV_E10value_typeET2_T3_PNSW_IS11_E10value_typeET4_jRbjT5_S17_jjP12ihipStream_tbEUljE_EEESS_ST_SU_S11_S15_S17_T6_T7_T9_mT8_S19_bDpT10_ENKUlT_T0_E_clISt17integral_constantIbLb0EES1L_IbLb1EEEEDaS1H_S1I_EUlS1H_E_NS1_11comp_targetILNS1_3genE10ELNS1_11target_archE1200ELNS1_3gpuE4ELNS1_3repE0EEENS1_30default_config_static_selectorELNS0_4arch9wavefront6targetE0EEEvSV_
		.amdhsa_group_segment_fixed_size 0
		.amdhsa_private_segment_fixed_size 0
		.amdhsa_kernarg_size 152
		.amdhsa_user_sgpr_count 15
		.amdhsa_user_sgpr_dispatch_ptr 0
		.amdhsa_user_sgpr_queue_ptr 0
		.amdhsa_user_sgpr_kernarg_segment_ptr 1
		.amdhsa_user_sgpr_dispatch_id 0
		.amdhsa_user_sgpr_private_segment_size 0
		.amdhsa_wavefront_size32 1
		.amdhsa_uses_dynamic_stack 0
		.amdhsa_enable_private_segment 0
		.amdhsa_system_sgpr_workgroup_id_x 1
		.amdhsa_system_sgpr_workgroup_id_y 0
		.amdhsa_system_sgpr_workgroup_id_z 0
		.amdhsa_system_sgpr_workgroup_info 0
		.amdhsa_system_vgpr_workitem_id 0
		.amdhsa_next_free_vgpr 1
		.amdhsa_next_free_sgpr 1
		.amdhsa_reserve_vcc 0
		.amdhsa_float_round_mode_32 0
		.amdhsa_float_round_mode_16_64 0
		.amdhsa_float_denorm_mode_32 3
		.amdhsa_float_denorm_mode_16_64 3
		.amdhsa_dx10_clamp 1
		.amdhsa_ieee_mode 1
		.amdhsa_fp16_overflow 0
		.amdhsa_workgroup_processor_mode 1
		.amdhsa_memory_ordered 1
		.amdhsa_forward_progress 0
		.amdhsa_shared_vgpr_count 0
		.amdhsa_exception_fp_ieee_invalid_op 0
		.amdhsa_exception_fp_denorm_src 0
		.amdhsa_exception_fp_ieee_div_zero 0
		.amdhsa_exception_fp_ieee_overflow 0
		.amdhsa_exception_fp_ieee_underflow 0
		.amdhsa_exception_fp_ieee_inexact 0
		.amdhsa_exception_int_div_zero 0
	.end_amdhsa_kernel
	.section	.text._ZN7rocprim17ROCPRIM_400000_NS6detail17trampoline_kernelINS0_13select_configILj256ELj13ELNS0_17block_load_methodE3ELS4_3ELS4_3ELNS0_20block_scan_algorithmE0ELj4294967295EEENS1_25partition_config_selectorILNS1_17partition_subalgoE3EjNS0_10empty_typeEbEEZZNS1_14partition_implILS8_3ELb0ES6_jNS0_17counting_iteratorIjlEEPS9_SE_NS0_5tupleIJPjSE_EEENSF_IJSE_SE_EEES9_SG_JZNS1_25segmented_radix_sort_implINS0_14default_configELb0EPKlPlSM_SN_N2at6native12_GLOBAL__N_18offset_tEEE10hipError_tPvRmT1_PNSt15iterator_traitsISV_E10value_typeET2_T3_PNSW_IS11_E10value_typeET4_jRbjT5_S17_jjP12ihipStream_tbEUljE_EEESS_ST_SU_S11_S15_S17_T6_T7_T9_mT8_S19_bDpT10_ENKUlT_T0_E_clISt17integral_constantIbLb0EES1L_IbLb1EEEEDaS1H_S1I_EUlS1H_E_NS1_11comp_targetILNS1_3genE10ELNS1_11target_archE1200ELNS1_3gpuE4ELNS1_3repE0EEENS1_30default_config_static_selectorELNS0_4arch9wavefront6targetE0EEEvSV_,"axG",@progbits,_ZN7rocprim17ROCPRIM_400000_NS6detail17trampoline_kernelINS0_13select_configILj256ELj13ELNS0_17block_load_methodE3ELS4_3ELS4_3ELNS0_20block_scan_algorithmE0ELj4294967295EEENS1_25partition_config_selectorILNS1_17partition_subalgoE3EjNS0_10empty_typeEbEEZZNS1_14partition_implILS8_3ELb0ES6_jNS0_17counting_iteratorIjlEEPS9_SE_NS0_5tupleIJPjSE_EEENSF_IJSE_SE_EEES9_SG_JZNS1_25segmented_radix_sort_implINS0_14default_configELb0EPKlPlSM_SN_N2at6native12_GLOBAL__N_18offset_tEEE10hipError_tPvRmT1_PNSt15iterator_traitsISV_E10value_typeET2_T3_PNSW_IS11_E10value_typeET4_jRbjT5_S17_jjP12ihipStream_tbEUljE_EEESS_ST_SU_S11_S15_S17_T6_T7_T9_mT8_S19_bDpT10_ENKUlT_T0_E_clISt17integral_constantIbLb0EES1L_IbLb1EEEEDaS1H_S1I_EUlS1H_E_NS1_11comp_targetILNS1_3genE10ELNS1_11target_archE1200ELNS1_3gpuE4ELNS1_3repE0EEENS1_30default_config_static_selectorELNS0_4arch9wavefront6targetE0EEEvSV_,comdat
.Lfunc_end804:
	.size	_ZN7rocprim17ROCPRIM_400000_NS6detail17trampoline_kernelINS0_13select_configILj256ELj13ELNS0_17block_load_methodE3ELS4_3ELS4_3ELNS0_20block_scan_algorithmE0ELj4294967295EEENS1_25partition_config_selectorILNS1_17partition_subalgoE3EjNS0_10empty_typeEbEEZZNS1_14partition_implILS8_3ELb0ES6_jNS0_17counting_iteratorIjlEEPS9_SE_NS0_5tupleIJPjSE_EEENSF_IJSE_SE_EEES9_SG_JZNS1_25segmented_radix_sort_implINS0_14default_configELb0EPKlPlSM_SN_N2at6native12_GLOBAL__N_18offset_tEEE10hipError_tPvRmT1_PNSt15iterator_traitsISV_E10value_typeET2_T3_PNSW_IS11_E10value_typeET4_jRbjT5_S17_jjP12ihipStream_tbEUljE_EEESS_ST_SU_S11_S15_S17_T6_T7_T9_mT8_S19_bDpT10_ENKUlT_T0_E_clISt17integral_constantIbLb0EES1L_IbLb1EEEEDaS1H_S1I_EUlS1H_E_NS1_11comp_targetILNS1_3genE10ELNS1_11target_archE1200ELNS1_3gpuE4ELNS1_3repE0EEENS1_30default_config_static_selectorELNS0_4arch9wavefront6targetE0EEEvSV_, .Lfunc_end804-_ZN7rocprim17ROCPRIM_400000_NS6detail17trampoline_kernelINS0_13select_configILj256ELj13ELNS0_17block_load_methodE3ELS4_3ELS4_3ELNS0_20block_scan_algorithmE0ELj4294967295EEENS1_25partition_config_selectorILNS1_17partition_subalgoE3EjNS0_10empty_typeEbEEZZNS1_14partition_implILS8_3ELb0ES6_jNS0_17counting_iteratorIjlEEPS9_SE_NS0_5tupleIJPjSE_EEENSF_IJSE_SE_EEES9_SG_JZNS1_25segmented_radix_sort_implINS0_14default_configELb0EPKlPlSM_SN_N2at6native12_GLOBAL__N_18offset_tEEE10hipError_tPvRmT1_PNSt15iterator_traitsISV_E10value_typeET2_T3_PNSW_IS11_E10value_typeET4_jRbjT5_S17_jjP12ihipStream_tbEUljE_EEESS_ST_SU_S11_S15_S17_T6_T7_T9_mT8_S19_bDpT10_ENKUlT_T0_E_clISt17integral_constantIbLb0EES1L_IbLb1EEEEDaS1H_S1I_EUlS1H_E_NS1_11comp_targetILNS1_3genE10ELNS1_11target_archE1200ELNS1_3gpuE4ELNS1_3repE0EEENS1_30default_config_static_selectorELNS0_4arch9wavefront6targetE0EEEvSV_
                                        ; -- End function
	.section	.AMDGPU.csdata,"",@progbits
; Kernel info:
; codeLenInByte = 0
; NumSgprs: 0
; NumVgprs: 0
; ScratchSize: 0
; MemoryBound: 0
; FloatMode: 240
; IeeeMode: 1
; LDSByteSize: 0 bytes/workgroup (compile time only)
; SGPRBlocks: 0
; VGPRBlocks: 0
; NumSGPRsForWavesPerEU: 1
; NumVGPRsForWavesPerEU: 1
; Occupancy: 16
; WaveLimiterHint : 0
; COMPUTE_PGM_RSRC2:SCRATCH_EN: 0
; COMPUTE_PGM_RSRC2:USER_SGPR: 15
; COMPUTE_PGM_RSRC2:TRAP_HANDLER: 0
; COMPUTE_PGM_RSRC2:TGID_X_EN: 1
; COMPUTE_PGM_RSRC2:TGID_Y_EN: 0
; COMPUTE_PGM_RSRC2:TGID_Z_EN: 0
; COMPUTE_PGM_RSRC2:TIDIG_COMP_CNT: 0
	.section	.text._ZN7rocprim17ROCPRIM_400000_NS6detail17trampoline_kernelINS0_13select_configILj256ELj13ELNS0_17block_load_methodE3ELS4_3ELS4_3ELNS0_20block_scan_algorithmE0ELj4294967295EEENS1_25partition_config_selectorILNS1_17partition_subalgoE3EjNS0_10empty_typeEbEEZZNS1_14partition_implILS8_3ELb0ES6_jNS0_17counting_iteratorIjlEEPS9_SE_NS0_5tupleIJPjSE_EEENSF_IJSE_SE_EEES9_SG_JZNS1_25segmented_radix_sort_implINS0_14default_configELb0EPKlPlSM_SN_N2at6native12_GLOBAL__N_18offset_tEEE10hipError_tPvRmT1_PNSt15iterator_traitsISV_E10value_typeET2_T3_PNSW_IS11_E10value_typeET4_jRbjT5_S17_jjP12ihipStream_tbEUljE_EEESS_ST_SU_S11_S15_S17_T6_T7_T9_mT8_S19_bDpT10_ENKUlT_T0_E_clISt17integral_constantIbLb0EES1L_IbLb1EEEEDaS1H_S1I_EUlS1H_E_NS1_11comp_targetILNS1_3genE9ELNS1_11target_archE1100ELNS1_3gpuE3ELNS1_3repE0EEENS1_30default_config_static_selectorELNS0_4arch9wavefront6targetE0EEEvSV_,"axG",@progbits,_ZN7rocprim17ROCPRIM_400000_NS6detail17trampoline_kernelINS0_13select_configILj256ELj13ELNS0_17block_load_methodE3ELS4_3ELS4_3ELNS0_20block_scan_algorithmE0ELj4294967295EEENS1_25partition_config_selectorILNS1_17partition_subalgoE3EjNS0_10empty_typeEbEEZZNS1_14partition_implILS8_3ELb0ES6_jNS0_17counting_iteratorIjlEEPS9_SE_NS0_5tupleIJPjSE_EEENSF_IJSE_SE_EEES9_SG_JZNS1_25segmented_radix_sort_implINS0_14default_configELb0EPKlPlSM_SN_N2at6native12_GLOBAL__N_18offset_tEEE10hipError_tPvRmT1_PNSt15iterator_traitsISV_E10value_typeET2_T3_PNSW_IS11_E10value_typeET4_jRbjT5_S17_jjP12ihipStream_tbEUljE_EEESS_ST_SU_S11_S15_S17_T6_T7_T9_mT8_S19_bDpT10_ENKUlT_T0_E_clISt17integral_constantIbLb0EES1L_IbLb1EEEEDaS1H_S1I_EUlS1H_E_NS1_11comp_targetILNS1_3genE9ELNS1_11target_archE1100ELNS1_3gpuE3ELNS1_3repE0EEENS1_30default_config_static_selectorELNS0_4arch9wavefront6targetE0EEEvSV_,comdat
	.globl	_ZN7rocprim17ROCPRIM_400000_NS6detail17trampoline_kernelINS0_13select_configILj256ELj13ELNS0_17block_load_methodE3ELS4_3ELS4_3ELNS0_20block_scan_algorithmE0ELj4294967295EEENS1_25partition_config_selectorILNS1_17partition_subalgoE3EjNS0_10empty_typeEbEEZZNS1_14partition_implILS8_3ELb0ES6_jNS0_17counting_iteratorIjlEEPS9_SE_NS0_5tupleIJPjSE_EEENSF_IJSE_SE_EEES9_SG_JZNS1_25segmented_radix_sort_implINS0_14default_configELb0EPKlPlSM_SN_N2at6native12_GLOBAL__N_18offset_tEEE10hipError_tPvRmT1_PNSt15iterator_traitsISV_E10value_typeET2_T3_PNSW_IS11_E10value_typeET4_jRbjT5_S17_jjP12ihipStream_tbEUljE_EEESS_ST_SU_S11_S15_S17_T6_T7_T9_mT8_S19_bDpT10_ENKUlT_T0_E_clISt17integral_constantIbLb0EES1L_IbLb1EEEEDaS1H_S1I_EUlS1H_E_NS1_11comp_targetILNS1_3genE9ELNS1_11target_archE1100ELNS1_3gpuE3ELNS1_3repE0EEENS1_30default_config_static_selectorELNS0_4arch9wavefront6targetE0EEEvSV_ ; -- Begin function _ZN7rocprim17ROCPRIM_400000_NS6detail17trampoline_kernelINS0_13select_configILj256ELj13ELNS0_17block_load_methodE3ELS4_3ELS4_3ELNS0_20block_scan_algorithmE0ELj4294967295EEENS1_25partition_config_selectorILNS1_17partition_subalgoE3EjNS0_10empty_typeEbEEZZNS1_14partition_implILS8_3ELb0ES6_jNS0_17counting_iteratorIjlEEPS9_SE_NS0_5tupleIJPjSE_EEENSF_IJSE_SE_EEES9_SG_JZNS1_25segmented_radix_sort_implINS0_14default_configELb0EPKlPlSM_SN_N2at6native12_GLOBAL__N_18offset_tEEE10hipError_tPvRmT1_PNSt15iterator_traitsISV_E10value_typeET2_T3_PNSW_IS11_E10value_typeET4_jRbjT5_S17_jjP12ihipStream_tbEUljE_EEESS_ST_SU_S11_S15_S17_T6_T7_T9_mT8_S19_bDpT10_ENKUlT_T0_E_clISt17integral_constantIbLb0EES1L_IbLb1EEEEDaS1H_S1I_EUlS1H_E_NS1_11comp_targetILNS1_3genE9ELNS1_11target_archE1100ELNS1_3gpuE3ELNS1_3repE0EEENS1_30default_config_static_selectorELNS0_4arch9wavefront6targetE0EEEvSV_
	.p2align	8
	.type	_ZN7rocprim17ROCPRIM_400000_NS6detail17trampoline_kernelINS0_13select_configILj256ELj13ELNS0_17block_load_methodE3ELS4_3ELS4_3ELNS0_20block_scan_algorithmE0ELj4294967295EEENS1_25partition_config_selectorILNS1_17partition_subalgoE3EjNS0_10empty_typeEbEEZZNS1_14partition_implILS8_3ELb0ES6_jNS0_17counting_iteratorIjlEEPS9_SE_NS0_5tupleIJPjSE_EEENSF_IJSE_SE_EEES9_SG_JZNS1_25segmented_radix_sort_implINS0_14default_configELb0EPKlPlSM_SN_N2at6native12_GLOBAL__N_18offset_tEEE10hipError_tPvRmT1_PNSt15iterator_traitsISV_E10value_typeET2_T3_PNSW_IS11_E10value_typeET4_jRbjT5_S17_jjP12ihipStream_tbEUljE_EEESS_ST_SU_S11_S15_S17_T6_T7_T9_mT8_S19_bDpT10_ENKUlT_T0_E_clISt17integral_constantIbLb0EES1L_IbLb1EEEEDaS1H_S1I_EUlS1H_E_NS1_11comp_targetILNS1_3genE9ELNS1_11target_archE1100ELNS1_3gpuE3ELNS1_3repE0EEENS1_30default_config_static_selectorELNS0_4arch9wavefront6targetE0EEEvSV_,@function
_ZN7rocprim17ROCPRIM_400000_NS6detail17trampoline_kernelINS0_13select_configILj256ELj13ELNS0_17block_load_methodE3ELS4_3ELS4_3ELNS0_20block_scan_algorithmE0ELj4294967295EEENS1_25partition_config_selectorILNS1_17partition_subalgoE3EjNS0_10empty_typeEbEEZZNS1_14partition_implILS8_3ELb0ES6_jNS0_17counting_iteratorIjlEEPS9_SE_NS0_5tupleIJPjSE_EEENSF_IJSE_SE_EEES9_SG_JZNS1_25segmented_radix_sort_implINS0_14default_configELb0EPKlPlSM_SN_N2at6native12_GLOBAL__N_18offset_tEEE10hipError_tPvRmT1_PNSt15iterator_traitsISV_E10value_typeET2_T3_PNSW_IS11_E10value_typeET4_jRbjT5_S17_jjP12ihipStream_tbEUljE_EEESS_ST_SU_S11_S15_S17_T6_T7_T9_mT8_S19_bDpT10_ENKUlT_T0_E_clISt17integral_constantIbLb0EES1L_IbLb1EEEEDaS1H_S1I_EUlS1H_E_NS1_11comp_targetILNS1_3genE9ELNS1_11target_archE1100ELNS1_3gpuE3ELNS1_3repE0EEENS1_30default_config_static_selectorELNS0_4arch9wavefront6targetE0EEEvSV_: ; @_ZN7rocprim17ROCPRIM_400000_NS6detail17trampoline_kernelINS0_13select_configILj256ELj13ELNS0_17block_load_methodE3ELS4_3ELS4_3ELNS0_20block_scan_algorithmE0ELj4294967295EEENS1_25partition_config_selectorILNS1_17partition_subalgoE3EjNS0_10empty_typeEbEEZZNS1_14partition_implILS8_3ELb0ES6_jNS0_17counting_iteratorIjlEEPS9_SE_NS0_5tupleIJPjSE_EEENSF_IJSE_SE_EEES9_SG_JZNS1_25segmented_radix_sort_implINS0_14default_configELb0EPKlPlSM_SN_N2at6native12_GLOBAL__N_18offset_tEEE10hipError_tPvRmT1_PNSt15iterator_traitsISV_E10value_typeET2_T3_PNSW_IS11_E10value_typeET4_jRbjT5_S17_jjP12ihipStream_tbEUljE_EEESS_ST_SU_S11_S15_S17_T6_T7_T9_mT8_S19_bDpT10_ENKUlT_T0_E_clISt17integral_constantIbLb0EES1L_IbLb1EEEEDaS1H_S1I_EUlS1H_E_NS1_11comp_targetILNS1_3genE9ELNS1_11target_archE1100ELNS1_3gpuE3ELNS1_3repE0EEENS1_30default_config_static_selectorELNS0_4arch9wavefront6targetE0EEEvSV_
; %bb.0:
	s_clause 0x6
	s_load_b64 s[16:17], s[0:1], 0x10
	s_load_b64 s[12:13], s[0:1], 0x28
	;; [unrolled: 1-line block ×3, first 2 shown]
	s_load_b128 s[8:11], s[0:1], 0x48
	s_load_b32 s3, s[0:1], 0x90
	s_load_b64 s[18:19], s[0:1], 0x68
	s_load_b128 s[4:7], s[0:1], 0x80
	v_cmp_eq_u32_e64 s2, 0, v0
	s_delay_alu instid0(VALU_DEP_1)
	s_and_saveexec_b32 s20, s2
	s_cbranch_execz .LBB805_4
; %bb.1:
	s_mov_b32 s22, exec_lo
	s_mov_b32 s21, exec_lo
	v_mbcnt_lo_u32_b32 v1, s22, 0
                                        ; implicit-def: $vgpr2
	s_delay_alu instid0(VALU_DEP_1)
	v_cmpx_eq_u32_e32 0, v1
	s_cbranch_execz .LBB805_3
; %bb.2:
	s_load_b64 s[24:25], s[0:1], 0x78
	s_bcnt1_i32_b32 s22, s22
	s_delay_alu instid0(SALU_CYCLE_1)
	v_dual_mov_b32 v2, 0 :: v_dual_mov_b32 v3, s22
	s_waitcnt lgkmcnt(0)
	global_atomic_add_u32 v2, v2, v3, s[24:25] glc
.LBB805_3:
	s_or_b32 exec_lo, exec_lo, s21
	s_waitcnt vmcnt(0)
	v_readfirstlane_b32 s21, v2
	s_delay_alu instid0(VALU_DEP_1)
	v_dual_mov_b32 v2, 0 :: v_dual_add_nc_u32 v1, s21, v1
	ds_store_b32 v2, v1
.LBB805_4:
	s_or_b32 exec_lo, exec_lo, s20
	v_mov_b32_e32 v1, 0
	s_clause 0x1
	s_load_b32 s20, s[0:1], 0x8
	s_load_b32 s0, s[0:1], 0x70
	s_waitcnt lgkmcnt(0)
	s_barrier
	buffer_gl0_inv
	ds_load_b32 v2, v1
	s_waitcnt lgkmcnt(0)
	s_barrier
	buffer_gl0_inv
	global_load_b64 v[18:19], v1, s[10:11]
	v_lshlrev_b32_e32 v33, 2, v0
	s_add_i32 s21, s20, s16
	s_mul_i32 s1, s0, 0xd00
	s_add_i32 s0, s0, -1
	s_add_u32 s10, s16, s1
	s_addc_u32 s11, s17, 0
	v_mul_lo_u32 v32, 0xd00, v2
	v_readfirstlane_b32 s20, v2
	v_cmp_lt_u64_e64 s11, s[10:11], s[14:15]
	v_cmp_ne_u32_e32 vcc_lo, s0, v2
	s_delay_alu instid0(VALU_DEP_3) | instskip(SKIP_1) | instid1(VALU_DEP_4)
	s_cmp_eq_u32 s20, s0
	s_cselect_b32 s10, -1, 0
	v_add3_u32 v1, v32, s21, v0
	s_delay_alu instid0(VALU_DEP_3) | instskip(SKIP_2) | instid1(VALU_DEP_1)
	s_or_b32 s0, s11, vcc_lo
	s_mov_b32 s11, -1
	s_and_b32 vcc_lo, exec_lo, s0
	v_add_nc_u32_e32 v2, 0x100, v1
	v_add_nc_u32_e32 v3, 0x200, v1
	;; [unrolled: 1-line block ×12, first 2 shown]
	s_cbranch_vccz .LBB805_6
; %bb.5:
	ds_store_2addr_stride64_b32 v33, v1, v2 offset1:4
	ds_store_2addr_stride64_b32 v33, v3, v4 offset0:8 offset1:12
	ds_store_2addr_stride64_b32 v33, v5, v6 offset0:16 offset1:20
	;; [unrolled: 1-line block ×5, first 2 shown]
	ds_store_b32 v33, v13 offset:12288
	s_waitcnt vmcnt(0) lgkmcnt(0)
	s_mov_b32 s11, 0
	s_barrier
.LBB805_6:
	s_and_not1_b32 vcc_lo, exec_lo, s11
	s_add_i32 s1, s1, s16
	s_cbranch_vccnz .LBB805_8
; %bb.7:
	ds_store_2addr_stride64_b32 v33, v1, v2 offset1:4
	ds_store_2addr_stride64_b32 v33, v3, v4 offset0:8 offset1:12
	ds_store_2addr_stride64_b32 v33, v5, v6 offset0:16 offset1:20
	;; [unrolled: 1-line block ×5, first 2 shown]
	ds_store_b32 v33, v13 offset:12288
	s_waitcnt vmcnt(0) lgkmcnt(0)
	s_barrier
.LBB805_8:
	v_mul_u32_u24_e32 v36, 13, v0
	s_waitcnt vmcnt(0)
	buffer_gl0_inv
	v_cndmask_b32_e64 v34, 0, 1, s0
	s_sub_i32 s11, s14, s1
	s_and_not1_b32 vcc_lo, exec_lo, s0
	v_lshlrev_b32_e32 v1, 2, v36
	ds_load_2addr_b32 v[30:31], v1 offset1:1
	ds_load_2addr_b32 v[28:29], v1 offset0:2 offset1:3
	ds_load_2addr_b32 v[26:27], v1 offset0:4 offset1:5
	;; [unrolled: 1-line block ×5, first 2 shown]
	ds_load_b32 v35, v1 offset:48
	s_waitcnt lgkmcnt(0)
	s_barrier
	buffer_gl0_inv
	s_cbranch_vccnz .LBB805_10
; %bb.9:
	v_add_nc_u32_e32 v1, s5, v30
	v_add_nc_u32_e32 v2, s7, v30
	;; [unrolled: 1-line block ×5, first 2 shown]
	v_mul_lo_u32 v1, v1, s4
	v_mul_lo_u32 v2, v2, s6
	;; [unrolled: 1-line block ×4, first 2 shown]
	v_add_nc_u32_e32 v6, s7, v28
	v_add_nc_u32_e32 v7, s5, v29
	;; [unrolled: 1-line block ×3, first 2 shown]
	v_mul_lo_u32 v5, v5, s4
	v_add_nc_u32_e32 v9, s5, v24
	v_sub_nc_u32_e32 v1, v1, v2
	v_mul_lo_u32 v2, v6, s6
	v_sub_nc_u32_e32 v3, v3, v4
	v_mul_lo_u32 v4, v7, s4
	v_mul_lo_u32 v6, v8, s6
	v_add_nc_u32_e32 v7, s5, v26
	v_cmp_lt_u32_e32 vcc_lo, s3, v1
	v_add_nc_u32_e32 v8, s5, v27
	v_add_nc_u32_e32 v10, s7, v24
	v_sub_nc_u32_e32 v2, v5, v2
	v_add_nc_u32_e32 v5, s7, v26
	v_cndmask_b32_e64 v1, 0, 1, vcc_lo
	v_sub_nc_u32_e32 v4, v4, v6
	v_mul_lo_u32 v6, v7, s4
	v_add_nc_u32_e32 v7, s7, v27
	v_cmp_lt_u32_e32 vcc_lo, s3, v3
	v_mul_lo_u32 v5, v5, s6
	v_mul_lo_u32 v8, v8, s4
	;; [unrolled: 1-line block ×4, first 2 shown]
	v_cndmask_b32_e64 v3, 0, 1, vcc_lo
	v_cmp_lt_u32_e32 vcc_lo, s3, v2
	v_mul_lo_u32 v10, v10, s6
	v_add_nc_u32_e32 v11, s5, v22
	v_sub_nc_u32_e32 v5, v6, v5
	v_add_nc_u32_e32 v12, s7, v22
	v_cndmask_b32_e64 v2, 0, 1, vcc_lo
	v_sub_nc_u32_e32 v6, v8, v7
	v_add_nc_u32_e32 v7, s5, v25
	v_add_nc_u32_e32 v8, s7, v25
	v_cmp_lt_u32_e32 vcc_lo, s3, v4
	v_sub_nc_u32_e32 v9, v9, v10
	v_mul_lo_u32 v10, v11, s4
	v_mul_lo_u32 v7, v7, s4
	;; [unrolled: 1-line block ×4, first 2 shown]
	v_cndmask_b32_e64 v4, 0, 1, vcc_lo
	v_cmp_lt_u32_e32 vcc_lo, s3, v5
	v_add_nc_u32_e32 v12, s5, v23
	v_add_nc_u32_e32 v13, s7, v20
	;; [unrolled: 1-line block ×4, first 2 shown]
	v_cndmask_b32_e64 v5, 0, 1, vcc_lo
	v_cmp_lt_u32_e32 vcc_lo, s3, v6
	v_sub_nc_u32_e32 v7, v7, v8
	v_sub_nc_u32_e32 v8, v10, v11
	v_add_nc_u32_e32 v11, s7, v23
	v_mul_lo_u32 v10, v12, s4
	v_cndmask_b32_e64 v6, 0, 1, vcc_lo
	v_cmp_lt_u32_e32 vcc_lo, s3, v9
	v_add_nc_u32_e32 v12, s5, v20
	v_mul_lo_u32 v11, v11, s6
	v_mul_lo_u32 v13, v13, s6
	;; [unrolled: 1-line block ×3, first 2 shown]
	v_cndmask_b32_e64 v9, 0, 1, vcc_lo
	v_cmp_lt_u32_e32 vcc_lo, s3, v7
	v_mul_lo_u32 v12, v12, s4
	v_mul_lo_u32 v15, v15, s6
	v_lshlrev_b16 v3, 8, v3
	v_sub_nc_u32_e32 v10, v10, v11
	v_cndmask_b32_e64 v7, 0, 1, vcc_lo
	v_cmp_lt_u32_e32 vcc_lo, s3, v8
	v_add_nc_u32_e32 v11, s5, v35
	v_or_b32_e32 v1, v1, v3
	v_sub_nc_u32_e32 v12, v12, v13
	v_sub_nc_u32_e32 v13, v14, v15
	v_cndmask_b32_e64 v8, 0, 1, vcc_lo
	v_cmp_lt_u32_e32 vcc_lo, s3, v10
	v_add_nc_u32_e32 v16, s7, v35
	v_mul_lo_u32 v11, v11, s4
	v_lshlrev_b16 v4, 8, v4
	v_lshlrev_b16 v6, 8, v6
	v_cndmask_b32_e64 v10, 0, 1, vcc_lo
	v_cmp_lt_u32_e32 vcc_lo, s3, v12
	v_mul_lo_u32 v14, v16, s6
	v_lshlrev_b16 v7, 8, v7
	v_or_b32_e32 v2, v2, v4
	v_lshlrev_b16 v10, 8, v10
	v_cndmask_b32_e64 v3, 0, 1, vcc_lo
	v_cmp_lt_u32_e32 vcc_lo, s3, v13
	v_or_b32_e32 v4, v5, v6
	v_or_b32_e32 v5, v9, v7
	v_sub_nc_u32_e32 v11, v11, v14
	v_or_b32_e32 v6, v8, v10
	v_cndmask_b32_e64 v12, 0, 1, vcc_lo
	v_and_b32_e32 v1, 0xffff, v1
	v_lshlrev_b32_e32 v2, 16, v2
	v_and_b32_e32 v4, 0xffff, v4
	v_lshlrev_b32_e32 v5, 16, v5
	v_lshlrev_b16 v12, 8, v12
	v_and_b32_e32 v6, 0xffff, v6
	v_cmp_lt_u32_e32 vcc_lo, s3, v11
	v_or_b32_e32 v42, v1, v2
	v_or_b32_e32 v40, v4, v5
	;; [unrolled: 1-line block ×3, first 2 shown]
	v_cndmask_b32_e64 v37, 0, 1, vcc_lo
	s_delay_alu instid0(VALU_DEP_2) | instskip(NEXT) | instid1(VALU_DEP_1)
	v_lshlrev_b32_e32 v3, 16, v3
	v_or_b32_e32 v38, v6, v3
	s_addk_i32 s11, 0xd00
	s_cbranch_execz .LBB805_11
	s_branch .LBB805_38
.LBB805_10:
                                        ; implicit-def: $vgpr37
                                        ; implicit-def: $vgpr38
                                        ; implicit-def: $vgpr40
                                        ; implicit-def: $vgpr42
	s_addk_i32 s11, 0xd00
.LBB805_11:
	v_dual_mov_b32 v2, 0 :: v_dual_mov_b32 v1, 0
	s_mov_b32 s0, exec_lo
	v_cmpx_gt_u32_e64 s11, v36
; %bb.12:
	v_add_nc_u32_e32 v1, s5, v30
	v_add_nc_u32_e32 v3, s7, v30
	s_delay_alu instid0(VALU_DEP_2) | instskip(NEXT) | instid1(VALU_DEP_2)
	v_mul_lo_u32 v1, v1, s4
	v_mul_lo_u32 v3, v3, s6
	s_delay_alu instid0(VALU_DEP_1) | instskip(NEXT) | instid1(VALU_DEP_1)
	v_sub_nc_u32_e32 v1, v1, v3
	v_cmp_lt_u32_e32 vcc_lo, s3, v1
	v_cndmask_b32_e64 v1, 0, 1, vcc_lo
; %bb.13:
	s_or_b32 exec_lo, exec_lo, s0
	v_add_nc_u32_e32 v3, 1, v36
	s_mov_b32 s0, exec_lo
	s_delay_alu instid0(VALU_DEP_1)
	v_cmpx_gt_u32_e64 s11, v3
; %bb.14:
	v_add_nc_u32_e32 v2, s5, v31
	v_add_nc_u32_e32 v3, s7, v31
	s_delay_alu instid0(VALU_DEP_2) | instskip(NEXT) | instid1(VALU_DEP_2)
	v_mul_lo_u32 v2, v2, s4
	v_mul_lo_u32 v3, v3, s6
	s_delay_alu instid0(VALU_DEP_1) | instskip(NEXT) | instid1(VALU_DEP_1)
	v_sub_nc_u32_e32 v2, v2, v3
	v_cmp_lt_u32_e32 vcc_lo, s3, v2
	v_cndmask_b32_e64 v2, 0, 1, vcc_lo
; %bb.15:
	s_or_b32 exec_lo, exec_lo, s0
	v_dual_mov_b32 v4, 0 :: v_dual_add_nc_u32 v3, 2, v36
	s_delay_alu instid0(VALU_DEP_1)
	v_cmp_gt_u32_e32 vcc_lo, s11, v3
	v_mov_b32_e32 v3, 0
	s_and_saveexec_b32 s0, vcc_lo
; %bb.16:
	v_add_nc_u32_e32 v3, s5, v28
	v_add_nc_u32_e32 v5, s7, v28
	s_delay_alu instid0(VALU_DEP_2) | instskip(NEXT) | instid1(VALU_DEP_2)
	v_mul_lo_u32 v3, v3, s4
	v_mul_lo_u32 v5, v5, s6
	s_delay_alu instid0(VALU_DEP_1) | instskip(NEXT) | instid1(VALU_DEP_1)
	v_sub_nc_u32_e32 v3, v3, v5
	v_cmp_lt_u32_e32 vcc_lo, s3, v3
	v_cndmask_b32_e64 v3, 0, 1, vcc_lo
; %bb.17:
	s_or_b32 exec_lo, exec_lo, s0
	v_add_nc_u32_e32 v5, 3, v36
	s_mov_b32 s0, exec_lo
	s_delay_alu instid0(VALU_DEP_1)
	v_cmpx_gt_u32_e64 s11, v5
; %bb.18:
	v_add_nc_u32_e32 v4, s5, v29
	v_add_nc_u32_e32 v5, s7, v29
	s_delay_alu instid0(VALU_DEP_2) | instskip(NEXT) | instid1(VALU_DEP_2)
	v_mul_lo_u32 v4, v4, s4
	v_mul_lo_u32 v5, v5, s6
	s_delay_alu instid0(VALU_DEP_1) | instskip(NEXT) | instid1(VALU_DEP_1)
	v_sub_nc_u32_e32 v4, v4, v5
	v_cmp_lt_u32_e32 vcc_lo, s3, v4
	v_cndmask_b32_e64 v4, 0, 1, vcc_lo
; %bb.19:
	s_or_b32 exec_lo, exec_lo, s0
	v_dual_mov_b32 v6, 0 :: v_dual_add_nc_u32 v5, 4, v36
	s_delay_alu instid0(VALU_DEP_1)
	v_cmp_gt_u32_e32 vcc_lo, s11, v5
	v_mov_b32_e32 v5, 0
	s_and_saveexec_b32 s0, vcc_lo
	;; [unrolled: 33-line block ×5, first 2 shown]
; %bb.32:
	v_add_nc_u32_e32 v11, s5, v20
	v_add_nc_u32_e32 v13, s7, v20
	s_delay_alu instid0(VALU_DEP_2) | instskip(NEXT) | instid1(VALU_DEP_2)
	v_mul_lo_u32 v11, v11, s4
	v_mul_lo_u32 v13, v13, s6
	s_delay_alu instid0(VALU_DEP_1) | instskip(NEXT) | instid1(VALU_DEP_1)
	v_sub_nc_u32_e32 v11, v11, v13
	v_cmp_lt_u32_e32 vcc_lo, s3, v11
	v_cndmask_b32_e64 v11, 0, 1, vcc_lo
; %bb.33:
	s_or_b32 exec_lo, exec_lo, s0
	v_add_nc_u32_e32 v13, 11, v36
	s_mov_b32 s0, exec_lo
	s_delay_alu instid0(VALU_DEP_1)
	v_cmpx_gt_u32_e64 s11, v13
; %bb.34:
	v_add_nc_u32_e32 v12, s5, v21
	v_add_nc_u32_e32 v13, s7, v21
	s_delay_alu instid0(VALU_DEP_2) | instskip(NEXT) | instid1(VALU_DEP_2)
	v_mul_lo_u32 v12, v12, s4
	v_mul_lo_u32 v13, v13, s6
	s_delay_alu instid0(VALU_DEP_1) | instskip(NEXT) | instid1(VALU_DEP_1)
	v_sub_nc_u32_e32 v12, v12, v13
	v_cmp_lt_u32_e32 vcc_lo, s3, v12
	v_cndmask_b32_e64 v12, 0, 1, vcc_lo
; %bb.35:
	s_or_b32 exec_lo, exec_lo, s0
	v_add_nc_u32_e32 v13, 12, v36
	v_mov_b32_e32 v37, 0
	s_mov_b32 s0, exec_lo
	s_delay_alu instid0(VALU_DEP_2)
	v_cmpx_gt_u32_e64 s11, v13
; %bb.36:
	v_add_nc_u32_e32 v13, s5, v35
	v_add_nc_u32_e32 v14, s7, v35
	s_delay_alu instid0(VALU_DEP_2) | instskip(NEXT) | instid1(VALU_DEP_2)
	v_mul_lo_u32 v13, v13, s4
	v_mul_lo_u32 v14, v14, s6
	s_delay_alu instid0(VALU_DEP_1) | instskip(NEXT) | instid1(VALU_DEP_1)
	v_sub_nc_u32_e32 v13, v13, v14
	v_cmp_lt_u32_e32 vcc_lo, s3, v13
	v_cndmask_b32_e64 v37, 0, 1, vcc_lo
; %bb.37:
	s_or_b32 exec_lo, exec_lo, s0
	v_lshlrev_b16 v2, 8, v2
	v_lshlrev_b16 v4, 8, v4
	v_lshlrev_b16 v6, 8, v6
	v_lshlrev_b16 v8, 8, v8
	v_lshlrev_b16 v10, 8, v10
	v_or_b32_e32 v1, v1, v2
	v_lshlrev_b16 v2, 8, v12
	v_or_b32_e32 v3, v3, v4
	v_or_b32_e32 v4, v5, v6
	;; [unrolled: 1-line block ×5, first 2 shown]
	v_and_b32_e32 v1, 0xffff, v1
	v_lshlrev_b32_e32 v3, 16, v3
	v_and_b32_e32 v4, 0xffff, v4
	v_lshlrev_b32_e32 v5, 16, v5
	;; [unrolled: 2-line block ×3, first 2 shown]
	v_or_b32_e32 v42, v1, v3
	s_delay_alu instid0(VALU_DEP_4) | instskip(NEXT) | instid1(VALU_DEP_3)
	v_or_b32_e32 v40, v4, v5
	v_or_b32_e32 v38, v6, v2
.LBB805_38:
	s_delay_alu instid0(VALU_DEP_3)
	v_and_b32_e32 v44, 0xff, v42
	v_bfe_u32 v45, v42, 8, 8
	v_bfe_u32 v46, v42, 16, 8
	v_lshrrev_b32_e32 v43, 24, v42
	v_and_b32_e32 v47, 0xff, v40
	v_bfe_u32 v48, v40, 8, 8
	v_bfe_u32 v49, v40, 16, 8
	v_add3_u32 v1, v45, v44, v46
	v_lshrrev_b32_e32 v41, 24, v40
	v_and_b32_e32 v50, 0xff, v38
	v_bfe_u32 v51, v38, 8, 8
	v_mbcnt_lo_u32_b32 v53, -1, 0
	v_add3_u32 v1, v1, v43, v47
	v_bfe_u32 v52, v38, 16, 8
	v_lshrrev_b32_e32 v39, 24, v38
	v_and_b32_e32 v2, 0xff, v37
	v_and_b32_e32 v3, 15, v53
	v_add3_u32 v1, v1, v48, v49
	v_or_b32_e32 v4, 31, v0
	v_and_b32_e32 v5, 16, v53
	v_lshrrev_b32_e32 v54, 5, v0
	v_cmp_eq_u32_e64 s6, 0, v3
	v_add3_u32 v1, v1, v41, v50
	v_cmp_lt_u32_e64 s5, 1, v3
	v_cmp_lt_u32_e64 s4, 3, v3
	;; [unrolled: 1-line block ×3, first 2 shown]
	v_cmp_eq_u32_e64 s1, 0, v5
	v_add3_u32 v1, v1, v51, v52
	v_cmp_eq_u32_e64 s0, v4, v0
	s_cmp_lg_u32 s20, 0
	s_mov_b32 s7, -1
	s_delay_alu instid0(VALU_DEP_2)
	v_add3_u32 v55, v1, v39, v2
	s_cbranch_scc0 .LBB805_64
; %bb.39:
	s_delay_alu instid0(VALU_DEP_1) | instskip(NEXT) | instid1(VALU_DEP_1)
	v_mov_b32_dpp v1, v55 row_shr:1 row_mask:0xf bank_mask:0xf
	v_cndmask_b32_e64 v1, v1, 0, s6
	s_delay_alu instid0(VALU_DEP_1) | instskip(NEXT) | instid1(VALU_DEP_1)
	v_add_nc_u32_e32 v1, v1, v55
	v_mov_b32_dpp v2, v1 row_shr:2 row_mask:0xf bank_mask:0xf
	s_delay_alu instid0(VALU_DEP_1) | instskip(NEXT) | instid1(VALU_DEP_1)
	v_cndmask_b32_e64 v2, 0, v2, s5
	v_add_nc_u32_e32 v1, v1, v2
	s_delay_alu instid0(VALU_DEP_1) | instskip(NEXT) | instid1(VALU_DEP_1)
	v_mov_b32_dpp v2, v1 row_shr:4 row_mask:0xf bank_mask:0xf
	v_cndmask_b32_e64 v2, 0, v2, s4
	s_delay_alu instid0(VALU_DEP_1) | instskip(NEXT) | instid1(VALU_DEP_1)
	v_add_nc_u32_e32 v1, v1, v2
	v_mov_b32_dpp v2, v1 row_shr:8 row_mask:0xf bank_mask:0xf
	s_delay_alu instid0(VALU_DEP_1) | instskip(NEXT) | instid1(VALU_DEP_1)
	v_cndmask_b32_e64 v2, 0, v2, s3
	v_add_nc_u32_e32 v1, v1, v2
	ds_swizzle_b32 v2, v1 offset:swizzle(BROADCAST,32,15)
	s_waitcnt lgkmcnt(0)
	v_cndmask_b32_e64 v2, v2, 0, s1
	s_delay_alu instid0(VALU_DEP_1)
	v_add_nc_u32_e32 v1, v1, v2
	s_and_saveexec_b32 s7, s0
	s_cbranch_execz .LBB805_41
; %bb.40:
	v_lshlrev_b32_e32 v2, 2, v54
	ds_store_b32 v2, v1
.LBB805_41:
	s_or_b32 exec_lo, exec_lo, s7
	s_delay_alu instid0(SALU_CYCLE_1)
	s_mov_b32 s7, exec_lo
	s_waitcnt lgkmcnt(0)
	s_barrier
	buffer_gl0_inv
	v_cmpx_gt_u32_e32 8, v0
	s_cbranch_execz .LBB805_43
; %bb.42:
	ds_load_b32 v2, v33
	s_waitcnt lgkmcnt(0)
	v_mov_b32_dpp v4, v2 row_shr:1 row_mask:0xf bank_mask:0xf
	v_and_b32_e32 v3, 7, v53
	s_delay_alu instid0(VALU_DEP_1) | instskip(NEXT) | instid1(VALU_DEP_3)
	v_cmp_ne_u32_e32 vcc_lo, 0, v3
	v_cndmask_b32_e32 v4, 0, v4, vcc_lo
	v_cmp_lt_u32_e32 vcc_lo, 1, v3
	s_delay_alu instid0(VALU_DEP_2) | instskip(NEXT) | instid1(VALU_DEP_1)
	v_add_nc_u32_e32 v2, v4, v2
	v_mov_b32_dpp v4, v2 row_shr:2 row_mask:0xf bank_mask:0xf
	s_delay_alu instid0(VALU_DEP_1) | instskip(SKIP_1) | instid1(VALU_DEP_2)
	v_cndmask_b32_e32 v4, 0, v4, vcc_lo
	v_cmp_lt_u32_e32 vcc_lo, 3, v3
	v_add_nc_u32_e32 v2, v2, v4
	s_delay_alu instid0(VALU_DEP_1) | instskip(NEXT) | instid1(VALU_DEP_1)
	v_mov_b32_dpp v4, v2 row_shr:4 row_mask:0xf bank_mask:0xf
	v_cndmask_b32_e32 v3, 0, v4, vcc_lo
	s_delay_alu instid0(VALU_DEP_1)
	v_add_nc_u32_e32 v2, v2, v3
	ds_store_b32 v33, v2
.LBB805_43:
	s_or_b32 exec_lo, exec_lo, s7
	v_cmp_gt_u32_e32 vcc_lo, 32, v0
	s_mov_b32 s21, exec_lo
	s_waitcnt lgkmcnt(0)
	s_barrier
	buffer_gl0_inv
                                        ; implicit-def: $vgpr8
	v_cmpx_lt_u32_e32 31, v0
	s_cbranch_execz .LBB805_45
; %bb.44:
	v_lshl_add_u32 v2, v54, 2, -4
	ds_load_b32 v8, v2
	s_waitcnt lgkmcnt(0)
	v_add_nc_u32_e32 v1, v8, v1
.LBB805_45:
	s_or_b32 exec_lo, exec_lo, s21
	v_add_nc_u32_e32 v2, -1, v53
	s_delay_alu instid0(VALU_DEP_1) | instskip(NEXT) | instid1(VALU_DEP_1)
	v_cmp_gt_i32_e64 s7, 0, v2
	v_cndmask_b32_e64 v2, v2, v53, s7
	v_cmp_eq_u32_e64 s7, 0, v53
	s_delay_alu instid0(VALU_DEP_2)
	v_lshlrev_b32_e32 v2, 2, v2
	ds_bpermute_b32 v9, v2, v1
	s_and_saveexec_b32 s21, vcc_lo
	s_cbranch_execz .LBB805_63
; %bb.46:
	v_mov_b32_e32 v4, 0
	ds_load_b32 v1, v4 offset:28
	s_and_saveexec_b32 s22, s7
	s_cbranch_execz .LBB805_48
; %bb.47:
	s_add_i32 s24, s20, 32
	s_mov_b32 s25, 0
	v_mov_b32_e32 v2, 1
	s_lshl_b64 s[24:25], s[24:25], 3
	s_delay_alu instid0(SALU_CYCLE_1)
	s_add_u32 s24, s18, s24
	s_addc_u32 s25, s19, s25
	s_waitcnt lgkmcnt(0)
	global_store_b64 v4, v[1:2], s[24:25]
.LBB805_48:
	s_or_b32 exec_lo, exec_lo, s22
	v_xad_u32 v2, v53, -1, s20
	s_mov_b32 s23, 0
	s_mov_b32 s22, exec_lo
	s_delay_alu instid0(VALU_DEP_1) | instskip(NEXT) | instid1(VALU_DEP_1)
	v_add_nc_u32_e32 v3, 32, v2
	v_lshlrev_b64 v[3:4], 3, v[3:4]
	s_delay_alu instid0(VALU_DEP_1) | instskip(NEXT) | instid1(VALU_DEP_2)
	v_add_co_u32 v6, vcc_lo, s18, v3
	v_add_co_ci_u32_e32 v7, vcc_lo, s19, v4, vcc_lo
	global_load_b64 v[4:5], v[6:7], off glc
	s_waitcnt vmcnt(0)
	v_and_b32_e32 v3, 0xff, v5
	s_delay_alu instid0(VALU_DEP_1)
	v_cmpx_eq_u16_e32 0, v3
	s_cbranch_execz .LBB805_51
.LBB805_49:                             ; =>This Inner Loop Header: Depth=1
	global_load_b64 v[4:5], v[6:7], off glc
	s_waitcnt vmcnt(0)
	v_and_b32_e32 v3, 0xff, v5
	s_delay_alu instid0(VALU_DEP_1) | instskip(SKIP_1) | instid1(SALU_CYCLE_1)
	v_cmp_ne_u16_e32 vcc_lo, 0, v3
	s_or_b32 s23, vcc_lo, s23
	s_and_not1_b32 exec_lo, exec_lo, s23
	s_cbranch_execnz .LBB805_49
; %bb.50:
	s_or_b32 exec_lo, exec_lo, s23
.LBB805_51:
	s_delay_alu instid0(SALU_CYCLE_1)
	s_or_b32 exec_lo, exec_lo, s22
	v_cmp_ne_u32_e32 vcc_lo, 31, v53
	v_lshlrev_b32_e64 v11, v53, -1
	v_add_nc_u32_e32 v13, 2, v53
	v_add_nc_u32_e32 v15, 4, v53
	;; [unrolled: 1-line block ×3, first 2 shown]
	v_add_co_ci_u32_e32 v3, vcc_lo, 0, v53, vcc_lo
	v_add_nc_u32_e32 v58, 16, v53
	s_delay_alu instid0(VALU_DEP_2) | instskip(SKIP_2) | instid1(VALU_DEP_1)
	v_lshlrev_b32_e32 v10, 2, v3
	ds_bpermute_b32 v6, v10, v4
	v_and_b32_e32 v3, 0xff, v5
	v_cmp_eq_u16_e32 vcc_lo, 2, v3
	v_and_or_b32 v3, vcc_lo, v11, 0x80000000
	v_cmp_gt_u32_e32 vcc_lo, 30, v53
	s_delay_alu instid0(VALU_DEP_2) | instskip(SKIP_1) | instid1(VALU_DEP_2)
	v_ctz_i32_b32_e32 v3, v3
	v_cndmask_b32_e64 v7, 0, 1, vcc_lo
	v_cmp_lt_u32_e32 vcc_lo, v53, v3
	s_waitcnt lgkmcnt(0)
	s_delay_alu instid0(VALU_DEP_2) | instskip(NEXT) | instid1(VALU_DEP_1)
	v_dual_cndmask_b32 v6, 0, v6 :: v_dual_lshlrev_b32 v7, 1, v7
	v_add_lshl_u32 v12, v7, v53, 2
	v_cmp_gt_u32_e32 vcc_lo, 28, v53
	s_delay_alu instid0(VALU_DEP_3) | instskip(SKIP_4) | instid1(VALU_DEP_1)
	v_add_nc_u32_e32 v4, v6, v4
	v_cndmask_b32_e64 v7, 0, 1, vcc_lo
	v_cmp_le_u32_e32 vcc_lo, v13, v3
	ds_bpermute_b32 v6, v12, v4
	v_lshlrev_b32_e32 v7, 2, v7
	v_add_lshl_u32 v14, v7, v53, 2
	s_waitcnt lgkmcnt(0)
	v_cndmask_b32_e32 v6, 0, v6, vcc_lo
	v_cmp_gt_u32_e32 vcc_lo, 24, v53
	s_delay_alu instid0(VALU_DEP_2) | instskip(SKIP_4) | instid1(VALU_DEP_1)
	v_add_nc_u32_e32 v4, v4, v6
	v_cndmask_b32_e64 v7, 0, 1, vcc_lo
	v_cmp_le_u32_e32 vcc_lo, v15, v3
	ds_bpermute_b32 v6, v14, v4
	v_lshlrev_b32_e32 v7, 3, v7
	v_add_lshl_u32 v17, v7, v53, 2
	s_waitcnt lgkmcnt(0)
	v_cndmask_b32_e32 v6, 0, v6, vcc_lo
	v_cmp_gt_u32_e32 vcc_lo, 16, v53
	s_delay_alu instid0(VALU_DEP_2) | instskip(SKIP_4) | instid1(VALU_DEP_1)
	v_add_nc_u32_e32 v4, v4, v6
	v_cndmask_b32_e64 v7, 0, 1, vcc_lo
	v_cmp_le_u32_e32 vcc_lo, v56, v3
	ds_bpermute_b32 v6, v17, v4
	v_lshlrev_b32_e32 v7, 4, v7
	v_add_lshl_u32 v57, v7, v53, 2
	s_waitcnt lgkmcnt(0)
	v_cndmask_b32_e32 v6, 0, v6, vcc_lo
	v_cmp_le_u32_e32 vcc_lo, v58, v3
	s_delay_alu instid0(VALU_DEP_2) | instskip(SKIP_3) | instid1(VALU_DEP_1)
	v_add_nc_u32_e32 v4, v4, v6
	ds_bpermute_b32 v6, v57, v4
	s_waitcnt lgkmcnt(0)
	v_cndmask_b32_e32 v3, 0, v6, vcc_lo
	v_dual_mov_b32 v3, 0 :: v_dual_add_nc_u32 v4, v4, v3
	s_branch .LBB805_53
.LBB805_52:                             ;   in Loop: Header=BB805_53 Depth=1
	s_or_b32 exec_lo, exec_lo, s22
	ds_bpermute_b32 v7, v10, v4
	v_and_b32_e32 v6, 0xff, v5
	v_subrev_nc_u32_e32 v2, 32, v2
	s_delay_alu instid0(VALU_DEP_2) | instskip(SKIP_1) | instid1(VALU_DEP_1)
	v_cmp_eq_u16_e32 vcc_lo, 2, v6
	v_and_or_b32 v6, vcc_lo, v11, 0x80000000
	v_ctz_i32_b32_e32 v6, v6
	s_delay_alu instid0(VALU_DEP_1) | instskip(SKIP_3) | instid1(VALU_DEP_2)
	v_cmp_lt_u32_e32 vcc_lo, v53, v6
	s_waitcnt lgkmcnt(0)
	v_cndmask_b32_e32 v7, 0, v7, vcc_lo
	v_cmp_le_u32_e32 vcc_lo, v13, v6
	v_add_nc_u32_e32 v4, v7, v4
	ds_bpermute_b32 v7, v12, v4
	s_waitcnt lgkmcnt(0)
	v_cndmask_b32_e32 v7, 0, v7, vcc_lo
	v_cmp_le_u32_e32 vcc_lo, v15, v6
	s_delay_alu instid0(VALU_DEP_2) | instskip(SKIP_4) | instid1(VALU_DEP_2)
	v_add_nc_u32_e32 v4, v4, v7
	ds_bpermute_b32 v7, v14, v4
	s_waitcnt lgkmcnt(0)
	v_cndmask_b32_e32 v7, 0, v7, vcc_lo
	v_cmp_le_u32_e32 vcc_lo, v56, v6
	v_add_nc_u32_e32 v4, v4, v7
	ds_bpermute_b32 v7, v17, v4
	s_waitcnt lgkmcnt(0)
	v_cndmask_b32_e32 v7, 0, v7, vcc_lo
	v_cmp_le_u32_e32 vcc_lo, v58, v6
	s_delay_alu instid0(VALU_DEP_2) | instskip(SKIP_3) | instid1(VALU_DEP_1)
	v_add_nc_u32_e32 v4, v4, v7
	ds_bpermute_b32 v7, v57, v4
	s_waitcnt lgkmcnt(0)
	v_cndmask_b32_e32 v6, 0, v7, vcc_lo
	v_add3_u32 v4, v6, v16, v4
.LBB805_53:                             ; =>This Loop Header: Depth=1
                                        ;     Child Loop BB805_56 Depth 2
	s_delay_alu instid0(VALU_DEP_1) | instskip(NEXT) | instid1(VALU_DEP_1)
	v_dual_mov_b32 v16, v4 :: v_dual_and_b32 v5, 0xff, v5
	v_cmp_ne_u16_e32 vcc_lo, 2, v5
	v_cndmask_b32_e64 v5, 0, 1, vcc_lo
	;;#ASMSTART
	;;#ASMEND
	s_delay_alu instid0(VALU_DEP_1)
	v_cmp_ne_u32_e32 vcc_lo, 0, v5
	s_cmp_lg_u32 vcc_lo, exec_lo
	s_cbranch_scc1 .LBB805_58
; %bb.54:                               ;   in Loop: Header=BB805_53 Depth=1
	v_lshlrev_b64 v[4:5], 3, v[2:3]
	s_mov_b32 s22, exec_lo
	s_delay_alu instid0(VALU_DEP_1) | instskip(NEXT) | instid1(VALU_DEP_2)
	v_add_co_u32 v6, vcc_lo, s18, v4
	v_add_co_ci_u32_e32 v7, vcc_lo, s19, v5, vcc_lo
	global_load_b64 v[4:5], v[6:7], off glc
	s_waitcnt vmcnt(0)
	v_and_b32_e32 v59, 0xff, v5
	s_delay_alu instid0(VALU_DEP_1)
	v_cmpx_eq_u16_e32 0, v59
	s_cbranch_execz .LBB805_52
; %bb.55:                               ;   in Loop: Header=BB805_53 Depth=1
	s_mov_b32 s23, 0
.LBB805_56:                             ;   Parent Loop BB805_53 Depth=1
                                        ; =>  This Inner Loop Header: Depth=2
	global_load_b64 v[4:5], v[6:7], off glc
	s_waitcnt vmcnt(0)
	v_and_b32_e32 v59, 0xff, v5
	s_delay_alu instid0(VALU_DEP_1) | instskip(SKIP_1) | instid1(SALU_CYCLE_1)
	v_cmp_ne_u16_e32 vcc_lo, 0, v59
	s_or_b32 s23, vcc_lo, s23
	s_and_not1_b32 exec_lo, exec_lo, s23
	s_cbranch_execnz .LBB805_56
; %bb.57:                               ;   in Loop: Header=BB805_53 Depth=1
	s_or_b32 exec_lo, exec_lo, s23
	s_branch .LBB805_52
.LBB805_58:                             ;   in Loop: Header=BB805_53 Depth=1
                                        ; implicit-def: $vgpr4
                                        ; implicit-def: $vgpr5
	s_cbranch_execz .LBB805_53
; %bb.59:
	s_and_saveexec_b32 s22, s7
	s_cbranch_execz .LBB805_61
; %bb.60:
	s_add_i32 s24, s20, 32
	s_mov_b32 s25, 0
	v_dual_mov_b32 v3, 2 :: v_dual_add_nc_u32 v2, v16, v1
	s_lshl_b64 s[24:25], s[24:25], 3
	v_mov_b32_e32 v4, 0
	v_add_nc_u32_e64 v5, 0x3400, 0
	s_add_u32 s24, s18, s24
	s_addc_u32 s25, s19, s25
	global_store_b64 v4, v[2:3], s[24:25]
	ds_store_2addr_b32 v5, v1, v16 offset1:2
.LBB805_61:
	s_or_b32 exec_lo, exec_lo, s22
	s_delay_alu instid0(SALU_CYCLE_1)
	s_and_b32 exec_lo, exec_lo, s2
	s_cbranch_execz .LBB805_63
; %bb.62:
	v_mov_b32_e32 v1, 0
	ds_store_b32 v1, v16 offset:28
.LBB805_63:
	s_or_b32 exec_lo, exec_lo, s21
	v_mov_b32_e32 v1, 0
	s_waitcnt lgkmcnt(0)
	s_waitcnt_vscnt null, 0x0
	s_barrier
	buffer_gl0_inv
	v_cndmask_b32_e64 v2, v9, v8, s7
	ds_load_b32 v1, v1 offset:28
	v_add_nc_u32_e64 v11, 0x3400, 0
	s_waitcnt lgkmcnt(0)
	s_barrier
	v_cndmask_b32_e64 v2, v2, 0, s2
	buffer_gl0_inv
	ds_load_2addr_b32 v[16:17], v11 offset1:2
	v_add_nc_u32_e32 v1, v1, v2
	s_delay_alu instid0(VALU_DEP_1) | instskip(NEXT) | instid1(VALU_DEP_1)
	v_add_nc_u32_e32 v2, v1, v44
	v_add_nc_u32_e32 v3, v2, v45
	s_delay_alu instid0(VALU_DEP_1) | instskip(NEXT) | instid1(VALU_DEP_1)
	v_add_nc_u32_e32 v4, v3, v46
	;; [unrolled: 3-line block ×6, first 2 shown]
	v_add_nc_u32_e32 v13, v12, v39
	s_branch .LBB805_74
.LBB805_64:
                                        ; implicit-def: $vgpr17
                                        ; implicit-def: $vgpr1_vgpr2_vgpr3_vgpr4_vgpr5_vgpr6_vgpr7_vgpr8_vgpr9_vgpr10_vgpr11_vgpr12_vgpr13_vgpr14_vgpr15_vgpr16
	s_and_b32 vcc_lo, exec_lo, s7
	s_cbranch_vccz .LBB805_74
; %bb.65:
	s_delay_alu instid0(VALU_DEP_1) | instskip(NEXT) | instid1(VALU_DEP_1)
	v_mov_b32_dpp v1, v55 row_shr:1 row_mask:0xf bank_mask:0xf
	v_cndmask_b32_e64 v1, v1, 0, s6
	s_delay_alu instid0(VALU_DEP_1) | instskip(NEXT) | instid1(VALU_DEP_1)
	v_add_nc_u32_e32 v1, v1, v55
	v_mov_b32_dpp v2, v1 row_shr:2 row_mask:0xf bank_mask:0xf
	s_delay_alu instid0(VALU_DEP_1) | instskip(NEXT) | instid1(VALU_DEP_1)
	v_cndmask_b32_e64 v2, 0, v2, s5
	v_add_nc_u32_e32 v1, v1, v2
	s_delay_alu instid0(VALU_DEP_1) | instskip(NEXT) | instid1(VALU_DEP_1)
	v_mov_b32_dpp v2, v1 row_shr:4 row_mask:0xf bank_mask:0xf
	v_cndmask_b32_e64 v2, 0, v2, s4
	s_delay_alu instid0(VALU_DEP_1) | instskip(NEXT) | instid1(VALU_DEP_1)
	v_add_nc_u32_e32 v1, v1, v2
	v_mov_b32_dpp v2, v1 row_shr:8 row_mask:0xf bank_mask:0xf
	s_delay_alu instid0(VALU_DEP_1) | instskip(NEXT) | instid1(VALU_DEP_1)
	v_cndmask_b32_e64 v2, 0, v2, s3
	v_add_nc_u32_e32 v1, v1, v2
	ds_swizzle_b32 v2, v1 offset:swizzle(BROADCAST,32,15)
	s_waitcnt lgkmcnt(0)
	v_cndmask_b32_e64 v2, v2, 0, s1
	s_delay_alu instid0(VALU_DEP_1)
	v_add_nc_u32_e32 v1, v1, v2
	s_and_saveexec_b32 s1, s0
	s_cbranch_execz .LBB805_67
; %bb.66:
	v_lshlrev_b32_e32 v2, 2, v54
	ds_store_b32 v2, v1
.LBB805_67:
	s_or_b32 exec_lo, exec_lo, s1
	s_delay_alu instid0(SALU_CYCLE_1)
	s_mov_b32 s0, exec_lo
	s_waitcnt lgkmcnt(0)
	s_barrier
	buffer_gl0_inv
	v_cmpx_gt_u32_e32 8, v0
	s_cbranch_execz .LBB805_69
; %bb.68:
	ds_load_b32 v2, v33
	s_waitcnt lgkmcnt(0)
	v_mov_b32_dpp v4, v2 row_shr:1 row_mask:0xf bank_mask:0xf
	v_and_b32_e32 v3, 7, v53
	s_delay_alu instid0(VALU_DEP_1) | instskip(NEXT) | instid1(VALU_DEP_3)
	v_cmp_ne_u32_e32 vcc_lo, 0, v3
	v_cndmask_b32_e32 v4, 0, v4, vcc_lo
	v_cmp_lt_u32_e32 vcc_lo, 1, v3
	s_delay_alu instid0(VALU_DEP_2) | instskip(NEXT) | instid1(VALU_DEP_1)
	v_add_nc_u32_e32 v2, v4, v2
	v_mov_b32_dpp v4, v2 row_shr:2 row_mask:0xf bank_mask:0xf
	s_delay_alu instid0(VALU_DEP_1) | instskip(SKIP_1) | instid1(VALU_DEP_2)
	v_cndmask_b32_e32 v4, 0, v4, vcc_lo
	v_cmp_lt_u32_e32 vcc_lo, 3, v3
	v_add_nc_u32_e32 v2, v2, v4
	s_delay_alu instid0(VALU_DEP_1) | instskip(NEXT) | instid1(VALU_DEP_1)
	v_mov_b32_dpp v4, v2 row_shr:4 row_mask:0xf bank_mask:0xf
	v_cndmask_b32_e32 v3, 0, v4, vcc_lo
	s_delay_alu instid0(VALU_DEP_1)
	v_add_nc_u32_e32 v2, v2, v3
	ds_store_b32 v33, v2
.LBB805_69:
	s_or_b32 exec_lo, exec_lo, s0
	v_dual_mov_b32 v3, 0 :: v_dual_mov_b32 v2, 0
	s_mov_b32 s0, exec_lo
	s_waitcnt lgkmcnt(0)
	s_barrier
	buffer_gl0_inv
	v_cmpx_lt_u32_e32 31, v0
	s_cbranch_execz .LBB805_71
; %bb.70:
	v_lshl_add_u32 v2, v54, 2, -4
	ds_load_b32 v2, v2
.LBB805_71:
	s_or_b32 exec_lo, exec_lo, s0
	v_add_nc_u32_e32 v4, -1, v53
	s_waitcnt lgkmcnt(0)
	v_add_nc_u32_e32 v1, v2, v1
	ds_load_b32 v16, v3 offset:28
	v_cmp_gt_i32_e32 vcc_lo, 0, v4
	v_cndmask_b32_e32 v4, v4, v53, vcc_lo
	s_delay_alu instid0(VALU_DEP_1)
	v_lshlrev_b32_e32 v4, 2, v4
	ds_bpermute_b32 v1, v4, v1
	s_and_saveexec_b32 s0, s2
	s_cbranch_execz .LBB805_73
; %bb.72:
	v_mov_b32_e32 v3, 0
	v_mov_b32_e32 v17, 2
	s_waitcnt lgkmcnt(1)
	global_store_b64 v3, v[16:17], s[18:19] offset:256
.LBB805_73:
	s_or_b32 exec_lo, exec_lo, s0
	v_cmp_eq_u32_e32 vcc_lo, 0, v53
	s_waitcnt lgkmcnt(0)
	s_waitcnt_vscnt null, 0x0
	s_barrier
	buffer_gl0_inv
	v_mov_b32_e32 v17, 0
	v_cndmask_b32_e32 v1, v1, v2, vcc_lo
	s_delay_alu instid0(VALU_DEP_1) | instskip(NEXT) | instid1(VALU_DEP_1)
	v_cndmask_b32_e64 v1, v1, 0, s2
	v_add_nc_u32_e32 v2, v1, v44
	s_delay_alu instid0(VALU_DEP_1) | instskip(NEXT) | instid1(VALU_DEP_1)
	v_add_nc_u32_e32 v3, v2, v45
	v_add_nc_u32_e32 v4, v3, v46
	s_delay_alu instid0(VALU_DEP_1) | instskip(NEXT) | instid1(VALU_DEP_1)
	v_add_nc_u32_e32 v5, v4, v43
	v_add_nc_u32_e32 v6, v5, v47
	s_delay_alu instid0(VALU_DEP_1) | instskip(NEXT) | instid1(VALU_DEP_1)
	v_add_nc_u32_e32 v7, v6, v48
	v_add_nc_u32_e32 v8, v7, v49
	s_delay_alu instid0(VALU_DEP_1) | instskip(NEXT) | instid1(VALU_DEP_1)
	v_add_nc_u32_e32 v9, v8, v41
	v_add_nc_u32_e32 v10, v9, v50
	s_delay_alu instid0(VALU_DEP_1) | instskip(NEXT) | instid1(VALU_DEP_1)
	v_add_nc_u32_e32 v11, v10, v51
	v_add_nc_u32_e32 v12, v11, v52
	s_delay_alu instid0(VALU_DEP_1)
	v_add_nc_u32_e32 v13, v12, v39
.LBB805_74:
	s_waitcnt lgkmcnt(0)
	v_sub_nc_u32_e32 v1, v1, v17
	v_sub_nc_u32_e32 v2, v2, v17
	v_add_nc_u32_e32 v36, v16, v36
	v_lshrrev_b32_e32 v47, 8, v42
	v_lshrrev_b32_e32 v46, 16, v42
	v_sub_nc_u32_e32 v4, v4, v17
	v_sub_nc_u32_e32 v3, v3, v17
	;; [unrolled: 1-line block ×3, first 2 shown]
	v_and_b32_e32 v42, 1, v42
	v_and_b32_e32 v47, 1, v47
	;; [unrolled: 1-line block ×3, first 2 shown]
	v_lshrrev_b32_e32 v45, 8, v40
	v_lshrrev_b32_e32 v44, 16, v40
	v_cmp_eq_u32_e32 vcc_lo, 1, v42
	v_and_b32_e32 v42, 1, v46
	v_sub_nc_u32_e32 v46, v36, v2
	v_lshrrev_b32_e32 v15, 8, v38
	v_lshrrev_b32_e32 v14, 16, v38
	v_cndmask_b32_e32 v1, v48, v1, vcc_lo
	v_cmp_eq_u32_e32 vcc_lo, 1, v47
	v_add_nc_u32_e32 v46, 1, v46
	s_delay_alu instid0(VALU_DEP_3)
	v_lshlrev_b32_e32 v1, 2, v1
	ds_store_b32 v1, v30
	v_cndmask_b32_e32 v1, v46, v2, vcc_lo
	v_sub_nc_u32_e32 v48, v36, v3
	v_sub_nc_u32_e32 v49, v36, v4
	v_cmp_eq_u32_e32 vcc_lo, 1, v42
	v_or_b32_e32 v30, 0x300, v0
	v_lshlrev_b32_e32 v1, 2, v1
	v_add_nc_u32_e32 v48, 2, v48
	v_add_nc_u32_e32 v49, 3, v49
	ds_store_b32 v1, v31
	v_cndmask_b32_e32 v2, v48, v3, vcc_lo
	v_cmp_eq_u32_e32 vcc_lo, 1, v43
	v_or_b32_e32 v31, 0x200, v0
	s_delay_alu instid0(VALU_DEP_3) | instskip(SKIP_2) | instid1(VALU_DEP_3)
	v_dual_cndmask_b32 v3, v49, v4 :: v_dual_lshlrev_b32 v2, 2, v2
	v_sub_nc_u32_e32 v4, v5, v17
	v_sub_nc_u32_e32 v5, v6, v17
	v_lshlrev_b32_e32 v3, 2, v3
	s_delay_alu instid0(VALU_DEP_3) | instskip(NEXT) | instid1(VALU_DEP_3)
	v_sub_nc_u32_e32 v1, v36, v4
	v_sub_nc_u32_e32 v6, v36, v5
	ds_store_b32 v2, v28
	ds_store_b32 v3, v29
	v_and_b32_e32 v2, 1, v40
	v_add_nc_u32_e32 v1, 4, v1
	v_add_nc_u32_e32 v3, 5, v6
	v_sub_nc_u32_e32 v6, v7, v17
	v_and_b32_e32 v7, 1, v45
	v_cmp_eq_u32_e32 vcc_lo, 1, v2
	v_sub_nc_u32_e32 v2, v8, v17
	v_and_b32_e32 v8, 1, v41
	v_or_b32_e32 v29, 0x400, v0
	v_or_b32_e32 v28, 0x500, v0
	v_cndmask_b32_e32 v1, v1, v4, vcc_lo
	v_sub_nc_u32_e32 v4, v36, v6
	v_cmp_eq_u32_e32 vcc_lo, 1, v7
	v_and_b32_e32 v7, 1, v44
	s_delay_alu instid0(VALU_DEP_4) | instskip(NEXT) | instid1(VALU_DEP_4)
	v_lshlrev_b32_e32 v1, 2, v1
	v_dual_cndmask_b32 v3, v3, v5 :: v_dual_add_nc_u32 v4, 6, v4
	v_sub_nc_u32_e32 v5, v36, v2
	s_delay_alu instid0(VALU_DEP_4) | instskip(SKIP_2) | instid1(VALU_DEP_4)
	v_cmp_eq_u32_e32 vcc_lo, 1, v7
	v_sub_nc_u32_e32 v7, v13, v17
	v_add_co_u32 v13, s0, s16, v32
	v_dual_cndmask_b32 v4, v4, v6 :: v_dual_add_nc_u32 v5, 7, v5
	v_cmp_eq_u32_e32 vcc_lo, 1, v8
	v_sub_nc_u32_e32 v6, v9, v17
	v_lshlrev_b32_e32 v3, 2, v3
	ds_store_b32 v1, v26
	ds_store_b32 v3, v27
	v_cndmask_b32_e32 v2, v5, v2, vcc_lo
	v_sub_nc_u32_e32 v1, v36, v6
	v_lshlrev_b32_e32 v3, 2, v4
	v_and_b32_e32 v5, 1, v38
	v_sub_nc_u32_e32 v4, v10, v17
	v_lshlrev_b32_e32 v2, 2, v2
	v_add_nc_u32_e32 v1, 8, v1
	ds_store_b32 v3, v24
	ds_store_b32 v2, v25
	v_cmp_eq_u32_e32 vcc_lo, 1, v5
	v_sub_nc_u32_e32 v3, v11, v17
	v_sub_nc_u32_e32 v2, v36, v4
	;; [unrolled: 1-line block ×3, first 2 shown]
	v_dual_cndmask_b32 v1, v1, v6 :: v_dual_and_b32 v10, 1, v39
	v_and_b32_e32 v6, 1, v15
	v_sub_nc_u32_e32 v8, v36, v3
	v_add_nc_u32_e32 v2, 9, v2
	v_sub_nc_u32_e32 v9, v36, v5
	v_and_b32_e32 v11, 1, v37
	v_cmp_eq_u32_e32 vcc_lo, 1, v6
	v_add_nc_u32_e32 v6, 10, v8
	v_and_b32_e32 v8, 1, v14
	v_add_nc_u32_e32 v9, 11, v9
	v_dual_cndmask_b32 v2, v2, v4 :: v_dual_lshlrev_b32 v1, 2, v1
	v_sub_nc_u32_e32 v4, v36, v7
	s_delay_alu instid0(VALU_DEP_4) | instskip(SKIP_1) | instid1(VALU_DEP_4)
	v_cmp_eq_u32_e32 vcc_lo, 1, v8
	v_add_co_ci_u32_e64 v14, null, s17, 0, s0
	v_lshlrev_b32_e32 v2, 2, v2
	s_delay_alu instid0(VALU_DEP_4)
	v_dual_cndmask_b32 v3, v6, v3 :: v_dual_add_nc_u32 v4, 12, v4
	v_cmp_eq_u32_e32 vcc_lo, 1, v10
	v_or_b32_e32 v27, 0x600, v0
	v_or_b32_e32 v26, 0x700, v0
	;; [unrolled: 1-line block ×3, first 2 shown]
	v_lshlrev_b32_e32 v3, 2, v3
	v_cndmask_b32_e32 v5, v9, v5, vcc_lo
	v_cmp_eq_u32_e32 vcc_lo, 1, v11
	v_or_b32_e32 v24, 0x900, v0
	s_delay_alu instid0(VALU_DEP_3) | instskip(SKIP_2) | instid1(VALU_DEP_3)
	v_dual_cndmask_b32 v4, v4, v7 :: v_dual_lshlrev_b32 v5, 2, v5
	v_sub_co_u32 v13, vcc_lo, s14, v13
	v_sub_co_ci_u32_e32 v14, vcc_lo, s15, v14, vcc_lo
	v_lshlrev_b32_e32 v4, 2, v4
	ds_store_b32 v1, v22
	ds_store_b32 v2, v23
	;; [unrolled: 1-line block ×5, first 2 shown]
	s_waitcnt lgkmcnt(0)
	s_barrier
	buffer_gl0_inv
	ds_load_2addr_stride64_b32 v[11:12], v33 offset1:4
	ds_load_2addr_stride64_b32 v[9:10], v33 offset0:8 offset1:12
	ds_load_2addr_stride64_b32 v[7:8], v33 offset0:16 offset1:20
	;; [unrolled: 1-line block ×5, first 2 shown]
	ds_load_b32 v20, v33 offset:12288
	v_add_co_u32 v15, vcc_lo, v18, v17
	v_add_co_ci_u32_e32 v17, vcc_lo, 0, v19, vcc_lo
	v_add_co_u32 v13, vcc_lo, v13, v16
	v_add_co_ci_u32_e32 v14, vcc_lo, 0, v14, vcc_lo
	v_cmp_ne_u32_e32 vcc_lo, 1, v34
	s_delay_alu instid0(VALU_DEP_3)
	v_add_co_u32 v18, s0, v13, v15
	v_or_b32_e32 v35, 0x100, v0
	v_or_b32_e32 v23, 0xa00, v0
	;; [unrolled: 1-line block ×4, first 2 shown]
	v_add_co_ci_u32_e64 v19, s0, v14, v17, s0
	s_mov_b32 s0, 0
	s_cbranch_vccnz .LBB805_131
; %bb.75:
	s_mov_b32 s0, exec_lo
                                        ; implicit-def: $vgpr13_vgpr14
	v_cmpx_ge_u32_e64 v0, v16
	s_xor_b32 s0, exec_lo, s0
; %bb.76:
	v_not_b32_e32 v13, v0
	s_delay_alu instid0(VALU_DEP_1) | instskip(SKIP_1) | instid1(VALU_DEP_2)
	v_ashrrev_i32_e32 v14, 31, v13
	v_add_co_u32 v13, vcc_lo, v18, v13
	v_add_co_ci_u32_e32 v14, vcc_lo, v19, v14, vcc_lo
; %bb.77:
	s_and_not1_saveexec_b32 s0, s0
; %bb.78:
	v_add_co_u32 v13, vcc_lo, v15, v0
	v_add_co_ci_u32_e32 v14, vcc_lo, 0, v17, vcc_lo
; %bb.79:
	s_or_b32 exec_lo, exec_lo, s0
	s_delay_alu instid0(VALU_DEP_1) | instskip(SKIP_1) | instid1(VALU_DEP_1)
	v_lshlrev_b64 v[13:14], 2, v[13:14]
	s_mov_b32 s0, exec_lo
	v_add_co_u32 v13, vcc_lo, s12, v13
	s_delay_alu instid0(VALU_DEP_2)
	v_add_co_ci_u32_e32 v14, vcc_lo, s13, v14, vcc_lo
	s_waitcnt lgkmcnt(6)
	global_store_b32 v[13:14], v11, off
                                        ; implicit-def: $vgpr13_vgpr14
	v_cmpx_ge_u32_e64 v35, v16
	s_xor_b32 s0, exec_lo, s0
; %bb.80:
	v_xor_b32_e32 v13, 0xfffffeff, v0
	s_delay_alu instid0(VALU_DEP_1) | instskip(SKIP_1) | instid1(VALU_DEP_2)
	v_ashrrev_i32_e32 v14, 31, v13
	v_add_co_u32 v13, vcc_lo, v18, v13
	v_add_co_ci_u32_e32 v14, vcc_lo, v19, v14, vcc_lo
; %bb.81:
	s_and_not1_saveexec_b32 s0, s0
; %bb.82:
	v_add_co_u32 v13, vcc_lo, v15, v35
	v_add_co_ci_u32_e32 v14, vcc_lo, 0, v17, vcc_lo
; %bb.83:
	s_or_b32 exec_lo, exec_lo, s0
	s_delay_alu instid0(VALU_DEP_1) | instskip(SKIP_1) | instid1(VALU_DEP_1)
	v_lshlrev_b64 v[13:14], 2, v[13:14]
	s_mov_b32 s0, exec_lo
	v_add_co_u32 v13, vcc_lo, s12, v13
	s_delay_alu instid0(VALU_DEP_2)
	v_add_co_ci_u32_e32 v14, vcc_lo, s13, v14, vcc_lo
	global_store_b32 v[13:14], v12, off
                                        ; implicit-def: $vgpr13_vgpr14
	v_cmpx_ge_u32_e64 v31, v16
	s_xor_b32 s0, exec_lo, s0
; %bb.84:
	v_xor_b32_e32 v13, 0xfffffdff, v0
	s_delay_alu instid0(VALU_DEP_1) | instskip(SKIP_1) | instid1(VALU_DEP_2)
	v_ashrrev_i32_e32 v14, 31, v13
	v_add_co_u32 v13, vcc_lo, v18, v13
	v_add_co_ci_u32_e32 v14, vcc_lo, v19, v14, vcc_lo
; %bb.85:
	s_and_not1_saveexec_b32 s0, s0
; %bb.86:
	v_add_co_u32 v13, vcc_lo, v15, v31
	v_add_co_ci_u32_e32 v14, vcc_lo, 0, v17, vcc_lo
; %bb.87:
	s_or_b32 exec_lo, exec_lo, s0
	s_delay_alu instid0(VALU_DEP_1) | instskip(SKIP_1) | instid1(VALU_DEP_1)
	v_lshlrev_b64 v[13:14], 2, v[13:14]
	s_mov_b32 s0, exec_lo
	v_add_co_u32 v13, vcc_lo, s12, v13
	s_delay_alu instid0(VALU_DEP_2)
	v_add_co_ci_u32_e32 v14, vcc_lo, s13, v14, vcc_lo
	s_waitcnt lgkmcnt(5)
	global_store_b32 v[13:14], v9, off
                                        ; implicit-def: $vgpr13_vgpr14
	v_cmpx_ge_u32_e64 v30, v16
	s_xor_b32 s0, exec_lo, s0
; %bb.88:
	v_xor_b32_e32 v13, 0xfffffcff, v0
	s_delay_alu instid0(VALU_DEP_1) | instskip(SKIP_1) | instid1(VALU_DEP_2)
	v_ashrrev_i32_e32 v14, 31, v13
	v_add_co_u32 v13, vcc_lo, v18, v13
	v_add_co_ci_u32_e32 v14, vcc_lo, v19, v14, vcc_lo
; %bb.89:
	s_and_not1_saveexec_b32 s0, s0
; %bb.90:
	v_add_co_u32 v13, vcc_lo, v15, v30
	v_add_co_ci_u32_e32 v14, vcc_lo, 0, v17, vcc_lo
; %bb.91:
	s_or_b32 exec_lo, exec_lo, s0
	s_delay_alu instid0(VALU_DEP_1) | instskip(SKIP_1) | instid1(VALU_DEP_1)
	v_lshlrev_b64 v[13:14], 2, v[13:14]
	s_mov_b32 s0, exec_lo
	v_add_co_u32 v13, vcc_lo, s12, v13
	s_delay_alu instid0(VALU_DEP_2)
	v_add_co_ci_u32_e32 v14, vcc_lo, s13, v14, vcc_lo
	global_store_b32 v[13:14], v10, off
                                        ; implicit-def: $vgpr13_vgpr14
	v_cmpx_ge_u32_e64 v29, v16
	s_xor_b32 s0, exec_lo, s0
; %bb.92:
	v_xor_b32_e32 v13, 0xfffffbff, v0
	;; [unrolled: 47-line block ×6, first 2 shown]
	s_delay_alu instid0(VALU_DEP_1) | instskip(SKIP_1) | instid1(VALU_DEP_2)
	v_ashrrev_i32_e32 v14, 31, v13
	v_add_co_u32 v13, vcc_lo, v18, v13
	v_add_co_ci_u32_e32 v14, vcc_lo, v19, v14, vcc_lo
; %bb.125:
	s_and_not1_saveexec_b32 s0, s0
; %bb.126:
	v_add_co_u32 v13, vcc_lo, v15, v21
	v_add_co_ci_u32_e32 v14, vcc_lo, 0, v17, vcc_lo
; %bb.127:
	s_or_b32 exec_lo, exec_lo, s0
	s_mov_b32 s0, -1
.LBB805_128:
	s_delay_alu instid0(SALU_CYCLE_1)
	s_and_saveexec_b32 s1, s0
	s_cbranch_execz .LBB805_211
.LBB805_129:
	s_waitcnt lgkmcnt(1)
	v_lshlrev_b64 v[0:1], 2, v[13:14]
	s_delay_alu instid0(VALU_DEP_1) | instskip(NEXT) | instid1(VALU_DEP_2)
	v_add_co_u32 v0, vcc_lo, s12, v0
	v_add_co_ci_u32_e32 v1, vcc_lo, s13, v1, vcc_lo
	s_waitcnt lgkmcnt(0)
	global_store_b32 v[0:1], v20, off
	s_or_b32 exec_lo, exec_lo, s1
	s_and_b32 s0, s2, s10
	s_delay_alu instid0(SALU_CYCLE_1)
	s_and_saveexec_b32 s1, s0
	s_cbranch_execnz .LBB805_212
.LBB805_130:
	s_nop 0
	s_sendmsg sendmsg(MSG_DEALLOC_VGPRS)
	s_endpgm
.LBB805_131:
                                        ; implicit-def: $vgpr13_vgpr14
	s_cbranch_execz .LBB805_128
; %bb.132:
	s_mov_b32 s1, exec_lo
	v_cmpx_gt_u32_e64 s11, v0
	s_cbranch_execz .LBB805_168
; %bb.133:
	s_mov_b32 s3, exec_lo
                                        ; implicit-def: $vgpr13_vgpr14
	v_cmpx_ge_u32_e64 v0, v16
	s_xor_b32 s3, exec_lo, s3
; %bb.134:
	v_not_b32_e32 v13, v0
	s_delay_alu instid0(VALU_DEP_1) | instskip(SKIP_1) | instid1(VALU_DEP_2)
	v_ashrrev_i32_e32 v14, 31, v13
	v_add_co_u32 v13, vcc_lo, v18, v13
	v_add_co_ci_u32_e32 v14, vcc_lo, v19, v14, vcc_lo
; %bb.135:
	s_and_not1_saveexec_b32 s3, s3
; %bb.136:
	v_add_co_u32 v13, vcc_lo, v15, v0
	v_add_co_ci_u32_e32 v14, vcc_lo, 0, v17, vcc_lo
; %bb.137:
	s_or_b32 exec_lo, exec_lo, s3
	s_delay_alu instid0(VALU_DEP_1) | instskip(NEXT) | instid1(VALU_DEP_1)
	v_lshlrev_b64 v[13:14], 2, v[13:14]
	v_add_co_u32 v13, vcc_lo, s12, v13
	s_delay_alu instid0(VALU_DEP_2) | instskip(SKIP_3) | instid1(SALU_CYCLE_1)
	v_add_co_ci_u32_e32 v14, vcc_lo, s13, v14, vcc_lo
	s_waitcnt lgkmcnt(6)
	global_store_b32 v[13:14], v11, off
	s_or_b32 exec_lo, exec_lo, s1
	s_mov_b32 s1, exec_lo
	v_cmpx_gt_u32_e64 s11, v35
	s_cbranch_execnz .LBB805_169
.LBB805_138:
	s_or_b32 exec_lo, exec_lo, s1
	s_delay_alu instid0(SALU_CYCLE_1)
	s_mov_b32 s1, exec_lo
	v_cmpx_gt_u32_e64 s11, v31
	s_cbranch_execz .LBB805_174
.LBB805_139:
	s_mov_b32 s3, exec_lo
                                        ; implicit-def: $vgpr11_vgpr12
	v_cmpx_ge_u32_e64 v31, v16
	s_xor_b32 s3, exec_lo, s3
	s_cbranch_execz .LBB805_141
; %bb.140:
	s_waitcnt lgkmcnt(6)
	v_xor_b32_e32 v11, 0xfffffdff, v0
                                        ; implicit-def: $vgpr31
	s_delay_alu instid0(VALU_DEP_1) | instskip(SKIP_1) | instid1(VALU_DEP_2)
	v_ashrrev_i32_e32 v12, 31, v11
	v_add_co_u32 v11, vcc_lo, v18, v11
	v_add_co_ci_u32_e32 v12, vcc_lo, v19, v12, vcc_lo
.LBB805_141:
	s_and_not1_saveexec_b32 s3, s3
	s_cbranch_execz .LBB805_143
; %bb.142:
	s_waitcnt lgkmcnt(6)
	v_add_co_u32 v11, vcc_lo, v15, v31
	v_add_co_ci_u32_e32 v12, vcc_lo, 0, v17, vcc_lo
.LBB805_143:
	s_or_b32 exec_lo, exec_lo, s3
	s_waitcnt lgkmcnt(6)
	s_delay_alu instid0(VALU_DEP_1) | instskip(NEXT) | instid1(VALU_DEP_1)
	v_lshlrev_b64 v[11:12], 2, v[11:12]
	v_add_co_u32 v11, vcc_lo, s12, v11
	s_delay_alu instid0(VALU_DEP_2) | instskip(SKIP_3) | instid1(SALU_CYCLE_1)
	v_add_co_ci_u32_e32 v12, vcc_lo, s13, v12, vcc_lo
	s_waitcnt lgkmcnt(5)
	global_store_b32 v[11:12], v9, off
	s_or_b32 exec_lo, exec_lo, s1
	s_mov_b32 s1, exec_lo
	v_cmpx_gt_u32_e64 s11, v30
	s_cbranch_execnz .LBB805_175
.LBB805_144:
	s_or_b32 exec_lo, exec_lo, s1
	s_delay_alu instid0(SALU_CYCLE_1)
	s_mov_b32 s1, exec_lo
	v_cmpx_gt_u32_e64 s11, v29
	s_cbranch_execz .LBB805_180
.LBB805_145:
	s_mov_b32 s3, exec_lo
                                        ; implicit-def: $vgpr9_vgpr10
	v_cmpx_ge_u32_e64 v29, v16
	s_xor_b32 s3, exec_lo, s3
	s_cbranch_execz .LBB805_147
; %bb.146:
	s_waitcnt lgkmcnt(5)
	v_xor_b32_e32 v9, 0xfffffbff, v0
                                        ; implicit-def: $vgpr29
	s_delay_alu instid0(VALU_DEP_1) | instskip(SKIP_1) | instid1(VALU_DEP_2)
	v_ashrrev_i32_e32 v10, 31, v9
	v_add_co_u32 v9, vcc_lo, v18, v9
	v_add_co_ci_u32_e32 v10, vcc_lo, v19, v10, vcc_lo
.LBB805_147:
	s_and_not1_saveexec_b32 s3, s3
	s_cbranch_execz .LBB805_149
; %bb.148:
	s_waitcnt lgkmcnt(5)
	v_add_co_u32 v9, vcc_lo, v15, v29
	v_add_co_ci_u32_e32 v10, vcc_lo, 0, v17, vcc_lo
.LBB805_149:
	s_or_b32 exec_lo, exec_lo, s3
	s_waitcnt lgkmcnt(5)
	s_delay_alu instid0(VALU_DEP_1) | instskip(NEXT) | instid1(VALU_DEP_1)
	v_lshlrev_b64 v[9:10], 2, v[9:10]
	v_add_co_u32 v9, vcc_lo, s12, v9
	s_delay_alu instid0(VALU_DEP_2) | instskip(SKIP_3) | instid1(SALU_CYCLE_1)
	v_add_co_ci_u32_e32 v10, vcc_lo, s13, v10, vcc_lo
	s_waitcnt lgkmcnt(4)
	global_store_b32 v[9:10], v7, off
	s_or_b32 exec_lo, exec_lo, s1
	s_mov_b32 s1, exec_lo
	v_cmpx_gt_u32_e64 s11, v28
	s_cbranch_execnz .LBB805_181
.LBB805_150:
	s_or_b32 exec_lo, exec_lo, s1
	s_delay_alu instid0(SALU_CYCLE_1)
	s_mov_b32 s1, exec_lo
	v_cmpx_gt_u32_e64 s11, v27
	s_cbranch_execz .LBB805_186
.LBB805_151:
	s_mov_b32 s3, exec_lo
                                        ; implicit-def: $vgpr7_vgpr8
	v_cmpx_ge_u32_e64 v27, v16
	s_xor_b32 s3, exec_lo, s3
	s_cbranch_execz .LBB805_153
; %bb.152:
	s_waitcnt lgkmcnt(4)
	v_xor_b32_e32 v7, 0xfffff9ff, v0
                                        ; implicit-def: $vgpr27
	s_delay_alu instid0(VALU_DEP_1) | instskip(SKIP_1) | instid1(VALU_DEP_2)
	v_ashrrev_i32_e32 v8, 31, v7
	v_add_co_u32 v7, vcc_lo, v18, v7
	v_add_co_ci_u32_e32 v8, vcc_lo, v19, v8, vcc_lo
.LBB805_153:
	s_and_not1_saveexec_b32 s3, s3
	s_cbranch_execz .LBB805_155
; %bb.154:
	s_waitcnt lgkmcnt(4)
	v_add_co_u32 v7, vcc_lo, v15, v27
	v_add_co_ci_u32_e32 v8, vcc_lo, 0, v17, vcc_lo
.LBB805_155:
	s_or_b32 exec_lo, exec_lo, s3
	s_waitcnt lgkmcnt(4)
	s_delay_alu instid0(VALU_DEP_1) | instskip(NEXT) | instid1(VALU_DEP_1)
	v_lshlrev_b64 v[7:8], 2, v[7:8]
	v_add_co_u32 v7, vcc_lo, s12, v7
	s_delay_alu instid0(VALU_DEP_2) | instskip(SKIP_3) | instid1(SALU_CYCLE_1)
	v_add_co_ci_u32_e32 v8, vcc_lo, s13, v8, vcc_lo
	s_waitcnt lgkmcnt(3)
	global_store_b32 v[7:8], v5, off
	s_or_b32 exec_lo, exec_lo, s1
	s_mov_b32 s1, exec_lo
	v_cmpx_gt_u32_e64 s11, v26
	s_cbranch_execnz .LBB805_187
.LBB805_156:
	s_or_b32 exec_lo, exec_lo, s1
	s_delay_alu instid0(SALU_CYCLE_1)
	s_mov_b32 s1, exec_lo
	v_cmpx_gt_u32_e64 s11, v25
	s_cbranch_execz .LBB805_192
.LBB805_157:
	s_mov_b32 s3, exec_lo
                                        ; implicit-def: $vgpr5_vgpr6
	v_cmpx_ge_u32_e64 v25, v16
	s_xor_b32 s3, exec_lo, s3
	s_cbranch_execz .LBB805_159
; %bb.158:
	s_waitcnt lgkmcnt(3)
	v_xor_b32_e32 v5, 0xfffff7ff, v0
                                        ; implicit-def: $vgpr25
	s_delay_alu instid0(VALU_DEP_1) | instskip(SKIP_1) | instid1(VALU_DEP_2)
	v_ashrrev_i32_e32 v6, 31, v5
	v_add_co_u32 v5, vcc_lo, v18, v5
	v_add_co_ci_u32_e32 v6, vcc_lo, v19, v6, vcc_lo
.LBB805_159:
	s_and_not1_saveexec_b32 s3, s3
	s_cbranch_execz .LBB805_161
; %bb.160:
	s_waitcnt lgkmcnt(3)
	v_add_co_u32 v5, vcc_lo, v15, v25
	v_add_co_ci_u32_e32 v6, vcc_lo, 0, v17, vcc_lo
.LBB805_161:
	s_or_b32 exec_lo, exec_lo, s3
	s_waitcnt lgkmcnt(3)
	s_delay_alu instid0(VALU_DEP_1) | instskip(NEXT) | instid1(VALU_DEP_1)
	v_lshlrev_b64 v[5:6], 2, v[5:6]
	v_add_co_u32 v5, vcc_lo, s12, v5
	s_delay_alu instid0(VALU_DEP_2) | instskip(SKIP_3) | instid1(SALU_CYCLE_1)
	v_add_co_ci_u32_e32 v6, vcc_lo, s13, v6, vcc_lo
	s_waitcnt lgkmcnt(2)
	global_store_b32 v[5:6], v3, off
	s_or_b32 exec_lo, exec_lo, s1
	s_mov_b32 s1, exec_lo
	v_cmpx_gt_u32_e64 s11, v24
	s_cbranch_execnz .LBB805_193
.LBB805_162:
	s_or_b32 exec_lo, exec_lo, s1
	s_delay_alu instid0(SALU_CYCLE_1)
	s_mov_b32 s1, exec_lo
	v_cmpx_gt_u32_e64 s11, v23
	s_cbranch_execz .LBB805_198
.LBB805_163:
	s_mov_b32 s3, exec_lo
                                        ; implicit-def: $vgpr3_vgpr4
	v_cmpx_ge_u32_e64 v23, v16
	s_xor_b32 s3, exec_lo, s3
	s_cbranch_execz .LBB805_165
; %bb.164:
	s_waitcnt lgkmcnt(2)
	v_xor_b32_e32 v3, 0xfffff5ff, v0
                                        ; implicit-def: $vgpr23
	s_delay_alu instid0(VALU_DEP_1) | instskip(SKIP_1) | instid1(VALU_DEP_2)
	v_ashrrev_i32_e32 v4, 31, v3
	v_add_co_u32 v3, vcc_lo, v18, v3
	v_add_co_ci_u32_e32 v4, vcc_lo, v19, v4, vcc_lo
.LBB805_165:
	s_and_not1_saveexec_b32 s3, s3
	s_cbranch_execz .LBB805_167
; %bb.166:
	s_waitcnt lgkmcnt(2)
	v_add_co_u32 v3, vcc_lo, v15, v23
	v_add_co_ci_u32_e32 v4, vcc_lo, 0, v17, vcc_lo
.LBB805_167:
	s_or_b32 exec_lo, exec_lo, s3
	s_waitcnt lgkmcnt(2)
	s_delay_alu instid0(VALU_DEP_1) | instskip(NEXT) | instid1(VALU_DEP_1)
	v_lshlrev_b64 v[3:4], 2, v[3:4]
	v_add_co_u32 v3, vcc_lo, s12, v3
	s_delay_alu instid0(VALU_DEP_2) | instskip(SKIP_3) | instid1(SALU_CYCLE_1)
	v_add_co_ci_u32_e32 v4, vcc_lo, s13, v4, vcc_lo
	s_waitcnt lgkmcnt(1)
	global_store_b32 v[3:4], v1, off
	s_or_b32 exec_lo, exec_lo, s1
	s_mov_b32 s1, exec_lo
	v_cmpx_gt_u32_e64 s11, v22
	s_cbranch_execz .LBB805_204
	s_branch .LBB805_199
.LBB805_168:
	s_or_b32 exec_lo, exec_lo, s1
	s_delay_alu instid0(SALU_CYCLE_1)
	s_mov_b32 s1, exec_lo
	v_cmpx_gt_u32_e64 s11, v35
	s_cbranch_execz .LBB805_138
.LBB805_169:
	s_mov_b32 s3, exec_lo
                                        ; implicit-def: $vgpr13_vgpr14
	v_cmpx_ge_u32_e64 v35, v16
	s_xor_b32 s3, exec_lo, s3
	s_cbranch_execz .LBB805_171
; %bb.170:
	s_waitcnt lgkmcnt(6)
	v_xor_b32_e32 v11, 0xfffffeff, v0
                                        ; implicit-def: $vgpr35
	s_delay_alu instid0(VALU_DEP_1) | instskip(SKIP_1) | instid1(VALU_DEP_2)
	v_ashrrev_i32_e32 v14, 31, v11
	v_add_co_u32 v13, vcc_lo, v18, v11
	v_add_co_ci_u32_e32 v14, vcc_lo, v19, v14, vcc_lo
.LBB805_171:
	s_and_not1_saveexec_b32 s3, s3
; %bb.172:
	v_add_co_u32 v13, vcc_lo, v15, v35
	v_add_co_ci_u32_e32 v14, vcc_lo, 0, v17, vcc_lo
; %bb.173:
	s_or_b32 exec_lo, exec_lo, s3
	s_delay_alu instid0(VALU_DEP_1) | instskip(NEXT) | instid1(VALU_DEP_1)
	v_lshlrev_b64 v[13:14], 2, v[13:14]
	v_add_co_u32 v13, vcc_lo, s12, v13
	s_delay_alu instid0(VALU_DEP_2) | instskip(SKIP_3) | instid1(SALU_CYCLE_1)
	v_add_co_ci_u32_e32 v14, vcc_lo, s13, v14, vcc_lo
	s_waitcnt lgkmcnt(6)
	global_store_b32 v[13:14], v12, off
	s_or_b32 exec_lo, exec_lo, s1
	s_mov_b32 s1, exec_lo
	v_cmpx_gt_u32_e64 s11, v31
	s_cbranch_execnz .LBB805_139
.LBB805_174:
	s_or_b32 exec_lo, exec_lo, s1
	s_delay_alu instid0(SALU_CYCLE_1)
	s_mov_b32 s1, exec_lo
	v_cmpx_gt_u32_e64 s11, v30
	s_cbranch_execz .LBB805_144
.LBB805_175:
	s_mov_b32 s3, exec_lo
                                        ; implicit-def: $vgpr11_vgpr12
	v_cmpx_ge_u32_e64 v30, v16
	s_xor_b32 s3, exec_lo, s3
	s_cbranch_execz .LBB805_177
; %bb.176:
	s_waitcnt lgkmcnt(5)
	v_xor_b32_e32 v9, 0xfffffcff, v0
                                        ; implicit-def: $vgpr30
	s_delay_alu instid0(VALU_DEP_1) | instskip(SKIP_1) | instid1(VALU_DEP_2)
	v_ashrrev_i32_e32 v12, 31, v9
	v_add_co_u32 v11, vcc_lo, v18, v9
	v_add_co_ci_u32_e32 v12, vcc_lo, v19, v12, vcc_lo
.LBB805_177:
	s_and_not1_saveexec_b32 s3, s3
	s_cbranch_execz .LBB805_179
; %bb.178:
	s_waitcnt lgkmcnt(6)
	v_add_co_u32 v11, vcc_lo, v15, v30
	v_add_co_ci_u32_e32 v12, vcc_lo, 0, v17, vcc_lo
.LBB805_179:
	s_or_b32 exec_lo, exec_lo, s3
	s_waitcnt lgkmcnt(6)
	s_delay_alu instid0(VALU_DEP_1) | instskip(NEXT) | instid1(VALU_DEP_1)
	v_lshlrev_b64 v[11:12], 2, v[11:12]
	v_add_co_u32 v11, vcc_lo, s12, v11
	s_delay_alu instid0(VALU_DEP_2) | instskip(SKIP_3) | instid1(SALU_CYCLE_1)
	v_add_co_ci_u32_e32 v12, vcc_lo, s13, v12, vcc_lo
	s_waitcnt lgkmcnt(5)
	global_store_b32 v[11:12], v10, off
	s_or_b32 exec_lo, exec_lo, s1
	s_mov_b32 s1, exec_lo
	v_cmpx_gt_u32_e64 s11, v29
	s_cbranch_execnz .LBB805_145
.LBB805_180:
	s_or_b32 exec_lo, exec_lo, s1
	s_delay_alu instid0(SALU_CYCLE_1)
	s_mov_b32 s1, exec_lo
	v_cmpx_gt_u32_e64 s11, v28
	s_cbranch_execz .LBB805_150
.LBB805_181:
	s_mov_b32 s3, exec_lo
                                        ; implicit-def: $vgpr9_vgpr10
	v_cmpx_ge_u32_e64 v28, v16
	s_xor_b32 s3, exec_lo, s3
	s_cbranch_execz .LBB805_183
; %bb.182:
	s_waitcnt lgkmcnt(4)
	v_xor_b32_e32 v7, 0xfffffaff, v0
                                        ; implicit-def: $vgpr28
	s_delay_alu instid0(VALU_DEP_1) | instskip(SKIP_1) | instid1(VALU_DEP_2)
	v_ashrrev_i32_e32 v10, 31, v7
	v_add_co_u32 v9, vcc_lo, v18, v7
	v_add_co_ci_u32_e32 v10, vcc_lo, v19, v10, vcc_lo
.LBB805_183:
	s_and_not1_saveexec_b32 s3, s3
	s_cbranch_execz .LBB805_185
; %bb.184:
	s_waitcnt lgkmcnt(5)
	v_add_co_u32 v9, vcc_lo, v15, v28
	v_add_co_ci_u32_e32 v10, vcc_lo, 0, v17, vcc_lo
.LBB805_185:
	s_or_b32 exec_lo, exec_lo, s3
	s_waitcnt lgkmcnt(5)
	s_delay_alu instid0(VALU_DEP_1) | instskip(NEXT) | instid1(VALU_DEP_1)
	v_lshlrev_b64 v[9:10], 2, v[9:10]
	v_add_co_u32 v9, vcc_lo, s12, v9
	s_delay_alu instid0(VALU_DEP_2) | instskip(SKIP_3) | instid1(SALU_CYCLE_1)
	v_add_co_ci_u32_e32 v10, vcc_lo, s13, v10, vcc_lo
	s_waitcnt lgkmcnt(4)
	global_store_b32 v[9:10], v8, off
	s_or_b32 exec_lo, exec_lo, s1
	s_mov_b32 s1, exec_lo
	v_cmpx_gt_u32_e64 s11, v27
	s_cbranch_execnz .LBB805_151
.LBB805_186:
	s_or_b32 exec_lo, exec_lo, s1
	s_delay_alu instid0(SALU_CYCLE_1)
	s_mov_b32 s1, exec_lo
	v_cmpx_gt_u32_e64 s11, v26
	s_cbranch_execz .LBB805_156
.LBB805_187:
	s_mov_b32 s3, exec_lo
                                        ; implicit-def: $vgpr7_vgpr8
	v_cmpx_ge_u32_e64 v26, v16
	s_xor_b32 s3, exec_lo, s3
	s_cbranch_execz .LBB805_189
; %bb.188:
	s_waitcnt lgkmcnt(3)
	v_xor_b32_e32 v5, 0xfffff8ff, v0
                                        ; implicit-def: $vgpr26
	s_delay_alu instid0(VALU_DEP_1) | instskip(SKIP_1) | instid1(VALU_DEP_2)
	v_ashrrev_i32_e32 v8, 31, v5
	v_add_co_u32 v7, vcc_lo, v18, v5
	v_add_co_ci_u32_e32 v8, vcc_lo, v19, v8, vcc_lo
.LBB805_189:
	s_and_not1_saveexec_b32 s3, s3
	s_cbranch_execz .LBB805_191
; %bb.190:
	s_waitcnt lgkmcnt(4)
	v_add_co_u32 v7, vcc_lo, v15, v26
	v_add_co_ci_u32_e32 v8, vcc_lo, 0, v17, vcc_lo
.LBB805_191:
	s_or_b32 exec_lo, exec_lo, s3
	s_waitcnt lgkmcnt(4)
	s_delay_alu instid0(VALU_DEP_1) | instskip(NEXT) | instid1(VALU_DEP_1)
	v_lshlrev_b64 v[7:8], 2, v[7:8]
	v_add_co_u32 v7, vcc_lo, s12, v7
	s_delay_alu instid0(VALU_DEP_2) | instskip(SKIP_3) | instid1(SALU_CYCLE_1)
	v_add_co_ci_u32_e32 v8, vcc_lo, s13, v8, vcc_lo
	s_waitcnt lgkmcnt(3)
	global_store_b32 v[7:8], v6, off
	s_or_b32 exec_lo, exec_lo, s1
	s_mov_b32 s1, exec_lo
	v_cmpx_gt_u32_e64 s11, v25
	s_cbranch_execnz .LBB805_157
.LBB805_192:
	s_or_b32 exec_lo, exec_lo, s1
	s_delay_alu instid0(SALU_CYCLE_1)
	s_mov_b32 s1, exec_lo
	v_cmpx_gt_u32_e64 s11, v24
	s_cbranch_execz .LBB805_162
.LBB805_193:
	s_mov_b32 s3, exec_lo
                                        ; implicit-def: $vgpr5_vgpr6
	v_cmpx_ge_u32_e64 v24, v16
	s_xor_b32 s3, exec_lo, s3
	s_cbranch_execz .LBB805_195
; %bb.194:
	s_waitcnt lgkmcnt(2)
	v_xor_b32_e32 v3, 0xfffff6ff, v0
                                        ; implicit-def: $vgpr24
	s_delay_alu instid0(VALU_DEP_1) | instskip(SKIP_1) | instid1(VALU_DEP_2)
	v_ashrrev_i32_e32 v6, 31, v3
	v_add_co_u32 v5, vcc_lo, v18, v3
	v_add_co_ci_u32_e32 v6, vcc_lo, v19, v6, vcc_lo
.LBB805_195:
	s_and_not1_saveexec_b32 s3, s3
	s_cbranch_execz .LBB805_197
; %bb.196:
	s_waitcnt lgkmcnt(3)
	v_add_co_u32 v5, vcc_lo, v15, v24
	v_add_co_ci_u32_e32 v6, vcc_lo, 0, v17, vcc_lo
.LBB805_197:
	s_or_b32 exec_lo, exec_lo, s3
	s_waitcnt lgkmcnt(3)
	s_delay_alu instid0(VALU_DEP_1) | instskip(NEXT) | instid1(VALU_DEP_1)
	v_lshlrev_b64 v[5:6], 2, v[5:6]
	v_add_co_u32 v5, vcc_lo, s12, v5
	s_delay_alu instid0(VALU_DEP_2) | instskip(SKIP_3) | instid1(SALU_CYCLE_1)
	v_add_co_ci_u32_e32 v6, vcc_lo, s13, v6, vcc_lo
	s_waitcnt lgkmcnt(2)
	global_store_b32 v[5:6], v4, off
	s_or_b32 exec_lo, exec_lo, s1
	s_mov_b32 s1, exec_lo
	v_cmpx_gt_u32_e64 s11, v23
	s_cbranch_execnz .LBB805_163
.LBB805_198:
	s_or_b32 exec_lo, exec_lo, s1
	s_delay_alu instid0(SALU_CYCLE_1)
	s_mov_b32 s1, exec_lo
	v_cmpx_gt_u32_e64 s11, v22
	s_cbranch_execz .LBB805_204
.LBB805_199:
	s_mov_b32 s3, exec_lo
                                        ; implicit-def: $vgpr3_vgpr4
	v_cmpx_ge_u32_e64 v22, v16
	s_xor_b32 s3, exec_lo, s3
	s_cbranch_execz .LBB805_201
; %bb.200:
	s_waitcnt lgkmcnt(1)
	v_xor_b32_e32 v1, 0xfffff4ff, v0
                                        ; implicit-def: $vgpr22
	s_delay_alu instid0(VALU_DEP_1) | instskip(SKIP_1) | instid1(VALU_DEP_2)
	v_ashrrev_i32_e32 v4, 31, v1
	v_add_co_u32 v3, vcc_lo, v18, v1
	v_add_co_ci_u32_e32 v4, vcc_lo, v19, v4, vcc_lo
.LBB805_201:
	s_and_not1_saveexec_b32 s3, s3
	s_cbranch_execz .LBB805_203
; %bb.202:
	s_waitcnt lgkmcnt(2)
	v_add_co_u32 v3, vcc_lo, v15, v22
	v_add_co_ci_u32_e32 v4, vcc_lo, 0, v17, vcc_lo
.LBB805_203:
	s_or_b32 exec_lo, exec_lo, s3
	s_waitcnt lgkmcnt(2)
	s_delay_alu instid0(VALU_DEP_1) | instskip(NEXT) | instid1(VALU_DEP_1)
	v_lshlrev_b64 v[3:4], 2, v[3:4]
	v_add_co_u32 v3, vcc_lo, s12, v3
	s_delay_alu instid0(VALU_DEP_2)
	v_add_co_ci_u32_e32 v4, vcc_lo, s13, v4, vcc_lo
	s_waitcnt lgkmcnt(1)
	global_store_b32 v[3:4], v2, off
.LBB805_204:
	s_or_b32 exec_lo, exec_lo, s1
	s_delay_alu instid0(SALU_CYCLE_1)
	s_mov_b32 s1, exec_lo
                                        ; implicit-def: $vgpr13_vgpr14
	v_cmpx_gt_u32_e64 s11, v21
	s_cbranch_execz .LBB805_210
; %bb.205:
	s_mov_b32 s3, exec_lo
                                        ; implicit-def: $vgpr13_vgpr14
	v_cmpx_ge_u32_e64 v21, v16
	s_xor_b32 s3, exec_lo, s3
	s_cbranch_execz .LBB805_207
; %bb.206:
	v_xor_b32_e32 v0, 0xfffff3ff, v0
                                        ; implicit-def: $vgpr21
	s_waitcnt lgkmcnt(1)
	s_delay_alu instid0(VALU_DEP_1) | instskip(SKIP_1) | instid1(VALU_DEP_2)
	v_ashrrev_i32_e32 v1, 31, v0
	v_add_co_u32 v13, vcc_lo, v18, v0
	v_add_co_ci_u32_e32 v14, vcc_lo, v19, v1, vcc_lo
.LBB805_207:
	s_and_not1_saveexec_b32 s3, s3
; %bb.208:
	v_add_co_u32 v13, vcc_lo, v15, v21
	v_add_co_ci_u32_e32 v14, vcc_lo, 0, v17, vcc_lo
; %bb.209:
	s_or_b32 exec_lo, exec_lo, s3
	s_delay_alu instid0(SALU_CYCLE_1)
	s_or_b32 s0, s0, exec_lo
.LBB805_210:
	s_or_b32 exec_lo, exec_lo, s1
	s_and_saveexec_b32 s1, s0
	s_cbranch_execnz .LBB805_129
.LBB805_211:
	s_or_b32 exec_lo, exec_lo, s1
	s_and_b32 s0, s2, s10
	s_delay_alu instid0(SALU_CYCLE_1)
	s_and_saveexec_b32 s1, s0
	s_cbranch_execz .LBB805_130
.LBB805_212:
	v_add_co_u32 v0, vcc_lo, v15, v16
	s_waitcnt lgkmcnt(1)
	v_mov_b32_e32 v2, 0
	v_add_co_ci_u32_e32 v1, vcc_lo, 0, v17, vcc_lo
	global_store_b64 v2, v[0:1], s[8:9]
	s_nop 0
	s_sendmsg sendmsg(MSG_DEALLOC_VGPRS)
	s_endpgm
	.section	.rodata,"a",@progbits
	.p2align	6, 0x0
	.amdhsa_kernel _ZN7rocprim17ROCPRIM_400000_NS6detail17trampoline_kernelINS0_13select_configILj256ELj13ELNS0_17block_load_methodE3ELS4_3ELS4_3ELNS0_20block_scan_algorithmE0ELj4294967295EEENS1_25partition_config_selectorILNS1_17partition_subalgoE3EjNS0_10empty_typeEbEEZZNS1_14partition_implILS8_3ELb0ES6_jNS0_17counting_iteratorIjlEEPS9_SE_NS0_5tupleIJPjSE_EEENSF_IJSE_SE_EEES9_SG_JZNS1_25segmented_radix_sort_implINS0_14default_configELb0EPKlPlSM_SN_N2at6native12_GLOBAL__N_18offset_tEEE10hipError_tPvRmT1_PNSt15iterator_traitsISV_E10value_typeET2_T3_PNSW_IS11_E10value_typeET4_jRbjT5_S17_jjP12ihipStream_tbEUljE_EEESS_ST_SU_S11_S15_S17_T6_T7_T9_mT8_S19_bDpT10_ENKUlT_T0_E_clISt17integral_constantIbLb0EES1L_IbLb1EEEEDaS1H_S1I_EUlS1H_E_NS1_11comp_targetILNS1_3genE9ELNS1_11target_archE1100ELNS1_3gpuE3ELNS1_3repE0EEENS1_30default_config_static_selectorELNS0_4arch9wavefront6targetE0EEEvSV_
		.amdhsa_group_segment_fixed_size 13324
		.amdhsa_private_segment_fixed_size 0
		.amdhsa_kernarg_size 152
		.amdhsa_user_sgpr_count 15
		.amdhsa_user_sgpr_dispatch_ptr 0
		.amdhsa_user_sgpr_queue_ptr 0
		.amdhsa_user_sgpr_kernarg_segment_ptr 1
		.amdhsa_user_sgpr_dispatch_id 0
		.amdhsa_user_sgpr_private_segment_size 0
		.amdhsa_wavefront_size32 1
		.amdhsa_uses_dynamic_stack 0
		.amdhsa_enable_private_segment 0
		.amdhsa_system_sgpr_workgroup_id_x 1
		.amdhsa_system_sgpr_workgroup_id_y 0
		.amdhsa_system_sgpr_workgroup_id_z 0
		.amdhsa_system_sgpr_workgroup_info 0
		.amdhsa_system_vgpr_workitem_id 0
		.amdhsa_next_free_vgpr 60
		.amdhsa_next_free_sgpr 26
		.amdhsa_reserve_vcc 1
		.amdhsa_float_round_mode_32 0
		.amdhsa_float_round_mode_16_64 0
		.amdhsa_float_denorm_mode_32 3
		.amdhsa_float_denorm_mode_16_64 3
		.amdhsa_dx10_clamp 1
		.amdhsa_ieee_mode 1
		.amdhsa_fp16_overflow 0
		.amdhsa_workgroup_processor_mode 1
		.amdhsa_memory_ordered 1
		.amdhsa_forward_progress 0
		.amdhsa_shared_vgpr_count 0
		.amdhsa_exception_fp_ieee_invalid_op 0
		.amdhsa_exception_fp_denorm_src 0
		.amdhsa_exception_fp_ieee_div_zero 0
		.amdhsa_exception_fp_ieee_overflow 0
		.amdhsa_exception_fp_ieee_underflow 0
		.amdhsa_exception_fp_ieee_inexact 0
		.amdhsa_exception_int_div_zero 0
	.end_amdhsa_kernel
	.section	.text._ZN7rocprim17ROCPRIM_400000_NS6detail17trampoline_kernelINS0_13select_configILj256ELj13ELNS0_17block_load_methodE3ELS4_3ELS4_3ELNS0_20block_scan_algorithmE0ELj4294967295EEENS1_25partition_config_selectorILNS1_17partition_subalgoE3EjNS0_10empty_typeEbEEZZNS1_14partition_implILS8_3ELb0ES6_jNS0_17counting_iteratorIjlEEPS9_SE_NS0_5tupleIJPjSE_EEENSF_IJSE_SE_EEES9_SG_JZNS1_25segmented_radix_sort_implINS0_14default_configELb0EPKlPlSM_SN_N2at6native12_GLOBAL__N_18offset_tEEE10hipError_tPvRmT1_PNSt15iterator_traitsISV_E10value_typeET2_T3_PNSW_IS11_E10value_typeET4_jRbjT5_S17_jjP12ihipStream_tbEUljE_EEESS_ST_SU_S11_S15_S17_T6_T7_T9_mT8_S19_bDpT10_ENKUlT_T0_E_clISt17integral_constantIbLb0EES1L_IbLb1EEEEDaS1H_S1I_EUlS1H_E_NS1_11comp_targetILNS1_3genE9ELNS1_11target_archE1100ELNS1_3gpuE3ELNS1_3repE0EEENS1_30default_config_static_selectorELNS0_4arch9wavefront6targetE0EEEvSV_,"axG",@progbits,_ZN7rocprim17ROCPRIM_400000_NS6detail17trampoline_kernelINS0_13select_configILj256ELj13ELNS0_17block_load_methodE3ELS4_3ELS4_3ELNS0_20block_scan_algorithmE0ELj4294967295EEENS1_25partition_config_selectorILNS1_17partition_subalgoE3EjNS0_10empty_typeEbEEZZNS1_14partition_implILS8_3ELb0ES6_jNS0_17counting_iteratorIjlEEPS9_SE_NS0_5tupleIJPjSE_EEENSF_IJSE_SE_EEES9_SG_JZNS1_25segmented_radix_sort_implINS0_14default_configELb0EPKlPlSM_SN_N2at6native12_GLOBAL__N_18offset_tEEE10hipError_tPvRmT1_PNSt15iterator_traitsISV_E10value_typeET2_T3_PNSW_IS11_E10value_typeET4_jRbjT5_S17_jjP12ihipStream_tbEUljE_EEESS_ST_SU_S11_S15_S17_T6_T7_T9_mT8_S19_bDpT10_ENKUlT_T0_E_clISt17integral_constantIbLb0EES1L_IbLb1EEEEDaS1H_S1I_EUlS1H_E_NS1_11comp_targetILNS1_3genE9ELNS1_11target_archE1100ELNS1_3gpuE3ELNS1_3repE0EEENS1_30default_config_static_selectorELNS0_4arch9wavefront6targetE0EEEvSV_,comdat
.Lfunc_end805:
	.size	_ZN7rocprim17ROCPRIM_400000_NS6detail17trampoline_kernelINS0_13select_configILj256ELj13ELNS0_17block_load_methodE3ELS4_3ELS4_3ELNS0_20block_scan_algorithmE0ELj4294967295EEENS1_25partition_config_selectorILNS1_17partition_subalgoE3EjNS0_10empty_typeEbEEZZNS1_14partition_implILS8_3ELb0ES6_jNS0_17counting_iteratorIjlEEPS9_SE_NS0_5tupleIJPjSE_EEENSF_IJSE_SE_EEES9_SG_JZNS1_25segmented_radix_sort_implINS0_14default_configELb0EPKlPlSM_SN_N2at6native12_GLOBAL__N_18offset_tEEE10hipError_tPvRmT1_PNSt15iterator_traitsISV_E10value_typeET2_T3_PNSW_IS11_E10value_typeET4_jRbjT5_S17_jjP12ihipStream_tbEUljE_EEESS_ST_SU_S11_S15_S17_T6_T7_T9_mT8_S19_bDpT10_ENKUlT_T0_E_clISt17integral_constantIbLb0EES1L_IbLb1EEEEDaS1H_S1I_EUlS1H_E_NS1_11comp_targetILNS1_3genE9ELNS1_11target_archE1100ELNS1_3gpuE3ELNS1_3repE0EEENS1_30default_config_static_selectorELNS0_4arch9wavefront6targetE0EEEvSV_, .Lfunc_end805-_ZN7rocprim17ROCPRIM_400000_NS6detail17trampoline_kernelINS0_13select_configILj256ELj13ELNS0_17block_load_methodE3ELS4_3ELS4_3ELNS0_20block_scan_algorithmE0ELj4294967295EEENS1_25partition_config_selectorILNS1_17partition_subalgoE3EjNS0_10empty_typeEbEEZZNS1_14partition_implILS8_3ELb0ES6_jNS0_17counting_iteratorIjlEEPS9_SE_NS0_5tupleIJPjSE_EEENSF_IJSE_SE_EEES9_SG_JZNS1_25segmented_radix_sort_implINS0_14default_configELb0EPKlPlSM_SN_N2at6native12_GLOBAL__N_18offset_tEEE10hipError_tPvRmT1_PNSt15iterator_traitsISV_E10value_typeET2_T3_PNSW_IS11_E10value_typeET4_jRbjT5_S17_jjP12ihipStream_tbEUljE_EEESS_ST_SU_S11_S15_S17_T6_T7_T9_mT8_S19_bDpT10_ENKUlT_T0_E_clISt17integral_constantIbLb0EES1L_IbLb1EEEEDaS1H_S1I_EUlS1H_E_NS1_11comp_targetILNS1_3genE9ELNS1_11target_archE1100ELNS1_3gpuE3ELNS1_3repE0EEENS1_30default_config_static_selectorELNS0_4arch9wavefront6targetE0EEEvSV_
                                        ; -- End function
	.section	.AMDGPU.csdata,"",@progbits
; Kernel info:
; codeLenInByte = 9040
; NumSgprs: 28
; NumVgprs: 60
; ScratchSize: 0
; MemoryBound: 0
; FloatMode: 240
; IeeeMode: 1
; LDSByteSize: 13324 bytes/workgroup (compile time only)
; SGPRBlocks: 3
; VGPRBlocks: 7
; NumSGPRsForWavesPerEU: 28
; NumVGPRsForWavesPerEU: 60
; Occupancy: 16
; WaveLimiterHint : 0
; COMPUTE_PGM_RSRC2:SCRATCH_EN: 0
; COMPUTE_PGM_RSRC2:USER_SGPR: 15
; COMPUTE_PGM_RSRC2:TRAP_HANDLER: 0
; COMPUTE_PGM_RSRC2:TGID_X_EN: 1
; COMPUTE_PGM_RSRC2:TGID_Y_EN: 0
; COMPUTE_PGM_RSRC2:TGID_Z_EN: 0
; COMPUTE_PGM_RSRC2:TIDIG_COMP_CNT: 0
	.section	.text._ZN7rocprim17ROCPRIM_400000_NS6detail17trampoline_kernelINS0_13select_configILj256ELj13ELNS0_17block_load_methodE3ELS4_3ELS4_3ELNS0_20block_scan_algorithmE0ELj4294967295EEENS1_25partition_config_selectorILNS1_17partition_subalgoE3EjNS0_10empty_typeEbEEZZNS1_14partition_implILS8_3ELb0ES6_jNS0_17counting_iteratorIjlEEPS9_SE_NS0_5tupleIJPjSE_EEENSF_IJSE_SE_EEES9_SG_JZNS1_25segmented_radix_sort_implINS0_14default_configELb0EPKlPlSM_SN_N2at6native12_GLOBAL__N_18offset_tEEE10hipError_tPvRmT1_PNSt15iterator_traitsISV_E10value_typeET2_T3_PNSW_IS11_E10value_typeET4_jRbjT5_S17_jjP12ihipStream_tbEUljE_EEESS_ST_SU_S11_S15_S17_T6_T7_T9_mT8_S19_bDpT10_ENKUlT_T0_E_clISt17integral_constantIbLb0EES1L_IbLb1EEEEDaS1H_S1I_EUlS1H_E_NS1_11comp_targetILNS1_3genE8ELNS1_11target_archE1030ELNS1_3gpuE2ELNS1_3repE0EEENS1_30default_config_static_selectorELNS0_4arch9wavefront6targetE0EEEvSV_,"axG",@progbits,_ZN7rocprim17ROCPRIM_400000_NS6detail17trampoline_kernelINS0_13select_configILj256ELj13ELNS0_17block_load_methodE3ELS4_3ELS4_3ELNS0_20block_scan_algorithmE0ELj4294967295EEENS1_25partition_config_selectorILNS1_17partition_subalgoE3EjNS0_10empty_typeEbEEZZNS1_14partition_implILS8_3ELb0ES6_jNS0_17counting_iteratorIjlEEPS9_SE_NS0_5tupleIJPjSE_EEENSF_IJSE_SE_EEES9_SG_JZNS1_25segmented_radix_sort_implINS0_14default_configELb0EPKlPlSM_SN_N2at6native12_GLOBAL__N_18offset_tEEE10hipError_tPvRmT1_PNSt15iterator_traitsISV_E10value_typeET2_T3_PNSW_IS11_E10value_typeET4_jRbjT5_S17_jjP12ihipStream_tbEUljE_EEESS_ST_SU_S11_S15_S17_T6_T7_T9_mT8_S19_bDpT10_ENKUlT_T0_E_clISt17integral_constantIbLb0EES1L_IbLb1EEEEDaS1H_S1I_EUlS1H_E_NS1_11comp_targetILNS1_3genE8ELNS1_11target_archE1030ELNS1_3gpuE2ELNS1_3repE0EEENS1_30default_config_static_selectorELNS0_4arch9wavefront6targetE0EEEvSV_,comdat
	.globl	_ZN7rocprim17ROCPRIM_400000_NS6detail17trampoline_kernelINS0_13select_configILj256ELj13ELNS0_17block_load_methodE3ELS4_3ELS4_3ELNS0_20block_scan_algorithmE0ELj4294967295EEENS1_25partition_config_selectorILNS1_17partition_subalgoE3EjNS0_10empty_typeEbEEZZNS1_14partition_implILS8_3ELb0ES6_jNS0_17counting_iteratorIjlEEPS9_SE_NS0_5tupleIJPjSE_EEENSF_IJSE_SE_EEES9_SG_JZNS1_25segmented_radix_sort_implINS0_14default_configELb0EPKlPlSM_SN_N2at6native12_GLOBAL__N_18offset_tEEE10hipError_tPvRmT1_PNSt15iterator_traitsISV_E10value_typeET2_T3_PNSW_IS11_E10value_typeET4_jRbjT5_S17_jjP12ihipStream_tbEUljE_EEESS_ST_SU_S11_S15_S17_T6_T7_T9_mT8_S19_bDpT10_ENKUlT_T0_E_clISt17integral_constantIbLb0EES1L_IbLb1EEEEDaS1H_S1I_EUlS1H_E_NS1_11comp_targetILNS1_3genE8ELNS1_11target_archE1030ELNS1_3gpuE2ELNS1_3repE0EEENS1_30default_config_static_selectorELNS0_4arch9wavefront6targetE0EEEvSV_ ; -- Begin function _ZN7rocprim17ROCPRIM_400000_NS6detail17trampoline_kernelINS0_13select_configILj256ELj13ELNS0_17block_load_methodE3ELS4_3ELS4_3ELNS0_20block_scan_algorithmE0ELj4294967295EEENS1_25partition_config_selectorILNS1_17partition_subalgoE3EjNS0_10empty_typeEbEEZZNS1_14partition_implILS8_3ELb0ES6_jNS0_17counting_iteratorIjlEEPS9_SE_NS0_5tupleIJPjSE_EEENSF_IJSE_SE_EEES9_SG_JZNS1_25segmented_radix_sort_implINS0_14default_configELb0EPKlPlSM_SN_N2at6native12_GLOBAL__N_18offset_tEEE10hipError_tPvRmT1_PNSt15iterator_traitsISV_E10value_typeET2_T3_PNSW_IS11_E10value_typeET4_jRbjT5_S17_jjP12ihipStream_tbEUljE_EEESS_ST_SU_S11_S15_S17_T6_T7_T9_mT8_S19_bDpT10_ENKUlT_T0_E_clISt17integral_constantIbLb0EES1L_IbLb1EEEEDaS1H_S1I_EUlS1H_E_NS1_11comp_targetILNS1_3genE8ELNS1_11target_archE1030ELNS1_3gpuE2ELNS1_3repE0EEENS1_30default_config_static_selectorELNS0_4arch9wavefront6targetE0EEEvSV_
	.p2align	8
	.type	_ZN7rocprim17ROCPRIM_400000_NS6detail17trampoline_kernelINS0_13select_configILj256ELj13ELNS0_17block_load_methodE3ELS4_3ELS4_3ELNS0_20block_scan_algorithmE0ELj4294967295EEENS1_25partition_config_selectorILNS1_17partition_subalgoE3EjNS0_10empty_typeEbEEZZNS1_14partition_implILS8_3ELb0ES6_jNS0_17counting_iteratorIjlEEPS9_SE_NS0_5tupleIJPjSE_EEENSF_IJSE_SE_EEES9_SG_JZNS1_25segmented_radix_sort_implINS0_14default_configELb0EPKlPlSM_SN_N2at6native12_GLOBAL__N_18offset_tEEE10hipError_tPvRmT1_PNSt15iterator_traitsISV_E10value_typeET2_T3_PNSW_IS11_E10value_typeET4_jRbjT5_S17_jjP12ihipStream_tbEUljE_EEESS_ST_SU_S11_S15_S17_T6_T7_T9_mT8_S19_bDpT10_ENKUlT_T0_E_clISt17integral_constantIbLb0EES1L_IbLb1EEEEDaS1H_S1I_EUlS1H_E_NS1_11comp_targetILNS1_3genE8ELNS1_11target_archE1030ELNS1_3gpuE2ELNS1_3repE0EEENS1_30default_config_static_selectorELNS0_4arch9wavefront6targetE0EEEvSV_,@function
_ZN7rocprim17ROCPRIM_400000_NS6detail17trampoline_kernelINS0_13select_configILj256ELj13ELNS0_17block_load_methodE3ELS4_3ELS4_3ELNS0_20block_scan_algorithmE0ELj4294967295EEENS1_25partition_config_selectorILNS1_17partition_subalgoE3EjNS0_10empty_typeEbEEZZNS1_14partition_implILS8_3ELb0ES6_jNS0_17counting_iteratorIjlEEPS9_SE_NS0_5tupleIJPjSE_EEENSF_IJSE_SE_EEES9_SG_JZNS1_25segmented_radix_sort_implINS0_14default_configELb0EPKlPlSM_SN_N2at6native12_GLOBAL__N_18offset_tEEE10hipError_tPvRmT1_PNSt15iterator_traitsISV_E10value_typeET2_T3_PNSW_IS11_E10value_typeET4_jRbjT5_S17_jjP12ihipStream_tbEUljE_EEESS_ST_SU_S11_S15_S17_T6_T7_T9_mT8_S19_bDpT10_ENKUlT_T0_E_clISt17integral_constantIbLb0EES1L_IbLb1EEEEDaS1H_S1I_EUlS1H_E_NS1_11comp_targetILNS1_3genE8ELNS1_11target_archE1030ELNS1_3gpuE2ELNS1_3repE0EEENS1_30default_config_static_selectorELNS0_4arch9wavefront6targetE0EEEvSV_: ; @_ZN7rocprim17ROCPRIM_400000_NS6detail17trampoline_kernelINS0_13select_configILj256ELj13ELNS0_17block_load_methodE3ELS4_3ELS4_3ELNS0_20block_scan_algorithmE0ELj4294967295EEENS1_25partition_config_selectorILNS1_17partition_subalgoE3EjNS0_10empty_typeEbEEZZNS1_14partition_implILS8_3ELb0ES6_jNS0_17counting_iteratorIjlEEPS9_SE_NS0_5tupleIJPjSE_EEENSF_IJSE_SE_EEES9_SG_JZNS1_25segmented_radix_sort_implINS0_14default_configELb0EPKlPlSM_SN_N2at6native12_GLOBAL__N_18offset_tEEE10hipError_tPvRmT1_PNSt15iterator_traitsISV_E10value_typeET2_T3_PNSW_IS11_E10value_typeET4_jRbjT5_S17_jjP12ihipStream_tbEUljE_EEESS_ST_SU_S11_S15_S17_T6_T7_T9_mT8_S19_bDpT10_ENKUlT_T0_E_clISt17integral_constantIbLb0EES1L_IbLb1EEEEDaS1H_S1I_EUlS1H_E_NS1_11comp_targetILNS1_3genE8ELNS1_11target_archE1030ELNS1_3gpuE2ELNS1_3repE0EEENS1_30default_config_static_selectorELNS0_4arch9wavefront6targetE0EEEvSV_
; %bb.0:
	.section	.rodata,"a",@progbits
	.p2align	6, 0x0
	.amdhsa_kernel _ZN7rocprim17ROCPRIM_400000_NS6detail17trampoline_kernelINS0_13select_configILj256ELj13ELNS0_17block_load_methodE3ELS4_3ELS4_3ELNS0_20block_scan_algorithmE0ELj4294967295EEENS1_25partition_config_selectorILNS1_17partition_subalgoE3EjNS0_10empty_typeEbEEZZNS1_14partition_implILS8_3ELb0ES6_jNS0_17counting_iteratorIjlEEPS9_SE_NS0_5tupleIJPjSE_EEENSF_IJSE_SE_EEES9_SG_JZNS1_25segmented_radix_sort_implINS0_14default_configELb0EPKlPlSM_SN_N2at6native12_GLOBAL__N_18offset_tEEE10hipError_tPvRmT1_PNSt15iterator_traitsISV_E10value_typeET2_T3_PNSW_IS11_E10value_typeET4_jRbjT5_S17_jjP12ihipStream_tbEUljE_EEESS_ST_SU_S11_S15_S17_T6_T7_T9_mT8_S19_bDpT10_ENKUlT_T0_E_clISt17integral_constantIbLb0EES1L_IbLb1EEEEDaS1H_S1I_EUlS1H_E_NS1_11comp_targetILNS1_3genE8ELNS1_11target_archE1030ELNS1_3gpuE2ELNS1_3repE0EEENS1_30default_config_static_selectorELNS0_4arch9wavefront6targetE0EEEvSV_
		.amdhsa_group_segment_fixed_size 0
		.amdhsa_private_segment_fixed_size 0
		.amdhsa_kernarg_size 152
		.amdhsa_user_sgpr_count 15
		.amdhsa_user_sgpr_dispatch_ptr 0
		.amdhsa_user_sgpr_queue_ptr 0
		.amdhsa_user_sgpr_kernarg_segment_ptr 1
		.amdhsa_user_sgpr_dispatch_id 0
		.amdhsa_user_sgpr_private_segment_size 0
		.amdhsa_wavefront_size32 1
		.amdhsa_uses_dynamic_stack 0
		.amdhsa_enable_private_segment 0
		.amdhsa_system_sgpr_workgroup_id_x 1
		.amdhsa_system_sgpr_workgroup_id_y 0
		.amdhsa_system_sgpr_workgroup_id_z 0
		.amdhsa_system_sgpr_workgroup_info 0
		.amdhsa_system_vgpr_workitem_id 0
		.amdhsa_next_free_vgpr 1
		.amdhsa_next_free_sgpr 1
		.amdhsa_reserve_vcc 0
		.amdhsa_float_round_mode_32 0
		.amdhsa_float_round_mode_16_64 0
		.amdhsa_float_denorm_mode_32 3
		.amdhsa_float_denorm_mode_16_64 3
		.amdhsa_dx10_clamp 1
		.amdhsa_ieee_mode 1
		.amdhsa_fp16_overflow 0
		.amdhsa_workgroup_processor_mode 1
		.amdhsa_memory_ordered 1
		.amdhsa_forward_progress 0
		.amdhsa_shared_vgpr_count 0
		.amdhsa_exception_fp_ieee_invalid_op 0
		.amdhsa_exception_fp_denorm_src 0
		.amdhsa_exception_fp_ieee_div_zero 0
		.amdhsa_exception_fp_ieee_overflow 0
		.amdhsa_exception_fp_ieee_underflow 0
		.amdhsa_exception_fp_ieee_inexact 0
		.amdhsa_exception_int_div_zero 0
	.end_amdhsa_kernel
	.section	.text._ZN7rocprim17ROCPRIM_400000_NS6detail17trampoline_kernelINS0_13select_configILj256ELj13ELNS0_17block_load_methodE3ELS4_3ELS4_3ELNS0_20block_scan_algorithmE0ELj4294967295EEENS1_25partition_config_selectorILNS1_17partition_subalgoE3EjNS0_10empty_typeEbEEZZNS1_14partition_implILS8_3ELb0ES6_jNS0_17counting_iteratorIjlEEPS9_SE_NS0_5tupleIJPjSE_EEENSF_IJSE_SE_EEES9_SG_JZNS1_25segmented_radix_sort_implINS0_14default_configELb0EPKlPlSM_SN_N2at6native12_GLOBAL__N_18offset_tEEE10hipError_tPvRmT1_PNSt15iterator_traitsISV_E10value_typeET2_T3_PNSW_IS11_E10value_typeET4_jRbjT5_S17_jjP12ihipStream_tbEUljE_EEESS_ST_SU_S11_S15_S17_T6_T7_T9_mT8_S19_bDpT10_ENKUlT_T0_E_clISt17integral_constantIbLb0EES1L_IbLb1EEEEDaS1H_S1I_EUlS1H_E_NS1_11comp_targetILNS1_3genE8ELNS1_11target_archE1030ELNS1_3gpuE2ELNS1_3repE0EEENS1_30default_config_static_selectorELNS0_4arch9wavefront6targetE0EEEvSV_,"axG",@progbits,_ZN7rocprim17ROCPRIM_400000_NS6detail17trampoline_kernelINS0_13select_configILj256ELj13ELNS0_17block_load_methodE3ELS4_3ELS4_3ELNS0_20block_scan_algorithmE0ELj4294967295EEENS1_25partition_config_selectorILNS1_17partition_subalgoE3EjNS0_10empty_typeEbEEZZNS1_14partition_implILS8_3ELb0ES6_jNS0_17counting_iteratorIjlEEPS9_SE_NS0_5tupleIJPjSE_EEENSF_IJSE_SE_EEES9_SG_JZNS1_25segmented_radix_sort_implINS0_14default_configELb0EPKlPlSM_SN_N2at6native12_GLOBAL__N_18offset_tEEE10hipError_tPvRmT1_PNSt15iterator_traitsISV_E10value_typeET2_T3_PNSW_IS11_E10value_typeET4_jRbjT5_S17_jjP12ihipStream_tbEUljE_EEESS_ST_SU_S11_S15_S17_T6_T7_T9_mT8_S19_bDpT10_ENKUlT_T0_E_clISt17integral_constantIbLb0EES1L_IbLb1EEEEDaS1H_S1I_EUlS1H_E_NS1_11comp_targetILNS1_3genE8ELNS1_11target_archE1030ELNS1_3gpuE2ELNS1_3repE0EEENS1_30default_config_static_selectorELNS0_4arch9wavefront6targetE0EEEvSV_,comdat
.Lfunc_end806:
	.size	_ZN7rocprim17ROCPRIM_400000_NS6detail17trampoline_kernelINS0_13select_configILj256ELj13ELNS0_17block_load_methodE3ELS4_3ELS4_3ELNS0_20block_scan_algorithmE0ELj4294967295EEENS1_25partition_config_selectorILNS1_17partition_subalgoE3EjNS0_10empty_typeEbEEZZNS1_14partition_implILS8_3ELb0ES6_jNS0_17counting_iteratorIjlEEPS9_SE_NS0_5tupleIJPjSE_EEENSF_IJSE_SE_EEES9_SG_JZNS1_25segmented_radix_sort_implINS0_14default_configELb0EPKlPlSM_SN_N2at6native12_GLOBAL__N_18offset_tEEE10hipError_tPvRmT1_PNSt15iterator_traitsISV_E10value_typeET2_T3_PNSW_IS11_E10value_typeET4_jRbjT5_S17_jjP12ihipStream_tbEUljE_EEESS_ST_SU_S11_S15_S17_T6_T7_T9_mT8_S19_bDpT10_ENKUlT_T0_E_clISt17integral_constantIbLb0EES1L_IbLb1EEEEDaS1H_S1I_EUlS1H_E_NS1_11comp_targetILNS1_3genE8ELNS1_11target_archE1030ELNS1_3gpuE2ELNS1_3repE0EEENS1_30default_config_static_selectorELNS0_4arch9wavefront6targetE0EEEvSV_, .Lfunc_end806-_ZN7rocprim17ROCPRIM_400000_NS6detail17trampoline_kernelINS0_13select_configILj256ELj13ELNS0_17block_load_methodE3ELS4_3ELS4_3ELNS0_20block_scan_algorithmE0ELj4294967295EEENS1_25partition_config_selectorILNS1_17partition_subalgoE3EjNS0_10empty_typeEbEEZZNS1_14partition_implILS8_3ELb0ES6_jNS0_17counting_iteratorIjlEEPS9_SE_NS0_5tupleIJPjSE_EEENSF_IJSE_SE_EEES9_SG_JZNS1_25segmented_radix_sort_implINS0_14default_configELb0EPKlPlSM_SN_N2at6native12_GLOBAL__N_18offset_tEEE10hipError_tPvRmT1_PNSt15iterator_traitsISV_E10value_typeET2_T3_PNSW_IS11_E10value_typeET4_jRbjT5_S17_jjP12ihipStream_tbEUljE_EEESS_ST_SU_S11_S15_S17_T6_T7_T9_mT8_S19_bDpT10_ENKUlT_T0_E_clISt17integral_constantIbLb0EES1L_IbLb1EEEEDaS1H_S1I_EUlS1H_E_NS1_11comp_targetILNS1_3genE8ELNS1_11target_archE1030ELNS1_3gpuE2ELNS1_3repE0EEENS1_30default_config_static_selectorELNS0_4arch9wavefront6targetE0EEEvSV_
                                        ; -- End function
	.section	.AMDGPU.csdata,"",@progbits
; Kernel info:
; codeLenInByte = 0
; NumSgprs: 0
; NumVgprs: 0
; ScratchSize: 0
; MemoryBound: 0
; FloatMode: 240
; IeeeMode: 1
; LDSByteSize: 0 bytes/workgroup (compile time only)
; SGPRBlocks: 0
; VGPRBlocks: 0
; NumSGPRsForWavesPerEU: 1
; NumVGPRsForWavesPerEU: 1
; Occupancy: 16
; WaveLimiterHint : 0
; COMPUTE_PGM_RSRC2:SCRATCH_EN: 0
; COMPUTE_PGM_RSRC2:USER_SGPR: 15
; COMPUTE_PGM_RSRC2:TRAP_HANDLER: 0
; COMPUTE_PGM_RSRC2:TGID_X_EN: 1
; COMPUTE_PGM_RSRC2:TGID_Y_EN: 0
; COMPUTE_PGM_RSRC2:TGID_Z_EN: 0
; COMPUTE_PGM_RSRC2:TIDIG_COMP_CNT: 0
	.section	.text._ZN7rocprim17ROCPRIM_400000_NS6detail17trampoline_kernelINS0_14default_configENS1_36segmented_radix_sort_config_selectorIllEEZNS1_25segmented_radix_sort_implIS3_Lb0EPKlPlS8_S9_N2at6native12_GLOBAL__N_18offset_tEEE10hipError_tPvRmT1_PNSt15iterator_traitsISH_E10value_typeET2_T3_PNSI_ISN_E10value_typeET4_jRbjT5_ST_jjP12ihipStream_tbEUlT_E_NS1_11comp_targetILNS1_3genE0ELNS1_11target_archE4294967295ELNS1_3gpuE0ELNS1_3repE0EEENS1_30default_config_static_selectorELNS0_4arch9wavefront6targetE0EEEvSH_,"axG",@progbits,_ZN7rocprim17ROCPRIM_400000_NS6detail17trampoline_kernelINS0_14default_configENS1_36segmented_radix_sort_config_selectorIllEEZNS1_25segmented_radix_sort_implIS3_Lb0EPKlPlS8_S9_N2at6native12_GLOBAL__N_18offset_tEEE10hipError_tPvRmT1_PNSt15iterator_traitsISH_E10value_typeET2_T3_PNSI_ISN_E10value_typeET4_jRbjT5_ST_jjP12ihipStream_tbEUlT_E_NS1_11comp_targetILNS1_3genE0ELNS1_11target_archE4294967295ELNS1_3gpuE0ELNS1_3repE0EEENS1_30default_config_static_selectorELNS0_4arch9wavefront6targetE0EEEvSH_,comdat
	.globl	_ZN7rocprim17ROCPRIM_400000_NS6detail17trampoline_kernelINS0_14default_configENS1_36segmented_radix_sort_config_selectorIllEEZNS1_25segmented_radix_sort_implIS3_Lb0EPKlPlS8_S9_N2at6native12_GLOBAL__N_18offset_tEEE10hipError_tPvRmT1_PNSt15iterator_traitsISH_E10value_typeET2_T3_PNSI_ISN_E10value_typeET4_jRbjT5_ST_jjP12ihipStream_tbEUlT_E_NS1_11comp_targetILNS1_3genE0ELNS1_11target_archE4294967295ELNS1_3gpuE0ELNS1_3repE0EEENS1_30default_config_static_selectorELNS0_4arch9wavefront6targetE0EEEvSH_ ; -- Begin function _ZN7rocprim17ROCPRIM_400000_NS6detail17trampoline_kernelINS0_14default_configENS1_36segmented_radix_sort_config_selectorIllEEZNS1_25segmented_radix_sort_implIS3_Lb0EPKlPlS8_S9_N2at6native12_GLOBAL__N_18offset_tEEE10hipError_tPvRmT1_PNSt15iterator_traitsISH_E10value_typeET2_T3_PNSI_ISN_E10value_typeET4_jRbjT5_ST_jjP12ihipStream_tbEUlT_E_NS1_11comp_targetILNS1_3genE0ELNS1_11target_archE4294967295ELNS1_3gpuE0ELNS1_3repE0EEENS1_30default_config_static_selectorELNS0_4arch9wavefront6targetE0EEEvSH_
	.p2align	8
	.type	_ZN7rocprim17ROCPRIM_400000_NS6detail17trampoline_kernelINS0_14default_configENS1_36segmented_radix_sort_config_selectorIllEEZNS1_25segmented_radix_sort_implIS3_Lb0EPKlPlS8_S9_N2at6native12_GLOBAL__N_18offset_tEEE10hipError_tPvRmT1_PNSt15iterator_traitsISH_E10value_typeET2_T3_PNSI_ISN_E10value_typeET4_jRbjT5_ST_jjP12ihipStream_tbEUlT_E_NS1_11comp_targetILNS1_3genE0ELNS1_11target_archE4294967295ELNS1_3gpuE0ELNS1_3repE0EEENS1_30default_config_static_selectorELNS0_4arch9wavefront6targetE0EEEvSH_,@function
_ZN7rocprim17ROCPRIM_400000_NS6detail17trampoline_kernelINS0_14default_configENS1_36segmented_radix_sort_config_selectorIllEEZNS1_25segmented_radix_sort_implIS3_Lb0EPKlPlS8_S9_N2at6native12_GLOBAL__N_18offset_tEEE10hipError_tPvRmT1_PNSt15iterator_traitsISH_E10value_typeET2_T3_PNSI_ISN_E10value_typeET4_jRbjT5_ST_jjP12ihipStream_tbEUlT_E_NS1_11comp_targetILNS1_3genE0ELNS1_11target_archE4294967295ELNS1_3gpuE0ELNS1_3repE0EEENS1_30default_config_static_selectorELNS0_4arch9wavefront6targetE0EEEvSH_: ; @_ZN7rocprim17ROCPRIM_400000_NS6detail17trampoline_kernelINS0_14default_configENS1_36segmented_radix_sort_config_selectorIllEEZNS1_25segmented_radix_sort_implIS3_Lb0EPKlPlS8_S9_N2at6native12_GLOBAL__N_18offset_tEEE10hipError_tPvRmT1_PNSt15iterator_traitsISH_E10value_typeET2_T3_PNSI_ISN_E10value_typeET4_jRbjT5_ST_jjP12ihipStream_tbEUlT_E_NS1_11comp_targetILNS1_3genE0ELNS1_11target_archE4294967295ELNS1_3gpuE0ELNS1_3repE0EEENS1_30default_config_static_selectorELNS0_4arch9wavefront6targetE0EEEvSH_
; %bb.0:
	.section	.rodata,"a",@progbits
	.p2align	6, 0x0
	.amdhsa_kernel _ZN7rocprim17ROCPRIM_400000_NS6detail17trampoline_kernelINS0_14default_configENS1_36segmented_radix_sort_config_selectorIllEEZNS1_25segmented_radix_sort_implIS3_Lb0EPKlPlS8_S9_N2at6native12_GLOBAL__N_18offset_tEEE10hipError_tPvRmT1_PNSt15iterator_traitsISH_E10value_typeET2_T3_PNSI_ISN_E10value_typeET4_jRbjT5_ST_jjP12ihipStream_tbEUlT_E_NS1_11comp_targetILNS1_3genE0ELNS1_11target_archE4294967295ELNS1_3gpuE0ELNS1_3repE0EEENS1_30default_config_static_selectorELNS0_4arch9wavefront6targetE0EEEvSH_
		.amdhsa_group_segment_fixed_size 0
		.amdhsa_private_segment_fixed_size 0
		.amdhsa_kernarg_size 96
		.amdhsa_user_sgpr_count 15
		.amdhsa_user_sgpr_dispatch_ptr 0
		.amdhsa_user_sgpr_queue_ptr 0
		.amdhsa_user_sgpr_kernarg_segment_ptr 1
		.amdhsa_user_sgpr_dispatch_id 0
		.amdhsa_user_sgpr_private_segment_size 0
		.amdhsa_wavefront_size32 1
		.amdhsa_uses_dynamic_stack 0
		.amdhsa_enable_private_segment 0
		.amdhsa_system_sgpr_workgroup_id_x 1
		.amdhsa_system_sgpr_workgroup_id_y 0
		.amdhsa_system_sgpr_workgroup_id_z 0
		.amdhsa_system_sgpr_workgroup_info 0
		.amdhsa_system_vgpr_workitem_id 0
		.amdhsa_next_free_vgpr 1
		.amdhsa_next_free_sgpr 1
		.amdhsa_reserve_vcc 0
		.amdhsa_float_round_mode_32 0
		.amdhsa_float_round_mode_16_64 0
		.amdhsa_float_denorm_mode_32 3
		.amdhsa_float_denorm_mode_16_64 3
		.amdhsa_dx10_clamp 1
		.amdhsa_ieee_mode 1
		.amdhsa_fp16_overflow 0
		.amdhsa_workgroup_processor_mode 1
		.amdhsa_memory_ordered 1
		.amdhsa_forward_progress 0
		.amdhsa_shared_vgpr_count 0
		.amdhsa_exception_fp_ieee_invalid_op 0
		.amdhsa_exception_fp_denorm_src 0
		.amdhsa_exception_fp_ieee_div_zero 0
		.amdhsa_exception_fp_ieee_overflow 0
		.amdhsa_exception_fp_ieee_underflow 0
		.amdhsa_exception_fp_ieee_inexact 0
		.amdhsa_exception_int_div_zero 0
	.end_amdhsa_kernel
	.section	.text._ZN7rocprim17ROCPRIM_400000_NS6detail17trampoline_kernelINS0_14default_configENS1_36segmented_radix_sort_config_selectorIllEEZNS1_25segmented_radix_sort_implIS3_Lb0EPKlPlS8_S9_N2at6native12_GLOBAL__N_18offset_tEEE10hipError_tPvRmT1_PNSt15iterator_traitsISH_E10value_typeET2_T3_PNSI_ISN_E10value_typeET4_jRbjT5_ST_jjP12ihipStream_tbEUlT_E_NS1_11comp_targetILNS1_3genE0ELNS1_11target_archE4294967295ELNS1_3gpuE0ELNS1_3repE0EEENS1_30default_config_static_selectorELNS0_4arch9wavefront6targetE0EEEvSH_,"axG",@progbits,_ZN7rocprim17ROCPRIM_400000_NS6detail17trampoline_kernelINS0_14default_configENS1_36segmented_radix_sort_config_selectorIllEEZNS1_25segmented_radix_sort_implIS3_Lb0EPKlPlS8_S9_N2at6native12_GLOBAL__N_18offset_tEEE10hipError_tPvRmT1_PNSt15iterator_traitsISH_E10value_typeET2_T3_PNSI_ISN_E10value_typeET4_jRbjT5_ST_jjP12ihipStream_tbEUlT_E_NS1_11comp_targetILNS1_3genE0ELNS1_11target_archE4294967295ELNS1_3gpuE0ELNS1_3repE0EEENS1_30default_config_static_selectorELNS0_4arch9wavefront6targetE0EEEvSH_,comdat
.Lfunc_end807:
	.size	_ZN7rocprim17ROCPRIM_400000_NS6detail17trampoline_kernelINS0_14default_configENS1_36segmented_radix_sort_config_selectorIllEEZNS1_25segmented_radix_sort_implIS3_Lb0EPKlPlS8_S9_N2at6native12_GLOBAL__N_18offset_tEEE10hipError_tPvRmT1_PNSt15iterator_traitsISH_E10value_typeET2_T3_PNSI_ISN_E10value_typeET4_jRbjT5_ST_jjP12ihipStream_tbEUlT_E_NS1_11comp_targetILNS1_3genE0ELNS1_11target_archE4294967295ELNS1_3gpuE0ELNS1_3repE0EEENS1_30default_config_static_selectorELNS0_4arch9wavefront6targetE0EEEvSH_, .Lfunc_end807-_ZN7rocprim17ROCPRIM_400000_NS6detail17trampoline_kernelINS0_14default_configENS1_36segmented_radix_sort_config_selectorIllEEZNS1_25segmented_radix_sort_implIS3_Lb0EPKlPlS8_S9_N2at6native12_GLOBAL__N_18offset_tEEE10hipError_tPvRmT1_PNSt15iterator_traitsISH_E10value_typeET2_T3_PNSI_ISN_E10value_typeET4_jRbjT5_ST_jjP12ihipStream_tbEUlT_E_NS1_11comp_targetILNS1_3genE0ELNS1_11target_archE4294967295ELNS1_3gpuE0ELNS1_3repE0EEENS1_30default_config_static_selectorELNS0_4arch9wavefront6targetE0EEEvSH_
                                        ; -- End function
	.section	.AMDGPU.csdata,"",@progbits
; Kernel info:
; codeLenInByte = 0
; NumSgprs: 0
; NumVgprs: 0
; ScratchSize: 0
; MemoryBound: 0
; FloatMode: 240
; IeeeMode: 1
; LDSByteSize: 0 bytes/workgroup (compile time only)
; SGPRBlocks: 0
; VGPRBlocks: 0
; NumSGPRsForWavesPerEU: 1
; NumVGPRsForWavesPerEU: 1
; Occupancy: 16
; WaveLimiterHint : 0
; COMPUTE_PGM_RSRC2:SCRATCH_EN: 0
; COMPUTE_PGM_RSRC2:USER_SGPR: 15
; COMPUTE_PGM_RSRC2:TRAP_HANDLER: 0
; COMPUTE_PGM_RSRC2:TGID_X_EN: 1
; COMPUTE_PGM_RSRC2:TGID_Y_EN: 0
; COMPUTE_PGM_RSRC2:TGID_Z_EN: 0
; COMPUTE_PGM_RSRC2:TIDIG_COMP_CNT: 0
	.section	.text._ZN7rocprim17ROCPRIM_400000_NS6detail17trampoline_kernelINS0_14default_configENS1_36segmented_radix_sort_config_selectorIllEEZNS1_25segmented_radix_sort_implIS3_Lb0EPKlPlS8_S9_N2at6native12_GLOBAL__N_18offset_tEEE10hipError_tPvRmT1_PNSt15iterator_traitsISH_E10value_typeET2_T3_PNSI_ISN_E10value_typeET4_jRbjT5_ST_jjP12ihipStream_tbEUlT_E_NS1_11comp_targetILNS1_3genE5ELNS1_11target_archE942ELNS1_3gpuE9ELNS1_3repE0EEENS1_30default_config_static_selectorELNS0_4arch9wavefront6targetE0EEEvSH_,"axG",@progbits,_ZN7rocprim17ROCPRIM_400000_NS6detail17trampoline_kernelINS0_14default_configENS1_36segmented_radix_sort_config_selectorIllEEZNS1_25segmented_radix_sort_implIS3_Lb0EPKlPlS8_S9_N2at6native12_GLOBAL__N_18offset_tEEE10hipError_tPvRmT1_PNSt15iterator_traitsISH_E10value_typeET2_T3_PNSI_ISN_E10value_typeET4_jRbjT5_ST_jjP12ihipStream_tbEUlT_E_NS1_11comp_targetILNS1_3genE5ELNS1_11target_archE942ELNS1_3gpuE9ELNS1_3repE0EEENS1_30default_config_static_selectorELNS0_4arch9wavefront6targetE0EEEvSH_,comdat
	.globl	_ZN7rocprim17ROCPRIM_400000_NS6detail17trampoline_kernelINS0_14default_configENS1_36segmented_radix_sort_config_selectorIllEEZNS1_25segmented_radix_sort_implIS3_Lb0EPKlPlS8_S9_N2at6native12_GLOBAL__N_18offset_tEEE10hipError_tPvRmT1_PNSt15iterator_traitsISH_E10value_typeET2_T3_PNSI_ISN_E10value_typeET4_jRbjT5_ST_jjP12ihipStream_tbEUlT_E_NS1_11comp_targetILNS1_3genE5ELNS1_11target_archE942ELNS1_3gpuE9ELNS1_3repE0EEENS1_30default_config_static_selectorELNS0_4arch9wavefront6targetE0EEEvSH_ ; -- Begin function _ZN7rocprim17ROCPRIM_400000_NS6detail17trampoline_kernelINS0_14default_configENS1_36segmented_radix_sort_config_selectorIllEEZNS1_25segmented_radix_sort_implIS3_Lb0EPKlPlS8_S9_N2at6native12_GLOBAL__N_18offset_tEEE10hipError_tPvRmT1_PNSt15iterator_traitsISH_E10value_typeET2_T3_PNSI_ISN_E10value_typeET4_jRbjT5_ST_jjP12ihipStream_tbEUlT_E_NS1_11comp_targetILNS1_3genE5ELNS1_11target_archE942ELNS1_3gpuE9ELNS1_3repE0EEENS1_30default_config_static_selectorELNS0_4arch9wavefront6targetE0EEEvSH_
	.p2align	8
	.type	_ZN7rocprim17ROCPRIM_400000_NS6detail17trampoline_kernelINS0_14default_configENS1_36segmented_radix_sort_config_selectorIllEEZNS1_25segmented_radix_sort_implIS3_Lb0EPKlPlS8_S9_N2at6native12_GLOBAL__N_18offset_tEEE10hipError_tPvRmT1_PNSt15iterator_traitsISH_E10value_typeET2_T3_PNSI_ISN_E10value_typeET4_jRbjT5_ST_jjP12ihipStream_tbEUlT_E_NS1_11comp_targetILNS1_3genE5ELNS1_11target_archE942ELNS1_3gpuE9ELNS1_3repE0EEENS1_30default_config_static_selectorELNS0_4arch9wavefront6targetE0EEEvSH_,@function
_ZN7rocprim17ROCPRIM_400000_NS6detail17trampoline_kernelINS0_14default_configENS1_36segmented_radix_sort_config_selectorIllEEZNS1_25segmented_radix_sort_implIS3_Lb0EPKlPlS8_S9_N2at6native12_GLOBAL__N_18offset_tEEE10hipError_tPvRmT1_PNSt15iterator_traitsISH_E10value_typeET2_T3_PNSI_ISN_E10value_typeET4_jRbjT5_ST_jjP12ihipStream_tbEUlT_E_NS1_11comp_targetILNS1_3genE5ELNS1_11target_archE942ELNS1_3gpuE9ELNS1_3repE0EEENS1_30default_config_static_selectorELNS0_4arch9wavefront6targetE0EEEvSH_: ; @_ZN7rocprim17ROCPRIM_400000_NS6detail17trampoline_kernelINS0_14default_configENS1_36segmented_radix_sort_config_selectorIllEEZNS1_25segmented_radix_sort_implIS3_Lb0EPKlPlS8_S9_N2at6native12_GLOBAL__N_18offset_tEEE10hipError_tPvRmT1_PNSt15iterator_traitsISH_E10value_typeET2_T3_PNSI_ISN_E10value_typeET4_jRbjT5_ST_jjP12ihipStream_tbEUlT_E_NS1_11comp_targetILNS1_3genE5ELNS1_11target_archE942ELNS1_3gpuE9ELNS1_3repE0EEENS1_30default_config_static_selectorELNS0_4arch9wavefront6targetE0EEEvSH_
; %bb.0:
	.section	.rodata,"a",@progbits
	.p2align	6, 0x0
	.amdhsa_kernel _ZN7rocprim17ROCPRIM_400000_NS6detail17trampoline_kernelINS0_14default_configENS1_36segmented_radix_sort_config_selectorIllEEZNS1_25segmented_radix_sort_implIS3_Lb0EPKlPlS8_S9_N2at6native12_GLOBAL__N_18offset_tEEE10hipError_tPvRmT1_PNSt15iterator_traitsISH_E10value_typeET2_T3_PNSI_ISN_E10value_typeET4_jRbjT5_ST_jjP12ihipStream_tbEUlT_E_NS1_11comp_targetILNS1_3genE5ELNS1_11target_archE942ELNS1_3gpuE9ELNS1_3repE0EEENS1_30default_config_static_selectorELNS0_4arch9wavefront6targetE0EEEvSH_
		.amdhsa_group_segment_fixed_size 0
		.amdhsa_private_segment_fixed_size 0
		.amdhsa_kernarg_size 96
		.amdhsa_user_sgpr_count 15
		.amdhsa_user_sgpr_dispatch_ptr 0
		.amdhsa_user_sgpr_queue_ptr 0
		.amdhsa_user_sgpr_kernarg_segment_ptr 1
		.amdhsa_user_sgpr_dispatch_id 0
		.amdhsa_user_sgpr_private_segment_size 0
		.amdhsa_wavefront_size32 1
		.amdhsa_uses_dynamic_stack 0
		.amdhsa_enable_private_segment 0
		.amdhsa_system_sgpr_workgroup_id_x 1
		.amdhsa_system_sgpr_workgroup_id_y 0
		.amdhsa_system_sgpr_workgroup_id_z 0
		.amdhsa_system_sgpr_workgroup_info 0
		.amdhsa_system_vgpr_workitem_id 0
		.amdhsa_next_free_vgpr 1
		.amdhsa_next_free_sgpr 1
		.amdhsa_reserve_vcc 0
		.amdhsa_float_round_mode_32 0
		.amdhsa_float_round_mode_16_64 0
		.amdhsa_float_denorm_mode_32 3
		.amdhsa_float_denorm_mode_16_64 3
		.amdhsa_dx10_clamp 1
		.amdhsa_ieee_mode 1
		.amdhsa_fp16_overflow 0
		.amdhsa_workgroup_processor_mode 1
		.amdhsa_memory_ordered 1
		.amdhsa_forward_progress 0
		.amdhsa_shared_vgpr_count 0
		.amdhsa_exception_fp_ieee_invalid_op 0
		.amdhsa_exception_fp_denorm_src 0
		.amdhsa_exception_fp_ieee_div_zero 0
		.amdhsa_exception_fp_ieee_overflow 0
		.amdhsa_exception_fp_ieee_underflow 0
		.amdhsa_exception_fp_ieee_inexact 0
		.amdhsa_exception_int_div_zero 0
	.end_amdhsa_kernel
	.section	.text._ZN7rocprim17ROCPRIM_400000_NS6detail17trampoline_kernelINS0_14default_configENS1_36segmented_radix_sort_config_selectorIllEEZNS1_25segmented_radix_sort_implIS3_Lb0EPKlPlS8_S9_N2at6native12_GLOBAL__N_18offset_tEEE10hipError_tPvRmT1_PNSt15iterator_traitsISH_E10value_typeET2_T3_PNSI_ISN_E10value_typeET4_jRbjT5_ST_jjP12ihipStream_tbEUlT_E_NS1_11comp_targetILNS1_3genE5ELNS1_11target_archE942ELNS1_3gpuE9ELNS1_3repE0EEENS1_30default_config_static_selectorELNS0_4arch9wavefront6targetE0EEEvSH_,"axG",@progbits,_ZN7rocprim17ROCPRIM_400000_NS6detail17trampoline_kernelINS0_14default_configENS1_36segmented_radix_sort_config_selectorIllEEZNS1_25segmented_radix_sort_implIS3_Lb0EPKlPlS8_S9_N2at6native12_GLOBAL__N_18offset_tEEE10hipError_tPvRmT1_PNSt15iterator_traitsISH_E10value_typeET2_T3_PNSI_ISN_E10value_typeET4_jRbjT5_ST_jjP12ihipStream_tbEUlT_E_NS1_11comp_targetILNS1_3genE5ELNS1_11target_archE942ELNS1_3gpuE9ELNS1_3repE0EEENS1_30default_config_static_selectorELNS0_4arch9wavefront6targetE0EEEvSH_,comdat
.Lfunc_end808:
	.size	_ZN7rocprim17ROCPRIM_400000_NS6detail17trampoline_kernelINS0_14default_configENS1_36segmented_radix_sort_config_selectorIllEEZNS1_25segmented_radix_sort_implIS3_Lb0EPKlPlS8_S9_N2at6native12_GLOBAL__N_18offset_tEEE10hipError_tPvRmT1_PNSt15iterator_traitsISH_E10value_typeET2_T3_PNSI_ISN_E10value_typeET4_jRbjT5_ST_jjP12ihipStream_tbEUlT_E_NS1_11comp_targetILNS1_3genE5ELNS1_11target_archE942ELNS1_3gpuE9ELNS1_3repE0EEENS1_30default_config_static_selectorELNS0_4arch9wavefront6targetE0EEEvSH_, .Lfunc_end808-_ZN7rocprim17ROCPRIM_400000_NS6detail17trampoline_kernelINS0_14default_configENS1_36segmented_radix_sort_config_selectorIllEEZNS1_25segmented_radix_sort_implIS3_Lb0EPKlPlS8_S9_N2at6native12_GLOBAL__N_18offset_tEEE10hipError_tPvRmT1_PNSt15iterator_traitsISH_E10value_typeET2_T3_PNSI_ISN_E10value_typeET4_jRbjT5_ST_jjP12ihipStream_tbEUlT_E_NS1_11comp_targetILNS1_3genE5ELNS1_11target_archE942ELNS1_3gpuE9ELNS1_3repE0EEENS1_30default_config_static_selectorELNS0_4arch9wavefront6targetE0EEEvSH_
                                        ; -- End function
	.section	.AMDGPU.csdata,"",@progbits
; Kernel info:
; codeLenInByte = 0
; NumSgprs: 0
; NumVgprs: 0
; ScratchSize: 0
; MemoryBound: 0
; FloatMode: 240
; IeeeMode: 1
; LDSByteSize: 0 bytes/workgroup (compile time only)
; SGPRBlocks: 0
; VGPRBlocks: 0
; NumSGPRsForWavesPerEU: 1
; NumVGPRsForWavesPerEU: 1
; Occupancy: 16
; WaveLimiterHint : 0
; COMPUTE_PGM_RSRC2:SCRATCH_EN: 0
; COMPUTE_PGM_RSRC2:USER_SGPR: 15
; COMPUTE_PGM_RSRC2:TRAP_HANDLER: 0
; COMPUTE_PGM_RSRC2:TGID_X_EN: 1
; COMPUTE_PGM_RSRC2:TGID_Y_EN: 0
; COMPUTE_PGM_RSRC2:TGID_Z_EN: 0
; COMPUTE_PGM_RSRC2:TIDIG_COMP_CNT: 0
	.section	.text._ZN7rocprim17ROCPRIM_400000_NS6detail17trampoline_kernelINS0_14default_configENS1_36segmented_radix_sort_config_selectorIllEEZNS1_25segmented_radix_sort_implIS3_Lb0EPKlPlS8_S9_N2at6native12_GLOBAL__N_18offset_tEEE10hipError_tPvRmT1_PNSt15iterator_traitsISH_E10value_typeET2_T3_PNSI_ISN_E10value_typeET4_jRbjT5_ST_jjP12ihipStream_tbEUlT_E_NS1_11comp_targetILNS1_3genE4ELNS1_11target_archE910ELNS1_3gpuE8ELNS1_3repE0EEENS1_30default_config_static_selectorELNS0_4arch9wavefront6targetE0EEEvSH_,"axG",@progbits,_ZN7rocprim17ROCPRIM_400000_NS6detail17trampoline_kernelINS0_14default_configENS1_36segmented_radix_sort_config_selectorIllEEZNS1_25segmented_radix_sort_implIS3_Lb0EPKlPlS8_S9_N2at6native12_GLOBAL__N_18offset_tEEE10hipError_tPvRmT1_PNSt15iterator_traitsISH_E10value_typeET2_T3_PNSI_ISN_E10value_typeET4_jRbjT5_ST_jjP12ihipStream_tbEUlT_E_NS1_11comp_targetILNS1_3genE4ELNS1_11target_archE910ELNS1_3gpuE8ELNS1_3repE0EEENS1_30default_config_static_selectorELNS0_4arch9wavefront6targetE0EEEvSH_,comdat
	.globl	_ZN7rocprim17ROCPRIM_400000_NS6detail17trampoline_kernelINS0_14default_configENS1_36segmented_radix_sort_config_selectorIllEEZNS1_25segmented_radix_sort_implIS3_Lb0EPKlPlS8_S9_N2at6native12_GLOBAL__N_18offset_tEEE10hipError_tPvRmT1_PNSt15iterator_traitsISH_E10value_typeET2_T3_PNSI_ISN_E10value_typeET4_jRbjT5_ST_jjP12ihipStream_tbEUlT_E_NS1_11comp_targetILNS1_3genE4ELNS1_11target_archE910ELNS1_3gpuE8ELNS1_3repE0EEENS1_30default_config_static_selectorELNS0_4arch9wavefront6targetE0EEEvSH_ ; -- Begin function _ZN7rocprim17ROCPRIM_400000_NS6detail17trampoline_kernelINS0_14default_configENS1_36segmented_radix_sort_config_selectorIllEEZNS1_25segmented_radix_sort_implIS3_Lb0EPKlPlS8_S9_N2at6native12_GLOBAL__N_18offset_tEEE10hipError_tPvRmT1_PNSt15iterator_traitsISH_E10value_typeET2_T3_PNSI_ISN_E10value_typeET4_jRbjT5_ST_jjP12ihipStream_tbEUlT_E_NS1_11comp_targetILNS1_3genE4ELNS1_11target_archE910ELNS1_3gpuE8ELNS1_3repE0EEENS1_30default_config_static_selectorELNS0_4arch9wavefront6targetE0EEEvSH_
	.p2align	8
	.type	_ZN7rocprim17ROCPRIM_400000_NS6detail17trampoline_kernelINS0_14default_configENS1_36segmented_radix_sort_config_selectorIllEEZNS1_25segmented_radix_sort_implIS3_Lb0EPKlPlS8_S9_N2at6native12_GLOBAL__N_18offset_tEEE10hipError_tPvRmT1_PNSt15iterator_traitsISH_E10value_typeET2_T3_PNSI_ISN_E10value_typeET4_jRbjT5_ST_jjP12ihipStream_tbEUlT_E_NS1_11comp_targetILNS1_3genE4ELNS1_11target_archE910ELNS1_3gpuE8ELNS1_3repE0EEENS1_30default_config_static_selectorELNS0_4arch9wavefront6targetE0EEEvSH_,@function
_ZN7rocprim17ROCPRIM_400000_NS6detail17trampoline_kernelINS0_14default_configENS1_36segmented_radix_sort_config_selectorIllEEZNS1_25segmented_radix_sort_implIS3_Lb0EPKlPlS8_S9_N2at6native12_GLOBAL__N_18offset_tEEE10hipError_tPvRmT1_PNSt15iterator_traitsISH_E10value_typeET2_T3_PNSI_ISN_E10value_typeET4_jRbjT5_ST_jjP12ihipStream_tbEUlT_E_NS1_11comp_targetILNS1_3genE4ELNS1_11target_archE910ELNS1_3gpuE8ELNS1_3repE0EEENS1_30default_config_static_selectorELNS0_4arch9wavefront6targetE0EEEvSH_: ; @_ZN7rocprim17ROCPRIM_400000_NS6detail17trampoline_kernelINS0_14default_configENS1_36segmented_radix_sort_config_selectorIllEEZNS1_25segmented_radix_sort_implIS3_Lb0EPKlPlS8_S9_N2at6native12_GLOBAL__N_18offset_tEEE10hipError_tPvRmT1_PNSt15iterator_traitsISH_E10value_typeET2_T3_PNSI_ISN_E10value_typeET4_jRbjT5_ST_jjP12ihipStream_tbEUlT_E_NS1_11comp_targetILNS1_3genE4ELNS1_11target_archE910ELNS1_3gpuE8ELNS1_3repE0EEENS1_30default_config_static_selectorELNS0_4arch9wavefront6targetE0EEEvSH_
; %bb.0:
	.section	.rodata,"a",@progbits
	.p2align	6, 0x0
	.amdhsa_kernel _ZN7rocprim17ROCPRIM_400000_NS6detail17trampoline_kernelINS0_14default_configENS1_36segmented_radix_sort_config_selectorIllEEZNS1_25segmented_radix_sort_implIS3_Lb0EPKlPlS8_S9_N2at6native12_GLOBAL__N_18offset_tEEE10hipError_tPvRmT1_PNSt15iterator_traitsISH_E10value_typeET2_T3_PNSI_ISN_E10value_typeET4_jRbjT5_ST_jjP12ihipStream_tbEUlT_E_NS1_11comp_targetILNS1_3genE4ELNS1_11target_archE910ELNS1_3gpuE8ELNS1_3repE0EEENS1_30default_config_static_selectorELNS0_4arch9wavefront6targetE0EEEvSH_
		.amdhsa_group_segment_fixed_size 0
		.amdhsa_private_segment_fixed_size 0
		.amdhsa_kernarg_size 96
		.amdhsa_user_sgpr_count 15
		.amdhsa_user_sgpr_dispatch_ptr 0
		.amdhsa_user_sgpr_queue_ptr 0
		.amdhsa_user_sgpr_kernarg_segment_ptr 1
		.amdhsa_user_sgpr_dispatch_id 0
		.amdhsa_user_sgpr_private_segment_size 0
		.amdhsa_wavefront_size32 1
		.amdhsa_uses_dynamic_stack 0
		.amdhsa_enable_private_segment 0
		.amdhsa_system_sgpr_workgroup_id_x 1
		.amdhsa_system_sgpr_workgroup_id_y 0
		.amdhsa_system_sgpr_workgroup_id_z 0
		.amdhsa_system_sgpr_workgroup_info 0
		.amdhsa_system_vgpr_workitem_id 0
		.amdhsa_next_free_vgpr 1
		.amdhsa_next_free_sgpr 1
		.amdhsa_reserve_vcc 0
		.amdhsa_float_round_mode_32 0
		.amdhsa_float_round_mode_16_64 0
		.amdhsa_float_denorm_mode_32 3
		.amdhsa_float_denorm_mode_16_64 3
		.amdhsa_dx10_clamp 1
		.amdhsa_ieee_mode 1
		.amdhsa_fp16_overflow 0
		.amdhsa_workgroup_processor_mode 1
		.amdhsa_memory_ordered 1
		.amdhsa_forward_progress 0
		.amdhsa_shared_vgpr_count 0
		.amdhsa_exception_fp_ieee_invalid_op 0
		.amdhsa_exception_fp_denorm_src 0
		.amdhsa_exception_fp_ieee_div_zero 0
		.amdhsa_exception_fp_ieee_overflow 0
		.amdhsa_exception_fp_ieee_underflow 0
		.amdhsa_exception_fp_ieee_inexact 0
		.amdhsa_exception_int_div_zero 0
	.end_amdhsa_kernel
	.section	.text._ZN7rocprim17ROCPRIM_400000_NS6detail17trampoline_kernelINS0_14default_configENS1_36segmented_radix_sort_config_selectorIllEEZNS1_25segmented_radix_sort_implIS3_Lb0EPKlPlS8_S9_N2at6native12_GLOBAL__N_18offset_tEEE10hipError_tPvRmT1_PNSt15iterator_traitsISH_E10value_typeET2_T3_PNSI_ISN_E10value_typeET4_jRbjT5_ST_jjP12ihipStream_tbEUlT_E_NS1_11comp_targetILNS1_3genE4ELNS1_11target_archE910ELNS1_3gpuE8ELNS1_3repE0EEENS1_30default_config_static_selectorELNS0_4arch9wavefront6targetE0EEEvSH_,"axG",@progbits,_ZN7rocprim17ROCPRIM_400000_NS6detail17trampoline_kernelINS0_14default_configENS1_36segmented_radix_sort_config_selectorIllEEZNS1_25segmented_radix_sort_implIS3_Lb0EPKlPlS8_S9_N2at6native12_GLOBAL__N_18offset_tEEE10hipError_tPvRmT1_PNSt15iterator_traitsISH_E10value_typeET2_T3_PNSI_ISN_E10value_typeET4_jRbjT5_ST_jjP12ihipStream_tbEUlT_E_NS1_11comp_targetILNS1_3genE4ELNS1_11target_archE910ELNS1_3gpuE8ELNS1_3repE0EEENS1_30default_config_static_selectorELNS0_4arch9wavefront6targetE0EEEvSH_,comdat
.Lfunc_end809:
	.size	_ZN7rocprim17ROCPRIM_400000_NS6detail17trampoline_kernelINS0_14default_configENS1_36segmented_radix_sort_config_selectorIllEEZNS1_25segmented_radix_sort_implIS3_Lb0EPKlPlS8_S9_N2at6native12_GLOBAL__N_18offset_tEEE10hipError_tPvRmT1_PNSt15iterator_traitsISH_E10value_typeET2_T3_PNSI_ISN_E10value_typeET4_jRbjT5_ST_jjP12ihipStream_tbEUlT_E_NS1_11comp_targetILNS1_3genE4ELNS1_11target_archE910ELNS1_3gpuE8ELNS1_3repE0EEENS1_30default_config_static_selectorELNS0_4arch9wavefront6targetE0EEEvSH_, .Lfunc_end809-_ZN7rocprim17ROCPRIM_400000_NS6detail17trampoline_kernelINS0_14default_configENS1_36segmented_radix_sort_config_selectorIllEEZNS1_25segmented_radix_sort_implIS3_Lb0EPKlPlS8_S9_N2at6native12_GLOBAL__N_18offset_tEEE10hipError_tPvRmT1_PNSt15iterator_traitsISH_E10value_typeET2_T3_PNSI_ISN_E10value_typeET4_jRbjT5_ST_jjP12ihipStream_tbEUlT_E_NS1_11comp_targetILNS1_3genE4ELNS1_11target_archE910ELNS1_3gpuE8ELNS1_3repE0EEENS1_30default_config_static_selectorELNS0_4arch9wavefront6targetE0EEEvSH_
                                        ; -- End function
	.section	.AMDGPU.csdata,"",@progbits
; Kernel info:
; codeLenInByte = 0
; NumSgprs: 0
; NumVgprs: 0
; ScratchSize: 0
; MemoryBound: 0
; FloatMode: 240
; IeeeMode: 1
; LDSByteSize: 0 bytes/workgroup (compile time only)
; SGPRBlocks: 0
; VGPRBlocks: 0
; NumSGPRsForWavesPerEU: 1
; NumVGPRsForWavesPerEU: 1
; Occupancy: 16
; WaveLimiterHint : 0
; COMPUTE_PGM_RSRC2:SCRATCH_EN: 0
; COMPUTE_PGM_RSRC2:USER_SGPR: 15
; COMPUTE_PGM_RSRC2:TRAP_HANDLER: 0
; COMPUTE_PGM_RSRC2:TGID_X_EN: 1
; COMPUTE_PGM_RSRC2:TGID_Y_EN: 0
; COMPUTE_PGM_RSRC2:TGID_Z_EN: 0
; COMPUTE_PGM_RSRC2:TIDIG_COMP_CNT: 0
	.section	.text._ZN7rocprim17ROCPRIM_400000_NS6detail17trampoline_kernelINS0_14default_configENS1_36segmented_radix_sort_config_selectorIllEEZNS1_25segmented_radix_sort_implIS3_Lb0EPKlPlS8_S9_N2at6native12_GLOBAL__N_18offset_tEEE10hipError_tPvRmT1_PNSt15iterator_traitsISH_E10value_typeET2_T3_PNSI_ISN_E10value_typeET4_jRbjT5_ST_jjP12ihipStream_tbEUlT_E_NS1_11comp_targetILNS1_3genE3ELNS1_11target_archE908ELNS1_3gpuE7ELNS1_3repE0EEENS1_30default_config_static_selectorELNS0_4arch9wavefront6targetE0EEEvSH_,"axG",@progbits,_ZN7rocprim17ROCPRIM_400000_NS6detail17trampoline_kernelINS0_14default_configENS1_36segmented_radix_sort_config_selectorIllEEZNS1_25segmented_radix_sort_implIS3_Lb0EPKlPlS8_S9_N2at6native12_GLOBAL__N_18offset_tEEE10hipError_tPvRmT1_PNSt15iterator_traitsISH_E10value_typeET2_T3_PNSI_ISN_E10value_typeET4_jRbjT5_ST_jjP12ihipStream_tbEUlT_E_NS1_11comp_targetILNS1_3genE3ELNS1_11target_archE908ELNS1_3gpuE7ELNS1_3repE0EEENS1_30default_config_static_selectorELNS0_4arch9wavefront6targetE0EEEvSH_,comdat
	.globl	_ZN7rocprim17ROCPRIM_400000_NS6detail17trampoline_kernelINS0_14default_configENS1_36segmented_radix_sort_config_selectorIllEEZNS1_25segmented_radix_sort_implIS3_Lb0EPKlPlS8_S9_N2at6native12_GLOBAL__N_18offset_tEEE10hipError_tPvRmT1_PNSt15iterator_traitsISH_E10value_typeET2_T3_PNSI_ISN_E10value_typeET4_jRbjT5_ST_jjP12ihipStream_tbEUlT_E_NS1_11comp_targetILNS1_3genE3ELNS1_11target_archE908ELNS1_3gpuE7ELNS1_3repE0EEENS1_30default_config_static_selectorELNS0_4arch9wavefront6targetE0EEEvSH_ ; -- Begin function _ZN7rocprim17ROCPRIM_400000_NS6detail17trampoline_kernelINS0_14default_configENS1_36segmented_radix_sort_config_selectorIllEEZNS1_25segmented_radix_sort_implIS3_Lb0EPKlPlS8_S9_N2at6native12_GLOBAL__N_18offset_tEEE10hipError_tPvRmT1_PNSt15iterator_traitsISH_E10value_typeET2_T3_PNSI_ISN_E10value_typeET4_jRbjT5_ST_jjP12ihipStream_tbEUlT_E_NS1_11comp_targetILNS1_3genE3ELNS1_11target_archE908ELNS1_3gpuE7ELNS1_3repE0EEENS1_30default_config_static_selectorELNS0_4arch9wavefront6targetE0EEEvSH_
	.p2align	8
	.type	_ZN7rocprim17ROCPRIM_400000_NS6detail17trampoline_kernelINS0_14default_configENS1_36segmented_radix_sort_config_selectorIllEEZNS1_25segmented_radix_sort_implIS3_Lb0EPKlPlS8_S9_N2at6native12_GLOBAL__N_18offset_tEEE10hipError_tPvRmT1_PNSt15iterator_traitsISH_E10value_typeET2_T3_PNSI_ISN_E10value_typeET4_jRbjT5_ST_jjP12ihipStream_tbEUlT_E_NS1_11comp_targetILNS1_3genE3ELNS1_11target_archE908ELNS1_3gpuE7ELNS1_3repE0EEENS1_30default_config_static_selectorELNS0_4arch9wavefront6targetE0EEEvSH_,@function
_ZN7rocprim17ROCPRIM_400000_NS6detail17trampoline_kernelINS0_14default_configENS1_36segmented_radix_sort_config_selectorIllEEZNS1_25segmented_radix_sort_implIS3_Lb0EPKlPlS8_S9_N2at6native12_GLOBAL__N_18offset_tEEE10hipError_tPvRmT1_PNSt15iterator_traitsISH_E10value_typeET2_T3_PNSI_ISN_E10value_typeET4_jRbjT5_ST_jjP12ihipStream_tbEUlT_E_NS1_11comp_targetILNS1_3genE3ELNS1_11target_archE908ELNS1_3gpuE7ELNS1_3repE0EEENS1_30default_config_static_selectorELNS0_4arch9wavefront6targetE0EEEvSH_: ; @_ZN7rocprim17ROCPRIM_400000_NS6detail17trampoline_kernelINS0_14default_configENS1_36segmented_radix_sort_config_selectorIllEEZNS1_25segmented_radix_sort_implIS3_Lb0EPKlPlS8_S9_N2at6native12_GLOBAL__N_18offset_tEEE10hipError_tPvRmT1_PNSt15iterator_traitsISH_E10value_typeET2_T3_PNSI_ISN_E10value_typeET4_jRbjT5_ST_jjP12ihipStream_tbEUlT_E_NS1_11comp_targetILNS1_3genE3ELNS1_11target_archE908ELNS1_3gpuE7ELNS1_3repE0EEENS1_30default_config_static_selectorELNS0_4arch9wavefront6targetE0EEEvSH_
; %bb.0:
	.section	.rodata,"a",@progbits
	.p2align	6, 0x0
	.amdhsa_kernel _ZN7rocprim17ROCPRIM_400000_NS6detail17trampoline_kernelINS0_14default_configENS1_36segmented_radix_sort_config_selectorIllEEZNS1_25segmented_radix_sort_implIS3_Lb0EPKlPlS8_S9_N2at6native12_GLOBAL__N_18offset_tEEE10hipError_tPvRmT1_PNSt15iterator_traitsISH_E10value_typeET2_T3_PNSI_ISN_E10value_typeET4_jRbjT5_ST_jjP12ihipStream_tbEUlT_E_NS1_11comp_targetILNS1_3genE3ELNS1_11target_archE908ELNS1_3gpuE7ELNS1_3repE0EEENS1_30default_config_static_selectorELNS0_4arch9wavefront6targetE0EEEvSH_
		.amdhsa_group_segment_fixed_size 0
		.amdhsa_private_segment_fixed_size 0
		.amdhsa_kernarg_size 96
		.amdhsa_user_sgpr_count 15
		.amdhsa_user_sgpr_dispatch_ptr 0
		.amdhsa_user_sgpr_queue_ptr 0
		.amdhsa_user_sgpr_kernarg_segment_ptr 1
		.amdhsa_user_sgpr_dispatch_id 0
		.amdhsa_user_sgpr_private_segment_size 0
		.amdhsa_wavefront_size32 1
		.amdhsa_uses_dynamic_stack 0
		.amdhsa_enable_private_segment 0
		.amdhsa_system_sgpr_workgroup_id_x 1
		.amdhsa_system_sgpr_workgroup_id_y 0
		.amdhsa_system_sgpr_workgroup_id_z 0
		.amdhsa_system_sgpr_workgroup_info 0
		.amdhsa_system_vgpr_workitem_id 0
		.amdhsa_next_free_vgpr 1
		.amdhsa_next_free_sgpr 1
		.amdhsa_reserve_vcc 0
		.amdhsa_float_round_mode_32 0
		.amdhsa_float_round_mode_16_64 0
		.amdhsa_float_denorm_mode_32 3
		.amdhsa_float_denorm_mode_16_64 3
		.amdhsa_dx10_clamp 1
		.amdhsa_ieee_mode 1
		.amdhsa_fp16_overflow 0
		.amdhsa_workgroup_processor_mode 1
		.amdhsa_memory_ordered 1
		.amdhsa_forward_progress 0
		.amdhsa_shared_vgpr_count 0
		.amdhsa_exception_fp_ieee_invalid_op 0
		.amdhsa_exception_fp_denorm_src 0
		.amdhsa_exception_fp_ieee_div_zero 0
		.amdhsa_exception_fp_ieee_overflow 0
		.amdhsa_exception_fp_ieee_underflow 0
		.amdhsa_exception_fp_ieee_inexact 0
		.amdhsa_exception_int_div_zero 0
	.end_amdhsa_kernel
	.section	.text._ZN7rocprim17ROCPRIM_400000_NS6detail17trampoline_kernelINS0_14default_configENS1_36segmented_radix_sort_config_selectorIllEEZNS1_25segmented_radix_sort_implIS3_Lb0EPKlPlS8_S9_N2at6native12_GLOBAL__N_18offset_tEEE10hipError_tPvRmT1_PNSt15iterator_traitsISH_E10value_typeET2_T3_PNSI_ISN_E10value_typeET4_jRbjT5_ST_jjP12ihipStream_tbEUlT_E_NS1_11comp_targetILNS1_3genE3ELNS1_11target_archE908ELNS1_3gpuE7ELNS1_3repE0EEENS1_30default_config_static_selectorELNS0_4arch9wavefront6targetE0EEEvSH_,"axG",@progbits,_ZN7rocprim17ROCPRIM_400000_NS6detail17trampoline_kernelINS0_14default_configENS1_36segmented_radix_sort_config_selectorIllEEZNS1_25segmented_radix_sort_implIS3_Lb0EPKlPlS8_S9_N2at6native12_GLOBAL__N_18offset_tEEE10hipError_tPvRmT1_PNSt15iterator_traitsISH_E10value_typeET2_T3_PNSI_ISN_E10value_typeET4_jRbjT5_ST_jjP12ihipStream_tbEUlT_E_NS1_11comp_targetILNS1_3genE3ELNS1_11target_archE908ELNS1_3gpuE7ELNS1_3repE0EEENS1_30default_config_static_selectorELNS0_4arch9wavefront6targetE0EEEvSH_,comdat
.Lfunc_end810:
	.size	_ZN7rocprim17ROCPRIM_400000_NS6detail17trampoline_kernelINS0_14default_configENS1_36segmented_radix_sort_config_selectorIllEEZNS1_25segmented_radix_sort_implIS3_Lb0EPKlPlS8_S9_N2at6native12_GLOBAL__N_18offset_tEEE10hipError_tPvRmT1_PNSt15iterator_traitsISH_E10value_typeET2_T3_PNSI_ISN_E10value_typeET4_jRbjT5_ST_jjP12ihipStream_tbEUlT_E_NS1_11comp_targetILNS1_3genE3ELNS1_11target_archE908ELNS1_3gpuE7ELNS1_3repE0EEENS1_30default_config_static_selectorELNS0_4arch9wavefront6targetE0EEEvSH_, .Lfunc_end810-_ZN7rocprim17ROCPRIM_400000_NS6detail17trampoline_kernelINS0_14default_configENS1_36segmented_radix_sort_config_selectorIllEEZNS1_25segmented_radix_sort_implIS3_Lb0EPKlPlS8_S9_N2at6native12_GLOBAL__N_18offset_tEEE10hipError_tPvRmT1_PNSt15iterator_traitsISH_E10value_typeET2_T3_PNSI_ISN_E10value_typeET4_jRbjT5_ST_jjP12ihipStream_tbEUlT_E_NS1_11comp_targetILNS1_3genE3ELNS1_11target_archE908ELNS1_3gpuE7ELNS1_3repE0EEENS1_30default_config_static_selectorELNS0_4arch9wavefront6targetE0EEEvSH_
                                        ; -- End function
	.section	.AMDGPU.csdata,"",@progbits
; Kernel info:
; codeLenInByte = 0
; NumSgprs: 0
; NumVgprs: 0
; ScratchSize: 0
; MemoryBound: 0
; FloatMode: 240
; IeeeMode: 1
; LDSByteSize: 0 bytes/workgroup (compile time only)
; SGPRBlocks: 0
; VGPRBlocks: 0
; NumSGPRsForWavesPerEU: 1
; NumVGPRsForWavesPerEU: 1
; Occupancy: 16
; WaveLimiterHint : 0
; COMPUTE_PGM_RSRC2:SCRATCH_EN: 0
; COMPUTE_PGM_RSRC2:USER_SGPR: 15
; COMPUTE_PGM_RSRC2:TRAP_HANDLER: 0
; COMPUTE_PGM_RSRC2:TGID_X_EN: 1
; COMPUTE_PGM_RSRC2:TGID_Y_EN: 0
; COMPUTE_PGM_RSRC2:TGID_Z_EN: 0
; COMPUTE_PGM_RSRC2:TIDIG_COMP_CNT: 0
	.section	.text._ZN7rocprim17ROCPRIM_400000_NS6detail17trampoline_kernelINS0_14default_configENS1_36segmented_radix_sort_config_selectorIllEEZNS1_25segmented_radix_sort_implIS3_Lb0EPKlPlS8_S9_N2at6native12_GLOBAL__N_18offset_tEEE10hipError_tPvRmT1_PNSt15iterator_traitsISH_E10value_typeET2_T3_PNSI_ISN_E10value_typeET4_jRbjT5_ST_jjP12ihipStream_tbEUlT_E_NS1_11comp_targetILNS1_3genE2ELNS1_11target_archE906ELNS1_3gpuE6ELNS1_3repE0EEENS1_30default_config_static_selectorELNS0_4arch9wavefront6targetE0EEEvSH_,"axG",@progbits,_ZN7rocprim17ROCPRIM_400000_NS6detail17trampoline_kernelINS0_14default_configENS1_36segmented_radix_sort_config_selectorIllEEZNS1_25segmented_radix_sort_implIS3_Lb0EPKlPlS8_S9_N2at6native12_GLOBAL__N_18offset_tEEE10hipError_tPvRmT1_PNSt15iterator_traitsISH_E10value_typeET2_T3_PNSI_ISN_E10value_typeET4_jRbjT5_ST_jjP12ihipStream_tbEUlT_E_NS1_11comp_targetILNS1_3genE2ELNS1_11target_archE906ELNS1_3gpuE6ELNS1_3repE0EEENS1_30default_config_static_selectorELNS0_4arch9wavefront6targetE0EEEvSH_,comdat
	.globl	_ZN7rocprim17ROCPRIM_400000_NS6detail17trampoline_kernelINS0_14default_configENS1_36segmented_radix_sort_config_selectorIllEEZNS1_25segmented_radix_sort_implIS3_Lb0EPKlPlS8_S9_N2at6native12_GLOBAL__N_18offset_tEEE10hipError_tPvRmT1_PNSt15iterator_traitsISH_E10value_typeET2_T3_PNSI_ISN_E10value_typeET4_jRbjT5_ST_jjP12ihipStream_tbEUlT_E_NS1_11comp_targetILNS1_3genE2ELNS1_11target_archE906ELNS1_3gpuE6ELNS1_3repE0EEENS1_30default_config_static_selectorELNS0_4arch9wavefront6targetE0EEEvSH_ ; -- Begin function _ZN7rocprim17ROCPRIM_400000_NS6detail17trampoline_kernelINS0_14default_configENS1_36segmented_radix_sort_config_selectorIllEEZNS1_25segmented_radix_sort_implIS3_Lb0EPKlPlS8_S9_N2at6native12_GLOBAL__N_18offset_tEEE10hipError_tPvRmT1_PNSt15iterator_traitsISH_E10value_typeET2_T3_PNSI_ISN_E10value_typeET4_jRbjT5_ST_jjP12ihipStream_tbEUlT_E_NS1_11comp_targetILNS1_3genE2ELNS1_11target_archE906ELNS1_3gpuE6ELNS1_3repE0EEENS1_30default_config_static_selectorELNS0_4arch9wavefront6targetE0EEEvSH_
	.p2align	8
	.type	_ZN7rocprim17ROCPRIM_400000_NS6detail17trampoline_kernelINS0_14default_configENS1_36segmented_radix_sort_config_selectorIllEEZNS1_25segmented_radix_sort_implIS3_Lb0EPKlPlS8_S9_N2at6native12_GLOBAL__N_18offset_tEEE10hipError_tPvRmT1_PNSt15iterator_traitsISH_E10value_typeET2_T3_PNSI_ISN_E10value_typeET4_jRbjT5_ST_jjP12ihipStream_tbEUlT_E_NS1_11comp_targetILNS1_3genE2ELNS1_11target_archE906ELNS1_3gpuE6ELNS1_3repE0EEENS1_30default_config_static_selectorELNS0_4arch9wavefront6targetE0EEEvSH_,@function
_ZN7rocprim17ROCPRIM_400000_NS6detail17trampoline_kernelINS0_14default_configENS1_36segmented_radix_sort_config_selectorIllEEZNS1_25segmented_radix_sort_implIS3_Lb0EPKlPlS8_S9_N2at6native12_GLOBAL__N_18offset_tEEE10hipError_tPvRmT1_PNSt15iterator_traitsISH_E10value_typeET2_T3_PNSI_ISN_E10value_typeET4_jRbjT5_ST_jjP12ihipStream_tbEUlT_E_NS1_11comp_targetILNS1_3genE2ELNS1_11target_archE906ELNS1_3gpuE6ELNS1_3repE0EEENS1_30default_config_static_selectorELNS0_4arch9wavefront6targetE0EEEvSH_: ; @_ZN7rocprim17ROCPRIM_400000_NS6detail17trampoline_kernelINS0_14default_configENS1_36segmented_radix_sort_config_selectorIllEEZNS1_25segmented_radix_sort_implIS3_Lb0EPKlPlS8_S9_N2at6native12_GLOBAL__N_18offset_tEEE10hipError_tPvRmT1_PNSt15iterator_traitsISH_E10value_typeET2_T3_PNSI_ISN_E10value_typeET4_jRbjT5_ST_jjP12ihipStream_tbEUlT_E_NS1_11comp_targetILNS1_3genE2ELNS1_11target_archE906ELNS1_3gpuE6ELNS1_3repE0EEENS1_30default_config_static_selectorELNS0_4arch9wavefront6targetE0EEEvSH_
; %bb.0:
	.section	.rodata,"a",@progbits
	.p2align	6, 0x0
	.amdhsa_kernel _ZN7rocprim17ROCPRIM_400000_NS6detail17trampoline_kernelINS0_14default_configENS1_36segmented_radix_sort_config_selectorIllEEZNS1_25segmented_radix_sort_implIS3_Lb0EPKlPlS8_S9_N2at6native12_GLOBAL__N_18offset_tEEE10hipError_tPvRmT1_PNSt15iterator_traitsISH_E10value_typeET2_T3_PNSI_ISN_E10value_typeET4_jRbjT5_ST_jjP12ihipStream_tbEUlT_E_NS1_11comp_targetILNS1_3genE2ELNS1_11target_archE906ELNS1_3gpuE6ELNS1_3repE0EEENS1_30default_config_static_selectorELNS0_4arch9wavefront6targetE0EEEvSH_
		.amdhsa_group_segment_fixed_size 0
		.amdhsa_private_segment_fixed_size 0
		.amdhsa_kernarg_size 96
		.amdhsa_user_sgpr_count 15
		.amdhsa_user_sgpr_dispatch_ptr 0
		.amdhsa_user_sgpr_queue_ptr 0
		.amdhsa_user_sgpr_kernarg_segment_ptr 1
		.amdhsa_user_sgpr_dispatch_id 0
		.amdhsa_user_sgpr_private_segment_size 0
		.amdhsa_wavefront_size32 1
		.amdhsa_uses_dynamic_stack 0
		.amdhsa_enable_private_segment 0
		.amdhsa_system_sgpr_workgroup_id_x 1
		.amdhsa_system_sgpr_workgroup_id_y 0
		.amdhsa_system_sgpr_workgroup_id_z 0
		.amdhsa_system_sgpr_workgroup_info 0
		.amdhsa_system_vgpr_workitem_id 0
		.amdhsa_next_free_vgpr 1
		.amdhsa_next_free_sgpr 1
		.amdhsa_reserve_vcc 0
		.amdhsa_float_round_mode_32 0
		.amdhsa_float_round_mode_16_64 0
		.amdhsa_float_denorm_mode_32 3
		.amdhsa_float_denorm_mode_16_64 3
		.amdhsa_dx10_clamp 1
		.amdhsa_ieee_mode 1
		.amdhsa_fp16_overflow 0
		.amdhsa_workgroup_processor_mode 1
		.amdhsa_memory_ordered 1
		.amdhsa_forward_progress 0
		.amdhsa_shared_vgpr_count 0
		.amdhsa_exception_fp_ieee_invalid_op 0
		.amdhsa_exception_fp_denorm_src 0
		.amdhsa_exception_fp_ieee_div_zero 0
		.amdhsa_exception_fp_ieee_overflow 0
		.amdhsa_exception_fp_ieee_underflow 0
		.amdhsa_exception_fp_ieee_inexact 0
		.amdhsa_exception_int_div_zero 0
	.end_amdhsa_kernel
	.section	.text._ZN7rocprim17ROCPRIM_400000_NS6detail17trampoline_kernelINS0_14default_configENS1_36segmented_radix_sort_config_selectorIllEEZNS1_25segmented_radix_sort_implIS3_Lb0EPKlPlS8_S9_N2at6native12_GLOBAL__N_18offset_tEEE10hipError_tPvRmT1_PNSt15iterator_traitsISH_E10value_typeET2_T3_PNSI_ISN_E10value_typeET4_jRbjT5_ST_jjP12ihipStream_tbEUlT_E_NS1_11comp_targetILNS1_3genE2ELNS1_11target_archE906ELNS1_3gpuE6ELNS1_3repE0EEENS1_30default_config_static_selectorELNS0_4arch9wavefront6targetE0EEEvSH_,"axG",@progbits,_ZN7rocprim17ROCPRIM_400000_NS6detail17trampoline_kernelINS0_14default_configENS1_36segmented_radix_sort_config_selectorIllEEZNS1_25segmented_radix_sort_implIS3_Lb0EPKlPlS8_S9_N2at6native12_GLOBAL__N_18offset_tEEE10hipError_tPvRmT1_PNSt15iterator_traitsISH_E10value_typeET2_T3_PNSI_ISN_E10value_typeET4_jRbjT5_ST_jjP12ihipStream_tbEUlT_E_NS1_11comp_targetILNS1_3genE2ELNS1_11target_archE906ELNS1_3gpuE6ELNS1_3repE0EEENS1_30default_config_static_selectorELNS0_4arch9wavefront6targetE0EEEvSH_,comdat
.Lfunc_end811:
	.size	_ZN7rocprim17ROCPRIM_400000_NS6detail17trampoline_kernelINS0_14default_configENS1_36segmented_radix_sort_config_selectorIllEEZNS1_25segmented_radix_sort_implIS3_Lb0EPKlPlS8_S9_N2at6native12_GLOBAL__N_18offset_tEEE10hipError_tPvRmT1_PNSt15iterator_traitsISH_E10value_typeET2_T3_PNSI_ISN_E10value_typeET4_jRbjT5_ST_jjP12ihipStream_tbEUlT_E_NS1_11comp_targetILNS1_3genE2ELNS1_11target_archE906ELNS1_3gpuE6ELNS1_3repE0EEENS1_30default_config_static_selectorELNS0_4arch9wavefront6targetE0EEEvSH_, .Lfunc_end811-_ZN7rocprim17ROCPRIM_400000_NS6detail17trampoline_kernelINS0_14default_configENS1_36segmented_radix_sort_config_selectorIllEEZNS1_25segmented_radix_sort_implIS3_Lb0EPKlPlS8_S9_N2at6native12_GLOBAL__N_18offset_tEEE10hipError_tPvRmT1_PNSt15iterator_traitsISH_E10value_typeET2_T3_PNSI_ISN_E10value_typeET4_jRbjT5_ST_jjP12ihipStream_tbEUlT_E_NS1_11comp_targetILNS1_3genE2ELNS1_11target_archE906ELNS1_3gpuE6ELNS1_3repE0EEENS1_30default_config_static_selectorELNS0_4arch9wavefront6targetE0EEEvSH_
                                        ; -- End function
	.section	.AMDGPU.csdata,"",@progbits
; Kernel info:
; codeLenInByte = 0
; NumSgprs: 0
; NumVgprs: 0
; ScratchSize: 0
; MemoryBound: 0
; FloatMode: 240
; IeeeMode: 1
; LDSByteSize: 0 bytes/workgroup (compile time only)
; SGPRBlocks: 0
; VGPRBlocks: 0
; NumSGPRsForWavesPerEU: 1
; NumVGPRsForWavesPerEU: 1
; Occupancy: 16
; WaveLimiterHint : 0
; COMPUTE_PGM_RSRC2:SCRATCH_EN: 0
; COMPUTE_PGM_RSRC2:USER_SGPR: 15
; COMPUTE_PGM_RSRC2:TRAP_HANDLER: 0
; COMPUTE_PGM_RSRC2:TGID_X_EN: 1
; COMPUTE_PGM_RSRC2:TGID_Y_EN: 0
; COMPUTE_PGM_RSRC2:TGID_Z_EN: 0
; COMPUTE_PGM_RSRC2:TIDIG_COMP_CNT: 0
	.section	.text._ZN7rocprim17ROCPRIM_400000_NS6detail17trampoline_kernelINS0_14default_configENS1_36segmented_radix_sort_config_selectorIllEEZNS1_25segmented_radix_sort_implIS3_Lb0EPKlPlS8_S9_N2at6native12_GLOBAL__N_18offset_tEEE10hipError_tPvRmT1_PNSt15iterator_traitsISH_E10value_typeET2_T3_PNSI_ISN_E10value_typeET4_jRbjT5_ST_jjP12ihipStream_tbEUlT_E_NS1_11comp_targetILNS1_3genE10ELNS1_11target_archE1201ELNS1_3gpuE5ELNS1_3repE0EEENS1_30default_config_static_selectorELNS0_4arch9wavefront6targetE0EEEvSH_,"axG",@progbits,_ZN7rocprim17ROCPRIM_400000_NS6detail17trampoline_kernelINS0_14default_configENS1_36segmented_radix_sort_config_selectorIllEEZNS1_25segmented_radix_sort_implIS3_Lb0EPKlPlS8_S9_N2at6native12_GLOBAL__N_18offset_tEEE10hipError_tPvRmT1_PNSt15iterator_traitsISH_E10value_typeET2_T3_PNSI_ISN_E10value_typeET4_jRbjT5_ST_jjP12ihipStream_tbEUlT_E_NS1_11comp_targetILNS1_3genE10ELNS1_11target_archE1201ELNS1_3gpuE5ELNS1_3repE0EEENS1_30default_config_static_selectorELNS0_4arch9wavefront6targetE0EEEvSH_,comdat
	.globl	_ZN7rocprim17ROCPRIM_400000_NS6detail17trampoline_kernelINS0_14default_configENS1_36segmented_radix_sort_config_selectorIllEEZNS1_25segmented_radix_sort_implIS3_Lb0EPKlPlS8_S9_N2at6native12_GLOBAL__N_18offset_tEEE10hipError_tPvRmT1_PNSt15iterator_traitsISH_E10value_typeET2_T3_PNSI_ISN_E10value_typeET4_jRbjT5_ST_jjP12ihipStream_tbEUlT_E_NS1_11comp_targetILNS1_3genE10ELNS1_11target_archE1201ELNS1_3gpuE5ELNS1_3repE0EEENS1_30default_config_static_selectorELNS0_4arch9wavefront6targetE0EEEvSH_ ; -- Begin function _ZN7rocprim17ROCPRIM_400000_NS6detail17trampoline_kernelINS0_14default_configENS1_36segmented_radix_sort_config_selectorIllEEZNS1_25segmented_radix_sort_implIS3_Lb0EPKlPlS8_S9_N2at6native12_GLOBAL__N_18offset_tEEE10hipError_tPvRmT1_PNSt15iterator_traitsISH_E10value_typeET2_T3_PNSI_ISN_E10value_typeET4_jRbjT5_ST_jjP12ihipStream_tbEUlT_E_NS1_11comp_targetILNS1_3genE10ELNS1_11target_archE1201ELNS1_3gpuE5ELNS1_3repE0EEENS1_30default_config_static_selectorELNS0_4arch9wavefront6targetE0EEEvSH_
	.p2align	8
	.type	_ZN7rocprim17ROCPRIM_400000_NS6detail17trampoline_kernelINS0_14default_configENS1_36segmented_radix_sort_config_selectorIllEEZNS1_25segmented_radix_sort_implIS3_Lb0EPKlPlS8_S9_N2at6native12_GLOBAL__N_18offset_tEEE10hipError_tPvRmT1_PNSt15iterator_traitsISH_E10value_typeET2_T3_PNSI_ISN_E10value_typeET4_jRbjT5_ST_jjP12ihipStream_tbEUlT_E_NS1_11comp_targetILNS1_3genE10ELNS1_11target_archE1201ELNS1_3gpuE5ELNS1_3repE0EEENS1_30default_config_static_selectorELNS0_4arch9wavefront6targetE0EEEvSH_,@function
_ZN7rocprim17ROCPRIM_400000_NS6detail17trampoline_kernelINS0_14default_configENS1_36segmented_radix_sort_config_selectorIllEEZNS1_25segmented_radix_sort_implIS3_Lb0EPKlPlS8_S9_N2at6native12_GLOBAL__N_18offset_tEEE10hipError_tPvRmT1_PNSt15iterator_traitsISH_E10value_typeET2_T3_PNSI_ISN_E10value_typeET4_jRbjT5_ST_jjP12ihipStream_tbEUlT_E_NS1_11comp_targetILNS1_3genE10ELNS1_11target_archE1201ELNS1_3gpuE5ELNS1_3repE0EEENS1_30default_config_static_selectorELNS0_4arch9wavefront6targetE0EEEvSH_: ; @_ZN7rocprim17ROCPRIM_400000_NS6detail17trampoline_kernelINS0_14default_configENS1_36segmented_radix_sort_config_selectorIllEEZNS1_25segmented_radix_sort_implIS3_Lb0EPKlPlS8_S9_N2at6native12_GLOBAL__N_18offset_tEEE10hipError_tPvRmT1_PNSt15iterator_traitsISH_E10value_typeET2_T3_PNSI_ISN_E10value_typeET4_jRbjT5_ST_jjP12ihipStream_tbEUlT_E_NS1_11comp_targetILNS1_3genE10ELNS1_11target_archE1201ELNS1_3gpuE5ELNS1_3repE0EEENS1_30default_config_static_selectorELNS0_4arch9wavefront6targetE0EEEvSH_
; %bb.0:
	.section	.rodata,"a",@progbits
	.p2align	6, 0x0
	.amdhsa_kernel _ZN7rocprim17ROCPRIM_400000_NS6detail17trampoline_kernelINS0_14default_configENS1_36segmented_radix_sort_config_selectorIllEEZNS1_25segmented_radix_sort_implIS3_Lb0EPKlPlS8_S9_N2at6native12_GLOBAL__N_18offset_tEEE10hipError_tPvRmT1_PNSt15iterator_traitsISH_E10value_typeET2_T3_PNSI_ISN_E10value_typeET4_jRbjT5_ST_jjP12ihipStream_tbEUlT_E_NS1_11comp_targetILNS1_3genE10ELNS1_11target_archE1201ELNS1_3gpuE5ELNS1_3repE0EEENS1_30default_config_static_selectorELNS0_4arch9wavefront6targetE0EEEvSH_
		.amdhsa_group_segment_fixed_size 0
		.amdhsa_private_segment_fixed_size 0
		.amdhsa_kernarg_size 96
		.amdhsa_user_sgpr_count 15
		.amdhsa_user_sgpr_dispatch_ptr 0
		.amdhsa_user_sgpr_queue_ptr 0
		.amdhsa_user_sgpr_kernarg_segment_ptr 1
		.amdhsa_user_sgpr_dispatch_id 0
		.amdhsa_user_sgpr_private_segment_size 0
		.amdhsa_wavefront_size32 1
		.amdhsa_uses_dynamic_stack 0
		.amdhsa_enable_private_segment 0
		.amdhsa_system_sgpr_workgroup_id_x 1
		.amdhsa_system_sgpr_workgroup_id_y 0
		.amdhsa_system_sgpr_workgroup_id_z 0
		.amdhsa_system_sgpr_workgroup_info 0
		.amdhsa_system_vgpr_workitem_id 0
		.amdhsa_next_free_vgpr 1
		.amdhsa_next_free_sgpr 1
		.amdhsa_reserve_vcc 0
		.amdhsa_float_round_mode_32 0
		.amdhsa_float_round_mode_16_64 0
		.amdhsa_float_denorm_mode_32 3
		.amdhsa_float_denorm_mode_16_64 3
		.amdhsa_dx10_clamp 1
		.amdhsa_ieee_mode 1
		.amdhsa_fp16_overflow 0
		.amdhsa_workgroup_processor_mode 1
		.amdhsa_memory_ordered 1
		.amdhsa_forward_progress 0
		.amdhsa_shared_vgpr_count 0
		.amdhsa_exception_fp_ieee_invalid_op 0
		.amdhsa_exception_fp_denorm_src 0
		.amdhsa_exception_fp_ieee_div_zero 0
		.amdhsa_exception_fp_ieee_overflow 0
		.amdhsa_exception_fp_ieee_underflow 0
		.amdhsa_exception_fp_ieee_inexact 0
		.amdhsa_exception_int_div_zero 0
	.end_amdhsa_kernel
	.section	.text._ZN7rocprim17ROCPRIM_400000_NS6detail17trampoline_kernelINS0_14default_configENS1_36segmented_radix_sort_config_selectorIllEEZNS1_25segmented_radix_sort_implIS3_Lb0EPKlPlS8_S9_N2at6native12_GLOBAL__N_18offset_tEEE10hipError_tPvRmT1_PNSt15iterator_traitsISH_E10value_typeET2_T3_PNSI_ISN_E10value_typeET4_jRbjT5_ST_jjP12ihipStream_tbEUlT_E_NS1_11comp_targetILNS1_3genE10ELNS1_11target_archE1201ELNS1_3gpuE5ELNS1_3repE0EEENS1_30default_config_static_selectorELNS0_4arch9wavefront6targetE0EEEvSH_,"axG",@progbits,_ZN7rocprim17ROCPRIM_400000_NS6detail17trampoline_kernelINS0_14default_configENS1_36segmented_radix_sort_config_selectorIllEEZNS1_25segmented_radix_sort_implIS3_Lb0EPKlPlS8_S9_N2at6native12_GLOBAL__N_18offset_tEEE10hipError_tPvRmT1_PNSt15iterator_traitsISH_E10value_typeET2_T3_PNSI_ISN_E10value_typeET4_jRbjT5_ST_jjP12ihipStream_tbEUlT_E_NS1_11comp_targetILNS1_3genE10ELNS1_11target_archE1201ELNS1_3gpuE5ELNS1_3repE0EEENS1_30default_config_static_selectorELNS0_4arch9wavefront6targetE0EEEvSH_,comdat
.Lfunc_end812:
	.size	_ZN7rocprim17ROCPRIM_400000_NS6detail17trampoline_kernelINS0_14default_configENS1_36segmented_radix_sort_config_selectorIllEEZNS1_25segmented_radix_sort_implIS3_Lb0EPKlPlS8_S9_N2at6native12_GLOBAL__N_18offset_tEEE10hipError_tPvRmT1_PNSt15iterator_traitsISH_E10value_typeET2_T3_PNSI_ISN_E10value_typeET4_jRbjT5_ST_jjP12ihipStream_tbEUlT_E_NS1_11comp_targetILNS1_3genE10ELNS1_11target_archE1201ELNS1_3gpuE5ELNS1_3repE0EEENS1_30default_config_static_selectorELNS0_4arch9wavefront6targetE0EEEvSH_, .Lfunc_end812-_ZN7rocprim17ROCPRIM_400000_NS6detail17trampoline_kernelINS0_14default_configENS1_36segmented_radix_sort_config_selectorIllEEZNS1_25segmented_radix_sort_implIS3_Lb0EPKlPlS8_S9_N2at6native12_GLOBAL__N_18offset_tEEE10hipError_tPvRmT1_PNSt15iterator_traitsISH_E10value_typeET2_T3_PNSI_ISN_E10value_typeET4_jRbjT5_ST_jjP12ihipStream_tbEUlT_E_NS1_11comp_targetILNS1_3genE10ELNS1_11target_archE1201ELNS1_3gpuE5ELNS1_3repE0EEENS1_30default_config_static_selectorELNS0_4arch9wavefront6targetE0EEEvSH_
                                        ; -- End function
	.section	.AMDGPU.csdata,"",@progbits
; Kernel info:
; codeLenInByte = 0
; NumSgprs: 0
; NumVgprs: 0
; ScratchSize: 0
; MemoryBound: 0
; FloatMode: 240
; IeeeMode: 1
; LDSByteSize: 0 bytes/workgroup (compile time only)
; SGPRBlocks: 0
; VGPRBlocks: 0
; NumSGPRsForWavesPerEU: 1
; NumVGPRsForWavesPerEU: 1
; Occupancy: 16
; WaveLimiterHint : 0
; COMPUTE_PGM_RSRC2:SCRATCH_EN: 0
; COMPUTE_PGM_RSRC2:USER_SGPR: 15
; COMPUTE_PGM_RSRC2:TRAP_HANDLER: 0
; COMPUTE_PGM_RSRC2:TGID_X_EN: 1
; COMPUTE_PGM_RSRC2:TGID_Y_EN: 0
; COMPUTE_PGM_RSRC2:TGID_Z_EN: 0
; COMPUTE_PGM_RSRC2:TIDIG_COMP_CNT: 0
	.section	.text._ZN7rocprim17ROCPRIM_400000_NS6detail17trampoline_kernelINS0_14default_configENS1_36segmented_radix_sort_config_selectorIllEEZNS1_25segmented_radix_sort_implIS3_Lb0EPKlPlS8_S9_N2at6native12_GLOBAL__N_18offset_tEEE10hipError_tPvRmT1_PNSt15iterator_traitsISH_E10value_typeET2_T3_PNSI_ISN_E10value_typeET4_jRbjT5_ST_jjP12ihipStream_tbEUlT_E_NS1_11comp_targetILNS1_3genE10ELNS1_11target_archE1200ELNS1_3gpuE4ELNS1_3repE0EEENS1_30default_config_static_selectorELNS0_4arch9wavefront6targetE0EEEvSH_,"axG",@progbits,_ZN7rocprim17ROCPRIM_400000_NS6detail17trampoline_kernelINS0_14default_configENS1_36segmented_radix_sort_config_selectorIllEEZNS1_25segmented_radix_sort_implIS3_Lb0EPKlPlS8_S9_N2at6native12_GLOBAL__N_18offset_tEEE10hipError_tPvRmT1_PNSt15iterator_traitsISH_E10value_typeET2_T3_PNSI_ISN_E10value_typeET4_jRbjT5_ST_jjP12ihipStream_tbEUlT_E_NS1_11comp_targetILNS1_3genE10ELNS1_11target_archE1200ELNS1_3gpuE4ELNS1_3repE0EEENS1_30default_config_static_selectorELNS0_4arch9wavefront6targetE0EEEvSH_,comdat
	.globl	_ZN7rocprim17ROCPRIM_400000_NS6detail17trampoline_kernelINS0_14default_configENS1_36segmented_radix_sort_config_selectorIllEEZNS1_25segmented_radix_sort_implIS3_Lb0EPKlPlS8_S9_N2at6native12_GLOBAL__N_18offset_tEEE10hipError_tPvRmT1_PNSt15iterator_traitsISH_E10value_typeET2_T3_PNSI_ISN_E10value_typeET4_jRbjT5_ST_jjP12ihipStream_tbEUlT_E_NS1_11comp_targetILNS1_3genE10ELNS1_11target_archE1200ELNS1_3gpuE4ELNS1_3repE0EEENS1_30default_config_static_selectorELNS0_4arch9wavefront6targetE0EEEvSH_ ; -- Begin function _ZN7rocprim17ROCPRIM_400000_NS6detail17trampoline_kernelINS0_14default_configENS1_36segmented_radix_sort_config_selectorIllEEZNS1_25segmented_radix_sort_implIS3_Lb0EPKlPlS8_S9_N2at6native12_GLOBAL__N_18offset_tEEE10hipError_tPvRmT1_PNSt15iterator_traitsISH_E10value_typeET2_T3_PNSI_ISN_E10value_typeET4_jRbjT5_ST_jjP12ihipStream_tbEUlT_E_NS1_11comp_targetILNS1_3genE10ELNS1_11target_archE1200ELNS1_3gpuE4ELNS1_3repE0EEENS1_30default_config_static_selectorELNS0_4arch9wavefront6targetE0EEEvSH_
	.p2align	8
	.type	_ZN7rocprim17ROCPRIM_400000_NS6detail17trampoline_kernelINS0_14default_configENS1_36segmented_radix_sort_config_selectorIllEEZNS1_25segmented_radix_sort_implIS3_Lb0EPKlPlS8_S9_N2at6native12_GLOBAL__N_18offset_tEEE10hipError_tPvRmT1_PNSt15iterator_traitsISH_E10value_typeET2_T3_PNSI_ISN_E10value_typeET4_jRbjT5_ST_jjP12ihipStream_tbEUlT_E_NS1_11comp_targetILNS1_3genE10ELNS1_11target_archE1200ELNS1_3gpuE4ELNS1_3repE0EEENS1_30default_config_static_selectorELNS0_4arch9wavefront6targetE0EEEvSH_,@function
_ZN7rocprim17ROCPRIM_400000_NS6detail17trampoline_kernelINS0_14default_configENS1_36segmented_radix_sort_config_selectorIllEEZNS1_25segmented_radix_sort_implIS3_Lb0EPKlPlS8_S9_N2at6native12_GLOBAL__N_18offset_tEEE10hipError_tPvRmT1_PNSt15iterator_traitsISH_E10value_typeET2_T3_PNSI_ISN_E10value_typeET4_jRbjT5_ST_jjP12ihipStream_tbEUlT_E_NS1_11comp_targetILNS1_3genE10ELNS1_11target_archE1200ELNS1_3gpuE4ELNS1_3repE0EEENS1_30default_config_static_selectorELNS0_4arch9wavefront6targetE0EEEvSH_: ; @_ZN7rocprim17ROCPRIM_400000_NS6detail17trampoline_kernelINS0_14default_configENS1_36segmented_radix_sort_config_selectorIllEEZNS1_25segmented_radix_sort_implIS3_Lb0EPKlPlS8_S9_N2at6native12_GLOBAL__N_18offset_tEEE10hipError_tPvRmT1_PNSt15iterator_traitsISH_E10value_typeET2_T3_PNSI_ISN_E10value_typeET4_jRbjT5_ST_jjP12ihipStream_tbEUlT_E_NS1_11comp_targetILNS1_3genE10ELNS1_11target_archE1200ELNS1_3gpuE4ELNS1_3repE0EEENS1_30default_config_static_selectorELNS0_4arch9wavefront6targetE0EEEvSH_
; %bb.0:
	.section	.rodata,"a",@progbits
	.p2align	6, 0x0
	.amdhsa_kernel _ZN7rocprim17ROCPRIM_400000_NS6detail17trampoline_kernelINS0_14default_configENS1_36segmented_radix_sort_config_selectorIllEEZNS1_25segmented_radix_sort_implIS3_Lb0EPKlPlS8_S9_N2at6native12_GLOBAL__N_18offset_tEEE10hipError_tPvRmT1_PNSt15iterator_traitsISH_E10value_typeET2_T3_PNSI_ISN_E10value_typeET4_jRbjT5_ST_jjP12ihipStream_tbEUlT_E_NS1_11comp_targetILNS1_3genE10ELNS1_11target_archE1200ELNS1_3gpuE4ELNS1_3repE0EEENS1_30default_config_static_selectorELNS0_4arch9wavefront6targetE0EEEvSH_
		.amdhsa_group_segment_fixed_size 0
		.amdhsa_private_segment_fixed_size 0
		.amdhsa_kernarg_size 96
		.amdhsa_user_sgpr_count 15
		.amdhsa_user_sgpr_dispatch_ptr 0
		.amdhsa_user_sgpr_queue_ptr 0
		.amdhsa_user_sgpr_kernarg_segment_ptr 1
		.amdhsa_user_sgpr_dispatch_id 0
		.amdhsa_user_sgpr_private_segment_size 0
		.amdhsa_wavefront_size32 1
		.amdhsa_uses_dynamic_stack 0
		.amdhsa_enable_private_segment 0
		.amdhsa_system_sgpr_workgroup_id_x 1
		.amdhsa_system_sgpr_workgroup_id_y 0
		.amdhsa_system_sgpr_workgroup_id_z 0
		.amdhsa_system_sgpr_workgroup_info 0
		.amdhsa_system_vgpr_workitem_id 0
		.amdhsa_next_free_vgpr 1
		.amdhsa_next_free_sgpr 1
		.amdhsa_reserve_vcc 0
		.amdhsa_float_round_mode_32 0
		.amdhsa_float_round_mode_16_64 0
		.amdhsa_float_denorm_mode_32 3
		.amdhsa_float_denorm_mode_16_64 3
		.amdhsa_dx10_clamp 1
		.amdhsa_ieee_mode 1
		.amdhsa_fp16_overflow 0
		.amdhsa_workgroup_processor_mode 1
		.amdhsa_memory_ordered 1
		.amdhsa_forward_progress 0
		.amdhsa_shared_vgpr_count 0
		.amdhsa_exception_fp_ieee_invalid_op 0
		.amdhsa_exception_fp_denorm_src 0
		.amdhsa_exception_fp_ieee_div_zero 0
		.amdhsa_exception_fp_ieee_overflow 0
		.amdhsa_exception_fp_ieee_underflow 0
		.amdhsa_exception_fp_ieee_inexact 0
		.amdhsa_exception_int_div_zero 0
	.end_amdhsa_kernel
	.section	.text._ZN7rocprim17ROCPRIM_400000_NS6detail17trampoline_kernelINS0_14default_configENS1_36segmented_radix_sort_config_selectorIllEEZNS1_25segmented_radix_sort_implIS3_Lb0EPKlPlS8_S9_N2at6native12_GLOBAL__N_18offset_tEEE10hipError_tPvRmT1_PNSt15iterator_traitsISH_E10value_typeET2_T3_PNSI_ISN_E10value_typeET4_jRbjT5_ST_jjP12ihipStream_tbEUlT_E_NS1_11comp_targetILNS1_3genE10ELNS1_11target_archE1200ELNS1_3gpuE4ELNS1_3repE0EEENS1_30default_config_static_selectorELNS0_4arch9wavefront6targetE0EEEvSH_,"axG",@progbits,_ZN7rocprim17ROCPRIM_400000_NS6detail17trampoline_kernelINS0_14default_configENS1_36segmented_radix_sort_config_selectorIllEEZNS1_25segmented_radix_sort_implIS3_Lb0EPKlPlS8_S9_N2at6native12_GLOBAL__N_18offset_tEEE10hipError_tPvRmT1_PNSt15iterator_traitsISH_E10value_typeET2_T3_PNSI_ISN_E10value_typeET4_jRbjT5_ST_jjP12ihipStream_tbEUlT_E_NS1_11comp_targetILNS1_3genE10ELNS1_11target_archE1200ELNS1_3gpuE4ELNS1_3repE0EEENS1_30default_config_static_selectorELNS0_4arch9wavefront6targetE0EEEvSH_,comdat
.Lfunc_end813:
	.size	_ZN7rocprim17ROCPRIM_400000_NS6detail17trampoline_kernelINS0_14default_configENS1_36segmented_radix_sort_config_selectorIllEEZNS1_25segmented_radix_sort_implIS3_Lb0EPKlPlS8_S9_N2at6native12_GLOBAL__N_18offset_tEEE10hipError_tPvRmT1_PNSt15iterator_traitsISH_E10value_typeET2_T3_PNSI_ISN_E10value_typeET4_jRbjT5_ST_jjP12ihipStream_tbEUlT_E_NS1_11comp_targetILNS1_3genE10ELNS1_11target_archE1200ELNS1_3gpuE4ELNS1_3repE0EEENS1_30default_config_static_selectorELNS0_4arch9wavefront6targetE0EEEvSH_, .Lfunc_end813-_ZN7rocprim17ROCPRIM_400000_NS6detail17trampoline_kernelINS0_14default_configENS1_36segmented_radix_sort_config_selectorIllEEZNS1_25segmented_radix_sort_implIS3_Lb0EPKlPlS8_S9_N2at6native12_GLOBAL__N_18offset_tEEE10hipError_tPvRmT1_PNSt15iterator_traitsISH_E10value_typeET2_T3_PNSI_ISN_E10value_typeET4_jRbjT5_ST_jjP12ihipStream_tbEUlT_E_NS1_11comp_targetILNS1_3genE10ELNS1_11target_archE1200ELNS1_3gpuE4ELNS1_3repE0EEENS1_30default_config_static_selectorELNS0_4arch9wavefront6targetE0EEEvSH_
                                        ; -- End function
	.section	.AMDGPU.csdata,"",@progbits
; Kernel info:
; codeLenInByte = 0
; NumSgprs: 0
; NumVgprs: 0
; ScratchSize: 0
; MemoryBound: 0
; FloatMode: 240
; IeeeMode: 1
; LDSByteSize: 0 bytes/workgroup (compile time only)
; SGPRBlocks: 0
; VGPRBlocks: 0
; NumSGPRsForWavesPerEU: 1
; NumVGPRsForWavesPerEU: 1
; Occupancy: 16
; WaveLimiterHint : 0
; COMPUTE_PGM_RSRC2:SCRATCH_EN: 0
; COMPUTE_PGM_RSRC2:USER_SGPR: 15
; COMPUTE_PGM_RSRC2:TRAP_HANDLER: 0
; COMPUTE_PGM_RSRC2:TGID_X_EN: 1
; COMPUTE_PGM_RSRC2:TGID_Y_EN: 0
; COMPUTE_PGM_RSRC2:TGID_Z_EN: 0
; COMPUTE_PGM_RSRC2:TIDIG_COMP_CNT: 0
	.text
	.p2align	2                               ; -- Begin function _ZN7rocprim17ROCPRIM_400000_NS6detail40segmented_radix_sort_single_block_helperIllLj256ELj16ELb0EE4sortIPKlPlS6_S7_EEbT_T0_T1_T2_jjjjRNS3_12storage_typeE
	.type	_ZN7rocprim17ROCPRIM_400000_NS6detail40segmented_radix_sort_single_block_helperIllLj256ELj16ELb0EE4sortIPKlPlS6_S7_EEbT_T0_T1_T2_jjjjRNS3_12storage_typeE,@function
_ZN7rocprim17ROCPRIM_400000_NS6detail40segmented_radix_sort_single_block_helperIllLj256ELj16ELb0EE4sortIPKlPlS6_S7_EEbT_T0_T1_T2_jjjjRNS3_12storage_typeE: ; @_ZN7rocprim17ROCPRIM_400000_NS6detail40segmented_radix_sort_single_block_helperIllLj256ELj16ELb0EE4sortIPKlPlS6_S7_EEbT_T0_T1_T2_jjjjRNS3_12storage_typeE
; %bb.0:
	s_waitcnt vmcnt(0) expcnt(0) lgkmcnt(0)
	s_or_saveexec_b32 s0, -1
	scratch_store_b32 off, v136, s32 offset:192 ; 4-byte Folded Spill
	s_mov_b32 exec_lo, s0
	s_clause 0x1f
	scratch_store_b32 off, v40, s32 offset:188
	; meta instruction
	scratch_store_b32 off, v41, s32 offset:184
	; meta instruction
	;; [unrolled: 2-line block ×31, first 2 shown]
	scratch_store_b32 off, v95, s32 offset:64
	s_clause 0xf
	scratch_store_b32 off, v104, s32 offset:60
	; meta instruction
	scratch_store_b32 off, v105, s32 offset:56
	; meta instruction
	;; [unrolled: 2-line block ×15, first 2 shown]
	scratch_store_b32 off, v127, s32
	v_writelane_b32 v136, s36, 0
	v_writelane_b32 v136, s37, 1
	;; [unrolled: 1-line block ×8, first 2 shown]
	v_sub_nc_u32_e32 v47, v9, v8
	s_mov_b32 s24, exec_lo
	s_delay_alu instid0(VALU_DEP_1)
	v_cmpx_gt_u32_e32 0x1001, v47
	s_cbranch_execz .LBB814_372
; %bb.1:
	v_bfe_u32 v14, v31, 10, 10
	v_bfe_u32 v15, v31, 20, 10
	v_and_b32_e32 v26, 0x3ff, v31
	v_mbcnt_lo_u32_b32 v35, -1, 0
	s_mov_b32 s0, exec_lo
	v_cmpx_lt_u32_e32 0x800, v47
	s_xor_b32 s25, exec_lo, s0
	s_cbranch_execz .LBB814_143
; %bb.2:
	s_load_b64 s[0:1], s[8:9], 0x0
	v_mov_b32_e32 v9, 0
	s_waitcnt lgkmcnt(0)
	s_cmp_lt_u32 s13, s1
	s_cselect_b32 s1, 14, 20
	s_delay_alu instid0(SALU_CYCLE_1) | instskip(SKIP_4) | instid1(SALU_CYCLE_1)
	s_add_u32 s2, s8, s1
	s_addc_u32 s3, s9, 0
	s_cmp_lt_u32 s12, s0
	global_load_u16 v16, v9, s[2:3]
	s_cselect_b32 s0, 12, 18
	s_add_u32 s0, s8, s0
	s_addc_u32 s1, s9, 0
	global_load_u16 v17, v9, s[0:1]
	s_mov_b32 s2, -1
	s_brev_b32 s3, -2
	s_delay_alu instid0(SALU_CYCLE_1) | instskip(SKIP_3) | instid1(VALU_DEP_1)
	v_dual_mov_b32 v167, s3 :: v_dual_mov_b32 v166, s2
	s_waitcnt vmcnt(1)
	v_mad_u32_u24 v14, v15, v16, v14
	s_waitcnt vmcnt(0)
	v_mad_u64_u32 v[24:25], null, v14, v17, v[26:27]
	v_lshlrev_b32_e32 v25, 3, v35
	s_delay_alu instid0(VALU_DEP_2) | instskip(SKIP_1) | instid1(VALU_DEP_2)
	v_lshlrev_b32_e32 v14, 4, v24
	v_lshlrev_b64 v[22:23], 3, v[8:9]
	v_and_b32_e32 v8, 0xfffffe00, v14
	s_delay_alu instid0(VALU_DEP_2) | instskip(NEXT) | instid1(VALU_DEP_3)
	v_add_co_u32 v14, vcc_lo, v0, v22
	v_add_co_ci_u32_e32 v15, vcc_lo, v1, v23, vcc_lo
	s_delay_alu instid0(VALU_DEP_3) | instskip(SKIP_1) | instid1(VALU_DEP_4)
	v_lshlrev_b64 v[0:1], 3, v[8:9]
	v_or_b32_e32 v27, v8, v35
	v_add_co_u32 v8, vcc_lo, v14, v25
	s_delay_alu instid0(VALU_DEP_4) | instskip(NEXT) | instid1(VALU_DEP_3)
	v_add_co_ci_u32_e32 v9, vcc_lo, 0, v15, vcc_lo
	v_cmp_lt_u32_e32 vcc_lo, v27, v47
	s_delay_alu instid0(VALU_DEP_3) | instskip(NEXT) | instid1(VALU_DEP_1)
	v_add_co_u32 v8, s0, v8, v0
	v_add_co_ci_u32_e64 v9, s0, v9, v1, s0
	s_and_saveexec_b32 s0, vcc_lo
	s_cbranch_execz .LBB814_4
; %bb.3:
	flat_load_b64 v[166:167], v[8:9]
.LBB814_4:
	s_or_b32 exec_lo, exec_lo, s0
	v_or_b32_e32 v14, 32, v27
	v_dual_mov_b32 v19, s3 :: v_dual_mov_b32 v18, s2
	s_delay_alu instid0(VALU_DEP_2) | instskip(NEXT) | instid1(VALU_DEP_1)
	v_cmp_lt_u32_e64 s0, v14, v47
	s_and_saveexec_b32 s1, s0
	s_cbranch_execz .LBB814_6
; %bb.5:
	flat_load_b64 v[18:19], v[8:9] offset:256
.LBB814_6:
	s_or_b32 exec_lo, exec_lo, s1
	v_or_b32_e32 v14, 64, v27
	s_mov_b32 s4, -1
	s_brev_b32 s5, -2
	s_delay_alu instid0(VALU_DEP_1) | instskip(SKIP_1) | instid1(VALU_DEP_2)
	v_cmp_lt_u32_e64 s1, v14, v47
	v_dual_mov_b32 v15, s5 :: v_dual_mov_b32 v14, s4
	s_and_saveexec_b32 s2, s1
	s_cbranch_execz .LBB814_8
; %bb.7:
	flat_load_b64 v[14:15], v[8:9] offset:512
.LBB814_8:
	s_or_b32 exec_lo, exec_lo, s2
	v_or_b32_e32 v16, 0x60, v27
	s_delay_alu instid0(VALU_DEP_1) | instskip(SKIP_1) | instid1(VALU_DEP_2)
	v_cmp_lt_u32_e64 s2, v16, v47
	v_dual_mov_b32 v17, s5 :: v_dual_mov_b32 v16, s4
	s_and_saveexec_b32 s3, s2
	s_cbranch_execz .LBB814_10
; %bb.9:
	flat_load_b64 v[16:17], v[8:9] offset:768
.LBB814_10:
	s_or_b32 exec_lo, exec_lo, s3
	v_or_b32_e32 v20, 0x80, v27
	s_mov_b32 s6, -1
	s_brev_b32 s7, -2
	s_delay_alu instid0(VALU_DEP_1) | instskip(SKIP_1) | instid1(VALU_DEP_2)
	v_cmp_lt_u32_e64 s3, v20, v47
	v_dual_mov_b32 v21, s7 :: v_dual_mov_b32 v20, s6
	s_and_saveexec_b32 s4, s3
	s_cbranch_execz .LBB814_12
; %bb.11:
	flat_load_b64 v[20:21], v[8:9] offset:1024
.LBB814_12:
	s_or_b32 exec_lo, exec_lo, s4
	v_or_b32_e32 v28, 0xa0, v27
	v_dual_mov_b32 v165, s7 :: v_dual_mov_b32 v164, s6
	s_delay_alu instid0(VALU_DEP_2) | instskip(NEXT) | instid1(VALU_DEP_1)
	v_cmp_lt_u32_e64 s4, v28, v47
	s_and_saveexec_b32 s5, s4
	s_cbranch_execz .LBB814_14
; %bb.13:
	flat_load_b64 v[164:165], v[8:9] offset:1280
.LBB814_14:
	s_or_b32 exec_lo, exec_lo, s5
	v_or_b32_e32 v28, 0xc0, v27
	s_mov_b32 s10, -1
	s_brev_b32 s11, -2
	s_delay_alu instid0(SALU_CYCLE_1) | instskip(NEXT) | instid1(VALU_DEP_2)
	v_dual_mov_b32 v177, s11 :: v_dual_mov_b32 v176, s10
	v_cmp_lt_u32_e64 s5, v28, v47
	s_delay_alu instid0(VALU_DEP_1)
	s_and_saveexec_b32 s6, s5
	s_cbranch_execz .LBB814_16
; %bb.15:
	flat_load_b64 v[176:177], v[8:9] offset:1536
.LBB814_16:
	s_or_b32 exec_lo, exec_lo, s6
	v_or_b32_e32 v28, 0xe0, v27
	v_dual_mov_b32 v179, s11 :: v_dual_mov_b32 v178, s10
	s_delay_alu instid0(VALU_DEP_2) | instskip(NEXT) | instid1(VALU_DEP_1)
	v_cmp_lt_u32_e64 s6, v28, v47
	s_and_saveexec_b32 s7, s6
	s_cbranch_execz .LBB814_18
; %bb.17:
	flat_load_b64 v[178:179], v[8:9] offset:1792
.LBB814_18:
	s_or_b32 exec_lo, exec_lo, s7
	v_or_b32_e32 v28, 0x100, v27
	s_mov_b32 s14, -1
	s_brev_b32 s15, -2
	s_delay_alu instid0(SALU_CYCLE_1) | instskip(NEXT) | instid1(VALU_DEP_2)
	v_dual_mov_b32 v181, s15 :: v_dual_mov_b32 v180, s14
	v_cmp_lt_u32_e64 s7, v28, v47
	s_delay_alu instid0(VALU_DEP_1)
	;; [unrolled: 23-line block ×5, first 2 shown]
	s_and_saveexec_b32 s18, s17
	s_cbranch_execz .LBB814_32
; %bb.31:
	flat_load_b64 v[208:209], v[8:9] offset:3584
.LBB814_32:
	s_or_b32 exec_lo, exec_lo, s18
	v_or_b32_e32 v27, 0x1e0, v27
	v_dual_mov_b32 v211, s21 :: v_dual_mov_b32 v210, s20
	s_delay_alu instid0(VALU_DEP_2) | instskip(NEXT) | instid1(VALU_DEP_1)
	v_cmp_lt_u32_e64 s18, v27, v47
	s_and_saveexec_b32 s19, s18
	s_cbranch_execz .LBB814_34
; %bb.33:
	flat_load_b64 v[210:211], v[8:9] offset:3840
.LBB814_34:
	s_or_b32 exec_lo, exec_lo, s19
	v_add_co_u32 v4, s19, v4, v22
	s_delay_alu instid0(VALU_DEP_1) | instskip(NEXT) | instid1(VALU_DEP_2)
	v_add_co_ci_u32_e64 v5, s19, v5, v23, s19
                                        ; implicit-def: $vgpr212_vgpr213
	v_add_co_u32 v4, s19, v4, v25
	s_delay_alu instid0(VALU_DEP_1) | instskip(NEXT) | instid1(VALU_DEP_2)
	v_add_co_ci_u32_e64 v5, s19, 0, v5, s19
	v_add_co_u32 v0, s19, v4, v0
	s_delay_alu instid0(VALU_DEP_1)
	v_add_co_ci_u32_e64 v1, s19, v5, v1, s19
	s_and_saveexec_b32 s19, vcc_lo
	s_cbranch_execnz .LBB814_196
; %bb.35:
	s_or_b32 exec_lo, exec_lo, s19
                                        ; implicit-def: $vgpr214_vgpr215
	s_and_saveexec_b32 s19, s0
	s_cbranch_execnz .LBB814_197
.LBB814_36:
	s_or_b32 exec_lo, exec_lo, s19
                                        ; implicit-def: $vgpr224_vgpr225
	s_and_saveexec_b32 s0, s1
	s_cbranch_execnz .LBB814_198
.LBB814_37:
	s_or_b32 exec_lo, exec_lo, s0
                                        ; implicit-def: $vgpr226_vgpr227
	s_and_saveexec_b32 s0, s2
	s_cbranch_execnz .LBB814_199
.LBB814_38:
	s_or_b32 exec_lo, exec_lo, s0
                                        ; implicit-def: $vgpr228_vgpr229
	s_and_saveexec_b32 s0, s3
	s_cbranch_execnz .LBB814_200
.LBB814_39:
	s_or_b32 exec_lo, exec_lo, s0
                                        ; implicit-def: $vgpr230_vgpr231
	s_and_saveexec_b32 s0, s4
	s_cbranch_execnz .LBB814_201
.LBB814_40:
	s_or_b32 exec_lo, exec_lo, s0
                                        ; implicit-def: $vgpr240_vgpr241
	s_and_saveexec_b32 s0, s5
	s_cbranch_execnz .LBB814_202
.LBB814_41:
	s_or_b32 exec_lo, exec_lo, s0
                                        ; implicit-def: $vgpr242_vgpr243
	s_and_saveexec_b32 s0, s6
	s_cbranch_execnz .LBB814_203
.LBB814_42:
	s_or_b32 exec_lo, exec_lo, s0
                                        ; implicit-def: $vgpr244_vgpr245
	s_and_saveexec_b32 s0, s7
	s_cbranch_execnz .LBB814_204
.LBB814_43:
	s_or_b32 exec_lo, exec_lo, s0
                                        ; implicit-def: $vgpr246_vgpr247
	s_and_saveexec_b32 s0, s10
	s_cbranch_execnz .LBB814_205
.LBB814_44:
	s_or_b32 exec_lo, exec_lo, s0
                                        ; implicit-def: $vgpr39_vgpr40
	s_and_saveexec_b32 s0, s11
	s_cbranch_execnz .LBB814_206
.LBB814_45:
	s_or_b32 exec_lo, exec_lo, s0
                                        ; implicit-def: $vgpr41_vgpr42
	s_and_saveexec_b32 s0, s14
	s_cbranch_execnz .LBB814_207
.LBB814_46:
	s_or_b32 exec_lo, exec_lo, s0
                                        ; implicit-def: $vgpr43_vgpr44
	s_and_saveexec_b32 s0, s15
	s_cbranch_execnz .LBB814_208
.LBB814_47:
	s_or_b32 exec_lo, exec_lo, s0
                                        ; implicit-def: $vgpr45_vgpr46
	s_and_saveexec_b32 s0, s16
	s_cbranch_execnz .LBB814_209
.LBB814_48:
	s_or_b32 exec_lo, exec_lo, s0
                                        ; implicit-def: $vgpr56_vgpr57
	s_and_saveexec_b32 s0, s17
	s_cbranch_execnz .LBB814_210
.LBB814_49:
	s_or_b32 exec_lo, exec_lo, s0
                                        ; implicit-def: $vgpr58_vgpr59
	s_and_saveexec_b32 s0, s18
	s_cbranch_execz .LBB814_51
.LBB814_50:
	flat_load_b64 v[58:59], v[0:1] offset:3840
.LBB814_51:
	s_or_b32 exec_lo, exec_lo, s0
	v_dual_mov_b32 v1, 0 :: v_dual_lshlrev_b32 v0, 5, v26
	v_add_co_u32 v25, vcc_lo, v12, 32
	v_and_b32_e32 v28, 0x3e0, v26
	v_add_co_ci_u32_e32 v124, vcc_lo, 0, v13, vcc_lo
	s_delay_alu instid0(VALU_DEP_4)
	v_add_co_u32 v4, vcc_lo, v12, v0
	v_add_co_ci_u32_e32 v5, vcc_lo, 0, v13, vcc_lo
	v_and_b32_e32 v27, 15, v35
	v_add_co_u32 v8, vcc_lo, v25, v0
	v_min_u32_e32 v0, 0xe0, v28
	v_add_nc_u32_e32 v29, -1, v35
	s_getpc_b64 s[0:1]
	s_add_u32 s0, s0, _ZN7rocprim17ROCPRIM_400000_NS16block_radix_sortIlLj256ELj16ElLj1ELj1ELj8ELNS0_26block_radix_rank_algorithmE2ELNS0_18block_padding_hintE2ELNS0_4arch9wavefront6targetE0EE19radix_bits_per_passE@rel32@lo+4
	s_addc_u32 s1, s1, _ZN7rocprim17ROCPRIM_400000_NS16block_radix_sortIlLj256ELj16ElLj1ELj1ELj8ELNS0_26block_radix_rank_algorithmE2ELNS0_18block_padding_hintE2ELNS0_4arch9wavefront6targetE0EE19radix_bits_per_passE@rel32@hi+12
	v_add_co_ci_u32_e32 v9, vcc_lo, 0, v124, vcc_lo
	s_load_b32 s19, s[0:1], 0x0
	v_cmp_eq_u32_e32 vcc_lo, 0, v27
	v_cmp_lt_u32_e64 s0, 1, v27
	v_and_b32_e32 v28, 16, v35
	v_cmp_lt_u32_e64 s1, 3, v27
	v_cmp_lt_u32_e64 s2, 7, v27
	v_or_b32_e32 v0, 31, v0
	v_lshrrev_b32_e32 v27, 5, v26
	v_cmp_gt_i32_e64 s4, 0, v29
	v_cmp_eq_u32_e64 s3, 0, v28
	s_waitcnt vmcnt(0) lgkmcnt(0)
	v_xor_b32_e32 v167, 0x80000000, v167
	v_xor_b32_e32 v19, 0x80000000, v19
	;; [unrolled: 1-line block ×3, first 2 shown]
	v_cndmask_b32_e64 v28, v29, v35, s4
	v_cmp_eq_u32_e64 s4, v0, v26
	v_lshlrev_b32_e32 v0, 2, v27
	v_and_b32_e32 v29, 7, v35
	v_xor_b32_e32 v17, 0x80000000, v17
	v_lshlrev_b32_e32 v126, 2, v28
	v_lshlrev_b32_e32 v28, 2, v26
	v_add_co_u32 v31, s11, v12, v0
	v_add_nc_u32_e32 v0, -1, v27
	v_lshlrev_b32_e32 v27, 4, v26
	v_add_co_ci_u32_e64 v32, s11, 0, v13, s11
	v_add_co_u32 v84, s11, v12, v28
	s_delay_alu instid0(VALU_DEP_3) | instskip(SKIP_3) | instid1(VALU_DEP_4)
	v_and_or_b32 v30, 0x3e00, v27, v35
	v_lshlrev_b64 v[27:28], 2, v[0:1]
	v_add_co_ci_u32_e64 v85, s11, 0, v13, s11
	v_xor_b32_e32 v21, 0x80000000, v21
	v_lshlrev_b32_e32 v0, 3, v30
	v_xor_b32_e32 v165, 0x80000000, v165
	v_add_co_u32 v96, s16, v12, v27
	s_delay_alu instid0(VALU_DEP_1) | instskip(NEXT) | instid1(VALU_DEP_4)
	v_add_co_ci_u32_e64 v97, s16, v13, v28, s16
	v_add_co_u32 v98, s16, v12, v0
	v_xor_b32_e32 v177, 0x80000000, v177
	v_xor_b32_e32 v179, 0x80000000, v179
	;; [unrolled: 1-line block ×10, first 2 shown]
	v_lshrrev_b32_e32 v125, 5, v24
	v_cmp_gt_u32_e64 s5, 8, v26
	v_cmp_lt_u32_e64 s6, 31, v26
	v_cmp_eq_u32_e64 s7, 0, v35
	v_cmp_eq_u32_e64 s10, 0, v26
	v_cmp_eq_u32_e64 s11, 0, v29
	v_cmp_lt_u32_e64 s14, 1, v29
	v_cmp_lt_u32_e64 s15, 3, v29
	v_add_co_ci_u32_e64 v99, s16, 0, v13, s16
	v_sub_nc_u32_e32 v127, v11, v10
	s_mov_b32 s20, 0
	s_waitcnt_vscnt null, 0x0
	s_mov_b32 s21, s20
	s_mov_b32 s22, s20
	;; [unrolled: 1-line block ×4, first 2 shown]
	s_barrier
	buffer_gl0_inv
	s_branch .LBB814_53
.LBB814_52:                             ;   in Loop: Header=BB814_53 Depth=1
	s_or_b32 exec_lo, exec_lo, s17
	s_delay_alu instid0(SALU_CYCLE_1) | instskip(NEXT) | instid1(SALU_CYCLE_1)
	s_and_b32 s16, exec_lo, s18
	s_or_b32 s26, s16, s26
	s_delay_alu instid0(SALU_CYCLE_1)
	s_and_not1_b32 exec_lo, exec_lo, s26
	s_cbranch_execz .LBB814_93
.LBB814_53:                             ; =>This Inner Loop Header: Depth=1
	v_min_u32_e32 v0, s19, v127
	v_dual_mov_b32 v100, v166 :: v_dual_mov_b32 v101, v167
	v_dual_mov_b32 v35, v226 :: v_dual_mov_b32 v36, v227
	s_delay_alu instid0(VALU_DEP_3) | instskip(SKIP_1) | instid1(VALU_DEP_4)
	v_lshlrev_b32_e64 v0, v0, -1
	v_dual_mov_b32 v70, v246 :: v_dual_mov_b32 v69, v40
	v_lshrrev_b64 v[64:65], v10, v[100:101]
	v_dual_mov_b32 v68, v39 :: v_dual_mov_b32 v67, v42
	s_delay_alu instid0(VALU_DEP_4) | instskip(SKIP_3) | instid1(VALU_DEP_4)
	v_not_b32_e32 v226, v0
	v_mov_b32_e32 v66, v41
	v_mov_b32_e32 v160, v208
	v_dual_mov_b32 v162, v210 :: v_dual_mov_b32 v163, v211
	v_dual_mov_b32 v71, v247 :: v_dual_and_b32 v0, v64, v226
	v_dual_mov_b32 v65, v44 :: v_dual_mov_b32 v64, v43
	v_mov_b32_e32 v87, v59
	s_delay_alu instid0(VALU_DEP_3) | instskip(SKIP_3) | instid1(VALU_DEP_4)
	v_and_b32_e32 v39, 1, v0
	v_lshlrev_b32_e32 v112, 30, v0
	v_dual_mov_b32 v86, v58 :: v_dual_mov_b32 v103, v19
	v_mov_b32_e32 v102, v18
	v_add_co_u32 v39, s16, v39, -1
	s_delay_alu instid0(VALU_DEP_1)
	v_cndmask_b32_e64 v113, 0, 1, s16
	v_lshlrev_b32_e32 v18, 29, v0
	v_not_b32_e32 v19, v112
	v_cmp_gt_i32_e64 s17, 0, v112
	v_dual_mov_b32 v117, v21 :: v_dual_lshlrev_b32 v114, 27, v0
	v_cmp_ne_u32_e64 s16, 0, v113
	v_not_b32_e32 v112, v18
	v_lshlrev_b32_e32 v113, 28, v0
	v_ashrrev_i32_e32 v19, 31, v19
	v_dual_mov_b32 v29, v212 :: v_dual_mov_b32 v30, v213
	v_xor_b32_e32 v39, s16, v39
	v_cmp_gt_i32_e64 s16, 0, v18
	v_ashrrev_i32_e32 v112, 31, v112
	v_not_b32_e32 v18, v113
	v_xor_b32_e32 v19, s17, v19
	v_and_b32_e32 v39, exec_lo, v39
	v_cmp_gt_i32_e64 s17, 0, v113
	v_xor_b32_e32 v115, s16, v112
	v_dual_mov_b32 v113, v15 :: v_dual_mov_b32 v112, v14
	v_ashrrev_i32_e32 v18, 31, v18
	v_and_b32_e32 v19, v39, v19
	v_not_b32_e32 v14, v114
	v_dual_mov_b32 v116, v20 :: v_dual_lshlrev_b32 v15, 26, v0
	s_delay_alu instid0(VALU_DEP_4) | instskip(NEXT) | instid1(VALU_DEP_4)
	v_xor_b32_e32 v18, s17, v18
	v_dual_mov_b32 v118, v164 :: v_dual_and_b32 v19, v19, v115
	v_cmp_gt_i32_e64 s16, 0, v114
	v_ashrrev_i32_e32 v14, 31, v14
	v_dual_mov_b32 v115, v17 :: v_dual_mov_b32 v114, v16
	v_not_b32_e32 v16, v15
	v_dual_mov_b32 v128, v176 :: v_dual_and_b32 v17, v19, v18
	v_lshlrev_b32_e32 v18, 25, v0
	v_xor_b32_e32 v14, s16, v14
	v_cmp_gt_i32_e64 s16, 0, v15
	v_ashrrev_i32_e32 v15, 31, v16
	v_mov_b32_e32 v134, v178
	v_not_b32_e32 v16, v18
	v_dual_mov_b32 v135, v179 :: v_dual_and_b32 v14, v17, v14
	v_lshlrev_b32_e32 v17, 24, v0
	v_xor_b32_e32 v15, s16, v15
	v_cmp_gt_i32_e64 s16, 0, v18
	v_ashrrev_i32_e32 v16, 31, v16
	v_mov_b32_e32 v119, v165
	v_not_b32_e32 v18, v17
	v_dual_mov_b32 v129, v177 :: v_dual_and_b32 v14, v14, v15
	v_mov_b32_e32 v132, v180
	v_xor_b32_e32 v15, s16, v16
	v_cmp_gt_i32_e64 s16, 0, v17
	v_ashrrev_i32_e32 v16, 31, v18
	v_dual_mov_b32 v133, v181 :: v_dual_mov_b32 v130, v182
	s_delay_alu instid0(VALU_DEP_4) | instskip(NEXT) | instid1(VALU_DEP_3)
	v_dual_mov_b32 v131, v183 :: v_dual_and_b32 v14, v14, v15
	v_xor_b32_e32 v15, s16, v16
	v_lshl_add_u32 v0, v0, 3, v125
	v_mov_b32_e32 v161, v209
	v_dual_mov_b32 v27, v214 :: v_dual_mov_b32 v28, v215
	s_delay_alu instid0(VALU_DEP_4)
	v_dual_mov_b32 v15, s20 :: v_dual_and_b32 v14, v14, v15
	v_dual_mov_b32 v16, s21 :: v_dual_mov_b32 v17, s22
	v_mov_b32_e32 v18, s23
	s_clause 0x1
	flat_store_b128 v[4:5], v[15:18] offset:32
	flat_store_b128 v[8:9], v[15:18] offset:16
	v_lshlrev_b64 v[15:16], 2, v[0:1]
	v_mbcnt_lo_u32_b32 v39, v14, 0
	v_cmp_ne_u32_e64 s17, 0, v14
	v_dual_mov_b32 v37, v224 :: v_dual_mov_b32 v38, v225
	v_dual_mov_b32 v33, v228 :: v_dual_mov_b32 v34, v229
	s_delay_alu instid0(VALU_DEP_4)
	v_cmp_eq_u32_e64 s16, 0, v39
	v_add_co_u32 v164, s18, v25, v15
	v_dual_mov_b32 v54, v230 :: v_dual_mov_b32 v55, v231
	v_dual_mov_b32 v52, v240 :: v_dual_mov_b32 v53, v241
	;; [unrolled: 1-line block ×10, first 2 shown]
	v_add_co_ci_u32_e64 v165, s18, v124, v16, s18
	s_and_b32 s17, s17, s16
	s_waitcnt lgkmcnt(0)
	s_waitcnt_vscnt null, 0x0
	s_barrier
	buffer_gl0_inv
	; wave barrier
	s_and_saveexec_b32 s16, s17
	s_cbranch_execz .LBB814_55
; %bb.54:                               ;   in Loop: Header=BB814_53 Depth=1
	v_bcnt_u32_b32 v0, v14, 0
	flat_store_b32 v[164:165], v0
.LBB814_55:                             ;   in Loop: Header=BB814_53 Depth=1
	s_or_b32 exec_lo, exec_lo, s16
	v_lshrrev_b64 v[14:15], v10, v[102:103]
	; wave barrier
	s_delay_alu instid0(VALU_DEP_1) | instskip(NEXT) | instid1(VALU_DEP_1)
	v_and_b32_e32 v16, v14, v226
	v_lshl_add_u32 v0, v16, 3, v125
	v_lshlrev_b32_e32 v17, 29, v16
	v_lshlrev_b32_e32 v18, 28, v16
	s_delay_alu instid0(VALU_DEP_3) | instskip(SKIP_1) | instid1(VALU_DEP_2)
	v_lshlrev_b64 v[14:15], 2, v[0:1]
	v_and_b32_e32 v0, 1, v16
	v_add_co_u32 v166, s16, v25, v14
	s_delay_alu instid0(VALU_DEP_1) | instskip(NEXT) | instid1(VALU_DEP_3)
	v_add_co_ci_u32_e64 v167, s16, v124, v15, s16
	v_add_co_u32 v0, s16, v0, -1
	s_delay_alu instid0(VALU_DEP_1) | instskip(SKIP_3) | instid1(VALU_DEP_2)
	v_cndmask_b32_e64 v14, 0, 1, s16
	flat_load_b32 v228, v[166:167]
	v_lshlrev_b32_e32 v15, 30, v16
	; wave barrier
	v_cmp_ne_u32_e64 s16, 0, v14
	v_not_b32_e32 v14, v15
	s_delay_alu instid0(VALU_DEP_2) | instskip(SKIP_1) | instid1(VALU_DEP_3)
	v_xor_b32_e32 v0, s16, v0
	v_cmp_gt_i32_e64 s16, 0, v15
	v_ashrrev_i32_e32 v14, 31, v14
	v_not_b32_e32 v15, v17
	s_delay_alu instid0(VALU_DEP_4) | instskip(NEXT) | instid1(VALU_DEP_3)
	v_and_b32_e32 v0, exec_lo, v0
	v_xor_b32_e32 v14, s16, v14
	v_cmp_gt_i32_e64 s16, 0, v17
	s_delay_alu instid0(VALU_DEP_4) | instskip(SKIP_1) | instid1(VALU_DEP_4)
	v_ashrrev_i32_e32 v15, 31, v15
	v_not_b32_e32 v17, v18
	v_and_b32_e32 v0, v0, v14
	v_lshlrev_b32_e32 v14, 27, v16
	s_delay_alu instid0(VALU_DEP_4) | instskip(SKIP_2) | instid1(VALU_DEP_4)
	v_xor_b32_e32 v15, s16, v15
	v_cmp_gt_i32_e64 s16, 0, v18
	v_ashrrev_i32_e32 v17, 31, v17
	v_not_b32_e32 v18, v14
	s_delay_alu instid0(VALU_DEP_4) | instskip(SKIP_1) | instid1(VALU_DEP_4)
	v_and_b32_e32 v0, v0, v15
	v_lshlrev_b32_e32 v15, 26, v16
	v_xor_b32_e32 v17, s16, v17
	v_cmp_gt_i32_e64 s16, 0, v14
	v_ashrrev_i32_e32 v14, 31, v18
	s_delay_alu instid0(VALU_DEP_4) | instskip(NEXT) | instid1(VALU_DEP_4)
	v_not_b32_e32 v18, v15
	v_and_b32_e32 v0, v0, v17
	v_lshlrev_b32_e32 v17, 25, v16
	s_delay_alu instid0(VALU_DEP_4) | instskip(SKIP_2) | instid1(VALU_DEP_4)
	v_xor_b32_e32 v14, s16, v14
	v_cmp_gt_i32_e64 s16, 0, v15
	v_ashrrev_i32_e32 v15, 31, v18
	v_not_b32_e32 v18, v17
	s_delay_alu instid0(VALU_DEP_4) | instskip(SKIP_1) | instid1(VALU_DEP_4)
	v_and_b32_e32 v0, v0, v14
	v_lshlrev_b32_e32 v14, 24, v16
	v_xor_b32_e32 v15, s16, v15
	v_cmp_gt_i32_e64 s16, 0, v17
	v_ashrrev_i32_e32 v16, 31, v18
	s_delay_alu instid0(VALU_DEP_4) | instskip(NEXT) | instid1(VALU_DEP_4)
	v_not_b32_e32 v17, v14
	v_and_b32_e32 v0, v0, v15
	s_delay_alu instid0(VALU_DEP_3) | instskip(SKIP_1) | instid1(VALU_DEP_4)
	v_xor_b32_e32 v15, s16, v16
	v_cmp_gt_i32_e64 s16, 0, v14
	v_ashrrev_i32_e32 v14, 31, v17
	s_delay_alu instid0(VALU_DEP_3) | instskip(NEXT) | instid1(VALU_DEP_2)
	v_and_b32_e32 v0, v0, v15
	v_xor_b32_e32 v14, s16, v14
	s_delay_alu instid0(VALU_DEP_1) | instskip(NEXT) | instid1(VALU_DEP_1)
	v_and_b32_e32 v0, v0, v14
	v_mbcnt_lo_u32_b32 v229, v0, 0
	v_cmp_ne_u32_e64 s17, 0, v0
	s_delay_alu instid0(VALU_DEP_2) | instskip(NEXT) | instid1(VALU_DEP_1)
	v_cmp_eq_u32_e64 s16, 0, v229
	s_and_b32 s17, s17, s16
	s_delay_alu instid0(SALU_CYCLE_1)
	s_and_saveexec_b32 s16, s17
	s_cbranch_execz .LBB814_57
; %bb.56:                               ;   in Loop: Header=BB814_53 Depth=1
	s_waitcnt vmcnt(0) lgkmcnt(0)
	v_bcnt_u32_b32 v0, v0, v228
	flat_store_b32 v[166:167], v0
.LBB814_57:                             ;   in Loop: Header=BB814_53 Depth=1
	s_or_b32 exec_lo, exec_lo, s16
	v_lshrrev_b64 v[14:15], v10, v[112:113]
	; wave barrier
	s_delay_alu instid0(VALU_DEP_1) | instskip(NEXT) | instid1(VALU_DEP_1)
	v_and_b32_e32 v16, v14, v226
	v_lshl_add_u32 v0, v16, 3, v125
	v_lshlrev_b32_e32 v17, 29, v16
	v_lshlrev_b32_e32 v18, 28, v16
	s_delay_alu instid0(VALU_DEP_3) | instskip(SKIP_1) | instid1(VALU_DEP_2)
	v_lshlrev_b64 v[14:15], 2, v[0:1]
	v_and_b32_e32 v0, 1, v16
	v_add_co_u32 v176, s16, v25, v14
	s_delay_alu instid0(VALU_DEP_1) | instskip(NEXT) | instid1(VALU_DEP_3)
	v_add_co_ci_u32_e64 v177, s16, v124, v15, s16
	v_add_co_u32 v0, s16, v0, -1
	s_delay_alu instid0(VALU_DEP_1) | instskip(SKIP_3) | instid1(VALU_DEP_2)
	v_cndmask_b32_e64 v14, 0, 1, s16
	flat_load_b32 v230, v[176:177]
	v_lshlrev_b32_e32 v15, 30, v16
	; wave barrier
	v_cmp_ne_u32_e64 s16, 0, v14
	v_not_b32_e32 v14, v15
	s_delay_alu instid0(VALU_DEP_2) | instskip(SKIP_1) | instid1(VALU_DEP_3)
	v_xor_b32_e32 v0, s16, v0
	v_cmp_gt_i32_e64 s16, 0, v15
	v_ashrrev_i32_e32 v14, 31, v14
	v_not_b32_e32 v15, v17
	s_delay_alu instid0(VALU_DEP_4) | instskip(NEXT) | instid1(VALU_DEP_3)
	v_and_b32_e32 v0, exec_lo, v0
	v_xor_b32_e32 v14, s16, v14
	v_cmp_gt_i32_e64 s16, 0, v17
	s_delay_alu instid0(VALU_DEP_4) | instskip(SKIP_1) | instid1(VALU_DEP_4)
	v_ashrrev_i32_e32 v15, 31, v15
	v_not_b32_e32 v17, v18
	v_and_b32_e32 v0, v0, v14
	v_lshlrev_b32_e32 v14, 27, v16
	s_delay_alu instid0(VALU_DEP_4) | instskip(SKIP_2) | instid1(VALU_DEP_4)
	v_xor_b32_e32 v15, s16, v15
	v_cmp_gt_i32_e64 s16, 0, v18
	v_ashrrev_i32_e32 v17, 31, v17
	v_not_b32_e32 v18, v14
	s_delay_alu instid0(VALU_DEP_4) | instskip(SKIP_1) | instid1(VALU_DEP_4)
	v_and_b32_e32 v0, v0, v15
	v_lshlrev_b32_e32 v15, 26, v16
	v_xor_b32_e32 v17, s16, v17
	v_cmp_gt_i32_e64 s16, 0, v14
	v_ashrrev_i32_e32 v14, 31, v18
	s_delay_alu instid0(VALU_DEP_4) | instskip(NEXT) | instid1(VALU_DEP_4)
	v_not_b32_e32 v18, v15
	v_and_b32_e32 v0, v0, v17
	v_lshlrev_b32_e32 v17, 25, v16
	s_delay_alu instid0(VALU_DEP_4) | instskip(SKIP_2) | instid1(VALU_DEP_4)
	v_xor_b32_e32 v14, s16, v14
	v_cmp_gt_i32_e64 s16, 0, v15
	v_ashrrev_i32_e32 v15, 31, v18
	v_not_b32_e32 v18, v17
	s_delay_alu instid0(VALU_DEP_4) | instskip(SKIP_1) | instid1(VALU_DEP_4)
	v_and_b32_e32 v0, v0, v14
	v_lshlrev_b32_e32 v14, 24, v16
	v_xor_b32_e32 v15, s16, v15
	v_cmp_gt_i32_e64 s16, 0, v17
	v_ashrrev_i32_e32 v16, 31, v18
	s_delay_alu instid0(VALU_DEP_4) | instskip(NEXT) | instid1(VALU_DEP_4)
	v_not_b32_e32 v17, v14
	v_and_b32_e32 v0, v0, v15
	s_delay_alu instid0(VALU_DEP_3) | instskip(SKIP_1) | instid1(VALU_DEP_4)
	v_xor_b32_e32 v15, s16, v16
	v_cmp_gt_i32_e64 s16, 0, v14
	v_ashrrev_i32_e32 v14, 31, v17
	s_delay_alu instid0(VALU_DEP_3) | instskip(NEXT) | instid1(VALU_DEP_2)
	v_and_b32_e32 v0, v0, v15
	v_xor_b32_e32 v14, s16, v14
	s_delay_alu instid0(VALU_DEP_1) | instskip(NEXT) | instid1(VALU_DEP_1)
	v_and_b32_e32 v0, v0, v14
	v_mbcnt_lo_u32_b32 v231, v0, 0
	v_cmp_ne_u32_e64 s17, 0, v0
	s_delay_alu instid0(VALU_DEP_2) | instskip(NEXT) | instid1(VALU_DEP_1)
	v_cmp_eq_u32_e64 s16, 0, v231
	s_and_b32 s17, s17, s16
	s_delay_alu instid0(SALU_CYCLE_1)
	s_and_saveexec_b32 s16, s17
	s_cbranch_execz .LBB814_59
; %bb.58:                               ;   in Loop: Header=BB814_53 Depth=1
	s_waitcnt vmcnt(0) lgkmcnt(0)
	v_bcnt_u32_b32 v0, v0, v230
	flat_store_b32 v[176:177], v0
.LBB814_59:                             ;   in Loop: Header=BB814_53 Depth=1
	s_or_b32 exec_lo, exec_lo, s16
	v_lshrrev_b64 v[14:15], v10, v[114:115]
	; wave barrier
	s_delay_alu instid0(VALU_DEP_1) | instskip(NEXT) | instid1(VALU_DEP_1)
	v_and_b32_e32 v16, v14, v226
	v_lshl_add_u32 v0, v16, 3, v125
	v_lshlrev_b32_e32 v17, 29, v16
	v_lshlrev_b32_e32 v18, 28, v16
	s_delay_alu instid0(VALU_DEP_3) | instskip(SKIP_1) | instid1(VALU_DEP_2)
	v_lshlrev_b64 v[14:15], 2, v[0:1]
	v_and_b32_e32 v0, 1, v16
	v_add_co_u32 v178, s16, v25, v14
	s_delay_alu instid0(VALU_DEP_1) | instskip(NEXT) | instid1(VALU_DEP_3)
	v_add_co_ci_u32_e64 v179, s16, v124, v15, s16
	v_add_co_u32 v0, s16, v0, -1
	s_delay_alu instid0(VALU_DEP_1) | instskip(SKIP_3) | instid1(VALU_DEP_2)
	v_cndmask_b32_e64 v14, 0, 1, s16
	flat_load_b32 v240, v[178:179]
	v_lshlrev_b32_e32 v15, 30, v16
	; wave barrier
	v_cmp_ne_u32_e64 s16, 0, v14
	v_not_b32_e32 v14, v15
	s_delay_alu instid0(VALU_DEP_2) | instskip(SKIP_1) | instid1(VALU_DEP_3)
	v_xor_b32_e32 v0, s16, v0
	v_cmp_gt_i32_e64 s16, 0, v15
	v_ashrrev_i32_e32 v14, 31, v14
	v_not_b32_e32 v15, v17
	s_delay_alu instid0(VALU_DEP_4) | instskip(NEXT) | instid1(VALU_DEP_3)
	v_and_b32_e32 v0, exec_lo, v0
	v_xor_b32_e32 v14, s16, v14
	v_cmp_gt_i32_e64 s16, 0, v17
	s_delay_alu instid0(VALU_DEP_4) | instskip(SKIP_1) | instid1(VALU_DEP_4)
	v_ashrrev_i32_e32 v15, 31, v15
	v_not_b32_e32 v17, v18
	v_and_b32_e32 v0, v0, v14
	v_lshlrev_b32_e32 v14, 27, v16
	s_delay_alu instid0(VALU_DEP_4) | instskip(SKIP_2) | instid1(VALU_DEP_4)
	v_xor_b32_e32 v15, s16, v15
	v_cmp_gt_i32_e64 s16, 0, v18
	v_ashrrev_i32_e32 v17, 31, v17
	v_not_b32_e32 v18, v14
	s_delay_alu instid0(VALU_DEP_4) | instskip(SKIP_1) | instid1(VALU_DEP_4)
	v_and_b32_e32 v0, v0, v15
	v_lshlrev_b32_e32 v15, 26, v16
	v_xor_b32_e32 v17, s16, v17
	v_cmp_gt_i32_e64 s16, 0, v14
	v_ashrrev_i32_e32 v14, 31, v18
	s_delay_alu instid0(VALU_DEP_4) | instskip(NEXT) | instid1(VALU_DEP_4)
	v_not_b32_e32 v18, v15
	v_and_b32_e32 v0, v0, v17
	v_lshlrev_b32_e32 v17, 25, v16
	s_delay_alu instid0(VALU_DEP_4) | instskip(SKIP_2) | instid1(VALU_DEP_4)
	v_xor_b32_e32 v14, s16, v14
	v_cmp_gt_i32_e64 s16, 0, v15
	v_ashrrev_i32_e32 v15, 31, v18
	v_not_b32_e32 v18, v17
	s_delay_alu instid0(VALU_DEP_4) | instskip(SKIP_1) | instid1(VALU_DEP_4)
	v_and_b32_e32 v0, v0, v14
	v_lshlrev_b32_e32 v14, 24, v16
	v_xor_b32_e32 v15, s16, v15
	v_cmp_gt_i32_e64 s16, 0, v17
	v_ashrrev_i32_e32 v16, 31, v18
	s_delay_alu instid0(VALU_DEP_4) | instskip(NEXT) | instid1(VALU_DEP_4)
	v_not_b32_e32 v17, v14
	v_and_b32_e32 v0, v0, v15
	s_delay_alu instid0(VALU_DEP_3) | instskip(SKIP_1) | instid1(VALU_DEP_4)
	v_xor_b32_e32 v15, s16, v16
	v_cmp_gt_i32_e64 s16, 0, v14
	v_ashrrev_i32_e32 v14, 31, v17
	s_delay_alu instid0(VALU_DEP_3) | instskip(NEXT) | instid1(VALU_DEP_2)
	v_and_b32_e32 v0, v0, v15
	v_xor_b32_e32 v14, s16, v14
	s_delay_alu instid0(VALU_DEP_1) | instskip(NEXT) | instid1(VALU_DEP_1)
	v_and_b32_e32 v0, v0, v14
	v_mbcnt_lo_u32_b32 v241, v0, 0
	v_cmp_ne_u32_e64 s17, 0, v0
	s_delay_alu instid0(VALU_DEP_2) | instskip(NEXT) | instid1(VALU_DEP_1)
	v_cmp_eq_u32_e64 s16, 0, v241
	s_and_b32 s17, s17, s16
	s_delay_alu instid0(SALU_CYCLE_1)
	s_and_saveexec_b32 s16, s17
	s_cbranch_execz .LBB814_61
; %bb.60:                               ;   in Loop: Header=BB814_53 Depth=1
	s_waitcnt vmcnt(0) lgkmcnt(0)
	v_bcnt_u32_b32 v0, v0, v240
	flat_store_b32 v[178:179], v0
.LBB814_61:                             ;   in Loop: Header=BB814_53 Depth=1
	s_or_b32 exec_lo, exec_lo, s16
	v_lshrrev_b64 v[14:15], v10, v[116:117]
	; wave barrier
	s_delay_alu instid0(VALU_DEP_1) | instskip(NEXT) | instid1(VALU_DEP_1)
	v_and_b32_e32 v16, v14, v226
	v_lshl_add_u32 v0, v16, 3, v125
	v_lshlrev_b32_e32 v17, 29, v16
	v_lshlrev_b32_e32 v18, 28, v16
	s_delay_alu instid0(VALU_DEP_3) | instskip(SKIP_1) | instid1(VALU_DEP_2)
	v_lshlrev_b64 v[14:15], 2, v[0:1]
	v_and_b32_e32 v0, 1, v16
	v_add_co_u32 v180, s16, v25, v14
	s_delay_alu instid0(VALU_DEP_1) | instskip(NEXT) | instid1(VALU_DEP_3)
	v_add_co_ci_u32_e64 v181, s16, v124, v15, s16
	v_add_co_u32 v0, s16, v0, -1
	s_delay_alu instid0(VALU_DEP_1) | instskip(SKIP_3) | instid1(VALU_DEP_2)
	v_cndmask_b32_e64 v14, 0, 1, s16
	flat_load_b32 v242, v[180:181]
	v_lshlrev_b32_e32 v15, 30, v16
	; wave barrier
	v_cmp_ne_u32_e64 s16, 0, v14
	v_not_b32_e32 v14, v15
	s_delay_alu instid0(VALU_DEP_2) | instskip(SKIP_1) | instid1(VALU_DEP_3)
	v_xor_b32_e32 v0, s16, v0
	v_cmp_gt_i32_e64 s16, 0, v15
	v_ashrrev_i32_e32 v14, 31, v14
	v_not_b32_e32 v15, v17
	s_delay_alu instid0(VALU_DEP_4) | instskip(NEXT) | instid1(VALU_DEP_3)
	v_and_b32_e32 v0, exec_lo, v0
	v_xor_b32_e32 v14, s16, v14
	v_cmp_gt_i32_e64 s16, 0, v17
	s_delay_alu instid0(VALU_DEP_4) | instskip(SKIP_1) | instid1(VALU_DEP_4)
	v_ashrrev_i32_e32 v15, 31, v15
	v_not_b32_e32 v17, v18
	v_and_b32_e32 v0, v0, v14
	v_lshlrev_b32_e32 v14, 27, v16
	s_delay_alu instid0(VALU_DEP_4) | instskip(SKIP_2) | instid1(VALU_DEP_4)
	v_xor_b32_e32 v15, s16, v15
	v_cmp_gt_i32_e64 s16, 0, v18
	v_ashrrev_i32_e32 v17, 31, v17
	v_not_b32_e32 v18, v14
	s_delay_alu instid0(VALU_DEP_4) | instskip(SKIP_1) | instid1(VALU_DEP_4)
	v_and_b32_e32 v0, v0, v15
	v_lshlrev_b32_e32 v15, 26, v16
	v_xor_b32_e32 v17, s16, v17
	v_cmp_gt_i32_e64 s16, 0, v14
	v_ashrrev_i32_e32 v14, 31, v18
	s_delay_alu instid0(VALU_DEP_4) | instskip(NEXT) | instid1(VALU_DEP_4)
	v_not_b32_e32 v18, v15
	v_and_b32_e32 v0, v0, v17
	v_lshlrev_b32_e32 v17, 25, v16
	s_delay_alu instid0(VALU_DEP_4) | instskip(SKIP_2) | instid1(VALU_DEP_4)
	v_xor_b32_e32 v14, s16, v14
	v_cmp_gt_i32_e64 s16, 0, v15
	v_ashrrev_i32_e32 v15, 31, v18
	v_not_b32_e32 v18, v17
	s_delay_alu instid0(VALU_DEP_4) | instskip(SKIP_1) | instid1(VALU_DEP_4)
	v_and_b32_e32 v0, v0, v14
	v_lshlrev_b32_e32 v14, 24, v16
	v_xor_b32_e32 v15, s16, v15
	v_cmp_gt_i32_e64 s16, 0, v17
	v_ashrrev_i32_e32 v16, 31, v18
	s_delay_alu instid0(VALU_DEP_4) | instskip(NEXT) | instid1(VALU_DEP_4)
	v_not_b32_e32 v17, v14
	v_and_b32_e32 v0, v0, v15
	s_delay_alu instid0(VALU_DEP_3) | instskip(SKIP_1) | instid1(VALU_DEP_4)
	v_xor_b32_e32 v15, s16, v16
	v_cmp_gt_i32_e64 s16, 0, v14
	v_ashrrev_i32_e32 v14, 31, v17
	s_delay_alu instid0(VALU_DEP_3) | instskip(NEXT) | instid1(VALU_DEP_2)
	v_and_b32_e32 v0, v0, v15
	v_xor_b32_e32 v14, s16, v14
	s_delay_alu instid0(VALU_DEP_1) | instskip(NEXT) | instid1(VALU_DEP_1)
	v_and_b32_e32 v0, v0, v14
	v_mbcnt_lo_u32_b32 v243, v0, 0
	v_cmp_ne_u32_e64 s17, 0, v0
	s_delay_alu instid0(VALU_DEP_2) | instskip(NEXT) | instid1(VALU_DEP_1)
	v_cmp_eq_u32_e64 s16, 0, v243
	s_and_b32 s17, s17, s16
	s_delay_alu instid0(SALU_CYCLE_1)
	s_and_saveexec_b32 s16, s17
	s_cbranch_execz .LBB814_63
; %bb.62:                               ;   in Loop: Header=BB814_53 Depth=1
	s_waitcnt vmcnt(0) lgkmcnt(0)
	v_bcnt_u32_b32 v0, v0, v242
	flat_store_b32 v[180:181], v0
.LBB814_63:                             ;   in Loop: Header=BB814_53 Depth=1
	s_or_b32 exec_lo, exec_lo, s16
	v_lshrrev_b64 v[14:15], v10, v[118:119]
	; wave barrier
	s_delay_alu instid0(VALU_DEP_1) | instskip(NEXT) | instid1(VALU_DEP_1)
	v_and_b32_e32 v16, v14, v226
	v_lshl_add_u32 v0, v16, 3, v125
	v_lshlrev_b32_e32 v17, 29, v16
	v_lshlrev_b32_e32 v18, 28, v16
	s_delay_alu instid0(VALU_DEP_3) | instskip(SKIP_1) | instid1(VALU_DEP_2)
	v_lshlrev_b64 v[14:15], 2, v[0:1]
	v_and_b32_e32 v0, 1, v16
	v_add_co_u32 v182, s16, v25, v14
	s_delay_alu instid0(VALU_DEP_1) | instskip(NEXT) | instid1(VALU_DEP_3)
	v_add_co_ci_u32_e64 v183, s16, v124, v15, s16
	v_add_co_u32 v0, s16, v0, -1
	s_delay_alu instid0(VALU_DEP_1) | instskip(SKIP_3) | instid1(VALU_DEP_2)
	v_cndmask_b32_e64 v14, 0, 1, s16
	flat_load_b32 v244, v[182:183]
	v_lshlrev_b32_e32 v15, 30, v16
	; wave barrier
	v_cmp_ne_u32_e64 s16, 0, v14
	v_not_b32_e32 v14, v15
	s_delay_alu instid0(VALU_DEP_2) | instskip(SKIP_1) | instid1(VALU_DEP_3)
	v_xor_b32_e32 v0, s16, v0
	v_cmp_gt_i32_e64 s16, 0, v15
	v_ashrrev_i32_e32 v14, 31, v14
	v_not_b32_e32 v15, v17
	s_delay_alu instid0(VALU_DEP_4) | instskip(NEXT) | instid1(VALU_DEP_3)
	v_and_b32_e32 v0, exec_lo, v0
	v_xor_b32_e32 v14, s16, v14
	v_cmp_gt_i32_e64 s16, 0, v17
	s_delay_alu instid0(VALU_DEP_4) | instskip(SKIP_1) | instid1(VALU_DEP_4)
	v_ashrrev_i32_e32 v15, 31, v15
	v_not_b32_e32 v17, v18
	v_and_b32_e32 v0, v0, v14
	v_lshlrev_b32_e32 v14, 27, v16
	s_delay_alu instid0(VALU_DEP_4) | instskip(SKIP_2) | instid1(VALU_DEP_4)
	v_xor_b32_e32 v15, s16, v15
	v_cmp_gt_i32_e64 s16, 0, v18
	v_ashrrev_i32_e32 v17, 31, v17
	v_not_b32_e32 v18, v14
	s_delay_alu instid0(VALU_DEP_4) | instskip(SKIP_1) | instid1(VALU_DEP_4)
	v_and_b32_e32 v0, v0, v15
	v_lshlrev_b32_e32 v15, 26, v16
	v_xor_b32_e32 v17, s16, v17
	v_cmp_gt_i32_e64 s16, 0, v14
	v_ashrrev_i32_e32 v14, 31, v18
	s_delay_alu instid0(VALU_DEP_4) | instskip(NEXT) | instid1(VALU_DEP_4)
	v_not_b32_e32 v18, v15
	v_and_b32_e32 v0, v0, v17
	v_lshlrev_b32_e32 v17, 25, v16
	s_delay_alu instid0(VALU_DEP_4) | instskip(SKIP_2) | instid1(VALU_DEP_4)
	v_xor_b32_e32 v14, s16, v14
	v_cmp_gt_i32_e64 s16, 0, v15
	v_ashrrev_i32_e32 v15, 31, v18
	v_not_b32_e32 v18, v17
	s_delay_alu instid0(VALU_DEP_4) | instskip(SKIP_1) | instid1(VALU_DEP_4)
	v_and_b32_e32 v0, v0, v14
	v_lshlrev_b32_e32 v14, 24, v16
	v_xor_b32_e32 v15, s16, v15
	v_cmp_gt_i32_e64 s16, 0, v17
	v_ashrrev_i32_e32 v16, 31, v18
	s_delay_alu instid0(VALU_DEP_4) | instskip(NEXT) | instid1(VALU_DEP_4)
	v_not_b32_e32 v17, v14
	v_and_b32_e32 v0, v0, v15
	s_delay_alu instid0(VALU_DEP_3) | instskip(SKIP_1) | instid1(VALU_DEP_4)
	v_xor_b32_e32 v15, s16, v16
	v_cmp_gt_i32_e64 s16, 0, v14
	v_ashrrev_i32_e32 v14, 31, v17
	s_delay_alu instid0(VALU_DEP_3) | instskip(NEXT) | instid1(VALU_DEP_2)
	v_and_b32_e32 v0, v0, v15
	v_xor_b32_e32 v14, s16, v14
	s_delay_alu instid0(VALU_DEP_1) | instskip(NEXT) | instid1(VALU_DEP_1)
	v_and_b32_e32 v0, v0, v14
	v_mbcnt_lo_u32_b32 v245, v0, 0
	v_cmp_ne_u32_e64 s17, 0, v0
	s_delay_alu instid0(VALU_DEP_2) | instskip(NEXT) | instid1(VALU_DEP_1)
	v_cmp_eq_u32_e64 s16, 0, v245
	s_and_b32 s17, s17, s16
	s_delay_alu instid0(SALU_CYCLE_1)
	s_and_saveexec_b32 s16, s17
	s_cbranch_execz .LBB814_65
; %bb.64:                               ;   in Loop: Header=BB814_53 Depth=1
	s_waitcnt vmcnt(0) lgkmcnt(0)
	v_bcnt_u32_b32 v0, v0, v244
	flat_store_b32 v[182:183], v0
.LBB814_65:                             ;   in Loop: Header=BB814_53 Depth=1
	s_or_b32 exec_lo, exec_lo, s16
	v_lshrrev_b64 v[14:15], v10, v[128:129]
	; wave barrier
	s_delay_alu instid0(VALU_DEP_1) | instskip(NEXT) | instid1(VALU_DEP_1)
	v_and_b32_e32 v16, v14, v226
	v_lshl_add_u32 v0, v16, 3, v125
	v_lshlrev_b32_e32 v17, 29, v16
	v_lshlrev_b32_e32 v18, 28, v16
	s_delay_alu instid0(VALU_DEP_3) | instskip(SKIP_1) | instid1(VALU_DEP_2)
	v_lshlrev_b64 v[14:15], 2, v[0:1]
	v_and_b32_e32 v0, 1, v16
	v_add_co_u32 v192, s16, v25, v14
	s_delay_alu instid0(VALU_DEP_1) | instskip(NEXT) | instid1(VALU_DEP_3)
	v_add_co_ci_u32_e64 v193, s16, v124, v15, s16
	v_add_co_u32 v0, s16, v0, -1
	s_delay_alu instid0(VALU_DEP_1) | instskip(SKIP_3) | instid1(VALU_DEP_2)
	v_cndmask_b32_e64 v14, 0, 1, s16
	flat_load_b32 v246, v[192:193]
	v_lshlrev_b32_e32 v15, 30, v16
	; wave barrier
	v_cmp_ne_u32_e64 s16, 0, v14
	v_not_b32_e32 v14, v15
	s_delay_alu instid0(VALU_DEP_2) | instskip(SKIP_1) | instid1(VALU_DEP_3)
	v_xor_b32_e32 v0, s16, v0
	v_cmp_gt_i32_e64 s16, 0, v15
	v_ashrrev_i32_e32 v14, 31, v14
	v_not_b32_e32 v15, v17
	s_delay_alu instid0(VALU_DEP_4) | instskip(NEXT) | instid1(VALU_DEP_3)
	v_and_b32_e32 v0, exec_lo, v0
	v_xor_b32_e32 v14, s16, v14
	v_cmp_gt_i32_e64 s16, 0, v17
	s_delay_alu instid0(VALU_DEP_4) | instskip(SKIP_1) | instid1(VALU_DEP_4)
	v_ashrrev_i32_e32 v15, 31, v15
	v_not_b32_e32 v17, v18
	v_and_b32_e32 v0, v0, v14
	v_lshlrev_b32_e32 v14, 27, v16
	s_delay_alu instid0(VALU_DEP_4) | instskip(SKIP_2) | instid1(VALU_DEP_4)
	v_xor_b32_e32 v15, s16, v15
	v_cmp_gt_i32_e64 s16, 0, v18
	v_ashrrev_i32_e32 v17, 31, v17
	v_not_b32_e32 v18, v14
	s_delay_alu instid0(VALU_DEP_4) | instskip(SKIP_1) | instid1(VALU_DEP_4)
	v_and_b32_e32 v0, v0, v15
	v_lshlrev_b32_e32 v15, 26, v16
	v_xor_b32_e32 v17, s16, v17
	v_cmp_gt_i32_e64 s16, 0, v14
	v_ashrrev_i32_e32 v14, 31, v18
	s_delay_alu instid0(VALU_DEP_4) | instskip(NEXT) | instid1(VALU_DEP_4)
	v_not_b32_e32 v18, v15
	v_and_b32_e32 v0, v0, v17
	v_lshlrev_b32_e32 v17, 25, v16
	s_delay_alu instid0(VALU_DEP_4) | instskip(SKIP_2) | instid1(VALU_DEP_4)
	v_xor_b32_e32 v14, s16, v14
	v_cmp_gt_i32_e64 s16, 0, v15
	v_ashrrev_i32_e32 v15, 31, v18
	v_not_b32_e32 v18, v17
	s_delay_alu instid0(VALU_DEP_4) | instskip(SKIP_1) | instid1(VALU_DEP_4)
	v_and_b32_e32 v0, v0, v14
	v_lshlrev_b32_e32 v14, 24, v16
	v_xor_b32_e32 v15, s16, v15
	v_cmp_gt_i32_e64 s16, 0, v17
	v_ashrrev_i32_e32 v16, 31, v18
	s_delay_alu instid0(VALU_DEP_4) | instskip(NEXT) | instid1(VALU_DEP_4)
	v_not_b32_e32 v17, v14
	v_and_b32_e32 v0, v0, v15
	s_delay_alu instid0(VALU_DEP_3) | instskip(SKIP_1) | instid1(VALU_DEP_4)
	v_xor_b32_e32 v15, s16, v16
	v_cmp_gt_i32_e64 s16, 0, v14
	v_ashrrev_i32_e32 v14, 31, v17
	s_delay_alu instid0(VALU_DEP_3) | instskip(NEXT) | instid1(VALU_DEP_2)
	v_and_b32_e32 v0, v0, v15
	v_xor_b32_e32 v14, s16, v14
	s_delay_alu instid0(VALU_DEP_1) | instskip(NEXT) | instid1(VALU_DEP_1)
	v_and_b32_e32 v0, v0, v14
	v_mbcnt_lo_u32_b32 v247, v0, 0
	v_cmp_ne_u32_e64 s17, 0, v0
	s_delay_alu instid0(VALU_DEP_2) | instskip(NEXT) | instid1(VALU_DEP_1)
	v_cmp_eq_u32_e64 s16, 0, v247
	s_and_b32 s17, s17, s16
	s_delay_alu instid0(SALU_CYCLE_1)
	s_and_saveexec_b32 s16, s17
	s_cbranch_execz .LBB814_67
; %bb.66:                               ;   in Loop: Header=BB814_53 Depth=1
	s_waitcnt vmcnt(0) lgkmcnt(0)
	v_bcnt_u32_b32 v0, v0, v246
	flat_store_b32 v[192:193], v0
.LBB814_67:                             ;   in Loop: Header=BB814_53 Depth=1
	s_or_b32 exec_lo, exec_lo, s16
	v_lshrrev_b64 v[14:15], v10, v[134:135]
	; wave barrier
	s_delay_alu instid0(VALU_DEP_1) | instskip(NEXT) | instid1(VALU_DEP_1)
	v_and_b32_e32 v16, v14, v226
	v_lshl_add_u32 v0, v16, 3, v125
	v_lshlrev_b32_e32 v17, 29, v16
	v_lshlrev_b32_e32 v18, 28, v16
	s_delay_alu instid0(VALU_DEP_3) | instskip(SKIP_1) | instid1(VALU_DEP_2)
	v_lshlrev_b64 v[14:15], 2, v[0:1]
	v_and_b32_e32 v0, 1, v16
	v_add_co_u32 v194, s16, v25, v14
	s_delay_alu instid0(VALU_DEP_1) | instskip(NEXT) | instid1(VALU_DEP_3)
	v_add_co_ci_u32_e64 v195, s16, v124, v15, s16
	v_add_co_u32 v0, s16, v0, -1
	s_delay_alu instid0(VALU_DEP_1) | instskip(SKIP_3) | instid1(VALU_DEP_2)
	v_cndmask_b32_e64 v14, 0, 1, s16
	flat_load_b32 v40, v[194:195]
	v_lshlrev_b32_e32 v15, 30, v16
	; wave barrier
	v_cmp_ne_u32_e64 s16, 0, v14
	v_not_b32_e32 v14, v15
	s_delay_alu instid0(VALU_DEP_2) | instskip(SKIP_1) | instid1(VALU_DEP_3)
	v_xor_b32_e32 v0, s16, v0
	v_cmp_gt_i32_e64 s16, 0, v15
	v_ashrrev_i32_e32 v14, 31, v14
	v_not_b32_e32 v15, v17
	s_delay_alu instid0(VALU_DEP_4) | instskip(NEXT) | instid1(VALU_DEP_3)
	v_and_b32_e32 v0, exec_lo, v0
	v_xor_b32_e32 v14, s16, v14
	v_cmp_gt_i32_e64 s16, 0, v17
	s_delay_alu instid0(VALU_DEP_4) | instskip(SKIP_1) | instid1(VALU_DEP_4)
	v_ashrrev_i32_e32 v15, 31, v15
	v_not_b32_e32 v17, v18
	v_and_b32_e32 v0, v0, v14
	v_lshlrev_b32_e32 v14, 27, v16
	s_delay_alu instid0(VALU_DEP_4) | instskip(SKIP_2) | instid1(VALU_DEP_4)
	v_xor_b32_e32 v15, s16, v15
	v_cmp_gt_i32_e64 s16, 0, v18
	v_ashrrev_i32_e32 v17, 31, v17
	v_not_b32_e32 v18, v14
	s_delay_alu instid0(VALU_DEP_4) | instskip(SKIP_1) | instid1(VALU_DEP_4)
	v_and_b32_e32 v0, v0, v15
	v_lshlrev_b32_e32 v15, 26, v16
	v_xor_b32_e32 v17, s16, v17
	v_cmp_gt_i32_e64 s16, 0, v14
	v_ashrrev_i32_e32 v14, 31, v18
	s_delay_alu instid0(VALU_DEP_4) | instskip(NEXT) | instid1(VALU_DEP_4)
	v_not_b32_e32 v18, v15
	v_and_b32_e32 v0, v0, v17
	v_lshlrev_b32_e32 v17, 25, v16
	s_delay_alu instid0(VALU_DEP_4) | instskip(SKIP_2) | instid1(VALU_DEP_4)
	v_xor_b32_e32 v14, s16, v14
	v_cmp_gt_i32_e64 s16, 0, v15
	v_ashrrev_i32_e32 v15, 31, v18
	v_not_b32_e32 v18, v17
	s_delay_alu instid0(VALU_DEP_4) | instskip(SKIP_1) | instid1(VALU_DEP_4)
	v_and_b32_e32 v0, v0, v14
	v_lshlrev_b32_e32 v14, 24, v16
	v_xor_b32_e32 v15, s16, v15
	v_cmp_gt_i32_e64 s16, 0, v17
	v_ashrrev_i32_e32 v16, 31, v18
	s_delay_alu instid0(VALU_DEP_4) | instskip(NEXT) | instid1(VALU_DEP_4)
	v_not_b32_e32 v17, v14
	v_and_b32_e32 v0, v0, v15
	s_delay_alu instid0(VALU_DEP_3) | instskip(SKIP_1) | instid1(VALU_DEP_4)
	v_xor_b32_e32 v15, s16, v16
	v_cmp_gt_i32_e64 s16, 0, v14
	v_ashrrev_i32_e32 v14, 31, v17
	s_delay_alu instid0(VALU_DEP_3) | instskip(NEXT) | instid1(VALU_DEP_2)
	v_and_b32_e32 v0, v0, v15
	v_xor_b32_e32 v14, s16, v14
	s_delay_alu instid0(VALU_DEP_1) | instskip(NEXT) | instid1(VALU_DEP_1)
	v_and_b32_e32 v0, v0, v14
	v_mbcnt_lo_u32_b32 v41, v0, 0
	v_cmp_ne_u32_e64 s17, 0, v0
	s_delay_alu instid0(VALU_DEP_2) | instskip(NEXT) | instid1(VALU_DEP_1)
	v_cmp_eq_u32_e64 s16, 0, v41
	s_and_b32 s17, s17, s16
	s_delay_alu instid0(SALU_CYCLE_1)
	s_and_saveexec_b32 s16, s17
	s_cbranch_execz .LBB814_69
; %bb.68:                               ;   in Loop: Header=BB814_53 Depth=1
	s_waitcnt vmcnt(0) lgkmcnt(0)
	v_bcnt_u32_b32 v0, v0, v40
	flat_store_b32 v[194:195], v0
.LBB814_69:                             ;   in Loop: Header=BB814_53 Depth=1
	s_or_b32 exec_lo, exec_lo, s16
	v_lshrrev_b64 v[14:15], v10, v[132:133]
	; wave barrier
	s_delay_alu instid0(VALU_DEP_1) | instskip(NEXT) | instid1(VALU_DEP_1)
	v_and_b32_e32 v16, v14, v226
	v_lshl_add_u32 v0, v16, 3, v125
	v_lshlrev_b32_e32 v17, 29, v16
	v_lshlrev_b32_e32 v18, 28, v16
	s_delay_alu instid0(VALU_DEP_3) | instskip(SKIP_1) | instid1(VALU_DEP_2)
	v_lshlrev_b64 v[14:15], 2, v[0:1]
	v_and_b32_e32 v0, 1, v16
	v_add_co_u32 v196, s16, v25, v14
	s_delay_alu instid0(VALU_DEP_1) | instskip(NEXT) | instid1(VALU_DEP_3)
	v_add_co_ci_u32_e64 v197, s16, v124, v15, s16
	v_add_co_u32 v0, s16, v0, -1
	s_delay_alu instid0(VALU_DEP_1) | instskip(SKIP_3) | instid1(VALU_DEP_2)
	v_cndmask_b32_e64 v14, 0, 1, s16
	flat_load_b32 v42, v[196:197]
	v_lshlrev_b32_e32 v15, 30, v16
	; wave barrier
	v_cmp_ne_u32_e64 s16, 0, v14
	v_not_b32_e32 v14, v15
	s_delay_alu instid0(VALU_DEP_2) | instskip(SKIP_1) | instid1(VALU_DEP_3)
	v_xor_b32_e32 v0, s16, v0
	v_cmp_gt_i32_e64 s16, 0, v15
	v_ashrrev_i32_e32 v14, 31, v14
	v_not_b32_e32 v15, v17
	s_delay_alu instid0(VALU_DEP_4) | instskip(NEXT) | instid1(VALU_DEP_3)
	v_and_b32_e32 v0, exec_lo, v0
	v_xor_b32_e32 v14, s16, v14
	v_cmp_gt_i32_e64 s16, 0, v17
	s_delay_alu instid0(VALU_DEP_4) | instskip(SKIP_1) | instid1(VALU_DEP_4)
	v_ashrrev_i32_e32 v15, 31, v15
	v_not_b32_e32 v17, v18
	v_and_b32_e32 v0, v0, v14
	v_lshlrev_b32_e32 v14, 27, v16
	s_delay_alu instid0(VALU_DEP_4) | instskip(SKIP_2) | instid1(VALU_DEP_4)
	v_xor_b32_e32 v15, s16, v15
	v_cmp_gt_i32_e64 s16, 0, v18
	v_ashrrev_i32_e32 v17, 31, v17
	v_not_b32_e32 v18, v14
	s_delay_alu instid0(VALU_DEP_4) | instskip(SKIP_1) | instid1(VALU_DEP_4)
	v_and_b32_e32 v0, v0, v15
	v_lshlrev_b32_e32 v15, 26, v16
	v_xor_b32_e32 v17, s16, v17
	v_cmp_gt_i32_e64 s16, 0, v14
	v_ashrrev_i32_e32 v14, 31, v18
	s_delay_alu instid0(VALU_DEP_4) | instskip(NEXT) | instid1(VALU_DEP_4)
	v_not_b32_e32 v18, v15
	v_and_b32_e32 v0, v0, v17
	v_lshlrev_b32_e32 v17, 25, v16
	s_delay_alu instid0(VALU_DEP_4) | instskip(SKIP_2) | instid1(VALU_DEP_4)
	v_xor_b32_e32 v14, s16, v14
	v_cmp_gt_i32_e64 s16, 0, v15
	v_ashrrev_i32_e32 v15, 31, v18
	v_not_b32_e32 v18, v17
	s_delay_alu instid0(VALU_DEP_4) | instskip(SKIP_1) | instid1(VALU_DEP_4)
	v_and_b32_e32 v0, v0, v14
	v_lshlrev_b32_e32 v14, 24, v16
	v_xor_b32_e32 v15, s16, v15
	v_cmp_gt_i32_e64 s16, 0, v17
	v_ashrrev_i32_e32 v16, 31, v18
	s_delay_alu instid0(VALU_DEP_4) | instskip(NEXT) | instid1(VALU_DEP_4)
	v_not_b32_e32 v17, v14
	v_and_b32_e32 v0, v0, v15
	s_delay_alu instid0(VALU_DEP_3) | instskip(SKIP_1) | instid1(VALU_DEP_4)
	v_xor_b32_e32 v15, s16, v16
	v_cmp_gt_i32_e64 s16, 0, v14
	v_ashrrev_i32_e32 v14, 31, v17
	s_delay_alu instid0(VALU_DEP_3) | instskip(NEXT) | instid1(VALU_DEP_2)
	v_and_b32_e32 v0, v0, v15
	v_xor_b32_e32 v14, s16, v14
	s_delay_alu instid0(VALU_DEP_1) | instskip(NEXT) | instid1(VALU_DEP_1)
	v_and_b32_e32 v0, v0, v14
	v_mbcnt_lo_u32_b32 v43, v0, 0
	v_cmp_ne_u32_e64 s17, 0, v0
	s_delay_alu instid0(VALU_DEP_2) | instskip(NEXT) | instid1(VALU_DEP_1)
	v_cmp_eq_u32_e64 s16, 0, v43
	s_and_b32 s17, s17, s16
	s_delay_alu instid0(SALU_CYCLE_1)
	s_and_saveexec_b32 s16, s17
	s_cbranch_execz .LBB814_71
; %bb.70:                               ;   in Loop: Header=BB814_53 Depth=1
	s_waitcnt vmcnt(0) lgkmcnt(0)
	v_bcnt_u32_b32 v0, v0, v42
	flat_store_b32 v[196:197], v0
.LBB814_71:                             ;   in Loop: Header=BB814_53 Depth=1
	s_or_b32 exec_lo, exec_lo, s16
	v_lshrrev_b64 v[14:15], v10, v[130:131]
	; wave barrier
	s_delay_alu instid0(VALU_DEP_1) | instskip(NEXT) | instid1(VALU_DEP_1)
	v_and_b32_e32 v16, v14, v226
	v_lshl_add_u32 v0, v16, 3, v125
	v_lshlrev_b32_e32 v17, 29, v16
	v_lshlrev_b32_e32 v18, 28, v16
	s_delay_alu instid0(VALU_DEP_3) | instskip(SKIP_1) | instid1(VALU_DEP_2)
	v_lshlrev_b64 v[14:15], 2, v[0:1]
	v_and_b32_e32 v0, 1, v16
	v_add_co_u32 v198, s16, v25, v14
	s_delay_alu instid0(VALU_DEP_1) | instskip(NEXT) | instid1(VALU_DEP_3)
	v_add_co_ci_u32_e64 v199, s16, v124, v15, s16
	v_add_co_u32 v0, s16, v0, -1
	s_delay_alu instid0(VALU_DEP_1) | instskip(SKIP_3) | instid1(VALU_DEP_2)
	v_cndmask_b32_e64 v14, 0, 1, s16
	flat_load_b32 v44, v[198:199]
	v_lshlrev_b32_e32 v15, 30, v16
	; wave barrier
	v_cmp_ne_u32_e64 s16, 0, v14
	v_not_b32_e32 v14, v15
	s_delay_alu instid0(VALU_DEP_2) | instskip(SKIP_1) | instid1(VALU_DEP_3)
	v_xor_b32_e32 v0, s16, v0
	v_cmp_gt_i32_e64 s16, 0, v15
	v_ashrrev_i32_e32 v14, 31, v14
	v_not_b32_e32 v15, v17
	s_delay_alu instid0(VALU_DEP_4) | instskip(NEXT) | instid1(VALU_DEP_3)
	v_and_b32_e32 v0, exec_lo, v0
	v_xor_b32_e32 v14, s16, v14
	v_cmp_gt_i32_e64 s16, 0, v17
	s_delay_alu instid0(VALU_DEP_4) | instskip(SKIP_1) | instid1(VALU_DEP_4)
	v_ashrrev_i32_e32 v15, 31, v15
	v_not_b32_e32 v17, v18
	v_and_b32_e32 v0, v0, v14
	v_lshlrev_b32_e32 v14, 27, v16
	s_delay_alu instid0(VALU_DEP_4) | instskip(SKIP_2) | instid1(VALU_DEP_4)
	v_xor_b32_e32 v15, s16, v15
	v_cmp_gt_i32_e64 s16, 0, v18
	v_ashrrev_i32_e32 v17, 31, v17
	v_not_b32_e32 v18, v14
	s_delay_alu instid0(VALU_DEP_4) | instskip(SKIP_1) | instid1(VALU_DEP_4)
	v_and_b32_e32 v0, v0, v15
	v_lshlrev_b32_e32 v15, 26, v16
	v_xor_b32_e32 v17, s16, v17
	v_cmp_gt_i32_e64 s16, 0, v14
	v_ashrrev_i32_e32 v14, 31, v18
	s_delay_alu instid0(VALU_DEP_4) | instskip(NEXT) | instid1(VALU_DEP_4)
	v_not_b32_e32 v18, v15
	v_and_b32_e32 v0, v0, v17
	v_lshlrev_b32_e32 v17, 25, v16
	s_delay_alu instid0(VALU_DEP_4) | instskip(SKIP_2) | instid1(VALU_DEP_4)
	v_xor_b32_e32 v14, s16, v14
	v_cmp_gt_i32_e64 s16, 0, v15
	v_ashrrev_i32_e32 v15, 31, v18
	v_not_b32_e32 v18, v17
	s_delay_alu instid0(VALU_DEP_4) | instskip(SKIP_1) | instid1(VALU_DEP_4)
	v_and_b32_e32 v0, v0, v14
	v_lshlrev_b32_e32 v14, 24, v16
	v_xor_b32_e32 v15, s16, v15
	v_cmp_gt_i32_e64 s16, 0, v17
	v_ashrrev_i32_e32 v16, 31, v18
	s_delay_alu instid0(VALU_DEP_4) | instskip(NEXT) | instid1(VALU_DEP_4)
	v_not_b32_e32 v17, v14
	v_and_b32_e32 v0, v0, v15
	s_delay_alu instid0(VALU_DEP_3) | instskip(SKIP_1) | instid1(VALU_DEP_4)
	v_xor_b32_e32 v15, s16, v16
	v_cmp_gt_i32_e64 s16, 0, v14
	v_ashrrev_i32_e32 v14, 31, v17
	s_delay_alu instid0(VALU_DEP_3) | instskip(NEXT) | instid1(VALU_DEP_2)
	v_and_b32_e32 v0, v0, v15
	v_xor_b32_e32 v14, s16, v14
	s_delay_alu instid0(VALU_DEP_1) | instskip(NEXT) | instid1(VALU_DEP_1)
	v_and_b32_e32 v0, v0, v14
	v_mbcnt_lo_u32_b32 v45, v0, 0
	v_cmp_ne_u32_e64 s17, 0, v0
	s_delay_alu instid0(VALU_DEP_2) | instskip(NEXT) | instid1(VALU_DEP_1)
	v_cmp_eq_u32_e64 s16, 0, v45
	s_and_b32 s17, s17, s16
	s_delay_alu instid0(SALU_CYCLE_1)
	s_and_saveexec_b32 s16, s17
	s_cbranch_execz .LBB814_73
; %bb.72:                               ;   in Loop: Header=BB814_53 Depth=1
	s_waitcnt vmcnt(0) lgkmcnt(0)
	v_bcnt_u32_b32 v0, v0, v44
	flat_store_b32 v[198:199], v0
.LBB814_73:                             ;   in Loop: Header=BB814_53 Depth=1
	s_or_b32 exec_lo, exec_lo, s16
	v_lshrrev_b64 v[14:15], v10, v[150:151]
	; wave barrier
	s_delay_alu instid0(VALU_DEP_1) | instskip(NEXT) | instid1(VALU_DEP_1)
	v_and_b32_e32 v16, v14, v226
	v_lshl_add_u32 v0, v16, 3, v125
	v_lshlrev_b32_e32 v17, 29, v16
	v_lshlrev_b32_e32 v18, 28, v16
	s_delay_alu instid0(VALU_DEP_3) | instskip(SKIP_1) | instid1(VALU_DEP_2)
	v_lshlrev_b64 v[14:15], 2, v[0:1]
	v_and_b32_e32 v0, 1, v16
	v_add_co_u32 v208, s16, v25, v14
	s_delay_alu instid0(VALU_DEP_1) | instskip(NEXT) | instid1(VALU_DEP_3)
	v_add_co_ci_u32_e64 v209, s16, v124, v15, s16
	v_add_co_u32 v0, s16, v0, -1
	s_delay_alu instid0(VALU_DEP_1) | instskip(SKIP_3) | instid1(VALU_DEP_2)
	v_cndmask_b32_e64 v14, 0, 1, s16
	flat_load_b32 v46, v[208:209]
	v_lshlrev_b32_e32 v15, 30, v16
	; wave barrier
	v_cmp_ne_u32_e64 s16, 0, v14
	v_not_b32_e32 v14, v15
	s_delay_alu instid0(VALU_DEP_2) | instskip(SKIP_1) | instid1(VALU_DEP_3)
	v_xor_b32_e32 v0, s16, v0
	v_cmp_gt_i32_e64 s16, 0, v15
	v_ashrrev_i32_e32 v14, 31, v14
	v_not_b32_e32 v15, v17
	s_delay_alu instid0(VALU_DEP_4) | instskip(NEXT) | instid1(VALU_DEP_3)
	v_and_b32_e32 v0, exec_lo, v0
	v_xor_b32_e32 v14, s16, v14
	v_cmp_gt_i32_e64 s16, 0, v17
	s_delay_alu instid0(VALU_DEP_4) | instskip(SKIP_1) | instid1(VALU_DEP_4)
	v_ashrrev_i32_e32 v15, 31, v15
	v_not_b32_e32 v17, v18
	v_and_b32_e32 v0, v0, v14
	v_lshlrev_b32_e32 v14, 27, v16
	s_delay_alu instid0(VALU_DEP_4) | instskip(SKIP_2) | instid1(VALU_DEP_4)
	v_xor_b32_e32 v15, s16, v15
	v_cmp_gt_i32_e64 s16, 0, v18
	v_ashrrev_i32_e32 v17, 31, v17
	v_not_b32_e32 v18, v14
	s_delay_alu instid0(VALU_DEP_4) | instskip(SKIP_1) | instid1(VALU_DEP_4)
	v_and_b32_e32 v0, v0, v15
	v_lshlrev_b32_e32 v15, 26, v16
	v_xor_b32_e32 v17, s16, v17
	v_cmp_gt_i32_e64 s16, 0, v14
	v_ashrrev_i32_e32 v14, 31, v18
	s_delay_alu instid0(VALU_DEP_4) | instskip(NEXT) | instid1(VALU_DEP_4)
	v_not_b32_e32 v18, v15
	v_and_b32_e32 v0, v0, v17
	v_lshlrev_b32_e32 v17, 25, v16
	s_delay_alu instid0(VALU_DEP_4) | instskip(SKIP_2) | instid1(VALU_DEP_4)
	v_xor_b32_e32 v14, s16, v14
	v_cmp_gt_i32_e64 s16, 0, v15
	v_ashrrev_i32_e32 v15, 31, v18
	v_not_b32_e32 v18, v17
	s_delay_alu instid0(VALU_DEP_4) | instskip(SKIP_1) | instid1(VALU_DEP_4)
	v_and_b32_e32 v0, v0, v14
	v_lshlrev_b32_e32 v14, 24, v16
	v_xor_b32_e32 v15, s16, v15
	v_cmp_gt_i32_e64 s16, 0, v17
	v_ashrrev_i32_e32 v16, 31, v18
	s_delay_alu instid0(VALU_DEP_4) | instskip(NEXT) | instid1(VALU_DEP_4)
	v_not_b32_e32 v17, v14
	v_and_b32_e32 v0, v0, v15
	s_delay_alu instid0(VALU_DEP_3) | instskip(SKIP_1) | instid1(VALU_DEP_4)
	v_xor_b32_e32 v15, s16, v16
	v_cmp_gt_i32_e64 s16, 0, v14
	v_ashrrev_i32_e32 v14, 31, v17
	s_delay_alu instid0(VALU_DEP_3) | instskip(NEXT) | instid1(VALU_DEP_2)
	v_and_b32_e32 v0, v0, v15
	v_xor_b32_e32 v14, s16, v14
	s_delay_alu instid0(VALU_DEP_1) | instskip(NEXT) | instid1(VALU_DEP_1)
	v_and_b32_e32 v0, v0, v14
	v_mbcnt_lo_u32_b32 v56, v0, 0
	v_cmp_ne_u32_e64 s17, 0, v0
	s_delay_alu instid0(VALU_DEP_2) | instskip(NEXT) | instid1(VALU_DEP_1)
	v_cmp_eq_u32_e64 s16, 0, v56
	s_and_b32 s17, s17, s16
	s_delay_alu instid0(SALU_CYCLE_1)
	s_and_saveexec_b32 s16, s17
	s_cbranch_execz .LBB814_75
; %bb.74:                               ;   in Loop: Header=BB814_53 Depth=1
	s_waitcnt vmcnt(0) lgkmcnt(0)
	v_bcnt_u32_b32 v0, v0, v46
	flat_store_b32 v[208:209], v0
.LBB814_75:                             ;   in Loop: Header=BB814_53 Depth=1
	s_or_b32 exec_lo, exec_lo, s16
	v_lshrrev_b64 v[14:15], v10, v[148:149]
	; wave barrier
	s_delay_alu instid0(VALU_DEP_1) | instskip(NEXT) | instid1(VALU_DEP_1)
	v_and_b32_e32 v16, v14, v226
	v_lshl_add_u32 v0, v16, 3, v125
	v_lshlrev_b32_e32 v17, 29, v16
	v_lshlrev_b32_e32 v18, 28, v16
	s_delay_alu instid0(VALU_DEP_3) | instskip(SKIP_1) | instid1(VALU_DEP_2)
	v_lshlrev_b64 v[14:15], 2, v[0:1]
	v_and_b32_e32 v0, 1, v16
	v_add_co_u32 v210, s16, v25, v14
	s_delay_alu instid0(VALU_DEP_1) | instskip(NEXT) | instid1(VALU_DEP_3)
	v_add_co_ci_u32_e64 v211, s16, v124, v15, s16
	v_add_co_u32 v0, s16, v0, -1
	s_delay_alu instid0(VALU_DEP_1) | instskip(SKIP_3) | instid1(VALU_DEP_2)
	v_cndmask_b32_e64 v14, 0, 1, s16
	flat_load_b32 v57, v[210:211]
	v_lshlrev_b32_e32 v15, 30, v16
	; wave barrier
	v_cmp_ne_u32_e64 s16, 0, v14
	v_not_b32_e32 v14, v15
	s_delay_alu instid0(VALU_DEP_2) | instskip(SKIP_1) | instid1(VALU_DEP_3)
	v_xor_b32_e32 v0, s16, v0
	v_cmp_gt_i32_e64 s16, 0, v15
	v_ashrrev_i32_e32 v14, 31, v14
	v_not_b32_e32 v15, v17
	s_delay_alu instid0(VALU_DEP_4) | instskip(NEXT) | instid1(VALU_DEP_3)
	v_and_b32_e32 v0, exec_lo, v0
	v_xor_b32_e32 v14, s16, v14
	v_cmp_gt_i32_e64 s16, 0, v17
	s_delay_alu instid0(VALU_DEP_4) | instskip(SKIP_1) | instid1(VALU_DEP_4)
	v_ashrrev_i32_e32 v15, 31, v15
	v_not_b32_e32 v17, v18
	v_and_b32_e32 v0, v0, v14
	v_lshlrev_b32_e32 v14, 27, v16
	s_delay_alu instid0(VALU_DEP_4) | instskip(SKIP_2) | instid1(VALU_DEP_4)
	v_xor_b32_e32 v15, s16, v15
	v_cmp_gt_i32_e64 s16, 0, v18
	v_ashrrev_i32_e32 v17, 31, v17
	v_not_b32_e32 v18, v14
	s_delay_alu instid0(VALU_DEP_4) | instskip(SKIP_1) | instid1(VALU_DEP_4)
	v_and_b32_e32 v0, v0, v15
	v_lshlrev_b32_e32 v15, 26, v16
	v_xor_b32_e32 v17, s16, v17
	v_cmp_gt_i32_e64 s16, 0, v14
	v_ashrrev_i32_e32 v14, 31, v18
	s_delay_alu instid0(VALU_DEP_4) | instskip(NEXT) | instid1(VALU_DEP_4)
	v_not_b32_e32 v18, v15
	v_and_b32_e32 v0, v0, v17
	v_lshlrev_b32_e32 v17, 25, v16
	s_delay_alu instid0(VALU_DEP_4) | instskip(SKIP_2) | instid1(VALU_DEP_4)
	v_xor_b32_e32 v14, s16, v14
	v_cmp_gt_i32_e64 s16, 0, v15
	v_ashrrev_i32_e32 v15, 31, v18
	v_not_b32_e32 v18, v17
	s_delay_alu instid0(VALU_DEP_4) | instskip(SKIP_1) | instid1(VALU_DEP_4)
	v_and_b32_e32 v0, v0, v14
	v_lshlrev_b32_e32 v14, 24, v16
	v_xor_b32_e32 v15, s16, v15
	v_cmp_gt_i32_e64 s16, 0, v17
	v_ashrrev_i32_e32 v16, 31, v18
	s_delay_alu instid0(VALU_DEP_4) | instskip(NEXT) | instid1(VALU_DEP_4)
	v_not_b32_e32 v17, v14
	v_and_b32_e32 v0, v0, v15
	s_delay_alu instid0(VALU_DEP_3) | instskip(SKIP_1) | instid1(VALU_DEP_4)
	v_xor_b32_e32 v15, s16, v16
	v_cmp_gt_i32_e64 s16, 0, v14
	v_ashrrev_i32_e32 v14, 31, v17
	s_delay_alu instid0(VALU_DEP_3) | instskip(NEXT) | instid1(VALU_DEP_2)
	v_and_b32_e32 v0, v0, v15
	v_xor_b32_e32 v14, s16, v14
	s_delay_alu instid0(VALU_DEP_1) | instskip(NEXT) | instid1(VALU_DEP_1)
	v_and_b32_e32 v0, v0, v14
	v_mbcnt_lo_u32_b32 v58, v0, 0
	v_cmp_ne_u32_e64 s17, 0, v0
	s_delay_alu instid0(VALU_DEP_2) | instskip(NEXT) | instid1(VALU_DEP_1)
	v_cmp_eq_u32_e64 s16, 0, v58
	s_and_b32 s17, s17, s16
	s_delay_alu instid0(SALU_CYCLE_1)
	s_and_saveexec_b32 s16, s17
	s_cbranch_execz .LBB814_77
; %bb.76:                               ;   in Loop: Header=BB814_53 Depth=1
	s_waitcnt vmcnt(0) lgkmcnt(0)
	v_bcnt_u32_b32 v0, v0, v57
	flat_store_b32 v[210:211], v0
.LBB814_77:                             ;   in Loop: Header=BB814_53 Depth=1
	s_or_b32 exec_lo, exec_lo, s16
	v_lshrrev_b64 v[14:15], v10, v[146:147]
	; wave barrier
	s_delay_alu instid0(VALU_DEP_1) | instskip(NEXT) | instid1(VALU_DEP_1)
	v_and_b32_e32 v16, v14, v226
	v_lshl_add_u32 v0, v16, 3, v125
	v_lshlrev_b32_e32 v17, 29, v16
	v_lshlrev_b32_e32 v18, 28, v16
	s_delay_alu instid0(VALU_DEP_3) | instskip(SKIP_1) | instid1(VALU_DEP_2)
	v_lshlrev_b64 v[14:15], 2, v[0:1]
	v_and_b32_e32 v0, 1, v16
	v_add_co_u32 v212, s16, v25, v14
	s_delay_alu instid0(VALU_DEP_1) | instskip(NEXT) | instid1(VALU_DEP_3)
	v_add_co_ci_u32_e64 v213, s16, v124, v15, s16
	v_add_co_u32 v0, s16, v0, -1
	s_delay_alu instid0(VALU_DEP_1) | instskip(SKIP_3) | instid1(VALU_DEP_2)
	v_cndmask_b32_e64 v14, 0, 1, s16
	flat_load_b32 v59, v[212:213]
	v_lshlrev_b32_e32 v15, 30, v16
	; wave barrier
	v_cmp_ne_u32_e64 s16, 0, v14
	v_not_b32_e32 v14, v15
	s_delay_alu instid0(VALU_DEP_2) | instskip(SKIP_1) | instid1(VALU_DEP_3)
	v_xor_b32_e32 v0, s16, v0
	v_cmp_gt_i32_e64 s16, 0, v15
	v_ashrrev_i32_e32 v14, 31, v14
	v_not_b32_e32 v15, v17
	s_delay_alu instid0(VALU_DEP_4) | instskip(NEXT) | instid1(VALU_DEP_3)
	v_and_b32_e32 v0, exec_lo, v0
	v_xor_b32_e32 v14, s16, v14
	v_cmp_gt_i32_e64 s16, 0, v17
	s_delay_alu instid0(VALU_DEP_4) | instskip(SKIP_1) | instid1(VALU_DEP_4)
	v_ashrrev_i32_e32 v15, 31, v15
	v_not_b32_e32 v17, v18
	v_and_b32_e32 v0, v0, v14
	v_lshlrev_b32_e32 v14, 27, v16
	s_delay_alu instid0(VALU_DEP_4) | instskip(SKIP_2) | instid1(VALU_DEP_4)
	v_xor_b32_e32 v15, s16, v15
	v_cmp_gt_i32_e64 s16, 0, v18
	v_ashrrev_i32_e32 v17, 31, v17
	v_not_b32_e32 v18, v14
	s_delay_alu instid0(VALU_DEP_4) | instskip(SKIP_1) | instid1(VALU_DEP_4)
	v_and_b32_e32 v0, v0, v15
	v_lshlrev_b32_e32 v15, 26, v16
	v_xor_b32_e32 v17, s16, v17
	v_cmp_gt_i32_e64 s16, 0, v14
	v_ashrrev_i32_e32 v14, 31, v18
	s_delay_alu instid0(VALU_DEP_4) | instskip(NEXT) | instid1(VALU_DEP_4)
	v_not_b32_e32 v18, v15
	v_and_b32_e32 v0, v0, v17
	v_lshlrev_b32_e32 v17, 25, v16
	s_delay_alu instid0(VALU_DEP_4) | instskip(SKIP_2) | instid1(VALU_DEP_4)
	v_xor_b32_e32 v14, s16, v14
	v_cmp_gt_i32_e64 s16, 0, v15
	v_ashrrev_i32_e32 v15, 31, v18
	v_not_b32_e32 v18, v17
	s_delay_alu instid0(VALU_DEP_4) | instskip(SKIP_1) | instid1(VALU_DEP_4)
	v_and_b32_e32 v0, v0, v14
	v_lshlrev_b32_e32 v14, 24, v16
	v_xor_b32_e32 v15, s16, v15
	v_cmp_gt_i32_e64 s16, 0, v17
	v_ashrrev_i32_e32 v16, 31, v18
	s_delay_alu instid0(VALU_DEP_4) | instskip(NEXT) | instid1(VALU_DEP_4)
	v_not_b32_e32 v17, v14
	v_and_b32_e32 v0, v0, v15
	s_delay_alu instid0(VALU_DEP_3) | instskip(SKIP_1) | instid1(VALU_DEP_4)
	v_xor_b32_e32 v15, s16, v16
	v_cmp_gt_i32_e64 s16, 0, v14
	v_ashrrev_i32_e32 v14, 31, v17
	s_delay_alu instid0(VALU_DEP_3) | instskip(NEXT) | instid1(VALU_DEP_2)
	v_and_b32_e32 v0, v0, v15
	v_xor_b32_e32 v14, s16, v14
	s_delay_alu instid0(VALU_DEP_1) | instskip(NEXT) | instid1(VALU_DEP_1)
	v_and_b32_e32 v0, v0, v14
	v_mbcnt_lo_u32_b32 v60, v0, 0
	v_cmp_ne_u32_e64 s17, 0, v0
	s_delay_alu instid0(VALU_DEP_2) | instskip(NEXT) | instid1(VALU_DEP_1)
	v_cmp_eq_u32_e64 s16, 0, v60
	s_and_b32 s17, s17, s16
	s_delay_alu instid0(SALU_CYCLE_1)
	s_and_saveexec_b32 s16, s17
	s_cbranch_execz .LBB814_79
; %bb.78:                               ;   in Loop: Header=BB814_53 Depth=1
	s_waitcnt vmcnt(0) lgkmcnt(0)
	v_bcnt_u32_b32 v0, v0, v59
	flat_store_b32 v[212:213], v0
.LBB814_79:                             ;   in Loop: Header=BB814_53 Depth=1
	s_or_b32 exec_lo, exec_lo, s16
	v_lshrrev_b64 v[14:15], v10, v[144:145]
	; wave barrier
	s_delay_alu instid0(VALU_DEP_1) | instskip(NEXT) | instid1(VALU_DEP_1)
	v_and_b32_e32 v16, v14, v226
	v_lshl_add_u32 v0, v16, 3, v125
	v_lshlrev_b32_e32 v17, 29, v16
	v_lshlrev_b32_e32 v18, 28, v16
	s_delay_alu instid0(VALU_DEP_3) | instskip(SKIP_1) | instid1(VALU_DEP_2)
	v_lshlrev_b64 v[14:15], 2, v[0:1]
	v_and_b32_e32 v0, 1, v16
	v_add_co_u32 v214, s16, v25, v14
	s_delay_alu instid0(VALU_DEP_1) | instskip(NEXT) | instid1(VALU_DEP_3)
	v_add_co_ci_u32_e64 v215, s16, v124, v15, s16
	v_add_co_u32 v0, s16, v0, -1
	s_delay_alu instid0(VALU_DEP_1) | instskip(SKIP_3) | instid1(VALU_DEP_2)
	v_cndmask_b32_e64 v14, 0, 1, s16
	flat_load_b32 v61, v[214:215]
	v_lshlrev_b32_e32 v15, 30, v16
	; wave barrier
	v_cmp_ne_u32_e64 s16, 0, v14
	v_not_b32_e32 v14, v15
	s_delay_alu instid0(VALU_DEP_2) | instskip(SKIP_1) | instid1(VALU_DEP_3)
	v_xor_b32_e32 v0, s16, v0
	v_cmp_gt_i32_e64 s16, 0, v15
	v_ashrrev_i32_e32 v14, 31, v14
	v_not_b32_e32 v15, v17
	s_delay_alu instid0(VALU_DEP_4) | instskip(NEXT) | instid1(VALU_DEP_3)
	v_and_b32_e32 v0, exec_lo, v0
	v_xor_b32_e32 v14, s16, v14
	v_cmp_gt_i32_e64 s16, 0, v17
	s_delay_alu instid0(VALU_DEP_4) | instskip(SKIP_1) | instid1(VALU_DEP_4)
	v_ashrrev_i32_e32 v15, 31, v15
	v_not_b32_e32 v17, v18
	v_and_b32_e32 v0, v0, v14
	v_lshlrev_b32_e32 v14, 27, v16
	s_delay_alu instid0(VALU_DEP_4) | instskip(SKIP_2) | instid1(VALU_DEP_4)
	v_xor_b32_e32 v15, s16, v15
	v_cmp_gt_i32_e64 s16, 0, v18
	v_ashrrev_i32_e32 v17, 31, v17
	v_not_b32_e32 v18, v14
	s_delay_alu instid0(VALU_DEP_4) | instskip(SKIP_1) | instid1(VALU_DEP_4)
	v_and_b32_e32 v0, v0, v15
	v_lshlrev_b32_e32 v15, 26, v16
	v_xor_b32_e32 v17, s16, v17
	v_cmp_gt_i32_e64 s16, 0, v14
	v_ashrrev_i32_e32 v14, 31, v18
	s_delay_alu instid0(VALU_DEP_4) | instskip(NEXT) | instid1(VALU_DEP_4)
	v_not_b32_e32 v18, v15
	v_and_b32_e32 v0, v0, v17
	v_lshlrev_b32_e32 v17, 25, v16
	s_delay_alu instid0(VALU_DEP_4) | instskip(SKIP_2) | instid1(VALU_DEP_4)
	v_xor_b32_e32 v14, s16, v14
	v_cmp_gt_i32_e64 s16, 0, v15
	v_ashrrev_i32_e32 v15, 31, v18
	v_not_b32_e32 v18, v17
	s_delay_alu instid0(VALU_DEP_4) | instskip(SKIP_1) | instid1(VALU_DEP_4)
	v_and_b32_e32 v0, v0, v14
	v_lshlrev_b32_e32 v14, 24, v16
	v_xor_b32_e32 v15, s16, v15
	v_cmp_gt_i32_e64 s16, 0, v17
	v_ashrrev_i32_e32 v16, 31, v18
	s_delay_alu instid0(VALU_DEP_4) | instskip(NEXT) | instid1(VALU_DEP_4)
	v_not_b32_e32 v17, v14
	v_and_b32_e32 v0, v0, v15
	s_delay_alu instid0(VALU_DEP_3) | instskip(SKIP_1) | instid1(VALU_DEP_4)
	v_xor_b32_e32 v15, s16, v16
	v_cmp_gt_i32_e64 s16, 0, v14
	v_ashrrev_i32_e32 v14, 31, v17
	s_delay_alu instid0(VALU_DEP_3) | instskip(NEXT) | instid1(VALU_DEP_2)
	v_and_b32_e32 v0, v0, v15
	v_xor_b32_e32 v14, s16, v14
	s_delay_alu instid0(VALU_DEP_1) | instskip(NEXT) | instid1(VALU_DEP_1)
	v_and_b32_e32 v0, v0, v14
	v_mbcnt_lo_u32_b32 v62, v0, 0
	v_cmp_ne_u32_e64 s17, 0, v0
	s_delay_alu instid0(VALU_DEP_2) | instskip(NEXT) | instid1(VALU_DEP_1)
	v_cmp_eq_u32_e64 s16, 0, v62
	s_and_b32 s17, s17, s16
	s_delay_alu instid0(SALU_CYCLE_1)
	s_and_saveexec_b32 s16, s17
	s_cbranch_execz .LBB814_81
; %bb.80:                               ;   in Loop: Header=BB814_53 Depth=1
	s_waitcnt vmcnt(0) lgkmcnt(0)
	v_bcnt_u32_b32 v0, v0, v61
	flat_store_b32 v[214:215], v0
.LBB814_81:                             ;   in Loop: Header=BB814_53 Depth=1
	s_or_b32 exec_lo, exec_lo, s16
	v_lshrrev_b64 v[14:15], v10, v[160:161]
	; wave barrier
	s_delay_alu instid0(VALU_DEP_1) | instskip(NEXT) | instid1(VALU_DEP_1)
	v_and_b32_e32 v16, v14, v226
	v_lshl_add_u32 v0, v16, 3, v125
	v_lshlrev_b32_e32 v17, 29, v16
	v_lshlrev_b32_e32 v18, 28, v16
	s_delay_alu instid0(VALU_DEP_3) | instskip(SKIP_1) | instid1(VALU_DEP_2)
	v_lshlrev_b64 v[14:15], 2, v[0:1]
	v_and_b32_e32 v0, 1, v16
	v_add_co_u32 v224, s16, v25, v14
	s_delay_alu instid0(VALU_DEP_1) | instskip(NEXT) | instid1(VALU_DEP_3)
	v_add_co_ci_u32_e64 v225, s16, v124, v15, s16
	v_add_co_u32 v0, s16, v0, -1
	s_delay_alu instid0(VALU_DEP_1) | instskip(SKIP_3) | instid1(VALU_DEP_2)
	v_cndmask_b32_e64 v14, 0, 1, s16
	flat_load_b32 v63, v[224:225]
	v_lshlrev_b32_e32 v15, 30, v16
	; wave barrier
	v_cmp_ne_u32_e64 s16, 0, v14
	v_not_b32_e32 v14, v15
	s_delay_alu instid0(VALU_DEP_2) | instskip(SKIP_1) | instid1(VALU_DEP_3)
	v_xor_b32_e32 v0, s16, v0
	v_cmp_gt_i32_e64 s16, 0, v15
	v_ashrrev_i32_e32 v14, 31, v14
	v_not_b32_e32 v15, v17
	s_delay_alu instid0(VALU_DEP_4) | instskip(NEXT) | instid1(VALU_DEP_3)
	v_and_b32_e32 v0, exec_lo, v0
	v_xor_b32_e32 v14, s16, v14
	v_cmp_gt_i32_e64 s16, 0, v17
	s_delay_alu instid0(VALU_DEP_4) | instskip(SKIP_1) | instid1(VALU_DEP_4)
	v_ashrrev_i32_e32 v15, 31, v15
	v_not_b32_e32 v17, v18
	v_and_b32_e32 v0, v0, v14
	v_lshlrev_b32_e32 v14, 27, v16
	s_delay_alu instid0(VALU_DEP_4) | instskip(SKIP_2) | instid1(VALU_DEP_4)
	v_xor_b32_e32 v15, s16, v15
	v_cmp_gt_i32_e64 s16, 0, v18
	v_ashrrev_i32_e32 v17, 31, v17
	v_not_b32_e32 v18, v14
	s_delay_alu instid0(VALU_DEP_4) | instskip(SKIP_1) | instid1(VALU_DEP_4)
	v_and_b32_e32 v0, v0, v15
	v_lshlrev_b32_e32 v15, 26, v16
	v_xor_b32_e32 v17, s16, v17
	v_cmp_gt_i32_e64 s16, 0, v14
	v_ashrrev_i32_e32 v14, 31, v18
	s_delay_alu instid0(VALU_DEP_4) | instskip(NEXT) | instid1(VALU_DEP_4)
	v_not_b32_e32 v18, v15
	v_and_b32_e32 v0, v0, v17
	v_lshlrev_b32_e32 v17, 25, v16
	s_delay_alu instid0(VALU_DEP_4) | instskip(SKIP_2) | instid1(VALU_DEP_4)
	v_xor_b32_e32 v14, s16, v14
	v_cmp_gt_i32_e64 s16, 0, v15
	v_ashrrev_i32_e32 v15, 31, v18
	v_not_b32_e32 v18, v17
	s_delay_alu instid0(VALU_DEP_4) | instskip(SKIP_1) | instid1(VALU_DEP_4)
	v_and_b32_e32 v0, v0, v14
	v_lshlrev_b32_e32 v14, 24, v16
	v_xor_b32_e32 v15, s16, v15
	v_cmp_gt_i32_e64 s16, 0, v17
	v_ashrrev_i32_e32 v16, 31, v18
	s_delay_alu instid0(VALU_DEP_4) | instskip(NEXT) | instid1(VALU_DEP_4)
	v_not_b32_e32 v17, v14
	v_and_b32_e32 v0, v0, v15
	s_delay_alu instid0(VALU_DEP_3) | instskip(SKIP_1) | instid1(VALU_DEP_4)
	v_xor_b32_e32 v15, s16, v16
	v_cmp_gt_i32_e64 s16, 0, v14
	v_ashrrev_i32_e32 v14, 31, v17
	s_delay_alu instid0(VALU_DEP_3) | instskip(NEXT) | instid1(VALU_DEP_2)
	v_and_b32_e32 v0, v0, v15
	v_xor_b32_e32 v14, s16, v14
	s_delay_alu instid0(VALU_DEP_1) | instskip(NEXT) | instid1(VALU_DEP_1)
	v_and_b32_e32 v0, v0, v14
	v_mbcnt_lo_u32_b32 v72, v0, 0
	v_cmp_ne_u32_e64 s17, 0, v0
	s_delay_alu instid0(VALU_DEP_2) | instskip(NEXT) | instid1(VALU_DEP_1)
	v_cmp_eq_u32_e64 s16, 0, v72
	s_and_b32 s17, s17, s16
	s_delay_alu instid0(SALU_CYCLE_1)
	s_and_saveexec_b32 s16, s17
	s_cbranch_execz .LBB814_83
; %bb.82:                               ;   in Loop: Header=BB814_53 Depth=1
	s_waitcnt vmcnt(0) lgkmcnt(0)
	v_bcnt_u32_b32 v0, v0, v63
	flat_store_b32 v[224:225], v0
.LBB814_83:                             ;   in Loop: Header=BB814_53 Depth=1
	s_or_b32 exec_lo, exec_lo, s16
	v_lshrrev_b64 v[14:15], v10, v[162:163]
	; wave barrier
	s_delay_alu instid0(VALU_DEP_1) | instskip(NEXT) | instid1(VALU_DEP_1)
	v_and_b32_e32 v16, v14, v226
	v_lshl_add_u32 v0, v16, 3, v125
	v_lshlrev_b32_e32 v17, 29, v16
	v_lshlrev_b32_e32 v18, 28, v16
	s_delay_alu instid0(VALU_DEP_3) | instskip(SKIP_1) | instid1(VALU_DEP_2)
	v_lshlrev_b64 v[14:15], 2, v[0:1]
	v_and_b32_e32 v0, 1, v16
	v_add_co_u32 v226, s16, v25, v14
	s_delay_alu instid0(VALU_DEP_1) | instskip(NEXT) | instid1(VALU_DEP_3)
	v_add_co_ci_u32_e64 v227, s16, v124, v15, s16
	v_add_co_u32 v0, s16, v0, -1
	s_delay_alu instid0(VALU_DEP_1) | instskip(SKIP_3) | instid1(VALU_DEP_2)
	v_cndmask_b32_e64 v14, 0, 1, s16
	flat_load_b32 v73, v[226:227]
	v_lshlrev_b32_e32 v15, 30, v16
	; wave barrier
	v_cmp_ne_u32_e64 s16, 0, v14
	v_not_b32_e32 v14, v15
	s_delay_alu instid0(VALU_DEP_2) | instskip(SKIP_1) | instid1(VALU_DEP_3)
	v_xor_b32_e32 v0, s16, v0
	v_cmp_gt_i32_e64 s16, 0, v15
	v_ashrrev_i32_e32 v14, 31, v14
	v_not_b32_e32 v15, v17
	s_delay_alu instid0(VALU_DEP_4) | instskip(NEXT) | instid1(VALU_DEP_3)
	v_and_b32_e32 v0, exec_lo, v0
	v_xor_b32_e32 v14, s16, v14
	v_cmp_gt_i32_e64 s16, 0, v17
	s_delay_alu instid0(VALU_DEP_4) | instskip(SKIP_1) | instid1(VALU_DEP_4)
	v_ashrrev_i32_e32 v15, 31, v15
	v_not_b32_e32 v17, v18
	v_and_b32_e32 v0, v0, v14
	v_lshlrev_b32_e32 v14, 27, v16
	s_delay_alu instid0(VALU_DEP_4) | instskip(SKIP_2) | instid1(VALU_DEP_4)
	v_xor_b32_e32 v15, s16, v15
	v_cmp_gt_i32_e64 s16, 0, v18
	v_ashrrev_i32_e32 v17, 31, v17
	v_not_b32_e32 v18, v14
	s_delay_alu instid0(VALU_DEP_4) | instskip(SKIP_1) | instid1(VALU_DEP_4)
	v_and_b32_e32 v0, v0, v15
	v_lshlrev_b32_e32 v15, 26, v16
	v_xor_b32_e32 v17, s16, v17
	v_cmp_gt_i32_e64 s16, 0, v14
	v_ashrrev_i32_e32 v14, 31, v18
	s_delay_alu instid0(VALU_DEP_4) | instskip(NEXT) | instid1(VALU_DEP_4)
	v_not_b32_e32 v18, v15
	v_and_b32_e32 v0, v0, v17
	v_lshlrev_b32_e32 v17, 25, v16
	s_delay_alu instid0(VALU_DEP_4) | instskip(SKIP_2) | instid1(VALU_DEP_4)
	v_xor_b32_e32 v14, s16, v14
	v_cmp_gt_i32_e64 s16, 0, v15
	v_ashrrev_i32_e32 v15, 31, v18
	v_not_b32_e32 v18, v17
	s_delay_alu instid0(VALU_DEP_4) | instskip(SKIP_1) | instid1(VALU_DEP_4)
	v_and_b32_e32 v0, v0, v14
	v_lshlrev_b32_e32 v14, 24, v16
	v_xor_b32_e32 v15, s16, v15
	v_cmp_gt_i32_e64 s16, 0, v17
	v_ashrrev_i32_e32 v16, 31, v18
	s_delay_alu instid0(VALU_DEP_4) | instskip(NEXT) | instid1(VALU_DEP_4)
	v_not_b32_e32 v17, v14
	v_and_b32_e32 v0, v0, v15
	s_delay_alu instid0(VALU_DEP_3) | instskip(SKIP_1) | instid1(VALU_DEP_4)
	v_xor_b32_e32 v15, s16, v16
	v_cmp_gt_i32_e64 s16, 0, v14
	v_ashrrev_i32_e32 v14, 31, v17
	s_delay_alu instid0(VALU_DEP_3) | instskip(NEXT) | instid1(VALU_DEP_2)
	v_and_b32_e32 v0, v0, v15
	v_xor_b32_e32 v14, s16, v14
	s_delay_alu instid0(VALU_DEP_1) | instskip(NEXT) | instid1(VALU_DEP_1)
	v_and_b32_e32 v0, v0, v14
	v_mbcnt_lo_u32_b32 v74, v0, 0
	v_cmp_ne_u32_e64 s17, 0, v0
	s_delay_alu instid0(VALU_DEP_2) | instskip(NEXT) | instid1(VALU_DEP_1)
	v_cmp_eq_u32_e64 s16, 0, v74
	s_and_b32 s17, s17, s16
	s_delay_alu instid0(SALU_CYCLE_1)
	s_and_saveexec_b32 s16, s17
	s_cbranch_execz .LBB814_85
; %bb.84:                               ;   in Loop: Header=BB814_53 Depth=1
	s_waitcnt vmcnt(0) lgkmcnt(0)
	v_bcnt_u32_b32 v0, v0, v73
	flat_store_b32 v[226:227], v0
.LBB814_85:                             ;   in Loop: Header=BB814_53 Depth=1
	s_or_b32 exec_lo, exec_lo, s16
	; wave barrier
	s_waitcnt vmcnt(0) lgkmcnt(0)
	s_waitcnt_vscnt null, 0x0
	s_barrier
	buffer_gl0_inv
	s_clause 0x1
	flat_load_b128 v[18:21], v[4:5] offset:32
	flat_load_b128 v[14:17], v[8:9] offset:16
	s_waitcnt vmcnt(1) lgkmcnt(1)
	v_add_nc_u32_e32 v0, v19, v18
	s_delay_alu instid0(VALU_DEP_1) | instskip(SKIP_1) | instid1(VALU_DEP_1)
	v_add3_u32 v0, v0, v20, v21
	s_waitcnt vmcnt(0) lgkmcnt(0)
	v_add3_u32 v0, v0, v14, v15
	s_delay_alu instid0(VALU_DEP_1) | instskip(NEXT) | instid1(VALU_DEP_1)
	v_add3_u32 v0, v0, v16, v17
	v_mov_b32_dpp v17, v0 row_shr:1 row_mask:0xf bank_mask:0xf
	s_delay_alu instid0(VALU_DEP_1) | instskip(NEXT) | instid1(VALU_DEP_1)
	v_cndmask_b32_e64 v17, v17, 0, vcc_lo
	v_add_nc_u32_e32 v0, v17, v0
	s_delay_alu instid0(VALU_DEP_1) | instskip(NEXT) | instid1(VALU_DEP_1)
	v_mov_b32_dpp v17, v0 row_shr:2 row_mask:0xf bank_mask:0xf
	v_cndmask_b32_e64 v17, 0, v17, s0
	s_delay_alu instid0(VALU_DEP_1) | instskip(NEXT) | instid1(VALU_DEP_1)
	v_add_nc_u32_e32 v0, v0, v17
	v_mov_b32_dpp v17, v0 row_shr:4 row_mask:0xf bank_mask:0xf
	s_delay_alu instid0(VALU_DEP_1) | instskip(NEXT) | instid1(VALU_DEP_1)
	v_cndmask_b32_e64 v17, 0, v17, s1
	v_add_nc_u32_e32 v0, v0, v17
	s_delay_alu instid0(VALU_DEP_1) | instskip(NEXT) | instid1(VALU_DEP_1)
	v_mov_b32_dpp v17, v0 row_shr:8 row_mask:0xf bank_mask:0xf
	v_cndmask_b32_e64 v17, 0, v17, s2
	s_delay_alu instid0(VALU_DEP_1) | instskip(SKIP_3) | instid1(VALU_DEP_1)
	v_add_nc_u32_e32 v0, v0, v17
	ds_swizzle_b32 v17, v0 offset:swizzle(BROADCAST,32,15)
	s_waitcnt lgkmcnt(0)
	v_cndmask_b32_e64 v17, v17, 0, s3
	v_add_nc_u32_e32 v0, v0, v17
	s_and_saveexec_b32 s16, s4
	s_cbranch_execz .LBB814_87
; %bb.86:                               ;   in Loop: Header=BB814_53 Depth=1
	flat_store_b32 v[31:32], v0
.LBB814_87:                             ;   in Loop: Header=BB814_53 Depth=1
	s_or_b32 exec_lo, exec_lo, s16
	s_waitcnt lgkmcnt(0)
	s_waitcnt_vscnt null, 0x0
	s_barrier
	buffer_gl0_inv
	s_and_saveexec_b32 s16, s5
	s_cbranch_execz .LBB814_89
; %bb.88:                               ;   in Loop: Header=BB814_53 Depth=1
	flat_load_b32 v17, v[84:85]
	s_waitcnt vmcnt(0) lgkmcnt(0)
	v_mov_b32_dpp v75, v17 row_shr:1 row_mask:0xf bank_mask:0xf
	s_delay_alu instid0(VALU_DEP_1) | instskip(NEXT) | instid1(VALU_DEP_1)
	v_cndmask_b32_e64 v75, v75, 0, s11
	v_add_nc_u32_e32 v17, v75, v17
	s_delay_alu instid0(VALU_DEP_1) | instskip(NEXT) | instid1(VALU_DEP_1)
	v_mov_b32_dpp v75, v17 row_shr:2 row_mask:0xf bank_mask:0xf
	v_cndmask_b32_e64 v75, 0, v75, s14
	s_delay_alu instid0(VALU_DEP_1) | instskip(NEXT) | instid1(VALU_DEP_1)
	v_add_nc_u32_e32 v17, v17, v75
	v_mov_b32_dpp v75, v17 row_shr:4 row_mask:0xf bank_mask:0xf
	s_delay_alu instid0(VALU_DEP_1) | instskip(NEXT) | instid1(VALU_DEP_1)
	v_cndmask_b32_e64 v75, 0, v75, s15
	v_add_nc_u32_e32 v17, v17, v75
	flat_store_b32 v[84:85], v17
.LBB814_89:                             ;   in Loop: Header=BB814_53 Depth=1
	s_or_b32 exec_lo, exec_lo, s16
	v_mov_b32_e32 v17, 0
	s_waitcnt lgkmcnt(0)
	s_waitcnt_vscnt null, 0x0
	s_barrier
	buffer_gl0_inv
	s_and_saveexec_b32 s16, s6
	s_cbranch_execz .LBB814_91
; %bb.90:                               ;   in Loop: Header=BB814_53 Depth=1
	flat_load_b32 v17, v[96:97]
.LBB814_91:                             ;   in Loop: Header=BB814_53 Depth=1
	s_or_b32 exec_lo, exec_lo, s16
	s_waitcnt vmcnt(0) lgkmcnt(0)
	v_add_nc_u32_e32 v0, v17, v0
	v_add_nc_u32_e32 v10, 8, v10
	s_mov_b32 s18, -1
	ds_bpermute_b32 v0, v126, v0
	s_waitcnt lgkmcnt(0)
	v_cndmask_b32_e64 v0, v0, v17, s7
	s_delay_alu instid0(VALU_DEP_1) | instskip(NEXT) | instid1(VALU_DEP_1)
	v_cndmask_b32_e64 v17, v0, 0, s10
	v_add_nc_u32_e32 v18, v17, v18
	s_delay_alu instid0(VALU_DEP_1) | instskip(NEXT) | instid1(VALU_DEP_1)
	v_add_nc_u32_e32 v19, v18, v19
	v_add_nc_u32_e32 v20, v19, v20
	s_delay_alu instid0(VALU_DEP_1) | instskip(NEXT) | instid1(VALU_DEP_1)
	v_add_nc_u32_e32 v75, v20, v21
	v_add_nc_u32_e32 v76, v75, v14
	s_delay_alu instid0(VALU_DEP_1) | instskip(SKIP_1) | instid1(VALU_DEP_2)
	v_add_nc_u32_e32 v77, v76, v15
	v_mov_b32_e32 v15, v1
	v_add_nc_u32_e32 v78, v77, v16
	s_clause 0x1
	flat_store_b128 v[4:5], v[17:20] offset:32
	flat_store_b128 v[8:9], v[75:78] offset:16
	v_mov_b32_e32 v17, v1
	s_waitcnt lgkmcnt(0)
	s_waitcnt_vscnt null, 0x0
	s_barrier
	buffer_gl0_inv
	s_clause 0xf
	flat_load_b32 v0, v[164:165]
	flat_load_b32 v14, v[166:167]
	;; [unrolled: 1-line block ×16, first 2 shown]
	v_mov_b32_e32 v21, v1
	v_mov_b32_e32 v19, v1
	;; [unrolled: 1-line block ×13, first 2 shown]
	v_cmp_lt_u32_e64 s16, v10, v11
	s_waitcnt vmcnt(0) lgkmcnt(0)
	s_waitcnt_vscnt null, 0x0
                                        ; implicit-def: $vgpr212_vgpr213
                                        ; implicit-def: $vgpr214_vgpr215
                                        ; implicit-def: $vgpr224_vgpr225
                                        ; implicit-def: $vgpr226_vgpr227
	s_waitcnt vmcnt(15) lgkmcnt(15)
	v_add_nc_u32_e32 v0, v0, v39
	s_waitcnt vmcnt(14) lgkmcnt(14)
	v_add3_u32 v14, v229, v228, v14
	s_waitcnt vmcnt(13) lgkmcnt(13)
	v_add3_u32 v16, v231, v230, v16
	;; [unrolled: 2-line block ×4, first 2 shown]
	v_lshlrev_b64 v[210:211], 3, v[0:1]
	v_lshlrev_b64 v[14:15], 3, v[14:15]
	;; [unrolled: 1-line block ×4, first 2 shown]
	s_waitcnt vmcnt(10) lgkmcnt(10)
	v_add3_u32 v164, v245, v244, v164
	v_lshlrev_b64 v[20:21], 3, v[20:21]
	s_waitcnt vmcnt(9) lgkmcnt(9)
	v_add3_u32 v166, v247, v246, v166
	s_waitcnt vmcnt(3) lgkmcnt(3)
	v_add3_u32 v194, v60, v59, v194
	v_add_co_u32 v60, s17, v12, v210
	s_waitcnt vmcnt(2) lgkmcnt(2)
	v_add3_u32 v196, v62, v61, v196
	v_add_co_ci_u32_e64 v61, s17, v13, v211, s17
	v_add_co_u32 v62, s17, v12, v14
	s_waitcnt vmcnt(1) lgkmcnt(1)
	v_add3_u32 v198, v72, v63, v198
	v_add_co_ci_u32_e64 v63, s17, v13, v15, s17
	;; [unrolled: 4-line block ×3, first 2 shown]
	v_lshlrev_b64 v[164:165], 3, v[164:165]
	v_add_co_u32 v74, s17, v12, v18
	v_add3_u32 v176, v41, v40, v176
	v_add_co_ci_u32_e64 v75, s17, v13, v19, s17
	v_lshlrev_b64 v[166:167], 3, v[166:167]
	v_add_co_u32 v76, s17, v12, v20
	v_add3_u32 v178, v43, v42, v178
	v_add_co_ci_u32_e64 v77, s17, v13, v21, s17
	;; [unrolled: 4-line block ×5, first 2 shown]
	v_lshlrev_b64 v[182:183], 3, v[182:183]
	v_add_co_u32 v92, s17, v12, v178
	s_delay_alu instid0(VALU_DEP_1) | instskip(SKIP_2) | instid1(VALU_DEP_1)
	v_add_co_ci_u32_e64 v93, s17, v13, v179, s17
	v_lshlrev_b64 v[192:193], 3, v[192:193]
	v_add_co_u32 v94, s17, v12, v180
	v_add_co_ci_u32_e64 v95, s17, v13, v181, s17
	v_lshlrev_b64 v[194:195], 3, v[194:195]
	v_add_co_u32 v104, s17, v12, v182
	s_delay_alu instid0(VALU_DEP_1) | instskip(SKIP_2) | instid1(VALU_DEP_1)
	v_add_co_ci_u32_e64 v105, s17, v13, v183, s17
	v_lshlrev_b64 v[196:197], 3, v[196:197]
	v_add_co_u32 v106, s17, v12, v192
	v_add_co_ci_u32_e64 v107, s17, v13, v193, s17
	;; [unrolled: 7-line block ×3, first 2 shown]
	v_add_co_u32 v120, s17, v12, v198
	s_delay_alu instid0(VALU_DEP_1) | instskip(SKIP_1) | instid1(VALU_DEP_1)
	v_add_co_ci_u32_e64 v121, s17, v13, v199, s17
	v_add_co_u32 v122, s17, v12, v208
	v_add_co_ci_u32_e64 v123, s17, v13, v209, s17
                                        ; implicit-def: $vgpr228_vgpr229
                                        ; implicit-def: $vgpr230_vgpr231
                                        ; implicit-def: $vgpr240_vgpr241
                                        ; implicit-def: $vgpr242_vgpr243
                                        ; implicit-def: $vgpr244_vgpr245
                                        ; implicit-def: $vgpr246_vgpr247
                                        ; implicit-def: $vgpr39_vgpr40
                                        ; implicit-def: $vgpr41_vgpr42
                                        ; implicit-def: $vgpr43_vgpr44
                                        ; implicit-def: $vgpr45_vgpr46
                                        ; implicit-def: $vgpr56_vgpr57
                                        ; implicit-def: $vgpr58_vgpr59
                                        ; implicit-def: $vgpr166_vgpr167
                                        ; implicit-def: $vgpr18_vgpr19
                                        ; implicit-def: $vgpr14_vgpr15
                                        ; implicit-def: $vgpr16_vgpr17
                                        ; implicit-def: $vgpr20_vgpr21
                                        ; implicit-def: $vgpr164_vgpr165
                                        ; implicit-def: $vgpr176_vgpr177
                                        ; implicit-def: $vgpr178_vgpr179
                                        ; implicit-def: $vgpr180_vgpr181
                                        ; implicit-def: $vgpr182_vgpr183
                                        ; implicit-def: $vgpr192_vgpr193
                                        ; implicit-def: $vgpr194_vgpr195
                                        ; implicit-def: $vgpr196_vgpr197
                                        ; implicit-def: $vgpr198_vgpr199
                                        ; implicit-def: $vgpr208_vgpr209
                                        ; implicit-def: $vgpr210_vgpr211
	s_and_saveexec_b32 s17, s16
	s_cbranch_execz .LBB814_52
; %bb.92:                               ;   in Loop: Header=BB814_53 Depth=1
	s_barrier
	buffer_gl0_inv
	s_clause 0xf
	flat_store_b64 v[60:61], v[100:101]
	flat_store_b64 v[62:63], v[102:103]
	;; [unrolled: 1-line block ×16, first 2 shown]
	s_waitcnt lgkmcnt(0)
	s_waitcnt_vscnt null, 0x0
	s_barrier
	buffer_gl0_inv
	s_clause 0xf
	flat_load_b64 v[166:167], v[98:99]
	flat_load_b64 v[18:19], v[98:99] offset:256
	flat_load_b64 v[14:15], v[98:99] offset:512
	;; [unrolled: 1-line block ×15, first 2 shown]
	s_waitcnt vmcnt(0) lgkmcnt(0)
	s_barrier
	buffer_gl0_inv
	s_clause 0xf
	flat_store_b64 v[60:61], v[29:30]
	flat_store_b64 v[62:63], v[27:28]
	;; [unrolled: 1-line block ×16, first 2 shown]
	s_waitcnt lgkmcnt(0)
	s_waitcnt_vscnt null, 0x0
	s_barrier
	buffer_gl0_inv
	s_clause 0xf
	flat_load_b64 v[212:213], v[98:99]
	flat_load_b64 v[214:215], v[98:99] offset:256
	flat_load_b64 v[224:225], v[98:99] offset:512
	;; [unrolled: 1-line block ×15, first 2 shown]
	v_add_nc_u32_e32 v127, -8, v127
	s_xor_b32 s18, exec_lo, -1
	s_waitcnt vmcnt(0) lgkmcnt(0)
	s_barrier
	buffer_gl0_inv
	s_branch .LBB814_52
.LBB814_93:
	s_or_b32 exec_lo, exec_lo, s26
	v_dual_mov_b32 v25, 0 :: v_dual_lshlrev_b32 v0, 3, v26
	v_lshlrev_b32_e32 v18, 3, v26
	s_barrier
	buffer_gl0_inv
	v_add_co_u32 v0, vcc_lo, v12, v0
	v_add_co_ci_u32_e32 v1, vcc_lo, 0, v13, vcc_lo
	v_or_b32_e32 v8, 0x2000, v18
	s_delay_alu instid0(VALU_DEP_3) | instskip(NEXT) | instid1(VALU_DEP_3)
	v_add_co_u32 v4, vcc_lo, 0x1000, v0
	v_add_co_ci_u32_e32 v5, vcc_lo, 0, v1, vcc_lo
	s_delay_alu instid0(VALU_DEP_3)
	v_add_co_u32 v8, vcc_lo, v12, v8
	v_add_co_ci_u32_e32 v9, vcc_lo, 0, v13, vcc_lo
	v_add_co_u32 v10, vcc_lo, 0x2000, v0
	v_or_b32_e32 v16, 0x4000, v18
	v_add_co_ci_u32_e32 v11, vcc_lo, 0, v1, vcc_lo
	v_add_co_u32 v14, vcc_lo, 0x3000, v0
	v_add_co_ci_u32_e32 v15, vcc_lo, 0, v1, vcc_lo
	s_delay_alu instid0(VALU_DEP_4)
	v_add_co_u32 v16, vcc_lo, v12, v16
	v_add_co_ci_u32_e32 v17, vcc_lo, 0, v13, vcc_lo
	s_clause 0xf
	flat_store_b64 v[60:61], v[100:101]
	flat_store_b64 v[62:63], v[102:103]
	;; [unrolled: 1-line block ×16, first 2 shown]
	v_add_co_u32 v150, vcc_lo, 0x4000, v0
	v_or_b32_e32 v18, 0x6000, v18
	v_add_co_ci_u32_e32 v151, vcc_lo, 0, v1, vcc_lo
	v_add_co_u32 v160, vcc_lo, 0x5000, v0
	v_add_co_ci_u32_e32 v161, vcc_lo, 0, v1, vcc_lo
	s_delay_alu instid0(VALU_DEP_4)
	v_add_co_u32 v162, vcc_lo, v12, v18
	v_add_co_ci_u32_e32 v163, vcc_lo, 0, v13, vcc_lo
	v_add_co_u32 v164, vcc_lo, 0x6000, v0
	v_add_co_ci_u32_e32 v165, vcc_lo, 0, v1, vcc_lo
	v_add_co_u32 v166, vcc_lo, 0x7000, v0
	s_waitcnt lgkmcnt(0)
	s_waitcnt_vscnt null, 0x0
	s_barrier
	buffer_gl0_inv
	s_clause 0x7
	flat_load_b64 v[148:149], v[0:1]
	flat_load_b64 v[146:147], v[0:1] offset:2048
	flat_load_b64 v[144:145], v[4:5]
	flat_load_b64 v[134:135], v[4:5] offset:2048
	;; [unrolled: 2-line block ×4, first 2 shown]
	v_add_co_ci_u32_e32 v167, vcc_lo, 0, v1, vcc_lo
	s_clause 0x7
	flat_load_b64 v[118:119], v[16:17]
	flat_load_b64 v[114:115], v[150:151] offset:2048
	flat_load_b64 v[112:113], v[160:161]
	flat_load_b64 v[102:103], v[160:161] offset:2048
	;; [unrolled: 2-line block ×4, first 2 shown]
	s_waitcnt vmcnt(0) lgkmcnt(0)
	s_barrier
	buffer_gl0_inv
	s_clause 0xf
	flat_store_b64 v[60:61], v[29:30]
	flat_store_b64 v[62:63], v[27:28]
	;; [unrolled: 1-line block ×16, first 2 shown]
	s_waitcnt lgkmcnt(0)
	s_waitcnt_vscnt null, 0x0
	s_barrier
	buffer_gl0_inv
	s_clause 0xf
	flat_load_b64 v[38:39], v[0:1]
	flat_load_b64 v[36:37], v[0:1] offset:2048
	flat_load_b64 v[34:35], v[4:5]
	flat_load_b64 v[32:33], v[4:5] offset:2048
	;; [unrolled: 2-line block ×8, first 2 shown]
	v_lshlrev_b64 v[48:49], 3, v[24:25]
	v_add_co_u32 v2, vcc_lo, v2, v22
	v_add_co_ci_u32_e32 v3, vcc_lo, v3, v23, vcc_lo
	s_waitcnt vmcnt(0) lgkmcnt(0)
	s_delay_alu instid0(VALU_DEP_2) | instskip(NEXT) | instid1(VALU_DEP_2)
	v_add_co_u32 v2, vcc_lo, v2, v48
	v_add_co_ci_u32_e32 v3, vcc_lo, v3, v49, vcc_lo
	v_cmp_lt_u32_e32 vcc_lo, v24, v47
	s_barrier
	buffer_gl0_inv
	s_and_saveexec_b32 s0, vcc_lo
	s_cbranch_execz .LBB814_95
; %bb.94:
	v_xor_b32_e32 v149, 0x80000000, v149
	flat_store_b64 v[2:3], v[148:149]
.LBB814_95:
	s_or_b32 exec_lo, exec_lo, s0
	v_add_nc_u32_e32 v25, 0x100, v24
	s_delay_alu instid0(VALU_DEP_1) | instskip(NEXT) | instid1(VALU_DEP_1)
	v_cmp_lt_u32_e64 s0, v25, v47
	s_and_saveexec_b32 s1, s0
	s_cbranch_execz .LBB814_97
; %bb.96:
	v_xor_b32_e32 v147, 0x80000000, v147
	flat_store_b64 v[2:3], v[146:147] offset:2048
.LBB814_97:
	s_or_b32 exec_lo, exec_lo, s1
	v_add_nc_u32_e32 v25, 0x200, v24
	s_delay_alu instid0(VALU_DEP_1) | instskip(NEXT) | instid1(VALU_DEP_1)
	v_cmp_lt_u32_e64 s1, v25, v47
	s_and_saveexec_b32 s3, s1
	s_cbranch_execz .LBB814_99
; %bb.98:
	v_add_co_u32 v50, s2, 0x1000, v2
	v_xor_b32_e32 v145, 0x80000000, v145
	v_add_co_ci_u32_e64 v51, s2, 0, v3, s2
	flat_store_b64 v[50:51], v[144:145]
.LBB814_99:
	s_or_b32 exec_lo, exec_lo, s3
	v_add_nc_u32_e32 v25, 0x300, v24
	s_delay_alu instid0(VALU_DEP_1) | instskip(NEXT) | instid1(VALU_DEP_1)
	v_cmp_lt_u32_e64 s2, v25, v47
	s_and_saveexec_b32 s4, s2
	s_cbranch_execz .LBB814_101
; %bb.100:
	v_add_co_u32 v50, s3, 0x1000, v2
	v_xor_b32_e32 v135, 0x80000000, v135
	v_add_co_ci_u32_e64 v51, s3, 0, v3, s3
	flat_store_b64 v[50:51], v[134:135] offset:2048
.LBB814_101:
	s_or_b32 exec_lo, exec_lo, s4
	v_add_nc_u32_e32 v25, 0x400, v24
	s_delay_alu instid0(VALU_DEP_1) | instskip(NEXT) | instid1(VALU_DEP_1)
	v_cmp_lt_u32_e64 s3, v25, v47
	s_and_saveexec_b32 s5, s3
	s_cbranch_execz .LBB814_103
; %bb.102:
	v_add_co_u32 v50, s4, 0x2000, v2
	v_xor_b32_e32 v133, 0x80000000, v133
	v_add_co_ci_u32_e64 v51, s4, 0, v3, s4
	flat_store_b64 v[50:51], v[132:133]
.LBB814_103:
	s_or_b32 exec_lo, exec_lo, s5
	v_add_nc_u32_e32 v25, 0x500, v24
	s_delay_alu instid0(VALU_DEP_1) | instskip(NEXT) | instid1(VALU_DEP_1)
	v_cmp_lt_u32_e64 s4, v25, v47
	s_and_saveexec_b32 s6, s4
	s_cbranch_execz .LBB814_105
; %bb.104:
	v_add_co_u32 v50, s5, 0x2000, v2
	v_xor_b32_e32 v131, 0x80000000, v131
	v_add_co_ci_u32_e64 v51, s5, 0, v3, s5
	flat_store_b64 v[50:51], v[130:131] offset:2048
.LBB814_105:
	;; [unrolled: 24-line block ×7, first 2 shown]
	s_or_b32 exec_lo, exec_lo, s20
	v_add_co_u32 v2, s19, v6, v22
	s_delay_alu instid0(VALU_DEP_1) | instskip(NEXT) | instid1(VALU_DEP_2)
	v_add_co_ci_u32_e64 v3, s19, v7, v23, s19
	v_add_co_u32 v2, s19, v2, v48
	s_delay_alu instid0(VALU_DEP_1)
	v_add_co_ci_u32_e64 v3, s19, v3, v49, s19
	s_and_saveexec_b32 s19, vcc_lo
	s_cbranch_execnz .LBB814_211
; %bb.126:
	s_or_b32 exec_lo, exec_lo, s19
	s_and_saveexec_b32 s19, s0
	s_cbranch_execnz .LBB814_212
.LBB814_127:
	s_or_b32 exec_lo, exec_lo, s19
	s_and_saveexec_b32 s0, s1
	s_cbranch_execnz .LBB814_213
.LBB814_128:
	s_or_b32 exec_lo, exec_lo, s0
	s_and_saveexec_b32 s0, s2
	s_cbranch_execnz .LBB814_214
.LBB814_129:
	s_or_b32 exec_lo, exec_lo, s0
	s_and_saveexec_b32 s0, s3
	s_cbranch_execnz .LBB814_215
.LBB814_130:
	s_or_b32 exec_lo, exec_lo, s0
	s_and_saveexec_b32 s0, s4
	s_cbranch_execnz .LBB814_216
.LBB814_131:
	s_or_b32 exec_lo, exec_lo, s0
	s_and_saveexec_b32 s0, s5
	s_cbranch_execnz .LBB814_217
.LBB814_132:
	s_or_b32 exec_lo, exec_lo, s0
	s_and_saveexec_b32 s0, s6
	s_cbranch_execnz .LBB814_218
.LBB814_133:
	s_or_b32 exec_lo, exec_lo, s0
	s_and_saveexec_b32 s0, s7
	s_cbranch_execnz .LBB814_219
.LBB814_134:
	s_or_b32 exec_lo, exec_lo, s0
	s_and_saveexec_b32 s0, s10
	s_cbranch_execnz .LBB814_220
.LBB814_135:
	s_or_b32 exec_lo, exec_lo, s0
	s_and_saveexec_b32 s0, s11
	s_cbranch_execnz .LBB814_221
.LBB814_136:
	s_or_b32 exec_lo, exec_lo, s0
	s_and_saveexec_b32 s0, s14
	s_cbranch_execnz .LBB814_222
.LBB814_137:
	s_or_b32 exec_lo, exec_lo, s0
	s_and_saveexec_b32 s0, s15
	s_cbranch_execnz .LBB814_223
.LBB814_138:
	s_or_b32 exec_lo, exec_lo, s0
	s_and_saveexec_b32 s0, s16
	s_cbranch_execnz .LBB814_224
.LBB814_139:
	s_or_b32 exec_lo, exec_lo, s0
	s_and_saveexec_b32 s0, s17
	s_cbranch_execnz .LBB814_225
.LBB814_140:
	s_or_b32 exec_lo, exec_lo, s0
	s_and_saveexec_b32 s0, s18
	s_cbranch_execz .LBB814_142
.LBB814_141:
	v_add_co_u32 v2, vcc_lo, 0x7000, v2
	v_add_co_ci_u32_e32 v3, vcc_lo, 0, v3, vcc_lo
	flat_store_b64 v[2:3], v[0:1] offset:2048
.LBB814_142:
	s_or_b32 exec_lo, exec_lo, s0
                                        ; implicit-def: $vgpr47
                                        ; implicit-def: $vgpr0
                                        ; implicit-def: $vgpr1
                                        ; implicit-def: $vgpr2
                                        ; implicit-def: $vgpr3
                                        ; implicit-def: $vgpr4
                                        ; implicit-def: $vgpr5
                                        ; implicit-def: $vgpr6
                                        ; implicit-def: $vgpr7
                                        ; implicit-def: $vgpr8
                                        ; implicit-def: $vgpr10
                                        ; implicit-def: $vgpr11
                                        ; implicit-def: $vgpr12
                                        ; implicit-def: $vgpr13
                                        ; implicit-def: $vgpr14
                                        ; implicit-def: $vgpr15
                                        ; implicit-def: $vgpr26
                                        ; implicit-def: $vgpr35
.LBB814_143:
	s_and_not1_saveexec_b32 s0, s25
	s_cbranch_execz .LBB814_372
; %bb.144:
	s_mov_b32 s0, exec_lo
	v_cmpx_lt_u32_e32 0x400, v47
	s_xor_b32 s19, exec_lo, s0
	s_cbranch_execz .LBB814_252
; %bb.145:
	s_load_b64 s[0:1], s[8:9], 0x0
	v_mov_b32_e32 v9, 0
	s_waitcnt lgkmcnt(0)
	s_cmp_lt_u32 s13, s1
	s_cselect_b32 s1, 14, 20
	s_delay_alu instid0(SALU_CYCLE_1) | instskip(SKIP_4) | instid1(SALU_CYCLE_1)
	s_add_u32 s2, s8, s1
	s_addc_u32 s3, s9, 0
	s_cmp_lt_u32 s12, s0
	global_load_u16 v16, v9, s[2:3]
	s_cselect_b32 s0, 12, 18
	s_add_u32 s0, s8, s0
	s_addc_u32 s1, s9, 0
	global_load_u16 v17, v9, s[0:1]
	s_mov_b32 s2, -1
	s_brev_b32 s3, -2
	s_delay_alu instid0(SALU_CYCLE_1) | instskip(SKIP_3) | instid1(VALU_DEP_1)
	v_dual_mov_b32 v113, s3 :: v_dual_mov_b32 v112, s2
	s_waitcnt vmcnt(1)
	v_mad_u32_u24 v14, v15, v16, v14
	s_waitcnt vmcnt(0)
	v_mad_u64_u32 v[29:30], null, v14, v17, v[26:27]
	v_lshlrev_b32_e32 v14, 3, v35
	v_lshlrev_b64 v[27:28], 3, v[8:9]
	s_delay_alu instid0(VALU_DEP_3) | instskip(NEXT) | instid1(VALU_DEP_2)
	v_lshlrev_b32_e32 v15, 3, v29
	v_add_co_u32 v16, vcc_lo, v0, v27
	s_delay_alu instid0(VALU_DEP_3) | instskip(NEXT) | instid1(VALU_DEP_3)
	v_add_co_ci_u32_e32 v17, vcc_lo, v1, v28, vcc_lo
	v_and_b32_e32 v8, 0xffffff00, v15
	s_delay_alu instid0(VALU_DEP_1) | instskip(SKIP_3) | instid1(VALU_DEP_3)
	v_lshlrev_b64 v[0:1], 3, v[8:9]
	v_or_b32_e32 v15, v8, v35
	v_add_co_u32 v8, vcc_lo, v16, v14
	v_add_co_ci_u32_e32 v9, vcc_lo, 0, v17, vcc_lo
	v_cmp_lt_u32_e32 vcc_lo, v15, v47
	s_delay_alu instid0(VALU_DEP_3) | instskip(NEXT) | instid1(VALU_DEP_1)
	v_add_co_u32 v8, s0, v8, v0
	v_add_co_ci_u32_e64 v9, s0, v9, v1, s0
	s_and_saveexec_b32 s0, vcc_lo
	s_cbranch_execz .LBB814_147
; %bb.146:
	flat_load_b64 v[112:113], v[8:9]
.LBB814_147:
	s_or_b32 exec_lo, exec_lo, s0
	v_or_b32_e32 v16, 32, v15
	v_dual_mov_b32 v19, s3 :: v_dual_mov_b32 v18, s2
	s_delay_alu instid0(VALU_DEP_2) | instskip(NEXT) | instid1(VALU_DEP_1)
	v_cmp_lt_u32_e64 s0, v16, v47
	s_and_saveexec_b32 s1, s0
	s_cbranch_execz .LBB814_149
; %bb.148:
	flat_load_b64 v[18:19], v[8:9] offset:256
.LBB814_149:
	s_or_b32 exec_lo, exec_lo, s1
	v_or_b32_e32 v16, 64, v15
	s_mov_b32 s4, -1
	s_brev_b32 s5, -2
	s_delay_alu instid0(SALU_CYCLE_1) | instskip(NEXT) | instid1(VALU_DEP_2)
	v_dual_mov_b32 v21, s5 :: v_dual_mov_b32 v20, s4
	v_cmp_lt_u32_e64 s1, v16, v47
	s_delay_alu instid0(VALU_DEP_1)
	s_and_saveexec_b32 s2, s1
	s_cbranch_execz .LBB814_151
; %bb.150:
	flat_load_b64 v[20:21], v[8:9] offset:512
.LBB814_151:
	s_or_b32 exec_lo, exec_lo, s2
	v_or_b32_e32 v16, 0x60, v15
	v_dual_mov_b32 v23, s5 :: v_dual_mov_b32 v22, s4
	s_delay_alu instid0(VALU_DEP_2) | instskip(NEXT) | instid1(VALU_DEP_1)
	v_cmp_lt_u32_e64 s2, v16, v47
	s_and_saveexec_b32 s3, s2
	s_cbranch_execz .LBB814_153
; %bb.152:
	flat_load_b64 v[22:23], v[8:9] offset:768
.LBB814_153:
	s_or_b32 exec_lo, exec_lo, s3
	v_or_b32_e32 v16, 0x80, v15
	s_mov_b32 s6, -1
	s_brev_b32 s7, -2
	s_delay_alu instid0(SALU_CYCLE_1) | instskip(NEXT) | instid1(VALU_DEP_2)
	v_dual_mov_b32 v25, s7 :: v_dual_mov_b32 v24, s6
	v_cmp_lt_u32_e64 s3, v16, v47
	s_delay_alu instid0(VALU_DEP_1)
	s_and_saveexec_b32 s4, s3
	s_cbranch_execz .LBB814_155
; %bb.154:
	flat_load_b64 v[24:25], v[8:9] offset:1024
.LBB814_155:
	;; [unrolled: 23-line block ×3, first 2 shown]
	s_or_b32 exec_lo, exec_lo, s6
	v_or_b32_e32 v15, 0xe0, v15
	v_dual_mov_b32 v117, s11 :: v_dual_mov_b32 v116, s10
	s_delay_alu instid0(VALU_DEP_2) | instskip(NEXT) | instid1(VALU_DEP_1)
	v_cmp_lt_u32_e64 s6, v15, v47
	s_and_saveexec_b32 s7, s6
	s_cbranch_execz .LBB814_161
; %bb.160:
	flat_load_b64 v[116:117], v[8:9] offset:1792
.LBB814_161:
	s_or_b32 exec_lo, exec_lo, s7
	v_add_co_u32 v4, s7, v4, v27
	s_delay_alu instid0(VALU_DEP_1) | instskip(NEXT) | instid1(VALU_DEP_2)
	v_add_co_ci_u32_e64 v5, s7, v5, v28, s7
                                        ; implicit-def: $vgpr130_vgpr131
	v_add_co_u32 v4, s7, v4, v14
	s_delay_alu instid0(VALU_DEP_1) | instskip(NEXT) | instid1(VALU_DEP_2)
	v_add_co_ci_u32_e64 v5, s7, 0, v5, s7
	v_add_co_u32 v0, s7, v4, v0
	s_delay_alu instid0(VALU_DEP_1)
	v_add_co_ci_u32_e64 v1, s7, v5, v1, s7
	s_and_saveexec_b32 s7, vcc_lo
	s_cbranch_execnz .LBB814_285
; %bb.162:
	s_or_b32 exec_lo, exec_lo, s7
                                        ; implicit-def: $vgpr132_vgpr133
	s_and_saveexec_b32 s7, s0
	s_cbranch_execnz .LBB814_286
.LBB814_163:
	s_or_b32 exec_lo, exec_lo, s7
                                        ; implicit-def: $vgpr134_vgpr135
	s_and_saveexec_b32 s0, s1
	s_cbranch_execnz .LBB814_287
.LBB814_164:
	s_or_b32 exec_lo, exec_lo, s0
                                        ; implicit-def: $vgpr144_vgpr145
	s_and_saveexec_b32 s0, s2
	s_cbranch_execnz .LBB814_288
.LBB814_165:
	s_or_b32 exec_lo, exec_lo, s0
                                        ; implicit-def: $vgpr146_vgpr147
	s_and_saveexec_b32 s0, s3
	s_cbranch_execnz .LBB814_289
.LBB814_166:
	s_or_b32 exec_lo, exec_lo, s0
                                        ; implicit-def: $vgpr148_vgpr149
	s_and_saveexec_b32 s0, s4
	s_cbranch_execnz .LBB814_290
.LBB814_167:
	s_or_b32 exec_lo, exec_lo, s0
                                        ; implicit-def: $vgpr118_vgpr119
	s_and_saveexec_b32 s0, s5
	s_cbranch_execnz .LBB814_291
.LBB814_168:
	s_or_b32 exec_lo, exec_lo, s0
                                        ; implicit-def: $vgpr128_vgpr129
	s_and_saveexec_b32 s0, s6
	s_cbranch_execz .LBB814_170
.LBB814_169:
	flat_load_b64 v[128:129], v[0:1] offset:1792
.LBB814_170:
	s_or_b32 exec_lo, exec_lo, s0
	v_dual_mov_b32 v1, 0 :: v_dual_lshlrev_b32 v0, 5, v26
	s_mov_b32 s20, 0
	v_add_co_u32 v182, vcc_lo, v12, 32
	s_mov_b32 s21, s20
	s_mov_b32 s22, s20
	;; [unrolled: 1-line block ×3, first 2 shown]
	v_and_b32_e32 v16, 0x3e0, v26
	v_add_co_ci_u32_e32 v183, vcc_lo, 0, v13, vcc_lo
	v_add_co_u32 v4, vcc_lo, v12, v0
	v_add_co_ci_u32_e32 v5, vcc_lo, 0, v13, vcc_lo
	v_add_co_u32 v8, vcc_lo, v182, v0
	v_min_u32_e32 v0, 0xe0, v16
	v_and_b32_e32 v16, 16, v35
	v_add_nc_u32_e32 v17, -1, v35
	v_and_b32_e32 v15, 15, v35
	s_getpc_b64 s[0:1]
	s_add_u32 s0, s0, _ZN7rocprim17ROCPRIM_400000_NS16block_radix_sortIlLj256ELj8ElLj1ELj1ELj8ELNS0_26block_radix_rank_algorithmE2ELNS0_18block_padding_hintE2ELNS0_4arch9wavefront6targetE0EE19radix_bits_per_passE@rel32@lo+4
	s_addc_u32 s1, s1, _ZN7rocprim17ROCPRIM_400000_NS16block_radix_sortIlLj256ELj8ElLj1ELj1ELj8ELNS0_26block_radix_rank_algorithmE2ELNS0_18block_padding_hintE2ELNS0_4arch9wavefront6targetE0EE19radix_bits_per_passE@rel32@hi+12
	v_or_b32_e32 v0, 31, v0
	v_cmp_eq_u32_e64 s3, 0, v16
	v_cmp_gt_i32_e64 s4, 0, v17
	v_lshrrev_b32_e32 v16, 5, v26
	v_add_co_ci_u32_e32 v9, vcc_lo, 0, v183, vcc_lo
	s_load_b32 s25, s[0:1], 0x0
	v_cmp_eq_u32_e32 vcc_lo, 0, v15
	v_cmp_lt_u32_e64 s0, 1, v15
	v_cmp_lt_u32_e64 s1, 3, v15
	;; [unrolled: 1-line block ×3, first 2 shown]
	v_cndmask_b32_e64 v15, v17, v35, s4
	v_cmp_eq_u32_e64 s4, v0, v26
	v_lshlrev_b32_e32 v0, 2, v16
	v_lshlrev_b32_e32 v14, 3, v26
	v_and_b32_e32 v17, 7, v35
	v_lshlrev_b32_e32 v193, 2, v15
	v_lshlrev_b32_e32 v15, 2, v26
	v_add_co_u32 v30, s11, v12, v0
	v_add_nc_u32_e32 v0, -1, v16
	v_add_co_ci_u32_e64 v31, s11, 0, v13, s11
	v_and_or_b32 v16, 0x1f00, v14, v35
	v_add_co_u32 v32, s11, v12, v15
	s_delay_alu instid0(VALU_DEP_4) | instskip(SKIP_1) | instid1(VALU_DEP_4)
	v_lshlrev_b64 v[14:15], 2, v[0:1]
	v_cmp_eq_u32_e64 s7, 0, v35
	v_lshlrev_b32_e32 v0, 3, v16
	v_add_co_ci_u32_e64 v33, s11, 0, v13, s11
	v_cmp_eq_u32_e64 s11, 0, v17
	v_add_co_u32 v34, s16, v12, v14
	s_delay_alu instid0(VALU_DEP_1)
	v_add_co_ci_u32_e64 v35, s16, v13, v15, s16
	v_add_co_u32 v36, s16, v12, v0
	v_cmp_lt_u32_e64 s14, 1, v17
	v_cmp_lt_u32_e64 s15, 3, v17
	v_mov_b32_e32 v14, s20
	s_waitcnt vmcnt(0) lgkmcnt(0)
	v_xor_b32_e32 v113, 0x80000000, v113
	v_xor_b32_e32 v19, 0x80000000, v19
	v_xor_b32_e32 v21, 0x80000000, v21
	v_xor_b32_e32 v23, 0x80000000, v23
	v_xor_b32_e32 v25, 0x80000000, v25
	v_xor_b32_e32 v103, 0x80000000, v103
	v_xor_b32_e32 v115, 0x80000000, v115
	v_xor_b32_e32 v117, 0x80000000, v117
	v_lshrrev_b32_e32 v192, 5, v29
	v_cmp_gt_u32_e64 s5, 8, v26
	v_cmp_lt_u32_e64 s6, 31, v26
	v_cmp_eq_u32_e64 s10, 0, v26
	v_add_co_ci_u32_e64 v37, s16, 0, v13, s16
	v_sub_nc_u32_e32 v194, v11, v10
	v_dual_mov_b32 v15, s21 :: v_dual_mov_b32 v16, s22
	v_mov_b32_e32 v17, s23
	s_waitcnt_vscnt null, 0x0
	s_barrier
	buffer_gl0_inv
	s_branch .LBB814_172
.LBB814_171:                            ;   in Loop: Header=BB814_172 Depth=1
	s_or_b32 exec_lo, exec_lo, s17
	s_delay_alu instid0(SALU_CYCLE_1) | instskip(NEXT) | instid1(SALU_CYCLE_1)
	s_and_b32 s16, exec_lo, s18
	s_or_b32 s20, s16, s20
	s_delay_alu instid0(SALU_CYCLE_1)
	s_and_not1_b32 exec_lo, exec_lo, s20
	s_cbranch_execz .LBB814_226
.LBB814_172:                            ; =>This Inner Loop Header: Depth=1
	v_min_u32_e32 v0, s25, v194
	v_dual_mov_b32 v66, v112 :: v_dual_mov_b32 v67, v113
	v_mov_b32_e32 v64, v134
	v_mov_b32_e32 v100, v116
	s_delay_alu instid0(VALU_DEP_4)
	v_lshlrev_b32_e64 v0, v0, -1
	v_mov_b32_e32 v54, v144
	v_lshrrev_b64 v[50:51], v10, v[66:67]
	v_mov_b32_e32 v52, v146
	v_dual_mov_b32 v48, v130 :: v_dual_mov_b32 v49, v131
	v_not_b32_e32 v150, v0
	v_dual_mov_b32 v38, v132 :: v_dual_mov_b32 v39, v133
	v_mov_b32_e32 v55, v145
	s_delay_alu instid0(VALU_DEP_3)
	v_dual_mov_b32 v65, v135 :: v_dual_and_b32 v0, v50, v150
	v_dual_mov_b32 v50, v148 :: v_dual_mov_b32 v53, v147
	v_mov_b32_e32 v51, v149
	s_clause 0x1
	flat_store_b128 v[4:5], v[14:17] offset:32
	flat_store_b128 v[8:9], v[14:17] offset:16
	v_lshlrev_b32_e32 v69, 30, v0
	v_and_b32_e32 v68, 1, v0
	v_lshlrev_b32_e32 v70, 29, v0
	v_lshlrev_b32_e32 v71, 28, v0
	;; [unrolled: 1-line block ×3, first 2 shown]
	v_not_b32_e32 v84, v69
	v_add_co_u32 v68, s16, v68, -1
	s_delay_alu instid0(VALU_DEP_1)
	v_cndmask_b32_e64 v80, 0, 1, s16
	v_cmp_gt_i32_e64 s17, 0, v69
	v_not_b32_e32 v69, v70
	v_ashrrev_i32_e32 v84, 31, v84
	v_lshlrev_b32_e32 v82, 26, v0
	v_cmp_ne_u32_e64 s16, 0, v80
	v_lshlrev_b32_e32 v83, 25, v0
	v_ashrrev_i32_e32 v69, 31, v69
	v_xor_b32_e32 v84, s17, v84
	v_cmp_gt_i32_e64 s17, 0, v71
	v_xor_b32_e32 v68, s16, v68
	v_cmp_gt_i32_e64 s16, 0, v70
	v_not_b32_e32 v70, v71
	v_not_b32_e32 v71, v81
	s_delay_alu instid0(VALU_DEP_4) | instskip(NEXT) | instid1(VALU_DEP_4)
	v_dual_mov_b32 v99, v23 :: v_dual_and_b32 v68, exec_lo, v68
	v_xor_b32_e32 v69, s16, v69
	s_delay_alu instid0(VALU_DEP_4)
	v_ashrrev_i32_e32 v70, 31, v70
	v_cmp_gt_i32_e64 s16, 0, v81
	v_not_b32_e32 v81, v82
	v_dual_mov_b32 v97, v25 :: v_dual_and_b32 v68, v68, v84
	v_ashrrev_i32_e32 v71, 31, v71
	v_xor_b32_e32 v70, s17, v70
	v_lshlrev_b32_e32 v80, 24, v0
	s_delay_alu instid0(VALU_DEP_4)
	v_and_b32_e32 v68, v68, v69
	v_not_b32_e32 v69, v83
	v_cmp_gt_i32_e64 s17, 0, v82
	v_ashrrev_i32_e32 v81, 31, v81
	v_xor_b32_e32 v71, s16, v71
	v_and_b32_e32 v68, v68, v70
	v_cmp_gt_i32_e64 s16, 0, v83
	v_ashrrev_i32_e32 v82, 31, v69
	v_xor_b32_e32 v81, s17, v81
	s_delay_alu instid0(VALU_DEP_4) | instskip(SKIP_1) | instid1(VALU_DEP_4)
	v_dual_mov_b32 v98, v22 :: v_dual_and_b32 v71, v68, v71
	v_lshl_add_u32 v0, v0, 3, v192
	v_xor_b32_e32 v85, s16, v82
	v_mov_b32_e32 v83, v19
	v_not_b32_e32 v70, v80
	v_cmp_gt_i32_e64 s17, 0, v80
	v_dual_mov_b32 v101, v117 :: v_dual_and_b32 v86, v71, v81
	v_mov_b32_e32 v81, v21
	s_delay_alu instid0(VALU_DEP_4) | instskip(SKIP_1) | instid1(VALU_DEP_4)
	v_ashrrev_i32_e32 v84, 31, v70
	v_mov_b32_e32 v82, v18
	v_dual_mov_b32 v80, v20 :: v_dual_and_b32 v19, v86, v85
	v_mov_b32_e32 v86, v102
	s_delay_alu instid0(VALU_DEP_4) | instskip(SKIP_3) | instid1(VALU_DEP_4)
	v_xor_b32_e32 v18, s17, v84
	v_dual_mov_b32 v87, v103 :: v_dual_mov_b32 v68, v118
	v_mov_b32_e32 v70, v128
	v_mov_b32_e32 v84, v114
	v_and_b32_e32 v18, v19, v18
	v_lshlrev_b64 v[19:20], 2, v[0:1]
	v_mov_b32_e32 v69, v119
	v_dual_mov_b32 v71, v129 :: v_dual_mov_b32 v96, v24
	s_delay_alu instid0(VALU_DEP_4) | instskip(SKIP_3) | instid1(VALU_DEP_4)
	v_mbcnt_lo_u32_b32 v134, v18, 0
	v_cmp_ne_u32_e64 s16, 0, v18
	v_add_co_u32 v102, s18, v182, v19
	v_mov_b32_e32 v85, v115
	v_cmp_eq_u32_e64 s17, 0, v134
	v_add_co_ci_u32_e64 v103, s18, v183, v20, s18
	s_waitcnt lgkmcnt(0)
	s_waitcnt_vscnt null, 0x0
	s_barrier
	s_and_b32 s17, s16, s17
	buffer_gl0_inv
	; wave barrier
	s_and_saveexec_b32 s16, s17
	s_cbranch_execz .LBB814_174
; %bb.173:                              ;   in Loop: Header=BB814_172 Depth=1
	v_bcnt_u32_b32 v0, v18, 0
	flat_store_b32 v[102:103], v0
.LBB814_174:                            ;   in Loop: Header=BB814_172 Depth=1
	s_or_b32 exec_lo, exec_lo, s16
	v_lshrrev_b64 v[18:19], v10, v[82:83]
	; wave barrier
	s_delay_alu instid0(VALU_DEP_1) | instskip(NEXT) | instid1(VALU_DEP_1)
	v_and_b32_e32 v20, v18, v150
	v_lshl_add_u32 v0, v20, 3, v192
	v_lshlrev_b32_e32 v21, 29, v20
	v_lshlrev_b32_e32 v22, 28, v20
	s_delay_alu instid0(VALU_DEP_3) | instskip(SKIP_1) | instid1(VALU_DEP_2)
	v_lshlrev_b64 v[18:19], 2, v[0:1]
	v_and_b32_e32 v0, 1, v20
	v_add_co_u32 v112, s16, v182, v18
	s_delay_alu instid0(VALU_DEP_1) | instskip(NEXT) | instid1(VALU_DEP_3)
	v_add_co_ci_u32_e64 v113, s16, v183, v19, s16
	v_add_co_u32 v0, s16, v0, -1
	s_delay_alu instid0(VALU_DEP_1) | instskip(SKIP_3) | instid1(VALU_DEP_2)
	v_cndmask_b32_e64 v18, 0, 1, s16
	flat_load_b32 v135, v[112:113]
	v_lshlrev_b32_e32 v19, 30, v20
	; wave barrier
	v_cmp_ne_u32_e64 s16, 0, v18
	v_not_b32_e32 v18, v19
	s_delay_alu instid0(VALU_DEP_2) | instskip(SKIP_1) | instid1(VALU_DEP_3)
	v_xor_b32_e32 v0, s16, v0
	v_cmp_gt_i32_e64 s16, 0, v19
	v_ashrrev_i32_e32 v18, 31, v18
	v_not_b32_e32 v19, v21
	s_delay_alu instid0(VALU_DEP_4) | instskip(NEXT) | instid1(VALU_DEP_3)
	v_and_b32_e32 v0, exec_lo, v0
	v_xor_b32_e32 v18, s16, v18
	v_cmp_gt_i32_e64 s16, 0, v21
	s_delay_alu instid0(VALU_DEP_4) | instskip(SKIP_1) | instid1(VALU_DEP_4)
	v_ashrrev_i32_e32 v19, 31, v19
	v_not_b32_e32 v21, v22
	v_and_b32_e32 v0, v0, v18
	v_lshlrev_b32_e32 v18, 27, v20
	s_delay_alu instid0(VALU_DEP_4) | instskip(SKIP_2) | instid1(VALU_DEP_4)
	v_xor_b32_e32 v19, s16, v19
	v_cmp_gt_i32_e64 s16, 0, v22
	v_ashrrev_i32_e32 v21, 31, v21
	v_not_b32_e32 v22, v18
	s_delay_alu instid0(VALU_DEP_4) | instskip(SKIP_1) | instid1(VALU_DEP_4)
	v_and_b32_e32 v0, v0, v19
	v_lshlrev_b32_e32 v19, 26, v20
	v_xor_b32_e32 v21, s16, v21
	v_cmp_gt_i32_e64 s16, 0, v18
	v_ashrrev_i32_e32 v18, 31, v22
	s_delay_alu instid0(VALU_DEP_4) | instskip(NEXT) | instid1(VALU_DEP_4)
	v_not_b32_e32 v22, v19
	v_and_b32_e32 v0, v0, v21
	v_lshlrev_b32_e32 v21, 25, v20
	s_delay_alu instid0(VALU_DEP_4) | instskip(SKIP_2) | instid1(VALU_DEP_4)
	v_xor_b32_e32 v18, s16, v18
	v_cmp_gt_i32_e64 s16, 0, v19
	v_ashrrev_i32_e32 v19, 31, v22
	v_not_b32_e32 v22, v21
	s_delay_alu instid0(VALU_DEP_4) | instskip(SKIP_1) | instid1(VALU_DEP_4)
	v_and_b32_e32 v0, v0, v18
	v_lshlrev_b32_e32 v18, 24, v20
	v_xor_b32_e32 v19, s16, v19
	v_cmp_gt_i32_e64 s16, 0, v21
	v_ashrrev_i32_e32 v20, 31, v22
	s_delay_alu instid0(VALU_DEP_4) | instskip(NEXT) | instid1(VALU_DEP_4)
	v_not_b32_e32 v21, v18
	v_and_b32_e32 v0, v0, v19
	s_delay_alu instid0(VALU_DEP_3) | instskip(SKIP_1) | instid1(VALU_DEP_4)
	v_xor_b32_e32 v19, s16, v20
	v_cmp_gt_i32_e64 s16, 0, v18
	v_ashrrev_i32_e32 v18, 31, v21
	s_delay_alu instid0(VALU_DEP_3) | instskip(NEXT) | instid1(VALU_DEP_2)
	v_and_b32_e32 v0, v0, v19
	v_xor_b32_e32 v18, s16, v18
	s_delay_alu instid0(VALU_DEP_1) | instskip(NEXT) | instid1(VALU_DEP_1)
	v_and_b32_e32 v0, v0, v18
	v_mbcnt_lo_u32_b32 v144, v0, 0
	v_cmp_ne_u32_e64 s17, 0, v0
	s_delay_alu instid0(VALU_DEP_2) | instskip(NEXT) | instid1(VALU_DEP_1)
	v_cmp_eq_u32_e64 s16, 0, v144
	s_and_b32 s17, s17, s16
	s_delay_alu instid0(SALU_CYCLE_1)
	s_and_saveexec_b32 s16, s17
	s_cbranch_execz .LBB814_176
; %bb.175:                              ;   in Loop: Header=BB814_172 Depth=1
	s_waitcnt vmcnt(0) lgkmcnt(0)
	v_bcnt_u32_b32 v0, v0, v135
	flat_store_b32 v[112:113], v0
.LBB814_176:                            ;   in Loop: Header=BB814_172 Depth=1
	s_or_b32 exec_lo, exec_lo, s16
	v_lshrrev_b64 v[18:19], v10, v[80:81]
	; wave barrier
	s_delay_alu instid0(VALU_DEP_1) | instskip(NEXT) | instid1(VALU_DEP_1)
	v_and_b32_e32 v20, v18, v150
	v_lshl_add_u32 v0, v20, 3, v192
	v_lshlrev_b32_e32 v21, 29, v20
	v_lshlrev_b32_e32 v22, 28, v20
	s_delay_alu instid0(VALU_DEP_3) | instskip(SKIP_1) | instid1(VALU_DEP_2)
	v_lshlrev_b64 v[18:19], 2, v[0:1]
	v_and_b32_e32 v0, 1, v20
	v_add_co_u32 v114, s16, v182, v18
	s_delay_alu instid0(VALU_DEP_1) | instskip(NEXT) | instid1(VALU_DEP_3)
	v_add_co_ci_u32_e64 v115, s16, v183, v19, s16
	v_add_co_u32 v0, s16, v0, -1
	s_delay_alu instid0(VALU_DEP_1) | instskip(SKIP_3) | instid1(VALU_DEP_2)
	v_cndmask_b32_e64 v18, 0, 1, s16
	flat_load_b32 v145, v[114:115]
	v_lshlrev_b32_e32 v19, 30, v20
	; wave barrier
	v_cmp_ne_u32_e64 s16, 0, v18
	v_not_b32_e32 v18, v19
	s_delay_alu instid0(VALU_DEP_2) | instskip(SKIP_1) | instid1(VALU_DEP_3)
	v_xor_b32_e32 v0, s16, v0
	v_cmp_gt_i32_e64 s16, 0, v19
	v_ashrrev_i32_e32 v18, 31, v18
	v_not_b32_e32 v19, v21
	s_delay_alu instid0(VALU_DEP_4) | instskip(NEXT) | instid1(VALU_DEP_3)
	v_and_b32_e32 v0, exec_lo, v0
	v_xor_b32_e32 v18, s16, v18
	v_cmp_gt_i32_e64 s16, 0, v21
	s_delay_alu instid0(VALU_DEP_4) | instskip(SKIP_1) | instid1(VALU_DEP_4)
	v_ashrrev_i32_e32 v19, 31, v19
	v_not_b32_e32 v21, v22
	v_and_b32_e32 v0, v0, v18
	v_lshlrev_b32_e32 v18, 27, v20
	s_delay_alu instid0(VALU_DEP_4) | instskip(SKIP_2) | instid1(VALU_DEP_4)
	v_xor_b32_e32 v19, s16, v19
	v_cmp_gt_i32_e64 s16, 0, v22
	v_ashrrev_i32_e32 v21, 31, v21
	v_not_b32_e32 v22, v18
	s_delay_alu instid0(VALU_DEP_4) | instskip(SKIP_1) | instid1(VALU_DEP_4)
	v_and_b32_e32 v0, v0, v19
	v_lshlrev_b32_e32 v19, 26, v20
	v_xor_b32_e32 v21, s16, v21
	v_cmp_gt_i32_e64 s16, 0, v18
	v_ashrrev_i32_e32 v18, 31, v22
	s_delay_alu instid0(VALU_DEP_4) | instskip(NEXT) | instid1(VALU_DEP_4)
	v_not_b32_e32 v22, v19
	v_and_b32_e32 v0, v0, v21
	v_lshlrev_b32_e32 v21, 25, v20
	s_delay_alu instid0(VALU_DEP_4) | instskip(SKIP_2) | instid1(VALU_DEP_4)
	v_xor_b32_e32 v18, s16, v18
	v_cmp_gt_i32_e64 s16, 0, v19
	v_ashrrev_i32_e32 v19, 31, v22
	v_not_b32_e32 v22, v21
	s_delay_alu instid0(VALU_DEP_4) | instskip(SKIP_1) | instid1(VALU_DEP_4)
	v_and_b32_e32 v0, v0, v18
	v_lshlrev_b32_e32 v18, 24, v20
	v_xor_b32_e32 v19, s16, v19
	v_cmp_gt_i32_e64 s16, 0, v21
	v_ashrrev_i32_e32 v20, 31, v22
	s_delay_alu instid0(VALU_DEP_4) | instskip(NEXT) | instid1(VALU_DEP_4)
	v_not_b32_e32 v21, v18
	v_and_b32_e32 v0, v0, v19
	s_delay_alu instid0(VALU_DEP_3) | instskip(SKIP_1) | instid1(VALU_DEP_4)
	v_xor_b32_e32 v19, s16, v20
	v_cmp_gt_i32_e64 s16, 0, v18
	v_ashrrev_i32_e32 v18, 31, v21
	s_delay_alu instid0(VALU_DEP_3) | instskip(NEXT) | instid1(VALU_DEP_2)
	v_and_b32_e32 v0, v0, v19
	v_xor_b32_e32 v18, s16, v18
	s_delay_alu instid0(VALU_DEP_1) | instskip(NEXT) | instid1(VALU_DEP_1)
	v_and_b32_e32 v0, v0, v18
	v_mbcnt_lo_u32_b32 v146, v0, 0
	v_cmp_ne_u32_e64 s17, 0, v0
	s_delay_alu instid0(VALU_DEP_2) | instskip(NEXT) | instid1(VALU_DEP_1)
	v_cmp_eq_u32_e64 s16, 0, v146
	s_and_b32 s17, s17, s16
	s_delay_alu instid0(SALU_CYCLE_1)
	s_and_saveexec_b32 s16, s17
	s_cbranch_execz .LBB814_178
; %bb.177:                              ;   in Loop: Header=BB814_172 Depth=1
	s_waitcnt vmcnt(0) lgkmcnt(0)
	v_bcnt_u32_b32 v0, v0, v145
	flat_store_b32 v[114:115], v0
.LBB814_178:                            ;   in Loop: Header=BB814_172 Depth=1
	s_or_b32 exec_lo, exec_lo, s16
	v_lshrrev_b64 v[18:19], v10, v[98:99]
	; wave barrier
	s_delay_alu instid0(VALU_DEP_1) | instskip(NEXT) | instid1(VALU_DEP_1)
	v_and_b32_e32 v20, v18, v150
	v_lshl_add_u32 v0, v20, 3, v192
	v_lshlrev_b32_e32 v21, 29, v20
	v_lshlrev_b32_e32 v22, 28, v20
	s_delay_alu instid0(VALU_DEP_3) | instskip(SKIP_1) | instid1(VALU_DEP_2)
	v_lshlrev_b64 v[18:19], 2, v[0:1]
	v_and_b32_e32 v0, 1, v20
	v_add_co_u32 v116, s16, v182, v18
	s_delay_alu instid0(VALU_DEP_1) | instskip(NEXT) | instid1(VALU_DEP_3)
	v_add_co_ci_u32_e64 v117, s16, v183, v19, s16
	v_add_co_u32 v0, s16, v0, -1
	s_delay_alu instid0(VALU_DEP_1) | instskip(SKIP_3) | instid1(VALU_DEP_2)
	v_cndmask_b32_e64 v18, 0, 1, s16
	flat_load_b32 v147, v[116:117]
	v_lshlrev_b32_e32 v19, 30, v20
	; wave barrier
	v_cmp_ne_u32_e64 s16, 0, v18
	v_not_b32_e32 v18, v19
	s_delay_alu instid0(VALU_DEP_2) | instskip(SKIP_1) | instid1(VALU_DEP_3)
	v_xor_b32_e32 v0, s16, v0
	v_cmp_gt_i32_e64 s16, 0, v19
	v_ashrrev_i32_e32 v18, 31, v18
	v_not_b32_e32 v19, v21
	s_delay_alu instid0(VALU_DEP_4) | instskip(NEXT) | instid1(VALU_DEP_3)
	v_and_b32_e32 v0, exec_lo, v0
	v_xor_b32_e32 v18, s16, v18
	v_cmp_gt_i32_e64 s16, 0, v21
	s_delay_alu instid0(VALU_DEP_4) | instskip(SKIP_1) | instid1(VALU_DEP_4)
	v_ashrrev_i32_e32 v19, 31, v19
	v_not_b32_e32 v21, v22
	v_and_b32_e32 v0, v0, v18
	v_lshlrev_b32_e32 v18, 27, v20
	s_delay_alu instid0(VALU_DEP_4) | instskip(SKIP_2) | instid1(VALU_DEP_4)
	v_xor_b32_e32 v19, s16, v19
	v_cmp_gt_i32_e64 s16, 0, v22
	v_ashrrev_i32_e32 v21, 31, v21
	v_not_b32_e32 v22, v18
	s_delay_alu instid0(VALU_DEP_4) | instskip(SKIP_1) | instid1(VALU_DEP_4)
	v_and_b32_e32 v0, v0, v19
	v_lshlrev_b32_e32 v19, 26, v20
	v_xor_b32_e32 v21, s16, v21
	v_cmp_gt_i32_e64 s16, 0, v18
	v_ashrrev_i32_e32 v18, 31, v22
	s_delay_alu instid0(VALU_DEP_4) | instskip(NEXT) | instid1(VALU_DEP_4)
	v_not_b32_e32 v22, v19
	v_and_b32_e32 v0, v0, v21
	v_lshlrev_b32_e32 v21, 25, v20
	s_delay_alu instid0(VALU_DEP_4) | instskip(SKIP_2) | instid1(VALU_DEP_4)
	v_xor_b32_e32 v18, s16, v18
	v_cmp_gt_i32_e64 s16, 0, v19
	v_ashrrev_i32_e32 v19, 31, v22
	v_not_b32_e32 v22, v21
	s_delay_alu instid0(VALU_DEP_4) | instskip(SKIP_1) | instid1(VALU_DEP_4)
	v_and_b32_e32 v0, v0, v18
	v_lshlrev_b32_e32 v18, 24, v20
	v_xor_b32_e32 v19, s16, v19
	v_cmp_gt_i32_e64 s16, 0, v21
	v_ashrrev_i32_e32 v20, 31, v22
	s_delay_alu instid0(VALU_DEP_4) | instskip(NEXT) | instid1(VALU_DEP_4)
	v_not_b32_e32 v21, v18
	v_and_b32_e32 v0, v0, v19
	s_delay_alu instid0(VALU_DEP_3) | instskip(SKIP_1) | instid1(VALU_DEP_4)
	v_xor_b32_e32 v19, s16, v20
	v_cmp_gt_i32_e64 s16, 0, v18
	v_ashrrev_i32_e32 v18, 31, v21
	s_delay_alu instid0(VALU_DEP_3) | instskip(NEXT) | instid1(VALU_DEP_2)
	v_and_b32_e32 v0, v0, v19
	v_xor_b32_e32 v18, s16, v18
	s_delay_alu instid0(VALU_DEP_1) | instskip(NEXT) | instid1(VALU_DEP_1)
	v_and_b32_e32 v0, v0, v18
	v_mbcnt_lo_u32_b32 v148, v0, 0
	v_cmp_ne_u32_e64 s17, 0, v0
	s_delay_alu instid0(VALU_DEP_2) | instskip(NEXT) | instid1(VALU_DEP_1)
	v_cmp_eq_u32_e64 s16, 0, v148
	s_and_b32 s17, s17, s16
	s_delay_alu instid0(SALU_CYCLE_1)
	s_and_saveexec_b32 s16, s17
	s_cbranch_execz .LBB814_180
; %bb.179:                              ;   in Loop: Header=BB814_172 Depth=1
	s_waitcnt vmcnt(0) lgkmcnt(0)
	v_bcnt_u32_b32 v0, v0, v147
	flat_store_b32 v[116:117], v0
.LBB814_180:                            ;   in Loop: Header=BB814_172 Depth=1
	s_or_b32 exec_lo, exec_lo, s16
	v_lshrrev_b64 v[18:19], v10, v[96:97]
	; wave barrier
	s_delay_alu instid0(VALU_DEP_1) | instskip(NEXT) | instid1(VALU_DEP_1)
	v_and_b32_e32 v20, v18, v150
	v_lshl_add_u32 v0, v20, 3, v192
	v_lshlrev_b32_e32 v21, 29, v20
	v_lshlrev_b32_e32 v22, 28, v20
	s_delay_alu instid0(VALU_DEP_3) | instskip(SKIP_1) | instid1(VALU_DEP_2)
	v_lshlrev_b64 v[18:19], 2, v[0:1]
	v_and_b32_e32 v0, 1, v20
	v_add_co_u32 v118, s16, v182, v18
	s_delay_alu instid0(VALU_DEP_1) | instskip(NEXT) | instid1(VALU_DEP_3)
	v_add_co_ci_u32_e64 v119, s16, v183, v19, s16
	v_add_co_u32 v0, s16, v0, -1
	s_delay_alu instid0(VALU_DEP_1) | instskip(SKIP_3) | instid1(VALU_DEP_2)
	v_cndmask_b32_e64 v18, 0, 1, s16
	flat_load_b32 v149, v[118:119]
	v_lshlrev_b32_e32 v19, 30, v20
	; wave barrier
	v_cmp_ne_u32_e64 s16, 0, v18
	v_not_b32_e32 v18, v19
	s_delay_alu instid0(VALU_DEP_2) | instskip(SKIP_1) | instid1(VALU_DEP_3)
	v_xor_b32_e32 v0, s16, v0
	v_cmp_gt_i32_e64 s16, 0, v19
	v_ashrrev_i32_e32 v18, 31, v18
	v_not_b32_e32 v19, v21
	s_delay_alu instid0(VALU_DEP_4) | instskip(NEXT) | instid1(VALU_DEP_3)
	v_and_b32_e32 v0, exec_lo, v0
	v_xor_b32_e32 v18, s16, v18
	v_cmp_gt_i32_e64 s16, 0, v21
	s_delay_alu instid0(VALU_DEP_4) | instskip(SKIP_1) | instid1(VALU_DEP_4)
	v_ashrrev_i32_e32 v19, 31, v19
	v_not_b32_e32 v21, v22
	v_and_b32_e32 v0, v0, v18
	v_lshlrev_b32_e32 v18, 27, v20
	s_delay_alu instid0(VALU_DEP_4) | instskip(SKIP_2) | instid1(VALU_DEP_4)
	v_xor_b32_e32 v19, s16, v19
	v_cmp_gt_i32_e64 s16, 0, v22
	v_ashrrev_i32_e32 v21, 31, v21
	v_not_b32_e32 v22, v18
	s_delay_alu instid0(VALU_DEP_4) | instskip(SKIP_1) | instid1(VALU_DEP_4)
	v_and_b32_e32 v0, v0, v19
	v_lshlrev_b32_e32 v19, 26, v20
	v_xor_b32_e32 v21, s16, v21
	v_cmp_gt_i32_e64 s16, 0, v18
	v_ashrrev_i32_e32 v18, 31, v22
	s_delay_alu instid0(VALU_DEP_4) | instskip(NEXT) | instid1(VALU_DEP_4)
	v_not_b32_e32 v22, v19
	v_and_b32_e32 v0, v0, v21
	v_lshlrev_b32_e32 v21, 25, v20
	s_delay_alu instid0(VALU_DEP_4) | instskip(SKIP_2) | instid1(VALU_DEP_4)
	v_xor_b32_e32 v18, s16, v18
	v_cmp_gt_i32_e64 s16, 0, v19
	v_ashrrev_i32_e32 v19, 31, v22
	v_not_b32_e32 v22, v21
	s_delay_alu instid0(VALU_DEP_4) | instskip(SKIP_1) | instid1(VALU_DEP_4)
	v_and_b32_e32 v0, v0, v18
	v_lshlrev_b32_e32 v18, 24, v20
	v_xor_b32_e32 v19, s16, v19
	v_cmp_gt_i32_e64 s16, 0, v21
	v_ashrrev_i32_e32 v20, 31, v22
	s_delay_alu instid0(VALU_DEP_4) | instskip(NEXT) | instid1(VALU_DEP_4)
	v_not_b32_e32 v21, v18
	v_and_b32_e32 v0, v0, v19
	s_delay_alu instid0(VALU_DEP_3) | instskip(SKIP_1) | instid1(VALU_DEP_4)
	v_xor_b32_e32 v19, s16, v20
	v_cmp_gt_i32_e64 s16, 0, v18
	v_ashrrev_i32_e32 v18, 31, v21
	s_delay_alu instid0(VALU_DEP_3) | instskip(NEXT) | instid1(VALU_DEP_2)
	v_and_b32_e32 v0, v0, v19
	v_xor_b32_e32 v18, s16, v18
	s_delay_alu instid0(VALU_DEP_1) | instskip(NEXT) | instid1(VALU_DEP_1)
	v_and_b32_e32 v0, v0, v18
	v_mbcnt_lo_u32_b32 v151, v0, 0
	v_cmp_ne_u32_e64 s17, 0, v0
	s_delay_alu instid0(VALU_DEP_2) | instskip(NEXT) | instid1(VALU_DEP_1)
	v_cmp_eq_u32_e64 s16, 0, v151
	s_and_b32 s17, s17, s16
	s_delay_alu instid0(SALU_CYCLE_1)
	s_and_saveexec_b32 s16, s17
	s_cbranch_execz .LBB814_182
; %bb.181:                              ;   in Loop: Header=BB814_172 Depth=1
	s_waitcnt vmcnt(0) lgkmcnt(0)
	v_bcnt_u32_b32 v0, v0, v149
	flat_store_b32 v[118:119], v0
.LBB814_182:                            ;   in Loop: Header=BB814_172 Depth=1
	s_or_b32 exec_lo, exec_lo, s16
	v_lshrrev_b64 v[18:19], v10, v[86:87]
	; wave barrier
	s_delay_alu instid0(VALU_DEP_1) | instskip(NEXT) | instid1(VALU_DEP_1)
	v_and_b32_e32 v20, v18, v150
	v_lshl_add_u32 v0, v20, 3, v192
	v_lshlrev_b32_e32 v21, 29, v20
	v_lshlrev_b32_e32 v22, 28, v20
	s_delay_alu instid0(VALU_DEP_3) | instskip(SKIP_1) | instid1(VALU_DEP_2)
	v_lshlrev_b64 v[18:19], 2, v[0:1]
	v_and_b32_e32 v0, 1, v20
	v_add_co_u32 v128, s16, v182, v18
	s_delay_alu instid0(VALU_DEP_1) | instskip(NEXT) | instid1(VALU_DEP_3)
	v_add_co_ci_u32_e64 v129, s16, v183, v19, s16
	v_add_co_u32 v0, s16, v0, -1
	s_delay_alu instid0(VALU_DEP_1) | instskip(SKIP_3) | instid1(VALU_DEP_2)
	v_cndmask_b32_e64 v18, 0, 1, s16
	flat_load_b32 v160, v[128:129]
	v_lshlrev_b32_e32 v19, 30, v20
	; wave barrier
	v_cmp_ne_u32_e64 s16, 0, v18
	v_not_b32_e32 v18, v19
	s_delay_alu instid0(VALU_DEP_2) | instskip(SKIP_1) | instid1(VALU_DEP_3)
	v_xor_b32_e32 v0, s16, v0
	v_cmp_gt_i32_e64 s16, 0, v19
	v_ashrrev_i32_e32 v18, 31, v18
	v_not_b32_e32 v19, v21
	s_delay_alu instid0(VALU_DEP_4) | instskip(NEXT) | instid1(VALU_DEP_3)
	v_and_b32_e32 v0, exec_lo, v0
	v_xor_b32_e32 v18, s16, v18
	v_cmp_gt_i32_e64 s16, 0, v21
	s_delay_alu instid0(VALU_DEP_4) | instskip(SKIP_1) | instid1(VALU_DEP_4)
	v_ashrrev_i32_e32 v19, 31, v19
	v_not_b32_e32 v21, v22
	v_and_b32_e32 v0, v0, v18
	v_lshlrev_b32_e32 v18, 27, v20
	s_delay_alu instid0(VALU_DEP_4) | instskip(SKIP_2) | instid1(VALU_DEP_4)
	v_xor_b32_e32 v19, s16, v19
	v_cmp_gt_i32_e64 s16, 0, v22
	v_ashrrev_i32_e32 v21, 31, v21
	v_not_b32_e32 v22, v18
	s_delay_alu instid0(VALU_DEP_4) | instskip(SKIP_1) | instid1(VALU_DEP_4)
	v_and_b32_e32 v0, v0, v19
	v_lshlrev_b32_e32 v19, 26, v20
	v_xor_b32_e32 v21, s16, v21
	v_cmp_gt_i32_e64 s16, 0, v18
	v_ashrrev_i32_e32 v18, 31, v22
	s_delay_alu instid0(VALU_DEP_4) | instskip(NEXT) | instid1(VALU_DEP_4)
	v_not_b32_e32 v22, v19
	v_and_b32_e32 v0, v0, v21
	v_lshlrev_b32_e32 v21, 25, v20
	s_delay_alu instid0(VALU_DEP_4) | instskip(SKIP_2) | instid1(VALU_DEP_4)
	v_xor_b32_e32 v18, s16, v18
	v_cmp_gt_i32_e64 s16, 0, v19
	v_ashrrev_i32_e32 v19, 31, v22
	v_not_b32_e32 v22, v21
	s_delay_alu instid0(VALU_DEP_4) | instskip(SKIP_1) | instid1(VALU_DEP_4)
	v_and_b32_e32 v0, v0, v18
	v_lshlrev_b32_e32 v18, 24, v20
	v_xor_b32_e32 v19, s16, v19
	v_cmp_gt_i32_e64 s16, 0, v21
	v_ashrrev_i32_e32 v20, 31, v22
	s_delay_alu instid0(VALU_DEP_4) | instskip(NEXT) | instid1(VALU_DEP_4)
	v_not_b32_e32 v21, v18
	v_and_b32_e32 v0, v0, v19
	s_delay_alu instid0(VALU_DEP_3) | instskip(SKIP_1) | instid1(VALU_DEP_4)
	v_xor_b32_e32 v19, s16, v20
	v_cmp_gt_i32_e64 s16, 0, v18
	v_ashrrev_i32_e32 v18, 31, v21
	s_delay_alu instid0(VALU_DEP_3) | instskip(NEXT) | instid1(VALU_DEP_2)
	v_and_b32_e32 v0, v0, v19
	v_xor_b32_e32 v18, s16, v18
	s_delay_alu instid0(VALU_DEP_1) | instskip(NEXT) | instid1(VALU_DEP_1)
	v_and_b32_e32 v0, v0, v18
	v_mbcnt_lo_u32_b32 v161, v0, 0
	v_cmp_ne_u32_e64 s17, 0, v0
	s_delay_alu instid0(VALU_DEP_2) | instskip(NEXT) | instid1(VALU_DEP_1)
	v_cmp_eq_u32_e64 s16, 0, v161
	s_and_b32 s17, s17, s16
	s_delay_alu instid0(SALU_CYCLE_1)
	s_and_saveexec_b32 s16, s17
	s_cbranch_execz .LBB814_184
; %bb.183:                              ;   in Loop: Header=BB814_172 Depth=1
	s_waitcnt vmcnt(0) lgkmcnt(0)
	v_bcnt_u32_b32 v0, v0, v160
	flat_store_b32 v[128:129], v0
.LBB814_184:                            ;   in Loop: Header=BB814_172 Depth=1
	s_or_b32 exec_lo, exec_lo, s16
	v_lshrrev_b64 v[18:19], v10, v[84:85]
	; wave barrier
	s_delay_alu instid0(VALU_DEP_1) | instskip(NEXT) | instid1(VALU_DEP_1)
	v_and_b32_e32 v20, v18, v150
	v_lshl_add_u32 v0, v20, 3, v192
	v_lshlrev_b32_e32 v21, 29, v20
	v_lshlrev_b32_e32 v22, 28, v20
	s_delay_alu instid0(VALU_DEP_3) | instskip(SKIP_1) | instid1(VALU_DEP_2)
	v_lshlrev_b64 v[18:19], 2, v[0:1]
	v_and_b32_e32 v0, 1, v20
	v_add_co_u32 v130, s16, v182, v18
	s_delay_alu instid0(VALU_DEP_1) | instskip(NEXT) | instid1(VALU_DEP_3)
	v_add_co_ci_u32_e64 v131, s16, v183, v19, s16
	v_add_co_u32 v0, s16, v0, -1
	s_delay_alu instid0(VALU_DEP_1) | instskip(SKIP_3) | instid1(VALU_DEP_2)
	v_cndmask_b32_e64 v18, 0, 1, s16
	flat_load_b32 v162, v[130:131]
	v_lshlrev_b32_e32 v19, 30, v20
	; wave barrier
	v_cmp_ne_u32_e64 s16, 0, v18
	v_not_b32_e32 v18, v19
	s_delay_alu instid0(VALU_DEP_2) | instskip(SKIP_1) | instid1(VALU_DEP_3)
	v_xor_b32_e32 v0, s16, v0
	v_cmp_gt_i32_e64 s16, 0, v19
	v_ashrrev_i32_e32 v18, 31, v18
	v_not_b32_e32 v19, v21
	s_delay_alu instid0(VALU_DEP_4) | instskip(NEXT) | instid1(VALU_DEP_3)
	v_and_b32_e32 v0, exec_lo, v0
	v_xor_b32_e32 v18, s16, v18
	v_cmp_gt_i32_e64 s16, 0, v21
	s_delay_alu instid0(VALU_DEP_4) | instskip(SKIP_1) | instid1(VALU_DEP_4)
	v_ashrrev_i32_e32 v19, 31, v19
	v_not_b32_e32 v21, v22
	v_and_b32_e32 v0, v0, v18
	v_lshlrev_b32_e32 v18, 27, v20
	s_delay_alu instid0(VALU_DEP_4) | instskip(SKIP_2) | instid1(VALU_DEP_4)
	v_xor_b32_e32 v19, s16, v19
	v_cmp_gt_i32_e64 s16, 0, v22
	v_ashrrev_i32_e32 v21, 31, v21
	v_not_b32_e32 v22, v18
	s_delay_alu instid0(VALU_DEP_4) | instskip(SKIP_1) | instid1(VALU_DEP_4)
	v_and_b32_e32 v0, v0, v19
	v_lshlrev_b32_e32 v19, 26, v20
	v_xor_b32_e32 v21, s16, v21
	v_cmp_gt_i32_e64 s16, 0, v18
	v_ashrrev_i32_e32 v18, 31, v22
	s_delay_alu instid0(VALU_DEP_4) | instskip(NEXT) | instid1(VALU_DEP_4)
	v_not_b32_e32 v22, v19
	v_and_b32_e32 v0, v0, v21
	v_lshlrev_b32_e32 v21, 25, v20
	s_delay_alu instid0(VALU_DEP_4) | instskip(SKIP_2) | instid1(VALU_DEP_4)
	v_xor_b32_e32 v18, s16, v18
	v_cmp_gt_i32_e64 s16, 0, v19
	v_ashrrev_i32_e32 v19, 31, v22
	v_not_b32_e32 v22, v21
	s_delay_alu instid0(VALU_DEP_4) | instskip(SKIP_1) | instid1(VALU_DEP_4)
	v_and_b32_e32 v0, v0, v18
	v_lshlrev_b32_e32 v18, 24, v20
	v_xor_b32_e32 v19, s16, v19
	v_cmp_gt_i32_e64 s16, 0, v21
	v_ashrrev_i32_e32 v20, 31, v22
	s_delay_alu instid0(VALU_DEP_4) | instskip(NEXT) | instid1(VALU_DEP_4)
	v_not_b32_e32 v21, v18
	v_and_b32_e32 v0, v0, v19
	s_delay_alu instid0(VALU_DEP_3) | instskip(SKIP_1) | instid1(VALU_DEP_4)
	v_xor_b32_e32 v19, s16, v20
	v_cmp_gt_i32_e64 s16, 0, v18
	v_ashrrev_i32_e32 v18, 31, v21
	s_delay_alu instid0(VALU_DEP_3) | instskip(NEXT) | instid1(VALU_DEP_2)
	v_and_b32_e32 v0, v0, v19
	v_xor_b32_e32 v18, s16, v18
	s_delay_alu instid0(VALU_DEP_1) | instskip(NEXT) | instid1(VALU_DEP_1)
	v_and_b32_e32 v0, v0, v18
	v_mbcnt_lo_u32_b32 v163, v0, 0
	v_cmp_ne_u32_e64 s17, 0, v0
	s_delay_alu instid0(VALU_DEP_2) | instskip(NEXT) | instid1(VALU_DEP_1)
	v_cmp_eq_u32_e64 s16, 0, v163
	s_and_b32 s17, s17, s16
	s_delay_alu instid0(SALU_CYCLE_1)
	s_and_saveexec_b32 s16, s17
	s_cbranch_execz .LBB814_186
; %bb.185:                              ;   in Loop: Header=BB814_172 Depth=1
	s_waitcnt vmcnt(0) lgkmcnt(0)
	v_bcnt_u32_b32 v0, v0, v162
	flat_store_b32 v[130:131], v0
.LBB814_186:                            ;   in Loop: Header=BB814_172 Depth=1
	s_or_b32 exec_lo, exec_lo, s16
	v_lshrrev_b64 v[18:19], v10, v[100:101]
	; wave barrier
	s_delay_alu instid0(VALU_DEP_1) | instskip(NEXT) | instid1(VALU_DEP_1)
	v_and_b32_e32 v20, v18, v150
	v_lshl_add_u32 v0, v20, 3, v192
	v_lshlrev_b32_e32 v21, 29, v20
	v_lshlrev_b32_e32 v22, 28, v20
	s_delay_alu instid0(VALU_DEP_3) | instskip(SKIP_1) | instid1(VALU_DEP_2)
	v_lshlrev_b64 v[18:19], 2, v[0:1]
	v_and_b32_e32 v0, 1, v20
	v_add_co_u32 v132, s16, v182, v18
	s_delay_alu instid0(VALU_DEP_1) | instskip(NEXT) | instid1(VALU_DEP_3)
	v_add_co_ci_u32_e64 v133, s16, v183, v19, s16
	v_add_co_u32 v0, s16, v0, -1
	s_delay_alu instid0(VALU_DEP_1) | instskip(SKIP_3) | instid1(VALU_DEP_2)
	v_cndmask_b32_e64 v18, 0, 1, s16
	flat_load_b32 v150, v[132:133]
	v_lshlrev_b32_e32 v19, 30, v20
	; wave barrier
	v_cmp_ne_u32_e64 s16, 0, v18
	v_not_b32_e32 v18, v19
	s_delay_alu instid0(VALU_DEP_2) | instskip(SKIP_1) | instid1(VALU_DEP_3)
	v_xor_b32_e32 v0, s16, v0
	v_cmp_gt_i32_e64 s16, 0, v19
	v_ashrrev_i32_e32 v18, 31, v18
	v_not_b32_e32 v19, v21
	s_delay_alu instid0(VALU_DEP_4) | instskip(NEXT) | instid1(VALU_DEP_3)
	v_and_b32_e32 v0, exec_lo, v0
	v_xor_b32_e32 v18, s16, v18
	v_cmp_gt_i32_e64 s16, 0, v21
	s_delay_alu instid0(VALU_DEP_4) | instskip(SKIP_1) | instid1(VALU_DEP_4)
	v_ashrrev_i32_e32 v19, 31, v19
	v_not_b32_e32 v21, v22
	v_and_b32_e32 v0, v0, v18
	v_lshlrev_b32_e32 v18, 27, v20
	s_delay_alu instid0(VALU_DEP_4) | instskip(SKIP_2) | instid1(VALU_DEP_4)
	v_xor_b32_e32 v19, s16, v19
	v_cmp_gt_i32_e64 s16, 0, v22
	v_ashrrev_i32_e32 v21, 31, v21
	v_not_b32_e32 v22, v18
	s_delay_alu instid0(VALU_DEP_4) | instskip(SKIP_1) | instid1(VALU_DEP_4)
	v_and_b32_e32 v0, v0, v19
	v_lshlrev_b32_e32 v19, 26, v20
	v_xor_b32_e32 v21, s16, v21
	v_cmp_gt_i32_e64 s16, 0, v18
	v_ashrrev_i32_e32 v18, 31, v22
	s_delay_alu instid0(VALU_DEP_4) | instskip(NEXT) | instid1(VALU_DEP_4)
	v_not_b32_e32 v22, v19
	v_and_b32_e32 v0, v0, v21
	v_lshlrev_b32_e32 v21, 25, v20
	s_delay_alu instid0(VALU_DEP_4) | instskip(SKIP_2) | instid1(VALU_DEP_4)
	v_xor_b32_e32 v18, s16, v18
	v_cmp_gt_i32_e64 s16, 0, v19
	v_ashrrev_i32_e32 v19, 31, v22
	v_not_b32_e32 v22, v21
	s_delay_alu instid0(VALU_DEP_4) | instskip(SKIP_1) | instid1(VALU_DEP_4)
	v_and_b32_e32 v0, v0, v18
	v_lshlrev_b32_e32 v18, 24, v20
	v_xor_b32_e32 v19, s16, v19
	v_cmp_gt_i32_e64 s16, 0, v21
	v_ashrrev_i32_e32 v20, 31, v22
	s_delay_alu instid0(VALU_DEP_4) | instskip(NEXT) | instid1(VALU_DEP_4)
	v_not_b32_e32 v21, v18
	v_and_b32_e32 v0, v0, v19
	s_delay_alu instid0(VALU_DEP_3) | instskip(SKIP_1) | instid1(VALU_DEP_4)
	v_xor_b32_e32 v19, s16, v20
	v_cmp_gt_i32_e64 s16, 0, v18
	v_ashrrev_i32_e32 v18, 31, v21
	s_delay_alu instid0(VALU_DEP_3) | instskip(NEXT) | instid1(VALU_DEP_2)
	v_and_b32_e32 v0, v0, v19
	v_xor_b32_e32 v18, s16, v18
	s_delay_alu instid0(VALU_DEP_1) | instskip(NEXT) | instid1(VALU_DEP_1)
	v_and_b32_e32 v0, v0, v18
	v_mbcnt_lo_u32_b32 v164, v0, 0
	v_cmp_ne_u32_e64 s17, 0, v0
	s_delay_alu instid0(VALU_DEP_2) | instskip(NEXT) | instid1(VALU_DEP_1)
	v_cmp_eq_u32_e64 s16, 0, v164
	s_and_b32 s17, s17, s16
	s_delay_alu instid0(SALU_CYCLE_1)
	s_and_saveexec_b32 s16, s17
	s_cbranch_execz .LBB814_188
; %bb.187:                              ;   in Loop: Header=BB814_172 Depth=1
	s_waitcnt vmcnt(0) lgkmcnt(0)
	v_bcnt_u32_b32 v0, v0, v150
	flat_store_b32 v[132:133], v0
.LBB814_188:                            ;   in Loop: Header=BB814_172 Depth=1
	s_or_b32 exec_lo, exec_lo, s16
	; wave barrier
	s_waitcnt vmcnt(0) lgkmcnt(0)
	s_waitcnt_vscnt null, 0x0
	s_barrier
	buffer_gl0_inv
	s_clause 0x1
	flat_load_b128 v[22:25], v[4:5] offset:32
	flat_load_b128 v[18:21], v[8:9] offset:16
	s_waitcnt vmcnt(1) lgkmcnt(1)
	v_add_nc_u32_e32 v0, v23, v22
	s_delay_alu instid0(VALU_DEP_1) | instskip(SKIP_1) | instid1(VALU_DEP_1)
	v_add3_u32 v0, v0, v24, v25
	s_waitcnt vmcnt(0) lgkmcnt(0)
	v_add3_u32 v0, v0, v18, v19
	s_delay_alu instid0(VALU_DEP_1) | instskip(NEXT) | instid1(VALU_DEP_1)
	v_add3_u32 v0, v0, v20, v21
	v_mov_b32_dpp v21, v0 row_shr:1 row_mask:0xf bank_mask:0xf
	s_delay_alu instid0(VALU_DEP_1) | instskip(NEXT) | instid1(VALU_DEP_1)
	v_cndmask_b32_e64 v21, v21, 0, vcc_lo
	v_add_nc_u32_e32 v0, v21, v0
	s_delay_alu instid0(VALU_DEP_1) | instskip(NEXT) | instid1(VALU_DEP_1)
	v_mov_b32_dpp v21, v0 row_shr:2 row_mask:0xf bank_mask:0xf
	v_cndmask_b32_e64 v21, 0, v21, s0
	s_delay_alu instid0(VALU_DEP_1) | instskip(NEXT) | instid1(VALU_DEP_1)
	v_add_nc_u32_e32 v0, v0, v21
	v_mov_b32_dpp v21, v0 row_shr:4 row_mask:0xf bank_mask:0xf
	s_delay_alu instid0(VALU_DEP_1) | instskip(NEXT) | instid1(VALU_DEP_1)
	v_cndmask_b32_e64 v21, 0, v21, s1
	v_add_nc_u32_e32 v0, v0, v21
	s_delay_alu instid0(VALU_DEP_1) | instskip(NEXT) | instid1(VALU_DEP_1)
	v_mov_b32_dpp v21, v0 row_shr:8 row_mask:0xf bank_mask:0xf
	v_cndmask_b32_e64 v21, 0, v21, s2
	s_delay_alu instid0(VALU_DEP_1) | instskip(SKIP_3) | instid1(VALU_DEP_1)
	v_add_nc_u32_e32 v0, v0, v21
	ds_swizzle_b32 v21, v0 offset:swizzle(BROADCAST,32,15)
	s_waitcnt lgkmcnt(0)
	v_cndmask_b32_e64 v21, v21, 0, s3
	v_add_nc_u32_e32 v0, v0, v21
	s_and_saveexec_b32 s16, s4
	s_cbranch_execz .LBB814_190
; %bb.189:                              ;   in Loop: Header=BB814_172 Depth=1
	flat_store_b32 v[30:31], v0
.LBB814_190:                            ;   in Loop: Header=BB814_172 Depth=1
	s_or_b32 exec_lo, exec_lo, s16
	s_waitcnt lgkmcnt(0)
	s_waitcnt_vscnt null, 0x0
	s_barrier
	buffer_gl0_inv
	s_and_saveexec_b32 s16, s5
	s_cbranch_execz .LBB814_192
; %bb.191:                              ;   in Loop: Header=BB814_172 Depth=1
	flat_load_b32 v21, v[32:33]
	s_waitcnt vmcnt(0) lgkmcnt(0)
	v_mov_b32_dpp v165, v21 row_shr:1 row_mask:0xf bank_mask:0xf
	s_delay_alu instid0(VALU_DEP_1) | instskip(NEXT) | instid1(VALU_DEP_1)
	v_cndmask_b32_e64 v165, v165, 0, s11
	v_add_nc_u32_e32 v21, v165, v21
	s_delay_alu instid0(VALU_DEP_1) | instskip(NEXT) | instid1(VALU_DEP_1)
	v_mov_b32_dpp v165, v21 row_shr:2 row_mask:0xf bank_mask:0xf
	v_cndmask_b32_e64 v165, 0, v165, s14
	s_delay_alu instid0(VALU_DEP_1) | instskip(NEXT) | instid1(VALU_DEP_1)
	v_add_nc_u32_e32 v21, v21, v165
	v_mov_b32_dpp v165, v21 row_shr:4 row_mask:0xf bank_mask:0xf
	s_delay_alu instid0(VALU_DEP_1) | instskip(NEXT) | instid1(VALU_DEP_1)
	v_cndmask_b32_e64 v165, 0, v165, s15
	v_add_nc_u32_e32 v21, v21, v165
	flat_store_b32 v[32:33], v21
.LBB814_192:                            ;   in Loop: Header=BB814_172 Depth=1
	s_or_b32 exec_lo, exec_lo, s16
	v_mov_b32_e32 v21, 0
	s_waitcnt lgkmcnt(0)
	s_waitcnt_vscnt null, 0x0
	s_barrier
	buffer_gl0_inv
	s_and_saveexec_b32 s16, s6
	s_cbranch_execz .LBB814_194
; %bb.193:                              ;   in Loop: Header=BB814_172 Depth=1
	flat_load_b32 v21, v[34:35]
.LBB814_194:                            ;   in Loop: Header=BB814_172 Depth=1
	s_or_b32 exec_lo, exec_lo, s16
	s_waitcnt vmcnt(0) lgkmcnt(0)
	v_add_nc_u32_e32 v0, v21, v0
	v_add_nc_u32_e32 v10, 8, v10
	s_mov_b32 s18, -1
	ds_bpermute_b32 v0, v193, v0
	s_waitcnt lgkmcnt(0)
	v_cndmask_b32_e64 v0, v0, v21, s7
	s_delay_alu instid0(VALU_DEP_1) | instskip(NEXT) | instid1(VALU_DEP_1)
	v_cndmask_b32_e64 v21, v0, 0, s10
	v_add_nc_u32_e32 v22, v21, v22
	s_delay_alu instid0(VALU_DEP_1) | instskip(NEXT) | instid1(VALU_DEP_1)
	v_add_nc_u32_e32 v23, v22, v23
	v_add_nc_u32_e32 v24, v23, v24
	s_delay_alu instid0(VALU_DEP_1) | instskip(NEXT) | instid1(VALU_DEP_1)
	v_add_nc_u32_e32 v176, v24, v25
	v_add_nc_u32_e32 v177, v176, v18
	s_delay_alu instid0(VALU_DEP_1) | instskip(SKIP_1) | instid1(VALU_DEP_2)
	v_add_nc_u32_e32 v178, v177, v19
	v_mov_b32_e32 v19, v1
	v_add_nc_u32_e32 v179, v178, v20
	s_clause 0x1
	flat_store_b128 v[4:5], v[21:24] offset:32
	flat_store_b128 v[8:9], v[176:179] offset:16
	v_mov_b32_e32 v21, v1
	s_waitcnt lgkmcnt(0)
	s_waitcnt_vscnt null, 0x0
	s_barrier
	buffer_gl0_inv
	s_clause 0x7
	flat_load_b32 v0, v[102:103]
	flat_load_b32 v18, v[112:113]
	;; [unrolled: 1-line block ×8, first 2 shown]
	v_mov_b32_e32 v25, v1
	v_mov_b32_e32 v23, v1
	;; [unrolled: 1-line block ×5, first 2 shown]
	v_cmp_lt_u32_e64 s16, v10, v11
	s_waitcnt vmcnt(0) lgkmcnt(0)
	s_waitcnt_vscnt null, 0x0
                                        ; implicit-def: $vgpr130_vgpr131
                                        ; implicit-def: $vgpr132_vgpr133
                                        ; implicit-def: $vgpr118_vgpr119
                                        ; implicit-def: $vgpr128_vgpr129
	s_waitcnt vmcnt(7) lgkmcnt(7)
	v_add_nc_u32_e32 v0, v0, v134
	s_waitcnt vmcnt(6) lgkmcnt(6)
	v_add3_u32 v18, v144, v135, v18
	s_waitcnt vmcnt(5) lgkmcnt(5)
	v_add3_u32 v20, v146, v145, v20
	;; [unrolled: 2-line block ×4, first 2 shown]
	v_lshlrev_b64 v[116:117], 3, v[0:1]
	v_lshlrev_b64 v[18:19], 3, v[18:19]
	s_waitcnt vmcnt(0) lgkmcnt(0)
	v_add3_u32 v114, v164, v150, v114
	v_lshlrev_b64 v[20:21], 3, v[20:21]
	v_add3_u32 v102, v161, v160, v102
	v_lshlrev_b64 v[22:23], 3, v[22:23]
	v_add_co_u32 v150, s17, v12, v116
	s_delay_alu instid0(VALU_DEP_1) | instskip(SKIP_1) | instid1(VALU_DEP_1)
	v_add_co_ci_u32_e64 v151, s17, v13, v117, s17
	v_add_co_u32 v160, s17, v12, v18
	v_add_co_ci_u32_e64 v161, s17, v13, v19, s17
	v_add3_u32 v112, v163, v162, v112
	v_lshlrev_b64 v[24:25], 3, v[24:25]
	v_add_co_u32 v162, s17, v12, v20
	s_delay_alu instid0(VALU_DEP_1) | instskip(SKIP_2) | instid1(VALU_DEP_1)
	v_add_co_ci_u32_e64 v163, s17, v13, v21, s17
	v_lshlrev_b64 v[102:103], 3, v[102:103]
	v_add_co_u32 v164, s17, v12, v22
	v_add_co_ci_u32_e64 v165, s17, v13, v23, s17
	v_lshlrev_b64 v[112:113], 3, v[112:113]
	v_add_co_u32 v166, s17, v12, v24
	s_delay_alu instid0(VALU_DEP_1) | instskip(SKIP_2) | instid1(VALU_DEP_1)
	v_add_co_ci_u32_e64 v167, s17, v13, v25, s17
	v_lshlrev_b64 v[114:115], 3, v[114:115]
	v_add_co_u32 v176, s17, v12, v102
	v_add_co_ci_u32_e64 v177, s17, v13, v103, s17
	v_add_co_u32 v178, s17, v12, v112
	s_delay_alu instid0(VALU_DEP_1) | instskip(SKIP_1) | instid1(VALU_DEP_1)
	v_add_co_ci_u32_e64 v179, s17, v13, v113, s17
	v_add_co_u32 v180, s17, v12, v114
	v_add_co_ci_u32_e64 v181, s17, v13, v115, s17
                                        ; implicit-def: $vgpr134_vgpr135
                                        ; implicit-def: $vgpr144_vgpr145
                                        ; implicit-def: $vgpr146_vgpr147
                                        ; implicit-def: $vgpr148_vgpr149
                                        ; implicit-def: $vgpr112_vgpr113
                                        ; implicit-def: $vgpr18_vgpr19
                                        ; implicit-def: $vgpr20_vgpr21
                                        ; implicit-def: $vgpr22_vgpr23
                                        ; implicit-def: $vgpr24_vgpr25
                                        ; implicit-def: $vgpr102_vgpr103
                                        ; implicit-def: $vgpr114_vgpr115
                                        ; implicit-def: $vgpr116_vgpr117
	s_and_saveexec_b32 s17, s16
	s_cbranch_execz .LBB814_171
; %bb.195:                              ;   in Loop: Header=BB814_172 Depth=1
	s_barrier
	buffer_gl0_inv
	s_clause 0x7
	flat_store_b64 v[150:151], v[66:67]
	flat_store_b64 v[160:161], v[82:83]
	flat_store_b64 v[162:163], v[80:81]
	flat_store_b64 v[164:165], v[98:99]
	flat_store_b64 v[166:167], v[96:97]
	flat_store_b64 v[176:177], v[86:87]
	flat_store_b64 v[178:179], v[84:85]
	flat_store_b64 v[180:181], v[100:101]
	s_waitcnt lgkmcnt(0)
	s_waitcnt_vscnt null, 0x0
	s_barrier
	buffer_gl0_inv
	s_clause 0x7
	flat_load_b64 v[112:113], v[36:37]
	flat_load_b64 v[18:19], v[36:37] offset:256
	flat_load_b64 v[20:21], v[36:37] offset:512
	;; [unrolled: 1-line block ×7, first 2 shown]
	s_waitcnt vmcnt(0) lgkmcnt(0)
	s_barrier
	buffer_gl0_inv
	s_clause 0x7
	flat_store_b64 v[150:151], v[48:49]
	flat_store_b64 v[160:161], v[38:39]
	;; [unrolled: 1-line block ×8, first 2 shown]
	s_waitcnt lgkmcnt(0)
	s_waitcnt_vscnt null, 0x0
	s_barrier
	buffer_gl0_inv
	s_clause 0x7
	flat_load_b64 v[130:131], v[36:37]
	flat_load_b64 v[132:133], v[36:37] offset:256
	flat_load_b64 v[134:135], v[36:37] offset:512
	;; [unrolled: 1-line block ×7, first 2 shown]
	v_add_nc_u32_e32 v194, -8, v194
	s_xor_b32 s18, exec_lo, -1
	s_waitcnt vmcnt(0) lgkmcnt(0)
	s_barrier
	buffer_gl0_inv
	s_branch .LBB814_171
.LBB814_196:
	flat_load_b64 v[212:213], v[0:1]
	s_or_b32 exec_lo, exec_lo, s19
                                        ; implicit-def: $vgpr214_vgpr215
	s_and_saveexec_b32 s19, s0
	s_cbranch_execz .LBB814_36
.LBB814_197:
	flat_load_b64 v[214:215], v[0:1] offset:256
	s_or_b32 exec_lo, exec_lo, s19
                                        ; implicit-def: $vgpr224_vgpr225
	s_and_saveexec_b32 s0, s1
	s_cbranch_execz .LBB814_37
.LBB814_198:
	flat_load_b64 v[224:225], v[0:1] offset:512
	s_or_b32 exec_lo, exec_lo, s0
                                        ; implicit-def: $vgpr226_vgpr227
	s_and_saveexec_b32 s0, s2
	s_cbranch_execz .LBB814_38
.LBB814_199:
	flat_load_b64 v[226:227], v[0:1] offset:768
	s_or_b32 exec_lo, exec_lo, s0
                                        ; implicit-def: $vgpr228_vgpr229
	s_and_saveexec_b32 s0, s3
	s_cbranch_execz .LBB814_39
.LBB814_200:
	flat_load_b64 v[228:229], v[0:1] offset:1024
	s_or_b32 exec_lo, exec_lo, s0
                                        ; implicit-def: $vgpr230_vgpr231
	s_and_saveexec_b32 s0, s4
	s_cbranch_execz .LBB814_40
.LBB814_201:
	flat_load_b64 v[230:231], v[0:1] offset:1280
	s_or_b32 exec_lo, exec_lo, s0
                                        ; implicit-def: $vgpr240_vgpr241
	s_and_saveexec_b32 s0, s5
	s_cbranch_execz .LBB814_41
.LBB814_202:
	flat_load_b64 v[240:241], v[0:1] offset:1536
	s_or_b32 exec_lo, exec_lo, s0
                                        ; implicit-def: $vgpr242_vgpr243
	s_and_saveexec_b32 s0, s6
	s_cbranch_execz .LBB814_42
.LBB814_203:
	flat_load_b64 v[242:243], v[0:1] offset:1792
	s_or_b32 exec_lo, exec_lo, s0
                                        ; implicit-def: $vgpr244_vgpr245
	s_and_saveexec_b32 s0, s7
	s_cbranch_execz .LBB814_43
.LBB814_204:
	flat_load_b64 v[244:245], v[0:1] offset:2048
	s_or_b32 exec_lo, exec_lo, s0
                                        ; implicit-def: $vgpr246_vgpr247
	s_and_saveexec_b32 s0, s10
	s_cbranch_execz .LBB814_44
.LBB814_205:
	flat_load_b64 v[246:247], v[0:1] offset:2304
	s_or_b32 exec_lo, exec_lo, s0
                                        ; implicit-def: $vgpr39_vgpr40
	s_and_saveexec_b32 s0, s11
	s_cbranch_execz .LBB814_45
.LBB814_206:
	flat_load_b64 v[39:40], v[0:1] offset:2560
	s_or_b32 exec_lo, exec_lo, s0
                                        ; implicit-def: $vgpr41_vgpr42
	s_and_saveexec_b32 s0, s14
	s_cbranch_execz .LBB814_46
.LBB814_207:
	flat_load_b64 v[41:42], v[0:1] offset:2816
	s_or_b32 exec_lo, exec_lo, s0
                                        ; implicit-def: $vgpr43_vgpr44
	s_and_saveexec_b32 s0, s15
	s_cbranch_execz .LBB814_47
.LBB814_208:
	flat_load_b64 v[43:44], v[0:1] offset:3072
	s_or_b32 exec_lo, exec_lo, s0
                                        ; implicit-def: $vgpr45_vgpr46
	s_and_saveexec_b32 s0, s16
	s_cbranch_execz .LBB814_48
.LBB814_209:
	flat_load_b64 v[45:46], v[0:1] offset:3328
	s_or_b32 exec_lo, exec_lo, s0
                                        ; implicit-def: $vgpr56_vgpr57
	s_and_saveexec_b32 s0, s17
	s_cbranch_execz .LBB814_49
.LBB814_210:
	flat_load_b64 v[56:57], v[0:1] offset:3584
	s_or_b32 exec_lo, exec_lo, s0
                                        ; implicit-def: $vgpr58_vgpr59
	s_and_saveexec_b32 s0, s18
	s_cbranch_execnz .LBB814_50
	s_branch .LBB814_51
.LBB814_211:
	flat_store_b64 v[2:3], v[38:39]
	s_or_b32 exec_lo, exec_lo, s19
	s_and_saveexec_b32 s19, s0
	s_cbranch_execz .LBB814_127
.LBB814_212:
	flat_store_b64 v[2:3], v[36:37] offset:2048
	s_or_b32 exec_lo, exec_lo, s19
	s_and_saveexec_b32 s0, s1
	s_cbranch_execz .LBB814_128
.LBB814_213:
	v_add_co_u32 v6, vcc_lo, 0x1000, v2
	v_add_co_ci_u32_e32 v7, vcc_lo, 0, v3, vcc_lo
	flat_store_b64 v[6:7], v[34:35]
	s_or_b32 exec_lo, exec_lo, s0
	s_and_saveexec_b32 s0, s2
	s_cbranch_execz .LBB814_129
.LBB814_214:
	v_add_co_u32 v6, vcc_lo, 0x1000, v2
	v_add_co_ci_u32_e32 v7, vcc_lo, 0, v3, vcc_lo
	flat_store_b64 v[6:7], v[32:33] offset:2048
	s_or_b32 exec_lo, exec_lo, s0
	s_and_saveexec_b32 s0, s3
	s_cbranch_execz .LBB814_130
.LBB814_215:
	v_add_co_u32 v6, vcc_lo, 0x2000, v2
	v_add_co_ci_u32_e32 v7, vcc_lo, 0, v3, vcc_lo
	flat_store_b64 v[6:7], v[30:31]
	s_or_b32 exec_lo, exec_lo, s0
	s_and_saveexec_b32 s0, s4
	s_cbranch_execz .LBB814_131
.LBB814_216:
	v_add_co_u32 v6, vcc_lo, 0x2000, v2
	v_add_co_ci_u32_e32 v7, vcc_lo, 0, v3, vcc_lo
	flat_store_b64 v[6:7], v[28:29] offset:2048
	s_or_b32 exec_lo, exec_lo, s0
	s_and_saveexec_b32 s0, s5
	s_cbranch_execz .LBB814_132
.LBB814_217:
	v_add_co_u32 v6, vcc_lo, 0x3000, v2
	v_add_co_ci_u32_e32 v7, vcc_lo, 0, v3, vcc_lo
	flat_store_b64 v[6:7], v[26:27]
	s_or_b32 exec_lo, exec_lo, s0
	s_and_saveexec_b32 s0, s6
	s_cbranch_execz .LBB814_133
.LBB814_218:
	v_add_co_u32 v6, vcc_lo, 0x3000, v2
	v_add_co_ci_u32_e32 v7, vcc_lo, 0, v3, vcc_lo
	flat_store_b64 v[6:7], v[20:21] offset:2048
	s_or_b32 exec_lo, exec_lo, s0
	s_and_saveexec_b32 s0, s7
	s_cbranch_execz .LBB814_134
.LBB814_219:
	v_add_co_u32 v6, vcc_lo, 0x4000, v2
	v_add_co_ci_u32_e32 v7, vcc_lo, 0, v3, vcc_lo
	flat_store_b64 v[6:7], v[18:19]
	s_or_b32 exec_lo, exec_lo, s0
	s_and_saveexec_b32 s0, s10
	s_cbranch_execz .LBB814_135
.LBB814_220:
	v_add_co_u32 v6, vcc_lo, 0x4000, v2
	v_add_co_ci_u32_e32 v7, vcc_lo, 0, v3, vcc_lo
	flat_store_b64 v[6:7], v[16:17] offset:2048
	s_or_b32 exec_lo, exec_lo, s0
	s_and_saveexec_b32 s0, s11
	s_cbranch_execz .LBB814_136
.LBB814_221:
	v_add_co_u32 v6, vcc_lo, 0x5000, v2
	v_add_co_ci_u32_e32 v7, vcc_lo, 0, v3, vcc_lo
	flat_store_b64 v[6:7], v[14:15]
	s_or_b32 exec_lo, exec_lo, s0
	s_and_saveexec_b32 s0, s14
	s_cbranch_execz .LBB814_137
.LBB814_222:
	v_add_co_u32 v6, vcc_lo, 0x5000, v2
	v_add_co_ci_u32_e32 v7, vcc_lo, 0, v3, vcc_lo
	flat_store_b64 v[6:7], v[12:13] offset:2048
	s_or_b32 exec_lo, exec_lo, s0
	s_and_saveexec_b32 s0, s15
	s_cbranch_execz .LBB814_138
.LBB814_223:
	v_add_co_u32 v6, vcc_lo, 0x6000, v2
	v_add_co_ci_u32_e32 v7, vcc_lo, 0, v3, vcc_lo
	flat_store_b64 v[6:7], v[10:11]
	s_or_b32 exec_lo, exec_lo, s0
	s_and_saveexec_b32 s0, s16
	s_cbranch_execz .LBB814_139
.LBB814_224:
	v_add_co_u32 v6, vcc_lo, 0x6000, v2
	v_add_co_ci_u32_e32 v7, vcc_lo, 0, v3, vcc_lo
	flat_store_b64 v[6:7], v[8:9] offset:2048
	s_or_b32 exec_lo, exec_lo, s0
	s_and_saveexec_b32 s0, s17
	s_cbranch_execz .LBB814_140
.LBB814_225:
	v_add_co_u32 v6, vcc_lo, 0x7000, v2
	v_add_co_ci_u32_e32 v7, vcc_lo, 0, v3, vcc_lo
	flat_store_b64 v[6:7], v[4:5]
	s_or_b32 exec_lo, exec_lo, s0
	s_and_saveexec_b32 s0, s18
	s_cbranch_execnz .LBB814_141
	s_branch .LBB814_142
.LBB814_226:
	s_or_b32 exec_lo, exec_lo, s20
	v_lshlrev_b32_e32 v0, 3, v26
	v_lshl_or_b32 v8, v26, 3, 0x2000
	s_barrier
	buffer_gl0_inv
	s_clause 0x7
	flat_store_b64 v[150:151], v[66:67]
	flat_store_b64 v[160:161], v[82:83]
	;; [unrolled: 1-line block ×8, first 2 shown]
	v_add_co_u32 v0, vcc_lo, v12, v0
	v_add_co_ci_u32_e32 v1, vcc_lo, 0, v13, vcc_lo
	s_waitcnt lgkmcnt(0)
	s_waitcnt_vscnt null, 0x0
	s_delay_alu instid0(VALU_DEP_2) | instskip(NEXT) | instid1(VALU_DEP_2)
	v_add_co_u32 v4, vcc_lo, 0x1000, v0
	v_add_co_ci_u32_e32 v5, vcc_lo, 0, v1, vcc_lo
	v_add_co_u32 v8, vcc_lo, v12, v8
	v_add_co_ci_u32_e32 v9, vcc_lo, 0, v13, vcc_lo
	;; [unrolled: 2-line block ×3, first 2 shown]
	v_add_co_u32 v84, vcc_lo, 0x3000, v0
	s_barrier
	buffer_gl0_inv
	v_add_co_ci_u32_e32 v85, vcc_lo, 0, v1, vcc_lo
	s_clause 0x7
	flat_load_b64 v[82:83], v[0:1]
	flat_load_b64 v[80:81], v[0:1] offset:2048
	flat_load_b64 v[66:67], v[4:5]
	flat_load_b64 v[35:36], v[4:5] offset:2048
	;; [unrolled: 2-line block ×4, first 2 shown]
	s_waitcnt vmcnt(0) lgkmcnt(0)
	s_barrier
	buffer_gl0_inv
	s_clause 0x7
	flat_store_b64 v[150:151], v[48:49]
	flat_store_b64 v[160:161], v[38:39]
	;; [unrolled: 1-line block ×8, first 2 shown]
	s_waitcnt lgkmcnt(0)
	s_waitcnt_vscnt null, 0x0
	s_barrier
	buffer_gl0_inv
	s_clause 0x7
	flat_load_b64 v[18:19], v[0:1]
	flat_load_b64 v[16:17], v[0:1] offset:2048
	flat_load_b64 v[14:15], v[4:5]
	flat_load_b64 v[12:13], v[4:5] offset:2048
	;; [unrolled: 2-line block ×4, first 2 shown]
	v_mov_b32_e32 v30, 0
	v_add_co_u32 v2, vcc_lo, v2, v27
	v_add_co_ci_u32_e32 v3, vcc_lo, v3, v28, vcc_lo
	s_delay_alu instid0(VALU_DEP_3)
	v_lshlrev_b64 v[24:25], 3, v[29:30]
	s_waitcnt vmcnt(0) lgkmcnt(0)
	s_barrier
	buffer_gl0_inv
	v_add_co_u32 v2, vcc_lo, v2, v24
	v_add_co_ci_u32_e32 v3, vcc_lo, v3, v25, vcc_lo
	v_cmp_lt_u32_e32 vcc_lo, v29, v47
	s_and_saveexec_b32 s0, vcc_lo
	s_cbranch_execz .LBB814_228
; %bb.227:
	v_xor_b32_e32 v83, 0x80000000, v83
	flat_store_b64 v[2:3], v[82:83]
.LBB814_228:
	s_or_b32 exec_lo, exec_lo, s0
	v_add_nc_u32_e32 v26, 0x100, v29
	s_delay_alu instid0(VALU_DEP_1) | instskip(NEXT) | instid1(VALU_DEP_1)
	v_cmp_lt_u32_e64 s0, v26, v47
	s_and_saveexec_b32 s1, s0
	s_cbranch_execz .LBB814_230
; %bb.229:
	v_xor_b32_e32 v81, 0x80000000, v81
	flat_store_b64 v[2:3], v[80:81] offset:2048
.LBB814_230:
	s_or_b32 exec_lo, exec_lo, s1
	v_add_nc_u32_e32 v26, 0x200, v29
	s_delay_alu instid0(VALU_DEP_1) | instskip(NEXT) | instid1(VALU_DEP_1)
	v_cmp_lt_u32_e64 s1, v26, v47
	s_and_saveexec_b32 s3, s1
	s_cbranch_execz .LBB814_232
; %bb.231:
	v_add_co_u32 v37, s2, 0x1000, v2
	v_xor_b32_e32 v67, 0x80000000, v67
	v_add_co_ci_u32_e64 v38, s2, 0, v3, s2
	flat_store_b64 v[37:38], v[66:67]
.LBB814_232:
	s_or_b32 exec_lo, exec_lo, s3
	v_add_nc_u32_e32 v26, 0x300, v29
	s_delay_alu instid0(VALU_DEP_1) | instskip(NEXT) | instid1(VALU_DEP_1)
	v_cmp_lt_u32_e64 s2, v26, v47
	s_and_saveexec_b32 s4, s2
	s_cbranch_execz .LBB814_234
; %bb.233:
	v_add_co_u32 v37, s3, 0x1000, v2
	v_xor_b32_e32 v36, 0x80000000, v36
	v_add_co_ci_u32_e64 v38, s3, 0, v3, s3
	flat_store_b64 v[37:38], v[35:36] offset:2048
.LBB814_234:
	s_or_b32 exec_lo, exec_lo, s4
	v_add_nc_u32_e32 v26, 0x400, v29
	s_delay_alu instid0(VALU_DEP_1) | instskip(NEXT) | instid1(VALU_DEP_1)
	v_cmp_lt_u32_e64 s3, v26, v47
	s_and_saveexec_b32 s5, s3
	s_cbranch_execz .LBB814_236
; %bb.235:
	v_add_co_u32 v35, s4, 0x2000, v2
	v_xor_b32_e32 v34, 0x80000000, v34
	v_add_co_ci_u32_e64 v36, s4, 0, v3, s4
	flat_store_b64 v[35:36], v[33:34]
.LBB814_236:
	s_or_b32 exec_lo, exec_lo, s5
	v_add_nc_u32_e32 v26, 0x500, v29
	s_delay_alu instid0(VALU_DEP_1) | instskip(NEXT) | instid1(VALU_DEP_1)
	v_cmp_lt_u32_e64 s4, v26, v47
	s_and_saveexec_b32 s6, s4
	s_cbranch_execz .LBB814_238
; %bb.237:
	v_add_co_u32 v33, s5, 0x2000, v2
	v_xor_b32_e32 v32, 0x80000000, v32
	v_add_co_ci_u32_e64 v34, s5, 0, v3, s5
	flat_store_b64 v[33:34], v[31:32] offset:2048
.LBB814_238:
	;; [unrolled: 24-line block ×3, first 2 shown]
	s_or_b32 exec_lo, exec_lo, s10
	v_add_co_u32 v2, s7, v6, v27
	s_delay_alu instid0(VALU_DEP_1) | instskip(NEXT) | instid1(VALU_DEP_2)
	v_add_co_ci_u32_e64 v3, s7, v7, v28, s7
	v_add_co_u32 v2, s7, v2, v24
	s_delay_alu instid0(VALU_DEP_1)
	v_add_co_ci_u32_e64 v3, s7, v3, v25, s7
	s_and_saveexec_b32 s7, vcc_lo
	s_cbranch_execnz .LBB814_292
; %bb.243:
	s_or_b32 exec_lo, exec_lo, s7
	s_and_saveexec_b32 s7, s0
	s_cbranch_execnz .LBB814_293
.LBB814_244:
	s_or_b32 exec_lo, exec_lo, s7
	s_and_saveexec_b32 s0, s1
	s_cbranch_execnz .LBB814_294
.LBB814_245:
	s_or_b32 exec_lo, exec_lo, s0
	s_and_saveexec_b32 s0, s2
	s_cbranch_execnz .LBB814_295
.LBB814_246:
	s_or_b32 exec_lo, exec_lo, s0
	s_and_saveexec_b32 s0, s3
	s_cbranch_execnz .LBB814_296
.LBB814_247:
	s_or_b32 exec_lo, exec_lo, s0
	s_and_saveexec_b32 s0, s4
	s_cbranch_execnz .LBB814_297
.LBB814_248:
	s_or_b32 exec_lo, exec_lo, s0
	s_and_saveexec_b32 s0, s5
	s_cbranch_execnz .LBB814_298
.LBB814_249:
	s_or_b32 exec_lo, exec_lo, s0
	s_and_saveexec_b32 s0, s6
	s_cbranch_execz .LBB814_251
.LBB814_250:
	v_add_co_u32 v2, vcc_lo, 0x3000, v2
	v_add_co_ci_u32_e32 v3, vcc_lo, 0, v3, vcc_lo
	flat_store_b64 v[2:3], v[0:1] offset:2048
.LBB814_251:
	s_or_b32 exec_lo, exec_lo, s0
                                        ; implicit-def: $vgpr47
                                        ; implicit-def: $vgpr0
                                        ; implicit-def: $vgpr1
                                        ; implicit-def: $vgpr2
                                        ; implicit-def: $vgpr3
                                        ; implicit-def: $vgpr4
                                        ; implicit-def: $vgpr5
                                        ; implicit-def: $vgpr6
                                        ; implicit-def: $vgpr7
                                        ; implicit-def: $vgpr8
                                        ; implicit-def: $vgpr10
                                        ; implicit-def: $vgpr11
                                        ; implicit-def: $vgpr12
                                        ; implicit-def: $vgpr13
                                        ; implicit-def: $vgpr14
                                        ; implicit-def: $vgpr15
                                        ; implicit-def: $vgpr26
                                        ; implicit-def: $vgpr35
.LBB814_252:
	s_and_not1_saveexec_b32 s0, s19
	s_cbranch_execz .LBB814_372
; %bb.253:
	s_mov_b32 s0, exec_lo
	v_cmpx_lt_u32_e32 0x200, v47
	s_xor_b32 s19, exec_lo, s0
	s_cbranch_execz .LBB814_313
; %bb.254:
	s_load_b64 s[0:1], s[8:9], 0x0
	v_dual_mov_b32 v9, 0 :: v_dual_lshlrev_b32 v22, 3, v35
	s_mov_b32 s36, -1
	s_brev_b32 s37, -2
	s_mov_b32 s38, s36
	s_mov_b32 s39, s37
	;; [unrolled: 1-line block ×3, first 2 shown]
	v_lshlrev_b64 v[29:30], 3, v[8:9]
	s_mov_b32 s41, s37
	s_mov_b32 s42, s36
	;; [unrolled: 1-line block ×3, first 2 shown]
	s_waitcnt lgkmcnt(0)
	s_cmp_lt_u32 s13, s1
	s_cselect_b32 s1, 14, 20
	s_delay_alu instid0(SALU_CYCLE_1) | instskip(SKIP_4) | instid1(SALU_CYCLE_1)
	s_add_u32 s2, s8, s1
	s_addc_u32 s3, s9, 0
	s_cmp_lt_u32 s12, s0
	global_load_u16 v16, v9, s[2:3]
	s_cselect_b32 s0, 12, 18
	s_add_u32 s0, s8, s0
	s_addc_u32 s1, s9, 0
	global_load_u16 v17, v9, s[0:1]
	s_waitcnt vmcnt(1)
	v_mad_u32_u24 v14, v15, v16, v14
	s_waitcnt vmcnt(0)
	s_delay_alu instid0(VALU_DEP_1) | instskip(NEXT) | instid1(VALU_DEP_1)
	v_mad_u64_u32 v[27:28], null, v14, v17, v[26:27]
	v_lshlrev_b32_e32 v14, 2, v27
	s_delay_alu instid0(VALU_DEP_1) | instskip(SKIP_2) | instid1(VALU_DEP_3)
	v_and_b32_e32 v8, 0xffffff80, v14
	v_add_co_u32 v14, vcc_lo, v0, v29
	v_add_co_ci_u32_e32 v15, vcc_lo, v1, v30, vcc_lo
	v_lshlrev_b64 v[0:1], 3, v[8:9]
	v_or_b32_e32 v23, v8, v35
	s_delay_alu instid0(VALU_DEP_4) | instskip(NEXT) | instid1(VALU_DEP_4)
	v_add_co_u32 v8, vcc_lo, v14, v22
	v_add_co_ci_u32_e32 v9, vcc_lo, 0, v15, vcc_lo
	v_dual_mov_b32 v14, s36 :: v_dual_mov_b32 v19, s41
	s_delay_alu instid0(VALU_DEP_3) | instskip(SKIP_1) | instid1(VALU_DEP_4)
	v_add_co_u32 v8, s0, v8, v0
	v_cmp_lt_u32_e32 vcc_lo, v23, v47
	v_add_co_ci_u32_e64 v9, s0, v9, v1, s0
	v_dual_mov_b32 v15, s37 :: v_dual_mov_b32 v16, s38
	v_mov_b32_e32 v21, s43
	v_dual_mov_b32 v17, s39 :: v_dual_mov_b32 v18, s40
	v_mov_b32_e32 v20, s42
	s_and_saveexec_b32 s0, vcc_lo
	s_cbranch_execz .LBB814_256
; %bb.255:
	flat_load_b64 v[14:15], v[8:9]
	v_bfrev_b32_e32 v17, -2
	s_delay_alu instid0(VALU_DEP_1) | instskip(NEXT) | instid1(VALU_DEP_1)
	v_dual_mov_b32 v16, -1 :: v_dual_mov_b32 v19, v17
	v_dual_mov_b32 v18, v16 :: v_dual_mov_b32 v21, v17
	v_mov_b32_e32 v20, v16
.LBB814_256:
	s_or_b32 exec_lo, exec_lo, s0
	v_or_b32_e32 v24, 32, v23
	s_delay_alu instid0(VALU_DEP_1) | instskip(NEXT) | instid1(VALU_DEP_1)
	v_cmp_lt_u32_e64 s0, v24, v47
	s_and_saveexec_b32 s1, s0
	s_cbranch_execz .LBB814_258
; %bb.257:
	flat_load_b64 v[16:17], v[8:9] offset:256
.LBB814_258:
	s_or_b32 exec_lo, exec_lo, s1
	v_or_b32_e32 v24, 64, v23
	s_delay_alu instid0(VALU_DEP_1) | instskip(NEXT) | instid1(VALU_DEP_1)
	v_cmp_lt_u32_e64 s1, v24, v47
	s_and_saveexec_b32 s2, s1
	s_cbranch_execz .LBB814_260
; %bb.259:
	flat_load_b64 v[18:19], v[8:9] offset:512
.LBB814_260:
	;; [unrolled: 9-line block ×3, first 2 shown]
	s_or_b32 exec_lo, exec_lo, s3
	v_add_co_u32 v4, s3, v4, v29
	s_delay_alu instid0(VALU_DEP_1) | instskip(NEXT) | instid1(VALU_DEP_2)
	v_add_co_ci_u32_e64 v5, s3, v5, v30, s3
                                        ; implicit-def: $vgpr80_vgpr81
	v_add_co_u32 v4, s3, v4, v22
	s_delay_alu instid0(VALU_DEP_1) | instskip(NEXT) | instid1(VALU_DEP_2)
	v_add_co_ci_u32_e64 v5, s3, 0, v5, s3
	v_add_co_u32 v0, s3, v4, v0
	s_delay_alu instid0(VALU_DEP_1)
	v_add_co_ci_u32_e64 v1, s3, v5, v1, s3
	s_and_saveexec_b32 s3, vcc_lo
	s_cbranch_execnz .LBB814_337
; %bb.263:
	s_or_b32 exec_lo, exec_lo, s3
                                        ; implicit-def: $vgpr82_vgpr83
	s_and_saveexec_b32 s3, s0
	s_cbranch_execnz .LBB814_338
.LBB814_264:
	s_or_b32 exec_lo, exec_lo, s3
                                        ; implicit-def: $vgpr84_vgpr85
	s_and_saveexec_b32 s0, s1
	s_cbranch_execnz .LBB814_339
.LBB814_265:
	s_or_b32 exec_lo, exec_lo, s0
                                        ; implicit-def: $vgpr86_vgpr87
	s_and_saveexec_b32 s0, s2
	s_cbranch_execz .LBB814_267
.LBB814_266:
	flat_load_b64 v[86:87], v[0:1] offset:768
.LBB814_267:
	s_or_b32 exec_lo, exec_lo, s0
	v_dual_mov_b32 v1, 0 :: v_dual_lshlrev_b32 v0, 5, v26
	s_mov_b32 s20, 0
	v_add_co_u32 v28, vcc_lo, v12, 32
	s_mov_b32 s21, s20
	s_mov_b32 s22, s20
	;; [unrolled: 1-line block ×3, first 2 shown]
	v_and_b32_e32 v23, 0x3e0, v26
	v_add_co_ci_u32_e32 v39, vcc_lo, 0, v13, vcc_lo
	v_add_co_u32 v4, vcc_lo, v12, v0
	v_add_co_ci_u32_e32 v5, vcc_lo, 0, v13, vcc_lo
	v_add_nc_u32_e32 v24, -1, v35
	v_add_co_u32 v8, vcc_lo, v28, v0
	v_min_u32_e32 v0, 0xe0, v23
	v_and_b32_e32 v23, 16, v35
	v_and_b32_e32 v22, 15, v35
	v_cmp_gt_i32_e64 s4, 0, v24
	s_getpc_b64 s[0:1]
	s_add_u32 s0, s0, _ZN7rocprim17ROCPRIM_400000_NS16block_radix_sortIlLj256ELj4ElLj1ELj1ELj8ELNS0_26block_radix_rank_algorithmE2ELNS0_18block_padding_hintE2ELNS0_4arch9wavefront6targetE0EE19radix_bits_per_passE@rel32@lo+4
	s_addc_u32 s1, s1, _ZN7rocprim17ROCPRIM_400000_NS16block_radix_sortIlLj256ELj4ElLj1ELj1ELj8ELNS0_26block_radix_rank_algorithmE2ELNS0_18block_padding_hintE2ELNS0_4arch9wavefront6targetE0EE19radix_bits_per_passE@rel32@hi+12
	v_or_b32_e32 v0, 31, v0
	v_cmp_eq_u32_e64 s3, 0, v23
	v_lshrrev_b32_e32 v23, 5, v26
	v_add_co_ci_u32_e32 v9, vcc_lo, 0, v39, vcc_lo
	s_load_b32 s25, s[0:1], 0x0
	v_cmp_eq_u32_e32 vcc_lo, 0, v22
	v_cmp_lt_u32_e64 s0, 1, v22
	v_cmp_lt_u32_e64 s1, 3, v22
	;; [unrolled: 1-line block ×3, first 2 shown]
	v_cndmask_b32_e64 v22, v24, v35, s4
	v_cmp_eq_u32_e64 s4, v0, v26
	v_lshlrev_b32_e32 v0, 2, v23
	v_and_b32_e32 v24, 7, v35
	v_cmp_eq_u32_e64 s7, 0, v35
	v_lshlrev_b32_e32 v113, 2, v22
	v_lshlrev_b32_e32 v22, 2, v26
	v_add_co_u32 v31, s11, v12, v0
	v_add_nc_u32_e32 v0, -1, v23
	v_add_co_ci_u32_e64 v32, s11, 0, v13, s11
	s_delay_alu instid0(VALU_DEP_4) | instskip(SKIP_1) | instid1(VALU_DEP_4)
	v_and_or_b32 v25, 0xf80, v22, v35
	v_add_co_u32 v33, s11, v12, v22
	v_lshlrev_b64 v[22:23], 2, v[0:1]
	v_add_co_ci_u32_e64 v34, s11, 0, v13, s11
	s_delay_alu instid0(VALU_DEP_4) | instskip(SKIP_3) | instid1(VALU_DEP_1)
	v_lshlrev_b32_e32 v0, 3, v25
	v_cmp_eq_u32_e64 s11, 0, v24
	v_cmp_lt_u32_e64 s14, 1, v24
	v_add_co_u32 v35, s16, v12, v22
	v_add_co_ci_u32_e64 v36, s16, v13, v23, s16
	v_add_co_u32 v37, s16, v12, v0
	v_cmp_lt_u32_e64 s15, 3, v24
	v_mov_b32_e32 v25, s23
	s_waitcnt vmcnt(0) lgkmcnt(0)
	v_xor_b32_e32 v15, 0x80000000, v15
	v_xor_b32_e32 v17, 0x80000000, v17
	;; [unrolled: 1-line block ×4, first 2 shown]
	v_lshrrev_b32_e32 v112, 5, v27
	v_cmp_gt_u32_e64 s5, 8, v26
	v_cmp_lt_u32_e64 s6, 31, v26
	v_cmp_eq_u32_e64 s10, 0, v26
	v_add_co_ci_u32_e64 v38, s16, 0, v13, s16
	v_sub_nc_u32_e32 v114, v11, v10
	v_dual_mov_b32 v24, s22 :: v_dual_mov_b32 v23, s21
	v_mov_b32_e32 v22, s20
	s_waitcnt_vscnt null, 0x0
	s_barrier
	buffer_gl0_inv
	s_branch .LBB814_269
.LBB814_268:                            ;   in Loop: Header=BB814_269 Depth=1
	s_or_b32 exec_lo, exec_lo, s17
	s_delay_alu instid0(SALU_CYCLE_1) | instskip(NEXT) | instid1(SALU_CYCLE_1)
	s_and_b32 s16, exec_lo, s18
	s_or_b32 s20, s16, s20
	s_delay_alu instid0(SALU_CYCLE_1)
	s_and_not1_b32 exec_lo, exec_lo, s20
	s_cbranch_execz .LBB814_299
.LBB814_269:                            ; =>This Inner Loop Header: Depth=1
	v_min_u32_e32 v0, s25, v114
	v_dual_mov_b32 v49, v15 :: v_dual_mov_b32 v48, v14
	s_clause 0x1
	flat_store_b128 v[4:5], v[22:25] offset:32
	flat_store_b128 v[8:9], v[22:25] offset:16
	s_waitcnt lgkmcnt(0)
	s_waitcnt_vscnt null, 0x0
	v_lshlrev_b32_e64 v0, v0, -1
	s_barrier
	v_lshrrev_b64 v[50:51], v10, v[48:49]
	buffer_gl0_inv
	v_not_b32_e32 v14, v0
	; wave barrier
	v_dual_mov_b32 v67, v21 :: v_dual_mov_b32 v66, v20
	s_delay_alu instid0(VALU_DEP_2) | instskip(SKIP_1) | instid1(VALU_DEP_2)
	v_dual_mov_b32 v69, v19 :: v_dual_and_b32 v0, v50, v14
	v_dual_mov_b32 v71, v17 :: v_dual_mov_b32 v68, v18
	v_dual_mov_b32 v70, v16 :: v_dual_and_b32 v15, 1, v0
	v_lshlrev_b32_e32 v50, 30, v0
	v_lshlrev_b32_e32 v51, 29, v0
	;; [unrolled: 1-line block ×4, first 2 shown]
	v_add_co_u32 v15, s16, v15, -1
	s_delay_alu instid0(VALU_DEP_1)
	v_cndmask_b32_e64 v53, 0, 1, s16
	v_not_b32_e32 v65, v50
	v_cmp_gt_i32_e64 s17, 0, v50
	v_not_b32_e32 v50, v51
	v_lshlrev_b32_e32 v55, 26, v0
	v_cmp_ne_u32_e64 s16, 0, v53
	v_ashrrev_i32_e32 v65, 31, v65
	v_lshlrev_b32_e32 v53, 24, v0
	v_ashrrev_i32_e32 v50, 31, v50
	v_lshlrev_b32_e32 v64, 25, v0
	v_xor_b32_e32 v15, s16, v15
	v_cmp_gt_i32_e64 s16, 0, v51
	v_not_b32_e32 v51, v52
	v_xor_b32_e32 v65, s17, v65
	v_cmp_gt_i32_e64 s17, 0, v52
	v_and_b32_e32 v15, exec_lo, v15
	v_not_b32_e32 v52, v54
	v_ashrrev_i32_e32 v51, 31, v51
	v_xor_b32_e32 v50, s16, v50
	v_cmp_gt_i32_e64 s16, 0, v54
	v_and_b32_e32 v15, v15, v65
	v_not_b32_e32 v54, v55
	v_ashrrev_i32_e32 v52, 31, v52
	v_xor_b32_e32 v51, s17, v51
	v_cmp_gt_i32_e64 s17, 0, v55
	v_and_b32_e32 v15, v15, v50
	v_ashrrev_i32_e32 v54, 31, v54
	v_xor_b32_e32 v52, s16, v52
	v_lshl_add_u32 v0, v0, 3, v112
	s_delay_alu instid0(VALU_DEP_4) | instskip(NEXT) | instid1(VALU_DEP_4)
	v_and_b32_e32 v15, v15, v51
	v_xor_b32_e32 v54, s17, v54
	s_delay_alu instid0(VALU_DEP_3) | instskip(NEXT) | instid1(VALU_DEP_3)
	v_lshlrev_b64 v[16:17], 2, v[0:1]
	v_and_b32_e32 v15, v15, v52
	s_delay_alu instid0(VALU_DEP_1)
	v_dual_mov_b32 v54, v80 :: v_dual_and_b32 v15, v15, v54
	v_not_b32_e32 v51, v53
	v_cmp_gt_i32_e64 s17, 0, v53
	v_dual_mov_b32 v52, v82 :: v_dual_mov_b32 v53, v83
	v_not_b32_e32 v50, v64
	v_cmp_gt_i32_e64 s16, 0, v64
	v_mov_b32_e32 v64, v86
	v_ashrrev_i32_e32 v51, 31, v51
	v_mov_b32_e32 v55, v81
	v_ashrrev_i32_e32 v50, 31, v50
	v_add_co_u32 v80, s18, v28, v16
	s_delay_alu instid0(VALU_DEP_4) | instskip(SKIP_1) | instid1(VALU_DEP_4)
	v_xor_b32_e32 v18, s17, v51
	v_mov_b32_e32 v65, v87
	v_xor_b32_e32 v50, s16, v50
	v_add_co_ci_u32_e64 v81, s18, v39, v17, s18
	s_delay_alu instid0(VALU_DEP_2) | instskip(SKIP_1) | instid1(VALU_DEP_2)
	v_dual_mov_b32 v50, v84 :: v_dual_and_b32 v15, v15, v50
	v_mov_b32_e32 v51, v85
	v_and_b32_e32 v15, v15, v18
	s_delay_alu instid0(VALU_DEP_1) | instskip(SKIP_1) | instid1(VALU_DEP_2)
	v_mbcnt_lo_u32_b32 v96, v15, 0
	v_cmp_ne_u32_e64 s16, 0, v15
	v_cmp_eq_u32_e64 s17, 0, v96
	s_delay_alu instid0(VALU_DEP_1) | instskip(NEXT) | instid1(SALU_CYCLE_1)
	s_and_b32 s17, s16, s17
	s_and_saveexec_b32 s16, s17
	s_cbranch_execz .LBB814_271
; %bb.270:                              ;   in Loop: Header=BB814_269 Depth=1
	v_bcnt_u32_b32 v0, v15, 0
	flat_store_b32 v[80:81], v0
.LBB814_271:                            ;   in Loop: Header=BB814_269 Depth=1
	s_or_b32 exec_lo, exec_lo, s16
	v_lshrrev_b64 v[15:16], v10, v[70:71]
	; wave barrier
	s_delay_alu instid0(VALU_DEP_1) | instskip(NEXT) | instid1(VALU_DEP_1)
	v_and_b32_e32 v17, v15, v14
	v_lshl_add_u32 v0, v17, 3, v112
	v_lshlrev_b32_e32 v18, 29, v17
	v_lshlrev_b32_e32 v19, 28, v17
	s_delay_alu instid0(VALU_DEP_3) | instskip(SKIP_1) | instid1(VALU_DEP_2)
	v_lshlrev_b64 v[15:16], 2, v[0:1]
	v_and_b32_e32 v0, 1, v17
	v_add_co_u32 v82, s16, v28, v15
	s_delay_alu instid0(VALU_DEP_1) | instskip(NEXT) | instid1(VALU_DEP_3)
	v_add_co_ci_u32_e64 v83, s16, v39, v16, s16
	v_add_co_u32 v0, s16, v0, -1
	s_delay_alu instid0(VALU_DEP_1) | instskip(SKIP_3) | instid1(VALU_DEP_2)
	v_cndmask_b32_e64 v15, 0, 1, s16
	flat_load_b32 v97, v[82:83]
	v_lshlrev_b32_e32 v16, 30, v17
	; wave barrier
	v_cmp_ne_u32_e64 s16, 0, v15
	v_not_b32_e32 v15, v16
	s_delay_alu instid0(VALU_DEP_2) | instskip(SKIP_1) | instid1(VALU_DEP_3)
	v_xor_b32_e32 v0, s16, v0
	v_cmp_gt_i32_e64 s16, 0, v16
	v_ashrrev_i32_e32 v15, 31, v15
	v_not_b32_e32 v16, v18
	s_delay_alu instid0(VALU_DEP_4) | instskip(NEXT) | instid1(VALU_DEP_3)
	v_and_b32_e32 v0, exec_lo, v0
	v_xor_b32_e32 v15, s16, v15
	v_cmp_gt_i32_e64 s16, 0, v18
	s_delay_alu instid0(VALU_DEP_4) | instskip(SKIP_1) | instid1(VALU_DEP_4)
	v_ashrrev_i32_e32 v16, 31, v16
	v_not_b32_e32 v18, v19
	v_and_b32_e32 v0, v0, v15
	v_lshlrev_b32_e32 v15, 27, v17
	s_delay_alu instid0(VALU_DEP_4) | instskip(SKIP_2) | instid1(VALU_DEP_4)
	v_xor_b32_e32 v16, s16, v16
	v_cmp_gt_i32_e64 s16, 0, v19
	v_ashrrev_i32_e32 v18, 31, v18
	v_not_b32_e32 v19, v15
	s_delay_alu instid0(VALU_DEP_4) | instskip(SKIP_1) | instid1(VALU_DEP_4)
	v_and_b32_e32 v0, v0, v16
	v_lshlrev_b32_e32 v16, 26, v17
	v_xor_b32_e32 v18, s16, v18
	v_cmp_gt_i32_e64 s16, 0, v15
	v_ashrrev_i32_e32 v15, 31, v19
	s_delay_alu instid0(VALU_DEP_4) | instskip(NEXT) | instid1(VALU_DEP_4)
	v_not_b32_e32 v19, v16
	v_and_b32_e32 v0, v0, v18
	v_lshlrev_b32_e32 v18, 25, v17
	s_delay_alu instid0(VALU_DEP_4) | instskip(SKIP_2) | instid1(VALU_DEP_4)
	v_xor_b32_e32 v15, s16, v15
	v_cmp_gt_i32_e64 s16, 0, v16
	v_ashrrev_i32_e32 v16, 31, v19
	v_not_b32_e32 v19, v18
	s_delay_alu instid0(VALU_DEP_4) | instskip(SKIP_1) | instid1(VALU_DEP_4)
	v_and_b32_e32 v0, v0, v15
	v_lshlrev_b32_e32 v15, 24, v17
	v_xor_b32_e32 v16, s16, v16
	v_cmp_gt_i32_e64 s16, 0, v18
	v_ashrrev_i32_e32 v17, 31, v19
	s_delay_alu instid0(VALU_DEP_4) | instskip(NEXT) | instid1(VALU_DEP_4)
	v_not_b32_e32 v18, v15
	v_and_b32_e32 v0, v0, v16
	s_delay_alu instid0(VALU_DEP_3) | instskip(SKIP_1) | instid1(VALU_DEP_4)
	v_xor_b32_e32 v16, s16, v17
	v_cmp_gt_i32_e64 s16, 0, v15
	v_ashrrev_i32_e32 v15, 31, v18
	s_delay_alu instid0(VALU_DEP_3) | instskip(NEXT) | instid1(VALU_DEP_2)
	v_and_b32_e32 v0, v0, v16
	v_xor_b32_e32 v15, s16, v15
	s_delay_alu instid0(VALU_DEP_1) | instskip(NEXT) | instid1(VALU_DEP_1)
	v_and_b32_e32 v0, v0, v15
	v_mbcnt_lo_u32_b32 v98, v0, 0
	v_cmp_ne_u32_e64 s17, 0, v0
	s_delay_alu instid0(VALU_DEP_2) | instskip(NEXT) | instid1(VALU_DEP_1)
	v_cmp_eq_u32_e64 s16, 0, v98
	s_and_b32 s17, s17, s16
	s_delay_alu instid0(SALU_CYCLE_1)
	s_and_saveexec_b32 s16, s17
	s_cbranch_execz .LBB814_273
; %bb.272:                              ;   in Loop: Header=BB814_269 Depth=1
	s_waitcnt vmcnt(0) lgkmcnt(0)
	v_bcnt_u32_b32 v0, v0, v97
	flat_store_b32 v[82:83], v0
.LBB814_273:                            ;   in Loop: Header=BB814_269 Depth=1
	s_or_b32 exec_lo, exec_lo, s16
	v_lshrrev_b64 v[15:16], v10, v[68:69]
	; wave barrier
	s_delay_alu instid0(VALU_DEP_1) | instskip(NEXT) | instid1(VALU_DEP_1)
	v_and_b32_e32 v17, v15, v14
	v_lshl_add_u32 v0, v17, 3, v112
	v_lshlrev_b32_e32 v18, 29, v17
	v_lshlrev_b32_e32 v19, 28, v17
	s_delay_alu instid0(VALU_DEP_3) | instskip(SKIP_1) | instid1(VALU_DEP_2)
	v_lshlrev_b64 v[15:16], 2, v[0:1]
	v_and_b32_e32 v0, 1, v17
	v_add_co_u32 v84, s16, v28, v15
	s_delay_alu instid0(VALU_DEP_1) | instskip(NEXT) | instid1(VALU_DEP_3)
	v_add_co_ci_u32_e64 v85, s16, v39, v16, s16
	v_add_co_u32 v0, s16, v0, -1
	s_delay_alu instid0(VALU_DEP_1) | instskip(SKIP_3) | instid1(VALU_DEP_2)
	v_cndmask_b32_e64 v15, 0, 1, s16
	flat_load_b32 v99, v[84:85]
	v_lshlrev_b32_e32 v16, 30, v17
	; wave barrier
	v_cmp_ne_u32_e64 s16, 0, v15
	v_not_b32_e32 v15, v16
	s_delay_alu instid0(VALU_DEP_2) | instskip(SKIP_1) | instid1(VALU_DEP_3)
	v_xor_b32_e32 v0, s16, v0
	v_cmp_gt_i32_e64 s16, 0, v16
	v_ashrrev_i32_e32 v15, 31, v15
	v_not_b32_e32 v16, v18
	s_delay_alu instid0(VALU_DEP_4) | instskip(NEXT) | instid1(VALU_DEP_3)
	v_and_b32_e32 v0, exec_lo, v0
	v_xor_b32_e32 v15, s16, v15
	v_cmp_gt_i32_e64 s16, 0, v18
	s_delay_alu instid0(VALU_DEP_4) | instskip(SKIP_1) | instid1(VALU_DEP_4)
	v_ashrrev_i32_e32 v16, 31, v16
	v_not_b32_e32 v18, v19
	v_and_b32_e32 v0, v0, v15
	v_lshlrev_b32_e32 v15, 27, v17
	s_delay_alu instid0(VALU_DEP_4) | instskip(SKIP_2) | instid1(VALU_DEP_4)
	v_xor_b32_e32 v16, s16, v16
	v_cmp_gt_i32_e64 s16, 0, v19
	v_ashrrev_i32_e32 v18, 31, v18
	v_not_b32_e32 v19, v15
	s_delay_alu instid0(VALU_DEP_4) | instskip(SKIP_1) | instid1(VALU_DEP_4)
	v_and_b32_e32 v0, v0, v16
	v_lshlrev_b32_e32 v16, 26, v17
	v_xor_b32_e32 v18, s16, v18
	v_cmp_gt_i32_e64 s16, 0, v15
	v_ashrrev_i32_e32 v15, 31, v19
	s_delay_alu instid0(VALU_DEP_4) | instskip(NEXT) | instid1(VALU_DEP_4)
	v_not_b32_e32 v19, v16
	v_and_b32_e32 v0, v0, v18
	v_lshlrev_b32_e32 v18, 25, v17
	s_delay_alu instid0(VALU_DEP_4) | instskip(SKIP_2) | instid1(VALU_DEP_4)
	v_xor_b32_e32 v15, s16, v15
	v_cmp_gt_i32_e64 s16, 0, v16
	v_ashrrev_i32_e32 v16, 31, v19
	v_not_b32_e32 v19, v18
	s_delay_alu instid0(VALU_DEP_4) | instskip(SKIP_1) | instid1(VALU_DEP_4)
	v_and_b32_e32 v0, v0, v15
	v_lshlrev_b32_e32 v15, 24, v17
	v_xor_b32_e32 v16, s16, v16
	v_cmp_gt_i32_e64 s16, 0, v18
	v_ashrrev_i32_e32 v17, 31, v19
	s_delay_alu instid0(VALU_DEP_4) | instskip(NEXT) | instid1(VALU_DEP_4)
	v_not_b32_e32 v18, v15
	v_and_b32_e32 v0, v0, v16
	s_delay_alu instid0(VALU_DEP_3) | instskip(SKIP_1) | instid1(VALU_DEP_4)
	v_xor_b32_e32 v16, s16, v17
	v_cmp_gt_i32_e64 s16, 0, v15
	v_ashrrev_i32_e32 v15, 31, v18
	s_delay_alu instid0(VALU_DEP_3) | instskip(NEXT) | instid1(VALU_DEP_2)
	v_and_b32_e32 v0, v0, v16
	v_xor_b32_e32 v15, s16, v15
	s_delay_alu instid0(VALU_DEP_1) | instskip(NEXT) | instid1(VALU_DEP_1)
	v_and_b32_e32 v0, v0, v15
	v_mbcnt_lo_u32_b32 v100, v0, 0
	v_cmp_ne_u32_e64 s17, 0, v0
	s_delay_alu instid0(VALU_DEP_2) | instskip(NEXT) | instid1(VALU_DEP_1)
	v_cmp_eq_u32_e64 s16, 0, v100
	s_and_b32 s17, s17, s16
	s_delay_alu instid0(SALU_CYCLE_1)
	s_and_saveexec_b32 s16, s17
	s_cbranch_execz .LBB814_275
; %bb.274:                              ;   in Loop: Header=BB814_269 Depth=1
	s_waitcnt vmcnt(0) lgkmcnt(0)
	v_bcnt_u32_b32 v0, v0, v99
	flat_store_b32 v[84:85], v0
.LBB814_275:                            ;   in Loop: Header=BB814_269 Depth=1
	s_or_b32 exec_lo, exec_lo, s16
	v_lshrrev_b64 v[15:16], v10, v[66:67]
	; wave barrier
	s_delay_alu instid0(VALU_DEP_1) | instskip(NEXT) | instid1(VALU_DEP_1)
	v_and_b32_e32 v16, v15, v14
	v_lshl_add_u32 v0, v16, 3, v112
	v_lshlrev_b32_e32 v17, 29, v16
	v_lshlrev_b32_e32 v18, 28, v16
	s_delay_alu instid0(VALU_DEP_3) | instskip(SKIP_1) | instid1(VALU_DEP_2)
	v_lshlrev_b64 v[14:15], 2, v[0:1]
	v_and_b32_e32 v0, 1, v16
	v_add_co_u32 v86, s16, v28, v14
	s_delay_alu instid0(VALU_DEP_1) | instskip(NEXT) | instid1(VALU_DEP_3)
	v_add_co_ci_u32_e64 v87, s16, v39, v15, s16
	v_add_co_u32 v0, s16, v0, -1
	s_delay_alu instid0(VALU_DEP_1) | instskip(SKIP_3) | instid1(VALU_DEP_2)
	v_cndmask_b32_e64 v14, 0, 1, s16
	flat_load_b32 v101, v[86:87]
	v_lshlrev_b32_e32 v15, 30, v16
	; wave barrier
	v_cmp_ne_u32_e64 s16, 0, v14
	v_not_b32_e32 v14, v15
	s_delay_alu instid0(VALU_DEP_2) | instskip(SKIP_1) | instid1(VALU_DEP_3)
	v_xor_b32_e32 v0, s16, v0
	v_cmp_gt_i32_e64 s16, 0, v15
	v_ashrrev_i32_e32 v14, 31, v14
	v_not_b32_e32 v15, v17
	s_delay_alu instid0(VALU_DEP_4) | instskip(NEXT) | instid1(VALU_DEP_3)
	v_and_b32_e32 v0, exec_lo, v0
	v_xor_b32_e32 v14, s16, v14
	v_cmp_gt_i32_e64 s16, 0, v17
	s_delay_alu instid0(VALU_DEP_4) | instskip(SKIP_1) | instid1(VALU_DEP_4)
	v_ashrrev_i32_e32 v15, 31, v15
	v_not_b32_e32 v17, v18
	v_and_b32_e32 v0, v0, v14
	v_lshlrev_b32_e32 v14, 27, v16
	s_delay_alu instid0(VALU_DEP_4) | instskip(SKIP_2) | instid1(VALU_DEP_4)
	v_xor_b32_e32 v15, s16, v15
	v_cmp_gt_i32_e64 s16, 0, v18
	v_ashrrev_i32_e32 v17, 31, v17
	v_not_b32_e32 v18, v14
	s_delay_alu instid0(VALU_DEP_4) | instskip(SKIP_1) | instid1(VALU_DEP_4)
	v_and_b32_e32 v0, v0, v15
	v_lshlrev_b32_e32 v15, 26, v16
	v_xor_b32_e32 v17, s16, v17
	v_cmp_gt_i32_e64 s16, 0, v14
	v_ashrrev_i32_e32 v14, 31, v18
	s_delay_alu instid0(VALU_DEP_4) | instskip(NEXT) | instid1(VALU_DEP_4)
	v_not_b32_e32 v18, v15
	v_and_b32_e32 v0, v0, v17
	v_lshlrev_b32_e32 v17, 25, v16
	s_delay_alu instid0(VALU_DEP_4) | instskip(SKIP_2) | instid1(VALU_DEP_4)
	v_xor_b32_e32 v14, s16, v14
	v_cmp_gt_i32_e64 s16, 0, v15
	v_ashrrev_i32_e32 v15, 31, v18
	v_not_b32_e32 v18, v17
	s_delay_alu instid0(VALU_DEP_4) | instskip(SKIP_1) | instid1(VALU_DEP_4)
	v_and_b32_e32 v0, v0, v14
	v_lshlrev_b32_e32 v14, 24, v16
	v_xor_b32_e32 v15, s16, v15
	v_cmp_gt_i32_e64 s16, 0, v17
	v_ashrrev_i32_e32 v16, 31, v18
	s_delay_alu instid0(VALU_DEP_4) | instskip(NEXT) | instid1(VALU_DEP_4)
	v_not_b32_e32 v17, v14
	v_and_b32_e32 v0, v0, v15
	s_delay_alu instid0(VALU_DEP_3) | instskip(SKIP_1) | instid1(VALU_DEP_4)
	v_xor_b32_e32 v15, s16, v16
	v_cmp_gt_i32_e64 s16, 0, v14
	v_ashrrev_i32_e32 v14, 31, v17
	s_delay_alu instid0(VALU_DEP_3) | instskip(NEXT) | instid1(VALU_DEP_2)
	v_and_b32_e32 v0, v0, v15
	v_xor_b32_e32 v14, s16, v14
	s_delay_alu instid0(VALU_DEP_1) | instskip(NEXT) | instid1(VALU_DEP_1)
	v_and_b32_e32 v0, v0, v14
	v_mbcnt_lo_u32_b32 v102, v0, 0
	v_cmp_ne_u32_e64 s17, 0, v0
	s_delay_alu instid0(VALU_DEP_2) | instskip(NEXT) | instid1(VALU_DEP_1)
	v_cmp_eq_u32_e64 s16, 0, v102
	s_and_b32 s17, s17, s16
	s_delay_alu instid0(SALU_CYCLE_1)
	s_and_saveexec_b32 s16, s17
	s_cbranch_execz .LBB814_277
; %bb.276:                              ;   in Loop: Header=BB814_269 Depth=1
	s_waitcnt vmcnt(0) lgkmcnt(0)
	v_bcnt_u32_b32 v0, v0, v101
	flat_store_b32 v[86:87], v0
.LBB814_277:                            ;   in Loop: Header=BB814_269 Depth=1
	s_or_b32 exec_lo, exec_lo, s16
	; wave barrier
	s_waitcnt vmcnt(0) lgkmcnt(0)
	s_waitcnt_vscnt null, 0x0
	s_barrier
	buffer_gl0_inv
	s_clause 0x1
	flat_load_b128 v[18:21], v[4:5] offset:32
	flat_load_b128 v[14:17], v[8:9] offset:16
	s_waitcnt vmcnt(1) lgkmcnt(1)
	v_add_nc_u32_e32 v0, v19, v18
	s_delay_alu instid0(VALU_DEP_1) | instskip(SKIP_1) | instid1(VALU_DEP_1)
	v_add3_u32 v0, v0, v20, v21
	s_waitcnt vmcnt(0) lgkmcnt(0)
	v_add3_u32 v0, v0, v14, v15
	s_delay_alu instid0(VALU_DEP_1) | instskip(NEXT) | instid1(VALU_DEP_1)
	v_add3_u32 v0, v0, v16, v17
	v_mov_b32_dpp v17, v0 row_shr:1 row_mask:0xf bank_mask:0xf
	s_delay_alu instid0(VALU_DEP_1) | instskip(NEXT) | instid1(VALU_DEP_1)
	v_cndmask_b32_e64 v17, v17, 0, vcc_lo
	v_add_nc_u32_e32 v0, v17, v0
	s_delay_alu instid0(VALU_DEP_1) | instskip(NEXT) | instid1(VALU_DEP_1)
	v_mov_b32_dpp v17, v0 row_shr:2 row_mask:0xf bank_mask:0xf
	v_cndmask_b32_e64 v17, 0, v17, s0
	s_delay_alu instid0(VALU_DEP_1) | instskip(NEXT) | instid1(VALU_DEP_1)
	v_add_nc_u32_e32 v0, v0, v17
	v_mov_b32_dpp v17, v0 row_shr:4 row_mask:0xf bank_mask:0xf
	s_delay_alu instid0(VALU_DEP_1) | instskip(NEXT) | instid1(VALU_DEP_1)
	v_cndmask_b32_e64 v17, 0, v17, s1
	v_add_nc_u32_e32 v0, v0, v17
	s_delay_alu instid0(VALU_DEP_1) | instskip(NEXT) | instid1(VALU_DEP_1)
	v_mov_b32_dpp v17, v0 row_shr:8 row_mask:0xf bank_mask:0xf
	v_cndmask_b32_e64 v17, 0, v17, s2
	s_delay_alu instid0(VALU_DEP_1) | instskip(SKIP_3) | instid1(VALU_DEP_1)
	v_add_nc_u32_e32 v0, v0, v17
	ds_swizzle_b32 v17, v0 offset:swizzle(BROADCAST,32,15)
	s_waitcnt lgkmcnt(0)
	v_cndmask_b32_e64 v17, v17, 0, s3
	v_add_nc_u32_e32 v0, v0, v17
	s_and_saveexec_b32 s16, s4
	s_cbranch_execz .LBB814_279
; %bb.278:                              ;   in Loop: Header=BB814_269 Depth=1
	flat_store_b32 v[31:32], v0
.LBB814_279:                            ;   in Loop: Header=BB814_269 Depth=1
	s_or_b32 exec_lo, exec_lo, s16
	s_waitcnt lgkmcnt(0)
	s_waitcnt_vscnt null, 0x0
	s_barrier
	buffer_gl0_inv
	s_and_saveexec_b32 s16, s5
	s_cbranch_execz .LBB814_281
; %bb.280:                              ;   in Loop: Header=BB814_269 Depth=1
	flat_load_b32 v17, v[33:34]
	s_waitcnt vmcnt(0) lgkmcnt(0)
	v_mov_b32_dpp v103, v17 row_shr:1 row_mask:0xf bank_mask:0xf
	s_delay_alu instid0(VALU_DEP_1) | instskip(NEXT) | instid1(VALU_DEP_1)
	v_cndmask_b32_e64 v103, v103, 0, s11
	v_add_nc_u32_e32 v17, v103, v17
	s_delay_alu instid0(VALU_DEP_1) | instskip(NEXT) | instid1(VALU_DEP_1)
	v_mov_b32_dpp v103, v17 row_shr:2 row_mask:0xf bank_mask:0xf
	v_cndmask_b32_e64 v103, 0, v103, s14
	s_delay_alu instid0(VALU_DEP_1) | instskip(NEXT) | instid1(VALU_DEP_1)
	v_add_nc_u32_e32 v17, v17, v103
	v_mov_b32_dpp v103, v17 row_shr:4 row_mask:0xf bank_mask:0xf
	s_delay_alu instid0(VALU_DEP_1) | instskip(NEXT) | instid1(VALU_DEP_1)
	v_cndmask_b32_e64 v103, 0, v103, s15
	v_add_nc_u32_e32 v17, v17, v103
	flat_store_b32 v[33:34], v17
.LBB814_281:                            ;   in Loop: Header=BB814_269 Depth=1
	s_or_b32 exec_lo, exec_lo, s16
	v_mov_b32_e32 v17, 0
	s_waitcnt lgkmcnt(0)
	s_waitcnt_vscnt null, 0x0
	s_barrier
	buffer_gl0_inv
	s_and_saveexec_b32 s16, s6
	s_cbranch_execz .LBB814_283
; %bb.282:                              ;   in Loop: Header=BB814_269 Depth=1
	flat_load_b32 v17, v[35:36]
.LBB814_283:                            ;   in Loop: Header=BB814_269 Depth=1
	s_or_b32 exec_lo, exec_lo, s16
	s_waitcnt vmcnt(0) lgkmcnt(0)
	v_add_nc_u32_e32 v0, v17, v0
	v_add_nc_u32_e32 v10, 8, v10
	s_mov_b32 s18, -1
	ds_bpermute_b32 v0, v113, v0
	s_waitcnt lgkmcnt(0)
	v_cndmask_b32_e64 v0, v0, v17, s7
	s_delay_alu instid0(VALU_DEP_1) | instskip(NEXT) | instid1(VALU_DEP_1)
	v_cndmask_b32_e64 v17, v0, 0, s10
	v_add_nc_u32_e32 v18, v17, v18
	s_delay_alu instid0(VALU_DEP_1) | instskip(NEXT) | instid1(VALU_DEP_1)
	v_add_nc_u32_e32 v19, v18, v19
	v_add_nc_u32_e32 v20, v19, v20
	s_delay_alu instid0(VALU_DEP_1) | instskip(NEXT) | instid1(VALU_DEP_1)
	v_add_nc_u32_e32 v115, v20, v21
	v_add_nc_u32_e32 v116, v115, v14
	s_delay_alu instid0(VALU_DEP_1) | instskip(SKIP_1) | instid1(VALU_DEP_2)
	v_add_nc_u32_e32 v117, v116, v15
	v_mov_b32_e32 v15, v1
	v_add_nc_u32_e32 v118, v117, v16
	s_clause 0x1
	flat_store_b128 v[4:5], v[17:20] offset:32
	flat_store_b128 v[8:9], v[115:118] offset:16
	v_mov_b32_e32 v17, v1
	s_waitcnt lgkmcnt(0)
	s_waitcnt_vscnt null, 0x0
	s_barrier
	buffer_gl0_inv
	s_clause 0x3
	flat_load_b32 v0, v[80:81]
	flat_load_b32 v14, v[82:83]
	;; [unrolled: 1-line block ×4, first 2 shown]
	v_mov_b32_e32 v19, v1
	s_waitcnt vmcnt(0) lgkmcnt(0)
	s_waitcnt_vscnt null, 0x0
                                        ; implicit-def: $vgpr80_vgpr81
                                        ; implicit-def: $vgpr82_vgpr83
                                        ; implicit-def: $vgpr84_vgpr85
                                        ; implicit-def: $vgpr86_vgpr87
	s_waitcnt vmcnt(3) lgkmcnt(3)
	v_add_nc_u32_e32 v0, v0, v96
	s_waitcnt vmcnt(2) lgkmcnt(2)
	v_add3_u32 v14, v98, v97, v14
	s_waitcnt vmcnt(1) lgkmcnt(1)
	v_add3_u32 v16, v100, v99, v16
	;; [unrolled: 2-line block ×3, first 2 shown]
	v_lshlrev_b64 v[20:21], 3, v[0:1]
	v_lshlrev_b64 v[14:15], 3, v[14:15]
	;; [unrolled: 1-line block ×3, first 2 shown]
	s_delay_alu instid0(VALU_DEP_4) | instskip(NEXT) | instid1(VALU_DEP_4)
	v_lshlrev_b64 v[18:19], 3, v[18:19]
	v_add_co_u32 v96, s17, v12, v20
	s_delay_alu instid0(VALU_DEP_1) | instskip(SKIP_1) | instid1(VALU_DEP_1)
	v_add_co_ci_u32_e64 v97, s17, v13, v21, s17
	v_add_co_u32 v98, s17, v12, v14
	v_add_co_ci_u32_e64 v99, s17, v13, v15, s17
	v_add_co_u32 v100, s17, v12, v16
	s_delay_alu instid0(VALU_DEP_1) | instskip(SKIP_1) | instid1(VALU_DEP_1)
	v_add_co_ci_u32_e64 v101, s17, v13, v17, s17
	v_add_co_u32 v102, s17, v12, v18
	v_add_co_ci_u32_e64 v103, s17, v13, v19, s17
	s_mov_b32 s17, exec_lo
                                        ; implicit-def: $vgpr20_vgpr21
	v_cmpx_lt_u32_e64 v10, v11
	s_cbranch_execz .LBB814_268
; %bb.284:                              ;   in Loop: Header=BB814_269 Depth=1
	s_barrier
	buffer_gl0_inv
	s_clause 0x3
	flat_store_b64 v[96:97], v[48:49]
	flat_store_b64 v[98:99], v[70:71]
	;; [unrolled: 1-line block ×4, first 2 shown]
	s_waitcnt lgkmcnt(0)
	s_waitcnt_vscnt null, 0x0
	s_barrier
	buffer_gl0_inv
	s_clause 0x3
	flat_load_b64 v[14:15], v[37:38]
	flat_load_b64 v[16:17], v[37:38] offset:256
	flat_load_b64 v[18:19], v[37:38] offset:512
	flat_load_b64 v[20:21], v[37:38] offset:768
	s_waitcnt vmcnt(0) lgkmcnt(0)
	s_barrier
	buffer_gl0_inv
	s_clause 0x3
	flat_store_b64 v[96:97], v[54:55]
	flat_store_b64 v[98:99], v[52:53]
	;; [unrolled: 1-line block ×4, first 2 shown]
	s_waitcnt lgkmcnt(0)
	s_waitcnt_vscnt null, 0x0
	s_barrier
	buffer_gl0_inv
	s_clause 0x3
	flat_load_b64 v[80:81], v[37:38]
	flat_load_b64 v[82:83], v[37:38] offset:256
	flat_load_b64 v[84:85], v[37:38] offset:512
	;; [unrolled: 1-line block ×3, first 2 shown]
	v_add_nc_u32_e32 v114, -8, v114
	s_xor_b32 s18, exec_lo, -1
	s_waitcnt vmcnt(0) lgkmcnt(0)
	s_barrier
	buffer_gl0_inv
	s_branch .LBB814_268
.LBB814_285:
	flat_load_b64 v[130:131], v[0:1]
	s_or_b32 exec_lo, exec_lo, s7
                                        ; implicit-def: $vgpr132_vgpr133
	s_and_saveexec_b32 s7, s0
	s_cbranch_execz .LBB814_163
.LBB814_286:
	flat_load_b64 v[132:133], v[0:1] offset:256
	s_or_b32 exec_lo, exec_lo, s7
                                        ; implicit-def: $vgpr134_vgpr135
	s_and_saveexec_b32 s0, s1
	s_cbranch_execz .LBB814_164
.LBB814_287:
	flat_load_b64 v[134:135], v[0:1] offset:512
	s_or_b32 exec_lo, exec_lo, s0
                                        ; implicit-def: $vgpr144_vgpr145
	s_and_saveexec_b32 s0, s2
	s_cbranch_execz .LBB814_165
.LBB814_288:
	flat_load_b64 v[144:145], v[0:1] offset:768
	s_or_b32 exec_lo, exec_lo, s0
                                        ; implicit-def: $vgpr146_vgpr147
	s_and_saveexec_b32 s0, s3
	s_cbranch_execz .LBB814_166
.LBB814_289:
	flat_load_b64 v[146:147], v[0:1] offset:1024
	s_or_b32 exec_lo, exec_lo, s0
                                        ; implicit-def: $vgpr148_vgpr149
	s_and_saveexec_b32 s0, s4
	s_cbranch_execz .LBB814_167
.LBB814_290:
	flat_load_b64 v[148:149], v[0:1] offset:1280
	s_or_b32 exec_lo, exec_lo, s0
                                        ; implicit-def: $vgpr118_vgpr119
	s_and_saveexec_b32 s0, s5
	s_cbranch_execz .LBB814_168
.LBB814_291:
	flat_load_b64 v[118:119], v[0:1] offset:1536
	s_or_b32 exec_lo, exec_lo, s0
                                        ; implicit-def: $vgpr128_vgpr129
	s_and_saveexec_b32 s0, s6
	s_cbranch_execnz .LBB814_169
	s_branch .LBB814_170
.LBB814_292:
	flat_store_b64 v[2:3], v[18:19]
	s_or_b32 exec_lo, exec_lo, s7
	s_and_saveexec_b32 s7, s0
	s_cbranch_execz .LBB814_244
.LBB814_293:
	flat_store_b64 v[2:3], v[16:17] offset:2048
	s_or_b32 exec_lo, exec_lo, s7
	s_and_saveexec_b32 s0, s1
	s_cbranch_execz .LBB814_245
.LBB814_294:
	v_add_co_u32 v6, vcc_lo, 0x1000, v2
	v_add_co_ci_u32_e32 v7, vcc_lo, 0, v3, vcc_lo
	flat_store_b64 v[6:7], v[14:15]
	s_or_b32 exec_lo, exec_lo, s0
	s_and_saveexec_b32 s0, s2
	s_cbranch_execz .LBB814_246
.LBB814_295:
	v_add_co_u32 v6, vcc_lo, 0x1000, v2
	v_add_co_ci_u32_e32 v7, vcc_lo, 0, v3, vcc_lo
	flat_store_b64 v[6:7], v[12:13] offset:2048
	s_or_b32 exec_lo, exec_lo, s0
	s_and_saveexec_b32 s0, s3
	s_cbranch_execz .LBB814_247
.LBB814_296:
	v_add_co_u32 v6, vcc_lo, 0x2000, v2
	v_add_co_ci_u32_e32 v7, vcc_lo, 0, v3, vcc_lo
	flat_store_b64 v[6:7], v[10:11]
	s_or_b32 exec_lo, exec_lo, s0
	s_and_saveexec_b32 s0, s4
	s_cbranch_execz .LBB814_248
.LBB814_297:
	v_add_co_u32 v6, vcc_lo, 0x2000, v2
	v_add_co_ci_u32_e32 v7, vcc_lo, 0, v3, vcc_lo
	flat_store_b64 v[6:7], v[8:9] offset:2048
	s_or_b32 exec_lo, exec_lo, s0
	s_and_saveexec_b32 s0, s5
	s_cbranch_execz .LBB814_249
.LBB814_298:
	v_add_co_u32 v6, vcc_lo, 0x3000, v2
	v_add_co_ci_u32_e32 v7, vcc_lo, 0, v3, vcc_lo
	flat_store_b64 v[6:7], v[4:5]
	s_or_b32 exec_lo, exec_lo, s0
	s_and_saveexec_b32 s0, s6
	s_cbranch_execnz .LBB814_250
	s_branch .LBB814_251
.LBB814_299:
	s_or_b32 exec_lo, exec_lo, s20
	v_lshlrev_b32_e32 v0, 3, v26
	s_barrier
	buffer_gl0_inv
	s_clause 0x3
	flat_store_b64 v[96:97], v[48:49]
	flat_store_b64 v[98:99], v[70:71]
	;; [unrolled: 1-line block ×4, first 2 shown]
	v_add_co_u32 v0, vcc_lo, v12, v0
	v_add_co_ci_u32_e32 v1, vcc_lo, 0, v13, vcc_lo
	s_waitcnt lgkmcnt(0)
	s_waitcnt_vscnt null, 0x0
	s_delay_alu instid0(VALU_DEP_2) | instskip(NEXT) | instid1(VALU_DEP_2)
	v_add_co_u32 v14, vcc_lo, 0x1000, v0
	v_add_co_ci_u32_e32 v15, vcc_lo, 0, v1, vcc_lo
	s_barrier
	buffer_gl0_inv
	s_clause 0x3
	flat_load_b64 v[20:21], v[0:1]
	flat_load_b64 v[18:19], v[0:1] offset:2048
	flat_load_b64 v[16:17], v[14:15]
	flat_load_b64 v[12:13], v[14:15] offset:2048
	s_waitcnt vmcnt(0) lgkmcnt(0)
	s_barrier
	buffer_gl0_inv
	s_clause 0x3
	flat_store_b64 v[96:97], v[54:55]
	flat_store_b64 v[98:99], v[52:53]
	;; [unrolled: 1-line block ×4, first 2 shown]
	s_waitcnt lgkmcnt(0)
	s_waitcnt_vscnt null, 0x0
	s_barrier
	buffer_gl0_inv
	s_clause 0x3
	flat_load_b64 v[10:11], v[0:1]
	flat_load_b64 v[8:9], v[0:1] offset:2048
	flat_load_b64 v[4:5], v[14:15]
	flat_load_b64 v[0:1], v[14:15] offset:2048
	v_mov_b32_e32 v28, 0
	v_add_co_u32 v2, vcc_lo, v2, v29
	v_add_co_ci_u32_e32 v3, vcc_lo, v3, v30, vcc_lo
	s_delay_alu instid0(VALU_DEP_3)
	v_lshlrev_b64 v[14:15], 3, v[27:28]
	s_waitcnt vmcnt(0) lgkmcnt(0)
	s_barrier
	buffer_gl0_inv
	v_add_co_u32 v2, vcc_lo, v2, v14
	v_add_co_ci_u32_e32 v3, vcc_lo, v3, v15, vcc_lo
	v_cmp_lt_u32_e32 vcc_lo, v27, v47
	s_and_saveexec_b32 s0, vcc_lo
	s_cbranch_execz .LBB814_301
; %bb.300:
	v_xor_b32_e32 v21, 0x80000000, v21
	flat_store_b64 v[2:3], v[20:21]
.LBB814_301:
	s_or_b32 exec_lo, exec_lo, s0
	v_add_nc_u32_e32 v20, 0x100, v27
	s_delay_alu instid0(VALU_DEP_1) | instskip(NEXT) | instid1(VALU_DEP_1)
	v_cmp_lt_u32_e64 s0, v20, v47
	s_and_saveexec_b32 s1, s0
	s_cbranch_execz .LBB814_303
; %bb.302:
	v_xor_b32_e32 v19, 0x80000000, v19
	flat_store_b64 v[2:3], v[18:19] offset:2048
.LBB814_303:
	s_or_b32 exec_lo, exec_lo, s1
	v_add_nc_u32_e32 v18, 0x200, v27
	s_delay_alu instid0(VALU_DEP_1) | instskip(NEXT) | instid1(VALU_DEP_1)
	v_cmp_lt_u32_e64 s1, v18, v47
	s_and_saveexec_b32 s3, s1
	s_cbranch_execz .LBB814_305
; %bb.304:
	v_add_co_u32 v18, s2, 0x1000, v2
	v_xor_b32_e32 v17, 0x80000000, v17
	v_add_co_ci_u32_e64 v19, s2, 0, v3, s2
	flat_store_b64 v[18:19], v[16:17]
.LBB814_305:
	s_or_b32 exec_lo, exec_lo, s3
	v_add_nc_u32_e32 v16, 0x300, v27
	s_delay_alu instid0(VALU_DEP_1) | instskip(NEXT) | instid1(VALU_DEP_1)
	v_cmp_lt_u32_e64 s2, v16, v47
	s_and_saveexec_b32 s4, s2
	s_cbranch_execz .LBB814_307
; %bb.306:
	v_add_co_u32 v2, s3, 0x1000, v2
	v_xor_b32_e32 v13, 0x80000000, v13
	v_add_co_ci_u32_e64 v3, s3, 0, v3, s3
	flat_store_b64 v[2:3], v[12:13] offset:2048
.LBB814_307:
	s_or_b32 exec_lo, exec_lo, s4
	v_add_co_u32 v2, s3, v6, v29
	s_delay_alu instid0(VALU_DEP_1) | instskip(NEXT) | instid1(VALU_DEP_2)
	v_add_co_ci_u32_e64 v3, s3, v7, v30, s3
	v_add_co_u32 v2, s3, v2, v14
	s_delay_alu instid0(VALU_DEP_1)
	v_add_co_ci_u32_e64 v3, s3, v3, v15, s3
	s_and_saveexec_b32 s3, vcc_lo
	s_cbranch_execnz .LBB814_340
; %bb.308:
	s_or_b32 exec_lo, exec_lo, s3
	s_and_saveexec_b32 s3, s0
	s_cbranch_execnz .LBB814_341
.LBB814_309:
	s_or_b32 exec_lo, exec_lo, s3
	s_and_saveexec_b32 s0, s1
	s_cbranch_execnz .LBB814_342
.LBB814_310:
	s_or_b32 exec_lo, exec_lo, s0
	s_and_saveexec_b32 s0, s2
	s_cbranch_execz .LBB814_312
.LBB814_311:
	v_add_co_u32 v2, vcc_lo, 0x1000, v2
	v_add_co_ci_u32_e32 v3, vcc_lo, 0, v3, vcc_lo
	flat_store_b64 v[2:3], v[0:1] offset:2048
.LBB814_312:
	s_or_b32 exec_lo, exec_lo, s0
                                        ; implicit-def: $vgpr47
                                        ; implicit-def: $vgpr0
                                        ; implicit-def: $vgpr1
                                        ; implicit-def: $vgpr2
                                        ; implicit-def: $vgpr3
                                        ; implicit-def: $vgpr4
                                        ; implicit-def: $vgpr5
                                        ; implicit-def: $vgpr6
                                        ; implicit-def: $vgpr7
                                        ; implicit-def: $vgpr8
                                        ; implicit-def: $vgpr10
                                        ; implicit-def: $vgpr11
                                        ; implicit-def: $vgpr12
                                        ; implicit-def: $vgpr13
                                        ; implicit-def: $vgpr14
                                        ; implicit-def: $vgpr15
                                        ; implicit-def: $vgpr26
                                        ; implicit-def: $vgpr35
.LBB814_313:
	s_and_not1_saveexec_b32 s0, s19
	s_cbranch_execz .LBB814_372
; %bb.314:
	s_load_b64 s[0:1], s[8:9], 0x0
	v_mov_b32_e32 v9, 0
	s_waitcnt lgkmcnt(0)
	s_cmp_lt_u32 s13, s1
	s_cselect_b32 s1, 14, 20
	s_delay_alu instid0(SALU_CYCLE_1) | instskip(SKIP_4) | instid1(SALU_CYCLE_1)
	s_add_u32 s2, s8, s1
	s_addc_u32 s3, s9, 0
	s_cmp_lt_u32 s12, s0
	global_load_u16 v16, v9, s[2:3]
	s_cselect_b32 s0, 12, 18
	s_add_u32 s0, s8, s0
	s_addc_u32 s1, s9, 0
	global_load_u16 v17, v9, s[0:1]
	s_mov_b32 s0, exec_lo
	s_waitcnt vmcnt(1)
	v_mad_u32_u24 v14, v15, v16, v14
	s_waitcnt vmcnt(0)
	s_delay_alu instid0(VALU_DEP_1)
	v_mad_u64_u32 v[29:30], null, v14, v17, v[26:27]
	v_lshlrev_b64 v[27:28], 3, v[8:9]
	v_cmpx_lt_u32_e32 0x100, v47
	s_xor_b32 s15, exec_lo, s0
	s_cbranch_execz .LBB814_352
; %bb.315:
	s_mov_b32 s0, -1
	s_brev_b32 s1, -2
	s_mov_b32 s2, s0
	s_mov_b32 s3, s1
	s_delay_alu instid0(SALU_CYCLE_1) | instskip(SKIP_2) | instid1(VALU_DEP_3)
	v_dual_mov_b32 v21, s3 :: v_dual_lshlrev_b32 v8, 1, v29
	v_dual_mov_b32 v19, s1 :: v_dual_lshlrev_b32 v14, 3, v35
	v_add_co_u32 v15, vcc_lo, v0, v27
	v_and_b32_e32 v8, 0xffffffc0, v8
	v_add_co_ci_u32_e32 v16, vcc_lo, v1, v28, vcc_lo
	v_mov_b32_e32 v20, s2
	v_mov_b32_e32 v18, s0
	s_delay_alu instid0(VALU_DEP_4) | instskip(SKIP_3) | instid1(VALU_DEP_3)
	v_lshlrev_b64 v[0:1], 3, v[8:9]
	v_add_co_u32 v9, vcc_lo, v15, v14
	v_add_co_ci_u32_e32 v16, vcc_lo, 0, v16, vcc_lo
	v_or_b32_e32 v15, v35, v8
	v_add_co_u32 v8, vcc_lo, v9, v0
	s_delay_alu instid0(VALU_DEP_3) | instskip(NEXT) | instid1(VALU_DEP_3)
	v_add_co_ci_u32_e32 v9, vcc_lo, v16, v1, vcc_lo
	v_cmp_lt_u32_e32 vcc_lo, v15, v47
	s_and_saveexec_b32 s0, vcc_lo
	s_cbranch_execz .LBB814_317
; %bb.316:
	flat_load_b64 v[18:19], v[8:9]
	v_mov_b32_e32 v20, -1
	v_bfrev_b32_e32 v21, -2
.LBB814_317:
	s_or_b32 exec_lo, exec_lo, s0
	v_or_b32_e32 v15, 32, v15
	s_delay_alu instid0(VALU_DEP_1) | instskip(NEXT) | instid1(VALU_DEP_1)
	v_cmp_lt_u32_e64 s0, v15, v47
	s_and_saveexec_b32 s1, s0
	s_cbranch_execz .LBB814_319
; %bb.318:
	flat_load_b64 v[20:21], v[8:9] offset:256
.LBB814_319:
	s_or_b32 exec_lo, exec_lo, s1
	v_add_co_u32 v4, s1, v4, v27
	s_delay_alu instid0(VALU_DEP_1) | instskip(NEXT) | instid1(VALU_DEP_2)
	v_add_co_ci_u32_e64 v5, s1, v5, v28, s1
                                        ; implicit-def: $vgpr22_vgpr23
	v_add_co_u32 v4, s1, v4, v14
	s_delay_alu instid0(VALU_DEP_1) | instskip(NEXT) | instid1(VALU_DEP_2)
	v_add_co_ci_u32_e64 v5, s1, 0, v5, s1
	v_add_co_u32 v0, s1, v4, v0
	s_delay_alu instid0(VALU_DEP_1)
	v_add_co_ci_u32_e64 v1, s1, v5, v1, s1
	s_and_saveexec_b32 s1, vcc_lo
	s_cbranch_execz .LBB814_321
; %bb.320:
	flat_load_b64 v[22:23], v[0:1]
.LBB814_321:
	s_or_b32 exec_lo, exec_lo, s1
                                        ; implicit-def: $vgpr24_vgpr25
	s_and_saveexec_b32 s1, s0
	s_cbranch_execz .LBB814_323
; %bb.322:
	flat_load_b64 v[24:25], v[0:1] offset:256
.LBB814_323:
	s_or_b32 exec_lo, exec_lo, s1
	v_dual_mov_b32 v1, 0 :: v_dual_lshlrev_b32 v0, 5, v26
	s_mov_b32 s16, 0
	v_add_co_u32 v66, vcc_lo, v12, 32
	s_mov_b32 s17, s16
	s_mov_b32 s18, s16
	;; [unrolled: 1-line block ×3, first 2 shown]
	v_and_b32_e32 v15, 0x3e0, v26
	v_add_co_ci_u32_e32 v67, vcc_lo, 0, v13, vcc_lo
	v_add_co_u32 v4, vcc_lo, v12, v0
	v_add_co_ci_u32_e32 v5, vcc_lo, 0, v13, vcc_lo
	v_and_b32_e32 v14, 15, v35
	v_add_co_u32 v8, vcc_lo, v66, v0
	v_min_u32_e32 v0, 0xe0, v15
	v_add_nc_u32_e32 v16, -1, v35
	s_getpc_b64 s[0:1]
	s_add_u32 s0, s0, _ZN7rocprim17ROCPRIM_400000_NS16block_radix_sortIlLj256ELj2ElLj1ELj1ELj8ELNS0_26block_radix_rank_algorithmE2ELNS0_18block_padding_hintE2ELNS0_4arch9wavefront6targetE0EE19radix_bits_per_passE@rel32@lo+4
	s_addc_u32 s1, s1, _ZN7rocprim17ROCPRIM_400000_NS16block_radix_sortIlLj256ELj2ElLj1ELj1ELj8ELNS0_26block_radix_rank_algorithmE2ELNS0_18block_padding_hintE2ELNS0_4arch9wavefront6targetE0EE19radix_bits_per_passE@rel32@hi+12
	v_add_co_ci_u32_e32 v9, vcc_lo, 0, v67, vcc_lo
	s_load_b32 s20, s[0:1], 0x0
	v_cmp_eq_u32_e32 vcc_lo, 0, v14
	v_cmp_lt_u32_e64 s0, 1, v14
	v_and_b32_e32 v15, 16, v35
	v_cmp_lt_u32_e64 s1, 3, v14
	v_cmp_lt_u32_e64 s2, 7, v14
	v_or_b32_e32 v0, 31, v0
	v_lshrrev_b32_e32 v14, 5, v26
	v_cmp_gt_i32_e64 s4, 0, v16
	v_cmp_eq_u32_e64 s3, 0, v15
	v_cmp_eq_u32_e64 s7, 0, v35
	s_waitcnt vmcnt(0) lgkmcnt(0)
	v_xor_b32_e32 v19, 0x80000000, v19
	v_xor_b32_e32 v21, 0x80000000, v21
	v_cndmask_b32_e64 v15, v16, v35, s4
	v_cmp_eq_u32_e64 s4, v0, v26
	v_lshlrev_b32_e32 v0, 2, v14
	v_and_b32_e32 v16, 7, v35
	v_lshrrev_b32_e32 v68, 5, v29
	v_lshlrev_b32_e32 v69, 2, v15
	v_lshlrev_b32_e32 v15, 2, v26
	v_add_co_u32 v30, s9, v12, v0
	v_add_nc_u32_e32 v0, -1, v14
	v_lshlrev_b32_e32 v14, 1, v26
	v_add_co_ci_u32_e64 v31, s9, 0, v13, s9
	v_add_co_u32 v32, s9, v12, v15
	s_delay_alu instid0(VALU_DEP_3) | instskip(SKIP_3) | instid1(VALU_DEP_4)
	v_and_or_b32 v17, 0x7c0, v14, v35
	v_lshlrev_b64 v[14:15], 2, v[0:1]
	v_add_co_ci_u32_e64 v33, s9, 0, v13, s9
	v_cmp_eq_u32_e64 s9, 0, v16
	v_lshlrev_b32_e32 v0, 3, v17
	v_cmp_lt_u32_e64 s10, 1, v16
	v_add_co_u32 v34, s12, v12, v14
	s_delay_alu instid0(VALU_DEP_1) | instskip(NEXT) | instid1(VALU_DEP_4)
	v_add_co_ci_u32_e64 v35, s12, v13, v15, s12
	v_add_co_u32 v36, s12, v12, v0
	v_cmp_lt_u32_e64 s11, 3, v16
	v_mov_b32_e32 v14, s16
	v_cmp_gt_u32_e64 s5, 8, v26
	v_cmp_lt_u32_e64 s6, 31, v26
	v_cmp_eq_u32_e64 s8, 0, v26
	v_add_co_ci_u32_e64 v37, s12, 0, v13, s12
	v_sub_nc_u32_e32 v70, v11, v10
	v_dual_mov_b32 v15, s17 :: v_dual_mov_b32 v16, s18
	v_mov_b32_e32 v17, s19
	s_waitcnt_vscnt null, 0x0
	s_barrier
	buffer_gl0_inv
	s_branch .LBB814_325
.LBB814_324:                            ;   in Loop: Header=BB814_325 Depth=1
	s_or_b32 exec_lo, exec_lo, s13
	s_delay_alu instid0(SALU_CYCLE_1) | instskip(NEXT) | instid1(SALU_CYCLE_1)
	s_and_b32 s12, exec_lo, s14
	s_or_b32 s16, s12, s16
	s_delay_alu instid0(SALU_CYCLE_1)
	s_and_not1_b32 exec_lo, exec_lo, s16
	s_cbranch_execz .LBB814_343
.LBB814_325:                            ; =>This Inner Loop Header: Depth=1
	v_min_u32_e32 v0, s20, v70
	v_dual_mov_b32 v39, v19 :: v_dual_mov_b32 v38, v18
	s_clause 0x1
	flat_store_b128 v[4:5], v[14:17] offset:32
	flat_store_b128 v[8:9], v[14:17] offset:16
	s_waitcnt lgkmcnt(0)
	s_waitcnt_vscnt null, 0x0
	v_lshlrev_b32_e64 v0, v0, -1
	s_barrier
	v_lshrrev_b64 v[48:49], v10, v[38:39]
	buffer_gl0_inv
	v_not_b32_e32 v18, v0
	; wave barrier
	s_delay_alu instid0(VALU_DEP_1) | instskip(NEXT) | instid1(VALU_DEP_1)
	v_and_b32_e32 v0, v48, v18
	v_and_b32_e32 v19, 1, v0
	v_lshlrev_b32_e32 v48, 30, v0
	v_lshlrev_b32_e32 v49, 29, v0
	;; [unrolled: 1-line block ×4, first 2 shown]
	v_add_co_u32 v19, s12, v19, -1
	s_delay_alu instid0(VALU_DEP_1)
	v_cndmask_b32_e64 v51, 0, 1, s12
	v_not_b32_e32 v55, v48
	v_cmp_gt_i32_e64 s13, 0, v48
	v_not_b32_e32 v48, v49
	v_lshlrev_b32_e32 v53, 26, v0
	v_cmp_ne_u32_e64 s12, 0, v51
	v_ashrrev_i32_e32 v55, 31, v55
	s_delay_alu instid0(VALU_DEP_4) | instskip(NEXT) | instid1(VALU_DEP_3)
	v_ashrrev_i32_e32 v48, 31, v48
	v_xor_b32_e32 v19, s12, v19
	v_cmp_gt_i32_e64 s12, 0, v49
	v_not_b32_e32 v49, v50
	v_xor_b32_e32 v55, s13, v55
	v_cmp_gt_i32_e64 s13, 0, v50
	v_and_b32_e32 v19, exec_lo, v19
	v_not_b32_e32 v50, v52
	v_ashrrev_i32_e32 v49, 31, v49
	v_xor_b32_e32 v48, s12, v48
	v_cmp_gt_i32_e64 s12, 0, v52
	v_and_b32_e32 v19, v19, v55
	v_not_b32_e32 v52, v53
	v_ashrrev_i32_e32 v50, 31, v50
	v_xor_b32_e32 v49, s13, v49
	v_cmp_gt_i32_e64 s13, 0, v53
	v_and_b32_e32 v19, v19, v48
	v_ashrrev_i32_e32 v52, 31, v52
	v_xor_b32_e32 v50, s12, v50
	s_delay_alu instid0(VALU_DEP_3) | instskip(NEXT) | instid1(VALU_DEP_3)
	v_and_b32_e32 v19, v19, v49
	v_xor_b32_e32 v52, s13, v52
	s_delay_alu instid0(VALU_DEP_2) | instskip(NEXT) | instid1(VALU_DEP_1)
	v_and_b32_e32 v19, v19, v50
	v_and_b32_e32 v19, v19, v52
	v_dual_mov_b32 v53, v21 :: v_dual_lshlrev_b32 v54, 25, v0
	v_lshlrev_b32_e32 v51, 24, v0
	v_lshl_add_u32 v0, v0, 3, v68
	v_mov_b32_e32 v52, v20
	s_delay_alu instid0(VALU_DEP_4)
	v_not_b32_e32 v48, v54
	v_cmp_gt_i32_e64 s12, 0, v54
	v_not_b32_e32 v49, v51
	v_cmp_gt_i32_e64 s13, 0, v51
	v_lshlrev_b64 v[20:21], 2, v[0:1]
	v_ashrrev_i32_e32 v48, 31, v48
	s_delay_alu instid0(VALU_DEP_4) | instskip(NEXT) | instid1(VALU_DEP_2)
	v_ashrrev_i32_e32 v49, 31, v49
	v_xor_b32_e32 v48, s12, v48
	s_delay_alu instid0(VALU_DEP_4) | instskip(NEXT) | instid1(VALU_DEP_3)
	v_add_co_u32 v54, s14, v66, v20
	v_xor_b32_e32 v50, s13, v49
	v_add_co_ci_u32_e64 v55, s14, v67, v21, s14
	s_delay_alu instid0(VALU_DEP_4) | instskip(SKIP_1) | instid1(VALU_DEP_2)
	v_and_b32_e32 v19, v19, v48
	v_dual_mov_b32 v49, v25 :: v_dual_mov_b32 v48, v24
	v_and_b32_e32 v19, v19, v50
	v_dual_mov_b32 v51, v23 :: v_dual_mov_b32 v50, v22
	s_delay_alu instid0(VALU_DEP_2) | instskip(SKIP_1) | instid1(VALU_DEP_2)
	v_mbcnt_lo_u32_b32 v71, v19, 0
	v_cmp_ne_u32_e64 s12, 0, v19
	v_cmp_eq_u32_e64 s13, 0, v71
	s_delay_alu instid0(VALU_DEP_1) | instskip(NEXT) | instid1(SALU_CYCLE_1)
	s_and_b32 s13, s12, s13
	s_and_saveexec_b32 s12, s13
	s_cbranch_execz .LBB814_327
; %bb.326:                              ;   in Loop: Header=BB814_325 Depth=1
	v_bcnt_u32_b32 v0, v19, 0
	flat_store_b32 v[54:55], v0
.LBB814_327:                            ;   in Loop: Header=BB814_325 Depth=1
	s_or_b32 exec_lo, exec_lo, s12
	v_lshrrev_b64 v[19:20], v10, v[52:53]
	; wave barrier
	s_delay_alu instid0(VALU_DEP_1) | instskip(NEXT) | instid1(VALU_DEP_1)
	v_and_b32_e32 v20, v19, v18
	v_lshl_add_u32 v0, v20, 3, v68
	v_lshlrev_b32_e32 v21, 29, v20
	v_lshlrev_b32_e32 v22, 28, v20
	s_delay_alu instid0(VALU_DEP_3) | instskip(SKIP_1) | instid1(VALU_DEP_2)
	v_lshlrev_b64 v[18:19], 2, v[0:1]
	v_and_b32_e32 v0, 1, v20
	v_add_co_u32 v64, s12, v66, v18
	s_delay_alu instid0(VALU_DEP_1) | instskip(NEXT) | instid1(VALU_DEP_3)
	v_add_co_ci_u32_e64 v65, s12, v67, v19, s12
	v_add_co_u32 v0, s12, v0, -1
	s_delay_alu instid0(VALU_DEP_1) | instskip(SKIP_3) | instid1(VALU_DEP_2)
	v_cndmask_b32_e64 v18, 0, 1, s12
	flat_load_b32 v80, v[64:65]
	v_lshlrev_b32_e32 v19, 30, v20
	; wave barrier
	v_cmp_ne_u32_e64 s12, 0, v18
	v_not_b32_e32 v18, v19
	s_delay_alu instid0(VALU_DEP_2) | instskip(SKIP_1) | instid1(VALU_DEP_3)
	v_xor_b32_e32 v0, s12, v0
	v_cmp_gt_i32_e64 s12, 0, v19
	v_ashrrev_i32_e32 v18, 31, v18
	v_not_b32_e32 v19, v21
	s_delay_alu instid0(VALU_DEP_4) | instskip(NEXT) | instid1(VALU_DEP_3)
	v_and_b32_e32 v0, exec_lo, v0
	v_xor_b32_e32 v18, s12, v18
	v_cmp_gt_i32_e64 s12, 0, v21
	s_delay_alu instid0(VALU_DEP_4) | instskip(SKIP_1) | instid1(VALU_DEP_4)
	v_ashrrev_i32_e32 v19, 31, v19
	v_not_b32_e32 v21, v22
	v_and_b32_e32 v0, v0, v18
	v_lshlrev_b32_e32 v18, 27, v20
	s_delay_alu instid0(VALU_DEP_4) | instskip(SKIP_2) | instid1(VALU_DEP_4)
	v_xor_b32_e32 v19, s12, v19
	v_cmp_gt_i32_e64 s12, 0, v22
	v_ashrrev_i32_e32 v21, 31, v21
	v_not_b32_e32 v22, v18
	s_delay_alu instid0(VALU_DEP_4) | instskip(SKIP_1) | instid1(VALU_DEP_4)
	v_and_b32_e32 v0, v0, v19
	v_lshlrev_b32_e32 v19, 26, v20
	v_xor_b32_e32 v21, s12, v21
	v_cmp_gt_i32_e64 s12, 0, v18
	v_ashrrev_i32_e32 v18, 31, v22
	s_delay_alu instid0(VALU_DEP_4) | instskip(NEXT) | instid1(VALU_DEP_4)
	v_not_b32_e32 v22, v19
	v_and_b32_e32 v0, v0, v21
	v_lshlrev_b32_e32 v21, 25, v20
	s_delay_alu instid0(VALU_DEP_4) | instskip(SKIP_2) | instid1(VALU_DEP_4)
	v_xor_b32_e32 v18, s12, v18
	v_cmp_gt_i32_e64 s12, 0, v19
	v_ashrrev_i32_e32 v19, 31, v22
	v_not_b32_e32 v22, v21
	s_delay_alu instid0(VALU_DEP_4) | instskip(SKIP_1) | instid1(VALU_DEP_4)
	v_and_b32_e32 v0, v0, v18
	v_lshlrev_b32_e32 v18, 24, v20
	v_xor_b32_e32 v19, s12, v19
	v_cmp_gt_i32_e64 s12, 0, v21
	v_ashrrev_i32_e32 v20, 31, v22
	s_delay_alu instid0(VALU_DEP_4) | instskip(NEXT) | instid1(VALU_DEP_4)
	v_not_b32_e32 v21, v18
	v_and_b32_e32 v0, v0, v19
	s_delay_alu instid0(VALU_DEP_3) | instskip(SKIP_1) | instid1(VALU_DEP_4)
	v_xor_b32_e32 v19, s12, v20
	v_cmp_gt_i32_e64 s12, 0, v18
	v_ashrrev_i32_e32 v18, 31, v21
	s_delay_alu instid0(VALU_DEP_3) | instskip(NEXT) | instid1(VALU_DEP_2)
	v_and_b32_e32 v0, v0, v19
	v_xor_b32_e32 v18, s12, v18
	s_delay_alu instid0(VALU_DEP_1) | instskip(NEXT) | instid1(VALU_DEP_1)
	v_and_b32_e32 v0, v0, v18
	v_mbcnt_lo_u32_b32 v81, v0, 0
	v_cmp_ne_u32_e64 s13, 0, v0
	s_delay_alu instid0(VALU_DEP_2) | instskip(NEXT) | instid1(VALU_DEP_1)
	v_cmp_eq_u32_e64 s12, 0, v81
	s_and_b32 s13, s13, s12
	s_delay_alu instid0(SALU_CYCLE_1)
	s_and_saveexec_b32 s12, s13
	s_cbranch_execz .LBB814_329
; %bb.328:                              ;   in Loop: Header=BB814_325 Depth=1
	s_waitcnt vmcnt(0) lgkmcnt(0)
	v_bcnt_u32_b32 v0, v0, v80
	flat_store_b32 v[64:65], v0
.LBB814_329:                            ;   in Loop: Header=BB814_325 Depth=1
	s_or_b32 exec_lo, exec_lo, s12
	; wave barrier
	s_waitcnt vmcnt(0) lgkmcnt(0)
	s_waitcnt_vscnt null, 0x0
	s_barrier
	buffer_gl0_inv
	s_clause 0x1
	flat_load_b128 v[22:25], v[4:5] offset:32
	flat_load_b128 v[18:21], v[8:9] offset:16
	s_waitcnt vmcnt(1) lgkmcnt(1)
	v_add_nc_u32_e32 v0, v23, v22
	s_delay_alu instid0(VALU_DEP_1) | instskip(SKIP_1) | instid1(VALU_DEP_1)
	v_add3_u32 v0, v0, v24, v25
	s_waitcnt vmcnt(0) lgkmcnt(0)
	v_add3_u32 v0, v0, v18, v19
	s_delay_alu instid0(VALU_DEP_1) | instskip(NEXT) | instid1(VALU_DEP_1)
	v_add3_u32 v0, v0, v20, v21
	v_mov_b32_dpp v21, v0 row_shr:1 row_mask:0xf bank_mask:0xf
	s_delay_alu instid0(VALU_DEP_1) | instskip(NEXT) | instid1(VALU_DEP_1)
	v_cndmask_b32_e64 v21, v21, 0, vcc_lo
	v_add_nc_u32_e32 v0, v21, v0
	s_delay_alu instid0(VALU_DEP_1) | instskip(NEXT) | instid1(VALU_DEP_1)
	v_mov_b32_dpp v21, v0 row_shr:2 row_mask:0xf bank_mask:0xf
	v_cndmask_b32_e64 v21, 0, v21, s0
	s_delay_alu instid0(VALU_DEP_1) | instskip(NEXT) | instid1(VALU_DEP_1)
	v_add_nc_u32_e32 v0, v0, v21
	v_mov_b32_dpp v21, v0 row_shr:4 row_mask:0xf bank_mask:0xf
	s_delay_alu instid0(VALU_DEP_1) | instskip(NEXT) | instid1(VALU_DEP_1)
	v_cndmask_b32_e64 v21, 0, v21, s1
	v_add_nc_u32_e32 v0, v0, v21
	s_delay_alu instid0(VALU_DEP_1) | instskip(NEXT) | instid1(VALU_DEP_1)
	v_mov_b32_dpp v21, v0 row_shr:8 row_mask:0xf bank_mask:0xf
	v_cndmask_b32_e64 v21, 0, v21, s2
	s_delay_alu instid0(VALU_DEP_1) | instskip(SKIP_3) | instid1(VALU_DEP_1)
	v_add_nc_u32_e32 v0, v0, v21
	ds_swizzle_b32 v21, v0 offset:swizzle(BROADCAST,32,15)
	s_waitcnt lgkmcnt(0)
	v_cndmask_b32_e64 v21, v21, 0, s3
	v_add_nc_u32_e32 v0, v0, v21
	s_and_saveexec_b32 s12, s4
	s_cbranch_execz .LBB814_331
; %bb.330:                              ;   in Loop: Header=BB814_325 Depth=1
	flat_store_b32 v[30:31], v0
.LBB814_331:                            ;   in Loop: Header=BB814_325 Depth=1
	s_or_b32 exec_lo, exec_lo, s12
	s_waitcnt lgkmcnt(0)
	s_waitcnt_vscnt null, 0x0
	s_barrier
	buffer_gl0_inv
	s_and_saveexec_b32 s12, s5
	s_cbranch_execz .LBB814_333
; %bb.332:                              ;   in Loop: Header=BB814_325 Depth=1
	flat_load_b32 v21, v[32:33]
	s_waitcnt vmcnt(0) lgkmcnt(0)
	v_mov_b32_dpp v82, v21 row_shr:1 row_mask:0xf bank_mask:0xf
	s_delay_alu instid0(VALU_DEP_1) | instskip(NEXT) | instid1(VALU_DEP_1)
	v_cndmask_b32_e64 v82, v82, 0, s9
	v_add_nc_u32_e32 v21, v82, v21
	s_delay_alu instid0(VALU_DEP_1) | instskip(NEXT) | instid1(VALU_DEP_1)
	v_mov_b32_dpp v82, v21 row_shr:2 row_mask:0xf bank_mask:0xf
	v_cndmask_b32_e64 v82, 0, v82, s10
	s_delay_alu instid0(VALU_DEP_1) | instskip(NEXT) | instid1(VALU_DEP_1)
	v_add_nc_u32_e32 v21, v21, v82
	v_mov_b32_dpp v82, v21 row_shr:4 row_mask:0xf bank_mask:0xf
	s_delay_alu instid0(VALU_DEP_1) | instskip(NEXT) | instid1(VALU_DEP_1)
	v_cndmask_b32_e64 v82, 0, v82, s11
	v_add_nc_u32_e32 v21, v21, v82
	flat_store_b32 v[32:33], v21
.LBB814_333:                            ;   in Loop: Header=BB814_325 Depth=1
	s_or_b32 exec_lo, exec_lo, s12
	v_mov_b32_e32 v21, 0
	s_waitcnt lgkmcnt(0)
	s_waitcnt_vscnt null, 0x0
	s_barrier
	buffer_gl0_inv
	s_and_saveexec_b32 s12, s6
	s_cbranch_execz .LBB814_335
; %bb.334:                              ;   in Loop: Header=BB814_325 Depth=1
	flat_load_b32 v21, v[34:35]
.LBB814_335:                            ;   in Loop: Header=BB814_325 Depth=1
	s_or_b32 exec_lo, exec_lo, s12
	s_waitcnt vmcnt(0) lgkmcnt(0)
	v_add_nc_u32_e32 v0, v21, v0
	v_add_nc_u32_e32 v10, 8, v10
	s_mov_b32 s14, -1
	ds_bpermute_b32 v0, v69, v0
	s_waitcnt lgkmcnt(0)
	v_cndmask_b32_e64 v0, v0, v21, s7
	s_delay_alu instid0(VALU_DEP_1) | instskip(NEXT) | instid1(VALU_DEP_1)
	v_cndmask_b32_e64 v21, v0, 0, s8
	v_add_nc_u32_e32 v22, v21, v22
	s_delay_alu instid0(VALU_DEP_1) | instskip(NEXT) | instid1(VALU_DEP_1)
	v_add_nc_u32_e32 v23, v22, v23
	v_add_nc_u32_e32 v24, v23, v24
	s_delay_alu instid0(VALU_DEP_1) | instskip(NEXT) | instid1(VALU_DEP_1)
	v_add_nc_u32_e32 v82, v24, v25
	v_add_nc_u32_e32 v83, v82, v18
	s_delay_alu instid0(VALU_DEP_1) | instskip(NEXT) | instid1(VALU_DEP_1)
	v_dual_mov_b32 v19, v1 :: v_dual_add_nc_u32 v84, v83, v19
	v_add_nc_u32_e32 v85, v84, v20
	s_clause 0x1
	flat_store_b128 v[4:5], v[21:24] offset:32
	flat_store_b128 v[8:9], v[82:85] offset:16
	s_waitcnt lgkmcnt(0)
	s_waitcnt_vscnt null, 0x0
	s_barrier
	buffer_gl0_inv
	s_clause 0x1
	flat_load_b32 v0, v[54:55]
	flat_load_b32 v18, v[64:65]
	s_waitcnt vmcnt(0) lgkmcnt(0)
	s_waitcnt_vscnt null, 0x0
                                        ; implicit-def: $vgpr24_vgpr25
                                        ; implicit-def: $vgpr22_vgpr23
	s_waitcnt vmcnt(1) lgkmcnt(1)
	v_add_nc_u32_e32 v0, v0, v71
	s_waitcnt vmcnt(0) lgkmcnt(0)
	v_add3_u32 v18, v81, v80, v18
	s_delay_alu instid0(VALU_DEP_2) | instskip(NEXT) | instid1(VALU_DEP_2)
	v_lshlrev_b64 v[20:21], 3, v[0:1]
	v_lshlrev_b64 v[18:19], 3, v[18:19]
	s_delay_alu instid0(VALU_DEP_2) | instskip(NEXT) | instid1(VALU_DEP_1)
	v_add_co_u32 v54, s13, v12, v20
	v_add_co_ci_u32_e64 v55, s13, v13, v21, s13
	s_delay_alu instid0(VALU_DEP_3) | instskip(NEXT) | instid1(VALU_DEP_1)
	v_add_co_u32 v64, s13, v12, v18
	v_add_co_ci_u32_e64 v65, s13, v13, v19, s13
	s_mov_b32 s13, exec_lo
                                        ; implicit-def: $vgpr20_vgpr21
	v_cmpx_lt_u32_e64 v10, v11
	s_cbranch_execz .LBB814_324
; %bb.336:                              ;   in Loop: Header=BB814_325 Depth=1
	s_barrier
	buffer_gl0_inv
	s_clause 0x1
	flat_store_b64 v[54:55], v[38:39]
	flat_store_b64 v[64:65], v[52:53]
	s_waitcnt lgkmcnt(0)
	s_waitcnt_vscnt null, 0x0
	s_barrier
	buffer_gl0_inv
	s_clause 0x1
	flat_load_b64 v[18:19], v[36:37]
	flat_load_b64 v[20:21], v[36:37] offset:256
	s_waitcnt vmcnt(0) lgkmcnt(0)
	s_barrier
	buffer_gl0_inv
	s_clause 0x1
	flat_store_b64 v[54:55], v[50:51]
	flat_store_b64 v[64:65], v[48:49]
	s_waitcnt lgkmcnt(0)
	s_waitcnt_vscnt null, 0x0
	s_barrier
	buffer_gl0_inv
	s_clause 0x1
	flat_load_b64 v[22:23], v[36:37]
	flat_load_b64 v[24:25], v[36:37] offset:256
	v_add_nc_u32_e32 v70, -8, v70
	s_xor_b32 s14, exec_lo, -1
	s_waitcnt vmcnt(0) lgkmcnt(0)
	s_barrier
	buffer_gl0_inv
	s_branch .LBB814_324
.LBB814_337:
	flat_load_b64 v[80:81], v[0:1]
	s_or_b32 exec_lo, exec_lo, s3
                                        ; implicit-def: $vgpr82_vgpr83
	s_and_saveexec_b32 s3, s0
	s_cbranch_execz .LBB814_264
.LBB814_338:
	flat_load_b64 v[82:83], v[0:1] offset:256
	s_or_b32 exec_lo, exec_lo, s3
                                        ; implicit-def: $vgpr84_vgpr85
	s_and_saveexec_b32 s0, s1
	s_cbranch_execz .LBB814_265
.LBB814_339:
	flat_load_b64 v[84:85], v[0:1] offset:512
	s_or_b32 exec_lo, exec_lo, s0
                                        ; implicit-def: $vgpr86_vgpr87
	s_and_saveexec_b32 s0, s2
	s_cbranch_execnz .LBB814_266
	s_branch .LBB814_267
.LBB814_340:
	flat_store_b64 v[2:3], v[10:11]
	s_or_b32 exec_lo, exec_lo, s3
	s_and_saveexec_b32 s3, s0
	s_cbranch_execz .LBB814_309
.LBB814_341:
	flat_store_b64 v[2:3], v[8:9] offset:2048
	s_or_b32 exec_lo, exec_lo, s3
	s_and_saveexec_b32 s0, s1
	s_cbranch_execz .LBB814_310
.LBB814_342:
	v_add_co_u32 v6, vcc_lo, 0x1000, v2
	v_add_co_ci_u32_e32 v7, vcc_lo, 0, v3, vcc_lo
	flat_store_b64 v[6:7], v[4:5]
	s_or_b32 exec_lo, exec_lo, s0
	s_and_saveexec_b32 s0, s2
	s_cbranch_execnz .LBB814_311
	s_branch .LBB814_312
.LBB814_343:
	s_or_b32 exec_lo, exec_lo, s16
	v_lshlrev_b32_e32 v0, 3, v26
	s_barrier
	buffer_gl0_inv
	s_clause 0x1
	flat_store_b64 v[54:55], v[38:39]
	flat_store_b64 v[64:65], v[52:53]
	v_add_co_u32 v0, vcc_lo, v12, v0
	v_add_co_ci_u32_e32 v1, vcc_lo, 0, v13, vcc_lo
	s_waitcnt lgkmcnt(0)
	s_waitcnt_vscnt null, 0x0
	s_barrier
	buffer_gl0_inv
	s_clause 0x1
	flat_load_b64 v[12:13], v[0:1]
	flat_load_b64 v[8:9], v[0:1] offset:2048
	s_waitcnt vmcnt(0) lgkmcnt(0)
	s_barrier
	buffer_gl0_inv
	s_clause 0x1
	flat_store_b64 v[54:55], v[50:51]
	flat_store_b64 v[64:65], v[48:49]
	s_waitcnt lgkmcnt(0)
	s_waitcnt_vscnt null, 0x0
	s_barrier
	buffer_gl0_inv
	s_clause 0x1
	flat_load_b64 v[4:5], v[0:1]
	flat_load_b64 v[0:1], v[0:1] offset:2048
	v_mov_b32_e32 v30, 0
	v_add_co_u32 v2, vcc_lo, v2, v27
	v_add_co_ci_u32_e32 v3, vcc_lo, v3, v28, vcc_lo
	s_delay_alu instid0(VALU_DEP_3)
	v_lshlrev_b64 v[10:11], 3, v[29:30]
	s_waitcnt vmcnt(0) lgkmcnt(0)
	s_barrier
	buffer_gl0_inv
	v_add_co_u32 v2, vcc_lo, v2, v10
	v_add_co_ci_u32_e32 v3, vcc_lo, v3, v11, vcc_lo
	v_cmp_lt_u32_e32 vcc_lo, v29, v47
	s_and_saveexec_b32 s0, vcc_lo
	s_cbranch_execz .LBB814_345
; %bb.344:
	v_xor_b32_e32 v13, 0x80000000, v13
	flat_store_b64 v[2:3], v[12:13]
.LBB814_345:
	s_or_b32 exec_lo, exec_lo, s0
	v_add_nc_u32_e32 v12, 0x100, v29
	s_delay_alu instid0(VALU_DEP_1) | instskip(NEXT) | instid1(VALU_DEP_1)
	v_cmp_lt_u32_e64 s0, v12, v47
	s_and_saveexec_b32 s1, s0
	s_cbranch_execz .LBB814_347
; %bb.346:
	v_xor_b32_e32 v9, 0x80000000, v9
	flat_store_b64 v[2:3], v[8:9] offset:2048
.LBB814_347:
	s_or_b32 exec_lo, exec_lo, s1
	v_add_co_u32 v2, s1, v6, v27
	s_delay_alu instid0(VALU_DEP_1) | instskip(NEXT) | instid1(VALU_DEP_2)
	v_add_co_ci_u32_e64 v3, s1, v7, v28, s1
	v_add_co_u32 v2, s1, v2, v10
	s_delay_alu instid0(VALU_DEP_1)
	v_add_co_ci_u32_e64 v3, s1, v3, v11, s1
	s_and_saveexec_b32 s1, vcc_lo
	s_cbranch_execz .LBB814_349
; %bb.348:
	flat_store_b64 v[2:3], v[4:5]
.LBB814_349:
	s_or_b32 exec_lo, exec_lo, s1
	s_and_saveexec_b32 s1, s0
	s_cbranch_execz .LBB814_351
; %bb.350:
	flat_store_b64 v[2:3], v[0:1] offset:2048
.LBB814_351:
	s_or_b32 exec_lo, exec_lo, s1
                                        ; implicit-def: $vgpr29_vgpr30
                                        ; implicit-def: $vgpr27_vgpr28
                                        ; implicit-def: $vgpr47
                                        ; implicit-def: $vgpr0
                                        ; implicit-def: $vgpr1
                                        ; implicit-def: $vgpr2
                                        ; implicit-def: $vgpr3
                                        ; implicit-def: $vgpr4
                                        ; implicit-def: $vgpr5
                                        ; implicit-def: $vgpr6
                                        ; implicit-def: $vgpr7
                                        ; implicit-def: $vgpr10
                                        ; implicit-def: $vgpr11
                                        ; implicit-def: $vgpr12
                                        ; implicit-def: $vgpr13
                                        ; implicit-def: $vgpr26
                                        ; implicit-def: $vgpr35
.LBB814_352:
	s_and_not1_saveexec_b32 s0, s15
	s_cbranch_execz .LBB814_372
; %bb.353:
	s_delay_alu instid0(VALU_DEP_3) | instskip(SKIP_2) | instid1(VALU_DEP_3)
	v_and_b32_e32 v8, 0xffffffe0, v29
	v_mov_b32_e32 v20, -1
	v_dual_mov_b32 v21, -1 :: v_dual_lshlrev_b32 v14, 3, v35
	v_or_b32_e32 v9, v35, v8
	s_delay_alu instid0(VALU_DEP_1)
	v_cmp_lt_u32_e32 vcc_lo, v9, v47
	s_and_saveexec_b32 s1, vcc_lo
	s_cbranch_execz .LBB814_355
; %bb.354:
	v_mov_b32_e32 v9, 0
	v_add_co_u32 v15, s0, v0, v27
	s_delay_alu instid0(VALU_DEP_1) | instskip(NEXT) | instid1(VALU_DEP_3)
	v_add_co_ci_u32_e64 v16, s0, v1, v28, s0
	v_lshlrev_b64 v[0:1], 3, v[8:9]
	s_delay_alu instid0(VALU_DEP_3) | instskip(NEXT) | instid1(VALU_DEP_1)
	v_add_co_u32 v9, s0, v15, v14
	v_add_co_ci_u32_e64 v15, s0, 0, v16, s0
	s_delay_alu instid0(VALU_DEP_2) | instskip(NEXT) | instid1(VALU_DEP_1)
	v_add_co_u32 v0, s0, v9, v0
	v_add_co_ci_u32_e64 v1, s0, v15, v1, s0
	flat_load_b64 v[20:21], v[0:1]
	s_waitcnt vmcnt(0) lgkmcnt(0)
	v_xor_b32_e32 v21, 0x80000000, v21
.LBB814_355:
	s_or_b32 exec_lo, exec_lo, s1
                                        ; implicit-def: $vgpr18_vgpr19
	s_and_saveexec_b32 s0, vcc_lo
	s_cbranch_execz .LBB814_357
; %bb.356:
	v_mov_b32_e32 v9, 0
	v_add_co_u32 v4, vcc_lo, v4, v27
	v_add_co_ci_u32_e32 v5, vcc_lo, v5, v28, vcc_lo
	s_delay_alu instid0(VALU_DEP_3) | instskip(NEXT) | instid1(VALU_DEP_3)
	v_lshlrev_b64 v[0:1], 3, v[8:9]
	v_add_co_u32 v4, vcc_lo, v4, v14
	s_delay_alu instid0(VALU_DEP_3) | instskip(NEXT) | instid1(VALU_DEP_2)
	v_add_co_ci_u32_e32 v5, vcc_lo, 0, v5, vcc_lo
	v_add_co_u32 v0, vcc_lo, v4, v0
	s_delay_alu instid0(VALU_DEP_2)
	v_add_co_ci_u32_e32 v1, vcc_lo, v5, v1, vcc_lo
	flat_load_b64 v[18:19], v[0:1]
.LBB814_357:
	s_or_b32 exec_lo, exec_lo, s0
	v_dual_mov_b32 v1, 0 :: v_dual_lshlrev_b32 v0, 5, v26
	s_mov_b32 s16, 0
	v_add_co_u32 v52, vcc_lo, v12, 32
	s_mov_b32 s17, s16
	s_mov_b32 s18, s16
	;; [unrolled: 1-line block ×3, first 2 shown]
	v_and_b32_e32 v15, 0x3e0, v26
	v_add_co_ci_u32_e32 v53, vcc_lo, 0, v13, vcc_lo
	v_add_co_u32 v4, vcc_lo, v12, v0
	v_add_co_ci_u32_e32 v5, vcc_lo, 0, v13, vcc_lo
	v_add_co_u32 v8, vcc_lo, v52, v0
	v_min_u32_e32 v0, 0xe0, v15
	v_and_b32_e32 v16, 16, v35
	v_add_nc_u32_e32 v17, -1, v35
	v_and_b32_e32 v14, 15, v35
	s_getpc_b64 s[0:1]
	s_add_u32 s0, s0, _ZN7rocprim17ROCPRIM_400000_NS16block_radix_sortIlLj256ELj1ElLj1ELj1ELj8ELNS0_26block_radix_rank_algorithmE2ELNS0_18block_padding_hintE2ELNS0_4arch9wavefront6targetE0EE19radix_bits_per_passE@rel32@lo+4
	s_addc_u32 s1, s1, _ZN7rocprim17ROCPRIM_400000_NS16block_radix_sortIlLj256ELj1ElLj1ELj1ELj8ELNS0_26block_radix_rank_algorithmE2ELNS0_18block_padding_hintE2ELNS0_4arch9wavefront6targetE0EE19radix_bits_per_passE@rel32@hi+12
	v_or_b32_e32 v0, 31, v0
	v_cmp_eq_u32_e64 s3, 0, v16
	v_cmp_gt_i32_e64 s4, 0, v17
	v_lshrrev_b32_e32 v16, 5, v26
	v_add_co_ci_u32_e32 v9, vcc_lo, 0, v53, vcc_lo
	s_load_b32 s15, s[0:1], 0x0
	v_cmp_eq_u32_e32 vcc_lo, 0, v14
	v_cmp_lt_u32_e64 s0, 1, v14
	v_cmp_lt_u32_e64 s1, 3, v14
	;; [unrolled: 1-line block ×3, first 2 shown]
	v_cndmask_b32_e64 v14, v17, v35, s4
	v_cmp_eq_u32_e64 s4, v0, v26
	v_lshlrev_b32_e32 v0, 2, v16
	v_and_b32_e32 v17, 7, v35
	v_cmp_eq_u32_e64 s7, 0, v35
	v_lshlrev_b32_e32 v55, 2, v14
	v_lshlrev_b32_e32 v14, 2, v26
	v_add_co_u32 v30, s9, v12, v0
	v_add_nc_u32_e32 v0, -1, v16
	v_add_co_ci_u32_e64 v31, s9, 0, v13, s9
	v_or_b32_e32 v16, v35, v15
	v_add_co_u32 v32, s9, v12, v14
	s_delay_alu instid0(VALU_DEP_4) | instskip(SKIP_1) | instid1(VALU_DEP_4)
	v_lshlrev_b64 v[14:15], 2, v[0:1]
	v_add_co_ci_u32_e64 v33, s9, 0, v13, s9
	v_lshlrev_b32_e32 v0, 3, v16
	v_cmp_eq_u32_e64 s9, 0, v17
	v_cmp_lt_u32_e64 s10, 1, v17
	v_add_co_u32 v34, s12, v12, v14
	s_delay_alu instid0(VALU_DEP_1)
	v_add_co_ci_u32_e64 v35, s12, v13, v15, s12
	v_add_co_u32 v36, s12, v12, v0
	v_cmp_lt_u32_e64 s11, 3, v17
	v_mov_b32_e32 v14, s16
	v_lshrrev_b32_e32 v54, 5, v29
	v_cmp_gt_u32_e64 s5, 8, v26
	v_cmp_lt_u32_e64 s6, 31, v26
	v_cmp_eq_u32_e64 s8, 0, v26
	v_add_co_ci_u32_e64 v37, s12, 0, v13, s12
	v_sub_nc_u32_e32 v64, v11, v10
	v_dual_mov_b32 v15, s17 :: v_dual_mov_b32 v16, s18
	v_mov_b32_e32 v17, s19
	s_waitcnt vmcnt(0) lgkmcnt(0)
	s_waitcnt_vscnt null, 0x0
	s_barrier
	buffer_gl0_inv
	s_branch .LBB814_359
.LBB814_358:                            ;   in Loop: Header=BB814_359 Depth=1
	s_or_b32 exec_lo, exec_lo, s13
	s_delay_alu instid0(SALU_CYCLE_1) | instskip(NEXT) | instid1(SALU_CYCLE_1)
	s_and_b32 s12, exec_lo, s14
	s_or_b32 s16, s12, s16
	s_delay_alu instid0(SALU_CYCLE_1)
	s_and_not1_b32 exec_lo, exec_lo, s16
	s_cbranch_execz .LBB814_369
.LBB814_359:                            ; =>This Inner Loop Header: Depth=1
	v_dual_mov_b32 v39, v21 :: v_dual_mov_b32 v38, v20
	v_min_u32_e32 v0, s15, v64
	s_clause 0x1
	flat_store_b128 v[4:5], v[14:17] offset:32
	flat_store_b128 v[8:9], v[14:17] offset:16
	s_waitcnt lgkmcnt(0)
	s_waitcnt_vscnt null, 0x0
	s_barrier
	v_lshrrev_b64 v[20:21], v10, v[38:39]
	buffer_gl0_inv
	; wave barrier
	v_bfe_u32 v0, v20, 0, v0
	s_delay_alu instid0(VALU_DEP_1)
	v_and_b32_e32 v20, 1, v0
	v_lshlrev_b32_e32 v21, 30, v0
	v_lshlrev_b32_e32 v22, 29, v0
	;; [unrolled: 1-line block ×4, first 2 shown]
	v_add_co_u32 v20, s12, v20, -1
	s_delay_alu instid0(VALU_DEP_1)
	v_cndmask_b32_e64 v24, 0, 1, s12
	v_not_b32_e32 v50, v21
	v_cmp_gt_i32_e64 s13, 0, v21
	v_not_b32_e32 v21, v22
	v_lshlrev_b32_e32 v48, 26, v0
	v_cmp_ne_u32_e64 s12, 0, v24
	v_ashrrev_i32_e32 v50, 31, v50
	v_lshlrev_b32_e32 v49, 25, v0
	v_ashrrev_i32_e32 v21, 31, v21
	v_lshlrev_b32_e32 v24, 24, v0
	v_xor_b32_e32 v20, s12, v20
	v_cmp_gt_i32_e64 s12, 0, v22
	v_not_b32_e32 v22, v23
	v_xor_b32_e32 v50, s13, v50
	v_cmp_gt_i32_e64 s13, 0, v23
	v_and_b32_e32 v20, exec_lo, v20
	v_not_b32_e32 v23, v25
	v_ashrrev_i32_e32 v22, 31, v22
	v_xor_b32_e32 v21, s12, v21
	v_cmp_gt_i32_e64 s12, 0, v25
	v_and_b32_e32 v20, v20, v50
	v_not_b32_e32 v25, v48
	v_ashrrev_i32_e32 v23, 31, v23
	v_xor_b32_e32 v22, s13, v22
	v_cmp_gt_i32_e64 s13, 0, v48
	v_and_b32_e32 v20, v20, v21
	;; [unrolled: 5-line block ×4, first 2 shown]
	v_ashrrev_i32_e32 v22, 31, v22
	v_xor_b32_e32 v21, s12, v21
	v_lshl_add_u32 v0, v0, 3, v54
	v_dual_mov_b32 v49, v19 :: v_dual_mov_b32 v48, v18
	v_and_b32_e32 v20, v20, v25
	v_xor_b32_e32 v22, s13, v22
	s_delay_alu instid0(VALU_DEP_4) | instskip(NEXT) | instid1(VALU_DEP_3)
	v_lshlrev_b64 v[18:19], 2, v[0:1]
	v_and_b32_e32 v20, v20, v21
	s_delay_alu instid0(VALU_DEP_2) | instskip(NEXT) | instid1(VALU_DEP_2)
	v_add_co_u32 v50, s14, v52, v18
	v_and_b32_e32 v20, v20, v22
	s_delay_alu instid0(VALU_DEP_4) | instskip(NEXT) | instid1(VALU_DEP_2)
	v_add_co_ci_u32_e64 v51, s14, v53, v19, s14
	v_mbcnt_lo_u32_b32 v65, v20, 0
	v_cmp_ne_u32_e64 s12, 0, v20
	s_delay_alu instid0(VALU_DEP_2) | instskip(NEXT) | instid1(VALU_DEP_1)
	v_cmp_eq_u32_e64 s13, 0, v65
	s_and_b32 s13, s12, s13
	s_delay_alu instid0(SALU_CYCLE_1)
	s_and_saveexec_b32 s12, s13
	s_cbranch_execz .LBB814_361
; %bb.360:                              ;   in Loop: Header=BB814_359 Depth=1
	v_bcnt_u32_b32 v0, v20, 0
	flat_store_b32 v[50:51], v0
.LBB814_361:                            ;   in Loop: Header=BB814_359 Depth=1
	s_or_b32 exec_lo, exec_lo, s12
	; wave barrier
	s_waitcnt lgkmcnt(0)
	s_waitcnt_vscnt null, 0x0
	s_barrier
	buffer_gl0_inv
	s_clause 0x1
	flat_load_b128 v[22:25], v[4:5] offset:32
	flat_load_b128 v[18:21], v[8:9] offset:16
	s_waitcnt vmcnt(1) lgkmcnt(1)
	v_add_nc_u32_e32 v0, v23, v22
	s_delay_alu instid0(VALU_DEP_1) | instskip(SKIP_1) | instid1(VALU_DEP_1)
	v_add3_u32 v0, v0, v24, v25
	s_waitcnt vmcnt(0) lgkmcnt(0)
	v_add3_u32 v0, v0, v18, v19
	s_delay_alu instid0(VALU_DEP_1) | instskip(NEXT) | instid1(VALU_DEP_1)
	v_add3_u32 v0, v0, v20, v21
	v_mov_b32_dpp v21, v0 row_shr:1 row_mask:0xf bank_mask:0xf
	s_delay_alu instid0(VALU_DEP_1) | instskip(NEXT) | instid1(VALU_DEP_1)
	v_cndmask_b32_e64 v21, v21, 0, vcc_lo
	v_add_nc_u32_e32 v0, v21, v0
	s_delay_alu instid0(VALU_DEP_1) | instskip(NEXT) | instid1(VALU_DEP_1)
	v_mov_b32_dpp v21, v0 row_shr:2 row_mask:0xf bank_mask:0xf
	v_cndmask_b32_e64 v21, 0, v21, s0
	s_delay_alu instid0(VALU_DEP_1) | instskip(NEXT) | instid1(VALU_DEP_1)
	v_add_nc_u32_e32 v0, v0, v21
	v_mov_b32_dpp v21, v0 row_shr:4 row_mask:0xf bank_mask:0xf
	s_delay_alu instid0(VALU_DEP_1) | instskip(NEXT) | instid1(VALU_DEP_1)
	v_cndmask_b32_e64 v21, 0, v21, s1
	v_add_nc_u32_e32 v0, v0, v21
	s_delay_alu instid0(VALU_DEP_1) | instskip(NEXT) | instid1(VALU_DEP_1)
	v_mov_b32_dpp v21, v0 row_shr:8 row_mask:0xf bank_mask:0xf
	v_cndmask_b32_e64 v21, 0, v21, s2
	s_delay_alu instid0(VALU_DEP_1) | instskip(SKIP_3) | instid1(VALU_DEP_1)
	v_add_nc_u32_e32 v0, v0, v21
	ds_swizzle_b32 v21, v0 offset:swizzle(BROADCAST,32,15)
	s_waitcnt lgkmcnt(0)
	v_cndmask_b32_e64 v21, v21, 0, s3
	v_add_nc_u32_e32 v0, v0, v21
	s_and_saveexec_b32 s12, s4
	s_cbranch_execz .LBB814_363
; %bb.362:                              ;   in Loop: Header=BB814_359 Depth=1
	flat_store_b32 v[30:31], v0
.LBB814_363:                            ;   in Loop: Header=BB814_359 Depth=1
	s_or_b32 exec_lo, exec_lo, s12
	s_waitcnt lgkmcnt(0)
	s_waitcnt_vscnt null, 0x0
	s_barrier
	buffer_gl0_inv
	s_and_saveexec_b32 s12, s5
	s_cbranch_execz .LBB814_365
; %bb.364:                              ;   in Loop: Header=BB814_359 Depth=1
	flat_load_b32 v21, v[32:33]
	s_waitcnt vmcnt(0) lgkmcnt(0)
	v_mov_b32_dpp v66, v21 row_shr:1 row_mask:0xf bank_mask:0xf
	s_delay_alu instid0(VALU_DEP_1) | instskip(NEXT) | instid1(VALU_DEP_1)
	v_cndmask_b32_e64 v66, v66, 0, s9
	v_add_nc_u32_e32 v21, v66, v21
	s_delay_alu instid0(VALU_DEP_1) | instskip(NEXT) | instid1(VALU_DEP_1)
	v_mov_b32_dpp v66, v21 row_shr:2 row_mask:0xf bank_mask:0xf
	v_cndmask_b32_e64 v66, 0, v66, s10
	s_delay_alu instid0(VALU_DEP_1) | instskip(NEXT) | instid1(VALU_DEP_1)
	v_add_nc_u32_e32 v21, v21, v66
	v_mov_b32_dpp v66, v21 row_shr:4 row_mask:0xf bank_mask:0xf
	s_delay_alu instid0(VALU_DEP_1) | instskip(NEXT) | instid1(VALU_DEP_1)
	v_cndmask_b32_e64 v66, 0, v66, s11
	v_add_nc_u32_e32 v21, v21, v66
	flat_store_b32 v[32:33], v21
.LBB814_365:                            ;   in Loop: Header=BB814_359 Depth=1
	s_or_b32 exec_lo, exec_lo, s12
	v_mov_b32_e32 v21, 0
	s_waitcnt lgkmcnt(0)
	s_waitcnt_vscnt null, 0x0
	s_barrier
	buffer_gl0_inv
	s_and_saveexec_b32 s12, s6
	s_cbranch_execz .LBB814_367
; %bb.366:                              ;   in Loop: Header=BB814_359 Depth=1
	flat_load_b32 v21, v[34:35]
.LBB814_367:                            ;   in Loop: Header=BB814_359 Depth=1
	s_or_b32 exec_lo, exec_lo, s12
	s_waitcnt vmcnt(0) lgkmcnt(0)
	v_add_nc_u32_e32 v0, v21, v0
	v_add_nc_u32_e32 v10, 8, v10
	s_mov_b32 s14, -1
	ds_bpermute_b32 v0, v55, v0
	s_waitcnt lgkmcnt(0)
	v_cndmask_b32_e64 v0, v0, v21, s7
	s_delay_alu instid0(VALU_DEP_1) | instskip(NEXT) | instid1(VALU_DEP_1)
	v_cndmask_b32_e64 v21, v0, 0, s8
	v_add_nc_u32_e32 v22, v21, v22
	s_delay_alu instid0(VALU_DEP_1) | instskip(NEXT) | instid1(VALU_DEP_1)
	v_add_nc_u32_e32 v23, v22, v23
	v_add_nc_u32_e32 v24, v23, v24
	s_delay_alu instid0(VALU_DEP_1) | instskip(NEXT) | instid1(VALU_DEP_1)
	v_add_nc_u32_e32 v66, v24, v25
	;; [unrolled: 3-line block ×3, first 2 shown]
	v_add_nc_u32_e32 v69, v68, v20
	s_clause 0x1
	flat_store_b128 v[4:5], v[21:24] offset:32
	flat_store_b128 v[8:9], v[66:69] offset:16
	s_waitcnt lgkmcnt(0)
	s_waitcnt_vscnt null, 0x0
	s_barrier
	buffer_gl0_inv
	flat_load_b32 v0, v[50:51]
	s_waitcnt vmcnt(0) lgkmcnt(0)
	s_waitcnt_vscnt null, 0x0
                                        ; implicit-def: $vgpr20_vgpr21
	s_waitcnt vmcnt(0) lgkmcnt(0)
	v_add_nc_u32_e32 v0, v0, v65
	s_delay_alu instid0(VALU_DEP_1) | instskip(NEXT) | instid1(VALU_DEP_1)
	v_lshlrev_b64 v[18:19], 3, v[0:1]
	v_add_co_u32 v22, s13, v12, v18
	s_delay_alu instid0(VALU_DEP_1)
	v_add_co_ci_u32_e64 v23, s13, v13, v19, s13
	s_mov_b32 s13, exec_lo
                                        ; implicit-def: $vgpr18_vgpr19
	v_cmpx_lt_u32_e64 v10, v11
	s_cbranch_execz .LBB814_358
; %bb.368:                              ;   in Loop: Header=BB814_359 Depth=1
	s_barrier
	buffer_gl0_inv
	flat_store_b64 v[22:23], v[38:39]
	s_waitcnt lgkmcnt(0)
	s_waitcnt_vscnt null, 0x0
	s_barrier
	buffer_gl0_inv
	flat_load_b64 v[20:21], v[36:37]
	s_waitcnt vmcnt(0) lgkmcnt(0)
	s_barrier
	buffer_gl0_inv
	flat_store_b64 v[22:23], v[48:49]
	s_waitcnt lgkmcnt(0)
	s_waitcnt_vscnt null, 0x0
	s_barrier
	buffer_gl0_inv
	flat_load_b64 v[18:19], v[36:37]
	v_add_nc_u32_e32 v64, -8, v64
	s_xor_b32 s14, exec_lo, -1
	s_waitcnt vmcnt(0) lgkmcnt(0)
	s_barrier
	buffer_gl0_inv
	s_branch .LBB814_358
.LBB814_369:
	s_or_b32 exec_lo, exec_lo, s16
	v_lshlrev_b32_e32 v0, 3, v26
	s_barrier
	buffer_gl0_inv
	flat_store_b64 v[22:23], v[38:39]
	s_waitcnt lgkmcnt(0)
	s_waitcnt_vscnt null, 0x0
	v_add_co_u32 v4, vcc_lo, v12, v0
	v_add_co_ci_u32_e32 v5, vcc_lo, 0, v13, vcc_lo
	s_barrier
	buffer_gl0_inv
	v_mov_b32_e32 v30, 0
	flat_load_b64 v[0:1], v[4:5]
	s_waitcnt vmcnt(0) lgkmcnt(0)
	s_barrier
	buffer_gl0_inv
	flat_store_b64 v[22:23], v[48:49]
	s_waitcnt lgkmcnt(0)
	s_waitcnt_vscnt null, 0x0
	s_barrier
	buffer_gl0_inv
	flat_load_b64 v[4:5], v[4:5]
	s_mov_b32 s0, exec_lo
	s_waitcnt vmcnt(0) lgkmcnt(0)
	s_barrier
	buffer_gl0_inv
	v_cmpx_lt_u32_e64 v29, v47
	s_cbranch_execz .LBB814_371
; %bb.370:
	v_lshlrev_b64 v[8:9], 3, v[29:30]
	v_add_co_u32 v2, vcc_lo, v2, v27
	v_add_co_ci_u32_e32 v3, vcc_lo, v3, v28, vcc_lo
	v_xor_b32_e32 v1, 0x80000000, v1
	s_delay_alu instid0(VALU_DEP_3) | instskip(NEXT) | instid1(VALU_DEP_3)
	v_add_co_u32 v2, vcc_lo, v2, v8
	v_add_co_ci_u32_e32 v3, vcc_lo, v3, v9, vcc_lo
	v_add_co_u32 v6, vcc_lo, v6, v27
	v_add_co_ci_u32_e32 v7, vcc_lo, v7, v28, vcc_lo
	s_delay_alu instid0(VALU_DEP_2) | instskip(NEXT) | instid1(VALU_DEP_2)
	v_add_co_u32 v6, vcc_lo, v6, v8
	v_add_co_ci_u32_e32 v7, vcc_lo, v7, v9, vcc_lo
	flat_store_b64 v[2:3], v[0:1]
	flat_store_b64 v[6:7], v[4:5]
.LBB814_371:
	s_or_b32 exec_lo, exec_lo, s0
.LBB814_372:
	s_delay_alu instid0(SALU_CYCLE_1)
	s_or_b32 exec_lo, exec_lo, s24
	s_clause 0x1f
	scratch_load_b32 v127, off, s32
	scratch_load_b32 v126, off, s32 offset:4
	scratch_load_b32 v125, off, s32 offset:8
	;; [unrolled: 1-line block ×31, first 2 shown]
	s_clause 0xf
	scratch_load_b32 v63, off, s32 offset:128
	scratch_load_b32 v62, off, s32 offset:132
	;; [unrolled: 1-line block ×16, first 2 shown]
	v_readlane_b32 s43, v136, 7
	v_readlane_b32 s42, v136, 6
	;; [unrolled: 1-line block ×8, first 2 shown]
	s_or_saveexec_b32 s0, -1
	scratch_load_b32 v136, off, s32 offset:192 ; 4-byte Folded Reload
	s_mov_b32 exec_lo, s0
	s_waitcnt vmcnt(0) lgkmcnt(0)
	s_setpc_b64 s[30:31]
.Lfunc_end814:
	.size	_ZN7rocprim17ROCPRIM_400000_NS6detail40segmented_radix_sort_single_block_helperIllLj256ELj16ELb0EE4sortIPKlPlS6_S7_EEbT_T0_T1_T2_jjjjRNS3_12storage_typeE, .Lfunc_end814-_ZN7rocprim17ROCPRIM_400000_NS6detail40segmented_radix_sort_single_block_helperIllLj256ELj16ELb0EE4sortIPKlPlS6_S7_EEbT_T0_T1_T2_jjjjRNS3_12storage_typeE
                                        ; -- End function
	.section	.AMDGPU.csdata,"",@progbits
; Function info:
; codeLenInByte = 31840
; NumSgprs: 46
; NumVgprs: 248
; ScratchSize: 200
; MemoryBound: 1
	.section	.text._ZN7rocprim17ROCPRIM_400000_NS6detail17trampoline_kernelINS0_14default_configENS1_36segmented_radix_sort_config_selectorIllEEZNS1_25segmented_radix_sort_implIS3_Lb0EPKlPlS8_S9_N2at6native12_GLOBAL__N_18offset_tEEE10hipError_tPvRmT1_PNSt15iterator_traitsISH_E10value_typeET2_T3_PNSI_ISN_E10value_typeET4_jRbjT5_ST_jjP12ihipStream_tbEUlT_E_NS1_11comp_targetILNS1_3genE9ELNS1_11target_archE1100ELNS1_3gpuE3ELNS1_3repE0EEENS1_30default_config_static_selectorELNS0_4arch9wavefront6targetE0EEEvSH_,"axG",@progbits,_ZN7rocprim17ROCPRIM_400000_NS6detail17trampoline_kernelINS0_14default_configENS1_36segmented_radix_sort_config_selectorIllEEZNS1_25segmented_radix_sort_implIS3_Lb0EPKlPlS8_S9_N2at6native12_GLOBAL__N_18offset_tEEE10hipError_tPvRmT1_PNSt15iterator_traitsISH_E10value_typeET2_T3_PNSI_ISN_E10value_typeET4_jRbjT5_ST_jjP12ihipStream_tbEUlT_E_NS1_11comp_targetILNS1_3genE9ELNS1_11target_archE1100ELNS1_3gpuE3ELNS1_3repE0EEENS1_30default_config_static_selectorELNS0_4arch9wavefront6targetE0EEEvSH_,comdat
	.globl	_ZN7rocprim17ROCPRIM_400000_NS6detail17trampoline_kernelINS0_14default_configENS1_36segmented_radix_sort_config_selectorIllEEZNS1_25segmented_radix_sort_implIS3_Lb0EPKlPlS8_S9_N2at6native12_GLOBAL__N_18offset_tEEE10hipError_tPvRmT1_PNSt15iterator_traitsISH_E10value_typeET2_T3_PNSI_ISN_E10value_typeET4_jRbjT5_ST_jjP12ihipStream_tbEUlT_E_NS1_11comp_targetILNS1_3genE9ELNS1_11target_archE1100ELNS1_3gpuE3ELNS1_3repE0EEENS1_30default_config_static_selectorELNS0_4arch9wavefront6targetE0EEEvSH_ ; -- Begin function _ZN7rocprim17ROCPRIM_400000_NS6detail17trampoline_kernelINS0_14default_configENS1_36segmented_radix_sort_config_selectorIllEEZNS1_25segmented_radix_sort_implIS3_Lb0EPKlPlS8_S9_N2at6native12_GLOBAL__N_18offset_tEEE10hipError_tPvRmT1_PNSt15iterator_traitsISH_E10value_typeET2_T3_PNSI_ISN_E10value_typeET4_jRbjT5_ST_jjP12ihipStream_tbEUlT_E_NS1_11comp_targetILNS1_3genE9ELNS1_11target_archE1100ELNS1_3gpuE3ELNS1_3repE0EEENS1_30default_config_static_selectorELNS0_4arch9wavefront6targetE0EEEvSH_
	.p2align	8
	.type	_ZN7rocprim17ROCPRIM_400000_NS6detail17trampoline_kernelINS0_14default_configENS1_36segmented_radix_sort_config_selectorIllEEZNS1_25segmented_radix_sort_implIS3_Lb0EPKlPlS8_S9_N2at6native12_GLOBAL__N_18offset_tEEE10hipError_tPvRmT1_PNSt15iterator_traitsISH_E10value_typeET2_T3_PNSI_ISN_E10value_typeET4_jRbjT5_ST_jjP12ihipStream_tbEUlT_E_NS1_11comp_targetILNS1_3genE9ELNS1_11target_archE1100ELNS1_3gpuE3ELNS1_3repE0EEENS1_30default_config_static_selectorELNS0_4arch9wavefront6targetE0EEEvSH_,@function
_ZN7rocprim17ROCPRIM_400000_NS6detail17trampoline_kernelINS0_14default_configENS1_36segmented_radix_sort_config_selectorIllEEZNS1_25segmented_radix_sort_implIS3_Lb0EPKlPlS8_S9_N2at6native12_GLOBAL__N_18offset_tEEE10hipError_tPvRmT1_PNSt15iterator_traitsISH_E10value_typeET2_T3_PNSI_ISN_E10value_typeET4_jRbjT5_ST_jjP12ihipStream_tbEUlT_E_NS1_11comp_targetILNS1_3genE9ELNS1_11target_archE1100ELNS1_3gpuE3ELNS1_3repE0EEENS1_30default_config_static_selectorELNS0_4arch9wavefront6targetE0EEEvSH_: ; @_ZN7rocprim17ROCPRIM_400000_NS6detail17trampoline_kernelINS0_14default_configENS1_36segmented_radix_sort_config_selectorIllEEZNS1_25segmented_radix_sort_implIS3_Lb0EPKlPlS8_S9_N2at6native12_GLOBAL__N_18offset_tEEE10hipError_tPvRmT1_PNSt15iterator_traitsISH_E10value_typeET2_T3_PNSI_ISN_E10value_typeET4_jRbjT5_ST_jjP12ihipStream_tbEUlT_E_NS1_11comp_targetILNS1_3genE9ELNS1_11target_archE1100ELNS1_3gpuE3ELNS1_3repE0EEENS1_30default_config_static_selectorELNS0_4arch9wavefront6targetE0EEEvSH_
; %bb.0:
	s_clause 0x1
	s_load_b64 s[2:3], s[0:1], 0x38
	s_load_b128 s[4:7], s[0:1], 0x40
	s_mov_b32 s28, s14
	s_mov_b32 s29, 0
	;; [unrolled: 1-line block ×3, first 2 shown]
	s_lshl_b64 s[8:9], s[28:29], 2
	s_waitcnt lgkmcnt(0)
	s_add_u32 s2, s2, s8
	s_addc_u32 s3, s3, s9
	s_load_b32 s2, s[2:3], 0x0
	s_waitcnt lgkmcnt(0)
	s_add_i32 s60, s2, s5
	s_add_i32 s61, s2, s7
	s_mul_i32 s60, s60, s4
	s_mul_i32 s61, s61, s6
	s_delay_alu instid0(SALU_CYCLE_1)
	s_cmp_le_u32 s61, s60
	s_cbranch_scc1 .LBB815_1190
; %bb.1:
	s_clause 0x3
	s_load_b32 s2, s[0:1], 0x30
	s_load_b128 s[52:55], s[0:1], 0x20
	s_load_b128 s[56:59], s[0:1], 0x50
	s_load_b256 s[44:51], s[0:1], 0x0
	s_waitcnt lgkmcnt(0)
	s_bitcmp1_b32 s2, 0
	s_mov_b32 s2, -1
	s_cselect_b32 s59, -1, 0
	s_sub_i32 s62, s61, s60
	s_delay_alu instid0(SALU_CYCLE_1)
	s_cmpk_lt_u32 s62, 0x1001
	s_cbranch_scc0 .LBB815_7
; %bb.2:
	v_cndmask_b32_e64 v1, 0, 1, s59
	s_and_b32 s2, s56, 1
	s_delay_alu instid0(VALU_DEP_1) | instid1(SALU_CYCLE_1)
	v_cmp_ne_u32_e32 vcc_lo, s2, v1
	s_mov_b32 s2, -1
	s_cbranch_vccnz .LBB815_4
; %bb.3:
	s_mov_b64 s[2:3], src_shared_base
	v_mov_b32_e32 v31, v0
	v_dual_mov_b32 v40, v0 :: v_dual_mov_b32 v1, s45
	v_mov_b32_e32 v0, s44
	v_dual_mov_b32 v2, s48 :: v_dual_mov_b32 v3, s49
	v_dual_mov_b32 v4, s50 :: v_dual_mov_b32 v5, s51
	;; [unrolled: 1-line block ×6, first 2 shown]
	s_add_u32 s8, s0, 0x60
	s_addc_u32 s9, s1, 0
	s_mov_b32 s12, s28
	s_mov_b32 s13, s15
	s_getpc_b64 s[4:5]
	s_add_u32 s4, s4, _ZN7rocprim17ROCPRIM_400000_NS6detail40segmented_radix_sort_single_block_helperIllLj256ELj16ELb0EE4sortIPKlPlS6_S7_EEbT_T0_T1_T2_jjjjRNS3_12storage_typeE@rel32@lo+4
	s_addc_u32 s5, s5, _ZN7rocprim17ROCPRIM_400000_NS6detail40segmented_radix_sort_single_block_helperIllLj256ELj16ELb0EE4sortIPKlPlS6_S7_EEbT_T0_T1_T2_jjjjRNS3_12storage_typeE@rel32@hi+12
	s_mov_b64 s[34:35], s[0:1]
	s_mov_b32 s27, s15
	s_swappc_b64 s[30:31], s[4:5]
	v_mov_b32_e32 v0, v40
	s_mov_b32 s15, s27
	s_mov_b64 s[0:1], s[34:35]
	s_mov_b32 s2, 0
.LBB815_4:
	s_delay_alu instid0(SALU_CYCLE_1)
	s_and_not1_b32 vcc_lo, exec_lo, s2
	s_cbranch_vccnz .LBB815_6
; %bb.5:
	s_mov_b64 s[2:3], src_shared_base
	v_mov_b32_e32 v31, v0
	v_dual_mov_b32 v40, v0 :: v_dual_mov_b32 v1, s45
	v_mov_b32_e32 v0, s44
	v_dual_mov_b32 v2, s46 :: v_dual_mov_b32 v3, s47
	v_dual_mov_b32 v4, s50 :: v_dual_mov_b32 v5, s51
	;; [unrolled: 1-line block ×6, first 2 shown]
	s_add_u32 s8, s0, 0x60
	s_addc_u32 s9, s1, 0
	s_mov_b32 s12, s28
	s_mov_b32 s13, s15
	s_getpc_b64 s[4:5]
	s_add_u32 s4, s4, _ZN7rocprim17ROCPRIM_400000_NS6detail40segmented_radix_sort_single_block_helperIllLj256ELj16ELb0EE4sortIPKlPlS6_S7_EEbT_T0_T1_T2_jjjjRNS3_12storage_typeE@rel32@lo+4
	s_addc_u32 s5, s5, _ZN7rocprim17ROCPRIM_400000_NS6detail40segmented_radix_sort_single_block_helperIllLj256ELj16ELb0EE4sortIPKlPlS6_S7_EEbT_T0_T1_T2_jjjjRNS3_12storage_typeE@rel32@hi+12
	s_mov_b64 s[34:35], s[0:1]
	s_mov_b32 s27, s15
	s_swappc_b64 s[30:31], s[4:5]
	v_mov_b32_e32 v0, v40
	s_mov_b32 s15, s27
	s_mov_b64 s[0:1], s[34:35]
.LBB815_6:
	s_mov_b32 s2, 0
.LBB815_7:
	s_delay_alu instid0(SALU_CYCLE_1)
	s_and_not1_b32 vcc_lo, exec_lo, s2
	s_cbranch_vccnz .LBB815_1190
; %bb.8:
	s_cmp_ge_u32 s57, s58
	s_cbranch_scc1 .LBB815_1190
; %bb.9:
	v_and_b32_e32 v1, 0x3ff, v0
	v_mov_b32_e32 v3, 0
	v_bfe_u32 v101, v0, 20, 10
	s_add_u32 s36, s0, 0x60
	v_bfe_u32 v0, v0, 10, 10
	v_lshlrev_b32_e32 v76, 2, v1
	v_lshrrev_b32_e32 v4, 3, v1
	v_lshlrev_b32_e32 v6, 5, v1
	v_dual_mov_b32 v123, 1 :: v_dual_lshlrev_b32 v2, 3, v1
	s_delay_alu instid0(VALU_DEP_4) | instskip(NEXT) | instid1(VALU_DEP_4)
	v_mad_u32_u24 v96, v1, 12, v76
	v_and_b32_e32 v94, 28, v4
	v_lshlrev_b32_e32 v4, 4, v1
	v_or_b32_e32 v5, 31, v1
	v_or_b32_e32 v78, 0x200, v1
	v_mad_u32_u24 v102, v1, 20, v96
	v_or_b32_e32 v79, 0x300, v1
	v_and_b32_e32 v100, 0xe00, v4
	v_cmp_eq_u32_e64 s3, v5, v1
	v_mul_u32_u24_e32 v4, 9, v1
	v_sub_nc_u32_e32 v104, v102, v6
	v_add_nc_u32_e32 v5, 1, v1
	v_lshlrev_b32_e32 v6, 3, v100
	v_or_b32_e32 v83, 0x400, v1
	v_or_b32_e32 v84, 0x500, v1
	;; [unrolled: 1-line block ×4, first 2 shown]
	v_add_co_u32 v106, s7, s54, v6
	s_delay_alu instid0(VALU_DEP_1) | instskip(SKIP_1) | instid1(VALU_DEP_1)
	v_add_co_ci_u32_e64 v107, null, s55, 0, s7
	v_add_co_u32 v108, s7, s48, v6
	v_add_co_ci_u32_e64 v109, null, s49, 0, s7
	v_add_co_u32 v111, s7, s46, v2
	s_delay_alu instid0(VALU_DEP_1) | instskip(SKIP_1) | instid1(VALU_DEP_1)
	v_add_co_ci_u32_e64 v112, null, s47, 0, s7
	v_add_co_u32 v113, s7, s52, v6
	v_add_co_ci_u32_e64 v114, null, s53, 0, s7
	v_add_co_u32 v115, s7, s46, v6
	s_delay_alu instid0(VALU_DEP_1)
	v_add_co_ci_u32_e64 v116, null, s47, 0, s7
	v_add_co_u32 v117, s7, s44, v2
	v_or_b32_e32 v87, 0x800, v1
	v_or_b32_e32 v88, 0x900, v1
	;; [unrolled: 1-line block ×5, first 2 shown]
	v_lshl_add_u32 v103, v4, 2, 0x420
	v_mul_u32_u24_e32 v4, 9, v5
	v_add_co_ci_u32_e64 v118, null, s45, 0, s7
	v_add_co_u32 v119, s7, s50, v6
	v_add_co_u32 v81, s2, s48, v2
	v_add_co_ci_u32_e64 v120, null, s51, 0, s7
	v_add_co_u32 v121, s7, s44, v6
	v_or_b32_e32 v77, 0x100, v1
	v_and_b32_e32 v80, 3, v1
	v_add_co_ci_u32_e64 v82, null, s49, 0, s2
	v_or_b32_e32 v92, 0xd00, v1
	v_or_b32_e32 v93, 0xe00, v1
	;; [unrolled: 1-line block ×3, first 2 shown]
	v_cmp_gt_u32_e64 s2, 0x100, v1
	v_or_b32_e32 v97, 0x8400, v94
	v_cmp_gt_u32_e64 s4, 8, v1
	v_add_nc_u32_e32 v98, 0x8400, v76
	v_cmp_lt_u32_e64 s5, 31, v1
	v_add_nc_u32_e32 v99, 0x83fc, v94
	v_cmp_eq_u32_e64 s0, 0, v1
	v_cmp_ne_u32_e64 s6, 0x100, v5
	v_lshlrev_b32_e32 v105, 2, v4
	v_add_nc_u32_e32 v110, 0x400, v2
	v_add_co_ci_u32_e64 v122, null, s45, 0, s7
	v_lshlrev_b32_e32 v124, 3, v1
	v_lshlrev_b32_e32 v125, 3, v78
	;; [unrolled: 1-line block ×12, first 2 shown]
	v_mbcnt_lo_u32_b32 v136, -1, 0
	s_mov_b32 s38, -1
	s_mov_b32 s35, 0
	s_brev_b32 s39, -2
	s_addc_u32 s37, s1, 0
	s_mov_b32 s40, s57
	s_mov_b32 s41, s57
	s_branch .LBB815_12
.LBB815_10:                             ;   in Loop: Header=BB815_12 Depth=1
	s_waitcnt lgkmcnt(0)
	s_barrier
.LBB815_11:                             ;   in Loop: Header=BB815_12 Depth=1
	s_add_i32 s41, s41, 8
	buffer_gl0_inv
	s_cmp_ge_u32 s41, s58
	s_cbranch_scc1 .LBB815_1190
.LBB815_12:                             ; =>This Loop Header: Depth=1
                                        ;     Child Loop BB815_16 Depth 2
                                        ;     Child Loop BB815_98 Depth 2
	;; [unrolled: 1-line block ×8, first 2 shown]
	s_sub_i32 s1, s58, s41
	s_xor_b32 s59, s59, -1
	s_min_u32 s42, s1, 8
	s_cmp_lg_u32 s41, s57
	s_mov_b32 s1, s38
	ds_store_2addr_stride64_b32 v76, v3, v3 offset1:4
	ds_store_2addr_stride64_b32 v76, v3, v3 offset0:8 offset1:12
	s_waitcnt lgkmcnt(0)
	s_waitcnt_vscnt null, 0x0
	s_cbranch_scc0 .LBB815_602
; %bb.13:                               ;   in Loop: Header=BB815_12 Depth=1
	s_lshl_b32 s1, -1, s42
	s_and_b32 vcc_lo, exec_lo, s59
	s_not_b32 s43, s1
	s_mov_b32 s1, -1
	s_cbranch_vccz .LBB815_307
; %bb.14:                               ;   in Loop: Header=BB815_12 Depth=1
	s_mov_b32 s1, s62
	s_mov_b32 s34, s60
	s_barrier
	buffer_gl0_inv
                                        ; implicit-def: $vgpr34_vgpr35
                                        ; implicit-def: $vgpr4_vgpr5
                                        ; implicit-def: $vgpr6_vgpr7
                                        ; implicit-def: $vgpr8_vgpr9
                                        ; implicit-def: $vgpr10_vgpr11
                                        ; implicit-def: $vgpr12_vgpr13
                                        ; implicit-def: $vgpr14_vgpr15
                                        ; implicit-def: $vgpr16_vgpr17
                                        ; implicit-def: $vgpr18_vgpr19
                                        ; implicit-def: $vgpr20_vgpr21
                                        ; implicit-def: $vgpr22_vgpr23
                                        ; implicit-def: $vgpr24_vgpr25
                                        ; implicit-def: $vgpr26_vgpr27
                                        ; implicit-def: $vgpr28_vgpr29
                                        ; implicit-def: $vgpr30_vgpr31
                                        ; implicit-def: $vgpr32_vgpr33
	s_branch .LBB815_16
.LBB815_15:                             ;   in Loop: Header=BB815_16 Depth=2
	s_or_b32 exec_lo, exec_lo, s8
	s_addk_i32 s1, 0xf000
	s_cmp_ge_u32 s7, s61
	s_mov_b32 s34, s7
	s_cbranch_scc1 .LBB815_86
.LBB815_16:                             ;   Parent Loop BB815_12 Depth=1
                                        ; =>  This Inner Loop Header: Depth=2
	s_add_i32 s7, s34, 0x1000
	s_delay_alu instid0(SALU_CYCLE_1)
	s_cmp_gt_u32 s7, s61
	s_cbranch_scc1 .LBB815_19
; %bb.17:                               ;   in Loop: Header=BB815_16 Depth=2
	s_mov_b32 s9, 0
	s_mov_b32 s8, s34
	s_delay_alu instid0(SALU_CYCLE_1) | instskip(NEXT) | instid1(SALU_CYCLE_1)
	s_lshl_b64 s[10:11], s[8:9], 3
	v_add_co_u32 v36, vcc_lo, v81, s10
	v_add_co_ci_u32_e32 v37, vcc_lo, s11, v82, vcc_lo
	s_movk_i32 s11, 0x1000
	s_waitcnt vmcnt(12)
	s_delay_alu instid0(VALU_DEP_2) | instskip(NEXT) | instid1(VALU_DEP_2)
	v_add_co_u32 v42, vcc_lo, 0x1000, v36
	v_add_co_ci_u32_e32 v43, vcc_lo, 0, v37, vcc_lo
	s_waitcnt vmcnt(11)
	v_add_co_u32 v44, vcc_lo, 0x2000, v36
	v_add_co_ci_u32_e32 v45, vcc_lo, 0, v37, vcc_lo
	s_waitcnt vmcnt(1)
	v_add_co_u32 v50, vcc_lo, v36, 0x2000
	v_add_co_ci_u32_e32 v51, vcc_lo, 0, v37, vcc_lo
	v_add_co_u32 v52, vcc_lo, v36, 0x4000
	v_add_co_ci_u32_e32 v53, vcc_lo, 0, v37, vcc_lo
	;; [unrolled: 2-line block ×7, first 2 shown]
	s_waitcnt vmcnt(0)
	v_add_co_u32 v66, vcc_lo, 0x7000, v36
	v_add_co_ci_u32_e32 v67, vcc_lo, 0, v37, vcc_lo
	s_clause 0xe
	global_load_b64 v[38:39], v[36:37], off
	global_load_b64 v[40:41], v[36:37], off offset:2048
	global_load_b64 v[42:43], v[42:43], off offset:2048
	global_load_b64 v[44:45], v[44:45], off offset:2048
	global_load_b64 v[46:47], v[50:51], off
	global_load_b64 v[48:49], v[52:53], off offset:-4096
	global_load_b64 v[52:53], v[52:53], off
	global_load_b64 v[56:57], v[60:61], off offset:-4096
	global_load_b64 v[60:61], v[60:61], off
	global_load_b64 v[54:55], v[54:55], off offset:2048
	global_load_b64 v[58:59], v[58:59], off offset:2048
	;; [unrolled: 1-line block ×4, first 2 shown]
	global_load_b64 v[50:51], v[50:51], off offset:-4096
	global_load_b64 v[66:67], v[66:67], off
	v_add_co_u32 v36, vcc_lo, 0x7800, v36
	v_add_co_ci_u32_e32 v37, vcc_lo, 0, v37, vcc_lo
	s_mov_b32 s10, -1
	s_cbranch_execz .LBB815_20
; %bb.18:                               ;   in Loop: Header=BB815_16 Depth=2
                                        ; implicit-def: $vgpr32_vgpr33
                                        ; implicit-def: $vgpr30_vgpr31
                                        ; implicit-def: $vgpr28_vgpr29
                                        ; implicit-def: $vgpr26_vgpr27
                                        ; implicit-def: $vgpr24_vgpr25
                                        ; implicit-def: $vgpr22_vgpr23
                                        ; implicit-def: $vgpr20_vgpr21
                                        ; implicit-def: $vgpr18_vgpr19
                                        ; implicit-def: $vgpr16_vgpr17
                                        ; implicit-def: $vgpr14_vgpr15
                                        ; implicit-def: $vgpr12_vgpr13
                                        ; implicit-def: $vgpr10_vgpr11
                                        ; implicit-def: $vgpr8_vgpr9
                                        ; implicit-def: $vgpr6_vgpr7
                                        ; implicit-def: $vgpr4_vgpr5
                                        ; implicit-def: $vgpr34_vgpr35
	v_mov_b32_e32 v2, s1
	s_and_saveexec_b32 s8, s10
	s_cbranch_execnz .LBB815_39
	s_branch .LBB815_40
.LBB815_19:                             ;   in Loop: Header=BB815_16 Depth=2
	s_mov_b32 s10, 0
                                        ; implicit-def: $sgpr11
                                        ; implicit-def: $vgpr38_vgpr39
                                        ; implicit-def: $vgpr40_vgpr41
                                        ; implicit-def: $vgpr50_vgpr51
                                        ; implicit-def: $vgpr42_vgpr43
                                        ; implicit-def: $vgpr46_vgpr47
                                        ; implicit-def: $vgpr44_vgpr45
                                        ; implicit-def: $vgpr48_vgpr49
                                        ; implicit-def: $vgpr54_vgpr55
                                        ; implicit-def: $vgpr52_vgpr53
                                        ; implicit-def: $vgpr58_vgpr59
                                        ; implicit-def: $vgpr56_vgpr57
                                        ; implicit-def: $vgpr62_vgpr63
                                        ; implicit-def: $vgpr60_vgpr61
                                        ; implicit-def: $vgpr64_vgpr65
                                        ; implicit-def: $vgpr66_vgpr67
                                        ; implicit-def: $vgpr36_vgpr37
.LBB815_20:                             ;   in Loop: Header=BB815_16 Depth=2
	s_lshl_b64 s[8:9], s[34:35], 3
	s_mov_b32 s11, exec_lo
	s_add_u32 s8, s48, s8
	s_addc_u32 s9, s49, s9
	v_cmpx_gt_u32_e64 s1, v1
	s_cbranch_execz .LBB815_72
; %bb.21:                               ;   in Loop: Header=BB815_16 Depth=2
	global_load_b64 v[32:33], v124, s[8:9]
	s_or_b32 exec_lo, exec_lo, s11
	s_delay_alu instid0(SALU_CYCLE_1)
	s_mov_b32 s11, exec_lo
	v_cmpx_gt_u32_e64 s1, v77
	s_cbranch_execnz .LBB815_73
.LBB815_22:                             ;   in Loop: Header=BB815_16 Depth=2
	s_or_b32 exec_lo, exec_lo, s11
	s_delay_alu instid0(SALU_CYCLE_1)
	s_mov_b32 s11, exec_lo
	v_cmpx_gt_u32_e64 s1, v78
	s_cbranch_execz .LBB815_74
.LBB815_23:                             ;   in Loop: Header=BB815_16 Depth=2
	global_load_b64 v[28:29], v125, s[8:9]
	s_or_b32 exec_lo, exec_lo, s11
	s_delay_alu instid0(SALU_CYCLE_1)
	s_mov_b32 s11, exec_lo
	v_cmpx_gt_u32_e64 s1, v79
	s_cbranch_execnz .LBB815_75
.LBB815_24:                             ;   in Loop: Header=BB815_16 Depth=2
	s_or_b32 exec_lo, exec_lo, s11
	s_delay_alu instid0(SALU_CYCLE_1)
	s_mov_b32 s11, exec_lo
	v_cmpx_gt_u32_e64 s1, v83
	s_cbranch_execz .LBB815_76
.LBB815_25:                             ;   in Loop: Header=BB815_16 Depth=2
	global_load_b64 v[24:25], v127, s[8:9]
	s_or_b32 exec_lo, exec_lo, s11
	s_delay_alu instid0(SALU_CYCLE_1)
	s_mov_b32 s11, exec_lo
	v_cmpx_gt_u32_e64 s1, v84
	s_cbranch_execnz .LBB815_77
.LBB815_26:                             ;   in Loop: Header=BB815_16 Depth=2
	s_or_b32 exec_lo, exec_lo, s11
	s_delay_alu instid0(SALU_CYCLE_1)
	s_mov_b32 s11, exec_lo
	v_cmpx_gt_u32_e64 s1, v85
	s_cbranch_execz .LBB815_78
.LBB815_27:                             ;   in Loop: Header=BB815_16 Depth=2
	global_load_b64 v[20:21], v129, s[8:9]
	s_or_b32 exec_lo, exec_lo, s11
	s_delay_alu instid0(SALU_CYCLE_1)
	s_mov_b32 s11, exec_lo
	v_cmpx_gt_u32_e64 s1, v86
	s_cbranch_execnz .LBB815_79
.LBB815_28:                             ;   in Loop: Header=BB815_16 Depth=2
	s_or_b32 exec_lo, exec_lo, s11
	s_delay_alu instid0(SALU_CYCLE_1)
	s_mov_b32 s11, exec_lo
	v_cmpx_gt_u32_e64 s1, v87
	s_cbranch_execz .LBB815_80
.LBB815_29:                             ;   in Loop: Header=BB815_16 Depth=2
	global_load_b64 v[16:17], v131, s[8:9]
	s_or_b32 exec_lo, exec_lo, s11
	s_delay_alu instid0(SALU_CYCLE_1)
	s_mov_b32 s11, exec_lo
	v_cmpx_gt_u32_e64 s1, v88
	s_cbranch_execnz .LBB815_81
.LBB815_30:                             ;   in Loop: Header=BB815_16 Depth=2
	s_or_b32 exec_lo, exec_lo, s11
	s_delay_alu instid0(SALU_CYCLE_1)
	s_mov_b32 s11, exec_lo
	v_cmpx_gt_u32_e64 s1, v89
	s_cbranch_execz .LBB815_82
.LBB815_31:                             ;   in Loop: Header=BB815_16 Depth=2
	global_load_b64 v[12:13], v133, s[8:9]
	s_or_b32 exec_lo, exec_lo, s11
	s_delay_alu instid0(SALU_CYCLE_1)
	s_mov_b32 s11, exec_lo
	v_cmpx_gt_u32_e64 s1, v90
	s_cbranch_execnz .LBB815_83
.LBB815_32:                             ;   in Loop: Header=BB815_16 Depth=2
	s_or_b32 exec_lo, exec_lo, s11
	s_delay_alu instid0(SALU_CYCLE_1)
	s_mov_b32 s11, exec_lo
	v_cmpx_gt_u32_e64 s1, v91
	s_cbranch_execz .LBB815_84
.LBB815_33:                             ;   in Loop: Header=BB815_16 Depth=2
	global_load_b64 v[8:9], v135, s[8:9]
	s_or_b32 exec_lo, exec_lo, s11
	s_delay_alu instid0(SALU_CYCLE_1)
	s_mov_b32 s11, exec_lo
	v_cmpx_gt_u32_e64 s1, v92
	s_cbranch_execnz .LBB815_85
.LBB815_34:                             ;   in Loop: Header=BB815_16 Depth=2
	s_or_b32 exec_lo, exec_lo, s11
	s_delay_alu instid0(SALU_CYCLE_1)
	s_mov_b32 s11, exec_lo
	v_cmpx_gt_u32_e64 s1, v93
	s_cbranch_execz .LBB815_36
.LBB815_35:                             ;   in Loop: Header=BB815_16 Depth=2
	v_lshlrev_b32_e32 v2, 3, v93
	global_load_b64 v[4:5], v2, s[8:9]
.LBB815_36:                             ;   in Loop: Header=BB815_16 Depth=2
	s_or_b32 exec_lo, exec_lo, s11
	s_delay_alu instid0(SALU_CYCLE_1)
	s_mov_b32 s12, exec_lo
                                        ; implicit-def: $sgpr11
                                        ; implicit-def: $vgpr36_vgpr37
	v_cmpx_gt_u32_e64 s1, v95
; %bb.37:                               ;   in Loop: Header=BB815_16 Depth=2
	v_lshlrev_b32_e32 v2, 3, v95
	s_sub_i32 s11, s61, s34
	s_or_b32 s10, s10, exec_lo
                                        ; implicit-def: $vgpr34_vgpr35
	s_delay_alu instid0(VALU_DEP_1) | instskip(NEXT) | instid1(VALU_DEP_1)
	v_add_co_u32 v36, s8, s8, v2
	v_add_co_ci_u32_e64 v37, null, s9, 0, s8
; %bb.38:                               ;   in Loop: Header=BB815_16 Depth=2
	s_or_b32 exec_lo, exec_lo, s12
	s_waitcnt vmcnt(0)
	v_dual_mov_b32 v39, v33 :: v_dual_mov_b32 v38, v32
	v_dual_mov_b32 v41, v31 :: v_dual_mov_b32 v40, v30
	;; [unrolled: 1-line block ×15, first 2 shown]
	v_mov_b32_e32 v2, s1
	s_and_saveexec_b32 s8, s10
	s_cbranch_execz .LBB815_40
.LBB815_39:                             ;   in Loop: Header=BB815_16 Depth=2
	global_load_b64 v[34:35], v[36:37], off
	s_waitcnt vmcnt(1)
	v_mov_b32_e32 v4, v66
	v_mov_b32_e32 v6, v64
	;; [unrolled: 1-line block ×14, first 2 shown]
	v_dual_mov_b32 v32, v38 :: v_dual_mov_b32 v33, v39
	v_dual_mov_b32 v2, s11 :: v_dual_mov_b32 v5, v67
	v_mov_b32_e32 v7, v65
	v_mov_b32_e32 v9, v61
	;; [unrolled: 1-line block ×13, first 2 shown]
.LBB815_40:                             ;   in Loop: Header=BB815_16 Depth=2
	s_or_b32 exec_lo, exec_lo, s8
	s_delay_alu instid0(SALU_CYCLE_1)
	s_mov_b32 s8, exec_lo
	v_cmpx_lt_u32_e64 v1, v2
	s_cbranch_execz .LBB815_56
; %bb.41:                               ;   in Loop: Header=BB815_16 Depth=2
	v_xor_b32_e32 v37, 0x80000000, v33
	v_mov_b32_e32 v36, v32
	s_delay_alu instid0(VALU_DEP_1) | instskip(SKIP_1) | instid1(VALU_DEP_2)
	v_lshrrev_b64 v[36:37], s41, v[36:37]
	v_lshlrev_b32_e32 v37, 2, v80
	v_and_b32_e32 v36, s43, v36
	s_delay_alu instid0(VALU_DEP_1) | instskip(SKIP_2) | instid1(SALU_CYCLE_1)
	v_lshl_or_b32 v36, v36, 4, v37
	ds_add_u32 v36, v123
	s_or_b32 exec_lo, exec_lo, s8
	s_mov_b32 s8, exec_lo
	v_cmpx_lt_u32_e64 v77, v2
	s_cbranch_execnz .LBB815_57
.LBB815_42:                             ;   in Loop: Header=BB815_16 Depth=2
	s_or_b32 exec_lo, exec_lo, s8
	s_delay_alu instid0(SALU_CYCLE_1)
	s_mov_b32 s8, exec_lo
	v_cmpx_lt_u32_e64 v78, v2
	s_cbranch_execz .LBB815_58
.LBB815_43:                             ;   in Loop: Header=BB815_16 Depth=2
	v_xor_b32_e32 v37, 0x80000000, v29
	v_mov_b32_e32 v36, v28
	s_delay_alu instid0(VALU_DEP_1) | instskip(SKIP_1) | instid1(VALU_DEP_2)
	v_lshrrev_b64 v[36:37], s41, v[36:37]
	v_lshlrev_b32_e32 v37, 2, v80
	v_and_b32_e32 v36, s43, v36
	s_delay_alu instid0(VALU_DEP_1) | instskip(SKIP_2) | instid1(SALU_CYCLE_1)
	v_lshl_or_b32 v36, v36, 4, v37
	ds_add_u32 v36, v123
	s_or_b32 exec_lo, exec_lo, s8
	s_mov_b32 s8, exec_lo
	v_cmpx_lt_u32_e64 v79, v2
	s_cbranch_execnz .LBB815_59
.LBB815_44:                             ;   in Loop: Header=BB815_16 Depth=2
	s_or_b32 exec_lo, exec_lo, s8
	s_delay_alu instid0(SALU_CYCLE_1)
	s_mov_b32 s8, exec_lo
	v_cmpx_lt_u32_e64 v83, v2
	s_cbranch_execz .LBB815_60
.LBB815_45:                             ;   in Loop: Header=BB815_16 Depth=2
	v_xor_b32_e32 v37, 0x80000000, v25
	v_mov_b32_e32 v36, v24
	s_delay_alu instid0(VALU_DEP_1) | instskip(SKIP_1) | instid1(VALU_DEP_2)
	v_lshrrev_b64 v[36:37], s41, v[36:37]
	v_lshlrev_b32_e32 v37, 2, v80
	v_and_b32_e32 v36, s43, v36
	s_delay_alu instid0(VALU_DEP_1) | instskip(SKIP_2) | instid1(SALU_CYCLE_1)
	v_lshl_or_b32 v36, v36, 4, v37
	ds_add_u32 v36, v123
	s_or_b32 exec_lo, exec_lo, s8
	s_mov_b32 s8, exec_lo
	v_cmpx_lt_u32_e64 v84, v2
	s_cbranch_execnz .LBB815_61
.LBB815_46:                             ;   in Loop: Header=BB815_16 Depth=2
	s_or_b32 exec_lo, exec_lo, s8
	s_delay_alu instid0(SALU_CYCLE_1)
	s_mov_b32 s8, exec_lo
	v_cmpx_lt_u32_e64 v85, v2
	s_cbranch_execz .LBB815_62
.LBB815_47:                             ;   in Loop: Header=BB815_16 Depth=2
	v_xor_b32_e32 v37, 0x80000000, v21
	v_mov_b32_e32 v36, v20
	s_delay_alu instid0(VALU_DEP_1) | instskip(SKIP_1) | instid1(VALU_DEP_2)
	v_lshrrev_b64 v[36:37], s41, v[36:37]
	v_lshlrev_b32_e32 v37, 2, v80
	v_and_b32_e32 v36, s43, v36
	s_delay_alu instid0(VALU_DEP_1) | instskip(SKIP_2) | instid1(SALU_CYCLE_1)
	v_lshl_or_b32 v36, v36, 4, v37
	ds_add_u32 v36, v123
	s_or_b32 exec_lo, exec_lo, s8
	s_mov_b32 s8, exec_lo
	v_cmpx_lt_u32_e64 v86, v2
	s_cbranch_execnz .LBB815_63
.LBB815_48:                             ;   in Loop: Header=BB815_16 Depth=2
	s_or_b32 exec_lo, exec_lo, s8
	s_delay_alu instid0(SALU_CYCLE_1)
	s_mov_b32 s8, exec_lo
	v_cmpx_lt_u32_e64 v87, v2
	s_cbranch_execz .LBB815_64
.LBB815_49:                             ;   in Loop: Header=BB815_16 Depth=2
	v_xor_b32_e32 v37, 0x80000000, v17
	v_mov_b32_e32 v36, v16
	s_delay_alu instid0(VALU_DEP_1) | instskip(SKIP_1) | instid1(VALU_DEP_2)
	v_lshrrev_b64 v[36:37], s41, v[36:37]
	v_lshlrev_b32_e32 v37, 2, v80
	v_and_b32_e32 v36, s43, v36
	s_delay_alu instid0(VALU_DEP_1) | instskip(SKIP_2) | instid1(SALU_CYCLE_1)
	v_lshl_or_b32 v36, v36, 4, v37
	ds_add_u32 v36, v123
	s_or_b32 exec_lo, exec_lo, s8
	s_mov_b32 s8, exec_lo
	v_cmpx_lt_u32_e64 v88, v2
	s_cbranch_execnz .LBB815_65
.LBB815_50:                             ;   in Loop: Header=BB815_16 Depth=2
	s_or_b32 exec_lo, exec_lo, s8
	s_delay_alu instid0(SALU_CYCLE_1)
	s_mov_b32 s8, exec_lo
	v_cmpx_lt_u32_e64 v89, v2
	s_cbranch_execz .LBB815_66
.LBB815_51:                             ;   in Loop: Header=BB815_16 Depth=2
	v_xor_b32_e32 v37, 0x80000000, v13
	v_mov_b32_e32 v36, v12
	s_delay_alu instid0(VALU_DEP_1) | instskip(SKIP_1) | instid1(VALU_DEP_2)
	v_lshrrev_b64 v[36:37], s41, v[36:37]
	v_lshlrev_b32_e32 v37, 2, v80
	v_and_b32_e32 v36, s43, v36
	s_delay_alu instid0(VALU_DEP_1) | instskip(SKIP_2) | instid1(SALU_CYCLE_1)
	v_lshl_or_b32 v36, v36, 4, v37
	ds_add_u32 v36, v123
	s_or_b32 exec_lo, exec_lo, s8
	s_mov_b32 s8, exec_lo
	v_cmpx_lt_u32_e64 v90, v2
	s_cbranch_execnz .LBB815_67
.LBB815_52:                             ;   in Loop: Header=BB815_16 Depth=2
	s_or_b32 exec_lo, exec_lo, s8
	s_delay_alu instid0(SALU_CYCLE_1)
	s_mov_b32 s8, exec_lo
	v_cmpx_lt_u32_e64 v91, v2
	s_cbranch_execz .LBB815_68
.LBB815_53:                             ;   in Loop: Header=BB815_16 Depth=2
	v_xor_b32_e32 v37, 0x80000000, v9
	v_mov_b32_e32 v36, v8
	s_delay_alu instid0(VALU_DEP_1) | instskip(SKIP_1) | instid1(VALU_DEP_2)
	v_lshrrev_b64 v[36:37], s41, v[36:37]
	v_lshlrev_b32_e32 v37, 2, v80
	v_and_b32_e32 v36, s43, v36
	s_delay_alu instid0(VALU_DEP_1) | instskip(SKIP_2) | instid1(SALU_CYCLE_1)
	v_lshl_or_b32 v36, v36, 4, v37
	ds_add_u32 v36, v123
	s_or_b32 exec_lo, exec_lo, s8
	s_mov_b32 s8, exec_lo
	v_cmpx_lt_u32_e64 v92, v2
	s_cbranch_execnz .LBB815_69
.LBB815_54:                             ;   in Loop: Header=BB815_16 Depth=2
	s_or_b32 exec_lo, exec_lo, s8
	s_delay_alu instid0(SALU_CYCLE_1)
	s_mov_b32 s8, exec_lo
	v_cmpx_lt_u32_e64 v93, v2
	s_cbranch_execz .LBB815_70
.LBB815_55:                             ;   in Loop: Header=BB815_16 Depth=2
	v_xor_b32_e32 v37, 0x80000000, v5
	v_mov_b32_e32 v36, v4
	s_delay_alu instid0(VALU_DEP_1) | instskip(SKIP_1) | instid1(VALU_DEP_2)
	v_lshrrev_b64 v[36:37], s41, v[36:37]
	v_lshlrev_b32_e32 v37, 2, v80
	v_and_b32_e32 v36, s43, v36
	s_delay_alu instid0(VALU_DEP_1) | instskip(SKIP_2) | instid1(SALU_CYCLE_1)
	v_lshl_or_b32 v36, v36, 4, v37
	ds_add_u32 v36, v123
	s_or_b32 exec_lo, exec_lo, s8
	s_mov_b32 s8, exec_lo
	v_cmpx_lt_u32_e64 v95, v2
	s_cbranch_execz .LBB815_15
	s_branch .LBB815_71
.LBB815_56:                             ;   in Loop: Header=BB815_16 Depth=2
	s_or_b32 exec_lo, exec_lo, s8
	s_delay_alu instid0(SALU_CYCLE_1)
	s_mov_b32 s8, exec_lo
	v_cmpx_lt_u32_e64 v77, v2
	s_cbranch_execz .LBB815_42
.LBB815_57:                             ;   in Loop: Header=BB815_16 Depth=2
	v_xor_b32_e32 v37, 0x80000000, v31
	v_mov_b32_e32 v36, v30
	s_delay_alu instid0(VALU_DEP_1) | instskip(SKIP_1) | instid1(VALU_DEP_2)
	v_lshrrev_b64 v[36:37], s41, v[36:37]
	v_lshlrev_b32_e32 v37, 2, v80
	v_and_b32_e32 v36, s43, v36
	s_delay_alu instid0(VALU_DEP_1) | instskip(SKIP_2) | instid1(SALU_CYCLE_1)
	v_lshl_or_b32 v36, v36, 4, v37
	ds_add_u32 v36, v123
	s_or_b32 exec_lo, exec_lo, s8
	s_mov_b32 s8, exec_lo
	v_cmpx_lt_u32_e64 v78, v2
	s_cbranch_execnz .LBB815_43
.LBB815_58:                             ;   in Loop: Header=BB815_16 Depth=2
	s_or_b32 exec_lo, exec_lo, s8
	s_delay_alu instid0(SALU_CYCLE_1)
	s_mov_b32 s8, exec_lo
	v_cmpx_lt_u32_e64 v79, v2
	s_cbranch_execz .LBB815_44
.LBB815_59:                             ;   in Loop: Header=BB815_16 Depth=2
	v_xor_b32_e32 v37, 0x80000000, v27
	v_mov_b32_e32 v36, v26
	s_delay_alu instid0(VALU_DEP_1) | instskip(SKIP_1) | instid1(VALU_DEP_2)
	v_lshrrev_b64 v[36:37], s41, v[36:37]
	v_lshlrev_b32_e32 v37, 2, v80
	v_and_b32_e32 v36, s43, v36
	s_delay_alu instid0(VALU_DEP_1) | instskip(SKIP_2) | instid1(SALU_CYCLE_1)
	v_lshl_or_b32 v36, v36, 4, v37
	ds_add_u32 v36, v123
	s_or_b32 exec_lo, exec_lo, s8
	s_mov_b32 s8, exec_lo
	v_cmpx_lt_u32_e64 v83, v2
	s_cbranch_execnz .LBB815_45
.LBB815_60:                             ;   in Loop: Header=BB815_16 Depth=2
	s_or_b32 exec_lo, exec_lo, s8
	s_delay_alu instid0(SALU_CYCLE_1)
	s_mov_b32 s8, exec_lo
	v_cmpx_lt_u32_e64 v84, v2
	s_cbranch_execz .LBB815_46
.LBB815_61:                             ;   in Loop: Header=BB815_16 Depth=2
	v_xor_b32_e32 v37, 0x80000000, v23
	v_mov_b32_e32 v36, v22
	s_delay_alu instid0(VALU_DEP_1) | instskip(SKIP_1) | instid1(VALU_DEP_2)
	v_lshrrev_b64 v[36:37], s41, v[36:37]
	v_lshlrev_b32_e32 v37, 2, v80
	v_and_b32_e32 v36, s43, v36
	s_delay_alu instid0(VALU_DEP_1) | instskip(SKIP_2) | instid1(SALU_CYCLE_1)
	v_lshl_or_b32 v36, v36, 4, v37
	ds_add_u32 v36, v123
	s_or_b32 exec_lo, exec_lo, s8
	s_mov_b32 s8, exec_lo
	v_cmpx_lt_u32_e64 v85, v2
	s_cbranch_execnz .LBB815_47
.LBB815_62:                             ;   in Loop: Header=BB815_16 Depth=2
	s_or_b32 exec_lo, exec_lo, s8
	s_delay_alu instid0(SALU_CYCLE_1)
	s_mov_b32 s8, exec_lo
	v_cmpx_lt_u32_e64 v86, v2
	s_cbranch_execz .LBB815_48
.LBB815_63:                             ;   in Loop: Header=BB815_16 Depth=2
	v_xor_b32_e32 v37, 0x80000000, v19
	v_mov_b32_e32 v36, v18
	s_delay_alu instid0(VALU_DEP_1) | instskip(SKIP_1) | instid1(VALU_DEP_2)
	v_lshrrev_b64 v[36:37], s41, v[36:37]
	v_lshlrev_b32_e32 v37, 2, v80
	v_and_b32_e32 v36, s43, v36
	s_delay_alu instid0(VALU_DEP_1) | instskip(SKIP_2) | instid1(SALU_CYCLE_1)
	v_lshl_or_b32 v36, v36, 4, v37
	ds_add_u32 v36, v123
	s_or_b32 exec_lo, exec_lo, s8
	s_mov_b32 s8, exec_lo
	v_cmpx_lt_u32_e64 v87, v2
	s_cbranch_execnz .LBB815_49
.LBB815_64:                             ;   in Loop: Header=BB815_16 Depth=2
	s_or_b32 exec_lo, exec_lo, s8
	s_delay_alu instid0(SALU_CYCLE_1)
	s_mov_b32 s8, exec_lo
	v_cmpx_lt_u32_e64 v88, v2
	s_cbranch_execz .LBB815_50
.LBB815_65:                             ;   in Loop: Header=BB815_16 Depth=2
	v_xor_b32_e32 v37, 0x80000000, v15
	v_mov_b32_e32 v36, v14
	s_delay_alu instid0(VALU_DEP_1) | instskip(SKIP_1) | instid1(VALU_DEP_2)
	v_lshrrev_b64 v[36:37], s41, v[36:37]
	v_lshlrev_b32_e32 v37, 2, v80
	v_and_b32_e32 v36, s43, v36
	s_delay_alu instid0(VALU_DEP_1) | instskip(SKIP_2) | instid1(SALU_CYCLE_1)
	v_lshl_or_b32 v36, v36, 4, v37
	ds_add_u32 v36, v123
	s_or_b32 exec_lo, exec_lo, s8
	s_mov_b32 s8, exec_lo
	v_cmpx_lt_u32_e64 v89, v2
	s_cbranch_execnz .LBB815_51
.LBB815_66:                             ;   in Loop: Header=BB815_16 Depth=2
	s_or_b32 exec_lo, exec_lo, s8
	s_delay_alu instid0(SALU_CYCLE_1)
	s_mov_b32 s8, exec_lo
	v_cmpx_lt_u32_e64 v90, v2
	s_cbranch_execz .LBB815_52
.LBB815_67:                             ;   in Loop: Header=BB815_16 Depth=2
	v_xor_b32_e32 v37, 0x80000000, v11
	v_mov_b32_e32 v36, v10
	s_delay_alu instid0(VALU_DEP_1) | instskip(SKIP_1) | instid1(VALU_DEP_2)
	v_lshrrev_b64 v[36:37], s41, v[36:37]
	v_lshlrev_b32_e32 v37, 2, v80
	v_and_b32_e32 v36, s43, v36
	s_delay_alu instid0(VALU_DEP_1) | instskip(SKIP_2) | instid1(SALU_CYCLE_1)
	v_lshl_or_b32 v36, v36, 4, v37
	ds_add_u32 v36, v123
	s_or_b32 exec_lo, exec_lo, s8
	s_mov_b32 s8, exec_lo
	v_cmpx_lt_u32_e64 v91, v2
	s_cbranch_execnz .LBB815_53
.LBB815_68:                             ;   in Loop: Header=BB815_16 Depth=2
	s_or_b32 exec_lo, exec_lo, s8
	s_delay_alu instid0(SALU_CYCLE_1)
	s_mov_b32 s8, exec_lo
	v_cmpx_lt_u32_e64 v92, v2
	s_cbranch_execz .LBB815_54
.LBB815_69:                             ;   in Loop: Header=BB815_16 Depth=2
	v_xor_b32_e32 v37, 0x80000000, v7
	v_mov_b32_e32 v36, v6
	s_delay_alu instid0(VALU_DEP_1) | instskip(SKIP_1) | instid1(VALU_DEP_2)
	v_lshrrev_b64 v[36:37], s41, v[36:37]
	v_lshlrev_b32_e32 v37, 2, v80
	v_and_b32_e32 v36, s43, v36
	s_delay_alu instid0(VALU_DEP_1) | instskip(SKIP_2) | instid1(SALU_CYCLE_1)
	v_lshl_or_b32 v36, v36, 4, v37
	ds_add_u32 v36, v123
	s_or_b32 exec_lo, exec_lo, s8
	s_mov_b32 s8, exec_lo
	v_cmpx_lt_u32_e64 v93, v2
	s_cbranch_execnz .LBB815_55
.LBB815_70:                             ;   in Loop: Header=BB815_16 Depth=2
	s_or_b32 exec_lo, exec_lo, s8
	s_delay_alu instid0(SALU_CYCLE_1)
	s_mov_b32 s8, exec_lo
	v_cmpx_lt_u32_e64 v95, v2
	s_cbranch_execz .LBB815_15
.LBB815_71:                             ;   in Loop: Header=BB815_16 Depth=2
	s_waitcnt vmcnt(0)
	v_xor_b32_e32 v37, 0x80000000, v35
	v_mov_b32_e32 v36, v34
	s_delay_alu instid0(VALU_DEP_1) | instskip(NEXT) | instid1(VALU_DEP_1)
	v_lshrrev_b64 v[36:37], s41, v[36:37]
	v_and_b32_e32 v2, s43, v36
	v_lshlrev_b32_e32 v36, 2, v80
	s_delay_alu instid0(VALU_DEP_1)
	v_lshl_or_b32 v2, v2, 4, v36
	ds_add_u32 v2, v123
	s_branch .LBB815_15
.LBB815_72:                             ;   in Loop: Header=BB815_16 Depth=2
	s_or_b32 exec_lo, exec_lo, s11
	s_delay_alu instid0(SALU_CYCLE_1)
	s_mov_b32 s11, exec_lo
	v_cmpx_gt_u32_e64 s1, v77
	s_cbranch_execz .LBB815_22
.LBB815_73:                             ;   in Loop: Header=BB815_16 Depth=2
	global_load_b64 v[30:31], v124, s[8:9] offset:2048
	s_or_b32 exec_lo, exec_lo, s11
	s_delay_alu instid0(SALU_CYCLE_1)
	s_mov_b32 s11, exec_lo
	v_cmpx_gt_u32_e64 s1, v78
	s_cbranch_execnz .LBB815_23
.LBB815_74:                             ;   in Loop: Header=BB815_16 Depth=2
	s_or_b32 exec_lo, exec_lo, s11
	s_delay_alu instid0(SALU_CYCLE_1)
	s_mov_b32 s11, exec_lo
	v_cmpx_gt_u32_e64 s1, v79
	s_cbranch_execz .LBB815_24
.LBB815_75:                             ;   in Loop: Header=BB815_16 Depth=2
	global_load_b64 v[26:27], v126, s[8:9]
	s_or_b32 exec_lo, exec_lo, s11
	s_delay_alu instid0(SALU_CYCLE_1)
	s_mov_b32 s11, exec_lo
	v_cmpx_gt_u32_e64 s1, v83
	s_cbranch_execnz .LBB815_25
.LBB815_76:                             ;   in Loop: Header=BB815_16 Depth=2
	s_or_b32 exec_lo, exec_lo, s11
	s_delay_alu instid0(SALU_CYCLE_1)
	s_mov_b32 s11, exec_lo
	v_cmpx_gt_u32_e64 s1, v84
	s_cbranch_execz .LBB815_26
.LBB815_77:                             ;   in Loop: Header=BB815_16 Depth=2
	global_load_b64 v[22:23], v128, s[8:9]
	s_or_b32 exec_lo, exec_lo, s11
	s_delay_alu instid0(SALU_CYCLE_1)
	s_mov_b32 s11, exec_lo
	v_cmpx_gt_u32_e64 s1, v85
	s_cbranch_execnz .LBB815_27
.LBB815_78:                             ;   in Loop: Header=BB815_16 Depth=2
	s_or_b32 exec_lo, exec_lo, s11
	s_delay_alu instid0(SALU_CYCLE_1)
	s_mov_b32 s11, exec_lo
	v_cmpx_gt_u32_e64 s1, v86
	s_cbranch_execz .LBB815_28
.LBB815_79:                             ;   in Loop: Header=BB815_16 Depth=2
	global_load_b64 v[18:19], v130, s[8:9]
	s_or_b32 exec_lo, exec_lo, s11
	s_delay_alu instid0(SALU_CYCLE_1)
	s_mov_b32 s11, exec_lo
	v_cmpx_gt_u32_e64 s1, v87
	s_cbranch_execnz .LBB815_29
.LBB815_80:                             ;   in Loop: Header=BB815_16 Depth=2
	s_or_b32 exec_lo, exec_lo, s11
	s_delay_alu instid0(SALU_CYCLE_1)
	s_mov_b32 s11, exec_lo
	v_cmpx_gt_u32_e64 s1, v88
	s_cbranch_execz .LBB815_30
.LBB815_81:                             ;   in Loop: Header=BB815_16 Depth=2
	global_load_b64 v[14:15], v132, s[8:9]
	s_or_b32 exec_lo, exec_lo, s11
	s_delay_alu instid0(SALU_CYCLE_1)
	s_mov_b32 s11, exec_lo
	v_cmpx_gt_u32_e64 s1, v89
	s_cbranch_execnz .LBB815_31
.LBB815_82:                             ;   in Loop: Header=BB815_16 Depth=2
	s_or_b32 exec_lo, exec_lo, s11
	s_delay_alu instid0(SALU_CYCLE_1)
	s_mov_b32 s11, exec_lo
	v_cmpx_gt_u32_e64 s1, v90
	s_cbranch_execz .LBB815_32
.LBB815_83:                             ;   in Loop: Header=BB815_16 Depth=2
	global_load_b64 v[10:11], v134, s[8:9]
	s_or_b32 exec_lo, exec_lo, s11
	s_delay_alu instid0(SALU_CYCLE_1)
	s_mov_b32 s11, exec_lo
	v_cmpx_gt_u32_e64 s1, v91
	s_cbranch_execnz .LBB815_33
.LBB815_84:                             ;   in Loop: Header=BB815_16 Depth=2
	s_or_b32 exec_lo, exec_lo, s11
	s_delay_alu instid0(SALU_CYCLE_1)
	s_mov_b32 s11, exec_lo
	v_cmpx_gt_u32_e64 s1, v92
	s_cbranch_execz .LBB815_34
.LBB815_85:                             ;   in Loop: Header=BB815_16 Depth=2
	v_lshlrev_b32_e32 v2, 3, v92
	global_load_b64 v[6:7], v2, s[8:9]
	s_or_b32 exec_lo, exec_lo, s11
	s_delay_alu instid0(SALU_CYCLE_1)
	s_mov_b32 s11, exec_lo
	v_cmpx_gt_u32_e64 s1, v93
	s_cbranch_execz .LBB815_36
	s_branch .LBB815_35
.LBB815_86:                             ;   in Loop: Header=BB815_12 Depth=1
	v_mov_b32_e32 v2, 0
	s_waitcnt vmcnt(0) lgkmcnt(0)
	s_barrier
	buffer_gl0_inv
	s_and_saveexec_b32 s1, s2
	s_cbranch_execz .LBB815_88
; %bb.87:                               ;   in Loop: Header=BB815_12 Depth=1
	ds_load_2addr_b64 v[4:7], v96 offset1:1
	s_waitcnt lgkmcnt(0)
	v_add_nc_u32_e32 v2, v5, v4
	s_delay_alu instid0(VALU_DEP_1)
	v_add3_u32 v2, v2, v6, v7
.LBB815_88:                             ;   in Loop: Header=BB815_12 Depth=1
	s_or_b32 exec_lo, exec_lo, s1
	v_and_b32_e32 v4, 15, v136
	s_delay_alu instid0(VALU_DEP_2) | instskip(SKIP_1) | instid1(VALU_DEP_3)
	v_mov_b32_dpp v5, v2 row_shr:1 row_mask:0xf bank_mask:0xf
	v_and_b32_e32 v6, 16, v136
	v_cmp_eq_u32_e64 s1, 0, v4
	v_cmp_lt_u32_e64 s7, 1, v4
	v_cmp_lt_u32_e64 s8, 3, v4
	;; [unrolled: 1-line block ×3, first 2 shown]
	v_cmp_eq_u32_e64 s10, 0, v6
	v_cndmask_b32_e64 v5, v5, 0, s1
	s_delay_alu instid0(VALU_DEP_1) | instskip(NEXT) | instid1(VALU_DEP_1)
	v_add_nc_u32_e32 v2, v5, v2
	v_mov_b32_dpp v5, v2 row_shr:2 row_mask:0xf bank_mask:0xf
	s_delay_alu instid0(VALU_DEP_1) | instskip(NEXT) | instid1(VALU_DEP_1)
	v_cndmask_b32_e64 v5, 0, v5, s7
	v_add_nc_u32_e32 v2, v2, v5
	s_delay_alu instid0(VALU_DEP_1) | instskip(NEXT) | instid1(VALU_DEP_1)
	v_mov_b32_dpp v5, v2 row_shr:4 row_mask:0xf bank_mask:0xf
	v_cndmask_b32_e64 v5, 0, v5, s8
	s_delay_alu instid0(VALU_DEP_1) | instskip(NEXT) | instid1(VALU_DEP_1)
	v_add_nc_u32_e32 v2, v2, v5
	v_mov_b32_dpp v5, v2 row_shr:8 row_mask:0xf bank_mask:0xf
	s_delay_alu instid0(VALU_DEP_1) | instskip(SKIP_1) | instid1(VALU_DEP_2)
	v_cndmask_b32_e64 v4, 0, v5, s9
	v_bfe_i32 v5, v136, 4, 1
	v_add_nc_u32_e32 v2, v2, v4
	ds_swizzle_b32 v4, v2 offset:swizzle(BROADCAST,32,15)
	s_waitcnt lgkmcnt(0)
	v_and_b32_e32 v4, v5, v4
	s_delay_alu instid0(VALU_DEP_1)
	v_add_nc_u32_e32 v4, v2, v4
	s_and_saveexec_b32 s11, s3
	s_cbranch_execz .LBB815_90
; %bb.89:                               ;   in Loop: Header=BB815_12 Depth=1
	ds_store_b32 v97, v4
.LBB815_90:                             ;   in Loop: Header=BB815_12 Depth=1
	s_or_b32 exec_lo, exec_lo, s11
	v_and_b32_e32 v2, 7, v136
	s_waitcnt lgkmcnt(0)
	s_barrier
	buffer_gl0_inv
	s_and_saveexec_b32 s11, s4
	s_cbranch_execz .LBB815_92
; %bb.91:                               ;   in Loop: Header=BB815_12 Depth=1
	ds_load_b32 v5, v98
	v_cmp_ne_u32_e32 vcc_lo, 0, v2
	s_waitcnt lgkmcnt(0)
	v_mov_b32_dpp v6, v5 row_shr:1 row_mask:0xf bank_mask:0xf
	s_delay_alu instid0(VALU_DEP_1) | instskip(SKIP_1) | instid1(VALU_DEP_2)
	v_cndmask_b32_e32 v6, 0, v6, vcc_lo
	v_cmp_lt_u32_e32 vcc_lo, 1, v2
	v_add_nc_u32_e32 v5, v6, v5
	s_delay_alu instid0(VALU_DEP_1) | instskip(NEXT) | instid1(VALU_DEP_1)
	v_mov_b32_dpp v6, v5 row_shr:2 row_mask:0xf bank_mask:0xf
	v_cndmask_b32_e32 v6, 0, v6, vcc_lo
	v_cmp_lt_u32_e32 vcc_lo, 3, v2
	s_delay_alu instid0(VALU_DEP_2) | instskip(NEXT) | instid1(VALU_DEP_1)
	v_add_nc_u32_e32 v5, v5, v6
	v_mov_b32_dpp v6, v5 row_shr:4 row_mask:0xf bank_mask:0xf
	s_delay_alu instid0(VALU_DEP_1) | instskip(NEXT) | instid1(VALU_DEP_1)
	v_cndmask_b32_e32 v6, 0, v6, vcc_lo
	v_add_nc_u32_e32 v5, v5, v6
	ds_store_b32 v98, v5
.LBB815_92:                             ;   in Loop: Header=BB815_12 Depth=1
	s_or_b32 exec_lo, exec_lo, s11
	v_mov_b32_e32 v5, 0
	s_waitcnt lgkmcnt(0)
	s_barrier
	buffer_gl0_inv
	s_and_saveexec_b32 s11, s5
	s_cbranch_execz .LBB815_94
; %bb.93:                               ;   in Loop: Header=BB815_12 Depth=1
	ds_load_b32 v5, v99
.LBB815_94:                             ;   in Loop: Header=BB815_12 Depth=1
	s_or_b32 exec_lo, exec_lo, s11
	v_add_nc_u32_e32 v6, -1, v136
	s_waitcnt lgkmcnt(0)
	v_add_nc_u32_e32 v4, v5, v4
	v_cmp_eq_u32_e64 s11, 0, v136
	s_barrier
	v_cmp_gt_i32_e32 vcc_lo, 0, v6
	buffer_gl0_inv
	v_cndmask_b32_e32 v6, v6, v136, vcc_lo
	s_delay_alu instid0(VALU_DEP_1)
	v_lshlrev_b32_e32 v137, 2, v6
	ds_bpermute_b32 v4, v137, v4
	s_and_saveexec_b32 s12, s2
	s_cbranch_execz .LBB815_96
; %bb.95:                               ;   in Loop: Header=BB815_12 Depth=1
	s_waitcnt lgkmcnt(0)
	v_cndmask_b32_e64 v4, v4, v5, s11
	s_delay_alu instid0(VALU_DEP_1)
	v_add_nc_u32_e32 v4, s60, v4
	ds_store_b32 v76, v4
.LBB815_96:                             ;   in Loop: Header=BB815_12 Depth=1
	s_or_b32 exec_lo, exec_lo, s12
	s_clause 0x1
	s_load_b32 s12, s[36:37], 0x4
	s_load_b32 s16, s[36:37], 0xc
	v_lshlrev_b32_e32 v6, 3, v136
	v_cmp_lt_u32_e64 s14, 3, v2
	v_or_b32_e32 v138, v136, v100
	s_mov_b32 s50, s62
	s_mov_b32 s34, s60
	v_add_co_u32 v139, vcc_lo, v106, v6
	v_add_co_ci_u32_e32 v140, vcc_lo, 0, v107, vcc_lo
	v_add_co_u32 v156, vcc_lo, v108, v6
	v_add_co_ci_u32_e32 v157, vcc_lo, 0, v109, vcc_lo
	v_or_b32_e32 v141, 32, v138
	s_delay_alu instid0(VALU_DEP_3)
	v_add_co_u32 v159, vcc_lo, 0xf00, v156
	v_or_b32_e32 v142, 64, v138
	v_or_b32_e32 v143, 0x60, v138
	s_waitcnt lgkmcnt(0)
	s_cmp_lt_u32 s15, s12
	v_or_b32_e32 v144, 0x80, v138
	s_cselect_b32 s12, 14, 20
	v_or_b32_e32 v145, 0xa0, v138
	s_add_u32 s12, s36, s12
	s_addc_u32 s13, s37, 0
	s_and_b32 s16, s16, 0xffff
	global_load_u16 v4, v3, s[12:13]
	v_cmp_eq_u32_e64 s12, 0, v2
	v_cmp_lt_u32_e64 s13, 1, v2
	v_or_b32_e32 v146, 0xc0, v138
	v_or_b32_e32 v147, 0xe0, v138
	;; [unrolled: 1-line block ×10, first 2 shown]
	v_add_co_ci_u32_e32 v160, vcc_lo, 0, v157, vcc_lo
                                        ; implicit-def: $vgpr6_vgpr7
                                        ; implicit-def: $vgpr8_vgpr9
                                        ; implicit-def: $vgpr10_vgpr11
                                        ; implicit-def: $vgpr12_vgpr13
                                        ; implicit-def: $vgpr14_vgpr15
                                        ; implicit-def: $vgpr16_vgpr17
                                        ; implicit-def: $vgpr18_vgpr19
                                        ; implicit-def: $vgpr20_vgpr21
                                        ; implicit-def: $vgpr22_vgpr23
                                        ; implicit-def: $vgpr24_vgpr25
                                        ; implicit-def: $vgpr26_vgpr27
                                        ; implicit-def: $vgpr28_vgpr29
                                        ; implicit-def: $vgpr30_vgpr31
                                        ; implicit-def: $vgpr32_vgpr33
                                        ; implicit-def: $vgpr34_vgpr35
                                        ; implicit-def: $vgpr161
                                        ; implicit-def: $vgpr162
                                        ; implicit-def: $vgpr163
                                        ; implicit-def: $vgpr164
                                        ; implicit-def: $vgpr165
                                        ; implicit-def: $vgpr166
                                        ; implicit-def: $vgpr167
                                        ; implicit-def: $vgpr168
                                        ; implicit-def: $vgpr169
                                        ; implicit-def: $vgpr170
                                        ; implicit-def: $vgpr171
                                        ; implicit-def: $vgpr172
                                        ; implicit-def: $vgpr173
                                        ; implicit-def: $vgpr174
                                        ; implicit-def: $vgpr175
                                        ; implicit-def: $vgpr176
	s_waitcnt vmcnt(0)
	v_mad_u32_u24 v2, v101, v4, v0
	s_delay_alu instid0(VALU_DEP_1) | instskip(NEXT) | instid1(VALU_DEP_1)
	v_mad_u64_u32 v[4:5], null, v2, s16, v[1:2]
	v_lshrrev_b32_e32 v158, 5, v4
                                        ; implicit-def: $vgpr4_vgpr5
	s_branch .LBB815_98
.LBB815_97:                             ;   in Loop: Header=BB815_98 Depth=2
	s_or_b32 exec_lo, exec_lo, s16
	s_addk_i32 s50, 0xf000
	s_cmp_lt_u32 s51, s61
	s_mov_b32 s34, s51
	s_cbranch_scc0 .LBB815_306
.LBB815_98:                             ;   Parent Loop BB815_12 Depth=1
                                        ; =>  This Inner Loop Header: Depth=2
	s_add_i32 s51, s34, 0x1000
	s_delay_alu instid0(SALU_CYCLE_1)
	s_cmp_gt_u32 s51, s61
	s_cbranch_scc1 .LBB815_100
; %bb.99:                               ;   in Loop: Header=BB815_98 Depth=2
	s_mov_b32 s17, 0
	s_mov_b32 s16, s34
	s_delay_alu instid0(SALU_CYCLE_1) | instskip(NEXT) | instid1(SALU_CYCLE_1)
	s_lshl_b64 s[18:19], s[16:17], 3
	v_add_co_u32 v64, vcc_lo, v156, s18
	v_add_co_ci_u32_e32 v65, vcc_lo, s19, v157, vcc_lo
	s_mov_b32 s19, -1
	s_movk_i32 s18, 0x1000
	s_clause 0xe
	global_load_b64 v[36:37], v[64:65], off
	global_load_b64 v[38:39], v[64:65], off offset:256
	global_load_b64 v[40:41], v[64:65], off offset:512
	;; [unrolled: 1-line block ×14, first 2 shown]
	s_cbranch_execz .LBB815_101
	s_branch .LBB815_132
.LBB815_100:                            ;   in Loop: Header=BB815_98 Depth=2
	s_mov_b32 s17, -1
	s_mov_b32 s19, 0
                                        ; implicit-def: $sgpr18
                                        ; implicit-def: $vgpr36_vgpr37
                                        ; implicit-def: $vgpr38_vgpr39
                                        ; implicit-def: $vgpr40_vgpr41
                                        ; implicit-def: $vgpr42_vgpr43
                                        ; implicit-def: $vgpr44_vgpr45
                                        ; implicit-def: $vgpr46_vgpr47
                                        ; implicit-def: $vgpr48_vgpr49
                                        ; implicit-def: $vgpr50_vgpr51
                                        ; implicit-def: $vgpr52_vgpr53
                                        ; implicit-def: $vgpr54_vgpr55
                                        ; implicit-def: $vgpr56_vgpr57
                                        ; implicit-def: $vgpr58_vgpr59
                                        ; implicit-def: $vgpr60_vgpr61
                                        ; implicit-def: $vgpr62_vgpr63
                                        ; implicit-def: $vgpr64_vgpr65
.LBB815_101:                            ;   in Loop: Header=BB815_98 Depth=2
	s_lshl_b64 s[16:17], s[34:35], 3
	s_waitcnt vmcnt(14)
	v_dual_mov_b32 v36, s38 :: v_dual_mov_b32 v37, s39
	v_add_co_u32 v66, vcc_lo, v156, s16
	v_add_co_ci_u32_e32 v67, vcc_lo, s17, v157, vcc_lo
	s_mov_b32 s16, exec_lo
	v_cmpx_gt_u32_e64 s50, v138
	s_cbranch_execz .LBB815_103
; %bb.102:                              ;   in Loop: Header=BB815_98 Depth=2
	global_load_b64 v[36:37], v[66:67], off
.LBB815_103:                            ;   in Loop: Header=BB815_98 Depth=2
	s_or_b32 exec_lo, exec_lo, s16
	s_waitcnt vmcnt(13)
	v_dual_mov_b32 v38, s38 :: v_dual_mov_b32 v39, s39
	s_mov_b32 s16, exec_lo
	v_cmpx_gt_u32_e64 s50, v141
	s_cbranch_execz .LBB815_105
; %bb.104:                              ;   in Loop: Header=BB815_98 Depth=2
	global_load_b64 v[38:39], v[66:67], off offset:256
.LBB815_105:                            ;   in Loop: Header=BB815_98 Depth=2
	s_or_b32 exec_lo, exec_lo, s16
	s_waitcnt vmcnt(12)
	v_dual_mov_b32 v41, s39 :: v_dual_mov_b32 v40, s38
	s_mov_b32 s16, exec_lo
	v_cmpx_gt_u32_e64 s50, v142
	s_cbranch_execz .LBB815_107
; %bb.106:                              ;   in Loop: Header=BB815_98 Depth=2
	global_load_b64 v[40:41], v[66:67], off offset:512
.LBB815_107:                            ;   in Loop: Header=BB815_98 Depth=2
	;; [unrolled: 9-line block ×14, first 2 shown]
	s_or_b32 exec_lo, exec_lo, s16
	v_cmp_gt_u32_e64 s19, s50, v155
	s_sub_i32 s18, s61, s34
	s_mov_b64 s[16:17], s[34:35]
.LBB815_132:                            ;   in Loop: Header=BB815_98 Depth=2
	v_dual_mov_b32 v67, s39 :: v_dual_mov_b32 v66, s38
	v_mov_b32_e32 v177, s50
	s_and_saveexec_b32 s20, s19
	s_cbranch_execz .LBB815_134
; %bb.133:                              ;   in Loop: Header=BB815_98 Depth=2
	s_lshl_b64 s[16:17], s[16:17], 3
	v_mov_b32_e32 v177, s18
	v_add_co_u32 v66, vcc_lo, v159, s16
	v_add_co_ci_u32_e32 v67, vcc_lo, s17, v160, vcc_lo
	global_load_b64 v[66:67], v[66:67], off
.LBB815_134:                            ;   in Loop: Header=BB815_98 Depth=2
	s_or_b32 exec_lo, exec_lo, s20
	s_waitcnt vmcnt(14)
	v_xor_b32_e32 v37, 0x80000000, v37
	ds_store_b32 v102, v3 offset:1056
	ds_store_2addr_b32 v103, v3, v3 offset0:1 offset1:2
	ds_store_2addr_b32 v103, v3, v3 offset0:3 offset1:4
	;; [unrolled: 1-line block ×4, first 2 shown]
	s_waitcnt vmcnt(0) lgkmcnt(0)
	s_barrier
	v_lshrrev_b64 v[68:69], s41, v[36:37]
	buffer_gl0_inv
	; wave barrier
	v_and_b32_e32 v69, s43, v68
	s_delay_alu instid0(VALU_DEP_1)
	v_and_b32_e32 v2, 1, v69
	v_lshlrev_b32_e32 v68, 30, v69
	v_lshlrev_b32_e32 v70, 29, v69
	;; [unrolled: 1-line block ×4, first 2 shown]
	v_add_co_u32 v2, s16, v2, -1
	s_delay_alu instid0(VALU_DEP_1)
	v_cndmask_b32_e64 v72, 0, 1, s16
	v_not_b32_e32 v178, v68
	v_cmp_gt_i32_e64 s16, 0, v68
	v_not_b32_e32 v68, v70
	v_lshlrev_b32_e32 v74, 26, v69
	v_cmp_ne_u32_e32 vcc_lo, 0, v72
	v_ashrrev_i32_e32 v178, 31, v178
	v_lshlrev_b32_e32 v75, 25, v69
	v_ashrrev_i32_e32 v68, 31, v68
	v_lshlrev_b32_e32 v72, 24, v69
	v_xor_b32_e32 v2, vcc_lo, v2
	v_cmp_gt_i32_e32 vcc_lo, 0, v70
	v_not_b32_e32 v70, v71
	v_xor_b32_e32 v178, s16, v178
	v_cmp_gt_i32_e64 s16, 0, v71
	v_and_b32_e32 v2, exec_lo, v2
	v_not_b32_e32 v71, v73
	v_ashrrev_i32_e32 v70, 31, v70
	v_xor_b32_e32 v68, vcc_lo, v68
	v_cmp_gt_i32_e32 vcc_lo, 0, v73
	v_and_b32_e32 v2, v2, v178
	v_not_b32_e32 v73, v74
	v_ashrrev_i32_e32 v71, 31, v71
	v_xor_b32_e32 v70, s16, v70
	v_cmp_gt_i32_e64 s16, 0, v74
	v_and_b32_e32 v2, v2, v68
	v_not_b32_e32 v68, v75
	v_ashrrev_i32_e32 v73, 31, v73
	v_xor_b32_e32 v71, vcc_lo, v71
	v_cmp_gt_i32_e32 vcc_lo, 0, v75
	v_and_b32_e32 v2, v2, v70
	v_not_b32_e32 v70, v72
	v_ashrrev_i32_e32 v68, 31, v68
	v_xor_b32_e32 v73, s16, v73
	v_cmp_gt_i32_e64 s16, 0, v72
	v_and_b32_e32 v2, v2, v71
	v_ashrrev_i32_e32 v70, 31, v70
	v_xor_b32_e32 v68, vcc_lo, v68
	v_mad_u32_u24 v69, v69, 9, v158
	s_delay_alu instid0(VALU_DEP_4) | instskip(NEXT) | instid1(VALU_DEP_4)
	v_and_b32_e32 v2, v2, v73
	v_xor_b32_e32 v70, s16, v70
	s_delay_alu instid0(VALU_DEP_3) | instskip(NEXT) | instid1(VALU_DEP_3)
	v_lshl_add_u32 v178, v69, 2, 0x420
	v_and_b32_e32 v2, v2, v68
	s_delay_alu instid0(VALU_DEP_1) | instskip(NEXT) | instid1(VALU_DEP_1)
	v_and_b32_e32 v68, v2, v70
	v_mbcnt_lo_u32_b32 v2, v68, 0
	v_cmp_ne_u32_e64 s16, 0, v68
	s_delay_alu instid0(VALU_DEP_2) | instskip(NEXT) | instid1(VALU_DEP_2)
	v_cmp_eq_u32_e32 vcc_lo, 0, v2
	s_and_b32 s17, s16, vcc_lo
	s_delay_alu instid0(SALU_CYCLE_1)
	s_and_saveexec_b32 s16, s17
	s_cbranch_execz .LBB815_136
; %bb.135:                              ;   in Loop: Header=BB815_98 Depth=2
	v_bcnt_u32_b32 v68, v68, 0
	ds_store_b32 v178, v68
.LBB815_136:                            ;   in Loop: Header=BB815_98 Depth=2
	s_or_b32 exec_lo, exec_lo, s16
	v_xor_b32_e32 v39, 0x80000000, v39
	; wave barrier
	s_delay_alu instid0(VALU_DEP_1) | instskip(NEXT) | instid1(VALU_DEP_1)
	v_lshrrev_b64 v[68:69], s41, v[38:39]
	v_and_b32_e32 v68, s43, v68
	s_delay_alu instid0(VALU_DEP_1)
	v_and_b32_e32 v69, 1, v68
	v_lshlrev_b32_e32 v70, 30, v68
	v_lshlrev_b32_e32 v71, 29, v68
	;; [unrolled: 1-line block ×4, first 2 shown]
	v_add_co_u32 v69, s16, v69, -1
	s_delay_alu instid0(VALU_DEP_1)
	v_cndmask_b32_e64 v73, 0, 1, s16
	v_not_b32_e32 v180, v70
	v_cmp_gt_i32_e64 s16, 0, v70
	v_not_b32_e32 v70, v71
	v_lshlrev_b32_e32 v75, 26, v68
	v_cmp_ne_u32_e32 vcc_lo, 0, v73
	v_ashrrev_i32_e32 v180, 31, v180
	v_lshlrev_b32_e32 v179, 25, v68
	v_ashrrev_i32_e32 v70, 31, v70
	v_lshlrev_b32_e32 v73, 24, v68
	v_xor_b32_e32 v69, vcc_lo, v69
	v_cmp_gt_i32_e32 vcc_lo, 0, v71
	v_not_b32_e32 v71, v72
	v_xor_b32_e32 v180, s16, v180
	v_cmp_gt_i32_e64 s16, 0, v72
	v_and_b32_e32 v69, exec_lo, v69
	v_not_b32_e32 v72, v74
	v_ashrrev_i32_e32 v71, 31, v71
	v_xor_b32_e32 v70, vcc_lo, v70
	v_cmp_gt_i32_e32 vcc_lo, 0, v74
	v_and_b32_e32 v69, v69, v180
	v_not_b32_e32 v74, v75
	v_ashrrev_i32_e32 v72, 31, v72
	v_xor_b32_e32 v71, s16, v71
	v_cmp_gt_i32_e64 s16, 0, v75
	v_and_b32_e32 v69, v69, v70
	v_not_b32_e32 v70, v179
	v_ashrrev_i32_e32 v74, 31, v74
	v_xor_b32_e32 v72, vcc_lo, v72
	v_cmp_gt_i32_e32 vcc_lo, 0, v179
	v_and_b32_e32 v69, v69, v71
	v_not_b32_e32 v71, v73
	v_ashrrev_i32_e32 v70, 31, v70
	v_xor_b32_e32 v74, s16, v74
	v_mul_u32_u24_e32 v68, 9, v68
	v_and_b32_e32 v69, v69, v72
	v_cmp_gt_i32_e64 s16, 0, v73
	v_ashrrev_i32_e32 v71, 31, v71
	v_xor_b32_e32 v70, vcc_lo, v70
	v_add_lshl_u32 v72, v68, v158, 2
	v_and_b32_e32 v69, v69, v74
	s_delay_alu instid0(VALU_DEP_4) | instskip(SKIP_3) | instid1(VALU_DEP_2)
	v_xor_b32_e32 v68, s16, v71
	ds_load_b32 v179, v72 offset:1056
	v_and_b32_e32 v69, v69, v70
	v_add_nc_u32_e32 v181, 0x420, v72
	; wave barrier
	v_and_b32_e32 v68, v69, v68
	s_delay_alu instid0(VALU_DEP_1) | instskip(SKIP_1) | instid1(VALU_DEP_2)
	v_mbcnt_lo_u32_b32 v180, v68, 0
	v_cmp_ne_u32_e64 s16, 0, v68
	v_cmp_eq_u32_e32 vcc_lo, 0, v180
	s_delay_alu instid0(VALU_DEP_2) | instskip(NEXT) | instid1(SALU_CYCLE_1)
	s_and_b32 s17, s16, vcc_lo
	s_and_saveexec_b32 s16, s17
	s_cbranch_execz .LBB815_138
; %bb.137:                              ;   in Loop: Header=BB815_98 Depth=2
	s_waitcnt lgkmcnt(0)
	v_bcnt_u32_b32 v68, v68, v179
	ds_store_b32 v181, v68
.LBB815_138:                            ;   in Loop: Header=BB815_98 Depth=2
	s_or_b32 exec_lo, exec_lo, s16
	v_xor_b32_e32 v41, 0x80000000, v41
	; wave barrier
	s_delay_alu instid0(VALU_DEP_1) | instskip(NEXT) | instid1(VALU_DEP_1)
	v_lshrrev_b64 v[68:69], s41, v[40:41]
	v_and_b32_e32 v68, s43, v68
	s_delay_alu instid0(VALU_DEP_1)
	v_and_b32_e32 v69, 1, v68
	v_lshlrev_b32_e32 v70, 30, v68
	v_lshlrev_b32_e32 v71, 29, v68
	;; [unrolled: 1-line block ×4, first 2 shown]
	v_add_co_u32 v69, s16, v69, -1
	s_delay_alu instid0(VALU_DEP_1)
	v_cndmask_b32_e64 v73, 0, 1, s16
	v_not_b32_e32 v183, v70
	v_cmp_gt_i32_e64 s16, 0, v70
	v_not_b32_e32 v70, v71
	v_lshlrev_b32_e32 v75, 26, v68
	v_cmp_ne_u32_e32 vcc_lo, 0, v73
	v_ashrrev_i32_e32 v183, 31, v183
	v_lshlrev_b32_e32 v182, 25, v68
	v_ashrrev_i32_e32 v70, 31, v70
	v_lshlrev_b32_e32 v73, 24, v68
	v_xor_b32_e32 v69, vcc_lo, v69
	v_cmp_gt_i32_e32 vcc_lo, 0, v71
	v_not_b32_e32 v71, v72
	v_xor_b32_e32 v183, s16, v183
	v_cmp_gt_i32_e64 s16, 0, v72
	v_and_b32_e32 v69, exec_lo, v69
	v_not_b32_e32 v72, v74
	v_ashrrev_i32_e32 v71, 31, v71
	v_xor_b32_e32 v70, vcc_lo, v70
	v_cmp_gt_i32_e32 vcc_lo, 0, v74
	v_and_b32_e32 v69, v69, v183
	v_not_b32_e32 v74, v75
	v_ashrrev_i32_e32 v72, 31, v72
	v_xor_b32_e32 v71, s16, v71
	v_cmp_gt_i32_e64 s16, 0, v75
	v_and_b32_e32 v69, v69, v70
	v_not_b32_e32 v70, v182
	v_ashrrev_i32_e32 v74, 31, v74
	v_xor_b32_e32 v72, vcc_lo, v72
	v_cmp_gt_i32_e32 vcc_lo, 0, v182
	v_and_b32_e32 v69, v69, v71
	v_not_b32_e32 v71, v73
	v_ashrrev_i32_e32 v70, 31, v70
	v_xor_b32_e32 v74, s16, v74
	v_mul_u32_u24_e32 v68, 9, v68
	v_and_b32_e32 v69, v69, v72
	v_cmp_gt_i32_e64 s16, 0, v73
	v_ashrrev_i32_e32 v71, 31, v71
	v_xor_b32_e32 v70, vcc_lo, v70
	v_add_lshl_u32 v72, v68, v158, 2
	v_and_b32_e32 v69, v69, v74
	s_delay_alu instid0(VALU_DEP_4) | instskip(SKIP_3) | instid1(VALU_DEP_2)
	v_xor_b32_e32 v68, s16, v71
	ds_load_b32 v182, v72 offset:1056
	v_and_b32_e32 v69, v69, v70
	v_add_nc_u32_e32 v184, 0x420, v72
	; wave barrier
	v_and_b32_e32 v68, v69, v68
	s_delay_alu instid0(VALU_DEP_1) | instskip(SKIP_1) | instid1(VALU_DEP_2)
	v_mbcnt_lo_u32_b32 v183, v68, 0
	v_cmp_ne_u32_e64 s16, 0, v68
	v_cmp_eq_u32_e32 vcc_lo, 0, v183
	s_delay_alu instid0(VALU_DEP_2) | instskip(NEXT) | instid1(SALU_CYCLE_1)
	s_and_b32 s17, s16, vcc_lo
	s_and_saveexec_b32 s16, s17
	s_cbranch_execz .LBB815_140
; %bb.139:                              ;   in Loop: Header=BB815_98 Depth=2
	s_waitcnt lgkmcnt(0)
	v_bcnt_u32_b32 v68, v68, v182
	ds_store_b32 v184, v68
.LBB815_140:                            ;   in Loop: Header=BB815_98 Depth=2
	s_or_b32 exec_lo, exec_lo, s16
	v_xor_b32_e32 v43, 0x80000000, v43
	; wave barrier
	s_delay_alu instid0(VALU_DEP_1) | instskip(NEXT) | instid1(VALU_DEP_1)
	v_lshrrev_b64 v[68:69], s41, v[42:43]
	v_and_b32_e32 v68, s43, v68
	s_delay_alu instid0(VALU_DEP_1)
	v_and_b32_e32 v69, 1, v68
	v_lshlrev_b32_e32 v70, 30, v68
	v_lshlrev_b32_e32 v71, 29, v68
	;; [unrolled: 1-line block ×4, first 2 shown]
	v_add_co_u32 v69, s16, v69, -1
	s_delay_alu instid0(VALU_DEP_1)
	v_cndmask_b32_e64 v73, 0, 1, s16
	v_not_b32_e32 v186, v70
	v_cmp_gt_i32_e64 s16, 0, v70
	v_not_b32_e32 v70, v71
	v_lshlrev_b32_e32 v75, 26, v68
	v_cmp_ne_u32_e32 vcc_lo, 0, v73
	v_ashrrev_i32_e32 v186, 31, v186
	v_lshlrev_b32_e32 v185, 25, v68
	v_ashrrev_i32_e32 v70, 31, v70
	v_lshlrev_b32_e32 v73, 24, v68
	v_xor_b32_e32 v69, vcc_lo, v69
	v_cmp_gt_i32_e32 vcc_lo, 0, v71
	v_not_b32_e32 v71, v72
	v_xor_b32_e32 v186, s16, v186
	v_cmp_gt_i32_e64 s16, 0, v72
	v_and_b32_e32 v69, exec_lo, v69
	v_not_b32_e32 v72, v74
	v_ashrrev_i32_e32 v71, 31, v71
	v_xor_b32_e32 v70, vcc_lo, v70
	v_cmp_gt_i32_e32 vcc_lo, 0, v74
	v_and_b32_e32 v69, v69, v186
	v_not_b32_e32 v74, v75
	v_ashrrev_i32_e32 v72, 31, v72
	v_xor_b32_e32 v71, s16, v71
	v_cmp_gt_i32_e64 s16, 0, v75
	v_and_b32_e32 v69, v69, v70
	v_not_b32_e32 v70, v185
	v_ashrrev_i32_e32 v74, 31, v74
	v_xor_b32_e32 v72, vcc_lo, v72
	v_cmp_gt_i32_e32 vcc_lo, 0, v185
	v_and_b32_e32 v69, v69, v71
	v_not_b32_e32 v71, v73
	v_ashrrev_i32_e32 v70, 31, v70
	v_xor_b32_e32 v74, s16, v74
	v_mul_u32_u24_e32 v68, 9, v68
	v_and_b32_e32 v69, v69, v72
	v_cmp_gt_i32_e64 s16, 0, v73
	v_ashrrev_i32_e32 v71, 31, v71
	v_xor_b32_e32 v70, vcc_lo, v70
	v_add_lshl_u32 v72, v68, v158, 2
	v_and_b32_e32 v69, v69, v74
	s_delay_alu instid0(VALU_DEP_4) | instskip(SKIP_3) | instid1(VALU_DEP_2)
	v_xor_b32_e32 v68, s16, v71
	ds_load_b32 v185, v72 offset:1056
	v_and_b32_e32 v69, v69, v70
	v_add_nc_u32_e32 v187, 0x420, v72
	; wave barrier
	v_and_b32_e32 v68, v69, v68
	s_delay_alu instid0(VALU_DEP_1) | instskip(SKIP_1) | instid1(VALU_DEP_2)
	v_mbcnt_lo_u32_b32 v186, v68, 0
	v_cmp_ne_u32_e64 s16, 0, v68
	v_cmp_eq_u32_e32 vcc_lo, 0, v186
	s_delay_alu instid0(VALU_DEP_2) | instskip(NEXT) | instid1(SALU_CYCLE_1)
	s_and_b32 s17, s16, vcc_lo
	s_and_saveexec_b32 s16, s17
	s_cbranch_execz .LBB815_142
; %bb.141:                              ;   in Loop: Header=BB815_98 Depth=2
	s_waitcnt lgkmcnt(0)
	v_bcnt_u32_b32 v68, v68, v185
	ds_store_b32 v187, v68
.LBB815_142:                            ;   in Loop: Header=BB815_98 Depth=2
	s_or_b32 exec_lo, exec_lo, s16
	v_xor_b32_e32 v45, 0x80000000, v45
	; wave barrier
	s_delay_alu instid0(VALU_DEP_1) | instskip(NEXT) | instid1(VALU_DEP_1)
	v_lshrrev_b64 v[68:69], s41, v[44:45]
	v_and_b32_e32 v68, s43, v68
	s_delay_alu instid0(VALU_DEP_1)
	v_and_b32_e32 v69, 1, v68
	v_lshlrev_b32_e32 v70, 30, v68
	v_lshlrev_b32_e32 v71, 29, v68
	;; [unrolled: 1-line block ×4, first 2 shown]
	v_add_co_u32 v69, s16, v69, -1
	s_delay_alu instid0(VALU_DEP_1)
	v_cndmask_b32_e64 v73, 0, 1, s16
	v_not_b32_e32 v189, v70
	v_cmp_gt_i32_e64 s16, 0, v70
	v_not_b32_e32 v70, v71
	v_lshlrev_b32_e32 v75, 26, v68
	v_cmp_ne_u32_e32 vcc_lo, 0, v73
	v_ashrrev_i32_e32 v189, 31, v189
	v_lshlrev_b32_e32 v188, 25, v68
	v_ashrrev_i32_e32 v70, 31, v70
	v_lshlrev_b32_e32 v73, 24, v68
	v_xor_b32_e32 v69, vcc_lo, v69
	v_cmp_gt_i32_e32 vcc_lo, 0, v71
	v_not_b32_e32 v71, v72
	v_xor_b32_e32 v189, s16, v189
	v_cmp_gt_i32_e64 s16, 0, v72
	v_and_b32_e32 v69, exec_lo, v69
	v_not_b32_e32 v72, v74
	v_ashrrev_i32_e32 v71, 31, v71
	v_xor_b32_e32 v70, vcc_lo, v70
	v_cmp_gt_i32_e32 vcc_lo, 0, v74
	v_and_b32_e32 v69, v69, v189
	v_not_b32_e32 v74, v75
	v_ashrrev_i32_e32 v72, 31, v72
	v_xor_b32_e32 v71, s16, v71
	v_cmp_gt_i32_e64 s16, 0, v75
	v_and_b32_e32 v69, v69, v70
	v_not_b32_e32 v70, v188
	v_ashrrev_i32_e32 v74, 31, v74
	v_xor_b32_e32 v72, vcc_lo, v72
	v_cmp_gt_i32_e32 vcc_lo, 0, v188
	v_and_b32_e32 v69, v69, v71
	v_not_b32_e32 v71, v73
	v_ashrrev_i32_e32 v70, 31, v70
	v_xor_b32_e32 v74, s16, v74
	v_mul_u32_u24_e32 v68, 9, v68
	v_and_b32_e32 v69, v69, v72
	v_cmp_gt_i32_e64 s16, 0, v73
	v_ashrrev_i32_e32 v71, 31, v71
	v_xor_b32_e32 v70, vcc_lo, v70
	v_add_lshl_u32 v72, v68, v158, 2
	v_and_b32_e32 v69, v69, v74
	s_delay_alu instid0(VALU_DEP_4) | instskip(SKIP_3) | instid1(VALU_DEP_2)
	v_xor_b32_e32 v68, s16, v71
	ds_load_b32 v188, v72 offset:1056
	v_and_b32_e32 v69, v69, v70
	v_add_nc_u32_e32 v190, 0x420, v72
	; wave barrier
	v_and_b32_e32 v68, v69, v68
	s_delay_alu instid0(VALU_DEP_1) | instskip(SKIP_1) | instid1(VALU_DEP_2)
	v_mbcnt_lo_u32_b32 v189, v68, 0
	v_cmp_ne_u32_e64 s16, 0, v68
	v_cmp_eq_u32_e32 vcc_lo, 0, v189
	s_delay_alu instid0(VALU_DEP_2) | instskip(NEXT) | instid1(SALU_CYCLE_1)
	s_and_b32 s17, s16, vcc_lo
	s_and_saveexec_b32 s16, s17
	s_cbranch_execz .LBB815_144
; %bb.143:                              ;   in Loop: Header=BB815_98 Depth=2
	s_waitcnt lgkmcnt(0)
	v_bcnt_u32_b32 v68, v68, v188
	ds_store_b32 v190, v68
.LBB815_144:                            ;   in Loop: Header=BB815_98 Depth=2
	s_or_b32 exec_lo, exec_lo, s16
	v_xor_b32_e32 v47, 0x80000000, v47
	; wave barrier
	s_delay_alu instid0(VALU_DEP_1) | instskip(NEXT) | instid1(VALU_DEP_1)
	v_lshrrev_b64 v[68:69], s41, v[46:47]
	v_and_b32_e32 v68, s43, v68
	s_delay_alu instid0(VALU_DEP_1)
	v_and_b32_e32 v69, 1, v68
	v_lshlrev_b32_e32 v70, 30, v68
	v_lshlrev_b32_e32 v71, 29, v68
	;; [unrolled: 1-line block ×4, first 2 shown]
	v_add_co_u32 v69, s16, v69, -1
	s_delay_alu instid0(VALU_DEP_1)
	v_cndmask_b32_e64 v73, 0, 1, s16
	v_not_b32_e32 v192, v70
	v_cmp_gt_i32_e64 s16, 0, v70
	v_not_b32_e32 v70, v71
	v_lshlrev_b32_e32 v75, 26, v68
	v_cmp_ne_u32_e32 vcc_lo, 0, v73
	v_ashrrev_i32_e32 v192, 31, v192
	v_lshlrev_b32_e32 v191, 25, v68
	v_ashrrev_i32_e32 v70, 31, v70
	v_lshlrev_b32_e32 v73, 24, v68
	v_xor_b32_e32 v69, vcc_lo, v69
	v_cmp_gt_i32_e32 vcc_lo, 0, v71
	v_not_b32_e32 v71, v72
	v_xor_b32_e32 v192, s16, v192
	v_cmp_gt_i32_e64 s16, 0, v72
	v_and_b32_e32 v69, exec_lo, v69
	v_not_b32_e32 v72, v74
	v_ashrrev_i32_e32 v71, 31, v71
	v_xor_b32_e32 v70, vcc_lo, v70
	v_cmp_gt_i32_e32 vcc_lo, 0, v74
	v_and_b32_e32 v69, v69, v192
	v_not_b32_e32 v74, v75
	v_ashrrev_i32_e32 v72, 31, v72
	v_xor_b32_e32 v71, s16, v71
	v_cmp_gt_i32_e64 s16, 0, v75
	v_and_b32_e32 v69, v69, v70
	v_not_b32_e32 v70, v191
	v_ashrrev_i32_e32 v74, 31, v74
	v_xor_b32_e32 v72, vcc_lo, v72
	v_cmp_gt_i32_e32 vcc_lo, 0, v191
	v_and_b32_e32 v69, v69, v71
	v_not_b32_e32 v71, v73
	v_ashrrev_i32_e32 v70, 31, v70
	v_xor_b32_e32 v74, s16, v74
	v_mul_u32_u24_e32 v68, 9, v68
	v_and_b32_e32 v69, v69, v72
	v_cmp_gt_i32_e64 s16, 0, v73
	v_ashrrev_i32_e32 v71, 31, v71
	v_xor_b32_e32 v70, vcc_lo, v70
	v_add_lshl_u32 v72, v68, v158, 2
	v_and_b32_e32 v69, v69, v74
	s_delay_alu instid0(VALU_DEP_4) | instskip(SKIP_3) | instid1(VALU_DEP_2)
	v_xor_b32_e32 v68, s16, v71
	ds_load_b32 v191, v72 offset:1056
	v_and_b32_e32 v69, v69, v70
	v_add_nc_u32_e32 v193, 0x420, v72
	; wave barrier
	v_and_b32_e32 v68, v69, v68
	s_delay_alu instid0(VALU_DEP_1) | instskip(SKIP_1) | instid1(VALU_DEP_2)
	v_mbcnt_lo_u32_b32 v192, v68, 0
	v_cmp_ne_u32_e64 s16, 0, v68
	v_cmp_eq_u32_e32 vcc_lo, 0, v192
	s_delay_alu instid0(VALU_DEP_2) | instskip(NEXT) | instid1(SALU_CYCLE_1)
	s_and_b32 s17, s16, vcc_lo
	s_and_saveexec_b32 s16, s17
	s_cbranch_execz .LBB815_146
; %bb.145:                              ;   in Loop: Header=BB815_98 Depth=2
	s_waitcnt lgkmcnt(0)
	v_bcnt_u32_b32 v68, v68, v191
	ds_store_b32 v193, v68
.LBB815_146:                            ;   in Loop: Header=BB815_98 Depth=2
	s_or_b32 exec_lo, exec_lo, s16
	v_xor_b32_e32 v49, 0x80000000, v49
	; wave barrier
	s_delay_alu instid0(VALU_DEP_1) | instskip(NEXT) | instid1(VALU_DEP_1)
	v_lshrrev_b64 v[68:69], s41, v[48:49]
	v_and_b32_e32 v68, s43, v68
	s_delay_alu instid0(VALU_DEP_1)
	v_and_b32_e32 v69, 1, v68
	v_lshlrev_b32_e32 v70, 30, v68
	v_lshlrev_b32_e32 v71, 29, v68
	v_lshlrev_b32_e32 v72, 28, v68
	v_lshlrev_b32_e32 v74, 27, v68
	v_add_co_u32 v69, s16, v69, -1
	s_delay_alu instid0(VALU_DEP_1)
	v_cndmask_b32_e64 v73, 0, 1, s16
	v_not_b32_e32 v195, v70
	v_cmp_gt_i32_e64 s16, 0, v70
	v_not_b32_e32 v70, v71
	v_lshlrev_b32_e32 v75, 26, v68
	v_cmp_ne_u32_e32 vcc_lo, 0, v73
	v_ashrrev_i32_e32 v195, 31, v195
	v_lshlrev_b32_e32 v194, 25, v68
	v_ashrrev_i32_e32 v70, 31, v70
	v_lshlrev_b32_e32 v73, 24, v68
	v_xor_b32_e32 v69, vcc_lo, v69
	v_cmp_gt_i32_e32 vcc_lo, 0, v71
	v_not_b32_e32 v71, v72
	v_xor_b32_e32 v195, s16, v195
	v_cmp_gt_i32_e64 s16, 0, v72
	v_and_b32_e32 v69, exec_lo, v69
	v_not_b32_e32 v72, v74
	v_ashrrev_i32_e32 v71, 31, v71
	v_xor_b32_e32 v70, vcc_lo, v70
	v_cmp_gt_i32_e32 vcc_lo, 0, v74
	v_and_b32_e32 v69, v69, v195
	v_not_b32_e32 v74, v75
	v_ashrrev_i32_e32 v72, 31, v72
	v_xor_b32_e32 v71, s16, v71
	v_cmp_gt_i32_e64 s16, 0, v75
	v_and_b32_e32 v69, v69, v70
	v_not_b32_e32 v70, v194
	v_ashrrev_i32_e32 v74, 31, v74
	v_xor_b32_e32 v72, vcc_lo, v72
	v_cmp_gt_i32_e32 vcc_lo, 0, v194
	v_and_b32_e32 v69, v69, v71
	v_not_b32_e32 v71, v73
	v_ashrrev_i32_e32 v70, 31, v70
	v_xor_b32_e32 v74, s16, v74
	v_mul_u32_u24_e32 v68, 9, v68
	v_and_b32_e32 v69, v69, v72
	v_cmp_gt_i32_e64 s16, 0, v73
	v_ashrrev_i32_e32 v71, 31, v71
	v_xor_b32_e32 v70, vcc_lo, v70
	v_add_lshl_u32 v72, v68, v158, 2
	v_and_b32_e32 v69, v69, v74
	s_delay_alu instid0(VALU_DEP_4) | instskip(SKIP_3) | instid1(VALU_DEP_2)
	v_xor_b32_e32 v68, s16, v71
	ds_load_b32 v194, v72 offset:1056
	v_and_b32_e32 v69, v69, v70
	v_add_nc_u32_e32 v196, 0x420, v72
	; wave barrier
	v_and_b32_e32 v68, v69, v68
	s_delay_alu instid0(VALU_DEP_1) | instskip(SKIP_1) | instid1(VALU_DEP_2)
	v_mbcnt_lo_u32_b32 v195, v68, 0
	v_cmp_ne_u32_e64 s16, 0, v68
	v_cmp_eq_u32_e32 vcc_lo, 0, v195
	s_delay_alu instid0(VALU_DEP_2) | instskip(NEXT) | instid1(SALU_CYCLE_1)
	s_and_b32 s17, s16, vcc_lo
	s_and_saveexec_b32 s16, s17
	s_cbranch_execz .LBB815_148
; %bb.147:                              ;   in Loop: Header=BB815_98 Depth=2
	s_waitcnt lgkmcnt(0)
	v_bcnt_u32_b32 v68, v68, v194
	ds_store_b32 v196, v68
.LBB815_148:                            ;   in Loop: Header=BB815_98 Depth=2
	s_or_b32 exec_lo, exec_lo, s16
	v_xor_b32_e32 v51, 0x80000000, v51
	; wave barrier
	s_delay_alu instid0(VALU_DEP_1) | instskip(NEXT) | instid1(VALU_DEP_1)
	v_lshrrev_b64 v[68:69], s41, v[50:51]
	v_and_b32_e32 v68, s43, v68
	s_delay_alu instid0(VALU_DEP_1)
	v_and_b32_e32 v69, 1, v68
	v_lshlrev_b32_e32 v70, 30, v68
	v_lshlrev_b32_e32 v71, 29, v68
	;; [unrolled: 1-line block ×4, first 2 shown]
	v_add_co_u32 v69, s16, v69, -1
	s_delay_alu instid0(VALU_DEP_1)
	v_cndmask_b32_e64 v73, 0, 1, s16
	v_not_b32_e32 v198, v70
	v_cmp_gt_i32_e64 s16, 0, v70
	v_not_b32_e32 v70, v71
	v_lshlrev_b32_e32 v75, 26, v68
	v_cmp_ne_u32_e32 vcc_lo, 0, v73
	v_ashrrev_i32_e32 v198, 31, v198
	v_lshlrev_b32_e32 v197, 25, v68
	v_ashrrev_i32_e32 v70, 31, v70
	v_lshlrev_b32_e32 v73, 24, v68
	v_xor_b32_e32 v69, vcc_lo, v69
	v_cmp_gt_i32_e32 vcc_lo, 0, v71
	v_not_b32_e32 v71, v72
	v_xor_b32_e32 v198, s16, v198
	v_cmp_gt_i32_e64 s16, 0, v72
	v_and_b32_e32 v69, exec_lo, v69
	v_not_b32_e32 v72, v74
	v_ashrrev_i32_e32 v71, 31, v71
	v_xor_b32_e32 v70, vcc_lo, v70
	v_cmp_gt_i32_e32 vcc_lo, 0, v74
	v_and_b32_e32 v69, v69, v198
	v_not_b32_e32 v74, v75
	v_ashrrev_i32_e32 v72, 31, v72
	v_xor_b32_e32 v71, s16, v71
	v_cmp_gt_i32_e64 s16, 0, v75
	v_and_b32_e32 v69, v69, v70
	v_not_b32_e32 v70, v197
	v_ashrrev_i32_e32 v74, 31, v74
	v_xor_b32_e32 v72, vcc_lo, v72
	v_cmp_gt_i32_e32 vcc_lo, 0, v197
	v_and_b32_e32 v69, v69, v71
	v_not_b32_e32 v71, v73
	v_ashrrev_i32_e32 v70, 31, v70
	v_xor_b32_e32 v74, s16, v74
	v_mul_u32_u24_e32 v68, 9, v68
	v_and_b32_e32 v69, v69, v72
	v_cmp_gt_i32_e64 s16, 0, v73
	v_ashrrev_i32_e32 v71, 31, v71
	v_xor_b32_e32 v70, vcc_lo, v70
	v_add_lshl_u32 v72, v68, v158, 2
	v_and_b32_e32 v69, v69, v74
	s_delay_alu instid0(VALU_DEP_4) | instskip(SKIP_3) | instid1(VALU_DEP_2)
	v_xor_b32_e32 v68, s16, v71
	ds_load_b32 v197, v72 offset:1056
	v_and_b32_e32 v69, v69, v70
	v_add_nc_u32_e32 v199, 0x420, v72
	; wave barrier
	v_and_b32_e32 v68, v69, v68
	s_delay_alu instid0(VALU_DEP_1) | instskip(SKIP_1) | instid1(VALU_DEP_2)
	v_mbcnt_lo_u32_b32 v198, v68, 0
	v_cmp_ne_u32_e64 s16, 0, v68
	v_cmp_eq_u32_e32 vcc_lo, 0, v198
	s_delay_alu instid0(VALU_DEP_2) | instskip(NEXT) | instid1(SALU_CYCLE_1)
	s_and_b32 s17, s16, vcc_lo
	s_and_saveexec_b32 s16, s17
	s_cbranch_execz .LBB815_150
; %bb.149:                              ;   in Loop: Header=BB815_98 Depth=2
	s_waitcnt lgkmcnt(0)
	v_bcnt_u32_b32 v68, v68, v197
	ds_store_b32 v199, v68
.LBB815_150:                            ;   in Loop: Header=BB815_98 Depth=2
	s_or_b32 exec_lo, exec_lo, s16
	v_xor_b32_e32 v53, 0x80000000, v53
	; wave barrier
	s_delay_alu instid0(VALU_DEP_1) | instskip(NEXT) | instid1(VALU_DEP_1)
	v_lshrrev_b64 v[68:69], s41, v[52:53]
	v_and_b32_e32 v68, s43, v68
	s_delay_alu instid0(VALU_DEP_1)
	v_and_b32_e32 v69, 1, v68
	v_lshlrev_b32_e32 v70, 30, v68
	v_lshlrev_b32_e32 v71, 29, v68
	;; [unrolled: 1-line block ×4, first 2 shown]
	v_add_co_u32 v69, s16, v69, -1
	s_delay_alu instid0(VALU_DEP_1)
	v_cndmask_b32_e64 v73, 0, 1, s16
	v_not_b32_e32 v201, v70
	v_cmp_gt_i32_e64 s16, 0, v70
	v_not_b32_e32 v70, v71
	v_lshlrev_b32_e32 v75, 26, v68
	v_cmp_ne_u32_e32 vcc_lo, 0, v73
	v_ashrrev_i32_e32 v201, 31, v201
	v_lshlrev_b32_e32 v200, 25, v68
	v_ashrrev_i32_e32 v70, 31, v70
	v_lshlrev_b32_e32 v73, 24, v68
	v_xor_b32_e32 v69, vcc_lo, v69
	v_cmp_gt_i32_e32 vcc_lo, 0, v71
	v_not_b32_e32 v71, v72
	v_xor_b32_e32 v201, s16, v201
	v_cmp_gt_i32_e64 s16, 0, v72
	v_and_b32_e32 v69, exec_lo, v69
	v_not_b32_e32 v72, v74
	v_ashrrev_i32_e32 v71, 31, v71
	v_xor_b32_e32 v70, vcc_lo, v70
	v_cmp_gt_i32_e32 vcc_lo, 0, v74
	v_and_b32_e32 v69, v69, v201
	v_not_b32_e32 v74, v75
	v_ashrrev_i32_e32 v72, 31, v72
	v_xor_b32_e32 v71, s16, v71
	v_cmp_gt_i32_e64 s16, 0, v75
	v_and_b32_e32 v69, v69, v70
	v_not_b32_e32 v70, v200
	v_ashrrev_i32_e32 v74, 31, v74
	v_xor_b32_e32 v72, vcc_lo, v72
	v_cmp_gt_i32_e32 vcc_lo, 0, v200
	v_and_b32_e32 v69, v69, v71
	v_not_b32_e32 v71, v73
	v_ashrrev_i32_e32 v70, 31, v70
	v_xor_b32_e32 v74, s16, v74
	v_mul_u32_u24_e32 v68, 9, v68
	v_and_b32_e32 v69, v69, v72
	v_cmp_gt_i32_e64 s16, 0, v73
	v_ashrrev_i32_e32 v71, 31, v71
	v_xor_b32_e32 v70, vcc_lo, v70
	v_add_lshl_u32 v72, v68, v158, 2
	v_and_b32_e32 v69, v69, v74
	s_delay_alu instid0(VALU_DEP_4) | instskip(SKIP_3) | instid1(VALU_DEP_2)
	v_xor_b32_e32 v68, s16, v71
	ds_load_b32 v200, v72 offset:1056
	v_and_b32_e32 v69, v69, v70
	v_add_nc_u32_e32 v202, 0x420, v72
	; wave barrier
	v_and_b32_e32 v68, v69, v68
	s_delay_alu instid0(VALU_DEP_1) | instskip(SKIP_1) | instid1(VALU_DEP_2)
	v_mbcnt_lo_u32_b32 v201, v68, 0
	v_cmp_ne_u32_e64 s16, 0, v68
	v_cmp_eq_u32_e32 vcc_lo, 0, v201
	s_delay_alu instid0(VALU_DEP_2) | instskip(NEXT) | instid1(SALU_CYCLE_1)
	s_and_b32 s17, s16, vcc_lo
	s_and_saveexec_b32 s16, s17
	s_cbranch_execz .LBB815_152
; %bb.151:                              ;   in Loop: Header=BB815_98 Depth=2
	s_waitcnt lgkmcnt(0)
	v_bcnt_u32_b32 v68, v68, v200
	ds_store_b32 v202, v68
.LBB815_152:                            ;   in Loop: Header=BB815_98 Depth=2
	s_or_b32 exec_lo, exec_lo, s16
	v_xor_b32_e32 v55, 0x80000000, v55
	; wave barrier
	s_delay_alu instid0(VALU_DEP_1) | instskip(NEXT) | instid1(VALU_DEP_1)
	v_lshrrev_b64 v[68:69], s41, v[54:55]
	v_and_b32_e32 v68, s43, v68
	s_delay_alu instid0(VALU_DEP_1)
	v_and_b32_e32 v69, 1, v68
	v_lshlrev_b32_e32 v70, 30, v68
	v_lshlrev_b32_e32 v71, 29, v68
	;; [unrolled: 1-line block ×4, first 2 shown]
	v_add_co_u32 v69, s16, v69, -1
	s_delay_alu instid0(VALU_DEP_1)
	v_cndmask_b32_e64 v73, 0, 1, s16
	v_not_b32_e32 v204, v70
	v_cmp_gt_i32_e64 s16, 0, v70
	v_not_b32_e32 v70, v71
	v_lshlrev_b32_e32 v75, 26, v68
	v_cmp_ne_u32_e32 vcc_lo, 0, v73
	v_ashrrev_i32_e32 v204, 31, v204
	v_lshlrev_b32_e32 v203, 25, v68
	v_ashrrev_i32_e32 v70, 31, v70
	v_lshlrev_b32_e32 v73, 24, v68
	v_xor_b32_e32 v69, vcc_lo, v69
	v_cmp_gt_i32_e32 vcc_lo, 0, v71
	v_not_b32_e32 v71, v72
	v_xor_b32_e32 v204, s16, v204
	v_cmp_gt_i32_e64 s16, 0, v72
	v_and_b32_e32 v69, exec_lo, v69
	v_not_b32_e32 v72, v74
	v_ashrrev_i32_e32 v71, 31, v71
	v_xor_b32_e32 v70, vcc_lo, v70
	v_cmp_gt_i32_e32 vcc_lo, 0, v74
	v_and_b32_e32 v69, v69, v204
	v_not_b32_e32 v74, v75
	v_ashrrev_i32_e32 v72, 31, v72
	v_xor_b32_e32 v71, s16, v71
	v_cmp_gt_i32_e64 s16, 0, v75
	v_and_b32_e32 v69, v69, v70
	v_not_b32_e32 v70, v203
	v_ashrrev_i32_e32 v74, 31, v74
	v_xor_b32_e32 v72, vcc_lo, v72
	v_cmp_gt_i32_e32 vcc_lo, 0, v203
	v_and_b32_e32 v69, v69, v71
	v_not_b32_e32 v71, v73
	v_ashrrev_i32_e32 v70, 31, v70
	v_xor_b32_e32 v74, s16, v74
	v_mul_u32_u24_e32 v68, 9, v68
	v_and_b32_e32 v69, v69, v72
	v_cmp_gt_i32_e64 s16, 0, v73
	v_ashrrev_i32_e32 v71, 31, v71
	v_xor_b32_e32 v70, vcc_lo, v70
	v_add_lshl_u32 v72, v68, v158, 2
	v_and_b32_e32 v69, v69, v74
	s_delay_alu instid0(VALU_DEP_4) | instskip(SKIP_3) | instid1(VALU_DEP_2)
	v_xor_b32_e32 v68, s16, v71
	ds_load_b32 v203, v72 offset:1056
	v_and_b32_e32 v69, v69, v70
	v_add_nc_u32_e32 v205, 0x420, v72
	; wave barrier
	v_and_b32_e32 v68, v69, v68
	s_delay_alu instid0(VALU_DEP_1) | instskip(SKIP_1) | instid1(VALU_DEP_2)
	v_mbcnt_lo_u32_b32 v204, v68, 0
	v_cmp_ne_u32_e64 s16, 0, v68
	v_cmp_eq_u32_e32 vcc_lo, 0, v204
	s_delay_alu instid0(VALU_DEP_2) | instskip(NEXT) | instid1(SALU_CYCLE_1)
	s_and_b32 s17, s16, vcc_lo
	s_and_saveexec_b32 s16, s17
	s_cbranch_execz .LBB815_154
; %bb.153:                              ;   in Loop: Header=BB815_98 Depth=2
	s_waitcnt lgkmcnt(0)
	v_bcnt_u32_b32 v68, v68, v203
	ds_store_b32 v205, v68
.LBB815_154:                            ;   in Loop: Header=BB815_98 Depth=2
	s_or_b32 exec_lo, exec_lo, s16
	v_xor_b32_e32 v57, 0x80000000, v57
	; wave barrier
	s_delay_alu instid0(VALU_DEP_1) | instskip(NEXT) | instid1(VALU_DEP_1)
	v_lshrrev_b64 v[68:69], s41, v[56:57]
	v_and_b32_e32 v68, s43, v68
	s_delay_alu instid0(VALU_DEP_1)
	v_and_b32_e32 v69, 1, v68
	v_lshlrev_b32_e32 v70, 30, v68
	v_lshlrev_b32_e32 v71, 29, v68
	;; [unrolled: 1-line block ×4, first 2 shown]
	v_add_co_u32 v69, s16, v69, -1
	s_delay_alu instid0(VALU_DEP_1)
	v_cndmask_b32_e64 v73, 0, 1, s16
	v_not_b32_e32 v207, v70
	v_cmp_gt_i32_e64 s16, 0, v70
	v_not_b32_e32 v70, v71
	v_lshlrev_b32_e32 v75, 26, v68
	v_cmp_ne_u32_e32 vcc_lo, 0, v73
	v_ashrrev_i32_e32 v207, 31, v207
	v_lshlrev_b32_e32 v206, 25, v68
	v_ashrrev_i32_e32 v70, 31, v70
	v_lshlrev_b32_e32 v73, 24, v68
	v_xor_b32_e32 v69, vcc_lo, v69
	v_cmp_gt_i32_e32 vcc_lo, 0, v71
	v_not_b32_e32 v71, v72
	v_xor_b32_e32 v207, s16, v207
	v_cmp_gt_i32_e64 s16, 0, v72
	v_and_b32_e32 v69, exec_lo, v69
	v_not_b32_e32 v72, v74
	v_ashrrev_i32_e32 v71, 31, v71
	v_xor_b32_e32 v70, vcc_lo, v70
	v_cmp_gt_i32_e32 vcc_lo, 0, v74
	v_and_b32_e32 v69, v69, v207
	v_not_b32_e32 v74, v75
	v_ashrrev_i32_e32 v72, 31, v72
	v_xor_b32_e32 v71, s16, v71
	v_cmp_gt_i32_e64 s16, 0, v75
	v_and_b32_e32 v69, v69, v70
	v_not_b32_e32 v70, v206
	v_ashrrev_i32_e32 v74, 31, v74
	v_xor_b32_e32 v72, vcc_lo, v72
	v_cmp_gt_i32_e32 vcc_lo, 0, v206
	v_and_b32_e32 v69, v69, v71
	v_not_b32_e32 v71, v73
	v_ashrrev_i32_e32 v70, 31, v70
	v_xor_b32_e32 v74, s16, v74
	v_mul_u32_u24_e32 v68, 9, v68
	v_and_b32_e32 v69, v69, v72
	v_cmp_gt_i32_e64 s16, 0, v73
	v_ashrrev_i32_e32 v71, 31, v71
	v_xor_b32_e32 v70, vcc_lo, v70
	v_add_lshl_u32 v72, v68, v158, 2
	v_and_b32_e32 v69, v69, v74
	s_delay_alu instid0(VALU_DEP_4) | instskip(SKIP_3) | instid1(VALU_DEP_2)
	v_xor_b32_e32 v68, s16, v71
	ds_load_b32 v206, v72 offset:1056
	v_and_b32_e32 v69, v69, v70
	v_add_nc_u32_e32 v208, 0x420, v72
	; wave barrier
	v_and_b32_e32 v68, v69, v68
	s_delay_alu instid0(VALU_DEP_1) | instskip(SKIP_1) | instid1(VALU_DEP_2)
	v_mbcnt_lo_u32_b32 v207, v68, 0
	v_cmp_ne_u32_e64 s16, 0, v68
	v_cmp_eq_u32_e32 vcc_lo, 0, v207
	s_delay_alu instid0(VALU_DEP_2) | instskip(NEXT) | instid1(SALU_CYCLE_1)
	s_and_b32 s17, s16, vcc_lo
	s_and_saveexec_b32 s16, s17
	s_cbranch_execz .LBB815_156
; %bb.155:                              ;   in Loop: Header=BB815_98 Depth=2
	s_waitcnt lgkmcnt(0)
	v_bcnt_u32_b32 v68, v68, v206
	ds_store_b32 v208, v68
.LBB815_156:                            ;   in Loop: Header=BB815_98 Depth=2
	s_or_b32 exec_lo, exec_lo, s16
	v_xor_b32_e32 v59, 0x80000000, v59
	; wave barrier
	s_delay_alu instid0(VALU_DEP_1) | instskip(NEXT) | instid1(VALU_DEP_1)
	v_lshrrev_b64 v[68:69], s41, v[58:59]
	v_and_b32_e32 v68, s43, v68
	s_delay_alu instid0(VALU_DEP_1)
	v_and_b32_e32 v69, 1, v68
	v_lshlrev_b32_e32 v70, 30, v68
	v_lshlrev_b32_e32 v71, 29, v68
	;; [unrolled: 1-line block ×4, first 2 shown]
	v_add_co_u32 v69, s16, v69, -1
	s_delay_alu instid0(VALU_DEP_1)
	v_cndmask_b32_e64 v73, 0, 1, s16
	v_not_b32_e32 v210, v70
	v_cmp_gt_i32_e64 s16, 0, v70
	v_not_b32_e32 v70, v71
	v_lshlrev_b32_e32 v75, 26, v68
	v_cmp_ne_u32_e32 vcc_lo, 0, v73
	v_ashrrev_i32_e32 v210, 31, v210
	v_lshlrev_b32_e32 v209, 25, v68
	v_ashrrev_i32_e32 v70, 31, v70
	v_lshlrev_b32_e32 v73, 24, v68
	v_xor_b32_e32 v69, vcc_lo, v69
	v_cmp_gt_i32_e32 vcc_lo, 0, v71
	v_not_b32_e32 v71, v72
	v_xor_b32_e32 v210, s16, v210
	v_cmp_gt_i32_e64 s16, 0, v72
	v_and_b32_e32 v69, exec_lo, v69
	v_not_b32_e32 v72, v74
	v_ashrrev_i32_e32 v71, 31, v71
	v_xor_b32_e32 v70, vcc_lo, v70
	v_cmp_gt_i32_e32 vcc_lo, 0, v74
	v_and_b32_e32 v69, v69, v210
	v_not_b32_e32 v74, v75
	v_ashrrev_i32_e32 v72, 31, v72
	v_xor_b32_e32 v71, s16, v71
	v_cmp_gt_i32_e64 s16, 0, v75
	v_and_b32_e32 v69, v69, v70
	v_not_b32_e32 v70, v209
	v_ashrrev_i32_e32 v74, 31, v74
	v_xor_b32_e32 v72, vcc_lo, v72
	v_cmp_gt_i32_e32 vcc_lo, 0, v209
	v_and_b32_e32 v69, v69, v71
	v_not_b32_e32 v71, v73
	v_ashrrev_i32_e32 v70, 31, v70
	v_xor_b32_e32 v74, s16, v74
	v_mul_u32_u24_e32 v68, 9, v68
	v_and_b32_e32 v69, v69, v72
	v_cmp_gt_i32_e64 s16, 0, v73
	v_ashrrev_i32_e32 v71, 31, v71
	v_xor_b32_e32 v70, vcc_lo, v70
	v_add_lshl_u32 v72, v68, v158, 2
	v_and_b32_e32 v69, v69, v74
	s_delay_alu instid0(VALU_DEP_4) | instskip(SKIP_3) | instid1(VALU_DEP_2)
	v_xor_b32_e32 v68, s16, v71
	ds_load_b32 v209, v72 offset:1056
	v_and_b32_e32 v69, v69, v70
	v_add_nc_u32_e32 v211, 0x420, v72
	; wave barrier
	v_and_b32_e32 v68, v69, v68
	s_delay_alu instid0(VALU_DEP_1) | instskip(SKIP_1) | instid1(VALU_DEP_2)
	v_mbcnt_lo_u32_b32 v210, v68, 0
	v_cmp_ne_u32_e64 s16, 0, v68
	v_cmp_eq_u32_e32 vcc_lo, 0, v210
	s_delay_alu instid0(VALU_DEP_2) | instskip(NEXT) | instid1(SALU_CYCLE_1)
	s_and_b32 s17, s16, vcc_lo
	s_and_saveexec_b32 s16, s17
	s_cbranch_execz .LBB815_158
; %bb.157:                              ;   in Loop: Header=BB815_98 Depth=2
	s_waitcnt lgkmcnt(0)
	v_bcnt_u32_b32 v68, v68, v209
	ds_store_b32 v211, v68
.LBB815_158:                            ;   in Loop: Header=BB815_98 Depth=2
	s_or_b32 exec_lo, exec_lo, s16
	v_xor_b32_e32 v61, 0x80000000, v61
	; wave barrier
	s_delay_alu instid0(VALU_DEP_1) | instskip(NEXT) | instid1(VALU_DEP_1)
	v_lshrrev_b64 v[68:69], s41, v[60:61]
	v_and_b32_e32 v68, s43, v68
	s_delay_alu instid0(VALU_DEP_1)
	v_and_b32_e32 v69, 1, v68
	v_lshlrev_b32_e32 v70, 30, v68
	v_lshlrev_b32_e32 v71, 29, v68
	;; [unrolled: 1-line block ×4, first 2 shown]
	v_add_co_u32 v69, s16, v69, -1
	s_delay_alu instid0(VALU_DEP_1)
	v_cndmask_b32_e64 v73, 0, 1, s16
	v_not_b32_e32 v213, v70
	v_cmp_gt_i32_e64 s16, 0, v70
	v_not_b32_e32 v70, v71
	v_lshlrev_b32_e32 v75, 26, v68
	v_cmp_ne_u32_e32 vcc_lo, 0, v73
	v_ashrrev_i32_e32 v213, 31, v213
	v_lshlrev_b32_e32 v212, 25, v68
	v_ashrrev_i32_e32 v70, 31, v70
	v_lshlrev_b32_e32 v73, 24, v68
	v_xor_b32_e32 v69, vcc_lo, v69
	v_cmp_gt_i32_e32 vcc_lo, 0, v71
	v_not_b32_e32 v71, v72
	v_xor_b32_e32 v213, s16, v213
	v_cmp_gt_i32_e64 s16, 0, v72
	v_and_b32_e32 v69, exec_lo, v69
	v_not_b32_e32 v72, v74
	v_ashrrev_i32_e32 v71, 31, v71
	v_xor_b32_e32 v70, vcc_lo, v70
	v_cmp_gt_i32_e32 vcc_lo, 0, v74
	v_and_b32_e32 v69, v69, v213
	v_not_b32_e32 v74, v75
	v_ashrrev_i32_e32 v72, 31, v72
	v_xor_b32_e32 v71, s16, v71
	v_cmp_gt_i32_e64 s16, 0, v75
	v_and_b32_e32 v69, v69, v70
	v_not_b32_e32 v70, v212
	v_ashrrev_i32_e32 v74, 31, v74
	v_xor_b32_e32 v72, vcc_lo, v72
	v_cmp_gt_i32_e32 vcc_lo, 0, v212
	v_and_b32_e32 v69, v69, v71
	v_not_b32_e32 v71, v73
	v_ashrrev_i32_e32 v70, 31, v70
	v_xor_b32_e32 v74, s16, v74
	v_mul_u32_u24_e32 v68, 9, v68
	v_and_b32_e32 v69, v69, v72
	v_cmp_gt_i32_e64 s16, 0, v73
	v_ashrrev_i32_e32 v71, 31, v71
	v_xor_b32_e32 v70, vcc_lo, v70
	v_add_lshl_u32 v72, v68, v158, 2
	v_and_b32_e32 v69, v69, v74
	s_delay_alu instid0(VALU_DEP_4) | instskip(SKIP_3) | instid1(VALU_DEP_2)
	v_xor_b32_e32 v68, s16, v71
	ds_load_b32 v212, v72 offset:1056
	v_and_b32_e32 v69, v69, v70
	v_add_nc_u32_e32 v214, 0x420, v72
	; wave barrier
	v_and_b32_e32 v68, v69, v68
	s_delay_alu instid0(VALU_DEP_1) | instskip(SKIP_1) | instid1(VALU_DEP_2)
	v_mbcnt_lo_u32_b32 v213, v68, 0
	v_cmp_ne_u32_e64 s16, 0, v68
	v_cmp_eq_u32_e32 vcc_lo, 0, v213
	s_delay_alu instid0(VALU_DEP_2) | instskip(NEXT) | instid1(SALU_CYCLE_1)
	s_and_b32 s17, s16, vcc_lo
	s_and_saveexec_b32 s16, s17
	s_cbranch_execz .LBB815_160
; %bb.159:                              ;   in Loop: Header=BB815_98 Depth=2
	s_waitcnt lgkmcnt(0)
	v_bcnt_u32_b32 v68, v68, v212
	ds_store_b32 v214, v68
.LBB815_160:                            ;   in Loop: Header=BB815_98 Depth=2
	s_or_b32 exec_lo, exec_lo, s16
	v_xor_b32_e32 v63, 0x80000000, v63
	; wave barrier
	s_delay_alu instid0(VALU_DEP_1) | instskip(NEXT) | instid1(VALU_DEP_1)
	v_lshrrev_b64 v[68:69], s41, v[62:63]
	v_and_b32_e32 v68, s43, v68
	s_delay_alu instid0(VALU_DEP_1)
	v_and_b32_e32 v69, 1, v68
	v_lshlrev_b32_e32 v70, 30, v68
	v_lshlrev_b32_e32 v71, 29, v68
	;; [unrolled: 1-line block ×4, first 2 shown]
	v_add_co_u32 v69, s16, v69, -1
	s_delay_alu instid0(VALU_DEP_1)
	v_cndmask_b32_e64 v73, 0, 1, s16
	v_not_b32_e32 v216, v70
	v_cmp_gt_i32_e64 s16, 0, v70
	v_not_b32_e32 v70, v71
	v_lshlrev_b32_e32 v75, 26, v68
	v_cmp_ne_u32_e32 vcc_lo, 0, v73
	v_ashrrev_i32_e32 v216, 31, v216
	v_lshlrev_b32_e32 v215, 25, v68
	v_ashrrev_i32_e32 v70, 31, v70
	v_lshlrev_b32_e32 v73, 24, v68
	v_xor_b32_e32 v69, vcc_lo, v69
	v_cmp_gt_i32_e32 vcc_lo, 0, v71
	v_not_b32_e32 v71, v72
	v_xor_b32_e32 v216, s16, v216
	v_cmp_gt_i32_e64 s16, 0, v72
	v_and_b32_e32 v69, exec_lo, v69
	v_not_b32_e32 v72, v74
	v_ashrrev_i32_e32 v71, 31, v71
	v_xor_b32_e32 v70, vcc_lo, v70
	v_cmp_gt_i32_e32 vcc_lo, 0, v74
	v_and_b32_e32 v69, v69, v216
	v_not_b32_e32 v74, v75
	v_ashrrev_i32_e32 v72, 31, v72
	v_xor_b32_e32 v71, s16, v71
	v_cmp_gt_i32_e64 s16, 0, v75
	v_and_b32_e32 v69, v69, v70
	v_not_b32_e32 v70, v215
	v_ashrrev_i32_e32 v74, 31, v74
	v_xor_b32_e32 v72, vcc_lo, v72
	v_cmp_gt_i32_e32 vcc_lo, 0, v215
	v_and_b32_e32 v69, v69, v71
	v_not_b32_e32 v71, v73
	v_ashrrev_i32_e32 v70, 31, v70
	v_xor_b32_e32 v74, s16, v74
	v_mul_u32_u24_e32 v68, 9, v68
	v_and_b32_e32 v69, v69, v72
	v_cmp_gt_i32_e64 s16, 0, v73
	v_ashrrev_i32_e32 v71, 31, v71
	v_xor_b32_e32 v70, vcc_lo, v70
	v_add_lshl_u32 v72, v68, v158, 2
	v_and_b32_e32 v69, v69, v74
	s_delay_alu instid0(VALU_DEP_4) | instskip(SKIP_3) | instid1(VALU_DEP_2)
	v_xor_b32_e32 v68, s16, v71
	ds_load_b32 v215, v72 offset:1056
	v_and_b32_e32 v69, v69, v70
	v_add_nc_u32_e32 v217, 0x420, v72
	; wave barrier
	v_and_b32_e32 v68, v69, v68
	s_delay_alu instid0(VALU_DEP_1) | instskip(SKIP_1) | instid1(VALU_DEP_2)
	v_mbcnt_lo_u32_b32 v216, v68, 0
	v_cmp_ne_u32_e64 s16, 0, v68
	v_cmp_eq_u32_e32 vcc_lo, 0, v216
	s_delay_alu instid0(VALU_DEP_2) | instskip(NEXT) | instid1(SALU_CYCLE_1)
	s_and_b32 s17, s16, vcc_lo
	s_and_saveexec_b32 s16, s17
	s_cbranch_execz .LBB815_162
; %bb.161:                              ;   in Loop: Header=BB815_98 Depth=2
	s_waitcnt lgkmcnt(0)
	v_bcnt_u32_b32 v68, v68, v215
	ds_store_b32 v217, v68
.LBB815_162:                            ;   in Loop: Header=BB815_98 Depth=2
	s_or_b32 exec_lo, exec_lo, s16
	v_xor_b32_e32 v65, 0x80000000, v65
	; wave barrier
	s_delay_alu instid0(VALU_DEP_1) | instskip(NEXT) | instid1(VALU_DEP_1)
	v_lshrrev_b64 v[68:69], s41, v[64:65]
	v_and_b32_e32 v68, s43, v68
	s_delay_alu instid0(VALU_DEP_1)
	v_and_b32_e32 v69, 1, v68
	v_lshlrev_b32_e32 v70, 30, v68
	v_lshlrev_b32_e32 v71, 29, v68
	v_lshlrev_b32_e32 v72, 28, v68
	v_lshlrev_b32_e32 v74, 27, v68
	v_add_co_u32 v69, s16, v69, -1
	s_delay_alu instid0(VALU_DEP_1)
	v_cndmask_b32_e64 v73, 0, 1, s16
	v_not_b32_e32 v219, v70
	v_cmp_gt_i32_e64 s16, 0, v70
	v_not_b32_e32 v70, v71
	v_lshlrev_b32_e32 v75, 26, v68
	v_cmp_ne_u32_e32 vcc_lo, 0, v73
	v_ashrrev_i32_e32 v219, 31, v219
	v_lshlrev_b32_e32 v218, 25, v68
	v_ashrrev_i32_e32 v70, 31, v70
	v_lshlrev_b32_e32 v73, 24, v68
	v_xor_b32_e32 v69, vcc_lo, v69
	v_cmp_gt_i32_e32 vcc_lo, 0, v71
	v_not_b32_e32 v71, v72
	v_xor_b32_e32 v219, s16, v219
	v_cmp_gt_i32_e64 s16, 0, v72
	v_and_b32_e32 v69, exec_lo, v69
	v_not_b32_e32 v72, v74
	v_ashrrev_i32_e32 v71, 31, v71
	v_xor_b32_e32 v70, vcc_lo, v70
	v_cmp_gt_i32_e32 vcc_lo, 0, v74
	v_and_b32_e32 v69, v69, v219
	v_not_b32_e32 v74, v75
	v_ashrrev_i32_e32 v72, 31, v72
	v_xor_b32_e32 v71, s16, v71
	v_cmp_gt_i32_e64 s16, 0, v75
	v_and_b32_e32 v69, v69, v70
	v_not_b32_e32 v70, v218
	v_ashrrev_i32_e32 v74, 31, v74
	v_xor_b32_e32 v72, vcc_lo, v72
	v_cmp_gt_i32_e32 vcc_lo, 0, v218
	v_and_b32_e32 v69, v69, v71
	v_not_b32_e32 v71, v73
	v_ashrrev_i32_e32 v70, 31, v70
	v_xor_b32_e32 v74, s16, v74
	v_mul_u32_u24_e32 v68, 9, v68
	v_and_b32_e32 v69, v69, v72
	v_cmp_gt_i32_e64 s16, 0, v73
	v_ashrrev_i32_e32 v71, 31, v71
	v_xor_b32_e32 v70, vcc_lo, v70
	v_add_lshl_u32 v72, v68, v158, 2
	v_and_b32_e32 v69, v69, v74
	s_delay_alu instid0(VALU_DEP_4) | instskip(SKIP_3) | instid1(VALU_DEP_2)
	v_xor_b32_e32 v68, s16, v71
	ds_load_b32 v218, v72 offset:1056
	v_and_b32_e32 v69, v69, v70
	v_add_nc_u32_e32 v220, 0x420, v72
	; wave barrier
	v_and_b32_e32 v68, v69, v68
	s_delay_alu instid0(VALU_DEP_1) | instskip(SKIP_1) | instid1(VALU_DEP_2)
	v_mbcnt_lo_u32_b32 v219, v68, 0
	v_cmp_ne_u32_e64 s16, 0, v68
	v_cmp_eq_u32_e32 vcc_lo, 0, v219
	s_delay_alu instid0(VALU_DEP_2) | instskip(NEXT) | instid1(SALU_CYCLE_1)
	s_and_b32 s17, s16, vcc_lo
	s_and_saveexec_b32 s16, s17
	s_cbranch_execz .LBB815_164
; %bb.163:                              ;   in Loop: Header=BB815_98 Depth=2
	s_waitcnt lgkmcnt(0)
	v_bcnt_u32_b32 v68, v68, v218
	ds_store_b32 v220, v68
.LBB815_164:                            ;   in Loop: Header=BB815_98 Depth=2
	s_or_b32 exec_lo, exec_lo, s16
	v_xor_b32_e32 v67, 0x80000000, v67
	; wave barrier
	s_delay_alu instid0(VALU_DEP_1) | instskip(NEXT) | instid1(VALU_DEP_1)
	v_lshrrev_b64 v[68:69], s41, v[66:67]
	v_and_b32_e32 v68, s43, v68
	s_delay_alu instid0(VALU_DEP_1)
	v_and_b32_e32 v69, 1, v68
	v_lshlrev_b32_e32 v70, 30, v68
	v_lshlrev_b32_e32 v71, 29, v68
	;; [unrolled: 1-line block ×4, first 2 shown]
	v_add_co_u32 v69, s16, v69, -1
	s_delay_alu instid0(VALU_DEP_1)
	v_cndmask_b32_e64 v73, 0, 1, s16
	v_not_b32_e32 v222, v70
	v_cmp_gt_i32_e64 s16, 0, v70
	v_not_b32_e32 v70, v71
	v_lshlrev_b32_e32 v75, 26, v68
	v_cmp_ne_u32_e32 vcc_lo, 0, v73
	v_ashrrev_i32_e32 v222, 31, v222
	v_lshlrev_b32_e32 v221, 25, v68
	v_ashrrev_i32_e32 v70, 31, v70
	v_lshlrev_b32_e32 v73, 24, v68
	v_xor_b32_e32 v69, vcc_lo, v69
	v_cmp_gt_i32_e32 vcc_lo, 0, v71
	v_not_b32_e32 v71, v72
	v_xor_b32_e32 v222, s16, v222
	v_cmp_gt_i32_e64 s16, 0, v72
	v_and_b32_e32 v69, exec_lo, v69
	v_not_b32_e32 v72, v74
	v_ashrrev_i32_e32 v71, 31, v71
	v_xor_b32_e32 v70, vcc_lo, v70
	v_cmp_gt_i32_e32 vcc_lo, 0, v74
	v_and_b32_e32 v69, v69, v222
	v_not_b32_e32 v74, v75
	v_ashrrev_i32_e32 v72, 31, v72
	v_xor_b32_e32 v71, s16, v71
	v_cmp_gt_i32_e64 s16, 0, v75
	v_and_b32_e32 v69, v69, v70
	v_not_b32_e32 v70, v221
	v_ashrrev_i32_e32 v74, 31, v74
	v_xor_b32_e32 v72, vcc_lo, v72
	v_cmp_gt_i32_e32 vcc_lo, 0, v221
	v_and_b32_e32 v69, v69, v71
	v_not_b32_e32 v71, v73
	v_ashrrev_i32_e32 v70, 31, v70
	v_xor_b32_e32 v74, s16, v74
	v_mul_u32_u24_e32 v68, 9, v68
	v_and_b32_e32 v69, v69, v72
	v_cmp_gt_i32_e64 s16, 0, v73
	v_ashrrev_i32_e32 v71, 31, v71
	v_xor_b32_e32 v70, vcc_lo, v70
	v_add_lshl_u32 v72, v68, v158, 2
	v_and_b32_e32 v69, v69, v74
	s_delay_alu instid0(VALU_DEP_4) | instskip(SKIP_3) | instid1(VALU_DEP_2)
	v_xor_b32_e32 v68, s16, v71
	ds_load_b32 v221, v72 offset:1056
	v_and_b32_e32 v69, v69, v70
	v_add_nc_u32_e32 v223, 0x420, v72
	; wave barrier
	v_and_b32_e32 v68, v69, v68
	s_delay_alu instid0(VALU_DEP_1) | instskip(SKIP_1) | instid1(VALU_DEP_2)
	v_mbcnt_lo_u32_b32 v222, v68, 0
	v_cmp_ne_u32_e64 s16, 0, v68
	v_cmp_eq_u32_e32 vcc_lo, 0, v222
	s_delay_alu instid0(VALU_DEP_2) | instskip(NEXT) | instid1(SALU_CYCLE_1)
	s_and_b32 s17, s16, vcc_lo
	s_and_saveexec_b32 s16, s17
	s_cbranch_execz .LBB815_166
; %bb.165:                              ;   in Loop: Header=BB815_98 Depth=2
	s_waitcnt lgkmcnt(0)
	v_bcnt_u32_b32 v68, v68, v221
	ds_store_b32 v223, v68
.LBB815_166:                            ;   in Loop: Header=BB815_98 Depth=2
	s_or_b32 exec_lo, exec_lo, s16
	; wave barrier
	s_waitcnt lgkmcnt(0)
	s_barrier
	buffer_gl0_inv
	ds_load_b32 v224, v102 offset:1056
	ds_load_2addr_b32 v[74:75], v103 offset0:1 offset1:2
	ds_load_2addr_b32 v[72:73], v103 offset0:3 offset1:4
	ds_load_2addr_b32 v[68:69], v103 offset0:5 offset1:6
	ds_load_2addr_b32 v[70:71], v103 offset0:7 offset1:8
	s_waitcnt lgkmcnt(3)
	v_add3_u32 v225, v74, v224, v75
	s_waitcnt lgkmcnt(2)
	s_delay_alu instid0(VALU_DEP_1) | instskip(SKIP_1) | instid1(VALU_DEP_1)
	v_add3_u32 v225, v225, v72, v73
	s_waitcnt lgkmcnt(1)
	v_add3_u32 v225, v225, v68, v69
	s_waitcnt lgkmcnt(0)
	s_delay_alu instid0(VALU_DEP_1) | instskip(NEXT) | instid1(VALU_DEP_1)
	v_add3_u32 v71, v225, v70, v71
	v_mov_b32_dpp v225, v71 row_shr:1 row_mask:0xf bank_mask:0xf
	s_delay_alu instid0(VALU_DEP_1) | instskip(NEXT) | instid1(VALU_DEP_1)
	v_cndmask_b32_e64 v225, v225, 0, s1
	v_add_nc_u32_e32 v71, v225, v71
	s_delay_alu instid0(VALU_DEP_1) | instskip(NEXT) | instid1(VALU_DEP_1)
	v_mov_b32_dpp v225, v71 row_shr:2 row_mask:0xf bank_mask:0xf
	v_cndmask_b32_e64 v225, 0, v225, s7
	s_delay_alu instid0(VALU_DEP_1) | instskip(NEXT) | instid1(VALU_DEP_1)
	v_add_nc_u32_e32 v71, v71, v225
	v_mov_b32_dpp v225, v71 row_shr:4 row_mask:0xf bank_mask:0xf
	s_delay_alu instid0(VALU_DEP_1) | instskip(NEXT) | instid1(VALU_DEP_1)
	v_cndmask_b32_e64 v225, 0, v225, s8
	v_add_nc_u32_e32 v71, v71, v225
	s_delay_alu instid0(VALU_DEP_1) | instskip(NEXT) | instid1(VALU_DEP_1)
	v_mov_b32_dpp v225, v71 row_shr:8 row_mask:0xf bank_mask:0xf
	v_cndmask_b32_e64 v225, 0, v225, s9
	s_delay_alu instid0(VALU_DEP_1) | instskip(SKIP_3) | instid1(VALU_DEP_1)
	v_add_nc_u32_e32 v71, v71, v225
	ds_swizzle_b32 v225, v71 offset:swizzle(BROADCAST,32,15)
	s_waitcnt lgkmcnt(0)
	v_cndmask_b32_e64 v225, v225, 0, s10
	v_add_nc_u32_e32 v71, v71, v225
	s_and_saveexec_b32 s16, s3
	s_cbranch_execz .LBB815_168
; %bb.167:                              ;   in Loop: Header=BB815_98 Depth=2
	ds_store_b32 v94, v71 offset:1024
.LBB815_168:                            ;   in Loop: Header=BB815_98 Depth=2
	s_or_b32 exec_lo, exec_lo, s16
	s_waitcnt lgkmcnt(0)
	s_barrier
	buffer_gl0_inv
	s_and_saveexec_b32 s16, s4
	s_cbranch_execz .LBB815_170
; %bb.169:                              ;   in Loop: Header=BB815_98 Depth=2
	ds_load_b32 v225, v104 offset:1024
	s_waitcnt lgkmcnt(0)
	v_mov_b32_dpp v226, v225 row_shr:1 row_mask:0xf bank_mask:0xf
	s_delay_alu instid0(VALU_DEP_1) | instskip(NEXT) | instid1(VALU_DEP_1)
	v_cndmask_b32_e64 v226, v226, 0, s12
	v_add_nc_u32_e32 v225, v226, v225
	s_delay_alu instid0(VALU_DEP_1) | instskip(NEXT) | instid1(VALU_DEP_1)
	v_mov_b32_dpp v226, v225 row_shr:2 row_mask:0xf bank_mask:0xf
	v_cndmask_b32_e64 v226, 0, v226, s13
	s_delay_alu instid0(VALU_DEP_1) | instskip(NEXT) | instid1(VALU_DEP_1)
	v_add_nc_u32_e32 v225, v225, v226
	v_mov_b32_dpp v226, v225 row_shr:4 row_mask:0xf bank_mask:0xf
	s_delay_alu instid0(VALU_DEP_1) | instskip(NEXT) | instid1(VALU_DEP_1)
	v_cndmask_b32_e64 v226, 0, v226, s14
	v_add_nc_u32_e32 v225, v225, v226
	ds_store_b32 v104, v225 offset:1024
.LBB815_170:                            ;   in Loop: Header=BB815_98 Depth=2
	s_or_b32 exec_lo, exec_lo, s16
	v_mov_b32_e32 v225, 0
	s_waitcnt lgkmcnt(0)
	s_barrier
	buffer_gl0_inv
	s_and_saveexec_b32 s16, s5
	s_cbranch_execz .LBB815_172
; %bb.171:                              ;   in Loop: Header=BB815_98 Depth=2
	ds_load_b32 v225, v94 offset:1020
.LBB815_172:                            ;   in Loop: Header=BB815_98 Depth=2
	s_or_b32 exec_lo, exec_lo, s16
	s_waitcnt lgkmcnt(0)
	v_add_nc_u32_e32 v71, v225, v71
	ds_bpermute_b32 v71, v137, v71
	s_waitcnt lgkmcnt(0)
	v_cndmask_b32_e64 v71, v71, v225, s11
	s_delay_alu instid0(VALU_DEP_1) | instskip(NEXT) | instid1(VALU_DEP_1)
	v_cndmask_b32_e64 v71, v71, 0, s0
	v_add_nc_u32_e32 v224, v71, v224
	s_delay_alu instid0(VALU_DEP_1) | instskip(NEXT) | instid1(VALU_DEP_1)
	v_add_nc_u32_e32 v74, v224, v74
	v_add_nc_u32_e32 v75, v74, v75
	s_delay_alu instid0(VALU_DEP_1) | instskip(NEXT) | instid1(VALU_DEP_1)
	v_add_nc_u32_e32 v72, v75, v72
	;; [unrolled: 3-line block ×3, first 2 shown]
	v_add_nc_u32_e32 v69, v68, v69
	s_delay_alu instid0(VALU_DEP_1)
	v_add_nc_u32_e32 v70, v69, v70
	ds_store_b32 v102, v71 offset:1056
	ds_store_2addr_b32 v103, v224, v74 offset0:1 offset1:2
	ds_store_2addr_b32 v103, v75, v72 offset0:3 offset1:4
	;; [unrolled: 1-line block ×4, first 2 shown]
	v_mov_b32_e32 v68, 0x1000
	s_waitcnt lgkmcnt(0)
	s_barrier
	buffer_gl0_inv
	ds_load_b32 v70, v181
	ds_load_b32 v71, v184
	ds_load_b32 v72, v187
	ds_load_b32 v73, v190
	ds_load_b32 v225, v193
	ds_load_b32 v224, v196
	ds_load_b32 v199, v199
	ds_load_b32 v196, v202
	ds_load_b32 v193, v205
	ds_load_b32 v190, v208
	ds_load_b32 v187, v211
	ds_load_b32 v184, v214
	ds_load_b32 v181, v217
	ds_load_b32 v75, v220
	ds_load_b32 v74, v223
	ds_load_b32 v69, v178
	ds_load_b32 v178, v102 offset:1056
	s_and_saveexec_b32 s16, s6
	s_cbranch_execz .LBB815_174
; %bb.173:                              ;   in Loop: Header=BB815_98 Depth=2
	ds_load_b32 v68, v105 offset:1056
.LBB815_174:                            ;   in Loop: Header=BB815_98 Depth=2
	s_or_b32 exec_lo, exec_lo, s16
	s_waitcnt lgkmcnt(0)
	s_barrier
	buffer_gl0_inv
	s_and_saveexec_b32 s16, s2
	s_cbranch_execz .LBB815_176
; %bb.175:                              ;   in Loop: Header=BB815_98 Depth=2
	ds_load_b32 v202, v76
	s_waitcnt lgkmcnt(0)
	v_sub_nc_u32_e32 v178, v202, v178
	ds_store_b32 v76, v178
.LBB815_176:                            ;   in Loop: Header=BB815_98 Depth=2
	s_or_b32 exec_lo, exec_lo, s16
	v_add_nc_u32_e32 v179, v180, v179
	v_add_nc_u32_e32 v194, v195, v194
	;; [unrolled: 1-line block ×3, first 2 shown]
	v_add_lshl_u32 v69, v69, v2, 3
	v_add_nc_u32_e32 v2, v183, v182
	v_add_lshl_u32 v70, v179, v70, 3
	v_add_nc_u32_e32 v180, v186, v185
	v_add_nc_u32_e32 v182, v189, v188
	;; [unrolled: 1-line block ×11, first 2 shown]
	ds_store_b64 v69, v[36:37] offset:1024
	v_add_lshl_u32 v71, v2, v71, 3
	ds_store_b64 v70, v[38:39] offset:1024
	v_add_lshl_u32 v38, v191, v225, 3
	v_add_lshl_u32 v39, v194, v224, 3
	;; [unrolled: 1-line block ×4, first 2 shown]
	ds_store_b64 v71, v[40:41] offset:1024
	ds_store_b64 v72, v[42:43] offset:1024
	;; [unrolled: 1-line block ×4, first 2 shown]
	v_add_lshl_u32 v40, v197, v199, 3
	v_add_lshl_u32 v41, v200, v196, 3
	;; [unrolled: 1-line block ×3, first 2 shown]
	ds_store_b64 v39, v[48:49] offset:1024
	v_add_lshl_u32 v43, v206, v190, 3
	v_add_lshl_u32 v44, v209, v187, 3
	;; [unrolled: 1-line block ×6, first 2 shown]
	v_cmp_lt_u32_e32 vcc_lo, v1, v177
	ds_store_b64 v40, v[50:51] offset:1024
	ds_store_b64 v41, v[52:53] offset:1024
	;; [unrolled: 1-line block ×9, first 2 shown]
	s_waitcnt lgkmcnt(0)
	s_barrier
	buffer_gl0_inv
	s_and_saveexec_b32 s17, vcc_lo
	s_cbranch_execz .LBB815_192
; %bb.177:                              ;   in Loop: Header=BB815_98 Depth=2
	v_add_nc_u32_e32 v2, v104, v76
	ds_load_b64 v[36:37], v2 offset:1024
	s_waitcnt lgkmcnt(0)
	v_lshrrev_b64 v[49:50], s41, v[36:37]
	v_xor_b32_e32 v37, 0x80000000, v37
	s_delay_alu instid0(VALU_DEP_2) | instskip(NEXT) | instid1(VALU_DEP_1)
	v_and_b32_e32 v2, s43, v49
	v_lshlrev_b32_e32 v2, 2, v2
	ds_load_b32 v2, v2
	s_waitcnt lgkmcnt(0)
	v_add_nc_u32_e32 v2, v2, v1
	s_delay_alu instid0(VALU_DEP_1) | instskip(NEXT) | instid1(VALU_DEP_1)
	v_lshlrev_b64 v[49:50], 3, v[2:3]
	v_add_co_u32 v49, s16, s46, v49
	s_delay_alu instid0(VALU_DEP_1) | instskip(SKIP_3) | instid1(VALU_DEP_1)
	v_add_co_ci_u32_e64 v50, s16, s47, v50, s16
	global_store_b64 v[49:50], v[36:37], off
	s_or_b32 exec_lo, exec_lo, s17
	v_cmp_lt_u32_e64 s16, v77, v177
	s_and_saveexec_b32 s18, s16
	s_cbranch_execnz .LBB815_193
.LBB815_178:                            ;   in Loop: Header=BB815_98 Depth=2
	s_or_b32 exec_lo, exec_lo, s18
	v_cmp_lt_u32_e64 s17, v78, v177
	s_delay_alu instid0(VALU_DEP_1)
	s_and_saveexec_b32 s19, s17
	s_cbranch_execz .LBB815_194
.LBB815_179:                            ;   in Loop: Header=BB815_98 Depth=2
	ds_load_b64 v[36:37], v110 offset:4096
	s_waitcnt lgkmcnt(0)
	v_lshrrev_b64 v[49:50], s41, v[36:37]
	v_xor_b32_e32 v37, 0x80000000, v37
	s_delay_alu instid0(VALU_DEP_2) | instskip(NEXT) | instid1(VALU_DEP_1)
	v_and_b32_e32 v2, s43, v49
	v_lshlrev_b32_e32 v2, 2, v2
	ds_load_b32 v2, v2
	s_waitcnt lgkmcnt(0)
	v_add_nc_u32_e32 v2, v2, v78
	s_delay_alu instid0(VALU_DEP_1) | instskip(NEXT) | instid1(VALU_DEP_1)
	v_lshlrev_b64 v[49:50], 3, v[2:3]
	v_add_co_u32 v49, s18, s46, v49
	s_delay_alu instid0(VALU_DEP_1) | instskip(SKIP_3) | instid1(VALU_DEP_1)
	v_add_co_ci_u32_e64 v50, s18, s47, v50, s18
	global_store_b64 v[49:50], v[36:37], off
	s_or_b32 exec_lo, exec_lo, s19
	v_cmp_lt_u32_e64 s18, v79, v177
	s_and_saveexec_b32 s20, s18
	s_cbranch_execnz .LBB815_195
.LBB815_180:                            ;   in Loop: Header=BB815_98 Depth=2
	s_or_b32 exec_lo, exec_lo, s20
	v_cmp_lt_u32_e64 s19, v83, v177
	s_delay_alu instid0(VALU_DEP_1)
	s_and_saveexec_b32 s21, s19
	s_cbranch_execz .LBB815_196
.LBB815_181:                            ;   in Loop: Header=BB815_98 Depth=2
	ds_load_b64 v[36:37], v110 offset:8192
	s_waitcnt lgkmcnt(0)
	v_lshrrev_b64 v[49:50], s41, v[36:37]
	v_xor_b32_e32 v37, 0x80000000, v37
	s_delay_alu instid0(VALU_DEP_2) | instskip(NEXT) | instid1(VALU_DEP_1)
	v_and_b32_e32 v2, s43, v49
	v_lshlrev_b32_e32 v2, 2, v2
	ds_load_b32 v2, v2
	s_waitcnt lgkmcnt(0)
	v_add_nc_u32_e32 v2, v2, v83
	s_delay_alu instid0(VALU_DEP_1) | instskip(NEXT) | instid1(VALU_DEP_1)
	v_lshlrev_b64 v[49:50], 3, v[2:3]
	v_add_co_u32 v49, s20, s46, v49
	s_delay_alu instid0(VALU_DEP_1) | instskip(SKIP_3) | instid1(VALU_DEP_1)
	v_add_co_ci_u32_e64 v50, s20, s47, v50, s20
	global_store_b64 v[49:50], v[36:37], off
	s_or_b32 exec_lo, exec_lo, s21
	v_cmp_lt_u32_e64 s20, v84, v177
	s_and_saveexec_b32 s22, s20
	s_cbranch_execnz .LBB815_197
.LBB815_182:                            ;   in Loop: Header=BB815_98 Depth=2
	s_or_b32 exec_lo, exec_lo, s22
	v_cmp_lt_u32_e64 s21, v85, v177
	s_delay_alu instid0(VALU_DEP_1)
	s_and_saveexec_b32 s23, s21
	s_cbranch_execz .LBB815_198
.LBB815_183:                            ;   in Loop: Header=BB815_98 Depth=2
	ds_load_b64 v[36:37], v110 offset:12288
	s_waitcnt lgkmcnt(0)
	v_lshrrev_b64 v[49:50], s41, v[36:37]
	v_xor_b32_e32 v37, 0x80000000, v37
	s_delay_alu instid0(VALU_DEP_2) | instskip(NEXT) | instid1(VALU_DEP_1)
	v_and_b32_e32 v2, s43, v49
	v_lshlrev_b32_e32 v2, 2, v2
	ds_load_b32 v2, v2
	s_waitcnt lgkmcnt(0)
	v_add_nc_u32_e32 v2, v2, v85
	s_delay_alu instid0(VALU_DEP_1) | instskip(NEXT) | instid1(VALU_DEP_1)
	v_lshlrev_b64 v[49:50], 3, v[2:3]
	v_add_co_u32 v49, s22, s46, v49
	s_delay_alu instid0(VALU_DEP_1) | instskip(SKIP_3) | instid1(VALU_DEP_1)
	v_add_co_ci_u32_e64 v50, s22, s47, v50, s22
	global_store_b64 v[49:50], v[36:37], off
	s_or_b32 exec_lo, exec_lo, s23
	v_cmp_lt_u32_e64 s22, v86, v177
	s_and_saveexec_b32 s24, s22
	s_cbranch_execnz .LBB815_199
.LBB815_184:                            ;   in Loop: Header=BB815_98 Depth=2
	s_or_b32 exec_lo, exec_lo, s24
	v_cmp_lt_u32_e64 s23, v87, v177
	s_delay_alu instid0(VALU_DEP_1)
	s_and_saveexec_b32 s25, s23
	s_cbranch_execz .LBB815_200
.LBB815_185:                            ;   in Loop: Header=BB815_98 Depth=2
	ds_load_b64 v[36:37], v110 offset:16384
	s_waitcnt lgkmcnt(0)
	v_lshrrev_b64 v[49:50], s41, v[36:37]
	v_xor_b32_e32 v37, 0x80000000, v37
	s_delay_alu instid0(VALU_DEP_2) | instskip(NEXT) | instid1(VALU_DEP_1)
	v_and_b32_e32 v2, s43, v49
	v_lshlrev_b32_e32 v2, 2, v2
	ds_load_b32 v2, v2
	s_waitcnt lgkmcnt(0)
	v_add_nc_u32_e32 v2, v2, v87
	s_delay_alu instid0(VALU_DEP_1) | instskip(NEXT) | instid1(VALU_DEP_1)
	v_lshlrev_b64 v[49:50], 3, v[2:3]
	v_add_co_u32 v49, s24, s46, v49
	s_delay_alu instid0(VALU_DEP_1) | instskip(SKIP_3) | instid1(VALU_DEP_1)
	v_add_co_ci_u32_e64 v50, s24, s47, v50, s24
	global_store_b64 v[49:50], v[36:37], off
	s_or_b32 exec_lo, exec_lo, s25
	v_cmp_lt_u32_e64 s24, v88, v177
	s_and_saveexec_b32 s26, s24
	s_cbranch_execnz .LBB815_201
.LBB815_186:                            ;   in Loop: Header=BB815_98 Depth=2
	s_or_b32 exec_lo, exec_lo, s26
	v_cmp_lt_u32_e64 s25, v89, v177
	s_delay_alu instid0(VALU_DEP_1)
	s_and_saveexec_b32 s27, s25
	s_cbranch_execz .LBB815_202
.LBB815_187:                            ;   in Loop: Header=BB815_98 Depth=2
	ds_load_b64 v[36:37], v110 offset:20480
	s_waitcnt lgkmcnt(0)
	v_lshrrev_b64 v[49:50], s41, v[36:37]
	v_xor_b32_e32 v37, 0x80000000, v37
	s_delay_alu instid0(VALU_DEP_2) | instskip(NEXT) | instid1(VALU_DEP_1)
	v_and_b32_e32 v2, s43, v49
	v_lshlrev_b32_e32 v2, 2, v2
	ds_load_b32 v2, v2
	s_waitcnt lgkmcnt(0)
	v_add_nc_u32_e32 v2, v2, v89
	s_delay_alu instid0(VALU_DEP_1) | instskip(NEXT) | instid1(VALU_DEP_1)
	v_lshlrev_b64 v[49:50], 3, v[2:3]
	v_add_co_u32 v49, s26, s46, v49
	s_delay_alu instid0(VALU_DEP_1) | instskip(SKIP_3) | instid1(VALU_DEP_1)
	v_add_co_ci_u32_e64 v50, s26, s47, v50, s26
	global_store_b64 v[49:50], v[36:37], off
	s_or_b32 exec_lo, exec_lo, s27
	v_cmp_lt_u32_e64 s26, v90, v177
	s_and_saveexec_b32 s29, s26
	s_cbranch_execnz .LBB815_203
.LBB815_188:                            ;   in Loop: Header=BB815_98 Depth=2
	s_or_b32 exec_lo, exec_lo, s29
	v_cmp_lt_u32_e64 s27, v91, v177
	s_delay_alu instid0(VALU_DEP_1)
	s_and_saveexec_b32 s30, s27
	s_cbranch_execz .LBB815_204
.LBB815_189:                            ;   in Loop: Header=BB815_98 Depth=2
	ds_load_b64 v[36:37], v110 offset:24576
	s_waitcnt lgkmcnt(0)
	v_lshrrev_b64 v[49:50], s41, v[36:37]
	v_xor_b32_e32 v37, 0x80000000, v37
	s_delay_alu instid0(VALU_DEP_2) | instskip(NEXT) | instid1(VALU_DEP_1)
	v_and_b32_e32 v2, s43, v49
	v_lshlrev_b32_e32 v2, 2, v2
	ds_load_b32 v2, v2
	s_waitcnt lgkmcnt(0)
	v_add_nc_u32_e32 v2, v2, v91
	s_delay_alu instid0(VALU_DEP_1) | instskip(NEXT) | instid1(VALU_DEP_1)
	v_lshlrev_b64 v[49:50], 3, v[2:3]
	v_add_co_u32 v49, s29, s46, v49
	s_delay_alu instid0(VALU_DEP_1) | instskip(SKIP_3) | instid1(VALU_DEP_1)
	v_add_co_ci_u32_e64 v50, s29, s47, v50, s29
	global_store_b64 v[49:50], v[36:37], off
	s_or_b32 exec_lo, exec_lo, s30
	v_cmp_lt_u32_e64 s29, v92, v177
	s_and_saveexec_b32 s31, s29
	s_cbranch_execnz .LBB815_205
.LBB815_190:                            ;   in Loop: Header=BB815_98 Depth=2
	s_or_b32 exec_lo, exec_lo, s31
	v_cmp_lt_u32_e64 s30, v93, v177
	s_delay_alu instid0(VALU_DEP_1)
	s_and_saveexec_b32 s33, s30
	s_cbranch_execz .LBB815_206
.LBB815_191:                            ;   in Loop: Header=BB815_98 Depth=2
	ds_load_b64 v[36:37], v110 offset:28672
	s_waitcnt lgkmcnt(0)
	v_lshrrev_b64 v[49:50], s41, v[36:37]
	v_xor_b32_e32 v37, 0x80000000, v37
	s_delay_alu instid0(VALU_DEP_2) | instskip(NEXT) | instid1(VALU_DEP_1)
	v_and_b32_e32 v2, s43, v49
	v_lshlrev_b32_e32 v2, 2, v2
	ds_load_b32 v2, v2
	s_waitcnt lgkmcnt(0)
	v_add_nc_u32_e32 v2, v2, v93
	s_delay_alu instid0(VALU_DEP_1) | instskip(NEXT) | instid1(VALU_DEP_1)
	v_lshlrev_b64 v[49:50], 3, v[2:3]
	v_add_co_u32 v49, s31, s46, v49
	s_delay_alu instid0(VALU_DEP_1) | instskip(SKIP_3) | instid1(VALU_DEP_1)
	v_add_co_ci_u32_e64 v50, s31, s47, v50, s31
	global_store_b64 v[49:50], v[36:37], off
	s_or_b32 exec_lo, exec_lo, s33
	v_cmp_lt_u32_e64 s31, v95, v177
	s_and_saveexec_b32 s56, s31
	s_cbranch_execnz .LBB815_207
	s_branch .LBB815_208
.LBB815_192:                            ;   in Loop: Header=BB815_98 Depth=2
	s_or_b32 exec_lo, exec_lo, s17
	v_cmp_lt_u32_e64 s16, v77, v177
	s_delay_alu instid0(VALU_DEP_1)
	s_and_saveexec_b32 s18, s16
	s_cbranch_execz .LBB815_178
.LBB815_193:                            ;   in Loop: Header=BB815_98 Depth=2
	ds_load_b64 v[36:37], v110 offset:2048
	s_waitcnt lgkmcnt(0)
	v_lshrrev_b64 v[49:50], s41, v[36:37]
	v_xor_b32_e32 v37, 0x80000000, v37
	s_delay_alu instid0(VALU_DEP_2) | instskip(NEXT) | instid1(VALU_DEP_1)
	v_and_b32_e32 v2, s43, v49
	v_lshlrev_b32_e32 v2, 2, v2
	ds_load_b32 v2, v2
	s_waitcnt lgkmcnt(0)
	v_add_nc_u32_e32 v2, v2, v77
	s_delay_alu instid0(VALU_DEP_1) | instskip(NEXT) | instid1(VALU_DEP_1)
	v_lshlrev_b64 v[49:50], 3, v[2:3]
	v_add_co_u32 v49, s17, s46, v49
	s_delay_alu instid0(VALU_DEP_1) | instskip(SKIP_3) | instid1(VALU_DEP_1)
	v_add_co_ci_u32_e64 v50, s17, s47, v50, s17
	global_store_b64 v[49:50], v[36:37], off
	s_or_b32 exec_lo, exec_lo, s18
	v_cmp_lt_u32_e64 s17, v78, v177
	s_and_saveexec_b32 s19, s17
	s_cbranch_execnz .LBB815_179
.LBB815_194:                            ;   in Loop: Header=BB815_98 Depth=2
	s_or_b32 exec_lo, exec_lo, s19
	v_cmp_lt_u32_e64 s18, v79, v177
	s_delay_alu instid0(VALU_DEP_1)
	s_and_saveexec_b32 s20, s18
	s_cbranch_execz .LBB815_180
.LBB815_195:                            ;   in Loop: Header=BB815_98 Depth=2
	ds_load_b64 v[36:37], v110 offset:6144
	s_waitcnt lgkmcnt(0)
	v_lshrrev_b64 v[49:50], s41, v[36:37]
	v_xor_b32_e32 v37, 0x80000000, v37
	s_delay_alu instid0(VALU_DEP_2) | instskip(NEXT) | instid1(VALU_DEP_1)
	v_and_b32_e32 v2, s43, v49
	v_lshlrev_b32_e32 v2, 2, v2
	ds_load_b32 v2, v2
	s_waitcnt lgkmcnt(0)
	v_add_nc_u32_e32 v2, v2, v79
	s_delay_alu instid0(VALU_DEP_1) | instskip(NEXT) | instid1(VALU_DEP_1)
	v_lshlrev_b64 v[49:50], 3, v[2:3]
	v_add_co_u32 v49, s19, s46, v49
	s_delay_alu instid0(VALU_DEP_1) | instskip(SKIP_3) | instid1(VALU_DEP_1)
	v_add_co_ci_u32_e64 v50, s19, s47, v50, s19
	global_store_b64 v[49:50], v[36:37], off
	s_or_b32 exec_lo, exec_lo, s20
	v_cmp_lt_u32_e64 s19, v83, v177
	s_and_saveexec_b32 s21, s19
	s_cbranch_execnz .LBB815_181
.LBB815_196:                            ;   in Loop: Header=BB815_98 Depth=2
	s_or_b32 exec_lo, exec_lo, s21
	v_cmp_lt_u32_e64 s20, v84, v177
	s_delay_alu instid0(VALU_DEP_1)
	s_and_saveexec_b32 s22, s20
	s_cbranch_execz .LBB815_182
.LBB815_197:                            ;   in Loop: Header=BB815_98 Depth=2
	ds_load_b64 v[36:37], v110 offset:10240
	s_waitcnt lgkmcnt(0)
	v_lshrrev_b64 v[49:50], s41, v[36:37]
	v_xor_b32_e32 v37, 0x80000000, v37
	s_delay_alu instid0(VALU_DEP_2) | instskip(NEXT) | instid1(VALU_DEP_1)
	v_and_b32_e32 v2, s43, v49
	v_lshlrev_b32_e32 v2, 2, v2
	ds_load_b32 v2, v2
	s_waitcnt lgkmcnt(0)
	v_add_nc_u32_e32 v2, v2, v84
	s_delay_alu instid0(VALU_DEP_1) | instskip(NEXT) | instid1(VALU_DEP_1)
	v_lshlrev_b64 v[49:50], 3, v[2:3]
	v_add_co_u32 v49, s21, s46, v49
	s_delay_alu instid0(VALU_DEP_1) | instskip(SKIP_3) | instid1(VALU_DEP_1)
	v_add_co_ci_u32_e64 v50, s21, s47, v50, s21
	global_store_b64 v[49:50], v[36:37], off
	s_or_b32 exec_lo, exec_lo, s22
	v_cmp_lt_u32_e64 s21, v85, v177
	s_and_saveexec_b32 s23, s21
	s_cbranch_execnz .LBB815_183
.LBB815_198:                            ;   in Loop: Header=BB815_98 Depth=2
	s_or_b32 exec_lo, exec_lo, s23
	v_cmp_lt_u32_e64 s22, v86, v177
	s_delay_alu instid0(VALU_DEP_1)
	s_and_saveexec_b32 s24, s22
	s_cbranch_execz .LBB815_184
.LBB815_199:                            ;   in Loop: Header=BB815_98 Depth=2
	ds_load_b64 v[36:37], v110 offset:14336
	s_waitcnt lgkmcnt(0)
	v_lshrrev_b64 v[49:50], s41, v[36:37]
	v_xor_b32_e32 v37, 0x80000000, v37
	s_delay_alu instid0(VALU_DEP_2) | instskip(NEXT) | instid1(VALU_DEP_1)
	v_and_b32_e32 v2, s43, v49
	v_lshlrev_b32_e32 v2, 2, v2
	ds_load_b32 v2, v2
	s_waitcnt lgkmcnt(0)
	v_add_nc_u32_e32 v2, v2, v86
	s_delay_alu instid0(VALU_DEP_1) | instskip(NEXT) | instid1(VALU_DEP_1)
	v_lshlrev_b64 v[49:50], 3, v[2:3]
	v_add_co_u32 v49, s23, s46, v49
	s_delay_alu instid0(VALU_DEP_1) | instskip(SKIP_3) | instid1(VALU_DEP_1)
	v_add_co_ci_u32_e64 v50, s23, s47, v50, s23
	global_store_b64 v[49:50], v[36:37], off
	s_or_b32 exec_lo, exec_lo, s24
	v_cmp_lt_u32_e64 s23, v87, v177
	s_and_saveexec_b32 s25, s23
	s_cbranch_execnz .LBB815_185
.LBB815_200:                            ;   in Loop: Header=BB815_98 Depth=2
	s_or_b32 exec_lo, exec_lo, s25
	v_cmp_lt_u32_e64 s24, v88, v177
	s_delay_alu instid0(VALU_DEP_1)
	s_and_saveexec_b32 s26, s24
	s_cbranch_execz .LBB815_186
.LBB815_201:                            ;   in Loop: Header=BB815_98 Depth=2
	ds_load_b64 v[36:37], v110 offset:18432
	s_waitcnt lgkmcnt(0)
	v_lshrrev_b64 v[49:50], s41, v[36:37]
	v_xor_b32_e32 v37, 0x80000000, v37
	s_delay_alu instid0(VALU_DEP_2) | instskip(NEXT) | instid1(VALU_DEP_1)
	v_and_b32_e32 v2, s43, v49
	v_lshlrev_b32_e32 v2, 2, v2
	ds_load_b32 v2, v2
	s_waitcnt lgkmcnt(0)
	v_add_nc_u32_e32 v2, v2, v88
	s_delay_alu instid0(VALU_DEP_1) | instskip(NEXT) | instid1(VALU_DEP_1)
	v_lshlrev_b64 v[49:50], 3, v[2:3]
	v_add_co_u32 v49, s25, s46, v49
	s_delay_alu instid0(VALU_DEP_1) | instskip(SKIP_3) | instid1(VALU_DEP_1)
	v_add_co_ci_u32_e64 v50, s25, s47, v50, s25
	global_store_b64 v[49:50], v[36:37], off
	s_or_b32 exec_lo, exec_lo, s26
	v_cmp_lt_u32_e64 s25, v89, v177
	s_and_saveexec_b32 s27, s25
	s_cbranch_execnz .LBB815_187
.LBB815_202:                            ;   in Loop: Header=BB815_98 Depth=2
	s_or_b32 exec_lo, exec_lo, s27
	v_cmp_lt_u32_e64 s26, v90, v177
	s_delay_alu instid0(VALU_DEP_1)
	s_and_saveexec_b32 s29, s26
	s_cbranch_execz .LBB815_188
.LBB815_203:                            ;   in Loop: Header=BB815_98 Depth=2
	ds_load_b64 v[36:37], v110 offset:22528
	s_waitcnt lgkmcnt(0)
	v_lshrrev_b64 v[49:50], s41, v[36:37]
	v_xor_b32_e32 v37, 0x80000000, v37
	s_delay_alu instid0(VALU_DEP_2) | instskip(NEXT) | instid1(VALU_DEP_1)
	v_and_b32_e32 v2, s43, v49
	v_lshlrev_b32_e32 v2, 2, v2
	ds_load_b32 v2, v2
	s_waitcnt lgkmcnt(0)
	v_add_nc_u32_e32 v2, v2, v90
	s_delay_alu instid0(VALU_DEP_1) | instskip(NEXT) | instid1(VALU_DEP_1)
	v_lshlrev_b64 v[49:50], 3, v[2:3]
	v_add_co_u32 v49, s27, s46, v49
	s_delay_alu instid0(VALU_DEP_1) | instskip(SKIP_3) | instid1(VALU_DEP_1)
	v_add_co_ci_u32_e64 v50, s27, s47, v50, s27
	global_store_b64 v[49:50], v[36:37], off
	s_or_b32 exec_lo, exec_lo, s29
	v_cmp_lt_u32_e64 s27, v91, v177
	s_and_saveexec_b32 s30, s27
	s_cbranch_execnz .LBB815_189
.LBB815_204:                            ;   in Loop: Header=BB815_98 Depth=2
	s_or_b32 exec_lo, exec_lo, s30
	v_cmp_lt_u32_e64 s29, v92, v177
	s_delay_alu instid0(VALU_DEP_1)
	s_and_saveexec_b32 s31, s29
	s_cbranch_execz .LBB815_190
.LBB815_205:                            ;   in Loop: Header=BB815_98 Depth=2
	ds_load_b64 v[36:37], v110 offset:26624
	s_waitcnt lgkmcnt(0)
	v_lshrrev_b64 v[49:50], s41, v[36:37]
	v_xor_b32_e32 v37, 0x80000000, v37
	s_delay_alu instid0(VALU_DEP_2) | instskip(NEXT) | instid1(VALU_DEP_1)
	v_and_b32_e32 v2, s43, v49
	v_lshlrev_b32_e32 v2, 2, v2
	ds_load_b32 v2, v2
	s_waitcnt lgkmcnt(0)
	v_add_nc_u32_e32 v2, v2, v92
	s_delay_alu instid0(VALU_DEP_1) | instskip(NEXT) | instid1(VALU_DEP_1)
	v_lshlrev_b64 v[49:50], 3, v[2:3]
	v_add_co_u32 v49, s30, s46, v49
	s_delay_alu instid0(VALU_DEP_1) | instskip(SKIP_3) | instid1(VALU_DEP_1)
	v_add_co_ci_u32_e64 v50, s30, s47, v50, s30
	global_store_b64 v[49:50], v[36:37], off
	s_or_b32 exec_lo, exec_lo, s31
	v_cmp_lt_u32_e64 s30, v93, v177
	s_and_saveexec_b32 s33, s30
	s_cbranch_execnz .LBB815_191
.LBB815_206:                            ;   in Loop: Header=BB815_98 Depth=2
	s_or_b32 exec_lo, exec_lo, s33
	v_cmp_lt_u32_e64 s31, v95, v177
	s_delay_alu instid0(VALU_DEP_1)
	s_and_saveexec_b32 s56, s31
	s_cbranch_execz .LBB815_208
.LBB815_207:                            ;   in Loop: Header=BB815_98 Depth=2
	ds_load_b64 v[36:37], v110 offset:30720
	s_waitcnt lgkmcnt(0)
	v_lshrrev_b64 v[49:50], s41, v[36:37]
	v_xor_b32_e32 v37, 0x80000000, v37
	s_delay_alu instid0(VALU_DEP_2) | instskip(NEXT) | instid1(VALU_DEP_1)
	v_and_b32_e32 v2, s43, v49
	v_lshlrev_b32_e32 v2, 2, v2
	ds_load_b32 v2, v2
	s_waitcnt lgkmcnt(0)
	v_add_nc_u32_e32 v2, v2, v95
	s_delay_alu instid0(VALU_DEP_1) | instskip(NEXT) | instid1(VALU_DEP_1)
	v_lshlrev_b64 v[49:50], 3, v[2:3]
	v_add_co_u32 v49, s33, s46, v49
	s_delay_alu instid0(VALU_DEP_1)
	v_add_co_ci_u32_e64 v50, s33, s47, v50, s33
	global_store_b64 v[49:50], v[36:37], off
.LBB815_208:                            ;   in Loop: Header=BB815_98 Depth=2
	s_or_b32 exec_lo, exec_lo, s56
	s_lshl_b64 s[64:65], s[34:35], 3
	s_delay_alu instid0(SALU_CYCLE_1) | instskip(NEXT) | instid1(VALU_DEP_1)
	v_add_co_u32 v36, s33, v139, s64
	v_add_co_ci_u32_e64 v37, s33, s65, v140, s33
	v_cmp_lt_u32_e64 s33, v138, v177
	s_delay_alu instid0(VALU_DEP_1) | instskip(NEXT) | instid1(SALU_CYCLE_1)
	s_and_saveexec_b32 s34, s33
	s_xor_b32 s33, exec_lo, s34
	s_cbranch_execz .LBB815_240
; %bb.209:                              ;   in Loop: Header=BB815_98 Depth=2
	global_load_b64 v[34:35], v[36:37], off
	s_or_b32 exec_lo, exec_lo, s33
	s_delay_alu instid0(SALU_CYCLE_1)
	s_mov_b32 s34, exec_lo
	v_cmpx_lt_u32_e64 v141, v177
	s_cbranch_execnz .LBB815_241
.LBB815_210:                            ;   in Loop: Header=BB815_98 Depth=2
	s_or_b32 exec_lo, exec_lo, s34
	s_delay_alu instid0(SALU_CYCLE_1)
	s_mov_b32 s34, exec_lo
	v_cmpx_lt_u32_e64 v142, v177
	s_cbranch_execz .LBB815_242
.LBB815_211:                            ;   in Loop: Header=BB815_98 Depth=2
	global_load_b64 v[30:31], v[36:37], off offset:512
	s_or_b32 exec_lo, exec_lo, s34
	s_delay_alu instid0(SALU_CYCLE_1)
	s_mov_b32 s34, exec_lo
	v_cmpx_lt_u32_e64 v143, v177
	s_cbranch_execnz .LBB815_243
.LBB815_212:                            ;   in Loop: Header=BB815_98 Depth=2
	s_or_b32 exec_lo, exec_lo, s34
	s_delay_alu instid0(SALU_CYCLE_1)
	s_mov_b32 s34, exec_lo
	v_cmpx_lt_u32_e64 v144, v177
	s_cbranch_execz .LBB815_244
.LBB815_213:                            ;   in Loop: Header=BB815_98 Depth=2
	global_load_b64 v[26:27], v[36:37], off offset:1024
	s_or_b32 exec_lo, exec_lo, s34
	s_delay_alu instid0(SALU_CYCLE_1)
	s_mov_b32 s34, exec_lo
	v_cmpx_lt_u32_e64 v145, v177
	s_cbranch_execnz .LBB815_245
.LBB815_214:                            ;   in Loop: Header=BB815_98 Depth=2
	s_or_b32 exec_lo, exec_lo, s34
	s_delay_alu instid0(SALU_CYCLE_1)
	s_mov_b32 s34, exec_lo
	v_cmpx_lt_u32_e64 v146, v177
	s_cbranch_execz .LBB815_246
.LBB815_215:                            ;   in Loop: Header=BB815_98 Depth=2
	global_load_b64 v[22:23], v[36:37], off offset:1536
	s_or_b32 exec_lo, exec_lo, s34
	s_delay_alu instid0(SALU_CYCLE_1)
	s_mov_b32 s34, exec_lo
	v_cmpx_lt_u32_e64 v147, v177
	s_cbranch_execnz .LBB815_247
.LBB815_216:                            ;   in Loop: Header=BB815_98 Depth=2
	s_or_b32 exec_lo, exec_lo, s34
	s_delay_alu instid0(SALU_CYCLE_1)
	s_mov_b32 s34, exec_lo
	v_cmpx_lt_u32_e64 v148, v177
	s_cbranch_execz .LBB815_248
.LBB815_217:                            ;   in Loop: Header=BB815_98 Depth=2
	global_load_b64 v[18:19], v[36:37], off offset:2048
	s_or_b32 exec_lo, exec_lo, s34
	s_delay_alu instid0(SALU_CYCLE_1)
	s_mov_b32 s34, exec_lo
	v_cmpx_lt_u32_e64 v149, v177
	s_cbranch_execnz .LBB815_249
.LBB815_218:                            ;   in Loop: Header=BB815_98 Depth=2
	s_or_b32 exec_lo, exec_lo, s34
	s_delay_alu instid0(SALU_CYCLE_1)
	s_mov_b32 s34, exec_lo
	v_cmpx_lt_u32_e64 v150, v177
	s_cbranch_execz .LBB815_250
.LBB815_219:                            ;   in Loop: Header=BB815_98 Depth=2
	global_load_b64 v[14:15], v[36:37], off offset:2560
	s_or_b32 exec_lo, exec_lo, s34
	s_delay_alu instid0(SALU_CYCLE_1)
	s_mov_b32 s34, exec_lo
	v_cmpx_lt_u32_e64 v151, v177
	s_cbranch_execnz .LBB815_251
.LBB815_220:                            ;   in Loop: Header=BB815_98 Depth=2
	s_or_b32 exec_lo, exec_lo, s34
	s_delay_alu instid0(SALU_CYCLE_1)
	s_mov_b32 s34, exec_lo
	v_cmpx_lt_u32_e64 v152, v177
	s_cbranch_execz .LBB815_252
.LBB815_221:                            ;   in Loop: Header=BB815_98 Depth=2
	global_load_b64 v[10:11], v[36:37], off offset:3072
	s_or_b32 exec_lo, exec_lo, s34
	s_delay_alu instid0(SALU_CYCLE_1)
	s_mov_b32 s34, exec_lo
	v_cmpx_lt_u32_e64 v153, v177
	s_cbranch_execnz .LBB815_253
.LBB815_222:                            ;   in Loop: Header=BB815_98 Depth=2
	s_or_b32 exec_lo, exec_lo, s34
	s_delay_alu instid0(SALU_CYCLE_1)
	s_mov_b32 s34, exec_lo
	v_cmpx_lt_u32_e64 v154, v177
	s_cbranch_execz .LBB815_254
.LBB815_223:                            ;   in Loop: Header=BB815_98 Depth=2
	global_load_b64 v[6:7], v[36:37], off offset:3584
	s_or_b32 exec_lo, exec_lo, s34
	s_delay_alu instid0(SALU_CYCLE_1)
	s_mov_b32 s34, exec_lo
	v_cmpx_lt_u32_e64 v155, v177
	s_cbranch_execnz .LBB815_255
.LBB815_224:                            ;   in Loop: Header=BB815_98 Depth=2
	s_or_b32 exec_lo, exec_lo, s34
	s_and_saveexec_b32 s33, vcc_lo
	s_cbranch_execz .LBB815_256
.LBB815_225:                            ;   in Loop: Header=BB815_98 Depth=2
	v_add_nc_u32_e32 v2, v104, v76
	ds_load_b64 v[36:37], v2 offset:1024
	s_waitcnt lgkmcnt(0)
	v_lshrrev_b64 v[36:37], s41, v[36:37]
	s_delay_alu instid0(VALU_DEP_1)
	v_and_b32_e32 v176, s43, v36
	s_or_b32 exec_lo, exec_lo, s33
	s_and_saveexec_b32 s33, s16
	s_cbranch_execnz .LBB815_257
.LBB815_226:                            ;   in Loop: Header=BB815_98 Depth=2
	s_or_b32 exec_lo, exec_lo, s33
	s_and_saveexec_b32 s33, s17
	s_cbranch_execz .LBB815_258
.LBB815_227:                            ;   in Loop: Header=BB815_98 Depth=2
	ds_load_b64 v[36:37], v110 offset:4096
	s_waitcnt lgkmcnt(0)
	v_lshrrev_b64 v[36:37], s41, v[36:37]
	s_delay_alu instid0(VALU_DEP_1)
	v_and_b32_e32 v174, s43, v36
	s_or_b32 exec_lo, exec_lo, s33
	s_and_saveexec_b32 s33, s18
	s_cbranch_execnz .LBB815_259
.LBB815_228:                            ;   in Loop: Header=BB815_98 Depth=2
	s_or_b32 exec_lo, exec_lo, s33
	s_and_saveexec_b32 s33, s19
	s_cbranch_execz .LBB815_260
.LBB815_229:                            ;   in Loop: Header=BB815_98 Depth=2
	ds_load_b64 v[36:37], v110 offset:8192
	s_waitcnt lgkmcnt(0)
	v_lshrrev_b64 v[36:37], s41, v[36:37]
	s_delay_alu instid0(VALU_DEP_1)
	v_and_b32_e32 v172, s43, v36
	s_or_b32 exec_lo, exec_lo, s33
	s_and_saveexec_b32 s33, s20
	s_cbranch_execnz .LBB815_261
.LBB815_230:                            ;   in Loop: Header=BB815_98 Depth=2
	s_or_b32 exec_lo, exec_lo, s33
	s_and_saveexec_b32 s33, s21
	s_cbranch_execz .LBB815_262
.LBB815_231:                            ;   in Loop: Header=BB815_98 Depth=2
	ds_load_b64 v[36:37], v110 offset:12288
	s_waitcnt lgkmcnt(0)
	v_lshrrev_b64 v[36:37], s41, v[36:37]
	s_delay_alu instid0(VALU_DEP_1)
	v_and_b32_e32 v170, s43, v36
	s_or_b32 exec_lo, exec_lo, s33
	s_and_saveexec_b32 s33, s22
	s_cbranch_execnz .LBB815_263
.LBB815_232:                            ;   in Loop: Header=BB815_98 Depth=2
	s_or_b32 exec_lo, exec_lo, s33
	s_and_saveexec_b32 s33, s23
	s_cbranch_execz .LBB815_264
.LBB815_233:                            ;   in Loop: Header=BB815_98 Depth=2
	ds_load_b64 v[36:37], v110 offset:16384
	s_waitcnt lgkmcnt(0)
	v_lshrrev_b64 v[36:37], s41, v[36:37]
	s_delay_alu instid0(VALU_DEP_1)
	v_and_b32_e32 v168, s43, v36
	s_or_b32 exec_lo, exec_lo, s33
	s_and_saveexec_b32 s33, s24
	s_cbranch_execnz .LBB815_265
.LBB815_234:                            ;   in Loop: Header=BB815_98 Depth=2
	s_or_b32 exec_lo, exec_lo, s33
	s_and_saveexec_b32 s33, s25
	s_cbranch_execz .LBB815_266
.LBB815_235:                            ;   in Loop: Header=BB815_98 Depth=2
	ds_load_b64 v[36:37], v110 offset:20480
	s_waitcnt lgkmcnt(0)
	v_lshrrev_b64 v[36:37], s41, v[36:37]
	s_delay_alu instid0(VALU_DEP_1)
	v_and_b32_e32 v166, s43, v36
	s_or_b32 exec_lo, exec_lo, s33
	s_and_saveexec_b32 s33, s26
	s_cbranch_execnz .LBB815_267
.LBB815_236:                            ;   in Loop: Header=BB815_98 Depth=2
	s_or_b32 exec_lo, exec_lo, s33
	s_and_saveexec_b32 s33, s27
	s_cbranch_execz .LBB815_268
.LBB815_237:                            ;   in Loop: Header=BB815_98 Depth=2
	ds_load_b64 v[36:37], v110 offset:24576
	s_waitcnt lgkmcnt(0)
	v_lshrrev_b64 v[36:37], s41, v[36:37]
	s_delay_alu instid0(VALU_DEP_1)
	v_and_b32_e32 v164, s43, v36
	s_or_b32 exec_lo, exec_lo, s33
	s_and_saveexec_b32 s33, s29
	s_cbranch_execnz .LBB815_269
.LBB815_238:                            ;   in Loop: Header=BB815_98 Depth=2
	s_or_b32 exec_lo, exec_lo, s33
	s_and_saveexec_b32 s33, s30
	s_cbranch_execz .LBB815_270
.LBB815_239:                            ;   in Loop: Header=BB815_98 Depth=2
	ds_load_b64 v[36:37], v110 offset:28672
	s_waitcnt lgkmcnt(0)
	v_lshrrev_b64 v[36:37], s41, v[36:37]
	s_delay_alu instid0(VALU_DEP_1)
	v_and_b32_e32 v162, s43, v36
	s_or_b32 exec_lo, exec_lo, s33
	s_and_saveexec_b32 s33, s31
	s_cbranch_execnz .LBB815_271
	s_branch .LBB815_272
.LBB815_240:                            ;   in Loop: Header=BB815_98 Depth=2
	s_or_b32 exec_lo, exec_lo, s33
	s_delay_alu instid0(SALU_CYCLE_1)
	s_mov_b32 s34, exec_lo
	v_cmpx_lt_u32_e64 v141, v177
	s_cbranch_execz .LBB815_210
.LBB815_241:                            ;   in Loop: Header=BB815_98 Depth=2
	global_load_b64 v[32:33], v[36:37], off offset:256
	s_or_b32 exec_lo, exec_lo, s34
	s_delay_alu instid0(SALU_CYCLE_1)
	s_mov_b32 s34, exec_lo
	v_cmpx_lt_u32_e64 v142, v177
	s_cbranch_execnz .LBB815_211
.LBB815_242:                            ;   in Loop: Header=BB815_98 Depth=2
	s_or_b32 exec_lo, exec_lo, s34
	s_delay_alu instid0(SALU_CYCLE_1)
	s_mov_b32 s34, exec_lo
	v_cmpx_lt_u32_e64 v143, v177
	s_cbranch_execz .LBB815_212
.LBB815_243:                            ;   in Loop: Header=BB815_98 Depth=2
	global_load_b64 v[28:29], v[36:37], off offset:768
	s_or_b32 exec_lo, exec_lo, s34
	s_delay_alu instid0(SALU_CYCLE_1)
	s_mov_b32 s34, exec_lo
	v_cmpx_lt_u32_e64 v144, v177
	s_cbranch_execnz .LBB815_213
.LBB815_244:                            ;   in Loop: Header=BB815_98 Depth=2
	s_or_b32 exec_lo, exec_lo, s34
	s_delay_alu instid0(SALU_CYCLE_1)
	s_mov_b32 s34, exec_lo
	v_cmpx_lt_u32_e64 v145, v177
	s_cbranch_execz .LBB815_214
.LBB815_245:                            ;   in Loop: Header=BB815_98 Depth=2
	global_load_b64 v[24:25], v[36:37], off offset:1280
	s_or_b32 exec_lo, exec_lo, s34
	s_delay_alu instid0(SALU_CYCLE_1)
	s_mov_b32 s34, exec_lo
	v_cmpx_lt_u32_e64 v146, v177
	s_cbranch_execnz .LBB815_215
.LBB815_246:                            ;   in Loop: Header=BB815_98 Depth=2
	s_or_b32 exec_lo, exec_lo, s34
	s_delay_alu instid0(SALU_CYCLE_1)
	s_mov_b32 s34, exec_lo
	v_cmpx_lt_u32_e64 v147, v177
	s_cbranch_execz .LBB815_216
.LBB815_247:                            ;   in Loop: Header=BB815_98 Depth=2
	global_load_b64 v[20:21], v[36:37], off offset:1792
	s_or_b32 exec_lo, exec_lo, s34
	s_delay_alu instid0(SALU_CYCLE_1)
	s_mov_b32 s34, exec_lo
	v_cmpx_lt_u32_e64 v148, v177
	s_cbranch_execnz .LBB815_217
.LBB815_248:                            ;   in Loop: Header=BB815_98 Depth=2
	s_or_b32 exec_lo, exec_lo, s34
	s_delay_alu instid0(SALU_CYCLE_1)
	s_mov_b32 s34, exec_lo
	v_cmpx_lt_u32_e64 v149, v177
	s_cbranch_execz .LBB815_218
.LBB815_249:                            ;   in Loop: Header=BB815_98 Depth=2
	global_load_b64 v[16:17], v[36:37], off offset:2304
	s_or_b32 exec_lo, exec_lo, s34
	s_delay_alu instid0(SALU_CYCLE_1)
	s_mov_b32 s34, exec_lo
	v_cmpx_lt_u32_e64 v150, v177
	s_cbranch_execnz .LBB815_219
.LBB815_250:                            ;   in Loop: Header=BB815_98 Depth=2
	s_or_b32 exec_lo, exec_lo, s34
	s_delay_alu instid0(SALU_CYCLE_1)
	s_mov_b32 s34, exec_lo
	v_cmpx_lt_u32_e64 v151, v177
	s_cbranch_execz .LBB815_220
.LBB815_251:                            ;   in Loop: Header=BB815_98 Depth=2
	global_load_b64 v[12:13], v[36:37], off offset:2816
	s_or_b32 exec_lo, exec_lo, s34
	s_delay_alu instid0(SALU_CYCLE_1)
	s_mov_b32 s34, exec_lo
	v_cmpx_lt_u32_e64 v152, v177
	s_cbranch_execnz .LBB815_221
.LBB815_252:                            ;   in Loop: Header=BB815_98 Depth=2
	s_or_b32 exec_lo, exec_lo, s34
	s_delay_alu instid0(SALU_CYCLE_1)
	s_mov_b32 s34, exec_lo
	v_cmpx_lt_u32_e64 v153, v177
	s_cbranch_execz .LBB815_222
.LBB815_253:                            ;   in Loop: Header=BB815_98 Depth=2
	global_load_b64 v[8:9], v[36:37], off offset:3328
	s_or_b32 exec_lo, exec_lo, s34
	s_delay_alu instid0(SALU_CYCLE_1)
	s_mov_b32 s34, exec_lo
	v_cmpx_lt_u32_e64 v154, v177
	s_cbranch_execnz .LBB815_223
.LBB815_254:                            ;   in Loop: Header=BB815_98 Depth=2
	s_or_b32 exec_lo, exec_lo, s34
	s_delay_alu instid0(SALU_CYCLE_1)
	s_mov_b32 s34, exec_lo
	v_cmpx_lt_u32_e64 v155, v177
	s_cbranch_execz .LBB815_224
.LBB815_255:                            ;   in Loop: Header=BB815_98 Depth=2
	global_load_b64 v[4:5], v[36:37], off offset:3840
	s_or_b32 exec_lo, exec_lo, s34
	s_and_saveexec_b32 s33, vcc_lo
	s_cbranch_execnz .LBB815_225
.LBB815_256:                            ;   in Loop: Header=BB815_98 Depth=2
	s_or_b32 exec_lo, exec_lo, s33
	s_and_saveexec_b32 s33, s16
	s_cbranch_execz .LBB815_226
.LBB815_257:                            ;   in Loop: Header=BB815_98 Depth=2
	ds_load_b64 v[36:37], v110 offset:2048
	s_waitcnt lgkmcnt(0)
	v_lshrrev_b64 v[36:37], s41, v[36:37]
	s_delay_alu instid0(VALU_DEP_1)
	v_and_b32_e32 v175, s43, v36
	s_or_b32 exec_lo, exec_lo, s33
	s_and_saveexec_b32 s33, s17
	s_cbranch_execnz .LBB815_227
.LBB815_258:                            ;   in Loop: Header=BB815_98 Depth=2
	s_or_b32 exec_lo, exec_lo, s33
	s_and_saveexec_b32 s33, s18
	s_cbranch_execz .LBB815_228
.LBB815_259:                            ;   in Loop: Header=BB815_98 Depth=2
	ds_load_b64 v[36:37], v110 offset:6144
	s_waitcnt lgkmcnt(0)
	v_lshrrev_b64 v[36:37], s41, v[36:37]
	s_delay_alu instid0(VALU_DEP_1)
	v_and_b32_e32 v173, s43, v36
	s_or_b32 exec_lo, exec_lo, s33
	s_and_saveexec_b32 s33, s19
	s_cbranch_execnz .LBB815_229
.LBB815_260:                            ;   in Loop: Header=BB815_98 Depth=2
	s_or_b32 exec_lo, exec_lo, s33
	s_and_saveexec_b32 s33, s20
	s_cbranch_execz .LBB815_230
.LBB815_261:                            ;   in Loop: Header=BB815_98 Depth=2
	ds_load_b64 v[36:37], v110 offset:10240
	s_waitcnt lgkmcnt(0)
	v_lshrrev_b64 v[36:37], s41, v[36:37]
	s_delay_alu instid0(VALU_DEP_1)
	v_and_b32_e32 v171, s43, v36
	s_or_b32 exec_lo, exec_lo, s33
	s_and_saveexec_b32 s33, s21
	s_cbranch_execnz .LBB815_231
.LBB815_262:                            ;   in Loop: Header=BB815_98 Depth=2
	s_or_b32 exec_lo, exec_lo, s33
	s_and_saveexec_b32 s33, s22
	s_cbranch_execz .LBB815_232
.LBB815_263:                            ;   in Loop: Header=BB815_98 Depth=2
	ds_load_b64 v[36:37], v110 offset:14336
	s_waitcnt lgkmcnt(0)
	v_lshrrev_b64 v[36:37], s41, v[36:37]
	s_delay_alu instid0(VALU_DEP_1)
	v_and_b32_e32 v169, s43, v36
	s_or_b32 exec_lo, exec_lo, s33
	s_and_saveexec_b32 s33, s23
	s_cbranch_execnz .LBB815_233
.LBB815_264:                            ;   in Loop: Header=BB815_98 Depth=2
	s_or_b32 exec_lo, exec_lo, s33
	s_and_saveexec_b32 s33, s24
	s_cbranch_execz .LBB815_234
.LBB815_265:                            ;   in Loop: Header=BB815_98 Depth=2
	ds_load_b64 v[36:37], v110 offset:18432
	s_waitcnt lgkmcnt(0)
	v_lshrrev_b64 v[36:37], s41, v[36:37]
	s_delay_alu instid0(VALU_DEP_1)
	v_and_b32_e32 v167, s43, v36
	s_or_b32 exec_lo, exec_lo, s33
	s_and_saveexec_b32 s33, s25
	s_cbranch_execnz .LBB815_235
.LBB815_266:                            ;   in Loop: Header=BB815_98 Depth=2
	s_or_b32 exec_lo, exec_lo, s33
	s_and_saveexec_b32 s33, s26
	s_cbranch_execz .LBB815_236
.LBB815_267:                            ;   in Loop: Header=BB815_98 Depth=2
	ds_load_b64 v[36:37], v110 offset:22528
	s_waitcnt lgkmcnt(0)
	v_lshrrev_b64 v[36:37], s41, v[36:37]
	s_delay_alu instid0(VALU_DEP_1)
	v_and_b32_e32 v165, s43, v36
	s_or_b32 exec_lo, exec_lo, s33
	s_and_saveexec_b32 s33, s27
	s_cbranch_execnz .LBB815_237
.LBB815_268:                            ;   in Loop: Header=BB815_98 Depth=2
	s_or_b32 exec_lo, exec_lo, s33
	s_and_saveexec_b32 s33, s29
	s_cbranch_execz .LBB815_238
.LBB815_269:                            ;   in Loop: Header=BB815_98 Depth=2
	ds_load_b64 v[36:37], v110 offset:26624
	s_waitcnt lgkmcnt(0)
	v_lshrrev_b64 v[36:37], s41, v[36:37]
	s_delay_alu instid0(VALU_DEP_1)
	v_and_b32_e32 v163, s43, v36
	s_or_b32 exec_lo, exec_lo, s33
	s_and_saveexec_b32 s33, s30
	s_cbranch_execnz .LBB815_239
.LBB815_270:                            ;   in Loop: Header=BB815_98 Depth=2
	s_or_b32 exec_lo, exec_lo, s33
	s_and_saveexec_b32 s33, s31
	s_cbranch_execz .LBB815_272
.LBB815_271:                            ;   in Loop: Header=BB815_98 Depth=2
	ds_load_b64 v[36:37], v110 offset:30720
	s_waitcnt lgkmcnt(0)
	v_lshrrev_b64 v[36:37], s41, v[36:37]
	s_delay_alu instid0(VALU_DEP_1)
	v_and_b32_e32 v161, s43, v36
.LBB815_272:                            ;   in Loop: Header=BB815_98 Depth=2
	s_or_b32 exec_lo, exec_lo, s33
	v_add_nc_u32_e32 v2, 0x400, v69
	v_add_nc_u32_e32 v36, 0x400, v70
	;; [unrolled: 1-line block ×16, first 2 shown]
	s_waitcnt vmcnt(0)
	s_waitcnt_vscnt null, 0x0
	s_barrier
	buffer_gl0_inv
	ds_store_b64 v2, v[34:35]
	ds_store_b64 v36, v[32:33]
	;; [unrolled: 1-line block ×16, first 2 shown]
	s_waitcnt lgkmcnt(0)
	s_barrier
	buffer_gl0_inv
	s_and_saveexec_b32 s33, vcc_lo
	s_cbranch_execz .LBB815_288
; %bb.273:                              ;   in Loop: Header=BB815_98 Depth=2
	v_lshlrev_b32_e32 v2, 2, v176
	v_add_nc_u32_e32 v36, v104, v76
	ds_load_b32 v2, v2
	ds_load_b64 v[36:37], v36 offset:1024
	s_waitcnt lgkmcnt(1)
	v_add_nc_u32_e32 v2, v2, v1
	s_delay_alu instid0(VALU_DEP_1) | instskip(NEXT) | instid1(VALU_DEP_1)
	v_lshlrev_b64 v[38:39], 3, v[2:3]
	v_add_co_u32 v38, vcc_lo, s52, v38
	s_delay_alu instid0(VALU_DEP_2)
	v_add_co_ci_u32_e32 v39, vcc_lo, s53, v39, vcc_lo
	s_waitcnt lgkmcnt(0)
	global_store_b64 v[38:39], v[36:37], off
	s_or_b32 exec_lo, exec_lo, s33
	s_and_saveexec_b32 s33, s16
	s_cbranch_execnz .LBB815_289
.LBB815_274:                            ;   in Loop: Header=BB815_98 Depth=2
	s_or_b32 exec_lo, exec_lo, s33
	s_and_saveexec_b32 s16, s17
	s_cbranch_execz .LBB815_290
.LBB815_275:                            ;   in Loop: Header=BB815_98 Depth=2
	v_lshlrev_b32_e32 v2, 2, v174
	ds_load_b32 v2, v2
	ds_load_b64 v[36:37], v110 offset:4096
	s_waitcnt lgkmcnt(1)
	v_add_nc_u32_e32 v2, v2, v78
	s_delay_alu instid0(VALU_DEP_1) | instskip(NEXT) | instid1(VALU_DEP_1)
	v_lshlrev_b64 v[38:39], 3, v[2:3]
	v_add_co_u32 v38, vcc_lo, s52, v38
	s_delay_alu instid0(VALU_DEP_2)
	v_add_co_ci_u32_e32 v39, vcc_lo, s53, v39, vcc_lo
	s_waitcnt lgkmcnt(0)
	global_store_b64 v[38:39], v[36:37], off
	s_or_b32 exec_lo, exec_lo, s16
	s_and_saveexec_b32 s16, s18
	s_cbranch_execnz .LBB815_291
.LBB815_276:                            ;   in Loop: Header=BB815_98 Depth=2
	s_or_b32 exec_lo, exec_lo, s16
	s_and_saveexec_b32 s16, s19
	s_cbranch_execz .LBB815_292
.LBB815_277:                            ;   in Loop: Header=BB815_98 Depth=2
	v_lshlrev_b32_e32 v2, 2, v172
	ds_load_b32 v2, v2
	ds_load_b64 v[36:37], v110 offset:8192
	s_waitcnt lgkmcnt(1)
	v_add_nc_u32_e32 v2, v2, v83
	s_delay_alu instid0(VALU_DEP_1) | instskip(NEXT) | instid1(VALU_DEP_1)
	v_lshlrev_b64 v[38:39], 3, v[2:3]
	v_add_co_u32 v38, vcc_lo, s52, v38
	s_delay_alu instid0(VALU_DEP_2)
	v_add_co_ci_u32_e32 v39, vcc_lo, s53, v39, vcc_lo
	s_waitcnt lgkmcnt(0)
	global_store_b64 v[38:39], v[36:37], off
	s_or_b32 exec_lo, exec_lo, s16
	s_and_saveexec_b32 s16, s20
	s_cbranch_execnz .LBB815_293
.LBB815_278:                            ;   in Loop: Header=BB815_98 Depth=2
	s_or_b32 exec_lo, exec_lo, s16
	s_and_saveexec_b32 s16, s21
	s_cbranch_execz .LBB815_294
.LBB815_279:                            ;   in Loop: Header=BB815_98 Depth=2
	v_lshlrev_b32_e32 v2, 2, v170
	ds_load_b32 v2, v2
	ds_load_b64 v[36:37], v110 offset:12288
	s_waitcnt lgkmcnt(1)
	v_add_nc_u32_e32 v2, v2, v85
	s_delay_alu instid0(VALU_DEP_1) | instskip(NEXT) | instid1(VALU_DEP_1)
	v_lshlrev_b64 v[38:39], 3, v[2:3]
	v_add_co_u32 v38, vcc_lo, s52, v38
	s_delay_alu instid0(VALU_DEP_2)
	v_add_co_ci_u32_e32 v39, vcc_lo, s53, v39, vcc_lo
	s_waitcnt lgkmcnt(0)
	global_store_b64 v[38:39], v[36:37], off
	s_or_b32 exec_lo, exec_lo, s16
	s_and_saveexec_b32 s16, s22
	s_cbranch_execnz .LBB815_295
.LBB815_280:                            ;   in Loop: Header=BB815_98 Depth=2
	s_or_b32 exec_lo, exec_lo, s16
	s_and_saveexec_b32 s16, s23
	s_cbranch_execz .LBB815_296
.LBB815_281:                            ;   in Loop: Header=BB815_98 Depth=2
	v_lshlrev_b32_e32 v2, 2, v168
	ds_load_b32 v2, v2
	ds_load_b64 v[36:37], v110 offset:16384
	s_waitcnt lgkmcnt(1)
	v_add_nc_u32_e32 v2, v2, v87
	s_delay_alu instid0(VALU_DEP_1) | instskip(NEXT) | instid1(VALU_DEP_1)
	v_lshlrev_b64 v[38:39], 3, v[2:3]
	v_add_co_u32 v38, vcc_lo, s52, v38
	s_delay_alu instid0(VALU_DEP_2)
	v_add_co_ci_u32_e32 v39, vcc_lo, s53, v39, vcc_lo
	s_waitcnt lgkmcnt(0)
	global_store_b64 v[38:39], v[36:37], off
	s_or_b32 exec_lo, exec_lo, s16
	s_and_saveexec_b32 s16, s24
	s_cbranch_execnz .LBB815_297
.LBB815_282:                            ;   in Loop: Header=BB815_98 Depth=2
	s_or_b32 exec_lo, exec_lo, s16
	s_and_saveexec_b32 s16, s25
	s_cbranch_execz .LBB815_298
.LBB815_283:                            ;   in Loop: Header=BB815_98 Depth=2
	v_lshlrev_b32_e32 v2, 2, v166
	ds_load_b32 v2, v2
	ds_load_b64 v[36:37], v110 offset:20480
	s_waitcnt lgkmcnt(1)
	v_add_nc_u32_e32 v2, v2, v89
	s_delay_alu instid0(VALU_DEP_1) | instskip(NEXT) | instid1(VALU_DEP_1)
	v_lshlrev_b64 v[38:39], 3, v[2:3]
	v_add_co_u32 v38, vcc_lo, s52, v38
	s_delay_alu instid0(VALU_DEP_2)
	v_add_co_ci_u32_e32 v39, vcc_lo, s53, v39, vcc_lo
	s_waitcnt lgkmcnt(0)
	global_store_b64 v[38:39], v[36:37], off
	s_or_b32 exec_lo, exec_lo, s16
	s_and_saveexec_b32 s16, s26
	s_cbranch_execnz .LBB815_299
.LBB815_284:                            ;   in Loop: Header=BB815_98 Depth=2
	s_or_b32 exec_lo, exec_lo, s16
	s_and_saveexec_b32 s16, s27
	s_cbranch_execz .LBB815_300
.LBB815_285:                            ;   in Loop: Header=BB815_98 Depth=2
	v_lshlrev_b32_e32 v2, 2, v164
	ds_load_b32 v2, v2
	ds_load_b64 v[36:37], v110 offset:24576
	s_waitcnt lgkmcnt(1)
	v_add_nc_u32_e32 v2, v2, v91
	s_delay_alu instid0(VALU_DEP_1) | instskip(NEXT) | instid1(VALU_DEP_1)
	v_lshlrev_b64 v[38:39], 3, v[2:3]
	v_add_co_u32 v38, vcc_lo, s52, v38
	s_delay_alu instid0(VALU_DEP_2)
	v_add_co_ci_u32_e32 v39, vcc_lo, s53, v39, vcc_lo
	s_waitcnt lgkmcnt(0)
	global_store_b64 v[38:39], v[36:37], off
	s_or_b32 exec_lo, exec_lo, s16
	s_and_saveexec_b32 s16, s29
	s_cbranch_execnz .LBB815_301
.LBB815_286:                            ;   in Loop: Header=BB815_98 Depth=2
	s_or_b32 exec_lo, exec_lo, s16
	s_and_saveexec_b32 s16, s30
	s_cbranch_execz .LBB815_302
.LBB815_287:                            ;   in Loop: Header=BB815_98 Depth=2
	v_lshlrev_b32_e32 v2, 2, v162
	ds_load_b32 v2, v2
	ds_load_b64 v[36:37], v110 offset:28672
	s_waitcnt lgkmcnt(1)
	v_add_nc_u32_e32 v2, v2, v93
	s_delay_alu instid0(VALU_DEP_1) | instskip(NEXT) | instid1(VALU_DEP_1)
	v_lshlrev_b64 v[38:39], 3, v[2:3]
	v_add_co_u32 v38, vcc_lo, s52, v38
	s_delay_alu instid0(VALU_DEP_2)
	v_add_co_ci_u32_e32 v39, vcc_lo, s53, v39, vcc_lo
	s_waitcnt lgkmcnt(0)
	global_store_b64 v[38:39], v[36:37], off
	s_or_b32 exec_lo, exec_lo, s16
	s_and_saveexec_b32 s16, s31
	s_cbranch_execnz .LBB815_303
	s_branch .LBB815_304
.LBB815_288:                            ;   in Loop: Header=BB815_98 Depth=2
	s_or_b32 exec_lo, exec_lo, s33
	s_and_saveexec_b32 s33, s16
	s_cbranch_execz .LBB815_274
.LBB815_289:                            ;   in Loop: Header=BB815_98 Depth=2
	v_lshlrev_b32_e32 v2, 2, v175
	ds_load_b32 v2, v2
	ds_load_b64 v[36:37], v110 offset:2048
	s_waitcnt lgkmcnt(1)
	v_add_nc_u32_e32 v2, v2, v77
	s_delay_alu instid0(VALU_DEP_1) | instskip(NEXT) | instid1(VALU_DEP_1)
	v_lshlrev_b64 v[38:39], 3, v[2:3]
	v_add_co_u32 v38, vcc_lo, s52, v38
	s_delay_alu instid0(VALU_DEP_2)
	v_add_co_ci_u32_e32 v39, vcc_lo, s53, v39, vcc_lo
	s_waitcnt lgkmcnt(0)
	global_store_b64 v[38:39], v[36:37], off
	s_or_b32 exec_lo, exec_lo, s33
	s_and_saveexec_b32 s16, s17
	s_cbranch_execnz .LBB815_275
.LBB815_290:                            ;   in Loop: Header=BB815_98 Depth=2
	s_or_b32 exec_lo, exec_lo, s16
	s_and_saveexec_b32 s16, s18
	s_cbranch_execz .LBB815_276
.LBB815_291:                            ;   in Loop: Header=BB815_98 Depth=2
	v_lshlrev_b32_e32 v2, 2, v173
	ds_load_b32 v2, v2
	ds_load_b64 v[36:37], v110 offset:6144
	s_waitcnt lgkmcnt(1)
	v_add_nc_u32_e32 v2, v2, v79
	s_delay_alu instid0(VALU_DEP_1) | instskip(NEXT) | instid1(VALU_DEP_1)
	v_lshlrev_b64 v[38:39], 3, v[2:3]
	v_add_co_u32 v38, vcc_lo, s52, v38
	s_delay_alu instid0(VALU_DEP_2)
	v_add_co_ci_u32_e32 v39, vcc_lo, s53, v39, vcc_lo
	s_waitcnt lgkmcnt(0)
	global_store_b64 v[38:39], v[36:37], off
	s_or_b32 exec_lo, exec_lo, s16
	s_and_saveexec_b32 s16, s19
	s_cbranch_execnz .LBB815_277
.LBB815_292:                            ;   in Loop: Header=BB815_98 Depth=2
	s_or_b32 exec_lo, exec_lo, s16
	s_and_saveexec_b32 s16, s20
	s_cbranch_execz .LBB815_278
.LBB815_293:                            ;   in Loop: Header=BB815_98 Depth=2
	v_lshlrev_b32_e32 v2, 2, v171
	ds_load_b32 v2, v2
	ds_load_b64 v[36:37], v110 offset:10240
	s_waitcnt lgkmcnt(1)
	v_add_nc_u32_e32 v2, v2, v84
	s_delay_alu instid0(VALU_DEP_1) | instskip(NEXT) | instid1(VALU_DEP_1)
	v_lshlrev_b64 v[38:39], 3, v[2:3]
	v_add_co_u32 v38, vcc_lo, s52, v38
	s_delay_alu instid0(VALU_DEP_2)
	v_add_co_ci_u32_e32 v39, vcc_lo, s53, v39, vcc_lo
	s_waitcnt lgkmcnt(0)
	global_store_b64 v[38:39], v[36:37], off
	s_or_b32 exec_lo, exec_lo, s16
	s_and_saveexec_b32 s16, s21
	s_cbranch_execnz .LBB815_279
.LBB815_294:                            ;   in Loop: Header=BB815_98 Depth=2
	s_or_b32 exec_lo, exec_lo, s16
	s_and_saveexec_b32 s16, s22
	s_cbranch_execz .LBB815_280
.LBB815_295:                            ;   in Loop: Header=BB815_98 Depth=2
	v_lshlrev_b32_e32 v2, 2, v169
	ds_load_b32 v2, v2
	ds_load_b64 v[36:37], v110 offset:14336
	s_waitcnt lgkmcnt(1)
	v_add_nc_u32_e32 v2, v2, v86
	s_delay_alu instid0(VALU_DEP_1) | instskip(NEXT) | instid1(VALU_DEP_1)
	v_lshlrev_b64 v[38:39], 3, v[2:3]
	v_add_co_u32 v38, vcc_lo, s52, v38
	s_delay_alu instid0(VALU_DEP_2)
	v_add_co_ci_u32_e32 v39, vcc_lo, s53, v39, vcc_lo
	s_waitcnt lgkmcnt(0)
	global_store_b64 v[38:39], v[36:37], off
	s_or_b32 exec_lo, exec_lo, s16
	s_and_saveexec_b32 s16, s23
	s_cbranch_execnz .LBB815_281
.LBB815_296:                            ;   in Loop: Header=BB815_98 Depth=2
	s_or_b32 exec_lo, exec_lo, s16
	s_and_saveexec_b32 s16, s24
	s_cbranch_execz .LBB815_282
.LBB815_297:                            ;   in Loop: Header=BB815_98 Depth=2
	v_lshlrev_b32_e32 v2, 2, v167
	ds_load_b32 v2, v2
	ds_load_b64 v[36:37], v110 offset:18432
	s_waitcnt lgkmcnt(1)
	v_add_nc_u32_e32 v2, v2, v88
	s_delay_alu instid0(VALU_DEP_1) | instskip(NEXT) | instid1(VALU_DEP_1)
	v_lshlrev_b64 v[38:39], 3, v[2:3]
	v_add_co_u32 v38, vcc_lo, s52, v38
	s_delay_alu instid0(VALU_DEP_2)
	v_add_co_ci_u32_e32 v39, vcc_lo, s53, v39, vcc_lo
	s_waitcnt lgkmcnt(0)
	global_store_b64 v[38:39], v[36:37], off
	s_or_b32 exec_lo, exec_lo, s16
	s_and_saveexec_b32 s16, s25
	s_cbranch_execnz .LBB815_283
.LBB815_298:                            ;   in Loop: Header=BB815_98 Depth=2
	s_or_b32 exec_lo, exec_lo, s16
	s_and_saveexec_b32 s16, s26
	s_cbranch_execz .LBB815_284
.LBB815_299:                            ;   in Loop: Header=BB815_98 Depth=2
	v_lshlrev_b32_e32 v2, 2, v165
	ds_load_b32 v2, v2
	ds_load_b64 v[36:37], v110 offset:22528
	s_waitcnt lgkmcnt(1)
	v_add_nc_u32_e32 v2, v2, v90
	s_delay_alu instid0(VALU_DEP_1) | instskip(NEXT) | instid1(VALU_DEP_1)
	v_lshlrev_b64 v[38:39], 3, v[2:3]
	v_add_co_u32 v38, vcc_lo, s52, v38
	s_delay_alu instid0(VALU_DEP_2)
	v_add_co_ci_u32_e32 v39, vcc_lo, s53, v39, vcc_lo
	s_waitcnt lgkmcnt(0)
	global_store_b64 v[38:39], v[36:37], off
	s_or_b32 exec_lo, exec_lo, s16
	s_and_saveexec_b32 s16, s27
	s_cbranch_execnz .LBB815_285
.LBB815_300:                            ;   in Loop: Header=BB815_98 Depth=2
	s_or_b32 exec_lo, exec_lo, s16
	s_and_saveexec_b32 s16, s29
	s_cbranch_execz .LBB815_286
.LBB815_301:                            ;   in Loop: Header=BB815_98 Depth=2
	v_lshlrev_b32_e32 v2, 2, v163
	ds_load_b32 v2, v2
	ds_load_b64 v[36:37], v110 offset:26624
	s_waitcnt lgkmcnt(1)
	v_add_nc_u32_e32 v2, v2, v92
	s_delay_alu instid0(VALU_DEP_1) | instskip(NEXT) | instid1(VALU_DEP_1)
	v_lshlrev_b64 v[38:39], 3, v[2:3]
	v_add_co_u32 v38, vcc_lo, s52, v38
	s_delay_alu instid0(VALU_DEP_2)
	v_add_co_ci_u32_e32 v39, vcc_lo, s53, v39, vcc_lo
	s_waitcnt lgkmcnt(0)
	global_store_b64 v[38:39], v[36:37], off
	s_or_b32 exec_lo, exec_lo, s16
	s_and_saveexec_b32 s16, s30
	s_cbranch_execnz .LBB815_287
.LBB815_302:                            ;   in Loop: Header=BB815_98 Depth=2
	s_or_b32 exec_lo, exec_lo, s16
	s_and_saveexec_b32 s16, s31
	s_cbranch_execz .LBB815_304
.LBB815_303:                            ;   in Loop: Header=BB815_98 Depth=2
	v_lshlrev_b32_e32 v2, 2, v161
	ds_load_b32 v2, v2
	ds_load_b64 v[36:37], v110 offset:30720
	s_waitcnt lgkmcnt(1)
	v_add_nc_u32_e32 v2, v2, v95
	s_delay_alu instid0(VALU_DEP_1) | instskip(NEXT) | instid1(VALU_DEP_1)
	v_lshlrev_b64 v[38:39], 3, v[2:3]
	v_add_co_u32 v38, vcc_lo, s52, v38
	s_delay_alu instid0(VALU_DEP_2)
	v_add_co_ci_u32_e32 v39, vcc_lo, s53, v39, vcc_lo
	s_waitcnt lgkmcnt(0)
	global_store_b64 v[38:39], v[36:37], off
.LBB815_304:                            ;   in Loop: Header=BB815_98 Depth=2
	s_or_b32 exec_lo, exec_lo, s16
	s_waitcnt_vscnt null, 0x0
	s_barrier
	buffer_gl0_inv
	s_and_saveexec_b32 s16, s2
	s_cbranch_execz .LBB815_97
; %bb.305:                              ;   in Loop: Header=BB815_98 Depth=2
	ds_load_b32 v2, v76
	s_waitcnt lgkmcnt(0)
	v_add_nc_u32_e32 v2, v2, v68
	ds_store_b32 v76, v2
	s_branch .LBB815_97
.LBB815_306:                            ;   in Loop: Header=BB815_12 Depth=1
	s_waitcnt lgkmcnt(0)
	s_mov_b32 s1, 0
	s_barrier
.LBB815_307:                            ;   in Loop: Header=BB815_12 Depth=1
	s_and_b32 vcc_lo, exec_lo, s1
	s_cbranch_vccz .LBB815_601
; %bb.308:                              ;   in Loop: Header=BB815_12 Depth=1
	s_mov_b32 s1, s62
	s_mov_b32 s34, s60
	s_barrier
	buffer_gl0_inv
                                        ; implicit-def: $vgpr34_vgpr35
                                        ; implicit-def: $vgpr4_vgpr5
                                        ; implicit-def: $vgpr6_vgpr7
                                        ; implicit-def: $vgpr8_vgpr9
                                        ; implicit-def: $vgpr10_vgpr11
                                        ; implicit-def: $vgpr12_vgpr13
                                        ; implicit-def: $vgpr14_vgpr15
                                        ; implicit-def: $vgpr16_vgpr17
                                        ; implicit-def: $vgpr18_vgpr19
                                        ; implicit-def: $vgpr20_vgpr21
                                        ; implicit-def: $vgpr22_vgpr23
                                        ; implicit-def: $vgpr24_vgpr25
                                        ; implicit-def: $vgpr26_vgpr27
                                        ; implicit-def: $vgpr28_vgpr29
                                        ; implicit-def: $vgpr30_vgpr31
                                        ; implicit-def: $vgpr32_vgpr33
	s_branch .LBB815_310
.LBB815_309:                            ;   in Loop: Header=BB815_310 Depth=2
	s_or_b32 exec_lo, exec_lo, s8
	s_addk_i32 s1, 0xf000
	s_cmp_ge_u32 s7, s61
	s_mov_b32 s34, s7
	s_cbranch_scc1 .LBB815_380
.LBB815_310:                            ;   Parent Loop BB815_12 Depth=1
                                        ; =>  This Inner Loop Header: Depth=2
	s_add_i32 s7, s34, 0x1000
	s_delay_alu instid0(SALU_CYCLE_1)
	s_cmp_gt_u32 s7, s61
	s_cbranch_scc1 .LBB815_313
; %bb.311:                              ;   in Loop: Header=BB815_310 Depth=2
	s_mov_b32 s9, 0
	s_mov_b32 s8, s34
	s_delay_alu instid0(SALU_CYCLE_1) | instskip(NEXT) | instid1(SALU_CYCLE_1)
	s_lshl_b64 s[10:11], s[8:9], 3
	v_add_co_u32 v36, vcc_lo, v111, s10
	v_add_co_ci_u32_e32 v37, vcc_lo, s11, v112, vcc_lo
	s_movk_i32 s11, 0x1000
	s_waitcnt vmcnt(12)
	s_delay_alu instid0(VALU_DEP_2) | instskip(NEXT) | instid1(VALU_DEP_2)
	v_add_co_u32 v42, vcc_lo, 0x1000, v36
	v_add_co_ci_u32_e32 v43, vcc_lo, 0, v37, vcc_lo
	s_waitcnt vmcnt(11)
	v_add_co_u32 v44, vcc_lo, 0x2000, v36
	v_add_co_ci_u32_e32 v45, vcc_lo, 0, v37, vcc_lo
	s_waitcnt vmcnt(1)
	v_add_co_u32 v50, vcc_lo, v36, 0x2000
	v_add_co_ci_u32_e32 v51, vcc_lo, 0, v37, vcc_lo
	v_add_co_u32 v52, vcc_lo, v36, 0x4000
	v_add_co_ci_u32_e32 v53, vcc_lo, 0, v37, vcc_lo
	;; [unrolled: 2-line block ×7, first 2 shown]
	s_waitcnt vmcnt(0)
	v_add_co_u32 v66, vcc_lo, 0x7000, v36
	v_add_co_ci_u32_e32 v67, vcc_lo, 0, v37, vcc_lo
	s_clause 0xe
	global_load_b64 v[38:39], v[36:37], off
	global_load_b64 v[40:41], v[36:37], off offset:2048
	global_load_b64 v[42:43], v[42:43], off offset:2048
	;; [unrolled: 1-line block ×3, first 2 shown]
	global_load_b64 v[46:47], v[50:51], off
	global_load_b64 v[48:49], v[52:53], off offset:-4096
	global_load_b64 v[52:53], v[52:53], off
	global_load_b64 v[56:57], v[60:61], off offset:-4096
	global_load_b64 v[60:61], v[60:61], off
	global_load_b64 v[54:55], v[54:55], off offset:2048
	global_load_b64 v[58:59], v[58:59], off offset:2048
	;; [unrolled: 1-line block ×4, first 2 shown]
	global_load_b64 v[50:51], v[50:51], off offset:-4096
	global_load_b64 v[66:67], v[66:67], off
	v_add_co_u32 v36, vcc_lo, 0x7800, v36
	v_add_co_ci_u32_e32 v37, vcc_lo, 0, v37, vcc_lo
	s_mov_b32 s10, -1
	s_cbranch_execz .LBB815_314
; %bb.312:                              ;   in Loop: Header=BB815_310 Depth=2
                                        ; implicit-def: $vgpr32_vgpr33
                                        ; implicit-def: $vgpr30_vgpr31
                                        ; implicit-def: $vgpr28_vgpr29
                                        ; implicit-def: $vgpr26_vgpr27
                                        ; implicit-def: $vgpr24_vgpr25
                                        ; implicit-def: $vgpr22_vgpr23
                                        ; implicit-def: $vgpr20_vgpr21
                                        ; implicit-def: $vgpr18_vgpr19
                                        ; implicit-def: $vgpr16_vgpr17
                                        ; implicit-def: $vgpr14_vgpr15
                                        ; implicit-def: $vgpr12_vgpr13
                                        ; implicit-def: $vgpr10_vgpr11
                                        ; implicit-def: $vgpr8_vgpr9
                                        ; implicit-def: $vgpr6_vgpr7
                                        ; implicit-def: $vgpr4_vgpr5
                                        ; implicit-def: $vgpr34_vgpr35
	v_mov_b32_e32 v2, s1
	s_and_saveexec_b32 s8, s10
	s_cbranch_execnz .LBB815_333
	s_branch .LBB815_334
.LBB815_313:                            ;   in Loop: Header=BB815_310 Depth=2
	s_mov_b32 s10, 0
                                        ; implicit-def: $sgpr11
                                        ; implicit-def: $vgpr38_vgpr39
                                        ; implicit-def: $vgpr40_vgpr41
                                        ; implicit-def: $vgpr50_vgpr51
                                        ; implicit-def: $vgpr42_vgpr43
                                        ; implicit-def: $vgpr46_vgpr47
                                        ; implicit-def: $vgpr44_vgpr45
                                        ; implicit-def: $vgpr48_vgpr49
                                        ; implicit-def: $vgpr54_vgpr55
                                        ; implicit-def: $vgpr52_vgpr53
                                        ; implicit-def: $vgpr58_vgpr59
                                        ; implicit-def: $vgpr56_vgpr57
                                        ; implicit-def: $vgpr62_vgpr63
                                        ; implicit-def: $vgpr60_vgpr61
                                        ; implicit-def: $vgpr64_vgpr65
                                        ; implicit-def: $vgpr66_vgpr67
                                        ; implicit-def: $vgpr36_vgpr37
.LBB815_314:                            ;   in Loop: Header=BB815_310 Depth=2
	s_lshl_b64 s[8:9], s[34:35], 3
	s_mov_b32 s11, exec_lo
	s_add_u32 s8, s46, s8
	s_addc_u32 s9, s47, s9
	v_cmpx_gt_u32_e64 s1, v1
	s_cbranch_execz .LBB815_366
; %bb.315:                              ;   in Loop: Header=BB815_310 Depth=2
	global_load_b64 v[32:33], v124, s[8:9]
	s_or_b32 exec_lo, exec_lo, s11
	s_delay_alu instid0(SALU_CYCLE_1)
	s_mov_b32 s11, exec_lo
	v_cmpx_gt_u32_e64 s1, v77
	s_cbranch_execnz .LBB815_367
.LBB815_316:                            ;   in Loop: Header=BB815_310 Depth=2
	s_or_b32 exec_lo, exec_lo, s11
	s_delay_alu instid0(SALU_CYCLE_1)
	s_mov_b32 s11, exec_lo
	v_cmpx_gt_u32_e64 s1, v78
	s_cbranch_execz .LBB815_368
.LBB815_317:                            ;   in Loop: Header=BB815_310 Depth=2
	global_load_b64 v[28:29], v125, s[8:9]
	s_or_b32 exec_lo, exec_lo, s11
	s_delay_alu instid0(SALU_CYCLE_1)
	s_mov_b32 s11, exec_lo
	v_cmpx_gt_u32_e64 s1, v79
	s_cbranch_execnz .LBB815_369
.LBB815_318:                            ;   in Loop: Header=BB815_310 Depth=2
	s_or_b32 exec_lo, exec_lo, s11
	s_delay_alu instid0(SALU_CYCLE_1)
	s_mov_b32 s11, exec_lo
	v_cmpx_gt_u32_e64 s1, v83
	s_cbranch_execz .LBB815_370
.LBB815_319:                            ;   in Loop: Header=BB815_310 Depth=2
	global_load_b64 v[24:25], v127, s[8:9]
	s_or_b32 exec_lo, exec_lo, s11
	s_delay_alu instid0(SALU_CYCLE_1)
	s_mov_b32 s11, exec_lo
	v_cmpx_gt_u32_e64 s1, v84
	s_cbranch_execnz .LBB815_371
.LBB815_320:                            ;   in Loop: Header=BB815_310 Depth=2
	s_or_b32 exec_lo, exec_lo, s11
	s_delay_alu instid0(SALU_CYCLE_1)
	s_mov_b32 s11, exec_lo
	v_cmpx_gt_u32_e64 s1, v85
	s_cbranch_execz .LBB815_372
.LBB815_321:                            ;   in Loop: Header=BB815_310 Depth=2
	global_load_b64 v[20:21], v129, s[8:9]
	s_or_b32 exec_lo, exec_lo, s11
	s_delay_alu instid0(SALU_CYCLE_1)
	s_mov_b32 s11, exec_lo
	v_cmpx_gt_u32_e64 s1, v86
	s_cbranch_execnz .LBB815_373
.LBB815_322:                            ;   in Loop: Header=BB815_310 Depth=2
	s_or_b32 exec_lo, exec_lo, s11
	s_delay_alu instid0(SALU_CYCLE_1)
	s_mov_b32 s11, exec_lo
	v_cmpx_gt_u32_e64 s1, v87
	s_cbranch_execz .LBB815_374
.LBB815_323:                            ;   in Loop: Header=BB815_310 Depth=2
	global_load_b64 v[16:17], v131, s[8:9]
	s_or_b32 exec_lo, exec_lo, s11
	s_delay_alu instid0(SALU_CYCLE_1)
	s_mov_b32 s11, exec_lo
	v_cmpx_gt_u32_e64 s1, v88
	s_cbranch_execnz .LBB815_375
.LBB815_324:                            ;   in Loop: Header=BB815_310 Depth=2
	s_or_b32 exec_lo, exec_lo, s11
	s_delay_alu instid0(SALU_CYCLE_1)
	s_mov_b32 s11, exec_lo
	v_cmpx_gt_u32_e64 s1, v89
	s_cbranch_execz .LBB815_376
.LBB815_325:                            ;   in Loop: Header=BB815_310 Depth=2
	global_load_b64 v[12:13], v133, s[8:9]
	s_or_b32 exec_lo, exec_lo, s11
	s_delay_alu instid0(SALU_CYCLE_1)
	s_mov_b32 s11, exec_lo
	v_cmpx_gt_u32_e64 s1, v90
	s_cbranch_execnz .LBB815_377
.LBB815_326:                            ;   in Loop: Header=BB815_310 Depth=2
	s_or_b32 exec_lo, exec_lo, s11
	s_delay_alu instid0(SALU_CYCLE_1)
	s_mov_b32 s11, exec_lo
	v_cmpx_gt_u32_e64 s1, v91
	s_cbranch_execz .LBB815_378
.LBB815_327:                            ;   in Loop: Header=BB815_310 Depth=2
	global_load_b64 v[8:9], v135, s[8:9]
	s_or_b32 exec_lo, exec_lo, s11
	s_delay_alu instid0(SALU_CYCLE_1)
	s_mov_b32 s11, exec_lo
	v_cmpx_gt_u32_e64 s1, v92
	s_cbranch_execnz .LBB815_379
.LBB815_328:                            ;   in Loop: Header=BB815_310 Depth=2
	s_or_b32 exec_lo, exec_lo, s11
	s_delay_alu instid0(SALU_CYCLE_1)
	s_mov_b32 s11, exec_lo
	v_cmpx_gt_u32_e64 s1, v93
	s_cbranch_execz .LBB815_330
.LBB815_329:                            ;   in Loop: Header=BB815_310 Depth=2
	v_lshlrev_b32_e32 v2, 3, v93
	global_load_b64 v[4:5], v2, s[8:9]
.LBB815_330:                            ;   in Loop: Header=BB815_310 Depth=2
	s_or_b32 exec_lo, exec_lo, s11
	s_delay_alu instid0(SALU_CYCLE_1)
	s_mov_b32 s12, exec_lo
                                        ; implicit-def: $sgpr11
                                        ; implicit-def: $vgpr36_vgpr37
	v_cmpx_gt_u32_e64 s1, v95
; %bb.331:                              ;   in Loop: Header=BB815_310 Depth=2
	v_lshlrev_b32_e32 v2, 3, v95
	s_sub_i32 s11, s61, s34
	s_or_b32 s10, s10, exec_lo
                                        ; implicit-def: $vgpr34_vgpr35
	s_delay_alu instid0(VALU_DEP_1) | instskip(NEXT) | instid1(VALU_DEP_1)
	v_add_co_u32 v36, s8, s8, v2
	v_add_co_ci_u32_e64 v37, null, s9, 0, s8
; %bb.332:                              ;   in Loop: Header=BB815_310 Depth=2
	s_or_b32 exec_lo, exec_lo, s12
	s_waitcnt vmcnt(0)
	v_dual_mov_b32 v39, v33 :: v_dual_mov_b32 v38, v32
	v_dual_mov_b32 v41, v31 :: v_dual_mov_b32 v40, v30
	;; [unrolled: 1-line block ×15, first 2 shown]
	v_mov_b32_e32 v2, s1
	s_and_saveexec_b32 s8, s10
	s_cbranch_execz .LBB815_334
.LBB815_333:                            ;   in Loop: Header=BB815_310 Depth=2
	global_load_b64 v[34:35], v[36:37], off
	s_waitcnt vmcnt(1)
	v_mov_b32_e32 v4, v66
	v_mov_b32_e32 v6, v64
	v_mov_b32_e32 v8, v60
	v_mov_b32_e32 v10, v62
	v_mov_b32_e32 v12, v56
	v_mov_b32_e32 v14, v58
	v_mov_b32_e32 v16, v52
	v_mov_b32_e32 v18, v54
	v_mov_b32_e32 v20, v48
	v_mov_b32_e32 v22, v44
	v_mov_b32_e32 v24, v46
	v_mov_b32_e32 v26, v42
	v_mov_b32_e32 v28, v50
	v_mov_b32_e32 v30, v40
	v_dual_mov_b32 v32, v38 :: v_dual_mov_b32 v33, v39
	v_dual_mov_b32 v2, s11 :: v_dual_mov_b32 v5, v67
	v_mov_b32_e32 v7, v65
	v_mov_b32_e32 v9, v61
	;; [unrolled: 1-line block ×13, first 2 shown]
.LBB815_334:                            ;   in Loop: Header=BB815_310 Depth=2
	s_or_b32 exec_lo, exec_lo, s8
	s_delay_alu instid0(SALU_CYCLE_1)
	s_mov_b32 s8, exec_lo
	v_cmpx_lt_u32_e64 v1, v2
	s_cbranch_execz .LBB815_350
; %bb.335:                              ;   in Loop: Header=BB815_310 Depth=2
	v_xor_b32_e32 v37, 0x80000000, v33
	v_mov_b32_e32 v36, v32
	s_delay_alu instid0(VALU_DEP_1) | instskip(SKIP_1) | instid1(VALU_DEP_2)
	v_lshrrev_b64 v[36:37], s41, v[36:37]
	v_lshlrev_b32_e32 v37, 2, v80
	v_and_b32_e32 v36, s43, v36
	s_delay_alu instid0(VALU_DEP_1) | instskip(SKIP_2) | instid1(SALU_CYCLE_1)
	v_lshl_or_b32 v36, v36, 4, v37
	ds_add_u32 v36, v123
	s_or_b32 exec_lo, exec_lo, s8
	s_mov_b32 s8, exec_lo
	v_cmpx_lt_u32_e64 v77, v2
	s_cbranch_execnz .LBB815_351
.LBB815_336:                            ;   in Loop: Header=BB815_310 Depth=2
	s_or_b32 exec_lo, exec_lo, s8
	s_delay_alu instid0(SALU_CYCLE_1)
	s_mov_b32 s8, exec_lo
	v_cmpx_lt_u32_e64 v78, v2
	s_cbranch_execz .LBB815_352
.LBB815_337:                            ;   in Loop: Header=BB815_310 Depth=2
	v_xor_b32_e32 v37, 0x80000000, v29
	v_mov_b32_e32 v36, v28
	s_delay_alu instid0(VALU_DEP_1) | instskip(SKIP_1) | instid1(VALU_DEP_2)
	v_lshrrev_b64 v[36:37], s41, v[36:37]
	v_lshlrev_b32_e32 v37, 2, v80
	v_and_b32_e32 v36, s43, v36
	s_delay_alu instid0(VALU_DEP_1) | instskip(SKIP_2) | instid1(SALU_CYCLE_1)
	v_lshl_or_b32 v36, v36, 4, v37
	ds_add_u32 v36, v123
	s_or_b32 exec_lo, exec_lo, s8
	s_mov_b32 s8, exec_lo
	v_cmpx_lt_u32_e64 v79, v2
	s_cbranch_execnz .LBB815_353
.LBB815_338:                            ;   in Loop: Header=BB815_310 Depth=2
	s_or_b32 exec_lo, exec_lo, s8
	s_delay_alu instid0(SALU_CYCLE_1)
	s_mov_b32 s8, exec_lo
	v_cmpx_lt_u32_e64 v83, v2
	s_cbranch_execz .LBB815_354
.LBB815_339:                            ;   in Loop: Header=BB815_310 Depth=2
	v_xor_b32_e32 v37, 0x80000000, v25
	v_mov_b32_e32 v36, v24
	s_delay_alu instid0(VALU_DEP_1) | instskip(SKIP_1) | instid1(VALU_DEP_2)
	v_lshrrev_b64 v[36:37], s41, v[36:37]
	v_lshlrev_b32_e32 v37, 2, v80
	v_and_b32_e32 v36, s43, v36
	s_delay_alu instid0(VALU_DEP_1) | instskip(SKIP_2) | instid1(SALU_CYCLE_1)
	v_lshl_or_b32 v36, v36, 4, v37
	ds_add_u32 v36, v123
	s_or_b32 exec_lo, exec_lo, s8
	s_mov_b32 s8, exec_lo
	v_cmpx_lt_u32_e64 v84, v2
	s_cbranch_execnz .LBB815_355
.LBB815_340:                            ;   in Loop: Header=BB815_310 Depth=2
	s_or_b32 exec_lo, exec_lo, s8
	s_delay_alu instid0(SALU_CYCLE_1)
	s_mov_b32 s8, exec_lo
	v_cmpx_lt_u32_e64 v85, v2
	s_cbranch_execz .LBB815_356
.LBB815_341:                            ;   in Loop: Header=BB815_310 Depth=2
	v_xor_b32_e32 v37, 0x80000000, v21
	v_mov_b32_e32 v36, v20
	s_delay_alu instid0(VALU_DEP_1) | instskip(SKIP_1) | instid1(VALU_DEP_2)
	v_lshrrev_b64 v[36:37], s41, v[36:37]
	v_lshlrev_b32_e32 v37, 2, v80
	v_and_b32_e32 v36, s43, v36
	s_delay_alu instid0(VALU_DEP_1) | instskip(SKIP_2) | instid1(SALU_CYCLE_1)
	v_lshl_or_b32 v36, v36, 4, v37
	ds_add_u32 v36, v123
	s_or_b32 exec_lo, exec_lo, s8
	s_mov_b32 s8, exec_lo
	v_cmpx_lt_u32_e64 v86, v2
	s_cbranch_execnz .LBB815_357
.LBB815_342:                            ;   in Loop: Header=BB815_310 Depth=2
	s_or_b32 exec_lo, exec_lo, s8
	s_delay_alu instid0(SALU_CYCLE_1)
	s_mov_b32 s8, exec_lo
	v_cmpx_lt_u32_e64 v87, v2
	s_cbranch_execz .LBB815_358
.LBB815_343:                            ;   in Loop: Header=BB815_310 Depth=2
	v_xor_b32_e32 v37, 0x80000000, v17
	v_mov_b32_e32 v36, v16
	s_delay_alu instid0(VALU_DEP_1) | instskip(SKIP_1) | instid1(VALU_DEP_2)
	v_lshrrev_b64 v[36:37], s41, v[36:37]
	v_lshlrev_b32_e32 v37, 2, v80
	v_and_b32_e32 v36, s43, v36
	s_delay_alu instid0(VALU_DEP_1) | instskip(SKIP_2) | instid1(SALU_CYCLE_1)
	v_lshl_or_b32 v36, v36, 4, v37
	ds_add_u32 v36, v123
	s_or_b32 exec_lo, exec_lo, s8
	s_mov_b32 s8, exec_lo
	v_cmpx_lt_u32_e64 v88, v2
	s_cbranch_execnz .LBB815_359
.LBB815_344:                            ;   in Loop: Header=BB815_310 Depth=2
	s_or_b32 exec_lo, exec_lo, s8
	s_delay_alu instid0(SALU_CYCLE_1)
	s_mov_b32 s8, exec_lo
	v_cmpx_lt_u32_e64 v89, v2
	s_cbranch_execz .LBB815_360
.LBB815_345:                            ;   in Loop: Header=BB815_310 Depth=2
	v_xor_b32_e32 v37, 0x80000000, v13
	v_mov_b32_e32 v36, v12
	s_delay_alu instid0(VALU_DEP_1) | instskip(SKIP_1) | instid1(VALU_DEP_2)
	v_lshrrev_b64 v[36:37], s41, v[36:37]
	v_lshlrev_b32_e32 v37, 2, v80
	v_and_b32_e32 v36, s43, v36
	s_delay_alu instid0(VALU_DEP_1) | instskip(SKIP_2) | instid1(SALU_CYCLE_1)
	v_lshl_or_b32 v36, v36, 4, v37
	ds_add_u32 v36, v123
	s_or_b32 exec_lo, exec_lo, s8
	s_mov_b32 s8, exec_lo
	v_cmpx_lt_u32_e64 v90, v2
	s_cbranch_execnz .LBB815_361
.LBB815_346:                            ;   in Loop: Header=BB815_310 Depth=2
	s_or_b32 exec_lo, exec_lo, s8
	s_delay_alu instid0(SALU_CYCLE_1)
	s_mov_b32 s8, exec_lo
	v_cmpx_lt_u32_e64 v91, v2
	s_cbranch_execz .LBB815_362
.LBB815_347:                            ;   in Loop: Header=BB815_310 Depth=2
	v_xor_b32_e32 v37, 0x80000000, v9
	v_mov_b32_e32 v36, v8
	s_delay_alu instid0(VALU_DEP_1) | instskip(SKIP_1) | instid1(VALU_DEP_2)
	v_lshrrev_b64 v[36:37], s41, v[36:37]
	v_lshlrev_b32_e32 v37, 2, v80
	v_and_b32_e32 v36, s43, v36
	s_delay_alu instid0(VALU_DEP_1) | instskip(SKIP_2) | instid1(SALU_CYCLE_1)
	v_lshl_or_b32 v36, v36, 4, v37
	ds_add_u32 v36, v123
	s_or_b32 exec_lo, exec_lo, s8
	s_mov_b32 s8, exec_lo
	v_cmpx_lt_u32_e64 v92, v2
	s_cbranch_execnz .LBB815_363
.LBB815_348:                            ;   in Loop: Header=BB815_310 Depth=2
	s_or_b32 exec_lo, exec_lo, s8
	s_delay_alu instid0(SALU_CYCLE_1)
	s_mov_b32 s8, exec_lo
	v_cmpx_lt_u32_e64 v93, v2
	s_cbranch_execz .LBB815_364
.LBB815_349:                            ;   in Loop: Header=BB815_310 Depth=2
	v_xor_b32_e32 v37, 0x80000000, v5
	v_mov_b32_e32 v36, v4
	s_delay_alu instid0(VALU_DEP_1) | instskip(SKIP_1) | instid1(VALU_DEP_2)
	v_lshrrev_b64 v[36:37], s41, v[36:37]
	v_lshlrev_b32_e32 v37, 2, v80
	v_and_b32_e32 v36, s43, v36
	s_delay_alu instid0(VALU_DEP_1) | instskip(SKIP_2) | instid1(SALU_CYCLE_1)
	v_lshl_or_b32 v36, v36, 4, v37
	ds_add_u32 v36, v123
	s_or_b32 exec_lo, exec_lo, s8
	s_mov_b32 s8, exec_lo
	v_cmpx_lt_u32_e64 v95, v2
	s_cbranch_execz .LBB815_309
	s_branch .LBB815_365
.LBB815_350:                            ;   in Loop: Header=BB815_310 Depth=2
	s_or_b32 exec_lo, exec_lo, s8
	s_delay_alu instid0(SALU_CYCLE_1)
	s_mov_b32 s8, exec_lo
	v_cmpx_lt_u32_e64 v77, v2
	s_cbranch_execz .LBB815_336
.LBB815_351:                            ;   in Loop: Header=BB815_310 Depth=2
	v_xor_b32_e32 v37, 0x80000000, v31
	v_mov_b32_e32 v36, v30
	s_delay_alu instid0(VALU_DEP_1) | instskip(SKIP_1) | instid1(VALU_DEP_2)
	v_lshrrev_b64 v[36:37], s41, v[36:37]
	v_lshlrev_b32_e32 v37, 2, v80
	v_and_b32_e32 v36, s43, v36
	s_delay_alu instid0(VALU_DEP_1) | instskip(SKIP_2) | instid1(SALU_CYCLE_1)
	v_lshl_or_b32 v36, v36, 4, v37
	ds_add_u32 v36, v123
	s_or_b32 exec_lo, exec_lo, s8
	s_mov_b32 s8, exec_lo
	v_cmpx_lt_u32_e64 v78, v2
	s_cbranch_execnz .LBB815_337
.LBB815_352:                            ;   in Loop: Header=BB815_310 Depth=2
	s_or_b32 exec_lo, exec_lo, s8
	s_delay_alu instid0(SALU_CYCLE_1)
	s_mov_b32 s8, exec_lo
	v_cmpx_lt_u32_e64 v79, v2
	s_cbranch_execz .LBB815_338
.LBB815_353:                            ;   in Loop: Header=BB815_310 Depth=2
	v_xor_b32_e32 v37, 0x80000000, v27
	v_mov_b32_e32 v36, v26
	s_delay_alu instid0(VALU_DEP_1) | instskip(SKIP_1) | instid1(VALU_DEP_2)
	v_lshrrev_b64 v[36:37], s41, v[36:37]
	v_lshlrev_b32_e32 v37, 2, v80
	v_and_b32_e32 v36, s43, v36
	s_delay_alu instid0(VALU_DEP_1) | instskip(SKIP_2) | instid1(SALU_CYCLE_1)
	v_lshl_or_b32 v36, v36, 4, v37
	ds_add_u32 v36, v123
	s_or_b32 exec_lo, exec_lo, s8
	s_mov_b32 s8, exec_lo
	v_cmpx_lt_u32_e64 v83, v2
	s_cbranch_execnz .LBB815_339
.LBB815_354:                            ;   in Loop: Header=BB815_310 Depth=2
	s_or_b32 exec_lo, exec_lo, s8
	s_delay_alu instid0(SALU_CYCLE_1)
	s_mov_b32 s8, exec_lo
	v_cmpx_lt_u32_e64 v84, v2
	s_cbranch_execz .LBB815_340
.LBB815_355:                            ;   in Loop: Header=BB815_310 Depth=2
	v_xor_b32_e32 v37, 0x80000000, v23
	v_mov_b32_e32 v36, v22
	s_delay_alu instid0(VALU_DEP_1) | instskip(SKIP_1) | instid1(VALU_DEP_2)
	v_lshrrev_b64 v[36:37], s41, v[36:37]
	v_lshlrev_b32_e32 v37, 2, v80
	v_and_b32_e32 v36, s43, v36
	s_delay_alu instid0(VALU_DEP_1) | instskip(SKIP_2) | instid1(SALU_CYCLE_1)
	v_lshl_or_b32 v36, v36, 4, v37
	ds_add_u32 v36, v123
	s_or_b32 exec_lo, exec_lo, s8
	s_mov_b32 s8, exec_lo
	v_cmpx_lt_u32_e64 v85, v2
	s_cbranch_execnz .LBB815_341
.LBB815_356:                            ;   in Loop: Header=BB815_310 Depth=2
	s_or_b32 exec_lo, exec_lo, s8
	s_delay_alu instid0(SALU_CYCLE_1)
	s_mov_b32 s8, exec_lo
	v_cmpx_lt_u32_e64 v86, v2
	s_cbranch_execz .LBB815_342
.LBB815_357:                            ;   in Loop: Header=BB815_310 Depth=2
	v_xor_b32_e32 v37, 0x80000000, v19
	v_mov_b32_e32 v36, v18
	s_delay_alu instid0(VALU_DEP_1) | instskip(SKIP_1) | instid1(VALU_DEP_2)
	v_lshrrev_b64 v[36:37], s41, v[36:37]
	v_lshlrev_b32_e32 v37, 2, v80
	v_and_b32_e32 v36, s43, v36
	s_delay_alu instid0(VALU_DEP_1) | instskip(SKIP_2) | instid1(SALU_CYCLE_1)
	v_lshl_or_b32 v36, v36, 4, v37
	ds_add_u32 v36, v123
	s_or_b32 exec_lo, exec_lo, s8
	s_mov_b32 s8, exec_lo
	v_cmpx_lt_u32_e64 v87, v2
	s_cbranch_execnz .LBB815_343
.LBB815_358:                            ;   in Loop: Header=BB815_310 Depth=2
	s_or_b32 exec_lo, exec_lo, s8
	s_delay_alu instid0(SALU_CYCLE_1)
	s_mov_b32 s8, exec_lo
	v_cmpx_lt_u32_e64 v88, v2
	s_cbranch_execz .LBB815_344
.LBB815_359:                            ;   in Loop: Header=BB815_310 Depth=2
	v_xor_b32_e32 v37, 0x80000000, v15
	v_mov_b32_e32 v36, v14
	s_delay_alu instid0(VALU_DEP_1) | instskip(SKIP_1) | instid1(VALU_DEP_2)
	v_lshrrev_b64 v[36:37], s41, v[36:37]
	v_lshlrev_b32_e32 v37, 2, v80
	v_and_b32_e32 v36, s43, v36
	s_delay_alu instid0(VALU_DEP_1) | instskip(SKIP_2) | instid1(SALU_CYCLE_1)
	v_lshl_or_b32 v36, v36, 4, v37
	ds_add_u32 v36, v123
	s_or_b32 exec_lo, exec_lo, s8
	s_mov_b32 s8, exec_lo
	v_cmpx_lt_u32_e64 v89, v2
	s_cbranch_execnz .LBB815_345
.LBB815_360:                            ;   in Loop: Header=BB815_310 Depth=2
	s_or_b32 exec_lo, exec_lo, s8
	s_delay_alu instid0(SALU_CYCLE_1)
	s_mov_b32 s8, exec_lo
	v_cmpx_lt_u32_e64 v90, v2
	s_cbranch_execz .LBB815_346
.LBB815_361:                            ;   in Loop: Header=BB815_310 Depth=2
	v_xor_b32_e32 v37, 0x80000000, v11
	v_mov_b32_e32 v36, v10
	s_delay_alu instid0(VALU_DEP_1) | instskip(SKIP_1) | instid1(VALU_DEP_2)
	v_lshrrev_b64 v[36:37], s41, v[36:37]
	v_lshlrev_b32_e32 v37, 2, v80
	v_and_b32_e32 v36, s43, v36
	s_delay_alu instid0(VALU_DEP_1) | instskip(SKIP_2) | instid1(SALU_CYCLE_1)
	v_lshl_or_b32 v36, v36, 4, v37
	ds_add_u32 v36, v123
	s_or_b32 exec_lo, exec_lo, s8
	s_mov_b32 s8, exec_lo
	v_cmpx_lt_u32_e64 v91, v2
	s_cbranch_execnz .LBB815_347
.LBB815_362:                            ;   in Loop: Header=BB815_310 Depth=2
	s_or_b32 exec_lo, exec_lo, s8
	s_delay_alu instid0(SALU_CYCLE_1)
	s_mov_b32 s8, exec_lo
	v_cmpx_lt_u32_e64 v92, v2
	s_cbranch_execz .LBB815_348
.LBB815_363:                            ;   in Loop: Header=BB815_310 Depth=2
	v_xor_b32_e32 v37, 0x80000000, v7
	v_mov_b32_e32 v36, v6
	s_delay_alu instid0(VALU_DEP_1) | instskip(SKIP_1) | instid1(VALU_DEP_2)
	v_lshrrev_b64 v[36:37], s41, v[36:37]
	v_lshlrev_b32_e32 v37, 2, v80
	v_and_b32_e32 v36, s43, v36
	s_delay_alu instid0(VALU_DEP_1) | instskip(SKIP_2) | instid1(SALU_CYCLE_1)
	v_lshl_or_b32 v36, v36, 4, v37
	ds_add_u32 v36, v123
	s_or_b32 exec_lo, exec_lo, s8
	s_mov_b32 s8, exec_lo
	v_cmpx_lt_u32_e64 v93, v2
	s_cbranch_execnz .LBB815_349
.LBB815_364:                            ;   in Loop: Header=BB815_310 Depth=2
	s_or_b32 exec_lo, exec_lo, s8
	s_delay_alu instid0(SALU_CYCLE_1)
	s_mov_b32 s8, exec_lo
	v_cmpx_lt_u32_e64 v95, v2
	s_cbranch_execz .LBB815_309
.LBB815_365:                            ;   in Loop: Header=BB815_310 Depth=2
	s_waitcnt vmcnt(0)
	v_xor_b32_e32 v37, 0x80000000, v35
	v_mov_b32_e32 v36, v34
	s_delay_alu instid0(VALU_DEP_1) | instskip(NEXT) | instid1(VALU_DEP_1)
	v_lshrrev_b64 v[36:37], s41, v[36:37]
	v_and_b32_e32 v2, s43, v36
	v_lshlrev_b32_e32 v36, 2, v80
	s_delay_alu instid0(VALU_DEP_1)
	v_lshl_or_b32 v2, v2, 4, v36
	ds_add_u32 v2, v123
	s_branch .LBB815_309
.LBB815_366:                            ;   in Loop: Header=BB815_310 Depth=2
	s_or_b32 exec_lo, exec_lo, s11
	s_delay_alu instid0(SALU_CYCLE_1)
	s_mov_b32 s11, exec_lo
	v_cmpx_gt_u32_e64 s1, v77
	s_cbranch_execz .LBB815_316
.LBB815_367:                            ;   in Loop: Header=BB815_310 Depth=2
	global_load_b64 v[30:31], v124, s[8:9] offset:2048
	s_or_b32 exec_lo, exec_lo, s11
	s_delay_alu instid0(SALU_CYCLE_1)
	s_mov_b32 s11, exec_lo
	v_cmpx_gt_u32_e64 s1, v78
	s_cbranch_execnz .LBB815_317
.LBB815_368:                            ;   in Loop: Header=BB815_310 Depth=2
	s_or_b32 exec_lo, exec_lo, s11
	s_delay_alu instid0(SALU_CYCLE_1)
	s_mov_b32 s11, exec_lo
	v_cmpx_gt_u32_e64 s1, v79
	s_cbranch_execz .LBB815_318
.LBB815_369:                            ;   in Loop: Header=BB815_310 Depth=2
	global_load_b64 v[26:27], v126, s[8:9]
	s_or_b32 exec_lo, exec_lo, s11
	s_delay_alu instid0(SALU_CYCLE_1)
	s_mov_b32 s11, exec_lo
	v_cmpx_gt_u32_e64 s1, v83
	s_cbranch_execnz .LBB815_319
.LBB815_370:                            ;   in Loop: Header=BB815_310 Depth=2
	s_or_b32 exec_lo, exec_lo, s11
	s_delay_alu instid0(SALU_CYCLE_1)
	s_mov_b32 s11, exec_lo
	v_cmpx_gt_u32_e64 s1, v84
	s_cbranch_execz .LBB815_320
.LBB815_371:                            ;   in Loop: Header=BB815_310 Depth=2
	global_load_b64 v[22:23], v128, s[8:9]
	s_or_b32 exec_lo, exec_lo, s11
	s_delay_alu instid0(SALU_CYCLE_1)
	s_mov_b32 s11, exec_lo
	v_cmpx_gt_u32_e64 s1, v85
	s_cbranch_execnz .LBB815_321
.LBB815_372:                            ;   in Loop: Header=BB815_310 Depth=2
	s_or_b32 exec_lo, exec_lo, s11
	s_delay_alu instid0(SALU_CYCLE_1)
	s_mov_b32 s11, exec_lo
	v_cmpx_gt_u32_e64 s1, v86
	s_cbranch_execz .LBB815_322
.LBB815_373:                            ;   in Loop: Header=BB815_310 Depth=2
	global_load_b64 v[18:19], v130, s[8:9]
	s_or_b32 exec_lo, exec_lo, s11
	s_delay_alu instid0(SALU_CYCLE_1)
	s_mov_b32 s11, exec_lo
	v_cmpx_gt_u32_e64 s1, v87
	s_cbranch_execnz .LBB815_323
.LBB815_374:                            ;   in Loop: Header=BB815_310 Depth=2
	s_or_b32 exec_lo, exec_lo, s11
	s_delay_alu instid0(SALU_CYCLE_1)
	s_mov_b32 s11, exec_lo
	v_cmpx_gt_u32_e64 s1, v88
	s_cbranch_execz .LBB815_324
.LBB815_375:                            ;   in Loop: Header=BB815_310 Depth=2
	global_load_b64 v[14:15], v132, s[8:9]
	s_or_b32 exec_lo, exec_lo, s11
	s_delay_alu instid0(SALU_CYCLE_1)
	s_mov_b32 s11, exec_lo
	v_cmpx_gt_u32_e64 s1, v89
	s_cbranch_execnz .LBB815_325
.LBB815_376:                            ;   in Loop: Header=BB815_310 Depth=2
	s_or_b32 exec_lo, exec_lo, s11
	s_delay_alu instid0(SALU_CYCLE_1)
	s_mov_b32 s11, exec_lo
	v_cmpx_gt_u32_e64 s1, v90
	s_cbranch_execz .LBB815_326
.LBB815_377:                            ;   in Loop: Header=BB815_310 Depth=2
	global_load_b64 v[10:11], v134, s[8:9]
	s_or_b32 exec_lo, exec_lo, s11
	s_delay_alu instid0(SALU_CYCLE_1)
	s_mov_b32 s11, exec_lo
	v_cmpx_gt_u32_e64 s1, v91
	s_cbranch_execnz .LBB815_327
.LBB815_378:                            ;   in Loop: Header=BB815_310 Depth=2
	s_or_b32 exec_lo, exec_lo, s11
	s_delay_alu instid0(SALU_CYCLE_1)
	s_mov_b32 s11, exec_lo
	v_cmpx_gt_u32_e64 s1, v92
	s_cbranch_execz .LBB815_328
.LBB815_379:                            ;   in Loop: Header=BB815_310 Depth=2
	v_lshlrev_b32_e32 v2, 3, v92
	global_load_b64 v[6:7], v2, s[8:9]
	s_or_b32 exec_lo, exec_lo, s11
	s_delay_alu instid0(SALU_CYCLE_1)
	s_mov_b32 s11, exec_lo
	v_cmpx_gt_u32_e64 s1, v93
	s_cbranch_execz .LBB815_330
	s_branch .LBB815_329
.LBB815_380:                            ;   in Loop: Header=BB815_12 Depth=1
	v_mov_b32_e32 v2, 0
	s_waitcnt vmcnt(0) lgkmcnt(0)
	s_barrier
	buffer_gl0_inv
	s_and_saveexec_b32 s1, s2
	s_cbranch_execz .LBB815_382
; %bb.381:                              ;   in Loop: Header=BB815_12 Depth=1
	ds_load_2addr_b64 v[4:7], v96 offset1:1
	s_waitcnt lgkmcnt(0)
	v_add_nc_u32_e32 v2, v5, v4
	s_delay_alu instid0(VALU_DEP_1)
	v_add3_u32 v2, v2, v6, v7
.LBB815_382:                            ;   in Loop: Header=BB815_12 Depth=1
	s_or_b32 exec_lo, exec_lo, s1
	v_and_b32_e32 v4, 15, v136
	s_delay_alu instid0(VALU_DEP_2) | instskip(SKIP_1) | instid1(VALU_DEP_3)
	v_mov_b32_dpp v5, v2 row_shr:1 row_mask:0xf bank_mask:0xf
	v_and_b32_e32 v6, 16, v136
	v_cmp_eq_u32_e64 s1, 0, v4
	v_cmp_lt_u32_e64 s7, 1, v4
	v_cmp_lt_u32_e64 s8, 3, v4
	;; [unrolled: 1-line block ×3, first 2 shown]
	v_cmp_eq_u32_e64 s10, 0, v6
	v_cndmask_b32_e64 v5, v5, 0, s1
	s_delay_alu instid0(VALU_DEP_1) | instskip(NEXT) | instid1(VALU_DEP_1)
	v_add_nc_u32_e32 v2, v5, v2
	v_mov_b32_dpp v5, v2 row_shr:2 row_mask:0xf bank_mask:0xf
	s_delay_alu instid0(VALU_DEP_1) | instskip(NEXT) | instid1(VALU_DEP_1)
	v_cndmask_b32_e64 v5, 0, v5, s7
	v_add_nc_u32_e32 v2, v2, v5
	s_delay_alu instid0(VALU_DEP_1) | instskip(NEXT) | instid1(VALU_DEP_1)
	v_mov_b32_dpp v5, v2 row_shr:4 row_mask:0xf bank_mask:0xf
	v_cndmask_b32_e64 v5, 0, v5, s8
	s_delay_alu instid0(VALU_DEP_1) | instskip(NEXT) | instid1(VALU_DEP_1)
	v_add_nc_u32_e32 v2, v2, v5
	v_mov_b32_dpp v5, v2 row_shr:8 row_mask:0xf bank_mask:0xf
	s_delay_alu instid0(VALU_DEP_1) | instskip(SKIP_1) | instid1(VALU_DEP_2)
	v_cndmask_b32_e64 v4, 0, v5, s9
	v_bfe_i32 v5, v136, 4, 1
	v_add_nc_u32_e32 v2, v2, v4
	ds_swizzle_b32 v4, v2 offset:swizzle(BROADCAST,32,15)
	s_waitcnt lgkmcnt(0)
	v_and_b32_e32 v4, v5, v4
	s_delay_alu instid0(VALU_DEP_1)
	v_add_nc_u32_e32 v4, v2, v4
	s_and_saveexec_b32 s11, s3
	s_cbranch_execz .LBB815_384
; %bb.383:                              ;   in Loop: Header=BB815_12 Depth=1
	ds_store_b32 v97, v4
.LBB815_384:                            ;   in Loop: Header=BB815_12 Depth=1
	s_or_b32 exec_lo, exec_lo, s11
	v_and_b32_e32 v2, 7, v136
	s_waitcnt lgkmcnt(0)
	s_barrier
	buffer_gl0_inv
	s_and_saveexec_b32 s11, s4
	s_cbranch_execz .LBB815_386
; %bb.385:                              ;   in Loop: Header=BB815_12 Depth=1
	ds_load_b32 v5, v98
	v_cmp_ne_u32_e32 vcc_lo, 0, v2
	s_waitcnt lgkmcnt(0)
	v_mov_b32_dpp v6, v5 row_shr:1 row_mask:0xf bank_mask:0xf
	s_delay_alu instid0(VALU_DEP_1) | instskip(SKIP_1) | instid1(VALU_DEP_2)
	v_cndmask_b32_e32 v6, 0, v6, vcc_lo
	v_cmp_lt_u32_e32 vcc_lo, 1, v2
	v_add_nc_u32_e32 v5, v6, v5
	s_delay_alu instid0(VALU_DEP_1) | instskip(NEXT) | instid1(VALU_DEP_1)
	v_mov_b32_dpp v6, v5 row_shr:2 row_mask:0xf bank_mask:0xf
	v_cndmask_b32_e32 v6, 0, v6, vcc_lo
	v_cmp_lt_u32_e32 vcc_lo, 3, v2
	s_delay_alu instid0(VALU_DEP_2) | instskip(NEXT) | instid1(VALU_DEP_1)
	v_add_nc_u32_e32 v5, v5, v6
	v_mov_b32_dpp v6, v5 row_shr:4 row_mask:0xf bank_mask:0xf
	s_delay_alu instid0(VALU_DEP_1) | instskip(NEXT) | instid1(VALU_DEP_1)
	v_cndmask_b32_e32 v6, 0, v6, vcc_lo
	v_add_nc_u32_e32 v5, v5, v6
	ds_store_b32 v98, v5
.LBB815_386:                            ;   in Loop: Header=BB815_12 Depth=1
	s_or_b32 exec_lo, exec_lo, s11
	v_mov_b32_e32 v5, 0
	s_waitcnt lgkmcnt(0)
	s_barrier
	buffer_gl0_inv
	s_and_saveexec_b32 s11, s5
	s_cbranch_execz .LBB815_388
; %bb.387:                              ;   in Loop: Header=BB815_12 Depth=1
	ds_load_b32 v5, v99
.LBB815_388:                            ;   in Loop: Header=BB815_12 Depth=1
	s_or_b32 exec_lo, exec_lo, s11
	v_add_nc_u32_e32 v6, -1, v136
	s_waitcnt lgkmcnt(0)
	v_add_nc_u32_e32 v4, v5, v4
	v_cmp_eq_u32_e64 s11, 0, v136
	s_barrier
	v_cmp_gt_i32_e32 vcc_lo, 0, v6
	buffer_gl0_inv
	v_cndmask_b32_e32 v6, v6, v136, vcc_lo
	s_delay_alu instid0(VALU_DEP_1)
	v_lshlrev_b32_e32 v137, 2, v6
	ds_bpermute_b32 v4, v137, v4
	s_and_saveexec_b32 s12, s2
	s_cbranch_execz .LBB815_390
; %bb.389:                              ;   in Loop: Header=BB815_12 Depth=1
	s_waitcnt lgkmcnt(0)
	v_cndmask_b32_e64 v4, v4, v5, s11
	s_delay_alu instid0(VALU_DEP_1)
	v_add_nc_u32_e32 v4, s60, v4
	ds_store_b32 v76, v4
.LBB815_390:                            ;   in Loop: Header=BB815_12 Depth=1
	s_or_b32 exec_lo, exec_lo, s12
	s_load_b64 s[12:13], s[36:37], 0x0
	v_lshlrev_b32_e32 v7, 3, v136
	v_cmp_lt_u32_e64 s14, 3, v2
	v_or_b32_e32 v138, v136, v100
	s_mov_b32 s50, s62
	s_mov_b32 s34, s60
	v_add_co_u32 v139, vcc_lo, v113, v7
	v_add_co_ci_u32_e32 v140, vcc_lo, 0, v114, vcc_lo
	v_add_co_u32 v156, vcc_lo, v115, v7
	v_add_co_ci_u32_e32 v157, vcc_lo, 0, v116, vcc_lo
	v_or_b32_e32 v141, 32, v138
	s_delay_alu instid0(VALU_DEP_3)
	v_add_co_u32 v159, vcc_lo, 0xf00, v156
	v_or_b32_e32 v142, 64, v138
	v_or_b32_e32 v143, 0x60, v138
	;; [unrolled: 1-line block ×3, first 2 shown]
	s_waitcnt lgkmcnt(0)
	s_cmp_lt_u32 s15, s13
	v_or_b32_e32 v145, 0xa0, v138
	s_cselect_b32 s13, 14, 20
	v_or_b32_e32 v146, 0xc0, v138
	s_add_u32 s16, s36, s13
	s_addc_u32 s17, s37, 0
	s_cmp_lt_u32 s28, s12
	global_load_u16 v4, v3, s[16:17]
	s_cselect_b32 s12, 12, 18
	v_or_b32_e32 v147, 0xe0, v138
	s_add_u32 s12, s36, s12
	s_addc_u32 s13, s37, 0
	v_or_b32_e32 v148, 0x100, v138
	global_load_u16 v6, v3, s[12:13]
	v_cmp_eq_u32_e64 s12, 0, v2
	v_cmp_lt_u32_e64 s13, 1, v2
	v_or_b32_e32 v149, 0x120, v138
	v_or_b32_e32 v150, 0x140, v138
	;; [unrolled: 1-line block ×7, first 2 shown]
	v_add_co_ci_u32_e32 v160, vcc_lo, 0, v157, vcc_lo
                                        ; implicit-def: $vgpr8_vgpr9
                                        ; implicit-def: $vgpr10_vgpr11
                                        ; implicit-def: $vgpr12_vgpr13
                                        ; implicit-def: $vgpr14_vgpr15
                                        ; implicit-def: $vgpr16_vgpr17
                                        ; implicit-def: $vgpr18_vgpr19
                                        ; implicit-def: $vgpr20_vgpr21
                                        ; implicit-def: $vgpr22_vgpr23
                                        ; implicit-def: $vgpr24_vgpr25
                                        ; implicit-def: $vgpr26_vgpr27
                                        ; implicit-def: $vgpr28_vgpr29
                                        ; implicit-def: $vgpr30_vgpr31
                                        ; implicit-def: $vgpr32_vgpr33
                                        ; implicit-def: $vgpr34_vgpr35
                                        ; implicit-def: $vgpr161
                                        ; implicit-def: $vgpr162
                                        ; implicit-def: $vgpr163
                                        ; implicit-def: $vgpr164
                                        ; implicit-def: $vgpr165
                                        ; implicit-def: $vgpr166
                                        ; implicit-def: $vgpr167
                                        ; implicit-def: $vgpr168
                                        ; implicit-def: $vgpr169
                                        ; implicit-def: $vgpr170
                                        ; implicit-def: $vgpr171
                                        ; implicit-def: $vgpr172
                                        ; implicit-def: $vgpr173
                                        ; implicit-def: $vgpr174
                                        ; implicit-def: $vgpr175
                                        ; implicit-def: $vgpr176
	s_waitcnt vmcnt(1)
	v_mad_u32_u24 v2, v101, v4, v0
	s_waitcnt vmcnt(0)
	s_delay_alu instid0(VALU_DEP_1) | instskip(NEXT) | instid1(VALU_DEP_1)
	v_mad_u64_u32 v[4:5], null, v2, v6, v[1:2]
                                        ; implicit-def: $vgpr6_vgpr7
	v_lshrrev_b32_e32 v158, 5, v4
                                        ; implicit-def: $vgpr4_vgpr5
	s_branch .LBB815_392
.LBB815_391:                            ;   in Loop: Header=BB815_392 Depth=2
	s_or_b32 exec_lo, exec_lo, s16
	s_addk_i32 s50, 0xf000
	s_cmp_lt_u32 s51, s61
	s_mov_b32 s34, s51
	s_cbranch_scc0 .LBB815_600
.LBB815_392:                            ;   Parent Loop BB815_12 Depth=1
                                        ; =>  This Inner Loop Header: Depth=2
	s_add_i32 s51, s34, 0x1000
	s_delay_alu instid0(SALU_CYCLE_1)
	s_cmp_gt_u32 s51, s61
	s_cbranch_scc1 .LBB815_394
; %bb.393:                              ;   in Loop: Header=BB815_392 Depth=2
	s_mov_b32 s17, 0
	s_mov_b32 s16, s34
	s_delay_alu instid0(SALU_CYCLE_1) | instskip(NEXT) | instid1(SALU_CYCLE_1)
	s_lshl_b64 s[18:19], s[16:17], 3
	v_add_co_u32 v64, vcc_lo, v156, s18
	v_add_co_ci_u32_e32 v65, vcc_lo, s19, v157, vcc_lo
	s_mov_b32 s19, -1
	s_movk_i32 s18, 0x1000
	s_clause 0xe
	global_load_b64 v[36:37], v[64:65], off
	global_load_b64 v[38:39], v[64:65], off offset:256
	global_load_b64 v[40:41], v[64:65], off offset:512
	;; [unrolled: 1-line block ×14, first 2 shown]
	s_cbranch_execz .LBB815_395
	s_branch .LBB815_426
.LBB815_394:                            ;   in Loop: Header=BB815_392 Depth=2
	s_mov_b32 s17, -1
	s_mov_b32 s19, 0
                                        ; implicit-def: $sgpr18
                                        ; implicit-def: $vgpr36_vgpr37
                                        ; implicit-def: $vgpr38_vgpr39
                                        ; implicit-def: $vgpr40_vgpr41
                                        ; implicit-def: $vgpr42_vgpr43
                                        ; implicit-def: $vgpr44_vgpr45
                                        ; implicit-def: $vgpr46_vgpr47
                                        ; implicit-def: $vgpr48_vgpr49
                                        ; implicit-def: $vgpr50_vgpr51
                                        ; implicit-def: $vgpr52_vgpr53
                                        ; implicit-def: $vgpr54_vgpr55
                                        ; implicit-def: $vgpr56_vgpr57
                                        ; implicit-def: $vgpr58_vgpr59
                                        ; implicit-def: $vgpr60_vgpr61
                                        ; implicit-def: $vgpr62_vgpr63
                                        ; implicit-def: $vgpr64_vgpr65
.LBB815_395:                            ;   in Loop: Header=BB815_392 Depth=2
	s_lshl_b64 s[16:17], s[34:35], 3
	s_waitcnt vmcnt(14)
	v_dual_mov_b32 v36, s38 :: v_dual_mov_b32 v37, s39
	v_add_co_u32 v66, vcc_lo, v156, s16
	v_add_co_ci_u32_e32 v67, vcc_lo, s17, v157, vcc_lo
	s_mov_b32 s16, exec_lo
	v_cmpx_gt_u32_e64 s50, v138
	s_cbranch_execz .LBB815_397
; %bb.396:                              ;   in Loop: Header=BB815_392 Depth=2
	global_load_b64 v[36:37], v[66:67], off
.LBB815_397:                            ;   in Loop: Header=BB815_392 Depth=2
	s_or_b32 exec_lo, exec_lo, s16
	s_waitcnt vmcnt(13)
	v_dual_mov_b32 v38, s38 :: v_dual_mov_b32 v39, s39
	s_mov_b32 s16, exec_lo
	v_cmpx_gt_u32_e64 s50, v141
	s_cbranch_execz .LBB815_399
; %bb.398:                              ;   in Loop: Header=BB815_392 Depth=2
	global_load_b64 v[38:39], v[66:67], off offset:256
.LBB815_399:                            ;   in Loop: Header=BB815_392 Depth=2
	s_or_b32 exec_lo, exec_lo, s16
	s_waitcnt vmcnt(12)
	v_dual_mov_b32 v41, s39 :: v_dual_mov_b32 v40, s38
	s_mov_b32 s16, exec_lo
	v_cmpx_gt_u32_e64 s50, v142
	s_cbranch_execz .LBB815_401
; %bb.400:                              ;   in Loop: Header=BB815_392 Depth=2
	global_load_b64 v[40:41], v[66:67], off offset:512
.LBB815_401:                            ;   in Loop: Header=BB815_392 Depth=2
	;; [unrolled: 9-line block ×14, first 2 shown]
	s_or_b32 exec_lo, exec_lo, s16
	v_cmp_gt_u32_e64 s19, s50, v155
	s_sub_i32 s18, s61, s34
	s_mov_b64 s[16:17], s[34:35]
.LBB815_426:                            ;   in Loop: Header=BB815_392 Depth=2
	v_dual_mov_b32 v67, s39 :: v_dual_mov_b32 v66, s38
	v_mov_b32_e32 v177, s50
	s_and_saveexec_b32 s20, s19
	s_cbranch_execz .LBB815_428
; %bb.427:                              ;   in Loop: Header=BB815_392 Depth=2
	s_lshl_b64 s[16:17], s[16:17], 3
	v_mov_b32_e32 v177, s18
	v_add_co_u32 v66, vcc_lo, v159, s16
	v_add_co_ci_u32_e32 v67, vcc_lo, s17, v160, vcc_lo
	global_load_b64 v[66:67], v[66:67], off
.LBB815_428:                            ;   in Loop: Header=BB815_392 Depth=2
	s_or_b32 exec_lo, exec_lo, s20
	s_waitcnt vmcnt(14)
	v_xor_b32_e32 v37, 0x80000000, v37
	ds_store_b32 v102, v3 offset:1056
	ds_store_2addr_b32 v103, v3, v3 offset0:1 offset1:2
	ds_store_2addr_b32 v103, v3, v3 offset0:3 offset1:4
	;; [unrolled: 1-line block ×4, first 2 shown]
	s_waitcnt vmcnt(0) lgkmcnt(0)
	s_barrier
	v_lshrrev_b64 v[68:69], s41, v[36:37]
	buffer_gl0_inv
	; wave barrier
	v_and_b32_e32 v69, s43, v68
	s_delay_alu instid0(VALU_DEP_1)
	v_and_b32_e32 v2, 1, v69
	v_lshlrev_b32_e32 v68, 30, v69
	v_lshlrev_b32_e32 v70, 29, v69
	;; [unrolled: 1-line block ×4, first 2 shown]
	v_add_co_u32 v2, s16, v2, -1
	s_delay_alu instid0(VALU_DEP_1)
	v_cndmask_b32_e64 v72, 0, 1, s16
	v_not_b32_e32 v178, v68
	v_cmp_gt_i32_e64 s16, 0, v68
	v_not_b32_e32 v68, v70
	v_lshlrev_b32_e32 v74, 26, v69
	v_cmp_ne_u32_e32 vcc_lo, 0, v72
	v_ashrrev_i32_e32 v178, 31, v178
	v_lshlrev_b32_e32 v75, 25, v69
	v_ashrrev_i32_e32 v68, 31, v68
	v_lshlrev_b32_e32 v72, 24, v69
	v_xor_b32_e32 v2, vcc_lo, v2
	v_cmp_gt_i32_e32 vcc_lo, 0, v70
	v_not_b32_e32 v70, v71
	v_xor_b32_e32 v178, s16, v178
	v_cmp_gt_i32_e64 s16, 0, v71
	v_and_b32_e32 v2, exec_lo, v2
	v_not_b32_e32 v71, v73
	v_ashrrev_i32_e32 v70, 31, v70
	v_xor_b32_e32 v68, vcc_lo, v68
	v_cmp_gt_i32_e32 vcc_lo, 0, v73
	v_and_b32_e32 v2, v2, v178
	v_not_b32_e32 v73, v74
	v_ashrrev_i32_e32 v71, 31, v71
	v_xor_b32_e32 v70, s16, v70
	v_cmp_gt_i32_e64 s16, 0, v74
	v_and_b32_e32 v2, v2, v68
	v_not_b32_e32 v68, v75
	v_ashrrev_i32_e32 v73, 31, v73
	v_xor_b32_e32 v71, vcc_lo, v71
	v_cmp_gt_i32_e32 vcc_lo, 0, v75
	v_and_b32_e32 v2, v2, v70
	v_not_b32_e32 v70, v72
	v_ashrrev_i32_e32 v68, 31, v68
	v_xor_b32_e32 v73, s16, v73
	v_cmp_gt_i32_e64 s16, 0, v72
	v_and_b32_e32 v2, v2, v71
	v_ashrrev_i32_e32 v70, 31, v70
	v_xor_b32_e32 v68, vcc_lo, v68
	v_mad_u32_u24 v69, v69, 9, v158
	s_delay_alu instid0(VALU_DEP_4) | instskip(NEXT) | instid1(VALU_DEP_4)
	v_and_b32_e32 v2, v2, v73
	v_xor_b32_e32 v70, s16, v70
	s_delay_alu instid0(VALU_DEP_3) | instskip(NEXT) | instid1(VALU_DEP_3)
	v_lshl_add_u32 v178, v69, 2, 0x420
	v_and_b32_e32 v2, v2, v68
	s_delay_alu instid0(VALU_DEP_1) | instskip(NEXT) | instid1(VALU_DEP_1)
	v_and_b32_e32 v68, v2, v70
	v_mbcnt_lo_u32_b32 v2, v68, 0
	v_cmp_ne_u32_e64 s16, 0, v68
	s_delay_alu instid0(VALU_DEP_2) | instskip(NEXT) | instid1(VALU_DEP_2)
	v_cmp_eq_u32_e32 vcc_lo, 0, v2
	s_and_b32 s17, s16, vcc_lo
	s_delay_alu instid0(SALU_CYCLE_1)
	s_and_saveexec_b32 s16, s17
	s_cbranch_execz .LBB815_430
; %bb.429:                              ;   in Loop: Header=BB815_392 Depth=2
	v_bcnt_u32_b32 v68, v68, 0
	ds_store_b32 v178, v68
.LBB815_430:                            ;   in Loop: Header=BB815_392 Depth=2
	s_or_b32 exec_lo, exec_lo, s16
	v_xor_b32_e32 v39, 0x80000000, v39
	; wave barrier
	s_delay_alu instid0(VALU_DEP_1) | instskip(NEXT) | instid1(VALU_DEP_1)
	v_lshrrev_b64 v[68:69], s41, v[38:39]
	v_and_b32_e32 v68, s43, v68
	s_delay_alu instid0(VALU_DEP_1)
	v_and_b32_e32 v69, 1, v68
	v_lshlrev_b32_e32 v70, 30, v68
	v_lshlrev_b32_e32 v71, 29, v68
	;; [unrolled: 1-line block ×4, first 2 shown]
	v_add_co_u32 v69, s16, v69, -1
	s_delay_alu instid0(VALU_DEP_1)
	v_cndmask_b32_e64 v73, 0, 1, s16
	v_not_b32_e32 v180, v70
	v_cmp_gt_i32_e64 s16, 0, v70
	v_not_b32_e32 v70, v71
	v_lshlrev_b32_e32 v75, 26, v68
	v_cmp_ne_u32_e32 vcc_lo, 0, v73
	v_ashrrev_i32_e32 v180, 31, v180
	v_lshlrev_b32_e32 v179, 25, v68
	v_ashrrev_i32_e32 v70, 31, v70
	v_lshlrev_b32_e32 v73, 24, v68
	v_xor_b32_e32 v69, vcc_lo, v69
	v_cmp_gt_i32_e32 vcc_lo, 0, v71
	v_not_b32_e32 v71, v72
	v_xor_b32_e32 v180, s16, v180
	v_cmp_gt_i32_e64 s16, 0, v72
	v_and_b32_e32 v69, exec_lo, v69
	v_not_b32_e32 v72, v74
	v_ashrrev_i32_e32 v71, 31, v71
	v_xor_b32_e32 v70, vcc_lo, v70
	v_cmp_gt_i32_e32 vcc_lo, 0, v74
	v_and_b32_e32 v69, v69, v180
	v_not_b32_e32 v74, v75
	v_ashrrev_i32_e32 v72, 31, v72
	v_xor_b32_e32 v71, s16, v71
	v_cmp_gt_i32_e64 s16, 0, v75
	v_and_b32_e32 v69, v69, v70
	v_not_b32_e32 v70, v179
	v_ashrrev_i32_e32 v74, 31, v74
	v_xor_b32_e32 v72, vcc_lo, v72
	v_cmp_gt_i32_e32 vcc_lo, 0, v179
	v_and_b32_e32 v69, v69, v71
	v_not_b32_e32 v71, v73
	v_ashrrev_i32_e32 v70, 31, v70
	v_xor_b32_e32 v74, s16, v74
	v_mul_u32_u24_e32 v68, 9, v68
	v_and_b32_e32 v69, v69, v72
	v_cmp_gt_i32_e64 s16, 0, v73
	v_ashrrev_i32_e32 v71, 31, v71
	v_xor_b32_e32 v70, vcc_lo, v70
	v_add_lshl_u32 v72, v68, v158, 2
	v_and_b32_e32 v69, v69, v74
	s_delay_alu instid0(VALU_DEP_4) | instskip(SKIP_3) | instid1(VALU_DEP_2)
	v_xor_b32_e32 v68, s16, v71
	ds_load_b32 v179, v72 offset:1056
	v_and_b32_e32 v69, v69, v70
	v_add_nc_u32_e32 v181, 0x420, v72
	; wave barrier
	v_and_b32_e32 v68, v69, v68
	s_delay_alu instid0(VALU_DEP_1) | instskip(SKIP_1) | instid1(VALU_DEP_2)
	v_mbcnt_lo_u32_b32 v180, v68, 0
	v_cmp_ne_u32_e64 s16, 0, v68
	v_cmp_eq_u32_e32 vcc_lo, 0, v180
	s_delay_alu instid0(VALU_DEP_2) | instskip(NEXT) | instid1(SALU_CYCLE_1)
	s_and_b32 s17, s16, vcc_lo
	s_and_saveexec_b32 s16, s17
	s_cbranch_execz .LBB815_432
; %bb.431:                              ;   in Loop: Header=BB815_392 Depth=2
	s_waitcnt lgkmcnt(0)
	v_bcnt_u32_b32 v68, v68, v179
	ds_store_b32 v181, v68
.LBB815_432:                            ;   in Loop: Header=BB815_392 Depth=2
	s_or_b32 exec_lo, exec_lo, s16
	v_xor_b32_e32 v41, 0x80000000, v41
	; wave barrier
	s_delay_alu instid0(VALU_DEP_1) | instskip(NEXT) | instid1(VALU_DEP_1)
	v_lshrrev_b64 v[68:69], s41, v[40:41]
	v_and_b32_e32 v68, s43, v68
	s_delay_alu instid0(VALU_DEP_1)
	v_and_b32_e32 v69, 1, v68
	v_lshlrev_b32_e32 v70, 30, v68
	v_lshlrev_b32_e32 v71, 29, v68
	v_lshlrev_b32_e32 v72, 28, v68
	v_lshlrev_b32_e32 v74, 27, v68
	v_add_co_u32 v69, s16, v69, -1
	s_delay_alu instid0(VALU_DEP_1)
	v_cndmask_b32_e64 v73, 0, 1, s16
	v_not_b32_e32 v183, v70
	v_cmp_gt_i32_e64 s16, 0, v70
	v_not_b32_e32 v70, v71
	v_lshlrev_b32_e32 v75, 26, v68
	v_cmp_ne_u32_e32 vcc_lo, 0, v73
	v_ashrrev_i32_e32 v183, 31, v183
	v_lshlrev_b32_e32 v182, 25, v68
	v_ashrrev_i32_e32 v70, 31, v70
	v_lshlrev_b32_e32 v73, 24, v68
	v_xor_b32_e32 v69, vcc_lo, v69
	v_cmp_gt_i32_e32 vcc_lo, 0, v71
	v_not_b32_e32 v71, v72
	v_xor_b32_e32 v183, s16, v183
	v_cmp_gt_i32_e64 s16, 0, v72
	v_and_b32_e32 v69, exec_lo, v69
	v_not_b32_e32 v72, v74
	v_ashrrev_i32_e32 v71, 31, v71
	v_xor_b32_e32 v70, vcc_lo, v70
	v_cmp_gt_i32_e32 vcc_lo, 0, v74
	v_and_b32_e32 v69, v69, v183
	v_not_b32_e32 v74, v75
	v_ashrrev_i32_e32 v72, 31, v72
	v_xor_b32_e32 v71, s16, v71
	v_cmp_gt_i32_e64 s16, 0, v75
	v_and_b32_e32 v69, v69, v70
	v_not_b32_e32 v70, v182
	v_ashrrev_i32_e32 v74, 31, v74
	v_xor_b32_e32 v72, vcc_lo, v72
	v_cmp_gt_i32_e32 vcc_lo, 0, v182
	v_and_b32_e32 v69, v69, v71
	v_not_b32_e32 v71, v73
	v_ashrrev_i32_e32 v70, 31, v70
	v_xor_b32_e32 v74, s16, v74
	v_mul_u32_u24_e32 v68, 9, v68
	v_and_b32_e32 v69, v69, v72
	v_cmp_gt_i32_e64 s16, 0, v73
	v_ashrrev_i32_e32 v71, 31, v71
	v_xor_b32_e32 v70, vcc_lo, v70
	v_add_lshl_u32 v72, v68, v158, 2
	v_and_b32_e32 v69, v69, v74
	s_delay_alu instid0(VALU_DEP_4) | instskip(SKIP_3) | instid1(VALU_DEP_2)
	v_xor_b32_e32 v68, s16, v71
	ds_load_b32 v182, v72 offset:1056
	v_and_b32_e32 v69, v69, v70
	v_add_nc_u32_e32 v184, 0x420, v72
	; wave barrier
	v_and_b32_e32 v68, v69, v68
	s_delay_alu instid0(VALU_DEP_1) | instskip(SKIP_1) | instid1(VALU_DEP_2)
	v_mbcnt_lo_u32_b32 v183, v68, 0
	v_cmp_ne_u32_e64 s16, 0, v68
	v_cmp_eq_u32_e32 vcc_lo, 0, v183
	s_delay_alu instid0(VALU_DEP_2) | instskip(NEXT) | instid1(SALU_CYCLE_1)
	s_and_b32 s17, s16, vcc_lo
	s_and_saveexec_b32 s16, s17
	s_cbranch_execz .LBB815_434
; %bb.433:                              ;   in Loop: Header=BB815_392 Depth=2
	s_waitcnt lgkmcnt(0)
	v_bcnt_u32_b32 v68, v68, v182
	ds_store_b32 v184, v68
.LBB815_434:                            ;   in Loop: Header=BB815_392 Depth=2
	s_or_b32 exec_lo, exec_lo, s16
	v_xor_b32_e32 v43, 0x80000000, v43
	; wave barrier
	s_delay_alu instid0(VALU_DEP_1) | instskip(NEXT) | instid1(VALU_DEP_1)
	v_lshrrev_b64 v[68:69], s41, v[42:43]
	v_and_b32_e32 v68, s43, v68
	s_delay_alu instid0(VALU_DEP_1)
	v_and_b32_e32 v69, 1, v68
	v_lshlrev_b32_e32 v70, 30, v68
	v_lshlrev_b32_e32 v71, 29, v68
	v_lshlrev_b32_e32 v72, 28, v68
	v_lshlrev_b32_e32 v74, 27, v68
	v_add_co_u32 v69, s16, v69, -1
	s_delay_alu instid0(VALU_DEP_1)
	v_cndmask_b32_e64 v73, 0, 1, s16
	v_not_b32_e32 v186, v70
	v_cmp_gt_i32_e64 s16, 0, v70
	v_not_b32_e32 v70, v71
	v_lshlrev_b32_e32 v75, 26, v68
	v_cmp_ne_u32_e32 vcc_lo, 0, v73
	v_ashrrev_i32_e32 v186, 31, v186
	v_lshlrev_b32_e32 v185, 25, v68
	v_ashrrev_i32_e32 v70, 31, v70
	v_lshlrev_b32_e32 v73, 24, v68
	v_xor_b32_e32 v69, vcc_lo, v69
	v_cmp_gt_i32_e32 vcc_lo, 0, v71
	v_not_b32_e32 v71, v72
	v_xor_b32_e32 v186, s16, v186
	v_cmp_gt_i32_e64 s16, 0, v72
	v_and_b32_e32 v69, exec_lo, v69
	v_not_b32_e32 v72, v74
	v_ashrrev_i32_e32 v71, 31, v71
	v_xor_b32_e32 v70, vcc_lo, v70
	v_cmp_gt_i32_e32 vcc_lo, 0, v74
	v_and_b32_e32 v69, v69, v186
	v_not_b32_e32 v74, v75
	v_ashrrev_i32_e32 v72, 31, v72
	v_xor_b32_e32 v71, s16, v71
	v_cmp_gt_i32_e64 s16, 0, v75
	v_and_b32_e32 v69, v69, v70
	v_not_b32_e32 v70, v185
	v_ashrrev_i32_e32 v74, 31, v74
	v_xor_b32_e32 v72, vcc_lo, v72
	v_cmp_gt_i32_e32 vcc_lo, 0, v185
	v_and_b32_e32 v69, v69, v71
	v_not_b32_e32 v71, v73
	v_ashrrev_i32_e32 v70, 31, v70
	v_xor_b32_e32 v74, s16, v74
	v_mul_u32_u24_e32 v68, 9, v68
	v_and_b32_e32 v69, v69, v72
	v_cmp_gt_i32_e64 s16, 0, v73
	v_ashrrev_i32_e32 v71, 31, v71
	v_xor_b32_e32 v70, vcc_lo, v70
	v_add_lshl_u32 v72, v68, v158, 2
	v_and_b32_e32 v69, v69, v74
	s_delay_alu instid0(VALU_DEP_4) | instskip(SKIP_3) | instid1(VALU_DEP_2)
	v_xor_b32_e32 v68, s16, v71
	ds_load_b32 v185, v72 offset:1056
	v_and_b32_e32 v69, v69, v70
	v_add_nc_u32_e32 v187, 0x420, v72
	; wave barrier
	v_and_b32_e32 v68, v69, v68
	s_delay_alu instid0(VALU_DEP_1) | instskip(SKIP_1) | instid1(VALU_DEP_2)
	v_mbcnt_lo_u32_b32 v186, v68, 0
	v_cmp_ne_u32_e64 s16, 0, v68
	v_cmp_eq_u32_e32 vcc_lo, 0, v186
	s_delay_alu instid0(VALU_DEP_2) | instskip(NEXT) | instid1(SALU_CYCLE_1)
	s_and_b32 s17, s16, vcc_lo
	s_and_saveexec_b32 s16, s17
	s_cbranch_execz .LBB815_436
; %bb.435:                              ;   in Loop: Header=BB815_392 Depth=2
	s_waitcnt lgkmcnt(0)
	v_bcnt_u32_b32 v68, v68, v185
	ds_store_b32 v187, v68
.LBB815_436:                            ;   in Loop: Header=BB815_392 Depth=2
	s_or_b32 exec_lo, exec_lo, s16
	v_xor_b32_e32 v45, 0x80000000, v45
	; wave barrier
	s_delay_alu instid0(VALU_DEP_1) | instskip(NEXT) | instid1(VALU_DEP_1)
	v_lshrrev_b64 v[68:69], s41, v[44:45]
	v_and_b32_e32 v68, s43, v68
	s_delay_alu instid0(VALU_DEP_1)
	v_and_b32_e32 v69, 1, v68
	v_lshlrev_b32_e32 v70, 30, v68
	v_lshlrev_b32_e32 v71, 29, v68
	v_lshlrev_b32_e32 v72, 28, v68
	v_lshlrev_b32_e32 v74, 27, v68
	v_add_co_u32 v69, s16, v69, -1
	s_delay_alu instid0(VALU_DEP_1)
	v_cndmask_b32_e64 v73, 0, 1, s16
	v_not_b32_e32 v189, v70
	v_cmp_gt_i32_e64 s16, 0, v70
	v_not_b32_e32 v70, v71
	v_lshlrev_b32_e32 v75, 26, v68
	v_cmp_ne_u32_e32 vcc_lo, 0, v73
	v_ashrrev_i32_e32 v189, 31, v189
	v_lshlrev_b32_e32 v188, 25, v68
	v_ashrrev_i32_e32 v70, 31, v70
	v_lshlrev_b32_e32 v73, 24, v68
	v_xor_b32_e32 v69, vcc_lo, v69
	v_cmp_gt_i32_e32 vcc_lo, 0, v71
	v_not_b32_e32 v71, v72
	v_xor_b32_e32 v189, s16, v189
	v_cmp_gt_i32_e64 s16, 0, v72
	v_and_b32_e32 v69, exec_lo, v69
	v_not_b32_e32 v72, v74
	v_ashrrev_i32_e32 v71, 31, v71
	v_xor_b32_e32 v70, vcc_lo, v70
	v_cmp_gt_i32_e32 vcc_lo, 0, v74
	v_and_b32_e32 v69, v69, v189
	v_not_b32_e32 v74, v75
	v_ashrrev_i32_e32 v72, 31, v72
	v_xor_b32_e32 v71, s16, v71
	v_cmp_gt_i32_e64 s16, 0, v75
	v_and_b32_e32 v69, v69, v70
	v_not_b32_e32 v70, v188
	v_ashrrev_i32_e32 v74, 31, v74
	v_xor_b32_e32 v72, vcc_lo, v72
	v_cmp_gt_i32_e32 vcc_lo, 0, v188
	v_and_b32_e32 v69, v69, v71
	v_not_b32_e32 v71, v73
	v_ashrrev_i32_e32 v70, 31, v70
	v_xor_b32_e32 v74, s16, v74
	v_mul_u32_u24_e32 v68, 9, v68
	v_and_b32_e32 v69, v69, v72
	v_cmp_gt_i32_e64 s16, 0, v73
	v_ashrrev_i32_e32 v71, 31, v71
	v_xor_b32_e32 v70, vcc_lo, v70
	v_add_lshl_u32 v72, v68, v158, 2
	v_and_b32_e32 v69, v69, v74
	s_delay_alu instid0(VALU_DEP_4) | instskip(SKIP_3) | instid1(VALU_DEP_2)
	v_xor_b32_e32 v68, s16, v71
	ds_load_b32 v188, v72 offset:1056
	v_and_b32_e32 v69, v69, v70
	v_add_nc_u32_e32 v190, 0x420, v72
	; wave barrier
	v_and_b32_e32 v68, v69, v68
	s_delay_alu instid0(VALU_DEP_1) | instskip(SKIP_1) | instid1(VALU_DEP_2)
	v_mbcnt_lo_u32_b32 v189, v68, 0
	v_cmp_ne_u32_e64 s16, 0, v68
	v_cmp_eq_u32_e32 vcc_lo, 0, v189
	s_delay_alu instid0(VALU_DEP_2) | instskip(NEXT) | instid1(SALU_CYCLE_1)
	s_and_b32 s17, s16, vcc_lo
	s_and_saveexec_b32 s16, s17
	s_cbranch_execz .LBB815_438
; %bb.437:                              ;   in Loop: Header=BB815_392 Depth=2
	s_waitcnt lgkmcnt(0)
	v_bcnt_u32_b32 v68, v68, v188
	ds_store_b32 v190, v68
.LBB815_438:                            ;   in Loop: Header=BB815_392 Depth=2
	s_or_b32 exec_lo, exec_lo, s16
	v_xor_b32_e32 v47, 0x80000000, v47
	; wave barrier
	s_delay_alu instid0(VALU_DEP_1) | instskip(NEXT) | instid1(VALU_DEP_1)
	v_lshrrev_b64 v[68:69], s41, v[46:47]
	v_and_b32_e32 v68, s43, v68
	s_delay_alu instid0(VALU_DEP_1)
	v_and_b32_e32 v69, 1, v68
	v_lshlrev_b32_e32 v70, 30, v68
	v_lshlrev_b32_e32 v71, 29, v68
	;; [unrolled: 1-line block ×4, first 2 shown]
	v_add_co_u32 v69, s16, v69, -1
	s_delay_alu instid0(VALU_DEP_1)
	v_cndmask_b32_e64 v73, 0, 1, s16
	v_not_b32_e32 v192, v70
	v_cmp_gt_i32_e64 s16, 0, v70
	v_not_b32_e32 v70, v71
	v_lshlrev_b32_e32 v75, 26, v68
	v_cmp_ne_u32_e32 vcc_lo, 0, v73
	v_ashrrev_i32_e32 v192, 31, v192
	v_lshlrev_b32_e32 v191, 25, v68
	v_ashrrev_i32_e32 v70, 31, v70
	v_lshlrev_b32_e32 v73, 24, v68
	v_xor_b32_e32 v69, vcc_lo, v69
	v_cmp_gt_i32_e32 vcc_lo, 0, v71
	v_not_b32_e32 v71, v72
	v_xor_b32_e32 v192, s16, v192
	v_cmp_gt_i32_e64 s16, 0, v72
	v_and_b32_e32 v69, exec_lo, v69
	v_not_b32_e32 v72, v74
	v_ashrrev_i32_e32 v71, 31, v71
	v_xor_b32_e32 v70, vcc_lo, v70
	v_cmp_gt_i32_e32 vcc_lo, 0, v74
	v_and_b32_e32 v69, v69, v192
	v_not_b32_e32 v74, v75
	v_ashrrev_i32_e32 v72, 31, v72
	v_xor_b32_e32 v71, s16, v71
	v_cmp_gt_i32_e64 s16, 0, v75
	v_and_b32_e32 v69, v69, v70
	v_not_b32_e32 v70, v191
	v_ashrrev_i32_e32 v74, 31, v74
	v_xor_b32_e32 v72, vcc_lo, v72
	v_cmp_gt_i32_e32 vcc_lo, 0, v191
	v_and_b32_e32 v69, v69, v71
	v_not_b32_e32 v71, v73
	v_ashrrev_i32_e32 v70, 31, v70
	v_xor_b32_e32 v74, s16, v74
	v_mul_u32_u24_e32 v68, 9, v68
	v_and_b32_e32 v69, v69, v72
	v_cmp_gt_i32_e64 s16, 0, v73
	v_ashrrev_i32_e32 v71, 31, v71
	v_xor_b32_e32 v70, vcc_lo, v70
	v_add_lshl_u32 v72, v68, v158, 2
	v_and_b32_e32 v69, v69, v74
	s_delay_alu instid0(VALU_DEP_4) | instskip(SKIP_3) | instid1(VALU_DEP_2)
	v_xor_b32_e32 v68, s16, v71
	ds_load_b32 v191, v72 offset:1056
	v_and_b32_e32 v69, v69, v70
	v_add_nc_u32_e32 v193, 0x420, v72
	; wave barrier
	v_and_b32_e32 v68, v69, v68
	s_delay_alu instid0(VALU_DEP_1) | instskip(SKIP_1) | instid1(VALU_DEP_2)
	v_mbcnt_lo_u32_b32 v192, v68, 0
	v_cmp_ne_u32_e64 s16, 0, v68
	v_cmp_eq_u32_e32 vcc_lo, 0, v192
	s_delay_alu instid0(VALU_DEP_2) | instskip(NEXT) | instid1(SALU_CYCLE_1)
	s_and_b32 s17, s16, vcc_lo
	s_and_saveexec_b32 s16, s17
	s_cbranch_execz .LBB815_440
; %bb.439:                              ;   in Loop: Header=BB815_392 Depth=2
	s_waitcnt lgkmcnt(0)
	v_bcnt_u32_b32 v68, v68, v191
	ds_store_b32 v193, v68
.LBB815_440:                            ;   in Loop: Header=BB815_392 Depth=2
	s_or_b32 exec_lo, exec_lo, s16
	v_xor_b32_e32 v49, 0x80000000, v49
	; wave barrier
	s_delay_alu instid0(VALU_DEP_1) | instskip(NEXT) | instid1(VALU_DEP_1)
	v_lshrrev_b64 v[68:69], s41, v[48:49]
	v_and_b32_e32 v68, s43, v68
	s_delay_alu instid0(VALU_DEP_1)
	v_and_b32_e32 v69, 1, v68
	v_lshlrev_b32_e32 v70, 30, v68
	v_lshlrev_b32_e32 v71, 29, v68
	;; [unrolled: 1-line block ×4, first 2 shown]
	v_add_co_u32 v69, s16, v69, -1
	s_delay_alu instid0(VALU_DEP_1)
	v_cndmask_b32_e64 v73, 0, 1, s16
	v_not_b32_e32 v195, v70
	v_cmp_gt_i32_e64 s16, 0, v70
	v_not_b32_e32 v70, v71
	v_lshlrev_b32_e32 v75, 26, v68
	v_cmp_ne_u32_e32 vcc_lo, 0, v73
	v_ashrrev_i32_e32 v195, 31, v195
	v_lshlrev_b32_e32 v194, 25, v68
	v_ashrrev_i32_e32 v70, 31, v70
	v_lshlrev_b32_e32 v73, 24, v68
	v_xor_b32_e32 v69, vcc_lo, v69
	v_cmp_gt_i32_e32 vcc_lo, 0, v71
	v_not_b32_e32 v71, v72
	v_xor_b32_e32 v195, s16, v195
	v_cmp_gt_i32_e64 s16, 0, v72
	v_and_b32_e32 v69, exec_lo, v69
	v_not_b32_e32 v72, v74
	v_ashrrev_i32_e32 v71, 31, v71
	v_xor_b32_e32 v70, vcc_lo, v70
	v_cmp_gt_i32_e32 vcc_lo, 0, v74
	v_and_b32_e32 v69, v69, v195
	v_not_b32_e32 v74, v75
	v_ashrrev_i32_e32 v72, 31, v72
	v_xor_b32_e32 v71, s16, v71
	v_cmp_gt_i32_e64 s16, 0, v75
	v_and_b32_e32 v69, v69, v70
	v_not_b32_e32 v70, v194
	v_ashrrev_i32_e32 v74, 31, v74
	v_xor_b32_e32 v72, vcc_lo, v72
	v_cmp_gt_i32_e32 vcc_lo, 0, v194
	v_and_b32_e32 v69, v69, v71
	v_not_b32_e32 v71, v73
	v_ashrrev_i32_e32 v70, 31, v70
	v_xor_b32_e32 v74, s16, v74
	v_mul_u32_u24_e32 v68, 9, v68
	v_and_b32_e32 v69, v69, v72
	v_cmp_gt_i32_e64 s16, 0, v73
	v_ashrrev_i32_e32 v71, 31, v71
	v_xor_b32_e32 v70, vcc_lo, v70
	v_add_lshl_u32 v72, v68, v158, 2
	v_and_b32_e32 v69, v69, v74
	s_delay_alu instid0(VALU_DEP_4) | instskip(SKIP_3) | instid1(VALU_DEP_2)
	v_xor_b32_e32 v68, s16, v71
	ds_load_b32 v194, v72 offset:1056
	v_and_b32_e32 v69, v69, v70
	v_add_nc_u32_e32 v196, 0x420, v72
	; wave barrier
	v_and_b32_e32 v68, v69, v68
	s_delay_alu instid0(VALU_DEP_1) | instskip(SKIP_1) | instid1(VALU_DEP_2)
	v_mbcnt_lo_u32_b32 v195, v68, 0
	v_cmp_ne_u32_e64 s16, 0, v68
	v_cmp_eq_u32_e32 vcc_lo, 0, v195
	s_delay_alu instid0(VALU_DEP_2) | instskip(NEXT) | instid1(SALU_CYCLE_1)
	s_and_b32 s17, s16, vcc_lo
	s_and_saveexec_b32 s16, s17
	s_cbranch_execz .LBB815_442
; %bb.441:                              ;   in Loop: Header=BB815_392 Depth=2
	s_waitcnt lgkmcnt(0)
	v_bcnt_u32_b32 v68, v68, v194
	ds_store_b32 v196, v68
.LBB815_442:                            ;   in Loop: Header=BB815_392 Depth=2
	s_or_b32 exec_lo, exec_lo, s16
	v_xor_b32_e32 v51, 0x80000000, v51
	; wave barrier
	s_delay_alu instid0(VALU_DEP_1) | instskip(NEXT) | instid1(VALU_DEP_1)
	v_lshrrev_b64 v[68:69], s41, v[50:51]
	v_and_b32_e32 v68, s43, v68
	s_delay_alu instid0(VALU_DEP_1)
	v_and_b32_e32 v69, 1, v68
	v_lshlrev_b32_e32 v70, 30, v68
	v_lshlrev_b32_e32 v71, 29, v68
	;; [unrolled: 1-line block ×4, first 2 shown]
	v_add_co_u32 v69, s16, v69, -1
	s_delay_alu instid0(VALU_DEP_1)
	v_cndmask_b32_e64 v73, 0, 1, s16
	v_not_b32_e32 v198, v70
	v_cmp_gt_i32_e64 s16, 0, v70
	v_not_b32_e32 v70, v71
	v_lshlrev_b32_e32 v75, 26, v68
	v_cmp_ne_u32_e32 vcc_lo, 0, v73
	v_ashrrev_i32_e32 v198, 31, v198
	v_lshlrev_b32_e32 v197, 25, v68
	v_ashrrev_i32_e32 v70, 31, v70
	v_lshlrev_b32_e32 v73, 24, v68
	v_xor_b32_e32 v69, vcc_lo, v69
	v_cmp_gt_i32_e32 vcc_lo, 0, v71
	v_not_b32_e32 v71, v72
	v_xor_b32_e32 v198, s16, v198
	v_cmp_gt_i32_e64 s16, 0, v72
	v_and_b32_e32 v69, exec_lo, v69
	v_not_b32_e32 v72, v74
	v_ashrrev_i32_e32 v71, 31, v71
	v_xor_b32_e32 v70, vcc_lo, v70
	v_cmp_gt_i32_e32 vcc_lo, 0, v74
	v_and_b32_e32 v69, v69, v198
	v_not_b32_e32 v74, v75
	v_ashrrev_i32_e32 v72, 31, v72
	v_xor_b32_e32 v71, s16, v71
	v_cmp_gt_i32_e64 s16, 0, v75
	v_and_b32_e32 v69, v69, v70
	v_not_b32_e32 v70, v197
	v_ashrrev_i32_e32 v74, 31, v74
	v_xor_b32_e32 v72, vcc_lo, v72
	v_cmp_gt_i32_e32 vcc_lo, 0, v197
	v_and_b32_e32 v69, v69, v71
	v_not_b32_e32 v71, v73
	v_ashrrev_i32_e32 v70, 31, v70
	v_xor_b32_e32 v74, s16, v74
	v_mul_u32_u24_e32 v68, 9, v68
	v_and_b32_e32 v69, v69, v72
	v_cmp_gt_i32_e64 s16, 0, v73
	v_ashrrev_i32_e32 v71, 31, v71
	v_xor_b32_e32 v70, vcc_lo, v70
	v_add_lshl_u32 v72, v68, v158, 2
	v_and_b32_e32 v69, v69, v74
	s_delay_alu instid0(VALU_DEP_4) | instskip(SKIP_3) | instid1(VALU_DEP_2)
	v_xor_b32_e32 v68, s16, v71
	ds_load_b32 v197, v72 offset:1056
	v_and_b32_e32 v69, v69, v70
	v_add_nc_u32_e32 v199, 0x420, v72
	; wave barrier
	v_and_b32_e32 v68, v69, v68
	s_delay_alu instid0(VALU_DEP_1) | instskip(SKIP_1) | instid1(VALU_DEP_2)
	v_mbcnt_lo_u32_b32 v198, v68, 0
	v_cmp_ne_u32_e64 s16, 0, v68
	v_cmp_eq_u32_e32 vcc_lo, 0, v198
	s_delay_alu instid0(VALU_DEP_2) | instskip(NEXT) | instid1(SALU_CYCLE_1)
	s_and_b32 s17, s16, vcc_lo
	s_and_saveexec_b32 s16, s17
	s_cbranch_execz .LBB815_444
; %bb.443:                              ;   in Loop: Header=BB815_392 Depth=2
	s_waitcnt lgkmcnt(0)
	v_bcnt_u32_b32 v68, v68, v197
	ds_store_b32 v199, v68
.LBB815_444:                            ;   in Loop: Header=BB815_392 Depth=2
	s_or_b32 exec_lo, exec_lo, s16
	v_xor_b32_e32 v53, 0x80000000, v53
	; wave barrier
	s_delay_alu instid0(VALU_DEP_1) | instskip(NEXT) | instid1(VALU_DEP_1)
	v_lshrrev_b64 v[68:69], s41, v[52:53]
	v_and_b32_e32 v68, s43, v68
	s_delay_alu instid0(VALU_DEP_1)
	v_and_b32_e32 v69, 1, v68
	v_lshlrev_b32_e32 v70, 30, v68
	v_lshlrev_b32_e32 v71, 29, v68
	;; [unrolled: 1-line block ×4, first 2 shown]
	v_add_co_u32 v69, s16, v69, -1
	s_delay_alu instid0(VALU_DEP_1)
	v_cndmask_b32_e64 v73, 0, 1, s16
	v_not_b32_e32 v201, v70
	v_cmp_gt_i32_e64 s16, 0, v70
	v_not_b32_e32 v70, v71
	v_lshlrev_b32_e32 v75, 26, v68
	v_cmp_ne_u32_e32 vcc_lo, 0, v73
	v_ashrrev_i32_e32 v201, 31, v201
	v_lshlrev_b32_e32 v200, 25, v68
	v_ashrrev_i32_e32 v70, 31, v70
	v_lshlrev_b32_e32 v73, 24, v68
	v_xor_b32_e32 v69, vcc_lo, v69
	v_cmp_gt_i32_e32 vcc_lo, 0, v71
	v_not_b32_e32 v71, v72
	v_xor_b32_e32 v201, s16, v201
	v_cmp_gt_i32_e64 s16, 0, v72
	v_and_b32_e32 v69, exec_lo, v69
	v_not_b32_e32 v72, v74
	v_ashrrev_i32_e32 v71, 31, v71
	v_xor_b32_e32 v70, vcc_lo, v70
	v_cmp_gt_i32_e32 vcc_lo, 0, v74
	v_and_b32_e32 v69, v69, v201
	v_not_b32_e32 v74, v75
	v_ashrrev_i32_e32 v72, 31, v72
	v_xor_b32_e32 v71, s16, v71
	v_cmp_gt_i32_e64 s16, 0, v75
	v_and_b32_e32 v69, v69, v70
	v_not_b32_e32 v70, v200
	v_ashrrev_i32_e32 v74, 31, v74
	v_xor_b32_e32 v72, vcc_lo, v72
	v_cmp_gt_i32_e32 vcc_lo, 0, v200
	v_and_b32_e32 v69, v69, v71
	v_not_b32_e32 v71, v73
	v_ashrrev_i32_e32 v70, 31, v70
	v_xor_b32_e32 v74, s16, v74
	v_mul_u32_u24_e32 v68, 9, v68
	v_and_b32_e32 v69, v69, v72
	v_cmp_gt_i32_e64 s16, 0, v73
	v_ashrrev_i32_e32 v71, 31, v71
	v_xor_b32_e32 v70, vcc_lo, v70
	v_add_lshl_u32 v72, v68, v158, 2
	v_and_b32_e32 v69, v69, v74
	s_delay_alu instid0(VALU_DEP_4) | instskip(SKIP_3) | instid1(VALU_DEP_2)
	v_xor_b32_e32 v68, s16, v71
	ds_load_b32 v200, v72 offset:1056
	v_and_b32_e32 v69, v69, v70
	v_add_nc_u32_e32 v202, 0x420, v72
	; wave barrier
	v_and_b32_e32 v68, v69, v68
	s_delay_alu instid0(VALU_DEP_1) | instskip(SKIP_1) | instid1(VALU_DEP_2)
	v_mbcnt_lo_u32_b32 v201, v68, 0
	v_cmp_ne_u32_e64 s16, 0, v68
	v_cmp_eq_u32_e32 vcc_lo, 0, v201
	s_delay_alu instid0(VALU_DEP_2) | instskip(NEXT) | instid1(SALU_CYCLE_1)
	s_and_b32 s17, s16, vcc_lo
	s_and_saveexec_b32 s16, s17
	s_cbranch_execz .LBB815_446
; %bb.445:                              ;   in Loop: Header=BB815_392 Depth=2
	s_waitcnt lgkmcnt(0)
	v_bcnt_u32_b32 v68, v68, v200
	ds_store_b32 v202, v68
.LBB815_446:                            ;   in Loop: Header=BB815_392 Depth=2
	s_or_b32 exec_lo, exec_lo, s16
	v_xor_b32_e32 v55, 0x80000000, v55
	; wave barrier
	s_delay_alu instid0(VALU_DEP_1) | instskip(NEXT) | instid1(VALU_DEP_1)
	v_lshrrev_b64 v[68:69], s41, v[54:55]
	v_and_b32_e32 v68, s43, v68
	s_delay_alu instid0(VALU_DEP_1)
	v_and_b32_e32 v69, 1, v68
	v_lshlrev_b32_e32 v70, 30, v68
	v_lshlrev_b32_e32 v71, 29, v68
	;; [unrolled: 1-line block ×4, first 2 shown]
	v_add_co_u32 v69, s16, v69, -1
	s_delay_alu instid0(VALU_DEP_1)
	v_cndmask_b32_e64 v73, 0, 1, s16
	v_not_b32_e32 v204, v70
	v_cmp_gt_i32_e64 s16, 0, v70
	v_not_b32_e32 v70, v71
	v_lshlrev_b32_e32 v75, 26, v68
	v_cmp_ne_u32_e32 vcc_lo, 0, v73
	v_ashrrev_i32_e32 v204, 31, v204
	v_lshlrev_b32_e32 v203, 25, v68
	v_ashrrev_i32_e32 v70, 31, v70
	v_lshlrev_b32_e32 v73, 24, v68
	v_xor_b32_e32 v69, vcc_lo, v69
	v_cmp_gt_i32_e32 vcc_lo, 0, v71
	v_not_b32_e32 v71, v72
	v_xor_b32_e32 v204, s16, v204
	v_cmp_gt_i32_e64 s16, 0, v72
	v_and_b32_e32 v69, exec_lo, v69
	v_not_b32_e32 v72, v74
	v_ashrrev_i32_e32 v71, 31, v71
	v_xor_b32_e32 v70, vcc_lo, v70
	v_cmp_gt_i32_e32 vcc_lo, 0, v74
	v_and_b32_e32 v69, v69, v204
	v_not_b32_e32 v74, v75
	v_ashrrev_i32_e32 v72, 31, v72
	v_xor_b32_e32 v71, s16, v71
	v_cmp_gt_i32_e64 s16, 0, v75
	v_and_b32_e32 v69, v69, v70
	v_not_b32_e32 v70, v203
	v_ashrrev_i32_e32 v74, 31, v74
	v_xor_b32_e32 v72, vcc_lo, v72
	v_cmp_gt_i32_e32 vcc_lo, 0, v203
	v_and_b32_e32 v69, v69, v71
	v_not_b32_e32 v71, v73
	v_ashrrev_i32_e32 v70, 31, v70
	v_xor_b32_e32 v74, s16, v74
	v_mul_u32_u24_e32 v68, 9, v68
	v_and_b32_e32 v69, v69, v72
	v_cmp_gt_i32_e64 s16, 0, v73
	v_ashrrev_i32_e32 v71, 31, v71
	v_xor_b32_e32 v70, vcc_lo, v70
	v_add_lshl_u32 v72, v68, v158, 2
	v_and_b32_e32 v69, v69, v74
	s_delay_alu instid0(VALU_DEP_4) | instskip(SKIP_3) | instid1(VALU_DEP_2)
	v_xor_b32_e32 v68, s16, v71
	ds_load_b32 v203, v72 offset:1056
	v_and_b32_e32 v69, v69, v70
	v_add_nc_u32_e32 v205, 0x420, v72
	; wave barrier
	v_and_b32_e32 v68, v69, v68
	s_delay_alu instid0(VALU_DEP_1) | instskip(SKIP_1) | instid1(VALU_DEP_2)
	v_mbcnt_lo_u32_b32 v204, v68, 0
	v_cmp_ne_u32_e64 s16, 0, v68
	v_cmp_eq_u32_e32 vcc_lo, 0, v204
	s_delay_alu instid0(VALU_DEP_2) | instskip(NEXT) | instid1(SALU_CYCLE_1)
	s_and_b32 s17, s16, vcc_lo
	s_and_saveexec_b32 s16, s17
	s_cbranch_execz .LBB815_448
; %bb.447:                              ;   in Loop: Header=BB815_392 Depth=2
	s_waitcnt lgkmcnt(0)
	v_bcnt_u32_b32 v68, v68, v203
	ds_store_b32 v205, v68
.LBB815_448:                            ;   in Loop: Header=BB815_392 Depth=2
	s_or_b32 exec_lo, exec_lo, s16
	v_xor_b32_e32 v57, 0x80000000, v57
	; wave barrier
	s_delay_alu instid0(VALU_DEP_1) | instskip(NEXT) | instid1(VALU_DEP_1)
	v_lshrrev_b64 v[68:69], s41, v[56:57]
	v_and_b32_e32 v68, s43, v68
	s_delay_alu instid0(VALU_DEP_1)
	v_and_b32_e32 v69, 1, v68
	v_lshlrev_b32_e32 v70, 30, v68
	v_lshlrev_b32_e32 v71, 29, v68
	;; [unrolled: 1-line block ×4, first 2 shown]
	v_add_co_u32 v69, s16, v69, -1
	s_delay_alu instid0(VALU_DEP_1)
	v_cndmask_b32_e64 v73, 0, 1, s16
	v_not_b32_e32 v207, v70
	v_cmp_gt_i32_e64 s16, 0, v70
	v_not_b32_e32 v70, v71
	v_lshlrev_b32_e32 v75, 26, v68
	v_cmp_ne_u32_e32 vcc_lo, 0, v73
	v_ashrrev_i32_e32 v207, 31, v207
	v_lshlrev_b32_e32 v206, 25, v68
	v_ashrrev_i32_e32 v70, 31, v70
	v_lshlrev_b32_e32 v73, 24, v68
	v_xor_b32_e32 v69, vcc_lo, v69
	v_cmp_gt_i32_e32 vcc_lo, 0, v71
	v_not_b32_e32 v71, v72
	v_xor_b32_e32 v207, s16, v207
	v_cmp_gt_i32_e64 s16, 0, v72
	v_and_b32_e32 v69, exec_lo, v69
	v_not_b32_e32 v72, v74
	v_ashrrev_i32_e32 v71, 31, v71
	v_xor_b32_e32 v70, vcc_lo, v70
	v_cmp_gt_i32_e32 vcc_lo, 0, v74
	v_and_b32_e32 v69, v69, v207
	v_not_b32_e32 v74, v75
	v_ashrrev_i32_e32 v72, 31, v72
	v_xor_b32_e32 v71, s16, v71
	v_cmp_gt_i32_e64 s16, 0, v75
	v_and_b32_e32 v69, v69, v70
	v_not_b32_e32 v70, v206
	v_ashrrev_i32_e32 v74, 31, v74
	v_xor_b32_e32 v72, vcc_lo, v72
	v_cmp_gt_i32_e32 vcc_lo, 0, v206
	v_and_b32_e32 v69, v69, v71
	v_not_b32_e32 v71, v73
	v_ashrrev_i32_e32 v70, 31, v70
	v_xor_b32_e32 v74, s16, v74
	v_mul_u32_u24_e32 v68, 9, v68
	v_and_b32_e32 v69, v69, v72
	v_cmp_gt_i32_e64 s16, 0, v73
	v_ashrrev_i32_e32 v71, 31, v71
	v_xor_b32_e32 v70, vcc_lo, v70
	v_add_lshl_u32 v72, v68, v158, 2
	v_and_b32_e32 v69, v69, v74
	s_delay_alu instid0(VALU_DEP_4) | instskip(SKIP_3) | instid1(VALU_DEP_2)
	v_xor_b32_e32 v68, s16, v71
	ds_load_b32 v206, v72 offset:1056
	v_and_b32_e32 v69, v69, v70
	v_add_nc_u32_e32 v208, 0x420, v72
	; wave barrier
	v_and_b32_e32 v68, v69, v68
	s_delay_alu instid0(VALU_DEP_1) | instskip(SKIP_1) | instid1(VALU_DEP_2)
	v_mbcnt_lo_u32_b32 v207, v68, 0
	v_cmp_ne_u32_e64 s16, 0, v68
	v_cmp_eq_u32_e32 vcc_lo, 0, v207
	s_delay_alu instid0(VALU_DEP_2) | instskip(NEXT) | instid1(SALU_CYCLE_1)
	s_and_b32 s17, s16, vcc_lo
	s_and_saveexec_b32 s16, s17
	s_cbranch_execz .LBB815_450
; %bb.449:                              ;   in Loop: Header=BB815_392 Depth=2
	s_waitcnt lgkmcnt(0)
	v_bcnt_u32_b32 v68, v68, v206
	ds_store_b32 v208, v68
.LBB815_450:                            ;   in Loop: Header=BB815_392 Depth=2
	s_or_b32 exec_lo, exec_lo, s16
	v_xor_b32_e32 v59, 0x80000000, v59
	; wave barrier
	s_delay_alu instid0(VALU_DEP_1) | instskip(NEXT) | instid1(VALU_DEP_1)
	v_lshrrev_b64 v[68:69], s41, v[58:59]
	v_and_b32_e32 v68, s43, v68
	s_delay_alu instid0(VALU_DEP_1)
	v_and_b32_e32 v69, 1, v68
	v_lshlrev_b32_e32 v70, 30, v68
	v_lshlrev_b32_e32 v71, 29, v68
	;; [unrolled: 1-line block ×4, first 2 shown]
	v_add_co_u32 v69, s16, v69, -1
	s_delay_alu instid0(VALU_DEP_1)
	v_cndmask_b32_e64 v73, 0, 1, s16
	v_not_b32_e32 v210, v70
	v_cmp_gt_i32_e64 s16, 0, v70
	v_not_b32_e32 v70, v71
	v_lshlrev_b32_e32 v75, 26, v68
	v_cmp_ne_u32_e32 vcc_lo, 0, v73
	v_ashrrev_i32_e32 v210, 31, v210
	v_lshlrev_b32_e32 v209, 25, v68
	v_ashrrev_i32_e32 v70, 31, v70
	v_lshlrev_b32_e32 v73, 24, v68
	v_xor_b32_e32 v69, vcc_lo, v69
	v_cmp_gt_i32_e32 vcc_lo, 0, v71
	v_not_b32_e32 v71, v72
	v_xor_b32_e32 v210, s16, v210
	v_cmp_gt_i32_e64 s16, 0, v72
	v_and_b32_e32 v69, exec_lo, v69
	v_not_b32_e32 v72, v74
	v_ashrrev_i32_e32 v71, 31, v71
	v_xor_b32_e32 v70, vcc_lo, v70
	v_cmp_gt_i32_e32 vcc_lo, 0, v74
	v_and_b32_e32 v69, v69, v210
	v_not_b32_e32 v74, v75
	v_ashrrev_i32_e32 v72, 31, v72
	v_xor_b32_e32 v71, s16, v71
	v_cmp_gt_i32_e64 s16, 0, v75
	v_and_b32_e32 v69, v69, v70
	v_not_b32_e32 v70, v209
	v_ashrrev_i32_e32 v74, 31, v74
	v_xor_b32_e32 v72, vcc_lo, v72
	v_cmp_gt_i32_e32 vcc_lo, 0, v209
	v_and_b32_e32 v69, v69, v71
	v_not_b32_e32 v71, v73
	v_ashrrev_i32_e32 v70, 31, v70
	v_xor_b32_e32 v74, s16, v74
	v_mul_u32_u24_e32 v68, 9, v68
	v_and_b32_e32 v69, v69, v72
	v_cmp_gt_i32_e64 s16, 0, v73
	v_ashrrev_i32_e32 v71, 31, v71
	v_xor_b32_e32 v70, vcc_lo, v70
	v_add_lshl_u32 v72, v68, v158, 2
	v_and_b32_e32 v69, v69, v74
	s_delay_alu instid0(VALU_DEP_4) | instskip(SKIP_3) | instid1(VALU_DEP_2)
	v_xor_b32_e32 v68, s16, v71
	ds_load_b32 v209, v72 offset:1056
	v_and_b32_e32 v69, v69, v70
	v_add_nc_u32_e32 v211, 0x420, v72
	; wave barrier
	v_and_b32_e32 v68, v69, v68
	s_delay_alu instid0(VALU_DEP_1) | instskip(SKIP_1) | instid1(VALU_DEP_2)
	v_mbcnt_lo_u32_b32 v210, v68, 0
	v_cmp_ne_u32_e64 s16, 0, v68
	v_cmp_eq_u32_e32 vcc_lo, 0, v210
	s_delay_alu instid0(VALU_DEP_2) | instskip(NEXT) | instid1(SALU_CYCLE_1)
	s_and_b32 s17, s16, vcc_lo
	s_and_saveexec_b32 s16, s17
	s_cbranch_execz .LBB815_452
; %bb.451:                              ;   in Loop: Header=BB815_392 Depth=2
	s_waitcnt lgkmcnt(0)
	v_bcnt_u32_b32 v68, v68, v209
	ds_store_b32 v211, v68
.LBB815_452:                            ;   in Loop: Header=BB815_392 Depth=2
	s_or_b32 exec_lo, exec_lo, s16
	v_xor_b32_e32 v61, 0x80000000, v61
	; wave barrier
	s_delay_alu instid0(VALU_DEP_1) | instskip(NEXT) | instid1(VALU_DEP_1)
	v_lshrrev_b64 v[68:69], s41, v[60:61]
	v_and_b32_e32 v68, s43, v68
	s_delay_alu instid0(VALU_DEP_1)
	v_and_b32_e32 v69, 1, v68
	v_lshlrev_b32_e32 v70, 30, v68
	v_lshlrev_b32_e32 v71, 29, v68
	;; [unrolled: 1-line block ×4, first 2 shown]
	v_add_co_u32 v69, s16, v69, -1
	s_delay_alu instid0(VALU_DEP_1)
	v_cndmask_b32_e64 v73, 0, 1, s16
	v_not_b32_e32 v213, v70
	v_cmp_gt_i32_e64 s16, 0, v70
	v_not_b32_e32 v70, v71
	v_lshlrev_b32_e32 v75, 26, v68
	v_cmp_ne_u32_e32 vcc_lo, 0, v73
	v_ashrrev_i32_e32 v213, 31, v213
	v_lshlrev_b32_e32 v212, 25, v68
	v_ashrrev_i32_e32 v70, 31, v70
	v_lshlrev_b32_e32 v73, 24, v68
	v_xor_b32_e32 v69, vcc_lo, v69
	v_cmp_gt_i32_e32 vcc_lo, 0, v71
	v_not_b32_e32 v71, v72
	v_xor_b32_e32 v213, s16, v213
	v_cmp_gt_i32_e64 s16, 0, v72
	v_and_b32_e32 v69, exec_lo, v69
	v_not_b32_e32 v72, v74
	v_ashrrev_i32_e32 v71, 31, v71
	v_xor_b32_e32 v70, vcc_lo, v70
	v_cmp_gt_i32_e32 vcc_lo, 0, v74
	v_and_b32_e32 v69, v69, v213
	v_not_b32_e32 v74, v75
	v_ashrrev_i32_e32 v72, 31, v72
	v_xor_b32_e32 v71, s16, v71
	v_cmp_gt_i32_e64 s16, 0, v75
	v_and_b32_e32 v69, v69, v70
	v_not_b32_e32 v70, v212
	v_ashrrev_i32_e32 v74, 31, v74
	v_xor_b32_e32 v72, vcc_lo, v72
	v_cmp_gt_i32_e32 vcc_lo, 0, v212
	v_and_b32_e32 v69, v69, v71
	v_not_b32_e32 v71, v73
	v_ashrrev_i32_e32 v70, 31, v70
	v_xor_b32_e32 v74, s16, v74
	v_mul_u32_u24_e32 v68, 9, v68
	v_and_b32_e32 v69, v69, v72
	v_cmp_gt_i32_e64 s16, 0, v73
	v_ashrrev_i32_e32 v71, 31, v71
	v_xor_b32_e32 v70, vcc_lo, v70
	v_add_lshl_u32 v72, v68, v158, 2
	v_and_b32_e32 v69, v69, v74
	s_delay_alu instid0(VALU_DEP_4) | instskip(SKIP_3) | instid1(VALU_DEP_2)
	v_xor_b32_e32 v68, s16, v71
	ds_load_b32 v212, v72 offset:1056
	v_and_b32_e32 v69, v69, v70
	v_add_nc_u32_e32 v214, 0x420, v72
	; wave barrier
	v_and_b32_e32 v68, v69, v68
	s_delay_alu instid0(VALU_DEP_1) | instskip(SKIP_1) | instid1(VALU_DEP_2)
	v_mbcnt_lo_u32_b32 v213, v68, 0
	v_cmp_ne_u32_e64 s16, 0, v68
	v_cmp_eq_u32_e32 vcc_lo, 0, v213
	s_delay_alu instid0(VALU_DEP_2) | instskip(NEXT) | instid1(SALU_CYCLE_1)
	s_and_b32 s17, s16, vcc_lo
	s_and_saveexec_b32 s16, s17
	s_cbranch_execz .LBB815_454
; %bb.453:                              ;   in Loop: Header=BB815_392 Depth=2
	s_waitcnt lgkmcnt(0)
	v_bcnt_u32_b32 v68, v68, v212
	ds_store_b32 v214, v68
.LBB815_454:                            ;   in Loop: Header=BB815_392 Depth=2
	s_or_b32 exec_lo, exec_lo, s16
	v_xor_b32_e32 v63, 0x80000000, v63
	; wave barrier
	s_delay_alu instid0(VALU_DEP_1) | instskip(NEXT) | instid1(VALU_DEP_1)
	v_lshrrev_b64 v[68:69], s41, v[62:63]
	v_and_b32_e32 v68, s43, v68
	s_delay_alu instid0(VALU_DEP_1)
	v_and_b32_e32 v69, 1, v68
	v_lshlrev_b32_e32 v70, 30, v68
	v_lshlrev_b32_e32 v71, 29, v68
	;; [unrolled: 1-line block ×4, first 2 shown]
	v_add_co_u32 v69, s16, v69, -1
	s_delay_alu instid0(VALU_DEP_1)
	v_cndmask_b32_e64 v73, 0, 1, s16
	v_not_b32_e32 v216, v70
	v_cmp_gt_i32_e64 s16, 0, v70
	v_not_b32_e32 v70, v71
	v_lshlrev_b32_e32 v75, 26, v68
	v_cmp_ne_u32_e32 vcc_lo, 0, v73
	v_ashrrev_i32_e32 v216, 31, v216
	v_lshlrev_b32_e32 v215, 25, v68
	v_ashrrev_i32_e32 v70, 31, v70
	v_lshlrev_b32_e32 v73, 24, v68
	v_xor_b32_e32 v69, vcc_lo, v69
	v_cmp_gt_i32_e32 vcc_lo, 0, v71
	v_not_b32_e32 v71, v72
	v_xor_b32_e32 v216, s16, v216
	v_cmp_gt_i32_e64 s16, 0, v72
	v_and_b32_e32 v69, exec_lo, v69
	v_not_b32_e32 v72, v74
	v_ashrrev_i32_e32 v71, 31, v71
	v_xor_b32_e32 v70, vcc_lo, v70
	v_cmp_gt_i32_e32 vcc_lo, 0, v74
	v_and_b32_e32 v69, v69, v216
	v_not_b32_e32 v74, v75
	v_ashrrev_i32_e32 v72, 31, v72
	v_xor_b32_e32 v71, s16, v71
	v_cmp_gt_i32_e64 s16, 0, v75
	v_and_b32_e32 v69, v69, v70
	v_not_b32_e32 v70, v215
	v_ashrrev_i32_e32 v74, 31, v74
	v_xor_b32_e32 v72, vcc_lo, v72
	v_cmp_gt_i32_e32 vcc_lo, 0, v215
	v_and_b32_e32 v69, v69, v71
	v_not_b32_e32 v71, v73
	v_ashrrev_i32_e32 v70, 31, v70
	v_xor_b32_e32 v74, s16, v74
	v_mul_u32_u24_e32 v68, 9, v68
	v_and_b32_e32 v69, v69, v72
	v_cmp_gt_i32_e64 s16, 0, v73
	v_ashrrev_i32_e32 v71, 31, v71
	v_xor_b32_e32 v70, vcc_lo, v70
	v_add_lshl_u32 v72, v68, v158, 2
	v_and_b32_e32 v69, v69, v74
	s_delay_alu instid0(VALU_DEP_4) | instskip(SKIP_3) | instid1(VALU_DEP_2)
	v_xor_b32_e32 v68, s16, v71
	ds_load_b32 v215, v72 offset:1056
	v_and_b32_e32 v69, v69, v70
	v_add_nc_u32_e32 v217, 0x420, v72
	; wave barrier
	v_and_b32_e32 v68, v69, v68
	s_delay_alu instid0(VALU_DEP_1) | instskip(SKIP_1) | instid1(VALU_DEP_2)
	v_mbcnt_lo_u32_b32 v216, v68, 0
	v_cmp_ne_u32_e64 s16, 0, v68
	v_cmp_eq_u32_e32 vcc_lo, 0, v216
	s_delay_alu instid0(VALU_DEP_2) | instskip(NEXT) | instid1(SALU_CYCLE_1)
	s_and_b32 s17, s16, vcc_lo
	s_and_saveexec_b32 s16, s17
	s_cbranch_execz .LBB815_456
; %bb.455:                              ;   in Loop: Header=BB815_392 Depth=2
	s_waitcnt lgkmcnt(0)
	v_bcnt_u32_b32 v68, v68, v215
	ds_store_b32 v217, v68
.LBB815_456:                            ;   in Loop: Header=BB815_392 Depth=2
	s_or_b32 exec_lo, exec_lo, s16
	v_xor_b32_e32 v65, 0x80000000, v65
	; wave barrier
	s_delay_alu instid0(VALU_DEP_1) | instskip(NEXT) | instid1(VALU_DEP_1)
	v_lshrrev_b64 v[68:69], s41, v[64:65]
	v_and_b32_e32 v68, s43, v68
	s_delay_alu instid0(VALU_DEP_1)
	v_and_b32_e32 v69, 1, v68
	v_lshlrev_b32_e32 v70, 30, v68
	v_lshlrev_b32_e32 v71, 29, v68
	;; [unrolled: 1-line block ×4, first 2 shown]
	v_add_co_u32 v69, s16, v69, -1
	s_delay_alu instid0(VALU_DEP_1)
	v_cndmask_b32_e64 v73, 0, 1, s16
	v_not_b32_e32 v219, v70
	v_cmp_gt_i32_e64 s16, 0, v70
	v_not_b32_e32 v70, v71
	v_lshlrev_b32_e32 v75, 26, v68
	v_cmp_ne_u32_e32 vcc_lo, 0, v73
	v_ashrrev_i32_e32 v219, 31, v219
	v_lshlrev_b32_e32 v218, 25, v68
	v_ashrrev_i32_e32 v70, 31, v70
	v_lshlrev_b32_e32 v73, 24, v68
	v_xor_b32_e32 v69, vcc_lo, v69
	v_cmp_gt_i32_e32 vcc_lo, 0, v71
	v_not_b32_e32 v71, v72
	v_xor_b32_e32 v219, s16, v219
	v_cmp_gt_i32_e64 s16, 0, v72
	v_and_b32_e32 v69, exec_lo, v69
	v_not_b32_e32 v72, v74
	v_ashrrev_i32_e32 v71, 31, v71
	v_xor_b32_e32 v70, vcc_lo, v70
	v_cmp_gt_i32_e32 vcc_lo, 0, v74
	v_and_b32_e32 v69, v69, v219
	v_not_b32_e32 v74, v75
	v_ashrrev_i32_e32 v72, 31, v72
	v_xor_b32_e32 v71, s16, v71
	v_cmp_gt_i32_e64 s16, 0, v75
	v_and_b32_e32 v69, v69, v70
	v_not_b32_e32 v70, v218
	v_ashrrev_i32_e32 v74, 31, v74
	v_xor_b32_e32 v72, vcc_lo, v72
	v_cmp_gt_i32_e32 vcc_lo, 0, v218
	v_and_b32_e32 v69, v69, v71
	v_not_b32_e32 v71, v73
	v_ashrrev_i32_e32 v70, 31, v70
	v_xor_b32_e32 v74, s16, v74
	v_mul_u32_u24_e32 v68, 9, v68
	v_and_b32_e32 v69, v69, v72
	v_cmp_gt_i32_e64 s16, 0, v73
	v_ashrrev_i32_e32 v71, 31, v71
	v_xor_b32_e32 v70, vcc_lo, v70
	v_add_lshl_u32 v72, v68, v158, 2
	v_and_b32_e32 v69, v69, v74
	s_delay_alu instid0(VALU_DEP_4) | instskip(SKIP_3) | instid1(VALU_DEP_2)
	v_xor_b32_e32 v68, s16, v71
	ds_load_b32 v218, v72 offset:1056
	v_and_b32_e32 v69, v69, v70
	v_add_nc_u32_e32 v220, 0x420, v72
	; wave barrier
	v_and_b32_e32 v68, v69, v68
	s_delay_alu instid0(VALU_DEP_1) | instskip(SKIP_1) | instid1(VALU_DEP_2)
	v_mbcnt_lo_u32_b32 v219, v68, 0
	v_cmp_ne_u32_e64 s16, 0, v68
	v_cmp_eq_u32_e32 vcc_lo, 0, v219
	s_delay_alu instid0(VALU_DEP_2) | instskip(NEXT) | instid1(SALU_CYCLE_1)
	s_and_b32 s17, s16, vcc_lo
	s_and_saveexec_b32 s16, s17
	s_cbranch_execz .LBB815_458
; %bb.457:                              ;   in Loop: Header=BB815_392 Depth=2
	s_waitcnt lgkmcnt(0)
	v_bcnt_u32_b32 v68, v68, v218
	ds_store_b32 v220, v68
.LBB815_458:                            ;   in Loop: Header=BB815_392 Depth=2
	s_or_b32 exec_lo, exec_lo, s16
	v_xor_b32_e32 v67, 0x80000000, v67
	; wave barrier
	s_delay_alu instid0(VALU_DEP_1) | instskip(NEXT) | instid1(VALU_DEP_1)
	v_lshrrev_b64 v[68:69], s41, v[66:67]
	v_and_b32_e32 v68, s43, v68
	s_delay_alu instid0(VALU_DEP_1)
	v_and_b32_e32 v69, 1, v68
	v_lshlrev_b32_e32 v70, 30, v68
	v_lshlrev_b32_e32 v71, 29, v68
	;; [unrolled: 1-line block ×4, first 2 shown]
	v_add_co_u32 v69, s16, v69, -1
	s_delay_alu instid0(VALU_DEP_1)
	v_cndmask_b32_e64 v73, 0, 1, s16
	v_not_b32_e32 v222, v70
	v_cmp_gt_i32_e64 s16, 0, v70
	v_not_b32_e32 v70, v71
	v_lshlrev_b32_e32 v75, 26, v68
	v_cmp_ne_u32_e32 vcc_lo, 0, v73
	v_ashrrev_i32_e32 v222, 31, v222
	v_lshlrev_b32_e32 v221, 25, v68
	v_ashrrev_i32_e32 v70, 31, v70
	v_lshlrev_b32_e32 v73, 24, v68
	v_xor_b32_e32 v69, vcc_lo, v69
	v_cmp_gt_i32_e32 vcc_lo, 0, v71
	v_not_b32_e32 v71, v72
	v_xor_b32_e32 v222, s16, v222
	v_cmp_gt_i32_e64 s16, 0, v72
	v_and_b32_e32 v69, exec_lo, v69
	v_not_b32_e32 v72, v74
	v_ashrrev_i32_e32 v71, 31, v71
	v_xor_b32_e32 v70, vcc_lo, v70
	v_cmp_gt_i32_e32 vcc_lo, 0, v74
	v_and_b32_e32 v69, v69, v222
	v_not_b32_e32 v74, v75
	v_ashrrev_i32_e32 v72, 31, v72
	v_xor_b32_e32 v71, s16, v71
	v_cmp_gt_i32_e64 s16, 0, v75
	v_and_b32_e32 v69, v69, v70
	v_not_b32_e32 v70, v221
	v_ashrrev_i32_e32 v74, 31, v74
	v_xor_b32_e32 v72, vcc_lo, v72
	v_cmp_gt_i32_e32 vcc_lo, 0, v221
	v_and_b32_e32 v69, v69, v71
	v_not_b32_e32 v71, v73
	v_ashrrev_i32_e32 v70, 31, v70
	v_xor_b32_e32 v74, s16, v74
	v_mul_u32_u24_e32 v68, 9, v68
	v_and_b32_e32 v69, v69, v72
	v_cmp_gt_i32_e64 s16, 0, v73
	v_ashrrev_i32_e32 v71, 31, v71
	v_xor_b32_e32 v70, vcc_lo, v70
	v_add_lshl_u32 v72, v68, v158, 2
	v_and_b32_e32 v69, v69, v74
	s_delay_alu instid0(VALU_DEP_4) | instskip(SKIP_3) | instid1(VALU_DEP_2)
	v_xor_b32_e32 v68, s16, v71
	ds_load_b32 v221, v72 offset:1056
	v_and_b32_e32 v69, v69, v70
	v_add_nc_u32_e32 v223, 0x420, v72
	; wave barrier
	v_and_b32_e32 v68, v69, v68
	s_delay_alu instid0(VALU_DEP_1) | instskip(SKIP_1) | instid1(VALU_DEP_2)
	v_mbcnt_lo_u32_b32 v222, v68, 0
	v_cmp_ne_u32_e64 s16, 0, v68
	v_cmp_eq_u32_e32 vcc_lo, 0, v222
	s_delay_alu instid0(VALU_DEP_2) | instskip(NEXT) | instid1(SALU_CYCLE_1)
	s_and_b32 s17, s16, vcc_lo
	s_and_saveexec_b32 s16, s17
	s_cbranch_execz .LBB815_460
; %bb.459:                              ;   in Loop: Header=BB815_392 Depth=2
	s_waitcnt lgkmcnt(0)
	v_bcnt_u32_b32 v68, v68, v221
	ds_store_b32 v223, v68
.LBB815_460:                            ;   in Loop: Header=BB815_392 Depth=2
	s_or_b32 exec_lo, exec_lo, s16
	; wave barrier
	s_waitcnt lgkmcnt(0)
	s_barrier
	buffer_gl0_inv
	ds_load_b32 v224, v102 offset:1056
	ds_load_2addr_b32 v[74:75], v103 offset0:1 offset1:2
	ds_load_2addr_b32 v[72:73], v103 offset0:3 offset1:4
	;; [unrolled: 1-line block ×4, first 2 shown]
	s_waitcnt lgkmcnt(3)
	v_add3_u32 v225, v74, v224, v75
	s_waitcnt lgkmcnt(2)
	s_delay_alu instid0(VALU_DEP_1) | instskip(SKIP_1) | instid1(VALU_DEP_1)
	v_add3_u32 v225, v225, v72, v73
	s_waitcnt lgkmcnt(1)
	v_add3_u32 v225, v225, v68, v69
	s_waitcnt lgkmcnt(0)
	s_delay_alu instid0(VALU_DEP_1) | instskip(NEXT) | instid1(VALU_DEP_1)
	v_add3_u32 v71, v225, v70, v71
	v_mov_b32_dpp v225, v71 row_shr:1 row_mask:0xf bank_mask:0xf
	s_delay_alu instid0(VALU_DEP_1) | instskip(NEXT) | instid1(VALU_DEP_1)
	v_cndmask_b32_e64 v225, v225, 0, s1
	v_add_nc_u32_e32 v71, v225, v71
	s_delay_alu instid0(VALU_DEP_1) | instskip(NEXT) | instid1(VALU_DEP_1)
	v_mov_b32_dpp v225, v71 row_shr:2 row_mask:0xf bank_mask:0xf
	v_cndmask_b32_e64 v225, 0, v225, s7
	s_delay_alu instid0(VALU_DEP_1) | instskip(NEXT) | instid1(VALU_DEP_1)
	v_add_nc_u32_e32 v71, v71, v225
	v_mov_b32_dpp v225, v71 row_shr:4 row_mask:0xf bank_mask:0xf
	s_delay_alu instid0(VALU_DEP_1) | instskip(NEXT) | instid1(VALU_DEP_1)
	v_cndmask_b32_e64 v225, 0, v225, s8
	v_add_nc_u32_e32 v71, v71, v225
	s_delay_alu instid0(VALU_DEP_1) | instskip(NEXT) | instid1(VALU_DEP_1)
	v_mov_b32_dpp v225, v71 row_shr:8 row_mask:0xf bank_mask:0xf
	v_cndmask_b32_e64 v225, 0, v225, s9
	s_delay_alu instid0(VALU_DEP_1) | instskip(SKIP_3) | instid1(VALU_DEP_1)
	v_add_nc_u32_e32 v71, v71, v225
	ds_swizzle_b32 v225, v71 offset:swizzle(BROADCAST,32,15)
	s_waitcnt lgkmcnt(0)
	v_cndmask_b32_e64 v225, v225, 0, s10
	v_add_nc_u32_e32 v71, v71, v225
	s_and_saveexec_b32 s16, s3
	s_cbranch_execz .LBB815_462
; %bb.461:                              ;   in Loop: Header=BB815_392 Depth=2
	ds_store_b32 v94, v71 offset:1024
.LBB815_462:                            ;   in Loop: Header=BB815_392 Depth=2
	s_or_b32 exec_lo, exec_lo, s16
	s_waitcnt lgkmcnt(0)
	s_barrier
	buffer_gl0_inv
	s_and_saveexec_b32 s16, s4
	s_cbranch_execz .LBB815_464
; %bb.463:                              ;   in Loop: Header=BB815_392 Depth=2
	ds_load_b32 v225, v104 offset:1024
	s_waitcnt lgkmcnt(0)
	v_mov_b32_dpp v226, v225 row_shr:1 row_mask:0xf bank_mask:0xf
	s_delay_alu instid0(VALU_DEP_1) | instskip(NEXT) | instid1(VALU_DEP_1)
	v_cndmask_b32_e64 v226, v226, 0, s12
	v_add_nc_u32_e32 v225, v226, v225
	s_delay_alu instid0(VALU_DEP_1) | instskip(NEXT) | instid1(VALU_DEP_1)
	v_mov_b32_dpp v226, v225 row_shr:2 row_mask:0xf bank_mask:0xf
	v_cndmask_b32_e64 v226, 0, v226, s13
	s_delay_alu instid0(VALU_DEP_1) | instskip(NEXT) | instid1(VALU_DEP_1)
	v_add_nc_u32_e32 v225, v225, v226
	v_mov_b32_dpp v226, v225 row_shr:4 row_mask:0xf bank_mask:0xf
	s_delay_alu instid0(VALU_DEP_1) | instskip(NEXT) | instid1(VALU_DEP_1)
	v_cndmask_b32_e64 v226, 0, v226, s14
	v_add_nc_u32_e32 v225, v225, v226
	ds_store_b32 v104, v225 offset:1024
.LBB815_464:                            ;   in Loop: Header=BB815_392 Depth=2
	s_or_b32 exec_lo, exec_lo, s16
	v_mov_b32_e32 v225, 0
	s_waitcnt lgkmcnt(0)
	s_barrier
	buffer_gl0_inv
	s_and_saveexec_b32 s16, s5
	s_cbranch_execz .LBB815_466
; %bb.465:                              ;   in Loop: Header=BB815_392 Depth=2
	ds_load_b32 v225, v94 offset:1020
.LBB815_466:                            ;   in Loop: Header=BB815_392 Depth=2
	s_or_b32 exec_lo, exec_lo, s16
	s_waitcnt lgkmcnt(0)
	v_add_nc_u32_e32 v71, v225, v71
	ds_bpermute_b32 v71, v137, v71
	s_waitcnt lgkmcnt(0)
	v_cndmask_b32_e64 v71, v71, v225, s11
	s_delay_alu instid0(VALU_DEP_1) | instskip(NEXT) | instid1(VALU_DEP_1)
	v_cndmask_b32_e64 v71, v71, 0, s0
	v_add_nc_u32_e32 v224, v71, v224
	s_delay_alu instid0(VALU_DEP_1) | instskip(NEXT) | instid1(VALU_DEP_1)
	v_add_nc_u32_e32 v74, v224, v74
	v_add_nc_u32_e32 v75, v74, v75
	s_delay_alu instid0(VALU_DEP_1) | instskip(NEXT) | instid1(VALU_DEP_1)
	v_add_nc_u32_e32 v72, v75, v72
	;; [unrolled: 3-line block ×3, first 2 shown]
	v_add_nc_u32_e32 v69, v68, v69
	s_delay_alu instid0(VALU_DEP_1)
	v_add_nc_u32_e32 v70, v69, v70
	ds_store_b32 v102, v71 offset:1056
	ds_store_2addr_b32 v103, v224, v74 offset0:1 offset1:2
	ds_store_2addr_b32 v103, v75, v72 offset0:3 offset1:4
	;; [unrolled: 1-line block ×4, first 2 shown]
	v_mov_b32_e32 v68, 0x1000
	s_waitcnt lgkmcnt(0)
	s_barrier
	buffer_gl0_inv
	ds_load_b32 v70, v181
	ds_load_b32 v71, v184
	;; [unrolled: 1-line block ×16, first 2 shown]
	ds_load_b32 v178, v102 offset:1056
	s_and_saveexec_b32 s16, s6
	s_cbranch_execz .LBB815_468
; %bb.467:                              ;   in Loop: Header=BB815_392 Depth=2
	ds_load_b32 v68, v105 offset:1056
.LBB815_468:                            ;   in Loop: Header=BB815_392 Depth=2
	s_or_b32 exec_lo, exec_lo, s16
	s_waitcnt lgkmcnt(0)
	s_barrier
	buffer_gl0_inv
	s_and_saveexec_b32 s16, s2
	s_cbranch_execz .LBB815_470
; %bb.469:                              ;   in Loop: Header=BB815_392 Depth=2
	ds_load_b32 v202, v76
	s_waitcnt lgkmcnt(0)
	v_sub_nc_u32_e32 v178, v202, v178
	ds_store_b32 v76, v178
.LBB815_470:                            ;   in Loop: Header=BB815_392 Depth=2
	s_or_b32 exec_lo, exec_lo, s16
	v_add_nc_u32_e32 v179, v180, v179
	v_add_nc_u32_e32 v194, v195, v194
	;; [unrolled: 1-line block ×3, first 2 shown]
	v_add_lshl_u32 v69, v69, v2, 3
	v_add_nc_u32_e32 v2, v183, v182
	v_add_lshl_u32 v70, v179, v70, 3
	v_add_nc_u32_e32 v180, v186, v185
	v_add_nc_u32_e32 v182, v189, v188
	v_add_nc_u32_e32 v178, v222, v221
	v_add_nc_u32_e32 v202, v219, v218
	v_add_nc_u32_e32 v205, v216, v215
	v_add_nc_u32_e32 v208, v213, v212
	v_add_nc_u32_e32 v209, v210, v209
	v_add_nc_u32_e32 v206, v207, v206
	v_add_nc_u32_e32 v203, v204, v203
	v_add_nc_u32_e32 v200, v201, v200
	v_add_nc_u32_e32 v197, v198, v197
	ds_store_b64 v69, v[36:37] offset:1024
	v_add_lshl_u32 v71, v2, v71, 3
	ds_store_b64 v70, v[38:39] offset:1024
	v_add_lshl_u32 v38, v191, v225, 3
	v_add_lshl_u32 v39, v194, v224, 3
	;; [unrolled: 1-line block ×4, first 2 shown]
	ds_store_b64 v71, v[40:41] offset:1024
	ds_store_b64 v72, v[42:43] offset:1024
	;; [unrolled: 1-line block ×4, first 2 shown]
	v_add_lshl_u32 v40, v197, v199, 3
	v_add_lshl_u32 v41, v200, v196, 3
	;; [unrolled: 1-line block ×3, first 2 shown]
	ds_store_b64 v39, v[48:49] offset:1024
	v_add_lshl_u32 v43, v206, v190, 3
	v_add_lshl_u32 v44, v209, v187, 3
	v_add_lshl_u32 v45, v208, v184, 3
	v_add_lshl_u32 v46, v205, v181, 3
	v_add_lshl_u32 v47, v202, v75, 3
	v_add_lshl_u32 v48, v178, v74, 3
	v_cmp_lt_u32_e32 vcc_lo, v1, v177
	ds_store_b64 v40, v[50:51] offset:1024
	ds_store_b64 v41, v[52:53] offset:1024
	;; [unrolled: 1-line block ×9, first 2 shown]
	s_waitcnt lgkmcnt(0)
	s_barrier
	buffer_gl0_inv
	s_and_saveexec_b32 s17, vcc_lo
	s_cbranch_execz .LBB815_486
; %bb.471:                              ;   in Loop: Header=BB815_392 Depth=2
	v_add_nc_u32_e32 v2, v104, v76
	ds_load_b64 v[36:37], v2 offset:1024
	s_waitcnt lgkmcnt(0)
	v_lshrrev_b64 v[49:50], s41, v[36:37]
	v_xor_b32_e32 v37, 0x80000000, v37
	s_delay_alu instid0(VALU_DEP_2) | instskip(NEXT) | instid1(VALU_DEP_1)
	v_and_b32_e32 v2, s43, v49
	v_lshlrev_b32_e32 v2, 2, v2
	ds_load_b32 v2, v2
	s_waitcnt lgkmcnt(0)
	v_add_nc_u32_e32 v2, v2, v1
	s_delay_alu instid0(VALU_DEP_1) | instskip(NEXT) | instid1(VALU_DEP_1)
	v_lshlrev_b64 v[49:50], 3, v[2:3]
	v_add_co_u32 v49, s16, s48, v49
	s_delay_alu instid0(VALU_DEP_1) | instskip(SKIP_3) | instid1(VALU_DEP_1)
	v_add_co_ci_u32_e64 v50, s16, s49, v50, s16
	global_store_b64 v[49:50], v[36:37], off
	s_or_b32 exec_lo, exec_lo, s17
	v_cmp_lt_u32_e64 s16, v77, v177
	s_and_saveexec_b32 s18, s16
	s_cbranch_execnz .LBB815_487
.LBB815_472:                            ;   in Loop: Header=BB815_392 Depth=2
	s_or_b32 exec_lo, exec_lo, s18
	v_cmp_lt_u32_e64 s17, v78, v177
	s_delay_alu instid0(VALU_DEP_1)
	s_and_saveexec_b32 s19, s17
	s_cbranch_execz .LBB815_488
.LBB815_473:                            ;   in Loop: Header=BB815_392 Depth=2
	ds_load_b64 v[36:37], v110 offset:4096
	s_waitcnt lgkmcnt(0)
	v_lshrrev_b64 v[49:50], s41, v[36:37]
	v_xor_b32_e32 v37, 0x80000000, v37
	s_delay_alu instid0(VALU_DEP_2) | instskip(NEXT) | instid1(VALU_DEP_1)
	v_and_b32_e32 v2, s43, v49
	v_lshlrev_b32_e32 v2, 2, v2
	ds_load_b32 v2, v2
	s_waitcnt lgkmcnt(0)
	v_add_nc_u32_e32 v2, v2, v78
	s_delay_alu instid0(VALU_DEP_1) | instskip(NEXT) | instid1(VALU_DEP_1)
	v_lshlrev_b64 v[49:50], 3, v[2:3]
	v_add_co_u32 v49, s18, s48, v49
	s_delay_alu instid0(VALU_DEP_1) | instskip(SKIP_3) | instid1(VALU_DEP_1)
	v_add_co_ci_u32_e64 v50, s18, s49, v50, s18
	global_store_b64 v[49:50], v[36:37], off
	s_or_b32 exec_lo, exec_lo, s19
	v_cmp_lt_u32_e64 s18, v79, v177
	s_and_saveexec_b32 s20, s18
	s_cbranch_execnz .LBB815_489
.LBB815_474:                            ;   in Loop: Header=BB815_392 Depth=2
	s_or_b32 exec_lo, exec_lo, s20
	v_cmp_lt_u32_e64 s19, v83, v177
	s_delay_alu instid0(VALU_DEP_1)
	s_and_saveexec_b32 s21, s19
	s_cbranch_execz .LBB815_490
.LBB815_475:                            ;   in Loop: Header=BB815_392 Depth=2
	ds_load_b64 v[36:37], v110 offset:8192
	s_waitcnt lgkmcnt(0)
	v_lshrrev_b64 v[49:50], s41, v[36:37]
	v_xor_b32_e32 v37, 0x80000000, v37
	s_delay_alu instid0(VALU_DEP_2) | instskip(NEXT) | instid1(VALU_DEP_1)
	v_and_b32_e32 v2, s43, v49
	v_lshlrev_b32_e32 v2, 2, v2
	ds_load_b32 v2, v2
	s_waitcnt lgkmcnt(0)
	v_add_nc_u32_e32 v2, v2, v83
	s_delay_alu instid0(VALU_DEP_1) | instskip(NEXT) | instid1(VALU_DEP_1)
	v_lshlrev_b64 v[49:50], 3, v[2:3]
	v_add_co_u32 v49, s20, s48, v49
	s_delay_alu instid0(VALU_DEP_1) | instskip(SKIP_3) | instid1(VALU_DEP_1)
	v_add_co_ci_u32_e64 v50, s20, s49, v50, s20
	global_store_b64 v[49:50], v[36:37], off
	s_or_b32 exec_lo, exec_lo, s21
	v_cmp_lt_u32_e64 s20, v84, v177
	s_and_saveexec_b32 s22, s20
	s_cbranch_execnz .LBB815_491
.LBB815_476:                            ;   in Loop: Header=BB815_392 Depth=2
	s_or_b32 exec_lo, exec_lo, s22
	v_cmp_lt_u32_e64 s21, v85, v177
	s_delay_alu instid0(VALU_DEP_1)
	s_and_saveexec_b32 s23, s21
	s_cbranch_execz .LBB815_492
.LBB815_477:                            ;   in Loop: Header=BB815_392 Depth=2
	ds_load_b64 v[36:37], v110 offset:12288
	s_waitcnt lgkmcnt(0)
	v_lshrrev_b64 v[49:50], s41, v[36:37]
	v_xor_b32_e32 v37, 0x80000000, v37
	s_delay_alu instid0(VALU_DEP_2) | instskip(NEXT) | instid1(VALU_DEP_1)
	v_and_b32_e32 v2, s43, v49
	v_lshlrev_b32_e32 v2, 2, v2
	ds_load_b32 v2, v2
	s_waitcnt lgkmcnt(0)
	v_add_nc_u32_e32 v2, v2, v85
	s_delay_alu instid0(VALU_DEP_1) | instskip(NEXT) | instid1(VALU_DEP_1)
	v_lshlrev_b64 v[49:50], 3, v[2:3]
	v_add_co_u32 v49, s22, s48, v49
	s_delay_alu instid0(VALU_DEP_1) | instskip(SKIP_3) | instid1(VALU_DEP_1)
	v_add_co_ci_u32_e64 v50, s22, s49, v50, s22
	global_store_b64 v[49:50], v[36:37], off
	s_or_b32 exec_lo, exec_lo, s23
	v_cmp_lt_u32_e64 s22, v86, v177
	s_and_saveexec_b32 s24, s22
	s_cbranch_execnz .LBB815_493
.LBB815_478:                            ;   in Loop: Header=BB815_392 Depth=2
	s_or_b32 exec_lo, exec_lo, s24
	v_cmp_lt_u32_e64 s23, v87, v177
	s_delay_alu instid0(VALU_DEP_1)
	s_and_saveexec_b32 s25, s23
	s_cbranch_execz .LBB815_494
.LBB815_479:                            ;   in Loop: Header=BB815_392 Depth=2
	ds_load_b64 v[36:37], v110 offset:16384
	s_waitcnt lgkmcnt(0)
	v_lshrrev_b64 v[49:50], s41, v[36:37]
	v_xor_b32_e32 v37, 0x80000000, v37
	s_delay_alu instid0(VALU_DEP_2) | instskip(NEXT) | instid1(VALU_DEP_1)
	v_and_b32_e32 v2, s43, v49
	v_lshlrev_b32_e32 v2, 2, v2
	ds_load_b32 v2, v2
	s_waitcnt lgkmcnt(0)
	v_add_nc_u32_e32 v2, v2, v87
	s_delay_alu instid0(VALU_DEP_1) | instskip(NEXT) | instid1(VALU_DEP_1)
	v_lshlrev_b64 v[49:50], 3, v[2:3]
	v_add_co_u32 v49, s24, s48, v49
	s_delay_alu instid0(VALU_DEP_1) | instskip(SKIP_3) | instid1(VALU_DEP_1)
	v_add_co_ci_u32_e64 v50, s24, s49, v50, s24
	global_store_b64 v[49:50], v[36:37], off
	s_or_b32 exec_lo, exec_lo, s25
	v_cmp_lt_u32_e64 s24, v88, v177
	s_and_saveexec_b32 s26, s24
	s_cbranch_execnz .LBB815_495
.LBB815_480:                            ;   in Loop: Header=BB815_392 Depth=2
	s_or_b32 exec_lo, exec_lo, s26
	v_cmp_lt_u32_e64 s25, v89, v177
	s_delay_alu instid0(VALU_DEP_1)
	s_and_saveexec_b32 s27, s25
	s_cbranch_execz .LBB815_496
.LBB815_481:                            ;   in Loop: Header=BB815_392 Depth=2
	ds_load_b64 v[36:37], v110 offset:20480
	s_waitcnt lgkmcnt(0)
	v_lshrrev_b64 v[49:50], s41, v[36:37]
	v_xor_b32_e32 v37, 0x80000000, v37
	s_delay_alu instid0(VALU_DEP_2) | instskip(NEXT) | instid1(VALU_DEP_1)
	v_and_b32_e32 v2, s43, v49
	v_lshlrev_b32_e32 v2, 2, v2
	ds_load_b32 v2, v2
	s_waitcnt lgkmcnt(0)
	v_add_nc_u32_e32 v2, v2, v89
	s_delay_alu instid0(VALU_DEP_1) | instskip(NEXT) | instid1(VALU_DEP_1)
	v_lshlrev_b64 v[49:50], 3, v[2:3]
	v_add_co_u32 v49, s26, s48, v49
	s_delay_alu instid0(VALU_DEP_1) | instskip(SKIP_3) | instid1(VALU_DEP_1)
	v_add_co_ci_u32_e64 v50, s26, s49, v50, s26
	global_store_b64 v[49:50], v[36:37], off
	s_or_b32 exec_lo, exec_lo, s27
	v_cmp_lt_u32_e64 s26, v90, v177
	s_and_saveexec_b32 s29, s26
	s_cbranch_execnz .LBB815_497
.LBB815_482:                            ;   in Loop: Header=BB815_392 Depth=2
	s_or_b32 exec_lo, exec_lo, s29
	v_cmp_lt_u32_e64 s27, v91, v177
	s_delay_alu instid0(VALU_DEP_1)
	s_and_saveexec_b32 s30, s27
	s_cbranch_execz .LBB815_498
.LBB815_483:                            ;   in Loop: Header=BB815_392 Depth=2
	ds_load_b64 v[36:37], v110 offset:24576
	s_waitcnt lgkmcnt(0)
	v_lshrrev_b64 v[49:50], s41, v[36:37]
	v_xor_b32_e32 v37, 0x80000000, v37
	s_delay_alu instid0(VALU_DEP_2) | instskip(NEXT) | instid1(VALU_DEP_1)
	v_and_b32_e32 v2, s43, v49
	v_lshlrev_b32_e32 v2, 2, v2
	ds_load_b32 v2, v2
	s_waitcnt lgkmcnt(0)
	v_add_nc_u32_e32 v2, v2, v91
	s_delay_alu instid0(VALU_DEP_1) | instskip(NEXT) | instid1(VALU_DEP_1)
	v_lshlrev_b64 v[49:50], 3, v[2:3]
	v_add_co_u32 v49, s29, s48, v49
	s_delay_alu instid0(VALU_DEP_1) | instskip(SKIP_3) | instid1(VALU_DEP_1)
	v_add_co_ci_u32_e64 v50, s29, s49, v50, s29
	global_store_b64 v[49:50], v[36:37], off
	s_or_b32 exec_lo, exec_lo, s30
	v_cmp_lt_u32_e64 s29, v92, v177
	s_and_saveexec_b32 s31, s29
	s_cbranch_execnz .LBB815_499
.LBB815_484:                            ;   in Loop: Header=BB815_392 Depth=2
	s_or_b32 exec_lo, exec_lo, s31
	v_cmp_lt_u32_e64 s30, v93, v177
	s_delay_alu instid0(VALU_DEP_1)
	s_and_saveexec_b32 s33, s30
	s_cbranch_execz .LBB815_500
.LBB815_485:                            ;   in Loop: Header=BB815_392 Depth=2
	ds_load_b64 v[36:37], v110 offset:28672
	s_waitcnt lgkmcnt(0)
	v_lshrrev_b64 v[49:50], s41, v[36:37]
	v_xor_b32_e32 v37, 0x80000000, v37
	s_delay_alu instid0(VALU_DEP_2) | instskip(NEXT) | instid1(VALU_DEP_1)
	v_and_b32_e32 v2, s43, v49
	v_lshlrev_b32_e32 v2, 2, v2
	ds_load_b32 v2, v2
	s_waitcnt lgkmcnt(0)
	v_add_nc_u32_e32 v2, v2, v93
	s_delay_alu instid0(VALU_DEP_1) | instskip(NEXT) | instid1(VALU_DEP_1)
	v_lshlrev_b64 v[49:50], 3, v[2:3]
	v_add_co_u32 v49, s31, s48, v49
	s_delay_alu instid0(VALU_DEP_1) | instskip(SKIP_3) | instid1(VALU_DEP_1)
	v_add_co_ci_u32_e64 v50, s31, s49, v50, s31
	global_store_b64 v[49:50], v[36:37], off
	s_or_b32 exec_lo, exec_lo, s33
	v_cmp_lt_u32_e64 s31, v95, v177
	s_and_saveexec_b32 s56, s31
	s_cbranch_execnz .LBB815_501
	s_branch .LBB815_502
.LBB815_486:                            ;   in Loop: Header=BB815_392 Depth=2
	s_or_b32 exec_lo, exec_lo, s17
	v_cmp_lt_u32_e64 s16, v77, v177
	s_delay_alu instid0(VALU_DEP_1)
	s_and_saveexec_b32 s18, s16
	s_cbranch_execz .LBB815_472
.LBB815_487:                            ;   in Loop: Header=BB815_392 Depth=2
	ds_load_b64 v[36:37], v110 offset:2048
	s_waitcnt lgkmcnt(0)
	v_lshrrev_b64 v[49:50], s41, v[36:37]
	v_xor_b32_e32 v37, 0x80000000, v37
	s_delay_alu instid0(VALU_DEP_2) | instskip(NEXT) | instid1(VALU_DEP_1)
	v_and_b32_e32 v2, s43, v49
	v_lshlrev_b32_e32 v2, 2, v2
	ds_load_b32 v2, v2
	s_waitcnt lgkmcnt(0)
	v_add_nc_u32_e32 v2, v2, v77
	s_delay_alu instid0(VALU_DEP_1) | instskip(NEXT) | instid1(VALU_DEP_1)
	v_lshlrev_b64 v[49:50], 3, v[2:3]
	v_add_co_u32 v49, s17, s48, v49
	s_delay_alu instid0(VALU_DEP_1) | instskip(SKIP_3) | instid1(VALU_DEP_1)
	v_add_co_ci_u32_e64 v50, s17, s49, v50, s17
	global_store_b64 v[49:50], v[36:37], off
	s_or_b32 exec_lo, exec_lo, s18
	v_cmp_lt_u32_e64 s17, v78, v177
	s_and_saveexec_b32 s19, s17
	s_cbranch_execnz .LBB815_473
.LBB815_488:                            ;   in Loop: Header=BB815_392 Depth=2
	s_or_b32 exec_lo, exec_lo, s19
	v_cmp_lt_u32_e64 s18, v79, v177
	s_delay_alu instid0(VALU_DEP_1)
	s_and_saveexec_b32 s20, s18
	s_cbranch_execz .LBB815_474
.LBB815_489:                            ;   in Loop: Header=BB815_392 Depth=2
	ds_load_b64 v[36:37], v110 offset:6144
	s_waitcnt lgkmcnt(0)
	v_lshrrev_b64 v[49:50], s41, v[36:37]
	v_xor_b32_e32 v37, 0x80000000, v37
	s_delay_alu instid0(VALU_DEP_2) | instskip(NEXT) | instid1(VALU_DEP_1)
	v_and_b32_e32 v2, s43, v49
	v_lshlrev_b32_e32 v2, 2, v2
	ds_load_b32 v2, v2
	s_waitcnt lgkmcnt(0)
	v_add_nc_u32_e32 v2, v2, v79
	s_delay_alu instid0(VALU_DEP_1) | instskip(NEXT) | instid1(VALU_DEP_1)
	v_lshlrev_b64 v[49:50], 3, v[2:3]
	v_add_co_u32 v49, s19, s48, v49
	s_delay_alu instid0(VALU_DEP_1) | instskip(SKIP_3) | instid1(VALU_DEP_1)
	v_add_co_ci_u32_e64 v50, s19, s49, v50, s19
	global_store_b64 v[49:50], v[36:37], off
	s_or_b32 exec_lo, exec_lo, s20
	v_cmp_lt_u32_e64 s19, v83, v177
	s_and_saveexec_b32 s21, s19
	s_cbranch_execnz .LBB815_475
.LBB815_490:                            ;   in Loop: Header=BB815_392 Depth=2
	s_or_b32 exec_lo, exec_lo, s21
	v_cmp_lt_u32_e64 s20, v84, v177
	s_delay_alu instid0(VALU_DEP_1)
	s_and_saveexec_b32 s22, s20
	s_cbranch_execz .LBB815_476
.LBB815_491:                            ;   in Loop: Header=BB815_392 Depth=2
	ds_load_b64 v[36:37], v110 offset:10240
	s_waitcnt lgkmcnt(0)
	v_lshrrev_b64 v[49:50], s41, v[36:37]
	v_xor_b32_e32 v37, 0x80000000, v37
	s_delay_alu instid0(VALU_DEP_2) | instskip(NEXT) | instid1(VALU_DEP_1)
	v_and_b32_e32 v2, s43, v49
	v_lshlrev_b32_e32 v2, 2, v2
	ds_load_b32 v2, v2
	s_waitcnt lgkmcnt(0)
	v_add_nc_u32_e32 v2, v2, v84
	s_delay_alu instid0(VALU_DEP_1) | instskip(NEXT) | instid1(VALU_DEP_1)
	v_lshlrev_b64 v[49:50], 3, v[2:3]
	v_add_co_u32 v49, s21, s48, v49
	s_delay_alu instid0(VALU_DEP_1) | instskip(SKIP_3) | instid1(VALU_DEP_1)
	v_add_co_ci_u32_e64 v50, s21, s49, v50, s21
	global_store_b64 v[49:50], v[36:37], off
	s_or_b32 exec_lo, exec_lo, s22
	v_cmp_lt_u32_e64 s21, v85, v177
	s_and_saveexec_b32 s23, s21
	s_cbranch_execnz .LBB815_477
.LBB815_492:                            ;   in Loop: Header=BB815_392 Depth=2
	s_or_b32 exec_lo, exec_lo, s23
	v_cmp_lt_u32_e64 s22, v86, v177
	s_delay_alu instid0(VALU_DEP_1)
	s_and_saveexec_b32 s24, s22
	s_cbranch_execz .LBB815_478
.LBB815_493:                            ;   in Loop: Header=BB815_392 Depth=2
	ds_load_b64 v[36:37], v110 offset:14336
	s_waitcnt lgkmcnt(0)
	v_lshrrev_b64 v[49:50], s41, v[36:37]
	v_xor_b32_e32 v37, 0x80000000, v37
	s_delay_alu instid0(VALU_DEP_2) | instskip(NEXT) | instid1(VALU_DEP_1)
	v_and_b32_e32 v2, s43, v49
	v_lshlrev_b32_e32 v2, 2, v2
	ds_load_b32 v2, v2
	s_waitcnt lgkmcnt(0)
	v_add_nc_u32_e32 v2, v2, v86
	s_delay_alu instid0(VALU_DEP_1) | instskip(NEXT) | instid1(VALU_DEP_1)
	v_lshlrev_b64 v[49:50], 3, v[2:3]
	v_add_co_u32 v49, s23, s48, v49
	s_delay_alu instid0(VALU_DEP_1) | instskip(SKIP_3) | instid1(VALU_DEP_1)
	v_add_co_ci_u32_e64 v50, s23, s49, v50, s23
	global_store_b64 v[49:50], v[36:37], off
	s_or_b32 exec_lo, exec_lo, s24
	v_cmp_lt_u32_e64 s23, v87, v177
	s_and_saveexec_b32 s25, s23
	s_cbranch_execnz .LBB815_479
.LBB815_494:                            ;   in Loop: Header=BB815_392 Depth=2
	s_or_b32 exec_lo, exec_lo, s25
	v_cmp_lt_u32_e64 s24, v88, v177
	s_delay_alu instid0(VALU_DEP_1)
	s_and_saveexec_b32 s26, s24
	s_cbranch_execz .LBB815_480
.LBB815_495:                            ;   in Loop: Header=BB815_392 Depth=2
	ds_load_b64 v[36:37], v110 offset:18432
	s_waitcnt lgkmcnt(0)
	v_lshrrev_b64 v[49:50], s41, v[36:37]
	v_xor_b32_e32 v37, 0x80000000, v37
	s_delay_alu instid0(VALU_DEP_2) | instskip(NEXT) | instid1(VALU_DEP_1)
	v_and_b32_e32 v2, s43, v49
	v_lshlrev_b32_e32 v2, 2, v2
	ds_load_b32 v2, v2
	s_waitcnt lgkmcnt(0)
	v_add_nc_u32_e32 v2, v2, v88
	s_delay_alu instid0(VALU_DEP_1) | instskip(NEXT) | instid1(VALU_DEP_1)
	v_lshlrev_b64 v[49:50], 3, v[2:3]
	v_add_co_u32 v49, s25, s48, v49
	s_delay_alu instid0(VALU_DEP_1) | instskip(SKIP_3) | instid1(VALU_DEP_1)
	v_add_co_ci_u32_e64 v50, s25, s49, v50, s25
	global_store_b64 v[49:50], v[36:37], off
	s_or_b32 exec_lo, exec_lo, s26
	v_cmp_lt_u32_e64 s25, v89, v177
	s_and_saveexec_b32 s27, s25
	s_cbranch_execnz .LBB815_481
.LBB815_496:                            ;   in Loop: Header=BB815_392 Depth=2
	s_or_b32 exec_lo, exec_lo, s27
	v_cmp_lt_u32_e64 s26, v90, v177
	s_delay_alu instid0(VALU_DEP_1)
	s_and_saveexec_b32 s29, s26
	s_cbranch_execz .LBB815_482
.LBB815_497:                            ;   in Loop: Header=BB815_392 Depth=2
	ds_load_b64 v[36:37], v110 offset:22528
	s_waitcnt lgkmcnt(0)
	v_lshrrev_b64 v[49:50], s41, v[36:37]
	v_xor_b32_e32 v37, 0x80000000, v37
	s_delay_alu instid0(VALU_DEP_2) | instskip(NEXT) | instid1(VALU_DEP_1)
	v_and_b32_e32 v2, s43, v49
	v_lshlrev_b32_e32 v2, 2, v2
	ds_load_b32 v2, v2
	s_waitcnt lgkmcnt(0)
	v_add_nc_u32_e32 v2, v2, v90
	s_delay_alu instid0(VALU_DEP_1) | instskip(NEXT) | instid1(VALU_DEP_1)
	v_lshlrev_b64 v[49:50], 3, v[2:3]
	v_add_co_u32 v49, s27, s48, v49
	s_delay_alu instid0(VALU_DEP_1) | instskip(SKIP_3) | instid1(VALU_DEP_1)
	v_add_co_ci_u32_e64 v50, s27, s49, v50, s27
	global_store_b64 v[49:50], v[36:37], off
	s_or_b32 exec_lo, exec_lo, s29
	v_cmp_lt_u32_e64 s27, v91, v177
	s_and_saveexec_b32 s30, s27
	s_cbranch_execnz .LBB815_483
.LBB815_498:                            ;   in Loop: Header=BB815_392 Depth=2
	s_or_b32 exec_lo, exec_lo, s30
	v_cmp_lt_u32_e64 s29, v92, v177
	s_delay_alu instid0(VALU_DEP_1)
	s_and_saveexec_b32 s31, s29
	s_cbranch_execz .LBB815_484
.LBB815_499:                            ;   in Loop: Header=BB815_392 Depth=2
	ds_load_b64 v[36:37], v110 offset:26624
	s_waitcnt lgkmcnt(0)
	v_lshrrev_b64 v[49:50], s41, v[36:37]
	v_xor_b32_e32 v37, 0x80000000, v37
	s_delay_alu instid0(VALU_DEP_2) | instskip(NEXT) | instid1(VALU_DEP_1)
	v_and_b32_e32 v2, s43, v49
	v_lshlrev_b32_e32 v2, 2, v2
	ds_load_b32 v2, v2
	s_waitcnt lgkmcnt(0)
	v_add_nc_u32_e32 v2, v2, v92
	s_delay_alu instid0(VALU_DEP_1) | instskip(NEXT) | instid1(VALU_DEP_1)
	v_lshlrev_b64 v[49:50], 3, v[2:3]
	v_add_co_u32 v49, s30, s48, v49
	s_delay_alu instid0(VALU_DEP_1) | instskip(SKIP_3) | instid1(VALU_DEP_1)
	v_add_co_ci_u32_e64 v50, s30, s49, v50, s30
	global_store_b64 v[49:50], v[36:37], off
	s_or_b32 exec_lo, exec_lo, s31
	v_cmp_lt_u32_e64 s30, v93, v177
	s_and_saveexec_b32 s33, s30
	s_cbranch_execnz .LBB815_485
.LBB815_500:                            ;   in Loop: Header=BB815_392 Depth=2
	s_or_b32 exec_lo, exec_lo, s33
	v_cmp_lt_u32_e64 s31, v95, v177
	s_delay_alu instid0(VALU_DEP_1)
	s_and_saveexec_b32 s56, s31
	s_cbranch_execz .LBB815_502
.LBB815_501:                            ;   in Loop: Header=BB815_392 Depth=2
	ds_load_b64 v[36:37], v110 offset:30720
	s_waitcnt lgkmcnt(0)
	v_lshrrev_b64 v[49:50], s41, v[36:37]
	v_xor_b32_e32 v37, 0x80000000, v37
	s_delay_alu instid0(VALU_DEP_2) | instskip(NEXT) | instid1(VALU_DEP_1)
	v_and_b32_e32 v2, s43, v49
	v_lshlrev_b32_e32 v2, 2, v2
	ds_load_b32 v2, v2
	s_waitcnt lgkmcnt(0)
	v_add_nc_u32_e32 v2, v2, v95
	s_delay_alu instid0(VALU_DEP_1) | instskip(NEXT) | instid1(VALU_DEP_1)
	v_lshlrev_b64 v[49:50], 3, v[2:3]
	v_add_co_u32 v49, s33, s48, v49
	s_delay_alu instid0(VALU_DEP_1)
	v_add_co_ci_u32_e64 v50, s33, s49, v50, s33
	global_store_b64 v[49:50], v[36:37], off
.LBB815_502:                            ;   in Loop: Header=BB815_392 Depth=2
	s_or_b32 exec_lo, exec_lo, s56
	s_lshl_b64 s[64:65], s[34:35], 3
	s_delay_alu instid0(SALU_CYCLE_1) | instskip(NEXT) | instid1(VALU_DEP_1)
	v_add_co_u32 v36, s33, v139, s64
	v_add_co_ci_u32_e64 v37, s33, s65, v140, s33
	v_cmp_lt_u32_e64 s33, v138, v177
	s_delay_alu instid0(VALU_DEP_1) | instskip(NEXT) | instid1(SALU_CYCLE_1)
	s_and_saveexec_b32 s34, s33
	s_xor_b32 s33, exec_lo, s34
	s_cbranch_execz .LBB815_534
; %bb.503:                              ;   in Loop: Header=BB815_392 Depth=2
	global_load_b64 v[34:35], v[36:37], off
	s_or_b32 exec_lo, exec_lo, s33
	s_delay_alu instid0(SALU_CYCLE_1)
	s_mov_b32 s34, exec_lo
	v_cmpx_lt_u32_e64 v141, v177
	s_cbranch_execnz .LBB815_535
.LBB815_504:                            ;   in Loop: Header=BB815_392 Depth=2
	s_or_b32 exec_lo, exec_lo, s34
	s_delay_alu instid0(SALU_CYCLE_1)
	s_mov_b32 s34, exec_lo
	v_cmpx_lt_u32_e64 v142, v177
	s_cbranch_execz .LBB815_536
.LBB815_505:                            ;   in Loop: Header=BB815_392 Depth=2
	global_load_b64 v[30:31], v[36:37], off offset:512
	s_or_b32 exec_lo, exec_lo, s34
	s_delay_alu instid0(SALU_CYCLE_1)
	s_mov_b32 s34, exec_lo
	v_cmpx_lt_u32_e64 v143, v177
	s_cbranch_execnz .LBB815_537
.LBB815_506:                            ;   in Loop: Header=BB815_392 Depth=2
	s_or_b32 exec_lo, exec_lo, s34
	s_delay_alu instid0(SALU_CYCLE_1)
	s_mov_b32 s34, exec_lo
	v_cmpx_lt_u32_e64 v144, v177
	s_cbranch_execz .LBB815_538
.LBB815_507:                            ;   in Loop: Header=BB815_392 Depth=2
	global_load_b64 v[26:27], v[36:37], off offset:1024
	s_or_b32 exec_lo, exec_lo, s34
	s_delay_alu instid0(SALU_CYCLE_1)
	s_mov_b32 s34, exec_lo
	v_cmpx_lt_u32_e64 v145, v177
	s_cbranch_execnz .LBB815_539
.LBB815_508:                            ;   in Loop: Header=BB815_392 Depth=2
	s_or_b32 exec_lo, exec_lo, s34
	s_delay_alu instid0(SALU_CYCLE_1)
	s_mov_b32 s34, exec_lo
	v_cmpx_lt_u32_e64 v146, v177
	s_cbranch_execz .LBB815_540
.LBB815_509:                            ;   in Loop: Header=BB815_392 Depth=2
	global_load_b64 v[22:23], v[36:37], off offset:1536
	s_or_b32 exec_lo, exec_lo, s34
	s_delay_alu instid0(SALU_CYCLE_1)
	s_mov_b32 s34, exec_lo
	v_cmpx_lt_u32_e64 v147, v177
	s_cbranch_execnz .LBB815_541
.LBB815_510:                            ;   in Loop: Header=BB815_392 Depth=2
	s_or_b32 exec_lo, exec_lo, s34
	s_delay_alu instid0(SALU_CYCLE_1)
	s_mov_b32 s34, exec_lo
	v_cmpx_lt_u32_e64 v148, v177
	s_cbranch_execz .LBB815_542
.LBB815_511:                            ;   in Loop: Header=BB815_392 Depth=2
	global_load_b64 v[18:19], v[36:37], off offset:2048
	s_or_b32 exec_lo, exec_lo, s34
	s_delay_alu instid0(SALU_CYCLE_1)
	s_mov_b32 s34, exec_lo
	v_cmpx_lt_u32_e64 v149, v177
	s_cbranch_execnz .LBB815_543
.LBB815_512:                            ;   in Loop: Header=BB815_392 Depth=2
	s_or_b32 exec_lo, exec_lo, s34
	s_delay_alu instid0(SALU_CYCLE_1)
	s_mov_b32 s34, exec_lo
	v_cmpx_lt_u32_e64 v150, v177
	s_cbranch_execz .LBB815_544
.LBB815_513:                            ;   in Loop: Header=BB815_392 Depth=2
	global_load_b64 v[14:15], v[36:37], off offset:2560
	s_or_b32 exec_lo, exec_lo, s34
	s_delay_alu instid0(SALU_CYCLE_1)
	s_mov_b32 s34, exec_lo
	v_cmpx_lt_u32_e64 v151, v177
	s_cbranch_execnz .LBB815_545
.LBB815_514:                            ;   in Loop: Header=BB815_392 Depth=2
	s_or_b32 exec_lo, exec_lo, s34
	s_delay_alu instid0(SALU_CYCLE_1)
	s_mov_b32 s34, exec_lo
	v_cmpx_lt_u32_e64 v152, v177
	s_cbranch_execz .LBB815_546
.LBB815_515:                            ;   in Loop: Header=BB815_392 Depth=2
	global_load_b64 v[10:11], v[36:37], off offset:3072
	s_or_b32 exec_lo, exec_lo, s34
	s_delay_alu instid0(SALU_CYCLE_1)
	s_mov_b32 s34, exec_lo
	v_cmpx_lt_u32_e64 v153, v177
	s_cbranch_execnz .LBB815_547
.LBB815_516:                            ;   in Loop: Header=BB815_392 Depth=2
	s_or_b32 exec_lo, exec_lo, s34
	s_delay_alu instid0(SALU_CYCLE_1)
	s_mov_b32 s34, exec_lo
	v_cmpx_lt_u32_e64 v154, v177
	s_cbranch_execz .LBB815_548
.LBB815_517:                            ;   in Loop: Header=BB815_392 Depth=2
	global_load_b64 v[6:7], v[36:37], off offset:3584
	s_or_b32 exec_lo, exec_lo, s34
	s_delay_alu instid0(SALU_CYCLE_1)
	s_mov_b32 s34, exec_lo
	v_cmpx_lt_u32_e64 v155, v177
	s_cbranch_execnz .LBB815_549
.LBB815_518:                            ;   in Loop: Header=BB815_392 Depth=2
	s_or_b32 exec_lo, exec_lo, s34
	s_and_saveexec_b32 s33, vcc_lo
	s_cbranch_execz .LBB815_550
.LBB815_519:                            ;   in Loop: Header=BB815_392 Depth=2
	v_add_nc_u32_e32 v2, v104, v76
	ds_load_b64 v[36:37], v2 offset:1024
	s_waitcnt lgkmcnt(0)
	v_lshrrev_b64 v[36:37], s41, v[36:37]
	s_delay_alu instid0(VALU_DEP_1)
	v_and_b32_e32 v176, s43, v36
	s_or_b32 exec_lo, exec_lo, s33
	s_and_saveexec_b32 s33, s16
	s_cbranch_execnz .LBB815_551
.LBB815_520:                            ;   in Loop: Header=BB815_392 Depth=2
	s_or_b32 exec_lo, exec_lo, s33
	s_and_saveexec_b32 s33, s17
	s_cbranch_execz .LBB815_552
.LBB815_521:                            ;   in Loop: Header=BB815_392 Depth=2
	ds_load_b64 v[36:37], v110 offset:4096
	s_waitcnt lgkmcnt(0)
	v_lshrrev_b64 v[36:37], s41, v[36:37]
	s_delay_alu instid0(VALU_DEP_1)
	v_and_b32_e32 v174, s43, v36
	s_or_b32 exec_lo, exec_lo, s33
	s_and_saveexec_b32 s33, s18
	s_cbranch_execnz .LBB815_553
.LBB815_522:                            ;   in Loop: Header=BB815_392 Depth=2
	s_or_b32 exec_lo, exec_lo, s33
	s_and_saveexec_b32 s33, s19
	s_cbranch_execz .LBB815_554
.LBB815_523:                            ;   in Loop: Header=BB815_392 Depth=2
	ds_load_b64 v[36:37], v110 offset:8192
	s_waitcnt lgkmcnt(0)
	v_lshrrev_b64 v[36:37], s41, v[36:37]
	s_delay_alu instid0(VALU_DEP_1)
	v_and_b32_e32 v172, s43, v36
	s_or_b32 exec_lo, exec_lo, s33
	s_and_saveexec_b32 s33, s20
	s_cbranch_execnz .LBB815_555
.LBB815_524:                            ;   in Loop: Header=BB815_392 Depth=2
	s_or_b32 exec_lo, exec_lo, s33
	s_and_saveexec_b32 s33, s21
	s_cbranch_execz .LBB815_556
.LBB815_525:                            ;   in Loop: Header=BB815_392 Depth=2
	ds_load_b64 v[36:37], v110 offset:12288
	s_waitcnt lgkmcnt(0)
	v_lshrrev_b64 v[36:37], s41, v[36:37]
	s_delay_alu instid0(VALU_DEP_1)
	v_and_b32_e32 v170, s43, v36
	s_or_b32 exec_lo, exec_lo, s33
	s_and_saveexec_b32 s33, s22
	s_cbranch_execnz .LBB815_557
.LBB815_526:                            ;   in Loop: Header=BB815_392 Depth=2
	s_or_b32 exec_lo, exec_lo, s33
	s_and_saveexec_b32 s33, s23
	s_cbranch_execz .LBB815_558
.LBB815_527:                            ;   in Loop: Header=BB815_392 Depth=2
	ds_load_b64 v[36:37], v110 offset:16384
	s_waitcnt lgkmcnt(0)
	v_lshrrev_b64 v[36:37], s41, v[36:37]
	s_delay_alu instid0(VALU_DEP_1)
	v_and_b32_e32 v168, s43, v36
	s_or_b32 exec_lo, exec_lo, s33
	s_and_saveexec_b32 s33, s24
	s_cbranch_execnz .LBB815_559
.LBB815_528:                            ;   in Loop: Header=BB815_392 Depth=2
	s_or_b32 exec_lo, exec_lo, s33
	s_and_saveexec_b32 s33, s25
	s_cbranch_execz .LBB815_560
.LBB815_529:                            ;   in Loop: Header=BB815_392 Depth=2
	ds_load_b64 v[36:37], v110 offset:20480
	s_waitcnt lgkmcnt(0)
	v_lshrrev_b64 v[36:37], s41, v[36:37]
	s_delay_alu instid0(VALU_DEP_1)
	v_and_b32_e32 v166, s43, v36
	s_or_b32 exec_lo, exec_lo, s33
	s_and_saveexec_b32 s33, s26
	s_cbranch_execnz .LBB815_561
.LBB815_530:                            ;   in Loop: Header=BB815_392 Depth=2
	s_or_b32 exec_lo, exec_lo, s33
	s_and_saveexec_b32 s33, s27
	s_cbranch_execz .LBB815_562
.LBB815_531:                            ;   in Loop: Header=BB815_392 Depth=2
	ds_load_b64 v[36:37], v110 offset:24576
	s_waitcnt lgkmcnt(0)
	v_lshrrev_b64 v[36:37], s41, v[36:37]
	s_delay_alu instid0(VALU_DEP_1)
	v_and_b32_e32 v164, s43, v36
	s_or_b32 exec_lo, exec_lo, s33
	s_and_saveexec_b32 s33, s29
	s_cbranch_execnz .LBB815_563
.LBB815_532:                            ;   in Loop: Header=BB815_392 Depth=2
	s_or_b32 exec_lo, exec_lo, s33
	s_and_saveexec_b32 s33, s30
	s_cbranch_execz .LBB815_564
.LBB815_533:                            ;   in Loop: Header=BB815_392 Depth=2
	ds_load_b64 v[36:37], v110 offset:28672
	s_waitcnt lgkmcnt(0)
	v_lshrrev_b64 v[36:37], s41, v[36:37]
	s_delay_alu instid0(VALU_DEP_1)
	v_and_b32_e32 v162, s43, v36
	s_or_b32 exec_lo, exec_lo, s33
	s_and_saveexec_b32 s33, s31
	s_cbranch_execnz .LBB815_565
	s_branch .LBB815_566
.LBB815_534:                            ;   in Loop: Header=BB815_392 Depth=2
	s_or_b32 exec_lo, exec_lo, s33
	s_delay_alu instid0(SALU_CYCLE_1)
	s_mov_b32 s34, exec_lo
	v_cmpx_lt_u32_e64 v141, v177
	s_cbranch_execz .LBB815_504
.LBB815_535:                            ;   in Loop: Header=BB815_392 Depth=2
	global_load_b64 v[32:33], v[36:37], off offset:256
	s_or_b32 exec_lo, exec_lo, s34
	s_delay_alu instid0(SALU_CYCLE_1)
	s_mov_b32 s34, exec_lo
	v_cmpx_lt_u32_e64 v142, v177
	s_cbranch_execnz .LBB815_505
.LBB815_536:                            ;   in Loop: Header=BB815_392 Depth=2
	s_or_b32 exec_lo, exec_lo, s34
	s_delay_alu instid0(SALU_CYCLE_1)
	s_mov_b32 s34, exec_lo
	v_cmpx_lt_u32_e64 v143, v177
	s_cbranch_execz .LBB815_506
.LBB815_537:                            ;   in Loop: Header=BB815_392 Depth=2
	global_load_b64 v[28:29], v[36:37], off offset:768
	s_or_b32 exec_lo, exec_lo, s34
	s_delay_alu instid0(SALU_CYCLE_1)
	s_mov_b32 s34, exec_lo
	v_cmpx_lt_u32_e64 v144, v177
	s_cbranch_execnz .LBB815_507
.LBB815_538:                            ;   in Loop: Header=BB815_392 Depth=2
	s_or_b32 exec_lo, exec_lo, s34
	s_delay_alu instid0(SALU_CYCLE_1)
	s_mov_b32 s34, exec_lo
	v_cmpx_lt_u32_e64 v145, v177
	s_cbranch_execz .LBB815_508
.LBB815_539:                            ;   in Loop: Header=BB815_392 Depth=2
	global_load_b64 v[24:25], v[36:37], off offset:1280
	s_or_b32 exec_lo, exec_lo, s34
	s_delay_alu instid0(SALU_CYCLE_1)
	s_mov_b32 s34, exec_lo
	v_cmpx_lt_u32_e64 v146, v177
	s_cbranch_execnz .LBB815_509
.LBB815_540:                            ;   in Loop: Header=BB815_392 Depth=2
	s_or_b32 exec_lo, exec_lo, s34
	s_delay_alu instid0(SALU_CYCLE_1)
	s_mov_b32 s34, exec_lo
	v_cmpx_lt_u32_e64 v147, v177
	s_cbranch_execz .LBB815_510
.LBB815_541:                            ;   in Loop: Header=BB815_392 Depth=2
	global_load_b64 v[20:21], v[36:37], off offset:1792
	s_or_b32 exec_lo, exec_lo, s34
	s_delay_alu instid0(SALU_CYCLE_1)
	s_mov_b32 s34, exec_lo
	v_cmpx_lt_u32_e64 v148, v177
	s_cbranch_execnz .LBB815_511
.LBB815_542:                            ;   in Loop: Header=BB815_392 Depth=2
	s_or_b32 exec_lo, exec_lo, s34
	s_delay_alu instid0(SALU_CYCLE_1)
	s_mov_b32 s34, exec_lo
	v_cmpx_lt_u32_e64 v149, v177
	s_cbranch_execz .LBB815_512
.LBB815_543:                            ;   in Loop: Header=BB815_392 Depth=2
	global_load_b64 v[16:17], v[36:37], off offset:2304
	s_or_b32 exec_lo, exec_lo, s34
	s_delay_alu instid0(SALU_CYCLE_1)
	s_mov_b32 s34, exec_lo
	v_cmpx_lt_u32_e64 v150, v177
	s_cbranch_execnz .LBB815_513
.LBB815_544:                            ;   in Loop: Header=BB815_392 Depth=2
	s_or_b32 exec_lo, exec_lo, s34
	s_delay_alu instid0(SALU_CYCLE_1)
	s_mov_b32 s34, exec_lo
	v_cmpx_lt_u32_e64 v151, v177
	s_cbranch_execz .LBB815_514
.LBB815_545:                            ;   in Loop: Header=BB815_392 Depth=2
	global_load_b64 v[12:13], v[36:37], off offset:2816
	s_or_b32 exec_lo, exec_lo, s34
	s_delay_alu instid0(SALU_CYCLE_1)
	s_mov_b32 s34, exec_lo
	v_cmpx_lt_u32_e64 v152, v177
	s_cbranch_execnz .LBB815_515
.LBB815_546:                            ;   in Loop: Header=BB815_392 Depth=2
	s_or_b32 exec_lo, exec_lo, s34
	s_delay_alu instid0(SALU_CYCLE_1)
	s_mov_b32 s34, exec_lo
	v_cmpx_lt_u32_e64 v153, v177
	s_cbranch_execz .LBB815_516
.LBB815_547:                            ;   in Loop: Header=BB815_392 Depth=2
	global_load_b64 v[8:9], v[36:37], off offset:3328
	s_or_b32 exec_lo, exec_lo, s34
	s_delay_alu instid0(SALU_CYCLE_1)
	s_mov_b32 s34, exec_lo
	v_cmpx_lt_u32_e64 v154, v177
	s_cbranch_execnz .LBB815_517
.LBB815_548:                            ;   in Loop: Header=BB815_392 Depth=2
	s_or_b32 exec_lo, exec_lo, s34
	s_delay_alu instid0(SALU_CYCLE_1)
	s_mov_b32 s34, exec_lo
	v_cmpx_lt_u32_e64 v155, v177
	s_cbranch_execz .LBB815_518
.LBB815_549:                            ;   in Loop: Header=BB815_392 Depth=2
	global_load_b64 v[4:5], v[36:37], off offset:3840
	s_or_b32 exec_lo, exec_lo, s34
	s_and_saveexec_b32 s33, vcc_lo
	s_cbranch_execnz .LBB815_519
.LBB815_550:                            ;   in Loop: Header=BB815_392 Depth=2
	s_or_b32 exec_lo, exec_lo, s33
	s_and_saveexec_b32 s33, s16
	s_cbranch_execz .LBB815_520
.LBB815_551:                            ;   in Loop: Header=BB815_392 Depth=2
	ds_load_b64 v[36:37], v110 offset:2048
	s_waitcnt lgkmcnt(0)
	v_lshrrev_b64 v[36:37], s41, v[36:37]
	s_delay_alu instid0(VALU_DEP_1)
	v_and_b32_e32 v175, s43, v36
	s_or_b32 exec_lo, exec_lo, s33
	s_and_saveexec_b32 s33, s17
	s_cbranch_execnz .LBB815_521
.LBB815_552:                            ;   in Loop: Header=BB815_392 Depth=2
	s_or_b32 exec_lo, exec_lo, s33
	s_and_saveexec_b32 s33, s18
	s_cbranch_execz .LBB815_522
.LBB815_553:                            ;   in Loop: Header=BB815_392 Depth=2
	ds_load_b64 v[36:37], v110 offset:6144
	s_waitcnt lgkmcnt(0)
	v_lshrrev_b64 v[36:37], s41, v[36:37]
	s_delay_alu instid0(VALU_DEP_1)
	v_and_b32_e32 v173, s43, v36
	s_or_b32 exec_lo, exec_lo, s33
	s_and_saveexec_b32 s33, s19
	s_cbranch_execnz .LBB815_523
.LBB815_554:                            ;   in Loop: Header=BB815_392 Depth=2
	s_or_b32 exec_lo, exec_lo, s33
	s_and_saveexec_b32 s33, s20
	s_cbranch_execz .LBB815_524
.LBB815_555:                            ;   in Loop: Header=BB815_392 Depth=2
	ds_load_b64 v[36:37], v110 offset:10240
	s_waitcnt lgkmcnt(0)
	v_lshrrev_b64 v[36:37], s41, v[36:37]
	s_delay_alu instid0(VALU_DEP_1)
	v_and_b32_e32 v171, s43, v36
	s_or_b32 exec_lo, exec_lo, s33
	s_and_saveexec_b32 s33, s21
	s_cbranch_execnz .LBB815_525
.LBB815_556:                            ;   in Loop: Header=BB815_392 Depth=2
	s_or_b32 exec_lo, exec_lo, s33
	s_and_saveexec_b32 s33, s22
	s_cbranch_execz .LBB815_526
.LBB815_557:                            ;   in Loop: Header=BB815_392 Depth=2
	ds_load_b64 v[36:37], v110 offset:14336
	s_waitcnt lgkmcnt(0)
	v_lshrrev_b64 v[36:37], s41, v[36:37]
	s_delay_alu instid0(VALU_DEP_1)
	v_and_b32_e32 v169, s43, v36
	s_or_b32 exec_lo, exec_lo, s33
	s_and_saveexec_b32 s33, s23
	s_cbranch_execnz .LBB815_527
.LBB815_558:                            ;   in Loop: Header=BB815_392 Depth=2
	s_or_b32 exec_lo, exec_lo, s33
	s_and_saveexec_b32 s33, s24
	s_cbranch_execz .LBB815_528
.LBB815_559:                            ;   in Loop: Header=BB815_392 Depth=2
	ds_load_b64 v[36:37], v110 offset:18432
	s_waitcnt lgkmcnt(0)
	v_lshrrev_b64 v[36:37], s41, v[36:37]
	s_delay_alu instid0(VALU_DEP_1)
	v_and_b32_e32 v167, s43, v36
	s_or_b32 exec_lo, exec_lo, s33
	s_and_saveexec_b32 s33, s25
	s_cbranch_execnz .LBB815_529
.LBB815_560:                            ;   in Loop: Header=BB815_392 Depth=2
	s_or_b32 exec_lo, exec_lo, s33
	s_and_saveexec_b32 s33, s26
	s_cbranch_execz .LBB815_530
.LBB815_561:                            ;   in Loop: Header=BB815_392 Depth=2
	ds_load_b64 v[36:37], v110 offset:22528
	s_waitcnt lgkmcnt(0)
	v_lshrrev_b64 v[36:37], s41, v[36:37]
	s_delay_alu instid0(VALU_DEP_1)
	v_and_b32_e32 v165, s43, v36
	s_or_b32 exec_lo, exec_lo, s33
	s_and_saveexec_b32 s33, s27
	s_cbranch_execnz .LBB815_531
.LBB815_562:                            ;   in Loop: Header=BB815_392 Depth=2
	s_or_b32 exec_lo, exec_lo, s33
	s_and_saveexec_b32 s33, s29
	s_cbranch_execz .LBB815_532
.LBB815_563:                            ;   in Loop: Header=BB815_392 Depth=2
	ds_load_b64 v[36:37], v110 offset:26624
	s_waitcnt lgkmcnt(0)
	v_lshrrev_b64 v[36:37], s41, v[36:37]
	s_delay_alu instid0(VALU_DEP_1)
	v_and_b32_e32 v163, s43, v36
	s_or_b32 exec_lo, exec_lo, s33
	s_and_saveexec_b32 s33, s30
	s_cbranch_execnz .LBB815_533
.LBB815_564:                            ;   in Loop: Header=BB815_392 Depth=2
	s_or_b32 exec_lo, exec_lo, s33
	s_and_saveexec_b32 s33, s31
	s_cbranch_execz .LBB815_566
.LBB815_565:                            ;   in Loop: Header=BB815_392 Depth=2
	ds_load_b64 v[36:37], v110 offset:30720
	s_waitcnt lgkmcnt(0)
	v_lshrrev_b64 v[36:37], s41, v[36:37]
	s_delay_alu instid0(VALU_DEP_1)
	v_and_b32_e32 v161, s43, v36
.LBB815_566:                            ;   in Loop: Header=BB815_392 Depth=2
	s_or_b32 exec_lo, exec_lo, s33
	v_add_nc_u32_e32 v2, 0x400, v69
	v_add_nc_u32_e32 v36, 0x400, v70
	;; [unrolled: 1-line block ×16, first 2 shown]
	s_waitcnt vmcnt(0)
	s_waitcnt_vscnt null, 0x0
	s_barrier
	buffer_gl0_inv
	ds_store_b64 v2, v[34:35]
	ds_store_b64 v36, v[32:33]
	;; [unrolled: 1-line block ×16, first 2 shown]
	s_waitcnt lgkmcnt(0)
	s_barrier
	buffer_gl0_inv
	s_and_saveexec_b32 s33, vcc_lo
	s_cbranch_execz .LBB815_582
; %bb.567:                              ;   in Loop: Header=BB815_392 Depth=2
	v_lshlrev_b32_e32 v2, 2, v176
	v_add_nc_u32_e32 v36, v104, v76
	ds_load_b32 v2, v2
	ds_load_b64 v[36:37], v36 offset:1024
	s_waitcnt lgkmcnt(1)
	v_add_nc_u32_e32 v2, v2, v1
	s_delay_alu instid0(VALU_DEP_1) | instskip(NEXT) | instid1(VALU_DEP_1)
	v_lshlrev_b64 v[38:39], 3, v[2:3]
	v_add_co_u32 v38, vcc_lo, s54, v38
	s_delay_alu instid0(VALU_DEP_2)
	v_add_co_ci_u32_e32 v39, vcc_lo, s55, v39, vcc_lo
	s_waitcnt lgkmcnt(0)
	global_store_b64 v[38:39], v[36:37], off
	s_or_b32 exec_lo, exec_lo, s33
	s_and_saveexec_b32 s33, s16
	s_cbranch_execnz .LBB815_583
.LBB815_568:                            ;   in Loop: Header=BB815_392 Depth=2
	s_or_b32 exec_lo, exec_lo, s33
	s_and_saveexec_b32 s16, s17
	s_cbranch_execz .LBB815_584
.LBB815_569:                            ;   in Loop: Header=BB815_392 Depth=2
	v_lshlrev_b32_e32 v2, 2, v174
	ds_load_b32 v2, v2
	ds_load_b64 v[36:37], v110 offset:4096
	s_waitcnt lgkmcnt(1)
	v_add_nc_u32_e32 v2, v2, v78
	s_delay_alu instid0(VALU_DEP_1) | instskip(NEXT) | instid1(VALU_DEP_1)
	v_lshlrev_b64 v[38:39], 3, v[2:3]
	v_add_co_u32 v38, vcc_lo, s54, v38
	s_delay_alu instid0(VALU_DEP_2)
	v_add_co_ci_u32_e32 v39, vcc_lo, s55, v39, vcc_lo
	s_waitcnt lgkmcnt(0)
	global_store_b64 v[38:39], v[36:37], off
	s_or_b32 exec_lo, exec_lo, s16
	s_and_saveexec_b32 s16, s18
	s_cbranch_execnz .LBB815_585
.LBB815_570:                            ;   in Loop: Header=BB815_392 Depth=2
	s_or_b32 exec_lo, exec_lo, s16
	s_and_saveexec_b32 s16, s19
	s_cbranch_execz .LBB815_586
.LBB815_571:                            ;   in Loop: Header=BB815_392 Depth=2
	v_lshlrev_b32_e32 v2, 2, v172
	ds_load_b32 v2, v2
	ds_load_b64 v[36:37], v110 offset:8192
	s_waitcnt lgkmcnt(1)
	v_add_nc_u32_e32 v2, v2, v83
	s_delay_alu instid0(VALU_DEP_1) | instskip(NEXT) | instid1(VALU_DEP_1)
	v_lshlrev_b64 v[38:39], 3, v[2:3]
	v_add_co_u32 v38, vcc_lo, s54, v38
	s_delay_alu instid0(VALU_DEP_2)
	v_add_co_ci_u32_e32 v39, vcc_lo, s55, v39, vcc_lo
	s_waitcnt lgkmcnt(0)
	global_store_b64 v[38:39], v[36:37], off
	s_or_b32 exec_lo, exec_lo, s16
	s_and_saveexec_b32 s16, s20
	s_cbranch_execnz .LBB815_587
.LBB815_572:                            ;   in Loop: Header=BB815_392 Depth=2
	s_or_b32 exec_lo, exec_lo, s16
	s_and_saveexec_b32 s16, s21
	s_cbranch_execz .LBB815_588
.LBB815_573:                            ;   in Loop: Header=BB815_392 Depth=2
	v_lshlrev_b32_e32 v2, 2, v170
	ds_load_b32 v2, v2
	ds_load_b64 v[36:37], v110 offset:12288
	s_waitcnt lgkmcnt(1)
	v_add_nc_u32_e32 v2, v2, v85
	s_delay_alu instid0(VALU_DEP_1) | instskip(NEXT) | instid1(VALU_DEP_1)
	v_lshlrev_b64 v[38:39], 3, v[2:3]
	v_add_co_u32 v38, vcc_lo, s54, v38
	s_delay_alu instid0(VALU_DEP_2)
	v_add_co_ci_u32_e32 v39, vcc_lo, s55, v39, vcc_lo
	s_waitcnt lgkmcnt(0)
	global_store_b64 v[38:39], v[36:37], off
	s_or_b32 exec_lo, exec_lo, s16
	s_and_saveexec_b32 s16, s22
	s_cbranch_execnz .LBB815_589
.LBB815_574:                            ;   in Loop: Header=BB815_392 Depth=2
	s_or_b32 exec_lo, exec_lo, s16
	s_and_saveexec_b32 s16, s23
	s_cbranch_execz .LBB815_590
.LBB815_575:                            ;   in Loop: Header=BB815_392 Depth=2
	v_lshlrev_b32_e32 v2, 2, v168
	ds_load_b32 v2, v2
	ds_load_b64 v[36:37], v110 offset:16384
	s_waitcnt lgkmcnt(1)
	v_add_nc_u32_e32 v2, v2, v87
	s_delay_alu instid0(VALU_DEP_1) | instskip(NEXT) | instid1(VALU_DEP_1)
	v_lshlrev_b64 v[38:39], 3, v[2:3]
	v_add_co_u32 v38, vcc_lo, s54, v38
	s_delay_alu instid0(VALU_DEP_2)
	v_add_co_ci_u32_e32 v39, vcc_lo, s55, v39, vcc_lo
	s_waitcnt lgkmcnt(0)
	global_store_b64 v[38:39], v[36:37], off
	s_or_b32 exec_lo, exec_lo, s16
	s_and_saveexec_b32 s16, s24
	s_cbranch_execnz .LBB815_591
.LBB815_576:                            ;   in Loop: Header=BB815_392 Depth=2
	s_or_b32 exec_lo, exec_lo, s16
	s_and_saveexec_b32 s16, s25
	s_cbranch_execz .LBB815_592
.LBB815_577:                            ;   in Loop: Header=BB815_392 Depth=2
	v_lshlrev_b32_e32 v2, 2, v166
	ds_load_b32 v2, v2
	ds_load_b64 v[36:37], v110 offset:20480
	s_waitcnt lgkmcnt(1)
	v_add_nc_u32_e32 v2, v2, v89
	s_delay_alu instid0(VALU_DEP_1) | instskip(NEXT) | instid1(VALU_DEP_1)
	v_lshlrev_b64 v[38:39], 3, v[2:3]
	v_add_co_u32 v38, vcc_lo, s54, v38
	s_delay_alu instid0(VALU_DEP_2)
	v_add_co_ci_u32_e32 v39, vcc_lo, s55, v39, vcc_lo
	s_waitcnt lgkmcnt(0)
	global_store_b64 v[38:39], v[36:37], off
	s_or_b32 exec_lo, exec_lo, s16
	s_and_saveexec_b32 s16, s26
	s_cbranch_execnz .LBB815_593
.LBB815_578:                            ;   in Loop: Header=BB815_392 Depth=2
	s_or_b32 exec_lo, exec_lo, s16
	s_and_saveexec_b32 s16, s27
	s_cbranch_execz .LBB815_594
.LBB815_579:                            ;   in Loop: Header=BB815_392 Depth=2
	v_lshlrev_b32_e32 v2, 2, v164
	ds_load_b32 v2, v2
	ds_load_b64 v[36:37], v110 offset:24576
	s_waitcnt lgkmcnt(1)
	v_add_nc_u32_e32 v2, v2, v91
	s_delay_alu instid0(VALU_DEP_1) | instskip(NEXT) | instid1(VALU_DEP_1)
	v_lshlrev_b64 v[38:39], 3, v[2:3]
	v_add_co_u32 v38, vcc_lo, s54, v38
	s_delay_alu instid0(VALU_DEP_2)
	v_add_co_ci_u32_e32 v39, vcc_lo, s55, v39, vcc_lo
	s_waitcnt lgkmcnt(0)
	global_store_b64 v[38:39], v[36:37], off
	s_or_b32 exec_lo, exec_lo, s16
	s_and_saveexec_b32 s16, s29
	s_cbranch_execnz .LBB815_595
.LBB815_580:                            ;   in Loop: Header=BB815_392 Depth=2
	s_or_b32 exec_lo, exec_lo, s16
	s_and_saveexec_b32 s16, s30
	s_cbranch_execz .LBB815_596
.LBB815_581:                            ;   in Loop: Header=BB815_392 Depth=2
	v_lshlrev_b32_e32 v2, 2, v162
	ds_load_b32 v2, v2
	ds_load_b64 v[36:37], v110 offset:28672
	s_waitcnt lgkmcnt(1)
	v_add_nc_u32_e32 v2, v2, v93
	s_delay_alu instid0(VALU_DEP_1) | instskip(NEXT) | instid1(VALU_DEP_1)
	v_lshlrev_b64 v[38:39], 3, v[2:3]
	v_add_co_u32 v38, vcc_lo, s54, v38
	s_delay_alu instid0(VALU_DEP_2)
	v_add_co_ci_u32_e32 v39, vcc_lo, s55, v39, vcc_lo
	s_waitcnt lgkmcnt(0)
	global_store_b64 v[38:39], v[36:37], off
	s_or_b32 exec_lo, exec_lo, s16
	s_and_saveexec_b32 s16, s31
	s_cbranch_execnz .LBB815_597
	s_branch .LBB815_598
.LBB815_582:                            ;   in Loop: Header=BB815_392 Depth=2
	s_or_b32 exec_lo, exec_lo, s33
	s_and_saveexec_b32 s33, s16
	s_cbranch_execz .LBB815_568
.LBB815_583:                            ;   in Loop: Header=BB815_392 Depth=2
	v_lshlrev_b32_e32 v2, 2, v175
	ds_load_b32 v2, v2
	ds_load_b64 v[36:37], v110 offset:2048
	s_waitcnt lgkmcnt(1)
	v_add_nc_u32_e32 v2, v2, v77
	s_delay_alu instid0(VALU_DEP_1) | instskip(NEXT) | instid1(VALU_DEP_1)
	v_lshlrev_b64 v[38:39], 3, v[2:3]
	v_add_co_u32 v38, vcc_lo, s54, v38
	s_delay_alu instid0(VALU_DEP_2)
	v_add_co_ci_u32_e32 v39, vcc_lo, s55, v39, vcc_lo
	s_waitcnt lgkmcnt(0)
	global_store_b64 v[38:39], v[36:37], off
	s_or_b32 exec_lo, exec_lo, s33
	s_and_saveexec_b32 s16, s17
	s_cbranch_execnz .LBB815_569
.LBB815_584:                            ;   in Loop: Header=BB815_392 Depth=2
	s_or_b32 exec_lo, exec_lo, s16
	s_and_saveexec_b32 s16, s18
	s_cbranch_execz .LBB815_570
.LBB815_585:                            ;   in Loop: Header=BB815_392 Depth=2
	v_lshlrev_b32_e32 v2, 2, v173
	ds_load_b32 v2, v2
	ds_load_b64 v[36:37], v110 offset:6144
	s_waitcnt lgkmcnt(1)
	v_add_nc_u32_e32 v2, v2, v79
	s_delay_alu instid0(VALU_DEP_1) | instskip(NEXT) | instid1(VALU_DEP_1)
	v_lshlrev_b64 v[38:39], 3, v[2:3]
	v_add_co_u32 v38, vcc_lo, s54, v38
	s_delay_alu instid0(VALU_DEP_2)
	v_add_co_ci_u32_e32 v39, vcc_lo, s55, v39, vcc_lo
	s_waitcnt lgkmcnt(0)
	global_store_b64 v[38:39], v[36:37], off
	s_or_b32 exec_lo, exec_lo, s16
	s_and_saveexec_b32 s16, s19
	s_cbranch_execnz .LBB815_571
.LBB815_586:                            ;   in Loop: Header=BB815_392 Depth=2
	s_or_b32 exec_lo, exec_lo, s16
	s_and_saveexec_b32 s16, s20
	s_cbranch_execz .LBB815_572
.LBB815_587:                            ;   in Loop: Header=BB815_392 Depth=2
	v_lshlrev_b32_e32 v2, 2, v171
	ds_load_b32 v2, v2
	ds_load_b64 v[36:37], v110 offset:10240
	s_waitcnt lgkmcnt(1)
	v_add_nc_u32_e32 v2, v2, v84
	s_delay_alu instid0(VALU_DEP_1) | instskip(NEXT) | instid1(VALU_DEP_1)
	v_lshlrev_b64 v[38:39], 3, v[2:3]
	v_add_co_u32 v38, vcc_lo, s54, v38
	s_delay_alu instid0(VALU_DEP_2)
	v_add_co_ci_u32_e32 v39, vcc_lo, s55, v39, vcc_lo
	s_waitcnt lgkmcnt(0)
	global_store_b64 v[38:39], v[36:37], off
	s_or_b32 exec_lo, exec_lo, s16
	s_and_saveexec_b32 s16, s21
	s_cbranch_execnz .LBB815_573
.LBB815_588:                            ;   in Loop: Header=BB815_392 Depth=2
	s_or_b32 exec_lo, exec_lo, s16
	s_and_saveexec_b32 s16, s22
	s_cbranch_execz .LBB815_574
.LBB815_589:                            ;   in Loop: Header=BB815_392 Depth=2
	v_lshlrev_b32_e32 v2, 2, v169
	ds_load_b32 v2, v2
	ds_load_b64 v[36:37], v110 offset:14336
	s_waitcnt lgkmcnt(1)
	v_add_nc_u32_e32 v2, v2, v86
	s_delay_alu instid0(VALU_DEP_1) | instskip(NEXT) | instid1(VALU_DEP_1)
	v_lshlrev_b64 v[38:39], 3, v[2:3]
	v_add_co_u32 v38, vcc_lo, s54, v38
	s_delay_alu instid0(VALU_DEP_2)
	v_add_co_ci_u32_e32 v39, vcc_lo, s55, v39, vcc_lo
	s_waitcnt lgkmcnt(0)
	global_store_b64 v[38:39], v[36:37], off
	s_or_b32 exec_lo, exec_lo, s16
	s_and_saveexec_b32 s16, s23
	s_cbranch_execnz .LBB815_575
.LBB815_590:                            ;   in Loop: Header=BB815_392 Depth=2
	s_or_b32 exec_lo, exec_lo, s16
	s_and_saveexec_b32 s16, s24
	s_cbranch_execz .LBB815_576
.LBB815_591:                            ;   in Loop: Header=BB815_392 Depth=2
	v_lshlrev_b32_e32 v2, 2, v167
	ds_load_b32 v2, v2
	ds_load_b64 v[36:37], v110 offset:18432
	s_waitcnt lgkmcnt(1)
	v_add_nc_u32_e32 v2, v2, v88
	s_delay_alu instid0(VALU_DEP_1) | instskip(NEXT) | instid1(VALU_DEP_1)
	v_lshlrev_b64 v[38:39], 3, v[2:3]
	v_add_co_u32 v38, vcc_lo, s54, v38
	s_delay_alu instid0(VALU_DEP_2)
	v_add_co_ci_u32_e32 v39, vcc_lo, s55, v39, vcc_lo
	s_waitcnt lgkmcnt(0)
	global_store_b64 v[38:39], v[36:37], off
	s_or_b32 exec_lo, exec_lo, s16
	s_and_saveexec_b32 s16, s25
	s_cbranch_execnz .LBB815_577
.LBB815_592:                            ;   in Loop: Header=BB815_392 Depth=2
	s_or_b32 exec_lo, exec_lo, s16
	s_and_saveexec_b32 s16, s26
	s_cbranch_execz .LBB815_578
.LBB815_593:                            ;   in Loop: Header=BB815_392 Depth=2
	v_lshlrev_b32_e32 v2, 2, v165
	ds_load_b32 v2, v2
	ds_load_b64 v[36:37], v110 offset:22528
	s_waitcnt lgkmcnt(1)
	v_add_nc_u32_e32 v2, v2, v90
	s_delay_alu instid0(VALU_DEP_1) | instskip(NEXT) | instid1(VALU_DEP_1)
	v_lshlrev_b64 v[38:39], 3, v[2:3]
	v_add_co_u32 v38, vcc_lo, s54, v38
	s_delay_alu instid0(VALU_DEP_2)
	v_add_co_ci_u32_e32 v39, vcc_lo, s55, v39, vcc_lo
	s_waitcnt lgkmcnt(0)
	global_store_b64 v[38:39], v[36:37], off
	s_or_b32 exec_lo, exec_lo, s16
	s_and_saveexec_b32 s16, s27
	s_cbranch_execnz .LBB815_579
.LBB815_594:                            ;   in Loop: Header=BB815_392 Depth=2
	s_or_b32 exec_lo, exec_lo, s16
	s_and_saveexec_b32 s16, s29
	s_cbranch_execz .LBB815_580
.LBB815_595:                            ;   in Loop: Header=BB815_392 Depth=2
	v_lshlrev_b32_e32 v2, 2, v163
	ds_load_b32 v2, v2
	ds_load_b64 v[36:37], v110 offset:26624
	s_waitcnt lgkmcnt(1)
	v_add_nc_u32_e32 v2, v2, v92
	s_delay_alu instid0(VALU_DEP_1) | instskip(NEXT) | instid1(VALU_DEP_1)
	v_lshlrev_b64 v[38:39], 3, v[2:3]
	v_add_co_u32 v38, vcc_lo, s54, v38
	s_delay_alu instid0(VALU_DEP_2)
	v_add_co_ci_u32_e32 v39, vcc_lo, s55, v39, vcc_lo
	s_waitcnt lgkmcnt(0)
	global_store_b64 v[38:39], v[36:37], off
	s_or_b32 exec_lo, exec_lo, s16
	s_and_saveexec_b32 s16, s30
	s_cbranch_execnz .LBB815_581
.LBB815_596:                            ;   in Loop: Header=BB815_392 Depth=2
	s_or_b32 exec_lo, exec_lo, s16
	s_and_saveexec_b32 s16, s31
	s_cbranch_execz .LBB815_598
.LBB815_597:                            ;   in Loop: Header=BB815_392 Depth=2
	v_lshlrev_b32_e32 v2, 2, v161
	ds_load_b32 v2, v2
	ds_load_b64 v[36:37], v110 offset:30720
	s_waitcnt lgkmcnt(1)
	v_add_nc_u32_e32 v2, v2, v95
	s_delay_alu instid0(VALU_DEP_1) | instskip(NEXT) | instid1(VALU_DEP_1)
	v_lshlrev_b64 v[38:39], 3, v[2:3]
	v_add_co_u32 v38, vcc_lo, s54, v38
	s_delay_alu instid0(VALU_DEP_2)
	v_add_co_ci_u32_e32 v39, vcc_lo, s55, v39, vcc_lo
	s_waitcnt lgkmcnt(0)
	global_store_b64 v[38:39], v[36:37], off
.LBB815_598:                            ;   in Loop: Header=BB815_392 Depth=2
	s_or_b32 exec_lo, exec_lo, s16
	s_waitcnt_vscnt null, 0x0
	s_barrier
	buffer_gl0_inv
	s_and_saveexec_b32 s16, s2
	s_cbranch_execz .LBB815_391
; %bb.599:                              ;   in Loop: Header=BB815_392 Depth=2
	ds_load_b32 v2, v76
	s_waitcnt lgkmcnt(0)
	v_add_nc_u32_e32 v2, v2, v68
	ds_store_b32 v76, v2
	s_branch .LBB815_391
.LBB815_600:                            ;   in Loop: Header=BB815_12 Depth=1
	s_waitcnt lgkmcnt(0)
	s_barrier
.LBB815_601:                            ;   in Loop: Header=BB815_12 Depth=1
	s_mov_b32 s1, 0
.LBB815_602:                            ;   in Loop: Header=BB815_12 Depth=1
	s_delay_alu instid0(SALU_CYCLE_1)
	s_and_not1_b32 vcc_lo, exec_lo, s1
	s_cbranch_vccnz .LBB815_11
; %bb.603:                              ;   in Loop: Header=BB815_12 Depth=1
	s_lshl_b32 s1, -1, s42
	s_and_b32 vcc_lo, exec_lo, s59
	s_not_b32 s42, s1
	s_mov_b32 s1, -1
	s_cbranch_vccz .LBB815_897
; %bb.604:                              ;   in Loop: Header=BB815_12 Depth=1
	s_mov_b32 s1, s62
	s_mov_b32 s34, s60
	s_barrier
	buffer_gl0_inv
                                        ; implicit-def: $vgpr34_vgpr35
                                        ; implicit-def: $vgpr4_vgpr5
                                        ; implicit-def: $vgpr6_vgpr7
                                        ; implicit-def: $vgpr8_vgpr9
                                        ; implicit-def: $vgpr10_vgpr11
                                        ; implicit-def: $vgpr12_vgpr13
                                        ; implicit-def: $vgpr14_vgpr15
                                        ; implicit-def: $vgpr16_vgpr17
                                        ; implicit-def: $vgpr18_vgpr19
                                        ; implicit-def: $vgpr20_vgpr21
                                        ; implicit-def: $vgpr22_vgpr23
                                        ; implicit-def: $vgpr24_vgpr25
                                        ; implicit-def: $vgpr26_vgpr27
                                        ; implicit-def: $vgpr28_vgpr29
                                        ; implicit-def: $vgpr30_vgpr31
                                        ; implicit-def: $vgpr32_vgpr33
	s_branch .LBB815_606
.LBB815_605:                            ;   in Loop: Header=BB815_606 Depth=2
	s_or_b32 exec_lo, exec_lo, s8
	s_addk_i32 s1, 0xf000
	s_cmp_ge_u32 s7, s61
	s_mov_b32 s34, s7
	s_cbranch_scc1 .LBB815_676
.LBB815_606:                            ;   Parent Loop BB815_12 Depth=1
                                        ; =>  This Inner Loop Header: Depth=2
	s_add_i32 s7, s34, 0x1000
	s_delay_alu instid0(SALU_CYCLE_1)
	s_cmp_gt_u32 s7, s61
	s_cbranch_scc1 .LBB815_609
; %bb.607:                              ;   in Loop: Header=BB815_606 Depth=2
	s_mov_b32 s9, 0
	s_mov_b32 s8, s34
	s_delay_alu instid0(SALU_CYCLE_1) | instskip(NEXT) | instid1(SALU_CYCLE_1)
	s_lshl_b64 s[10:11], s[8:9], 3
	v_add_co_u32 v36, vcc_lo, v117, s10
	v_add_co_ci_u32_e32 v37, vcc_lo, s11, v118, vcc_lo
	s_movk_i32 s11, 0x1000
	s_waitcnt vmcnt(12)
	s_delay_alu instid0(VALU_DEP_2) | instskip(NEXT) | instid1(VALU_DEP_2)
	v_add_co_u32 v42, vcc_lo, 0x1000, v36
	v_add_co_ci_u32_e32 v43, vcc_lo, 0, v37, vcc_lo
	s_waitcnt vmcnt(11)
	v_add_co_u32 v44, vcc_lo, 0x2000, v36
	v_add_co_ci_u32_e32 v45, vcc_lo, 0, v37, vcc_lo
	s_waitcnt vmcnt(1)
	v_add_co_u32 v50, vcc_lo, v36, 0x2000
	v_add_co_ci_u32_e32 v51, vcc_lo, 0, v37, vcc_lo
	v_add_co_u32 v52, vcc_lo, v36, 0x4000
	v_add_co_ci_u32_e32 v53, vcc_lo, 0, v37, vcc_lo
	;; [unrolled: 2-line block ×7, first 2 shown]
	s_waitcnt vmcnt(0)
	v_add_co_u32 v66, vcc_lo, 0x7000, v36
	v_add_co_ci_u32_e32 v67, vcc_lo, 0, v37, vcc_lo
	s_clause 0xe
	global_load_b64 v[38:39], v[36:37], off
	global_load_b64 v[40:41], v[36:37], off offset:2048
	global_load_b64 v[42:43], v[42:43], off offset:2048
	;; [unrolled: 1-line block ×3, first 2 shown]
	global_load_b64 v[46:47], v[50:51], off
	global_load_b64 v[48:49], v[52:53], off offset:-4096
	global_load_b64 v[52:53], v[52:53], off
	global_load_b64 v[56:57], v[60:61], off offset:-4096
	global_load_b64 v[60:61], v[60:61], off
	global_load_b64 v[54:55], v[54:55], off offset:2048
	global_load_b64 v[58:59], v[58:59], off offset:2048
	;; [unrolled: 1-line block ×4, first 2 shown]
	global_load_b64 v[50:51], v[50:51], off offset:-4096
	global_load_b64 v[66:67], v[66:67], off
	v_add_co_u32 v36, vcc_lo, 0x7800, v36
	v_add_co_ci_u32_e32 v37, vcc_lo, 0, v37, vcc_lo
	s_mov_b32 s10, -1
	s_cbranch_execz .LBB815_610
; %bb.608:                              ;   in Loop: Header=BB815_606 Depth=2
                                        ; implicit-def: $vgpr32_vgpr33
                                        ; implicit-def: $vgpr30_vgpr31
                                        ; implicit-def: $vgpr28_vgpr29
                                        ; implicit-def: $vgpr26_vgpr27
                                        ; implicit-def: $vgpr24_vgpr25
                                        ; implicit-def: $vgpr22_vgpr23
                                        ; implicit-def: $vgpr20_vgpr21
                                        ; implicit-def: $vgpr18_vgpr19
                                        ; implicit-def: $vgpr16_vgpr17
                                        ; implicit-def: $vgpr14_vgpr15
                                        ; implicit-def: $vgpr12_vgpr13
                                        ; implicit-def: $vgpr10_vgpr11
                                        ; implicit-def: $vgpr8_vgpr9
                                        ; implicit-def: $vgpr6_vgpr7
                                        ; implicit-def: $vgpr4_vgpr5
                                        ; implicit-def: $vgpr34_vgpr35
	v_mov_b32_e32 v2, s1
	s_and_saveexec_b32 s8, s10
	s_cbranch_execnz .LBB815_629
	s_branch .LBB815_630
.LBB815_609:                            ;   in Loop: Header=BB815_606 Depth=2
	s_mov_b32 s10, 0
                                        ; implicit-def: $sgpr11
                                        ; implicit-def: $vgpr38_vgpr39
                                        ; implicit-def: $vgpr40_vgpr41
                                        ; implicit-def: $vgpr50_vgpr51
                                        ; implicit-def: $vgpr42_vgpr43
                                        ; implicit-def: $vgpr46_vgpr47
                                        ; implicit-def: $vgpr44_vgpr45
                                        ; implicit-def: $vgpr48_vgpr49
                                        ; implicit-def: $vgpr54_vgpr55
                                        ; implicit-def: $vgpr52_vgpr53
                                        ; implicit-def: $vgpr58_vgpr59
                                        ; implicit-def: $vgpr56_vgpr57
                                        ; implicit-def: $vgpr62_vgpr63
                                        ; implicit-def: $vgpr60_vgpr61
                                        ; implicit-def: $vgpr64_vgpr65
                                        ; implicit-def: $vgpr66_vgpr67
                                        ; implicit-def: $vgpr36_vgpr37
.LBB815_610:                            ;   in Loop: Header=BB815_606 Depth=2
	s_lshl_b64 s[8:9], s[34:35], 3
	s_mov_b32 s11, exec_lo
	s_add_u32 s8, s44, s8
	s_addc_u32 s9, s45, s9
	v_cmpx_gt_u32_e64 s1, v1
	s_cbranch_execz .LBB815_662
; %bb.611:                              ;   in Loop: Header=BB815_606 Depth=2
	global_load_b64 v[32:33], v124, s[8:9]
	s_or_b32 exec_lo, exec_lo, s11
	s_delay_alu instid0(SALU_CYCLE_1)
	s_mov_b32 s11, exec_lo
	v_cmpx_gt_u32_e64 s1, v77
	s_cbranch_execnz .LBB815_663
.LBB815_612:                            ;   in Loop: Header=BB815_606 Depth=2
	s_or_b32 exec_lo, exec_lo, s11
	s_delay_alu instid0(SALU_CYCLE_1)
	s_mov_b32 s11, exec_lo
	v_cmpx_gt_u32_e64 s1, v78
	s_cbranch_execz .LBB815_664
.LBB815_613:                            ;   in Loop: Header=BB815_606 Depth=2
	global_load_b64 v[28:29], v125, s[8:9]
	s_or_b32 exec_lo, exec_lo, s11
	s_delay_alu instid0(SALU_CYCLE_1)
	s_mov_b32 s11, exec_lo
	v_cmpx_gt_u32_e64 s1, v79
	s_cbranch_execnz .LBB815_665
.LBB815_614:                            ;   in Loop: Header=BB815_606 Depth=2
	s_or_b32 exec_lo, exec_lo, s11
	s_delay_alu instid0(SALU_CYCLE_1)
	s_mov_b32 s11, exec_lo
	v_cmpx_gt_u32_e64 s1, v83
	s_cbranch_execz .LBB815_666
.LBB815_615:                            ;   in Loop: Header=BB815_606 Depth=2
	global_load_b64 v[24:25], v127, s[8:9]
	s_or_b32 exec_lo, exec_lo, s11
	s_delay_alu instid0(SALU_CYCLE_1)
	s_mov_b32 s11, exec_lo
	v_cmpx_gt_u32_e64 s1, v84
	s_cbranch_execnz .LBB815_667
.LBB815_616:                            ;   in Loop: Header=BB815_606 Depth=2
	s_or_b32 exec_lo, exec_lo, s11
	s_delay_alu instid0(SALU_CYCLE_1)
	s_mov_b32 s11, exec_lo
	v_cmpx_gt_u32_e64 s1, v85
	s_cbranch_execz .LBB815_668
.LBB815_617:                            ;   in Loop: Header=BB815_606 Depth=2
	global_load_b64 v[20:21], v129, s[8:9]
	s_or_b32 exec_lo, exec_lo, s11
	s_delay_alu instid0(SALU_CYCLE_1)
	s_mov_b32 s11, exec_lo
	v_cmpx_gt_u32_e64 s1, v86
	s_cbranch_execnz .LBB815_669
.LBB815_618:                            ;   in Loop: Header=BB815_606 Depth=2
	s_or_b32 exec_lo, exec_lo, s11
	s_delay_alu instid0(SALU_CYCLE_1)
	s_mov_b32 s11, exec_lo
	v_cmpx_gt_u32_e64 s1, v87
	s_cbranch_execz .LBB815_670
.LBB815_619:                            ;   in Loop: Header=BB815_606 Depth=2
	global_load_b64 v[16:17], v131, s[8:9]
	s_or_b32 exec_lo, exec_lo, s11
	s_delay_alu instid0(SALU_CYCLE_1)
	s_mov_b32 s11, exec_lo
	v_cmpx_gt_u32_e64 s1, v88
	s_cbranch_execnz .LBB815_671
.LBB815_620:                            ;   in Loop: Header=BB815_606 Depth=2
	s_or_b32 exec_lo, exec_lo, s11
	s_delay_alu instid0(SALU_CYCLE_1)
	s_mov_b32 s11, exec_lo
	v_cmpx_gt_u32_e64 s1, v89
	s_cbranch_execz .LBB815_672
.LBB815_621:                            ;   in Loop: Header=BB815_606 Depth=2
	global_load_b64 v[12:13], v133, s[8:9]
	s_or_b32 exec_lo, exec_lo, s11
	s_delay_alu instid0(SALU_CYCLE_1)
	s_mov_b32 s11, exec_lo
	v_cmpx_gt_u32_e64 s1, v90
	s_cbranch_execnz .LBB815_673
.LBB815_622:                            ;   in Loop: Header=BB815_606 Depth=2
	s_or_b32 exec_lo, exec_lo, s11
	s_delay_alu instid0(SALU_CYCLE_1)
	s_mov_b32 s11, exec_lo
	v_cmpx_gt_u32_e64 s1, v91
	s_cbranch_execz .LBB815_674
.LBB815_623:                            ;   in Loop: Header=BB815_606 Depth=2
	global_load_b64 v[8:9], v135, s[8:9]
	s_or_b32 exec_lo, exec_lo, s11
	s_delay_alu instid0(SALU_CYCLE_1)
	s_mov_b32 s11, exec_lo
	v_cmpx_gt_u32_e64 s1, v92
	s_cbranch_execnz .LBB815_675
.LBB815_624:                            ;   in Loop: Header=BB815_606 Depth=2
	s_or_b32 exec_lo, exec_lo, s11
	s_delay_alu instid0(SALU_CYCLE_1)
	s_mov_b32 s11, exec_lo
	v_cmpx_gt_u32_e64 s1, v93
	s_cbranch_execz .LBB815_626
.LBB815_625:                            ;   in Loop: Header=BB815_606 Depth=2
	v_lshlrev_b32_e32 v2, 3, v93
	global_load_b64 v[4:5], v2, s[8:9]
.LBB815_626:                            ;   in Loop: Header=BB815_606 Depth=2
	s_or_b32 exec_lo, exec_lo, s11
	s_delay_alu instid0(SALU_CYCLE_1)
	s_mov_b32 s12, exec_lo
                                        ; implicit-def: $sgpr11
                                        ; implicit-def: $vgpr36_vgpr37
	v_cmpx_gt_u32_e64 s1, v95
; %bb.627:                              ;   in Loop: Header=BB815_606 Depth=2
	v_lshlrev_b32_e32 v2, 3, v95
	s_sub_i32 s11, s61, s34
	s_or_b32 s10, s10, exec_lo
                                        ; implicit-def: $vgpr34_vgpr35
	s_delay_alu instid0(VALU_DEP_1) | instskip(NEXT) | instid1(VALU_DEP_1)
	v_add_co_u32 v36, s8, s8, v2
	v_add_co_ci_u32_e64 v37, null, s9, 0, s8
; %bb.628:                              ;   in Loop: Header=BB815_606 Depth=2
	s_or_b32 exec_lo, exec_lo, s12
	s_waitcnt vmcnt(0)
	v_dual_mov_b32 v39, v33 :: v_dual_mov_b32 v38, v32
	v_dual_mov_b32 v41, v31 :: v_dual_mov_b32 v40, v30
	;; [unrolled: 1-line block ×15, first 2 shown]
	v_mov_b32_e32 v2, s1
	s_and_saveexec_b32 s8, s10
	s_cbranch_execz .LBB815_630
.LBB815_629:                            ;   in Loop: Header=BB815_606 Depth=2
	global_load_b64 v[34:35], v[36:37], off
	s_waitcnt vmcnt(1)
	v_mov_b32_e32 v4, v66
	v_mov_b32_e32 v6, v64
	;; [unrolled: 1-line block ×14, first 2 shown]
	v_dual_mov_b32 v32, v38 :: v_dual_mov_b32 v33, v39
	v_dual_mov_b32 v2, s11 :: v_dual_mov_b32 v5, v67
	v_mov_b32_e32 v7, v65
	v_mov_b32_e32 v9, v61
	;; [unrolled: 1-line block ×13, first 2 shown]
.LBB815_630:                            ;   in Loop: Header=BB815_606 Depth=2
	s_or_b32 exec_lo, exec_lo, s8
	s_delay_alu instid0(SALU_CYCLE_1)
	s_mov_b32 s8, exec_lo
	v_cmpx_lt_u32_e64 v1, v2
	s_cbranch_execz .LBB815_646
; %bb.631:                              ;   in Loop: Header=BB815_606 Depth=2
	v_xor_b32_e32 v37, 0x80000000, v33
	v_mov_b32_e32 v36, v32
	s_delay_alu instid0(VALU_DEP_1) | instskip(SKIP_1) | instid1(VALU_DEP_2)
	v_lshrrev_b64 v[36:37], s40, v[36:37]
	v_lshlrev_b32_e32 v37, 2, v80
	v_and_b32_e32 v36, s42, v36
	s_delay_alu instid0(VALU_DEP_1) | instskip(SKIP_2) | instid1(SALU_CYCLE_1)
	v_lshl_or_b32 v36, v36, 4, v37
	ds_add_u32 v36, v123
	s_or_b32 exec_lo, exec_lo, s8
	s_mov_b32 s8, exec_lo
	v_cmpx_lt_u32_e64 v77, v2
	s_cbranch_execnz .LBB815_647
.LBB815_632:                            ;   in Loop: Header=BB815_606 Depth=2
	s_or_b32 exec_lo, exec_lo, s8
	s_delay_alu instid0(SALU_CYCLE_1)
	s_mov_b32 s8, exec_lo
	v_cmpx_lt_u32_e64 v78, v2
	s_cbranch_execz .LBB815_648
.LBB815_633:                            ;   in Loop: Header=BB815_606 Depth=2
	v_xor_b32_e32 v37, 0x80000000, v29
	v_mov_b32_e32 v36, v28
	s_delay_alu instid0(VALU_DEP_1) | instskip(SKIP_1) | instid1(VALU_DEP_2)
	v_lshrrev_b64 v[36:37], s40, v[36:37]
	v_lshlrev_b32_e32 v37, 2, v80
	v_and_b32_e32 v36, s42, v36
	s_delay_alu instid0(VALU_DEP_1) | instskip(SKIP_2) | instid1(SALU_CYCLE_1)
	v_lshl_or_b32 v36, v36, 4, v37
	ds_add_u32 v36, v123
	s_or_b32 exec_lo, exec_lo, s8
	s_mov_b32 s8, exec_lo
	v_cmpx_lt_u32_e64 v79, v2
	s_cbranch_execnz .LBB815_649
.LBB815_634:                            ;   in Loop: Header=BB815_606 Depth=2
	s_or_b32 exec_lo, exec_lo, s8
	s_delay_alu instid0(SALU_CYCLE_1)
	s_mov_b32 s8, exec_lo
	v_cmpx_lt_u32_e64 v83, v2
	s_cbranch_execz .LBB815_650
.LBB815_635:                            ;   in Loop: Header=BB815_606 Depth=2
	v_xor_b32_e32 v37, 0x80000000, v25
	v_mov_b32_e32 v36, v24
	s_delay_alu instid0(VALU_DEP_1) | instskip(SKIP_1) | instid1(VALU_DEP_2)
	v_lshrrev_b64 v[36:37], s40, v[36:37]
	v_lshlrev_b32_e32 v37, 2, v80
	v_and_b32_e32 v36, s42, v36
	s_delay_alu instid0(VALU_DEP_1) | instskip(SKIP_2) | instid1(SALU_CYCLE_1)
	v_lshl_or_b32 v36, v36, 4, v37
	ds_add_u32 v36, v123
	s_or_b32 exec_lo, exec_lo, s8
	s_mov_b32 s8, exec_lo
	v_cmpx_lt_u32_e64 v84, v2
	s_cbranch_execnz .LBB815_651
.LBB815_636:                            ;   in Loop: Header=BB815_606 Depth=2
	s_or_b32 exec_lo, exec_lo, s8
	s_delay_alu instid0(SALU_CYCLE_1)
	s_mov_b32 s8, exec_lo
	v_cmpx_lt_u32_e64 v85, v2
	s_cbranch_execz .LBB815_652
.LBB815_637:                            ;   in Loop: Header=BB815_606 Depth=2
	v_xor_b32_e32 v37, 0x80000000, v21
	v_mov_b32_e32 v36, v20
	s_delay_alu instid0(VALU_DEP_1) | instskip(SKIP_1) | instid1(VALU_DEP_2)
	v_lshrrev_b64 v[36:37], s40, v[36:37]
	v_lshlrev_b32_e32 v37, 2, v80
	v_and_b32_e32 v36, s42, v36
	s_delay_alu instid0(VALU_DEP_1) | instskip(SKIP_2) | instid1(SALU_CYCLE_1)
	v_lshl_or_b32 v36, v36, 4, v37
	ds_add_u32 v36, v123
	s_or_b32 exec_lo, exec_lo, s8
	s_mov_b32 s8, exec_lo
	v_cmpx_lt_u32_e64 v86, v2
	s_cbranch_execnz .LBB815_653
.LBB815_638:                            ;   in Loop: Header=BB815_606 Depth=2
	s_or_b32 exec_lo, exec_lo, s8
	s_delay_alu instid0(SALU_CYCLE_1)
	s_mov_b32 s8, exec_lo
	v_cmpx_lt_u32_e64 v87, v2
	s_cbranch_execz .LBB815_654
.LBB815_639:                            ;   in Loop: Header=BB815_606 Depth=2
	v_xor_b32_e32 v37, 0x80000000, v17
	v_mov_b32_e32 v36, v16
	s_delay_alu instid0(VALU_DEP_1) | instskip(SKIP_1) | instid1(VALU_DEP_2)
	v_lshrrev_b64 v[36:37], s40, v[36:37]
	v_lshlrev_b32_e32 v37, 2, v80
	v_and_b32_e32 v36, s42, v36
	s_delay_alu instid0(VALU_DEP_1) | instskip(SKIP_2) | instid1(SALU_CYCLE_1)
	v_lshl_or_b32 v36, v36, 4, v37
	ds_add_u32 v36, v123
	s_or_b32 exec_lo, exec_lo, s8
	s_mov_b32 s8, exec_lo
	v_cmpx_lt_u32_e64 v88, v2
	s_cbranch_execnz .LBB815_655
.LBB815_640:                            ;   in Loop: Header=BB815_606 Depth=2
	s_or_b32 exec_lo, exec_lo, s8
	s_delay_alu instid0(SALU_CYCLE_1)
	s_mov_b32 s8, exec_lo
	v_cmpx_lt_u32_e64 v89, v2
	s_cbranch_execz .LBB815_656
.LBB815_641:                            ;   in Loop: Header=BB815_606 Depth=2
	v_xor_b32_e32 v37, 0x80000000, v13
	v_mov_b32_e32 v36, v12
	s_delay_alu instid0(VALU_DEP_1) | instskip(SKIP_1) | instid1(VALU_DEP_2)
	v_lshrrev_b64 v[36:37], s40, v[36:37]
	v_lshlrev_b32_e32 v37, 2, v80
	v_and_b32_e32 v36, s42, v36
	s_delay_alu instid0(VALU_DEP_1) | instskip(SKIP_2) | instid1(SALU_CYCLE_1)
	v_lshl_or_b32 v36, v36, 4, v37
	ds_add_u32 v36, v123
	s_or_b32 exec_lo, exec_lo, s8
	s_mov_b32 s8, exec_lo
	v_cmpx_lt_u32_e64 v90, v2
	s_cbranch_execnz .LBB815_657
.LBB815_642:                            ;   in Loop: Header=BB815_606 Depth=2
	s_or_b32 exec_lo, exec_lo, s8
	s_delay_alu instid0(SALU_CYCLE_1)
	s_mov_b32 s8, exec_lo
	v_cmpx_lt_u32_e64 v91, v2
	s_cbranch_execz .LBB815_658
.LBB815_643:                            ;   in Loop: Header=BB815_606 Depth=2
	v_xor_b32_e32 v37, 0x80000000, v9
	v_mov_b32_e32 v36, v8
	s_delay_alu instid0(VALU_DEP_1) | instskip(SKIP_1) | instid1(VALU_DEP_2)
	v_lshrrev_b64 v[36:37], s40, v[36:37]
	v_lshlrev_b32_e32 v37, 2, v80
	v_and_b32_e32 v36, s42, v36
	s_delay_alu instid0(VALU_DEP_1) | instskip(SKIP_2) | instid1(SALU_CYCLE_1)
	v_lshl_or_b32 v36, v36, 4, v37
	ds_add_u32 v36, v123
	s_or_b32 exec_lo, exec_lo, s8
	s_mov_b32 s8, exec_lo
	v_cmpx_lt_u32_e64 v92, v2
	s_cbranch_execnz .LBB815_659
.LBB815_644:                            ;   in Loop: Header=BB815_606 Depth=2
	s_or_b32 exec_lo, exec_lo, s8
	s_delay_alu instid0(SALU_CYCLE_1)
	s_mov_b32 s8, exec_lo
	v_cmpx_lt_u32_e64 v93, v2
	s_cbranch_execz .LBB815_660
.LBB815_645:                            ;   in Loop: Header=BB815_606 Depth=2
	v_xor_b32_e32 v37, 0x80000000, v5
	v_mov_b32_e32 v36, v4
	s_delay_alu instid0(VALU_DEP_1) | instskip(SKIP_1) | instid1(VALU_DEP_2)
	v_lshrrev_b64 v[36:37], s40, v[36:37]
	v_lshlrev_b32_e32 v37, 2, v80
	v_and_b32_e32 v36, s42, v36
	s_delay_alu instid0(VALU_DEP_1) | instskip(SKIP_2) | instid1(SALU_CYCLE_1)
	v_lshl_or_b32 v36, v36, 4, v37
	ds_add_u32 v36, v123
	s_or_b32 exec_lo, exec_lo, s8
	s_mov_b32 s8, exec_lo
	v_cmpx_lt_u32_e64 v95, v2
	s_cbranch_execz .LBB815_605
	s_branch .LBB815_661
.LBB815_646:                            ;   in Loop: Header=BB815_606 Depth=2
	s_or_b32 exec_lo, exec_lo, s8
	s_delay_alu instid0(SALU_CYCLE_1)
	s_mov_b32 s8, exec_lo
	v_cmpx_lt_u32_e64 v77, v2
	s_cbranch_execz .LBB815_632
.LBB815_647:                            ;   in Loop: Header=BB815_606 Depth=2
	v_xor_b32_e32 v37, 0x80000000, v31
	v_mov_b32_e32 v36, v30
	s_delay_alu instid0(VALU_DEP_1) | instskip(SKIP_1) | instid1(VALU_DEP_2)
	v_lshrrev_b64 v[36:37], s40, v[36:37]
	v_lshlrev_b32_e32 v37, 2, v80
	v_and_b32_e32 v36, s42, v36
	s_delay_alu instid0(VALU_DEP_1) | instskip(SKIP_2) | instid1(SALU_CYCLE_1)
	v_lshl_or_b32 v36, v36, 4, v37
	ds_add_u32 v36, v123
	s_or_b32 exec_lo, exec_lo, s8
	s_mov_b32 s8, exec_lo
	v_cmpx_lt_u32_e64 v78, v2
	s_cbranch_execnz .LBB815_633
.LBB815_648:                            ;   in Loop: Header=BB815_606 Depth=2
	s_or_b32 exec_lo, exec_lo, s8
	s_delay_alu instid0(SALU_CYCLE_1)
	s_mov_b32 s8, exec_lo
	v_cmpx_lt_u32_e64 v79, v2
	s_cbranch_execz .LBB815_634
.LBB815_649:                            ;   in Loop: Header=BB815_606 Depth=2
	v_xor_b32_e32 v37, 0x80000000, v27
	v_mov_b32_e32 v36, v26
	s_delay_alu instid0(VALU_DEP_1) | instskip(SKIP_1) | instid1(VALU_DEP_2)
	v_lshrrev_b64 v[36:37], s40, v[36:37]
	v_lshlrev_b32_e32 v37, 2, v80
	v_and_b32_e32 v36, s42, v36
	s_delay_alu instid0(VALU_DEP_1) | instskip(SKIP_2) | instid1(SALU_CYCLE_1)
	v_lshl_or_b32 v36, v36, 4, v37
	ds_add_u32 v36, v123
	s_or_b32 exec_lo, exec_lo, s8
	s_mov_b32 s8, exec_lo
	v_cmpx_lt_u32_e64 v83, v2
	s_cbranch_execnz .LBB815_635
.LBB815_650:                            ;   in Loop: Header=BB815_606 Depth=2
	s_or_b32 exec_lo, exec_lo, s8
	s_delay_alu instid0(SALU_CYCLE_1)
	s_mov_b32 s8, exec_lo
	v_cmpx_lt_u32_e64 v84, v2
	s_cbranch_execz .LBB815_636
.LBB815_651:                            ;   in Loop: Header=BB815_606 Depth=2
	v_xor_b32_e32 v37, 0x80000000, v23
	v_mov_b32_e32 v36, v22
	s_delay_alu instid0(VALU_DEP_1) | instskip(SKIP_1) | instid1(VALU_DEP_2)
	v_lshrrev_b64 v[36:37], s40, v[36:37]
	v_lshlrev_b32_e32 v37, 2, v80
	v_and_b32_e32 v36, s42, v36
	s_delay_alu instid0(VALU_DEP_1) | instskip(SKIP_2) | instid1(SALU_CYCLE_1)
	v_lshl_or_b32 v36, v36, 4, v37
	ds_add_u32 v36, v123
	s_or_b32 exec_lo, exec_lo, s8
	s_mov_b32 s8, exec_lo
	v_cmpx_lt_u32_e64 v85, v2
	s_cbranch_execnz .LBB815_637
.LBB815_652:                            ;   in Loop: Header=BB815_606 Depth=2
	s_or_b32 exec_lo, exec_lo, s8
	s_delay_alu instid0(SALU_CYCLE_1)
	s_mov_b32 s8, exec_lo
	v_cmpx_lt_u32_e64 v86, v2
	s_cbranch_execz .LBB815_638
.LBB815_653:                            ;   in Loop: Header=BB815_606 Depth=2
	v_xor_b32_e32 v37, 0x80000000, v19
	v_mov_b32_e32 v36, v18
	s_delay_alu instid0(VALU_DEP_1) | instskip(SKIP_1) | instid1(VALU_DEP_2)
	v_lshrrev_b64 v[36:37], s40, v[36:37]
	v_lshlrev_b32_e32 v37, 2, v80
	v_and_b32_e32 v36, s42, v36
	s_delay_alu instid0(VALU_DEP_1) | instskip(SKIP_2) | instid1(SALU_CYCLE_1)
	v_lshl_or_b32 v36, v36, 4, v37
	ds_add_u32 v36, v123
	s_or_b32 exec_lo, exec_lo, s8
	s_mov_b32 s8, exec_lo
	v_cmpx_lt_u32_e64 v87, v2
	s_cbranch_execnz .LBB815_639
.LBB815_654:                            ;   in Loop: Header=BB815_606 Depth=2
	s_or_b32 exec_lo, exec_lo, s8
	s_delay_alu instid0(SALU_CYCLE_1)
	s_mov_b32 s8, exec_lo
	v_cmpx_lt_u32_e64 v88, v2
	s_cbranch_execz .LBB815_640
.LBB815_655:                            ;   in Loop: Header=BB815_606 Depth=2
	v_xor_b32_e32 v37, 0x80000000, v15
	v_mov_b32_e32 v36, v14
	s_delay_alu instid0(VALU_DEP_1) | instskip(SKIP_1) | instid1(VALU_DEP_2)
	v_lshrrev_b64 v[36:37], s40, v[36:37]
	v_lshlrev_b32_e32 v37, 2, v80
	v_and_b32_e32 v36, s42, v36
	s_delay_alu instid0(VALU_DEP_1) | instskip(SKIP_2) | instid1(SALU_CYCLE_1)
	v_lshl_or_b32 v36, v36, 4, v37
	ds_add_u32 v36, v123
	s_or_b32 exec_lo, exec_lo, s8
	s_mov_b32 s8, exec_lo
	v_cmpx_lt_u32_e64 v89, v2
	s_cbranch_execnz .LBB815_641
.LBB815_656:                            ;   in Loop: Header=BB815_606 Depth=2
	s_or_b32 exec_lo, exec_lo, s8
	s_delay_alu instid0(SALU_CYCLE_1)
	s_mov_b32 s8, exec_lo
	v_cmpx_lt_u32_e64 v90, v2
	s_cbranch_execz .LBB815_642
.LBB815_657:                            ;   in Loop: Header=BB815_606 Depth=2
	v_xor_b32_e32 v37, 0x80000000, v11
	v_mov_b32_e32 v36, v10
	s_delay_alu instid0(VALU_DEP_1) | instskip(SKIP_1) | instid1(VALU_DEP_2)
	v_lshrrev_b64 v[36:37], s40, v[36:37]
	v_lshlrev_b32_e32 v37, 2, v80
	v_and_b32_e32 v36, s42, v36
	s_delay_alu instid0(VALU_DEP_1) | instskip(SKIP_2) | instid1(SALU_CYCLE_1)
	v_lshl_or_b32 v36, v36, 4, v37
	ds_add_u32 v36, v123
	s_or_b32 exec_lo, exec_lo, s8
	s_mov_b32 s8, exec_lo
	v_cmpx_lt_u32_e64 v91, v2
	s_cbranch_execnz .LBB815_643
.LBB815_658:                            ;   in Loop: Header=BB815_606 Depth=2
	s_or_b32 exec_lo, exec_lo, s8
	s_delay_alu instid0(SALU_CYCLE_1)
	s_mov_b32 s8, exec_lo
	v_cmpx_lt_u32_e64 v92, v2
	s_cbranch_execz .LBB815_644
.LBB815_659:                            ;   in Loop: Header=BB815_606 Depth=2
	v_xor_b32_e32 v37, 0x80000000, v7
	v_mov_b32_e32 v36, v6
	s_delay_alu instid0(VALU_DEP_1) | instskip(SKIP_1) | instid1(VALU_DEP_2)
	v_lshrrev_b64 v[36:37], s40, v[36:37]
	v_lshlrev_b32_e32 v37, 2, v80
	v_and_b32_e32 v36, s42, v36
	s_delay_alu instid0(VALU_DEP_1) | instskip(SKIP_2) | instid1(SALU_CYCLE_1)
	v_lshl_or_b32 v36, v36, 4, v37
	ds_add_u32 v36, v123
	s_or_b32 exec_lo, exec_lo, s8
	s_mov_b32 s8, exec_lo
	v_cmpx_lt_u32_e64 v93, v2
	s_cbranch_execnz .LBB815_645
.LBB815_660:                            ;   in Loop: Header=BB815_606 Depth=2
	s_or_b32 exec_lo, exec_lo, s8
	s_delay_alu instid0(SALU_CYCLE_1)
	s_mov_b32 s8, exec_lo
	v_cmpx_lt_u32_e64 v95, v2
	s_cbranch_execz .LBB815_605
.LBB815_661:                            ;   in Loop: Header=BB815_606 Depth=2
	s_waitcnt vmcnt(0)
	v_xor_b32_e32 v37, 0x80000000, v35
	v_mov_b32_e32 v36, v34
	s_delay_alu instid0(VALU_DEP_1) | instskip(NEXT) | instid1(VALU_DEP_1)
	v_lshrrev_b64 v[36:37], s40, v[36:37]
	v_and_b32_e32 v2, s42, v36
	v_lshlrev_b32_e32 v36, 2, v80
	s_delay_alu instid0(VALU_DEP_1)
	v_lshl_or_b32 v2, v2, 4, v36
	ds_add_u32 v2, v123
	s_branch .LBB815_605
.LBB815_662:                            ;   in Loop: Header=BB815_606 Depth=2
	s_or_b32 exec_lo, exec_lo, s11
	s_delay_alu instid0(SALU_CYCLE_1)
	s_mov_b32 s11, exec_lo
	v_cmpx_gt_u32_e64 s1, v77
	s_cbranch_execz .LBB815_612
.LBB815_663:                            ;   in Loop: Header=BB815_606 Depth=2
	global_load_b64 v[30:31], v124, s[8:9] offset:2048
	s_or_b32 exec_lo, exec_lo, s11
	s_delay_alu instid0(SALU_CYCLE_1)
	s_mov_b32 s11, exec_lo
	v_cmpx_gt_u32_e64 s1, v78
	s_cbranch_execnz .LBB815_613
.LBB815_664:                            ;   in Loop: Header=BB815_606 Depth=2
	s_or_b32 exec_lo, exec_lo, s11
	s_delay_alu instid0(SALU_CYCLE_1)
	s_mov_b32 s11, exec_lo
	v_cmpx_gt_u32_e64 s1, v79
	s_cbranch_execz .LBB815_614
.LBB815_665:                            ;   in Loop: Header=BB815_606 Depth=2
	global_load_b64 v[26:27], v126, s[8:9]
	s_or_b32 exec_lo, exec_lo, s11
	s_delay_alu instid0(SALU_CYCLE_1)
	s_mov_b32 s11, exec_lo
	v_cmpx_gt_u32_e64 s1, v83
	s_cbranch_execnz .LBB815_615
.LBB815_666:                            ;   in Loop: Header=BB815_606 Depth=2
	s_or_b32 exec_lo, exec_lo, s11
	s_delay_alu instid0(SALU_CYCLE_1)
	s_mov_b32 s11, exec_lo
	v_cmpx_gt_u32_e64 s1, v84
	s_cbranch_execz .LBB815_616
.LBB815_667:                            ;   in Loop: Header=BB815_606 Depth=2
	global_load_b64 v[22:23], v128, s[8:9]
	s_or_b32 exec_lo, exec_lo, s11
	s_delay_alu instid0(SALU_CYCLE_1)
	s_mov_b32 s11, exec_lo
	v_cmpx_gt_u32_e64 s1, v85
	s_cbranch_execnz .LBB815_617
.LBB815_668:                            ;   in Loop: Header=BB815_606 Depth=2
	s_or_b32 exec_lo, exec_lo, s11
	s_delay_alu instid0(SALU_CYCLE_1)
	s_mov_b32 s11, exec_lo
	v_cmpx_gt_u32_e64 s1, v86
	s_cbranch_execz .LBB815_618
.LBB815_669:                            ;   in Loop: Header=BB815_606 Depth=2
	global_load_b64 v[18:19], v130, s[8:9]
	s_or_b32 exec_lo, exec_lo, s11
	s_delay_alu instid0(SALU_CYCLE_1)
	s_mov_b32 s11, exec_lo
	v_cmpx_gt_u32_e64 s1, v87
	s_cbranch_execnz .LBB815_619
.LBB815_670:                            ;   in Loop: Header=BB815_606 Depth=2
	s_or_b32 exec_lo, exec_lo, s11
	s_delay_alu instid0(SALU_CYCLE_1)
	s_mov_b32 s11, exec_lo
	v_cmpx_gt_u32_e64 s1, v88
	s_cbranch_execz .LBB815_620
.LBB815_671:                            ;   in Loop: Header=BB815_606 Depth=2
	global_load_b64 v[14:15], v132, s[8:9]
	s_or_b32 exec_lo, exec_lo, s11
	s_delay_alu instid0(SALU_CYCLE_1)
	s_mov_b32 s11, exec_lo
	v_cmpx_gt_u32_e64 s1, v89
	s_cbranch_execnz .LBB815_621
.LBB815_672:                            ;   in Loop: Header=BB815_606 Depth=2
	s_or_b32 exec_lo, exec_lo, s11
	s_delay_alu instid0(SALU_CYCLE_1)
	s_mov_b32 s11, exec_lo
	v_cmpx_gt_u32_e64 s1, v90
	s_cbranch_execz .LBB815_622
.LBB815_673:                            ;   in Loop: Header=BB815_606 Depth=2
	global_load_b64 v[10:11], v134, s[8:9]
	s_or_b32 exec_lo, exec_lo, s11
	s_delay_alu instid0(SALU_CYCLE_1)
	s_mov_b32 s11, exec_lo
	v_cmpx_gt_u32_e64 s1, v91
	s_cbranch_execnz .LBB815_623
.LBB815_674:                            ;   in Loop: Header=BB815_606 Depth=2
	s_or_b32 exec_lo, exec_lo, s11
	s_delay_alu instid0(SALU_CYCLE_1)
	s_mov_b32 s11, exec_lo
	v_cmpx_gt_u32_e64 s1, v92
	s_cbranch_execz .LBB815_624
.LBB815_675:                            ;   in Loop: Header=BB815_606 Depth=2
	v_lshlrev_b32_e32 v2, 3, v92
	global_load_b64 v[6:7], v2, s[8:9]
	s_or_b32 exec_lo, exec_lo, s11
	s_delay_alu instid0(SALU_CYCLE_1)
	s_mov_b32 s11, exec_lo
	v_cmpx_gt_u32_e64 s1, v93
	s_cbranch_execz .LBB815_626
	s_branch .LBB815_625
.LBB815_676:                            ;   in Loop: Header=BB815_12 Depth=1
	v_mov_b32_e32 v2, 0
	s_waitcnt vmcnt(0) lgkmcnt(0)
	s_barrier
	buffer_gl0_inv
	s_and_saveexec_b32 s1, s2
	s_cbranch_execz .LBB815_678
; %bb.677:                              ;   in Loop: Header=BB815_12 Depth=1
	ds_load_2addr_b64 v[4:7], v96 offset1:1
	s_waitcnt lgkmcnt(0)
	v_add_nc_u32_e32 v2, v5, v4
	s_delay_alu instid0(VALU_DEP_1)
	v_add3_u32 v2, v2, v6, v7
.LBB815_678:                            ;   in Loop: Header=BB815_12 Depth=1
	s_or_b32 exec_lo, exec_lo, s1
	v_and_b32_e32 v4, 15, v136
	s_delay_alu instid0(VALU_DEP_2) | instskip(SKIP_1) | instid1(VALU_DEP_3)
	v_mov_b32_dpp v5, v2 row_shr:1 row_mask:0xf bank_mask:0xf
	v_and_b32_e32 v6, 16, v136
	v_cmp_eq_u32_e64 s1, 0, v4
	v_cmp_lt_u32_e64 s7, 1, v4
	v_cmp_lt_u32_e64 s8, 3, v4
	v_cmp_lt_u32_e64 s9, 7, v4
	v_cmp_eq_u32_e64 s10, 0, v6
	v_cndmask_b32_e64 v5, v5, 0, s1
	s_delay_alu instid0(VALU_DEP_1) | instskip(NEXT) | instid1(VALU_DEP_1)
	v_add_nc_u32_e32 v2, v5, v2
	v_mov_b32_dpp v5, v2 row_shr:2 row_mask:0xf bank_mask:0xf
	s_delay_alu instid0(VALU_DEP_1) | instskip(NEXT) | instid1(VALU_DEP_1)
	v_cndmask_b32_e64 v5, 0, v5, s7
	v_add_nc_u32_e32 v2, v2, v5
	s_delay_alu instid0(VALU_DEP_1) | instskip(NEXT) | instid1(VALU_DEP_1)
	v_mov_b32_dpp v5, v2 row_shr:4 row_mask:0xf bank_mask:0xf
	v_cndmask_b32_e64 v5, 0, v5, s8
	s_delay_alu instid0(VALU_DEP_1) | instskip(NEXT) | instid1(VALU_DEP_1)
	v_add_nc_u32_e32 v2, v2, v5
	v_mov_b32_dpp v5, v2 row_shr:8 row_mask:0xf bank_mask:0xf
	s_delay_alu instid0(VALU_DEP_1) | instskip(SKIP_1) | instid1(VALU_DEP_2)
	v_cndmask_b32_e64 v4, 0, v5, s9
	v_bfe_i32 v5, v136, 4, 1
	v_add_nc_u32_e32 v2, v2, v4
	ds_swizzle_b32 v4, v2 offset:swizzle(BROADCAST,32,15)
	s_waitcnt lgkmcnt(0)
	v_and_b32_e32 v4, v5, v4
	s_delay_alu instid0(VALU_DEP_1)
	v_add_nc_u32_e32 v4, v2, v4
	s_and_saveexec_b32 s11, s3
	s_cbranch_execz .LBB815_680
; %bb.679:                              ;   in Loop: Header=BB815_12 Depth=1
	ds_store_b32 v97, v4
.LBB815_680:                            ;   in Loop: Header=BB815_12 Depth=1
	s_or_b32 exec_lo, exec_lo, s11
	v_and_b32_e32 v2, 7, v136
	s_waitcnt lgkmcnt(0)
	s_barrier
	buffer_gl0_inv
	s_and_saveexec_b32 s11, s4
	s_cbranch_execz .LBB815_682
; %bb.681:                              ;   in Loop: Header=BB815_12 Depth=1
	ds_load_b32 v5, v98
	v_cmp_ne_u32_e32 vcc_lo, 0, v2
	s_waitcnt lgkmcnt(0)
	v_mov_b32_dpp v6, v5 row_shr:1 row_mask:0xf bank_mask:0xf
	s_delay_alu instid0(VALU_DEP_1) | instskip(SKIP_1) | instid1(VALU_DEP_2)
	v_cndmask_b32_e32 v6, 0, v6, vcc_lo
	v_cmp_lt_u32_e32 vcc_lo, 1, v2
	v_add_nc_u32_e32 v5, v6, v5
	s_delay_alu instid0(VALU_DEP_1) | instskip(NEXT) | instid1(VALU_DEP_1)
	v_mov_b32_dpp v6, v5 row_shr:2 row_mask:0xf bank_mask:0xf
	v_cndmask_b32_e32 v6, 0, v6, vcc_lo
	v_cmp_lt_u32_e32 vcc_lo, 3, v2
	s_delay_alu instid0(VALU_DEP_2) | instskip(NEXT) | instid1(VALU_DEP_1)
	v_add_nc_u32_e32 v5, v5, v6
	v_mov_b32_dpp v6, v5 row_shr:4 row_mask:0xf bank_mask:0xf
	s_delay_alu instid0(VALU_DEP_1) | instskip(NEXT) | instid1(VALU_DEP_1)
	v_cndmask_b32_e32 v6, 0, v6, vcc_lo
	v_add_nc_u32_e32 v5, v5, v6
	ds_store_b32 v98, v5
.LBB815_682:                            ;   in Loop: Header=BB815_12 Depth=1
	s_or_b32 exec_lo, exec_lo, s11
	v_mov_b32_e32 v5, 0
	s_waitcnt lgkmcnt(0)
	s_barrier
	buffer_gl0_inv
	s_and_saveexec_b32 s11, s5
	s_cbranch_execz .LBB815_684
; %bb.683:                              ;   in Loop: Header=BB815_12 Depth=1
	ds_load_b32 v5, v99
.LBB815_684:                            ;   in Loop: Header=BB815_12 Depth=1
	s_or_b32 exec_lo, exec_lo, s11
	v_add_nc_u32_e32 v6, -1, v136
	s_waitcnt lgkmcnt(0)
	v_add_nc_u32_e32 v4, v5, v4
	v_cmp_eq_u32_e64 s11, 0, v136
	s_barrier
	v_cmp_gt_i32_e32 vcc_lo, 0, v6
	buffer_gl0_inv
	v_cndmask_b32_e32 v6, v6, v136, vcc_lo
	s_delay_alu instid0(VALU_DEP_1)
	v_lshlrev_b32_e32 v137, 2, v6
	ds_bpermute_b32 v4, v137, v4
	s_and_saveexec_b32 s12, s2
	s_cbranch_execz .LBB815_686
; %bb.685:                              ;   in Loop: Header=BB815_12 Depth=1
	s_waitcnt lgkmcnt(0)
	v_cndmask_b32_e64 v4, v4, v5, s11
	s_delay_alu instid0(VALU_DEP_1)
	v_add_nc_u32_e32 v4, s60, v4
	ds_store_b32 v76, v4
.LBB815_686:                            ;   in Loop: Header=BB815_12 Depth=1
	s_or_b32 exec_lo, exec_lo, s12
	s_load_b64 s[12:13], s[36:37], 0x0
	v_lshlrev_b32_e32 v7, 3, v136
	v_cmp_lt_u32_e64 s14, 3, v2
	v_or_b32_e32 v138, v136, v100
	s_mov_b32 s43, s62
	s_mov_b32 s34, s60
	v_add_co_u32 v139, vcc_lo, v119, v7
	v_add_co_ci_u32_e32 v140, vcc_lo, 0, v120, vcc_lo
	v_add_co_u32 v156, vcc_lo, v121, v7
	v_add_co_ci_u32_e32 v157, vcc_lo, 0, v122, vcc_lo
	v_or_b32_e32 v141, 32, v138
	s_delay_alu instid0(VALU_DEP_3)
	v_add_co_u32 v159, vcc_lo, 0xf00, v156
	v_or_b32_e32 v142, 64, v138
	v_or_b32_e32 v143, 0x60, v138
	v_or_b32_e32 v144, 0x80, v138
	s_waitcnt lgkmcnt(0)
	s_cmp_lt_u32 s15, s13
	v_or_b32_e32 v145, 0xa0, v138
	s_cselect_b32 s13, 14, 20
	v_or_b32_e32 v146, 0xc0, v138
	s_add_u32 s16, s36, s13
	s_addc_u32 s17, s37, 0
	s_cmp_lt_u32 s28, s12
	global_load_u16 v4, v3, s[16:17]
	s_cselect_b32 s12, 12, 18
	v_or_b32_e32 v147, 0xe0, v138
	s_add_u32 s12, s36, s12
	s_addc_u32 s13, s37, 0
	v_or_b32_e32 v148, 0x100, v138
	global_load_u16 v6, v3, s[12:13]
	v_cmp_eq_u32_e64 s12, 0, v2
	v_cmp_lt_u32_e64 s13, 1, v2
	v_or_b32_e32 v149, 0x120, v138
	v_or_b32_e32 v150, 0x140, v138
	v_or_b32_e32 v151, 0x160, v138
	v_or_b32_e32 v152, 0x180, v138
	v_or_b32_e32 v153, 0x1a0, v138
	v_or_b32_e32 v154, 0x1c0, v138
	v_or_b32_e32 v155, 0x1e0, v138
	v_add_co_ci_u32_e32 v160, vcc_lo, 0, v157, vcc_lo
                                        ; implicit-def: $vgpr8_vgpr9
                                        ; implicit-def: $vgpr10_vgpr11
                                        ; implicit-def: $vgpr12_vgpr13
                                        ; implicit-def: $vgpr14_vgpr15
                                        ; implicit-def: $vgpr16_vgpr17
                                        ; implicit-def: $vgpr18_vgpr19
                                        ; implicit-def: $vgpr20_vgpr21
                                        ; implicit-def: $vgpr22_vgpr23
                                        ; implicit-def: $vgpr24_vgpr25
                                        ; implicit-def: $vgpr26_vgpr27
                                        ; implicit-def: $vgpr28_vgpr29
                                        ; implicit-def: $vgpr30_vgpr31
                                        ; implicit-def: $vgpr32_vgpr33
                                        ; implicit-def: $vgpr34_vgpr35
                                        ; implicit-def: $vgpr161
                                        ; implicit-def: $vgpr162
                                        ; implicit-def: $vgpr163
                                        ; implicit-def: $vgpr164
                                        ; implicit-def: $vgpr165
                                        ; implicit-def: $vgpr166
                                        ; implicit-def: $vgpr167
                                        ; implicit-def: $vgpr168
                                        ; implicit-def: $vgpr169
                                        ; implicit-def: $vgpr170
                                        ; implicit-def: $vgpr171
                                        ; implicit-def: $vgpr172
                                        ; implicit-def: $vgpr173
                                        ; implicit-def: $vgpr174
                                        ; implicit-def: $vgpr175
                                        ; implicit-def: $vgpr176
	s_waitcnt vmcnt(1)
	v_mad_u32_u24 v2, v101, v4, v0
	s_waitcnt vmcnt(0)
	s_delay_alu instid0(VALU_DEP_1) | instskip(NEXT) | instid1(VALU_DEP_1)
	v_mad_u64_u32 v[4:5], null, v2, v6, v[1:2]
                                        ; implicit-def: $vgpr6_vgpr7
	v_lshrrev_b32_e32 v158, 5, v4
                                        ; implicit-def: $vgpr4_vgpr5
	s_branch .LBB815_688
.LBB815_687:                            ;   in Loop: Header=BB815_688 Depth=2
	s_or_b32 exec_lo, exec_lo, s16
	s_addk_i32 s43, 0xf000
	s_cmp_lt_u32 s50, s61
	s_mov_b32 s34, s50
	s_cbranch_scc0 .LBB815_896
.LBB815_688:                            ;   Parent Loop BB815_12 Depth=1
                                        ; =>  This Inner Loop Header: Depth=2
	s_add_i32 s50, s34, 0x1000
	s_delay_alu instid0(SALU_CYCLE_1)
	s_cmp_gt_u32 s50, s61
	s_cbranch_scc1 .LBB815_690
; %bb.689:                              ;   in Loop: Header=BB815_688 Depth=2
	s_mov_b32 s17, 0
	s_mov_b32 s16, s34
	s_delay_alu instid0(SALU_CYCLE_1) | instskip(NEXT) | instid1(SALU_CYCLE_1)
	s_lshl_b64 s[18:19], s[16:17], 3
	v_add_co_u32 v64, vcc_lo, v156, s18
	v_add_co_ci_u32_e32 v65, vcc_lo, s19, v157, vcc_lo
	s_mov_b32 s19, -1
	s_movk_i32 s18, 0x1000
	s_clause 0xe
	global_load_b64 v[36:37], v[64:65], off
	global_load_b64 v[38:39], v[64:65], off offset:256
	global_load_b64 v[40:41], v[64:65], off offset:512
	;; [unrolled: 1-line block ×14, first 2 shown]
	s_cbranch_execz .LBB815_691
	s_branch .LBB815_722
.LBB815_690:                            ;   in Loop: Header=BB815_688 Depth=2
	s_mov_b32 s17, -1
	s_mov_b32 s19, 0
                                        ; implicit-def: $sgpr18
                                        ; implicit-def: $vgpr36_vgpr37
                                        ; implicit-def: $vgpr38_vgpr39
                                        ; implicit-def: $vgpr40_vgpr41
                                        ; implicit-def: $vgpr42_vgpr43
                                        ; implicit-def: $vgpr44_vgpr45
                                        ; implicit-def: $vgpr46_vgpr47
                                        ; implicit-def: $vgpr48_vgpr49
                                        ; implicit-def: $vgpr50_vgpr51
                                        ; implicit-def: $vgpr52_vgpr53
                                        ; implicit-def: $vgpr54_vgpr55
                                        ; implicit-def: $vgpr56_vgpr57
                                        ; implicit-def: $vgpr58_vgpr59
                                        ; implicit-def: $vgpr60_vgpr61
                                        ; implicit-def: $vgpr62_vgpr63
                                        ; implicit-def: $vgpr64_vgpr65
.LBB815_691:                            ;   in Loop: Header=BB815_688 Depth=2
	s_lshl_b64 s[16:17], s[34:35], 3
	s_waitcnt vmcnt(14)
	v_dual_mov_b32 v36, s38 :: v_dual_mov_b32 v37, s39
	v_add_co_u32 v66, vcc_lo, v156, s16
	v_add_co_ci_u32_e32 v67, vcc_lo, s17, v157, vcc_lo
	s_mov_b32 s16, exec_lo
	v_cmpx_gt_u32_e64 s43, v138
	s_cbranch_execz .LBB815_693
; %bb.692:                              ;   in Loop: Header=BB815_688 Depth=2
	global_load_b64 v[36:37], v[66:67], off
.LBB815_693:                            ;   in Loop: Header=BB815_688 Depth=2
	s_or_b32 exec_lo, exec_lo, s16
	s_waitcnt vmcnt(13)
	v_dual_mov_b32 v38, s38 :: v_dual_mov_b32 v39, s39
	s_mov_b32 s16, exec_lo
	v_cmpx_gt_u32_e64 s43, v141
	s_cbranch_execz .LBB815_695
; %bb.694:                              ;   in Loop: Header=BB815_688 Depth=2
	global_load_b64 v[38:39], v[66:67], off offset:256
.LBB815_695:                            ;   in Loop: Header=BB815_688 Depth=2
	s_or_b32 exec_lo, exec_lo, s16
	s_waitcnt vmcnt(12)
	v_dual_mov_b32 v41, s39 :: v_dual_mov_b32 v40, s38
	s_mov_b32 s16, exec_lo
	v_cmpx_gt_u32_e64 s43, v142
	s_cbranch_execz .LBB815_697
; %bb.696:                              ;   in Loop: Header=BB815_688 Depth=2
	global_load_b64 v[40:41], v[66:67], off offset:512
.LBB815_697:                            ;   in Loop: Header=BB815_688 Depth=2
	;; [unrolled: 9-line block ×14, first 2 shown]
	s_or_b32 exec_lo, exec_lo, s16
	v_cmp_gt_u32_e64 s19, s43, v155
	s_sub_i32 s18, s61, s34
	s_mov_b64 s[16:17], s[34:35]
.LBB815_722:                            ;   in Loop: Header=BB815_688 Depth=2
	v_dual_mov_b32 v67, s39 :: v_dual_mov_b32 v66, s38
	v_mov_b32_e32 v177, s43
	s_and_saveexec_b32 s20, s19
	s_cbranch_execz .LBB815_724
; %bb.723:                              ;   in Loop: Header=BB815_688 Depth=2
	s_lshl_b64 s[16:17], s[16:17], 3
	v_mov_b32_e32 v177, s18
	v_add_co_u32 v66, vcc_lo, v159, s16
	v_add_co_ci_u32_e32 v67, vcc_lo, s17, v160, vcc_lo
	global_load_b64 v[66:67], v[66:67], off
.LBB815_724:                            ;   in Loop: Header=BB815_688 Depth=2
	s_or_b32 exec_lo, exec_lo, s20
	s_waitcnt vmcnt(14)
	v_xor_b32_e32 v37, 0x80000000, v37
	ds_store_b32 v102, v3 offset:1056
	ds_store_2addr_b32 v103, v3, v3 offset0:1 offset1:2
	ds_store_2addr_b32 v103, v3, v3 offset0:3 offset1:4
	;; [unrolled: 1-line block ×4, first 2 shown]
	s_waitcnt vmcnt(0) lgkmcnt(0)
	s_barrier
	v_lshrrev_b64 v[68:69], s40, v[36:37]
	buffer_gl0_inv
	; wave barrier
	v_and_b32_e32 v69, s42, v68
	s_delay_alu instid0(VALU_DEP_1)
	v_and_b32_e32 v2, 1, v69
	v_lshlrev_b32_e32 v68, 30, v69
	v_lshlrev_b32_e32 v70, 29, v69
	v_lshlrev_b32_e32 v71, 28, v69
	v_lshlrev_b32_e32 v73, 27, v69
	v_add_co_u32 v2, s16, v2, -1
	s_delay_alu instid0(VALU_DEP_1)
	v_cndmask_b32_e64 v72, 0, 1, s16
	v_not_b32_e32 v178, v68
	v_cmp_gt_i32_e64 s16, 0, v68
	v_not_b32_e32 v68, v70
	v_lshlrev_b32_e32 v74, 26, v69
	v_cmp_ne_u32_e32 vcc_lo, 0, v72
	v_ashrrev_i32_e32 v178, 31, v178
	v_lshlrev_b32_e32 v75, 25, v69
	v_ashrrev_i32_e32 v68, 31, v68
	v_lshlrev_b32_e32 v72, 24, v69
	v_xor_b32_e32 v2, vcc_lo, v2
	v_cmp_gt_i32_e32 vcc_lo, 0, v70
	v_not_b32_e32 v70, v71
	v_xor_b32_e32 v178, s16, v178
	v_cmp_gt_i32_e64 s16, 0, v71
	v_and_b32_e32 v2, exec_lo, v2
	v_not_b32_e32 v71, v73
	v_ashrrev_i32_e32 v70, 31, v70
	v_xor_b32_e32 v68, vcc_lo, v68
	v_cmp_gt_i32_e32 vcc_lo, 0, v73
	v_and_b32_e32 v2, v2, v178
	v_not_b32_e32 v73, v74
	v_ashrrev_i32_e32 v71, 31, v71
	v_xor_b32_e32 v70, s16, v70
	v_cmp_gt_i32_e64 s16, 0, v74
	v_and_b32_e32 v2, v2, v68
	v_not_b32_e32 v68, v75
	v_ashrrev_i32_e32 v73, 31, v73
	v_xor_b32_e32 v71, vcc_lo, v71
	v_cmp_gt_i32_e32 vcc_lo, 0, v75
	v_and_b32_e32 v2, v2, v70
	v_not_b32_e32 v70, v72
	v_ashrrev_i32_e32 v68, 31, v68
	v_xor_b32_e32 v73, s16, v73
	v_cmp_gt_i32_e64 s16, 0, v72
	v_and_b32_e32 v2, v2, v71
	v_ashrrev_i32_e32 v70, 31, v70
	v_xor_b32_e32 v68, vcc_lo, v68
	v_mad_u32_u24 v69, v69, 9, v158
	s_delay_alu instid0(VALU_DEP_4) | instskip(NEXT) | instid1(VALU_DEP_4)
	v_and_b32_e32 v2, v2, v73
	v_xor_b32_e32 v70, s16, v70
	s_delay_alu instid0(VALU_DEP_3) | instskip(NEXT) | instid1(VALU_DEP_3)
	v_lshl_add_u32 v178, v69, 2, 0x420
	v_and_b32_e32 v2, v2, v68
	s_delay_alu instid0(VALU_DEP_1) | instskip(NEXT) | instid1(VALU_DEP_1)
	v_and_b32_e32 v68, v2, v70
	v_mbcnt_lo_u32_b32 v2, v68, 0
	v_cmp_ne_u32_e64 s16, 0, v68
	s_delay_alu instid0(VALU_DEP_2) | instskip(NEXT) | instid1(VALU_DEP_2)
	v_cmp_eq_u32_e32 vcc_lo, 0, v2
	s_and_b32 s17, s16, vcc_lo
	s_delay_alu instid0(SALU_CYCLE_1)
	s_and_saveexec_b32 s16, s17
	s_cbranch_execz .LBB815_726
; %bb.725:                              ;   in Loop: Header=BB815_688 Depth=2
	v_bcnt_u32_b32 v68, v68, 0
	ds_store_b32 v178, v68
.LBB815_726:                            ;   in Loop: Header=BB815_688 Depth=2
	s_or_b32 exec_lo, exec_lo, s16
	v_xor_b32_e32 v39, 0x80000000, v39
	; wave barrier
	s_delay_alu instid0(VALU_DEP_1) | instskip(NEXT) | instid1(VALU_DEP_1)
	v_lshrrev_b64 v[68:69], s40, v[38:39]
	v_and_b32_e32 v68, s42, v68
	s_delay_alu instid0(VALU_DEP_1)
	v_and_b32_e32 v69, 1, v68
	v_lshlrev_b32_e32 v70, 30, v68
	v_lshlrev_b32_e32 v71, 29, v68
	;; [unrolled: 1-line block ×4, first 2 shown]
	v_add_co_u32 v69, s16, v69, -1
	s_delay_alu instid0(VALU_DEP_1)
	v_cndmask_b32_e64 v73, 0, 1, s16
	v_not_b32_e32 v180, v70
	v_cmp_gt_i32_e64 s16, 0, v70
	v_not_b32_e32 v70, v71
	v_lshlrev_b32_e32 v75, 26, v68
	v_cmp_ne_u32_e32 vcc_lo, 0, v73
	v_ashrrev_i32_e32 v180, 31, v180
	v_lshlrev_b32_e32 v179, 25, v68
	v_ashrrev_i32_e32 v70, 31, v70
	v_lshlrev_b32_e32 v73, 24, v68
	v_xor_b32_e32 v69, vcc_lo, v69
	v_cmp_gt_i32_e32 vcc_lo, 0, v71
	v_not_b32_e32 v71, v72
	v_xor_b32_e32 v180, s16, v180
	v_cmp_gt_i32_e64 s16, 0, v72
	v_and_b32_e32 v69, exec_lo, v69
	v_not_b32_e32 v72, v74
	v_ashrrev_i32_e32 v71, 31, v71
	v_xor_b32_e32 v70, vcc_lo, v70
	v_cmp_gt_i32_e32 vcc_lo, 0, v74
	v_and_b32_e32 v69, v69, v180
	v_not_b32_e32 v74, v75
	v_ashrrev_i32_e32 v72, 31, v72
	v_xor_b32_e32 v71, s16, v71
	v_cmp_gt_i32_e64 s16, 0, v75
	v_and_b32_e32 v69, v69, v70
	v_not_b32_e32 v70, v179
	v_ashrrev_i32_e32 v74, 31, v74
	v_xor_b32_e32 v72, vcc_lo, v72
	v_cmp_gt_i32_e32 vcc_lo, 0, v179
	v_and_b32_e32 v69, v69, v71
	v_not_b32_e32 v71, v73
	v_ashrrev_i32_e32 v70, 31, v70
	v_xor_b32_e32 v74, s16, v74
	v_mul_u32_u24_e32 v68, 9, v68
	v_and_b32_e32 v69, v69, v72
	v_cmp_gt_i32_e64 s16, 0, v73
	v_ashrrev_i32_e32 v71, 31, v71
	v_xor_b32_e32 v70, vcc_lo, v70
	v_add_lshl_u32 v72, v68, v158, 2
	v_and_b32_e32 v69, v69, v74
	s_delay_alu instid0(VALU_DEP_4) | instskip(SKIP_3) | instid1(VALU_DEP_2)
	v_xor_b32_e32 v68, s16, v71
	ds_load_b32 v179, v72 offset:1056
	v_and_b32_e32 v69, v69, v70
	v_add_nc_u32_e32 v181, 0x420, v72
	; wave barrier
	v_and_b32_e32 v68, v69, v68
	s_delay_alu instid0(VALU_DEP_1) | instskip(SKIP_1) | instid1(VALU_DEP_2)
	v_mbcnt_lo_u32_b32 v180, v68, 0
	v_cmp_ne_u32_e64 s16, 0, v68
	v_cmp_eq_u32_e32 vcc_lo, 0, v180
	s_delay_alu instid0(VALU_DEP_2) | instskip(NEXT) | instid1(SALU_CYCLE_1)
	s_and_b32 s17, s16, vcc_lo
	s_and_saveexec_b32 s16, s17
	s_cbranch_execz .LBB815_728
; %bb.727:                              ;   in Loop: Header=BB815_688 Depth=2
	s_waitcnt lgkmcnt(0)
	v_bcnt_u32_b32 v68, v68, v179
	ds_store_b32 v181, v68
.LBB815_728:                            ;   in Loop: Header=BB815_688 Depth=2
	s_or_b32 exec_lo, exec_lo, s16
	v_xor_b32_e32 v41, 0x80000000, v41
	; wave barrier
	s_delay_alu instid0(VALU_DEP_1) | instskip(NEXT) | instid1(VALU_DEP_1)
	v_lshrrev_b64 v[68:69], s40, v[40:41]
	v_and_b32_e32 v68, s42, v68
	s_delay_alu instid0(VALU_DEP_1)
	v_and_b32_e32 v69, 1, v68
	v_lshlrev_b32_e32 v70, 30, v68
	v_lshlrev_b32_e32 v71, 29, v68
	;; [unrolled: 1-line block ×4, first 2 shown]
	v_add_co_u32 v69, s16, v69, -1
	s_delay_alu instid0(VALU_DEP_1)
	v_cndmask_b32_e64 v73, 0, 1, s16
	v_not_b32_e32 v183, v70
	v_cmp_gt_i32_e64 s16, 0, v70
	v_not_b32_e32 v70, v71
	v_lshlrev_b32_e32 v75, 26, v68
	v_cmp_ne_u32_e32 vcc_lo, 0, v73
	v_ashrrev_i32_e32 v183, 31, v183
	v_lshlrev_b32_e32 v182, 25, v68
	v_ashrrev_i32_e32 v70, 31, v70
	v_lshlrev_b32_e32 v73, 24, v68
	v_xor_b32_e32 v69, vcc_lo, v69
	v_cmp_gt_i32_e32 vcc_lo, 0, v71
	v_not_b32_e32 v71, v72
	v_xor_b32_e32 v183, s16, v183
	v_cmp_gt_i32_e64 s16, 0, v72
	v_and_b32_e32 v69, exec_lo, v69
	v_not_b32_e32 v72, v74
	v_ashrrev_i32_e32 v71, 31, v71
	v_xor_b32_e32 v70, vcc_lo, v70
	v_cmp_gt_i32_e32 vcc_lo, 0, v74
	v_and_b32_e32 v69, v69, v183
	v_not_b32_e32 v74, v75
	v_ashrrev_i32_e32 v72, 31, v72
	v_xor_b32_e32 v71, s16, v71
	v_cmp_gt_i32_e64 s16, 0, v75
	v_and_b32_e32 v69, v69, v70
	v_not_b32_e32 v70, v182
	v_ashrrev_i32_e32 v74, 31, v74
	v_xor_b32_e32 v72, vcc_lo, v72
	v_cmp_gt_i32_e32 vcc_lo, 0, v182
	v_and_b32_e32 v69, v69, v71
	v_not_b32_e32 v71, v73
	v_ashrrev_i32_e32 v70, 31, v70
	v_xor_b32_e32 v74, s16, v74
	v_mul_u32_u24_e32 v68, 9, v68
	v_and_b32_e32 v69, v69, v72
	v_cmp_gt_i32_e64 s16, 0, v73
	v_ashrrev_i32_e32 v71, 31, v71
	v_xor_b32_e32 v70, vcc_lo, v70
	v_add_lshl_u32 v72, v68, v158, 2
	v_and_b32_e32 v69, v69, v74
	s_delay_alu instid0(VALU_DEP_4) | instskip(SKIP_3) | instid1(VALU_DEP_2)
	v_xor_b32_e32 v68, s16, v71
	ds_load_b32 v182, v72 offset:1056
	v_and_b32_e32 v69, v69, v70
	v_add_nc_u32_e32 v184, 0x420, v72
	; wave barrier
	v_and_b32_e32 v68, v69, v68
	s_delay_alu instid0(VALU_DEP_1) | instskip(SKIP_1) | instid1(VALU_DEP_2)
	v_mbcnt_lo_u32_b32 v183, v68, 0
	v_cmp_ne_u32_e64 s16, 0, v68
	v_cmp_eq_u32_e32 vcc_lo, 0, v183
	s_delay_alu instid0(VALU_DEP_2) | instskip(NEXT) | instid1(SALU_CYCLE_1)
	s_and_b32 s17, s16, vcc_lo
	s_and_saveexec_b32 s16, s17
	s_cbranch_execz .LBB815_730
; %bb.729:                              ;   in Loop: Header=BB815_688 Depth=2
	s_waitcnt lgkmcnt(0)
	v_bcnt_u32_b32 v68, v68, v182
	ds_store_b32 v184, v68
.LBB815_730:                            ;   in Loop: Header=BB815_688 Depth=2
	s_or_b32 exec_lo, exec_lo, s16
	v_xor_b32_e32 v43, 0x80000000, v43
	; wave barrier
	s_delay_alu instid0(VALU_DEP_1) | instskip(NEXT) | instid1(VALU_DEP_1)
	v_lshrrev_b64 v[68:69], s40, v[42:43]
	v_and_b32_e32 v68, s42, v68
	s_delay_alu instid0(VALU_DEP_1)
	v_and_b32_e32 v69, 1, v68
	v_lshlrev_b32_e32 v70, 30, v68
	v_lshlrev_b32_e32 v71, 29, v68
	;; [unrolled: 1-line block ×4, first 2 shown]
	v_add_co_u32 v69, s16, v69, -1
	s_delay_alu instid0(VALU_DEP_1)
	v_cndmask_b32_e64 v73, 0, 1, s16
	v_not_b32_e32 v186, v70
	v_cmp_gt_i32_e64 s16, 0, v70
	v_not_b32_e32 v70, v71
	v_lshlrev_b32_e32 v75, 26, v68
	v_cmp_ne_u32_e32 vcc_lo, 0, v73
	v_ashrrev_i32_e32 v186, 31, v186
	v_lshlrev_b32_e32 v185, 25, v68
	v_ashrrev_i32_e32 v70, 31, v70
	v_lshlrev_b32_e32 v73, 24, v68
	v_xor_b32_e32 v69, vcc_lo, v69
	v_cmp_gt_i32_e32 vcc_lo, 0, v71
	v_not_b32_e32 v71, v72
	v_xor_b32_e32 v186, s16, v186
	v_cmp_gt_i32_e64 s16, 0, v72
	v_and_b32_e32 v69, exec_lo, v69
	v_not_b32_e32 v72, v74
	v_ashrrev_i32_e32 v71, 31, v71
	v_xor_b32_e32 v70, vcc_lo, v70
	v_cmp_gt_i32_e32 vcc_lo, 0, v74
	v_and_b32_e32 v69, v69, v186
	v_not_b32_e32 v74, v75
	v_ashrrev_i32_e32 v72, 31, v72
	v_xor_b32_e32 v71, s16, v71
	v_cmp_gt_i32_e64 s16, 0, v75
	v_and_b32_e32 v69, v69, v70
	v_not_b32_e32 v70, v185
	v_ashrrev_i32_e32 v74, 31, v74
	v_xor_b32_e32 v72, vcc_lo, v72
	v_cmp_gt_i32_e32 vcc_lo, 0, v185
	v_and_b32_e32 v69, v69, v71
	v_not_b32_e32 v71, v73
	v_ashrrev_i32_e32 v70, 31, v70
	v_xor_b32_e32 v74, s16, v74
	v_mul_u32_u24_e32 v68, 9, v68
	v_and_b32_e32 v69, v69, v72
	v_cmp_gt_i32_e64 s16, 0, v73
	v_ashrrev_i32_e32 v71, 31, v71
	v_xor_b32_e32 v70, vcc_lo, v70
	v_add_lshl_u32 v72, v68, v158, 2
	v_and_b32_e32 v69, v69, v74
	s_delay_alu instid0(VALU_DEP_4) | instskip(SKIP_3) | instid1(VALU_DEP_2)
	v_xor_b32_e32 v68, s16, v71
	ds_load_b32 v185, v72 offset:1056
	v_and_b32_e32 v69, v69, v70
	v_add_nc_u32_e32 v187, 0x420, v72
	; wave barrier
	v_and_b32_e32 v68, v69, v68
	s_delay_alu instid0(VALU_DEP_1) | instskip(SKIP_1) | instid1(VALU_DEP_2)
	v_mbcnt_lo_u32_b32 v186, v68, 0
	v_cmp_ne_u32_e64 s16, 0, v68
	v_cmp_eq_u32_e32 vcc_lo, 0, v186
	s_delay_alu instid0(VALU_DEP_2) | instskip(NEXT) | instid1(SALU_CYCLE_1)
	s_and_b32 s17, s16, vcc_lo
	s_and_saveexec_b32 s16, s17
	s_cbranch_execz .LBB815_732
; %bb.731:                              ;   in Loop: Header=BB815_688 Depth=2
	s_waitcnt lgkmcnt(0)
	v_bcnt_u32_b32 v68, v68, v185
	ds_store_b32 v187, v68
.LBB815_732:                            ;   in Loop: Header=BB815_688 Depth=2
	s_or_b32 exec_lo, exec_lo, s16
	v_xor_b32_e32 v45, 0x80000000, v45
	; wave barrier
	s_delay_alu instid0(VALU_DEP_1) | instskip(NEXT) | instid1(VALU_DEP_1)
	v_lshrrev_b64 v[68:69], s40, v[44:45]
	v_and_b32_e32 v68, s42, v68
	s_delay_alu instid0(VALU_DEP_1)
	v_and_b32_e32 v69, 1, v68
	v_lshlrev_b32_e32 v70, 30, v68
	v_lshlrev_b32_e32 v71, 29, v68
	;; [unrolled: 1-line block ×4, first 2 shown]
	v_add_co_u32 v69, s16, v69, -1
	s_delay_alu instid0(VALU_DEP_1)
	v_cndmask_b32_e64 v73, 0, 1, s16
	v_not_b32_e32 v189, v70
	v_cmp_gt_i32_e64 s16, 0, v70
	v_not_b32_e32 v70, v71
	v_lshlrev_b32_e32 v75, 26, v68
	v_cmp_ne_u32_e32 vcc_lo, 0, v73
	v_ashrrev_i32_e32 v189, 31, v189
	v_lshlrev_b32_e32 v188, 25, v68
	v_ashrrev_i32_e32 v70, 31, v70
	v_lshlrev_b32_e32 v73, 24, v68
	v_xor_b32_e32 v69, vcc_lo, v69
	v_cmp_gt_i32_e32 vcc_lo, 0, v71
	v_not_b32_e32 v71, v72
	v_xor_b32_e32 v189, s16, v189
	v_cmp_gt_i32_e64 s16, 0, v72
	v_and_b32_e32 v69, exec_lo, v69
	v_not_b32_e32 v72, v74
	v_ashrrev_i32_e32 v71, 31, v71
	v_xor_b32_e32 v70, vcc_lo, v70
	v_cmp_gt_i32_e32 vcc_lo, 0, v74
	v_and_b32_e32 v69, v69, v189
	v_not_b32_e32 v74, v75
	v_ashrrev_i32_e32 v72, 31, v72
	v_xor_b32_e32 v71, s16, v71
	v_cmp_gt_i32_e64 s16, 0, v75
	v_and_b32_e32 v69, v69, v70
	v_not_b32_e32 v70, v188
	v_ashrrev_i32_e32 v74, 31, v74
	v_xor_b32_e32 v72, vcc_lo, v72
	v_cmp_gt_i32_e32 vcc_lo, 0, v188
	v_and_b32_e32 v69, v69, v71
	v_not_b32_e32 v71, v73
	v_ashrrev_i32_e32 v70, 31, v70
	v_xor_b32_e32 v74, s16, v74
	v_mul_u32_u24_e32 v68, 9, v68
	v_and_b32_e32 v69, v69, v72
	v_cmp_gt_i32_e64 s16, 0, v73
	v_ashrrev_i32_e32 v71, 31, v71
	v_xor_b32_e32 v70, vcc_lo, v70
	v_add_lshl_u32 v72, v68, v158, 2
	v_and_b32_e32 v69, v69, v74
	s_delay_alu instid0(VALU_DEP_4) | instskip(SKIP_3) | instid1(VALU_DEP_2)
	v_xor_b32_e32 v68, s16, v71
	ds_load_b32 v188, v72 offset:1056
	v_and_b32_e32 v69, v69, v70
	v_add_nc_u32_e32 v190, 0x420, v72
	; wave barrier
	v_and_b32_e32 v68, v69, v68
	s_delay_alu instid0(VALU_DEP_1) | instskip(SKIP_1) | instid1(VALU_DEP_2)
	v_mbcnt_lo_u32_b32 v189, v68, 0
	v_cmp_ne_u32_e64 s16, 0, v68
	v_cmp_eq_u32_e32 vcc_lo, 0, v189
	s_delay_alu instid0(VALU_DEP_2) | instskip(NEXT) | instid1(SALU_CYCLE_1)
	s_and_b32 s17, s16, vcc_lo
	s_and_saveexec_b32 s16, s17
	s_cbranch_execz .LBB815_734
; %bb.733:                              ;   in Loop: Header=BB815_688 Depth=2
	s_waitcnt lgkmcnt(0)
	v_bcnt_u32_b32 v68, v68, v188
	ds_store_b32 v190, v68
.LBB815_734:                            ;   in Loop: Header=BB815_688 Depth=2
	s_or_b32 exec_lo, exec_lo, s16
	v_xor_b32_e32 v47, 0x80000000, v47
	; wave barrier
	s_delay_alu instid0(VALU_DEP_1) | instskip(NEXT) | instid1(VALU_DEP_1)
	v_lshrrev_b64 v[68:69], s40, v[46:47]
	v_and_b32_e32 v68, s42, v68
	s_delay_alu instid0(VALU_DEP_1)
	v_and_b32_e32 v69, 1, v68
	v_lshlrev_b32_e32 v70, 30, v68
	v_lshlrev_b32_e32 v71, 29, v68
	;; [unrolled: 1-line block ×4, first 2 shown]
	v_add_co_u32 v69, s16, v69, -1
	s_delay_alu instid0(VALU_DEP_1)
	v_cndmask_b32_e64 v73, 0, 1, s16
	v_not_b32_e32 v192, v70
	v_cmp_gt_i32_e64 s16, 0, v70
	v_not_b32_e32 v70, v71
	v_lshlrev_b32_e32 v75, 26, v68
	v_cmp_ne_u32_e32 vcc_lo, 0, v73
	v_ashrrev_i32_e32 v192, 31, v192
	v_lshlrev_b32_e32 v191, 25, v68
	v_ashrrev_i32_e32 v70, 31, v70
	v_lshlrev_b32_e32 v73, 24, v68
	v_xor_b32_e32 v69, vcc_lo, v69
	v_cmp_gt_i32_e32 vcc_lo, 0, v71
	v_not_b32_e32 v71, v72
	v_xor_b32_e32 v192, s16, v192
	v_cmp_gt_i32_e64 s16, 0, v72
	v_and_b32_e32 v69, exec_lo, v69
	v_not_b32_e32 v72, v74
	v_ashrrev_i32_e32 v71, 31, v71
	v_xor_b32_e32 v70, vcc_lo, v70
	v_cmp_gt_i32_e32 vcc_lo, 0, v74
	v_and_b32_e32 v69, v69, v192
	v_not_b32_e32 v74, v75
	v_ashrrev_i32_e32 v72, 31, v72
	v_xor_b32_e32 v71, s16, v71
	v_cmp_gt_i32_e64 s16, 0, v75
	v_and_b32_e32 v69, v69, v70
	v_not_b32_e32 v70, v191
	v_ashrrev_i32_e32 v74, 31, v74
	v_xor_b32_e32 v72, vcc_lo, v72
	v_cmp_gt_i32_e32 vcc_lo, 0, v191
	v_and_b32_e32 v69, v69, v71
	v_not_b32_e32 v71, v73
	v_ashrrev_i32_e32 v70, 31, v70
	v_xor_b32_e32 v74, s16, v74
	v_mul_u32_u24_e32 v68, 9, v68
	v_and_b32_e32 v69, v69, v72
	v_cmp_gt_i32_e64 s16, 0, v73
	v_ashrrev_i32_e32 v71, 31, v71
	v_xor_b32_e32 v70, vcc_lo, v70
	v_add_lshl_u32 v72, v68, v158, 2
	v_and_b32_e32 v69, v69, v74
	s_delay_alu instid0(VALU_DEP_4) | instskip(SKIP_3) | instid1(VALU_DEP_2)
	v_xor_b32_e32 v68, s16, v71
	ds_load_b32 v191, v72 offset:1056
	v_and_b32_e32 v69, v69, v70
	v_add_nc_u32_e32 v193, 0x420, v72
	; wave barrier
	v_and_b32_e32 v68, v69, v68
	s_delay_alu instid0(VALU_DEP_1) | instskip(SKIP_1) | instid1(VALU_DEP_2)
	v_mbcnt_lo_u32_b32 v192, v68, 0
	v_cmp_ne_u32_e64 s16, 0, v68
	v_cmp_eq_u32_e32 vcc_lo, 0, v192
	s_delay_alu instid0(VALU_DEP_2) | instskip(NEXT) | instid1(SALU_CYCLE_1)
	s_and_b32 s17, s16, vcc_lo
	s_and_saveexec_b32 s16, s17
	s_cbranch_execz .LBB815_736
; %bb.735:                              ;   in Loop: Header=BB815_688 Depth=2
	s_waitcnt lgkmcnt(0)
	v_bcnt_u32_b32 v68, v68, v191
	ds_store_b32 v193, v68
.LBB815_736:                            ;   in Loop: Header=BB815_688 Depth=2
	s_or_b32 exec_lo, exec_lo, s16
	v_xor_b32_e32 v49, 0x80000000, v49
	; wave barrier
	s_delay_alu instid0(VALU_DEP_1) | instskip(NEXT) | instid1(VALU_DEP_1)
	v_lshrrev_b64 v[68:69], s40, v[48:49]
	v_and_b32_e32 v68, s42, v68
	s_delay_alu instid0(VALU_DEP_1)
	v_and_b32_e32 v69, 1, v68
	v_lshlrev_b32_e32 v70, 30, v68
	v_lshlrev_b32_e32 v71, 29, v68
	v_lshlrev_b32_e32 v72, 28, v68
	v_lshlrev_b32_e32 v74, 27, v68
	v_add_co_u32 v69, s16, v69, -1
	s_delay_alu instid0(VALU_DEP_1)
	v_cndmask_b32_e64 v73, 0, 1, s16
	v_not_b32_e32 v195, v70
	v_cmp_gt_i32_e64 s16, 0, v70
	v_not_b32_e32 v70, v71
	v_lshlrev_b32_e32 v75, 26, v68
	v_cmp_ne_u32_e32 vcc_lo, 0, v73
	v_ashrrev_i32_e32 v195, 31, v195
	v_lshlrev_b32_e32 v194, 25, v68
	v_ashrrev_i32_e32 v70, 31, v70
	v_lshlrev_b32_e32 v73, 24, v68
	v_xor_b32_e32 v69, vcc_lo, v69
	v_cmp_gt_i32_e32 vcc_lo, 0, v71
	v_not_b32_e32 v71, v72
	v_xor_b32_e32 v195, s16, v195
	v_cmp_gt_i32_e64 s16, 0, v72
	v_and_b32_e32 v69, exec_lo, v69
	v_not_b32_e32 v72, v74
	v_ashrrev_i32_e32 v71, 31, v71
	v_xor_b32_e32 v70, vcc_lo, v70
	v_cmp_gt_i32_e32 vcc_lo, 0, v74
	v_and_b32_e32 v69, v69, v195
	v_not_b32_e32 v74, v75
	v_ashrrev_i32_e32 v72, 31, v72
	v_xor_b32_e32 v71, s16, v71
	v_cmp_gt_i32_e64 s16, 0, v75
	v_and_b32_e32 v69, v69, v70
	v_not_b32_e32 v70, v194
	v_ashrrev_i32_e32 v74, 31, v74
	v_xor_b32_e32 v72, vcc_lo, v72
	v_cmp_gt_i32_e32 vcc_lo, 0, v194
	v_and_b32_e32 v69, v69, v71
	v_not_b32_e32 v71, v73
	v_ashrrev_i32_e32 v70, 31, v70
	v_xor_b32_e32 v74, s16, v74
	v_mul_u32_u24_e32 v68, 9, v68
	v_and_b32_e32 v69, v69, v72
	v_cmp_gt_i32_e64 s16, 0, v73
	v_ashrrev_i32_e32 v71, 31, v71
	v_xor_b32_e32 v70, vcc_lo, v70
	v_add_lshl_u32 v72, v68, v158, 2
	v_and_b32_e32 v69, v69, v74
	s_delay_alu instid0(VALU_DEP_4) | instskip(SKIP_3) | instid1(VALU_DEP_2)
	v_xor_b32_e32 v68, s16, v71
	ds_load_b32 v194, v72 offset:1056
	v_and_b32_e32 v69, v69, v70
	v_add_nc_u32_e32 v196, 0x420, v72
	; wave barrier
	v_and_b32_e32 v68, v69, v68
	s_delay_alu instid0(VALU_DEP_1) | instskip(SKIP_1) | instid1(VALU_DEP_2)
	v_mbcnt_lo_u32_b32 v195, v68, 0
	v_cmp_ne_u32_e64 s16, 0, v68
	v_cmp_eq_u32_e32 vcc_lo, 0, v195
	s_delay_alu instid0(VALU_DEP_2) | instskip(NEXT) | instid1(SALU_CYCLE_1)
	s_and_b32 s17, s16, vcc_lo
	s_and_saveexec_b32 s16, s17
	s_cbranch_execz .LBB815_738
; %bb.737:                              ;   in Loop: Header=BB815_688 Depth=2
	s_waitcnt lgkmcnt(0)
	v_bcnt_u32_b32 v68, v68, v194
	ds_store_b32 v196, v68
.LBB815_738:                            ;   in Loop: Header=BB815_688 Depth=2
	s_or_b32 exec_lo, exec_lo, s16
	v_xor_b32_e32 v51, 0x80000000, v51
	; wave barrier
	s_delay_alu instid0(VALU_DEP_1) | instskip(NEXT) | instid1(VALU_DEP_1)
	v_lshrrev_b64 v[68:69], s40, v[50:51]
	v_and_b32_e32 v68, s42, v68
	s_delay_alu instid0(VALU_DEP_1)
	v_and_b32_e32 v69, 1, v68
	v_lshlrev_b32_e32 v70, 30, v68
	v_lshlrev_b32_e32 v71, 29, v68
	v_lshlrev_b32_e32 v72, 28, v68
	v_lshlrev_b32_e32 v74, 27, v68
	v_add_co_u32 v69, s16, v69, -1
	s_delay_alu instid0(VALU_DEP_1)
	v_cndmask_b32_e64 v73, 0, 1, s16
	v_not_b32_e32 v198, v70
	v_cmp_gt_i32_e64 s16, 0, v70
	v_not_b32_e32 v70, v71
	v_lshlrev_b32_e32 v75, 26, v68
	v_cmp_ne_u32_e32 vcc_lo, 0, v73
	v_ashrrev_i32_e32 v198, 31, v198
	v_lshlrev_b32_e32 v197, 25, v68
	v_ashrrev_i32_e32 v70, 31, v70
	v_lshlrev_b32_e32 v73, 24, v68
	v_xor_b32_e32 v69, vcc_lo, v69
	v_cmp_gt_i32_e32 vcc_lo, 0, v71
	v_not_b32_e32 v71, v72
	v_xor_b32_e32 v198, s16, v198
	v_cmp_gt_i32_e64 s16, 0, v72
	v_and_b32_e32 v69, exec_lo, v69
	v_not_b32_e32 v72, v74
	v_ashrrev_i32_e32 v71, 31, v71
	v_xor_b32_e32 v70, vcc_lo, v70
	v_cmp_gt_i32_e32 vcc_lo, 0, v74
	v_and_b32_e32 v69, v69, v198
	v_not_b32_e32 v74, v75
	v_ashrrev_i32_e32 v72, 31, v72
	v_xor_b32_e32 v71, s16, v71
	v_cmp_gt_i32_e64 s16, 0, v75
	v_and_b32_e32 v69, v69, v70
	v_not_b32_e32 v70, v197
	v_ashrrev_i32_e32 v74, 31, v74
	v_xor_b32_e32 v72, vcc_lo, v72
	v_cmp_gt_i32_e32 vcc_lo, 0, v197
	v_and_b32_e32 v69, v69, v71
	v_not_b32_e32 v71, v73
	v_ashrrev_i32_e32 v70, 31, v70
	v_xor_b32_e32 v74, s16, v74
	v_mul_u32_u24_e32 v68, 9, v68
	v_and_b32_e32 v69, v69, v72
	v_cmp_gt_i32_e64 s16, 0, v73
	v_ashrrev_i32_e32 v71, 31, v71
	v_xor_b32_e32 v70, vcc_lo, v70
	v_add_lshl_u32 v72, v68, v158, 2
	v_and_b32_e32 v69, v69, v74
	s_delay_alu instid0(VALU_DEP_4) | instskip(SKIP_3) | instid1(VALU_DEP_2)
	v_xor_b32_e32 v68, s16, v71
	ds_load_b32 v197, v72 offset:1056
	v_and_b32_e32 v69, v69, v70
	v_add_nc_u32_e32 v199, 0x420, v72
	; wave barrier
	v_and_b32_e32 v68, v69, v68
	s_delay_alu instid0(VALU_DEP_1) | instskip(SKIP_1) | instid1(VALU_DEP_2)
	v_mbcnt_lo_u32_b32 v198, v68, 0
	v_cmp_ne_u32_e64 s16, 0, v68
	v_cmp_eq_u32_e32 vcc_lo, 0, v198
	s_delay_alu instid0(VALU_DEP_2) | instskip(NEXT) | instid1(SALU_CYCLE_1)
	s_and_b32 s17, s16, vcc_lo
	s_and_saveexec_b32 s16, s17
	s_cbranch_execz .LBB815_740
; %bb.739:                              ;   in Loop: Header=BB815_688 Depth=2
	s_waitcnt lgkmcnt(0)
	v_bcnt_u32_b32 v68, v68, v197
	ds_store_b32 v199, v68
.LBB815_740:                            ;   in Loop: Header=BB815_688 Depth=2
	s_or_b32 exec_lo, exec_lo, s16
	v_xor_b32_e32 v53, 0x80000000, v53
	; wave barrier
	s_delay_alu instid0(VALU_DEP_1) | instskip(NEXT) | instid1(VALU_DEP_1)
	v_lshrrev_b64 v[68:69], s40, v[52:53]
	v_and_b32_e32 v68, s42, v68
	s_delay_alu instid0(VALU_DEP_1)
	v_and_b32_e32 v69, 1, v68
	v_lshlrev_b32_e32 v70, 30, v68
	v_lshlrev_b32_e32 v71, 29, v68
	;; [unrolled: 1-line block ×4, first 2 shown]
	v_add_co_u32 v69, s16, v69, -1
	s_delay_alu instid0(VALU_DEP_1)
	v_cndmask_b32_e64 v73, 0, 1, s16
	v_not_b32_e32 v201, v70
	v_cmp_gt_i32_e64 s16, 0, v70
	v_not_b32_e32 v70, v71
	v_lshlrev_b32_e32 v75, 26, v68
	v_cmp_ne_u32_e32 vcc_lo, 0, v73
	v_ashrrev_i32_e32 v201, 31, v201
	v_lshlrev_b32_e32 v200, 25, v68
	v_ashrrev_i32_e32 v70, 31, v70
	v_lshlrev_b32_e32 v73, 24, v68
	v_xor_b32_e32 v69, vcc_lo, v69
	v_cmp_gt_i32_e32 vcc_lo, 0, v71
	v_not_b32_e32 v71, v72
	v_xor_b32_e32 v201, s16, v201
	v_cmp_gt_i32_e64 s16, 0, v72
	v_and_b32_e32 v69, exec_lo, v69
	v_not_b32_e32 v72, v74
	v_ashrrev_i32_e32 v71, 31, v71
	v_xor_b32_e32 v70, vcc_lo, v70
	v_cmp_gt_i32_e32 vcc_lo, 0, v74
	v_and_b32_e32 v69, v69, v201
	v_not_b32_e32 v74, v75
	v_ashrrev_i32_e32 v72, 31, v72
	v_xor_b32_e32 v71, s16, v71
	v_cmp_gt_i32_e64 s16, 0, v75
	v_and_b32_e32 v69, v69, v70
	v_not_b32_e32 v70, v200
	v_ashrrev_i32_e32 v74, 31, v74
	v_xor_b32_e32 v72, vcc_lo, v72
	v_cmp_gt_i32_e32 vcc_lo, 0, v200
	v_and_b32_e32 v69, v69, v71
	v_not_b32_e32 v71, v73
	v_ashrrev_i32_e32 v70, 31, v70
	v_xor_b32_e32 v74, s16, v74
	v_mul_u32_u24_e32 v68, 9, v68
	v_and_b32_e32 v69, v69, v72
	v_cmp_gt_i32_e64 s16, 0, v73
	v_ashrrev_i32_e32 v71, 31, v71
	v_xor_b32_e32 v70, vcc_lo, v70
	v_add_lshl_u32 v72, v68, v158, 2
	v_and_b32_e32 v69, v69, v74
	s_delay_alu instid0(VALU_DEP_4) | instskip(SKIP_3) | instid1(VALU_DEP_2)
	v_xor_b32_e32 v68, s16, v71
	ds_load_b32 v200, v72 offset:1056
	v_and_b32_e32 v69, v69, v70
	v_add_nc_u32_e32 v202, 0x420, v72
	; wave barrier
	v_and_b32_e32 v68, v69, v68
	s_delay_alu instid0(VALU_DEP_1) | instskip(SKIP_1) | instid1(VALU_DEP_2)
	v_mbcnt_lo_u32_b32 v201, v68, 0
	v_cmp_ne_u32_e64 s16, 0, v68
	v_cmp_eq_u32_e32 vcc_lo, 0, v201
	s_delay_alu instid0(VALU_DEP_2) | instskip(NEXT) | instid1(SALU_CYCLE_1)
	s_and_b32 s17, s16, vcc_lo
	s_and_saveexec_b32 s16, s17
	s_cbranch_execz .LBB815_742
; %bb.741:                              ;   in Loop: Header=BB815_688 Depth=2
	s_waitcnt lgkmcnt(0)
	v_bcnt_u32_b32 v68, v68, v200
	ds_store_b32 v202, v68
.LBB815_742:                            ;   in Loop: Header=BB815_688 Depth=2
	s_or_b32 exec_lo, exec_lo, s16
	v_xor_b32_e32 v55, 0x80000000, v55
	; wave barrier
	s_delay_alu instid0(VALU_DEP_1) | instskip(NEXT) | instid1(VALU_DEP_1)
	v_lshrrev_b64 v[68:69], s40, v[54:55]
	v_and_b32_e32 v68, s42, v68
	s_delay_alu instid0(VALU_DEP_1)
	v_and_b32_e32 v69, 1, v68
	v_lshlrev_b32_e32 v70, 30, v68
	v_lshlrev_b32_e32 v71, 29, v68
	;; [unrolled: 1-line block ×4, first 2 shown]
	v_add_co_u32 v69, s16, v69, -1
	s_delay_alu instid0(VALU_DEP_1)
	v_cndmask_b32_e64 v73, 0, 1, s16
	v_not_b32_e32 v204, v70
	v_cmp_gt_i32_e64 s16, 0, v70
	v_not_b32_e32 v70, v71
	v_lshlrev_b32_e32 v75, 26, v68
	v_cmp_ne_u32_e32 vcc_lo, 0, v73
	v_ashrrev_i32_e32 v204, 31, v204
	v_lshlrev_b32_e32 v203, 25, v68
	v_ashrrev_i32_e32 v70, 31, v70
	v_lshlrev_b32_e32 v73, 24, v68
	v_xor_b32_e32 v69, vcc_lo, v69
	v_cmp_gt_i32_e32 vcc_lo, 0, v71
	v_not_b32_e32 v71, v72
	v_xor_b32_e32 v204, s16, v204
	v_cmp_gt_i32_e64 s16, 0, v72
	v_and_b32_e32 v69, exec_lo, v69
	v_not_b32_e32 v72, v74
	v_ashrrev_i32_e32 v71, 31, v71
	v_xor_b32_e32 v70, vcc_lo, v70
	v_cmp_gt_i32_e32 vcc_lo, 0, v74
	v_and_b32_e32 v69, v69, v204
	v_not_b32_e32 v74, v75
	v_ashrrev_i32_e32 v72, 31, v72
	v_xor_b32_e32 v71, s16, v71
	v_cmp_gt_i32_e64 s16, 0, v75
	v_and_b32_e32 v69, v69, v70
	v_not_b32_e32 v70, v203
	v_ashrrev_i32_e32 v74, 31, v74
	v_xor_b32_e32 v72, vcc_lo, v72
	v_cmp_gt_i32_e32 vcc_lo, 0, v203
	v_and_b32_e32 v69, v69, v71
	v_not_b32_e32 v71, v73
	v_ashrrev_i32_e32 v70, 31, v70
	v_xor_b32_e32 v74, s16, v74
	v_mul_u32_u24_e32 v68, 9, v68
	v_and_b32_e32 v69, v69, v72
	v_cmp_gt_i32_e64 s16, 0, v73
	v_ashrrev_i32_e32 v71, 31, v71
	v_xor_b32_e32 v70, vcc_lo, v70
	v_add_lshl_u32 v72, v68, v158, 2
	v_and_b32_e32 v69, v69, v74
	s_delay_alu instid0(VALU_DEP_4) | instskip(SKIP_3) | instid1(VALU_DEP_2)
	v_xor_b32_e32 v68, s16, v71
	ds_load_b32 v203, v72 offset:1056
	v_and_b32_e32 v69, v69, v70
	v_add_nc_u32_e32 v205, 0x420, v72
	; wave barrier
	v_and_b32_e32 v68, v69, v68
	s_delay_alu instid0(VALU_DEP_1) | instskip(SKIP_1) | instid1(VALU_DEP_2)
	v_mbcnt_lo_u32_b32 v204, v68, 0
	v_cmp_ne_u32_e64 s16, 0, v68
	v_cmp_eq_u32_e32 vcc_lo, 0, v204
	s_delay_alu instid0(VALU_DEP_2) | instskip(NEXT) | instid1(SALU_CYCLE_1)
	s_and_b32 s17, s16, vcc_lo
	s_and_saveexec_b32 s16, s17
	s_cbranch_execz .LBB815_744
; %bb.743:                              ;   in Loop: Header=BB815_688 Depth=2
	s_waitcnt lgkmcnt(0)
	v_bcnt_u32_b32 v68, v68, v203
	ds_store_b32 v205, v68
.LBB815_744:                            ;   in Loop: Header=BB815_688 Depth=2
	s_or_b32 exec_lo, exec_lo, s16
	v_xor_b32_e32 v57, 0x80000000, v57
	; wave barrier
	s_delay_alu instid0(VALU_DEP_1) | instskip(NEXT) | instid1(VALU_DEP_1)
	v_lshrrev_b64 v[68:69], s40, v[56:57]
	v_and_b32_e32 v68, s42, v68
	s_delay_alu instid0(VALU_DEP_1)
	v_and_b32_e32 v69, 1, v68
	v_lshlrev_b32_e32 v70, 30, v68
	v_lshlrev_b32_e32 v71, 29, v68
	;; [unrolled: 1-line block ×4, first 2 shown]
	v_add_co_u32 v69, s16, v69, -1
	s_delay_alu instid0(VALU_DEP_1)
	v_cndmask_b32_e64 v73, 0, 1, s16
	v_not_b32_e32 v207, v70
	v_cmp_gt_i32_e64 s16, 0, v70
	v_not_b32_e32 v70, v71
	v_lshlrev_b32_e32 v75, 26, v68
	v_cmp_ne_u32_e32 vcc_lo, 0, v73
	v_ashrrev_i32_e32 v207, 31, v207
	v_lshlrev_b32_e32 v206, 25, v68
	v_ashrrev_i32_e32 v70, 31, v70
	v_lshlrev_b32_e32 v73, 24, v68
	v_xor_b32_e32 v69, vcc_lo, v69
	v_cmp_gt_i32_e32 vcc_lo, 0, v71
	v_not_b32_e32 v71, v72
	v_xor_b32_e32 v207, s16, v207
	v_cmp_gt_i32_e64 s16, 0, v72
	v_and_b32_e32 v69, exec_lo, v69
	v_not_b32_e32 v72, v74
	v_ashrrev_i32_e32 v71, 31, v71
	v_xor_b32_e32 v70, vcc_lo, v70
	v_cmp_gt_i32_e32 vcc_lo, 0, v74
	v_and_b32_e32 v69, v69, v207
	v_not_b32_e32 v74, v75
	v_ashrrev_i32_e32 v72, 31, v72
	v_xor_b32_e32 v71, s16, v71
	v_cmp_gt_i32_e64 s16, 0, v75
	v_and_b32_e32 v69, v69, v70
	v_not_b32_e32 v70, v206
	v_ashrrev_i32_e32 v74, 31, v74
	v_xor_b32_e32 v72, vcc_lo, v72
	v_cmp_gt_i32_e32 vcc_lo, 0, v206
	v_and_b32_e32 v69, v69, v71
	v_not_b32_e32 v71, v73
	v_ashrrev_i32_e32 v70, 31, v70
	v_xor_b32_e32 v74, s16, v74
	v_mul_u32_u24_e32 v68, 9, v68
	v_and_b32_e32 v69, v69, v72
	v_cmp_gt_i32_e64 s16, 0, v73
	v_ashrrev_i32_e32 v71, 31, v71
	v_xor_b32_e32 v70, vcc_lo, v70
	v_add_lshl_u32 v72, v68, v158, 2
	v_and_b32_e32 v69, v69, v74
	s_delay_alu instid0(VALU_DEP_4) | instskip(SKIP_3) | instid1(VALU_DEP_2)
	v_xor_b32_e32 v68, s16, v71
	ds_load_b32 v206, v72 offset:1056
	v_and_b32_e32 v69, v69, v70
	v_add_nc_u32_e32 v208, 0x420, v72
	; wave barrier
	v_and_b32_e32 v68, v69, v68
	s_delay_alu instid0(VALU_DEP_1) | instskip(SKIP_1) | instid1(VALU_DEP_2)
	v_mbcnt_lo_u32_b32 v207, v68, 0
	v_cmp_ne_u32_e64 s16, 0, v68
	v_cmp_eq_u32_e32 vcc_lo, 0, v207
	s_delay_alu instid0(VALU_DEP_2) | instskip(NEXT) | instid1(SALU_CYCLE_1)
	s_and_b32 s17, s16, vcc_lo
	s_and_saveexec_b32 s16, s17
	s_cbranch_execz .LBB815_746
; %bb.745:                              ;   in Loop: Header=BB815_688 Depth=2
	s_waitcnt lgkmcnt(0)
	v_bcnt_u32_b32 v68, v68, v206
	ds_store_b32 v208, v68
.LBB815_746:                            ;   in Loop: Header=BB815_688 Depth=2
	s_or_b32 exec_lo, exec_lo, s16
	v_xor_b32_e32 v59, 0x80000000, v59
	; wave barrier
	s_delay_alu instid0(VALU_DEP_1) | instskip(NEXT) | instid1(VALU_DEP_1)
	v_lshrrev_b64 v[68:69], s40, v[58:59]
	v_and_b32_e32 v68, s42, v68
	s_delay_alu instid0(VALU_DEP_1)
	v_and_b32_e32 v69, 1, v68
	v_lshlrev_b32_e32 v70, 30, v68
	v_lshlrev_b32_e32 v71, 29, v68
	;; [unrolled: 1-line block ×4, first 2 shown]
	v_add_co_u32 v69, s16, v69, -1
	s_delay_alu instid0(VALU_DEP_1)
	v_cndmask_b32_e64 v73, 0, 1, s16
	v_not_b32_e32 v210, v70
	v_cmp_gt_i32_e64 s16, 0, v70
	v_not_b32_e32 v70, v71
	v_lshlrev_b32_e32 v75, 26, v68
	v_cmp_ne_u32_e32 vcc_lo, 0, v73
	v_ashrrev_i32_e32 v210, 31, v210
	v_lshlrev_b32_e32 v209, 25, v68
	v_ashrrev_i32_e32 v70, 31, v70
	v_lshlrev_b32_e32 v73, 24, v68
	v_xor_b32_e32 v69, vcc_lo, v69
	v_cmp_gt_i32_e32 vcc_lo, 0, v71
	v_not_b32_e32 v71, v72
	v_xor_b32_e32 v210, s16, v210
	v_cmp_gt_i32_e64 s16, 0, v72
	v_and_b32_e32 v69, exec_lo, v69
	v_not_b32_e32 v72, v74
	v_ashrrev_i32_e32 v71, 31, v71
	v_xor_b32_e32 v70, vcc_lo, v70
	v_cmp_gt_i32_e32 vcc_lo, 0, v74
	v_and_b32_e32 v69, v69, v210
	v_not_b32_e32 v74, v75
	v_ashrrev_i32_e32 v72, 31, v72
	v_xor_b32_e32 v71, s16, v71
	v_cmp_gt_i32_e64 s16, 0, v75
	v_and_b32_e32 v69, v69, v70
	v_not_b32_e32 v70, v209
	v_ashrrev_i32_e32 v74, 31, v74
	v_xor_b32_e32 v72, vcc_lo, v72
	v_cmp_gt_i32_e32 vcc_lo, 0, v209
	v_and_b32_e32 v69, v69, v71
	v_not_b32_e32 v71, v73
	v_ashrrev_i32_e32 v70, 31, v70
	v_xor_b32_e32 v74, s16, v74
	v_mul_u32_u24_e32 v68, 9, v68
	v_and_b32_e32 v69, v69, v72
	v_cmp_gt_i32_e64 s16, 0, v73
	v_ashrrev_i32_e32 v71, 31, v71
	v_xor_b32_e32 v70, vcc_lo, v70
	v_add_lshl_u32 v72, v68, v158, 2
	v_and_b32_e32 v69, v69, v74
	s_delay_alu instid0(VALU_DEP_4) | instskip(SKIP_3) | instid1(VALU_DEP_2)
	v_xor_b32_e32 v68, s16, v71
	ds_load_b32 v209, v72 offset:1056
	v_and_b32_e32 v69, v69, v70
	v_add_nc_u32_e32 v211, 0x420, v72
	; wave barrier
	v_and_b32_e32 v68, v69, v68
	s_delay_alu instid0(VALU_DEP_1) | instskip(SKIP_1) | instid1(VALU_DEP_2)
	v_mbcnt_lo_u32_b32 v210, v68, 0
	v_cmp_ne_u32_e64 s16, 0, v68
	v_cmp_eq_u32_e32 vcc_lo, 0, v210
	s_delay_alu instid0(VALU_DEP_2) | instskip(NEXT) | instid1(SALU_CYCLE_1)
	s_and_b32 s17, s16, vcc_lo
	s_and_saveexec_b32 s16, s17
	s_cbranch_execz .LBB815_748
; %bb.747:                              ;   in Loop: Header=BB815_688 Depth=2
	s_waitcnt lgkmcnt(0)
	v_bcnt_u32_b32 v68, v68, v209
	ds_store_b32 v211, v68
.LBB815_748:                            ;   in Loop: Header=BB815_688 Depth=2
	s_or_b32 exec_lo, exec_lo, s16
	v_xor_b32_e32 v61, 0x80000000, v61
	; wave barrier
	s_delay_alu instid0(VALU_DEP_1) | instskip(NEXT) | instid1(VALU_DEP_1)
	v_lshrrev_b64 v[68:69], s40, v[60:61]
	v_and_b32_e32 v68, s42, v68
	s_delay_alu instid0(VALU_DEP_1)
	v_and_b32_e32 v69, 1, v68
	v_lshlrev_b32_e32 v70, 30, v68
	v_lshlrev_b32_e32 v71, 29, v68
	;; [unrolled: 1-line block ×4, first 2 shown]
	v_add_co_u32 v69, s16, v69, -1
	s_delay_alu instid0(VALU_DEP_1)
	v_cndmask_b32_e64 v73, 0, 1, s16
	v_not_b32_e32 v213, v70
	v_cmp_gt_i32_e64 s16, 0, v70
	v_not_b32_e32 v70, v71
	v_lshlrev_b32_e32 v75, 26, v68
	v_cmp_ne_u32_e32 vcc_lo, 0, v73
	v_ashrrev_i32_e32 v213, 31, v213
	v_lshlrev_b32_e32 v212, 25, v68
	v_ashrrev_i32_e32 v70, 31, v70
	v_lshlrev_b32_e32 v73, 24, v68
	v_xor_b32_e32 v69, vcc_lo, v69
	v_cmp_gt_i32_e32 vcc_lo, 0, v71
	v_not_b32_e32 v71, v72
	v_xor_b32_e32 v213, s16, v213
	v_cmp_gt_i32_e64 s16, 0, v72
	v_and_b32_e32 v69, exec_lo, v69
	v_not_b32_e32 v72, v74
	v_ashrrev_i32_e32 v71, 31, v71
	v_xor_b32_e32 v70, vcc_lo, v70
	v_cmp_gt_i32_e32 vcc_lo, 0, v74
	v_and_b32_e32 v69, v69, v213
	v_not_b32_e32 v74, v75
	v_ashrrev_i32_e32 v72, 31, v72
	v_xor_b32_e32 v71, s16, v71
	v_cmp_gt_i32_e64 s16, 0, v75
	v_and_b32_e32 v69, v69, v70
	v_not_b32_e32 v70, v212
	v_ashrrev_i32_e32 v74, 31, v74
	v_xor_b32_e32 v72, vcc_lo, v72
	v_cmp_gt_i32_e32 vcc_lo, 0, v212
	v_and_b32_e32 v69, v69, v71
	v_not_b32_e32 v71, v73
	v_ashrrev_i32_e32 v70, 31, v70
	v_xor_b32_e32 v74, s16, v74
	v_mul_u32_u24_e32 v68, 9, v68
	v_and_b32_e32 v69, v69, v72
	v_cmp_gt_i32_e64 s16, 0, v73
	v_ashrrev_i32_e32 v71, 31, v71
	v_xor_b32_e32 v70, vcc_lo, v70
	v_add_lshl_u32 v72, v68, v158, 2
	v_and_b32_e32 v69, v69, v74
	s_delay_alu instid0(VALU_DEP_4) | instskip(SKIP_3) | instid1(VALU_DEP_2)
	v_xor_b32_e32 v68, s16, v71
	ds_load_b32 v212, v72 offset:1056
	v_and_b32_e32 v69, v69, v70
	v_add_nc_u32_e32 v214, 0x420, v72
	; wave barrier
	v_and_b32_e32 v68, v69, v68
	s_delay_alu instid0(VALU_DEP_1) | instskip(SKIP_1) | instid1(VALU_DEP_2)
	v_mbcnt_lo_u32_b32 v213, v68, 0
	v_cmp_ne_u32_e64 s16, 0, v68
	v_cmp_eq_u32_e32 vcc_lo, 0, v213
	s_delay_alu instid0(VALU_DEP_2) | instskip(NEXT) | instid1(SALU_CYCLE_1)
	s_and_b32 s17, s16, vcc_lo
	s_and_saveexec_b32 s16, s17
	s_cbranch_execz .LBB815_750
; %bb.749:                              ;   in Loop: Header=BB815_688 Depth=2
	s_waitcnt lgkmcnt(0)
	v_bcnt_u32_b32 v68, v68, v212
	ds_store_b32 v214, v68
.LBB815_750:                            ;   in Loop: Header=BB815_688 Depth=2
	s_or_b32 exec_lo, exec_lo, s16
	v_xor_b32_e32 v63, 0x80000000, v63
	; wave barrier
	s_delay_alu instid0(VALU_DEP_1) | instskip(NEXT) | instid1(VALU_DEP_1)
	v_lshrrev_b64 v[68:69], s40, v[62:63]
	v_and_b32_e32 v68, s42, v68
	s_delay_alu instid0(VALU_DEP_1)
	v_and_b32_e32 v69, 1, v68
	v_lshlrev_b32_e32 v70, 30, v68
	v_lshlrev_b32_e32 v71, 29, v68
	;; [unrolled: 1-line block ×4, first 2 shown]
	v_add_co_u32 v69, s16, v69, -1
	s_delay_alu instid0(VALU_DEP_1)
	v_cndmask_b32_e64 v73, 0, 1, s16
	v_not_b32_e32 v216, v70
	v_cmp_gt_i32_e64 s16, 0, v70
	v_not_b32_e32 v70, v71
	v_lshlrev_b32_e32 v75, 26, v68
	v_cmp_ne_u32_e32 vcc_lo, 0, v73
	v_ashrrev_i32_e32 v216, 31, v216
	v_lshlrev_b32_e32 v215, 25, v68
	v_ashrrev_i32_e32 v70, 31, v70
	v_lshlrev_b32_e32 v73, 24, v68
	v_xor_b32_e32 v69, vcc_lo, v69
	v_cmp_gt_i32_e32 vcc_lo, 0, v71
	v_not_b32_e32 v71, v72
	v_xor_b32_e32 v216, s16, v216
	v_cmp_gt_i32_e64 s16, 0, v72
	v_and_b32_e32 v69, exec_lo, v69
	v_not_b32_e32 v72, v74
	v_ashrrev_i32_e32 v71, 31, v71
	v_xor_b32_e32 v70, vcc_lo, v70
	v_cmp_gt_i32_e32 vcc_lo, 0, v74
	v_and_b32_e32 v69, v69, v216
	v_not_b32_e32 v74, v75
	v_ashrrev_i32_e32 v72, 31, v72
	v_xor_b32_e32 v71, s16, v71
	v_cmp_gt_i32_e64 s16, 0, v75
	v_and_b32_e32 v69, v69, v70
	v_not_b32_e32 v70, v215
	v_ashrrev_i32_e32 v74, 31, v74
	v_xor_b32_e32 v72, vcc_lo, v72
	v_cmp_gt_i32_e32 vcc_lo, 0, v215
	v_and_b32_e32 v69, v69, v71
	v_not_b32_e32 v71, v73
	v_ashrrev_i32_e32 v70, 31, v70
	v_xor_b32_e32 v74, s16, v74
	v_mul_u32_u24_e32 v68, 9, v68
	v_and_b32_e32 v69, v69, v72
	v_cmp_gt_i32_e64 s16, 0, v73
	v_ashrrev_i32_e32 v71, 31, v71
	v_xor_b32_e32 v70, vcc_lo, v70
	v_add_lshl_u32 v72, v68, v158, 2
	v_and_b32_e32 v69, v69, v74
	s_delay_alu instid0(VALU_DEP_4) | instskip(SKIP_3) | instid1(VALU_DEP_2)
	v_xor_b32_e32 v68, s16, v71
	ds_load_b32 v215, v72 offset:1056
	v_and_b32_e32 v69, v69, v70
	v_add_nc_u32_e32 v217, 0x420, v72
	; wave barrier
	v_and_b32_e32 v68, v69, v68
	s_delay_alu instid0(VALU_DEP_1) | instskip(SKIP_1) | instid1(VALU_DEP_2)
	v_mbcnt_lo_u32_b32 v216, v68, 0
	v_cmp_ne_u32_e64 s16, 0, v68
	v_cmp_eq_u32_e32 vcc_lo, 0, v216
	s_delay_alu instid0(VALU_DEP_2) | instskip(NEXT) | instid1(SALU_CYCLE_1)
	s_and_b32 s17, s16, vcc_lo
	s_and_saveexec_b32 s16, s17
	s_cbranch_execz .LBB815_752
; %bb.751:                              ;   in Loop: Header=BB815_688 Depth=2
	s_waitcnt lgkmcnt(0)
	v_bcnt_u32_b32 v68, v68, v215
	ds_store_b32 v217, v68
.LBB815_752:                            ;   in Loop: Header=BB815_688 Depth=2
	s_or_b32 exec_lo, exec_lo, s16
	v_xor_b32_e32 v65, 0x80000000, v65
	; wave barrier
	s_delay_alu instid0(VALU_DEP_1) | instskip(NEXT) | instid1(VALU_DEP_1)
	v_lshrrev_b64 v[68:69], s40, v[64:65]
	v_and_b32_e32 v68, s42, v68
	s_delay_alu instid0(VALU_DEP_1)
	v_and_b32_e32 v69, 1, v68
	v_lshlrev_b32_e32 v70, 30, v68
	v_lshlrev_b32_e32 v71, 29, v68
	;; [unrolled: 1-line block ×4, first 2 shown]
	v_add_co_u32 v69, s16, v69, -1
	s_delay_alu instid0(VALU_DEP_1)
	v_cndmask_b32_e64 v73, 0, 1, s16
	v_not_b32_e32 v219, v70
	v_cmp_gt_i32_e64 s16, 0, v70
	v_not_b32_e32 v70, v71
	v_lshlrev_b32_e32 v75, 26, v68
	v_cmp_ne_u32_e32 vcc_lo, 0, v73
	v_ashrrev_i32_e32 v219, 31, v219
	v_lshlrev_b32_e32 v218, 25, v68
	v_ashrrev_i32_e32 v70, 31, v70
	v_lshlrev_b32_e32 v73, 24, v68
	v_xor_b32_e32 v69, vcc_lo, v69
	v_cmp_gt_i32_e32 vcc_lo, 0, v71
	v_not_b32_e32 v71, v72
	v_xor_b32_e32 v219, s16, v219
	v_cmp_gt_i32_e64 s16, 0, v72
	v_and_b32_e32 v69, exec_lo, v69
	v_not_b32_e32 v72, v74
	v_ashrrev_i32_e32 v71, 31, v71
	v_xor_b32_e32 v70, vcc_lo, v70
	v_cmp_gt_i32_e32 vcc_lo, 0, v74
	v_and_b32_e32 v69, v69, v219
	v_not_b32_e32 v74, v75
	v_ashrrev_i32_e32 v72, 31, v72
	v_xor_b32_e32 v71, s16, v71
	v_cmp_gt_i32_e64 s16, 0, v75
	v_and_b32_e32 v69, v69, v70
	v_not_b32_e32 v70, v218
	v_ashrrev_i32_e32 v74, 31, v74
	v_xor_b32_e32 v72, vcc_lo, v72
	v_cmp_gt_i32_e32 vcc_lo, 0, v218
	v_and_b32_e32 v69, v69, v71
	v_not_b32_e32 v71, v73
	v_ashrrev_i32_e32 v70, 31, v70
	v_xor_b32_e32 v74, s16, v74
	v_mul_u32_u24_e32 v68, 9, v68
	v_and_b32_e32 v69, v69, v72
	v_cmp_gt_i32_e64 s16, 0, v73
	v_ashrrev_i32_e32 v71, 31, v71
	v_xor_b32_e32 v70, vcc_lo, v70
	v_add_lshl_u32 v72, v68, v158, 2
	v_and_b32_e32 v69, v69, v74
	s_delay_alu instid0(VALU_DEP_4) | instskip(SKIP_3) | instid1(VALU_DEP_2)
	v_xor_b32_e32 v68, s16, v71
	ds_load_b32 v218, v72 offset:1056
	v_and_b32_e32 v69, v69, v70
	v_add_nc_u32_e32 v220, 0x420, v72
	; wave barrier
	v_and_b32_e32 v68, v69, v68
	s_delay_alu instid0(VALU_DEP_1) | instskip(SKIP_1) | instid1(VALU_DEP_2)
	v_mbcnt_lo_u32_b32 v219, v68, 0
	v_cmp_ne_u32_e64 s16, 0, v68
	v_cmp_eq_u32_e32 vcc_lo, 0, v219
	s_delay_alu instid0(VALU_DEP_2) | instskip(NEXT) | instid1(SALU_CYCLE_1)
	s_and_b32 s17, s16, vcc_lo
	s_and_saveexec_b32 s16, s17
	s_cbranch_execz .LBB815_754
; %bb.753:                              ;   in Loop: Header=BB815_688 Depth=2
	s_waitcnt lgkmcnt(0)
	v_bcnt_u32_b32 v68, v68, v218
	ds_store_b32 v220, v68
.LBB815_754:                            ;   in Loop: Header=BB815_688 Depth=2
	s_or_b32 exec_lo, exec_lo, s16
	v_xor_b32_e32 v67, 0x80000000, v67
	; wave barrier
	s_delay_alu instid0(VALU_DEP_1) | instskip(NEXT) | instid1(VALU_DEP_1)
	v_lshrrev_b64 v[68:69], s40, v[66:67]
	v_and_b32_e32 v68, s42, v68
	s_delay_alu instid0(VALU_DEP_1)
	v_and_b32_e32 v69, 1, v68
	v_lshlrev_b32_e32 v70, 30, v68
	v_lshlrev_b32_e32 v71, 29, v68
	;; [unrolled: 1-line block ×4, first 2 shown]
	v_add_co_u32 v69, s16, v69, -1
	s_delay_alu instid0(VALU_DEP_1)
	v_cndmask_b32_e64 v73, 0, 1, s16
	v_not_b32_e32 v222, v70
	v_cmp_gt_i32_e64 s16, 0, v70
	v_not_b32_e32 v70, v71
	v_lshlrev_b32_e32 v75, 26, v68
	v_cmp_ne_u32_e32 vcc_lo, 0, v73
	v_ashrrev_i32_e32 v222, 31, v222
	v_lshlrev_b32_e32 v221, 25, v68
	v_ashrrev_i32_e32 v70, 31, v70
	v_lshlrev_b32_e32 v73, 24, v68
	v_xor_b32_e32 v69, vcc_lo, v69
	v_cmp_gt_i32_e32 vcc_lo, 0, v71
	v_not_b32_e32 v71, v72
	v_xor_b32_e32 v222, s16, v222
	v_cmp_gt_i32_e64 s16, 0, v72
	v_and_b32_e32 v69, exec_lo, v69
	v_not_b32_e32 v72, v74
	v_ashrrev_i32_e32 v71, 31, v71
	v_xor_b32_e32 v70, vcc_lo, v70
	v_cmp_gt_i32_e32 vcc_lo, 0, v74
	v_and_b32_e32 v69, v69, v222
	v_not_b32_e32 v74, v75
	v_ashrrev_i32_e32 v72, 31, v72
	v_xor_b32_e32 v71, s16, v71
	v_cmp_gt_i32_e64 s16, 0, v75
	v_and_b32_e32 v69, v69, v70
	v_not_b32_e32 v70, v221
	v_ashrrev_i32_e32 v74, 31, v74
	v_xor_b32_e32 v72, vcc_lo, v72
	v_cmp_gt_i32_e32 vcc_lo, 0, v221
	v_and_b32_e32 v69, v69, v71
	v_not_b32_e32 v71, v73
	v_ashrrev_i32_e32 v70, 31, v70
	v_xor_b32_e32 v74, s16, v74
	v_mul_u32_u24_e32 v68, 9, v68
	v_and_b32_e32 v69, v69, v72
	v_cmp_gt_i32_e64 s16, 0, v73
	v_ashrrev_i32_e32 v71, 31, v71
	v_xor_b32_e32 v70, vcc_lo, v70
	v_add_lshl_u32 v72, v68, v158, 2
	v_and_b32_e32 v69, v69, v74
	s_delay_alu instid0(VALU_DEP_4) | instskip(SKIP_3) | instid1(VALU_DEP_2)
	v_xor_b32_e32 v68, s16, v71
	ds_load_b32 v221, v72 offset:1056
	v_and_b32_e32 v69, v69, v70
	v_add_nc_u32_e32 v223, 0x420, v72
	; wave barrier
	v_and_b32_e32 v68, v69, v68
	s_delay_alu instid0(VALU_DEP_1) | instskip(SKIP_1) | instid1(VALU_DEP_2)
	v_mbcnt_lo_u32_b32 v222, v68, 0
	v_cmp_ne_u32_e64 s16, 0, v68
	v_cmp_eq_u32_e32 vcc_lo, 0, v222
	s_delay_alu instid0(VALU_DEP_2) | instskip(NEXT) | instid1(SALU_CYCLE_1)
	s_and_b32 s17, s16, vcc_lo
	s_and_saveexec_b32 s16, s17
	s_cbranch_execz .LBB815_756
; %bb.755:                              ;   in Loop: Header=BB815_688 Depth=2
	s_waitcnt lgkmcnt(0)
	v_bcnt_u32_b32 v68, v68, v221
	ds_store_b32 v223, v68
.LBB815_756:                            ;   in Loop: Header=BB815_688 Depth=2
	s_or_b32 exec_lo, exec_lo, s16
	; wave barrier
	s_waitcnt lgkmcnt(0)
	s_barrier
	buffer_gl0_inv
	ds_load_b32 v224, v102 offset:1056
	ds_load_2addr_b32 v[74:75], v103 offset0:1 offset1:2
	ds_load_2addr_b32 v[72:73], v103 offset0:3 offset1:4
	ds_load_2addr_b32 v[68:69], v103 offset0:5 offset1:6
	ds_load_2addr_b32 v[70:71], v103 offset0:7 offset1:8
	s_waitcnt lgkmcnt(3)
	v_add3_u32 v225, v74, v224, v75
	s_waitcnt lgkmcnt(2)
	s_delay_alu instid0(VALU_DEP_1) | instskip(SKIP_1) | instid1(VALU_DEP_1)
	v_add3_u32 v225, v225, v72, v73
	s_waitcnt lgkmcnt(1)
	v_add3_u32 v225, v225, v68, v69
	s_waitcnt lgkmcnt(0)
	s_delay_alu instid0(VALU_DEP_1) | instskip(NEXT) | instid1(VALU_DEP_1)
	v_add3_u32 v71, v225, v70, v71
	v_mov_b32_dpp v225, v71 row_shr:1 row_mask:0xf bank_mask:0xf
	s_delay_alu instid0(VALU_DEP_1) | instskip(NEXT) | instid1(VALU_DEP_1)
	v_cndmask_b32_e64 v225, v225, 0, s1
	v_add_nc_u32_e32 v71, v225, v71
	s_delay_alu instid0(VALU_DEP_1) | instskip(NEXT) | instid1(VALU_DEP_1)
	v_mov_b32_dpp v225, v71 row_shr:2 row_mask:0xf bank_mask:0xf
	v_cndmask_b32_e64 v225, 0, v225, s7
	s_delay_alu instid0(VALU_DEP_1) | instskip(NEXT) | instid1(VALU_DEP_1)
	v_add_nc_u32_e32 v71, v71, v225
	v_mov_b32_dpp v225, v71 row_shr:4 row_mask:0xf bank_mask:0xf
	s_delay_alu instid0(VALU_DEP_1) | instskip(NEXT) | instid1(VALU_DEP_1)
	v_cndmask_b32_e64 v225, 0, v225, s8
	v_add_nc_u32_e32 v71, v71, v225
	s_delay_alu instid0(VALU_DEP_1) | instskip(NEXT) | instid1(VALU_DEP_1)
	v_mov_b32_dpp v225, v71 row_shr:8 row_mask:0xf bank_mask:0xf
	v_cndmask_b32_e64 v225, 0, v225, s9
	s_delay_alu instid0(VALU_DEP_1) | instskip(SKIP_3) | instid1(VALU_DEP_1)
	v_add_nc_u32_e32 v71, v71, v225
	ds_swizzle_b32 v225, v71 offset:swizzle(BROADCAST,32,15)
	s_waitcnt lgkmcnt(0)
	v_cndmask_b32_e64 v225, v225, 0, s10
	v_add_nc_u32_e32 v71, v71, v225
	s_and_saveexec_b32 s16, s3
	s_cbranch_execz .LBB815_758
; %bb.757:                              ;   in Loop: Header=BB815_688 Depth=2
	ds_store_b32 v94, v71 offset:1024
.LBB815_758:                            ;   in Loop: Header=BB815_688 Depth=2
	s_or_b32 exec_lo, exec_lo, s16
	s_waitcnt lgkmcnt(0)
	s_barrier
	buffer_gl0_inv
	s_and_saveexec_b32 s16, s4
	s_cbranch_execz .LBB815_760
; %bb.759:                              ;   in Loop: Header=BB815_688 Depth=2
	ds_load_b32 v225, v104 offset:1024
	s_waitcnt lgkmcnt(0)
	v_mov_b32_dpp v226, v225 row_shr:1 row_mask:0xf bank_mask:0xf
	s_delay_alu instid0(VALU_DEP_1) | instskip(NEXT) | instid1(VALU_DEP_1)
	v_cndmask_b32_e64 v226, v226, 0, s12
	v_add_nc_u32_e32 v225, v226, v225
	s_delay_alu instid0(VALU_DEP_1) | instskip(NEXT) | instid1(VALU_DEP_1)
	v_mov_b32_dpp v226, v225 row_shr:2 row_mask:0xf bank_mask:0xf
	v_cndmask_b32_e64 v226, 0, v226, s13
	s_delay_alu instid0(VALU_DEP_1) | instskip(NEXT) | instid1(VALU_DEP_1)
	v_add_nc_u32_e32 v225, v225, v226
	v_mov_b32_dpp v226, v225 row_shr:4 row_mask:0xf bank_mask:0xf
	s_delay_alu instid0(VALU_DEP_1) | instskip(NEXT) | instid1(VALU_DEP_1)
	v_cndmask_b32_e64 v226, 0, v226, s14
	v_add_nc_u32_e32 v225, v225, v226
	ds_store_b32 v104, v225 offset:1024
.LBB815_760:                            ;   in Loop: Header=BB815_688 Depth=2
	s_or_b32 exec_lo, exec_lo, s16
	v_mov_b32_e32 v225, 0
	s_waitcnt lgkmcnt(0)
	s_barrier
	buffer_gl0_inv
	s_and_saveexec_b32 s16, s5
	s_cbranch_execz .LBB815_762
; %bb.761:                              ;   in Loop: Header=BB815_688 Depth=2
	ds_load_b32 v225, v94 offset:1020
.LBB815_762:                            ;   in Loop: Header=BB815_688 Depth=2
	s_or_b32 exec_lo, exec_lo, s16
	s_waitcnt lgkmcnt(0)
	v_add_nc_u32_e32 v71, v225, v71
	ds_bpermute_b32 v71, v137, v71
	s_waitcnt lgkmcnt(0)
	v_cndmask_b32_e64 v71, v71, v225, s11
	s_delay_alu instid0(VALU_DEP_1) | instskip(NEXT) | instid1(VALU_DEP_1)
	v_cndmask_b32_e64 v71, v71, 0, s0
	v_add_nc_u32_e32 v224, v71, v224
	s_delay_alu instid0(VALU_DEP_1) | instskip(NEXT) | instid1(VALU_DEP_1)
	v_add_nc_u32_e32 v74, v224, v74
	v_add_nc_u32_e32 v75, v74, v75
	s_delay_alu instid0(VALU_DEP_1) | instskip(NEXT) | instid1(VALU_DEP_1)
	v_add_nc_u32_e32 v72, v75, v72
	;; [unrolled: 3-line block ×3, first 2 shown]
	v_add_nc_u32_e32 v69, v68, v69
	s_delay_alu instid0(VALU_DEP_1)
	v_add_nc_u32_e32 v70, v69, v70
	ds_store_b32 v102, v71 offset:1056
	ds_store_2addr_b32 v103, v224, v74 offset0:1 offset1:2
	ds_store_2addr_b32 v103, v75, v72 offset0:3 offset1:4
	ds_store_2addr_b32 v103, v73, v68 offset0:5 offset1:6
	ds_store_2addr_b32 v103, v69, v70 offset0:7 offset1:8
	v_mov_b32_e32 v68, 0x1000
	s_waitcnt lgkmcnt(0)
	s_barrier
	buffer_gl0_inv
	ds_load_b32 v70, v181
	ds_load_b32 v71, v184
	;; [unrolled: 1-line block ×16, first 2 shown]
	ds_load_b32 v178, v102 offset:1056
	s_and_saveexec_b32 s16, s6
	s_cbranch_execz .LBB815_764
; %bb.763:                              ;   in Loop: Header=BB815_688 Depth=2
	ds_load_b32 v68, v105 offset:1056
.LBB815_764:                            ;   in Loop: Header=BB815_688 Depth=2
	s_or_b32 exec_lo, exec_lo, s16
	s_waitcnt lgkmcnt(0)
	s_barrier
	buffer_gl0_inv
	s_and_saveexec_b32 s16, s2
	s_cbranch_execz .LBB815_766
; %bb.765:                              ;   in Loop: Header=BB815_688 Depth=2
	ds_load_b32 v202, v76
	s_waitcnt lgkmcnt(0)
	v_sub_nc_u32_e32 v178, v202, v178
	ds_store_b32 v76, v178
.LBB815_766:                            ;   in Loop: Header=BB815_688 Depth=2
	s_or_b32 exec_lo, exec_lo, s16
	v_add_nc_u32_e32 v179, v180, v179
	v_add_nc_u32_e32 v194, v195, v194
	;; [unrolled: 1-line block ×3, first 2 shown]
	v_add_lshl_u32 v69, v69, v2, 3
	v_add_nc_u32_e32 v2, v183, v182
	v_add_lshl_u32 v70, v179, v70, 3
	v_add_nc_u32_e32 v180, v186, v185
	v_add_nc_u32_e32 v182, v189, v188
	;; [unrolled: 1-line block ×11, first 2 shown]
	ds_store_b64 v69, v[36:37] offset:1024
	v_add_lshl_u32 v71, v2, v71, 3
	ds_store_b64 v70, v[38:39] offset:1024
	v_add_lshl_u32 v38, v191, v225, 3
	v_add_lshl_u32 v39, v194, v224, 3
	;; [unrolled: 1-line block ×4, first 2 shown]
	ds_store_b64 v71, v[40:41] offset:1024
	ds_store_b64 v72, v[42:43] offset:1024
	;; [unrolled: 1-line block ×4, first 2 shown]
	v_add_lshl_u32 v40, v197, v199, 3
	v_add_lshl_u32 v41, v200, v196, 3
	;; [unrolled: 1-line block ×3, first 2 shown]
	ds_store_b64 v39, v[48:49] offset:1024
	v_add_lshl_u32 v43, v206, v190, 3
	v_add_lshl_u32 v44, v209, v187, 3
	;; [unrolled: 1-line block ×6, first 2 shown]
	v_cmp_lt_u32_e32 vcc_lo, v1, v177
	ds_store_b64 v40, v[50:51] offset:1024
	ds_store_b64 v41, v[52:53] offset:1024
	;; [unrolled: 1-line block ×9, first 2 shown]
	s_waitcnt lgkmcnt(0)
	s_barrier
	buffer_gl0_inv
	s_and_saveexec_b32 s17, vcc_lo
	s_cbranch_execz .LBB815_782
; %bb.767:                              ;   in Loop: Header=BB815_688 Depth=2
	v_add_nc_u32_e32 v2, v104, v76
	ds_load_b64 v[36:37], v2 offset:1024
	s_waitcnt lgkmcnt(0)
	v_lshrrev_b64 v[49:50], s40, v[36:37]
	v_xor_b32_e32 v37, 0x80000000, v37
	s_delay_alu instid0(VALU_DEP_2) | instskip(NEXT) | instid1(VALU_DEP_1)
	v_and_b32_e32 v2, s42, v49
	v_lshlrev_b32_e32 v2, 2, v2
	ds_load_b32 v2, v2
	s_waitcnt lgkmcnt(0)
	v_add_nc_u32_e32 v2, v2, v1
	s_delay_alu instid0(VALU_DEP_1) | instskip(NEXT) | instid1(VALU_DEP_1)
	v_lshlrev_b64 v[49:50], 3, v[2:3]
	v_add_co_u32 v49, s16, s46, v49
	s_delay_alu instid0(VALU_DEP_1) | instskip(SKIP_3) | instid1(VALU_DEP_1)
	v_add_co_ci_u32_e64 v50, s16, s47, v50, s16
	global_store_b64 v[49:50], v[36:37], off
	s_or_b32 exec_lo, exec_lo, s17
	v_cmp_lt_u32_e64 s16, v77, v177
	s_and_saveexec_b32 s18, s16
	s_cbranch_execnz .LBB815_783
.LBB815_768:                            ;   in Loop: Header=BB815_688 Depth=2
	s_or_b32 exec_lo, exec_lo, s18
	v_cmp_lt_u32_e64 s17, v78, v177
	s_delay_alu instid0(VALU_DEP_1)
	s_and_saveexec_b32 s19, s17
	s_cbranch_execz .LBB815_784
.LBB815_769:                            ;   in Loop: Header=BB815_688 Depth=2
	ds_load_b64 v[36:37], v110 offset:4096
	s_waitcnt lgkmcnt(0)
	v_lshrrev_b64 v[49:50], s40, v[36:37]
	v_xor_b32_e32 v37, 0x80000000, v37
	s_delay_alu instid0(VALU_DEP_2) | instskip(NEXT) | instid1(VALU_DEP_1)
	v_and_b32_e32 v2, s42, v49
	v_lshlrev_b32_e32 v2, 2, v2
	ds_load_b32 v2, v2
	s_waitcnt lgkmcnt(0)
	v_add_nc_u32_e32 v2, v2, v78
	s_delay_alu instid0(VALU_DEP_1) | instskip(NEXT) | instid1(VALU_DEP_1)
	v_lshlrev_b64 v[49:50], 3, v[2:3]
	v_add_co_u32 v49, s18, s46, v49
	s_delay_alu instid0(VALU_DEP_1) | instskip(SKIP_3) | instid1(VALU_DEP_1)
	v_add_co_ci_u32_e64 v50, s18, s47, v50, s18
	global_store_b64 v[49:50], v[36:37], off
	s_or_b32 exec_lo, exec_lo, s19
	v_cmp_lt_u32_e64 s18, v79, v177
	s_and_saveexec_b32 s20, s18
	s_cbranch_execnz .LBB815_785
.LBB815_770:                            ;   in Loop: Header=BB815_688 Depth=2
	s_or_b32 exec_lo, exec_lo, s20
	v_cmp_lt_u32_e64 s19, v83, v177
	s_delay_alu instid0(VALU_DEP_1)
	s_and_saveexec_b32 s21, s19
	s_cbranch_execz .LBB815_786
.LBB815_771:                            ;   in Loop: Header=BB815_688 Depth=2
	ds_load_b64 v[36:37], v110 offset:8192
	s_waitcnt lgkmcnt(0)
	v_lshrrev_b64 v[49:50], s40, v[36:37]
	v_xor_b32_e32 v37, 0x80000000, v37
	s_delay_alu instid0(VALU_DEP_2) | instskip(NEXT) | instid1(VALU_DEP_1)
	v_and_b32_e32 v2, s42, v49
	v_lshlrev_b32_e32 v2, 2, v2
	ds_load_b32 v2, v2
	s_waitcnt lgkmcnt(0)
	v_add_nc_u32_e32 v2, v2, v83
	s_delay_alu instid0(VALU_DEP_1) | instskip(NEXT) | instid1(VALU_DEP_1)
	v_lshlrev_b64 v[49:50], 3, v[2:3]
	v_add_co_u32 v49, s20, s46, v49
	s_delay_alu instid0(VALU_DEP_1) | instskip(SKIP_3) | instid1(VALU_DEP_1)
	v_add_co_ci_u32_e64 v50, s20, s47, v50, s20
	global_store_b64 v[49:50], v[36:37], off
	s_or_b32 exec_lo, exec_lo, s21
	v_cmp_lt_u32_e64 s20, v84, v177
	s_and_saveexec_b32 s22, s20
	s_cbranch_execnz .LBB815_787
.LBB815_772:                            ;   in Loop: Header=BB815_688 Depth=2
	s_or_b32 exec_lo, exec_lo, s22
	v_cmp_lt_u32_e64 s21, v85, v177
	s_delay_alu instid0(VALU_DEP_1)
	s_and_saveexec_b32 s23, s21
	s_cbranch_execz .LBB815_788
.LBB815_773:                            ;   in Loop: Header=BB815_688 Depth=2
	ds_load_b64 v[36:37], v110 offset:12288
	s_waitcnt lgkmcnt(0)
	v_lshrrev_b64 v[49:50], s40, v[36:37]
	v_xor_b32_e32 v37, 0x80000000, v37
	s_delay_alu instid0(VALU_DEP_2) | instskip(NEXT) | instid1(VALU_DEP_1)
	v_and_b32_e32 v2, s42, v49
	v_lshlrev_b32_e32 v2, 2, v2
	ds_load_b32 v2, v2
	s_waitcnt lgkmcnt(0)
	v_add_nc_u32_e32 v2, v2, v85
	s_delay_alu instid0(VALU_DEP_1) | instskip(NEXT) | instid1(VALU_DEP_1)
	v_lshlrev_b64 v[49:50], 3, v[2:3]
	v_add_co_u32 v49, s22, s46, v49
	s_delay_alu instid0(VALU_DEP_1) | instskip(SKIP_3) | instid1(VALU_DEP_1)
	v_add_co_ci_u32_e64 v50, s22, s47, v50, s22
	global_store_b64 v[49:50], v[36:37], off
	s_or_b32 exec_lo, exec_lo, s23
	v_cmp_lt_u32_e64 s22, v86, v177
	s_and_saveexec_b32 s24, s22
	s_cbranch_execnz .LBB815_789
.LBB815_774:                            ;   in Loop: Header=BB815_688 Depth=2
	s_or_b32 exec_lo, exec_lo, s24
	v_cmp_lt_u32_e64 s23, v87, v177
	s_delay_alu instid0(VALU_DEP_1)
	s_and_saveexec_b32 s25, s23
	s_cbranch_execz .LBB815_790
.LBB815_775:                            ;   in Loop: Header=BB815_688 Depth=2
	ds_load_b64 v[36:37], v110 offset:16384
	s_waitcnt lgkmcnt(0)
	v_lshrrev_b64 v[49:50], s40, v[36:37]
	v_xor_b32_e32 v37, 0x80000000, v37
	s_delay_alu instid0(VALU_DEP_2) | instskip(NEXT) | instid1(VALU_DEP_1)
	v_and_b32_e32 v2, s42, v49
	v_lshlrev_b32_e32 v2, 2, v2
	ds_load_b32 v2, v2
	s_waitcnt lgkmcnt(0)
	v_add_nc_u32_e32 v2, v2, v87
	s_delay_alu instid0(VALU_DEP_1) | instskip(NEXT) | instid1(VALU_DEP_1)
	v_lshlrev_b64 v[49:50], 3, v[2:3]
	v_add_co_u32 v49, s24, s46, v49
	s_delay_alu instid0(VALU_DEP_1) | instskip(SKIP_3) | instid1(VALU_DEP_1)
	v_add_co_ci_u32_e64 v50, s24, s47, v50, s24
	global_store_b64 v[49:50], v[36:37], off
	s_or_b32 exec_lo, exec_lo, s25
	v_cmp_lt_u32_e64 s24, v88, v177
	s_and_saveexec_b32 s26, s24
	s_cbranch_execnz .LBB815_791
.LBB815_776:                            ;   in Loop: Header=BB815_688 Depth=2
	s_or_b32 exec_lo, exec_lo, s26
	v_cmp_lt_u32_e64 s25, v89, v177
	s_delay_alu instid0(VALU_DEP_1)
	s_and_saveexec_b32 s27, s25
	s_cbranch_execz .LBB815_792
.LBB815_777:                            ;   in Loop: Header=BB815_688 Depth=2
	ds_load_b64 v[36:37], v110 offset:20480
	s_waitcnt lgkmcnt(0)
	v_lshrrev_b64 v[49:50], s40, v[36:37]
	v_xor_b32_e32 v37, 0x80000000, v37
	s_delay_alu instid0(VALU_DEP_2) | instskip(NEXT) | instid1(VALU_DEP_1)
	v_and_b32_e32 v2, s42, v49
	v_lshlrev_b32_e32 v2, 2, v2
	ds_load_b32 v2, v2
	s_waitcnt lgkmcnt(0)
	v_add_nc_u32_e32 v2, v2, v89
	s_delay_alu instid0(VALU_DEP_1) | instskip(NEXT) | instid1(VALU_DEP_1)
	v_lshlrev_b64 v[49:50], 3, v[2:3]
	v_add_co_u32 v49, s26, s46, v49
	s_delay_alu instid0(VALU_DEP_1) | instskip(SKIP_3) | instid1(VALU_DEP_1)
	v_add_co_ci_u32_e64 v50, s26, s47, v50, s26
	global_store_b64 v[49:50], v[36:37], off
	s_or_b32 exec_lo, exec_lo, s27
	v_cmp_lt_u32_e64 s26, v90, v177
	s_and_saveexec_b32 s29, s26
	s_cbranch_execnz .LBB815_793
.LBB815_778:                            ;   in Loop: Header=BB815_688 Depth=2
	s_or_b32 exec_lo, exec_lo, s29
	v_cmp_lt_u32_e64 s27, v91, v177
	s_delay_alu instid0(VALU_DEP_1)
	s_and_saveexec_b32 s30, s27
	s_cbranch_execz .LBB815_794
.LBB815_779:                            ;   in Loop: Header=BB815_688 Depth=2
	ds_load_b64 v[36:37], v110 offset:24576
	s_waitcnt lgkmcnt(0)
	v_lshrrev_b64 v[49:50], s40, v[36:37]
	v_xor_b32_e32 v37, 0x80000000, v37
	s_delay_alu instid0(VALU_DEP_2) | instskip(NEXT) | instid1(VALU_DEP_1)
	v_and_b32_e32 v2, s42, v49
	v_lshlrev_b32_e32 v2, 2, v2
	ds_load_b32 v2, v2
	s_waitcnt lgkmcnt(0)
	v_add_nc_u32_e32 v2, v2, v91
	s_delay_alu instid0(VALU_DEP_1) | instskip(NEXT) | instid1(VALU_DEP_1)
	v_lshlrev_b64 v[49:50], 3, v[2:3]
	v_add_co_u32 v49, s29, s46, v49
	s_delay_alu instid0(VALU_DEP_1) | instskip(SKIP_3) | instid1(VALU_DEP_1)
	v_add_co_ci_u32_e64 v50, s29, s47, v50, s29
	global_store_b64 v[49:50], v[36:37], off
	s_or_b32 exec_lo, exec_lo, s30
	v_cmp_lt_u32_e64 s29, v92, v177
	s_and_saveexec_b32 s31, s29
	s_cbranch_execnz .LBB815_795
.LBB815_780:                            ;   in Loop: Header=BB815_688 Depth=2
	s_or_b32 exec_lo, exec_lo, s31
	v_cmp_lt_u32_e64 s30, v93, v177
	s_delay_alu instid0(VALU_DEP_1)
	s_and_saveexec_b32 s33, s30
	s_cbranch_execz .LBB815_796
.LBB815_781:                            ;   in Loop: Header=BB815_688 Depth=2
	ds_load_b64 v[36:37], v110 offset:28672
	s_waitcnt lgkmcnt(0)
	v_lshrrev_b64 v[49:50], s40, v[36:37]
	v_xor_b32_e32 v37, 0x80000000, v37
	s_delay_alu instid0(VALU_DEP_2) | instskip(NEXT) | instid1(VALU_DEP_1)
	v_and_b32_e32 v2, s42, v49
	v_lshlrev_b32_e32 v2, 2, v2
	ds_load_b32 v2, v2
	s_waitcnt lgkmcnt(0)
	v_add_nc_u32_e32 v2, v2, v93
	s_delay_alu instid0(VALU_DEP_1) | instskip(NEXT) | instid1(VALU_DEP_1)
	v_lshlrev_b64 v[49:50], 3, v[2:3]
	v_add_co_u32 v49, s31, s46, v49
	s_delay_alu instid0(VALU_DEP_1) | instskip(SKIP_3) | instid1(VALU_DEP_1)
	v_add_co_ci_u32_e64 v50, s31, s47, v50, s31
	global_store_b64 v[49:50], v[36:37], off
	s_or_b32 exec_lo, exec_lo, s33
	v_cmp_lt_u32_e64 s31, v95, v177
	s_and_saveexec_b32 s51, s31
	s_cbranch_execnz .LBB815_797
	s_branch .LBB815_798
.LBB815_782:                            ;   in Loop: Header=BB815_688 Depth=2
	s_or_b32 exec_lo, exec_lo, s17
	v_cmp_lt_u32_e64 s16, v77, v177
	s_delay_alu instid0(VALU_DEP_1)
	s_and_saveexec_b32 s18, s16
	s_cbranch_execz .LBB815_768
.LBB815_783:                            ;   in Loop: Header=BB815_688 Depth=2
	ds_load_b64 v[36:37], v110 offset:2048
	s_waitcnt lgkmcnt(0)
	v_lshrrev_b64 v[49:50], s40, v[36:37]
	v_xor_b32_e32 v37, 0x80000000, v37
	s_delay_alu instid0(VALU_DEP_2) | instskip(NEXT) | instid1(VALU_DEP_1)
	v_and_b32_e32 v2, s42, v49
	v_lshlrev_b32_e32 v2, 2, v2
	ds_load_b32 v2, v2
	s_waitcnt lgkmcnt(0)
	v_add_nc_u32_e32 v2, v2, v77
	s_delay_alu instid0(VALU_DEP_1) | instskip(NEXT) | instid1(VALU_DEP_1)
	v_lshlrev_b64 v[49:50], 3, v[2:3]
	v_add_co_u32 v49, s17, s46, v49
	s_delay_alu instid0(VALU_DEP_1) | instskip(SKIP_3) | instid1(VALU_DEP_1)
	v_add_co_ci_u32_e64 v50, s17, s47, v50, s17
	global_store_b64 v[49:50], v[36:37], off
	s_or_b32 exec_lo, exec_lo, s18
	v_cmp_lt_u32_e64 s17, v78, v177
	s_and_saveexec_b32 s19, s17
	s_cbranch_execnz .LBB815_769
.LBB815_784:                            ;   in Loop: Header=BB815_688 Depth=2
	s_or_b32 exec_lo, exec_lo, s19
	v_cmp_lt_u32_e64 s18, v79, v177
	s_delay_alu instid0(VALU_DEP_1)
	s_and_saveexec_b32 s20, s18
	s_cbranch_execz .LBB815_770
.LBB815_785:                            ;   in Loop: Header=BB815_688 Depth=2
	ds_load_b64 v[36:37], v110 offset:6144
	s_waitcnt lgkmcnt(0)
	v_lshrrev_b64 v[49:50], s40, v[36:37]
	v_xor_b32_e32 v37, 0x80000000, v37
	s_delay_alu instid0(VALU_DEP_2) | instskip(NEXT) | instid1(VALU_DEP_1)
	v_and_b32_e32 v2, s42, v49
	v_lshlrev_b32_e32 v2, 2, v2
	ds_load_b32 v2, v2
	s_waitcnt lgkmcnt(0)
	v_add_nc_u32_e32 v2, v2, v79
	s_delay_alu instid0(VALU_DEP_1) | instskip(NEXT) | instid1(VALU_DEP_1)
	v_lshlrev_b64 v[49:50], 3, v[2:3]
	v_add_co_u32 v49, s19, s46, v49
	s_delay_alu instid0(VALU_DEP_1) | instskip(SKIP_3) | instid1(VALU_DEP_1)
	v_add_co_ci_u32_e64 v50, s19, s47, v50, s19
	global_store_b64 v[49:50], v[36:37], off
	s_or_b32 exec_lo, exec_lo, s20
	v_cmp_lt_u32_e64 s19, v83, v177
	s_and_saveexec_b32 s21, s19
	s_cbranch_execnz .LBB815_771
.LBB815_786:                            ;   in Loop: Header=BB815_688 Depth=2
	s_or_b32 exec_lo, exec_lo, s21
	v_cmp_lt_u32_e64 s20, v84, v177
	s_delay_alu instid0(VALU_DEP_1)
	s_and_saveexec_b32 s22, s20
	s_cbranch_execz .LBB815_772
.LBB815_787:                            ;   in Loop: Header=BB815_688 Depth=2
	ds_load_b64 v[36:37], v110 offset:10240
	s_waitcnt lgkmcnt(0)
	v_lshrrev_b64 v[49:50], s40, v[36:37]
	v_xor_b32_e32 v37, 0x80000000, v37
	s_delay_alu instid0(VALU_DEP_2) | instskip(NEXT) | instid1(VALU_DEP_1)
	v_and_b32_e32 v2, s42, v49
	v_lshlrev_b32_e32 v2, 2, v2
	ds_load_b32 v2, v2
	s_waitcnt lgkmcnt(0)
	v_add_nc_u32_e32 v2, v2, v84
	s_delay_alu instid0(VALU_DEP_1) | instskip(NEXT) | instid1(VALU_DEP_1)
	v_lshlrev_b64 v[49:50], 3, v[2:3]
	v_add_co_u32 v49, s21, s46, v49
	s_delay_alu instid0(VALU_DEP_1) | instskip(SKIP_3) | instid1(VALU_DEP_1)
	v_add_co_ci_u32_e64 v50, s21, s47, v50, s21
	global_store_b64 v[49:50], v[36:37], off
	s_or_b32 exec_lo, exec_lo, s22
	v_cmp_lt_u32_e64 s21, v85, v177
	s_and_saveexec_b32 s23, s21
	s_cbranch_execnz .LBB815_773
.LBB815_788:                            ;   in Loop: Header=BB815_688 Depth=2
	s_or_b32 exec_lo, exec_lo, s23
	v_cmp_lt_u32_e64 s22, v86, v177
	s_delay_alu instid0(VALU_DEP_1)
	s_and_saveexec_b32 s24, s22
	s_cbranch_execz .LBB815_774
.LBB815_789:                            ;   in Loop: Header=BB815_688 Depth=2
	ds_load_b64 v[36:37], v110 offset:14336
	s_waitcnt lgkmcnt(0)
	v_lshrrev_b64 v[49:50], s40, v[36:37]
	v_xor_b32_e32 v37, 0x80000000, v37
	s_delay_alu instid0(VALU_DEP_2) | instskip(NEXT) | instid1(VALU_DEP_1)
	v_and_b32_e32 v2, s42, v49
	v_lshlrev_b32_e32 v2, 2, v2
	ds_load_b32 v2, v2
	s_waitcnt lgkmcnt(0)
	v_add_nc_u32_e32 v2, v2, v86
	s_delay_alu instid0(VALU_DEP_1) | instskip(NEXT) | instid1(VALU_DEP_1)
	v_lshlrev_b64 v[49:50], 3, v[2:3]
	v_add_co_u32 v49, s23, s46, v49
	s_delay_alu instid0(VALU_DEP_1) | instskip(SKIP_3) | instid1(VALU_DEP_1)
	v_add_co_ci_u32_e64 v50, s23, s47, v50, s23
	global_store_b64 v[49:50], v[36:37], off
	s_or_b32 exec_lo, exec_lo, s24
	v_cmp_lt_u32_e64 s23, v87, v177
	s_and_saveexec_b32 s25, s23
	s_cbranch_execnz .LBB815_775
.LBB815_790:                            ;   in Loop: Header=BB815_688 Depth=2
	s_or_b32 exec_lo, exec_lo, s25
	v_cmp_lt_u32_e64 s24, v88, v177
	s_delay_alu instid0(VALU_DEP_1)
	s_and_saveexec_b32 s26, s24
	s_cbranch_execz .LBB815_776
.LBB815_791:                            ;   in Loop: Header=BB815_688 Depth=2
	ds_load_b64 v[36:37], v110 offset:18432
	s_waitcnt lgkmcnt(0)
	v_lshrrev_b64 v[49:50], s40, v[36:37]
	v_xor_b32_e32 v37, 0x80000000, v37
	s_delay_alu instid0(VALU_DEP_2) | instskip(NEXT) | instid1(VALU_DEP_1)
	v_and_b32_e32 v2, s42, v49
	v_lshlrev_b32_e32 v2, 2, v2
	ds_load_b32 v2, v2
	s_waitcnt lgkmcnt(0)
	v_add_nc_u32_e32 v2, v2, v88
	s_delay_alu instid0(VALU_DEP_1) | instskip(NEXT) | instid1(VALU_DEP_1)
	v_lshlrev_b64 v[49:50], 3, v[2:3]
	v_add_co_u32 v49, s25, s46, v49
	s_delay_alu instid0(VALU_DEP_1) | instskip(SKIP_3) | instid1(VALU_DEP_1)
	v_add_co_ci_u32_e64 v50, s25, s47, v50, s25
	global_store_b64 v[49:50], v[36:37], off
	s_or_b32 exec_lo, exec_lo, s26
	v_cmp_lt_u32_e64 s25, v89, v177
	s_and_saveexec_b32 s27, s25
	s_cbranch_execnz .LBB815_777
.LBB815_792:                            ;   in Loop: Header=BB815_688 Depth=2
	s_or_b32 exec_lo, exec_lo, s27
	v_cmp_lt_u32_e64 s26, v90, v177
	s_delay_alu instid0(VALU_DEP_1)
	s_and_saveexec_b32 s29, s26
	s_cbranch_execz .LBB815_778
.LBB815_793:                            ;   in Loop: Header=BB815_688 Depth=2
	ds_load_b64 v[36:37], v110 offset:22528
	s_waitcnt lgkmcnt(0)
	v_lshrrev_b64 v[49:50], s40, v[36:37]
	v_xor_b32_e32 v37, 0x80000000, v37
	s_delay_alu instid0(VALU_DEP_2) | instskip(NEXT) | instid1(VALU_DEP_1)
	v_and_b32_e32 v2, s42, v49
	v_lshlrev_b32_e32 v2, 2, v2
	ds_load_b32 v2, v2
	s_waitcnt lgkmcnt(0)
	v_add_nc_u32_e32 v2, v2, v90
	s_delay_alu instid0(VALU_DEP_1) | instskip(NEXT) | instid1(VALU_DEP_1)
	v_lshlrev_b64 v[49:50], 3, v[2:3]
	v_add_co_u32 v49, s27, s46, v49
	s_delay_alu instid0(VALU_DEP_1) | instskip(SKIP_3) | instid1(VALU_DEP_1)
	v_add_co_ci_u32_e64 v50, s27, s47, v50, s27
	global_store_b64 v[49:50], v[36:37], off
	s_or_b32 exec_lo, exec_lo, s29
	v_cmp_lt_u32_e64 s27, v91, v177
	s_and_saveexec_b32 s30, s27
	s_cbranch_execnz .LBB815_779
.LBB815_794:                            ;   in Loop: Header=BB815_688 Depth=2
	s_or_b32 exec_lo, exec_lo, s30
	v_cmp_lt_u32_e64 s29, v92, v177
	s_delay_alu instid0(VALU_DEP_1)
	s_and_saveexec_b32 s31, s29
	s_cbranch_execz .LBB815_780
.LBB815_795:                            ;   in Loop: Header=BB815_688 Depth=2
	ds_load_b64 v[36:37], v110 offset:26624
	s_waitcnt lgkmcnt(0)
	v_lshrrev_b64 v[49:50], s40, v[36:37]
	v_xor_b32_e32 v37, 0x80000000, v37
	s_delay_alu instid0(VALU_DEP_2) | instskip(NEXT) | instid1(VALU_DEP_1)
	v_and_b32_e32 v2, s42, v49
	v_lshlrev_b32_e32 v2, 2, v2
	ds_load_b32 v2, v2
	s_waitcnt lgkmcnt(0)
	v_add_nc_u32_e32 v2, v2, v92
	s_delay_alu instid0(VALU_DEP_1) | instskip(NEXT) | instid1(VALU_DEP_1)
	v_lshlrev_b64 v[49:50], 3, v[2:3]
	v_add_co_u32 v49, s30, s46, v49
	s_delay_alu instid0(VALU_DEP_1) | instskip(SKIP_3) | instid1(VALU_DEP_1)
	v_add_co_ci_u32_e64 v50, s30, s47, v50, s30
	global_store_b64 v[49:50], v[36:37], off
	s_or_b32 exec_lo, exec_lo, s31
	v_cmp_lt_u32_e64 s30, v93, v177
	s_and_saveexec_b32 s33, s30
	s_cbranch_execnz .LBB815_781
.LBB815_796:                            ;   in Loop: Header=BB815_688 Depth=2
	s_or_b32 exec_lo, exec_lo, s33
	v_cmp_lt_u32_e64 s31, v95, v177
	s_delay_alu instid0(VALU_DEP_1)
	s_and_saveexec_b32 s51, s31
	s_cbranch_execz .LBB815_798
.LBB815_797:                            ;   in Loop: Header=BB815_688 Depth=2
	ds_load_b64 v[36:37], v110 offset:30720
	s_waitcnt lgkmcnt(0)
	v_lshrrev_b64 v[49:50], s40, v[36:37]
	v_xor_b32_e32 v37, 0x80000000, v37
	s_delay_alu instid0(VALU_DEP_2) | instskip(NEXT) | instid1(VALU_DEP_1)
	v_and_b32_e32 v2, s42, v49
	v_lshlrev_b32_e32 v2, 2, v2
	ds_load_b32 v2, v2
	s_waitcnt lgkmcnt(0)
	v_add_nc_u32_e32 v2, v2, v95
	s_delay_alu instid0(VALU_DEP_1) | instskip(NEXT) | instid1(VALU_DEP_1)
	v_lshlrev_b64 v[49:50], 3, v[2:3]
	v_add_co_u32 v49, s33, s46, v49
	s_delay_alu instid0(VALU_DEP_1)
	v_add_co_ci_u32_e64 v50, s33, s47, v50, s33
	global_store_b64 v[49:50], v[36:37], off
.LBB815_798:                            ;   in Loop: Header=BB815_688 Depth=2
	s_or_b32 exec_lo, exec_lo, s51
	s_lshl_b64 s[64:65], s[34:35], 3
	s_delay_alu instid0(SALU_CYCLE_1) | instskip(NEXT) | instid1(VALU_DEP_1)
	v_add_co_u32 v36, s33, v139, s64
	v_add_co_ci_u32_e64 v37, s33, s65, v140, s33
	v_cmp_lt_u32_e64 s33, v138, v177
	s_delay_alu instid0(VALU_DEP_1) | instskip(NEXT) | instid1(SALU_CYCLE_1)
	s_and_saveexec_b32 s34, s33
	s_xor_b32 s33, exec_lo, s34
	s_cbranch_execz .LBB815_830
; %bb.799:                              ;   in Loop: Header=BB815_688 Depth=2
	global_load_b64 v[34:35], v[36:37], off
	s_or_b32 exec_lo, exec_lo, s33
	s_delay_alu instid0(SALU_CYCLE_1)
	s_mov_b32 s34, exec_lo
	v_cmpx_lt_u32_e64 v141, v177
	s_cbranch_execnz .LBB815_831
.LBB815_800:                            ;   in Loop: Header=BB815_688 Depth=2
	s_or_b32 exec_lo, exec_lo, s34
	s_delay_alu instid0(SALU_CYCLE_1)
	s_mov_b32 s34, exec_lo
	v_cmpx_lt_u32_e64 v142, v177
	s_cbranch_execz .LBB815_832
.LBB815_801:                            ;   in Loop: Header=BB815_688 Depth=2
	global_load_b64 v[30:31], v[36:37], off offset:512
	s_or_b32 exec_lo, exec_lo, s34
	s_delay_alu instid0(SALU_CYCLE_1)
	s_mov_b32 s34, exec_lo
	v_cmpx_lt_u32_e64 v143, v177
	s_cbranch_execnz .LBB815_833
.LBB815_802:                            ;   in Loop: Header=BB815_688 Depth=2
	s_or_b32 exec_lo, exec_lo, s34
	s_delay_alu instid0(SALU_CYCLE_1)
	s_mov_b32 s34, exec_lo
	v_cmpx_lt_u32_e64 v144, v177
	s_cbranch_execz .LBB815_834
.LBB815_803:                            ;   in Loop: Header=BB815_688 Depth=2
	global_load_b64 v[26:27], v[36:37], off offset:1024
	s_or_b32 exec_lo, exec_lo, s34
	s_delay_alu instid0(SALU_CYCLE_1)
	s_mov_b32 s34, exec_lo
	v_cmpx_lt_u32_e64 v145, v177
	s_cbranch_execnz .LBB815_835
.LBB815_804:                            ;   in Loop: Header=BB815_688 Depth=2
	s_or_b32 exec_lo, exec_lo, s34
	s_delay_alu instid0(SALU_CYCLE_1)
	s_mov_b32 s34, exec_lo
	v_cmpx_lt_u32_e64 v146, v177
	s_cbranch_execz .LBB815_836
.LBB815_805:                            ;   in Loop: Header=BB815_688 Depth=2
	global_load_b64 v[22:23], v[36:37], off offset:1536
	s_or_b32 exec_lo, exec_lo, s34
	s_delay_alu instid0(SALU_CYCLE_1)
	s_mov_b32 s34, exec_lo
	v_cmpx_lt_u32_e64 v147, v177
	s_cbranch_execnz .LBB815_837
.LBB815_806:                            ;   in Loop: Header=BB815_688 Depth=2
	s_or_b32 exec_lo, exec_lo, s34
	s_delay_alu instid0(SALU_CYCLE_1)
	s_mov_b32 s34, exec_lo
	v_cmpx_lt_u32_e64 v148, v177
	s_cbranch_execz .LBB815_838
.LBB815_807:                            ;   in Loop: Header=BB815_688 Depth=2
	global_load_b64 v[18:19], v[36:37], off offset:2048
	s_or_b32 exec_lo, exec_lo, s34
	s_delay_alu instid0(SALU_CYCLE_1)
	s_mov_b32 s34, exec_lo
	v_cmpx_lt_u32_e64 v149, v177
	s_cbranch_execnz .LBB815_839
.LBB815_808:                            ;   in Loop: Header=BB815_688 Depth=2
	s_or_b32 exec_lo, exec_lo, s34
	s_delay_alu instid0(SALU_CYCLE_1)
	s_mov_b32 s34, exec_lo
	v_cmpx_lt_u32_e64 v150, v177
	s_cbranch_execz .LBB815_840
.LBB815_809:                            ;   in Loop: Header=BB815_688 Depth=2
	global_load_b64 v[14:15], v[36:37], off offset:2560
	s_or_b32 exec_lo, exec_lo, s34
	s_delay_alu instid0(SALU_CYCLE_1)
	s_mov_b32 s34, exec_lo
	v_cmpx_lt_u32_e64 v151, v177
	s_cbranch_execnz .LBB815_841
.LBB815_810:                            ;   in Loop: Header=BB815_688 Depth=2
	s_or_b32 exec_lo, exec_lo, s34
	s_delay_alu instid0(SALU_CYCLE_1)
	s_mov_b32 s34, exec_lo
	v_cmpx_lt_u32_e64 v152, v177
	s_cbranch_execz .LBB815_842
.LBB815_811:                            ;   in Loop: Header=BB815_688 Depth=2
	global_load_b64 v[10:11], v[36:37], off offset:3072
	s_or_b32 exec_lo, exec_lo, s34
	s_delay_alu instid0(SALU_CYCLE_1)
	s_mov_b32 s34, exec_lo
	v_cmpx_lt_u32_e64 v153, v177
	s_cbranch_execnz .LBB815_843
.LBB815_812:                            ;   in Loop: Header=BB815_688 Depth=2
	s_or_b32 exec_lo, exec_lo, s34
	s_delay_alu instid0(SALU_CYCLE_1)
	s_mov_b32 s34, exec_lo
	v_cmpx_lt_u32_e64 v154, v177
	s_cbranch_execz .LBB815_844
.LBB815_813:                            ;   in Loop: Header=BB815_688 Depth=2
	global_load_b64 v[6:7], v[36:37], off offset:3584
	s_or_b32 exec_lo, exec_lo, s34
	s_delay_alu instid0(SALU_CYCLE_1)
	s_mov_b32 s34, exec_lo
	v_cmpx_lt_u32_e64 v155, v177
	s_cbranch_execnz .LBB815_845
.LBB815_814:                            ;   in Loop: Header=BB815_688 Depth=2
	s_or_b32 exec_lo, exec_lo, s34
	s_and_saveexec_b32 s33, vcc_lo
	s_cbranch_execz .LBB815_846
.LBB815_815:                            ;   in Loop: Header=BB815_688 Depth=2
	v_add_nc_u32_e32 v2, v104, v76
	ds_load_b64 v[36:37], v2 offset:1024
	s_waitcnt lgkmcnt(0)
	v_lshrrev_b64 v[36:37], s40, v[36:37]
	s_delay_alu instid0(VALU_DEP_1)
	v_and_b32_e32 v176, s42, v36
	s_or_b32 exec_lo, exec_lo, s33
	s_and_saveexec_b32 s33, s16
	s_cbranch_execnz .LBB815_847
.LBB815_816:                            ;   in Loop: Header=BB815_688 Depth=2
	s_or_b32 exec_lo, exec_lo, s33
	s_and_saveexec_b32 s33, s17
	s_cbranch_execz .LBB815_848
.LBB815_817:                            ;   in Loop: Header=BB815_688 Depth=2
	ds_load_b64 v[36:37], v110 offset:4096
	s_waitcnt lgkmcnt(0)
	v_lshrrev_b64 v[36:37], s40, v[36:37]
	s_delay_alu instid0(VALU_DEP_1)
	v_and_b32_e32 v174, s42, v36
	s_or_b32 exec_lo, exec_lo, s33
	s_and_saveexec_b32 s33, s18
	s_cbranch_execnz .LBB815_849
.LBB815_818:                            ;   in Loop: Header=BB815_688 Depth=2
	s_or_b32 exec_lo, exec_lo, s33
	s_and_saveexec_b32 s33, s19
	s_cbranch_execz .LBB815_850
.LBB815_819:                            ;   in Loop: Header=BB815_688 Depth=2
	ds_load_b64 v[36:37], v110 offset:8192
	s_waitcnt lgkmcnt(0)
	v_lshrrev_b64 v[36:37], s40, v[36:37]
	s_delay_alu instid0(VALU_DEP_1)
	v_and_b32_e32 v172, s42, v36
	s_or_b32 exec_lo, exec_lo, s33
	s_and_saveexec_b32 s33, s20
	s_cbranch_execnz .LBB815_851
.LBB815_820:                            ;   in Loop: Header=BB815_688 Depth=2
	s_or_b32 exec_lo, exec_lo, s33
	s_and_saveexec_b32 s33, s21
	s_cbranch_execz .LBB815_852
.LBB815_821:                            ;   in Loop: Header=BB815_688 Depth=2
	ds_load_b64 v[36:37], v110 offset:12288
	s_waitcnt lgkmcnt(0)
	v_lshrrev_b64 v[36:37], s40, v[36:37]
	s_delay_alu instid0(VALU_DEP_1)
	v_and_b32_e32 v170, s42, v36
	s_or_b32 exec_lo, exec_lo, s33
	s_and_saveexec_b32 s33, s22
	s_cbranch_execnz .LBB815_853
.LBB815_822:                            ;   in Loop: Header=BB815_688 Depth=2
	s_or_b32 exec_lo, exec_lo, s33
	s_and_saveexec_b32 s33, s23
	s_cbranch_execz .LBB815_854
.LBB815_823:                            ;   in Loop: Header=BB815_688 Depth=2
	ds_load_b64 v[36:37], v110 offset:16384
	s_waitcnt lgkmcnt(0)
	v_lshrrev_b64 v[36:37], s40, v[36:37]
	s_delay_alu instid0(VALU_DEP_1)
	v_and_b32_e32 v168, s42, v36
	s_or_b32 exec_lo, exec_lo, s33
	s_and_saveexec_b32 s33, s24
	s_cbranch_execnz .LBB815_855
.LBB815_824:                            ;   in Loop: Header=BB815_688 Depth=2
	s_or_b32 exec_lo, exec_lo, s33
	s_and_saveexec_b32 s33, s25
	s_cbranch_execz .LBB815_856
.LBB815_825:                            ;   in Loop: Header=BB815_688 Depth=2
	ds_load_b64 v[36:37], v110 offset:20480
	s_waitcnt lgkmcnt(0)
	v_lshrrev_b64 v[36:37], s40, v[36:37]
	s_delay_alu instid0(VALU_DEP_1)
	v_and_b32_e32 v166, s42, v36
	s_or_b32 exec_lo, exec_lo, s33
	s_and_saveexec_b32 s33, s26
	s_cbranch_execnz .LBB815_857
.LBB815_826:                            ;   in Loop: Header=BB815_688 Depth=2
	s_or_b32 exec_lo, exec_lo, s33
	s_and_saveexec_b32 s33, s27
	s_cbranch_execz .LBB815_858
.LBB815_827:                            ;   in Loop: Header=BB815_688 Depth=2
	ds_load_b64 v[36:37], v110 offset:24576
	s_waitcnt lgkmcnt(0)
	v_lshrrev_b64 v[36:37], s40, v[36:37]
	s_delay_alu instid0(VALU_DEP_1)
	v_and_b32_e32 v164, s42, v36
	s_or_b32 exec_lo, exec_lo, s33
	s_and_saveexec_b32 s33, s29
	s_cbranch_execnz .LBB815_859
.LBB815_828:                            ;   in Loop: Header=BB815_688 Depth=2
	s_or_b32 exec_lo, exec_lo, s33
	s_and_saveexec_b32 s33, s30
	s_cbranch_execz .LBB815_860
.LBB815_829:                            ;   in Loop: Header=BB815_688 Depth=2
	ds_load_b64 v[36:37], v110 offset:28672
	s_waitcnt lgkmcnt(0)
	v_lshrrev_b64 v[36:37], s40, v[36:37]
	s_delay_alu instid0(VALU_DEP_1)
	v_and_b32_e32 v162, s42, v36
	s_or_b32 exec_lo, exec_lo, s33
	s_and_saveexec_b32 s33, s31
	s_cbranch_execnz .LBB815_861
	s_branch .LBB815_862
.LBB815_830:                            ;   in Loop: Header=BB815_688 Depth=2
	s_or_b32 exec_lo, exec_lo, s33
	s_delay_alu instid0(SALU_CYCLE_1)
	s_mov_b32 s34, exec_lo
	v_cmpx_lt_u32_e64 v141, v177
	s_cbranch_execz .LBB815_800
.LBB815_831:                            ;   in Loop: Header=BB815_688 Depth=2
	global_load_b64 v[32:33], v[36:37], off offset:256
	s_or_b32 exec_lo, exec_lo, s34
	s_delay_alu instid0(SALU_CYCLE_1)
	s_mov_b32 s34, exec_lo
	v_cmpx_lt_u32_e64 v142, v177
	s_cbranch_execnz .LBB815_801
.LBB815_832:                            ;   in Loop: Header=BB815_688 Depth=2
	s_or_b32 exec_lo, exec_lo, s34
	s_delay_alu instid0(SALU_CYCLE_1)
	s_mov_b32 s34, exec_lo
	v_cmpx_lt_u32_e64 v143, v177
	s_cbranch_execz .LBB815_802
.LBB815_833:                            ;   in Loop: Header=BB815_688 Depth=2
	global_load_b64 v[28:29], v[36:37], off offset:768
	s_or_b32 exec_lo, exec_lo, s34
	s_delay_alu instid0(SALU_CYCLE_1)
	s_mov_b32 s34, exec_lo
	v_cmpx_lt_u32_e64 v144, v177
	s_cbranch_execnz .LBB815_803
.LBB815_834:                            ;   in Loop: Header=BB815_688 Depth=2
	s_or_b32 exec_lo, exec_lo, s34
	s_delay_alu instid0(SALU_CYCLE_1)
	s_mov_b32 s34, exec_lo
	v_cmpx_lt_u32_e64 v145, v177
	s_cbranch_execz .LBB815_804
.LBB815_835:                            ;   in Loop: Header=BB815_688 Depth=2
	global_load_b64 v[24:25], v[36:37], off offset:1280
	s_or_b32 exec_lo, exec_lo, s34
	s_delay_alu instid0(SALU_CYCLE_1)
	s_mov_b32 s34, exec_lo
	v_cmpx_lt_u32_e64 v146, v177
	s_cbranch_execnz .LBB815_805
.LBB815_836:                            ;   in Loop: Header=BB815_688 Depth=2
	s_or_b32 exec_lo, exec_lo, s34
	s_delay_alu instid0(SALU_CYCLE_1)
	s_mov_b32 s34, exec_lo
	v_cmpx_lt_u32_e64 v147, v177
	s_cbranch_execz .LBB815_806
.LBB815_837:                            ;   in Loop: Header=BB815_688 Depth=2
	global_load_b64 v[20:21], v[36:37], off offset:1792
	s_or_b32 exec_lo, exec_lo, s34
	s_delay_alu instid0(SALU_CYCLE_1)
	s_mov_b32 s34, exec_lo
	v_cmpx_lt_u32_e64 v148, v177
	s_cbranch_execnz .LBB815_807
.LBB815_838:                            ;   in Loop: Header=BB815_688 Depth=2
	s_or_b32 exec_lo, exec_lo, s34
	s_delay_alu instid0(SALU_CYCLE_1)
	s_mov_b32 s34, exec_lo
	v_cmpx_lt_u32_e64 v149, v177
	s_cbranch_execz .LBB815_808
.LBB815_839:                            ;   in Loop: Header=BB815_688 Depth=2
	global_load_b64 v[16:17], v[36:37], off offset:2304
	s_or_b32 exec_lo, exec_lo, s34
	s_delay_alu instid0(SALU_CYCLE_1)
	s_mov_b32 s34, exec_lo
	v_cmpx_lt_u32_e64 v150, v177
	s_cbranch_execnz .LBB815_809
.LBB815_840:                            ;   in Loop: Header=BB815_688 Depth=2
	s_or_b32 exec_lo, exec_lo, s34
	s_delay_alu instid0(SALU_CYCLE_1)
	s_mov_b32 s34, exec_lo
	v_cmpx_lt_u32_e64 v151, v177
	s_cbranch_execz .LBB815_810
.LBB815_841:                            ;   in Loop: Header=BB815_688 Depth=2
	global_load_b64 v[12:13], v[36:37], off offset:2816
	s_or_b32 exec_lo, exec_lo, s34
	s_delay_alu instid0(SALU_CYCLE_1)
	s_mov_b32 s34, exec_lo
	v_cmpx_lt_u32_e64 v152, v177
	s_cbranch_execnz .LBB815_811
.LBB815_842:                            ;   in Loop: Header=BB815_688 Depth=2
	s_or_b32 exec_lo, exec_lo, s34
	s_delay_alu instid0(SALU_CYCLE_1)
	s_mov_b32 s34, exec_lo
	v_cmpx_lt_u32_e64 v153, v177
	s_cbranch_execz .LBB815_812
.LBB815_843:                            ;   in Loop: Header=BB815_688 Depth=2
	global_load_b64 v[8:9], v[36:37], off offset:3328
	s_or_b32 exec_lo, exec_lo, s34
	s_delay_alu instid0(SALU_CYCLE_1)
	s_mov_b32 s34, exec_lo
	v_cmpx_lt_u32_e64 v154, v177
	s_cbranch_execnz .LBB815_813
.LBB815_844:                            ;   in Loop: Header=BB815_688 Depth=2
	s_or_b32 exec_lo, exec_lo, s34
	s_delay_alu instid0(SALU_CYCLE_1)
	s_mov_b32 s34, exec_lo
	v_cmpx_lt_u32_e64 v155, v177
	s_cbranch_execz .LBB815_814
.LBB815_845:                            ;   in Loop: Header=BB815_688 Depth=2
	global_load_b64 v[4:5], v[36:37], off offset:3840
	s_or_b32 exec_lo, exec_lo, s34
	s_and_saveexec_b32 s33, vcc_lo
	s_cbranch_execnz .LBB815_815
.LBB815_846:                            ;   in Loop: Header=BB815_688 Depth=2
	s_or_b32 exec_lo, exec_lo, s33
	s_and_saveexec_b32 s33, s16
	s_cbranch_execz .LBB815_816
.LBB815_847:                            ;   in Loop: Header=BB815_688 Depth=2
	ds_load_b64 v[36:37], v110 offset:2048
	s_waitcnt lgkmcnt(0)
	v_lshrrev_b64 v[36:37], s40, v[36:37]
	s_delay_alu instid0(VALU_DEP_1)
	v_and_b32_e32 v175, s42, v36
	s_or_b32 exec_lo, exec_lo, s33
	s_and_saveexec_b32 s33, s17
	s_cbranch_execnz .LBB815_817
.LBB815_848:                            ;   in Loop: Header=BB815_688 Depth=2
	s_or_b32 exec_lo, exec_lo, s33
	s_and_saveexec_b32 s33, s18
	s_cbranch_execz .LBB815_818
.LBB815_849:                            ;   in Loop: Header=BB815_688 Depth=2
	ds_load_b64 v[36:37], v110 offset:6144
	s_waitcnt lgkmcnt(0)
	v_lshrrev_b64 v[36:37], s40, v[36:37]
	s_delay_alu instid0(VALU_DEP_1)
	v_and_b32_e32 v173, s42, v36
	s_or_b32 exec_lo, exec_lo, s33
	s_and_saveexec_b32 s33, s19
	s_cbranch_execnz .LBB815_819
.LBB815_850:                            ;   in Loop: Header=BB815_688 Depth=2
	s_or_b32 exec_lo, exec_lo, s33
	s_and_saveexec_b32 s33, s20
	s_cbranch_execz .LBB815_820
.LBB815_851:                            ;   in Loop: Header=BB815_688 Depth=2
	ds_load_b64 v[36:37], v110 offset:10240
	s_waitcnt lgkmcnt(0)
	v_lshrrev_b64 v[36:37], s40, v[36:37]
	s_delay_alu instid0(VALU_DEP_1)
	v_and_b32_e32 v171, s42, v36
	s_or_b32 exec_lo, exec_lo, s33
	s_and_saveexec_b32 s33, s21
	s_cbranch_execnz .LBB815_821
.LBB815_852:                            ;   in Loop: Header=BB815_688 Depth=2
	s_or_b32 exec_lo, exec_lo, s33
	s_and_saveexec_b32 s33, s22
	s_cbranch_execz .LBB815_822
.LBB815_853:                            ;   in Loop: Header=BB815_688 Depth=2
	ds_load_b64 v[36:37], v110 offset:14336
	s_waitcnt lgkmcnt(0)
	v_lshrrev_b64 v[36:37], s40, v[36:37]
	s_delay_alu instid0(VALU_DEP_1)
	v_and_b32_e32 v169, s42, v36
	s_or_b32 exec_lo, exec_lo, s33
	s_and_saveexec_b32 s33, s23
	s_cbranch_execnz .LBB815_823
.LBB815_854:                            ;   in Loop: Header=BB815_688 Depth=2
	s_or_b32 exec_lo, exec_lo, s33
	s_and_saveexec_b32 s33, s24
	s_cbranch_execz .LBB815_824
.LBB815_855:                            ;   in Loop: Header=BB815_688 Depth=2
	ds_load_b64 v[36:37], v110 offset:18432
	s_waitcnt lgkmcnt(0)
	v_lshrrev_b64 v[36:37], s40, v[36:37]
	s_delay_alu instid0(VALU_DEP_1)
	v_and_b32_e32 v167, s42, v36
	s_or_b32 exec_lo, exec_lo, s33
	s_and_saveexec_b32 s33, s25
	s_cbranch_execnz .LBB815_825
.LBB815_856:                            ;   in Loop: Header=BB815_688 Depth=2
	s_or_b32 exec_lo, exec_lo, s33
	s_and_saveexec_b32 s33, s26
	s_cbranch_execz .LBB815_826
.LBB815_857:                            ;   in Loop: Header=BB815_688 Depth=2
	ds_load_b64 v[36:37], v110 offset:22528
	s_waitcnt lgkmcnt(0)
	v_lshrrev_b64 v[36:37], s40, v[36:37]
	s_delay_alu instid0(VALU_DEP_1)
	v_and_b32_e32 v165, s42, v36
	s_or_b32 exec_lo, exec_lo, s33
	s_and_saveexec_b32 s33, s27
	s_cbranch_execnz .LBB815_827
.LBB815_858:                            ;   in Loop: Header=BB815_688 Depth=2
	s_or_b32 exec_lo, exec_lo, s33
	s_and_saveexec_b32 s33, s29
	s_cbranch_execz .LBB815_828
.LBB815_859:                            ;   in Loop: Header=BB815_688 Depth=2
	ds_load_b64 v[36:37], v110 offset:26624
	s_waitcnt lgkmcnt(0)
	v_lshrrev_b64 v[36:37], s40, v[36:37]
	s_delay_alu instid0(VALU_DEP_1)
	v_and_b32_e32 v163, s42, v36
	s_or_b32 exec_lo, exec_lo, s33
	s_and_saveexec_b32 s33, s30
	s_cbranch_execnz .LBB815_829
.LBB815_860:                            ;   in Loop: Header=BB815_688 Depth=2
	s_or_b32 exec_lo, exec_lo, s33
	s_and_saveexec_b32 s33, s31
	s_cbranch_execz .LBB815_862
.LBB815_861:                            ;   in Loop: Header=BB815_688 Depth=2
	ds_load_b64 v[36:37], v110 offset:30720
	s_waitcnt lgkmcnt(0)
	v_lshrrev_b64 v[36:37], s40, v[36:37]
	s_delay_alu instid0(VALU_DEP_1)
	v_and_b32_e32 v161, s42, v36
.LBB815_862:                            ;   in Loop: Header=BB815_688 Depth=2
	s_or_b32 exec_lo, exec_lo, s33
	v_add_nc_u32_e32 v2, 0x400, v69
	v_add_nc_u32_e32 v36, 0x400, v70
	;; [unrolled: 1-line block ×16, first 2 shown]
	s_waitcnt vmcnt(0)
	s_waitcnt_vscnt null, 0x0
	s_barrier
	buffer_gl0_inv
	ds_store_b64 v2, v[34:35]
	ds_store_b64 v36, v[32:33]
	;; [unrolled: 1-line block ×16, first 2 shown]
	s_waitcnt lgkmcnt(0)
	s_barrier
	buffer_gl0_inv
	s_and_saveexec_b32 s33, vcc_lo
	s_cbranch_execz .LBB815_878
; %bb.863:                              ;   in Loop: Header=BB815_688 Depth=2
	v_lshlrev_b32_e32 v2, 2, v176
	v_add_nc_u32_e32 v36, v104, v76
	ds_load_b32 v2, v2
	ds_load_b64 v[36:37], v36 offset:1024
	s_waitcnt lgkmcnt(1)
	v_add_nc_u32_e32 v2, v2, v1
	s_delay_alu instid0(VALU_DEP_1) | instskip(NEXT) | instid1(VALU_DEP_1)
	v_lshlrev_b64 v[38:39], 3, v[2:3]
	v_add_co_u32 v38, vcc_lo, s52, v38
	s_delay_alu instid0(VALU_DEP_2)
	v_add_co_ci_u32_e32 v39, vcc_lo, s53, v39, vcc_lo
	s_waitcnt lgkmcnt(0)
	global_store_b64 v[38:39], v[36:37], off
	s_or_b32 exec_lo, exec_lo, s33
	s_and_saveexec_b32 s33, s16
	s_cbranch_execnz .LBB815_879
.LBB815_864:                            ;   in Loop: Header=BB815_688 Depth=2
	s_or_b32 exec_lo, exec_lo, s33
	s_and_saveexec_b32 s16, s17
	s_cbranch_execz .LBB815_880
.LBB815_865:                            ;   in Loop: Header=BB815_688 Depth=2
	v_lshlrev_b32_e32 v2, 2, v174
	ds_load_b32 v2, v2
	ds_load_b64 v[36:37], v110 offset:4096
	s_waitcnt lgkmcnt(1)
	v_add_nc_u32_e32 v2, v2, v78
	s_delay_alu instid0(VALU_DEP_1) | instskip(NEXT) | instid1(VALU_DEP_1)
	v_lshlrev_b64 v[38:39], 3, v[2:3]
	v_add_co_u32 v38, vcc_lo, s52, v38
	s_delay_alu instid0(VALU_DEP_2)
	v_add_co_ci_u32_e32 v39, vcc_lo, s53, v39, vcc_lo
	s_waitcnt lgkmcnt(0)
	global_store_b64 v[38:39], v[36:37], off
	s_or_b32 exec_lo, exec_lo, s16
	s_and_saveexec_b32 s16, s18
	s_cbranch_execnz .LBB815_881
.LBB815_866:                            ;   in Loop: Header=BB815_688 Depth=2
	s_or_b32 exec_lo, exec_lo, s16
	s_and_saveexec_b32 s16, s19
	s_cbranch_execz .LBB815_882
.LBB815_867:                            ;   in Loop: Header=BB815_688 Depth=2
	v_lshlrev_b32_e32 v2, 2, v172
	ds_load_b32 v2, v2
	ds_load_b64 v[36:37], v110 offset:8192
	s_waitcnt lgkmcnt(1)
	v_add_nc_u32_e32 v2, v2, v83
	s_delay_alu instid0(VALU_DEP_1) | instskip(NEXT) | instid1(VALU_DEP_1)
	v_lshlrev_b64 v[38:39], 3, v[2:3]
	v_add_co_u32 v38, vcc_lo, s52, v38
	s_delay_alu instid0(VALU_DEP_2)
	v_add_co_ci_u32_e32 v39, vcc_lo, s53, v39, vcc_lo
	s_waitcnt lgkmcnt(0)
	global_store_b64 v[38:39], v[36:37], off
	s_or_b32 exec_lo, exec_lo, s16
	s_and_saveexec_b32 s16, s20
	s_cbranch_execnz .LBB815_883
.LBB815_868:                            ;   in Loop: Header=BB815_688 Depth=2
	s_or_b32 exec_lo, exec_lo, s16
	s_and_saveexec_b32 s16, s21
	s_cbranch_execz .LBB815_884
.LBB815_869:                            ;   in Loop: Header=BB815_688 Depth=2
	v_lshlrev_b32_e32 v2, 2, v170
	ds_load_b32 v2, v2
	ds_load_b64 v[36:37], v110 offset:12288
	s_waitcnt lgkmcnt(1)
	v_add_nc_u32_e32 v2, v2, v85
	s_delay_alu instid0(VALU_DEP_1) | instskip(NEXT) | instid1(VALU_DEP_1)
	v_lshlrev_b64 v[38:39], 3, v[2:3]
	v_add_co_u32 v38, vcc_lo, s52, v38
	s_delay_alu instid0(VALU_DEP_2)
	v_add_co_ci_u32_e32 v39, vcc_lo, s53, v39, vcc_lo
	s_waitcnt lgkmcnt(0)
	global_store_b64 v[38:39], v[36:37], off
	s_or_b32 exec_lo, exec_lo, s16
	s_and_saveexec_b32 s16, s22
	s_cbranch_execnz .LBB815_885
.LBB815_870:                            ;   in Loop: Header=BB815_688 Depth=2
	s_or_b32 exec_lo, exec_lo, s16
	s_and_saveexec_b32 s16, s23
	s_cbranch_execz .LBB815_886
.LBB815_871:                            ;   in Loop: Header=BB815_688 Depth=2
	v_lshlrev_b32_e32 v2, 2, v168
	ds_load_b32 v2, v2
	ds_load_b64 v[36:37], v110 offset:16384
	s_waitcnt lgkmcnt(1)
	v_add_nc_u32_e32 v2, v2, v87
	s_delay_alu instid0(VALU_DEP_1) | instskip(NEXT) | instid1(VALU_DEP_1)
	v_lshlrev_b64 v[38:39], 3, v[2:3]
	v_add_co_u32 v38, vcc_lo, s52, v38
	s_delay_alu instid0(VALU_DEP_2)
	v_add_co_ci_u32_e32 v39, vcc_lo, s53, v39, vcc_lo
	s_waitcnt lgkmcnt(0)
	global_store_b64 v[38:39], v[36:37], off
	s_or_b32 exec_lo, exec_lo, s16
	s_and_saveexec_b32 s16, s24
	s_cbranch_execnz .LBB815_887
.LBB815_872:                            ;   in Loop: Header=BB815_688 Depth=2
	s_or_b32 exec_lo, exec_lo, s16
	s_and_saveexec_b32 s16, s25
	s_cbranch_execz .LBB815_888
.LBB815_873:                            ;   in Loop: Header=BB815_688 Depth=2
	v_lshlrev_b32_e32 v2, 2, v166
	ds_load_b32 v2, v2
	ds_load_b64 v[36:37], v110 offset:20480
	s_waitcnt lgkmcnt(1)
	v_add_nc_u32_e32 v2, v2, v89
	s_delay_alu instid0(VALU_DEP_1) | instskip(NEXT) | instid1(VALU_DEP_1)
	v_lshlrev_b64 v[38:39], 3, v[2:3]
	v_add_co_u32 v38, vcc_lo, s52, v38
	s_delay_alu instid0(VALU_DEP_2)
	v_add_co_ci_u32_e32 v39, vcc_lo, s53, v39, vcc_lo
	s_waitcnt lgkmcnt(0)
	global_store_b64 v[38:39], v[36:37], off
	s_or_b32 exec_lo, exec_lo, s16
	s_and_saveexec_b32 s16, s26
	s_cbranch_execnz .LBB815_889
.LBB815_874:                            ;   in Loop: Header=BB815_688 Depth=2
	s_or_b32 exec_lo, exec_lo, s16
	s_and_saveexec_b32 s16, s27
	s_cbranch_execz .LBB815_890
.LBB815_875:                            ;   in Loop: Header=BB815_688 Depth=2
	v_lshlrev_b32_e32 v2, 2, v164
	ds_load_b32 v2, v2
	ds_load_b64 v[36:37], v110 offset:24576
	s_waitcnt lgkmcnt(1)
	v_add_nc_u32_e32 v2, v2, v91
	s_delay_alu instid0(VALU_DEP_1) | instskip(NEXT) | instid1(VALU_DEP_1)
	v_lshlrev_b64 v[38:39], 3, v[2:3]
	v_add_co_u32 v38, vcc_lo, s52, v38
	s_delay_alu instid0(VALU_DEP_2)
	v_add_co_ci_u32_e32 v39, vcc_lo, s53, v39, vcc_lo
	s_waitcnt lgkmcnt(0)
	global_store_b64 v[38:39], v[36:37], off
	s_or_b32 exec_lo, exec_lo, s16
	s_and_saveexec_b32 s16, s29
	s_cbranch_execnz .LBB815_891
.LBB815_876:                            ;   in Loop: Header=BB815_688 Depth=2
	s_or_b32 exec_lo, exec_lo, s16
	s_and_saveexec_b32 s16, s30
	s_cbranch_execz .LBB815_892
.LBB815_877:                            ;   in Loop: Header=BB815_688 Depth=2
	v_lshlrev_b32_e32 v2, 2, v162
	ds_load_b32 v2, v2
	ds_load_b64 v[36:37], v110 offset:28672
	s_waitcnt lgkmcnt(1)
	v_add_nc_u32_e32 v2, v2, v93
	s_delay_alu instid0(VALU_DEP_1) | instskip(NEXT) | instid1(VALU_DEP_1)
	v_lshlrev_b64 v[38:39], 3, v[2:3]
	v_add_co_u32 v38, vcc_lo, s52, v38
	s_delay_alu instid0(VALU_DEP_2)
	v_add_co_ci_u32_e32 v39, vcc_lo, s53, v39, vcc_lo
	s_waitcnt lgkmcnt(0)
	global_store_b64 v[38:39], v[36:37], off
	s_or_b32 exec_lo, exec_lo, s16
	s_and_saveexec_b32 s16, s31
	s_cbranch_execnz .LBB815_893
	s_branch .LBB815_894
.LBB815_878:                            ;   in Loop: Header=BB815_688 Depth=2
	s_or_b32 exec_lo, exec_lo, s33
	s_and_saveexec_b32 s33, s16
	s_cbranch_execz .LBB815_864
.LBB815_879:                            ;   in Loop: Header=BB815_688 Depth=2
	v_lshlrev_b32_e32 v2, 2, v175
	ds_load_b32 v2, v2
	ds_load_b64 v[36:37], v110 offset:2048
	s_waitcnt lgkmcnt(1)
	v_add_nc_u32_e32 v2, v2, v77
	s_delay_alu instid0(VALU_DEP_1) | instskip(NEXT) | instid1(VALU_DEP_1)
	v_lshlrev_b64 v[38:39], 3, v[2:3]
	v_add_co_u32 v38, vcc_lo, s52, v38
	s_delay_alu instid0(VALU_DEP_2)
	v_add_co_ci_u32_e32 v39, vcc_lo, s53, v39, vcc_lo
	s_waitcnt lgkmcnt(0)
	global_store_b64 v[38:39], v[36:37], off
	s_or_b32 exec_lo, exec_lo, s33
	s_and_saveexec_b32 s16, s17
	s_cbranch_execnz .LBB815_865
.LBB815_880:                            ;   in Loop: Header=BB815_688 Depth=2
	s_or_b32 exec_lo, exec_lo, s16
	s_and_saveexec_b32 s16, s18
	s_cbranch_execz .LBB815_866
.LBB815_881:                            ;   in Loop: Header=BB815_688 Depth=2
	v_lshlrev_b32_e32 v2, 2, v173
	ds_load_b32 v2, v2
	ds_load_b64 v[36:37], v110 offset:6144
	s_waitcnt lgkmcnt(1)
	v_add_nc_u32_e32 v2, v2, v79
	s_delay_alu instid0(VALU_DEP_1) | instskip(NEXT) | instid1(VALU_DEP_1)
	v_lshlrev_b64 v[38:39], 3, v[2:3]
	v_add_co_u32 v38, vcc_lo, s52, v38
	s_delay_alu instid0(VALU_DEP_2)
	v_add_co_ci_u32_e32 v39, vcc_lo, s53, v39, vcc_lo
	s_waitcnt lgkmcnt(0)
	global_store_b64 v[38:39], v[36:37], off
	s_or_b32 exec_lo, exec_lo, s16
	s_and_saveexec_b32 s16, s19
	s_cbranch_execnz .LBB815_867
.LBB815_882:                            ;   in Loop: Header=BB815_688 Depth=2
	s_or_b32 exec_lo, exec_lo, s16
	s_and_saveexec_b32 s16, s20
	s_cbranch_execz .LBB815_868
.LBB815_883:                            ;   in Loop: Header=BB815_688 Depth=2
	v_lshlrev_b32_e32 v2, 2, v171
	ds_load_b32 v2, v2
	ds_load_b64 v[36:37], v110 offset:10240
	s_waitcnt lgkmcnt(1)
	v_add_nc_u32_e32 v2, v2, v84
	s_delay_alu instid0(VALU_DEP_1) | instskip(NEXT) | instid1(VALU_DEP_1)
	v_lshlrev_b64 v[38:39], 3, v[2:3]
	v_add_co_u32 v38, vcc_lo, s52, v38
	s_delay_alu instid0(VALU_DEP_2)
	v_add_co_ci_u32_e32 v39, vcc_lo, s53, v39, vcc_lo
	s_waitcnt lgkmcnt(0)
	global_store_b64 v[38:39], v[36:37], off
	s_or_b32 exec_lo, exec_lo, s16
	s_and_saveexec_b32 s16, s21
	s_cbranch_execnz .LBB815_869
.LBB815_884:                            ;   in Loop: Header=BB815_688 Depth=2
	s_or_b32 exec_lo, exec_lo, s16
	s_and_saveexec_b32 s16, s22
	s_cbranch_execz .LBB815_870
.LBB815_885:                            ;   in Loop: Header=BB815_688 Depth=2
	v_lshlrev_b32_e32 v2, 2, v169
	ds_load_b32 v2, v2
	ds_load_b64 v[36:37], v110 offset:14336
	s_waitcnt lgkmcnt(1)
	v_add_nc_u32_e32 v2, v2, v86
	s_delay_alu instid0(VALU_DEP_1) | instskip(NEXT) | instid1(VALU_DEP_1)
	v_lshlrev_b64 v[38:39], 3, v[2:3]
	v_add_co_u32 v38, vcc_lo, s52, v38
	s_delay_alu instid0(VALU_DEP_2)
	v_add_co_ci_u32_e32 v39, vcc_lo, s53, v39, vcc_lo
	s_waitcnt lgkmcnt(0)
	global_store_b64 v[38:39], v[36:37], off
	s_or_b32 exec_lo, exec_lo, s16
	s_and_saveexec_b32 s16, s23
	s_cbranch_execnz .LBB815_871
.LBB815_886:                            ;   in Loop: Header=BB815_688 Depth=2
	s_or_b32 exec_lo, exec_lo, s16
	s_and_saveexec_b32 s16, s24
	s_cbranch_execz .LBB815_872
.LBB815_887:                            ;   in Loop: Header=BB815_688 Depth=2
	v_lshlrev_b32_e32 v2, 2, v167
	ds_load_b32 v2, v2
	ds_load_b64 v[36:37], v110 offset:18432
	s_waitcnt lgkmcnt(1)
	v_add_nc_u32_e32 v2, v2, v88
	s_delay_alu instid0(VALU_DEP_1) | instskip(NEXT) | instid1(VALU_DEP_1)
	v_lshlrev_b64 v[38:39], 3, v[2:3]
	v_add_co_u32 v38, vcc_lo, s52, v38
	s_delay_alu instid0(VALU_DEP_2)
	v_add_co_ci_u32_e32 v39, vcc_lo, s53, v39, vcc_lo
	s_waitcnt lgkmcnt(0)
	global_store_b64 v[38:39], v[36:37], off
	s_or_b32 exec_lo, exec_lo, s16
	s_and_saveexec_b32 s16, s25
	s_cbranch_execnz .LBB815_873
.LBB815_888:                            ;   in Loop: Header=BB815_688 Depth=2
	s_or_b32 exec_lo, exec_lo, s16
	s_and_saveexec_b32 s16, s26
	s_cbranch_execz .LBB815_874
.LBB815_889:                            ;   in Loop: Header=BB815_688 Depth=2
	v_lshlrev_b32_e32 v2, 2, v165
	ds_load_b32 v2, v2
	ds_load_b64 v[36:37], v110 offset:22528
	s_waitcnt lgkmcnt(1)
	v_add_nc_u32_e32 v2, v2, v90
	s_delay_alu instid0(VALU_DEP_1) | instskip(NEXT) | instid1(VALU_DEP_1)
	v_lshlrev_b64 v[38:39], 3, v[2:3]
	v_add_co_u32 v38, vcc_lo, s52, v38
	s_delay_alu instid0(VALU_DEP_2)
	v_add_co_ci_u32_e32 v39, vcc_lo, s53, v39, vcc_lo
	s_waitcnt lgkmcnt(0)
	global_store_b64 v[38:39], v[36:37], off
	s_or_b32 exec_lo, exec_lo, s16
	s_and_saveexec_b32 s16, s27
	s_cbranch_execnz .LBB815_875
.LBB815_890:                            ;   in Loop: Header=BB815_688 Depth=2
	s_or_b32 exec_lo, exec_lo, s16
	s_and_saveexec_b32 s16, s29
	s_cbranch_execz .LBB815_876
.LBB815_891:                            ;   in Loop: Header=BB815_688 Depth=2
	v_lshlrev_b32_e32 v2, 2, v163
	ds_load_b32 v2, v2
	ds_load_b64 v[36:37], v110 offset:26624
	s_waitcnt lgkmcnt(1)
	v_add_nc_u32_e32 v2, v2, v92
	s_delay_alu instid0(VALU_DEP_1) | instskip(NEXT) | instid1(VALU_DEP_1)
	v_lshlrev_b64 v[38:39], 3, v[2:3]
	v_add_co_u32 v38, vcc_lo, s52, v38
	s_delay_alu instid0(VALU_DEP_2)
	v_add_co_ci_u32_e32 v39, vcc_lo, s53, v39, vcc_lo
	s_waitcnt lgkmcnt(0)
	global_store_b64 v[38:39], v[36:37], off
	s_or_b32 exec_lo, exec_lo, s16
	s_and_saveexec_b32 s16, s30
	s_cbranch_execnz .LBB815_877
.LBB815_892:                            ;   in Loop: Header=BB815_688 Depth=2
	s_or_b32 exec_lo, exec_lo, s16
	s_and_saveexec_b32 s16, s31
	s_cbranch_execz .LBB815_894
.LBB815_893:                            ;   in Loop: Header=BB815_688 Depth=2
	v_lshlrev_b32_e32 v2, 2, v161
	ds_load_b32 v2, v2
	ds_load_b64 v[36:37], v110 offset:30720
	s_waitcnt lgkmcnt(1)
	v_add_nc_u32_e32 v2, v2, v95
	s_delay_alu instid0(VALU_DEP_1) | instskip(NEXT) | instid1(VALU_DEP_1)
	v_lshlrev_b64 v[38:39], 3, v[2:3]
	v_add_co_u32 v38, vcc_lo, s52, v38
	s_delay_alu instid0(VALU_DEP_2)
	v_add_co_ci_u32_e32 v39, vcc_lo, s53, v39, vcc_lo
	s_waitcnt lgkmcnt(0)
	global_store_b64 v[38:39], v[36:37], off
.LBB815_894:                            ;   in Loop: Header=BB815_688 Depth=2
	s_or_b32 exec_lo, exec_lo, s16
	s_waitcnt_vscnt null, 0x0
	s_barrier
	buffer_gl0_inv
	s_and_saveexec_b32 s16, s2
	s_cbranch_execz .LBB815_687
; %bb.895:                              ;   in Loop: Header=BB815_688 Depth=2
	ds_load_b32 v2, v76
	s_waitcnt lgkmcnt(0)
	v_add_nc_u32_e32 v2, v2, v68
	ds_store_b32 v76, v2
	s_branch .LBB815_687
.LBB815_896:                            ;   in Loop: Header=BB815_12 Depth=1
	s_waitcnt lgkmcnt(0)
	s_mov_b32 s1, 0
	s_barrier
.LBB815_897:                            ;   in Loop: Header=BB815_12 Depth=1
	s_and_b32 vcc_lo, exec_lo, s1
	s_cbranch_vccz .LBB815_11
; %bb.898:                              ;   in Loop: Header=BB815_12 Depth=1
	s_mov_b32 s1, s62
	s_mov_b32 s34, s60
	s_barrier
	buffer_gl0_inv
                                        ; implicit-def: $vgpr34_vgpr35
                                        ; implicit-def: $vgpr4_vgpr5
                                        ; implicit-def: $vgpr6_vgpr7
                                        ; implicit-def: $vgpr8_vgpr9
                                        ; implicit-def: $vgpr10_vgpr11
                                        ; implicit-def: $vgpr12_vgpr13
                                        ; implicit-def: $vgpr14_vgpr15
                                        ; implicit-def: $vgpr16_vgpr17
                                        ; implicit-def: $vgpr18_vgpr19
                                        ; implicit-def: $vgpr20_vgpr21
                                        ; implicit-def: $vgpr22_vgpr23
                                        ; implicit-def: $vgpr24_vgpr25
                                        ; implicit-def: $vgpr26_vgpr27
                                        ; implicit-def: $vgpr28_vgpr29
                                        ; implicit-def: $vgpr30_vgpr31
                                        ; implicit-def: $vgpr32_vgpr33
	s_branch .LBB815_900
.LBB815_899:                            ;   in Loop: Header=BB815_900 Depth=2
	s_or_b32 exec_lo, exec_lo, s8
	s_addk_i32 s1, 0xf000
	s_cmp_ge_u32 s7, s61
	s_mov_b32 s34, s7
	s_cbranch_scc1 .LBB815_970
.LBB815_900:                            ;   Parent Loop BB815_12 Depth=1
                                        ; =>  This Inner Loop Header: Depth=2
	s_add_i32 s7, s34, 0x1000
	s_delay_alu instid0(SALU_CYCLE_1)
	s_cmp_gt_u32 s7, s61
	s_cbranch_scc1 .LBB815_903
; %bb.901:                              ;   in Loop: Header=BB815_900 Depth=2
	s_mov_b32 s9, 0
	s_mov_b32 s8, s34
	s_delay_alu instid0(SALU_CYCLE_1) | instskip(NEXT) | instid1(SALU_CYCLE_1)
	s_lshl_b64 s[10:11], s[8:9], 3
	v_add_co_u32 v36, vcc_lo, v117, s10
	v_add_co_ci_u32_e32 v37, vcc_lo, s11, v118, vcc_lo
	s_movk_i32 s11, 0x1000
	s_waitcnt vmcnt(12)
	s_delay_alu instid0(VALU_DEP_2) | instskip(NEXT) | instid1(VALU_DEP_2)
	v_add_co_u32 v42, vcc_lo, 0x1000, v36
	v_add_co_ci_u32_e32 v43, vcc_lo, 0, v37, vcc_lo
	s_waitcnt vmcnt(11)
	v_add_co_u32 v44, vcc_lo, 0x2000, v36
	v_add_co_ci_u32_e32 v45, vcc_lo, 0, v37, vcc_lo
	s_waitcnt vmcnt(1)
	v_add_co_u32 v50, vcc_lo, v36, 0x2000
	v_add_co_ci_u32_e32 v51, vcc_lo, 0, v37, vcc_lo
	v_add_co_u32 v52, vcc_lo, v36, 0x4000
	v_add_co_ci_u32_e32 v53, vcc_lo, 0, v37, vcc_lo
	;; [unrolled: 2-line block ×7, first 2 shown]
	s_waitcnt vmcnt(0)
	v_add_co_u32 v66, vcc_lo, 0x7000, v36
	v_add_co_ci_u32_e32 v67, vcc_lo, 0, v37, vcc_lo
	s_clause 0xe
	global_load_b64 v[38:39], v[36:37], off
	global_load_b64 v[40:41], v[36:37], off offset:2048
	global_load_b64 v[42:43], v[42:43], off offset:2048
	;; [unrolled: 1-line block ×3, first 2 shown]
	global_load_b64 v[46:47], v[50:51], off
	global_load_b64 v[48:49], v[52:53], off offset:-4096
	global_load_b64 v[52:53], v[52:53], off
	global_load_b64 v[56:57], v[60:61], off offset:-4096
	global_load_b64 v[60:61], v[60:61], off
	global_load_b64 v[54:55], v[54:55], off offset:2048
	global_load_b64 v[58:59], v[58:59], off offset:2048
	;; [unrolled: 1-line block ×4, first 2 shown]
	global_load_b64 v[50:51], v[50:51], off offset:-4096
	global_load_b64 v[66:67], v[66:67], off
	v_add_co_u32 v36, vcc_lo, 0x7800, v36
	v_add_co_ci_u32_e32 v37, vcc_lo, 0, v37, vcc_lo
	s_mov_b32 s10, -1
	s_cbranch_execz .LBB815_904
; %bb.902:                              ;   in Loop: Header=BB815_900 Depth=2
                                        ; implicit-def: $vgpr32_vgpr33
                                        ; implicit-def: $vgpr30_vgpr31
                                        ; implicit-def: $vgpr28_vgpr29
                                        ; implicit-def: $vgpr26_vgpr27
                                        ; implicit-def: $vgpr24_vgpr25
                                        ; implicit-def: $vgpr22_vgpr23
                                        ; implicit-def: $vgpr20_vgpr21
                                        ; implicit-def: $vgpr18_vgpr19
                                        ; implicit-def: $vgpr16_vgpr17
                                        ; implicit-def: $vgpr14_vgpr15
                                        ; implicit-def: $vgpr12_vgpr13
                                        ; implicit-def: $vgpr10_vgpr11
                                        ; implicit-def: $vgpr8_vgpr9
                                        ; implicit-def: $vgpr6_vgpr7
                                        ; implicit-def: $vgpr4_vgpr5
                                        ; implicit-def: $vgpr34_vgpr35
	v_mov_b32_e32 v2, s1
	s_and_saveexec_b32 s8, s10
	s_cbranch_execnz .LBB815_923
	s_branch .LBB815_924
.LBB815_903:                            ;   in Loop: Header=BB815_900 Depth=2
	s_mov_b32 s10, 0
                                        ; implicit-def: $sgpr11
                                        ; implicit-def: $vgpr38_vgpr39
                                        ; implicit-def: $vgpr40_vgpr41
                                        ; implicit-def: $vgpr50_vgpr51
                                        ; implicit-def: $vgpr42_vgpr43
                                        ; implicit-def: $vgpr46_vgpr47
                                        ; implicit-def: $vgpr44_vgpr45
                                        ; implicit-def: $vgpr48_vgpr49
                                        ; implicit-def: $vgpr54_vgpr55
                                        ; implicit-def: $vgpr52_vgpr53
                                        ; implicit-def: $vgpr58_vgpr59
                                        ; implicit-def: $vgpr56_vgpr57
                                        ; implicit-def: $vgpr62_vgpr63
                                        ; implicit-def: $vgpr60_vgpr61
                                        ; implicit-def: $vgpr64_vgpr65
                                        ; implicit-def: $vgpr66_vgpr67
                                        ; implicit-def: $vgpr36_vgpr37
.LBB815_904:                            ;   in Loop: Header=BB815_900 Depth=2
	s_lshl_b64 s[8:9], s[34:35], 3
	s_mov_b32 s11, exec_lo
	s_add_u32 s8, s44, s8
	s_addc_u32 s9, s45, s9
	v_cmpx_gt_u32_e64 s1, v1
	s_cbranch_execz .LBB815_956
; %bb.905:                              ;   in Loop: Header=BB815_900 Depth=2
	global_load_b64 v[32:33], v124, s[8:9]
	s_or_b32 exec_lo, exec_lo, s11
	s_delay_alu instid0(SALU_CYCLE_1)
	s_mov_b32 s11, exec_lo
	v_cmpx_gt_u32_e64 s1, v77
	s_cbranch_execnz .LBB815_957
.LBB815_906:                            ;   in Loop: Header=BB815_900 Depth=2
	s_or_b32 exec_lo, exec_lo, s11
	s_delay_alu instid0(SALU_CYCLE_1)
	s_mov_b32 s11, exec_lo
	v_cmpx_gt_u32_e64 s1, v78
	s_cbranch_execz .LBB815_958
.LBB815_907:                            ;   in Loop: Header=BB815_900 Depth=2
	global_load_b64 v[28:29], v125, s[8:9]
	s_or_b32 exec_lo, exec_lo, s11
	s_delay_alu instid0(SALU_CYCLE_1)
	s_mov_b32 s11, exec_lo
	v_cmpx_gt_u32_e64 s1, v79
	s_cbranch_execnz .LBB815_959
.LBB815_908:                            ;   in Loop: Header=BB815_900 Depth=2
	s_or_b32 exec_lo, exec_lo, s11
	s_delay_alu instid0(SALU_CYCLE_1)
	s_mov_b32 s11, exec_lo
	v_cmpx_gt_u32_e64 s1, v83
	s_cbranch_execz .LBB815_960
.LBB815_909:                            ;   in Loop: Header=BB815_900 Depth=2
	global_load_b64 v[24:25], v127, s[8:9]
	s_or_b32 exec_lo, exec_lo, s11
	s_delay_alu instid0(SALU_CYCLE_1)
	s_mov_b32 s11, exec_lo
	v_cmpx_gt_u32_e64 s1, v84
	s_cbranch_execnz .LBB815_961
.LBB815_910:                            ;   in Loop: Header=BB815_900 Depth=2
	s_or_b32 exec_lo, exec_lo, s11
	s_delay_alu instid0(SALU_CYCLE_1)
	s_mov_b32 s11, exec_lo
	v_cmpx_gt_u32_e64 s1, v85
	s_cbranch_execz .LBB815_962
.LBB815_911:                            ;   in Loop: Header=BB815_900 Depth=2
	global_load_b64 v[20:21], v129, s[8:9]
	s_or_b32 exec_lo, exec_lo, s11
	s_delay_alu instid0(SALU_CYCLE_1)
	s_mov_b32 s11, exec_lo
	v_cmpx_gt_u32_e64 s1, v86
	s_cbranch_execnz .LBB815_963
.LBB815_912:                            ;   in Loop: Header=BB815_900 Depth=2
	s_or_b32 exec_lo, exec_lo, s11
	s_delay_alu instid0(SALU_CYCLE_1)
	s_mov_b32 s11, exec_lo
	v_cmpx_gt_u32_e64 s1, v87
	s_cbranch_execz .LBB815_964
.LBB815_913:                            ;   in Loop: Header=BB815_900 Depth=2
	global_load_b64 v[16:17], v131, s[8:9]
	s_or_b32 exec_lo, exec_lo, s11
	s_delay_alu instid0(SALU_CYCLE_1)
	s_mov_b32 s11, exec_lo
	v_cmpx_gt_u32_e64 s1, v88
	s_cbranch_execnz .LBB815_965
.LBB815_914:                            ;   in Loop: Header=BB815_900 Depth=2
	s_or_b32 exec_lo, exec_lo, s11
	s_delay_alu instid0(SALU_CYCLE_1)
	s_mov_b32 s11, exec_lo
	v_cmpx_gt_u32_e64 s1, v89
	s_cbranch_execz .LBB815_966
.LBB815_915:                            ;   in Loop: Header=BB815_900 Depth=2
	global_load_b64 v[12:13], v133, s[8:9]
	s_or_b32 exec_lo, exec_lo, s11
	s_delay_alu instid0(SALU_CYCLE_1)
	s_mov_b32 s11, exec_lo
	v_cmpx_gt_u32_e64 s1, v90
	s_cbranch_execnz .LBB815_967
.LBB815_916:                            ;   in Loop: Header=BB815_900 Depth=2
	s_or_b32 exec_lo, exec_lo, s11
	s_delay_alu instid0(SALU_CYCLE_1)
	s_mov_b32 s11, exec_lo
	v_cmpx_gt_u32_e64 s1, v91
	s_cbranch_execz .LBB815_968
.LBB815_917:                            ;   in Loop: Header=BB815_900 Depth=2
	global_load_b64 v[8:9], v135, s[8:9]
	s_or_b32 exec_lo, exec_lo, s11
	s_delay_alu instid0(SALU_CYCLE_1)
	s_mov_b32 s11, exec_lo
	v_cmpx_gt_u32_e64 s1, v92
	s_cbranch_execnz .LBB815_969
.LBB815_918:                            ;   in Loop: Header=BB815_900 Depth=2
	s_or_b32 exec_lo, exec_lo, s11
	s_delay_alu instid0(SALU_CYCLE_1)
	s_mov_b32 s11, exec_lo
	v_cmpx_gt_u32_e64 s1, v93
	s_cbranch_execz .LBB815_920
.LBB815_919:                            ;   in Loop: Header=BB815_900 Depth=2
	v_lshlrev_b32_e32 v2, 3, v93
	global_load_b64 v[4:5], v2, s[8:9]
.LBB815_920:                            ;   in Loop: Header=BB815_900 Depth=2
	s_or_b32 exec_lo, exec_lo, s11
	s_delay_alu instid0(SALU_CYCLE_1)
	s_mov_b32 s12, exec_lo
                                        ; implicit-def: $sgpr11
                                        ; implicit-def: $vgpr36_vgpr37
	v_cmpx_gt_u32_e64 s1, v95
; %bb.921:                              ;   in Loop: Header=BB815_900 Depth=2
	v_lshlrev_b32_e32 v2, 3, v95
	s_sub_i32 s11, s61, s34
	s_or_b32 s10, s10, exec_lo
                                        ; implicit-def: $vgpr34_vgpr35
	s_delay_alu instid0(VALU_DEP_1) | instskip(NEXT) | instid1(VALU_DEP_1)
	v_add_co_u32 v36, s8, s8, v2
	v_add_co_ci_u32_e64 v37, null, s9, 0, s8
; %bb.922:                              ;   in Loop: Header=BB815_900 Depth=2
	s_or_b32 exec_lo, exec_lo, s12
	s_waitcnt vmcnt(0)
	v_dual_mov_b32 v39, v33 :: v_dual_mov_b32 v38, v32
	v_dual_mov_b32 v41, v31 :: v_dual_mov_b32 v40, v30
	;; [unrolled: 1-line block ×15, first 2 shown]
	v_mov_b32_e32 v2, s1
	s_and_saveexec_b32 s8, s10
	s_cbranch_execz .LBB815_924
.LBB815_923:                            ;   in Loop: Header=BB815_900 Depth=2
	global_load_b64 v[34:35], v[36:37], off
	s_waitcnt vmcnt(1)
	v_mov_b32_e32 v4, v66
	v_mov_b32_e32 v6, v64
	;; [unrolled: 1-line block ×14, first 2 shown]
	v_dual_mov_b32 v32, v38 :: v_dual_mov_b32 v33, v39
	v_dual_mov_b32 v2, s11 :: v_dual_mov_b32 v5, v67
	v_mov_b32_e32 v7, v65
	v_mov_b32_e32 v9, v61
	;; [unrolled: 1-line block ×13, first 2 shown]
.LBB815_924:                            ;   in Loop: Header=BB815_900 Depth=2
	s_or_b32 exec_lo, exec_lo, s8
	v_lshlrev_b32_e32 v36, 2, v80
	s_mov_b32 s8, exec_lo
	v_cmpx_lt_u32_e64 v1, v2
	s_cbranch_execz .LBB815_940
; %bb.925:                              ;   in Loop: Header=BB815_900 Depth=2
	s_waitcnt vmcnt(14)
	v_xor_b32_e32 v38, 0x80000000, v33
	v_mov_b32_e32 v37, v32
	s_delay_alu instid0(VALU_DEP_1) | instskip(NEXT) | instid1(VALU_DEP_1)
	v_lshrrev_b64 v[37:38], s40, v[37:38]
	v_and_b32_e32 v37, s42, v37
	s_delay_alu instid0(VALU_DEP_1) | instskip(SKIP_2) | instid1(SALU_CYCLE_1)
	v_lshl_or_b32 v37, v37, 4, v36
	ds_add_u32 v37, v123
	s_or_b32 exec_lo, exec_lo, s8
	s_mov_b32 s8, exec_lo
	v_cmpx_lt_u32_e64 v77, v2
	s_cbranch_execnz .LBB815_941
.LBB815_926:                            ;   in Loop: Header=BB815_900 Depth=2
	s_or_b32 exec_lo, exec_lo, s8
	s_delay_alu instid0(SALU_CYCLE_1)
	s_mov_b32 s8, exec_lo
	v_cmpx_lt_u32_e64 v78, v2
	s_cbranch_execz .LBB815_942
.LBB815_927:                            ;   in Loop: Header=BB815_900 Depth=2
	s_waitcnt vmcnt(14)
	v_xor_b32_e32 v38, 0x80000000, v29
	v_mov_b32_e32 v37, v28
	s_delay_alu instid0(VALU_DEP_1) | instskip(NEXT) | instid1(VALU_DEP_1)
	v_lshrrev_b64 v[37:38], s40, v[37:38]
	v_and_b32_e32 v37, s42, v37
	s_delay_alu instid0(VALU_DEP_1) | instskip(SKIP_2) | instid1(SALU_CYCLE_1)
	v_lshl_or_b32 v37, v37, 4, v36
	ds_add_u32 v37, v123
	s_or_b32 exec_lo, exec_lo, s8
	s_mov_b32 s8, exec_lo
	v_cmpx_lt_u32_e64 v79, v2
	s_cbranch_execnz .LBB815_943
.LBB815_928:                            ;   in Loop: Header=BB815_900 Depth=2
	s_or_b32 exec_lo, exec_lo, s8
	s_delay_alu instid0(SALU_CYCLE_1)
	s_mov_b32 s8, exec_lo
	v_cmpx_lt_u32_e64 v83, v2
	s_cbranch_execz .LBB815_944
.LBB815_929:                            ;   in Loop: Header=BB815_900 Depth=2
	s_waitcnt vmcnt(14)
	v_xor_b32_e32 v38, 0x80000000, v25
	v_mov_b32_e32 v37, v24
	s_delay_alu instid0(VALU_DEP_1) | instskip(NEXT) | instid1(VALU_DEP_1)
	v_lshrrev_b64 v[37:38], s40, v[37:38]
	v_and_b32_e32 v37, s42, v37
	s_delay_alu instid0(VALU_DEP_1) | instskip(SKIP_2) | instid1(SALU_CYCLE_1)
	v_lshl_or_b32 v37, v37, 4, v36
	ds_add_u32 v37, v123
	s_or_b32 exec_lo, exec_lo, s8
	s_mov_b32 s8, exec_lo
	v_cmpx_lt_u32_e64 v84, v2
	s_cbranch_execnz .LBB815_945
.LBB815_930:                            ;   in Loop: Header=BB815_900 Depth=2
	s_or_b32 exec_lo, exec_lo, s8
	s_delay_alu instid0(SALU_CYCLE_1)
	s_mov_b32 s8, exec_lo
	v_cmpx_lt_u32_e64 v85, v2
	s_cbranch_execz .LBB815_946
.LBB815_931:                            ;   in Loop: Header=BB815_900 Depth=2
	s_waitcnt vmcnt(14)
	v_xor_b32_e32 v38, 0x80000000, v21
	v_mov_b32_e32 v37, v20
	s_delay_alu instid0(VALU_DEP_1) | instskip(NEXT) | instid1(VALU_DEP_1)
	v_lshrrev_b64 v[37:38], s40, v[37:38]
	v_and_b32_e32 v37, s42, v37
	s_delay_alu instid0(VALU_DEP_1) | instskip(SKIP_2) | instid1(SALU_CYCLE_1)
	v_lshl_or_b32 v37, v37, 4, v36
	ds_add_u32 v37, v123
	s_or_b32 exec_lo, exec_lo, s8
	s_mov_b32 s8, exec_lo
	v_cmpx_lt_u32_e64 v86, v2
	s_cbranch_execnz .LBB815_947
.LBB815_932:                            ;   in Loop: Header=BB815_900 Depth=2
	s_or_b32 exec_lo, exec_lo, s8
	s_delay_alu instid0(SALU_CYCLE_1)
	s_mov_b32 s8, exec_lo
	v_cmpx_lt_u32_e64 v87, v2
	s_cbranch_execz .LBB815_948
.LBB815_933:                            ;   in Loop: Header=BB815_900 Depth=2
	s_waitcnt vmcnt(14)
	v_xor_b32_e32 v38, 0x80000000, v17
	v_mov_b32_e32 v37, v16
	s_delay_alu instid0(VALU_DEP_1) | instskip(NEXT) | instid1(VALU_DEP_1)
	v_lshrrev_b64 v[37:38], s40, v[37:38]
	v_and_b32_e32 v37, s42, v37
	s_delay_alu instid0(VALU_DEP_1) | instskip(SKIP_2) | instid1(SALU_CYCLE_1)
	v_lshl_or_b32 v37, v37, 4, v36
	ds_add_u32 v37, v123
	s_or_b32 exec_lo, exec_lo, s8
	s_mov_b32 s8, exec_lo
	v_cmpx_lt_u32_e64 v88, v2
	s_cbranch_execnz .LBB815_949
.LBB815_934:                            ;   in Loop: Header=BB815_900 Depth=2
	s_or_b32 exec_lo, exec_lo, s8
	s_delay_alu instid0(SALU_CYCLE_1)
	s_mov_b32 s8, exec_lo
	v_cmpx_lt_u32_e64 v89, v2
	s_cbranch_execz .LBB815_950
.LBB815_935:                            ;   in Loop: Header=BB815_900 Depth=2
	s_waitcnt vmcnt(14)
	v_xor_b32_e32 v38, 0x80000000, v13
	v_mov_b32_e32 v37, v12
	s_delay_alu instid0(VALU_DEP_1) | instskip(NEXT) | instid1(VALU_DEP_1)
	v_lshrrev_b64 v[37:38], s40, v[37:38]
	v_and_b32_e32 v37, s42, v37
	s_delay_alu instid0(VALU_DEP_1) | instskip(SKIP_2) | instid1(SALU_CYCLE_1)
	v_lshl_or_b32 v37, v37, 4, v36
	ds_add_u32 v37, v123
	s_or_b32 exec_lo, exec_lo, s8
	s_mov_b32 s8, exec_lo
	v_cmpx_lt_u32_e64 v90, v2
	s_cbranch_execnz .LBB815_951
.LBB815_936:                            ;   in Loop: Header=BB815_900 Depth=2
	s_or_b32 exec_lo, exec_lo, s8
	s_delay_alu instid0(SALU_CYCLE_1)
	s_mov_b32 s8, exec_lo
	v_cmpx_lt_u32_e64 v91, v2
	s_cbranch_execz .LBB815_952
.LBB815_937:                            ;   in Loop: Header=BB815_900 Depth=2
	s_waitcnt vmcnt(14)
	v_xor_b32_e32 v38, 0x80000000, v9
	v_mov_b32_e32 v37, v8
	s_delay_alu instid0(VALU_DEP_1) | instskip(NEXT) | instid1(VALU_DEP_1)
	v_lshrrev_b64 v[37:38], s40, v[37:38]
	v_and_b32_e32 v37, s42, v37
	s_delay_alu instid0(VALU_DEP_1) | instskip(SKIP_2) | instid1(SALU_CYCLE_1)
	v_lshl_or_b32 v37, v37, 4, v36
	ds_add_u32 v37, v123
	s_or_b32 exec_lo, exec_lo, s8
	s_mov_b32 s8, exec_lo
	v_cmpx_lt_u32_e64 v92, v2
	s_cbranch_execnz .LBB815_953
.LBB815_938:                            ;   in Loop: Header=BB815_900 Depth=2
	s_or_b32 exec_lo, exec_lo, s8
	s_delay_alu instid0(SALU_CYCLE_1)
	s_mov_b32 s8, exec_lo
	v_cmpx_lt_u32_e64 v93, v2
	s_cbranch_execz .LBB815_954
.LBB815_939:                            ;   in Loop: Header=BB815_900 Depth=2
	s_waitcnt vmcnt(14)
	v_xor_b32_e32 v38, 0x80000000, v5
	v_mov_b32_e32 v37, v4
	s_delay_alu instid0(VALU_DEP_1) | instskip(NEXT) | instid1(VALU_DEP_1)
	v_lshrrev_b64 v[37:38], s40, v[37:38]
	v_and_b32_e32 v37, s42, v37
	s_delay_alu instid0(VALU_DEP_1) | instskip(SKIP_2) | instid1(SALU_CYCLE_1)
	v_lshl_or_b32 v37, v37, 4, v36
	ds_add_u32 v37, v123
	s_or_b32 exec_lo, exec_lo, s8
	s_mov_b32 s8, exec_lo
	v_cmpx_lt_u32_e64 v95, v2
	s_cbranch_execz .LBB815_899
	s_branch .LBB815_955
.LBB815_940:                            ;   in Loop: Header=BB815_900 Depth=2
	s_or_b32 exec_lo, exec_lo, s8
	s_delay_alu instid0(SALU_CYCLE_1)
	s_mov_b32 s8, exec_lo
	v_cmpx_lt_u32_e64 v77, v2
	s_cbranch_execz .LBB815_926
.LBB815_941:                            ;   in Loop: Header=BB815_900 Depth=2
	s_waitcnt vmcnt(14)
	v_xor_b32_e32 v38, 0x80000000, v31
	v_mov_b32_e32 v37, v30
	s_delay_alu instid0(VALU_DEP_1) | instskip(NEXT) | instid1(VALU_DEP_1)
	v_lshrrev_b64 v[37:38], s40, v[37:38]
	v_and_b32_e32 v37, s42, v37
	s_delay_alu instid0(VALU_DEP_1) | instskip(SKIP_2) | instid1(SALU_CYCLE_1)
	v_lshl_or_b32 v37, v37, 4, v36
	ds_add_u32 v37, v123
	s_or_b32 exec_lo, exec_lo, s8
	s_mov_b32 s8, exec_lo
	v_cmpx_lt_u32_e64 v78, v2
	s_cbranch_execnz .LBB815_927
.LBB815_942:                            ;   in Loop: Header=BB815_900 Depth=2
	s_or_b32 exec_lo, exec_lo, s8
	s_delay_alu instid0(SALU_CYCLE_1)
	s_mov_b32 s8, exec_lo
	v_cmpx_lt_u32_e64 v79, v2
	s_cbranch_execz .LBB815_928
.LBB815_943:                            ;   in Loop: Header=BB815_900 Depth=2
	s_waitcnt vmcnt(14)
	v_xor_b32_e32 v38, 0x80000000, v27
	v_mov_b32_e32 v37, v26
	s_delay_alu instid0(VALU_DEP_1) | instskip(NEXT) | instid1(VALU_DEP_1)
	v_lshrrev_b64 v[37:38], s40, v[37:38]
	v_and_b32_e32 v37, s42, v37
	s_delay_alu instid0(VALU_DEP_1) | instskip(SKIP_2) | instid1(SALU_CYCLE_1)
	v_lshl_or_b32 v37, v37, 4, v36
	ds_add_u32 v37, v123
	s_or_b32 exec_lo, exec_lo, s8
	s_mov_b32 s8, exec_lo
	v_cmpx_lt_u32_e64 v83, v2
	s_cbranch_execnz .LBB815_929
.LBB815_944:                            ;   in Loop: Header=BB815_900 Depth=2
	s_or_b32 exec_lo, exec_lo, s8
	s_delay_alu instid0(SALU_CYCLE_1)
	s_mov_b32 s8, exec_lo
	v_cmpx_lt_u32_e64 v84, v2
	s_cbranch_execz .LBB815_930
.LBB815_945:                            ;   in Loop: Header=BB815_900 Depth=2
	s_waitcnt vmcnt(14)
	v_xor_b32_e32 v38, 0x80000000, v23
	v_mov_b32_e32 v37, v22
	s_delay_alu instid0(VALU_DEP_1) | instskip(NEXT) | instid1(VALU_DEP_1)
	v_lshrrev_b64 v[37:38], s40, v[37:38]
	v_and_b32_e32 v37, s42, v37
	s_delay_alu instid0(VALU_DEP_1) | instskip(SKIP_2) | instid1(SALU_CYCLE_1)
	v_lshl_or_b32 v37, v37, 4, v36
	ds_add_u32 v37, v123
	s_or_b32 exec_lo, exec_lo, s8
	s_mov_b32 s8, exec_lo
	v_cmpx_lt_u32_e64 v85, v2
	s_cbranch_execnz .LBB815_931
.LBB815_946:                            ;   in Loop: Header=BB815_900 Depth=2
	s_or_b32 exec_lo, exec_lo, s8
	s_delay_alu instid0(SALU_CYCLE_1)
	s_mov_b32 s8, exec_lo
	v_cmpx_lt_u32_e64 v86, v2
	s_cbranch_execz .LBB815_932
.LBB815_947:                            ;   in Loop: Header=BB815_900 Depth=2
	s_waitcnt vmcnt(14)
	v_xor_b32_e32 v38, 0x80000000, v19
	v_mov_b32_e32 v37, v18
	s_delay_alu instid0(VALU_DEP_1) | instskip(NEXT) | instid1(VALU_DEP_1)
	v_lshrrev_b64 v[37:38], s40, v[37:38]
	v_and_b32_e32 v37, s42, v37
	s_delay_alu instid0(VALU_DEP_1) | instskip(SKIP_2) | instid1(SALU_CYCLE_1)
	v_lshl_or_b32 v37, v37, 4, v36
	ds_add_u32 v37, v123
	s_or_b32 exec_lo, exec_lo, s8
	s_mov_b32 s8, exec_lo
	v_cmpx_lt_u32_e64 v87, v2
	s_cbranch_execnz .LBB815_933
.LBB815_948:                            ;   in Loop: Header=BB815_900 Depth=2
	s_or_b32 exec_lo, exec_lo, s8
	s_delay_alu instid0(SALU_CYCLE_1)
	s_mov_b32 s8, exec_lo
	v_cmpx_lt_u32_e64 v88, v2
	s_cbranch_execz .LBB815_934
.LBB815_949:                            ;   in Loop: Header=BB815_900 Depth=2
	s_waitcnt vmcnt(14)
	v_xor_b32_e32 v38, 0x80000000, v15
	v_mov_b32_e32 v37, v14
	s_delay_alu instid0(VALU_DEP_1) | instskip(NEXT) | instid1(VALU_DEP_1)
	v_lshrrev_b64 v[37:38], s40, v[37:38]
	v_and_b32_e32 v37, s42, v37
	s_delay_alu instid0(VALU_DEP_1) | instskip(SKIP_2) | instid1(SALU_CYCLE_1)
	v_lshl_or_b32 v37, v37, 4, v36
	ds_add_u32 v37, v123
	s_or_b32 exec_lo, exec_lo, s8
	s_mov_b32 s8, exec_lo
	v_cmpx_lt_u32_e64 v89, v2
	s_cbranch_execnz .LBB815_935
.LBB815_950:                            ;   in Loop: Header=BB815_900 Depth=2
	s_or_b32 exec_lo, exec_lo, s8
	s_delay_alu instid0(SALU_CYCLE_1)
	s_mov_b32 s8, exec_lo
	v_cmpx_lt_u32_e64 v90, v2
	s_cbranch_execz .LBB815_936
.LBB815_951:                            ;   in Loop: Header=BB815_900 Depth=2
	s_waitcnt vmcnt(14)
	v_xor_b32_e32 v38, 0x80000000, v11
	v_mov_b32_e32 v37, v10
	s_delay_alu instid0(VALU_DEP_1) | instskip(NEXT) | instid1(VALU_DEP_1)
	v_lshrrev_b64 v[37:38], s40, v[37:38]
	v_and_b32_e32 v37, s42, v37
	s_delay_alu instid0(VALU_DEP_1) | instskip(SKIP_2) | instid1(SALU_CYCLE_1)
	v_lshl_or_b32 v37, v37, 4, v36
	ds_add_u32 v37, v123
	s_or_b32 exec_lo, exec_lo, s8
	s_mov_b32 s8, exec_lo
	v_cmpx_lt_u32_e64 v91, v2
	s_cbranch_execnz .LBB815_937
.LBB815_952:                            ;   in Loop: Header=BB815_900 Depth=2
	s_or_b32 exec_lo, exec_lo, s8
	s_delay_alu instid0(SALU_CYCLE_1)
	s_mov_b32 s8, exec_lo
	v_cmpx_lt_u32_e64 v92, v2
	s_cbranch_execz .LBB815_938
.LBB815_953:                            ;   in Loop: Header=BB815_900 Depth=2
	s_waitcnt vmcnt(14)
	v_xor_b32_e32 v38, 0x80000000, v7
	v_mov_b32_e32 v37, v6
	s_delay_alu instid0(VALU_DEP_1) | instskip(NEXT) | instid1(VALU_DEP_1)
	v_lshrrev_b64 v[37:38], s40, v[37:38]
	v_and_b32_e32 v37, s42, v37
	s_delay_alu instid0(VALU_DEP_1) | instskip(SKIP_2) | instid1(SALU_CYCLE_1)
	v_lshl_or_b32 v37, v37, 4, v36
	ds_add_u32 v37, v123
	s_or_b32 exec_lo, exec_lo, s8
	s_mov_b32 s8, exec_lo
	v_cmpx_lt_u32_e64 v93, v2
	s_cbranch_execnz .LBB815_939
.LBB815_954:                            ;   in Loop: Header=BB815_900 Depth=2
	s_or_b32 exec_lo, exec_lo, s8
	s_delay_alu instid0(SALU_CYCLE_1)
	s_mov_b32 s8, exec_lo
	v_cmpx_lt_u32_e64 v95, v2
	s_cbranch_execz .LBB815_899
.LBB815_955:                            ;   in Loop: Header=BB815_900 Depth=2
	s_waitcnt vmcnt(0)
	v_xor_b32_e32 v38, 0x80000000, v35
	v_mov_b32_e32 v37, v34
	s_delay_alu instid0(VALU_DEP_1) | instskip(NEXT) | instid1(VALU_DEP_1)
	v_lshrrev_b64 v[37:38], s40, v[37:38]
	v_and_b32_e32 v2, s42, v37
	s_delay_alu instid0(VALU_DEP_1)
	v_lshl_or_b32 v2, v2, 4, v36
	ds_add_u32 v2, v123
	s_branch .LBB815_899
.LBB815_956:                            ;   in Loop: Header=BB815_900 Depth=2
	s_or_b32 exec_lo, exec_lo, s11
	s_delay_alu instid0(SALU_CYCLE_1)
	s_mov_b32 s11, exec_lo
	v_cmpx_gt_u32_e64 s1, v77
	s_cbranch_execz .LBB815_906
.LBB815_957:                            ;   in Loop: Header=BB815_900 Depth=2
	global_load_b64 v[30:31], v124, s[8:9] offset:2048
	s_or_b32 exec_lo, exec_lo, s11
	s_delay_alu instid0(SALU_CYCLE_1)
	s_mov_b32 s11, exec_lo
	v_cmpx_gt_u32_e64 s1, v78
	s_cbranch_execnz .LBB815_907
.LBB815_958:                            ;   in Loop: Header=BB815_900 Depth=2
	s_or_b32 exec_lo, exec_lo, s11
	s_delay_alu instid0(SALU_CYCLE_1)
	s_mov_b32 s11, exec_lo
	v_cmpx_gt_u32_e64 s1, v79
	s_cbranch_execz .LBB815_908
.LBB815_959:                            ;   in Loop: Header=BB815_900 Depth=2
	global_load_b64 v[26:27], v126, s[8:9]
	s_or_b32 exec_lo, exec_lo, s11
	s_delay_alu instid0(SALU_CYCLE_1)
	s_mov_b32 s11, exec_lo
	v_cmpx_gt_u32_e64 s1, v83
	s_cbranch_execnz .LBB815_909
.LBB815_960:                            ;   in Loop: Header=BB815_900 Depth=2
	s_or_b32 exec_lo, exec_lo, s11
	s_delay_alu instid0(SALU_CYCLE_1)
	s_mov_b32 s11, exec_lo
	v_cmpx_gt_u32_e64 s1, v84
	s_cbranch_execz .LBB815_910
.LBB815_961:                            ;   in Loop: Header=BB815_900 Depth=2
	global_load_b64 v[22:23], v128, s[8:9]
	s_or_b32 exec_lo, exec_lo, s11
	s_delay_alu instid0(SALU_CYCLE_1)
	s_mov_b32 s11, exec_lo
	v_cmpx_gt_u32_e64 s1, v85
	s_cbranch_execnz .LBB815_911
.LBB815_962:                            ;   in Loop: Header=BB815_900 Depth=2
	s_or_b32 exec_lo, exec_lo, s11
	s_delay_alu instid0(SALU_CYCLE_1)
	s_mov_b32 s11, exec_lo
	v_cmpx_gt_u32_e64 s1, v86
	s_cbranch_execz .LBB815_912
.LBB815_963:                            ;   in Loop: Header=BB815_900 Depth=2
	global_load_b64 v[18:19], v130, s[8:9]
	s_or_b32 exec_lo, exec_lo, s11
	s_delay_alu instid0(SALU_CYCLE_1)
	s_mov_b32 s11, exec_lo
	v_cmpx_gt_u32_e64 s1, v87
	s_cbranch_execnz .LBB815_913
.LBB815_964:                            ;   in Loop: Header=BB815_900 Depth=2
	s_or_b32 exec_lo, exec_lo, s11
	s_delay_alu instid0(SALU_CYCLE_1)
	s_mov_b32 s11, exec_lo
	v_cmpx_gt_u32_e64 s1, v88
	s_cbranch_execz .LBB815_914
.LBB815_965:                            ;   in Loop: Header=BB815_900 Depth=2
	global_load_b64 v[14:15], v132, s[8:9]
	s_or_b32 exec_lo, exec_lo, s11
	s_delay_alu instid0(SALU_CYCLE_1)
	s_mov_b32 s11, exec_lo
	v_cmpx_gt_u32_e64 s1, v89
	s_cbranch_execnz .LBB815_915
.LBB815_966:                            ;   in Loop: Header=BB815_900 Depth=2
	s_or_b32 exec_lo, exec_lo, s11
	s_delay_alu instid0(SALU_CYCLE_1)
	s_mov_b32 s11, exec_lo
	v_cmpx_gt_u32_e64 s1, v90
	s_cbranch_execz .LBB815_916
.LBB815_967:                            ;   in Loop: Header=BB815_900 Depth=2
	global_load_b64 v[10:11], v134, s[8:9]
	s_or_b32 exec_lo, exec_lo, s11
	s_delay_alu instid0(SALU_CYCLE_1)
	s_mov_b32 s11, exec_lo
	v_cmpx_gt_u32_e64 s1, v91
	s_cbranch_execnz .LBB815_917
.LBB815_968:                            ;   in Loop: Header=BB815_900 Depth=2
	s_or_b32 exec_lo, exec_lo, s11
	s_delay_alu instid0(SALU_CYCLE_1)
	s_mov_b32 s11, exec_lo
	v_cmpx_gt_u32_e64 s1, v92
	s_cbranch_execz .LBB815_918
.LBB815_969:                            ;   in Loop: Header=BB815_900 Depth=2
	v_lshlrev_b32_e32 v2, 3, v92
	global_load_b64 v[6:7], v2, s[8:9]
	s_or_b32 exec_lo, exec_lo, s11
	s_delay_alu instid0(SALU_CYCLE_1)
	s_mov_b32 s11, exec_lo
	v_cmpx_gt_u32_e64 s1, v93
	s_cbranch_execz .LBB815_920
	s_branch .LBB815_919
.LBB815_970:                            ;   in Loop: Header=BB815_12 Depth=1
	v_mov_b32_e32 v2, 0
	s_waitcnt vmcnt(0) lgkmcnt(0)
	s_barrier
	buffer_gl0_inv
	s_and_saveexec_b32 s1, s2
	s_cbranch_execz .LBB815_972
; %bb.971:                              ;   in Loop: Header=BB815_12 Depth=1
	ds_load_2addr_b64 v[4:7], v96 offset1:1
	s_waitcnt lgkmcnt(0)
	v_add_nc_u32_e32 v2, v5, v4
	s_delay_alu instid0(VALU_DEP_1)
	v_add3_u32 v2, v2, v6, v7
.LBB815_972:                            ;   in Loop: Header=BB815_12 Depth=1
	s_or_b32 exec_lo, exec_lo, s1
	v_and_b32_e32 v4, 15, v136
	s_delay_alu instid0(VALU_DEP_2) | instskip(SKIP_1) | instid1(VALU_DEP_3)
	v_mov_b32_dpp v5, v2 row_shr:1 row_mask:0xf bank_mask:0xf
	v_and_b32_e32 v6, 16, v136
	v_cmp_eq_u32_e64 s1, 0, v4
	v_cmp_lt_u32_e64 s7, 1, v4
	v_cmp_lt_u32_e64 s8, 3, v4
	;; [unrolled: 1-line block ×3, first 2 shown]
	v_cmp_eq_u32_e64 s10, 0, v6
	v_cndmask_b32_e64 v5, v5, 0, s1
	s_delay_alu instid0(VALU_DEP_1) | instskip(NEXT) | instid1(VALU_DEP_1)
	v_add_nc_u32_e32 v2, v5, v2
	v_mov_b32_dpp v5, v2 row_shr:2 row_mask:0xf bank_mask:0xf
	s_delay_alu instid0(VALU_DEP_1) | instskip(NEXT) | instid1(VALU_DEP_1)
	v_cndmask_b32_e64 v5, 0, v5, s7
	v_add_nc_u32_e32 v2, v2, v5
	s_delay_alu instid0(VALU_DEP_1) | instskip(NEXT) | instid1(VALU_DEP_1)
	v_mov_b32_dpp v5, v2 row_shr:4 row_mask:0xf bank_mask:0xf
	v_cndmask_b32_e64 v5, 0, v5, s8
	s_delay_alu instid0(VALU_DEP_1) | instskip(NEXT) | instid1(VALU_DEP_1)
	v_add_nc_u32_e32 v2, v2, v5
	v_mov_b32_dpp v5, v2 row_shr:8 row_mask:0xf bank_mask:0xf
	s_delay_alu instid0(VALU_DEP_1) | instskip(SKIP_1) | instid1(VALU_DEP_2)
	v_cndmask_b32_e64 v4, 0, v5, s9
	v_bfe_i32 v5, v136, 4, 1
	v_add_nc_u32_e32 v2, v2, v4
	ds_swizzle_b32 v4, v2 offset:swizzle(BROADCAST,32,15)
	s_waitcnt lgkmcnt(0)
	v_and_b32_e32 v4, v5, v4
	s_delay_alu instid0(VALU_DEP_1)
	v_add_nc_u32_e32 v4, v2, v4
	s_and_saveexec_b32 s11, s3
	s_cbranch_execz .LBB815_974
; %bb.973:                              ;   in Loop: Header=BB815_12 Depth=1
	ds_store_b32 v97, v4
.LBB815_974:                            ;   in Loop: Header=BB815_12 Depth=1
	s_or_b32 exec_lo, exec_lo, s11
	v_and_b32_e32 v2, 7, v136
	s_waitcnt lgkmcnt(0)
	s_barrier
	buffer_gl0_inv
	s_and_saveexec_b32 s11, s4
	s_cbranch_execz .LBB815_976
; %bb.975:                              ;   in Loop: Header=BB815_12 Depth=1
	ds_load_b32 v5, v98
	v_cmp_ne_u32_e32 vcc_lo, 0, v2
	s_waitcnt lgkmcnt(0)
	v_mov_b32_dpp v6, v5 row_shr:1 row_mask:0xf bank_mask:0xf
	s_delay_alu instid0(VALU_DEP_1) | instskip(SKIP_1) | instid1(VALU_DEP_2)
	v_cndmask_b32_e32 v6, 0, v6, vcc_lo
	v_cmp_lt_u32_e32 vcc_lo, 1, v2
	v_add_nc_u32_e32 v5, v6, v5
	s_delay_alu instid0(VALU_DEP_1) | instskip(NEXT) | instid1(VALU_DEP_1)
	v_mov_b32_dpp v6, v5 row_shr:2 row_mask:0xf bank_mask:0xf
	v_cndmask_b32_e32 v6, 0, v6, vcc_lo
	v_cmp_lt_u32_e32 vcc_lo, 3, v2
	s_delay_alu instid0(VALU_DEP_2) | instskip(NEXT) | instid1(VALU_DEP_1)
	v_add_nc_u32_e32 v5, v5, v6
	v_mov_b32_dpp v6, v5 row_shr:4 row_mask:0xf bank_mask:0xf
	s_delay_alu instid0(VALU_DEP_1) | instskip(NEXT) | instid1(VALU_DEP_1)
	v_cndmask_b32_e32 v6, 0, v6, vcc_lo
	v_add_nc_u32_e32 v5, v5, v6
	ds_store_b32 v98, v5
.LBB815_976:                            ;   in Loop: Header=BB815_12 Depth=1
	s_or_b32 exec_lo, exec_lo, s11
	v_mov_b32_e32 v5, 0
	s_waitcnt lgkmcnt(0)
	s_barrier
	buffer_gl0_inv
	s_and_saveexec_b32 s11, s5
	s_cbranch_execz .LBB815_978
; %bb.977:                              ;   in Loop: Header=BB815_12 Depth=1
	ds_load_b32 v5, v99
.LBB815_978:                            ;   in Loop: Header=BB815_12 Depth=1
	s_or_b32 exec_lo, exec_lo, s11
	v_add_nc_u32_e32 v6, -1, v136
	s_waitcnt lgkmcnt(0)
	v_add_nc_u32_e32 v4, v5, v4
	v_cmp_eq_u32_e64 s11, 0, v136
	s_barrier
	v_cmp_gt_i32_e32 vcc_lo, 0, v6
	buffer_gl0_inv
	v_cndmask_b32_e32 v6, v6, v136, vcc_lo
	s_delay_alu instid0(VALU_DEP_1)
	v_lshlrev_b32_e32 v137, 2, v6
	ds_bpermute_b32 v4, v137, v4
	s_and_saveexec_b32 s12, s2
	s_cbranch_execz .LBB815_980
; %bb.979:                              ;   in Loop: Header=BB815_12 Depth=1
	s_waitcnt lgkmcnt(0)
	v_cndmask_b32_e64 v4, v4, v5, s11
	s_delay_alu instid0(VALU_DEP_1)
	v_add_nc_u32_e32 v4, s60, v4
	ds_store_b32 v76, v4
.LBB815_980:                            ;   in Loop: Header=BB815_12 Depth=1
	s_or_b32 exec_lo, exec_lo, s12
	s_load_b64 s[12:13], s[36:37], 0x0
	v_lshlrev_b32_e32 v7, 3, v136
	v_cmp_lt_u32_e64 s14, 3, v2
	v_or_b32_e32 v138, v136, v100
	s_mov_b32 s43, s62
	s_mov_b32 s34, s60
	v_add_co_u32 v139, vcc_lo, v119, v7
	v_add_co_ci_u32_e32 v140, vcc_lo, 0, v120, vcc_lo
	v_add_co_u32 v156, vcc_lo, v121, v7
	v_add_co_ci_u32_e32 v157, vcc_lo, 0, v122, vcc_lo
	v_or_b32_e32 v141, 32, v138
	s_delay_alu instid0(VALU_DEP_3)
	v_add_co_u32 v159, vcc_lo, 0xf00, v156
	v_or_b32_e32 v142, 64, v138
	v_or_b32_e32 v143, 0x60, v138
	;; [unrolled: 1-line block ×3, first 2 shown]
	s_waitcnt lgkmcnt(0)
	s_cmp_lt_u32 s15, s13
	v_or_b32_e32 v145, 0xa0, v138
	s_cselect_b32 s13, 14, 20
	v_or_b32_e32 v146, 0xc0, v138
	s_add_u32 s16, s36, s13
	s_addc_u32 s17, s37, 0
	s_cmp_lt_u32 s28, s12
	global_load_u16 v4, v3, s[16:17]
	s_cselect_b32 s12, 12, 18
	v_or_b32_e32 v147, 0xe0, v138
	s_add_u32 s12, s36, s12
	s_addc_u32 s13, s37, 0
	v_or_b32_e32 v148, 0x100, v138
	global_load_u16 v6, v3, s[12:13]
	v_cmp_eq_u32_e64 s12, 0, v2
	v_cmp_lt_u32_e64 s13, 1, v2
	v_or_b32_e32 v149, 0x120, v138
	v_or_b32_e32 v150, 0x140, v138
	;; [unrolled: 1-line block ×7, first 2 shown]
	v_add_co_ci_u32_e32 v160, vcc_lo, 0, v157, vcc_lo
                                        ; implicit-def: $vgpr8_vgpr9
                                        ; implicit-def: $vgpr10_vgpr11
                                        ; implicit-def: $vgpr12_vgpr13
                                        ; implicit-def: $vgpr14_vgpr15
                                        ; implicit-def: $vgpr16_vgpr17
                                        ; implicit-def: $vgpr18_vgpr19
                                        ; implicit-def: $vgpr20_vgpr21
                                        ; implicit-def: $vgpr22_vgpr23
                                        ; implicit-def: $vgpr24_vgpr25
                                        ; implicit-def: $vgpr26_vgpr27
                                        ; implicit-def: $vgpr28_vgpr29
                                        ; implicit-def: $vgpr30_vgpr31
                                        ; implicit-def: $vgpr32_vgpr33
                                        ; implicit-def: $vgpr34_vgpr35
                                        ; implicit-def: $vgpr161
                                        ; implicit-def: $vgpr162
                                        ; implicit-def: $vgpr163
                                        ; implicit-def: $vgpr164
                                        ; implicit-def: $vgpr165
                                        ; implicit-def: $vgpr166
                                        ; implicit-def: $vgpr167
                                        ; implicit-def: $vgpr168
                                        ; implicit-def: $vgpr169
                                        ; implicit-def: $vgpr170
                                        ; implicit-def: $vgpr171
                                        ; implicit-def: $vgpr172
                                        ; implicit-def: $vgpr173
                                        ; implicit-def: $vgpr174
                                        ; implicit-def: $vgpr175
                                        ; implicit-def: $vgpr176
	s_waitcnt vmcnt(1)
	v_mad_u32_u24 v2, v101, v4, v0
	s_waitcnt vmcnt(0)
	s_delay_alu instid0(VALU_DEP_1) | instskip(NEXT) | instid1(VALU_DEP_1)
	v_mad_u64_u32 v[4:5], null, v2, v6, v[1:2]
                                        ; implicit-def: $vgpr6_vgpr7
	v_lshrrev_b32_e32 v158, 5, v4
                                        ; implicit-def: $vgpr4_vgpr5
	s_branch .LBB815_982
.LBB815_981:                            ;   in Loop: Header=BB815_982 Depth=2
	s_or_b32 exec_lo, exec_lo, s16
	s_addk_i32 s43, 0xf000
	s_cmp_lt_u32 s50, s61
	s_mov_b32 s34, s50
	s_cbranch_scc0 .LBB815_10
.LBB815_982:                            ;   Parent Loop BB815_12 Depth=1
                                        ; =>  This Inner Loop Header: Depth=2
	s_add_i32 s50, s34, 0x1000
	s_delay_alu instid0(SALU_CYCLE_1)
	s_cmp_gt_u32 s50, s61
	s_cbranch_scc1 .LBB815_984
; %bb.983:                              ;   in Loop: Header=BB815_982 Depth=2
	s_mov_b32 s17, 0
	s_mov_b32 s16, s34
	s_delay_alu instid0(SALU_CYCLE_1) | instskip(NEXT) | instid1(SALU_CYCLE_1)
	s_lshl_b64 s[18:19], s[16:17], 3
	v_add_co_u32 v64, vcc_lo, v156, s18
	v_add_co_ci_u32_e32 v65, vcc_lo, s19, v157, vcc_lo
	s_mov_b32 s19, -1
	s_movk_i32 s18, 0x1000
	s_clause 0xe
	global_load_b64 v[36:37], v[64:65], off
	global_load_b64 v[38:39], v[64:65], off offset:256
	global_load_b64 v[40:41], v[64:65], off offset:512
	;; [unrolled: 1-line block ×14, first 2 shown]
	s_cbranch_execz .LBB815_985
	s_branch .LBB815_1016
.LBB815_984:                            ;   in Loop: Header=BB815_982 Depth=2
	s_mov_b32 s17, -1
	s_mov_b32 s19, 0
                                        ; implicit-def: $sgpr18
                                        ; implicit-def: $vgpr36_vgpr37
                                        ; implicit-def: $vgpr38_vgpr39
                                        ; implicit-def: $vgpr40_vgpr41
                                        ; implicit-def: $vgpr42_vgpr43
                                        ; implicit-def: $vgpr44_vgpr45
                                        ; implicit-def: $vgpr46_vgpr47
                                        ; implicit-def: $vgpr48_vgpr49
                                        ; implicit-def: $vgpr50_vgpr51
                                        ; implicit-def: $vgpr52_vgpr53
                                        ; implicit-def: $vgpr54_vgpr55
                                        ; implicit-def: $vgpr56_vgpr57
                                        ; implicit-def: $vgpr58_vgpr59
                                        ; implicit-def: $vgpr60_vgpr61
                                        ; implicit-def: $vgpr62_vgpr63
                                        ; implicit-def: $vgpr64_vgpr65
.LBB815_985:                            ;   in Loop: Header=BB815_982 Depth=2
	s_lshl_b64 s[16:17], s[34:35], 3
	s_waitcnt vmcnt(14)
	v_dual_mov_b32 v36, s38 :: v_dual_mov_b32 v37, s39
	v_add_co_u32 v66, vcc_lo, v156, s16
	v_add_co_ci_u32_e32 v67, vcc_lo, s17, v157, vcc_lo
	s_mov_b32 s16, exec_lo
	v_cmpx_gt_u32_e64 s43, v138
	s_cbranch_execz .LBB815_987
; %bb.986:                              ;   in Loop: Header=BB815_982 Depth=2
	global_load_b64 v[36:37], v[66:67], off
.LBB815_987:                            ;   in Loop: Header=BB815_982 Depth=2
	s_or_b32 exec_lo, exec_lo, s16
	s_waitcnt vmcnt(13)
	v_dual_mov_b32 v38, s38 :: v_dual_mov_b32 v39, s39
	s_mov_b32 s16, exec_lo
	v_cmpx_gt_u32_e64 s43, v141
	s_cbranch_execz .LBB815_989
; %bb.988:                              ;   in Loop: Header=BB815_982 Depth=2
	global_load_b64 v[38:39], v[66:67], off offset:256
.LBB815_989:                            ;   in Loop: Header=BB815_982 Depth=2
	s_or_b32 exec_lo, exec_lo, s16
	s_waitcnt vmcnt(12)
	v_dual_mov_b32 v41, s39 :: v_dual_mov_b32 v40, s38
	s_mov_b32 s16, exec_lo
	v_cmpx_gt_u32_e64 s43, v142
	s_cbranch_execz .LBB815_991
; %bb.990:                              ;   in Loop: Header=BB815_982 Depth=2
	global_load_b64 v[40:41], v[66:67], off offset:512
.LBB815_991:                            ;   in Loop: Header=BB815_982 Depth=2
	;; [unrolled: 9-line block ×6, first 2 shown]
	s_or_b32 exec_lo, exec_lo, s16
	s_waitcnt vmcnt(7)
	v_dual_mov_b32 v51, s39 :: v_dual_mov_b32 v50, s38
	s_mov_b32 s16, exec_lo
	v_cmpx_gt_u32_e64 s43, v147
	s_cbranch_execz .LBB815_1001
; %bb.1000:                             ;   in Loop: Header=BB815_982 Depth=2
	global_load_b64 v[50:51], v[66:67], off offset:1792
.LBB815_1001:                           ;   in Loop: Header=BB815_982 Depth=2
	s_or_b32 exec_lo, exec_lo, s16
	s_waitcnt vmcnt(6)
	v_dual_mov_b32 v53, s39 :: v_dual_mov_b32 v52, s38
	s_mov_b32 s16, exec_lo
	v_cmpx_gt_u32_e64 s43, v148
	s_cbranch_execz .LBB815_1003
; %bb.1002:                             ;   in Loop: Header=BB815_982 Depth=2
	global_load_b64 v[52:53], v[66:67], off offset:2048
.LBB815_1003:                           ;   in Loop: Header=BB815_982 Depth=2
	;; [unrolled: 9-line block ×8, first 2 shown]
	s_or_b32 exec_lo, exec_lo, s16
	v_cmp_gt_u32_e64 s19, s43, v155
	s_sub_i32 s18, s61, s34
	s_mov_b64 s[16:17], s[34:35]
.LBB815_1016:                           ;   in Loop: Header=BB815_982 Depth=2
	v_dual_mov_b32 v67, s39 :: v_dual_mov_b32 v66, s38
	v_mov_b32_e32 v177, s43
	s_and_saveexec_b32 s20, s19
	s_cbranch_execz .LBB815_1018
; %bb.1017:                             ;   in Loop: Header=BB815_982 Depth=2
	s_lshl_b64 s[16:17], s[16:17], 3
	v_mov_b32_e32 v177, s18
	v_add_co_u32 v66, vcc_lo, v159, s16
	v_add_co_ci_u32_e32 v67, vcc_lo, s17, v160, vcc_lo
	global_load_b64 v[66:67], v[66:67], off
.LBB815_1018:                           ;   in Loop: Header=BB815_982 Depth=2
	s_or_b32 exec_lo, exec_lo, s20
	s_waitcnt vmcnt(14)
	v_xor_b32_e32 v37, 0x80000000, v37
	ds_store_b32 v102, v3 offset:1056
	ds_store_2addr_b32 v103, v3, v3 offset0:1 offset1:2
	ds_store_2addr_b32 v103, v3, v3 offset0:3 offset1:4
	ds_store_2addr_b32 v103, v3, v3 offset0:5 offset1:6
	ds_store_2addr_b32 v103, v3, v3 offset0:7 offset1:8
	s_waitcnt vmcnt(0) lgkmcnt(0)
	s_barrier
	v_lshrrev_b64 v[68:69], s40, v[36:37]
	buffer_gl0_inv
	; wave barrier
	v_and_b32_e32 v69, s42, v68
	s_delay_alu instid0(VALU_DEP_1)
	v_and_b32_e32 v2, 1, v69
	v_lshlrev_b32_e32 v68, 30, v69
	v_lshlrev_b32_e32 v70, 29, v69
	;; [unrolled: 1-line block ×4, first 2 shown]
	v_add_co_u32 v2, s16, v2, -1
	s_delay_alu instid0(VALU_DEP_1)
	v_cndmask_b32_e64 v72, 0, 1, s16
	v_not_b32_e32 v178, v68
	v_cmp_gt_i32_e64 s16, 0, v68
	v_not_b32_e32 v68, v70
	v_lshlrev_b32_e32 v74, 26, v69
	v_cmp_ne_u32_e32 vcc_lo, 0, v72
	v_ashrrev_i32_e32 v178, 31, v178
	v_lshlrev_b32_e32 v75, 25, v69
	v_ashrrev_i32_e32 v68, 31, v68
	v_lshlrev_b32_e32 v72, 24, v69
	v_xor_b32_e32 v2, vcc_lo, v2
	v_cmp_gt_i32_e32 vcc_lo, 0, v70
	v_not_b32_e32 v70, v71
	v_xor_b32_e32 v178, s16, v178
	v_cmp_gt_i32_e64 s16, 0, v71
	v_and_b32_e32 v2, exec_lo, v2
	v_not_b32_e32 v71, v73
	v_ashrrev_i32_e32 v70, 31, v70
	v_xor_b32_e32 v68, vcc_lo, v68
	v_cmp_gt_i32_e32 vcc_lo, 0, v73
	v_and_b32_e32 v2, v2, v178
	v_not_b32_e32 v73, v74
	v_ashrrev_i32_e32 v71, 31, v71
	v_xor_b32_e32 v70, s16, v70
	v_cmp_gt_i32_e64 s16, 0, v74
	v_and_b32_e32 v2, v2, v68
	v_not_b32_e32 v68, v75
	v_ashrrev_i32_e32 v73, 31, v73
	v_xor_b32_e32 v71, vcc_lo, v71
	v_cmp_gt_i32_e32 vcc_lo, 0, v75
	v_and_b32_e32 v2, v2, v70
	v_not_b32_e32 v70, v72
	v_ashrrev_i32_e32 v68, 31, v68
	v_xor_b32_e32 v73, s16, v73
	v_cmp_gt_i32_e64 s16, 0, v72
	v_and_b32_e32 v2, v2, v71
	v_ashrrev_i32_e32 v70, 31, v70
	v_xor_b32_e32 v68, vcc_lo, v68
	v_mad_u32_u24 v69, v69, 9, v158
	s_delay_alu instid0(VALU_DEP_4) | instskip(NEXT) | instid1(VALU_DEP_4)
	v_and_b32_e32 v2, v2, v73
	v_xor_b32_e32 v70, s16, v70
	s_delay_alu instid0(VALU_DEP_3) | instskip(NEXT) | instid1(VALU_DEP_3)
	v_lshl_add_u32 v178, v69, 2, 0x420
	v_and_b32_e32 v2, v2, v68
	s_delay_alu instid0(VALU_DEP_1) | instskip(NEXT) | instid1(VALU_DEP_1)
	v_and_b32_e32 v68, v2, v70
	v_mbcnt_lo_u32_b32 v2, v68, 0
	v_cmp_ne_u32_e64 s16, 0, v68
	s_delay_alu instid0(VALU_DEP_2) | instskip(NEXT) | instid1(VALU_DEP_2)
	v_cmp_eq_u32_e32 vcc_lo, 0, v2
	s_and_b32 s17, s16, vcc_lo
	s_delay_alu instid0(SALU_CYCLE_1)
	s_and_saveexec_b32 s16, s17
	s_cbranch_execz .LBB815_1020
; %bb.1019:                             ;   in Loop: Header=BB815_982 Depth=2
	v_bcnt_u32_b32 v68, v68, 0
	ds_store_b32 v178, v68
.LBB815_1020:                           ;   in Loop: Header=BB815_982 Depth=2
	s_or_b32 exec_lo, exec_lo, s16
	v_xor_b32_e32 v39, 0x80000000, v39
	; wave barrier
	s_delay_alu instid0(VALU_DEP_1) | instskip(NEXT) | instid1(VALU_DEP_1)
	v_lshrrev_b64 v[68:69], s40, v[38:39]
	v_and_b32_e32 v68, s42, v68
	s_delay_alu instid0(VALU_DEP_1)
	v_and_b32_e32 v69, 1, v68
	v_lshlrev_b32_e32 v70, 30, v68
	v_lshlrev_b32_e32 v71, 29, v68
	;; [unrolled: 1-line block ×4, first 2 shown]
	v_add_co_u32 v69, s16, v69, -1
	s_delay_alu instid0(VALU_DEP_1)
	v_cndmask_b32_e64 v73, 0, 1, s16
	v_not_b32_e32 v180, v70
	v_cmp_gt_i32_e64 s16, 0, v70
	v_not_b32_e32 v70, v71
	v_lshlrev_b32_e32 v75, 26, v68
	v_cmp_ne_u32_e32 vcc_lo, 0, v73
	v_ashrrev_i32_e32 v180, 31, v180
	v_lshlrev_b32_e32 v179, 25, v68
	v_ashrrev_i32_e32 v70, 31, v70
	v_lshlrev_b32_e32 v73, 24, v68
	v_xor_b32_e32 v69, vcc_lo, v69
	v_cmp_gt_i32_e32 vcc_lo, 0, v71
	v_not_b32_e32 v71, v72
	v_xor_b32_e32 v180, s16, v180
	v_cmp_gt_i32_e64 s16, 0, v72
	v_and_b32_e32 v69, exec_lo, v69
	v_not_b32_e32 v72, v74
	v_ashrrev_i32_e32 v71, 31, v71
	v_xor_b32_e32 v70, vcc_lo, v70
	v_cmp_gt_i32_e32 vcc_lo, 0, v74
	v_and_b32_e32 v69, v69, v180
	v_not_b32_e32 v74, v75
	v_ashrrev_i32_e32 v72, 31, v72
	v_xor_b32_e32 v71, s16, v71
	v_cmp_gt_i32_e64 s16, 0, v75
	v_and_b32_e32 v69, v69, v70
	v_not_b32_e32 v70, v179
	v_ashrrev_i32_e32 v74, 31, v74
	v_xor_b32_e32 v72, vcc_lo, v72
	v_cmp_gt_i32_e32 vcc_lo, 0, v179
	v_and_b32_e32 v69, v69, v71
	v_not_b32_e32 v71, v73
	v_ashrrev_i32_e32 v70, 31, v70
	v_xor_b32_e32 v74, s16, v74
	v_mul_u32_u24_e32 v68, 9, v68
	v_and_b32_e32 v69, v69, v72
	v_cmp_gt_i32_e64 s16, 0, v73
	v_ashrrev_i32_e32 v71, 31, v71
	v_xor_b32_e32 v70, vcc_lo, v70
	v_add_lshl_u32 v72, v68, v158, 2
	v_and_b32_e32 v69, v69, v74
	s_delay_alu instid0(VALU_DEP_4) | instskip(SKIP_3) | instid1(VALU_DEP_2)
	v_xor_b32_e32 v68, s16, v71
	ds_load_b32 v179, v72 offset:1056
	v_and_b32_e32 v69, v69, v70
	v_add_nc_u32_e32 v181, 0x420, v72
	; wave barrier
	v_and_b32_e32 v68, v69, v68
	s_delay_alu instid0(VALU_DEP_1) | instskip(SKIP_1) | instid1(VALU_DEP_2)
	v_mbcnt_lo_u32_b32 v180, v68, 0
	v_cmp_ne_u32_e64 s16, 0, v68
	v_cmp_eq_u32_e32 vcc_lo, 0, v180
	s_delay_alu instid0(VALU_DEP_2) | instskip(NEXT) | instid1(SALU_CYCLE_1)
	s_and_b32 s17, s16, vcc_lo
	s_and_saveexec_b32 s16, s17
	s_cbranch_execz .LBB815_1022
; %bb.1021:                             ;   in Loop: Header=BB815_982 Depth=2
	s_waitcnt lgkmcnt(0)
	v_bcnt_u32_b32 v68, v68, v179
	ds_store_b32 v181, v68
.LBB815_1022:                           ;   in Loop: Header=BB815_982 Depth=2
	s_or_b32 exec_lo, exec_lo, s16
	v_xor_b32_e32 v41, 0x80000000, v41
	; wave barrier
	s_delay_alu instid0(VALU_DEP_1) | instskip(NEXT) | instid1(VALU_DEP_1)
	v_lshrrev_b64 v[68:69], s40, v[40:41]
	v_and_b32_e32 v68, s42, v68
	s_delay_alu instid0(VALU_DEP_1)
	v_and_b32_e32 v69, 1, v68
	v_lshlrev_b32_e32 v70, 30, v68
	v_lshlrev_b32_e32 v71, 29, v68
	;; [unrolled: 1-line block ×4, first 2 shown]
	v_add_co_u32 v69, s16, v69, -1
	s_delay_alu instid0(VALU_DEP_1)
	v_cndmask_b32_e64 v73, 0, 1, s16
	v_not_b32_e32 v183, v70
	v_cmp_gt_i32_e64 s16, 0, v70
	v_not_b32_e32 v70, v71
	v_lshlrev_b32_e32 v75, 26, v68
	v_cmp_ne_u32_e32 vcc_lo, 0, v73
	v_ashrrev_i32_e32 v183, 31, v183
	v_lshlrev_b32_e32 v182, 25, v68
	v_ashrrev_i32_e32 v70, 31, v70
	v_lshlrev_b32_e32 v73, 24, v68
	v_xor_b32_e32 v69, vcc_lo, v69
	v_cmp_gt_i32_e32 vcc_lo, 0, v71
	v_not_b32_e32 v71, v72
	v_xor_b32_e32 v183, s16, v183
	v_cmp_gt_i32_e64 s16, 0, v72
	v_and_b32_e32 v69, exec_lo, v69
	v_not_b32_e32 v72, v74
	v_ashrrev_i32_e32 v71, 31, v71
	v_xor_b32_e32 v70, vcc_lo, v70
	v_cmp_gt_i32_e32 vcc_lo, 0, v74
	v_and_b32_e32 v69, v69, v183
	v_not_b32_e32 v74, v75
	v_ashrrev_i32_e32 v72, 31, v72
	v_xor_b32_e32 v71, s16, v71
	v_cmp_gt_i32_e64 s16, 0, v75
	v_and_b32_e32 v69, v69, v70
	v_not_b32_e32 v70, v182
	v_ashrrev_i32_e32 v74, 31, v74
	v_xor_b32_e32 v72, vcc_lo, v72
	v_cmp_gt_i32_e32 vcc_lo, 0, v182
	v_and_b32_e32 v69, v69, v71
	v_not_b32_e32 v71, v73
	v_ashrrev_i32_e32 v70, 31, v70
	v_xor_b32_e32 v74, s16, v74
	v_mul_u32_u24_e32 v68, 9, v68
	v_and_b32_e32 v69, v69, v72
	v_cmp_gt_i32_e64 s16, 0, v73
	v_ashrrev_i32_e32 v71, 31, v71
	v_xor_b32_e32 v70, vcc_lo, v70
	v_add_lshl_u32 v72, v68, v158, 2
	v_and_b32_e32 v69, v69, v74
	s_delay_alu instid0(VALU_DEP_4) | instskip(SKIP_3) | instid1(VALU_DEP_2)
	v_xor_b32_e32 v68, s16, v71
	ds_load_b32 v182, v72 offset:1056
	v_and_b32_e32 v69, v69, v70
	v_add_nc_u32_e32 v184, 0x420, v72
	; wave barrier
	v_and_b32_e32 v68, v69, v68
	s_delay_alu instid0(VALU_DEP_1) | instskip(SKIP_1) | instid1(VALU_DEP_2)
	v_mbcnt_lo_u32_b32 v183, v68, 0
	v_cmp_ne_u32_e64 s16, 0, v68
	v_cmp_eq_u32_e32 vcc_lo, 0, v183
	s_delay_alu instid0(VALU_DEP_2) | instskip(NEXT) | instid1(SALU_CYCLE_1)
	s_and_b32 s17, s16, vcc_lo
	s_and_saveexec_b32 s16, s17
	s_cbranch_execz .LBB815_1024
; %bb.1023:                             ;   in Loop: Header=BB815_982 Depth=2
	s_waitcnt lgkmcnt(0)
	v_bcnt_u32_b32 v68, v68, v182
	ds_store_b32 v184, v68
.LBB815_1024:                           ;   in Loop: Header=BB815_982 Depth=2
	s_or_b32 exec_lo, exec_lo, s16
	v_xor_b32_e32 v43, 0x80000000, v43
	; wave barrier
	s_delay_alu instid0(VALU_DEP_1) | instskip(NEXT) | instid1(VALU_DEP_1)
	v_lshrrev_b64 v[68:69], s40, v[42:43]
	v_and_b32_e32 v68, s42, v68
	s_delay_alu instid0(VALU_DEP_1)
	v_and_b32_e32 v69, 1, v68
	v_lshlrev_b32_e32 v70, 30, v68
	v_lshlrev_b32_e32 v71, 29, v68
	;; [unrolled: 1-line block ×4, first 2 shown]
	v_add_co_u32 v69, s16, v69, -1
	s_delay_alu instid0(VALU_DEP_1)
	v_cndmask_b32_e64 v73, 0, 1, s16
	v_not_b32_e32 v186, v70
	v_cmp_gt_i32_e64 s16, 0, v70
	v_not_b32_e32 v70, v71
	v_lshlrev_b32_e32 v75, 26, v68
	v_cmp_ne_u32_e32 vcc_lo, 0, v73
	v_ashrrev_i32_e32 v186, 31, v186
	v_lshlrev_b32_e32 v185, 25, v68
	v_ashrrev_i32_e32 v70, 31, v70
	v_lshlrev_b32_e32 v73, 24, v68
	v_xor_b32_e32 v69, vcc_lo, v69
	v_cmp_gt_i32_e32 vcc_lo, 0, v71
	v_not_b32_e32 v71, v72
	v_xor_b32_e32 v186, s16, v186
	v_cmp_gt_i32_e64 s16, 0, v72
	v_and_b32_e32 v69, exec_lo, v69
	v_not_b32_e32 v72, v74
	v_ashrrev_i32_e32 v71, 31, v71
	v_xor_b32_e32 v70, vcc_lo, v70
	v_cmp_gt_i32_e32 vcc_lo, 0, v74
	v_and_b32_e32 v69, v69, v186
	v_not_b32_e32 v74, v75
	v_ashrrev_i32_e32 v72, 31, v72
	v_xor_b32_e32 v71, s16, v71
	v_cmp_gt_i32_e64 s16, 0, v75
	v_and_b32_e32 v69, v69, v70
	v_not_b32_e32 v70, v185
	v_ashrrev_i32_e32 v74, 31, v74
	v_xor_b32_e32 v72, vcc_lo, v72
	v_cmp_gt_i32_e32 vcc_lo, 0, v185
	v_and_b32_e32 v69, v69, v71
	v_not_b32_e32 v71, v73
	v_ashrrev_i32_e32 v70, 31, v70
	v_xor_b32_e32 v74, s16, v74
	v_mul_u32_u24_e32 v68, 9, v68
	v_and_b32_e32 v69, v69, v72
	v_cmp_gt_i32_e64 s16, 0, v73
	v_ashrrev_i32_e32 v71, 31, v71
	v_xor_b32_e32 v70, vcc_lo, v70
	v_add_lshl_u32 v72, v68, v158, 2
	v_and_b32_e32 v69, v69, v74
	s_delay_alu instid0(VALU_DEP_4) | instskip(SKIP_3) | instid1(VALU_DEP_2)
	v_xor_b32_e32 v68, s16, v71
	ds_load_b32 v185, v72 offset:1056
	v_and_b32_e32 v69, v69, v70
	v_add_nc_u32_e32 v187, 0x420, v72
	; wave barrier
	v_and_b32_e32 v68, v69, v68
	s_delay_alu instid0(VALU_DEP_1) | instskip(SKIP_1) | instid1(VALU_DEP_2)
	v_mbcnt_lo_u32_b32 v186, v68, 0
	v_cmp_ne_u32_e64 s16, 0, v68
	v_cmp_eq_u32_e32 vcc_lo, 0, v186
	s_delay_alu instid0(VALU_DEP_2) | instskip(NEXT) | instid1(SALU_CYCLE_1)
	s_and_b32 s17, s16, vcc_lo
	s_and_saveexec_b32 s16, s17
	s_cbranch_execz .LBB815_1026
; %bb.1025:                             ;   in Loop: Header=BB815_982 Depth=2
	s_waitcnt lgkmcnt(0)
	v_bcnt_u32_b32 v68, v68, v185
	ds_store_b32 v187, v68
.LBB815_1026:                           ;   in Loop: Header=BB815_982 Depth=2
	s_or_b32 exec_lo, exec_lo, s16
	v_xor_b32_e32 v45, 0x80000000, v45
	; wave barrier
	s_delay_alu instid0(VALU_DEP_1) | instskip(NEXT) | instid1(VALU_DEP_1)
	v_lshrrev_b64 v[68:69], s40, v[44:45]
	v_and_b32_e32 v68, s42, v68
	s_delay_alu instid0(VALU_DEP_1)
	v_and_b32_e32 v69, 1, v68
	v_lshlrev_b32_e32 v70, 30, v68
	v_lshlrev_b32_e32 v71, 29, v68
	;; [unrolled: 1-line block ×4, first 2 shown]
	v_add_co_u32 v69, s16, v69, -1
	s_delay_alu instid0(VALU_DEP_1)
	v_cndmask_b32_e64 v73, 0, 1, s16
	v_not_b32_e32 v189, v70
	v_cmp_gt_i32_e64 s16, 0, v70
	v_not_b32_e32 v70, v71
	v_lshlrev_b32_e32 v75, 26, v68
	v_cmp_ne_u32_e32 vcc_lo, 0, v73
	v_ashrrev_i32_e32 v189, 31, v189
	v_lshlrev_b32_e32 v188, 25, v68
	v_ashrrev_i32_e32 v70, 31, v70
	v_lshlrev_b32_e32 v73, 24, v68
	v_xor_b32_e32 v69, vcc_lo, v69
	v_cmp_gt_i32_e32 vcc_lo, 0, v71
	v_not_b32_e32 v71, v72
	v_xor_b32_e32 v189, s16, v189
	v_cmp_gt_i32_e64 s16, 0, v72
	v_and_b32_e32 v69, exec_lo, v69
	v_not_b32_e32 v72, v74
	v_ashrrev_i32_e32 v71, 31, v71
	v_xor_b32_e32 v70, vcc_lo, v70
	v_cmp_gt_i32_e32 vcc_lo, 0, v74
	v_and_b32_e32 v69, v69, v189
	v_not_b32_e32 v74, v75
	v_ashrrev_i32_e32 v72, 31, v72
	v_xor_b32_e32 v71, s16, v71
	v_cmp_gt_i32_e64 s16, 0, v75
	v_and_b32_e32 v69, v69, v70
	v_not_b32_e32 v70, v188
	v_ashrrev_i32_e32 v74, 31, v74
	v_xor_b32_e32 v72, vcc_lo, v72
	v_cmp_gt_i32_e32 vcc_lo, 0, v188
	v_and_b32_e32 v69, v69, v71
	v_not_b32_e32 v71, v73
	v_ashrrev_i32_e32 v70, 31, v70
	v_xor_b32_e32 v74, s16, v74
	v_mul_u32_u24_e32 v68, 9, v68
	v_and_b32_e32 v69, v69, v72
	v_cmp_gt_i32_e64 s16, 0, v73
	v_ashrrev_i32_e32 v71, 31, v71
	v_xor_b32_e32 v70, vcc_lo, v70
	v_add_lshl_u32 v72, v68, v158, 2
	v_and_b32_e32 v69, v69, v74
	s_delay_alu instid0(VALU_DEP_4) | instskip(SKIP_3) | instid1(VALU_DEP_2)
	v_xor_b32_e32 v68, s16, v71
	ds_load_b32 v188, v72 offset:1056
	v_and_b32_e32 v69, v69, v70
	v_add_nc_u32_e32 v190, 0x420, v72
	; wave barrier
	v_and_b32_e32 v68, v69, v68
	s_delay_alu instid0(VALU_DEP_1) | instskip(SKIP_1) | instid1(VALU_DEP_2)
	v_mbcnt_lo_u32_b32 v189, v68, 0
	v_cmp_ne_u32_e64 s16, 0, v68
	v_cmp_eq_u32_e32 vcc_lo, 0, v189
	s_delay_alu instid0(VALU_DEP_2) | instskip(NEXT) | instid1(SALU_CYCLE_1)
	s_and_b32 s17, s16, vcc_lo
	s_and_saveexec_b32 s16, s17
	s_cbranch_execz .LBB815_1028
; %bb.1027:                             ;   in Loop: Header=BB815_982 Depth=2
	s_waitcnt lgkmcnt(0)
	v_bcnt_u32_b32 v68, v68, v188
	ds_store_b32 v190, v68
.LBB815_1028:                           ;   in Loop: Header=BB815_982 Depth=2
	s_or_b32 exec_lo, exec_lo, s16
	v_xor_b32_e32 v47, 0x80000000, v47
	; wave barrier
	s_delay_alu instid0(VALU_DEP_1) | instskip(NEXT) | instid1(VALU_DEP_1)
	v_lshrrev_b64 v[68:69], s40, v[46:47]
	v_and_b32_e32 v68, s42, v68
	s_delay_alu instid0(VALU_DEP_1)
	v_and_b32_e32 v69, 1, v68
	v_lshlrev_b32_e32 v70, 30, v68
	v_lshlrev_b32_e32 v71, 29, v68
	;; [unrolled: 1-line block ×4, first 2 shown]
	v_add_co_u32 v69, s16, v69, -1
	s_delay_alu instid0(VALU_DEP_1)
	v_cndmask_b32_e64 v73, 0, 1, s16
	v_not_b32_e32 v192, v70
	v_cmp_gt_i32_e64 s16, 0, v70
	v_not_b32_e32 v70, v71
	v_lshlrev_b32_e32 v75, 26, v68
	v_cmp_ne_u32_e32 vcc_lo, 0, v73
	v_ashrrev_i32_e32 v192, 31, v192
	v_lshlrev_b32_e32 v191, 25, v68
	v_ashrrev_i32_e32 v70, 31, v70
	v_lshlrev_b32_e32 v73, 24, v68
	v_xor_b32_e32 v69, vcc_lo, v69
	v_cmp_gt_i32_e32 vcc_lo, 0, v71
	v_not_b32_e32 v71, v72
	v_xor_b32_e32 v192, s16, v192
	v_cmp_gt_i32_e64 s16, 0, v72
	v_and_b32_e32 v69, exec_lo, v69
	v_not_b32_e32 v72, v74
	v_ashrrev_i32_e32 v71, 31, v71
	v_xor_b32_e32 v70, vcc_lo, v70
	v_cmp_gt_i32_e32 vcc_lo, 0, v74
	v_and_b32_e32 v69, v69, v192
	v_not_b32_e32 v74, v75
	v_ashrrev_i32_e32 v72, 31, v72
	v_xor_b32_e32 v71, s16, v71
	v_cmp_gt_i32_e64 s16, 0, v75
	v_and_b32_e32 v69, v69, v70
	v_not_b32_e32 v70, v191
	v_ashrrev_i32_e32 v74, 31, v74
	v_xor_b32_e32 v72, vcc_lo, v72
	v_cmp_gt_i32_e32 vcc_lo, 0, v191
	v_and_b32_e32 v69, v69, v71
	v_not_b32_e32 v71, v73
	v_ashrrev_i32_e32 v70, 31, v70
	v_xor_b32_e32 v74, s16, v74
	v_mul_u32_u24_e32 v68, 9, v68
	v_and_b32_e32 v69, v69, v72
	v_cmp_gt_i32_e64 s16, 0, v73
	v_ashrrev_i32_e32 v71, 31, v71
	v_xor_b32_e32 v70, vcc_lo, v70
	v_add_lshl_u32 v72, v68, v158, 2
	v_and_b32_e32 v69, v69, v74
	s_delay_alu instid0(VALU_DEP_4) | instskip(SKIP_3) | instid1(VALU_DEP_2)
	v_xor_b32_e32 v68, s16, v71
	ds_load_b32 v191, v72 offset:1056
	v_and_b32_e32 v69, v69, v70
	v_add_nc_u32_e32 v193, 0x420, v72
	; wave barrier
	v_and_b32_e32 v68, v69, v68
	s_delay_alu instid0(VALU_DEP_1) | instskip(SKIP_1) | instid1(VALU_DEP_2)
	v_mbcnt_lo_u32_b32 v192, v68, 0
	v_cmp_ne_u32_e64 s16, 0, v68
	v_cmp_eq_u32_e32 vcc_lo, 0, v192
	s_delay_alu instid0(VALU_DEP_2) | instskip(NEXT) | instid1(SALU_CYCLE_1)
	s_and_b32 s17, s16, vcc_lo
	s_and_saveexec_b32 s16, s17
	s_cbranch_execz .LBB815_1030
; %bb.1029:                             ;   in Loop: Header=BB815_982 Depth=2
	s_waitcnt lgkmcnt(0)
	v_bcnt_u32_b32 v68, v68, v191
	ds_store_b32 v193, v68
.LBB815_1030:                           ;   in Loop: Header=BB815_982 Depth=2
	s_or_b32 exec_lo, exec_lo, s16
	v_xor_b32_e32 v49, 0x80000000, v49
	; wave barrier
	s_delay_alu instid0(VALU_DEP_1) | instskip(NEXT) | instid1(VALU_DEP_1)
	v_lshrrev_b64 v[68:69], s40, v[48:49]
	v_and_b32_e32 v68, s42, v68
	s_delay_alu instid0(VALU_DEP_1)
	v_and_b32_e32 v69, 1, v68
	v_lshlrev_b32_e32 v70, 30, v68
	v_lshlrev_b32_e32 v71, 29, v68
	;; [unrolled: 1-line block ×4, first 2 shown]
	v_add_co_u32 v69, s16, v69, -1
	s_delay_alu instid0(VALU_DEP_1)
	v_cndmask_b32_e64 v73, 0, 1, s16
	v_not_b32_e32 v195, v70
	v_cmp_gt_i32_e64 s16, 0, v70
	v_not_b32_e32 v70, v71
	v_lshlrev_b32_e32 v75, 26, v68
	v_cmp_ne_u32_e32 vcc_lo, 0, v73
	v_ashrrev_i32_e32 v195, 31, v195
	v_lshlrev_b32_e32 v194, 25, v68
	v_ashrrev_i32_e32 v70, 31, v70
	v_lshlrev_b32_e32 v73, 24, v68
	v_xor_b32_e32 v69, vcc_lo, v69
	v_cmp_gt_i32_e32 vcc_lo, 0, v71
	v_not_b32_e32 v71, v72
	v_xor_b32_e32 v195, s16, v195
	v_cmp_gt_i32_e64 s16, 0, v72
	v_and_b32_e32 v69, exec_lo, v69
	v_not_b32_e32 v72, v74
	v_ashrrev_i32_e32 v71, 31, v71
	v_xor_b32_e32 v70, vcc_lo, v70
	v_cmp_gt_i32_e32 vcc_lo, 0, v74
	v_and_b32_e32 v69, v69, v195
	v_not_b32_e32 v74, v75
	v_ashrrev_i32_e32 v72, 31, v72
	v_xor_b32_e32 v71, s16, v71
	v_cmp_gt_i32_e64 s16, 0, v75
	v_and_b32_e32 v69, v69, v70
	v_not_b32_e32 v70, v194
	v_ashrrev_i32_e32 v74, 31, v74
	v_xor_b32_e32 v72, vcc_lo, v72
	v_cmp_gt_i32_e32 vcc_lo, 0, v194
	v_and_b32_e32 v69, v69, v71
	v_not_b32_e32 v71, v73
	v_ashrrev_i32_e32 v70, 31, v70
	v_xor_b32_e32 v74, s16, v74
	v_mul_u32_u24_e32 v68, 9, v68
	v_and_b32_e32 v69, v69, v72
	v_cmp_gt_i32_e64 s16, 0, v73
	v_ashrrev_i32_e32 v71, 31, v71
	v_xor_b32_e32 v70, vcc_lo, v70
	v_add_lshl_u32 v72, v68, v158, 2
	v_and_b32_e32 v69, v69, v74
	s_delay_alu instid0(VALU_DEP_4) | instskip(SKIP_3) | instid1(VALU_DEP_2)
	v_xor_b32_e32 v68, s16, v71
	ds_load_b32 v194, v72 offset:1056
	v_and_b32_e32 v69, v69, v70
	v_add_nc_u32_e32 v196, 0x420, v72
	; wave barrier
	v_and_b32_e32 v68, v69, v68
	s_delay_alu instid0(VALU_DEP_1) | instskip(SKIP_1) | instid1(VALU_DEP_2)
	v_mbcnt_lo_u32_b32 v195, v68, 0
	v_cmp_ne_u32_e64 s16, 0, v68
	v_cmp_eq_u32_e32 vcc_lo, 0, v195
	s_delay_alu instid0(VALU_DEP_2) | instskip(NEXT) | instid1(SALU_CYCLE_1)
	s_and_b32 s17, s16, vcc_lo
	s_and_saveexec_b32 s16, s17
	s_cbranch_execz .LBB815_1032
; %bb.1031:                             ;   in Loop: Header=BB815_982 Depth=2
	s_waitcnt lgkmcnt(0)
	v_bcnt_u32_b32 v68, v68, v194
	ds_store_b32 v196, v68
.LBB815_1032:                           ;   in Loop: Header=BB815_982 Depth=2
	s_or_b32 exec_lo, exec_lo, s16
	v_xor_b32_e32 v51, 0x80000000, v51
	; wave barrier
	s_delay_alu instid0(VALU_DEP_1) | instskip(NEXT) | instid1(VALU_DEP_1)
	v_lshrrev_b64 v[68:69], s40, v[50:51]
	v_and_b32_e32 v68, s42, v68
	s_delay_alu instid0(VALU_DEP_1)
	v_and_b32_e32 v69, 1, v68
	v_lshlrev_b32_e32 v70, 30, v68
	v_lshlrev_b32_e32 v71, 29, v68
	;; [unrolled: 1-line block ×4, first 2 shown]
	v_add_co_u32 v69, s16, v69, -1
	s_delay_alu instid0(VALU_DEP_1)
	v_cndmask_b32_e64 v73, 0, 1, s16
	v_not_b32_e32 v198, v70
	v_cmp_gt_i32_e64 s16, 0, v70
	v_not_b32_e32 v70, v71
	v_lshlrev_b32_e32 v75, 26, v68
	v_cmp_ne_u32_e32 vcc_lo, 0, v73
	v_ashrrev_i32_e32 v198, 31, v198
	v_lshlrev_b32_e32 v197, 25, v68
	v_ashrrev_i32_e32 v70, 31, v70
	v_lshlrev_b32_e32 v73, 24, v68
	v_xor_b32_e32 v69, vcc_lo, v69
	v_cmp_gt_i32_e32 vcc_lo, 0, v71
	v_not_b32_e32 v71, v72
	v_xor_b32_e32 v198, s16, v198
	v_cmp_gt_i32_e64 s16, 0, v72
	v_and_b32_e32 v69, exec_lo, v69
	v_not_b32_e32 v72, v74
	v_ashrrev_i32_e32 v71, 31, v71
	v_xor_b32_e32 v70, vcc_lo, v70
	v_cmp_gt_i32_e32 vcc_lo, 0, v74
	v_and_b32_e32 v69, v69, v198
	v_not_b32_e32 v74, v75
	v_ashrrev_i32_e32 v72, 31, v72
	v_xor_b32_e32 v71, s16, v71
	v_cmp_gt_i32_e64 s16, 0, v75
	v_and_b32_e32 v69, v69, v70
	v_not_b32_e32 v70, v197
	v_ashrrev_i32_e32 v74, 31, v74
	v_xor_b32_e32 v72, vcc_lo, v72
	v_cmp_gt_i32_e32 vcc_lo, 0, v197
	v_and_b32_e32 v69, v69, v71
	v_not_b32_e32 v71, v73
	v_ashrrev_i32_e32 v70, 31, v70
	v_xor_b32_e32 v74, s16, v74
	v_mul_u32_u24_e32 v68, 9, v68
	v_and_b32_e32 v69, v69, v72
	v_cmp_gt_i32_e64 s16, 0, v73
	v_ashrrev_i32_e32 v71, 31, v71
	v_xor_b32_e32 v70, vcc_lo, v70
	v_add_lshl_u32 v72, v68, v158, 2
	v_and_b32_e32 v69, v69, v74
	s_delay_alu instid0(VALU_DEP_4) | instskip(SKIP_3) | instid1(VALU_DEP_2)
	v_xor_b32_e32 v68, s16, v71
	ds_load_b32 v197, v72 offset:1056
	v_and_b32_e32 v69, v69, v70
	v_add_nc_u32_e32 v199, 0x420, v72
	; wave barrier
	v_and_b32_e32 v68, v69, v68
	s_delay_alu instid0(VALU_DEP_1) | instskip(SKIP_1) | instid1(VALU_DEP_2)
	v_mbcnt_lo_u32_b32 v198, v68, 0
	v_cmp_ne_u32_e64 s16, 0, v68
	v_cmp_eq_u32_e32 vcc_lo, 0, v198
	s_delay_alu instid0(VALU_DEP_2) | instskip(NEXT) | instid1(SALU_CYCLE_1)
	s_and_b32 s17, s16, vcc_lo
	s_and_saveexec_b32 s16, s17
	s_cbranch_execz .LBB815_1034
; %bb.1033:                             ;   in Loop: Header=BB815_982 Depth=2
	s_waitcnt lgkmcnt(0)
	v_bcnt_u32_b32 v68, v68, v197
	ds_store_b32 v199, v68
.LBB815_1034:                           ;   in Loop: Header=BB815_982 Depth=2
	s_or_b32 exec_lo, exec_lo, s16
	v_xor_b32_e32 v53, 0x80000000, v53
	; wave barrier
	s_delay_alu instid0(VALU_DEP_1) | instskip(NEXT) | instid1(VALU_DEP_1)
	v_lshrrev_b64 v[68:69], s40, v[52:53]
	v_and_b32_e32 v68, s42, v68
	s_delay_alu instid0(VALU_DEP_1)
	v_and_b32_e32 v69, 1, v68
	v_lshlrev_b32_e32 v70, 30, v68
	v_lshlrev_b32_e32 v71, 29, v68
	;; [unrolled: 1-line block ×4, first 2 shown]
	v_add_co_u32 v69, s16, v69, -1
	s_delay_alu instid0(VALU_DEP_1)
	v_cndmask_b32_e64 v73, 0, 1, s16
	v_not_b32_e32 v201, v70
	v_cmp_gt_i32_e64 s16, 0, v70
	v_not_b32_e32 v70, v71
	v_lshlrev_b32_e32 v75, 26, v68
	v_cmp_ne_u32_e32 vcc_lo, 0, v73
	v_ashrrev_i32_e32 v201, 31, v201
	v_lshlrev_b32_e32 v200, 25, v68
	v_ashrrev_i32_e32 v70, 31, v70
	v_lshlrev_b32_e32 v73, 24, v68
	v_xor_b32_e32 v69, vcc_lo, v69
	v_cmp_gt_i32_e32 vcc_lo, 0, v71
	v_not_b32_e32 v71, v72
	v_xor_b32_e32 v201, s16, v201
	v_cmp_gt_i32_e64 s16, 0, v72
	v_and_b32_e32 v69, exec_lo, v69
	v_not_b32_e32 v72, v74
	v_ashrrev_i32_e32 v71, 31, v71
	v_xor_b32_e32 v70, vcc_lo, v70
	v_cmp_gt_i32_e32 vcc_lo, 0, v74
	v_and_b32_e32 v69, v69, v201
	v_not_b32_e32 v74, v75
	v_ashrrev_i32_e32 v72, 31, v72
	v_xor_b32_e32 v71, s16, v71
	v_cmp_gt_i32_e64 s16, 0, v75
	v_and_b32_e32 v69, v69, v70
	v_not_b32_e32 v70, v200
	v_ashrrev_i32_e32 v74, 31, v74
	v_xor_b32_e32 v72, vcc_lo, v72
	v_cmp_gt_i32_e32 vcc_lo, 0, v200
	v_and_b32_e32 v69, v69, v71
	v_not_b32_e32 v71, v73
	v_ashrrev_i32_e32 v70, 31, v70
	v_xor_b32_e32 v74, s16, v74
	v_mul_u32_u24_e32 v68, 9, v68
	v_and_b32_e32 v69, v69, v72
	v_cmp_gt_i32_e64 s16, 0, v73
	v_ashrrev_i32_e32 v71, 31, v71
	v_xor_b32_e32 v70, vcc_lo, v70
	v_add_lshl_u32 v72, v68, v158, 2
	v_and_b32_e32 v69, v69, v74
	s_delay_alu instid0(VALU_DEP_4) | instskip(SKIP_3) | instid1(VALU_DEP_2)
	v_xor_b32_e32 v68, s16, v71
	ds_load_b32 v200, v72 offset:1056
	v_and_b32_e32 v69, v69, v70
	v_add_nc_u32_e32 v202, 0x420, v72
	; wave barrier
	v_and_b32_e32 v68, v69, v68
	s_delay_alu instid0(VALU_DEP_1) | instskip(SKIP_1) | instid1(VALU_DEP_2)
	v_mbcnt_lo_u32_b32 v201, v68, 0
	v_cmp_ne_u32_e64 s16, 0, v68
	v_cmp_eq_u32_e32 vcc_lo, 0, v201
	s_delay_alu instid0(VALU_DEP_2) | instskip(NEXT) | instid1(SALU_CYCLE_1)
	s_and_b32 s17, s16, vcc_lo
	s_and_saveexec_b32 s16, s17
	s_cbranch_execz .LBB815_1036
; %bb.1035:                             ;   in Loop: Header=BB815_982 Depth=2
	s_waitcnt lgkmcnt(0)
	v_bcnt_u32_b32 v68, v68, v200
	ds_store_b32 v202, v68
.LBB815_1036:                           ;   in Loop: Header=BB815_982 Depth=2
	s_or_b32 exec_lo, exec_lo, s16
	v_xor_b32_e32 v55, 0x80000000, v55
	; wave barrier
	s_delay_alu instid0(VALU_DEP_1) | instskip(NEXT) | instid1(VALU_DEP_1)
	v_lshrrev_b64 v[68:69], s40, v[54:55]
	v_and_b32_e32 v68, s42, v68
	s_delay_alu instid0(VALU_DEP_1)
	v_and_b32_e32 v69, 1, v68
	v_lshlrev_b32_e32 v70, 30, v68
	v_lshlrev_b32_e32 v71, 29, v68
	;; [unrolled: 1-line block ×4, first 2 shown]
	v_add_co_u32 v69, s16, v69, -1
	s_delay_alu instid0(VALU_DEP_1)
	v_cndmask_b32_e64 v73, 0, 1, s16
	v_not_b32_e32 v204, v70
	v_cmp_gt_i32_e64 s16, 0, v70
	v_not_b32_e32 v70, v71
	v_lshlrev_b32_e32 v75, 26, v68
	v_cmp_ne_u32_e32 vcc_lo, 0, v73
	v_ashrrev_i32_e32 v204, 31, v204
	v_lshlrev_b32_e32 v203, 25, v68
	v_ashrrev_i32_e32 v70, 31, v70
	v_lshlrev_b32_e32 v73, 24, v68
	v_xor_b32_e32 v69, vcc_lo, v69
	v_cmp_gt_i32_e32 vcc_lo, 0, v71
	v_not_b32_e32 v71, v72
	v_xor_b32_e32 v204, s16, v204
	v_cmp_gt_i32_e64 s16, 0, v72
	v_and_b32_e32 v69, exec_lo, v69
	v_not_b32_e32 v72, v74
	v_ashrrev_i32_e32 v71, 31, v71
	v_xor_b32_e32 v70, vcc_lo, v70
	v_cmp_gt_i32_e32 vcc_lo, 0, v74
	v_and_b32_e32 v69, v69, v204
	v_not_b32_e32 v74, v75
	v_ashrrev_i32_e32 v72, 31, v72
	v_xor_b32_e32 v71, s16, v71
	v_cmp_gt_i32_e64 s16, 0, v75
	v_and_b32_e32 v69, v69, v70
	v_not_b32_e32 v70, v203
	v_ashrrev_i32_e32 v74, 31, v74
	v_xor_b32_e32 v72, vcc_lo, v72
	v_cmp_gt_i32_e32 vcc_lo, 0, v203
	v_and_b32_e32 v69, v69, v71
	v_not_b32_e32 v71, v73
	v_ashrrev_i32_e32 v70, 31, v70
	v_xor_b32_e32 v74, s16, v74
	v_mul_u32_u24_e32 v68, 9, v68
	v_and_b32_e32 v69, v69, v72
	v_cmp_gt_i32_e64 s16, 0, v73
	v_ashrrev_i32_e32 v71, 31, v71
	v_xor_b32_e32 v70, vcc_lo, v70
	v_add_lshl_u32 v72, v68, v158, 2
	v_and_b32_e32 v69, v69, v74
	s_delay_alu instid0(VALU_DEP_4) | instskip(SKIP_3) | instid1(VALU_DEP_2)
	v_xor_b32_e32 v68, s16, v71
	ds_load_b32 v203, v72 offset:1056
	v_and_b32_e32 v69, v69, v70
	v_add_nc_u32_e32 v205, 0x420, v72
	; wave barrier
	v_and_b32_e32 v68, v69, v68
	s_delay_alu instid0(VALU_DEP_1) | instskip(SKIP_1) | instid1(VALU_DEP_2)
	v_mbcnt_lo_u32_b32 v204, v68, 0
	v_cmp_ne_u32_e64 s16, 0, v68
	v_cmp_eq_u32_e32 vcc_lo, 0, v204
	s_delay_alu instid0(VALU_DEP_2) | instskip(NEXT) | instid1(SALU_CYCLE_1)
	s_and_b32 s17, s16, vcc_lo
	s_and_saveexec_b32 s16, s17
	s_cbranch_execz .LBB815_1038
; %bb.1037:                             ;   in Loop: Header=BB815_982 Depth=2
	s_waitcnt lgkmcnt(0)
	v_bcnt_u32_b32 v68, v68, v203
	ds_store_b32 v205, v68
.LBB815_1038:                           ;   in Loop: Header=BB815_982 Depth=2
	s_or_b32 exec_lo, exec_lo, s16
	v_xor_b32_e32 v57, 0x80000000, v57
	; wave barrier
	s_delay_alu instid0(VALU_DEP_1) | instskip(NEXT) | instid1(VALU_DEP_1)
	v_lshrrev_b64 v[68:69], s40, v[56:57]
	v_and_b32_e32 v68, s42, v68
	s_delay_alu instid0(VALU_DEP_1)
	v_and_b32_e32 v69, 1, v68
	v_lshlrev_b32_e32 v70, 30, v68
	v_lshlrev_b32_e32 v71, 29, v68
	;; [unrolled: 1-line block ×4, first 2 shown]
	v_add_co_u32 v69, s16, v69, -1
	s_delay_alu instid0(VALU_DEP_1)
	v_cndmask_b32_e64 v73, 0, 1, s16
	v_not_b32_e32 v207, v70
	v_cmp_gt_i32_e64 s16, 0, v70
	v_not_b32_e32 v70, v71
	v_lshlrev_b32_e32 v75, 26, v68
	v_cmp_ne_u32_e32 vcc_lo, 0, v73
	v_ashrrev_i32_e32 v207, 31, v207
	v_lshlrev_b32_e32 v206, 25, v68
	v_ashrrev_i32_e32 v70, 31, v70
	v_lshlrev_b32_e32 v73, 24, v68
	v_xor_b32_e32 v69, vcc_lo, v69
	v_cmp_gt_i32_e32 vcc_lo, 0, v71
	v_not_b32_e32 v71, v72
	v_xor_b32_e32 v207, s16, v207
	v_cmp_gt_i32_e64 s16, 0, v72
	v_and_b32_e32 v69, exec_lo, v69
	v_not_b32_e32 v72, v74
	v_ashrrev_i32_e32 v71, 31, v71
	v_xor_b32_e32 v70, vcc_lo, v70
	v_cmp_gt_i32_e32 vcc_lo, 0, v74
	v_and_b32_e32 v69, v69, v207
	v_not_b32_e32 v74, v75
	v_ashrrev_i32_e32 v72, 31, v72
	v_xor_b32_e32 v71, s16, v71
	v_cmp_gt_i32_e64 s16, 0, v75
	v_and_b32_e32 v69, v69, v70
	v_not_b32_e32 v70, v206
	v_ashrrev_i32_e32 v74, 31, v74
	v_xor_b32_e32 v72, vcc_lo, v72
	v_cmp_gt_i32_e32 vcc_lo, 0, v206
	v_and_b32_e32 v69, v69, v71
	v_not_b32_e32 v71, v73
	v_ashrrev_i32_e32 v70, 31, v70
	v_xor_b32_e32 v74, s16, v74
	v_mul_u32_u24_e32 v68, 9, v68
	v_and_b32_e32 v69, v69, v72
	v_cmp_gt_i32_e64 s16, 0, v73
	v_ashrrev_i32_e32 v71, 31, v71
	v_xor_b32_e32 v70, vcc_lo, v70
	v_add_lshl_u32 v72, v68, v158, 2
	v_and_b32_e32 v69, v69, v74
	s_delay_alu instid0(VALU_DEP_4) | instskip(SKIP_3) | instid1(VALU_DEP_2)
	v_xor_b32_e32 v68, s16, v71
	ds_load_b32 v206, v72 offset:1056
	v_and_b32_e32 v69, v69, v70
	v_add_nc_u32_e32 v208, 0x420, v72
	; wave barrier
	v_and_b32_e32 v68, v69, v68
	s_delay_alu instid0(VALU_DEP_1) | instskip(SKIP_1) | instid1(VALU_DEP_2)
	v_mbcnt_lo_u32_b32 v207, v68, 0
	v_cmp_ne_u32_e64 s16, 0, v68
	v_cmp_eq_u32_e32 vcc_lo, 0, v207
	s_delay_alu instid0(VALU_DEP_2) | instskip(NEXT) | instid1(SALU_CYCLE_1)
	s_and_b32 s17, s16, vcc_lo
	s_and_saveexec_b32 s16, s17
	s_cbranch_execz .LBB815_1040
; %bb.1039:                             ;   in Loop: Header=BB815_982 Depth=2
	s_waitcnt lgkmcnt(0)
	v_bcnt_u32_b32 v68, v68, v206
	ds_store_b32 v208, v68
.LBB815_1040:                           ;   in Loop: Header=BB815_982 Depth=2
	s_or_b32 exec_lo, exec_lo, s16
	v_xor_b32_e32 v59, 0x80000000, v59
	; wave barrier
	s_delay_alu instid0(VALU_DEP_1) | instskip(NEXT) | instid1(VALU_DEP_1)
	v_lshrrev_b64 v[68:69], s40, v[58:59]
	v_and_b32_e32 v68, s42, v68
	s_delay_alu instid0(VALU_DEP_1)
	v_and_b32_e32 v69, 1, v68
	v_lshlrev_b32_e32 v70, 30, v68
	v_lshlrev_b32_e32 v71, 29, v68
	;; [unrolled: 1-line block ×4, first 2 shown]
	v_add_co_u32 v69, s16, v69, -1
	s_delay_alu instid0(VALU_DEP_1)
	v_cndmask_b32_e64 v73, 0, 1, s16
	v_not_b32_e32 v210, v70
	v_cmp_gt_i32_e64 s16, 0, v70
	v_not_b32_e32 v70, v71
	v_lshlrev_b32_e32 v75, 26, v68
	v_cmp_ne_u32_e32 vcc_lo, 0, v73
	v_ashrrev_i32_e32 v210, 31, v210
	v_lshlrev_b32_e32 v209, 25, v68
	v_ashrrev_i32_e32 v70, 31, v70
	v_lshlrev_b32_e32 v73, 24, v68
	v_xor_b32_e32 v69, vcc_lo, v69
	v_cmp_gt_i32_e32 vcc_lo, 0, v71
	v_not_b32_e32 v71, v72
	v_xor_b32_e32 v210, s16, v210
	v_cmp_gt_i32_e64 s16, 0, v72
	v_and_b32_e32 v69, exec_lo, v69
	v_not_b32_e32 v72, v74
	v_ashrrev_i32_e32 v71, 31, v71
	v_xor_b32_e32 v70, vcc_lo, v70
	v_cmp_gt_i32_e32 vcc_lo, 0, v74
	v_and_b32_e32 v69, v69, v210
	v_not_b32_e32 v74, v75
	v_ashrrev_i32_e32 v72, 31, v72
	v_xor_b32_e32 v71, s16, v71
	v_cmp_gt_i32_e64 s16, 0, v75
	v_and_b32_e32 v69, v69, v70
	v_not_b32_e32 v70, v209
	v_ashrrev_i32_e32 v74, 31, v74
	v_xor_b32_e32 v72, vcc_lo, v72
	v_cmp_gt_i32_e32 vcc_lo, 0, v209
	v_and_b32_e32 v69, v69, v71
	v_not_b32_e32 v71, v73
	v_ashrrev_i32_e32 v70, 31, v70
	v_xor_b32_e32 v74, s16, v74
	v_mul_u32_u24_e32 v68, 9, v68
	v_and_b32_e32 v69, v69, v72
	v_cmp_gt_i32_e64 s16, 0, v73
	v_ashrrev_i32_e32 v71, 31, v71
	v_xor_b32_e32 v70, vcc_lo, v70
	v_add_lshl_u32 v72, v68, v158, 2
	v_and_b32_e32 v69, v69, v74
	s_delay_alu instid0(VALU_DEP_4) | instskip(SKIP_3) | instid1(VALU_DEP_2)
	v_xor_b32_e32 v68, s16, v71
	ds_load_b32 v209, v72 offset:1056
	v_and_b32_e32 v69, v69, v70
	v_add_nc_u32_e32 v211, 0x420, v72
	; wave barrier
	v_and_b32_e32 v68, v69, v68
	s_delay_alu instid0(VALU_DEP_1) | instskip(SKIP_1) | instid1(VALU_DEP_2)
	v_mbcnt_lo_u32_b32 v210, v68, 0
	v_cmp_ne_u32_e64 s16, 0, v68
	v_cmp_eq_u32_e32 vcc_lo, 0, v210
	s_delay_alu instid0(VALU_DEP_2) | instskip(NEXT) | instid1(SALU_CYCLE_1)
	s_and_b32 s17, s16, vcc_lo
	s_and_saveexec_b32 s16, s17
	s_cbranch_execz .LBB815_1042
; %bb.1041:                             ;   in Loop: Header=BB815_982 Depth=2
	s_waitcnt lgkmcnt(0)
	v_bcnt_u32_b32 v68, v68, v209
	ds_store_b32 v211, v68
.LBB815_1042:                           ;   in Loop: Header=BB815_982 Depth=2
	s_or_b32 exec_lo, exec_lo, s16
	v_xor_b32_e32 v61, 0x80000000, v61
	; wave barrier
	s_delay_alu instid0(VALU_DEP_1) | instskip(NEXT) | instid1(VALU_DEP_1)
	v_lshrrev_b64 v[68:69], s40, v[60:61]
	v_and_b32_e32 v68, s42, v68
	s_delay_alu instid0(VALU_DEP_1)
	v_and_b32_e32 v69, 1, v68
	v_lshlrev_b32_e32 v70, 30, v68
	v_lshlrev_b32_e32 v71, 29, v68
	;; [unrolled: 1-line block ×4, first 2 shown]
	v_add_co_u32 v69, s16, v69, -1
	s_delay_alu instid0(VALU_DEP_1)
	v_cndmask_b32_e64 v73, 0, 1, s16
	v_not_b32_e32 v213, v70
	v_cmp_gt_i32_e64 s16, 0, v70
	v_not_b32_e32 v70, v71
	v_lshlrev_b32_e32 v75, 26, v68
	v_cmp_ne_u32_e32 vcc_lo, 0, v73
	v_ashrrev_i32_e32 v213, 31, v213
	v_lshlrev_b32_e32 v212, 25, v68
	v_ashrrev_i32_e32 v70, 31, v70
	v_lshlrev_b32_e32 v73, 24, v68
	v_xor_b32_e32 v69, vcc_lo, v69
	v_cmp_gt_i32_e32 vcc_lo, 0, v71
	v_not_b32_e32 v71, v72
	v_xor_b32_e32 v213, s16, v213
	v_cmp_gt_i32_e64 s16, 0, v72
	v_and_b32_e32 v69, exec_lo, v69
	v_not_b32_e32 v72, v74
	v_ashrrev_i32_e32 v71, 31, v71
	v_xor_b32_e32 v70, vcc_lo, v70
	v_cmp_gt_i32_e32 vcc_lo, 0, v74
	v_and_b32_e32 v69, v69, v213
	v_not_b32_e32 v74, v75
	v_ashrrev_i32_e32 v72, 31, v72
	v_xor_b32_e32 v71, s16, v71
	v_cmp_gt_i32_e64 s16, 0, v75
	v_and_b32_e32 v69, v69, v70
	v_not_b32_e32 v70, v212
	v_ashrrev_i32_e32 v74, 31, v74
	v_xor_b32_e32 v72, vcc_lo, v72
	v_cmp_gt_i32_e32 vcc_lo, 0, v212
	v_and_b32_e32 v69, v69, v71
	v_not_b32_e32 v71, v73
	v_ashrrev_i32_e32 v70, 31, v70
	v_xor_b32_e32 v74, s16, v74
	v_mul_u32_u24_e32 v68, 9, v68
	v_and_b32_e32 v69, v69, v72
	v_cmp_gt_i32_e64 s16, 0, v73
	v_ashrrev_i32_e32 v71, 31, v71
	v_xor_b32_e32 v70, vcc_lo, v70
	v_add_lshl_u32 v72, v68, v158, 2
	v_and_b32_e32 v69, v69, v74
	s_delay_alu instid0(VALU_DEP_4) | instskip(SKIP_3) | instid1(VALU_DEP_2)
	v_xor_b32_e32 v68, s16, v71
	ds_load_b32 v212, v72 offset:1056
	v_and_b32_e32 v69, v69, v70
	v_add_nc_u32_e32 v214, 0x420, v72
	; wave barrier
	v_and_b32_e32 v68, v69, v68
	s_delay_alu instid0(VALU_DEP_1) | instskip(SKIP_1) | instid1(VALU_DEP_2)
	v_mbcnt_lo_u32_b32 v213, v68, 0
	v_cmp_ne_u32_e64 s16, 0, v68
	v_cmp_eq_u32_e32 vcc_lo, 0, v213
	s_delay_alu instid0(VALU_DEP_2) | instskip(NEXT) | instid1(SALU_CYCLE_1)
	s_and_b32 s17, s16, vcc_lo
	s_and_saveexec_b32 s16, s17
	s_cbranch_execz .LBB815_1044
; %bb.1043:                             ;   in Loop: Header=BB815_982 Depth=2
	s_waitcnt lgkmcnt(0)
	v_bcnt_u32_b32 v68, v68, v212
	ds_store_b32 v214, v68
.LBB815_1044:                           ;   in Loop: Header=BB815_982 Depth=2
	s_or_b32 exec_lo, exec_lo, s16
	v_xor_b32_e32 v63, 0x80000000, v63
	; wave barrier
	s_delay_alu instid0(VALU_DEP_1) | instskip(NEXT) | instid1(VALU_DEP_1)
	v_lshrrev_b64 v[68:69], s40, v[62:63]
	v_and_b32_e32 v68, s42, v68
	s_delay_alu instid0(VALU_DEP_1)
	v_and_b32_e32 v69, 1, v68
	v_lshlrev_b32_e32 v70, 30, v68
	v_lshlrev_b32_e32 v71, 29, v68
	;; [unrolled: 1-line block ×4, first 2 shown]
	v_add_co_u32 v69, s16, v69, -1
	s_delay_alu instid0(VALU_DEP_1)
	v_cndmask_b32_e64 v73, 0, 1, s16
	v_not_b32_e32 v216, v70
	v_cmp_gt_i32_e64 s16, 0, v70
	v_not_b32_e32 v70, v71
	v_lshlrev_b32_e32 v75, 26, v68
	v_cmp_ne_u32_e32 vcc_lo, 0, v73
	v_ashrrev_i32_e32 v216, 31, v216
	v_lshlrev_b32_e32 v215, 25, v68
	v_ashrrev_i32_e32 v70, 31, v70
	v_lshlrev_b32_e32 v73, 24, v68
	v_xor_b32_e32 v69, vcc_lo, v69
	v_cmp_gt_i32_e32 vcc_lo, 0, v71
	v_not_b32_e32 v71, v72
	v_xor_b32_e32 v216, s16, v216
	v_cmp_gt_i32_e64 s16, 0, v72
	v_and_b32_e32 v69, exec_lo, v69
	v_not_b32_e32 v72, v74
	v_ashrrev_i32_e32 v71, 31, v71
	v_xor_b32_e32 v70, vcc_lo, v70
	v_cmp_gt_i32_e32 vcc_lo, 0, v74
	v_and_b32_e32 v69, v69, v216
	v_not_b32_e32 v74, v75
	v_ashrrev_i32_e32 v72, 31, v72
	v_xor_b32_e32 v71, s16, v71
	v_cmp_gt_i32_e64 s16, 0, v75
	v_and_b32_e32 v69, v69, v70
	v_not_b32_e32 v70, v215
	v_ashrrev_i32_e32 v74, 31, v74
	v_xor_b32_e32 v72, vcc_lo, v72
	v_cmp_gt_i32_e32 vcc_lo, 0, v215
	v_and_b32_e32 v69, v69, v71
	v_not_b32_e32 v71, v73
	v_ashrrev_i32_e32 v70, 31, v70
	v_xor_b32_e32 v74, s16, v74
	v_mul_u32_u24_e32 v68, 9, v68
	v_and_b32_e32 v69, v69, v72
	v_cmp_gt_i32_e64 s16, 0, v73
	v_ashrrev_i32_e32 v71, 31, v71
	v_xor_b32_e32 v70, vcc_lo, v70
	v_add_lshl_u32 v72, v68, v158, 2
	v_and_b32_e32 v69, v69, v74
	s_delay_alu instid0(VALU_DEP_4) | instskip(SKIP_3) | instid1(VALU_DEP_2)
	v_xor_b32_e32 v68, s16, v71
	ds_load_b32 v215, v72 offset:1056
	v_and_b32_e32 v69, v69, v70
	v_add_nc_u32_e32 v217, 0x420, v72
	; wave barrier
	v_and_b32_e32 v68, v69, v68
	s_delay_alu instid0(VALU_DEP_1) | instskip(SKIP_1) | instid1(VALU_DEP_2)
	v_mbcnt_lo_u32_b32 v216, v68, 0
	v_cmp_ne_u32_e64 s16, 0, v68
	v_cmp_eq_u32_e32 vcc_lo, 0, v216
	s_delay_alu instid0(VALU_DEP_2) | instskip(NEXT) | instid1(SALU_CYCLE_1)
	s_and_b32 s17, s16, vcc_lo
	s_and_saveexec_b32 s16, s17
	s_cbranch_execz .LBB815_1046
; %bb.1045:                             ;   in Loop: Header=BB815_982 Depth=2
	s_waitcnt lgkmcnt(0)
	v_bcnt_u32_b32 v68, v68, v215
	ds_store_b32 v217, v68
.LBB815_1046:                           ;   in Loop: Header=BB815_982 Depth=2
	s_or_b32 exec_lo, exec_lo, s16
	v_xor_b32_e32 v65, 0x80000000, v65
	; wave barrier
	s_delay_alu instid0(VALU_DEP_1) | instskip(NEXT) | instid1(VALU_DEP_1)
	v_lshrrev_b64 v[68:69], s40, v[64:65]
	v_and_b32_e32 v68, s42, v68
	s_delay_alu instid0(VALU_DEP_1)
	v_and_b32_e32 v69, 1, v68
	v_lshlrev_b32_e32 v70, 30, v68
	v_lshlrev_b32_e32 v71, 29, v68
	;; [unrolled: 1-line block ×4, first 2 shown]
	v_add_co_u32 v69, s16, v69, -1
	s_delay_alu instid0(VALU_DEP_1)
	v_cndmask_b32_e64 v73, 0, 1, s16
	v_not_b32_e32 v219, v70
	v_cmp_gt_i32_e64 s16, 0, v70
	v_not_b32_e32 v70, v71
	v_lshlrev_b32_e32 v75, 26, v68
	v_cmp_ne_u32_e32 vcc_lo, 0, v73
	v_ashrrev_i32_e32 v219, 31, v219
	v_lshlrev_b32_e32 v218, 25, v68
	v_ashrrev_i32_e32 v70, 31, v70
	v_lshlrev_b32_e32 v73, 24, v68
	v_xor_b32_e32 v69, vcc_lo, v69
	v_cmp_gt_i32_e32 vcc_lo, 0, v71
	v_not_b32_e32 v71, v72
	v_xor_b32_e32 v219, s16, v219
	v_cmp_gt_i32_e64 s16, 0, v72
	v_and_b32_e32 v69, exec_lo, v69
	v_not_b32_e32 v72, v74
	v_ashrrev_i32_e32 v71, 31, v71
	v_xor_b32_e32 v70, vcc_lo, v70
	v_cmp_gt_i32_e32 vcc_lo, 0, v74
	v_and_b32_e32 v69, v69, v219
	v_not_b32_e32 v74, v75
	v_ashrrev_i32_e32 v72, 31, v72
	v_xor_b32_e32 v71, s16, v71
	v_cmp_gt_i32_e64 s16, 0, v75
	v_and_b32_e32 v69, v69, v70
	v_not_b32_e32 v70, v218
	v_ashrrev_i32_e32 v74, 31, v74
	v_xor_b32_e32 v72, vcc_lo, v72
	v_cmp_gt_i32_e32 vcc_lo, 0, v218
	v_and_b32_e32 v69, v69, v71
	v_not_b32_e32 v71, v73
	v_ashrrev_i32_e32 v70, 31, v70
	v_xor_b32_e32 v74, s16, v74
	v_mul_u32_u24_e32 v68, 9, v68
	v_and_b32_e32 v69, v69, v72
	v_cmp_gt_i32_e64 s16, 0, v73
	v_ashrrev_i32_e32 v71, 31, v71
	v_xor_b32_e32 v70, vcc_lo, v70
	v_add_lshl_u32 v72, v68, v158, 2
	v_and_b32_e32 v69, v69, v74
	s_delay_alu instid0(VALU_DEP_4) | instskip(SKIP_3) | instid1(VALU_DEP_2)
	v_xor_b32_e32 v68, s16, v71
	ds_load_b32 v218, v72 offset:1056
	v_and_b32_e32 v69, v69, v70
	v_add_nc_u32_e32 v220, 0x420, v72
	; wave barrier
	v_and_b32_e32 v68, v69, v68
	s_delay_alu instid0(VALU_DEP_1) | instskip(SKIP_1) | instid1(VALU_DEP_2)
	v_mbcnt_lo_u32_b32 v219, v68, 0
	v_cmp_ne_u32_e64 s16, 0, v68
	v_cmp_eq_u32_e32 vcc_lo, 0, v219
	s_delay_alu instid0(VALU_DEP_2) | instskip(NEXT) | instid1(SALU_CYCLE_1)
	s_and_b32 s17, s16, vcc_lo
	s_and_saveexec_b32 s16, s17
	s_cbranch_execz .LBB815_1048
; %bb.1047:                             ;   in Loop: Header=BB815_982 Depth=2
	s_waitcnt lgkmcnt(0)
	v_bcnt_u32_b32 v68, v68, v218
	ds_store_b32 v220, v68
.LBB815_1048:                           ;   in Loop: Header=BB815_982 Depth=2
	s_or_b32 exec_lo, exec_lo, s16
	v_xor_b32_e32 v67, 0x80000000, v67
	; wave barrier
	s_delay_alu instid0(VALU_DEP_1) | instskip(NEXT) | instid1(VALU_DEP_1)
	v_lshrrev_b64 v[68:69], s40, v[66:67]
	v_and_b32_e32 v68, s42, v68
	s_delay_alu instid0(VALU_DEP_1)
	v_and_b32_e32 v69, 1, v68
	v_lshlrev_b32_e32 v70, 30, v68
	v_lshlrev_b32_e32 v71, 29, v68
	;; [unrolled: 1-line block ×4, first 2 shown]
	v_add_co_u32 v69, s16, v69, -1
	s_delay_alu instid0(VALU_DEP_1)
	v_cndmask_b32_e64 v73, 0, 1, s16
	v_not_b32_e32 v222, v70
	v_cmp_gt_i32_e64 s16, 0, v70
	v_not_b32_e32 v70, v71
	v_lshlrev_b32_e32 v75, 26, v68
	v_cmp_ne_u32_e32 vcc_lo, 0, v73
	v_ashrrev_i32_e32 v222, 31, v222
	v_lshlrev_b32_e32 v221, 25, v68
	v_ashrrev_i32_e32 v70, 31, v70
	v_lshlrev_b32_e32 v73, 24, v68
	v_xor_b32_e32 v69, vcc_lo, v69
	v_cmp_gt_i32_e32 vcc_lo, 0, v71
	v_not_b32_e32 v71, v72
	v_xor_b32_e32 v222, s16, v222
	v_cmp_gt_i32_e64 s16, 0, v72
	v_and_b32_e32 v69, exec_lo, v69
	v_not_b32_e32 v72, v74
	v_ashrrev_i32_e32 v71, 31, v71
	v_xor_b32_e32 v70, vcc_lo, v70
	v_cmp_gt_i32_e32 vcc_lo, 0, v74
	v_and_b32_e32 v69, v69, v222
	v_not_b32_e32 v74, v75
	v_ashrrev_i32_e32 v72, 31, v72
	v_xor_b32_e32 v71, s16, v71
	v_cmp_gt_i32_e64 s16, 0, v75
	v_and_b32_e32 v69, v69, v70
	v_not_b32_e32 v70, v221
	v_ashrrev_i32_e32 v74, 31, v74
	v_xor_b32_e32 v72, vcc_lo, v72
	v_cmp_gt_i32_e32 vcc_lo, 0, v221
	v_and_b32_e32 v69, v69, v71
	v_not_b32_e32 v71, v73
	v_ashrrev_i32_e32 v70, 31, v70
	v_xor_b32_e32 v74, s16, v74
	v_mul_u32_u24_e32 v68, 9, v68
	v_and_b32_e32 v69, v69, v72
	v_cmp_gt_i32_e64 s16, 0, v73
	v_ashrrev_i32_e32 v71, 31, v71
	v_xor_b32_e32 v70, vcc_lo, v70
	v_add_lshl_u32 v72, v68, v158, 2
	v_and_b32_e32 v69, v69, v74
	s_delay_alu instid0(VALU_DEP_4) | instskip(SKIP_3) | instid1(VALU_DEP_2)
	v_xor_b32_e32 v68, s16, v71
	ds_load_b32 v221, v72 offset:1056
	v_and_b32_e32 v69, v69, v70
	v_add_nc_u32_e32 v223, 0x420, v72
	; wave barrier
	v_and_b32_e32 v68, v69, v68
	s_delay_alu instid0(VALU_DEP_1) | instskip(SKIP_1) | instid1(VALU_DEP_2)
	v_mbcnt_lo_u32_b32 v222, v68, 0
	v_cmp_ne_u32_e64 s16, 0, v68
	v_cmp_eq_u32_e32 vcc_lo, 0, v222
	s_delay_alu instid0(VALU_DEP_2) | instskip(NEXT) | instid1(SALU_CYCLE_1)
	s_and_b32 s17, s16, vcc_lo
	s_and_saveexec_b32 s16, s17
	s_cbranch_execz .LBB815_1050
; %bb.1049:                             ;   in Loop: Header=BB815_982 Depth=2
	s_waitcnt lgkmcnt(0)
	v_bcnt_u32_b32 v68, v68, v221
	ds_store_b32 v223, v68
.LBB815_1050:                           ;   in Loop: Header=BB815_982 Depth=2
	s_or_b32 exec_lo, exec_lo, s16
	; wave barrier
	s_waitcnt lgkmcnt(0)
	s_barrier
	buffer_gl0_inv
	ds_load_b32 v224, v102 offset:1056
	ds_load_2addr_b32 v[74:75], v103 offset0:1 offset1:2
	ds_load_2addr_b32 v[72:73], v103 offset0:3 offset1:4
	;; [unrolled: 1-line block ×4, first 2 shown]
	s_waitcnt lgkmcnt(3)
	v_add3_u32 v225, v74, v224, v75
	s_waitcnt lgkmcnt(2)
	s_delay_alu instid0(VALU_DEP_1) | instskip(SKIP_1) | instid1(VALU_DEP_1)
	v_add3_u32 v225, v225, v72, v73
	s_waitcnt lgkmcnt(1)
	v_add3_u32 v225, v225, v68, v69
	s_waitcnt lgkmcnt(0)
	s_delay_alu instid0(VALU_DEP_1) | instskip(NEXT) | instid1(VALU_DEP_1)
	v_add3_u32 v71, v225, v70, v71
	v_mov_b32_dpp v225, v71 row_shr:1 row_mask:0xf bank_mask:0xf
	s_delay_alu instid0(VALU_DEP_1) | instskip(NEXT) | instid1(VALU_DEP_1)
	v_cndmask_b32_e64 v225, v225, 0, s1
	v_add_nc_u32_e32 v71, v225, v71
	s_delay_alu instid0(VALU_DEP_1) | instskip(NEXT) | instid1(VALU_DEP_1)
	v_mov_b32_dpp v225, v71 row_shr:2 row_mask:0xf bank_mask:0xf
	v_cndmask_b32_e64 v225, 0, v225, s7
	s_delay_alu instid0(VALU_DEP_1) | instskip(NEXT) | instid1(VALU_DEP_1)
	v_add_nc_u32_e32 v71, v71, v225
	v_mov_b32_dpp v225, v71 row_shr:4 row_mask:0xf bank_mask:0xf
	s_delay_alu instid0(VALU_DEP_1) | instskip(NEXT) | instid1(VALU_DEP_1)
	v_cndmask_b32_e64 v225, 0, v225, s8
	v_add_nc_u32_e32 v71, v71, v225
	s_delay_alu instid0(VALU_DEP_1) | instskip(NEXT) | instid1(VALU_DEP_1)
	v_mov_b32_dpp v225, v71 row_shr:8 row_mask:0xf bank_mask:0xf
	v_cndmask_b32_e64 v225, 0, v225, s9
	s_delay_alu instid0(VALU_DEP_1) | instskip(SKIP_3) | instid1(VALU_DEP_1)
	v_add_nc_u32_e32 v71, v71, v225
	ds_swizzle_b32 v225, v71 offset:swizzle(BROADCAST,32,15)
	s_waitcnt lgkmcnt(0)
	v_cndmask_b32_e64 v225, v225, 0, s10
	v_add_nc_u32_e32 v71, v71, v225
	s_and_saveexec_b32 s16, s3
	s_cbranch_execz .LBB815_1052
; %bb.1051:                             ;   in Loop: Header=BB815_982 Depth=2
	ds_store_b32 v94, v71 offset:1024
.LBB815_1052:                           ;   in Loop: Header=BB815_982 Depth=2
	s_or_b32 exec_lo, exec_lo, s16
	s_waitcnt lgkmcnt(0)
	s_barrier
	buffer_gl0_inv
	s_and_saveexec_b32 s16, s4
	s_cbranch_execz .LBB815_1054
; %bb.1053:                             ;   in Loop: Header=BB815_982 Depth=2
	ds_load_b32 v225, v104 offset:1024
	s_waitcnt lgkmcnt(0)
	v_mov_b32_dpp v226, v225 row_shr:1 row_mask:0xf bank_mask:0xf
	s_delay_alu instid0(VALU_DEP_1) | instskip(NEXT) | instid1(VALU_DEP_1)
	v_cndmask_b32_e64 v226, v226, 0, s12
	v_add_nc_u32_e32 v225, v226, v225
	s_delay_alu instid0(VALU_DEP_1) | instskip(NEXT) | instid1(VALU_DEP_1)
	v_mov_b32_dpp v226, v225 row_shr:2 row_mask:0xf bank_mask:0xf
	v_cndmask_b32_e64 v226, 0, v226, s13
	s_delay_alu instid0(VALU_DEP_1) | instskip(NEXT) | instid1(VALU_DEP_1)
	v_add_nc_u32_e32 v225, v225, v226
	v_mov_b32_dpp v226, v225 row_shr:4 row_mask:0xf bank_mask:0xf
	s_delay_alu instid0(VALU_DEP_1) | instskip(NEXT) | instid1(VALU_DEP_1)
	v_cndmask_b32_e64 v226, 0, v226, s14
	v_add_nc_u32_e32 v225, v225, v226
	ds_store_b32 v104, v225 offset:1024
.LBB815_1054:                           ;   in Loop: Header=BB815_982 Depth=2
	s_or_b32 exec_lo, exec_lo, s16
	v_mov_b32_e32 v225, 0
	s_waitcnt lgkmcnt(0)
	s_barrier
	buffer_gl0_inv
	s_and_saveexec_b32 s16, s5
	s_cbranch_execz .LBB815_1056
; %bb.1055:                             ;   in Loop: Header=BB815_982 Depth=2
	ds_load_b32 v225, v94 offset:1020
.LBB815_1056:                           ;   in Loop: Header=BB815_982 Depth=2
	s_or_b32 exec_lo, exec_lo, s16
	s_waitcnt lgkmcnt(0)
	v_add_nc_u32_e32 v71, v225, v71
	ds_bpermute_b32 v71, v137, v71
	s_waitcnt lgkmcnt(0)
	v_cndmask_b32_e64 v71, v71, v225, s11
	s_delay_alu instid0(VALU_DEP_1) | instskip(NEXT) | instid1(VALU_DEP_1)
	v_cndmask_b32_e64 v71, v71, 0, s0
	v_add_nc_u32_e32 v224, v71, v224
	s_delay_alu instid0(VALU_DEP_1) | instskip(NEXT) | instid1(VALU_DEP_1)
	v_add_nc_u32_e32 v74, v224, v74
	v_add_nc_u32_e32 v75, v74, v75
	s_delay_alu instid0(VALU_DEP_1) | instskip(NEXT) | instid1(VALU_DEP_1)
	v_add_nc_u32_e32 v72, v75, v72
	v_add_nc_u32_e32 v73, v72, v73
	s_delay_alu instid0(VALU_DEP_1) | instskip(NEXT) | instid1(VALU_DEP_1)
	v_add_nc_u32_e32 v68, v73, v68
	v_add_nc_u32_e32 v69, v68, v69
	s_delay_alu instid0(VALU_DEP_1)
	v_add_nc_u32_e32 v70, v69, v70
	ds_store_b32 v102, v71 offset:1056
	ds_store_2addr_b32 v103, v224, v74 offset0:1 offset1:2
	ds_store_2addr_b32 v103, v75, v72 offset0:3 offset1:4
	;; [unrolled: 1-line block ×4, first 2 shown]
	v_mov_b32_e32 v68, 0x1000
	s_waitcnt lgkmcnt(0)
	s_barrier
	buffer_gl0_inv
	ds_load_b32 v70, v181
	ds_load_b32 v71, v184
	;; [unrolled: 1-line block ×16, first 2 shown]
	ds_load_b32 v178, v102 offset:1056
	s_and_saveexec_b32 s16, s6
	s_cbranch_execz .LBB815_1058
; %bb.1057:                             ;   in Loop: Header=BB815_982 Depth=2
	ds_load_b32 v68, v105 offset:1056
.LBB815_1058:                           ;   in Loop: Header=BB815_982 Depth=2
	s_or_b32 exec_lo, exec_lo, s16
	s_waitcnt lgkmcnt(0)
	s_barrier
	buffer_gl0_inv
	s_and_saveexec_b32 s16, s2
	s_cbranch_execz .LBB815_1060
; %bb.1059:                             ;   in Loop: Header=BB815_982 Depth=2
	ds_load_b32 v202, v76
	s_waitcnt lgkmcnt(0)
	v_sub_nc_u32_e32 v178, v202, v178
	ds_store_b32 v76, v178
.LBB815_1060:                           ;   in Loop: Header=BB815_982 Depth=2
	s_or_b32 exec_lo, exec_lo, s16
	v_add_nc_u32_e32 v179, v180, v179
	v_add_nc_u32_e32 v180, v183, v182
	;; [unrolled: 1-line block ×4, first 2 shown]
	v_add_lshl_u32 v69, v69, v2, 3
	v_add_nc_u32_e32 v2, v186, v185
	v_add_lshl_u32 v70, v179, v70, 3
	v_add_nc_u32_e32 v197, v198, v197
	v_add_nc_u32_e32 v182, v189, v188
	v_add_lshl_u32 v71, v180, v71, 3
	v_add_nc_u32_e32 v178, v222, v221
	v_add_nc_u32_e32 v202, v219, v218
	;; [unrolled: 1-line block ×8, first 2 shown]
	ds_store_b64 v69, v[36:37] offset:1024
	v_add_lshl_u32 v72, v2, v72, 3
	ds_store_b64 v70, v[38:39] offset:1024
	ds_store_b64 v71, v[40:41] offset:1024
	v_add_lshl_u32 v39, v191, v225, 3
	v_add_lshl_u32 v40, v194, v224, 3
	;; [unrolled: 1-line block ×4, first 2 shown]
	ds_store_b64 v72, v[42:43] offset:1024
	ds_store_b64 v73, v[44:45] offset:1024
	;; [unrolled: 1-line block ×3, first 2 shown]
	v_add_lshl_u32 v42, v200, v196, 3
	v_add_lshl_u32 v43, v203, v193, 3
	ds_store_b64 v40, v[48:49] offset:1024
	ds_store_b64 v41, v[50:51] offset:1024
	v_add_lshl_u32 v44, v206, v190, 3
	v_add_lshl_u32 v45, v209, v187, 3
	;; [unrolled: 1-line block ×6, first 2 shown]
	v_cmp_lt_u32_e32 vcc_lo, v1, v177
	v_add_nc_u32_e32 v38, v104, v76
	ds_store_b64 v42, v[52:53] offset:1024
	ds_store_b64 v43, v[54:55] offset:1024
	;; [unrolled: 1-line block ×8, first 2 shown]
	s_waitcnt lgkmcnt(0)
	s_barrier
	buffer_gl0_inv
	s_and_saveexec_b32 s17, vcc_lo
	s_cbranch_execz .LBB815_1076
; %bb.1061:                             ;   in Loop: Header=BB815_982 Depth=2
	ds_load_b64 v[36:37], v38 offset:1024
	s_waitcnt lgkmcnt(0)
	v_lshrrev_b64 v[50:51], s40, v[36:37]
	v_xor_b32_e32 v37, 0x80000000, v37
	s_delay_alu instid0(VALU_DEP_2) | instskip(NEXT) | instid1(VALU_DEP_1)
	v_and_b32_e32 v2, s42, v50
	v_lshlrev_b32_e32 v2, 2, v2
	ds_load_b32 v2, v2
	s_waitcnt lgkmcnt(0)
	v_add_nc_u32_e32 v2, v2, v1
	s_delay_alu instid0(VALU_DEP_1) | instskip(NEXT) | instid1(VALU_DEP_1)
	v_lshlrev_b64 v[50:51], 3, v[2:3]
	v_add_co_u32 v50, s16, s48, v50
	s_delay_alu instid0(VALU_DEP_1) | instskip(SKIP_3) | instid1(VALU_DEP_1)
	v_add_co_ci_u32_e64 v51, s16, s49, v51, s16
	global_store_b64 v[50:51], v[36:37], off
	s_or_b32 exec_lo, exec_lo, s17
	v_cmp_lt_u32_e64 s16, v77, v177
	s_and_saveexec_b32 s18, s16
	s_cbranch_execnz .LBB815_1077
.LBB815_1062:                           ;   in Loop: Header=BB815_982 Depth=2
	s_or_b32 exec_lo, exec_lo, s18
	v_cmp_lt_u32_e64 s17, v78, v177
	s_delay_alu instid0(VALU_DEP_1)
	s_and_saveexec_b32 s19, s17
	s_cbranch_execz .LBB815_1078
.LBB815_1063:                           ;   in Loop: Header=BB815_982 Depth=2
	ds_load_b64 v[36:37], v110 offset:4096
	s_waitcnt lgkmcnt(0)
	v_lshrrev_b64 v[50:51], s40, v[36:37]
	v_xor_b32_e32 v37, 0x80000000, v37
	s_delay_alu instid0(VALU_DEP_2) | instskip(NEXT) | instid1(VALU_DEP_1)
	v_and_b32_e32 v2, s42, v50
	v_lshlrev_b32_e32 v2, 2, v2
	ds_load_b32 v2, v2
	s_waitcnt lgkmcnt(0)
	v_add_nc_u32_e32 v2, v2, v78
	s_delay_alu instid0(VALU_DEP_1) | instskip(NEXT) | instid1(VALU_DEP_1)
	v_lshlrev_b64 v[50:51], 3, v[2:3]
	v_add_co_u32 v50, s18, s48, v50
	s_delay_alu instid0(VALU_DEP_1) | instskip(SKIP_3) | instid1(VALU_DEP_1)
	v_add_co_ci_u32_e64 v51, s18, s49, v51, s18
	global_store_b64 v[50:51], v[36:37], off
	s_or_b32 exec_lo, exec_lo, s19
	v_cmp_lt_u32_e64 s18, v79, v177
	s_and_saveexec_b32 s20, s18
	s_cbranch_execnz .LBB815_1079
.LBB815_1064:                           ;   in Loop: Header=BB815_982 Depth=2
	s_or_b32 exec_lo, exec_lo, s20
	v_cmp_lt_u32_e64 s19, v83, v177
	s_delay_alu instid0(VALU_DEP_1)
	s_and_saveexec_b32 s21, s19
	s_cbranch_execz .LBB815_1080
.LBB815_1065:                           ;   in Loop: Header=BB815_982 Depth=2
	ds_load_b64 v[36:37], v110 offset:8192
	s_waitcnt lgkmcnt(0)
	v_lshrrev_b64 v[50:51], s40, v[36:37]
	v_xor_b32_e32 v37, 0x80000000, v37
	s_delay_alu instid0(VALU_DEP_2) | instskip(NEXT) | instid1(VALU_DEP_1)
	v_and_b32_e32 v2, s42, v50
	v_lshlrev_b32_e32 v2, 2, v2
	ds_load_b32 v2, v2
	s_waitcnt lgkmcnt(0)
	v_add_nc_u32_e32 v2, v2, v83
	s_delay_alu instid0(VALU_DEP_1) | instskip(NEXT) | instid1(VALU_DEP_1)
	v_lshlrev_b64 v[50:51], 3, v[2:3]
	v_add_co_u32 v50, s20, s48, v50
	s_delay_alu instid0(VALU_DEP_1) | instskip(SKIP_3) | instid1(VALU_DEP_1)
	v_add_co_ci_u32_e64 v51, s20, s49, v51, s20
	global_store_b64 v[50:51], v[36:37], off
	s_or_b32 exec_lo, exec_lo, s21
	v_cmp_lt_u32_e64 s20, v84, v177
	s_and_saveexec_b32 s22, s20
	s_cbranch_execnz .LBB815_1081
.LBB815_1066:                           ;   in Loop: Header=BB815_982 Depth=2
	s_or_b32 exec_lo, exec_lo, s22
	v_cmp_lt_u32_e64 s21, v85, v177
	s_delay_alu instid0(VALU_DEP_1)
	s_and_saveexec_b32 s23, s21
	s_cbranch_execz .LBB815_1082
.LBB815_1067:                           ;   in Loop: Header=BB815_982 Depth=2
	ds_load_b64 v[36:37], v110 offset:12288
	s_waitcnt lgkmcnt(0)
	v_lshrrev_b64 v[50:51], s40, v[36:37]
	v_xor_b32_e32 v37, 0x80000000, v37
	s_delay_alu instid0(VALU_DEP_2) | instskip(NEXT) | instid1(VALU_DEP_1)
	v_and_b32_e32 v2, s42, v50
	v_lshlrev_b32_e32 v2, 2, v2
	ds_load_b32 v2, v2
	s_waitcnt lgkmcnt(0)
	v_add_nc_u32_e32 v2, v2, v85
	s_delay_alu instid0(VALU_DEP_1) | instskip(NEXT) | instid1(VALU_DEP_1)
	v_lshlrev_b64 v[50:51], 3, v[2:3]
	v_add_co_u32 v50, s22, s48, v50
	s_delay_alu instid0(VALU_DEP_1) | instskip(SKIP_3) | instid1(VALU_DEP_1)
	v_add_co_ci_u32_e64 v51, s22, s49, v51, s22
	global_store_b64 v[50:51], v[36:37], off
	s_or_b32 exec_lo, exec_lo, s23
	v_cmp_lt_u32_e64 s22, v86, v177
	s_and_saveexec_b32 s24, s22
	s_cbranch_execnz .LBB815_1083
.LBB815_1068:                           ;   in Loop: Header=BB815_982 Depth=2
	s_or_b32 exec_lo, exec_lo, s24
	v_cmp_lt_u32_e64 s23, v87, v177
	s_delay_alu instid0(VALU_DEP_1)
	s_and_saveexec_b32 s25, s23
	s_cbranch_execz .LBB815_1084
.LBB815_1069:                           ;   in Loop: Header=BB815_982 Depth=2
	ds_load_b64 v[36:37], v110 offset:16384
	s_waitcnt lgkmcnt(0)
	v_lshrrev_b64 v[50:51], s40, v[36:37]
	v_xor_b32_e32 v37, 0x80000000, v37
	s_delay_alu instid0(VALU_DEP_2) | instskip(NEXT) | instid1(VALU_DEP_1)
	v_and_b32_e32 v2, s42, v50
	v_lshlrev_b32_e32 v2, 2, v2
	ds_load_b32 v2, v2
	s_waitcnt lgkmcnt(0)
	v_add_nc_u32_e32 v2, v2, v87
	s_delay_alu instid0(VALU_DEP_1) | instskip(NEXT) | instid1(VALU_DEP_1)
	v_lshlrev_b64 v[50:51], 3, v[2:3]
	v_add_co_u32 v50, s24, s48, v50
	s_delay_alu instid0(VALU_DEP_1) | instskip(SKIP_3) | instid1(VALU_DEP_1)
	v_add_co_ci_u32_e64 v51, s24, s49, v51, s24
	global_store_b64 v[50:51], v[36:37], off
	s_or_b32 exec_lo, exec_lo, s25
	v_cmp_lt_u32_e64 s24, v88, v177
	s_and_saveexec_b32 s26, s24
	s_cbranch_execnz .LBB815_1085
.LBB815_1070:                           ;   in Loop: Header=BB815_982 Depth=2
	s_or_b32 exec_lo, exec_lo, s26
	v_cmp_lt_u32_e64 s25, v89, v177
	s_delay_alu instid0(VALU_DEP_1)
	s_and_saveexec_b32 s27, s25
	s_cbranch_execz .LBB815_1086
.LBB815_1071:                           ;   in Loop: Header=BB815_982 Depth=2
	ds_load_b64 v[36:37], v110 offset:20480
	s_waitcnt lgkmcnt(0)
	v_lshrrev_b64 v[50:51], s40, v[36:37]
	v_xor_b32_e32 v37, 0x80000000, v37
	s_delay_alu instid0(VALU_DEP_2) | instskip(NEXT) | instid1(VALU_DEP_1)
	v_and_b32_e32 v2, s42, v50
	v_lshlrev_b32_e32 v2, 2, v2
	ds_load_b32 v2, v2
	s_waitcnt lgkmcnt(0)
	v_add_nc_u32_e32 v2, v2, v89
	s_delay_alu instid0(VALU_DEP_1) | instskip(NEXT) | instid1(VALU_DEP_1)
	v_lshlrev_b64 v[50:51], 3, v[2:3]
	v_add_co_u32 v50, s26, s48, v50
	s_delay_alu instid0(VALU_DEP_1) | instskip(SKIP_3) | instid1(VALU_DEP_1)
	v_add_co_ci_u32_e64 v51, s26, s49, v51, s26
	global_store_b64 v[50:51], v[36:37], off
	s_or_b32 exec_lo, exec_lo, s27
	v_cmp_lt_u32_e64 s26, v90, v177
	s_and_saveexec_b32 s29, s26
	s_cbranch_execnz .LBB815_1087
.LBB815_1072:                           ;   in Loop: Header=BB815_982 Depth=2
	s_or_b32 exec_lo, exec_lo, s29
	v_cmp_lt_u32_e64 s27, v91, v177
	s_delay_alu instid0(VALU_DEP_1)
	s_and_saveexec_b32 s30, s27
	s_cbranch_execz .LBB815_1088
.LBB815_1073:                           ;   in Loop: Header=BB815_982 Depth=2
	ds_load_b64 v[36:37], v110 offset:24576
	s_waitcnt lgkmcnt(0)
	v_lshrrev_b64 v[50:51], s40, v[36:37]
	v_xor_b32_e32 v37, 0x80000000, v37
	s_delay_alu instid0(VALU_DEP_2) | instskip(NEXT) | instid1(VALU_DEP_1)
	v_and_b32_e32 v2, s42, v50
	v_lshlrev_b32_e32 v2, 2, v2
	ds_load_b32 v2, v2
	s_waitcnt lgkmcnt(0)
	v_add_nc_u32_e32 v2, v2, v91
	s_delay_alu instid0(VALU_DEP_1) | instskip(NEXT) | instid1(VALU_DEP_1)
	v_lshlrev_b64 v[50:51], 3, v[2:3]
	v_add_co_u32 v50, s29, s48, v50
	s_delay_alu instid0(VALU_DEP_1) | instskip(SKIP_3) | instid1(VALU_DEP_1)
	v_add_co_ci_u32_e64 v51, s29, s49, v51, s29
	global_store_b64 v[50:51], v[36:37], off
	s_or_b32 exec_lo, exec_lo, s30
	v_cmp_lt_u32_e64 s29, v92, v177
	s_and_saveexec_b32 s31, s29
	s_cbranch_execnz .LBB815_1089
.LBB815_1074:                           ;   in Loop: Header=BB815_982 Depth=2
	s_or_b32 exec_lo, exec_lo, s31
	v_cmp_lt_u32_e64 s30, v93, v177
	s_delay_alu instid0(VALU_DEP_1)
	s_and_saveexec_b32 s33, s30
	s_cbranch_execz .LBB815_1090
.LBB815_1075:                           ;   in Loop: Header=BB815_982 Depth=2
	ds_load_b64 v[36:37], v110 offset:28672
	s_waitcnt lgkmcnt(0)
	v_lshrrev_b64 v[50:51], s40, v[36:37]
	v_xor_b32_e32 v37, 0x80000000, v37
	s_delay_alu instid0(VALU_DEP_2) | instskip(NEXT) | instid1(VALU_DEP_1)
	v_and_b32_e32 v2, s42, v50
	v_lshlrev_b32_e32 v2, 2, v2
	ds_load_b32 v2, v2
	s_waitcnt lgkmcnt(0)
	v_add_nc_u32_e32 v2, v2, v93
	s_delay_alu instid0(VALU_DEP_1) | instskip(NEXT) | instid1(VALU_DEP_1)
	v_lshlrev_b64 v[50:51], 3, v[2:3]
	v_add_co_u32 v50, s31, s48, v50
	s_delay_alu instid0(VALU_DEP_1) | instskip(SKIP_3) | instid1(VALU_DEP_1)
	v_add_co_ci_u32_e64 v51, s31, s49, v51, s31
	global_store_b64 v[50:51], v[36:37], off
	s_or_b32 exec_lo, exec_lo, s33
	v_cmp_lt_u32_e64 s31, v95, v177
	s_and_saveexec_b32 s51, s31
	s_cbranch_execnz .LBB815_1091
	s_branch .LBB815_1092
.LBB815_1076:                           ;   in Loop: Header=BB815_982 Depth=2
	s_or_b32 exec_lo, exec_lo, s17
	v_cmp_lt_u32_e64 s16, v77, v177
	s_delay_alu instid0(VALU_DEP_1)
	s_and_saveexec_b32 s18, s16
	s_cbranch_execz .LBB815_1062
.LBB815_1077:                           ;   in Loop: Header=BB815_982 Depth=2
	ds_load_b64 v[36:37], v110 offset:2048
	s_waitcnt lgkmcnt(0)
	v_lshrrev_b64 v[50:51], s40, v[36:37]
	v_xor_b32_e32 v37, 0x80000000, v37
	s_delay_alu instid0(VALU_DEP_2) | instskip(NEXT) | instid1(VALU_DEP_1)
	v_and_b32_e32 v2, s42, v50
	v_lshlrev_b32_e32 v2, 2, v2
	ds_load_b32 v2, v2
	s_waitcnt lgkmcnt(0)
	v_add_nc_u32_e32 v2, v2, v77
	s_delay_alu instid0(VALU_DEP_1) | instskip(NEXT) | instid1(VALU_DEP_1)
	v_lshlrev_b64 v[50:51], 3, v[2:3]
	v_add_co_u32 v50, s17, s48, v50
	s_delay_alu instid0(VALU_DEP_1) | instskip(SKIP_3) | instid1(VALU_DEP_1)
	v_add_co_ci_u32_e64 v51, s17, s49, v51, s17
	global_store_b64 v[50:51], v[36:37], off
	s_or_b32 exec_lo, exec_lo, s18
	v_cmp_lt_u32_e64 s17, v78, v177
	s_and_saveexec_b32 s19, s17
	s_cbranch_execnz .LBB815_1063
.LBB815_1078:                           ;   in Loop: Header=BB815_982 Depth=2
	s_or_b32 exec_lo, exec_lo, s19
	v_cmp_lt_u32_e64 s18, v79, v177
	s_delay_alu instid0(VALU_DEP_1)
	s_and_saveexec_b32 s20, s18
	s_cbranch_execz .LBB815_1064
.LBB815_1079:                           ;   in Loop: Header=BB815_982 Depth=2
	ds_load_b64 v[36:37], v110 offset:6144
	s_waitcnt lgkmcnt(0)
	v_lshrrev_b64 v[50:51], s40, v[36:37]
	v_xor_b32_e32 v37, 0x80000000, v37
	s_delay_alu instid0(VALU_DEP_2) | instskip(NEXT) | instid1(VALU_DEP_1)
	v_and_b32_e32 v2, s42, v50
	v_lshlrev_b32_e32 v2, 2, v2
	ds_load_b32 v2, v2
	s_waitcnt lgkmcnt(0)
	v_add_nc_u32_e32 v2, v2, v79
	s_delay_alu instid0(VALU_DEP_1) | instskip(NEXT) | instid1(VALU_DEP_1)
	v_lshlrev_b64 v[50:51], 3, v[2:3]
	v_add_co_u32 v50, s19, s48, v50
	s_delay_alu instid0(VALU_DEP_1) | instskip(SKIP_3) | instid1(VALU_DEP_1)
	v_add_co_ci_u32_e64 v51, s19, s49, v51, s19
	global_store_b64 v[50:51], v[36:37], off
	s_or_b32 exec_lo, exec_lo, s20
	v_cmp_lt_u32_e64 s19, v83, v177
	s_and_saveexec_b32 s21, s19
	s_cbranch_execnz .LBB815_1065
.LBB815_1080:                           ;   in Loop: Header=BB815_982 Depth=2
	s_or_b32 exec_lo, exec_lo, s21
	v_cmp_lt_u32_e64 s20, v84, v177
	s_delay_alu instid0(VALU_DEP_1)
	s_and_saveexec_b32 s22, s20
	s_cbranch_execz .LBB815_1066
.LBB815_1081:                           ;   in Loop: Header=BB815_982 Depth=2
	ds_load_b64 v[36:37], v110 offset:10240
	s_waitcnt lgkmcnt(0)
	v_lshrrev_b64 v[50:51], s40, v[36:37]
	v_xor_b32_e32 v37, 0x80000000, v37
	s_delay_alu instid0(VALU_DEP_2) | instskip(NEXT) | instid1(VALU_DEP_1)
	v_and_b32_e32 v2, s42, v50
	v_lshlrev_b32_e32 v2, 2, v2
	ds_load_b32 v2, v2
	s_waitcnt lgkmcnt(0)
	v_add_nc_u32_e32 v2, v2, v84
	s_delay_alu instid0(VALU_DEP_1) | instskip(NEXT) | instid1(VALU_DEP_1)
	v_lshlrev_b64 v[50:51], 3, v[2:3]
	v_add_co_u32 v50, s21, s48, v50
	s_delay_alu instid0(VALU_DEP_1) | instskip(SKIP_3) | instid1(VALU_DEP_1)
	v_add_co_ci_u32_e64 v51, s21, s49, v51, s21
	global_store_b64 v[50:51], v[36:37], off
	s_or_b32 exec_lo, exec_lo, s22
	v_cmp_lt_u32_e64 s21, v85, v177
	s_and_saveexec_b32 s23, s21
	s_cbranch_execnz .LBB815_1067
.LBB815_1082:                           ;   in Loop: Header=BB815_982 Depth=2
	s_or_b32 exec_lo, exec_lo, s23
	v_cmp_lt_u32_e64 s22, v86, v177
	s_delay_alu instid0(VALU_DEP_1)
	s_and_saveexec_b32 s24, s22
	s_cbranch_execz .LBB815_1068
.LBB815_1083:                           ;   in Loop: Header=BB815_982 Depth=2
	ds_load_b64 v[36:37], v110 offset:14336
	s_waitcnt lgkmcnt(0)
	v_lshrrev_b64 v[50:51], s40, v[36:37]
	v_xor_b32_e32 v37, 0x80000000, v37
	s_delay_alu instid0(VALU_DEP_2) | instskip(NEXT) | instid1(VALU_DEP_1)
	v_and_b32_e32 v2, s42, v50
	v_lshlrev_b32_e32 v2, 2, v2
	ds_load_b32 v2, v2
	s_waitcnt lgkmcnt(0)
	v_add_nc_u32_e32 v2, v2, v86
	s_delay_alu instid0(VALU_DEP_1) | instskip(NEXT) | instid1(VALU_DEP_1)
	v_lshlrev_b64 v[50:51], 3, v[2:3]
	v_add_co_u32 v50, s23, s48, v50
	s_delay_alu instid0(VALU_DEP_1) | instskip(SKIP_3) | instid1(VALU_DEP_1)
	v_add_co_ci_u32_e64 v51, s23, s49, v51, s23
	global_store_b64 v[50:51], v[36:37], off
	s_or_b32 exec_lo, exec_lo, s24
	v_cmp_lt_u32_e64 s23, v87, v177
	s_and_saveexec_b32 s25, s23
	s_cbranch_execnz .LBB815_1069
.LBB815_1084:                           ;   in Loop: Header=BB815_982 Depth=2
	s_or_b32 exec_lo, exec_lo, s25
	v_cmp_lt_u32_e64 s24, v88, v177
	s_delay_alu instid0(VALU_DEP_1)
	s_and_saveexec_b32 s26, s24
	s_cbranch_execz .LBB815_1070
.LBB815_1085:                           ;   in Loop: Header=BB815_982 Depth=2
	ds_load_b64 v[36:37], v110 offset:18432
	s_waitcnt lgkmcnt(0)
	v_lshrrev_b64 v[50:51], s40, v[36:37]
	v_xor_b32_e32 v37, 0x80000000, v37
	s_delay_alu instid0(VALU_DEP_2) | instskip(NEXT) | instid1(VALU_DEP_1)
	v_and_b32_e32 v2, s42, v50
	v_lshlrev_b32_e32 v2, 2, v2
	ds_load_b32 v2, v2
	s_waitcnt lgkmcnt(0)
	v_add_nc_u32_e32 v2, v2, v88
	s_delay_alu instid0(VALU_DEP_1) | instskip(NEXT) | instid1(VALU_DEP_1)
	v_lshlrev_b64 v[50:51], 3, v[2:3]
	v_add_co_u32 v50, s25, s48, v50
	s_delay_alu instid0(VALU_DEP_1) | instskip(SKIP_3) | instid1(VALU_DEP_1)
	v_add_co_ci_u32_e64 v51, s25, s49, v51, s25
	global_store_b64 v[50:51], v[36:37], off
	s_or_b32 exec_lo, exec_lo, s26
	v_cmp_lt_u32_e64 s25, v89, v177
	s_and_saveexec_b32 s27, s25
	s_cbranch_execnz .LBB815_1071
.LBB815_1086:                           ;   in Loop: Header=BB815_982 Depth=2
	s_or_b32 exec_lo, exec_lo, s27
	v_cmp_lt_u32_e64 s26, v90, v177
	s_delay_alu instid0(VALU_DEP_1)
	s_and_saveexec_b32 s29, s26
	s_cbranch_execz .LBB815_1072
.LBB815_1087:                           ;   in Loop: Header=BB815_982 Depth=2
	ds_load_b64 v[36:37], v110 offset:22528
	s_waitcnt lgkmcnt(0)
	v_lshrrev_b64 v[50:51], s40, v[36:37]
	v_xor_b32_e32 v37, 0x80000000, v37
	s_delay_alu instid0(VALU_DEP_2) | instskip(NEXT) | instid1(VALU_DEP_1)
	v_and_b32_e32 v2, s42, v50
	v_lshlrev_b32_e32 v2, 2, v2
	ds_load_b32 v2, v2
	s_waitcnt lgkmcnt(0)
	v_add_nc_u32_e32 v2, v2, v90
	s_delay_alu instid0(VALU_DEP_1) | instskip(NEXT) | instid1(VALU_DEP_1)
	v_lshlrev_b64 v[50:51], 3, v[2:3]
	v_add_co_u32 v50, s27, s48, v50
	s_delay_alu instid0(VALU_DEP_1) | instskip(SKIP_3) | instid1(VALU_DEP_1)
	v_add_co_ci_u32_e64 v51, s27, s49, v51, s27
	global_store_b64 v[50:51], v[36:37], off
	s_or_b32 exec_lo, exec_lo, s29
	v_cmp_lt_u32_e64 s27, v91, v177
	s_and_saveexec_b32 s30, s27
	s_cbranch_execnz .LBB815_1073
.LBB815_1088:                           ;   in Loop: Header=BB815_982 Depth=2
	s_or_b32 exec_lo, exec_lo, s30
	v_cmp_lt_u32_e64 s29, v92, v177
	s_delay_alu instid0(VALU_DEP_1)
	s_and_saveexec_b32 s31, s29
	s_cbranch_execz .LBB815_1074
.LBB815_1089:                           ;   in Loop: Header=BB815_982 Depth=2
	ds_load_b64 v[36:37], v110 offset:26624
	s_waitcnt lgkmcnt(0)
	v_lshrrev_b64 v[50:51], s40, v[36:37]
	v_xor_b32_e32 v37, 0x80000000, v37
	s_delay_alu instid0(VALU_DEP_2) | instskip(NEXT) | instid1(VALU_DEP_1)
	v_and_b32_e32 v2, s42, v50
	v_lshlrev_b32_e32 v2, 2, v2
	ds_load_b32 v2, v2
	s_waitcnt lgkmcnt(0)
	v_add_nc_u32_e32 v2, v2, v92
	s_delay_alu instid0(VALU_DEP_1) | instskip(NEXT) | instid1(VALU_DEP_1)
	v_lshlrev_b64 v[50:51], 3, v[2:3]
	v_add_co_u32 v50, s30, s48, v50
	s_delay_alu instid0(VALU_DEP_1) | instskip(SKIP_3) | instid1(VALU_DEP_1)
	v_add_co_ci_u32_e64 v51, s30, s49, v51, s30
	global_store_b64 v[50:51], v[36:37], off
	s_or_b32 exec_lo, exec_lo, s31
	v_cmp_lt_u32_e64 s30, v93, v177
	s_and_saveexec_b32 s33, s30
	s_cbranch_execnz .LBB815_1075
.LBB815_1090:                           ;   in Loop: Header=BB815_982 Depth=2
	s_or_b32 exec_lo, exec_lo, s33
	v_cmp_lt_u32_e64 s31, v95, v177
	s_delay_alu instid0(VALU_DEP_1)
	s_and_saveexec_b32 s51, s31
	s_cbranch_execz .LBB815_1092
.LBB815_1091:                           ;   in Loop: Header=BB815_982 Depth=2
	ds_load_b64 v[36:37], v110 offset:30720
	s_waitcnt lgkmcnt(0)
	v_lshrrev_b64 v[50:51], s40, v[36:37]
	v_xor_b32_e32 v37, 0x80000000, v37
	s_delay_alu instid0(VALU_DEP_2) | instskip(NEXT) | instid1(VALU_DEP_1)
	v_and_b32_e32 v2, s42, v50
	v_lshlrev_b32_e32 v2, 2, v2
	ds_load_b32 v2, v2
	s_waitcnt lgkmcnt(0)
	v_add_nc_u32_e32 v2, v2, v95
	s_delay_alu instid0(VALU_DEP_1) | instskip(NEXT) | instid1(VALU_DEP_1)
	v_lshlrev_b64 v[50:51], 3, v[2:3]
	v_add_co_u32 v50, s33, s48, v50
	s_delay_alu instid0(VALU_DEP_1)
	v_add_co_ci_u32_e64 v51, s33, s49, v51, s33
	global_store_b64 v[50:51], v[36:37], off
.LBB815_1092:                           ;   in Loop: Header=BB815_982 Depth=2
	s_or_b32 exec_lo, exec_lo, s51
	s_lshl_b64 s[64:65], s[34:35], 3
	s_delay_alu instid0(SALU_CYCLE_1) | instskip(NEXT) | instid1(VALU_DEP_1)
	v_add_co_u32 v36, s33, v139, s64
	v_add_co_ci_u32_e64 v37, s33, s65, v140, s33
	v_cmp_lt_u32_e64 s33, v138, v177
	s_delay_alu instid0(VALU_DEP_1) | instskip(NEXT) | instid1(SALU_CYCLE_1)
	s_and_saveexec_b32 s34, s33
	s_xor_b32 s33, exec_lo, s34
	s_cbranch_execz .LBB815_1124
; %bb.1093:                             ;   in Loop: Header=BB815_982 Depth=2
	global_load_b64 v[34:35], v[36:37], off
	s_or_b32 exec_lo, exec_lo, s33
	s_delay_alu instid0(SALU_CYCLE_1)
	s_mov_b32 s34, exec_lo
	v_cmpx_lt_u32_e64 v141, v177
	s_cbranch_execnz .LBB815_1125
.LBB815_1094:                           ;   in Loop: Header=BB815_982 Depth=2
	s_or_b32 exec_lo, exec_lo, s34
	s_delay_alu instid0(SALU_CYCLE_1)
	s_mov_b32 s34, exec_lo
	v_cmpx_lt_u32_e64 v142, v177
	s_cbranch_execz .LBB815_1126
.LBB815_1095:                           ;   in Loop: Header=BB815_982 Depth=2
	global_load_b64 v[30:31], v[36:37], off offset:512
	s_or_b32 exec_lo, exec_lo, s34
	s_delay_alu instid0(SALU_CYCLE_1)
	s_mov_b32 s34, exec_lo
	v_cmpx_lt_u32_e64 v143, v177
	s_cbranch_execnz .LBB815_1127
.LBB815_1096:                           ;   in Loop: Header=BB815_982 Depth=2
	s_or_b32 exec_lo, exec_lo, s34
	s_delay_alu instid0(SALU_CYCLE_1)
	s_mov_b32 s34, exec_lo
	v_cmpx_lt_u32_e64 v144, v177
	s_cbranch_execz .LBB815_1128
.LBB815_1097:                           ;   in Loop: Header=BB815_982 Depth=2
	global_load_b64 v[26:27], v[36:37], off offset:1024
	s_or_b32 exec_lo, exec_lo, s34
	s_delay_alu instid0(SALU_CYCLE_1)
	s_mov_b32 s34, exec_lo
	v_cmpx_lt_u32_e64 v145, v177
	s_cbranch_execnz .LBB815_1129
.LBB815_1098:                           ;   in Loop: Header=BB815_982 Depth=2
	s_or_b32 exec_lo, exec_lo, s34
	s_delay_alu instid0(SALU_CYCLE_1)
	s_mov_b32 s34, exec_lo
	v_cmpx_lt_u32_e64 v146, v177
	s_cbranch_execz .LBB815_1130
.LBB815_1099:                           ;   in Loop: Header=BB815_982 Depth=2
	global_load_b64 v[22:23], v[36:37], off offset:1536
	s_or_b32 exec_lo, exec_lo, s34
	s_delay_alu instid0(SALU_CYCLE_1)
	s_mov_b32 s34, exec_lo
	v_cmpx_lt_u32_e64 v147, v177
	s_cbranch_execnz .LBB815_1131
.LBB815_1100:                           ;   in Loop: Header=BB815_982 Depth=2
	s_or_b32 exec_lo, exec_lo, s34
	s_delay_alu instid0(SALU_CYCLE_1)
	s_mov_b32 s34, exec_lo
	v_cmpx_lt_u32_e64 v148, v177
	s_cbranch_execz .LBB815_1132
.LBB815_1101:                           ;   in Loop: Header=BB815_982 Depth=2
	global_load_b64 v[18:19], v[36:37], off offset:2048
	s_or_b32 exec_lo, exec_lo, s34
	s_delay_alu instid0(SALU_CYCLE_1)
	s_mov_b32 s34, exec_lo
	v_cmpx_lt_u32_e64 v149, v177
	s_cbranch_execnz .LBB815_1133
.LBB815_1102:                           ;   in Loop: Header=BB815_982 Depth=2
	s_or_b32 exec_lo, exec_lo, s34
	s_delay_alu instid0(SALU_CYCLE_1)
	s_mov_b32 s34, exec_lo
	v_cmpx_lt_u32_e64 v150, v177
	s_cbranch_execz .LBB815_1134
.LBB815_1103:                           ;   in Loop: Header=BB815_982 Depth=2
	global_load_b64 v[14:15], v[36:37], off offset:2560
	s_or_b32 exec_lo, exec_lo, s34
	s_delay_alu instid0(SALU_CYCLE_1)
	s_mov_b32 s34, exec_lo
	v_cmpx_lt_u32_e64 v151, v177
	s_cbranch_execnz .LBB815_1135
.LBB815_1104:                           ;   in Loop: Header=BB815_982 Depth=2
	s_or_b32 exec_lo, exec_lo, s34
	s_delay_alu instid0(SALU_CYCLE_1)
	s_mov_b32 s34, exec_lo
	v_cmpx_lt_u32_e64 v152, v177
	s_cbranch_execz .LBB815_1136
.LBB815_1105:                           ;   in Loop: Header=BB815_982 Depth=2
	global_load_b64 v[10:11], v[36:37], off offset:3072
	s_or_b32 exec_lo, exec_lo, s34
	s_delay_alu instid0(SALU_CYCLE_1)
	s_mov_b32 s34, exec_lo
	v_cmpx_lt_u32_e64 v153, v177
	s_cbranch_execnz .LBB815_1137
.LBB815_1106:                           ;   in Loop: Header=BB815_982 Depth=2
	s_or_b32 exec_lo, exec_lo, s34
	s_delay_alu instid0(SALU_CYCLE_1)
	s_mov_b32 s34, exec_lo
	v_cmpx_lt_u32_e64 v154, v177
	s_cbranch_execz .LBB815_1138
.LBB815_1107:                           ;   in Loop: Header=BB815_982 Depth=2
	global_load_b64 v[6:7], v[36:37], off offset:3584
	s_or_b32 exec_lo, exec_lo, s34
	s_delay_alu instid0(SALU_CYCLE_1)
	s_mov_b32 s34, exec_lo
	v_cmpx_lt_u32_e64 v155, v177
	s_cbranch_execnz .LBB815_1139
.LBB815_1108:                           ;   in Loop: Header=BB815_982 Depth=2
	s_or_b32 exec_lo, exec_lo, s34
	s_and_saveexec_b32 s33, vcc_lo
	s_cbranch_execz .LBB815_1140
.LBB815_1109:                           ;   in Loop: Header=BB815_982 Depth=2
	ds_load_b64 v[36:37], v38 offset:1024
	s_waitcnt lgkmcnt(0)
	v_lshrrev_b64 v[36:37], s40, v[36:37]
	s_delay_alu instid0(VALU_DEP_1)
	v_and_b32_e32 v176, s42, v36
	s_or_b32 exec_lo, exec_lo, s33
	s_and_saveexec_b32 s33, s16
	s_cbranch_execnz .LBB815_1141
.LBB815_1110:                           ;   in Loop: Header=BB815_982 Depth=2
	s_or_b32 exec_lo, exec_lo, s33
	s_and_saveexec_b32 s33, s17
	s_cbranch_execz .LBB815_1142
.LBB815_1111:                           ;   in Loop: Header=BB815_982 Depth=2
	ds_load_b64 v[36:37], v110 offset:4096
	s_waitcnt lgkmcnt(0)
	v_lshrrev_b64 v[36:37], s40, v[36:37]
	s_delay_alu instid0(VALU_DEP_1)
	v_and_b32_e32 v174, s42, v36
	s_or_b32 exec_lo, exec_lo, s33
	s_and_saveexec_b32 s33, s18
	s_cbranch_execnz .LBB815_1143
.LBB815_1112:                           ;   in Loop: Header=BB815_982 Depth=2
	s_or_b32 exec_lo, exec_lo, s33
	s_and_saveexec_b32 s33, s19
	s_cbranch_execz .LBB815_1144
.LBB815_1113:                           ;   in Loop: Header=BB815_982 Depth=2
	ds_load_b64 v[36:37], v110 offset:8192
	s_waitcnt lgkmcnt(0)
	v_lshrrev_b64 v[36:37], s40, v[36:37]
	s_delay_alu instid0(VALU_DEP_1)
	v_and_b32_e32 v172, s42, v36
	s_or_b32 exec_lo, exec_lo, s33
	s_and_saveexec_b32 s33, s20
	s_cbranch_execnz .LBB815_1145
.LBB815_1114:                           ;   in Loop: Header=BB815_982 Depth=2
	s_or_b32 exec_lo, exec_lo, s33
	s_and_saveexec_b32 s33, s21
	s_cbranch_execz .LBB815_1146
.LBB815_1115:                           ;   in Loop: Header=BB815_982 Depth=2
	ds_load_b64 v[36:37], v110 offset:12288
	s_waitcnt lgkmcnt(0)
	v_lshrrev_b64 v[36:37], s40, v[36:37]
	s_delay_alu instid0(VALU_DEP_1)
	v_and_b32_e32 v170, s42, v36
	s_or_b32 exec_lo, exec_lo, s33
	s_and_saveexec_b32 s33, s22
	s_cbranch_execnz .LBB815_1147
.LBB815_1116:                           ;   in Loop: Header=BB815_982 Depth=2
	s_or_b32 exec_lo, exec_lo, s33
	s_and_saveexec_b32 s33, s23
	s_cbranch_execz .LBB815_1148
.LBB815_1117:                           ;   in Loop: Header=BB815_982 Depth=2
	ds_load_b64 v[36:37], v110 offset:16384
	s_waitcnt lgkmcnt(0)
	v_lshrrev_b64 v[36:37], s40, v[36:37]
	s_delay_alu instid0(VALU_DEP_1)
	v_and_b32_e32 v168, s42, v36
	s_or_b32 exec_lo, exec_lo, s33
	s_and_saveexec_b32 s33, s24
	s_cbranch_execnz .LBB815_1149
.LBB815_1118:                           ;   in Loop: Header=BB815_982 Depth=2
	s_or_b32 exec_lo, exec_lo, s33
	s_and_saveexec_b32 s33, s25
	s_cbranch_execz .LBB815_1150
.LBB815_1119:                           ;   in Loop: Header=BB815_982 Depth=2
	ds_load_b64 v[36:37], v110 offset:20480
	s_waitcnt lgkmcnt(0)
	v_lshrrev_b64 v[36:37], s40, v[36:37]
	s_delay_alu instid0(VALU_DEP_1)
	v_and_b32_e32 v166, s42, v36
	s_or_b32 exec_lo, exec_lo, s33
	s_and_saveexec_b32 s33, s26
	s_cbranch_execnz .LBB815_1151
.LBB815_1120:                           ;   in Loop: Header=BB815_982 Depth=2
	s_or_b32 exec_lo, exec_lo, s33
	s_and_saveexec_b32 s33, s27
	s_cbranch_execz .LBB815_1152
.LBB815_1121:                           ;   in Loop: Header=BB815_982 Depth=2
	ds_load_b64 v[36:37], v110 offset:24576
	s_waitcnt lgkmcnt(0)
	v_lshrrev_b64 v[36:37], s40, v[36:37]
	s_delay_alu instid0(VALU_DEP_1)
	v_and_b32_e32 v164, s42, v36
	s_or_b32 exec_lo, exec_lo, s33
	s_and_saveexec_b32 s33, s29
	s_cbranch_execnz .LBB815_1153
.LBB815_1122:                           ;   in Loop: Header=BB815_982 Depth=2
	s_or_b32 exec_lo, exec_lo, s33
	s_and_saveexec_b32 s33, s30
	s_cbranch_execz .LBB815_1154
.LBB815_1123:                           ;   in Loop: Header=BB815_982 Depth=2
	ds_load_b64 v[36:37], v110 offset:28672
	s_waitcnt lgkmcnt(0)
	v_lshrrev_b64 v[36:37], s40, v[36:37]
	s_delay_alu instid0(VALU_DEP_1)
	v_and_b32_e32 v162, s42, v36
	s_or_b32 exec_lo, exec_lo, s33
	s_and_saveexec_b32 s33, s31
	s_cbranch_execnz .LBB815_1155
	s_branch .LBB815_1156
.LBB815_1124:                           ;   in Loop: Header=BB815_982 Depth=2
	s_or_b32 exec_lo, exec_lo, s33
	s_delay_alu instid0(SALU_CYCLE_1)
	s_mov_b32 s34, exec_lo
	v_cmpx_lt_u32_e64 v141, v177
	s_cbranch_execz .LBB815_1094
.LBB815_1125:                           ;   in Loop: Header=BB815_982 Depth=2
	global_load_b64 v[32:33], v[36:37], off offset:256
	s_or_b32 exec_lo, exec_lo, s34
	s_delay_alu instid0(SALU_CYCLE_1)
	s_mov_b32 s34, exec_lo
	v_cmpx_lt_u32_e64 v142, v177
	s_cbranch_execnz .LBB815_1095
.LBB815_1126:                           ;   in Loop: Header=BB815_982 Depth=2
	s_or_b32 exec_lo, exec_lo, s34
	s_delay_alu instid0(SALU_CYCLE_1)
	s_mov_b32 s34, exec_lo
	v_cmpx_lt_u32_e64 v143, v177
	s_cbranch_execz .LBB815_1096
.LBB815_1127:                           ;   in Loop: Header=BB815_982 Depth=2
	global_load_b64 v[28:29], v[36:37], off offset:768
	s_or_b32 exec_lo, exec_lo, s34
	s_delay_alu instid0(SALU_CYCLE_1)
	s_mov_b32 s34, exec_lo
	v_cmpx_lt_u32_e64 v144, v177
	s_cbranch_execnz .LBB815_1097
.LBB815_1128:                           ;   in Loop: Header=BB815_982 Depth=2
	s_or_b32 exec_lo, exec_lo, s34
	s_delay_alu instid0(SALU_CYCLE_1)
	s_mov_b32 s34, exec_lo
	v_cmpx_lt_u32_e64 v145, v177
	s_cbranch_execz .LBB815_1098
.LBB815_1129:                           ;   in Loop: Header=BB815_982 Depth=2
	global_load_b64 v[24:25], v[36:37], off offset:1280
	s_or_b32 exec_lo, exec_lo, s34
	s_delay_alu instid0(SALU_CYCLE_1)
	s_mov_b32 s34, exec_lo
	v_cmpx_lt_u32_e64 v146, v177
	s_cbranch_execnz .LBB815_1099
.LBB815_1130:                           ;   in Loop: Header=BB815_982 Depth=2
	s_or_b32 exec_lo, exec_lo, s34
	s_delay_alu instid0(SALU_CYCLE_1)
	s_mov_b32 s34, exec_lo
	v_cmpx_lt_u32_e64 v147, v177
	s_cbranch_execz .LBB815_1100
.LBB815_1131:                           ;   in Loop: Header=BB815_982 Depth=2
	global_load_b64 v[20:21], v[36:37], off offset:1792
	s_or_b32 exec_lo, exec_lo, s34
	s_delay_alu instid0(SALU_CYCLE_1)
	s_mov_b32 s34, exec_lo
	v_cmpx_lt_u32_e64 v148, v177
	s_cbranch_execnz .LBB815_1101
.LBB815_1132:                           ;   in Loop: Header=BB815_982 Depth=2
	s_or_b32 exec_lo, exec_lo, s34
	s_delay_alu instid0(SALU_CYCLE_1)
	s_mov_b32 s34, exec_lo
	v_cmpx_lt_u32_e64 v149, v177
	s_cbranch_execz .LBB815_1102
.LBB815_1133:                           ;   in Loop: Header=BB815_982 Depth=2
	global_load_b64 v[16:17], v[36:37], off offset:2304
	s_or_b32 exec_lo, exec_lo, s34
	s_delay_alu instid0(SALU_CYCLE_1)
	s_mov_b32 s34, exec_lo
	v_cmpx_lt_u32_e64 v150, v177
	s_cbranch_execnz .LBB815_1103
.LBB815_1134:                           ;   in Loop: Header=BB815_982 Depth=2
	s_or_b32 exec_lo, exec_lo, s34
	s_delay_alu instid0(SALU_CYCLE_1)
	s_mov_b32 s34, exec_lo
	v_cmpx_lt_u32_e64 v151, v177
	s_cbranch_execz .LBB815_1104
.LBB815_1135:                           ;   in Loop: Header=BB815_982 Depth=2
	global_load_b64 v[12:13], v[36:37], off offset:2816
	s_or_b32 exec_lo, exec_lo, s34
	s_delay_alu instid0(SALU_CYCLE_1)
	s_mov_b32 s34, exec_lo
	v_cmpx_lt_u32_e64 v152, v177
	s_cbranch_execnz .LBB815_1105
.LBB815_1136:                           ;   in Loop: Header=BB815_982 Depth=2
	s_or_b32 exec_lo, exec_lo, s34
	s_delay_alu instid0(SALU_CYCLE_1)
	s_mov_b32 s34, exec_lo
	v_cmpx_lt_u32_e64 v153, v177
	s_cbranch_execz .LBB815_1106
.LBB815_1137:                           ;   in Loop: Header=BB815_982 Depth=2
	global_load_b64 v[8:9], v[36:37], off offset:3328
	s_or_b32 exec_lo, exec_lo, s34
	s_delay_alu instid0(SALU_CYCLE_1)
	s_mov_b32 s34, exec_lo
	v_cmpx_lt_u32_e64 v154, v177
	s_cbranch_execnz .LBB815_1107
.LBB815_1138:                           ;   in Loop: Header=BB815_982 Depth=2
	s_or_b32 exec_lo, exec_lo, s34
	s_delay_alu instid0(SALU_CYCLE_1)
	s_mov_b32 s34, exec_lo
	v_cmpx_lt_u32_e64 v155, v177
	s_cbranch_execz .LBB815_1108
.LBB815_1139:                           ;   in Loop: Header=BB815_982 Depth=2
	global_load_b64 v[4:5], v[36:37], off offset:3840
	s_or_b32 exec_lo, exec_lo, s34
	s_and_saveexec_b32 s33, vcc_lo
	s_cbranch_execnz .LBB815_1109
.LBB815_1140:                           ;   in Loop: Header=BB815_982 Depth=2
	s_or_b32 exec_lo, exec_lo, s33
	s_and_saveexec_b32 s33, s16
	s_cbranch_execz .LBB815_1110
.LBB815_1141:                           ;   in Loop: Header=BB815_982 Depth=2
	ds_load_b64 v[36:37], v110 offset:2048
	s_waitcnt lgkmcnt(0)
	v_lshrrev_b64 v[36:37], s40, v[36:37]
	s_delay_alu instid0(VALU_DEP_1)
	v_and_b32_e32 v175, s42, v36
	s_or_b32 exec_lo, exec_lo, s33
	s_and_saveexec_b32 s33, s17
	s_cbranch_execnz .LBB815_1111
.LBB815_1142:                           ;   in Loop: Header=BB815_982 Depth=2
	s_or_b32 exec_lo, exec_lo, s33
	s_and_saveexec_b32 s33, s18
	s_cbranch_execz .LBB815_1112
.LBB815_1143:                           ;   in Loop: Header=BB815_982 Depth=2
	ds_load_b64 v[36:37], v110 offset:6144
	s_waitcnt lgkmcnt(0)
	v_lshrrev_b64 v[36:37], s40, v[36:37]
	s_delay_alu instid0(VALU_DEP_1)
	v_and_b32_e32 v173, s42, v36
	s_or_b32 exec_lo, exec_lo, s33
	s_and_saveexec_b32 s33, s19
	s_cbranch_execnz .LBB815_1113
.LBB815_1144:                           ;   in Loop: Header=BB815_982 Depth=2
	s_or_b32 exec_lo, exec_lo, s33
	s_and_saveexec_b32 s33, s20
	s_cbranch_execz .LBB815_1114
.LBB815_1145:                           ;   in Loop: Header=BB815_982 Depth=2
	ds_load_b64 v[36:37], v110 offset:10240
	s_waitcnt lgkmcnt(0)
	v_lshrrev_b64 v[36:37], s40, v[36:37]
	s_delay_alu instid0(VALU_DEP_1)
	v_and_b32_e32 v171, s42, v36
	s_or_b32 exec_lo, exec_lo, s33
	s_and_saveexec_b32 s33, s21
	s_cbranch_execnz .LBB815_1115
.LBB815_1146:                           ;   in Loop: Header=BB815_982 Depth=2
	s_or_b32 exec_lo, exec_lo, s33
	s_and_saveexec_b32 s33, s22
	s_cbranch_execz .LBB815_1116
.LBB815_1147:                           ;   in Loop: Header=BB815_982 Depth=2
	ds_load_b64 v[36:37], v110 offset:14336
	s_waitcnt lgkmcnt(0)
	v_lshrrev_b64 v[36:37], s40, v[36:37]
	s_delay_alu instid0(VALU_DEP_1)
	v_and_b32_e32 v169, s42, v36
	s_or_b32 exec_lo, exec_lo, s33
	s_and_saveexec_b32 s33, s23
	s_cbranch_execnz .LBB815_1117
.LBB815_1148:                           ;   in Loop: Header=BB815_982 Depth=2
	s_or_b32 exec_lo, exec_lo, s33
	s_and_saveexec_b32 s33, s24
	s_cbranch_execz .LBB815_1118
.LBB815_1149:                           ;   in Loop: Header=BB815_982 Depth=2
	ds_load_b64 v[36:37], v110 offset:18432
	s_waitcnt lgkmcnt(0)
	v_lshrrev_b64 v[36:37], s40, v[36:37]
	s_delay_alu instid0(VALU_DEP_1)
	v_and_b32_e32 v167, s42, v36
	s_or_b32 exec_lo, exec_lo, s33
	s_and_saveexec_b32 s33, s25
	s_cbranch_execnz .LBB815_1119
.LBB815_1150:                           ;   in Loop: Header=BB815_982 Depth=2
	s_or_b32 exec_lo, exec_lo, s33
	s_and_saveexec_b32 s33, s26
	s_cbranch_execz .LBB815_1120
.LBB815_1151:                           ;   in Loop: Header=BB815_982 Depth=2
	ds_load_b64 v[36:37], v110 offset:22528
	s_waitcnt lgkmcnt(0)
	v_lshrrev_b64 v[36:37], s40, v[36:37]
	s_delay_alu instid0(VALU_DEP_1)
	v_and_b32_e32 v165, s42, v36
	s_or_b32 exec_lo, exec_lo, s33
	s_and_saveexec_b32 s33, s27
	s_cbranch_execnz .LBB815_1121
.LBB815_1152:                           ;   in Loop: Header=BB815_982 Depth=2
	s_or_b32 exec_lo, exec_lo, s33
	s_and_saveexec_b32 s33, s29
	s_cbranch_execz .LBB815_1122
.LBB815_1153:                           ;   in Loop: Header=BB815_982 Depth=2
	ds_load_b64 v[36:37], v110 offset:26624
	s_waitcnt lgkmcnt(0)
	v_lshrrev_b64 v[36:37], s40, v[36:37]
	s_delay_alu instid0(VALU_DEP_1)
	v_and_b32_e32 v163, s42, v36
	s_or_b32 exec_lo, exec_lo, s33
	s_and_saveexec_b32 s33, s30
	s_cbranch_execnz .LBB815_1123
.LBB815_1154:                           ;   in Loop: Header=BB815_982 Depth=2
	s_or_b32 exec_lo, exec_lo, s33
	s_and_saveexec_b32 s33, s31
	s_cbranch_execz .LBB815_1156
.LBB815_1155:                           ;   in Loop: Header=BB815_982 Depth=2
	ds_load_b64 v[36:37], v110 offset:30720
	s_waitcnt lgkmcnt(0)
	v_lshrrev_b64 v[36:37], s40, v[36:37]
	s_delay_alu instid0(VALU_DEP_1)
	v_and_b32_e32 v161, s42, v36
.LBB815_1156:                           ;   in Loop: Header=BB815_982 Depth=2
	s_or_b32 exec_lo, exec_lo, s33
	v_add_nc_u32_e32 v2, 0x400, v69
	v_add_nc_u32_e32 v36, 0x400, v70
	;; [unrolled: 1-line block ×16, first 2 shown]
	s_waitcnt vmcnt(0)
	s_waitcnt_vscnt null, 0x0
	s_barrier
	buffer_gl0_inv
	ds_store_b64 v2, v[34:35]
	ds_store_b64 v36, v[32:33]
	;; [unrolled: 1-line block ×16, first 2 shown]
	s_waitcnt lgkmcnt(0)
	s_barrier
	buffer_gl0_inv
	s_and_saveexec_b32 s33, vcc_lo
	s_cbranch_execz .LBB815_1172
; %bb.1157:                             ;   in Loop: Header=BB815_982 Depth=2
	v_lshlrev_b32_e32 v2, 2, v176
	ds_load_b32 v2, v2
	ds_load_b64 v[36:37], v38 offset:1024
	s_waitcnt lgkmcnt(1)
	v_add_nc_u32_e32 v2, v2, v1
	s_delay_alu instid0(VALU_DEP_1) | instskip(NEXT) | instid1(VALU_DEP_1)
	v_lshlrev_b64 v[38:39], 3, v[2:3]
	v_add_co_u32 v38, vcc_lo, s54, v38
	s_delay_alu instid0(VALU_DEP_2)
	v_add_co_ci_u32_e32 v39, vcc_lo, s55, v39, vcc_lo
	s_waitcnt lgkmcnt(0)
	global_store_b64 v[38:39], v[36:37], off
	s_or_b32 exec_lo, exec_lo, s33
	s_and_saveexec_b32 s33, s16
	s_cbranch_execnz .LBB815_1173
.LBB815_1158:                           ;   in Loop: Header=BB815_982 Depth=2
	s_or_b32 exec_lo, exec_lo, s33
	s_and_saveexec_b32 s16, s17
	s_cbranch_execz .LBB815_1174
.LBB815_1159:                           ;   in Loop: Header=BB815_982 Depth=2
	v_lshlrev_b32_e32 v2, 2, v174
	ds_load_b32 v2, v2
	ds_load_b64 v[36:37], v110 offset:4096
	s_waitcnt lgkmcnt(1)
	v_add_nc_u32_e32 v2, v2, v78
	s_delay_alu instid0(VALU_DEP_1) | instskip(NEXT) | instid1(VALU_DEP_1)
	v_lshlrev_b64 v[38:39], 3, v[2:3]
	v_add_co_u32 v38, vcc_lo, s54, v38
	s_delay_alu instid0(VALU_DEP_2)
	v_add_co_ci_u32_e32 v39, vcc_lo, s55, v39, vcc_lo
	s_waitcnt lgkmcnt(0)
	global_store_b64 v[38:39], v[36:37], off
	s_or_b32 exec_lo, exec_lo, s16
	s_and_saveexec_b32 s16, s18
	s_cbranch_execnz .LBB815_1175
.LBB815_1160:                           ;   in Loop: Header=BB815_982 Depth=2
	s_or_b32 exec_lo, exec_lo, s16
	s_and_saveexec_b32 s16, s19
	s_cbranch_execz .LBB815_1176
.LBB815_1161:                           ;   in Loop: Header=BB815_982 Depth=2
	v_lshlrev_b32_e32 v2, 2, v172
	ds_load_b32 v2, v2
	ds_load_b64 v[36:37], v110 offset:8192
	s_waitcnt lgkmcnt(1)
	v_add_nc_u32_e32 v2, v2, v83
	s_delay_alu instid0(VALU_DEP_1) | instskip(NEXT) | instid1(VALU_DEP_1)
	v_lshlrev_b64 v[38:39], 3, v[2:3]
	v_add_co_u32 v38, vcc_lo, s54, v38
	s_delay_alu instid0(VALU_DEP_2)
	v_add_co_ci_u32_e32 v39, vcc_lo, s55, v39, vcc_lo
	s_waitcnt lgkmcnt(0)
	global_store_b64 v[38:39], v[36:37], off
	s_or_b32 exec_lo, exec_lo, s16
	s_and_saveexec_b32 s16, s20
	s_cbranch_execnz .LBB815_1177
.LBB815_1162:                           ;   in Loop: Header=BB815_982 Depth=2
	s_or_b32 exec_lo, exec_lo, s16
	s_and_saveexec_b32 s16, s21
	s_cbranch_execz .LBB815_1178
.LBB815_1163:                           ;   in Loop: Header=BB815_982 Depth=2
	v_lshlrev_b32_e32 v2, 2, v170
	ds_load_b32 v2, v2
	ds_load_b64 v[36:37], v110 offset:12288
	s_waitcnt lgkmcnt(1)
	v_add_nc_u32_e32 v2, v2, v85
	s_delay_alu instid0(VALU_DEP_1) | instskip(NEXT) | instid1(VALU_DEP_1)
	v_lshlrev_b64 v[38:39], 3, v[2:3]
	v_add_co_u32 v38, vcc_lo, s54, v38
	s_delay_alu instid0(VALU_DEP_2)
	v_add_co_ci_u32_e32 v39, vcc_lo, s55, v39, vcc_lo
	s_waitcnt lgkmcnt(0)
	global_store_b64 v[38:39], v[36:37], off
	s_or_b32 exec_lo, exec_lo, s16
	s_and_saveexec_b32 s16, s22
	s_cbranch_execnz .LBB815_1179
.LBB815_1164:                           ;   in Loop: Header=BB815_982 Depth=2
	s_or_b32 exec_lo, exec_lo, s16
	s_and_saveexec_b32 s16, s23
	s_cbranch_execz .LBB815_1180
.LBB815_1165:                           ;   in Loop: Header=BB815_982 Depth=2
	v_lshlrev_b32_e32 v2, 2, v168
	ds_load_b32 v2, v2
	ds_load_b64 v[36:37], v110 offset:16384
	s_waitcnt lgkmcnt(1)
	v_add_nc_u32_e32 v2, v2, v87
	s_delay_alu instid0(VALU_DEP_1) | instskip(NEXT) | instid1(VALU_DEP_1)
	v_lshlrev_b64 v[38:39], 3, v[2:3]
	v_add_co_u32 v38, vcc_lo, s54, v38
	s_delay_alu instid0(VALU_DEP_2)
	v_add_co_ci_u32_e32 v39, vcc_lo, s55, v39, vcc_lo
	s_waitcnt lgkmcnt(0)
	global_store_b64 v[38:39], v[36:37], off
	s_or_b32 exec_lo, exec_lo, s16
	s_and_saveexec_b32 s16, s24
	s_cbranch_execnz .LBB815_1181
.LBB815_1166:                           ;   in Loop: Header=BB815_982 Depth=2
	s_or_b32 exec_lo, exec_lo, s16
	s_and_saveexec_b32 s16, s25
	s_cbranch_execz .LBB815_1182
.LBB815_1167:                           ;   in Loop: Header=BB815_982 Depth=2
	v_lshlrev_b32_e32 v2, 2, v166
	ds_load_b32 v2, v2
	ds_load_b64 v[36:37], v110 offset:20480
	s_waitcnt lgkmcnt(1)
	v_add_nc_u32_e32 v2, v2, v89
	s_delay_alu instid0(VALU_DEP_1) | instskip(NEXT) | instid1(VALU_DEP_1)
	v_lshlrev_b64 v[38:39], 3, v[2:3]
	v_add_co_u32 v38, vcc_lo, s54, v38
	s_delay_alu instid0(VALU_DEP_2)
	v_add_co_ci_u32_e32 v39, vcc_lo, s55, v39, vcc_lo
	s_waitcnt lgkmcnt(0)
	global_store_b64 v[38:39], v[36:37], off
	s_or_b32 exec_lo, exec_lo, s16
	s_and_saveexec_b32 s16, s26
	s_cbranch_execnz .LBB815_1183
.LBB815_1168:                           ;   in Loop: Header=BB815_982 Depth=2
	s_or_b32 exec_lo, exec_lo, s16
	s_and_saveexec_b32 s16, s27
	s_cbranch_execz .LBB815_1184
.LBB815_1169:                           ;   in Loop: Header=BB815_982 Depth=2
	v_lshlrev_b32_e32 v2, 2, v164
	ds_load_b32 v2, v2
	ds_load_b64 v[36:37], v110 offset:24576
	s_waitcnt lgkmcnt(1)
	v_add_nc_u32_e32 v2, v2, v91
	s_delay_alu instid0(VALU_DEP_1) | instskip(NEXT) | instid1(VALU_DEP_1)
	v_lshlrev_b64 v[38:39], 3, v[2:3]
	v_add_co_u32 v38, vcc_lo, s54, v38
	s_delay_alu instid0(VALU_DEP_2)
	v_add_co_ci_u32_e32 v39, vcc_lo, s55, v39, vcc_lo
	s_waitcnt lgkmcnt(0)
	global_store_b64 v[38:39], v[36:37], off
	s_or_b32 exec_lo, exec_lo, s16
	s_and_saveexec_b32 s16, s29
	s_cbranch_execnz .LBB815_1185
.LBB815_1170:                           ;   in Loop: Header=BB815_982 Depth=2
	s_or_b32 exec_lo, exec_lo, s16
	s_and_saveexec_b32 s16, s30
	s_cbranch_execz .LBB815_1186
.LBB815_1171:                           ;   in Loop: Header=BB815_982 Depth=2
	v_lshlrev_b32_e32 v2, 2, v162
	ds_load_b32 v2, v2
	ds_load_b64 v[36:37], v110 offset:28672
	s_waitcnt lgkmcnt(1)
	v_add_nc_u32_e32 v2, v2, v93
	s_delay_alu instid0(VALU_DEP_1) | instskip(NEXT) | instid1(VALU_DEP_1)
	v_lshlrev_b64 v[38:39], 3, v[2:3]
	v_add_co_u32 v38, vcc_lo, s54, v38
	s_delay_alu instid0(VALU_DEP_2)
	v_add_co_ci_u32_e32 v39, vcc_lo, s55, v39, vcc_lo
	s_waitcnt lgkmcnt(0)
	global_store_b64 v[38:39], v[36:37], off
	s_or_b32 exec_lo, exec_lo, s16
	s_and_saveexec_b32 s16, s31
	s_cbranch_execnz .LBB815_1187
	s_branch .LBB815_1188
.LBB815_1172:                           ;   in Loop: Header=BB815_982 Depth=2
	s_or_b32 exec_lo, exec_lo, s33
	s_and_saveexec_b32 s33, s16
	s_cbranch_execz .LBB815_1158
.LBB815_1173:                           ;   in Loop: Header=BB815_982 Depth=2
	v_lshlrev_b32_e32 v2, 2, v175
	ds_load_b32 v2, v2
	ds_load_b64 v[36:37], v110 offset:2048
	s_waitcnt lgkmcnt(1)
	v_add_nc_u32_e32 v2, v2, v77
	s_delay_alu instid0(VALU_DEP_1) | instskip(NEXT) | instid1(VALU_DEP_1)
	v_lshlrev_b64 v[38:39], 3, v[2:3]
	v_add_co_u32 v38, vcc_lo, s54, v38
	s_delay_alu instid0(VALU_DEP_2)
	v_add_co_ci_u32_e32 v39, vcc_lo, s55, v39, vcc_lo
	s_waitcnt lgkmcnt(0)
	global_store_b64 v[38:39], v[36:37], off
	s_or_b32 exec_lo, exec_lo, s33
	s_and_saveexec_b32 s16, s17
	s_cbranch_execnz .LBB815_1159
.LBB815_1174:                           ;   in Loop: Header=BB815_982 Depth=2
	s_or_b32 exec_lo, exec_lo, s16
	s_and_saveexec_b32 s16, s18
	s_cbranch_execz .LBB815_1160
.LBB815_1175:                           ;   in Loop: Header=BB815_982 Depth=2
	v_lshlrev_b32_e32 v2, 2, v173
	ds_load_b32 v2, v2
	ds_load_b64 v[36:37], v110 offset:6144
	s_waitcnt lgkmcnt(1)
	v_add_nc_u32_e32 v2, v2, v79
	s_delay_alu instid0(VALU_DEP_1) | instskip(NEXT) | instid1(VALU_DEP_1)
	v_lshlrev_b64 v[38:39], 3, v[2:3]
	v_add_co_u32 v38, vcc_lo, s54, v38
	s_delay_alu instid0(VALU_DEP_2)
	v_add_co_ci_u32_e32 v39, vcc_lo, s55, v39, vcc_lo
	s_waitcnt lgkmcnt(0)
	global_store_b64 v[38:39], v[36:37], off
	s_or_b32 exec_lo, exec_lo, s16
	s_and_saveexec_b32 s16, s19
	s_cbranch_execnz .LBB815_1161
.LBB815_1176:                           ;   in Loop: Header=BB815_982 Depth=2
	s_or_b32 exec_lo, exec_lo, s16
	s_and_saveexec_b32 s16, s20
	s_cbranch_execz .LBB815_1162
.LBB815_1177:                           ;   in Loop: Header=BB815_982 Depth=2
	v_lshlrev_b32_e32 v2, 2, v171
	ds_load_b32 v2, v2
	ds_load_b64 v[36:37], v110 offset:10240
	s_waitcnt lgkmcnt(1)
	v_add_nc_u32_e32 v2, v2, v84
	s_delay_alu instid0(VALU_DEP_1) | instskip(NEXT) | instid1(VALU_DEP_1)
	v_lshlrev_b64 v[38:39], 3, v[2:3]
	v_add_co_u32 v38, vcc_lo, s54, v38
	s_delay_alu instid0(VALU_DEP_2)
	v_add_co_ci_u32_e32 v39, vcc_lo, s55, v39, vcc_lo
	s_waitcnt lgkmcnt(0)
	global_store_b64 v[38:39], v[36:37], off
	s_or_b32 exec_lo, exec_lo, s16
	s_and_saveexec_b32 s16, s21
	s_cbranch_execnz .LBB815_1163
.LBB815_1178:                           ;   in Loop: Header=BB815_982 Depth=2
	s_or_b32 exec_lo, exec_lo, s16
	s_and_saveexec_b32 s16, s22
	s_cbranch_execz .LBB815_1164
.LBB815_1179:                           ;   in Loop: Header=BB815_982 Depth=2
	v_lshlrev_b32_e32 v2, 2, v169
	ds_load_b32 v2, v2
	ds_load_b64 v[36:37], v110 offset:14336
	s_waitcnt lgkmcnt(1)
	v_add_nc_u32_e32 v2, v2, v86
	s_delay_alu instid0(VALU_DEP_1) | instskip(NEXT) | instid1(VALU_DEP_1)
	v_lshlrev_b64 v[38:39], 3, v[2:3]
	v_add_co_u32 v38, vcc_lo, s54, v38
	s_delay_alu instid0(VALU_DEP_2)
	v_add_co_ci_u32_e32 v39, vcc_lo, s55, v39, vcc_lo
	s_waitcnt lgkmcnt(0)
	global_store_b64 v[38:39], v[36:37], off
	s_or_b32 exec_lo, exec_lo, s16
	s_and_saveexec_b32 s16, s23
	s_cbranch_execnz .LBB815_1165
.LBB815_1180:                           ;   in Loop: Header=BB815_982 Depth=2
	s_or_b32 exec_lo, exec_lo, s16
	s_and_saveexec_b32 s16, s24
	s_cbranch_execz .LBB815_1166
.LBB815_1181:                           ;   in Loop: Header=BB815_982 Depth=2
	v_lshlrev_b32_e32 v2, 2, v167
	ds_load_b32 v2, v2
	ds_load_b64 v[36:37], v110 offset:18432
	s_waitcnt lgkmcnt(1)
	v_add_nc_u32_e32 v2, v2, v88
	s_delay_alu instid0(VALU_DEP_1) | instskip(NEXT) | instid1(VALU_DEP_1)
	v_lshlrev_b64 v[38:39], 3, v[2:3]
	v_add_co_u32 v38, vcc_lo, s54, v38
	s_delay_alu instid0(VALU_DEP_2)
	v_add_co_ci_u32_e32 v39, vcc_lo, s55, v39, vcc_lo
	s_waitcnt lgkmcnt(0)
	global_store_b64 v[38:39], v[36:37], off
	s_or_b32 exec_lo, exec_lo, s16
	s_and_saveexec_b32 s16, s25
	s_cbranch_execnz .LBB815_1167
.LBB815_1182:                           ;   in Loop: Header=BB815_982 Depth=2
	s_or_b32 exec_lo, exec_lo, s16
	s_and_saveexec_b32 s16, s26
	s_cbranch_execz .LBB815_1168
.LBB815_1183:                           ;   in Loop: Header=BB815_982 Depth=2
	v_lshlrev_b32_e32 v2, 2, v165
	ds_load_b32 v2, v2
	ds_load_b64 v[36:37], v110 offset:22528
	s_waitcnt lgkmcnt(1)
	v_add_nc_u32_e32 v2, v2, v90
	s_delay_alu instid0(VALU_DEP_1) | instskip(NEXT) | instid1(VALU_DEP_1)
	v_lshlrev_b64 v[38:39], 3, v[2:3]
	v_add_co_u32 v38, vcc_lo, s54, v38
	s_delay_alu instid0(VALU_DEP_2)
	v_add_co_ci_u32_e32 v39, vcc_lo, s55, v39, vcc_lo
	s_waitcnt lgkmcnt(0)
	global_store_b64 v[38:39], v[36:37], off
	s_or_b32 exec_lo, exec_lo, s16
	s_and_saveexec_b32 s16, s27
	s_cbranch_execnz .LBB815_1169
.LBB815_1184:                           ;   in Loop: Header=BB815_982 Depth=2
	s_or_b32 exec_lo, exec_lo, s16
	s_and_saveexec_b32 s16, s29
	s_cbranch_execz .LBB815_1170
.LBB815_1185:                           ;   in Loop: Header=BB815_982 Depth=2
	v_lshlrev_b32_e32 v2, 2, v163
	ds_load_b32 v2, v2
	ds_load_b64 v[36:37], v110 offset:26624
	s_waitcnt lgkmcnt(1)
	v_add_nc_u32_e32 v2, v2, v92
	s_delay_alu instid0(VALU_DEP_1) | instskip(NEXT) | instid1(VALU_DEP_1)
	v_lshlrev_b64 v[38:39], 3, v[2:3]
	v_add_co_u32 v38, vcc_lo, s54, v38
	s_delay_alu instid0(VALU_DEP_2)
	v_add_co_ci_u32_e32 v39, vcc_lo, s55, v39, vcc_lo
	s_waitcnt lgkmcnt(0)
	global_store_b64 v[38:39], v[36:37], off
	s_or_b32 exec_lo, exec_lo, s16
	s_and_saveexec_b32 s16, s30
	s_cbranch_execnz .LBB815_1171
.LBB815_1186:                           ;   in Loop: Header=BB815_982 Depth=2
	s_or_b32 exec_lo, exec_lo, s16
	s_and_saveexec_b32 s16, s31
	s_cbranch_execz .LBB815_1188
.LBB815_1187:                           ;   in Loop: Header=BB815_982 Depth=2
	v_lshlrev_b32_e32 v2, 2, v161
	ds_load_b32 v2, v2
	ds_load_b64 v[36:37], v110 offset:30720
	s_waitcnt lgkmcnt(1)
	v_add_nc_u32_e32 v2, v2, v95
	s_delay_alu instid0(VALU_DEP_1) | instskip(NEXT) | instid1(VALU_DEP_1)
	v_lshlrev_b64 v[38:39], 3, v[2:3]
	v_add_co_u32 v38, vcc_lo, s54, v38
	s_delay_alu instid0(VALU_DEP_2)
	v_add_co_ci_u32_e32 v39, vcc_lo, s55, v39, vcc_lo
	s_waitcnt lgkmcnt(0)
	global_store_b64 v[38:39], v[36:37], off
.LBB815_1188:                           ;   in Loop: Header=BB815_982 Depth=2
	s_or_b32 exec_lo, exec_lo, s16
	s_waitcnt_vscnt null, 0x0
	s_barrier
	buffer_gl0_inv
	s_and_saveexec_b32 s16, s2
	s_cbranch_execz .LBB815_981
; %bb.1189:                             ;   in Loop: Header=BB815_982 Depth=2
	ds_load_b32 v2, v76
	s_waitcnt lgkmcnt(0)
	v_add_nc_u32_e32 v2, v2, v68
	ds_store_b32 v76, v2
	s_branch .LBB815_981
.LBB815_1190:
	s_endpgm
	.section	.rodata,"a",@progbits
	.p2align	6, 0x0
	.amdhsa_kernel _ZN7rocprim17ROCPRIM_400000_NS6detail17trampoline_kernelINS0_14default_configENS1_36segmented_radix_sort_config_selectorIllEEZNS1_25segmented_radix_sort_implIS3_Lb0EPKlPlS8_S9_N2at6native12_GLOBAL__N_18offset_tEEE10hipError_tPvRmT1_PNSt15iterator_traitsISH_E10value_typeET2_T3_PNSI_ISN_E10value_typeET4_jRbjT5_ST_jjP12ihipStream_tbEUlT_E_NS1_11comp_targetILNS1_3genE9ELNS1_11target_archE1100ELNS1_3gpuE3ELNS1_3repE0EEENS1_30default_config_static_selectorELNS0_4arch9wavefront6targetE0EEEvSH_
		.amdhsa_group_segment_fixed_size 33824
		.amdhsa_private_segment_fixed_size 200
		.amdhsa_kernarg_size 352
		.amdhsa_user_sgpr_count 14
		.amdhsa_user_sgpr_dispatch_ptr 0
		.amdhsa_user_sgpr_queue_ptr 0
		.amdhsa_user_sgpr_kernarg_segment_ptr 1
		.amdhsa_user_sgpr_dispatch_id 0
		.amdhsa_user_sgpr_private_segment_size 0
		.amdhsa_wavefront_size32 1
		.amdhsa_uses_dynamic_stack 0
		.amdhsa_enable_private_segment 1
		.amdhsa_system_sgpr_workgroup_id_x 1
		.amdhsa_system_sgpr_workgroup_id_y 1
		.amdhsa_system_sgpr_workgroup_id_z 0
		.amdhsa_system_sgpr_workgroup_info 0
		.amdhsa_system_vgpr_workitem_id 2
		.amdhsa_next_free_vgpr 248
		.amdhsa_next_free_sgpr 66
		.amdhsa_reserve_vcc 1
		.amdhsa_float_round_mode_32 0
		.amdhsa_float_round_mode_16_64 0
		.amdhsa_float_denorm_mode_32 3
		.amdhsa_float_denorm_mode_16_64 3
		.amdhsa_dx10_clamp 1
		.amdhsa_ieee_mode 1
		.amdhsa_fp16_overflow 0
		.amdhsa_workgroup_processor_mode 1
		.amdhsa_memory_ordered 1
		.amdhsa_forward_progress 0
		.amdhsa_shared_vgpr_count 0
		.amdhsa_exception_fp_ieee_invalid_op 0
		.amdhsa_exception_fp_denorm_src 0
		.amdhsa_exception_fp_ieee_div_zero 0
		.amdhsa_exception_fp_ieee_overflow 0
		.amdhsa_exception_fp_ieee_underflow 0
		.amdhsa_exception_fp_ieee_inexact 0
		.amdhsa_exception_int_div_zero 0
	.end_amdhsa_kernel
	.section	.text._ZN7rocprim17ROCPRIM_400000_NS6detail17trampoline_kernelINS0_14default_configENS1_36segmented_radix_sort_config_selectorIllEEZNS1_25segmented_radix_sort_implIS3_Lb0EPKlPlS8_S9_N2at6native12_GLOBAL__N_18offset_tEEE10hipError_tPvRmT1_PNSt15iterator_traitsISH_E10value_typeET2_T3_PNSI_ISN_E10value_typeET4_jRbjT5_ST_jjP12ihipStream_tbEUlT_E_NS1_11comp_targetILNS1_3genE9ELNS1_11target_archE1100ELNS1_3gpuE3ELNS1_3repE0EEENS1_30default_config_static_selectorELNS0_4arch9wavefront6targetE0EEEvSH_,"axG",@progbits,_ZN7rocprim17ROCPRIM_400000_NS6detail17trampoline_kernelINS0_14default_configENS1_36segmented_radix_sort_config_selectorIllEEZNS1_25segmented_radix_sort_implIS3_Lb0EPKlPlS8_S9_N2at6native12_GLOBAL__N_18offset_tEEE10hipError_tPvRmT1_PNSt15iterator_traitsISH_E10value_typeET2_T3_PNSI_ISN_E10value_typeET4_jRbjT5_ST_jjP12ihipStream_tbEUlT_E_NS1_11comp_targetILNS1_3genE9ELNS1_11target_archE1100ELNS1_3gpuE3ELNS1_3repE0EEENS1_30default_config_static_selectorELNS0_4arch9wavefront6targetE0EEEvSH_,comdat
.Lfunc_end815:
	.size	_ZN7rocprim17ROCPRIM_400000_NS6detail17trampoline_kernelINS0_14default_configENS1_36segmented_radix_sort_config_selectorIllEEZNS1_25segmented_radix_sort_implIS3_Lb0EPKlPlS8_S9_N2at6native12_GLOBAL__N_18offset_tEEE10hipError_tPvRmT1_PNSt15iterator_traitsISH_E10value_typeET2_T3_PNSI_ISN_E10value_typeET4_jRbjT5_ST_jjP12ihipStream_tbEUlT_E_NS1_11comp_targetILNS1_3genE9ELNS1_11target_archE1100ELNS1_3gpuE3ELNS1_3repE0EEENS1_30default_config_static_selectorELNS0_4arch9wavefront6targetE0EEEvSH_, .Lfunc_end815-_ZN7rocprim17ROCPRIM_400000_NS6detail17trampoline_kernelINS0_14default_configENS1_36segmented_radix_sort_config_selectorIllEEZNS1_25segmented_radix_sort_implIS3_Lb0EPKlPlS8_S9_N2at6native12_GLOBAL__N_18offset_tEEE10hipError_tPvRmT1_PNSt15iterator_traitsISH_E10value_typeET2_T3_PNSI_ISN_E10value_typeET4_jRbjT5_ST_jjP12ihipStream_tbEUlT_E_NS1_11comp_targetILNS1_3genE9ELNS1_11target_archE1100ELNS1_3gpuE3ELNS1_3repE0EEENS1_30default_config_static_selectorELNS0_4arch9wavefront6targetE0EEEvSH_
                                        ; -- End function
	.section	.AMDGPU.csdata,"",@progbits
; Kernel info:
; codeLenInByte = 70420
; NumSgprs: 68
; NumVgprs: 248
; ScratchSize: 200
; MemoryBound: 0
; FloatMode: 240
; IeeeMode: 1
; LDSByteSize: 33824 bytes/workgroup (compile time only)
; SGPRBlocks: 8
; VGPRBlocks: 30
; NumSGPRsForWavesPerEU: 68
; NumVGPRsForWavesPerEU: 248
; Occupancy: 5
; WaveLimiterHint : 1
; COMPUTE_PGM_RSRC2:SCRATCH_EN: 1
; COMPUTE_PGM_RSRC2:USER_SGPR: 14
; COMPUTE_PGM_RSRC2:TRAP_HANDLER: 0
; COMPUTE_PGM_RSRC2:TGID_X_EN: 1
; COMPUTE_PGM_RSRC2:TGID_Y_EN: 1
; COMPUTE_PGM_RSRC2:TGID_Z_EN: 0
; COMPUTE_PGM_RSRC2:TIDIG_COMP_CNT: 2
	.section	.text._ZN7rocprim17ROCPRIM_400000_NS6detail17trampoline_kernelINS0_14default_configENS1_36segmented_radix_sort_config_selectorIllEEZNS1_25segmented_radix_sort_implIS3_Lb0EPKlPlS8_S9_N2at6native12_GLOBAL__N_18offset_tEEE10hipError_tPvRmT1_PNSt15iterator_traitsISH_E10value_typeET2_T3_PNSI_ISN_E10value_typeET4_jRbjT5_ST_jjP12ihipStream_tbEUlT_E_NS1_11comp_targetILNS1_3genE8ELNS1_11target_archE1030ELNS1_3gpuE2ELNS1_3repE0EEENS1_30default_config_static_selectorELNS0_4arch9wavefront6targetE0EEEvSH_,"axG",@progbits,_ZN7rocprim17ROCPRIM_400000_NS6detail17trampoline_kernelINS0_14default_configENS1_36segmented_radix_sort_config_selectorIllEEZNS1_25segmented_radix_sort_implIS3_Lb0EPKlPlS8_S9_N2at6native12_GLOBAL__N_18offset_tEEE10hipError_tPvRmT1_PNSt15iterator_traitsISH_E10value_typeET2_T3_PNSI_ISN_E10value_typeET4_jRbjT5_ST_jjP12ihipStream_tbEUlT_E_NS1_11comp_targetILNS1_3genE8ELNS1_11target_archE1030ELNS1_3gpuE2ELNS1_3repE0EEENS1_30default_config_static_selectorELNS0_4arch9wavefront6targetE0EEEvSH_,comdat
	.globl	_ZN7rocprim17ROCPRIM_400000_NS6detail17trampoline_kernelINS0_14default_configENS1_36segmented_radix_sort_config_selectorIllEEZNS1_25segmented_radix_sort_implIS3_Lb0EPKlPlS8_S9_N2at6native12_GLOBAL__N_18offset_tEEE10hipError_tPvRmT1_PNSt15iterator_traitsISH_E10value_typeET2_T3_PNSI_ISN_E10value_typeET4_jRbjT5_ST_jjP12ihipStream_tbEUlT_E_NS1_11comp_targetILNS1_3genE8ELNS1_11target_archE1030ELNS1_3gpuE2ELNS1_3repE0EEENS1_30default_config_static_selectorELNS0_4arch9wavefront6targetE0EEEvSH_ ; -- Begin function _ZN7rocprim17ROCPRIM_400000_NS6detail17trampoline_kernelINS0_14default_configENS1_36segmented_radix_sort_config_selectorIllEEZNS1_25segmented_radix_sort_implIS3_Lb0EPKlPlS8_S9_N2at6native12_GLOBAL__N_18offset_tEEE10hipError_tPvRmT1_PNSt15iterator_traitsISH_E10value_typeET2_T3_PNSI_ISN_E10value_typeET4_jRbjT5_ST_jjP12ihipStream_tbEUlT_E_NS1_11comp_targetILNS1_3genE8ELNS1_11target_archE1030ELNS1_3gpuE2ELNS1_3repE0EEENS1_30default_config_static_selectorELNS0_4arch9wavefront6targetE0EEEvSH_
	.p2align	8
	.type	_ZN7rocprim17ROCPRIM_400000_NS6detail17trampoline_kernelINS0_14default_configENS1_36segmented_radix_sort_config_selectorIllEEZNS1_25segmented_radix_sort_implIS3_Lb0EPKlPlS8_S9_N2at6native12_GLOBAL__N_18offset_tEEE10hipError_tPvRmT1_PNSt15iterator_traitsISH_E10value_typeET2_T3_PNSI_ISN_E10value_typeET4_jRbjT5_ST_jjP12ihipStream_tbEUlT_E_NS1_11comp_targetILNS1_3genE8ELNS1_11target_archE1030ELNS1_3gpuE2ELNS1_3repE0EEENS1_30default_config_static_selectorELNS0_4arch9wavefront6targetE0EEEvSH_,@function
_ZN7rocprim17ROCPRIM_400000_NS6detail17trampoline_kernelINS0_14default_configENS1_36segmented_radix_sort_config_selectorIllEEZNS1_25segmented_radix_sort_implIS3_Lb0EPKlPlS8_S9_N2at6native12_GLOBAL__N_18offset_tEEE10hipError_tPvRmT1_PNSt15iterator_traitsISH_E10value_typeET2_T3_PNSI_ISN_E10value_typeET4_jRbjT5_ST_jjP12ihipStream_tbEUlT_E_NS1_11comp_targetILNS1_3genE8ELNS1_11target_archE1030ELNS1_3gpuE2ELNS1_3repE0EEENS1_30default_config_static_selectorELNS0_4arch9wavefront6targetE0EEEvSH_: ; @_ZN7rocprim17ROCPRIM_400000_NS6detail17trampoline_kernelINS0_14default_configENS1_36segmented_radix_sort_config_selectorIllEEZNS1_25segmented_radix_sort_implIS3_Lb0EPKlPlS8_S9_N2at6native12_GLOBAL__N_18offset_tEEE10hipError_tPvRmT1_PNSt15iterator_traitsISH_E10value_typeET2_T3_PNSI_ISN_E10value_typeET4_jRbjT5_ST_jjP12ihipStream_tbEUlT_E_NS1_11comp_targetILNS1_3genE8ELNS1_11target_archE1030ELNS1_3gpuE2ELNS1_3repE0EEENS1_30default_config_static_selectorELNS0_4arch9wavefront6targetE0EEEvSH_
; %bb.0:
	.section	.rodata,"a",@progbits
	.p2align	6, 0x0
	.amdhsa_kernel _ZN7rocprim17ROCPRIM_400000_NS6detail17trampoline_kernelINS0_14default_configENS1_36segmented_radix_sort_config_selectorIllEEZNS1_25segmented_radix_sort_implIS3_Lb0EPKlPlS8_S9_N2at6native12_GLOBAL__N_18offset_tEEE10hipError_tPvRmT1_PNSt15iterator_traitsISH_E10value_typeET2_T3_PNSI_ISN_E10value_typeET4_jRbjT5_ST_jjP12ihipStream_tbEUlT_E_NS1_11comp_targetILNS1_3genE8ELNS1_11target_archE1030ELNS1_3gpuE2ELNS1_3repE0EEENS1_30default_config_static_selectorELNS0_4arch9wavefront6targetE0EEEvSH_
		.amdhsa_group_segment_fixed_size 0
		.amdhsa_private_segment_fixed_size 0
		.amdhsa_kernarg_size 96
		.amdhsa_user_sgpr_count 15
		.amdhsa_user_sgpr_dispatch_ptr 0
		.amdhsa_user_sgpr_queue_ptr 0
		.amdhsa_user_sgpr_kernarg_segment_ptr 1
		.amdhsa_user_sgpr_dispatch_id 0
		.amdhsa_user_sgpr_private_segment_size 0
		.amdhsa_wavefront_size32 1
		.amdhsa_uses_dynamic_stack 0
		.amdhsa_enable_private_segment 0
		.amdhsa_system_sgpr_workgroup_id_x 1
		.amdhsa_system_sgpr_workgroup_id_y 0
		.amdhsa_system_sgpr_workgroup_id_z 0
		.amdhsa_system_sgpr_workgroup_info 0
		.amdhsa_system_vgpr_workitem_id 0
		.amdhsa_next_free_vgpr 1
		.amdhsa_next_free_sgpr 1
		.amdhsa_reserve_vcc 0
		.amdhsa_float_round_mode_32 0
		.amdhsa_float_round_mode_16_64 0
		.amdhsa_float_denorm_mode_32 3
		.amdhsa_float_denorm_mode_16_64 3
		.amdhsa_dx10_clamp 1
		.amdhsa_ieee_mode 1
		.amdhsa_fp16_overflow 0
		.amdhsa_workgroup_processor_mode 1
		.amdhsa_memory_ordered 1
		.amdhsa_forward_progress 0
		.amdhsa_shared_vgpr_count 0
		.amdhsa_exception_fp_ieee_invalid_op 0
		.amdhsa_exception_fp_denorm_src 0
		.amdhsa_exception_fp_ieee_div_zero 0
		.amdhsa_exception_fp_ieee_overflow 0
		.amdhsa_exception_fp_ieee_underflow 0
		.amdhsa_exception_fp_ieee_inexact 0
		.amdhsa_exception_int_div_zero 0
	.end_amdhsa_kernel
	.section	.text._ZN7rocprim17ROCPRIM_400000_NS6detail17trampoline_kernelINS0_14default_configENS1_36segmented_radix_sort_config_selectorIllEEZNS1_25segmented_radix_sort_implIS3_Lb0EPKlPlS8_S9_N2at6native12_GLOBAL__N_18offset_tEEE10hipError_tPvRmT1_PNSt15iterator_traitsISH_E10value_typeET2_T3_PNSI_ISN_E10value_typeET4_jRbjT5_ST_jjP12ihipStream_tbEUlT_E_NS1_11comp_targetILNS1_3genE8ELNS1_11target_archE1030ELNS1_3gpuE2ELNS1_3repE0EEENS1_30default_config_static_selectorELNS0_4arch9wavefront6targetE0EEEvSH_,"axG",@progbits,_ZN7rocprim17ROCPRIM_400000_NS6detail17trampoline_kernelINS0_14default_configENS1_36segmented_radix_sort_config_selectorIllEEZNS1_25segmented_radix_sort_implIS3_Lb0EPKlPlS8_S9_N2at6native12_GLOBAL__N_18offset_tEEE10hipError_tPvRmT1_PNSt15iterator_traitsISH_E10value_typeET2_T3_PNSI_ISN_E10value_typeET4_jRbjT5_ST_jjP12ihipStream_tbEUlT_E_NS1_11comp_targetILNS1_3genE8ELNS1_11target_archE1030ELNS1_3gpuE2ELNS1_3repE0EEENS1_30default_config_static_selectorELNS0_4arch9wavefront6targetE0EEEvSH_,comdat
.Lfunc_end816:
	.size	_ZN7rocprim17ROCPRIM_400000_NS6detail17trampoline_kernelINS0_14default_configENS1_36segmented_radix_sort_config_selectorIllEEZNS1_25segmented_radix_sort_implIS3_Lb0EPKlPlS8_S9_N2at6native12_GLOBAL__N_18offset_tEEE10hipError_tPvRmT1_PNSt15iterator_traitsISH_E10value_typeET2_T3_PNSI_ISN_E10value_typeET4_jRbjT5_ST_jjP12ihipStream_tbEUlT_E_NS1_11comp_targetILNS1_3genE8ELNS1_11target_archE1030ELNS1_3gpuE2ELNS1_3repE0EEENS1_30default_config_static_selectorELNS0_4arch9wavefront6targetE0EEEvSH_, .Lfunc_end816-_ZN7rocprim17ROCPRIM_400000_NS6detail17trampoline_kernelINS0_14default_configENS1_36segmented_radix_sort_config_selectorIllEEZNS1_25segmented_radix_sort_implIS3_Lb0EPKlPlS8_S9_N2at6native12_GLOBAL__N_18offset_tEEE10hipError_tPvRmT1_PNSt15iterator_traitsISH_E10value_typeET2_T3_PNSI_ISN_E10value_typeET4_jRbjT5_ST_jjP12ihipStream_tbEUlT_E_NS1_11comp_targetILNS1_3genE8ELNS1_11target_archE1030ELNS1_3gpuE2ELNS1_3repE0EEENS1_30default_config_static_selectorELNS0_4arch9wavefront6targetE0EEEvSH_
                                        ; -- End function
	.section	.AMDGPU.csdata,"",@progbits
; Kernel info:
; codeLenInByte = 0
; NumSgprs: 0
; NumVgprs: 0
; ScratchSize: 0
; MemoryBound: 0
; FloatMode: 240
; IeeeMode: 1
; LDSByteSize: 0 bytes/workgroup (compile time only)
; SGPRBlocks: 0
; VGPRBlocks: 0
; NumSGPRsForWavesPerEU: 1
; NumVGPRsForWavesPerEU: 1
; Occupancy: 16
; WaveLimiterHint : 0
; COMPUTE_PGM_RSRC2:SCRATCH_EN: 0
; COMPUTE_PGM_RSRC2:USER_SGPR: 15
; COMPUTE_PGM_RSRC2:TRAP_HANDLER: 0
; COMPUTE_PGM_RSRC2:TGID_X_EN: 1
; COMPUTE_PGM_RSRC2:TGID_Y_EN: 0
; COMPUTE_PGM_RSRC2:TGID_Z_EN: 0
; COMPUTE_PGM_RSRC2:TIDIG_COMP_CNT: 0
	.section	.text._ZN7rocprim17ROCPRIM_400000_NS6detail17trampoline_kernelINS0_14default_configENS1_36segmented_radix_sort_config_selectorIllEEZNS1_25segmented_radix_sort_implIS3_Lb0EPKlPlS8_S9_N2at6native12_GLOBAL__N_18offset_tEEE10hipError_tPvRmT1_PNSt15iterator_traitsISH_E10value_typeET2_T3_PNSI_ISN_E10value_typeET4_jRbjT5_ST_jjP12ihipStream_tbEUlT_E0_NS1_11comp_targetILNS1_3genE0ELNS1_11target_archE4294967295ELNS1_3gpuE0ELNS1_3repE0EEENS1_60segmented_radix_sort_warp_sort_medium_config_static_selectorELNS0_4arch9wavefront6targetE0EEEvSH_,"axG",@progbits,_ZN7rocprim17ROCPRIM_400000_NS6detail17trampoline_kernelINS0_14default_configENS1_36segmented_radix_sort_config_selectorIllEEZNS1_25segmented_radix_sort_implIS3_Lb0EPKlPlS8_S9_N2at6native12_GLOBAL__N_18offset_tEEE10hipError_tPvRmT1_PNSt15iterator_traitsISH_E10value_typeET2_T3_PNSI_ISN_E10value_typeET4_jRbjT5_ST_jjP12ihipStream_tbEUlT_E0_NS1_11comp_targetILNS1_3genE0ELNS1_11target_archE4294967295ELNS1_3gpuE0ELNS1_3repE0EEENS1_60segmented_radix_sort_warp_sort_medium_config_static_selectorELNS0_4arch9wavefront6targetE0EEEvSH_,comdat
	.globl	_ZN7rocprim17ROCPRIM_400000_NS6detail17trampoline_kernelINS0_14default_configENS1_36segmented_radix_sort_config_selectorIllEEZNS1_25segmented_radix_sort_implIS3_Lb0EPKlPlS8_S9_N2at6native12_GLOBAL__N_18offset_tEEE10hipError_tPvRmT1_PNSt15iterator_traitsISH_E10value_typeET2_T3_PNSI_ISN_E10value_typeET4_jRbjT5_ST_jjP12ihipStream_tbEUlT_E0_NS1_11comp_targetILNS1_3genE0ELNS1_11target_archE4294967295ELNS1_3gpuE0ELNS1_3repE0EEENS1_60segmented_radix_sort_warp_sort_medium_config_static_selectorELNS0_4arch9wavefront6targetE0EEEvSH_ ; -- Begin function _ZN7rocprim17ROCPRIM_400000_NS6detail17trampoline_kernelINS0_14default_configENS1_36segmented_radix_sort_config_selectorIllEEZNS1_25segmented_radix_sort_implIS3_Lb0EPKlPlS8_S9_N2at6native12_GLOBAL__N_18offset_tEEE10hipError_tPvRmT1_PNSt15iterator_traitsISH_E10value_typeET2_T3_PNSI_ISN_E10value_typeET4_jRbjT5_ST_jjP12ihipStream_tbEUlT_E0_NS1_11comp_targetILNS1_3genE0ELNS1_11target_archE4294967295ELNS1_3gpuE0ELNS1_3repE0EEENS1_60segmented_radix_sort_warp_sort_medium_config_static_selectorELNS0_4arch9wavefront6targetE0EEEvSH_
	.p2align	8
	.type	_ZN7rocprim17ROCPRIM_400000_NS6detail17trampoline_kernelINS0_14default_configENS1_36segmented_radix_sort_config_selectorIllEEZNS1_25segmented_radix_sort_implIS3_Lb0EPKlPlS8_S9_N2at6native12_GLOBAL__N_18offset_tEEE10hipError_tPvRmT1_PNSt15iterator_traitsISH_E10value_typeET2_T3_PNSI_ISN_E10value_typeET4_jRbjT5_ST_jjP12ihipStream_tbEUlT_E0_NS1_11comp_targetILNS1_3genE0ELNS1_11target_archE4294967295ELNS1_3gpuE0ELNS1_3repE0EEENS1_60segmented_radix_sort_warp_sort_medium_config_static_selectorELNS0_4arch9wavefront6targetE0EEEvSH_,@function
_ZN7rocprim17ROCPRIM_400000_NS6detail17trampoline_kernelINS0_14default_configENS1_36segmented_radix_sort_config_selectorIllEEZNS1_25segmented_radix_sort_implIS3_Lb0EPKlPlS8_S9_N2at6native12_GLOBAL__N_18offset_tEEE10hipError_tPvRmT1_PNSt15iterator_traitsISH_E10value_typeET2_T3_PNSI_ISN_E10value_typeET4_jRbjT5_ST_jjP12ihipStream_tbEUlT_E0_NS1_11comp_targetILNS1_3genE0ELNS1_11target_archE4294967295ELNS1_3gpuE0ELNS1_3repE0EEENS1_60segmented_radix_sort_warp_sort_medium_config_static_selectorELNS0_4arch9wavefront6targetE0EEEvSH_: ; @_ZN7rocprim17ROCPRIM_400000_NS6detail17trampoline_kernelINS0_14default_configENS1_36segmented_radix_sort_config_selectorIllEEZNS1_25segmented_radix_sort_implIS3_Lb0EPKlPlS8_S9_N2at6native12_GLOBAL__N_18offset_tEEE10hipError_tPvRmT1_PNSt15iterator_traitsISH_E10value_typeET2_T3_PNSI_ISN_E10value_typeET4_jRbjT5_ST_jjP12ihipStream_tbEUlT_E0_NS1_11comp_targetILNS1_3genE0ELNS1_11target_archE4294967295ELNS1_3gpuE0ELNS1_3repE0EEENS1_60segmented_radix_sort_warp_sort_medium_config_static_selectorELNS0_4arch9wavefront6targetE0EEEvSH_
; %bb.0:
	.section	.rodata,"a",@progbits
	.p2align	6, 0x0
	.amdhsa_kernel _ZN7rocprim17ROCPRIM_400000_NS6detail17trampoline_kernelINS0_14default_configENS1_36segmented_radix_sort_config_selectorIllEEZNS1_25segmented_radix_sort_implIS3_Lb0EPKlPlS8_S9_N2at6native12_GLOBAL__N_18offset_tEEE10hipError_tPvRmT1_PNSt15iterator_traitsISH_E10value_typeET2_T3_PNSI_ISN_E10value_typeET4_jRbjT5_ST_jjP12ihipStream_tbEUlT_E0_NS1_11comp_targetILNS1_3genE0ELNS1_11target_archE4294967295ELNS1_3gpuE0ELNS1_3repE0EEENS1_60segmented_radix_sort_warp_sort_medium_config_static_selectorELNS0_4arch9wavefront6targetE0EEEvSH_
		.amdhsa_group_segment_fixed_size 0
		.amdhsa_private_segment_fixed_size 0
		.amdhsa_kernarg_size 88
		.amdhsa_user_sgpr_count 15
		.amdhsa_user_sgpr_dispatch_ptr 0
		.amdhsa_user_sgpr_queue_ptr 0
		.amdhsa_user_sgpr_kernarg_segment_ptr 1
		.amdhsa_user_sgpr_dispatch_id 0
		.amdhsa_user_sgpr_private_segment_size 0
		.amdhsa_wavefront_size32 1
		.amdhsa_uses_dynamic_stack 0
		.amdhsa_enable_private_segment 0
		.amdhsa_system_sgpr_workgroup_id_x 1
		.amdhsa_system_sgpr_workgroup_id_y 0
		.amdhsa_system_sgpr_workgroup_id_z 0
		.amdhsa_system_sgpr_workgroup_info 0
		.amdhsa_system_vgpr_workitem_id 0
		.amdhsa_next_free_vgpr 1
		.amdhsa_next_free_sgpr 1
		.amdhsa_reserve_vcc 0
		.amdhsa_float_round_mode_32 0
		.amdhsa_float_round_mode_16_64 0
		.amdhsa_float_denorm_mode_32 3
		.amdhsa_float_denorm_mode_16_64 3
		.amdhsa_dx10_clamp 1
		.amdhsa_ieee_mode 1
		.amdhsa_fp16_overflow 0
		.amdhsa_workgroup_processor_mode 1
		.amdhsa_memory_ordered 1
		.amdhsa_forward_progress 0
		.amdhsa_shared_vgpr_count 0
		.amdhsa_exception_fp_ieee_invalid_op 0
		.amdhsa_exception_fp_denorm_src 0
		.amdhsa_exception_fp_ieee_div_zero 0
		.amdhsa_exception_fp_ieee_overflow 0
		.amdhsa_exception_fp_ieee_underflow 0
		.amdhsa_exception_fp_ieee_inexact 0
		.amdhsa_exception_int_div_zero 0
	.end_amdhsa_kernel
	.section	.text._ZN7rocprim17ROCPRIM_400000_NS6detail17trampoline_kernelINS0_14default_configENS1_36segmented_radix_sort_config_selectorIllEEZNS1_25segmented_radix_sort_implIS3_Lb0EPKlPlS8_S9_N2at6native12_GLOBAL__N_18offset_tEEE10hipError_tPvRmT1_PNSt15iterator_traitsISH_E10value_typeET2_T3_PNSI_ISN_E10value_typeET4_jRbjT5_ST_jjP12ihipStream_tbEUlT_E0_NS1_11comp_targetILNS1_3genE0ELNS1_11target_archE4294967295ELNS1_3gpuE0ELNS1_3repE0EEENS1_60segmented_radix_sort_warp_sort_medium_config_static_selectorELNS0_4arch9wavefront6targetE0EEEvSH_,"axG",@progbits,_ZN7rocprim17ROCPRIM_400000_NS6detail17trampoline_kernelINS0_14default_configENS1_36segmented_radix_sort_config_selectorIllEEZNS1_25segmented_radix_sort_implIS3_Lb0EPKlPlS8_S9_N2at6native12_GLOBAL__N_18offset_tEEE10hipError_tPvRmT1_PNSt15iterator_traitsISH_E10value_typeET2_T3_PNSI_ISN_E10value_typeET4_jRbjT5_ST_jjP12ihipStream_tbEUlT_E0_NS1_11comp_targetILNS1_3genE0ELNS1_11target_archE4294967295ELNS1_3gpuE0ELNS1_3repE0EEENS1_60segmented_radix_sort_warp_sort_medium_config_static_selectorELNS0_4arch9wavefront6targetE0EEEvSH_,comdat
.Lfunc_end817:
	.size	_ZN7rocprim17ROCPRIM_400000_NS6detail17trampoline_kernelINS0_14default_configENS1_36segmented_radix_sort_config_selectorIllEEZNS1_25segmented_radix_sort_implIS3_Lb0EPKlPlS8_S9_N2at6native12_GLOBAL__N_18offset_tEEE10hipError_tPvRmT1_PNSt15iterator_traitsISH_E10value_typeET2_T3_PNSI_ISN_E10value_typeET4_jRbjT5_ST_jjP12ihipStream_tbEUlT_E0_NS1_11comp_targetILNS1_3genE0ELNS1_11target_archE4294967295ELNS1_3gpuE0ELNS1_3repE0EEENS1_60segmented_radix_sort_warp_sort_medium_config_static_selectorELNS0_4arch9wavefront6targetE0EEEvSH_, .Lfunc_end817-_ZN7rocprim17ROCPRIM_400000_NS6detail17trampoline_kernelINS0_14default_configENS1_36segmented_radix_sort_config_selectorIllEEZNS1_25segmented_radix_sort_implIS3_Lb0EPKlPlS8_S9_N2at6native12_GLOBAL__N_18offset_tEEE10hipError_tPvRmT1_PNSt15iterator_traitsISH_E10value_typeET2_T3_PNSI_ISN_E10value_typeET4_jRbjT5_ST_jjP12ihipStream_tbEUlT_E0_NS1_11comp_targetILNS1_3genE0ELNS1_11target_archE4294967295ELNS1_3gpuE0ELNS1_3repE0EEENS1_60segmented_radix_sort_warp_sort_medium_config_static_selectorELNS0_4arch9wavefront6targetE0EEEvSH_
                                        ; -- End function
	.section	.AMDGPU.csdata,"",@progbits
; Kernel info:
; codeLenInByte = 0
; NumSgprs: 0
; NumVgprs: 0
; ScratchSize: 0
; MemoryBound: 0
; FloatMode: 240
; IeeeMode: 1
; LDSByteSize: 0 bytes/workgroup (compile time only)
; SGPRBlocks: 0
; VGPRBlocks: 0
; NumSGPRsForWavesPerEU: 1
; NumVGPRsForWavesPerEU: 1
; Occupancy: 16
; WaveLimiterHint : 0
; COMPUTE_PGM_RSRC2:SCRATCH_EN: 0
; COMPUTE_PGM_RSRC2:USER_SGPR: 15
; COMPUTE_PGM_RSRC2:TRAP_HANDLER: 0
; COMPUTE_PGM_RSRC2:TGID_X_EN: 1
; COMPUTE_PGM_RSRC2:TGID_Y_EN: 0
; COMPUTE_PGM_RSRC2:TGID_Z_EN: 0
; COMPUTE_PGM_RSRC2:TIDIG_COMP_CNT: 0
	.section	.text._ZN7rocprim17ROCPRIM_400000_NS6detail17trampoline_kernelINS0_14default_configENS1_36segmented_radix_sort_config_selectorIllEEZNS1_25segmented_radix_sort_implIS3_Lb0EPKlPlS8_S9_N2at6native12_GLOBAL__N_18offset_tEEE10hipError_tPvRmT1_PNSt15iterator_traitsISH_E10value_typeET2_T3_PNSI_ISN_E10value_typeET4_jRbjT5_ST_jjP12ihipStream_tbEUlT_E0_NS1_11comp_targetILNS1_3genE5ELNS1_11target_archE942ELNS1_3gpuE9ELNS1_3repE0EEENS1_60segmented_radix_sort_warp_sort_medium_config_static_selectorELNS0_4arch9wavefront6targetE0EEEvSH_,"axG",@progbits,_ZN7rocprim17ROCPRIM_400000_NS6detail17trampoline_kernelINS0_14default_configENS1_36segmented_radix_sort_config_selectorIllEEZNS1_25segmented_radix_sort_implIS3_Lb0EPKlPlS8_S9_N2at6native12_GLOBAL__N_18offset_tEEE10hipError_tPvRmT1_PNSt15iterator_traitsISH_E10value_typeET2_T3_PNSI_ISN_E10value_typeET4_jRbjT5_ST_jjP12ihipStream_tbEUlT_E0_NS1_11comp_targetILNS1_3genE5ELNS1_11target_archE942ELNS1_3gpuE9ELNS1_3repE0EEENS1_60segmented_radix_sort_warp_sort_medium_config_static_selectorELNS0_4arch9wavefront6targetE0EEEvSH_,comdat
	.globl	_ZN7rocprim17ROCPRIM_400000_NS6detail17trampoline_kernelINS0_14default_configENS1_36segmented_radix_sort_config_selectorIllEEZNS1_25segmented_radix_sort_implIS3_Lb0EPKlPlS8_S9_N2at6native12_GLOBAL__N_18offset_tEEE10hipError_tPvRmT1_PNSt15iterator_traitsISH_E10value_typeET2_T3_PNSI_ISN_E10value_typeET4_jRbjT5_ST_jjP12ihipStream_tbEUlT_E0_NS1_11comp_targetILNS1_3genE5ELNS1_11target_archE942ELNS1_3gpuE9ELNS1_3repE0EEENS1_60segmented_radix_sort_warp_sort_medium_config_static_selectorELNS0_4arch9wavefront6targetE0EEEvSH_ ; -- Begin function _ZN7rocprim17ROCPRIM_400000_NS6detail17trampoline_kernelINS0_14default_configENS1_36segmented_radix_sort_config_selectorIllEEZNS1_25segmented_radix_sort_implIS3_Lb0EPKlPlS8_S9_N2at6native12_GLOBAL__N_18offset_tEEE10hipError_tPvRmT1_PNSt15iterator_traitsISH_E10value_typeET2_T3_PNSI_ISN_E10value_typeET4_jRbjT5_ST_jjP12ihipStream_tbEUlT_E0_NS1_11comp_targetILNS1_3genE5ELNS1_11target_archE942ELNS1_3gpuE9ELNS1_3repE0EEENS1_60segmented_radix_sort_warp_sort_medium_config_static_selectorELNS0_4arch9wavefront6targetE0EEEvSH_
	.p2align	8
	.type	_ZN7rocprim17ROCPRIM_400000_NS6detail17trampoline_kernelINS0_14default_configENS1_36segmented_radix_sort_config_selectorIllEEZNS1_25segmented_radix_sort_implIS3_Lb0EPKlPlS8_S9_N2at6native12_GLOBAL__N_18offset_tEEE10hipError_tPvRmT1_PNSt15iterator_traitsISH_E10value_typeET2_T3_PNSI_ISN_E10value_typeET4_jRbjT5_ST_jjP12ihipStream_tbEUlT_E0_NS1_11comp_targetILNS1_3genE5ELNS1_11target_archE942ELNS1_3gpuE9ELNS1_3repE0EEENS1_60segmented_radix_sort_warp_sort_medium_config_static_selectorELNS0_4arch9wavefront6targetE0EEEvSH_,@function
_ZN7rocprim17ROCPRIM_400000_NS6detail17trampoline_kernelINS0_14default_configENS1_36segmented_radix_sort_config_selectorIllEEZNS1_25segmented_radix_sort_implIS3_Lb0EPKlPlS8_S9_N2at6native12_GLOBAL__N_18offset_tEEE10hipError_tPvRmT1_PNSt15iterator_traitsISH_E10value_typeET2_T3_PNSI_ISN_E10value_typeET4_jRbjT5_ST_jjP12ihipStream_tbEUlT_E0_NS1_11comp_targetILNS1_3genE5ELNS1_11target_archE942ELNS1_3gpuE9ELNS1_3repE0EEENS1_60segmented_radix_sort_warp_sort_medium_config_static_selectorELNS0_4arch9wavefront6targetE0EEEvSH_: ; @_ZN7rocprim17ROCPRIM_400000_NS6detail17trampoline_kernelINS0_14default_configENS1_36segmented_radix_sort_config_selectorIllEEZNS1_25segmented_radix_sort_implIS3_Lb0EPKlPlS8_S9_N2at6native12_GLOBAL__N_18offset_tEEE10hipError_tPvRmT1_PNSt15iterator_traitsISH_E10value_typeET2_T3_PNSI_ISN_E10value_typeET4_jRbjT5_ST_jjP12ihipStream_tbEUlT_E0_NS1_11comp_targetILNS1_3genE5ELNS1_11target_archE942ELNS1_3gpuE9ELNS1_3repE0EEENS1_60segmented_radix_sort_warp_sort_medium_config_static_selectorELNS0_4arch9wavefront6targetE0EEEvSH_
; %bb.0:
	.section	.rodata,"a",@progbits
	.p2align	6, 0x0
	.amdhsa_kernel _ZN7rocprim17ROCPRIM_400000_NS6detail17trampoline_kernelINS0_14default_configENS1_36segmented_radix_sort_config_selectorIllEEZNS1_25segmented_radix_sort_implIS3_Lb0EPKlPlS8_S9_N2at6native12_GLOBAL__N_18offset_tEEE10hipError_tPvRmT1_PNSt15iterator_traitsISH_E10value_typeET2_T3_PNSI_ISN_E10value_typeET4_jRbjT5_ST_jjP12ihipStream_tbEUlT_E0_NS1_11comp_targetILNS1_3genE5ELNS1_11target_archE942ELNS1_3gpuE9ELNS1_3repE0EEENS1_60segmented_radix_sort_warp_sort_medium_config_static_selectorELNS0_4arch9wavefront6targetE0EEEvSH_
		.amdhsa_group_segment_fixed_size 0
		.amdhsa_private_segment_fixed_size 0
		.amdhsa_kernarg_size 88
		.amdhsa_user_sgpr_count 15
		.amdhsa_user_sgpr_dispatch_ptr 0
		.amdhsa_user_sgpr_queue_ptr 0
		.amdhsa_user_sgpr_kernarg_segment_ptr 1
		.amdhsa_user_sgpr_dispatch_id 0
		.amdhsa_user_sgpr_private_segment_size 0
		.amdhsa_wavefront_size32 1
		.amdhsa_uses_dynamic_stack 0
		.amdhsa_enable_private_segment 0
		.amdhsa_system_sgpr_workgroup_id_x 1
		.amdhsa_system_sgpr_workgroup_id_y 0
		.amdhsa_system_sgpr_workgroup_id_z 0
		.amdhsa_system_sgpr_workgroup_info 0
		.amdhsa_system_vgpr_workitem_id 0
		.amdhsa_next_free_vgpr 1
		.amdhsa_next_free_sgpr 1
		.amdhsa_reserve_vcc 0
		.amdhsa_float_round_mode_32 0
		.amdhsa_float_round_mode_16_64 0
		.amdhsa_float_denorm_mode_32 3
		.amdhsa_float_denorm_mode_16_64 3
		.amdhsa_dx10_clamp 1
		.amdhsa_ieee_mode 1
		.amdhsa_fp16_overflow 0
		.amdhsa_workgroup_processor_mode 1
		.amdhsa_memory_ordered 1
		.amdhsa_forward_progress 0
		.amdhsa_shared_vgpr_count 0
		.amdhsa_exception_fp_ieee_invalid_op 0
		.amdhsa_exception_fp_denorm_src 0
		.amdhsa_exception_fp_ieee_div_zero 0
		.amdhsa_exception_fp_ieee_overflow 0
		.amdhsa_exception_fp_ieee_underflow 0
		.amdhsa_exception_fp_ieee_inexact 0
		.amdhsa_exception_int_div_zero 0
	.end_amdhsa_kernel
	.section	.text._ZN7rocprim17ROCPRIM_400000_NS6detail17trampoline_kernelINS0_14default_configENS1_36segmented_radix_sort_config_selectorIllEEZNS1_25segmented_radix_sort_implIS3_Lb0EPKlPlS8_S9_N2at6native12_GLOBAL__N_18offset_tEEE10hipError_tPvRmT1_PNSt15iterator_traitsISH_E10value_typeET2_T3_PNSI_ISN_E10value_typeET4_jRbjT5_ST_jjP12ihipStream_tbEUlT_E0_NS1_11comp_targetILNS1_3genE5ELNS1_11target_archE942ELNS1_3gpuE9ELNS1_3repE0EEENS1_60segmented_radix_sort_warp_sort_medium_config_static_selectorELNS0_4arch9wavefront6targetE0EEEvSH_,"axG",@progbits,_ZN7rocprim17ROCPRIM_400000_NS6detail17trampoline_kernelINS0_14default_configENS1_36segmented_radix_sort_config_selectorIllEEZNS1_25segmented_radix_sort_implIS3_Lb0EPKlPlS8_S9_N2at6native12_GLOBAL__N_18offset_tEEE10hipError_tPvRmT1_PNSt15iterator_traitsISH_E10value_typeET2_T3_PNSI_ISN_E10value_typeET4_jRbjT5_ST_jjP12ihipStream_tbEUlT_E0_NS1_11comp_targetILNS1_3genE5ELNS1_11target_archE942ELNS1_3gpuE9ELNS1_3repE0EEENS1_60segmented_radix_sort_warp_sort_medium_config_static_selectorELNS0_4arch9wavefront6targetE0EEEvSH_,comdat
.Lfunc_end818:
	.size	_ZN7rocprim17ROCPRIM_400000_NS6detail17trampoline_kernelINS0_14default_configENS1_36segmented_radix_sort_config_selectorIllEEZNS1_25segmented_radix_sort_implIS3_Lb0EPKlPlS8_S9_N2at6native12_GLOBAL__N_18offset_tEEE10hipError_tPvRmT1_PNSt15iterator_traitsISH_E10value_typeET2_T3_PNSI_ISN_E10value_typeET4_jRbjT5_ST_jjP12ihipStream_tbEUlT_E0_NS1_11comp_targetILNS1_3genE5ELNS1_11target_archE942ELNS1_3gpuE9ELNS1_3repE0EEENS1_60segmented_radix_sort_warp_sort_medium_config_static_selectorELNS0_4arch9wavefront6targetE0EEEvSH_, .Lfunc_end818-_ZN7rocprim17ROCPRIM_400000_NS6detail17trampoline_kernelINS0_14default_configENS1_36segmented_radix_sort_config_selectorIllEEZNS1_25segmented_radix_sort_implIS3_Lb0EPKlPlS8_S9_N2at6native12_GLOBAL__N_18offset_tEEE10hipError_tPvRmT1_PNSt15iterator_traitsISH_E10value_typeET2_T3_PNSI_ISN_E10value_typeET4_jRbjT5_ST_jjP12ihipStream_tbEUlT_E0_NS1_11comp_targetILNS1_3genE5ELNS1_11target_archE942ELNS1_3gpuE9ELNS1_3repE0EEENS1_60segmented_radix_sort_warp_sort_medium_config_static_selectorELNS0_4arch9wavefront6targetE0EEEvSH_
                                        ; -- End function
	.section	.AMDGPU.csdata,"",@progbits
; Kernel info:
; codeLenInByte = 0
; NumSgprs: 0
; NumVgprs: 0
; ScratchSize: 0
; MemoryBound: 0
; FloatMode: 240
; IeeeMode: 1
; LDSByteSize: 0 bytes/workgroup (compile time only)
; SGPRBlocks: 0
; VGPRBlocks: 0
; NumSGPRsForWavesPerEU: 1
; NumVGPRsForWavesPerEU: 1
; Occupancy: 16
; WaveLimiterHint : 0
; COMPUTE_PGM_RSRC2:SCRATCH_EN: 0
; COMPUTE_PGM_RSRC2:USER_SGPR: 15
; COMPUTE_PGM_RSRC2:TRAP_HANDLER: 0
; COMPUTE_PGM_RSRC2:TGID_X_EN: 1
; COMPUTE_PGM_RSRC2:TGID_Y_EN: 0
; COMPUTE_PGM_RSRC2:TGID_Z_EN: 0
; COMPUTE_PGM_RSRC2:TIDIG_COMP_CNT: 0
	.section	.text._ZN7rocprim17ROCPRIM_400000_NS6detail17trampoline_kernelINS0_14default_configENS1_36segmented_radix_sort_config_selectorIllEEZNS1_25segmented_radix_sort_implIS3_Lb0EPKlPlS8_S9_N2at6native12_GLOBAL__N_18offset_tEEE10hipError_tPvRmT1_PNSt15iterator_traitsISH_E10value_typeET2_T3_PNSI_ISN_E10value_typeET4_jRbjT5_ST_jjP12ihipStream_tbEUlT_E0_NS1_11comp_targetILNS1_3genE4ELNS1_11target_archE910ELNS1_3gpuE8ELNS1_3repE0EEENS1_60segmented_radix_sort_warp_sort_medium_config_static_selectorELNS0_4arch9wavefront6targetE0EEEvSH_,"axG",@progbits,_ZN7rocprim17ROCPRIM_400000_NS6detail17trampoline_kernelINS0_14default_configENS1_36segmented_radix_sort_config_selectorIllEEZNS1_25segmented_radix_sort_implIS3_Lb0EPKlPlS8_S9_N2at6native12_GLOBAL__N_18offset_tEEE10hipError_tPvRmT1_PNSt15iterator_traitsISH_E10value_typeET2_T3_PNSI_ISN_E10value_typeET4_jRbjT5_ST_jjP12ihipStream_tbEUlT_E0_NS1_11comp_targetILNS1_3genE4ELNS1_11target_archE910ELNS1_3gpuE8ELNS1_3repE0EEENS1_60segmented_radix_sort_warp_sort_medium_config_static_selectorELNS0_4arch9wavefront6targetE0EEEvSH_,comdat
	.globl	_ZN7rocprim17ROCPRIM_400000_NS6detail17trampoline_kernelINS0_14default_configENS1_36segmented_radix_sort_config_selectorIllEEZNS1_25segmented_radix_sort_implIS3_Lb0EPKlPlS8_S9_N2at6native12_GLOBAL__N_18offset_tEEE10hipError_tPvRmT1_PNSt15iterator_traitsISH_E10value_typeET2_T3_PNSI_ISN_E10value_typeET4_jRbjT5_ST_jjP12ihipStream_tbEUlT_E0_NS1_11comp_targetILNS1_3genE4ELNS1_11target_archE910ELNS1_3gpuE8ELNS1_3repE0EEENS1_60segmented_radix_sort_warp_sort_medium_config_static_selectorELNS0_4arch9wavefront6targetE0EEEvSH_ ; -- Begin function _ZN7rocprim17ROCPRIM_400000_NS6detail17trampoline_kernelINS0_14default_configENS1_36segmented_radix_sort_config_selectorIllEEZNS1_25segmented_radix_sort_implIS3_Lb0EPKlPlS8_S9_N2at6native12_GLOBAL__N_18offset_tEEE10hipError_tPvRmT1_PNSt15iterator_traitsISH_E10value_typeET2_T3_PNSI_ISN_E10value_typeET4_jRbjT5_ST_jjP12ihipStream_tbEUlT_E0_NS1_11comp_targetILNS1_3genE4ELNS1_11target_archE910ELNS1_3gpuE8ELNS1_3repE0EEENS1_60segmented_radix_sort_warp_sort_medium_config_static_selectorELNS0_4arch9wavefront6targetE0EEEvSH_
	.p2align	8
	.type	_ZN7rocprim17ROCPRIM_400000_NS6detail17trampoline_kernelINS0_14default_configENS1_36segmented_radix_sort_config_selectorIllEEZNS1_25segmented_radix_sort_implIS3_Lb0EPKlPlS8_S9_N2at6native12_GLOBAL__N_18offset_tEEE10hipError_tPvRmT1_PNSt15iterator_traitsISH_E10value_typeET2_T3_PNSI_ISN_E10value_typeET4_jRbjT5_ST_jjP12ihipStream_tbEUlT_E0_NS1_11comp_targetILNS1_3genE4ELNS1_11target_archE910ELNS1_3gpuE8ELNS1_3repE0EEENS1_60segmented_radix_sort_warp_sort_medium_config_static_selectorELNS0_4arch9wavefront6targetE0EEEvSH_,@function
_ZN7rocprim17ROCPRIM_400000_NS6detail17trampoline_kernelINS0_14default_configENS1_36segmented_radix_sort_config_selectorIllEEZNS1_25segmented_radix_sort_implIS3_Lb0EPKlPlS8_S9_N2at6native12_GLOBAL__N_18offset_tEEE10hipError_tPvRmT1_PNSt15iterator_traitsISH_E10value_typeET2_T3_PNSI_ISN_E10value_typeET4_jRbjT5_ST_jjP12ihipStream_tbEUlT_E0_NS1_11comp_targetILNS1_3genE4ELNS1_11target_archE910ELNS1_3gpuE8ELNS1_3repE0EEENS1_60segmented_radix_sort_warp_sort_medium_config_static_selectorELNS0_4arch9wavefront6targetE0EEEvSH_: ; @_ZN7rocprim17ROCPRIM_400000_NS6detail17trampoline_kernelINS0_14default_configENS1_36segmented_radix_sort_config_selectorIllEEZNS1_25segmented_radix_sort_implIS3_Lb0EPKlPlS8_S9_N2at6native12_GLOBAL__N_18offset_tEEE10hipError_tPvRmT1_PNSt15iterator_traitsISH_E10value_typeET2_T3_PNSI_ISN_E10value_typeET4_jRbjT5_ST_jjP12ihipStream_tbEUlT_E0_NS1_11comp_targetILNS1_3genE4ELNS1_11target_archE910ELNS1_3gpuE8ELNS1_3repE0EEENS1_60segmented_radix_sort_warp_sort_medium_config_static_selectorELNS0_4arch9wavefront6targetE0EEEvSH_
; %bb.0:
	.section	.rodata,"a",@progbits
	.p2align	6, 0x0
	.amdhsa_kernel _ZN7rocprim17ROCPRIM_400000_NS6detail17trampoline_kernelINS0_14default_configENS1_36segmented_radix_sort_config_selectorIllEEZNS1_25segmented_radix_sort_implIS3_Lb0EPKlPlS8_S9_N2at6native12_GLOBAL__N_18offset_tEEE10hipError_tPvRmT1_PNSt15iterator_traitsISH_E10value_typeET2_T3_PNSI_ISN_E10value_typeET4_jRbjT5_ST_jjP12ihipStream_tbEUlT_E0_NS1_11comp_targetILNS1_3genE4ELNS1_11target_archE910ELNS1_3gpuE8ELNS1_3repE0EEENS1_60segmented_radix_sort_warp_sort_medium_config_static_selectorELNS0_4arch9wavefront6targetE0EEEvSH_
		.amdhsa_group_segment_fixed_size 0
		.amdhsa_private_segment_fixed_size 0
		.amdhsa_kernarg_size 88
		.amdhsa_user_sgpr_count 15
		.amdhsa_user_sgpr_dispatch_ptr 0
		.amdhsa_user_sgpr_queue_ptr 0
		.amdhsa_user_sgpr_kernarg_segment_ptr 1
		.amdhsa_user_sgpr_dispatch_id 0
		.amdhsa_user_sgpr_private_segment_size 0
		.amdhsa_wavefront_size32 1
		.amdhsa_uses_dynamic_stack 0
		.amdhsa_enable_private_segment 0
		.amdhsa_system_sgpr_workgroup_id_x 1
		.amdhsa_system_sgpr_workgroup_id_y 0
		.amdhsa_system_sgpr_workgroup_id_z 0
		.amdhsa_system_sgpr_workgroup_info 0
		.amdhsa_system_vgpr_workitem_id 0
		.amdhsa_next_free_vgpr 1
		.amdhsa_next_free_sgpr 1
		.amdhsa_reserve_vcc 0
		.amdhsa_float_round_mode_32 0
		.amdhsa_float_round_mode_16_64 0
		.amdhsa_float_denorm_mode_32 3
		.amdhsa_float_denorm_mode_16_64 3
		.amdhsa_dx10_clamp 1
		.amdhsa_ieee_mode 1
		.amdhsa_fp16_overflow 0
		.amdhsa_workgroup_processor_mode 1
		.amdhsa_memory_ordered 1
		.amdhsa_forward_progress 0
		.amdhsa_shared_vgpr_count 0
		.amdhsa_exception_fp_ieee_invalid_op 0
		.amdhsa_exception_fp_denorm_src 0
		.amdhsa_exception_fp_ieee_div_zero 0
		.amdhsa_exception_fp_ieee_overflow 0
		.amdhsa_exception_fp_ieee_underflow 0
		.amdhsa_exception_fp_ieee_inexact 0
		.amdhsa_exception_int_div_zero 0
	.end_amdhsa_kernel
	.section	.text._ZN7rocprim17ROCPRIM_400000_NS6detail17trampoline_kernelINS0_14default_configENS1_36segmented_radix_sort_config_selectorIllEEZNS1_25segmented_radix_sort_implIS3_Lb0EPKlPlS8_S9_N2at6native12_GLOBAL__N_18offset_tEEE10hipError_tPvRmT1_PNSt15iterator_traitsISH_E10value_typeET2_T3_PNSI_ISN_E10value_typeET4_jRbjT5_ST_jjP12ihipStream_tbEUlT_E0_NS1_11comp_targetILNS1_3genE4ELNS1_11target_archE910ELNS1_3gpuE8ELNS1_3repE0EEENS1_60segmented_radix_sort_warp_sort_medium_config_static_selectorELNS0_4arch9wavefront6targetE0EEEvSH_,"axG",@progbits,_ZN7rocprim17ROCPRIM_400000_NS6detail17trampoline_kernelINS0_14default_configENS1_36segmented_radix_sort_config_selectorIllEEZNS1_25segmented_radix_sort_implIS3_Lb0EPKlPlS8_S9_N2at6native12_GLOBAL__N_18offset_tEEE10hipError_tPvRmT1_PNSt15iterator_traitsISH_E10value_typeET2_T3_PNSI_ISN_E10value_typeET4_jRbjT5_ST_jjP12ihipStream_tbEUlT_E0_NS1_11comp_targetILNS1_3genE4ELNS1_11target_archE910ELNS1_3gpuE8ELNS1_3repE0EEENS1_60segmented_radix_sort_warp_sort_medium_config_static_selectorELNS0_4arch9wavefront6targetE0EEEvSH_,comdat
.Lfunc_end819:
	.size	_ZN7rocprim17ROCPRIM_400000_NS6detail17trampoline_kernelINS0_14default_configENS1_36segmented_radix_sort_config_selectorIllEEZNS1_25segmented_radix_sort_implIS3_Lb0EPKlPlS8_S9_N2at6native12_GLOBAL__N_18offset_tEEE10hipError_tPvRmT1_PNSt15iterator_traitsISH_E10value_typeET2_T3_PNSI_ISN_E10value_typeET4_jRbjT5_ST_jjP12ihipStream_tbEUlT_E0_NS1_11comp_targetILNS1_3genE4ELNS1_11target_archE910ELNS1_3gpuE8ELNS1_3repE0EEENS1_60segmented_radix_sort_warp_sort_medium_config_static_selectorELNS0_4arch9wavefront6targetE0EEEvSH_, .Lfunc_end819-_ZN7rocprim17ROCPRIM_400000_NS6detail17trampoline_kernelINS0_14default_configENS1_36segmented_radix_sort_config_selectorIllEEZNS1_25segmented_radix_sort_implIS3_Lb0EPKlPlS8_S9_N2at6native12_GLOBAL__N_18offset_tEEE10hipError_tPvRmT1_PNSt15iterator_traitsISH_E10value_typeET2_T3_PNSI_ISN_E10value_typeET4_jRbjT5_ST_jjP12ihipStream_tbEUlT_E0_NS1_11comp_targetILNS1_3genE4ELNS1_11target_archE910ELNS1_3gpuE8ELNS1_3repE0EEENS1_60segmented_radix_sort_warp_sort_medium_config_static_selectorELNS0_4arch9wavefront6targetE0EEEvSH_
                                        ; -- End function
	.section	.AMDGPU.csdata,"",@progbits
; Kernel info:
; codeLenInByte = 0
; NumSgprs: 0
; NumVgprs: 0
; ScratchSize: 0
; MemoryBound: 0
; FloatMode: 240
; IeeeMode: 1
; LDSByteSize: 0 bytes/workgroup (compile time only)
; SGPRBlocks: 0
; VGPRBlocks: 0
; NumSGPRsForWavesPerEU: 1
; NumVGPRsForWavesPerEU: 1
; Occupancy: 16
; WaveLimiterHint : 0
; COMPUTE_PGM_RSRC2:SCRATCH_EN: 0
; COMPUTE_PGM_RSRC2:USER_SGPR: 15
; COMPUTE_PGM_RSRC2:TRAP_HANDLER: 0
; COMPUTE_PGM_RSRC2:TGID_X_EN: 1
; COMPUTE_PGM_RSRC2:TGID_Y_EN: 0
; COMPUTE_PGM_RSRC2:TGID_Z_EN: 0
; COMPUTE_PGM_RSRC2:TIDIG_COMP_CNT: 0
	.section	.text._ZN7rocprim17ROCPRIM_400000_NS6detail17trampoline_kernelINS0_14default_configENS1_36segmented_radix_sort_config_selectorIllEEZNS1_25segmented_radix_sort_implIS3_Lb0EPKlPlS8_S9_N2at6native12_GLOBAL__N_18offset_tEEE10hipError_tPvRmT1_PNSt15iterator_traitsISH_E10value_typeET2_T3_PNSI_ISN_E10value_typeET4_jRbjT5_ST_jjP12ihipStream_tbEUlT_E0_NS1_11comp_targetILNS1_3genE3ELNS1_11target_archE908ELNS1_3gpuE7ELNS1_3repE0EEENS1_60segmented_radix_sort_warp_sort_medium_config_static_selectorELNS0_4arch9wavefront6targetE0EEEvSH_,"axG",@progbits,_ZN7rocprim17ROCPRIM_400000_NS6detail17trampoline_kernelINS0_14default_configENS1_36segmented_radix_sort_config_selectorIllEEZNS1_25segmented_radix_sort_implIS3_Lb0EPKlPlS8_S9_N2at6native12_GLOBAL__N_18offset_tEEE10hipError_tPvRmT1_PNSt15iterator_traitsISH_E10value_typeET2_T3_PNSI_ISN_E10value_typeET4_jRbjT5_ST_jjP12ihipStream_tbEUlT_E0_NS1_11comp_targetILNS1_3genE3ELNS1_11target_archE908ELNS1_3gpuE7ELNS1_3repE0EEENS1_60segmented_radix_sort_warp_sort_medium_config_static_selectorELNS0_4arch9wavefront6targetE0EEEvSH_,comdat
	.globl	_ZN7rocprim17ROCPRIM_400000_NS6detail17trampoline_kernelINS0_14default_configENS1_36segmented_radix_sort_config_selectorIllEEZNS1_25segmented_radix_sort_implIS3_Lb0EPKlPlS8_S9_N2at6native12_GLOBAL__N_18offset_tEEE10hipError_tPvRmT1_PNSt15iterator_traitsISH_E10value_typeET2_T3_PNSI_ISN_E10value_typeET4_jRbjT5_ST_jjP12ihipStream_tbEUlT_E0_NS1_11comp_targetILNS1_3genE3ELNS1_11target_archE908ELNS1_3gpuE7ELNS1_3repE0EEENS1_60segmented_radix_sort_warp_sort_medium_config_static_selectorELNS0_4arch9wavefront6targetE0EEEvSH_ ; -- Begin function _ZN7rocprim17ROCPRIM_400000_NS6detail17trampoline_kernelINS0_14default_configENS1_36segmented_radix_sort_config_selectorIllEEZNS1_25segmented_radix_sort_implIS3_Lb0EPKlPlS8_S9_N2at6native12_GLOBAL__N_18offset_tEEE10hipError_tPvRmT1_PNSt15iterator_traitsISH_E10value_typeET2_T3_PNSI_ISN_E10value_typeET4_jRbjT5_ST_jjP12ihipStream_tbEUlT_E0_NS1_11comp_targetILNS1_3genE3ELNS1_11target_archE908ELNS1_3gpuE7ELNS1_3repE0EEENS1_60segmented_radix_sort_warp_sort_medium_config_static_selectorELNS0_4arch9wavefront6targetE0EEEvSH_
	.p2align	8
	.type	_ZN7rocprim17ROCPRIM_400000_NS6detail17trampoline_kernelINS0_14default_configENS1_36segmented_radix_sort_config_selectorIllEEZNS1_25segmented_radix_sort_implIS3_Lb0EPKlPlS8_S9_N2at6native12_GLOBAL__N_18offset_tEEE10hipError_tPvRmT1_PNSt15iterator_traitsISH_E10value_typeET2_T3_PNSI_ISN_E10value_typeET4_jRbjT5_ST_jjP12ihipStream_tbEUlT_E0_NS1_11comp_targetILNS1_3genE3ELNS1_11target_archE908ELNS1_3gpuE7ELNS1_3repE0EEENS1_60segmented_radix_sort_warp_sort_medium_config_static_selectorELNS0_4arch9wavefront6targetE0EEEvSH_,@function
_ZN7rocprim17ROCPRIM_400000_NS6detail17trampoline_kernelINS0_14default_configENS1_36segmented_radix_sort_config_selectorIllEEZNS1_25segmented_radix_sort_implIS3_Lb0EPKlPlS8_S9_N2at6native12_GLOBAL__N_18offset_tEEE10hipError_tPvRmT1_PNSt15iterator_traitsISH_E10value_typeET2_T3_PNSI_ISN_E10value_typeET4_jRbjT5_ST_jjP12ihipStream_tbEUlT_E0_NS1_11comp_targetILNS1_3genE3ELNS1_11target_archE908ELNS1_3gpuE7ELNS1_3repE0EEENS1_60segmented_radix_sort_warp_sort_medium_config_static_selectorELNS0_4arch9wavefront6targetE0EEEvSH_: ; @_ZN7rocprim17ROCPRIM_400000_NS6detail17trampoline_kernelINS0_14default_configENS1_36segmented_radix_sort_config_selectorIllEEZNS1_25segmented_radix_sort_implIS3_Lb0EPKlPlS8_S9_N2at6native12_GLOBAL__N_18offset_tEEE10hipError_tPvRmT1_PNSt15iterator_traitsISH_E10value_typeET2_T3_PNSI_ISN_E10value_typeET4_jRbjT5_ST_jjP12ihipStream_tbEUlT_E0_NS1_11comp_targetILNS1_3genE3ELNS1_11target_archE908ELNS1_3gpuE7ELNS1_3repE0EEENS1_60segmented_radix_sort_warp_sort_medium_config_static_selectorELNS0_4arch9wavefront6targetE0EEEvSH_
; %bb.0:
	.section	.rodata,"a",@progbits
	.p2align	6, 0x0
	.amdhsa_kernel _ZN7rocprim17ROCPRIM_400000_NS6detail17trampoline_kernelINS0_14default_configENS1_36segmented_radix_sort_config_selectorIllEEZNS1_25segmented_radix_sort_implIS3_Lb0EPKlPlS8_S9_N2at6native12_GLOBAL__N_18offset_tEEE10hipError_tPvRmT1_PNSt15iterator_traitsISH_E10value_typeET2_T3_PNSI_ISN_E10value_typeET4_jRbjT5_ST_jjP12ihipStream_tbEUlT_E0_NS1_11comp_targetILNS1_3genE3ELNS1_11target_archE908ELNS1_3gpuE7ELNS1_3repE0EEENS1_60segmented_radix_sort_warp_sort_medium_config_static_selectorELNS0_4arch9wavefront6targetE0EEEvSH_
		.amdhsa_group_segment_fixed_size 0
		.amdhsa_private_segment_fixed_size 0
		.amdhsa_kernarg_size 88
		.amdhsa_user_sgpr_count 15
		.amdhsa_user_sgpr_dispatch_ptr 0
		.amdhsa_user_sgpr_queue_ptr 0
		.amdhsa_user_sgpr_kernarg_segment_ptr 1
		.amdhsa_user_sgpr_dispatch_id 0
		.amdhsa_user_sgpr_private_segment_size 0
		.amdhsa_wavefront_size32 1
		.amdhsa_uses_dynamic_stack 0
		.amdhsa_enable_private_segment 0
		.amdhsa_system_sgpr_workgroup_id_x 1
		.amdhsa_system_sgpr_workgroup_id_y 0
		.amdhsa_system_sgpr_workgroup_id_z 0
		.amdhsa_system_sgpr_workgroup_info 0
		.amdhsa_system_vgpr_workitem_id 0
		.amdhsa_next_free_vgpr 1
		.amdhsa_next_free_sgpr 1
		.amdhsa_reserve_vcc 0
		.amdhsa_float_round_mode_32 0
		.amdhsa_float_round_mode_16_64 0
		.amdhsa_float_denorm_mode_32 3
		.amdhsa_float_denorm_mode_16_64 3
		.amdhsa_dx10_clamp 1
		.amdhsa_ieee_mode 1
		.amdhsa_fp16_overflow 0
		.amdhsa_workgroup_processor_mode 1
		.amdhsa_memory_ordered 1
		.amdhsa_forward_progress 0
		.amdhsa_shared_vgpr_count 0
		.amdhsa_exception_fp_ieee_invalid_op 0
		.amdhsa_exception_fp_denorm_src 0
		.amdhsa_exception_fp_ieee_div_zero 0
		.amdhsa_exception_fp_ieee_overflow 0
		.amdhsa_exception_fp_ieee_underflow 0
		.amdhsa_exception_fp_ieee_inexact 0
		.amdhsa_exception_int_div_zero 0
	.end_amdhsa_kernel
	.section	.text._ZN7rocprim17ROCPRIM_400000_NS6detail17trampoline_kernelINS0_14default_configENS1_36segmented_radix_sort_config_selectorIllEEZNS1_25segmented_radix_sort_implIS3_Lb0EPKlPlS8_S9_N2at6native12_GLOBAL__N_18offset_tEEE10hipError_tPvRmT1_PNSt15iterator_traitsISH_E10value_typeET2_T3_PNSI_ISN_E10value_typeET4_jRbjT5_ST_jjP12ihipStream_tbEUlT_E0_NS1_11comp_targetILNS1_3genE3ELNS1_11target_archE908ELNS1_3gpuE7ELNS1_3repE0EEENS1_60segmented_radix_sort_warp_sort_medium_config_static_selectorELNS0_4arch9wavefront6targetE0EEEvSH_,"axG",@progbits,_ZN7rocprim17ROCPRIM_400000_NS6detail17trampoline_kernelINS0_14default_configENS1_36segmented_radix_sort_config_selectorIllEEZNS1_25segmented_radix_sort_implIS3_Lb0EPKlPlS8_S9_N2at6native12_GLOBAL__N_18offset_tEEE10hipError_tPvRmT1_PNSt15iterator_traitsISH_E10value_typeET2_T3_PNSI_ISN_E10value_typeET4_jRbjT5_ST_jjP12ihipStream_tbEUlT_E0_NS1_11comp_targetILNS1_3genE3ELNS1_11target_archE908ELNS1_3gpuE7ELNS1_3repE0EEENS1_60segmented_radix_sort_warp_sort_medium_config_static_selectorELNS0_4arch9wavefront6targetE0EEEvSH_,comdat
.Lfunc_end820:
	.size	_ZN7rocprim17ROCPRIM_400000_NS6detail17trampoline_kernelINS0_14default_configENS1_36segmented_radix_sort_config_selectorIllEEZNS1_25segmented_radix_sort_implIS3_Lb0EPKlPlS8_S9_N2at6native12_GLOBAL__N_18offset_tEEE10hipError_tPvRmT1_PNSt15iterator_traitsISH_E10value_typeET2_T3_PNSI_ISN_E10value_typeET4_jRbjT5_ST_jjP12ihipStream_tbEUlT_E0_NS1_11comp_targetILNS1_3genE3ELNS1_11target_archE908ELNS1_3gpuE7ELNS1_3repE0EEENS1_60segmented_radix_sort_warp_sort_medium_config_static_selectorELNS0_4arch9wavefront6targetE0EEEvSH_, .Lfunc_end820-_ZN7rocprim17ROCPRIM_400000_NS6detail17trampoline_kernelINS0_14default_configENS1_36segmented_radix_sort_config_selectorIllEEZNS1_25segmented_radix_sort_implIS3_Lb0EPKlPlS8_S9_N2at6native12_GLOBAL__N_18offset_tEEE10hipError_tPvRmT1_PNSt15iterator_traitsISH_E10value_typeET2_T3_PNSI_ISN_E10value_typeET4_jRbjT5_ST_jjP12ihipStream_tbEUlT_E0_NS1_11comp_targetILNS1_3genE3ELNS1_11target_archE908ELNS1_3gpuE7ELNS1_3repE0EEENS1_60segmented_radix_sort_warp_sort_medium_config_static_selectorELNS0_4arch9wavefront6targetE0EEEvSH_
                                        ; -- End function
	.section	.AMDGPU.csdata,"",@progbits
; Kernel info:
; codeLenInByte = 0
; NumSgprs: 0
; NumVgprs: 0
; ScratchSize: 0
; MemoryBound: 0
; FloatMode: 240
; IeeeMode: 1
; LDSByteSize: 0 bytes/workgroup (compile time only)
; SGPRBlocks: 0
; VGPRBlocks: 0
; NumSGPRsForWavesPerEU: 1
; NumVGPRsForWavesPerEU: 1
; Occupancy: 16
; WaveLimiterHint : 0
; COMPUTE_PGM_RSRC2:SCRATCH_EN: 0
; COMPUTE_PGM_RSRC2:USER_SGPR: 15
; COMPUTE_PGM_RSRC2:TRAP_HANDLER: 0
; COMPUTE_PGM_RSRC2:TGID_X_EN: 1
; COMPUTE_PGM_RSRC2:TGID_Y_EN: 0
; COMPUTE_PGM_RSRC2:TGID_Z_EN: 0
; COMPUTE_PGM_RSRC2:TIDIG_COMP_CNT: 0
	.section	.text._ZN7rocprim17ROCPRIM_400000_NS6detail17trampoline_kernelINS0_14default_configENS1_36segmented_radix_sort_config_selectorIllEEZNS1_25segmented_radix_sort_implIS3_Lb0EPKlPlS8_S9_N2at6native12_GLOBAL__N_18offset_tEEE10hipError_tPvRmT1_PNSt15iterator_traitsISH_E10value_typeET2_T3_PNSI_ISN_E10value_typeET4_jRbjT5_ST_jjP12ihipStream_tbEUlT_E0_NS1_11comp_targetILNS1_3genE2ELNS1_11target_archE906ELNS1_3gpuE6ELNS1_3repE0EEENS1_60segmented_radix_sort_warp_sort_medium_config_static_selectorELNS0_4arch9wavefront6targetE0EEEvSH_,"axG",@progbits,_ZN7rocprim17ROCPRIM_400000_NS6detail17trampoline_kernelINS0_14default_configENS1_36segmented_radix_sort_config_selectorIllEEZNS1_25segmented_radix_sort_implIS3_Lb0EPKlPlS8_S9_N2at6native12_GLOBAL__N_18offset_tEEE10hipError_tPvRmT1_PNSt15iterator_traitsISH_E10value_typeET2_T3_PNSI_ISN_E10value_typeET4_jRbjT5_ST_jjP12ihipStream_tbEUlT_E0_NS1_11comp_targetILNS1_3genE2ELNS1_11target_archE906ELNS1_3gpuE6ELNS1_3repE0EEENS1_60segmented_radix_sort_warp_sort_medium_config_static_selectorELNS0_4arch9wavefront6targetE0EEEvSH_,comdat
	.globl	_ZN7rocprim17ROCPRIM_400000_NS6detail17trampoline_kernelINS0_14default_configENS1_36segmented_radix_sort_config_selectorIllEEZNS1_25segmented_radix_sort_implIS3_Lb0EPKlPlS8_S9_N2at6native12_GLOBAL__N_18offset_tEEE10hipError_tPvRmT1_PNSt15iterator_traitsISH_E10value_typeET2_T3_PNSI_ISN_E10value_typeET4_jRbjT5_ST_jjP12ihipStream_tbEUlT_E0_NS1_11comp_targetILNS1_3genE2ELNS1_11target_archE906ELNS1_3gpuE6ELNS1_3repE0EEENS1_60segmented_radix_sort_warp_sort_medium_config_static_selectorELNS0_4arch9wavefront6targetE0EEEvSH_ ; -- Begin function _ZN7rocprim17ROCPRIM_400000_NS6detail17trampoline_kernelINS0_14default_configENS1_36segmented_radix_sort_config_selectorIllEEZNS1_25segmented_radix_sort_implIS3_Lb0EPKlPlS8_S9_N2at6native12_GLOBAL__N_18offset_tEEE10hipError_tPvRmT1_PNSt15iterator_traitsISH_E10value_typeET2_T3_PNSI_ISN_E10value_typeET4_jRbjT5_ST_jjP12ihipStream_tbEUlT_E0_NS1_11comp_targetILNS1_3genE2ELNS1_11target_archE906ELNS1_3gpuE6ELNS1_3repE0EEENS1_60segmented_radix_sort_warp_sort_medium_config_static_selectorELNS0_4arch9wavefront6targetE0EEEvSH_
	.p2align	8
	.type	_ZN7rocprim17ROCPRIM_400000_NS6detail17trampoline_kernelINS0_14default_configENS1_36segmented_radix_sort_config_selectorIllEEZNS1_25segmented_radix_sort_implIS3_Lb0EPKlPlS8_S9_N2at6native12_GLOBAL__N_18offset_tEEE10hipError_tPvRmT1_PNSt15iterator_traitsISH_E10value_typeET2_T3_PNSI_ISN_E10value_typeET4_jRbjT5_ST_jjP12ihipStream_tbEUlT_E0_NS1_11comp_targetILNS1_3genE2ELNS1_11target_archE906ELNS1_3gpuE6ELNS1_3repE0EEENS1_60segmented_radix_sort_warp_sort_medium_config_static_selectorELNS0_4arch9wavefront6targetE0EEEvSH_,@function
_ZN7rocprim17ROCPRIM_400000_NS6detail17trampoline_kernelINS0_14default_configENS1_36segmented_radix_sort_config_selectorIllEEZNS1_25segmented_radix_sort_implIS3_Lb0EPKlPlS8_S9_N2at6native12_GLOBAL__N_18offset_tEEE10hipError_tPvRmT1_PNSt15iterator_traitsISH_E10value_typeET2_T3_PNSI_ISN_E10value_typeET4_jRbjT5_ST_jjP12ihipStream_tbEUlT_E0_NS1_11comp_targetILNS1_3genE2ELNS1_11target_archE906ELNS1_3gpuE6ELNS1_3repE0EEENS1_60segmented_radix_sort_warp_sort_medium_config_static_selectorELNS0_4arch9wavefront6targetE0EEEvSH_: ; @_ZN7rocprim17ROCPRIM_400000_NS6detail17trampoline_kernelINS0_14default_configENS1_36segmented_radix_sort_config_selectorIllEEZNS1_25segmented_radix_sort_implIS3_Lb0EPKlPlS8_S9_N2at6native12_GLOBAL__N_18offset_tEEE10hipError_tPvRmT1_PNSt15iterator_traitsISH_E10value_typeET2_T3_PNSI_ISN_E10value_typeET4_jRbjT5_ST_jjP12ihipStream_tbEUlT_E0_NS1_11comp_targetILNS1_3genE2ELNS1_11target_archE906ELNS1_3gpuE6ELNS1_3repE0EEENS1_60segmented_radix_sort_warp_sort_medium_config_static_selectorELNS0_4arch9wavefront6targetE0EEEvSH_
; %bb.0:
	.section	.rodata,"a",@progbits
	.p2align	6, 0x0
	.amdhsa_kernel _ZN7rocprim17ROCPRIM_400000_NS6detail17trampoline_kernelINS0_14default_configENS1_36segmented_radix_sort_config_selectorIllEEZNS1_25segmented_radix_sort_implIS3_Lb0EPKlPlS8_S9_N2at6native12_GLOBAL__N_18offset_tEEE10hipError_tPvRmT1_PNSt15iterator_traitsISH_E10value_typeET2_T3_PNSI_ISN_E10value_typeET4_jRbjT5_ST_jjP12ihipStream_tbEUlT_E0_NS1_11comp_targetILNS1_3genE2ELNS1_11target_archE906ELNS1_3gpuE6ELNS1_3repE0EEENS1_60segmented_radix_sort_warp_sort_medium_config_static_selectorELNS0_4arch9wavefront6targetE0EEEvSH_
		.amdhsa_group_segment_fixed_size 0
		.amdhsa_private_segment_fixed_size 0
		.amdhsa_kernarg_size 88
		.amdhsa_user_sgpr_count 15
		.amdhsa_user_sgpr_dispatch_ptr 0
		.amdhsa_user_sgpr_queue_ptr 0
		.amdhsa_user_sgpr_kernarg_segment_ptr 1
		.amdhsa_user_sgpr_dispatch_id 0
		.amdhsa_user_sgpr_private_segment_size 0
		.amdhsa_wavefront_size32 1
		.amdhsa_uses_dynamic_stack 0
		.amdhsa_enable_private_segment 0
		.amdhsa_system_sgpr_workgroup_id_x 1
		.amdhsa_system_sgpr_workgroup_id_y 0
		.amdhsa_system_sgpr_workgroup_id_z 0
		.amdhsa_system_sgpr_workgroup_info 0
		.amdhsa_system_vgpr_workitem_id 0
		.amdhsa_next_free_vgpr 1
		.amdhsa_next_free_sgpr 1
		.amdhsa_reserve_vcc 0
		.amdhsa_float_round_mode_32 0
		.amdhsa_float_round_mode_16_64 0
		.amdhsa_float_denorm_mode_32 3
		.amdhsa_float_denorm_mode_16_64 3
		.amdhsa_dx10_clamp 1
		.amdhsa_ieee_mode 1
		.amdhsa_fp16_overflow 0
		.amdhsa_workgroup_processor_mode 1
		.amdhsa_memory_ordered 1
		.amdhsa_forward_progress 0
		.amdhsa_shared_vgpr_count 0
		.amdhsa_exception_fp_ieee_invalid_op 0
		.amdhsa_exception_fp_denorm_src 0
		.amdhsa_exception_fp_ieee_div_zero 0
		.amdhsa_exception_fp_ieee_overflow 0
		.amdhsa_exception_fp_ieee_underflow 0
		.amdhsa_exception_fp_ieee_inexact 0
		.amdhsa_exception_int_div_zero 0
	.end_amdhsa_kernel
	.section	.text._ZN7rocprim17ROCPRIM_400000_NS6detail17trampoline_kernelINS0_14default_configENS1_36segmented_radix_sort_config_selectorIllEEZNS1_25segmented_radix_sort_implIS3_Lb0EPKlPlS8_S9_N2at6native12_GLOBAL__N_18offset_tEEE10hipError_tPvRmT1_PNSt15iterator_traitsISH_E10value_typeET2_T3_PNSI_ISN_E10value_typeET4_jRbjT5_ST_jjP12ihipStream_tbEUlT_E0_NS1_11comp_targetILNS1_3genE2ELNS1_11target_archE906ELNS1_3gpuE6ELNS1_3repE0EEENS1_60segmented_radix_sort_warp_sort_medium_config_static_selectorELNS0_4arch9wavefront6targetE0EEEvSH_,"axG",@progbits,_ZN7rocprim17ROCPRIM_400000_NS6detail17trampoline_kernelINS0_14default_configENS1_36segmented_radix_sort_config_selectorIllEEZNS1_25segmented_radix_sort_implIS3_Lb0EPKlPlS8_S9_N2at6native12_GLOBAL__N_18offset_tEEE10hipError_tPvRmT1_PNSt15iterator_traitsISH_E10value_typeET2_T3_PNSI_ISN_E10value_typeET4_jRbjT5_ST_jjP12ihipStream_tbEUlT_E0_NS1_11comp_targetILNS1_3genE2ELNS1_11target_archE906ELNS1_3gpuE6ELNS1_3repE0EEENS1_60segmented_radix_sort_warp_sort_medium_config_static_selectorELNS0_4arch9wavefront6targetE0EEEvSH_,comdat
.Lfunc_end821:
	.size	_ZN7rocprim17ROCPRIM_400000_NS6detail17trampoline_kernelINS0_14default_configENS1_36segmented_radix_sort_config_selectorIllEEZNS1_25segmented_radix_sort_implIS3_Lb0EPKlPlS8_S9_N2at6native12_GLOBAL__N_18offset_tEEE10hipError_tPvRmT1_PNSt15iterator_traitsISH_E10value_typeET2_T3_PNSI_ISN_E10value_typeET4_jRbjT5_ST_jjP12ihipStream_tbEUlT_E0_NS1_11comp_targetILNS1_3genE2ELNS1_11target_archE906ELNS1_3gpuE6ELNS1_3repE0EEENS1_60segmented_radix_sort_warp_sort_medium_config_static_selectorELNS0_4arch9wavefront6targetE0EEEvSH_, .Lfunc_end821-_ZN7rocprim17ROCPRIM_400000_NS6detail17trampoline_kernelINS0_14default_configENS1_36segmented_radix_sort_config_selectorIllEEZNS1_25segmented_radix_sort_implIS3_Lb0EPKlPlS8_S9_N2at6native12_GLOBAL__N_18offset_tEEE10hipError_tPvRmT1_PNSt15iterator_traitsISH_E10value_typeET2_T3_PNSI_ISN_E10value_typeET4_jRbjT5_ST_jjP12ihipStream_tbEUlT_E0_NS1_11comp_targetILNS1_3genE2ELNS1_11target_archE906ELNS1_3gpuE6ELNS1_3repE0EEENS1_60segmented_radix_sort_warp_sort_medium_config_static_selectorELNS0_4arch9wavefront6targetE0EEEvSH_
                                        ; -- End function
	.section	.AMDGPU.csdata,"",@progbits
; Kernel info:
; codeLenInByte = 0
; NumSgprs: 0
; NumVgprs: 0
; ScratchSize: 0
; MemoryBound: 0
; FloatMode: 240
; IeeeMode: 1
; LDSByteSize: 0 bytes/workgroup (compile time only)
; SGPRBlocks: 0
; VGPRBlocks: 0
; NumSGPRsForWavesPerEU: 1
; NumVGPRsForWavesPerEU: 1
; Occupancy: 16
; WaveLimiterHint : 0
; COMPUTE_PGM_RSRC2:SCRATCH_EN: 0
; COMPUTE_PGM_RSRC2:USER_SGPR: 15
; COMPUTE_PGM_RSRC2:TRAP_HANDLER: 0
; COMPUTE_PGM_RSRC2:TGID_X_EN: 1
; COMPUTE_PGM_RSRC2:TGID_Y_EN: 0
; COMPUTE_PGM_RSRC2:TGID_Z_EN: 0
; COMPUTE_PGM_RSRC2:TIDIG_COMP_CNT: 0
	.section	.text._ZN7rocprim17ROCPRIM_400000_NS6detail17trampoline_kernelINS0_14default_configENS1_36segmented_radix_sort_config_selectorIllEEZNS1_25segmented_radix_sort_implIS3_Lb0EPKlPlS8_S9_N2at6native12_GLOBAL__N_18offset_tEEE10hipError_tPvRmT1_PNSt15iterator_traitsISH_E10value_typeET2_T3_PNSI_ISN_E10value_typeET4_jRbjT5_ST_jjP12ihipStream_tbEUlT_E0_NS1_11comp_targetILNS1_3genE10ELNS1_11target_archE1201ELNS1_3gpuE5ELNS1_3repE0EEENS1_60segmented_radix_sort_warp_sort_medium_config_static_selectorELNS0_4arch9wavefront6targetE0EEEvSH_,"axG",@progbits,_ZN7rocprim17ROCPRIM_400000_NS6detail17trampoline_kernelINS0_14default_configENS1_36segmented_radix_sort_config_selectorIllEEZNS1_25segmented_radix_sort_implIS3_Lb0EPKlPlS8_S9_N2at6native12_GLOBAL__N_18offset_tEEE10hipError_tPvRmT1_PNSt15iterator_traitsISH_E10value_typeET2_T3_PNSI_ISN_E10value_typeET4_jRbjT5_ST_jjP12ihipStream_tbEUlT_E0_NS1_11comp_targetILNS1_3genE10ELNS1_11target_archE1201ELNS1_3gpuE5ELNS1_3repE0EEENS1_60segmented_radix_sort_warp_sort_medium_config_static_selectorELNS0_4arch9wavefront6targetE0EEEvSH_,comdat
	.globl	_ZN7rocprim17ROCPRIM_400000_NS6detail17trampoline_kernelINS0_14default_configENS1_36segmented_radix_sort_config_selectorIllEEZNS1_25segmented_radix_sort_implIS3_Lb0EPKlPlS8_S9_N2at6native12_GLOBAL__N_18offset_tEEE10hipError_tPvRmT1_PNSt15iterator_traitsISH_E10value_typeET2_T3_PNSI_ISN_E10value_typeET4_jRbjT5_ST_jjP12ihipStream_tbEUlT_E0_NS1_11comp_targetILNS1_3genE10ELNS1_11target_archE1201ELNS1_3gpuE5ELNS1_3repE0EEENS1_60segmented_radix_sort_warp_sort_medium_config_static_selectorELNS0_4arch9wavefront6targetE0EEEvSH_ ; -- Begin function _ZN7rocprim17ROCPRIM_400000_NS6detail17trampoline_kernelINS0_14default_configENS1_36segmented_radix_sort_config_selectorIllEEZNS1_25segmented_radix_sort_implIS3_Lb0EPKlPlS8_S9_N2at6native12_GLOBAL__N_18offset_tEEE10hipError_tPvRmT1_PNSt15iterator_traitsISH_E10value_typeET2_T3_PNSI_ISN_E10value_typeET4_jRbjT5_ST_jjP12ihipStream_tbEUlT_E0_NS1_11comp_targetILNS1_3genE10ELNS1_11target_archE1201ELNS1_3gpuE5ELNS1_3repE0EEENS1_60segmented_radix_sort_warp_sort_medium_config_static_selectorELNS0_4arch9wavefront6targetE0EEEvSH_
	.p2align	8
	.type	_ZN7rocprim17ROCPRIM_400000_NS6detail17trampoline_kernelINS0_14default_configENS1_36segmented_radix_sort_config_selectorIllEEZNS1_25segmented_radix_sort_implIS3_Lb0EPKlPlS8_S9_N2at6native12_GLOBAL__N_18offset_tEEE10hipError_tPvRmT1_PNSt15iterator_traitsISH_E10value_typeET2_T3_PNSI_ISN_E10value_typeET4_jRbjT5_ST_jjP12ihipStream_tbEUlT_E0_NS1_11comp_targetILNS1_3genE10ELNS1_11target_archE1201ELNS1_3gpuE5ELNS1_3repE0EEENS1_60segmented_radix_sort_warp_sort_medium_config_static_selectorELNS0_4arch9wavefront6targetE0EEEvSH_,@function
_ZN7rocprim17ROCPRIM_400000_NS6detail17trampoline_kernelINS0_14default_configENS1_36segmented_radix_sort_config_selectorIllEEZNS1_25segmented_radix_sort_implIS3_Lb0EPKlPlS8_S9_N2at6native12_GLOBAL__N_18offset_tEEE10hipError_tPvRmT1_PNSt15iterator_traitsISH_E10value_typeET2_T3_PNSI_ISN_E10value_typeET4_jRbjT5_ST_jjP12ihipStream_tbEUlT_E0_NS1_11comp_targetILNS1_3genE10ELNS1_11target_archE1201ELNS1_3gpuE5ELNS1_3repE0EEENS1_60segmented_radix_sort_warp_sort_medium_config_static_selectorELNS0_4arch9wavefront6targetE0EEEvSH_: ; @_ZN7rocprim17ROCPRIM_400000_NS6detail17trampoline_kernelINS0_14default_configENS1_36segmented_radix_sort_config_selectorIllEEZNS1_25segmented_radix_sort_implIS3_Lb0EPKlPlS8_S9_N2at6native12_GLOBAL__N_18offset_tEEE10hipError_tPvRmT1_PNSt15iterator_traitsISH_E10value_typeET2_T3_PNSI_ISN_E10value_typeET4_jRbjT5_ST_jjP12ihipStream_tbEUlT_E0_NS1_11comp_targetILNS1_3genE10ELNS1_11target_archE1201ELNS1_3gpuE5ELNS1_3repE0EEENS1_60segmented_radix_sort_warp_sort_medium_config_static_selectorELNS0_4arch9wavefront6targetE0EEEvSH_
; %bb.0:
	.section	.rodata,"a",@progbits
	.p2align	6, 0x0
	.amdhsa_kernel _ZN7rocprim17ROCPRIM_400000_NS6detail17trampoline_kernelINS0_14default_configENS1_36segmented_radix_sort_config_selectorIllEEZNS1_25segmented_radix_sort_implIS3_Lb0EPKlPlS8_S9_N2at6native12_GLOBAL__N_18offset_tEEE10hipError_tPvRmT1_PNSt15iterator_traitsISH_E10value_typeET2_T3_PNSI_ISN_E10value_typeET4_jRbjT5_ST_jjP12ihipStream_tbEUlT_E0_NS1_11comp_targetILNS1_3genE10ELNS1_11target_archE1201ELNS1_3gpuE5ELNS1_3repE0EEENS1_60segmented_radix_sort_warp_sort_medium_config_static_selectorELNS0_4arch9wavefront6targetE0EEEvSH_
		.amdhsa_group_segment_fixed_size 0
		.amdhsa_private_segment_fixed_size 0
		.amdhsa_kernarg_size 88
		.amdhsa_user_sgpr_count 15
		.amdhsa_user_sgpr_dispatch_ptr 0
		.amdhsa_user_sgpr_queue_ptr 0
		.amdhsa_user_sgpr_kernarg_segment_ptr 1
		.amdhsa_user_sgpr_dispatch_id 0
		.amdhsa_user_sgpr_private_segment_size 0
		.amdhsa_wavefront_size32 1
		.amdhsa_uses_dynamic_stack 0
		.amdhsa_enable_private_segment 0
		.amdhsa_system_sgpr_workgroup_id_x 1
		.amdhsa_system_sgpr_workgroup_id_y 0
		.amdhsa_system_sgpr_workgroup_id_z 0
		.amdhsa_system_sgpr_workgroup_info 0
		.amdhsa_system_vgpr_workitem_id 0
		.amdhsa_next_free_vgpr 1
		.amdhsa_next_free_sgpr 1
		.amdhsa_reserve_vcc 0
		.amdhsa_float_round_mode_32 0
		.amdhsa_float_round_mode_16_64 0
		.amdhsa_float_denorm_mode_32 3
		.amdhsa_float_denorm_mode_16_64 3
		.amdhsa_dx10_clamp 1
		.amdhsa_ieee_mode 1
		.amdhsa_fp16_overflow 0
		.amdhsa_workgroup_processor_mode 1
		.amdhsa_memory_ordered 1
		.amdhsa_forward_progress 0
		.amdhsa_shared_vgpr_count 0
		.amdhsa_exception_fp_ieee_invalid_op 0
		.amdhsa_exception_fp_denorm_src 0
		.amdhsa_exception_fp_ieee_div_zero 0
		.amdhsa_exception_fp_ieee_overflow 0
		.amdhsa_exception_fp_ieee_underflow 0
		.amdhsa_exception_fp_ieee_inexact 0
		.amdhsa_exception_int_div_zero 0
	.end_amdhsa_kernel
	.section	.text._ZN7rocprim17ROCPRIM_400000_NS6detail17trampoline_kernelINS0_14default_configENS1_36segmented_radix_sort_config_selectorIllEEZNS1_25segmented_radix_sort_implIS3_Lb0EPKlPlS8_S9_N2at6native12_GLOBAL__N_18offset_tEEE10hipError_tPvRmT1_PNSt15iterator_traitsISH_E10value_typeET2_T3_PNSI_ISN_E10value_typeET4_jRbjT5_ST_jjP12ihipStream_tbEUlT_E0_NS1_11comp_targetILNS1_3genE10ELNS1_11target_archE1201ELNS1_3gpuE5ELNS1_3repE0EEENS1_60segmented_radix_sort_warp_sort_medium_config_static_selectorELNS0_4arch9wavefront6targetE0EEEvSH_,"axG",@progbits,_ZN7rocprim17ROCPRIM_400000_NS6detail17trampoline_kernelINS0_14default_configENS1_36segmented_radix_sort_config_selectorIllEEZNS1_25segmented_radix_sort_implIS3_Lb0EPKlPlS8_S9_N2at6native12_GLOBAL__N_18offset_tEEE10hipError_tPvRmT1_PNSt15iterator_traitsISH_E10value_typeET2_T3_PNSI_ISN_E10value_typeET4_jRbjT5_ST_jjP12ihipStream_tbEUlT_E0_NS1_11comp_targetILNS1_3genE10ELNS1_11target_archE1201ELNS1_3gpuE5ELNS1_3repE0EEENS1_60segmented_radix_sort_warp_sort_medium_config_static_selectorELNS0_4arch9wavefront6targetE0EEEvSH_,comdat
.Lfunc_end822:
	.size	_ZN7rocprim17ROCPRIM_400000_NS6detail17trampoline_kernelINS0_14default_configENS1_36segmented_radix_sort_config_selectorIllEEZNS1_25segmented_radix_sort_implIS3_Lb0EPKlPlS8_S9_N2at6native12_GLOBAL__N_18offset_tEEE10hipError_tPvRmT1_PNSt15iterator_traitsISH_E10value_typeET2_T3_PNSI_ISN_E10value_typeET4_jRbjT5_ST_jjP12ihipStream_tbEUlT_E0_NS1_11comp_targetILNS1_3genE10ELNS1_11target_archE1201ELNS1_3gpuE5ELNS1_3repE0EEENS1_60segmented_radix_sort_warp_sort_medium_config_static_selectorELNS0_4arch9wavefront6targetE0EEEvSH_, .Lfunc_end822-_ZN7rocprim17ROCPRIM_400000_NS6detail17trampoline_kernelINS0_14default_configENS1_36segmented_radix_sort_config_selectorIllEEZNS1_25segmented_radix_sort_implIS3_Lb0EPKlPlS8_S9_N2at6native12_GLOBAL__N_18offset_tEEE10hipError_tPvRmT1_PNSt15iterator_traitsISH_E10value_typeET2_T3_PNSI_ISN_E10value_typeET4_jRbjT5_ST_jjP12ihipStream_tbEUlT_E0_NS1_11comp_targetILNS1_3genE10ELNS1_11target_archE1201ELNS1_3gpuE5ELNS1_3repE0EEENS1_60segmented_radix_sort_warp_sort_medium_config_static_selectorELNS0_4arch9wavefront6targetE0EEEvSH_
                                        ; -- End function
	.section	.AMDGPU.csdata,"",@progbits
; Kernel info:
; codeLenInByte = 0
; NumSgprs: 0
; NumVgprs: 0
; ScratchSize: 0
; MemoryBound: 0
; FloatMode: 240
; IeeeMode: 1
; LDSByteSize: 0 bytes/workgroup (compile time only)
; SGPRBlocks: 0
; VGPRBlocks: 0
; NumSGPRsForWavesPerEU: 1
; NumVGPRsForWavesPerEU: 1
; Occupancy: 16
; WaveLimiterHint : 0
; COMPUTE_PGM_RSRC2:SCRATCH_EN: 0
; COMPUTE_PGM_RSRC2:USER_SGPR: 15
; COMPUTE_PGM_RSRC2:TRAP_HANDLER: 0
; COMPUTE_PGM_RSRC2:TGID_X_EN: 1
; COMPUTE_PGM_RSRC2:TGID_Y_EN: 0
; COMPUTE_PGM_RSRC2:TGID_Z_EN: 0
; COMPUTE_PGM_RSRC2:TIDIG_COMP_CNT: 0
	.section	.text._ZN7rocprim17ROCPRIM_400000_NS6detail17trampoline_kernelINS0_14default_configENS1_36segmented_radix_sort_config_selectorIllEEZNS1_25segmented_radix_sort_implIS3_Lb0EPKlPlS8_S9_N2at6native12_GLOBAL__N_18offset_tEEE10hipError_tPvRmT1_PNSt15iterator_traitsISH_E10value_typeET2_T3_PNSI_ISN_E10value_typeET4_jRbjT5_ST_jjP12ihipStream_tbEUlT_E0_NS1_11comp_targetILNS1_3genE10ELNS1_11target_archE1200ELNS1_3gpuE4ELNS1_3repE0EEENS1_60segmented_radix_sort_warp_sort_medium_config_static_selectorELNS0_4arch9wavefront6targetE0EEEvSH_,"axG",@progbits,_ZN7rocprim17ROCPRIM_400000_NS6detail17trampoline_kernelINS0_14default_configENS1_36segmented_radix_sort_config_selectorIllEEZNS1_25segmented_radix_sort_implIS3_Lb0EPKlPlS8_S9_N2at6native12_GLOBAL__N_18offset_tEEE10hipError_tPvRmT1_PNSt15iterator_traitsISH_E10value_typeET2_T3_PNSI_ISN_E10value_typeET4_jRbjT5_ST_jjP12ihipStream_tbEUlT_E0_NS1_11comp_targetILNS1_3genE10ELNS1_11target_archE1200ELNS1_3gpuE4ELNS1_3repE0EEENS1_60segmented_radix_sort_warp_sort_medium_config_static_selectorELNS0_4arch9wavefront6targetE0EEEvSH_,comdat
	.globl	_ZN7rocprim17ROCPRIM_400000_NS6detail17trampoline_kernelINS0_14default_configENS1_36segmented_radix_sort_config_selectorIllEEZNS1_25segmented_radix_sort_implIS3_Lb0EPKlPlS8_S9_N2at6native12_GLOBAL__N_18offset_tEEE10hipError_tPvRmT1_PNSt15iterator_traitsISH_E10value_typeET2_T3_PNSI_ISN_E10value_typeET4_jRbjT5_ST_jjP12ihipStream_tbEUlT_E0_NS1_11comp_targetILNS1_3genE10ELNS1_11target_archE1200ELNS1_3gpuE4ELNS1_3repE0EEENS1_60segmented_radix_sort_warp_sort_medium_config_static_selectorELNS0_4arch9wavefront6targetE0EEEvSH_ ; -- Begin function _ZN7rocprim17ROCPRIM_400000_NS6detail17trampoline_kernelINS0_14default_configENS1_36segmented_radix_sort_config_selectorIllEEZNS1_25segmented_radix_sort_implIS3_Lb0EPKlPlS8_S9_N2at6native12_GLOBAL__N_18offset_tEEE10hipError_tPvRmT1_PNSt15iterator_traitsISH_E10value_typeET2_T3_PNSI_ISN_E10value_typeET4_jRbjT5_ST_jjP12ihipStream_tbEUlT_E0_NS1_11comp_targetILNS1_3genE10ELNS1_11target_archE1200ELNS1_3gpuE4ELNS1_3repE0EEENS1_60segmented_radix_sort_warp_sort_medium_config_static_selectorELNS0_4arch9wavefront6targetE0EEEvSH_
	.p2align	8
	.type	_ZN7rocprim17ROCPRIM_400000_NS6detail17trampoline_kernelINS0_14default_configENS1_36segmented_radix_sort_config_selectorIllEEZNS1_25segmented_radix_sort_implIS3_Lb0EPKlPlS8_S9_N2at6native12_GLOBAL__N_18offset_tEEE10hipError_tPvRmT1_PNSt15iterator_traitsISH_E10value_typeET2_T3_PNSI_ISN_E10value_typeET4_jRbjT5_ST_jjP12ihipStream_tbEUlT_E0_NS1_11comp_targetILNS1_3genE10ELNS1_11target_archE1200ELNS1_3gpuE4ELNS1_3repE0EEENS1_60segmented_radix_sort_warp_sort_medium_config_static_selectorELNS0_4arch9wavefront6targetE0EEEvSH_,@function
_ZN7rocprim17ROCPRIM_400000_NS6detail17trampoline_kernelINS0_14default_configENS1_36segmented_radix_sort_config_selectorIllEEZNS1_25segmented_radix_sort_implIS3_Lb0EPKlPlS8_S9_N2at6native12_GLOBAL__N_18offset_tEEE10hipError_tPvRmT1_PNSt15iterator_traitsISH_E10value_typeET2_T3_PNSI_ISN_E10value_typeET4_jRbjT5_ST_jjP12ihipStream_tbEUlT_E0_NS1_11comp_targetILNS1_3genE10ELNS1_11target_archE1200ELNS1_3gpuE4ELNS1_3repE0EEENS1_60segmented_radix_sort_warp_sort_medium_config_static_selectorELNS0_4arch9wavefront6targetE0EEEvSH_: ; @_ZN7rocprim17ROCPRIM_400000_NS6detail17trampoline_kernelINS0_14default_configENS1_36segmented_radix_sort_config_selectorIllEEZNS1_25segmented_radix_sort_implIS3_Lb0EPKlPlS8_S9_N2at6native12_GLOBAL__N_18offset_tEEE10hipError_tPvRmT1_PNSt15iterator_traitsISH_E10value_typeET2_T3_PNSI_ISN_E10value_typeET4_jRbjT5_ST_jjP12ihipStream_tbEUlT_E0_NS1_11comp_targetILNS1_3genE10ELNS1_11target_archE1200ELNS1_3gpuE4ELNS1_3repE0EEENS1_60segmented_radix_sort_warp_sort_medium_config_static_selectorELNS0_4arch9wavefront6targetE0EEEvSH_
; %bb.0:
	.section	.rodata,"a",@progbits
	.p2align	6, 0x0
	.amdhsa_kernel _ZN7rocprim17ROCPRIM_400000_NS6detail17trampoline_kernelINS0_14default_configENS1_36segmented_radix_sort_config_selectorIllEEZNS1_25segmented_radix_sort_implIS3_Lb0EPKlPlS8_S9_N2at6native12_GLOBAL__N_18offset_tEEE10hipError_tPvRmT1_PNSt15iterator_traitsISH_E10value_typeET2_T3_PNSI_ISN_E10value_typeET4_jRbjT5_ST_jjP12ihipStream_tbEUlT_E0_NS1_11comp_targetILNS1_3genE10ELNS1_11target_archE1200ELNS1_3gpuE4ELNS1_3repE0EEENS1_60segmented_radix_sort_warp_sort_medium_config_static_selectorELNS0_4arch9wavefront6targetE0EEEvSH_
		.amdhsa_group_segment_fixed_size 0
		.amdhsa_private_segment_fixed_size 0
		.amdhsa_kernarg_size 88
		.amdhsa_user_sgpr_count 15
		.amdhsa_user_sgpr_dispatch_ptr 0
		.amdhsa_user_sgpr_queue_ptr 0
		.amdhsa_user_sgpr_kernarg_segment_ptr 1
		.amdhsa_user_sgpr_dispatch_id 0
		.amdhsa_user_sgpr_private_segment_size 0
		.amdhsa_wavefront_size32 1
		.amdhsa_uses_dynamic_stack 0
		.amdhsa_enable_private_segment 0
		.amdhsa_system_sgpr_workgroup_id_x 1
		.amdhsa_system_sgpr_workgroup_id_y 0
		.amdhsa_system_sgpr_workgroup_id_z 0
		.amdhsa_system_sgpr_workgroup_info 0
		.amdhsa_system_vgpr_workitem_id 0
		.amdhsa_next_free_vgpr 1
		.amdhsa_next_free_sgpr 1
		.amdhsa_reserve_vcc 0
		.amdhsa_float_round_mode_32 0
		.amdhsa_float_round_mode_16_64 0
		.amdhsa_float_denorm_mode_32 3
		.amdhsa_float_denorm_mode_16_64 3
		.amdhsa_dx10_clamp 1
		.amdhsa_ieee_mode 1
		.amdhsa_fp16_overflow 0
		.amdhsa_workgroup_processor_mode 1
		.amdhsa_memory_ordered 1
		.amdhsa_forward_progress 0
		.amdhsa_shared_vgpr_count 0
		.amdhsa_exception_fp_ieee_invalid_op 0
		.amdhsa_exception_fp_denorm_src 0
		.amdhsa_exception_fp_ieee_div_zero 0
		.amdhsa_exception_fp_ieee_overflow 0
		.amdhsa_exception_fp_ieee_underflow 0
		.amdhsa_exception_fp_ieee_inexact 0
		.amdhsa_exception_int_div_zero 0
	.end_amdhsa_kernel
	.section	.text._ZN7rocprim17ROCPRIM_400000_NS6detail17trampoline_kernelINS0_14default_configENS1_36segmented_radix_sort_config_selectorIllEEZNS1_25segmented_radix_sort_implIS3_Lb0EPKlPlS8_S9_N2at6native12_GLOBAL__N_18offset_tEEE10hipError_tPvRmT1_PNSt15iterator_traitsISH_E10value_typeET2_T3_PNSI_ISN_E10value_typeET4_jRbjT5_ST_jjP12ihipStream_tbEUlT_E0_NS1_11comp_targetILNS1_3genE10ELNS1_11target_archE1200ELNS1_3gpuE4ELNS1_3repE0EEENS1_60segmented_radix_sort_warp_sort_medium_config_static_selectorELNS0_4arch9wavefront6targetE0EEEvSH_,"axG",@progbits,_ZN7rocprim17ROCPRIM_400000_NS6detail17trampoline_kernelINS0_14default_configENS1_36segmented_radix_sort_config_selectorIllEEZNS1_25segmented_radix_sort_implIS3_Lb0EPKlPlS8_S9_N2at6native12_GLOBAL__N_18offset_tEEE10hipError_tPvRmT1_PNSt15iterator_traitsISH_E10value_typeET2_T3_PNSI_ISN_E10value_typeET4_jRbjT5_ST_jjP12ihipStream_tbEUlT_E0_NS1_11comp_targetILNS1_3genE10ELNS1_11target_archE1200ELNS1_3gpuE4ELNS1_3repE0EEENS1_60segmented_radix_sort_warp_sort_medium_config_static_selectorELNS0_4arch9wavefront6targetE0EEEvSH_,comdat
.Lfunc_end823:
	.size	_ZN7rocprim17ROCPRIM_400000_NS6detail17trampoline_kernelINS0_14default_configENS1_36segmented_radix_sort_config_selectorIllEEZNS1_25segmented_radix_sort_implIS3_Lb0EPKlPlS8_S9_N2at6native12_GLOBAL__N_18offset_tEEE10hipError_tPvRmT1_PNSt15iterator_traitsISH_E10value_typeET2_T3_PNSI_ISN_E10value_typeET4_jRbjT5_ST_jjP12ihipStream_tbEUlT_E0_NS1_11comp_targetILNS1_3genE10ELNS1_11target_archE1200ELNS1_3gpuE4ELNS1_3repE0EEENS1_60segmented_radix_sort_warp_sort_medium_config_static_selectorELNS0_4arch9wavefront6targetE0EEEvSH_, .Lfunc_end823-_ZN7rocprim17ROCPRIM_400000_NS6detail17trampoline_kernelINS0_14default_configENS1_36segmented_radix_sort_config_selectorIllEEZNS1_25segmented_radix_sort_implIS3_Lb0EPKlPlS8_S9_N2at6native12_GLOBAL__N_18offset_tEEE10hipError_tPvRmT1_PNSt15iterator_traitsISH_E10value_typeET2_T3_PNSI_ISN_E10value_typeET4_jRbjT5_ST_jjP12ihipStream_tbEUlT_E0_NS1_11comp_targetILNS1_3genE10ELNS1_11target_archE1200ELNS1_3gpuE4ELNS1_3repE0EEENS1_60segmented_radix_sort_warp_sort_medium_config_static_selectorELNS0_4arch9wavefront6targetE0EEEvSH_
                                        ; -- End function
	.section	.AMDGPU.csdata,"",@progbits
; Kernel info:
; codeLenInByte = 0
; NumSgprs: 0
; NumVgprs: 0
; ScratchSize: 0
; MemoryBound: 0
; FloatMode: 240
; IeeeMode: 1
; LDSByteSize: 0 bytes/workgroup (compile time only)
; SGPRBlocks: 0
; VGPRBlocks: 0
; NumSGPRsForWavesPerEU: 1
; NumVGPRsForWavesPerEU: 1
; Occupancy: 16
; WaveLimiterHint : 0
; COMPUTE_PGM_RSRC2:SCRATCH_EN: 0
; COMPUTE_PGM_RSRC2:USER_SGPR: 15
; COMPUTE_PGM_RSRC2:TRAP_HANDLER: 0
; COMPUTE_PGM_RSRC2:TGID_X_EN: 1
; COMPUTE_PGM_RSRC2:TGID_Y_EN: 0
; COMPUTE_PGM_RSRC2:TGID_Z_EN: 0
; COMPUTE_PGM_RSRC2:TIDIG_COMP_CNT: 0
	.text
	.p2align	2                               ; -- Begin function _ZN7rocprim17ROCPRIM_400000_NS6detail26segmented_warp_sort_helperINS1_20WarpSortHelperConfigILj16ELj8ELj256EEEllLi256ELb0EvE4sortIPKlPlS8_S9_EEvT_T0_T1_T2_jjjjRNS5_12storage_typeE
	.type	_ZN7rocprim17ROCPRIM_400000_NS6detail26segmented_warp_sort_helperINS1_20WarpSortHelperConfigILj16ELj8ELj256EEEllLi256ELb0EvE4sortIPKlPlS8_S9_EEvT_T0_T1_T2_jjjjRNS5_12storage_typeE,@function
_ZN7rocprim17ROCPRIM_400000_NS6detail26segmented_warp_sort_helperINS1_20WarpSortHelperConfigILj16ELj8ELj256EEEllLi256ELb0EvE4sortIPKlPlS8_S9_EEvT_T0_T1_T2_jjjjRNS5_12storage_typeE: ; @_ZN7rocprim17ROCPRIM_400000_NS6detail26segmented_warp_sort_helperINS1_20WarpSortHelperConfigILj16ELj8ELj256EEEllLi256ELb0EvE4sortIPKlPlS8_S9_EEvT_T0_T1_T2_jjjjRNS5_12storage_typeE
; %bb.0:
	s_waitcnt vmcnt(0) expcnt(0) lgkmcnt(0)
	v_mov_b32_e32 v12, v9
	v_mbcnt_lo_u32_b32 v9, -1, 0
	s_mov_b32 s2, -1
	s_brev_b32 s3, -2
	s_delay_alu instid0(VALU_DEP_1) | instskip(SKIP_2) | instid1(VALU_DEP_3)
	v_lshlrev_b32_e32 v67, 3, v9
	v_mov_b32_e32 v9, 0
	v_sub_nc_u32_e32 v12, v12, v8
	v_and_b32_e32 v68, 0x78, v67
	s_delay_alu instid0(VALU_DEP_3) | instskip(SKIP_1) | instid1(VALU_DEP_3)
	v_lshlrev_b64 v[26:27], 3, v[8:9]
	v_dual_mov_b32 v9, s3 :: v_dual_mov_b32 v8, s2
	v_lshlrev_b32_e32 v66, 3, v68
	s_delay_alu instid0(VALU_DEP_3) | instskip(NEXT) | instid1(VALU_DEP_4)
	v_add_co_u32 v0, vcc_lo, v0, v26
	v_add_co_ci_u32_e32 v1, vcc_lo, v1, v27, vcc_lo
	s_delay_alu instid0(VALU_DEP_2) | instskip(NEXT) | instid1(VALU_DEP_2)
	v_add_co_u32 v0, vcc_lo, v0, v66
	v_add_co_ci_u32_e32 v1, vcc_lo, 0, v1, vcc_lo
	v_cmp_lt_u32_e32 vcc_lo, v68, v12
	s_and_saveexec_b32 s0, vcc_lo
	s_cbranch_execz .LBB824_2
; %bb.1:
	flat_load_b64 v[8:9], v[0:1]
.LBB824_2:
	s_or_b32 exec_lo, exec_lo, s0
	v_or_b32_e32 v13, 1, v68
	v_dual_mov_b32 v35, s3 :: v_dual_mov_b32 v34, s2
	s_delay_alu instid0(VALU_DEP_2) | instskip(NEXT) | instid1(VALU_DEP_1)
	v_cmp_lt_u32_e64 s0, v13, v12
	s_and_saveexec_b32 s1, s0
	s_cbranch_execz .LBB824_4
; %bb.3:
	flat_load_b64 v[34:35], v[0:1] offset:8
.LBB824_4:
	s_or_b32 exec_lo, exec_lo, s1
	v_or_b32_e32 v13, 2, v68
	s_mov_b32 s4, -1
	s_brev_b32 s5, -2
	s_delay_alu instid0(SALU_CYCLE_1) | instskip(NEXT) | instid1(VALU_DEP_2)
	v_dual_mov_b32 v37, s5 :: v_dual_mov_b32 v36, s4
	v_cmp_lt_u32_e64 s1, v13, v12
	s_delay_alu instid0(VALU_DEP_1)
	s_and_saveexec_b32 s2, s1
	s_cbranch_execz .LBB824_6
; %bb.5:
	flat_load_b64 v[36:37], v[0:1] offset:16
.LBB824_6:
	s_or_b32 exec_lo, exec_lo, s2
	v_or_b32_e32 v13, 3, v68
	v_dual_mov_b32 v49, s5 :: v_dual_mov_b32 v48, s4
	s_delay_alu instid0(VALU_DEP_2) | instskip(NEXT) | instid1(VALU_DEP_1)
	v_cmp_lt_u32_e64 s2, v13, v12
	s_and_saveexec_b32 s3, s2
	s_cbranch_execz .LBB824_8
; %bb.7:
	flat_load_b64 v[48:49], v[0:1] offset:24
.LBB824_8:
	s_or_b32 exec_lo, exec_lo, s3
	v_or_b32_e32 v13, 4, v68
	s_mov_b32 s6, -1
	s_brev_b32 s7, -2
	s_delay_alu instid0(SALU_CYCLE_1) | instskip(NEXT) | instid1(VALU_DEP_2)
	v_dual_mov_b32 v39, s7 :: v_dual_mov_b32 v38, s6
	v_cmp_lt_u32_e64 s3, v13, v12
	s_delay_alu instid0(VALU_DEP_1)
	s_and_saveexec_b32 s4, s3
	s_cbranch_execz .LBB824_10
; %bb.9:
	flat_load_b64 v[38:39], v[0:1] offset:32
.LBB824_10:
	;; [unrolled: 23-line block ×3, first 2 shown]
	s_or_b32 exec_lo, exec_lo, s6
	v_or_b32_e32 v13, 7, v68
	v_dual_mov_b32 v29, s11 :: v_dual_mov_b32 v28, s10
	s_delay_alu instid0(VALU_DEP_2) | instskip(NEXT) | instid1(VALU_DEP_1)
	v_cmp_lt_u32_e64 s6, v13, v12
	s_and_saveexec_b32 s7, s6
	s_cbranch_execz .LBB824_16
; %bb.15:
	flat_load_b64 v[28:29], v[0:1] offset:56
.LBB824_16:
	s_or_b32 exec_lo, exec_lo, s7
	v_add_co_u32 v0, s7, v4, v26
	s_delay_alu instid0(VALU_DEP_1) | instskip(NEXT) | instid1(VALU_DEP_2)
	v_add_co_ci_u32_e64 v1, s7, v5, v27, s7
	v_add_co_u32 v52, s7, v0, v66
	s_delay_alu instid0(VALU_DEP_1)
	v_add_co_ci_u32_e64 v53, s7, 0, v1, s7
	; wave barrier
                                        ; implicit-def: $vgpr0_vgpr1
	s_and_saveexec_b32 s7, vcc_lo
	s_cbranch_execnz .LBB824_243
; %bb.17:
	s_or_b32 exec_lo, exec_lo, s7
	s_and_saveexec_b32 s7, s0
                                        ; implicit-def: $vgpr12_vgpr13_vgpr14_vgpr15
	s_cbranch_execnz .LBB824_244
.LBB824_18:
	s_or_b32 exec_lo, exec_lo, s7
                                        ; implicit-def: $vgpr12_vgpr13
	s_and_saveexec_b32 s7, s1
	s_cbranch_execnz .LBB824_245
.LBB824_19:
	s_or_b32 exec_lo, exec_lo, s7
	s_and_saveexec_b32 s7, s2
                                        ; implicit-def: $vgpr16_vgpr17_vgpr18_vgpr19
	s_cbranch_execnz .LBB824_246
.LBB824_20:
	s_or_b32 exec_lo, exec_lo, s7
                                        ; implicit-def: $vgpr16_vgpr17
	s_and_saveexec_b32 s7, s3
	s_cbranch_execnz .LBB824_247
.LBB824_21:
	s_or_b32 exec_lo, exec_lo, s7
	s_and_saveexec_b32 s7, s4
                                        ; implicit-def: $vgpr22_vgpr23_vgpr24_vgpr25
	s_cbranch_execnz .LBB824_248
.LBB824_22:
	s_or_b32 exec_lo, exec_lo, s7
                                        ; implicit-def: $vgpr4_vgpr5
	s_and_saveexec_b32 s7, s5
	s_cbranch_execnz .LBB824_249
.LBB824_23:
	s_or_b32 exec_lo, exec_lo, s7
	s_and_saveexec_b32 s7, s6
                                        ; implicit-def: $vgpr20_vgpr21_vgpr22_vgpr23
	s_cbranch_execz .LBB824_25
.LBB824_24:
	flat_load_b64 v[22:23], v[52:53] offset:56
.LBB824_25:
	s_or_b32 exec_lo, exec_lo, s7
	v_cmp_ne_u32_e64 s7, 0, v10
	v_cmp_ne_u32_e64 s10, 64, v11
	v_bfe_u32 v21, v31, 10, 10
	v_bfe_u32 v30, v31, 20, 10
	v_and_b32_e32 v20, 0x3ff, v31
	s_delay_alu instid0(VALU_DEP_4) | instskip(NEXT) | instid1(SALU_CYCLE_1)
	s_or_b32 s7, s7, s10
	; wave barrier
	s_and_saveexec_b32 s10, s7
	s_delay_alu instid0(SALU_CYCLE_1)
	s_xor_b32 s21, exec_lo, s10
	s_cbranch_execz .LBB824_125
; %bb.26:
	s_load_b64 s[10:11], s[8:9], 0x0
	v_mov_b32_e32 v31, 0
	s_waitcnt lgkmcnt(0)
	s_cmp_lt_u32 s13, s11
	s_cselect_b32 s7, 14, 20
	s_delay_alu instid0(SALU_CYCLE_1) | instskip(SKIP_4) | instid1(SALU_CYCLE_1)
	s_add_u32 s14, s8, s7
	s_addc_u32 s15, s9, 0
	s_cmp_lt_u32 s12, s10
	global_load_u16 v52, v31, s[14:15]
	s_cselect_b32 s7, 12, 18
	s_add_u32 s10, s8, s7
	s_addc_u32 s11, s9, 0
	global_load_u16 v31, v31, s[10:11]
	s_mov_b32 s10, exec_lo
	s_waitcnt vmcnt(1)
	v_mad_u32_u24 v21, v30, v52, v21
	s_waitcnt vmcnt(0)
	s_delay_alu instid0(VALU_DEP_1) | instskip(SKIP_2) | instid1(VALU_DEP_1)
	v_mul_lo_u32 v21, v21, v31
	v_lshlrev_b64 v[30:31], v11, -1
	v_lshlrev_b64 v[10:11], v10, -1
	v_xor_b32_e32 v70, v31, v11
	s_delay_alu instid0(VALU_DEP_4) | instskip(NEXT) | instid1(VALU_DEP_3)
	v_add_lshl_u32 v71, v21, v20, 3
	v_xor_b32_e32 v69, v30, v10
	s_delay_alu instid0(VALU_DEP_2)
	v_cmpx_gt_u32_e32 0x800, v71
	s_cbranch_execz .LBB824_84
; %bb.27:
	v_and_b32_e32 v11, v35, v70
	s_delay_alu instid0(VALU_DEP_3) | instskip(SKIP_3) | instid1(VALU_DEP_2)
	v_and_b32_e32 v10, v34, v69
	v_and_b32_e32 v21, v9, v70
	v_dual_mov_b32 v31, v15 :: v_dual_and_b32 v20, v8, v69
	v_mov_b32_e32 v30, v14
	v_cmp_gt_u64_e64 s7, v[20:21], v[10:11]
	v_dual_mov_b32 v10, v34 :: v_dual_mov_b32 v11, v35
	s_delay_alu instid0(VALU_DEP_2)
	s_and_saveexec_b32 s11, s7
; %bb.28:
	v_dual_mov_b32 v11, v9 :: v_dual_mov_b32 v10, v8
	v_dual_mov_b32 v8, v34 :: v_dual_mov_b32 v9, v35
	;; [unrolled: 1-line block ×4, first 2 shown]
; %bb.29:
	s_or_b32 exec_lo, exec_lo, s11
	v_dual_mov_b32 v53, v49 :: v_dual_and_b32 v14, v48, v69
	v_dual_mov_b32 v35, v19 :: v_dual_and_b32 v20, v36, v69
	;; [unrolled: 1-line block ×4, first 2 shown]
	s_mov_b32 s11, exec_lo
	s_delay_alu instid0(VALU_DEP_1)
	v_cmpx_gt_u64_e64 v[20:21], v[14:15]
; %bb.30:
	v_dual_mov_b32 v53, v37 :: v_dual_mov_b32 v52, v36
	v_dual_mov_b32 v36, v48 :: v_dual_mov_b32 v37, v49
	;; [unrolled: 1-line block ×4, first 2 shown]
; %bb.31:
	s_or_b32 exec_lo, exec_lo, s11
	v_and_b32_e32 v15, v33, v70
	v_and_b32_e32 v14, v32, v69
	;; [unrolled: 1-line block ×3, first 2 shown]
	v_dual_mov_b32 v49, v39 :: v_dual_and_b32 v18, v38, v69
	v_mov_b32_e32 v48, v38
	s_delay_alu instid0(VALU_DEP_2) | instskip(SKIP_1) | instid1(VALU_DEP_2)
	v_cmp_gt_u64_e64 s7, v[18:19], v[14:15]
	v_dual_mov_b32 v18, v24 :: v_dual_mov_b32 v19, v25
	s_and_saveexec_b32 s11, s7
; %bb.32:
	v_dual_mov_b32 v19, v17 :: v_dual_mov_b32 v18, v16
	v_dual_mov_b32 v16, v24 :: v_dual_mov_b32 v17, v25
	v_dual_mov_b32 v49, v33 :: v_dual_mov_b32 v48, v32
	v_dual_mov_b32 v32, v38 :: v_dual_mov_b32 v33, v39
; %bb.33:
	s_or_b32 exec_lo, exec_lo, s11
	v_dual_mov_b32 v24, v50 :: v_dual_and_b32 v15, v29, v70
	v_and_b32_e32 v14, v28, v69
	v_and_b32_e32 v21, v51, v70
	v_dual_mov_b32 v25, v51 :: v_dual_and_b32 v20, v50, v69
	s_delay_alu instid0(VALU_DEP_1) | instskip(SKIP_1) | instid1(VALU_DEP_2)
	v_cmp_gt_u64_e64 s7, v[20:21], v[14:15]
	v_dual_mov_b32 v14, v22 :: v_dual_mov_b32 v15, v23
	s_and_saveexec_b32 s11, s7
; %bb.34:
	v_dual_mov_b32 v15, v5 :: v_dual_mov_b32 v14, v4
	v_dual_mov_b32 v4, v22 :: v_dual_mov_b32 v5, v23
	;; [unrolled: 1-line block ×4, first 2 shown]
; %bb.35:
	s_or_b32 exec_lo, exec_lo, s11
	v_and_b32_e32 v21, v37, v70
	v_and_b32_e32 v20, v36, v69
	;; [unrolled: 1-line block ×4, first 2 shown]
	s_delay_alu instid0(VALU_DEP_1) | instskip(SKIP_2) | instid1(VALU_DEP_3)
	v_cmp_gt_u64_e64 s7, v[22:23], v[20:21]
	v_dual_mov_b32 v20, v36 :: v_dual_mov_b32 v23, v13
	v_dual_mov_b32 v21, v37 :: v_dual_mov_b32 v22, v12
	s_and_saveexec_b32 s11, s7
	s_delay_alu instid0(SALU_CYCLE_1)
	s_xor_b32 s7, exec_lo, s11
; %bb.36:
	v_dual_mov_b32 v21, v11 :: v_dual_mov_b32 v20, v10
	v_dual_mov_b32 v10, v36 :: v_dual_mov_b32 v11, v37
	;; [unrolled: 1-line block ×4, first 2 shown]
; %bb.37:
	s_or_b32 exec_lo, exec_lo, s7
	v_dual_mov_b32 v50, v52 :: v_dual_and_b32 v13, v49, v70
	v_dual_mov_b32 v51, v53 :: v_dual_and_b32 v12, v48, v69
	v_and_b32_e32 v37, v53, v70
	v_and_b32_e32 v36, v52, v69
	s_delay_alu instid0(VALU_DEP_1) | instskip(SKIP_1) | instid1(VALU_DEP_2)
	v_cmp_gt_u64_e64 s7, v[36:37], v[12:13]
	v_dual_mov_b32 v37, v17 :: v_dual_mov_b32 v36, v16
	s_and_saveexec_b32 s11, s7
; %bb.38:
	v_dual_mov_b32 v51, v49 :: v_dual_mov_b32 v50, v48
	v_dual_mov_b32 v37, v35 :: v_dual_mov_b32 v36, v34
	v_dual_mov_b32 v35, v17 :: v_dual_mov_b32 v34, v16
	v_dual_mov_b32 v48, v52 :: v_dual_mov_b32 v49, v53
; %bb.39:
	s_or_b32 exec_lo, exec_lo, s11
	v_and_b32_e32 v13, v25, v70
	v_dual_mov_b32 v39, v33 :: v_dual_and_b32 v12, v24, v69
	v_dual_mov_b32 v38, v32 :: v_dual_and_b32 v17, v33, v70
	v_and_b32_e32 v16, v32, v69
	s_delay_alu instid0(VALU_DEP_1) | instskip(SKIP_1) | instid1(VALU_DEP_2)
	v_cmp_gt_u64_e64 s7, v[16:17], v[12:13]
	v_dual_mov_b32 v13, v5 :: v_dual_mov_b32 v12, v4
	s_and_saveexec_b32 s11, s7
; %bb.40:
	v_dual_mov_b32 v12, v18 :: v_dual_mov_b32 v13, v19
	v_dual_mov_b32 v19, v5 :: v_dual_mov_b32 v18, v4
	;; [unrolled: 1-line block ×4, first 2 shown]
; %bb.41:
	s_or_b32 exec_lo, exec_lo, s11
	v_and_b32_e32 v5, v11, v70
	v_and_b32_e32 v4, v10, v69
	;; [unrolled: 1-line block ×3, first 2 shown]
	v_dual_mov_b32 v33, v31 :: v_dual_and_b32 v16, v8, v69
	v_mov_b32_e32 v32, v30
	s_delay_alu instid0(VALU_DEP_2) | instskip(SKIP_1) | instid1(VALU_DEP_2)
	v_cmp_gt_u64_e64 s7, v[16:17], v[4:5]
	v_dual_mov_b32 v17, v11 :: v_dual_mov_b32 v16, v10
	s_and_saveexec_b32 s11, s7
; %bb.42:
	v_dual_mov_b32 v17, v9 :: v_dual_mov_b32 v16, v8
	v_dual_mov_b32 v8, v10 :: v_dual_mov_b32 v9, v11
	;; [unrolled: 1-line block ×4, first 2 shown]
; %bb.43:
	s_or_b32 exec_lo, exec_lo, s11
	v_dual_mov_b32 v53, v51 :: v_dual_and_b32 v4, v50, v69
	v_dual_mov_b32 v30, v34 :: v_dual_and_b32 v11, v21, v70
	;; [unrolled: 1-line block ×4, first 2 shown]
	s_mov_b32 s11, exec_lo
	s_delay_alu instid0(VALU_DEP_1)
	v_cmpx_gt_u64_e64 v[10:11], v[4:5]
; %bb.44:
	v_dual_mov_b32 v53, v21 :: v_dual_mov_b32 v52, v20
	v_dual_mov_b32 v20, v50 :: v_dual_mov_b32 v21, v51
	v_dual_mov_b32 v31, v23 :: v_dual_mov_b32 v30, v22
	v_dual_mov_b32 v22, v34 :: v_dual_mov_b32 v23, v35
; %bb.45:
	s_or_b32 exec_lo, exec_lo, s11
	v_and_b32_e32 v5, v39, v70
	v_and_b32_e32 v4, v38, v69
	v_and_b32_e32 v11, v49, v70
	v_dual_mov_b32 v51, v49 :: v_dual_and_b32 v10, v48, v69
	v_mov_b32_e32 v50, v48
	s_delay_alu instid0(VALU_DEP_2) | instskip(SKIP_1) | instid1(VALU_DEP_2)
	v_cmp_gt_u64_e64 s7, v[10:11], v[4:5]
	v_dual_mov_b32 v10, v18 :: v_dual_mov_b32 v11, v19
	s_and_saveexec_b32 s11, s7
; %bb.46:
	v_dual_mov_b32 v10, v36 :: v_dual_mov_b32 v11, v37
	v_dual_mov_b32 v37, v19 :: v_dual_mov_b32 v36, v18
	v_dual_mov_b32 v51, v39 :: v_dual_mov_b32 v50, v38
	v_dual_mov_b32 v38, v48 :: v_dual_mov_b32 v39, v49
; %bb.47:
	s_or_b32 exec_lo, exec_lo, s11
	v_and_b32_e32 v5, v29, v70
	v_and_b32_e32 v4, v28, v69
	v_and_b32_e32 v19, v25, v70
	v_dual_mov_b32 v35, v25 :: v_dual_and_b32 v18, v24, v69
	v_mov_b32_e32 v34, v24
	s_delay_alu instid0(VALU_DEP_2) | instskip(SKIP_1) | instid1(VALU_DEP_2)
	v_cmp_gt_u64_e64 s7, v[18:19], v[4:5]
	v_dual_mov_b32 v4, v14 :: v_dual_mov_b32 v5, v15
	s_and_saveexec_b32 s11, s7
	;; [unrolled: 16-line block ×3, first 2 shown]
; %bb.50:
	v_dual_mov_b32 v14, v16 :: v_dual_mov_b32 v15, v17
	v_dual_mov_b32 v16, v20 :: v_dual_mov_b32 v17, v21
	;; [unrolled: 1-line block ×4, first 2 shown]
; %bb.51:
	s_or_b32 exec_lo, exec_lo, s11
	v_and_b32_e32 v19, v51, v70
	v_and_b32_e32 v18, v50, v69
	v_dual_mov_b32 v22, v36 :: v_dual_and_b32 v21, v53, v70
	v_dual_mov_b32 v23, v37 :: v_dual_and_b32 v20, v52, v69
	s_delay_alu instid0(VALU_DEP_1) | instskip(SKIP_1) | instid1(VALU_DEP_2)
	v_cmp_gt_u64_e64 s7, v[20:21], v[18:19]
	v_dual_mov_b32 v20, v52 :: v_dual_mov_b32 v21, v53
	s_and_saveexec_b32 s11, s7
; %bb.52:
	v_dual_mov_b32 v20, v50 :: v_dual_mov_b32 v21, v51
	v_dual_mov_b32 v22, v30 :: v_dual_mov_b32 v23, v31
	v_dual_mov_b32 v30, v36 :: v_dual_mov_b32 v31, v37
	v_dual_mov_b32 v50, v52 :: v_dual_mov_b32 v51, v53
; %bb.53:
	s_or_b32 exec_lo, exec_lo, s11
	v_and_b32_e32 v19, v35, v70
	v_and_b32_e32 v18, v34, v69
	;; [unrolled: 1-line block ×4, first 2 shown]
	s_delay_alu instid0(VALU_DEP_1) | instskip(SKIP_2) | instid1(VALU_DEP_3)
	v_cmp_gt_u64_e64 s7, v[36:37], v[18:19]
	v_dual_mov_b32 v19, v13 :: v_dual_mov_b32 v36, v38
	v_dual_mov_b32 v18, v12 :: v_dual_mov_b32 v37, v39
	s_and_saveexec_b32 s11, s7
; %bb.54:
	v_dual_mov_b32 v19, v11 :: v_dual_mov_b32 v18, v10
	v_dual_mov_b32 v10, v12 :: v_dual_mov_b32 v11, v13
	v_dual_mov_b32 v37, v35 :: v_dual_mov_b32 v36, v34
	v_dual_mov_b32 v34, v38 :: v_dual_mov_b32 v35, v39
; %bb.55:
	s_or_b32 exec_lo, exec_lo, s11
	v_and_b32_e32 v13, v17, v70
	v_and_b32_e32 v12, v16, v69
	v_and_b32_e32 v39, v9, v70
	v_and_b32_e32 v38, v8, v69
	s_delay_alu instid0(VALU_DEP_1) | instskip(SKIP_2) | instid1(VALU_DEP_3)
	v_cmp_gt_u64_e64 s7, v[38:39], v[12:13]
	v_dual_mov_b32 v12, v16 :: v_dual_mov_b32 v39, v33
	v_dual_mov_b32 v13, v17 :: v_dual_mov_b32 v38, v32
	s_and_saveexec_b32 s11, s7
; %bb.56:
	v_dual_mov_b32 v13, v9 :: v_dual_mov_b32 v12, v8
	v_dual_mov_b32 v8, v16 :: v_dual_mov_b32 v9, v17
	;; [unrolled: 1-line block ×4, first 2 shown]
; %bb.57:
	s_or_b32 exec_lo, exec_lo, s11
	v_and_b32_e32 v17, v21, v70
	v_and_b32_e32 v16, v20, v69
	;; [unrolled: 1-line block ×3, first 2 shown]
	v_dual_mov_b32 v49, v31 :: v_dual_and_b32 v32, v14, v69
	v_mov_b32_e32 v48, v30
	s_delay_alu instid0(VALU_DEP_2) | instskip(SKIP_1) | instid1(VALU_DEP_2)
	v_cmp_gt_u64_e64 s7, v[32:33], v[16:17]
	v_dual_mov_b32 v33, v21 :: v_dual_mov_b32 v32, v20
	s_and_saveexec_b32 s11, s7
; %bb.58:
	v_dual_mov_b32 v33, v15 :: v_dual_mov_b32 v32, v14
	v_dual_mov_b32 v14, v20 :: v_dual_mov_b32 v15, v21
	v_dual_mov_b32 v49, v25 :: v_dual_mov_b32 v48, v24
	v_dual_mov_b32 v24, v30 :: v_dual_mov_b32 v25, v31
; %bb.59:
	s_or_b32 exec_lo, exec_lo, s11
	v_and_b32_e32 v17, v37, v70
	v_dual_mov_b32 v53, v51 :: v_dual_and_b32 v16, v36, v69
	v_dual_mov_b32 v52, v50 :: v_dual_and_b32 v21, v51, v70
	v_and_b32_e32 v20, v50, v69
	s_delay_alu instid0(VALU_DEP_1) | instskip(SKIP_1) | instid1(VALU_DEP_2)
	v_cmp_gt_u64_e64 s7, v[20:21], v[16:17]
	v_dual_mov_b32 v17, v11 :: v_dual_mov_b32 v16, v10
	s_and_saveexec_b32 s11, s7
; %bb.60:
	v_dual_mov_b32 v16, v22 :: v_dual_mov_b32 v17, v23
	v_dual_mov_b32 v23, v11 :: v_dual_mov_b32 v22, v10
	;; [unrolled: 1-line block ×4, first 2 shown]
; %bb.61:
	s_or_b32 exec_lo, exec_lo, s11
	v_and_b32_e32 v11, v29, v70
	v_and_b32_e32 v10, v28, v69
	v_dual_mov_b32 v30, v34 :: v_dual_and_b32 v21, v35, v70
	v_dual_mov_b32 v31, v35 :: v_dual_and_b32 v20, v34, v69
	s_delay_alu instid0(VALU_DEP_1) | instskip(SKIP_1) | instid1(VALU_DEP_2)
	v_cmp_gt_u64_e64 s7, v[20:21], v[10:11]
	v_dual_mov_b32 v11, v5 :: v_dual_mov_b32 v10, v4
	s_and_saveexec_b32 s11, s7
; %bb.62:
	v_dual_mov_b32 v10, v18 :: v_dual_mov_b32 v11, v19
	v_dual_mov_b32 v19, v5 :: v_dual_mov_b32 v18, v4
	;; [unrolled: 1-line block ×4, first 2 shown]
; %bb.63:
	s_or_b32 exec_lo, exec_lo, s11
	v_and_b32_e32 v5, v15, v70
	v_and_b32_e32 v4, v14, v69
	;; [unrolled: 1-line block ×3, first 2 shown]
	v_dual_mov_b32 v51, v25 :: v_dual_and_b32 v20, v12, v69
	v_mov_b32_e32 v50, v24
	s_delay_alu instid0(VALU_DEP_2) | instskip(SKIP_1) | instid1(VALU_DEP_2)
	v_cmp_gt_u64_e64 s7, v[20:21], v[4:5]
	v_dual_mov_b32 v21, v15 :: v_dual_mov_b32 v20, v14
	s_and_saveexec_b32 s11, s7
; %bb.64:
	v_dual_mov_b32 v21, v13 :: v_dual_mov_b32 v20, v12
	v_dual_mov_b32 v12, v14 :: v_dual_mov_b32 v13, v15
	;; [unrolled: 1-line block ×4, first 2 shown]
; %bb.65:
	s_or_b32 exec_lo, exec_lo, s11
	v_dual_mov_b32 v65, v33 :: v_dual_and_b32 v4, v52, v69
	v_dual_mov_b32 v25, v23 :: v_dual_and_b32 v14, v32, v69
	;; [unrolled: 1-line block ×4, first 2 shown]
	s_mov_b32 s11, exec_lo
	s_delay_alu instid0(VALU_DEP_1)
	v_cmpx_gt_u64_e64 v[14:15], v[4:5]
; %bb.66:
	v_dual_mov_b32 v65, v53 :: v_dual_mov_b32 v64, v52
	v_dual_mov_b32 v24, v48 :: v_dual_mov_b32 v25, v49
	v_dual_mov_b32 v49, v23 :: v_dual_mov_b32 v48, v22
	v_dual_mov_b32 v53, v33 :: v_dual_mov_b32 v52, v32
; %bb.67:
	s_or_b32 exec_lo, exec_lo, s11
	v_dual_mov_b32 v32, v36 :: v_dual_and_b32 v5, v31, v70
	v_and_b32_e32 v4, v30, v69
	v_and_b32_e32 v15, v37, v70
	v_dual_mov_b32 v33, v37 :: v_dual_and_b32 v14, v36, v69
	s_delay_alu instid0(VALU_DEP_1) | instskip(SKIP_1) | instid1(VALU_DEP_2)
	v_cmp_gt_u64_e64 s7, v[14:15], v[4:5]
	v_dual_mov_b32 v4, v18 :: v_dual_mov_b32 v5, v19
	s_and_saveexec_b32 s11, s7
; %bb.68:
	v_dual_mov_b32 v4, v16 :: v_dual_mov_b32 v5, v17
	v_dual_mov_b32 v16, v18 :: v_dual_mov_b32 v17, v19
	;; [unrolled: 1-line block ×4, first 2 shown]
; %bb.69:
	s_or_b32 exec_lo, exec_lo, s11
	v_and_b32_e32 v15, v13, v70
	v_dual_mov_b32 v35, v13 :: v_dual_and_b32 v14, v12, v69
	v_and_b32_e32 v19, v9, v70
	v_and_b32_e32 v18, v8, v69
	v_mov_b32_e32 v34, v12
	s_delay_alu instid0(VALU_DEP_2) | instskip(SKIP_1) | instid1(VALU_DEP_2)
	v_cmp_gt_u64_e64 s7, v[18:19], v[14:15]
	v_dual_mov_b32 v14, v38 :: v_dual_mov_b32 v15, v39
	s_and_saveexec_b32 s11, s7
; %bb.70:
	v_dual_mov_b32 v35, v9 :: v_dual_mov_b32 v34, v8
	v_dual_mov_b32 v8, v12 :: v_dual_mov_b32 v9, v13
	;; [unrolled: 1-line block ×4, first 2 shown]
; %bb.71:
	s_or_b32 exec_lo, exec_lo, s11
	v_dual_mov_b32 v54, v64 :: v_dual_and_b32 v13, v65, v70
	v_dual_mov_b32 v55, v65 :: v_dual_and_b32 v12, v64, v69
	v_and_b32_e32 v19, v21, v70
	v_and_b32_e32 v18, v20, v69
	s_delay_alu instid0(VALU_DEP_1) | instskip(SKIP_1) | instid1(VALU_DEP_2)
	v_cmp_gt_u64_e64 s7, v[18:19], v[12:13]
	v_dual_mov_b32 v18, v48 :: v_dual_mov_b32 v19, v49
	s_and_saveexec_b32 s11, s7
; %bb.72:
	v_dual_mov_b32 v55, v21 :: v_dual_mov_b32 v54, v20
	v_dual_mov_b32 v20, v64 :: v_dual_mov_b32 v21, v65
	;; [unrolled: 1-line block ×4, first 2 shown]
; %bb.73:
	s_or_b32 exec_lo, exec_lo, s11
	v_dual_mov_b32 v65, v17 :: v_dual_and_b32 v12, v32, v69
	v_dual_mov_b32 v38, v52 :: v_dual_and_b32 v23, v53, v70
	;; [unrolled: 1-line block ×4, first 2 shown]
	s_mov_b32 s11, exec_lo
	s_delay_alu instid0(VALU_DEP_1)
	v_cmpx_gt_u64_e64 v[22:23], v[12:13]
; %bb.74:
	v_dual_mov_b32 v65, v25 :: v_dual_mov_b32 v64, v24
	v_dual_mov_b32 v25, v17 :: v_dual_mov_b32 v24, v16
	;; [unrolled: 1-line block ×4, first 2 shown]
; %bb.75:
	s_or_b32 exec_lo, exec_lo, s11
	v_dual_mov_b32 v23, v11 :: v_dual_and_b32 v12, v28, v69
	v_dual_mov_b32 v53, v31 :: v_dual_and_b32 v16, v30, v69
	v_dual_mov_b32 v22, v10 :: v_dual_and_b32 v13, v29, v70
	v_dual_mov_b32 v52, v30 :: v_dual_and_b32 v17, v31, v70
	s_mov_b32 s11, exec_lo
	s_delay_alu instid0(VALU_DEP_1)
	v_cmpx_gt_u64_e64 v[16:17], v[12:13]
; %bb.76:
	v_dual_mov_b32 v23, v5 :: v_dual_mov_b32 v22, v4
	v_dual_mov_b32 v4, v10 :: v_dual_mov_b32 v5, v11
	;; [unrolled: 1-line block ×4, first 2 shown]
; %bb.77:
	s_or_b32 exec_lo, exec_lo, s11
	v_and_b32_e32 v11, v21, v70
	v_dual_mov_b32 v37, v21 :: v_dual_and_b32 v10, v20, v69
	v_and_b32_e32 v13, v35, v70
	v_and_b32_e32 v12, v34, v69
	v_mov_b32_e32 v36, v20
	s_delay_alu instid0(VALU_DEP_2) | instskip(SKIP_1) | instid1(VALU_DEP_2)
	v_cmp_gt_u64_e64 s7, v[12:13], v[10:11]
	v_dual_mov_b32 v12, v50 :: v_dual_mov_b32 v13, v51
	s_and_saveexec_b32 s11, s7
; %bb.78:
	v_dual_mov_b32 v37, v35 :: v_dual_mov_b32 v36, v34
	v_dual_mov_b32 v35, v21 :: v_dual_mov_b32 v34, v20
	;; [unrolled: 1-line block ×4, first 2 shown]
; %bb.79:
	s_or_b32 exec_lo, exec_lo, s11
	v_dual_mov_b32 v48, v54 :: v_dual_and_b32 v11, v39, v70
	v_dual_mov_b32 v49, v55 :: v_dual_and_b32 v10, v38, v69
	v_and_b32_e32 v17, v55, v70
	v_and_b32_e32 v16, v54, v69
	s_delay_alu instid0(VALU_DEP_1) | instskip(SKIP_1) | instid1(VALU_DEP_2)
	v_cmp_gt_u64_e64 s7, v[16:17], v[10:11]
	v_dual_mov_b32 v16, v24 :: v_dual_mov_b32 v17, v25
	s_and_saveexec_b32 s11, s7
; %bb.80:
	v_dual_mov_b32 v49, v39 :: v_dual_mov_b32 v48, v38
	v_dual_mov_b32 v16, v18 :: v_dual_mov_b32 v17, v19
	;; [unrolled: 1-line block ×4, first 2 shown]
; %bb.81:
	s_or_b32 exec_lo, exec_lo, s11
	v_dual_mov_b32 v50, v52 :: v_dual_and_b32 v11, v53, v70
	v_dual_mov_b32 v24, v64 :: v_dual_and_b32 v21, v33, v70
	;; [unrolled: 1-line block ×4, first 2 shown]
	s_mov_b32 s11, exec_lo
	s_delay_alu instid0(VALU_DEP_1)
	v_cmpx_gt_u64_e64 v[20:21], v[10:11]
; %bb.82:
	v_dual_mov_b32 v51, v33 :: v_dual_mov_b32 v50, v32
	v_dual_mov_b32 v32, v52 :: v_dual_mov_b32 v33, v53
	;; [unrolled: 1-line block ×4, first 2 shown]
; %bb.83:
	s_or_b32 exec_lo, exec_lo, s11
.LBB824_84:
	s_delay_alu instid0(SALU_CYCLE_1) | instskip(SKIP_4) | instid1(VALU_DEP_3)
	s_or_b32 exec_lo, exec_lo, s10
	v_and_b32_e32 v10, 0xffffff00, v71
	v_or_b32_e32 v11, 8, v67
	v_and_b32_e32 v54, 0xf0, v67
	s_mov_b32 s10, exec_lo
	v_sub_nc_u32_e64 v31, 0x800, v10 clamp
	v_lshlrev_b32_e32 v20, 3, v10
	v_and_b32_e32 v10, 8, v67
	s_delay_alu instid0(VALU_DEP_3) | instskip(NEXT) | instid1(VALU_DEP_3)
	v_min_u32_e32 v52, v31, v11
	v_lshl_or_b32 v21, v67, 3, v20
	s_delay_alu instid0(VALU_DEP_3)
	v_min_u32_e32 v55, v31, v10
	ds_store_2addr_b64 v21, v[8:9], v[34:35] offset1:1
	ds_store_2addr_b64 v21, v[36:37], v[48:49] offset0:2 offset1:3
	v_add_nc_u32_e32 v11, 8, v52
	v_add_nc_u32_e32 v30, 0x4000, v21
	v_sub_nc_u32_e32 v64, v52, v54
	v_add_nc_u32_e32 v10, 0x4010, v21
	v_add_nc_u32_e32 v65, 0x4020, v21
	v_min_u32_e32 v53, v31, v11
	ds_store_2addr_b64 v30, v[0:1], v[14:15] offset1:1
	ds_store_2addr_b64 v10, v[12:13], v[18:19] offset1:1
	v_min_u32_e32 v64, v55, v64
	v_add_nc_u32_e32 v71, 0x4030, v21
	v_sub_nc_u32_e32 v11, v53, v52
	ds_store_2addr_b64 v21, v[38:39], v[32:33] offset0:4 offset1:5
	ds_store_2addr_b64 v21, v[50:51], v[28:29] offset0:6 offset1:7
	ds_store_2addr_b64 v65, v[16:17], v[24:25] offset1:1
	ds_store_2addr_b64 v71, v[4:5], v[22:23] offset1:1
	v_sub_nc_u32_e64 v10, v55, v11 clamp
	v_lshl_or_b32 v11, v54, 3, v20
	; wave barrier
	s_delay_alu instid0(VALU_DEP_2)
	v_cmpx_lt_u32_e64 v10, v64
	s_cbranch_execz .LBB824_88
; %bb.85:
	v_lshlrev_b32_e32 v65, 3, v52
	v_lshlrev_b32_e32 v71, 3, v55
	s_mov_b32 s11, 0
	s_delay_alu instid0(VALU_DEP_1)
	v_add3_u32 v65, v20, v65, v71
	.p2align	6
.LBB824_86:                             ; =>This Inner Loop Header: Depth=1
	v_add_nc_u32_e32 v71, v64, v10
	s_delay_alu instid0(VALU_DEP_1) | instskip(NEXT) | instid1(VALU_DEP_1)
	v_lshrrev_b32_e32 v71, 1, v71
	v_not_b32_e32 v80, v71
	v_lshl_add_u32 v81, v71, 3, v11
	s_delay_alu instid0(VALU_DEP_2)
	v_lshl_add_u32 v82, v80, 3, v65
	ds_load_b64 v[80:81], v81
	ds_load_b64 v[82:83], v82
	s_waitcnt lgkmcnt(1)
	v_and_b32_e32 v81, v81, v70
	v_and_b32_e32 v80, v80, v69
	s_waitcnt lgkmcnt(0)
	v_and_b32_e32 v83, v83, v70
	v_and_b32_e32 v82, v82, v69
	s_delay_alu instid0(VALU_DEP_1) | instskip(SKIP_1) | instid1(VALU_DEP_2)
	v_cmp_gt_u64_e64 s7, v[80:81], v[82:83]
	v_add_nc_u32_e32 v80, 1, v71
	v_cndmask_b32_e64 v64, v64, v71, s7
	s_delay_alu instid0(VALU_DEP_2) | instskip(NEXT) | instid1(VALU_DEP_1)
	v_cndmask_b32_e64 v10, v80, v10, s7
	v_cmp_ge_u32_e64 s7, v10, v64
	s_delay_alu instid0(VALU_DEP_1) | instskip(NEXT) | instid1(SALU_CYCLE_1)
	s_or_b32 s11, s7, s11
	s_and_not1_b32 exec_lo, exec_lo, s11
	s_cbranch_execnz .LBB824_86
; %bb.87:
	s_or_b32 exec_lo, exec_lo, s11
.LBB824_88:
	s_delay_alu instid0(SALU_CYCLE_1) | instskip(SKIP_2) | instid1(VALU_DEP_2)
	s_or_b32 exec_lo, exec_lo, s10
	v_add_nc_u32_e32 v55, v52, v55
	v_add_nc_u32_e32 v54, v10, v54
	v_sub_nc_u32_e32 v55, v55, v10
	s_delay_alu instid0(VALU_DEP_2) | instskip(NEXT) | instid1(VALU_DEP_2)
	v_cmp_le_u32_e64 s7, v54, v52
	v_cmp_le_u32_e64 s10, v55, v53
	s_delay_alu instid0(VALU_DEP_1) | instskip(NEXT) | instid1(SALU_CYCLE_1)
	s_or_b32 s7, s7, s10
	s_and_saveexec_b32 s22, s7
	s_cbranch_execz .LBB824_94
; %bb.89:
	v_cmp_lt_u32_e64 s7, v54, v52
                                        ; implicit-def: $vgpr8_vgpr9
	s_delay_alu instid0(VALU_DEP_1)
	s_and_saveexec_b32 s10, s7
	s_cbranch_execz .LBB824_91
; %bb.90:
	v_lshl_add_u32 v0, v10, 3, v11
	ds_load_b64 v[8:9], v0
.LBB824_91:
	s_or_b32 exec_lo, exec_lo, s10
	v_cmp_ge_u32_e64 s10, v55, v53
	s_mov_b32 s14, exec_lo
                                        ; implicit-def: $vgpr10_vgpr11
	v_cmpx_lt_u32_e64 v55, v53
	s_cbranch_execz .LBB824_93
; %bb.92:
	v_lshl_add_u32 v0, v55, 3, v20
	ds_load_b64 v[10:11], v0
.LBB824_93:
	s_or_b32 exec_lo, exec_lo, s14
	s_waitcnt lgkmcnt(0)
	v_and_b32_e32 v1, v11, v70
	v_and_b32_e32 v0, v10, v69
	;; [unrolled: 1-line block ×4, first 2 shown]
	s_delay_alu instid0(VALU_DEP_1) | instskip(NEXT) | instid1(VALU_DEP_1)
	v_cmp_le_u64_e64 s11, v[4:5], v[0:1]
	s_and_b32 s7, s7, s11
	s_delay_alu instid0(SALU_CYCLE_1) | instskip(NEXT) | instid1(SALU_CYCLE_1)
	s_or_b32 s7, s10, s7
	v_cndmask_b32_e64 v12, v55, v54, s7
	v_cndmask_b32_e64 v0, v53, v52, s7
	s_delay_alu instid0(VALU_DEP_2) | instskip(NEXT) | instid1(VALU_DEP_2)
	v_add_nc_u32_e32 v13, 1, v12
	v_add_nc_u32_e32 v0, -1, v0
	v_lshl_add_u32 v12, v12, 3, v20
	s_delay_alu instid0(VALU_DEP_3) | instskip(NEXT) | instid1(VALU_DEP_3)
	v_cndmask_b32_e64 v14, v54, v13, s7
	v_min_u32_e32 v0, v13, v0
	v_cndmask_b32_e64 v13, v13, v55, s7
	s_delay_alu instid0(VALU_DEP_3) | instskip(NEXT) | instid1(VALU_DEP_3)
	v_cmp_lt_u32_e64 s11, v14, v52
	v_lshl_add_u32 v0, v0, 3, v20
	s_delay_alu instid0(VALU_DEP_3)
	v_cmp_ge_u32_e64 s14, v13, v53
	ds_load_b64 v[0:1], v0
	s_waitcnt lgkmcnt(0)
	v_cndmask_b32_e64 v28, v1, v11, s7
	v_cndmask_b32_e64 v29, v0, v10, s7
	v_cndmask_b32_e64 v32, v9, v1, s7
	v_cndmask_b32_e64 v33, v8, v0, s7
	v_cndmask_b32_e64 v9, v11, v9, s7
	v_and_b32_e32 v1, v28, v70
	v_and_b32_e32 v0, v29, v69
	;; [unrolled: 1-line block ×4, first 2 shown]
	v_cndmask_b32_e64 v8, v10, v8, s7
	s_delay_alu instid0(VALU_DEP_2) | instskip(NEXT) | instid1(VALU_DEP_1)
	v_cmp_le_u64_e64 s10, v[4:5], v[0:1]
	s_and_b32 s10, s11, s10
	s_delay_alu instid0(SALU_CYCLE_1) | instskip(NEXT) | instid1(SALU_CYCLE_1)
	s_or_b32 s10, s14, s10
	v_cndmask_b32_e64 v15, v13, v14, s10
	v_cndmask_b32_e64 v0, v53, v52, s10
	;; [unrolled: 1-line block ×3, first 2 shown]
	s_delay_alu instid0(VALU_DEP_3) | instskip(NEXT) | instid1(VALU_DEP_3)
	v_add_nc_u32_e32 v16, 1, v15
	v_add_nc_u32_e32 v0, -1, v0
	s_delay_alu instid0(VALU_DEP_2) | instskip(NEXT) | instid1(VALU_DEP_2)
	v_cndmask_b32_e64 v14, v14, v16, s10
	v_min_u32_e32 v0, v16, v0
	v_cndmask_b32_e64 v13, v16, v13, s10
	s_delay_alu instid0(VALU_DEP_3) | instskip(NEXT) | instid1(VALU_DEP_3)
	v_cmp_lt_u32_e64 s14, v14, v52
	v_lshl_add_u32 v0, v0, 3, v20
	s_delay_alu instid0(VALU_DEP_3)
	v_cmp_ge_u32_e64 s15, v13, v53
	ds_load_b64 v[0:1], v0
	s_waitcnt lgkmcnt(0)
	v_cndmask_b32_e64 v36, v1, v28, s10
	v_cndmask_b32_e64 v38, v0, v29, s10
	v_cndmask_b32_e64 v37, v32, v1, s10
	v_cndmask_b32_e64 v39, v33, v0, s10
	s_delay_alu instid0(VALU_DEP_4) | instskip(NEXT) | instid1(VALU_DEP_4)
	v_and_b32_e32 v1, v36, v70
	v_and_b32_e32 v0, v38, v69
	s_delay_alu instid0(VALU_DEP_4) | instskip(NEXT) | instid1(VALU_DEP_4)
	v_and_b32_e32 v5, v37, v70
	v_and_b32_e32 v4, v39, v69
	s_delay_alu instid0(VALU_DEP_1) | instskip(NEXT) | instid1(VALU_DEP_1)
	v_cmp_le_u64_e64 s11, v[4:5], v[0:1]
	s_and_b32 s11, s14, s11
	s_delay_alu instid0(SALU_CYCLE_1) | instskip(NEXT) | instid1(SALU_CYCLE_1)
	s_or_b32 s11, s15, s11
	v_cndmask_b32_e64 v16, v13, v14, s11
	v_cndmask_b32_e64 v0, v53, v52, s11
	s_delay_alu instid0(VALU_DEP_2) | instskip(NEXT) | instid1(VALU_DEP_2)
	v_add_nc_u32_e32 v17, 1, v16
	v_add_nc_u32_e32 v0, -1, v0
	s_delay_alu instid0(VALU_DEP_2) | instskip(NEXT) | instid1(VALU_DEP_2)
	v_cndmask_b32_e64 v14, v14, v17, s11
	v_min_u32_e32 v0, v17, v0
	v_cndmask_b32_e64 v13, v17, v13, s11
	s_delay_alu instid0(VALU_DEP_3) | instskip(NEXT) | instid1(VALU_DEP_3)
	v_cmp_lt_u32_e64 s15, v14, v52
	v_lshl_add_u32 v0, v0, 3, v20
	s_delay_alu instid0(VALU_DEP_3)
	v_cmp_ge_u32_e64 s16, v13, v53
	ds_load_b64 v[0:1], v0
	s_waitcnt lgkmcnt(0)
	v_cndmask_b32_e64 v48, v1, v36, s11
	v_cndmask_b32_e64 v50, v0, v38, s11
	;; [unrolled: 1-line block ×5, first 2 shown]
	v_and_b32_e32 v1, v48, v70
	v_and_b32_e32 v0, v50, v69
	;; [unrolled: 1-line block ×4, first 2 shown]
	v_cndmask_b32_e64 v36, v38, v39, s11
	s_delay_alu instid0(VALU_DEP_2) | instskip(NEXT) | instid1(VALU_DEP_1)
	v_cmp_le_u64_e64 s14, v[4:5], v[0:1]
	s_and_b32 s14, s15, s14
	s_delay_alu instid0(SALU_CYCLE_1) | instskip(NEXT) | instid1(SALU_CYCLE_1)
	s_or_b32 s14, s16, s14
	v_cndmask_b32_e64 v17, v13, v14, s14
	v_cndmask_b32_e64 v0, v53, v52, s14
	s_delay_alu instid0(VALU_DEP_2) | instskip(NEXT) | instid1(VALU_DEP_2)
	v_add_nc_u32_e32 v18, 1, v17
	v_add_nc_u32_e32 v0, -1, v0
	s_delay_alu instid0(VALU_DEP_2) | instskip(NEXT) | instid1(VALU_DEP_2)
	v_cndmask_b32_e64 v14, v14, v18, s14
	v_min_u32_e32 v0, v18, v0
	v_cndmask_b32_e64 v13, v18, v13, s14
	s_delay_alu instid0(VALU_DEP_3) | instskip(NEXT) | instid1(VALU_DEP_3)
	v_cmp_lt_u32_e64 s16, v14, v52
	v_lshl_add_u32 v0, v0, 3, v20
	s_delay_alu instid0(VALU_DEP_3)
	v_cmp_ge_u32_e64 s17, v13, v53
	ds_load_b64 v[0:1], v0
	s_waitcnt lgkmcnt(0)
	v_cndmask_b32_e64 v54, v1, v48, s14
	v_cndmask_b32_e64 v55, v0, v50, s14
	;; [unrolled: 1-line block ×5, first 2 shown]
	v_and_b32_e32 v1, v54, v70
	v_and_b32_e32 v0, v55, v69
	;; [unrolled: 1-line block ×4, first 2 shown]
	v_cndmask_b32_e64 v48, v50, v51, s14
	s_delay_alu instid0(VALU_DEP_2) | instskip(NEXT) | instid1(VALU_DEP_1)
	v_cmp_le_u64_e64 s15, v[4:5], v[0:1]
	s_and_b32 s15, s16, s15
	s_delay_alu instid0(SALU_CYCLE_1) | instskip(NEXT) | instid1(SALU_CYCLE_1)
	s_or_b32 s15, s17, s15
	v_cndmask_b32_e64 v18, v13, v14, s15
	v_cndmask_b32_e64 v0, v53, v52, s15
	v_cndmask_b32_e64 v39, v54, v64, s15
	v_cndmask_b32_e64 v38, v55, v65, s15
	s_delay_alu instid0(VALU_DEP_4) | instskip(NEXT) | instid1(VALU_DEP_4)
	v_add_nc_u32_e32 v19, 1, v18
	v_add_nc_u32_e32 v0, -1, v0
	s_delay_alu instid0(VALU_DEP_2) | instskip(NEXT) | instid1(VALU_DEP_2)
	v_cndmask_b32_e64 v14, v14, v19, s15
	v_min_u32_e32 v0, v19, v0
	v_cndmask_b32_e64 v13, v19, v13, s15
	s_delay_alu instid0(VALU_DEP_3) | instskip(NEXT) | instid1(VALU_DEP_3)
	v_cmp_lt_u32_e64 s17, v14, v52
	v_lshl_add_u32 v0, v0, 3, v20
	s_delay_alu instid0(VALU_DEP_3)
	v_cmp_ge_u32_e64 s18, v13, v53
	ds_load_b64 v[0:1], v0
	s_waitcnt lgkmcnt(0)
	v_cndmask_b32_e64 v71, v1, v54, s15
	v_cndmask_b32_e64 v80, v0, v55, s15
	;; [unrolled: 1-line block ×4, first 2 shown]
	s_delay_alu instid0(VALU_DEP_4) | instskip(NEXT) | instid1(VALU_DEP_4)
	v_and_b32_e32 v1, v71, v70
	v_and_b32_e32 v0, v80, v69
	s_delay_alu instid0(VALU_DEP_4) | instskip(NEXT) | instid1(VALU_DEP_4)
	v_and_b32_e32 v5, v81, v70
	v_and_b32_e32 v4, v82, v69
	s_delay_alu instid0(VALU_DEP_1) | instskip(NEXT) | instid1(VALU_DEP_1)
	v_cmp_le_u64_e64 s16, v[4:5], v[0:1]
	s_and_b32 s16, s17, s16
	s_delay_alu instid0(SALU_CYCLE_1) | instskip(NEXT) | instid1(SALU_CYCLE_1)
	s_or_b32 s16, s18, s16
	v_cndmask_b32_e64 v19, v13, v14, s16
	v_cndmask_b32_e64 v0, v53, v52, s16
	;; [unrolled: 1-line block ×3, first 2 shown]
	s_delay_alu instid0(VALU_DEP_3) | instskip(NEXT) | instid1(VALU_DEP_3)
	v_add_nc_u32_e32 v22, 1, v19
	v_add_nc_u32_e32 v0, -1, v0
	s_delay_alu instid0(VALU_DEP_2) | instskip(NEXT) | instid1(VALU_DEP_2)
	v_cndmask_b32_e64 v14, v14, v22, s16
	v_min_u32_e32 v0, v22, v0
	v_cndmask_b32_e64 v13, v22, v13, s16
	s_delay_alu instid0(VALU_DEP_3) | instskip(NEXT) | instid1(VALU_DEP_3)
	v_cmp_lt_u32_e64 s18, v14, v52
	v_lshl_add_u32 v0, v0, 3, v20
	s_delay_alu instid0(VALU_DEP_3)
	v_cmp_ge_u32_e64 s19, v13, v53
	ds_load_b64 v[0:1], v0
	s_waitcnt lgkmcnt(0)
	v_cndmask_b32_e64 v83, v1, v71, s16
	v_cndmask_b32_e64 v84, v0, v80, s16
	;; [unrolled: 1-line block ×4, first 2 shown]
	s_delay_alu instid0(VALU_DEP_4) | instskip(NEXT) | instid1(VALU_DEP_4)
	v_and_b32_e32 v1, v83, v70
	v_and_b32_e32 v0, v84, v69
	s_delay_alu instid0(VALU_DEP_4) | instskip(NEXT) | instid1(VALU_DEP_4)
	v_and_b32_e32 v5, v85, v70
	v_and_b32_e32 v4, v86, v69
	s_delay_alu instid0(VALU_DEP_1) | instskip(NEXT) | instid1(VALU_DEP_1)
	v_cmp_le_u64_e64 s17, v[4:5], v[0:1]
	s_and_b32 s17, s18, s17
	s_delay_alu instid0(SALU_CYCLE_1) | instskip(NEXT) | instid1(SALU_CYCLE_1)
	s_or_b32 s17, s19, s17
	v_cndmask_b32_e64 v22, v13, v14, s17
	v_cndmask_b32_e64 v0, v53, v52, s17
	v_cndmask_b32_e64 v51, v83, v85, s17
	v_cndmask_b32_e64 v50, v84, v86, s17
	s_delay_alu instid0(VALU_DEP_4) | instskip(NEXT) | instid1(VALU_DEP_4)
	v_add_nc_u32_e32 v23, 1, v22
	v_add_nc_u32_e32 v0, -1, v0
	v_lshl_add_u32 v22, v22, 3, v20
	s_delay_alu instid0(VALU_DEP_3) | instskip(NEXT) | instid1(VALU_DEP_3)
	v_cndmask_b32_e64 v24, v14, v23, s17
	v_min_u32_e32 v0, v23, v0
	v_cndmask_b32_e64 v23, v23, v13, s17
	v_lshl_add_u32 v14, v15, 3, v20
	v_lshl_add_u32 v13, v16, 3, v20
	v_cmp_lt_u32_e64 s19, v24, v52
	v_lshl_add_u32 v0, v0, 3, v20
	v_cmp_ge_u32_e64 s20, v23, v53
	v_lshl_add_u32 v16, v18, 3, v20
	ds_load_b64 v[0:1], v0
	s_waitcnt lgkmcnt(0)
	v_cndmask_b32_e64 v87, v1, v83, s17
	v_cndmask_b32_e64 v96, v0, v84, s17
	;; [unrolled: 1-line block ×4, first 2 shown]
	s_delay_alu instid0(VALU_DEP_4) | instskip(NEXT) | instid1(VALU_DEP_4)
	v_and_b32_e32 v1, v87, v70
	v_and_b32_e32 v0, v96, v69
	s_delay_alu instid0(VALU_DEP_4) | instskip(NEXT) | instid1(VALU_DEP_4)
	v_and_b32_e32 v5, v97, v70
	v_and_b32_e32 v4, v98, v69
	s_delay_alu instid0(VALU_DEP_1)
	v_cmp_le_u64_e64 s18, v[4:5], v[0:1]
	v_lshl_add_u32 v4, v17, 3, v20
	ds_load_b64 v[0:1], v12 offset:16384
	ds_load_b64 v[14:15], v14 offset:16384
	;; [unrolled: 1-line block ×3, first 2 shown]
	s_and_b32 s18, s19, s18
	s_delay_alu instid0(SALU_CYCLE_1) | instskip(NEXT) | instid1(SALU_CYCLE_1)
	s_or_b32 s18, s20, s18
	v_cndmask_b32_e64 v5, v23, v24, s18
	v_lshl_add_u32 v23, v19, 3, v20
	ds_load_b64 v[18:19], v4 offset:16384
	v_cndmask_b32_e64 v28, v96, v98, s18
	v_lshl_add_u32 v34, v5, 3, v20
	ds_load_b64 v[16:17], v16 offset:16384
	ds_load_b64 v[24:25], v23 offset:16384
	;; [unrolled: 1-line block ×4, first 2 shown]
	v_cndmask_b32_e64 v34, v29, v33, s10
	v_cndmask_b32_e64 v33, v71, v81, s16
	;; [unrolled: 1-line block ×3, first 2 shown]
.LBB824_94:
	s_or_b32 exec_lo, exec_lo, s22
	v_and_b32_e32 v54, 0xe0, v67
	v_and_b32_e32 v11, 24, v67
	s_mov_b32 s10, exec_lo
	; wave barrier
	s_delay_alu instid0(VALU_DEP_2) | instskip(NEXT) | instid1(VALU_DEP_2)
	v_or_b32_e32 v10, 16, v54
	v_min_u32_e32 v55, v31, v11
	ds_store_2addr_b64 v21, v[8:9], v[34:35] offset1:1
	ds_store_2addr_b64 v21, v[36:37], v[48:49] offset0:2 offset1:3
	s_waitcnt lgkmcnt(8)
	ds_store_2addr_b64 v30, v[0:1], v[14:15] offset1:1
	s_waitcnt lgkmcnt(7)
	ds_store_2addr_b64 v30, v[12:13], v[18:19] offset0:2 offset1:3
	ds_store_2addr_b64 v21, v[38:39], v[32:33] offset0:4 offset1:5
	;; [unrolled: 1-line block ×3, first 2 shown]
	s_waitcnt lgkmcnt(8)
	ds_store_2addr_b64 v30, v[16:17], v[24:25] offset0:4 offset1:5
	s_waitcnt lgkmcnt(7)
	ds_store_2addr_b64 v30, v[4:5], v[22:23] offset0:6 offset1:7
	v_min_u32_e32 v52, v31, v10
	; wave barrier
	s_delay_alu instid0(VALU_DEP_1) | instskip(NEXT) | instid1(VALU_DEP_1)
	v_add_nc_u32_e32 v10, 16, v52
	v_min_u32_e32 v53, v31, v10
	v_sub_nc_u32_e32 v10, v52, v54
	s_delay_alu instid0(VALU_DEP_2) | instskip(NEXT) | instid1(VALU_DEP_2)
	v_sub_nc_u32_e32 v11, v53, v52
	v_min_u32_e32 v64, v55, v10
	s_delay_alu instid0(VALU_DEP_2) | instskip(SKIP_1) | instid1(VALU_DEP_2)
	v_sub_nc_u32_e64 v10, v55, v11 clamp
	v_lshl_add_u32 v11, v54, 3, v20
	v_cmpx_lt_u32_e64 v10, v64
	s_cbranch_execz .LBB824_98
; %bb.95:
	v_lshlrev_b32_e32 v65, 3, v52
	v_lshlrev_b32_e32 v71, 3, v55
	s_mov_b32 s11, 0
	s_delay_alu instid0(VALU_DEP_1)
	v_add3_u32 v65, v20, v65, v71
	.p2align	6
.LBB824_96:                             ; =>This Inner Loop Header: Depth=1
	v_add_nc_u32_e32 v71, v64, v10
	s_delay_alu instid0(VALU_DEP_1) | instskip(NEXT) | instid1(VALU_DEP_1)
	v_lshrrev_b32_e32 v71, 1, v71
	v_not_b32_e32 v80, v71
	v_lshl_add_u32 v81, v71, 3, v11
	s_delay_alu instid0(VALU_DEP_2)
	v_lshl_add_u32 v82, v80, 3, v65
	ds_load_b64 v[80:81], v81
	ds_load_b64 v[82:83], v82
	s_waitcnt lgkmcnt(1)
	v_and_b32_e32 v81, v81, v70
	v_and_b32_e32 v80, v80, v69
	s_waitcnt lgkmcnt(0)
	v_and_b32_e32 v83, v83, v70
	v_and_b32_e32 v82, v82, v69
	s_delay_alu instid0(VALU_DEP_1) | instskip(SKIP_1) | instid1(VALU_DEP_2)
	v_cmp_gt_u64_e64 s7, v[80:81], v[82:83]
	v_add_nc_u32_e32 v80, 1, v71
	v_cndmask_b32_e64 v64, v64, v71, s7
	s_delay_alu instid0(VALU_DEP_2) | instskip(NEXT) | instid1(VALU_DEP_1)
	v_cndmask_b32_e64 v10, v80, v10, s7
	v_cmp_ge_u32_e64 s7, v10, v64
	s_delay_alu instid0(VALU_DEP_1) | instskip(NEXT) | instid1(SALU_CYCLE_1)
	s_or_b32 s11, s7, s11
	s_and_not1_b32 exec_lo, exec_lo, s11
	s_cbranch_execnz .LBB824_96
; %bb.97:
	s_or_b32 exec_lo, exec_lo, s11
.LBB824_98:
	s_delay_alu instid0(SALU_CYCLE_1) | instskip(SKIP_2) | instid1(VALU_DEP_2)
	s_or_b32 exec_lo, exec_lo, s10
	v_add_nc_u32_e32 v55, v52, v55
	v_add_nc_u32_e32 v54, v10, v54
	v_sub_nc_u32_e32 v55, v55, v10
	s_delay_alu instid0(VALU_DEP_2) | instskip(NEXT) | instid1(VALU_DEP_2)
	v_cmp_le_u32_e64 s7, v54, v52
	v_cmp_le_u32_e64 s10, v55, v53
	s_delay_alu instid0(VALU_DEP_1) | instskip(NEXT) | instid1(SALU_CYCLE_1)
	s_or_b32 s7, s7, s10
	s_and_saveexec_b32 s22, s7
	s_cbranch_execz .LBB824_104
; %bb.99:
	v_cmp_lt_u32_e64 s7, v54, v52
                                        ; implicit-def: $vgpr8_vgpr9
	s_delay_alu instid0(VALU_DEP_1)
	s_and_saveexec_b32 s10, s7
	s_cbranch_execz .LBB824_101
; %bb.100:
	v_lshl_add_u32 v0, v10, 3, v11
	ds_load_b64 v[8:9], v0
.LBB824_101:
	s_or_b32 exec_lo, exec_lo, s10
	v_cmp_ge_u32_e64 s10, v55, v53
	s_mov_b32 s14, exec_lo
                                        ; implicit-def: $vgpr10_vgpr11
	v_cmpx_lt_u32_e64 v55, v53
	s_cbranch_execz .LBB824_103
; %bb.102:
	v_lshl_add_u32 v0, v55, 3, v20
	ds_load_b64 v[10:11], v0
.LBB824_103:
	s_or_b32 exec_lo, exec_lo, s14
	s_waitcnt lgkmcnt(0)
	v_and_b32_e32 v1, v11, v70
	v_and_b32_e32 v0, v10, v69
	;; [unrolled: 1-line block ×4, first 2 shown]
	s_delay_alu instid0(VALU_DEP_1) | instskip(NEXT) | instid1(VALU_DEP_1)
	v_cmp_le_u64_e64 s11, v[4:5], v[0:1]
	s_and_b32 s7, s7, s11
	s_delay_alu instid0(SALU_CYCLE_1) | instskip(NEXT) | instid1(SALU_CYCLE_1)
	s_or_b32 s7, s10, s7
	v_cndmask_b32_e64 v12, v55, v54, s7
	v_cndmask_b32_e64 v0, v53, v52, s7
	s_delay_alu instid0(VALU_DEP_2) | instskip(NEXT) | instid1(VALU_DEP_2)
	v_add_nc_u32_e32 v13, 1, v12
	v_add_nc_u32_e32 v0, -1, v0
	v_lshl_add_u32 v12, v12, 3, v20
	s_delay_alu instid0(VALU_DEP_3) | instskip(NEXT) | instid1(VALU_DEP_3)
	v_cndmask_b32_e64 v14, v54, v13, s7
	v_min_u32_e32 v0, v13, v0
	v_cndmask_b32_e64 v13, v13, v55, s7
	s_delay_alu instid0(VALU_DEP_3) | instskip(NEXT) | instid1(VALU_DEP_3)
	v_cmp_lt_u32_e64 s11, v14, v52
	v_lshl_add_u32 v0, v0, 3, v20
	s_delay_alu instid0(VALU_DEP_3)
	v_cmp_ge_u32_e64 s14, v13, v53
	ds_load_b64 v[0:1], v0
	s_waitcnt lgkmcnt(0)
	v_cndmask_b32_e64 v28, v1, v11, s7
	v_cndmask_b32_e64 v29, v0, v10, s7
	;; [unrolled: 1-line block ×5, first 2 shown]
	v_and_b32_e32 v1, v28, v70
	v_and_b32_e32 v0, v29, v69
	;; [unrolled: 1-line block ×4, first 2 shown]
	v_cndmask_b32_e64 v8, v10, v8, s7
	s_delay_alu instid0(VALU_DEP_2) | instskip(NEXT) | instid1(VALU_DEP_1)
	v_cmp_le_u64_e64 s10, v[4:5], v[0:1]
	s_and_b32 s10, s11, s10
	s_delay_alu instid0(SALU_CYCLE_1) | instskip(NEXT) | instid1(SALU_CYCLE_1)
	s_or_b32 s10, s14, s10
	v_cndmask_b32_e64 v15, v13, v14, s10
	v_cndmask_b32_e64 v0, v53, v52, s10
	;; [unrolled: 1-line block ×3, first 2 shown]
	s_delay_alu instid0(VALU_DEP_3) | instskip(NEXT) | instid1(VALU_DEP_3)
	v_add_nc_u32_e32 v16, 1, v15
	v_add_nc_u32_e32 v0, -1, v0
	s_delay_alu instid0(VALU_DEP_2) | instskip(NEXT) | instid1(VALU_DEP_2)
	v_cndmask_b32_e64 v14, v14, v16, s10
	v_min_u32_e32 v0, v16, v0
	v_cndmask_b32_e64 v13, v16, v13, s10
	s_delay_alu instid0(VALU_DEP_3) | instskip(NEXT) | instid1(VALU_DEP_3)
	v_cmp_lt_u32_e64 s14, v14, v52
	v_lshl_add_u32 v0, v0, 3, v20
	s_delay_alu instid0(VALU_DEP_3)
	v_cmp_ge_u32_e64 s15, v13, v53
	ds_load_b64 v[0:1], v0
	s_waitcnt lgkmcnt(0)
	v_cndmask_b32_e64 v36, v1, v28, s10
	v_cndmask_b32_e64 v38, v0, v29, s10
	;; [unrolled: 1-line block ×4, first 2 shown]
	s_delay_alu instid0(VALU_DEP_4) | instskip(NEXT) | instid1(VALU_DEP_4)
	v_and_b32_e32 v1, v36, v70
	v_and_b32_e32 v0, v38, v69
	s_delay_alu instid0(VALU_DEP_4) | instskip(NEXT) | instid1(VALU_DEP_4)
	v_and_b32_e32 v5, v37, v70
	v_and_b32_e32 v4, v39, v69
	s_delay_alu instid0(VALU_DEP_1) | instskip(NEXT) | instid1(VALU_DEP_1)
	v_cmp_le_u64_e64 s11, v[4:5], v[0:1]
	s_and_b32 s11, s14, s11
	s_delay_alu instid0(SALU_CYCLE_1) | instskip(NEXT) | instid1(SALU_CYCLE_1)
	s_or_b32 s11, s15, s11
	v_cndmask_b32_e64 v16, v13, v14, s11
	v_cndmask_b32_e64 v0, v53, v52, s11
	s_delay_alu instid0(VALU_DEP_2) | instskip(NEXT) | instid1(VALU_DEP_2)
	v_add_nc_u32_e32 v17, 1, v16
	v_add_nc_u32_e32 v0, -1, v0
	s_delay_alu instid0(VALU_DEP_2) | instskip(NEXT) | instid1(VALU_DEP_2)
	v_cndmask_b32_e64 v14, v14, v17, s11
	v_min_u32_e32 v0, v17, v0
	v_cndmask_b32_e64 v13, v17, v13, s11
	s_delay_alu instid0(VALU_DEP_3) | instskip(NEXT) | instid1(VALU_DEP_3)
	v_cmp_lt_u32_e64 s15, v14, v52
	v_lshl_add_u32 v0, v0, 3, v20
	s_delay_alu instid0(VALU_DEP_3)
	v_cmp_ge_u32_e64 s16, v13, v53
	ds_load_b64 v[0:1], v0
	s_waitcnt lgkmcnt(0)
	v_cndmask_b32_e64 v48, v1, v36, s11
	v_cndmask_b32_e64 v50, v0, v38, s11
	;; [unrolled: 1-line block ×5, first 2 shown]
	v_and_b32_e32 v1, v48, v70
	v_and_b32_e32 v0, v50, v69
	;; [unrolled: 1-line block ×4, first 2 shown]
	v_cndmask_b32_e64 v36, v38, v39, s11
	s_delay_alu instid0(VALU_DEP_2) | instskip(NEXT) | instid1(VALU_DEP_1)
	v_cmp_le_u64_e64 s14, v[4:5], v[0:1]
	s_and_b32 s14, s15, s14
	s_delay_alu instid0(SALU_CYCLE_1) | instskip(NEXT) | instid1(SALU_CYCLE_1)
	s_or_b32 s14, s16, s14
	v_cndmask_b32_e64 v17, v13, v14, s14
	v_cndmask_b32_e64 v0, v53, v52, s14
	s_delay_alu instid0(VALU_DEP_2) | instskip(NEXT) | instid1(VALU_DEP_2)
	v_add_nc_u32_e32 v18, 1, v17
	v_add_nc_u32_e32 v0, -1, v0
	s_delay_alu instid0(VALU_DEP_2) | instskip(NEXT) | instid1(VALU_DEP_2)
	v_cndmask_b32_e64 v14, v14, v18, s14
	v_min_u32_e32 v0, v18, v0
	v_cndmask_b32_e64 v13, v18, v13, s14
	s_delay_alu instid0(VALU_DEP_3) | instskip(NEXT) | instid1(VALU_DEP_3)
	v_cmp_lt_u32_e64 s16, v14, v52
	v_lshl_add_u32 v0, v0, 3, v20
	s_delay_alu instid0(VALU_DEP_3)
	v_cmp_ge_u32_e64 s17, v13, v53
	ds_load_b64 v[0:1], v0
	s_waitcnt lgkmcnt(0)
	v_cndmask_b32_e64 v54, v1, v48, s14
	v_cndmask_b32_e64 v55, v0, v50, s14
	;; [unrolled: 1-line block ×5, first 2 shown]
	v_and_b32_e32 v1, v54, v70
	v_and_b32_e32 v0, v55, v69
	;; [unrolled: 1-line block ×4, first 2 shown]
	v_cndmask_b32_e64 v48, v50, v51, s14
	s_delay_alu instid0(VALU_DEP_2) | instskip(NEXT) | instid1(VALU_DEP_1)
	v_cmp_le_u64_e64 s15, v[4:5], v[0:1]
	s_and_b32 s15, s16, s15
	s_delay_alu instid0(SALU_CYCLE_1) | instskip(NEXT) | instid1(SALU_CYCLE_1)
	s_or_b32 s15, s17, s15
	v_cndmask_b32_e64 v18, v13, v14, s15
	v_cndmask_b32_e64 v0, v53, v52, s15
	v_cndmask_b32_e64 v39, v54, v64, s15
	v_cndmask_b32_e64 v38, v55, v65, s15
	s_delay_alu instid0(VALU_DEP_4) | instskip(NEXT) | instid1(VALU_DEP_4)
	v_add_nc_u32_e32 v19, 1, v18
	v_add_nc_u32_e32 v0, -1, v0
	s_delay_alu instid0(VALU_DEP_2) | instskip(NEXT) | instid1(VALU_DEP_2)
	v_cndmask_b32_e64 v14, v14, v19, s15
	v_min_u32_e32 v0, v19, v0
	v_cndmask_b32_e64 v13, v19, v13, s15
	s_delay_alu instid0(VALU_DEP_3) | instskip(NEXT) | instid1(VALU_DEP_3)
	v_cmp_lt_u32_e64 s17, v14, v52
	v_lshl_add_u32 v0, v0, 3, v20
	s_delay_alu instid0(VALU_DEP_3)
	v_cmp_ge_u32_e64 s18, v13, v53
	ds_load_b64 v[0:1], v0
	s_waitcnt lgkmcnt(0)
	v_cndmask_b32_e64 v71, v1, v54, s15
	v_cndmask_b32_e64 v80, v0, v55, s15
	;; [unrolled: 1-line block ×4, first 2 shown]
	s_delay_alu instid0(VALU_DEP_4) | instskip(NEXT) | instid1(VALU_DEP_4)
	v_and_b32_e32 v1, v71, v70
	v_and_b32_e32 v0, v80, v69
	s_delay_alu instid0(VALU_DEP_4) | instskip(NEXT) | instid1(VALU_DEP_4)
	v_and_b32_e32 v5, v81, v70
	v_and_b32_e32 v4, v82, v69
	s_delay_alu instid0(VALU_DEP_1) | instskip(NEXT) | instid1(VALU_DEP_1)
	v_cmp_le_u64_e64 s16, v[4:5], v[0:1]
	s_and_b32 s16, s17, s16
	s_delay_alu instid0(SALU_CYCLE_1) | instskip(NEXT) | instid1(SALU_CYCLE_1)
	s_or_b32 s16, s18, s16
	v_cndmask_b32_e64 v19, v13, v14, s16
	v_cndmask_b32_e64 v0, v53, v52, s16
	;; [unrolled: 1-line block ×3, first 2 shown]
	s_delay_alu instid0(VALU_DEP_3) | instskip(NEXT) | instid1(VALU_DEP_3)
	v_add_nc_u32_e32 v22, 1, v19
	v_add_nc_u32_e32 v0, -1, v0
	s_delay_alu instid0(VALU_DEP_2) | instskip(NEXT) | instid1(VALU_DEP_2)
	v_cndmask_b32_e64 v14, v14, v22, s16
	v_min_u32_e32 v0, v22, v0
	v_cndmask_b32_e64 v13, v22, v13, s16
	s_delay_alu instid0(VALU_DEP_3) | instskip(NEXT) | instid1(VALU_DEP_3)
	v_cmp_lt_u32_e64 s18, v14, v52
	v_lshl_add_u32 v0, v0, 3, v20
	s_delay_alu instid0(VALU_DEP_3)
	v_cmp_ge_u32_e64 s19, v13, v53
	ds_load_b64 v[0:1], v0
	s_waitcnt lgkmcnt(0)
	v_cndmask_b32_e64 v83, v1, v71, s16
	v_cndmask_b32_e64 v84, v0, v80, s16
	;; [unrolled: 1-line block ×4, first 2 shown]
	s_delay_alu instid0(VALU_DEP_4) | instskip(NEXT) | instid1(VALU_DEP_4)
	v_and_b32_e32 v1, v83, v70
	v_and_b32_e32 v0, v84, v69
	s_delay_alu instid0(VALU_DEP_4) | instskip(NEXT) | instid1(VALU_DEP_4)
	v_and_b32_e32 v5, v85, v70
	v_and_b32_e32 v4, v86, v69
	s_delay_alu instid0(VALU_DEP_1) | instskip(NEXT) | instid1(VALU_DEP_1)
	v_cmp_le_u64_e64 s17, v[4:5], v[0:1]
	s_and_b32 s17, s18, s17
	s_delay_alu instid0(SALU_CYCLE_1) | instskip(NEXT) | instid1(SALU_CYCLE_1)
	s_or_b32 s17, s19, s17
	v_cndmask_b32_e64 v22, v13, v14, s17
	v_cndmask_b32_e64 v0, v53, v52, s17
	;; [unrolled: 1-line block ×4, first 2 shown]
	s_delay_alu instid0(VALU_DEP_4) | instskip(NEXT) | instid1(VALU_DEP_4)
	v_add_nc_u32_e32 v23, 1, v22
	v_add_nc_u32_e32 v0, -1, v0
	v_lshl_add_u32 v22, v22, 3, v20
	s_delay_alu instid0(VALU_DEP_3) | instskip(NEXT) | instid1(VALU_DEP_3)
	v_cndmask_b32_e64 v24, v14, v23, s17
	v_min_u32_e32 v0, v23, v0
	v_cndmask_b32_e64 v23, v23, v13, s17
	v_lshl_add_u32 v14, v15, 3, v20
	v_lshl_add_u32 v13, v16, 3, v20
	v_cmp_lt_u32_e64 s19, v24, v52
	v_lshl_add_u32 v0, v0, 3, v20
	v_cmp_ge_u32_e64 s20, v23, v53
	v_lshl_add_u32 v16, v18, 3, v20
	ds_load_b64 v[0:1], v0
	s_waitcnt lgkmcnt(0)
	v_cndmask_b32_e64 v87, v1, v83, s17
	v_cndmask_b32_e64 v96, v0, v84, s17
	;; [unrolled: 1-line block ×4, first 2 shown]
	s_delay_alu instid0(VALU_DEP_4) | instskip(NEXT) | instid1(VALU_DEP_4)
	v_and_b32_e32 v1, v87, v70
	v_and_b32_e32 v0, v96, v69
	s_delay_alu instid0(VALU_DEP_4) | instskip(NEXT) | instid1(VALU_DEP_4)
	v_and_b32_e32 v5, v97, v70
	v_and_b32_e32 v4, v98, v69
	s_delay_alu instid0(VALU_DEP_1)
	v_cmp_le_u64_e64 s18, v[4:5], v[0:1]
	v_lshl_add_u32 v4, v17, 3, v20
	ds_load_b64 v[0:1], v12 offset:16384
	ds_load_b64 v[14:15], v14 offset:16384
	ds_load_b64 v[12:13], v13 offset:16384
	s_and_b32 s18, s19, s18
	s_delay_alu instid0(SALU_CYCLE_1) | instskip(NEXT) | instid1(SALU_CYCLE_1)
	s_or_b32 s18, s20, s18
	v_cndmask_b32_e64 v5, v23, v24, s18
	v_lshl_add_u32 v23, v19, 3, v20
	ds_load_b64 v[18:19], v4 offset:16384
	v_cndmask_b32_e64 v28, v96, v98, s18
	v_lshl_add_u32 v34, v5, 3, v20
	ds_load_b64 v[16:17], v16 offset:16384
	ds_load_b64 v[24:25], v23 offset:16384
	;; [unrolled: 1-line block ×4, first 2 shown]
	v_cndmask_b32_e64 v34, v29, v33, s10
	v_cndmask_b32_e64 v33, v71, v81, s16
	;; [unrolled: 1-line block ×3, first 2 shown]
.LBB824_104:
	s_or_b32 exec_lo, exec_lo, s22
	v_and_b32_e32 v54, 0xc0, v67
	v_and_b32_e32 v11, 56, v67
	s_mov_b32 s10, exec_lo
	; wave barrier
	s_delay_alu instid0(VALU_DEP_2) | instskip(NEXT) | instid1(VALU_DEP_2)
	v_or_b32_e32 v10, 32, v54
	v_min_u32_e32 v55, v31, v11
	ds_store_2addr_b64 v21, v[8:9], v[34:35] offset1:1
	ds_store_2addr_b64 v21, v[36:37], v[48:49] offset0:2 offset1:3
	s_waitcnt lgkmcnt(8)
	ds_store_2addr_b64 v30, v[0:1], v[14:15] offset1:1
	s_waitcnt lgkmcnt(7)
	ds_store_2addr_b64 v30, v[12:13], v[18:19] offset0:2 offset1:3
	ds_store_2addr_b64 v21, v[38:39], v[32:33] offset0:4 offset1:5
	;; [unrolled: 1-line block ×3, first 2 shown]
	s_waitcnt lgkmcnt(8)
	ds_store_2addr_b64 v30, v[16:17], v[24:25] offset0:4 offset1:5
	s_waitcnt lgkmcnt(7)
	ds_store_2addr_b64 v30, v[4:5], v[22:23] offset0:6 offset1:7
	v_min_u32_e32 v52, v31, v10
	; wave barrier
	s_delay_alu instid0(VALU_DEP_1) | instskip(NEXT) | instid1(VALU_DEP_1)
	v_add_nc_u32_e32 v10, 32, v52
	v_min_u32_e32 v53, v31, v10
	v_sub_nc_u32_e32 v10, v52, v54
	s_delay_alu instid0(VALU_DEP_2) | instskip(NEXT) | instid1(VALU_DEP_2)
	v_sub_nc_u32_e32 v11, v53, v52
	v_min_u32_e32 v64, v55, v10
	s_delay_alu instid0(VALU_DEP_2) | instskip(SKIP_1) | instid1(VALU_DEP_2)
	v_sub_nc_u32_e64 v10, v55, v11 clamp
	v_lshl_add_u32 v11, v54, 3, v20
	v_cmpx_lt_u32_e64 v10, v64
	s_cbranch_execz .LBB824_108
; %bb.105:
	v_lshlrev_b32_e32 v65, 3, v52
	v_lshlrev_b32_e32 v71, 3, v55
	s_mov_b32 s11, 0
	s_delay_alu instid0(VALU_DEP_1)
	v_add3_u32 v65, v20, v65, v71
	.p2align	6
.LBB824_106:                            ; =>This Inner Loop Header: Depth=1
	v_add_nc_u32_e32 v71, v64, v10
	s_delay_alu instid0(VALU_DEP_1) | instskip(NEXT) | instid1(VALU_DEP_1)
	v_lshrrev_b32_e32 v71, 1, v71
	v_not_b32_e32 v80, v71
	v_lshl_add_u32 v81, v71, 3, v11
	s_delay_alu instid0(VALU_DEP_2)
	v_lshl_add_u32 v82, v80, 3, v65
	ds_load_b64 v[80:81], v81
	ds_load_b64 v[82:83], v82
	s_waitcnt lgkmcnt(1)
	v_and_b32_e32 v81, v81, v70
	v_and_b32_e32 v80, v80, v69
	s_waitcnt lgkmcnt(0)
	v_and_b32_e32 v83, v83, v70
	v_and_b32_e32 v82, v82, v69
	s_delay_alu instid0(VALU_DEP_1) | instskip(SKIP_1) | instid1(VALU_DEP_2)
	v_cmp_gt_u64_e64 s7, v[80:81], v[82:83]
	v_add_nc_u32_e32 v80, 1, v71
	v_cndmask_b32_e64 v64, v64, v71, s7
	s_delay_alu instid0(VALU_DEP_2) | instskip(NEXT) | instid1(VALU_DEP_1)
	v_cndmask_b32_e64 v10, v80, v10, s7
	v_cmp_ge_u32_e64 s7, v10, v64
	s_delay_alu instid0(VALU_DEP_1) | instskip(NEXT) | instid1(SALU_CYCLE_1)
	s_or_b32 s11, s7, s11
	s_and_not1_b32 exec_lo, exec_lo, s11
	s_cbranch_execnz .LBB824_106
; %bb.107:
	s_or_b32 exec_lo, exec_lo, s11
.LBB824_108:
	s_delay_alu instid0(SALU_CYCLE_1) | instskip(SKIP_2) | instid1(VALU_DEP_2)
	s_or_b32 exec_lo, exec_lo, s10
	v_add_nc_u32_e32 v55, v52, v55
	v_add_nc_u32_e32 v54, v10, v54
	v_sub_nc_u32_e32 v55, v55, v10
	s_delay_alu instid0(VALU_DEP_2) | instskip(NEXT) | instid1(VALU_DEP_2)
	v_cmp_le_u32_e64 s7, v54, v52
	v_cmp_le_u32_e64 s10, v55, v53
	s_delay_alu instid0(VALU_DEP_1) | instskip(NEXT) | instid1(SALU_CYCLE_1)
	s_or_b32 s7, s7, s10
	s_and_saveexec_b32 s22, s7
	s_cbranch_execz .LBB824_114
; %bb.109:
	v_cmp_lt_u32_e64 s7, v54, v52
                                        ; implicit-def: $vgpr8_vgpr9
	s_delay_alu instid0(VALU_DEP_1)
	s_and_saveexec_b32 s10, s7
	s_cbranch_execz .LBB824_111
; %bb.110:
	v_lshl_add_u32 v0, v10, 3, v11
	ds_load_b64 v[8:9], v0
.LBB824_111:
	s_or_b32 exec_lo, exec_lo, s10
	v_cmp_ge_u32_e64 s10, v55, v53
	s_mov_b32 s14, exec_lo
                                        ; implicit-def: $vgpr10_vgpr11
	v_cmpx_lt_u32_e64 v55, v53
	s_cbranch_execz .LBB824_113
; %bb.112:
	v_lshl_add_u32 v0, v55, 3, v20
	ds_load_b64 v[10:11], v0
.LBB824_113:
	s_or_b32 exec_lo, exec_lo, s14
	s_waitcnt lgkmcnt(0)
	v_and_b32_e32 v1, v11, v70
	v_and_b32_e32 v0, v10, v69
	;; [unrolled: 1-line block ×4, first 2 shown]
	s_delay_alu instid0(VALU_DEP_1) | instskip(NEXT) | instid1(VALU_DEP_1)
	v_cmp_le_u64_e64 s11, v[4:5], v[0:1]
	s_and_b32 s7, s7, s11
	s_delay_alu instid0(SALU_CYCLE_1) | instskip(NEXT) | instid1(SALU_CYCLE_1)
	s_or_b32 s7, s10, s7
	v_cndmask_b32_e64 v12, v55, v54, s7
	v_cndmask_b32_e64 v0, v53, v52, s7
	s_delay_alu instid0(VALU_DEP_2) | instskip(NEXT) | instid1(VALU_DEP_2)
	v_add_nc_u32_e32 v13, 1, v12
	v_add_nc_u32_e32 v0, -1, v0
	v_lshl_add_u32 v12, v12, 3, v20
	s_delay_alu instid0(VALU_DEP_3) | instskip(NEXT) | instid1(VALU_DEP_3)
	v_cndmask_b32_e64 v14, v54, v13, s7
	v_min_u32_e32 v0, v13, v0
	v_cndmask_b32_e64 v13, v13, v55, s7
	s_delay_alu instid0(VALU_DEP_3) | instskip(NEXT) | instid1(VALU_DEP_3)
	v_cmp_lt_u32_e64 s11, v14, v52
	v_lshl_add_u32 v0, v0, 3, v20
	s_delay_alu instid0(VALU_DEP_3)
	v_cmp_ge_u32_e64 s14, v13, v53
	ds_load_b64 v[0:1], v0
	s_waitcnt lgkmcnt(0)
	v_cndmask_b32_e64 v28, v1, v11, s7
	v_cndmask_b32_e64 v29, v0, v10, s7
	;; [unrolled: 1-line block ×5, first 2 shown]
	v_and_b32_e32 v1, v28, v70
	v_and_b32_e32 v0, v29, v69
	;; [unrolled: 1-line block ×4, first 2 shown]
	v_cndmask_b32_e64 v8, v10, v8, s7
	s_delay_alu instid0(VALU_DEP_2) | instskip(NEXT) | instid1(VALU_DEP_1)
	v_cmp_le_u64_e64 s10, v[4:5], v[0:1]
	s_and_b32 s10, s11, s10
	s_delay_alu instid0(SALU_CYCLE_1) | instskip(NEXT) | instid1(SALU_CYCLE_1)
	s_or_b32 s10, s14, s10
	v_cndmask_b32_e64 v15, v13, v14, s10
	v_cndmask_b32_e64 v0, v53, v52, s10
	;; [unrolled: 1-line block ×3, first 2 shown]
	s_delay_alu instid0(VALU_DEP_3) | instskip(NEXT) | instid1(VALU_DEP_3)
	v_add_nc_u32_e32 v16, 1, v15
	v_add_nc_u32_e32 v0, -1, v0
	s_delay_alu instid0(VALU_DEP_2) | instskip(NEXT) | instid1(VALU_DEP_2)
	v_cndmask_b32_e64 v14, v14, v16, s10
	v_min_u32_e32 v0, v16, v0
	v_cndmask_b32_e64 v13, v16, v13, s10
	s_delay_alu instid0(VALU_DEP_3) | instskip(NEXT) | instid1(VALU_DEP_3)
	v_cmp_lt_u32_e64 s14, v14, v52
	v_lshl_add_u32 v0, v0, 3, v20
	s_delay_alu instid0(VALU_DEP_3)
	v_cmp_ge_u32_e64 s15, v13, v53
	ds_load_b64 v[0:1], v0
	s_waitcnt lgkmcnt(0)
	v_cndmask_b32_e64 v36, v1, v28, s10
	v_cndmask_b32_e64 v38, v0, v29, s10
	;; [unrolled: 1-line block ×4, first 2 shown]
	s_delay_alu instid0(VALU_DEP_4) | instskip(NEXT) | instid1(VALU_DEP_4)
	v_and_b32_e32 v1, v36, v70
	v_and_b32_e32 v0, v38, v69
	s_delay_alu instid0(VALU_DEP_4) | instskip(NEXT) | instid1(VALU_DEP_4)
	v_and_b32_e32 v5, v37, v70
	v_and_b32_e32 v4, v39, v69
	s_delay_alu instid0(VALU_DEP_1) | instskip(NEXT) | instid1(VALU_DEP_1)
	v_cmp_le_u64_e64 s11, v[4:5], v[0:1]
	s_and_b32 s11, s14, s11
	s_delay_alu instid0(SALU_CYCLE_1) | instskip(NEXT) | instid1(SALU_CYCLE_1)
	s_or_b32 s11, s15, s11
	v_cndmask_b32_e64 v16, v13, v14, s11
	v_cndmask_b32_e64 v0, v53, v52, s11
	s_delay_alu instid0(VALU_DEP_2) | instskip(NEXT) | instid1(VALU_DEP_2)
	v_add_nc_u32_e32 v17, 1, v16
	v_add_nc_u32_e32 v0, -1, v0
	s_delay_alu instid0(VALU_DEP_2) | instskip(NEXT) | instid1(VALU_DEP_2)
	v_cndmask_b32_e64 v14, v14, v17, s11
	v_min_u32_e32 v0, v17, v0
	v_cndmask_b32_e64 v13, v17, v13, s11
	s_delay_alu instid0(VALU_DEP_3) | instskip(NEXT) | instid1(VALU_DEP_3)
	v_cmp_lt_u32_e64 s15, v14, v52
	v_lshl_add_u32 v0, v0, 3, v20
	s_delay_alu instid0(VALU_DEP_3)
	v_cmp_ge_u32_e64 s16, v13, v53
	ds_load_b64 v[0:1], v0
	s_waitcnt lgkmcnt(0)
	v_cndmask_b32_e64 v48, v1, v36, s11
	v_cndmask_b32_e64 v50, v0, v38, s11
	;; [unrolled: 1-line block ×5, first 2 shown]
	v_and_b32_e32 v1, v48, v70
	v_and_b32_e32 v0, v50, v69
	;; [unrolled: 1-line block ×4, first 2 shown]
	v_cndmask_b32_e64 v36, v38, v39, s11
	s_delay_alu instid0(VALU_DEP_2) | instskip(NEXT) | instid1(VALU_DEP_1)
	v_cmp_le_u64_e64 s14, v[4:5], v[0:1]
	s_and_b32 s14, s15, s14
	s_delay_alu instid0(SALU_CYCLE_1) | instskip(NEXT) | instid1(SALU_CYCLE_1)
	s_or_b32 s14, s16, s14
	v_cndmask_b32_e64 v17, v13, v14, s14
	v_cndmask_b32_e64 v0, v53, v52, s14
	s_delay_alu instid0(VALU_DEP_2) | instskip(NEXT) | instid1(VALU_DEP_2)
	v_add_nc_u32_e32 v18, 1, v17
	v_add_nc_u32_e32 v0, -1, v0
	s_delay_alu instid0(VALU_DEP_2) | instskip(NEXT) | instid1(VALU_DEP_2)
	v_cndmask_b32_e64 v14, v14, v18, s14
	v_min_u32_e32 v0, v18, v0
	v_cndmask_b32_e64 v13, v18, v13, s14
	s_delay_alu instid0(VALU_DEP_3) | instskip(NEXT) | instid1(VALU_DEP_3)
	v_cmp_lt_u32_e64 s16, v14, v52
	v_lshl_add_u32 v0, v0, 3, v20
	s_delay_alu instid0(VALU_DEP_3)
	v_cmp_ge_u32_e64 s17, v13, v53
	ds_load_b64 v[0:1], v0
	s_waitcnt lgkmcnt(0)
	v_cndmask_b32_e64 v54, v1, v48, s14
	v_cndmask_b32_e64 v55, v0, v50, s14
	;; [unrolled: 1-line block ×5, first 2 shown]
	v_and_b32_e32 v1, v54, v70
	v_and_b32_e32 v0, v55, v69
	;; [unrolled: 1-line block ×4, first 2 shown]
	v_cndmask_b32_e64 v48, v50, v51, s14
	s_delay_alu instid0(VALU_DEP_2) | instskip(NEXT) | instid1(VALU_DEP_1)
	v_cmp_le_u64_e64 s15, v[4:5], v[0:1]
	s_and_b32 s15, s16, s15
	s_delay_alu instid0(SALU_CYCLE_1) | instskip(NEXT) | instid1(SALU_CYCLE_1)
	s_or_b32 s15, s17, s15
	v_cndmask_b32_e64 v18, v13, v14, s15
	v_cndmask_b32_e64 v0, v53, v52, s15
	;; [unrolled: 1-line block ×4, first 2 shown]
	s_delay_alu instid0(VALU_DEP_4) | instskip(NEXT) | instid1(VALU_DEP_4)
	v_add_nc_u32_e32 v19, 1, v18
	v_add_nc_u32_e32 v0, -1, v0
	s_delay_alu instid0(VALU_DEP_2) | instskip(NEXT) | instid1(VALU_DEP_2)
	v_cndmask_b32_e64 v14, v14, v19, s15
	v_min_u32_e32 v0, v19, v0
	v_cndmask_b32_e64 v13, v19, v13, s15
	s_delay_alu instid0(VALU_DEP_3) | instskip(NEXT) | instid1(VALU_DEP_3)
	v_cmp_lt_u32_e64 s17, v14, v52
	v_lshl_add_u32 v0, v0, 3, v20
	s_delay_alu instid0(VALU_DEP_3)
	v_cmp_ge_u32_e64 s18, v13, v53
	ds_load_b64 v[0:1], v0
	s_waitcnt lgkmcnt(0)
	v_cndmask_b32_e64 v71, v1, v54, s15
	v_cndmask_b32_e64 v80, v0, v55, s15
	v_cndmask_b32_e64 v81, v64, v1, s15
	v_cndmask_b32_e64 v82, v65, v0, s15
	s_delay_alu instid0(VALU_DEP_4) | instskip(NEXT) | instid1(VALU_DEP_4)
	v_and_b32_e32 v1, v71, v70
	v_and_b32_e32 v0, v80, v69
	s_delay_alu instid0(VALU_DEP_4) | instskip(NEXT) | instid1(VALU_DEP_4)
	v_and_b32_e32 v5, v81, v70
	v_and_b32_e32 v4, v82, v69
	s_delay_alu instid0(VALU_DEP_1) | instskip(NEXT) | instid1(VALU_DEP_1)
	v_cmp_le_u64_e64 s16, v[4:5], v[0:1]
	s_and_b32 s16, s17, s16
	s_delay_alu instid0(SALU_CYCLE_1) | instskip(NEXT) | instid1(SALU_CYCLE_1)
	s_or_b32 s16, s18, s16
	v_cndmask_b32_e64 v19, v13, v14, s16
	v_cndmask_b32_e64 v0, v53, v52, s16
	;; [unrolled: 1-line block ×3, first 2 shown]
	s_delay_alu instid0(VALU_DEP_3) | instskip(NEXT) | instid1(VALU_DEP_3)
	v_add_nc_u32_e32 v22, 1, v19
	v_add_nc_u32_e32 v0, -1, v0
	s_delay_alu instid0(VALU_DEP_2) | instskip(NEXT) | instid1(VALU_DEP_2)
	v_cndmask_b32_e64 v14, v14, v22, s16
	v_min_u32_e32 v0, v22, v0
	v_cndmask_b32_e64 v13, v22, v13, s16
	s_delay_alu instid0(VALU_DEP_3) | instskip(NEXT) | instid1(VALU_DEP_3)
	v_cmp_lt_u32_e64 s18, v14, v52
	v_lshl_add_u32 v0, v0, 3, v20
	s_delay_alu instid0(VALU_DEP_3)
	v_cmp_ge_u32_e64 s19, v13, v53
	ds_load_b64 v[0:1], v0
	s_waitcnt lgkmcnt(0)
	v_cndmask_b32_e64 v83, v1, v71, s16
	v_cndmask_b32_e64 v84, v0, v80, s16
	;; [unrolled: 1-line block ×4, first 2 shown]
	s_delay_alu instid0(VALU_DEP_4) | instskip(NEXT) | instid1(VALU_DEP_4)
	v_and_b32_e32 v1, v83, v70
	v_and_b32_e32 v0, v84, v69
	s_delay_alu instid0(VALU_DEP_4) | instskip(NEXT) | instid1(VALU_DEP_4)
	v_and_b32_e32 v5, v85, v70
	v_and_b32_e32 v4, v86, v69
	s_delay_alu instid0(VALU_DEP_1) | instskip(NEXT) | instid1(VALU_DEP_1)
	v_cmp_le_u64_e64 s17, v[4:5], v[0:1]
	s_and_b32 s17, s18, s17
	s_delay_alu instid0(SALU_CYCLE_1) | instskip(NEXT) | instid1(SALU_CYCLE_1)
	s_or_b32 s17, s19, s17
	v_cndmask_b32_e64 v22, v13, v14, s17
	v_cndmask_b32_e64 v0, v53, v52, s17
	v_cndmask_b32_e64 v51, v83, v85, s17
	v_cndmask_b32_e64 v50, v84, v86, s17
	s_delay_alu instid0(VALU_DEP_4) | instskip(NEXT) | instid1(VALU_DEP_4)
	v_add_nc_u32_e32 v23, 1, v22
	v_add_nc_u32_e32 v0, -1, v0
	v_lshl_add_u32 v22, v22, 3, v20
	s_delay_alu instid0(VALU_DEP_3) | instskip(NEXT) | instid1(VALU_DEP_3)
	v_cndmask_b32_e64 v24, v14, v23, s17
	v_min_u32_e32 v0, v23, v0
	v_cndmask_b32_e64 v23, v23, v13, s17
	v_lshl_add_u32 v14, v15, 3, v20
	v_lshl_add_u32 v13, v16, 3, v20
	v_cmp_lt_u32_e64 s19, v24, v52
	v_lshl_add_u32 v0, v0, 3, v20
	v_cmp_ge_u32_e64 s20, v23, v53
	v_lshl_add_u32 v16, v18, 3, v20
	ds_load_b64 v[0:1], v0
	s_waitcnt lgkmcnt(0)
	v_cndmask_b32_e64 v87, v1, v83, s17
	v_cndmask_b32_e64 v96, v0, v84, s17
	;; [unrolled: 1-line block ×4, first 2 shown]
	s_delay_alu instid0(VALU_DEP_4) | instskip(NEXT) | instid1(VALU_DEP_4)
	v_and_b32_e32 v1, v87, v70
	v_and_b32_e32 v0, v96, v69
	s_delay_alu instid0(VALU_DEP_4) | instskip(NEXT) | instid1(VALU_DEP_4)
	v_and_b32_e32 v5, v97, v70
	v_and_b32_e32 v4, v98, v69
	s_delay_alu instid0(VALU_DEP_1)
	v_cmp_le_u64_e64 s18, v[4:5], v[0:1]
	v_lshl_add_u32 v4, v17, 3, v20
	ds_load_b64 v[0:1], v12 offset:16384
	ds_load_b64 v[14:15], v14 offset:16384
	;; [unrolled: 1-line block ×3, first 2 shown]
	s_and_b32 s18, s19, s18
	s_delay_alu instid0(SALU_CYCLE_1) | instskip(NEXT) | instid1(SALU_CYCLE_1)
	s_or_b32 s18, s20, s18
	v_cndmask_b32_e64 v5, v23, v24, s18
	v_lshl_add_u32 v23, v19, 3, v20
	ds_load_b64 v[18:19], v4 offset:16384
	v_cndmask_b32_e64 v28, v96, v98, s18
	v_lshl_add_u32 v34, v5, 3, v20
	ds_load_b64 v[16:17], v16 offset:16384
	ds_load_b64 v[24:25], v23 offset:16384
	;; [unrolled: 1-line block ×4, first 2 shown]
	v_cndmask_b32_e64 v34, v29, v33, s10
	v_cndmask_b32_e64 v33, v71, v81, s16
	;; [unrolled: 1-line block ×3, first 2 shown]
.LBB824_114:
	s_or_b32 exec_lo, exec_lo, s22
	v_and_b32_e32 v54, 0x80, v67
	s_mov_b32 s10, exec_lo
	; wave barrier
	ds_store_2addr_b64 v21, v[8:9], v[34:35] offset1:1
	ds_store_2addr_b64 v21, v[36:37], v[48:49] offset0:2 offset1:3
	v_or_b32_e32 v10, 64, v54
	s_waitcnt lgkmcnt(8)
	ds_store_2addr_b64 v30, v[0:1], v[14:15] offset1:1
	s_waitcnt lgkmcnt(7)
	ds_store_2addr_b64 v30, v[12:13], v[18:19] offset0:2 offset1:3
	ds_store_2addr_b64 v21, v[38:39], v[32:33] offset0:4 offset1:5
	;; [unrolled: 1-line block ×3, first 2 shown]
	s_waitcnt lgkmcnt(8)
	ds_store_2addr_b64 v30, v[16:17], v[24:25] offset0:4 offset1:5
	s_waitcnt lgkmcnt(7)
	ds_store_2addr_b64 v30, v[4:5], v[22:23] offset0:6 offset1:7
	; wave barrier
	v_min_u32_e32 v52, v31, v10
	s_delay_alu instid0(VALU_DEP_1) | instskip(NEXT) | instid1(VALU_DEP_1)
	v_add_nc_u32_e32 v10, 64, v52
	v_min_u32_e32 v53, v31, v10
	v_min_u32_e32 v31, v31, v68
	v_sub_nc_u32_e32 v10, v52, v54
	s_delay_alu instid0(VALU_DEP_3) | instskip(NEXT) | instid1(VALU_DEP_2)
	v_sub_nc_u32_e32 v11, v53, v52
	v_min_u32_e32 v55, v31, v10
	s_delay_alu instid0(VALU_DEP_2) | instskip(SKIP_1) | instid1(VALU_DEP_2)
	v_sub_nc_u32_e64 v10, v31, v11 clamp
	v_lshl_add_u32 v11, v54, 3, v20
	v_cmpx_lt_u32_e64 v10, v55
	s_cbranch_execz .LBB824_118
; %bb.115:
	v_lshlrev_b32_e32 v21, 3, v52
	v_lshlrev_b32_e32 v30, 3, v31
	s_mov_b32 s11, 0
	s_delay_alu instid0(VALU_DEP_1)
	v_add3_u32 v21, v20, v21, v30
	.p2align	6
.LBB824_116:                            ; =>This Inner Loop Header: Depth=1
	v_add_nc_u32_e32 v30, v55, v10
	s_delay_alu instid0(VALU_DEP_1) | instskip(NEXT) | instid1(VALU_DEP_1)
	v_lshrrev_b32_e32 v30, 1, v30
	v_not_b32_e32 v64, v30
	v_lshl_add_u32 v65, v30, 3, v11
	s_delay_alu instid0(VALU_DEP_2)
	v_lshl_add_u32 v67, v64, 3, v21
	ds_load_b64 v[64:65], v65
	ds_load_b64 v[67:68], v67
	s_waitcnt lgkmcnt(1)
	v_and_b32_e32 v65, v65, v70
	v_and_b32_e32 v64, v64, v69
	s_waitcnt lgkmcnt(0)
	v_and_b32_e32 v68, v68, v70
	v_and_b32_e32 v67, v67, v69
	s_delay_alu instid0(VALU_DEP_1) | instskip(SKIP_1) | instid1(VALU_DEP_2)
	v_cmp_gt_u64_e64 s7, v[64:65], v[67:68]
	v_add_nc_u32_e32 v64, 1, v30
	v_cndmask_b32_e64 v55, v55, v30, s7
	s_delay_alu instid0(VALU_DEP_2) | instskip(NEXT) | instid1(VALU_DEP_1)
	v_cndmask_b32_e64 v10, v64, v10, s7
	v_cmp_ge_u32_e64 s7, v10, v55
	s_delay_alu instid0(VALU_DEP_1) | instskip(NEXT) | instid1(SALU_CYCLE_1)
	s_or_b32 s11, s7, s11
	s_and_not1_b32 exec_lo, exec_lo, s11
	s_cbranch_execnz .LBB824_116
; %bb.117:
	s_or_b32 exec_lo, exec_lo, s11
.LBB824_118:
	s_delay_alu instid0(SALU_CYCLE_1) | instskip(SKIP_2) | instid1(VALU_DEP_2)
	s_or_b32 exec_lo, exec_lo, s10
	v_add_nc_u32_e32 v30, v52, v31
	v_add_nc_u32_e32 v21, v10, v54
	v_sub_nc_u32_e32 v30, v30, v10
	s_delay_alu instid0(VALU_DEP_2) | instskip(NEXT) | instid1(VALU_DEP_2)
	v_cmp_le_u32_e64 s7, v21, v52
	v_cmp_le_u32_e64 s10, v30, v53
	s_delay_alu instid0(VALU_DEP_1) | instskip(NEXT) | instid1(SALU_CYCLE_1)
	s_or_b32 s7, s7, s10
	s_and_saveexec_b32 s22, s7
	s_cbranch_execz .LBB824_124
; %bb.119:
	v_cmp_lt_u32_e64 s7, v21, v52
                                        ; implicit-def: $vgpr8_vgpr9
	s_delay_alu instid0(VALU_DEP_1)
	s_and_saveexec_b32 s10, s7
	s_cbranch_execz .LBB824_121
; %bb.120:
	v_lshl_add_u32 v0, v10, 3, v11
	ds_load_b64 v[8:9], v0
.LBB824_121:
	s_or_b32 exec_lo, exec_lo, s10
	v_cmp_ge_u32_e64 s10, v30, v53
	s_mov_b32 s14, exec_lo
                                        ; implicit-def: $vgpr10_vgpr11
	v_cmpx_lt_u32_e64 v30, v53
	s_cbranch_execz .LBB824_123
; %bb.122:
	v_lshl_add_u32 v0, v30, 3, v20
	ds_load_b64 v[10:11], v0
.LBB824_123:
	s_or_b32 exec_lo, exec_lo, s14
	s_waitcnt lgkmcnt(0)
	v_and_b32_e32 v1, v11, v70
	v_and_b32_e32 v0, v10, v69
	;; [unrolled: 1-line block ×4, first 2 shown]
	s_delay_alu instid0(VALU_DEP_1) | instskip(NEXT) | instid1(VALU_DEP_1)
	v_cmp_le_u64_e64 s11, v[4:5], v[0:1]
	s_and_b32 s7, s7, s11
	s_delay_alu instid0(SALU_CYCLE_1) | instskip(NEXT) | instid1(SALU_CYCLE_1)
	s_or_b32 s7, s10, s7
	v_cndmask_b32_e64 v12, v30, v21, s7
	v_cndmask_b32_e64 v0, v53, v52, s7
	s_delay_alu instid0(VALU_DEP_2) | instskip(NEXT) | instid1(VALU_DEP_2)
	v_add_nc_u32_e32 v13, 1, v12
	v_add_nc_u32_e32 v0, -1, v0
	v_lshl_add_u32 v12, v12, 3, v20
	s_delay_alu instid0(VALU_DEP_3) | instskip(NEXT) | instid1(VALU_DEP_3)
	v_cndmask_b32_e64 v14, v21, v13, s7
	v_min_u32_e32 v0, v13, v0
	v_cndmask_b32_e64 v13, v13, v30, s7
	s_delay_alu instid0(VALU_DEP_3) | instskip(NEXT) | instid1(VALU_DEP_3)
	v_cmp_lt_u32_e64 s11, v14, v52
	v_lshl_add_u32 v0, v0, 3, v20
	s_delay_alu instid0(VALU_DEP_3)
	v_cmp_ge_u32_e64 s14, v13, v53
	ds_load_b64 v[0:1], v0
	s_waitcnt lgkmcnt(0)
	v_cndmask_b32_e64 v28, v1, v11, s7
	v_cndmask_b32_e64 v29, v0, v10, s7
	;; [unrolled: 1-line block ×5, first 2 shown]
	v_and_b32_e32 v1, v28, v70
	v_and_b32_e32 v0, v29, v69
	;; [unrolled: 1-line block ×4, first 2 shown]
	v_cndmask_b32_e64 v8, v10, v8, s7
	s_delay_alu instid0(VALU_DEP_2) | instskip(NEXT) | instid1(VALU_DEP_1)
	v_cmp_le_u64_e64 s10, v[4:5], v[0:1]
	s_and_b32 s10, s11, s10
	s_delay_alu instid0(SALU_CYCLE_1) | instskip(NEXT) | instid1(SALU_CYCLE_1)
	s_or_b32 s10, s14, s10
	v_cndmask_b32_e64 v15, v13, v14, s10
	v_cndmask_b32_e64 v0, v53, v52, s10
	;; [unrolled: 1-line block ×4, first 2 shown]
	s_delay_alu instid0(VALU_DEP_4) | instskip(NEXT) | instid1(VALU_DEP_4)
	v_add_nc_u32_e32 v16, 1, v15
	v_add_nc_u32_e32 v0, -1, v0
	s_delay_alu instid0(VALU_DEP_2) | instskip(NEXT) | instid1(VALU_DEP_2)
	v_cndmask_b32_e64 v14, v14, v16, s10
	v_min_u32_e32 v0, v16, v0
	v_cndmask_b32_e64 v13, v16, v13, s10
	s_delay_alu instid0(VALU_DEP_3) | instskip(NEXT) | instid1(VALU_DEP_3)
	v_cmp_lt_u32_e64 s14, v14, v52
	v_lshl_add_u32 v0, v0, 3, v20
	s_delay_alu instid0(VALU_DEP_3)
	v_cmp_ge_u32_e64 s15, v13, v53
	ds_load_b64 v[0:1], v0
	s_waitcnt lgkmcnt(0)
	v_cndmask_b32_e64 v21, v1, v28, s10
	v_cndmask_b32_e64 v30, v0, v29, s10
	;; [unrolled: 1-line block ×4, first 2 shown]
	s_delay_alu instid0(VALU_DEP_4) | instskip(NEXT) | instid1(VALU_DEP_4)
	v_and_b32_e32 v1, v21, v70
	v_and_b32_e32 v0, v30, v69
	s_delay_alu instid0(VALU_DEP_4) | instskip(NEXT) | instid1(VALU_DEP_4)
	v_and_b32_e32 v5, v33, v70
	v_and_b32_e32 v4, v36, v69
	s_delay_alu instid0(VALU_DEP_1) | instskip(NEXT) | instid1(VALU_DEP_1)
	v_cmp_le_u64_e64 s11, v[4:5], v[0:1]
	s_and_b32 s11, s14, s11
	s_delay_alu instid0(SALU_CYCLE_1) | instskip(NEXT) | instid1(SALU_CYCLE_1)
	s_or_b32 s11, s15, s11
	v_cndmask_b32_e64 v16, v13, v14, s11
	v_cndmask_b32_e64 v0, v53, v52, s11
	;; [unrolled: 1-line block ×3, first 2 shown]
	s_delay_alu instid0(VALU_DEP_3) | instskip(NEXT) | instid1(VALU_DEP_3)
	v_add_nc_u32_e32 v17, 1, v16
	v_add_nc_u32_e32 v0, -1, v0
	s_delay_alu instid0(VALU_DEP_2) | instskip(NEXT) | instid1(VALU_DEP_2)
	v_cndmask_b32_e64 v14, v14, v17, s11
	v_min_u32_e32 v0, v17, v0
	v_cndmask_b32_e64 v13, v17, v13, s11
	s_delay_alu instid0(VALU_DEP_3) | instskip(NEXT) | instid1(VALU_DEP_3)
	v_cmp_lt_u32_e64 s15, v14, v52
	v_lshl_add_u32 v0, v0, 3, v20
	s_delay_alu instid0(VALU_DEP_3)
	v_cmp_ge_u32_e64 s16, v13, v53
	ds_load_b64 v[0:1], v0
	s_waitcnt lgkmcnt(0)
	v_cndmask_b32_e64 v38, v1, v21, s11
	v_cndmask_b32_e64 v39, v0, v30, s11
	v_cndmask_b32_e64 v48, v33, v1, s11
	v_cndmask_b32_e64 v50, v36, v0, s11
	v_cndmask_b32_e64 v36, v30, v36, s11
	v_and_b32_e32 v1, v38, v70
	v_and_b32_e32 v0, v39, v69
	;; [unrolled: 1-line block ×4, first 2 shown]
	s_delay_alu instid0(VALU_DEP_1) | instskip(NEXT) | instid1(VALU_DEP_1)
	v_cmp_le_u64_e64 s14, v[4:5], v[0:1]
	s_and_b32 s14, s15, s14
	s_delay_alu instid0(SALU_CYCLE_1) | instskip(NEXT) | instid1(SALU_CYCLE_1)
	s_or_b32 s14, s16, s14
	v_cndmask_b32_e64 v17, v13, v14, s14
	v_cndmask_b32_e64 v0, v53, v52, s14
	v_cndmask_b32_e64 v49, v38, v48, s14
	s_delay_alu instid0(VALU_DEP_3) | instskip(NEXT) | instid1(VALU_DEP_3)
	v_add_nc_u32_e32 v18, 1, v17
	v_add_nc_u32_e32 v0, -1, v0
	s_delay_alu instid0(VALU_DEP_2) | instskip(NEXT) | instid1(VALU_DEP_2)
	v_cndmask_b32_e64 v14, v14, v18, s14
	v_min_u32_e32 v0, v18, v0
	v_cndmask_b32_e64 v13, v18, v13, s14
	s_delay_alu instid0(VALU_DEP_3) | instskip(NEXT) | instid1(VALU_DEP_3)
	v_cmp_lt_u32_e64 s16, v14, v52
	v_lshl_add_u32 v0, v0, 3, v20
	s_delay_alu instid0(VALU_DEP_3)
	v_cmp_ge_u32_e64 s17, v13, v53
	ds_load_b64 v[0:1], v0
	s_waitcnt lgkmcnt(0)
	v_cndmask_b32_e64 v51, v1, v38, s14
	v_cndmask_b32_e64 v54, v0, v39, s14
	;; [unrolled: 1-line block ×5, first 2 shown]
	v_and_b32_e32 v1, v51, v70
	v_and_b32_e32 v0, v54, v69
	;; [unrolled: 1-line block ×4, first 2 shown]
	s_delay_alu instid0(VALU_DEP_1) | instskip(NEXT) | instid1(VALU_DEP_1)
	v_cmp_le_u64_e64 s15, v[4:5], v[0:1]
	s_and_b32 s15, s16, s15
	s_delay_alu instid0(SALU_CYCLE_1) | instskip(NEXT) | instid1(SALU_CYCLE_1)
	s_or_b32 s15, s17, s15
	v_cndmask_b32_e64 v18, v13, v14, s15
	v_cndmask_b32_e64 v0, v53, v52, s15
	;; [unrolled: 1-line block ×4, first 2 shown]
	s_delay_alu instid0(VALU_DEP_4) | instskip(NEXT) | instid1(VALU_DEP_4)
	v_add_nc_u32_e32 v19, 1, v18
	v_add_nc_u32_e32 v0, -1, v0
	s_delay_alu instid0(VALU_DEP_2) | instskip(NEXT) | instid1(VALU_DEP_2)
	v_cndmask_b32_e64 v14, v14, v19, s15
	v_min_u32_e32 v0, v19, v0
	v_cndmask_b32_e64 v13, v19, v13, s15
	s_delay_alu instid0(VALU_DEP_3) | instskip(NEXT) | instid1(VALU_DEP_3)
	v_cmp_lt_u32_e64 s17, v14, v52
	v_lshl_add_u32 v0, v0, 3, v20
	s_delay_alu instid0(VALU_DEP_3)
	v_cmp_ge_u32_e64 s18, v13, v53
	ds_load_b64 v[0:1], v0
	s_waitcnt lgkmcnt(0)
	v_cndmask_b32_e64 v65, v1, v51, s15
	v_cndmask_b32_e64 v67, v0, v54, s15
	;; [unrolled: 1-line block ×4, first 2 shown]
	s_delay_alu instid0(VALU_DEP_4) | instskip(NEXT) | instid1(VALU_DEP_4)
	v_and_b32_e32 v1, v65, v70
	v_and_b32_e32 v0, v67, v69
	s_delay_alu instid0(VALU_DEP_4) | instskip(NEXT) | instid1(VALU_DEP_4)
	v_and_b32_e32 v5, v68, v70
	v_and_b32_e32 v4, v71, v69
	s_delay_alu instid0(VALU_DEP_1) | instskip(NEXT) | instid1(VALU_DEP_1)
	v_cmp_le_u64_e64 s16, v[4:5], v[0:1]
	s_and_b32 s16, s17, s16
	s_delay_alu instid0(SALU_CYCLE_1) | instskip(NEXT) | instid1(SALU_CYCLE_1)
	s_or_b32 s16, s18, s16
	v_cndmask_b32_e64 v19, v13, v14, s16
	v_cndmask_b32_e64 v0, v53, v52, s16
	v_cndmask_b32_e64 v33, v65, v68, s16
	v_cndmask_b32_e64 v32, v67, v71, s16
	s_delay_alu instid0(VALU_DEP_4) | instskip(NEXT) | instid1(VALU_DEP_4)
	v_add_nc_u32_e32 v22, 1, v19
	v_add_nc_u32_e32 v0, -1, v0
	s_delay_alu instid0(VALU_DEP_2) | instskip(NEXT) | instid1(VALU_DEP_2)
	v_cndmask_b32_e64 v14, v14, v22, s16
	v_min_u32_e32 v0, v22, v0
	v_cndmask_b32_e64 v13, v22, v13, s16
	s_delay_alu instid0(VALU_DEP_3) | instskip(NEXT) | instid1(VALU_DEP_3)
	v_cmp_lt_u32_e64 s18, v14, v52
	v_lshl_add_u32 v0, v0, 3, v20
	s_delay_alu instid0(VALU_DEP_3)
	v_cmp_ge_u32_e64 s19, v13, v53
	ds_load_b64 v[0:1], v0
	s_waitcnt lgkmcnt(0)
	v_cndmask_b32_e64 v80, v1, v65, s16
	v_cndmask_b32_e64 v81, v0, v67, s16
	;; [unrolled: 1-line block ×4, first 2 shown]
	s_delay_alu instid0(VALU_DEP_4) | instskip(NEXT) | instid1(VALU_DEP_4)
	v_and_b32_e32 v1, v80, v70
	v_and_b32_e32 v0, v81, v69
	s_delay_alu instid0(VALU_DEP_4) | instskip(NEXT) | instid1(VALU_DEP_4)
	v_and_b32_e32 v5, v82, v70
	v_and_b32_e32 v4, v83, v69
	s_delay_alu instid0(VALU_DEP_1) | instskip(NEXT) | instid1(VALU_DEP_1)
	v_cmp_le_u64_e64 s17, v[4:5], v[0:1]
	s_and_b32 s17, s18, s17
	s_delay_alu instid0(SALU_CYCLE_1) | instskip(NEXT) | instid1(SALU_CYCLE_1)
	s_or_b32 s17, s19, s17
	v_cndmask_b32_e64 v22, v13, v14, s17
	v_cndmask_b32_e64 v0, v53, v52, s17
	;; [unrolled: 1-line block ×4, first 2 shown]
	s_delay_alu instid0(VALU_DEP_4) | instskip(NEXT) | instid1(VALU_DEP_4)
	v_add_nc_u32_e32 v23, 1, v22
	v_add_nc_u32_e32 v0, -1, v0
	v_lshl_add_u32 v22, v22, 3, v20
	s_delay_alu instid0(VALU_DEP_3) | instskip(NEXT) | instid1(VALU_DEP_3)
	v_cndmask_b32_e64 v24, v14, v23, s17
	v_min_u32_e32 v0, v23, v0
	v_cndmask_b32_e64 v23, v23, v13, s17
	v_lshl_add_u32 v14, v15, 3, v20
	v_lshl_add_u32 v13, v16, 3, v20
	v_cmp_lt_u32_e64 s19, v24, v52
	v_lshl_add_u32 v0, v0, 3, v20
	v_cmp_ge_u32_e64 s20, v23, v53
	v_lshl_add_u32 v16, v18, 3, v20
	ds_load_b64 v[0:1], v0
	s_waitcnt lgkmcnt(0)
	v_cndmask_b32_e64 v84, v1, v80, s17
	v_cndmask_b32_e64 v85, v0, v81, s17
	v_cndmask_b32_e64 v86, v82, v1, s17
	v_cndmask_b32_e64 v87, v83, v0, s17
	s_delay_alu instid0(VALU_DEP_4) | instskip(NEXT) | instid1(VALU_DEP_4)
	v_and_b32_e32 v1, v84, v70
	v_and_b32_e32 v0, v85, v69
	s_delay_alu instid0(VALU_DEP_4) | instskip(NEXT) | instid1(VALU_DEP_4)
	v_and_b32_e32 v5, v86, v70
	v_and_b32_e32 v4, v87, v69
	s_delay_alu instid0(VALU_DEP_1)
	v_cmp_le_u64_e64 s18, v[4:5], v[0:1]
	v_lshl_add_u32 v4, v17, 3, v20
	ds_load_b64 v[0:1], v12 offset:16384
	ds_load_b64 v[14:15], v14 offset:16384
	ds_load_b64 v[12:13], v13 offset:16384
	s_and_b32 s18, s19, s18
	s_delay_alu instid0(SALU_CYCLE_1) | instskip(NEXT) | instid1(SALU_CYCLE_1)
	s_or_b32 s18, s20, s18
	v_cndmask_b32_e64 v5, v23, v24, s18
	v_lshl_add_u32 v23, v19, 3, v20
	ds_load_b64 v[18:19], v4 offset:16384
	v_cndmask_b32_e64 v29, v84, v86, s18
	v_cndmask_b32_e64 v28, v85, v87, s18
	v_lshl_add_u32 v20, v5, 3, v20
	ds_load_b64 v[16:17], v16 offset:16384
	ds_load_b64 v[24:25], v23 offset:16384
	;; [unrolled: 1-line block ×4, first 2 shown]
.LBB824_124:
	s_or_b32 exec_lo, exec_lo, s22
	; wave barrier
	s_waitcnt lgkmcnt(0)
	s_waitcnt_vscnt null, 0x0
	s_barrier
                                        ; implicit-def: $vgpr67
                                        ; implicit-def: $vgpr68
                                        ; implicit-def: $vgpr21
                                        ; implicit-def: $vgpr30
                                        ; implicit-def: $vgpr20
.LBB824_125:
	s_and_not1_saveexec_b32 s17, s21
	s_cbranch_execz .LBB824_225
; %bb.126:
	s_load_b64 s[10:11], s[8:9], 0x0
	v_mov_b32_e32 v10, 0
	s_waitcnt lgkmcnt(0)
	s_cmp_lt_u32 s13, s11
	s_cselect_b32 s7, 14, 20
	s_delay_alu instid0(SALU_CYCLE_1) | instskip(SKIP_4) | instid1(SALU_CYCLE_1)
	s_add_u32 s14, s8, s7
	s_addc_u32 s15, s9, 0
	s_cmp_lt_u32 s12, s10
	global_load_u16 v11, v10, s[14:15]
	s_cselect_b32 s7, 12, 18
	s_add_u32 s8, s8, s7
	s_addc_u32 s9, s9, 0
	global_load_u16 v10, v10, s[8:9]
	s_mov_b32 s8, exec_lo
	s_waitcnt vmcnt(1)
	v_mad_u32_u24 v11, v30, v11, v21
	s_waitcnt vmcnt(0)
	s_delay_alu instid0(VALU_DEP_1) | instskip(NEXT) | instid1(VALU_DEP_1)
	v_mul_lo_u32 v10, v11, v10
	v_add_lshl_u32 v69, v10, v20, 3
	s_delay_alu instid0(VALU_DEP_1)
	v_cmpx_gt_u32_e32 0x800, v69
	s_cbranch_execz .LBB824_184
; %bb.127:
	v_dual_mov_b32 v10, v34 :: v_dual_mov_b32 v11, v35
	v_dual_mov_b32 v31, v15 :: v_dual_mov_b32 v30, v14
	s_mov_b32 s9, exec_lo
	v_cmpx_gt_i64_e64 v[8:9], v[34:35]
; %bb.128:
	v_dual_mov_b32 v11, v9 :: v_dual_mov_b32 v10, v8
	v_dual_mov_b32 v8, v34 :: v_dual_mov_b32 v9, v35
	v_dual_mov_b32 v31, v1 :: v_dual_mov_b32 v30, v0
	v_dual_mov_b32 v0, v14 :: v_dual_mov_b32 v1, v15
; %bb.129:
	s_or_b32 exec_lo, exec_lo, s9
	v_dual_mov_b32 v53, v49 :: v_dual_mov_b32 v52, v48
	v_dual_mov_b32 v35, v19 :: v_dual_mov_b32 v34, v18
	s_mov_b32 s9, exec_lo
	v_cmpx_gt_i64_e64 v[36:37], v[48:49]
; %bb.130:
	v_dual_mov_b32 v53, v37 :: v_dual_mov_b32 v52, v36
	v_dual_mov_b32 v36, v48 :: v_dual_mov_b32 v37, v49
	v_dual_mov_b32 v35, v13 :: v_dual_mov_b32 v34, v12
	v_dual_mov_b32 v12, v18 :: v_dual_mov_b32 v13, v19
; %bb.131:
	s_or_b32 exec_lo, exec_lo, s9
	;; [unrolled: 11-line block ×4, first 2 shown]
	v_cmp_gt_i64_e64 s7, v[10:11], v[36:37]
	v_dual_mov_b32 v20, v36 :: v_dual_mov_b32 v21, v37
	v_dual_mov_b32 v23, v13 :: v_dual_mov_b32 v22, v12
	s_delay_alu instid0(VALU_DEP_3) | instskip(NEXT) | instid1(SALU_CYCLE_1)
	s_and_saveexec_b32 s9, s7
	s_xor_b32 s7, exec_lo, s9
; %bb.136:
	v_dual_mov_b32 v21, v11 :: v_dual_mov_b32 v20, v10
	v_dual_mov_b32 v10, v36 :: v_dual_mov_b32 v11, v37
	v_dual_mov_b32 v22, v30 :: v_dual_mov_b32 v23, v31
	v_dual_mov_b32 v31, v13 :: v_dual_mov_b32 v30, v12
; %bb.137:
	s_or_b32 exec_lo, exec_lo, s7
	v_dual_mov_b32 v50, v52 :: v_dual_mov_b32 v51, v53
	v_dual_mov_b32 v37, v17 :: v_dual_mov_b32 v36, v16
	s_mov_b32 s9, exec_lo
	v_cmpx_gt_i64_e64 v[52:53], v[48:49]
; %bb.138:
	v_dual_mov_b32 v51, v49 :: v_dual_mov_b32 v50, v48
	v_dual_mov_b32 v37, v35 :: v_dual_mov_b32 v36, v34
	v_dual_mov_b32 v35, v17 :: v_dual_mov_b32 v34, v16
	v_dual_mov_b32 v48, v52 :: v_dual_mov_b32 v49, v53
; %bb.139:
	s_or_b32 exec_lo, exec_lo, s9
	v_dual_mov_b32 v13, v5 :: v_dual_mov_b32 v12, v4
	v_dual_mov_b32 v39, v33 :: v_dual_mov_b32 v38, v32
	s_mov_b32 s9, exec_lo
	v_cmpx_gt_i64_e64 v[32:33], v[24:25]
	;; [unrolled: 11-line block ×23, first 2 shown]
; %bb.182:
	v_dual_mov_b32 v51, v33 :: v_dual_mov_b32 v50, v32
	v_dual_mov_b32 v32, v52 :: v_dual_mov_b32 v33, v53
	;; [unrolled: 1-line block ×4, first 2 shown]
; %bb.183:
	s_or_b32 exec_lo, exec_lo, s9
.LBB824_184:
	s_delay_alu instid0(SALU_CYCLE_1) | instskip(SKIP_4) | instid1(VALU_DEP_3)
	s_or_b32 exec_lo, exec_lo, s8
	v_and_b32_e32 v10, 0xffffff00, v69
	v_or_b32_e32 v11, 8, v67
	v_and_b32_e32 v54, 0xf0, v67
	s_mov_b32 s8, exec_lo
	v_sub_nc_u32_e64 v31, 0x800, v10 clamp
	v_lshlrev_b32_e32 v20, 3, v10
	v_and_b32_e32 v10, 8, v67
	s_delay_alu instid0(VALU_DEP_3) | instskip(NEXT) | instid1(VALU_DEP_3)
	v_min_u32_e32 v52, v31, v11
	v_lshl_or_b32 v21, v67, 3, v20
	s_delay_alu instid0(VALU_DEP_3)
	v_min_u32_e32 v55, v31, v10
	ds_store_2addr_b64 v21, v[8:9], v[34:35] offset1:1
	ds_store_2addr_b64 v21, v[36:37], v[48:49] offset0:2 offset1:3
	v_add_nc_u32_e32 v11, 8, v52
	v_add_nc_u32_e32 v30, 0x4000, v21
	v_sub_nc_u32_e32 v64, v52, v54
	v_add_nc_u32_e32 v10, 0x4010, v21
	v_add_nc_u32_e32 v65, 0x4020, v21
	v_min_u32_e32 v53, v31, v11
	ds_store_2addr_b64 v30, v[0:1], v[14:15] offset1:1
	ds_store_2addr_b64 v10, v[12:13], v[18:19] offset1:1
	v_min_u32_e32 v64, v55, v64
	v_add_nc_u32_e32 v69, 0x4030, v21
	v_sub_nc_u32_e32 v11, v53, v52
	ds_store_2addr_b64 v21, v[38:39], v[32:33] offset0:4 offset1:5
	ds_store_2addr_b64 v21, v[50:51], v[28:29] offset0:6 offset1:7
	ds_store_2addr_b64 v65, v[16:17], v[24:25] offset1:1
	ds_store_2addr_b64 v69, v[4:5], v[22:23] offset1:1
	v_sub_nc_u32_e64 v10, v55, v11 clamp
	v_lshl_or_b32 v11, v54, 3, v20
	; wave barrier
	s_delay_alu instid0(VALU_DEP_2)
	v_cmpx_lt_u32_e64 v10, v64
	s_cbranch_execz .LBB824_188
; %bb.185:
	v_lshlrev_b32_e32 v65, 3, v52
	v_lshlrev_b32_e32 v69, 3, v55
	s_mov_b32 s9, 0
	s_delay_alu instid0(VALU_DEP_1)
	v_add3_u32 v65, v20, v65, v69
	.p2align	6
.LBB824_186:                            ; =>This Inner Loop Header: Depth=1
	v_add_nc_u32_e32 v69, v64, v10
	s_delay_alu instid0(VALU_DEP_1) | instskip(NEXT) | instid1(VALU_DEP_1)
	v_lshrrev_b32_e32 v71, 1, v69
	v_not_b32_e32 v69, v71
	v_lshl_add_u32 v70, v71, 3, v11
	s_delay_alu instid0(VALU_DEP_2)
	v_lshl_add_u32 v80, v69, 3, v65
	ds_load_b64 v[69:70], v70
	ds_load_b64 v[80:81], v80
	s_waitcnt lgkmcnt(0)
	v_cmp_gt_i64_e64 s7, v[69:70], v[80:81]
	v_add_nc_u32_e32 v69, 1, v71
	s_delay_alu instid0(VALU_DEP_2) | instskip(NEXT) | instid1(VALU_DEP_2)
	v_cndmask_b32_e64 v64, v64, v71, s7
	v_cndmask_b32_e64 v10, v69, v10, s7
	s_delay_alu instid0(VALU_DEP_1) | instskip(NEXT) | instid1(VALU_DEP_1)
	v_cmp_ge_u32_e64 s7, v10, v64
	s_or_b32 s9, s7, s9
	s_delay_alu instid0(SALU_CYCLE_1)
	s_and_not1_b32 exec_lo, exec_lo, s9
	s_cbranch_execnz .LBB824_186
; %bb.187:
	s_or_b32 exec_lo, exec_lo, s9
.LBB824_188:
	s_delay_alu instid0(SALU_CYCLE_1) | instskip(SKIP_2) | instid1(VALU_DEP_2)
	s_or_b32 exec_lo, exec_lo, s8
	v_add_nc_u32_e32 v55, v52, v55
	v_add_nc_u32_e32 v54, v10, v54
	v_sub_nc_u32_e32 v55, v55, v10
	s_delay_alu instid0(VALU_DEP_2) | instskip(NEXT) | instid1(VALU_DEP_2)
	v_cmp_le_u32_e64 s7, v54, v52
	v_cmp_le_u32_e64 s8, v55, v53
	s_delay_alu instid0(VALU_DEP_1) | instskip(NEXT) | instid1(SALU_CYCLE_1)
	s_or_b32 s7, s7, s8
	s_and_saveexec_b32 s18, s7
	s_cbranch_execz .LBB824_194
; %bb.189:
	v_cmp_lt_u32_e64 s7, v54, v52
                                        ; implicit-def: $vgpr8_vgpr9
	s_delay_alu instid0(VALU_DEP_1)
	s_and_saveexec_b32 s8, s7
	s_cbranch_execz .LBB824_191
; %bb.190:
	v_lshl_add_u32 v0, v10, 3, v11
	ds_load_b64 v[8:9], v0
.LBB824_191:
	s_or_b32 exec_lo, exec_lo, s8
	v_cmp_ge_u32_e64 s8, v55, v53
	s_mov_b32 s10, exec_lo
                                        ; implicit-def: $vgpr10_vgpr11
	v_cmpx_lt_u32_e64 v55, v53
	s_cbranch_execz .LBB824_193
; %bb.192:
	v_lshl_add_u32 v0, v55, 3, v20
	ds_load_b64 v[10:11], v0
.LBB824_193:
	s_or_b32 exec_lo, exec_lo, s10
	s_waitcnt lgkmcnt(0)
	v_cmp_le_i64_e64 s9, v[8:9], v[10:11]
	s_delay_alu instid0(VALU_DEP_1) | instskip(NEXT) | instid1(SALU_CYCLE_1)
	s_and_b32 s7, s7, s9
	s_or_b32 s7, s8, s7
	s_delay_alu instid0(SALU_CYCLE_1) | instskip(SKIP_1) | instid1(VALU_DEP_2)
	v_cndmask_b32_e64 v4, v55, v54, s7
	v_cndmask_b32_e64 v0, v53, v52, s7
	v_add_nc_u32_e32 v5, 1, v4
	s_delay_alu instid0(VALU_DEP_2) | instskip(SKIP_1) | instid1(VALU_DEP_3)
	v_add_nc_u32_e32 v0, -1, v0
	v_lshl_add_u32 v4, v4, 3, v20
	v_cndmask_b32_e64 v12, v54, v5, s7
	s_delay_alu instid0(VALU_DEP_3) | instskip(SKIP_1) | instid1(VALU_DEP_3)
	v_min_u32_e32 v0, v5, v0
	v_cndmask_b32_e64 v5, v5, v55, s7
	v_cmp_lt_u32_e64 s9, v12, v52
	s_delay_alu instid0(VALU_DEP_3) | instskip(NEXT) | instid1(VALU_DEP_3)
	v_lshl_add_u32 v0, v0, 3, v20
	v_cmp_ge_u32_e64 s10, v5, v53
	ds_load_b64 v[0:1], v0
	s_waitcnt lgkmcnt(0)
	v_cndmask_b32_e64 v29, v1, v11, s7
	v_cndmask_b32_e64 v28, v0, v10, s7
	v_cndmask_b32_e64 v33, v9, v1, s7
	v_cndmask_b32_e64 v32, v8, v0, s7
	v_cndmask_b32_e64 v9, v11, v9, s7
	v_cndmask_b32_e64 v8, v10, v8, s7
	s_delay_alu instid0(VALU_DEP_3) | instskip(NEXT) | instid1(VALU_DEP_1)
	v_cmp_le_i64_e64 s8, v[32:33], v[28:29]
	s_and_b32 s8, s9, s8
	s_delay_alu instid0(SALU_CYCLE_1) | instskip(NEXT) | instid1(SALU_CYCLE_1)
	s_or_b32 s8, s10, s8
	v_cndmask_b32_e64 v13, v5, v12, s8
	v_cndmask_b32_e64 v0, v53, v52, s8
	;; [unrolled: 1-line block ×3, first 2 shown]
	s_delay_alu instid0(VALU_DEP_3) | instskip(NEXT) | instid1(VALU_DEP_3)
	v_add_nc_u32_e32 v14, 1, v13
	v_add_nc_u32_e32 v0, -1, v0
	s_delay_alu instid0(VALU_DEP_2) | instskip(NEXT) | instid1(VALU_DEP_2)
	v_cndmask_b32_e64 v12, v12, v14, s8
	v_min_u32_e32 v0, v14, v0
	v_cndmask_b32_e64 v5, v14, v5, s8
	s_delay_alu instid0(VALU_DEP_3) | instskip(NEXT) | instid1(VALU_DEP_3)
	v_cmp_lt_u32_e64 s10, v12, v52
	v_lshl_add_u32 v0, v0, 3, v20
	s_delay_alu instid0(VALU_DEP_3)
	v_cmp_ge_u32_e64 s11, v5, v53
	ds_load_b64 v[0:1], v0
	s_waitcnt lgkmcnt(0)
	v_cndmask_b32_e64 v37, v1, v29, s8
	v_cndmask_b32_e64 v36, v0, v28, s8
	v_cndmask_b32_e64 v39, v33, v1, s8
	v_cndmask_b32_e64 v38, v32, v0, s8
	s_delay_alu instid0(VALU_DEP_1) | instskip(NEXT) | instid1(VALU_DEP_1)
	v_cmp_le_i64_e64 s9, v[38:39], v[36:37]
	s_and_b32 s9, s10, s9
	s_delay_alu instid0(SALU_CYCLE_1) | instskip(NEXT) | instid1(SALU_CYCLE_1)
	s_or_b32 s9, s11, s9
	v_cndmask_b32_e64 v14, v5, v12, s9
	v_cndmask_b32_e64 v0, v53, v52, s9
	s_delay_alu instid0(VALU_DEP_2) | instskip(NEXT) | instid1(VALU_DEP_2)
	v_add_nc_u32_e32 v15, 1, v14
	v_add_nc_u32_e32 v0, -1, v0
	s_delay_alu instid0(VALU_DEP_2) | instskip(NEXT) | instid1(VALU_DEP_2)
	v_cndmask_b32_e64 v12, v12, v15, s9
	v_min_u32_e32 v0, v15, v0
	v_cndmask_b32_e64 v5, v15, v5, s9
	s_delay_alu instid0(VALU_DEP_3) | instskip(NEXT) | instid1(VALU_DEP_3)
	v_cmp_lt_u32_e64 s11, v12, v52
	v_lshl_add_u32 v0, v0, 3, v20
	s_delay_alu instid0(VALU_DEP_3)
	v_cmp_ge_u32_e64 s12, v5, v53
	ds_load_b64 v[0:1], v0
	s_waitcnt lgkmcnt(0)
	v_cndmask_b32_e64 v49, v1, v37, s9
	v_cndmask_b32_e64 v48, v0, v36, s9
	;; [unrolled: 1-line block ×6, first 2 shown]
	s_delay_alu instid0(VALU_DEP_3) | instskip(NEXT) | instid1(VALU_DEP_1)
	v_cmp_le_i64_e64 s10, v[50:51], v[48:49]
	s_and_b32 s10, s11, s10
	s_delay_alu instid0(SALU_CYCLE_1) | instskip(NEXT) | instid1(SALU_CYCLE_1)
	s_or_b32 s10, s12, s10
	v_cndmask_b32_e64 v16, v5, v12, s10
	v_cndmask_b32_e64 v0, v53, v52, s10
	s_delay_alu instid0(VALU_DEP_2) | instskip(NEXT) | instid1(VALU_DEP_2)
	v_add_nc_u32_e32 v15, 1, v16
	v_add_nc_u32_e32 v0, -1, v0
	s_delay_alu instid0(VALU_DEP_2) | instskip(NEXT) | instid1(VALU_DEP_2)
	v_cndmask_b32_e64 v12, v12, v15, s10
	v_min_u32_e32 v0, v15, v0
	v_cndmask_b32_e64 v5, v15, v5, s10
	s_delay_alu instid0(VALU_DEP_3) | instskip(NEXT) | instid1(VALU_DEP_3)
	v_cmp_lt_u32_e64 s12, v12, v52
	v_lshl_add_u32 v0, v0, 3, v20
	s_delay_alu instid0(VALU_DEP_3)
	v_cmp_ge_u32_e64 s13, v5, v53
	ds_load_b64 v[0:1], v0
	s_waitcnt lgkmcnt(0)
	v_cndmask_b32_e64 v55, v1, v49, s10
	v_cndmask_b32_e64 v54, v0, v48, s10
	v_cndmask_b32_e64 v65, v51, v1, s10
	v_cndmask_b32_e64 v64, v50, v0, s10
	v_cndmask_b32_e64 v49, v49, v51, s10
	v_cndmask_b32_e64 v48, v48, v50, s10
	s_delay_alu instid0(VALU_DEP_3) | instskip(NEXT) | instid1(VALU_DEP_1)
	v_cmp_le_i64_e64 s11, v[64:65], v[54:55]
	s_and_b32 s11, s12, s11
	s_delay_alu instid0(SALU_CYCLE_1) | instskip(NEXT) | instid1(SALU_CYCLE_1)
	s_or_b32 s11, s13, s11
	v_cndmask_b32_e64 v17, v5, v12, s11
	v_cndmask_b32_e64 v0, v53, v52, s11
	;; [unrolled: 1-line block ×4, first 2 shown]
	s_delay_alu instid0(VALU_DEP_4) | instskip(NEXT) | instid1(VALU_DEP_4)
	v_add_nc_u32_e32 v15, 1, v17
	v_add_nc_u32_e32 v0, -1, v0
	s_delay_alu instid0(VALU_DEP_2) | instskip(NEXT) | instid1(VALU_DEP_2)
	v_cndmask_b32_e64 v12, v12, v15, s11
	v_min_u32_e32 v0, v15, v0
	v_cndmask_b32_e64 v5, v15, v5, s11
	s_delay_alu instid0(VALU_DEP_3) | instskip(NEXT) | instid1(VALU_DEP_3)
	v_cmp_lt_u32_e64 s13, v12, v52
	v_lshl_add_u32 v0, v0, 3, v20
	s_delay_alu instid0(VALU_DEP_3)
	v_cmp_ge_u32_e64 s14, v5, v53
	ds_load_b64 v[0:1], v0
	s_waitcnt lgkmcnt(0)
	v_cndmask_b32_e64 v70, v1, v55, s11
	v_cndmask_b32_e64 v69, v0, v54, s11
	;; [unrolled: 1-line block ×4, first 2 shown]
	s_delay_alu instid0(VALU_DEP_1) | instskip(NEXT) | instid1(VALU_DEP_1)
	v_cmp_le_i64_e64 s12, v[80:81], v[69:70]
	s_and_b32 s12, s13, s12
	s_delay_alu instid0(SALU_CYCLE_1) | instskip(NEXT) | instid1(SALU_CYCLE_1)
	s_or_b32 s12, s14, s12
	v_cndmask_b32_e64 v18, v5, v12, s12
	v_cndmask_b32_e64 v0, v53, v52, s12
	;; [unrolled: 1-line block ×3, first 2 shown]
	s_delay_alu instid0(VALU_DEP_3) | instskip(NEXT) | instid1(VALU_DEP_3)
	v_add_nc_u32_e32 v15, 1, v18
	v_add_nc_u32_e32 v0, -1, v0
	s_delay_alu instid0(VALU_DEP_2) | instskip(NEXT) | instid1(VALU_DEP_2)
	v_cndmask_b32_e64 v12, v12, v15, s12
	v_min_u32_e32 v0, v15, v0
	v_cndmask_b32_e64 v5, v15, v5, s12
	s_delay_alu instid0(VALU_DEP_3) | instskip(NEXT) | instid1(VALU_DEP_3)
	v_cmp_lt_u32_e64 s14, v12, v52
	v_lshl_add_u32 v0, v0, 3, v20
	s_delay_alu instid0(VALU_DEP_3)
	v_cmp_ge_u32_e64 s15, v5, v53
	ds_load_b64 v[0:1], v0
	s_waitcnt lgkmcnt(0)
	v_cndmask_b32_e64 v83, v1, v70, s12
	v_cndmask_b32_e64 v82, v0, v69, s12
	;; [unrolled: 1-line block ×4, first 2 shown]
	s_delay_alu instid0(VALU_DEP_1) | instskip(NEXT) | instid1(VALU_DEP_1)
	v_cmp_le_i64_e64 s13, v[84:85], v[82:83]
	s_and_b32 s13, s14, s13
	s_delay_alu instid0(SALU_CYCLE_1) | instskip(NEXT) | instid1(SALU_CYCLE_1)
	s_or_b32 s13, s15, s13
	v_cndmask_b32_e64 v19, v5, v12, s13
	v_cndmask_b32_e64 v0, v53, v52, s13
	;; [unrolled: 1-line block ×4, first 2 shown]
	s_delay_alu instid0(VALU_DEP_4) | instskip(NEXT) | instid1(VALU_DEP_4)
	v_add_nc_u32_e32 v15, 1, v19
	v_add_nc_u32_e32 v0, -1, v0
	v_lshl_add_u32 v23, v19, 3, v20
	s_delay_alu instid0(VALU_DEP_3) | instskip(NEXT) | instid1(VALU_DEP_3)
	v_cndmask_b32_e64 v22, v12, v15, s13
	v_min_u32_e32 v0, v15, v0
	v_cndmask_b32_e64 v5, v15, v5, s13
	v_lshl_add_u32 v12, v13, 3, v20
	v_lshl_add_u32 v13, v14, 3, v20
	v_cmp_lt_u32_e64 s15, v22, v52
	v_lshl_add_u32 v0, v0, 3, v20
	v_cmp_ge_u32_e64 s16, v5, v53
	ds_load_b64 v[0:1], v0
	s_waitcnt lgkmcnt(0)
	v_cndmask_b32_e64 v87, v1, v83, s13
	v_cndmask_b32_e64 v86, v0, v82, s13
	;; [unrolled: 1-line block ×4, first 2 shown]
	ds_load_b64 v[0:1], v4 offset:16384
	v_lshl_add_u32 v4, v16, 3, v20
	v_lshl_add_u32 v16, v17, 3, v20
	ds_load_b64 v[14:15], v12 offset:16384
	ds_load_b64 v[12:13], v13 offset:16384
	v_cmp_le_i64_e64 s14, v[96:97], v[86:87]
	s_delay_alu instid0(VALU_DEP_1) | instskip(NEXT) | instid1(SALU_CYCLE_1)
	s_and_b32 s14, s15, s14
	s_or_b32 s14, s16, s14
	s_delay_alu instid0(SALU_CYCLE_1)
	v_cndmask_b32_e64 v5, v5, v22, s14
	v_lshl_add_u32 v22, v18, 3, v20
	ds_load_b64 v[18:19], v4 offset:16384
	v_cndmask_b32_e64 v29, v87, v97, s14
	v_lshl_add_u32 v34, v5, 3, v20
	ds_load_b64 v[16:17], v16 offset:16384
	ds_load_b64 v[24:25], v22 offset:16384
	;; [unrolled: 1-line block ×4, first 2 shown]
	v_cndmask_b32_e64 v34, v28, v32, s8
	v_cndmask_b32_e64 v32, v69, v80, s12
	;; [unrolled: 1-line block ×3, first 2 shown]
.LBB824_194:
	s_or_b32 exec_lo, exec_lo, s18
	v_and_b32_e32 v54, 0xe0, v67
	v_and_b32_e32 v11, 24, v67
	s_mov_b32 s8, exec_lo
	; wave barrier
	s_delay_alu instid0(VALU_DEP_2) | instskip(NEXT) | instid1(VALU_DEP_2)
	v_or_b32_e32 v10, 16, v54
	v_min_u32_e32 v55, v31, v11
	ds_store_2addr_b64 v21, v[8:9], v[34:35] offset1:1
	ds_store_2addr_b64 v21, v[36:37], v[48:49] offset0:2 offset1:3
	s_waitcnt lgkmcnt(8)
	ds_store_2addr_b64 v30, v[0:1], v[14:15] offset1:1
	s_waitcnt lgkmcnt(7)
	ds_store_2addr_b64 v30, v[12:13], v[18:19] offset0:2 offset1:3
	ds_store_2addr_b64 v21, v[38:39], v[32:33] offset0:4 offset1:5
	;; [unrolled: 1-line block ×3, first 2 shown]
	s_waitcnt lgkmcnt(8)
	ds_store_2addr_b64 v30, v[16:17], v[24:25] offset0:4 offset1:5
	s_waitcnt lgkmcnt(7)
	ds_store_2addr_b64 v30, v[4:5], v[22:23] offset0:6 offset1:7
	v_min_u32_e32 v52, v31, v10
	; wave barrier
	s_delay_alu instid0(VALU_DEP_1) | instskip(NEXT) | instid1(VALU_DEP_1)
	v_add_nc_u32_e32 v10, 16, v52
	v_min_u32_e32 v53, v31, v10
	v_sub_nc_u32_e32 v10, v52, v54
	s_delay_alu instid0(VALU_DEP_2) | instskip(NEXT) | instid1(VALU_DEP_2)
	v_sub_nc_u32_e32 v11, v53, v52
	v_min_u32_e32 v64, v55, v10
	s_delay_alu instid0(VALU_DEP_2) | instskip(SKIP_1) | instid1(VALU_DEP_2)
	v_sub_nc_u32_e64 v10, v55, v11 clamp
	v_lshl_add_u32 v11, v54, 3, v20
	v_cmpx_lt_u32_e64 v10, v64
	s_cbranch_execz .LBB824_198
; %bb.195:
	v_lshlrev_b32_e32 v65, 3, v52
	v_lshlrev_b32_e32 v69, 3, v55
	s_mov_b32 s9, 0
	s_delay_alu instid0(VALU_DEP_1)
	v_add3_u32 v65, v20, v65, v69
	.p2align	6
.LBB824_196:                            ; =>This Inner Loop Header: Depth=1
	v_add_nc_u32_e32 v69, v64, v10
	s_delay_alu instid0(VALU_DEP_1) | instskip(NEXT) | instid1(VALU_DEP_1)
	v_lshrrev_b32_e32 v71, 1, v69
	v_not_b32_e32 v69, v71
	v_lshl_add_u32 v70, v71, 3, v11
	s_delay_alu instid0(VALU_DEP_2)
	v_lshl_add_u32 v80, v69, 3, v65
	ds_load_b64 v[69:70], v70
	ds_load_b64 v[80:81], v80
	s_waitcnt lgkmcnt(0)
	v_cmp_gt_i64_e64 s7, v[69:70], v[80:81]
	v_add_nc_u32_e32 v69, 1, v71
	s_delay_alu instid0(VALU_DEP_2) | instskip(NEXT) | instid1(VALU_DEP_2)
	v_cndmask_b32_e64 v64, v64, v71, s7
	v_cndmask_b32_e64 v10, v69, v10, s7
	s_delay_alu instid0(VALU_DEP_1) | instskip(NEXT) | instid1(VALU_DEP_1)
	v_cmp_ge_u32_e64 s7, v10, v64
	s_or_b32 s9, s7, s9
	s_delay_alu instid0(SALU_CYCLE_1)
	s_and_not1_b32 exec_lo, exec_lo, s9
	s_cbranch_execnz .LBB824_196
; %bb.197:
	s_or_b32 exec_lo, exec_lo, s9
.LBB824_198:
	s_delay_alu instid0(SALU_CYCLE_1) | instskip(SKIP_2) | instid1(VALU_DEP_2)
	s_or_b32 exec_lo, exec_lo, s8
	v_add_nc_u32_e32 v55, v52, v55
	v_add_nc_u32_e32 v54, v10, v54
	v_sub_nc_u32_e32 v55, v55, v10
	s_delay_alu instid0(VALU_DEP_2) | instskip(NEXT) | instid1(VALU_DEP_2)
	v_cmp_le_u32_e64 s7, v54, v52
	v_cmp_le_u32_e64 s8, v55, v53
	s_delay_alu instid0(VALU_DEP_1) | instskip(NEXT) | instid1(SALU_CYCLE_1)
	s_or_b32 s7, s7, s8
	s_and_saveexec_b32 s18, s7
	s_cbranch_execz .LBB824_204
; %bb.199:
	v_cmp_lt_u32_e64 s7, v54, v52
                                        ; implicit-def: $vgpr8_vgpr9
	s_delay_alu instid0(VALU_DEP_1)
	s_and_saveexec_b32 s8, s7
	s_cbranch_execz .LBB824_201
; %bb.200:
	v_lshl_add_u32 v0, v10, 3, v11
	ds_load_b64 v[8:9], v0
.LBB824_201:
	s_or_b32 exec_lo, exec_lo, s8
	v_cmp_ge_u32_e64 s8, v55, v53
	s_mov_b32 s10, exec_lo
                                        ; implicit-def: $vgpr10_vgpr11
	v_cmpx_lt_u32_e64 v55, v53
	s_cbranch_execz .LBB824_203
; %bb.202:
	v_lshl_add_u32 v0, v55, 3, v20
	ds_load_b64 v[10:11], v0
.LBB824_203:
	s_or_b32 exec_lo, exec_lo, s10
	s_waitcnt lgkmcnt(0)
	v_cmp_le_i64_e64 s9, v[8:9], v[10:11]
	s_delay_alu instid0(VALU_DEP_1) | instskip(NEXT) | instid1(SALU_CYCLE_1)
	s_and_b32 s7, s7, s9
	s_or_b32 s7, s8, s7
	s_delay_alu instid0(SALU_CYCLE_1) | instskip(SKIP_1) | instid1(VALU_DEP_2)
	v_cndmask_b32_e64 v4, v55, v54, s7
	v_cndmask_b32_e64 v0, v53, v52, s7
	v_add_nc_u32_e32 v5, 1, v4
	s_delay_alu instid0(VALU_DEP_2) | instskip(SKIP_1) | instid1(VALU_DEP_3)
	v_add_nc_u32_e32 v0, -1, v0
	v_lshl_add_u32 v4, v4, 3, v20
	v_cndmask_b32_e64 v12, v54, v5, s7
	s_delay_alu instid0(VALU_DEP_3) | instskip(SKIP_1) | instid1(VALU_DEP_3)
	v_min_u32_e32 v0, v5, v0
	v_cndmask_b32_e64 v5, v5, v55, s7
	v_cmp_lt_u32_e64 s9, v12, v52
	s_delay_alu instid0(VALU_DEP_3) | instskip(NEXT) | instid1(VALU_DEP_3)
	v_lshl_add_u32 v0, v0, 3, v20
	v_cmp_ge_u32_e64 s10, v5, v53
	ds_load_b64 v[0:1], v0
	s_waitcnt lgkmcnt(0)
	v_cndmask_b32_e64 v29, v1, v11, s7
	v_cndmask_b32_e64 v28, v0, v10, s7
	;; [unrolled: 1-line block ×6, first 2 shown]
	s_delay_alu instid0(VALU_DEP_3) | instskip(NEXT) | instid1(VALU_DEP_1)
	v_cmp_le_i64_e64 s8, v[32:33], v[28:29]
	s_and_b32 s8, s9, s8
	s_delay_alu instid0(SALU_CYCLE_1) | instskip(NEXT) | instid1(SALU_CYCLE_1)
	s_or_b32 s8, s10, s8
	v_cndmask_b32_e64 v13, v5, v12, s8
	v_cndmask_b32_e64 v0, v53, v52, s8
	;; [unrolled: 1-line block ×3, first 2 shown]
	s_delay_alu instid0(VALU_DEP_3) | instskip(NEXT) | instid1(VALU_DEP_3)
	v_add_nc_u32_e32 v14, 1, v13
	v_add_nc_u32_e32 v0, -1, v0
	s_delay_alu instid0(VALU_DEP_2) | instskip(NEXT) | instid1(VALU_DEP_2)
	v_cndmask_b32_e64 v12, v12, v14, s8
	v_min_u32_e32 v0, v14, v0
	v_cndmask_b32_e64 v5, v14, v5, s8
	s_delay_alu instid0(VALU_DEP_3) | instskip(NEXT) | instid1(VALU_DEP_3)
	v_cmp_lt_u32_e64 s10, v12, v52
	v_lshl_add_u32 v0, v0, 3, v20
	s_delay_alu instid0(VALU_DEP_3)
	v_cmp_ge_u32_e64 s11, v5, v53
	ds_load_b64 v[0:1], v0
	s_waitcnt lgkmcnt(0)
	v_cndmask_b32_e64 v37, v1, v29, s8
	v_cndmask_b32_e64 v36, v0, v28, s8
	;; [unrolled: 1-line block ×4, first 2 shown]
	s_delay_alu instid0(VALU_DEP_1) | instskip(NEXT) | instid1(VALU_DEP_1)
	v_cmp_le_i64_e64 s9, v[38:39], v[36:37]
	s_and_b32 s9, s10, s9
	s_delay_alu instid0(SALU_CYCLE_1) | instskip(NEXT) | instid1(SALU_CYCLE_1)
	s_or_b32 s9, s11, s9
	v_cndmask_b32_e64 v14, v5, v12, s9
	v_cndmask_b32_e64 v0, v53, v52, s9
	s_delay_alu instid0(VALU_DEP_2) | instskip(NEXT) | instid1(VALU_DEP_2)
	v_add_nc_u32_e32 v15, 1, v14
	v_add_nc_u32_e32 v0, -1, v0
	s_delay_alu instid0(VALU_DEP_2) | instskip(NEXT) | instid1(VALU_DEP_2)
	v_cndmask_b32_e64 v12, v12, v15, s9
	v_min_u32_e32 v0, v15, v0
	v_cndmask_b32_e64 v5, v15, v5, s9
	s_delay_alu instid0(VALU_DEP_3) | instskip(NEXT) | instid1(VALU_DEP_3)
	v_cmp_lt_u32_e64 s11, v12, v52
	v_lshl_add_u32 v0, v0, 3, v20
	s_delay_alu instid0(VALU_DEP_3)
	v_cmp_ge_u32_e64 s12, v5, v53
	ds_load_b64 v[0:1], v0
	s_waitcnt lgkmcnt(0)
	v_cndmask_b32_e64 v49, v1, v37, s9
	v_cndmask_b32_e64 v48, v0, v36, s9
	;; [unrolled: 1-line block ×6, first 2 shown]
	s_delay_alu instid0(VALU_DEP_3) | instskip(NEXT) | instid1(VALU_DEP_1)
	v_cmp_le_i64_e64 s10, v[50:51], v[48:49]
	s_and_b32 s10, s11, s10
	s_delay_alu instid0(SALU_CYCLE_1) | instskip(NEXT) | instid1(SALU_CYCLE_1)
	s_or_b32 s10, s12, s10
	v_cndmask_b32_e64 v16, v5, v12, s10
	v_cndmask_b32_e64 v0, v53, v52, s10
	s_delay_alu instid0(VALU_DEP_2) | instskip(NEXT) | instid1(VALU_DEP_2)
	v_add_nc_u32_e32 v15, 1, v16
	v_add_nc_u32_e32 v0, -1, v0
	s_delay_alu instid0(VALU_DEP_2) | instskip(NEXT) | instid1(VALU_DEP_2)
	v_cndmask_b32_e64 v12, v12, v15, s10
	v_min_u32_e32 v0, v15, v0
	v_cndmask_b32_e64 v5, v15, v5, s10
	s_delay_alu instid0(VALU_DEP_3) | instskip(NEXT) | instid1(VALU_DEP_3)
	v_cmp_lt_u32_e64 s12, v12, v52
	v_lshl_add_u32 v0, v0, 3, v20
	s_delay_alu instid0(VALU_DEP_3)
	v_cmp_ge_u32_e64 s13, v5, v53
	ds_load_b64 v[0:1], v0
	s_waitcnt lgkmcnt(0)
	v_cndmask_b32_e64 v55, v1, v49, s10
	v_cndmask_b32_e64 v54, v0, v48, s10
	v_cndmask_b32_e64 v65, v51, v1, s10
	v_cndmask_b32_e64 v64, v50, v0, s10
	v_cndmask_b32_e64 v49, v49, v51, s10
	v_cndmask_b32_e64 v48, v48, v50, s10
	s_delay_alu instid0(VALU_DEP_3) | instskip(NEXT) | instid1(VALU_DEP_1)
	v_cmp_le_i64_e64 s11, v[64:65], v[54:55]
	s_and_b32 s11, s12, s11
	s_delay_alu instid0(SALU_CYCLE_1) | instskip(NEXT) | instid1(SALU_CYCLE_1)
	s_or_b32 s11, s13, s11
	v_cndmask_b32_e64 v17, v5, v12, s11
	v_cndmask_b32_e64 v0, v53, v52, s11
	;; [unrolled: 1-line block ×4, first 2 shown]
	s_delay_alu instid0(VALU_DEP_4) | instskip(NEXT) | instid1(VALU_DEP_4)
	v_add_nc_u32_e32 v15, 1, v17
	v_add_nc_u32_e32 v0, -1, v0
	s_delay_alu instid0(VALU_DEP_2) | instskip(NEXT) | instid1(VALU_DEP_2)
	v_cndmask_b32_e64 v12, v12, v15, s11
	v_min_u32_e32 v0, v15, v0
	v_cndmask_b32_e64 v5, v15, v5, s11
	s_delay_alu instid0(VALU_DEP_3) | instskip(NEXT) | instid1(VALU_DEP_3)
	v_cmp_lt_u32_e64 s13, v12, v52
	v_lshl_add_u32 v0, v0, 3, v20
	s_delay_alu instid0(VALU_DEP_3)
	v_cmp_ge_u32_e64 s14, v5, v53
	ds_load_b64 v[0:1], v0
	s_waitcnt lgkmcnt(0)
	v_cndmask_b32_e64 v70, v1, v55, s11
	v_cndmask_b32_e64 v69, v0, v54, s11
	;; [unrolled: 1-line block ×4, first 2 shown]
	s_delay_alu instid0(VALU_DEP_1) | instskip(NEXT) | instid1(VALU_DEP_1)
	v_cmp_le_i64_e64 s12, v[80:81], v[69:70]
	s_and_b32 s12, s13, s12
	s_delay_alu instid0(SALU_CYCLE_1) | instskip(NEXT) | instid1(SALU_CYCLE_1)
	s_or_b32 s12, s14, s12
	v_cndmask_b32_e64 v18, v5, v12, s12
	v_cndmask_b32_e64 v0, v53, v52, s12
	;; [unrolled: 1-line block ×3, first 2 shown]
	s_delay_alu instid0(VALU_DEP_3) | instskip(NEXT) | instid1(VALU_DEP_3)
	v_add_nc_u32_e32 v15, 1, v18
	v_add_nc_u32_e32 v0, -1, v0
	s_delay_alu instid0(VALU_DEP_2) | instskip(NEXT) | instid1(VALU_DEP_2)
	v_cndmask_b32_e64 v12, v12, v15, s12
	v_min_u32_e32 v0, v15, v0
	v_cndmask_b32_e64 v5, v15, v5, s12
	s_delay_alu instid0(VALU_DEP_3) | instskip(NEXT) | instid1(VALU_DEP_3)
	v_cmp_lt_u32_e64 s14, v12, v52
	v_lshl_add_u32 v0, v0, 3, v20
	s_delay_alu instid0(VALU_DEP_3)
	v_cmp_ge_u32_e64 s15, v5, v53
	ds_load_b64 v[0:1], v0
	s_waitcnt lgkmcnt(0)
	v_cndmask_b32_e64 v83, v1, v70, s12
	v_cndmask_b32_e64 v82, v0, v69, s12
	;; [unrolled: 1-line block ×4, first 2 shown]
	s_delay_alu instid0(VALU_DEP_1) | instskip(NEXT) | instid1(VALU_DEP_1)
	v_cmp_le_i64_e64 s13, v[84:85], v[82:83]
	s_and_b32 s13, s14, s13
	s_delay_alu instid0(SALU_CYCLE_1) | instskip(NEXT) | instid1(SALU_CYCLE_1)
	s_or_b32 s13, s15, s13
	v_cndmask_b32_e64 v19, v5, v12, s13
	v_cndmask_b32_e64 v0, v53, v52, s13
	;; [unrolled: 1-line block ×4, first 2 shown]
	s_delay_alu instid0(VALU_DEP_4) | instskip(NEXT) | instid1(VALU_DEP_4)
	v_add_nc_u32_e32 v15, 1, v19
	v_add_nc_u32_e32 v0, -1, v0
	v_lshl_add_u32 v23, v19, 3, v20
	s_delay_alu instid0(VALU_DEP_3) | instskip(NEXT) | instid1(VALU_DEP_3)
	v_cndmask_b32_e64 v22, v12, v15, s13
	v_min_u32_e32 v0, v15, v0
	v_cndmask_b32_e64 v5, v15, v5, s13
	v_lshl_add_u32 v12, v13, 3, v20
	v_lshl_add_u32 v13, v14, 3, v20
	v_cmp_lt_u32_e64 s15, v22, v52
	v_lshl_add_u32 v0, v0, 3, v20
	v_cmp_ge_u32_e64 s16, v5, v53
	ds_load_b64 v[0:1], v0
	s_waitcnt lgkmcnt(0)
	v_cndmask_b32_e64 v87, v1, v83, s13
	v_cndmask_b32_e64 v86, v0, v82, s13
	;; [unrolled: 1-line block ×4, first 2 shown]
	ds_load_b64 v[0:1], v4 offset:16384
	v_lshl_add_u32 v4, v16, 3, v20
	v_lshl_add_u32 v16, v17, 3, v20
	ds_load_b64 v[14:15], v12 offset:16384
	ds_load_b64 v[12:13], v13 offset:16384
	v_cmp_le_i64_e64 s14, v[96:97], v[86:87]
	s_delay_alu instid0(VALU_DEP_1) | instskip(NEXT) | instid1(SALU_CYCLE_1)
	s_and_b32 s14, s15, s14
	s_or_b32 s14, s16, s14
	s_delay_alu instid0(SALU_CYCLE_1)
	v_cndmask_b32_e64 v5, v5, v22, s14
	v_lshl_add_u32 v22, v18, 3, v20
	ds_load_b64 v[18:19], v4 offset:16384
	v_cndmask_b32_e64 v29, v87, v97, s14
	v_lshl_add_u32 v34, v5, 3, v20
	ds_load_b64 v[16:17], v16 offset:16384
	ds_load_b64 v[24:25], v22 offset:16384
	;; [unrolled: 1-line block ×4, first 2 shown]
	v_cndmask_b32_e64 v34, v28, v32, s8
	v_cndmask_b32_e64 v32, v69, v80, s12
	;; [unrolled: 1-line block ×3, first 2 shown]
.LBB824_204:
	s_or_b32 exec_lo, exec_lo, s18
	v_and_b32_e32 v54, 0xc0, v67
	v_and_b32_e32 v11, 56, v67
	s_mov_b32 s8, exec_lo
	; wave barrier
	s_delay_alu instid0(VALU_DEP_2) | instskip(NEXT) | instid1(VALU_DEP_2)
	v_or_b32_e32 v10, 32, v54
	v_min_u32_e32 v55, v31, v11
	ds_store_2addr_b64 v21, v[8:9], v[34:35] offset1:1
	ds_store_2addr_b64 v21, v[36:37], v[48:49] offset0:2 offset1:3
	s_waitcnt lgkmcnt(8)
	ds_store_2addr_b64 v30, v[0:1], v[14:15] offset1:1
	s_waitcnt lgkmcnt(7)
	ds_store_2addr_b64 v30, v[12:13], v[18:19] offset0:2 offset1:3
	ds_store_2addr_b64 v21, v[38:39], v[32:33] offset0:4 offset1:5
	;; [unrolled: 1-line block ×3, first 2 shown]
	s_waitcnt lgkmcnt(8)
	ds_store_2addr_b64 v30, v[16:17], v[24:25] offset0:4 offset1:5
	s_waitcnt lgkmcnt(7)
	ds_store_2addr_b64 v30, v[4:5], v[22:23] offset0:6 offset1:7
	v_min_u32_e32 v52, v31, v10
	; wave barrier
	s_delay_alu instid0(VALU_DEP_1) | instskip(NEXT) | instid1(VALU_DEP_1)
	v_add_nc_u32_e32 v10, 32, v52
	v_min_u32_e32 v53, v31, v10
	v_sub_nc_u32_e32 v10, v52, v54
	s_delay_alu instid0(VALU_DEP_2) | instskip(NEXT) | instid1(VALU_DEP_2)
	v_sub_nc_u32_e32 v11, v53, v52
	v_min_u32_e32 v64, v55, v10
	s_delay_alu instid0(VALU_DEP_2) | instskip(SKIP_1) | instid1(VALU_DEP_2)
	v_sub_nc_u32_e64 v10, v55, v11 clamp
	v_lshl_add_u32 v11, v54, 3, v20
	v_cmpx_lt_u32_e64 v10, v64
	s_cbranch_execz .LBB824_208
; %bb.205:
	v_lshlrev_b32_e32 v65, 3, v52
	v_lshlrev_b32_e32 v69, 3, v55
	s_mov_b32 s9, 0
	s_delay_alu instid0(VALU_DEP_1)
	v_add3_u32 v65, v20, v65, v69
	.p2align	6
.LBB824_206:                            ; =>This Inner Loop Header: Depth=1
	v_add_nc_u32_e32 v69, v64, v10
	s_delay_alu instid0(VALU_DEP_1) | instskip(NEXT) | instid1(VALU_DEP_1)
	v_lshrrev_b32_e32 v71, 1, v69
	v_not_b32_e32 v69, v71
	v_lshl_add_u32 v70, v71, 3, v11
	s_delay_alu instid0(VALU_DEP_2)
	v_lshl_add_u32 v80, v69, 3, v65
	ds_load_b64 v[69:70], v70
	ds_load_b64 v[80:81], v80
	s_waitcnt lgkmcnt(0)
	v_cmp_gt_i64_e64 s7, v[69:70], v[80:81]
	v_add_nc_u32_e32 v69, 1, v71
	s_delay_alu instid0(VALU_DEP_2) | instskip(NEXT) | instid1(VALU_DEP_2)
	v_cndmask_b32_e64 v64, v64, v71, s7
	v_cndmask_b32_e64 v10, v69, v10, s7
	s_delay_alu instid0(VALU_DEP_1) | instskip(NEXT) | instid1(VALU_DEP_1)
	v_cmp_ge_u32_e64 s7, v10, v64
	s_or_b32 s9, s7, s9
	s_delay_alu instid0(SALU_CYCLE_1)
	s_and_not1_b32 exec_lo, exec_lo, s9
	s_cbranch_execnz .LBB824_206
; %bb.207:
	s_or_b32 exec_lo, exec_lo, s9
.LBB824_208:
	s_delay_alu instid0(SALU_CYCLE_1) | instskip(SKIP_2) | instid1(VALU_DEP_2)
	s_or_b32 exec_lo, exec_lo, s8
	v_add_nc_u32_e32 v55, v52, v55
	v_add_nc_u32_e32 v54, v10, v54
	v_sub_nc_u32_e32 v55, v55, v10
	s_delay_alu instid0(VALU_DEP_2) | instskip(NEXT) | instid1(VALU_DEP_2)
	v_cmp_le_u32_e64 s7, v54, v52
	v_cmp_le_u32_e64 s8, v55, v53
	s_delay_alu instid0(VALU_DEP_1) | instskip(NEXT) | instid1(SALU_CYCLE_1)
	s_or_b32 s7, s7, s8
	s_and_saveexec_b32 s18, s7
	s_cbranch_execz .LBB824_214
; %bb.209:
	v_cmp_lt_u32_e64 s7, v54, v52
                                        ; implicit-def: $vgpr8_vgpr9
	s_delay_alu instid0(VALU_DEP_1)
	s_and_saveexec_b32 s8, s7
	s_cbranch_execz .LBB824_211
; %bb.210:
	v_lshl_add_u32 v0, v10, 3, v11
	ds_load_b64 v[8:9], v0
.LBB824_211:
	s_or_b32 exec_lo, exec_lo, s8
	v_cmp_ge_u32_e64 s8, v55, v53
	s_mov_b32 s10, exec_lo
                                        ; implicit-def: $vgpr10_vgpr11
	v_cmpx_lt_u32_e64 v55, v53
	s_cbranch_execz .LBB824_213
; %bb.212:
	v_lshl_add_u32 v0, v55, 3, v20
	ds_load_b64 v[10:11], v0
.LBB824_213:
	s_or_b32 exec_lo, exec_lo, s10
	s_waitcnt lgkmcnt(0)
	v_cmp_le_i64_e64 s9, v[8:9], v[10:11]
	s_delay_alu instid0(VALU_DEP_1) | instskip(NEXT) | instid1(SALU_CYCLE_1)
	s_and_b32 s7, s7, s9
	s_or_b32 s7, s8, s7
	s_delay_alu instid0(SALU_CYCLE_1) | instskip(SKIP_1) | instid1(VALU_DEP_2)
	v_cndmask_b32_e64 v4, v55, v54, s7
	v_cndmask_b32_e64 v0, v53, v52, s7
	v_add_nc_u32_e32 v5, 1, v4
	s_delay_alu instid0(VALU_DEP_2) | instskip(SKIP_1) | instid1(VALU_DEP_3)
	v_add_nc_u32_e32 v0, -1, v0
	v_lshl_add_u32 v4, v4, 3, v20
	v_cndmask_b32_e64 v12, v54, v5, s7
	s_delay_alu instid0(VALU_DEP_3) | instskip(SKIP_1) | instid1(VALU_DEP_3)
	v_min_u32_e32 v0, v5, v0
	v_cndmask_b32_e64 v5, v5, v55, s7
	v_cmp_lt_u32_e64 s9, v12, v52
	s_delay_alu instid0(VALU_DEP_3) | instskip(NEXT) | instid1(VALU_DEP_3)
	v_lshl_add_u32 v0, v0, 3, v20
	v_cmp_ge_u32_e64 s10, v5, v53
	ds_load_b64 v[0:1], v0
	s_waitcnt lgkmcnt(0)
	v_cndmask_b32_e64 v29, v1, v11, s7
	v_cndmask_b32_e64 v28, v0, v10, s7
	;; [unrolled: 1-line block ×6, first 2 shown]
	s_delay_alu instid0(VALU_DEP_3) | instskip(NEXT) | instid1(VALU_DEP_1)
	v_cmp_le_i64_e64 s8, v[32:33], v[28:29]
	s_and_b32 s8, s9, s8
	s_delay_alu instid0(SALU_CYCLE_1) | instskip(NEXT) | instid1(SALU_CYCLE_1)
	s_or_b32 s8, s10, s8
	v_cndmask_b32_e64 v13, v5, v12, s8
	v_cndmask_b32_e64 v0, v53, v52, s8
	;; [unrolled: 1-line block ×3, first 2 shown]
	s_delay_alu instid0(VALU_DEP_3) | instskip(NEXT) | instid1(VALU_DEP_3)
	v_add_nc_u32_e32 v14, 1, v13
	v_add_nc_u32_e32 v0, -1, v0
	s_delay_alu instid0(VALU_DEP_2) | instskip(NEXT) | instid1(VALU_DEP_2)
	v_cndmask_b32_e64 v12, v12, v14, s8
	v_min_u32_e32 v0, v14, v0
	v_cndmask_b32_e64 v5, v14, v5, s8
	s_delay_alu instid0(VALU_DEP_3) | instskip(NEXT) | instid1(VALU_DEP_3)
	v_cmp_lt_u32_e64 s10, v12, v52
	v_lshl_add_u32 v0, v0, 3, v20
	s_delay_alu instid0(VALU_DEP_3)
	v_cmp_ge_u32_e64 s11, v5, v53
	ds_load_b64 v[0:1], v0
	s_waitcnt lgkmcnt(0)
	v_cndmask_b32_e64 v37, v1, v29, s8
	v_cndmask_b32_e64 v36, v0, v28, s8
	;; [unrolled: 1-line block ×4, first 2 shown]
	s_delay_alu instid0(VALU_DEP_1) | instskip(NEXT) | instid1(VALU_DEP_1)
	v_cmp_le_i64_e64 s9, v[38:39], v[36:37]
	s_and_b32 s9, s10, s9
	s_delay_alu instid0(SALU_CYCLE_1) | instskip(NEXT) | instid1(SALU_CYCLE_1)
	s_or_b32 s9, s11, s9
	v_cndmask_b32_e64 v14, v5, v12, s9
	v_cndmask_b32_e64 v0, v53, v52, s9
	s_delay_alu instid0(VALU_DEP_2) | instskip(NEXT) | instid1(VALU_DEP_2)
	v_add_nc_u32_e32 v15, 1, v14
	v_add_nc_u32_e32 v0, -1, v0
	s_delay_alu instid0(VALU_DEP_2) | instskip(NEXT) | instid1(VALU_DEP_2)
	v_cndmask_b32_e64 v12, v12, v15, s9
	v_min_u32_e32 v0, v15, v0
	v_cndmask_b32_e64 v5, v15, v5, s9
	s_delay_alu instid0(VALU_DEP_3) | instskip(NEXT) | instid1(VALU_DEP_3)
	v_cmp_lt_u32_e64 s11, v12, v52
	v_lshl_add_u32 v0, v0, 3, v20
	s_delay_alu instid0(VALU_DEP_3)
	v_cmp_ge_u32_e64 s12, v5, v53
	ds_load_b64 v[0:1], v0
	s_waitcnt lgkmcnt(0)
	v_cndmask_b32_e64 v49, v1, v37, s9
	v_cndmask_b32_e64 v48, v0, v36, s9
	;; [unrolled: 1-line block ×6, first 2 shown]
	s_delay_alu instid0(VALU_DEP_3) | instskip(NEXT) | instid1(VALU_DEP_1)
	v_cmp_le_i64_e64 s10, v[50:51], v[48:49]
	s_and_b32 s10, s11, s10
	s_delay_alu instid0(SALU_CYCLE_1) | instskip(NEXT) | instid1(SALU_CYCLE_1)
	s_or_b32 s10, s12, s10
	v_cndmask_b32_e64 v16, v5, v12, s10
	v_cndmask_b32_e64 v0, v53, v52, s10
	s_delay_alu instid0(VALU_DEP_2) | instskip(NEXT) | instid1(VALU_DEP_2)
	v_add_nc_u32_e32 v15, 1, v16
	v_add_nc_u32_e32 v0, -1, v0
	s_delay_alu instid0(VALU_DEP_2) | instskip(NEXT) | instid1(VALU_DEP_2)
	v_cndmask_b32_e64 v12, v12, v15, s10
	v_min_u32_e32 v0, v15, v0
	v_cndmask_b32_e64 v5, v15, v5, s10
	s_delay_alu instid0(VALU_DEP_3) | instskip(NEXT) | instid1(VALU_DEP_3)
	v_cmp_lt_u32_e64 s12, v12, v52
	v_lshl_add_u32 v0, v0, 3, v20
	s_delay_alu instid0(VALU_DEP_3)
	v_cmp_ge_u32_e64 s13, v5, v53
	ds_load_b64 v[0:1], v0
	s_waitcnt lgkmcnt(0)
	v_cndmask_b32_e64 v55, v1, v49, s10
	v_cndmask_b32_e64 v54, v0, v48, s10
	;; [unrolled: 1-line block ×6, first 2 shown]
	s_delay_alu instid0(VALU_DEP_3) | instskip(NEXT) | instid1(VALU_DEP_1)
	v_cmp_le_i64_e64 s11, v[64:65], v[54:55]
	s_and_b32 s11, s12, s11
	s_delay_alu instid0(SALU_CYCLE_1) | instskip(NEXT) | instid1(SALU_CYCLE_1)
	s_or_b32 s11, s13, s11
	v_cndmask_b32_e64 v17, v5, v12, s11
	v_cndmask_b32_e64 v0, v53, v52, s11
	;; [unrolled: 1-line block ×4, first 2 shown]
	s_delay_alu instid0(VALU_DEP_4) | instskip(NEXT) | instid1(VALU_DEP_4)
	v_add_nc_u32_e32 v15, 1, v17
	v_add_nc_u32_e32 v0, -1, v0
	s_delay_alu instid0(VALU_DEP_2) | instskip(NEXT) | instid1(VALU_DEP_2)
	v_cndmask_b32_e64 v12, v12, v15, s11
	v_min_u32_e32 v0, v15, v0
	v_cndmask_b32_e64 v5, v15, v5, s11
	s_delay_alu instid0(VALU_DEP_3) | instskip(NEXT) | instid1(VALU_DEP_3)
	v_cmp_lt_u32_e64 s13, v12, v52
	v_lshl_add_u32 v0, v0, 3, v20
	s_delay_alu instid0(VALU_DEP_3)
	v_cmp_ge_u32_e64 s14, v5, v53
	ds_load_b64 v[0:1], v0
	s_waitcnt lgkmcnt(0)
	v_cndmask_b32_e64 v70, v1, v55, s11
	v_cndmask_b32_e64 v69, v0, v54, s11
	;; [unrolled: 1-line block ×4, first 2 shown]
	s_delay_alu instid0(VALU_DEP_1) | instskip(NEXT) | instid1(VALU_DEP_1)
	v_cmp_le_i64_e64 s12, v[80:81], v[69:70]
	s_and_b32 s12, s13, s12
	s_delay_alu instid0(SALU_CYCLE_1) | instskip(NEXT) | instid1(SALU_CYCLE_1)
	s_or_b32 s12, s14, s12
	v_cndmask_b32_e64 v18, v5, v12, s12
	v_cndmask_b32_e64 v0, v53, v52, s12
	;; [unrolled: 1-line block ×3, first 2 shown]
	s_delay_alu instid0(VALU_DEP_3) | instskip(NEXT) | instid1(VALU_DEP_3)
	v_add_nc_u32_e32 v15, 1, v18
	v_add_nc_u32_e32 v0, -1, v0
	s_delay_alu instid0(VALU_DEP_2) | instskip(NEXT) | instid1(VALU_DEP_2)
	v_cndmask_b32_e64 v12, v12, v15, s12
	v_min_u32_e32 v0, v15, v0
	v_cndmask_b32_e64 v5, v15, v5, s12
	s_delay_alu instid0(VALU_DEP_3) | instskip(NEXT) | instid1(VALU_DEP_3)
	v_cmp_lt_u32_e64 s14, v12, v52
	v_lshl_add_u32 v0, v0, 3, v20
	s_delay_alu instid0(VALU_DEP_3)
	v_cmp_ge_u32_e64 s15, v5, v53
	ds_load_b64 v[0:1], v0
	s_waitcnt lgkmcnt(0)
	v_cndmask_b32_e64 v83, v1, v70, s12
	v_cndmask_b32_e64 v82, v0, v69, s12
	;; [unrolled: 1-line block ×4, first 2 shown]
	s_delay_alu instid0(VALU_DEP_1) | instskip(NEXT) | instid1(VALU_DEP_1)
	v_cmp_le_i64_e64 s13, v[84:85], v[82:83]
	s_and_b32 s13, s14, s13
	s_delay_alu instid0(SALU_CYCLE_1) | instskip(NEXT) | instid1(SALU_CYCLE_1)
	s_or_b32 s13, s15, s13
	v_cndmask_b32_e64 v19, v5, v12, s13
	v_cndmask_b32_e64 v0, v53, v52, s13
	v_cndmask_b32_e64 v51, v83, v85, s13
	v_cndmask_b32_e64 v50, v82, v84, s13
	s_delay_alu instid0(VALU_DEP_4) | instskip(NEXT) | instid1(VALU_DEP_4)
	v_add_nc_u32_e32 v15, 1, v19
	v_add_nc_u32_e32 v0, -1, v0
	v_lshl_add_u32 v23, v19, 3, v20
	s_delay_alu instid0(VALU_DEP_3) | instskip(NEXT) | instid1(VALU_DEP_3)
	v_cndmask_b32_e64 v22, v12, v15, s13
	v_min_u32_e32 v0, v15, v0
	v_cndmask_b32_e64 v5, v15, v5, s13
	v_lshl_add_u32 v12, v13, 3, v20
	v_lshl_add_u32 v13, v14, 3, v20
	v_cmp_lt_u32_e64 s15, v22, v52
	v_lshl_add_u32 v0, v0, 3, v20
	v_cmp_ge_u32_e64 s16, v5, v53
	ds_load_b64 v[0:1], v0
	s_waitcnt lgkmcnt(0)
	v_cndmask_b32_e64 v87, v1, v83, s13
	v_cndmask_b32_e64 v86, v0, v82, s13
	;; [unrolled: 1-line block ×4, first 2 shown]
	ds_load_b64 v[0:1], v4 offset:16384
	v_lshl_add_u32 v4, v16, 3, v20
	v_lshl_add_u32 v16, v17, 3, v20
	ds_load_b64 v[14:15], v12 offset:16384
	ds_load_b64 v[12:13], v13 offset:16384
	v_cmp_le_i64_e64 s14, v[96:97], v[86:87]
	s_delay_alu instid0(VALU_DEP_1) | instskip(NEXT) | instid1(SALU_CYCLE_1)
	s_and_b32 s14, s15, s14
	s_or_b32 s14, s16, s14
	s_delay_alu instid0(SALU_CYCLE_1)
	v_cndmask_b32_e64 v5, v5, v22, s14
	v_lshl_add_u32 v22, v18, 3, v20
	ds_load_b64 v[18:19], v4 offset:16384
	v_cndmask_b32_e64 v29, v87, v97, s14
	v_lshl_add_u32 v34, v5, 3, v20
	ds_load_b64 v[16:17], v16 offset:16384
	ds_load_b64 v[24:25], v22 offset:16384
	;; [unrolled: 1-line block ×4, first 2 shown]
	v_cndmask_b32_e64 v34, v28, v32, s8
	v_cndmask_b32_e64 v32, v69, v80, s12
	;; [unrolled: 1-line block ×3, first 2 shown]
.LBB824_214:
	s_or_b32 exec_lo, exec_lo, s18
	v_and_b32_e32 v54, 0x80, v67
	s_mov_b32 s8, exec_lo
	; wave barrier
	ds_store_2addr_b64 v21, v[8:9], v[34:35] offset1:1
	ds_store_2addr_b64 v21, v[36:37], v[48:49] offset0:2 offset1:3
	v_or_b32_e32 v10, 64, v54
	s_waitcnt lgkmcnt(8)
	ds_store_2addr_b64 v30, v[0:1], v[14:15] offset1:1
	s_waitcnt lgkmcnt(7)
	ds_store_2addr_b64 v30, v[12:13], v[18:19] offset0:2 offset1:3
	ds_store_2addr_b64 v21, v[38:39], v[32:33] offset0:4 offset1:5
	;; [unrolled: 1-line block ×3, first 2 shown]
	s_waitcnt lgkmcnt(8)
	ds_store_2addr_b64 v30, v[16:17], v[24:25] offset0:4 offset1:5
	s_waitcnt lgkmcnt(7)
	ds_store_2addr_b64 v30, v[4:5], v[22:23] offset0:6 offset1:7
	; wave barrier
	v_min_u32_e32 v52, v31, v10
	s_delay_alu instid0(VALU_DEP_1) | instskip(NEXT) | instid1(VALU_DEP_1)
	v_add_nc_u32_e32 v10, 64, v52
	v_min_u32_e32 v53, v31, v10
	v_min_u32_e32 v31, v31, v68
	v_sub_nc_u32_e32 v10, v52, v54
	s_delay_alu instid0(VALU_DEP_3) | instskip(NEXT) | instid1(VALU_DEP_2)
	v_sub_nc_u32_e32 v11, v53, v52
	v_min_u32_e32 v55, v31, v10
	s_delay_alu instid0(VALU_DEP_2) | instskip(SKIP_1) | instid1(VALU_DEP_2)
	v_sub_nc_u32_e64 v10, v31, v11 clamp
	v_lshl_add_u32 v11, v54, 3, v20
	v_cmpx_lt_u32_e64 v10, v55
	s_cbranch_execz .LBB824_218
; %bb.215:
	v_lshlrev_b32_e32 v21, 3, v52
	v_lshlrev_b32_e32 v30, 3, v31
	s_mov_b32 s9, 0
	s_delay_alu instid0(VALU_DEP_1)
	v_add3_u32 v21, v20, v21, v30
	.p2align	6
.LBB824_216:                            ; =>This Inner Loop Header: Depth=1
	v_add_nc_u32_e32 v30, v55, v10
	s_delay_alu instid0(VALU_DEP_1) | instskip(NEXT) | instid1(VALU_DEP_1)
	v_lshrrev_b32_e32 v30, 1, v30
	v_not_b32_e32 v64, v30
	v_lshl_add_u32 v65, v30, 3, v11
	s_delay_alu instid0(VALU_DEP_2)
	v_lshl_add_u32 v67, v64, 3, v21
	ds_load_b64 v[64:65], v65
	ds_load_b64 v[67:68], v67
	s_waitcnt lgkmcnt(0)
	v_cmp_gt_i64_e64 s7, v[64:65], v[67:68]
	v_add_nc_u32_e32 v64, 1, v30
	s_delay_alu instid0(VALU_DEP_2) | instskip(NEXT) | instid1(VALU_DEP_2)
	v_cndmask_b32_e64 v55, v55, v30, s7
	v_cndmask_b32_e64 v10, v64, v10, s7
	s_delay_alu instid0(VALU_DEP_1) | instskip(NEXT) | instid1(VALU_DEP_1)
	v_cmp_ge_u32_e64 s7, v10, v55
	s_or_b32 s9, s7, s9
	s_delay_alu instid0(SALU_CYCLE_1)
	s_and_not1_b32 exec_lo, exec_lo, s9
	s_cbranch_execnz .LBB824_216
; %bb.217:
	s_or_b32 exec_lo, exec_lo, s9
.LBB824_218:
	s_delay_alu instid0(SALU_CYCLE_1) | instskip(SKIP_2) | instid1(VALU_DEP_2)
	s_or_b32 exec_lo, exec_lo, s8
	v_add_nc_u32_e32 v30, v52, v31
	v_add_nc_u32_e32 v21, v10, v54
	v_sub_nc_u32_e32 v30, v30, v10
	s_delay_alu instid0(VALU_DEP_2) | instskip(NEXT) | instid1(VALU_DEP_2)
	v_cmp_le_u32_e64 s7, v21, v52
	v_cmp_le_u32_e64 s8, v30, v53
	s_delay_alu instid0(VALU_DEP_1) | instskip(NEXT) | instid1(SALU_CYCLE_1)
	s_or_b32 s7, s7, s8
	s_and_saveexec_b32 s18, s7
	s_cbranch_execz .LBB824_224
; %bb.219:
	v_cmp_lt_u32_e64 s7, v21, v52
                                        ; implicit-def: $vgpr8_vgpr9
	s_delay_alu instid0(VALU_DEP_1)
	s_and_saveexec_b32 s8, s7
	s_cbranch_execz .LBB824_221
; %bb.220:
	v_lshl_add_u32 v0, v10, 3, v11
	ds_load_b64 v[8:9], v0
.LBB824_221:
	s_or_b32 exec_lo, exec_lo, s8
	v_cmp_ge_u32_e64 s8, v30, v53
	s_mov_b32 s10, exec_lo
                                        ; implicit-def: $vgpr10_vgpr11
	v_cmpx_lt_u32_e64 v30, v53
	s_cbranch_execz .LBB824_223
; %bb.222:
	v_lshl_add_u32 v0, v30, 3, v20
	ds_load_b64 v[10:11], v0
.LBB824_223:
	s_or_b32 exec_lo, exec_lo, s10
	s_waitcnt lgkmcnt(0)
	v_cmp_le_i64_e64 s9, v[8:9], v[10:11]
	s_delay_alu instid0(VALU_DEP_1) | instskip(NEXT) | instid1(SALU_CYCLE_1)
	s_and_b32 s7, s7, s9
	s_or_b32 s7, s8, s7
	s_delay_alu instid0(SALU_CYCLE_1) | instskip(SKIP_1) | instid1(VALU_DEP_2)
	v_cndmask_b32_e64 v4, v30, v21, s7
	v_cndmask_b32_e64 v0, v53, v52, s7
	v_add_nc_u32_e32 v5, 1, v4
	s_delay_alu instid0(VALU_DEP_2) | instskip(SKIP_1) | instid1(VALU_DEP_3)
	v_add_nc_u32_e32 v0, -1, v0
	v_lshl_add_u32 v4, v4, 3, v20
	v_cndmask_b32_e64 v12, v21, v5, s7
	s_delay_alu instid0(VALU_DEP_3) | instskip(SKIP_1) | instid1(VALU_DEP_3)
	v_min_u32_e32 v0, v5, v0
	v_cndmask_b32_e64 v5, v5, v30, s7
	v_cmp_lt_u32_e64 s9, v12, v52
	s_delay_alu instid0(VALU_DEP_3) | instskip(NEXT) | instid1(VALU_DEP_3)
	v_lshl_add_u32 v0, v0, 3, v20
	v_cmp_ge_u32_e64 s10, v5, v53
	ds_load_b64 v[0:1], v0
	s_waitcnt lgkmcnt(0)
	v_cndmask_b32_e64 v29, v1, v11, s7
	v_cndmask_b32_e64 v28, v0, v10, s7
	v_cndmask_b32_e64 v32, v9, v1, s7
	v_cndmask_b32_e64 v31, v8, v0, s7
	v_cndmask_b32_e64 v9, v11, v9, s7
	v_cndmask_b32_e64 v8, v10, v8, s7
	s_delay_alu instid0(VALU_DEP_3) | instskip(NEXT) | instid1(VALU_DEP_1)
	v_cmp_le_i64_e64 s8, v[31:32], v[28:29]
	s_and_b32 s8, s9, s8
	s_delay_alu instid0(SALU_CYCLE_1) | instskip(NEXT) | instid1(SALU_CYCLE_1)
	s_or_b32 s8, s10, s8
	v_cndmask_b32_e64 v13, v5, v12, s8
	v_cndmask_b32_e64 v0, v53, v52, s8
	;; [unrolled: 1-line block ×4, first 2 shown]
	s_delay_alu instid0(VALU_DEP_4) | instskip(NEXT) | instid1(VALU_DEP_4)
	v_add_nc_u32_e32 v14, 1, v13
	v_add_nc_u32_e32 v0, -1, v0
	s_delay_alu instid0(VALU_DEP_2) | instskip(NEXT) | instid1(VALU_DEP_2)
	v_cndmask_b32_e64 v12, v12, v14, s8
	v_min_u32_e32 v0, v14, v0
	v_cndmask_b32_e64 v5, v14, v5, s8
	s_delay_alu instid0(VALU_DEP_3) | instskip(NEXT) | instid1(VALU_DEP_3)
	v_cmp_lt_u32_e64 s10, v12, v52
	v_lshl_add_u32 v0, v0, 3, v20
	s_delay_alu instid0(VALU_DEP_3)
	v_cmp_ge_u32_e64 s11, v5, v53
	ds_load_b64 v[0:1], v0
	s_waitcnt lgkmcnt(0)
	v_cndmask_b32_e64 v37, v1, v29, s8
	v_cndmask_b32_e64 v36, v0, v28, s8
	;; [unrolled: 1-line block ×4, first 2 shown]
	s_delay_alu instid0(VALU_DEP_1) | instskip(NEXT) | instid1(VALU_DEP_1)
	v_cmp_le_i64_e64 s9, v[38:39], v[36:37]
	s_and_b32 s9, s10, s9
	s_delay_alu instid0(SALU_CYCLE_1) | instskip(NEXT) | instid1(SALU_CYCLE_1)
	s_or_b32 s9, s11, s9
	v_cndmask_b32_e64 v14, v5, v12, s9
	v_cndmask_b32_e64 v0, v53, v52, s9
	s_delay_alu instid0(VALU_DEP_2) | instskip(NEXT) | instid1(VALU_DEP_2)
	v_add_nc_u32_e32 v15, 1, v14
	v_add_nc_u32_e32 v0, -1, v0
	s_delay_alu instid0(VALU_DEP_2) | instskip(NEXT) | instid1(VALU_DEP_2)
	v_cndmask_b32_e64 v12, v12, v15, s9
	v_min_u32_e32 v0, v15, v0
	v_cndmask_b32_e64 v5, v15, v5, s9
	s_delay_alu instid0(VALU_DEP_3) | instskip(NEXT) | instid1(VALU_DEP_3)
	v_cmp_lt_u32_e64 s11, v12, v52
	v_lshl_add_u32 v0, v0, 3, v20
	s_delay_alu instid0(VALU_DEP_3)
	v_cmp_ge_u32_e64 s12, v5, v53
	ds_load_b64 v[0:1], v0
	s_waitcnt lgkmcnt(0)
	v_cndmask_b32_e64 v49, v1, v37, s9
	v_cndmask_b32_e64 v48, v0, v36, s9
	;; [unrolled: 1-line block ×6, first 2 shown]
	s_delay_alu instid0(VALU_DEP_3) | instskip(NEXT) | instid1(VALU_DEP_1)
	v_cmp_le_i64_e64 s10, v[50:51], v[48:49]
	s_and_b32 s10, s11, s10
	s_delay_alu instid0(SALU_CYCLE_1) | instskip(NEXT) | instid1(SALU_CYCLE_1)
	s_or_b32 s10, s12, s10
	v_cndmask_b32_e64 v16, v5, v12, s10
	v_cndmask_b32_e64 v0, v53, v52, s10
	s_delay_alu instid0(VALU_DEP_2) | instskip(NEXT) | instid1(VALU_DEP_2)
	v_add_nc_u32_e32 v15, 1, v16
	v_add_nc_u32_e32 v0, -1, v0
	s_delay_alu instid0(VALU_DEP_2) | instskip(NEXT) | instid1(VALU_DEP_2)
	v_cndmask_b32_e64 v12, v12, v15, s10
	v_min_u32_e32 v0, v15, v0
	v_cndmask_b32_e64 v5, v15, v5, s10
	s_delay_alu instid0(VALU_DEP_3) | instskip(NEXT) | instid1(VALU_DEP_3)
	v_cmp_lt_u32_e64 s12, v12, v52
	v_lshl_add_u32 v0, v0, 3, v20
	s_delay_alu instid0(VALU_DEP_3)
	v_cmp_ge_u32_e64 s13, v5, v53
	ds_load_b64 v[0:1], v0
	s_waitcnt lgkmcnt(0)
	v_cndmask_b32_e64 v55, v1, v49, s10
	v_cndmask_b32_e64 v54, v0, v48, s10
	;; [unrolled: 1-line block ×6, first 2 shown]
	s_delay_alu instid0(VALU_DEP_3) | instskip(NEXT) | instid1(VALU_DEP_1)
	v_cmp_le_i64_e64 s11, v[64:65], v[54:55]
	s_and_b32 s11, s12, s11
	s_delay_alu instid0(SALU_CYCLE_1) | instskip(NEXT) | instid1(SALU_CYCLE_1)
	s_or_b32 s11, s13, s11
	v_cndmask_b32_e64 v17, v5, v12, s11
	v_cndmask_b32_e64 v0, v53, v52, s11
	;; [unrolled: 1-line block ×4, first 2 shown]
	s_delay_alu instid0(VALU_DEP_4) | instskip(NEXT) | instid1(VALU_DEP_4)
	v_add_nc_u32_e32 v15, 1, v17
	v_add_nc_u32_e32 v0, -1, v0
	s_delay_alu instid0(VALU_DEP_2) | instskip(NEXT) | instid1(VALU_DEP_2)
	v_cndmask_b32_e64 v12, v12, v15, s11
	v_min_u32_e32 v0, v15, v0
	v_cndmask_b32_e64 v5, v15, v5, s11
	s_delay_alu instid0(VALU_DEP_3) | instskip(NEXT) | instid1(VALU_DEP_3)
	v_cmp_lt_u32_e64 s13, v12, v52
	v_lshl_add_u32 v0, v0, 3, v20
	s_delay_alu instid0(VALU_DEP_3)
	v_cmp_ge_u32_e64 s14, v5, v53
	ds_load_b64 v[0:1], v0
	s_waitcnt lgkmcnt(0)
	v_cndmask_b32_e64 v68, v1, v55, s11
	v_cndmask_b32_e64 v67, v0, v54, s11
	v_cndmask_b32_e64 v70, v65, v1, s11
	v_cndmask_b32_e64 v69, v64, v0, s11
	s_delay_alu instid0(VALU_DEP_1) | instskip(NEXT) | instid1(VALU_DEP_1)
	v_cmp_le_i64_e64 s12, v[69:70], v[67:68]
	s_and_b32 s12, s13, s12
	s_delay_alu instid0(SALU_CYCLE_1) | instskip(NEXT) | instid1(SALU_CYCLE_1)
	s_or_b32 s12, s14, s12
	v_cndmask_b32_e64 v18, v5, v12, s12
	v_cndmask_b32_e64 v0, v53, v52, s12
	;; [unrolled: 1-line block ×4, first 2 shown]
	s_delay_alu instid0(VALU_DEP_4) | instskip(NEXT) | instid1(VALU_DEP_4)
	v_add_nc_u32_e32 v15, 1, v18
	v_add_nc_u32_e32 v0, -1, v0
	s_delay_alu instid0(VALU_DEP_2) | instskip(NEXT) | instid1(VALU_DEP_2)
	v_cndmask_b32_e64 v12, v12, v15, s12
	v_min_u32_e32 v0, v15, v0
	v_cndmask_b32_e64 v5, v15, v5, s12
	s_delay_alu instid0(VALU_DEP_3) | instskip(NEXT) | instid1(VALU_DEP_3)
	v_cmp_lt_u32_e64 s14, v12, v52
	v_lshl_add_u32 v0, v0, 3, v20
	s_delay_alu instid0(VALU_DEP_3)
	v_cmp_ge_u32_e64 s15, v5, v53
	ds_load_b64 v[0:1], v0
	s_waitcnt lgkmcnt(0)
	v_cndmask_b32_e64 v81, v1, v68, s12
	v_cndmask_b32_e64 v80, v0, v67, s12
	v_cndmask_b32_e64 v83, v70, v1, s12
	v_cndmask_b32_e64 v82, v69, v0, s12
	s_delay_alu instid0(VALU_DEP_1) | instskip(NEXT) | instid1(VALU_DEP_1)
	v_cmp_le_i64_e64 s13, v[82:83], v[80:81]
	s_and_b32 s13, s14, s13
	s_delay_alu instid0(SALU_CYCLE_1) | instskip(NEXT) | instid1(SALU_CYCLE_1)
	s_or_b32 s13, s15, s13
	v_cndmask_b32_e64 v19, v5, v12, s13
	v_cndmask_b32_e64 v0, v53, v52, s13
	;; [unrolled: 1-line block ×4, first 2 shown]
	s_delay_alu instid0(VALU_DEP_4) | instskip(NEXT) | instid1(VALU_DEP_4)
	v_add_nc_u32_e32 v15, 1, v19
	v_add_nc_u32_e32 v0, -1, v0
	v_lshl_add_u32 v22, v19, 3, v20
	s_delay_alu instid0(VALU_DEP_3) | instskip(NEXT) | instid1(VALU_DEP_3)
	v_cndmask_b32_e64 v21, v12, v15, s13
	v_min_u32_e32 v0, v15, v0
	v_cndmask_b32_e64 v5, v15, v5, s13
	v_lshl_add_u32 v12, v13, 3, v20
	v_lshl_add_u32 v13, v14, 3, v20
	v_cmp_lt_u32_e64 s15, v21, v52
	v_lshl_add_u32 v0, v0, 3, v20
	v_cmp_ge_u32_e64 s16, v5, v53
	ds_load_b64 v[0:1], v0
	s_waitcnt lgkmcnt(0)
	v_cndmask_b32_e64 v85, v1, v81, s13
	v_cndmask_b32_e64 v84, v0, v80, s13
	;; [unrolled: 1-line block ×4, first 2 shown]
	ds_load_b64 v[0:1], v4 offset:16384
	v_lshl_add_u32 v4, v16, 3, v20
	v_lshl_add_u32 v16, v17, 3, v20
	ds_load_b64 v[14:15], v12 offset:16384
	ds_load_b64 v[12:13], v13 offset:16384
	v_cmp_le_i64_e64 s14, v[86:87], v[84:85]
	s_delay_alu instid0(VALU_DEP_1) | instskip(NEXT) | instid1(SALU_CYCLE_1)
	s_and_b32 s14, s15, s14
	s_or_b32 s14, s16, s14
	s_delay_alu instid0(SALU_CYCLE_1)
	v_cndmask_b32_e64 v5, v5, v21, s14
	v_lshl_add_u32 v21, v18, 3, v20
	ds_load_b64 v[18:19], v4 offset:16384
	v_cndmask_b32_e64 v29, v85, v87, s14
	v_cndmask_b32_e64 v28, v84, v86, s14
	v_lshl_add_u32 v20, v5, 3, v20
	ds_load_b64 v[16:17], v16 offset:16384
	ds_load_b64 v[24:25], v21 offset:16384
	;; [unrolled: 1-line block ×4, first 2 shown]
.LBB824_224:
	s_or_b32 exec_lo, exec_lo, s18
	; wave barrier
	s_waitcnt lgkmcnt(0)
	s_waitcnt_vscnt null, 0x0
	s_barrier
.LBB824_225:
	s_or_b32 exec_lo, exec_lo, s17
	v_add_co_u32 v2, s7, v2, v26
	s_delay_alu instid0(VALU_DEP_1) | instskip(SKIP_4) | instid1(VALU_DEP_1)
	v_add_co_ci_u32_e64 v3, s7, v3, v27, s7
	s_waitcnt vmcnt(0) lgkmcnt(0)
	s_waitcnt_vscnt null, 0x0
	buffer_gl0_inv
	v_add_co_u32 v2, s7, v2, v66
	v_add_co_ci_u32_e64 v3, s7, 0, v3, s7
	; wave barrier
	s_and_saveexec_b32 s7, vcc_lo
	s_cbranch_execnz .LBB824_250
; %bb.226:
	s_or_b32 exec_lo, exec_lo, s7
	s_and_saveexec_b32 s7, s0
	s_cbranch_execnz .LBB824_251
.LBB824_227:
	s_or_b32 exec_lo, exec_lo, s7
	s_and_saveexec_b32 s7, s1
	s_cbranch_execnz .LBB824_252
.LBB824_228:
	s_or_b32 exec_lo, exec_lo, s7
	s_and_saveexec_b32 s7, s2
	s_cbranch_execnz .LBB824_253
.LBB824_229:
	s_or_b32 exec_lo, exec_lo, s7
	s_and_saveexec_b32 s7, s3
	s_cbranch_execnz .LBB824_254
.LBB824_230:
	s_or_b32 exec_lo, exec_lo, s7
	s_and_saveexec_b32 s7, s4
	s_cbranch_execnz .LBB824_255
.LBB824_231:
	s_or_b32 exec_lo, exec_lo, s7
	s_and_saveexec_b32 s7, s5
	s_cbranch_execnz .LBB824_256
.LBB824_232:
	s_or_b32 exec_lo, exec_lo, s7
	s_and_saveexec_b32 s7, s6
	s_cbranch_execz .LBB824_234
.LBB824_233:
	flat_store_b64 v[2:3], v[28:29] offset:56
.LBB824_234:
	s_or_b32 exec_lo, exec_lo, s7
	v_add_co_u32 v2, s7, v6, v26
	s_delay_alu instid0(VALU_DEP_1) | instskip(NEXT) | instid1(VALU_DEP_2)
	v_add_co_ci_u32_e64 v3, s7, v7, v27, s7
	v_add_co_u32 v2, s7, v2, v66
	s_delay_alu instid0(VALU_DEP_1)
	v_add_co_ci_u32_e64 v3, s7, 0, v3, s7
	; wave barrier
	s_and_saveexec_b32 s7, vcc_lo
	s_cbranch_execnz .LBB824_257
; %bb.235:
	s_or_b32 exec_lo, exec_lo, s7
	s_and_saveexec_b32 s7, s0
	s_cbranch_execnz .LBB824_258
.LBB824_236:
	s_or_b32 exec_lo, exec_lo, s7
	s_and_saveexec_b32 s0, s1
	s_cbranch_execnz .LBB824_259
.LBB824_237:
	s_or_b32 exec_lo, exec_lo, s0
	s_and_saveexec_b32 s0, s2
	s_cbranch_execnz .LBB824_260
.LBB824_238:
	s_or_b32 exec_lo, exec_lo, s0
	s_and_saveexec_b32 s0, s3
	s_cbranch_execnz .LBB824_261
.LBB824_239:
	s_or_b32 exec_lo, exec_lo, s0
	s_and_saveexec_b32 s0, s4
	s_cbranch_execnz .LBB824_262
.LBB824_240:
	s_or_b32 exec_lo, exec_lo, s0
	s_and_saveexec_b32 s0, s5
	s_cbranch_execnz .LBB824_263
.LBB824_241:
	s_or_b32 exec_lo, exec_lo, s0
	s_and_saveexec_b32 s0, s6
	s_cbranch_execnz .LBB824_264
.LBB824_242:
	s_or_b32 exec_lo, exec_lo, s0
	s_waitcnt lgkmcnt(0)
	s_setpc_b64 s[30:31]
.LBB824_243:
	flat_load_b64 v[0:1], v[52:53]
	s_or_b32 exec_lo, exec_lo, s7
	s_and_saveexec_b32 s7, s0
                                        ; implicit-def: $vgpr12_vgpr13_vgpr14_vgpr15
	s_cbranch_execz .LBB824_18
.LBB824_244:
	flat_load_b64 v[14:15], v[52:53] offset:8
	s_or_b32 exec_lo, exec_lo, s7
                                        ; implicit-def: $vgpr12_vgpr13
	s_and_saveexec_b32 s7, s1
	s_cbranch_execz .LBB824_19
.LBB824_245:
	flat_load_b64 v[12:13], v[52:53] offset:16
	s_or_b32 exec_lo, exec_lo, s7
	s_and_saveexec_b32 s7, s2
                                        ; implicit-def: $vgpr16_vgpr17_vgpr18_vgpr19
	s_cbranch_execz .LBB824_20
.LBB824_246:
	flat_load_b64 v[18:19], v[52:53] offset:24
	s_or_b32 exec_lo, exec_lo, s7
                                        ; implicit-def: $vgpr16_vgpr17
	s_and_saveexec_b32 s7, s3
	s_cbranch_execz .LBB824_21
.LBB824_247:
	flat_load_b64 v[16:17], v[52:53] offset:32
	s_or_b32 exec_lo, exec_lo, s7
	s_and_saveexec_b32 s7, s4
                                        ; implicit-def: $vgpr22_vgpr23_vgpr24_vgpr25
	s_cbranch_execz .LBB824_22
.LBB824_248:
	flat_load_b64 v[24:25], v[52:53] offset:40
	s_or_b32 exec_lo, exec_lo, s7
                                        ; implicit-def: $vgpr4_vgpr5
	s_and_saveexec_b32 s7, s5
	s_cbranch_execz .LBB824_23
.LBB824_249:
	flat_load_b64 v[4:5], v[52:53] offset:48
	s_or_b32 exec_lo, exec_lo, s7
	s_and_saveexec_b32 s7, s6
                                        ; implicit-def: $vgpr20_vgpr21_vgpr22_vgpr23
	s_cbranch_execnz .LBB824_24
	s_branch .LBB824_25
.LBB824_250:
	flat_store_b64 v[2:3], v[8:9]
	s_or_b32 exec_lo, exec_lo, s7
	s_and_saveexec_b32 s7, s0
	s_cbranch_execz .LBB824_227
.LBB824_251:
	flat_store_b64 v[2:3], v[34:35] offset:8
	s_or_b32 exec_lo, exec_lo, s7
	s_and_saveexec_b32 s7, s1
	s_cbranch_execz .LBB824_228
.LBB824_252:
	flat_store_b64 v[2:3], v[36:37] offset:16
	s_or_b32 exec_lo, exec_lo, s7
	s_and_saveexec_b32 s7, s2
	s_cbranch_execz .LBB824_229
.LBB824_253:
	flat_store_b64 v[2:3], v[48:49] offset:24
	s_or_b32 exec_lo, exec_lo, s7
	s_and_saveexec_b32 s7, s3
	s_cbranch_execz .LBB824_230
.LBB824_254:
	flat_store_b64 v[2:3], v[38:39] offset:32
	s_or_b32 exec_lo, exec_lo, s7
	s_and_saveexec_b32 s7, s4
	s_cbranch_execz .LBB824_231
.LBB824_255:
	flat_store_b64 v[2:3], v[32:33] offset:40
	s_or_b32 exec_lo, exec_lo, s7
	s_and_saveexec_b32 s7, s5
	s_cbranch_execz .LBB824_232
.LBB824_256:
	flat_store_b64 v[2:3], v[50:51] offset:48
	s_or_b32 exec_lo, exec_lo, s7
	s_and_saveexec_b32 s7, s6
	s_cbranch_execnz .LBB824_233
	s_branch .LBB824_234
.LBB824_257:
	flat_store_b64 v[2:3], v[0:1]
	s_or_b32 exec_lo, exec_lo, s7
	s_and_saveexec_b32 s7, s0
	s_cbranch_execz .LBB824_236
.LBB824_258:
	flat_store_b64 v[2:3], v[14:15] offset:8
	s_or_b32 exec_lo, exec_lo, s7
	s_and_saveexec_b32 s0, s1
	s_cbranch_execz .LBB824_237
.LBB824_259:
	flat_store_b64 v[2:3], v[12:13] offset:16
	s_or_b32 exec_lo, exec_lo, s0
	s_and_saveexec_b32 s0, s2
	s_cbranch_execz .LBB824_238
.LBB824_260:
	flat_store_b64 v[2:3], v[18:19] offset:24
	s_or_b32 exec_lo, exec_lo, s0
	s_and_saveexec_b32 s0, s3
	s_cbranch_execz .LBB824_239
.LBB824_261:
	flat_store_b64 v[2:3], v[16:17] offset:32
	s_or_b32 exec_lo, exec_lo, s0
	s_and_saveexec_b32 s0, s4
	s_cbranch_execz .LBB824_240
.LBB824_262:
	flat_store_b64 v[2:3], v[24:25] offset:40
	s_or_b32 exec_lo, exec_lo, s0
	s_and_saveexec_b32 s0, s5
	s_cbranch_execz .LBB824_241
.LBB824_263:
	flat_store_b64 v[2:3], v[4:5] offset:48
	s_or_b32 exec_lo, exec_lo, s0
	s_and_saveexec_b32 s0, s6
	s_cbranch_execz .LBB824_242
.LBB824_264:
	flat_store_b64 v[2:3], v[22:23] offset:56
	s_or_b32 exec_lo, exec_lo, s0
	s_waitcnt lgkmcnt(0)
	s_setpc_b64 s[30:31]
.Lfunc_end824:
	.size	_ZN7rocprim17ROCPRIM_400000_NS6detail26segmented_warp_sort_helperINS1_20WarpSortHelperConfigILj16ELj8ELj256EEEllLi256ELb0EvE4sortIPKlPlS8_S9_EEvT_T0_T1_T2_jjjjRNS5_12storage_typeE, .Lfunc_end824-_ZN7rocprim17ROCPRIM_400000_NS6detail26segmented_warp_sort_helperINS1_20WarpSortHelperConfigILj16ELj8ELj256EEEllLi256ELb0EvE4sortIPKlPlS8_S9_EEvT_T0_T1_T2_jjjjRNS5_12storage_typeE
                                        ; -- End function
	.section	.AMDGPU.csdata,"",@progbits
; Function info:
; codeLenInByte = 21160
; NumSgprs: 34
; NumVgprs: 99
; ScratchSize: 0
; MemoryBound: 0
	.section	.text._ZN7rocprim17ROCPRIM_400000_NS6detail17trampoline_kernelINS0_14default_configENS1_36segmented_radix_sort_config_selectorIllEEZNS1_25segmented_radix_sort_implIS3_Lb0EPKlPlS8_S9_N2at6native12_GLOBAL__N_18offset_tEEE10hipError_tPvRmT1_PNSt15iterator_traitsISH_E10value_typeET2_T3_PNSI_ISN_E10value_typeET4_jRbjT5_ST_jjP12ihipStream_tbEUlT_E0_NS1_11comp_targetILNS1_3genE9ELNS1_11target_archE1100ELNS1_3gpuE3ELNS1_3repE0EEENS1_60segmented_radix_sort_warp_sort_medium_config_static_selectorELNS0_4arch9wavefront6targetE0EEEvSH_,"axG",@progbits,_ZN7rocprim17ROCPRIM_400000_NS6detail17trampoline_kernelINS0_14default_configENS1_36segmented_radix_sort_config_selectorIllEEZNS1_25segmented_radix_sort_implIS3_Lb0EPKlPlS8_S9_N2at6native12_GLOBAL__N_18offset_tEEE10hipError_tPvRmT1_PNSt15iterator_traitsISH_E10value_typeET2_T3_PNSI_ISN_E10value_typeET4_jRbjT5_ST_jjP12ihipStream_tbEUlT_E0_NS1_11comp_targetILNS1_3genE9ELNS1_11target_archE1100ELNS1_3gpuE3ELNS1_3repE0EEENS1_60segmented_radix_sort_warp_sort_medium_config_static_selectorELNS0_4arch9wavefront6targetE0EEEvSH_,comdat
	.globl	_ZN7rocprim17ROCPRIM_400000_NS6detail17trampoline_kernelINS0_14default_configENS1_36segmented_radix_sort_config_selectorIllEEZNS1_25segmented_radix_sort_implIS3_Lb0EPKlPlS8_S9_N2at6native12_GLOBAL__N_18offset_tEEE10hipError_tPvRmT1_PNSt15iterator_traitsISH_E10value_typeET2_T3_PNSI_ISN_E10value_typeET4_jRbjT5_ST_jjP12ihipStream_tbEUlT_E0_NS1_11comp_targetILNS1_3genE9ELNS1_11target_archE1100ELNS1_3gpuE3ELNS1_3repE0EEENS1_60segmented_radix_sort_warp_sort_medium_config_static_selectorELNS0_4arch9wavefront6targetE0EEEvSH_ ; -- Begin function _ZN7rocprim17ROCPRIM_400000_NS6detail17trampoline_kernelINS0_14default_configENS1_36segmented_radix_sort_config_selectorIllEEZNS1_25segmented_radix_sort_implIS3_Lb0EPKlPlS8_S9_N2at6native12_GLOBAL__N_18offset_tEEE10hipError_tPvRmT1_PNSt15iterator_traitsISH_E10value_typeET2_T3_PNSI_ISN_E10value_typeET4_jRbjT5_ST_jjP12ihipStream_tbEUlT_E0_NS1_11comp_targetILNS1_3genE9ELNS1_11target_archE1100ELNS1_3gpuE3ELNS1_3repE0EEENS1_60segmented_radix_sort_warp_sort_medium_config_static_selectorELNS0_4arch9wavefront6targetE0EEEvSH_
	.p2align	8
	.type	_ZN7rocprim17ROCPRIM_400000_NS6detail17trampoline_kernelINS0_14default_configENS1_36segmented_radix_sort_config_selectorIllEEZNS1_25segmented_radix_sort_implIS3_Lb0EPKlPlS8_S9_N2at6native12_GLOBAL__N_18offset_tEEE10hipError_tPvRmT1_PNSt15iterator_traitsISH_E10value_typeET2_T3_PNSI_ISN_E10value_typeET4_jRbjT5_ST_jjP12ihipStream_tbEUlT_E0_NS1_11comp_targetILNS1_3genE9ELNS1_11target_archE1100ELNS1_3gpuE3ELNS1_3repE0EEENS1_60segmented_radix_sort_warp_sort_medium_config_static_selectorELNS0_4arch9wavefront6targetE0EEEvSH_,@function
_ZN7rocprim17ROCPRIM_400000_NS6detail17trampoline_kernelINS0_14default_configENS1_36segmented_radix_sort_config_selectorIllEEZNS1_25segmented_radix_sort_implIS3_Lb0EPKlPlS8_S9_N2at6native12_GLOBAL__N_18offset_tEEE10hipError_tPvRmT1_PNSt15iterator_traitsISH_E10value_typeET2_T3_PNSI_ISN_E10value_typeET4_jRbjT5_ST_jjP12ihipStream_tbEUlT_E0_NS1_11comp_targetILNS1_3genE9ELNS1_11target_archE1100ELNS1_3gpuE3ELNS1_3repE0EEENS1_60segmented_radix_sort_warp_sort_medium_config_static_selectorELNS0_4arch9wavefront6targetE0EEEvSH_: ; @_ZN7rocprim17ROCPRIM_400000_NS6detail17trampoline_kernelINS0_14default_configENS1_36segmented_radix_sort_config_selectorIllEEZNS1_25segmented_radix_sort_implIS3_Lb0EPKlPlS8_S9_N2at6native12_GLOBAL__N_18offset_tEEE10hipError_tPvRmT1_PNSt15iterator_traitsISH_E10value_typeET2_T3_PNSI_ISN_E10value_typeET4_jRbjT5_ST_jjP12ihipStream_tbEUlT_E0_NS1_11comp_targetILNS1_3genE9ELNS1_11target_archE1100ELNS1_3gpuE3ELNS1_3repE0EEENS1_60segmented_radix_sort_warp_sort_medium_config_static_selectorELNS0_4arch9wavefront6targetE0EEEvSH_
; %bb.0:
	s_load_b32 s2, s[0:1], 0x64
	v_bfe_u32 v1, v0, 10, 10
	v_bfe_u32 v2, v0, 20, 10
	s_mov_b32 s32, 0
	s_waitcnt lgkmcnt(0)
	s_lshr_b32 s3, s2, 16
	s_and_b32 s2, s2, 0xffff
	v_mad_u32_u24 v4, v2, s3, v1
	v_and_b32_e32 v1, 0x3ff, v0
	s_load_b32 s3, s[0:1], 0x34
	s_delay_alu instid0(VALU_DEP_1) | instskip(SKIP_1) | instid1(VALU_DEP_1)
	v_mad_u64_u32 v[2:3], null, v4, s2, v[1:2]
	s_mov_b32 s2, exec_lo
	v_lshrrev_b32_e32 v1, 4, v2
	s_delay_alu instid0(VALU_DEP_1) | instskip(SKIP_1) | instid1(VALU_DEP_1)
	v_lshl_add_u32 v1, s14, 4, v1
	s_waitcnt lgkmcnt(0)
	v_cmpx_gt_u32_e64 s3, v1
	s_cbranch_execz .LBB825_6
; %bb.1:
	s_clause 0x1
	s_load_b64 s[2:3], s[0:1], 0x38
	s_load_b128 s[4:7], s[0:1], 0x40
	v_mov_b32_e32 v2, 0
	s_delay_alu instid0(VALU_DEP_1) | instskip(SKIP_1) | instid1(VALU_DEP_1)
	v_lshlrev_b64 v[1:2], 2, v[1:2]
	s_waitcnt lgkmcnt(0)
	v_add_co_u32 v1, vcc_lo, s2, v1
	s_delay_alu instid0(VALU_DEP_2) | instskip(SKIP_4) | instid1(VALU_DEP_2)
	v_add_co_ci_u32_e32 v2, vcc_lo, s3, v2, vcc_lo
	global_load_b32 v1, v[1:2], off
	s_waitcnt vmcnt(0)
	v_add_nc_u32_e32 v2, s5, v1
	v_add_nc_u32_e32 v1, s7, v1
	v_mul_lo_u32 v40, v2, s4
	s_delay_alu instid0(VALU_DEP_2) | instskip(NEXT) | instid1(VALU_DEP_1)
	v_mul_lo_u32 v41, v1, s6
	v_cmp_gt_u32_e32 vcc_lo, v41, v40
	s_and_b32 exec_lo, exec_lo, vcc_lo
	s_cbranch_execz .LBB825_6
; %bb.2:
	s_clause 0x3
	s_load_b32 s2, s[0:1], 0x30
	s_load_b128 s[24:27], s[0:1], 0x20
	s_load_b256 s[36:43], s[0:1], 0x0
	s_load_b64 s[28:29], s[0:1], 0x50
	s_waitcnt lgkmcnt(0)
	s_bitcmp0_b32 s2, 0
	s_mov_b32 s2, -1
	s_cbranch_scc0 .LBB825_4
; %bb.3:
	v_mov_b32_e32 v31, v0
	v_dual_mov_b32 v42, v0 :: v_dual_mov_b32 v1, s37
	v_mov_b32_e32 v0, s36
	v_dual_mov_b32 v2, s38 :: v_dual_mov_b32 v3, s39
	v_dual_mov_b32 v4, s42 :: v_dual_mov_b32 v5, s43
	;; [unrolled: 1-line block ×5, first 2 shown]
	s_add_u32 s8, s0, 0x58
	s_addc_u32 s9, s1, 0
	s_mov_b32 s12, s14
	s_mov_b32 s13, s15
	s_getpc_b64 s[2:3]
	s_add_u32 s2, s2, _ZN7rocprim17ROCPRIM_400000_NS6detail26segmented_warp_sort_helperINS1_20WarpSortHelperConfigILj16ELj8ELj256EEEllLi256ELb0EvE4sortIPKlPlS8_S9_EEvT_T0_T1_T2_jjjjRNS5_12storage_typeE@rel32@lo+4
	s_addc_u32 s3, s3, _ZN7rocprim17ROCPRIM_400000_NS6detail26segmented_warp_sort_helperINS1_20WarpSortHelperConfigILj16ELj8ELj256EEEllLi256ELb0EvE4sortIPKlPlS8_S9_EEvT_T0_T1_T2_jjjjRNS5_12storage_typeE@rel32@hi+12
	s_mov_b64 s[24:25], s[0:1]
	s_mov_b32 s23, s15
	s_mov_b32 s33, s14
	s_swappc_b64 s[30:31], s[2:3]
	v_mov_b32_e32 v0, v42
	s_mov_b32 s14, s33
	s_mov_b32 s15, s23
	s_mov_b64 s[0:1], s[24:25]
	s_mov_b32 s2, 0
.LBB825_4:
	s_delay_alu instid0(SALU_CYCLE_1)
	s_and_not1_b32 vcc_lo, exec_lo, s2
	s_cbranch_vccnz .LBB825_6
; %bb.5:
	v_dual_mov_b32 v31, v0 :: v_dual_mov_b32 v0, s36
	v_dual_mov_b32 v1, s37 :: v_dual_mov_b32 v2, s40
	v_dual_mov_b32 v3, s41 :: v_dual_mov_b32 v4, s42
	v_dual_mov_b32 v5, s43 :: v_dual_mov_b32 v6, s26
	v_dual_mov_b32 v7, s27 :: v_dual_mov_b32 v8, v40
	v_dual_mov_b32 v9, v41 :: v_dual_mov_b32 v10, s28
	v_mov_b32_e32 v11, s29
	s_add_u32 s8, s0, 0x58
	s_addc_u32 s9, s1, 0
	s_mov_b32 s12, s14
	s_mov_b32 s13, s15
	s_getpc_b64 s[0:1]
	s_add_u32 s0, s0, _ZN7rocprim17ROCPRIM_400000_NS6detail26segmented_warp_sort_helperINS1_20WarpSortHelperConfigILj16ELj8ELj256EEEllLi256ELb0EvE4sortIPKlPlS8_S9_EEvT_T0_T1_T2_jjjjRNS5_12storage_typeE@rel32@lo+4
	s_addc_u32 s1, s1, _ZN7rocprim17ROCPRIM_400000_NS6detail26segmented_warp_sort_helperINS1_20WarpSortHelperConfigILj16ELj8ELj256EEEllLi256ELb0EvE4sortIPKlPlS8_S9_EEvT_T0_T1_T2_jjjjRNS5_12storage_typeE@rel32@hi+12
	s_delay_alu instid0(SALU_CYCLE_1)
	s_swappc_b64 s[30:31], s[0:1]
.LBB825_6:
	s_endpgm
	.section	.rodata,"a",@progbits
	.p2align	6, 0x0
	.amdhsa_kernel _ZN7rocprim17ROCPRIM_400000_NS6detail17trampoline_kernelINS0_14default_configENS1_36segmented_radix_sort_config_selectorIllEEZNS1_25segmented_radix_sort_implIS3_Lb0EPKlPlS8_S9_N2at6native12_GLOBAL__N_18offset_tEEE10hipError_tPvRmT1_PNSt15iterator_traitsISH_E10value_typeET2_T3_PNSI_ISN_E10value_typeET4_jRbjT5_ST_jjP12ihipStream_tbEUlT_E0_NS1_11comp_targetILNS1_3genE9ELNS1_11target_archE1100ELNS1_3gpuE3ELNS1_3repE0EEENS1_60segmented_radix_sort_warp_sort_medium_config_static_selectorELNS0_4arch9wavefront6targetE0EEEvSH_
		.amdhsa_group_segment_fixed_size 32768
		.amdhsa_private_segment_fixed_size 0
		.amdhsa_kernarg_size 344
		.amdhsa_user_sgpr_count 14
		.amdhsa_user_sgpr_dispatch_ptr 0
		.amdhsa_user_sgpr_queue_ptr 0
		.amdhsa_user_sgpr_kernarg_segment_ptr 1
		.amdhsa_user_sgpr_dispatch_id 0
		.amdhsa_user_sgpr_private_segment_size 0
		.amdhsa_wavefront_size32 1
		.amdhsa_uses_dynamic_stack 0
		.amdhsa_enable_private_segment 0
		.amdhsa_system_sgpr_workgroup_id_x 1
		.amdhsa_system_sgpr_workgroup_id_y 1
		.amdhsa_system_sgpr_workgroup_id_z 0
		.amdhsa_system_sgpr_workgroup_info 0
		.amdhsa_system_vgpr_workitem_id 2
		.amdhsa_next_free_vgpr 99
		.amdhsa_next_free_sgpr 44
		.amdhsa_reserve_vcc 1
		.amdhsa_float_round_mode_32 0
		.amdhsa_float_round_mode_16_64 0
		.amdhsa_float_denorm_mode_32 3
		.amdhsa_float_denorm_mode_16_64 3
		.amdhsa_dx10_clamp 1
		.amdhsa_ieee_mode 1
		.amdhsa_fp16_overflow 0
		.amdhsa_workgroup_processor_mode 1
		.amdhsa_memory_ordered 1
		.amdhsa_forward_progress 0
		.amdhsa_shared_vgpr_count 0
		.amdhsa_exception_fp_ieee_invalid_op 0
		.amdhsa_exception_fp_denorm_src 0
		.amdhsa_exception_fp_ieee_div_zero 0
		.amdhsa_exception_fp_ieee_overflow 0
		.amdhsa_exception_fp_ieee_underflow 0
		.amdhsa_exception_fp_ieee_inexact 0
		.amdhsa_exception_int_div_zero 0
	.end_amdhsa_kernel
	.section	.text._ZN7rocprim17ROCPRIM_400000_NS6detail17trampoline_kernelINS0_14default_configENS1_36segmented_radix_sort_config_selectorIllEEZNS1_25segmented_radix_sort_implIS3_Lb0EPKlPlS8_S9_N2at6native12_GLOBAL__N_18offset_tEEE10hipError_tPvRmT1_PNSt15iterator_traitsISH_E10value_typeET2_T3_PNSI_ISN_E10value_typeET4_jRbjT5_ST_jjP12ihipStream_tbEUlT_E0_NS1_11comp_targetILNS1_3genE9ELNS1_11target_archE1100ELNS1_3gpuE3ELNS1_3repE0EEENS1_60segmented_radix_sort_warp_sort_medium_config_static_selectorELNS0_4arch9wavefront6targetE0EEEvSH_,"axG",@progbits,_ZN7rocprim17ROCPRIM_400000_NS6detail17trampoline_kernelINS0_14default_configENS1_36segmented_radix_sort_config_selectorIllEEZNS1_25segmented_radix_sort_implIS3_Lb0EPKlPlS8_S9_N2at6native12_GLOBAL__N_18offset_tEEE10hipError_tPvRmT1_PNSt15iterator_traitsISH_E10value_typeET2_T3_PNSI_ISN_E10value_typeET4_jRbjT5_ST_jjP12ihipStream_tbEUlT_E0_NS1_11comp_targetILNS1_3genE9ELNS1_11target_archE1100ELNS1_3gpuE3ELNS1_3repE0EEENS1_60segmented_radix_sort_warp_sort_medium_config_static_selectorELNS0_4arch9wavefront6targetE0EEEvSH_,comdat
.Lfunc_end825:
	.size	_ZN7rocprim17ROCPRIM_400000_NS6detail17trampoline_kernelINS0_14default_configENS1_36segmented_radix_sort_config_selectorIllEEZNS1_25segmented_radix_sort_implIS3_Lb0EPKlPlS8_S9_N2at6native12_GLOBAL__N_18offset_tEEE10hipError_tPvRmT1_PNSt15iterator_traitsISH_E10value_typeET2_T3_PNSI_ISN_E10value_typeET4_jRbjT5_ST_jjP12ihipStream_tbEUlT_E0_NS1_11comp_targetILNS1_3genE9ELNS1_11target_archE1100ELNS1_3gpuE3ELNS1_3repE0EEENS1_60segmented_radix_sort_warp_sort_medium_config_static_selectorELNS0_4arch9wavefront6targetE0EEEvSH_, .Lfunc_end825-_ZN7rocprim17ROCPRIM_400000_NS6detail17trampoline_kernelINS0_14default_configENS1_36segmented_radix_sort_config_selectorIllEEZNS1_25segmented_radix_sort_implIS3_Lb0EPKlPlS8_S9_N2at6native12_GLOBAL__N_18offset_tEEE10hipError_tPvRmT1_PNSt15iterator_traitsISH_E10value_typeET2_T3_PNSI_ISN_E10value_typeET4_jRbjT5_ST_jjP12ihipStream_tbEUlT_E0_NS1_11comp_targetILNS1_3genE9ELNS1_11target_archE1100ELNS1_3gpuE3ELNS1_3repE0EEENS1_60segmented_radix_sort_warp_sort_medium_config_static_selectorELNS0_4arch9wavefront6targetE0EEEvSH_
                                        ; -- End function
	.section	.AMDGPU.csdata,"",@progbits
; Kernel info:
; codeLenInByte = 524
; NumSgprs: 46
; NumVgprs: 99
; ScratchSize: 0
; MemoryBound: 0
; FloatMode: 240
; IeeeMode: 1
; LDSByteSize: 32768 bytes/workgroup (compile time only)
; SGPRBlocks: 5
; VGPRBlocks: 12
; NumSGPRsForWavesPerEU: 46
; NumVGPRsForWavesPerEU: 99
; Occupancy: 8
; WaveLimiterHint : 0
; COMPUTE_PGM_RSRC2:SCRATCH_EN: 0
; COMPUTE_PGM_RSRC2:USER_SGPR: 14
; COMPUTE_PGM_RSRC2:TRAP_HANDLER: 0
; COMPUTE_PGM_RSRC2:TGID_X_EN: 1
; COMPUTE_PGM_RSRC2:TGID_Y_EN: 1
; COMPUTE_PGM_RSRC2:TGID_Z_EN: 0
; COMPUTE_PGM_RSRC2:TIDIG_COMP_CNT: 2
	.section	.text._ZN7rocprim17ROCPRIM_400000_NS6detail17trampoline_kernelINS0_14default_configENS1_36segmented_radix_sort_config_selectorIllEEZNS1_25segmented_radix_sort_implIS3_Lb0EPKlPlS8_S9_N2at6native12_GLOBAL__N_18offset_tEEE10hipError_tPvRmT1_PNSt15iterator_traitsISH_E10value_typeET2_T3_PNSI_ISN_E10value_typeET4_jRbjT5_ST_jjP12ihipStream_tbEUlT_E0_NS1_11comp_targetILNS1_3genE8ELNS1_11target_archE1030ELNS1_3gpuE2ELNS1_3repE0EEENS1_60segmented_radix_sort_warp_sort_medium_config_static_selectorELNS0_4arch9wavefront6targetE0EEEvSH_,"axG",@progbits,_ZN7rocprim17ROCPRIM_400000_NS6detail17trampoline_kernelINS0_14default_configENS1_36segmented_radix_sort_config_selectorIllEEZNS1_25segmented_radix_sort_implIS3_Lb0EPKlPlS8_S9_N2at6native12_GLOBAL__N_18offset_tEEE10hipError_tPvRmT1_PNSt15iterator_traitsISH_E10value_typeET2_T3_PNSI_ISN_E10value_typeET4_jRbjT5_ST_jjP12ihipStream_tbEUlT_E0_NS1_11comp_targetILNS1_3genE8ELNS1_11target_archE1030ELNS1_3gpuE2ELNS1_3repE0EEENS1_60segmented_radix_sort_warp_sort_medium_config_static_selectorELNS0_4arch9wavefront6targetE0EEEvSH_,comdat
	.globl	_ZN7rocprim17ROCPRIM_400000_NS6detail17trampoline_kernelINS0_14default_configENS1_36segmented_radix_sort_config_selectorIllEEZNS1_25segmented_radix_sort_implIS3_Lb0EPKlPlS8_S9_N2at6native12_GLOBAL__N_18offset_tEEE10hipError_tPvRmT1_PNSt15iterator_traitsISH_E10value_typeET2_T3_PNSI_ISN_E10value_typeET4_jRbjT5_ST_jjP12ihipStream_tbEUlT_E0_NS1_11comp_targetILNS1_3genE8ELNS1_11target_archE1030ELNS1_3gpuE2ELNS1_3repE0EEENS1_60segmented_radix_sort_warp_sort_medium_config_static_selectorELNS0_4arch9wavefront6targetE0EEEvSH_ ; -- Begin function _ZN7rocprim17ROCPRIM_400000_NS6detail17trampoline_kernelINS0_14default_configENS1_36segmented_radix_sort_config_selectorIllEEZNS1_25segmented_radix_sort_implIS3_Lb0EPKlPlS8_S9_N2at6native12_GLOBAL__N_18offset_tEEE10hipError_tPvRmT1_PNSt15iterator_traitsISH_E10value_typeET2_T3_PNSI_ISN_E10value_typeET4_jRbjT5_ST_jjP12ihipStream_tbEUlT_E0_NS1_11comp_targetILNS1_3genE8ELNS1_11target_archE1030ELNS1_3gpuE2ELNS1_3repE0EEENS1_60segmented_radix_sort_warp_sort_medium_config_static_selectorELNS0_4arch9wavefront6targetE0EEEvSH_
	.p2align	8
	.type	_ZN7rocprim17ROCPRIM_400000_NS6detail17trampoline_kernelINS0_14default_configENS1_36segmented_radix_sort_config_selectorIllEEZNS1_25segmented_radix_sort_implIS3_Lb0EPKlPlS8_S9_N2at6native12_GLOBAL__N_18offset_tEEE10hipError_tPvRmT1_PNSt15iterator_traitsISH_E10value_typeET2_T3_PNSI_ISN_E10value_typeET4_jRbjT5_ST_jjP12ihipStream_tbEUlT_E0_NS1_11comp_targetILNS1_3genE8ELNS1_11target_archE1030ELNS1_3gpuE2ELNS1_3repE0EEENS1_60segmented_radix_sort_warp_sort_medium_config_static_selectorELNS0_4arch9wavefront6targetE0EEEvSH_,@function
_ZN7rocprim17ROCPRIM_400000_NS6detail17trampoline_kernelINS0_14default_configENS1_36segmented_radix_sort_config_selectorIllEEZNS1_25segmented_radix_sort_implIS3_Lb0EPKlPlS8_S9_N2at6native12_GLOBAL__N_18offset_tEEE10hipError_tPvRmT1_PNSt15iterator_traitsISH_E10value_typeET2_T3_PNSI_ISN_E10value_typeET4_jRbjT5_ST_jjP12ihipStream_tbEUlT_E0_NS1_11comp_targetILNS1_3genE8ELNS1_11target_archE1030ELNS1_3gpuE2ELNS1_3repE0EEENS1_60segmented_radix_sort_warp_sort_medium_config_static_selectorELNS0_4arch9wavefront6targetE0EEEvSH_: ; @_ZN7rocprim17ROCPRIM_400000_NS6detail17trampoline_kernelINS0_14default_configENS1_36segmented_radix_sort_config_selectorIllEEZNS1_25segmented_radix_sort_implIS3_Lb0EPKlPlS8_S9_N2at6native12_GLOBAL__N_18offset_tEEE10hipError_tPvRmT1_PNSt15iterator_traitsISH_E10value_typeET2_T3_PNSI_ISN_E10value_typeET4_jRbjT5_ST_jjP12ihipStream_tbEUlT_E0_NS1_11comp_targetILNS1_3genE8ELNS1_11target_archE1030ELNS1_3gpuE2ELNS1_3repE0EEENS1_60segmented_radix_sort_warp_sort_medium_config_static_selectorELNS0_4arch9wavefront6targetE0EEEvSH_
; %bb.0:
	.section	.rodata,"a",@progbits
	.p2align	6, 0x0
	.amdhsa_kernel _ZN7rocprim17ROCPRIM_400000_NS6detail17trampoline_kernelINS0_14default_configENS1_36segmented_radix_sort_config_selectorIllEEZNS1_25segmented_radix_sort_implIS3_Lb0EPKlPlS8_S9_N2at6native12_GLOBAL__N_18offset_tEEE10hipError_tPvRmT1_PNSt15iterator_traitsISH_E10value_typeET2_T3_PNSI_ISN_E10value_typeET4_jRbjT5_ST_jjP12ihipStream_tbEUlT_E0_NS1_11comp_targetILNS1_3genE8ELNS1_11target_archE1030ELNS1_3gpuE2ELNS1_3repE0EEENS1_60segmented_radix_sort_warp_sort_medium_config_static_selectorELNS0_4arch9wavefront6targetE0EEEvSH_
		.amdhsa_group_segment_fixed_size 0
		.amdhsa_private_segment_fixed_size 0
		.amdhsa_kernarg_size 88
		.amdhsa_user_sgpr_count 15
		.amdhsa_user_sgpr_dispatch_ptr 0
		.amdhsa_user_sgpr_queue_ptr 0
		.amdhsa_user_sgpr_kernarg_segment_ptr 1
		.amdhsa_user_sgpr_dispatch_id 0
		.amdhsa_user_sgpr_private_segment_size 0
		.amdhsa_wavefront_size32 1
		.amdhsa_uses_dynamic_stack 0
		.amdhsa_enable_private_segment 0
		.amdhsa_system_sgpr_workgroup_id_x 1
		.amdhsa_system_sgpr_workgroup_id_y 0
		.amdhsa_system_sgpr_workgroup_id_z 0
		.amdhsa_system_sgpr_workgroup_info 0
		.amdhsa_system_vgpr_workitem_id 0
		.amdhsa_next_free_vgpr 1
		.amdhsa_next_free_sgpr 1
		.amdhsa_reserve_vcc 0
		.amdhsa_float_round_mode_32 0
		.amdhsa_float_round_mode_16_64 0
		.amdhsa_float_denorm_mode_32 3
		.amdhsa_float_denorm_mode_16_64 3
		.amdhsa_dx10_clamp 1
		.amdhsa_ieee_mode 1
		.amdhsa_fp16_overflow 0
		.amdhsa_workgroup_processor_mode 1
		.amdhsa_memory_ordered 1
		.amdhsa_forward_progress 0
		.amdhsa_shared_vgpr_count 0
		.amdhsa_exception_fp_ieee_invalid_op 0
		.amdhsa_exception_fp_denorm_src 0
		.amdhsa_exception_fp_ieee_div_zero 0
		.amdhsa_exception_fp_ieee_overflow 0
		.amdhsa_exception_fp_ieee_underflow 0
		.amdhsa_exception_fp_ieee_inexact 0
		.amdhsa_exception_int_div_zero 0
	.end_amdhsa_kernel
	.section	.text._ZN7rocprim17ROCPRIM_400000_NS6detail17trampoline_kernelINS0_14default_configENS1_36segmented_radix_sort_config_selectorIllEEZNS1_25segmented_radix_sort_implIS3_Lb0EPKlPlS8_S9_N2at6native12_GLOBAL__N_18offset_tEEE10hipError_tPvRmT1_PNSt15iterator_traitsISH_E10value_typeET2_T3_PNSI_ISN_E10value_typeET4_jRbjT5_ST_jjP12ihipStream_tbEUlT_E0_NS1_11comp_targetILNS1_3genE8ELNS1_11target_archE1030ELNS1_3gpuE2ELNS1_3repE0EEENS1_60segmented_radix_sort_warp_sort_medium_config_static_selectorELNS0_4arch9wavefront6targetE0EEEvSH_,"axG",@progbits,_ZN7rocprim17ROCPRIM_400000_NS6detail17trampoline_kernelINS0_14default_configENS1_36segmented_radix_sort_config_selectorIllEEZNS1_25segmented_radix_sort_implIS3_Lb0EPKlPlS8_S9_N2at6native12_GLOBAL__N_18offset_tEEE10hipError_tPvRmT1_PNSt15iterator_traitsISH_E10value_typeET2_T3_PNSI_ISN_E10value_typeET4_jRbjT5_ST_jjP12ihipStream_tbEUlT_E0_NS1_11comp_targetILNS1_3genE8ELNS1_11target_archE1030ELNS1_3gpuE2ELNS1_3repE0EEENS1_60segmented_radix_sort_warp_sort_medium_config_static_selectorELNS0_4arch9wavefront6targetE0EEEvSH_,comdat
.Lfunc_end826:
	.size	_ZN7rocprim17ROCPRIM_400000_NS6detail17trampoline_kernelINS0_14default_configENS1_36segmented_radix_sort_config_selectorIllEEZNS1_25segmented_radix_sort_implIS3_Lb0EPKlPlS8_S9_N2at6native12_GLOBAL__N_18offset_tEEE10hipError_tPvRmT1_PNSt15iterator_traitsISH_E10value_typeET2_T3_PNSI_ISN_E10value_typeET4_jRbjT5_ST_jjP12ihipStream_tbEUlT_E0_NS1_11comp_targetILNS1_3genE8ELNS1_11target_archE1030ELNS1_3gpuE2ELNS1_3repE0EEENS1_60segmented_radix_sort_warp_sort_medium_config_static_selectorELNS0_4arch9wavefront6targetE0EEEvSH_, .Lfunc_end826-_ZN7rocprim17ROCPRIM_400000_NS6detail17trampoline_kernelINS0_14default_configENS1_36segmented_radix_sort_config_selectorIllEEZNS1_25segmented_radix_sort_implIS3_Lb0EPKlPlS8_S9_N2at6native12_GLOBAL__N_18offset_tEEE10hipError_tPvRmT1_PNSt15iterator_traitsISH_E10value_typeET2_T3_PNSI_ISN_E10value_typeET4_jRbjT5_ST_jjP12ihipStream_tbEUlT_E0_NS1_11comp_targetILNS1_3genE8ELNS1_11target_archE1030ELNS1_3gpuE2ELNS1_3repE0EEENS1_60segmented_radix_sort_warp_sort_medium_config_static_selectorELNS0_4arch9wavefront6targetE0EEEvSH_
                                        ; -- End function
	.section	.AMDGPU.csdata,"",@progbits
; Kernel info:
; codeLenInByte = 0
; NumSgprs: 0
; NumVgprs: 0
; ScratchSize: 0
; MemoryBound: 0
; FloatMode: 240
; IeeeMode: 1
; LDSByteSize: 0 bytes/workgroup (compile time only)
; SGPRBlocks: 0
; VGPRBlocks: 0
; NumSGPRsForWavesPerEU: 1
; NumVGPRsForWavesPerEU: 1
; Occupancy: 16
; WaveLimiterHint : 0
; COMPUTE_PGM_RSRC2:SCRATCH_EN: 0
; COMPUTE_PGM_RSRC2:USER_SGPR: 15
; COMPUTE_PGM_RSRC2:TRAP_HANDLER: 0
; COMPUTE_PGM_RSRC2:TGID_X_EN: 1
; COMPUTE_PGM_RSRC2:TGID_Y_EN: 0
; COMPUTE_PGM_RSRC2:TGID_Z_EN: 0
; COMPUTE_PGM_RSRC2:TIDIG_COMP_CNT: 0
	.section	.text._ZN7rocprim17ROCPRIM_400000_NS6detail17trampoline_kernelINS0_14default_configENS1_36segmented_radix_sort_config_selectorIllEEZNS1_25segmented_radix_sort_implIS3_Lb0EPKlPlS8_S9_N2at6native12_GLOBAL__N_18offset_tEEE10hipError_tPvRmT1_PNSt15iterator_traitsISH_E10value_typeET2_T3_PNSI_ISN_E10value_typeET4_jRbjT5_ST_jjP12ihipStream_tbEUlT_E1_NS1_11comp_targetILNS1_3genE0ELNS1_11target_archE4294967295ELNS1_3gpuE0ELNS1_3repE0EEENS1_59segmented_radix_sort_warp_sort_small_config_static_selectorELNS0_4arch9wavefront6targetE0EEEvSH_,"axG",@progbits,_ZN7rocprim17ROCPRIM_400000_NS6detail17trampoline_kernelINS0_14default_configENS1_36segmented_radix_sort_config_selectorIllEEZNS1_25segmented_radix_sort_implIS3_Lb0EPKlPlS8_S9_N2at6native12_GLOBAL__N_18offset_tEEE10hipError_tPvRmT1_PNSt15iterator_traitsISH_E10value_typeET2_T3_PNSI_ISN_E10value_typeET4_jRbjT5_ST_jjP12ihipStream_tbEUlT_E1_NS1_11comp_targetILNS1_3genE0ELNS1_11target_archE4294967295ELNS1_3gpuE0ELNS1_3repE0EEENS1_59segmented_radix_sort_warp_sort_small_config_static_selectorELNS0_4arch9wavefront6targetE0EEEvSH_,comdat
	.globl	_ZN7rocprim17ROCPRIM_400000_NS6detail17trampoline_kernelINS0_14default_configENS1_36segmented_radix_sort_config_selectorIllEEZNS1_25segmented_radix_sort_implIS3_Lb0EPKlPlS8_S9_N2at6native12_GLOBAL__N_18offset_tEEE10hipError_tPvRmT1_PNSt15iterator_traitsISH_E10value_typeET2_T3_PNSI_ISN_E10value_typeET4_jRbjT5_ST_jjP12ihipStream_tbEUlT_E1_NS1_11comp_targetILNS1_3genE0ELNS1_11target_archE4294967295ELNS1_3gpuE0ELNS1_3repE0EEENS1_59segmented_radix_sort_warp_sort_small_config_static_selectorELNS0_4arch9wavefront6targetE0EEEvSH_ ; -- Begin function _ZN7rocprim17ROCPRIM_400000_NS6detail17trampoline_kernelINS0_14default_configENS1_36segmented_radix_sort_config_selectorIllEEZNS1_25segmented_radix_sort_implIS3_Lb0EPKlPlS8_S9_N2at6native12_GLOBAL__N_18offset_tEEE10hipError_tPvRmT1_PNSt15iterator_traitsISH_E10value_typeET2_T3_PNSI_ISN_E10value_typeET4_jRbjT5_ST_jjP12ihipStream_tbEUlT_E1_NS1_11comp_targetILNS1_3genE0ELNS1_11target_archE4294967295ELNS1_3gpuE0ELNS1_3repE0EEENS1_59segmented_radix_sort_warp_sort_small_config_static_selectorELNS0_4arch9wavefront6targetE0EEEvSH_
	.p2align	8
	.type	_ZN7rocprim17ROCPRIM_400000_NS6detail17trampoline_kernelINS0_14default_configENS1_36segmented_radix_sort_config_selectorIllEEZNS1_25segmented_radix_sort_implIS3_Lb0EPKlPlS8_S9_N2at6native12_GLOBAL__N_18offset_tEEE10hipError_tPvRmT1_PNSt15iterator_traitsISH_E10value_typeET2_T3_PNSI_ISN_E10value_typeET4_jRbjT5_ST_jjP12ihipStream_tbEUlT_E1_NS1_11comp_targetILNS1_3genE0ELNS1_11target_archE4294967295ELNS1_3gpuE0ELNS1_3repE0EEENS1_59segmented_radix_sort_warp_sort_small_config_static_selectorELNS0_4arch9wavefront6targetE0EEEvSH_,@function
_ZN7rocprim17ROCPRIM_400000_NS6detail17trampoline_kernelINS0_14default_configENS1_36segmented_radix_sort_config_selectorIllEEZNS1_25segmented_radix_sort_implIS3_Lb0EPKlPlS8_S9_N2at6native12_GLOBAL__N_18offset_tEEE10hipError_tPvRmT1_PNSt15iterator_traitsISH_E10value_typeET2_T3_PNSI_ISN_E10value_typeET4_jRbjT5_ST_jjP12ihipStream_tbEUlT_E1_NS1_11comp_targetILNS1_3genE0ELNS1_11target_archE4294967295ELNS1_3gpuE0ELNS1_3repE0EEENS1_59segmented_radix_sort_warp_sort_small_config_static_selectorELNS0_4arch9wavefront6targetE0EEEvSH_: ; @_ZN7rocprim17ROCPRIM_400000_NS6detail17trampoline_kernelINS0_14default_configENS1_36segmented_radix_sort_config_selectorIllEEZNS1_25segmented_radix_sort_implIS3_Lb0EPKlPlS8_S9_N2at6native12_GLOBAL__N_18offset_tEEE10hipError_tPvRmT1_PNSt15iterator_traitsISH_E10value_typeET2_T3_PNSI_ISN_E10value_typeET4_jRbjT5_ST_jjP12ihipStream_tbEUlT_E1_NS1_11comp_targetILNS1_3genE0ELNS1_11target_archE4294967295ELNS1_3gpuE0ELNS1_3repE0EEENS1_59segmented_radix_sort_warp_sort_small_config_static_selectorELNS0_4arch9wavefront6targetE0EEEvSH_
; %bb.0:
	.section	.rodata,"a",@progbits
	.p2align	6, 0x0
	.amdhsa_kernel _ZN7rocprim17ROCPRIM_400000_NS6detail17trampoline_kernelINS0_14default_configENS1_36segmented_radix_sort_config_selectorIllEEZNS1_25segmented_radix_sort_implIS3_Lb0EPKlPlS8_S9_N2at6native12_GLOBAL__N_18offset_tEEE10hipError_tPvRmT1_PNSt15iterator_traitsISH_E10value_typeET2_T3_PNSI_ISN_E10value_typeET4_jRbjT5_ST_jjP12ihipStream_tbEUlT_E1_NS1_11comp_targetILNS1_3genE0ELNS1_11target_archE4294967295ELNS1_3gpuE0ELNS1_3repE0EEENS1_59segmented_radix_sort_warp_sort_small_config_static_selectorELNS0_4arch9wavefront6targetE0EEEvSH_
		.amdhsa_group_segment_fixed_size 0
		.amdhsa_private_segment_fixed_size 0
		.amdhsa_kernarg_size 88
		.amdhsa_user_sgpr_count 15
		.amdhsa_user_sgpr_dispatch_ptr 0
		.amdhsa_user_sgpr_queue_ptr 0
		.amdhsa_user_sgpr_kernarg_segment_ptr 1
		.amdhsa_user_sgpr_dispatch_id 0
		.amdhsa_user_sgpr_private_segment_size 0
		.amdhsa_wavefront_size32 1
		.amdhsa_uses_dynamic_stack 0
		.amdhsa_enable_private_segment 0
		.amdhsa_system_sgpr_workgroup_id_x 1
		.amdhsa_system_sgpr_workgroup_id_y 0
		.amdhsa_system_sgpr_workgroup_id_z 0
		.amdhsa_system_sgpr_workgroup_info 0
		.amdhsa_system_vgpr_workitem_id 0
		.amdhsa_next_free_vgpr 1
		.amdhsa_next_free_sgpr 1
		.amdhsa_reserve_vcc 0
		.amdhsa_float_round_mode_32 0
		.amdhsa_float_round_mode_16_64 0
		.amdhsa_float_denorm_mode_32 3
		.amdhsa_float_denorm_mode_16_64 3
		.amdhsa_dx10_clamp 1
		.amdhsa_ieee_mode 1
		.amdhsa_fp16_overflow 0
		.amdhsa_workgroup_processor_mode 1
		.amdhsa_memory_ordered 1
		.amdhsa_forward_progress 0
		.amdhsa_shared_vgpr_count 0
		.amdhsa_exception_fp_ieee_invalid_op 0
		.amdhsa_exception_fp_denorm_src 0
		.amdhsa_exception_fp_ieee_div_zero 0
		.amdhsa_exception_fp_ieee_overflow 0
		.amdhsa_exception_fp_ieee_underflow 0
		.amdhsa_exception_fp_ieee_inexact 0
		.amdhsa_exception_int_div_zero 0
	.end_amdhsa_kernel
	.section	.text._ZN7rocprim17ROCPRIM_400000_NS6detail17trampoline_kernelINS0_14default_configENS1_36segmented_radix_sort_config_selectorIllEEZNS1_25segmented_radix_sort_implIS3_Lb0EPKlPlS8_S9_N2at6native12_GLOBAL__N_18offset_tEEE10hipError_tPvRmT1_PNSt15iterator_traitsISH_E10value_typeET2_T3_PNSI_ISN_E10value_typeET4_jRbjT5_ST_jjP12ihipStream_tbEUlT_E1_NS1_11comp_targetILNS1_3genE0ELNS1_11target_archE4294967295ELNS1_3gpuE0ELNS1_3repE0EEENS1_59segmented_radix_sort_warp_sort_small_config_static_selectorELNS0_4arch9wavefront6targetE0EEEvSH_,"axG",@progbits,_ZN7rocprim17ROCPRIM_400000_NS6detail17trampoline_kernelINS0_14default_configENS1_36segmented_radix_sort_config_selectorIllEEZNS1_25segmented_radix_sort_implIS3_Lb0EPKlPlS8_S9_N2at6native12_GLOBAL__N_18offset_tEEE10hipError_tPvRmT1_PNSt15iterator_traitsISH_E10value_typeET2_T3_PNSI_ISN_E10value_typeET4_jRbjT5_ST_jjP12ihipStream_tbEUlT_E1_NS1_11comp_targetILNS1_3genE0ELNS1_11target_archE4294967295ELNS1_3gpuE0ELNS1_3repE0EEENS1_59segmented_radix_sort_warp_sort_small_config_static_selectorELNS0_4arch9wavefront6targetE0EEEvSH_,comdat
.Lfunc_end827:
	.size	_ZN7rocprim17ROCPRIM_400000_NS6detail17trampoline_kernelINS0_14default_configENS1_36segmented_radix_sort_config_selectorIllEEZNS1_25segmented_radix_sort_implIS3_Lb0EPKlPlS8_S9_N2at6native12_GLOBAL__N_18offset_tEEE10hipError_tPvRmT1_PNSt15iterator_traitsISH_E10value_typeET2_T3_PNSI_ISN_E10value_typeET4_jRbjT5_ST_jjP12ihipStream_tbEUlT_E1_NS1_11comp_targetILNS1_3genE0ELNS1_11target_archE4294967295ELNS1_3gpuE0ELNS1_3repE0EEENS1_59segmented_radix_sort_warp_sort_small_config_static_selectorELNS0_4arch9wavefront6targetE0EEEvSH_, .Lfunc_end827-_ZN7rocprim17ROCPRIM_400000_NS6detail17trampoline_kernelINS0_14default_configENS1_36segmented_radix_sort_config_selectorIllEEZNS1_25segmented_radix_sort_implIS3_Lb0EPKlPlS8_S9_N2at6native12_GLOBAL__N_18offset_tEEE10hipError_tPvRmT1_PNSt15iterator_traitsISH_E10value_typeET2_T3_PNSI_ISN_E10value_typeET4_jRbjT5_ST_jjP12ihipStream_tbEUlT_E1_NS1_11comp_targetILNS1_3genE0ELNS1_11target_archE4294967295ELNS1_3gpuE0ELNS1_3repE0EEENS1_59segmented_radix_sort_warp_sort_small_config_static_selectorELNS0_4arch9wavefront6targetE0EEEvSH_
                                        ; -- End function
	.section	.AMDGPU.csdata,"",@progbits
; Kernel info:
; codeLenInByte = 0
; NumSgprs: 0
; NumVgprs: 0
; ScratchSize: 0
; MemoryBound: 0
; FloatMode: 240
; IeeeMode: 1
; LDSByteSize: 0 bytes/workgroup (compile time only)
; SGPRBlocks: 0
; VGPRBlocks: 0
; NumSGPRsForWavesPerEU: 1
; NumVGPRsForWavesPerEU: 1
; Occupancy: 16
; WaveLimiterHint : 0
; COMPUTE_PGM_RSRC2:SCRATCH_EN: 0
; COMPUTE_PGM_RSRC2:USER_SGPR: 15
; COMPUTE_PGM_RSRC2:TRAP_HANDLER: 0
; COMPUTE_PGM_RSRC2:TGID_X_EN: 1
; COMPUTE_PGM_RSRC2:TGID_Y_EN: 0
; COMPUTE_PGM_RSRC2:TGID_Z_EN: 0
; COMPUTE_PGM_RSRC2:TIDIG_COMP_CNT: 0
	.section	.text._ZN7rocprim17ROCPRIM_400000_NS6detail17trampoline_kernelINS0_14default_configENS1_36segmented_radix_sort_config_selectorIllEEZNS1_25segmented_radix_sort_implIS3_Lb0EPKlPlS8_S9_N2at6native12_GLOBAL__N_18offset_tEEE10hipError_tPvRmT1_PNSt15iterator_traitsISH_E10value_typeET2_T3_PNSI_ISN_E10value_typeET4_jRbjT5_ST_jjP12ihipStream_tbEUlT_E1_NS1_11comp_targetILNS1_3genE5ELNS1_11target_archE942ELNS1_3gpuE9ELNS1_3repE0EEENS1_59segmented_radix_sort_warp_sort_small_config_static_selectorELNS0_4arch9wavefront6targetE0EEEvSH_,"axG",@progbits,_ZN7rocprim17ROCPRIM_400000_NS6detail17trampoline_kernelINS0_14default_configENS1_36segmented_radix_sort_config_selectorIllEEZNS1_25segmented_radix_sort_implIS3_Lb0EPKlPlS8_S9_N2at6native12_GLOBAL__N_18offset_tEEE10hipError_tPvRmT1_PNSt15iterator_traitsISH_E10value_typeET2_T3_PNSI_ISN_E10value_typeET4_jRbjT5_ST_jjP12ihipStream_tbEUlT_E1_NS1_11comp_targetILNS1_3genE5ELNS1_11target_archE942ELNS1_3gpuE9ELNS1_3repE0EEENS1_59segmented_radix_sort_warp_sort_small_config_static_selectorELNS0_4arch9wavefront6targetE0EEEvSH_,comdat
	.globl	_ZN7rocprim17ROCPRIM_400000_NS6detail17trampoline_kernelINS0_14default_configENS1_36segmented_radix_sort_config_selectorIllEEZNS1_25segmented_radix_sort_implIS3_Lb0EPKlPlS8_S9_N2at6native12_GLOBAL__N_18offset_tEEE10hipError_tPvRmT1_PNSt15iterator_traitsISH_E10value_typeET2_T3_PNSI_ISN_E10value_typeET4_jRbjT5_ST_jjP12ihipStream_tbEUlT_E1_NS1_11comp_targetILNS1_3genE5ELNS1_11target_archE942ELNS1_3gpuE9ELNS1_3repE0EEENS1_59segmented_radix_sort_warp_sort_small_config_static_selectorELNS0_4arch9wavefront6targetE0EEEvSH_ ; -- Begin function _ZN7rocprim17ROCPRIM_400000_NS6detail17trampoline_kernelINS0_14default_configENS1_36segmented_radix_sort_config_selectorIllEEZNS1_25segmented_radix_sort_implIS3_Lb0EPKlPlS8_S9_N2at6native12_GLOBAL__N_18offset_tEEE10hipError_tPvRmT1_PNSt15iterator_traitsISH_E10value_typeET2_T3_PNSI_ISN_E10value_typeET4_jRbjT5_ST_jjP12ihipStream_tbEUlT_E1_NS1_11comp_targetILNS1_3genE5ELNS1_11target_archE942ELNS1_3gpuE9ELNS1_3repE0EEENS1_59segmented_radix_sort_warp_sort_small_config_static_selectorELNS0_4arch9wavefront6targetE0EEEvSH_
	.p2align	8
	.type	_ZN7rocprim17ROCPRIM_400000_NS6detail17trampoline_kernelINS0_14default_configENS1_36segmented_radix_sort_config_selectorIllEEZNS1_25segmented_radix_sort_implIS3_Lb0EPKlPlS8_S9_N2at6native12_GLOBAL__N_18offset_tEEE10hipError_tPvRmT1_PNSt15iterator_traitsISH_E10value_typeET2_T3_PNSI_ISN_E10value_typeET4_jRbjT5_ST_jjP12ihipStream_tbEUlT_E1_NS1_11comp_targetILNS1_3genE5ELNS1_11target_archE942ELNS1_3gpuE9ELNS1_3repE0EEENS1_59segmented_radix_sort_warp_sort_small_config_static_selectorELNS0_4arch9wavefront6targetE0EEEvSH_,@function
_ZN7rocprim17ROCPRIM_400000_NS6detail17trampoline_kernelINS0_14default_configENS1_36segmented_radix_sort_config_selectorIllEEZNS1_25segmented_radix_sort_implIS3_Lb0EPKlPlS8_S9_N2at6native12_GLOBAL__N_18offset_tEEE10hipError_tPvRmT1_PNSt15iterator_traitsISH_E10value_typeET2_T3_PNSI_ISN_E10value_typeET4_jRbjT5_ST_jjP12ihipStream_tbEUlT_E1_NS1_11comp_targetILNS1_3genE5ELNS1_11target_archE942ELNS1_3gpuE9ELNS1_3repE0EEENS1_59segmented_radix_sort_warp_sort_small_config_static_selectorELNS0_4arch9wavefront6targetE0EEEvSH_: ; @_ZN7rocprim17ROCPRIM_400000_NS6detail17trampoline_kernelINS0_14default_configENS1_36segmented_radix_sort_config_selectorIllEEZNS1_25segmented_radix_sort_implIS3_Lb0EPKlPlS8_S9_N2at6native12_GLOBAL__N_18offset_tEEE10hipError_tPvRmT1_PNSt15iterator_traitsISH_E10value_typeET2_T3_PNSI_ISN_E10value_typeET4_jRbjT5_ST_jjP12ihipStream_tbEUlT_E1_NS1_11comp_targetILNS1_3genE5ELNS1_11target_archE942ELNS1_3gpuE9ELNS1_3repE0EEENS1_59segmented_radix_sort_warp_sort_small_config_static_selectorELNS0_4arch9wavefront6targetE0EEEvSH_
; %bb.0:
	.section	.rodata,"a",@progbits
	.p2align	6, 0x0
	.amdhsa_kernel _ZN7rocprim17ROCPRIM_400000_NS6detail17trampoline_kernelINS0_14default_configENS1_36segmented_radix_sort_config_selectorIllEEZNS1_25segmented_radix_sort_implIS3_Lb0EPKlPlS8_S9_N2at6native12_GLOBAL__N_18offset_tEEE10hipError_tPvRmT1_PNSt15iterator_traitsISH_E10value_typeET2_T3_PNSI_ISN_E10value_typeET4_jRbjT5_ST_jjP12ihipStream_tbEUlT_E1_NS1_11comp_targetILNS1_3genE5ELNS1_11target_archE942ELNS1_3gpuE9ELNS1_3repE0EEENS1_59segmented_radix_sort_warp_sort_small_config_static_selectorELNS0_4arch9wavefront6targetE0EEEvSH_
		.amdhsa_group_segment_fixed_size 0
		.amdhsa_private_segment_fixed_size 0
		.amdhsa_kernarg_size 88
		.amdhsa_user_sgpr_count 15
		.amdhsa_user_sgpr_dispatch_ptr 0
		.amdhsa_user_sgpr_queue_ptr 0
		.amdhsa_user_sgpr_kernarg_segment_ptr 1
		.amdhsa_user_sgpr_dispatch_id 0
		.amdhsa_user_sgpr_private_segment_size 0
		.amdhsa_wavefront_size32 1
		.amdhsa_uses_dynamic_stack 0
		.amdhsa_enable_private_segment 0
		.amdhsa_system_sgpr_workgroup_id_x 1
		.amdhsa_system_sgpr_workgroup_id_y 0
		.amdhsa_system_sgpr_workgroup_id_z 0
		.amdhsa_system_sgpr_workgroup_info 0
		.amdhsa_system_vgpr_workitem_id 0
		.amdhsa_next_free_vgpr 1
		.amdhsa_next_free_sgpr 1
		.amdhsa_reserve_vcc 0
		.amdhsa_float_round_mode_32 0
		.amdhsa_float_round_mode_16_64 0
		.amdhsa_float_denorm_mode_32 3
		.amdhsa_float_denorm_mode_16_64 3
		.amdhsa_dx10_clamp 1
		.amdhsa_ieee_mode 1
		.amdhsa_fp16_overflow 0
		.amdhsa_workgroup_processor_mode 1
		.amdhsa_memory_ordered 1
		.amdhsa_forward_progress 0
		.amdhsa_shared_vgpr_count 0
		.amdhsa_exception_fp_ieee_invalid_op 0
		.amdhsa_exception_fp_denorm_src 0
		.amdhsa_exception_fp_ieee_div_zero 0
		.amdhsa_exception_fp_ieee_overflow 0
		.amdhsa_exception_fp_ieee_underflow 0
		.amdhsa_exception_fp_ieee_inexact 0
		.amdhsa_exception_int_div_zero 0
	.end_amdhsa_kernel
	.section	.text._ZN7rocprim17ROCPRIM_400000_NS6detail17trampoline_kernelINS0_14default_configENS1_36segmented_radix_sort_config_selectorIllEEZNS1_25segmented_radix_sort_implIS3_Lb0EPKlPlS8_S9_N2at6native12_GLOBAL__N_18offset_tEEE10hipError_tPvRmT1_PNSt15iterator_traitsISH_E10value_typeET2_T3_PNSI_ISN_E10value_typeET4_jRbjT5_ST_jjP12ihipStream_tbEUlT_E1_NS1_11comp_targetILNS1_3genE5ELNS1_11target_archE942ELNS1_3gpuE9ELNS1_3repE0EEENS1_59segmented_radix_sort_warp_sort_small_config_static_selectorELNS0_4arch9wavefront6targetE0EEEvSH_,"axG",@progbits,_ZN7rocprim17ROCPRIM_400000_NS6detail17trampoline_kernelINS0_14default_configENS1_36segmented_radix_sort_config_selectorIllEEZNS1_25segmented_radix_sort_implIS3_Lb0EPKlPlS8_S9_N2at6native12_GLOBAL__N_18offset_tEEE10hipError_tPvRmT1_PNSt15iterator_traitsISH_E10value_typeET2_T3_PNSI_ISN_E10value_typeET4_jRbjT5_ST_jjP12ihipStream_tbEUlT_E1_NS1_11comp_targetILNS1_3genE5ELNS1_11target_archE942ELNS1_3gpuE9ELNS1_3repE0EEENS1_59segmented_radix_sort_warp_sort_small_config_static_selectorELNS0_4arch9wavefront6targetE0EEEvSH_,comdat
.Lfunc_end828:
	.size	_ZN7rocprim17ROCPRIM_400000_NS6detail17trampoline_kernelINS0_14default_configENS1_36segmented_radix_sort_config_selectorIllEEZNS1_25segmented_radix_sort_implIS3_Lb0EPKlPlS8_S9_N2at6native12_GLOBAL__N_18offset_tEEE10hipError_tPvRmT1_PNSt15iterator_traitsISH_E10value_typeET2_T3_PNSI_ISN_E10value_typeET4_jRbjT5_ST_jjP12ihipStream_tbEUlT_E1_NS1_11comp_targetILNS1_3genE5ELNS1_11target_archE942ELNS1_3gpuE9ELNS1_3repE0EEENS1_59segmented_radix_sort_warp_sort_small_config_static_selectorELNS0_4arch9wavefront6targetE0EEEvSH_, .Lfunc_end828-_ZN7rocprim17ROCPRIM_400000_NS6detail17trampoline_kernelINS0_14default_configENS1_36segmented_radix_sort_config_selectorIllEEZNS1_25segmented_radix_sort_implIS3_Lb0EPKlPlS8_S9_N2at6native12_GLOBAL__N_18offset_tEEE10hipError_tPvRmT1_PNSt15iterator_traitsISH_E10value_typeET2_T3_PNSI_ISN_E10value_typeET4_jRbjT5_ST_jjP12ihipStream_tbEUlT_E1_NS1_11comp_targetILNS1_3genE5ELNS1_11target_archE942ELNS1_3gpuE9ELNS1_3repE0EEENS1_59segmented_radix_sort_warp_sort_small_config_static_selectorELNS0_4arch9wavefront6targetE0EEEvSH_
                                        ; -- End function
	.section	.AMDGPU.csdata,"",@progbits
; Kernel info:
; codeLenInByte = 0
; NumSgprs: 0
; NumVgprs: 0
; ScratchSize: 0
; MemoryBound: 0
; FloatMode: 240
; IeeeMode: 1
; LDSByteSize: 0 bytes/workgroup (compile time only)
; SGPRBlocks: 0
; VGPRBlocks: 0
; NumSGPRsForWavesPerEU: 1
; NumVGPRsForWavesPerEU: 1
; Occupancy: 16
; WaveLimiterHint : 0
; COMPUTE_PGM_RSRC2:SCRATCH_EN: 0
; COMPUTE_PGM_RSRC2:USER_SGPR: 15
; COMPUTE_PGM_RSRC2:TRAP_HANDLER: 0
; COMPUTE_PGM_RSRC2:TGID_X_EN: 1
; COMPUTE_PGM_RSRC2:TGID_Y_EN: 0
; COMPUTE_PGM_RSRC2:TGID_Z_EN: 0
; COMPUTE_PGM_RSRC2:TIDIG_COMP_CNT: 0
	.section	.text._ZN7rocprim17ROCPRIM_400000_NS6detail17trampoline_kernelINS0_14default_configENS1_36segmented_radix_sort_config_selectorIllEEZNS1_25segmented_radix_sort_implIS3_Lb0EPKlPlS8_S9_N2at6native12_GLOBAL__N_18offset_tEEE10hipError_tPvRmT1_PNSt15iterator_traitsISH_E10value_typeET2_T3_PNSI_ISN_E10value_typeET4_jRbjT5_ST_jjP12ihipStream_tbEUlT_E1_NS1_11comp_targetILNS1_3genE4ELNS1_11target_archE910ELNS1_3gpuE8ELNS1_3repE0EEENS1_59segmented_radix_sort_warp_sort_small_config_static_selectorELNS0_4arch9wavefront6targetE0EEEvSH_,"axG",@progbits,_ZN7rocprim17ROCPRIM_400000_NS6detail17trampoline_kernelINS0_14default_configENS1_36segmented_radix_sort_config_selectorIllEEZNS1_25segmented_radix_sort_implIS3_Lb0EPKlPlS8_S9_N2at6native12_GLOBAL__N_18offset_tEEE10hipError_tPvRmT1_PNSt15iterator_traitsISH_E10value_typeET2_T3_PNSI_ISN_E10value_typeET4_jRbjT5_ST_jjP12ihipStream_tbEUlT_E1_NS1_11comp_targetILNS1_3genE4ELNS1_11target_archE910ELNS1_3gpuE8ELNS1_3repE0EEENS1_59segmented_radix_sort_warp_sort_small_config_static_selectorELNS0_4arch9wavefront6targetE0EEEvSH_,comdat
	.globl	_ZN7rocprim17ROCPRIM_400000_NS6detail17trampoline_kernelINS0_14default_configENS1_36segmented_radix_sort_config_selectorIllEEZNS1_25segmented_radix_sort_implIS3_Lb0EPKlPlS8_S9_N2at6native12_GLOBAL__N_18offset_tEEE10hipError_tPvRmT1_PNSt15iterator_traitsISH_E10value_typeET2_T3_PNSI_ISN_E10value_typeET4_jRbjT5_ST_jjP12ihipStream_tbEUlT_E1_NS1_11comp_targetILNS1_3genE4ELNS1_11target_archE910ELNS1_3gpuE8ELNS1_3repE0EEENS1_59segmented_radix_sort_warp_sort_small_config_static_selectorELNS0_4arch9wavefront6targetE0EEEvSH_ ; -- Begin function _ZN7rocprim17ROCPRIM_400000_NS6detail17trampoline_kernelINS0_14default_configENS1_36segmented_radix_sort_config_selectorIllEEZNS1_25segmented_radix_sort_implIS3_Lb0EPKlPlS8_S9_N2at6native12_GLOBAL__N_18offset_tEEE10hipError_tPvRmT1_PNSt15iterator_traitsISH_E10value_typeET2_T3_PNSI_ISN_E10value_typeET4_jRbjT5_ST_jjP12ihipStream_tbEUlT_E1_NS1_11comp_targetILNS1_3genE4ELNS1_11target_archE910ELNS1_3gpuE8ELNS1_3repE0EEENS1_59segmented_radix_sort_warp_sort_small_config_static_selectorELNS0_4arch9wavefront6targetE0EEEvSH_
	.p2align	8
	.type	_ZN7rocprim17ROCPRIM_400000_NS6detail17trampoline_kernelINS0_14default_configENS1_36segmented_radix_sort_config_selectorIllEEZNS1_25segmented_radix_sort_implIS3_Lb0EPKlPlS8_S9_N2at6native12_GLOBAL__N_18offset_tEEE10hipError_tPvRmT1_PNSt15iterator_traitsISH_E10value_typeET2_T3_PNSI_ISN_E10value_typeET4_jRbjT5_ST_jjP12ihipStream_tbEUlT_E1_NS1_11comp_targetILNS1_3genE4ELNS1_11target_archE910ELNS1_3gpuE8ELNS1_3repE0EEENS1_59segmented_radix_sort_warp_sort_small_config_static_selectorELNS0_4arch9wavefront6targetE0EEEvSH_,@function
_ZN7rocprim17ROCPRIM_400000_NS6detail17trampoline_kernelINS0_14default_configENS1_36segmented_radix_sort_config_selectorIllEEZNS1_25segmented_radix_sort_implIS3_Lb0EPKlPlS8_S9_N2at6native12_GLOBAL__N_18offset_tEEE10hipError_tPvRmT1_PNSt15iterator_traitsISH_E10value_typeET2_T3_PNSI_ISN_E10value_typeET4_jRbjT5_ST_jjP12ihipStream_tbEUlT_E1_NS1_11comp_targetILNS1_3genE4ELNS1_11target_archE910ELNS1_3gpuE8ELNS1_3repE0EEENS1_59segmented_radix_sort_warp_sort_small_config_static_selectorELNS0_4arch9wavefront6targetE0EEEvSH_: ; @_ZN7rocprim17ROCPRIM_400000_NS6detail17trampoline_kernelINS0_14default_configENS1_36segmented_radix_sort_config_selectorIllEEZNS1_25segmented_radix_sort_implIS3_Lb0EPKlPlS8_S9_N2at6native12_GLOBAL__N_18offset_tEEE10hipError_tPvRmT1_PNSt15iterator_traitsISH_E10value_typeET2_T3_PNSI_ISN_E10value_typeET4_jRbjT5_ST_jjP12ihipStream_tbEUlT_E1_NS1_11comp_targetILNS1_3genE4ELNS1_11target_archE910ELNS1_3gpuE8ELNS1_3repE0EEENS1_59segmented_radix_sort_warp_sort_small_config_static_selectorELNS0_4arch9wavefront6targetE0EEEvSH_
; %bb.0:
	.section	.rodata,"a",@progbits
	.p2align	6, 0x0
	.amdhsa_kernel _ZN7rocprim17ROCPRIM_400000_NS6detail17trampoline_kernelINS0_14default_configENS1_36segmented_radix_sort_config_selectorIllEEZNS1_25segmented_radix_sort_implIS3_Lb0EPKlPlS8_S9_N2at6native12_GLOBAL__N_18offset_tEEE10hipError_tPvRmT1_PNSt15iterator_traitsISH_E10value_typeET2_T3_PNSI_ISN_E10value_typeET4_jRbjT5_ST_jjP12ihipStream_tbEUlT_E1_NS1_11comp_targetILNS1_3genE4ELNS1_11target_archE910ELNS1_3gpuE8ELNS1_3repE0EEENS1_59segmented_radix_sort_warp_sort_small_config_static_selectorELNS0_4arch9wavefront6targetE0EEEvSH_
		.amdhsa_group_segment_fixed_size 0
		.amdhsa_private_segment_fixed_size 0
		.amdhsa_kernarg_size 88
		.amdhsa_user_sgpr_count 15
		.amdhsa_user_sgpr_dispatch_ptr 0
		.amdhsa_user_sgpr_queue_ptr 0
		.amdhsa_user_sgpr_kernarg_segment_ptr 1
		.amdhsa_user_sgpr_dispatch_id 0
		.amdhsa_user_sgpr_private_segment_size 0
		.amdhsa_wavefront_size32 1
		.amdhsa_uses_dynamic_stack 0
		.amdhsa_enable_private_segment 0
		.amdhsa_system_sgpr_workgroup_id_x 1
		.amdhsa_system_sgpr_workgroup_id_y 0
		.amdhsa_system_sgpr_workgroup_id_z 0
		.amdhsa_system_sgpr_workgroup_info 0
		.amdhsa_system_vgpr_workitem_id 0
		.amdhsa_next_free_vgpr 1
		.amdhsa_next_free_sgpr 1
		.amdhsa_reserve_vcc 0
		.amdhsa_float_round_mode_32 0
		.amdhsa_float_round_mode_16_64 0
		.amdhsa_float_denorm_mode_32 3
		.amdhsa_float_denorm_mode_16_64 3
		.amdhsa_dx10_clamp 1
		.amdhsa_ieee_mode 1
		.amdhsa_fp16_overflow 0
		.amdhsa_workgroup_processor_mode 1
		.amdhsa_memory_ordered 1
		.amdhsa_forward_progress 0
		.amdhsa_shared_vgpr_count 0
		.amdhsa_exception_fp_ieee_invalid_op 0
		.amdhsa_exception_fp_denorm_src 0
		.amdhsa_exception_fp_ieee_div_zero 0
		.amdhsa_exception_fp_ieee_overflow 0
		.amdhsa_exception_fp_ieee_underflow 0
		.amdhsa_exception_fp_ieee_inexact 0
		.amdhsa_exception_int_div_zero 0
	.end_amdhsa_kernel
	.section	.text._ZN7rocprim17ROCPRIM_400000_NS6detail17trampoline_kernelINS0_14default_configENS1_36segmented_radix_sort_config_selectorIllEEZNS1_25segmented_radix_sort_implIS3_Lb0EPKlPlS8_S9_N2at6native12_GLOBAL__N_18offset_tEEE10hipError_tPvRmT1_PNSt15iterator_traitsISH_E10value_typeET2_T3_PNSI_ISN_E10value_typeET4_jRbjT5_ST_jjP12ihipStream_tbEUlT_E1_NS1_11comp_targetILNS1_3genE4ELNS1_11target_archE910ELNS1_3gpuE8ELNS1_3repE0EEENS1_59segmented_radix_sort_warp_sort_small_config_static_selectorELNS0_4arch9wavefront6targetE0EEEvSH_,"axG",@progbits,_ZN7rocprim17ROCPRIM_400000_NS6detail17trampoline_kernelINS0_14default_configENS1_36segmented_radix_sort_config_selectorIllEEZNS1_25segmented_radix_sort_implIS3_Lb0EPKlPlS8_S9_N2at6native12_GLOBAL__N_18offset_tEEE10hipError_tPvRmT1_PNSt15iterator_traitsISH_E10value_typeET2_T3_PNSI_ISN_E10value_typeET4_jRbjT5_ST_jjP12ihipStream_tbEUlT_E1_NS1_11comp_targetILNS1_3genE4ELNS1_11target_archE910ELNS1_3gpuE8ELNS1_3repE0EEENS1_59segmented_radix_sort_warp_sort_small_config_static_selectorELNS0_4arch9wavefront6targetE0EEEvSH_,comdat
.Lfunc_end829:
	.size	_ZN7rocprim17ROCPRIM_400000_NS6detail17trampoline_kernelINS0_14default_configENS1_36segmented_radix_sort_config_selectorIllEEZNS1_25segmented_radix_sort_implIS3_Lb0EPKlPlS8_S9_N2at6native12_GLOBAL__N_18offset_tEEE10hipError_tPvRmT1_PNSt15iterator_traitsISH_E10value_typeET2_T3_PNSI_ISN_E10value_typeET4_jRbjT5_ST_jjP12ihipStream_tbEUlT_E1_NS1_11comp_targetILNS1_3genE4ELNS1_11target_archE910ELNS1_3gpuE8ELNS1_3repE0EEENS1_59segmented_radix_sort_warp_sort_small_config_static_selectorELNS0_4arch9wavefront6targetE0EEEvSH_, .Lfunc_end829-_ZN7rocprim17ROCPRIM_400000_NS6detail17trampoline_kernelINS0_14default_configENS1_36segmented_radix_sort_config_selectorIllEEZNS1_25segmented_radix_sort_implIS3_Lb0EPKlPlS8_S9_N2at6native12_GLOBAL__N_18offset_tEEE10hipError_tPvRmT1_PNSt15iterator_traitsISH_E10value_typeET2_T3_PNSI_ISN_E10value_typeET4_jRbjT5_ST_jjP12ihipStream_tbEUlT_E1_NS1_11comp_targetILNS1_3genE4ELNS1_11target_archE910ELNS1_3gpuE8ELNS1_3repE0EEENS1_59segmented_radix_sort_warp_sort_small_config_static_selectorELNS0_4arch9wavefront6targetE0EEEvSH_
                                        ; -- End function
	.section	.AMDGPU.csdata,"",@progbits
; Kernel info:
; codeLenInByte = 0
; NumSgprs: 0
; NumVgprs: 0
; ScratchSize: 0
; MemoryBound: 0
; FloatMode: 240
; IeeeMode: 1
; LDSByteSize: 0 bytes/workgroup (compile time only)
; SGPRBlocks: 0
; VGPRBlocks: 0
; NumSGPRsForWavesPerEU: 1
; NumVGPRsForWavesPerEU: 1
; Occupancy: 16
; WaveLimiterHint : 0
; COMPUTE_PGM_RSRC2:SCRATCH_EN: 0
; COMPUTE_PGM_RSRC2:USER_SGPR: 15
; COMPUTE_PGM_RSRC2:TRAP_HANDLER: 0
; COMPUTE_PGM_RSRC2:TGID_X_EN: 1
; COMPUTE_PGM_RSRC2:TGID_Y_EN: 0
; COMPUTE_PGM_RSRC2:TGID_Z_EN: 0
; COMPUTE_PGM_RSRC2:TIDIG_COMP_CNT: 0
	.section	.text._ZN7rocprim17ROCPRIM_400000_NS6detail17trampoline_kernelINS0_14default_configENS1_36segmented_radix_sort_config_selectorIllEEZNS1_25segmented_radix_sort_implIS3_Lb0EPKlPlS8_S9_N2at6native12_GLOBAL__N_18offset_tEEE10hipError_tPvRmT1_PNSt15iterator_traitsISH_E10value_typeET2_T3_PNSI_ISN_E10value_typeET4_jRbjT5_ST_jjP12ihipStream_tbEUlT_E1_NS1_11comp_targetILNS1_3genE3ELNS1_11target_archE908ELNS1_3gpuE7ELNS1_3repE0EEENS1_59segmented_radix_sort_warp_sort_small_config_static_selectorELNS0_4arch9wavefront6targetE0EEEvSH_,"axG",@progbits,_ZN7rocprim17ROCPRIM_400000_NS6detail17trampoline_kernelINS0_14default_configENS1_36segmented_radix_sort_config_selectorIllEEZNS1_25segmented_radix_sort_implIS3_Lb0EPKlPlS8_S9_N2at6native12_GLOBAL__N_18offset_tEEE10hipError_tPvRmT1_PNSt15iterator_traitsISH_E10value_typeET2_T3_PNSI_ISN_E10value_typeET4_jRbjT5_ST_jjP12ihipStream_tbEUlT_E1_NS1_11comp_targetILNS1_3genE3ELNS1_11target_archE908ELNS1_3gpuE7ELNS1_3repE0EEENS1_59segmented_radix_sort_warp_sort_small_config_static_selectorELNS0_4arch9wavefront6targetE0EEEvSH_,comdat
	.globl	_ZN7rocprim17ROCPRIM_400000_NS6detail17trampoline_kernelINS0_14default_configENS1_36segmented_radix_sort_config_selectorIllEEZNS1_25segmented_radix_sort_implIS3_Lb0EPKlPlS8_S9_N2at6native12_GLOBAL__N_18offset_tEEE10hipError_tPvRmT1_PNSt15iterator_traitsISH_E10value_typeET2_T3_PNSI_ISN_E10value_typeET4_jRbjT5_ST_jjP12ihipStream_tbEUlT_E1_NS1_11comp_targetILNS1_3genE3ELNS1_11target_archE908ELNS1_3gpuE7ELNS1_3repE0EEENS1_59segmented_radix_sort_warp_sort_small_config_static_selectorELNS0_4arch9wavefront6targetE0EEEvSH_ ; -- Begin function _ZN7rocprim17ROCPRIM_400000_NS6detail17trampoline_kernelINS0_14default_configENS1_36segmented_radix_sort_config_selectorIllEEZNS1_25segmented_radix_sort_implIS3_Lb0EPKlPlS8_S9_N2at6native12_GLOBAL__N_18offset_tEEE10hipError_tPvRmT1_PNSt15iterator_traitsISH_E10value_typeET2_T3_PNSI_ISN_E10value_typeET4_jRbjT5_ST_jjP12ihipStream_tbEUlT_E1_NS1_11comp_targetILNS1_3genE3ELNS1_11target_archE908ELNS1_3gpuE7ELNS1_3repE0EEENS1_59segmented_radix_sort_warp_sort_small_config_static_selectorELNS0_4arch9wavefront6targetE0EEEvSH_
	.p2align	8
	.type	_ZN7rocprim17ROCPRIM_400000_NS6detail17trampoline_kernelINS0_14default_configENS1_36segmented_radix_sort_config_selectorIllEEZNS1_25segmented_radix_sort_implIS3_Lb0EPKlPlS8_S9_N2at6native12_GLOBAL__N_18offset_tEEE10hipError_tPvRmT1_PNSt15iterator_traitsISH_E10value_typeET2_T3_PNSI_ISN_E10value_typeET4_jRbjT5_ST_jjP12ihipStream_tbEUlT_E1_NS1_11comp_targetILNS1_3genE3ELNS1_11target_archE908ELNS1_3gpuE7ELNS1_3repE0EEENS1_59segmented_radix_sort_warp_sort_small_config_static_selectorELNS0_4arch9wavefront6targetE0EEEvSH_,@function
_ZN7rocprim17ROCPRIM_400000_NS6detail17trampoline_kernelINS0_14default_configENS1_36segmented_radix_sort_config_selectorIllEEZNS1_25segmented_radix_sort_implIS3_Lb0EPKlPlS8_S9_N2at6native12_GLOBAL__N_18offset_tEEE10hipError_tPvRmT1_PNSt15iterator_traitsISH_E10value_typeET2_T3_PNSI_ISN_E10value_typeET4_jRbjT5_ST_jjP12ihipStream_tbEUlT_E1_NS1_11comp_targetILNS1_3genE3ELNS1_11target_archE908ELNS1_3gpuE7ELNS1_3repE0EEENS1_59segmented_radix_sort_warp_sort_small_config_static_selectorELNS0_4arch9wavefront6targetE0EEEvSH_: ; @_ZN7rocprim17ROCPRIM_400000_NS6detail17trampoline_kernelINS0_14default_configENS1_36segmented_radix_sort_config_selectorIllEEZNS1_25segmented_radix_sort_implIS3_Lb0EPKlPlS8_S9_N2at6native12_GLOBAL__N_18offset_tEEE10hipError_tPvRmT1_PNSt15iterator_traitsISH_E10value_typeET2_T3_PNSI_ISN_E10value_typeET4_jRbjT5_ST_jjP12ihipStream_tbEUlT_E1_NS1_11comp_targetILNS1_3genE3ELNS1_11target_archE908ELNS1_3gpuE7ELNS1_3repE0EEENS1_59segmented_radix_sort_warp_sort_small_config_static_selectorELNS0_4arch9wavefront6targetE0EEEvSH_
; %bb.0:
	.section	.rodata,"a",@progbits
	.p2align	6, 0x0
	.amdhsa_kernel _ZN7rocprim17ROCPRIM_400000_NS6detail17trampoline_kernelINS0_14default_configENS1_36segmented_radix_sort_config_selectorIllEEZNS1_25segmented_radix_sort_implIS3_Lb0EPKlPlS8_S9_N2at6native12_GLOBAL__N_18offset_tEEE10hipError_tPvRmT1_PNSt15iterator_traitsISH_E10value_typeET2_T3_PNSI_ISN_E10value_typeET4_jRbjT5_ST_jjP12ihipStream_tbEUlT_E1_NS1_11comp_targetILNS1_3genE3ELNS1_11target_archE908ELNS1_3gpuE7ELNS1_3repE0EEENS1_59segmented_radix_sort_warp_sort_small_config_static_selectorELNS0_4arch9wavefront6targetE0EEEvSH_
		.amdhsa_group_segment_fixed_size 0
		.amdhsa_private_segment_fixed_size 0
		.amdhsa_kernarg_size 88
		.amdhsa_user_sgpr_count 15
		.amdhsa_user_sgpr_dispatch_ptr 0
		.amdhsa_user_sgpr_queue_ptr 0
		.amdhsa_user_sgpr_kernarg_segment_ptr 1
		.amdhsa_user_sgpr_dispatch_id 0
		.amdhsa_user_sgpr_private_segment_size 0
		.amdhsa_wavefront_size32 1
		.amdhsa_uses_dynamic_stack 0
		.amdhsa_enable_private_segment 0
		.amdhsa_system_sgpr_workgroup_id_x 1
		.amdhsa_system_sgpr_workgroup_id_y 0
		.amdhsa_system_sgpr_workgroup_id_z 0
		.amdhsa_system_sgpr_workgroup_info 0
		.amdhsa_system_vgpr_workitem_id 0
		.amdhsa_next_free_vgpr 1
		.amdhsa_next_free_sgpr 1
		.amdhsa_reserve_vcc 0
		.amdhsa_float_round_mode_32 0
		.amdhsa_float_round_mode_16_64 0
		.amdhsa_float_denorm_mode_32 3
		.amdhsa_float_denorm_mode_16_64 3
		.amdhsa_dx10_clamp 1
		.amdhsa_ieee_mode 1
		.amdhsa_fp16_overflow 0
		.amdhsa_workgroup_processor_mode 1
		.amdhsa_memory_ordered 1
		.amdhsa_forward_progress 0
		.amdhsa_shared_vgpr_count 0
		.amdhsa_exception_fp_ieee_invalid_op 0
		.amdhsa_exception_fp_denorm_src 0
		.amdhsa_exception_fp_ieee_div_zero 0
		.amdhsa_exception_fp_ieee_overflow 0
		.amdhsa_exception_fp_ieee_underflow 0
		.amdhsa_exception_fp_ieee_inexact 0
		.amdhsa_exception_int_div_zero 0
	.end_amdhsa_kernel
	.section	.text._ZN7rocprim17ROCPRIM_400000_NS6detail17trampoline_kernelINS0_14default_configENS1_36segmented_radix_sort_config_selectorIllEEZNS1_25segmented_radix_sort_implIS3_Lb0EPKlPlS8_S9_N2at6native12_GLOBAL__N_18offset_tEEE10hipError_tPvRmT1_PNSt15iterator_traitsISH_E10value_typeET2_T3_PNSI_ISN_E10value_typeET4_jRbjT5_ST_jjP12ihipStream_tbEUlT_E1_NS1_11comp_targetILNS1_3genE3ELNS1_11target_archE908ELNS1_3gpuE7ELNS1_3repE0EEENS1_59segmented_radix_sort_warp_sort_small_config_static_selectorELNS0_4arch9wavefront6targetE0EEEvSH_,"axG",@progbits,_ZN7rocprim17ROCPRIM_400000_NS6detail17trampoline_kernelINS0_14default_configENS1_36segmented_radix_sort_config_selectorIllEEZNS1_25segmented_radix_sort_implIS3_Lb0EPKlPlS8_S9_N2at6native12_GLOBAL__N_18offset_tEEE10hipError_tPvRmT1_PNSt15iterator_traitsISH_E10value_typeET2_T3_PNSI_ISN_E10value_typeET4_jRbjT5_ST_jjP12ihipStream_tbEUlT_E1_NS1_11comp_targetILNS1_3genE3ELNS1_11target_archE908ELNS1_3gpuE7ELNS1_3repE0EEENS1_59segmented_radix_sort_warp_sort_small_config_static_selectorELNS0_4arch9wavefront6targetE0EEEvSH_,comdat
.Lfunc_end830:
	.size	_ZN7rocprim17ROCPRIM_400000_NS6detail17trampoline_kernelINS0_14default_configENS1_36segmented_radix_sort_config_selectorIllEEZNS1_25segmented_radix_sort_implIS3_Lb0EPKlPlS8_S9_N2at6native12_GLOBAL__N_18offset_tEEE10hipError_tPvRmT1_PNSt15iterator_traitsISH_E10value_typeET2_T3_PNSI_ISN_E10value_typeET4_jRbjT5_ST_jjP12ihipStream_tbEUlT_E1_NS1_11comp_targetILNS1_3genE3ELNS1_11target_archE908ELNS1_3gpuE7ELNS1_3repE0EEENS1_59segmented_radix_sort_warp_sort_small_config_static_selectorELNS0_4arch9wavefront6targetE0EEEvSH_, .Lfunc_end830-_ZN7rocprim17ROCPRIM_400000_NS6detail17trampoline_kernelINS0_14default_configENS1_36segmented_radix_sort_config_selectorIllEEZNS1_25segmented_radix_sort_implIS3_Lb0EPKlPlS8_S9_N2at6native12_GLOBAL__N_18offset_tEEE10hipError_tPvRmT1_PNSt15iterator_traitsISH_E10value_typeET2_T3_PNSI_ISN_E10value_typeET4_jRbjT5_ST_jjP12ihipStream_tbEUlT_E1_NS1_11comp_targetILNS1_3genE3ELNS1_11target_archE908ELNS1_3gpuE7ELNS1_3repE0EEENS1_59segmented_radix_sort_warp_sort_small_config_static_selectorELNS0_4arch9wavefront6targetE0EEEvSH_
                                        ; -- End function
	.section	.AMDGPU.csdata,"",@progbits
; Kernel info:
; codeLenInByte = 0
; NumSgprs: 0
; NumVgprs: 0
; ScratchSize: 0
; MemoryBound: 0
; FloatMode: 240
; IeeeMode: 1
; LDSByteSize: 0 bytes/workgroup (compile time only)
; SGPRBlocks: 0
; VGPRBlocks: 0
; NumSGPRsForWavesPerEU: 1
; NumVGPRsForWavesPerEU: 1
; Occupancy: 16
; WaveLimiterHint : 0
; COMPUTE_PGM_RSRC2:SCRATCH_EN: 0
; COMPUTE_PGM_RSRC2:USER_SGPR: 15
; COMPUTE_PGM_RSRC2:TRAP_HANDLER: 0
; COMPUTE_PGM_RSRC2:TGID_X_EN: 1
; COMPUTE_PGM_RSRC2:TGID_Y_EN: 0
; COMPUTE_PGM_RSRC2:TGID_Z_EN: 0
; COMPUTE_PGM_RSRC2:TIDIG_COMP_CNT: 0
	.section	.text._ZN7rocprim17ROCPRIM_400000_NS6detail17trampoline_kernelINS0_14default_configENS1_36segmented_radix_sort_config_selectorIllEEZNS1_25segmented_radix_sort_implIS3_Lb0EPKlPlS8_S9_N2at6native12_GLOBAL__N_18offset_tEEE10hipError_tPvRmT1_PNSt15iterator_traitsISH_E10value_typeET2_T3_PNSI_ISN_E10value_typeET4_jRbjT5_ST_jjP12ihipStream_tbEUlT_E1_NS1_11comp_targetILNS1_3genE2ELNS1_11target_archE906ELNS1_3gpuE6ELNS1_3repE0EEENS1_59segmented_radix_sort_warp_sort_small_config_static_selectorELNS0_4arch9wavefront6targetE0EEEvSH_,"axG",@progbits,_ZN7rocprim17ROCPRIM_400000_NS6detail17trampoline_kernelINS0_14default_configENS1_36segmented_radix_sort_config_selectorIllEEZNS1_25segmented_radix_sort_implIS3_Lb0EPKlPlS8_S9_N2at6native12_GLOBAL__N_18offset_tEEE10hipError_tPvRmT1_PNSt15iterator_traitsISH_E10value_typeET2_T3_PNSI_ISN_E10value_typeET4_jRbjT5_ST_jjP12ihipStream_tbEUlT_E1_NS1_11comp_targetILNS1_3genE2ELNS1_11target_archE906ELNS1_3gpuE6ELNS1_3repE0EEENS1_59segmented_radix_sort_warp_sort_small_config_static_selectorELNS0_4arch9wavefront6targetE0EEEvSH_,comdat
	.globl	_ZN7rocprim17ROCPRIM_400000_NS6detail17trampoline_kernelINS0_14default_configENS1_36segmented_radix_sort_config_selectorIllEEZNS1_25segmented_radix_sort_implIS3_Lb0EPKlPlS8_S9_N2at6native12_GLOBAL__N_18offset_tEEE10hipError_tPvRmT1_PNSt15iterator_traitsISH_E10value_typeET2_T3_PNSI_ISN_E10value_typeET4_jRbjT5_ST_jjP12ihipStream_tbEUlT_E1_NS1_11comp_targetILNS1_3genE2ELNS1_11target_archE906ELNS1_3gpuE6ELNS1_3repE0EEENS1_59segmented_radix_sort_warp_sort_small_config_static_selectorELNS0_4arch9wavefront6targetE0EEEvSH_ ; -- Begin function _ZN7rocprim17ROCPRIM_400000_NS6detail17trampoline_kernelINS0_14default_configENS1_36segmented_radix_sort_config_selectorIllEEZNS1_25segmented_radix_sort_implIS3_Lb0EPKlPlS8_S9_N2at6native12_GLOBAL__N_18offset_tEEE10hipError_tPvRmT1_PNSt15iterator_traitsISH_E10value_typeET2_T3_PNSI_ISN_E10value_typeET4_jRbjT5_ST_jjP12ihipStream_tbEUlT_E1_NS1_11comp_targetILNS1_3genE2ELNS1_11target_archE906ELNS1_3gpuE6ELNS1_3repE0EEENS1_59segmented_radix_sort_warp_sort_small_config_static_selectorELNS0_4arch9wavefront6targetE0EEEvSH_
	.p2align	8
	.type	_ZN7rocprim17ROCPRIM_400000_NS6detail17trampoline_kernelINS0_14default_configENS1_36segmented_radix_sort_config_selectorIllEEZNS1_25segmented_radix_sort_implIS3_Lb0EPKlPlS8_S9_N2at6native12_GLOBAL__N_18offset_tEEE10hipError_tPvRmT1_PNSt15iterator_traitsISH_E10value_typeET2_T3_PNSI_ISN_E10value_typeET4_jRbjT5_ST_jjP12ihipStream_tbEUlT_E1_NS1_11comp_targetILNS1_3genE2ELNS1_11target_archE906ELNS1_3gpuE6ELNS1_3repE0EEENS1_59segmented_radix_sort_warp_sort_small_config_static_selectorELNS0_4arch9wavefront6targetE0EEEvSH_,@function
_ZN7rocprim17ROCPRIM_400000_NS6detail17trampoline_kernelINS0_14default_configENS1_36segmented_radix_sort_config_selectorIllEEZNS1_25segmented_radix_sort_implIS3_Lb0EPKlPlS8_S9_N2at6native12_GLOBAL__N_18offset_tEEE10hipError_tPvRmT1_PNSt15iterator_traitsISH_E10value_typeET2_T3_PNSI_ISN_E10value_typeET4_jRbjT5_ST_jjP12ihipStream_tbEUlT_E1_NS1_11comp_targetILNS1_3genE2ELNS1_11target_archE906ELNS1_3gpuE6ELNS1_3repE0EEENS1_59segmented_radix_sort_warp_sort_small_config_static_selectorELNS0_4arch9wavefront6targetE0EEEvSH_: ; @_ZN7rocprim17ROCPRIM_400000_NS6detail17trampoline_kernelINS0_14default_configENS1_36segmented_radix_sort_config_selectorIllEEZNS1_25segmented_radix_sort_implIS3_Lb0EPKlPlS8_S9_N2at6native12_GLOBAL__N_18offset_tEEE10hipError_tPvRmT1_PNSt15iterator_traitsISH_E10value_typeET2_T3_PNSI_ISN_E10value_typeET4_jRbjT5_ST_jjP12ihipStream_tbEUlT_E1_NS1_11comp_targetILNS1_3genE2ELNS1_11target_archE906ELNS1_3gpuE6ELNS1_3repE0EEENS1_59segmented_radix_sort_warp_sort_small_config_static_selectorELNS0_4arch9wavefront6targetE0EEEvSH_
; %bb.0:
	.section	.rodata,"a",@progbits
	.p2align	6, 0x0
	.amdhsa_kernel _ZN7rocprim17ROCPRIM_400000_NS6detail17trampoline_kernelINS0_14default_configENS1_36segmented_radix_sort_config_selectorIllEEZNS1_25segmented_radix_sort_implIS3_Lb0EPKlPlS8_S9_N2at6native12_GLOBAL__N_18offset_tEEE10hipError_tPvRmT1_PNSt15iterator_traitsISH_E10value_typeET2_T3_PNSI_ISN_E10value_typeET4_jRbjT5_ST_jjP12ihipStream_tbEUlT_E1_NS1_11comp_targetILNS1_3genE2ELNS1_11target_archE906ELNS1_3gpuE6ELNS1_3repE0EEENS1_59segmented_radix_sort_warp_sort_small_config_static_selectorELNS0_4arch9wavefront6targetE0EEEvSH_
		.amdhsa_group_segment_fixed_size 0
		.amdhsa_private_segment_fixed_size 0
		.amdhsa_kernarg_size 88
		.amdhsa_user_sgpr_count 15
		.amdhsa_user_sgpr_dispatch_ptr 0
		.amdhsa_user_sgpr_queue_ptr 0
		.amdhsa_user_sgpr_kernarg_segment_ptr 1
		.amdhsa_user_sgpr_dispatch_id 0
		.amdhsa_user_sgpr_private_segment_size 0
		.amdhsa_wavefront_size32 1
		.amdhsa_uses_dynamic_stack 0
		.amdhsa_enable_private_segment 0
		.amdhsa_system_sgpr_workgroup_id_x 1
		.amdhsa_system_sgpr_workgroup_id_y 0
		.amdhsa_system_sgpr_workgroup_id_z 0
		.amdhsa_system_sgpr_workgroup_info 0
		.amdhsa_system_vgpr_workitem_id 0
		.amdhsa_next_free_vgpr 1
		.amdhsa_next_free_sgpr 1
		.amdhsa_reserve_vcc 0
		.amdhsa_float_round_mode_32 0
		.amdhsa_float_round_mode_16_64 0
		.amdhsa_float_denorm_mode_32 3
		.amdhsa_float_denorm_mode_16_64 3
		.amdhsa_dx10_clamp 1
		.amdhsa_ieee_mode 1
		.amdhsa_fp16_overflow 0
		.amdhsa_workgroup_processor_mode 1
		.amdhsa_memory_ordered 1
		.amdhsa_forward_progress 0
		.amdhsa_shared_vgpr_count 0
		.amdhsa_exception_fp_ieee_invalid_op 0
		.amdhsa_exception_fp_denorm_src 0
		.amdhsa_exception_fp_ieee_div_zero 0
		.amdhsa_exception_fp_ieee_overflow 0
		.amdhsa_exception_fp_ieee_underflow 0
		.amdhsa_exception_fp_ieee_inexact 0
		.amdhsa_exception_int_div_zero 0
	.end_amdhsa_kernel
	.section	.text._ZN7rocprim17ROCPRIM_400000_NS6detail17trampoline_kernelINS0_14default_configENS1_36segmented_radix_sort_config_selectorIllEEZNS1_25segmented_radix_sort_implIS3_Lb0EPKlPlS8_S9_N2at6native12_GLOBAL__N_18offset_tEEE10hipError_tPvRmT1_PNSt15iterator_traitsISH_E10value_typeET2_T3_PNSI_ISN_E10value_typeET4_jRbjT5_ST_jjP12ihipStream_tbEUlT_E1_NS1_11comp_targetILNS1_3genE2ELNS1_11target_archE906ELNS1_3gpuE6ELNS1_3repE0EEENS1_59segmented_radix_sort_warp_sort_small_config_static_selectorELNS0_4arch9wavefront6targetE0EEEvSH_,"axG",@progbits,_ZN7rocprim17ROCPRIM_400000_NS6detail17trampoline_kernelINS0_14default_configENS1_36segmented_radix_sort_config_selectorIllEEZNS1_25segmented_radix_sort_implIS3_Lb0EPKlPlS8_S9_N2at6native12_GLOBAL__N_18offset_tEEE10hipError_tPvRmT1_PNSt15iterator_traitsISH_E10value_typeET2_T3_PNSI_ISN_E10value_typeET4_jRbjT5_ST_jjP12ihipStream_tbEUlT_E1_NS1_11comp_targetILNS1_3genE2ELNS1_11target_archE906ELNS1_3gpuE6ELNS1_3repE0EEENS1_59segmented_radix_sort_warp_sort_small_config_static_selectorELNS0_4arch9wavefront6targetE0EEEvSH_,comdat
.Lfunc_end831:
	.size	_ZN7rocprim17ROCPRIM_400000_NS6detail17trampoline_kernelINS0_14default_configENS1_36segmented_radix_sort_config_selectorIllEEZNS1_25segmented_radix_sort_implIS3_Lb0EPKlPlS8_S9_N2at6native12_GLOBAL__N_18offset_tEEE10hipError_tPvRmT1_PNSt15iterator_traitsISH_E10value_typeET2_T3_PNSI_ISN_E10value_typeET4_jRbjT5_ST_jjP12ihipStream_tbEUlT_E1_NS1_11comp_targetILNS1_3genE2ELNS1_11target_archE906ELNS1_3gpuE6ELNS1_3repE0EEENS1_59segmented_radix_sort_warp_sort_small_config_static_selectorELNS0_4arch9wavefront6targetE0EEEvSH_, .Lfunc_end831-_ZN7rocprim17ROCPRIM_400000_NS6detail17trampoline_kernelINS0_14default_configENS1_36segmented_radix_sort_config_selectorIllEEZNS1_25segmented_radix_sort_implIS3_Lb0EPKlPlS8_S9_N2at6native12_GLOBAL__N_18offset_tEEE10hipError_tPvRmT1_PNSt15iterator_traitsISH_E10value_typeET2_T3_PNSI_ISN_E10value_typeET4_jRbjT5_ST_jjP12ihipStream_tbEUlT_E1_NS1_11comp_targetILNS1_3genE2ELNS1_11target_archE906ELNS1_3gpuE6ELNS1_3repE0EEENS1_59segmented_radix_sort_warp_sort_small_config_static_selectorELNS0_4arch9wavefront6targetE0EEEvSH_
                                        ; -- End function
	.section	.AMDGPU.csdata,"",@progbits
; Kernel info:
; codeLenInByte = 0
; NumSgprs: 0
; NumVgprs: 0
; ScratchSize: 0
; MemoryBound: 0
; FloatMode: 240
; IeeeMode: 1
; LDSByteSize: 0 bytes/workgroup (compile time only)
; SGPRBlocks: 0
; VGPRBlocks: 0
; NumSGPRsForWavesPerEU: 1
; NumVGPRsForWavesPerEU: 1
; Occupancy: 16
; WaveLimiterHint : 0
; COMPUTE_PGM_RSRC2:SCRATCH_EN: 0
; COMPUTE_PGM_RSRC2:USER_SGPR: 15
; COMPUTE_PGM_RSRC2:TRAP_HANDLER: 0
; COMPUTE_PGM_RSRC2:TGID_X_EN: 1
; COMPUTE_PGM_RSRC2:TGID_Y_EN: 0
; COMPUTE_PGM_RSRC2:TGID_Z_EN: 0
; COMPUTE_PGM_RSRC2:TIDIG_COMP_CNT: 0
	.section	.text._ZN7rocprim17ROCPRIM_400000_NS6detail17trampoline_kernelINS0_14default_configENS1_36segmented_radix_sort_config_selectorIllEEZNS1_25segmented_radix_sort_implIS3_Lb0EPKlPlS8_S9_N2at6native12_GLOBAL__N_18offset_tEEE10hipError_tPvRmT1_PNSt15iterator_traitsISH_E10value_typeET2_T3_PNSI_ISN_E10value_typeET4_jRbjT5_ST_jjP12ihipStream_tbEUlT_E1_NS1_11comp_targetILNS1_3genE10ELNS1_11target_archE1201ELNS1_3gpuE5ELNS1_3repE0EEENS1_59segmented_radix_sort_warp_sort_small_config_static_selectorELNS0_4arch9wavefront6targetE0EEEvSH_,"axG",@progbits,_ZN7rocprim17ROCPRIM_400000_NS6detail17trampoline_kernelINS0_14default_configENS1_36segmented_radix_sort_config_selectorIllEEZNS1_25segmented_radix_sort_implIS3_Lb0EPKlPlS8_S9_N2at6native12_GLOBAL__N_18offset_tEEE10hipError_tPvRmT1_PNSt15iterator_traitsISH_E10value_typeET2_T3_PNSI_ISN_E10value_typeET4_jRbjT5_ST_jjP12ihipStream_tbEUlT_E1_NS1_11comp_targetILNS1_3genE10ELNS1_11target_archE1201ELNS1_3gpuE5ELNS1_3repE0EEENS1_59segmented_radix_sort_warp_sort_small_config_static_selectorELNS0_4arch9wavefront6targetE0EEEvSH_,comdat
	.globl	_ZN7rocprim17ROCPRIM_400000_NS6detail17trampoline_kernelINS0_14default_configENS1_36segmented_radix_sort_config_selectorIllEEZNS1_25segmented_radix_sort_implIS3_Lb0EPKlPlS8_S9_N2at6native12_GLOBAL__N_18offset_tEEE10hipError_tPvRmT1_PNSt15iterator_traitsISH_E10value_typeET2_T3_PNSI_ISN_E10value_typeET4_jRbjT5_ST_jjP12ihipStream_tbEUlT_E1_NS1_11comp_targetILNS1_3genE10ELNS1_11target_archE1201ELNS1_3gpuE5ELNS1_3repE0EEENS1_59segmented_radix_sort_warp_sort_small_config_static_selectorELNS0_4arch9wavefront6targetE0EEEvSH_ ; -- Begin function _ZN7rocprim17ROCPRIM_400000_NS6detail17trampoline_kernelINS0_14default_configENS1_36segmented_radix_sort_config_selectorIllEEZNS1_25segmented_radix_sort_implIS3_Lb0EPKlPlS8_S9_N2at6native12_GLOBAL__N_18offset_tEEE10hipError_tPvRmT1_PNSt15iterator_traitsISH_E10value_typeET2_T3_PNSI_ISN_E10value_typeET4_jRbjT5_ST_jjP12ihipStream_tbEUlT_E1_NS1_11comp_targetILNS1_3genE10ELNS1_11target_archE1201ELNS1_3gpuE5ELNS1_3repE0EEENS1_59segmented_radix_sort_warp_sort_small_config_static_selectorELNS0_4arch9wavefront6targetE0EEEvSH_
	.p2align	8
	.type	_ZN7rocprim17ROCPRIM_400000_NS6detail17trampoline_kernelINS0_14default_configENS1_36segmented_radix_sort_config_selectorIllEEZNS1_25segmented_radix_sort_implIS3_Lb0EPKlPlS8_S9_N2at6native12_GLOBAL__N_18offset_tEEE10hipError_tPvRmT1_PNSt15iterator_traitsISH_E10value_typeET2_T3_PNSI_ISN_E10value_typeET4_jRbjT5_ST_jjP12ihipStream_tbEUlT_E1_NS1_11comp_targetILNS1_3genE10ELNS1_11target_archE1201ELNS1_3gpuE5ELNS1_3repE0EEENS1_59segmented_radix_sort_warp_sort_small_config_static_selectorELNS0_4arch9wavefront6targetE0EEEvSH_,@function
_ZN7rocprim17ROCPRIM_400000_NS6detail17trampoline_kernelINS0_14default_configENS1_36segmented_radix_sort_config_selectorIllEEZNS1_25segmented_radix_sort_implIS3_Lb0EPKlPlS8_S9_N2at6native12_GLOBAL__N_18offset_tEEE10hipError_tPvRmT1_PNSt15iterator_traitsISH_E10value_typeET2_T3_PNSI_ISN_E10value_typeET4_jRbjT5_ST_jjP12ihipStream_tbEUlT_E1_NS1_11comp_targetILNS1_3genE10ELNS1_11target_archE1201ELNS1_3gpuE5ELNS1_3repE0EEENS1_59segmented_radix_sort_warp_sort_small_config_static_selectorELNS0_4arch9wavefront6targetE0EEEvSH_: ; @_ZN7rocprim17ROCPRIM_400000_NS6detail17trampoline_kernelINS0_14default_configENS1_36segmented_radix_sort_config_selectorIllEEZNS1_25segmented_radix_sort_implIS3_Lb0EPKlPlS8_S9_N2at6native12_GLOBAL__N_18offset_tEEE10hipError_tPvRmT1_PNSt15iterator_traitsISH_E10value_typeET2_T3_PNSI_ISN_E10value_typeET4_jRbjT5_ST_jjP12ihipStream_tbEUlT_E1_NS1_11comp_targetILNS1_3genE10ELNS1_11target_archE1201ELNS1_3gpuE5ELNS1_3repE0EEENS1_59segmented_radix_sort_warp_sort_small_config_static_selectorELNS0_4arch9wavefront6targetE0EEEvSH_
; %bb.0:
	.section	.rodata,"a",@progbits
	.p2align	6, 0x0
	.amdhsa_kernel _ZN7rocprim17ROCPRIM_400000_NS6detail17trampoline_kernelINS0_14default_configENS1_36segmented_radix_sort_config_selectorIllEEZNS1_25segmented_radix_sort_implIS3_Lb0EPKlPlS8_S9_N2at6native12_GLOBAL__N_18offset_tEEE10hipError_tPvRmT1_PNSt15iterator_traitsISH_E10value_typeET2_T3_PNSI_ISN_E10value_typeET4_jRbjT5_ST_jjP12ihipStream_tbEUlT_E1_NS1_11comp_targetILNS1_3genE10ELNS1_11target_archE1201ELNS1_3gpuE5ELNS1_3repE0EEENS1_59segmented_radix_sort_warp_sort_small_config_static_selectorELNS0_4arch9wavefront6targetE0EEEvSH_
		.amdhsa_group_segment_fixed_size 0
		.amdhsa_private_segment_fixed_size 0
		.amdhsa_kernarg_size 88
		.amdhsa_user_sgpr_count 15
		.amdhsa_user_sgpr_dispatch_ptr 0
		.amdhsa_user_sgpr_queue_ptr 0
		.amdhsa_user_sgpr_kernarg_segment_ptr 1
		.amdhsa_user_sgpr_dispatch_id 0
		.amdhsa_user_sgpr_private_segment_size 0
		.amdhsa_wavefront_size32 1
		.amdhsa_uses_dynamic_stack 0
		.amdhsa_enable_private_segment 0
		.amdhsa_system_sgpr_workgroup_id_x 1
		.amdhsa_system_sgpr_workgroup_id_y 0
		.amdhsa_system_sgpr_workgroup_id_z 0
		.amdhsa_system_sgpr_workgroup_info 0
		.amdhsa_system_vgpr_workitem_id 0
		.amdhsa_next_free_vgpr 1
		.amdhsa_next_free_sgpr 1
		.amdhsa_reserve_vcc 0
		.amdhsa_float_round_mode_32 0
		.amdhsa_float_round_mode_16_64 0
		.amdhsa_float_denorm_mode_32 3
		.amdhsa_float_denorm_mode_16_64 3
		.amdhsa_dx10_clamp 1
		.amdhsa_ieee_mode 1
		.amdhsa_fp16_overflow 0
		.amdhsa_workgroup_processor_mode 1
		.amdhsa_memory_ordered 1
		.amdhsa_forward_progress 0
		.amdhsa_shared_vgpr_count 0
		.amdhsa_exception_fp_ieee_invalid_op 0
		.amdhsa_exception_fp_denorm_src 0
		.amdhsa_exception_fp_ieee_div_zero 0
		.amdhsa_exception_fp_ieee_overflow 0
		.amdhsa_exception_fp_ieee_underflow 0
		.amdhsa_exception_fp_ieee_inexact 0
		.amdhsa_exception_int_div_zero 0
	.end_amdhsa_kernel
	.section	.text._ZN7rocprim17ROCPRIM_400000_NS6detail17trampoline_kernelINS0_14default_configENS1_36segmented_radix_sort_config_selectorIllEEZNS1_25segmented_radix_sort_implIS3_Lb0EPKlPlS8_S9_N2at6native12_GLOBAL__N_18offset_tEEE10hipError_tPvRmT1_PNSt15iterator_traitsISH_E10value_typeET2_T3_PNSI_ISN_E10value_typeET4_jRbjT5_ST_jjP12ihipStream_tbEUlT_E1_NS1_11comp_targetILNS1_3genE10ELNS1_11target_archE1201ELNS1_3gpuE5ELNS1_3repE0EEENS1_59segmented_radix_sort_warp_sort_small_config_static_selectorELNS0_4arch9wavefront6targetE0EEEvSH_,"axG",@progbits,_ZN7rocprim17ROCPRIM_400000_NS6detail17trampoline_kernelINS0_14default_configENS1_36segmented_radix_sort_config_selectorIllEEZNS1_25segmented_radix_sort_implIS3_Lb0EPKlPlS8_S9_N2at6native12_GLOBAL__N_18offset_tEEE10hipError_tPvRmT1_PNSt15iterator_traitsISH_E10value_typeET2_T3_PNSI_ISN_E10value_typeET4_jRbjT5_ST_jjP12ihipStream_tbEUlT_E1_NS1_11comp_targetILNS1_3genE10ELNS1_11target_archE1201ELNS1_3gpuE5ELNS1_3repE0EEENS1_59segmented_radix_sort_warp_sort_small_config_static_selectorELNS0_4arch9wavefront6targetE0EEEvSH_,comdat
.Lfunc_end832:
	.size	_ZN7rocprim17ROCPRIM_400000_NS6detail17trampoline_kernelINS0_14default_configENS1_36segmented_radix_sort_config_selectorIllEEZNS1_25segmented_radix_sort_implIS3_Lb0EPKlPlS8_S9_N2at6native12_GLOBAL__N_18offset_tEEE10hipError_tPvRmT1_PNSt15iterator_traitsISH_E10value_typeET2_T3_PNSI_ISN_E10value_typeET4_jRbjT5_ST_jjP12ihipStream_tbEUlT_E1_NS1_11comp_targetILNS1_3genE10ELNS1_11target_archE1201ELNS1_3gpuE5ELNS1_3repE0EEENS1_59segmented_radix_sort_warp_sort_small_config_static_selectorELNS0_4arch9wavefront6targetE0EEEvSH_, .Lfunc_end832-_ZN7rocprim17ROCPRIM_400000_NS6detail17trampoline_kernelINS0_14default_configENS1_36segmented_radix_sort_config_selectorIllEEZNS1_25segmented_radix_sort_implIS3_Lb0EPKlPlS8_S9_N2at6native12_GLOBAL__N_18offset_tEEE10hipError_tPvRmT1_PNSt15iterator_traitsISH_E10value_typeET2_T3_PNSI_ISN_E10value_typeET4_jRbjT5_ST_jjP12ihipStream_tbEUlT_E1_NS1_11comp_targetILNS1_3genE10ELNS1_11target_archE1201ELNS1_3gpuE5ELNS1_3repE0EEENS1_59segmented_radix_sort_warp_sort_small_config_static_selectorELNS0_4arch9wavefront6targetE0EEEvSH_
                                        ; -- End function
	.section	.AMDGPU.csdata,"",@progbits
; Kernel info:
; codeLenInByte = 0
; NumSgprs: 0
; NumVgprs: 0
; ScratchSize: 0
; MemoryBound: 0
; FloatMode: 240
; IeeeMode: 1
; LDSByteSize: 0 bytes/workgroup (compile time only)
; SGPRBlocks: 0
; VGPRBlocks: 0
; NumSGPRsForWavesPerEU: 1
; NumVGPRsForWavesPerEU: 1
; Occupancy: 16
; WaveLimiterHint : 0
; COMPUTE_PGM_RSRC2:SCRATCH_EN: 0
; COMPUTE_PGM_RSRC2:USER_SGPR: 15
; COMPUTE_PGM_RSRC2:TRAP_HANDLER: 0
; COMPUTE_PGM_RSRC2:TGID_X_EN: 1
; COMPUTE_PGM_RSRC2:TGID_Y_EN: 0
; COMPUTE_PGM_RSRC2:TGID_Z_EN: 0
; COMPUTE_PGM_RSRC2:TIDIG_COMP_CNT: 0
	.section	.text._ZN7rocprim17ROCPRIM_400000_NS6detail17trampoline_kernelINS0_14default_configENS1_36segmented_radix_sort_config_selectorIllEEZNS1_25segmented_radix_sort_implIS3_Lb0EPKlPlS8_S9_N2at6native12_GLOBAL__N_18offset_tEEE10hipError_tPvRmT1_PNSt15iterator_traitsISH_E10value_typeET2_T3_PNSI_ISN_E10value_typeET4_jRbjT5_ST_jjP12ihipStream_tbEUlT_E1_NS1_11comp_targetILNS1_3genE10ELNS1_11target_archE1200ELNS1_3gpuE4ELNS1_3repE0EEENS1_59segmented_radix_sort_warp_sort_small_config_static_selectorELNS0_4arch9wavefront6targetE0EEEvSH_,"axG",@progbits,_ZN7rocprim17ROCPRIM_400000_NS6detail17trampoline_kernelINS0_14default_configENS1_36segmented_radix_sort_config_selectorIllEEZNS1_25segmented_radix_sort_implIS3_Lb0EPKlPlS8_S9_N2at6native12_GLOBAL__N_18offset_tEEE10hipError_tPvRmT1_PNSt15iterator_traitsISH_E10value_typeET2_T3_PNSI_ISN_E10value_typeET4_jRbjT5_ST_jjP12ihipStream_tbEUlT_E1_NS1_11comp_targetILNS1_3genE10ELNS1_11target_archE1200ELNS1_3gpuE4ELNS1_3repE0EEENS1_59segmented_radix_sort_warp_sort_small_config_static_selectorELNS0_4arch9wavefront6targetE0EEEvSH_,comdat
	.globl	_ZN7rocprim17ROCPRIM_400000_NS6detail17trampoline_kernelINS0_14default_configENS1_36segmented_radix_sort_config_selectorIllEEZNS1_25segmented_radix_sort_implIS3_Lb0EPKlPlS8_S9_N2at6native12_GLOBAL__N_18offset_tEEE10hipError_tPvRmT1_PNSt15iterator_traitsISH_E10value_typeET2_T3_PNSI_ISN_E10value_typeET4_jRbjT5_ST_jjP12ihipStream_tbEUlT_E1_NS1_11comp_targetILNS1_3genE10ELNS1_11target_archE1200ELNS1_3gpuE4ELNS1_3repE0EEENS1_59segmented_radix_sort_warp_sort_small_config_static_selectorELNS0_4arch9wavefront6targetE0EEEvSH_ ; -- Begin function _ZN7rocprim17ROCPRIM_400000_NS6detail17trampoline_kernelINS0_14default_configENS1_36segmented_radix_sort_config_selectorIllEEZNS1_25segmented_radix_sort_implIS3_Lb0EPKlPlS8_S9_N2at6native12_GLOBAL__N_18offset_tEEE10hipError_tPvRmT1_PNSt15iterator_traitsISH_E10value_typeET2_T3_PNSI_ISN_E10value_typeET4_jRbjT5_ST_jjP12ihipStream_tbEUlT_E1_NS1_11comp_targetILNS1_3genE10ELNS1_11target_archE1200ELNS1_3gpuE4ELNS1_3repE0EEENS1_59segmented_radix_sort_warp_sort_small_config_static_selectorELNS0_4arch9wavefront6targetE0EEEvSH_
	.p2align	8
	.type	_ZN7rocprim17ROCPRIM_400000_NS6detail17trampoline_kernelINS0_14default_configENS1_36segmented_radix_sort_config_selectorIllEEZNS1_25segmented_radix_sort_implIS3_Lb0EPKlPlS8_S9_N2at6native12_GLOBAL__N_18offset_tEEE10hipError_tPvRmT1_PNSt15iterator_traitsISH_E10value_typeET2_T3_PNSI_ISN_E10value_typeET4_jRbjT5_ST_jjP12ihipStream_tbEUlT_E1_NS1_11comp_targetILNS1_3genE10ELNS1_11target_archE1200ELNS1_3gpuE4ELNS1_3repE0EEENS1_59segmented_radix_sort_warp_sort_small_config_static_selectorELNS0_4arch9wavefront6targetE0EEEvSH_,@function
_ZN7rocprim17ROCPRIM_400000_NS6detail17trampoline_kernelINS0_14default_configENS1_36segmented_radix_sort_config_selectorIllEEZNS1_25segmented_radix_sort_implIS3_Lb0EPKlPlS8_S9_N2at6native12_GLOBAL__N_18offset_tEEE10hipError_tPvRmT1_PNSt15iterator_traitsISH_E10value_typeET2_T3_PNSI_ISN_E10value_typeET4_jRbjT5_ST_jjP12ihipStream_tbEUlT_E1_NS1_11comp_targetILNS1_3genE10ELNS1_11target_archE1200ELNS1_3gpuE4ELNS1_3repE0EEENS1_59segmented_radix_sort_warp_sort_small_config_static_selectorELNS0_4arch9wavefront6targetE0EEEvSH_: ; @_ZN7rocprim17ROCPRIM_400000_NS6detail17trampoline_kernelINS0_14default_configENS1_36segmented_radix_sort_config_selectorIllEEZNS1_25segmented_radix_sort_implIS3_Lb0EPKlPlS8_S9_N2at6native12_GLOBAL__N_18offset_tEEE10hipError_tPvRmT1_PNSt15iterator_traitsISH_E10value_typeET2_T3_PNSI_ISN_E10value_typeET4_jRbjT5_ST_jjP12ihipStream_tbEUlT_E1_NS1_11comp_targetILNS1_3genE10ELNS1_11target_archE1200ELNS1_3gpuE4ELNS1_3repE0EEENS1_59segmented_radix_sort_warp_sort_small_config_static_selectorELNS0_4arch9wavefront6targetE0EEEvSH_
; %bb.0:
	.section	.rodata,"a",@progbits
	.p2align	6, 0x0
	.amdhsa_kernel _ZN7rocprim17ROCPRIM_400000_NS6detail17trampoline_kernelINS0_14default_configENS1_36segmented_radix_sort_config_selectorIllEEZNS1_25segmented_radix_sort_implIS3_Lb0EPKlPlS8_S9_N2at6native12_GLOBAL__N_18offset_tEEE10hipError_tPvRmT1_PNSt15iterator_traitsISH_E10value_typeET2_T3_PNSI_ISN_E10value_typeET4_jRbjT5_ST_jjP12ihipStream_tbEUlT_E1_NS1_11comp_targetILNS1_3genE10ELNS1_11target_archE1200ELNS1_3gpuE4ELNS1_3repE0EEENS1_59segmented_radix_sort_warp_sort_small_config_static_selectorELNS0_4arch9wavefront6targetE0EEEvSH_
		.amdhsa_group_segment_fixed_size 0
		.amdhsa_private_segment_fixed_size 0
		.amdhsa_kernarg_size 88
		.amdhsa_user_sgpr_count 15
		.amdhsa_user_sgpr_dispatch_ptr 0
		.amdhsa_user_sgpr_queue_ptr 0
		.amdhsa_user_sgpr_kernarg_segment_ptr 1
		.amdhsa_user_sgpr_dispatch_id 0
		.amdhsa_user_sgpr_private_segment_size 0
		.amdhsa_wavefront_size32 1
		.amdhsa_uses_dynamic_stack 0
		.amdhsa_enable_private_segment 0
		.amdhsa_system_sgpr_workgroup_id_x 1
		.amdhsa_system_sgpr_workgroup_id_y 0
		.amdhsa_system_sgpr_workgroup_id_z 0
		.amdhsa_system_sgpr_workgroup_info 0
		.amdhsa_system_vgpr_workitem_id 0
		.amdhsa_next_free_vgpr 1
		.amdhsa_next_free_sgpr 1
		.amdhsa_reserve_vcc 0
		.amdhsa_float_round_mode_32 0
		.amdhsa_float_round_mode_16_64 0
		.amdhsa_float_denorm_mode_32 3
		.amdhsa_float_denorm_mode_16_64 3
		.amdhsa_dx10_clamp 1
		.amdhsa_ieee_mode 1
		.amdhsa_fp16_overflow 0
		.amdhsa_workgroup_processor_mode 1
		.amdhsa_memory_ordered 1
		.amdhsa_forward_progress 0
		.amdhsa_shared_vgpr_count 0
		.amdhsa_exception_fp_ieee_invalid_op 0
		.amdhsa_exception_fp_denorm_src 0
		.amdhsa_exception_fp_ieee_div_zero 0
		.amdhsa_exception_fp_ieee_overflow 0
		.amdhsa_exception_fp_ieee_underflow 0
		.amdhsa_exception_fp_ieee_inexact 0
		.amdhsa_exception_int_div_zero 0
	.end_amdhsa_kernel
	.section	.text._ZN7rocprim17ROCPRIM_400000_NS6detail17trampoline_kernelINS0_14default_configENS1_36segmented_radix_sort_config_selectorIllEEZNS1_25segmented_radix_sort_implIS3_Lb0EPKlPlS8_S9_N2at6native12_GLOBAL__N_18offset_tEEE10hipError_tPvRmT1_PNSt15iterator_traitsISH_E10value_typeET2_T3_PNSI_ISN_E10value_typeET4_jRbjT5_ST_jjP12ihipStream_tbEUlT_E1_NS1_11comp_targetILNS1_3genE10ELNS1_11target_archE1200ELNS1_3gpuE4ELNS1_3repE0EEENS1_59segmented_radix_sort_warp_sort_small_config_static_selectorELNS0_4arch9wavefront6targetE0EEEvSH_,"axG",@progbits,_ZN7rocprim17ROCPRIM_400000_NS6detail17trampoline_kernelINS0_14default_configENS1_36segmented_radix_sort_config_selectorIllEEZNS1_25segmented_radix_sort_implIS3_Lb0EPKlPlS8_S9_N2at6native12_GLOBAL__N_18offset_tEEE10hipError_tPvRmT1_PNSt15iterator_traitsISH_E10value_typeET2_T3_PNSI_ISN_E10value_typeET4_jRbjT5_ST_jjP12ihipStream_tbEUlT_E1_NS1_11comp_targetILNS1_3genE10ELNS1_11target_archE1200ELNS1_3gpuE4ELNS1_3repE0EEENS1_59segmented_radix_sort_warp_sort_small_config_static_selectorELNS0_4arch9wavefront6targetE0EEEvSH_,comdat
.Lfunc_end833:
	.size	_ZN7rocprim17ROCPRIM_400000_NS6detail17trampoline_kernelINS0_14default_configENS1_36segmented_radix_sort_config_selectorIllEEZNS1_25segmented_radix_sort_implIS3_Lb0EPKlPlS8_S9_N2at6native12_GLOBAL__N_18offset_tEEE10hipError_tPvRmT1_PNSt15iterator_traitsISH_E10value_typeET2_T3_PNSI_ISN_E10value_typeET4_jRbjT5_ST_jjP12ihipStream_tbEUlT_E1_NS1_11comp_targetILNS1_3genE10ELNS1_11target_archE1200ELNS1_3gpuE4ELNS1_3repE0EEENS1_59segmented_radix_sort_warp_sort_small_config_static_selectorELNS0_4arch9wavefront6targetE0EEEvSH_, .Lfunc_end833-_ZN7rocprim17ROCPRIM_400000_NS6detail17trampoline_kernelINS0_14default_configENS1_36segmented_radix_sort_config_selectorIllEEZNS1_25segmented_radix_sort_implIS3_Lb0EPKlPlS8_S9_N2at6native12_GLOBAL__N_18offset_tEEE10hipError_tPvRmT1_PNSt15iterator_traitsISH_E10value_typeET2_T3_PNSI_ISN_E10value_typeET4_jRbjT5_ST_jjP12ihipStream_tbEUlT_E1_NS1_11comp_targetILNS1_3genE10ELNS1_11target_archE1200ELNS1_3gpuE4ELNS1_3repE0EEENS1_59segmented_radix_sort_warp_sort_small_config_static_selectorELNS0_4arch9wavefront6targetE0EEEvSH_
                                        ; -- End function
	.section	.AMDGPU.csdata,"",@progbits
; Kernel info:
; codeLenInByte = 0
; NumSgprs: 0
; NumVgprs: 0
; ScratchSize: 0
; MemoryBound: 0
; FloatMode: 240
; IeeeMode: 1
; LDSByteSize: 0 bytes/workgroup (compile time only)
; SGPRBlocks: 0
; VGPRBlocks: 0
; NumSGPRsForWavesPerEU: 1
; NumVGPRsForWavesPerEU: 1
; Occupancy: 16
; WaveLimiterHint : 0
; COMPUTE_PGM_RSRC2:SCRATCH_EN: 0
; COMPUTE_PGM_RSRC2:USER_SGPR: 15
; COMPUTE_PGM_RSRC2:TRAP_HANDLER: 0
; COMPUTE_PGM_RSRC2:TGID_X_EN: 1
; COMPUTE_PGM_RSRC2:TGID_Y_EN: 0
; COMPUTE_PGM_RSRC2:TGID_Z_EN: 0
; COMPUTE_PGM_RSRC2:TIDIG_COMP_CNT: 0
	.text
	.p2align	2                               ; -- Begin function _ZN7rocprim17ROCPRIM_400000_NS6detail26segmented_warp_sort_helperINS1_20WarpSortHelperConfigILj8ELj4ELj256EEEllLi256ELb0EvE4sortIPKlPlS8_S9_EEvT_T0_T1_T2_jjjjRNS5_12storage_typeE
	.type	_ZN7rocprim17ROCPRIM_400000_NS6detail26segmented_warp_sort_helperINS1_20WarpSortHelperConfigILj8ELj4ELj256EEEllLi256ELb0EvE4sortIPKlPlS8_S9_EEvT_T0_T1_T2_jjjjRNS5_12storage_typeE,@function
_ZN7rocprim17ROCPRIM_400000_NS6detail26segmented_warp_sort_helperINS1_20WarpSortHelperConfigILj8ELj4ELj256EEEllLi256ELb0EvE4sortIPKlPlS8_S9_EEvT_T0_T1_T2_jjjjRNS5_12storage_typeE: ; @_ZN7rocprim17ROCPRIM_400000_NS6detail26segmented_warp_sort_helperINS1_20WarpSortHelperConfigILj8ELj4ELj256EEEllLi256ELb0EvE4sortIPKlPlS8_S9_EEvT_T0_T1_T2_jjjjRNS5_12storage_typeE
; %bb.0:
	s_waitcnt vmcnt(0) expcnt(0) lgkmcnt(0)
	v_mov_b32_e32 v14, v9
	v_mbcnt_lo_u32_b32 v9, -1, 0
	s_mov_b32 s2, -1
	s_brev_b32 s3, -2
	s_delay_alu instid0(VALU_DEP_1) | instskip(SKIP_2) | instid1(VALU_DEP_3)
	v_lshlrev_b32_e32 v87, 2, v9
	v_mov_b32_e32 v9, 0
	v_sub_nc_u32_e32 v18, v14, v8
	v_and_b32_e32 v96, 28, v87
	s_delay_alu instid0(VALU_DEP_3) | instskip(SKIP_1) | instid1(VALU_DEP_3)
	v_lshlrev_b64 v[84:85], 3, v[8:9]
	v_dual_mov_b32 v9, s3 :: v_dual_mov_b32 v8, s2
	v_lshlrev_b32_e32 v86, 3, v96
	s_delay_alu instid0(VALU_DEP_3) | instskip(NEXT) | instid1(VALU_DEP_4)
	v_add_co_u32 v0, vcc_lo, v0, v84
	v_add_co_ci_u32_e32 v1, vcc_lo, v1, v85, vcc_lo
	s_delay_alu instid0(VALU_DEP_2) | instskip(NEXT) | instid1(VALU_DEP_2)
	v_add_co_u32 v16, vcc_lo, v0, v86
	v_add_co_ci_u32_e32 v17, vcc_lo, 0, v1, vcc_lo
	v_cmp_lt_u32_e32 vcc_lo, v96, v18
	s_and_saveexec_b32 s0, vcc_lo
	s_cbranch_execz .LBB834_2
; %bb.1:
	flat_load_b64 v[8:9], v[16:17]
.LBB834_2:
	s_or_b32 exec_lo, exec_lo, s0
	v_or_b32_e32 v0, 1, v96
	v_dual_mov_b32 v50, s2 :: v_dual_mov_b32 v51, s3
	v_dual_mov_b32 v26, s2 :: v_dual_mov_b32 v27, s3
	;; [unrolled: 1-line block ×3, first 2 shown]
	s_delay_alu instid0(VALU_DEP_4) | instskip(SKIP_1) | instid1(VALU_DEP_2)
	v_cmp_lt_u32_e64 s0, v0, v18
	v_dual_mov_b32 v0, s2 :: v_dual_mov_b32 v1, s3
	s_and_saveexec_b32 s1, s0
	s_cbranch_execz .LBB834_4
; %bb.3:
	flat_load_b64 v[50:51], v[16:17] offset:8
	s_mov_b32 s2, -1
	s_brev_b32 s3, -2
	s_delay_alu instid0(SALU_CYCLE_1)
	v_dual_mov_b32 v26, s2 :: v_dual_mov_b32 v27, s3
	v_dual_mov_b32 v34, s2 :: v_dual_mov_b32 v35, s3
	s_waitcnt vmcnt(0) lgkmcnt(0)
	v_dual_mov_b32 v0, v50 :: v_dual_mov_b32 v1, v51
.LBB834_4:
	s_or_b32 exec_lo, exec_lo, s1
	v_or_b32_e32 v14, 2, v96
	s_mov_b32 s4, -1
	s_brev_b32 s5, -2
	s_delay_alu instid0(VALU_DEP_1) | instskip(SKIP_1) | instid1(VALU_DEP_2)
	v_cmp_lt_u32_e64 s1, v14, v18
	v_dual_mov_b32 v15, s5 :: v_dual_mov_b32 v14, s4
	s_and_saveexec_b32 s2, s1
	s_cbranch_execz .LBB834_6
; %bb.5:
	flat_load_b64 v[26:27], v[16:17] offset:16
	v_dual_mov_b32 v34, s4 :: v_dual_mov_b32 v35, s5
	s_waitcnt vmcnt(0) lgkmcnt(0)
	v_dual_mov_b32 v14, v26 :: v_dual_mov_b32 v15, v27
.LBB834_6:
	s_or_b32 exec_lo, exec_lo, s2
	v_or_b32_e32 v19, 3, v96
	v_dual_mov_b32 v21, s5 :: v_dual_mov_b32 v20, s4
	s_delay_alu instid0(VALU_DEP_2) | instskip(NEXT) | instid1(VALU_DEP_1)
	v_cmp_lt_u32_e64 s2, v19, v18
	s_and_saveexec_b32 s3, s2
	s_cbranch_execz .LBB834_8
; %bb.7:
	flat_load_b64 v[34:35], v[16:17] offset:24
	s_waitcnt vmcnt(0) lgkmcnt(0)
	v_dual_mov_b32 v20, v34 :: v_dual_mov_b32 v21, v35
.LBB834_8:
	s_or_b32 exec_lo, exec_lo, s3
	v_add_co_u32 v4, s3, v4, v84
	s_delay_alu instid0(VALU_DEP_1) | instskip(NEXT) | instid1(VALU_DEP_2)
	v_add_co_ci_u32_e64 v5, s3, v5, v85, s3
	v_add_co_u32 v4, s3, v4, v86
	s_delay_alu instid0(VALU_DEP_1)
	v_add_co_ci_u32_e64 v5, s3, 0, v5, s3
	; wave barrier
                                        ; implicit-def: $vgpr36_vgpr37
	s_and_saveexec_b32 s3, vcc_lo
	s_cbranch_execnz .LBB834_107
; %bb.9:
	s_or_b32 exec_lo, exec_lo, s3
	s_and_saveexec_b32 s3, s0
	s_cbranch_execnz .LBB834_108
.LBB834_10:
	s_or_b32 exec_lo, exec_lo, s3
                                        ; implicit-def: $vgpr80_vgpr81
	s_and_saveexec_b32 s3, s1
	s_cbranch_execnz .LBB834_109
.LBB834_11:
	s_or_b32 exec_lo, exec_lo, s3
	s_and_saveexec_b32 s3, s2
	s_cbranch_execz .LBB834_13
.LBB834_12:
	flat_load_b64 v[82:83], v[4:5] offset:24
.LBB834_13:
	s_or_b32 exec_lo, exec_lo, s3
	v_cmp_ne_u32_e64 s3, 0, v10
	v_cmp_ne_u32_e64 s4, 64, v11
	v_bfe_u32 v5, v31, 10, 10
	v_bfe_u32 v16, v31, 20, 10
	v_and_b32_e32 v4, 0x3ff, v31
	s_delay_alu instid0(VALU_DEP_4) | instskip(NEXT) | instid1(SALU_CYCLE_1)
	s_or_b32 s3, s3, s4
	; wave barrier
	s_and_saveexec_b32 s4, s3
	s_delay_alu instid0(SALU_CYCLE_1)
	s_xor_b32 s11, exec_lo, s4
	s_cbranch_execz .LBB834_55
; %bb.14:
	s_load_b64 s[4:5], s[8:9], 0x0
	v_mov_b32_e32 v17, 0
	s_waitcnt lgkmcnt(0)
	s_cmp_lt_u32 s13, s5
	s_cselect_b32 s3, 14, 20
	s_delay_alu instid0(SALU_CYCLE_1)
	s_add_u32 s6, s8, s3
	s_addc_u32 s7, s9, 0
	s_cmp_lt_u32 s12, s4
	global_load_u16 v18, v17, s[6:7]
	s_cselect_b32 s3, 12, 18
	s_mov_b32 s6, exec_lo
	s_add_u32 s4, s8, s3
	s_addc_u32 s5, s9, 0
	global_load_u16 v17, v17, s[4:5]
	s_waitcnt vmcnt(1)
	v_mad_u32_u24 v5, v16, v18, v5
	s_waitcnt vmcnt(0)
	s_delay_alu instid0(VALU_DEP_1) | instskip(SKIP_2) | instid1(VALU_DEP_1)
	v_mul_lo_u32 v5, v5, v17
	v_lshlrev_b64 v[16:17], v11, -1
	v_lshlrev_b64 v[10:11], v10, -1
	v_xor_b32_e32 v29, v17, v11
	s_delay_alu instid0(VALU_DEP_4) | instskip(NEXT) | instid1(VALU_DEP_3)
	v_add_lshl_u32 v30, v5, v4, 2
	v_xor_b32_e32 v28, v16, v10
	s_delay_alu instid0(VALU_DEP_2)
	v_cmpx_gt_u32_e32 0x400, v30
	s_cbranch_execz .LBB834_24
; %bb.15:
	v_and_b32_e32 v1, v1, v29
	s_delay_alu instid0(VALU_DEP_3)
	v_dual_mov_b32 v71, v35 :: v_dual_and_b32 v0, v0, v28
	v_and_b32_e32 v5, v9, v29
	v_and_b32_e32 v4, v8, v28
	v_dual_mov_b32 v69, v27 :: v_dual_and_b32 v10, v26, v28
	v_mov_b32_e32 v70, v34
	v_mov_b32_e32 v68, v26
	s_delay_alu instid0(VALU_DEP_4)
	v_cmp_gt_u64_e64 s3, v[4:5], v[0:1]
	v_dual_mov_b32 v4, v80 :: v_dual_and_b32 v1, v35, v29
	v_and_b32_e32 v0, v34, v28
	v_and_b32_e32 v11, v27, v29
	v_mov_b32_e32 v5, v81
	v_cndmask_b32_e64 v67, v51, v9, s3
	v_cndmask_b32_e64 v66, v50, v8, s3
	;; [unrolled: 1-line block ×4, first 2 shown]
	s_mov_b32 s5, exec_lo
	v_cmpx_gt_u64_e64 v[10:11], v[0:1]
; %bb.16:
	v_dual_mov_b32 v8, v26 :: v_dual_mov_b32 v9, v27
	v_dual_mov_b32 v4, v82 :: v_dual_mov_b32 v5, v83
	;; [unrolled: 1-line block ×7, first 2 shown]
; %bb.17:
	s_or_b32 exec_lo, exec_lo, s5
	v_dual_mov_b32 v14, v64 :: v_dual_and_b32 v1, v67, v29
	v_dual_mov_b32 v15, v65 :: v_dual_and_b32 v0, v66, v28
	v_cndmask_b32_e64 v9, v39, v37, s3
	v_cndmask_b32_e64 v8, v38, v36, s3
	v_dual_mov_b32 v16, v66 :: v_dual_mov_b32 v17, v67
	s_delay_alu instid0(VALU_DEP_4) | instskip(SKIP_3) | instid1(VALU_DEP_4)
	v_cmp_gt_i64_e64 s4, v[0:1], v[10:11]
	v_dual_mov_b32 v18, v68 :: v_dual_mov_b32 v19, v69
	v_dual_mov_b32 v20, v70 :: v_dual_mov_b32 v21, v71
	;; [unrolled: 1-line block ×3, first 2 shown]
	s_and_saveexec_b32 s5, s4
	s_delay_alu instid0(SALU_CYCLE_1)
	s_xor_b32 s4, exec_lo, s5
; %bb.18:
	v_dual_mov_b32 v14, v64 :: v_dual_and_b32 v1, v27, v29
	v_dual_mov_b32 v16, v66 :: v_dual_mov_b32 v17, v67
	v_dual_mov_b32 v18, v68 :: v_dual_mov_b32 v19, v69
	;; [unrolled: 1-line block ×3, first 2 shown]
	v_dual_mov_b32 v15, v65 :: v_dual_and_b32 v0, v26, v28
	v_dual_mov_b32 v16, v26 :: v_dual_mov_b32 v17, v27
	v_dual_mov_b32 v18, v66 :: v_dual_mov_b32 v19, v67
	v_dual_mov_b32 v20, v70 :: v_dual_mov_b32 v21, v71
	v_dual_mov_b32 v11, v5 :: v_dual_mov_b32 v10, v4
	v_dual_mov_b32 v4, v8 :: v_dual_mov_b32 v5, v9
	v_dual_mov_b32 v67, v27 :: v_dual_mov_b32 v66, v26
; %bb.19:
	s_or_b32 exec_lo, exec_lo, s4
	v_and_b32_e32 v9, v65, v29
	v_and_b32_e32 v8, v64, v28
	;; [unrolled: 1-line block ×6, first 2 shown]
	v_cmp_gt_i64_e64 s4, v[8:9], v[0:1]
	s_mov_b32 s7, exec_lo
	s_delay_alu instid0(VALU_DEP_1)
	v_cndmask_b32_e64 v1, v17, v15, s4
	v_cndmask_b32_e64 v0, v16, v14, s4
	;; [unrolled: 1-line block ×4, first 2 shown]
	v_dual_mov_b32 v17, v5 :: v_dual_mov_b32 v14, v18
	v_dual_mov_b32 v15, v19 :: v_dual_mov_b32 v16, v4
	v_cmpx_gt_u64_e64 v[22:23], v[24:25]
; %bb.20:
	v_dual_mov_b32 v27, v19 :: v_dual_mov_b32 v26, v18
	v_dual_mov_b32 v16, v82 :: v_dual_mov_b32 v17, v83
	;; [unrolled: 1-line block ×7, first 2 shown]
; %bb.21:
	s_or_b32 exec_lo, exec_lo, s7
	v_cndmask_b32_e64 v24, v37, v39, s3
	v_cndmask_b32_e64 v25, v36, v38, s3
	v_dual_mov_b32 v81, v17 :: v_dual_and_b32 v4, v0, v28
	v_dual_mov_b32 v80, v16 :: v_dual_and_b32 v5, v1, v29
	s_delay_alu instid0(VALU_DEP_4) | instskip(NEXT) | instid1(VALU_DEP_4)
	v_cndmask_b32_e64 v37, v24, v11, s4
	v_cndmask_b32_e64 v36, v25, v10, s4
	;; [unrolled: 1-line block ×4, first 2 shown]
	s_mov_b32 s4, exec_lo
	v_cmpx_gt_i64_e64 v[4:5], v[22:23]
; %bb.22:
	v_dual_mov_b32 v15, v1 :: v_dual_mov_b32 v14, v0
	v_dual_mov_b32 v0, v18 :: v_dual_mov_b32 v1, v19
	;; [unrolled: 1-line block ×4, first 2 shown]
; %bb.23:
	s_or_b32 exec_lo, exec_lo, s4
.LBB834_24:
	s_delay_alu instid0(SALU_CYCLE_1) | instskip(SKIP_3) | instid1(VALU_DEP_3)
	s_or_b32 exec_lo, exec_lo, s6
	v_dual_mov_b32 v18, 0 :: v_dual_and_b32 v17, 0xffffff80, v30
	v_or_b32_e32 v4, 4, v87
	v_dual_mov_b32 v10, v0 :: v_dual_and_b32 v19, 4, v87
	v_sub_nc_u32_e64 v25, 0x400, v17 clamp
	v_and_b32_e32 v30, 0x78, v87
	v_dual_mov_b32 v11, v1 :: v_dual_lshlrev_b32 v34, 3, v87
	v_mov_b32_e32 v16, v20
	s_delay_alu instid0(VALU_DEP_4)
	v_min_u32_e32 v26, v25, v4
	v_lshlrev_b64 v[4:5], 3, v[17:18]
	v_mov_b32_e32 v17, v21
	v_min_u32_e32 v31, v25, v19
	s_mov_b32 s4, exec_lo
	v_add_nc_u32_e32 v19, 4, v26
	s_delay_alu instid0(VALU_DEP_4) | instskip(NEXT) | instid1(VALU_DEP_1)
	v_add_co_u32 v23, s3, v12, v4
	v_add_co_ci_u32_e64 v24, s3, v13, v5, s3
	s_delay_alu instid0(VALU_DEP_3) | instskip(NEXT) | instid1(VALU_DEP_3)
	v_min_u32_e32 v27, v25, v19
	v_add_co_u32 v19, s3, 0x2000, v23
	v_sub_nc_u32_e32 v12, v26, v30
	s_delay_alu instid0(VALU_DEP_4) | instskip(NEXT) | instid1(VALU_DEP_4)
	v_add_co_ci_u32_e64 v22, s3, 0, v24, s3
	v_sub_nc_u32_e32 v13, v27, v26
	v_add_co_u32 v4, s3, v23, v34
	s_delay_alu instid0(VALU_DEP_1)
	v_add_co_ci_u32_e64 v5, s3, 0, v24, s3
	v_min_u32_e32 v33, v31, v12
	v_add_co_u32 v12, s3, v19, v34
	v_sub_nc_u32_e64 v32, v31, v13 clamp
	v_add_co_ci_u32_e64 v13, s3, 0, v22, s3
	s_clause 0x3
	flat_store_b128 v[4:5], v[8:11]
	flat_store_b128 v[4:5], v[14:17] offset:16
	flat_store_b128 v[12:13], v[36:39]
	flat_store_b128 v[12:13], v[80:83] offset:16
	; wave barrier
	v_cmpx_lt_u32_e64 v32, v33
	s_cbranch_execz .LBB834_28
; %bb.25:
	v_lshlrev_b32_e32 v10, 3, v30
	v_lshlrev_b32_e32 v16, 3, v26
	s_mov_b32 s5, 0
	s_delay_alu instid0(VALU_DEP_2) | instskip(NEXT) | instid1(VALU_DEP_1)
	v_add_co_u32 v10, s3, v23, v10
	v_add_co_ci_u32_e64 v11, s3, 0, v24, s3
	s_delay_alu instid0(VALU_DEP_3) | instskip(NEXT) | instid1(VALU_DEP_1)
	v_add_co_u32 v16, s3, v23, v16
	v_add_co_ci_u32_e64 v34, s3, 0, v24, s3
	s_set_inst_prefetch_distance 0x1
	.p2align	6
.LBB834_26:                             ; =>This Inner Loop Header: Depth=1
	v_add_nc_u32_e32 v17, v33, v32
	v_mov_b32_e32 v49, v18
	s_delay_alu instid0(VALU_DEP_2) | instskip(NEXT) | instid1(VALU_DEP_1)
	v_lshrrev_b32_e32 v17, 1, v17
	v_xad_u32 v48, v17, -1, v31
	v_lshlrev_b64 v[50:51], 3, v[17:18]
	v_add_nc_u32_e32 v35, 1, v17
	s_delay_alu instid0(VALU_DEP_3) | instskip(NEXT) | instid1(VALU_DEP_3)
	v_lshlrev_b64 v[48:49], 3, v[48:49]
	v_add_co_u32 v50, s3, v10, v50
	s_delay_alu instid0(VALU_DEP_1) | instskip(NEXT) | instid1(VALU_DEP_3)
	v_add_co_ci_u32_e64 v51, s3, v11, v51, s3
	v_add_co_u32 v48, s3, v16, v48
	s_delay_alu instid0(VALU_DEP_1)
	v_add_co_ci_u32_e64 v49, s3, v34, v49, s3
	s_clause 0x1
	flat_load_b64 v[50:51], v[50:51]
	flat_load_b64 v[48:49], v[48:49]
	s_waitcnt vmcnt(1) lgkmcnt(1)
	v_and_b32_e32 v51, v51, v29
	s_waitcnt vmcnt(0) lgkmcnt(0)
	v_and_b32_e32 v48, v48, v28
	v_and_b32_e32 v50, v50, v28
	;; [unrolled: 1-line block ×3, first 2 shown]
	s_delay_alu instid0(VALU_DEP_1) | instskip(NEXT) | instid1(VALU_DEP_1)
	v_cmp_gt_u64_e64 s3, v[50:51], v[48:49]
	v_cndmask_b32_e64 v33, v33, v17, s3
	v_cndmask_b32_e64 v32, v35, v32, s3
	s_delay_alu instid0(VALU_DEP_1) | instskip(NEXT) | instid1(VALU_DEP_1)
	v_cmp_ge_u32_e64 s3, v32, v33
	s_or_b32 s5, s3, s5
	s_delay_alu instid0(SALU_CYCLE_1)
	s_and_not1_b32 exec_lo, exec_lo, s5
	s_cbranch_execnz .LBB834_26
; %bb.27:
	s_set_inst_prefetch_distance 0x2
	s_or_b32 exec_lo, exec_lo, s5
.LBB834_28:
	s_delay_alu instid0(SALU_CYCLE_1) | instskip(SKIP_2) | instid1(VALU_DEP_2)
	s_or_b32 exec_lo, exec_lo, s4
	v_add_nc_u32_e32 v10, v26, v31
	v_add_nc_u32_e32 v16, v32, v30
	v_sub_nc_u32_e32 v10, v10, v32
	s_delay_alu instid0(VALU_DEP_2) | instskip(NEXT) | instid1(VALU_DEP_2)
	v_cmp_le_u32_e64 s3, v16, v26
	v_cmp_le_u32_e64 s4, v10, v27
	s_delay_alu instid0(VALU_DEP_1) | instskip(NEXT) | instid1(SALU_CYCLE_1)
	s_or_b32 s3, s3, s4
	s_and_saveexec_b32 s14, s3
	s_cbranch_execz .LBB834_34
; %bb.29:
	v_cmp_lt_u32_e64 s3, v16, v26
                                        ; implicit-def: $vgpr0_vgpr1
	s_delay_alu instid0(VALU_DEP_1)
	s_and_saveexec_b32 s5, s3
	s_cbranch_execz .LBB834_31
; %bb.30:
	v_mov_b32_e32 v17, 0
	s_delay_alu instid0(VALU_DEP_1) | instskip(NEXT) | instid1(VALU_DEP_1)
	v_lshlrev_b64 v[0:1], 3, v[16:17]
	v_add_co_u32 v0, s4, v23, v0
	s_delay_alu instid0(VALU_DEP_1)
	v_add_co_ci_u32_e64 v1, s4, v24, v1, s4
	flat_load_b64 v[0:1], v[0:1]
.LBB834_31:
	s_or_b32 exec_lo, exec_lo, s5
	v_cmp_ge_u32_e64 s4, v10, v27
	s_mov_b32 s6, exec_lo
                                        ; implicit-def: $vgpr8_vgpr9
	v_cmpx_lt_u32_e64 v10, v27
	s_cbranch_execz .LBB834_33
; %bb.32:
	v_mov_b32_e32 v11, 0
	s_delay_alu instid0(VALU_DEP_1) | instskip(NEXT) | instid1(VALU_DEP_1)
	v_lshlrev_b64 v[8:9], 3, v[10:11]
	v_add_co_u32 v8, s5, v23, v8
	s_delay_alu instid0(VALU_DEP_1)
	v_add_co_ci_u32_e64 v9, s5, v24, v9, s5
	flat_load_b64 v[8:9], v[8:9]
.LBB834_33:
	s_or_b32 exec_lo, exec_lo, s6
	s_waitcnt vmcnt(0) lgkmcnt(0)
	v_and_b32_e32 v15, v9, v29
	v_and_b32_e32 v14, v8, v28
	;; [unrolled: 1-line block ×4, first 2 shown]
	s_delay_alu instid0(VALU_DEP_1) | instskip(SKIP_1) | instid1(VALU_DEP_2)
	v_cmp_le_u64_e64 s5, v[17:18], v[14:15]
	v_mov_b32_e32 v15, 0
	s_and_b32 s3, s3, s5
	s_delay_alu instid0(SALU_CYCLE_1) | instskip(NEXT) | instid1(SALU_CYCLE_1)
	s_or_b32 s3, s4, s3
	v_cndmask_b32_e64 v14, v10, v16, s3
	v_cndmask_b32_e64 v11, v27, v26, s3
	s_delay_alu instid0(VALU_DEP_2) | instskip(NEXT) | instid1(VALU_DEP_2)
	v_add_nc_u32_e32 v32, 1, v14
	v_add_nc_u32_e32 v11, -1, v11
	v_lshlrev_b64 v[17:18], 3, v[14:15]
	s_delay_alu instid0(VALU_DEP_3) | instskip(NEXT) | instid1(VALU_DEP_3)
	v_cndmask_b32_e64 v16, v16, v32, s3
	v_min_u32_e32 v14, v32, v11
	v_cndmask_b32_e64 v32, v32, v10, s3
	s_delay_alu instid0(VALU_DEP_3) | instskip(NEXT) | instid1(VALU_DEP_3)
	v_cmp_lt_u32_e64 s5, v16, v26
	v_lshlrev_b64 v[20:21], 3, v[14:15]
	s_delay_alu instid0(VALU_DEP_3) | instskip(NEXT) | instid1(VALU_DEP_2)
	v_cmp_ge_u32_e64 s6, v32, v27
	v_add_co_u32 v20, s4, v23, v20
	s_delay_alu instid0(VALU_DEP_1)
	v_add_co_ci_u32_e64 v21, s4, v24, v21, s4
	flat_load_b64 v[20:21], v[20:21]
	s_waitcnt vmcnt(0) lgkmcnt(0)
	v_cndmask_b32_e64 v34, v21, v9, s3
	v_cndmask_b32_e64 v35, v20, v8, s3
	;; [unrolled: 1-line block ×5, first 2 shown]
	v_and_b32_e32 v21, v34, v29
	v_and_b32_e32 v20, v35, v28
	;; [unrolled: 1-line block ×4, first 2 shown]
	v_cndmask_b32_e64 v8, v8, v0, s3
	s_delay_alu instid0(VALU_DEP_2) | instskip(NEXT) | instid1(VALU_DEP_1)
	v_cmp_le_u64_e64 s4, v[30:31], v[20:21]
	s_and_b32 s4, s5, s4
	s_delay_alu instid0(SALU_CYCLE_1) | instskip(NEXT) | instid1(SALU_CYCLE_1)
	s_or_b32 s4, s6, s4
	v_cndmask_b32_e64 v14, v32, v16, s4
	v_cndmask_b32_e64 v10, v27, v26, s4
	v_cndmask_b32_e64 v1, v34, v48, s4
	v_cndmask_b32_e64 v0, v35, v49, s4
	s_delay_alu instid0(VALU_DEP_4) | instskip(NEXT) | instid1(VALU_DEP_4)
	v_add_nc_u32_e32 v33, 1, v14
	v_add_nc_u32_e32 v20, -1, v10
	v_lshlrev_b64 v[10:11], 3, v[14:15]
	s_delay_alu instid0(VALU_DEP_3) | instskip(NEXT) | instid1(VALU_DEP_3)
	v_cndmask_b32_e64 v16, v16, v33, s4
	v_min_u32_e32 v14, v33, v20
	v_cndmask_b32_e64 v36, v33, v32, s4
	s_delay_alu instid0(VALU_DEP_3) | instskip(NEXT) | instid1(VALU_DEP_3)
	v_cmp_lt_u32_e64 s6, v16, v26
	v_lshlrev_b64 v[20:21], 3, v[14:15]
	s_delay_alu instid0(VALU_DEP_3) | instskip(NEXT) | instid1(VALU_DEP_2)
	v_cmp_ge_u32_e64 s7, v36, v27
	v_add_co_u32 v20, s5, v23, v20
	s_delay_alu instid0(VALU_DEP_1)
	v_add_co_ci_u32_e64 v21, s5, v24, v21, s5
	flat_load_b64 v[20:21], v[20:21]
	s_waitcnt vmcnt(0) lgkmcnt(0)
	v_cndmask_b32_e64 v50, v21, v34, s4
	v_cndmask_b32_e64 v51, v20, v35, s4
	;; [unrolled: 1-line block ×4, first 2 shown]
	s_delay_alu instid0(VALU_DEP_4) | instskip(NEXT) | instid1(VALU_DEP_4)
	v_and_b32_e32 v21, v50, v29
	v_and_b32_e32 v20, v51, v28
	s_delay_alu instid0(VALU_DEP_4) | instskip(NEXT) | instid1(VALU_DEP_4)
	v_and_b32_e32 v31, v52, v29
	v_and_b32_e32 v30, v53, v28
	s_delay_alu instid0(VALU_DEP_1) | instskip(NEXT) | instid1(VALU_DEP_1)
	v_cmp_le_u64_e64 s5, v[30:31], v[20:21]
	s_and_b32 s5, s6, s5
	s_delay_alu instid0(SALU_CYCLE_1) | instskip(NEXT) | instid1(SALU_CYCLE_1)
	s_or_b32 s5, s7, s5
	v_cndmask_b32_e64 v14, v36, v16, s5
	v_cndmask_b32_e64 v20, v27, v26, s5
	s_delay_alu instid0(VALU_DEP_2) | instskip(NEXT) | instid1(VALU_DEP_2)
	v_add_nc_u32_e32 v37, 1, v14
	v_add_nc_u32_e32 v30, -1, v20
	v_lshlrev_b64 v[20:21], 3, v[14:15]
	s_delay_alu instid0(VALU_DEP_3) | instskip(NEXT) | instid1(VALU_DEP_3)
	v_cndmask_b32_e64 v36, v37, v36, s5
	v_min_u32_e32 v14, v37, v30
	s_delay_alu instid0(VALU_DEP_2) | instskip(NEXT) | instid1(VALU_DEP_2)
	v_cmp_ge_u32_e64 s10, v36, v27
	v_lshlrev_b64 v[30:31], 3, v[14:15]
	v_cndmask_b32_e64 v14, v16, v37, s5
	s_delay_alu instid0(VALU_DEP_2) | instskip(NEXT) | instid1(VALU_DEP_1)
	v_add_co_u32 v30, s6, v23, v30
	v_add_co_ci_u32_e64 v31, s6, v24, v31, s6
	s_delay_alu instid0(VALU_DEP_3)
	v_cmp_lt_u32_e64 s7, v14, v26
	flat_load_b64 v[30:31], v[30:31]
	s_waitcnt vmcnt(0) lgkmcnt(0)
	v_cndmask_b32_e64 v54, v31, v50, s5
	v_cndmask_b32_e64 v55, v30, v51, s5
	;; [unrolled: 1-line block ×4, first 2 shown]
	s_delay_alu instid0(VALU_DEP_4) | instskip(NEXT) | instid1(VALU_DEP_4)
	v_and_b32_e32 v31, v54, v29
	v_and_b32_e32 v30, v55, v28
	s_delay_alu instid0(VALU_DEP_4) | instskip(NEXT) | instid1(VALU_DEP_4)
	v_and_b32_e32 v33, v64, v29
	v_and_b32_e32 v32, v65, v28
	s_delay_alu instid0(VALU_DEP_1) | instskip(NEXT) | instid1(VALU_DEP_1)
	v_cmp_le_u64_e64 s6, v[32:33], v[30:31]
	s_and_b32 s7, s7, s6
	v_add_co_u32 v16, s6, v19, v17
	s_delay_alu instid0(VALU_DEP_1)
	v_add_co_ci_u32_e64 v17, s6, v22, v18, s6
	s_or_b32 s6, s10, s7
	v_add_co_u32 v10, s7, v19, v10
	v_cndmask_b32_e64 v14, v36, v14, s6
	v_add_co_ci_u32_e64 v11, s7, v22, v11, s7
	v_add_co_u32 v20, s7, v19, v20
	s_delay_alu instid0(VALU_DEP_3) | instskip(SKIP_1) | instid1(VALU_DEP_2)
	v_lshlrev_b64 v[14:15], 3, v[14:15]
	v_add_co_ci_u32_e64 v21, s7, v22, v21, s7
	v_add_co_u32 v14, s7, v19, v14
	s_delay_alu instid0(VALU_DEP_1)
	v_add_co_ci_u32_e64 v15, s7, v22, v15, s7
	s_clause 0x3
	flat_load_b64 v[36:37], v[16:17]
	flat_load_b64 v[38:39], v[10:11]
	;; [unrolled: 1-line block ×4, first 2 shown]
	v_cndmask_b32_e64 v15, v50, v52, s5
	v_cndmask_b32_e64 v14, v51, v53, s5
	;; [unrolled: 1-line block ×4, first 2 shown]
.LBB834_34:
	s_or_b32 exec_lo, exec_lo, s14
	v_and_b32_e32 v27, 0x70, v87
	s_delay_alu instid0(VALU_DEP_2) | instskip(SKIP_2) | instid1(VALU_DEP_3)
	v_dual_mov_b32 v16, v20 :: v_dual_and_b32 v11, 12, v87
	v_mov_b32_e32 v17, v21
	s_mov_b32 s4, exec_lo
	v_or_b32_e32 v10, 8, v27
	s_delay_alu instid0(VALU_DEP_3) | instskip(SKIP_1) | instid1(VALU_DEP_3)
	v_min_u32_e32 v30, v25, v11
	; wave barrier
	v_mov_b32_e32 v11, v1
	v_min_u32_e32 v18, v25, v10
	s_delay_alu instid0(VALU_DEP_1) | instskip(NEXT) | instid1(VALU_DEP_1)
	v_add_nc_u32_e32 v10, 8, v18
	v_min_u32_e32 v26, v25, v10
	v_mov_b32_e32 v10, v0
	v_sub_nc_u32_e32 v32, v18, v27
	s_clause 0x1
	flat_store_b128 v[4:5], v[8:11]
	flat_store_b128 v[4:5], v[14:17] offset:16
	s_waitcnt vmcnt(2) lgkmcnt(4)
	flat_store_b128 v[12:13], v[36:39]
	s_waitcnt vmcnt(0) lgkmcnt(3)
	flat_store_b128 v[12:13], v[80:83] offset:16
	v_sub_nc_u32_e32 v31, v26, v18
	v_min_u32_e32 v32, v30, v32
	; wave barrier
	s_delay_alu instid0(VALU_DEP_2) | instskip(NEXT) | instid1(VALU_DEP_1)
	v_sub_nc_u32_e64 v31, v30, v31 clamp
	v_cmpx_lt_u32_e64 v31, v32
	s_cbranch_execz .LBB834_38
; %bb.35:
	v_lshlrev_b32_e32 v10, 3, v27
	v_lshlrev_b32_e32 v11, 3, v18
	s_mov_b32 s5, 0
	s_delay_alu instid0(VALU_DEP_2) | instskip(NEXT) | instid1(VALU_DEP_1)
	v_add_co_u32 v16, s3, v23, v10
	v_add_co_ci_u32_e64 v17, s3, 0, v24, s3
	s_delay_alu instid0(VALU_DEP_3)
	v_add_co_u32 v33, s3, v23, v11
	v_mov_b32_e32 v11, 0
	v_add_co_ci_u32_e64 v34, s3, 0, v24, s3
	s_set_inst_prefetch_distance 0x1
	.p2align	6
.LBB834_36:                             ; =>This Inner Loop Header: Depth=1
	s_delay_alu instid0(VALU_DEP_2) | instskip(NEXT) | instid1(VALU_DEP_1)
	v_dual_mov_b32 v49, v11 :: v_dual_add_nc_u32 v10, v32, v31
	v_lshrrev_b32_e32 v10, 1, v10
	s_delay_alu instid0(VALU_DEP_1) | instskip(SKIP_2) | instid1(VALU_DEP_3)
	v_xad_u32 v48, v10, -1, v30
	v_lshlrev_b64 v[50:51], 3, v[10:11]
	v_add_nc_u32_e32 v35, 1, v10
	v_lshlrev_b64 v[48:49], 3, v[48:49]
	s_delay_alu instid0(VALU_DEP_3) | instskip(NEXT) | instid1(VALU_DEP_1)
	v_add_co_u32 v50, s3, v16, v50
	v_add_co_ci_u32_e64 v51, s3, v17, v51, s3
	s_delay_alu instid0(VALU_DEP_3) | instskip(NEXT) | instid1(VALU_DEP_1)
	v_add_co_u32 v48, s3, v33, v48
	v_add_co_ci_u32_e64 v49, s3, v34, v49, s3
	s_clause 0x1
	flat_load_b64 v[50:51], v[50:51]
	flat_load_b64 v[48:49], v[48:49]
	s_waitcnt vmcnt(1) lgkmcnt(1)
	v_and_b32_e32 v51, v51, v29
	v_and_b32_e32 v50, v50, v28
	s_waitcnt vmcnt(0) lgkmcnt(0)
	v_and_b32_e32 v49, v49, v29
	v_and_b32_e32 v48, v48, v28
	s_delay_alu instid0(VALU_DEP_1) | instskip(NEXT) | instid1(VALU_DEP_1)
	v_cmp_gt_u64_e64 s3, v[50:51], v[48:49]
	v_cndmask_b32_e64 v32, v32, v10, s3
	v_cndmask_b32_e64 v31, v35, v31, s3
	s_delay_alu instid0(VALU_DEP_1) | instskip(NEXT) | instid1(VALU_DEP_1)
	v_cmp_ge_u32_e64 s3, v31, v32
	s_or_b32 s5, s3, s5
	s_delay_alu instid0(SALU_CYCLE_1)
	s_and_not1_b32 exec_lo, exec_lo, s5
	s_cbranch_execnz .LBB834_36
; %bb.37:
	s_set_inst_prefetch_distance 0x2
	s_or_b32 exec_lo, exec_lo, s5
.LBB834_38:
	s_delay_alu instid0(SALU_CYCLE_1) | instskip(SKIP_2) | instid1(VALU_DEP_2)
	s_or_b32 exec_lo, exec_lo, s4
	v_add_nc_u32_e32 v10, v18, v30
	v_add_nc_u32_e32 v16, v31, v27
	v_sub_nc_u32_e32 v10, v10, v31
	s_delay_alu instid0(VALU_DEP_2) | instskip(NEXT) | instid1(VALU_DEP_2)
	v_cmp_le_u32_e64 s3, v16, v18
	v_cmp_le_u32_e64 s4, v10, v26
	s_delay_alu instid0(VALU_DEP_1) | instskip(NEXT) | instid1(SALU_CYCLE_1)
	s_or_b32 s3, s3, s4
	s_and_saveexec_b32 s14, s3
	s_cbranch_execz .LBB834_44
; %bb.39:
	v_cmp_lt_u32_e64 s3, v16, v18
                                        ; implicit-def: $vgpr0_vgpr1
	s_delay_alu instid0(VALU_DEP_1)
	s_and_saveexec_b32 s5, s3
	s_cbranch_execz .LBB834_41
; %bb.40:
	v_mov_b32_e32 v17, 0
	s_delay_alu instid0(VALU_DEP_1) | instskip(NEXT) | instid1(VALU_DEP_1)
	v_lshlrev_b64 v[0:1], 3, v[16:17]
	v_add_co_u32 v0, s4, v23, v0
	s_delay_alu instid0(VALU_DEP_1)
	v_add_co_ci_u32_e64 v1, s4, v24, v1, s4
	flat_load_b64 v[0:1], v[0:1]
.LBB834_41:
	s_or_b32 exec_lo, exec_lo, s5
	v_cmp_ge_u32_e64 s4, v10, v26
	s_mov_b32 s6, exec_lo
                                        ; implicit-def: $vgpr8_vgpr9
	v_cmpx_lt_u32_e64 v10, v26
	s_cbranch_execz .LBB834_43
; %bb.42:
	v_mov_b32_e32 v11, 0
	s_delay_alu instid0(VALU_DEP_1) | instskip(NEXT) | instid1(VALU_DEP_1)
	v_lshlrev_b64 v[8:9], 3, v[10:11]
	v_add_co_u32 v8, s5, v23, v8
	s_delay_alu instid0(VALU_DEP_1)
	v_add_co_ci_u32_e64 v9, s5, v24, v9, s5
	flat_load_b64 v[8:9], v[8:9]
.LBB834_43:
	s_or_b32 exec_lo, exec_lo, s6
	s_waitcnt vmcnt(0) lgkmcnt(0)
	v_and_b32_e32 v15, v9, v29
	v_and_b32_e32 v14, v8, v28
	;; [unrolled: 1-line block ×4, first 2 shown]
	s_delay_alu instid0(VALU_DEP_1) | instskip(SKIP_1) | instid1(VALU_DEP_2)
	v_cmp_le_u64_e64 s5, v[20:21], v[14:15]
	v_mov_b32_e32 v15, 0
	s_and_b32 s3, s3, s5
	s_delay_alu instid0(SALU_CYCLE_1) | instskip(NEXT) | instid1(SALU_CYCLE_1)
	s_or_b32 s3, s4, s3
	v_cndmask_b32_e64 v14, v10, v16, s3
	v_cndmask_b32_e64 v11, v26, v18, s3
	s_delay_alu instid0(VALU_DEP_2) | instskip(NEXT) | instid1(VALU_DEP_2)
	v_add_nc_u32_e32 v17, 1, v14
	v_add_nc_u32_e32 v11, -1, v11
	v_lshlrev_b64 v[20:21], 3, v[14:15]
	s_delay_alu instid0(VALU_DEP_3) | instskip(NEXT) | instid1(VALU_DEP_3)
	v_cndmask_b32_e64 v36, v16, v17, s3
	v_min_u32_e32 v14, v17, v11
	v_cndmask_b32_e64 v37, v17, v10, s3
	s_delay_alu instid0(VALU_DEP_3) | instskip(NEXT) | instid1(VALU_DEP_3)
	v_cmp_lt_u32_e64 s5, v36, v18
	v_lshlrev_b64 v[30:31], 3, v[14:15]
	s_delay_alu instid0(VALU_DEP_3) | instskip(NEXT) | instid1(VALU_DEP_2)
	v_cmp_ge_u32_e64 s6, v37, v26
	v_add_co_u32 v30, s4, v23, v30
	s_delay_alu instid0(VALU_DEP_1)
	v_add_co_ci_u32_e64 v31, s4, v24, v31, s4
	flat_load_b64 v[30:31], v[30:31]
	s_waitcnt vmcnt(0) lgkmcnt(0)
	v_cndmask_b32_e64 v27, v31, v9, s3
	v_cndmask_b32_e64 v34, v30, v8, s3
	;; [unrolled: 1-line block ×5, first 2 shown]
	v_and_b32_e32 v31, v27, v29
	v_and_b32_e32 v30, v34, v28
	;; [unrolled: 1-line block ×4, first 2 shown]
	v_cndmask_b32_e64 v8, v8, v0, s3
	s_delay_alu instid0(VALU_DEP_2) | instskip(NEXT) | instid1(VALU_DEP_1)
	v_cmp_le_u64_e64 s4, v[32:33], v[30:31]
	s_and_b32 s4, s5, s4
	s_delay_alu instid0(SALU_CYCLE_1) | instskip(NEXT) | instid1(SALU_CYCLE_1)
	s_or_b32 s4, s6, s4
	v_cndmask_b32_e64 v14, v37, v36, s4
	v_cndmask_b32_e64 v10, v26, v18, s4
	;; [unrolled: 1-line block ×4, first 2 shown]
	s_delay_alu instid0(VALU_DEP_4) | instskip(NEXT) | instid1(VALU_DEP_4)
	v_add_nc_u32_e32 v32, 1, v14
	v_add_nc_u32_e32 v16, -1, v10
	v_lshlrev_b64 v[10:11], 3, v[14:15]
	s_delay_alu instid0(VALU_DEP_3) | instskip(NEXT) | instid1(VALU_DEP_3)
	v_cndmask_b32_e64 v36, v36, v32, s4
	v_min_u32_e32 v14, v32, v16
	v_cndmask_b32_e64 v37, v32, v37, s4
	s_delay_alu instid0(VALU_DEP_3) | instskip(NEXT) | instid1(VALU_DEP_3)
	v_cmp_lt_u32_e64 s6, v36, v18
	v_lshlrev_b64 v[16:17], 3, v[14:15]
	s_delay_alu instid0(VALU_DEP_3) | instskip(NEXT) | instid1(VALU_DEP_2)
	v_cmp_ge_u32_e64 s7, v37, v26
	v_add_co_u32 v16, s5, v23, v16
	s_delay_alu instid0(VALU_DEP_1)
	v_add_co_ci_u32_e64 v17, s5, v24, v17, s5
	flat_load_b64 v[16:17], v[16:17]
	s_waitcnt vmcnt(0) lgkmcnt(0)
	v_cndmask_b32_e64 v49, v17, v27, s4
	v_cndmask_b32_e64 v50, v16, v34, s4
	v_cndmask_b32_e64 v51, v35, v17, s4
	v_cndmask_b32_e64 v52, v48, v16, s4
	s_delay_alu instid0(VALU_DEP_4) | instskip(NEXT) | instid1(VALU_DEP_4)
	v_and_b32_e32 v17, v49, v29
	v_and_b32_e32 v16, v50, v28
	s_delay_alu instid0(VALU_DEP_4) | instskip(NEXT) | instid1(VALU_DEP_4)
	v_and_b32_e32 v31, v51, v29
	v_and_b32_e32 v30, v52, v28
	s_delay_alu instid0(VALU_DEP_1) | instskip(NEXT) | instid1(VALU_DEP_1)
	v_cmp_le_u64_e64 s5, v[30:31], v[16:17]
	s_and_b32 s5, s6, s5
	s_delay_alu instid0(SALU_CYCLE_1) | instskip(NEXT) | instid1(SALU_CYCLE_1)
	s_or_b32 s5, s7, s5
	v_cndmask_b32_e64 v14, v37, v36, s5
	v_cndmask_b32_e64 v16, v26, v18, s5
	s_delay_alu instid0(VALU_DEP_2) | instskip(NEXT) | instid1(VALU_DEP_2)
	v_add_nc_u32_e32 v38, 1, v14
	v_add_nc_u32_e32 v30, -1, v16
	v_lshlrev_b64 v[16:17], 3, v[14:15]
	s_delay_alu instid0(VALU_DEP_2) | instskip(NEXT) | instid1(VALU_DEP_1)
	v_min_u32_e32 v14, v38, v30
	v_lshlrev_b64 v[30:31], 3, v[14:15]
	v_cndmask_b32_e64 v14, v36, v38, s5
	v_cndmask_b32_e64 v36, v38, v37, s5
	s_delay_alu instid0(VALU_DEP_3) | instskip(NEXT) | instid1(VALU_DEP_1)
	v_add_co_u32 v30, s6, v23, v30
	v_add_co_ci_u32_e64 v31, s6, v24, v31, s6
	s_delay_alu instid0(VALU_DEP_4) | instskip(NEXT) | instid1(VALU_DEP_4)
	v_cmp_lt_u32_e64 s7, v14, v18
	v_cmp_ge_u32_e64 s10, v36, v26
	flat_load_b64 v[30:31], v[30:31]
	s_waitcnt vmcnt(0) lgkmcnt(0)
	v_cndmask_b32_e64 v53, v31, v49, s5
	v_cndmask_b32_e64 v54, v30, v50, s5
	;; [unrolled: 1-line block ×4, first 2 shown]
	s_delay_alu instid0(VALU_DEP_4) | instskip(NEXT) | instid1(VALU_DEP_4)
	v_and_b32_e32 v31, v53, v29
	v_and_b32_e32 v30, v54, v28
	s_delay_alu instid0(VALU_DEP_4) | instskip(NEXT) | instid1(VALU_DEP_4)
	v_and_b32_e32 v33, v55, v29
	v_and_b32_e32 v32, v64, v28
	s_delay_alu instid0(VALU_DEP_1) | instskip(NEXT) | instid1(VALU_DEP_1)
	v_cmp_le_u64_e64 s6, v[32:33], v[30:31]
	s_and_b32 s7, s7, s6
	v_add_co_u32 v20, s6, v19, v20
	s_delay_alu instid0(VALU_DEP_1)
	v_add_co_ci_u32_e64 v21, s6, v22, v21, s6
	s_or_b32 s6, s10, s7
	v_add_co_u32 v10, s7, v19, v10
	v_cndmask_b32_e64 v14, v36, v14, s6
	v_add_co_ci_u32_e64 v11, s7, v22, v11, s7
	v_add_co_u32 v16, s7, v19, v16
	s_delay_alu instid0(VALU_DEP_3) | instskip(SKIP_1) | instid1(VALU_DEP_2)
	v_lshlrev_b64 v[14:15], 3, v[14:15]
	v_add_co_ci_u32_e64 v17, s7, v22, v17, s7
	v_add_co_u32 v14, s7, v19, v14
	s_delay_alu instid0(VALU_DEP_1)
	v_add_co_ci_u32_e64 v15, s7, v22, v15, s7
	s_clause 0x3
	flat_load_b64 v[36:37], v[20:21]
	flat_load_b64 v[38:39], v[10:11]
	;; [unrolled: 1-line block ×4, first 2 shown]
	v_cndmask_b32_e64 v15, v49, v51, s5
	v_cndmask_b32_e64 v14, v50, v52, s5
	v_cndmask_b32_e64 v21, v53, v55, s6
	v_cndmask_b32_e64 v20, v54, v64, s6
.LBB834_44:
	s_or_b32 exec_lo, exec_lo, s14
	s_delay_alu instid0(VALU_DEP_1) | instskip(NEXT) | instid1(VALU_DEP_3)
	v_dual_mov_b32 v16, v20 :: v_dual_and_b32 v27, 0x60, v87
	v_mov_b32_e32 v17, v21
	s_mov_b32 s4, exec_lo
	s_delay_alu instid0(VALU_DEP_2) | instskip(SKIP_1) | instid1(VALU_DEP_2)
	v_or_b32_e32 v10, 16, v27
	; wave barrier
	v_mov_b32_e32 v11, v1
	v_min_u32_e32 v18, v25, v10
	s_delay_alu instid0(VALU_DEP_1) | instskip(NEXT) | instid1(VALU_DEP_1)
	v_add_nc_u32_e32 v10, 16, v18
	v_min_u32_e32 v26, v25, v10
	v_mov_b32_e32 v10, v0
	v_min_u32_e32 v25, v25, v96
	v_sub_nc_u32_e32 v31, v18, v27
	s_clause 0x1
	flat_store_b128 v[4:5], v[8:11]
	flat_store_b128 v[4:5], v[14:17] offset:16
	s_waitcnt vmcnt(2) lgkmcnt(4)
	flat_store_b128 v[12:13], v[36:39]
	s_waitcnt vmcnt(0) lgkmcnt(3)
	flat_store_b128 v[12:13], v[80:83] offset:16
	v_sub_nc_u32_e32 v30, v26, v18
	v_min_u32_e32 v31, v25, v31
	; wave barrier
	s_delay_alu instid0(VALU_DEP_2) | instskip(NEXT) | instid1(VALU_DEP_1)
	v_sub_nc_u32_e64 v30, v25, v30 clamp
	v_cmpx_lt_u32_e64 v30, v31
	s_cbranch_execz .LBB834_48
; %bb.45:
	v_lshlrev_b32_e32 v4, 3, v27
	v_lshlrev_b32_e32 v5, 3, v18
	s_mov_b32 s5, 0
	s_delay_alu instid0(VALU_DEP_2) | instskip(NEXT) | instid1(VALU_DEP_1)
	v_add_co_u32 v10, s3, v23, v4
	v_add_co_ci_u32_e64 v11, s3, 0, v24, s3
	s_delay_alu instid0(VALU_DEP_3)
	v_add_co_u32 v12, s3, v23, v5
	v_mov_b32_e32 v5, 0
	v_add_co_ci_u32_e64 v13, s3, 0, v24, s3
	s_set_inst_prefetch_distance 0x1
	.p2align	6
.LBB834_46:                             ; =>This Inner Loop Header: Depth=1
	s_delay_alu instid0(VALU_DEP_2) | instskip(NEXT) | instid1(VALU_DEP_1)
	v_dual_mov_b32 v17, v5 :: v_dual_add_nc_u32 v4, v31, v30
	v_lshrrev_b32_e32 v4, 1, v4
	s_delay_alu instid0(VALU_DEP_1) | instskip(SKIP_1) | instid1(VALU_DEP_2)
	v_xad_u32 v16, v4, -1, v25
	v_lshlrev_b64 v[32:33], 3, v[4:5]
	v_lshlrev_b64 v[16:17], 3, v[16:17]
	s_delay_alu instid0(VALU_DEP_2) | instskip(NEXT) | instid1(VALU_DEP_1)
	v_add_co_u32 v32, s3, v10, v32
	v_add_co_ci_u32_e64 v33, s3, v11, v33, s3
	s_delay_alu instid0(VALU_DEP_3) | instskip(NEXT) | instid1(VALU_DEP_1)
	v_add_co_u32 v16, s3, v12, v16
	v_add_co_ci_u32_e64 v17, s3, v13, v17, s3
	s_clause 0x1
	flat_load_b64 v[32:33], v[32:33]
	flat_load_b64 v[16:17], v[16:17]
	s_waitcnt vmcnt(1) lgkmcnt(1)
	v_and_b32_e32 v33, v33, v29
	v_and_b32_e32 v32, v32, v28
	s_waitcnt vmcnt(0) lgkmcnt(0)
	v_and_b32_e32 v17, v17, v29
	v_and_b32_e32 v16, v16, v28
	s_delay_alu instid0(VALU_DEP_1) | instskip(SKIP_1) | instid1(VALU_DEP_2)
	v_cmp_gt_u64_e64 s3, v[32:33], v[16:17]
	v_add_nc_u32_e32 v16, 1, v4
	v_cndmask_b32_e64 v31, v31, v4, s3
	s_delay_alu instid0(VALU_DEP_2) | instskip(NEXT) | instid1(VALU_DEP_1)
	v_cndmask_b32_e64 v30, v16, v30, s3
	v_cmp_ge_u32_e64 s3, v30, v31
	s_delay_alu instid0(VALU_DEP_1) | instskip(NEXT) | instid1(SALU_CYCLE_1)
	s_or_b32 s5, s3, s5
	s_and_not1_b32 exec_lo, exec_lo, s5
	s_cbranch_execnz .LBB834_46
; %bb.47:
	s_set_inst_prefetch_distance 0x2
	s_or_b32 exec_lo, exec_lo, s5
.LBB834_48:
	s_delay_alu instid0(SALU_CYCLE_1) | instskip(SKIP_2) | instid1(VALU_DEP_2)
	s_or_b32 exec_lo, exec_lo, s4
	v_add_nc_u32_e32 v4, v18, v25
	v_add_nc_u32_e32 v12, v30, v27
	v_sub_nc_u32_e32 v10, v4, v30
	s_delay_alu instid0(VALU_DEP_2) | instskip(NEXT) | instid1(VALU_DEP_2)
	v_cmp_le_u32_e64 s3, v12, v18
	v_cmp_le_u32_e64 s4, v10, v26
	s_delay_alu instid0(VALU_DEP_1) | instskip(NEXT) | instid1(SALU_CYCLE_1)
	s_or_b32 s3, s3, s4
	s_and_saveexec_b32 s14, s3
	s_cbranch_execz .LBB834_54
; %bb.49:
	v_cmp_lt_u32_e64 s3, v12, v18
                                        ; implicit-def: $vgpr0_vgpr1
	s_delay_alu instid0(VALU_DEP_1)
	s_and_saveexec_b32 s5, s3
	s_cbranch_execz .LBB834_51
; %bb.50:
	v_mov_b32_e32 v13, 0
	s_delay_alu instid0(VALU_DEP_1) | instskip(NEXT) | instid1(VALU_DEP_1)
	v_lshlrev_b64 v[0:1], 3, v[12:13]
	v_add_co_u32 v0, s4, v23, v0
	s_delay_alu instid0(VALU_DEP_1)
	v_add_co_ci_u32_e64 v1, s4, v24, v1, s4
	flat_load_b64 v[0:1], v[0:1]
.LBB834_51:
	s_or_b32 exec_lo, exec_lo, s5
	v_cmp_ge_u32_e64 s4, v10, v26
	s_mov_b32 s6, exec_lo
                                        ; implicit-def: $vgpr4_vgpr5
	v_cmpx_lt_u32_e64 v10, v26
	s_cbranch_execz .LBB834_53
; %bb.52:
	v_mov_b32_e32 v11, 0
	s_delay_alu instid0(VALU_DEP_1) | instskip(NEXT) | instid1(VALU_DEP_1)
	v_lshlrev_b64 v[4:5], 3, v[10:11]
	v_add_co_u32 v4, s5, v23, v4
	s_delay_alu instid0(VALU_DEP_1)
	v_add_co_ci_u32_e64 v5, s5, v24, v5, s5
	flat_load_b64 v[4:5], v[4:5]
.LBB834_53:
	s_or_b32 exec_lo, exec_lo, s6
	s_waitcnt vmcnt(0) lgkmcnt(0)
	v_and_b32_e32 v9, v5, v29
	v_and_b32_e32 v8, v4, v28
	v_and_b32_e32 v14, v1, v29
	v_and_b32_e32 v13, v0, v28
	s_delay_alu instid0(VALU_DEP_1) | instskip(SKIP_1) | instid1(VALU_DEP_2)
	v_cmp_le_u64_e64 s5, v[13:14], v[8:9]
	v_mov_b32_e32 v9, 0
	s_and_b32 s3, s3, s5
	s_delay_alu instid0(SALU_CYCLE_1) | instskip(NEXT) | instid1(SALU_CYCLE_1)
	s_or_b32 s3, s4, s3
	v_cndmask_b32_e64 v8, v10, v12, s3
	v_cndmask_b32_e64 v11, v26, v18, s3
	s_delay_alu instid0(VALU_DEP_2) | instskip(NEXT) | instid1(VALU_DEP_2)
	v_add_nc_u32_e32 v17, 1, v8
	v_add_nc_u32_e32 v11, -1, v11
	v_lshlrev_b64 v[13:14], 3, v[8:9]
	s_delay_alu instid0(VALU_DEP_3) | instskip(NEXT) | instid1(VALU_DEP_3)
	v_cndmask_b32_e64 v12, v12, v17, s3
	v_min_u32_e32 v8, v17, v11
	v_cndmask_b32_e64 v17, v17, v10, s3
	s_delay_alu instid0(VALU_DEP_3) | instskip(NEXT) | instid1(VALU_DEP_3)
	v_cmp_lt_u32_e64 s5, v12, v18
	v_lshlrev_b64 v[15:16], 3, v[8:9]
	s_delay_alu instid0(VALU_DEP_3) | instskip(NEXT) | instid1(VALU_DEP_2)
	v_cmp_ge_u32_e64 s6, v17, v26
	v_add_co_u32 v15, s4, v23, v15
	s_delay_alu instid0(VALU_DEP_1)
	v_add_co_ci_u32_e64 v16, s4, v24, v16, s4
	flat_load_b64 v[15:16], v[15:16]
	s_waitcnt vmcnt(0) lgkmcnt(0)
	v_cndmask_b32_e64 v25, v16, v5, s3
	v_cndmask_b32_e64 v27, v15, v4, s3
	;; [unrolled: 1-line block ×4, first 2 shown]
	s_delay_alu instid0(VALU_DEP_4) | instskip(NEXT) | instid1(VALU_DEP_4)
	v_and_b32_e32 v16, v25, v29
	v_and_b32_e32 v15, v27, v28
	s_delay_alu instid0(VALU_DEP_4) | instskip(NEXT) | instid1(VALU_DEP_4)
	v_and_b32_e32 v21, v30, v29
	v_and_b32_e32 v20, v31, v28
	s_delay_alu instid0(VALU_DEP_1) | instskip(NEXT) | instid1(VALU_DEP_1)
	v_cmp_le_u64_e64 s4, v[20:21], v[15:16]
	s_and_b32 s4, s5, s4
	s_delay_alu instid0(SALU_CYCLE_1) | instskip(NEXT) | instid1(SALU_CYCLE_1)
	s_or_b32 s4, s6, s4
	v_cndmask_b32_e64 v8, v17, v12, s4
	v_cndmask_b32_e64 v10, v26, v18, s4
	s_delay_alu instid0(VALU_DEP_2) | instskip(NEXT) | instid1(VALU_DEP_2)
	v_add_nc_u32_e32 v32, 1, v8
	v_add_nc_u32_e32 v15, -1, v10
	v_lshlrev_b64 v[10:11], 3, v[8:9]
	s_delay_alu instid0(VALU_DEP_3) | instskip(NEXT) | instid1(VALU_DEP_3)
	v_cndmask_b32_e64 v12, v12, v32, s4
	v_min_u32_e32 v8, v32, v15
	v_cndmask_b32_e64 v17, v32, v17, s4
	s_delay_alu instid0(VALU_DEP_3) | instskip(NEXT) | instid1(VALU_DEP_3)
	v_cmp_lt_u32_e64 s6, v12, v18
	v_lshlrev_b64 v[15:16], 3, v[8:9]
	s_delay_alu instid0(VALU_DEP_3) | instskip(NEXT) | instid1(VALU_DEP_2)
	v_cmp_ge_u32_e64 s7, v17, v26
	v_add_co_u32 v15, s5, v23, v15
	s_delay_alu instid0(VALU_DEP_1)
	v_add_co_ci_u32_e64 v16, s5, v24, v16, s5
	flat_load_b64 v[15:16], v[15:16]
	s_waitcnt vmcnt(0) lgkmcnt(0)
	v_cndmask_b32_e64 v33, v16, v25, s4
	v_cndmask_b32_e64 v34, v15, v27, s4
	;; [unrolled: 1-line block ×4, first 2 shown]
	s_delay_alu instid0(VALU_DEP_4) | instskip(NEXT) | instid1(VALU_DEP_4)
	v_and_b32_e32 v16, v33, v29
	v_and_b32_e32 v15, v34, v28
	s_delay_alu instid0(VALU_DEP_4) | instskip(NEXT) | instid1(VALU_DEP_4)
	v_and_b32_e32 v21, v35, v29
	v_and_b32_e32 v20, v48, v28
	s_delay_alu instid0(VALU_DEP_1) | instskip(NEXT) | instid1(VALU_DEP_1)
	v_cmp_le_u64_e64 s5, v[20:21], v[15:16]
	s_and_b32 s5, s6, s5
	s_delay_alu instid0(SALU_CYCLE_1) | instskip(NEXT) | instid1(SALU_CYCLE_1)
	s_or_b32 s5, s7, s5
	v_cndmask_b32_e64 v8, v17, v12, s5
	v_cndmask_b32_e64 v15, v26, v18, s5
	s_delay_alu instid0(VALU_DEP_2) | instskip(NEXT) | instid1(VALU_DEP_2)
	v_add_nc_u32_e32 v32, 1, v8
	v_add_nc_u32_e32 v20, -1, v15
	v_lshlrev_b64 v[15:16], 3, v[8:9]
	s_delay_alu instid0(VALU_DEP_3) | instskip(NEXT) | instid1(VALU_DEP_3)
	v_cndmask_b32_e64 v17, v32, v17, s5
	v_min_u32_e32 v8, v32, v20
	s_delay_alu instid0(VALU_DEP_2) | instskip(NEXT) | instid1(VALU_DEP_2)
	v_cmp_ge_u32_e64 s10, v17, v26
	v_lshlrev_b64 v[20:21], 3, v[8:9]
	v_cndmask_b32_e64 v8, v12, v32, s5
	s_delay_alu instid0(VALU_DEP_2) | instskip(NEXT) | instid1(VALU_DEP_1)
	v_add_co_u32 v20, s6, v23, v20
	v_add_co_ci_u32_e64 v21, s6, v24, v21, s6
	s_delay_alu instid0(VALU_DEP_3)
	v_cmp_lt_u32_e64 s7, v8, v18
	flat_load_b64 v[20:21], v[20:21]
	s_waitcnt vmcnt(0) lgkmcnt(0)
	v_cndmask_b32_e64 v49, v21, v33, s5
	v_cndmask_b32_e64 v50, v20, v34, s5
	v_cndmask_b32_e64 v51, v35, v21, s5
	v_cndmask_b32_e64 v52, v48, v20, s5
	s_delay_alu instid0(VALU_DEP_4) | instskip(NEXT) | instid1(VALU_DEP_4)
	v_and_b32_e32 v21, v49, v29
	v_and_b32_e32 v20, v50, v28
	s_delay_alu instid0(VALU_DEP_4) | instskip(NEXT) | instid1(VALU_DEP_4)
	v_and_b32_e32 v24, v51, v29
	v_and_b32_e32 v23, v52, v28
	s_delay_alu instid0(VALU_DEP_1) | instskip(NEXT) | instid1(VALU_DEP_1)
	v_cmp_le_u64_e64 s6, v[23:24], v[20:21]
	s_and_b32 s7, s7, s6
	v_add_co_u32 v12, s6, v19, v13
	s_delay_alu instid0(VALU_DEP_1)
	v_add_co_ci_u32_e64 v13, s6, v22, v14, s6
	s_or_b32 s6, s10, s7
	v_add_co_u32 v10, s7, v19, v10
	v_cndmask_b32_e64 v8, v17, v8, s6
	v_add_co_ci_u32_e64 v11, s7, v22, v11, s7
	v_add_co_u32 v14, s7, v19, v15
	s_delay_alu instid0(VALU_DEP_3) | instskip(SKIP_3) | instid1(VALU_DEP_4)
	v_lshlrev_b64 v[8:9], 3, v[8:9]
	v_add_co_ci_u32_e64 v15, s7, v22, v16, s7
	v_cndmask_b32_e64 v21, v49, v51, s6
	v_cndmask_b32_e64 v20, v50, v52, s6
	v_add_co_u32 v8, s7, v19, v8
	s_delay_alu instid0(VALU_DEP_1)
	v_add_co_ci_u32_e64 v9, s7, v22, v9, s7
	s_clause 0x3
	flat_load_b64 v[36:37], v[12:13]
	flat_load_b64 v[38:39], v[10:11]
	;; [unrolled: 1-line block ×4, first 2 shown]
	v_cndmask_b32_e64 v9, v5, v1, s3
	v_cndmask_b32_e64 v8, v4, v0, s3
	;; [unrolled: 1-line block ×6, first 2 shown]
.LBB834_54:
	s_or_b32 exec_lo, exec_lo, s14
                                        ; implicit-def: $vgpr22_vgpr23_vgpr24_vgpr25_vgpr26_vgpr27_vgpr28_vgpr29
	; wave barrier
	s_waitcnt vmcnt(0) lgkmcnt(0)
	s_waitcnt_vscnt null, 0x0
	s_barrier
                                        ; implicit-def: $vgpr87
                                        ; implicit-def: $vgpr12
                                        ; implicit-def: $vgpr13
                                        ; implicit-def: $vgpr96
                                        ; implicit-def: $vgpr5
                                        ; implicit-def: $vgpr16
                                        ; implicit-def: $vgpr4
                                        ; implicit-def: $vgpr48_vgpr49_vgpr50_vgpr51_vgpr52_vgpr53_vgpr54_vgpr55
                                        ; implicit-def: $vgpr28_vgpr29_vgpr30_vgpr31_vgpr32_vgpr33_vgpr34_vgpr35
.LBB834_55:
	s_and_not1_saveexec_b32 s10, s11
	s_cbranch_execz .LBB834_97
; %bb.56:
	s_load_b64 s[4:5], s[8:9], 0x0
	v_mov_b32_e32 v10, 0
	s_waitcnt lgkmcnt(0)
	s_cmp_lt_u32 s13, s5
	s_cselect_b32 s3, 14, 20
	s_delay_alu instid0(SALU_CYCLE_1)
	s_add_u32 s6, s8, s3
	s_addc_u32 s7, s9, 0
	s_cmp_lt_u32 s12, s4
	global_load_u16 v11, v10, s[6:7]
	s_cselect_b32 s3, 12, 18
	s_mov_b32 s6, exec_lo
	s_add_u32 s4, s8, s3
	s_addc_u32 s5, s9, 0
	global_load_u16 v10, v10, s[4:5]
	s_waitcnt vmcnt(1)
	v_mad_u32_u24 v5, v16, v11, v5
	s_waitcnt vmcnt(0)
	s_delay_alu instid0(VALU_DEP_1) | instskip(NEXT) | instid1(VALU_DEP_1)
	v_mul_lo_u32 v5, v5, v10
	v_add_lshl_u32 v24, v5, v4, 2
	s_delay_alu instid0(VALU_DEP_1)
	v_cmpx_gt_u32_e32 0x400, v24
	s_cbranch_execz .LBB834_66
; %bb.57:
	v_cmp_gt_i64_e64 s3, v[8:9], v[0:1]
	v_dual_mov_b32 v71, v35 :: v_dual_mov_b32 v70, v34
	v_dual_mov_b32 v4, v80 :: v_dual_mov_b32 v5, v81
	;; [unrolled: 1-line block ×3, first 2 shown]
	s_delay_alu instid0(VALU_DEP_4)
	v_cndmask_b32_e64 v67, v51, v9, s3
	v_cndmask_b32_e64 v66, v50, v8, s3
	v_cndmask_b32_e64 v65, v9, v51, s3
	v_cndmask_b32_e64 v64, v8, v50, s3
	s_mov_b32 s5, exec_lo
	v_cmpx_gt_i64_e64 v[26:27], v[34:35]
; %bb.58:
	v_dual_mov_b32 v0, v26 :: v_dual_mov_b32 v1, v27
	v_dual_mov_b32 v4, v82 :: v_dual_mov_b32 v5, v83
	;; [unrolled: 1-line block ×6, first 2 shown]
; %bb.59:
	s_or_b32 exec_lo, exec_lo, s5
	v_cndmask_b32_e64 v1, v39, v37, s3
	v_cndmask_b32_e64 v0, v38, v36, s3
	v_cmp_gt_i64_e64 s4, v[66:67], v[26:27]
	v_dual_mov_b32 v14, v64 :: v_dual_mov_b32 v15, v65
	v_dual_mov_b32 v16, v66 :: v_dual_mov_b32 v17, v67
	;; [unrolled: 1-line block ×5, first 2 shown]
	s_and_saveexec_b32 s5, s4
	s_delay_alu instid0(SALU_CYCLE_1)
	s_xor_b32 s4, exec_lo, s5
; %bb.60:
	v_dual_mov_b32 v14, v64 :: v_dual_mov_b32 v15, v65
	v_dual_mov_b32 v16, v66 :: v_dual_mov_b32 v17, v67
	;; [unrolled: 1-line block ×10, first 2 shown]
; %bb.61:
	s_or_b32 exec_lo, exec_lo, s4
	s_delay_alu instid0(VALU_DEP_1) | instskip(NEXT) | instid1(VALU_DEP_3)
	v_cmp_gt_i64_e64 s4, v[64:65], v[66:67]
	v_dual_mov_b32 v23, v5 :: v_dual_mov_b32 v22, v4
	s_mov_b32 s7, exec_lo
	s_delay_alu instid0(VALU_DEP_2)
	v_cndmask_b32_e64 v1, v17, v15, s4
	v_cndmask_b32_e64 v0, v16, v14, s4
	;; [unrolled: 1-line block ×4, first 2 shown]
	v_dual_mov_b32 v14, v18 :: v_dual_mov_b32 v15, v19
	v_cmpx_gt_i64_e64 v[18:19], v[20:21]
; %bb.62:
	v_dual_mov_b32 v16, v18 :: v_dual_mov_b32 v17, v19
	v_dual_mov_b32 v22, v82 :: v_dual_mov_b32 v23, v83
	;; [unrolled: 1-line block ×6, first 2 shown]
; %bb.63:
	s_or_b32 exec_lo, exec_lo, s7
	v_cndmask_b32_e64 v4, v37, v39, s3
	v_cndmask_b32_e64 v5, v36, v38, s3
	v_dual_mov_b32 v81, v23 :: v_dual_mov_b32 v80, v22
	s_delay_alu instid0(VALU_DEP_3) | instskip(NEXT) | instid1(VALU_DEP_3)
	v_cndmask_b32_e64 v37, v4, v11, s4
	v_cndmask_b32_e64 v36, v5, v10, s4
	;; [unrolled: 1-line block ×4, first 2 shown]
	s_mov_b32 s4, exec_lo
	v_cmpx_gt_i64_e64 v[0:1], v[18:19]
; %bb.64:
	v_dual_mov_b32 v15, v1 :: v_dual_mov_b32 v14, v0
	v_dual_mov_b32 v0, v18 :: v_dual_mov_b32 v1, v19
	;; [unrolled: 1-line block ×4, first 2 shown]
; %bb.65:
	s_or_b32 exec_lo, exec_lo, s4
.LBB834_66:
	s_delay_alu instid0(SALU_CYCLE_1) | instskip(SKIP_3) | instid1(VALU_DEP_3)
	s_or_b32 exec_lo, exec_lo, s6
	v_dual_mov_b32 v18, 0 :: v_dual_and_b32 v17, 0xffffff80, v24
	v_or_b32_e32 v4, 4, v87
	v_dual_mov_b32 v10, v0 :: v_dual_and_b32 v19, 4, v87
	v_sub_nc_u32_e64 v25, 0x400, v17 clamp
	v_and_b32_e32 v28, 0x78, v87
	v_dual_mov_b32 v11, v1 :: v_dual_lshlrev_b32 v32, 3, v87
	v_mov_b32_e32 v16, v20
	s_delay_alu instid0(VALU_DEP_4)
	v_min_u32_e32 v26, v25, v4
	v_lshlrev_b64 v[4:5], 3, v[17:18]
	v_mov_b32_e32 v17, v21
	v_min_u32_e32 v29, v25, v19
	s_mov_b32 s4, exec_lo
	v_add_nc_u32_e32 v19, 4, v26
	s_delay_alu instid0(VALU_DEP_4) | instskip(NEXT) | instid1(VALU_DEP_1)
	v_add_co_u32 v23, s3, v12, v4
	v_add_co_ci_u32_e64 v24, s3, v13, v5, s3
	s_delay_alu instid0(VALU_DEP_3) | instskip(NEXT) | instid1(VALU_DEP_3)
	v_min_u32_e32 v27, v25, v19
	v_add_co_u32 v19, s3, 0x2000, v23
	v_sub_nc_u32_e32 v12, v26, v28
	s_delay_alu instid0(VALU_DEP_4) | instskip(NEXT) | instid1(VALU_DEP_4)
	v_add_co_ci_u32_e64 v22, s3, 0, v24, s3
	v_sub_nc_u32_e32 v13, v27, v26
	v_add_co_u32 v4, s3, v23, v32
	s_delay_alu instid0(VALU_DEP_1)
	v_add_co_ci_u32_e64 v5, s3, 0, v24, s3
	v_min_u32_e32 v31, v29, v12
	v_add_co_u32 v12, s3, v19, v32
	v_sub_nc_u32_e64 v30, v29, v13 clamp
	v_add_co_ci_u32_e64 v13, s3, 0, v22, s3
	s_clause 0x3
	flat_store_b128 v[4:5], v[8:11]
	flat_store_b128 v[4:5], v[14:17] offset:16
	flat_store_b128 v[12:13], v[36:39]
	flat_store_b128 v[12:13], v[80:83] offset:16
	; wave barrier
	v_cmpx_lt_u32_e64 v30, v31
	s_cbranch_execz .LBB834_70
; %bb.67:
	v_lshlrev_b32_e32 v10, 3, v28
	v_lshlrev_b32_e32 v16, 3, v26
	s_mov_b32 s5, 0
	s_delay_alu instid0(VALU_DEP_2) | instskip(NEXT) | instid1(VALU_DEP_1)
	v_add_co_u32 v10, s3, v23, v10
	v_add_co_ci_u32_e64 v11, s3, 0, v24, s3
	s_delay_alu instid0(VALU_DEP_3) | instskip(NEXT) | instid1(VALU_DEP_1)
	v_add_co_u32 v16, s3, v23, v16
	v_add_co_ci_u32_e64 v32, s3, 0, v24, s3
	s_set_inst_prefetch_distance 0x1
	.p2align	6
.LBB834_68:                             ; =>This Inner Loop Header: Depth=1
	v_dual_mov_b32 v34, v18 :: v_dual_add_nc_u32 v17, v31, v30
	s_delay_alu instid0(VALU_DEP_1) | instskip(NEXT) | instid1(VALU_DEP_1)
	v_lshrrev_b32_e32 v17, 1, v17
	v_xad_u32 v33, v17, -1, v29
	v_lshlrev_b64 v[48:49], 3, v[17:18]
	s_delay_alu instid0(VALU_DEP_2) | instskip(NEXT) | instid1(VALU_DEP_2)
	v_lshlrev_b64 v[33:34], 3, v[33:34]
	v_add_co_u32 v48, s3, v10, v48
	s_delay_alu instid0(VALU_DEP_1) | instskip(NEXT) | instid1(VALU_DEP_3)
	v_add_co_ci_u32_e64 v49, s3, v11, v49, s3
	v_add_co_u32 v33, s3, v16, v33
	s_delay_alu instid0(VALU_DEP_1)
	v_add_co_ci_u32_e64 v34, s3, v32, v34, s3
	s_clause 0x1
	flat_load_b64 v[48:49], v[48:49]
	flat_load_b64 v[33:34], v[33:34]
	s_waitcnt vmcnt(0) lgkmcnt(0)
	v_cmp_gt_i64_e64 s3, v[48:49], v[33:34]
	v_add_nc_u32_e32 v33, 1, v17
	s_delay_alu instid0(VALU_DEP_2) | instskip(NEXT) | instid1(VALU_DEP_2)
	v_cndmask_b32_e64 v31, v31, v17, s3
	v_cndmask_b32_e64 v30, v33, v30, s3
	s_delay_alu instid0(VALU_DEP_1) | instskip(NEXT) | instid1(VALU_DEP_1)
	v_cmp_ge_u32_e64 s3, v30, v31
	s_or_b32 s5, s3, s5
	s_delay_alu instid0(SALU_CYCLE_1)
	s_and_not1_b32 exec_lo, exec_lo, s5
	s_cbranch_execnz .LBB834_68
; %bb.69:
	s_set_inst_prefetch_distance 0x2
	s_or_b32 exec_lo, exec_lo, s5
.LBB834_70:
	s_delay_alu instid0(SALU_CYCLE_1) | instskip(SKIP_2) | instid1(VALU_DEP_2)
	s_or_b32 exec_lo, exec_lo, s4
	v_add_nc_u32_e32 v10, v26, v29
	v_add_nc_u32_e32 v16, v30, v28
	v_sub_nc_u32_e32 v10, v10, v30
	s_delay_alu instid0(VALU_DEP_2) | instskip(NEXT) | instid1(VALU_DEP_2)
	v_cmp_le_u32_e64 s3, v16, v26
	v_cmp_le_u32_e64 s4, v10, v27
	s_delay_alu instid0(VALU_DEP_1) | instskip(NEXT) | instid1(SALU_CYCLE_1)
	s_or_b32 s3, s3, s4
	s_and_saveexec_b32 s9, s3
	s_cbranch_execz .LBB834_76
; %bb.71:
	v_cmp_lt_u32_e64 s3, v16, v26
                                        ; implicit-def: $vgpr0_vgpr1
	s_delay_alu instid0(VALU_DEP_1)
	s_and_saveexec_b32 s5, s3
	s_cbranch_execz .LBB834_73
; %bb.72:
	v_mov_b32_e32 v17, 0
	s_delay_alu instid0(VALU_DEP_1) | instskip(NEXT) | instid1(VALU_DEP_1)
	v_lshlrev_b64 v[0:1], 3, v[16:17]
	v_add_co_u32 v0, s4, v23, v0
	s_delay_alu instid0(VALU_DEP_1)
	v_add_co_ci_u32_e64 v1, s4, v24, v1, s4
	flat_load_b64 v[0:1], v[0:1]
.LBB834_73:
	s_or_b32 exec_lo, exec_lo, s5
	v_cmp_ge_u32_e64 s4, v10, v27
	s_mov_b32 s6, exec_lo
                                        ; implicit-def: $vgpr8_vgpr9
	v_cmpx_lt_u32_e64 v10, v27
	s_cbranch_execz .LBB834_75
; %bb.74:
	v_mov_b32_e32 v11, 0
	s_delay_alu instid0(VALU_DEP_1) | instskip(NEXT) | instid1(VALU_DEP_1)
	v_lshlrev_b64 v[8:9], 3, v[10:11]
	v_add_co_u32 v8, s5, v23, v8
	s_delay_alu instid0(VALU_DEP_1)
	v_add_co_ci_u32_e64 v9, s5, v24, v9, s5
	flat_load_b64 v[8:9], v[8:9]
.LBB834_75:
	s_or_b32 exec_lo, exec_lo, s6
	s_waitcnt vmcnt(0) lgkmcnt(0)
	v_cmp_le_i64_e64 s5, v[0:1], v[8:9]
	s_delay_alu instid0(VALU_DEP_1) | instskip(NEXT) | instid1(SALU_CYCLE_1)
	s_and_b32 s3, s3, s5
	s_or_b32 s3, s4, s3
	s_delay_alu instid0(SALU_CYCLE_1) | instskip(SKIP_1) | instid1(VALU_DEP_2)
	v_cndmask_b32_e64 v14, v10, v16, s3
	v_cndmask_b32_e64 v11, v27, v26, s3
	v_dual_mov_b32 v15, 0 :: v_dual_add_nc_u32 v30, 1, v14
	s_delay_alu instid0(VALU_DEP_2) | instskip(NEXT) | instid1(VALU_DEP_2)
	v_add_nc_u32_e32 v11, -1, v11
	v_lshlrev_b64 v[17:18], 3, v[14:15]
	s_delay_alu instid0(VALU_DEP_3) | instskip(NEXT) | instid1(VALU_DEP_3)
	v_cndmask_b32_e64 v16, v16, v30, s3
	v_min_u32_e32 v14, v30, v11
	v_cndmask_b32_e64 v34, v30, v10, s3
	s_delay_alu instid0(VALU_DEP_3) | instskip(NEXT) | instid1(VALU_DEP_3)
	v_cmp_lt_u32_e64 s5, v16, v26
	v_lshlrev_b64 v[20:21], 3, v[14:15]
	s_delay_alu instid0(VALU_DEP_3) | instskip(NEXT) | instid1(VALU_DEP_2)
	v_cmp_ge_u32_e64 s6, v34, v27
	v_add_co_u32 v20, s4, v23, v20
	s_delay_alu instid0(VALU_DEP_1)
	v_add_co_ci_u32_e64 v21, s4, v24, v21, s4
	flat_load_b64 v[20:21], v[20:21]
	s_waitcnt vmcnt(0) lgkmcnt(0)
	v_cndmask_b32_e64 v29, v21, v9, s3
	v_cndmask_b32_e64 v28, v20, v8, s3
	;; [unrolled: 1-line block ×6, first 2 shown]
	s_delay_alu instid0(VALU_DEP_3) | instskip(NEXT) | instid1(VALU_DEP_1)
	v_cmp_le_i64_e64 s4, v[20:21], v[28:29]
	s_and_b32 s4, s5, s4
	s_delay_alu instid0(SALU_CYCLE_1) | instskip(NEXT) | instid1(SALU_CYCLE_1)
	s_or_b32 s4, s6, s4
	v_cndmask_b32_e64 v14, v34, v16, s4
	v_cndmask_b32_e64 v10, v27, v26, s4
	v_cndmask_b32_e64 v1, v29, v21, s4
	v_cndmask_b32_e64 v0, v28, v20, s4
	s_delay_alu instid0(VALU_DEP_4) | instskip(NEXT) | instid1(VALU_DEP_4)
	v_add_nc_u32_e32 v35, 1, v14
	v_add_nc_u32_e32 v30, -1, v10
	v_lshlrev_b64 v[10:11], 3, v[14:15]
	s_delay_alu instid0(VALU_DEP_3) | instskip(NEXT) | instid1(VALU_DEP_3)
	v_cndmask_b32_e64 v16, v16, v35, s4
	v_min_u32_e32 v14, v35, v30
	v_cndmask_b32_e64 v38, v35, v34, s4
	s_delay_alu instid0(VALU_DEP_3) | instskip(NEXT) | instid1(VALU_DEP_3)
	v_cmp_lt_u32_e64 s6, v16, v26
	v_lshlrev_b64 v[30:31], 3, v[14:15]
	s_delay_alu instid0(VALU_DEP_3) | instskip(NEXT) | instid1(VALU_DEP_2)
	v_cmp_ge_u32_e64 s7, v38, v27
	v_add_co_u32 v30, s5, v23, v30
	s_delay_alu instid0(VALU_DEP_1)
	v_add_co_ci_u32_e64 v31, s5, v24, v31, s5
	flat_load_b64 v[30:31], v[30:31]
	s_waitcnt vmcnt(0) lgkmcnt(0)
	v_cndmask_b32_e64 v33, v31, v29, s4
	v_cndmask_b32_e64 v32, v30, v28, s4
	;; [unrolled: 1-line block ×4, first 2 shown]
	s_delay_alu instid0(VALU_DEP_1) | instskip(NEXT) | instid1(VALU_DEP_1)
	v_cmp_le_i64_e64 s5, v[30:31], v[32:33]
	s_and_b32 s5, s6, s5
	s_delay_alu instid0(SALU_CYCLE_1) | instskip(NEXT) | instid1(SALU_CYCLE_1)
	s_or_b32 s5, s7, s5
	v_cndmask_b32_e64 v14, v38, v16, s5
	v_cndmask_b32_e64 v34, v27, v26, s5
	s_delay_alu instid0(VALU_DEP_2) | instskip(NEXT) | instid1(VALU_DEP_2)
	v_add_nc_u32_e32 v39, 1, v14
	v_add_nc_u32_e32 v36, -1, v34
	v_lshlrev_b64 v[34:35], 3, v[14:15]
	s_delay_alu instid0(VALU_DEP_2) | instskip(NEXT) | instid1(VALU_DEP_1)
	v_min_u32_e32 v14, v39, v36
	v_lshlrev_b64 v[36:37], 3, v[14:15]
	v_cndmask_b32_e64 v14, v16, v39, s5
	s_delay_alu instid0(VALU_DEP_2) | instskip(NEXT) | instid1(VALU_DEP_1)
	v_add_co_u32 v36, s6, v23, v36
	v_add_co_ci_u32_e64 v37, s6, v24, v37, s6
	s_delay_alu instid0(VALU_DEP_3)
	v_cmp_lt_u32_e64 s7, v14, v26
	flat_load_b64 v[36:37], v[36:37]
	s_waitcnt vmcnt(0) lgkmcnt(0)
	v_cndmask_b32_e64 v49, v37, v33, s5
	v_cndmask_b32_e64 v48, v36, v32, s5
	;; [unrolled: 1-line block ×5, first 2 shown]
	s_delay_alu instid0(VALU_DEP_2) | instskip(NEXT) | instid1(VALU_DEP_2)
	v_cmp_le_i64_e64 s6, v[50:51], v[48:49]
	v_cmp_ge_u32_e64 s8, v36, v27
	s_delay_alu instid0(VALU_DEP_2) | instskip(SKIP_1) | instid1(VALU_DEP_1)
	s_and_b32 s7, s7, s6
	v_add_co_u32 v16, s6, v19, v17
	v_add_co_ci_u32_e64 v17, s6, v22, v18, s6
	s_delay_alu instid0(VALU_DEP_3) | instskip(SKIP_4) | instid1(VALU_DEP_3)
	s_or_b32 s6, s8, s7
	v_add_co_u32 v10, s7, v19, v10
	v_cndmask_b32_e64 v14, v36, v14, s6
	v_add_co_ci_u32_e64 v11, s7, v22, v11, s7
	v_add_co_u32 v26, s7, v19, v34
	v_lshlrev_b64 v[14:15], 3, v[14:15]
	v_add_co_ci_u32_e64 v27, s7, v22, v35, s7
	v_cndmask_b32_e64 v21, v49, v51, s6
	v_cndmask_b32_e64 v20, v48, v50, s6
	s_delay_alu instid0(VALU_DEP_4) | instskip(NEXT) | instid1(VALU_DEP_1)
	v_add_co_u32 v14, s7, v19, v14
	v_add_co_ci_u32_e64 v15, s7, v22, v15, s7
	s_clause 0x3
	flat_load_b64 v[36:37], v[16:17]
	flat_load_b64 v[38:39], v[10:11]
	;; [unrolled: 1-line block ×4, first 2 shown]
	v_cndmask_b32_e64 v15, v33, v31, s5
	v_cndmask_b32_e64 v14, v32, v30, s5
.LBB834_76:
	s_or_b32 exec_lo, exec_lo, s9
	v_and_b32_e32 v27, 0x70, v87
	v_dual_mov_b32 v16, v20 :: v_dual_and_b32 v11, 12, v87
	v_mov_b32_e32 v17, v21
	s_mov_b32 s4, exec_lo
	s_delay_alu instid0(VALU_DEP_3) | instskip(NEXT) | instid1(VALU_DEP_3)
	v_or_b32_e32 v10, 8, v27
	v_min_u32_e32 v28, v25, v11
	; wave barrier
	v_mov_b32_e32 v11, v1
	s_delay_alu instid0(VALU_DEP_3) | instskip(NEXT) | instid1(VALU_DEP_1)
	v_min_u32_e32 v18, v25, v10
	v_add_nc_u32_e32 v10, 8, v18
	s_delay_alu instid0(VALU_DEP_1)
	v_min_u32_e32 v26, v25, v10
	v_mov_b32_e32 v10, v0
	v_sub_nc_u32_e32 v30, v18, v27
	s_clause 0x1
	flat_store_b128 v[4:5], v[8:11]
	flat_store_b128 v[4:5], v[14:17] offset:16
	s_waitcnt vmcnt(2) lgkmcnt(4)
	flat_store_b128 v[12:13], v[36:39]
	s_waitcnt vmcnt(0) lgkmcnt(3)
	flat_store_b128 v[12:13], v[80:83] offset:16
	v_sub_nc_u32_e32 v29, v26, v18
	v_min_u32_e32 v30, v28, v30
	; wave barrier
	s_delay_alu instid0(VALU_DEP_2) | instskip(NEXT) | instid1(VALU_DEP_1)
	v_sub_nc_u32_e64 v29, v28, v29 clamp
	v_cmpx_lt_u32_e64 v29, v30
	s_cbranch_execz .LBB834_80
; %bb.77:
	v_lshlrev_b32_e32 v10, 3, v27
	v_lshlrev_b32_e32 v11, 3, v18
	s_mov_b32 s5, 0
	s_delay_alu instid0(VALU_DEP_2) | instskip(NEXT) | instid1(VALU_DEP_1)
	v_add_co_u32 v16, s3, v23, v10
	v_add_co_ci_u32_e64 v17, s3, 0, v24, s3
	s_delay_alu instid0(VALU_DEP_3)
	v_add_co_u32 v31, s3, v23, v11
	v_mov_b32_e32 v11, 0
	v_add_co_ci_u32_e64 v32, s3, 0, v24, s3
	s_set_inst_prefetch_distance 0x1
	.p2align	6
.LBB834_78:                             ; =>This Inner Loop Header: Depth=1
	v_add_nc_u32_e32 v10, v30, v29
	s_delay_alu instid0(VALU_DEP_1) | instskip(SKIP_1) | instid1(VALU_DEP_2)
	v_lshrrev_b32_e32 v10, 1, v10
	v_mov_b32_e32 v34, v11
	v_xad_u32 v33, v10, -1, v28
	v_lshlrev_b64 v[48:49], 3, v[10:11]
	s_delay_alu instid0(VALU_DEP_2) | instskip(NEXT) | instid1(VALU_DEP_2)
	v_lshlrev_b64 v[33:34], 3, v[33:34]
	v_add_co_u32 v48, s3, v16, v48
	s_delay_alu instid0(VALU_DEP_1) | instskip(NEXT) | instid1(VALU_DEP_3)
	v_add_co_ci_u32_e64 v49, s3, v17, v49, s3
	v_add_co_u32 v33, s3, v31, v33
	s_delay_alu instid0(VALU_DEP_1)
	v_add_co_ci_u32_e64 v34, s3, v32, v34, s3
	s_clause 0x1
	flat_load_b64 v[48:49], v[48:49]
	flat_load_b64 v[33:34], v[33:34]
	s_waitcnt vmcnt(0) lgkmcnt(0)
	v_cmp_gt_i64_e64 s3, v[48:49], v[33:34]
	v_add_nc_u32_e32 v33, 1, v10
	s_delay_alu instid0(VALU_DEP_2) | instskip(NEXT) | instid1(VALU_DEP_2)
	v_cndmask_b32_e64 v30, v30, v10, s3
	v_cndmask_b32_e64 v29, v33, v29, s3
	s_delay_alu instid0(VALU_DEP_1) | instskip(NEXT) | instid1(VALU_DEP_1)
	v_cmp_ge_u32_e64 s3, v29, v30
	s_or_b32 s5, s3, s5
	s_delay_alu instid0(SALU_CYCLE_1)
	s_and_not1_b32 exec_lo, exec_lo, s5
	s_cbranch_execnz .LBB834_78
; %bb.79:
	s_set_inst_prefetch_distance 0x2
	s_or_b32 exec_lo, exec_lo, s5
.LBB834_80:
	s_delay_alu instid0(SALU_CYCLE_1) | instskip(SKIP_2) | instid1(VALU_DEP_2)
	s_or_b32 exec_lo, exec_lo, s4
	v_add_nc_u32_e32 v10, v18, v28
	v_add_nc_u32_e32 v16, v29, v27
	v_sub_nc_u32_e32 v10, v10, v29
	s_delay_alu instid0(VALU_DEP_2) | instskip(NEXT) | instid1(VALU_DEP_2)
	v_cmp_le_u32_e64 s3, v16, v18
	v_cmp_le_u32_e64 s4, v10, v26
	s_delay_alu instid0(VALU_DEP_1) | instskip(NEXT) | instid1(SALU_CYCLE_1)
	s_or_b32 s3, s3, s4
	s_and_saveexec_b32 s9, s3
	s_cbranch_execz .LBB834_86
; %bb.81:
	v_cmp_lt_u32_e64 s3, v16, v18
                                        ; implicit-def: $vgpr0_vgpr1
	s_delay_alu instid0(VALU_DEP_1)
	s_and_saveexec_b32 s5, s3
	s_cbranch_execz .LBB834_83
; %bb.82:
	v_mov_b32_e32 v17, 0
	s_delay_alu instid0(VALU_DEP_1) | instskip(NEXT) | instid1(VALU_DEP_1)
	v_lshlrev_b64 v[0:1], 3, v[16:17]
	v_add_co_u32 v0, s4, v23, v0
	s_delay_alu instid0(VALU_DEP_1)
	v_add_co_ci_u32_e64 v1, s4, v24, v1, s4
	flat_load_b64 v[0:1], v[0:1]
.LBB834_83:
	s_or_b32 exec_lo, exec_lo, s5
	v_cmp_ge_u32_e64 s4, v10, v26
	s_mov_b32 s6, exec_lo
                                        ; implicit-def: $vgpr8_vgpr9
	v_cmpx_lt_u32_e64 v10, v26
	s_cbranch_execz .LBB834_85
; %bb.84:
	v_mov_b32_e32 v11, 0
	s_delay_alu instid0(VALU_DEP_1) | instskip(NEXT) | instid1(VALU_DEP_1)
	v_lshlrev_b64 v[8:9], 3, v[10:11]
	v_add_co_u32 v8, s5, v23, v8
	s_delay_alu instid0(VALU_DEP_1)
	v_add_co_ci_u32_e64 v9, s5, v24, v9, s5
	flat_load_b64 v[8:9], v[8:9]
.LBB834_85:
	s_or_b32 exec_lo, exec_lo, s6
	s_waitcnt vmcnt(0) lgkmcnt(0)
	v_cmp_le_i64_e64 s5, v[0:1], v[8:9]
	v_mov_b32_e32 v15, 0
	s_delay_alu instid0(VALU_DEP_2) | instskip(NEXT) | instid1(SALU_CYCLE_1)
	s_and_b32 s3, s3, s5
	s_or_b32 s3, s4, s3
	s_delay_alu instid0(SALU_CYCLE_1) | instskip(SKIP_1) | instid1(VALU_DEP_2)
	v_cndmask_b32_e64 v14, v10, v16, s3
	v_cndmask_b32_e64 v11, v26, v18, s3
	v_add_nc_u32_e32 v17, 1, v14
	s_delay_alu instid0(VALU_DEP_2) | instskip(SKIP_1) | instid1(VALU_DEP_3)
	v_add_nc_u32_e32 v11, -1, v11
	v_lshlrev_b64 v[20:21], 3, v[14:15]
	v_cndmask_b32_e64 v33, v16, v17, s3
	s_delay_alu instid0(VALU_DEP_3) | instskip(SKIP_1) | instid1(VALU_DEP_3)
	v_min_u32_e32 v14, v17, v11
	v_cndmask_b32_e64 v34, v17, v10, s3
	v_cmp_lt_u32_e64 s5, v33, v18
	s_delay_alu instid0(VALU_DEP_3) | instskip(NEXT) | instid1(VALU_DEP_3)
	v_lshlrev_b64 v[27:28], 3, v[14:15]
	v_cmp_ge_u32_e64 s6, v34, v26
	s_delay_alu instid0(VALU_DEP_2) | instskip(NEXT) | instid1(VALU_DEP_1)
	v_add_co_u32 v27, s4, v23, v27
	v_add_co_ci_u32_e64 v28, s4, v24, v28, s4
	flat_load_b64 v[27:28], v[27:28]
	s_waitcnt vmcnt(0) lgkmcnt(0)
	v_cndmask_b32_e64 v30, v28, v9, s3
	v_cndmask_b32_e64 v29, v27, v8, s3
	v_cndmask_b32_e64 v28, v1, v28, s3
	v_cndmask_b32_e64 v27, v0, v27, s3
	v_cndmask_b32_e64 v9, v9, v1, s3
	v_cndmask_b32_e64 v8, v8, v0, s3
	s_delay_alu instid0(VALU_DEP_3) | instskip(NEXT) | instid1(VALU_DEP_1)
	v_cmp_le_i64_e64 s4, v[27:28], v[29:30]
	s_and_b32 s4, s5, s4
	s_delay_alu instid0(SALU_CYCLE_1) | instskip(NEXT) | instid1(SALU_CYCLE_1)
	s_or_b32 s4, s6, s4
	v_cndmask_b32_e64 v14, v34, v33, s4
	v_cndmask_b32_e64 v10, v26, v18, s4
	;; [unrolled: 1-line block ×4, first 2 shown]
	s_delay_alu instid0(VALU_DEP_4) | instskip(NEXT) | instid1(VALU_DEP_4)
	v_add_nc_u32_e32 v35, 1, v14
	v_add_nc_u32_e32 v16, -1, v10
	v_lshlrev_b64 v[10:11], 3, v[14:15]
	s_delay_alu instid0(VALU_DEP_3) | instskip(NEXT) | instid1(VALU_DEP_3)
	v_cndmask_b32_e64 v37, v33, v35, s4
	v_min_u32_e32 v14, v35, v16
	v_cndmask_b32_e64 v38, v35, v34, s4
	s_delay_alu instid0(VALU_DEP_3) | instskip(NEXT) | instid1(VALU_DEP_3)
	v_cmp_lt_u32_e64 s6, v37, v18
	v_lshlrev_b64 v[16:17], 3, v[14:15]
	s_delay_alu instid0(VALU_DEP_3) | instskip(NEXT) | instid1(VALU_DEP_2)
	v_cmp_ge_u32_e64 s7, v38, v26
	v_add_co_u32 v16, s5, v23, v16
	s_delay_alu instid0(VALU_DEP_1)
	v_add_co_ci_u32_e64 v17, s5, v24, v17, s5
	flat_load_b64 v[16:17], v[16:17]
	s_waitcnt vmcnt(0) lgkmcnt(0)
	v_cndmask_b32_e64 v32, v17, v30, s4
	v_cndmask_b32_e64 v31, v16, v29, s4
	v_cndmask_b32_e64 v17, v28, v17, s4
	v_cndmask_b32_e64 v16, v27, v16, s4
	s_delay_alu instid0(VALU_DEP_1) | instskip(NEXT) | instid1(VALU_DEP_1)
	v_cmp_le_i64_e64 s5, v[16:17], v[31:32]
	s_and_b32 s5, s6, s5
	s_delay_alu instid0(SALU_CYCLE_1) | instskip(NEXT) | instid1(SALU_CYCLE_1)
	s_or_b32 s5, s7, s5
	v_cndmask_b32_e64 v14, v38, v37, s5
	v_cndmask_b32_e64 v33, v26, v18, s5
	s_delay_alu instid0(VALU_DEP_2) | instskip(NEXT) | instid1(VALU_DEP_2)
	v_add_nc_u32_e32 v39, 1, v14
	v_add_nc_u32_e32 v35, -1, v33
	v_lshlrev_b64 v[33:34], 3, v[14:15]
	s_delay_alu instid0(VALU_DEP_2) | instskip(NEXT) | instid1(VALU_DEP_1)
	v_min_u32_e32 v14, v39, v35
	v_lshlrev_b64 v[35:36], 3, v[14:15]
	v_cndmask_b32_e64 v14, v37, v39, s5
	s_delay_alu instid0(VALU_DEP_2) | instskip(NEXT) | instid1(VALU_DEP_1)
	v_add_co_u32 v35, s6, v23, v35
	v_add_co_ci_u32_e64 v36, s6, v24, v36, s6
	s_delay_alu instid0(VALU_DEP_3)
	v_cmp_lt_u32_e64 s7, v14, v18
	flat_load_b64 v[35:36], v[35:36]
	s_waitcnt vmcnt(0) lgkmcnt(0)
	v_cndmask_b32_e64 v49, v36, v32, s5
	v_cndmask_b32_e64 v48, v35, v31, s5
	;; [unrolled: 1-line block ×5, first 2 shown]
	s_delay_alu instid0(VALU_DEP_2) | instskip(NEXT) | instid1(VALU_DEP_2)
	v_cmp_le_i64_e64 s6, v[50:51], v[48:49]
	v_cmp_ge_u32_e64 s8, v35, v26
	s_delay_alu instid0(VALU_DEP_2) | instskip(SKIP_1) | instid1(VALU_DEP_1)
	s_and_b32 s7, s7, s6
	v_add_co_u32 v20, s6, v19, v20
	v_add_co_ci_u32_e64 v21, s6, v22, v21, s6
	s_delay_alu instid0(VALU_DEP_3) | instskip(SKIP_4) | instid1(VALU_DEP_3)
	s_or_b32 s6, s8, s7
	v_add_co_u32 v10, s7, v19, v10
	v_cndmask_b32_e64 v14, v35, v14, s6
	v_add_co_ci_u32_e64 v11, s7, v22, v11, s7
	v_add_co_u32 v33, s7, v19, v33
	v_lshlrev_b64 v[14:15], 3, v[14:15]
	v_add_co_ci_u32_e64 v34, s7, v22, v34, s7
	s_delay_alu instid0(VALU_DEP_2) | instskip(NEXT) | instid1(VALU_DEP_1)
	v_add_co_u32 v14, s7, v19, v14
	v_add_co_ci_u32_e64 v15, s7, v22, v15, s7
	s_clause 0x3
	flat_load_b64 v[36:37], v[20:21]
	flat_load_b64 v[38:39], v[10:11]
	;; [unrolled: 1-line block ×4, first 2 shown]
	v_cndmask_b32_e64 v15, v32, v17, s5
	v_cndmask_b32_e64 v14, v31, v16, s5
	;; [unrolled: 1-line block ×4, first 2 shown]
.LBB834_86:
	s_or_b32 exec_lo, exec_lo, s9
	s_delay_alu instid0(VALU_DEP_1) | instskip(NEXT) | instid1(VALU_DEP_3)
	v_dual_mov_b32 v16, v20 :: v_dual_and_b32 v27, 0x60, v87
	v_mov_b32_e32 v17, v21
	s_mov_b32 s4, exec_lo
	s_delay_alu instid0(VALU_DEP_2) | instskip(SKIP_1) | instid1(VALU_DEP_2)
	v_or_b32_e32 v10, 16, v27
	; wave barrier
	v_mov_b32_e32 v11, v1
	v_min_u32_e32 v18, v25, v10
	s_delay_alu instid0(VALU_DEP_1) | instskip(NEXT) | instid1(VALU_DEP_1)
	v_add_nc_u32_e32 v10, 16, v18
	v_min_u32_e32 v26, v25, v10
	v_mov_b32_e32 v10, v0
	v_min_u32_e32 v25, v25, v96
	v_sub_nc_u32_e32 v29, v18, v27
	s_clause 0x1
	flat_store_b128 v[4:5], v[8:11]
	flat_store_b128 v[4:5], v[14:17] offset:16
	s_waitcnt vmcnt(2) lgkmcnt(4)
	flat_store_b128 v[12:13], v[36:39]
	s_waitcnt vmcnt(0) lgkmcnt(3)
	flat_store_b128 v[12:13], v[80:83] offset:16
	v_sub_nc_u32_e32 v28, v26, v18
	v_min_u32_e32 v29, v25, v29
	; wave barrier
	s_delay_alu instid0(VALU_DEP_2) | instskip(NEXT) | instid1(VALU_DEP_1)
	v_sub_nc_u32_e64 v28, v25, v28 clamp
	v_cmpx_lt_u32_e64 v28, v29
	s_cbranch_execz .LBB834_90
; %bb.87:
	v_lshlrev_b32_e32 v4, 3, v27
	v_lshlrev_b32_e32 v5, 3, v18
	s_mov_b32 s5, 0
	s_delay_alu instid0(VALU_DEP_2) | instskip(NEXT) | instid1(VALU_DEP_1)
	v_add_co_u32 v10, s3, v23, v4
	v_add_co_ci_u32_e64 v11, s3, 0, v24, s3
	s_delay_alu instid0(VALU_DEP_3)
	v_add_co_u32 v12, s3, v23, v5
	v_mov_b32_e32 v5, 0
	v_add_co_ci_u32_e64 v13, s3, 0, v24, s3
	s_set_inst_prefetch_distance 0x1
	.p2align	6
.LBB834_88:                             ; =>This Inner Loop Header: Depth=1
	v_add_nc_u32_e32 v4, v29, v28
	s_delay_alu instid0(VALU_DEP_1) | instskip(SKIP_1) | instid1(VALU_DEP_2)
	v_lshrrev_b32_e32 v4, 1, v4
	v_mov_b32_e32 v17, v5
	v_xad_u32 v16, v4, -1, v25
	v_lshlrev_b64 v[30:31], 3, v[4:5]
	s_delay_alu instid0(VALU_DEP_2) | instskip(NEXT) | instid1(VALU_DEP_2)
	v_lshlrev_b64 v[16:17], 3, v[16:17]
	v_add_co_u32 v30, s3, v10, v30
	s_delay_alu instid0(VALU_DEP_1) | instskip(NEXT) | instid1(VALU_DEP_3)
	v_add_co_ci_u32_e64 v31, s3, v11, v31, s3
	v_add_co_u32 v16, s3, v12, v16
	s_delay_alu instid0(VALU_DEP_1)
	v_add_co_ci_u32_e64 v17, s3, v13, v17, s3
	s_clause 0x1
	flat_load_b64 v[30:31], v[30:31]
	flat_load_b64 v[16:17], v[16:17]
	s_waitcnt vmcnt(0) lgkmcnt(0)
	v_cmp_gt_i64_e64 s3, v[30:31], v[16:17]
	v_add_nc_u32_e32 v16, 1, v4
	s_delay_alu instid0(VALU_DEP_2) | instskip(NEXT) | instid1(VALU_DEP_2)
	v_cndmask_b32_e64 v29, v29, v4, s3
	v_cndmask_b32_e64 v28, v16, v28, s3
	s_delay_alu instid0(VALU_DEP_1) | instskip(NEXT) | instid1(VALU_DEP_1)
	v_cmp_ge_u32_e64 s3, v28, v29
	s_or_b32 s5, s3, s5
	s_delay_alu instid0(SALU_CYCLE_1)
	s_and_not1_b32 exec_lo, exec_lo, s5
	s_cbranch_execnz .LBB834_88
; %bb.89:
	s_set_inst_prefetch_distance 0x2
	s_or_b32 exec_lo, exec_lo, s5
.LBB834_90:
	s_delay_alu instid0(SALU_CYCLE_1) | instskip(SKIP_2) | instid1(VALU_DEP_2)
	s_or_b32 exec_lo, exec_lo, s4
	v_add_nc_u32_e32 v4, v18, v25
	v_add_nc_u32_e32 v12, v28, v27
	v_sub_nc_u32_e32 v10, v4, v28
	s_delay_alu instid0(VALU_DEP_2) | instskip(NEXT) | instid1(VALU_DEP_2)
	v_cmp_le_u32_e64 s3, v12, v18
	v_cmp_le_u32_e64 s4, v10, v26
	s_delay_alu instid0(VALU_DEP_1) | instskip(NEXT) | instid1(SALU_CYCLE_1)
	s_or_b32 s3, s3, s4
	s_and_saveexec_b32 s9, s3
	s_cbranch_execz .LBB834_96
; %bb.91:
	v_cmp_lt_u32_e64 s3, v12, v18
                                        ; implicit-def: $vgpr0_vgpr1
	s_delay_alu instid0(VALU_DEP_1)
	s_and_saveexec_b32 s5, s3
	s_cbranch_execz .LBB834_93
; %bb.92:
	v_mov_b32_e32 v13, 0
	s_delay_alu instid0(VALU_DEP_1) | instskip(NEXT) | instid1(VALU_DEP_1)
	v_lshlrev_b64 v[0:1], 3, v[12:13]
	v_add_co_u32 v0, s4, v23, v0
	s_delay_alu instid0(VALU_DEP_1)
	v_add_co_ci_u32_e64 v1, s4, v24, v1, s4
	flat_load_b64 v[0:1], v[0:1]
.LBB834_93:
	s_or_b32 exec_lo, exec_lo, s5
	v_cmp_ge_u32_e64 s4, v10, v26
	s_mov_b32 s6, exec_lo
                                        ; implicit-def: $vgpr4_vgpr5
	v_cmpx_lt_u32_e64 v10, v26
	s_cbranch_execz .LBB834_95
; %bb.94:
	v_mov_b32_e32 v11, 0
	s_delay_alu instid0(VALU_DEP_1) | instskip(NEXT) | instid1(VALU_DEP_1)
	v_lshlrev_b64 v[4:5], 3, v[10:11]
	v_add_co_u32 v4, s5, v23, v4
	s_delay_alu instid0(VALU_DEP_1)
	v_add_co_ci_u32_e64 v5, s5, v24, v5, s5
	flat_load_b64 v[4:5], v[4:5]
.LBB834_95:
	s_or_b32 exec_lo, exec_lo, s6
	s_waitcnt vmcnt(0) lgkmcnt(0)
	v_cmp_le_i64_e64 s5, v[0:1], v[4:5]
	v_mov_b32_e32 v9, 0
	s_delay_alu instid0(VALU_DEP_2) | instskip(NEXT) | instid1(SALU_CYCLE_1)
	s_and_b32 s3, s3, s5
	s_or_b32 s3, s4, s3
	s_delay_alu instid0(SALU_CYCLE_1) | instskip(SKIP_1) | instid1(VALU_DEP_2)
	v_cndmask_b32_e64 v8, v10, v12, s3
	v_cndmask_b32_e64 v11, v26, v18, s3
	v_add_nc_u32_e32 v17, 1, v8
	s_delay_alu instid0(VALU_DEP_2) | instskip(SKIP_1) | instid1(VALU_DEP_3)
	v_add_nc_u32_e32 v11, -1, v11
	v_lshlrev_b64 v[13:14], 3, v[8:9]
	v_cndmask_b32_e64 v12, v12, v17, s3
	s_delay_alu instid0(VALU_DEP_3) | instskip(SKIP_1) | instid1(VALU_DEP_3)
	v_min_u32_e32 v8, v17, v11
	v_cndmask_b32_e64 v17, v17, v10, s3
	v_cmp_lt_u32_e64 s5, v12, v18
	s_delay_alu instid0(VALU_DEP_3) | instskip(NEXT) | instid1(VALU_DEP_3)
	v_lshlrev_b64 v[15:16], 3, v[8:9]
	v_cmp_ge_u32_e64 s6, v17, v26
	s_delay_alu instid0(VALU_DEP_2) | instskip(NEXT) | instid1(VALU_DEP_1)
	v_add_co_u32 v15, s4, v23, v15
	v_add_co_ci_u32_e64 v16, s4, v24, v16, s4
	flat_load_b64 v[15:16], v[15:16]
	s_waitcnt vmcnt(0) lgkmcnt(0)
	v_cndmask_b32_e64 v21, v16, v5, s3
	v_cndmask_b32_e64 v20, v15, v4, s3
	;; [unrolled: 1-line block ×4, first 2 shown]
	s_delay_alu instid0(VALU_DEP_1) | instskip(NEXT) | instid1(VALU_DEP_1)
	v_cmp_le_i64_e64 s4, v[15:16], v[20:21]
	s_and_b32 s4, s5, s4
	s_delay_alu instid0(SALU_CYCLE_1) | instskip(NEXT) | instid1(SALU_CYCLE_1)
	s_or_b32 s4, s6, s4
	v_cndmask_b32_e64 v8, v17, v12, s4
	v_cndmask_b32_e64 v10, v26, v18, s4
	s_delay_alu instid0(VALU_DEP_2) | instskip(NEXT) | instid1(VALU_DEP_2)
	v_add_nc_u32_e32 v25, 1, v8
	v_add_nc_u32_e32 v27, -1, v10
	v_lshlrev_b64 v[10:11], 3, v[8:9]
	s_delay_alu instid0(VALU_DEP_3) | instskip(NEXT) | instid1(VALU_DEP_3)
	v_cndmask_b32_e64 v12, v12, v25, s4
	v_min_u32_e32 v8, v25, v27
	v_cndmask_b32_e64 v17, v25, v17, s4
	s_delay_alu instid0(VALU_DEP_3) | instskip(NEXT) | instid1(VALU_DEP_3)
	v_cmp_lt_u32_e64 s6, v12, v18
	v_lshlrev_b64 v[27:28], 3, v[8:9]
	s_delay_alu instid0(VALU_DEP_3) | instskip(NEXT) | instid1(VALU_DEP_2)
	v_cmp_ge_u32_e64 s7, v17, v26
	v_add_co_u32 v27, s5, v23, v27
	s_delay_alu instid0(VALU_DEP_1)
	v_add_co_ci_u32_e64 v28, s5, v24, v28, s5
	flat_load_b64 v[27:28], v[27:28]
	s_waitcnt vmcnt(0) lgkmcnt(0)
	v_cndmask_b32_e64 v30, v28, v21, s4
	v_cndmask_b32_e64 v29, v27, v20, s4
	;; [unrolled: 1-line block ×4, first 2 shown]
	s_delay_alu instid0(VALU_DEP_1) | instskip(NEXT) | instid1(VALU_DEP_1)
	v_cmp_le_i64_e64 s5, v[27:28], v[29:30]
	s_and_b32 s5, s6, s5
	s_delay_alu instid0(SALU_CYCLE_1) | instskip(NEXT) | instid1(SALU_CYCLE_1)
	s_or_b32 s5, s7, s5
	v_cndmask_b32_e64 v8, v17, v12, s5
	v_cndmask_b32_e64 v25, v26, v18, s5
	s_delay_alu instid0(VALU_DEP_2) | instskip(NEXT) | instid1(VALU_DEP_2)
	v_add_nc_u32_e32 v35, 1, v8
	v_add_nc_u32_e32 v25, -1, v25
	v_lshlrev_b64 v[31:32], 3, v[8:9]
	s_delay_alu instid0(VALU_DEP_3) | instskip(NEXT) | instid1(VALU_DEP_3)
	v_cndmask_b32_e64 v17, v35, v17, s5
	v_min_u32_e32 v8, v35, v25
	s_delay_alu instid0(VALU_DEP_2) | instskip(NEXT) | instid1(VALU_DEP_2)
	v_cmp_ge_u32_e64 s8, v17, v26
	v_lshlrev_b64 v[33:34], 3, v[8:9]
	v_cndmask_b32_e64 v8, v12, v35, s5
	s_delay_alu instid0(VALU_DEP_2) | instskip(NEXT) | instid1(VALU_DEP_1)
	v_add_co_u32 v23, s6, v23, v33
	v_add_co_ci_u32_e64 v24, s6, v24, v34, s6
	s_delay_alu instid0(VALU_DEP_3)
	v_cmp_lt_u32_e64 s7, v8, v18
	flat_load_b64 v[23:24], v[23:24]
	s_waitcnt vmcnt(0) lgkmcnt(0)
	v_cndmask_b32_e64 v34, v24, v30, s5
	v_cndmask_b32_e64 v33, v23, v29, s5
	;; [unrolled: 1-line block ×4, first 2 shown]
	s_delay_alu instid0(VALU_DEP_1) | instskip(NEXT) | instid1(VALU_DEP_1)
	v_cmp_le_i64_e64 s6, v[23:24], v[33:34]
	s_and_b32 s7, s7, s6
	v_add_co_u32 v12, s6, v19, v13
	s_delay_alu instid0(VALU_DEP_1)
	v_add_co_ci_u32_e64 v13, s6, v22, v14, s6
	s_or_b32 s6, s8, s7
	v_add_co_u32 v10, s7, v19, v10
	v_cndmask_b32_e64 v8, v17, v8, s6
	v_add_co_ci_u32_e64 v11, s7, v22, v11, s7
	v_add_co_u32 v17, s7, v19, v31
	s_delay_alu instid0(VALU_DEP_3) | instskip(SKIP_2) | instid1(VALU_DEP_3)
	v_lshlrev_b64 v[8:9], 3, v[8:9]
	v_add_co_ci_u32_e64 v18, s7, v22, v32, s7
	v_cndmask_b32_e64 v14, v29, v27, s5
	v_add_co_u32 v8, s7, v19, v8
	s_delay_alu instid0(VALU_DEP_1)
	v_add_co_ci_u32_e64 v9, s7, v22, v9, s7
	s_clause 0x3
	flat_load_b64 v[36:37], v[12:13]
	flat_load_b64 v[38:39], v[10:11]
	;; [unrolled: 1-line block ×4, first 2 shown]
	v_cndmask_b32_e64 v9, v5, v1, s3
	v_cndmask_b32_e64 v8, v4, v0, s3
	v_cndmask_b32_e64 v1, v21, v16, s4
	v_cndmask_b32_e64 v0, v20, v15, s4
	v_cndmask_b32_e64 v15, v30, v28, s5
	v_cndmask_b32_e64 v21, v34, v24, s6
	v_cndmask_b32_e64 v20, v33, v23, s6
.LBB834_96:
	s_or_b32 exec_lo, exec_lo, s9
	; wave barrier
	s_waitcnt vmcnt(0) lgkmcnt(0)
	s_waitcnt_vscnt null, 0x0
	s_barrier
.LBB834_97:
	s_or_b32 exec_lo, exec_lo, s10
	v_add_co_u32 v2, s3, v2, v84
	s_delay_alu instid0(VALU_DEP_1) | instskip(SKIP_4) | instid1(VALU_DEP_1)
	v_add_co_ci_u32_e64 v3, s3, v3, v85, s3
	s_waitcnt vmcnt(0) lgkmcnt(0)
	s_waitcnt_vscnt null, 0x0
	buffer_gl0_inv
	v_add_co_u32 v2, s3, v2, v86
	v_add_co_ci_u32_e64 v3, s3, 0, v3, s3
	; wave barrier
	s_and_saveexec_b32 s3, vcc_lo
	s_cbranch_execnz .LBB834_110
; %bb.98:
	s_or_b32 exec_lo, exec_lo, s3
	s_and_saveexec_b32 s3, s0
	s_cbranch_execnz .LBB834_111
.LBB834_99:
	s_or_b32 exec_lo, exec_lo, s3
	s_and_saveexec_b32 s3, s1
	s_cbranch_execnz .LBB834_112
.LBB834_100:
	s_or_b32 exec_lo, exec_lo, s3
	s_and_saveexec_b32 s3, s2
	s_cbranch_execz .LBB834_102
.LBB834_101:
	flat_store_b64 v[2:3], v[20:21] offset:24
.LBB834_102:
	s_or_b32 exec_lo, exec_lo, s3
	v_add_co_u32 v0, s3, v6, v84
	s_delay_alu instid0(VALU_DEP_1) | instskip(NEXT) | instid1(VALU_DEP_2)
	v_add_co_ci_u32_e64 v1, s3, v7, v85, s3
	v_add_co_u32 v0, s3, v0, v86
	s_delay_alu instid0(VALU_DEP_1)
	v_add_co_ci_u32_e64 v1, s3, 0, v1, s3
	; wave barrier
	s_and_saveexec_b32 s3, vcc_lo
	s_cbranch_execnz .LBB834_113
; %bb.103:
	s_or_b32 exec_lo, exec_lo, s3
	s_and_saveexec_b32 s3, s0
	s_cbranch_execnz .LBB834_114
.LBB834_104:
	s_or_b32 exec_lo, exec_lo, s3
	s_and_saveexec_b32 s0, s1
	s_cbranch_execnz .LBB834_115
.LBB834_105:
	s_or_b32 exec_lo, exec_lo, s0
	s_and_saveexec_b32 s0, s2
	s_cbranch_execnz .LBB834_116
.LBB834_106:
	s_or_b32 exec_lo, exec_lo, s0
	s_waitcnt lgkmcnt(0)
	s_setpc_b64 s[30:31]
.LBB834_107:
	flat_load_b64 v[36:37], v[4:5]
	s_or_b32 exec_lo, exec_lo, s3
	s_and_saveexec_b32 s3, s0
	s_cbranch_execz .LBB834_10
.LBB834_108:
	flat_load_b64 v[38:39], v[4:5] offset:8
	s_or_b32 exec_lo, exec_lo, s3
                                        ; implicit-def: $vgpr80_vgpr81
	s_and_saveexec_b32 s3, s1
	s_cbranch_execz .LBB834_11
.LBB834_109:
	flat_load_b64 v[80:81], v[4:5] offset:16
	s_or_b32 exec_lo, exec_lo, s3
	s_and_saveexec_b32 s3, s2
	s_cbranch_execnz .LBB834_12
	s_branch .LBB834_13
.LBB834_110:
	flat_store_b64 v[2:3], v[8:9]
	s_or_b32 exec_lo, exec_lo, s3
	s_and_saveexec_b32 s3, s0
	s_cbranch_execz .LBB834_99
.LBB834_111:
	flat_store_b64 v[2:3], v[0:1] offset:8
	s_or_b32 exec_lo, exec_lo, s3
	s_and_saveexec_b32 s3, s1
	s_cbranch_execz .LBB834_100
.LBB834_112:
	flat_store_b64 v[2:3], v[14:15] offset:16
	s_or_b32 exec_lo, exec_lo, s3
	s_and_saveexec_b32 s3, s2
	s_cbranch_execnz .LBB834_101
	s_branch .LBB834_102
.LBB834_113:
	flat_store_b64 v[0:1], v[36:37]
	s_or_b32 exec_lo, exec_lo, s3
	s_and_saveexec_b32 s3, s0
	s_cbranch_execz .LBB834_104
.LBB834_114:
	flat_store_b64 v[0:1], v[38:39] offset:8
	s_or_b32 exec_lo, exec_lo, s3
	s_and_saveexec_b32 s0, s1
	s_cbranch_execz .LBB834_105
.LBB834_115:
	flat_store_b64 v[0:1], v[80:81] offset:16
	s_or_b32 exec_lo, exec_lo, s0
	s_and_saveexec_b32 s0, s2
	s_cbranch_execz .LBB834_106
.LBB834_116:
	flat_store_b64 v[0:1], v[82:83] offset:24
	s_or_b32 exec_lo, exec_lo, s0
	s_waitcnt lgkmcnt(0)
	s_setpc_b64 s[30:31]
.Lfunc_end834:
	.size	_ZN7rocprim17ROCPRIM_400000_NS6detail26segmented_warp_sort_helperINS1_20WarpSortHelperConfigILj8ELj4ELj256EEEllLi256ELb0EvE4sortIPKlPlS8_S9_EEvT_T0_T1_T2_jjjjRNS5_12storage_typeE, .Lfunc_end834-_ZN7rocprim17ROCPRIM_400000_NS6detail26segmented_warp_sort_helperINS1_20WarpSortHelperConfigILj8ELj4ELj256EEEllLi256ELb0EvE4sortIPKlPlS8_S9_EEvT_T0_T1_T2_jjjjRNS5_12storage_typeE
                                        ; -- End function
	.section	.AMDGPU.csdata,"",@progbits
; Function info:
; codeLenInByte = 10928
; NumSgprs: 34
; NumVgprs: 97
; ScratchSize: 0
; MemoryBound: 1
	.section	.text._ZN7rocprim17ROCPRIM_400000_NS6detail17trampoline_kernelINS0_14default_configENS1_36segmented_radix_sort_config_selectorIllEEZNS1_25segmented_radix_sort_implIS3_Lb0EPKlPlS8_S9_N2at6native12_GLOBAL__N_18offset_tEEE10hipError_tPvRmT1_PNSt15iterator_traitsISH_E10value_typeET2_T3_PNSI_ISN_E10value_typeET4_jRbjT5_ST_jjP12ihipStream_tbEUlT_E1_NS1_11comp_targetILNS1_3genE9ELNS1_11target_archE1100ELNS1_3gpuE3ELNS1_3repE0EEENS1_59segmented_radix_sort_warp_sort_small_config_static_selectorELNS0_4arch9wavefront6targetE0EEEvSH_,"axG",@progbits,_ZN7rocprim17ROCPRIM_400000_NS6detail17trampoline_kernelINS0_14default_configENS1_36segmented_radix_sort_config_selectorIllEEZNS1_25segmented_radix_sort_implIS3_Lb0EPKlPlS8_S9_N2at6native12_GLOBAL__N_18offset_tEEE10hipError_tPvRmT1_PNSt15iterator_traitsISH_E10value_typeET2_T3_PNSI_ISN_E10value_typeET4_jRbjT5_ST_jjP12ihipStream_tbEUlT_E1_NS1_11comp_targetILNS1_3genE9ELNS1_11target_archE1100ELNS1_3gpuE3ELNS1_3repE0EEENS1_59segmented_radix_sort_warp_sort_small_config_static_selectorELNS0_4arch9wavefront6targetE0EEEvSH_,comdat
	.globl	_ZN7rocprim17ROCPRIM_400000_NS6detail17trampoline_kernelINS0_14default_configENS1_36segmented_radix_sort_config_selectorIllEEZNS1_25segmented_radix_sort_implIS3_Lb0EPKlPlS8_S9_N2at6native12_GLOBAL__N_18offset_tEEE10hipError_tPvRmT1_PNSt15iterator_traitsISH_E10value_typeET2_T3_PNSI_ISN_E10value_typeET4_jRbjT5_ST_jjP12ihipStream_tbEUlT_E1_NS1_11comp_targetILNS1_3genE9ELNS1_11target_archE1100ELNS1_3gpuE3ELNS1_3repE0EEENS1_59segmented_radix_sort_warp_sort_small_config_static_selectorELNS0_4arch9wavefront6targetE0EEEvSH_ ; -- Begin function _ZN7rocprim17ROCPRIM_400000_NS6detail17trampoline_kernelINS0_14default_configENS1_36segmented_radix_sort_config_selectorIllEEZNS1_25segmented_radix_sort_implIS3_Lb0EPKlPlS8_S9_N2at6native12_GLOBAL__N_18offset_tEEE10hipError_tPvRmT1_PNSt15iterator_traitsISH_E10value_typeET2_T3_PNSI_ISN_E10value_typeET4_jRbjT5_ST_jjP12ihipStream_tbEUlT_E1_NS1_11comp_targetILNS1_3genE9ELNS1_11target_archE1100ELNS1_3gpuE3ELNS1_3repE0EEENS1_59segmented_radix_sort_warp_sort_small_config_static_selectorELNS0_4arch9wavefront6targetE0EEEvSH_
	.p2align	8
	.type	_ZN7rocprim17ROCPRIM_400000_NS6detail17trampoline_kernelINS0_14default_configENS1_36segmented_radix_sort_config_selectorIllEEZNS1_25segmented_radix_sort_implIS3_Lb0EPKlPlS8_S9_N2at6native12_GLOBAL__N_18offset_tEEE10hipError_tPvRmT1_PNSt15iterator_traitsISH_E10value_typeET2_T3_PNSI_ISN_E10value_typeET4_jRbjT5_ST_jjP12ihipStream_tbEUlT_E1_NS1_11comp_targetILNS1_3genE9ELNS1_11target_archE1100ELNS1_3gpuE3ELNS1_3repE0EEENS1_59segmented_radix_sort_warp_sort_small_config_static_selectorELNS0_4arch9wavefront6targetE0EEEvSH_,@function
_ZN7rocprim17ROCPRIM_400000_NS6detail17trampoline_kernelINS0_14default_configENS1_36segmented_radix_sort_config_selectorIllEEZNS1_25segmented_radix_sort_implIS3_Lb0EPKlPlS8_S9_N2at6native12_GLOBAL__N_18offset_tEEE10hipError_tPvRmT1_PNSt15iterator_traitsISH_E10value_typeET2_T3_PNSI_ISN_E10value_typeET4_jRbjT5_ST_jjP12ihipStream_tbEUlT_E1_NS1_11comp_targetILNS1_3genE9ELNS1_11target_archE1100ELNS1_3gpuE3ELNS1_3repE0EEENS1_59segmented_radix_sort_warp_sort_small_config_static_selectorELNS0_4arch9wavefront6targetE0EEEvSH_: ; @_ZN7rocprim17ROCPRIM_400000_NS6detail17trampoline_kernelINS0_14default_configENS1_36segmented_radix_sort_config_selectorIllEEZNS1_25segmented_radix_sort_implIS3_Lb0EPKlPlS8_S9_N2at6native12_GLOBAL__N_18offset_tEEE10hipError_tPvRmT1_PNSt15iterator_traitsISH_E10value_typeET2_T3_PNSI_ISN_E10value_typeET4_jRbjT5_ST_jjP12ihipStream_tbEUlT_E1_NS1_11comp_targetILNS1_3genE9ELNS1_11target_archE1100ELNS1_3gpuE3ELNS1_3repE0EEENS1_59segmented_radix_sort_warp_sort_small_config_static_selectorELNS0_4arch9wavefront6targetE0EEEvSH_
; %bb.0:
	s_load_b32 s2, s[0:1], 0x64
	v_bfe_u32 v1, v0, 10, 10
	v_bfe_u32 v2, v0, 20, 10
	s_mov_b32 s12, s14
	s_mov_b32 s32, 0
	s_waitcnt lgkmcnt(0)
	s_lshr_b32 s3, s2, 16
	s_and_b32 s2, s2, 0xffff
	v_mad_u32_u24 v4, v2, s3, v1
	v_and_b32_e32 v1, 0x3ff, v0
	s_load_b32 s3, s[0:1], 0x34
	s_delay_alu instid0(VALU_DEP_1) | instskip(SKIP_1) | instid1(VALU_DEP_1)
	v_mad_u64_u32 v[2:3], null, v4, s2, v[1:2]
	s_mov_b32 s2, exec_lo
	v_lshrrev_b32_e32 v1, 3, v2
	s_delay_alu instid0(VALU_DEP_1) | instskip(SKIP_1) | instid1(VALU_DEP_1)
	v_lshl_add_u32 v1, s12, 5, v1
	s_waitcnt lgkmcnt(0)
	v_cmpx_gt_u32_e64 s3, v1
	s_cbranch_execz .LBB835_6
; %bb.1:
	s_clause 0x1
	s_load_b64 s[2:3], s[0:1], 0x38
	s_load_b128 s[4:7], s[0:1], 0x40
	v_mov_b32_e32 v2, 0
	s_delay_alu instid0(VALU_DEP_1) | instskip(SKIP_1) | instid1(VALU_DEP_1)
	v_lshlrev_b64 v[1:2], 2, v[1:2]
	s_waitcnt lgkmcnt(0)
	v_sub_co_u32 v1, vcc_lo, s2, v1
	s_delay_alu instid0(VALU_DEP_2) | instskip(SKIP_4) | instid1(VALU_DEP_2)
	v_sub_co_ci_u32_e32 v2, vcc_lo, s3, v2, vcc_lo
	global_load_b32 v1, v[1:2], off offset:-4
	s_waitcnt vmcnt(0)
	v_add_nc_u32_e32 v2, s5, v1
	v_add_nc_u32_e32 v1, s7, v1
	v_mul_lo_u32 v40, v2, s4
	s_delay_alu instid0(VALU_DEP_2) | instskip(NEXT) | instid1(VALU_DEP_1)
	v_mul_lo_u32 v41, v1, s6
	v_cmp_gt_u32_e32 vcc_lo, v41, v40
	s_and_b32 exec_lo, exec_lo, vcc_lo
	s_cbranch_execz .LBB835_6
; %bb.2:
	s_clause 0x3
	s_load_b32 s2, s[0:1], 0x30
	s_load_b128 s[24:27], s[0:1], 0x20
	s_load_b256 s[16:23], s[0:1], 0x0
	s_load_b64 s[28:29], s[0:1], 0x50
	s_waitcnt lgkmcnt(0)
	s_bitcmp0_b32 s2, 0
	s_mov_b32 s2, -1
	s_cbranch_scc0 .LBB835_4
; %bb.3:
	s_mov_b64 s[2:3], src_shared_base
	v_mov_b32_e32 v31, v0
	v_dual_mov_b32 v42, v0 :: v_dual_mov_b32 v1, s17
	v_mov_b32_e32 v0, s16
	v_dual_mov_b32 v2, s18 :: v_dual_mov_b32 v3, s19
	v_dual_mov_b32 v4, s22 :: v_dual_mov_b32 v5, s23
	;; [unrolled: 1-line block ×6, first 2 shown]
	s_add_u32 s8, s0, 0x58
	s_addc_u32 s9, s1, 0
	s_mov_b32 s13, s15
	s_getpc_b64 s[4:5]
	s_add_u32 s4, s4, _ZN7rocprim17ROCPRIM_400000_NS6detail26segmented_warp_sort_helperINS1_20WarpSortHelperConfigILj8ELj4ELj256EEEllLi256ELb0EvE4sortIPKlPlS8_S9_EEvT_T0_T1_T2_jjjjRNS5_12storage_typeE@rel32@lo+4
	s_addc_u32 s5, s5, _ZN7rocprim17ROCPRIM_400000_NS6detail26segmented_warp_sort_helperINS1_20WarpSortHelperConfigILj8ELj4ELj256EEEllLi256ELb0EvE4sortIPKlPlS8_S9_EEvT_T0_T1_T2_jjjjRNS5_12storage_typeE@rel32@hi+12
	s_mov_b64 s[18:19], s[0:1]
	s_swappc_b64 s[30:31], s[4:5]
	v_mov_b32_e32 v0, v42
	s_mov_b64 s[0:1], s[18:19]
	s_mov_b32 s2, 0
.LBB835_4:
	s_delay_alu instid0(SALU_CYCLE_1)
	s_and_not1_b32 vcc_lo, exec_lo, s2
	s_cbranch_vccnz .LBB835_6
; %bb.5:
	s_add_u32 s8, s0, 0x58
	s_addc_u32 s9, s1, 0
	s_mov_b64 s[0:1], src_shared_base
	v_dual_mov_b32 v31, v0 :: v_dual_mov_b32 v0, s16
	v_dual_mov_b32 v1, s17 :: v_dual_mov_b32 v2, s20
	;; [unrolled: 1-line block ×7, first 2 shown]
	v_mov_b32_e32 v13, s1
	s_mov_b32 s13, s15
	s_getpc_b64 s[2:3]
	s_add_u32 s2, s2, _ZN7rocprim17ROCPRIM_400000_NS6detail26segmented_warp_sort_helperINS1_20WarpSortHelperConfigILj8ELj4ELj256EEEllLi256ELb0EvE4sortIPKlPlS8_S9_EEvT_T0_T1_T2_jjjjRNS5_12storage_typeE@rel32@lo+4
	s_addc_u32 s3, s3, _ZN7rocprim17ROCPRIM_400000_NS6detail26segmented_warp_sort_helperINS1_20WarpSortHelperConfigILj8ELj4ELj256EEEllLi256ELb0EvE4sortIPKlPlS8_S9_EEvT_T0_T1_T2_jjjjRNS5_12storage_typeE@rel32@hi+12
	s_delay_alu instid0(SALU_CYCLE_1)
	s_swappc_b64 s[30:31], s[2:3]
.LBB835_6:
	s_endpgm
	.section	.rodata,"a",@progbits
	.p2align	6, 0x0
	.amdhsa_kernel _ZN7rocprim17ROCPRIM_400000_NS6detail17trampoline_kernelINS0_14default_configENS1_36segmented_radix_sort_config_selectorIllEEZNS1_25segmented_radix_sort_implIS3_Lb0EPKlPlS8_S9_N2at6native12_GLOBAL__N_18offset_tEEE10hipError_tPvRmT1_PNSt15iterator_traitsISH_E10value_typeET2_T3_PNSI_ISN_E10value_typeET4_jRbjT5_ST_jjP12ihipStream_tbEUlT_E1_NS1_11comp_targetILNS1_3genE9ELNS1_11target_archE1100ELNS1_3gpuE3ELNS1_3repE0EEENS1_59segmented_radix_sort_warp_sort_small_config_static_selectorELNS0_4arch9wavefront6targetE0EEEvSH_
		.amdhsa_group_segment_fixed_size 16384
		.amdhsa_private_segment_fixed_size 0
		.amdhsa_kernarg_size 344
		.amdhsa_user_sgpr_count 14
		.amdhsa_user_sgpr_dispatch_ptr 0
		.amdhsa_user_sgpr_queue_ptr 0
		.amdhsa_user_sgpr_kernarg_segment_ptr 1
		.amdhsa_user_sgpr_dispatch_id 0
		.amdhsa_user_sgpr_private_segment_size 0
		.amdhsa_wavefront_size32 1
		.amdhsa_uses_dynamic_stack 0
		.amdhsa_enable_private_segment 0
		.amdhsa_system_sgpr_workgroup_id_x 1
		.amdhsa_system_sgpr_workgroup_id_y 1
		.amdhsa_system_sgpr_workgroup_id_z 0
		.amdhsa_system_sgpr_workgroup_info 0
		.amdhsa_system_vgpr_workitem_id 2
		.amdhsa_next_free_vgpr 97
		.amdhsa_next_free_sgpr 33
		.amdhsa_reserve_vcc 1
		.amdhsa_float_round_mode_32 0
		.amdhsa_float_round_mode_16_64 0
		.amdhsa_float_denorm_mode_32 3
		.amdhsa_float_denorm_mode_16_64 3
		.amdhsa_dx10_clamp 1
		.amdhsa_ieee_mode 1
		.amdhsa_fp16_overflow 0
		.amdhsa_workgroup_processor_mode 1
		.amdhsa_memory_ordered 1
		.amdhsa_forward_progress 0
		.amdhsa_shared_vgpr_count 0
		.amdhsa_exception_fp_ieee_invalid_op 0
		.amdhsa_exception_fp_denorm_src 0
		.amdhsa_exception_fp_ieee_div_zero 0
		.amdhsa_exception_fp_ieee_overflow 0
		.amdhsa_exception_fp_ieee_underflow 0
		.amdhsa_exception_fp_ieee_inexact 0
		.amdhsa_exception_int_div_zero 0
	.end_amdhsa_kernel
	.section	.text._ZN7rocprim17ROCPRIM_400000_NS6detail17trampoline_kernelINS0_14default_configENS1_36segmented_radix_sort_config_selectorIllEEZNS1_25segmented_radix_sort_implIS3_Lb0EPKlPlS8_S9_N2at6native12_GLOBAL__N_18offset_tEEE10hipError_tPvRmT1_PNSt15iterator_traitsISH_E10value_typeET2_T3_PNSI_ISN_E10value_typeET4_jRbjT5_ST_jjP12ihipStream_tbEUlT_E1_NS1_11comp_targetILNS1_3genE9ELNS1_11target_archE1100ELNS1_3gpuE3ELNS1_3repE0EEENS1_59segmented_radix_sort_warp_sort_small_config_static_selectorELNS0_4arch9wavefront6targetE0EEEvSH_,"axG",@progbits,_ZN7rocprim17ROCPRIM_400000_NS6detail17trampoline_kernelINS0_14default_configENS1_36segmented_radix_sort_config_selectorIllEEZNS1_25segmented_radix_sort_implIS3_Lb0EPKlPlS8_S9_N2at6native12_GLOBAL__N_18offset_tEEE10hipError_tPvRmT1_PNSt15iterator_traitsISH_E10value_typeET2_T3_PNSI_ISN_E10value_typeET4_jRbjT5_ST_jjP12ihipStream_tbEUlT_E1_NS1_11comp_targetILNS1_3genE9ELNS1_11target_archE1100ELNS1_3gpuE3ELNS1_3repE0EEENS1_59segmented_radix_sort_warp_sort_small_config_static_selectorELNS0_4arch9wavefront6targetE0EEEvSH_,comdat
.Lfunc_end835:
	.size	_ZN7rocprim17ROCPRIM_400000_NS6detail17trampoline_kernelINS0_14default_configENS1_36segmented_radix_sort_config_selectorIllEEZNS1_25segmented_radix_sort_implIS3_Lb0EPKlPlS8_S9_N2at6native12_GLOBAL__N_18offset_tEEE10hipError_tPvRmT1_PNSt15iterator_traitsISH_E10value_typeET2_T3_PNSI_ISN_E10value_typeET4_jRbjT5_ST_jjP12ihipStream_tbEUlT_E1_NS1_11comp_targetILNS1_3genE9ELNS1_11target_archE1100ELNS1_3gpuE3ELNS1_3repE0EEENS1_59segmented_radix_sort_warp_sort_small_config_static_selectorELNS0_4arch9wavefront6targetE0EEEvSH_, .Lfunc_end835-_ZN7rocprim17ROCPRIM_400000_NS6detail17trampoline_kernelINS0_14default_configENS1_36segmented_radix_sort_config_selectorIllEEZNS1_25segmented_radix_sort_implIS3_Lb0EPKlPlS8_S9_N2at6native12_GLOBAL__N_18offset_tEEE10hipError_tPvRmT1_PNSt15iterator_traitsISH_E10value_typeET2_T3_PNSI_ISN_E10value_typeET4_jRbjT5_ST_jjP12ihipStream_tbEUlT_E1_NS1_11comp_targetILNS1_3genE9ELNS1_11target_archE1100ELNS1_3gpuE3ELNS1_3repE0EEENS1_59segmented_radix_sort_warp_sort_small_config_static_selectorELNS0_4arch9wavefront6targetE0EEEvSH_
                                        ; -- End function
	.section	.AMDGPU.csdata,"",@progbits
; Kernel info:
; codeLenInByte = 528
; NumSgprs: 35
; NumVgprs: 97
; ScratchSize: 0
; MemoryBound: 0
; FloatMode: 240
; IeeeMode: 1
; LDSByteSize: 16384 bytes/workgroup (compile time only)
; SGPRBlocks: 4
; VGPRBlocks: 12
; NumSGPRsForWavesPerEU: 35
; NumVGPRsForWavesPerEU: 97
; Occupancy: 12
; WaveLimiterHint : 0
; COMPUTE_PGM_RSRC2:SCRATCH_EN: 0
; COMPUTE_PGM_RSRC2:USER_SGPR: 14
; COMPUTE_PGM_RSRC2:TRAP_HANDLER: 0
; COMPUTE_PGM_RSRC2:TGID_X_EN: 1
; COMPUTE_PGM_RSRC2:TGID_Y_EN: 1
; COMPUTE_PGM_RSRC2:TGID_Z_EN: 0
; COMPUTE_PGM_RSRC2:TIDIG_COMP_CNT: 2
	.section	.text._ZN7rocprim17ROCPRIM_400000_NS6detail17trampoline_kernelINS0_14default_configENS1_36segmented_radix_sort_config_selectorIllEEZNS1_25segmented_radix_sort_implIS3_Lb0EPKlPlS8_S9_N2at6native12_GLOBAL__N_18offset_tEEE10hipError_tPvRmT1_PNSt15iterator_traitsISH_E10value_typeET2_T3_PNSI_ISN_E10value_typeET4_jRbjT5_ST_jjP12ihipStream_tbEUlT_E1_NS1_11comp_targetILNS1_3genE8ELNS1_11target_archE1030ELNS1_3gpuE2ELNS1_3repE0EEENS1_59segmented_radix_sort_warp_sort_small_config_static_selectorELNS0_4arch9wavefront6targetE0EEEvSH_,"axG",@progbits,_ZN7rocprim17ROCPRIM_400000_NS6detail17trampoline_kernelINS0_14default_configENS1_36segmented_radix_sort_config_selectorIllEEZNS1_25segmented_radix_sort_implIS3_Lb0EPKlPlS8_S9_N2at6native12_GLOBAL__N_18offset_tEEE10hipError_tPvRmT1_PNSt15iterator_traitsISH_E10value_typeET2_T3_PNSI_ISN_E10value_typeET4_jRbjT5_ST_jjP12ihipStream_tbEUlT_E1_NS1_11comp_targetILNS1_3genE8ELNS1_11target_archE1030ELNS1_3gpuE2ELNS1_3repE0EEENS1_59segmented_radix_sort_warp_sort_small_config_static_selectorELNS0_4arch9wavefront6targetE0EEEvSH_,comdat
	.globl	_ZN7rocprim17ROCPRIM_400000_NS6detail17trampoline_kernelINS0_14default_configENS1_36segmented_radix_sort_config_selectorIllEEZNS1_25segmented_radix_sort_implIS3_Lb0EPKlPlS8_S9_N2at6native12_GLOBAL__N_18offset_tEEE10hipError_tPvRmT1_PNSt15iterator_traitsISH_E10value_typeET2_T3_PNSI_ISN_E10value_typeET4_jRbjT5_ST_jjP12ihipStream_tbEUlT_E1_NS1_11comp_targetILNS1_3genE8ELNS1_11target_archE1030ELNS1_3gpuE2ELNS1_3repE0EEENS1_59segmented_radix_sort_warp_sort_small_config_static_selectorELNS0_4arch9wavefront6targetE0EEEvSH_ ; -- Begin function _ZN7rocprim17ROCPRIM_400000_NS6detail17trampoline_kernelINS0_14default_configENS1_36segmented_radix_sort_config_selectorIllEEZNS1_25segmented_radix_sort_implIS3_Lb0EPKlPlS8_S9_N2at6native12_GLOBAL__N_18offset_tEEE10hipError_tPvRmT1_PNSt15iterator_traitsISH_E10value_typeET2_T3_PNSI_ISN_E10value_typeET4_jRbjT5_ST_jjP12ihipStream_tbEUlT_E1_NS1_11comp_targetILNS1_3genE8ELNS1_11target_archE1030ELNS1_3gpuE2ELNS1_3repE0EEENS1_59segmented_radix_sort_warp_sort_small_config_static_selectorELNS0_4arch9wavefront6targetE0EEEvSH_
	.p2align	8
	.type	_ZN7rocprim17ROCPRIM_400000_NS6detail17trampoline_kernelINS0_14default_configENS1_36segmented_radix_sort_config_selectorIllEEZNS1_25segmented_radix_sort_implIS3_Lb0EPKlPlS8_S9_N2at6native12_GLOBAL__N_18offset_tEEE10hipError_tPvRmT1_PNSt15iterator_traitsISH_E10value_typeET2_T3_PNSI_ISN_E10value_typeET4_jRbjT5_ST_jjP12ihipStream_tbEUlT_E1_NS1_11comp_targetILNS1_3genE8ELNS1_11target_archE1030ELNS1_3gpuE2ELNS1_3repE0EEENS1_59segmented_radix_sort_warp_sort_small_config_static_selectorELNS0_4arch9wavefront6targetE0EEEvSH_,@function
_ZN7rocprim17ROCPRIM_400000_NS6detail17trampoline_kernelINS0_14default_configENS1_36segmented_radix_sort_config_selectorIllEEZNS1_25segmented_radix_sort_implIS3_Lb0EPKlPlS8_S9_N2at6native12_GLOBAL__N_18offset_tEEE10hipError_tPvRmT1_PNSt15iterator_traitsISH_E10value_typeET2_T3_PNSI_ISN_E10value_typeET4_jRbjT5_ST_jjP12ihipStream_tbEUlT_E1_NS1_11comp_targetILNS1_3genE8ELNS1_11target_archE1030ELNS1_3gpuE2ELNS1_3repE0EEENS1_59segmented_radix_sort_warp_sort_small_config_static_selectorELNS0_4arch9wavefront6targetE0EEEvSH_: ; @_ZN7rocprim17ROCPRIM_400000_NS6detail17trampoline_kernelINS0_14default_configENS1_36segmented_radix_sort_config_selectorIllEEZNS1_25segmented_radix_sort_implIS3_Lb0EPKlPlS8_S9_N2at6native12_GLOBAL__N_18offset_tEEE10hipError_tPvRmT1_PNSt15iterator_traitsISH_E10value_typeET2_T3_PNSI_ISN_E10value_typeET4_jRbjT5_ST_jjP12ihipStream_tbEUlT_E1_NS1_11comp_targetILNS1_3genE8ELNS1_11target_archE1030ELNS1_3gpuE2ELNS1_3repE0EEENS1_59segmented_radix_sort_warp_sort_small_config_static_selectorELNS0_4arch9wavefront6targetE0EEEvSH_
; %bb.0:
	.section	.rodata,"a",@progbits
	.p2align	6, 0x0
	.amdhsa_kernel _ZN7rocprim17ROCPRIM_400000_NS6detail17trampoline_kernelINS0_14default_configENS1_36segmented_radix_sort_config_selectorIllEEZNS1_25segmented_radix_sort_implIS3_Lb0EPKlPlS8_S9_N2at6native12_GLOBAL__N_18offset_tEEE10hipError_tPvRmT1_PNSt15iterator_traitsISH_E10value_typeET2_T3_PNSI_ISN_E10value_typeET4_jRbjT5_ST_jjP12ihipStream_tbEUlT_E1_NS1_11comp_targetILNS1_3genE8ELNS1_11target_archE1030ELNS1_3gpuE2ELNS1_3repE0EEENS1_59segmented_radix_sort_warp_sort_small_config_static_selectorELNS0_4arch9wavefront6targetE0EEEvSH_
		.amdhsa_group_segment_fixed_size 0
		.amdhsa_private_segment_fixed_size 0
		.amdhsa_kernarg_size 88
		.amdhsa_user_sgpr_count 15
		.amdhsa_user_sgpr_dispatch_ptr 0
		.amdhsa_user_sgpr_queue_ptr 0
		.amdhsa_user_sgpr_kernarg_segment_ptr 1
		.amdhsa_user_sgpr_dispatch_id 0
		.amdhsa_user_sgpr_private_segment_size 0
		.amdhsa_wavefront_size32 1
		.amdhsa_uses_dynamic_stack 0
		.amdhsa_enable_private_segment 0
		.amdhsa_system_sgpr_workgroup_id_x 1
		.amdhsa_system_sgpr_workgroup_id_y 0
		.amdhsa_system_sgpr_workgroup_id_z 0
		.amdhsa_system_sgpr_workgroup_info 0
		.amdhsa_system_vgpr_workitem_id 0
		.amdhsa_next_free_vgpr 1
		.amdhsa_next_free_sgpr 1
		.amdhsa_reserve_vcc 0
		.amdhsa_float_round_mode_32 0
		.amdhsa_float_round_mode_16_64 0
		.amdhsa_float_denorm_mode_32 3
		.amdhsa_float_denorm_mode_16_64 3
		.amdhsa_dx10_clamp 1
		.amdhsa_ieee_mode 1
		.amdhsa_fp16_overflow 0
		.amdhsa_workgroup_processor_mode 1
		.amdhsa_memory_ordered 1
		.amdhsa_forward_progress 0
		.amdhsa_shared_vgpr_count 0
		.amdhsa_exception_fp_ieee_invalid_op 0
		.amdhsa_exception_fp_denorm_src 0
		.amdhsa_exception_fp_ieee_div_zero 0
		.amdhsa_exception_fp_ieee_overflow 0
		.amdhsa_exception_fp_ieee_underflow 0
		.amdhsa_exception_fp_ieee_inexact 0
		.amdhsa_exception_int_div_zero 0
	.end_amdhsa_kernel
	.section	.text._ZN7rocprim17ROCPRIM_400000_NS6detail17trampoline_kernelINS0_14default_configENS1_36segmented_radix_sort_config_selectorIllEEZNS1_25segmented_radix_sort_implIS3_Lb0EPKlPlS8_S9_N2at6native12_GLOBAL__N_18offset_tEEE10hipError_tPvRmT1_PNSt15iterator_traitsISH_E10value_typeET2_T3_PNSI_ISN_E10value_typeET4_jRbjT5_ST_jjP12ihipStream_tbEUlT_E1_NS1_11comp_targetILNS1_3genE8ELNS1_11target_archE1030ELNS1_3gpuE2ELNS1_3repE0EEENS1_59segmented_radix_sort_warp_sort_small_config_static_selectorELNS0_4arch9wavefront6targetE0EEEvSH_,"axG",@progbits,_ZN7rocprim17ROCPRIM_400000_NS6detail17trampoline_kernelINS0_14default_configENS1_36segmented_radix_sort_config_selectorIllEEZNS1_25segmented_radix_sort_implIS3_Lb0EPKlPlS8_S9_N2at6native12_GLOBAL__N_18offset_tEEE10hipError_tPvRmT1_PNSt15iterator_traitsISH_E10value_typeET2_T3_PNSI_ISN_E10value_typeET4_jRbjT5_ST_jjP12ihipStream_tbEUlT_E1_NS1_11comp_targetILNS1_3genE8ELNS1_11target_archE1030ELNS1_3gpuE2ELNS1_3repE0EEENS1_59segmented_radix_sort_warp_sort_small_config_static_selectorELNS0_4arch9wavefront6targetE0EEEvSH_,comdat
.Lfunc_end836:
	.size	_ZN7rocprim17ROCPRIM_400000_NS6detail17trampoline_kernelINS0_14default_configENS1_36segmented_radix_sort_config_selectorIllEEZNS1_25segmented_radix_sort_implIS3_Lb0EPKlPlS8_S9_N2at6native12_GLOBAL__N_18offset_tEEE10hipError_tPvRmT1_PNSt15iterator_traitsISH_E10value_typeET2_T3_PNSI_ISN_E10value_typeET4_jRbjT5_ST_jjP12ihipStream_tbEUlT_E1_NS1_11comp_targetILNS1_3genE8ELNS1_11target_archE1030ELNS1_3gpuE2ELNS1_3repE0EEENS1_59segmented_radix_sort_warp_sort_small_config_static_selectorELNS0_4arch9wavefront6targetE0EEEvSH_, .Lfunc_end836-_ZN7rocprim17ROCPRIM_400000_NS6detail17trampoline_kernelINS0_14default_configENS1_36segmented_radix_sort_config_selectorIllEEZNS1_25segmented_radix_sort_implIS3_Lb0EPKlPlS8_S9_N2at6native12_GLOBAL__N_18offset_tEEE10hipError_tPvRmT1_PNSt15iterator_traitsISH_E10value_typeET2_T3_PNSI_ISN_E10value_typeET4_jRbjT5_ST_jjP12ihipStream_tbEUlT_E1_NS1_11comp_targetILNS1_3genE8ELNS1_11target_archE1030ELNS1_3gpuE2ELNS1_3repE0EEENS1_59segmented_radix_sort_warp_sort_small_config_static_selectorELNS0_4arch9wavefront6targetE0EEEvSH_
                                        ; -- End function
	.section	.AMDGPU.csdata,"",@progbits
; Kernel info:
; codeLenInByte = 0
; NumSgprs: 0
; NumVgprs: 0
; ScratchSize: 0
; MemoryBound: 0
; FloatMode: 240
; IeeeMode: 1
; LDSByteSize: 0 bytes/workgroup (compile time only)
; SGPRBlocks: 0
; VGPRBlocks: 0
; NumSGPRsForWavesPerEU: 1
; NumVGPRsForWavesPerEU: 1
; Occupancy: 16
; WaveLimiterHint : 0
; COMPUTE_PGM_RSRC2:SCRATCH_EN: 0
; COMPUTE_PGM_RSRC2:USER_SGPR: 15
; COMPUTE_PGM_RSRC2:TRAP_HANDLER: 0
; COMPUTE_PGM_RSRC2:TGID_X_EN: 1
; COMPUTE_PGM_RSRC2:TGID_Y_EN: 0
; COMPUTE_PGM_RSRC2:TGID_Z_EN: 0
; COMPUTE_PGM_RSRC2:TIDIG_COMP_CNT: 0
	.section	.text._ZN7rocprim17ROCPRIM_400000_NS6detail17trampoline_kernelINS0_14default_configENS1_36segmented_radix_sort_config_selectorIllEEZNS1_25segmented_radix_sort_implIS3_Lb0EPKlPlS8_S9_N2at6native12_GLOBAL__N_18offset_tEEE10hipError_tPvRmT1_PNSt15iterator_traitsISH_E10value_typeET2_T3_PNSI_ISN_E10value_typeET4_jRbjT5_ST_jjP12ihipStream_tbEUlT_E2_NS1_11comp_targetILNS1_3genE0ELNS1_11target_archE4294967295ELNS1_3gpuE0ELNS1_3repE0EEENS1_30default_config_static_selectorELNS0_4arch9wavefront6targetE0EEEvSH_,"axG",@progbits,_ZN7rocprim17ROCPRIM_400000_NS6detail17trampoline_kernelINS0_14default_configENS1_36segmented_radix_sort_config_selectorIllEEZNS1_25segmented_radix_sort_implIS3_Lb0EPKlPlS8_S9_N2at6native12_GLOBAL__N_18offset_tEEE10hipError_tPvRmT1_PNSt15iterator_traitsISH_E10value_typeET2_T3_PNSI_ISN_E10value_typeET4_jRbjT5_ST_jjP12ihipStream_tbEUlT_E2_NS1_11comp_targetILNS1_3genE0ELNS1_11target_archE4294967295ELNS1_3gpuE0ELNS1_3repE0EEENS1_30default_config_static_selectorELNS0_4arch9wavefront6targetE0EEEvSH_,comdat
	.globl	_ZN7rocprim17ROCPRIM_400000_NS6detail17trampoline_kernelINS0_14default_configENS1_36segmented_radix_sort_config_selectorIllEEZNS1_25segmented_radix_sort_implIS3_Lb0EPKlPlS8_S9_N2at6native12_GLOBAL__N_18offset_tEEE10hipError_tPvRmT1_PNSt15iterator_traitsISH_E10value_typeET2_T3_PNSI_ISN_E10value_typeET4_jRbjT5_ST_jjP12ihipStream_tbEUlT_E2_NS1_11comp_targetILNS1_3genE0ELNS1_11target_archE4294967295ELNS1_3gpuE0ELNS1_3repE0EEENS1_30default_config_static_selectorELNS0_4arch9wavefront6targetE0EEEvSH_ ; -- Begin function _ZN7rocprim17ROCPRIM_400000_NS6detail17trampoline_kernelINS0_14default_configENS1_36segmented_radix_sort_config_selectorIllEEZNS1_25segmented_radix_sort_implIS3_Lb0EPKlPlS8_S9_N2at6native12_GLOBAL__N_18offset_tEEE10hipError_tPvRmT1_PNSt15iterator_traitsISH_E10value_typeET2_T3_PNSI_ISN_E10value_typeET4_jRbjT5_ST_jjP12ihipStream_tbEUlT_E2_NS1_11comp_targetILNS1_3genE0ELNS1_11target_archE4294967295ELNS1_3gpuE0ELNS1_3repE0EEENS1_30default_config_static_selectorELNS0_4arch9wavefront6targetE0EEEvSH_
	.p2align	8
	.type	_ZN7rocprim17ROCPRIM_400000_NS6detail17trampoline_kernelINS0_14default_configENS1_36segmented_radix_sort_config_selectorIllEEZNS1_25segmented_radix_sort_implIS3_Lb0EPKlPlS8_S9_N2at6native12_GLOBAL__N_18offset_tEEE10hipError_tPvRmT1_PNSt15iterator_traitsISH_E10value_typeET2_T3_PNSI_ISN_E10value_typeET4_jRbjT5_ST_jjP12ihipStream_tbEUlT_E2_NS1_11comp_targetILNS1_3genE0ELNS1_11target_archE4294967295ELNS1_3gpuE0ELNS1_3repE0EEENS1_30default_config_static_selectorELNS0_4arch9wavefront6targetE0EEEvSH_,@function
_ZN7rocprim17ROCPRIM_400000_NS6detail17trampoline_kernelINS0_14default_configENS1_36segmented_radix_sort_config_selectorIllEEZNS1_25segmented_radix_sort_implIS3_Lb0EPKlPlS8_S9_N2at6native12_GLOBAL__N_18offset_tEEE10hipError_tPvRmT1_PNSt15iterator_traitsISH_E10value_typeET2_T3_PNSI_ISN_E10value_typeET4_jRbjT5_ST_jjP12ihipStream_tbEUlT_E2_NS1_11comp_targetILNS1_3genE0ELNS1_11target_archE4294967295ELNS1_3gpuE0ELNS1_3repE0EEENS1_30default_config_static_selectorELNS0_4arch9wavefront6targetE0EEEvSH_: ; @_ZN7rocprim17ROCPRIM_400000_NS6detail17trampoline_kernelINS0_14default_configENS1_36segmented_radix_sort_config_selectorIllEEZNS1_25segmented_radix_sort_implIS3_Lb0EPKlPlS8_S9_N2at6native12_GLOBAL__N_18offset_tEEE10hipError_tPvRmT1_PNSt15iterator_traitsISH_E10value_typeET2_T3_PNSI_ISN_E10value_typeET4_jRbjT5_ST_jjP12ihipStream_tbEUlT_E2_NS1_11comp_targetILNS1_3genE0ELNS1_11target_archE4294967295ELNS1_3gpuE0ELNS1_3repE0EEENS1_30default_config_static_selectorELNS0_4arch9wavefront6targetE0EEEvSH_
; %bb.0:
	.section	.rodata,"a",@progbits
	.p2align	6, 0x0
	.amdhsa_kernel _ZN7rocprim17ROCPRIM_400000_NS6detail17trampoline_kernelINS0_14default_configENS1_36segmented_radix_sort_config_selectorIllEEZNS1_25segmented_radix_sort_implIS3_Lb0EPKlPlS8_S9_N2at6native12_GLOBAL__N_18offset_tEEE10hipError_tPvRmT1_PNSt15iterator_traitsISH_E10value_typeET2_T3_PNSI_ISN_E10value_typeET4_jRbjT5_ST_jjP12ihipStream_tbEUlT_E2_NS1_11comp_targetILNS1_3genE0ELNS1_11target_archE4294967295ELNS1_3gpuE0ELNS1_3repE0EEENS1_30default_config_static_selectorELNS0_4arch9wavefront6targetE0EEEvSH_
		.amdhsa_group_segment_fixed_size 0
		.amdhsa_private_segment_fixed_size 0
		.amdhsa_kernarg_size 80
		.amdhsa_user_sgpr_count 15
		.amdhsa_user_sgpr_dispatch_ptr 0
		.amdhsa_user_sgpr_queue_ptr 0
		.amdhsa_user_sgpr_kernarg_segment_ptr 1
		.amdhsa_user_sgpr_dispatch_id 0
		.amdhsa_user_sgpr_private_segment_size 0
		.amdhsa_wavefront_size32 1
		.amdhsa_uses_dynamic_stack 0
		.amdhsa_enable_private_segment 0
		.amdhsa_system_sgpr_workgroup_id_x 1
		.amdhsa_system_sgpr_workgroup_id_y 0
		.amdhsa_system_sgpr_workgroup_id_z 0
		.amdhsa_system_sgpr_workgroup_info 0
		.amdhsa_system_vgpr_workitem_id 0
		.amdhsa_next_free_vgpr 1
		.amdhsa_next_free_sgpr 1
		.amdhsa_reserve_vcc 0
		.amdhsa_float_round_mode_32 0
		.amdhsa_float_round_mode_16_64 0
		.amdhsa_float_denorm_mode_32 3
		.amdhsa_float_denorm_mode_16_64 3
		.amdhsa_dx10_clamp 1
		.amdhsa_ieee_mode 1
		.amdhsa_fp16_overflow 0
		.amdhsa_workgroup_processor_mode 1
		.amdhsa_memory_ordered 1
		.amdhsa_forward_progress 0
		.amdhsa_shared_vgpr_count 0
		.amdhsa_exception_fp_ieee_invalid_op 0
		.amdhsa_exception_fp_denorm_src 0
		.amdhsa_exception_fp_ieee_div_zero 0
		.amdhsa_exception_fp_ieee_overflow 0
		.amdhsa_exception_fp_ieee_underflow 0
		.amdhsa_exception_fp_ieee_inexact 0
		.amdhsa_exception_int_div_zero 0
	.end_amdhsa_kernel
	.section	.text._ZN7rocprim17ROCPRIM_400000_NS6detail17trampoline_kernelINS0_14default_configENS1_36segmented_radix_sort_config_selectorIllEEZNS1_25segmented_radix_sort_implIS3_Lb0EPKlPlS8_S9_N2at6native12_GLOBAL__N_18offset_tEEE10hipError_tPvRmT1_PNSt15iterator_traitsISH_E10value_typeET2_T3_PNSI_ISN_E10value_typeET4_jRbjT5_ST_jjP12ihipStream_tbEUlT_E2_NS1_11comp_targetILNS1_3genE0ELNS1_11target_archE4294967295ELNS1_3gpuE0ELNS1_3repE0EEENS1_30default_config_static_selectorELNS0_4arch9wavefront6targetE0EEEvSH_,"axG",@progbits,_ZN7rocprim17ROCPRIM_400000_NS6detail17trampoline_kernelINS0_14default_configENS1_36segmented_radix_sort_config_selectorIllEEZNS1_25segmented_radix_sort_implIS3_Lb0EPKlPlS8_S9_N2at6native12_GLOBAL__N_18offset_tEEE10hipError_tPvRmT1_PNSt15iterator_traitsISH_E10value_typeET2_T3_PNSI_ISN_E10value_typeET4_jRbjT5_ST_jjP12ihipStream_tbEUlT_E2_NS1_11comp_targetILNS1_3genE0ELNS1_11target_archE4294967295ELNS1_3gpuE0ELNS1_3repE0EEENS1_30default_config_static_selectorELNS0_4arch9wavefront6targetE0EEEvSH_,comdat
.Lfunc_end837:
	.size	_ZN7rocprim17ROCPRIM_400000_NS6detail17trampoline_kernelINS0_14default_configENS1_36segmented_radix_sort_config_selectorIllEEZNS1_25segmented_radix_sort_implIS3_Lb0EPKlPlS8_S9_N2at6native12_GLOBAL__N_18offset_tEEE10hipError_tPvRmT1_PNSt15iterator_traitsISH_E10value_typeET2_T3_PNSI_ISN_E10value_typeET4_jRbjT5_ST_jjP12ihipStream_tbEUlT_E2_NS1_11comp_targetILNS1_3genE0ELNS1_11target_archE4294967295ELNS1_3gpuE0ELNS1_3repE0EEENS1_30default_config_static_selectorELNS0_4arch9wavefront6targetE0EEEvSH_, .Lfunc_end837-_ZN7rocprim17ROCPRIM_400000_NS6detail17trampoline_kernelINS0_14default_configENS1_36segmented_radix_sort_config_selectorIllEEZNS1_25segmented_radix_sort_implIS3_Lb0EPKlPlS8_S9_N2at6native12_GLOBAL__N_18offset_tEEE10hipError_tPvRmT1_PNSt15iterator_traitsISH_E10value_typeET2_T3_PNSI_ISN_E10value_typeET4_jRbjT5_ST_jjP12ihipStream_tbEUlT_E2_NS1_11comp_targetILNS1_3genE0ELNS1_11target_archE4294967295ELNS1_3gpuE0ELNS1_3repE0EEENS1_30default_config_static_selectorELNS0_4arch9wavefront6targetE0EEEvSH_
                                        ; -- End function
	.section	.AMDGPU.csdata,"",@progbits
; Kernel info:
; codeLenInByte = 0
; NumSgprs: 0
; NumVgprs: 0
; ScratchSize: 0
; MemoryBound: 0
; FloatMode: 240
; IeeeMode: 1
; LDSByteSize: 0 bytes/workgroup (compile time only)
; SGPRBlocks: 0
; VGPRBlocks: 0
; NumSGPRsForWavesPerEU: 1
; NumVGPRsForWavesPerEU: 1
; Occupancy: 16
; WaveLimiterHint : 0
; COMPUTE_PGM_RSRC2:SCRATCH_EN: 0
; COMPUTE_PGM_RSRC2:USER_SGPR: 15
; COMPUTE_PGM_RSRC2:TRAP_HANDLER: 0
; COMPUTE_PGM_RSRC2:TGID_X_EN: 1
; COMPUTE_PGM_RSRC2:TGID_Y_EN: 0
; COMPUTE_PGM_RSRC2:TGID_Z_EN: 0
; COMPUTE_PGM_RSRC2:TIDIG_COMP_CNT: 0
	.section	.text._ZN7rocprim17ROCPRIM_400000_NS6detail17trampoline_kernelINS0_14default_configENS1_36segmented_radix_sort_config_selectorIllEEZNS1_25segmented_radix_sort_implIS3_Lb0EPKlPlS8_S9_N2at6native12_GLOBAL__N_18offset_tEEE10hipError_tPvRmT1_PNSt15iterator_traitsISH_E10value_typeET2_T3_PNSI_ISN_E10value_typeET4_jRbjT5_ST_jjP12ihipStream_tbEUlT_E2_NS1_11comp_targetILNS1_3genE5ELNS1_11target_archE942ELNS1_3gpuE9ELNS1_3repE0EEENS1_30default_config_static_selectorELNS0_4arch9wavefront6targetE0EEEvSH_,"axG",@progbits,_ZN7rocprim17ROCPRIM_400000_NS6detail17trampoline_kernelINS0_14default_configENS1_36segmented_radix_sort_config_selectorIllEEZNS1_25segmented_radix_sort_implIS3_Lb0EPKlPlS8_S9_N2at6native12_GLOBAL__N_18offset_tEEE10hipError_tPvRmT1_PNSt15iterator_traitsISH_E10value_typeET2_T3_PNSI_ISN_E10value_typeET4_jRbjT5_ST_jjP12ihipStream_tbEUlT_E2_NS1_11comp_targetILNS1_3genE5ELNS1_11target_archE942ELNS1_3gpuE9ELNS1_3repE0EEENS1_30default_config_static_selectorELNS0_4arch9wavefront6targetE0EEEvSH_,comdat
	.globl	_ZN7rocprim17ROCPRIM_400000_NS6detail17trampoline_kernelINS0_14default_configENS1_36segmented_radix_sort_config_selectorIllEEZNS1_25segmented_radix_sort_implIS3_Lb0EPKlPlS8_S9_N2at6native12_GLOBAL__N_18offset_tEEE10hipError_tPvRmT1_PNSt15iterator_traitsISH_E10value_typeET2_T3_PNSI_ISN_E10value_typeET4_jRbjT5_ST_jjP12ihipStream_tbEUlT_E2_NS1_11comp_targetILNS1_3genE5ELNS1_11target_archE942ELNS1_3gpuE9ELNS1_3repE0EEENS1_30default_config_static_selectorELNS0_4arch9wavefront6targetE0EEEvSH_ ; -- Begin function _ZN7rocprim17ROCPRIM_400000_NS6detail17trampoline_kernelINS0_14default_configENS1_36segmented_radix_sort_config_selectorIllEEZNS1_25segmented_radix_sort_implIS3_Lb0EPKlPlS8_S9_N2at6native12_GLOBAL__N_18offset_tEEE10hipError_tPvRmT1_PNSt15iterator_traitsISH_E10value_typeET2_T3_PNSI_ISN_E10value_typeET4_jRbjT5_ST_jjP12ihipStream_tbEUlT_E2_NS1_11comp_targetILNS1_3genE5ELNS1_11target_archE942ELNS1_3gpuE9ELNS1_3repE0EEENS1_30default_config_static_selectorELNS0_4arch9wavefront6targetE0EEEvSH_
	.p2align	8
	.type	_ZN7rocprim17ROCPRIM_400000_NS6detail17trampoline_kernelINS0_14default_configENS1_36segmented_radix_sort_config_selectorIllEEZNS1_25segmented_radix_sort_implIS3_Lb0EPKlPlS8_S9_N2at6native12_GLOBAL__N_18offset_tEEE10hipError_tPvRmT1_PNSt15iterator_traitsISH_E10value_typeET2_T3_PNSI_ISN_E10value_typeET4_jRbjT5_ST_jjP12ihipStream_tbEUlT_E2_NS1_11comp_targetILNS1_3genE5ELNS1_11target_archE942ELNS1_3gpuE9ELNS1_3repE0EEENS1_30default_config_static_selectorELNS0_4arch9wavefront6targetE0EEEvSH_,@function
_ZN7rocprim17ROCPRIM_400000_NS6detail17trampoline_kernelINS0_14default_configENS1_36segmented_radix_sort_config_selectorIllEEZNS1_25segmented_radix_sort_implIS3_Lb0EPKlPlS8_S9_N2at6native12_GLOBAL__N_18offset_tEEE10hipError_tPvRmT1_PNSt15iterator_traitsISH_E10value_typeET2_T3_PNSI_ISN_E10value_typeET4_jRbjT5_ST_jjP12ihipStream_tbEUlT_E2_NS1_11comp_targetILNS1_3genE5ELNS1_11target_archE942ELNS1_3gpuE9ELNS1_3repE0EEENS1_30default_config_static_selectorELNS0_4arch9wavefront6targetE0EEEvSH_: ; @_ZN7rocprim17ROCPRIM_400000_NS6detail17trampoline_kernelINS0_14default_configENS1_36segmented_radix_sort_config_selectorIllEEZNS1_25segmented_radix_sort_implIS3_Lb0EPKlPlS8_S9_N2at6native12_GLOBAL__N_18offset_tEEE10hipError_tPvRmT1_PNSt15iterator_traitsISH_E10value_typeET2_T3_PNSI_ISN_E10value_typeET4_jRbjT5_ST_jjP12ihipStream_tbEUlT_E2_NS1_11comp_targetILNS1_3genE5ELNS1_11target_archE942ELNS1_3gpuE9ELNS1_3repE0EEENS1_30default_config_static_selectorELNS0_4arch9wavefront6targetE0EEEvSH_
; %bb.0:
	.section	.rodata,"a",@progbits
	.p2align	6, 0x0
	.amdhsa_kernel _ZN7rocprim17ROCPRIM_400000_NS6detail17trampoline_kernelINS0_14default_configENS1_36segmented_radix_sort_config_selectorIllEEZNS1_25segmented_radix_sort_implIS3_Lb0EPKlPlS8_S9_N2at6native12_GLOBAL__N_18offset_tEEE10hipError_tPvRmT1_PNSt15iterator_traitsISH_E10value_typeET2_T3_PNSI_ISN_E10value_typeET4_jRbjT5_ST_jjP12ihipStream_tbEUlT_E2_NS1_11comp_targetILNS1_3genE5ELNS1_11target_archE942ELNS1_3gpuE9ELNS1_3repE0EEENS1_30default_config_static_selectorELNS0_4arch9wavefront6targetE0EEEvSH_
		.amdhsa_group_segment_fixed_size 0
		.amdhsa_private_segment_fixed_size 0
		.amdhsa_kernarg_size 80
		.amdhsa_user_sgpr_count 15
		.amdhsa_user_sgpr_dispatch_ptr 0
		.amdhsa_user_sgpr_queue_ptr 0
		.amdhsa_user_sgpr_kernarg_segment_ptr 1
		.amdhsa_user_sgpr_dispatch_id 0
		.amdhsa_user_sgpr_private_segment_size 0
		.amdhsa_wavefront_size32 1
		.amdhsa_uses_dynamic_stack 0
		.amdhsa_enable_private_segment 0
		.amdhsa_system_sgpr_workgroup_id_x 1
		.amdhsa_system_sgpr_workgroup_id_y 0
		.amdhsa_system_sgpr_workgroup_id_z 0
		.amdhsa_system_sgpr_workgroup_info 0
		.amdhsa_system_vgpr_workitem_id 0
		.amdhsa_next_free_vgpr 1
		.amdhsa_next_free_sgpr 1
		.amdhsa_reserve_vcc 0
		.amdhsa_float_round_mode_32 0
		.amdhsa_float_round_mode_16_64 0
		.amdhsa_float_denorm_mode_32 3
		.amdhsa_float_denorm_mode_16_64 3
		.amdhsa_dx10_clamp 1
		.amdhsa_ieee_mode 1
		.amdhsa_fp16_overflow 0
		.amdhsa_workgroup_processor_mode 1
		.amdhsa_memory_ordered 1
		.amdhsa_forward_progress 0
		.amdhsa_shared_vgpr_count 0
		.amdhsa_exception_fp_ieee_invalid_op 0
		.amdhsa_exception_fp_denorm_src 0
		.amdhsa_exception_fp_ieee_div_zero 0
		.amdhsa_exception_fp_ieee_overflow 0
		.amdhsa_exception_fp_ieee_underflow 0
		.amdhsa_exception_fp_ieee_inexact 0
		.amdhsa_exception_int_div_zero 0
	.end_amdhsa_kernel
	.section	.text._ZN7rocprim17ROCPRIM_400000_NS6detail17trampoline_kernelINS0_14default_configENS1_36segmented_radix_sort_config_selectorIllEEZNS1_25segmented_radix_sort_implIS3_Lb0EPKlPlS8_S9_N2at6native12_GLOBAL__N_18offset_tEEE10hipError_tPvRmT1_PNSt15iterator_traitsISH_E10value_typeET2_T3_PNSI_ISN_E10value_typeET4_jRbjT5_ST_jjP12ihipStream_tbEUlT_E2_NS1_11comp_targetILNS1_3genE5ELNS1_11target_archE942ELNS1_3gpuE9ELNS1_3repE0EEENS1_30default_config_static_selectorELNS0_4arch9wavefront6targetE0EEEvSH_,"axG",@progbits,_ZN7rocprim17ROCPRIM_400000_NS6detail17trampoline_kernelINS0_14default_configENS1_36segmented_radix_sort_config_selectorIllEEZNS1_25segmented_radix_sort_implIS3_Lb0EPKlPlS8_S9_N2at6native12_GLOBAL__N_18offset_tEEE10hipError_tPvRmT1_PNSt15iterator_traitsISH_E10value_typeET2_T3_PNSI_ISN_E10value_typeET4_jRbjT5_ST_jjP12ihipStream_tbEUlT_E2_NS1_11comp_targetILNS1_3genE5ELNS1_11target_archE942ELNS1_3gpuE9ELNS1_3repE0EEENS1_30default_config_static_selectorELNS0_4arch9wavefront6targetE0EEEvSH_,comdat
.Lfunc_end838:
	.size	_ZN7rocprim17ROCPRIM_400000_NS6detail17trampoline_kernelINS0_14default_configENS1_36segmented_radix_sort_config_selectorIllEEZNS1_25segmented_radix_sort_implIS3_Lb0EPKlPlS8_S9_N2at6native12_GLOBAL__N_18offset_tEEE10hipError_tPvRmT1_PNSt15iterator_traitsISH_E10value_typeET2_T3_PNSI_ISN_E10value_typeET4_jRbjT5_ST_jjP12ihipStream_tbEUlT_E2_NS1_11comp_targetILNS1_3genE5ELNS1_11target_archE942ELNS1_3gpuE9ELNS1_3repE0EEENS1_30default_config_static_selectorELNS0_4arch9wavefront6targetE0EEEvSH_, .Lfunc_end838-_ZN7rocprim17ROCPRIM_400000_NS6detail17trampoline_kernelINS0_14default_configENS1_36segmented_radix_sort_config_selectorIllEEZNS1_25segmented_radix_sort_implIS3_Lb0EPKlPlS8_S9_N2at6native12_GLOBAL__N_18offset_tEEE10hipError_tPvRmT1_PNSt15iterator_traitsISH_E10value_typeET2_T3_PNSI_ISN_E10value_typeET4_jRbjT5_ST_jjP12ihipStream_tbEUlT_E2_NS1_11comp_targetILNS1_3genE5ELNS1_11target_archE942ELNS1_3gpuE9ELNS1_3repE0EEENS1_30default_config_static_selectorELNS0_4arch9wavefront6targetE0EEEvSH_
                                        ; -- End function
	.section	.AMDGPU.csdata,"",@progbits
; Kernel info:
; codeLenInByte = 0
; NumSgprs: 0
; NumVgprs: 0
; ScratchSize: 0
; MemoryBound: 0
; FloatMode: 240
; IeeeMode: 1
; LDSByteSize: 0 bytes/workgroup (compile time only)
; SGPRBlocks: 0
; VGPRBlocks: 0
; NumSGPRsForWavesPerEU: 1
; NumVGPRsForWavesPerEU: 1
; Occupancy: 16
; WaveLimiterHint : 0
; COMPUTE_PGM_RSRC2:SCRATCH_EN: 0
; COMPUTE_PGM_RSRC2:USER_SGPR: 15
; COMPUTE_PGM_RSRC2:TRAP_HANDLER: 0
; COMPUTE_PGM_RSRC2:TGID_X_EN: 1
; COMPUTE_PGM_RSRC2:TGID_Y_EN: 0
; COMPUTE_PGM_RSRC2:TGID_Z_EN: 0
; COMPUTE_PGM_RSRC2:TIDIG_COMP_CNT: 0
	.section	.text._ZN7rocprim17ROCPRIM_400000_NS6detail17trampoline_kernelINS0_14default_configENS1_36segmented_radix_sort_config_selectorIllEEZNS1_25segmented_radix_sort_implIS3_Lb0EPKlPlS8_S9_N2at6native12_GLOBAL__N_18offset_tEEE10hipError_tPvRmT1_PNSt15iterator_traitsISH_E10value_typeET2_T3_PNSI_ISN_E10value_typeET4_jRbjT5_ST_jjP12ihipStream_tbEUlT_E2_NS1_11comp_targetILNS1_3genE4ELNS1_11target_archE910ELNS1_3gpuE8ELNS1_3repE0EEENS1_30default_config_static_selectorELNS0_4arch9wavefront6targetE0EEEvSH_,"axG",@progbits,_ZN7rocprim17ROCPRIM_400000_NS6detail17trampoline_kernelINS0_14default_configENS1_36segmented_radix_sort_config_selectorIllEEZNS1_25segmented_radix_sort_implIS3_Lb0EPKlPlS8_S9_N2at6native12_GLOBAL__N_18offset_tEEE10hipError_tPvRmT1_PNSt15iterator_traitsISH_E10value_typeET2_T3_PNSI_ISN_E10value_typeET4_jRbjT5_ST_jjP12ihipStream_tbEUlT_E2_NS1_11comp_targetILNS1_3genE4ELNS1_11target_archE910ELNS1_3gpuE8ELNS1_3repE0EEENS1_30default_config_static_selectorELNS0_4arch9wavefront6targetE0EEEvSH_,comdat
	.globl	_ZN7rocprim17ROCPRIM_400000_NS6detail17trampoline_kernelINS0_14default_configENS1_36segmented_radix_sort_config_selectorIllEEZNS1_25segmented_radix_sort_implIS3_Lb0EPKlPlS8_S9_N2at6native12_GLOBAL__N_18offset_tEEE10hipError_tPvRmT1_PNSt15iterator_traitsISH_E10value_typeET2_T3_PNSI_ISN_E10value_typeET4_jRbjT5_ST_jjP12ihipStream_tbEUlT_E2_NS1_11comp_targetILNS1_3genE4ELNS1_11target_archE910ELNS1_3gpuE8ELNS1_3repE0EEENS1_30default_config_static_selectorELNS0_4arch9wavefront6targetE0EEEvSH_ ; -- Begin function _ZN7rocprim17ROCPRIM_400000_NS6detail17trampoline_kernelINS0_14default_configENS1_36segmented_radix_sort_config_selectorIllEEZNS1_25segmented_radix_sort_implIS3_Lb0EPKlPlS8_S9_N2at6native12_GLOBAL__N_18offset_tEEE10hipError_tPvRmT1_PNSt15iterator_traitsISH_E10value_typeET2_T3_PNSI_ISN_E10value_typeET4_jRbjT5_ST_jjP12ihipStream_tbEUlT_E2_NS1_11comp_targetILNS1_3genE4ELNS1_11target_archE910ELNS1_3gpuE8ELNS1_3repE0EEENS1_30default_config_static_selectorELNS0_4arch9wavefront6targetE0EEEvSH_
	.p2align	8
	.type	_ZN7rocprim17ROCPRIM_400000_NS6detail17trampoline_kernelINS0_14default_configENS1_36segmented_radix_sort_config_selectorIllEEZNS1_25segmented_radix_sort_implIS3_Lb0EPKlPlS8_S9_N2at6native12_GLOBAL__N_18offset_tEEE10hipError_tPvRmT1_PNSt15iterator_traitsISH_E10value_typeET2_T3_PNSI_ISN_E10value_typeET4_jRbjT5_ST_jjP12ihipStream_tbEUlT_E2_NS1_11comp_targetILNS1_3genE4ELNS1_11target_archE910ELNS1_3gpuE8ELNS1_3repE0EEENS1_30default_config_static_selectorELNS0_4arch9wavefront6targetE0EEEvSH_,@function
_ZN7rocprim17ROCPRIM_400000_NS6detail17trampoline_kernelINS0_14default_configENS1_36segmented_radix_sort_config_selectorIllEEZNS1_25segmented_radix_sort_implIS3_Lb0EPKlPlS8_S9_N2at6native12_GLOBAL__N_18offset_tEEE10hipError_tPvRmT1_PNSt15iterator_traitsISH_E10value_typeET2_T3_PNSI_ISN_E10value_typeET4_jRbjT5_ST_jjP12ihipStream_tbEUlT_E2_NS1_11comp_targetILNS1_3genE4ELNS1_11target_archE910ELNS1_3gpuE8ELNS1_3repE0EEENS1_30default_config_static_selectorELNS0_4arch9wavefront6targetE0EEEvSH_: ; @_ZN7rocprim17ROCPRIM_400000_NS6detail17trampoline_kernelINS0_14default_configENS1_36segmented_radix_sort_config_selectorIllEEZNS1_25segmented_radix_sort_implIS3_Lb0EPKlPlS8_S9_N2at6native12_GLOBAL__N_18offset_tEEE10hipError_tPvRmT1_PNSt15iterator_traitsISH_E10value_typeET2_T3_PNSI_ISN_E10value_typeET4_jRbjT5_ST_jjP12ihipStream_tbEUlT_E2_NS1_11comp_targetILNS1_3genE4ELNS1_11target_archE910ELNS1_3gpuE8ELNS1_3repE0EEENS1_30default_config_static_selectorELNS0_4arch9wavefront6targetE0EEEvSH_
; %bb.0:
	.section	.rodata,"a",@progbits
	.p2align	6, 0x0
	.amdhsa_kernel _ZN7rocprim17ROCPRIM_400000_NS6detail17trampoline_kernelINS0_14default_configENS1_36segmented_radix_sort_config_selectorIllEEZNS1_25segmented_radix_sort_implIS3_Lb0EPKlPlS8_S9_N2at6native12_GLOBAL__N_18offset_tEEE10hipError_tPvRmT1_PNSt15iterator_traitsISH_E10value_typeET2_T3_PNSI_ISN_E10value_typeET4_jRbjT5_ST_jjP12ihipStream_tbEUlT_E2_NS1_11comp_targetILNS1_3genE4ELNS1_11target_archE910ELNS1_3gpuE8ELNS1_3repE0EEENS1_30default_config_static_selectorELNS0_4arch9wavefront6targetE0EEEvSH_
		.amdhsa_group_segment_fixed_size 0
		.amdhsa_private_segment_fixed_size 0
		.amdhsa_kernarg_size 80
		.amdhsa_user_sgpr_count 15
		.amdhsa_user_sgpr_dispatch_ptr 0
		.amdhsa_user_sgpr_queue_ptr 0
		.amdhsa_user_sgpr_kernarg_segment_ptr 1
		.amdhsa_user_sgpr_dispatch_id 0
		.amdhsa_user_sgpr_private_segment_size 0
		.amdhsa_wavefront_size32 1
		.amdhsa_uses_dynamic_stack 0
		.amdhsa_enable_private_segment 0
		.amdhsa_system_sgpr_workgroup_id_x 1
		.amdhsa_system_sgpr_workgroup_id_y 0
		.amdhsa_system_sgpr_workgroup_id_z 0
		.amdhsa_system_sgpr_workgroup_info 0
		.amdhsa_system_vgpr_workitem_id 0
		.amdhsa_next_free_vgpr 1
		.amdhsa_next_free_sgpr 1
		.amdhsa_reserve_vcc 0
		.amdhsa_float_round_mode_32 0
		.amdhsa_float_round_mode_16_64 0
		.amdhsa_float_denorm_mode_32 3
		.amdhsa_float_denorm_mode_16_64 3
		.amdhsa_dx10_clamp 1
		.amdhsa_ieee_mode 1
		.amdhsa_fp16_overflow 0
		.amdhsa_workgroup_processor_mode 1
		.amdhsa_memory_ordered 1
		.amdhsa_forward_progress 0
		.amdhsa_shared_vgpr_count 0
		.amdhsa_exception_fp_ieee_invalid_op 0
		.amdhsa_exception_fp_denorm_src 0
		.amdhsa_exception_fp_ieee_div_zero 0
		.amdhsa_exception_fp_ieee_overflow 0
		.amdhsa_exception_fp_ieee_underflow 0
		.amdhsa_exception_fp_ieee_inexact 0
		.amdhsa_exception_int_div_zero 0
	.end_amdhsa_kernel
	.section	.text._ZN7rocprim17ROCPRIM_400000_NS6detail17trampoline_kernelINS0_14default_configENS1_36segmented_radix_sort_config_selectorIllEEZNS1_25segmented_radix_sort_implIS3_Lb0EPKlPlS8_S9_N2at6native12_GLOBAL__N_18offset_tEEE10hipError_tPvRmT1_PNSt15iterator_traitsISH_E10value_typeET2_T3_PNSI_ISN_E10value_typeET4_jRbjT5_ST_jjP12ihipStream_tbEUlT_E2_NS1_11comp_targetILNS1_3genE4ELNS1_11target_archE910ELNS1_3gpuE8ELNS1_3repE0EEENS1_30default_config_static_selectorELNS0_4arch9wavefront6targetE0EEEvSH_,"axG",@progbits,_ZN7rocprim17ROCPRIM_400000_NS6detail17trampoline_kernelINS0_14default_configENS1_36segmented_radix_sort_config_selectorIllEEZNS1_25segmented_radix_sort_implIS3_Lb0EPKlPlS8_S9_N2at6native12_GLOBAL__N_18offset_tEEE10hipError_tPvRmT1_PNSt15iterator_traitsISH_E10value_typeET2_T3_PNSI_ISN_E10value_typeET4_jRbjT5_ST_jjP12ihipStream_tbEUlT_E2_NS1_11comp_targetILNS1_3genE4ELNS1_11target_archE910ELNS1_3gpuE8ELNS1_3repE0EEENS1_30default_config_static_selectorELNS0_4arch9wavefront6targetE0EEEvSH_,comdat
.Lfunc_end839:
	.size	_ZN7rocprim17ROCPRIM_400000_NS6detail17trampoline_kernelINS0_14default_configENS1_36segmented_radix_sort_config_selectorIllEEZNS1_25segmented_radix_sort_implIS3_Lb0EPKlPlS8_S9_N2at6native12_GLOBAL__N_18offset_tEEE10hipError_tPvRmT1_PNSt15iterator_traitsISH_E10value_typeET2_T3_PNSI_ISN_E10value_typeET4_jRbjT5_ST_jjP12ihipStream_tbEUlT_E2_NS1_11comp_targetILNS1_3genE4ELNS1_11target_archE910ELNS1_3gpuE8ELNS1_3repE0EEENS1_30default_config_static_selectorELNS0_4arch9wavefront6targetE0EEEvSH_, .Lfunc_end839-_ZN7rocprim17ROCPRIM_400000_NS6detail17trampoline_kernelINS0_14default_configENS1_36segmented_radix_sort_config_selectorIllEEZNS1_25segmented_radix_sort_implIS3_Lb0EPKlPlS8_S9_N2at6native12_GLOBAL__N_18offset_tEEE10hipError_tPvRmT1_PNSt15iterator_traitsISH_E10value_typeET2_T3_PNSI_ISN_E10value_typeET4_jRbjT5_ST_jjP12ihipStream_tbEUlT_E2_NS1_11comp_targetILNS1_3genE4ELNS1_11target_archE910ELNS1_3gpuE8ELNS1_3repE0EEENS1_30default_config_static_selectorELNS0_4arch9wavefront6targetE0EEEvSH_
                                        ; -- End function
	.section	.AMDGPU.csdata,"",@progbits
; Kernel info:
; codeLenInByte = 0
; NumSgprs: 0
; NumVgprs: 0
; ScratchSize: 0
; MemoryBound: 0
; FloatMode: 240
; IeeeMode: 1
; LDSByteSize: 0 bytes/workgroup (compile time only)
; SGPRBlocks: 0
; VGPRBlocks: 0
; NumSGPRsForWavesPerEU: 1
; NumVGPRsForWavesPerEU: 1
; Occupancy: 16
; WaveLimiterHint : 0
; COMPUTE_PGM_RSRC2:SCRATCH_EN: 0
; COMPUTE_PGM_RSRC2:USER_SGPR: 15
; COMPUTE_PGM_RSRC2:TRAP_HANDLER: 0
; COMPUTE_PGM_RSRC2:TGID_X_EN: 1
; COMPUTE_PGM_RSRC2:TGID_Y_EN: 0
; COMPUTE_PGM_RSRC2:TGID_Z_EN: 0
; COMPUTE_PGM_RSRC2:TIDIG_COMP_CNT: 0
	.section	.text._ZN7rocprim17ROCPRIM_400000_NS6detail17trampoline_kernelINS0_14default_configENS1_36segmented_radix_sort_config_selectorIllEEZNS1_25segmented_radix_sort_implIS3_Lb0EPKlPlS8_S9_N2at6native12_GLOBAL__N_18offset_tEEE10hipError_tPvRmT1_PNSt15iterator_traitsISH_E10value_typeET2_T3_PNSI_ISN_E10value_typeET4_jRbjT5_ST_jjP12ihipStream_tbEUlT_E2_NS1_11comp_targetILNS1_3genE3ELNS1_11target_archE908ELNS1_3gpuE7ELNS1_3repE0EEENS1_30default_config_static_selectorELNS0_4arch9wavefront6targetE0EEEvSH_,"axG",@progbits,_ZN7rocprim17ROCPRIM_400000_NS6detail17trampoline_kernelINS0_14default_configENS1_36segmented_radix_sort_config_selectorIllEEZNS1_25segmented_radix_sort_implIS3_Lb0EPKlPlS8_S9_N2at6native12_GLOBAL__N_18offset_tEEE10hipError_tPvRmT1_PNSt15iterator_traitsISH_E10value_typeET2_T3_PNSI_ISN_E10value_typeET4_jRbjT5_ST_jjP12ihipStream_tbEUlT_E2_NS1_11comp_targetILNS1_3genE3ELNS1_11target_archE908ELNS1_3gpuE7ELNS1_3repE0EEENS1_30default_config_static_selectorELNS0_4arch9wavefront6targetE0EEEvSH_,comdat
	.globl	_ZN7rocprim17ROCPRIM_400000_NS6detail17trampoline_kernelINS0_14default_configENS1_36segmented_radix_sort_config_selectorIllEEZNS1_25segmented_radix_sort_implIS3_Lb0EPKlPlS8_S9_N2at6native12_GLOBAL__N_18offset_tEEE10hipError_tPvRmT1_PNSt15iterator_traitsISH_E10value_typeET2_T3_PNSI_ISN_E10value_typeET4_jRbjT5_ST_jjP12ihipStream_tbEUlT_E2_NS1_11comp_targetILNS1_3genE3ELNS1_11target_archE908ELNS1_3gpuE7ELNS1_3repE0EEENS1_30default_config_static_selectorELNS0_4arch9wavefront6targetE0EEEvSH_ ; -- Begin function _ZN7rocprim17ROCPRIM_400000_NS6detail17trampoline_kernelINS0_14default_configENS1_36segmented_radix_sort_config_selectorIllEEZNS1_25segmented_radix_sort_implIS3_Lb0EPKlPlS8_S9_N2at6native12_GLOBAL__N_18offset_tEEE10hipError_tPvRmT1_PNSt15iterator_traitsISH_E10value_typeET2_T3_PNSI_ISN_E10value_typeET4_jRbjT5_ST_jjP12ihipStream_tbEUlT_E2_NS1_11comp_targetILNS1_3genE3ELNS1_11target_archE908ELNS1_3gpuE7ELNS1_3repE0EEENS1_30default_config_static_selectorELNS0_4arch9wavefront6targetE0EEEvSH_
	.p2align	8
	.type	_ZN7rocprim17ROCPRIM_400000_NS6detail17trampoline_kernelINS0_14default_configENS1_36segmented_radix_sort_config_selectorIllEEZNS1_25segmented_radix_sort_implIS3_Lb0EPKlPlS8_S9_N2at6native12_GLOBAL__N_18offset_tEEE10hipError_tPvRmT1_PNSt15iterator_traitsISH_E10value_typeET2_T3_PNSI_ISN_E10value_typeET4_jRbjT5_ST_jjP12ihipStream_tbEUlT_E2_NS1_11comp_targetILNS1_3genE3ELNS1_11target_archE908ELNS1_3gpuE7ELNS1_3repE0EEENS1_30default_config_static_selectorELNS0_4arch9wavefront6targetE0EEEvSH_,@function
_ZN7rocprim17ROCPRIM_400000_NS6detail17trampoline_kernelINS0_14default_configENS1_36segmented_radix_sort_config_selectorIllEEZNS1_25segmented_radix_sort_implIS3_Lb0EPKlPlS8_S9_N2at6native12_GLOBAL__N_18offset_tEEE10hipError_tPvRmT1_PNSt15iterator_traitsISH_E10value_typeET2_T3_PNSI_ISN_E10value_typeET4_jRbjT5_ST_jjP12ihipStream_tbEUlT_E2_NS1_11comp_targetILNS1_3genE3ELNS1_11target_archE908ELNS1_3gpuE7ELNS1_3repE0EEENS1_30default_config_static_selectorELNS0_4arch9wavefront6targetE0EEEvSH_: ; @_ZN7rocprim17ROCPRIM_400000_NS6detail17trampoline_kernelINS0_14default_configENS1_36segmented_radix_sort_config_selectorIllEEZNS1_25segmented_radix_sort_implIS3_Lb0EPKlPlS8_S9_N2at6native12_GLOBAL__N_18offset_tEEE10hipError_tPvRmT1_PNSt15iterator_traitsISH_E10value_typeET2_T3_PNSI_ISN_E10value_typeET4_jRbjT5_ST_jjP12ihipStream_tbEUlT_E2_NS1_11comp_targetILNS1_3genE3ELNS1_11target_archE908ELNS1_3gpuE7ELNS1_3repE0EEENS1_30default_config_static_selectorELNS0_4arch9wavefront6targetE0EEEvSH_
; %bb.0:
	.section	.rodata,"a",@progbits
	.p2align	6, 0x0
	.amdhsa_kernel _ZN7rocprim17ROCPRIM_400000_NS6detail17trampoline_kernelINS0_14default_configENS1_36segmented_radix_sort_config_selectorIllEEZNS1_25segmented_radix_sort_implIS3_Lb0EPKlPlS8_S9_N2at6native12_GLOBAL__N_18offset_tEEE10hipError_tPvRmT1_PNSt15iterator_traitsISH_E10value_typeET2_T3_PNSI_ISN_E10value_typeET4_jRbjT5_ST_jjP12ihipStream_tbEUlT_E2_NS1_11comp_targetILNS1_3genE3ELNS1_11target_archE908ELNS1_3gpuE7ELNS1_3repE0EEENS1_30default_config_static_selectorELNS0_4arch9wavefront6targetE0EEEvSH_
		.amdhsa_group_segment_fixed_size 0
		.amdhsa_private_segment_fixed_size 0
		.amdhsa_kernarg_size 80
		.amdhsa_user_sgpr_count 15
		.amdhsa_user_sgpr_dispatch_ptr 0
		.amdhsa_user_sgpr_queue_ptr 0
		.amdhsa_user_sgpr_kernarg_segment_ptr 1
		.amdhsa_user_sgpr_dispatch_id 0
		.amdhsa_user_sgpr_private_segment_size 0
		.amdhsa_wavefront_size32 1
		.amdhsa_uses_dynamic_stack 0
		.amdhsa_enable_private_segment 0
		.amdhsa_system_sgpr_workgroup_id_x 1
		.amdhsa_system_sgpr_workgroup_id_y 0
		.amdhsa_system_sgpr_workgroup_id_z 0
		.amdhsa_system_sgpr_workgroup_info 0
		.amdhsa_system_vgpr_workitem_id 0
		.amdhsa_next_free_vgpr 1
		.amdhsa_next_free_sgpr 1
		.amdhsa_reserve_vcc 0
		.amdhsa_float_round_mode_32 0
		.amdhsa_float_round_mode_16_64 0
		.amdhsa_float_denorm_mode_32 3
		.amdhsa_float_denorm_mode_16_64 3
		.amdhsa_dx10_clamp 1
		.amdhsa_ieee_mode 1
		.amdhsa_fp16_overflow 0
		.amdhsa_workgroup_processor_mode 1
		.amdhsa_memory_ordered 1
		.amdhsa_forward_progress 0
		.amdhsa_shared_vgpr_count 0
		.amdhsa_exception_fp_ieee_invalid_op 0
		.amdhsa_exception_fp_denorm_src 0
		.amdhsa_exception_fp_ieee_div_zero 0
		.amdhsa_exception_fp_ieee_overflow 0
		.amdhsa_exception_fp_ieee_underflow 0
		.amdhsa_exception_fp_ieee_inexact 0
		.amdhsa_exception_int_div_zero 0
	.end_amdhsa_kernel
	.section	.text._ZN7rocprim17ROCPRIM_400000_NS6detail17trampoline_kernelINS0_14default_configENS1_36segmented_radix_sort_config_selectorIllEEZNS1_25segmented_radix_sort_implIS3_Lb0EPKlPlS8_S9_N2at6native12_GLOBAL__N_18offset_tEEE10hipError_tPvRmT1_PNSt15iterator_traitsISH_E10value_typeET2_T3_PNSI_ISN_E10value_typeET4_jRbjT5_ST_jjP12ihipStream_tbEUlT_E2_NS1_11comp_targetILNS1_3genE3ELNS1_11target_archE908ELNS1_3gpuE7ELNS1_3repE0EEENS1_30default_config_static_selectorELNS0_4arch9wavefront6targetE0EEEvSH_,"axG",@progbits,_ZN7rocprim17ROCPRIM_400000_NS6detail17trampoline_kernelINS0_14default_configENS1_36segmented_radix_sort_config_selectorIllEEZNS1_25segmented_radix_sort_implIS3_Lb0EPKlPlS8_S9_N2at6native12_GLOBAL__N_18offset_tEEE10hipError_tPvRmT1_PNSt15iterator_traitsISH_E10value_typeET2_T3_PNSI_ISN_E10value_typeET4_jRbjT5_ST_jjP12ihipStream_tbEUlT_E2_NS1_11comp_targetILNS1_3genE3ELNS1_11target_archE908ELNS1_3gpuE7ELNS1_3repE0EEENS1_30default_config_static_selectorELNS0_4arch9wavefront6targetE0EEEvSH_,comdat
.Lfunc_end840:
	.size	_ZN7rocprim17ROCPRIM_400000_NS6detail17trampoline_kernelINS0_14default_configENS1_36segmented_radix_sort_config_selectorIllEEZNS1_25segmented_radix_sort_implIS3_Lb0EPKlPlS8_S9_N2at6native12_GLOBAL__N_18offset_tEEE10hipError_tPvRmT1_PNSt15iterator_traitsISH_E10value_typeET2_T3_PNSI_ISN_E10value_typeET4_jRbjT5_ST_jjP12ihipStream_tbEUlT_E2_NS1_11comp_targetILNS1_3genE3ELNS1_11target_archE908ELNS1_3gpuE7ELNS1_3repE0EEENS1_30default_config_static_selectorELNS0_4arch9wavefront6targetE0EEEvSH_, .Lfunc_end840-_ZN7rocprim17ROCPRIM_400000_NS6detail17trampoline_kernelINS0_14default_configENS1_36segmented_radix_sort_config_selectorIllEEZNS1_25segmented_radix_sort_implIS3_Lb0EPKlPlS8_S9_N2at6native12_GLOBAL__N_18offset_tEEE10hipError_tPvRmT1_PNSt15iterator_traitsISH_E10value_typeET2_T3_PNSI_ISN_E10value_typeET4_jRbjT5_ST_jjP12ihipStream_tbEUlT_E2_NS1_11comp_targetILNS1_3genE3ELNS1_11target_archE908ELNS1_3gpuE7ELNS1_3repE0EEENS1_30default_config_static_selectorELNS0_4arch9wavefront6targetE0EEEvSH_
                                        ; -- End function
	.section	.AMDGPU.csdata,"",@progbits
; Kernel info:
; codeLenInByte = 0
; NumSgprs: 0
; NumVgprs: 0
; ScratchSize: 0
; MemoryBound: 0
; FloatMode: 240
; IeeeMode: 1
; LDSByteSize: 0 bytes/workgroup (compile time only)
; SGPRBlocks: 0
; VGPRBlocks: 0
; NumSGPRsForWavesPerEU: 1
; NumVGPRsForWavesPerEU: 1
; Occupancy: 16
; WaveLimiterHint : 0
; COMPUTE_PGM_RSRC2:SCRATCH_EN: 0
; COMPUTE_PGM_RSRC2:USER_SGPR: 15
; COMPUTE_PGM_RSRC2:TRAP_HANDLER: 0
; COMPUTE_PGM_RSRC2:TGID_X_EN: 1
; COMPUTE_PGM_RSRC2:TGID_Y_EN: 0
; COMPUTE_PGM_RSRC2:TGID_Z_EN: 0
; COMPUTE_PGM_RSRC2:TIDIG_COMP_CNT: 0
	.section	.text._ZN7rocprim17ROCPRIM_400000_NS6detail17trampoline_kernelINS0_14default_configENS1_36segmented_radix_sort_config_selectorIllEEZNS1_25segmented_radix_sort_implIS3_Lb0EPKlPlS8_S9_N2at6native12_GLOBAL__N_18offset_tEEE10hipError_tPvRmT1_PNSt15iterator_traitsISH_E10value_typeET2_T3_PNSI_ISN_E10value_typeET4_jRbjT5_ST_jjP12ihipStream_tbEUlT_E2_NS1_11comp_targetILNS1_3genE2ELNS1_11target_archE906ELNS1_3gpuE6ELNS1_3repE0EEENS1_30default_config_static_selectorELNS0_4arch9wavefront6targetE0EEEvSH_,"axG",@progbits,_ZN7rocprim17ROCPRIM_400000_NS6detail17trampoline_kernelINS0_14default_configENS1_36segmented_radix_sort_config_selectorIllEEZNS1_25segmented_radix_sort_implIS3_Lb0EPKlPlS8_S9_N2at6native12_GLOBAL__N_18offset_tEEE10hipError_tPvRmT1_PNSt15iterator_traitsISH_E10value_typeET2_T3_PNSI_ISN_E10value_typeET4_jRbjT5_ST_jjP12ihipStream_tbEUlT_E2_NS1_11comp_targetILNS1_3genE2ELNS1_11target_archE906ELNS1_3gpuE6ELNS1_3repE0EEENS1_30default_config_static_selectorELNS0_4arch9wavefront6targetE0EEEvSH_,comdat
	.globl	_ZN7rocprim17ROCPRIM_400000_NS6detail17trampoline_kernelINS0_14default_configENS1_36segmented_radix_sort_config_selectorIllEEZNS1_25segmented_radix_sort_implIS3_Lb0EPKlPlS8_S9_N2at6native12_GLOBAL__N_18offset_tEEE10hipError_tPvRmT1_PNSt15iterator_traitsISH_E10value_typeET2_T3_PNSI_ISN_E10value_typeET4_jRbjT5_ST_jjP12ihipStream_tbEUlT_E2_NS1_11comp_targetILNS1_3genE2ELNS1_11target_archE906ELNS1_3gpuE6ELNS1_3repE0EEENS1_30default_config_static_selectorELNS0_4arch9wavefront6targetE0EEEvSH_ ; -- Begin function _ZN7rocprim17ROCPRIM_400000_NS6detail17trampoline_kernelINS0_14default_configENS1_36segmented_radix_sort_config_selectorIllEEZNS1_25segmented_radix_sort_implIS3_Lb0EPKlPlS8_S9_N2at6native12_GLOBAL__N_18offset_tEEE10hipError_tPvRmT1_PNSt15iterator_traitsISH_E10value_typeET2_T3_PNSI_ISN_E10value_typeET4_jRbjT5_ST_jjP12ihipStream_tbEUlT_E2_NS1_11comp_targetILNS1_3genE2ELNS1_11target_archE906ELNS1_3gpuE6ELNS1_3repE0EEENS1_30default_config_static_selectorELNS0_4arch9wavefront6targetE0EEEvSH_
	.p2align	8
	.type	_ZN7rocprim17ROCPRIM_400000_NS6detail17trampoline_kernelINS0_14default_configENS1_36segmented_radix_sort_config_selectorIllEEZNS1_25segmented_radix_sort_implIS3_Lb0EPKlPlS8_S9_N2at6native12_GLOBAL__N_18offset_tEEE10hipError_tPvRmT1_PNSt15iterator_traitsISH_E10value_typeET2_T3_PNSI_ISN_E10value_typeET4_jRbjT5_ST_jjP12ihipStream_tbEUlT_E2_NS1_11comp_targetILNS1_3genE2ELNS1_11target_archE906ELNS1_3gpuE6ELNS1_3repE0EEENS1_30default_config_static_selectorELNS0_4arch9wavefront6targetE0EEEvSH_,@function
_ZN7rocprim17ROCPRIM_400000_NS6detail17trampoline_kernelINS0_14default_configENS1_36segmented_radix_sort_config_selectorIllEEZNS1_25segmented_radix_sort_implIS3_Lb0EPKlPlS8_S9_N2at6native12_GLOBAL__N_18offset_tEEE10hipError_tPvRmT1_PNSt15iterator_traitsISH_E10value_typeET2_T3_PNSI_ISN_E10value_typeET4_jRbjT5_ST_jjP12ihipStream_tbEUlT_E2_NS1_11comp_targetILNS1_3genE2ELNS1_11target_archE906ELNS1_3gpuE6ELNS1_3repE0EEENS1_30default_config_static_selectorELNS0_4arch9wavefront6targetE0EEEvSH_: ; @_ZN7rocprim17ROCPRIM_400000_NS6detail17trampoline_kernelINS0_14default_configENS1_36segmented_radix_sort_config_selectorIllEEZNS1_25segmented_radix_sort_implIS3_Lb0EPKlPlS8_S9_N2at6native12_GLOBAL__N_18offset_tEEE10hipError_tPvRmT1_PNSt15iterator_traitsISH_E10value_typeET2_T3_PNSI_ISN_E10value_typeET4_jRbjT5_ST_jjP12ihipStream_tbEUlT_E2_NS1_11comp_targetILNS1_3genE2ELNS1_11target_archE906ELNS1_3gpuE6ELNS1_3repE0EEENS1_30default_config_static_selectorELNS0_4arch9wavefront6targetE0EEEvSH_
; %bb.0:
	.section	.rodata,"a",@progbits
	.p2align	6, 0x0
	.amdhsa_kernel _ZN7rocprim17ROCPRIM_400000_NS6detail17trampoline_kernelINS0_14default_configENS1_36segmented_radix_sort_config_selectorIllEEZNS1_25segmented_radix_sort_implIS3_Lb0EPKlPlS8_S9_N2at6native12_GLOBAL__N_18offset_tEEE10hipError_tPvRmT1_PNSt15iterator_traitsISH_E10value_typeET2_T3_PNSI_ISN_E10value_typeET4_jRbjT5_ST_jjP12ihipStream_tbEUlT_E2_NS1_11comp_targetILNS1_3genE2ELNS1_11target_archE906ELNS1_3gpuE6ELNS1_3repE0EEENS1_30default_config_static_selectorELNS0_4arch9wavefront6targetE0EEEvSH_
		.amdhsa_group_segment_fixed_size 0
		.amdhsa_private_segment_fixed_size 0
		.amdhsa_kernarg_size 80
		.amdhsa_user_sgpr_count 15
		.amdhsa_user_sgpr_dispatch_ptr 0
		.amdhsa_user_sgpr_queue_ptr 0
		.amdhsa_user_sgpr_kernarg_segment_ptr 1
		.amdhsa_user_sgpr_dispatch_id 0
		.amdhsa_user_sgpr_private_segment_size 0
		.amdhsa_wavefront_size32 1
		.amdhsa_uses_dynamic_stack 0
		.amdhsa_enable_private_segment 0
		.amdhsa_system_sgpr_workgroup_id_x 1
		.amdhsa_system_sgpr_workgroup_id_y 0
		.amdhsa_system_sgpr_workgroup_id_z 0
		.amdhsa_system_sgpr_workgroup_info 0
		.amdhsa_system_vgpr_workitem_id 0
		.amdhsa_next_free_vgpr 1
		.amdhsa_next_free_sgpr 1
		.amdhsa_reserve_vcc 0
		.amdhsa_float_round_mode_32 0
		.amdhsa_float_round_mode_16_64 0
		.amdhsa_float_denorm_mode_32 3
		.amdhsa_float_denorm_mode_16_64 3
		.amdhsa_dx10_clamp 1
		.amdhsa_ieee_mode 1
		.amdhsa_fp16_overflow 0
		.amdhsa_workgroup_processor_mode 1
		.amdhsa_memory_ordered 1
		.amdhsa_forward_progress 0
		.amdhsa_shared_vgpr_count 0
		.amdhsa_exception_fp_ieee_invalid_op 0
		.amdhsa_exception_fp_denorm_src 0
		.amdhsa_exception_fp_ieee_div_zero 0
		.amdhsa_exception_fp_ieee_overflow 0
		.amdhsa_exception_fp_ieee_underflow 0
		.amdhsa_exception_fp_ieee_inexact 0
		.amdhsa_exception_int_div_zero 0
	.end_amdhsa_kernel
	.section	.text._ZN7rocprim17ROCPRIM_400000_NS6detail17trampoline_kernelINS0_14default_configENS1_36segmented_radix_sort_config_selectorIllEEZNS1_25segmented_radix_sort_implIS3_Lb0EPKlPlS8_S9_N2at6native12_GLOBAL__N_18offset_tEEE10hipError_tPvRmT1_PNSt15iterator_traitsISH_E10value_typeET2_T3_PNSI_ISN_E10value_typeET4_jRbjT5_ST_jjP12ihipStream_tbEUlT_E2_NS1_11comp_targetILNS1_3genE2ELNS1_11target_archE906ELNS1_3gpuE6ELNS1_3repE0EEENS1_30default_config_static_selectorELNS0_4arch9wavefront6targetE0EEEvSH_,"axG",@progbits,_ZN7rocprim17ROCPRIM_400000_NS6detail17trampoline_kernelINS0_14default_configENS1_36segmented_radix_sort_config_selectorIllEEZNS1_25segmented_radix_sort_implIS3_Lb0EPKlPlS8_S9_N2at6native12_GLOBAL__N_18offset_tEEE10hipError_tPvRmT1_PNSt15iterator_traitsISH_E10value_typeET2_T3_PNSI_ISN_E10value_typeET4_jRbjT5_ST_jjP12ihipStream_tbEUlT_E2_NS1_11comp_targetILNS1_3genE2ELNS1_11target_archE906ELNS1_3gpuE6ELNS1_3repE0EEENS1_30default_config_static_selectorELNS0_4arch9wavefront6targetE0EEEvSH_,comdat
.Lfunc_end841:
	.size	_ZN7rocprim17ROCPRIM_400000_NS6detail17trampoline_kernelINS0_14default_configENS1_36segmented_radix_sort_config_selectorIllEEZNS1_25segmented_radix_sort_implIS3_Lb0EPKlPlS8_S9_N2at6native12_GLOBAL__N_18offset_tEEE10hipError_tPvRmT1_PNSt15iterator_traitsISH_E10value_typeET2_T3_PNSI_ISN_E10value_typeET4_jRbjT5_ST_jjP12ihipStream_tbEUlT_E2_NS1_11comp_targetILNS1_3genE2ELNS1_11target_archE906ELNS1_3gpuE6ELNS1_3repE0EEENS1_30default_config_static_selectorELNS0_4arch9wavefront6targetE0EEEvSH_, .Lfunc_end841-_ZN7rocprim17ROCPRIM_400000_NS6detail17trampoline_kernelINS0_14default_configENS1_36segmented_radix_sort_config_selectorIllEEZNS1_25segmented_radix_sort_implIS3_Lb0EPKlPlS8_S9_N2at6native12_GLOBAL__N_18offset_tEEE10hipError_tPvRmT1_PNSt15iterator_traitsISH_E10value_typeET2_T3_PNSI_ISN_E10value_typeET4_jRbjT5_ST_jjP12ihipStream_tbEUlT_E2_NS1_11comp_targetILNS1_3genE2ELNS1_11target_archE906ELNS1_3gpuE6ELNS1_3repE0EEENS1_30default_config_static_selectorELNS0_4arch9wavefront6targetE0EEEvSH_
                                        ; -- End function
	.section	.AMDGPU.csdata,"",@progbits
; Kernel info:
; codeLenInByte = 0
; NumSgprs: 0
; NumVgprs: 0
; ScratchSize: 0
; MemoryBound: 0
; FloatMode: 240
; IeeeMode: 1
; LDSByteSize: 0 bytes/workgroup (compile time only)
; SGPRBlocks: 0
; VGPRBlocks: 0
; NumSGPRsForWavesPerEU: 1
; NumVGPRsForWavesPerEU: 1
; Occupancy: 16
; WaveLimiterHint : 0
; COMPUTE_PGM_RSRC2:SCRATCH_EN: 0
; COMPUTE_PGM_RSRC2:USER_SGPR: 15
; COMPUTE_PGM_RSRC2:TRAP_HANDLER: 0
; COMPUTE_PGM_RSRC2:TGID_X_EN: 1
; COMPUTE_PGM_RSRC2:TGID_Y_EN: 0
; COMPUTE_PGM_RSRC2:TGID_Z_EN: 0
; COMPUTE_PGM_RSRC2:TIDIG_COMP_CNT: 0
	.section	.text._ZN7rocprim17ROCPRIM_400000_NS6detail17trampoline_kernelINS0_14default_configENS1_36segmented_radix_sort_config_selectorIllEEZNS1_25segmented_radix_sort_implIS3_Lb0EPKlPlS8_S9_N2at6native12_GLOBAL__N_18offset_tEEE10hipError_tPvRmT1_PNSt15iterator_traitsISH_E10value_typeET2_T3_PNSI_ISN_E10value_typeET4_jRbjT5_ST_jjP12ihipStream_tbEUlT_E2_NS1_11comp_targetILNS1_3genE10ELNS1_11target_archE1201ELNS1_3gpuE5ELNS1_3repE0EEENS1_30default_config_static_selectorELNS0_4arch9wavefront6targetE0EEEvSH_,"axG",@progbits,_ZN7rocprim17ROCPRIM_400000_NS6detail17trampoline_kernelINS0_14default_configENS1_36segmented_radix_sort_config_selectorIllEEZNS1_25segmented_radix_sort_implIS3_Lb0EPKlPlS8_S9_N2at6native12_GLOBAL__N_18offset_tEEE10hipError_tPvRmT1_PNSt15iterator_traitsISH_E10value_typeET2_T3_PNSI_ISN_E10value_typeET4_jRbjT5_ST_jjP12ihipStream_tbEUlT_E2_NS1_11comp_targetILNS1_3genE10ELNS1_11target_archE1201ELNS1_3gpuE5ELNS1_3repE0EEENS1_30default_config_static_selectorELNS0_4arch9wavefront6targetE0EEEvSH_,comdat
	.globl	_ZN7rocprim17ROCPRIM_400000_NS6detail17trampoline_kernelINS0_14default_configENS1_36segmented_radix_sort_config_selectorIllEEZNS1_25segmented_radix_sort_implIS3_Lb0EPKlPlS8_S9_N2at6native12_GLOBAL__N_18offset_tEEE10hipError_tPvRmT1_PNSt15iterator_traitsISH_E10value_typeET2_T3_PNSI_ISN_E10value_typeET4_jRbjT5_ST_jjP12ihipStream_tbEUlT_E2_NS1_11comp_targetILNS1_3genE10ELNS1_11target_archE1201ELNS1_3gpuE5ELNS1_3repE0EEENS1_30default_config_static_selectorELNS0_4arch9wavefront6targetE0EEEvSH_ ; -- Begin function _ZN7rocprim17ROCPRIM_400000_NS6detail17trampoline_kernelINS0_14default_configENS1_36segmented_radix_sort_config_selectorIllEEZNS1_25segmented_radix_sort_implIS3_Lb0EPKlPlS8_S9_N2at6native12_GLOBAL__N_18offset_tEEE10hipError_tPvRmT1_PNSt15iterator_traitsISH_E10value_typeET2_T3_PNSI_ISN_E10value_typeET4_jRbjT5_ST_jjP12ihipStream_tbEUlT_E2_NS1_11comp_targetILNS1_3genE10ELNS1_11target_archE1201ELNS1_3gpuE5ELNS1_3repE0EEENS1_30default_config_static_selectorELNS0_4arch9wavefront6targetE0EEEvSH_
	.p2align	8
	.type	_ZN7rocprim17ROCPRIM_400000_NS6detail17trampoline_kernelINS0_14default_configENS1_36segmented_radix_sort_config_selectorIllEEZNS1_25segmented_radix_sort_implIS3_Lb0EPKlPlS8_S9_N2at6native12_GLOBAL__N_18offset_tEEE10hipError_tPvRmT1_PNSt15iterator_traitsISH_E10value_typeET2_T3_PNSI_ISN_E10value_typeET4_jRbjT5_ST_jjP12ihipStream_tbEUlT_E2_NS1_11comp_targetILNS1_3genE10ELNS1_11target_archE1201ELNS1_3gpuE5ELNS1_3repE0EEENS1_30default_config_static_selectorELNS0_4arch9wavefront6targetE0EEEvSH_,@function
_ZN7rocprim17ROCPRIM_400000_NS6detail17trampoline_kernelINS0_14default_configENS1_36segmented_radix_sort_config_selectorIllEEZNS1_25segmented_radix_sort_implIS3_Lb0EPKlPlS8_S9_N2at6native12_GLOBAL__N_18offset_tEEE10hipError_tPvRmT1_PNSt15iterator_traitsISH_E10value_typeET2_T3_PNSI_ISN_E10value_typeET4_jRbjT5_ST_jjP12ihipStream_tbEUlT_E2_NS1_11comp_targetILNS1_3genE10ELNS1_11target_archE1201ELNS1_3gpuE5ELNS1_3repE0EEENS1_30default_config_static_selectorELNS0_4arch9wavefront6targetE0EEEvSH_: ; @_ZN7rocprim17ROCPRIM_400000_NS6detail17trampoline_kernelINS0_14default_configENS1_36segmented_radix_sort_config_selectorIllEEZNS1_25segmented_radix_sort_implIS3_Lb0EPKlPlS8_S9_N2at6native12_GLOBAL__N_18offset_tEEE10hipError_tPvRmT1_PNSt15iterator_traitsISH_E10value_typeET2_T3_PNSI_ISN_E10value_typeET4_jRbjT5_ST_jjP12ihipStream_tbEUlT_E2_NS1_11comp_targetILNS1_3genE10ELNS1_11target_archE1201ELNS1_3gpuE5ELNS1_3repE0EEENS1_30default_config_static_selectorELNS0_4arch9wavefront6targetE0EEEvSH_
; %bb.0:
	.section	.rodata,"a",@progbits
	.p2align	6, 0x0
	.amdhsa_kernel _ZN7rocprim17ROCPRIM_400000_NS6detail17trampoline_kernelINS0_14default_configENS1_36segmented_radix_sort_config_selectorIllEEZNS1_25segmented_radix_sort_implIS3_Lb0EPKlPlS8_S9_N2at6native12_GLOBAL__N_18offset_tEEE10hipError_tPvRmT1_PNSt15iterator_traitsISH_E10value_typeET2_T3_PNSI_ISN_E10value_typeET4_jRbjT5_ST_jjP12ihipStream_tbEUlT_E2_NS1_11comp_targetILNS1_3genE10ELNS1_11target_archE1201ELNS1_3gpuE5ELNS1_3repE0EEENS1_30default_config_static_selectorELNS0_4arch9wavefront6targetE0EEEvSH_
		.amdhsa_group_segment_fixed_size 0
		.amdhsa_private_segment_fixed_size 0
		.amdhsa_kernarg_size 80
		.amdhsa_user_sgpr_count 15
		.amdhsa_user_sgpr_dispatch_ptr 0
		.amdhsa_user_sgpr_queue_ptr 0
		.amdhsa_user_sgpr_kernarg_segment_ptr 1
		.amdhsa_user_sgpr_dispatch_id 0
		.amdhsa_user_sgpr_private_segment_size 0
		.amdhsa_wavefront_size32 1
		.amdhsa_uses_dynamic_stack 0
		.amdhsa_enable_private_segment 0
		.amdhsa_system_sgpr_workgroup_id_x 1
		.amdhsa_system_sgpr_workgroup_id_y 0
		.amdhsa_system_sgpr_workgroup_id_z 0
		.amdhsa_system_sgpr_workgroup_info 0
		.amdhsa_system_vgpr_workitem_id 0
		.amdhsa_next_free_vgpr 1
		.amdhsa_next_free_sgpr 1
		.amdhsa_reserve_vcc 0
		.amdhsa_float_round_mode_32 0
		.amdhsa_float_round_mode_16_64 0
		.amdhsa_float_denorm_mode_32 3
		.amdhsa_float_denorm_mode_16_64 3
		.amdhsa_dx10_clamp 1
		.amdhsa_ieee_mode 1
		.amdhsa_fp16_overflow 0
		.amdhsa_workgroup_processor_mode 1
		.amdhsa_memory_ordered 1
		.amdhsa_forward_progress 0
		.amdhsa_shared_vgpr_count 0
		.amdhsa_exception_fp_ieee_invalid_op 0
		.amdhsa_exception_fp_denorm_src 0
		.amdhsa_exception_fp_ieee_div_zero 0
		.amdhsa_exception_fp_ieee_overflow 0
		.amdhsa_exception_fp_ieee_underflow 0
		.amdhsa_exception_fp_ieee_inexact 0
		.amdhsa_exception_int_div_zero 0
	.end_amdhsa_kernel
	.section	.text._ZN7rocprim17ROCPRIM_400000_NS6detail17trampoline_kernelINS0_14default_configENS1_36segmented_radix_sort_config_selectorIllEEZNS1_25segmented_radix_sort_implIS3_Lb0EPKlPlS8_S9_N2at6native12_GLOBAL__N_18offset_tEEE10hipError_tPvRmT1_PNSt15iterator_traitsISH_E10value_typeET2_T3_PNSI_ISN_E10value_typeET4_jRbjT5_ST_jjP12ihipStream_tbEUlT_E2_NS1_11comp_targetILNS1_3genE10ELNS1_11target_archE1201ELNS1_3gpuE5ELNS1_3repE0EEENS1_30default_config_static_selectorELNS0_4arch9wavefront6targetE0EEEvSH_,"axG",@progbits,_ZN7rocprim17ROCPRIM_400000_NS6detail17trampoline_kernelINS0_14default_configENS1_36segmented_radix_sort_config_selectorIllEEZNS1_25segmented_radix_sort_implIS3_Lb0EPKlPlS8_S9_N2at6native12_GLOBAL__N_18offset_tEEE10hipError_tPvRmT1_PNSt15iterator_traitsISH_E10value_typeET2_T3_PNSI_ISN_E10value_typeET4_jRbjT5_ST_jjP12ihipStream_tbEUlT_E2_NS1_11comp_targetILNS1_3genE10ELNS1_11target_archE1201ELNS1_3gpuE5ELNS1_3repE0EEENS1_30default_config_static_selectorELNS0_4arch9wavefront6targetE0EEEvSH_,comdat
.Lfunc_end842:
	.size	_ZN7rocprim17ROCPRIM_400000_NS6detail17trampoline_kernelINS0_14default_configENS1_36segmented_radix_sort_config_selectorIllEEZNS1_25segmented_radix_sort_implIS3_Lb0EPKlPlS8_S9_N2at6native12_GLOBAL__N_18offset_tEEE10hipError_tPvRmT1_PNSt15iterator_traitsISH_E10value_typeET2_T3_PNSI_ISN_E10value_typeET4_jRbjT5_ST_jjP12ihipStream_tbEUlT_E2_NS1_11comp_targetILNS1_3genE10ELNS1_11target_archE1201ELNS1_3gpuE5ELNS1_3repE0EEENS1_30default_config_static_selectorELNS0_4arch9wavefront6targetE0EEEvSH_, .Lfunc_end842-_ZN7rocprim17ROCPRIM_400000_NS6detail17trampoline_kernelINS0_14default_configENS1_36segmented_radix_sort_config_selectorIllEEZNS1_25segmented_radix_sort_implIS3_Lb0EPKlPlS8_S9_N2at6native12_GLOBAL__N_18offset_tEEE10hipError_tPvRmT1_PNSt15iterator_traitsISH_E10value_typeET2_T3_PNSI_ISN_E10value_typeET4_jRbjT5_ST_jjP12ihipStream_tbEUlT_E2_NS1_11comp_targetILNS1_3genE10ELNS1_11target_archE1201ELNS1_3gpuE5ELNS1_3repE0EEENS1_30default_config_static_selectorELNS0_4arch9wavefront6targetE0EEEvSH_
                                        ; -- End function
	.section	.AMDGPU.csdata,"",@progbits
; Kernel info:
; codeLenInByte = 0
; NumSgprs: 0
; NumVgprs: 0
; ScratchSize: 0
; MemoryBound: 0
; FloatMode: 240
; IeeeMode: 1
; LDSByteSize: 0 bytes/workgroup (compile time only)
; SGPRBlocks: 0
; VGPRBlocks: 0
; NumSGPRsForWavesPerEU: 1
; NumVGPRsForWavesPerEU: 1
; Occupancy: 16
; WaveLimiterHint : 0
; COMPUTE_PGM_RSRC2:SCRATCH_EN: 0
; COMPUTE_PGM_RSRC2:USER_SGPR: 15
; COMPUTE_PGM_RSRC2:TRAP_HANDLER: 0
; COMPUTE_PGM_RSRC2:TGID_X_EN: 1
; COMPUTE_PGM_RSRC2:TGID_Y_EN: 0
; COMPUTE_PGM_RSRC2:TGID_Z_EN: 0
; COMPUTE_PGM_RSRC2:TIDIG_COMP_CNT: 0
	.section	.text._ZN7rocprim17ROCPRIM_400000_NS6detail17trampoline_kernelINS0_14default_configENS1_36segmented_radix_sort_config_selectorIllEEZNS1_25segmented_radix_sort_implIS3_Lb0EPKlPlS8_S9_N2at6native12_GLOBAL__N_18offset_tEEE10hipError_tPvRmT1_PNSt15iterator_traitsISH_E10value_typeET2_T3_PNSI_ISN_E10value_typeET4_jRbjT5_ST_jjP12ihipStream_tbEUlT_E2_NS1_11comp_targetILNS1_3genE10ELNS1_11target_archE1200ELNS1_3gpuE4ELNS1_3repE0EEENS1_30default_config_static_selectorELNS0_4arch9wavefront6targetE0EEEvSH_,"axG",@progbits,_ZN7rocprim17ROCPRIM_400000_NS6detail17trampoline_kernelINS0_14default_configENS1_36segmented_radix_sort_config_selectorIllEEZNS1_25segmented_radix_sort_implIS3_Lb0EPKlPlS8_S9_N2at6native12_GLOBAL__N_18offset_tEEE10hipError_tPvRmT1_PNSt15iterator_traitsISH_E10value_typeET2_T3_PNSI_ISN_E10value_typeET4_jRbjT5_ST_jjP12ihipStream_tbEUlT_E2_NS1_11comp_targetILNS1_3genE10ELNS1_11target_archE1200ELNS1_3gpuE4ELNS1_3repE0EEENS1_30default_config_static_selectorELNS0_4arch9wavefront6targetE0EEEvSH_,comdat
	.globl	_ZN7rocprim17ROCPRIM_400000_NS6detail17trampoline_kernelINS0_14default_configENS1_36segmented_radix_sort_config_selectorIllEEZNS1_25segmented_radix_sort_implIS3_Lb0EPKlPlS8_S9_N2at6native12_GLOBAL__N_18offset_tEEE10hipError_tPvRmT1_PNSt15iterator_traitsISH_E10value_typeET2_T3_PNSI_ISN_E10value_typeET4_jRbjT5_ST_jjP12ihipStream_tbEUlT_E2_NS1_11comp_targetILNS1_3genE10ELNS1_11target_archE1200ELNS1_3gpuE4ELNS1_3repE0EEENS1_30default_config_static_selectorELNS0_4arch9wavefront6targetE0EEEvSH_ ; -- Begin function _ZN7rocprim17ROCPRIM_400000_NS6detail17trampoline_kernelINS0_14default_configENS1_36segmented_radix_sort_config_selectorIllEEZNS1_25segmented_radix_sort_implIS3_Lb0EPKlPlS8_S9_N2at6native12_GLOBAL__N_18offset_tEEE10hipError_tPvRmT1_PNSt15iterator_traitsISH_E10value_typeET2_T3_PNSI_ISN_E10value_typeET4_jRbjT5_ST_jjP12ihipStream_tbEUlT_E2_NS1_11comp_targetILNS1_3genE10ELNS1_11target_archE1200ELNS1_3gpuE4ELNS1_3repE0EEENS1_30default_config_static_selectorELNS0_4arch9wavefront6targetE0EEEvSH_
	.p2align	8
	.type	_ZN7rocprim17ROCPRIM_400000_NS6detail17trampoline_kernelINS0_14default_configENS1_36segmented_radix_sort_config_selectorIllEEZNS1_25segmented_radix_sort_implIS3_Lb0EPKlPlS8_S9_N2at6native12_GLOBAL__N_18offset_tEEE10hipError_tPvRmT1_PNSt15iterator_traitsISH_E10value_typeET2_T3_PNSI_ISN_E10value_typeET4_jRbjT5_ST_jjP12ihipStream_tbEUlT_E2_NS1_11comp_targetILNS1_3genE10ELNS1_11target_archE1200ELNS1_3gpuE4ELNS1_3repE0EEENS1_30default_config_static_selectorELNS0_4arch9wavefront6targetE0EEEvSH_,@function
_ZN7rocprim17ROCPRIM_400000_NS6detail17trampoline_kernelINS0_14default_configENS1_36segmented_radix_sort_config_selectorIllEEZNS1_25segmented_radix_sort_implIS3_Lb0EPKlPlS8_S9_N2at6native12_GLOBAL__N_18offset_tEEE10hipError_tPvRmT1_PNSt15iterator_traitsISH_E10value_typeET2_T3_PNSI_ISN_E10value_typeET4_jRbjT5_ST_jjP12ihipStream_tbEUlT_E2_NS1_11comp_targetILNS1_3genE10ELNS1_11target_archE1200ELNS1_3gpuE4ELNS1_3repE0EEENS1_30default_config_static_selectorELNS0_4arch9wavefront6targetE0EEEvSH_: ; @_ZN7rocprim17ROCPRIM_400000_NS6detail17trampoline_kernelINS0_14default_configENS1_36segmented_radix_sort_config_selectorIllEEZNS1_25segmented_radix_sort_implIS3_Lb0EPKlPlS8_S9_N2at6native12_GLOBAL__N_18offset_tEEE10hipError_tPvRmT1_PNSt15iterator_traitsISH_E10value_typeET2_T3_PNSI_ISN_E10value_typeET4_jRbjT5_ST_jjP12ihipStream_tbEUlT_E2_NS1_11comp_targetILNS1_3genE10ELNS1_11target_archE1200ELNS1_3gpuE4ELNS1_3repE0EEENS1_30default_config_static_selectorELNS0_4arch9wavefront6targetE0EEEvSH_
; %bb.0:
	.section	.rodata,"a",@progbits
	.p2align	6, 0x0
	.amdhsa_kernel _ZN7rocprim17ROCPRIM_400000_NS6detail17trampoline_kernelINS0_14default_configENS1_36segmented_radix_sort_config_selectorIllEEZNS1_25segmented_radix_sort_implIS3_Lb0EPKlPlS8_S9_N2at6native12_GLOBAL__N_18offset_tEEE10hipError_tPvRmT1_PNSt15iterator_traitsISH_E10value_typeET2_T3_PNSI_ISN_E10value_typeET4_jRbjT5_ST_jjP12ihipStream_tbEUlT_E2_NS1_11comp_targetILNS1_3genE10ELNS1_11target_archE1200ELNS1_3gpuE4ELNS1_3repE0EEENS1_30default_config_static_selectorELNS0_4arch9wavefront6targetE0EEEvSH_
		.amdhsa_group_segment_fixed_size 0
		.amdhsa_private_segment_fixed_size 0
		.amdhsa_kernarg_size 80
		.amdhsa_user_sgpr_count 15
		.amdhsa_user_sgpr_dispatch_ptr 0
		.amdhsa_user_sgpr_queue_ptr 0
		.amdhsa_user_sgpr_kernarg_segment_ptr 1
		.amdhsa_user_sgpr_dispatch_id 0
		.amdhsa_user_sgpr_private_segment_size 0
		.amdhsa_wavefront_size32 1
		.amdhsa_uses_dynamic_stack 0
		.amdhsa_enable_private_segment 0
		.amdhsa_system_sgpr_workgroup_id_x 1
		.amdhsa_system_sgpr_workgroup_id_y 0
		.amdhsa_system_sgpr_workgroup_id_z 0
		.amdhsa_system_sgpr_workgroup_info 0
		.amdhsa_system_vgpr_workitem_id 0
		.amdhsa_next_free_vgpr 1
		.amdhsa_next_free_sgpr 1
		.amdhsa_reserve_vcc 0
		.amdhsa_float_round_mode_32 0
		.amdhsa_float_round_mode_16_64 0
		.amdhsa_float_denorm_mode_32 3
		.amdhsa_float_denorm_mode_16_64 3
		.amdhsa_dx10_clamp 1
		.amdhsa_ieee_mode 1
		.amdhsa_fp16_overflow 0
		.amdhsa_workgroup_processor_mode 1
		.amdhsa_memory_ordered 1
		.amdhsa_forward_progress 0
		.amdhsa_shared_vgpr_count 0
		.amdhsa_exception_fp_ieee_invalid_op 0
		.amdhsa_exception_fp_denorm_src 0
		.amdhsa_exception_fp_ieee_div_zero 0
		.amdhsa_exception_fp_ieee_overflow 0
		.amdhsa_exception_fp_ieee_underflow 0
		.amdhsa_exception_fp_ieee_inexact 0
		.amdhsa_exception_int_div_zero 0
	.end_amdhsa_kernel
	.section	.text._ZN7rocprim17ROCPRIM_400000_NS6detail17trampoline_kernelINS0_14default_configENS1_36segmented_radix_sort_config_selectorIllEEZNS1_25segmented_radix_sort_implIS3_Lb0EPKlPlS8_S9_N2at6native12_GLOBAL__N_18offset_tEEE10hipError_tPvRmT1_PNSt15iterator_traitsISH_E10value_typeET2_T3_PNSI_ISN_E10value_typeET4_jRbjT5_ST_jjP12ihipStream_tbEUlT_E2_NS1_11comp_targetILNS1_3genE10ELNS1_11target_archE1200ELNS1_3gpuE4ELNS1_3repE0EEENS1_30default_config_static_selectorELNS0_4arch9wavefront6targetE0EEEvSH_,"axG",@progbits,_ZN7rocprim17ROCPRIM_400000_NS6detail17trampoline_kernelINS0_14default_configENS1_36segmented_radix_sort_config_selectorIllEEZNS1_25segmented_radix_sort_implIS3_Lb0EPKlPlS8_S9_N2at6native12_GLOBAL__N_18offset_tEEE10hipError_tPvRmT1_PNSt15iterator_traitsISH_E10value_typeET2_T3_PNSI_ISN_E10value_typeET4_jRbjT5_ST_jjP12ihipStream_tbEUlT_E2_NS1_11comp_targetILNS1_3genE10ELNS1_11target_archE1200ELNS1_3gpuE4ELNS1_3repE0EEENS1_30default_config_static_selectorELNS0_4arch9wavefront6targetE0EEEvSH_,comdat
.Lfunc_end843:
	.size	_ZN7rocprim17ROCPRIM_400000_NS6detail17trampoline_kernelINS0_14default_configENS1_36segmented_radix_sort_config_selectorIllEEZNS1_25segmented_radix_sort_implIS3_Lb0EPKlPlS8_S9_N2at6native12_GLOBAL__N_18offset_tEEE10hipError_tPvRmT1_PNSt15iterator_traitsISH_E10value_typeET2_T3_PNSI_ISN_E10value_typeET4_jRbjT5_ST_jjP12ihipStream_tbEUlT_E2_NS1_11comp_targetILNS1_3genE10ELNS1_11target_archE1200ELNS1_3gpuE4ELNS1_3repE0EEENS1_30default_config_static_selectorELNS0_4arch9wavefront6targetE0EEEvSH_, .Lfunc_end843-_ZN7rocprim17ROCPRIM_400000_NS6detail17trampoline_kernelINS0_14default_configENS1_36segmented_radix_sort_config_selectorIllEEZNS1_25segmented_radix_sort_implIS3_Lb0EPKlPlS8_S9_N2at6native12_GLOBAL__N_18offset_tEEE10hipError_tPvRmT1_PNSt15iterator_traitsISH_E10value_typeET2_T3_PNSI_ISN_E10value_typeET4_jRbjT5_ST_jjP12ihipStream_tbEUlT_E2_NS1_11comp_targetILNS1_3genE10ELNS1_11target_archE1200ELNS1_3gpuE4ELNS1_3repE0EEENS1_30default_config_static_selectorELNS0_4arch9wavefront6targetE0EEEvSH_
                                        ; -- End function
	.section	.AMDGPU.csdata,"",@progbits
; Kernel info:
; codeLenInByte = 0
; NumSgprs: 0
; NumVgprs: 0
; ScratchSize: 0
; MemoryBound: 0
; FloatMode: 240
; IeeeMode: 1
; LDSByteSize: 0 bytes/workgroup (compile time only)
; SGPRBlocks: 0
; VGPRBlocks: 0
; NumSGPRsForWavesPerEU: 1
; NumVGPRsForWavesPerEU: 1
; Occupancy: 16
; WaveLimiterHint : 0
; COMPUTE_PGM_RSRC2:SCRATCH_EN: 0
; COMPUTE_PGM_RSRC2:USER_SGPR: 15
; COMPUTE_PGM_RSRC2:TRAP_HANDLER: 0
; COMPUTE_PGM_RSRC2:TGID_X_EN: 1
; COMPUTE_PGM_RSRC2:TGID_Y_EN: 0
; COMPUTE_PGM_RSRC2:TGID_Z_EN: 0
; COMPUTE_PGM_RSRC2:TIDIG_COMP_CNT: 0
	.section	.text._ZN7rocprim17ROCPRIM_400000_NS6detail17trampoline_kernelINS0_14default_configENS1_36segmented_radix_sort_config_selectorIllEEZNS1_25segmented_radix_sort_implIS3_Lb0EPKlPlS8_S9_N2at6native12_GLOBAL__N_18offset_tEEE10hipError_tPvRmT1_PNSt15iterator_traitsISH_E10value_typeET2_T3_PNSI_ISN_E10value_typeET4_jRbjT5_ST_jjP12ihipStream_tbEUlT_E2_NS1_11comp_targetILNS1_3genE9ELNS1_11target_archE1100ELNS1_3gpuE3ELNS1_3repE0EEENS1_30default_config_static_selectorELNS0_4arch9wavefront6targetE0EEEvSH_,"axG",@progbits,_ZN7rocprim17ROCPRIM_400000_NS6detail17trampoline_kernelINS0_14default_configENS1_36segmented_radix_sort_config_selectorIllEEZNS1_25segmented_radix_sort_implIS3_Lb0EPKlPlS8_S9_N2at6native12_GLOBAL__N_18offset_tEEE10hipError_tPvRmT1_PNSt15iterator_traitsISH_E10value_typeET2_T3_PNSI_ISN_E10value_typeET4_jRbjT5_ST_jjP12ihipStream_tbEUlT_E2_NS1_11comp_targetILNS1_3genE9ELNS1_11target_archE1100ELNS1_3gpuE3ELNS1_3repE0EEENS1_30default_config_static_selectorELNS0_4arch9wavefront6targetE0EEEvSH_,comdat
	.globl	_ZN7rocprim17ROCPRIM_400000_NS6detail17trampoline_kernelINS0_14default_configENS1_36segmented_radix_sort_config_selectorIllEEZNS1_25segmented_radix_sort_implIS3_Lb0EPKlPlS8_S9_N2at6native12_GLOBAL__N_18offset_tEEE10hipError_tPvRmT1_PNSt15iterator_traitsISH_E10value_typeET2_T3_PNSI_ISN_E10value_typeET4_jRbjT5_ST_jjP12ihipStream_tbEUlT_E2_NS1_11comp_targetILNS1_3genE9ELNS1_11target_archE1100ELNS1_3gpuE3ELNS1_3repE0EEENS1_30default_config_static_selectorELNS0_4arch9wavefront6targetE0EEEvSH_ ; -- Begin function _ZN7rocprim17ROCPRIM_400000_NS6detail17trampoline_kernelINS0_14default_configENS1_36segmented_radix_sort_config_selectorIllEEZNS1_25segmented_radix_sort_implIS3_Lb0EPKlPlS8_S9_N2at6native12_GLOBAL__N_18offset_tEEE10hipError_tPvRmT1_PNSt15iterator_traitsISH_E10value_typeET2_T3_PNSI_ISN_E10value_typeET4_jRbjT5_ST_jjP12ihipStream_tbEUlT_E2_NS1_11comp_targetILNS1_3genE9ELNS1_11target_archE1100ELNS1_3gpuE3ELNS1_3repE0EEENS1_30default_config_static_selectorELNS0_4arch9wavefront6targetE0EEEvSH_
	.p2align	8
	.type	_ZN7rocprim17ROCPRIM_400000_NS6detail17trampoline_kernelINS0_14default_configENS1_36segmented_radix_sort_config_selectorIllEEZNS1_25segmented_radix_sort_implIS3_Lb0EPKlPlS8_S9_N2at6native12_GLOBAL__N_18offset_tEEE10hipError_tPvRmT1_PNSt15iterator_traitsISH_E10value_typeET2_T3_PNSI_ISN_E10value_typeET4_jRbjT5_ST_jjP12ihipStream_tbEUlT_E2_NS1_11comp_targetILNS1_3genE9ELNS1_11target_archE1100ELNS1_3gpuE3ELNS1_3repE0EEENS1_30default_config_static_selectorELNS0_4arch9wavefront6targetE0EEEvSH_,@function
_ZN7rocprim17ROCPRIM_400000_NS6detail17trampoline_kernelINS0_14default_configENS1_36segmented_radix_sort_config_selectorIllEEZNS1_25segmented_radix_sort_implIS3_Lb0EPKlPlS8_S9_N2at6native12_GLOBAL__N_18offset_tEEE10hipError_tPvRmT1_PNSt15iterator_traitsISH_E10value_typeET2_T3_PNSI_ISN_E10value_typeET4_jRbjT5_ST_jjP12ihipStream_tbEUlT_E2_NS1_11comp_targetILNS1_3genE9ELNS1_11target_archE1100ELNS1_3gpuE3ELNS1_3repE0EEENS1_30default_config_static_selectorELNS0_4arch9wavefront6targetE0EEEvSH_: ; @_ZN7rocprim17ROCPRIM_400000_NS6detail17trampoline_kernelINS0_14default_configENS1_36segmented_radix_sort_config_selectorIllEEZNS1_25segmented_radix_sort_implIS3_Lb0EPKlPlS8_S9_N2at6native12_GLOBAL__N_18offset_tEEE10hipError_tPvRmT1_PNSt15iterator_traitsISH_E10value_typeET2_T3_PNSI_ISN_E10value_typeET4_jRbjT5_ST_jjP12ihipStream_tbEUlT_E2_NS1_11comp_targetILNS1_3genE9ELNS1_11target_archE1100ELNS1_3gpuE3ELNS1_3repE0EEENS1_30default_config_static_selectorELNS0_4arch9wavefront6targetE0EEEvSH_
; %bb.0:
	s_load_b128 s[4:7], s[0:1], 0x34
	s_mov_b32 s32, 0
	s_waitcnt lgkmcnt(0)
	s_add_i32 s60, s5, s14
	s_add_i32 s61, s7, s14
	s_mul_i32 s60, s60, s4
	s_mul_i32 s61, s61, s6
	s_delay_alu instid0(SALU_CYCLE_1)
	s_cmp_le_u32 s61, s60
	s_cbranch_scc1 .LBB844_1198
; %bb.1:
	s_clause 0x3
	s_load_b32 s2, s[0:1], 0x30
	s_load_b128 s[52:55], s[0:1], 0x20
	s_load_b128 s[56:59], s[0:1], 0x44
	s_load_b256 s[44:51], s[0:1], 0x0
	s_waitcnt lgkmcnt(0)
	s_bitcmp1_b32 s2, 0
	s_mov_b32 s2, -1
	s_cselect_b32 s59, -1, 0
	s_sub_i32 s62, s61, s60
	s_delay_alu instid0(SALU_CYCLE_1)
	s_cmpk_lt_u32 s62, 0x1001
	s_cbranch_scc0 .LBB844_15
; %bb.2:
	s_cmp_lt_u32 s62, 33
	s_cbranch_scc0 .LBB844_9
; %bb.3:
	s_load_b32 s2, s[0:1], 0x5c
	v_bfe_u32 v1, v0, 10, 10
	v_bfe_u32 v2, v0, 20, 10
	s_mov_b32 s18, exec_lo
	s_waitcnt lgkmcnt(0)
	s_lshr_b32 s3, s2, 16
	s_and_b32 s2, s2, 0xffff
	v_mad_u32_u24 v4, v2, s3, v1
	v_and_b32_e32 v1, 0x3ff, v0
	s_delay_alu instid0(VALU_DEP_1) | instskip(NEXT) | instid1(VALU_DEP_1)
	v_mad_u64_u32 v[2:3], null, v4, s2, v[1:2]
	v_cmpx_gt_u32_e32 8, v2
	s_cbranch_execz .LBB844_8
; %bb.4:
	v_cndmask_b32_e64 v1, 0, 1, s59
	s_and_b32 s2, s56, 1
	s_delay_alu instid0(VALU_DEP_1) | instid1(SALU_CYCLE_1)
	v_cmp_ne_u32_e32 vcc_lo, s2, v1
	s_mov_b32 s2, -1
	s_cbranch_vccnz .LBB844_6
; %bb.5:
	s_mov_b64 s[2:3], src_shared_base
	v_mov_b32_e32 v31, v0
	v_dual_mov_b32 v40, v0 :: v_dual_mov_b32 v1, s45
	v_mov_b32_e32 v0, s44
	v_dual_mov_b32 v2, s48 :: v_dual_mov_b32 v3, s49
	v_dual_mov_b32 v4, s50 :: v_dual_mov_b32 v5, s51
	;; [unrolled: 1-line block ×6, first 2 shown]
	s_add_u32 s8, s0, 0x50
	s_addc_u32 s9, s1, 0
	s_mov_b32 s12, s14
	s_mov_b32 s13, s15
	s_getpc_b64 s[4:5]
	s_add_u32 s4, s4, _ZN7rocprim17ROCPRIM_400000_NS6detail26segmented_warp_sort_helperINS1_20WarpSortHelperConfigILj8ELj4ELj256EEEllLi256ELb0EvE4sortIPKlPlS8_S9_EEvT_T0_T1_T2_jjjjRNS5_12storage_typeE@rel32@lo+4
	s_addc_u32 s5, s5, _ZN7rocprim17ROCPRIM_400000_NS6detail26segmented_warp_sort_helperINS1_20WarpSortHelperConfigILj8ELj4ELj256EEEllLi256ELb0EvE4sortIPKlPlS8_S9_EEvT_T0_T1_T2_jjjjRNS5_12storage_typeE@rel32@hi+12
	s_mov_b64 s[16:17], s[0:1]
	s_mov_b32 s19, s14
	s_swappc_b64 s[30:31], s[4:5]
	v_mov_b32_e32 v0, v40
	s_mov_b32 s14, s19
	s_mov_b64 s[0:1], s[16:17]
	s_mov_b32 s2, 0
.LBB844_6:
	s_delay_alu instid0(SALU_CYCLE_1)
	s_and_not1_b32 vcc_lo, exec_lo, s2
	s_cbranch_vccnz .LBB844_8
; %bb.7:
	s_mov_b64 s[2:3], src_shared_base
	v_mov_b32_e32 v31, v0
	v_dual_mov_b32 v40, v0 :: v_dual_mov_b32 v1, s45
	v_mov_b32_e32 v0, s44
	v_dual_mov_b32 v2, s46 :: v_dual_mov_b32 v3, s47
	v_dual_mov_b32 v4, s50 :: v_dual_mov_b32 v5, s51
	;; [unrolled: 1-line block ×6, first 2 shown]
	s_add_u32 s8, s0, 0x50
	s_addc_u32 s9, s1, 0
	s_mov_b32 s12, s14
	s_mov_b32 s13, s15
	s_getpc_b64 s[4:5]
	s_add_u32 s4, s4, _ZN7rocprim17ROCPRIM_400000_NS6detail26segmented_warp_sort_helperINS1_20WarpSortHelperConfigILj8ELj4ELj256EEEllLi256ELb0EvE4sortIPKlPlS8_S9_EEvT_T0_T1_T2_jjjjRNS5_12storage_typeE@rel32@lo+4
	s_addc_u32 s5, s5, _ZN7rocprim17ROCPRIM_400000_NS6detail26segmented_warp_sort_helperINS1_20WarpSortHelperConfigILj8ELj4ELj256EEEllLi256ELb0EvE4sortIPKlPlS8_S9_EEvT_T0_T1_T2_jjjjRNS5_12storage_typeE@rel32@hi+12
	s_mov_b64 s[16:17], s[0:1]
	s_mov_b32 s19, s14
	s_swappc_b64 s[30:31], s[4:5]
	v_mov_b32_e32 v0, v40
	s_mov_b32 s14, s19
	s_mov_b64 s[0:1], s[16:17]
.LBB844_8:
	s_or_b32 exec_lo, exec_lo, s18
	s_mov_b32 s2, 0
.LBB844_9:
	s_delay_alu instid0(SALU_CYCLE_1)
	s_and_not1_b32 vcc_lo, exec_lo, s2
	s_cbranch_vccnz .LBB844_14
; %bb.10:
	v_cndmask_b32_e64 v1, 0, 1, s59
	s_and_b32 s2, s56, 1
	s_delay_alu instid0(VALU_DEP_1) | instid1(SALU_CYCLE_1)
	v_cmp_ne_u32_e32 vcc_lo, s2, v1
	s_mov_b32 s2, -1
	s_cbranch_vccnz .LBB844_12
; %bb.11:
	s_mov_b64 s[2:3], src_shared_base
	v_mov_b32_e32 v31, v0
	v_dual_mov_b32 v40, v0 :: v_dual_mov_b32 v1, s45
	v_mov_b32_e32 v0, s44
	v_dual_mov_b32 v2, s48 :: v_dual_mov_b32 v3, s49
	v_dual_mov_b32 v4, s50 :: v_dual_mov_b32 v5, s51
	;; [unrolled: 1-line block ×6, first 2 shown]
	s_add_u32 s8, s0, 0x50
	s_addc_u32 s9, s1, 0
	s_mov_b32 s12, s14
	s_mov_b32 s13, s15
	s_getpc_b64 s[4:5]
	s_add_u32 s4, s4, _ZN7rocprim17ROCPRIM_400000_NS6detail40segmented_radix_sort_single_block_helperIllLj256ELj16ELb0EE4sortIPKlPlS6_S7_EEbT_T0_T1_T2_jjjjRNS3_12storage_typeE@rel32@lo+4
	s_addc_u32 s5, s5, _ZN7rocprim17ROCPRIM_400000_NS6detail40segmented_radix_sort_single_block_helperIllLj256ELj16ELb0EE4sortIPKlPlS6_S7_EEbT_T0_T1_T2_jjjjRNS3_12storage_typeE@rel32@hi+12
	s_mov_b64 s[28:29], s[0:1]
	s_mov_b32 s27, s15
	s_mov_b32 s33, s14
	s_swappc_b64 s[30:31], s[4:5]
	v_mov_b32_e32 v0, v40
	s_mov_b32 s14, s33
	s_mov_b32 s15, s27
	s_mov_b64 s[0:1], s[28:29]
	s_mov_b32 s2, 0
.LBB844_12:
	s_delay_alu instid0(SALU_CYCLE_1)
	s_and_not1_b32 vcc_lo, exec_lo, s2
	s_cbranch_vccnz .LBB844_14
; %bb.13:
	s_mov_b64 s[2:3], src_shared_base
	v_mov_b32_e32 v31, v0
	v_dual_mov_b32 v40, v0 :: v_dual_mov_b32 v1, s45
	v_mov_b32_e32 v0, s44
	v_dual_mov_b32 v2, s46 :: v_dual_mov_b32 v3, s47
	v_dual_mov_b32 v4, s50 :: v_dual_mov_b32 v5, s51
	;; [unrolled: 1-line block ×6, first 2 shown]
	s_add_u32 s8, s0, 0x50
	s_addc_u32 s9, s1, 0
	s_mov_b32 s12, s14
	s_mov_b32 s13, s15
	s_getpc_b64 s[4:5]
	s_add_u32 s4, s4, _ZN7rocprim17ROCPRIM_400000_NS6detail40segmented_radix_sort_single_block_helperIllLj256ELj16ELb0EE4sortIPKlPlS6_S7_EEbT_T0_T1_T2_jjjjRNS3_12storage_typeE@rel32@lo+4
	s_addc_u32 s5, s5, _ZN7rocprim17ROCPRIM_400000_NS6detail40segmented_radix_sort_single_block_helperIllLj256ELj16ELb0EE4sortIPKlPlS6_S7_EEbT_T0_T1_T2_jjjjRNS3_12storage_typeE@rel32@hi+12
	s_mov_b64 s[28:29], s[0:1]
	s_mov_b32 s33, s15
	s_mov_b32 s27, s14
	s_swappc_b64 s[30:31], s[4:5]
	v_mov_b32_e32 v0, v40
	s_mov_b32 s14, s27
	s_mov_b32 s15, s33
	s_mov_b64 s[0:1], s[28:29]
.LBB844_14:
	s_mov_b32 s2, 0
.LBB844_15:
	s_delay_alu instid0(SALU_CYCLE_1)
	s_and_not1_b32 vcc_lo, exec_lo, s2
	s_cbranch_vccnz .LBB844_1198
; %bb.16:
	s_cmp_ge_u32 s57, s58
	s_cbranch_scc1 .LBB844_1198
; %bb.17:
	v_and_b32_e32 v1, 0x3ff, v0
	v_mov_b32_e32 v3, 0
	v_bfe_u32 v101, v0, 20, 10
	s_add_u32 s36, s0, 0x50
	v_bfe_u32 v0, v0, 10, 10
	v_lshlrev_b32_e32 v76, 2, v1
	v_lshrrev_b32_e32 v4, 3, v1
	v_lshlrev_b32_e32 v6, 5, v1
	v_dual_mov_b32 v123, 1 :: v_dual_lshlrev_b32 v2, 3, v1
	s_delay_alu instid0(VALU_DEP_4) | instskip(NEXT) | instid1(VALU_DEP_4)
	v_mad_u32_u24 v96, v1, 12, v76
	v_and_b32_e32 v94, 28, v4
	v_lshlrev_b32_e32 v4, 4, v1
	v_or_b32_e32 v5, 31, v1
	v_or_b32_e32 v78, 0x200, v1
	v_mad_u32_u24 v102, v1, 20, v96
	v_or_b32_e32 v79, 0x300, v1
	v_and_b32_e32 v100, 0xe00, v4
	v_cmp_eq_u32_e64 s3, v5, v1
	v_mul_u32_u24_e32 v4, 9, v1
	v_sub_nc_u32_e32 v104, v102, v6
	v_add_nc_u32_e32 v5, 1, v1
	v_lshlrev_b32_e32 v6, 3, v100
	v_or_b32_e32 v83, 0x400, v1
	v_or_b32_e32 v84, 0x500, v1
	;; [unrolled: 1-line block ×4, first 2 shown]
	v_add_co_u32 v106, s7, s54, v6
	s_delay_alu instid0(VALU_DEP_1) | instskip(SKIP_1) | instid1(VALU_DEP_1)
	v_add_co_ci_u32_e64 v107, null, s55, 0, s7
	v_add_co_u32 v108, s7, s48, v6
	v_add_co_ci_u32_e64 v109, null, s49, 0, s7
	v_add_co_u32 v111, s7, s46, v2
	s_delay_alu instid0(VALU_DEP_1) | instskip(SKIP_1) | instid1(VALU_DEP_1)
	v_add_co_ci_u32_e64 v112, null, s47, 0, s7
	v_add_co_u32 v113, s7, s52, v6
	v_add_co_ci_u32_e64 v114, null, s53, 0, s7
	v_add_co_u32 v115, s7, s46, v6
	s_delay_alu instid0(VALU_DEP_1)
	v_add_co_ci_u32_e64 v116, null, s47, 0, s7
	v_add_co_u32 v117, s7, s44, v2
	v_or_b32_e32 v87, 0x800, v1
	v_or_b32_e32 v88, 0x900, v1
	v_or_b32_e32 v89, 0xa00, v1
	v_or_b32_e32 v90, 0xb00, v1
	v_or_b32_e32 v91, 0xc00, v1
	v_lshl_add_u32 v103, v4, 2, 0x420
	v_mul_u32_u24_e32 v4, 9, v5
	v_add_co_ci_u32_e64 v118, null, s45, 0, s7
	v_add_co_u32 v119, s7, s50, v6
	v_add_co_u32 v81, s2, s48, v2
	v_add_co_ci_u32_e64 v120, null, s51, 0, s7
	v_add_co_u32 v121, s7, s44, v6
	v_or_b32_e32 v77, 0x100, v1
	v_and_b32_e32 v80, 3, v1
	v_add_co_ci_u32_e64 v82, null, s49, 0, s2
	v_or_b32_e32 v92, 0xd00, v1
	v_or_b32_e32 v93, 0xe00, v1
	;; [unrolled: 1-line block ×3, first 2 shown]
	v_cmp_gt_u32_e64 s2, 0x100, v1
	v_or_b32_e32 v97, 0x8400, v94
	v_cmp_gt_u32_e64 s4, 8, v1
	v_add_nc_u32_e32 v98, 0x8400, v76
	v_cmp_lt_u32_e64 s5, 31, v1
	v_add_nc_u32_e32 v99, 0x83fc, v94
	v_cmp_eq_u32_e64 s0, 0, v1
	v_cmp_ne_u32_e64 s6, 0x100, v5
	v_lshlrev_b32_e32 v105, 2, v4
	v_add_nc_u32_e32 v110, 0x400, v2
	v_add_co_ci_u32_e64 v122, null, s45, 0, s7
	v_lshlrev_b32_e32 v124, 3, v1
	v_lshlrev_b32_e32 v125, 3, v78
	;; [unrolled: 1-line block ×12, first 2 shown]
	v_mbcnt_lo_u32_b32 v136, -1, 0
	s_mov_b32 s38, -1
	s_mov_b32 s35, 0
	s_brev_b32 s39, -2
	s_addc_u32 s37, s1, 0
	s_mov_b32 s40, s57
	s_mov_b32 s41, s57
	s_branch .LBB844_20
.LBB844_18:                             ;   in Loop: Header=BB844_20 Depth=1
	s_waitcnt lgkmcnt(0)
	s_barrier
.LBB844_19:                             ;   in Loop: Header=BB844_20 Depth=1
	s_add_i32 s41, s41, 8
	buffer_gl0_inv
	s_cmp_ge_u32 s41, s58
	s_cbranch_scc1 .LBB844_1198
.LBB844_20:                             ; =>This Loop Header: Depth=1
                                        ;     Child Loop BB844_24 Depth 2
                                        ;     Child Loop BB844_106 Depth 2
	;; [unrolled: 1-line block ×8, first 2 shown]
	s_sub_i32 s1, s58, s41
	s_xor_b32 s59, s59, -1
	s_min_u32 s42, s1, 8
	s_cmp_lg_u32 s41, s57
	s_mov_b32 s1, s38
	ds_store_2addr_stride64_b32 v76, v3, v3 offset1:4
	ds_store_2addr_stride64_b32 v76, v3, v3 offset0:8 offset1:12
	s_waitcnt lgkmcnt(0)
	s_waitcnt_vscnt null, 0x0
	s_cbranch_scc0 .LBB844_610
; %bb.21:                               ;   in Loop: Header=BB844_20 Depth=1
	s_lshl_b32 s1, -1, s42
	s_and_b32 vcc_lo, exec_lo, s59
	s_not_b32 s43, s1
	s_mov_b32 s1, -1
	s_cbranch_vccz .LBB844_315
; %bb.22:                               ;   in Loop: Header=BB844_20 Depth=1
	s_mov_b32 s1, s62
	s_mov_b32 s34, s60
	s_barrier
	buffer_gl0_inv
                                        ; implicit-def: $vgpr34_vgpr35
                                        ; implicit-def: $vgpr4_vgpr5
                                        ; implicit-def: $vgpr6_vgpr7
                                        ; implicit-def: $vgpr8_vgpr9
                                        ; implicit-def: $vgpr10_vgpr11
                                        ; implicit-def: $vgpr12_vgpr13
                                        ; implicit-def: $vgpr14_vgpr15
                                        ; implicit-def: $vgpr16_vgpr17
                                        ; implicit-def: $vgpr18_vgpr19
                                        ; implicit-def: $vgpr20_vgpr21
                                        ; implicit-def: $vgpr22_vgpr23
                                        ; implicit-def: $vgpr24_vgpr25
                                        ; implicit-def: $vgpr26_vgpr27
                                        ; implicit-def: $vgpr28_vgpr29
                                        ; implicit-def: $vgpr30_vgpr31
                                        ; implicit-def: $vgpr32_vgpr33
	s_branch .LBB844_24
.LBB844_23:                             ;   in Loop: Header=BB844_24 Depth=2
	s_or_b32 exec_lo, exec_lo, s8
	s_addk_i32 s1, 0xf000
	s_cmp_ge_u32 s7, s61
	s_mov_b32 s34, s7
	s_cbranch_scc1 .LBB844_94
.LBB844_24:                             ;   Parent Loop BB844_20 Depth=1
                                        ; =>  This Inner Loop Header: Depth=2
	s_add_i32 s7, s34, 0x1000
	s_delay_alu instid0(SALU_CYCLE_1)
	s_cmp_gt_u32 s7, s61
	s_cbranch_scc1 .LBB844_27
; %bb.25:                               ;   in Loop: Header=BB844_24 Depth=2
	s_mov_b32 s9, 0
	s_mov_b32 s8, s34
	s_delay_alu instid0(SALU_CYCLE_1) | instskip(NEXT) | instid1(SALU_CYCLE_1)
	s_lshl_b64 s[10:11], s[8:9], 3
	v_add_co_u32 v36, vcc_lo, v81, s10
	v_add_co_ci_u32_e32 v37, vcc_lo, s11, v82, vcc_lo
	s_movk_i32 s11, 0x1000
	s_waitcnt vmcnt(12)
	s_delay_alu instid0(VALU_DEP_2) | instskip(NEXT) | instid1(VALU_DEP_2)
	v_add_co_u32 v42, vcc_lo, 0x1000, v36
	v_add_co_ci_u32_e32 v43, vcc_lo, 0, v37, vcc_lo
	s_waitcnt vmcnt(11)
	v_add_co_u32 v44, vcc_lo, 0x2000, v36
	v_add_co_ci_u32_e32 v45, vcc_lo, 0, v37, vcc_lo
	s_waitcnt vmcnt(1)
	v_add_co_u32 v50, vcc_lo, v36, 0x2000
	v_add_co_ci_u32_e32 v51, vcc_lo, 0, v37, vcc_lo
	v_add_co_u32 v52, vcc_lo, v36, 0x4000
	v_add_co_ci_u32_e32 v53, vcc_lo, 0, v37, vcc_lo
	;; [unrolled: 2-line block ×7, first 2 shown]
	s_waitcnt vmcnt(0)
	v_add_co_u32 v66, vcc_lo, 0x7000, v36
	v_add_co_ci_u32_e32 v67, vcc_lo, 0, v37, vcc_lo
	s_clause 0xe
	global_load_b64 v[38:39], v[36:37], off
	global_load_b64 v[40:41], v[36:37], off offset:2048
	global_load_b64 v[42:43], v[42:43], off offset:2048
	;; [unrolled: 1-line block ×3, first 2 shown]
	global_load_b64 v[46:47], v[50:51], off
	global_load_b64 v[48:49], v[52:53], off offset:-4096
	global_load_b64 v[52:53], v[52:53], off
	global_load_b64 v[56:57], v[60:61], off offset:-4096
	global_load_b64 v[60:61], v[60:61], off
	global_load_b64 v[54:55], v[54:55], off offset:2048
	global_load_b64 v[58:59], v[58:59], off offset:2048
	;; [unrolled: 1-line block ×4, first 2 shown]
	global_load_b64 v[50:51], v[50:51], off offset:-4096
	global_load_b64 v[66:67], v[66:67], off
	v_add_co_u32 v36, vcc_lo, 0x7800, v36
	v_add_co_ci_u32_e32 v37, vcc_lo, 0, v37, vcc_lo
	s_mov_b32 s10, -1
	s_cbranch_execz .LBB844_28
; %bb.26:                               ;   in Loop: Header=BB844_24 Depth=2
                                        ; implicit-def: $vgpr32_vgpr33
                                        ; implicit-def: $vgpr30_vgpr31
                                        ; implicit-def: $vgpr28_vgpr29
                                        ; implicit-def: $vgpr26_vgpr27
                                        ; implicit-def: $vgpr24_vgpr25
                                        ; implicit-def: $vgpr22_vgpr23
                                        ; implicit-def: $vgpr20_vgpr21
                                        ; implicit-def: $vgpr18_vgpr19
                                        ; implicit-def: $vgpr16_vgpr17
                                        ; implicit-def: $vgpr14_vgpr15
                                        ; implicit-def: $vgpr12_vgpr13
                                        ; implicit-def: $vgpr10_vgpr11
                                        ; implicit-def: $vgpr8_vgpr9
                                        ; implicit-def: $vgpr6_vgpr7
                                        ; implicit-def: $vgpr4_vgpr5
                                        ; implicit-def: $vgpr34_vgpr35
	v_mov_b32_e32 v2, s1
	s_and_saveexec_b32 s8, s10
	s_cbranch_execnz .LBB844_47
	s_branch .LBB844_48
.LBB844_27:                             ;   in Loop: Header=BB844_24 Depth=2
	s_mov_b32 s10, 0
                                        ; implicit-def: $sgpr11
                                        ; implicit-def: $vgpr38_vgpr39
                                        ; implicit-def: $vgpr40_vgpr41
                                        ; implicit-def: $vgpr50_vgpr51
                                        ; implicit-def: $vgpr42_vgpr43
                                        ; implicit-def: $vgpr46_vgpr47
                                        ; implicit-def: $vgpr44_vgpr45
                                        ; implicit-def: $vgpr48_vgpr49
                                        ; implicit-def: $vgpr54_vgpr55
                                        ; implicit-def: $vgpr52_vgpr53
                                        ; implicit-def: $vgpr58_vgpr59
                                        ; implicit-def: $vgpr56_vgpr57
                                        ; implicit-def: $vgpr62_vgpr63
                                        ; implicit-def: $vgpr60_vgpr61
                                        ; implicit-def: $vgpr64_vgpr65
                                        ; implicit-def: $vgpr66_vgpr67
                                        ; implicit-def: $vgpr36_vgpr37
.LBB844_28:                             ;   in Loop: Header=BB844_24 Depth=2
	s_lshl_b64 s[8:9], s[34:35], 3
	s_mov_b32 s11, exec_lo
	s_add_u32 s8, s48, s8
	s_addc_u32 s9, s49, s9
	v_cmpx_gt_u32_e64 s1, v1
	s_cbranch_execz .LBB844_80
; %bb.29:                               ;   in Loop: Header=BB844_24 Depth=2
	global_load_b64 v[32:33], v124, s[8:9]
	s_or_b32 exec_lo, exec_lo, s11
	s_delay_alu instid0(SALU_CYCLE_1)
	s_mov_b32 s11, exec_lo
	v_cmpx_gt_u32_e64 s1, v77
	s_cbranch_execnz .LBB844_81
.LBB844_30:                             ;   in Loop: Header=BB844_24 Depth=2
	s_or_b32 exec_lo, exec_lo, s11
	s_delay_alu instid0(SALU_CYCLE_1)
	s_mov_b32 s11, exec_lo
	v_cmpx_gt_u32_e64 s1, v78
	s_cbranch_execz .LBB844_82
.LBB844_31:                             ;   in Loop: Header=BB844_24 Depth=2
	global_load_b64 v[28:29], v125, s[8:9]
	s_or_b32 exec_lo, exec_lo, s11
	s_delay_alu instid0(SALU_CYCLE_1)
	s_mov_b32 s11, exec_lo
	v_cmpx_gt_u32_e64 s1, v79
	s_cbranch_execnz .LBB844_83
.LBB844_32:                             ;   in Loop: Header=BB844_24 Depth=2
	s_or_b32 exec_lo, exec_lo, s11
	s_delay_alu instid0(SALU_CYCLE_1)
	s_mov_b32 s11, exec_lo
	v_cmpx_gt_u32_e64 s1, v83
	s_cbranch_execz .LBB844_84
.LBB844_33:                             ;   in Loop: Header=BB844_24 Depth=2
	global_load_b64 v[24:25], v127, s[8:9]
	s_or_b32 exec_lo, exec_lo, s11
	s_delay_alu instid0(SALU_CYCLE_1)
	s_mov_b32 s11, exec_lo
	v_cmpx_gt_u32_e64 s1, v84
	s_cbranch_execnz .LBB844_85
.LBB844_34:                             ;   in Loop: Header=BB844_24 Depth=2
	s_or_b32 exec_lo, exec_lo, s11
	s_delay_alu instid0(SALU_CYCLE_1)
	s_mov_b32 s11, exec_lo
	v_cmpx_gt_u32_e64 s1, v85
	s_cbranch_execz .LBB844_86
.LBB844_35:                             ;   in Loop: Header=BB844_24 Depth=2
	global_load_b64 v[20:21], v129, s[8:9]
	s_or_b32 exec_lo, exec_lo, s11
	s_delay_alu instid0(SALU_CYCLE_1)
	s_mov_b32 s11, exec_lo
	v_cmpx_gt_u32_e64 s1, v86
	s_cbranch_execnz .LBB844_87
.LBB844_36:                             ;   in Loop: Header=BB844_24 Depth=2
	s_or_b32 exec_lo, exec_lo, s11
	s_delay_alu instid0(SALU_CYCLE_1)
	s_mov_b32 s11, exec_lo
	v_cmpx_gt_u32_e64 s1, v87
	s_cbranch_execz .LBB844_88
.LBB844_37:                             ;   in Loop: Header=BB844_24 Depth=2
	global_load_b64 v[16:17], v131, s[8:9]
	s_or_b32 exec_lo, exec_lo, s11
	s_delay_alu instid0(SALU_CYCLE_1)
	s_mov_b32 s11, exec_lo
	v_cmpx_gt_u32_e64 s1, v88
	s_cbranch_execnz .LBB844_89
.LBB844_38:                             ;   in Loop: Header=BB844_24 Depth=2
	s_or_b32 exec_lo, exec_lo, s11
	s_delay_alu instid0(SALU_CYCLE_1)
	s_mov_b32 s11, exec_lo
	v_cmpx_gt_u32_e64 s1, v89
	s_cbranch_execz .LBB844_90
.LBB844_39:                             ;   in Loop: Header=BB844_24 Depth=2
	global_load_b64 v[12:13], v133, s[8:9]
	s_or_b32 exec_lo, exec_lo, s11
	s_delay_alu instid0(SALU_CYCLE_1)
	s_mov_b32 s11, exec_lo
	v_cmpx_gt_u32_e64 s1, v90
	s_cbranch_execnz .LBB844_91
.LBB844_40:                             ;   in Loop: Header=BB844_24 Depth=2
	s_or_b32 exec_lo, exec_lo, s11
	s_delay_alu instid0(SALU_CYCLE_1)
	s_mov_b32 s11, exec_lo
	v_cmpx_gt_u32_e64 s1, v91
	s_cbranch_execz .LBB844_92
.LBB844_41:                             ;   in Loop: Header=BB844_24 Depth=2
	global_load_b64 v[8:9], v135, s[8:9]
	s_or_b32 exec_lo, exec_lo, s11
	s_delay_alu instid0(SALU_CYCLE_1)
	s_mov_b32 s11, exec_lo
	v_cmpx_gt_u32_e64 s1, v92
	s_cbranch_execnz .LBB844_93
.LBB844_42:                             ;   in Loop: Header=BB844_24 Depth=2
	s_or_b32 exec_lo, exec_lo, s11
	s_delay_alu instid0(SALU_CYCLE_1)
	s_mov_b32 s11, exec_lo
	v_cmpx_gt_u32_e64 s1, v93
	s_cbranch_execz .LBB844_44
.LBB844_43:                             ;   in Loop: Header=BB844_24 Depth=2
	v_lshlrev_b32_e32 v2, 3, v93
	global_load_b64 v[4:5], v2, s[8:9]
.LBB844_44:                             ;   in Loop: Header=BB844_24 Depth=2
	s_or_b32 exec_lo, exec_lo, s11
	s_delay_alu instid0(SALU_CYCLE_1)
	s_mov_b32 s12, exec_lo
                                        ; implicit-def: $sgpr11
                                        ; implicit-def: $vgpr36_vgpr37
	v_cmpx_gt_u32_e64 s1, v95
; %bb.45:                               ;   in Loop: Header=BB844_24 Depth=2
	v_lshlrev_b32_e32 v2, 3, v95
	s_sub_i32 s11, s61, s34
	s_or_b32 s10, s10, exec_lo
                                        ; implicit-def: $vgpr34_vgpr35
	s_delay_alu instid0(VALU_DEP_1) | instskip(NEXT) | instid1(VALU_DEP_1)
	v_add_co_u32 v36, s8, s8, v2
	v_add_co_ci_u32_e64 v37, null, s9, 0, s8
; %bb.46:                               ;   in Loop: Header=BB844_24 Depth=2
	s_or_b32 exec_lo, exec_lo, s12
	s_waitcnt vmcnt(0)
	v_dual_mov_b32 v39, v33 :: v_dual_mov_b32 v38, v32
	v_dual_mov_b32 v41, v31 :: v_dual_mov_b32 v40, v30
	;; [unrolled: 1-line block ×15, first 2 shown]
	v_mov_b32_e32 v2, s1
	s_and_saveexec_b32 s8, s10
	s_cbranch_execz .LBB844_48
.LBB844_47:                             ;   in Loop: Header=BB844_24 Depth=2
	global_load_b64 v[34:35], v[36:37], off
	s_waitcnt vmcnt(1)
	v_mov_b32_e32 v4, v66
	v_mov_b32_e32 v6, v64
	v_mov_b32_e32 v8, v60
	v_mov_b32_e32 v10, v62
	v_mov_b32_e32 v12, v56
	v_mov_b32_e32 v14, v58
	v_mov_b32_e32 v16, v52
	v_mov_b32_e32 v18, v54
	v_mov_b32_e32 v20, v48
	v_mov_b32_e32 v22, v44
	v_mov_b32_e32 v24, v46
	v_mov_b32_e32 v26, v42
	v_mov_b32_e32 v28, v50
	v_mov_b32_e32 v30, v40
	v_dual_mov_b32 v32, v38 :: v_dual_mov_b32 v33, v39
	v_dual_mov_b32 v2, s11 :: v_dual_mov_b32 v5, v67
	v_mov_b32_e32 v7, v65
	v_mov_b32_e32 v9, v61
	;; [unrolled: 1-line block ×13, first 2 shown]
.LBB844_48:                             ;   in Loop: Header=BB844_24 Depth=2
	s_or_b32 exec_lo, exec_lo, s8
	s_delay_alu instid0(SALU_CYCLE_1)
	s_mov_b32 s8, exec_lo
	v_cmpx_lt_u32_e64 v1, v2
	s_cbranch_execz .LBB844_64
; %bb.49:                               ;   in Loop: Header=BB844_24 Depth=2
	v_xor_b32_e32 v37, 0x80000000, v33
	v_mov_b32_e32 v36, v32
	s_delay_alu instid0(VALU_DEP_1) | instskip(SKIP_1) | instid1(VALU_DEP_2)
	v_lshrrev_b64 v[36:37], s41, v[36:37]
	v_lshlrev_b32_e32 v37, 2, v80
	v_and_b32_e32 v36, s43, v36
	s_delay_alu instid0(VALU_DEP_1) | instskip(SKIP_2) | instid1(SALU_CYCLE_1)
	v_lshl_or_b32 v36, v36, 4, v37
	ds_add_u32 v36, v123
	s_or_b32 exec_lo, exec_lo, s8
	s_mov_b32 s8, exec_lo
	v_cmpx_lt_u32_e64 v77, v2
	s_cbranch_execnz .LBB844_65
.LBB844_50:                             ;   in Loop: Header=BB844_24 Depth=2
	s_or_b32 exec_lo, exec_lo, s8
	s_delay_alu instid0(SALU_CYCLE_1)
	s_mov_b32 s8, exec_lo
	v_cmpx_lt_u32_e64 v78, v2
	s_cbranch_execz .LBB844_66
.LBB844_51:                             ;   in Loop: Header=BB844_24 Depth=2
	v_xor_b32_e32 v37, 0x80000000, v29
	v_mov_b32_e32 v36, v28
	s_delay_alu instid0(VALU_DEP_1) | instskip(SKIP_1) | instid1(VALU_DEP_2)
	v_lshrrev_b64 v[36:37], s41, v[36:37]
	v_lshlrev_b32_e32 v37, 2, v80
	v_and_b32_e32 v36, s43, v36
	s_delay_alu instid0(VALU_DEP_1) | instskip(SKIP_2) | instid1(SALU_CYCLE_1)
	v_lshl_or_b32 v36, v36, 4, v37
	ds_add_u32 v36, v123
	s_or_b32 exec_lo, exec_lo, s8
	s_mov_b32 s8, exec_lo
	v_cmpx_lt_u32_e64 v79, v2
	s_cbranch_execnz .LBB844_67
.LBB844_52:                             ;   in Loop: Header=BB844_24 Depth=2
	s_or_b32 exec_lo, exec_lo, s8
	s_delay_alu instid0(SALU_CYCLE_1)
	s_mov_b32 s8, exec_lo
	v_cmpx_lt_u32_e64 v83, v2
	s_cbranch_execz .LBB844_68
.LBB844_53:                             ;   in Loop: Header=BB844_24 Depth=2
	v_xor_b32_e32 v37, 0x80000000, v25
	v_mov_b32_e32 v36, v24
	s_delay_alu instid0(VALU_DEP_1) | instskip(SKIP_1) | instid1(VALU_DEP_2)
	v_lshrrev_b64 v[36:37], s41, v[36:37]
	v_lshlrev_b32_e32 v37, 2, v80
	v_and_b32_e32 v36, s43, v36
	s_delay_alu instid0(VALU_DEP_1) | instskip(SKIP_2) | instid1(SALU_CYCLE_1)
	v_lshl_or_b32 v36, v36, 4, v37
	ds_add_u32 v36, v123
	s_or_b32 exec_lo, exec_lo, s8
	s_mov_b32 s8, exec_lo
	v_cmpx_lt_u32_e64 v84, v2
	s_cbranch_execnz .LBB844_69
.LBB844_54:                             ;   in Loop: Header=BB844_24 Depth=2
	s_or_b32 exec_lo, exec_lo, s8
	s_delay_alu instid0(SALU_CYCLE_1)
	s_mov_b32 s8, exec_lo
	v_cmpx_lt_u32_e64 v85, v2
	s_cbranch_execz .LBB844_70
.LBB844_55:                             ;   in Loop: Header=BB844_24 Depth=2
	v_xor_b32_e32 v37, 0x80000000, v21
	v_mov_b32_e32 v36, v20
	s_delay_alu instid0(VALU_DEP_1) | instskip(SKIP_1) | instid1(VALU_DEP_2)
	v_lshrrev_b64 v[36:37], s41, v[36:37]
	v_lshlrev_b32_e32 v37, 2, v80
	v_and_b32_e32 v36, s43, v36
	s_delay_alu instid0(VALU_DEP_1) | instskip(SKIP_2) | instid1(SALU_CYCLE_1)
	v_lshl_or_b32 v36, v36, 4, v37
	ds_add_u32 v36, v123
	s_or_b32 exec_lo, exec_lo, s8
	s_mov_b32 s8, exec_lo
	v_cmpx_lt_u32_e64 v86, v2
	s_cbranch_execnz .LBB844_71
.LBB844_56:                             ;   in Loop: Header=BB844_24 Depth=2
	s_or_b32 exec_lo, exec_lo, s8
	s_delay_alu instid0(SALU_CYCLE_1)
	s_mov_b32 s8, exec_lo
	v_cmpx_lt_u32_e64 v87, v2
	s_cbranch_execz .LBB844_72
.LBB844_57:                             ;   in Loop: Header=BB844_24 Depth=2
	v_xor_b32_e32 v37, 0x80000000, v17
	v_mov_b32_e32 v36, v16
	s_delay_alu instid0(VALU_DEP_1) | instskip(SKIP_1) | instid1(VALU_DEP_2)
	v_lshrrev_b64 v[36:37], s41, v[36:37]
	v_lshlrev_b32_e32 v37, 2, v80
	v_and_b32_e32 v36, s43, v36
	s_delay_alu instid0(VALU_DEP_1) | instskip(SKIP_2) | instid1(SALU_CYCLE_1)
	v_lshl_or_b32 v36, v36, 4, v37
	ds_add_u32 v36, v123
	s_or_b32 exec_lo, exec_lo, s8
	s_mov_b32 s8, exec_lo
	v_cmpx_lt_u32_e64 v88, v2
	s_cbranch_execnz .LBB844_73
.LBB844_58:                             ;   in Loop: Header=BB844_24 Depth=2
	s_or_b32 exec_lo, exec_lo, s8
	s_delay_alu instid0(SALU_CYCLE_1)
	s_mov_b32 s8, exec_lo
	v_cmpx_lt_u32_e64 v89, v2
	s_cbranch_execz .LBB844_74
.LBB844_59:                             ;   in Loop: Header=BB844_24 Depth=2
	v_xor_b32_e32 v37, 0x80000000, v13
	v_mov_b32_e32 v36, v12
	s_delay_alu instid0(VALU_DEP_1) | instskip(SKIP_1) | instid1(VALU_DEP_2)
	v_lshrrev_b64 v[36:37], s41, v[36:37]
	v_lshlrev_b32_e32 v37, 2, v80
	v_and_b32_e32 v36, s43, v36
	s_delay_alu instid0(VALU_DEP_1) | instskip(SKIP_2) | instid1(SALU_CYCLE_1)
	v_lshl_or_b32 v36, v36, 4, v37
	ds_add_u32 v36, v123
	s_or_b32 exec_lo, exec_lo, s8
	s_mov_b32 s8, exec_lo
	v_cmpx_lt_u32_e64 v90, v2
	s_cbranch_execnz .LBB844_75
.LBB844_60:                             ;   in Loop: Header=BB844_24 Depth=2
	s_or_b32 exec_lo, exec_lo, s8
	s_delay_alu instid0(SALU_CYCLE_1)
	s_mov_b32 s8, exec_lo
	v_cmpx_lt_u32_e64 v91, v2
	s_cbranch_execz .LBB844_76
.LBB844_61:                             ;   in Loop: Header=BB844_24 Depth=2
	v_xor_b32_e32 v37, 0x80000000, v9
	v_mov_b32_e32 v36, v8
	s_delay_alu instid0(VALU_DEP_1) | instskip(SKIP_1) | instid1(VALU_DEP_2)
	v_lshrrev_b64 v[36:37], s41, v[36:37]
	v_lshlrev_b32_e32 v37, 2, v80
	v_and_b32_e32 v36, s43, v36
	s_delay_alu instid0(VALU_DEP_1) | instskip(SKIP_2) | instid1(SALU_CYCLE_1)
	v_lshl_or_b32 v36, v36, 4, v37
	ds_add_u32 v36, v123
	s_or_b32 exec_lo, exec_lo, s8
	s_mov_b32 s8, exec_lo
	v_cmpx_lt_u32_e64 v92, v2
	s_cbranch_execnz .LBB844_77
.LBB844_62:                             ;   in Loop: Header=BB844_24 Depth=2
	s_or_b32 exec_lo, exec_lo, s8
	s_delay_alu instid0(SALU_CYCLE_1)
	s_mov_b32 s8, exec_lo
	v_cmpx_lt_u32_e64 v93, v2
	s_cbranch_execz .LBB844_78
.LBB844_63:                             ;   in Loop: Header=BB844_24 Depth=2
	v_xor_b32_e32 v37, 0x80000000, v5
	v_mov_b32_e32 v36, v4
	s_delay_alu instid0(VALU_DEP_1) | instskip(SKIP_1) | instid1(VALU_DEP_2)
	v_lshrrev_b64 v[36:37], s41, v[36:37]
	v_lshlrev_b32_e32 v37, 2, v80
	v_and_b32_e32 v36, s43, v36
	s_delay_alu instid0(VALU_DEP_1) | instskip(SKIP_2) | instid1(SALU_CYCLE_1)
	v_lshl_or_b32 v36, v36, 4, v37
	ds_add_u32 v36, v123
	s_or_b32 exec_lo, exec_lo, s8
	s_mov_b32 s8, exec_lo
	v_cmpx_lt_u32_e64 v95, v2
	s_cbranch_execz .LBB844_23
	s_branch .LBB844_79
.LBB844_64:                             ;   in Loop: Header=BB844_24 Depth=2
	s_or_b32 exec_lo, exec_lo, s8
	s_delay_alu instid0(SALU_CYCLE_1)
	s_mov_b32 s8, exec_lo
	v_cmpx_lt_u32_e64 v77, v2
	s_cbranch_execz .LBB844_50
.LBB844_65:                             ;   in Loop: Header=BB844_24 Depth=2
	v_xor_b32_e32 v37, 0x80000000, v31
	v_mov_b32_e32 v36, v30
	s_delay_alu instid0(VALU_DEP_1) | instskip(SKIP_1) | instid1(VALU_DEP_2)
	v_lshrrev_b64 v[36:37], s41, v[36:37]
	v_lshlrev_b32_e32 v37, 2, v80
	v_and_b32_e32 v36, s43, v36
	s_delay_alu instid0(VALU_DEP_1) | instskip(SKIP_2) | instid1(SALU_CYCLE_1)
	v_lshl_or_b32 v36, v36, 4, v37
	ds_add_u32 v36, v123
	s_or_b32 exec_lo, exec_lo, s8
	s_mov_b32 s8, exec_lo
	v_cmpx_lt_u32_e64 v78, v2
	s_cbranch_execnz .LBB844_51
.LBB844_66:                             ;   in Loop: Header=BB844_24 Depth=2
	s_or_b32 exec_lo, exec_lo, s8
	s_delay_alu instid0(SALU_CYCLE_1)
	s_mov_b32 s8, exec_lo
	v_cmpx_lt_u32_e64 v79, v2
	s_cbranch_execz .LBB844_52
.LBB844_67:                             ;   in Loop: Header=BB844_24 Depth=2
	v_xor_b32_e32 v37, 0x80000000, v27
	v_mov_b32_e32 v36, v26
	s_delay_alu instid0(VALU_DEP_1) | instskip(SKIP_1) | instid1(VALU_DEP_2)
	v_lshrrev_b64 v[36:37], s41, v[36:37]
	v_lshlrev_b32_e32 v37, 2, v80
	v_and_b32_e32 v36, s43, v36
	s_delay_alu instid0(VALU_DEP_1) | instskip(SKIP_2) | instid1(SALU_CYCLE_1)
	v_lshl_or_b32 v36, v36, 4, v37
	ds_add_u32 v36, v123
	s_or_b32 exec_lo, exec_lo, s8
	s_mov_b32 s8, exec_lo
	v_cmpx_lt_u32_e64 v83, v2
	s_cbranch_execnz .LBB844_53
.LBB844_68:                             ;   in Loop: Header=BB844_24 Depth=2
	s_or_b32 exec_lo, exec_lo, s8
	s_delay_alu instid0(SALU_CYCLE_1)
	s_mov_b32 s8, exec_lo
	v_cmpx_lt_u32_e64 v84, v2
	s_cbranch_execz .LBB844_54
.LBB844_69:                             ;   in Loop: Header=BB844_24 Depth=2
	v_xor_b32_e32 v37, 0x80000000, v23
	v_mov_b32_e32 v36, v22
	s_delay_alu instid0(VALU_DEP_1) | instskip(SKIP_1) | instid1(VALU_DEP_2)
	v_lshrrev_b64 v[36:37], s41, v[36:37]
	v_lshlrev_b32_e32 v37, 2, v80
	v_and_b32_e32 v36, s43, v36
	s_delay_alu instid0(VALU_DEP_1) | instskip(SKIP_2) | instid1(SALU_CYCLE_1)
	v_lshl_or_b32 v36, v36, 4, v37
	ds_add_u32 v36, v123
	s_or_b32 exec_lo, exec_lo, s8
	s_mov_b32 s8, exec_lo
	v_cmpx_lt_u32_e64 v85, v2
	s_cbranch_execnz .LBB844_55
.LBB844_70:                             ;   in Loop: Header=BB844_24 Depth=2
	s_or_b32 exec_lo, exec_lo, s8
	s_delay_alu instid0(SALU_CYCLE_1)
	s_mov_b32 s8, exec_lo
	v_cmpx_lt_u32_e64 v86, v2
	s_cbranch_execz .LBB844_56
.LBB844_71:                             ;   in Loop: Header=BB844_24 Depth=2
	v_xor_b32_e32 v37, 0x80000000, v19
	v_mov_b32_e32 v36, v18
	s_delay_alu instid0(VALU_DEP_1) | instskip(SKIP_1) | instid1(VALU_DEP_2)
	v_lshrrev_b64 v[36:37], s41, v[36:37]
	v_lshlrev_b32_e32 v37, 2, v80
	v_and_b32_e32 v36, s43, v36
	s_delay_alu instid0(VALU_DEP_1) | instskip(SKIP_2) | instid1(SALU_CYCLE_1)
	v_lshl_or_b32 v36, v36, 4, v37
	ds_add_u32 v36, v123
	s_or_b32 exec_lo, exec_lo, s8
	s_mov_b32 s8, exec_lo
	v_cmpx_lt_u32_e64 v87, v2
	s_cbranch_execnz .LBB844_57
.LBB844_72:                             ;   in Loop: Header=BB844_24 Depth=2
	s_or_b32 exec_lo, exec_lo, s8
	s_delay_alu instid0(SALU_CYCLE_1)
	s_mov_b32 s8, exec_lo
	v_cmpx_lt_u32_e64 v88, v2
	s_cbranch_execz .LBB844_58
.LBB844_73:                             ;   in Loop: Header=BB844_24 Depth=2
	v_xor_b32_e32 v37, 0x80000000, v15
	v_mov_b32_e32 v36, v14
	s_delay_alu instid0(VALU_DEP_1) | instskip(SKIP_1) | instid1(VALU_DEP_2)
	v_lshrrev_b64 v[36:37], s41, v[36:37]
	v_lshlrev_b32_e32 v37, 2, v80
	v_and_b32_e32 v36, s43, v36
	s_delay_alu instid0(VALU_DEP_1) | instskip(SKIP_2) | instid1(SALU_CYCLE_1)
	v_lshl_or_b32 v36, v36, 4, v37
	ds_add_u32 v36, v123
	s_or_b32 exec_lo, exec_lo, s8
	s_mov_b32 s8, exec_lo
	v_cmpx_lt_u32_e64 v89, v2
	s_cbranch_execnz .LBB844_59
.LBB844_74:                             ;   in Loop: Header=BB844_24 Depth=2
	s_or_b32 exec_lo, exec_lo, s8
	s_delay_alu instid0(SALU_CYCLE_1)
	s_mov_b32 s8, exec_lo
	v_cmpx_lt_u32_e64 v90, v2
	s_cbranch_execz .LBB844_60
.LBB844_75:                             ;   in Loop: Header=BB844_24 Depth=2
	v_xor_b32_e32 v37, 0x80000000, v11
	v_mov_b32_e32 v36, v10
	s_delay_alu instid0(VALU_DEP_1) | instskip(SKIP_1) | instid1(VALU_DEP_2)
	v_lshrrev_b64 v[36:37], s41, v[36:37]
	v_lshlrev_b32_e32 v37, 2, v80
	v_and_b32_e32 v36, s43, v36
	s_delay_alu instid0(VALU_DEP_1) | instskip(SKIP_2) | instid1(SALU_CYCLE_1)
	v_lshl_or_b32 v36, v36, 4, v37
	ds_add_u32 v36, v123
	s_or_b32 exec_lo, exec_lo, s8
	s_mov_b32 s8, exec_lo
	v_cmpx_lt_u32_e64 v91, v2
	s_cbranch_execnz .LBB844_61
.LBB844_76:                             ;   in Loop: Header=BB844_24 Depth=2
	s_or_b32 exec_lo, exec_lo, s8
	s_delay_alu instid0(SALU_CYCLE_1)
	s_mov_b32 s8, exec_lo
	v_cmpx_lt_u32_e64 v92, v2
	s_cbranch_execz .LBB844_62
.LBB844_77:                             ;   in Loop: Header=BB844_24 Depth=2
	v_xor_b32_e32 v37, 0x80000000, v7
	v_mov_b32_e32 v36, v6
	s_delay_alu instid0(VALU_DEP_1) | instskip(SKIP_1) | instid1(VALU_DEP_2)
	v_lshrrev_b64 v[36:37], s41, v[36:37]
	v_lshlrev_b32_e32 v37, 2, v80
	v_and_b32_e32 v36, s43, v36
	s_delay_alu instid0(VALU_DEP_1) | instskip(SKIP_2) | instid1(SALU_CYCLE_1)
	v_lshl_or_b32 v36, v36, 4, v37
	ds_add_u32 v36, v123
	s_or_b32 exec_lo, exec_lo, s8
	s_mov_b32 s8, exec_lo
	v_cmpx_lt_u32_e64 v93, v2
	s_cbranch_execnz .LBB844_63
.LBB844_78:                             ;   in Loop: Header=BB844_24 Depth=2
	s_or_b32 exec_lo, exec_lo, s8
	s_delay_alu instid0(SALU_CYCLE_1)
	s_mov_b32 s8, exec_lo
	v_cmpx_lt_u32_e64 v95, v2
	s_cbranch_execz .LBB844_23
.LBB844_79:                             ;   in Loop: Header=BB844_24 Depth=2
	s_waitcnt vmcnt(0)
	v_xor_b32_e32 v37, 0x80000000, v35
	v_mov_b32_e32 v36, v34
	s_delay_alu instid0(VALU_DEP_1) | instskip(NEXT) | instid1(VALU_DEP_1)
	v_lshrrev_b64 v[36:37], s41, v[36:37]
	v_and_b32_e32 v2, s43, v36
	v_lshlrev_b32_e32 v36, 2, v80
	s_delay_alu instid0(VALU_DEP_1)
	v_lshl_or_b32 v2, v2, 4, v36
	ds_add_u32 v2, v123
	s_branch .LBB844_23
.LBB844_80:                             ;   in Loop: Header=BB844_24 Depth=2
	s_or_b32 exec_lo, exec_lo, s11
	s_delay_alu instid0(SALU_CYCLE_1)
	s_mov_b32 s11, exec_lo
	v_cmpx_gt_u32_e64 s1, v77
	s_cbranch_execz .LBB844_30
.LBB844_81:                             ;   in Loop: Header=BB844_24 Depth=2
	global_load_b64 v[30:31], v124, s[8:9] offset:2048
	s_or_b32 exec_lo, exec_lo, s11
	s_delay_alu instid0(SALU_CYCLE_1)
	s_mov_b32 s11, exec_lo
	v_cmpx_gt_u32_e64 s1, v78
	s_cbranch_execnz .LBB844_31
.LBB844_82:                             ;   in Loop: Header=BB844_24 Depth=2
	s_or_b32 exec_lo, exec_lo, s11
	s_delay_alu instid0(SALU_CYCLE_1)
	s_mov_b32 s11, exec_lo
	v_cmpx_gt_u32_e64 s1, v79
	s_cbranch_execz .LBB844_32
.LBB844_83:                             ;   in Loop: Header=BB844_24 Depth=2
	global_load_b64 v[26:27], v126, s[8:9]
	s_or_b32 exec_lo, exec_lo, s11
	s_delay_alu instid0(SALU_CYCLE_1)
	s_mov_b32 s11, exec_lo
	v_cmpx_gt_u32_e64 s1, v83
	s_cbranch_execnz .LBB844_33
.LBB844_84:                             ;   in Loop: Header=BB844_24 Depth=2
	s_or_b32 exec_lo, exec_lo, s11
	s_delay_alu instid0(SALU_CYCLE_1)
	s_mov_b32 s11, exec_lo
	v_cmpx_gt_u32_e64 s1, v84
	s_cbranch_execz .LBB844_34
.LBB844_85:                             ;   in Loop: Header=BB844_24 Depth=2
	global_load_b64 v[22:23], v128, s[8:9]
	s_or_b32 exec_lo, exec_lo, s11
	s_delay_alu instid0(SALU_CYCLE_1)
	s_mov_b32 s11, exec_lo
	v_cmpx_gt_u32_e64 s1, v85
	s_cbranch_execnz .LBB844_35
.LBB844_86:                             ;   in Loop: Header=BB844_24 Depth=2
	s_or_b32 exec_lo, exec_lo, s11
	s_delay_alu instid0(SALU_CYCLE_1)
	s_mov_b32 s11, exec_lo
	v_cmpx_gt_u32_e64 s1, v86
	s_cbranch_execz .LBB844_36
.LBB844_87:                             ;   in Loop: Header=BB844_24 Depth=2
	global_load_b64 v[18:19], v130, s[8:9]
	s_or_b32 exec_lo, exec_lo, s11
	s_delay_alu instid0(SALU_CYCLE_1)
	s_mov_b32 s11, exec_lo
	v_cmpx_gt_u32_e64 s1, v87
	s_cbranch_execnz .LBB844_37
.LBB844_88:                             ;   in Loop: Header=BB844_24 Depth=2
	s_or_b32 exec_lo, exec_lo, s11
	s_delay_alu instid0(SALU_CYCLE_1)
	s_mov_b32 s11, exec_lo
	v_cmpx_gt_u32_e64 s1, v88
	s_cbranch_execz .LBB844_38
.LBB844_89:                             ;   in Loop: Header=BB844_24 Depth=2
	global_load_b64 v[14:15], v132, s[8:9]
	s_or_b32 exec_lo, exec_lo, s11
	s_delay_alu instid0(SALU_CYCLE_1)
	s_mov_b32 s11, exec_lo
	v_cmpx_gt_u32_e64 s1, v89
	s_cbranch_execnz .LBB844_39
.LBB844_90:                             ;   in Loop: Header=BB844_24 Depth=2
	s_or_b32 exec_lo, exec_lo, s11
	s_delay_alu instid0(SALU_CYCLE_1)
	s_mov_b32 s11, exec_lo
	v_cmpx_gt_u32_e64 s1, v90
	s_cbranch_execz .LBB844_40
.LBB844_91:                             ;   in Loop: Header=BB844_24 Depth=2
	global_load_b64 v[10:11], v134, s[8:9]
	s_or_b32 exec_lo, exec_lo, s11
	s_delay_alu instid0(SALU_CYCLE_1)
	s_mov_b32 s11, exec_lo
	v_cmpx_gt_u32_e64 s1, v91
	s_cbranch_execnz .LBB844_41
.LBB844_92:                             ;   in Loop: Header=BB844_24 Depth=2
	s_or_b32 exec_lo, exec_lo, s11
	s_delay_alu instid0(SALU_CYCLE_1)
	s_mov_b32 s11, exec_lo
	v_cmpx_gt_u32_e64 s1, v92
	s_cbranch_execz .LBB844_42
.LBB844_93:                             ;   in Loop: Header=BB844_24 Depth=2
	v_lshlrev_b32_e32 v2, 3, v92
	global_load_b64 v[6:7], v2, s[8:9]
	s_or_b32 exec_lo, exec_lo, s11
	s_delay_alu instid0(SALU_CYCLE_1)
	s_mov_b32 s11, exec_lo
	v_cmpx_gt_u32_e64 s1, v93
	s_cbranch_execz .LBB844_44
	s_branch .LBB844_43
.LBB844_94:                             ;   in Loop: Header=BB844_20 Depth=1
	v_mov_b32_e32 v2, 0
	s_waitcnt vmcnt(0) lgkmcnt(0)
	s_barrier
	buffer_gl0_inv
	s_and_saveexec_b32 s1, s2
	s_cbranch_execz .LBB844_96
; %bb.95:                               ;   in Loop: Header=BB844_20 Depth=1
	ds_load_2addr_b64 v[4:7], v96 offset1:1
	s_waitcnt lgkmcnt(0)
	v_add_nc_u32_e32 v2, v5, v4
	s_delay_alu instid0(VALU_DEP_1)
	v_add3_u32 v2, v2, v6, v7
.LBB844_96:                             ;   in Loop: Header=BB844_20 Depth=1
	s_or_b32 exec_lo, exec_lo, s1
	v_and_b32_e32 v4, 15, v136
	s_delay_alu instid0(VALU_DEP_2) | instskip(SKIP_1) | instid1(VALU_DEP_3)
	v_mov_b32_dpp v5, v2 row_shr:1 row_mask:0xf bank_mask:0xf
	v_and_b32_e32 v6, 16, v136
	v_cmp_eq_u32_e64 s1, 0, v4
	v_cmp_lt_u32_e64 s7, 1, v4
	v_cmp_lt_u32_e64 s8, 3, v4
	;; [unrolled: 1-line block ×3, first 2 shown]
	v_cmp_eq_u32_e64 s10, 0, v6
	v_cndmask_b32_e64 v5, v5, 0, s1
	s_delay_alu instid0(VALU_DEP_1) | instskip(NEXT) | instid1(VALU_DEP_1)
	v_add_nc_u32_e32 v2, v5, v2
	v_mov_b32_dpp v5, v2 row_shr:2 row_mask:0xf bank_mask:0xf
	s_delay_alu instid0(VALU_DEP_1) | instskip(NEXT) | instid1(VALU_DEP_1)
	v_cndmask_b32_e64 v5, 0, v5, s7
	v_add_nc_u32_e32 v2, v2, v5
	s_delay_alu instid0(VALU_DEP_1) | instskip(NEXT) | instid1(VALU_DEP_1)
	v_mov_b32_dpp v5, v2 row_shr:4 row_mask:0xf bank_mask:0xf
	v_cndmask_b32_e64 v5, 0, v5, s8
	s_delay_alu instid0(VALU_DEP_1) | instskip(NEXT) | instid1(VALU_DEP_1)
	v_add_nc_u32_e32 v2, v2, v5
	v_mov_b32_dpp v5, v2 row_shr:8 row_mask:0xf bank_mask:0xf
	s_delay_alu instid0(VALU_DEP_1) | instskip(SKIP_1) | instid1(VALU_DEP_2)
	v_cndmask_b32_e64 v4, 0, v5, s9
	v_bfe_i32 v5, v136, 4, 1
	v_add_nc_u32_e32 v2, v2, v4
	ds_swizzle_b32 v4, v2 offset:swizzle(BROADCAST,32,15)
	s_waitcnt lgkmcnt(0)
	v_and_b32_e32 v4, v5, v4
	s_delay_alu instid0(VALU_DEP_1)
	v_add_nc_u32_e32 v4, v2, v4
	s_and_saveexec_b32 s11, s3
	s_cbranch_execz .LBB844_98
; %bb.97:                               ;   in Loop: Header=BB844_20 Depth=1
	ds_store_b32 v97, v4
.LBB844_98:                             ;   in Loop: Header=BB844_20 Depth=1
	s_or_b32 exec_lo, exec_lo, s11
	v_and_b32_e32 v2, 7, v136
	s_waitcnt lgkmcnt(0)
	s_barrier
	buffer_gl0_inv
	s_and_saveexec_b32 s11, s4
	s_cbranch_execz .LBB844_100
; %bb.99:                               ;   in Loop: Header=BB844_20 Depth=1
	ds_load_b32 v5, v98
	v_cmp_ne_u32_e32 vcc_lo, 0, v2
	s_waitcnt lgkmcnt(0)
	v_mov_b32_dpp v6, v5 row_shr:1 row_mask:0xf bank_mask:0xf
	s_delay_alu instid0(VALU_DEP_1) | instskip(SKIP_1) | instid1(VALU_DEP_2)
	v_cndmask_b32_e32 v6, 0, v6, vcc_lo
	v_cmp_lt_u32_e32 vcc_lo, 1, v2
	v_add_nc_u32_e32 v5, v6, v5
	s_delay_alu instid0(VALU_DEP_1) | instskip(NEXT) | instid1(VALU_DEP_1)
	v_mov_b32_dpp v6, v5 row_shr:2 row_mask:0xf bank_mask:0xf
	v_cndmask_b32_e32 v6, 0, v6, vcc_lo
	v_cmp_lt_u32_e32 vcc_lo, 3, v2
	s_delay_alu instid0(VALU_DEP_2) | instskip(NEXT) | instid1(VALU_DEP_1)
	v_add_nc_u32_e32 v5, v5, v6
	v_mov_b32_dpp v6, v5 row_shr:4 row_mask:0xf bank_mask:0xf
	s_delay_alu instid0(VALU_DEP_1) | instskip(NEXT) | instid1(VALU_DEP_1)
	v_cndmask_b32_e32 v6, 0, v6, vcc_lo
	v_add_nc_u32_e32 v5, v5, v6
	ds_store_b32 v98, v5
.LBB844_100:                            ;   in Loop: Header=BB844_20 Depth=1
	s_or_b32 exec_lo, exec_lo, s11
	v_mov_b32_e32 v5, 0
	s_waitcnt lgkmcnt(0)
	s_barrier
	buffer_gl0_inv
	s_and_saveexec_b32 s11, s5
	s_cbranch_execz .LBB844_102
; %bb.101:                              ;   in Loop: Header=BB844_20 Depth=1
	ds_load_b32 v5, v99
.LBB844_102:                            ;   in Loop: Header=BB844_20 Depth=1
	s_or_b32 exec_lo, exec_lo, s11
	v_add_nc_u32_e32 v6, -1, v136
	s_waitcnt lgkmcnt(0)
	v_add_nc_u32_e32 v4, v5, v4
	v_cmp_eq_u32_e64 s11, 0, v136
	s_barrier
	v_cmp_gt_i32_e32 vcc_lo, 0, v6
	buffer_gl0_inv
	v_cndmask_b32_e32 v6, v6, v136, vcc_lo
	s_delay_alu instid0(VALU_DEP_1)
	v_lshlrev_b32_e32 v137, 2, v6
	ds_bpermute_b32 v4, v137, v4
	s_and_saveexec_b32 s12, s2
	s_cbranch_execz .LBB844_104
; %bb.103:                              ;   in Loop: Header=BB844_20 Depth=1
	s_waitcnt lgkmcnt(0)
	v_cndmask_b32_e64 v4, v4, v5, s11
	s_delay_alu instid0(VALU_DEP_1)
	v_add_nc_u32_e32 v4, s60, v4
	ds_store_b32 v76, v4
.LBB844_104:                            ;   in Loop: Header=BB844_20 Depth=1
	s_or_b32 exec_lo, exec_lo, s12
	s_clause 0x1
	s_load_b32 s12, s[36:37], 0x4
	s_load_b32 s17, s[36:37], 0xc
	v_lshlrev_b32_e32 v6, 3, v136
	v_cmp_lt_u32_e64 s16, 3, v2
	v_or_b32_e32 v138, v136, v100
	s_mov_b32 s50, s62
	s_mov_b32 s34, s60
	v_add_co_u32 v139, vcc_lo, v106, v6
	v_add_co_ci_u32_e32 v140, vcc_lo, 0, v107, vcc_lo
	v_add_co_u32 v156, vcc_lo, v108, v6
	v_add_co_ci_u32_e32 v157, vcc_lo, 0, v109, vcc_lo
	v_or_b32_e32 v141, 32, v138
	s_delay_alu instid0(VALU_DEP_3)
	v_add_co_u32 v159, vcc_lo, 0xf00, v156
	v_or_b32_e32 v142, 64, v138
	v_or_b32_e32 v143, 0x60, v138
	s_waitcnt lgkmcnt(0)
	s_cmp_lt_u32 s15, s12
	v_or_b32_e32 v144, 0x80, v138
	s_cselect_b32 s12, 14, 20
	v_or_b32_e32 v145, 0xa0, v138
	s_add_u32 s12, s36, s12
	s_addc_u32 s13, s37, 0
	s_and_b32 s17, s17, 0xffff
	global_load_u16 v4, v3, s[12:13]
	v_cmp_eq_u32_e64 s12, 0, v2
	v_cmp_lt_u32_e64 s13, 1, v2
	v_or_b32_e32 v146, 0xc0, v138
	v_or_b32_e32 v147, 0xe0, v138
	;; [unrolled: 1-line block ×10, first 2 shown]
	v_add_co_ci_u32_e32 v160, vcc_lo, 0, v157, vcc_lo
                                        ; implicit-def: $vgpr6_vgpr7
                                        ; implicit-def: $vgpr8_vgpr9
                                        ; implicit-def: $vgpr10_vgpr11
                                        ; implicit-def: $vgpr12_vgpr13
                                        ; implicit-def: $vgpr14_vgpr15
                                        ; implicit-def: $vgpr16_vgpr17
                                        ; implicit-def: $vgpr18_vgpr19
                                        ; implicit-def: $vgpr20_vgpr21
                                        ; implicit-def: $vgpr22_vgpr23
                                        ; implicit-def: $vgpr24_vgpr25
                                        ; implicit-def: $vgpr26_vgpr27
                                        ; implicit-def: $vgpr28_vgpr29
                                        ; implicit-def: $vgpr30_vgpr31
                                        ; implicit-def: $vgpr32_vgpr33
                                        ; implicit-def: $vgpr34_vgpr35
                                        ; implicit-def: $vgpr161
                                        ; implicit-def: $vgpr162
                                        ; implicit-def: $vgpr163
                                        ; implicit-def: $vgpr164
                                        ; implicit-def: $vgpr165
                                        ; implicit-def: $vgpr166
                                        ; implicit-def: $vgpr167
                                        ; implicit-def: $vgpr168
                                        ; implicit-def: $vgpr169
                                        ; implicit-def: $vgpr170
                                        ; implicit-def: $vgpr171
                                        ; implicit-def: $vgpr172
                                        ; implicit-def: $vgpr173
                                        ; implicit-def: $vgpr174
                                        ; implicit-def: $vgpr175
                                        ; implicit-def: $vgpr176
	s_waitcnt vmcnt(0)
	v_mad_u32_u24 v2, v101, v4, v0
	s_delay_alu instid0(VALU_DEP_1) | instskip(NEXT) | instid1(VALU_DEP_1)
	v_mad_u64_u32 v[4:5], null, v2, s17, v[1:2]
	v_lshrrev_b32_e32 v158, 5, v4
                                        ; implicit-def: $vgpr4_vgpr5
	s_branch .LBB844_106
.LBB844_105:                            ;   in Loop: Header=BB844_106 Depth=2
	s_or_b32 exec_lo, exec_lo, s17
	s_addk_i32 s50, 0xf000
	s_cmp_lt_u32 s51, s61
	s_mov_b32 s34, s51
	s_cbranch_scc0 .LBB844_314
.LBB844_106:                            ;   Parent Loop BB844_20 Depth=1
                                        ; =>  This Inner Loop Header: Depth=2
	s_add_i32 s51, s34, 0x1000
	s_delay_alu instid0(SALU_CYCLE_1)
	s_cmp_gt_u32 s51, s61
	s_cbranch_scc1 .LBB844_108
; %bb.107:                              ;   in Loop: Header=BB844_106 Depth=2
	s_mov_b32 s19, 0
	s_mov_b32 s18, s34
	s_movk_i32 s17, 0x1000
	s_lshl_b64 s[20:21], s[18:19], 3
	s_delay_alu instid0(SALU_CYCLE_1)
	v_add_co_u32 v64, vcc_lo, v156, s20
	v_add_co_ci_u32_e32 v65, vcc_lo, s21, v157, vcc_lo
	s_mov_b32 s20, -1
	s_clause 0xe
	global_load_b64 v[36:37], v[64:65], off
	global_load_b64 v[38:39], v[64:65], off offset:256
	global_load_b64 v[40:41], v[64:65], off offset:512
	;; [unrolled: 1-line block ×14, first 2 shown]
	s_cbranch_execz .LBB844_109
	s_branch .LBB844_140
.LBB844_108:                            ;   in Loop: Header=BB844_106 Depth=2
	s_mov_b32 s19, -1
	s_mov_b32 s20, 0
                                        ; implicit-def: $sgpr17
                                        ; implicit-def: $vgpr36_vgpr37
                                        ; implicit-def: $vgpr38_vgpr39
                                        ; implicit-def: $vgpr40_vgpr41
                                        ; implicit-def: $vgpr42_vgpr43
                                        ; implicit-def: $vgpr44_vgpr45
                                        ; implicit-def: $vgpr46_vgpr47
                                        ; implicit-def: $vgpr48_vgpr49
                                        ; implicit-def: $vgpr50_vgpr51
                                        ; implicit-def: $vgpr52_vgpr53
                                        ; implicit-def: $vgpr54_vgpr55
                                        ; implicit-def: $vgpr56_vgpr57
                                        ; implicit-def: $vgpr58_vgpr59
                                        ; implicit-def: $vgpr60_vgpr61
                                        ; implicit-def: $vgpr62_vgpr63
                                        ; implicit-def: $vgpr64_vgpr65
.LBB844_109:                            ;   in Loop: Header=BB844_106 Depth=2
	s_lshl_b64 s[18:19], s[34:35], 3
	s_waitcnt vmcnt(14)
	v_dual_mov_b32 v36, s38 :: v_dual_mov_b32 v37, s39
	v_add_co_u32 v66, vcc_lo, v156, s18
	v_add_co_ci_u32_e32 v67, vcc_lo, s19, v157, vcc_lo
	s_mov_b32 s17, exec_lo
	v_cmpx_gt_u32_e64 s50, v138
	s_cbranch_execz .LBB844_111
; %bb.110:                              ;   in Loop: Header=BB844_106 Depth=2
	global_load_b64 v[36:37], v[66:67], off
.LBB844_111:                            ;   in Loop: Header=BB844_106 Depth=2
	s_or_b32 exec_lo, exec_lo, s17
	s_waitcnt vmcnt(13)
	v_dual_mov_b32 v38, s38 :: v_dual_mov_b32 v39, s39
	s_mov_b32 s17, exec_lo
	v_cmpx_gt_u32_e64 s50, v141
	s_cbranch_execz .LBB844_113
; %bb.112:                              ;   in Loop: Header=BB844_106 Depth=2
	global_load_b64 v[38:39], v[66:67], off offset:256
.LBB844_113:                            ;   in Loop: Header=BB844_106 Depth=2
	s_or_b32 exec_lo, exec_lo, s17
	s_waitcnt vmcnt(12)
	v_dual_mov_b32 v41, s39 :: v_dual_mov_b32 v40, s38
	s_mov_b32 s17, exec_lo
	v_cmpx_gt_u32_e64 s50, v142
	s_cbranch_execz .LBB844_115
; %bb.114:                              ;   in Loop: Header=BB844_106 Depth=2
	global_load_b64 v[40:41], v[66:67], off offset:512
.LBB844_115:                            ;   in Loop: Header=BB844_106 Depth=2
	;; [unrolled: 9-line block ×14, first 2 shown]
	s_or_b32 exec_lo, exec_lo, s17
	v_cmp_gt_u32_e64 s20, s50, v155
	s_sub_i32 s17, s61, s34
	s_mov_b64 s[18:19], s[34:35]
.LBB844_140:                            ;   in Loop: Header=BB844_106 Depth=2
	v_dual_mov_b32 v67, s39 :: v_dual_mov_b32 v66, s38
	v_mov_b32_e32 v177, s50
	s_and_saveexec_b32 s21, s20
	s_cbranch_execz .LBB844_142
; %bb.141:                              ;   in Loop: Header=BB844_106 Depth=2
	s_lshl_b64 s[18:19], s[18:19], 3
	v_mov_b32_e32 v177, s17
	v_add_co_u32 v66, vcc_lo, v159, s18
	v_add_co_ci_u32_e32 v67, vcc_lo, s19, v160, vcc_lo
	global_load_b64 v[66:67], v[66:67], off
.LBB844_142:                            ;   in Loop: Header=BB844_106 Depth=2
	s_or_b32 exec_lo, exec_lo, s21
	s_waitcnt vmcnt(14)
	v_xor_b32_e32 v37, 0x80000000, v37
	ds_store_b32 v102, v3 offset:1056
	ds_store_2addr_b32 v103, v3, v3 offset0:1 offset1:2
	ds_store_2addr_b32 v103, v3, v3 offset0:3 offset1:4
	;; [unrolled: 1-line block ×4, first 2 shown]
	s_waitcnt vmcnt(0) lgkmcnt(0)
	s_barrier
	v_lshrrev_b64 v[68:69], s41, v[36:37]
	buffer_gl0_inv
	; wave barrier
	v_and_b32_e32 v69, s43, v68
	s_delay_alu instid0(VALU_DEP_1)
	v_and_b32_e32 v2, 1, v69
	v_lshlrev_b32_e32 v68, 30, v69
	v_lshlrev_b32_e32 v70, 29, v69
	;; [unrolled: 1-line block ×4, first 2 shown]
	v_add_co_u32 v2, s17, v2, -1
	s_delay_alu instid0(VALU_DEP_1)
	v_cndmask_b32_e64 v72, 0, 1, s17
	v_not_b32_e32 v178, v68
	v_cmp_gt_i32_e64 s17, 0, v68
	v_not_b32_e32 v68, v70
	v_lshlrev_b32_e32 v74, 26, v69
	v_cmp_ne_u32_e32 vcc_lo, 0, v72
	v_ashrrev_i32_e32 v178, 31, v178
	v_lshlrev_b32_e32 v75, 25, v69
	v_ashrrev_i32_e32 v68, 31, v68
	v_lshlrev_b32_e32 v72, 24, v69
	v_xor_b32_e32 v2, vcc_lo, v2
	v_cmp_gt_i32_e32 vcc_lo, 0, v70
	v_not_b32_e32 v70, v71
	v_xor_b32_e32 v178, s17, v178
	v_cmp_gt_i32_e64 s17, 0, v71
	v_and_b32_e32 v2, exec_lo, v2
	v_not_b32_e32 v71, v73
	v_ashrrev_i32_e32 v70, 31, v70
	v_xor_b32_e32 v68, vcc_lo, v68
	v_cmp_gt_i32_e32 vcc_lo, 0, v73
	v_and_b32_e32 v2, v2, v178
	v_not_b32_e32 v73, v74
	v_ashrrev_i32_e32 v71, 31, v71
	v_xor_b32_e32 v70, s17, v70
	v_cmp_gt_i32_e64 s17, 0, v74
	v_and_b32_e32 v2, v2, v68
	v_not_b32_e32 v68, v75
	v_ashrrev_i32_e32 v73, 31, v73
	v_xor_b32_e32 v71, vcc_lo, v71
	v_cmp_gt_i32_e32 vcc_lo, 0, v75
	v_and_b32_e32 v2, v2, v70
	v_not_b32_e32 v70, v72
	v_ashrrev_i32_e32 v68, 31, v68
	v_xor_b32_e32 v73, s17, v73
	v_cmp_gt_i32_e64 s17, 0, v72
	v_and_b32_e32 v2, v2, v71
	v_ashrrev_i32_e32 v70, 31, v70
	v_xor_b32_e32 v68, vcc_lo, v68
	v_mad_u32_u24 v69, v69, 9, v158
	s_delay_alu instid0(VALU_DEP_4) | instskip(NEXT) | instid1(VALU_DEP_4)
	v_and_b32_e32 v2, v2, v73
	v_xor_b32_e32 v70, s17, v70
	s_delay_alu instid0(VALU_DEP_3) | instskip(NEXT) | instid1(VALU_DEP_3)
	v_lshl_add_u32 v178, v69, 2, 0x420
	v_and_b32_e32 v2, v2, v68
	s_delay_alu instid0(VALU_DEP_1) | instskip(NEXT) | instid1(VALU_DEP_1)
	v_and_b32_e32 v68, v2, v70
	v_mbcnt_lo_u32_b32 v2, v68, 0
	v_cmp_ne_u32_e64 s17, 0, v68
	s_delay_alu instid0(VALU_DEP_2) | instskip(NEXT) | instid1(VALU_DEP_2)
	v_cmp_eq_u32_e32 vcc_lo, 0, v2
	s_and_b32 s18, s17, vcc_lo
	s_delay_alu instid0(SALU_CYCLE_1)
	s_and_saveexec_b32 s17, s18
	s_cbranch_execz .LBB844_144
; %bb.143:                              ;   in Loop: Header=BB844_106 Depth=2
	v_bcnt_u32_b32 v68, v68, 0
	ds_store_b32 v178, v68
.LBB844_144:                            ;   in Loop: Header=BB844_106 Depth=2
	s_or_b32 exec_lo, exec_lo, s17
	v_xor_b32_e32 v39, 0x80000000, v39
	; wave barrier
	s_delay_alu instid0(VALU_DEP_1) | instskip(NEXT) | instid1(VALU_DEP_1)
	v_lshrrev_b64 v[68:69], s41, v[38:39]
	v_and_b32_e32 v68, s43, v68
	s_delay_alu instid0(VALU_DEP_1)
	v_and_b32_e32 v69, 1, v68
	v_lshlrev_b32_e32 v70, 30, v68
	v_lshlrev_b32_e32 v71, 29, v68
	;; [unrolled: 1-line block ×4, first 2 shown]
	v_add_co_u32 v69, s17, v69, -1
	s_delay_alu instid0(VALU_DEP_1)
	v_cndmask_b32_e64 v73, 0, 1, s17
	v_not_b32_e32 v180, v70
	v_cmp_gt_i32_e64 s17, 0, v70
	v_not_b32_e32 v70, v71
	v_lshlrev_b32_e32 v75, 26, v68
	v_cmp_ne_u32_e32 vcc_lo, 0, v73
	v_ashrrev_i32_e32 v180, 31, v180
	v_lshlrev_b32_e32 v179, 25, v68
	v_ashrrev_i32_e32 v70, 31, v70
	v_lshlrev_b32_e32 v73, 24, v68
	v_xor_b32_e32 v69, vcc_lo, v69
	v_cmp_gt_i32_e32 vcc_lo, 0, v71
	v_not_b32_e32 v71, v72
	v_xor_b32_e32 v180, s17, v180
	v_cmp_gt_i32_e64 s17, 0, v72
	v_and_b32_e32 v69, exec_lo, v69
	v_not_b32_e32 v72, v74
	v_ashrrev_i32_e32 v71, 31, v71
	v_xor_b32_e32 v70, vcc_lo, v70
	v_cmp_gt_i32_e32 vcc_lo, 0, v74
	v_and_b32_e32 v69, v69, v180
	v_not_b32_e32 v74, v75
	v_ashrrev_i32_e32 v72, 31, v72
	v_xor_b32_e32 v71, s17, v71
	v_cmp_gt_i32_e64 s17, 0, v75
	v_and_b32_e32 v69, v69, v70
	v_not_b32_e32 v70, v179
	v_ashrrev_i32_e32 v74, 31, v74
	v_xor_b32_e32 v72, vcc_lo, v72
	v_cmp_gt_i32_e32 vcc_lo, 0, v179
	v_and_b32_e32 v69, v69, v71
	v_not_b32_e32 v71, v73
	v_ashrrev_i32_e32 v70, 31, v70
	v_xor_b32_e32 v74, s17, v74
	v_mul_u32_u24_e32 v68, 9, v68
	v_and_b32_e32 v69, v69, v72
	v_cmp_gt_i32_e64 s17, 0, v73
	v_ashrrev_i32_e32 v71, 31, v71
	v_xor_b32_e32 v70, vcc_lo, v70
	v_add_lshl_u32 v72, v68, v158, 2
	v_and_b32_e32 v69, v69, v74
	s_delay_alu instid0(VALU_DEP_4) | instskip(SKIP_3) | instid1(VALU_DEP_2)
	v_xor_b32_e32 v68, s17, v71
	ds_load_b32 v179, v72 offset:1056
	v_and_b32_e32 v69, v69, v70
	v_add_nc_u32_e32 v181, 0x420, v72
	; wave barrier
	v_and_b32_e32 v68, v69, v68
	s_delay_alu instid0(VALU_DEP_1) | instskip(SKIP_1) | instid1(VALU_DEP_2)
	v_mbcnt_lo_u32_b32 v180, v68, 0
	v_cmp_ne_u32_e64 s17, 0, v68
	v_cmp_eq_u32_e32 vcc_lo, 0, v180
	s_delay_alu instid0(VALU_DEP_2) | instskip(NEXT) | instid1(SALU_CYCLE_1)
	s_and_b32 s18, s17, vcc_lo
	s_and_saveexec_b32 s17, s18
	s_cbranch_execz .LBB844_146
; %bb.145:                              ;   in Loop: Header=BB844_106 Depth=2
	s_waitcnt lgkmcnt(0)
	v_bcnt_u32_b32 v68, v68, v179
	ds_store_b32 v181, v68
.LBB844_146:                            ;   in Loop: Header=BB844_106 Depth=2
	s_or_b32 exec_lo, exec_lo, s17
	v_xor_b32_e32 v41, 0x80000000, v41
	; wave barrier
	s_delay_alu instid0(VALU_DEP_1) | instskip(NEXT) | instid1(VALU_DEP_1)
	v_lshrrev_b64 v[68:69], s41, v[40:41]
	v_and_b32_e32 v68, s43, v68
	s_delay_alu instid0(VALU_DEP_1)
	v_and_b32_e32 v69, 1, v68
	v_lshlrev_b32_e32 v70, 30, v68
	v_lshlrev_b32_e32 v71, 29, v68
	v_lshlrev_b32_e32 v72, 28, v68
	v_lshlrev_b32_e32 v74, 27, v68
	v_add_co_u32 v69, s17, v69, -1
	s_delay_alu instid0(VALU_DEP_1)
	v_cndmask_b32_e64 v73, 0, 1, s17
	v_not_b32_e32 v183, v70
	v_cmp_gt_i32_e64 s17, 0, v70
	v_not_b32_e32 v70, v71
	v_lshlrev_b32_e32 v75, 26, v68
	v_cmp_ne_u32_e32 vcc_lo, 0, v73
	v_ashrrev_i32_e32 v183, 31, v183
	v_lshlrev_b32_e32 v182, 25, v68
	v_ashrrev_i32_e32 v70, 31, v70
	v_lshlrev_b32_e32 v73, 24, v68
	v_xor_b32_e32 v69, vcc_lo, v69
	v_cmp_gt_i32_e32 vcc_lo, 0, v71
	v_not_b32_e32 v71, v72
	v_xor_b32_e32 v183, s17, v183
	v_cmp_gt_i32_e64 s17, 0, v72
	v_and_b32_e32 v69, exec_lo, v69
	v_not_b32_e32 v72, v74
	v_ashrrev_i32_e32 v71, 31, v71
	v_xor_b32_e32 v70, vcc_lo, v70
	v_cmp_gt_i32_e32 vcc_lo, 0, v74
	v_and_b32_e32 v69, v69, v183
	v_not_b32_e32 v74, v75
	v_ashrrev_i32_e32 v72, 31, v72
	v_xor_b32_e32 v71, s17, v71
	v_cmp_gt_i32_e64 s17, 0, v75
	v_and_b32_e32 v69, v69, v70
	v_not_b32_e32 v70, v182
	v_ashrrev_i32_e32 v74, 31, v74
	v_xor_b32_e32 v72, vcc_lo, v72
	v_cmp_gt_i32_e32 vcc_lo, 0, v182
	v_and_b32_e32 v69, v69, v71
	v_not_b32_e32 v71, v73
	v_ashrrev_i32_e32 v70, 31, v70
	v_xor_b32_e32 v74, s17, v74
	v_mul_u32_u24_e32 v68, 9, v68
	v_and_b32_e32 v69, v69, v72
	v_cmp_gt_i32_e64 s17, 0, v73
	v_ashrrev_i32_e32 v71, 31, v71
	v_xor_b32_e32 v70, vcc_lo, v70
	v_add_lshl_u32 v72, v68, v158, 2
	v_and_b32_e32 v69, v69, v74
	s_delay_alu instid0(VALU_DEP_4) | instskip(SKIP_3) | instid1(VALU_DEP_2)
	v_xor_b32_e32 v68, s17, v71
	ds_load_b32 v182, v72 offset:1056
	v_and_b32_e32 v69, v69, v70
	v_add_nc_u32_e32 v184, 0x420, v72
	; wave barrier
	v_and_b32_e32 v68, v69, v68
	s_delay_alu instid0(VALU_DEP_1) | instskip(SKIP_1) | instid1(VALU_DEP_2)
	v_mbcnt_lo_u32_b32 v183, v68, 0
	v_cmp_ne_u32_e64 s17, 0, v68
	v_cmp_eq_u32_e32 vcc_lo, 0, v183
	s_delay_alu instid0(VALU_DEP_2) | instskip(NEXT) | instid1(SALU_CYCLE_1)
	s_and_b32 s18, s17, vcc_lo
	s_and_saveexec_b32 s17, s18
	s_cbranch_execz .LBB844_148
; %bb.147:                              ;   in Loop: Header=BB844_106 Depth=2
	s_waitcnt lgkmcnt(0)
	v_bcnt_u32_b32 v68, v68, v182
	ds_store_b32 v184, v68
.LBB844_148:                            ;   in Loop: Header=BB844_106 Depth=2
	s_or_b32 exec_lo, exec_lo, s17
	v_xor_b32_e32 v43, 0x80000000, v43
	; wave barrier
	s_delay_alu instid0(VALU_DEP_1) | instskip(NEXT) | instid1(VALU_DEP_1)
	v_lshrrev_b64 v[68:69], s41, v[42:43]
	v_and_b32_e32 v68, s43, v68
	s_delay_alu instid0(VALU_DEP_1)
	v_and_b32_e32 v69, 1, v68
	v_lshlrev_b32_e32 v70, 30, v68
	v_lshlrev_b32_e32 v71, 29, v68
	;; [unrolled: 1-line block ×4, first 2 shown]
	v_add_co_u32 v69, s17, v69, -1
	s_delay_alu instid0(VALU_DEP_1)
	v_cndmask_b32_e64 v73, 0, 1, s17
	v_not_b32_e32 v186, v70
	v_cmp_gt_i32_e64 s17, 0, v70
	v_not_b32_e32 v70, v71
	v_lshlrev_b32_e32 v75, 26, v68
	v_cmp_ne_u32_e32 vcc_lo, 0, v73
	v_ashrrev_i32_e32 v186, 31, v186
	v_lshlrev_b32_e32 v185, 25, v68
	v_ashrrev_i32_e32 v70, 31, v70
	v_lshlrev_b32_e32 v73, 24, v68
	v_xor_b32_e32 v69, vcc_lo, v69
	v_cmp_gt_i32_e32 vcc_lo, 0, v71
	v_not_b32_e32 v71, v72
	v_xor_b32_e32 v186, s17, v186
	v_cmp_gt_i32_e64 s17, 0, v72
	v_and_b32_e32 v69, exec_lo, v69
	v_not_b32_e32 v72, v74
	v_ashrrev_i32_e32 v71, 31, v71
	v_xor_b32_e32 v70, vcc_lo, v70
	v_cmp_gt_i32_e32 vcc_lo, 0, v74
	v_and_b32_e32 v69, v69, v186
	v_not_b32_e32 v74, v75
	v_ashrrev_i32_e32 v72, 31, v72
	v_xor_b32_e32 v71, s17, v71
	v_cmp_gt_i32_e64 s17, 0, v75
	v_and_b32_e32 v69, v69, v70
	v_not_b32_e32 v70, v185
	v_ashrrev_i32_e32 v74, 31, v74
	v_xor_b32_e32 v72, vcc_lo, v72
	v_cmp_gt_i32_e32 vcc_lo, 0, v185
	v_and_b32_e32 v69, v69, v71
	v_not_b32_e32 v71, v73
	v_ashrrev_i32_e32 v70, 31, v70
	v_xor_b32_e32 v74, s17, v74
	v_mul_u32_u24_e32 v68, 9, v68
	v_and_b32_e32 v69, v69, v72
	v_cmp_gt_i32_e64 s17, 0, v73
	v_ashrrev_i32_e32 v71, 31, v71
	v_xor_b32_e32 v70, vcc_lo, v70
	v_add_lshl_u32 v72, v68, v158, 2
	v_and_b32_e32 v69, v69, v74
	s_delay_alu instid0(VALU_DEP_4) | instskip(SKIP_3) | instid1(VALU_DEP_2)
	v_xor_b32_e32 v68, s17, v71
	ds_load_b32 v185, v72 offset:1056
	v_and_b32_e32 v69, v69, v70
	v_add_nc_u32_e32 v187, 0x420, v72
	; wave barrier
	v_and_b32_e32 v68, v69, v68
	s_delay_alu instid0(VALU_DEP_1) | instskip(SKIP_1) | instid1(VALU_DEP_2)
	v_mbcnt_lo_u32_b32 v186, v68, 0
	v_cmp_ne_u32_e64 s17, 0, v68
	v_cmp_eq_u32_e32 vcc_lo, 0, v186
	s_delay_alu instid0(VALU_DEP_2) | instskip(NEXT) | instid1(SALU_CYCLE_1)
	s_and_b32 s18, s17, vcc_lo
	s_and_saveexec_b32 s17, s18
	s_cbranch_execz .LBB844_150
; %bb.149:                              ;   in Loop: Header=BB844_106 Depth=2
	s_waitcnt lgkmcnt(0)
	v_bcnt_u32_b32 v68, v68, v185
	ds_store_b32 v187, v68
.LBB844_150:                            ;   in Loop: Header=BB844_106 Depth=2
	s_or_b32 exec_lo, exec_lo, s17
	v_xor_b32_e32 v45, 0x80000000, v45
	; wave barrier
	s_delay_alu instid0(VALU_DEP_1) | instskip(NEXT) | instid1(VALU_DEP_1)
	v_lshrrev_b64 v[68:69], s41, v[44:45]
	v_and_b32_e32 v68, s43, v68
	s_delay_alu instid0(VALU_DEP_1)
	v_and_b32_e32 v69, 1, v68
	v_lshlrev_b32_e32 v70, 30, v68
	v_lshlrev_b32_e32 v71, 29, v68
	;; [unrolled: 1-line block ×4, first 2 shown]
	v_add_co_u32 v69, s17, v69, -1
	s_delay_alu instid0(VALU_DEP_1)
	v_cndmask_b32_e64 v73, 0, 1, s17
	v_not_b32_e32 v189, v70
	v_cmp_gt_i32_e64 s17, 0, v70
	v_not_b32_e32 v70, v71
	v_lshlrev_b32_e32 v75, 26, v68
	v_cmp_ne_u32_e32 vcc_lo, 0, v73
	v_ashrrev_i32_e32 v189, 31, v189
	v_lshlrev_b32_e32 v188, 25, v68
	v_ashrrev_i32_e32 v70, 31, v70
	v_lshlrev_b32_e32 v73, 24, v68
	v_xor_b32_e32 v69, vcc_lo, v69
	v_cmp_gt_i32_e32 vcc_lo, 0, v71
	v_not_b32_e32 v71, v72
	v_xor_b32_e32 v189, s17, v189
	v_cmp_gt_i32_e64 s17, 0, v72
	v_and_b32_e32 v69, exec_lo, v69
	v_not_b32_e32 v72, v74
	v_ashrrev_i32_e32 v71, 31, v71
	v_xor_b32_e32 v70, vcc_lo, v70
	v_cmp_gt_i32_e32 vcc_lo, 0, v74
	v_and_b32_e32 v69, v69, v189
	v_not_b32_e32 v74, v75
	v_ashrrev_i32_e32 v72, 31, v72
	v_xor_b32_e32 v71, s17, v71
	v_cmp_gt_i32_e64 s17, 0, v75
	v_and_b32_e32 v69, v69, v70
	v_not_b32_e32 v70, v188
	v_ashrrev_i32_e32 v74, 31, v74
	v_xor_b32_e32 v72, vcc_lo, v72
	v_cmp_gt_i32_e32 vcc_lo, 0, v188
	v_and_b32_e32 v69, v69, v71
	v_not_b32_e32 v71, v73
	v_ashrrev_i32_e32 v70, 31, v70
	v_xor_b32_e32 v74, s17, v74
	v_mul_u32_u24_e32 v68, 9, v68
	v_and_b32_e32 v69, v69, v72
	v_cmp_gt_i32_e64 s17, 0, v73
	v_ashrrev_i32_e32 v71, 31, v71
	v_xor_b32_e32 v70, vcc_lo, v70
	v_add_lshl_u32 v72, v68, v158, 2
	v_and_b32_e32 v69, v69, v74
	s_delay_alu instid0(VALU_DEP_4) | instskip(SKIP_3) | instid1(VALU_DEP_2)
	v_xor_b32_e32 v68, s17, v71
	ds_load_b32 v188, v72 offset:1056
	v_and_b32_e32 v69, v69, v70
	v_add_nc_u32_e32 v190, 0x420, v72
	; wave barrier
	v_and_b32_e32 v68, v69, v68
	s_delay_alu instid0(VALU_DEP_1) | instskip(SKIP_1) | instid1(VALU_DEP_2)
	v_mbcnt_lo_u32_b32 v189, v68, 0
	v_cmp_ne_u32_e64 s17, 0, v68
	v_cmp_eq_u32_e32 vcc_lo, 0, v189
	s_delay_alu instid0(VALU_DEP_2) | instskip(NEXT) | instid1(SALU_CYCLE_1)
	s_and_b32 s18, s17, vcc_lo
	s_and_saveexec_b32 s17, s18
	s_cbranch_execz .LBB844_152
; %bb.151:                              ;   in Loop: Header=BB844_106 Depth=2
	s_waitcnt lgkmcnt(0)
	v_bcnt_u32_b32 v68, v68, v188
	ds_store_b32 v190, v68
.LBB844_152:                            ;   in Loop: Header=BB844_106 Depth=2
	s_or_b32 exec_lo, exec_lo, s17
	v_xor_b32_e32 v47, 0x80000000, v47
	; wave barrier
	s_delay_alu instid0(VALU_DEP_1) | instskip(NEXT) | instid1(VALU_DEP_1)
	v_lshrrev_b64 v[68:69], s41, v[46:47]
	v_and_b32_e32 v68, s43, v68
	s_delay_alu instid0(VALU_DEP_1)
	v_and_b32_e32 v69, 1, v68
	v_lshlrev_b32_e32 v70, 30, v68
	v_lshlrev_b32_e32 v71, 29, v68
	;; [unrolled: 1-line block ×4, first 2 shown]
	v_add_co_u32 v69, s17, v69, -1
	s_delay_alu instid0(VALU_DEP_1)
	v_cndmask_b32_e64 v73, 0, 1, s17
	v_not_b32_e32 v192, v70
	v_cmp_gt_i32_e64 s17, 0, v70
	v_not_b32_e32 v70, v71
	v_lshlrev_b32_e32 v75, 26, v68
	v_cmp_ne_u32_e32 vcc_lo, 0, v73
	v_ashrrev_i32_e32 v192, 31, v192
	v_lshlrev_b32_e32 v191, 25, v68
	v_ashrrev_i32_e32 v70, 31, v70
	v_lshlrev_b32_e32 v73, 24, v68
	v_xor_b32_e32 v69, vcc_lo, v69
	v_cmp_gt_i32_e32 vcc_lo, 0, v71
	v_not_b32_e32 v71, v72
	v_xor_b32_e32 v192, s17, v192
	v_cmp_gt_i32_e64 s17, 0, v72
	v_and_b32_e32 v69, exec_lo, v69
	v_not_b32_e32 v72, v74
	v_ashrrev_i32_e32 v71, 31, v71
	v_xor_b32_e32 v70, vcc_lo, v70
	v_cmp_gt_i32_e32 vcc_lo, 0, v74
	v_and_b32_e32 v69, v69, v192
	v_not_b32_e32 v74, v75
	v_ashrrev_i32_e32 v72, 31, v72
	v_xor_b32_e32 v71, s17, v71
	v_cmp_gt_i32_e64 s17, 0, v75
	v_and_b32_e32 v69, v69, v70
	v_not_b32_e32 v70, v191
	v_ashrrev_i32_e32 v74, 31, v74
	v_xor_b32_e32 v72, vcc_lo, v72
	v_cmp_gt_i32_e32 vcc_lo, 0, v191
	v_and_b32_e32 v69, v69, v71
	v_not_b32_e32 v71, v73
	v_ashrrev_i32_e32 v70, 31, v70
	v_xor_b32_e32 v74, s17, v74
	v_mul_u32_u24_e32 v68, 9, v68
	v_and_b32_e32 v69, v69, v72
	v_cmp_gt_i32_e64 s17, 0, v73
	v_ashrrev_i32_e32 v71, 31, v71
	v_xor_b32_e32 v70, vcc_lo, v70
	v_add_lshl_u32 v72, v68, v158, 2
	v_and_b32_e32 v69, v69, v74
	s_delay_alu instid0(VALU_DEP_4) | instskip(SKIP_3) | instid1(VALU_DEP_2)
	v_xor_b32_e32 v68, s17, v71
	ds_load_b32 v191, v72 offset:1056
	v_and_b32_e32 v69, v69, v70
	v_add_nc_u32_e32 v193, 0x420, v72
	; wave barrier
	v_and_b32_e32 v68, v69, v68
	s_delay_alu instid0(VALU_DEP_1) | instskip(SKIP_1) | instid1(VALU_DEP_2)
	v_mbcnt_lo_u32_b32 v192, v68, 0
	v_cmp_ne_u32_e64 s17, 0, v68
	v_cmp_eq_u32_e32 vcc_lo, 0, v192
	s_delay_alu instid0(VALU_DEP_2) | instskip(NEXT) | instid1(SALU_CYCLE_1)
	s_and_b32 s18, s17, vcc_lo
	s_and_saveexec_b32 s17, s18
	s_cbranch_execz .LBB844_154
; %bb.153:                              ;   in Loop: Header=BB844_106 Depth=2
	s_waitcnt lgkmcnt(0)
	v_bcnt_u32_b32 v68, v68, v191
	ds_store_b32 v193, v68
.LBB844_154:                            ;   in Loop: Header=BB844_106 Depth=2
	s_or_b32 exec_lo, exec_lo, s17
	v_xor_b32_e32 v49, 0x80000000, v49
	; wave barrier
	s_delay_alu instid0(VALU_DEP_1) | instskip(NEXT) | instid1(VALU_DEP_1)
	v_lshrrev_b64 v[68:69], s41, v[48:49]
	v_and_b32_e32 v68, s43, v68
	s_delay_alu instid0(VALU_DEP_1)
	v_and_b32_e32 v69, 1, v68
	v_lshlrev_b32_e32 v70, 30, v68
	v_lshlrev_b32_e32 v71, 29, v68
	;; [unrolled: 1-line block ×4, first 2 shown]
	v_add_co_u32 v69, s17, v69, -1
	s_delay_alu instid0(VALU_DEP_1)
	v_cndmask_b32_e64 v73, 0, 1, s17
	v_not_b32_e32 v195, v70
	v_cmp_gt_i32_e64 s17, 0, v70
	v_not_b32_e32 v70, v71
	v_lshlrev_b32_e32 v75, 26, v68
	v_cmp_ne_u32_e32 vcc_lo, 0, v73
	v_ashrrev_i32_e32 v195, 31, v195
	v_lshlrev_b32_e32 v194, 25, v68
	v_ashrrev_i32_e32 v70, 31, v70
	v_lshlrev_b32_e32 v73, 24, v68
	v_xor_b32_e32 v69, vcc_lo, v69
	v_cmp_gt_i32_e32 vcc_lo, 0, v71
	v_not_b32_e32 v71, v72
	v_xor_b32_e32 v195, s17, v195
	v_cmp_gt_i32_e64 s17, 0, v72
	v_and_b32_e32 v69, exec_lo, v69
	v_not_b32_e32 v72, v74
	v_ashrrev_i32_e32 v71, 31, v71
	v_xor_b32_e32 v70, vcc_lo, v70
	v_cmp_gt_i32_e32 vcc_lo, 0, v74
	v_and_b32_e32 v69, v69, v195
	v_not_b32_e32 v74, v75
	v_ashrrev_i32_e32 v72, 31, v72
	v_xor_b32_e32 v71, s17, v71
	v_cmp_gt_i32_e64 s17, 0, v75
	v_and_b32_e32 v69, v69, v70
	v_not_b32_e32 v70, v194
	v_ashrrev_i32_e32 v74, 31, v74
	v_xor_b32_e32 v72, vcc_lo, v72
	v_cmp_gt_i32_e32 vcc_lo, 0, v194
	v_and_b32_e32 v69, v69, v71
	v_not_b32_e32 v71, v73
	v_ashrrev_i32_e32 v70, 31, v70
	v_xor_b32_e32 v74, s17, v74
	v_mul_u32_u24_e32 v68, 9, v68
	v_and_b32_e32 v69, v69, v72
	v_cmp_gt_i32_e64 s17, 0, v73
	v_ashrrev_i32_e32 v71, 31, v71
	v_xor_b32_e32 v70, vcc_lo, v70
	v_add_lshl_u32 v72, v68, v158, 2
	v_and_b32_e32 v69, v69, v74
	s_delay_alu instid0(VALU_DEP_4) | instskip(SKIP_3) | instid1(VALU_DEP_2)
	v_xor_b32_e32 v68, s17, v71
	ds_load_b32 v194, v72 offset:1056
	v_and_b32_e32 v69, v69, v70
	v_add_nc_u32_e32 v196, 0x420, v72
	; wave barrier
	v_and_b32_e32 v68, v69, v68
	s_delay_alu instid0(VALU_DEP_1) | instskip(SKIP_1) | instid1(VALU_DEP_2)
	v_mbcnt_lo_u32_b32 v195, v68, 0
	v_cmp_ne_u32_e64 s17, 0, v68
	v_cmp_eq_u32_e32 vcc_lo, 0, v195
	s_delay_alu instid0(VALU_DEP_2) | instskip(NEXT) | instid1(SALU_CYCLE_1)
	s_and_b32 s18, s17, vcc_lo
	s_and_saveexec_b32 s17, s18
	s_cbranch_execz .LBB844_156
; %bb.155:                              ;   in Loop: Header=BB844_106 Depth=2
	s_waitcnt lgkmcnt(0)
	v_bcnt_u32_b32 v68, v68, v194
	ds_store_b32 v196, v68
.LBB844_156:                            ;   in Loop: Header=BB844_106 Depth=2
	s_or_b32 exec_lo, exec_lo, s17
	v_xor_b32_e32 v51, 0x80000000, v51
	; wave barrier
	s_delay_alu instid0(VALU_DEP_1) | instskip(NEXT) | instid1(VALU_DEP_1)
	v_lshrrev_b64 v[68:69], s41, v[50:51]
	v_and_b32_e32 v68, s43, v68
	s_delay_alu instid0(VALU_DEP_1)
	v_and_b32_e32 v69, 1, v68
	v_lshlrev_b32_e32 v70, 30, v68
	v_lshlrev_b32_e32 v71, 29, v68
	;; [unrolled: 1-line block ×4, first 2 shown]
	v_add_co_u32 v69, s17, v69, -1
	s_delay_alu instid0(VALU_DEP_1)
	v_cndmask_b32_e64 v73, 0, 1, s17
	v_not_b32_e32 v198, v70
	v_cmp_gt_i32_e64 s17, 0, v70
	v_not_b32_e32 v70, v71
	v_lshlrev_b32_e32 v75, 26, v68
	v_cmp_ne_u32_e32 vcc_lo, 0, v73
	v_ashrrev_i32_e32 v198, 31, v198
	v_lshlrev_b32_e32 v197, 25, v68
	v_ashrrev_i32_e32 v70, 31, v70
	v_lshlrev_b32_e32 v73, 24, v68
	v_xor_b32_e32 v69, vcc_lo, v69
	v_cmp_gt_i32_e32 vcc_lo, 0, v71
	v_not_b32_e32 v71, v72
	v_xor_b32_e32 v198, s17, v198
	v_cmp_gt_i32_e64 s17, 0, v72
	v_and_b32_e32 v69, exec_lo, v69
	v_not_b32_e32 v72, v74
	v_ashrrev_i32_e32 v71, 31, v71
	v_xor_b32_e32 v70, vcc_lo, v70
	v_cmp_gt_i32_e32 vcc_lo, 0, v74
	v_and_b32_e32 v69, v69, v198
	v_not_b32_e32 v74, v75
	v_ashrrev_i32_e32 v72, 31, v72
	v_xor_b32_e32 v71, s17, v71
	v_cmp_gt_i32_e64 s17, 0, v75
	v_and_b32_e32 v69, v69, v70
	v_not_b32_e32 v70, v197
	v_ashrrev_i32_e32 v74, 31, v74
	v_xor_b32_e32 v72, vcc_lo, v72
	v_cmp_gt_i32_e32 vcc_lo, 0, v197
	v_and_b32_e32 v69, v69, v71
	v_not_b32_e32 v71, v73
	v_ashrrev_i32_e32 v70, 31, v70
	v_xor_b32_e32 v74, s17, v74
	v_mul_u32_u24_e32 v68, 9, v68
	v_and_b32_e32 v69, v69, v72
	v_cmp_gt_i32_e64 s17, 0, v73
	v_ashrrev_i32_e32 v71, 31, v71
	v_xor_b32_e32 v70, vcc_lo, v70
	v_add_lshl_u32 v72, v68, v158, 2
	v_and_b32_e32 v69, v69, v74
	s_delay_alu instid0(VALU_DEP_4) | instskip(SKIP_3) | instid1(VALU_DEP_2)
	v_xor_b32_e32 v68, s17, v71
	ds_load_b32 v197, v72 offset:1056
	v_and_b32_e32 v69, v69, v70
	v_add_nc_u32_e32 v199, 0x420, v72
	; wave barrier
	v_and_b32_e32 v68, v69, v68
	s_delay_alu instid0(VALU_DEP_1) | instskip(SKIP_1) | instid1(VALU_DEP_2)
	v_mbcnt_lo_u32_b32 v198, v68, 0
	v_cmp_ne_u32_e64 s17, 0, v68
	v_cmp_eq_u32_e32 vcc_lo, 0, v198
	s_delay_alu instid0(VALU_DEP_2) | instskip(NEXT) | instid1(SALU_CYCLE_1)
	s_and_b32 s18, s17, vcc_lo
	s_and_saveexec_b32 s17, s18
	s_cbranch_execz .LBB844_158
; %bb.157:                              ;   in Loop: Header=BB844_106 Depth=2
	s_waitcnt lgkmcnt(0)
	v_bcnt_u32_b32 v68, v68, v197
	ds_store_b32 v199, v68
.LBB844_158:                            ;   in Loop: Header=BB844_106 Depth=2
	s_or_b32 exec_lo, exec_lo, s17
	v_xor_b32_e32 v53, 0x80000000, v53
	; wave barrier
	s_delay_alu instid0(VALU_DEP_1) | instskip(NEXT) | instid1(VALU_DEP_1)
	v_lshrrev_b64 v[68:69], s41, v[52:53]
	v_and_b32_e32 v68, s43, v68
	s_delay_alu instid0(VALU_DEP_1)
	v_and_b32_e32 v69, 1, v68
	v_lshlrev_b32_e32 v70, 30, v68
	v_lshlrev_b32_e32 v71, 29, v68
	;; [unrolled: 1-line block ×4, first 2 shown]
	v_add_co_u32 v69, s17, v69, -1
	s_delay_alu instid0(VALU_DEP_1)
	v_cndmask_b32_e64 v73, 0, 1, s17
	v_not_b32_e32 v201, v70
	v_cmp_gt_i32_e64 s17, 0, v70
	v_not_b32_e32 v70, v71
	v_lshlrev_b32_e32 v75, 26, v68
	v_cmp_ne_u32_e32 vcc_lo, 0, v73
	v_ashrrev_i32_e32 v201, 31, v201
	v_lshlrev_b32_e32 v200, 25, v68
	v_ashrrev_i32_e32 v70, 31, v70
	v_lshlrev_b32_e32 v73, 24, v68
	v_xor_b32_e32 v69, vcc_lo, v69
	v_cmp_gt_i32_e32 vcc_lo, 0, v71
	v_not_b32_e32 v71, v72
	v_xor_b32_e32 v201, s17, v201
	v_cmp_gt_i32_e64 s17, 0, v72
	v_and_b32_e32 v69, exec_lo, v69
	v_not_b32_e32 v72, v74
	v_ashrrev_i32_e32 v71, 31, v71
	v_xor_b32_e32 v70, vcc_lo, v70
	v_cmp_gt_i32_e32 vcc_lo, 0, v74
	v_and_b32_e32 v69, v69, v201
	v_not_b32_e32 v74, v75
	v_ashrrev_i32_e32 v72, 31, v72
	v_xor_b32_e32 v71, s17, v71
	v_cmp_gt_i32_e64 s17, 0, v75
	v_and_b32_e32 v69, v69, v70
	v_not_b32_e32 v70, v200
	v_ashrrev_i32_e32 v74, 31, v74
	v_xor_b32_e32 v72, vcc_lo, v72
	v_cmp_gt_i32_e32 vcc_lo, 0, v200
	v_and_b32_e32 v69, v69, v71
	v_not_b32_e32 v71, v73
	v_ashrrev_i32_e32 v70, 31, v70
	v_xor_b32_e32 v74, s17, v74
	v_mul_u32_u24_e32 v68, 9, v68
	v_and_b32_e32 v69, v69, v72
	v_cmp_gt_i32_e64 s17, 0, v73
	v_ashrrev_i32_e32 v71, 31, v71
	v_xor_b32_e32 v70, vcc_lo, v70
	v_add_lshl_u32 v72, v68, v158, 2
	v_and_b32_e32 v69, v69, v74
	s_delay_alu instid0(VALU_DEP_4) | instskip(SKIP_3) | instid1(VALU_DEP_2)
	v_xor_b32_e32 v68, s17, v71
	ds_load_b32 v200, v72 offset:1056
	v_and_b32_e32 v69, v69, v70
	v_add_nc_u32_e32 v202, 0x420, v72
	; wave barrier
	v_and_b32_e32 v68, v69, v68
	s_delay_alu instid0(VALU_DEP_1) | instskip(SKIP_1) | instid1(VALU_DEP_2)
	v_mbcnt_lo_u32_b32 v201, v68, 0
	v_cmp_ne_u32_e64 s17, 0, v68
	v_cmp_eq_u32_e32 vcc_lo, 0, v201
	s_delay_alu instid0(VALU_DEP_2) | instskip(NEXT) | instid1(SALU_CYCLE_1)
	s_and_b32 s18, s17, vcc_lo
	s_and_saveexec_b32 s17, s18
	s_cbranch_execz .LBB844_160
; %bb.159:                              ;   in Loop: Header=BB844_106 Depth=2
	s_waitcnt lgkmcnt(0)
	v_bcnt_u32_b32 v68, v68, v200
	ds_store_b32 v202, v68
.LBB844_160:                            ;   in Loop: Header=BB844_106 Depth=2
	s_or_b32 exec_lo, exec_lo, s17
	v_xor_b32_e32 v55, 0x80000000, v55
	; wave barrier
	s_delay_alu instid0(VALU_DEP_1) | instskip(NEXT) | instid1(VALU_DEP_1)
	v_lshrrev_b64 v[68:69], s41, v[54:55]
	v_and_b32_e32 v68, s43, v68
	s_delay_alu instid0(VALU_DEP_1)
	v_and_b32_e32 v69, 1, v68
	v_lshlrev_b32_e32 v70, 30, v68
	v_lshlrev_b32_e32 v71, 29, v68
	v_lshlrev_b32_e32 v72, 28, v68
	v_lshlrev_b32_e32 v74, 27, v68
	v_add_co_u32 v69, s17, v69, -1
	s_delay_alu instid0(VALU_DEP_1)
	v_cndmask_b32_e64 v73, 0, 1, s17
	v_not_b32_e32 v204, v70
	v_cmp_gt_i32_e64 s17, 0, v70
	v_not_b32_e32 v70, v71
	v_lshlrev_b32_e32 v75, 26, v68
	v_cmp_ne_u32_e32 vcc_lo, 0, v73
	v_ashrrev_i32_e32 v204, 31, v204
	v_lshlrev_b32_e32 v203, 25, v68
	v_ashrrev_i32_e32 v70, 31, v70
	v_lshlrev_b32_e32 v73, 24, v68
	v_xor_b32_e32 v69, vcc_lo, v69
	v_cmp_gt_i32_e32 vcc_lo, 0, v71
	v_not_b32_e32 v71, v72
	v_xor_b32_e32 v204, s17, v204
	v_cmp_gt_i32_e64 s17, 0, v72
	v_and_b32_e32 v69, exec_lo, v69
	v_not_b32_e32 v72, v74
	v_ashrrev_i32_e32 v71, 31, v71
	v_xor_b32_e32 v70, vcc_lo, v70
	v_cmp_gt_i32_e32 vcc_lo, 0, v74
	v_and_b32_e32 v69, v69, v204
	v_not_b32_e32 v74, v75
	v_ashrrev_i32_e32 v72, 31, v72
	v_xor_b32_e32 v71, s17, v71
	v_cmp_gt_i32_e64 s17, 0, v75
	v_and_b32_e32 v69, v69, v70
	v_not_b32_e32 v70, v203
	v_ashrrev_i32_e32 v74, 31, v74
	v_xor_b32_e32 v72, vcc_lo, v72
	v_cmp_gt_i32_e32 vcc_lo, 0, v203
	v_and_b32_e32 v69, v69, v71
	v_not_b32_e32 v71, v73
	v_ashrrev_i32_e32 v70, 31, v70
	v_xor_b32_e32 v74, s17, v74
	v_mul_u32_u24_e32 v68, 9, v68
	v_and_b32_e32 v69, v69, v72
	v_cmp_gt_i32_e64 s17, 0, v73
	v_ashrrev_i32_e32 v71, 31, v71
	v_xor_b32_e32 v70, vcc_lo, v70
	v_add_lshl_u32 v72, v68, v158, 2
	v_and_b32_e32 v69, v69, v74
	s_delay_alu instid0(VALU_DEP_4) | instskip(SKIP_3) | instid1(VALU_DEP_2)
	v_xor_b32_e32 v68, s17, v71
	ds_load_b32 v203, v72 offset:1056
	v_and_b32_e32 v69, v69, v70
	v_add_nc_u32_e32 v205, 0x420, v72
	; wave barrier
	v_and_b32_e32 v68, v69, v68
	s_delay_alu instid0(VALU_DEP_1) | instskip(SKIP_1) | instid1(VALU_DEP_2)
	v_mbcnt_lo_u32_b32 v204, v68, 0
	v_cmp_ne_u32_e64 s17, 0, v68
	v_cmp_eq_u32_e32 vcc_lo, 0, v204
	s_delay_alu instid0(VALU_DEP_2) | instskip(NEXT) | instid1(SALU_CYCLE_1)
	s_and_b32 s18, s17, vcc_lo
	s_and_saveexec_b32 s17, s18
	s_cbranch_execz .LBB844_162
; %bb.161:                              ;   in Loop: Header=BB844_106 Depth=2
	s_waitcnt lgkmcnt(0)
	v_bcnt_u32_b32 v68, v68, v203
	ds_store_b32 v205, v68
.LBB844_162:                            ;   in Loop: Header=BB844_106 Depth=2
	s_or_b32 exec_lo, exec_lo, s17
	v_xor_b32_e32 v57, 0x80000000, v57
	; wave barrier
	s_delay_alu instid0(VALU_DEP_1) | instskip(NEXT) | instid1(VALU_DEP_1)
	v_lshrrev_b64 v[68:69], s41, v[56:57]
	v_and_b32_e32 v68, s43, v68
	s_delay_alu instid0(VALU_DEP_1)
	v_and_b32_e32 v69, 1, v68
	v_lshlrev_b32_e32 v70, 30, v68
	v_lshlrev_b32_e32 v71, 29, v68
	;; [unrolled: 1-line block ×4, first 2 shown]
	v_add_co_u32 v69, s17, v69, -1
	s_delay_alu instid0(VALU_DEP_1)
	v_cndmask_b32_e64 v73, 0, 1, s17
	v_not_b32_e32 v207, v70
	v_cmp_gt_i32_e64 s17, 0, v70
	v_not_b32_e32 v70, v71
	v_lshlrev_b32_e32 v75, 26, v68
	v_cmp_ne_u32_e32 vcc_lo, 0, v73
	v_ashrrev_i32_e32 v207, 31, v207
	v_lshlrev_b32_e32 v206, 25, v68
	v_ashrrev_i32_e32 v70, 31, v70
	v_lshlrev_b32_e32 v73, 24, v68
	v_xor_b32_e32 v69, vcc_lo, v69
	v_cmp_gt_i32_e32 vcc_lo, 0, v71
	v_not_b32_e32 v71, v72
	v_xor_b32_e32 v207, s17, v207
	v_cmp_gt_i32_e64 s17, 0, v72
	v_and_b32_e32 v69, exec_lo, v69
	v_not_b32_e32 v72, v74
	v_ashrrev_i32_e32 v71, 31, v71
	v_xor_b32_e32 v70, vcc_lo, v70
	v_cmp_gt_i32_e32 vcc_lo, 0, v74
	v_and_b32_e32 v69, v69, v207
	v_not_b32_e32 v74, v75
	v_ashrrev_i32_e32 v72, 31, v72
	v_xor_b32_e32 v71, s17, v71
	v_cmp_gt_i32_e64 s17, 0, v75
	v_and_b32_e32 v69, v69, v70
	v_not_b32_e32 v70, v206
	v_ashrrev_i32_e32 v74, 31, v74
	v_xor_b32_e32 v72, vcc_lo, v72
	v_cmp_gt_i32_e32 vcc_lo, 0, v206
	v_and_b32_e32 v69, v69, v71
	v_not_b32_e32 v71, v73
	v_ashrrev_i32_e32 v70, 31, v70
	v_xor_b32_e32 v74, s17, v74
	v_mul_u32_u24_e32 v68, 9, v68
	v_and_b32_e32 v69, v69, v72
	v_cmp_gt_i32_e64 s17, 0, v73
	v_ashrrev_i32_e32 v71, 31, v71
	v_xor_b32_e32 v70, vcc_lo, v70
	v_add_lshl_u32 v72, v68, v158, 2
	v_and_b32_e32 v69, v69, v74
	s_delay_alu instid0(VALU_DEP_4) | instskip(SKIP_3) | instid1(VALU_DEP_2)
	v_xor_b32_e32 v68, s17, v71
	ds_load_b32 v206, v72 offset:1056
	v_and_b32_e32 v69, v69, v70
	v_add_nc_u32_e32 v208, 0x420, v72
	; wave barrier
	v_and_b32_e32 v68, v69, v68
	s_delay_alu instid0(VALU_DEP_1) | instskip(SKIP_1) | instid1(VALU_DEP_2)
	v_mbcnt_lo_u32_b32 v207, v68, 0
	v_cmp_ne_u32_e64 s17, 0, v68
	v_cmp_eq_u32_e32 vcc_lo, 0, v207
	s_delay_alu instid0(VALU_DEP_2) | instskip(NEXT) | instid1(SALU_CYCLE_1)
	s_and_b32 s18, s17, vcc_lo
	s_and_saveexec_b32 s17, s18
	s_cbranch_execz .LBB844_164
; %bb.163:                              ;   in Loop: Header=BB844_106 Depth=2
	s_waitcnt lgkmcnt(0)
	v_bcnt_u32_b32 v68, v68, v206
	ds_store_b32 v208, v68
.LBB844_164:                            ;   in Loop: Header=BB844_106 Depth=2
	s_or_b32 exec_lo, exec_lo, s17
	v_xor_b32_e32 v59, 0x80000000, v59
	; wave barrier
	s_delay_alu instid0(VALU_DEP_1) | instskip(NEXT) | instid1(VALU_DEP_1)
	v_lshrrev_b64 v[68:69], s41, v[58:59]
	v_and_b32_e32 v68, s43, v68
	s_delay_alu instid0(VALU_DEP_1)
	v_and_b32_e32 v69, 1, v68
	v_lshlrev_b32_e32 v70, 30, v68
	v_lshlrev_b32_e32 v71, 29, v68
	;; [unrolled: 1-line block ×4, first 2 shown]
	v_add_co_u32 v69, s17, v69, -1
	s_delay_alu instid0(VALU_DEP_1)
	v_cndmask_b32_e64 v73, 0, 1, s17
	v_not_b32_e32 v210, v70
	v_cmp_gt_i32_e64 s17, 0, v70
	v_not_b32_e32 v70, v71
	v_lshlrev_b32_e32 v75, 26, v68
	v_cmp_ne_u32_e32 vcc_lo, 0, v73
	v_ashrrev_i32_e32 v210, 31, v210
	v_lshlrev_b32_e32 v209, 25, v68
	v_ashrrev_i32_e32 v70, 31, v70
	v_lshlrev_b32_e32 v73, 24, v68
	v_xor_b32_e32 v69, vcc_lo, v69
	v_cmp_gt_i32_e32 vcc_lo, 0, v71
	v_not_b32_e32 v71, v72
	v_xor_b32_e32 v210, s17, v210
	v_cmp_gt_i32_e64 s17, 0, v72
	v_and_b32_e32 v69, exec_lo, v69
	v_not_b32_e32 v72, v74
	v_ashrrev_i32_e32 v71, 31, v71
	v_xor_b32_e32 v70, vcc_lo, v70
	v_cmp_gt_i32_e32 vcc_lo, 0, v74
	v_and_b32_e32 v69, v69, v210
	v_not_b32_e32 v74, v75
	v_ashrrev_i32_e32 v72, 31, v72
	v_xor_b32_e32 v71, s17, v71
	v_cmp_gt_i32_e64 s17, 0, v75
	v_and_b32_e32 v69, v69, v70
	v_not_b32_e32 v70, v209
	v_ashrrev_i32_e32 v74, 31, v74
	v_xor_b32_e32 v72, vcc_lo, v72
	v_cmp_gt_i32_e32 vcc_lo, 0, v209
	v_and_b32_e32 v69, v69, v71
	v_not_b32_e32 v71, v73
	v_ashrrev_i32_e32 v70, 31, v70
	v_xor_b32_e32 v74, s17, v74
	v_mul_u32_u24_e32 v68, 9, v68
	v_and_b32_e32 v69, v69, v72
	v_cmp_gt_i32_e64 s17, 0, v73
	v_ashrrev_i32_e32 v71, 31, v71
	v_xor_b32_e32 v70, vcc_lo, v70
	v_add_lshl_u32 v72, v68, v158, 2
	v_and_b32_e32 v69, v69, v74
	s_delay_alu instid0(VALU_DEP_4) | instskip(SKIP_3) | instid1(VALU_DEP_2)
	v_xor_b32_e32 v68, s17, v71
	ds_load_b32 v209, v72 offset:1056
	v_and_b32_e32 v69, v69, v70
	v_add_nc_u32_e32 v211, 0x420, v72
	; wave barrier
	v_and_b32_e32 v68, v69, v68
	s_delay_alu instid0(VALU_DEP_1) | instskip(SKIP_1) | instid1(VALU_DEP_2)
	v_mbcnt_lo_u32_b32 v210, v68, 0
	v_cmp_ne_u32_e64 s17, 0, v68
	v_cmp_eq_u32_e32 vcc_lo, 0, v210
	s_delay_alu instid0(VALU_DEP_2) | instskip(NEXT) | instid1(SALU_CYCLE_1)
	s_and_b32 s18, s17, vcc_lo
	s_and_saveexec_b32 s17, s18
	s_cbranch_execz .LBB844_166
; %bb.165:                              ;   in Loop: Header=BB844_106 Depth=2
	s_waitcnt lgkmcnt(0)
	v_bcnt_u32_b32 v68, v68, v209
	ds_store_b32 v211, v68
.LBB844_166:                            ;   in Loop: Header=BB844_106 Depth=2
	s_or_b32 exec_lo, exec_lo, s17
	v_xor_b32_e32 v61, 0x80000000, v61
	; wave barrier
	s_delay_alu instid0(VALU_DEP_1) | instskip(NEXT) | instid1(VALU_DEP_1)
	v_lshrrev_b64 v[68:69], s41, v[60:61]
	v_and_b32_e32 v68, s43, v68
	s_delay_alu instid0(VALU_DEP_1)
	v_and_b32_e32 v69, 1, v68
	v_lshlrev_b32_e32 v70, 30, v68
	v_lshlrev_b32_e32 v71, 29, v68
	v_lshlrev_b32_e32 v72, 28, v68
	v_lshlrev_b32_e32 v74, 27, v68
	v_add_co_u32 v69, s17, v69, -1
	s_delay_alu instid0(VALU_DEP_1)
	v_cndmask_b32_e64 v73, 0, 1, s17
	v_not_b32_e32 v213, v70
	v_cmp_gt_i32_e64 s17, 0, v70
	v_not_b32_e32 v70, v71
	v_lshlrev_b32_e32 v75, 26, v68
	v_cmp_ne_u32_e32 vcc_lo, 0, v73
	v_ashrrev_i32_e32 v213, 31, v213
	v_lshlrev_b32_e32 v212, 25, v68
	v_ashrrev_i32_e32 v70, 31, v70
	v_lshlrev_b32_e32 v73, 24, v68
	v_xor_b32_e32 v69, vcc_lo, v69
	v_cmp_gt_i32_e32 vcc_lo, 0, v71
	v_not_b32_e32 v71, v72
	v_xor_b32_e32 v213, s17, v213
	v_cmp_gt_i32_e64 s17, 0, v72
	v_and_b32_e32 v69, exec_lo, v69
	v_not_b32_e32 v72, v74
	v_ashrrev_i32_e32 v71, 31, v71
	v_xor_b32_e32 v70, vcc_lo, v70
	v_cmp_gt_i32_e32 vcc_lo, 0, v74
	v_and_b32_e32 v69, v69, v213
	v_not_b32_e32 v74, v75
	v_ashrrev_i32_e32 v72, 31, v72
	v_xor_b32_e32 v71, s17, v71
	v_cmp_gt_i32_e64 s17, 0, v75
	v_and_b32_e32 v69, v69, v70
	v_not_b32_e32 v70, v212
	v_ashrrev_i32_e32 v74, 31, v74
	v_xor_b32_e32 v72, vcc_lo, v72
	v_cmp_gt_i32_e32 vcc_lo, 0, v212
	v_and_b32_e32 v69, v69, v71
	v_not_b32_e32 v71, v73
	v_ashrrev_i32_e32 v70, 31, v70
	v_xor_b32_e32 v74, s17, v74
	v_mul_u32_u24_e32 v68, 9, v68
	v_and_b32_e32 v69, v69, v72
	v_cmp_gt_i32_e64 s17, 0, v73
	v_ashrrev_i32_e32 v71, 31, v71
	v_xor_b32_e32 v70, vcc_lo, v70
	v_add_lshl_u32 v72, v68, v158, 2
	v_and_b32_e32 v69, v69, v74
	s_delay_alu instid0(VALU_DEP_4) | instskip(SKIP_3) | instid1(VALU_DEP_2)
	v_xor_b32_e32 v68, s17, v71
	ds_load_b32 v212, v72 offset:1056
	v_and_b32_e32 v69, v69, v70
	v_add_nc_u32_e32 v214, 0x420, v72
	; wave barrier
	v_and_b32_e32 v68, v69, v68
	s_delay_alu instid0(VALU_DEP_1) | instskip(SKIP_1) | instid1(VALU_DEP_2)
	v_mbcnt_lo_u32_b32 v213, v68, 0
	v_cmp_ne_u32_e64 s17, 0, v68
	v_cmp_eq_u32_e32 vcc_lo, 0, v213
	s_delay_alu instid0(VALU_DEP_2) | instskip(NEXT) | instid1(SALU_CYCLE_1)
	s_and_b32 s18, s17, vcc_lo
	s_and_saveexec_b32 s17, s18
	s_cbranch_execz .LBB844_168
; %bb.167:                              ;   in Loop: Header=BB844_106 Depth=2
	s_waitcnt lgkmcnt(0)
	v_bcnt_u32_b32 v68, v68, v212
	ds_store_b32 v214, v68
.LBB844_168:                            ;   in Loop: Header=BB844_106 Depth=2
	s_or_b32 exec_lo, exec_lo, s17
	v_xor_b32_e32 v63, 0x80000000, v63
	; wave barrier
	s_delay_alu instid0(VALU_DEP_1) | instskip(NEXT) | instid1(VALU_DEP_1)
	v_lshrrev_b64 v[68:69], s41, v[62:63]
	v_and_b32_e32 v68, s43, v68
	s_delay_alu instid0(VALU_DEP_1)
	v_and_b32_e32 v69, 1, v68
	v_lshlrev_b32_e32 v70, 30, v68
	v_lshlrev_b32_e32 v71, 29, v68
	;; [unrolled: 1-line block ×4, first 2 shown]
	v_add_co_u32 v69, s17, v69, -1
	s_delay_alu instid0(VALU_DEP_1)
	v_cndmask_b32_e64 v73, 0, 1, s17
	v_not_b32_e32 v216, v70
	v_cmp_gt_i32_e64 s17, 0, v70
	v_not_b32_e32 v70, v71
	v_lshlrev_b32_e32 v75, 26, v68
	v_cmp_ne_u32_e32 vcc_lo, 0, v73
	v_ashrrev_i32_e32 v216, 31, v216
	v_lshlrev_b32_e32 v215, 25, v68
	v_ashrrev_i32_e32 v70, 31, v70
	v_lshlrev_b32_e32 v73, 24, v68
	v_xor_b32_e32 v69, vcc_lo, v69
	v_cmp_gt_i32_e32 vcc_lo, 0, v71
	v_not_b32_e32 v71, v72
	v_xor_b32_e32 v216, s17, v216
	v_cmp_gt_i32_e64 s17, 0, v72
	v_and_b32_e32 v69, exec_lo, v69
	v_not_b32_e32 v72, v74
	v_ashrrev_i32_e32 v71, 31, v71
	v_xor_b32_e32 v70, vcc_lo, v70
	v_cmp_gt_i32_e32 vcc_lo, 0, v74
	v_and_b32_e32 v69, v69, v216
	v_not_b32_e32 v74, v75
	v_ashrrev_i32_e32 v72, 31, v72
	v_xor_b32_e32 v71, s17, v71
	v_cmp_gt_i32_e64 s17, 0, v75
	v_and_b32_e32 v69, v69, v70
	v_not_b32_e32 v70, v215
	v_ashrrev_i32_e32 v74, 31, v74
	v_xor_b32_e32 v72, vcc_lo, v72
	v_cmp_gt_i32_e32 vcc_lo, 0, v215
	v_and_b32_e32 v69, v69, v71
	v_not_b32_e32 v71, v73
	v_ashrrev_i32_e32 v70, 31, v70
	v_xor_b32_e32 v74, s17, v74
	v_mul_u32_u24_e32 v68, 9, v68
	v_and_b32_e32 v69, v69, v72
	v_cmp_gt_i32_e64 s17, 0, v73
	v_ashrrev_i32_e32 v71, 31, v71
	v_xor_b32_e32 v70, vcc_lo, v70
	v_add_lshl_u32 v72, v68, v158, 2
	v_and_b32_e32 v69, v69, v74
	s_delay_alu instid0(VALU_DEP_4) | instskip(SKIP_3) | instid1(VALU_DEP_2)
	v_xor_b32_e32 v68, s17, v71
	ds_load_b32 v215, v72 offset:1056
	v_and_b32_e32 v69, v69, v70
	v_add_nc_u32_e32 v217, 0x420, v72
	; wave barrier
	v_and_b32_e32 v68, v69, v68
	s_delay_alu instid0(VALU_DEP_1) | instskip(SKIP_1) | instid1(VALU_DEP_2)
	v_mbcnt_lo_u32_b32 v216, v68, 0
	v_cmp_ne_u32_e64 s17, 0, v68
	v_cmp_eq_u32_e32 vcc_lo, 0, v216
	s_delay_alu instid0(VALU_DEP_2) | instskip(NEXT) | instid1(SALU_CYCLE_1)
	s_and_b32 s18, s17, vcc_lo
	s_and_saveexec_b32 s17, s18
	s_cbranch_execz .LBB844_170
; %bb.169:                              ;   in Loop: Header=BB844_106 Depth=2
	s_waitcnt lgkmcnt(0)
	v_bcnt_u32_b32 v68, v68, v215
	ds_store_b32 v217, v68
.LBB844_170:                            ;   in Loop: Header=BB844_106 Depth=2
	s_or_b32 exec_lo, exec_lo, s17
	v_xor_b32_e32 v65, 0x80000000, v65
	; wave barrier
	s_delay_alu instid0(VALU_DEP_1) | instskip(NEXT) | instid1(VALU_DEP_1)
	v_lshrrev_b64 v[68:69], s41, v[64:65]
	v_and_b32_e32 v68, s43, v68
	s_delay_alu instid0(VALU_DEP_1)
	v_and_b32_e32 v69, 1, v68
	v_lshlrev_b32_e32 v70, 30, v68
	v_lshlrev_b32_e32 v71, 29, v68
	;; [unrolled: 1-line block ×4, first 2 shown]
	v_add_co_u32 v69, s17, v69, -1
	s_delay_alu instid0(VALU_DEP_1)
	v_cndmask_b32_e64 v73, 0, 1, s17
	v_not_b32_e32 v219, v70
	v_cmp_gt_i32_e64 s17, 0, v70
	v_not_b32_e32 v70, v71
	v_lshlrev_b32_e32 v75, 26, v68
	v_cmp_ne_u32_e32 vcc_lo, 0, v73
	v_ashrrev_i32_e32 v219, 31, v219
	v_lshlrev_b32_e32 v218, 25, v68
	v_ashrrev_i32_e32 v70, 31, v70
	v_lshlrev_b32_e32 v73, 24, v68
	v_xor_b32_e32 v69, vcc_lo, v69
	v_cmp_gt_i32_e32 vcc_lo, 0, v71
	v_not_b32_e32 v71, v72
	v_xor_b32_e32 v219, s17, v219
	v_cmp_gt_i32_e64 s17, 0, v72
	v_and_b32_e32 v69, exec_lo, v69
	v_not_b32_e32 v72, v74
	v_ashrrev_i32_e32 v71, 31, v71
	v_xor_b32_e32 v70, vcc_lo, v70
	v_cmp_gt_i32_e32 vcc_lo, 0, v74
	v_and_b32_e32 v69, v69, v219
	v_not_b32_e32 v74, v75
	v_ashrrev_i32_e32 v72, 31, v72
	v_xor_b32_e32 v71, s17, v71
	v_cmp_gt_i32_e64 s17, 0, v75
	v_and_b32_e32 v69, v69, v70
	v_not_b32_e32 v70, v218
	v_ashrrev_i32_e32 v74, 31, v74
	v_xor_b32_e32 v72, vcc_lo, v72
	v_cmp_gt_i32_e32 vcc_lo, 0, v218
	v_and_b32_e32 v69, v69, v71
	v_not_b32_e32 v71, v73
	v_ashrrev_i32_e32 v70, 31, v70
	v_xor_b32_e32 v74, s17, v74
	v_mul_u32_u24_e32 v68, 9, v68
	v_and_b32_e32 v69, v69, v72
	v_cmp_gt_i32_e64 s17, 0, v73
	v_ashrrev_i32_e32 v71, 31, v71
	v_xor_b32_e32 v70, vcc_lo, v70
	v_add_lshl_u32 v72, v68, v158, 2
	v_and_b32_e32 v69, v69, v74
	s_delay_alu instid0(VALU_DEP_4) | instskip(SKIP_3) | instid1(VALU_DEP_2)
	v_xor_b32_e32 v68, s17, v71
	ds_load_b32 v218, v72 offset:1056
	v_and_b32_e32 v69, v69, v70
	v_add_nc_u32_e32 v220, 0x420, v72
	; wave barrier
	v_and_b32_e32 v68, v69, v68
	s_delay_alu instid0(VALU_DEP_1) | instskip(SKIP_1) | instid1(VALU_DEP_2)
	v_mbcnt_lo_u32_b32 v219, v68, 0
	v_cmp_ne_u32_e64 s17, 0, v68
	v_cmp_eq_u32_e32 vcc_lo, 0, v219
	s_delay_alu instid0(VALU_DEP_2) | instskip(NEXT) | instid1(SALU_CYCLE_1)
	s_and_b32 s18, s17, vcc_lo
	s_and_saveexec_b32 s17, s18
	s_cbranch_execz .LBB844_172
; %bb.171:                              ;   in Loop: Header=BB844_106 Depth=2
	s_waitcnt lgkmcnt(0)
	v_bcnt_u32_b32 v68, v68, v218
	ds_store_b32 v220, v68
.LBB844_172:                            ;   in Loop: Header=BB844_106 Depth=2
	s_or_b32 exec_lo, exec_lo, s17
	v_xor_b32_e32 v67, 0x80000000, v67
	; wave barrier
	s_delay_alu instid0(VALU_DEP_1) | instskip(NEXT) | instid1(VALU_DEP_1)
	v_lshrrev_b64 v[68:69], s41, v[66:67]
	v_and_b32_e32 v68, s43, v68
	s_delay_alu instid0(VALU_DEP_1)
	v_and_b32_e32 v69, 1, v68
	v_lshlrev_b32_e32 v70, 30, v68
	v_lshlrev_b32_e32 v71, 29, v68
	;; [unrolled: 1-line block ×4, first 2 shown]
	v_add_co_u32 v69, s17, v69, -1
	s_delay_alu instid0(VALU_DEP_1)
	v_cndmask_b32_e64 v73, 0, 1, s17
	v_not_b32_e32 v222, v70
	v_cmp_gt_i32_e64 s17, 0, v70
	v_not_b32_e32 v70, v71
	v_lshlrev_b32_e32 v75, 26, v68
	v_cmp_ne_u32_e32 vcc_lo, 0, v73
	v_ashrrev_i32_e32 v222, 31, v222
	v_lshlrev_b32_e32 v221, 25, v68
	v_ashrrev_i32_e32 v70, 31, v70
	v_lshlrev_b32_e32 v73, 24, v68
	v_xor_b32_e32 v69, vcc_lo, v69
	v_cmp_gt_i32_e32 vcc_lo, 0, v71
	v_not_b32_e32 v71, v72
	v_xor_b32_e32 v222, s17, v222
	v_cmp_gt_i32_e64 s17, 0, v72
	v_and_b32_e32 v69, exec_lo, v69
	v_not_b32_e32 v72, v74
	v_ashrrev_i32_e32 v71, 31, v71
	v_xor_b32_e32 v70, vcc_lo, v70
	v_cmp_gt_i32_e32 vcc_lo, 0, v74
	v_and_b32_e32 v69, v69, v222
	v_not_b32_e32 v74, v75
	v_ashrrev_i32_e32 v72, 31, v72
	v_xor_b32_e32 v71, s17, v71
	v_cmp_gt_i32_e64 s17, 0, v75
	v_and_b32_e32 v69, v69, v70
	v_not_b32_e32 v70, v221
	v_ashrrev_i32_e32 v74, 31, v74
	v_xor_b32_e32 v72, vcc_lo, v72
	v_cmp_gt_i32_e32 vcc_lo, 0, v221
	v_and_b32_e32 v69, v69, v71
	v_not_b32_e32 v71, v73
	v_ashrrev_i32_e32 v70, 31, v70
	v_xor_b32_e32 v74, s17, v74
	v_mul_u32_u24_e32 v68, 9, v68
	v_and_b32_e32 v69, v69, v72
	v_cmp_gt_i32_e64 s17, 0, v73
	v_ashrrev_i32_e32 v71, 31, v71
	v_xor_b32_e32 v70, vcc_lo, v70
	v_add_lshl_u32 v72, v68, v158, 2
	v_and_b32_e32 v69, v69, v74
	s_delay_alu instid0(VALU_DEP_4) | instskip(SKIP_3) | instid1(VALU_DEP_2)
	v_xor_b32_e32 v68, s17, v71
	ds_load_b32 v221, v72 offset:1056
	v_and_b32_e32 v69, v69, v70
	v_add_nc_u32_e32 v223, 0x420, v72
	; wave barrier
	v_and_b32_e32 v68, v69, v68
	s_delay_alu instid0(VALU_DEP_1) | instskip(SKIP_1) | instid1(VALU_DEP_2)
	v_mbcnt_lo_u32_b32 v222, v68, 0
	v_cmp_ne_u32_e64 s17, 0, v68
	v_cmp_eq_u32_e32 vcc_lo, 0, v222
	s_delay_alu instid0(VALU_DEP_2) | instskip(NEXT) | instid1(SALU_CYCLE_1)
	s_and_b32 s18, s17, vcc_lo
	s_and_saveexec_b32 s17, s18
	s_cbranch_execz .LBB844_174
; %bb.173:                              ;   in Loop: Header=BB844_106 Depth=2
	s_waitcnt lgkmcnt(0)
	v_bcnt_u32_b32 v68, v68, v221
	ds_store_b32 v223, v68
.LBB844_174:                            ;   in Loop: Header=BB844_106 Depth=2
	s_or_b32 exec_lo, exec_lo, s17
	; wave barrier
	s_waitcnt lgkmcnt(0)
	s_barrier
	buffer_gl0_inv
	ds_load_b32 v224, v102 offset:1056
	ds_load_2addr_b32 v[74:75], v103 offset0:1 offset1:2
	ds_load_2addr_b32 v[72:73], v103 offset0:3 offset1:4
	ds_load_2addr_b32 v[68:69], v103 offset0:5 offset1:6
	ds_load_2addr_b32 v[70:71], v103 offset0:7 offset1:8
	s_waitcnt lgkmcnt(3)
	v_add3_u32 v225, v74, v224, v75
	s_waitcnt lgkmcnt(2)
	s_delay_alu instid0(VALU_DEP_1) | instskip(SKIP_1) | instid1(VALU_DEP_1)
	v_add3_u32 v225, v225, v72, v73
	s_waitcnt lgkmcnt(1)
	v_add3_u32 v225, v225, v68, v69
	s_waitcnt lgkmcnt(0)
	s_delay_alu instid0(VALU_DEP_1) | instskip(NEXT) | instid1(VALU_DEP_1)
	v_add3_u32 v71, v225, v70, v71
	v_mov_b32_dpp v225, v71 row_shr:1 row_mask:0xf bank_mask:0xf
	s_delay_alu instid0(VALU_DEP_1) | instskip(NEXT) | instid1(VALU_DEP_1)
	v_cndmask_b32_e64 v225, v225, 0, s1
	v_add_nc_u32_e32 v71, v225, v71
	s_delay_alu instid0(VALU_DEP_1) | instskip(NEXT) | instid1(VALU_DEP_1)
	v_mov_b32_dpp v225, v71 row_shr:2 row_mask:0xf bank_mask:0xf
	v_cndmask_b32_e64 v225, 0, v225, s7
	s_delay_alu instid0(VALU_DEP_1) | instskip(NEXT) | instid1(VALU_DEP_1)
	v_add_nc_u32_e32 v71, v71, v225
	v_mov_b32_dpp v225, v71 row_shr:4 row_mask:0xf bank_mask:0xf
	s_delay_alu instid0(VALU_DEP_1) | instskip(NEXT) | instid1(VALU_DEP_1)
	v_cndmask_b32_e64 v225, 0, v225, s8
	v_add_nc_u32_e32 v71, v71, v225
	s_delay_alu instid0(VALU_DEP_1) | instskip(NEXT) | instid1(VALU_DEP_1)
	v_mov_b32_dpp v225, v71 row_shr:8 row_mask:0xf bank_mask:0xf
	v_cndmask_b32_e64 v225, 0, v225, s9
	s_delay_alu instid0(VALU_DEP_1) | instskip(SKIP_3) | instid1(VALU_DEP_1)
	v_add_nc_u32_e32 v71, v71, v225
	ds_swizzle_b32 v225, v71 offset:swizzle(BROADCAST,32,15)
	s_waitcnt lgkmcnt(0)
	v_cndmask_b32_e64 v225, v225, 0, s10
	v_add_nc_u32_e32 v71, v71, v225
	s_and_saveexec_b32 s17, s3
	s_cbranch_execz .LBB844_176
; %bb.175:                              ;   in Loop: Header=BB844_106 Depth=2
	ds_store_b32 v94, v71 offset:1024
.LBB844_176:                            ;   in Loop: Header=BB844_106 Depth=2
	s_or_b32 exec_lo, exec_lo, s17
	s_waitcnt lgkmcnt(0)
	s_barrier
	buffer_gl0_inv
	s_and_saveexec_b32 s17, s4
	s_cbranch_execz .LBB844_178
; %bb.177:                              ;   in Loop: Header=BB844_106 Depth=2
	ds_load_b32 v225, v104 offset:1024
	s_waitcnt lgkmcnt(0)
	v_mov_b32_dpp v226, v225 row_shr:1 row_mask:0xf bank_mask:0xf
	s_delay_alu instid0(VALU_DEP_1) | instskip(NEXT) | instid1(VALU_DEP_1)
	v_cndmask_b32_e64 v226, v226, 0, s12
	v_add_nc_u32_e32 v225, v226, v225
	s_delay_alu instid0(VALU_DEP_1) | instskip(NEXT) | instid1(VALU_DEP_1)
	v_mov_b32_dpp v226, v225 row_shr:2 row_mask:0xf bank_mask:0xf
	v_cndmask_b32_e64 v226, 0, v226, s13
	s_delay_alu instid0(VALU_DEP_1) | instskip(NEXT) | instid1(VALU_DEP_1)
	v_add_nc_u32_e32 v225, v225, v226
	v_mov_b32_dpp v226, v225 row_shr:4 row_mask:0xf bank_mask:0xf
	s_delay_alu instid0(VALU_DEP_1) | instskip(NEXT) | instid1(VALU_DEP_1)
	v_cndmask_b32_e64 v226, 0, v226, s16
	v_add_nc_u32_e32 v225, v225, v226
	ds_store_b32 v104, v225 offset:1024
.LBB844_178:                            ;   in Loop: Header=BB844_106 Depth=2
	s_or_b32 exec_lo, exec_lo, s17
	v_mov_b32_e32 v225, 0
	s_waitcnt lgkmcnt(0)
	s_barrier
	buffer_gl0_inv
	s_and_saveexec_b32 s17, s5
	s_cbranch_execz .LBB844_180
; %bb.179:                              ;   in Loop: Header=BB844_106 Depth=2
	ds_load_b32 v225, v94 offset:1020
.LBB844_180:                            ;   in Loop: Header=BB844_106 Depth=2
	s_or_b32 exec_lo, exec_lo, s17
	s_waitcnt lgkmcnt(0)
	v_add_nc_u32_e32 v71, v225, v71
	ds_bpermute_b32 v71, v137, v71
	s_waitcnt lgkmcnt(0)
	v_cndmask_b32_e64 v71, v71, v225, s11
	s_delay_alu instid0(VALU_DEP_1) | instskip(NEXT) | instid1(VALU_DEP_1)
	v_cndmask_b32_e64 v71, v71, 0, s0
	v_add_nc_u32_e32 v224, v71, v224
	s_delay_alu instid0(VALU_DEP_1) | instskip(NEXT) | instid1(VALU_DEP_1)
	v_add_nc_u32_e32 v74, v224, v74
	v_add_nc_u32_e32 v75, v74, v75
	s_delay_alu instid0(VALU_DEP_1) | instskip(NEXT) | instid1(VALU_DEP_1)
	v_add_nc_u32_e32 v72, v75, v72
	;; [unrolled: 3-line block ×3, first 2 shown]
	v_add_nc_u32_e32 v69, v68, v69
	s_delay_alu instid0(VALU_DEP_1)
	v_add_nc_u32_e32 v70, v69, v70
	ds_store_b32 v102, v71 offset:1056
	ds_store_2addr_b32 v103, v224, v74 offset0:1 offset1:2
	ds_store_2addr_b32 v103, v75, v72 offset0:3 offset1:4
	;; [unrolled: 1-line block ×4, first 2 shown]
	v_mov_b32_e32 v68, 0x1000
	s_waitcnt lgkmcnt(0)
	s_barrier
	buffer_gl0_inv
	ds_load_b32 v70, v181
	ds_load_b32 v71, v184
	ds_load_b32 v72, v187
	ds_load_b32 v73, v190
	ds_load_b32 v225, v193
	ds_load_b32 v224, v196
	ds_load_b32 v199, v199
	ds_load_b32 v196, v202
	ds_load_b32 v193, v205
	ds_load_b32 v190, v208
	ds_load_b32 v187, v211
	ds_load_b32 v184, v214
	ds_load_b32 v181, v217
	ds_load_b32 v75, v220
	ds_load_b32 v74, v223
	ds_load_b32 v69, v178
	ds_load_b32 v178, v102 offset:1056
	s_and_saveexec_b32 s17, s6
	s_cbranch_execz .LBB844_182
; %bb.181:                              ;   in Loop: Header=BB844_106 Depth=2
	ds_load_b32 v68, v105 offset:1056
.LBB844_182:                            ;   in Loop: Header=BB844_106 Depth=2
	s_or_b32 exec_lo, exec_lo, s17
	s_waitcnt lgkmcnt(0)
	s_barrier
	buffer_gl0_inv
	s_and_saveexec_b32 s17, s2
	s_cbranch_execz .LBB844_184
; %bb.183:                              ;   in Loop: Header=BB844_106 Depth=2
	ds_load_b32 v202, v76
	s_waitcnt lgkmcnt(0)
	v_sub_nc_u32_e32 v178, v202, v178
	ds_store_b32 v76, v178
.LBB844_184:                            ;   in Loop: Header=BB844_106 Depth=2
	s_or_b32 exec_lo, exec_lo, s17
	v_add_nc_u32_e32 v179, v180, v179
	v_add_nc_u32_e32 v194, v195, v194
	;; [unrolled: 1-line block ×3, first 2 shown]
	v_add_lshl_u32 v69, v69, v2, 3
	v_add_nc_u32_e32 v2, v183, v182
	v_add_lshl_u32 v70, v179, v70, 3
	v_add_nc_u32_e32 v180, v186, v185
	v_add_nc_u32_e32 v182, v189, v188
	;; [unrolled: 1-line block ×11, first 2 shown]
	ds_store_b64 v69, v[36:37] offset:1024
	v_add_lshl_u32 v71, v2, v71, 3
	ds_store_b64 v70, v[38:39] offset:1024
	v_add_lshl_u32 v38, v191, v225, 3
	v_add_lshl_u32 v39, v194, v224, 3
	;; [unrolled: 1-line block ×4, first 2 shown]
	ds_store_b64 v71, v[40:41] offset:1024
	ds_store_b64 v72, v[42:43] offset:1024
	;; [unrolled: 1-line block ×4, first 2 shown]
	v_add_lshl_u32 v40, v197, v199, 3
	v_add_lshl_u32 v41, v200, v196, 3
	;; [unrolled: 1-line block ×3, first 2 shown]
	ds_store_b64 v39, v[48:49] offset:1024
	v_add_lshl_u32 v43, v206, v190, 3
	v_add_lshl_u32 v44, v209, v187, 3
	;; [unrolled: 1-line block ×6, first 2 shown]
	v_cmp_lt_u32_e32 vcc_lo, v1, v177
	ds_store_b64 v40, v[50:51] offset:1024
	ds_store_b64 v41, v[52:53] offset:1024
	;; [unrolled: 1-line block ×9, first 2 shown]
	s_waitcnt lgkmcnt(0)
	s_barrier
	buffer_gl0_inv
	s_and_saveexec_b32 s18, vcc_lo
	s_cbranch_execz .LBB844_200
; %bb.185:                              ;   in Loop: Header=BB844_106 Depth=2
	v_add_nc_u32_e32 v2, v104, v76
	ds_load_b64 v[36:37], v2 offset:1024
	s_waitcnt lgkmcnt(0)
	v_lshrrev_b64 v[49:50], s41, v[36:37]
	v_xor_b32_e32 v37, 0x80000000, v37
	s_delay_alu instid0(VALU_DEP_2) | instskip(NEXT) | instid1(VALU_DEP_1)
	v_and_b32_e32 v2, s43, v49
	v_lshlrev_b32_e32 v2, 2, v2
	ds_load_b32 v2, v2
	s_waitcnt lgkmcnt(0)
	v_add_nc_u32_e32 v2, v2, v1
	s_delay_alu instid0(VALU_DEP_1) | instskip(NEXT) | instid1(VALU_DEP_1)
	v_lshlrev_b64 v[49:50], 3, v[2:3]
	v_add_co_u32 v49, s17, s46, v49
	s_delay_alu instid0(VALU_DEP_1) | instskip(SKIP_3) | instid1(VALU_DEP_1)
	v_add_co_ci_u32_e64 v50, s17, s47, v50, s17
	global_store_b64 v[49:50], v[36:37], off
	s_or_b32 exec_lo, exec_lo, s18
	v_cmp_lt_u32_e64 s17, v77, v177
	s_and_saveexec_b32 s19, s17
	s_cbranch_execnz .LBB844_201
.LBB844_186:                            ;   in Loop: Header=BB844_106 Depth=2
	s_or_b32 exec_lo, exec_lo, s19
	v_cmp_lt_u32_e64 s18, v78, v177
	s_delay_alu instid0(VALU_DEP_1)
	s_and_saveexec_b32 s20, s18
	s_cbranch_execz .LBB844_202
.LBB844_187:                            ;   in Loop: Header=BB844_106 Depth=2
	ds_load_b64 v[36:37], v110 offset:4096
	s_waitcnt lgkmcnt(0)
	v_lshrrev_b64 v[49:50], s41, v[36:37]
	v_xor_b32_e32 v37, 0x80000000, v37
	s_delay_alu instid0(VALU_DEP_2) | instskip(NEXT) | instid1(VALU_DEP_1)
	v_and_b32_e32 v2, s43, v49
	v_lshlrev_b32_e32 v2, 2, v2
	ds_load_b32 v2, v2
	s_waitcnt lgkmcnt(0)
	v_add_nc_u32_e32 v2, v2, v78
	s_delay_alu instid0(VALU_DEP_1) | instskip(NEXT) | instid1(VALU_DEP_1)
	v_lshlrev_b64 v[49:50], 3, v[2:3]
	v_add_co_u32 v49, s19, s46, v49
	s_delay_alu instid0(VALU_DEP_1) | instskip(SKIP_3) | instid1(VALU_DEP_1)
	v_add_co_ci_u32_e64 v50, s19, s47, v50, s19
	global_store_b64 v[49:50], v[36:37], off
	s_or_b32 exec_lo, exec_lo, s20
	v_cmp_lt_u32_e64 s19, v79, v177
	s_and_saveexec_b32 s21, s19
	s_cbranch_execnz .LBB844_203
.LBB844_188:                            ;   in Loop: Header=BB844_106 Depth=2
	s_or_b32 exec_lo, exec_lo, s21
	v_cmp_lt_u32_e64 s20, v83, v177
	s_delay_alu instid0(VALU_DEP_1)
	s_and_saveexec_b32 s22, s20
	s_cbranch_execz .LBB844_204
.LBB844_189:                            ;   in Loop: Header=BB844_106 Depth=2
	ds_load_b64 v[36:37], v110 offset:8192
	s_waitcnt lgkmcnt(0)
	v_lshrrev_b64 v[49:50], s41, v[36:37]
	v_xor_b32_e32 v37, 0x80000000, v37
	s_delay_alu instid0(VALU_DEP_2) | instskip(NEXT) | instid1(VALU_DEP_1)
	v_and_b32_e32 v2, s43, v49
	v_lshlrev_b32_e32 v2, 2, v2
	ds_load_b32 v2, v2
	s_waitcnt lgkmcnt(0)
	v_add_nc_u32_e32 v2, v2, v83
	s_delay_alu instid0(VALU_DEP_1) | instskip(NEXT) | instid1(VALU_DEP_1)
	v_lshlrev_b64 v[49:50], 3, v[2:3]
	v_add_co_u32 v49, s21, s46, v49
	s_delay_alu instid0(VALU_DEP_1) | instskip(SKIP_3) | instid1(VALU_DEP_1)
	v_add_co_ci_u32_e64 v50, s21, s47, v50, s21
	global_store_b64 v[49:50], v[36:37], off
	s_or_b32 exec_lo, exec_lo, s22
	v_cmp_lt_u32_e64 s21, v84, v177
	s_and_saveexec_b32 s23, s21
	s_cbranch_execnz .LBB844_205
.LBB844_190:                            ;   in Loop: Header=BB844_106 Depth=2
	s_or_b32 exec_lo, exec_lo, s23
	v_cmp_lt_u32_e64 s22, v85, v177
	s_delay_alu instid0(VALU_DEP_1)
	s_and_saveexec_b32 s24, s22
	s_cbranch_execz .LBB844_206
.LBB844_191:                            ;   in Loop: Header=BB844_106 Depth=2
	ds_load_b64 v[36:37], v110 offset:12288
	s_waitcnt lgkmcnt(0)
	v_lshrrev_b64 v[49:50], s41, v[36:37]
	v_xor_b32_e32 v37, 0x80000000, v37
	s_delay_alu instid0(VALU_DEP_2) | instskip(NEXT) | instid1(VALU_DEP_1)
	v_and_b32_e32 v2, s43, v49
	v_lshlrev_b32_e32 v2, 2, v2
	ds_load_b32 v2, v2
	s_waitcnt lgkmcnt(0)
	v_add_nc_u32_e32 v2, v2, v85
	s_delay_alu instid0(VALU_DEP_1) | instskip(NEXT) | instid1(VALU_DEP_1)
	v_lshlrev_b64 v[49:50], 3, v[2:3]
	v_add_co_u32 v49, s23, s46, v49
	s_delay_alu instid0(VALU_DEP_1) | instskip(SKIP_3) | instid1(VALU_DEP_1)
	v_add_co_ci_u32_e64 v50, s23, s47, v50, s23
	global_store_b64 v[49:50], v[36:37], off
	s_or_b32 exec_lo, exec_lo, s24
	v_cmp_lt_u32_e64 s23, v86, v177
	s_and_saveexec_b32 s25, s23
	s_cbranch_execnz .LBB844_207
.LBB844_192:                            ;   in Loop: Header=BB844_106 Depth=2
	s_or_b32 exec_lo, exec_lo, s25
	v_cmp_lt_u32_e64 s24, v87, v177
	s_delay_alu instid0(VALU_DEP_1)
	s_and_saveexec_b32 s26, s24
	s_cbranch_execz .LBB844_208
.LBB844_193:                            ;   in Loop: Header=BB844_106 Depth=2
	ds_load_b64 v[36:37], v110 offset:16384
	s_waitcnt lgkmcnt(0)
	v_lshrrev_b64 v[49:50], s41, v[36:37]
	v_xor_b32_e32 v37, 0x80000000, v37
	s_delay_alu instid0(VALU_DEP_2) | instskip(NEXT) | instid1(VALU_DEP_1)
	v_and_b32_e32 v2, s43, v49
	v_lshlrev_b32_e32 v2, 2, v2
	ds_load_b32 v2, v2
	s_waitcnt lgkmcnt(0)
	v_add_nc_u32_e32 v2, v2, v87
	s_delay_alu instid0(VALU_DEP_1) | instskip(NEXT) | instid1(VALU_DEP_1)
	v_lshlrev_b64 v[49:50], 3, v[2:3]
	v_add_co_u32 v49, s25, s46, v49
	s_delay_alu instid0(VALU_DEP_1) | instskip(SKIP_3) | instid1(VALU_DEP_1)
	v_add_co_ci_u32_e64 v50, s25, s47, v50, s25
	global_store_b64 v[49:50], v[36:37], off
	s_or_b32 exec_lo, exec_lo, s26
	v_cmp_lt_u32_e64 s25, v88, v177
	s_and_saveexec_b32 s27, s25
	s_cbranch_execnz .LBB844_209
.LBB844_194:                            ;   in Loop: Header=BB844_106 Depth=2
	s_or_b32 exec_lo, exec_lo, s27
	v_cmp_lt_u32_e64 s26, v89, v177
	s_delay_alu instid0(VALU_DEP_1)
	s_and_saveexec_b32 s28, s26
	s_cbranch_execz .LBB844_210
.LBB844_195:                            ;   in Loop: Header=BB844_106 Depth=2
	ds_load_b64 v[36:37], v110 offset:20480
	s_waitcnt lgkmcnt(0)
	v_lshrrev_b64 v[49:50], s41, v[36:37]
	v_xor_b32_e32 v37, 0x80000000, v37
	s_delay_alu instid0(VALU_DEP_2) | instskip(NEXT) | instid1(VALU_DEP_1)
	v_and_b32_e32 v2, s43, v49
	v_lshlrev_b32_e32 v2, 2, v2
	ds_load_b32 v2, v2
	s_waitcnt lgkmcnt(0)
	v_add_nc_u32_e32 v2, v2, v89
	s_delay_alu instid0(VALU_DEP_1) | instskip(NEXT) | instid1(VALU_DEP_1)
	v_lshlrev_b64 v[49:50], 3, v[2:3]
	v_add_co_u32 v49, s27, s46, v49
	s_delay_alu instid0(VALU_DEP_1) | instskip(SKIP_3) | instid1(VALU_DEP_1)
	v_add_co_ci_u32_e64 v50, s27, s47, v50, s27
	global_store_b64 v[49:50], v[36:37], off
	s_or_b32 exec_lo, exec_lo, s28
	v_cmp_lt_u32_e64 s27, v90, v177
	s_and_saveexec_b32 s29, s27
	s_cbranch_execnz .LBB844_211
.LBB844_196:                            ;   in Loop: Header=BB844_106 Depth=2
	s_or_b32 exec_lo, exec_lo, s29
	v_cmp_lt_u32_e64 s28, v91, v177
	s_delay_alu instid0(VALU_DEP_1)
	s_and_saveexec_b32 s30, s28
	s_cbranch_execz .LBB844_212
.LBB844_197:                            ;   in Loop: Header=BB844_106 Depth=2
	ds_load_b64 v[36:37], v110 offset:24576
	s_waitcnt lgkmcnt(0)
	v_lshrrev_b64 v[49:50], s41, v[36:37]
	v_xor_b32_e32 v37, 0x80000000, v37
	s_delay_alu instid0(VALU_DEP_2) | instskip(NEXT) | instid1(VALU_DEP_1)
	v_and_b32_e32 v2, s43, v49
	v_lshlrev_b32_e32 v2, 2, v2
	ds_load_b32 v2, v2
	s_waitcnt lgkmcnt(0)
	v_add_nc_u32_e32 v2, v2, v91
	s_delay_alu instid0(VALU_DEP_1) | instskip(NEXT) | instid1(VALU_DEP_1)
	v_lshlrev_b64 v[49:50], 3, v[2:3]
	v_add_co_u32 v49, s29, s46, v49
	s_delay_alu instid0(VALU_DEP_1) | instskip(SKIP_3) | instid1(VALU_DEP_1)
	v_add_co_ci_u32_e64 v50, s29, s47, v50, s29
	global_store_b64 v[49:50], v[36:37], off
	s_or_b32 exec_lo, exec_lo, s30
	v_cmp_lt_u32_e64 s29, v92, v177
	s_and_saveexec_b32 s31, s29
	s_cbranch_execnz .LBB844_213
.LBB844_198:                            ;   in Loop: Header=BB844_106 Depth=2
	s_or_b32 exec_lo, exec_lo, s31
	v_cmp_lt_u32_e64 s30, v93, v177
	s_delay_alu instid0(VALU_DEP_1)
	s_and_saveexec_b32 s33, s30
	s_cbranch_execz .LBB844_214
.LBB844_199:                            ;   in Loop: Header=BB844_106 Depth=2
	ds_load_b64 v[36:37], v110 offset:28672
	s_waitcnt lgkmcnt(0)
	v_lshrrev_b64 v[49:50], s41, v[36:37]
	v_xor_b32_e32 v37, 0x80000000, v37
	s_delay_alu instid0(VALU_DEP_2) | instskip(NEXT) | instid1(VALU_DEP_1)
	v_and_b32_e32 v2, s43, v49
	v_lshlrev_b32_e32 v2, 2, v2
	ds_load_b32 v2, v2
	s_waitcnt lgkmcnt(0)
	v_add_nc_u32_e32 v2, v2, v93
	s_delay_alu instid0(VALU_DEP_1) | instskip(NEXT) | instid1(VALU_DEP_1)
	v_lshlrev_b64 v[49:50], 3, v[2:3]
	v_add_co_u32 v49, s31, s46, v49
	s_delay_alu instid0(VALU_DEP_1) | instskip(SKIP_3) | instid1(VALU_DEP_1)
	v_add_co_ci_u32_e64 v50, s31, s47, v50, s31
	global_store_b64 v[49:50], v[36:37], off
	s_or_b32 exec_lo, exec_lo, s33
	v_cmp_lt_u32_e64 s31, v95, v177
	s_and_saveexec_b32 s56, s31
	s_cbranch_execnz .LBB844_215
	s_branch .LBB844_216
.LBB844_200:                            ;   in Loop: Header=BB844_106 Depth=2
	s_or_b32 exec_lo, exec_lo, s18
	v_cmp_lt_u32_e64 s17, v77, v177
	s_delay_alu instid0(VALU_DEP_1)
	s_and_saveexec_b32 s19, s17
	s_cbranch_execz .LBB844_186
.LBB844_201:                            ;   in Loop: Header=BB844_106 Depth=2
	ds_load_b64 v[36:37], v110 offset:2048
	s_waitcnt lgkmcnt(0)
	v_lshrrev_b64 v[49:50], s41, v[36:37]
	v_xor_b32_e32 v37, 0x80000000, v37
	s_delay_alu instid0(VALU_DEP_2) | instskip(NEXT) | instid1(VALU_DEP_1)
	v_and_b32_e32 v2, s43, v49
	v_lshlrev_b32_e32 v2, 2, v2
	ds_load_b32 v2, v2
	s_waitcnt lgkmcnt(0)
	v_add_nc_u32_e32 v2, v2, v77
	s_delay_alu instid0(VALU_DEP_1) | instskip(NEXT) | instid1(VALU_DEP_1)
	v_lshlrev_b64 v[49:50], 3, v[2:3]
	v_add_co_u32 v49, s18, s46, v49
	s_delay_alu instid0(VALU_DEP_1) | instskip(SKIP_3) | instid1(VALU_DEP_1)
	v_add_co_ci_u32_e64 v50, s18, s47, v50, s18
	global_store_b64 v[49:50], v[36:37], off
	s_or_b32 exec_lo, exec_lo, s19
	v_cmp_lt_u32_e64 s18, v78, v177
	s_and_saveexec_b32 s20, s18
	s_cbranch_execnz .LBB844_187
.LBB844_202:                            ;   in Loop: Header=BB844_106 Depth=2
	s_or_b32 exec_lo, exec_lo, s20
	v_cmp_lt_u32_e64 s19, v79, v177
	s_delay_alu instid0(VALU_DEP_1)
	s_and_saveexec_b32 s21, s19
	s_cbranch_execz .LBB844_188
.LBB844_203:                            ;   in Loop: Header=BB844_106 Depth=2
	ds_load_b64 v[36:37], v110 offset:6144
	s_waitcnt lgkmcnt(0)
	v_lshrrev_b64 v[49:50], s41, v[36:37]
	v_xor_b32_e32 v37, 0x80000000, v37
	s_delay_alu instid0(VALU_DEP_2) | instskip(NEXT) | instid1(VALU_DEP_1)
	v_and_b32_e32 v2, s43, v49
	v_lshlrev_b32_e32 v2, 2, v2
	ds_load_b32 v2, v2
	s_waitcnt lgkmcnt(0)
	v_add_nc_u32_e32 v2, v2, v79
	s_delay_alu instid0(VALU_DEP_1) | instskip(NEXT) | instid1(VALU_DEP_1)
	v_lshlrev_b64 v[49:50], 3, v[2:3]
	v_add_co_u32 v49, s20, s46, v49
	s_delay_alu instid0(VALU_DEP_1) | instskip(SKIP_3) | instid1(VALU_DEP_1)
	v_add_co_ci_u32_e64 v50, s20, s47, v50, s20
	global_store_b64 v[49:50], v[36:37], off
	s_or_b32 exec_lo, exec_lo, s21
	v_cmp_lt_u32_e64 s20, v83, v177
	s_and_saveexec_b32 s22, s20
	s_cbranch_execnz .LBB844_189
.LBB844_204:                            ;   in Loop: Header=BB844_106 Depth=2
	s_or_b32 exec_lo, exec_lo, s22
	v_cmp_lt_u32_e64 s21, v84, v177
	s_delay_alu instid0(VALU_DEP_1)
	s_and_saveexec_b32 s23, s21
	s_cbranch_execz .LBB844_190
.LBB844_205:                            ;   in Loop: Header=BB844_106 Depth=2
	ds_load_b64 v[36:37], v110 offset:10240
	s_waitcnt lgkmcnt(0)
	v_lshrrev_b64 v[49:50], s41, v[36:37]
	v_xor_b32_e32 v37, 0x80000000, v37
	s_delay_alu instid0(VALU_DEP_2) | instskip(NEXT) | instid1(VALU_DEP_1)
	v_and_b32_e32 v2, s43, v49
	v_lshlrev_b32_e32 v2, 2, v2
	ds_load_b32 v2, v2
	s_waitcnt lgkmcnt(0)
	v_add_nc_u32_e32 v2, v2, v84
	s_delay_alu instid0(VALU_DEP_1) | instskip(NEXT) | instid1(VALU_DEP_1)
	v_lshlrev_b64 v[49:50], 3, v[2:3]
	v_add_co_u32 v49, s22, s46, v49
	s_delay_alu instid0(VALU_DEP_1) | instskip(SKIP_3) | instid1(VALU_DEP_1)
	v_add_co_ci_u32_e64 v50, s22, s47, v50, s22
	global_store_b64 v[49:50], v[36:37], off
	s_or_b32 exec_lo, exec_lo, s23
	v_cmp_lt_u32_e64 s22, v85, v177
	s_and_saveexec_b32 s24, s22
	s_cbranch_execnz .LBB844_191
.LBB844_206:                            ;   in Loop: Header=BB844_106 Depth=2
	s_or_b32 exec_lo, exec_lo, s24
	v_cmp_lt_u32_e64 s23, v86, v177
	s_delay_alu instid0(VALU_DEP_1)
	s_and_saveexec_b32 s25, s23
	s_cbranch_execz .LBB844_192
.LBB844_207:                            ;   in Loop: Header=BB844_106 Depth=2
	ds_load_b64 v[36:37], v110 offset:14336
	s_waitcnt lgkmcnt(0)
	v_lshrrev_b64 v[49:50], s41, v[36:37]
	v_xor_b32_e32 v37, 0x80000000, v37
	s_delay_alu instid0(VALU_DEP_2) | instskip(NEXT) | instid1(VALU_DEP_1)
	v_and_b32_e32 v2, s43, v49
	v_lshlrev_b32_e32 v2, 2, v2
	ds_load_b32 v2, v2
	s_waitcnt lgkmcnt(0)
	v_add_nc_u32_e32 v2, v2, v86
	s_delay_alu instid0(VALU_DEP_1) | instskip(NEXT) | instid1(VALU_DEP_1)
	v_lshlrev_b64 v[49:50], 3, v[2:3]
	v_add_co_u32 v49, s24, s46, v49
	s_delay_alu instid0(VALU_DEP_1) | instskip(SKIP_3) | instid1(VALU_DEP_1)
	v_add_co_ci_u32_e64 v50, s24, s47, v50, s24
	global_store_b64 v[49:50], v[36:37], off
	s_or_b32 exec_lo, exec_lo, s25
	v_cmp_lt_u32_e64 s24, v87, v177
	s_and_saveexec_b32 s26, s24
	s_cbranch_execnz .LBB844_193
.LBB844_208:                            ;   in Loop: Header=BB844_106 Depth=2
	s_or_b32 exec_lo, exec_lo, s26
	v_cmp_lt_u32_e64 s25, v88, v177
	s_delay_alu instid0(VALU_DEP_1)
	s_and_saveexec_b32 s27, s25
	s_cbranch_execz .LBB844_194
.LBB844_209:                            ;   in Loop: Header=BB844_106 Depth=2
	ds_load_b64 v[36:37], v110 offset:18432
	s_waitcnt lgkmcnt(0)
	v_lshrrev_b64 v[49:50], s41, v[36:37]
	v_xor_b32_e32 v37, 0x80000000, v37
	s_delay_alu instid0(VALU_DEP_2) | instskip(NEXT) | instid1(VALU_DEP_1)
	v_and_b32_e32 v2, s43, v49
	v_lshlrev_b32_e32 v2, 2, v2
	ds_load_b32 v2, v2
	s_waitcnt lgkmcnt(0)
	v_add_nc_u32_e32 v2, v2, v88
	s_delay_alu instid0(VALU_DEP_1) | instskip(NEXT) | instid1(VALU_DEP_1)
	v_lshlrev_b64 v[49:50], 3, v[2:3]
	v_add_co_u32 v49, s26, s46, v49
	s_delay_alu instid0(VALU_DEP_1) | instskip(SKIP_3) | instid1(VALU_DEP_1)
	v_add_co_ci_u32_e64 v50, s26, s47, v50, s26
	global_store_b64 v[49:50], v[36:37], off
	s_or_b32 exec_lo, exec_lo, s27
	v_cmp_lt_u32_e64 s26, v89, v177
	s_and_saveexec_b32 s28, s26
	s_cbranch_execnz .LBB844_195
.LBB844_210:                            ;   in Loop: Header=BB844_106 Depth=2
	s_or_b32 exec_lo, exec_lo, s28
	v_cmp_lt_u32_e64 s27, v90, v177
	s_delay_alu instid0(VALU_DEP_1)
	s_and_saveexec_b32 s29, s27
	s_cbranch_execz .LBB844_196
.LBB844_211:                            ;   in Loop: Header=BB844_106 Depth=2
	ds_load_b64 v[36:37], v110 offset:22528
	s_waitcnt lgkmcnt(0)
	v_lshrrev_b64 v[49:50], s41, v[36:37]
	v_xor_b32_e32 v37, 0x80000000, v37
	s_delay_alu instid0(VALU_DEP_2) | instskip(NEXT) | instid1(VALU_DEP_1)
	v_and_b32_e32 v2, s43, v49
	v_lshlrev_b32_e32 v2, 2, v2
	ds_load_b32 v2, v2
	s_waitcnt lgkmcnt(0)
	v_add_nc_u32_e32 v2, v2, v90
	s_delay_alu instid0(VALU_DEP_1) | instskip(NEXT) | instid1(VALU_DEP_1)
	v_lshlrev_b64 v[49:50], 3, v[2:3]
	v_add_co_u32 v49, s28, s46, v49
	s_delay_alu instid0(VALU_DEP_1) | instskip(SKIP_3) | instid1(VALU_DEP_1)
	v_add_co_ci_u32_e64 v50, s28, s47, v50, s28
	global_store_b64 v[49:50], v[36:37], off
	s_or_b32 exec_lo, exec_lo, s29
	v_cmp_lt_u32_e64 s28, v91, v177
	s_and_saveexec_b32 s30, s28
	s_cbranch_execnz .LBB844_197
.LBB844_212:                            ;   in Loop: Header=BB844_106 Depth=2
	s_or_b32 exec_lo, exec_lo, s30
	v_cmp_lt_u32_e64 s29, v92, v177
	s_delay_alu instid0(VALU_DEP_1)
	s_and_saveexec_b32 s31, s29
	s_cbranch_execz .LBB844_198
.LBB844_213:                            ;   in Loop: Header=BB844_106 Depth=2
	ds_load_b64 v[36:37], v110 offset:26624
	s_waitcnt lgkmcnt(0)
	v_lshrrev_b64 v[49:50], s41, v[36:37]
	v_xor_b32_e32 v37, 0x80000000, v37
	s_delay_alu instid0(VALU_DEP_2) | instskip(NEXT) | instid1(VALU_DEP_1)
	v_and_b32_e32 v2, s43, v49
	v_lshlrev_b32_e32 v2, 2, v2
	ds_load_b32 v2, v2
	s_waitcnt lgkmcnt(0)
	v_add_nc_u32_e32 v2, v2, v92
	s_delay_alu instid0(VALU_DEP_1) | instskip(NEXT) | instid1(VALU_DEP_1)
	v_lshlrev_b64 v[49:50], 3, v[2:3]
	v_add_co_u32 v49, s30, s46, v49
	s_delay_alu instid0(VALU_DEP_1) | instskip(SKIP_3) | instid1(VALU_DEP_1)
	v_add_co_ci_u32_e64 v50, s30, s47, v50, s30
	global_store_b64 v[49:50], v[36:37], off
	s_or_b32 exec_lo, exec_lo, s31
	v_cmp_lt_u32_e64 s30, v93, v177
	s_and_saveexec_b32 s33, s30
	s_cbranch_execnz .LBB844_199
.LBB844_214:                            ;   in Loop: Header=BB844_106 Depth=2
	s_or_b32 exec_lo, exec_lo, s33
	v_cmp_lt_u32_e64 s31, v95, v177
	s_delay_alu instid0(VALU_DEP_1)
	s_and_saveexec_b32 s56, s31
	s_cbranch_execz .LBB844_216
.LBB844_215:                            ;   in Loop: Header=BB844_106 Depth=2
	ds_load_b64 v[36:37], v110 offset:30720
	s_waitcnt lgkmcnt(0)
	v_lshrrev_b64 v[49:50], s41, v[36:37]
	v_xor_b32_e32 v37, 0x80000000, v37
	s_delay_alu instid0(VALU_DEP_2) | instskip(NEXT) | instid1(VALU_DEP_1)
	v_and_b32_e32 v2, s43, v49
	v_lshlrev_b32_e32 v2, 2, v2
	ds_load_b32 v2, v2
	s_waitcnt lgkmcnt(0)
	v_add_nc_u32_e32 v2, v2, v95
	s_delay_alu instid0(VALU_DEP_1) | instskip(NEXT) | instid1(VALU_DEP_1)
	v_lshlrev_b64 v[49:50], 3, v[2:3]
	v_add_co_u32 v49, s33, s46, v49
	s_delay_alu instid0(VALU_DEP_1)
	v_add_co_ci_u32_e64 v50, s33, s47, v50, s33
	global_store_b64 v[49:50], v[36:37], off
.LBB844_216:                            ;   in Loop: Header=BB844_106 Depth=2
	s_or_b32 exec_lo, exec_lo, s56
	s_lshl_b64 s[64:65], s[34:35], 3
	s_delay_alu instid0(SALU_CYCLE_1) | instskip(NEXT) | instid1(VALU_DEP_1)
	v_add_co_u32 v36, s33, v139, s64
	v_add_co_ci_u32_e64 v37, s33, s65, v140, s33
	v_cmp_lt_u32_e64 s33, v138, v177
	s_delay_alu instid0(VALU_DEP_1) | instskip(NEXT) | instid1(SALU_CYCLE_1)
	s_and_saveexec_b32 s34, s33
	s_xor_b32 s33, exec_lo, s34
	s_cbranch_execz .LBB844_248
; %bb.217:                              ;   in Loop: Header=BB844_106 Depth=2
	global_load_b64 v[34:35], v[36:37], off
	s_or_b32 exec_lo, exec_lo, s33
	s_delay_alu instid0(SALU_CYCLE_1)
	s_mov_b32 s34, exec_lo
	v_cmpx_lt_u32_e64 v141, v177
	s_cbranch_execnz .LBB844_249
.LBB844_218:                            ;   in Loop: Header=BB844_106 Depth=2
	s_or_b32 exec_lo, exec_lo, s34
	s_delay_alu instid0(SALU_CYCLE_1)
	s_mov_b32 s34, exec_lo
	v_cmpx_lt_u32_e64 v142, v177
	s_cbranch_execz .LBB844_250
.LBB844_219:                            ;   in Loop: Header=BB844_106 Depth=2
	global_load_b64 v[30:31], v[36:37], off offset:512
	s_or_b32 exec_lo, exec_lo, s34
	s_delay_alu instid0(SALU_CYCLE_1)
	s_mov_b32 s34, exec_lo
	v_cmpx_lt_u32_e64 v143, v177
	s_cbranch_execnz .LBB844_251
.LBB844_220:                            ;   in Loop: Header=BB844_106 Depth=2
	s_or_b32 exec_lo, exec_lo, s34
	s_delay_alu instid0(SALU_CYCLE_1)
	s_mov_b32 s34, exec_lo
	v_cmpx_lt_u32_e64 v144, v177
	s_cbranch_execz .LBB844_252
.LBB844_221:                            ;   in Loop: Header=BB844_106 Depth=2
	global_load_b64 v[26:27], v[36:37], off offset:1024
	s_or_b32 exec_lo, exec_lo, s34
	s_delay_alu instid0(SALU_CYCLE_1)
	s_mov_b32 s34, exec_lo
	v_cmpx_lt_u32_e64 v145, v177
	s_cbranch_execnz .LBB844_253
.LBB844_222:                            ;   in Loop: Header=BB844_106 Depth=2
	s_or_b32 exec_lo, exec_lo, s34
	s_delay_alu instid0(SALU_CYCLE_1)
	s_mov_b32 s34, exec_lo
	v_cmpx_lt_u32_e64 v146, v177
	s_cbranch_execz .LBB844_254
.LBB844_223:                            ;   in Loop: Header=BB844_106 Depth=2
	global_load_b64 v[22:23], v[36:37], off offset:1536
	s_or_b32 exec_lo, exec_lo, s34
	s_delay_alu instid0(SALU_CYCLE_1)
	s_mov_b32 s34, exec_lo
	v_cmpx_lt_u32_e64 v147, v177
	s_cbranch_execnz .LBB844_255
.LBB844_224:                            ;   in Loop: Header=BB844_106 Depth=2
	s_or_b32 exec_lo, exec_lo, s34
	s_delay_alu instid0(SALU_CYCLE_1)
	s_mov_b32 s34, exec_lo
	v_cmpx_lt_u32_e64 v148, v177
	s_cbranch_execz .LBB844_256
.LBB844_225:                            ;   in Loop: Header=BB844_106 Depth=2
	global_load_b64 v[18:19], v[36:37], off offset:2048
	s_or_b32 exec_lo, exec_lo, s34
	s_delay_alu instid0(SALU_CYCLE_1)
	s_mov_b32 s34, exec_lo
	v_cmpx_lt_u32_e64 v149, v177
	s_cbranch_execnz .LBB844_257
.LBB844_226:                            ;   in Loop: Header=BB844_106 Depth=2
	s_or_b32 exec_lo, exec_lo, s34
	s_delay_alu instid0(SALU_CYCLE_1)
	s_mov_b32 s34, exec_lo
	v_cmpx_lt_u32_e64 v150, v177
	s_cbranch_execz .LBB844_258
.LBB844_227:                            ;   in Loop: Header=BB844_106 Depth=2
	global_load_b64 v[14:15], v[36:37], off offset:2560
	s_or_b32 exec_lo, exec_lo, s34
	s_delay_alu instid0(SALU_CYCLE_1)
	s_mov_b32 s34, exec_lo
	v_cmpx_lt_u32_e64 v151, v177
	s_cbranch_execnz .LBB844_259
.LBB844_228:                            ;   in Loop: Header=BB844_106 Depth=2
	s_or_b32 exec_lo, exec_lo, s34
	s_delay_alu instid0(SALU_CYCLE_1)
	s_mov_b32 s34, exec_lo
	v_cmpx_lt_u32_e64 v152, v177
	s_cbranch_execz .LBB844_260
.LBB844_229:                            ;   in Loop: Header=BB844_106 Depth=2
	global_load_b64 v[10:11], v[36:37], off offset:3072
	s_or_b32 exec_lo, exec_lo, s34
	s_delay_alu instid0(SALU_CYCLE_1)
	s_mov_b32 s34, exec_lo
	v_cmpx_lt_u32_e64 v153, v177
	s_cbranch_execnz .LBB844_261
.LBB844_230:                            ;   in Loop: Header=BB844_106 Depth=2
	s_or_b32 exec_lo, exec_lo, s34
	s_delay_alu instid0(SALU_CYCLE_1)
	s_mov_b32 s34, exec_lo
	v_cmpx_lt_u32_e64 v154, v177
	s_cbranch_execz .LBB844_262
.LBB844_231:                            ;   in Loop: Header=BB844_106 Depth=2
	global_load_b64 v[6:7], v[36:37], off offset:3584
	s_or_b32 exec_lo, exec_lo, s34
	s_delay_alu instid0(SALU_CYCLE_1)
	s_mov_b32 s34, exec_lo
	v_cmpx_lt_u32_e64 v155, v177
	s_cbranch_execnz .LBB844_263
.LBB844_232:                            ;   in Loop: Header=BB844_106 Depth=2
	s_or_b32 exec_lo, exec_lo, s34
	s_and_saveexec_b32 s33, vcc_lo
	s_cbranch_execz .LBB844_264
.LBB844_233:                            ;   in Loop: Header=BB844_106 Depth=2
	v_add_nc_u32_e32 v2, v104, v76
	ds_load_b64 v[36:37], v2 offset:1024
	s_waitcnt lgkmcnt(0)
	v_lshrrev_b64 v[36:37], s41, v[36:37]
	s_delay_alu instid0(VALU_DEP_1)
	v_and_b32_e32 v176, s43, v36
	s_or_b32 exec_lo, exec_lo, s33
	s_and_saveexec_b32 s33, s17
	s_cbranch_execnz .LBB844_265
.LBB844_234:                            ;   in Loop: Header=BB844_106 Depth=2
	s_or_b32 exec_lo, exec_lo, s33
	s_and_saveexec_b32 s33, s18
	s_cbranch_execz .LBB844_266
.LBB844_235:                            ;   in Loop: Header=BB844_106 Depth=2
	ds_load_b64 v[36:37], v110 offset:4096
	s_waitcnt lgkmcnt(0)
	v_lshrrev_b64 v[36:37], s41, v[36:37]
	s_delay_alu instid0(VALU_DEP_1)
	v_and_b32_e32 v174, s43, v36
	s_or_b32 exec_lo, exec_lo, s33
	s_and_saveexec_b32 s33, s19
	s_cbranch_execnz .LBB844_267
.LBB844_236:                            ;   in Loop: Header=BB844_106 Depth=2
	s_or_b32 exec_lo, exec_lo, s33
	s_and_saveexec_b32 s33, s20
	s_cbranch_execz .LBB844_268
.LBB844_237:                            ;   in Loop: Header=BB844_106 Depth=2
	ds_load_b64 v[36:37], v110 offset:8192
	s_waitcnt lgkmcnt(0)
	v_lshrrev_b64 v[36:37], s41, v[36:37]
	s_delay_alu instid0(VALU_DEP_1)
	v_and_b32_e32 v172, s43, v36
	s_or_b32 exec_lo, exec_lo, s33
	s_and_saveexec_b32 s33, s21
	s_cbranch_execnz .LBB844_269
.LBB844_238:                            ;   in Loop: Header=BB844_106 Depth=2
	s_or_b32 exec_lo, exec_lo, s33
	s_and_saveexec_b32 s33, s22
	s_cbranch_execz .LBB844_270
.LBB844_239:                            ;   in Loop: Header=BB844_106 Depth=2
	ds_load_b64 v[36:37], v110 offset:12288
	s_waitcnt lgkmcnt(0)
	v_lshrrev_b64 v[36:37], s41, v[36:37]
	s_delay_alu instid0(VALU_DEP_1)
	v_and_b32_e32 v170, s43, v36
	s_or_b32 exec_lo, exec_lo, s33
	s_and_saveexec_b32 s33, s23
	s_cbranch_execnz .LBB844_271
.LBB844_240:                            ;   in Loop: Header=BB844_106 Depth=2
	s_or_b32 exec_lo, exec_lo, s33
	s_and_saveexec_b32 s33, s24
	s_cbranch_execz .LBB844_272
.LBB844_241:                            ;   in Loop: Header=BB844_106 Depth=2
	ds_load_b64 v[36:37], v110 offset:16384
	s_waitcnt lgkmcnt(0)
	v_lshrrev_b64 v[36:37], s41, v[36:37]
	s_delay_alu instid0(VALU_DEP_1)
	v_and_b32_e32 v168, s43, v36
	s_or_b32 exec_lo, exec_lo, s33
	s_and_saveexec_b32 s33, s25
	s_cbranch_execnz .LBB844_273
.LBB844_242:                            ;   in Loop: Header=BB844_106 Depth=2
	s_or_b32 exec_lo, exec_lo, s33
	s_and_saveexec_b32 s33, s26
	s_cbranch_execz .LBB844_274
.LBB844_243:                            ;   in Loop: Header=BB844_106 Depth=2
	ds_load_b64 v[36:37], v110 offset:20480
	s_waitcnt lgkmcnt(0)
	v_lshrrev_b64 v[36:37], s41, v[36:37]
	s_delay_alu instid0(VALU_DEP_1)
	v_and_b32_e32 v166, s43, v36
	s_or_b32 exec_lo, exec_lo, s33
	s_and_saveexec_b32 s33, s27
	s_cbranch_execnz .LBB844_275
.LBB844_244:                            ;   in Loop: Header=BB844_106 Depth=2
	s_or_b32 exec_lo, exec_lo, s33
	s_and_saveexec_b32 s33, s28
	s_cbranch_execz .LBB844_276
.LBB844_245:                            ;   in Loop: Header=BB844_106 Depth=2
	ds_load_b64 v[36:37], v110 offset:24576
	s_waitcnt lgkmcnt(0)
	v_lshrrev_b64 v[36:37], s41, v[36:37]
	s_delay_alu instid0(VALU_DEP_1)
	v_and_b32_e32 v164, s43, v36
	s_or_b32 exec_lo, exec_lo, s33
	s_and_saveexec_b32 s33, s29
	s_cbranch_execnz .LBB844_277
.LBB844_246:                            ;   in Loop: Header=BB844_106 Depth=2
	s_or_b32 exec_lo, exec_lo, s33
	s_and_saveexec_b32 s33, s30
	s_cbranch_execz .LBB844_278
.LBB844_247:                            ;   in Loop: Header=BB844_106 Depth=2
	ds_load_b64 v[36:37], v110 offset:28672
	s_waitcnt lgkmcnt(0)
	v_lshrrev_b64 v[36:37], s41, v[36:37]
	s_delay_alu instid0(VALU_DEP_1)
	v_and_b32_e32 v162, s43, v36
	s_or_b32 exec_lo, exec_lo, s33
	s_and_saveexec_b32 s33, s31
	s_cbranch_execnz .LBB844_279
	s_branch .LBB844_280
.LBB844_248:                            ;   in Loop: Header=BB844_106 Depth=2
	s_or_b32 exec_lo, exec_lo, s33
	s_delay_alu instid0(SALU_CYCLE_1)
	s_mov_b32 s34, exec_lo
	v_cmpx_lt_u32_e64 v141, v177
	s_cbranch_execz .LBB844_218
.LBB844_249:                            ;   in Loop: Header=BB844_106 Depth=2
	global_load_b64 v[32:33], v[36:37], off offset:256
	s_or_b32 exec_lo, exec_lo, s34
	s_delay_alu instid0(SALU_CYCLE_1)
	s_mov_b32 s34, exec_lo
	v_cmpx_lt_u32_e64 v142, v177
	s_cbranch_execnz .LBB844_219
.LBB844_250:                            ;   in Loop: Header=BB844_106 Depth=2
	s_or_b32 exec_lo, exec_lo, s34
	s_delay_alu instid0(SALU_CYCLE_1)
	s_mov_b32 s34, exec_lo
	v_cmpx_lt_u32_e64 v143, v177
	s_cbranch_execz .LBB844_220
.LBB844_251:                            ;   in Loop: Header=BB844_106 Depth=2
	global_load_b64 v[28:29], v[36:37], off offset:768
	s_or_b32 exec_lo, exec_lo, s34
	s_delay_alu instid0(SALU_CYCLE_1)
	s_mov_b32 s34, exec_lo
	v_cmpx_lt_u32_e64 v144, v177
	s_cbranch_execnz .LBB844_221
.LBB844_252:                            ;   in Loop: Header=BB844_106 Depth=2
	s_or_b32 exec_lo, exec_lo, s34
	s_delay_alu instid0(SALU_CYCLE_1)
	s_mov_b32 s34, exec_lo
	v_cmpx_lt_u32_e64 v145, v177
	s_cbranch_execz .LBB844_222
.LBB844_253:                            ;   in Loop: Header=BB844_106 Depth=2
	global_load_b64 v[24:25], v[36:37], off offset:1280
	s_or_b32 exec_lo, exec_lo, s34
	s_delay_alu instid0(SALU_CYCLE_1)
	s_mov_b32 s34, exec_lo
	v_cmpx_lt_u32_e64 v146, v177
	s_cbranch_execnz .LBB844_223
.LBB844_254:                            ;   in Loop: Header=BB844_106 Depth=2
	s_or_b32 exec_lo, exec_lo, s34
	s_delay_alu instid0(SALU_CYCLE_1)
	s_mov_b32 s34, exec_lo
	v_cmpx_lt_u32_e64 v147, v177
	s_cbranch_execz .LBB844_224
.LBB844_255:                            ;   in Loop: Header=BB844_106 Depth=2
	global_load_b64 v[20:21], v[36:37], off offset:1792
	s_or_b32 exec_lo, exec_lo, s34
	s_delay_alu instid0(SALU_CYCLE_1)
	s_mov_b32 s34, exec_lo
	v_cmpx_lt_u32_e64 v148, v177
	s_cbranch_execnz .LBB844_225
.LBB844_256:                            ;   in Loop: Header=BB844_106 Depth=2
	s_or_b32 exec_lo, exec_lo, s34
	s_delay_alu instid0(SALU_CYCLE_1)
	s_mov_b32 s34, exec_lo
	v_cmpx_lt_u32_e64 v149, v177
	s_cbranch_execz .LBB844_226
.LBB844_257:                            ;   in Loop: Header=BB844_106 Depth=2
	global_load_b64 v[16:17], v[36:37], off offset:2304
	s_or_b32 exec_lo, exec_lo, s34
	s_delay_alu instid0(SALU_CYCLE_1)
	s_mov_b32 s34, exec_lo
	v_cmpx_lt_u32_e64 v150, v177
	s_cbranch_execnz .LBB844_227
.LBB844_258:                            ;   in Loop: Header=BB844_106 Depth=2
	s_or_b32 exec_lo, exec_lo, s34
	s_delay_alu instid0(SALU_CYCLE_1)
	s_mov_b32 s34, exec_lo
	v_cmpx_lt_u32_e64 v151, v177
	s_cbranch_execz .LBB844_228
.LBB844_259:                            ;   in Loop: Header=BB844_106 Depth=2
	global_load_b64 v[12:13], v[36:37], off offset:2816
	s_or_b32 exec_lo, exec_lo, s34
	s_delay_alu instid0(SALU_CYCLE_1)
	s_mov_b32 s34, exec_lo
	v_cmpx_lt_u32_e64 v152, v177
	s_cbranch_execnz .LBB844_229
.LBB844_260:                            ;   in Loop: Header=BB844_106 Depth=2
	s_or_b32 exec_lo, exec_lo, s34
	s_delay_alu instid0(SALU_CYCLE_1)
	s_mov_b32 s34, exec_lo
	v_cmpx_lt_u32_e64 v153, v177
	s_cbranch_execz .LBB844_230
.LBB844_261:                            ;   in Loop: Header=BB844_106 Depth=2
	global_load_b64 v[8:9], v[36:37], off offset:3328
	s_or_b32 exec_lo, exec_lo, s34
	s_delay_alu instid0(SALU_CYCLE_1)
	s_mov_b32 s34, exec_lo
	v_cmpx_lt_u32_e64 v154, v177
	s_cbranch_execnz .LBB844_231
.LBB844_262:                            ;   in Loop: Header=BB844_106 Depth=2
	s_or_b32 exec_lo, exec_lo, s34
	s_delay_alu instid0(SALU_CYCLE_1)
	s_mov_b32 s34, exec_lo
	v_cmpx_lt_u32_e64 v155, v177
	s_cbranch_execz .LBB844_232
.LBB844_263:                            ;   in Loop: Header=BB844_106 Depth=2
	global_load_b64 v[4:5], v[36:37], off offset:3840
	s_or_b32 exec_lo, exec_lo, s34
	s_and_saveexec_b32 s33, vcc_lo
	s_cbranch_execnz .LBB844_233
.LBB844_264:                            ;   in Loop: Header=BB844_106 Depth=2
	s_or_b32 exec_lo, exec_lo, s33
	s_and_saveexec_b32 s33, s17
	s_cbranch_execz .LBB844_234
.LBB844_265:                            ;   in Loop: Header=BB844_106 Depth=2
	ds_load_b64 v[36:37], v110 offset:2048
	s_waitcnt lgkmcnt(0)
	v_lshrrev_b64 v[36:37], s41, v[36:37]
	s_delay_alu instid0(VALU_DEP_1)
	v_and_b32_e32 v175, s43, v36
	s_or_b32 exec_lo, exec_lo, s33
	s_and_saveexec_b32 s33, s18
	s_cbranch_execnz .LBB844_235
.LBB844_266:                            ;   in Loop: Header=BB844_106 Depth=2
	s_or_b32 exec_lo, exec_lo, s33
	s_and_saveexec_b32 s33, s19
	s_cbranch_execz .LBB844_236
.LBB844_267:                            ;   in Loop: Header=BB844_106 Depth=2
	ds_load_b64 v[36:37], v110 offset:6144
	s_waitcnt lgkmcnt(0)
	v_lshrrev_b64 v[36:37], s41, v[36:37]
	s_delay_alu instid0(VALU_DEP_1)
	v_and_b32_e32 v173, s43, v36
	s_or_b32 exec_lo, exec_lo, s33
	s_and_saveexec_b32 s33, s20
	s_cbranch_execnz .LBB844_237
.LBB844_268:                            ;   in Loop: Header=BB844_106 Depth=2
	s_or_b32 exec_lo, exec_lo, s33
	s_and_saveexec_b32 s33, s21
	s_cbranch_execz .LBB844_238
.LBB844_269:                            ;   in Loop: Header=BB844_106 Depth=2
	ds_load_b64 v[36:37], v110 offset:10240
	s_waitcnt lgkmcnt(0)
	v_lshrrev_b64 v[36:37], s41, v[36:37]
	s_delay_alu instid0(VALU_DEP_1)
	v_and_b32_e32 v171, s43, v36
	s_or_b32 exec_lo, exec_lo, s33
	s_and_saveexec_b32 s33, s22
	s_cbranch_execnz .LBB844_239
.LBB844_270:                            ;   in Loop: Header=BB844_106 Depth=2
	s_or_b32 exec_lo, exec_lo, s33
	s_and_saveexec_b32 s33, s23
	s_cbranch_execz .LBB844_240
.LBB844_271:                            ;   in Loop: Header=BB844_106 Depth=2
	ds_load_b64 v[36:37], v110 offset:14336
	s_waitcnt lgkmcnt(0)
	v_lshrrev_b64 v[36:37], s41, v[36:37]
	s_delay_alu instid0(VALU_DEP_1)
	v_and_b32_e32 v169, s43, v36
	s_or_b32 exec_lo, exec_lo, s33
	s_and_saveexec_b32 s33, s24
	s_cbranch_execnz .LBB844_241
.LBB844_272:                            ;   in Loop: Header=BB844_106 Depth=2
	s_or_b32 exec_lo, exec_lo, s33
	s_and_saveexec_b32 s33, s25
	s_cbranch_execz .LBB844_242
.LBB844_273:                            ;   in Loop: Header=BB844_106 Depth=2
	ds_load_b64 v[36:37], v110 offset:18432
	s_waitcnt lgkmcnt(0)
	v_lshrrev_b64 v[36:37], s41, v[36:37]
	s_delay_alu instid0(VALU_DEP_1)
	v_and_b32_e32 v167, s43, v36
	s_or_b32 exec_lo, exec_lo, s33
	s_and_saveexec_b32 s33, s26
	s_cbranch_execnz .LBB844_243
.LBB844_274:                            ;   in Loop: Header=BB844_106 Depth=2
	s_or_b32 exec_lo, exec_lo, s33
	s_and_saveexec_b32 s33, s27
	s_cbranch_execz .LBB844_244
.LBB844_275:                            ;   in Loop: Header=BB844_106 Depth=2
	ds_load_b64 v[36:37], v110 offset:22528
	s_waitcnt lgkmcnt(0)
	v_lshrrev_b64 v[36:37], s41, v[36:37]
	s_delay_alu instid0(VALU_DEP_1)
	v_and_b32_e32 v165, s43, v36
	s_or_b32 exec_lo, exec_lo, s33
	s_and_saveexec_b32 s33, s28
	s_cbranch_execnz .LBB844_245
.LBB844_276:                            ;   in Loop: Header=BB844_106 Depth=2
	s_or_b32 exec_lo, exec_lo, s33
	s_and_saveexec_b32 s33, s29
	s_cbranch_execz .LBB844_246
.LBB844_277:                            ;   in Loop: Header=BB844_106 Depth=2
	ds_load_b64 v[36:37], v110 offset:26624
	s_waitcnt lgkmcnt(0)
	v_lshrrev_b64 v[36:37], s41, v[36:37]
	s_delay_alu instid0(VALU_DEP_1)
	v_and_b32_e32 v163, s43, v36
	s_or_b32 exec_lo, exec_lo, s33
	s_and_saveexec_b32 s33, s30
	s_cbranch_execnz .LBB844_247
.LBB844_278:                            ;   in Loop: Header=BB844_106 Depth=2
	s_or_b32 exec_lo, exec_lo, s33
	s_and_saveexec_b32 s33, s31
	s_cbranch_execz .LBB844_280
.LBB844_279:                            ;   in Loop: Header=BB844_106 Depth=2
	ds_load_b64 v[36:37], v110 offset:30720
	s_waitcnt lgkmcnt(0)
	v_lshrrev_b64 v[36:37], s41, v[36:37]
	s_delay_alu instid0(VALU_DEP_1)
	v_and_b32_e32 v161, s43, v36
.LBB844_280:                            ;   in Loop: Header=BB844_106 Depth=2
	s_or_b32 exec_lo, exec_lo, s33
	v_add_nc_u32_e32 v2, 0x400, v69
	v_add_nc_u32_e32 v36, 0x400, v70
	;; [unrolled: 1-line block ×16, first 2 shown]
	s_waitcnt vmcnt(0)
	s_waitcnt_vscnt null, 0x0
	s_barrier
	buffer_gl0_inv
	ds_store_b64 v2, v[34:35]
	ds_store_b64 v36, v[32:33]
	;; [unrolled: 1-line block ×16, first 2 shown]
	s_waitcnt lgkmcnt(0)
	s_barrier
	buffer_gl0_inv
	s_and_saveexec_b32 s33, vcc_lo
	s_cbranch_execz .LBB844_296
; %bb.281:                              ;   in Loop: Header=BB844_106 Depth=2
	v_lshlrev_b32_e32 v2, 2, v176
	v_add_nc_u32_e32 v36, v104, v76
	ds_load_b32 v2, v2
	ds_load_b64 v[36:37], v36 offset:1024
	s_waitcnt lgkmcnt(1)
	v_add_nc_u32_e32 v2, v2, v1
	s_delay_alu instid0(VALU_DEP_1) | instskip(NEXT) | instid1(VALU_DEP_1)
	v_lshlrev_b64 v[38:39], 3, v[2:3]
	v_add_co_u32 v38, vcc_lo, s52, v38
	s_delay_alu instid0(VALU_DEP_2)
	v_add_co_ci_u32_e32 v39, vcc_lo, s53, v39, vcc_lo
	s_waitcnt lgkmcnt(0)
	global_store_b64 v[38:39], v[36:37], off
	s_or_b32 exec_lo, exec_lo, s33
	s_and_saveexec_b32 s33, s17
	s_cbranch_execnz .LBB844_297
.LBB844_282:                            ;   in Loop: Header=BB844_106 Depth=2
	s_or_b32 exec_lo, exec_lo, s33
	s_and_saveexec_b32 s17, s18
	s_cbranch_execz .LBB844_298
.LBB844_283:                            ;   in Loop: Header=BB844_106 Depth=2
	v_lshlrev_b32_e32 v2, 2, v174
	ds_load_b32 v2, v2
	ds_load_b64 v[36:37], v110 offset:4096
	s_waitcnt lgkmcnt(1)
	v_add_nc_u32_e32 v2, v2, v78
	s_delay_alu instid0(VALU_DEP_1) | instskip(NEXT) | instid1(VALU_DEP_1)
	v_lshlrev_b64 v[38:39], 3, v[2:3]
	v_add_co_u32 v38, vcc_lo, s52, v38
	s_delay_alu instid0(VALU_DEP_2)
	v_add_co_ci_u32_e32 v39, vcc_lo, s53, v39, vcc_lo
	s_waitcnt lgkmcnt(0)
	global_store_b64 v[38:39], v[36:37], off
	s_or_b32 exec_lo, exec_lo, s17
	s_and_saveexec_b32 s17, s19
	s_cbranch_execnz .LBB844_299
.LBB844_284:                            ;   in Loop: Header=BB844_106 Depth=2
	s_or_b32 exec_lo, exec_lo, s17
	s_and_saveexec_b32 s17, s20
	s_cbranch_execz .LBB844_300
.LBB844_285:                            ;   in Loop: Header=BB844_106 Depth=2
	v_lshlrev_b32_e32 v2, 2, v172
	ds_load_b32 v2, v2
	ds_load_b64 v[36:37], v110 offset:8192
	s_waitcnt lgkmcnt(1)
	v_add_nc_u32_e32 v2, v2, v83
	s_delay_alu instid0(VALU_DEP_1) | instskip(NEXT) | instid1(VALU_DEP_1)
	v_lshlrev_b64 v[38:39], 3, v[2:3]
	v_add_co_u32 v38, vcc_lo, s52, v38
	s_delay_alu instid0(VALU_DEP_2)
	v_add_co_ci_u32_e32 v39, vcc_lo, s53, v39, vcc_lo
	s_waitcnt lgkmcnt(0)
	global_store_b64 v[38:39], v[36:37], off
	s_or_b32 exec_lo, exec_lo, s17
	s_and_saveexec_b32 s17, s21
	s_cbranch_execnz .LBB844_301
.LBB844_286:                            ;   in Loop: Header=BB844_106 Depth=2
	s_or_b32 exec_lo, exec_lo, s17
	s_and_saveexec_b32 s17, s22
	s_cbranch_execz .LBB844_302
.LBB844_287:                            ;   in Loop: Header=BB844_106 Depth=2
	v_lshlrev_b32_e32 v2, 2, v170
	ds_load_b32 v2, v2
	ds_load_b64 v[36:37], v110 offset:12288
	s_waitcnt lgkmcnt(1)
	v_add_nc_u32_e32 v2, v2, v85
	s_delay_alu instid0(VALU_DEP_1) | instskip(NEXT) | instid1(VALU_DEP_1)
	v_lshlrev_b64 v[38:39], 3, v[2:3]
	v_add_co_u32 v38, vcc_lo, s52, v38
	s_delay_alu instid0(VALU_DEP_2)
	v_add_co_ci_u32_e32 v39, vcc_lo, s53, v39, vcc_lo
	s_waitcnt lgkmcnt(0)
	global_store_b64 v[38:39], v[36:37], off
	s_or_b32 exec_lo, exec_lo, s17
	s_and_saveexec_b32 s17, s23
	s_cbranch_execnz .LBB844_303
.LBB844_288:                            ;   in Loop: Header=BB844_106 Depth=2
	s_or_b32 exec_lo, exec_lo, s17
	s_and_saveexec_b32 s17, s24
	s_cbranch_execz .LBB844_304
.LBB844_289:                            ;   in Loop: Header=BB844_106 Depth=2
	v_lshlrev_b32_e32 v2, 2, v168
	ds_load_b32 v2, v2
	ds_load_b64 v[36:37], v110 offset:16384
	s_waitcnt lgkmcnt(1)
	v_add_nc_u32_e32 v2, v2, v87
	s_delay_alu instid0(VALU_DEP_1) | instskip(NEXT) | instid1(VALU_DEP_1)
	v_lshlrev_b64 v[38:39], 3, v[2:3]
	v_add_co_u32 v38, vcc_lo, s52, v38
	s_delay_alu instid0(VALU_DEP_2)
	v_add_co_ci_u32_e32 v39, vcc_lo, s53, v39, vcc_lo
	s_waitcnt lgkmcnt(0)
	global_store_b64 v[38:39], v[36:37], off
	s_or_b32 exec_lo, exec_lo, s17
	s_and_saveexec_b32 s17, s25
	s_cbranch_execnz .LBB844_305
.LBB844_290:                            ;   in Loop: Header=BB844_106 Depth=2
	s_or_b32 exec_lo, exec_lo, s17
	s_and_saveexec_b32 s17, s26
	s_cbranch_execz .LBB844_306
.LBB844_291:                            ;   in Loop: Header=BB844_106 Depth=2
	v_lshlrev_b32_e32 v2, 2, v166
	ds_load_b32 v2, v2
	ds_load_b64 v[36:37], v110 offset:20480
	s_waitcnt lgkmcnt(1)
	v_add_nc_u32_e32 v2, v2, v89
	s_delay_alu instid0(VALU_DEP_1) | instskip(NEXT) | instid1(VALU_DEP_1)
	v_lshlrev_b64 v[38:39], 3, v[2:3]
	v_add_co_u32 v38, vcc_lo, s52, v38
	s_delay_alu instid0(VALU_DEP_2)
	v_add_co_ci_u32_e32 v39, vcc_lo, s53, v39, vcc_lo
	s_waitcnt lgkmcnt(0)
	global_store_b64 v[38:39], v[36:37], off
	s_or_b32 exec_lo, exec_lo, s17
	s_and_saveexec_b32 s17, s27
	s_cbranch_execnz .LBB844_307
.LBB844_292:                            ;   in Loop: Header=BB844_106 Depth=2
	s_or_b32 exec_lo, exec_lo, s17
	s_and_saveexec_b32 s17, s28
	s_cbranch_execz .LBB844_308
.LBB844_293:                            ;   in Loop: Header=BB844_106 Depth=2
	v_lshlrev_b32_e32 v2, 2, v164
	ds_load_b32 v2, v2
	ds_load_b64 v[36:37], v110 offset:24576
	s_waitcnt lgkmcnt(1)
	v_add_nc_u32_e32 v2, v2, v91
	s_delay_alu instid0(VALU_DEP_1) | instskip(NEXT) | instid1(VALU_DEP_1)
	v_lshlrev_b64 v[38:39], 3, v[2:3]
	v_add_co_u32 v38, vcc_lo, s52, v38
	s_delay_alu instid0(VALU_DEP_2)
	v_add_co_ci_u32_e32 v39, vcc_lo, s53, v39, vcc_lo
	s_waitcnt lgkmcnt(0)
	global_store_b64 v[38:39], v[36:37], off
	s_or_b32 exec_lo, exec_lo, s17
	s_and_saveexec_b32 s17, s29
	s_cbranch_execnz .LBB844_309
.LBB844_294:                            ;   in Loop: Header=BB844_106 Depth=2
	s_or_b32 exec_lo, exec_lo, s17
	s_and_saveexec_b32 s17, s30
	s_cbranch_execz .LBB844_310
.LBB844_295:                            ;   in Loop: Header=BB844_106 Depth=2
	v_lshlrev_b32_e32 v2, 2, v162
	ds_load_b32 v2, v2
	ds_load_b64 v[36:37], v110 offset:28672
	s_waitcnt lgkmcnt(1)
	v_add_nc_u32_e32 v2, v2, v93
	s_delay_alu instid0(VALU_DEP_1) | instskip(NEXT) | instid1(VALU_DEP_1)
	v_lshlrev_b64 v[38:39], 3, v[2:3]
	v_add_co_u32 v38, vcc_lo, s52, v38
	s_delay_alu instid0(VALU_DEP_2)
	v_add_co_ci_u32_e32 v39, vcc_lo, s53, v39, vcc_lo
	s_waitcnt lgkmcnt(0)
	global_store_b64 v[38:39], v[36:37], off
	s_or_b32 exec_lo, exec_lo, s17
	s_and_saveexec_b32 s17, s31
	s_cbranch_execnz .LBB844_311
	s_branch .LBB844_312
.LBB844_296:                            ;   in Loop: Header=BB844_106 Depth=2
	s_or_b32 exec_lo, exec_lo, s33
	s_and_saveexec_b32 s33, s17
	s_cbranch_execz .LBB844_282
.LBB844_297:                            ;   in Loop: Header=BB844_106 Depth=2
	v_lshlrev_b32_e32 v2, 2, v175
	ds_load_b32 v2, v2
	ds_load_b64 v[36:37], v110 offset:2048
	s_waitcnt lgkmcnt(1)
	v_add_nc_u32_e32 v2, v2, v77
	s_delay_alu instid0(VALU_DEP_1) | instskip(NEXT) | instid1(VALU_DEP_1)
	v_lshlrev_b64 v[38:39], 3, v[2:3]
	v_add_co_u32 v38, vcc_lo, s52, v38
	s_delay_alu instid0(VALU_DEP_2)
	v_add_co_ci_u32_e32 v39, vcc_lo, s53, v39, vcc_lo
	s_waitcnt lgkmcnt(0)
	global_store_b64 v[38:39], v[36:37], off
	s_or_b32 exec_lo, exec_lo, s33
	s_and_saveexec_b32 s17, s18
	s_cbranch_execnz .LBB844_283
.LBB844_298:                            ;   in Loop: Header=BB844_106 Depth=2
	s_or_b32 exec_lo, exec_lo, s17
	s_and_saveexec_b32 s17, s19
	s_cbranch_execz .LBB844_284
.LBB844_299:                            ;   in Loop: Header=BB844_106 Depth=2
	v_lshlrev_b32_e32 v2, 2, v173
	ds_load_b32 v2, v2
	ds_load_b64 v[36:37], v110 offset:6144
	s_waitcnt lgkmcnt(1)
	v_add_nc_u32_e32 v2, v2, v79
	s_delay_alu instid0(VALU_DEP_1) | instskip(NEXT) | instid1(VALU_DEP_1)
	v_lshlrev_b64 v[38:39], 3, v[2:3]
	v_add_co_u32 v38, vcc_lo, s52, v38
	s_delay_alu instid0(VALU_DEP_2)
	v_add_co_ci_u32_e32 v39, vcc_lo, s53, v39, vcc_lo
	s_waitcnt lgkmcnt(0)
	global_store_b64 v[38:39], v[36:37], off
	s_or_b32 exec_lo, exec_lo, s17
	s_and_saveexec_b32 s17, s20
	s_cbranch_execnz .LBB844_285
.LBB844_300:                            ;   in Loop: Header=BB844_106 Depth=2
	s_or_b32 exec_lo, exec_lo, s17
	s_and_saveexec_b32 s17, s21
	s_cbranch_execz .LBB844_286
.LBB844_301:                            ;   in Loop: Header=BB844_106 Depth=2
	v_lshlrev_b32_e32 v2, 2, v171
	ds_load_b32 v2, v2
	ds_load_b64 v[36:37], v110 offset:10240
	s_waitcnt lgkmcnt(1)
	v_add_nc_u32_e32 v2, v2, v84
	s_delay_alu instid0(VALU_DEP_1) | instskip(NEXT) | instid1(VALU_DEP_1)
	v_lshlrev_b64 v[38:39], 3, v[2:3]
	v_add_co_u32 v38, vcc_lo, s52, v38
	s_delay_alu instid0(VALU_DEP_2)
	v_add_co_ci_u32_e32 v39, vcc_lo, s53, v39, vcc_lo
	s_waitcnt lgkmcnt(0)
	global_store_b64 v[38:39], v[36:37], off
	s_or_b32 exec_lo, exec_lo, s17
	s_and_saveexec_b32 s17, s22
	s_cbranch_execnz .LBB844_287
.LBB844_302:                            ;   in Loop: Header=BB844_106 Depth=2
	s_or_b32 exec_lo, exec_lo, s17
	s_and_saveexec_b32 s17, s23
	s_cbranch_execz .LBB844_288
.LBB844_303:                            ;   in Loop: Header=BB844_106 Depth=2
	v_lshlrev_b32_e32 v2, 2, v169
	ds_load_b32 v2, v2
	ds_load_b64 v[36:37], v110 offset:14336
	s_waitcnt lgkmcnt(1)
	v_add_nc_u32_e32 v2, v2, v86
	s_delay_alu instid0(VALU_DEP_1) | instskip(NEXT) | instid1(VALU_DEP_1)
	v_lshlrev_b64 v[38:39], 3, v[2:3]
	v_add_co_u32 v38, vcc_lo, s52, v38
	s_delay_alu instid0(VALU_DEP_2)
	v_add_co_ci_u32_e32 v39, vcc_lo, s53, v39, vcc_lo
	s_waitcnt lgkmcnt(0)
	global_store_b64 v[38:39], v[36:37], off
	s_or_b32 exec_lo, exec_lo, s17
	s_and_saveexec_b32 s17, s24
	s_cbranch_execnz .LBB844_289
.LBB844_304:                            ;   in Loop: Header=BB844_106 Depth=2
	s_or_b32 exec_lo, exec_lo, s17
	s_and_saveexec_b32 s17, s25
	s_cbranch_execz .LBB844_290
.LBB844_305:                            ;   in Loop: Header=BB844_106 Depth=2
	v_lshlrev_b32_e32 v2, 2, v167
	ds_load_b32 v2, v2
	ds_load_b64 v[36:37], v110 offset:18432
	s_waitcnt lgkmcnt(1)
	v_add_nc_u32_e32 v2, v2, v88
	s_delay_alu instid0(VALU_DEP_1) | instskip(NEXT) | instid1(VALU_DEP_1)
	v_lshlrev_b64 v[38:39], 3, v[2:3]
	v_add_co_u32 v38, vcc_lo, s52, v38
	s_delay_alu instid0(VALU_DEP_2)
	v_add_co_ci_u32_e32 v39, vcc_lo, s53, v39, vcc_lo
	s_waitcnt lgkmcnt(0)
	global_store_b64 v[38:39], v[36:37], off
	s_or_b32 exec_lo, exec_lo, s17
	s_and_saveexec_b32 s17, s26
	s_cbranch_execnz .LBB844_291
.LBB844_306:                            ;   in Loop: Header=BB844_106 Depth=2
	s_or_b32 exec_lo, exec_lo, s17
	s_and_saveexec_b32 s17, s27
	s_cbranch_execz .LBB844_292
.LBB844_307:                            ;   in Loop: Header=BB844_106 Depth=2
	v_lshlrev_b32_e32 v2, 2, v165
	ds_load_b32 v2, v2
	ds_load_b64 v[36:37], v110 offset:22528
	s_waitcnt lgkmcnt(1)
	v_add_nc_u32_e32 v2, v2, v90
	s_delay_alu instid0(VALU_DEP_1) | instskip(NEXT) | instid1(VALU_DEP_1)
	v_lshlrev_b64 v[38:39], 3, v[2:3]
	v_add_co_u32 v38, vcc_lo, s52, v38
	s_delay_alu instid0(VALU_DEP_2)
	v_add_co_ci_u32_e32 v39, vcc_lo, s53, v39, vcc_lo
	s_waitcnt lgkmcnt(0)
	global_store_b64 v[38:39], v[36:37], off
	s_or_b32 exec_lo, exec_lo, s17
	s_and_saveexec_b32 s17, s28
	s_cbranch_execnz .LBB844_293
.LBB844_308:                            ;   in Loop: Header=BB844_106 Depth=2
	s_or_b32 exec_lo, exec_lo, s17
	s_and_saveexec_b32 s17, s29
	s_cbranch_execz .LBB844_294
.LBB844_309:                            ;   in Loop: Header=BB844_106 Depth=2
	v_lshlrev_b32_e32 v2, 2, v163
	ds_load_b32 v2, v2
	ds_load_b64 v[36:37], v110 offset:26624
	s_waitcnt lgkmcnt(1)
	v_add_nc_u32_e32 v2, v2, v92
	s_delay_alu instid0(VALU_DEP_1) | instskip(NEXT) | instid1(VALU_DEP_1)
	v_lshlrev_b64 v[38:39], 3, v[2:3]
	v_add_co_u32 v38, vcc_lo, s52, v38
	s_delay_alu instid0(VALU_DEP_2)
	v_add_co_ci_u32_e32 v39, vcc_lo, s53, v39, vcc_lo
	s_waitcnt lgkmcnt(0)
	global_store_b64 v[38:39], v[36:37], off
	s_or_b32 exec_lo, exec_lo, s17
	s_and_saveexec_b32 s17, s30
	s_cbranch_execnz .LBB844_295
.LBB844_310:                            ;   in Loop: Header=BB844_106 Depth=2
	s_or_b32 exec_lo, exec_lo, s17
	s_and_saveexec_b32 s17, s31
	s_cbranch_execz .LBB844_312
.LBB844_311:                            ;   in Loop: Header=BB844_106 Depth=2
	v_lshlrev_b32_e32 v2, 2, v161
	ds_load_b32 v2, v2
	ds_load_b64 v[36:37], v110 offset:30720
	s_waitcnt lgkmcnt(1)
	v_add_nc_u32_e32 v2, v2, v95
	s_delay_alu instid0(VALU_DEP_1) | instskip(NEXT) | instid1(VALU_DEP_1)
	v_lshlrev_b64 v[38:39], 3, v[2:3]
	v_add_co_u32 v38, vcc_lo, s52, v38
	s_delay_alu instid0(VALU_DEP_2)
	v_add_co_ci_u32_e32 v39, vcc_lo, s53, v39, vcc_lo
	s_waitcnt lgkmcnt(0)
	global_store_b64 v[38:39], v[36:37], off
.LBB844_312:                            ;   in Loop: Header=BB844_106 Depth=2
	s_or_b32 exec_lo, exec_lo, s17
	s_waitcnt_vscnt null, 0x0
	s_barrier
	buffer_gl0_inv
	s_and_saveexec_b32 s17, s2
	s_cbranch_execz .LBB844_105
; %bb.313:                              ;   in Loop: Header=BB844_106 Depth=2
	ds_load_b32 v2, v76
	s_waitcnt lgkmcnt(0)
	v_add_nc_u32_e32 v2, v2, v68
	ds_store_b32 v76, v2
	s_branch .LBB844_105
.LBB844_314:                            ;   in Loop: Header=BB844_20 Depth=1
	s_waitcnt lgkmcnt(0)
	s_mov_b32 s1, 0
	s_barrier
.LBB844_315:                            ;   in Loop: Header=BB844_20 Depth=1
	s_and_b32 vcc_lo, exec_lo, s1
	s_cbranch_vccz .LBB844_609
; %bb.316:                              ;   in Loop: Header=BB844_20 Depth=1
	s_mov_b32 s1, s62
	s_mov_b32 s34, s60
	s_barrier
	buffer_gl0_inv
                                        ; implicit-def: $vgpr34_vgpr35
                                        ; implicit-def: $vgpr4_vgpr5
                                        ; implicit-def: $vgpr6_vgpr7
                                        ; implicit-def: $vgpr8_vgpr9
                                        ; implicit-def: $vgpr10_vgpr11
                                        ; implicit-def: $vgpr12_vgpr13
                                        ; implicit-def: $vgpr14_vgpr15
                                        ; implicit-def: $vgpr16_vgpr17
                                        ; implicit-def: $vgpr18_vgpr19
                                        ; implicit-def: $vgpr20_vgpr21
                                        ; implicit-def: $vgpr22_vgpr23
                                        ; implicit-def: $vgpr24_vgpr25
                                        ; implicit-def: $vgpr26_vgpr27
                                        ; implicit-def: $vgpr28_vgpr29
                                        ; implicit-def: $vgpr30_vgpr31
                                        ; implicit-def: $vgpr32_vgpr33
	s_branch .LBB844_318
.LBB844_317:                            ;   in Loop: Header=BB844_318 Depth=2
	s_or_b32 exec_lo, exec_lo, s8
	s_addk_i32 s1, 0xf000
	s_cmp_ge_u32 s7, s61
	s_mov_b32 s34, s7
	s_cbranch_scc1 .LBB844_388
.LBB844_318:                            ;   Parent Loop BB844_20 Depth=1
                                        ; =>  This Inner Loop Header: Depth=2
	s_add_i32 s7, s34, 0x1000
	s_delay_alu instid0(SALU_CYCLE_1)
	s_cmp_gt_u32 s7, s61
	s_cbranch_scc1 .LBB844_321
; %bb.319:                              ;   in Loop: Header=BB844_318 Depth=2
	s_mov_b32 s9, 0
	s_mov_b32 s8, s34
	s_delay_alu instid0(SALU_CYCLE_1) | instskip(NEXT) | instid1(SALU_CYCLE_1)
	s_lshl_b64 s[10:11], s[8:9], 3
	v_add_co_u32 v36, vcc_lo, v111, s10
	v_add_co_ci_u32_e32 v37, vcc_lo, s11, v112, vcc_lo
	s_movk_i32 s11, 0x1000
	s_waitcnt vmcnt(12)
	s_delay_alu instid0(VALU_DEP_2) | instskip(NEXT) | instid1(VALU_DEP_2)
	v_add_co_u32 v42, vcc_lo, 0x1000, v36
	v_add_co_ci_u32_e32 v43, vcc_lo, 0, v37, vcc_lo
	s_waitcnt vmcnt(11)
	v_add_co_u32 v44, vcc_lo, 0x2000, v36
	v_add_co_ci_u32_e32 v45, vcc_lo, 0, v37, vcc_lo
	s_waitcnt vmcnt(1)
	v_add_co_u32 v50, vcc_lo, v36, 0x2000
	v_add_co_ci_u32_e32 v51, vcc_lo, 0, v37, vcc_lo
	v_add_co_u32 v52, vcc_lo, v36, 0x4000
	v_add_co_ci_u32_e32 v53, vcc_lo, 0, v37, vcc_lo
	;; [unrolled: 2-line block ×7, first 2 shown]
	s_waitcnt vmcnt(0)
	v_add_co_u32 v66, vcc_lo, 0x7000, v36
	v_add_co_ci_u32_e32 v67, vcc_lo, 0, v37, vcc_lo
	s_clause 0xe
	global_load_b64 v[38:39], v[36:37], off
	global_load_b64 v[40:41], v[36:37], off offset:2048
	global_load_b64 v[42:43], v[42:43], off offset:2048
	;; [unrolled: 1-line block ×3, first 2 shown]
	global_load_b64 v[46:47], v[50:51], off
	global_load_b64 v[48:49], v[52:53], off offset:-4096
	global_load_b64 v[52:53], v[52:53], off
	global_load_b64 v[56:57], v[60:61], off offset:-4096
	global_load_b64 v[60:61], v[60:61], off
	global_load_b64 v[54:55], v[54:55], off offset:2048
	global_load_b64 v[58:59], v[58:59], off offset:2048
	;; [unrolled: 1-line block ×4, first 2 shown]
	global_load_b64 v[50:51], v[50:51], off offset:-4096
	global_load_b64 v[66:67], v[66:67], off
	v_add_co_u32 v36, vcc_lo, 0x7800, v36
	v_add_co_ci_u32_e32 v37, vcc_lo, 0, v37, vcc_lo
	s_mov_b32 s10, -1
	s_cbranch_execz .LBB844_322
; %bb.320:                              ;   in Loop: Header=BB844_318 Depth=2
                                        ; implicit-def: $vgpr32_vgpr33
                                        ; implicit-def: $vgpr30_vgpr31
                                        ; implicit-def: $vgpr28_vgpr29
                                        ; implicit-def: $vgpr26_vgpr27
                                        ; implicit-def: $vgpr24_vgpr25
                                        ; implicit-def: $vgpr22_vgpr23
                                        ; implicit-def: $vgpr20_vgpr21
                                        ; implicit-def: $vgpr18_vgpr19
                                        ; implicit-def: $vgpr16_vgpr17
                                        ; implicit-def: $vgpr14_vgpr15
                                        ; implicit-def: $vgpr12_vgpr13
                                        ; implicit-def: $vgpr10_vgpr11
                                        ; implicit-def: $vgpr8_vgpr9
                                        ; implicit-def: $vgpr6_vgpr7
                                        ; implicit-def: $vgpr4_vgpr5
                                        ; implicit-def: $vgpr34_vgpr35
	v_mov_b32_e32 v2, s1
	s_and_saveexec_b32 s8, s10
	s_cbranch_execnz .LBB844_341
	s_branch .LBB844_342
.LBB844_321:                            ;   in Loop: Header=BB844_318 Depth=2
	s_mov_b32 s10, 0
                                        ; implicit-def: $sgpr11
                                        ; implicit-def: $vgpr38_vgpr39
                                        ; implicit-def: $vgpr40_vgpr41
                                        ; implicit-def: $vgpr50_vgpr51
                                        ; implicit-def: $vgpr42_vgpr43
                                        ; implicit-def: $vgpr46_vgpr47
                                        ; implicit-def: $vgpr44_vgpr45
                                        ; implicit-def: $vgpr48_vgpr49
                                        ; implicit-def: $vgpr54_vgpr55
                                        ; implicit-def: $vgpr52_vgpr53
                                        ; implicit-def: $vgpr58_vgpr59
                                        ; implicit-def: $vgpr56_vgpr57
                                        ; implicit-def: $vgpr62_vgpr63
                                        ; implicit-def: $vgpr60_vgpr61
                                        ; implicit-def: $vgpr64_vgpr65
                                        ; implicit-def: $vgpr66_vgpr67
                                        ; implicit-def: $vgpr36_vgpr37
.LBB844_322:                            ;   in Loop: Header=BB844_318 Depth=2
	s_lshl_b64 s[8:9], s[34:35], 3
	s_mov_b32 s11, exec_lo
	s_add_u32 s8, s46, s8
	s_addc_u32 s9, s47, s9
	v_cmpx_gt_u32_e64 s1, v1
	s_cbranch_execz .LBB844_374
; %bb.323:                              ;   in Loop: Header=BB844_318 Depth=2
	global_load_b64 v[32:33], v124, s[8:9]
	s_or_b32 exec_lo, exec_lo, s11
	s_delay_alu instid0(SALU_CYCLE_1)
	s_mov_b32 s11, exec_lo
	v_cmpx_gt_u32_e64 s1, v77
	s_cbranch_execnz .LBB844_375
.LBB844_324:                            ;   in Loop: Header=BB844_318 Depth=2
	s_or_b32 exec_lo, exec_lo, s11
	s_delay_alu instid0(SALU_CYCLE_1)
	s_mov_b32 s11, exec_lo
	v_cmpx_gt_u32_e64 s1, v78
	s_cbranch_execz .LBB844_376
.LBB844_325:                            ;   in Loop: Header=BB844_318 Depth=2
	global_load_b64 v[28:29], v125, s[8:9]
	s_or_b32 exec_lo, exec_lo, s11
	s_delay_alu instid0(SALU_CYCLE_1)
	s_mov_b32 s11, exec_lo
	v_cmpx_gt_u32_e64 s1, v79
	s_cbranch_execnz .LBB844_377
.LBB844_326:                            ;   in Loop: Header=BB844_318 Depth=2
	s_or_b32 exec_lo, exec_lo, s11
	s_delay_alu instid0(SALU_CYCLE_1)
	s_mov_b32 s11, exec_lo
	v_cmpx_gt_u32_e64 s1, v83
	s_cbranch_execz .LBB844_378
.LBB844_327:                            ;   in Loop: Header=BB844_318 Depth=2
	global_load_b64 v[24:25], v127, s[8:9]
	s_or_b32 exec_lo, exec_lo, s11
	s_delay_alu instid0(SALU_CYCLE_1)
	s_mov_b32 s11, exec_lo
	v_cmpx_gt_u32_e64 s1, v84
	s_cbranch_execnz .LBB844_379
.LBB844_328:                            ;   in Loop: Header=BB844_318 Depth=2
	s_or_b32 exec_lo, exec_lo, s11
	s_delay_alu instid0(SALU_CYCLE_1)
	s_mov_b32 s11, exec_lo
	v_cmpx_gt_u32_e64 s1, v85
	s_cbranch_execz .LBB844_380
.LBB844_329:                            ;   in Loop: Header=BB844_318 Depth=2
	global_load_b64 v[20:21], v129, s[8:9]
	s_or_b32 exec_lo, exec_lo, s11
	s_delay_alu instid0(SALU_CYCLE_1)
	s_mov_b32 s11, exec_lo
	v_cmpx_gt_u32_e64 s1, v86
	s_cbranch_execnz .LBB844_381
.LBB844_330:                            ;   in Loop: Header=BB844_318 Depth=2
	s_or_b32 exec_lo, exec_lo, s11
	s_delay_alu instid0(SALU_CYCLE_1)
	s_mov_b32 s11, exec_lo
	v_cmpx_gt_u32_e64 s1, v87
	s_cbranch_execz .LBB844_382
.LBB844_331:                            ;   in Loop: Header=BB844_318 Depth=2
	global_load_b64 v[16:17], v131, s[8:9]
	s_or_b32 exec_lo, exec_lo, s11
	s_delay_alu instid0(SALU_CYCLE_1)
	s_mov_b32 s11, exec_lo
	v_cmpx_gt_u32_e64 s1, v88
	s_cbranch_execnz .LBB844_383
.LBB844_332:                            ;   in Loop: Header=BB844_318 Depth=2
	s_or_b32 exec_lo, exec_lo, s11
	s_delay_alu instid0(SALU_CYCLE_1)
	s_mov_b32 s11, exec_lo
	v_cmpx_gt_u32_e64 s1, v89
	s_cbranch_execz .LBB844_384
.LBB844_333:                            ;   in Loop: Header=BB844_318 Depth=2
	global_load_b64 v[12:13], v133, s[8:9]
	s_or_b32 exec_lo, exec_lo, s11
	s_delay_alu instid0(SALU_CYCLE_1)
	s_mov_b32 s11, exec_lo
	v_cmpx_gt_u32_e64 s1, v90
	s_cbranch_execnz .LBB844_385
.LBB844_334:                            ;   in Loop: Header=BB844_318 Depth=2
	s_or_b32 exec_lo, exec_lo, s11
	s_delay_alu instid0(SALU_CYCLE_1)
	s_mov_b32 s11, exec_lo
	v_cmpx_gt_u32_e64 s1, v91
	s_cbranch_execz .LBB844_386
.LBB844_335:                            ;   in Loop: Header=BB844_318 Depth=2
	global_load_b64 v[8:9], v135, s[8:9]
	s_or_b32 exec_lo, exec_lo, s11
	s_delay_alu instid0(SALU_CYCLE_1)
	s_mov_b32 s11, exec_lo
	v_cmpx_gt_u32_e64 s1, v92
	s_cbranch_execnz .LBB844_387
.LBB844_336:                            ;   in Loop: Header=BB844_318 Depth=2
	s_or_b32 exec_lo, exec_lo, s11
	s_delay_alu instid0(SALU_CYCLE_1)
	s_mov_b32 s11, exec_lo
	v_cmpx_gt_u32_e64 s1, v93
	s_cbranch_execz .LBB844_338
.LBB844_337:                            ;   in Loop: Header=BB844_318 Depth=2
	v_lshlrev_b32_e32 v2, 3, v93
	global_load_b64 v[4:5], v2, s[8:9]
.LBB844_338:                            ;   in Loop: Header=BB844_318 Depth=2
	s_or_b32 exec_lo, exec_lo, s11
	s_delay_alu instid0(SALU_CYCLE_1)
	s_mov_b32 s12, exec_lo
                                        ; implicit-def: $sgpr11
                                        ; implicit-def: $vgpr36_vgpr37
	v_cmpx_gt_u32_e64 s1, v95
; %bb.339:                              ;   in Loop: Header=BB844_318 Depth=2
	v_lshlrev_b32_e32 v2, 3, v95
	s_sub_i32 s11, s61, s34
	s_or_b32 s10, s10, exec_lo
                                        ; implicit-def: $vgpr34_vgpr35
	s_delay_alu instid0(VALU_DEP_1) | instskip(NEXT) | instid1(VALU_DEP_1)
	v_add_co_u32 v36, s8, s8, v2
	v_add_co_ci_u32_e64 v37, null, s9, 0, s8
; %bb.340:                              ;   in Loop: Header=BB844_318 Depth=2
	s_or_b32 exec_lo, exec_lo, s12
	s_waitcnt vmcnt(0)
	v_dual_mov_b32 v39, v33 :: v_dual_mov_b32 v38, v32
	v_dual_mov_b32 v41, v31 :: v_dual_mov_b32 v40, v30
	;; [unrolled: 1-line block ×15, first 2 shown]
	v_mov_b32_e32 v2, s1
	s_and_saveexec_b32 s8, s10
	s_cbranch_execz .LBB844_342
.LBB844_341:                            ;   in Loop: Header=BB844_318 Depth=2
	global_load_b64 v[34:35], v[36:37], off
	s_waitcnt vmcnt(1)
	v_mov_b32_e32 v4, v66
	v_mov_b32_e32 v6, v64
	v_mov_b32_e32 v8, v60
	v_mov_b32_e32 v10, v62
	v_mov_b32_e32 v12, v56
	v_mov_b32_e32 v14, v58
	v_mov_b32_e32 v16, v52
	v_mov_b32_e32 v18, v54
	v_mov_b32_e32 v20, v48
	v_mov_b32_e32 v22, v44
	v_mov_b32_e32 v24, v46
	v_mov_b32_e32 v26, v42
	v_mov_b32_e32 v28, v50
	v_mov_b32_e32 v30, v40
	v_dual_mov_b32 v32, v38 :: v_dual_mov_b32 v33, v39
	v_dual_mov_b32 v2, s11 :: v_dual_mov_b32 v5, v67
	v_mov_b32_e32 v7, v65
	v_mov_b32_e32 v9, v61
	;; [unrolled: 1-line block ×13, first 2 shown]
.LBB844_342:                            ;   in Loop: Header=BB844_318 Depth=2
	s_or_b32 exec_lo, exec_lo, s8
	s_delay_alu instid0(SALU_CYCLE_1)
	s_mov_b32 s8, exec_lo
	v_cmpx_lt_u32_e64 v1, v2
	s_cbranch_execz .LBB844_358
; %bb.343:                              ;   in Loop: Header=BB844_318 Depth=2
	v_xor_b32_e32 v37, 0x80000000, v33
	v_mov_b32_e32 v36, v32
	s_delay_alu instid0(VALU_DEP_1) | instskip(SKIP_1) | instid1(VALU_DEP_2)
	v_lshrrev_b64 v[36:37], s41, v[36:37]
	v_lshlrev_b32_e32 v37, 2, v80
	v_and_b32_e32 v36, s43, v36
	s_delay_alu instid0(VALU_DEP_1) | instskip(SKIP_2) | instid1(SALU_CYCLE_1)
	v_lshl_or_b32 v36, v36, 4, v37
	ds_add_u32 v36, v123
	s_or_b32 exec_lo, exec_lo, s8
	s_mov_b32 s8, exec_lo
	v_cmpx_lt_u32_e64 v77, v2
	s_cbranch_execnz .LBB844_359
.LBB844_344:                            ;   in Loop: Header=BB844_318 Depth=2
	s_or_b32 exec_lo, exec_lo, s8
	s_delay_alu instid0(SALU_CYCLE_1)
	s_mov_b32 s8, exec_lo
	v_cmpx_lt_u32_e64 v78, v2
	s_cbranch_execz .LBB844_360
.LBB844_345:                            ;   in Loop: Header=BB844_318 Depth=2
	v_xor_b32_e32 v37, 0x80000000, v29
	v_mov_b32_e32 v36, v28
	s_delay_alu instid0(VALU_DEP_1) | instskip(SKIP_1) | instid1(VALU_DEP_2)
	v_lshrrev_b64 v[36:37], s41, v[36:37]
	v_lshlrev_b32_e32 v37, 2, v80
	v_and_b32_e32 v36, s43, v36
	s_delay_alu instid0(VALU_DEP_1) | instskip(SKIP_2) | instid1(SALU_CYCLE_1)
	v_lshl_or_b32 v36, v36, 4, v37
	ds_add_u32 v36, v123
	s_or_b32 exec_lo, exec_lo, s8
	s_mov_b32 s8, exec_lo
	v_cmpx_lt_u32_e64 v79, v2
	s_cbranch_execnz .LBB844_361
.LBB844_346:                            ;   in Loop: Header=BB844_318 Depth=2
	s_or_b32 exec_lo, exec_lo, s8
	s_delay_alu instid0(SALU_CYCLE_1)
	s_mov_b32 s8, exec_lo
	v_cmpx_lt_u32_e64 v83, v2
	s_cbranch_execz .LBB844_362
.LBB844_347:                            ;   in Loop: Header=BB844_318 Depth=2
	v_xor_b32_e32 v37, 0x80000000, v25
	v_mov_b32_e32 v36, v24
	s_delay_alu instid0(VALU_DEP_1) | instskip(SKIP_1) | instid1(VALU_DEP_2)
	v_lshrrev_b64 v[36:37], s41, v[36:37]
	v_lshlrev_b32_e32 v37, 2, v80
	v_and_b32_e32 v36, s43, v36
	s_delay_alu instid0(VALU_DEP_1) | instskip(SKIP_2) | instid1(SALU_CYCLE_1)
	v_lshl_or_b32 v36, v36, 4, v37
	ds_add_u32 v36, v123
	s_or_b32 exec_lo, exec_lo, s8
	s_mov_b32 s8, exec_lo
	v_cmpx_lt_u32_e64 v84, v2
	s_cbranch_execnz .LBB844_363
.LBB844_348:                            ;   in Loop: Header=BB844_318 Depth=2
	s_or_b32 exec_lo, exec_lo, s8
	s_delay_alu instid0(SALU_CYCLE_1)
	s_mov_b32 s8, exec_lo
	v_cmpx_lt_u32_e64 v85, v2
	s_cbranch_execz .LBB844_364
.LBB844_349:                            ;   in Loop: Header=BB844_318 Depth=2
	v_xor_b32_e32 v37, 0x80000000, v21
	v_mov_b32_e32 v36, v20
	s_delay_alu instid0(VALU_DEP_1) | instskip(SKIP_1) | instid1(VALU_DEP_2)
	v_lshrrev_b64 v[36:37], s41, v[36:37]
	v_lshlrev_b32_e32 v37, 2, v80
	v_and_b32_e32 v36, s43, v36
	s_delay_alu instid0(VALU_DEP_1) | instskip(SKIP_2) | instid1(SALU_CYCLE_1)
	v_lshl_or_b32 v36, v36, 4, v37
	ds_add_u32 v36, v123
	s_or_b32 exec_lo, exec_lo, s8
	s_mov_b32 s8, exec_lo
	v_cmpx_lt_u32_e64 v86, v2
	s_cbranch_execnz .LBB844_365
.LBB844_350:                            ;   in Loop: Header=BB844_318 Depth=2
	s_or_b32 exec_lo, exec_lo, s8
	s_delay_alu instid0(SALU_CYCLE_1)
	s_mov_b32 s8, exec_lo
	v_cmpx_lt_u32_e64 v87, v2
	s_cbranch_execz .LBB844_366
.LBB844_351:                            ;   in Loop: Header=BB844_318 Depth=2
	v_xor_b32_e32 v37, 0x80000000, v17
	v_mov_b32_e32 v36, v16
	s_delay_alu instid0(VALU_DEP_1) | instskip(SKIP_1) | instid1(VALU_DEP_2)
	v_lshrrev_b64 v[36:37], s41, v[36:37]
	v_lshlrev_b32_e32 v37, 2, v80
	v_and_b32_e32 v36, s43, v36
	s_delay_alu instid0(VALU_DEP_1) | instskip(SKIP_2) | instid1(SALU_CYCLE_1)
	v_lshl_or_b32 v36, v36, 4, v37
	ds_add_u32 v36, v123
	s_or_b32 exec_lo, exec_lo, s8
	s_mov_b32 s8, exec_lo
	v_cmpx_lt_u32_e64 v88, v2
	s_cbranch_execnz .LBB844_367
.LBB844_352:                            ;   in Loop: Header=BB844_318 Depth=2
	s_or_b32 exec_lo, exec_lo, s8
	s_delay_alu instid0(SALU_CYCLE_1)
	s_mov_b32 s8, exec_lo
	v_cmpx_lt_u32_e64 v89, v2
	s_cbranch_execz .LBB844_368
.LBB844_353:                            ;   in Loop: Header=BB844_318 Depth=2
	v_xor_b32_e32 v37, 0x80000000, v13
	v_mov_b32_e32 v36, v12
	s_delay_alu instid0(VALU_DEP_1) | instskip(SKIP_1) | instid1(VALU_DEP_2)
	v_lshrrev_b64 v[36:37], s41, v[36:37]
	v_lshlrev_b32_e32 v37, 2, v80
	v_and_b32_e32 v36, s43, v36
	s_delay_alu instid0(VALU_DEP_1) | instskip(SKIP_2) | instid1(SALU_CYCLE_1)
	v_lshl_or_b32 v36, v36, 4, v37
	ds_add_u32 v36, v123
	s_or_b32 exec_lo, exec_lo, s8
	s_mov_b32 s8, exec_lo
	v_cmpx_lt_u32_e64 v90, v2
	s_cbranch_execnz .LBB844_369
.LBB844_354:                            ;   in Loop: Header=BB844_318 Depth=2
	s_or_b32 exec_lo, exec_lo, s8
	s_delay_alu instid0(SALU_CYCLE_1)
	s_mov_b32 s8, exec_lo
	v_cmpx_lt_u32_e64 v91, v2
	s_cbranch_execz .LBB844_370
.LBB844_355:                            ;   in Loop: Header=BB844_318 Depth=2
	v_xor_b32_e32 v37, 0x80000000, v9
	v_mov_b32_e32 v36, v8
	s_delay_alu instid0(VALU_DEP_1) | instskip(SKIP_1) | instid1(VALU_DEP_2)
	v_lshrrev_b64 v[36:37], s41, v[36:37]
	v_lshlrev_b32_e32 v37, 2, v80
	v_and_b32_e32 v36, s43, v36
	s_delay_alu instid0(VALU_DEP_1) | instskip(SKIP_2) | instid1(SALU_CYCLE_1)
	v_lshl_or_b32 v36, v36, 4, v37
	ds_add_u32 v36, v123
	s_or_b32 exec_lo, exec_lo, s8
	s_mov_b32 s8, exec_lo
	v_cmpx_lt_u32_e64 v92, v2
	s_cbranch_execnz .LBB844_371
.LBB844_356:                            ;   in Loop: Header=BB844_318 Depth=2
	s_or_b32 exec_lo, exec_lo, s8
	s_delay_alu instid0(SALU_CYCLE_1)
	s_mov_b32 s8, exec_lo
	v_cmpx_lt_u32_e64 v93, v2
	s_cbranch_execz .LBB844_372
.LBB844_357:                            ;   in Loop: Header=BB844_318 Depth=2
	v_xor_b32_e32 v37, 0x80000000, v5
	v_mov_b32_e32 v36, v4
	s_delay_alu instid0(VALU_DEP_1) | instskip(SKIP_1) | instid1(VALU_DEP_2)
	v_lshrrev_b64 v[36:37], s41, v[36:37]
	v_lshlrev_b32_e32 v37, 2, v80
	v_and_b32_e32 v36, s43, v36
	s_delay_alu instid0(VALU_DEP_1) | instskip(SKIP_2) | instid1(SALU_CYCLE_1)
	v_lshl_or_b32 v36, v36, 4, v37
	ds_add_u32 v36, v123
	s_or_b32 exec_lo, exec_lo, s8
	s_mov_b32 s8, exec_lo
	v_cmpx_lt_u32_e64 v95, v2
	s_cbranch_execz .LBB844_317
	s_branch .LBB844_373
.LBB844_358:                            ;   in Loop: Header=BB844_318 Depth=2
	s_or_b32 exec_lo, exec_lo, s8
	s_delay_alu instid0(SALU_CYCLE_1)
	s_mov_b32 s8, exec_lo
	v_cmpx_lt_u32_e64 v77, v2
	s_cbranch_execz .LBB844_344
.LBB844_359:                            ;   in Loop: Header=BB844_318 Depth=2
	v_xor_b32_e32 v37, 0x80000000, v31
	v_mov_b32_e32 v36, v30
	s_delay_alu instid0(VALU_DEP_1) | instskip(SKIP_1) | instid1(VALU_DEP_2)
	v_lshrrev_b64 v[36:37], s41, v[36:37]
	v_lshlrev_b32_e32 v37, 2, v80
	v_and_b32_e32 v36, s43, v36
	s_delay_alu instid0(VALU_DEP_1) | instskip(SKIP_2) | instid1(SALU_CYCLE_1)
	v_lshl_or_b32 v36, v36, 4, v37
	ds_add_u32 v36, v123
	s_or_b32 exec_lo, exec_lo, s8
	s_mov_b32 s8, exec_lo
	v_cmpx_lt_u32_e64 v78, v2
	s_cbranch_execnz .LBB844_345
.LBB844_360:                            ;   in Loop: Header=BB844_318 Depth=2
	s_or_b32 exec_lo, exec_lo, s8
	s_delay_alu instid0(SALU_CYCLE_1)
	s_mov_b32 s8, exec_lo
	v_cmpx_lt_u32_e64 v79, v2
	s_cbranch_execz .LBB844_346
.LBB844_361:                            ;   in Loop: Header=BB844_318 Depth=2
	v_xor_b32_e32 v37, 0x80000000, v27
	v_mov_b32_e32 v36, v26
	s_delay_alu instid0(VALU_DEP_1) | instskip(SKIP_1) | instid1(VALU_DEP_2)
	v_lshrrev_b64 v[36:37], s41, v[36:37]
	v_lshlrev_b32_e32 v37, 2, v80
	v_and_b32_e32 v36, s43, v36
	s_delay_alu instid0(VALU_DEP_1) | instskip(SKIP_2) | instid1(SALU_CYCLE_1)
	v_lshl_or_b32 v36, v36, 4, v37
	ds_add_u32 v36, v123
	s_or_b32 exec_lo, exec_lo, s8
	s_mov_b32 s8, exec_lo
	v_cmpx_lt_u32_e64 v83, v2
	s_cbranch_execnz .LBB844_347
.LBB844_362:                            ;   in Loop: Header=BB844_318 Depth=2
	s_or_b32 exec_lo, exec_lo, s8
	s_delay_alu instid0(SALU_CYCLE_1)
	s_mov_b32 s8, exec_lo
	v_cmpx_lt_u32_e64 v84, v2
	s_cbranch_execz .LBB844_348
.LBB844_363:                            ;   in Loop: Header=BB844_318 Depth=2
	v_xor_b32_e32 v37, 0x80000000, v23
	v_mov_b32_e32 v36, v22
	s_delay_alu instid0(VALU_DEP_1) | instskip(SKIP_1) | instid1(VALU_DEP_2)
	v_lshrrev_b64 v[36:37], s41, v[36:37]
	v_lshlrev_b32_e32 v37, 2, v80
	v_and_b32_e32 v36, s43, v36
	s_delay_alu instid0(VALU_DEP_1) | instskip(SKIP_2) | instid1(SALU_CYCLE_1)
	v_lshl_or_b32 v36, v36, 4, v37
	ds_add_u32 v36, v123
	s_or_b32 exec_lo, exec_lo, s8
	s_mov_b32 s8, exec_lo
	v_cmpx_lt_u32_e64 v85, v2
	s_cbranch_execnz .LBB844_349
.LBB844_364:                            ;   in Loop: Header=BB844_318 Depth=2
	s_or_b32 exec_lo, exec_lo, s8
	s_delay_alu instid0(SALU_CYCLE_1)
	s_mov_b32 s8, exec_lo
	v_cmpx_lt_u32_e64 v86, v2
	s_cbranch_execz .LBB844_350
.LBB844_365:                            ;   in Loop: Header=BB844_318 Depth=2
	v_xor_b32_e32 v37, 0x80000000, v19
	v_mov_b32_e32 v36, v18
	s_delay_alu instid0(VALU_DEP_1) | instskip(SKIP_1) | instid1(VALU_DEP_2)
	v_lshrrev_b64 v[36:37], s41, v[36:37]
	v_lshlrev_b32_e32 v37, 2, v80
	v_and_b32_e32 v36, s43, v36
	s_delay_alu instid0(VALU_DEP_1) | instskip(SKIP_2) | instid1(SALU_CYCLE_1)
	v_lshl_or_b32 v36, v36, 4, v37
	ds_add_u32 v36, v123
	s_or_b32 exec_lo, exec_lo, s8
	s_mov_b32 s8, exec_lo
	v_cmpx_lt_u32_e64 v87, v2
	s_cbranch_execnz .LBB844_351
.LBB844_366:                            ;   in Loop: Header=BB844_318 Depth=2
	s_or_b32 exec_lo, exec_lo, s8
	s_delay_alu instid0(SALU_CYCLE_1)
	s_mov_b32 s8, exec_lo
	v_cmpx_lt_u32_e64 v88, v2
	s_cbranch_execz .LBB844_352
.LBB844_367:                            ;   in Loop: Header=BB844_318 Depth=2
	v_xor_b32_e32 v37, 0x80000000, v15
	v_mov_b32_e32 v36, v14
	s_delay_alu instid0(VALU_DEP_1) | instskip(SKIP_1) | instid1(VALU_DEP_2)
	v_lshrrev_b64 v[36:37], s41, v[36:37]
	v_lshlrev_b32_e32 v37, 2, v80
	v_and_b32_e32 v36, s43, v36
	s_delay_alu instid0(VALU_DEP_1) | instskip(SKIP_2) | instid1(SALU_CYCLE_1)
	v_lshl_or_b32 v36, v36, 4, v37
	ds_add_u32 v36, v123
	s_or_b32 exec_lo, exec_lo, s8
	s_mov_b32 s8, exec_lo
	v_cmpx_lt_u32_e64 v89, v2
	s_cbranch_execnz .LBB844_353
.LBB844_368:                            ;   in Loop: Header=BB844_318 Depth=2
	s_or_b32 exec_lo, exec_lo, s8
	s_delay_alu instid0(SALU_CYCLE_1)
	s_mov_b32 s8, exec_lo
	v_cmpx_lt_u32_e64 v90, v2
	s_cbranch_execz .LBB844_354
.LBB844_369:                            ;   in Loop: Header=BB844_318 Depth=2
	v_xor_b32_e32 v37, 0x80000000, v11
	v_mov_b32_e32 v36, v10
	s_delay_alu instid0(VALU_DEP_1) | instskip(SKIP_1) | instid1(VALU_DEP_2)
	v_lshrrev_b64 v[36:37], s41, v[36:37]
	v_lshlrev_b32_e32 v37, 2, v80
	v_and_b32_e32 v36, s43, v36
	s_delay_alu instid0(VALU_DEP_1) | instskip(SKIP_2) | instid1(SALU_CYCLE_1)
	v_lshl_or_b32 v36, v36, 4, v37
	ds_add_u32 v36, v123
	s_or_b32 exec_lo, exec_lo, s8
	s_mov_b32 s8, exec_lo
	v_cmpx_lt_u32_e64 v91, v2
	s_cbranch_execnz .LBB844_355
.LBB844_370:                            ;   in Loop: Header=BB844_318 Depth=2
	s_or_b32 exec_lo, exec_lo, s8
	s_delay_alu instid0(SALU_CYCLE_1)
	s_mov_b32 s8, exec_lo
	v_cmpx_lt_u32_e64 v92, v2
	s_cbranch_execz .LBB844_356
.LBB844_371:                            ;   in Loop: Header=BB844_318 Depth=2
	v_xor_b32_e32 v37, 0x80000000, v7
	v_mov_b32_e32 v36, v6
	s_delay_alu instid0(VALU_DEP_1) | instskip(SKIP_1) | instid1(VALU_DEP_2)
	v_lshrrev_b64 v[36:37], s41, v[36:37]
	v_lshlrev_b32_e32 v37, 2, v80
	v_and_b32_e32 v36, s43, v36
	s_delay_alu instid0(VALU_DEP_1) | instskip(SKIP_2) | instid1(SALU_CYCLE_1)
	v_lshl_or_b32 v36, v36, 4, v37
	ds_add_u32 v36, v123
	s_or_b32 exec_lo, exec_lo, s8
	s_mov_b32 s8, exec_lo
	v_cmpx_lt_u32_e64 v93, v2
	s_cbranch_execnz .LBB844_357
.LBB844_372:                            ;   in Loop: Header=BB844_318 Depth=2
	s_or_b32 exec_lo, exec_lo, s8
	s_delay_alu instid0(SALU_CYCLE_1)
	s_mov_b32 s8, exec_lo
	v_cmpx_lt_u32_e64 v95, v2
	s_cbranch_execz .LBB844_317
.LBB844_373:                            ;   in Loop: Header=BB844_318 Depth=2
	s_waitcnt vmcnt(0)
	v_xor_b32_e32 v37, 0x80000000, v35
	v_mov_b32_e32 v36, v34
	s_delay_alu instid0(VALU_DEP_1) | instskip(NEXT) | instid1(VALU_DEP_1)
	v_lshrrev_b64 v[36:37], s41, v[36:37]
	v_and_b32_e32 v2, s43, v36
	v_lshlrev_b32_e32 v36, 2, v80
	s_delay_alu instid0(VALU_DEP_1)
	v_lshl_or_b32 v2, v2, 4, v36
	ds_add_u32 v2, v123
	s_branch .LBB844_317
.LBB844_374:                            ;   in Loop: Header=BB844_318 Depth=2
	s_or_b32 exec_lo, exec_lo, s11
	s_delay_alu instid0(SALU_CYCLE_1)
	s_mov_b32 s11, exec_lo
	v_cmpx_gt_u32_e64 s1, v77
	s_cbranch_execz .LBB844_324
.LBB844_375:                            ;   in Loop: Header=BB844_318 Depth=2
	global_load_b64 v[30:31], v124, s[8:9] offset:2048
	s_or_b32 exec_lo, exec_lo, s11
	s_delay_alu instid0(SALU_CYCLE_1)
	s_mov_b32 s11, exec_lo
	v_cmpx_gt_u32_e64 s1, v78
	s_cbranch_execnz .LBB844_325
.LBB844_376:                            ;   in Loop: Header=BB844_318 Depth=2
	s_or_b32 exec_lo, exec_lo, s11
	s_delay_alu instid0(SALU_CYCLE_1)
	s_mov_b32 s11, exec_lo
	v_cmpx_gt_u32_e64 s1, v79
	s_cbranch_execz .LBB844_326
.LBB844_377:                            ;   in Loop: Header=BB844_318 Depth=2
	global_load_b64 v[26:27], v126, s[8:9]
	s_or_b32 exec_lo, exec_lo, s11
	s_delay_alu instid0(SALU_CYCLE_1)
	s_mov_b32 s11, exec_lo
	v_cmpx_gt_u32_e64 s1, v83
	s_cbranch_execnz .LBB844_327
.LBB844_378:                            ;   in Loop: Header=BB844_318 Depth=2
	s_or_b32 exec_lo, exec_lo, s11
	s_delay_alu instid0(SALU_CYCLE_1)
	s_mov_b32 s11, exec_lo
	v_cmpx_gt_u32_e64 s1, v84
	s_cbranch_execz .LBB844_328
.LBB844_379:                            ;   in Loop: Header=BB844_318 Depth=2
	global_load_b64 v[22:23], v128, s[8:9]
	s_or_b32 exec_lo, exec_lo, s11
	s_delay_alu instid0(SALU_CYCLE_1)
	s_mov_b32 s11, exec_lo
	v_cmpx_gt_u32_e64 s1, v85
	s_cbranch_execnz .LBB844_329
.LBB844_380:                            ;   in Loop: Header=BB844_318 Depth=2
	s_or_b32 exec_lo, exec_lo, s11
	s_delay_alu instid0(SALU_CYCLE_1)
	s_mov_b32 s11, exec_lo
	v_cmpx_gt_u32_e64 s1, v86
	s_cbranch_execz .LBB844_330
.LBB844_381:                            ;   in Loop: Header=BB844_318 Depth=2
	global_load_b64 v[18:19], v130, s[8:9]
	s_or_b32 exec_lo, exec_lo, s11
	s_delay_alu instid0(SALU_CYCLE_1)
	s_mov_b32 s11, exec_lo
	v_cmpx_gt_u32_e64 s1, v87
	s_cbranch_execnz .LBB844_331
.LBB844_382:                            ;   in Loop: Header=BB844_318 Depth=2
	s_or_b32 exec_lo, exec_lo, s11
	s_delay_alu instid0(SALU_CYCLE_1)
	s_mov_b32 s11, exec_lo
	v_cmpx_gt_u32_e64 s1, v88
	s_cbranch_execz .LBB844_332
.LBB844_383:                            ;   in Loop: Header=BB844_318 Depth=2
	global_load_b64 v[14:15], v132, s[8:9]
	s_or_b32 exec_lo, exec_lo, s11
	s_delay_alu instid0(SALU_CYCLE_1)
	s_mov_b32 s11, exec_lo
	v_cmpx_gt_u32_e64 s1, v89
	s_cbranch_execnz .LBB844_333
.LBB844_384:                            ;   in Loop: Header=BB844_318 Depth=2
	s_or_b32 exec_lo, exec_lo, s11
	s_delay_alu instid0(SALU_CYCLE_1)
	s_mov_b32 s11, exec_lo
	v_cmpx_gt_u32_e64 s1, v90
	s_cbranch_execz .LBB844_334
.LBB844_385:                            ;   in Loop: Header=BB844_318 Depth=2
	global_load_b64 v[10:11], v134, s[8:9]
	s_or_b32 exec_lo, exec_lo, s11
	s_delay_alu instid0(SALU_CYCLE_1)
	s_mov_b32 s11, exec_lo
	v_cmpx_gt_u32_e64 s1, v91
	s_cbranch_execnz .LBB844_335
.LBB844_386:                            ;   in Loop: Header=BB844_318 Depth=2
	s_or_b32 exec_lo, exec_lo, s11
	s_delay_alu instid0(SALU_CYCLE_1)
	s_mov_b32 s11, exec_lo
	v_cmpx_gt_u32_e64 s1, v92
	s_cbranch_execz .LBB844_336
.LBB844_387:                            ;   in Loop: Header=BB844_318 Depth=2
	v_lshlrev_b32_e32 v2, 3, v92
	global_load_b64 v[6:7], v2, s[8:9]
	s_or_b32 exec_lo, exec_lo, s11
	s_delay_alu instid0(SALU_CYCLE_1)
	s_mov_b32 s11, exec_lo
	v_cmpx_gt_u32_e64 s1, v93
	s_cbranch_execz .LBB844_338
	s_branch .LBB844_337
.LBB844_388:                            ;   in Loop: Header=BB844_20 Depth=1
	v_mov_b32_e32 v2, 0
	s_waitcnt vmcnt(0) lgkmcnt(0)
	s_barrier
	buffer_gl0_inv
	s_and_saveexec_b32 s1, s2
	s_cbranch_execz .LBB844_390
; %bb.389:                              ;   in Loop: Header=BB844_20 Depth=1
	ds_load_2addr_b64 v[4:7], v96 offset1:1
	s_waitcnt lgkmcnt(0)
	v_add_nc_u32_e32 v2, v5, v4
	s_delay_alu instid0(VALU_DEP_1)
	v_add3_u32 v2, v2, v6, v7
.LBB844_390:                            ;   in Loop: Header=BB844_20 Depth=1
	s_or_b32 exec_lo, exec_lo, s1
	v_and_b32_e32 v4, 15, v136
	s_delay_alu instid0(VALU_DEP_2) | instskip(SKIP_1) | instid1(VALU_DEP_3)
	v_mov_b32_dpp v5, v2 row_shr:1 row_mask:0xf bank_mask:0xf
	v_and_b32_e32 v6, 16, v136
	v_cmp_eq_u32_e64 s1, 0, v4
	v_cmp_lt_u32_e64 s7, 1, v4
	v_cmp_lt_u32_e64 s8, 3, v4
	;; [unrolled: 1-line block ×3, first 2 shown]
	v_cmp_eq_u32_e64 s10, 0, v6
	v_cndmask_b32_e64 v5, v5, 0, s1
	s_delay_alu instid0(VALU_DEP_1) | instskip(NEXT) | instid1(VALU_DEP_1)
	v_add_nc_u32_e32 v2, v5, v2
	v_mov_b32_dpp v5, v2 row_shr:2 row_mask:0xf bank_mask:0xf
	s_delay_alu instid0(VALU_DEP_1) | instskip(NEXT) | instid1(VALU_DEP_1)
	v_cndmask_b32_e64 v5, 0, v5, s7
	v_add_nc_u32_e32 v2, v2, v5
	s_delay_alu instid0(VALU_DEP_1) | instskip(NEXT) | instid1(VALU_DEP_1)
	v_mov_b32_dpp v5, v2 row_shr:4 row_mask:0xf bank_mask:0xf
	v_cndmask_b32_e64 v5, 0, v5, s8
	s_delay_alu instid0(VALU_DEP_1) | instskip(NEXT) | instid1(VALU_DEP_1)
	v_add_nc_u32_e32 v2, v2, v5
	v_mov_b32_dpp v5, v2 row_shr:8 row_mask:0xf bank_mask:0xf
	s_delay_alu instid0(VALU_DEP_1) | instskip(SKIP_1) | instid1(VALU_DEP_2)
	v_cndmask_b32_e64 v4, 0, v5, s9
	v_bfe_i32 v5, v136, 4, 1
	v_add_nc_u32_e32 v2, v2, v4
	ds_swizzle_b32 v4, v2 offset:swizzle(BROADCAST,32,15)
	s_waitcnt lgkmcnt(0)
	v_and_b32_e32 v4, v5, v4
	s_delay_alu instid0(VALU_DEP_1)
	v_add_nc_u32_e32 v4, v2, v4
	s_and_saveexec_b32 s11, s3
	s_cbranch_execz .LBB844_392
; %bb.391:                              ;   in Loop: Header=BB844_20 Depth=1
	ds_store_b32 v97, v4
.LBB844_392:                            ;   in Loop: Header=BB844_20 Depth=1
	s_or_b32 exec_lo, exec_lo, s11
	v_and_b32_e32 v2, 7, v136
	s_waitcnt lgkmcnt(0)
	s_barrier
	buffer_gl0_inv
	s_and_saveexec_b32 s11, s4
	s_cbranch_execz .LBB844_394
; %bb.393:                              ;   in Loop: Header=BB844_20 Depth=1
	ds_load_b32 v5, v98
	v_cmp_ne_u32_e32 vcc_lo, 0, v2
	s_waitcnt lgkmcnt(0)
	v_mov_b32_dpp v6, v5 row_shr:1 row_mask:0xf bank_mask:0xf
	s_delay_alu instid0(VALU_DEP_1) | instskip(SKIP_1) | instid1(VALU_DEP_2)
	v_cndmask_b32_e32 v6, 0, v6, vcc_lo
	v_cmp_lt_u32_e32 vcc_lo, 1, v2
	v_add_nc_u32_e32 v5, v6, v5
	s_delay_alu instid0(VALU_DEP_1) | instskip(NEXT) | instid1(VALU_DEP_1)
	v_mov_b32_dpp v6, v5 row_shr:2 row_mask:0xf bank_mask:0xf
	v_cndmask_b32_e32 v6, 0, v6, vcc_lo
	v_cmp_lt_u32_e32 vcc_lo, 3, v2
	s_delay_alu instid0(VALU_DEP_2) | instskip(NEXT) | instid1(VALU_DEP_1)
	v_add_nc_u32_e32 v5, v5, v6
	v_mov_b32_dpp v6, v5 row_shr:4 row_mask:0xf bank_mask:0xf
	s_delay_alu instid0(VALU_DEP_1) | instskip(NEXT) | instid1(VALU_DEP_1)
	v_cndmask_b32_e32 v6, 0, v6, vcc_lo
	v_add_nc_u32_e32 v5, v5, v6
	ds_store_b32 v98, v5
.LBB844_394:                            ;   in Loop: Header=BB844_20 Depth=1
	s_or_b32 exec_lo, exec_lo, s11
	v_mov_b32_e32 v5, 0
	s_waitcnt lgkmcnt(0)
	s_barrier
	buffer_gl0_inv
	s_and_saveexec_b32 s11, s5
	s_cbranch_execz .LBB844_396
; %bb.395:                              ;   in Loop: Header=BB844_20 Depth=1
	ds_load_b32 v5, v99
.LBB844_396:                            ;   in Loop: Header=BB844_20 Depth=1
	s_or_b32 exec_lo, exec_lo, s11
	v_add_nc_u32_e32 v6, -1, v136
	s_waitcnt lgkmcnt(0)
	v_add_nc_u32_e32 v4, v5, v4
	v_cmp_eq_u32_e64 s11, 0, v136
	s_barrier
	v_cmp_gt_i32_e32 vcc_lo, 0, v6
	buffer_gl0_inv
	v_cndmask_b32_e32 v6, v6, v136, vcc_lo
	s_delay_alu instid0(VALU_DEP_1)
	v_lshlrev_b32_e32 v137, 2, v6
	ds_bpermute_b32 v4, v137, v4
	s_and_saveexec_b32 s12, s2
	s_cbranch_execz .LBB844_398
; %bb.397:                              ;   in Loop: Header=BB844_20 Depth=1
	s_waitcnt lgkmcnt(0)
	v_cndmask_b32_e64 v4, v4, v5, s11
	s_delay_alu instid0(VALU_DEP_1)
	v_add_nc_u32_e32 v4, s60, v4
	ds_store_b32 v76, v4
.LBB844_398:                            ;   in Loop: Header=BB844_20 Depth=1
	s_or_b32 exec_lo, exec_lo, s12
	s_load_b64 s[12:13], s[36:37], 0x0
	v_lshlrev_b32_e32 v7, 3, v136
	v_or_b32_e32 v138, v136, v100
	s_mov_b32 s50, s62
	s_mov_b32 s34, s60
                                        ; implicit-def: $vgpr8_vgpr9
                                        ; implicit-def: $vgpr10_vgpr11
                                        ; implicit-def: $vgpr12_vgpr13
                                        ; implicit-def: $vgpr14_vgpr15
                                        ; implicit-def: $vgpr16_vgpr17
                                        ; implicit-def: $vgpr18_vgpr19
                                        ; implicit-def: $vgpr20_vgpr21
                                        ; implicit-def: $vgpr22_vgpr23
                                        ; implicit-def: $vgpr24_vgpr25
                                        ; implicit-def: $vgpr26_vgpr27
                                        ; implicit-def: $vgpr28_vgpr29
                                        ; implicit-def: $vgpr30_vgpr31
                                        ; implicit-def: $vgpr32_vgpr33
                                        ; implicit-def: $vgpr34_vgpr35
                                        ; implicit-def: $vgpr161
                                        ; implicit-def: $vgpr162
                                        ; implicit-def: $vgpr163
                                        ; implicit-def: $vgpr164
                                        ; implicit-def: $vgpr165
                                        ; implicit-def: $vgpr166
                                        ; implicit-def: $vgpr167
                                        ; implicit-def: $vgpr168
                                        ; implicit-def: $vgpr169
                                        ; implicit-def: $vgpr170
                                        ; implicit-def: $vgpr171
                                        ; implicit-def: $vgpr172
                                        ; implicit-def: $vgpr173
                                        ; implicit-def: $vgpr174
                                        ; implicit-def: $vgpr175
                                        ; implicit-def: $vgpr176
	s_delay_alu instid0(VALU_DEP_2) | instskip(SKIP_4) | instid1(VALU_DEP_3)
	v_add_co_u32 v139, vcc_lo, v113, v7
	v_add_co_ci_u32_e32 v140, vcc_lo, 0, v114, vcc_lo
	v_add_co_u32 v156, vcc_lo, v115, v7
	v_add_co_ci_u32_e32 v157, vcc_lo, 0, v116, vcc_lo
	v_or_b32_e32 v141, 32, v138
	v_add_co_u32 v159, vcc_lo, 0xf00, v156
	v_or_b32_e32 v142, 64, v138
	v_or_b32_e32 v143, 0x60, v138
	;; [unrolled: 1-line block ×3, first 2 shown]
	s_waitcnt lgkmcnt(0)
	s_cmp_lt_u32 s15, s13
	v_or_b32_e32 v145, 0xa0, v138
	s_cselect_b32 s13, 14, 20
	v_or_b32_e32 v146, 0xc0, v138
	s_add_u32 s16, s36, s13
	s_addc_u32 s17, s37, 0
	s_cmp_lt_u32 s14, s12
	global_load_u16 v4, v3, s[16:17]
	s_cselect_b32 s12, 12, 18
	v_or_b32_e32 v147, 0xe0, v138
	s_add_u32 s12, s36, s12
	s_addc_u32 s13, s37, 0
	v_or_b32_e32 v148, 0x100, v138
	global_load_u16 v6, v3, s[12:13]
	v_cmp_eq_u32_e64 s12, 0, v2
	v_cmp_lt_u32_e64 s13, 1, v2
	v_cmp_lt_u32_e64 s16, 3, v2
	v_or_b32_e32 v149, 0x120, v138
	v_or_b32_e32 v150, 0x140, v138
	;; [unrolled: 1-line block ×7, first 2 shown]
	v_add_co_ci_u32_e32 v160, vcc_lo, 0, v157, vcc_lo
	s_waitcnt vmcnt(1)
	v_mad_u32_u24 v2, v101, v4, v0
	s_waitcnt vmcnt(0)
	s_delay_alu instid0(VALU_DEP_1) | instskip(NEXT) | instid1(VALU_DEP_1)
	v_mad_u64_u32 v[4:5], null, v2, v6, v[1:2]
                                        ; implicit-def: $vgpr6_vgpr7
	v_lshrrev_b32_e32 v158, 5, v4
                                        ; implicit-def: $vgpr4_vgpr5
	s_branch .LBB844_400
.LBB844_399:                            ;   in Loop: Header=BB844_400 Depth=2
	s_or_b32 exec_lo, exec_lo, s17
	s_addk_i32 s50, 0xf000
	s_cmp_lt_u32 s51, s61
	s_mov_b32 s34, s51
	s_cbranch_scc0 .LBB844_608
.LBB844_400:                            ;   Parent Loop BB844_20 Depth=1
                                        ; =>  This Inner Loop Header: Depth=2
	s_add_i32 s51, s34, 0x1000
	s_delay_alu instid0(SALU_CYCLE_1)
	s_cmp_gt_u32 s51, s61
	s_cbranch_scc1 .LBB844_402
; %bb.401:                              ;   in Loop: Header=BB844_400 Depth=2
	s_mov_b32 s19, 0
	s_mov_b32 s18, s34
	s_movk_i32 s17, 0x1000
	s_lshl_b64 s[20:21], s[18:19], 3
	s_delay_alu instid0(SALU_CYCLE_1)
	v_add_co_u32 v64, vcc_lo, v156, s20
	v_add_co_ci_u32_e32 v65, vcc_lo, s21, v157, vcc_lo
	s_mov_b32 s20, -1
	s_clause 0xe
	global_load_b64 v[36:37], v[64:65], off
	global_load_b64 v[38:39], v[64:65], off offset:256
	global_load_b64 v[40:41], v[64:65], off offset:512
	;; [unrolled: 1-line block ×14, first 2 shown]
	s_cbranch_execz .LBB844_403
	s_branch .LBB844_434
.LBB844_402:                            ;   in Loop: Header=BB844_400 Depth=2
	s_mov_b32 s19, -1
	s_mov_b32 s20, 0
                                        ; implicit-def: $sgpr17
                                        ; implicit-def: $vgpr36_vgpr37
                                        ; implicit-def: $vgpr38_vgpr39
                                        ; implicit-def: $vgpr40_vgpr41
                                        ; implicit-def: $vgpr42_vgpr43
                                        ; implicit-def: $vgpr44_vgpr45
                                        ; implicit-def: $vgpr46_vgpr47
                                        ; implicit-def: $vgpr48_vgpr49
                                        ; implicit-def: $vgpr50_vgpr51
                                        ; implicit-def: $vgpr52_vgpr53
                                        ; implicit-def: $vgpr54_vgpr55
                                        ; implicit-def: $vgpr56_vgpr57
                                        ; implicit-def: $vgpr58_vgpr59
                                        ; implicit-def: $vgpr60_vgpr61
                                        ; implicit-def: $vgpr62_vgpr63
                                        ; implicit-def: $vgpr64_vgpr65
.LBB844_403:                            ;   in Loop: Header=BB844_400 Depth=2
	s_lshl_b64 s[18:19], s[34:35], 3
	s_waitcnt vmcnt(14)
	v_dual_mov_b32 v36, s38 :: v_dual_mov_b32 v37, s39
	v_add_co_u32 v66, vcc_lo, v156, s18
	v_add_co_ci_u32_e32 v67, vcc_lo, s19, v157, vcc_lo
	s_mov_b32 s17, exec_lo
	v_cmpx_gt_u32_e64 s50, v138
	s_cbranch_execz .LBB844_405
; %bb.404:                              ;   in Loop: Header=BB844_400 Depth=2
	global_load_b64 v[36:37], v[66:67], off
.LBB844_405:                            ;   in Loop: Header=BB844_400 Depth=2
	s_or_b32 exec_lo, exec_lo, s17
	s_waitcnt vmcnt(13)
	v_dual_mov_b32 v38, s38 :: v_dual_mov_b32 v39, s39
	s_mov_b32 s17, exec_lo
	v_cmpx_gt_u32_e64 s50, v141
	s_cbranch_execz .LBB844_407
; %bb.406:                              ;   in Loop: Header=BB844_400 Depth=2
	global_load_b64 v[38:39], v[66:67], off offset:256
.LBB844_407:                            ;   in Loop: Header=BB844_400 Depth=2
	s_or_b32 exec_lo, exec_lo, s17
	s_waitcnt vmcnt(12)
	v_dual_mov_b32 v41, s39 :: v_dual_mov_b32 v40, s38
	s_mov_b32 s17, exec_lo
	v_cmpx_gt_u32_e64 s50, v142
	s_cbranch_execz .LBB844_409
; %bb.408:                              ;   in Loop: Header=BB844_400 Depth=2
	global_load_b64 v[40:41], v[66:67], off offset:512
.LBB844_409:                            ;   in Loop: Header=BB844_400 Depth=2
	;; [unrolled: 9-line block ×14, first 2 shown]
	s_or_b32 exec_lo, exec_lo, s17
	v_cmp_gt_u32_e64 s20, s50, v155
	s_sub_i32 s17, s61, s34
	s_mov_b64 s[18:19], s[34:35]
.LBB844_434:                            ;   in Loop: Header=BB844_400 Depth=2
	v_dual_mov_b32 v67, s39 :: v_dual_mov_b32 v66, s38
	v_mov_b32_e32 v177, s50
	s_and_saveexec_b32 s21, s20
	s_cbranch_execz .LBB844_436
; %bb.435:                              ;   in Loop: Header=BB844_400 Depth=2
	s_lshl_b64 s[18:19], s[18:19], 3
	v_mov_b32_e32 v177, s17
	v_add_co_u32 v66, vcc_lo, v159, s18
	v_add_co_ci_u32_e32 v67, vcc_lo, s19, v160, vcc_lo
	global_load_b64 v[66:67], v[66:67], off
.LBB844_436:                            ;   in Loop: Header=BB844_400 Depth=2
	s_or_b32 exec_lo, exec_lo, s21
	s_waitcnt vmcnt(14)
	v_xor_b32_e32 v37, 0x80000000, v37
	ds_store_b32 v102, v3 offset:1056
	ds_store_2addr_b32 v103, v3, v3 offset0:1 offset1:2
	ds_store_2addr_b32 v103, v3, v3 offset0:3 offset1:4
	;; [unrolled: 1-line block ×4, first 2 shown]
	s_waitcnt vmcnt(0) lgkmcnt(0)
	s_barrier
	v_lshrrev_b64 v[68:69], s41, v[36:37]
	buffer_gl0_inv
	; wave barrier
	v_and_b32_e32 v69, s43, v68
	s_delay_alu instid0(VALU_DEP_1)
	v_and_b32_e32 v2, 1, v69
	v_lshlrev_b32_e32 v68, 30, v69
	v_lshlrev_b32_e32 v70, 29, v69
	;; [unrolled: 1-line block ×4, first 2 shown]
	v_add_co_u32 v2, s17, v2, -1
	s_delay_alu instid0(VALU_DEP_1)
	v_cndmask_b32_e64 v72, 0, 1, s17
	v_not_b32_e32 v178, v68
	v_cmp_gt_i32_e64 s17, 0, v68
	v_not_b32_e32 v68, v70
	v_lshlrev_b32_e32 v74, 26, v69
	v_cmp_ne_u32_e32 vcc_lo, 0, v72
	v_ashrrev_i32_e32 v178, 31, v178
	v_lshlrev_b32_e32 v75, 25, v69
	v_ashrrev_i32_e32 v68, 31, v68
	v_lshlrev_b32_e32 v72, 24, v69
	v_xor_b32_e32 v2, vcc_lo, v2
	v_cmp_gt_i32_e32 vcc_lo, 0, v70
	v_not_b32_e32 v70, v71
	v_xor_b32_e32 v178, s17, v178
	v_cmp_gt_i32_e64 s17, 0, v71
	v_and_b32_e32 v2, exec_lo, v2
	v_not_b32_e32 v71, v73
	v_ashrrev_i32_e32 v70, 31, v70
	v_xor_b32_e32 v68, vcc_lo, v68
	v_cmp_gt_i32_e32 vcc_lo, 0, v73
	v_and_b32_e32 v2, v2, v178
	v_not_b32_e32 v73, v74
	v_ashrrev_i32_e32 v71, 31, v71
	v_xor_b32_e32 v70, s17, v70
	v_cmp_gt_i32_e64 s17, 0, v74
	v_and_b32_e32 v2, v2, v68
	v_not_b32_e32 v68, v75
	v_ashrrev_i32_e32 v73, 31, v73
	v_xor_b32_e32 v71, vcc_lo, v71
	v_cmp_gt_i32_e32 vcc_lo, 0, v75
	v_and_b32_e32 v2, v2, v70
	v_not_b32_e32 v70, v72
	v_ashrrev_i32_e32 v68, 31, v68
	v_xor_b32_e32 v73, s17, v73
	v_cmp_gt_i32_e64 s17, 0, v72
	v_and_b32_e32 v2, v2, v71
	v_ashrrev_i32_e32 v70, 31, v70
	v_xor_b32_e32 v68, vcc_lo, v68
	v_mad_u32_u24 v69, v69, 9, v158
	s_delay_alu instid0(VALU_DEP_4) | instskip(NEXT) | instid1(VALU_DEP_4)
	v_and_b32_e32 v2, v2, v73
	v_xor_b32_e32 v70, s17, v70
	s_delay_alu instid0(VALU_DEP_3) | instskip(NEXT) | instid1(VALU_DEP_3)
	v_lshl_add_u32 v178, v69, 2, 0x420
	v_and_b32_e32 v2, v2, v68
	s_delay_alu instid0(VALU_DEP_1) | instskip(NEXT) | instid1(VALU_DEP_1)
	v_and_b32_e32 v68, v2, v70
	v_mbcnt_lo_u32_b32 v2, v68, 0
	v_cmp_ne_u32_e64 s17, 0, v68
	s_delay_alu instid0(VALU_DEP_2) | instskip(NEXT) | instid1(VALU_DEP_2)
	v_cmp_eq_u32_e32 vcc_lo, 0, v2
	s_and_b32 s18, s17, vcc_lo
	s_delay_alu instid0(SALU_CYCLE_1)
	s_and_saveexec_b32 s17, s18
	s_cbranch_execz .LBB844_438
; %bb.437:                              ;   in Loop: Header=BB844_400 Depth=2
	v_bcnt_u32_b32 v68, v68, 0
	ds_store_b32 v178, v68
.LBB844_438:                            ;   in Loop: Header=BB844_400 Depth=2
	s_or_b32 exec_lo, exec_lo, s17
	v_xor_b32_e32 v39, 0x80000000, v39
	; wave barrier
	s_delay_alu instid0(VALU_DEP_1) | instskip(NEXT) | instid1(VALU_DEP_1)
	v_lshrrev_b64 v[68:69], s41, v[38:39]
	v_and_b32_e32 v68, s43, v68
	s_delay_alu instid0(VALU_DEP_1)
	v_and_b32_e32 v69, 1, v68
	v_lshlrev_b32_e32 v70, 30, v68
	v_lshlrev_b32_e32 v71, 29, v68
	;; [unrolled: 1-line block ×4, first 2 shown]
	v_add_co_u32 v69, s17, v69, -1
	s_delay_alu instid0(VALU_DEP_1)
	v_cndmask_b32_e64 v73, 0, 1, s17
	v_not_b32_e32 v180, v70
	v_cmp_gt_i32_e64 s17, 0, v70
	v_not_b32_e32 v70, v71
	v_lshlrev_b32_e32 v75, 26, v68
	v_cmp_ne_u32_e32 vcc_lo, 0, v73
	v_ashrrev_i32_e32 v180, 31, v180
	v_lshlrev_b32_e32 v179, 25, v68
	v_ashrrev_i32_e32 v70, 31, v70
	v_lshlrev_b32_e32 v73, 24, v68
	v_xor_b32_e32 v69, vcc_lo, v69
	v_cmp_gt_i32_e32 vcc_lo, 0, v71
	v_not_b32_e32 v71, v72
	v_xor_b32_e32 v180, s17, v180
	v_cmp_gt_i32_e64 s17, 0, v72
	v_and_b32_e32 v69, exec_lo, v69
	v_not_b32_e32 v72, v74
	v_ashrrev_i32_e32 v71, 31, v71
	v_xor_b32_e32 v70, vcc_lo, v70
	v_cmp_gt_i32_e32 vcc_lo, 0, v74
	v_and_b32_e32 v69, v69, v180
	v_not_b32_e32 v74, v75
	v_ashrrev_i32_e32 v72, 31, v72
	v_xor_b32_e32 v71, s17, v71
	v_cmp_gt_i32_e64 s17, 0, v75
	v_and_b32_e32 v69, v69, v70
	v_not_b32_e32 v70, v179
	v_ashrrev_i32_e32 v74, 31, v74
	v_xor_b32_e32 v72, vcc_lo, v72
	v_cmp_gt_i32_e32 vcc_lo, 0, v179
	v_and_b32_e32 v69, v69, v71
	v_not_b32_e32 v71, v73
	v_ashrrev_i32_e32 v70, 31, v70
	v_xor_b32_e32 v74, s17, v74
	v_mul_u32_u24_e32 v68, 9, v68
	v_and_b32_e32 v69, v69, v72
	v_cmp_gt_i32_e64 s17, 0, v73
	v_ashrrev_i32_e32 v71, 31, v71
	v_xor_b32_e32 v70, vcc_lo, v70
	v_add_lshl_u32 v72, v68, v158, 2
	v_and_b32_e32 v69, v69, v74
	s_delay_alu instid0(VALU_DEP_4) | instskip(SKIP_3) | instid1(VALU_DEP_2)
	v_xor_b32_e32 v68, s17, v71
	ds_load_b32 v179, v72 offset:1056
	v_and_b32_e32 v69, v69, v70
	v_add_nc_u32_e32 v181, 0x420, v72
	; wave barrier
	v_and_b32_e32 v68, v69, v68
	s_delay_alu instid0(VALU_DEP_1) | instskip(SKIP_1) | instid1(VALU_DEP_2)
	v_mbcnt_lo_u32_b32 v180, v68, 0
	v_cmp_ne_u32_e64 s17, 0, v68
	v_cmp_eq_u32_e32 vcc_lo, 0, v180
	s_delay_alu instid0(VALU_DEP_2) | instskip(NEXT) | instid1(SALU_CYCLE_1)
	s_and_b32 s18, s17, vcc_lo
	s_and_saveexec_b32 s17, s18
	s_cbranch_execz .LBB844_440
; %bb.439:                              ;   in Loop: Header=BB844_400 Depth=2
	s_waitcnt lgkmcnt(0)
	v_bcnt_u32_b32 v68, v68, v179
	ds_store_b32 v181, v68
.LBB844_440:                            ;   in Loop: Header=BB844_400 Depth=2
	s_or_b32 exec_lo, exec_lo, s17
	v_xor_b32_e32 v41, 0x80000000, v41
	; wave barrier
	s_delay_alu instid0(VALU_DEP_1) | instskip(NEXT) | instid1(VALU_DEP_1)
	v_lshrrev_b64 v[68:69], s41, v[40:41]
	v_and_b32_e32 v68, s43, v68
	s_delay_alu instid0(VALU_DEP_1)
	v_and_b32_e32 v69, 1, v68
	v_lshlrev_b32_e32 v70, 30, v68
	v_lshlrev_b32_e32 v71, 29, v68
	;; [unrolled: 1-line block ×4, first 2 shown]
	v_add_co_u32 v69, s17, v69, -1
	s_delay_alu instid0(VALU_DEP_1)
	v_cndmask_b32_e64 v73, 0, 1, s17
	v_not_b32_e32 v183, v70
	v_cmp_gt_i32_e64 s17, 0, v70
	v_not_b32_e32 v70, v71
	v_lshlrev_b32_e32 v75, 26, v68
	v_cmp_ne_u32_e32 vcc_lo, 0, v73
	v_ashrrev_i32_e32 v183, 31, v183
	v_lshlrev_b32_e32 v182, 25, v68
	v_ashrrev_i32_e32 v70, 31, v70
	v_lshlrev_b32_e32 v73, 24, v68
	v_xor_b32_e32 v69, vcc_lo, v69
	v_cmp_gt_i32_e32 vcc_lo, 0, v71
	v_not_b32_e32 v71, v72
	v_xor_b32_e32 v183, s17, v183
	v_cmp_gt_i32_e64 s17, 0, v72
	v_and_b32_e32 v69, exec_lo, v69
	v_not_b32_e32 v72, v74
	v_ashrrev_i32_e32 v71, 31, v71
	v_xor_b32_e32 v70, vcc_lo, v70
	v_cmp_gt_i32_e32 vcc_lo, 0, v74
	v_and_b32_e32 v69, v69, v183
	v_not_b32_e32 v74, v75
	v_ashrrev_i32_e32 v72, 31, v72
	v_xor_b32_e32 v71, s17, v71
	v_cmp_gt_i32_e64 s17, 0, v75
	v_and_b32_e32 v69, v69, v70
	v_not_b32_e32 v70, v182
	v_ashrrev_i32_e32 v74, 31, v74
	v_xor_b32_e32 v72, vcc_lo, v72
	v_cmp_gt_i32_e32 vcc_lo, 0, v182
	v_and_b32_e32 v69, v69, v71
	v_not_b32_e32 v71, v73
	v_ashrrev_i32_e32 v70, 31, v70
	v_xor_b32_e32 v74, s17, v74
	v_mul_u32_u24_e32 v68, 9, v68
	v_and_b32_e32 v69, v69, v72
	v_cmp_gt_i32_e64 s17, 0, v73
	v_ashrrev_i32_e32 v71, 31, v71
	v_xor_b32_e32 v70, vcc_lo, v70
	v_add_lshl_u32 v72, v68, v158, 2
	v_and_b32_e32 v69, v69, v74
	s_delay_alu instid0(VALU_DEP_4) | instskip(SKIP_3) | instid1(VALU_DEP_2)
	v_xor_b32_e32 v68, s17, v71
	ds_load_b32 v182, v72 offset:1056
	v_and_b32_e32 v69, v69, v70
	v_add_nc_u32_e32 v184, 0x420, v72
	; wave barrier
	v_and_b32_e32 v68, v69, v68
	s_delay_alu instid0(VALU_DEP_1) | instskip(SKIP_1) | instid1(VALU_DEP_2)
	v_mbcnt_lo_u32_b32 v183, v68, 0
	v_cmp_ne_u32_e64 s17, 0, v68
	v_cmp_eq_u32_e32 vcc_lo, 0, v183
	s_delay_alu instid0(VALU_DEP_2) | instskip(NEXT) | instid1(SALU_CYCLE_1)
	s_and_b32 s18, s17, vcc_lo
	s_and_saveexec_b32 s17, s18
	s_cbranch_execz .LBB844_442
; %bb.441:                              ;   in Loop: Header=BB844_400 Depth=2
	s_waitcnt lgkmcnt(0)
	v_bcnt_u32_b32 v68, v68, v182
	ds_store_b32 v184, v68
.LBB844_442:                            ;   in Loop: Header=BB844_400 Depth=2
	s_or_b32 exec_lo, exec_lo, s17
	v_xor_b32_e32 v43, 0x80000000, v43
	; wave barrier
	s_delay_alu instid0(VALU_DEP_1) | instskip(NEXT) | instid1(VALU_DEP_1)
	v_lshrrev_b64 v[68:69], s41, v[42:43]
	v_and_b32_e32 v68, s43, v68
	s_delay_alu instid0(VALU_DEP_1)
	v_and_b32_e32 v69, 1, v68
	v_lshlrev_b32_e32 v70, 30, v68
	v_lshlrev_b32_e32 v71, 29, v68
	;; [unrolled: 1-line block ×4, first 2 shown]
	v_add_co_u32 v69, s17, v69, -1
	s_delay_alu instid0(VALU_DEP_1)
	v_cndmask_b32_e64 v73, 0, 1, s17
	v_not_b32_e32 v186, v70
	v_cmp_gt_i32_e64 s17, 0, v70
	v_not_b32_e32 v70, v71
	v_lshlrev_b32_e32 v75, 26, v68
	v_cmp_ne_u32_e32 vcc_lo, 0, v73
	v_ashrrev_i32_e32 v186, 31, v186
	v_lshlrev_b32_e32 v185, 25, v68
	v_ashrrev_i32_e32 v70, 31, v70
	v_lshlrev_b32_e32 v73, 24, v68
	v_xor_b32_e32 v69, vcc_lo, v69
	v_cmp_gt_i32_e32 vcc_lo, 0, v71
	v_not_b32_e32 v71, v72
	v_xor_b32_e32 v186, s17, v186
	v_cmp_gt_i32_e64 s17, 0, v72
	v_and_b32_e32 v69, exec_lo, v69
	v_not_b32_e32 v72, v74
	v_ashrrev_i32_e32 v71, 31, v71
	v_xor_b32_e32 v70, vcc_lo, v70
	v_cmp_gt_i32_e32 vcc_lo, 0, v74
	v_and_b32_e32 v69, v69, v186
	v_not_b32_e32 v74, v75
	v_ashrrev_i32_e32 v72, 31, v72
	v_xor_b32_e32 v71, s17, v71
	v_cmp_gt_i32_e64 s17, 0, v75
	v_and_b32_e32 v69, v69, v70
	v_not_b32_e32 v70, v185
	v_ashrrev_i32_e32 v74, 31, v74
	v_xor_b32_e32 v72, vcc_lo, v72
	v_cmp_gt_i32_e32 vcc_lo, 0, v185
	v_and_b32_e32 v69, v69, v71
	v_not_b32_e32 v71, v73
	v_ashrrev_i32_e32 v70, 31, v70
	v_xor_b32_e32 v74, s17, v74
	v_mul_u32_u24_e32 v68, 9, v68
	v_and_b32_e32 v69, v69, v72
	v_cmp_gt_i32_e64 s17, 0, v73
	v_ashrrev_i32_e32 v71, 31, v71
	v_xor_b32_e32 v70, vcc_lo, v70
	v_add_lshl_u32 v72, v68, v158, 2
	v_and_b32_e32 v69, v69, v74
	s_delay_alu instid0(VALU_DEP_4) | instskip(SKIP_3) | instid1(VALU_DEP_2)
	v_xor_b32_e32 v68, s17, v71
	ds_load_b32 v185, v72 offset:1056
	v_and_b32_e32 v69, v69, v70
	v_add_nc_u32_e32 v187, 0x420, v72
	; wave barrier
	v_and_b32_e32 v68, v69, v68
	s_delay_alu instid0(VALU_DEP_1) | instskip(SKIP_1) | instid1(VALU_DEP_2)
	v_mbcnt_lo_u32_b32 v186, v68, 0
	v_cmp_ne_u32_e64 s17, 0, v68
	v_cmp_eq_u32_e32 vcc_lo, 0, v186
	s_delay_alu instid0(VALU_DEP_2) | instskip(NEXT) | instid1(SALU_CYCLE_1)
	s_and_b32 s18, s17, vcc_lo
	s_and_saveexec_b32 s17, s18
	s_cbranch_execz .LBB844_444
; %bb.443:                              ;   in Loop: Header=BB844_400 Depth=2
	s_waitcnt lgkmcnt(0)
	v_bcnt_u32_b32 v68, v68, v185
	ds_store_b32 v187, v68
.LBB844_444:                            ;   in Loop: Header=BB844_400 Depth=2
	s_or_b32 exec_lo, exec_lo, s17
	v_xor_b32_e32 v45, 0x80000000, v45
	; wave barrier
	s_delay_alu instid0(VALU_DEP_1) | instskip(NEXT) | instid1(VALU_DEP_1)
	v_lshrrev_b64 v[68:69], s41, v[44:45]
	v_and_b32_e32 v68, s43, v68
	s_delay_alu instid0(VALU_DEP_1)
	v_and_b32_e32 v69, 1, v68
	v_lshlrev_b32_e32 v70, 30, v68
	v_lshlrev_b32_e32 v71, 29, v68
	;; [unrolled: 1-line block ×4, first 2 shown]
	v_add_co_u32 v69, s17, v69, -1
	s_delay_alu instid0(VALU_DEP_1)
	v_cndmask_b32_e64 v73, 0, 1, s17
	v_not_b32_e32 v189, v70
	v_cmp_gt_i32_e64 s17, 0, v70
	v_not_b32_e32 v70, v71
	v_lshlrev_b32_e32 v75, 26, v68
	v_cmp_ne_u32_e32 vcc_lo, 0, v73
	v_ashrrev_i32_e32 v189, 31, v189
	v_lshlrev_b32_e32 v188, 25, v68
	v_ashrrev_i32_e32 v70, 31, v70
	v_lshlrev_b32_e32 v73, 24, v68
	v_xor_b32_e32 v69, vcc_lo, v69
	v_cmp_gt_i32_e32 vcc_lo, 0, v71
	v_not_b32_e32 v71, v72
	v_xor_b32_e32 v189, s17, v189
	v_cmp_gt_i32_e64 s17, 0, v72
	v_and_b32_e32 v69, exec_lo, v69
	v_not_b32_e32 v72, v74
	v_ashrrev_i32_e32 v71, 31, v71
	v_xor_b32_e32 v70, vcc_lo, v70
	v_cmp_gt_i32_e32 vcc_lo, 0, v74
	v_and_b32_e32 v69, v69, v189
	v_not_b32_e32 v74, v75
	v_ashrrev_i32_e32 v72, 31, v72
	v_xor_b32_e32 v71, s17, v71
	v_cmp_gt_i32_e64 s17, 0, v75
	v_and_b32_e32 v69, v69, v70
	v_not_b32_e32 v70, v188
	v_ashrrev_i32_e32 v74, 31, v74
	v_xor_b32_e32 v72, vcc_lo, v72
	v_cmp_gt_i32_e32 vcc_lo, 0, v188
	v_and_b32_e32 v69, v69, v71
	v_not_b32_e32 v71, v73
	v_ashrrev_i32_e32 v70, 31, v70
	v_xor_b32_e32 v74, s17, v74
	v_mul_u32_u24_e32 v68, 9, v68
	v_and_b32_e32 v69, v69, v72
	v_cmp_gt_i32_e64 s17, 0, v73
	v_ashrrev_i32_e32 v71, 31, v71
	v_xor_b32_e32 v70, vcc_lo, v70
	v_add_lshl_u32 v72, v68, v158, 2
	v_and_b32_e32 v69, v69, v74
	s_delay_alu instid0(VALU_DEP_4) | instskip(SKIP_3) | instid1(VALU_DEP_2)
	v_xor_b32_e32 v68, s17, v71
	ds_load_b32 v188, v72 offset:1056
	v_and_b32_e32 v69, v69, v70
	v_add_nc_u32_e32 v190, 0x420, v72
	; wave barrier
	v_and_b32_e32 v68, v69, v68
	s_delay_alu instid0(VALU_DEP_1) | instskip(SKIP_1) | instid1(VALU_DEP_2)
	v_mbcnt_lo_u32_b32 v189, v68, 0
	v_cmp_ne_u32_e64 s17, 0, v68
	v_cmp_eq_u32_e32 vcc_lo, 0, v189
	s_delay_alu instid0(VALU_DEP_2) | instskip(NEXT) | instid1(SALU_CYCLE_1)
	s_and_b32 s18, s17, vcc_lo
	s_and_saveexec_b32 s17, s18
	s_cbranch_execz .LBB844_446
; %bb.445:                              ;   in Loop: Header=BB844_400 Depth=2
	s_waitcnt lgkmcnt(0)
	v_bcnt_u32_b32 v68, v68, v188
	ds_store_b32 v190, v68
.LBB844_446:                            ;   in Loop: Header=BB844_400 Depth=2
	s_or_b32 exec_lo, exec_lo, s17
	v_xor_b32_e32 v47, 0x80000000, v47
	; wave barrier
	s_delay_alu instid0(VALU_DEP_1) | instskip(NEXT) | instid1(VALU_DEP_1)
	v_lshrrev_b64 v[68:69], s41, v[46:47]
	v_and_b32_e32 v68, s43, v68
	s_delay_alu instid0(VALU_DEP_1)
	v_and_b32_e32 v69, 1, v68
	v_lshlrev_b32_e32 v70, 30, v68
	v_lshlrev_b32_e32 v71, 29, v68
	v_lshlrev_b32_e32 v72, 28, v68
	v_lshlrev_b32_e32 v74, 27, v68
	v_add_co_u32 v69, s17, v69, -1
	s_delay_alu instid0(VALU_DEP_1)
	v_cndmask_b32_e64 v73, 0, 1, s17
	v_not_b32_e32 v192, v70
	v_cmp_gt_i32_e64 s17, 0, v70
	v_not_b32_e32 v70, v71
	v_lshlrev_b32_e32 v75, 26, v68
	v_cmp_ne_u32_e32 vcc_lo, 0, v73
	v_ashrrev_i32_e32 v192, 31, v192
	v_lshlrev_b32_e32 v191, 25, v68
	v_ashrrev_i32_e32 v70, 31, v70
	v_lshlrev_b32_e32 v73, 24, v68
	v_xor_b32_e32 v69, vcc_lo, v69
	v_cmp_gt_i32_e32 vcc_lo, 0, v71
	v_not_b32_e32 v71, v72
	v_xor_b32_e32 v192, s17, v192
	v_cmp_gt_i32_e64 s17, 0, v72
	v_and_b32_e32 v69, exec_lo, v69
	v_not_b32_e32 v72, v74
	v_ashrrev_i32_e32 v71, 31, v71
	v_xor_b32_e32 v70, vcc_lo, v70
	v_cmp_gt_i32_e32 vcc_lo, 0, v74
	v_and_b32_e32 v69, v69, v192
	v_not_b32_e32 v74, v75
	v_ashrrev_i32_e32 v72, 31, v72
	v_xor_b32_e32 v71, s17, v71
	v_cmp_gt_i32_e64 s17, 0, v75
	v_and_b32_e32 v69, v69, v70
	v_not_b32_e32 v70, v191
	v_ashrrev_i32_e32 v74, 31, v74
	v_xor_b32_e32 v72, vcc_lo, v72
	v_cmp_gt_i32_e32 vcc_lo, 0, v191
	v_and_b32_e32 v69, v69, v71
	v_not_b32_e32 v71, v73
	v_ashrrev_i32_e32 v70, 31, v70
	v_xor_b32_e32 v74, s17, v74
	v_mul_u32_u24_e32 v68, 9, v68
	v_and_b32_e32 v69, v69, v72
	v_cmp_gt_i32_e64 s17, 0, v73
	v_ashrrev_i32_e32 v71, 31, v71
	v_xor_b32_e32 v70, vcc_lo, v70
	v_add_lshl_u32 v72, v68, v158, 2
	v_and_b32_e32 v69, v69, v74
	s_delay_alu instid0(VALU_DEP_4) | instskip(SKIP_3) | instid1(VALU_DEP_2)
	v_xor_b32_e32 v68, s17, v71
	ds_load_b32 v191, v72 offset:1056
	v_and_b32_e32 v69, v69, v70
	v_add_nc_u32_e32 v193, 0x420, v72
	; wave barrier
	v_and_b32_e32 v68, v69, v68
	s_delay_alu instid0(VALU_DEP_1) | instskip(SKIP_1) | instid1(VALU_DEP_2)
	v_mbcnt_lo_u32_b32 v192, v68, 0
	v_cmp_ne_u32_e64 s17, 0, v68
	v_cmp_eq_u32_e32 vcc_lo, 0, v192
	s_delay_alu instid0(VALU_DEP_2) | instskip(NEXT) | instid1(SALU_CYCLE_1)
	s_and_b32 s18, s17, vcc_lo
	s_and_saveexec_b32 s17, s18
	s_cbranch_execz .LBB844_448
; %bb.447:                              ;   in Loop: Header=BB844_400 Depth=2
	s_waitcnt lgkmcnt(0)
	v_bcnt_u32_b32 v68, v68, v191
	ds_store_b32 v193, v68
.LBB844_448:                            ;   in Loop: Header=BB844_400 Depth=2
	s_or_b32 exec_lo, exec_lo, s17
	v_xor_b32_e32 v49, 0x80000000, v49
	; wave barrier
	s_delay_alu instid0(VALU_DEP_1) | instskip(NEXT) | instid1(VALU_DEP_1)
	v_lshrrev_b64 v[68:69], s41, v[48:49]
	v_and_b32_e32 v68, s43, v68
	s_delay_alu instid0(VALU_DEP_1)
	v_and_b32_e32 v69, 1, v68
	v_lshlrev_b32_e32 v70, 30, v68
	v_lshlrev_b32_e32 v71, 29, v68
	;; [unrolled: 1-line block ×4, first 2 shown]
	v_add_co_u32 v69, s17, v69, -1
	s_delay_alu instid0(VALU_DEP_1)
	v_cndmask_b32_e64 v73, 0, 1, s17
	v_not_b32_e32 v195, v70
	v_cmp_gt_i32_e64 s17, 0, v70
	v_not_b32_e32 v70, v71
	v_lshlrev_b32_e32 v75, 26, v68
	v_cmp_ne_u32_e32 vcc_lo, 0, v73
	v_ashrrev_i32_e32 v195, 31, v195
	v_lshlrev_b32_e32 v194, 25, v68
	v_ashrrev_i32_e32 v70, 31, v70
	v_lshlrev_b32_e32 v73, 24, v68
	v_xor_b32_e32 v69, vcc_lo, v69
	v_cmp_gt_i32_e32 vcc_lo, 0, v71
	v_not_b32_e32 v71, v72
	v_xor_b32_e32 v195, s17, v195
	v_cmp_gt_i32_e64 s17, 0, v72
	v_and_b32_e32 v69, exec_lo, v69
	v_not_b32_e32 v72, v74
	v_ashrrev_i32_e32 v71, 31, v71
	v_xor_b32_e32 v70, vcc_lo, v70
	v_cmp_gt_i32_e32 vcc_lo, 0, v74
	v_and_b32_e32 v69, v69, v195
	v_not_b32_e32 v74, v75
	v_ashrrev_i32_e32 v72, 31, v72
	v_xor_b32_e32 v71, s17, v71
	v_cmp_gt_i32_e64 s17, 0, v75
	v_and_b32_e32 v69, v69, v70
	v_not_b32_e32 v70, v194
	v_ashrrev_i32_e32 v74, 31, v74
	v_xor_b32_e32 v72, vcc_lo, v72
	v_cmp_gt_i32_e32 vcc_lo, 0, v194
	v_and_b32_e32 v69, v69, v71
	v_not_b32_e32 v71, v73
	v_ashrrev_i32_e32 v70, 31, v70
	v_xor_b32_e32 v74, s17, v74
	v_mul_u32_u24_e32 v68, 9, v68
	v_and_b32_e32 v69, v69, v72
	v_cmp_gt_i32_e64 s17, 0, v73
	v_ashrrev_i32_e32 v71, 31, v71
	v_xor_b32_e32 v70, vcc_lo, v70
	v_add_lshl_u32 v72, v68, v158, 2
	v_and_b32_e32 v69, v69, v74
	s_delay_alu instid0(VALU_DEP_4) | instskip(SKIP_3) | instid1(VALU_DEP_2)
	v_xor_b32_e32 v68, s17, v71
	ds_load_b32 v194, v72 offset:1056
	v_and_b32_e32 v69, v69, v70
	v_add_nc_u32_e32 v196, 0x420, v72
	; wave barrier
	v_and_b32_e32 v68, v69, v68
	s_delay_alu instid0(VALU_DEP_1) | instskip(SKIP_1) | instid1(VALU_DEP_2)
	v_mbcnt_lo_u32_b32 v195, v68, 0
	v_cmp_ne_u32_e64 s17, 0, v68
	v_cmp_eq_u32_e32 vcc_lo, 0, v195
	s_delay_alu instid0(VALU_DEP_2) | instskip(NEXT) | instid1(SALU_CYCLE_1)
	s_and_b32 s18, s17, vcc_lo
	s_and_saveexec_b32 s17, s18
	s_cbranch_execz .LBB844_450
; %bb.449:                              ;   in Loop: Header=BB844_400 Depth=2
	s_waitcnt lgkmcnt(0)
	v_bcnt_u32_b32 v68, v68, v194
	ds_store_b32 v196, v68
.LBB844_450:                            ;   in Loop: Header=BB844_400 Depth=2
	s_or_b32 exec_lo, exec_lo, s17
	v_xor_b32_e32 v51, 0x80000000, v51
	; wave barrier
	s_delay_alu instid0(VALU_DEP_1) | instskip(NEXT) | instid1(VALU_DEP_1)
	v_lshrrev_b64 v[68:69], s41, v[50:51]
	v_and_b32_e32 v68, s43, v68
	s_delay_alu instid0(VALU_DEP_1)
	v_and_b32_e32 v69, 1, v68
	v_lshlrev_b32_e32 v70, 30, v68
	v_lshlrev_b32_e32 v71, 29, v68
	;; [unrolled: 1-line block ×4, first 2 shown]
	v_add_co_u32 v69, s17, v69, -1
	s_delay_alu instid0(VALU_DEP_1)
	v_cndmask_b32_e64 v73, 0, 1, s17
	v_not_b32_e32 v198, v70
	v_cmp_gt_i32_e64 s17, 0, v70
	v_not_b32_e32 v70, v71
	v_lshlrev_b32_e32 v75, 26, v68
	v_cmp_ne_u32_e32 vcc_lo, 0, v73
	v_ashrrev_i32_e32 v198, 31, v198
	v_lshlrev_b32_e32 v197, 25, v68
	v_ashrrev_i32_e32 v70, 31, v70
	v_lshlrev_b32_e32 v73, 24, v68
	v_xor_b32_e32 v69, vcc_lo, v69
	v_cmp_gt_i32_e32 vcc_lo, 0, v71
	v_not_b32_e32 v71, v72
	v_xor_b32_e32 v198, s17, v198
	v_cmp_gt_i32_e64 s17, 0, v72
	v_and_b32_e32 v69, exec_lo, v69
	v_not_b32_e32 v72, v74
	v_ashrrev_i32_e32 v71, 31, v71
	v_xor_b32_e32 v70, vcc_lo, v70
	v_cmp_gt_i32_e32 vcc_lo, 0, v74
	v_and_b32_e32 v69, v69, v198
	v_not_b32_e32 v74, v75
	v_ashrrev_i32_e32 v72, 31, v72
	v_xor_b32_e32 v71, s17, v71
	v_cmp_gt_i32_e64 s17, 0, v75
	v_and_b32_e32 v69, v69, v70
	v_not_b32_e32 v70, v197
	v_ashrrev_i32_e32 v74, 31, v74
	v_xor_b32_e32 v72, vcc_lo, v72
	v_cmp_gt_i32_e32 vcc_lo, 0, v197
	v_and_b32_e32 v69, v69, v71
	v_not_b32_e32 v71, v73
	v_ashrrev_i32_e32 v70, 31, v70
	v_xor_b32_e32 v74, s17, v74
	v_mul_u32_u24_e32 v68, 9, v68
	v_and_b32_e32 v69, v69, v72
	v_cmp_gt_i32_e64 s17, 0, v73
	v_ashrrev_i32_e32 v71, 31, v71
	v_xor_b32_e32 v70, vcc_lo, v70
	v_add_lshl_u32 v72, v68, v158, 2
	v_and_b32_e32 v69, v69, v74
	s_delay_alu instid0(VALU_DEP_4) | instskip(SKIP_3) | instid1(VALU_DEP_2)
	v_xor_b32_e32 v68, s17, v71
	ds_load_b32 v197, v72 offset:1056
	v_and_b32_e32 v69, v69, v70
	v_add_nc_u32_e32 v199, 0x420, v72
	; wave barrier
	v_and_b32_e32 v68, v69, v68
	s_delay_alu instid0(VALU_DEP_1) | instskip(SKIP_1) | instid1(VALU_DEP_2)
	v_mbcnt_lo_u32_b32 v198, v68, 0
	v_cmp_ne_u32_e64 s17, 0, v68
	v_cmp_eq_u32_e32 vcc_lo, 0, v198
	s_delay_alu instid0(VALU_DEP_2) | instskip(NEXT) | instid1(SALU_CYCLE_1)
	s_and_b32 s18, s17, vcc_lo
	s_and_saveexec_b32 s17, s18
	s_cbranch_execz .LBB844_452
; %bb.451:                              ;   in Loop: Header=BB844_400 Depth=2
	s_waitcnt lgkmcnt(0)
	v_bcnt_u32_b32 v68, v68, v197
	ds_store_b32 v199, v68
.LBB844_452:                            ;   in Loop: Header=BB844_400 Depth=2
	s_or_b32 exec_lo, exec_lo, s17
	v_xor_b32_e32 v53, 0x80000000, v53
	; wave barrier
	s_delay_alu instid0(VALU_DEP_1) | instskip(NEXT) | instid1(VALU_DEP_1)
	v_lshrrev_b64 v[68:69], s41, v[52:53]
	v_and_b32_e32 v68, s43, v68
	s_delay_alu instid0(VALU_DEP_1)
	v_and_b32_e32 v69, 1, v68
	v_lshlrev_b32_e32 v70, 30, v68
	v_lshlrev_b32_e32 v71, 29, v68
	;; [unrolled: 1-line block ×4, first 2 shown]
	v_add_co_u32 v69, s17, v69, -1
	s_delay_alu instid0(VALU_DEP_1)
	v_cndmask_b32_e64 v73, 0, 1, s17
	v_not_b32_e32 v201, v70
	v_cmp_gt_i32_e64 s17, 0, v70
	v_not_b32_e32 v70, v71
	v_lshlrev_b32_e32 v75, 26, v68
	v_cmp_ne_u32_e32 vcc_lo, 0, v73
	v_ashrrev_i32_e32 v201, 31, v201
	v_lshlrev_b32_e32 v200, 25, v68
	v_ashrrev_i32_e32 v70, 31, v70
	v_lshlrev_b32_e32 v73, 24, v68
	v_xor_b32_e32 v69, vcc_lo, v69
	v_cmp_gt_i32_e32 vcc_lo, 0, v71
	v_not_b32_e32 v71, v72
	v_xor_b32_e32 v201, s17, v201
	v_cmp_gt_i32_e64 s17, 0, v72
	v_and_b32_e32 v69, exec_lo, v69
	v_not_b32_e32 v72, v74
	v_ashrrev_i32_e32 v71, 31, v71
	v_xor_b32_e32 v70, vcc_lo, v70
	v_cmp_gt_i32_e32 vcc_lo, 0, v74
	v_and_b32_e32 v69, v69, v201
	v_not_b32_e32 v74, v75
	v_ashrrev_i32_e32 v72, 31, v72
	v_xor_b32_e32 v71, s17, v71
	v_cmp_gt_i32_e64 s17, 0, v75
	v_and_b32_e32 v69, v69, v70
	v_not_b32_e32 v70, v200
	v_ashrrev_i32_e32 v74, 31, v74
	v_xor_b32_e32 v72, vcc_lo, v72
	v_cmp_gt_i32_e32 vcc_lo, 0, v200
	v_and_b32_e32 v69, v69, v71
	v_not_b32_e32 v71, v73
	v_ashrrev_i32_e32 v70, 31, v70
	v_xor_b32_e32 v74, s17, v74
	v_mul_u32_u24_e32 v68, 9, v68
	v_and_b32_e32 v69, v69, v72
	v_cmp_gt_i32_e64 s17, 0, v73
	v_ashrrev_i32_e32 v71, 31, v71
	v_xor_b32_e32 v70, vcc_lo, v70
	v_add_lshl_u32 v72, v68, v158, 2
	v_and_b32_e32 v69, v69, v74
	s_delay_alu instid0(VALU_DEP_4) | instskip(SKIP_3) | instid1(VALU_DEP_2)
	v_xor_b32_e32 v68, s17, v71
	ds_load_b32 v200, v72 offset:1056
	v_and_b32_e32 v69, v69, v70
	v_add_nc_u32_e32 v202, 0x420, v72
	; wave barrier
	v_and_b32_e32 v68, v69, v68
	s_delay_alu instid0(VALU_DEP_1) | instskip(SKIP_1) | instid1(VALU_DEP_2)
	v_mbcnt_lo_u32_b32 v201, v68, 0
	v_cmp_ne_u32_e64 s17, 0, v68
	v_cmp_eq_u32_e32 vcc_lo, 0, v201
	s_delay_alu instid0(VALU_DEP_2) | instskip(NEXT) | instid1(SALU_CYCLE_1)
	s_and_b32 s18, s17, vcc_lo
	s_and_saveexec_b32 s17, s18
	s_cbranch_execz .LBB844_454
; %bb.453:                              ;   in Loop: Header=BB844_400 Depth=2
	s_waitcnt lgkmcnt(0)
	v_bcnt_u32_b32 v68, v68, v200
	ds_store_b32 v202, v68
.LBB844_454:                            ;   in Loop: Header=BB844_400 Depth=2
	s_or_b32 exec_lo, exec_lo, s17
	v_xor_b32_e32 v55, 0x80000000, v55
	; wave barrier
	s_delay_alu instid0(VALU_DEP_1) | instskip(NEXT) | instid1(VALU_DEP_1)
	v_lshrrev_b64 v[68:69], s41, v[54:55]
	v_and_b32_e32 v68, s43, v68
	s_delay_alu instid0(VALU_DEP_1)
	v_and_b32_e32 v69, 1, v68
	v_lshlrev_b32_e32 v70, 30, v68
	v_lshlrev_b32_e32 v71, 29, v68
	;; [unrolled: 1-line block ×4, first 2 shown]
	v_add_co_u32 v69, s17, v69, -1
	s_delay_alu instid0(VALU_DEP_1)
	v_cndmask_b32_e64 v73, 0, 1, s17
	v_not_b32_e32 v204, v70
	v_cmp_gt_i32_e64 s17, 0, v70
	v_not_b32_e32 v70, v71
	v_lshlrev_b32_e32 v75, 26, v68
	v_cmp_ne_u32_e32 vcc_lo, 0, v73
	v_ashrrev_i32_e32 v204, 31, v204
	v_lshlrev_b32_e32 v203, 25, v68
	v_ashrrev_i32_e32 v70, 31, v70
	v_lshlrev_b32_e32 v73, 24, v68
	v_xor_b32_e32 v69, vcc_lo, v69
	v_cmp_gt_i32_e32 vcc_lo, 0, v71
	v_not_b32_e32 v71, v72
	v_xor_b32_e32 v204, s17, v204
	v_cmp_gt_i32_e64 s17, 0, v72
	v_and_b32_e32 v69, exec_lo, v69
	v_not_b32_e32 v72, v74
	v_ashrrev_i32_e32 v71, 31, v71
	v_xor_b32_e32 v70, vcc_lo, v70
	v_cmp_gt_i32_e32 vcc_lo, 0, v74
	v_and_b32_e32 v69, v69, v204
	v_not_b32_e32 v74, v75
	v_ashrrev_i32_e32 v72, 31, v72
	v_xor_b32_e32 v71, s17, v71
	v_cmp_gt_i32_e64 s17, 0, v75
	v_and_b32_e32 v69, v69, v70
	v_not_b32_e32 v70, v203
	v_ashrrev_i32_e32 v74, 31, v74
	v_xor_b32_e32 v72, vcc_lo, v72
	v_cmp_gt_i32_e32 vcc_lo, 0, v203
	v_and_b32_e32 v69, v69, v71
	v_not_b32_e32 v71, v73
	v_ashrrev_i32_e32 v70, 31, v70
	v_xor_b32_e32 v74, s17, v74
	v_mul_u32_u24_e32 v68, 9, v68
	v_and_b32_e32 v69, v69, v72
	v_cmp_gt_i32_e64 s17, 0, v73
	v_ashrrev_i32_e32 v71, 31, v71
	v_xor_b32_e32 v70, vcc_lo, v70
	v_add_lshl_u32 v72, v68, v158, 2
	v_and_b32_e32 v69, v69, v74
	s_delay_alu instid0(VALU_DEP_4) | instskip(SKIP_3) | instid1(VALU_DEP_2)
	v_xor_b32_e32 v68, s17, v71
	ds_load_b32 v203, v72 offset:1056
	v_and_b32_e32 v69, v69, v70
	v_add_nc_u32_e32 v205, 0x420, v72
	; wave barrier
	v_and_b32_e32 v68, v69, v68
	s_delay_alu instid0(VALU_DEP_1) | instskip(SKIP_1) | instid1(VALU_DEP_2)
	v_mbcnt_lo_u32_b32 v204, v68, 0
	v_cmp_ne_u32_e64 s17, 0, v68
	v_cmp_eq_u32_e32 vcc_lo, 0, v204
	s_delay_alu instid0(VALU_DEP_2) | instskip(NEXT) | instid1(SALU_CYCLE_1)
	s_and_b32 s18, s17, vcc_lo
	s_and_saveexec_b32 s17, s18
	s_cbranch_execz .LBB844_456
; %bb.455:                              ;   in Loop: Header=BB844_400 Depth=2
	s_waitcnt lgkmcnt(0)
	v_bcnt_u32_b32 v68, v68, v203
	ds_store_b32 v205, v68
.LBB844_456:                            ;   in Loop: Header=BB844_400 Depth=2
	s_or_b32 exec_lo, exec_lo, s17
	v_xor_b32_e32 v57, 0x80000000, v57
	; wave barrier
	s_delay_alu instid0(VALU_DEP_1) | instskip(NEXT) | instid1(VALU_DEP_1)
	v_lshrrev_b64 v[68:69], s41, v[56:57]
	v_and_b32_e32 v68, s43, v68
	s_delay_alu instid0(VALU_DEP_1)
	v_and_b32_e32 v69, 1, v68
	v_lshlrev_b32_e32 v70, 30, v68
	v_lshlrev_b32_e32 v71, 29, v68
	v_lshlrev_b32_e32 v72, 28, v68
	v_lshlrev_b32_e32 v74, 27, v68
	v_add_co_u32 v69, s17, v69, -1
	s_delay_alu instid0(VALU_DEP_1)
	v_cndmask_b32_e64 v73, 0, 1, s17
	v_not_b32_e32 v207, v70
	v_cmp_gt_i32_e64 s17, 0, v70
	v_not_b32_e32 v70, v71
	v_lshlrev_b32_e32 v75, 26, v68
	v_cmp_ne_u32_e32 vcc_lo, 0, v73
	v_ashrrev_i32_e32 v207, 31, v207
	v_lshlrev_b32_e32 v206, 25, v68
	v_ashrrev_i32_e32 v70, 31, v70
	v_lshlrev_b32_e32 v73, 24, v68
	v_xor_b32_e32 v69, vcc_lo, v69
	v_cmp_gt_i32_e32 vcc_lo, 0, v71
	v_not_b32_e32 v71, v72
	v_xor_b32_e32 v207, s17, v207
	v_cmp_gt_i32_e64 s17, 0, v72
	v_and_b32_e32 v69, exec_lo, v69
	v_not_b32_e32 v72, v74
	v_ashrrev_i32_e32 v71, 31, v71
	v_xor_b32_e32 v70, vcc_lo, v70
	v_cmp_gt_i32_e32 vcc_lo, 0, v74
	v_and_b32_e32 v69, v69, v207
	v_not_b32_e32 v74, v75
	v_ashrrev_i32_e32 v72, 31, v72
	v_xor_b32_e32 v71, s17, v71
	v_cmp_gt_i32_e64 s17, 0, v75
	v_and_b32_e32 v69, v69, v70
	v_not_b32_e32 v70, v206
	v_ashrrev_i32_e32 v74, 31, v74
	v_xor_b32_e32 v72, vcc_lo, v72
	v_cmp_gt_i32_e32 vcc_lo, 0, v206
	v_and_b32_e32 v69, v69, v71
	v_not_b32_e32 v71, v73
	v_ashrrev_i32_e32 v70, 31, v70
	v_xor_b32_e32 v74, s17, v74
	v_mul_u32_u24_e32 v68, 9, v68
	v_and_b32_e32 v69, v69, v72
	v_cmp_gt_i32_e64 s17, 0, v73
	v_ashrrev_i32_e32 v71, 31, v71
	v_xor_b32_e32 v70, vcc_lo, v70
	v_add_lshl_u32 v72, v68, v158, 2
	v_and_b32_e32 v69, v69, v74
	s_delay_alu instid0(VALU_DEP_4) | instskip(SKIP_3) | instid1(VALU_DEP_2)
	v_xor_b32_e32 v68, s17, v71
	ds_load_b32 v206, v72 offset:1056
	v_and_b32_e32 v69, v69, v70
	v_add_nc_u32_e32 v208, 0x420, v72
	; wave barrier
	v_and_b32_e32 v68, v69, v68
	s_delay_alu instid0(VALU_DEP_1) | instskip(SKIP_1) | instid1(VALU_DEP_2)
	v_mbcnt_lo_u32_b32 v207, v68, 0
	v_cmp_ne_u32_e64 s17, 0, v68
	v_cmp_eq_u32_e32 vcc_lo, 0, v207
	s_delay_alu instid0(VALU_DEP_2) | instskip(NEXT) | instid1(SALU_CYCLE_1)
	s_and_b32 s18, s17, vcc_lo
	s_and_saveexec_b32 s17, s18
	s_cbranch_execz .LBB844_458
; %bb.457:                              ;   in Loop: Header=BB844_400 Depth=2
	s_waitcnt lgkmcnt(0)
	v_bcnt_u32_b32 v68, v68, v206
	ds_store_b32 v208, v68
.LBB844_458:                            ;   in Loop: Header=BB844_400 Depth=2
	s_or_b32 exec_lo, exec_lo, s17
	v_xor_b32_e32 v59, 0x80000000, v59
	; wave barrier
	s_delay_alu instid0(VALU_DEP_1) | instskip(NEXT) | instid1(VALU_DEP_1)
	v_lshrrev_b64 v[68:69], s41, v[58:59]
	v_and_b32_e32 v68, s43, v68
	s_delay_alu instid0(VALU_DEP_1)
	v_and_b32_e32 v69, 1, v68
	v_lshlrev_b32_e32 v70, 30, v68
	v_lshlrev_b32_e32 v71, 29, v68
	;; [unrolled: 1-line block ×4, first 2 shown]
	v_add_co_u32 v69, s17, v69, -1
	s_delay_alu instid0(VALU_DEP_1)
	v_cndmask_b32_e64 v73, 0, 1, s17
	v_not_b32_e32 v210, v70
	v_cmp_gt_i32_e64 s17, 0, v70
	v_not_b32_e32 v70, v71
	v_lshlrev_b32_e32 v75, 26, v68
	v_cmp_ne_u32_e32 vcc_lo, 0, v73
	v_ashrrev_i32_e32 v210, 31, v210
	v_lshlrev_b32_e32 v209, 25, v68
	v_ashrrev_i32_e32 v70, 31, v70
	v_lshlrev_b32_e32 v73, 24, v68
	v_xor_b32_e32 v69, vcc_lo, v69
	v_cmp_gt_i32_e32 vcc_lo, 0, v71
	v_not_b32_e32 v71, v72
	v_xor_b32_e32 v210, s17, v210
	v_cmp_gt_i32_e64 s17, 0, v72
	v_and_b32_e32 v69, exec_lo, v69
	v_not_b32_e32 v72, v74
	v_ashrrev_i32_e32 v71, 31, v71
	v_xor_b32_e32 v70, vcc_lo, v70
	v_cmp_gt_i32_e32 vcc_lo, 0, v74
	v_and_b32_e32 v69, v69, v210
	v_not_b32_e32 v74, v75
	v_ashrrev_i32_e32 v72, 31, v72
	v_xor_b32_e32 v71, s17, v71
	v_cmp_gt_i32_e64 s17, 0, v75
	v_and_b32_e32 v69, v69, v70
	v_not_b32_e32 v70, v209
	v_ashrrev_i32_e32 v74, 31, v74
	v_xor_b32_e32 v72, vcc_lo, v72
	v_cmp_gt_i32_e32 vcc_lo, 0, v209
	v_and_b32_e32 v69, v69, v71
	v_not_b32_e32 v71, v73
	v_ashrrev_i32_e32 v70, 31, v70
	v_xor_b32_e32 v74, s17, v74
	v_mul_u32_u24_e32 v68, 9, v68
	v_and_b32_e32 v69, v69, v72
	v_cmp_gt_i32_e64 s17, 0, v73
	v_ashrrev_i32_e32 v71, 31, v71
	v_xor_b32_e32 v70, vcc_lo, v70
	v_add_lshl_u32 v72, v68, v158, 2
	v_and_b32_e32 v69, v69, v74
	s_delay_alu instid0(VALU_DEP_4) | instskip(SKIP_3) | instid1(VALU_DEP_2)
	v_xor_b32_e32 v68, s17, v71
	ds_load_b32 v209, v72 offset:1056
	v_and_b32_e32 v69, v69, v70
	v_add_nc_u32_e32 v211, 0x420, v72
	; wave barrier
	v_and_b32_e32 v68, v69, v68
	s_delay_alu instid0(VALU_DEP_1) | instskip(SKIP_1) | instid1(VALU_DEP_2)
	v_mbcnt_lo_u32_b32 v210, v68, 0
	v_cmp_ne_u32_e64 s17, 0, v68
	v_cmp_eq_u32_e32 vcc_lo, 0, v210
	s_delay_alu instid0(VALU_DEP_2) | instskip(NEXT) | instid1(SALU_CYCLE_1)
	s_and_b32 s18, s17, vcc_lo
	s_and_saveexec_b32 s17, s18
	s_cbranch_execz .LBB844_460
; %bb.459:                              ;   in Loop: Header=BB844_400 Depth=2
	s_waitcnt lgkmcnt(0)
	v_bcnt_u32_b32 v68, v68, v209
	ds_store_b32 v211, v68
.LBB844_460:                            ;   in Loop: Header=BB844_400 Depth=2
	s_or_b32 exec_lo, exec_lo, s17
	v_xor_b32_e32 v61, 0x80000000, v61
	; wave barrier
	s_delay_alu instid0(VALU_DEP_1) | instskip(NEXT) | instid1(VALU_DEP_1)
	v_lshrrev_b64 v[68:69], s41, v[60:61]
	v_and_b32_e32 v68, s43, v68
	s_delay_alu instid0(VALU_DEP_1)
	v_and_b32_e32 v69, 1, v68
	v_lshlrev_b32_e32 v70, 30, v68
	v_lshlrev_b32_e32 v71, 29, v68
	;; [unrolled: 1-line block ×4, first 2 shown]
	v_add_co_u32 v69, s17, v69, -1
	s_delay_alu instid0(VALU_DEP_1)
	v_cndmask_b32_e64 v73, 0, 1, s17
	v_not_b32_e32 v213, v70
	v_cmp_gt_i32_e64 s17, 0, v70
	v_not_b32_e32 v70, v71
	v_lshlrev_b32_e32 v75, 26, v68
	v_cmp_ne_u32_e32 vcc_lo, 0, v73
	v_ashrrev_i32_e32 v213, 31, v213
	v_lshlrev_b32_e32 v212, 25, v68
	v_ashrrev_i32_e32 v70, 31, v70
	v_lshlrev_b32_e32 v73, 24, v68
	v_xor_b32_e32 v69, vcc_lo, v69
	v_cmp_gt_i32_e32 vcc_lo, 0, v71
	v_not_b32_e32 v71, v72
	v_xor_b32_e32 v213, s17, v213
	v_cmp_gt_i32_e64 s17, 0, v72
	v_and_b32_e32 v69, exec_lo, v69
	v_not_b32_e32 v72, v74
	v_ashrrev_i32_e32 v71, 31, v71
	v_xor_b32_e32 v70, vcc_lo, v70
	v_cmp_gt_i32_e32 vcc_lo, 0, v74
	v_and_b32_e32 v69, v69, v213
	v_not_b32_e32 v74, v75
	v_ashrrev_i32_e32 v72, 31, v72
	v_xor_b32_e32 v71, s17, v71
	v_cmp_gt_i32_e64 s17, 0, v75
	v_and_b32_e32 v69, v69, v70
	v_not_b32_e32 v70, v212
	v_ashrrev_i32_e32 v74, 31, v74
	v_xor_b32_e32 v72, vcc_lo, v72
	v_cmp_gt_i32_e32 vcc_lo, 0, v212
	v_and_b32_e32 v69, v69, v71
	v_not_b32_e32 v71, v73
	v_ashrrev_i32_e32 v70, 31, v70
	v_xor_b32_e32 v74, s17, v74
	v_mul_u32_u24_e32 v68, 9, v68
	v_and_b32_e32 v69, v69, v72
	v_cmp_gt_i32_e64 s17, 0, v73
	v_ashrrev_i32_e32 v71, 31, v71
	v_xor_b32_e32 v70, vcc_lo, v70
	v_add_lshl_u32 v72, v68, v158, 2
	v_and_b32_e32 v69, v69, v74
	s_delay_alu instid0(VALU_DEP_4) | instskip(SKIP_3) | instid1(VALU_DEP_2)
	v_xor_b32_e32 v68, s17, v71
	ds_load_b32 v212, v72 offset:1056
	v_and_b32_e32 v69, v69, v70
	v_add_nc_u32_e32 v214, 0x420, v72
	; wave barrier
	v_and_b32_e32 v68, v69, v68
	s_delay_alu instid0(VALU_DEP_1) | instskip(SKIP_1) | instid1(VALU_DEP_2)
	v_mbcnt_lo_u32_b32 v213, v68, 0
	v_cmp_ne_u32_e64 s17, 0, v68
	v_cmp_eq_u32_e32 vcc_lo, 0, v213
	s_delay_alu instid0(VALU_DEP_2) | instskip(NEXT) | instid1(SALU_CYCLE_1)
	s_and_b32 s18, s17, vcc_lo
	s_and_saveexec_b32 s17, s18
	s_cbranch_execz .LBB844_462
; %bb.461:                              ;   in Loop: Header=BB844_400 Depth=2
	s_waitcnt lgkmcnt(0)
	v_bcnt_u32_b32 v68, v68, v212
	ds_store_b32 v214, v68
.LBB844_462:                            ;   in Loop: Header=BB844_400 Depth=2
	s_or_b32 exec_lo, exec_lo, s17
	v_xor_b32_e32 v63, 0x80000000, v63
	; wave barrier
	s_delay_alu instid0(VALU_DEP_1) | instskip(NEXT) | instid1(VALU_DEP_1)
	v_lshrrev_b64 v[68:69], s41, v[62:63]
	v_and_b32_e32 v68, s43, v68
	s_delay_alu instid0(VALU_DEP_1)
	v_and_b32_e32 v69, 1, v68
	v_lshlrev_b32_e32 v70, 30, v68
	v_lshlrev_b32_e32 v71, 29, v68
	;; [unrolled: 1-line block ×4, first 2 shown]
	v_add_co_u32 v69, s17, v69, -1
	s_delay_alu instid0(VALU_DEP_1)
	v_cndmask_b32_e64 v73, 0, 1, s17
	v_not_b32_e32 v216, v70
	v_cmp_gt_i32_e64 s17, 0, v70
	v_not_b32_e32 v70, v71
	v_lshlrev_b32_e32 v75, 26, v68
	v_cmp_ne_u32_e32 vcc_lo, 0, v73
	v_ashrrev_i32_e32 v216, 31, v216
	v_lshlrev_b32_e32 v215, 25, v68
	v_ashrrev_i32_e32 v70, 31, v70
	v_lshlrev_b32_e32 v73, 24, v68
	v_xor_b32_e32 v69, vcc_lo, v69
	v_cmp_gt_i32_e32 vcc_lo, 0, v71
	v_not_b32_e32 v71, v72
	v_xor_b32_e32 v216, s17, v216
	v_cmp_gt_i32_e64 s17, 0, v72
	v_and_b32_e32 v69, exec_lo, v69
	v_not_b32_e32 v72, v74
	v_ashrrev_i32_e32 v71, 31, v71
	v_xor_b32_e32 v70, vcc_lo, v70
	v_cmp_gt_i32_e32 vcc_lo, 0, v74
	v_and_b32_e32 v69, v69, v216
	v_not_b32_e32 v74, v75
	v_ashrrev_i32_e32 v72, 31, v72
	v_xor_b32_e32 v71, s17, v71
	v_cmp_gt_i32_e64 s17, 0, v75
	v_and_b32_e32 v69, v69, v70
	v_not_b32_e32 v70, v215
	v_ashrrev_i32_e32 v74, 31, v74
	v_xor_b32_e32 v72, vcc_lo, v72
	v_cmp_gt_i32_e32 vcc_lo, 0, v215
	v_and_b32_e32 v69, v69, v71
	v_not_b32_e32 v71, v73
	v_ashrrev_i32_e32 v70, 31, v70
	v_xor_b32_e32 v74, s17, v74
	v_mul_u32_u24_e32 v68, 9, v68
	v_and_b32_e32 v69, v69, v72
	v_cmp_gt_i32_e64 s17, 0, v73
	v_ashrrev_i32_e32 v71, 31, v71
	v_xor_b32_e32 v70, vcc_lo, v70
	v_add_lshl_u32 v72, v68, v158, 2
	v_and_b32_e32 v69, v69, v74
	s_delay_alu instid0(VALU_DEP_4) | instskip(SKIP_3) | instid1(VALU_DEP_2)
	v_xor_b32_e32 v68, s17, v71
	ds_load_b32 v215, v72 offset:1056
	v_and_b32_e32 v69, v69, v70
	v_add_nc_u32_e32 v217, 0x420, v72
	; wave barrier
	v_and_b32_e32 v68, v69, v68
	s_delay_alu instid0(VALU_DEP_1) | instskip(SKIP_1) | instid1(VALU_DEP_2)
	v_mbcnt_lo_u32_b32 v216, v68, 0
	v_cmp_ne_u32_e64 s17, 0, v68
	v_cmp_eq_u32_e32 vcc_lo, 0, v216
	s_delay_alu instid0(VALU_DEP_2) | instskip(NEXT) | instid1(SALU_CYCLE_1)
	s_and_b32 s18, s17, vcc_lo
	s_and_saveexec_b32 s17, s18
	s_cbranch_execz .LBB844_464
; %bb.463:                              ;   in Loop: Header=BB844_400 Depth=2
	s_waitcnt lgkmcnt(0)
	v_bcnt_u32_b32 v68, v68, v215
	ds_store_b32 v217, v68
.LBB844_464:                            ;   in Loop: Header=BB844_400 Depth=2
	s_or_b32 exec_lo, exec_lo, s17
	v_xor_b32_e32 v65, 0x80000000, v65
	; wave barrier
	s_delay_alu instid0(VALU_DEP_1) | instskip(NEXT) | instid1(VALU_DEP_1)
	v_lshrrev_b64 v[68:69], s41, v[64:65]
	v_and_b32_e32 v68, s43, v68
	s_delay_alu instid0(VALU_DEP_1)
	v_and_b32_e32 v69, 1, v68
	v_lshlrev_b32_e32 v70, 30, v68
	v_lshlrev_b32_e32 v71, 29, v68
	;; [unrolled: 1-line block ×4, first 2 shown]
	v_add_co_u32 v69, s17, v69, -1
	s_delay_alu instid0(VALU_DEP_1)
	v_cndmask_b32_e64 v73, 0, 1, s17
	v_not_b32_e32 v219, v70
	v_cmp_gt_i32_e64 s17, 0, v70
	v_not_b32_e32 v70, v71
	v_lshlrev_b32_e32 v75, 26, v68
	v_cmp_ne_u32_e32 vcc_lo, 0, v73
	v_ashrrev_i32_e32 v219, 31, v219
	v_lshlrev_b32_e32 v218, 25, v68
	v_ashrrev_i32_e32 v70, 31, v70
	v_lshlrev_b32_e32 v73, 24, v68
	v_xor_b32_e32 v69, vcc_lo, v69
	v_cmp_gt_i32_e32 vcc_lo, 0, v71
	v_not_b32_e32 v71, v72
	v_xor_b32_e32 v219, s17, v219
	v_cmp_gt_i32_e64 s17, 0, v72
	v_and_b32_e32 v69, exec_lo, v69
	v_not_b32_e32 v72, v74
	v_ashrrev_i32_e32 v71, 31, v71
	v_xor_b32_e32 v70, vcc_lo, v70
	v_cmp_gt_i32_e32 vcc_lo, 0, v74
	v_and_b32_e32 v69, v69, v219
	v_not_b32_e32 v74, v75
	v_ashrrev_i32_e32 v72, 31, v72
	v_xor_b32_e32 v71, s17, v71
	v_cmp_gt_i32_e64 s17, 0, v75
	v_and_b32_e32 v69, v69, v70
	v_not_b32_e32 v70, v218
	v_ashrrev_i32_e32 v74, 31, v74
	v_xor_b32_e32 v72, vcc_lo, v72
	v_cmp_gt_i32_e32 vcc_lo, 0, v218
	v_and_b32_e32 v69, v69, v71
	v_not_b32_e32 v71, v73
	v_ashrrev_i32_e32 v70, 31, v70
	v_xor_b32_e32 v74, s17, v74
	v_mul_u32_u24_e32 v68, 9, v68
	v_and_b32_e32 v69, v69, v72
	v_cmp_gt_i32_e64 s17, 0, v73
	v_ashrrev_i32_e32 v71, 31, v71
	v_xor_b32_e32 v70, vcc_lo, v70
	v_add_lshl_u32 v72, v68, v158, 2
	v_and_b32_e32 v69, v69, v74
	s_delay_alu instid0(VALU_DEP_4) | instskip(SKIP_3) | instid1(VALU_DEP_2)
	v_xor_b32_e32 v68, s17, v71
	ds_load_b32 v218, v72 offset:1056
	v_and_b32_e32 v69, v69, v70
	v_add_nc_u32_e32 v220, 0x420, v72
	; wave barrier
	v_and_b32_e32 v68, v69, v68
	s_delay_alu instid0(VALU_DEP_1) | instskip(SKIP_1) | instid1(VALU_DEP_2)
	v_mbcnt_lo_u32_b32 v219, v68, 0
	v_cmp_ne_u32_e64 s17, 0, v68
	v_cmp_eq_u32_e32 vcc_lo, 0, v219
	s_delay_alu instid0(VALU_DEP_2) | instskip(NEXT) | instid1(SALU_CYCLE_1)
	s_and_b32 s18, s17, vcc_lo
	s_and_saveexec_b32 s17, s18
	s_cbranch_execz .LBB844_466
; %bb.465:                              ;   in Loop: Header=BB844_400 Depth=2
	s_waitcnt lgkmcnt(0)
	v_bcnt_u32_b32 v68, v68, v218
	ds_store_b32 v220, v68
.LBB844_466:                            ;   in Loop: Header=BB844_400 Depth=2
	s_or_b32 exec_lo, exec_lo, s17
	v_xor_b32_e32 v67, 0x80000000, v67
	; wave barrier
	s_delay_alu instid0(VALU_DEP_1) | instskip(NEXT) | instid1(VALU_DEP_1)
	v_lshrrev_b64 v[68:69], s41, v[66:67]
	v_and_b32_e32 v68, s43, v68
	s_delay_alu instid0(VALU_DEP_1)
	v_and_b32_e32 v69, 1, v68
	v_lshlrev_b32_e32 v70, 30, v68
	v_lshlrev_b32_e32 v71, 29, v68
	;; [unrolled: 1-line block ×4, first 2 shown]
	v_add_co_u32 v69, s17, v69, -1
	s_delay_alu instid0(VALU_DEP_1)
	v_cndmask_b32_e64 v73, 0, 1, s17
	v_not_b32_e32 v222, v70
	v_cmp_gt_i32_e64 s17, 0, v70
	v_not_b32_e32 v70, v71
	v_lshlrev_b32_e32 v75, 26, v68
	v_cmp_ne_u32_e32 vcc_lo, 0, v73
	v_ashrrev_i32_e32 v222, 31, v222
	v_lshlrev_b32_e32 v221, 25, v68
	v_ashrrev_i32_e32 v70, 31, v70
	v_lshlrev_b32_e32 v73, 24, v68
	v_xor_b32_e32 v69, vcc_lo, v69
	v_cmp_gt_i32_e32 vcc_lo, 0, v71
	v_not_b32_e32 v71, v72
	v_xor_b32_e32 v222, s17, v222
	v_cmp_gt_i32_e64 s17, 0, v72
	v_and_b32_e32 v69, exec_lo, v69
	v_not_b32_e32 v72, v74
	v_ashrrev_i32_e32 v71, 31, v71
	v_xor_b32_e32 v70, vcc_lo, v70
	v_cmp_gt_i32_e32 vcc_lo, 0, v74
	v_and_b32_e32 v69, v69, v222
	v_not_b32_e32 v74, v75
	v_ashrrev_i32_e32 v72, 31, v72
	v_xor_b32_e32 v71, s17, v71
	v_cmp_gt_i32_e64 s17, 0, v75
	v_and_b32_e32 v69, v69, v70
	v_not_b32_e32 v70, v221
	v_ashrrev_i32_e32 v74, 31, v74
	v_xor_b32_e32 v72, vcc_lo, v72
	v_cmp_gt_i32_e32 vcc_lo, 0, v221
	v_and_b32_e32 v69, v69, v71
	v_not_b32_e32 v71, v73
	v_ashrrev_i32_e32 v70, 31, v70
	v_xor_b32_e32 v74, s17, v74
	v_mul_u32_u24_e32 v68, 9, v68
	v_and_b32_e32 v69, v69, v72
	v_cmp_gt_i32_e64 s17, 0, v73
	v_ashrrev_i32_e32 v71, 31, v71
	v_xor_b32_e32 v70, vcc_lo, v70
	v_add_lshl_u32 v72, v68, v158, 2
	v_and_b32_e32 v69, v69, v74
	s_delay_alu instid0(VALU_DEP_4) | instskip(SKIP_3) | instid1(VALU_DEP_2)
	v_xor_b32_e32 v68, s17, v71
	ds_load_b32 v221, v72 offset:1056
	v_and_b32_e32 v69, v69, v70
	v_add_nc_u32_e32 v223, 0x420, v72
	; wave barrier
	v_and_b32_e32 v68, v69, v68
	s_delay_alu instid0(VALU_DEP_1) | instskip(SKIP_1) | instid1(VALU_DEP_2)
	v_mbcnt_lo_u32_b32 v222, v68, 0
	v_cmp_ne_u32_e64 s17, 0, v68
	v_cmp_eq_u32_e32 vcc_lo, 0, v222
	s_delay_alu instid0(VALU_DEP_2) | instskip(NEXT) | instid1(SALU_CYCLE_1)
	s_and_b32 s18, s17, vcc_lo
	s_and_saveexec_b32 s17, s18
	s_cbranch_execz .LBB844_468
; %bb.467:                              ;   in Loop: Header=BB844_400 Depth=2
	s_waitcnt lgkmcnt(0)
	v_bcnt_u32_b32 v68, v68, v221
	ds_store_b32 v223, v68
.LBB844_468:                            ;   in Loop: Header=BB844_400 Depth=2
	s_or_b32 exec_lo, exec_lo, s17
	; wave barrier
	s_waitcnt lgkmcnt(0)
	s_barrier
	buffer_gl0_inv
	ds_load_b32 v224, v102 offset:1056
	ds_load_2addr_b32 v[74:75], v103 offset0:1 offset1:2
	ds_load_2addr_b32 v[72:73], v103 offset0:3 offset1:4
	;; [unrolled: 1-line block ×4, first 2 shown]
	s_waitcnt lgkmcnt(3)
	v_add3_u32 v225, v74, v224, v75
	s_waitcnt lgkmcnt(2)
	s_delay_alu instid0(VALU_DEP_1) | instskip(SKIP_1) | instid1(VALU_DEP_1)
	v_add3_u32 v225, v225, v72, v73
	s_waitcnt lgkmcnt(1)
	v_add3_u32 v225, v225, v68, v69
	s_waitcnt lgkmcnt(0)
	s_delay_alu instid0(VALU_DEP_1) | instskip(NEXT) | instid1(VALU_DEP_1)
	v_add3_u32 v71, v225, v70, v71
	v_mov_b32_dpp v225, v71 row_shr:1 row_mask:0xf bank_mask:0xf
	s_delay_alu instid0(VALU_DEP_1) | instskip(NEXT) | instid1(VALU_DEP_1)
	v_cndmask_b32_e64 v225, v225, 0, s1
	v_add_nc_u32_e32 v71, v225, v71
	s_delay_alu instid0(VALU_DEP_1) | instskip(NEXT) | instid1(VALU_DEP_1)
	v_mov_b32_dpp v225, v71 row_shr:2 row_mask:0xf bank_mask:0xf
	v_cndmask_b32_e64 v225, 0, v225, s7
	s_delay_alu instid0(VALU_DEP_1) | instskip(NEXT) | instid1(VALU_DEP_1)
	v_add_nc_u32_e32 v71, v71, v225
	v_mov_b32_dpp v225, v71 row_shr:4 row_mask:0xf bank_mask:0xf
	s_delay_alu instid0(VALU_DEP_1) | instskip(NEXT) | instid1(VALU_DEP_1)
	v_cndmask_b32_e64 v225, 0, v225, s8
	v_add_nc_u32_e32 v71, v71, v225
	s_delay_alu instid0(VALU_DEP_1) | instskip(NEXT) | instid1(VALU_DEP_1)
	v_mov_b32_dpp v225, v71 row_shr:8 row_mask:0xf bank_mask:0xf
	v_cndmask_b32_e64 v225, 0, v225, s9
	s_delay_alu instid0(VALU_DEP_1) | instskip(SKIP_3) | instid1(VALU_DEP_1)
	v_add_nc_u32_e32 v71, v71, v225
	ds_swizzle_b32 v225, v71 offset:swizzle(BROADCAST,32,15)
	s_waitcnt lgkmcnt(0)
	v_cndmask_b32_e64 v225, v225, 0, s10
	v_add_nc_u32_e32 v71, v71, v225
	s_and_saveexec_b32 s17, s3
	s_cbranch_execz .LBB844_470
; %bb.469:                              ;   in Loop: Header=BB844_400 Depth=2
	ds_store_b32 v94, v71 offset:1024
.LBB844_470:                            ;   in Loop: Header=BB844_400 Depth=2
	s_or_b32 exec_lo, exec_lo, s17
	s_waitcnt lgkmcnt(0)
	s_barrier
	buffer_gl0_inv
	s_and_saveexec_b32 s17, s4
	s_cbranch_execz .LBB844_472
; %bb.471:                              ;   in Loop: Header=BB844_400 Depth=2
	ds_load_b32 v225, v104 offset:1024
	s_waitcnt lgkmcnt(0)
	v_mov_b32_dpp v226, v225 row_shr:1 row_mask:0xf bank_mask:0xf
	s_delay_alu instid0(VALU_DEP_1) | instskip(NEXT) | instid1(VALU_DEP_1)
	v_cndmask_b32_e64 v226, v226, 0, s12
	v_add_nc_u32_e32 v225, v226, v225
	s_delay_alu instid0(VALU_DEP_1) | instskip(NEXT) | instid1(VALU_DEP_1)
	v_mov_b32_dpp v226, v225 row_shr:2 row_mask:0xf bank_mask:0xf
	v_cndmask_b32_e64 v226, 0, v226, s13
	s_delay_alu instid0(VALU_DEP_1) | instskip(NEXT) | instid1(VALU_DEP_1)
	v_add_nc_u32_e32 v225, v225, v226
	v_mov_b32_dpp v226, v225 row_shr:4 row_mask:0xf bank_mask:0xf
	s_delay_alu instid0(VALU_DEP_1) | instskip(NEXT) | instid1(VALU_DEP_1)
	v_cndmask_b32_e64 v226, 0, v226, s16
	v_add_nc_u32_e32 v225, v225, v226
	ds_store_b32 v104, v225 offset:1024
.LBB844_472:                            ;   in Loop: Header=BB844_400 Depth=2
	s_or_b32 exec_lo, exec_lo, s17
	v_mov_b32_e32 v225, 0
	s_waitcnt lgkmcnt(0)
	s_barrier
	buffer_gl0_inv
	s_and_saveexec_b32 s17, s5
	s_cbranch_execz .LBB844_474
; %bb.473:                              ;   in Loop: Header=BB844_400 Depth=2
	ds_load_b32 v225, v94 offset:1020
.LBB844_474:                            ;   in Loop: Header=BB844_400 Depth=2
	s_or_b32 exec_lo, exec_lo, s17
	s_waitcnt lgkmcnt(0)
	v_add_nc_u32_e32 v71, v225, v71
	ds_bpermute_b32 v71, v137, v71
	s_waitcnt lgkmcnt(0)
	v_cndmask_b32_e64 v71, v71, v225, s11
	s_delay_alu instid0(VALU_DEP_1) | instskip(NEXT) | instid1(VALU_DEP_1)
	v_cndmask_b32_e64 v71, v71, 0, s0
	v_add_nc_u32_e32 v224, v71, v224
	s_delay_alu instid0(VALU_DEP_1) | instskip(NEXT) | instid1(VALU_DEP_1)
	v_add_nc_u32_e32 v74, v224, v74
	v_add_nc_u32_e32 v75, v74, v75
	s_delay_alu instid0(VALU_DEP_1) | instskip(NEXT) | instid1(VALU_DEP_1)
	v_add_nc_u32_e32 v72, v75, v72
	;; [unrolled: 3-line block ×3, first 2 shown]
	v_add_nc_u32_e32 v69, v68, v69
	s_delay_alu instid0(VALU_DEP_1)
	v_add_nc_u32_e32 v70, v69, v70
	ds_store_b32 v102, v71 offset:1056
	ds_store_2addr_b32 v103, v224, v74 offset0:1 offset1:2
	ds_store_2addr_b32 v103, v75, v72 offset0:3 offset1:4
	;; [unrolled: 1-line block ×4, first 2 shown]
	v_mov_b32_e32 v68, 0x1000
	s_waitcnt lgkmcnt(0)
	s_barrier
	buffer_gl0_inv
	ds_load_b32 v70, v181
	ds_load_b32 v71, v184
	;; [unrolled: 1-line block ×16, first 2 shown]
	ds_load_b32 v178, v102 offset:1056
	s_and_saveexec_b32 s17, s6
	s_cbranch_execz .LBB844_476
; %bb.475:                              ;   in Loop: Header=BB844_400 Depth=2
	ds_load_b32 v68, v105 offset:1056
.LBB844_476:                            ;   in Loop: Header=BB844_400 Depth=2
	s_or_b32 exec_lo, exec_lo, s17
	s_waitcnt lgkmcnt(0)
	s_barrier
	buffer_gl0_inv
	s_and_saveexec_b32 s17, s2
	s_cbranch_execz .LBB844_478
; %bb.477:                              ;   in Loop: Header=BB844_400 Depth=2
	ds_load_b32 v202, v76
	s_waitcnt lgkmcnt(0)
	v_sub_nc_u32_e32 v178, v202, v178
	ds_store_b32 v76, v178
.LBB844_478:                            ;   in Loop: Header=BB844_400 Depth=2
	s_or_b32 exec_lo, exec_lo, s17
	v_add_nc_u32_e32 v179, v180, v179
	v_add_nc_u32_e32 v194, v195, v194
	;; [unrolled: 1-line block ×3, first 2 shown]
	v_add_lshl_u32 v69, v69, v2, 3
	v_add_nc_u32_e32 v2, v183, v182
	v_add_lshl_u32 v70, v179, v70, 3
	v_add_nc_u32_e32 v180, v186, v185
	v_add_nc_u32_e32 v182, v189, v188
	v_add_nc_u32_e32 v178, v222, v221
	v_add_nc_u32_e32 v202, v219, v218
	v_add_nc_u32_e32 v205, v216, v215
	v_add_nc_u32_e32 v208, v213, v212
	v_add_nc_u32_e32 v209, v210, v209
	v_add_nc_u32_e32 v206, v207, v206
	v_add_nc_u32_e32 v203, v204, v203
	v_add_nc_u32_e32 v200, v201, v200
	v_add_nc_u32_e32 v197, v198, v197
	ds_store_b64 v69, v[36:37] offset:1024
	v_add_lshl_u32 v71, v2, v71, 3
	ds_store_b64 v70, v[38:39] offset:1024
	v_add_lshl_u32 v38, v191, v225, 3
	v_add_lshl_u32 v39, v194, v224, 3
	;; [unrolled: 1-line block ×4, first 2 shown]
	ds_store_b64 v71, v[40:41] offset:1024
	ds_store_b64 v72, v[42:43] offset:1024
	;; [unrolled: 1-line block ×4, first 2 shown]
	v_add_lshl_u32 v40, v197, v199, 3
	v_add_lshl_u32 v41, v200, v196, 3
	;; [unrolled: 1-line block ×3, first 2 shown]
	ds_store_b64 v39, v[48:49] offset:1024
	v_add_lshl_u32 v43, v206, v190, 3
	v_add_lshl_u32 v44, v209, v187, 3
	;; [unrolled: 1-line block ×6, first 2 shown]
	v_cmp_lt_u32_e32 vcc_lo, v1, v177
	ds_store_b64 v40, v[50:51] offset:1024
	ds_store_b64 v41, v[52:53] offset:1024
	;; [unrolled: 1-line block ×9, first 2 shown]
	s_waitcnt lgkmcnt(0)
	s_barrier
	buffer_gl0_inv
	s_and_saveexec_b32 s18, vcc_lo
	s_cbranch_execz .LBB844_494
; %bb.479:                              ;   in Loop: Header=BB844_400 Depth=2
	v_add_nc_u32_e32 v2, v104, v76
	ds_load_b64 v[36:37], v2 offset:1024
	s_waitcnt lgkmcnt(0)
	v_lshrrev_b64 v[49:50], s41, v[36:37]
	v_xor_b32_e32 v37, 0x80000000, v37
	s_delay_alu instid0(VALU_DEP_2) | instskip(NEXT) | instid1(VALU_DEP_1)
	v_and_b32_e32 v2, s43, v49
	v_lshlrev_b32_e32 v2, 2, v2
	ds_load_b32 v2, v2
	s_waitcnt lgkmcnt(0)
	v_add_nc_u32_e32 v2, v2, v1
	s_delay_alu instid0(VALU_DEP_1) | instskip(NEXT) | instid1(VALU_DEP_1)
	v_lshlrev_b64 v[49:50], 3, v[2:3]
	v_add_co_u32 v49, s17, s48, v49
	s_delay_alu instid0(VALU_DEP_1) | instskip(SKIP_3) | instid1(VALU_DEP_1)
	v_add_co_ci_u32_e64 v50, s17, s49, v50, s17
	global_store_b64 v[49:50], v[36:37], off
	s_or_b32 exec_lo, exec_lo, s18
	v_cmp_lt_u32_e64 s17, v77, v177
	s_and_saveexec_b32 s19, s17
	s_cbranch_execnz .LBB844_495
.LBB844_480:                            ;   in Loop: Header=BB844_400 Depth=2
	s_or_b32 exec_lo, exec_lo, s19
	v_cmp_lt_u32_e64 s18, v78, v177
	s_delay_alu instid0(VALU_DEP_1)
	s_and_saveexec_b32 s20, s18
	s_cbranch_execz .LBB844_496
.LBB844_481:                            ;   in Loop: Header=BB844_400 Depth=2
	ds_load_b64 v[36:37], v110 offset:4096
	s_waitcnt lgkmcnt(0)
	v_lshrrev_b64 v[49:50], s41, v[36:37]
	v_xor_b32_e32 v37, 0x80000000, v37
	s_delay_alu instid0(VALU_DEP_2) | instskip(NEXT) | instid1(VALU_DEP_1)
	v_and_b32_e32 v2, s43, v49
	v_lshlrev_b32_e32 v2, 2, v2
	ds_load_b32 v2, v2
	s_waitcnt lgkmcnt(0)
	v_add_nc_u32_e32 v2, v2, v78
	s_delay_alu instid0(VALU_DEP_1) | instskip(NEXT) | instid1(VALU_DEP_1)
	v_lshlrev_b64 v[49:50], 3, v[2:3]
	v_add_co_u32 v49, s19, s48, v49
	s_delay_alu instid0(VALU_DEP_1) | instskip(SKIP_3) | instid1(VALU_DEP_1)
	v_add_co_ci_u32_e64 v50, s19, s49, v50, s19
	global_store_b64 v[49:50], v[36:37], off
	s_or_b32 exec_lo, exec_lo, s20
	v_cmp_lt_u32_e64 s19, v79, v177
	s_and_saveexec_b32 s21, s19
	s_cbranch_execnz .LBB844_497
.LBB844_482:                            ;   in Loop: Header=BB844_400 Depth=2
	s_or_b32 exec_lo, exec_lo, s21
	v_cmp_lt_u32_e64 s20, v83, v177
	s_delay_alu instid0(VALU_DEP_1)
	s_and_saveexec_b32 s22, s20
	s_cbranch_execz .LBB844_498
.LBB844_483:                            ;   in Loop: Header=BB844_400 Depth=2
	ds_load_b64 v[36:37], v110 offset:8192
	s_waitcnt lgkmcnt(0)
	v_lshrrev_b64 v[49:50], s41, v[36:37]
	v_xor_b32_e32 v37, 0x80000000, v37
	s_delay_alu instid0(VALU_DEP_2) | instskip(NEXT) | instid1(VALU_DEP_1)
	v_and_b32_e32 v2, s43, v49
	v_lshlrev_b32_e32 v2, 2, v2
	ds_load_b32 v2, v2
	s_waitcnt lgkmcnt(0)
	v_add_nc_u32_e32 v2, v2, v83
	s_delay_alu instid0(VALU_DEP_1) | instskip(NEXT) | instid1(VALU_DEP_1)
	v_lshlrev_b64 v[49:50], 3, v[2:3]
	v_add_co_u32 v49, s21, s48, v49
	s_delay_alu instid0(VALU_DEP_1) | instskip(SKIP_3) | instid1(VALU_DEP_1)
	v_add_co_ci_u32_e64 v50, s21, s49, v50, s21
	global_store_b64 v[49:50], v[36:37], off
	s_or_b32 exec_lo, exec_lo, s22
	v_cmp_lt_u32_e64 s21, v84, v177
	s_and_saveexec_b32 s23, s21
	s_cbranch_execnz .LBB844_499
.LBB844_484:                            ;   in Loop: Header=BB844_400 Depth=2
	s_or_b32 exec_lo, exec_lo, s23
	v_cmp_lt_u32_e64 s22, v85, v177
	s_delay_alu instid0(VALU_DEP_1)
	s_and_saveexec_b32 s24, s22
	s_cbranch_execz .LBB844_500
.LBB844_485:                            ;   in Loop: Header=BB844_400 Depth=2
	ds_load_b64 v[36:37], v110 offset:12288
	s_waitcnt lgkmcnt(0)
	v_lshrrev_b64 v[49:50], s41, v[36:37]
	v_xor_b32_e32 v37, 0x80000000, v37
	s_delay_alu instid0(VALU_DEP_2) | instskip(NEXT) | instid1(VALU_DEP_1)
	v_and_b32_e32 v2, s43, v49
	v_lshlrev_b32_e32 v2, 2, v2
	ds_load_b32 v2, v2
	s_waitcnt lgkmcnt(0)
	v_add_nc_u32_e32 v2, v2, v85
	s_delay_alu instid0(VALU_DEP_1) | instskip(NEXT) | instid1(VALU_DEP_1)
	v_lshlrev_b64 v[49:50], 3, v[2:3]
	v_add_co_u32 v49, s23, s48, v49
	s_delay_alu instid0(VALU_DEP_1) | instskip(SKIP_3) | instid1(VALU_DEP_1)
	v_add_co_ci_u32_e64 v50, s23, s49, v50, s23
	global_store_b64 v[49:50], v[36:37], off
	s_or_b32 exec_lo, exec_lo, s24
	v_cmp_lt_u32_e64 s23, v86, v177
	s_and_saveexec_b32 s25, s23
	s_cbranch_execnz .LBB844_501
.LBB844_486:                            ;   in Loop: Header=BB844_400 Depth=2
	s_or_b32 exec_lo, exec_lo, s25
	v_cmp_lt_u32_e64 s24, v87, v177
	s_delay_alu instid0(VALU_DEP_1)
	s_and_saveexec_b32 s26, s24
	s_cbranch_execz .LBB844_502
.LBB844_487:                            ;   in Loop: Header=BB844_400 Depth=2
	ds_load_b64 v[36:37], v110 offset:16384
	s_waitcnt lgkmcnt(0)
	v_lshrrev_b64 v[49:50], s41, v[36:37]
	v_xor_b32_e32 v37, 0x80000000, v37
	s_delay_alu instid0(VALU_DEP_2) | instskip(NEXT) | instid1(VALU_DEP_1)
	v_and_b32_e32 v2, s43, v49
	v_lshlrev_b32_e32 v2, 2, v2
	ds_load_b32 v2, v2
	s_waitcnt lgkmcnt(0)
	v_add_nc_u32_e32 v2, v2, v87
	s_delay_alu instid0(VALU_DEP_1) | instskip(NEXT) | instid1(VALU_DEP_1)
	v_lshlrev_b64 v[49:50], 3, v[2:3]
	v_add_co_u32 v49, s25, s48, v49
	s_delay_alu instid0(VALU_DEP_1) | instskip(SKIP_3) | instid1(VALU_DEP_1)
	v_add_co_ci_u32_e64 v50, s25, s49, v50, s25
	global_store_b64 v[49:50], v[36:37], off
	s_or_b32 exec_lo, exec_lo, s26
	v_cmp_lt_u32_e64 s25, v88, v177
	s_and_saveexec_b32 s27, s25
	s_cbranch_execnz .LBB844_503
.LBB844_488:                            ;   in Loop: Header=BB844_400 Depth=2
	s_or_b32 exec_lo, exec_lo, s27
	v_cmp_lt_u32_e64 s26, v89, v177
	s_delay_alu instid0(VALU_DEP_1)
	s_and_saveexec_b32 s28, s26
	s_cbranch_execz .LBB844_504
.LBB844_489:                            ;   in Loop: Header=BB844_400 Depth=2
	ds_load_b64 v[36:37], v110 offset:20480
	s_waitcnt lgkmcnt(0)
	v_lshrrev_b64 v[49:50], s41, v[36:37]
	v_xor_b32_e32 v37, 0x80000000, v37
	s_delay_alu instid0(VALU_DEP_2) | instskip(NEXT) | instid1(VALU_DEP_1)
	v_and_b32_e32 v2, s43, v49
	v_lshlrev_b32_e32 v2, 2, v2
	ds_load_b32 v2, v2
	s_waitcnt lgkmcnt(0)
	v_add_nc_u32_e32 v2, v2, v89
	s_delay_alu instid0(VALU_DEP_1) | instskip(NEXT) | instid1(VALU_DEP_1)
	v_lshlrev_b64 v[49:50], 3, v[2:3]
	v_add_co_u32 v49, s27, s48, v49
	s_delay_alu instid0(VALU_DEP_1) | instskip(SKIP_3) | instid1(VALU_DEP_1)
	v_add_co_ci_u32_e64 v50, s27, s49, v50, s27
	global_store_b64 v[49:50], v[36:37], off
	s_or_b32 exec_lo, exec_lo, s28
	v_cmp_lt_u32_e64 s27, v90, v177
	s_and_saveexec_b32 s29, s27
	s_cbranch_execnz .LBB844_505
.LBB844_490:                            ;   in Loop: Header=BB844_400 Depth=2
	s_or_b32 exec_lo, exec_lo, s29
	v_cmp_lt_u32_e64 s28, v91, v177
	s_delay_alu instid0(VALU_DEP_1)
	s_and_saveexec_b32 s30, s28
	s_cbranch_execz .LBB844_506
.LBB844_491:                            ;   in Loop: Header=BB844_400 Depth=2
	ds_load_b64 v[36:37], v110 offset:24576
	s_waitcnt lgkmcnt(0)
	v_lshrrev_b64 v[49:50], s41, v[36:37]
	v_xor_b32_e32 v37, 0x80000000, v37
	s_delay_alu instid0(VALU_DEP_2) | instskip(NEXT) | instid1(VALU_DEP_1)
	v_and_b32_e32 v2, s43, v49
	v_lshlrev_b32_e32 v2, 2, v2
	ds_load_b32 v2, v2
	s_waitcnt lgkmcnt(0)
	v_add_nc_u32_e32 v2, v2, v91
	s_delay_alu instid0(VALU_DEP_1) | instskip(NEXT) | instid1(VALU_DEP_1)
	v_lshlrev_b64 v[49:50], 3, v[2:3]
	v_add_co_u32 v49, s29, s48, v49
	s_delay_alu instid0(VALU_DEP_1) | instskip(SKIP_3) | instid1(VALU_DEP_1)
	v_add_co_ci_u32_e64 v50, s29, s49, v50, s29
	global_store_b64 v[49:50], v[36:37], off
	s_or_b32 exec_lo, exec_lo, s30
	v_cmp_lt_u32_e64 s29, v92, v177
	s_and_saveexec_b32 s31, s29
	s_cbranch_execnz .LBB844_507
.LBB844_492:                            ;   in Loop: Header=BB844_400 Depth=2
	s_or_b32 exec_lo, exec_lo, s31
	v_cmp_lt_u32_e64 s30, v93, v177
	s_delay_alu instid0(VALU_DEP_1)
	s_and_saveexec_b32 s33, s30
	s_cbranch_execz .LBB844_508
.LBB844_493:                            ;   in Loop: Header=BB844_400 Depth=2
	ds_load_b64 v[36:37], v110 offset:28672
	s_waitcnt lgkmcnt(0)
	v_lshrrev_b64 v[49:50], s41, v[36:37]
	v_xor_b32_e32 v37, 0x80000000, v37
	s_delay_alu instid0(VALU_DEP_2) | instskip(NEXT) | instid1(VALU_DEP_1)
	v_and_b32_e32 v2, s43, v49
	v_lshlrev_b32_e32 v2, 2, v2
	ds_load_b32 v2, v2
	s_waitcnt lgkmcnt(0)
	v_add_nc_u32_e32 v2, v2, v93
	s_delay_alu instid0(VALU_DEP_1) | instskip(NEXT) | instid1(VALU_DEP_1)
	v_lshlrev_b64 v[49:50], 3, v[2:3]
	v_add_co_u32 v49, s31, s48, v49
	s_delay_alu instid0(VALU_DEP_1) | instskip(SKIP_3) | instid1(VALU_DEP_1)
	v_add_co_ci_u32_e64 v50, s31, s49, v50, s31
	global_store_b64 v[49:50], v[36:37], off
	s_or_b32 exec_lo, exec_lo, s33
	v_cmp_lt_u32_e64 s31, v95, v177
	s_and_saveexec_b32 s56, s31
	s_cbranch_execnz .LBB844_509
	s_branch .LBB844_510
.LBB844_494:                            ;   in Loop: Header=BB844_400 Depth=2
	s_or_b32 exec_lo, exec_lo, s18
	v_cmp_lt_u32_e64 s17, v77, v177
	s_delay_alu instid0(VALU_DEP_1)
	s_and_saveexec_b32 s19, s17
	s_cbranch_execz .LBB844_480
.LBB844_495:                            ;   in Loop: Header=BB844_400 Depth=2
	ds_load_b64 v[36:37], v110 offset:2048
	s_waitcnt lgkmcnt(0)
	v_lshrrev_b64 v[49:50], s41, v[36:37]
	v_xor_b32_e32 v37, 0x80000000, v37
	s_delay_alu instid0(VALU_DEP_2) | instskip(NEXT) | instid1(VALU_DEP_1)
	v_and_b32_e32 v2, s43, v49
	v_lshlrev_b32_e32 v2, 2, v2
	ds_load_b32 v2, v2
	s_waitcnt lgkmcnt(0)
	v_add_nc_u32_e32 v2, v2, v77
	s_delay_alu instid0(VALU_DEP_1) | instskip(NEXT) | instid1(VALU_DEP_1)
	v_lshlrev_b64 v[49:50], 3, v[2:3]
	v_add_co_u32 v49, s18, s48, v49
	s_delay_alu instid0(VALU_DEP_1) | instskip(SKIP_3) | instid1(VALU_DEP_1)
	v_add_co_ci_u32_e64 v50, s18, s49, v50, s18
	global_store_b64 v[49:50], v[36:37], off
	s_or_b32 exec_lo, exec_lo, s19
	v_cmp_lt_u32_e64 s18, v78, v177
	s_and_saveexec_b32 s20, s18
	s_cbranch_execnz .LBB844_481
.LBB844_496:                            ;   in Loop: Header=BB844_400 Depth=2
	s_or_b32 exec_lo, exec_lo, s20
	v_cmp_lt_u32_e64 s19, v79, v177
	s_delay_alu instid0(VALU_DEP_1)
	s_and_saveexec_b32 s21, s19
	s_cbranch_execz .LBB844_482
.LBB844_497:                            ;   in Loop: Header=BB844_400 Depth=2
	ds_load_b64 v[36:37], v110 offset:6144
	s_waitcnt lgkmcnt(0)
	v_lshrrev_b64 v[49:50], s41, v[36:37]
	v_xor_b32_e32 v37, 0x80000000, v37
	s_delay_alu instid0(VALU_DEP_2) | instskip(NEXT) | instid1(VALU_DEP_1)
	v_and_b32_e32 v2, s43, v49
	v_lshlrev_b32_e32 v2, 2, v2
	ds_load_b32 v2, v2
	s_waitcnt lgkmcnt(0)
	v_add_nc_u32_e32 v2, v2, v79
	s_delay_alu instid0(VALU_DEP_1) | instskip(NEXT) | instid1(VALU_DEP_1)
	v_lshlrev_b64 v[49:50], 3, v[2:3]
	v_add_co_u32 v49, s20, s48, v49
	s_delay_alu instid0(VALU_DEP_1) | instskip(SKIP_3) | instid1(VALU_DEP_1)
	v_add_co_ci_u32_e64 v50, s20, s49, v50, s20
	global_store_b64 v[49:50], v[36:37], off
	s_or_b32 exec_lo, exec_lo, s21
	v_cmp_lt_u32_e64 s20, v83, v177
	s_and_saveexec_b32 s22, s20
	s_cbranch_execnz .LBB844_483
.LBB844_498:                            ;   in Loop: Header=BB844_400 Depth=2
	s_or_b32 exec_lo, exec_lo, s22
	v_cmp_lt_u32_e64 s21, v84, v177
	s_delay_alu instid0(VALU_DEP_1)
	s_and_saveexec_b32 s23, s21
	s_cbranch_execz .LBB844_484
.LBB844_499:                            ;   in Loop: Header=BB844_400 Depth=2
	ds_load_b64 v[36:37], v110 offset:10240
	s_waitcnt lgkmcnt(0)
	v_lshrrev_b64 v[49:50], s41, v[36:37]
	v_xor_b32_e32 v37, 0x80000000, v37
	s_delay_alu instid0(VALU_DEP_2) | instskip(NEXT) | instid1(VALU_DEP_1)
	v_and_b32_e32 v2, s43, v49
	v_lshlrev_b32_e32 v2, 2, v2
	ds_load_b32 v2, v2
	s_waitcnt lgkmcnt(0)
	v_add_nc_u32_e32 v2, v2, v84
	s_delay_alu instid0(VALU_DEP_1) | instskip(NEXT) | instid1(VALU_DEP_1)
	v_lshlrev_b64 v[49:50], 3, v[2:3]
	v_add_co_u32 v49, s22, s48, v49
	s_delay_alu instid0(VALU_DEP_1) | instskip(SKIP_3) | instid1(VALU_DEP_1)
	v_add_co_ci_u32_e64 v50, s22, s49, v50, s22
	global_store_b64 v[49:50], v[36:37], off
	s_or_b32 exec_lo, exec_lo, s23
	v_cmp_lt_u32_e64 s22, v85, v177
	s_and_saveexec_b32 s24, s22
	s_cbranch_execnz .LBB844_485
.LBB844_500:                            ;   in Loop: Header=BB844_400 Depth=2
	s_or_b32 exec_lo, exec_lo, s24
	v_cmp_lt_u32_e64 s23, v86, v177
	s_delay_alu instid0(VALU_DEP_1)
	s_and_saveexec_b32 s25, s23
	s_cbranch_execz .LBB844_486
.LBB844_501:                            ;   in Loop: Header=BB844_400 Depth=2
	ds_load_b64 v[36:37], v110 offset:14336
	s_waitcnt lgkmcnt(0)
	v_lshrrev_b64 v[49:50], s41, v[36:37]
	v_xor_b32_e32 v37, 0x80000000, v37
	s_delay_alu instid0(VALU_DEP_2) | instskip(NEXT) | instid1(VALU_DEP_1)
	v_and_b32_e32 v2, s43, v49
	v_lshlrev_b32_e32 v2, 2, v2
	ds_load_b32 v2, v2
	s_waitcnt lgkmcnt(0)
	v_add_nc_u32_e32 v2, v2, v86
	s_delay_alu instid0(VALU_DEP_1) | instskip(NEXT) | instid1(VALU_DEP_1)
	v_lshlrev_b64 v[49:50], 3, v[2:3]
	v_add_co_u32 v49, s24, s48, v49
	s_delay_alu instid0(VALU_DEP_1) | instskip(SKIP_3) | instid1(VALU_DEP_1)
	v_add_co_ci_u32_e64 v50, s24, s49, v50, s24
	global_store_b64 v[49:50], v[36:37], off
	s_or_b32 exec_lo, exec_lo, s25
	v_cmp_lt_u32_e64 s24, v87, v177
	s_and_saveexec_b32 s26, s24
	s_cbranch_execnz .LBB844_487
.LBB844_502:                            ;   in Loop: Header=BB844_400 Depth=2
	s_or_b32 exec_lo, exec_lo, s26
	v_cmp_lt_u32_e64 s25, v88, v177
	s_delay_alu instid0(VALU_DEP_1)
	s_and_saveexec_b32 s27, s25
	s_cbranch_execz .LBB844_488
.LBB844_503:                            ;   in Loop: Header=BB844_400 Depth=2
	ds_load_b64 v[36:37], v110 offset:18432
	s_waitcnt lgkmcnt(0)
	v_lshrrev_b64 v[49:50], s41, v[36:37]
	v_xor_b32_e32 v37, 0x80000000, v37
	s_delay_alu instid0(VALU_DEP_2) | instskip(NEXT) | instid1(VALU_DEP_1)
	v_and_b32_e32 v2, s43, v49
	v_lshlrev_b32_e32 v2, 2, v2
	ds_load_b32 v2, v2
	s_waitcnt lgkmcnt(0)
	v_add_nc_u32_e32 v2, v2, v88
	s_delay_alu instid0(VALU_DEP_1) | instskip(NEXT) | instid1(VALU_DEP_1)
	v_lshlrev_b64 v[49:50], 3, v[2:3]
	v_add_co_u32 v49, s26, s48, v49
	s_delay_alu instid0(VALU_DEP_1) | instskip(SKIP_3) | instid1(VALU_DEP_1)
	v_add_co_ci_u32_e64 v50, s26, s49, v50, s26
	global_store_b64 v[49:50], v[36:37], off
	s_or_b32 exec_lo, exec_lo, s27
	v_cmp_lt_u32_e64 s26, v89, v177
	s_and_saveexec_b32 s28, s26
	s_cbranch_execnz .LBB844_489
.LBB844_504:                            ;   in Loop: Header=BB844_400 Depth=2
	s_or_b32 exec_lo, exec_lo, s28
	v_cmp_lt_u32_e64 s27, v90, v177
	s_delay_alu instid0(VALU_DEP_1)
	s_and_saveexec_b32 s29, s27
	s_cbranch_execz .LBB844_490
.LBB844_505:                            ;   in Loop: Header=BB844_400 Depth=2
	ds_load_b64 v[36:37], v110 offset:22528
	s_waitcnt lgkmcnt(0)
	v_lshrrev_b64 v[49:50], s41, v[36:37]
	v_xor_b32_e32 v37, 0x80000000, v37
	s_delay_alu instid0(VALU_DEP_2) | instskip(NEXT) | instid1(VALU_DEP_1)
	v_and_b32_e32 v2, s43, v49
	v_lshlrev_b32_e32 v2, 2, v2
	ds_load_b32 v2, v2
	s_waitcnt lgkmcnt(0)
	v_add_nc_u32_e32 v2, v2, v90
	s_delay_alu instid0(VALU_DEP_1) | instskip(NEXT) | instid1(VALU_DEP_1)
	v_lshlrev_b64 v[49:50], 3, v[2:3]
	v_add_co_u32 v49, s28, s48, v49
	s_delay_alu instid0(VALU_DEP_1) | instskip(SKIP_3) | instid1(VALU_DEP_1)
	v_add_co_ci_u32_e64 v50, s28, s49, v50, s28
	global_store_b64 v[49:50], v[36:37], off
	s_or_b32 exec_lo, exec_lo, s29
	v_cmp_lt_u32_e64 s28, v91, v177
	s_and_saveexec_b32 s30, s28
	s_cbranch_execnz .LBB844_491
.LBB844_506:                            ;   in Loop: Header=BB844_400 Depth=2
	s_or_b32 exec_lo, exec_lo, s30
	v_cmp_lt_u32_e64 s29, v92, v177
	s_delay_alu instid0(VALU_DEP_1)
	s_and_saveexec_b32 s31, s29
	s_cbranch_execz .LBB844_492
.LBB844_507:                            ;   in Loop: Header=BB844_400 Depth=2
	ds_load_b64 v[36:37], v110 offset:26624
	s_waitcnt lgkmcnt(0)
	v_lshrrev_b64 v[49:50], s41, v[36:37]
	v_xor_b32_e32 v37, 0x80000000, v37
	s_delay_alu instid0(VALU_DEP_2) | instskip(NEXT) | instid1(VALU_DEP_1)
	v_and_b32_e32 v2, s43, v49
	v_lshlrev_b32_e32 v2, 2, v2
	ds_load_b32 v2, v2
	s_waitcnt lgkmcnt(0)
	v_add_nc_u32_e32 v2, v2, v92
	s_delay_alu instid0(VALU_DEP_1) | instskip(NEXT) | instid1(VALU_DEP_1)
	v_lshlrev_b64 v[49:50], 3, v[2:3]
	v_add_co_u32 v49, s30, s48, v49
	s_delay_alu instid0(VALU_DEP_1) | instskip(SKIP_3) | instid1(VALU_DEP_1)
	v_add_co_ci_u32_e64 v50, s30, s49, v50, s30
	global_store_b64 v[49:50], v[36:37], off
	s_or_b32 exec_lo, exec_lo, s31
	v_cmp_lt_u32_e64 s30, v93, v177
	s_and_saveexec_b32 s33, s30
	s_cbranch_execnz .LBB844_493
.LBB844_508:                            ;   in Loop: Header=BB844_400 Depth=2
	s_or_b32 exec_lo, exec_lo, s33
	v_cmp_lt_u32_e64 s31, v95, v177
	s_delay_alu instid0(VALU_DEP_1)
	s_and_saveexec_b32 s56, s31
	s_cbranch_execz .LBB844_510
.LBB844_509:                            ;   in Loop: Header=BB844_400 Depth=2
	ds_load_b64 v[36:37], v110 offset:30720
	s_waitcnt lgkmcnt(0)
	v_lshrrev_b64 v[49:50], s41, v[36:37]
	v_xor_b32_e32 v37, 0x80000000, v37
	s_delay_alu instid0(VALU_DEP_2) | instskip(NEXT) | instid1(VALU_DEP_1)
	v_and_b32_e32 v2, s43, v49
	v_lshlrev_b32_e32 v2, 2, v2
	ds_load_b32 v2, v2
	s_waitcnt lgkmcnt(0)
	v_add_nc_u32_e32 v2, v2, v95
	s_delay_alu instid0(VALU_DEP_1) | instskip(NEXT) | instid1(VALU_DEP_1)
	v_lshlrev_b64 v[49:50], 3, v[2:3]
	v_add_co_u32 v49, s33, s48, v49
	s_delay_alu instid0(VALU_DEP_1)
	v_add_co_ci_u32_e64 v50, s33, s49, v50, s33
	global_store_b64 v[49:50], v[36:37], off
.LBB844_510:                            ;   in Loop: Header=BB844_400 Depth=2
	s_or_b32 exec_lo, exec_lo, s56
	s_lshl_b64 s[64:65], s[34:35], 3
	s_delay_alu instid0(SALU_CYCLE_1) | instskip(NEXT) | instid1(VALU_DEP_1)
	v_add_co_u32 v36, s33, v139, s64
	v_add_co_ci_u32_e64 v37, s33, s65, v140, s33
	v_cmp_lt_u32_e64 s33, v138, v177
	s_delay_alu instid0(VALU_DEP_1) | instskip(NEXT) | instid1(SALU_CYCLE_1)
	s_and_saveexec_b32 s34, s33
	s_xor_b32 s33, exec_lo, s34
	s_cbranch_execz .LBB844_542
; %bb.511:                              ;   in Loop: Header=BB844_400 Depth=2
	global_load_b64 v[34:35], v[36:37], off
	s_or_b32 exec_lo, exec_lo, s33
	s_delay_alu instid0(SALU_CYCLE_1)
	s_mov_b32 s34, exec_lo
	v_cmpx_lt_u32_e64 v141, v177
	s_cbranch_execnz .LBB844_543
.LBB844_512:                            ;   in Loop: Header=BB844_400 Depth=2
	s_or_b32 exec_lo, exec_lo, s34
	s_delay_alu instid0(SALU_CYCLE_1)
	s_mov_b32 s34, exec_lo
	v_cmpx_lt_u32_e64 v142, v177
	s_cbranch_execz .LBB844_544
.LBB844_513:                            ;   in Loop: Header=BB844_400 Depth=2
	global_load_b64 v[30:31], v[36:37], off offset:512
	s_or_b32 exec_lo, exec_lo, s34
	s_delay_alu instid0(SALU_CYCLE_1)
	s_mov_b32 s34, exec_lo
	v_cmpx_lt_u32_e64 v143, v177
	s_cbranch_execnz .LBB844_545
.LBB844_514:                            ;   in Loop: Header=BB844_400 Depth=2
	s_or_b32 exec_lo, exec_lo, s34
	s_delay_alu instid0(SALU_CYCLE_1)
	s_mov_b32 s34, exec_lo
	v_cmpx_lt_u32_e64 v144, v177
	s_cbranch_execz .LBB844_546
.LBB844_515:                            ;   in Loop: Header=BB844_400 Depth=2
	global_load_b64 v[26:27], v[36:37], off offset:1024
	s_or_b32 exec_lo, exec_lo, s34
	s_delay_alu instid0(SALU_CYCLE_1)
	s_mov_b32 s34, exec_lo
	v_cmpx_lt_u32_e64 v145, v177
	s_cbranch_execnz .LBB844_547
.LBB844_516:                            ;   in Loop: Header=BB844_400 Depth=2
	s_or_b32 exec_lo, exec_lo, s34
	s_delay_alu instid0(SALU_CYCLE_1)
	s_mov_b32 s34, exec_lo
	v_cmpx_lt_u32_e64 v146, v177
	s_cbranch_execz .LBB844_548
.LBB844_517:                            ;   in Loop: Header=BB844_400 Depth=2
	global_load_b64 v[22:23], v[36:37], off offset:1536
	s_or_b32 exec_lo, exec_lo, s34
	s_delay_alu instid0(SALU_CYCLE_1)
	s_mov_b32 s34, exec_lo
	v_cmpx_lt_u32_e64 v147, v177
	s_cbranch_execnz .LBB844_549
.LBB844_518:                            ;   in Loop: Header=BB844_400 Depth=2
	s_or_b32 exec_lo, exec_lo, s34
	s_delay_alu instid0(SALU_CYCLE_1)
	s_mov_b32 s34, exec_lo
	v_cmpx_lt_u32_e64 v148, v177
	s_cbranch_execz .LBB844_550
.LBB844_519:                            ;   in Loop: Header=BB844_400 Depth=2
	global_load_b64 v[18:19], v[36:37], off offset:2048
	s_or_b32 exec_lo, exec_lo, s34
	s_delay_alu instid0(SALU_CYCLE_1)
	s_mov_b32 s34, exec_lo
	v_cmpx_lt_u32_e64 v149, v177
	s_cbranch_execnz .LBB844_551
.LBB844_520:                            ;   in Loop: Header=BB844_400 Depth=2
	s_or_b32 exec_lo, exec_lo, s34
	s_delay_alu instid0(SALU_CYCLE_1)
	s_mov_b32 s34, exec_lo
	v_cmpx_lt_u32_e64 v150, v177
	s_cbranch_execz .LBB844_552
.LBB844_521:                            ;   in Loop: Header=BB844_400 Depth=2
	global_load_b64 v[14:15], v[36:37], off offset:2560
	s_or_b32 exec_lo, exec_lo, s34
	s_delay_alu instid0(SALU_CYCLE_1)
	s_mov_b32 s34, exec_lo
	v_cmpx_lt_u32_e64 v151, v177
	s_cbranch_execnz .LBB844_553
.LBB844_522:                            ;   in Loop: Header=BB844_400 Depth=2
	s_or_b32 exec_lo, exec_lo, s34
	s_delay_alu instid0(SALU_CYCLE_1)
	s_mov_b32 s34, exec_lo
	v_cmpx_lt_u32_e64 v152, v177
	s_cbranch_execz .LBB844_554
.LBB844_523:                            ;   in Loop: Header=BB844_400 Depth=2
	global_load_b64 v[10:11], v[36:37], off offset:3072
	s_or_b32 exec_lo, exec_lo, s34
	s_delay_alu instid0(SALU_CYCLE_1)
	s_mov_b32 s34, exec_lo
	v_cmpx_lt_u32_e64 v153, v177
	s_cbranch_execnz .LBB844_555
.LBB844_524:                            ;   in Loop: Header=BB844_400 Depth=2
	s_or_b32 exec_lo, exec_lo, s34
	s_delay_alu instid0(SALU_CYCLE_1)
	s_mov_b32 s34, exec_lo
	v_cmpx_lt_u32_e64 v154, v177
	s_cbranch_execz .LBB844_556
.LBB844_525:                            ;   in Loop: Header=BB844_400 Depth=2
	global_load_b64 v[6:7], v[36:37], off offset:3584
	s_or_b32 exec_lo, exec_lo, s34
	s_delay_alu instid0(SALU_CYCLE_1)
	s_mov_b32 s34, exec_lo
	v_cmpx_lt_u32_e64 v155, v177
	s_cbranch_execnz .LBB844_557
.LBB844_526:                            ;   in Loop: Header=BB844_400 Depth=2
	s_or_b32 exec_lo, exec_lo, s34
	s_and_saveexec_b32 s33, vcc_lo
	s_cbranch_execz .LBB844_558
.LBB844_527:                            ;   in Loop: Header=BB844_400 Depth=2
	v_add_nc_u32_e32 v2, v104, v76
	ds_load_b64 v[36:37], v2 offset:1024
	s_waitcnt lgkmcnt(0)
	v_lshrrev_b64 v[36:37], s41, v[36:37]
	s_delay_alu instid0(VALU_DEP_1)
	v_and_b32_e32 v176, s43, v36
	s_or_b32 exec_lo, exec_lo, s33
	s_and_saveexec_b32 s33, s17
	s_cbranch_execnz .LBB844_559
.LBB844_528:                            ;   in Loop: Header=BB844_400 Depth=2
	s_or_b32 exec_lo, exec_lo, s33
	s_and_saveexec_b32 s33, s18
	s_cbranch_execz .LBB844_560
.LBB844_529:                            ;   in Loop: Header=BB844_400 Depth=2
	ds_load_b64 v[36:37], v110 offset:4096
	s_waitcnt lgkmcnt(0)
	v_lshrrev_b64 v[36:37], s41, v[36:37]
	s_delay_alu instid0(VALU_DEP_1)
	v_and_b32_e32 v174, s43, v36
	s_or_b32 exec_lo, exec_lo, s33
	s_and_saveexec_b32 s33, s19
	s_cbranch_execnz .LBB844_561
.LBB844_530:                            ;   in Loop: Header=BB844_400 Depth=2
	s_or_b32 exec_lo, exec_lo, s33
	s_and_saveexec_b32 s33, s20
	s_cbranch_execz .LBB844_562
.LBB844_531:                            ;   in Loop: Header=BB844_400 Depth=2
	ds_load_b64 v[36:37], v110 offset:8192
	s_waitcnt lgkmcnt(0)
	v_lshrrev_b64 v[36:37], s41, v[36:37]
	s_delay_alu instid0(VALU_DEP_1)
	v_and_b32_e32 v172, s43, v36
	s_or_b32 exec_lo, exec_lo, s33
	s_and_saveexec_b32 s33, s21
	s_cbranch_execnz .LBB844_563
.LBB844_532:                            ;   in Loop: Header=BB844_400 Depth=2
	s_or_b32 exec_lo, exec_lo, s33
	s_and_saveexec_b32 s33, s22
	s_cbranch_execz .LBB844_564
.LBB844_533:                            ;   in Loop: Header=BB844_400 Depth=2
	ds_load_b64 v[36:37], v110 offset:12288
	s_waitcnt lgkmcnt(0)
	v_lshrrev_b64 v[36:37], s41, v[36:37]
	s_delay_alu instid0(VALU_DEP_1)
	v_and_b32_e32 v170, s43, v36
	s_or_b32 exec_lo, exec_lo, s33
	s_and_saveexec_b32 s33, s23
	s_cbranch_execnz .LBB844_565
.LBB844_534:                            ;   in Loop: Header=BB844_400 Depth=2
	s_or_b32 exec_lo, exec_lo, s33
	s_and_saveexec_b32 s33, s24
	s_cbranch_execz .LBB844_566
.LBB844_535:                            ;   in Loop: Header=BB844_400 Depth=2
	ds_load_b64 v[36:37], v110 offset:16384
	s_waitcnt lgkmcnt(0)
	v_lshrrev_b64 v[36:37], s41, v[36:37]
	s_delay_alu instid0(VALU_DEP_1)
	v_and_b32_e32 v168, s43, v36
	s_or_b32 exec_lo, exec_lo, s33
	s_and_saveexec_b32 s33, s25
	s_cbranch_execnz .LBB844_567
.LBB844_536:                            ;   in Loop: Header=BB844_400 Depth=2
	s_or_b32 exec_lo, exec_lo, s33
	s_and_saveexec_b32 s33, s26
	s_cbranch_execz .LBB844_568
.LBB844_537:                            ;   in Loop: Header=BB844_400 Depth=2
	ds_load_b64 v[36:37], v110 offset:20480
	s_waitcnt lgkmcnt(0)
	v_lshrrev_b64 v[36:37], s41, v[36:37]
	s_delay_alu instid0(VALU_DEP_1)
	v_and_b32_e32 v166, s43, v36
	s_or_b32 exec_lo, exec_lo, s33
	s_and_saveexec_b32 s33, s27
	s_cbranch_execnz .LBB844_569
.LBB844_538:                            ;   in Loop: Header=BB844_400 Depth=2
	s_or_b32 exec_lo, exec_lo, s33
	s_and_saveexec_b32 s33, s28
	s_cbranch_execz .LBB844_570
.LBB844_539:                            ;   in Loop: Header=BB844_400 Depth=2
	ds_load_b64 v[36:37], v110 offset:24576
	s_waitcnt lgkmcnt(0)
	v_lshrrev_b64 v[36:37], s41, v[36:37]
	s_delay_alu instid0(VALU_DEP_1)
	v_and_b32_e32 v164, s43, v36
	s_or_b32 exec_lo, exec_lo, s33
	s_and_saveexec_b32 s33, s29
	s_cbranch_execnz .LBB844_571
.LBB844_540:                            ;   in Loop: Header=BB844_400 Depth=2
	s_or_b32 exec_lo, exec_lo, s33
	s_and_saveexec_b32 s33, s30
	s_cbranch_execz .LBB844_572
.LBB844_541:                            ;   in Loop: Header=BB844_400 Depth=2
	ds_load_b64 v[36:37], v110 offset:28672
	s_waitcnt lgkmcnt(0)
	v_lshrrev_b64 v[36:37], s41, v[36:37]
	s_delay_alu instid0(VALU_DEP_1)
	v_and_b32_e32 v162, s43, v36
	s_or_b32 exec_lo, exec_lo, s33
	s_and_saveexec_b32 s33, s31
	s_cbranch_execnz .LBB844_573
	s_branch .LBB844_574
.LBB844_542:                            ;   in Loop: Header=BB844_400 Depth=2
	s_or_b32 exec_lo, exec_lo, s33
	s_delay_alu instid0(SALU_CYCLE_1)
	s_mov_b32 s34, exec_lo
	v_cmpx_lt_u32_e64 v141, v177
	s_cbranch_execz .LBB844_512
.LBB844_543:                            ;   in Loop: Header=BB844_400 Depth=2
	global_load_b64 v[32:33], v[36:37], off offset:256
	s_or_b32 exec_lo, exec_lo, s34
	s_delay_alu instid0(SALU_CYCLE_1)
	s_mov_b32 s34, exec_lo
	v_cmpx_lt_u32_e64 v142, v177
	s_cbranch_execnz .LBB844_513
.LBB844_544:                            ;   in Loop: Header=BB844_400 Depth=2
	s_or_b32 exec_lo, exec_lo, s34
	s_delay_alu instid0(SALU_CYCLE_1)
	s_mov_b32 s34, exec_lo
	v_cmpx_lt_u32_e64 v143, v177
	s_cbranch_execz .LBB844_514
.LBB844_545:                            ;   in Loop: Header=BB844_400 Depth=2
	global_load_b64 v[28:29], v[36:37], off offset:768
	s_or_b32 exec_lo, exec_lo, s34
	s_delay_alu instid0(SALU_CYCLE_1)
	s_mov_b32 s34, exec_lo
	v_cmpx_lt_u32_e64 v144, v177
	s_cbranch_execnz .LBB844_515
.LBB844_546:                            ;   in Loop: Header=BB844_400 Depth=2
	s_or_b32 exec_lo, exec_lo, s34
	s_delay_alu instid0(SALU_CYCLE_1)
	s_mov_b32 s34, exec_lo
	v_cmpx_lt_u32_e64 v145, v177
	s_cbranch_execz .LBB844_516
.LBB844_547:                            ;   in Loop: Header=BB844_400 Depth=2
	global_load_b64 v[24:25], v[36:37], off offset:1280
	s_or_b32 exec_lo, exec_lo, s34
	s_delay_alu instid0(SALU_CYCLE_1)
	s_mov_b32 s34, exec_lo
	v_cmpx_lt_u32_e64 v146, v177
	s_cbranch_execnz .LBB844_517
.LBB844_548:                            ;   in Loop: Header=BB844_400 Depth=2
	s_or_b32 exec_lo, exec_lo, s34
	s_delay_alu instid0(SALU_CYCLE_1)
	s_mov_b32 s34, exec_lo
	v_cmpx_lt_u32_e64 v147, v177
	s_cbranch_execz .LBB844_518
.LBB844_549:                            ;   in Loop: Header=BB844_400 Depth=2
	global_load_b64 v[20:21], v[36:37], off offset:1792
	s_or_b32 exec_lo, exec_lo, s34
	s_delay_alu instid0(SALU_CYCLE_1)
	s_mov_b32 s34, exec_lo
	v_cmpx_lt_u32_e64 v148, v177
	s_cbranch_execnz .LBB844_519
.LBB844_550:                            ;   in Loop: Header=BB844_400 Depth=2
	s_or_b32 exec_lo, exec_lo, s34
	s_delay_alu instid0(SALU_CYCLE_1)
	s_mov_b32 s34, exec_lo
	v_cmpx_lt_u32_e64 v149, v177
	s_cbranch_execz .LBB844_520
.LBB844_551:                            ;   in Loop: Header=BB844_400 Depth=2
	global_load_b64 v[16:17], v[36:37], off offset:2304
	s_or_b32 exec_lo, exec_lo, s34
	s_delay_alu instid0(SALU_CYCLE_1)
	s_mov_b32 s34, exec_lo
	v_cmpx_lt_u32_e64 v150, v177
	s_cbranch_execnz .LBB844_521
.LBB844_552:                            ;   in Loop: Header=BB844_400 Depth=2
	s_or_b32 exec_lo, exec_lo, s34
	s_delay_alu instid0(SALU_CYCLE_1)
	s_mov_b32 s34, exec_lo
	v_cmpx_lt_u32_e64 v151, v177
	s_cbranch_execz .LBB844_522
.LBB844_553:                            ;   in Loop: Header=BB844_400 Depth=2
	global_load_b64 v[12:13], v[36:37], off offset:2816
	s_or_b32 exec_lo, exec_lo, s34
	s_delay_alu instid0(SALU_CYCLE_1)
	s_mov_b32 s34, exec_lo
	v_cmpx_lt_u32_e64 v152, v177
	s_cbranch_execnz .LBB844_523
.LBB844_554:                            ;   in Loop: Header=BB844_400 Depth=2
	s_or_b32 exec_lo, exec_lo, s34
	s_delay_alu instid0(SALU_CYCLE_1)
	s_mov_b32 s34, exec_lo
	v_cmpx_lt_u32_e64 v153, v177
	s_cbranch_execz .LBB844_524
.LBB844_555:                            ;   in Loop: Header=BB844_400 Depth=2
	global_load_b64 v[8:9], v[36:37], off offset:3328
	s_or_b32 exec_lo, exec_lo, s34
	s_delay_alu instid0(SALU_CYCLE_1)
	s_mov_b32 s34, exec_lo
	v_cmpx_lt_u32_e64 v154, v177
	s_cbranch_execnz .LBB844_525
.LBB844_556:                            ;   in Loop: Header=BB844_400 Depth=2
	s_or_b32 exec_lo, exec_lo, s34
	s_delay_alu instid0(SALU_CYCLE_1)
	s_mov_b32 s34, exec_lo
	v_cmpx_lt_u32_e64 v155, v177
	s_cbranch_execz .LBB844_526
.LBB844_557:                            ;   in Loop: Header=BB844_400 Depth=2
	global_load_b64 v[4:5], v[36:37], off offset:3840
	s_or_b32 exec_lo, exec_lo, s34
	s_and_saveexec_b32 s33, vcc_lo
	s_cbranch_execnz .LBB844_527
.LBB844_558:                            ;   in Loop: Header=BB844_400 Depth=2
	s_or_b32 exec_lo, exec_lo, s33
	s_and_saveexec_b32 s33, s17
	s_cbranch_execz .LBB844_528
.LBB844_559:                            ;   in Loop: Header=BB844_400 Depth=2
	ds_load_b64 v[36:37], v110 offset:2048
	s_waitcnt lgkmcnt(0)
	v_lshrrev_b64 v[36:37], s41, v[36:37]
	s_delay_alu instid0(VALU_DEP_1)
	v_and_b32_e32 v175, s43, v36
	s_or_b32 exec_lo, exec_lo, s33
	s_and_saveexec_b32 s33, s18
	s_cbranch_execnz .LBB844_529
.LBB844_560:                            ;   in Loop: Header=BB844_400 Depth=2
	s_or_b32 exec_lo, exec_lo, s33
	s_and_saveexec_b32 s33, s19
	s_cbranch_execz .LBB844_530
.LBB844_561:                            ;   in Loop: Header=BB844_400 Depth=2
	ds_load_b64 v[36:37], v110 offset:6144
	s_waitcnt lgkmcnt(0)
	v_lshrrev_b64 v[36:37], s41, v[36:37]
	s_delay_alu instid0(VALU_DEP_1)
	v_and_b32_e32 v173, s43, v36
	s_or_b32 exec_lo, exec_lo, s33
	s_and_saveexec_b32 s33, s20
	s_cbranch_execnz .LBB844_531
.LBB844_562:                            ;   in Loop: Header=BB844_400 Depth=2
	s_or_b32 exec_lo, exec_lo, s33
	s_and_saveexec_b32 s33, s21
	s_cbranch_execz .LBB844_532
.LBB844_563:                            ;   in Loop: Header=BB844_400 Depth=2
	ds_load_b64 v[36:37], v110 offset:10240
	s_waitcnt lgkmcnt(0)
	v_lshrrev_b64 v[36:37], s41, v[36:37]
	s_delay_alu instid0(VALU_DEP_1)
	v_and_b32_e32 v171, s43, v36
	s_or_b32 exec_lo, exec_lo, s33
	s_and_saveexec_b32 s33, s22
	s_cbranch_execnz .LBB844_533
.LBB844_564:                            ;   in Loop: Header=BB844_400 Depth=2
	s_or_b32 exec_lo, exec_lo, s33
	s_and_saveexec_b32 s33, s23
	s_cbranch_execz .LBB844_534
.LBB844_565:                            ;   in Loop: Header=BB844_400 Depth=2
	ds_load_b64 v[36:37], v110 offset:14336
	s_waitcnt lgkmcnt(0)
	v_lshrrev_b64 v[36:37], s41, v[36:37]
	s_delay_alu instid0(VALU_DEP_1)
	v_and_b32_e32 v169, s43, v36
	s_or_b32 exec_lo, exec_lo, s33
	s_and_saveexec_b32 s33, s24
	s_cbranch_execnz .LBB844_535
.LBB844_566:                            ;   in Loop: Header=BB844_400 Depth=2
	s_or_b32 exec_lo, exec_lo, s33
	s_and_saveexec_b32 s33, s25
	s_cbranch_execz .LBB844_536
.LBB844_567:                            ;   in Loop: Header=BB844_400 Depth=2
	ds_load_b64 v[36:37], v110 offset:18432
	s_waitcnt lgkmcnt(0)
	v_lshrrev_b64 v[36:37], s41, v[36:37]
	s_delay_alu instid0(VALU_DEP_1)
	v_and_b32_e32 v167, s43, v36
	s_or_b32 exec_lo, exec_lo, s33
	s_and_saveexec_b32 s33, s26
	s_cbranch_execnz .LBB844_537
.LBB844_568:                            ;   in Loop: Header=BB844_400 Depth=2
	s_or_b32 exec_lo, exec_lo, s33
	s_and_saveexec_b32 s33, s27
	s_cbranch_execz .LBB844_538
.LBB844_569:                            ;   in Loop: Header=BB844_400 Depth=2
	ds_load_b64 v[36:37], v110 offset:22528
	s_waitcnt lgkmcnt(0)
	v_lshrrev_b64 v[36:37], s41, v[36:37]
	s_delay_alu instid0(VALU_DEP_1)
	v_and_b32_e32 v165, s43, v36
	s_or_b32 exec_lo, exec_lo, s33
	s_and_saveexec_b32 s33, s28
	s_cbranch_execnz .LBB844_539
.LBB844_570:                            ;   in Loop: Header=BB844_400 Depth=2
	s_or_b32 exec_lo, exec_lo, s33
	s_and_saveexec_b32 s33, s29
	s_cbranch_execz .LBB844_540
.LBB844_571:                            ;   in Loop: Header=BB844_400 Depth=2
	ds_load_b64 v[36:37], v110 offset:26624
	s_waitcnt lgkmcnt(0)
	v_lshrrev_b64 v[36:37], s41, v[36:37]
	s_delay_alu instid0(VALU_DEP_1)
	v_and_b32_e32 v163, s43, v36
	s_or_b32 exec_lo, exec_lo, s33
	s_and_saveexec_b32 s33, s30
	s_cbranch_execnz .LBB844_541
.LBB844_572:                            ;   in Loop: Header=BB844_400 Depth=2
	s_or_b32 exec_lo, exec_lo, s33
	s_and_saveexec_b32 s33, s31
	s_cbranch_execz .LBB844_574
.LBB844_573:                            ;   in Loop: Header=BB844_400 Depth=2
	ds_load_b64 v[36:37], v110 offset:30720
	s_waitcnt lgkmcnt(0)
	v_lshrrev_b64 v[36:37], s41, v[36:37]
	s_delay_alu instid0(VALU_DEP_1)
	v_and_b32_e32 v161, s43, v36
.LBB844_574:                            ;   in Loop: Header=BB844_400 Depth=2
	s_or_b32 exec_lo, exec_lo, s33
	v_add_nc_u32_e32 v2, 0x400, v69
	v_add_nc_u32_e32 v36, 0x400, v70
	;; [unrolled: 1-line block ×16, first 2 shown]
	s_waitcnt vmcnt(0)
	s_waitcnt_vscnt null, 0x0
	s_barrier
	buffer_gl0_inv
	ds_store_b64 v2, v[34:35]
	ds_store_b64 v36, v[32:33]
	;; [unrolled: 1-line block ×16, first 2 shown]
	s_waitcnt lgkmcnt(0)
	s_barrier
	buffer_gl0_inv
	s_and_saveexec_b32 s33, vcc_lo
	s_cbranch_execz .LBB844_590
; %bb.575:                              ;   in Loop: Header=BB844_400 Depth=2
	v_lshlrev_b32_e32 v2, 2, v176
	v_add_nc_u32_e32 v36, v104, v76
	ds_load_b32 v2, v2
	ds_load_b64 v[36:37], v36 offset:1024
	s_waitcnt lgkmcnt(1)
	v_add_nc_u32_e32 v2, v2, v1
	s_delay_alu instid0(VALU_DEP_1) | instskip(NEXT) | instid1(VALU_DEP_1)
	v_lshlrev_b64 v[38:39], 3, v[2:3]
	v_add_co_u32 v38, vcc_lo, s54, v38
	s_delay_alu instid0(VALU_DEP_2)
	v_add_co_ci_u32_e32 v39, vcc_lo, s55, v39, vcc_lo
	s_waitcnt lgkmcnt(0)
	global_store_b64 v[38:39], v[36:37], off
	s_or_b32 exec_lo, exec_lo, s33
	s_and_saveexec_b32 s33, s17
	s_cbranch_execnz .LBB844_591
.LBB844_576:                            ;   in Loop: Header=BB844_400 Depth=2
	s_or_b32 exec_lo, exec_lo, s33
	s_and_saveexec_b32 s17, s18
	s_cbranch_execz .LBB844_592
.LBB844_577:                            ;   in Loop: Header=BB844_400 Depth=2
	v_lshlrev_b32_e32 v2, 2, v174
	ds_load_b32 v2, v2
	ds_load_b64 v[36:37], v110 offset:4096
	s_waitcnt lgkmcnt(1)
	v_add_nc_u32_e32 v2, v2, v78
	s_delay_alu instid0(VALU_DEP_1) | instskip(NEXT) | instid1(VALU_DEP_1)
	v_lshlrev_b64 v[38:39], 3, v[2:3]
	v_add_co_u32 v38, vcc_lo, s54, v38
	s_delay_alu instid0(VALU_DEP_2)
	v_add_co_ci_u32_e32 v39, vcc_lo, s55, v39, vcc_lo
	s_waitcnt lgkmcnt(0)
	global_store_b64 v[38:39], v[36:37], off
	s_or_b32 exec_lo, exec_lo, s17
	s_and_saveexec_b32 s17, s19
	s_cbranch_execnz .LBB844_593
.LBB844_578:                            ;   in Loop: Header=BB844_400 Depth=2
	s_or_b32 exec_lo, exec_lo, s17
	s_and_saveexec_b32 s17, s20
	s_cbranch_execz .LBB844_594
.LBB844_579:                            ;   in Loop: Header=BB844_400 Depth=2
	v_lshlrev_b32_e32 v2, 2, v172
	ds_load_b32 v2, v2
	ds_load_b64 v[36:37], v110 offset:8192
	s_waitcnt lgkmcnt(1)
	v_add_nc_u32_e32 v2, v2, v83
	s_delay_alu instid0(VALU_DEP_1) | instskip(NEXT) | instid1(VALU_DEP_1)
	v_lshlrev_b64 v[38:39], 3, v[2:3]
	v_add_co_u32 v38, vcc_lo, s54, v38
	s_delay_alu instid0(VALU_DEP_2)
	v_add_co_ci_u32_e32 v39, vcc_lo, s55, v39, vcc_lo
	s_waitcnt lgkmcnt(0)
	global_store_b64 v[38:39], v[36:37], off
	s_or_b32 exec_lo, exec_lo, s17
	s_and_saveexec_b32 s17, s21
	s_cbranch_execnz .LBB844_595
.LBB844_580:                            ;   in Loop: Header=BB844_400 Depth=2
	s_or_b32 exec_lo, exec_lo, s17
	s_and_saveexec_b32 s17, s22
	s_cbranch_execz .LBB844_596
.LBB844_581:                            ;   in Loop: Header=BB844_400 Depth=2
	v_lshlrev_b32_e32 v2, 2, v170
	ds_load_b32 v2, v2
	ds_load_b64 v[36:37], v110 offset:12288
	s_waitcnt lgkmcnt(1)
	v_add_nc_u32_e32 v2, v2, v85
	s_delay_alu instid0(VALU_DEP_1) | instskip(NEXT) | instid1(VALU_DEP_1)
	v_lshlrev_b64 v[38:39], 3, v[2:3]
	v_add_co_u32 v38, vcc_lo, s54, v38
	s_delay_alu instid0(VALU_DEP_2)
	v_add_co_ci_u32_e32 v39, vcc_lo, s55, v39, vcc_lo
	s_waitcnt lgkmcnt(0)
	global_store_b64 v[38:39], v[36:37], off
	s_or_b32 exec_lo, exec_lo, s17
	s_and_saveexec_b32 s17, s23
	s_cbranch_execnz .LBB844_597
.LBB844_582:                            ;   in Loop: Header=BB844_400 Depth=2
	s_or_b32 exec_lo, exec_lo, s17
	s_and_saveexec_b32 s17, s24
	s_cbranch_execz .LBB844_598
.LBB844_583:                            ;   in Loop: Header=BB844_400 Depth=2
	v_lshlrev_b32_e32 v2, 2, v168
	ds_load_b32 v2, v2
	ds_load_b64 v[36:37], v110 offset:16384
	s_waitcnt lgkmcnt(1)
	v_add_nc_u32_e32 v2, v2, v87
	s_delay_alu instid0(VALU_DEP_1) | instskip(NEXT) | instid1(VALU_DEP_1)
	v_lshlrev_b64 v[38:39], 3, v[2:3]
	v_add_co_u32 v38, vcc_lo, s54, v38
	s_delay_alu instid0(VALU_DEP_2)
	v_add_co_ci_u32_e32 v39, vcc_lo, s55, v39, vcc_lo
	s_waitcnt lgkmcnt(0)
	global_store_b64 v[38:39], v[36:37], off
	s_or_b32 exec_lo, exec_lo, s17
	s_and_saveexec_b32 s17, s25
	s_cbranch_execnz .LBB844_599
.LBB844_584:                            ;   in Loop: Header=BB844_400 Depth=2
	s_or_b32 exec_lo, exec_lo, s17
	s_and_saveexec_b32 s17, s26
	s_cbranch_execz .LBB844_600
.LBB844_585:                            ;   in Loop: Header=BB844_400 Depth=2
	v_lshlrev_b32_e32 v2, 2, v166
	ds_load_b32 v2, v2
	ds_load_b64 v[36:37], v110 offset:20480
	s_waitcnt lgkmcnt(1)
	v_add_nc_u32_e32 v2, v2, v89
	s_delay_alu instid0(VALU_DEP_1) | instskip(NEXT) | instid1(VALU_DEP_1)
	v_lshlrev_b64 v[38:39], 3, v[2:3]
	v_add_co_u32 v38, vcc_lo, s54, v38
	s_delay_alu instid0(VALU_DEP_2)
	v_add_co_ci_u32_e32 v39, vcc_lo, s55, v39, vcc_lo
	s_waitcnt lgkmcnt(0)
	global_store_b64 v[38:39], v[36:37], off
	s_or_b32 exec_lo, exec_lo, s17
	s_and_saveexec_b32 s17, s27
	s_cbranch_execnz .LBB844_601
.LBB844_586:                            ;   in Loop: Header=BB844_400 Depth=2
	s_or_b32 exec_lo, exec_lo, s17
	s_and_saveexec_b32 s17, s28
	s_cbranch_execz .LBB844_602
.LBB844_587:                            ;   in Loop: Header=BB844_400 Depth=2
	v_lshlrev_b32_e32 v2, 2, v164
	ds_load_b32 v2, v2
	ds_load_b64 v[36:37], v110 offset:24576
	s_waitcnt lgkmcnt(1)
	v_add_nc_u32_e32 v2, v2, v91
	s_delay_alu instid0(VALU_DEP_1) | instskip(NEXT) | instid1(VALU_DEP_1)
	v_lshlrev_b64 v[38:39], 3, v[2:3]
	v_add_co_u32 v38, vcc_lo, s54, v38
	s_delay_alu instid0(VALU_DEP_2)
	v_add_co_ci_u32_e32 v39, vcc_lo, s55, v39, vcc_lo
	s_waitcnt lgkmcnt(0)
	global_store_b64 v[38:39], v[36:37], off
	s_or_b32 exec_lo, exec_lo, s17
	s_and_saveexec_b32 s17, s29
	s_cbranch_execnz .LBB844_603
.LBB844_588:                            ;   in Loop: Header=BB844_400 Depth=2
	s_or_b32 exec_lo, exec_lo, s17
	s_and_saveexec_b32 s17, s30
	s_cbranch_execz .LBB844_604
.LBB844_589:                            ;   in Loop: Header=BB844_400 Depth=2
	v_lshlrev_b32_e32 v2, 2, v162
	ds_load_b32 v2, v2
	ds_load_b64 v[36:37], v110 offset:28672
	s_waitcnt lgkmcnt(1)
	v_add_nc_u32_e32 v2, v2, v93
	s_delay_alu instid0(VALU_DEP_1) | instskip(NEXT) | instid1(VALU_DEP_1)
	v_lshlrev_b64 v[38:39], 3, v[2:3]
	v_add_co_u32 v38, vcc_lo, s54, v38
	s_delay_alu instid0(VALU_DEP_2)
	v_add_co_ci_u32_e32 v39, vcc_lo, s55, v39, vcc_lo
	s_waitcnt lgkmcnt(0)
	global_store_b64 v[38:39], v[36:37], off
	s_or_b32 exec_lo, exec_lo, s17
	s_and_saveexec_b32 s17, s31
	s_cbranch_execnz .LBB844_605
	s_branch .LBB844_606
.LBB844_590:                            ;   in Loop: Header=BB844_400 Depth=2
	s_or_b32 exec_lo, exec_lo, s33
	s_and_saveexec_b32 s33, s17
	s_cbranch_execz .LBB844_576
.LBB844_591:                            ;   in Loop: Header=BB844_400 Depth=2
	v_lshlrev_b32_e32 v2, 2, v175
	ds_load_b32 v2, v2
	ds_load_b64 v[36:37], v110 offset:2048
	s_waitcnt lgkmcnt(1)
	v_add_nc_u32_e32 v2, v2, v77
	s_delay_alu instid0(VALU_DEP_1) | instskip(NEXT) | instid1(VALU_DEP_1)
	v_lshlrev_b64 v[38:39], 3, v[2:3]
	v_add_co_u32 v38, vcc_lo, s54, v38
	s_delay_alu instid0(VALU_DEP_2)
	v_add_co_ci_u32_e32 v39, vcc_lo, s55, v39, vcc_lo
	s_waitcnt lgkmcnt(0)
	global_store_b64 v[38:39], v[36:37], off
	s_or_b32 exec_lo, exec_lo, s33
	s_and_saveexec_b32 s17, s18
	s_cbranch_execnz .LBB844_577
.LBB844_592:                            ;   in Loop: Header=BB844_400 Depth=2
	s_or_b32 exec_lo, exec_lo, s17
	s_and_saveexec_b32 s17, s19
	s_cbranch_execz .LBB844_578
.LBB844_593:                            ;   in Loop: Header=BB844_400 Depth=2
	v_lshlrev_b32_e32 v2, 2, v173
	ds_load_b32 v2, v2
	ds_load_b64 v[36:37], v110 offset:6144
	s_waitcnt lgkmcnt(1)
	v_add_nc_u32_e32 v2, v2, v79
	s_delay_alu instid0(VALU_DEP_1) | instskip(NEXT) | instid1(VALU_DEP_1)
	v_lshlrev_b64 v[38:39], 3, v[2:3]
	v_add_co_u32 v38, vcc_lo, s54, v38
	s_delay_alu instid0(VALU_DEP_2)
	v_add_co_ci_u32_e32 v39, vcc_lo, s55, v39, vcc_lo
	s_waitcnt lgkmcnt(0)
	global_store_b64 v[38:39], v[36:37], off
	s_or_b32 exec_lo, exec_lo, s17
	s_and_saveexec_b32 s17, s20
	s_cbranch_execnz .LBB844_579
.LBB844_594:                            ;   in Loop: Header=BB844_400 Depth=2
	s_or_b32 exec_lo, exec_lo, s17
	s_and_saveexec_b32 s17, s21
	s_cbranch_execz .LBB844_580
.LBB844_595:                            ;   in Loop: Header=BB844_400 Depth=2
	v_lshlrev_b32_e32 v2, 2, v171
	ds_load_b32 v2, v2
	ds_load_b64 v[36:37], v110 offset:10240
	s_waitcnt lgkmcnt(1)
	v_add_nc_u32_e32 v2, v2, v84
	s_delay_alu instid0(VALU_DEP_1) | instskip(NEXT) | instid1(VALU_DEP_1)
	v_lshlrev_b64 v[38:39], 3, v[2:3]
	v_add_co_u32 v38, vcc_lo, s54, v38
	s_delay_alu instid0(VALU_DEP_2)
	v_add_co_ci_u32_e32 v39, vcc_lo, s55, v39, vcc_lo
	s_waitcnt lgkmcnt(0)
	global_store_b64 v[38:39], v[36:37], off
	s_or_b32 exec_lo, exec_lo, s17
	s_and_saveexec_b32 s17, s22
	s_cbranch_execnz .LBB844_581
.LBB844_596:                            ;   in Loop: Header=BB844_400 Depth=2
	s_or_b32 exec_lo, exec_lo, s17
	s_and_saveexec_b32 s17, s23
	s_cbranch_execz .LBB844_582
.LBB844_597:                            ;   in Loop: Header=BB844_400 Depth=2
	v_lshlrev_b32_e32 v2, 2, v169
	ds_load_b32 v2, v2
	ds_load_b64 v[36:37], v110 offset:14336
	s_waitcnt lgkmcnt(1)
	v_add_nc_u32_e32 v2, v2, v86
	s_delay_alu instid0(VALU_DEP_1) | instskip(NEXT) | instid1(VALU_DEP_1)
	v_lshlrev_b64 v[38:39], 3, v[2:3]
	v_add_co_u32 v38, vcc_lo, s54, v38
	s_delay_alu instid0(VALU_DEP_2)
	v_add_co_ci_u32_e32 v39, vcc_lo, s55, v39, vcc_lo
	s_waitcnt lgkmcnt(0)
	global_store_b64 v[38:39], v[36:37], off
	s_or_b32 exec_lo, exec_lo, s17
	s_and_saveexec_b32 s17, s24
	s_cbranch_execnz .LBB844_583
.LBB844_598:                            ;   in Loop: Header=BB844_400 Depth=2
	s_or_b32 exec_lo, exec_lo, s17
	s_and_saveexec_b32 s17, s25
	s_cbranch_execz .LBB844_584
.LBB844_599:                            ;   in Loop: Header=BB844_400 Depth=2
	v_lshlrev_b32_e32 v2, 2, v167
	ds_load_b32 v2, v2
	ds_load_b64 v[36:37], v110 offset:18432
	s_waitcnt lgkmcnt(1)
	v_add_nc_u32_e32 v2, v2, v88
	s_delay_alu instid0(VALU_DEP_1) | instskip(NEXT) | instid1(VALU_DEP_1)
	v_lshlrev_b64 v[38:39], 3, v[2:3]
	v_add_co_u32 v38, vcc_lo, s54, v38
	s_delay_alu instid0(VALU_DEP_2)
	v_add_co_ci_u32_e32 v39, vcc_lo, s55, v39, vcc_lo
	s_waitcnt lgkmcnt(0)
	global_store_b64 v[38:39], v[36:37], off
	s_or_b32 exec_lo, exec_lo, s17
	s_and_saveexec_b32 s17, s26
	s_cbranch_execnz .LBB844_585
.LBB844_600:                            ;   in Loop: Header=BB844_400 Depth=2
	s_or_b32 exec_lo, exec_lo, s17
	s_and_saveexec_b32 s17, s27
	s_cbranch_execz .LBB844_586
.LBB844_601:                            ;   in Loop: Header=BB844_400 Depth=2
	v_lshlrev_b32_e32 v2, 2, v165
	ds_load_b32 v2, v2
	ds_load_b64 v[36:37], v110 offset:22528
	s_waitcnt lgkmcnt(1)
	v_add_nc_u32_e32 v2, v2, v90
	s_delay_alu instid0(VALU_DEP_1) | instskip(NEXT) | instid1(VALU_DEP_1)
	v_lshlrev_b64 v[38:39], 3, v[2:3]
	v_add_co_u32 v38, vcc_lo, s54, v38
	s_delay_alu instid0(VALU_DEP_2)
	v_add_co_ci_u32_e32 v39, vcc_lo, s55, v39, vcc_lo
	s_waitcnt lgkmcnt(0)
	global_store_b64 v[38:39], v[36:37], off
	s_or_b32 exec_lo, exec_lo, s17
	s_and_saveexec_b32 s17, s28
	s_cbranch_execnz .LBB844_587
.LBB844_602:                            ;   in Loop: Header=BB844_400 Depth=2
	s_or_b32 exec_lo, exec_lo, s17
	s_and_saveexec_b32 s17, s29
	s_cbranch_execz .LBB844_588
.LBB844_603:                            ;   in Loop: Header=BB844_400 Depth=2
	v_lshlrev_b32_e32 v2, 2, v163
	ds_load_b32 v2, v2
	ds_load_b64 v[36:37], v110 offset:26624
	s_waitcnt lgkmcnt(1)
	v_add_nc_u32_e32 v2, v2, v92
	s_delay_alu instid0(VALU_DEP_1) | instskip(NEXT) | instid1(VALU_DEP_1)
	v_lshlrev_b64 v[38:39], 3, v[2:3]
	v_add_co_u32 v38, vcc_lo, s54, v38
	s_delay_alu instid0(VALU_DEP_2)
	v_add_co_ci_u32_e32 v39, vcc_lo, s55, v39, vcc_lo
	s_waitcnt lgkmcnt(0)
	global_store_b64 v[38:39], v[36:37], off
	s_or_b32 exec_lo, exec_lo, s17
	s_and_saveexec_b32 s17, s30
	s_cbranch_execnz .LBB844_589
.LBB844_604:                            ;   in Loop: Header=BB844_400 Depth=2
	s_or_b32 exec_lo, exec_lo, s17
	s_and_saveexec_b32 s17, s31
	s_cbranch_execz .LBB844_606
.LBB844_605:                            ;   in Loop: Header=BB844_400 Depth=2
	v_lshlrev_b32_e32 v2, 2, v161
	ds_load_b32 v2, v2
	ds_load_b64 v[36:37], v110 offset:30720
	s_waitcnt lgkmcnt(1)
	v_add_nc_u32_e32 v2, v2, v95
	s_delay_alu instid0(VALU_DEP_1) | instskip(NEXT) | instid1(VALU_DEP_1)
	v_lshlrev_b64 v[38:39], 3, v[2:3]
	v_add_co_u32 v38, vcc_lo, s54, v38
	s_delay_alu instid0(VALU_DEP_2)
	v_add_co_ci_u32_e32 v39, vcc_lo, s55, v39, vcc_lo
	s_waitcnt lgkmcnt(0)
	global_store_b64 v[38:39], v[36:37], off
.LBB844_606:                            ;   in Loop: Header=BB844_400 Depth=2
	s_or_b32 exec_lo, exec_lo, s17
	s_waitcnt_vscnt null, 0x0
	s_barrier
	buffer_gl0_inv
	s_and_saveexec_b32 s17, s2
	s_cbranch_execz .LBB844_399
; %bb.607:                              ;   in Loop: Header=BB844_400 Depth=2
	ds_load_b32 v2, v76
	s_waitcnt lgkmcnt(0)
	v_add_nc_u32_e32 v2, v2, v68
	ds_store_b32 v76, v2
	s_branch .LBB844_399
.LBB844_608:                            ;   in Loop: Header=BB844_20 Depth=1
	s_waitcnt lgkmcnt(0)
	s_barrier
.LBB844_609:                            ;   in Loop: Header=BB844_20 Depth=1
	s_mov_b32 s1, 0
.LBB844_610:                            ;   in Loop: Header=BB844_20 Depth=1
	s_delay_alu instid0(SALU_CYCLE_1)
	s_and_not1_b32 vcc_lo, exec_lo, s1
	s_cbranch_vccnz .LBB844_19
; %bb.611:                              ;   in Loop: Header=BB844_20 Depth=1
	s_lshl_b32 s1, -1, s42
	s_and_b32 vcc_lo, exec_lo, s59
	s_not_b32 s42, s1
	s_mov_b32 s1, -1
	s_cbranch_vccz .LBB844_905
; %bb.612:                              ;   in Loop: Header=BB844_20 Depth=1
	s_mov_b32 s1, s62
	s_mov_b32 s34, s60
	s_barrier
	buffer_gl0_inv
                                        ; implicit-def: $vgpr34_vgpr35
                                        ; implicit-def: $vgpr4_vgpr5
                                        ; implicit-def: $vgpr6_vgpr7
                                        ; implicit-def: $vgpr8_vgpr9
                                        ; implicit-def: $vgpr10_vgpr11
                                        ; implicit-def: $vgpr12_vgpr13
                                        ; implicit-def: $vgpr14_vgpr15
                                        ; implicit-def: $vgpr16_vgpr17
                                        ; implicit-def: $vgpr18_vgpr19
                                        ; implicit-def: $vgpr20_vgpr21
                                        ; implicit-def: $vgpr22_vgpr23
                                        ; implicit-def: $vgpr24_vgpr25
                                        ; implicit-def: $vgpr26_vgpr27
                                        ; implicit-def: $vgpr28_vgpr29
                                        ; implicit-def: $vgpr30_vgpr31
                                        ; implicit-def: $vgpr32_vgpr33
	s_branch .LBB844_614
.LBB844_613:                            ;   in Loop: Header=BB844_614 Depth=2
	s_or_b32 exec_lo, exec_lo, s8
	s_addk_i32 s1, 0xf000
	s_cmp_ge_u32 s7, s61
	s_mov_b32 s34, s7
	s_cbranch_scc1 .LBB844_684
.LBB844_614:                            ;   Parent Loop BB844_20 Depth=1
                                        ; =>  This Inner Loop Header: Depth=2
	s_add_i32 s7, s34, 0x1000
	s_delay_alu instid0(SALU_CYCLE_1)
	s_cmp_gt_u32 s7, s61
	s_cbranch_scc1 .LBB844_617
; %bb.615:                              ;   in Loop: Header=BB844_614 Depth=2
	s_mov_b32 s9, 0
	s_mov_b32 s8, s34
	s_delay_alu instid0(SALU_CYCLE_1) | instskip(NEXT) | instid1(SALU_CYCLE_1)
	s_lshl_b64 s[10:11], s[8:9], 3
	v_add_co_u32 v36, vcc_lo, v117, s10
	v_add_co_ci_u32_e32 v37, vcc_lo, s11, v118, vcc_lo
	s_movk_i32 s11, 0x1000
	s_waitcnt vmcnt(12)
	s_delay_alu instid0(VALU_DEP_2) | instskip(NEXT) | instid1(VALU_DEP_2)
	v_add_co_u32 v42, vcc_lo, 0x1000, v36
	v_add_co_ci_u32_e32 v43, vcc_lo, 0, v37, vcc_lo
	s_waitcnt vmcnt(11)
	v_add_co_u32 v44, vcc_lo, 0x2000, v36
	v_add_co_ci_u32_e32 v45, vcc_lo, 0, v37, vcc_lo
	s_waitcnt vmcnt(1)
	v_add_co_u32 v50, vcc_lo, v36, 0x2000
	v_add_co_ci_u32_e32 v51, vcc_lo, 0, v37, vcc_lo
	v_add_co_u32 v52, vcc_lo, v36, 0x4000
	v_add_co_ci_u32_e32 v53, vcc_lo, 0, v37, vcc_lo
	;; [unrolled: 2-line block ×7, first 2 shown]
	s_waitcnt vmcnt(0)
	v_add_co_u32 v66, vcc_lo, 0x7000, v36
	v_add_co_ci_u32_e32 v67, vcc_lo, 0, v37, vcc_lo
	s_clause 0xe
	global_load_b64 v[38:39], v[36:37], off
	global_load_b64 v[40:41], v[36:37], off offset:2048
	global_load_b64 v[42:43], v[42:43], off offset:2048
	;; [unrolled: 1-line block ×3, first 2 shown]
	global_load_b64 v[46:47], v[50:51], off
	global_load_b64 v[48:49], v[52:53], off offset:-4096
	global_load_b64 v[52:53], v[52:53], off
	global_load_b64 v[56:57], v[60:61], off offset:-4096
	global_load_b64 v[60:61], v[60:61], off
	global_load_b64 v[54:55], v[54:55], off offset:2048
	global_load_b64 v[58:59], v[58:59], off offset:2048
	global_load_b64 v[62:63], v[62:63], off offset:2048
	global_load_b64 v[64:65], v[64:65], off offset:2048
	global_load_b64 v[50:51], v[50:51], off offset:-4096
	global_load_b64 v[66:67], v[66:67], off
	v_add_co_u32 v36, vcc_lo, 0x7800, v36
	v_add_co_ci_u32_e32 v37, vcc_lo, 0, v37, vcc_lo
	s_mov_b32 s10, -1
	s_cbranch_execz .LBB844_618
; %bb.616:                              ;   in Loop: Header=BB844_614 Depth=2
                                        ; implicit-def: $vgpr32_vgpr33
                                        ; implicit-def: $vgpr30_vgpr31
                                        ; implicit-def: $vgpr28_vgpr29
                                        ; implicit-def: $vgpr26_vgpr27
                                        ; implicit-def: $vgpr24_vgpr25
                                        ; implicit-def: $vgpr22_vgpr23
                                        ; implicit-def: $vgpr20_vgpr21
                                        ; implicit-def: $vgpr18_vgpr19
                                        ; implicit-def: $vgpr16_vgpr17
                                        ; implicit-def: $vgpr14_vgpr15
                                        ; implicit-def: $vgpr12_vgpr13
                                        ; implicit-def: $vgpr10_vgpr11
                                        ; implicit-def: $vgpr8_vgpr9
                                        ; implicit-def: $vgpr6_vgpr7
                                        ; implicit-def: $vgpr4_vgpr5
                                        ; implicit-def: $vgpr34_vgpr35
	v_mov_b32_e32 v2, s1
	s_and_saveexec_b32 s8, s10
	s_cbranch_execnz .LBB844_637
	s_branch .LBB844_638
.LBB844_617:                            ;   in Loop: Header=BB844_614 Depth=2
	s_mov_b32 s10, 0
                                        ; implicit-def: $sgpr11
                                        ; implicit-def: $vgpr38_vgpr39
                                        ; implicit-def: $vgpr40_vgpr41
                                        ; implicit-def: $vgpr50_vgpr51
                                        ; implicit-def: $vgpr42_vgpr43
                                        ; implicit-def: $vgpr46_vgpr47
                                        ; implicit-def: $vgpr44_vgpr45
                                        ; implicit-def: $vgpr48_vgpr49
                                        ; implicit-def: $vgpr54_vgpr55
                                        ; implicit-def: $vgpr52_vgpr53
                                        ; implicit-def: $vgpr58_vgpr59
                                        ; implicit-def: $vgpr56_vgpr57
                                        ; implicit-def: $vgpr62_vgpr63
                                        ; implicit-def: $vgpr60_vgpr61
                                        ; implicit-def: $vgpr64_vgpr65
                                        ; implicit-def: $vgpr66_vgpr67
                                        ; implicit-def: $vgpr36_vgpr37
.LBB844_618:                            ;   in Loop: Header=BB844_614 Depth=2
	s_lshl_b64 s[8:9], s[34:35], 3
	s_mov_b32 s11, exec_lo
	s_add_u32 s8, s44, s8
	s_addc_u32 s9, s45, s9
	v_cmpx_gt_u32_e64 s1, v1
	s_cbranch_execz .LBB844_670
; %bb.619:                              ;   in Loop: Header=BB844_614 Depth=2
	global_load_b64 v[32:33], v124, s[8:9]
	s_or_b32 exec_lo, exec_lo, s11
	s_delay_alu instid0(SALU_CYCLE_1)
	s_mov_b32 s11, exec_lo
	v_cmpx_gt_u32_e64 s1, v77
	s_cbranch_execnz .LBB844_671
.LBB844_620:                            ;   in Loop: Header=BB844_614 Depth=2
	s_or_b32 exec_lo, exec_lo, s11
	s_delay_alu instid0(SALU_CYCLE_1)
	s_mov_b32 s11, exec_lo
	v_cmpx_gt_u32_e64 s1, v78
	s_cbranch_execz .LBB844_672
.LBB844_621:                            ;   in Loop: Header=BB844_614 Depth=2
	global_load_b64 v[28:29], v125, s[8:9]
	s_or_b32 exec_lo, exec_lo, s11
	s_delay_alu instid0(SALU_CYCLE_1)
	s_mov_b32 s11, exec_lo
	v_cmpx_gt_u32_e64 s1, v79
	s_cbranch_execnz .LBB844_673
.LBB844_622:                            ;   in Loop: Header=BB844_614 Depth=2
	s_or_b32 exec_lo, exec_lo, s11
	s_delay_alu instid0(SALU_CYCLE_1)
	s_mov_b32 s11, exec_lo
	v_cmpx_gt_u32_e64 s1, v83
	s_cbranch_execz .LBB844_674
.LBB844_623:                            ;   in Loop: Header=BB844_614 Depth=2
	global_load_b64 v[24:25], v127, s[8:9]
	s_or_b32 exec_lo, exec_lo, s11
	s_delay_alu instid0(SALU_CYCLE_1)
	s_mov_b32 s11, exec_lo
	v_cmpx_gt_u32_e64 s1, v84
	s_cbranch_execnz .LBB844_675
.LBB844_624:                            ;   in Loop: Header=BB844_614 Depth=2
	s_or_b32 exec_lo, exec_lo, s11
	s_delay_alu instid0(SALU_CYCLE_1)
	s_mov_b32 s11, exec_lo
	v_cmpx_gt_u32_e64 s1, v85
	s_cbranch_execz .LBB844_676
.LBB844_625:                            ;   in Loop: Header=BB844_614 Depth=2
	global_load_b64 v[20:21], v129, s[8:9]
	s_or_b32 exec_lo, exec_lo, s11
	s_delay_alu instid0(SALU_CYCLE_1)
	s_mov_b32 s11, exec_lo
	v_cmpx_gt_u32_e64 s1, v86
	s_cbranch_execnz .LBB844_677
.LBB844_626:                            ;   in Loop: Header=BB844_614 Depth=2
	s_or_b32 exec_lo, exec_lo, s11
	s_delay_alu instid0(SALU_CYCLE_1)
	s_mov_b32 s11, exec_lo
	v_cmpx_gt_u32_e64 s1, v87
	s_cbranch_execz .LBB844_678
.LBB844_627:                            ;   in Loop: Header=BB844_614 Depth=2
	global_load_b64 v[16:17], v131, s[8:9]
	s_or_b32 exec_lo, exec_lo, s11
	s_delay_alu instid0(SALU_CYCLE_1)
	s_mov_b32 s11, exec_lo
	v_cmpx_gt_u32_e64 s1, v88
	s_cbranch_execnz .LBB844_679
.LBB844_628:                            ;   in Loop: Header=BB844_614 Depth=2
	s_or_b32 exec_lo, exec_lo, s11
	s_delay_alu instid0(SALU_CYCLE_1)
	s_mov_b32 s11, exec_lo
	v_cmpx_gt_u32_e64 s1, v89
	s_cbranch_execz .LBB844_680
.LBB844_629:                            ;   in Loop: Header=BB844_614 Depth=2
	global_load_b64 v[12:13], v133, s[8:9]
	s_or_b32 exec_lo, exec_lo, s11
	s_delay_alu instid0(SALU_CYCLE_1)
	s_mov_b32 s11, exec_lo
	v_cmpx_gt_u32_e64 s1, v90
	s_cbranch_execnz .LBB844_681
.LBB844_630:                            ;   in Loop: Header=BB844_614 Depth=2
	s_or_b32 exec_lo, exec_lo, s11
	s_delay_alu instid0(SALU_CYCLE_1)
	s_mov_b32 s11, exec_lo
	v_cmpx_gt_u32_e64 s1, v91
	s_cbranch_execz .LBB844_682
.LBB844_631:                            ;   in Loop: Header=BB844_614 Depth=2
	global_load_b64 v[8:9], v135, s[8:9]
	s_or_b32 exec_lo, exec_lo, s11
	s_delay_alu instid0(SALU_CYCLE_1)
	s_mov_b32 s11, exec_lo
	v_cmpx_gt_u32_e64 s1, v92
	s_cbranch_execnz .LBB844_683
.LBB844_632:                            ;   in Loop: Header=BB844_614 Depth=2
	s_or_b32 exec_lo, exec_lo, s11
	s_delay_alu instid0(SALU_CYCLE_1)
	s_mov_b32 s11, exec_lo
	v_cmpx_gt_u32_e64 s1, v93
	s_cbranch_execz .LBB844_634
.LBB844_633:                            ;   in Loop: Header=BB844_614 Depth=2
	v_lshlrev_b32_e32 v2, 3, v93
	global_load_b64 v[4:5], v2, s[8:9]
.LBB844_634:                            ;   in Loop: Header=BB844_614 Depth=2
	s_or_b32 exec_lo, exec_lo, s11
	s_delay_alu instid0(SALU_CYCLE_1)
	s_mov_b32 s12, exec_lo
                                        ; implicit-def: $sgpr11
                                        ; implicit-def: $vgpr36_vgpr37
	v_cmpx_gt_u32_e64 s1, v95
; %bb.635:                              ;   in Loop: Header=BB844_614 Depth=2
	v_lshlrev_b32_e32 v2, 3, v95
	s_sub_i32 s11, s61, s34
	s_or_b32 s10, s10, exec_lo
                                        ; implicit-def: $vgpr34_vgpr35
	s_delay_alu instid0(VALU_DEP_1) | instskip(NEXT) | instid1(VALU_DEP_1)
	v_add_co_u32 v36, s8, s8, v2
	v_add_co_ci_u32_e64 v37, null, s9, 0, s8
; %bb.636:                              ;   in Loop: Header=BB844_614 Depth=2
	s_or_b32 exec_lo, exec_lo, s12
	s_waitcnt vmcnt(0)
	v_dual_mov_b32 v39, v33 :: v_dual_mov_b32 v38, v32
	v_dual_mov_b32 v41, v31 :: v_dual_mov_b32 v40, v30
	;; [unrolled: 1-line block ×15, first 2 shown]
	v_mov_b32_e32 v2, s1
	s_and_saveexec_b32 s8, s10
	s_cbranch_execz .LBB844_638
.LBB844_637:                            ;   in Loop: Header=BB844_614 Depth=2
	global_load_b64 v[34:35], v[36:37], off
	s_waitcnt vmcnt(1)
	v_mov_b32_e32 v4, v66
	v_mov_b32_e32 v6, v64
	;; [unrolled: 1-line block ×14, first 2 shown]
	v_dual_mov_b32 v32, v38 :: v_dual_mov_b32 v33, v39
	v_dual_mov_b32 v2, s11 :: v_dual_mov_b32 v5, v67
	v_mov_b32_e32 v7, v65
	v_mov_b32_e32 v9, v61
	;; [unrolled: 1-line block ×13, first 2 shown]
.LBB844_638:                            ;   in Loop: Header=BB844_614 Depth=2
	s_or_b32 exec_lo, exec_lo, s8
	s_delay_alu instid0(SALU_CYCLE_1)
	s_mov_b32 s8, exec_lo
	v_cmpx_lt_u32_e64 v1, v2
	s_cbranch_execz .LBB844_654
; %bb.639:                              ;   in Loop: Header=BB844_614 Depth=2
	v_xor_b32_e32 v37, 0x80000000, v33
	v_mov_b32_e32 v36, v32
	s_delay_alu instid0(VALU_DEP_1) | instskip(SKIP_1) | instid1(VALU_DEP_2)
	v_lshrrev_b64 v[36:37], s40, v[36:37]
	v_lshlrev_b32_e32 v37, 2, v80
	v_and_b32_e32 v36, s42, v36
	s_delay_alu instid0(VALU_DEP_1) | instskip(SKIP_2) | instid1(SALU_CYCLE_1)
	v_lshl_or_b32 v36, v36, 4, v37
	ds_add_u32 v36, v123
	s_or_b32 exec_lo, exec_lo, s8
	s_mov_b32 s8, exec_lo
	v_cmpx_lt_u32_e64 v77, v2
	s_cbranch_execnz .LBB844_655
.LBB844_640:                            ;   in Loop: Header=BB844_614 Depth=2
	s_or_b32 exec_lo, exec_lo, s8
	s_delay_alu instid0(SALU_CYCLE_1)
	s_mov_b32 s8, exec_lo
	v_cmpx_lt_u32_e64 v78, v2
	s_cbranch_execz .LBB844_656
.LBB844_641:                            ;   in Loop: Header=BB844_614 Depth=2
	v_xor_b32_e32 v37, 0x80000000, v29
	v_mov_b32_e32 v36, v28
	s_delay_alu instid0(VALU_DEP_1) | instskip(SKIP_1) | instid1(VALU_DEP_2)
	v_lshrrev_b64 v[36:37], s40, v[36:37]
	v_lshlrev_b32_e32 v37, 2, v80
	v_and_b32_e32 v36, s42, v36
	s_delay_alu instid0(VALU_DEP_1) | instskip(SKIP_2) | instid1(SALU_CYCLE_1)
	v_lshl_or_b32 v36, v36, 4, v37
	ds_add_u32 v36, v123
	s_or_b32 exec_lo, exec_lo, s8
	s_mov_b32 s8, exec_lo
	v_cmpx_lt_u32_e64 v79, v2
	s_cbranch_execnz .LBB844_657
.LBB844_642:                            ;   in Loop: Header=BB844_614 Depth=2
	s_or_b32 exec_lo, exec_lo, s8
	s_delay_alu instid0(SALU_CYCLE_1)
	s_mov_b32 s8, exec_lo
	v_cmpx_lt_u32_e64 v83, v2
	s_cbranch_execz .LBB844_658
.LBB844_643:                            ;   in Loop: Header=BB844_614 Depth=2
	v_xor_b32_e32 v37, 0x80000000, v25
	v_mov_b32_e32 v36, v24
	s_delay_alu instid0(VALU_DEP_1) | instskip(SKIP_1) | instid1(VALU_DEP_2)
	v_lshrrev_b64 v[36:37], s40, v[36:37]
	v_lshlrev_b32_e32 v37, 2, v80
	v_and_b32_e32 v36, s42, v36
	s_delay_alu instid0(VALU_DEP_1) | instskip(SKIP_2) | instid1(SALU_CYCLE_1)
	v_lshl_or_b32 v36, v36, 4, v37
	ds_add_u32 v36, v123
	s_or_b32 exec_lo, exec_lo, s8
	s_mov_b32 s8, exec_lo
	v_cmpx_lt_u32_e64 v84, v2
	s_cbranch_execnz .LBB844_659
.LBB844_644:                            ;   in Loop: Header=BB844_614 Depth=2
	s_or_b32 exec_lo, exec_lo, s8
	s_delay_alu instid0(SALU_CYCLE_1)
	s_mov_b32 s8, exec_lo
	v_cmpx_lt_u32_e64 v85, v2
	s_cbranch_execz .LBB844_660
.LBB844_645:                            ;   in Loop: Header=BB844_614 Depth=2
	v_xor_b32_e32 v37, 0x80000000, v21
	v_mov_b32_e32 v36, v20
	s_delay_alu instid0(VALU_DEP_1) | instskip(SKIP_1) | instid1(VALU_DEP_2)
	v_lshrrev_b64 v[36:37], s40, v[36:37]
	v_lshlrev_b32_e32 v37, 2, v80
	v_and_b32_e32 v36, s42, v36
	s_delay_alu instid0(VALU_DEP_1) | instskip(SKIP_2) | instid1(SALU_CYCLE_1)
	v_lshl_or_b32 v36, v36, 4, v37
	ds_add_u32 v36, v123
	s_or_b32 exec_lo, exec_lo, s8
	s_mov_b32 s8, exec_lo
	v_cmpx_lt_u32_e64 v86, v2
	s_cbranch_execnz .LBB844_661
.LBB844_646:                            ;   in Loop: Header=BB844_614 Depth=2
	s_or_b32 exec_lo, exec_lo, s8
	s_delay_alu instid0(SALU_CYCLE_1)
	s_mov_b32 s8, exec_lo
	v_cmpx_lt_u32_e64 v87, v2
	s_cbranch_execz .LBB844_662
.LBB844_647:                            ;   in Loop: Header=BB844_614 Depth=2
	v_xor_b32_e32 v37, 0x80000000, v17
	v_mov_b32_e32 v36, v16
	s_delay_alu instid0(VALU_DEP_1) | instskip(SKIP_1) | instid1(VALU_DEP_2)
	v_lshrrev_b64 v[36:37], s40, v[36:37]
	v_lshlrev_b32_e32 v37, 2, v80
	v_and_b32_e32 v36, s42, v36
	s_delay_alu instid0(VALU_DEP_1) | instskip(SKIP_2) | instid1(SALU_CYCLE_1)
	v_lshl_or_b32 v36, v36, 4, v37
	ds_add_u32 v36, v123
	s_or_b32 exec_lo, exec_lo, s8
	s_mov_b32 s8, exec_lo
	v_cmpx_lt_u32_e64 v88, v2
	s_cbranch_execnz .LBB844_663
.LBB844_648:                            ;   in Loop: Header=BB844_614 Depth=2
	s_or_b32 exec_lo, exec_lo, s8
	s_delay_alu instid0(SALU_CYCLE_1)
	s_mov_b32 s8, exec_lo
	v_cmpx_lt_u32_e64 v89, v2
	s_cbranch_execz .LBB844_664
.LBB844_649:                            ;   in Loop: Header=BB844_614 Depth=2
	v_xor_b32_e32 v37, 0x80000000, v13
	v_mov_b32_e32 v36, v12
	s_delay_alu instid0(VALU_DEP_1) | instskip(SKIP_1) | instid1(VALU_DEP_2)
	v_lshrrev_b64 v[36:37], s40, v[36:37]
	v_lshlrev_b32_e32 v37, 2, v80
	v_and_b32_e32 v36, s42, v36
	s_delay_alu instid0(VALU_DEP_1) | instskip(SKIP_2) | instid1(SALU_CYCLE_1)
	v_lshl_or_b32 v36, v36, 4, v37
	ds_add_u32 v36, v123
	s_or_b32 exec_lo, exec_lo, s8
	s_mov_b32 s8, exec_lo
	v_cmpx_lt_u32_e64 v90, v2
	s_cbranch_execnz .LBB844_665
.LBB844_650:                            ;   in Loop: Header=BB844_614 Depth=2
	s_or_b32 exec_lo, exec_lo, s8
	s_delay_alu instid0(SALU_CYCLE_1)
	s_mov_b32 s8, exec_lo
	v_cmpx_lt_u32_e64 v91, v2
	s_cbranch_execz .LBB844_666
.LBB844_651:                            ;   in Loop: Header=BB844_614 Depth=2
	v_xor_b32_e32 v37, 0x80000000, v9
	v_mov_b32_e32 v36, v8
	s_delay_alu instid0(VALU_DEP_1) | instskip(SKIP_1) | instid1(VALU_DEP_2)
	v_lshrrev_b64 v[36:37], s40, v[36:37]
	v_lshlrev_b32_e32 v37, 2, v80
	v_and_b32_e32 v36, s42, v36
	s_delay_alu instid0(VALU_DEP_1) | instskip(SKIP_2) | instid1(SALU_CYCLE_1)
	v_lshl_or_b32 v36, v36, 4, v37
	ds_add_u32 v36, v123
	s_or_b32 exec_lo, exec_lo, s8
	s_mov_b32 s8, exec_lo
	v_cmpx_lt_u32_e64 v92, v2
	s_cbranch_execnz .LBB844_667
.LBB844_652:                            ;   in Loop: Header=BB844_614 Depth=2
	s_or_b32 exec_lo, exec_lo, s8
	s_delay_alu instid0(SALU_CYCLE_1)
	s_mov_b32 s8, exec_lo
	v_cmpx_lt_u32_e64 v93, v2
	s_cbranch_execz .LBB844_668
.LBB844_653:                            ;   in Loop: Header=BB844_614 Depth=2
	v_xor_b32_e32 v37, 0x80000000, v5
	v_mov_b32_e32 v36, v4
	s_delay_alu instid0(VALU_DEP_1) | instskip(SKIP_1) | instid1(VALU_DEP_2)
	v_lshrrev_b64 v[36:37], s40, v[36:37]
	v_lshlrev_b32_e32 v37, 2, v80
	v_and_b32_e32 v36, s42, v36
	s_delay_alu instid0(VALU_DEP_1) | instskip(SKIP_2) | instid1(SALU_CYCLE_1)
	v_lshl_or_b32 v36, v36, 4, v37
	ds_add_u32 v36, v123
	s_or_b32 exec_lo, exec_lo, s8
	s_mov_b32 s8, exec_lo
	v_cmpx_lt_u32_e64 v95, v2
	s_cbranch_execz .LBB844_613
	s_branch .LBB844_669
.LBB844_654:                            ;   in Loop: Header=BB844_614 Depth=2
	s_or_b32 exec_lo, exec_lo, s8
	s_delay_alu instid0(SALU_CYCLE_1)
	s_mov_b32 s8, exec_lo
	v_cmpx_lt_u32_e64 v77, v2
	s_cbranch_execz .LBB844_640
.LBB844_655:                            ;   in Loop: Header=BB844_614 Depth=2
	v_xor_b32_e32 v37, 0x80000000, v31
	v_mov_b32_e32 v36, v30
	s_delay_alu instid0(VALU_DEP_1) | instskip(SKIP_1) | instid1(VALU_DEP_2)
	v_lshrrev_b64 v[36:37], s40, v[36:37]
	v_lshlrev_b32_e32 v37, 2, v80
	v_and_b32_e32 v36, s42, v36
	s_delay_alu instid0(VALU_DEP_1) | instskip(SKIP_2) | instid1(SALU_CYCLE_1)
	v_lshl_or_b32 v36, v36, 4, v37
	ds_add_u32 v36, v123
	s_or_b32 exec_lo, exec_lo, s8
	s_mov_b32 s8, exec_lo
	v_cmpx_lt_u32_e64 v78, v2
	s_cbranch_execnz .LBB844_641
.LBB844_656:                            ;   in Loop: Header=BB844_614 Depth=2
	s_or_b32 exec_lo, exec_lo, s8
	s_delay_alu instid0(SALU_CYCLE_1)
	s_mov_b32 s8, exec_lo
	v_cmpx_lt_u32_e64 v79, v2
	s_cbranch_execz .LBB844_642
.LBB844_657:                            ;   in Loop: Header=BB844_614 Depth=2
	v_xor_b32_e32 v37, 0x80000000, v27
	v_mov_b32_e32 v36, v26
	s_delay_alu instid0(VALU_DEP_1) | instskip(SKIP_1) | instid1(VALU_DEP_2)
	v_lshrrev_b64 v[36:37], s40, v[36:37]
	v_lshlrev_b32_e32 v37, 2, v80
	v_and_b32_e32 v36, s42, v36
	s_delay_alu instid0(VALU_DEP_1) | instskip(SKIP_2) | instid1(SALU_CYCLE_1)
	v_lshl_or_b32 v36, v36, 4, v37
	ds_add_u32 v36, v123
	s_or_b32 exec_lo, exec_lo, s8
	s_mov_b32 s8, exec_lo
	v_cmpx_lt_u32_e64 v83, v2
	s_cbranch_execnz .LBB844_643
.LBB844_658:                            ;   in Loop: Header=BB844_614 Depth=2
	s_or_b32 exec_lo, exec_lo, s8
	s_delay_alu instid0(SALU_CYCLE_1)
	s_mov_b32 s8, exec_lo
	v_cmpx_lt_u32_e64 v84, v2
	s_cbranch_execz .LBB844_644
.LBB844_659:                            ;   in Loop: Header=BB844_614 Depth=2
	v_xor_b32_e32 v37, 0x80000000, v23
	v_mov_b32_e32 v36, v22
	s_delay_alu instid0(VALU_DEP_1) | instskip(SKIP_1) | instid1(VALU_DEP_2)
	v_lshrrev_b64 v[36:37], s40, v[36:37]
	v_lshlrev_b32_e32 v37, 2, v80
	v_and_b32_e32 v36, s42, v36
	s_delay_alu instid0(VALU_DEP_1) | instskip(SKIP_2) | instid1(SALU_CYCLE_1)
	v_lshl_or_b32 v36, v36, 4, v37
	ds_add_u32 v36, v123
	s_or_b32 exec_lo, exec_lo, s8
	s_mov_b32 s8, exec_lo
	v_cmpx_lt_u32_e64 v85, v2
	s_cbranch_execnz .LBB844_645
.LBB844_660:                            ;   in Loop: Header=BB844_614 Depth=2
	s_or_b32 exec_lo, exec_lo, s8
	s_delay_alu instid0(SALU_CYCLE_1)
	s_mov_b32 s8, exec_lo
	v_cmpx_lt_u32_e64 v86, v2
	s_cbranch_execz .LBB844_646
.LBB844_661:                            ;   in Loop: Header=BB844_614 Depth=2
	v_xor_b32_e32 v37, 0x80000000, v19
	v_mov_b32_e32 v36, v18
	s_delay_alu instid0(VALU_DEP_1) | instskip(SKIP_1) | instid1(VALU_DEP_2)
	v_lshrrev_b64 v[36:37], s40, v[36:37]
	v_lshlrev_b32_e32 v37, 2, v80
	v_and_b32_e32 v36, s42, v36
	s_delay_alu instid0(VALU_DEP_1) | instskip(SKIP_2) | instid1(SALU_CYCLE_1)
	v_lshl_or_b32 v36, v36, 4, v37
	ds_add_u32 v36, v123
	s_or_b32 exec_lo, exec_lo, s8
	s_mov_b32 s8, exec_lo
	v_cmpx_lt_u32_e64 v87, v2
	s_cbranch_execnz .LBB844_647
.LBB844_662:                            ;   in Loop: Header=BB844_614 Depth=2
	s_or_b32 exec_lo, exec_lo, s8
	s_delay_alu instid0(SALU_CYCLE_1)
	s_mov_b32 s8, exec_lo
	v_cmpx_lt_u32_e64 v88, v2
	s_cbranch_execz .LBB844_648
.LBB844_663:                            ;   in Loop: Header=BB844_614 Depth=2
	v_xor_b32_e32 v37, 0x80000000, v15
	v_mov_b32_e32 v36, v14
	s_delay_alu instid0(VALU_DEP_1) | instskip(SKIP_1) | instid1(VALU_DEP_2)
	v_lshrrev_b64 v[36:37], s40, v[36:37]
	v_lshlrev_b32_e32 v37, 2, v80
	v_and_b32_e32 v36, s42, v36
	s_delay_alu instid0(VALU_DEP_1) | instskip(SKIP_2) | instid1(SALU_CYCLE_1)
	v_lshl_or_b32 v36, v36, 4, v37
	ds_add_u32 v36, v123
	s_or_b32 exec_lo, exec_lo, s8
	s_mov_b32 s8, exec_lo
	v_cmpx_lt_u32_e64 v89, v2
	s_cbranch_execnz .LBB844_649
.LBB844_664:                            ;   in Loop: Header=BB844_614 Depth=2
	s_or_b32 exec_lo, exec_lo, s8
	s_delay_alu instid0(SALU_CYCLE_1)
	s_mov_b32 s8, exec_lo
	v_cmpx_lt_u32_e64 v90, v2
	s_cbranch_execz .LBB844_650
.LBB844_665:                            ;   in Loop: Header=BB844_614 Depth=2
	v_xor_b32_e32 v37, 0x80000000, v11
	v_mov_b32_e32 v36, v10
	s_delay_alu instid0(VALU_DEP_1) | instskip(SKIP_1) | instid1(VALU_DEP_2)
	v_lshrrev_b64 v[36:37], s40, v[36:37]
	v_lshlrev_b32_e32 v37, 2, v80
	v_and_b32_e32 v36, s42, v36
	s_delay_alu instid0(VALU_DEP_1) | instskip(SKIP_2) | instid1(SALU_CYCLE_1)
	v_lshl_or_b32 v36, v36, 4, v37
	ds_add_u32 v36, v123
	s_or_b32 exec_lo, exec_lo, s8
	s_mov_b32 s8, exec_lo
	v_cmpx_lt_u32_e64 v91, v2
	s_cbranch_execnz .LBB844_651
.LBB844_666:                            ;   in Loop: Header=BB844_614 Depth=2
	s_or_b32 exec_lo, exec_lo, s8
	s_delay_alu instid0(SALU_CYCLE_1)
	s_mov_b32 s8, exec_lo
	v_cmpx_lt_u32_e64 v92, v2
	s_cbranch_execz .LBB844_652
.LBB844_667:                            ;   in Loop: Header=BB844_614 Depth=2
	v_xor_b32_e32 v37, 0x80000000, v7
	v_mov_b32_e32 v36, v6
	s_delay_alu instid0(VALU_DEP_1) | instskip(SKIP_1) | instid1(VALU_DEP_2)
	v_lshrrev_b64 v[36:37], s40, v[36:37]
	v_lshlrev_b32_e32 v37, 2, v80
	v_and_b32_e32 v36, s42, v36
	s_delay_alu instid0(VALU_DEP_1) | instskip(SKIP_2) | instid1(SALU_CYCLE_1)
	v_lshl_or_b32 v36, v36, 4, v37
	ds_add_u32 v36, v123
	s_or_b32 exec_lo, exec_lo, s8
	s_mov_b32 s8, exec_lo
	v_cmpx_lt_u32_e64 v93, v2
	s_cbranch_execnz .LBB844_653
.LBB844_668:                            ;   in Loop: Header=BB844_614 Depth=2
	s_or_b32 exec_lo, exec_lo, s8
	s_delay_alu instid0(SALU_CYCLE_1)
	s_mov_b32 s8, exec_lo
	v_cmpx_lt_u32_e64 v95, v2
	s_cbranch_execz .LBB844_613
.LBB844_669:                            ;   in Loop: Header=BB844_614 Depth=2
	s_waitcnt vmcnt(0)
	v_xor_b32_e32 v37, 0x80000000, v35
	v_mov_b32_e32 v36, v34
	s_delay_alu instid0(VALU_DEP_1) | instskip(NEXT) | instid1(VALU_DEP_1)
	v_lshrrev_b64 v[36:37], s40, v[36:37]
	v_and_b32_e32 v2, s42, v36
	v_lshlrev_b32_e32 v36, 2, v80
	s_delay_alu instid0(VALU_DEP_1)
	v_lshl_or_b32 v2, v2, 4, v36
	ds_add_u32 v2, v123
	s_branch .LBB844_613
.LBB844_670:                            ;   in Loop: Header=BB844_614 Depth=2
	s_or_b32 exec_lo, exec_lo, s11
	s_delay_alu instid0(SALU_CYCLE_1)
	s_mov_b32 s11, exec_lo
	v_cmpx_gt_u32_e64 s1, v77
	s_cbranch_execz .LBB844_620
.LBB844_671:                            ;   in Loop: Header=BB844_614 Depth=2
	global_load_b64 v[30:31], v124, s[8:9] offset:2048
	s_or_b32 exec_lo, exec_lo, s11
	s_delay_alu instid0(SALU_CYCLE_1)
	s_mov_b32 s11, exec_lo
	v_cmpx_gt_u32_e64 s1, v78
	s_cbranch_execnz .LBB844_621
.LBB844_672:                            ;   in Loop: Header=BB844_614 Depth=2
	s_or_b32 exec_lo, exec_lo, s11
	s_delay_alu instid0(SALU_CYCLE_1)
	s_mov_b32 s11, exec_lo
	v_cmpx_gt_u32_e64 s1, v79
	s_cbranch_execz .LBB844_622
.LBB844_673:                            ;   in Loop: Header=BB844_614 Depth=2
	global_load_b64 v[26:27], v126, s[8:9]
	s_or_b32 exec_lo, exec_lo, s11
	s_delay_alu instid0(SALU_CYCLE_1)
	s_mov_b32 s11, exec_lo
	v_cmpx_gt_u32_e64 s1, v83
	s_cbranch_execnz .LBB844_623
.LBB844_674:                            ;   in Loop: Header=BB844_614 Depth=2
	s_or_b32 exec_lo, exec_lo, s11
	s_delay_alu instid0(SALU_CYCLE_1)
	s_mov_b32 s11, exec_lo
	v_cmpx_gt_u32_e64 s1, v84
	s_cbranch_execz .LBB844_624
.LBB844_675:                            ;   in Loop: Header=BB844_614 Depth=2
	global_load_b64 v[22:23], v128, s[8:9]
	s_or_b32 exec_lo, exec_lo, s11
	s_delay_alu instid0(SALU_CYCLE_1)
	s_mov_b32 s11, exec_lo
	v_cmpx_gt_u32_e64 s1, v85
	s_cbranch_execnz .LBB844_625
.LBB844_676:                            ;   in Loop: Header=BB844_614 Depth=2
	s_or_b32 exec_lo, exec_lo, s11
	s_delay_alu instid0(SALU_CYCLE_1)
	s_mov_b32 s11, exec_lo
	v_cmpx_gt_u32_e64 s1, v86
	s_cbranch_execz .LBB844_626
.LBB844_677:                            ;   in Loop: Header=BB844_614 Depth=2
	global_load_b64 v[18:19], v130, s[8:9]
	s_or_b32 exec_lo, exec_lo, s11
	s_delay_alu instid0(SALU_CYCLE_1)
	s_mov_b32 s11, exec_lo
	v_cmpx_gt_u32_e64 s1, v87
	s_cbranch_execnz .LBB844_627
.LBB844_678:                            ;   in Loop: Header=BB844_614 Depth=2
	s_or_b32 exec_lo, exec_lo, s11
	s_delay_alu instid0(SALU_CYCLE_1)
	s_mov_b32 s11, exec_lo
	v_cmpx_gt_u32_e64 s1, v88
	s_cbranch_execz .LBB844_628
.LBB844_679:                            ;   in Loop: Header=BB844_614 Depth=2
	global_load_b64 v[14:15], v132, s[8:9]
	s_or_b32 exec_lo, exec_lo, s11
	s_delay_alu instid0(SALU_CYCLE_1)
	s_mov_b32 s11, exec_lo
	v_cmpx_gt_u32_e64 s1, v89
	s_cbranch_execnz .LBB844_629
.LBB844_680:                            ;   in Loop: Header=BB844_614 Depth=2
	s_or_b32 exec_lo, exec_lo, s11
	s_delay_alu instid0(SALU_CYCLE_1)
	s_mov_b32 s11, exec_lo
	v_cmpx_gt_u32_e64 s1, v90
	s_cbranch_execz .LBB844_630
.LBB844_681:                            ;   in Loop: Header=BB844_614 Depth=2
	global_load_b64 v[10:11], v134, s[8:9]
	s_or_b32 exec_lo, exec_lo, s11
	s_delay_alu instid0(SALU_CYCLE_1)
	s_mov_b32 s11, exec_lo
	v_cmpx_gt_u32_e64 s1, v91
	s_cbranch_execnz .LBB844_631
.LBB844_682:                            ;   in Loop: Header=BB844_614 Depth=2
	s_or_b32 exec_lo, exec_lo, s11
	s_delay_alu instid0(SALU_CYCLE_1)
	s_mov_b32 s11, exec_lo
	v_cmpx_gt_u32_e64 s1, v92
	s_cbranch_execz .LBB844_632
.LBB844_683:                            ;   in Loop: Header=BB844_614 Depth=2
	v_lshlrev_b32_e32 v2, 3, v92
	global_load_b64 v[6:7], v2, s[8:9]
	s_or_b32 exec_lo, exec_lo, s11
	s_delay_alu instid0(SALU_CYCLE_1)
	s_mov_b32 s11, exec_lo
	v_cmpx_gt_u32_e64 s1, v93
	s_cbranch_execz .LBB844_634
	s_branch .LBB844_633
.LBB844_684:                            ;   in Loop: Header=BB844_20 Depth=1
	v_mov_b32_e32 v2, 0
	s_waitcnt vmcnt(0) lgkmcnt(0)
	s_barrier
	buffer_gl0_inv
	s_and_saveexec_b32 s1, s2
	s_cbranch_execz .LBB844_686
; %bb.685:                              ;   in Loop: Header=BB844_20 Depth=1
	ds_load_2addr_b64 v[4:7], v96 offset1:1
	s_waitcnt lgkmcnt(0)
	v_add_nc_u32_e32 v2, v5, v4
	s_delay_alu instid0(VALU_DEP_1)
	v_add3_u32 v2, v2, v6, v7
.LBB844_686:                            ;   in Loop: Header=BB844_20 Depth=1
	s_or_b32 exec_lo, exec_lo, s1
	v_and_b32_e32 v4, 15, v136
	s_delay_alu instid0(VALU_DEP_2) | instskip(SKIP_1) | instid1(VALU_DEP_3)
	v_mov_b32_dpp v5, v2 row_shr:1 row_mask:0xf bank_mask:0xf
	v_and_b32_e32 v6, 16, v136
	v_cmp_eq_u32_e64 s1, 0, v4
	v_cmp_lt_u32_e64 s7, 1, v4
	v_cmp_lt_u32_e64 s8, 3, v4
	;; [unrolled: 1-line block ×3, first 2 shown]
	v_cmp_eq_u32_e64 s10, 0, v6
	v_cndmask_b32_e64 v5, v5, 0, s1
	s_delay_alu instid0(VALU_DEP_1) | instskip(NEXT) | instid1(VALU_DEP_1)
	v_add_nc_u32_e32 v2, v5, v2
	v_mov_b32_dpp v5, v2 row_shr:2 row_mask:0xf bank_mask:0xf
	s_delay_alu instid0(VALU_DEP_1) | instskip(NEXT) | instid1(VALU_DEP_1)
	v_cndmask_b32_e64 v5, 0, v5, s7
	v_add_nc_u32_e32 v2, v2, v5
	s_delay_alu instid0(VALU_DEP_1) | instskip(NEXT) | instid1(VALU_DEP_1)
	v_mov_b32_dpp v5, v2 row_shr:4 row_mask:0xf bank_mask:0xf
	v_cndmask_b32_e64 v5, 0, v5, s8
	s_delay_alu instid0(VALU_DEP_1) | instskip(NEXT) | instid1(VALU_DEP_1)
	v_add_nc_u32_e32 v2, v2, v5
	v_mov_b32_dpp v5, v2 row_shr:8 row_mask:0xf bank_mask:0xf
	s_delay_alu instid0(VALU_DEP_1) | instskip(SKIP_1) | instid1(VALU_DEP_2)
	v_cndmask_b32_e64 v4, 0, v5, s9
	v_bfe_i32 v5, v136, 4, 1
	v_add_nc_u32_e32 v2, v2, v4
	ds_swizzle_b32 v4, v2 offset:swizzle(BROADCAST,32,15)
	s_waitcnt lgkmcnt(0)
	v_and_b32_e32 v4, v5, v4
	s_delay_alu instid0(VALU_DEP_1)
	v_add_nc_u32_e32 v4, v2, v4
	s_and_saveexec_b32 s11, s3
	s_cbranch_execz .LBB844_688
; %bb.687:                              ;   in Loop: Header=BB844_20 Depth=1
	ds_store_b32 v97, v4
.LBB844_688:                            ;   in Loop: Header=BB844_20 Depth=1
	s_or_b32 exec_lo, exec_lo, s11
	v_and_b32_e32 v2, 7, v136
	s_waitcnt lgkmcnt(0)
	s_barrier
	buffer_gl0_inv
	s_and_saveexec_b32 s11, s4
	s_cbranch_execz .LBB844_690
; %bb.689:                              ;   in Loop: Header=BB844_20 Depth=1
	ds_load_b32 v5, v98
	v_cmp_ne_u32_e32 vcc_lo, 0, v2
	s_waitcnt lgkmcnt(0)
	v_mov_b32_dpp v6, v5 row_shr:1 row_mask:0xf bank_mask:0xf
	s_delay_alu instid0(VALU_DEP_1) | instskip(SKIP_1) | instid1(VALU_DEP_2)
	v_cndmask_b32_e32 v6, 0, v6, vcc_lo
	v_cmp_lt_u32_e32 vcc_lo, 1, v2
	v_add_nc_u32_e32 v5, v6, v5
	s_delay_alu instid0(VALU_DEP_1) | instskip(NEXT) | instid1(VALU_DEP_1)
	v_mov_b32_dpp v6, v5 row_shr:2 row_mask:0xf bank_mask:0xf
	v_cndmask_b32_e32 v6, 0, v6, vcc_lo
	v_cmp_lt_u32_e32 vcc_lo, 3, v2
	s_delay_alu instid0(VALU_DEP_2) | instskip(NEXT) | instid1(VALU_DEP_1)
	v_add_nc_u32_e32 v5, v5, v6
	v_mov_b32_dpp v6, v5 row_shr:4 row_mask:0xf bank_mask:0xf
	s_delay_alu instid0(VALU_DEP_1) | instskip(NEXT) | instid1(VALU_DEP_1)
	v_cndmask_b32_e32 v6, 0, v6, vcc_lo
	v_add_nc_u32_e32 v5, v5, v6
	ds_store_b32 v98, v5
.LBB844_690:                            ;   in Loop: Header=BB844_20 Depth=1
	s_or_b32 exec_lo, exec_lo, s11
	v_mov_b32_e32 v5, 0
	s_waitcnt lgkmcnt(0)
	s_barrier
	buffer_gl0_inv
	s_and_saveexec_b32 s11, s5
	s_cbranch_execz .LBB844_692
; %bb.691:                              ;   in Loop: Header=BB844_20 Depth=1
	ds_load_b32 v5, v99
.LBB844_692:                            ;   in Loop: Header=BB844_20 Depth=1
	s_or_b32 exec_lo, exec_lo, s11
	v_add_nc_u32_e32 v6, -1, v136
	s_waitcnt lgkmcnt(0)
	v_add_nc_u32_e32 v4, v5, v4
	v_cmp_eq_u32_e64 s11, 0, v136
	s_barrier
	v_cmp_gt_i32_e32 vcc_lo, 0, v6
	buffer_gl0_inv
	v_cndmask_b32_e32 v6, v6, v136, vcc_lo
	s_delay_alu instid0(VALU_DEP_1)
	v_lshlrev_b32_e32 v137, 2, v6
	ds_bpermute_b32 v4, v137, v4
	s_and_saveexec_b32 s12, s2
	s_cbranch_execz .LBB844_694
; %bb.693:                              ;   in Loop: Header=BB844_20 Depth=1
	s_waitcnt lgkmcnt(0)
	v_cndmask_b32_e64 v4, v4, v5, s11
	s_delay_alu instid0(VALU_DEP_1)
	v_add_nc_u32_e32 v4, s60, v4
	ds_store_b32 v76, v4
.LBB844_694:                            ;   in Loop: Header=BB844_20 Depth=1
	s_or_b32 exec_lo, exec_lo, s12
	s_load_b64 s[12:13], s[36:37], 0x0
	v_lshlrev_b32_e32 v7, 3, v136
	v_or_b32_e32 v138, v136, v100
	s_mov_b32 s43, s62
	s_mov_b32 s34, s60
                                        ; implicit-def: $vgpr8_vgpr9
                                        ; implicit-def: $vgpr10_vgpr11
                                        ; implicit-def: $vgpr12_vgpr13
                                        ; implicit-def: $vgpr14_vgpr15
                                        ; implicit-def: $vgpr16_vgpr17
                                        ; implicit-def: $vgpr18_vgpr19
                                        ; implicit-def: $vgpr20_vgpr21
                                        ; implicit-def: $vgpr22_vgpr23
                                        ; implicit-def: $vgpr24_vgpr25
                                        ; implicit-def: $vgpr26_vgpr27
                                        ; implicit-def: $vgpr28_vgpr29
                                        ; implicit-def: $vgpr30_vgpr31
                                        ; implicit-def: $vgpr32_vgpr33
                                        ; implicit-def: $vgpr34_vgpr35
                                        ; implicit-def: $vgpr161
                                        ; implicit-def: $vgpr162
                                        ; implicit-def: $vgpr163
                                        ; implicit-def: $vgpr164
                                        ; implicit-def: $vgpr165
                                        ; implicit-def: $vgpr166
                                        ; implicit-def: $vgpr167
                                        ; implicit-def: $vgpr168
                                        ; implicit-def: $vgpr169
                                        ; implicit-def: $vgpr170
                                        ; implicit-def: $vgpr171
                                        ; implicit-def: $vgpr172
                                        ; implicit-def: $vgpr173
                                        ; implicit-def: $vgpr174
                                        ; implicit-def: $vgpr175
                                        ; implicit-def: $vgpr176
	s_delay_alu instid0(VALU_DEP_2) | instskip(SKIP_4) | instid1(VALU_DEP_3)
	v_add_co_u32 v139, vcc_lo, v119, v7
	v_add_co_ci_u32_e32 v140, vcc_lo, 0, v120, vcc_lo
	v_add_co_u32 v156, vcc_lo, v121, v7
	v_add_co_ci_u32_e32 v157, vcc_lo, 0, v122, vcc_lo
	v_or_b32_e32 v141, 32, v138
	v_add_co_u32 v159, vcc_lo, 0xf00, v156
	v_or_b32_e32 v142, 64, v138
	v_or_b32_e32 v143, 0x60, v138
	;; [unrolled: 1-line block ×3, first 2 shown]
	s_waitcnt lgkmcnt(0)
	s_cmp_lt_u32 s15, s13
	v_or_b32_e32 v145, 0xa0, v138
	s_cselect_b32 s13, 14, 20
	v_or_b32_e32 v146, 0xc0, v138
	s_add_u32 s16, s36, s13
	s_addc_u32 s17, s37, 0
	s_cmp_lt_u32 s14, s12
	global_load_u16 v4, v3, s[16:17]
	s_cselect_b32 s12, 12, 18
	v_or_b32_e32 v147, 0xe0, v138
	s_add_u32 s12, s36, s12
	s_addc_u32 s13, s37, 0
	v_or_b32_e32 v148, 0x100, v138
	global_load_u16 v6, v3, s[12:13]
	v_cmp_eq_u32_e64 s12, 0, v2
	v_cmp_lt_u32_e64 s13, 1, v2
	v_cmp_lt_u32_e64 s16, 3, v2
	v_or_b32_e32 v149, 0x120, v138
	v_or_b32_e32 v150, 0x140, v138
	;; [unrolled: 1-line block ×7, first 2 shown]
	v_add_co_ci_u32_e32 v160, vcc_lo, 0, v157, vcc_lo
	s_waitcnt vmcnt(1)
	v_mad_u32_u24 v2, v101, v4, v0
	s_waitcnt vmcnt(0)
	s_delay_alu instid0(VALU_DEP_1) | instskip(NEXT) | instid1(VALU_DEP_1)
	v_mad_u64_u32 v[4:5], null, v2, v6, v[1:2]
                                        ; implicit-def: $vgpr6_vgpr7
	v_lshrrev_b32_e32 v158, 5, v4
                                        ; implicit-def: $vgpr4_vgpr5
	s_branch .LBB844_696
.LBB844_695:                            ;   in Loop: Header=BB844_696 Depth=2
	s_or_b32 exec_lo, exec_lo, s17
	s_addk_i32 s43, 0xf000
	s_cmp_lt_u32 s50, s61
	s_mov_b32 s34, s50
	s_cbranch_scc0 .LBB844_904
.LBB844_696:                            ;   Parent Loop BB844_20 Depth=1
                                        ; =>  This Inner Loop Header: Depth=2
	s_add_i32 s50, s34, 0x1000
	s_delay_alu instid0(SALU_CYCLE_1)
	s_cmp_gt_u32 s50, s61
	s_cbranch_scc1 .LBB844_698
; %bb.697:                              ;   in Loop: Header=BB844_696 Depth=2
	s_mov_b32 s19, 0
	s_mov_b32 s18, s34
	s_movk_i32 s17, 0x1000
	s_lshl_b64 s[20:21], s[18:19], 3
	s_delay_alu instid0(SALU_CYCLE_1)
	v_add_co_u32 v64, vcc_lo, v156, s20
	v_add_co_ci_u32_e32 v65, vcc_lo, s21, v157, vcc_lo
	s_mov_b32 s20, -1
	s_clause 0xe
	global_load_b64 v[36:37], v[64:65], off
	global_load_b64 v[38:39], v[64:65], off offset:256
	global_load_b64 v[40:41], v[64:65], off offset:512
	;; [unrolled: 1-line block ×14, first 2 shown]
	s_cbranch_execz .LBB844_699
	s_branch .LBB844_730
.LBB844_698:                            ;   in Loop: Header=BB844_696 Depth=2
	s_mov_b32 s19, -1
	s_mov_b32 s20, 0
                                        ; implicit-def: $sgpr17
                                        ; implicit-def: $vgpr36_vgpr37
                                        ; implicit-def: $vgpr38_vgpr39
                                        ; implicit-def: $vgpr40_vgpr41
                                        ; implicit-def: $vgpr42_vgpr43
                                        ; implicit-def: $vgpr44_vgpr45
                                        ; implicit-def: $vgpr46_vgpr47
                                        ; implicit-def: $vgpr48_vgpr49
                                        ; implicit-def: $vgpr50_vgpr51
                                        ; implicit-def: $vgpr52_vgpr53
                                        ; implicit-def: $vgpr54_vgpr55
                                        ; implicit-def: $vgpr56_vgpr57
                                        ; implicit-def: $vgpr58_vgpr59
                                        ; implicit-def: $vgpr60_vgpr61
                                        ; implicit-def: $vgpr62_vgpr63
                                        ; implicit-def: $vgpr64_vgpr65
.LBB844_699:                            ;   in Loop: Header=BB844_696 Depth=2
	s_lshl_b64 s[18:19], s[34:35], 3
	s_waitcnt vmcnt(14)
	v_dual_mov_b32 v36, s38 :: v_dual_mov_b32 v37, s39
	v_add_co_u32 v66, vcc_lo, v156, s18
	v_add_co_ci_u32_e32 v67, vcc_lo, s19, v157, vcc_lo
	s_mov_b32 s17, exec_lo
	v_cmpx_gt_u32_e64 s43, v138
	s_cbranch_execz .LBB844_701
; %bb.700:                              ;   in Loop: Header=BB844_696 Depth=2
	global_load_b64 v[36:37], v[66:67], off
.LBB844_701:                            ;   in Loop: Header=BB844_696 Depth=2
	s_or_b32 exec_lo, exec_lo, s17
	s_waitcnt vmcnt(13)
	v_dual_mov_b32 v38, s38 :: v_dual_mov_b32 v39, s39
	s_mov_b32 s17, exec_lo
	v_cmpx_gt_u32_e64 s43, v141
	s_cbranch_execz .LBB844_703
; %bb.702:                              ;   in Loop: Header=BB844_696 Depth=2
	global_load_b64 v[38:39], v[66:67], off offset:256
.LBB844_703:                            ;   in Loop: Header=BB844_696 Depth=2
	s_or_b32 exec_lo, exec_lo, s17
	s_waitcnt vmcnt(12)
	v_dual_mov_b32 v41, s39 :: v_dual_mov_b32 v40, s38
	s_mov_b32 s17, exec_lo
	v_cmpx_gt_u32_e64 s43, v142
	s_cbranch_execz .LBB844_705
; %bb.704:                              ;   in Loop: Header=BB844_696 Depth=2
	global_load_b64 v[40:41], v[66:67], off offset:512
.LBB844_705:                            ;   in Loop: Header=BB844_696 Depth=2
	;; [unrolled: 9-line block ×14, first 2 shown]
	s_or_b32 exec_lo, exec_lo, s17
	v_cmp_gt_u32_e64 s20, s43, v155
	s_sub_i32 s17, s61, s34
	s_mov_b64 s[18:19], s[34:35]
.LBB844_730:                            ;   in Loop: Header=BB844_696 Depth=2
	v_dual_mov_b32 v67, s39 :: v_dual_mov_b32 v66, s38
	v_mov_b32_e32 v177, s43
	s_and_saveexec_b32 s21, s20
	s_cbranch_execz .LBB844_732
; %bb.731:                              ;   in Loop: Header=BB844_696 Depth=2
	s_lshl_b64 s[18:19], s[18:19], 3
	v_mov_b32_e32 v177, s17
	v_add_co_u32 v66, vcc_lo, v159, s18
	v_add_co_ci_u32_e32 v67, vcc_lo, s19, v160, vcc_lo
	global_load_b64 v[66:67], v[66:67], off
.LBB844_732:                            ;   in Loop: Header=BB844_696 Depth=2
	s_or_b32 exec_lo, exec_lo, s21
	s_waitcnt vmcnt(14)
	v_xor_b32_e32 v37, 0x80000000, v37
	ds_store_b32 v102, v3 offset:1056
	ds_store_2addr_b32 v103, v3, v3 offset0:1 offset1:2
	ds_store_2addr_b32 v103, v3, v3 offset0:3 offset1:4
	;; [unrolled: 1-line block ×4, first 2 shown]
	s_waitcnt vmcnt(0) lgkmcnt(0)
	s_barrier
	v_lshrrev_b64 v[68:69], s40, v[36:37]
	buffer_gl0_inv
	; wave barrier
	v_and_b32_e32 v69, s42, v68
	s_delay_alu instid0(VALU_DEP_1)
	v_and_b32_e32 v2, 1, v69
	v_lshlrev_b32_e32 v68, 30, v69
	v_lshlrev_b32_e32 v70, 29, v69
	;; [unrolled: 1-line block ×4, first 2 shown]
	v_add_co_u32 v2, s17, v2, -1
	s_delay_alu instid0(VALU_DEP_1)
	v_cndmask_b32_e64 v72, 0, 1, s17
	v_not_b32_e32 v178, v68
	v_cmp_gt_i32_e64 s17, 0, v68
	v_not_b32_e32 v68, v70
	v_lshlrev_b32_e32 v74, 26, v69
	v_cmp_ne_u32_e32 vcc_lo, 0, v72
	v_ashrrev_i32_e32 v178, 31, v178
	v_lshlrev_b32_e32 v75, 25, v69
	v_ashrrev_i32_e32 v68, 31, v68
	v_lshlrev_b32_e32 v72, 24, v69
	v_xor_b32_e32 v2, vcc_lo, v2
	v_cmp_gt_i32_e32 vcc_lo, 0, v70
	v_not_b32_e32 v70, v71
	v_xor_b32_e32 v178, s17, v178
	v_cmp_gt_i32_e64 s17, 0, v71
	v_and_b32_e32 v2, exec_lo, v2
	v_not_b32_e32 v71, v73
	v_ashrrev_i32_e32 v70, 31, v70
	v_xor_b32_e32 v68, vcc_lo, v68
	v_cmp_gt_i32_e32 vcc_lo, 0, v73
	v_and_b32_e32 v2, v2, v178
	v_not_b32_e32 v73, v74
	v_ashrrev_i32_e32 v71, 31, v71
	v_xor_b32_e32 v70, s17, v70
	v_cmp_gt_i32_e64 s17, 0, v74
	v_and_b32_e32 v2, v2, v68
	v_not_b32_e32 v68, v75
	v_ashrrev_i32_e32 v73, 31, v73
	v_xor_b32_e32 v71, vcc_lo, v71
	v_cmp_gt_i32_e32 vcc_lo, 0, v75
	v_and_b32_e32 v2, v2, v70
	v_not_b32_e32 v70, v72
	v_ashrrev_i32_e32 v68, 31, v68
	v_xor_b32_e32 v73, s17, v73
	v_cmp_gt_i32_e64 s17, 0, v72
	v_and_b32_e32 v2, v2, v71
	v_ashrrev_i32_e32 v70, 31, v70
	v_xor_b32_e32 v68, vcc_lo, v68
	v_mad_u32_u24 v69, v69, 9, v158
	s_delay_alu instid0(VALU_DEP_4) | instskip(NEXT) | instid1(VALU_DEP_4)
	v_and_b32_e32 v2, v2, v73
	v_xor_b32_e32 v70, s17, v70
	s_delay_alu instid0(VALU_DEP_3) | instskip(NEXT) | instid1(VALU_DEP_3)
	v_lshl_add_u32 v178, v69, 2, 0x420
	v_and_b32_e32 v2, v2, v68
	s_delay_alu instid0(VALU_DEP_1) | instskip(NEXT) | instid1(VALU_DEP_1)
	v_and_b32_e32 v68, v2, v70
	v_mbcnt_lo_u32_b32 v2, v68, 0
	v_cmp_ne_u32_e64 s17, 0, v68
	s_delay_alu instid0(VALU_DEP_2) | instskip(NEXT) | instid1(VALU_DEP_2)
	v_cmp_eq_u32_e32 vcc_lo, 0, v2
	s_and_b32 s18, s17, vcc_lo
	s_delay_alu instid0(SALU_CYCLE_1)
	s_and_saveexec_b32 s17, s18
	s_cbranch_execz .LBB844_734
; %bb.733:                              ;   in Loop: Header=BB844_696 Depth=2
	v_bcnt_u32_b32 v68, v68, 0
	ds_store_b32 v178, v68
.LBB844_734:                            ;   in Loop: Header=BB844_696 Depth=2
	s_or_b32 exec_lo, exec_lo, s17
	v_xor_b32_e32 v39, 0x80000000, v39
	; wave barrier
	s_delay_alu instid0(VALU_DEP_1) | instskip(NEXT) | instid1(VALU_DEP_1)
	v_lshrrev_b64 v[68:69], s40, v[38:39]
	v_and_b32_e32 v68, s42, v68
	s_delay_alu instid0(VALU_DEP_1)
	v_and_b32_e32 v69, 1, v68
	v_lshlrev_b32_e32 v70, 30, v68
	v_lshlrev_b32_e32 v71, 29, v68
	v_lshlrev_b32_e32 v72, 28, v68
	v_lshlrev_b32_e32 v74, 27, v68
	v_add_co_u32 v69, s17, v69, -1
	s_delay_alu instid0(VALU_DEP_1)
	v_cndmask_b32_e64 v73, 0, 1, s17
	v_not_b32_e32 v180, v70
	v_cmp_gt_i32_e64 s17, 0, v70
	v_not_b32_e32 v70, v71
	v_lshlrev_b32_e32 v75, 26, v68
	v_cmp_ne_u32_e32 vcc_lo, 0, v73
	v_ashrrev_i32_e32 v180, 31, v180
	v_lshlrev_b32_e32 v179, 25, v68
	v_ashrrev_i32_e32 v70, 31, v70
	v_lshlrev_b32_e32 v73, 24, v68
	v_xor_b32_e32 v69, vcc_lo, v69
	v_cmp_gt_i32_e32 vcc_lo, 0, v71
	v_not_b32_e32 v71, v72
	v_xor_b32_e32 v180, s17, v180
	v_cmp_gt_i32_e64 s17, 0, v72
	v_and_b32_e32 v69, exec_lo, v69
	v_not_b32_e32 v72, v74
	v_ashrrev_i32_e32 v71, 31, v71
	v_xor_b32_e32 v70, vcc_lo, v70
	v_cmp_gt_i32_e32 vcc_lo, 0, v74
	v_and_b32_e32 v69, v69, v180
	v_not_b32_e32 v74, v75
	v_ashrrev_i32_e32 v72, 31, v72
	v_xor_b32_e32 v71, s17, v71
	v_cmp_gt_i32_e64 s17, 0, v75
	v_and_b32_e32 v69, v69, v70
	v_not_b32_e32 v70, v179
	v_ashrrev_i32_e32 v74, 31, v74
	v_xor_b32_e32 v72, vcc_lo, v72
	v_cmp_gt_i32_e32 vcc_lo, 0, v179
	v_and_b32_e32 v69, v69, v71
	v_not_b32_e32 v71, v73
	v_ashrrev_i32_e32 v70, 31, v70
	v_xor_b32_e32 v74, s17, v74
	v_mul_u32_u24_e32 v68, 9, v68
	v_and_b32_e32 v69, v69, v72
	v_cmp_gt_i32_e64 s17, 0, v73
	v_ashrrev_i32_e32 v71, 31, v71
	v_xor_b32_e32 v70, vcc_lo, v70
	v_add_lshl_u32 v72, v68, v158, 2
	v_and_b32_e32 v69, v69, v74
	s_delay_alu instid0(VALU_DEP_4) | instskip(SKIP_3) | instid1(VALU_DEP_2)
	v_xor_b32_e32 v68, s17, v71
	ds_load_b32 v179, v72 offset:1056
	v_and_b32_e32 v69, v69, v70
	v_add_nc_u32_e32 v181, 0x420, v72
	; wave barrier
	v_and_b32_e32 v68, v69, v68
	s_delay_alu instid0(VALU_DEP_1) | instskip(SKIP_1) | instid1(VALU_DEP_2)
	v_mbcnt_lo_u32_b32 v180, v68, 0
	v_cmp_ne_u32_e64 s17, 0, v68
	v_cmp_eq_u32_e32 vcc_lo, 0, v180
	s_delay_alu instid0(VALU_DEP_2) | instskip(NEXT) | instid1(SALU_CYCLE_1)
	s_and_b32 s18, s17, vcc_lo
	s_and_saveexec_b32 s17, s18
	s_cbranch_execz .LBB844_736
; %bb.735:                              ;   in Loop: Header=BB844_696 Depth=2
	s_waitcnt lgkmcnt(0)
	v_bcnt_u32_b32 v68, v68, v179
	ds_store_b32 v181, v68
.LBB844_736:                            ;   in Loop: Header=BB844_696 Depth=2
	s_or_b32 exec_lo, exec_lo, s17
	v_xor_b32_e32 v41, 0x80000000, v41
	; wave barrier
	s_delay_alu instid0(VALU_DEP_1) | instskip(NEXT) | instid1(VALU_DEP_1)
	v_lshrrev_b64 v[68:69], s40, v[40:41]
	v_and_b32_e32 v68, s42, v68
	s_delay_alu instid0(VALU_DEP_1)
	v_and_b32_e32 v69, 1, v68
	v_lshlrev_b32_e32 v70, 30, v68
	v_lshlrev_b32_e32 v71, 29, v68
	;; [unrolled: 1-line block ×4, first 2 shown]
	v_add_co_u32 v69, s17, v69, -1
	s_delay_alu instid0(VALU_DEP_1)
	v_cndmask_b32_e64 v73, 0, 1, s17
	v_not_b32_e32 v183, v70
	v_cmp_gt_i32_e64 s17, 0, v70
	v_not_b32_e32 v70, v71
	v_lshlrev_b32_e32 v75, 26, v68
	v_cmp_ne_u32_e32 vcc_lo, 0, v73
	v_ashrrev_i32_e32 v183, 31, v183
	v_lshlrev_b32_e32 v182, 25, v68
	v_ashrrev_i32_e32 v70, 31, v70
	v_lshlrev_b32_e32 v73, 24, v68
	v_xor_b32_e32 v69, vcc_lo, v69
	v_cmp_gt_i32_e32 vcc_lo, 0, v71
	v_not_b32_e32 v71, v72
	v_xor_b32_e32 v183, s17, v183
	v_cmp_gt_i32_e64 s17, 0, v72
	v_and_b32_e32 v69, exec_lo, v69
	v_not_b32_e32 v72, v74
	v_ashrrev_i32_e32 v71, 31, v71
	v_xor_b32_e32 v70, vcc_lo, v70
	v_cmp_gt_i32_e32 vcc_lo, 0, v74
	v_and_b32_e32 v69, v69, v183
	v_not_b32_e32 v74, v75
	v_ashrrev_i32_e32 v72, 31, v72
	v_xor_b32_e32 v71, s17, v71
	v_cmp_gt_i32_e64 s17, 0, v75
	v_and_b32_e32 v69, v69, v70
	v_not_b32_e32 v70, v182
	v_ashrrev_i32_e32 v74, 31, v74
	v_xor_b32_e32 v72, vcc_lo, v72
	v_cmp_gt_i32_e32 vcc_lo, 0, v182
	v_and_b32_e32 v69, v69, v71
	v_not_b32_e32 v71, v73
	v_ashrrev_i32_e32 v70, 31, v70
	v_xor_b32_e32 v74, s17, v74
	v_mul_u32_u24_e32 v68, 9, v68
	v_and_b32_e32 v69, v69, v72
	v_cmp_gt_i32_e64 s17, 0, v73
	v_ashrrev_i32_e32 v71, 31, v71
	v_xor_b32_e32 v70, vcc_lo, v70
	v_add_lshl_u32 v72, v68, v158, 2
	v_and_b32_e32 v69, v69, v74
	s_delay_alu instid0(VALU_DEP_4) | instskip(SKIP_3) | instid1(VALU_DEP_2)
	v_xor_b32_e32 v68, s17, v71
	ds_load_b32 v182, v72 offset:1056
	v_and_b32_e32 v69, v69, v70
	v_add_nc_u32_e32 v184, 0x420, v72
	; wave barrier
	v_and_b32_e32 v68, v69, v68
	s_delay_alu instid0(VALU_DEP_1) | instskip(SKIP_1) | instid1(VALU_DEP_2)
	v_mbcnt_lo_u32_b32 v183, v68, 0
	v_cmp_ne_u32_e64 s17, 0, v68
	v_cmp_eq_u32_e32 vcc_lo, 0, v183
	s_delay_alu instid0(VALU_DEP_2) | instskip(NEXT) | instid1(SALU_CYCLE_1)
	s_and_b32 s18, s17, vcc_lo
	s_and_saveexec_b32 s17, s18
	s_cbranch_execz .LBB844_738
; %bb.737:                              ;   in Loop: Header=BB844_696 Depth=2
	s_waitcnt lgkmcnt(0)
	v_bcnt_u32_b32 v68, v68, v182
	ds_store_b32 v184, v68
.LBB844_738:                            ;   in Loop: Header=BB844_696 Depth=2
	s_or_b32 exec_lo, exec_lo, s17
	v_xor_b32_e32 v43, 0x80000000, v43
	; wave barrier
	s_delay_alu instid0(VALU_DEP_1) | instskip(NEXT) | instid1(VALU_DEP_1)
	v_lshrrev_b64 v[68:69], s40, v[42:43]
	v_and_b32_e32 v68, s42, v68
	s_delay_alu instid0(VALU_DEP_1)
	v_and_b32_e32 v69, 1, v68
	v_lshlrev_b32_e32 v70, 30, v68
	v_lshlrev_b32_e32 v71, 29, v68
	;; [unrolled: 1-line block ×4, first 2 shown]
	v_add_co_u32 v69, s17, v69, -1
	s_delay_alu instid0(VALU_DEP_1)
	v_cndmask_b32_e64 v73, 0, 1, s17
	v_not_b32_e32 v186, v70
	v_cmp_gt_i32_e64 s17, 0, v70
	v_not_b32_e32 v70, v71
	v_lshlrev_b32_e32 v75, 26, v68
	v_cmp_ne_u32_e32 vcc_lo, 0, v73
	v_ashrrev_i32_e32 v186, 31, v186
	v_lshlrev_b32_e32 v185, 25, v68
	v_ashrrev_i32_e32 v70, 31, v70
	v_lshlrev_b32_e32 v73, 24, v68
	v_xor_b32_e32 v69, vcc_lo, v69
	v_cmp_gt_i32_e32 vcc_lo, 0, v71
	v_not_b32_e32 v71, v72
	v_xor_b32_e32 v186, s17, v186
	v_cmp_gt_i32_e64 s17, 0, v72
	v_and_b32_e32 v69, exec_lo, v69
	v_not_b32_e32 v72, v74
	v_ashrrev_i32_e32 v71, 31, v71
	v_xor_b32_e32 v70, vcc_lo, v70
	v_cmp_gt_i32_e32 vcc_lo, 0, v74
	v_and_b32_e32 v69, v69, v186
	v_not_b32_e32 v74, v75
	v_ashrrev_i32_e32 v72, 31, v72
	v_xor_b32_e32 v71, s17, v71
	v_cmp_gt_i32_e64 s17, 0, v75
	v_and_b32_e32 v69, v69, v70
	v_not_b32_e32 v70, v185
	v_ashrrev_i32_e32 v74, 31, v74
	v_xor_b32_e32 v72, vcc_lo, v72
	v_cmp_gt_i32_e32 vcc_lo, 0, v185
	v_and_b32_e32 v69, v69, v71
	v_not_b32_e32 v71, v73
	v_ashrrev_i32_e32 v70, 31, v70
	v_xor_b32_e32 v74, s17, v74
	v_mul_u32_u24_e32 v68, 9, v68
	v_and_b32_e32 v69, v69, v72
	v_cmp_gt_i32_e64 s17, 0, v73
	v_ashrrev_i32_e32 v71, 31, v71
	v_xor_b32_e32 v70, vcc_lo, v70
	v_add_lshl_u32 v72, v68, v158, 2
	v_and_b32_e32 v69, v69, v74
	s_delay_alu instid0(VALU_DEP_4) | instskip(SKIP_3) | instid1(VALU_DEP_2)
	v_xor_b32_e32 v68, s17, v71
	ds_load_b32 v185, v72 offset:1056
	v_and_b32_e32 v69, v69, v70
	v_add_nc_u32_e32 v187, 0x420, v72
	; wave barrier
	v_and_b32_e32 v68, v69, v68
	s_delay_alu instid0(VALU_DEP_1) | instskip(SKIP_1) | instid1(VALU_DEP_2)
	v_mbcnt_lo_u32_b32 v186, v68, 0
	v_cmp_ne_u32_e64 s17, 0, v68
	v_cmp_eq_u32_e32 vcc_lo, 0, v186
	s_delay_alu instid0(VALU_DEP_2) | instskip(NEXT) | instid1(SALU_CYCLE_1)
	s_and_b32 s18, s17, vcc_lo
	s_and_saveexec_b32 s17, s18
	s_cbranch_execz .LBB844_740
; %bb.739:                              ;   in Loop: Header=BB844_696 Depth=2
	s_waitcnt lgkmcnt(0)
	v_bcnt_u32_b32 v68, v68, v185
	ds_store_b32 v187, v68
.LBB844_740:                            ;   in Loop: Header=BB844_696 Depth=2
	s_or_b32 exec_lo, exec_lo, s17
	v_xor_b32_e32 v45, 0x80000000, v45
	; wave barrier
	s_delay_alu instid0(VALU_DEP_1) | instskip(NEXT) | instid1(VALU_DEP_1)
	v_lshrrev_b64 v[68:69], s40, v[44:45]
	v_and_b32_e32 v68, s42, v68
	s_delay_alu instid0(VALU_DEP_1)
	v_and_b32_e32 v69, 1, v68
	v_lshlrev_b32_e32 v70, 30, v68
	v_lshlrev_b32_e32 v71, 29, v68
	;; [unrolled: 1-line block ×4, first 2 shown]
	v_add_co_u32 v69, s17, v69, -1
	s_delay_alu instid0(VALU_DEP_1)
	v_cndmask_b32_e64 v73, 0, 1, s17
	v_not_b32_e32 v189, v70
	v_cmp_gt_i32_e64 s17, 0, v70
	v_not_b32_e32 v70, v71
	v_lshlrev_b32_e32 v75, 26, v68
	v_cmp_ne_u32_e32 vcc_lo, 0, v73
	v_ashrrev_i32_e32 v189, 31, v189
	v_lshlrev_b32_e32 v188, 25, v68
	v_ashrrev_i32_e32 v70, 31, v70
	v_lshlrev_b32_e32 v73, 24, v68
	v_xor_b32_e32 v69, vcc_lo, v69
	v_cmp_gt_i32_e32 vcc_lo, 0, v71
	v_not_b32_e32 v71, v72
	v_xor_b32_e32 v189, s17, v189
	v_cmp_gt_i32_e64 s17, 0, v72
	v_and_b32_e32 v69, exec_lo, v69
	v_not_b32_e32 v72, v74
	v_ashrrev_i32_e32 v71, 31, v71
	v_xor_b32_e32 v70, vcc_lo, v70
	v_cmp_gt_i32_e32 vcc_lo, 0, v74
	v_and_b32_e32 v69, v69, v189
	v_not_b32_e32 v74, v75
	v_ashrrev_i32_e32 v72, 31, v72
	v_xor_b32_e32 v71, s17, v71
	v_cmp_gt_i32_e64 s17, 0, v75
	v_and_b32_e32 v69, v69, v70
	v_not_b32_e32 v70, v188
	v_ashrrev_i32_e32 v74, 31, v74
	v_xor_b32_e32 v72, vcc_lo, v72
	v_cmp_gt_i32_e32 vcc_lo, 0, v188
	v_and_b32_e32 v69, v69, v71
	v_not_b32_e32 v71, v73
	v_ashrrev_i32_e32 v70, 31, v70
	v_xor_b32_e32 v74, s17, v74
	v_mul_u32_u24_e32 v68, 9, v68
	v_and_b32_e32 v69, v69, v72
	v_cmp_gt_i32_e64 s17, 0, v73
	v_ashrrev_i32_e32 v71, 31, v71
	v_xor_b32_e32 v70, vcc_lo, v70
	v_add_lshl_u32 v72, v68, v158, 2
	v_and_b32_e32 v69, v69, v74
	s_delay_alu instid0(VALU_DEP_4) | instskip(SKIP_3) | instid1(VALU_DEP_2)
	v_xor_b32_e32 v68, s17, v71
	ds_load_b32 v188, v72 offset:1056
	v_and_b32_e32 v69, v69, v70
	v_add_nc_u32_e32 v190, 0x420, v72
	; wave barrier
	v_and_b32_e32 v68, v69, v68
	s_delay_alu instid0(VALU_DEP_1) | instskip(SKIP_1) | instid1(VALU_DEP_2)
	v_mbcnt_lo_u32_b32 v189, v68, 0
	v_cmp_ne_u32_e64 s17, 0, v68
	v_cmp_eq_u32_e32 vcc_lo, 0, v189
	s_delay_alu instid0(VALU_DEP_2) | instskip(NEXT) | instid1(SALU_CYCLE_1)
	s_and_b32 s18, s17, vcc_lo
	s_and_saveexec_b32 s17, s18
	s_cbranch_execz .LBB844_742
; %bb.741:                              ;   in Loop: Header=BB844_696 Depth=2
	s_waitcnt lgkmcnt(0)
	v_bcnt_u32_b32 v68, v68, v188
	ds_store_b32 v190, v68
.LBB844_742:                            ;   in Loop: Header=BB844_696 Depth=2
	s_or_b32 exec_lo, exec_lo, s17
	v_xor_b32_e32 v47, 0x80000000, v47
	; wave barrier
	s_delay_alu instid0(VALU_DEP_1) | instskip(NEXT) | instid1(VALU_DEP_1)
	v_lshrrev_b64 v[68:69], s40, v[46:47]
	v_and_b32_e32 v68, s42, v68
	s_delay_alu instid0(VALU_DEP_1)
	v_and_b32_e32 v69, 1, v68
	v_lshlrev_b32_e32 v70, 30, v68
	v_lshlrev_b32_e32 v71, 29, v68
	;; [unrolled: 1-line block ×4, first 2 shown]
	v_add_co_u32 v69, s17, v69, -1
	s_delay_alu instid0(VALU_DEP_1)
	v_cndmask_b32_e64 v73, 0, 1, s17
	v_not_b32_e32 v192, v70
	v_cmp_gt_i32_e64 s17, 0, v70
	v_not_b32_e32 v70, v71
	v_lshlrev_b32_e32 v75, 26, v68
	v_cmp_ne_u32_e32 vcc_lo, 0, v73
	v_ashrrev_i32_e32 v192, 31, v192
	v_lshlrev_b32_e32 v191, 25, v68
	v_ashrrev_i32_e32 v70, 31, v70
	v_lshlrev_b32_e32 v73, 24, v68
	v_xor_b32_e32 v69, vcc_lo, v69
	v_cmp_gt_i32_e32 vcc_lo, 0, v71
	v_not_b32_e32 v71, v72
	v_xor_b32_e32 v192, s17, v192
	v_cmp_gt_i32_e64 s17, 0, v72
	v_and_b32_e32 v69, exec_lo, v69
	v_not_b32_e32 v72, v74
	v_ashrrev_i32_e32 v71, 31, v71
	v_xor_b32_e32 v70, vcc_lo, v70
	v_cmp_gt_i32_e32 vcc_lo, 0, v74
	v_and_b32_e32 v69, v69, v192
	v_not_b32_e32 v74, v75
	v_ashrrev_i32_e32 v72, 31, v72
	v_xor_b32_e32 v71, s17, v71
	v_cmp_gt_i32_e64 s17, 0, v75
	v_and_b32_e32 v69, v69, v70
	v_not_b32_e32 v70, v191
	v_ashrrev_i32_e32 v74, 31, v74
	v_xor_b32_e32 v72, vcc_lo, v72
	v_cmp_gt_i32_e32 vcc_lo, 0, v191
	v_and_b32_e32 v69, v69, v71
	v_not_b32_e32 v71, v73
	v_ashrrev_i32_e32 v70, 31, v70
	v_xor_b32_e32 v74, s17, v74
	v_mul_u32_u24_e32 v68, 9, v68
	v_and_b32_e32 v69, v69, v72
	v_cmp_gt_i32_e64 s17, 0, v73
	v_ashrrev_i32_e32 v71, 31, v71
	v_xor_b32_e32 v70, vcc_lo, v70
	v_add_lshl_u32 v72, v68, v158, 2
	v_and_b32_e32 v69, v69, v74
	s_delay_alu instid0(VALU_DEP_4) | instskip(SKIP_3) | instid1(VALU_DEP_2)
	v_xor_b32_e32 v68, s17, v71
	ds_load_b32 v191, v72 offset:1056
	v_and_b32_e32 v69, v69, v70
	v_add_nc_u32_e32 v193, 0x420, v72
	; wave barrier
	v_and_b32_e32 v68, v69, v68
	s_delay_alu instid0(VALU_DEP_1) | instskip(SKIP_1) | instid1(VALU_DEP_2)
	v_mbcnt_lo_u32_b32 v192, v68, 0
	v_cmp_ne_u32_e64 s17, 0, v68
	v_cmp_eq_u32_e32 vcc_lo, 0, v192
	s_delay_alu instid0(VALU_DEP_2) | instskip(NEXT) | instid1(SALU_CYCLE_1)
	s_and_b32 s18, s17, vcc_lo
	s_and_saveexec_b32 s17, s18
	s_cbranch_execz .LBB844_744
; %bb.743:                              ;   in Loop: Header=BB844_696 Depth=2
	s_waitcnt lgkmcnt(0)
	v_bcnt_u32_b32 v68, v68, v191
	ds_store_b32 v193, v68
.LBB844_744:                            ;   in Loop: Header=BB844_696 Depth=2
	s_or_b32 exec_lo, exec_lo, s17
	v_xor_b32_e32 v49, 0x80000000, v49
	; wave barrier
	s_delay_alu instid0(VALU_DEP_1) | instskip(NEXT) | instid1(VALU_DEP_1)
	v_lshrrev_b64 v[68:69], s40, v[48:49]
	v_and_b32_e32 v68, s42, v68
	s_delay_alu instid0(VALU_DEP_1)
	v_and_b32_e32 v69, 1, v68
	v_lshlrev_b32_e32 v70, 30, v68
	v_lshlrev_b32_e32 v71, 29, v68
	;; [unrolled: 1-line block ×4, first 2 shown]
	v_add_co_u32 v69, s17, v69, -1
	s_delay_alu instid0(VALU_DEP_1)
	v_cndmask_b32_e64 v73, 0, 1, s17
	v_not_b32_e32 v195, v70
	v_cmp_gt_i32_e64 s17, 0, v70
	v_not_b32_e32 v70, v71
	v_lshlrev_b32_e32 v75, 26, v68
	v_cmp_ne_u32_e32 vcc_lo, 0, v73
	v_ashrrev_i32_e32 v195, 31, v195
	v_lshlrev_b32_e32 v194, 25, v68
	v_ashrrev_i32_e32 v70, 31, v70
	v_lshlrev_b32_e32 v73, 24, v68
	v_xor_b32_e32 v69, vcc_lo, v69
	v_cmp_gt_i32_e32 vcc_lo, 0, v71
	v_not_b32_e32 v71, v72
	v_xor_b32_e32 v195, s17, v195
	v_cmp_gt_i32_e64 s17, 0, v72
	v_and_b32_e32 v69, exec_lo, v69
	v_not_b32_e32 v72, v74
	v_ashrrev_i32_e32 v71, 31, v71
	v_xor_b32_e32 v70, vcc_lo, v70
	v_cmp_gt_i32_e32 vcc_lo, 0, v74
	v_and_b32_e32 v69, v69, v195
	v_not_b32_e32 v74, v75
	v_ashrrev_i32_e32 v72, 31, v72
	v_xor_b32_e32 v71, s17, v71
	v_cmp_gt_i32_e64 s17, 0, v75
	v_and_b32_e32 v69, v69, v70
	v_not_b32_e32 v70, v194
	v_ashrrev_i32_e32 v74, 31, v74
	v_xor_b32_e32 v72, vcc_lo, v72
	v_cmp_gt_i32_e32 vcc_lo, 0, v194
	v_and_b32_e32 v69, v69, v71
	v_not_b32_e32 v71, v73
	v_ashrrev_i32_e32 v70, 31, v70
	v_xor_b32_e32 v74, s17, v74
	v_mul_u32_u24_e32 v68, 9, v68
	v_and_b32_e32 v69, v69, v72
	v_cmp_gt_i32_e64 s17, 0, v73
	v_ashrrev_i32_e32 v71, 31, v71
	v_xor_b32_e32 v70, vcc_lo, v70
	v_add_lshl_u32 v72, v68, v158, 2
	v_and_b32_e32 v69, v69, v74
	s_delay_alu instid0(VALU_DEP_4) | instskip(SKIP_3) | instid1(VALU_DEP_2)
	v_xor_b32_e32 v68, s17, v71
	ds_load_b32 v194, v72 offset:1056
	v_and_b32_e32 v69, v69, v70
	v_add_nc_u32_e32 v196, 0x420, v72
	; wave barrier
	v_and_b32_e32 v68, v69, v68
	s_delay_alu instid0(VALU_DEP_1) | instskip(SKIP_1) | instid1(VALU_DEP_2)
	v_mbcnt_lo_u32_b32 v195, v68, 0
	v_cmp_ne_u32_e64 s17, 0, v68
	v_cmp_eq_u32_e32 vcc_lo, 0, v195
	s_delay_alu instid0(VALU_DEP_2) | instskip(NEXT) | instid1(SALU_CYCLE_1)
	s_and_b32 s18, s17, vcc_lo
	s_and_saveexec_b32 s17, s18
	s_cbranch_execz .LBB844_746
; %bb.745:                              ;   in Loop: Header=BB844_696 Depth=2
	s_waitcnt lgkmcnt(0)
	v_bcnt_u32_b32 v68, v68, v194
	ds_store_b32 v196, v68
.LBB844_746:                            ;   in Loop: Header=BB844_696 Depth=2
	s_or_b32 exec_lo, exec_lo, s17
	v_xor_b32_e32 v51, 0x80000000, v51
	; wave barrier
	s_delay_alu instid0(VALU_DEP_1) | instskip(NEXT) | instid1(VALU_DEP_1)
	v_lshrrev_b64 v[68:69], s40, v[50:51]
	v_and_b32_e32 v68, s42, v68
	s_delay_alu instid0(VALU_DEP_1)
	v_and_b32_e32 v69, 1, v68
	v_lshlrev_b32_e32 v70, 30, v68
	v_lshlrev_b32_e32 v71, 29, v68
	;; [unrolled: 1-line block ×4, first 2 shown]
	v_add_co_u32 v69, s17, v69, -1
	s_delay_alu instid0(VALU_DEP_1)
	v_cndmask_b32_e64 v73, 0, 1, s17
	v_not_b32_e32 v198, v70
	v_cmp_gt_i32_e64 s17, 0, v70
	v_not_b32_e32 v70, v71
	v_lshlrev_b32_e32 v75, 26, v68
	v_cmp_ne_u32_e32 vcc_lo, 0, v73
	v_ashrrev_i32_e32 v198, 31, v198
	v_lshlrev_b32_e32 v197, 25, v68
	v_ashrrev_i32_e32 v70, 31, v70
	v_lshlrev_b32_e32 v73, 24, v68
	v_xor_b32_e32 v69, vcc_lo, v69
	v_cmp_gt_i32_e32 vcc_lo, 0, v71
	v_not_b32_e32 v71, v72
	v_xor_b32_e32 v198, s17, v198
	v_cmp_gt_i32_e64 s17, 0, v72
	v_and_b32_e32 v69, exec_lo, v69
	v_not_b32_e32 v72, v74
	v_ashrrev_i32_e32 v71, 31, v71
	v_xor_b32_e32 v70, vcc_lo, v70
	v_cmp_gt_i32_e32 vcc_lo, 0, v74
	v_and_b32_e32 v69, v69, v198
	v_not_b32_e32 v74, v75
	v_ashrrev_i32_e32 v72, 31, v72
	v_xor_b32_e32 v71, s17, v71
	v_cmp_gt_i32_e64 s17, 0, v75
	v_and_b32_e32 v69, v69, v70
	v_not_b32_e32 v70, v197
	v_ashrrev_i32_e32 v74, 31, v74
	v_xor_b32_e32 v72, vcc_lo, v72
	v_cmp_gt_i32_e32 vcc_lo, 0, v197
	v_and_b32_e32 v69, v69, v71
	v_not_b32_e32 v71, v73
	v_ashrrev_i32_e32 v70, 31, v70
	v_xor_b32_e32 v74, s17, v74
	v_mul_u32_u24_e32 v68, 9, v68
	v_and_b32_e32 v69, v69, v72
	v_cmp_gt_i32_e64 s17, 0, v73
	v_ashrrev_i32_e32 v71, 31, v71
	v_xor_b32_e32 v70, vcc_lo, v70
	v_add_lshl_u32 v72, v68, v158, 2
	v_and_b32_e32 v69, v69, v74
	s_delay_alu instid0(VALU_DEP_4) | instskip(SKIP_3) | instid1(VALU_DEP_2)
	v_xor_b32_e32 v68, s17, v71
	ds_load_b32 v197, v72 offset:1056
	v_and_b32_e32 v69, v69, v70
	v_add_nc_u32_e32 v199, 0x420, v72
	; wave barrier
	v_and_b32_e32 v68, v69, v68
	s_delay_alu instid0(VALU_DEP_1) | instskip(SKIP_1) | instid1(VALU_DEP_2)
	v_mbcnt_lo_u32_b32 v198, v68, 0
	v_cmp_ne_u32_e64 s17, 0, v68
	v_cmp_eq_u32_e32 vcc_lo, 0, v198
	s_delay_alu instid0(VALU_DEP_2) | instskip(NEXT) | instid1(SALU_CYCLE_1)
	s_and_b32 s18, s17, vcc_lo
	s_and_saveexec_b32 s17, s18
	s_cbranch_execz .LBB844_748
; %bb.747:                              ;   in Loop: Header=BB844_696 Depth=2
	s_waitcnt lgkmcnt(0)
	v_bcnt_u32_b32 v68, v68, v197
	ds_store_b32 v199, v68
.LBB844_748:                            ;   in Loop: Header=BB844_696 Depth=2
	s_or_b32 exec_lo, exec_lo, s17
	v_xor_b32_e32 v53, 0x80000000, v53
	; wave barrier
	s_delay_alu instid0(VALU_DEP_1) | instskip(NEXT) | instid1(VALU_DEP_1)
	v_lshrrev_b64 v[68:69], s40, v[52:53]
	v_and_b32_e32 v68, s42, v68
	s_delay_alu instid0(VALU_DEP_1)
	v_and_b32_e32 v69, 1, v68
	v_lshlrev_b32_e32 v70, 30, v68
	v_lshlrev_b32_e32 v71, 29, v68
	;; [unrolled: 1-line block ×4, first 2 shown]
	v_add_co_u32 v69, s17, v69, -1
	s_delay_alu instid0(VALU_DEP_1)
	v_cndmask_b32_e64 v73, 0, 1, s17
	v_not_b32_e32 v201, v70
	v_cmp_gt_i32_e64 s17, 0, v70
	v_not_b32_e32 v70, v71
	v_lshlrev_b32_e32 v75, 26, v68
	v_cmp_ne_u32_e32 vcc_lo, 0, v73
	v_ashrrev_i32_e32 v201, 31, v201
	v_lshlrev_b32_e32 v200, 25, v68
	v_ashrrev_i32_e32 v70, 31, v70
	v_lshlrev_b32_e32 v73, 24, v68
	v_xor_b32_e32 v69, vcc_lo, v69
	v_cmp_gt_i32_e32 vcc_lo, 0, v71
	v_not_b32_e32 v71, v72
	v_xor_b32_e32 v201, s17, v201
	v_cmp_gt_i32_e64 s17, 0, v72
	v_and_b32_e32 v69, exec_lo, v69
	v_not_b32_e32 v72, v74
	v_ashrrev_i32_e32 v71, 31, v71
	v_xor_b32_e32 v70, vcc_lo, v70
	v_cmp_gt_i32_e32 vcc_lo, 0, v74
	v_and_b32_e32 v69, v69, v201
	v_not_b32_e32 v74, v75
	v_ashrrev_i32_e32 v72, 31, v72
	v_xor_b32_e32 v71, s17, v71
	v_cmp_gt_i32_e64 s17, 0, v75
	v_and_b32_e32 v69, v69, v70
	v_not_b32_e32 v70, v200
	v_ashrrev_i32_e32 v74, 31, v74
	v_xor_b32_e32 v72, vcc_lo, v72
	v_cmp_gt_i32_e32 vcc_lo, 0, v200
	v_and_b32_e32 v69, v69, v71
	v_not_b32_e32 v71, v73
	v_ashrrev_i32_e32 v70, 31, v70
	v_xor_b32_e32 v74, s17, v74
	v_mul_u32_u24_e32 v68, 9, v68
	v_and_b32_e32 v69, v69, v72
	v_cmp_gt_i32_e64 s17, 0, v73
	v_ashrrev_i32_e32 v71, 31, v71
	v_xor_b32_e32 v70, vcc_lo, v70
	v_add_lshl_u32 v72, v68, v158, 2
	v_and_b32_e32 v69, v69, v74
	s_delay_alu instid0(VALU_DEP_4) | instskip(SKIP_3) | instid1(VALU_DEP_2)
	v_xor_b32_e32 v68, s17, v71
	ds_load_b32 v200, v72 offset:1056
	v_and_b32_e32 v69, v69, v70
	v_add_nc_u32_e32 v202, 0x420, v72
	; wave barrier
	v_and_b32_e32 v68, v69, v68
	s_delay_alu instid0(VALU_DEP_1) | instskip(SKIP_1) | instid1(VALU_DEP_2)
	v_mbcnt_lo_u32_b32 v201, v68, 0
	v_cmp_ne_u32_e64 s17, 0, v68
	v_cmp_eq_u32_e32 vcc_lo, 0, v201
	s_delay_alu instid0(VALU_DEP_2) | instskip(NEXT) | instid1(SALU_CYCLE_1)
	s_and_b32 s18, s17, vcc_lo
	s_and_saveexec_b32 s17, s18
	s_cbranch_execz .LBB844_750
; %bb.749:                              ;   in Loop: Header=BB844_696 Depth=2
	s_waitcnt lgkmcnt(0)
	v_bcnt_u32_b32 v68, v68, v200
	ds_store_b32 v202, v68
.LBB844_750:                            ;   in Loop: Header=BB844_696 Depth=2
	s_or_b32 exec_lo, exec_lo, s17
	v_xor_b32_e32 v55, 0x80000000, v55
	; wave barrier
	s_delay_alu instid0(VALU_DEP_1) | instskip(NEXT) | instid1(VALU_DEP_1)
	v_lshrrev_b64 v[68:69], s40, v[54:55]
	v_and_b32_e32 v68, s42, v68
	s_delay_alu instid0(VALU_DEP_1)
	v_and_b32_e32 v69, 1, v68
	v_lshlrev_b32_e32 v70, 30, v68
	v_lshlrev_b32_e32 v71, 29, v68
	;; [unrolled: 1-line block ×4, first 2 shown]
	v_add_co_u32 v69, s17, v69, -1
	s_delay_alu instid0(VALU_DEP_1)
	v_cndmask_b32_e64 v73, 0, 1, s17
	v_not_b32_e32 v204, v70
	v_cmp_gt_i32_e64 s17, 0, v70
	v_not_b32_e32 v70, v71
	v_lshlrev_b32_e32 v75, 26, v68
	v_cmp_ne_u32_e32 vcc_lo, 0, v73
	v_ashrrev_i32_e32 v204, 31, v204
	v_lshlrev_b32_e32 v203, 25, v68
	v_ashrrev_i32_e32 v70, 31, v70
	v_lshlrev_b32_e32 v73, 24, v68
	v_xor_b32_e32 v69, vcc_lo, v69
	v_cmp_gt_i32_e32 vcc_lo, 0, v71
	v_not_b32_e32 v71, v72
	v_xor_b32_e32 v204, s17, v204
	v_cmp_gt_i32_e64 s17, 0, v72
	v_and_b32_e32 v69, exec_lo, v69
	v_not_b32_e32 v72, v74
	v_ashrrev_i32_e32 v71, 31, v71
	v_xor_b32_e32 v70, vcc_lo, v70
	v_cmp_gt_i32_e32 vcc_lo, 0, v74
	v_and_b32_e32 v69, v69, v204
	v_not_b32_e32 v74, v75
	v_ashrrev_i32_e32 v72, 31, v72
	v_xor_b32_e32 v71, s17, v71
	v_cmp_gt_i32_e64 s17, 0, v75
	v_and_b32_e32 v69, v69, v70
	v_not_b32_e32 v70, v203
	v_ashrrev_i32_e32 v74, 31, v74
	v_xor_b32_e32 v72, vcc_lo, v72
	v_cmp_gt_i32_e32 vcc_lo, 0, v203
	v_and_b32_e32 v69, v69, v71
	v_not_b32_e32 v71, v73
	v_ashrrev_i32_e32 v70, 31, v70
	v_xor_b32_e32 v74, s17, v74
	v_mul_u32_u24_e32 v68, 9, v68
	v_and_b32_e32 v69, v69, v72
	v_cmp_gt_i32_e64 s17, 0, v73
	v_ashrrev_i32_e32 v71, 31, v71
	v_xor_b32_e32 v70, vcc_lo, v70
	v_add_lshl_u32 v72, v68, v158, 2
	v_and_b32_e32 v69, v69, v74
	s_delay_alu instid0(VALU_DEP_4) | instskip(SKIP_3) | instid1(VALU_DEP_2)
	v_xor_b32_e32 v68, s17, v71
	ds_load_b32 v203, v72 offset:1056
	v_and_b32_e32 v69, v69, v70
	v_add_nc_u32_e32 v205, 0x420, v72
	; wave barrier
	v_and_b32_e32 v68, v69, v68
	s_delay_alu instid0(VALU_DEP_1) | instskip(SKIP_1) | instid1(VALU_DEP_2)
	v_mbcnt_lo_u32_b32 v204, v68, 0
	v_cmp_ne_u32_e64 s17, 0, v68
	v_cmp_eq_u32_e32 vcc_lo, 0, v204
	s_delay_alu instid0(VALU_DEP_2) | instskip(NEXT) | instid1(SALU_CYCLE_1)
	s_and_b32 s18, s17, vcc_lo
	s_and_saveexec_b32 s17, s18
	s_cbranch_execz .LBB844_752
; %bb.751:                              ;   in Loop: Header=BB844_696 Depth=2
	s_waitcnt lgkmcnt(0)
	v_bcnt_u32_b32 v68, v68, v203
	ds_store_b32 v205, v68
.LBB844_752:                            ;   in Loop: Header=BB844_696 Depth=2
	s_or_b32 exec_lo, exec_lo, s17
	v_xor_b32_e32 v57, 0x80000000, v57
	; wave barrier
	s_delay_alu instid0(VALU_DEP_1) | instskip(NEXT) | instid1(VALU_DEP_1)
	v_lshrrev_b64 v[68:69], s40, v[56:57]
	v_and_b32_e32 v68, s42, v68
	s_delay_alu instid0(VALU_DEP_1)
	v_and_b32_e32 v69, 1, v68
	v_lshlrev_b32_e32 v70, 30, v68
	v_lshlrev_b32_e32 v71, 29, v68
	;; [unrolled: 1-line block ×4, first 2 shown]
	v_add_co_u32 v69, s17, v69, -1
	s_delay_alu instid0(VALU_DEP_1)
	v_cndmask_b32_e64 v73, 0, 1, s17
	v_not_b32_e32 v207, v70
	v_cmp_gt_i32_e64 s17, 0, v70
	v_not_b32_e32 v70, v71
	v_lshlrev_b32_e32 v75, 26, v68
	v_cmp_ne_u32_e32 vcc_lo, 0, v73
	v_ashrrev_i32_e32 v207, 31, v207
	v_lshlrev_b32_e32 v206, 25, v68
	v_ashrrev_i32_e32 v70, 31, v70
	v_lshlrev_b32_e32 v73, 24, v68
	v_xor_b32_e32 v69, vcc_lo, v69
	v_cmp_gt_i32_e32 vcc_lo, 0, v71
	v_not_b32_e32 v71, v72
	v_xor_b32_e32 v207, s17, v207
	v_cmp_gt_i32_e64 s17, 0, v72
	v_and_b32_e32 v69, exec_lo, v69
	v_not_b32_e32 v72, v74
	v_ashrrev_i32_e32 v71, 31, v71
	v_xor_b32_e32 v70, vcc_lo, v70
	v_cmp_gt_i32_e32 vcc_lo, 0, v74
	v_and_b32_e32 v69, v69, v207
	v_not_b32_e32 v74, v75
	v_ashrrev_i32_e32 v72, 31, v72
	v_xor_b32_e32 v71, s17, v71
	v_cmp_gt_i32_e64 s17, 0, v75
	v_and_b32_e32 v69, v69, v70
	v_not_b32_e32 v70, v206
	v_ashrrev_i32_e32 v74, 31, v74
	v_xor_b32_e32 v72, vcc_lo, v72
	v_cmp_gt_i32_e32 vcc_lo, 0, v206
	v_and_b32_e32 v69, v69, v71
	v_not_b32_e32 v71, v73
	v_ashrrev_i32_e32 v70, 31, v70
	v_xor_b32_e32 v74, s17, v74
	v_mul_u32_u24_e32 v68, 9, v68
	v_and_b32_e32 v69, v69, v72
	v_cmp_gt_i32_e64 s17, 0, v73
	v_ashrrev_i32_e32 v71, 31, v71
	v_xor_b32_e32 v70, vcc_lo, v70
	v_add_lshl_u32 v72, v68, v158, 2
	v_and_b32_e32 v69, v69, v74
	s_delay_alu instid0(VALU_DEP_4) | instskip(SKIP_3) | instid1(VALU_DEP_2)
	v_xor_b32_e32 v68, s17, v71
	ds_load_b32 v206, v72 offset:1056
	v_and_b32_e32 v69, v69, v70
	v_add_nc_u32_e32 v208, 0x420, v72
	; wave barrier
	v_and_b32_e32 v68, v69, v68
	s_delay_alu instid0(VALU_DEP_1) | instskip(SKIP_1) | instid1(VALU_DEP_2)
	v_mbcnt_lo_u32_b32 v207, v68, 0
	v_cmp_ne_u32_e64 s17, 0, v68
	v_cmp_eq_u32_e32 vcc_lo, 0, v207
	s_delay_alu instid0(VALU_DEP_2) | instskip(NEXT) | instid1(SALU_CYCLE_1)
	s_and_b32 s18, s17, vcc_lo
	s_and_saveexec_b32 s17, s18
	s_cbranch_execz .LBB844_754
; %bb.753:                              ;   in Loop: Header=BB844_696 Depth=2
	s_waitcnt lgkmcnt(0)
	v_bcnt_u32_b32 v68, v68, v206
	ds_store_b32 v208, v68
.LBB844_754:                            ;   in Loop: Header=BB844_696 Depth=2
	s_or_b32 exec_lo, exec_lo, s17
	v_xor_b32_e32 v59, 0x80000000, v59
	; wave barrier
	s_delay_alu instid0(VALU_DEP_1) | instskip(NEXT) | instid1(VALU_DEP_1)
	v_lshrrev_b64 v[68:69], s40, v[58:59]
	v_and_b32_e32 v68, s42, v68
	s_delay_alu instid0(VALU_DEP_1)
	v_and_b32_e32 v69, 1, v68
	v_lshlrev_b32_e32 v70, 30, v68
	v_lshlrev_b32_e32 v71, 29, v68
	;; [unrolled: 1-line block ×4, first 2 shown]
	v_add_co_u32 v69, s17, v69, -1
	s_delay_alu instid0(VALU_DEP_1)
	v_cndmask_b32_e64 v73, 0, 1, s17
	v_not_b32_e32 v210, v70
	v_cmp_gt_i32_e64 s17, 0, v70
	v_not_b32_e32 v70, v71
	v_lshlrev_b32_e32 v75, 26, v68
	v_cmp_ne_u32_e32 vcc_lo, 0, v73
	v_ashrrev_i32_e32 v210, 31, v210
	v_lshlrev_b32_e32 v209, 25, v68
	v_ashrrev_i32_e32 v70, 31, v70
	v_lshlrev_b32_e32 v73, 24, v68
	v_xor_b32_e32 v69, vcc_lo, v69
	v_cmp_gt_i32_e32 vcc_lo, 0, v71
	v_not_b32_e32 v71, v72
	v_xor_b32_e32 v210, s17, v210
	v_cmp_gt_i32_e64 s17, 0, v72
	v_and_b32_e32 v69, exec_lo, v69
	v_not_b32_e32 v72, v74
	v_ashrrev_i32_e32 v71, 31, v71
	v_xor_b32_e32 v70, vcc_lo, v70
	v_cmp_gt_i32_e32 vcc_lo, 0, v74
	v_and_b32_e32 v69, v69, v210
	v_not_b32_e32 v74, v75
	v_ashrrev_i32_e32 v72, 31, v72
	v_xor_b32_e32 v71, s17, v71
	v_cmp_gt_i32_e64 s17, 0, v75
	v_and_b32_e32 v69, v69, v70
	v_not_b32_e32 v70, v209
	v_ashrrev_i32_e32 v74, 31, v74
	v_xor_b32_e32 v72, vcc_lo, v72
	v_cmp_gt_i32_e32 vcc_lo, 0, v209
	v_and_b32_e32 v69, v69, v71
	v_not_b32_e32 v71, v73
	v_ashrrev_i32_e32 v70, 31, v70
	v_xor_b32_e32 v74, s17, v74
	v_mul_u32_u24_e32 v68, 9, v68
	v_and_b32_e32 v69, v69, v72
	v_cmp_gt_i32_e64 s17, 0, v73
	v_ashrrev_i32_e32 v71, 31, v71
	v_xor_b32_e32 v70, vcc_lo, v70
	v_add_lshl_u32 v72, v68, v158, 2
	v_and_b32_e32 v69, v69, v74
	s_delay_alu instid0(VALU_DEP_4) | instskip(SKIP_3) | instid1(VALU_DEP_2)
	v_xor_b32_e32 v68, s17, v71
	ds_load_b32 v209, v72 offset:1056
	v_and_b32_e32 v69, v69, v70
	v_add_nc_u32_e32 v211, 0x420, v72
	; wave barrier
	v_and_b32_e32 v68, v69, v68
	s_delay_alu instid0(VALU_DEP_1) | instskip(SKIP_1) | instid1(VALU_DEP_2)
	v_mbcnt_lo_u32_b32 v210, v68, 0
	v_cmp_ne_u32_e64 s17, 0, v68
	v_cmp_eq_u32_e32 vcc_lo, 0, v210
	s_delay_alu instid0(VALU_DEP_2) | instskip(NEXT) | instid1(SALU_CYCLE_1)
	s_and_b32 s18, s17, vcc_lo
	s_and_saveexec_b32 s17, s18
	s_cbranch_execz .LBB844_756
; %bb.755:                              ;   in Loop: Header=BB844_696 Depth=2
	s_waitcnt lgkmcnt(0)
	v_bcnt_u32_b32 v68, v68, v209
	ds_store_b32 v211, v68
.LBB844_756:                            ;   in Loop: Header=BB844_696 Depth=2
	s_or_b32 exec_lo, exec_lo, s17
	v_xor_b32_e32 v61, 0x80000000, v61
	; wave barrier
	s_delay_alu instid0(VALU_DEP_1) | instskip(NEXT) | instid1(VALU_DEP_1)
	v_lshrrev_b64 v[68:69], s40, v[60:61]
	v_and_b32_e32 v68, s42, v68
	s_delay_alu instid0(VALU_DEP_1)
	v_and_b32_e32 v69, 1, v68
	v_lshlrev_b32_e32 v70, 30, v68
	v_lshlrev_b32_e32 v71, 29, v68
	;; [unrolled: 1-line block ×4, first 2 shown]
	v_add_co_u32 v69, s17, v69, -1
	s_delay_alu instid0(VALU_DEP_1)
	v_cndmask_b32_e64 v73, 0, 1, s17
	v_not_b32_e32 v213, v70
	v_cmp_gt_i32_e64 s17, 0, v70
	v_not_b32_e32 v70, v71
	v_lshlrev_b32_e32 v75, 26, v68
	v_cmp_ne_u32_e32 vcc_lo, 0, v73
	v_ashrrev_i32_e32 v213, 31, v213
	v_lshlrev_b32_e32 v212, 25, v68
	v_ashrrev_i32_e32 v70, 31, v70
	v_lshlrev_b32_e32 v73, 24, v68
	v_xor_b32_e32 v69, vcc_lo, v69
	v_cmp_gt_i32_e32 vcc_lo, 0, v71
	v_not_b32_e32 v71, v72
	v_xor_b32_e32 v213, s17, v213
	v_cmp_gt_i32_e64 s17, 0, v72
	v_and_b32_e32 v69, exec_lo, v69
	v_not_b32_e32 v72, v74
	v_ashrrev_i32_e32 v71, 31, v71
	v_xor_b32_e32 v70, vcc_lo, v70
	v_cmp_gt_i32_e32 vcc_lo, 0, v74
	v_and_b32_e32 v69, v69, v213
	v_not_b32_e32 v74, v75
	v_ashrrev_i32_e32 v72, 31, v72
	v_xor_b32_e32 v71, s17, v71
	v_cmp_gt_i32_e64 s17, 0, v75
	v_and_b32_e32 v69, v69, v70
	v_not_b32_e32 v70, v212
	v_ashrrev_i32_e32 v74, 31, v74
	v_xor_b32_e32 v72, vcc_lo, v72
	v_cmp_gt_i32_e32 vcc_lo, 0, v212
	v_and_b32_e32 v69, v69, v71
	v_not_b32_e32 v71, v73
	v_ashrrev_i32_e32 v70, 31, v70
	v_xor_b32_e32 v74, s17, v74
	v_mul_u32_u24_e32 v68, 9, v68
	v_and_b32_e32 v69, v69, v72
	v_cmp_gt_i32_e64 s17, 0, v73
	v_ashrrev_i32_e32 v71, 31, v71
	v_xor_b32_e32 v70, vcc_lo, v70
	v_add_lshl_u32 v72, v68, v158, 2
	v_and_b32_e32 v69, v69, v74
	s_delay_alu instid0(VALU_DEP_4) | instskip(SKIP_3) | instid1(VALU_DEP_2)
	v_xor_b32_e32 v68, s17, v71
	ds_load_b32 v212, v72 offset:1056
	v_and_b32_e32 v69, v69, v70
	v_add_nc_u32_e32 v214, 0x420, v72
	; wave barrier
	v_and_b32_e32 v68, v69, v68
	s_delay_alu instid0(VALU_DEP_1) | instskip(SKIP_1) | instid1(VALU_DEP_2)
	v_mbcnt_lo_u32_b32 v213, v68, 0
	v_cmp_ne_u32_e64 s17, 0, v68
	v_cmp_eq_u32_e32 vcc_lo, 0, v213
	s_delay_alu instid0(VALU_DEP_2) | instskip(NEXT) | instid1(SALU_CYCLE_1)
	s_and_b32 s18, s17, vcc_lo
	s_and_saveexec_b32 s17, s18
	s_cbranch_execz .LBB844_758
; %bb.757:                              ;   in Loop: Header=BB844_696 Depth=2
	s_waitcnt lgkmcnt(0)
	v_bcnt_u32_b32 v68, v68, v212
	ds_store_b32 v214, v68
.LBB844_758:                            ;   in Loop: Header=BB844_696 Depth=2
	s_or_b32 exec_lo, exec_lo, s17
	v_xor_b32_e32 v63, 0x80000000, v63
	; wave barrier
	s_delay_alu instid0(VALU_DEP_1) | instskip(NEXT) | instid1(VALU_DEP_1)
	v_lshrrev_b64 v[68:69], s40, v[62:63]
	v_and_b32_e32 v68, s42, v68
	s_delay_alu instid0(VALU_DEP_1)
	v_and_b32_e32 v69, 1, v68
	v_lshlrev_b32_e32 v70, 30, v68
	v_lshlrev_b32_e32 v71, 29, v68
	;; [unrolled: 1-line block ×4, first 2 shown]
	v_add_co_u32 v69, s17, v69, -1
	s_delay_alu instid0(VALU_DEP_1)
	v_cndmask_b32_e64 v73, 0, 1, s17
	v_not_b32_e32 v216, v70
	v_cmp_gt_i32_e64 s17, 0, v70
	v_not_b32_e32 v70, v71
	v_lshlrev_b32_e32 v75, 26, v68
	v_cmp_ne_u32_e32 vcc_lo, 0, v73
	v_ashrrev_i32_e32 v216, 31, v216
	v_lshlrev_b32_e32 v215, 25, v68
	v_ashrrev_i32_e32 v70, 31, v70
	v_lshlrev_b32_e32 v73, 24, v68
	v_xor_b32_e32 v69, vcc_lo, v69
	v_cmp_gt_i32_e32 vcc_lo, 0, v71
	v_not_b32_e32 v71, v72
	v_xor_b32_e32 v216, s17, v216
	v_cmp_gt_i32_e64 s17, 0, v72
	v_and_b32_e32 v69, exec_lo, v69
	v_not_b32_e32 v72, v74
	v_ashrrev_i32_e32 v71, 31, v71
	v_xor_b32_e32 v70, vcc_lo, v70
	v_cmp_gt_i32_e32 vcc_lo, 0, v74
	v_and_b32_e32 v69, v69, v216
	v_not_b32_e32 v74, v75
	v_ashrrev_i32_e32 v72, 31, v72
	v_xor_b32_e32 v71, s17, v71
	v_cmp_gt_i32_e64 s17, 0, v75
	v_and_b32_e32 v69, v69, v70
	v_not_b32_e32 v70, v215
	v_ashrrev_i32_e32 v74, 31, v74
	v_xor_b32_e32 v72, vcc_lo, v72
	v_cmp_gt_i32_e32 vcc_lo, 0, v215
	v_and_b32_e32 v69, v69, v71
	v_not_b32_e32 v71, v73
	v_ashrrev_i32_e32 v70, 31, v70
	v_xor_b32_e32 v74, s17, v74
	v_mul_u32_u24_e32 v68, 9, v68
	v_and_b32_e32 v69, v69, v72
	v_cmp_gt_i32_e64 s17, 0, v73
	v_ashrrev_i32_e32 v71, 31, v71
	v_xor_b32_e32 v70, vcc_lo, v70
	v_add_lshl_u32 v72, v68, v158, 2
	v_and_b32_e32 v69, v69, v74
	s_delay_alu instid0(VALU_DEP_4) | instskip(SKIP_3) | instid1(VALU_DEP_2)
	v_xor_b32_e32 v68, s17, v71
	ds_load_b32 v215, v72 offset:1056
	v_and_b32_e32 v69, v69, v70
	v_add_nc_u32_e32 v217, 0x420, v72
	; wave barrier
	v_and_b32_e32 v68, v69, v68
	s_delay_alu instid0(VALU_DEP_1) | instskip(SKIP_1) | instid1(VALU_DEP_2)
	v_mbcnt_lo_u32_b32 v216, v68, 0
	v_cmp_ne_u32_e64 s17, 0, v68
	v_cmp_eq_u32_e32 vcc_lo, 0, v216
	s_delay_alu instid0(VALU_DEP_2) | instskip(NEXT) | instid1(SALU_CYCLE_1)
	s_and_b32 s18, s17, vcc_lo
	s_and_saveexec_b32 s17, s18
	s_cbranch_execz .LBB844_760
; %bb.759:                              ;   in Loop: Header=BB844_696 Depth=2
	s_waitcnt lgkmcnt(0)
	v_bcnt_u32_b32 v68, v68, v215
	ds_store_b32 v217, v68
.LBB844_760:                            ;   in Loop: Header=BB844_696 Depth=2
	s_or_b32 exec_lo, exec_lo, s17
	v_xor_b32_e32 v65, 0x80000000, v65
	; wave barrier
	s_delay_alu instid0(VALU_DEP_1) | instskip(NEXT) | instid1(VALU_DEP_1)
	v_lshrrev_b64 v[68:69], s40, v[64:65]
	v_and_b32_e32 v68, s42, v68
	s_delay_alu instid0(VALU_DEP_1)
	v_and_b32_e32 v69, 1, v68
	v_lshlrev_b32_e32 v70, 30, v68
	v_lshlrev_b32_e32 v71, 29, v68
	;; [unrolled: 1-line block ×4, first 2 shown]
	v_add_co_u32 v69, s17, v69, -1
	s_delay_alu instid0(VALU_DEP_1)
	v_cndmask_b32_e64 v73, 0, 1, s17
	v_not_b32_e32 v219, v70
	v_cmp_gt_i32_e64 s17, 0, v70
	v_not_b32_e32 v70, v71
	v_lshlrev_b32_e32 v75, 26, v68
	v_cmp_ne_u32_e32 vcc_lo, 0, v73
	v_ashrrev_i32_e32 v219, 31, v219
	v_lshlrev_b32_e32 v218, 25, v68
	v_ashrrev_i32_e32 v70, 31, v70
	v_lshlrev_b32_e32 v73, 24, v68
	v_xor_b32_e32 v69, vcc_lo, v69
	v_cmp_gt_i32_e32 vcc_lo, 0, v71
	v_not_b32_e32 v71, v72
	v_xor_b32_e32 v219, s17, v219
	v_cmp_gt_i32_e64 s17, 0, v72
	v_and_b32_e32 v69, exec_lo, v69
	v_not_b32_e32 v72, v74
	v_ashrrev_i32_e32 v71, 31, v71
	v_xor_b32_e32 v70, vcc_lo, v70
	v_cmp_gt_i32_e32 vcc_lo, 0, v74
	v_and_b32_e32 v69, v69, v219
	v_not_b32_e32 v74, v75
	v_ashrrev_i32_e32 v72, 31, v72
	v_xor_b32_e32 v71, s17, v71
	v_cmp_gt_i32_e64 s17, 0, v75
	v_and_b32_e32 v69, v69, v70
	v_not_b32_e32 v70, v218
	v_ashrrev_i32_e32 v74, 31, v74
	v_xor_b32_e32 v72, vcc_lo, v72
	v_cmp_gt_i32_e32 vcc_lo, 0, v218
	v_and_b32_e32 v69, v69, v71
	v_not_b32_e32 v71, v73
	v_ashrrev_i32_e32 v70, 31, v70
	v_xor_b32_e32 v74, s17, v74
	v_mul_u32_u24_e32 v68, 9, v68
	v_and_b32_e32 v69, v69, v72
	v_cmp_gt_i32_e64 s17, 0, v73
	v_ashrrev_i32_e32 v71, 31, v71
	v_xor_b32_e32 v70, vcc_lo, v70
	v_add_lshl_u32 v72, v68, v158, 2
	v_and_b32_e32 v69, v69, v74
	s_delay_alu instid0(VALU_DEP_4) | instskip(SKIP_3) | instid1(VALU_DEP_2)
	v_xor_b32_e32 v68, s17, v71
	ds_load_b32 v218, v72 offset:1056
	v_and_b32_e32 v69, v69, v70
	v_add_nc_u32_e32 v220, 0x420, v72
	; wave barrier
	v_and_b32_e32 v68, v69, v68
	s_delay_alu instid0(VALU_DEP_1) | instskip(SKIP_1) | instid1(VALU_DEP_2)
	v_mbcnt_lo_u32_b32 v219, v68, 0
	v_cmp_ne_u32_e64 s17, 0, v68
	v_cmp_eq_u32_e32 vcc_lo, 0, v219
	s_delay_alu instid0(VALU_DEP_2) | instskip(NEXT) | instid1(SALU_CYCLE_1)
	s_and_b32 s18, s17, vcc_lo
	s_and_saveexec_b32 s17, s18
	s_cbranch_execz .LBB844_762
; %bb.761:                              ;   in Loop: Header=BB844_696 Depth=2
	s_waitcnt lgkmcnt(0)
	v_bcnt_u32_b32 v68, v68, v218
	ds_store_b32 v220, v68
.LBB844_762:                            ;   in Loop: Header=BB844_696 Depth=2
	s_or_b32 exec_lo, exec_lo, s17
	v_xor_b32_e32 v67, 0x80000000, v67
	; wave barrier
	s_delay_alu instid0(VALU_DEP_1) | instskip(NEXT) | instid1(VALU_DEP_1)
	v_lshrrev_b64 v[68:69], s40, v[66:67]
	v_and_b32_e32 v68, s42, v68
	s_delay_alu instid0(VALU_DEP_1)
	v_and_b32_e32 v69, 1, v68
	v_lshlrev_b32_e32 v70, 30, v68
	v_lshlrev_b32_e32 v71, 29, v68
	;; [unrolled: 1-line block ×4, first 2 shown]
	v_add_co_u32 v69, s17, v69, -1
	s_delay_alu instid0(VALU_DEP_1)
	v_cndmask_b32_e64 v73, 0, 1, s17
	v_not_b32_e32 v222, v70
	v_cmp_gt_i32_e64 s17, 0, v70
	v_not_b32_e32 v70, v71
	v_lshlrev_b32_e32 v75, 26, v68
	v_cmp_ne_u32_e32 vcc_lo, 0, v73
	v_ashrrev_i32_e32 v222, 31, v222
	v_lshlrev_b32_e32 v221, 25, v68
	v_ashrrev_i32_e32 v70, 31, v70
	v_lshlrev_b32_e32 v73, 24, v68
	v_xor_b32_e32 v69, vcc_lo, v69
	v_cmp_gt_i32_e32 vcc_lo, 0, v71
	v_not_b32_e32 v71, v72
	v_xor_b32_e32 v222, s17, v222
	v_cmp_gt_i32_e64 s17, 0, v72
	v_and_b32_e32 v69, exec_lo, v69
	v_not_b32_e32 v72, v74
	v_ashrrev_i32_e32 v71, 31, v71
	v_xor_b32_e32 v70, vcc_lo, v70
	v_cmp_gt_i32_e32 vcc_lo, 0, v74
	v_and_b32_e32 v69, v69, v222
	v_not_b32_e32 v74, v75
	v_ashrrev_i32_e32 v72, 31, v72
	v_xor_b32_e32 v71, s17, v71
	v_cmp_gt_i32_e64 s17, 0, v75
	v_and_b32_e32 v69, v69, v70
	v_not_b32_e32 v70, v221
	v_ashrrev_i32_e32 v74, 31, v74
	v_xor_b32_e32 v72, vcc_lo, v72
	v_cmp_gt_i32_e32 vcc_lo, 0, v221
	v_and_b32_e32 v69, v69, v71
	v_not_b32_e32 v71, v73
	v_ashrrev_i32_e32 v70, 31, v70
	v_xor_b32_e32 v74, s17, v74
	v_mul_u32_u24_e32 v68, 9, v68
	v_and_b32_e32 v69, v69, v72
	v_cmp_gt_i32_e64 s17, 0, v73
	v_ashrrev_i32_e32 v71, 31, v71
	v_xor_b32_e32 v70, vcc_lo, v70
	v_add_lshl_u32 v72, v68, v158, 2
	v_and_b32_e32 v69, v69, v74
	s_delay_alu instid0(VALU_DEP_4) | instskip(SKIP_3) | instid1(VALU_DEP_2)
	v_xor_b32_e32 v68, s17, v71
	ds_load_b32 v221, v72 offset:1056
	v_and_b32_e32 v69, v69, v70
	v_add_nc_u32_e32 v223, 0x420, v72
	; wave barrier
	v_and_b32_e32 v68, v69, v68
	s_delay_alu instid0(VALU_DEP_1) | instskip(SKIP_1) | instid1(VALU_DEP_2)
	v_mbcnt_lo_u32_b32 v222, v68, 0
	v_cmp_ne_u32_e64 s17, 0, v68
	v_cmp_eq_u32_e32 vcc_lo, 0, v222
	s_delay_alu instid0(VALU_DEP_2) | instskip(NEXT) | instid1(SALU_CYCLE_1)
	s_and_b32 s18, s17, vcc_lo
	s_and_saveexec_b32 s17, s18
	s_cbranch_execz .LBB844_764
; %bb.763:                              ;   in Loop: Header=BB844_696 Depth=2
	s_waitcnt lgkmcnt(0)
	v_bcnt_u32_b32 v68, v68, v221
	ds_store_b32 v223, v68
.LBB844_764:                            ;   in Loop: Header=BB844_696 Depth=2
	s_or_b32 exec_lo, exec_lo, s17
	; wave barrier
	s_waitcnt lgkmcnt(0)
	s_barrier
	buffer_gl0_inv
	ds_load_b32 v224, v102 offset:1056
	ds_load_2addr_b32 v[74:75], v103 offset0:1 offset1:2
	ds_load_2addr_b32 v[72:73], v103 offset0:3 offset1:4
	;; [unrolled: 1-line block ×4, first 2 shown]
	s_waitcnt lgkmcnt(3)
	v_add3_u32 v225, v74, v224, v75
	s_waitcnt lgkmcnt(2)
	s_delay_alu instid0(VALU_DEP_1) | instskip(SKIP_1) | instid1(VALU_DEP_1)
	v_add3_u32 v225, v225, v72, v73
	s_waitcnt lgkmcnt(1)
	v_add3_u32 v225, v225, v68, v69
	s_waitcnt lgkmcnt(0)
	s_delay_alu instid0(VALU_DEP_1) | instskip(NEXT) | instid1(VALU_DEP_1)
	v_add3_u32 v71, v225, v70, v71
	v_mov_b32_dpp v225, v71 row_shr:1 row_mask:0xf bank_mask:0xf
	s_delay_alu instid0(VALU_DEP_1) | instskip(NEXT) | instid1(VALU_DEP_1)
	v_cndmask_b32_e64 v225, v225, 0, s1
	v_add_nc_u32_e32 v71, v225, v71
	s_delay_alu instid0(VALU_DEP_1) | instskip(NEXT) | instid1(VALU_DEP_1)
	v_mov_b32_dpp v225, v71 row_shr:2 row_mask:0xf bank_mask:0xf
	v_cndmask_b32_e64 v225, 0, v225, s7
	s_delay_alu instid0(VALU_DEP_1) | instskip(NEXT) | instid1(VALU_DEP_1)
	v_add_nc_u32_e32 v71, v71, v225
	v_mov_b32_dpp v225, v71 row_shr:4 row_mask:0xf bank_mask:0xf
	s_delay_alu instid0(VALU_DEP_1) | instskip(NEXT) | instid1(VALU_DEP_1)
	v_cndmask_b32_e64 v225, 0, v225, s8
	v_add_nc_u32_e32 v71, v71, v225
	s_delay_alu instid0(VALU_DEP_1) | instskip(NEXT) | instid1(VALU_DEP_1)
	v_mov_b32_dpp v225, v71 row_shr:8 row_mask:0xf bank_mask:0xf
	v_cndmask_b32_e64 v225, 0, v225, s9
	s_delay_alu instid0(VALU_DEP_1) | instskip(SKIP_3) | instid1(VALU_DEP_1)
	v_add_nc_u32_e32 v71, v71, v225
	ds_swizzle_b32 v225, v71 offset:swizzle(BROADCAST,32,15)
	s_waitcnt lgkmcnt(0)
	v_cndmask_b32_e64 v225, v225, 0, s10
	v_add_nc_u32_e32 v71, v71, v225
	s_and_saveexec_b32 s17, s3
	s_cbranch_execz .LBB844_766
; %bb.765:                              ;   in Loop: Header=BB844_696 Depth=2
	ds_store_b32 v94, v71 offset:1024
.LBB844_766:                            ;   in Loop: Header=BB844_696 Depth=2
	s_or_b32 exec_lo, exec_lo, s17
	s_waitcnt lgkmcnt(0)
	s_barrier
	buffer_gl0_inv
	s_and_saveexec_b32 s17, s4
	s_cbranch_execz .LBB844_768
; %bb.767:                              ;   in Loop: Header=BB844_696 Depth=2
	ds_load_b32 v225, v104 offset:1024
	s_waitcnt lgkmcnt(0)
	v_mov_b32_dpp v226, v225 row_shr:1 row_mask:0xf bank_mask:0xf
	s_delay_alu instid0(VALU_DEP_1) | instskip(NEXT) | instid1(VALU_DEP_1)
	v_cndmask_b32_e64 v226, v226, 0, s12
	v_add_nc_u32_e32 v225, v226, v225
	s_delay_alu instid0(VALU_DEP_1) | instskip(NEXT) | instid1(VALU_DEP_1)
	v_mov_b32_dpp v226, v225 row_shr:2 row_mask:0xf bank_mask:0xf
	v_cndmask_b32_e64 v226, 0, v226, s13
	s_delay_alu instid0(VALU_DEP_1) | instskip(NEXT) | instid1(VALU_DEP_1)
	v_add_nc_u32_e32 v225, v225, v226
	v_mov_b32_dpp v226, v225 row_shr:4 row_mask:0xf bank_mask:0xf
	s_delay_alu instid0(VALU_DEP_1) | instskip(NEXT) | instid1(VALU_DEP_1)
	v_cndmask_b32_e64 v226, 0, v226, s16
	v_add_nc_u32_e32 v225, v225, v226
	ds_store_b32 v104, v225 offset:1024
.LBB844_768:                            ;   in Loop: Header=BB844_696 Depth=2
	s_or_b32 exec_lo, exec_lo, s17
	v_mov_b32_e32 v225, 0
	s_waitcnt lgkmcnt(0)
	s_barrier
	buffer_gl0_inv
	s_and_saveexec_b32 s17, s5
	s_cbranch_execz .LBB844_770
; %bb.769:                              ;   in Loop: Header=BB844_696 Depth=2
	ds_load_b32 v225, v94 offset:1020
.LBB844_770:                            ;   in Loop: Header=BB844_696 Depth=2
	s_or_b32 exec_lo, exec_lo, s17
	s_waitcnt lgkmcnt(0)
	v_add_nc_u32_e32 v71, v225, v71
	ds_bpermute_b32 v71, v137, v71
	s_waitcnt lgkmcnt(0)
	v_cndmask_b32_e64 v71, v71, v225, s11
	s_delay_alu instid0(VALU_DEP_1) | instskip(NEXT) | instid1(VALU_DEP_1)
	v_cndmask_b32_e64 v71, v71, 0, s0
	v_add_nc_u32_e32 v224, v71, v224
	s_delay_alu instid0(VALU_DEP_1) | instskip(NEXT) | instid1(VALU_DEP_1)
	v_add_nc_u32_e32 v74, v224, v74
	v_add_nc_u32_e32 v75, v74, v75
	s_delay_alu instid0(VALU_DEP_1) | instskip(NEXT) | instid1(VALU_DEP_1)
	v_add_nc_u32_e32 v72, v75, v72
	;; [unrolled: 3-line block ×3, first 2 shown]
	v_add_nc_u32_e32 v69, v68, v69
	s_delay_alu instid0(VALU_DEP_1)
	v_add_nc_u32_e32 v70, v69, v70
	ds_store_b32 v102, v71 offset:1056
	ds_store_2addr_b32 v103, v224, v74 offset0:1 offset1:2
	ds_store_2addr_b32 v103, v75, v72 offset0:3 offset1:4
	;; [unrolled: 1-line block ×4, first 2 shown]
	v_mov_b32_e32 v68, 0x1000
	s_waitcnt lgkmcnt(0)
	s_barrier
	buffer_gl0_inv
	ds_load_b32 v70, v181
	ds_load_b32 v71, v184
	;; [unrolled: 1-line block ×16, first 2 shown]
	ds_load_b32 v178, v102 offset:1056
	s_and_saveexec_b32 s17, s6
	s_cbranch_execz .LBB844_772
; %bb.771:                              ;   in Loop: Header=BB844_696 Depth=2
	ds_load_b32 v68, v105 offset:1056
.LBB844_772:                            ;   in Loop: Header=BB844_696 Depth=2
	s_or_b32 exec_lo, exec_lo, s17
	s_waitcnt lgkmcnt(0)
	s_barrier
	buffer_gl0_inv
	s_and_saveexec_b32 s17, s2
	s_cbranch_execz .LBB844_774
; %bb.773:                              ;   in Loop: Header=BB844_696 Depth=2
	ds_load_b32 v202, v76
	s_waitcnt lgkmcnt(0)
	v_sub_nc_u32_e32 v178, v202, v178
	ds_store_b32 v76, v178
.LBB844_774:                            ;   in Loop: Header=BB844_696 Depth=2
	s_or_b32 exec_lo, exec_lo, s17
	v_add_nc_u32_e32 v179, v180, v179
	v_add_nc_u32_e32 v194, v195, v194
	;; [unrolled: 1-line block ×3, first 2 shown]
	v_add_lshl_u32 v69, v69, v2, 3
	v_add_nc_u32_e32 v2, v183, v182
	v_add_lshl_u32 v70, v179, v70, 3
	v_add_nc_u32_e32 v180, v186, v185
	v_add_nc_u32_e32 v182, v189, v188
	;; [unrolled: 1-line block ×11, first 2 shown]
	ds_store_b64 v69, v[36:37] offset:1024
	v_add_lshl_u32 v71, v2, v71, 3
	ds_store_b64 v70, v[38:39] offset:1024
	v_add_lshl_u32 v38, v191, v225, 3
	v_add_lshl_u32 v39, v194, v224, 3
	;; [unrolled: 1-line block ×4, first 2 shown]
	ds_store_b64 v71, v[40:41] offset:1024
	ds_store_b64 v72, v[42:43] offset:1024
	ds_store_b64 v73, v[44:45] offset:1024
	ds_store_b64 v38, v[46:47] offset:1024
	v_add_lshl_u32 v40, v197, v199, 3
	v_add_lshl_u32 v41, v200, v196, 3
	;; [unrolled: 1-line block ×3, first 2 shown]
	ds_store_b64 v39, v[48:49] offset:1024
	v_add_lshl_u32 v43, v206, v190, 3
	v_add_lshl_u32 v44, v209, v187, 3
	;; [unrolled: 1-line block ×6, first 2 shown]
	v_cmp_lt_u32_e32 vcc_lo, v1, v177
	ds_store_b64 v40, v[50:51] offset:1024
	ds_store_b64 v41, v[52:53] offset:1024
	;; [unrolled: 1-line block ×9, first 2 shown]
	s_waitcnt lgkmcnt(0)
	s_barrier
	buffer_gl0_inv
	s_and_saveexec_b32 s18, vcc_lo
	s_cbranch_execz .LBB844_790
; %bb.775:                              ;   in Loop: Header=BB844_696 Depth=2
	v_add_nc_u32_e32 v2, v104, v76
	ds_load_b64 v[36:37], v2 offset:1024
	s_waitcnt lgkmcnt(0)
	v_lshrrev_b64 v[49:50], s40, v[36:37]
	v_xor_b32_e32 v37, 0x80000000, v37
	s_delay_alu instid0(VALU_DEP_2) | instskip(NEXT) | instid1(VALU_DEP_1)
	v_and_b32_e32 v2, s42, v49
	v_lshlrev_b32_e32 v2, 2, v2
	ds_load_b32 v2, v2
	s_waitcnt lgkmcnt(0)
	v_add_nc_u32_e32 v2, v2, v1
	s_delay_alu instid0(VALU_DEP_1) | instskip(NEXT) | instid1(VALU_DEP_1)
	v_lshlrev_b64 v[49:50], 3, v[2:3]
	v_add_co_u32 v49, s17, s46, v49
	s_delay_alu instid0(VALU_DEP_1) | instskip(SKIP_3) | instid1(VALU_DEP_1)
	v_add_co_ci_u32_e64 v50, s17, s47, v50, s17
	global_store_b64 v[49:50], v[36:37], off
	s_or_b32 exec_lo, exec_lo, s18
	v_cmp_lt_u32_e64 s17, v77, v177
	s_and_saveexec_b32 s19, s17
	s_cbranch_execnz .LBB844_791
.LBB844_776:                            ;   in Loop: Header=BB844_696 Depth=2
	s_or_b32 exec_lo, exec_lo, s19
	v_cmp_lt_u32_e64 s18, v78, v177
	s_delay_alu instid0(VALU_DEP_1)
	s_and_saveexec_b32 s20, s18
	s_cbranch_execz .LBB844_792
.LBB844_777:                            ;   in Loop: Header=BB844_696 Depth=2
	ds_load_b64 v[36:37], v110 offset:4096
	s_waitcnt lgkmcnt(0)
	v_lshrrev_b64 v[49:50], s40, v[36:37]
	v_xor_b32_e32 v37, 0x80000000, v37
	s_delay_alu instid0(VALU_DEP_2) | instskip(NEXT) | instid1(VALU_DEP_1)
	v_and_b32_e32 v2, s42, v49
	v_lshlrev_b32_e32 v2, 2, v2
	ds_load_b32 v2, v2
	s_waitcnt lgkmcnt(0)
	v_add_nc_u32_e32 v2, v2, v78
	s_delay_alu instid0(VALU_DEP_1) | instskip(NEXT) | instid1(VALU_DEP_1)
	v_lshlrev_b64 v[49:50], 3, v[2:3]
	v_add_co_u32 v49, s19, s46, v49
	s_delay_alu instid0(VALU_DEP_1) | instskip(SKIP_3) | instid1(VALU_DEP_1)
	v_add_co_ci_u32_e64 v50, s19, s47, v50, s19
	global_store_b64 v[49:50], v[36:37], off
	s_or_b32 exec_lo, exec_lo, s20
	v_cmp_lt_u32_e64 s19, v79, v177
	s_and_saveexec_b32 s21, s19
	s_cbranch_execnz .LBB844_793
.LBB844_778:                            ;   in Loop: Header=BB844_696 Depth=2
	s_or_b32 exec_lo, exec_lo, s21
	v_cmp_lt_u32_e64 s20, v83, v177
	s_delay_alu instid0(VALU_DEP_1)
	s_and_saveexec_b32 s22, s20
	s_cbranch_execz .LBB844_794
.LBB844_779:                            ;   in Loop: Header=BB844_696 Depth=2
	ds_load_b64 v[36:37], v110 offset:8192
	s_waitcnt lgkmcnt(0)
	v_lshrrev_b64 v[49:50], s40, v[36:37]
	v_xor_b32_e32 v37, 0x80000000, v37
	s_delay_alu instid0(VALU_DEP_2) | instskip(NEXT) | instid1(VALU_DEP_1)
	v_and_b32_e32 v2, s42, v49
	v_lshlrev_b32_e32 v2, 2, v2
	ds_load_b32 v2, v2
	s_waitcnt lgkmcnt(0)
	v_add_nc_u32_e32 v2, v2, v83
	s_delay_alu instid0(VALU_DEP_1) | instskip(NEXT) | instid1(VALU_DEP_1)
	v_lshlrev_b64 v[49:50], 3, v[2:3]
	v_add_co_u32 v49, s21, s46, v49
	s_delay_alu instid0(VALU_DEP_1) | instskip(SKIP_3) | instid1(VALU_DEP_1)
	v_add_co_ci_u32_e64 v50, s21, s47, v50, s21
	global_store_b64 v[49:50], v[36:37], off
	s_or_b32 exec_lo, exec_lo, s22
	v_cmp_lt_u32_e64 s21, v84, v177
	s_and_saveexec_b32 s23, s21
	s_cbranch_execnz .LBB844_795
.LBB844_780:                            ;   in Loop: Header=BB844_696 Depth=2
	s_or_b32 exec_lo, exec_lo, s23
	v_cmp_lt_u32_e64 s22, v85, v177
	s_delay_alu instid0(VALU_DEP_1)
	s_and_saveexec_b32 s24, s22
	s_cbranch_execz .LBB844_796
.LBB844_781:                            ;   in Loop: Header=BB844_696 Depth=2
	ds_load_b64 v[36:37], v110 offset:12288
	s_waitcnt lgkmcnt(0)
	v_lshrrev_b64 v[49:50], s40, v[36:37]
	v_xor_b32_e32 v37, 0x80000000, v37
	s_delay_alu instid0(VALU_DEP_2) | instskip(NEXT) | instid1(VALU_DEP_1)
	v_and_b32_e32 v2, s42, v49
	v_lshlrev_b32_e32 v2, 2, v2
	ds_load_b32 v2, v2
	s_waitcnt lgkmcnt(0)
	v_add_nc_u32_e32 v2, v2, v85
	s_delay_alu instid0(VALU_DEP_1) | instskip(NEXT) | instid1(VALU_DEP_1)
	v_lshlrev_b64 v[49:50], 3, v[2:3]
	v_add_co_u32 v49, s23, s46, v49
	s_delay_alu instid0(VALU_DEP_1) | instskip(SKIP_3) | instid1(VALU_DEP_1)
	v_add_co_ci_u32_e64 v50, s23, s47, v50, s23
	global_store_b64 v[49:50], v[36:37], off
	s_or_b32 exec_lo, exec_lo, s24
	v_cmp_lt_u32_e64 s23, v86, v177
	s_and_saveexec_b32 s25, s23
	s_cbranch_execnz .LBB844_797
.LBB844_782:                            ;   in Loop: Header=BB844_696 Depth=2
	s_or_b32 exec_lo, exec_lo, s25
	v_cmp_lt_u32_e64 s24, v87, v177
	s_delay_alu instid0(VALU_DEP_1)
	s_and_saveexec_b32 s26, s24
	s_cbranch_execz .LBB844_798
.LBB844_783:                            ;   in Loop: Header=BB844_696 Depth=2
	ds_load_b64 v[36:37], v110 offset:16384
	s_waitcnt lgkmcnt(0)
	v_lshrrev_b64 v[49:50], s40, v[36:37]
	v_xor_b32_e32 v37, 0x80000000, v37
	s_delay_alu instid0(VALU_DEP_2) | instskip(NEXT) | instid1(VALU_DEP_1)
	v_and_b32_e32 v2, s42, v49
	v_lshlrev_b32_e32 v2, 2, v2
	ds_load_b32 v2, v2
	s_waitcnt lgkmcnt(0)
	v_add_nc_u32_e32 v2, v2, v87
	s_delay_alu instid0(VALU_DEP_1) | instskip(NEXT) | instid1(VALU_DEP_1)
	v_lshlrev_b64 v[49:50], 3, v[2:3]
	v_add_co_u32 v49, s25, s46, v49
	s_delay_alu instid0(VALU_DEP_1) | instskip(SKIP_3) | instid1(VALU_DEP_1)
	v_add_co_ci_u32_e64 v50, s25, s47, v50, s25
	global_store_b64 v[49:50], v[36:37], off
	s_or_b32 exec_lo, exec_lo, s26
	v_cmp_lt_u32_e64 s25, v88, v177
	s_and_saveexec_b32 s27, s25
	s_cbranch_execnz .LBB844_799
.LBB844_784:                            ;   in Loop: Header=BB844_696 Depth=2
	s_or_b32 exec_lo, exec_lo, s27
	v_cmp_lt_u32_e64 s26, v89, v177
	s_delay_alu instid0(VALU_DEP_1)
	s_and_saveexec_b32 s28, s26
	s_cbranch_execz .LBB844_800
.LBB844_785:                            ;   in Loop: Header=BB844_696 Depth=2
	ds_load_b64 v[36:37], v110 offset:20480
	s_waitcnt lgkmcnt(0)
	v_lshrrev_b64 v[49:50], s40, v[36:37]
	v_xor_b32_e32 v37, 0x80000000, v37
	s_delay_alu instid0(VALU_DEP_2) | instskip(NEXT) | instid1(VALU_DEP_1)
	v_and_b32_e32 v2, s42, v49
	v_lshlrev_b32_e32 v2, 2, v2
	ds_load_b32 v2, v2
	s_waitcnt lgkmcnt(0)
	v_add_nc_u32_e32 v2, v2, v89
	s_delay_alu instid0(VALU_DEP_1) | instskip(NEXT) | instid1(VALU_DEP_1)
	v_lshlrev_b64 v[49:50], 3, v[2:3]
	v_add_co_u32 v49, s27, s46, v49
	s_delay_alu instid0(VALU_DEP_1) | instskip(SKIP_3) | instid1(VALU_DEP_1)
	v_add_co_ci_u32_e64 v50, s27, s47, v50, s27
	global_store_b64 v[49:50], v[36:37], off
	s_or_b32 exec_lo, exec_lo, s28
	v_cmp_lt_u32_e64 s27, v90, v177
	s_and_saveexec_b32 s29, s27
	s_cbranch_execnz .LBB844_801
.LBB844_786:                            ;   in Loop: Header=BB844_696 Depth=2
	s_or_b32 exec_lo, exec_lo, s29
	v_cmp_lt_u32_e64 s28, v91, v177
	s_delay_alu instid0(VALU_DEP_1)
	s_and_saveexec_b32 s30, s28
	s_cbranch_execz .LBB844_802
.LBB844_787:                            ;   in Loop: Header=BB844_696 Depth=2
	ds_load_b64 v[36:37], v110 offset:24576
	s_waitcnt lgkmcnt(0)
	v_lshrrev_b64 v[49:50], s40, v[36:37]
	v_xor_b32_e32 v37, 0x80000000, v37
	s_delay_alu instid0(VALU_DEP_2) | instskip(NEXT) | instid1(VALU_DEP_1)
	v_and_b32_e32 v2, s42, v49
	v_lshlrev_b32_e32 v2, 2, v2
	ds_load_b32 v2, v2
	s_waitcnt lgkmcnt(0)
	v_add_nc_u32_e32 v2, v2, v91
	s_delay_alu instid0(VALU_DEP_1) | instskip(NEXT) | instid1(VALU_DEP_1)
	v_lshlrev_b64 v[49:50], 3, v[2:3]
	v_add_co_u32 v49, s29, s46, v49
	s_delay_alu instid0(VALU_DEP_1) | instskip(SKIP_3) | instid1(VALU_DEP_1)
	v_add_co_ci_u32_e64 v50, s29, s47, v50, s29
	global_store_b64 v[49:50], v[36:37], off
	s_or_b32 exec_lo, exec_lo, s30
	v_cmp_lt_u32_e64 s29, v92, v177
	s_and_saveexec_b32 s31, s29
	s_cbranch_execnz .LBB844_803
.LBB844_788:                            ;   in Loop: Header=BB844_696 Depth=2
	s_or_b32 exec_lo, exec_lo, s31
	v_cmp_lt_u32_e64 s30, v93, v177
	s_delay_alu instid0(VALU_DEP_1)
	s_and_saveexec_b32 s33, s30
	s_cbranch_execz .LBB844_804
.LBB844_789:                            ;   in Loop: Header=BB844_696 Depth=2
	ds_load_b64 v[36:37], v110 offset:28672
	s_waitcnt lgkmcnt(0)
	v_lshrrev_b64 v[49:50], s40, v[36:37]
	v_xor_b32_e32 v37, 0x80000000, v37
	s_delay_alu instid0(VALU_DEP_2) | instskip(NEXT) | instid1(VALU_DEP_1)
	v_and_b32_e32 v2, s42, v49
	v_lshlrev_b32_e32 v2, 2, v2
	ds_load_b32 v2, v2
	s_waitcnt lgkmcnt(0)
	v_add_nc_u32_e32 v2, v2, v93
	s_delay_alu instid0(VALU_DEP_1) | instskip(NEXT) | instid1(VALU_DEP_1)
	v_lshlrev_b64 v[49:50], 3, v[2:3]
	v_add_co_u32 v49, s31, s46, v49
	s_delay_alu instid0(VALU_DEP_1) | instskip(SKIP_3) | instid1(VALU_DEP_1)
	v_add_co_ci_u32_e64 v50, s31, s47, v50, s31
	global_store_b64 v[49:50], v[36:37], off
	s_or_b32 exec_lo, exec_lo, s33
	v_cmp_lt_u32_e64 s31, v95, v177
	s_and_saveexec_b32 s51, s31
	s_cbranch_execnz .LBB844_805
	s_branch .LBB844_806
.LBB844_790:                            ;   in Loop: Header=BB844_696 Depth=2
	s_or_b32 exec_lo, exec_lo, s18
	v_cmp_lt_u32_e64 s17, v77, v177
	s_delay_alu instid0(VALU_DEP_1)
	s_and_saveexec_b32 s19, s17
	s_cbranch_execz .LBB844_776
.LBB844_791:                            ;   in Loop: Header=BB844_696 Depth=2
	ds_load_b64 v[36:37], v110 offset:2048
	s_waitcnt lgkmcnt(0)
	v_lshrrev_b64 v[49:50], s40, v[36:37]
	v_xor_b32_e32 v37, 0x80000000, v37
	s_delay_alu instid0(VALU_DEP_2) | instskip(NEXT) | instid1(VALU_DEP_1)
	v_and_b32_e32 v2, s42, v49
	v_lshlrev_b32_e32 v2, 2, v2
	ds_load_b32 v2, v2
	s_waitcnt lgkmcnt(0)
	v_add_nc_u32_e32 v2, v2, v77
	s_delay_alu instid0(VALU_DEP_1) | instskip(NEXT) | instid1(VALU_DEP_1)
	v_lshlrev_b64 v[49:50], 3, v[2:3]
	v_add_co_u32 v49, s18, s46, v49
	s_delay_alu instid0(VALU_DEP_1) | instskip(SKIP_3) | instid1(VALU_DEP_1)
	v_add_co_ci_u32_e64 v50, s18, s47, v50, s18
	global_store_b64 v[49:50], v[36:37], off
	s_or_b32 exec_lo, exec_lo, s19
	v_cmp_lt_u32_e64 s18, v78, v177
	s_and_saveexec_b32 s20, s18
	s_cbranch_execnz .LBB844_777
.LBB844_792:                            ;   in Loop: Header=BB844_696 Depth=2
	s_or_b32 exec_lo, exec_lo, s20
	v_cmp_lt_u32_e64 s19, v79, v177
	s_delay_alu instid0(VALU_DEP_1)
	s_and_saveexec_b32 s21, s19
	s_cbranch_execz .LBB844_778
.LBB844_793:                            ;   in Loop: Header=BB844_696 Depth=2
	ds_load_b64 v[36:37], v110 offset:6144
	s_waitcnt lgkmcnt(0)
	v_lshrrev_b64 v[49:50], s40, v[36:37]
	v_xor_b32_e32 v37, 0x80000000, v37
	s_delay_alu instid0(VALU_DEP_2) | instskip(NEXT) | instid1(VALU_DEP_1)
	v_and_b32_e32 v2, s42, v49
	v_lshlrev_b32_e32 v2, 2, v2
	ds_load_b32 v2, v2
	s_waitcnt lgkmcnt(0)
	v_add_nc_u32_e32 v2, v2, v79
	s_delay_alu instid0(VALU_DEP_1) | instskip(NEXT) | instid1(VALU_DEP_1)
	v_lshlrev_b64 v[49:50], 3, v[2:3]
	v_add_co_u32 v49, s20, s46, v49
	s_delay_alu instid0(VALU_DEP_1) | instskip(SKIP_3) | instid1(VALU_DEP_1)
	v_add_co_ci_u32_e64 v50, s20, s47, v50, s20
	global_store_b64 v[49:50], v[36:37], off
	s_or_b32 exec_lo, exec_lo, s21
	v_cmp_lt_u32_e64 s20, v83, v177
	s_and_saveexec_b32 s22, s20
	s_cbranch_execnz .LBB844_779
.LBB844_794:                            ;   in Loop: Header=BB844_696 Depth=2
	s_or_b32 exec_lo, exec_lo, s22
	v_cmp_lt_u32_e64 s21, v84, v177
	s_delay_alu instid0(VALU_DEP_1)
	s_and_saveexec_b32 s23, s21
	s_cbranch_execz .LBB844_780
.LBB844_795:                            ;   in Loop: Header=BB844_696 Depth=2
	ds_load_b64 v[36:37], v110 offset:10240
	s_waitcnt lgkmcnt(0)
	v_lshrrev_b64 v[49:50], s40, v[36:37]
	v_xor_b32_e32 v37, 0x80000000, v37
	s_delay_alu instid0(VALU_DEP_2) | instskip(NEXT) | instid1(VALU_DEP_1)
	v_and_b32_e32 v2, s42, v49
	v_lshlrev_b32_e32 v2, 2, v2
	ds_load_b32 v2, v2
	s_waitcnt lgkmcnt(0)
	v_add_nc_u32_e32 v2, v2, v84
	s_delay_alu instid0(VALU_DEP_1) | instskip(NEXT) | instid1(VALU_DEP_1)
	v_lshlrev_b64 v[49:50], 3, v[2:3]
	v_add_co_u32 v49, s22, s46, v49
	s_delay_alu instid0(VALU_DEP_1) | instskip(SKIP_3) | instid1(VALU_DEP_1)
	v_add_co_ci_u32_e64 v50, s22, s47, v50, s22
	global_store_b64 v[49:50], v[36:37], off
	s_or_b32 exec_lo, exec_lo, s23
	v_cmp_lt_u32_e64 s22, v85, v177
	s_and_saveexec_b32 s24, s22
	s_cbranch_execnz .LBB844_781
.LBB844_796:                            ;   in Loop: Header=BB844_696 Depth=2
	s_or_b32 exec_lo, exec_lo, s24
	v_cmp_lt_u32_e64 s23, v86, v177
	s_delay_alu instid0(VALU_DEP_1)
	s_and_saveexec_b32 s25, s23
	s_cbranch_execz .LBB844_782
.LBB844_797:                            ;   in Loop: Header=BB844_696 Depth=2
	ds_load_b64 v[36:37], v110 offset:14336
	s_waitcnt lgkmcnt(0)
	v_lshrrev_b64 v[49:50], s40, v[36:37]
	v_xor_b32_e32 v37, 0x80000000, v37
	s_delay_alu instid0(VALU_DEP_2) | instskip(NEXT) | instid1(VALU_DEP_1)
	v_and_b32_e32 v2, s42, v49
	v_lshlrev_b32_e32 v2, 2, v2
	ds_load_b32 v2, v2
	s_waitcnt lgkmcnt(0)
	v_add_nc_u32_e32 v2, v2, v86
	s_delay_alu instid0(VALU_DEP_1) | instskip(NEXT) | instid1(VALU_DEP_1)
	v_lshlrev_b64 v[49:50], 3, v[2:3]
	v_add_co_u32 v49, s24, s46, v49
	s_delay_alu instid0(VALU_DEP_1) | instskip(SKIP_3) | instid1(VALU_DEP_1)
	v_add_co_ci_u32_e64 v50, s24, s47, v50, s24
	global_store_b64 v[49:50], v[36:37], off
	s_or_b32 exec_lo, exec_lo, s25
	v_cmp_lt_u32_e64 s24, v87, v177
	s_and_saveexec_b32 s26, s24
	s_cbranch_execnz .LBB844_783
.LBB844_798:                            ;   in Loop: Header=BB844_696 Depth=2
	s_or_b32 exec_lo, exec_lo, s26
	v_cmp_lt_u32_e64 s25, v88, v177
	s_delay_alu instid0(VALU_DEP_1)
	s_and_saveexec_b32 s27, s25
	s_cbranch_execz .LBB844_784
.LBB844_799:                            ;   in Loop: Header=BB844_696 Depth=2
	ds_load_b64 v[36:37], v110 offset:18432
	s_waitcnt lgkmcnt(0)
	v_lshrrev_b64 v[49:50], s40, v[36:37]
	v_xor_b32_e32 v37, 0x80000000, v37
	s_delay_alu instid0(VALU_DEP_2) | instskip(NEXT) | instid1(VALU_DEP_1)
	v_and_b32_e32 v2, s42, v49
	v_lshlrev_b32_e32 v2, 2, v2
	ds_load_b32 v2, v2
	s_waitcnt lgkmcnt(0)
	v_add_nc_u32_e32 v2, v2, v88
	s_delay_alu instid0(VALU_DEP_1) | instskip(NEXT) | instid1(VALU_DEP_1)
	v_lshlrev_b64 v[49:50], 3, v[2:3]
	v_add_co_u32 v49, s26, s46, v49
	s_delay_alu instid0(VALU_DEP_1) | instskip(SKIP_3) | instid1(VALU_DEP_1)
	v_add_co_ci_u32_e64 v50, s26, s47, v50, s26
	global_store_b64 v[49:50], v[36:37], off
	s_or_b32 exec_lo, exec_lo, s27
	v_cmp_lt_u32_e64 s26, v89, v177
	s_and_saveexec_b32 s28, s26
	s_cbranch_execnz .LBB844_785
.LBB844_800:                            ;   in Loop: Header=BB844_696 Depth=2
	s_or_b32 exec_lo, exec_lo, s28
	v_cmp_lt_u32_e64 s27, v90, v177
	s_delay_alu instid0(VALU_DEP_1)
	s_and_saveexec_b32 s29, s27
	s_cbranch_execz .LBB844_786
.LBB844_801:                            ;   in Loop: Header=BB844_696 Depth=2
	ds_load_b64 v[36:37], v110 offset:22528
	s_waitcnt lgkmcnt(0)
	v_lshrrev_b64 v[49:50], s40, v[36:37]
	v_xor_b32_e32 v37, 0x80000000, v37
	s_delay_alu instid0(VALU_DEP_2) | instskip(NEXT) | instid1(VALU_DEP_1)
	v_and_b32_e32 v2, s42, v49
	v_lshlrev_b32_e32 v2, 2, v2
	ds_load_b32 v2, v2
	s_waitcnt lgkmcnt(0)
	v_add_nc_u32_e32 v2, v2, v90
	s_delay_alu instid0(VALU_DEP_1) | instskip(NEXT) | instid1(VALU_DEP_1)
	v_lshlrev_b64 v[49:50], 3, v[2:3]
	v_add_co_u32 v49, s28, s46, v49
	s_delay_alu instid0(VALU_DEP_1) | instskip(SKIP_3) | instid1(VALU_DEP_1)
	v_add_co_ci_u32_e64 v50, s28, s47, v50, s28
	global_store_b64 v[49:50], v[36:37], off
	s_or_b32 exec_lo, exec_lo, s29
	v_cmp_lt_u32_e64 s28, v91, v177
	s_and_saveexec_b32 s30, s28
	s_cbranch_execnz .LBB844_787
.LBB844_802:                            ;   in Loop: Header=BB844_696 Depth=2
	s_or_b32 exec_lo, exec_lo, s30
	v_cmp_lt_u32_e64 s29, v92, v177
	s_delay_alu instid0(VALU_DEP_1)
	s_and_saveexec_b32 s31, s29
	s_cbranch_execz .LBB844_788
.LBB844_803:                            ;   in Loop: Header=BB844_696 Depth=2
	ds_load_b64 v[36:37], v110 offset:26624
	s_waitcnt lgkmcnt(0)
	v_lshrrev_b64 v[49:50], s40, v[36:37]
	v_xor_b32_e32 v37, 0x80000000, v37
	s_delay_alu instid0(VALU_DEP_2) | instskip(NEXT) | instid1(VALU_DEP_1)
	v_and_b32_e32 v2, s42, v49
	v_lshlrev_b32_e32 v2, 2, v2
	ds_load_b32 v2, v2
	s_waitcnt lgkmcnt(0)
	v_add_nc_u32_e32 v2, v2, v92
	s_delay_alu instid0(VALU_DEP_1) | instskip(NEXT) | instid1(VALU_DEP_1)
	v_lshlrev_b64 v[49:50], 3, v[2:3]
	v_add_co_u32 v49, s30, s46, v49
	s_delay_alu instid0(VALU_DEP_1) | instskip(SKIP_3) | instid1(VALU_DEP_1)
	v_add_co_ci_u32_e64 v50, s30, s47, v50, s30
	global_store_b64 v[49:50], v[36:37], off
	s_or_b32 exec_lo, exec_lo, s31
	v_cmp_lt_u32_e64 s30, v93, v177
	s_and_saveexec_b32 s33, s30
	s_cbranch_execnz .LBB844_789
.LBB844_804:                            ;   in Loop: Header=BB844_696 Depth=2
	s_or_b32 exec_lo, exec_lo, s33
	v_cmp_lt_u32_e64 s31, v95, v177
	s_delay_alu instid0(VALU_DEP_1)
	s_and_saveexec_b32 s51, s31
	s_cbranch_execz .LBB844_806
.LBB844_805:                            ;   in Loop: Header=BB844_696 Depth=2
	ds_load_b64 v[36:37], v110 offset:30720
	s_waitcnt lgkmcnt(0)
	v_lshrrev_b64 v[49:50], s40, v[36:37]
	v_xor_b32_e32 v37, 0x80000000, v37
	s_delay_alu instid0(VALU_DEP_2) | instskip(NEXT) | instid1(VALU_DEP_1)
	v_and_b32_e32 v2, s42, v49
	v_lshlrev_b32_e32 v2, 2, v2
	ds_load_b32 v2, v2
	s_waitcnt lgkmcnt(0)
	v_add_nc_u32_e32 v2, v2, v95
	s_delay_alu instid0(VALU_DEP_1) | instskip(NEXT) | instid1(VALU_DEP_1)
	v_lshlrev_b64 v[49:50], 3, v[2:3]
	v_add_co_u32 v49, s33, s46, v49
	s_delay_alu instid0(VALU_DEP_1)
	v_add_co_ci_u32_e64 v50, s33, s47, v50, s33
	global_store_b64 v[49:50], v[36:37], off
.LBB844_806:                            ;   in Loop: Header=BB844_696 Depth=2
	s_or_b32 exec_lo, exec_lo, s51
	s_lshl_b64 s[64:65], s[34:35], 3
	s_delay_alu instid0(SALU_CYCLE_1) | instskip(NEXT) | instid1(VALU_DEP_1)
	v_add_co_u32 v36, s33, v139, s64
	v_add_co_ci_u32_e64 v37, s33, s65, v140, s33
	v_cmp_lt_u32_e64 s33, v138, v177
	s_delay_alu instid0(VALU_DEP_1) | instskip(NEXT) | instid1(SALU_CYCLE_1)
	s_and_saveexec_b32 s34, s33
	s_xor_b32 s33, exec_lo, s34
	s_cbranch_execz .LBB844_838
; %bb.807:                              ;   in Loop: Header=BB844_696 Depth=2
	global_load_b64 v[34:35], v[36:37], off
	s_or_b32 exec_lo, exec_lo, s33
	s_delay_alu instid0(SALU_CYCLE_1)
	s_mov_b32 s34, exec_lo
	v_cmpx_lt_u32_e64 v141, v177
	s_cbranch_execnz .LBB844_839
.LBB844_808:                            ;   in Loop: Header=BB844_696 Depth=2
	s_or_b32 exec_lo, exec_lo, s34
	s_delay_alu instid0(SALU_CYCLE_1)
	s_mov_b32 s34, exec_lo
	v_cmpx_lt_u32_e64 v142, v177
	s_cbranch_execz .LBB844_840
.LBB844_809:                            ;   in Loop: Header=BB844_696 Depth=2
	global_load_b64 v[30:31], v[36:37], off offset:512
	s_or_b32 exec_lo, exec_lo, s34
	s_delay_alu instid0(SALU_CYCLE_1)
	s_mov_b32 s34, exec_lo
	v_cmpx_lt_u32_e64 v143, v177
	s_cbranch_execnz .LBB844_841
.LBB844_810:                            ;   in Loop: Header=BB844_696 Depth=2
	s_or_b32 exec_lo, exec_lo, s34
	s_delay_alu instid0(SALU_CYCLE_1)
	s_mov_b32 s34, exec_lo
	v_cmpx_lt_u32_e64 v144, v177
	s_cbranch_execz .LBB844_842
.LBB844_811:                            ;   in Loop: Header=BB844_696 Depth=2
	global_load_b64 v[26:27], v[36:37], off offset:1024
	s_or_b32 exec_lo, exec_lo, s34
	s_delay_alu instid0(SALU_CYCLE_1)
	s_mov_b32 s34, exec_lo
	v_cmpx_lt_u32_e64 v145, v177
	s_cbranch_execnz .LBB844_843
.LBB844_812:                            ;   in Loop: Header=BB844_696 Depth=2
	s_or_b32 exec_lo, exec_lo, s34
	s_delay_alu instid0(SALU_CYCLE_1)
	s_mov_b32 s34, exec_lo
	v_cmpx_lt_u32_e64 v146, v177
	s_cbranch_execz .LBB844_844
.LBB844_813:                            ;   in Loop: Header=BB844_696 Depth=2
	global_load_b64 v[22:23], v[36:37], off offset:1536
	s_or_b32 exec_lo, exec_lo, s34
	s_delay_alu instid0(SALU_CYCLE_1)
	s_mov_b32 s34, exec_lo
	v_cmpx_lt_u32_e64 v147, v177
	s_cbranch_execnz .LBB844_845
.LBB844_814:                            ;   in Loop: Header=BB844_696 Depth=2
	s_or_b32 exec_lo, exec_lo, s34
	s_delay_alu instid0(SALU_CYCLE_1)
	s_mov_b32 s34, exec_lo
	v_cmpx_lt_u32_e64 v148, v177
	s_cbranch_execz .LBB844_846
.LBB844_815:                            ;   in Loop: Header=BB844_696 Depth=2
	global_load_b64 v[18:19], v[36:37], off offset:2048
	s_or_b32 exec_lo, exec_lo, s34
	s_delay_alu instid0(SALU_CYCLE_1)
	s_mov_b32 s34, exec_lo
	v_cmpx_lt_u32_e64 v149, v177
	s_cbranch_execnz .LBB844_847
.LBB844_816:                            ;   in Loop: Header=BB844_696 Depth=2
	s_or_b32 exec_lo, exec_lo, s34
	s_delay_alu instid0(SALU_CYCLE_1)
	s_mov_b32 s34, exec_lo
	v_cmpx_lt_u32_e64 v150, v177
	s_cbranch_execz .LBB844_848
.LBB844_817:                            ;   in Loop: Header=BB844_696 Depth=2
	global_load_b64 v[14:15], v[36:37], off offset:2560
	s_or_b32 exec_lo, exec_lo, s34
	s_delay_alu instid0(SALU_CYCLE_1)
	s_mov_b32 s34, exec_lo
	v_cmpx_lt_u32_e64 v151, v177
	s_cbranch_execnz .LBB844_849
.LBB844_818:                            ;   in Loop: Header=BB844_696 Depth=2
	s_or_b32 exec_lo, exec_lo, s34
	s_delay_alu instid0(SALU_CYCLE_1)
	s_mov_b32 s34, exec_lo
	v_cmpx_lt_u32_e64 v152, v177
	s_cbranch_execz .LBB844_850
.LBB844_819:                            ;   in Loop: Header=BB844_696 Depth=2
	global_load_b64 v[10:11], v[36:37], off offset:3072
	s_or_b32 exec_lo, exec_lo, s34
	s_delay_alu instid0(SALU_CYCLE_1)
	s_mov_b32 s34, exec_lo
	v_cmpx_lt_u32_e64 v153, v177
	s_cbranch_execnz .LBB844_851
.LBB844_820:                            ;   in Loop: Header=BB844_696 Depth=2
	s_or_b32 exec_lo, exec_lo, s34
	s_delay_alu instid0(SALU_CYCLE_1)
	s_mov_b32 s34, exec_lo
	v_cmpx_lt_u32_e64 v154, v177
	s_cbranch_execz .LBB844_852
.LBB844_821:                            ;   in Loop: Header=BB844_696 Depth=2
	global_load_b64 v[6:7], v[36:37], off offset:3584
	s_or_b32 exec_lo, exec_lo, s34
	s_delay_alu instid0(SALU_CYCLE_1)
	s_mov_b32 s34, exec_lo
	v_cmpx_lt_u32_e64 v155, v177
	s_cbranch_execnz .LBB844_853
.LBB844_822:                            ;   in Loop: Header=BB844_696 Depth=2
	s_or_b32 exec_lo, exec_lo, s34
	s_and_saveexec_b32 s33, vcc_lo
	s_cbranch_execz .LBB844_854
.LBB844_823:                            ;   in Loop: Header=BB844_696 Depth=2
	v_add_nc_u32_e32 v2, v104, v76
	ds_load_b64 v[36:37], v2 offset:1024
	s_waitcnt lgkmcnt(0)
	v_lshrrev_b64 v[36:37], s40, v[36:37]
	s_delay_alu instid0(VALU_DEP_1)
	v_and_b32_e32 v176, s42, v36
	s_or_b32 exec_lo, exec_lo, s33
	s_and_saveexec_b32 s33, s17
	s_cbranch_execnz .LBB844_855
.LBB844_824:                            ;   in Loop: Header=BB844_696 Depth=2
	s_or_b32 exec_lo, exec_lo, s33
	s_and_saveexec_b32 s33, s18
	s_cbranch_execz .LBB844_856
.LBB844_825:                            ;   in Loop: Header=BB844_696 Depth=2
	ds_load_b64 v[36:37], v110 offset:4096
	s_waitcnt lgkmcnt(0)
	v_lshrrev_b64 v[36:37], s40, v[36:37]
	s_delay_alu instid0(VALU_DEP_1)
	v_and_b32_e32 v174, s42, v36
	s_or_b32 exec_lo, exec_lo, s33
	s_and_saveexec_b32 s33, s19
	s_cbranch_execnz .LBB844_857
.LBB844_826:                            ;   in Loop: Header=BB844_696 Depth=2
	s_or_b32 exec_lo, exec_lo, s33
	s_and_saveexec_b32 s33, s20
	s_cbranch_execz .LBB844_858
.LBB844_827:                            ;   in Loop: Header=BB844_696 Depth=2
	ds_load_b64 v[36:37], v110 offset:8192
	s_waitcnt lgkmcnt(0)
	v_lshrrev_b64 v[36:37], s40, v[36:37]
	s_delay_alu instid0(VALU_DEP_1)
	v_and_b32_e32 v172, s42, v36
	s_or_b32 exec_lo, exec_lo, s33
	s_and_saveexec_b32 s33, s21
	s_cbranch_execnz .LBB844_859
.LBB844_828:                            ;   in Loop: Header=BB844_696 Depth=2
	s_or_b32 exec_lo, exec_lo, s33
	s_and_saveexec_b32 s33, s22
	s_cbranch_execz .LBB844_860
.LBB844_829:                            ;   in Loop: Header=BB844_696 Depth=2
	ds_load_b64 v[36:37], v110 offset:12288
	s_waitcnt lgkmcnt(0)
	v_lshrrev_b64 v[36:37], s40, v[36:37]
	s_delay_alu instid0(VALU_DEP_1)
	v_and_b32_e32 v170, s42, v36
	s_or_b32 exec_lo, exec_lo, s33
	s_and_saveexec_b32 s33, s23
	s_cbranch_execnz .LBB844_861
.LBB844_830:                            ;   in Loop: Header=BB844_696 Depth=2
	s_or_b32 exec_lo, exec_lo, s33
	s_and_saveexec_b32 s33, s24
	s_cbranch_execz .LBB844_862
.LBB844_831:                            ;   in Loop: Header=BB844_696 Depth=2
	ds_load_b64 v[36:37], v110 offset:16384
	s_waitcnt lgkmcnt(0)
	v_lshrrev_b64 v[36:37], s40, v[36:37]
	s_delay_alu instid0(VALU_DEP_1)
	v_and_b32_e32 v168, s42, v36
	s_or_b32 exec_lo, exec_lo, s33
	s_and_saveexec_b32 s33, s25
	s_cbranch_execnz .LBB844_863
.LBB844_832:                            ;   in Loop: Header=BB844_696 Depth=2
	s_or_b32 exec_lo, exec_lo, s33
	s_and_saveexec_b32 s33, s26
	s_cbranch_execz .LBB844_864
.LBB844_833:                            ;   in Loop: Header=BB844_696 Depth=2
	ds_load_b64 v[36:37], v110 offset:20480
	s_waitcnt lgkmcnt(0)
	v_lshrrev_b64 v[36:37], s40, v[36:37]
	s_delay_alu instid0(VALU_DEP_1)
	v_and_b32_e32 v166, s42, v36
	s_or_b32 exec_lo, exec_lo, s33
	s_and_saveexec_b32 s33, s27
	s_cbranch_execnz .LBB844_865
.LBB844_834:                            ;   in Loop: Header=BB844_696 Depth=2
	s_or_b32 exec_lo, exec_lo, s33
	s_and_saveexec_b32 s33, s28
	s_cbranch_execz .LBB844_866
.LBB844_835:                            ;   in Loop: Header=BB844_696 Depth=2
	ds_load_b64 v[36:37], v110 offset:24576
	s_waitcnt lgkmcnt(0)
	v_lshrrev_b64 v[36:37], s40, v[36:37]
	s_delay_alu instid0(VALU_DEP_1)
	v_and_b32_e32 v164, s42, v36
	s_or_b32 exec_lo, exec_lo, s33
	s_and_saveexec_b32 s33, s29
	s_cbranch_execnz .LBB844_867
.LBB844_836:                            ;   in Loop: Header=BB844_696 Depth=2
	s_or_b32 exec_lo, exec_lo, s33
	s_and_saveexec_b32 s33, s30
	s_cbranch_execz .LBB844_868
.LBB844_837:                            ;   in Loop: Header=BB844_696 Depth=2
	ds_load_b64 v[36:37], v110 offset:28672
	s_waitcnt lgkmcnt(0)
	v_lshrrev_b64 v[36:37], s40, v[36:37]
	s_delay_alu instid0(VALU_DEP_1)
	v_and_b32_e32 v162, s42, v36
	s_or_b32 exec_lo, exec_lo, s33
	s_and_saveexec_b32 s33, s31
	s_cbranch_execnz .LBB844_869
	s_branch .LBB844_870
.LBB844_838:                            ;   in Loop: Header=BB844_696 Depth=2
	s_or_b32 exec_lo, exec_lo, s33
	s_delay_alu instid0(SALU_CYCLE_1)
	s_mov_b32 s34, exec_lo
	v_cmpx_lt_u32_e64 v141, v177
	s_cbranch_execz .LBB844_808
.LBB844_839:                            ;   in Loop: Header=BB844_696 Depth=2
	global_load_b64 v[32:33], v[36:37], off offset:256
	s_or_b32 exec_lo, exec_lo, s34
	s_delay_alu instid0(SALU_CYCLE_1)
	s_mov_b32 s34, exec_lo
	v_cmpx_lt_u32_e64 v142, v177
	s_cbranch_execnz .LBB844_809
.LBB844_840:                            ;   in Loop: Header=BB844_696 Depth=2
	s_or_b32 exec_lo, exec_lo, s34
	s_delay_alu instid0(SALU_CYCLE_1)
	s_mov_b32 s34, exec_lo
	v_cmpx_lt_u32_e64 v143, v177
	s_cbranch_execz .LBB844_810
.LBB844_841:                            ;   in Loop: Header=BB844_696 Depth=2
	global_load_b64 v[28:29], v[36:37], off offset:768
	s_or_b32 exec_lo, exec_lo, s34
	s_delay_alu instid0(SALU_CYCLE_1)
	s_mov_b32 s34, exec_lo
	v_cmpx_lt_u32_e64 v144, v177
	s_cbranch_execnz .LBB844_811
.LBB844_842:                            ;   in Loop: Header=BB844_696 Depth=2
	s_or_b32 exec_lo, exec_lo, s34
	s_delay_alu instid0(SALU_CYCLE_1)
	s_mov_b32 s34, exec_lo
	v_cmpx_lt_u32_e64 v145, v177
	s_cbranch_execz .LBB844_812
.LBB844_843:                            ;   in Loop: Header=BB844_696 Depth=2
	global_load_b64 v[24:25], v[36:37], off offset:1280
	s_or_b32 exec_lo, exec_lo, s34
	s_delay_alu instid0(SALU_CYCLE_1)
	s_mov_b32 s34, exec_lo
	v_cmpx_lt_u32_e64 v146, v177
	s_cbranch_execnz .LBB844_813
.LBB844_844:                            ;   in Loop: Header=BB844_696 Depth=2
	s_or_b32 exec_lo, exec_lo, s34
	s_delay_alu instid0(SALU_CYCLE_1)
	s_mov_b32 s34, exec_lo
	v_cmpx_lt_u32_e64 v147, v177
	s_cbranch_execz .LBB844_814
.LBB844_845:                            ;   in Loop: Header=BB844_696 Depth=2
	global_load_b64 v[20:21], v[36:37], off offset:1792
	s_or_b32 exec_lo, exec_lo, s34
	s_delay_alu instid0(SALU_CYCLE_1)
	s_mov_b32 s34, exec_lo
	v_cmpx_lt_u32_e64 v148, v177
	s_cbranch_execnz .LBB844_815
.LBB844_846:                            ;   in Loop: Header=BB844_696 Depth=2
	s_or_b32 exec_lo, exec_lo, s34
	s_delay_alu instid0(SALU_CYCLE_1)
	s_mov_b32 s34, exec_lo
	v_cmpx_lt_u32_e64 v149, v177
	s_cbranch_execz .LBB844_816
.LBB844_847:                            ;   in Loop: Header=BB844_696 Depth=2
	global_load_b64 v[16:17], v[36:37], off offset:2304
	s_or_b32 exec_lo, exec_lo, s34
	s_delay_alu instid0(SALU_CYCLE_1)
	s_mov_b32 s34, exec_lo
	v_cmpx_lt_u32_e64 v150, v177
	s_cbranch_execnz .LBB844_817
.LBB844_848:                            ;   in Loop: Header=BB844_696 Depth=2
	s_or_b32 exec_lo, exec_lo, s34
	s_delay_alu instid0(SALU_CYCLE_1)
	s_mov_b32 s34, exec_lo
	v_cmpx_lt_u32_e64 v151, v177
	s_cbranch_execz .LBB844_818
.LBB844_849:                            ;   in Loop: Header=BB844_696 Depth=2
	global_load_b64 v[12:13], v[36:37], off offset:2816
	s_or_b32 exec_lo, exec_lo, s34
	s_delay_alu instid0(SALU_CYCLE_1)
	s_mov_b32 s34, exec_lo
	v_cmpx_lt_u32_e64 v152, v177
	s_cbranch_execnz .LBB844_819
.LBB844_850:                            ;   in Loop: Header=BB844_696 Depth=2
	s_or_b32 exec_lo, exec_lo, s34
	s_delay_alu instid0(SALU_CYCLE_1)
	s_mov_b32 s34, exec_lo
	v_cmpx_lt_u32_e64 v153, v177
	s_cbranch_execz .LBB844_820
.LBB844_851:                            ;   in Loop: Header=BB844_696 Depth=2
	global_load_b64 v[8:9], v[36:37], off offset:3328
	s_or_b32 exec_lo, exec_lo, s34
	s_delay_alu instid0(SALU_CYCLE_1)
	s_mov_b32 s34, exec_lo
	v_cmpx_lt_u32_e64 v154, v177
	s_cbranch_execnz .LBB844_821
.LBB844_852:                            ;   in Loop: Header=BB844_696 Depth=2
	s_or_b32 exec_lo, exec_lo, s34
	s_delay_alu instid0(SALU_CYCLE_1)
	s_mov_b32 s34, exec_lo
	v_cmpx_lt_u32_e64 v155, v177
	s_cbranch_execz .LBB844_822
.LBB844_853:                            ;   in Loop: Header=BB844_696 Depth=2
	global_load_b64 v[4:5], v[36:37], off offset:3840
	s_or_b32 exec_lo, exec_lo, s34
	s_and_saveexec_b32 s33, vcc_lo
	s_cbranch_execnz .LBB844_823
.LBB844_854:                            ;   in Loop: Header=BB844_696 Depth=2
	s_or_b32 exec_lo, exec_lo, s33
	s_and_saveexec_b32 s33, s17
	s_cbranch_execz .LBB844_824
.LBB844_855:                            ;   in Loop: Header=BB844_696 Depth=2
	ds_load_b64 v[36:37], v110 offset:2048
	s_waitcnt lgkmcnt(0)
	v_lshrrev_b64 v[36:37], s40, v[36:37]
	s_delay_alu instid0(VALU_DEP_1)
	v_and_b32_e32 v175, s42, v36
	s_or_b32 exec_lo, exec_lo, s33
	s_and_saveexec_b32 s33, s18
	s_cbranch_execnz .LBB844_825
.LBB844_856:                            ;   in Loop: Header=BB844_696 Depth=2
	s_or_b32 exec_lo, exec_lo, s33
	s_and_saveexec_b32 s33, s19
	s_cbranch_execz .LBB844_826
.LBB844_857:                            ;   in Loop: Header=BB844_696 Depth=2
	ds_load_b64 v[36:37], v110 offset:6144
	s_waitcnt lgkmcnt(0)
	v_lshrrev_b64 v[36:37], s40, v[36:37]
	s_delay_alu instid0(VALU_DEP_1)
	v_and_b32_e32 v173, s42, v36
	s_or_b32 exec_lo, exec_lo, s33
	s_and_saveexec_b32 s33, s20
	s_cbranch_execnz .LBB844_827
.LBB844_858:                            ;   in Loop: Header=BB844_696 Depth=2
	s_or_b32 exec_lo, exec_lo, s33
	s_and_saveexec_b32 s33, s21
	s_cbranch_execz .LBB844_828
.LBB844_859:                            ;   in Loop: Header=BB844_696 Depth=2
	ds_load_b64 v[36:37], v110 offset:10240
	s_waitcnt lgkmcnt(0)
	v_lshrrev_b64 v[36:37], s40, v[36:37]
	s_delay_alu instid0(VALU_DEP_1)
	v_and_b32_e32 v171, s42, v36
	s_or_b32 exec_lo, exec_lo, s33
	s_and_saveexec_b32 s33, s22
	s_cbranch_execnz .LBB844_829
.LBB844_860:                            ;   in Loop: Header=BB844_696 Depth=2
	s_or_b32 exec_lo, exec_lo, s33
	s_and_saveexec_b32 s33, s23
	s_cbranch_execz .LBB844_830
.LBB844_861:                            ;   in Loop: Header=BB844_696 Depth=2
	ds_load_b64 v[36:37], v110 offset:14336
	s_waitcnt lgkmcnt(0)
	v_lshrrev_b64 v[36:37], s40, v[36:37]
	s_delay_alu instid0(VALU_DEP_1)
	v_and_b32_e32 v169, s42, v36
	s_or_b32 exec_lo, exec_lo, s33
	s_and_saveexec_b32 s33, s24
	s_cbranch_execnz .LBB844_831
.LBB844_862:                            ;   in Loop: Header=BB844_696 Depth=2
	s_or_b32 exec_lo, exec_lo, s33
	s_and_saveexec_b32 s33, s25
	s_cbranch_execz .LBB844_832
.LBB844_863:                            ;   in Loop: Header=BB844_696 Depth=2
	ds_load_b64 v[36:37], v110 offset:18432
	s_waitcnt lgkmcnt(0)
	v_lshrrev_b64 v[36:37], s40, v[36:37]
	s_delay_alu instid0(VALU_DEP_1)
	v_and_b32_e32 v167, s42, v36
	s_or_b32 exec_lo, exec_lo, s33
	s_and_saveexec_b32 s33, s26
	s_cbranch_execnz .LBB844_833
.LBB844_864:                            ;   in Loop: Header=BB844_696 Depth=2
	s_or_b32 exec_lo, exec_lo, s33
	s_and_saveexec_b32 s33, s27
	s_cbranch_execz .LBB844_834
.LBB844_865:                            ;   in Loop: Header=BB844_696 Depth=2
	ds_load_b64 v[36:37], v110 offset:22528
	s_waitcnt lgkmcnt(0)
	v_lshrrev_b64 v[36:37], s40, v[36:37]
	s_delay_alu instid0(VALU_DEP_1)
	v_and_b32_e32 v165, s42, v36
	s_or_b32 exec_lo, exec_lo, s33
	s_and_saveexec_b32 s33, s28
	s_cbranch_execnz .LBB844_835
.LBB844_866:                            ;   in Loop: Header=BB844_696 Depth=2
	s_or_b32 exec_lo, exec_lo, s33
	s_and_saveexec_b32 s33, s29
	s_cbranch_execz .LBB844_836
.LBB844_867:                            ;   in Loop: Header=BB844_696 Depth=2
	ds_load_b64 v[36:37], v110 offset:26624
	s_waitcnt lgkmcnt(0)
	v_lshrrev_b64 v[36:37], s40, v[36:37]
	s_delay_alu instid0(VALU_DEP_1)
	v_and_b32_e32 v163, s42, v36
	s_or_b32 exec_lo, exec_lo, s33
	s_and_saveexec_b32 s33, s30
	s_cbranch_execnz .LBB844_837
.LBB844_868:                            ;   in Loop: Header=BB844_696 Depth=2
	s_or_b32 exec_lo, exec_lo, s33
	s_and_saveexec_b32 s33, s31
	s_cbranch_execz .LBB844_870
.LBB844_869:                            ;   in Loop: Header=BB844_696 Depth=2
	ds_load_b64 v[36:37], v110 offset:30720
	s_waitcnt lgkmcnt(0)
	v_lshrrev_b64 v[36:37], s40, v[36:37]
	s_delay_alu instid0(VALU_DEP_1)
	v_and_b32_e32 v161, s42, v36
.LBB844_870:                            ;   in Loop: Header=BB844_696 Depth=2
	s_or_b32 exec_lo, exec_lo, s33
	v_add_nc_u32_e32 v2, 0x400, v69
	v_add_nc_u32_e32 v36, 0x400, v70
	;; [unrolled: 1-line block ×16, first 2 shown]
	s_waitcnt vmcnt(0)
	s_waitcnt_vscnt null, 0x0
	s_barrier
	buffer_gl0_inv
	ds_store_b64 v2, v[34:35]
	ds_store_b64 v36, v[32:33]
	;; [unrolled: 1-line block ×16, first 2 shown]
	s_waitcnt lgkmcnt(0)
	s_barrier
	buffer_gl0_inv
	s_and_saveexec_b32 s33, vcc_lo
	s_cbranch_execz .LBB844_886
; %bb.871:                              ;   in Loop: Header=BB844_696 Depth=2
	v_lshlrev_b32_e32 v2, 2, v176
	v_add_nc_u32_e32 v36, v104, v76
	ds_load_b32 v2, v2
	ds_load_b64 v[36:37], v36 offset:1024
	s_waitcnt lgkmcnt(1)
	v_add_nc_u32_e32 v2, v2, v1
	s_delay_alu instid0(VALU_DEP_1) | instskip(NEXT) | instid1(VALU_DEP_1)
	v_lshlrev_b64 v[38:39], 3, v[2:3]
	v_add_co_u32 v38, vcc_lo, s52, v38
	s_delay_alu instid0(VALU_DEP_2)
	v_add_co_ci_u32_e32 v39, vcc_lo, s53, v39, vcc_lo
	s_waitcnt lgkmcnt(0)
	global_store_b64 v[38:39], v[36:37], off
	s_or_b32 exec_lo, exec_lo, s33
	s_and_saveexec_b32 s33, s17
	s_cbranch_execnz .LBB844_887
.LBB844_872:                            ;   in Loop: Header=BB844_696 Depth=2
	s_or_b32 exec_lo, exec_lo, s33
	s_and_saveexec_b32 s17, s18
	s_cbranch_execz .LBB844_888
.LBB844_873:                            ;   in Loop: Header=BB844_696 Depth=2
	v_lshlrev_b32_e32 v2, 2, v174
	ds_load_b32 v2, v2
	ds_load_b64 v[36:37], v110 offset:4096
	s_waitcnt lgkmcnt(1)
	v_add_nc_u32_e32 v2, v2, v78
	s_delay_alu instid0(VALU_DEP_1) | instskip(NEXT) | instid1(VALU_DEP_1)
	v_lshlrev_b64 v[38:39], 3, v[2:3]
	v_add_co_u32 v38, vcc_lo, s52, v38
	s_delay_alu instid0(VALU_DEP_2)
	v_add_co_ci_u32_e32 v39, vcc_lo, s53, v39, vcc_lo
	s_waitcnt lgkmcnt(0)
	global_store_b64 v[38:39], v[36:37], off
	s_or_b32 exec_lo, exec_lo, s17
	s_and_saveexec_b32 s17, s19
	s_cbranch_execnz .LBB844_889
.LBB844_874:                            ;   in Loop: Header=BB844_696 Depth=2
	s_or_b32 exec_lo, exec_lo, s17
	s_and_saveexec_b32 s17, s20
	s_cbranch_execz .LBB844_890
.LBB844_875:                            ;   in Loop: Header=BB844_696 Depth=2
	v_lshlrev_b32_e32 v2, 2, v172
	ds_load_b32 v2, v2
	ds_load_b64 v[36:37], v110 offset:8192
	s_waitcnt lgkmcnt(1)
	v_add_nc_u32_e32 v2, v2, v83
	s_delay_alu instid0(VALU_DEP_1) | instskip(NEXT) | instid1(VALU_DEP_1)
	v_lshlrev_b64 v[38:39], 3, v[2:3]
	v_add_co_u32 v38, vcc_lo, s52, v38
	s_delay_alu instid0(VALU_DEP_2)
	v_add_co_ci_u32_e32 v39, vcc_lo, s53, v39, vcc_lo
	s_waitcnt lgkmcnt(0)
	global_store_b64 v[38:39], v[36:37], off
	s_or_b32 exec_lo, exec_lo, s17
	s_and_saveexec_b32 s17, s21
	s_cbranch_execnz .LBB844_891
.LBB844_876:                            ;   in Loop: Header=BB844_696 Depth=2
	s_or_b32 exec_lo, exec_lo, s17
	s_and_saveexec_b32 s17, s22
	s_cbranch_execz .LBB844_892
.LBB844_877:                            ;   in Loop: Header=BB844_696 Depth=2
	v_lshlrev_b32_e32 v2, 2, v170
	ds_load_b32 v2, v2
	ds_load_b64 v[36:37], v110 offset:12288
	s_waitcnt lgkmcnt(1)
	v_add_nc_u32_e32 v2, v2, v85
	s_delay_alu instid0(VALU_DEP_1) | instskip(NEXT) | instid1(VALU_DEP_1)
	v_lshlrev_b64 v[38:39], 3, v[2:3]
	v_add_co_u32 v38, vcc_lo, s52, v38
	s_delay_alu instid0(VALU_DEP_2)
	v_add_co_ci_u32_e32 v39, vcc_lo, s53, v39, vcc_lo
	s_waitcnt lgkmcnt(0)
	global_store_b64 v[38:39], v[36:37], off
	s_or_b32 exec_lo, exec_lo, s17
	s_and_saveexec_b32 s17, s23
	s_cbranch_execnz .LBB844_893
.LBB844_878:                            ;   in Loop: Header=BB844_696 Depth=2
	s_or_b32 exec_lo, exec_lo, s17
	s_and_saveexec_b32 s17, s24
	s_cbranch_execz .LBB844_894
.LBB844_879:                            ;   in Loop: Header=BB844_696 Depth=2
	v_lshlrev_b32_e32 v2, 2, v168
	ds_load_b32 v2, v2
	ds_load_b64 v[36:37], v110 offset:16384
	s_waitcnt lgkmcnt(1)
	v_add_nc_u32_e32 v2, v2, v87
	s_delay_alu instid0(VALU_DEP_1) | instskip(NEXT) | instid1(VALU_DEP_1)
	v_lshlrev_b64 v[38:39], 3, v[2:3]
	v_add_co_u32 v38, vcc_lo, s52, v38
	s_delay_alu instid0(VALU_DEP_2)
	v_add_co_ci_u32_e32 v39, vcc_lo, s53, v39, vcc_lo
	s_waitcnt lgkmcnt(0)
	global_store_b64 v[38:39], v[36:37], off
	s_or_b32 exec_lo, exec_lo, s17
	s_and_saveexec_b32 s17, s25
	s_cbranch_execnz .LBB844_895
.LBB844_880:                            ;   in Loop: Header=BB844_696 Depth=2
	s_or_b32 exec_lo, exec_lo, s17
	s_and_saveexec_b32 s17, s26
	s_cbranch_execz .LBB844_896
.LBB844_881:                            ;   in Loop: Header=BB844_696 Depth=2
	v_lshlrev_b32_e32 v2, 2, v166
	ds_load_b32 v2, v2
	ds_load_b64 v[36:37], v110 offset:20480
	s_waitcnt lgkmcnt(1)
	v_add_nc_u32_e32 v2, v2, v89
	s_delay_alu instid0(VALU_DEP_1) | instskip(NEXT) | instid1(VALU_DEP_1)
	v_lshlrev_b64 v[38:39], 3, v[2:3]
	v_add_co_u32 v38, vcc_lo, s52, v38
	s_delay_alu instid0(VALU_DEP_2)
	v_add_co_ci_u32_e32 v39, vcc_lo, s53, v39, vcc_lo
	s_waitcnt lgkmcnt(0)
	global_store_b64 v[38:39], v[36:37], off
	s_or_b32 exec_lo, exec_lo, s17
	s_and_saveexec_b32 s17, s27
	s_cbranch_execnz .LBB844_897
.LBB844_882:                            ;   in Loop: Header=BB844_696 Depth=2
	s_or_b32 exec_lo, exec_lo, s17
	s_and_saveexec_b32 s17, s28
	s_cbranch_execz .LBB844_898
.LBB844_883:                            ;   in Loop: Header=BB844_696 Depth=2
	v_lshlrev_b32_e32 v2, 2, v164
	ds_load_b32 v2, v2
	ds_load_b64 v[36:37], v110 offset:24576
	s_waitcnt lgkmcnt(1)
	v_add_nc_u32_e32 v2, v2, v91
	s_delay_alu instid0(VALU_DEP_1) | instskip(NEXT) | instid1(VALU_DEP_1)
	v_lshlrev_b64 v[38:39], 3, v[2:3]
	v_add_co_u32 v38, vcc_lo, s52, v38
	s_delay_alu instid0(VALU_DEP_2)
	v_add_co_ci_u32_e32 v39, vcc_lo, s53, v39, vcc_lo
	s_waitcnt lgkmcnt(0)
	global_store_b64 v[38:39], v[36:37], off
	s_or_b32 exec_lo, exec_lo, s17
	s_and_saveexec_b32 s17, s29
	s_cbranch_execnz .LBB844_899
.LBB844_884:                            ;   in Loop: Header=BB844_696 Depth=2
	s_or_b32 exec_lo, exec_lo, s17
	s_and_saveexec_b32 s17, s30
	s_cbranch_execz .LBB844_900
.LBB844_885:                            ;   in Loop: Header=BB844_696 Depth=2
	v_lshlrev_b32_e32 v2, 2, v162
	ds_load_b32 v2, v2
	ds_load_b64 v[36:37], v110 offset:28672
	s_waitcnt lgkmcnt(1)
	v_add_nc_u32_e32 v2, v2, v93
	s_delay_alu instid0(VALU_DEP_1) | instskip(NEXT) | instid1(VALU_DEP_1)
	v_lshlrev_b64 v[38:39], 3, v[2:3]
	v_add_co_u32 v38, vcc_lo, s52, v38
	s_delay_alu instid0(VALU_DEP_2)
	v_add_co_ci_u32_e32 v39, vcc_lo, s53, v39, vcc_lo
	s_waitcnt lgkmcnt(0)
	global_store_b64 v[38:39], v[36:37], off
	s_or_b32 exec_lo, exec_lo, s17
	s_and_saveexec_b32 s17, s31
	s_cbranch_execnz .LBB844_901
	s_branch .LBB844_902
.LBB844_886:                            ;   in Loop: Header=BB844_696 Depth=2
	s_or_b32 exec_lo, exec_lo, s33
	s_and_saveexec_b32 s33, s17
	s_cbranch_execz .LBB844_872
.LBB844_887:                            ;   in Loop: Header=BB844_696 Depth=2
	v_lshlrev_b32_e32 v2, 2, v175
	ds_load_b32 v2, v2
	ds_load_b64 v[36:37], v110 offset:2048
	s_waitcnt lgkmcnt(1)
	v_add_nc_u32_e32 v2, v2, v77
	s_delay_alu instid0(VALU_DEP_1) | instskip(NEXT) | instid1(VALU_DEP_1)
	v_lshlrev_b64 v[38:39], 3, v[2:3]
	v_add_co_u32 v38, vcc_lo, s52, v38
	s_delay_alu instid0(VALU_DEP_2)
	v_add_co_ci_u32_e32 v39, vcc_lo, s53, v39, vcc_lo
	s_waitcnt lgkmcnt(0)
	global_store_b64 v[38:39], v[36:37], off
	s_or_b32 exec_lo, exec_lo, s33
	s_and_saveexec_b32 s17, s18
	s_cbranch_execnz .LBB844_873
.LBB844_888:                            ;   in Loop: Header=BB844_696 Depth=2
	s_or_b32 exec_lo, exec_lo, s17
	s_and_saveexec_b32 s17, s19
	s_cbranch_execz .LBB844_874
.LBB844_889:                            ;   in Loop: Header=BB844_696 Depth=2
	v_lshlrev_b32_e32 v2, 2, v173
	ds_load_b32 v2, v2
	ds_load_b64 v[36:37], v110 offset:6144
	s_waitcnt lgkmcnt(1)
	v_add_nc_u32_e32 v2, v2, v79
	s_delay_alu instid0(VALU_DEP_1) | instskip(NEXT) | instid1(VALU_DEP_1)
	v_lshlrev_b64 v[38:39], 3, v[2:3]
	v_add_co_u32 v38, vcc_lo, s52, v38
	s_delay_alu instid0(VALU_DEP_2)
	v_add_co_ci_u32_e32 v39, vcc_lo, s53, v39, vcc_lo
	s_waitcnt lgkmcnt(0)
	global_store_b64 v[38:39], v[36:37], off
	s_or_b32 exec_lo, exec_lo, s17
	s_and_saveexec_b32 s17, s20
	s_cbranch_execnz .LBB844_875
.LBB844_890:                            ;   in Loop: Header=BB844_696 Depth=2
	s_or_b32 exec_lo, exec_lo, s17
	s_and_saveexec_b32 s17, s21
	s_cbranch_execz .LBB844_876
.LBB844_891:                            ;   in Loop: Header=BB844_696 Depth=2
	v_lshlrev_b32_e32 v2, 2, v171
	ds_load_b32 v2, v2
	ds_load_b64 v[36:37], v110 offset:10240
	s_waitcnt lgkmcnt(1)
	v_add_nc_u32_e32 v2, v2, v84
	s_delay_alu instid0(VALU_DEP_1) | instskip(NEXT) | instid1(VALU_DEP_1)
	v_lshlrev_b64 v[38:39], 3, v[2:3]
	v_add_co_u32 v38, vcc_lo, s52, v38
	s_delay_alu instid0(VALU_DEP_2)
	v_add_co_ci_u32_e32 v39, vcc_lo, s53, v39, vcc_lo
	s_waitcnt lgkmcnt(0)
	global_store_b64 v[38:39], v[36:37], off
	s_or_b32 exec_lo, exec_lo, s17
	s_and_saveexec_b32 s17, s22
	s_cbranch_execnz .LBB844_877
.LBB844_892:                            ;   in Loop: Header=BB844_696 Depth=2
	s_or_b32 exec_lo, exec_lo, s17
	s_and_saveexec_b32 s17, s23
	s_cbranch_execz .LBB844_878
.LBB844_893:                            ;   in Loop: Header=BB844_696 Depth=2
	v_lshlrev_b32_e32 v2, 2, v169
	ds_load_b32 v2, v2
	ds_load_b64 v[36:37], v110 offset:14336
	s_waitcnt lgkmcnt(1)
	v_add_nc_u32_e32 v2, v2, v86
	s_delay_alu instid0(VALU_DEP_1) | instskip(NEXT) | instid1(VALU_DEP_1)
	v_lshlrev_b64 v[38:39], 3, v[2:3]
	v_add_co_u32 v38, vcc_lo, s52, v38
	s_delay_alu instid0(VALU_DEP_2)
	v_add_co_ci_u32_e32 v39, vcc_lo, s53, v39, vcc_lo
	s_waitcnt lgkmcnt(0)
	global_store_b64 v[38:39], v[36:37], off
	s_or_b32 exec_lo, exec_lo, s17
	s_and_saveexec_b32 s17, s24
	s_cbranch_execnz .LBB844_879
.LBB844_894:                            ;   in Loop: Header=BB844_696 Depth=2
	s_or_b32 exec_lo, exec_lo, s17
	s_and_saveexec_b32 s17, s25
	s_cbranch_execz .LBB844_880
.LBB844_895:                            ;   in Loop: Header=BB844_696 Depth=2
	v_lshlrev_b32_e32 v2, 2, v167
	ds_load_b32 v2, v2
	ds_load_b64 v[36:37], v110 offset:18432
	s_waitcnt lgkmcnt(1)
	v_add_nc_u32_e32 v2, v2, v88
	s_delay_alu instid0(VALU_DEP_1) | instskip(NEXT) | instid1(VALU_DEP_1)
	v_lshlrev_b64 v[38:39], 3, v[2:3]
	v_add_co_u32 v38, vcc_lo, s52, v38
	s_delay_alu instid0(VALU_DEP_2)
	v_add_co_ci_u32_e32 v39, vcc_lo, s53, v39, vcc_lo
	s_waitcnt lgkmcnt(0)
	global_store_b64 v[38:39], v[36:37], off
	s_or_b32 exec_lo, exec_lo, s17
	s_and_saveexec_b32 s17, s26
	s_cbranch_execnz .LBB844_881
.LBB844_896:                            ;   in Loop: Header=BB844_696 Depth=2
	s_or_b32 exec_lo, exec_lo, s17
	s_and_saveexec_b32 s17, s27
	s_cbranch_execz .LBB844_882
.LBB844_897:                            ;   in Loop: Header=BB844_696 Depth=2
	v_lshlrev_b32_e32 v2, 2, v165
	ds_load_b32 v2, v2
	ds_load_b64 v[36:37], v110 offset:22528
	s_waitcnt lgkmcnt(1)
	v_add_nc_u32_e32 v2, v2, v90
	s_delay_alu instid0(VALU_DEP_1) | instskip(NEXT) | instid1(VALU_DEP_1)
	v_lshlrev_b64 v[38:39], 3, v[2:3]
	v_add_co_u32 v38, vcc_lo, s52, v38
	s_delay_alu instid0(VALU_DEP_2)
	v_add_co_ci_u32_e32 v39, vcc_lo, s53, v39, vcc_lo
	s_waitcnt lgkmcnt(0)
	global_store_b64 v[38:39], v[36:37], off
	s_or_b32 exec_lo, exec_lo, s17
	s_and_saveexec_b32 s17, s28
	s_cbranch_execnz .LBB844_883
.LBB844_898:                            ;   in Loop: Header=BB844_696 Depth=2
	s_or_b32 exec_lo, exec_lo, s17
	s_and_saveexec_b32 s17, s29
	s_cbranch_execz .LBB844_884
.LBB844_899:                            ;   in Loop: Header=BB844_696 Depth=2
	v_lshlrev_b32_e32 v2, 2, v163
	ds_load_b32 v2, v2
	ds_load_b64 v[36:37], v110 offset:26624
	s_waitcnt lgkmcnt(1)
	v_add_nc_u32_e32 v2, v2, v92
	s_delay_alu instid0(VALU_DEP_1) | instskip(NEXT) | instid1(VALU_DEP_1)
	v_lshlrev_b64 v[38:39], 3, v[2:3]
	v_add_co_u32 v38, vcc_lo, s52, v38
	s_delay_alu instid0(VALU_DEP_2)
	v_add_co_ci_u32_e32 v39, vcc_lo, s53, v39, vcc_lo
	s_waitcnt lgkmcnt(0)
	global_store_b64 v[38:39], v[36:37], off
	s_or_b32 exec_lo, exec_lo, s17
	s_and_saveexec_b32 s17, s30
	s_cbranch_execnz .LBB844_885
.LBB844_900:                            ;   in Loop: Header=BB844_696 Depth=2
	s_or_b32 exec_lo, exec_lo, s17
	s_and_saveexec_b32 s17, s31
	s_cbranch_execz .LBB844_902
.LBB844_901:                            ;   in Loop: Header=BB844_696 Depth=2
	v_lshlrev_b32_e32 v2, 2, v161
	ds_load_b32 v2, v2
	ds_load_b64 v[36:37], v110 offset:30720
	s_waitcnt lgkmcnt(1)
	v_add_nc_u32_e32 v2, v2, v95
	s_delay_alu instid0(VALU_DEP_1) | instskip(NEXT) | instid1(VALU_DEP_1)
	v_lshlrev_b64 v[38:39], 3, v[2:3]
	v_add_co_u32 v38, vcc_lo, s52, v38
	s_delay_alu instid0(VALU_DEP_2)
	v_add_co_ci_u32_e32 v39, vcc_lo, s53, v39, vcc_lo
	s_waitcnt lgkmcnt(0)
	global_store_b64 v[38:39], v[36:37], off
.LBB844_902:                            ;   in Loop: Header=BB844_696 Depth=2
	s_or_b32 exec_lo, exec_lo, s17
	s_waitcnt_vscnt null, 0x0
	s_barrier
	buffer_gl0_inv
	s_and_saveexec_b32 s17, s2
	s_cbranch_execz .LBB844_695
; %bb.903:                              ;   in Loop: Header=BB844_696 Depth=2
	ds_load_b32 v2, v76
	s_waitcnt lgkmcnt(0)
	v_add_nc_u32_e32 v2, v2, v68
	ds_store_b32 v76, v2
	s_branch .LBB844_695
.LBB844_904:                            ;   in Loop: Header=BB844_20 Depth=1
	s_waitcnt lgkmcnt(0)
	s_mov_b32 s1, 0
	s_barrier
.LBB844_905:                            ;   in Loop: Header=BB844_20 Depth=1
	s_and_b32 vcc_lo, exec_lo, s1
	s_cbranch_vccz .LBB844_19
; %bb.906:                              ;   in Loop: Header=BB844_20 Depth=1
	s_mov_b32 s1, s62
	s_mov_b32 s34, s60
	s_barrier
	buffer_gl0_inv
                                        ; implicit-def: $vgpr34_vgpr35
                                        ; implicit-def: $vgpr4_vgpr5
                                        ; implicit-def: $vgpr6_vgpr7
                                        ; implicit-def: $vgpr8_vgpr9
                                        ; implicit-def: $vgpr10_vgpr11
                                        ; implicit-def: $vgpr12_vgpr13
                                        ; implicit-def: $vgpr14_vgpr15
                                        ; implicit-def: $vgpr16_vgpr17
                                        ; implicit-def: $vgpr18_vgpr19
                                        ; implicit-def: $vgpr20_vgpr21
                                        ; implicit-def: $vgpr22_vgpr23
                                        ; implicit-def: $vgpr24_vgpr25
                                        ; implicit-def: $vgpr26_vgpr27
                                        ; implicit-def: $vgpr28_vgpr29
                                        ; implicit-def: $vgpr30_vgpr31
                                        ; implicit-def: $vgpr32_vgpr33
	s_branch .LBB844_908
.LBB844_907:                            ;   in Loop: Header=BB844_908 Depth=2
	s_or_b32 exec_lo, exec_lo, s8
	s_addk_i32 s1, 0xf000
	s_cmp_ge_u32 s7, s61
	s_mov_b32 s34, s7
	s_cbranch_scc1 .LBB844_978
.LBB844_908:                            ;   Parent Loop BB844_20 Depth=1
                                        ; =>  This Inner Loop Header: Depth=2
	s_add_i32 s7, s34, 0x1000
	s_delay_alu instid0(SALU_CYCLE_1)
	s_cmp_gt_u32 s7, s61
	s_cbranch_scc1 .LBB844_911
; %bb.909:                              ;   in Loop: Header=BB844_908 Depth=2
	s_mov_b32 s9, 0
	s_mov_b32 s8, s34
	s_delay_alu instid0(SALU_CYCLE_1) | instskip(NEXT) | instid1(SALU_CYCLE_1)
	s_lshl_b64 s[10:11], s[8:9], 3
	v_add_co_u32 v36, vcc_lo, v117, s10
	v_add_co_ci_u32_e32 v37, vcc_lo, s11, v118, vcc_lo
	s_movk_i32 s11, 0x1000
	s_waitcnt vmcnt(12)
	s_delay_alu instid0(VALU_DEP_2) | instskip(NEXT) | instid1(VALU_DEP_2)
	v_add_co_u32 v42, vcc_lo, 0x1000, v36
	v_add_co_ci_u32_e32 v43, vcc_lo, 0, v37, vcc_lo
	s_waitcnt vmcnt(11)
	v_add_co_u32 v44, vcc_lo, 0x2000, v36
	v_add_co_ci_u32_e32 v45, vcc_lo, 0, v37, vcc_lo
	s_waitcnt vmcnt(1)
	v_add_co_u32 v50, vcc_lo, v36, 0x2000
	v_add_co_ci_u32_e32 v51, vcc_lo, 0, v37, vcc_lo
	v_add_co_u32 v52, vcc_lo, v36, 0x4000
	v_add_co_ci_u32_e32 v53, vcc_lo, 0, v37, vcc_lo
	;; [unrolled: 2-line block ×7, first 2 shown]
	s_waitcnt vmcnt(0)
	v_add_co_u32 v66, vcc_lo, 0x7000, v36
	v_add_co_ci_u32_e32 v67, vcc_lo, 0, v37, vcc_lo
	s_clause 0xe
	global_load_b64 v[38:39], v[36:37], off
	global_load_b64 v[40:41], v[36:37], off offset:2048
	global_load_b64 v[42:43], v[42:43], off offset:2048
	;; [unrolled: 1-line block ×3, first 2 shown]
	global_load_b64 v[46:47], v[50:51], off
	global_load_b64 v[48:49], v[52:53], off offset:-4096
	global_load_b64 v[52:53], v[52:53], off
	global_load_b64 v[56:57], v[60:61], off offset:-4096
	global_load_b64 v[60:61], v[60:61], off
	global_load_b64 v[54:55], v[54:55], off offset:2048
	global_load_b64 v[58:59], v[58:59], off offset:2048
	;; [unrolled: 1-line block ×4, first 2 shown]
	global_load_b64 v[50:51], v[50:51], off offset:-4096
	global_load_b64 v[66:67], v[66:67], off
	v_add_co_u32 v36, vcc_lo, 0x7800, v36
	v_add_co_ci_u32_e32 v37, vcc_lo, 0, v37, vcc_lo
	s_mov_b32 s10, -1
	s_cbranch_execz .LBB844_912
; %bb.910:                              ;   in Loop: Header=BB844_908 Depth=2
                                        ; implicit-def: $vgpr32_vgpr33
                                        ; implicit-def: $vgpr30_vgpr31
                                        ; implicit-def: $vgpr28_vgpr29
                                        ; implicit-def: $vgpr26_vgpr27
                                        ; implicit-def: $vgpr24_vgpr25
                                        ; implicit-def: $vgpr22_vgpr23
                                        ; implicit-def: $vgpr20_vgpr21
                                        ; implicit-def: $vgpr18_vgpr19
                                        ; implicit-def: $vgpr16_vgpr17
                                        ; implicit-def: $vgpr14_vgpr15
                                        ; implicit-def: $vgpr12_vgpr13
                                        ; implicit-def: $vgpr10_vgpr11
                                        ; implicit-def: $vgpr8_vgpr9
                                        ; implicit-def: $vgpr6_vgpr7
                                        ; implicit-def: $vgpr4_vgpr5
                                        ; implicit-def: $vgpr34_vgpr35
	v_mov_b32_e32 v2, s1
	s_and_saveexec_b32 s8, s10
	s_cbranch_execnz .LBB844_931
	s_branch .LBB844_932
.LBB844_911:                            ;   in Loop: Header=BB844_908 Depth=2
	s_mov_b32 s10, 0
                                        ; implicit-def: $sgpr11
                                        ; implicit-def: $vgpr38_vgpr39
                                        ; implicit-def: $vgpr40_vgpr41
                                        ; implicit-def: $vgpr50_vgpr51
                                        ; implicit-def: $vgpr42_vgpr43
                                        ; implicit-def: $vgpr46_vgpr47
                                        ; implicit-def: $vgpr44_vgpr45
                                        ; implicit-def: $vgpr48_vgpr49
                                        ; implicit-def: $vgpr54_vgpr55
                                        ; implicit-def: $vgpr52_vgpr53
                                        ; implicit-def: $vgpr58_vgpr59
                                        ; implicit-def: $vgpr56_vgpr57
                                        ; implicit-def: $vgpr62_vgpr63
                                        ; implicit-def: $vgpr60_vgpr61
                                        ; implicit-def: $vgpr64_vgpr65
                                        ; implicit-def: $vgpr66_vgpr67
                                        ; implicit-def: $vgpr36_vgpr37
.LBB844_912:                            ;   in Loop: Header=BB844_908 Depth=2
	s_lshl_b64 s[8:9], s[34:35], 3
	s_mov_b32 s11, exec_lo
	s_add_u32 s8, s44, s8
	s_addc_u32 s9, s45, s9
	v_cmpx_gt_u32_e64 s1, v1
	s_cbranch_execz .LBB844_964
; %bb.913:                              ;   in Loop: Header=BB844_908 Depth=2
	global_load_b64 v[32:33], v124, s[8:9]
	s_or_b32 exec_lo, exec_lo, s11
	s_delay_alu instid0(SALU_CYCLE_1)
	s_mov_b32 s11, exec_lo
	v_cmpx_gt_u32_e64 s1, v77
	s_cbranch_execnz .LBB844_965
.LBB844_914:                            ;   in Loop: Header=BB844_908 Depth=2
	s_or_b32 exec_lo, exec_lo, s11
	s_delay_alu instid0(SALU_CYCLE_1)
	s_mov_b32 s11, exec_lo
	v_cmpx_gt_u32_e64 s1, v78
	s_cbranch_execz .LBB844_966
.LBB844_915:                            ;   in Loop: Header=BB844_908 Depth=2
	global_load_b64 v[28:29], v125, s[8:9]
	s_or_b32 exec_lo, exec_lo, s11
	s_delay_alu instid0(SALU_CYCLE_1)
	s_mov_b32 s11, exec_lo
	v_cmpx_gt_u32_e64 s1, v79
	s_cbranch_execnz .LBB844_967
.LBB844_916:                            ;   in Loop: Header=BB844_908 Depth=2
	s_or_b32 exec_lo, exec_lo, s11
	s_delay_alu instid0(SALU_CYCLE_1)
	s_mov_b32 s11, exec_lo
	v_cmpx_gt_u32_e64 s1, v83
	s_cbranch_execz .LBB844_968
.LBB844_917:                            ;   in Loop: Header=BB844_908 Depth=2
	global_load_b64 v[24:25], v127, s[8:9]
	s_or_b32 exec_lo, exec_lo, s11
	s_delay_alu instid0(SALU_CYCLE_1)
	s_mov_b32 s11, exec_lo
	v_cmpx_gt_u32_e64 s1, v84
	s_cbranch_execnz .LBB844_969
.LBB844_918:                            ;   in Loop: Header=BB844_908 Depth=2
	s_or_b32 exec_lo, exec_lo, s11
	s_delay_alu instid0(SALU_CYCLE_1)
	s_mov_b32 s11, exec_lo
	v_cmpx_gt_u32_e64 s1, v85
	s_cbranch_execz .LBB844_970
.LBB844_919:                            ;   in Loop: Header=BB844_908 Depth=2
	global_load_b64 v[20:21], v129, s[8:9]
	s_or_b32 exec_lo, exec_lo, s11
	s_delay_alu instid0(SALU_CYCLE_1)
	s_mov_b32 s11, exec_lo
	v_cmpx_gt_u32_e64 s1, v86
	s_cbranch_execnz .LBB844_971
.LBB844_920:                            ;   in Loop: Header=BB844_908 Depth=2
	s_or_b32 exec_lo, exec_lo, s11
	s_delay_alu instid0(SALU_CYCLE_1)
	s_mov_b32 s11, exec_lo
	v_cmpx_gt_u32_e64 s1, v87
	s_cbranch_execz .LBB844_972
.LBB844_921:                            ;   in Loop: Header=BB844_908 Depth=2
	global_load_b64 v[16:17], v131, s[8:9]
	s_or_b32 exec_lo, exec_lo, s11
	s_delay_alu instid0(SALU_CYCLE_1)
	s_mov_b32 s11, exec_lo
	v_cmpx_gt_u32_e64 s1, v88
	s_cbranch_execnz .LBB844_973
.LBB844_922:                            ;   in Loop: Header=BB844_908 Depth=2
	s_or_b32 exec_lo, exec_lo, s11
	s_delay_alu instid0(SALU_CYCLE_1)
	s_mov_b32 s11, exec_lo
	v_cmpx_gt_u32_e64 s1, v89
	s_cbranch_execz .LBB844_974
.LBB844_923:                            ;   in Loop: Header=BB844_908 Depth=2
	global_load_b64 v[12:13], v133, s[8:9]
	s_or_b32 exec_lo, exec_lo, s11
	s_delay_alu instid0(SALU_CYCLE_1)
	s_mov_b32 s11, exec_lo
	v_cmpx_gt_u32_e64 s1, v90
	s_cbranch_execnz .LBB844_975
.LBB844_924:                            ;   in Loop: Header=BB844_908 Depth=2
	s_or_b32 exec_lo, exec_lo, s11
	s_delay_alu instid0(SALU_CYCLE_1)
	s_mov_b32 s11, exec_lo
	v_cmpx_gt_u32_e64 s1, v91
	s_cbranch_execz .LBB844_976
.LBB844_925:                            ;   in Loop: Header=BB844_908 Depth=2
	global_load_b64 v[8:9], v135, s[8:9]
	s_or_b32 exec_lo, exec_lo, s11
	s_delay_alu instid0(SALU_CYCLE_1)
	s_mov_b32 s11, exec_lo
	v_cmpx_gt_u32_e64 s1, v92
	s_cbranch_execnz .LBB844_977
.LBB844_926:                            ;   in Loop: Header=BB844_908 Depth=2
	s_or_b32 exec_lo, exec_lo, s11
	s_delay_alu instid0(SALU_CYCLE_1)
	s_mov_b32 s11, exec_lo
	v_cmpx_gt_u32_e64 s1, v93
	s_cbranch_execz .LBB844_928
.LBB844_927:                            ;   in Loop: Header=BB844_908 Depth=2
	v_lshlrev_b32_e32 v2, 3, v93
	global_load_b64 v[4:5], v2, s[8:9]
.LBB844_928:                            ;   in Loop: Header=BB844_908 Depth=2
	s_or_b32 exec_lo, exec_lo, s11
	s_delay_alu instid0(SALU_CYCLE_1)
	s_mov_b32 s12, exec_lo
                                        ; implicit-def: $sgpr11
                                        ; implicit-def: $vgpr36_vgpr37
	v_cmpx_gt_u32_e64 s1, v95
; %bb.929:                              ;   in Loop: Header=BB844_908 Depth=2
	v_lshlrev_b32_e32 v2, 3, v95
	s_sub_i32 s11, s61, s34
	s_or_b32 s10, s10, exec_lo
                                        ; implicit-def: $vgpr34_vgpr35
	s_delay_alu instid0(VALU_DEP_1) | instskip(NEXT) | instid1(VALU_DEP_1)
	v_add_co_u32 v36, s8, s8, v2
	v_add_co_ci_u32_e64 v37, null, s9, 0, s8
; %bb.930:                              ;   in Loop: Header=BB844_908 Depth=2
	s_or_b32 exec_lo, exec_lo, s12
	s_waitcnt vmcnt(0)
	v_dual_mov_b32 v39, v33 :: v_dual_mov_b32 v38, v32
	v_dual_mov_b32 v41, v31 :: v_dual_mov_b32 v40, v30
	;; [unrolled: 1-line block ×15, first 2 shown]
	v_mov_b32_e32 v2, s1
	s_and_saveexec_b32 s8, s10
	s_cbranch_execz .LBB844_932
.LBB844_931:                            ;   in Loop: Header=BB844_908 Depth=2
	global_load_b64 v[34:35], v[36:37], off
	s_waitcnt vmcnt(1)
	v_mov_b32_e32 v4, v66
	v_mov_b32_e32 v6, v64
	;; [unrolled: 1-line block ×14, first 2 shown]
	v_dual_mov_b32 v32, v38 :: v_dual_mov_b32 v33, v39
	v_dual_mov_b32 v2, s11 :: v_dual_mov_b32 v5, v67
	v_mov_b32_e32 v7, v65
	v_mov_b32_e32 v9, v61
	;; [unrolled: 1-line block ×13, first 2 shown]
.LBB844_932:                            ;   in Loop: Header=BB844_908 Depth=2
	s_or_b32 exec_lo, exec_lo, s8
	v_lshlrev_b32_e32 v36, 2, v80
	s_mov_b32 s8, exec_lo
	v_cmpx_lt_u32_e64 v1, v2
	s_cbranch_execz .LBB844_948
; %bb.933:                              ;   in Loop: Header=BB844_908 Depth=2
	s_waitcnt vmcnt(14)
	v_xor_b32_e32 v38, 0x80000000, v33
	v_mov_b32_e32 v37, v32
	s_delay_alu instid0(VALU_DEP_1) | instskip(NEXT) | instid1(VALU_DEP_1)
	v_lshrrev_b64 v[37:38], s40, v[37:38]
	v_and_b32_e32 v37, s42, v37
	s_delay_alu instid0(VALU_DEP_1) | instskip(SKIP_2) | instid1(SALU_CYCLE_1)
	v_lshl_or_b32 v37, v37, 4, v36
	ds_add_u32 v37, v123
	s_or_b32 exec_lo, exec_lo, s8
	s_mov_b32 s8, exec_lo
	v_cmpx_lt_u32_e64 v77, v2
	s_cbranch_execnz .LBB844_949
.LBB844_934:                            ;   in Loop: Header=BB844_908 Depth=2
	s_or_b32 exec_lo, exec_lo, s8
	s_delay_alu instid0(SALU_CYCLE_1)
	s_mov_b32 s8, exec_lo
	v_cmpx_lt_u32_e64 v78, v2
	s_cbranch_execz .LBB844_950
.LBB844_935:                            ;   in Loop: Header=BB844_908 Depth=2
	s_waitcnt vmcnt(14)
	v_xor_b32_e32 v38, 0x80000000, v29
	v_mov_b32_e32 v37, v28
	s_delay_alu instid0(VALU_DEP_1) | instskip(NEXT) | instid1(VALU_DEP_1)
	v_lshrrev_b64 v[37:38], s40, v[37:38]
	v_and_b32_e32 v37, s42, v37
	s_delay_alu instid0(VALU_DEP_1) | instskip(SKIP_2) | instid1(SALU_CYCLE_1)
	v_lshl_or_b32 v37, v37, 4, v36
	ds_add_u32 v37, v123
	s_or_b32 exec_lo, exec_lo, s8
	s_mov_b32 s8, exec_lo
	v_cmpx_lt_u32_e64 v79, v2
	s_cbranch_execnz .LBB844_951
.LBB844_936:                            ;   in Loop: Header=BB844_908 Depth=2
	s_or_b32 exec_lo, exec_lo, s8
	s_delay_alu instid0(SALU_CYCLE_1)
	s_mov_b32 s8, exec_lo
	v_cmpx_lt_u32_e64 v83, v2
	s_cbranch_execz .LBB844_952
.LBB844_937:                            ;   in Loop: Header=BB844_908 Depth=2
	s_waitcnt vmcnt(14)
	v_xor_b32_e32 v38, 0x80000000, v25
	v_mov_b32_e32 v37, v24
	s_delay_alu instid0(VALU_DEP_1) | instskip(NEXT) | instid1(VALU_DEP_1)
	v_lshrrev_b64 v[37:38], s40, v[37:38]
	v_and_b32_e32 v37, s42, v37
	s_delay_alu instid0(VALU_DEP_1) | instskip(SKIP_2) | instid1(SALU_CYCLE_1)
	v_lshl_or_b32 v37, v37, 4, v36
	ds_add_u32 v37, v123
	s_or_b32 exec_lo, exec_lo, s8
	s_mov_b32 s8, exec_lo
	v_cmpx_lt_u32_e64 v84, v2
	s_cbranch_execnz .LBB844_953
.LBB844_938:                            ;   in Loop: Header=BB844_908 Depth=2
	s_or_b32 exec_lo, exec_lo, s8
	s_delay_alu instid0(SALU_CYCLE_1)
	s_mov_b32 s8, exec_lo
	v_cmpx_lt_u32_e64 v85, v2
	s_cbranch_execz .LBB844_954
.LBB844_939:                            ;   in Loop: Header=BB844_908 Depth=2
	s_waitcnt vmcnt(14)
	v_xor_b32_e32 v38, 0x80000000, v21
	v_mov_b32_e32 v37, v20
	s_delay_alu instid0(VALU_DEP_1) | instskip(NEXT) | instid1(VALU_DEP_1)
	v_lshrrev_b64 v[37:38], s40, v[37:38]
	v_and_b32_e32 v37, s42, v37
	s_delay_alu instid0(VALU_DEP_1) | instskip(SKIP_2) | instid1(SALU_CYCLE_1)
	v_lshl_or_b32 v37, v37, 4, v36
	ds_add_u32 v37, v123
	s_or_b32 exec_lo, exec_lo, s8
	s_mov_b32 s8, exec_lo
	v_cmpx_lt_u32_e64 v86, v2
	s_cbranch_execnz .LBB844_955
.LBB844_940:                            ;   in Loop: Header=BB844_908 Depth=2
	s_or_b32 exec_lo, exec_lo, s8
	s_delay_alu instid0(SALU_CYCLE_1)
	s_mov_b32 s8, exec_lo
	v_cmpx_lt_u32_e64 v87, v2
	s_cbranch_execz .LBB844_956
.LBB844_941:                            ;   in Loop: Header=BB844_908 Depth=2
	s_waitcnt vmcnt(14)
	v_xor_b32_e32 v38, 0x80000000, v17
	v_mov_b32_e32 v37, v16
	s_delay_alu instid0(VALU_DEP_1) | instskip(NEXT) | instid1(VALU_DEP_1)
	v_lshrrev_b64 v[37:38], s40, v[37:38]
	v_and_b32_e32 v37, s42, v37
	s_delay_alu instid0(VALU_DEP_1) | instskip(SKIP_2) | instid1(SALU_CYCLE_1)
	v_lshl_or_b32 v37, v37, 4, v36
	ds_add_u32 v37, v123
	s_or_b32 exec_lo, exec_lo, s8
	s_mov_b32 s8, exec_lo
	v_cmpx_lt_u32_e64 v88, v2
	s_cbranch_execnz .LBB844_957
.LBB844_942:                            ;   in Loop: Header=BB844_908 Depth=2
	s_or_b32 exec_lo, exec_lo, s8
	s_delay_alu instid0(SALU_CYCLE_1)
	s_mov_b32 s8, exec_lo
	v_cmpx_lt_u32_e64 v89, v2
	s_cbranch_execz .LBB844_958
.LBB844_943:                            ;   in Loop: Header=BB844_908 Depth=2
	s_waitcnt vmcnt(14)
	v_xor_b32_e32 v38, 0x80000000, v13
	v_mov_b32_e32 v37, v12
	s_delay_alu instid0(VALU_DEP_1) | instskip(NEXT) | instid1(VALU_DEP_1)
	v_lshrrev_b64 v[37:38], s40, v[37:38]
	v_and_b32_e32 v37, s42, v37
	s_delay_alu instid0(VALU_DEP_1) | instskip(SKIP_2) | instid1(SALU_CYCLE_1)
	v_lshl_or_b32 v37, v37, 4, v36
	ds_add_u32 v37, v123
	s_or_b32 exec_lo, exec_lo, s8
	s_mov_b32 s8, exec_lo
	v_cmpx_lt_u32_e64 v90, v2
	s_cbranch_execnz .LBB844_959
.LBB844_944:                            ;   in Loop: Header=BB844_908 Depth=2
	s_or_b32 exec_lo, exec_lo, s8
	s_delay_alu instid0(SALU_CYCLE_1)
	s_mov_b32 s8, exec_lo
	v_cmpx_lt_u32_e64 v91, v2
	s_cbranch_execz .LBB844_960
.LBB844_945:                            ;   in Loop: Header=BB844_908 Depth=2
	s_waitcnt vmcnt(14)
	v_xor_b32_e32 v38, 0x80000000, v9
	v_mov_b32_e32 v37, v8
	s_delay_alu instid0(VALU_DEP_1) | instskip(NEXT) | instid1(VALU_DEP_1)
	v_lshrrev_b64 v[37:38], s40, v[37:38]
	v_and_b32_e32 v37, s42, v37
	s_delay_alu instid0(VALU_DEP_1) | instskip(SKIP_2) | instid1(SALU_CYCLE_1)
	v_lshl_or_b32 v37, v37, 4, v36
	ds_add_u32 v37, v123
	s_or_b32 exec_lo, exec_lo, s8
	s_mov_b32 s8, exec_lo
	v_cmpx_lt_u32_e64 v92, v2
	s_cbranch_execnz .LBB844_961
.LBB844_946:                            ;   in Loop: Header=BB844_908 Depth=2
	s_or_b32 exec_lo, exec_lo, s8
	s_delay_alu instid0(SALU_CYCLE_1)
	s_mov_b32 s8, exec_lo
	v_cmpx_lt_u32_e64 v93, v2
	s_cbranch_execz .LBB844_962
.LBB844_947:                            ;   in Loop: Header=BB844_908 Depth=2
	s_waitcnt vmcnt(14)
	v_xor_b32_e32 v38, 0x80000000, v5
	v_mov_b32_e32 v37, v4
	s_delay_alu instid0(VALU_DEP_1) | instskip(NEXT) | instid1(VALU_DEP_1)
	v_lshrrev_b64 v[37:38], s40, v[37:38]
	v_and_b32_e32 v37, s42, v37
	s_delay_alu instid0(VALU_DEP_1) | instskip(SKIP_2) | instid1(SALU_CYCLE_1)
	v_lshl_or_b32 v37, v37, 4, v36
	ds_add_u32 v37, v123
	s_or_b32 exec_lo, exec_lo, s8
	s_mov_b32 s8, exec_lo
	v_cmpx_lt_u32_e64 v95, v2
	s_cbranch_execz .LBB844_907
	s_branch .LBB844_963
.LBB844_948:                            ;   in Loop: Header=BB844_908 Depth=2
	s_or_b32 exec_lo, exec_lo, s8
	s_delay_alu instid0(SALU_CYCLE_1)
	s_mov_b32 s8, exec_lo
	v_cmpx_lt_u32_e64 v77, v2
	s_cbranch_execz .LBB844_934
.LBB844_949:                            ;   in Loop: Header=BB844_908 Depth=2
	s_waitcnt vmcnt(14)
	v_xor_b32_e32 v38, 0x80000000, v31
	v_mov_b32_e32 v37, v30
	s_delay_alu instid0(VALU_DEP_1) | instskip(NEXT) | instid1(VALU_DEP_1)
	v_lshrrev_b64 v[37:38], s40, v[37:38]
	v_and_b32_e32 v37, s42, v37
	s_delay_alu instid0(VALU_DEP_1) | instskip(SKIP_2) | instid1(SALU_CYCLE_1)
	v_lshl_or_b32 v37, v37, 4, v36
	ds_add_u32 v37, v123
	s_or_b32 exec_lo, exec_lo, s8
	s_mov_b32 s8, exec_lo
	v_cmpx_lt_u32_e64 v78, v2
	s_cbranch_execnz .LBB844_935
.LBB844_950:                            ;   in Loop: Header=BB844_908 Depth=2
	s_or_b32 exec_lo, exec_lo, s8
	s_delay_alu instid0(SALU_CYCLE_1)
	s_mov_b32 s8, exec_lo
	v_cmpx_lt_u32_e64 v79, v2
	s_cbranch_execz .LBB844_936
.LBB844_951:                            ;   in Loop: Header=BB844_908 Depth=2
	s_waitcnt vmcnt(14)
	v_xor_b32_e32 v38, 0x80000000, v27
	v_mov_b32_e32 v37, v26
	s_delay_alu instid0(VALU_DEP_1) | instskip(NEXT) | instid1(VALU_DEP_1)
	v_lshrrev_b64 v[37:38], s40, v[37:38]
	v_and_b32_e32 v37, s42, v37
	s_delay_alu instid0(VALU_DEP_1) | instskip(SKIP_2) | instid1(SALU_CYCLE_1)
	v_lshl_or_b32 v37, v37, 4, v36
	ds_add_u32 v37, v123
	s_or_b32 exec_lo, exec_lo, s8
	s_mov_b32 s8, exec_lo
	v_cmpx_lt_u32_e64 v83, v2
	s_cbranch_execnz .LBB844_937
.LBB844_952:                            ;   in Loop: Header=BB844_908 Depth=2
	s_or_b32 exec_lo, exec_lo, s8
	s_delay_alu instid0(SALU_CYCLE_1)
	s_mov_b32 s8, exec_lo
	v_cmpx_lt_u32_e64 v84, v2
	s_cbranch_execz .LBB844_938
.LBB844_953:                            ;   in Loop: Header=BB844_908 Depth=2
	s_waitcnt vmcnt(14)
	v_xor_b32_e32 v38, 0x80000000, v23
	v_mov_b32_e32 v37, v22
	s_delay_alu instid0(VALU_DEP_1) | instskip(NEXT) | instid1(VALU_DEP_1)
	v_lshrrev_b64 v[37:38], s40, v[37:38]
	v_and_b32_e32 v37, s42, v37
	s_delay_alu instid0(VALU_DEP_1) | instskip(SKIP_2) | instid1(SALU_CYCLE_1)
	v_lshl_or_b32 v37, v37, 4, v36
	ds_add_u32 v37, v123
	s_or_b32 exec_lo, exec_lo, s8
	s_mov_b32 s8, exec_lo
	v_cmpx_lt_u32_e64 v85, v2
	s_cbranch_execnz .LBB844_939
.LBB844_954:                            ;   in Loop: Header=BB844_908 Depth=2
	s_or_b32 exec_lo, exec_lo, s8
	s_delay_alu instid0(SALU_CYCLE_1)
	s_mov_b32 s8, exec_lo
	v_cmpx_lt_u32_e64 v86, v2
	s_cbranch_execz .LBB844_940
.LBB844_955:                            ;   in Loop: Header=BB844_908 Depth=2
	s_waitcnt vmcnt(14)
	v_xor_b32_e32 v38, 0x80000000, v19
	v_mov_b32_e32 v37, v18
	s_delay_alu instid0(VALU_DEP_1) | instskip(NEXT) | instid1(VALU_DEP_1)
	v_lshrrev_b64 v[37:38], s40, v[37:38]
	v_and_b32_e32 v37, s42, v37
	s_delay_alu instid0(VALU_DEP_1) | instskip(SKIP_2) | instid1(SALU_CYCLE_1)
	v_lshl_or_b32 v37, v37, 4, v36
	ds_add_u32 v37, v123
	s_or_b32 exec_lo, exec_lo, s8
	s_mov_b32 s8, exec_lo
	v_cmpx_lt_u32_e64 v87, v2
	s_cbranch_execnz .LBB844_941
.LBB844_956:                            ;   in Loop: Header=BB844_908 Depth=2
	s_or_b32 exec_lo, exec_lo, s8
	s_delay_alu instid0(SALU_CYCLE_1)
	s_mov_b32 s8, exec_lo
	v_cmpx_lt_u32_e64 v88, v2
	s_cbranch_execz .LBB844_942
.LBB844_957:                            ;   in Loop: Header=BB844_908 Depth=2
	s_waitcnt vmcnt(14)
	v_xor_b32_e32 v38, 0x80000000, v15
	v_mov_b32_e32 v37, v14
	s_delay_alu instid0(VALU_DEP_1) | instskip(NEXT) | instid1(VALU_DEP_1)
	v_lshrrev_b64 v[37:38], s40, v[37:38]
	v_and_b32_e32 v37, s42, v37
	s_delay_alu instid0(VALU_DEP_1) | instskip(SKIP_2) | instid1(SALU_CYCLE_1)
	v_lshl_or_b32 v37, v37, 4, v36
	ds_add_u32 v37, v123
	s_or_b32 exec_lo, exec_lo, s8
	s_mov_b32 s8, exec_lo
	v_cmpx_lt_u32_e64 v89, v2
	s_cbranch_execnz .LBB844_943
.LBB844_958:                            ;   in Loop: Header=BB844_908 Depth=2
	s_or_b32 exec_lo, exec_lo, s8
	s_delay_alu instid0(SALU_CYCLE_1)
	s_mov_b32 s8, exec_lo
	v_cmpx_lt_u32_e64 v90, v2
	s_cbranch_execz .LBB844_944
.LBB844_959:                            ;   in Loop: Header=BB844_908 Depth=2
	s_waitcnt vmcnt(14)
	v_xor_b32_e32 v38, 0x80000000, v11
	v_mov_b32_e32 v37, v10
	s_delay_alu instid0(VALU_DEP_1) | instskip(NEXT) | instid1(VALU_DEP_1)
	v_lshrrev_b64 v[37:38], s40, v[37:38]
	v_and_b32_e32 v37, s42, v37
	s_delay_alu instid0(VALU_DEP_1) | instskip(SKIP_2) | instid1(SALU_CYCLE_1)
	v_lshl_or_b32 v37, v37, 4, v36
	ds_add_u32 v37, v123
	s_or_b32 exec_lo, exec_lo, s8
	s_mov_b32 s8, exec_lo
	v_cmpx_lt_u32_e64 v91, v2
	s_cbranch_execnz .LBB844_945
.LBB844_960:                            ;   in Loop: Header=BB844_908 Depth=2
	s_or_b32 exec_lo, exec_lo, s8
	s_delay_alu instid0(SALU_CYCLE_1)
	s_mov_b32 s8, exec_lo
	v_cmpx_lt_u32_e64 v92, v2
	s_cbranch_execz .LBB844_946
.LBB844_961:                            ;   in Loop: Header=BB844_908 Depth=2
	s_waitcnt vmcnt(14)
	v_xor_b32_e32 v38, 0x80000000, v7
	v_mov_b32_e32 v37, v6
	s_delay_alu instid0(VALU_DEP_1) | instskip(NEXT) | instid1(VALU_DEP_1)
	v_lshrrev_b64 v[37:38], s40, v[37:38]
	v_and_b32_e32 v37, s42, v37
	s_delay_alu instid0(VALU_DEP_1) | instskip(SKIP_2) | instid1(SALU_CYCLE_1)
	v_lshl_or_b32 v37, v37, 4, v36
	ds_add_u32 v37, v123
	s_or_b32 exec_lo, exec_lo, s8
	s_mov_b32 s8, exec_lo
	v_cmpx_lt_u32_e64 v93, v2
	s_cbranch_execnz .LBB844_947
.LBB844_962:                            ;   in Loop: Header=BB844_908 Depth=2
	s_or_b32 exec_lo, exec_lo, s8
	s_delay_alu instid0(SALU_CYCLE_1)
	s_mov_b32 s8, exec_lo
	v_cmpx_lt_u32_e64 v95, v2
	s_cbranch_execz .LBB844_907
.LBB844_963:                            ;   in Loop: Header=BB844_908 Depth=2
	s_waitcnt vmcnt(0)
	v_xor_b32_e32 v38, 0x80000000, v35
	v_mov_b32_e32 v37, v34
	s_delay_alu instid0(VALU_DEP_1) | instskip(NEXT) | instid1(VALU_DEP_1)
	v_lshrrev_b64 v[37:38], s40, v[37:38]
	v_and_b32_e32 v2, s42, v37
	s_delay_alu instid0(VALU_DEP_1)
	v_lshl_or_b32 v2, v2, 4, v36
	ds_add_u32 v2, v123
	s_branch .LBB844_907
.LBB844_964:                            ;   in Loop: Header=BB844_908 Depth=2
	s_or_b32 exec_lo, exec_lo, s11
	s_delay_alu instid0(SALU_CYCLE_1)
	s_mov_b32 s11, exec_lo
	v_cmpx_gt_u32_e64 s1, v77
	s_cbranch_execz .LBB844_914
.LBB844_965:                            ;   in Loop: Header=BB844_908 Depth=2
	global_load_b64 v[30:31], v124, s[8:9] offset:2048
	s_or_b32 exec_lo, exec_lo, s11
	s_delay_alu instid0(SALU_CYCLE_1)
	s_mov_b32 s11, exec_lo
	v_cmpx_gt_u32_e64 s1, v78
	s_cbranch_execnz .LBB844_915
.LBB844_966:                            ;   in Loop: Header=BB844_908 Depth=2
	s_or_b32 exec_lo, exec_lo, s11
	s_delay_alu instid0(SALU_CYCLE_1)
	s_mov_b32 s11, exec_lo
	v_cmpx_gt_u32_e64 s1, v79
	s_cbranch_execz .LBB844_916
.LBB844_967:                            ;   in Loop: Header=BB844_908 Depth=2
	global_load_b64 v[26:27], v126, s[8:9]
	s_or_b32 exec_lo, exec_lo, s11
	s_delay_alu instid0(SALU_CYCLE_1)
	s_mov_b32 s11, exec_lo
	v_cmpx_gt_u32_e64 s1, v83
	s_cbranch_execnz .LBB844_917
.LBB844_968:                            ;   in Loop: Header=BB844_908 Depth=2
	s_or_b32 exec_lo, exec_lo, s11
	s_delay_alu instid0(SALU_CYCLE_1)
	s_mov_b32 s11, exec_lo
	v_cmpx_gt_u32_e64 s1, v84
	s_cbranch_execz .LBB844_918
.LBB844_969:                            ;   in Loop: Header=BB844_908 Depth=2
	global_load_b64 v[22:23], v128, s[8:9]
	s_or_b32 exec_lo, exec_lo, s11
	s_delay_alu instid0(SALU_CYCLE_1)
	s_mov_b32 s11, exec_lo
	v_cmpx_gt_u32_e64 s1, v85
	s_cbranch_execnz .LBB844_919
.LBB844_970:                            ;   in Loop: Header=BB844_908 Depth=2
	s_or_b32 exec_lo, exec_lo, s11
	s_delay_alu instid0(SALU_CYCLE_1)
	s_mov_b32 s11, exec_lo
	v_cmpx_gt_u32_e64 s1, v86
	s_cbranch_execz .LBB844_920
.LBB844_971:                            ;   in Loop: Header=BB844_908 Depth=2
	global_load_b64 v[18:19], v130, s[8:9]
	s_or_b32 exec_lo, exec_lo, s11
	s_delay_alu instid0(SALU_CYCLE_1)
	s_mov_b32 s11, exec_lo
	v_cmpx_gt_u32_e64 s1, v87
	s_cbranch_execnz .LBB844_921
.LBB844_972:                            ;   in Loop: Header=BB844_908 Depth=2
	s_or_b32 exec_lo, exec_lo, s11
	s_delay_alu instid0(SALU_CYCLE_1)
	s_mov_b32 s11, exec_lo
	v_cmpx_gt_u32_e64 s1, v88
	s_cbranch_execz .LBB844_922
.LBB844_973:                            ;   in Loop: Header=BB844_908 Depth=2
	global_load_b64 v[14:15], v132, s[8:9]
	s_or_b32 exec_lo, exec_lo, s11
	s_delay_alu instid0(SALU_CYCLE_1)
	s_mov_b32 s11, exec_lo
	v_cmpx_gt_u32_e64 s1, v89
	s_cbranch_execnz .LBB844_923
.LBB844_974:                            ;   in Loop: Header=BB844_908 Depth=2
	s_or_b32 exec_lo, exec_lo, s11
	s_delay_alu instid0(SALU_CYCLE_1)
	s_mov_b32 s11, exec_lo
	v_cmpx_gt_u32_e64 s1, v90
	s_cbranch_execz .LBB844_924
.LBB844_975:                            ;   in Loop: Header=BB844_908 Depth=2
	global_load_b64 v[10:11], v134, s[8:9]
	s_or_b32 exec_lo, exec_lo, s11
	s_delay_alu instid0(SALU_CYCLE_1)
	s_mov_b32 s11, exec_lo
	v_cmpx_gt_u32_e64 s1, v91
	s_cbranch_execnz .LBB844_925
.LBB844_976:                            ;   in Loop: Header=BB844_908 Depth=2
	s_or_b32 exec_lo, exec_lo, s11
	s_delay_alu instid0(SALU_CYCLE_1)
	s_mov_b32 s11, exec_lo
	v_cmpx_gt_u32_e64 s1, v92
	s_cbranch_execz .LBB844_926
.LBB844_977:                            ;   in Loop: Header=BB844_908 Depth=2
	v_lshlrev_b32_e32 v2, 3, v92
	global_load_b64 v[6:7], v2, s[8:9]
	s_or_b32 exec_lo, exec_lo, s11
	s_delay_alu instid0(SALU_CYCLE_1)
	s_mov_b32 s11, exec_lo
	v_cmpx_gt_u32_e64 s1, v93
	s_cbranch_execz .LBB844_928
	s_branch .LBB844_927
.LBB844_978:                            ;   in Loop: Header=BB844_20 Depth=1
	v_mov_b32_e32 v2, 0
	s_waitcnt vmcnt(0) lgkmcnt(0)
	s_barrier
	buffer_gl0_inv
	s_and_saveexec_b32 s1, s2
	s_cbranch_execz .LBB844_980
; %bb.979:                              ;   in Loop: Header=BB844_20 Depth=1
	ds_load_2addr_b64 v[4:7], v96 offset1:1
	s_waitcnt lgkmcnt(0)
	v_add_nc_u32_e32 v2, v5, v4
	s_delay_alu instid0(VALU_DEP_1)
	v_add3_u32 v2, v2, v6, v7
.LBB844_980:                            ;   in Loop: Header=BB844_20 Depth=1
	s_or_b32 exec_lo, exec_lo, s1
	v_and_b32_e32 v4, 15, v136
	s_delay_alu instid0(VALU_DEP_2) | instskip(SKIP_1) | instid1(VALU_DEP_3)
	v_mov_b32_dpp v5, v2 row_shr:1 row_mask:0xf bank_mask:0xf
	v_and_b32_e32 v6, 16, v136
	v_cmp_eq_u32_e64 s1, 0, v4
	v_cmp_lt_u32_e64 s7, 1, v4
	v_cmp_lt_u32_e64 s8, 3, v4
	;; [unrolled: 1-line block ×3, first 2 shown]
	v_cmp_eq_u32_e64 s10, 0, v6
	v_cndmask_b32_e64 v5, v5, 0, s1
	s_delay_alu instid0(VALU_DEP_1) | instskip(NEXT) | instid1(VALU_DEP_1)
	v_add_nc_u32_e32 v2, v5, v2
	v_mov_b32_dpp v5, v2 row_shr:2 row_mask:0xf bank_mask:0xf
	s_delay_alu instid0(VALU_DEP_1) | instskip(NEXT) | instid1(VALU_DEP_1)
	v_cndmask_b32_e64 v5, 0, v5, s7
	v_add_nc_u32_e32 v2, v2, v5
	s_delay_alu instid0(VALU_DEP_1) | instskip(NEXT) | instid1(VALU_DEP_1)
	v_mov_b32_dpp v5, v2 row_shr:4 row_mask:0xf bank_mask:0xf
	v_cndmask_b32_e64 v5, 0, v5, s8
	s_delay_alu instid0(VALU_DEP_1) | instskip(NEXT) | instid1(VALU_DEP_1)
	v_add_nc_u32_e32 v2, v2, v5
	v_mov_b32_dpp v5, v2 row_shr:8 row_mask:0xf bank_mask:0xf
	s_delay_alu instid0(VALU_DEP_1) | instskip(SKIP_1) | instid1(VALU_DEP_2)
	v_cndmask_b32_e64 v4, 0, v5, s9
	v_bfe_i32 v5, v136, 4, 1
	v_add_nc_u32_e32 v2, v2, v4
	ds_swizzle_b32 v4, v2 offset:swizzle(BROADCAST,32,15)
	s_waitcnt lgkmcnt(0)
	v_and_b32_e32 v4, v5, v4
	s_delay_alu instid0(VALU_DEP_1)
	v_add_nc_u32_e32 v4, v2, v4
	s_and_saveexec_b32 s11, s3
	s_cbranch_execz .LBB844_982
; %bb.981:                              ;   in Loop: Header=BB844_20 Depth=1
	ds_store_b32 v97, v4
.LBB844_982:                            ;   in Loop: Header=BB844_20 Depth=1
	s_or_b32 exec_lo, exec_lo, s11
	v_and_b32_e32 v2, 7, v136
	s_waitcnt lgkmcnt(0)
	s_barrier
	buffer_gl0_inv
	s_and_saveexec_b32 s11, s4
	s_cbranch_execz .LBB844_984
; %bb.983:                              ;   in Loop: Header=BB844_20 Depth=1
	ds_load_b32 v5, v98
	v_cmp_ne_u32_e32 vcc_lo, 0, v2
	s_waitcnt lgkmcnt(0)
	v_mov_b32_dpp v6, v5 row_shr:1 row_mask:0xf bank_mask:0xf
	s_delay_alu instid0(VALU_DEP_1) | instskip(SKIP_1) | instid1(VALU_DEP_2)
	v_cndmask_b32_e32 v6, 0, v6, vcc_lo
	v_cmp_lt_u32_e32 vcc_lo, 1, v2
	v_add_nc_u32_e32 v5, v6, v5
	s_delay_alu instid0(VALU_DEP_1) | instskip(NEXT) | instid1(VALU_DEP_1)
	v_mov_b32_dpp v6, v5 row_shr:2 row_mask:0xf bank_mask:0xf
	v_cndmask_b32_e32 v6, 0, v6, vcc_lo
	v_cmp_lt_u32_e32 vcc_lo, 3, v2
	s_delay_alu instid0(VALU_DEP_2) | instskip(NEXT) | instid1(VALU_DEP_1)
	v_add_nc_u32_e32 v5, v5, v6
	v_mov_b32_dpp v6, v5 row_shr:4 row_mask:0xf bank_mask:0xf
	s_delay_alu instid0(VALU_DEP_1) | instskip(NEXT) | instid1(VALU_DEP_1)
	v_cndmask_b32_e32 v6, 0, v6, vcc_lo
	v_add_nc_u32_e32 v5, v5, v6
	ds_store_b32 v98, v5
.LBB844_984:                            ;   in Loop: Header=BB844_20 Depth=1
	s_or_b32 exec_lo, exec_lo, s11
	v_mov_b32_e32 v5, 0
	s_waitcnt lgkmcnt(0)
	s_barrier
	buffer_gl0_inv
	s_and_saveexec_b32 s11, s5
	s_cbranch_execz .LBB844_986
; %bb.985:                              ;   in Loop: Header=BB844_20 Depth=1
	ds_load_b32 v5, v99
.LBB844_986:                            ;   in Loop: Header=BB844_20 Depth=1
	s_or_b32 exec_lo, exec_lo, s11
	v_add_nc_u32_e32 v6, -1, v136
	s_waitcnt lgkmcnt(0)
	v_add_nc_u32_e32 v4, v5, v4
	v_cmp_eq_u32_e64 s11, 0, v136
	s_barrier
	v_cmp_gt_i32_e32 vcc_lo, 0, v6
	buffer_gl0_inv
	v_cndmask_b32_e32 v6, v6, v136, vcc_lo
	s_delay_alu instid0(VALU_DEP_1)
	v_lshlrev_b32_e32 v137, 2, v6
	ds_bpermute_b32 v4, v137, v4
	s_and_saveexec_b32 s12, s2
	s_cbranch_execz .LBB844_988
; %bb.987:                              ;   in Loop: Header=BB844_20 Depth=1
	s_waitcnt lgkmcnt(0)
	v_cndmask_b32_e64 v4, v4, v5, s11
	s_delay_alu instid0(VALU_DEP_1)
	v_add_nc_u32_e32 v4, s60, v4
	ds_store_b32 v76, v4
.LBB844_988:                            ;   in Loop: Header=BB844_20 Depth=1
	s_or_b32 exec_lo, exec_lo, s12
	s_load_b64 s[12:13], s[36:37], 0x0
	v_lshlrev_b32_e32 v7, 3, v136
	v_or_b32_e32 v138, v136, v100
	s_mov_b32 s43, s62
	s_mov_b32 s34, s60
                                        ; implicit-def: $vgpr8_vgpr9
                                        ; implicit-def: $vgpr10_vgpr11
                                        ; implicit-def: $vgpr12_vgpr13
                                        ; implicit-def: $vgpr14_vgpr15
                                        ; implicit-def: $vgpr16_vgpr17
                                        ; implicit-def: $vgpr18_vgpr19
                                        ; implicit-def: $vgpr20_vgpr21
                                        ; implicit-def: $vgpr22_vgpr23
                                        ; implicit-def: $vgpr24_vgpr25
                                        ; implicit-def: $vgpr26_vgpr27
                                        ; implicit-def: $vgpr28_vgpr29
                                        ; implicit-def: $vgpr30_vgpr31
                                        ; implicit-def: $vgpr32_vgpr33
                                        ; implicit-def: $vgpr34_vgpr35
                                        ; implicit-def: $vgpr161
                                        ; implicit-def: $vgpr162
                                        ; implicit-def: $vgpr163
                                        ; implicit-def: $vgpr164
                                        ; implicit-def: $vgpr165
                                        ; implicit-def: $vgpr166
                                        ; implicit-def: $vgpr167
                                        ; implicit-def: $vgpr168
                                        ; implicit-def: $vgpr169
                                        ; implicit-def: $vgpr170
                                        ; implicit-def: $vgpr171
                                        ; implicit-def: $vgpr172
                                        ; implicit-def: $vgpr173
                                        ; implicit-def: $vgpr174
                                        ; implicit-def: $vgpr175
                                        ; implicit-def: $vgpr176
	s_delay_alu instid0(VALU_DEP_2) | instskip(SKIP_4) | instid1(VALU_DEP_3)
	v_add_co_u32 v139, vcc_lo, v119, v7
	v_add_co_ci_u32_e32 v140, vcc_lo, 0, v120, vcc_lo
	v_add_co_u32 v156, vcc_lo, v121, v7
	v_add_co_ci_u32_e32 v157, vcc_lo, 0, v122, vcc_lo
	v_or_b32_e32 v141, 32, v138
	v_add_co_u32 v159, vcc_lo, 0xf00, v156
	v_or_b32_e32 v142, 64, v138
	v_or_b32_e32 v143, 0x60, v138
	;; [unrolled: 1-line block ×3, first 2 shown]
	s_waitcnt lgkmcnt(0)
	s_cmp_lt_u32 s15, s13
	v_or_b32_e32 v145, 0xa0, v138
	s_cselect_b32 s13, 14, 20
	v_or_b32_e32 v146, 0xc0, v138
	s_add_u32 s16, s36, s13
	s_addc_u32 s17, s37, 0
	s_cmp_lt_u32 s14, s12
	global_load_u16 v4, v3, s[16:17]
	s_cselect_b32 s12, 12, 18
	v_or_b32_e32 v147, 0xe0, v138
	s_add_u32 s12, s36, s12
	s_addc_u32 s13, s37, 0
	v_or_b32_e32 v148, 0x100, v138
	global_load_u16 v6, v3, s[12:13]
	v_cmp_eq_u32_e64 s12, 0, v2
	v_cmp_lt_u32_e64 s13, 1, v2
	v_cmp_lt_u32_e64 s16, 3, v2
	v_or_b32_e32 v149, 0x120, v138
	v_or_b32_e32 v150, 0x140, v138
	;; [unrolled: 1-line block ×7, first 2 shown]
	v_add_co_ci_u32_e32 v160, vcc_lo, 0, v157, vcc_lo
	s_waitcnt vmcnt(1)
	v_mad_u32_u24 v2, v101, v4, v0
	s_waitcnt vmcnt(0)
	s_delay_alu instid0(VALU_DEP_1) | instskip(NEXT) | instid1(VALU_DEP_1)
	v_mad_u64_u32 v[4:5], null, v2, v6, v[1:2]
                                        ; implicit-def: $vgpr6_vgpr7
	v_lshrrev_b32_e32 v158, 5, v4
                                        ; implicit-def: $vgpr4_vgpr5
	s_branch .LBB844_990
.LBB844_989:                            ;   in Loop: Header=BB844_990 Depth=2
	s_or_b32 exec_lo, exec_lo, s17
	s_addk_i32 s43, 0xf000
	s_cmp_lt_u32 s50, s61
	s_mov_b32 s34, s50
	s_cbranch_scc0 .LBB844_18
.LBB844_990:                            ;   Parent Loop BB844_20 Depth=1
                                        ; =>  This Inner Loop Header: Depth=2
	s_add_i32 s50, s34, 0x1000
	s_delay_alu instid0(SALU_CYCLE_1)
	s_cmp_gt_u32 s50, s61
	s_cbranch_scc1 .LBB844_992
; %bb.991:                              ;   in Loop: Header=BB844_990 Depth=2
	s_mov_b32 s19, 0
	s_mov_b32 s18, s34
	s_movk_i32 s17, 0x1000
	s_lshl_b64 s[20:21], s[18:19], 3
	s_delay_alu instid0(SALU_CYCLE_1)
	v_add_co_u32 v64, vcc_lo, v156, s20
	v_add_co_ci_u32_e32 v65, vcc_lo, s21, v157, vcc_lo
	s_mov_b32 s20, -1
	s_clause 0xe
	global_load_b64 v[36:37], v[64:65], off
	global_load_b64 v[38:39], v[64:65], off offset:256
	global_load_b64 v[40:41], v[64:65], off offset:512
	;; [unrolled: 1-line block ×14, first 2 shown]
	s_cbranch_execz .LBB844_993
	s_branch .LBB844_1024
.LBB844_992:                            ;   in Loop: Header=BB844_990 Depth=2
	s_mov_b32 s19, -1
	s_mov_b32 s20, 0
                                        ; implicit-def: $sgpr17
                                        ; implicit-def: $vgpr36_vgpr37
                                        ; implicit-def: $vgpr38_vgpr39
                                        ; implicit-def: $vgpr40_vgpr41
                                        ; implicit-def: $vgpr42_vgpr43
                                        ; implicit-def: $vgpr44_vgpr45
                                        ; implicit-def: $vgpr46_vgpr47
                                        ; implicit-def: $vgpr48_vgpr49
                                        ; implicit-def: $vgpr50_vgpr51
                                        ; implicit-def: $vgpr52_vgpr53
                                        ; implicit-def: $vgpr54_vgpr55
                                        ; implicit-def: $vgpr56_vgpr57
                                        ; implicit-def: $vgpr58_vgpr59
                                        ; implicit-def: $vgpr60_vgpr61
                                        ; implicit-def: $vgpr62_vgpr63
                                        ; implicit-def: $vgpr64_vgpr65
.LBB844_993:                            ;   in Loop: Header=BB844_990 Depth=2
	s_lshl_b64 s[18:19], s[34:35], 3
	s_waitcnt vmcnt(14)
	v_dual_mov_b32 v36, s38 :: v_dual_mov_b32 v37, s39
	v_add_co_u32 v66, vcc_lo, v156, s18
	v_add_co_ci_u32_e32 v67, vcc_lo, s19, v157, vcc_lo
	s_mov_b32 s17, exec_lo
	v_cmpx_gt_u32_e64 s43, v138
	s_cbranch_execz .LBB844_995
; %bb.994:                              ;   in Loop: Header=BB844_990 Depth=2
	global_load_b64 v[36:37], v[66:67], off
.LBB844_995:                            ;   in Loop: Header=BB844_990 Depth=2
	s_or_b32 exec_lo, exec_lo, s17
	s_waitcnt vmcnt(13)
	v_dual_mov_b32 v38, s38 :: v_dual_mov_b32 v39, s39
	s_mov_b32 s17, exec_lo
	v_cmpx_gt_u32_e64 s43, v141
	s_cbranch_execz .LBB844_997
; %bb.996:                              ;   in Loop: Header=BB844_990 Depth=2
	global_load_b64 v[38:39], v[66:67], off offset:256
.LBB844_997:                            ;   in Loop: Header=BB844_990 Depth=2
	s_or_b32 exec_lo, exec_lo, s17
	s_waitcnt vmcnt(12)
	v_dual_mov_b32 v41, s39 :: v_dual_mov_b32 v40, s38
	s_mov_b32 s17, exec_lo
	v_cmpx_gt_u32_e64 s43, v142
	s_cbranch_execz .LBB844_999
; %bb.998:                              ;   in Loop: Header=BB844_990 Depth=2
	global_load_b64 v[40:41], v[66:67], off offset:512
.LBB844_999:                            ;   in Loop: Header=BB844_990 Depth=2
	s_or_b32 exec_lo, exec_lo, s17
	s_waitcnt vmcnt(11)
	v_dual_mov_b32 v43, s39 :: v_dual_mov_b32 v42, s38
	s_mov_b32 s17, exec_lo
	v_cmpx_gt_u32_e64 s43, v143
	s_cbranch_execz .LBB844_1001
; %bb.1000:                             ;   in Loop: Header=BB844_990 Depth=2
	global_load_b64 v[42:43], v[66:67], off offset:768
.LBB844_1001:                           ;   in Loop: Header=BB844_990 Depth=2
	s_or_b32 exec_lo, exec_lo, s17
	s_waitcnt vmcnt(10)
	v_dual_mov_b32 v45, s39 :: v_dual_mov_b32 v44, s38
	s_mov_b32 s17, exec_lo
	v_cmpx_gt_u32_e64 s43, v144
	s_cbranch_execz .LBB844_1003
; %bb.1002:                             ;   in Loop: Header=BB844_990 Depth=2
	global_load_b64 v[44:45], v[66:67], off offset:1024
.LBB844_1003:                           ;   in Loop: Header=BB844_990 Depth=2
	;; [unrolled: 9-line block ×12, first 2 shown]
	s_or_b32 exec_lo, exec_lo, s17
	v_cmp_gt_u32_e64 s20, s43, v155
	s_sub_i32 s17, s61, s34
	s_mov_b64 s[18:19], s[34:35]
.LBB844_1024:                           ;   in Loop: Header=BB844_990 Depth=2
	v_dual_mov_b32 v67, s39 :: v_dual_mov_b32 v66, s38
	v_mov_b32_e32 v177, s43
	s_and_saveexec_b32 s21, s20
	s_cbranch_execz .LBB844_1026
; %bb.1025:                             ;   in Loop: Header=BB844_990 Depth=2
	s_lshl_b64 s[18:19], s[18:19], 3
	v_mov_b32_e32 v177, s17
	v_add_co_u32 v66, vcc_lo, v159, s18
	v_add_co_ci_u32_e32 v67, vcc_lo, s19, v160, vcc_lo
	global_load_b64 v[66:67], v[66:67], off
.LBB844_1026:                           ;   in Loop: Header=BB844_990 Depth=2
	s_or_b32 exec_lo, exec_lo, s21
	s_waitcnt vmcnt(14)
	v_xor_b32_e32 v37, 0x80000000, v37
	ds_store_b32 v102, v3 offset:1056
	ds_store_2addr_b32 v103, v3, v3 offset0:1 offset1:2
	ds_store_2addr_b32 v103, v3, v3 offset0:3 offset1:4
	;; [unrolled: 1-line block ×4, first 2 shown]
	s_waitcnt vmcnt(0) lgkmcnt(0)
	s_barrier
	v_lshrrev_b64 v[68:69], s40, v[36:37]
	buffer_gl0_inv
	; wave barrier
	v_and_b32_e32 v69, s42, v68
	s_delay_alu instid0(VALU_DEP_1)
	v_and_b32_e32 v2, 1, v69
	v_lshlrev_b32_e32 v68, 30, v69
	v_lshlrev_b32_e32 v70, 29, v69
	;; [unrolled: 1-line block ×4, first 2 shown]
	v_add_co_u32 v2, s17, v2, -1
	s_delay_alu instid0(VALU_DEP_1)
	v_cndmask_b32_e64 v72, 0, 1, s17
	v_not_b32_e32 v178, v68
	v_cmp_gt_i32_e64 s17, 0, v68
	v_not_b32_e32 v68, v70
	v_lshlrev_b32_e32 v74, 26, v69
	v_cmp_ne_u32_e32 vcc_lo, 0, v72
	v_ashrrev_i32_e32 v178, 31, v178
	v_lshlrev_b32_e32 v75, 25, v69
	v_ashrrev_i32_e32 v68, 31, v68
	v_lshlrev_b32_e32 v72, 24, v69
	v_xor_b32_e32 v2, vcc_lo, v2
	v_cmp_gt_i32_e32 vcc_lo, 0, v70
	v_not_b32_e32 v70, v71
	v_xor_b32_e32 v178, s17, v178
	v_cmp_gt_i32_e64 s17, 0, v71
	v_and_b32_e32 v2, exec_lo, v2
	v_not_b32_e32 v71, v73
	v_ashrrev_i32_e32 v70, 31, v70
	v_xor_b32_e32 v68, vcc_lo, v68
	v_cmp_gt_i32_e32 vcc_lo, 0, v73
	v_and_b32_e32 v2, v2, v178
	v_not_b32_e32 v73, v74
	v_ashrrev_i32_e32 v71, 31, v71
	v_xor_b32_e32 v70, s17, v70
	v_cmp_gt_i32_e64 s17, 0, v74
	v_and_b32_e32 v2, v2, v68
	v_not_b32_e32 v68, v75
	v_ashrrev_i32_e32 v73, 31, v73
	v_xor_b32_e32 v71, vcc_lo, v71
	v_cmp_gt_i32_e32 vcc_lo, 0, v75
	v_and_b32_e32 v2, v2, v70
	v_not_b32_e32 v70, v72
	v_ashrrev_i32_e32 v68, 31, v68
	v_xor_b32_e32 v73, s17, v73
	v_cmp_gt_i32_e64 s17, 0, v72
	v_and_b32_e32 v2, v2, v71
	v_ashrrev_i32_e32 v70, 31, v70
	v_xor_b32_e32 v68, vcc_lo, v68
	v_mad_u32_u24 v69, v69, 9, v158
	s_delay_alu instid0(VALU_DEP_4) | instskip(NEXT) | instid1(VALU_DEP_4)
	v_and_b32_e32 v2, v2, v73
	v_xor_b32_e32 v70, s17, v70
	s_delay_alu instid0(VALU_DEP_3) | instskip(NEXT) | instid1(VALU_DEP_3)
	v_lshl_add_u32 v178, v69, 2, 0x420
	v_and_b32_e32 v2, v2, v68
	s_delay_alu instid0(VALU_DEP_1) | instskip(NEXT) | instid1(VALU_DEP_1)
	v_and_b32_e32 v68, v2, v70
	v_mbcnt_lo_u32_b32 v2, v68, 0
	v_cmp_ne_u32_e64 s17, 0, v68
	s_delay_alu instid0(VALU_DEP_2) | instskip(NEXT) | instid1(VALU_DEP_2)
	v_cmp_eq_u32_e32 vcc_lo, 0, v2
	s_and_b32 s18, s17, vcc_lo
	s_delay_alu instid0(SALU_CYCLE_1)
	s_and_saveexec_b32 s17, s18
	s_cbranch_execz .LBB844_1028
; %bb.1027:                             ;   in Loop: Header=BB844_990 Depth=2
	v_bcnt_u32_b32 v68, v68, 0
	ds_store_b32 v178, v68
.LBB844_1028:                           ;   in Loop: Header=BB844_990 Depth=2
	s_or_b32 exec_lo, exec_lo, s17
	v_xor_b32_e32 v39, 0x80000000, v39
	; wave barrier
	s_delay_alu instid0(VALU_DEP_1) | instskip(NEXT) | instid1(VALU_DEP_1)
	v_lshrrev_b64 v[68:69], s40, v[38:39]
	v_and_b32_e32 v68, s42, v68
	s_delay_alu instid0(VALU_DEP_1)
	v_and_b32_e32 v69, 1, v68
	v_lshlrev_b32_e32 v70, 30, v68
	v_lshlrev_b32_e32 v71, 29, v68
	;; [unrolled: 1-line block ×4, first 2 shown]
	v_add_co_u32 v69, s17, v69, -1
	s_delay_alu instid0(VALU_DEP_1)
	v_cndmask_b32_e64 v73, 0, 1, s17
	v_not_b32_e32 v180, v70
	v_cmp_gt_i32_e64 s17, 0, v70
	v_not_b32_e32 v70, v71
	v_lshlrev_b32_e32 v75, 26, v68
	v_cmp_ne_u32_e32 vcc_lo, 0, v73
	v_ashrrev_i32_e32 v180, 31, v180
	v_lshlrev_b32_e32 v179, 25, v68
	v_ashrrev_i32_e32 v70, 31, v70
	v_lshlrev_b32_e32 v73, 24, v68
	v_xor_b32_e32 v69, vcc_lo, v69
	v_cmp_gt_i32_e32 vcc_lo, 0, v71
	v_not_b32_e32 v71, v72
	v_xor_b32_e32 v180, s17, v180
	v_cmp_gt_i32_e64 s17, 0, v72
	v_and_b32_e32 v69, exec_lo, v69
	v_not_b32_e32 v72, v74
	v_ashrrev_i32_e32 v71, 31, v71
	v_xor_b32_e32 v70, vcc_lo, v70
	v_cmp_gt_i32_e32 vcc_lo, 0, v74
	v_and_b32_e32 v69, v69, v180
	v_not_b32_e32 v74, v75
	v_ashrrev_i32_e32 v72, 31, v72
	v_xor_b32_e32 v71, s17, v71
	v_cmp_gt_i32_e64 s17, 0, v75
	v_and_b32_e32 v69, v69, v70
	v_not_b32_e32 v70, v179
	v_ashrrev_i32_e32 v74, 31, v74
	v_xor_b32_e32 v72, vcc_lo, v72
	v_cmp_gt_i32_e32 vcc_lo, 0, v179
	v_and_b32_e32 v69, v69, v71
	v_not_b32_e32 v71, v73
	v_ashrrev_i32_e32 v70, 31, v70
	v_xor_b32_e32 v74, s17, v74
	v_mul_u32_u24_e32 v68, 9, v68
	v_and_b32_e32 v69, v69, v72
	v_cmp_gt_i32_e64 s17, 0, v73
	v_ashrrev_i32_e32 v71, 31, v71
	v_xor_b32_e32 v70, vcc_lo, v70
	v_add_lshl_u32 v72, v68, v158, 2
	v_and_b32_e32 v69, v69, v74
	s_delay_alu instid0(VALU_DEP_4) | instskip(SKIP_3) | instid1(VALU_DEP_2)
	v_xor_b32_e32 v68, s17, v71
	ds_load_b32 v179, v72 offset:1056
	v_and_b32_e32 v69, v69, v70
	v_add_nc_u32_e32 v181, 0x420, v72
	; wave barrier
	v_and_b32_e32 v68, v69, v68
	s_delay_alu instid0(VALU_DEP_1) | instskip(SKIP_1) | instid1(VALU_DEP_2)
	v_mbcnt_lo_u32_b32 v180, v68, 0
	v_cmp_ne_u32_e64 s17, 0, v68
	v_cmp_eq_u32_e32 vcc_lo, 0, v180
	s_delay_alu instid0(VALU_DEP_2) | instskip(NEXT) | instid1(SALU_CYCLE_1)
	s_and_b32 s18, s17, vcc_lo
	s_and_saveexec_b32 s17, s18
	s_cbranch_execz .LBB844_1030
; %bb.1029:                             ;   in Loop: Header=BB844_990 Depth=2
	s_waitcnt lgkmcnt(0)
	v_bcnt_u32_b32 v68, v68, v179
	ds_store_b32 v181, v68
.LBB844_1030:                           ;   in Loop: Header=BB844_990 Depth=2
	s_or_b32 exec_lo, exec_lo, s17
	v_xor_b32_e32 v41, 0x80000000, v41
	; wave barrier
	s_delay_alu instid0(VALU_DEP_1) | instskip(NEXT) | instid1(VALU_DEP_1)
	v_lshrrev_b64 v[68:69], s40, v[40:41]
	v_and_b32_e32 v68, s42, v68
	s_delay_alu instid0(VALU_DEP_1)
	v_and_b32_e32 v69, 1, v68
	v_lshlrev_b32_e32 v70, 30, v68
	v_lshlrev_b32_e32 v71, 29, v68
	;; [unrolled: 1-line block ×4, first 2 shown]
	v_add_co_u32 v69, s17, v69, -1
	s_delay_alu instid0(VALU_DEP_1)
	v_cndmask_b32_e64 v73, 0, 1, s17
	v_not_b32_e32 v183, v70
	v_cmp_gt_i32_e64 s17, 0, v70
	v_not_b32_e32 v70, v71
	v_lshlrev_b32_e32 v75, 26, v68
	v_cmp_ne_u32_e32 vcc_lo, 0, v73
	v_ashrrev_i32_e32 v183, 31, v183
	v_lshlrev_b32_e32 v182, 25, v68
	v_ashrrev_i32_e32 v70, 31, v70
	v_lshlrev_b32_e32 v73, 24, v68
	v_xor_b32_e32 v69, vcc_lo, v69
	v_cmp_gt_i32_e32 vcc_lo, 0, v71
	v_not_b32_e32 v71, v72
	v_xor_b32_e32 v183, s17, v183
	v_cmp_gt_i32_e64 s17, 0, v72
	v_and_b32_e32 v69, exec_lo, v69
	v_not_b32_e32 v72, v74
	v_ashrrev_i32_e32 v71, 31, v71
	v_xor_b32_e32 v70, vcc_lo, v70
	v_cmp_gt_i32_e32 vcc_lo, 0, v74
	v_and_b32_e32 v69, v69, v183
	v_not_b32_e32 v74, v75
	v_ashrrev_i32_e32 v72, 31, v72
	v_xor_b32_e32 v71, s17, v71
	v_cmp_gt_i32_e64 s17, 0, v75
	v_and_b32_e32 v69, v69, v70
	v_not_b32_e32 v70, v182
	v_ashrrev_i32_e32 v74, 31, v74
	v_xor_b32_e32 v72, vcc_lo, v72
	v_cmp_gt_i32_e32 vcc_lo, 0, v182
	v_and_b32_e32 v69, v69, v71
	v_not_b32_e32 v71, v73
	v_ashrrev_i32_e32 v70, 31, v70
	v_xor_b32_e32 v74, s17, v74
	v_mul_u32_u24_e32 v68, 9, v68
	v_and_b32_e32 v69, v69, v72
	v_cmp_gt_i32_e64 s17, 0, v73
	v_ashrrev_i32_e32 v71, 31, v71
	v_xor_b32_e32 v70, vcc_lo, v70
	v_add_lshl_u32 v72, v68, v158, 2
	v_and_b32_e32 v69, v69, v74
	s_delay_alu instid0(VALU_DEP_4) | instskip(SKIP_3) | instid1(VALU_DEP_2)
	v_xor_b32_e32 v68, s17, v71
	ds_load_b32 v182, v72 offset:1056
	v_and_b32_e32 v69, v69, v70
	v_add_nc_u32_e32 v184, 0x420, v72
	; wave barrier
	v_and_b32_e32 v68, v69, v68
	s_delay_alu instid0(VALU_DEP_1) | instskip(SKIP_1) | instid1(VALU_DEP_2)
	v_mbcnt_lo_u32_b32 v183, v68, 0
	v_cmp_ne_u32_e64 s17, 0, v68
	v_cmp_eq_u32_e32 vcc_lo, 0, v183
	s_delay_alu instid0(VALU_DEP_2) | instskip(NEXT) | instid1(SALU_CYCLE_1)
	s_and_b32 s18, s17, vcc_lo
	s_and_saveexec_b32 s17, s18
	s_cbranch_execz .LBB844_1032
; %bb.1031:                             ;   in Loop: Header=BB844_990 Depth=2
	s_waitcnt lgkmcnt(0)
	v_bcnt_u32_b32 v68, v68, v182
	ds_store_b32 v184, v68
.LBB844_1032:                           ;   in Loop: Header=BB844_990 Depth=2
	s_or_b32 exec_lo, exec_lo, s17
	v_xor_b32_e32 v43, 0x80000000, v43
	; wave barrier
	s_delay_alu instid0(VALU_DEP_1) | instskip(NEXT) | instid1(VALU_DEP_1)
	v_lshrrev_b64 v[68:69], s40, v[42:43]
	v_and_b32_e32 v68, s42, v68
	s_delay_alu instid0(VALU_DEP_1)
	v_and_b32_e32 v69, 1, v68
	v_lshlrev_b32_e32 v70, 30, v68
	v_lshlrev_b32_e32 v71, 29, v68
	;; [unrolled: 1-line block ×4, first 2 shown]
	v_add_co_u32 v69, s17, v69, -1
	s_delay_alu instid0(VALU_DEP_1)
	v_cndmask_b32_e64 v73, 0, 1, s17
	v_not_b32_e32 v186, v70
	v_cmp_gt_i32_e64 s17, 0, v70
	v_not_b32_e32 v70, v71
	v_lshlrev_b32_e32 v75, 26, v68
	v_cmp_ne_u32_e32 vcc_lo, 0, v73
	v_ashrrev_i32_e32 v186, 31, v186
	v_lshlrev_b32_e32 v185, 25, v68
	v_ashrrev_i32_e32 v70, 31, v70
	v_lshlrev_b32_e32 v73, 24, v68
	v_xor_b32_e32 v69, vcc_lo, v69
	v_cmp_gt_i32_e32 vcc_lo, 0, v71
	v_not_b32_e32 v71, v72
	v_xor_b32_e32 v186, s17, v186
	v_cmp_gt_i32_e64 s17, 0, v72
	v_and_b32_e32 v69, exec_lo, v69
	v_not_b32_e32 v72, v74
	v_ashrrev_i32_e32 v71, 31, v71
	v_xor_b32_e32 v70, vcc_lo, v70
	v_cmp_gt_i32_e32 vcc_lo, 0, v74
	v_and_b32_e32 v69, v69, v186
	v_not_b32_e32 v74, v75
	v_ashrrev_i32_e32 v72, 31, v72
	v_xor_b32_e32 v71, s17, v71
	v_cmp_gt_i32_e64 s17, 0, v75
	v_and_b32_e32 v69, v69, v70
	v_not_b32_e32 v70, v185
	v_ashrrev_i32_e32 v74, 31, v74
	v_xor_b32_e32 v72, vcc_lo, v72
	v_cmp_gt_i32_e32 vcc_lo, 0, v185
	v_and_b32_e32 v69, v69, v71
	v_not_b32_e32 v71, v73
	v_ashrrev_i32_e32 v70, 31, v70
	v_xor_b32_e32 v74, s17, v74
	v_mul_u32_u24_e32 v68, 9, v68
	v_and_b32_e32 v69, v69, v72
	v_cmp_gt_i32_e64 s17, 0, v73
	v_ashrrev_i32_e32 v71, 31, v71
	v_xor_b32_e32 v70, vcc_lo, v70
	v_add_lshl_u32 v72, v68, v158, 2
	v_and_b32_e32 v69, v69, v74
	s_delay_alu instid0(VALU_DEP_4) | instskip(SKIP_3) | instid1(VALU_DEP_2)
	v_xor_b32_e32 v68, s17, v71
	ds_load_b32 v185, v72 offset:1056
	v_and_b32_e32 v69, v69, v70
	v_add_nc_u32_e32 v187, 0x420, v72
	; wave barrier
	v_and_b32_e32 v68, v69, v68
	s_delay_alu instid0(VALU_DEP_1) | instskip(SKIP_1) | instid1(VALU_DEP_2)
	v_mbcnt_lo_u32_b32 v186, v68, 0
	v_cmp_ne_u32_e64 s17, 0, v68
	v_cmp_eq_u32_e32 vcc_lo, 0, v186
	s_delay_alu instid0(VALU_DEP_2) | instskip(NEXT) | instid1(SALU_CYCLE_1)
	s_and_b32 s18, s17, vcc_lo
	s_and_saveexec_b32 s17, s18
	s_cbranch_execz .LBB844_1034
; %bb.1033:                             ;   in Loop: Header=BB844_990 Depth=2
	s_waitcnt lgkmcnt(0)
	v_bcnt_u32_b32 v68, v68, v185
	ds_store_b32 v187, v68
.LBB844_1034:                           ;   in Loop: Header=BB844_990 Depth=2
	s_or_b32 exec_lo, exec_lo, s17
	v_xor_b32_e32 v45, 0x80000000, v45
	; wave barrier
	s_delay_alu instid0(VALU_DEP_1) | instskip(NEXT) | instid1(VALU_DEP_1)
	v_lshrrev_b64 v[68:69], s40, v[44:45]
	v_and_b32_e32 v68, s42, v68
	s_delay_alu instid0(VALU_DEP_1)
	v_and_b32_e32 v69, 1, v68
	v_lshlrev_b32_e32 v70, 30, v68
	v_lshlrev_b32_e32 v71, 29, v68
	;; [unrolled: 1-line block ×4, first 2 shown]
	v_add_co_u32 v69, s17, v69, -1
	s_delay_alu instid0(VALU_DEP_1)
	v_cndmask_b32_e64 v73, 0, 1, s17
	v_not_b32_e32 v189, v70
	v_cmp_gt_i32_e64 s17, 0, v70
	v_not_b32_e32 v70, v71
	v_lshlrev_b32_e32 v75, 26, v68
	v_cmp_ne_u32_e32 vcc_lo, 0, v73
	v_ashrrev_i32_e32 v189, 31, v189
	v_lshlrev_b32_e32 v188, 25, v68
	v_ashrrev_i32_e32 v70, 31, v70
	v_lshlrev_b32_e32 v73, 24, v68
	v_xor_b32_e32 v69, vcc_lo, v69
	v_cmp_gt_i32_e32 vcc_lo, 0, v71
	v_not_b32_e32 v71, v72
	v_xor_b32_e32 v189, s17, v189
	v_cmp_gt_i32_e64 s17, 0, v72
	v_and_b32_e32 v69, exec_lo, v69
	v_not_b32_e32 v72, v74
	v_ashrrev_i32_e32 v71, 31, v71
	v_xor_b32_e32 v70, vcc_lo, v70
	v_cmp_gt_i32_e32 vcc_lo, 0, v74
	v_and_b32_e32 v69, v69, v189
	v_not_b32_e32 v74, v75
	v_ashrrev_i32_e32 v72, 31, v72
	v_xor_b32_e32 v71, s17, v71
	v_cmp_gt_i32_e64 s17, 0, v75
	v_and_b32_e32 v69, v69, v70
	v_not_b32_e32 v70, v188
	v_ashrrev_i32_e32 v74, 31, v74
	v_xor_b32_e32 v72, vcc_lo, v72
	v_cmp_gt_i32_e32 vcc_lo, 0, v188
	v_and_b32_e32 v69, v69, v71
	v_not_b32_e32 v71, v73
	v_ashrrev_i32_e32 v70, 31, v70
	v_xor_b32_e32 v74, s17, v74
	v_mul_u32_u24_e32 v68, 9, v68
	v_and_b32_e32 v69, v69, v72
	v_cmp_gt_i32_e64 s17, 0, v73
	v_ashrrev_i32_e32 v71, 31, v71
	v_xor_b32_e32 v70, vcc_lo, v70
	v_add_lshl_u32 v72, v68, v158, 2
	v_and_b32_e32 v69, v69, v74
	s_delay_alu instid0(VALU_DEP_4) | instskip(SKIP_3) | instid1(VALU_DEP_2)
	v_xor_b32_e32 v68, s17, v71
	ds_load_b32 v188, v72 offset:1056
	v_and_b32_e32 v69, v69, v70
	v_add_nc_u32_e32 v190, 0x420, v72
	; wave barrier
	v_and_b32_e32 v68, v69, v68
	s_delay_alu instid0(VALU_DEP_1) | instskip(SKIP_1) | instid1(VALU_DEP_2)
	v_mbcnt_lo_u32_b32 v189, v68, 0
	v_cmp_ne_u32_e64 s17, 0, v68
	v_cmp_eq_u32_e32 vcc_lo, 0, v189
	s_delay_alu instid0(VALU_DEP_2) | instskip(NEXT) | instid1(SALU_CYCLE_1)
	s_and_b32 s18, s17, vcc_lo
	s_and_saveexec_b32 s17, s18
	s_cbranch_execz .LBB844_1036
; %bb.1035:                             ;   in Loop: Header=BB844_990 Depth=2
	s_waitcnt lgkmcnt(0)
	v_bcnt_u32_b32 v68, v68, v188
	ds_store_b32 v190, v68
.LBB844_1036:                           ;   in Loop: Header=BB844_990 Depth=2
	s_or_b32 exec_lo, exec_lo, s17
	v_xor_b32_e32 v47, 0x80000000, v47
	; wave barrier
	s_delay_alu instid0(VALU_DEP_1) | instskip(NEXT) | instid1(VALU_DEP_1)
	v_lshrrev_b64 v[68:69], s40, v[46:47]
	v_and_b32_e32 v68, s42, v68
	s_delay_alu instid0(VALU_DEP_1)
	v_and_b32_e32 v69, 1, v68
	v_lshlrev_b32_e32 v70, 30, v68
	v_lshlrev_b32_e32 v71, 29, v68
	;; [unrolled: 1-line block ×4, first 2 shown]
	v_add_co_u32 v69, s17, v69, -1
	s_delay_alu instid0(VALU_DEP_1)
	v_cndmask_b32_e64 v73, 0, 1, s17
	v_not_b32_e32 v192, v70
	v_cmp_gt_i32_e64 s17, 0, v70
	v_not_b32_e32 v70, v71
	v_lshlrev_b32_e32 v75, 26, v68
	v_cmp_ne_u32_e32 vcc_lo, 0, v73
	v_ashrrev_i32_e32 v192, 31, v192
	v_lshlrev_b32_e32 v191, 25, v68
	v_ashrrev_i32_e32 v70, 31, v70
	v_lshlrev_b32_e32 v73, 24, v68
	v_xor_b32_e32 v69, vcc_lo, v69
	v_cmp_gt_i32_e32 vcc_lo, 0, v71
	v_not_b32_e32 v71, v72
	v_xor_b32_e32 v192, s17, v192
	v_cmp_gt_i32_e64 s17, 0, v72
	v_and_b32_e32 v69, exec_lo, v69
	v_not_b32_e32 v72, v74
	v_ashrrev_i32_e32 v71, 31, v71
	v_xor_b32_e32 v70, vcc_lo, v70
	v_cmp_gt_i32_e32 vcc_lo, 0, v74
	v_and_b32_e32 v69, v69, v192
	v_not_b32_e32 v74, v75
	v_ashrrev_i32_e32 v72, 31, v72
	v_xor_b32_e32 v71, s17, v71
	v_cmp_gt_i32_e64 s17, 0, v75
	v_and_b32_e32 v69, v69, v70
	v_not_b32_e32 v70, v191
	v_ashrrev_i32_e32 v74, 31, v74
	v_xor_b32_e32 v72, vcc_lo, v72
	v_cmp_gt_i32_e32 vcc_lo, 0, v191
	v_and_b32_e32 v69, v69, v71
	v_not_b32_e32 v71, v73
	v_ashrrev_i32_e32 v70, 31, v70
	v_xor_b32_e32 v74, s17, v74
	v_mul_u32_u24_e32 v68, 9, v68
	v_and_b32_e32 v69, v69, v72
	v_cmp_gt_i32_e64 s17, 0, v73
	v_ashrrev_i32_e32 v71, 31, v71
	v_xor_b32_e32 v70, vcc_lo, v70
	v_add_lshl_u32 v72, v68, v158, 2
	v_and_b32_e32 v69, v69, v74
	s_delay_alu instid0(VALU_DEP_4) | instskip(SKIP_3) | instid1(VALU_DEP_2)
	v_xor_b32_e32 v68, s17, v71
	ds_load_b32 v191, v72 offset:1056
	v_and_b32_e32 v69, v69, v70
	v_add_nc_u32_e32 v193, 0x420, v72
	; wave barrier
	v_and_b32_e32 v68, v69, v68
	s_delay_alu instid0(VALU_DEP_1) | instskip(SKIP_1) | instid1(VALU_DEP_2)
	v_mbcnt_lo_u32_b32 v192, v68, 0
	v_cmp_ne_u32_e64 s17, 0, v68
	v_cmp_eq_u32_e32 vcc_lo, 0, v192
	s_delay_alu instid0(VALU_DEP_2) | instskip(NEXT) | instid1(SALU_CYCLE_1)
	s_and_b32 s18, s17, vcc_lo
	s_and_saveexec_b32 s17, s18
	s_cbranch_execz .LBB844_1038
; %bb.1037:                             ;   in Loop: Header=BB844_990 Depth=2
	s_waitcnt lgkmcnt(0)
	v_bcnt_u32_b32 v68, v68, v191
	ds_store_b32 v193, v68
.LBB844_1038:                           ;   in Loop: Header=BB844_990 Depth=2
	s_or_b32 exec_lo, exec_lo, s17
	v_xor_b32_e32 v49, 0x80000000, v49
	; wave barrier
	s_delay_alu instid0(VALU_DEP_1) | instskip(NEXT) | instid1(VALU_DEP_1)
	v_lshrrev_b64 v[68:69], s40, v[48:49]
	v_and_b32_e32 v68, s42, v68
	s_delay_alu instid0(VALU_DEP_1)
	v_and_b32_e32 v69, 1, v68
	v_lshlrev_b32_e32 v70, 30, v68
	v_lshlrev_b32_e32 v71, 29, v68
	;; [unrolled: 1-line block ×4, first 2 shown]
	v_add_co_u32 v69, s17, v69, -1
	s_delay_alu instid0(VALU_DEP_1)
	v_cndmask_b32_e64 v73, 0, 1, s17
	v_not_b32_e32 v195, v70
	v_cmp_gt_i32_e64 s17, 0, v70
	v_not_b32_e32 v70, v71
	v_lshlrev_b32_e32 v75, 26, v68
	v_cmp_ne_u32_e32 vcc_lo, 0, v73
	v_ashrrev_i32_e32 v195, 31, v195
	v_lshlrev_b32_e32 v194, 25, v68
	v_ashrrev_i32_e32 v70, 31, v70
	v_lshlrev_b32_e32 v73, 24, v68
	v_xor_b32_e32 v69, vcc_lo, v69
	v_cmp_gt_i32_e32 vcc_lo, 0, v71
	v_not_b32_e32 v71, v72
	v_xor_b32_e32 v195, s17, v195
	v_cmp_gt_i32_e64 s17, 0, v72
	v_and_b32_e32 v69, exec_lo, v69
	v_not_b32_e32 v72, v74
	v_ashrrev_i32_e32 v71, 31, v71
	v_xor_b32_e32 v70, vcc_lo, v70
	v_cmp_gt_i32_e32 vcc_lo, 0, v74
	v_and_b32_e32 v69, v69, v195
	v_not_b32_e32 v74, v75
	v_ashrrev_i32_e32 v72, 31, v72
	v_xor_b32_e32 v71, s17, v71
	v_cmp_gt_i32_e64 s17, 0, v75
	v_and_b32_e32 v69, v69, v70
	v_not_b32_e32 v70, v194
	v_ashrrev_i32_e32 v74, 31, v74
	v_xor_b32_e32 v72, vcc_lo, v72
	v_cmp_gt_i32_e32 vcc_lo, 0, v194
	v_and_b32_e32 v69, v69, v71
	v_not_b32_e32 v71, v73
	v_ashrrev_i32_e32 v70, 31, v70
	v_xor_b32_e32 v74, s17, v74
	v_mul_u32_u24_e32 v68, 9, v68
	v_and_b32_e32 v69, v69, v72
	v_cmp_gt_i32_e64 s17, 0, v73
	v_ashrrev_i32_e32 v71, 31, v71
	v_xor_b32_e32 v70, vcc_lo, v70
	v_add_lshl_u32 v72, v68, v158, 2
	v_and_b32_e32 v69, v69, v74
	s_delay_alu instid0(VALU_DEP_4) | instskip(SKIP_3) | instid1(VALU_DEP_2)
	v_xor_b32_e32 v68, s17, v71
	ds_load_b32 v194, v72 offset:1056
	v_and_b32_e32 v69, v69, v70
	v_add_nc_u32_e32 v196, 0x420, v72
	; wave barrier
	v_and_b32_e32 v68, v69, v68
	s_delay_alu instid0(VALU_DEP_1) | instskip(SKIP_1) | instid1(VALU_DEP_2)
	v_mbcnt_lo_u32_b32 v195, v68, 0
	v_cmp_ne_u32_e64 s17, 0, v68
	v_cmp_eq_u32_e32 vcc_lo, 0, v195
	s_delay_alu instid0(VALU_DEP_2) | instskip(NEXT) | instid1(SALU_CYCLE_1)
	s_and_b32 s18, s17, vcc_lo
	s_and_saveexec_b32 s17, s18
	s_cbranch_execz .LBB844_1040
; %bb.1039:                             ;   in Loop: Header=BB844_990 Depth=2
	s_waitcnt lgkmcnt(0)
	v_bcnt_u32_b32 v68, v68, v194
	ds_store_b32 v196, v68
.LBB844_1040:                           ;   in Loop: Header=BB844_990 Depth=2
	s_or_b32 exec_lo, exec_lo, s17
	v_xor_b32_e32 v51, 0x80000000, v51
	; wave barrier
	s_delay_alu instid0(VALU_DEP_1) | instskip(NEXT) | instid1(VALU_DEP_1)
	v_lshrrev_b64 v[68:69], s40, v[50:51]
	v_and_b32_e32 v68, s42, v68
	s_delay_alu instid0(VALU_DEP_1)
	v_and_b32_e32 v69, 1, v68
	v_lshlrev_b32_e32 v70, 30, v68
	v_lshlrev_b32_e32 v71, 29, v68
	;; [unrolled: 1-line block ×4, first 2 shown]
	v_add_co_u32 v69, s17, v69, -1
	s_delay_alu instid0(VALU_DEP_1)
	v_cndmask_b32_e64 v73, 0, 1, s17
	v_not_b32_e32 v198, v70
	v_cmp_gt_i32_e64 s17, 0, v70
	v_not_b32_e32 v70, v71
	v_lshlrev_b32_e32 v75, 26, v68
	v_cmp_ne_u32_e32 vcc_lo, 0, v73
	v_ashrrev_i32_e32 v198, 31, v198
	v_lshlrev_b32_e32 v197, 25, v68
	v_ashrrev_i32_e32 v70, 31, v70
	v_lshlrev_b32_e32 v73, 24, v68
	v_xor_b32_e32 v69, vcc_lo, v69
	v_cmp_gt_i32_e32 vcc_lo, 0, v71
	v_not_b32_e32 v71, v72
	v_xor_b32_e32 v198, s17, v198
	v_cmp_gt_i32_e64 s17, 0, v72
	v_and_b32_e32 v69, exec_lo, v69
	v_not_b32_e32 v72, v74
	v_ashrrev_i32_e32 v71, 31, v71
	v_xor_b32_e32 v70, vcc_lo, v70
	v_cmp_gt_i32_e32 vcc_lo, 0, v74
	v_and_b32_e32 v69, v69, v198
	v_not_b32_e32 v74, v75
	v_ashrrev_i32_e32 v72, 31, v72
	v_xor_b32_e32 v71, s17, v71
	v_cmp_gt_i32_e64 s17, 0, v75
	v_and_b32_e32 v69, v69, v70
	v_not_b32_e32 v70, v197
	v_ashrrev_i32_e32 v74, 31, v74
	v_xor_b32_e32 v72, vcc_lo, v72
	v_cmp_gt_i32_e32 vcc_lo, 0, v197
	v_and_b32_e32 v69, v69, v71
	v_not_b32_e32 v71, v73
	v_ashrrev_i32_e32 v70, 31, v70
	v_xor_b32_e32 v74, s17, v74
	v_mul_u32_u24_e32 v68, 9, v68
	v_and_b32_e32 v69, v69, v72
	v_cmp_gt_i32_e64 s17, 0, v73
	v_ashrrev_i32_e32 v71, 31, v71
	v_xor_b32_e32 v70, vcc_lo, v70
	v_add_lshl_u32 v72, v68, v158, 2
	v_and_b32_e32 v69, v69, v74
	s_delay_alu instid0(VALU_DEP_4) | instskip(SKIP_3) | instid1(VALU_DEP_2)
	v_xor_b32_e32 v68, s17, v71
	ds_load_b32 v197, v72 offset:1056
	v_and_b32_e32 v69, v69, v70
	v_add_nc_u32_e32 v199, 0x420, v72
	; wave barrier
	v_and_b32_e32 v68, v69, v68
	s_delay_alu instid0(VALU_DEP_1) | instskip(SKIP_1) | instid1(VALU_DEP_2)
	v_mbcnt_lo_u32_b32 v198, v68, 0
	v_cmp_ne_u32_e64 s17, 0, v68
	v_cmp_eq_u32_e32 vcc_lo, 0, v198
	s_delay_alu instid0(VALU_DEP_2) | instskip(NEXT) | instid1(SALU_CYCLE_1)
	s_and_b32 s18, s17, vcc_lo
	s_and_saveexec_b32 s17, s18
	s_cbranch_execz .LBB844_1042
; %bb.1041:                             ;   in Loop: Header=BB844_990 Depth=2
	s_waitcnt lgkmcnt(0)
	v_bcnt_u32_b32 v68, v68, v197
	ds_store_b32 v199, v68
.LBB844_1042:                           ;   in Loop: Header=BB844_990 Depth=2
	s_or_b32 exec_lo, exec_lo, s17
	v_xor_b32_e32 v53, 0x80000000, v53
	; wave barrier
	s_delay_alu instid0(VALU_DEP_1) | instskip(NEXT) | instid1(VALU_DEP_1)
	v_lshrrev_b64 v[68:69], s40, v[52:53]
	v_and_b32_e32 v68, s42, v68
	s_delay_alu instid0(VALU_DEP_1)
	v_and_b32_e32 v69, 1, v68
	v_lshlrev_b32_e32 v70, 30, v68
	v_lshlrev_b32_e32 v71, 29, v68
	;; [unrolled: 1-line block ×4, first 2 shown]
	v_add_co_u32 v69, s17, v69, -1
	s_delay_alu instid0(VALU_DEP_1)
	v_cndmask_b32_e64 v73, 0, 1, s17
	v_not_b32_e32 v201, v70
	v_cmp_gt_i32_e64 s17, 0, v70
	v_not_b32_e32 v70, v71
	v_lshlrev_b32_e32 v75, 26, v68
	v_cmp_ne_u32_e32 vcc_lo, 0, v73
	v_ashrrev_i32_e32 v201, 31, v201
	v_lshlrev_b32_e32 v200, 25, v68
	v_ashrrev_i32_e32 v70, 31, v70
	v_lshlrev_b32_e32 v73, 24, v68
	v_xor_b32_e32 v69, vcc_lo, v69
	v_cmp_gt_i32_e32 vcc_lo, 0, v71
	v_not_b32_e32 v71, v72
	v_xor_b32_e32 v201, s17, v201
	v_cmp_gt_i32_e64 s17, 0, v72
	v_and_b32_e32 v69, exec_lo, v69
	v_not_b32_e32 v72, v74
	v_ashrrev_i32_e32 v71, 31, v71
	v_xor_b32_e32 v70, vcc_lo, v70
	v_cmp_gt_i32_e32 vcc_lo, 0, v74
	v_and_b32_e32 v69, v69, v201
	v_not_b32_e32 v74, v75
	v_ashrrev_i32_e32 v72, 31, v72
	v_xor_b32_e32 v71, s17, v71
	v_cmp_gt_i32_e64 s17, 0, v75
	v_and_b32_e32 v69, v69, v70
	v_not_b32_e32 v70, v200
	v_ashrrev_i32_e32 v74, 31, v74
	v_xor_b32_e32 v72, vcc_lo, v72
	v_cmp_gt_i32_e32 vcc_lo, 0, v200
	v_and_b32_e32 v69, v69, v71
	v_not_b32_e32 v71, v73
	v_ashrrev_i32_e32 v70, 31, v70
	v_xor_b32_e32 v74, s17, v74
	v_mul_u32_u24_e32 v68, 9, v68
	v_and_b32_e32 v69, v69, v72
	v_cmp_gt_i32_e64 s17, 0, v73
	v_ashrrev_i32_e32 v71, 31, v71
	v_xor_b32_e32 v70, vcc_lo, v70
	v_add_lshl_u32 v72, v68, v158, 2
	v_and_b32_e32 v69, v69, v74
	s_delay_alu instid0(VALU_DEP_4) | instskip(SKIP_3) | instid1(VALU_DEP_2)
	v_xor_b32_e32 v68, s17, v71
	ds_load_b32 v200, v72 offset:1056
	v_and_b32_e32 v69, v69, v70
	v_add_nc_u32_e32 v202, 0x420, v72
	; wave barrier
	v_and_b32_e32 v68, v69, v68
	s_delay_alu instid0(VALU_DEP_1) | instskip(SKIP_1) | instid1(VALU_DEP_2)
	v_mbcnt_lo_u32_b32 v201, v68, 0
	v_cmp_ne_u32_e64 s17, 0, v68
	v_cmp_eq_u32_e32 vcc_lo, 0, v201
	s_delay_alu instid0(VALU_DEP_2) | instskip(NEXT) | instid1(SALU_CYCLE_1)
	s_and_b32 s18, s17, vcc_lo
	s_and_saveexec_b32 s17, s18
	s_cbranch_execz .LBB844_1044
; %bb.1043:                             ;   in Loop: Header=BB844_990 Depth=2
	s_waitcnt lgkmcnt(0)
	v_bcnt_u32_b32 v68, v68, v200
	ds_store_b32 v202, v68
.LBB844_1044:                           ;   in Loop: Header=BB844_990 Depth=2
	s_or_b32 exec_lo, exec_lo, s17
	v_xor_b32_e32 v55, 0x80000000, v55
	; wave barrier
	s_delay_alu instid0(VALU_DEP_1) | instskip(NEXT) | instid1(VALU_DEP_1)
	v_lshrrev_b64 v[68:69], s40, v[54:55]
	v_and_b32_e32 v68, s42, v68
	s_delay_alu instid0(VALU_DEP_1)
	v_and_b32_e32 v69, 1, v68
	v_lshlrev_b32_e32 v70, 30, v68
	v_lshlrev_b32_e32 v71, 29, v68
	v_lshlrev_b32_e32 v72, 28, v68
	v_lshlrev_b32_e32 v74, 27, v68
	v_add_co_u32 v69, s17, v69, -1
	s_delay_alu instid0(VALU_DEP_1)
	v_cndmask_b32_e64 v73, 0, 1, s17
	v_not_b32_e32 v204, v70
	v_cmp_gt_i32_e64 s17, 0, v70
	v_not_b32_e32 v70, v71
	v_lshlrev_b32_e32 v75, 26, v68
	v_cmp_ne_u32_e32 vcc_lo, 0, v73
	v_ashrrev_i32_e32 v204, 31, v204
	v_lshlrev_b32_e32 v203, 25, v68
	v_ashrrev_i32_e32 v70, 31, v70
	v_lshlrev_b32_e32 v73, 24, v68
	v_xor_b32_e32 v69, vcc_lo, v69
	v_cmp_gt_i32_e32 vcc_lo, 0, v71
	v_not_b32_e32 v71, v72
	v_xor_b32_e32 v204, s17, v204
	v_cmp_gt_i32_e64 s17, 0, v72
	v_and_b32_e32 v69, exec_lo, v69
	v_not_b32_e32 v72, v74
	v_ashrrev_i32_e32 v71, 31, v71
	v_xor_b32_e32 v70, vcc_lo, v70
	v_cmp_gt_i32_e32 vcc_lo, 0, v74
	v_and_b32_e32 v69, v69, v204
	v_not_b32_e32 v74, v75
	v_ashrrev_i32_e32 v72, 31, v72
	v_xor_b32_e32 v71, s17, v71
	v_cmp_gt_i32_e64 s17, 0, v75
	v_and_b32_e32 v69, v69, v70
	v_not_b32_e32 v70, v203
	v_ashrrev_i32_e32 v74, 31, v74
	v_xor_b32_e32 v72, vcc_lo, v72
	v_cmp_gt_i32_e32 vcc_lo, 0, v203
	v_and_b32_e32 v69, v69, v71
	v_not_b32_e32 v71, v73
	v_ashrrev_i32_e32 v70, 31, v70
	v_xor_b32_e32 v74, s17, v74
	v_mul_u32_u24_e32 v68, 9, v68
	v_and_b32_e32 v69, v69, v72
	v_cmp_gt_i32_e64 s17, 0, v73
	v_ashrrev_i32_e32 v71, 31, v71
	v_xor_b32_e32 v70, vcc_lo, v70
	v_add_lshl_u32 v72, v68, v158, 2
	v_and_b32_e32 v69, v69, v74
	s_delay_alu instid0(VALU_DEP_4) | instskip(SKIP_3) | instid1(VALU_DEP_2)
	v_xor_b32_e32 v68, s17, v71
	ds_load_b32 v203, v72 offset:1056
	v_and_b32_e32 v69, v69, v70
	v_add_nc_u32_e32 v205, 0x420, v72
	; wave barrier
	v_and_b32_e32 v68, v69, v68
	s_delay_alu instid0(VALU_DEP_1) | instskip(SKIP_1) | instid1(VALU_DEP_2)
	v_mbcnt_lo_u32_b32 v204, v68, 0
	v_cmp_ne_u32_e64 s17, 0, v68
	v_cmp_eq_u32_e32 vcc_lo, 0, v204
	s_delay_alu instid0(VALU_DEP_2) | instskip(NEXT) | instid1(SALU_CYCLE_1)
	s_and_b32 s18, s17, vcc_lo
	s_and_saveexec_b32 s17, s18
	s_cbranch_execz .LBB844_1046
; %bb.1045:                             ;   in Loop: Header=BB844_990 Depth=2
	s_waitcnt lgkmcnt(0)
	v_bcnt_u32_b32 v68, v68, v203
	ds_store_b32 v205, v68
.LBB844_1046:                           ;   in Loop: Header=BB844_990 Depth=2
	s_or_b32 exec_lo, exec_lo, s17
	v_xor_b32_e32 v57, 0x80000000, v57
	; wave barrier
	s_delay_alu instid0(VALU_DEP_1) | instskip(NEXT) | instid1(VALU_DEP_1)
	v_lshrrev_b64 v[68:69], s40, v[56:57]
	v_and_b32_e32 v68, s42, v68
	s_delay_alu instid0(VALU_DEP_1)
	v_and_b32_e32 v69, 1, v68
	v_lshlrev_b32_e32 v70, 30, v68
	v_lshlrev_b32_e32 v71, 29, v68
	;; [unrolled: 1-line block ×4, first 2 shown]
	v_add_co_u32 v69, s17, v69, -1
	s_delay_alu instid0(VALU_DEP_1)
	v_cndmask_b32_e64 v73, 0, 1, s17
	v_not_b32_e32 v207, v70
	v_cmp_gt_i32_e64 s17, 0, v70
	v_not_b32_e32 v70, v71
	v_lshlrev_b32_e32 v75, 26, v68
	v_cmp_ne_u32_e32 vcc_lo, 0, v73
	v_ashrrev_i32_e32 v207, 31, v207
	v_lshlrev_b32_e32 v206, 25, v68
	v_ashrrev_i32_e32 v70, 31, v70
	v_lshlrev_b32_e32 v73, 24, v68
	v_xor_b32_e32 v69, vcc_lo, v69
	v_cmp_gt_i32_e32 vcc_lo, 0, v71
	v_not_b32_e32 v71, v72
	v_xor_b32_e32 v207, s17, v207
	v_cmp_gt_i32_e64 s17, 0, v72
	v_and_b32_e32 v69, exec_lo, v69
	v_not_b32_e32 v72, v74
	v_ashrrev_i32_e32 v71, 31, v71
	v_xor_b32_e32 v70, vcc_lo, v70
	v_cmp_gt_i32_e32 vcc_lo, 0, v74
	v_and_b32_e32 v69, v69, v207
	v_not_b32_e32 v74, v75
	v_ashrrev_i32_e32 v72, 31, v72
	v_xor_b32_e32 v71, s17, v71
	v_cmp_gt_i32_e64 s17, 0, v75
	v_and_b32_e32 v69, v69, v70
	v_not_b32_e32 v70, v206
	v_ashrrev_i32_e32 v74, 31, v74
	v_xor_b32_e32 v72, vcc_lo, v72
	v_cmp_gt_i32_e32 vcc_lo, 0, v206
	v_and_b32_e32 v69, v69, v71
	v_not_b32_e32 v71, v73
	v_ashrrev_i32_e32 v70, 31, v70
	v_xor_b32_e32 v74, s17, v74
	v_mul_u32_u24_e32 v68, 9, v68
	v_and_b32_e32 v69, v69, v72
	v_cmp_gt_i32_e64 s17, 0, v73
	v_ashrrev_i32_e32 v71, 31, v71
	v_xor_b32_e32 v70, vcc_lo, v70
	v_add_lshl_u32 v72, v68, v158, 2
	v_and_b32_e32 v69, v69, v74
	s_delay_alu instid0(VALU_DEP_4) | instskip(SKIP_3) | instid1(VALU_DEP_2)
	v_xor_b32_e32 v68, s17, v71
	ds_load_b32 v206, v72 offset:1056
	v_and_b32_e32 v69, v69, v70
	v_add_nc_u32_e32 v208, 0x420, v72
	; wave barrier
	v_and_b32_e32 v68, v69, v68
	s_delay_alu instid0(VALU_DEP_1) | instskip(SKIP_1) | instid1(VALU_DEP_2)
	v_mbcnt_lo_u32_b32 v207, v68, 0
	v_cmp_ne_u32_e64 s17, 0, v68
	v_cmp_eq_u32_e32 vcc_lo, 0, v207
	s_delay_alu instid0(VALU_DEP_2) | instskip(NEXT) | instid1(SALU_CYCLE_1)
	s_and_b32 s18, s17, vcc_lo
	s_and_saveexec_b32 s17, s18
	s_cbranch_execz .LBB844_1048
; %bb.1047:                             ;   in Loop: Header=BB844_990 Depth=2
	s_waitcnt lgkmcnt(0)
	v_bcnt_u32_b32 v68, v68, v206
	ds_store_b32 v208, v68
.LBB844_1048:                           ;   in Loop: Header=BB844_990 Depth=2
	s_or_b32 exec_lo, exec_lo, s17
	v_xor_b32_e32 v59, 0x80000000, v59
	; wave barrier
	s_delay_alu instid0(VALU_DEP_1) | instskip(NEXT) | instid1(VALU_DEP_1)
	v_lshrrev_b64 v[68:69], s40, v[58:59]
	v_and_b32_e32 v68, s42, v68
	s_delay_alu instid0(VALU_DEP_1)
	v_and_b32_e32 v69, 1, v68
	v_lshlrev_b32_e32 v70, 30, v68
	v_lshlrev_b32_e32 v71, 29, v68
	v_lshlrev_b32_e32 v72, 28, v68
	v_lshlrev_b32_e32 v74, 27, v68
	v_add_co_u32 v69, s17, v69, -1
	s_delay_alu instid0(VALU_DEP_1)
	v_cndmask_b32_e64 v73, 0, 1, s17
	v_not_b32_e32 v210, v70
	v_cmp_gt_i32_e64 s17, 0, v70
	v_not_b32_e32 v70, v71
	v_lshlrev_b32_e32 v75, 26, v68
	v_cmp_ne_u32_e32 vcc_lo, 0, v73
	v_ashrrev_i32_e32 v210, 31, v210
	v_lshlrev_b32_e32 v209, 25, v68
	v_ashrrev_i32_e32 v70, 31, v70
	v_lshlrev_b32_e32 v73, 24, v68
	v_xor_b32_e32 v69, vcc_lo, v69
	v_cmp_gt_i32_e32 vcc_lo, 0, v71
	v_not_b32_e32 v71, v72
	v_xor_b32_e32 v210, s17, v210
	v_cmp_gt_i32_e64 s17, 0, v72
	v_and_b32_e32 v69, exec_lo, v69
	v_not_b32_e32 v72, v74
	v_ashrrev_i32_e32 v71, 31, v71
	v_xor_b32_e32 v70, vcc_lo, v70
	v_cmp_gt_i32_e32 vcc_lo, 0, v74
	v_and_b32_e32 v69, v69, v210
	v_not_b32_e32 v74, v75
	v_ashrrev_i32_e32 v72, 31, v72
	v_xor_b32_e32 v71, s17, v71
	v_cmp_gt_i32_e64 s17, 0, v75
	v_and_b32_e32 v69, v69, v70
	v_not_b32_e32 v70, v209
	v_ashrrev_i32_e32 v74, 31, v74
	v_xor_b32_e32 v72, vcc_lo, v72
	v_cmp_gt_i32_e32 vcc_lo, 0, v209
	v_and_b32_e32 v69, v69, v71
	v_not_b32_e32 v71, v73
	v_ashrrev_i32_e32 v70, 31, v70
	v_xor_b32_e32 v74, s17, v74
	v_mul_u32_u24_e32 v68, 9, v68
	v_and_b32_e32 v69, v69, v72
	v_cmp_gt_i32_e64 s17, 0, v73
	v_ashrrev_i32_e32 v71, 31, v71
	v_xor_b32_e32 v70, vcc_lo, v70
	v_add_lshl_u32 v72, v68, v158, 2
	v_and_b32_e32 v69, v69, v74
	s_delay_alu instid0(VALU_DEP_4) | instskip(SKIP_3) | instid1(VALU_DEP_2)
	v_xor_b32_e32 v68, s17, v71
	ds_load_b32 v209, v72 offset:1056
	v_and_b32_e32 v69, v69, v70
	v_add_nc_u32_e32 v211, 0x420, v72
	; wave barrier
	v_and_b32_e32 v68, v69, v68
	s_delay_alu instid0(VALU_DEP_1) | instskip(SKIP_1) | instid1(VALU_DEP_2)
	v_mbcnt_lo_u32_b32 v210, v68, 0
	v_cmp_ne_u32_e64 s17, 0, v68
	v_cmp_eq_u32_e32 vcc_lo, 0, v210
	s_delay_alu instid0(VALU_DEP_2) | instskip(NEXT) | instid1(SALU_CYCLE_1)
	s_and_b32 s18, s17, vcc_lo
	s_and_saveexec_b32 s17, s18
	s_cbranch_execz .LBB844_1050
; %bb.1049:                             ;   in Loop: Header=BB844_990 Depth=2
	s_waitcnt lgkmcnt(0)
	v_bcnt_u32_b32 v68, v68, v209
	ds_store_b32 v211, v68
.LBB844_1050:                           ;   in Loop: Header=BB844_990 Depth=2
	s_or_b32 exec_lo, exec_lo, s17
	v_xor_b32_e32 v61, 0x80000000, v61
	; wave barrier
	s_delay_alu instid0(VALU_DEP_1) | instskip(NEXT) | instid1(VALU_DEP_1)
	v_lshrrev_b64 v[68:69], s40, v[60:61]
	v_and_b32_e32 v68, s42, v68
	s_delay_alu instid0(VALU_DEP_1)
	v_and_b32_e32 v69, 1, v68
	v_lshlrev_b32_e32 v70, 30, v68
	v_lshlrev_b32_e32 v71, 29, v68
	;; [unrolled: 1-line block ×4, first 2 shown]
	v_add_co_u32 v69, s17, v69, -1
	s_delay_alu instid0(VALU_DEP_1)
	v_cndmask_b32_e64 v73, 0, 1, s17
	v_not_b32_e32 v213, v70
	v_cmp_gt_i32_e64 s17, 0, v70
	v_not_b32_e32 v70, v71
	v_lshlrev_b32_e32 v75, 26, v68
	v_cmp_ne_u32_e32 vcc_lo, 0, v73
	v_ashrrev_i32_e32 v213, 31, v213
	v_lshlrev_b32_e32 v212, 25, v68
	v_ashrrev_i32_e32 v70, 31, v70
	v_lshlrev_b32_e32 v73, 24, v68
	v_xor_b32_e32 v69, vcc_lo, v69
	v_cmp_gt_i32_e32 vcc_lo, 0, v71
	v_not_b32_e32 v71, v72
	v_xor_b32_e32 v213, s17, v213
	v_cmp_gt_i32_e64 s17, 0, v72
	v_and_b32_e32 v69, exec_lo, v69
	v_not_b32_e32 v72, v74
	v_ashrrev_i32_e32 v71, 31, v71
	v_xor_b32_e32 v70, vcc_lo, v70
	v_cmp_gt_i32_e32 vcc_lo, 0, v74
	v_and_b32_e32 v69, v69, v213
	v_not_b32_e32 v74, v75
	v_ashrrev_i32_e32 v72, 31, v72
	v_xor_b32_e32 v71, s17, v71
	v_cmp_gt_i32_e64 s17, 0, v75
	v_and_b32_e32 v69, v69, v70
	v_not_b32_e32 v70, v212
	v_ashrrev_i32_e32 v74, 31, v74
	v_xor_b32_e32 v72, vcc_lo, v72
	v_cmp_gt_i32_e32 vcc_lo, 0, v212
	v_and_b32_e32 v69, v69, v71
	v_not_b32_e32 v71, v73
	v_ashrrev_i32_e32 v70, 31, v70
	v_xor_b32_e32 v74, s17, v74
	v_mul_u32_u24_e32 v68, 9, v68
	v_and_b32_e32 v69, v69, v72
	v_cmp_gt_i32_e64 s17, 0, v73
	v_ashrrev_i32_e32 v71, 31, v71
	v_xor_b32_e32 v70, vcc_lo, v70
	v_add_lshl_u32 v72, v68, v158, 2
	v_and_b32_e32 v69, v69, v74
	s_delay_alu instid0(VALU_DEP_4) | instskip(SKIP_3) | instid1(VALU_DEP_2)
	v_xor_b32_e32 v68, s17, v71
	ds_load_b32 v212, v72 offset:1056
	v_and_b32_e32 v69, v69, v70
	v_add_nc_u32_e32 v214, 0x420, v72
	; wave barrier
	v_and_b32_e32 v68, v69, v68
	s_delay_alu instid0(VALU_DEP_1) | instskip(SKIP_1) | instid1(VALU_DEP_2)
	v_mbcnt_lo_u32_b32 v213, v68, 0
	v_cmp_ne_u32_e64 s17, 0, v68
	v_cmp_eq_u32_e32 vcc_lo, 0, v213
	s_delay_alu instid0(VALU_DEP_2) | instskip(NEXT) | instid1(SALU_CYCLE_1)
	s_and_b32 s18, s17, vcc_lo
	s_and_saveexec_b32 s17, s18
	s_cbranch_execz .LBB844_1052
; %bb.1051:                             ;   in Loop: Header=BB844_990 Depth=2
	s_waitcnt lgkmcnt(0)
	v_bcnt_u32_b32 v68, v68, v212
	ds_store_b32 v214, v68
.LBB844_1052:                           ;   in Loop: Header=BB844_990 Depth=2
	s_or_b32 exec_lo, exec_lo, s17
	v_xor_b32_e32 v63, 0x80000000, v63
	; wave barrier
	s_delay_alu instid0(VALU_DEP_1) | instskip(NEXT) | instid1(VALU_DEP_1)
	v_lshrrev_b64 v[68:69], s40, v[62:63]
	v_and_b32_e32 v68, s42, v68
	s_delay_alu instid0(VALU_DEP_1)
	v_and_b32_e32 v69, 1, v68
	v_lshlrev_b32_e32 v70, 30, v68
	v_lshlrev_b32_e32 v71, 29, v68
	;; [unrolled: 1-line block ×4, first 2 shown]
	v_add_co_u32 v69, s17, v69, -1
	s_delay_alu instid0(VALU_DEP_1)
	v_cndmask_b32_e64 v73, 0, 1, s17
	v_not_b32_e32 v216, v70
	v_cmp_gt_i32_e64 s17, 0, v70
	v_not_b32_e32 v70, v71
	v_lshlrev_b32_e32 v75, 26, v68
	v_cmp_ne_u32_e32 vcc_lo, 0, v73
	v_ashrrev_i32_e32 v216, 31, v216
	v_lshlrev_b32_e32 v215, 25, v68
	v_ashrrev_i32_e32 v70, 31, v70
	v_lshlrev_b32_e32 v73, 24, v68
	v_xor_b32_e32 v69, vcc_lo, v69
	v_cmp_gt_i32_e32 vcc_lo, 0, v71
	v_not_b32_e32 v71, v72
	v_xor_b32_e32 v216, s17, v216
	v_cmp_gt_i32_e64 s17, 0, v72
	v_and_b32_e32 v69, exec_lo, v69
	v_not_b32_e32 v72, v74
	v_ashrrev_i32_e32 v71, 31, v71
	v_xor_b32_e32 v70, vcc_lo, v70
	v_cmp_gt_i32_e32 vcc_lo, 0, v74
	v_and_b32_e32 v69, v69, v216
	v_not_b32_e32 v74, v75
	v_ashrrev_i32_e32 v72, 31, v72
	v_xor_b32_e32 v71, s17, v71
	v_cmp_gt_i32_e64 s17, 0, v75
	v_and_b32_e32 v69, v69, v70
	v_not_b32_e32 v70, v215
	v_ashrrev_i32_e32 v74, 31, v74
	v_xor_b32_e32 v72, vcc_lo, v72
	v_cmp_gt_i32_e32 vcc_lo, 0, v215
	v_and_b32_e32 v69, v69, v71
	v_not_b32_e32 v71, v73
	v_ashrrev_i32_e32 v70, 31, v70
	v_xor_b32_e32 v74, s17, v74
	v_mul_u32_u24_e32 v68, 9, v68
	v_and_b32_e32 v69, v69, v72
	v_cmp_gt_i32_e64 s17, 0, v73
	v_ashrrev_i32_e32 v71, 31, v71
	v_xor_b32_e32 v70, vcc_lo, v70
	v_add_lshl_u32 v72, v68, v158, 2
	v_and_b32_e32 v69, v69, v74
	s_delay_alu instid0(VALU_DEP_4) | instskip(SKIP_3) | instid1(VALU_DEP_2)
	v_xor_b32_e32 v68, s17, v71
	ds_load_b32 v215, v72 offset:1056
	v_and_b32_e32 v69, v69, v70
	v_add_nc_u32_e32 v217, 0x420, v72
	; wave barrier
	v_and_b32_e32 v68, v69, v68
	s_delay_alu instid0(VALU_DEP_1) | instskip(SKIP_1) | instid1(VALU_DEP_2)
	v_mbcnt_lo_u32_b32 v216, v68, 0
	v_cmp_ne_u32_e64 s17, 0, v68
	v_cmp_eq_u32_e32 vcc_lo, 0, v216
	s_delay_alu instid0(VALU_DEP_2) | instskip(NEXT) | instid1(SALU_CYCLE_1)
	s_and_b32 s18, s17, vcc_lo
	s_and_saveexec_b32 s17, s18
	s_cbranch_execz .LBB844_1054
; %bb.1053:                             ;   in Loop: Header=BB844_990 Depth=2
	s_waitcnt lgkmcnt(0)
	v_bcnt_u32_b32 v68, v68, v215
	ds_store_b32 v217, v68
.LBB844_1054:                           ;   in Loop: Header=BB844_990 Depth=2
	s_or_b32 exec_lo, exec_lo, s17
	v_xor_b32_e32 v65, 0x80000000, v65
	; wave barrier
	s_delay_alu instid0(VALU_DEP_1) | instskip(NEXT) | instid1(VALU_DEP_1)
	v_lshrrev_b64 v[68:69], s40, v[64:65]
	v_and_b32_e32 v68, s42, v68
	s_delay_alu instid0(VALU_DEP_1)
	v_and_b32_e32 v69, 1, v68
	v_lshlrev_b32_e32 v70, 30, v68
	v_lshlrev_b32_e32 v71, 29, v68
	v_lshlrev_b32_e32 v72, 28, v68
	v_lshlrev_b32_e32 v74, 27, v68
	v_add_co_u32 v69, s17, v69, -1
	s_delay_alu instid0(VALU_DEP_1)
	v_cndmask_b32_e64 v73, 0, 1, s17
	v_not_b32_e32 v219, v70
	v_cmp_gt_i32_e64 s17, 0, v70
	v_not_b32_e32 v70, v71
	v_lshlrev_b32_e32 v75, 26, v68
	v_cmp_ne_u32_e32 vcc_lo, 0, v73
	v_ashrrev_i32_e32 v219, 31, v219
	v_lshlrev_b32_e32 v218, 25, v68
	v_ashrrev_i32_e32 v70, 31, v70
	v_lshlrev_b32_e32 v73, 24, v68
	v_xor_b32_e32 v69, vcc_lo, v69
	v_cmp_gt_i32_e32 vcc_lo, 0, v71
	v_not_b32_e32 v71, v72
	v_xor_b32_e32 v219, s17, v219
	v_cmp_gt_i32_e64 s17, 0, v72
	v_and_b32_e32 v69, exec_lo, v69
	v_not_b32_e32 v72, v74
	v_ashrrev_i32_e32 v71, 31, v71
	v_xor_b32_e32 v70, vcc_lo, v70
	v_cmp_gt_i32_e32 vcc_lo, 0, v74
	v_and_b32_e32 v69, v69, v219
	v_not_b32_e32 v74, v75
	v_ashrrev_i32_e32 v72, 31, v72
	v_xor_b32_e32 v71, s17, v71
	v_cmp_gt_i32_e64 s17, 0, v75
	v_and_b32_e32 v69, v69, v70
	v_not_b32_e32 v70, v218
	v_ashrrev_i32_e32 v74, 31, v74
	v_xor_b32_e32 v72, vcc_lo, v72
	v_cmp_gt_i32_e32 vcc_lo, 0, v218
	v_and_b32_e32 v69, v69, v71
	v_not_b32_e32 v71, v73
	v_ashrrev_i32_e32 v70, 31, v70
	v_xor_b32_e32 v74, s17, v74
	v_mul_u32_u24_e32 v68, 9, v68
	v_and_b32_e32 v69, v69, v72
	v_cmp_gt_i32_e64 s17, 0, v73
	v_ashrrev_i32_e32 v71, 31, v71
	v_xor_b32_e32 v70, vcc_lo, v70
	v_add_lshl_u32 v72, v68, v158, 2
	v_and_b32_e32 v69, v69, v74
	s_delay_alu instid0(VALU_DEP_4) | instskip(SKIP_3) | instid1(VALU_DEP_2)
	v_xor_b32_e32 v68, s17, v71
	ds_load_b32 v218, v72 offset:1056
	v_and_b32_e32 v69, v69, v70
	v_add_nc_u32_e32 v220, 0x420, v72
	; wave barrier
	v_and_b32_e32 v68, v69, v68
	s_delay_alu instid0(VALU_DEP_1) | instskip(SKIP_1) | instid1(VALU_DEP_2)
	v_mbcnt_lo_u32_b32 v219, v68, 0
	v_cmp_ne_u32_e64 s17, 0, v68
	v_cmp_eq_u32_e32 vcc_lo, 0, v219
	s_delay_alu instid0(VALU_DEP_2) | instskip(NEXT) | instid1(SALU_CYCLE_1)
	s_and_b32 s18, s17, vcc_lo
	s_and_saveexec_b32 s17, s18
	s_cbranch_execz .LBB844_1056
; %bb.1055:                             ;   in Loop: Header=BB844_990 Depth=2
	s_waitcnt lgkmcnt(0)
	v_bcnt_u32_b32 v68, v68, v218
	ds_store_b32 v220, v68
.LBB844_1056:                           ;   in Loop: Header=BB844_990 Depth=2
	s_or_b32 exec_lo, exec_lo, s17
	v_xor_b32_e32 v67, 0x80000000, v67
	; wave barrier
	s_delay_alu instid0(VALU_DEP_1) | instskip(NEXT) | instid1(VALU_DEP_1)
	v_lshrrev_b64 v[68:69], s40, v[66:67]
	v_and_b32_e32 v68, s42, v68
	s_delay_alu instid0(VALU_DEP_1)
	v_and_b32_e32 v69, 1, v68
	v_lshlrev_b32_e32 v70, 30, v68
	v_lshlrev_b32_e32 v71, 29, v68
	;; [unrolled: 1-line block ×4, first 2 shown]
	v_add_co_u32 v69, s17, v69, -1
	s_delay_alu instid0(VALU_DEP_1)
	v_cndmask_b32_e64 v73, 0, 1, s17
	v_not_b32_e32 v222, v70
	v_cmp_gt_i32_e64 s17, 0, v70
	v_not_b32_e32 v70, v71
	v_lshlrev_b32_e32 v75, 26, v68
	v_cmp_ne_u32_e32 vcc_lo, 0, v73
	v_ashrrev_i32_e32 v222, 31, v222
	v_lshlrev_b32_e32 v221, 25, v68
	v_ashrrev_i32_e32 v70, 31, v70
	v_lshlrev_b32_e32 v73, 24, v68
	v_xor_b32_e32 v69, vcc_lo, v69
	v_cmp_gt_i32_e32 vcc_lo, 0, v71
	v_not_b32_e32 v71, v72
	v_xor_b32_e32 v222, s17, v222
	v_cmp_gt_i32_e64 s17, 0, v72
	v_and_b32_e32 v69, exec_lo, v69
	v_not_b32_e32 v72, v74
	v_ashrrev_i32_e32 v71, 31, v71
	v_xor_b32_e32 v70, vcc_lo, v70
	v_cmp_gt_i32_e32 vcc_lo, 0, v74
	v_and_b32_e32 v69, v69, v222
	v_not_b32_e32 v74, v75
	v_ashrrev_i32_e32 v72, 31, v72
	v_xor_b32_e32 v71, s17, v71
	v_cmp_gt_i32_e64 s17, 0, v75
	v_and_b32_e32 v69, v69, v70
	v_not_b32_e32 v70, v221
	v_ashrrev_i32_e32 v74, 31, v74
	v_xor_b32_e32 v72, vcc_lo, v72
	v_cmp_gt_i32_e32 vcc_lo, 0, v221
	v_and_b32_e32 v69, v69, v71
	v_not_b32_e32 v71, v73
	v_ashrrev_i32_e32 v70, 31, v70
	v_xor_b32_e32 v74, s17, v74
	v_mul_u32_u24_e32 v68, 9, v68
	v_and_b32_e32 v69, v69, v72
	v_cmp_gt_i32_e64 s17, 0, v73
	v_ashrrev_i32_e32 v71, 31, v71
	v_xor_b32_e32 v70, vcc_lo, v70
	v_add_lshl_u32 v72, v68, v158, 2
	v_and_b32_e32 v69, v69, v74
	s_delay_alu instid0(VALU_DEP_4) | instskip(SKIP_3) | instid1(VALU_DEP_2)
	v_xor_b32_e32 v68, s17, v71
	ds_load_b32 v221, v72 offset:1056
	v_and_b32_e32 v69, v69, v70
	v_add_nc_u32_e32 v223, 0x420, v72
	; wave barrier
	v_and_b32_e32 v68, v69, v68
	s_delay_alu instid0(VALU_DEP_1) | instskip(SKIP_1) | instid1(VALU_DEP_2)
	v_mbcnt_lo_u32_b32 v222, v68, 0
	v_cmp_ne_u32_e64 s17, 0, v68
	v_cmp_eq_u32_e32 vcc_lo, 0, v222
	s_delay_alu instid0(VALU_DEP_2) | instskip(NEXT) | instid1(SALU_CYCLE_1)
	s_and_b32 s18, s17, vcc_lo
	s_and_saveexec_b32 s17, s18
	s_cbranch_execz .LBB844_1058
; %bb.1057:                             ;   in Loop: Header=BB844_990 Depth=2
	s_waitcnt lgkmcnt(0)
	v_bcnt_u32_b32 v68, v68, v221
	ds_store_b32 v223, v68
.LBB844_1058:                           ;   in Loop: Header=BB844_990 Depth=2
	s_or_b32 exec_lo, exec_lo, s17
	; wave barrier
	s_waitcnt lgkmcnt(0)
	s_barrier
	buffer_gl0_inv
	ds_load_b32 v224, v102 offset:1056
	ds_load_2addr_b32 v[74:75], v103 offset0:1 offset1:2
	ds_load_2addr_b32 v[72:73], v103 offset0:3 offset1:4
	;; [unrolled: 1-line block ×4, first 2 shown]
	s_waitcnt lgkmcnt(3)
	v_add3_u32 v225, v74, v224, v75
	s_waitcnt lgkmcnt(2)
	s_delay_alu instid0(VALU_DEP_1) | instskip(SKIP_1) | instid1(VALU_DEP_1)
	v_add3_u32 v225, v225, v72, v73
	s_waitcnt lgkmcnt(1)
	v_add3_u32 v225, v225, v68, v69
	s_waitcnt lgkmcnt(0)
	s_delay_alu instid0(VALU_DEP_1) | instskip(NEXT) | instid1(VALU_DEP_1)
	v_add3_u32 v71, v225, v70, v71
	v_mov_b32_dpp v225, v71 row_shr:1 row_mask:0xf bank_mask:0xf
	s_delay_alu instid0(VALU_DEP_1) | instskip(NEXT) | instid1(VALU_DEP_1)
	v_cndmask_b32_e64 v225, v225, 0, s1
	v_add_nc_u32_e32 v71, v225, v71
	s_delay_alu instid0(VALU_DEP_1) | instskip(NEXT) | instid1(VALU_DEP_1)
	v_mov_b32_dpp v225, v71 row_shr:2 row_mask:0xf bank_mask:0xf
	v_cndmask_b32_e64 v225, 0, v225, s7
	s_delay_alu instid0(VALU_DEP_1) | instskip(NEXT) | instid1(VALU_DEP_1)
	v_add_nc_u32_e32 v71, v71, v225
	v_mov_b32_dpp v225, v71 row_shr:4 row_mask:0xf bank_mask:0xf
	s_delay_alu instid0(VALU_DEP_1) | instskip(NEXT) | instid1(VALU_DEP_1)
	v_cndmask_b32_e64 v225, 0, v225, s8
	v_add_nc_u32_e32 v71, v71, v225
	s_delay_alu instid0(VALU_DEP_1) | instskip(NEXT) | instid1(VALU_DEP_1)
	v_mov_b32_dpp v225, v71 row_shr:8 row_mask:0xf bank_mask:0xf
	v_cndmask_b32_e64 v225, 0, v225, s9
	s_delay_alu instid0(VALU_DEP_1) | instskip(SKIP_3) | instid1(VALU_DEP_1)
	v_add_nc_u32_e32 v71, v71, v225
	ds_swizzle_b32 v225, v71 offset:swizzle(BROADCAST,32,15)
	s_waitcnt lgkmcnt(0)
	v_cndmask_b32_e64 v225, v225, 0, s10
	v_add_nc_u32_e32 v71, v71, v225
	s_and_saveexec_b32 s17, s3
	s_cbranch_execz .LBB844_1060
; %bb.1059:                             ;   in Loop: Header=BB844_990 Depth=2
	ds_store_b32 v94, v71 offset:1024
.LBB844_1060:                           ;   in Loop: Header=BB844_990 Depth=2
	s_or_b32 exec_lo, exec_lo, s17
	s_waitcnt lgkmcnt(0)
	s_barrier
	buffer_gl0_inv
	s_and_saveexec_b32 s17, s4
	s_cbranch_execz .LBB844_1062
; %bb.1061:                             ;   in Loop: Header=BB844_990 Depth=2
	ds_load_b32 v225, v104 offset:1024
	s_waitcnt lgkmcnt(0)
	v_mov_b32_dpp v226, v225 row_shr:1 row_mask:0xf bank_mask:0xf
	s_delay_alu instid0(VALU_DEP_1) | instskip(NEXT) | instid1(VALU_DEP_1)
	v_cndmask_b32_e64 v226, v226, 0, s12
	v_add_nc_u32_e32 v225, v226, v225
	s_delay_alu instid0(VALU_DEP_1) | instskip(NEXT) | instid1(VALU_DEP_1)
	v_mov_b32_dpp v226, v225 row_shr:2 row_mask:0xf bank_mask:0xf
	v_cndmask_b32_e64 v226, 0, v226, s13
	s_delay_alu instid0(VALU_DEP_1) | instskip(NEXT) | instid1(VALU_DEP_1)
	v_add_nc_u32_e32 v225, v225, v226
	v_mov_b32_dpp v226, v225 row_shr:4 row_mask:0xf bank_mask:0xf
	s_delay_alu instid0(VALU_DEP_1) | instskip(NEXT) | instid1(VALU_DEP_1)
	v_cndmask_b32_e64 v226, 0, v226, s16
	v_add_nc_u32_e32 v225, v225, v226
	ds_store_b32 v104, v225 offset:1024
.LBB844_1062:                           ;   in Loop: Header=BB844_990 Depth=2
	s_or_b32 exec_lo, exec_lo, s17
	v_mov_b32_e32 v225, 0
	s_waitcnt lgkmcnt(0)
	s_barrier
	buffer_gl0_inv
	s_and_saveexec_b32 s17, s5
	s_cbranch_execz .LBB844_1064
; %bb.1063:                             ;   in Loop: Header=BB844_990 Depth=2
	ds_load_b32 v225, v94 offset:1020
.LBB844_1064:                           ;   in Loop: Header=BB844_990 Depth=2
	s_or_b32 exec_lo, exec_lo, s17
	s_waitcnt lgkmcnt(0)
	v_add_nc_u32_e32 v71, v225, v71
	ds_bpermute_b32 v71, v137, v71
	s_waitcnt lgkmcnt(0)
	v_cndmask_b32_e64 v71, v71, v225, s11
	s_delay_alu instid0(VALU_DEP_1) | instskip(NEXT) | instid1(VALU_DEP_1)
	v_cndmask_b32_e64 v71, v71, 0, s0
	v_add_nc_u32_e32 v224, v71, v224
	s_delay_alu instid0(VALU_DEP_1) | instskip(NEXT) | instid1(VALU_DEP_1)
	v_add_nc_u32_e32 v74, v224, v74
	v_add_nc_u32_e32 v75, v74, v75
	s_delay_alu instid0(VALU_DEP_1) | instskip(NEXT) | instid1(VALU_DEP_1)
	v_add_nc_u32_e32 v72, v75, v72
	v_add_nc_u32_e32 v73, v72, v73
	s_delay_alu instid0(VALU_DEP_1) | instskip(NEXT) | instid1(VALU_DEP_1)
	v_add_nc_u32_e32 v68, v73, v68
	v_add_nc_u32_e32 v69, v68, v69
	s_delay_alu instid0(VALU_DEP_1)
	v_add_nc_u32_e32 v70, v69, v70
	ds_store_b32 v102, v71 offset:1056
	ds_store_2addr_b32 v103, v224, v74 offset0:1 offset1:2
	ds_store_2addr_b32 v103, v75, v72 offset0:3 offset1:4
	;; [unrolled: 1-line block ×4, first 2 shown]
	v_mov_b32_e32 v68, 0x1000
	s_waitcnt lgkmcnt(0)
	s_barrier
	buffer_gl0_inv
	ds_load_b32 v70, v181
	ds_load_b32 v71, v184
	;; [unrolled: 1-line block ×16, first 2 shown]
	ds_load_b32 v178, v102 offset:1056
	s_and_saveexec_b32 s17, s6
	s_cbranch_execz .LBB844_1066
; %bb.1065:                             ;   in Loop: Header=BB844_990 Depth=2
	ds_load_b32 v68, v105 offset:1056
.LBB844_1066:                           ;   in Loop: Header=BB844_990 Depth=2
	s_or_b32 exec_lo, exec_lo, s17
	s_waitcnt lgkmcnt(0)
	s_barrier
	buffer_gl0_inv
	s_and_saveexec_b32 s17, s2
	s_cbranch_execz .LBB844_1068
; %bb.1067:                             ;   in Loop: Header=BB844_990 Depth=2
	ds_load_b32 v202, v76
	s_waitcnt lgkmcnt(0)
	v_sub_nc_u32_e32 v178, v202, v178
	ds_store_b32 v76, v178
.LBB844_1068:                           ;   in Loop: Header=BB844_990 Depth=2
	s_or_b32 exec_lo, exec_lo, s17
	v_add_nc_u32_e32 v179, v180, v179
	v_add_nc_u32_e32 v180, v183, v182
	;; [unrolled: 1-line block ×4, first 2 shown]
	v_add_lshl_u32 v69, v69, v2, 3
	v_add_nc_u32_e32 v2, v186, v185
	v_add_lshl_u32 v70, v179, v70, 3
	v_add_nc_u32_e32 v197, v198, v197
	v_add_nc_u32_e32 v182, v189, v188
	v_add_lshl_u32 v71, v180, v71, 3
	v_add_nc_u32_e32 v178, v222, v221
	v_add_nc_u32_e32 v202, v219, v218
	;; [unrolled: 1-line block ×8, first 2 shown]
	ds_store_b64 v69, v[36:37] offset:1024
	v_add_lshl_u32 v72, v2, v72, 3
	ds_store_b64 v70, v[38:39] offset:1024
	ds_store_b64 v71, v[40:41] offset:1024
	v_add_lshl_u32 v39, v191, v225, 3
	v_add_lshl_u32 v40, v194, v224, 3
	;; [unrolled: 1-line block ×4, first 2 shown]
	ds_store_b64 v72, v[42:43] offset:1024
	ds_store_b64 v73, v[44:45] offset:1024
	;; [unrolled: 1-line block ×3, first 2 shown]
	v_add_lshl_u32 v42, v200, v196, 3
	v_add_lshl_u32 v43, v203, v193, 3
	ds_store_b64 v40, v[48:49] offset:1024
	ds_store_b64 v41, v[50:51] offset:1024
	v_add_lshl_u32 v44, v206, v190, 3
	v_add_lshl_u32 v45, v209, v187, 3
	;; [unrolled: 1-line block ×6, first 2 shown]
	v_cmp_lt_u32_e32 vcc_lo, v1, v177
	v_add_nc_u32_e32 v38, v104, v76
	ds_store_b64 v42, v[52:53] offset:1024
	ds_store_b64 v43, v[54:55] offset:1024
	ds_store_b64 v44, v[56:57] offset:1024
	ds_store_b64 v45, v[58:59] offset:1024
	ds_store_b64 v46, v[60:61] offset:1024
	ds_store_b64 v47, v[62:63] offset:1024
	ds_store_b64 v48, v[64:65] offset:1024
	ds_store_b64 v49, v[66:67] offset:1024
	s_waitcnt lgkmcnt(0)
	s_barrier
	buffer_gl0_inv
	s_and_saveexec_b32 s18, vcc_lo
	s_cbranch_execz .LBB844_1084
; %bb.1069:                             ;   in Loop: Header=BB844_990 Depth=2
	ds_load_b64 v[36:37], v38 offset:1024
	s_waitcnt lgkmcnt(0)
	v_lshrrev_b64 v[50:51], s40, v[36:37]
	v_xor_b32_e32 v37, 0x80000000, v37
	s_delay_alu instid0(VALU_DEP_2) | instskip(NEXT) | instid1(VALU_DEP_1)
	v_and_b32_e32 v2, s42, v50
	v_lshlrev_b32_e32 v2, 2, v2
	ds_load_b32 v2, v2
	s_waitcnt lgkmcnt(0)
	v_add_nc_u32_e32 v2, v2, v1
	s_delay_alu instid0(VALU_DEP_1) | instskip(NEXT) | instid1(VALU_DEP_1)
	v_lshlrev_b64 v[50:51], 3, v[2:3]
	v_add_co_u32 v50, s17, s48, v50
	s_delay_alu instid0(VALU_DEP_1) | instskip(SKIP_3) | instid1(VALU_DEP_1)
	v_add_co_ci_u32_e64 v51, s17, s49, v51, s17
	global_store_b64 v[50:51], v[36:37], off
	s_or_b32 exec_lo, exec_lo, s18
	v_cmp_lt_u32_e64 s17, v77, v177
	s_and_saveexec_b32 s19, s17
	s_cbranch_execnz .LBB844_1085
.LBB844_1070:                           ;   in Loop: Header=BB844_990 Depth=2
	s_or_b32 exec_lo, exec_lo, s19
	v_cmp_lt_u32_e64 s18, v78, v177
	s_delay_alu instid0(VALU_DEP_1)
	s_and_saveexec_b32 s20, s18
	s_cbranch_execz .LBB844_1086
.LBB844_1071:                           ;   in Loop: Header=BB844_990 Depth=2
	ds_load_b64 v[36:37], v110 offset:4096
	s_waitcnt lgkmcnt(0)
	v_lshrrev_b64 v[50:51], s40, v[36:37]
	v_xor_b32_e32 v37, 0x80000000, v37
	s_delay_alu instid0(VALU_DEP_2) | instskip(NEXT) | instid1(VALU_DEP_1)
	v_and_b32_e32 v2, s42, v50
	v_lshlrev_b32_e32 v2, 2, v2
	ds_load_b32 v2, v2
	s_waitcnt lgkmcnt(0)
	v_add_nc_u32_e32 v2, v2, v78
	s_delay_alu instid0(VALU_DEP_1) | instskip(NEXT) | instid1(VALU_DEP_1)
	v_lshlrev_b64 v[50:51], 3, v[2:3]
	v_add_co_u32 v50, s19, s48, v50
	s_delay_alu instid0(VALU_DEP_1) | instskip(SKIP_3) | instid1(VALU_DEP_1)
	v_add_co_ci_u32_e64 v51, s19, s49, v51, s19
	global_store_b64 v[50:51], v[36:37], off
	s_or_b32 exec_lo, exec_lo, s20
	v_cmp_lt_u32_e64 s19, v79, v177
	s_and_saveexec_b32 s21, s19
	s_cbranch_execnz .LBB844_1087
.LBB844_1072:                           ;   in Loop: Header=BB844_990 Depth=2
	s_or_b32 exec_lo, exec_lo, s21
	v_cmp_lt_u32_e64 s20, v83, v177
	s_delay_alu instid0(VALU_DEP_1)
	s_and_saveexec_b32 s22, s20
	s_cbranch_execz .LBB844_1088
.LBB844_1073:                           ;   in Loop: Header=BB844_990 Depth=2
	ds_load_b64 v[36:37], v110 offset:8192
	s_waitcnt lgkmcnt(0)
	v_lshrrev_b64 v[50:51], s40, v[36:37]
	v_xor_b32_e32 v37, 0x80000000, v37
	s_delay_alu instid0(VALU_DEP_2) | instskip(NEXT) | instid1(VALU_DEP_1)
	v_and_b32_e32 v2, s42, v50
	v_lshlrev_b32_e32 v2, 2, v2
	ds_load_b32 v2, v2
	s_waitcnt lgkmcnt(0)
	v_add_nc_u32_e32 v2, v2, v83
	s_delay_alu instid0(VALU_DEP_1) | instskip(NEXT) | instid1(VALU_DEP_1)
	v_lshlrev_b64 v[50:51], 3, v[2:3]
	v_add_co_u32 v50, s21, s48, v50
	s_delay_alu instid0(VALU_DEP_1) | instskip(SKIP_3) | instid1(VALU_DEP_1)
	v_add_co_ci_u32_e64 v51, s21, s49, v51, s21
	global_store_b64 v[50:51], v[36:37], off
	s_or_b32 exec_lo, exec_lo, s22
	v_cmp_lt_u32_e64 s21, v84, v177
	s_and_saveexec_b32 s23, s21
	s_cbranch_execnz .LBB844_1089
.LBB844_1074:                           ;   in Loop: Header=BB844_990 Depth=2
	s_or_b32 exec_lo, exec_lo, s23
	v_cmp_lt_u32_e64 s22, v85, v177
	s_delay_alu instid0(VALU_DEP_1)
	s_and_saveexec_b32 s24, s22
	s_cbranch_execz .LBB844_1090
.LBB844_1075:                           ;   in Loop: Header=BB844_990 Depth=2
	ds_load_b64 v[36:37], v110 offset:12288
	s_waitcnt lgkmcnt(0)
	v_lshrrev_b64 v[50:51], s40, v[36:37]
	v_xor_b32_e32 v37, 0x80000000, v37
	s_delay_alu instid0(VALU_DEP_2) | instskip(NEXT) | instid1(VALU_DEP_1)
	v_and_b32_e32 v2, s42, v50
	v_lshlrev_b32_e32 v2, 2, v2
	ds_load_b32 v2, v2
	s_waitcnt lgkmcnt(0)
	v_add_nc_u32_e32 v2, v2, v85
	s_delay_alu instid0(VALU_DEP_1) | instskip(NEXT) | instid1(VALU_DEP_1)
	v_lshlrev_b64 v[50:51], 3, v[2:3]
	v_add_co_u32 v50, s23, s48, v50
	s_delay_alu instid0(VALU_DEP_1) | instskip(SKIP_3) | instid1(VALU_DEP_1)
	v_add_co_ci_u32_e64 v51, s23, s49, v51, s23
	global_store_b64 v[50:51], v[36:37], off
	s_or_b32 exec_lo, exec_lo, s24
	v_cmp_lt_u32_e64 s23, v86, v177
	s_and_saveexec_b32 s25, s23
	s_cbranch_execnz .LBB844_1091
.LBB844_1076:                           ;   in Loop: Header=BB844_990 Depth=2
	s_or_b32 exec_lo, exec_lo, s25
	v_cmp_lt_u32_e64 s24, v87, v177
	s_delay_alu instid0(VALU_DEP_1)
	s_and_saveexec_b32 s26, s24
	s_cbranch_execz .LBB844_1092
.LBB844_1077:                           ;   in Loop: Header=BB844_990 Depth=2
	ds_load_b64 v[36:37], v110 offset:16384
	s_waitcnt lgkmcnt(0)
	v_lshrrev_b64 v[50:51], s40, v[36:37]
	v_xor_b32_e32 v37, 0x80000000, v37
	s_delay_alu instid0(VALU_DEP_2) | instskip(NEXT) | instid1(VALU_DEP_1)
	v_and_b32_e32 v2, s42, v50
	v_lshlrev_b32_e32 v2, 2, v2
	ds_load_b32 v2, v2
	s_waitcnt lgkmcnt(0)
	v_add_nc_u32_e32 v2, v2, v87
	s_delay_alu instid0(VALU_DEP_1) | instskip(NEXT) | instid1(VALU_DEP_1)
	v_lshlrev_b64 v[50:51], 3, v[2:3]
	v_add_co_u32 v50, s25, s48, v50
	s_delay_alu instid0(VALU_DEP_1) | instskip(SKIP_3) | instid1(VALU_DEP_1)
	v_add_co_ci_u32_e64 v51, s25, s49, v51, s25
	global_store_b64 v[50:51], v[36:37], off
	s_or_b32 exec_lo, exec_lo, s26
	v_cmp_lt_u32_e64 s25, v88, v177
	s_and_saveexec_b32 s27, s25
	s_cbranch_execnz .LBB844_1093
.LBB844_1078:                           ;   in Loop: Header=BB844_990 Depth=2
	s_or_b32 exec_lo, exec_lo, s27
	v_cmp_lt_u32_e64 s26, v89, v177
	s_delay_alu instid0(VALU_DEP_1)
	s_and_saveexec_b32 s28, s26
	s_cbranch_execz .LBB844_1094
.LBB844_1079:                           ;   in Loop: Header=BB844_990 Depth=2
	ds_load_b64 v[36:37], v110 offset:20480
	s_waitcnt lgkmcnt(0)
	v_lshrrev_b64 v[50:51], s40, v[36:37]
	v_xor_b32_e32 v37, 0x80000000, v37
	s_delay_alu instid0(VALU_DEP_2) | instskip(NEXT) | instid1(VALU_DEP_1)
	v_and_b32_e32 v2, s42, v50
	v_lshlrev_b32_e32 v2, 2, v2
	ds_load_b32 v2, v2
	s_waitcnt lgkmcnt(0)
	v_add_nc_u32_e32 v2, v2, v89
	s_delay_alu instid0(VALU_DEP_1) | instskip(NEXT) | instid1(VALU_DEP_1)
	v_lshlrev_b64 v[50:51], 3, v[2:3]
	v_add_co_u32 v50, s27, s48, v50
	s_delay_alu instid0(VALU_DEP_1) | instskip(SKIP_3) | instid1(VALU_DEP_1)
	v_add_co_ci_u32_e64 v51, s27, s49, v51, s27
	global_store_b64 v[50:51], v[36:37], off
	s_or_b32 exec_lo, exec_lo, s28
	v_cmp_lt_u32_e64 s27, v90, v177
	s_and_saveexec_b32 s29, s27
	s_cbranch_execnz .LBB844_1095
.LBB844_1080:                           ;   in Loop: Header=BB844_990 Depth=2
	s_or_b32 exec_lo, exec_lo, s29
	v_cmp_lt_u32_e64 s28, v91, v177
	s_delay_alu instid0(VALU_DEP_1)
	s_and_saveexec_b32 s30, s28
	s_cbranch_execz .LBB844_1096
.LBB844_1081:                           ;   in Loop: Header=BB844_990 Depth=2
	ds_load_b64 v[36:37], v110 offset:24576
	s_waitcnt lgkmcnt(0)
	v_lshrrev_b64 v[50:51], s40, v[36:37]
	v_xor_b32_e32 v37, 0x80000000, v37
	s_delay_alu instid0(VALU_DEP_2) | instskip(NEXT) | instid1(VALU_DEP_1)
	v_and_b32_e32 v2, s42, v50
	v_lshlrev_b32_e32 v2, 2, v2
	ds_load_b32 v2, v2
	s_waitcnt lgkmcnt(0)
	v_add_nc_u32_e32 v2, v2, v91
	s_delay_alu instid0(VALU_DEP_1) | instskip(NEXT) | instid1(VALU_DEP_1)
	v_lshlrev_b64 v[50:51], 3, v[2:3]
	v_add_co_u32 v50, s29, s48, v50
	s_delay_alu instid0(VALU_DEP_1) | instskip(SKIP_3) | instid1(VALU_DEP_1)
	v_add_co_ci_u32_e64 v51, s29, s49, v51, s29
	global_store_b64 v[50:51], v[36:37], off
	s_or_b32 exec_lo, exec_lo, s30
	v_cmp_lt_u32_e64 s29, v92, v177
	s_and_saveexec_b32 s31, s29
	s_cbranch_execnz .LBB844_1097
.LBB844_1082:                           ;   in Loop: Header=BB844_990 Depth=2
	s_or_b32 exec_lo, exec_lo, s31
	v_cmp_lt_u32_e64 s30, v93, v177
	s_delay_alu instid0(VALU_DEP_1)
	s_and_saveexec_b32 s33, s30
	s_cbranch_execz .LBB844_1098
.LBB844_1083:                           ;   in Loop: Header=BB844_990 Depth=2
	ds_load_b64 v[36:37], v110 offset:28672
	s_waitcnt lgkmcnt(0)
	v_lshrrev_b64 v[50:51], s40, v[36:37]
	v_xor_b32_e32 v37, 0x80000000, v37
	s_delay_alu instid0(VALU_DEP_2) | instskip(NEXT) | instid1(VALU_DEP_1)
	v_and_b32_e32 v2, s42, v50
	v_lshlrev_b32_e32 v2, 2, v2
	ds_load_b32 v2, v2
	s_waitcnt lgkmcnt(0)
	v_add_nc_u32_e32 v2, v2, v93
	s_delay_alu instid0(VALU_DEP_1) | instskip(NEXT) | instid1(VALU_DEP_1)
	v_lshlrev_b64 v[50:51], 3, v[2:3]
	v_add_co_u32 v50, s31, s48, v50
	s_delay_alu instid0(VALU_DEP_1) | instskip(SKIP_3) | instid1(VALU_DEP_1)
	v_add_co_ci_u32_e64 v51, s31, s49, v51, s31
	global_store_b64 v[50:51], v[36:37], off
	s_or_b32 exec_lo, exec_lo, s33
	v_cmp_lt_u32_e64 s31, v95, v177
	s_and_saveexec_b32 s51, s31
	s_cbranch_execnz .LBB844_1099
	s_branch .LBB844_1100
.LBB844_1084:                           ;   in Loop: Header=BB844_990 Depth=2
	s_or_b32 exec_lo, exec_lo, s18
	v_cmp_lt_u32_e64 s17, v77, v177
	s_delay_alu instid0(VALU_DEP_1)
	s_and_saveexec_b32 s19, s17
	s_cbranch_execz .LBB844_1070
.LBB844_1085:                           ;   in Loop: Header=BB844_990 Depth=2
	ds_load_b64 v[36:37], v110 offset:2048
	s_waitcnt lgkmcnt(0)
	v_lshrrev_b64 v[50:51], s40, v[36:37]
	v_xor_b32_e32 v37, 0x80000000, v37
	s_delay_alu instid0(VALU_DEP_2) | instskip(NEXT) | instid1(VALU_DEP_1)
	v_and_b32_e32 v2, s42, v50
	v_lshlrev_b32_e32 v2, 2, v2
	ds_load_b32 v2, v2
	s_waitcnt lgkmcnt(0)
	v_add_nc_u32_e32 v2, v2, v77
	s_delay_alu instid0(VALU_DEP_1) | instskip(NEXT) | instid1(VALU_DEP_1)
	v_lshlrev_b64 v[50:51], 3, v[2:3]
	v_add_co_u32 v50, s18, s48, v50
	s_delay_alu instid0(VALU_DEP_1) | instskip(SKIP_3) | instid1(VALU_DEP_1)
	v_add_co_ci_u32_e64 v51, s18, s49, v51, s18
	global_store_b64 v[50:51], v[36:37], off
	s_or_b32 exec_lo, exec_lo, s19
	v_cmp_lt_u32_e64 s18, v78, v177
	s_and_saveexec_b32 s20, s18
	s_cbranch_execnz .LBB844_1071
.LBB844_1086:                           ;   in Loop: Header=BB844_990 Depth=2
	s_or_b32 exec_lo, exec_lo, s20
	v_cmp_lt_u32_e64 s19, v79, v177
	s_delay_alu instid0(VALU_DEP_1)
	s_and_saveexec_b32 s21, s19
	s_cbranch_execz .LBB844_1072
.LBB844_1087:                           ;   in Loop: Header=BB844_990 Depth=2
	ds_load_b64 v[36:37], v110 offset:6144
	s_waitcnt lgkmcnt(0)
	v_lshrrev_b64 v[50:51], s40, v[36:37]
	v_xor_b32_e32 v37, 0x80000000, v37
	s_delay_alu instid0(VALU_DEP_2) | instskip(NEXT) | instid1(VALU_DEP_1)
	v_and_b32_e32 v2, s42, v50
	v_lshlrev_b32_e32 v2, 2, v2
	ds_load_b32 v2, v2
	s_waitcnt lgkmcnt(0)
	v_add_nc_u32_e32 v2, v2, v79
	s_delay_alu instid0(VALU_DEP_1) | instskip(NEXT) | instid1(VALU_DEP_1)
	v_lshlrev_b64 v[50:51], 3, v[2:3]
	v_add_co_u32 v50, s20, s48, v50
	s_delay_alu instid0(VALU_DEP_1) | instskip(SKIP_3) | instid1(VALU_DEP_1)
	v_add_co_ci_u32_e64 v51, s20, s49, v51, s20
	global_store_b64 v[50:51], v[36:37], off
	s_or_b32 exec_lo, exec_lo, s21
	v_cmp_lt_u32_e64 s20, v83, v177
	s_and_saveexec_b32 s22, s20
	s_cbranch_execnz .LBB844_1073
.LBB844_1088:                           ;   in Loop: Header=BB844_990 Depth=2
	s_or_b32 exec_lo, exec_lo, s22
	v_cmp_lt_u32_e64 s21, v84, v177
	s_delay_alu instid0(VALU_DEP_1)
	s_and_saveexec_b32 s23, s21
	s_cbranch_execz .LBB844_1074
.LBB844_1089:                           ;   in Loop: Header=BB844_990 Depth=2
	ds_load_b64 v[36:37], v110 offset:10240
	s_waitcnt lgkmcnt(0)
	v_lshrrev_b64 v[50:51], s40, v[36:37]
	v_xor_b32_e32 v37, 0x80000000, v37
	s_delay_alu instid0(VALU_DEP_2) | instskip(NEXT) | instid1(VALU_DEP_1)
	v_and_b32_e32 v2, s42, v50
	v_lshlrev_b32_e32 v2, 2, v2
	ds_load_b32 v2, v2
	s_waitcnt lgkmcnt(0)
	v_add_nc_u32_e32 v2, v2, v84
	s_delay_alu instid0(VALU_DEP_1) | instskip(NEXT) | instid1(VALU_DEP_1)
	v_lshlrev_b64 v[50:51], 3, v[2:3]
	v_add_co_u32 v50, s22, s48, v50
	s_delay_alu instid0(VALU_DEP_1) | instskip(SKIP_3) | instid1(VALU_DEP_1)
	v_add_co_ci_u32_e64 v51, s22, s49, v51, s22
	global_store_b64 v[50:51], v[36:37], off
	s_or_b32 exec_lo, exec_lo, s23
	v_cmp_lt_u32_e64 s22, v85, v177
	s_and_saveexec_b32 s24, s22
	s_cbranch_execnz .LBB844_1075
.LBB844_1090:                           ;   in Loop: Header=BB844_990 Depth=2
	s_or_b32 exec_lo, exec_lo, s24
	v_cmp_lt_u32_e64 s23, v86, v177
	s_delay_alu instid0(VALU_DEP_1)
	s_and_saveexec_b32 s25, s23
	s_cbranch_execz .LBB844_1076
.LBB844_1091:                           ;   in Loop: Header=BB844_990 Depth=2
	ds_load_b64 v[36:37], v110 offset:14336
	s_waitcnt lgkmcnt(0)
	v_lshrrev_b64 v[50:51], s40, v[36:37]
	v_xor_b32_e32 v37, 0x80000000, v37
	s_delay_alu instid0(VALU_DEP_2) | instskip(NEXT) | instid1(VALU_DEP_1)
	v_and_b32_e32 v2, s42, v50
	v_lshlrev_b32_e32 v2, 2, v2
	ds_load_b32 v2, v2
	s_waitcnt lgkmcnt(0)
	v_add_nc_u32_e32 v2, v2, v86
	s_delay_alu instid0(VALU_DEP_1) | instskip(NEXT) | instid1(VALU_DEP_1)
	v_lshlrev_b64 v[50:51], 3, v[2:3]
	v_add_co_u32 v50, s24, s48, v50
	s_delay_alu instid0(VALU_DEP_1) | instskip(SKIP_3) | instid1(VALU_DEP_1)
	v_add_co_ci_u32_e64 v51, s24, s49, v51, s24
	global_store_b64 v[50:51], v[36:37], off
	s_or_b32 exec_lo, exec_lo, s25
	v_cmp_lt_u32_e64 s24, v87, v177
	s_and_saveexec_b32 s26, s24
	s_cbranch_execnz .LBB844_1077
.LBB844_1092:                           ;   in Loop: Header=BB844_990 Depth=2
	s_or_b32 exec_lo, exec_lo, s26
	v_cmp_lt_u32_e64 s25, v88, v177
	s_delay_alu instid0(VALU_DEP_1)
	s_and_saveexec_b32 s27, s25
	s_cbranch_execz .LBB844_1078
.LBB844_1093:                           ;   in Loop: Header=BB844_990 Depth=2
	ds_load_b64 v[36:37], v110 offset:18432
	s_waitcnt lgkmcnt(0)
	v_lshrrev_b64 v[50:51], s40, v[36:37]
	v_xor_b32_e32 v37, 0x80000000, v37
	s_delay_alu instid0(VALU_DEP_2) | instskip(NEXT) | instid1(VALU_DEP_1)
	v_and_b32_e32 v2, s42, v50
	v_lshlrev_b32_e32 v2, 2, v2
	ds_load_b32 v2, v2
	s_waitcnt lgkmcnt(0)
	v_add_nc_u32_e32 v2, v2, v88
	s_delay_alu instid0(VALU_DEP_1) | instskip(NEXT) | instid1(VALU_DEP_1)
	v_lshlrev_b64 v[50:51], 3, v[2:3]
	v_add_co_u32 v50, s26, s48, v50
	s_delay_alu instid0(VALU_DEP_1) | instskip(SKIP_3) | instid1(VALU_DEP_1)
	v_add_co_ci_u32_e64 v51, s26, s49, v51, s26
	global_store_b64 v[50:51], v[36:37], off
	s_or_b32 exec_lo, exec_lo, s27
	v_cmp_lt_u32_e64 s26, v89, v177
	s_and_saveexec_b32 s28, s26
	s_cbranch_execnz .LBB844_1079
.LBB844_1094:                           ;   in Loop: Header=BB844_990 Depth=2
	s_or_b32 exec_lo, exec_lo, s28
	v_cmp_lt_u32_e64 s27, v90, v177
	s_delay_alu instid0(VALU_DEP_1)
	s_and_saveexec_b32 s29, s27
	s_cbranch_execz .LBB844_1080
.LBB844_1095:                           ;   in Loop: Header=BB844_990 Depth=2
	ds_load_b64 v[36:37], v110 offset:22528
	s_waitcnt lgkmcnt(0)
	v_lshrrev_b64 v[50:51], s40, v[36:37]
	v_xor_b32_e32 v37, 0x80000000, v37
	s_delay_alu instid0(VALU_DEP_2) | instskip(NEXT) | instid1(VALU_DEP_1)
	v_and_b32_e32 v2, s42, v50
	v_lshlrev_b32_e32 v2, 2, v2
	ds_load_b32 v2, v2
	s_waitcnt lgkmcnt(0)
	v_add_nc_u32_e32 v2, v2, v90
	s_delay_alu instid0(VALU_DEP_1) | instskip(NEXT) | instid1(VALU_DEP_1)
	v_lshlrev_b64 v[50:51], 3, v[2:3]
	v_add_co_u32 v50, s28, s48, v50
	s_delay_alu instid0(VALU_DEP_1) | instskip(SKIP_3) | instid1(VALU_DEP_1)
	v_add_co_ci_u32_e64 v51, s28, s49, v51, s28
	global_store_b64 v[50:51], v[36:37], off
	s_or_b32 exec_lo, exec_lo, s29
	v_cmp_lt_u32_e64 s28, v91, v177
	s_and_saveexec_b32 s30, s28
	s_cbranch_execnz .LBB844_1081
.LBB844_1096:                           ;   in Loop: Header=BB844_990 Depth=2
	s_or_b32 exec_lo, exec_lo, s30
	v_cmp_lt_u32_e64 s29, v92, v177
	s_delay_alu instid0(VALU_DEP_1)
	s_and_saveexec_b32 s31, s29
	s_cbranch_execz .LBB844_1082
.LBB844_1097:                           ;   in Loop: Header=BB844_990 Depth=2
	ds_load_b64 v[36:37], v110 offset:26624
	s_waitcnt lgkmcnt(0)
	v_lshrrev_b64 v[50:51], s40, v[36:37]
	v_xor_b32_e32 v37, 0x80000000, v37
	s_delay_alu instid0(VALU_DEP_2) | instskip(NEXT) | instid1(VALU_DEP_1)
	v_and_b32_e32 v2, s42, v50
	v_lshlrev_b32_e32 v2, 2, v2
	ds_load_b32 v2, v2
	s_waitcnt lgkmcnt(0)
	v_add_nc_u32_e32 v2, v2, v92
	s_delay_alu instid0(VALU_DEP_1) | instskip(NEXT) | instid1(VALU_DEP_1)
	v_lshlrev_b64 v[50:51], 3, v[2:3]
	v_add_co_u32 v50, s30, s48, v50
	s_delay_alu instid0(VALU_DEP_1) | instskip(SKIP_3) | instid1(VALU_DEP_1)
	v_add_co_ci_u32_e64 v51, s30, s49, v51, s30
	global_store_b64 v[50:51], v[36:37], off
	s_or_b32 exec_lo, exec_lo, s31
	v_cmp_lt_u32_e64 s30, v93, v177
	s_and_saveexec_b32 s33, s30
	s_cbranch_execnz .LBB844_1083
.LBB844_1098:                           ;   in Loop: Header=BB844_990 Depth=2
	s_or_b32 exec_lo, exec_lo, s33
	v_cmp_lt_u32_e64 s31, v95, v177
	s_delay_alu instid0(VALU_DEP_1)
	s_and_saveexec_b32 s51, s31
	s_cbranch_execz .LBB844_1100
.LBB844_1099:                           ;   in Loop: Header=BB844_990 Depth=2
	ds_load_b64 v[36:37], v110 offset:30720
	s_waitcnt lgkmcnt(0)
	v_lshrrev_b64 v[50:51], s40, v[36:37]
	v_xor_b32_e32 v37, 0x80000000, v37
	s_delay_alu instid0(VALU_DEP_2) | instskip(NEXT) | instid1(VALU_DEP_1)
	v_and_b32_e32 v2, s42, v50
	v_lshlrev_b32_e32 v2, 2, v2
	ds_load_b32 v2, v2
	s_waitcnt lgkmcnt(0)
	v_add_nc_u32_e32 v2, v2, v95
	s_delay_alu instid0(VALU_DEP_1) | instskip(NEXT) | instid1(VALU_DEP_1)
	v_lshlrev_b64 v[50:51], 3, v[2:3]
	v_add_co_u32 v50, s33, s48, v50
	s_delay_alu instid0(VALU_DEP_1)
	v_add_co_ci_u32_e64 v51, s33, s49, v51, s33
	global_store_b64 v[50:51], v[36:37], off
.LBB844_1100:                           ;   in Loop: Header=BB844_990 Depth=2
	s_or_b32 exec_lo, exec_lo, s51
	s_lshl_b64 s[64:65], s[34:35], 3
	s_delay_alu instid0(SALU_CYCLE_1) | instskip(NEXT) | instid1(VALU_DEP_1)
	v_add_co_u32 v36, s33, v139, s64
	v_add_co_ci_u32_e64 v37, s33, s65, v140, s33
	v_cmp_lt_u32_e64 s33, v138, v177
	s_delay_alu instid0(VALU_DEP_1) | instskip(NEXT) | instid1(SALU_CYCLE_1)
	s_and_saveexec_b32 s34, s33
	s_xor_b32 s33, exec_lo, s34
	s_cbranch_execz .LBB844_1132
; %bb.1101:                             ;   in Loop: Header=BB844_990 Depth=2
	global_load_b64 v[34:35], v[36:37], off
	s_or_b32 exec_lo, exec_lo, s33
	s_delay_alu instid0(SALU_CYCLE_1)
	s_mov_b32 s34, exec_lo
	v_cmpx_lt_u32_e64 v141, v177
	s_cbranch_execnz .LBB844_1133
.LBB844_1102:                           ;   in Loop: Header=BB844_990 Depth=2
	s_or_b32 exec_lo, exec_lo, s34
	s_delay_alu instid0(SALU_CYCLE_1)
	s_mov_b32 s34, exec_lo
	v_cmpx_lt_u32_e64 v142, v177
	s_cbranch_execz .LBB844_1134
.LBB844_1103:                           ;   in Loop: Header=BB844_990 Depth=2
	global_load_b64 v[30:31], v[36:37], off offset:512
	s_or_b32 exec_lo, exec_lo, s34
	s_delay_alu instid0(SALU_CYCLE_1)
	s_mov_b32 s34, exec_lo
	v_cmpx_lt_u32_e64 v143, v177
	s_cbranch_execnz .LBB844_1135
.LBB844_1104:                           ;   in Loop: Header=BB844_990 Depth=2
	s_or_b32 exec_lo, exec_lo, s34
	s_delay_alu instid0(SALU_CYCLE_1)
	s_mov_b32 s34, exec_lo
	v_cmpx_lt_u32_e64 v144, v177
	s_cbranch_execz .LBB844_1136
.LBB844_1105:                           ;   in Loop: Header=BB844_990 Depth=2
	global_load_b64 v[26:27], v[36:37], off offset:1024
	s_or_b32 exec_lo, exec_lo, s34
	s_delay_alu instid0(SALU_CYCLE_1)
	s_mov_b32 s34, exec_lo
	v_cmpx_lt_u32_e64 v145, v177
	s_cbranch_execnz .LBB844_1137
.LBB844_1106:                           ;   in Loop: Header=BB844_990 Depth=2
	s_or_b32 exec_lo, exec_lo, s34
	s_delay_alu instid0(SALU_CYCLE_1)
	s_mov_b32 s34, exec_lo
	v_cmpx_lt_u32_e64 v146, v177
	s_cbranch_execz .LBB844_1138
.LBB844_1107:                           ;   in Loop: Header=BB844_990 Depth=2
	global_load_b64 v[22:23], v[36:37], off offset:1536
	s_or_b32 exec_lo, exec_lo, s34
	s_delay_alu instid0(SALU_CYCLE_1)
	s_mov_b32 s34, exec_lo
	v_cmpx_lt_u32_e64 v147, v177
	s_cbranch_execnz .LBB844_1139
.LBB844_1108:                           ;   in Loop: Header=BB844_990 Depth=2
	s_or_b32 exec_lo, exec_lo, s34
	s_delay_alu instid0(SALU_CYCLE_1)
	s_mov_b32 s34, exec_lo
	v_cmpx_lt_u32_e64 v148, v177
	s_cbranch_execz .LBB844_1140
.LBB844_1109:                           ;   in Loop: Header=BB844_990 Depth=2
	global_load_b64 v[18:19], v[36:37], off offset:2048
	s_or_b32 exec_lo, exec_lo, s34
	s_delay_alu instid0(SALU_CYCLE_1)
	s_mov_b32 s34, exec_lo
	v_cmpx_lt_u32_e64 v149, v177
	s_cbranch_execnz .LBB844_1141
.LBB844_1110:                           ;   in Loop: Header=BB844_990 Depth=2
	s_or_b32 exec_lo, exec_lo, s34
	s_delay_alu instid0(SALU_CYCLE_1)
	s_mov_b32 s34, exec_lo
	v_cmpx_lt_u32_e64 v150, v177
	s_cbranch_execz .LBB844_1142
.LBB844_1111:                           ;   in Loop: Header=BB844_990 Depth=2
	global_load_b64 v[14:15], v[36:37], off offset:2560
	s_or_b32 exec_lo, exec_lo, s34
	s_delay_alu instid0(SALU_CYCLE_1)
	s_mov_b32 s34, exec_lo
	v_cmpx_lt_u32_e64 v151, v177
	s_cbranch_execnz .LBB844_1143
.LBB844_1112:                           ;   in Loop: Header=BB844_990 Depth=2
	s_or_b32 exec_lo, exec_lo, s34
	s_delay_alu instid0(SALU_CYCLE_1)
	s_mov_b32 s34, exec_lo
	v_cmpx_lt_u32_e64 v152, v177
	s_cbranch_execz .LBB844_1144
.LBB844_1113:                           ;   in Loop: Header=BB844_990 Depth=2
	global_load_b64 v[10:11], v[36:37], off offset:3072
	s_or_b32 exec_lo, exec_lo, s34
	s_delay_alu instid0(SALU_CYCLE_1)
	s_mov_b32 s34, exec_lo
	v_cmpx_lt_u32_e64 v153, v177
	s_cbranch_execnz .LBB844_1145
.LBB844_1114:                           ;   in Loop: Header=BB844_990 Depth=2
	s_or_b32 exec_lo, exec_lo, s34
	s_delay_alu instid0(SALU_CYCLE_1)
	s_mov_b32 s34, exec_lo
	v_cmpx_lt_u32_e64 v154, v177
	s_cbranch_execz .LBB844_1146
.LBB844_1115:                           ;   in Loop: Header=BB844_990 Depth=2
	global_load_b64 v[6:7], v[36:37], off offset:3584
	s_or_b32 exec_lo, exec_lo, s34
	s_delay_alu instid0(SALU_CYCLE_1)
	s_mov_b32 s34, exec_lo
	v_cmpx_lt_u32_e64 v155, v177
	s_cbranch_execnz .LBB844_1147
.LBB844_1116:                           ;   in Loop: Header=BB844_990 Depth=2
	s_or_b32 exec_lo, exec_lo, s34
	s_and_saveexec_b32 s33, vcc_lo
	s_cbranch_execz .LBB844_1148
.LBB844_1117:                           ;   in Loop: Header=BB844_990 Depth=2
	ds_load_b64 v[36:37], v38 offset:1024
	s_waitcnt lgkmcnt(0)
	v_lshrrev_b64 v[36:37], s40, v[36:37]
	s_delay_alu instid0(VALU_DEP_1)
	v_and_b32_e32 v176, s42, v36
	s_or_b32 exec_lo, exec_lo, s33
	s_and_saveexec_b32 s33, s17
	s_cbranch_execnz .LBB844_1149
.LBB844_1118:                           ;   in Loop: Header=BB844_990 Depth=2
	s_or_b32 exec_lo, exec_lo, s33
	s_and_saveexec_b32 s33, s18
	s_cbranch_execz .LBB844_1150
.LBB844_1119:                           ;   in Loop: Header=BB844_990 Depth=2
	ds_load_b64 v[36:37], v110 offset:4096
	s_waitcnt lgkmcnt(0)
	v_lshrrev_b64 v[36:37], s40, v[36:37]
	s_delay_alu instid0(VALU_DEP_1)
	v_and_b32_e32 v174, s42, v36
	s_or_b32 exec_lo, exec_lo, s33
	s_and_saveexec_b32 s33, s19
	s_cbranch_execnz .LBB844_1151
.LBB844_1120:                           ;   in Loop: Header=BB844_990 Depth=2
	s_or_b32 exec_lo, exec_lo, s33
	s_and_saveexec_b32 s33, s20
	s_cbranch_execz .LBB844_1152
.LBB844_1121:                           ;   in Loop: Header=BB844_990 Depth=2
	ds_load_b64 v[36:37], v110 offset:8192
	s_waitcnt lgkmcnt(0)
	v_lshrrev_b64 v[36:37], s40, v[36:37]
	s_delay_alu instid0(VALU_DEP_1)
	v_and_b32_e32 v172, s42, v36
	s_or_b32 exec_lo, exec_lo, s33
	s_and_saveexec_b32 s33, s21
	s_cbranch_execnz .LBB844_1153
.LBB844_1122:                           ;   in Loop: Header=BB844_990 Depth=2
	s_or_b32 exec_lo, exec_lo, s33
	s_and_saveexec_b32 s33, s22
	s_cbranch_execz .LBB844_1154
.LBB844_1123:                           ;   in Loop: Header=BB844_990 Depth=2
	ds_load_b64 v[36:37], v110 offset:12288
	s_waitcnt lgkmcnt(0)
	v_lshrrev_b64 v[36:37], s40, v[36:37]
	s_delay_alu instid0(VALU_DEP_1)
	v_and_b32_e32 v170, s42, v36
	s_or_b32 exec_lo, exec_lo, s33
	s_and_saveexec_b32 s33, s23
	s_cbranch_execnz .LBB844_1155
.LBB844_1124:                           ;   in Loop: Header=BB844_990 Depth=2
	s_or_b32 exec_lo, exec_lo, s33
	s_and_saveexec_b32 s33, s24
	s_cbranch_execz .LBB844_1156
.LBB844_1125:                           ;   in Loop: Header=BB844_990 Depth=2
	ds_load_b64 v[36:37], v110 offset:16384
	s_waitcnt lgkmcnt(0)
	v_lshrrev_b64 v[36:37], s40, v[36:37]
	s_delay_alu instid0(VALU_DEP_1)
	v_and_b32_e32 v168, s42, v36
	s_or_b32 exec_lo, exec_lo, s33
	s_and_saveexec_b32 s33, s25
	s_cbranch_execnz .LBB844_1157
.LBB844_1126:                           ;   in Loop: Header=BB844_990 Depth=2
	s_or_b32 exec_lo, exec_lo, s33
	s_and_saveexec_b32 s33, s26
	s_cbranch_execz .LBB844_1158
.LBB844_1127:                           ;   in Loop: Header=BB844_990 Depth=2
	ds_load_b64 v[36:37], v110 offset:20480
	s_waitcnt lgkmcnt(0)
	v_lshrrev_b64 v[36:37], s40, v[36:37]
	s_delay_alu instid0(VALU_DEP_1)
	v_and_b32_e32 v166, s42, v36
	s_or_b32 exec_lo, exec_lo, s33
	s_and_saveexec_b32 s33, s27
	s_cbranch_execnz .LBB844_1159
.LBB844_1128:                           ;   in Loop: Header=BB844_990 Depth=2
	s_or_b32 exec_lo, exec_lo, s33
	s_and_saveexec_b32 s33, s28
	s_cbranch_execz .LBB844_1160
.LBB844_1129:                           ;   in Loop: Header=BB844_990 Depth=2
	ds_load_b64 v[36:37], v110 offset:24576
	s_waitcnt lgkmcnt(0)
	v_lshrrev_b64 v[36:37], s40, v[36:37]
	s_delay_alu instid0(VALU_DEP_1)
	v_and_b32_e32 v164, s42, v36
	s_or_b32 exec_lo, exec_lo, s33
	s_and_saveexec_b32 s33, s29
	s_cbranch_execnz .LBB844_1161
.LBB844_1130:                           ;   in Loop: Header=BB844_990 Depth=2
	s_or_b32 exec_lo, exec_lo, s33
	s_and_saveexec_b32 s33, s30
	s_cbranch_execz .LBB844_1162
.LBB844_1131:                           ;   in Loop: Header=BB844_990 Depth=2
	ds_load_b64 v[36:37], v110 offset:28672
	s_waitcnt lgkmcnt(0)
	v_lshrrev_b64 v[36:37], s40, v[36:37]
	s_delay_alu instid0(VALU_DEP_1)
	v_and_b32_e32 v162, s42, v36
	s_or_b32 exec_lo, exec_lo, s33
	s_and_saveexec_b32 s33, s31
	s_cbranch_execnz .LBB844_1163
	s_branch .LBB844_1164
.LBB844_1132:                           ;   in Loop: Header=BB844_990 Depth=2
	s_or_b32 exec_lo, exec_lo, s33
	s_delay_alu instid0(SALU_CYCLE_1)
	s_mov_b32 s34, exec_lo
	v_cmpx_lt_u32_e64 v141, v177
	s_cbranch_execz .LBB844_1102
.LBB844_1133:                           ;   in Loop: Header=BB844_990 Depth=2
	global_load_b64 v[32:33], v[36:37], off offset:256
	s_or_b32 exec_lo, exec_lo, s34
	s_delay_alu instid0(SALU_CYCLE_1)
	s_mov_b32 s34, exec_lo
	v_cmpx_lt_u32_e64 v142, v177
	s_cbranch_execnz .LBB844_1103
.LBB844_1134:                           ;   in Loop: Header=BB844_990 Depth=2
	s_or_b32 exec_lo, exec_lo, s34
	s_delay_alu instid0(SALU_CYCLE_1)
	s_mov_b32 s34, exec_lo
	v_cmpx_lt_u32_e64 v143, v177
	s_cbranch_execz .LBB844_1104
.LBB844_1135:                           ;   in Loop: Header=BB844_990 Depth=2
	global_load_b64 v[28:29], v[36:37], off offset:768
	s_or_b32 exec_lo, exec_lo, s34
	s_delay_alu instid0(SALU_CYCLE_1)
	s_mov_b32 s34, exec_lo
	v_cmpx_lt_u32_e64 v144, v177
	s_cbranch_execnz .LBB844_1105
.LBB844_1136:                           ;   in Loop: Header=BB844_990 Depth=2
	s_or_b32 exec_lo, exec_lo, s34
	s_delay_alu instid0(SALU_CYCLE_1)
	s_mov_b32 s34, exec_lo
	v_cmpx_lt_u32_e64 v145, v177
	s_cbranch_execz .LBB844_1106
.LBB844_1137:                           ;   in Loop: Header=BB844_990 Depth=2
	global_load_b64 v[24:25], v[36:37], off offset:1280
	s_or_b32 exec_lo, exec_lo, s34
	s_delay_alu instid0(SALU_CYCLE_1)
	s_mov_b32 s34, exec_lo
	v_cmpx_lt_u32_e64 v146, v177
	s_cbranch_execnz .LBB844_1107
.LBB844_1138:                           ;   in Loop: Header=BB844_990 Depth=2
	s_or_b32 exec_lo, exec_lo, s34
	s_delay_alu instid0(SALU_CYCLE_1)
	s_mov_b32 s34, exec_lo
	v_cmpx_lt_u32_e64 v147, v177
	s_cbranch_execz .LBB844_1108
.LBB844_1139:                           ;   in Loop: Header=BB844_990 Depth=2
	global_load_b64 v[20:21], v[36:37], off offset:1792
	s_or_b32 exec_lo, exec_lo, s34
	s_delay_alu instid0(SALU_CYCLE_1)
	s_mov_b32 s34, exec_lo
	v_cmpx_lt_u32_e64 v148, v177
	s_cbranch_execnz .LBB844_1109
.LBB844_1140:                           ;   in Loop: Header=BB844_990 Depth=2
	s_or_b32 exec_lo, exec_lo, s34
	s_delay_alu instid0(SALU_CYCLE_1)
	s_mov_b32 s34, exec_lo
	v_cmpx_lt_u32_e64 v149, v177
	s_cbranch_execz .LBB844_1110
.LBB844_1141:                           ;   in Loop: Header=BB844_990 Depth=2
	global_load_b64 v[16:17], v[36:37], off offset:2304
	s_or_b32 exec_lo, exec_lo, s34
	s_delay_alu instid0(SALU_CYCLE_1)
	s_mov_b32 s34, exec_lo
	v_cmpx_lt_u32_e64 v150, v177
	s_cbranch_execnz .LBB844_1111
.LBB844_1142:                           ;   in Loop: Header=BB844_990 Depth=2
	s_or_b32 exec_lo, exec_lo, s34
	s_delay_alu instid0(SALU_CYCLE_1)
	s_mov_b32 s34, exec_lo
	v_cmpx_lt_u32_e64 v151, v177
	s_cbranch_execz .LBB844_1112
.LBB844_1143:                           ;   in Loop: Header=BB844_990 Depth=2
	global_load_b64 v[12:13], v[36:37], off offset:2816
	s_or_b32 exec_lo, exec_lo, s34
	s_delay_alu instid0(SALU_CYCLE_1)
	s_mov_b32 s34, exec_lo
	v_cmpx_lt_u32_e64 v152, v177
	s_cbranch_execnz .LBB844_1113
.LBB844_1144:                           ;   in Loop: Header=BB844_990 Depth=2
	s_or_b32 exec_lo, exec_lo, s34
	s_delay_alu instid0(SALU_CYCLE_1)
	s_mov_b32 s34, exec_lo
	v_cmpx_lt_u32_e64 v153, v177
	s_cbranch_execz .LBB844_1114
.LBB844_1145:                           ;   in Loop: Header=BB844_990 Depth=2
	global_load_b64 v[8:9], v[36:37], off offset:3328
	s_or_b32 exec_lo, exec_lo, s34
	s_delay_alu instid0(SALU_CYCLE_1)
	s_mov_b32 s34, exec_lo
	v_cmpx_lt_u32_e64 v154, v177
	s_cbranch_execnz .LBB844_1115
.LBB844_1146:                           ;   in Loop: Header=BB844_990 Depth=2
	s_or_b32 exec_lo, exec_lo, s34
	s_delay_alu instid0(SALU_CYCLE_1)
	s_mov_b32 s34, exec_lo
	v_cmpx_lt_u32_e64 v155, v177
	s_cbranch_execz .LBB844_1116
.LBB844_1147:                           ;   in Loop: Header=BB844_990 Depth=2
	global_load_b64 v[4:5], v[36:37], off offset:3840
	s_or_b32 exec_lo, exec_lo, s34
	s_and_saveexec_b32 s33, vcc_lo
	s_cbranch_execnz .LBB844_1117
.LBB844_1148:                           ;   in Loop: Header=BB844_990 Depth=2
	s_or_b32 exec_lo, exec_lo, s33
	s_and_saveexec_b32 s33, s17
	s_cbranch_execz .LBB844_1118
.LBB844_1149:                           ;   in Loop: Header=BB844_990 Depth=2
	ds_load_b64 v[36:37], v110 offset:2048
	s_waitcnt lgkmcnt(0)
	v_lshrrev_b64 v[36:37], s40, v[36:37]
	s_delay_alu instid0(VALU_DEP_1)
	v_and_b32_e32 v175, s42, v36
	s_or_b32 exec_lo, exec_lo, s33
	s_and_saveexec_b32 s33, s18
	s_cbranch_execnz .LBB844_1119
.LBB844_1150:                           ;   in Loop: Header=BB844_990 Depth=2
	s_or_b32 exec_lo, exec_lo, s33
	s_and_saveexec_b32 s33, s19
	s_cbranch_execz .LBB844_1120
.LBB844_1151:                           ;   in Loop: Header=BB844_990 Depth=2
	ds_load_b64 v[36:37], v110 offset:6144
	s_waitcnt lgkmcnt(0)
	v_lshrrev_b64 v[36:37], s40, v[36:37]
	s_delay_alu instid0(VALU_DEP_1)
	v_and_b32_e32 v173, s42, v36
	s_or_b32 exec_lo, exec_lo, s33
	s_and_saveexec_b32 s33, s20
	s_cbranch_execnz .LBB844_1121
.LBB844_1152:                           ;   in Loop: Header=BB844_990 Depth=2
	s_or_b32 exec_lo, exec_lo, s33
	s_and_saveexec_b32 s33, s21
	s_cbranch_execz .LBB844_1122
.LBB844_1153:                           ;   in Loop: Header=BB844_990 Depth=2
	ds_load_b64 v[36:37], v110 offset:10240
	s_waitcnt lgkmcnt(0)
	v_lshrrev_b64 v[36:37], s40, v[36:37]
	s_delay_alu instid0(VALU_DEP_1)
	v_and_b32_e32 v171, s42, v36
	s_or_b32 exec_lo, exec_lo, s33
	s_and_saveexec_b32 s33, s22
	s_cbranch_execnz .LBB844_1123
.LBB844_1154:                           ;   in Loop: Header=BB844_990 Depth=2
	s_or_b32 exec_lo, exec_lo, s33
	s_and_saveexec_b32 s33, s23
	s_cbranch_execz .LBB844_1124
.LBB844_1155:                           ;   in Loop: Header=BB844_990 Depth=2
	ds_load_b64 v[36:37], v110 offset:14336
	s_waitcnt lgkmcnt(0)
	v_lshrrev_b64 v[36:37], s40, v[36:37]
	s_delay_alu instid0(VALU_DEP_1)
	v_and_b32_e32 v169, s42, v36
	s_or_b32 exec_lo, exec_lo, s33
	s_and_saveexec_b32 s33, s24
	s_cbranch_execnz .LBB844_1125
.LBB844_1156:                           ;   in Loop: Header=BB844_990 Depth=2
	s_or_b32 exec_lo, exec_lo, s33
	s_and_saveexec_b32 s33, s25
	s_cbranch_execz .LBB844_1126
.LBB844_1157:                           ;   in Loop: Header=BB844_990 Depth=2
	ds_load_b64 v[36:37], v110 offset:18432
	s_waitcnt lgkmcnt(0)
	v_lshrrev_b64 v[36:37], s40, v[36:37]
	s_delay_alu instid0(VALU_DEP_1)
	v_and_b32_e32 v167, s42, v36
	s_or_b32 exec_lo, exec_lo, s33
	s_and_saveexec_b32 s33, s26
	s_cbranch_execnz .LBB844_1127
.LBB844_1158:                           ;   in Loop: Header=BB844_990 Depth=2
	s_or_b32 exec_lo, exec_lo, s33
	s_and_saveexec_b32 s33, s27
	s_cbranch_execz .LBB844_1128
.LBB844_1159:                           ;   in Loop: Header=BB844_990 Depth=2
	ds_load_b64 v[36:37], v110 offset:22528
	s_waitcnt lgkmcnt(0)
	v_lshrrev_b64 v[36:37], s40, v[36:37]
	s_delay_alu instid0(VALU_DEP_1)
	v_and_b32_e32 v165, s42, v36
	s_or_b32 exec_lo, exec_lo, s33
	s_and_saveexec_b32 s33, s28
	s_cbranch_execnz .LBB844_1129
.LBB844_1160:                           ;   in Loop: Header=BB844_990 Depth=2
	s_or_b32 exec_lo, exec_lo, s33
	s_and_saveexec_b32 s33, s29
	s_cbranch_execz .LBB844_1130
.LBB844_1161:                           ;   in Loop: Header=BB844_990 Depth=2
	ds_load_b64 v[36:37], v110 offset:26624
	s_waitcnt lgkmcnt(0)
	v_lshrrev_b64 v[36:37], s40, v[36:37]
	s_delay_alu instid0(VALU_DEP_1)
	v_and_b32_e32 v163, s42, v36
	s_or_b32 exec_lo, exec_lo, s33
	s_and_saveexec_b32 s33, s30
	s_cbranch_execnz .LBB844_1131
.LBB844_1162:                           ;   in Loop: Header=BB844_990 Depth=2
	s_or_b32 exec_lo, exec_lo, s33
	s_and_saveexec_b32 s33, s31
	s_cbranch_execz .LBB844_1164
.LBB844_1163:                           ;   in Loop: Header=BB844_990 Depth=2
	ds_load_b64 v[36:37], v110 offset:30720
	s_waitcnt lgkmcnt(0)
	v_lshrrev_b64 v[36:37], s40, v[36:37]
	s_delay_alu instid0(VALU_DEP_1)
	v_and_b32_e32 v161, s42, v36
.LBB844_1164:                           ;   in Loop: Header=BB844_990 Depth=2
	s_or_b32 exec_lo, exec_lo, s33
	v_add_nc_u32_e32 v2, 0x400, v69
	v_add_nc_u32_e32 v36, 0x400, v70
	;; [unrolled: 1-line block ×16, first 2 shown]
	s_waitcnt vmcnt(0)
	s_waitcnt_vscnt null, 0x0
	s_barrier
	buffer_gl0_inv
	ds_store_b64 v2, v[34:35]
	ds_store_b64 v36, v[32:33]
	;; [unrolled: 1-line block ×16, first 2 shown]
	s_waitcnt lgkmcnt(0)
	s_barrier
	buffer_gl0_inv
	s_and_saveexec_b32 s33, vcc_lo
	s_cbranch_execz .LBB844_1180
; %bb.1165:                             ;   in Loop: Header=BB844_990 Depth=2
	v_lshlrev_b32_e32 v2, 2, v176
	ds_load_b32 v2, v2
	ds_load_b64 v[36:37], v38 offset:1024
	s_waitcnt lgkmcnt(1)
	v_add_nc_u32_e32 v2, v2, v1
	s_delay_alu instid0(VALU_DEP_1) | instskip(NEXT) | instid1(VALU_DEP_1)
	v_lshlrev_b64 v[38:39], 3, v[2:3]
	v_add_co_u32 v38, vcc_lo, s54, v38
	s_delay_alu instid0(VALU_DEP_2)
	v_add_co_ci_u32_e32 v39, vcc_lo, s55, v39, vcc_lo
	s_waitcnt lgkmcnt(0)
	global_store_b64 v[38:39], v[36:37], off
	s_or_b32 exec_lo, exec_lo, s33
	s_and_saveexec_b32 s33, s17
	s_cbranch_execnz .LBB844_1181
.LBB844_1166:                           ;   in Loop: Header=BB844_990 Depth=2
	s_or_b32 exec_lo, exec_lo, s33
	s_and_saveexec_b32 s17, s18
	s_cbranch_execz .LBB844_1182
.LBB844_1167:                           ;   in Loop: Header=BB844_990 Depth=2
	v_lshlrev_b32_e32 v2, 2, v174
	ds_load_b32 v2, v2
	ds_load_b64 v[36:37], v110 offset:4096
	s_waitcnt lgkmcnt(1)
	v_add_nc_u32_e32 v2, v2, v78
	s_delay_alu instid0(VALU_DEP_1) | instskip(NEXT) | instid1(VALU_DEP_1)
	v_lshlrev_b64 v[38:39], 3, v[2:3]
	v_add_co_u32 v38, vcc_lo, s54, v38
	s_delay_alu instid0(VALU_DEP_2)
	v_add_co_ci_u32_e32 v39, vcc_lo, s55, v39, vcc_lo
	s_waitcnt lgkmcnt(0)
	global_store_b64 v[38:39], v[36:37], off
	s_or_b32 exec_lo, exec_lo, s17
	s_and_saveexec_b32 s17, s19
	s_cbranch_execnz .LBB844_1183
.LBB844_1168:                           ;   in Loop: Header=BB844_990 Depth=2
	s_or_b32 exec_lo, exec_lo, s17
	s_and_saveexec_b32 s17, s20
	s_cbranch_execz .LBB844_1184
.LBB844_1169:                           ;   in Loop: Header=BB844_990 Depth=2
	v_lshlrev_b32_e32 v2, 2, v172
	ds_load_b32 v2, v2
	ds_load_b64 v[36:37], v110 offset:8192
	s_waitcnt lgkmcnt(1)
	v_add_nc_u32_e32 v2, v2, v83
	s_delay_alu instid0(VALU_DEP_1) | instskip(NEXT) | instid1(VALU_DEP_1)
	v_lshlrev_b64 v[38:39], 3, v[2:3]
	v_add_co_u32 v38, vcc_lo, s54, v38
	s_delay_alu instid0(VALU_DEP_2)
	v_add_co_ci_u32_e32 v39, vcc_lo, s55, v39, vcc_lo
	s_waitcnt lgkmcnt(0)
	global_store_b64 v[38:39], v[36:37], off
	s_or_b32 exec_lo, exec_lo, s17
	s_and_saveexec_b32 s17, s21
	s_cbranch_execnz .LBB844_1185
.LBB844_1170:                           ;   in Loop: Header=BB844_990 Depth=2
	s_or_b32 exec_lo, exec_lo, s17
	s_and_saveexec_b32 s17, s22
	s_cbranch_execz .LBB844_1186
.LBB844_1171:                           ;   in Loop: Header=BB844_990 Depth=2
	v_lshlrev_b32_e32 v2, 2, v170
	ds_load_b32 v2, v2
	ds_load_b64 v[36:37], v110 offset:12288
	s_waitcnt lgkmcnt(1)
	v_add_nc_u32_e32 v2, v2, v85
	s_delay_alu instid0(VALU_DEP_1) | instskip(NEXT) | instid1(VALU_DEP_1)
	v_lshlrev_b64 v[38:39], 3, v[2:3]
	v_add_co_u32 v38, vcc_lo, s54, v38
	s_delay_alu instid0(VALU_DEP_2)
	v_add_co_ci_u32_e32 v39, vcc_lo, s55, v39, vcc_lo
	s_waitcnt lgkmcnt(0)
	global_store_b64 v[38:39], v[36:37], off
	s_or_b32 exec_lo, exec_lo, s17
	s_and_saveexec_b32 s17, s23
	s_cbranch_execnz .LBB844_1187
.LBB844_1172:                           ;   in Loop: Header=BB844_990 Depth=2
	s_or_b32 exec_lo, exec_lo, s17
	s_and_saveexec_b32 s17, s24
	s_cbranch_execz .LBB844_1188
.LBB844_1173:                           ;   in Loop: Header=BB844_990 Depth=2
	v_lshlrev_b32_e32 v2, 2, v168
	ds_load_b32 v2, v2
	ds_load_b64 v[36:37], v110 offset:16384
	s_waitcnt lgkmcnt(1)
	v_add_nc_u32_e32 v2, v2, v87
	s_delay_alu instid0(VALU_DEP_1) | instskip(NEXT) | instid1(VALU_DEP_1)
	v_lshlrev_b64 v[38:39], 3, v[2:3]
	v_add_co_u32 v38, vcc_lo, s54, v38
	s_delay_alu instid0(VALU_DEP_2)
	v_add_co_ci_u32_e32 v39, vcc_lo, s55, v39, vcc_lo
	s_waitcnt lgkmcnt(0)
	global_store_b64 v[38:39], v[36:37], off
	s_or_b32 exec_lo, exec_lo, s17
	s_and_saveexec_b32 s17, s25
	s_cbranch_execnz .LBB844_1189
.LBB844_1174:                           ;   in Loop: Header=BB844_990 Depth=2
	s_or_b32 exec_lo, exec_lo, s17
	s_and_saveexec_b32 s17, s26
	s_cbranch_execz .LBB844_1190
.LBB844_1175:                           ;   in Loop: Header=BB844_990 Depth=2
	v_lshlrev_b32_e32 v2, 2, v166
	ds_load_b32 v2, v2
	ds_load_b64 v[36:37], v110 offset:20480
	s_waitcnt lgkmcnt(1)
	v_add_nc_u32_e32 v2, v2, v89
	s_delay_alu instid0(VALU_DEP_1) | instskip(NEXT) | instid1(VALU_DEP_1)
	v_lshlrev_b64 v[38:39], 3, v[2:3]
	v_add_co_u32 v38, vcc_lo, s54, v38
	s_delay_alu instid0(VALU_DEP_2)
	v_add_co_ci_u32_e32 v39, vcc_lo, s55, v39, vcc_lo
	s_waitcnt lgkmcnt(0)
	global_store_b64 v[38:39], v[36:37], off
	s_or_b32 exec_lo, exec_lo, s17
	s_and_saveexec_b32 s17, s27
	s_cbranch_execnz .LBB844_1191
.LBB844_1176:                           ;   in Loop: Header=BB844_990 Depth=2
	s_or_b32 exec_lo, exec_lo, s17
	s_and_saveexec_b32 s17, s28
	s_cbranch_execz .LBB844_1192
.LBB844_1177:                           ;   in Loop: Header=BB844_990 Depth=2
	v_lshlrev_b32_e32 v2, 2, v164
	ds_load_b32 v2, v2
	ds_load_b64 v[36:37], v110 offset:24576
	s_waitcnt lgkmcnt(1)
	v_add_nc_u32_e32 v2, v2, v91
	s_delay_alu instid0(VALU_DEP_1) | instskip(NEXT) | instid1(VALU_DEP_1)
	v_lshlrev_b64 v[38:39], 3, v[2:3]
	v_add_co_u32 v38, vcc_lo, s54, v38
	s_delay_alu instid0(VALU_DEP_2)
	v_add_co_ci_u32_e32 v39, vcc_lo, s55, v39, vcc_lo
	s_waitcnt lgkmcnt(0)
	global_store_b64 v[38:39], v[36:37], off
	s_or_b32 exec_lo, exec_lo, s17
	s_and_saveexec_b32 s17, s29
	s_cbranch_execnz .LBB844_1193
.LBB844_1178:                           ;   in Loop: Header=BB844_990 Depth=2
	s_or_b32 exec_lo, exec_lo, s17
	s_and_saveexec_b32 s17, s30
	s_cbranch_execz .LBB844_1194
.LBB844_1179:                           ;   in Loop: Header=BB844_990 Depth=2
	v_lshlrev_b32_e32 v2, 2, v162
	ds_load_b32 v2, v2
	ds_load_b64 v[36:37], v110 offset:28672
	s_waitcnt lgkmcnt(1)
	v_add_nc_u32_e32 v2, v2, v93
	s_delay_alu instid0(VALU_DEP_1) | instskip(NEXT) | instid1(VALU_DEP_1)
	v_lshlrev_b64 v[38:39], 3, v[2:3]
	v_add_co_u32 v38, vcc_lo, s54, v38
	s_delay_alu instid0(VALU_DEP_2)
	v_add_co_ci_u32_e32 v39, vcc_lo, s55, v39, vcc_lo
	s_waitcnt lgkmcnt(0)
	global_store_b64 v[38:39], v[36:37], off
	s_or_b32 exec_lo, exec_lo, s17
	s_and_saveexec_b32 s17, s31
	s_cbranch_execnz .LBB844_1195
	s_branch .LBB844_1196
.LBB844_1180:                           ;   in Loop: Header=BB844_990 Depth=2
	s_or_b32 exec_lo, exec_lo, s33
	s_and_saveexec_b32 s33, s17
	s_cbranch_execz .LBB844_1166
.LBB844_1181:                           ;   in Loop: Header=BB844_990 Depth=2
	v_lshlrev_b32_e32 v2, 2, v175
	ds_load_b32 v2, v2
	ds_load_b64 v[36:37], v110 offset:2048
	s_waitcnt lgkmcnt(1)
	v_add_nc_u32_e32 v2, v2, v77
	s_delay_alu instid0(VALU_DEP_1) | instskip(NEXT) | instid1(VALU_DEP_1)
	v_lshlrev_b64 v[38:39], 3, v[2:3]
	v_add_co_u32 v38, vcc_lo, s54, v38
	s_delay_alu instid0(VALU_DEP_2)
	v_add_co_ci_u32_e32 v39, vcc_lo, s55, v39, vcc_lo
	s_waitcnt lgkmcnt(0)
	global_store_b64 v[38:39], v[36:37], off
	s_or_b32 exec_lo, exec_lo, s33
	s_and_saveexec_b32 s17, s18
	s_cbranch_execnz .LBB844_1167
.LBB844_1182:                           ;   in Loop: Header=BB844_990 Depth=2
	s_or_b32 exec_lo, exec_lo, s17
	s_and_saveexec_b32 s17, s19
	s_cbranch_execz .LBB844_1168
.LBB844_1183:                           ;   in Loop: Header=BB844_990 Depth=2
	v_lshlrev_b32_e32 v2, 2, v173
	ds_load_b32 v2, v2
	ds_load_b64 v[36:37], v110 offset:6144
	s_waitcnt lgkmcnt(1)
	v_add_nc_u32_e32 v2, v2, v79
	s_delay_alu instid0(VALU_DEP_1) | instskip(NEXT) | instid1(VALU_DEP_1)
	v_lshlrev_b64 v[38:39], 3, v[2:3]
	v_add_co_u32 v38, vcc_lo, s54, v38
	s_delay_alu instid0(VALU_DEP_2)
	v_add_co_ci_u32_e32 v39, vcc_lo, s55, v39, vcc_lo
	s_waitcnt lgkmcnt(0)
	global_store_b64 v[38:39], v[36:37], off
	s_or_b32 exec_lo, exec_lo, s17
	s_and_saveexec_b32 s17, s20
	s_cbranch_execnz .LBB844_1169
.LBB844_1184:                           ;   in Loop: Header=BB844_990 Depth=2
	s_or_b32 exec_lo, exec_lo, s17
	s_and_saveexec_b32 s17, s21
	s_cbranch_execz .LBB844_1170
.LBB844_1185:                           ;   in Loop: Header=BB844_990 Depth=2
	v_lshlrev_b32_e32 v2, 2, v171
	ds_load_b32 v2, v2
	ds_load_b64 v[36:37], v110 offset:10240
	s_waitcnt lgkmcnt(1)
	v_add_nc_u32_e32 v2, v2, v84
	s_delay_alu instid0(VALU_DEP_1) | instskip(NEXT) | instid1(VALU_DEP_1)
	v_lshlrev_b64 v[38:39], 3, v[2:3]
	v_add_co_u32 v38, vcc_lo, s54, v38
	s_delay_alu instid0(VALU_DEP_2)
	v_add_co_ci_u32_e32 v39, vcc_lo, s55, v39, vcc_lo
	s_waitcnt lgkmcnt(0)
	global_store_b64 v[38:39], v[36:37], off
	s_or_b32 exec_lo, exec_lo, s17
	s_and_saveexec_b32 s17, s22
	s_cbranch_execnz .LBB844_1171
.LBB844_1186:                           ;   in Loop: Header=BB844_990 Depth=2
	s_or_b32 exec_lo, exec_lo, s17
	s_and_saveexec_b32 s17, s23
	s_cbranch_execz .LBB844_1172
.LBB844_1187:                           ;   in Loop: Header=BB844_990 Depth=2
	v_lshlrev_b32_e32 v2, 2, v169
	ds_load_b32 v2, v2
	ds_load_b64 v[36:37], v110 offset:14336
	s_waitcnt lgkmcnt(1)
	v_add_nc_u32_e32 v2, v2, v86
	s_delay_alu instid0(VALU_DEP_1) | instskip(NEXT) | instid1(VALU_DEP_1)
	v_lshlrev_b64 v[38:39], 3, v[2:3]
	v_add_co_u32 v38, vcc_lo, s54, v38
	s_delay_alu instid0(VALU_DEP_2)
	v_add_co_ci_u32_e32 v39, vcc_lo, s55, v39, vcc_lo
	s_waitcnt lgkmcnt(0)
	global_store_b64 v[38:39], v[36:37], off
	s_or_b32 exec_lo, exec_lo, s17
	s_and_saveexec_b32 s17, s24
	s_cbranch_execnz .LBB844_1173
.LBB844_1188:                           ;   in Loop: Header=BB844_990 Depth=2
	s_or_b32 exec_lo, exec_lo, s17
	s_and_saveexec_b32 s17, s25
	s_cbranch_execz .LBB844_1174
.LBB844_1189:                           ;   in Loop: Header=BB844_990 Depth=2
	v_lshlrev_b32_e32 v2, 2, v167
	ds_load_b32 v2, v2
	ds_load_b64 v[36:37], v110 offset:18432
	s_waitcnt lgkmcnt(1)
	v_add_nc_u32_e32 v2, v2, v88
	s_delay_alu instid0(VALU_DEP_1) | instskip(NEXT) | instid1(VALU_DEP_1)
	v_lshlrev_b64 v[38:39], 3, v[2:3]
	v_add_co_u32 v38, vcc_lo, s54, v38
	s_delay_alu instid0(VALU_DEP_2)
	v_add_co_ci_u32_e32 v39, vcc_lo, s55, v39, vcc_lo
	s_waitcnt lgkmcnt(0)
	global_store_b64 v[38:39], v[36:37], off
	s_or_b32 exec_lo, exec_lo, s17
	s_and_saveexec_b32 s17, s26
	s_cbranch_execnz .LBB844_1175
.LBB844_1190:                           ;   in Loop: Header=BB844_990 Depth=2
	s_or_b32 exec_lo, exec_lo, s17
	s_and_saveexec_b32 s17, s27
	s_cbranch_execz .LBB844_1176
.LBB844_1191:                           ;   in Loop: Header=BB844_990 Depth=2
	v_lshlrev_b32_e32 v2, 2, v165
	ds_load_b32 v2, v2
	ds_load_b64 v[36:37], v110 offset:22528
	s_waitcnt lgkmcnt(1)
	v_add_nc_u32_e32 v2, v2, v90
	s_delay_alu instid0(VALU_DEP_1) | instskip(NEXT) | instid1(VALU_DEP_1)
	v_lshlrev_b64 v[38:39], 3, v[2:3]
	v_add_co_u32 v38, vcc_lo, s54, v38
	s_delay_alu instid0(VALU_DEP_2)
	v_add_co_ci_u32_e32 v39, vcc_lo, s55, v39, vcc_lo
	s_waitcnt lgkmcnt(0)
	global_store_b64 v[38:39], v[36:37], off
	s_or_b32 exec_lo, exec_lo, s17
	s_and_saveexec_b32 s17, s28
	s_cbranch_execnz .LBB844_1177
.LBB844_1192:                           ;   in Loop: Header=BB844_990 Depth=2
	s_or_b32 exec_lo, exec_lo, s17
	s_and_saveexec_b32 s17, s29
	s_cbranch_execz .LBB844_1178
.LBB844_1193:                           ;   in Loop: Header=BB844_990 Depth=2
	v_lshlrev_b32_e32 v2, 2, v163
	ds_load_b32 v2, v2
	ds_load_b64 v[36:37], v110 offset:26624
	s_waitcnt lgkmcnt(1)
	v_add_nc_u32_e32 v2, v2, v92
	s_delay_alu instid0(VALU_DEP_1) | instskip(NEXT) | instid1(VALU_DEP_1)
	v_lshlrev_b64 v[38:39], 3, v[2:3]
	v_add_co_u32 v38, vcc_lo, s54, v38
	s_delay_alu instid0(VALU_DEP_2)
	v_add_co_ci_u32_e32 v39, vcc_lo, s55, v39, vcc_lo
	s_waitcnt lgkmcnt(0)
	global_store_b64 v[38:39], v[36:37], off
	s_or_b32 exec_lo, exec_lo, s17
	s_and_saveexec_b32 s17, s30
	s_cbranch_execnz .LBB844_1179
.LBB844_1194:                           ;   in Loop: Header=BB844_990 Depth=2
	s_or_b32 exec_lo, exec_lo, s17
	s_and_saveexec_b32 s17, s31
	s_cbranch_execz .LBB844_1196
.LBB844_1195:                           ;   in Loop: Header=BB844_990 Depth=2
	v_lshlrev_b32_e32 v2, 2, v161
	ds_load_b32 v2, v2
	ds_load_b64 v[36:37], v110 offset:30720
	s_waitcnt lgkmcnt(1)
	v_add_nc_u32_e32 v2, v2, v95
	s_delay_alu instid0(VALU_DEP_1) | instskip(NEXT) | instid1(VALU_DEP_1)
	v_lshlrev_b64 v[38:39], 3, v[2:3]
	v_add_co_u32 v38, vcc_lo, s54, v38
	s_delay_alu instid0(VALU_DEP_2)
	v_add_co_ci_u32_e32 v39, vcc_lo, s55, v39, vcc_lo
	s_waitcnt lgkmcnt(0)
	global_store_b64 v[38:39], v[36:37], off
.LBB844_1196:                           ;   in Loop: Header=BB844_990 Depth=2
	s_or_b32 exec_lo, exec_lo, s17
	s_waitcnt_vscnt null, 0x0
	s_barrier
	buffer_gl0_inv
	s_and_saveexec_b32 s17, s2
	s_cbranch_execz .LBB844_989
; %bb.1197:                             ;   in Loop: Header=BB844_990 Depth=2
	ds_load_b32 v2, v76
	s_waitcnt lgkmcnt(0)
	v_add_nc_u32_e32 v2, v2, v68
	ds_store_b32 v76, v2
	s_branch .LBB844_989
.LBB844_1198:
	s_endpgm
	.section	.rodata,"a",@progbits
	.p2align	6, 0x0
	.amdhsa_kernel _ZN7rocprim17ROCPRIM_400000_NS6detail17trampoline_kernelINS0_14default_configENS1_36segmented_radix_sort_config_selectorIllEEZNS1_25segmented_radix_sort_implIS3_Lb0EPKlPlS8_S9_N2at6native12_GLOBAL__N_18offset_tEEE10hipError_tPvRmT1_PNSt15iterator_traitsISH_E10value_typeET2_T3_PNSI_ISN_E10value_typeET4_jRbjT5_ST_jjP12ihipStream_tbEUlT_E2_NS1_11comp_targetILNS1_3genE9ELNS1_11target_archE1100ELNS1_3gpuE3ELNS1_3repE0EEENS1_30default_config_static_selectorELNS0_4arch9wavefront6targetE0EEEvSH_
		.amdhsa_group_segment_fixed_size 33824
		.amdhsa_private_segment_fixed_size 200
		.amdhsa_kernarg_size 336
		.amdhsa_user_sgpr_count 14
		.amdhsa_user_sgpr_dispatch_ptr 0
		.amdhsa_user_sgpr_queue_ptr 0
		.amdhsa_user_sgpr_kernarg_segment_ptr 1
		.amdhsa_user_sgpr_dispatch_id 0
		.amdhsa_user_sgpr_private_segment_size 0
		.amdhsa_wavefront_size32 1
		.amdhsa_uses_dynamic_stack 0
		.amdhsa_enable_private_segment 1
		.amdhsa_system_sgpr_workgroup_id_x 1
		.amdhsa_system_sgpr_workgroup_id_y 1
		.amdhsa_system_sgpr_workgroup_id_z 0
		.amdhsa_system_sgpr_workgroup_info 0
		.amdhsa_system_vgpr_workitem_id 2
		.amdhsa_next_free_vgpr 248
		.amdhsa_next_free_sgpr 66
		.amdhsa_reserve_vcc 1
		.amdhsa_float_round_mode_32 0
		.amdhsa_float_round_mode_16_64 0
		.amdhsa_float_denorm_mode_32 3
		.amdhsa_float_denorm_mode_16_64 3
		.amdhsa_dx10_clamp 1
		.amdhsa_ieee_mode 1
		.amdhsa_fp16_overflow 0
		.amdhsa_workgroup_processor_mode 1
		.amdhsa_memory_ordered 1
		.amdhsa_forward_progress 0
		.amdhsa_shared_vgpr_count 0
		.amdhsa_exception_fp_ieee_invalid_op 0
		.amdhsa_exception_fp_denorm_src 0
		.amdhsa_exception_fp_ieee_div_zero 0
		.amdhsa_exception_fp_ieee_overflow 0
		.amdhsa_exception_fp_ieee_underflow 0
		.amdhsa_exception_fp_ieee_inexact 0
		.amdhsa_exception_int_div_zero 0
	.end_amdhsa_kernel
	.section	.text._ZN7rocprim17ROCPRIM_400000_NS6detail17trampoline_kernelINS0_14default_configENS1_36segmented_radix_sort_config_selectorIllEEZNS1_25segmented_radix_sort_implIS3_Lb0EPKlPlS8_S9_N2at6native12_GLOBAL__N_18offset_tEEE10hipError_tPvRmT1_PNSt15iterator_traitsISH_E10value_typeET2_T3_PNSI_ISN_E10value_typeET4_jRbjT5_ST_jjP12ihipStream_tbEUlT_E2_NS1_11comp_targetILNS1_3genE9ELNS1_11target_archE1100ELNS1_3gpuE3ELNS1_3repE0EEENS1_30default_config_static_selectorELNS0_4arch9wavefront6targetE0EEEvSH_,"axG",@progbits,_ZN7rocprim17ROCPRIM_400000_NS6detail17trampoline_kernelINS0_14default_configENS1_36segmented_radix_sort_config_selectorIllEEZNS1_25segmented_radix_sort_implIS3_Lb0EPKlPlS8_S9_N2at6native12_GLOBAL__N_18offset_tEEE10hipError_tPvRmT1_PNSt15iterator_traitsISH_E10value_typeET2_T3_PNSI_ISN_E10value_typeET4_jRbjT5_ST_jjP12ihipStream_tbEUlT_E2_NS1_11comp_targetILNS1_3genE9ELNS1_11target_archE1100ELNS1_3gpuE3ELNS1_3repE0EEENS1_30default_config_static_selectorELNS0_4arch9wavefront6targetE0EEEvSH_,comdat
.Lfunc_end844:
	.size	_ZN7rocprim17ROCPRIM_400000_NS6detail17trampoline_kernelINS0_14default_configENS1_36segmented_radix_sort_config_selectorIllEEZNS1_25segmented_radix_sort_implIS3_Lb0EPKlPlS8_S9_N2at6native12_GLOBAL__N_18offset_tEEE10hipError_tPvRmT1_PNSt15iterator_traitsISH_E10value_typeET2_T3_PNSI_ISN_E10value_typeET4_jRbjT5_ST_jjP12ihipStream_tbEUlT_E2_NS1_11comp_targetILNS1_3genE9ELNS1_11target_archE1100ELNS1_3gpuE3ELNS1_3repE0EEENS1_30default_config_static_selectorELNS0_4arch9wavefront6targetE0EEEvSH_, .Lfunc_end844-_ZN7rocprim17ROCPRIM_400000_NS6detail17trampoline_kernelINS0_14default_configENS1_36segmented_radix_sort_config_selectorIllEEZNS1_25segmented_radix_sort_implIS3_Lb0EPKlPlS8_S9_N2at6native12_GLOBAL__N_18offset_tEEE10hipError_tPvRmT1_PNSt15iterator_traitsISH_E10value_typeET2_T3_PNSI_ISN_E10value_typeET4_jRbjT5_ST_jjP12ihipStream_tbEUlT_E2_NS1_11comp_targetILNS1_3genE9ELNS1_11target_archE1100ELNS1_3gpuE3ELNS1_3repE0EEENS1_30default_config_static_selectorELNS0_4arch9wavefront6targetE0EEEvSH_
                                        ; -- End function
	.section	.AMDGPU.csdata,"",@progbits
; Kernel info:
; codeLenInByte = 70808
; NumSgprs: 68
; NumVgprs: 248
; ScratchSize: 200
; MemoryBound: 0
; FloatMode: 240
; IeeeMode: 1
; LDSByteSize: 33824 bytes/workgroup (compile time only)
; SGPRBlocks: 8
; VGPRBlocks: 30
; NumSGPRsForWavesPerEU: 68
; NumVGPRsForWavesPerEU: 248
; Occupancy: 5
; WaveLimiterHint : 1
; COMPUTE_PGM_RSRC2:SCRATCH_EN: 1
; COMPUTE_PGM_RSRC2:USER_SGPR: 14
; COMPUTE_PGM_RSRC2:TRAP_HANDLER: 0
; COMPUTE_PGM_RSRC2:TGID_X_EN: 1
; COMPUTE_PGM_RSRC2:TGID_Y_EN: 1
; COMPUTE_PGM_RSRC2:TGID_Z_EN: 0
; COMPUTE_PGM_RSRC2:TIDIG_COMP_CNT: 2
	.section	.text._ZN7rocprim17ROCPRIM_400000_NS6detail17trampoline_kernelINS0_14default_configENS1_36segmented_radix_sort_config_selectorIllEEZNS1_25segmented_radix_sort_implIS3_Lb0EPKlPlS8_S9_N2at6native12_GLOBAL__N_18offset_tEEE10hipError_tPvRmT1_PNSt15iterator_traitsISH_E10value_typeET2_T3_PNSI_ISN_E10value_typeET4_jRbjT5_ST_jjP12ihipStream_tbEUlT_E2_NS1_11comp_targetILNS1_3genE8ELNS1_11target_archE1030ELNS1_3gpuE2ELNS1_3repE0EEENS1_30default_config_static_selectorELNS0_4arch9wavefront6targetE0EEEvSH_,"axG",@progbits,_ZN7rocprim17ROCPRIM_400000_NS6detail17trampoline_kernelINS0_14default_configENS1_36segmented_radix_sort_config_selectorIllEEZNS1_25segmented_radix_sort_implIS3_Lb0EPKlPlS8_S9_N2at6native12_GLOBAL__N_18offset_tEEE10hipError_tPvRmT1_PNSt15iterator_traitsISH_E10value_typeET2_T3_PNSI_ISN_E10value_typeET4_jRbjT5_ST_jjP12ihipStream_tbEUlT_E2_NS1_11comp_targetILNS1_3genE8ELNS1_11target_archE1030ELNS1_3gpuE2ELNS1_3repE0EEENS1_30default_config_static_selectorELNS0_4arch9wavefront6targetE0EEEvSH_,comdat
	.globl	_ZN7rocprim17ROCPRIM_400000_NS6detail17trampoline_kernelINS0_14default_configENS1_36segmented_radix_sort_config_selectorIllEEZNS1_25segmented_radix_sort_implIS3_Lb0EPKlPlS8_S9_N2at6native12_GLOBAL__N_18offset_tEEE10hipError_tPvRmT1_PNSt15iterator_traitsISH_E10value_typeET2_T3_PNSI_ISN_E10value_typeET4_jRbjT5_ST_jjP12ihipStream_tbEUlT_E2_NS1_11comp_targetILNS1_3genE8ELNS1_11target_archE1030ELNS1_3gpuE2ELNS1_3repE0EEENS1_30default_config_static_selectorELNS0_4arch9wavefront6targetE0EEEvSH_ ; -- Begin function _ZN7rocprim17ROCPRIM_400000_NS6detail17trampoline_kernelINS0_14default_configENS1_36segmented_radix_sort_config_selectorIllEEZNS1_25segmented_radix_sort_implIS3_Lb0EPKlPlS8_S9_N2at6native12_GLOBAL__N_18offset_tEEE10hipError_tPvRmT1_PNSt15iterator_traitsISH_E10value_typeET2_T3_PNSI_ISN_E10value_typeET4_jRbjT5_ST_jjP12ihipStream_tbEUlT_E2_NS1_11comp_targetILNS1_3genE8ELNS1_11target_archE1030ELNS1_3gpuE2ELNS1_3repE0EEENS1_30default_config_static_selectorELNS0_4arch9wavefront6targetE0EEEvSH_
	.p2align	8
	.type	_ZN7rocprim17ROCPRIM_400000_NS6detail17trampoline_kernelINS0_14default_configENS1_36segmented_radix_sort_config_selectorIllEEZNS1_25segmented_radix_sort_implIS3_Lb0EPKlPlS8_S9_N2at6native12_GLOBAL__N_18offset_tEEE10hipError_tPvRmT1_PNSt15iterator_traitsISH_E10value_typeET2_T3_PNSI_ISN_E10value_typeET4_jRbjT5_ST_jjP12ihipStream_tbEUlT_E2_NS1_11comp_targetILNS1_3genE8ELNS1_11target_archE1030ELNS1_3gpuE2ELNS1_3repE0EEENS1_30default_config_static_selectorELNS0_4arch9wavefront6targetE0EEEvSH_,@function
_ZN7rocprim17ROCPRIM_400000_NS6detail17trampoline_kernelINS0_14default_configENS1_36segmented_radix_sort_config_selectorIllEEZNS1_25segmented_radix_sort_implIS3_Lb0EPKlPlS8_S9_N2at6native12_GLOBAL__N_18offset_tEEE10hipError_tPvRmT1_PNSt15iterator_traitsISH_E10value_typeET2_T3_PNSI_ISN_E10value_typeET4_jRbjT5_ST_jjP12ihipStream_tbEUlT_E2_NS1_11comp_targetILNS1_3genE8ELNS1_11target_archE1030ELNS1_3gpuE2ELNS1_3repE0EEENS1_30default_config_static_selectorELNS0_4arch9wavefront6targetE0EEEvSH_: ; @_ZN7rocprim17ROCPRIM_400000_NS6detail17trampoline_kernelINS0_14default_configENS1_36segmented_radix_sort_config_selectorIllEEZNS1_25segmented_radix_sort_implIS3_Lb0EPKlPlS8_S9_N2at6native12_GLOBAL__N_18offset_tEEE10hipError_tPvRmT1_PNSt15iterator_traitsISH_E10value_typeET2_T3_PNSI_ISN_E10value_typeET4_jRbjT5_ST_jjP12ihipStream_tbEUlT_E2_NS1_11comp_targetILNS1_3genE8ELNS1_11target_archE1030ELNS1_3gpuE2ELNS1_3repE0EEENS1_30default_config_static_selectorELNS0_4arch9wavefront6targetE0EEEvSH_
; %bb.0:
	.section	.rodata,"a",@progbits
	.p2align	6, 0x0
	.amdhsa_kernel _ZN7rocprim17ROCPRIM_400000_NS6detail17trampoline_kernelINS0_14default_configENS1_36segmented_radix_sort_config_selectorIllEEZNS1_25segmented_radix_sort_implIS3_Lb0EPKlPlS8_S9_N2at6native12_GLOBAL__N_18offset_tEEE10hipError_tPvRmT1_PNSt15iterator_traitsISH_E10value_typeET2_T3_PNSI_ISN_E10value_typeET4_jRbjT5_ST_jjP12ihipStream_tbEUlT_E2_NS1_11comp_targetILNS1_3genE8ELNS1_11target_archE1030ELNS1_3gpuE2ELNS1_3repE0EEENS1_30default_config_static_selectorELNS0_4arch9wavefront6targetE0EEEvSH_
		.amdhsa_group_segment_fixed_size 0
		.amdhsa_private_segment_fixed_size 0
		.amdhsa_kernarg_size 80
		.amdhsa_user_sgpr_count 15
		.amdhsa_user_sgpr_dispatch_ptr 0
		.amdhsa_user_sgpr_queue_ptr 0
		.amdhsa_user_sgpr_kernarg_segment_ptr 1
		.amdhsa_user_sgpr_dispatch_id 0
		.amdhsa_user_sgpr_private_segment_size 0
		.amdhsa_wavefront_size32 1
		.amdhsa_uses_dynamic_stack 0
		.amdhsa_enable_private_segment 0
		.amdhsa_system_sgpr_workgroup_id_x 1
		.amdhsa_system_sgpr_workgroup_id_y 0
		.amdhsa_system_sgpr_workgroup_id_z 0
		.amdhsa_system_sgpr_workgroup_info 0
		.amdhsa_system_vgpr_workitem_id 0
		.amdhsa_next_free_vgpr 1
		.amdhsa_next_free_sgpr 1
		.amdhsa_reserve_vcc 0
		.amdhsa_float_round_mode_32 0
		.amdhsa_float_round_mode_16_64 0
		.amdhsa_float_denorm_mode_32 3
		.amdhsa_float_denorm_mode_16_64 3
		.amdhsa_dx10_clamp 1
		.amdhsa_ieee_mode 1
		.amdhsa_fp16_overflow 0
		.amdhsa_workgroup_processor_mode 1
		.amdhsa_memory_ordered 1
		.amdhsa_forward_progress 0
		.amdhsa_shared_vgpr_count 0
		.amdhsa_exception_fp_ieee_invalid_op 0
		.amdhsa_exception_fp_denorm_src 0
		.amdhsa_exception_fp_ieee_div_zero 0
		.amdhsa_exception_fp_ieee_overflow 0
		.amdhsa_exception_fp_ieee_underflow 0
		.amdhsa_exception_fp_ieee_inexact 0
		.amdhsa_exception_int_div_zero 0
	.end_amdhsa_kernel
	.section	.text._ZN7rocprim17ROCPRIM_400000_NS6detail17trampoline_kernelINS0_14default_configENS1_36segmented_radix_sort_config_selectorIllEEZNS1_25segmented_radix_sort_implIS3_Lb0EPKlPlS8_S9_N2at6native12_GLOBAL__N_18offset_tEEE10hipError_tPvRmT1_PNSt15iterator_traitsISH_E10value_typeET2_T3_PNSI_ISN_E10value_typeET4_jRbjT5_ST_jjP12ihipStream_tbEUlT_E2_NS1_11comp_targetILNS1_3genE8ELNS1_11target_archE1030ELNS1_3gpuE2ELNS1_3repE0EEENS1_30default_config_static_selectorELNS0_4arch9wavefront6targetE0EEEvSH_,"axG",@progbits,_ZN7rocprim17ROCPRIM_400000_NS6detail17trampoline_kernelINS0_14default_configENS1_36segmented_radix_sort_config_selectorIllEEZNS1_25segmented_radix_sort_implIS3_Lb0EPKlPlS8_S9_N2at6native12_GLOBAL__N_18offset_tEEE10hipError_tPvRmT1_PNSt15iterator_traitsISH_E10value_typeET2_T3_PNSI_ISN_E10value_typeET4_jRbjT5_ST_jjP12ihipStream_tbEUlT_E2_NS1_11comp_targetILNS1_3genE8ELNS1_11target_archE1030ELNS1_3gpuE2ELNS1_3repE0EEENS1_30default_config_static_selectorELNS0_4arch9wavefront6targetE0EEEvSH_,comdat
.Lfunc_end845:
	.size	_ZN7rocprim17ROCPRIM_400000_NS6detail17trampoline_kernelINS0_14default_configENS1_36segmented_radix_sort_config_selectorIllEEZNS1_25segmented_radix_sort_implIS3_Lb0EPKlPlS8_S9_N2at6native12_GLOBAL__N_18offset_tEEE10hipError_tPvRmT1_PNSt15iterator_traitsISH_E10value_typeET2_T3_PNSI_ISN_E10value_typeET4_jRbjT5_ST_jjP12ihipStream_tbEUlT_E2_NS1_11comp_targetILNS1_3genE8ELNS1_11target_archE1030ELNS1_3gpuE2ELNS1_3repE0EEENS1_30default_config_static_selectorELNS0_4arch9wavefront6targetE0EEEvSH_, .Lfunc_end845-_ZN7rocprim17ROCPRIM_400000_NS6detail17trampoline_kernelINS0_14default_configENS1_36segmented_radix_sort_config_selectorIllEEZNS1_25segmented_radix_sort_implIS3_Lb0EPKlPlS8_S9_N2at6native12_GLOBAL__N_18offset_tEEE10hipError_tPvRmT1_PNSt15iterator_traitsISH_E10value_typeET2_T3_PNSI_ISN_E10value_typeET4_jRbjT5_ST_jjP12ihipStream_tbEUlT_E2_NS1_11comp_targetILNS1_3genE8ELNS1_11target_archE1030ELNS1_3gpuE2ELNS1_3repE0EEENS1_30default_config_static_selectorELNS0_4arch9wavefront6targetE0EEEvSH_
                                        ; -- End function
	.section	.AMDGPU.csdata,"",@progbits
; Kernel info:
; codeLenInByte = 0
; NumSgprs: 0
; NumVgprs: 0
; ScratchSize: 0
; MemoryBound: 0
; FloatMode: 240
; IeeeMode: 1
; LDSByteSize: 0 bytes/workgroup (compile time only)
; SGPRBlocks: 0
; VGPRBlocks: 0
; NumSGPRsForWavesPerEU: 1
; NumVGPRsForWavesPerEU: 1
; Occupancy: 16
; WaveLimiterHint : 0
; COMPUTE_PGM_RSRC2:SCRATCH_EN: 0
; COMPUTE_PGM_RSRC2:USER_SGPR: 15
; COMPUTE_PGM_RSRC2:TRAP_HANDLER: 0
; COMPUTE_PGM_RSRC2:TGID_X_EN: 1
; COMPUTE_PGM_RSRC2:TGID_Y_EN: 0
; COMPUTE_PGM_RSRC2:TGID_Z_EN: 0
; COMPUTE_PGM_RSRC2:TIDIG_COMP_CNT: 0
	.section	.text._ZN2at6native12_GLOBAL__N_123sort_postprocess_kernelIsEEvPKT_PS3_PlPK15HIP_vector_typeIiLj2EEii,"axG",@progbits,_ZN2at6native12_GLOBAL__N_123sort_postprocess_kernelIsEEvPKT_PS3_PlPK15HIP_vector_typeIiLj2EEii,comdat
	.globl	_ZN2at6native12_GLOBAL__N_123sort_postprocess_kernelIsEEvPKT_PS3_PlPK15HIP_vector_typeIiLj2EEii ; -- Begin function _ZN2at6native12_GLOBAL__N_123sort_postprocess_kernelIsEEvPKT_PS3_PlPK15HIP_vector_typeIiLj2EEii
	.p2align	8
	.type	_ZN2at6native12_GLOBAL__N_123sort_postprocess_kernelIsEEvPKT_PS3_PlPK15HIP_vector_typeIiLj2EEii,@function
_ZN2at6native12_GLOBAL__N_123sort_postprocess_kernelIsEEvPKT_PS3_PlPK15HIP_vector_typeIiLj2EEii: ; @_ZN2at6native12_GLOBAL__N_123sort_postprocess_kernelIsEEvPKT_PS3_PlPK15HIP_vector_typeIiLj2EEii
; %bb.0:
	s_clause 0x1
	s_load_b32 s2, s[0:1], 0x34
	s_load_b64 s[6:7], s[0:1], 0x20
	v_mov_b32_e32 v1, 0
	s_add_u32 s4, s0, 40
	s_addc_u32 s5, s1, 0
	s_waitcnt lgkmcnt(0)
	s_and_b32 s13, s2, 0xffff
	s_mul_i32 s2, s7, s6
	v_mad_u64_u32 v[2:3], null, s13, s15, v[0:1]
	s_ashr_i32 s3, s2, 31
	s_mov_b32 s6, exec_lo
	s_delay_alu instid0(VALU_DEP_1)
	v_cmpx_gt_i64_e64 s[2:3], v[2:3]
	s_cbranch_execz .LBB846_3
; %bb.1:
	s_abs_i32 s12, s7
	s_load_b32 s14, s[4:5], 0x0
	v_cvt_f32_u32_e32 v0, s12
	s_sub_i32 s4, 0, s12
	s_delay_alu instid0(VALU_DEP_1) | instskip(SKIP_2) | instid1(VALU_DEP_1)
	v_rcp_iflag_f32_e32 v0, v0
	s_waitcnt_depctr 0xfff
	v_mul_f32_e32 v0, 0x4f7ffffe, v0
	v_cvt_u32_f32_e32 v0, v0
	s_delay_alu instid0(VALU_DEP_1) | instskip(SKIP_4) | instid1(VALU_DEP_1)
	v_mul_lo_u32 v1, s4, v0
	s_load_b256 s[4:11], s[0:1], 0x0
	s_waitcnt lgkmcnt(0)
	s_mul_i32 s1, s14, s13
	s_mov_b32 s13, 0
	v_mul_hi_u32 v1, v0, v1
	s_delay_alu instid0(VALU_DEP_1)
	v_add_nc_u32_e32 v0, v0, v1
.LBB846_2:                              ; =>This Inner Loop Header: Depth=1
	v_sub_nc_u32_e32 v1, 0, v2
	v_ashrrev_i32_e32 v5, 31, v2
	s_delay_alu instid0(VALU_DEP_2) | instskip(NEXT) | instid1(VALU_DEP_1)
	v_max_i32_e32 v1, v2, v1
	v_mul_hi_u32 v4, v1, v0
	s_delay_alu instid0(VALU_DEP_1) | instskip(NEXT) | instid1(VALU_DEP_1)
	v_mul_lo_u32 v4, v4, s12
	v_sub_nc_u32_e32 v1, v1, v4
	s_delay_alu instid0(VALU_DEP_1) | instskip(SKIP_1) | instid1(VALU_DEP_2)
	v_subrev_nc_u32_e32 v4, s12, v1
	v_cmp_le_u32_e32 vcc_lo, s12, v1
	v_dual_cndmask_b32 v1, v1, v4 :: v_dual_add_nc_u32 v6, v2, v5
	s_delay_alu instid0(VALU_DEP_1) | instskip(SKIP_1) | instid1(VALU_DEP_2)
	v_subrev_nc_u32_e32 v4, s12, v1
	v_cmp_le_u32_e32 vcc_lo, s12, v1
	v_cndmask_b32_e32 v1, v1, v4, vcc_lo
	s_delay_alu instid0(VALU_DEP_1) | instskip(NEXT) | instid1(VALU_DEP_1)
	v_xor_b32_e32 v1, v1, v5
	v_sub_nc_u32_e32 v4, v6, v1
	v_sub_nc_u32_e32 v6, v1, v5
	s_delay_alu instid0(VALU_DEP_2) | instskip(NEXT) | instid1(VALU_DEP_2)
	v_ashrrev_i32_e32 v5, 31, v4
	v_ashrrev_i32_e32 v7, 31, v6
	s_delay_alu instid0(VALU_DEP_2) | instskip(NEXT) | instid1(VALU_DEP_2)
	v_lshlrev_b64 v[8:9], 3, v[4:5]
	v_lshlrev_b64 v[10:11], 3, v[6:7]
	;; [unrolled: 1-line block ×4, first 2 shown]
	s_delay_alu instid0(VALU_DEP_4) | instskip(SKIP_2) | instid1(VALU_DEP_3)
	v_add_co_u32 v1, vcc_lo, s10, v8
	v_add_co_ci_u32_e32 v13, vcc_lo, s11, v9, vcc_lo
	v_add_co_u32 v8, s0, s8, v8
	v_add_co_u32 v12, vcc_lo, v1, v10
	s_delay_alu instid0(VALU_DEP_3)
	v_add_co_ci_u32_e32 v13, vcc_lo, v13, v11, vcc_lo
	v_add_co_u32 v1, vcc_lo, s4, v4
	v_add_co_ci_u32_e32 v16, vcc_lo, s5, v5, vcc_lo
	global_load_b32 v12, v[12:13], off offset:4
	v_add_co_ci_u32_e64 v9, s0, s9, v9, s0
	s_waitcnt vmcnt(0)
	v_ashrrev_i32_e32 v13, 31, v12
	s_delay_alu instid0(VALU_DEP_1) | instskip(NEXT) | instid1(VALU_DEP_1)
	v_lshlrev_b64 v[14:15], 1, v[12:13]
	v_add_co_u32 v14, vcc_lo, v1, v14
	s_delay_alu instid0(VALU_DEP_2) | instskip(SKIP_4) | instid1(VALU_DEP_1)
	v_add_co_ci_u32_e32 v15, vcc_lo, v16, v15, vcc_lo
	v_add_co_u32 v2, vcc_lo, v2, s1
	v_add_co_ci_u32_e32 v3, vcc_lo, 0, v3, vcc_lo
	global_load_u16 v1, v[14:15], off
	v_add_co_u32 v14, s0, s6, v4
	v_add_co_ci_u32_e64 v15, s0, s7, v5, s0
	v_add_co_u32 v4, s0, v8, v10
	v_cmp_le_i64_e32 vcc_lo, s[2:3], v[2:3]
	v_add_co_ci_u32_e64 v5, s0, v9, v11, s0
	v_add_co_u32 v6, s0, v14, v6
	s_delay_alu instid0(VALU_DEP_1)
	v_add_co_ci_u32_e64 v7, s0, v15, v7, s0
	s_or_b32 s13, vcc_lo, s13
	global_store_b64 v[4:5], v[12:13], off
	s_waitcnt vmcnt(0)
	global_store_b16 v[6:7], v1, off
	s_and_not1_b32 exec_lo, exec_lo, s13
	s_cbranch_execnz .LBB846_2
.LBB846_3:
	s_nop 0
	s_sendmsg sendmsg(MSG_DEALLOC_VGPRS)
	s_endpgm
	.section	.rodata,"a",@progbits
	.p2align	6, 0x0
	.amdhsa_kernel _ZN2at6native12_GLOBAL__N_123sort_postprocess_kernelIsEEvPKT_PS3_PlPK15HIP_vector_typeIiLj2EEii
		.amdhsa_group_segment_fixed_size 0
		.amdhsa_private_segment_fixed_size 0
		.amdhsa_kernarg_size 296
		.amdhsa_user_sgpr_count 15
		.amdhsa_user_sgpr_dispatch_ptr 0
		.amdhsa_user_sgpr_queue_ptr 0
		.amdhsa_user_sgpr_kernarg_segment_ptr 1
		.amdhsa_user_sgpr_dispatch_id 0
		.amdhsa_user_sgpr_private_segment_size 0
		.amdhsa_wavefront_size32 1
		.amdhsa_uses_dynamic_stack 0
		.amdhsa_enable_private_segment 0
		.amdhsa_system_sgpr_workgroup_id_x 1
		.amdhsa_system_sgpr_workgroup_id_y 0
		.amdhsa_system_sgpr_workgroup_id_z 0
		.amdhsa_system_sgpr_workgroup_info 0
		.amdhsa_system_vgpr_workitem_id 0
		.amdhsa_next_free_vgpr 17
		.amdhsa_next_free_sgpr 16
		.amdhsa_reserve_vcc 1
		.amdhsa_float_round_mode_32 0
		.amdhsa_float_round_mode_16_64 0
		.amdhsa_float_denorm_mode_32 3
		.amdhsa_float_denorm_mode_16_64 3
		.amdhsa_dx10_clamp 1
		.amdhsa_ieee_mode 1
		.amdhsa_fp16_overflow 0
		.amdhsa_workgroup_processor_mode 1
		.amdhsa_memory_ordered 1
		.amdhsa_forward_progress 0
		.amdhsa_shared_vgpr_count 0
		.amdhsa_exception_fp_ieee_invalid_op 0
		.amdhsa_exception_fp_denorm_src 0
		.amdhsa_exception_fp_ieee_div_zero 0
		.amdhsa_exception_fp_ieee_overflow 0
		.amdhsa_exception_fp_ieee_underflow 0
		.amdhsa_exception_fp_ieee_inexact 0
		.amdhsa_exception_int_div_zero 0
	.end_amdhsa_kernel
	.section	.text._ZN2at6native12_GLOBAL__N_123sort_postprocess_kernelIsEEvPKT_PS3_PlPK15HIP_vector_typeIiLj2EEii,"axG",@progbits,_ZN2at6native12_GLOBAL__N_123sort_postprocess_kernelIsEEvPKT_PS3_PlPK15HIP_vector_typeIiLj2EEii,comdat
.Lfunc_end846:
	.size	_ZN2at6native12_GLOBAL__N_123sort_postprocess_kernelIsEEvPKT_PS3_PlPK15HIP_vector_typeIiLj2EEii, .Lfunc_end846-_ZN2at6native12_GLOBAL__N_123sort_postprocess_kernelIsEEvPKT_PS3_PlPK15HIP_vector_typeIiLj2EEii
                                        ; -- End function
	.section	.AMDGPU.csdata,"",@progbits
; Kernel info:
; codeLenInByte = 536
; NumSgprs: 18
; NumVgprs: 17
; ScratchSize: 0
; MemoryBound: 0
; FloatMode: 240
; IeeeMode: 1
; LDSByteSize: 0 bytes/workgroup (compile time only)
; SGPRBlocks: 2
; VGPRBlocks: 2
; NumSGPRsForWavesPerEU: 18
; NumVGPRsForWavesPerEU: 17
; Occupancy: 16
; WaveLimiterHint : 1
; COMPUTE_PGM_RSRC2:SCRATCH_EN: 0
; COMPUTE_PGM_RSRC2:USER_SGPR: 15
; COMPUTE_PGM_RSRC2:TRAP_HANDLER: 0
; COMPUTE_PGM_RSRC2:TGID_X_EN: 1
; COMPUTE_PGM_RSRC2:TGID_Y_EN: 0
; COMPUTE_PGM_RSRC2:TGID_Z_EN: 0
; COMPUTE_PGM_RSRC2:TIDIG_COMP_CNT: 0
	.section	.text._ZN7rocprim17ROCPRIM_400000_NS6detail17trampoline_kernelINS0_13select_configILj256ELj13ELNS0_17block_load_methodE3ELS4_3ELS4_3ELNS0_20block_scan_algorithmE0ELj4294967295EEENS1_25partition_config_selectorILNS1_17partition_subalgoE4EjNS0_10empty_typeEbEEZZNS1_14partition_implILS8_4ELb0ES6_15HIP_vector_typeIjLj2EENS0_17counting_iteratorIjlEEPS9_SG_NS0_5tupleIJPjSI_NS0_16reverse_iteratorISI_EEEEENSH_IJSG_SG_SG_EEES9_SI_JZNS1_25segmented_radix_sort_implINS0_14default_configELb1EPKsPsPKlPlN2at6native12_GLOBAL__N_18offset_tEEE10hipError_tPvRmT1_PNSt15iterator_traitsIS12_E10value_typeET2_T3_PNS13_IS18_E10value_typeET4_jRbjT5_S1E_jjP12ihipStream_tbEUljE_ZNSN_ISO_Lb1ESQ_SR_ST_SU_SY_EESZ_S10_S11_S12_S16_S17_S18_S1B_S1C_jS1D_jS1E_S1E_jjS1G_bEUljE0_EEESZ_S10_S11_S18_S1C_S1E_T6_T7_T9_mT8_S1G_bDpT10_ENKUlT_T0_E_clISt17integral_constantIbLb0EES1U_EEDaS1P_S1Q_EUlS1P_E_NS1_11comp_targetILNS1_3genE0ELNS1_11target_archE4294967295ELNS1_3gpuE0ELNS1_3repE0EEENS1_30default_config_static_selectorELNS0_4arch9wavefront6targetE0EEEvS12_,"axG",@progbits,_ZN7rocprim17ROCPRIM_400000_NS6detail17trampoline_kernelINS0_13select_configILj256ELj13ELNS0_17block_load_methodE3ELS4_3ELS4_3ELNS0_20block_scan_algorithmE0ELj4294967295EEENS1_25partition_config_selectorILNS1_17partition_subalgoE4EjNS0_10empty_typeEbEEZZNS1_14partition_implILS8_4ELb0ES6_15HIP_vector_typeIjLj2EENS0_17counting_iteratorIjlEEPS9_SG_NS0_5tupleIJPjSI_NS0_16reverse_iteratorISI_EEEEENSH_IJSG_SG_SG_EEES9_SI_JZNS1_25segmented_radix_sort_implINS0_14default_configELb1EPKsPsPKlPlN2at6native12_GLOBAL__N_18offset_tEEE10hipError_tPvRmT1_PNSt15iterator_traitsIS12_E10value_typeET2_T3_PNS13_IS18_E10value_typeET4_jRbjT5_S1E_jjP12ihipStream_tbEUljE_ZNSN_ISO_Lb1ESQ_SR_ST_SU_SY_EESZ_S10_S11_S12_S16_S17_S18_S1B_S1C_jS1D_jS1E_S1E_jjS1G_bEUljE0_EEESZ_S10_S11_S18_S1C_S1E_T6_T7_T9_mT8_S1G_bDpT10_ENKUlT_T0_E_clISt17integral_constantIbLb0EES1U_EEDaS1P_S1Q_EUlS1P_E_NS1_11comp_targetILNS1_3genE0ELNS1_11target_archE4294967295ELNS1_3gpuE0ELNS1_3repE0EEENS1_30default_config_static_selectorELNS0_4arch9wavefront6targetE0EEEvS12_,comdat
	.globl	_ZN7rocprim17ROCPRIM_400000_NS6detail17trampoline_kernelINS0_13select_configILj256ELj13ELNS0_17block_load_methodE3ELS4_3ELS4_3ELNS0_20block_scan_algorithmE0ELj4294967295EEENS1_25partition_config_selectorILNS1_17partition_subalgoE4EjNS0_10empty_typeEbEEZZNS1_14partition_implILS8_4ELb0ES6_15HIP_vector_typeIjLj2EENS0_17counting_iteratorIjlEEPS9_SG_NS0_5tupleIJPjSI_NS0_16reverse_iteratorISI_EEEEENSH_IJSG_SG_SG_EEES9_SI_JZNS1_25segmented_radix_sort_implINS0_14default_configELb1EPKsPsPKlPlN2at6native12_GLOBAL__N_18offset_tEEE10hipError_tPvRmT1_PNSt15iterator_traitsIS12_E10value_typeET2_T3_PNS13_IS18_E10value_typeET4_jRbjT5_S1E_jjP12ihipStream_tbEUljE_ZNSN_ISO_Lb1ESQ_SR_ST_SU_SY_EESZ_S10_S11_S12_S16_S17_S18_S1B_S1C_jS1D_jS1E_S1E_jjS1G_bEUljE0_EEESZ_S10_S11_S18_S1C_S1E_T6_T7_T9_mT8_S1G_bDpT10_ENKUlT_T0_E_clISt17integral_constantIbLb0EES1U_EEDaS1P_S1Q_EUlS1P_E_NS1_11comp_targetILNS1_3genE0ELNS1_11target_archE4294967295ELNS1_3gpuE0ELNS1_3repE0EEENS1_30default_config_static_selectorELNS0_4arch9wavefront6targetE0EEEvS12_ ; -- Begin function _ZN7rocprim17ROCPRIM_400000_NS6detail17trampoline_kernelINS0_13select_configILj256ELj13ELNS0_17block_load_methodE3ELS4_3ELS4_3ELNS0_20block_scan_algorithmE0ELj4294967295EEENS1_25partition_config_selectorILNS1_17partition_subalgoE4EjNS0_10empty_typeEbEEZZNS1_14partition_implILS8_4ELb0ES6_15HIP_vector_typeIjLj2EENS0_17counting_iteratorIjlEEPS9_SG_NS0_5tupleIJPjSI_NS0_16reverse_iteratorISI_EEEEENSH_IJSG_SG_SG_EEES9_SI_JZNS1_25segmented_radix_sort_implINS0_14default_configELb1EPKsPsPKlPlN2at6native12_GLOBAL__N_18offset_tEEE10hipError_tPvRmT1_PNSt15iterator_traitsIS12_E10value_typeET2_T3_PNS13_IS18_E10value_typeET4_jRbjT5_S1E_jjP12ihipStream_tbEUljE_ZNSN_ISO_Lb1ESQ_SR_ST_SU_SY_EESZ_S10_S11_S12_S16_S17_S18_S1B_S1C_jS1D_jS1E_S1E_jjS1G_bEUljE0_EEESZ_S10_S11_S18_S1C_S1E_T6_T7_T9_mT8_S1G_bDpT10_ENKUlT_T0_E_clISt17integral_constantIbLb0EES1U_EEDaS1P_S1Q_EUlS1P_E_NS1_11comp_targetILNS1_3genE0ELNS1_11target_archE4294967295ELNS1_3gpuE0ELNS1_3repE0EEENS1_30default_config_static_selectorELNS0_4arch9wavefront6targetE0EEEvS12_
	.p2align	8
	.type	_ZN7rocprim17ROCPRIM_400000_NS6detail17trampoline_kernelINS0_13select_configILj256ELj13ELNS0_17block_load_methodE3ELS4_3ELS4_3ELNS0_20block_scan_algorithmE0ELj4294967295EEENS1_25partition_config_selectorILNS1_17partition_subalgoE4EjNS0_10empty_typeEbEEZZNS1_14partition_implILS8_4ELb0ES6_15HIP_vector_typeIjLj2EENS0_17counting_iteratorIjlEEPS9_SG_NS0_5tupleIJPjSI_NS0_16reverse_iteratorISI_EEEEENSH_IJSG_SG_SG_EEES9_SI_JZNS1_25segmented_radix_sort_implINS0_14default_configELb1EPKsPsPKlPlN2at6native12_GLOBAL__N_18offset_tEEE10hipError_tPvRmT1_PNSt15iterator_traitsIS12_E10value_typeET2_T3_PNS13_IS18_E10value_typeET4_jRbjT5_S1E_jjP12ihipStream_tbEUljE_ZNSN_ISO_Lb1ESQ_SR_ST_SU_SY_EESZ_S10_S11_S12_S16_S17_S18_S1B_S1C_jS1D_jS1E_S1E_jjS1G_bEUljE0_EEESZ_S10_S11_S18_S1C_S1E_T6_T7_T9_mT8_S1G_bDpT10_ENKUlT_T0_E_clISt17integral_constantIbLb0EES1U_EEDaS1P_S1Q_EUlS1P_E_NS1_11comp_targetILNS1_3genE0ELNS1_11target_archE4294967295ELNS1_3gpuE0ELNS1_3repE0EEENS1_30default_config_static_selectorELNS0_4arch9wavefront6targetE0EEEvS12_,@function
_ZN7rocprim17ROCPRIM_400000_NS6detail17trampoline_kernelINS0_13select_configILj256ELj13ELNS0_17block_load_methodE3ELS4_3ELS4_3ELNS0_20block_scan_algorithmE0ELj4294967295EEENS1_25partition_config_selectorILNS1_17partition_subalgoE4EjNS0_10empty_typeEbEEZZNS1_14partition_implILS8_4ELb0ES6_15HIP_vector_typeIjLj2EENS0_17counting_iteratorIjlEEPS9_SG_NS0_5tupleIJPjSI_NS0_16reverse_iteratorISI_EEEEENSH_IJSG_SG_SG_EEES9_SI_JZNS1_25segmented_radix_sort_implINS0_14default_configELb1EPKsPsPKlPlN2at6native12_GLOBAL__N_18offset_tEEE10hipError_tPvRmT1_PNSt15iterator_traitsIS12_E10value_typeET2_T3_PNS13_IS18_E10value_typeET4_jRbjT5_S1E_jjP12ihipStream_tbEUljE_ZNSN_ISO_Lb1ESQ_SR_ST_SU_SY_EESZ_S10_S11_S12_S16_S17_S18_S1B_S1C_jS1D_jS1E_S1E_jjS1G_bEUljE0_EEESZ_S10_S11_S18_S1C_S1E_T6_T7_T9_mT8_S1G_bDpT10_ENKUlT_T0_E_clISt17integral_constantIbLb0EES1U_EEDaS1P_S1Q_EUlS1P_E_NS1_11comp_targetILNS1_3genE0ELNS1_11target_archE4294967295ELNS1_3gpuE0ELNS1_3repE0EEENS1_30default_config_static_selectorELNS0_4arch9wavefront6targetE0EEEvS12_: ; @_ZN7rocprim17ROCPRIM_400000_NS6detail17trampoline_kernelINS0_13select_configILj256ELj13ELNS0_17block_load_methodE3ELS4_3ELS4_3ELNS0_20block_scan_algorithmE0ELj4294967295EEENS1_25partition_config_selectorILNS1_17partition_subalgoE4EjNS0_10empty_typeEbEEZZNS1_14partition_implILS8_4ELb0ES6_15HIP_vector_typeIjLj2EENS0_17counting_iteratorIjlEEPS9_SG_NS0_5tupleIJPjSI_NS0_16reverse_iteratorISI_EEEEENSH_IJSG_SG_SG_EEES9_SI_JZNS1_25segmented_radix_sort_implINS0_14default_configELb1EPKsPsPKlPlN2at6native12_GLOBAL__N_18offset_tEEE10hipError_tPvRmT1_PNSt15iterator_traitsIS12_E10value_typeET2_T3_PNS13_IS18_E10value_typeET4_jRbjT5_S1E_jjP12ihipStream_tbEUljE_ZNSN_ISO_Lb1ESQ_SR_ST_SU_SY_EESZ_S10_S11_S12_S16_S17_S18_S1B_S1C_jS1D_jS1E_S1E_jjS1G_bEUljE0_EEESZ_S10_S11_S18_S1C_S1E_T6_T7_T9_mT8_S1G_bDpT10_ENKUlT_T0_E_clISt17integral_constantIbLb0EES1U_EEDaS1P_S1Q_EUlS1P_E_NS1_11comp_targetILNS1_3genE0ELNS1_11target_archE4294967295ELNS1_3gpuE0ELNS1_3repE0EEENS1_30default_config_static_selectorELNS0_4arch9wavefront6targetE0EEEvS12_
; %bb.0:
	.section	.rodata,"a",@progbits
	.p2align	6, 0x0
	.amdhsa_kernel _ZN7rocprim17ROCPRIM_400000_NS6detail17trampoline_kernelINS0_13select_configILj256ELj13ELNS0_17block_load_methodE3ELS4_3ELS4_3ELNS0_20block_scan_algorithmE0ELj4294967295EEENS1_25partition_config_selectorILNS1_17partition_subalgoE4EjNS0_10empty_typeEbEEZZNS1_14partition_implILS8_4ELb0ES6_15HIP_vector_typeIjLj2EENS0_17counting_iteratorIjlEEPS9_SG_NS0_5tupleIJPjSI_NS0_16reverse_iteratorISI_EEEEENSH_IJSG_SG_SG_EEES9_SI_JZNS1_25segmented_radix_sort_implINS0_14default_configELb1EPKsPsPKlPlN2at6native12_GLOBAL__N_18offset_tEEE10hipError_tPvRmT1_PNSt15iterator_traitsIS12_E10value_typeET2_T3_PNS13_IS18_E10value_typeET4_jRbjT5_S1E_jjP12ihipStream_tbEUljE_ZNSN_ISO_Lb1ESQ_SR_ST_SU_SY_EESZ_S10_S11_S12_S16_S17_S18_S1B_S1C_jS1D_jS1E_S1E_jjS1G_bEUljE0_EEESZ_S10_S11_S18_S1C_S1E_T6_T7_T9_mT8_S1G_bDpT10_ENKUlT_T0_E_clISt17integral_constantIbLb0EES1U_EEDaS1P_S1Q_EUlS1P_E_NS1_11comp_targetILNS1_3genE0ELNS1_11target_archE4294967295ELNS1_3gpuE0ELNS1_3repE0EEENS1_30default_config_static_selectorELNS0_4arch9wavefront6targetE0EEEvS12_
		.amdhsa_group_segment_fixed_size 0
		.amdhsa_private_segment_fixed_size 0
		.amdhsa_kernarg_size 176
		.amdhsa_user_sgpr_count 15
		.amdhsa_user_sgpr_dispatch_ptr 0
		.amdhsa_user_sgpr_queue_ptr 0
		.amdhsa_user_sgpr_kernarg_segment_ptr 1
		.amdhsa_user_sgpr_dispatch_id 0
		.amdhsa_user_sgpr_private_segment_size 0
		.amdhsa_wavefront_size32 1
		.amdhsa_uses_dynamic_stack 0
		.amdhsa_enable_private_segment 0
		.amdhsa_system_sgpr_workgroup_id_x 1
		.amdhsa_system_sgpr_workgroup_id_y 0
		.amdhsa_system_sgpr_workgroup_id_z 0
		.amdhsa_system_sgpr_workgroup_info 0
		.amdhsa_system_vgpr_workitem_id 0
		.amdhsa_next_free_vgpr 1
		.amdhsa_next_free_sgpr 1
		.amdhsa_reserve_vcc 0
		.amdhsa_float_round_mode_32 0
		.amdhsa_float_round_mode_16_64 0
		.amdhsa_float_denorm_mode_32 3
		.amdhsa_float_denorm_mode_16_64 3
		.amdhsa_dx10_clamp 1
		.amdhsa_ieee_mode 1
		.amdhsa_fp16_overflow 0
		.amdhsa_workgroup_processor_mode 1
		.amdhsa_memory_ordered 1
		.amdhsa_forward_progress 0
		.amdhsa_shared_vgpr_count 0
		.amdhsa_exception_fp_ieee_invalid_op 0
		.amdhsa_exception_fp_denorm_src 0
		.amdhsa_exception_fp_ieee_div_zero 0
		.amdhsa_exception_fp_ieee_overflow 0
		.amdhsa_exception_fp_ieee_underflow 0
		.amdhsa_exception_fp_ieee_inexact 0
		.amdhsa_exception_int_div_zero 0
	.end_amdhsa_kernel
	.section	.text._ZN7rocprim17ROCPRIM_400000_NS6detail17trampoline_kernelINS0_13select_configILj256ELj13ELNS0_17block_load_methodE3ELS4_3ELS4_3ELNS0_20block_scan_algorithmE0ELj4294967295EEENS1_25partition_config_selectorILNS1_17partition_subalgoE4EjNS0_10empty_typeEbEEZZNS1_14partition_implILS8_4ELb0ES6_15HIP_vector_typeIjLj2EENS0_17counting_iteratorIjlEEPS9_SG_NS0_5tupleIJPjSI_NS0_16reverse_iteratorISI_EEEEENSH_IJSG_SG_SG_EEES9_SI_JZNS1_25segmented_radix_sort_implINS0_14default_configELb1EPKsPsPKlPlN2at6native12_GLOBAL__N_18offset_tEEE10hipError_tPvRmT1_PNSt15iterator_traitsIS12_E10value_typeET2_T3_PNS13_IS18_E10value_typeET4_jRbjT5_S1E_jjP12ihipStream_tbEUljE_ZNSN_ISO_Lb1ESQ_SR_ST_SU_SY_EESZ_S10_S11_S12_S16_S17_S18_S1B_S1C_jS1D_jS1E_S1E_jjS1G_bEUljE0_EEESZ_S10_S11_S18_S1C_S1E_T6_T7_T9_mT8_S1G_bDpT10_ENKUlT_T0_E_clISt17integral_constantIbLb0EES1U_EEDaS1P_S1Q_EUlS1P_E_NS1_11comp_targetILNS1_3genE0ELNS1_11target_archE4294967295ELNS1_3gpuE0ELNS1_3repE0EEENS1_30default_config_static_selectorELNS0_4arch9wavefront6targetE0EEEvS12_,"axG",@progbits,_ZN7rocprim17ROCPRIM_400000_NS6detail17trampoline_kernelINS0_13select_configILj256ELj13ELNS0_17block_load_methodE3ELS4_3ELS4_3ELNS0_20block_scan_algorithmE0ELj4294967295EEENS1_25partition_config_selectorILNS1_17partition_subalgoE4EjNS0_10empty_typeEbEEZZNS1_14partition_implILS8_4ELb0ES6_15HIP_vector_typeIjLj2EENS0_17counting_iteratorIjlEEPS9_SG_NS0_5tupleIJPjSI_NS0_16reverse_iteratorISI_EEEEENSH_IJSG_SG_SG_EEES9_SI_JZNS1_25segmented_radix_sort_implINS0_14default_configELb1EPKsPsPKlPlN2at6native12_GLOBAL__N_18offset_tEEE10hipError_tPvRmT1_PNSt15iterator_traitsIS12_E10value_typeET2_T3_PNS13_IS18_E10value_typeET4_jRbjT5_S1E_jjP12ihipStream_tbEUljE_ZNSN_ISO_Lb1ESQ_SR_ST_SU_SY_EESZ_S10_S11_S12_S16_S17_S18_S1B_S1C_jS1D_jS1E_S1E_jjS1G_bEUljE0_EEESZ_S10_S11_S18_S1C_S1E_T6_T7_T9_mT8_S1G_bDpT10_ENKUlT_T0_E_clISt17integral_constantIbLb0EES1U_EEDaS1P_S1Q_EUlS1P_E_NS1_11comp_targetILNS1_3genE0ELNS1_11target_archE4294967295ELNS1_3gpuE0ELNS1_3repE0EEENS1_30default_config_static_selectorELNS0_4arch9wavefront6targetE0EEEvS12_,comdat
.Lfunc_end847:
	.size	_ZN7rocprim17ROCPRIM_400000_NS6detail17trampoline_kernelINS0_13select_configILj256ELj13ELNS0_17block_load_methodE3ELS4_3ELS4_3ELNS0_20block_scan_algorithmE0ELj4294967295EEENS1_25partition_config_selectorILNS1_17partition_subalgoE4EjNS0_10empty_typeEbEEZZNS1_14partition_implILS8_4ELb0ES6_15HIP_vector_typeIjLj2EENS0_17counting_iteratorIjlEEPS9_SG_NS0_5tupleIJPjSI_NS0_16reverse_iteratorISI_EEEEENSH_IJSG_SG_SG_EEES9_SI_JZNS1_25segmented_radix_sort_implINS0_14default_configELb1EPKsPsPKlPlN2at6native12_GLOBAL__N_18offset_tEEE10hipError_tPvRmT1_PNSt15iterator_traitsIS12_E10value_typeET2_T3_PNS13_IS18_E10value_typeET4_jRbjT5_S1E_jjP12ihipStream_tbEUljE_ZNSN_ISO_Lb1ESQ_SR_ST_SU_SY_EESZ_S10_S11_S12_S16_S17_S18_S1B_S1C_jS1D_jS1E_S1E_jjS1G_bEUljE0_EEESZ_S10_S11_S18_S1C_S1E_T6_T7_T9_mT8_S1G_bDpT10_ENKUlT_T0_E_clISt17integral_constantIbLb0EES1U_EEDaS1P_S1Q_EUlS1P_E_NS1_11comp_targetILNS1_3genE0ELNS1_11target_archE4294967295ELNS1_3gpuE0ELNS1_3repE0EEENS1_30default_config_static_selectorELNS0_4arch9wavefront6targetE0EEEvS12_, .Lfunc_end847-_ZN7rocprim17ROCPRIM_400000_NS6detail17trampoline_kernelINS0_13select_configILj256ELj13ELNS0_17block_load_methodE3ELS4_3ELS4_3ELNS0_20block_scan_algorithmE0ELj4294967295EEENS1_25partition_config_selectorILNS1_17partition_subalgoE4EjNS0_10empty_typeEbEEZZNS1_14partition_implILS8_4ELb0ES6_15HIP_vector_typeIjLj2EENS0_17counting_iteratorIjlEEPS9_SG_NS0_5tupleIJPjSI_NS0_16reverse_iteratorISI_EEEEENSH_IJSG_SG_SG_EEES9_SI_JZNS1_25segmented_radix_sort_implINS0_14default_configELb1EPKsPsPKlPlN2at6native12_GLOBAL__N_18offset_tEEE10hipError_tPvRmT1_PNSt15iterator_traitsIS12_E10value_typeET2_T3_PNS13_IS18_E10value_typeET4_jRbjT5_S1E_jjP12ihipStream_tbEUljE_ZNSN_ISO_Lb1ESQ_SR_ST_SU_SY_EESZ_S10_S11_S12_S16_S17_S18_S1B_S1C_jS1D_jS1E_S1E_jjS1G_bEUljE0_EEESZ_S10_S11_S18_S1C_S1E_T6_T7_T9_mT8_S1G_bDpT10_ENKUlT_T0_E_clISt17integral_constantIbLb0EES1U_EEDaS1P_S1Q_EUlS1P_E_NS1_11comp_targetILNS1_3genE0ELNS1_11target_archE4294967295ELNS1_3gpuE0ELNS1_3repE0EEENS1_30default_config_static_selectorELNS0_4arch9wavefront6targetE0EEEvS12_
                                        ; -- End function
	.section	.AMDGPU.csdata,"",@progbits
; Kernel info:
; codeLenInByte = 0
; NumSgprs: 0
; NumVgprs: 0
; ScratchSize: 0
; MemoryBound: 0
; FloatMode: 240
; IeeeMode: 1
; LDSByteSize: 0 bytes/workgroup (compile time only)
; SGPRBlocks: 0
; VGPRBlocks: 0
; NumSGPRsForWavesPerEU: 1
; NumVGPRsForWavesPerEU: 1
; Occupancy: 16
; WaveLimiterHint : 0
; COMPUTE_PGM_RSRC2:SCRATCH_EN: 0
; COMPUTE_PGM_RSRC2:USER_SGPR: 15
; COMPUTE_PGM_RSRC2:TRAP_HANDLER: 0
; COMPUTE_PGM_RSRC2:TGID_X_EN: 1
; COMPUTE_PGM_RSRC2:TGID_Y_EN: 0
; COMPUTE_PGM_RSRC2:TGID_Z_EN: 0
; COMPUTE_PGM_RSRC2:TIDIG_COMP_CNT: 0
	.section	.text._ZN7rocprim17ROCPRIM_400000_NS6detail17trampoline_kernelINS0_13select_configILj256ELj13ELNS0_17block_load_methodE3ELS4_3ELS4_3ELNS0_20block_scan_algorithmE0ELj4294967295EEENS1_25partition_config_selectorILNS1_17partition_subalgoE4EjNS0_10empty_typeEbEEZZNS1_14partition_implILS8_4ELb0ES6_15HIP_vector_typeIjLj2EENS0_17counting_iteratorIjlEEPS9_SG_NS0_5tupleIJPjSI_NS0_16reverse_iteratorISI_EEEEENSH_IJSG_SG_SG_EEES9_SI_JZNS1_25segmented_radix_sort_implINS0_14default_configELb1EPKsPsPKlPlN2at6native12_GLOBAL__N_18offset_tEEE10hipError_tPvRmT1_PNSt15iterator_traitsIS12_E10value_typeET2_T3_PNS13_IS18_E10value_typeET4_jRbjT5_S1E_jjP12ihipStream_tbEUljE_ZNSN_ISO_Lb1ESQ_SR_ST_SU_SY_EESZ_S10_S11_S12_S16_S17_S18_S1B_S1C_jS1D_jS1E_S1E_jjS1G_bEUljE0_EEESZ_S10_S11_S18_S1C_S1E_T6_T7_T9_mT8_S1G_bDpT10_ENKUlT_T0_E_clISt17integral_constantIbLb0EES1U_EEDaS1P_S1Q_EUlS1P_E_NS1_11comp_targetILNS1_3genE5ELNS1_11target_archE942ELNS1_3gpuE9ELNS1_3repE0EEENS1_30default_config_static_selectorELNS0_4arch9wavefront6targetE0EEEvS12_,"axG",@progbits,_ZN7rocprim17ROCPRIM_400000_NS6detail17trampoline_kernelINS0_13select_configILj256ELj13ELNS0_17block_load_methodE3ELS4_3ELS4_3ELNS0_20block_scan_algorithmE0ELj4294967295EEENS1_25partition_config_selectorILNS1_17partition_subalgoE4EjNS0_10empty_typeEbEEZZNS1_14partition_implILS8_4ELb0ES6_15HIP_vector_typeIjLj2EENS0_17counting_iteratorIjlEEPS9_SG_NS0_5tupleIJPjSI_NS0_16reverse_iteratorISI_EEEEENSH_IJSG_SG_SG_EEES9_SI_JZNS1_25segmented_radix_sort_implINS0_14default_configELb1EPKsPsPKlPlN2at6native12_GLOBAL__N_18offset_tEEE10hipError_tPvRmT1_PNSt15iterator_traitsIS12_E10value_typeET2_T3_PNS13_IS18_E10value_typeET4_jRbjT5_S1E_jjP12ihipStream_tbEUljE_ZNSN_ISO_Lb1ESQ_SR_ST_SU_SY_EESZ_S10_S11_S12_S16_S17_S18_S1B_S1C_jS1D_jS1E_S1E_jjS1G_bEUljE0_EEESZ_S10_S11_S18_S1C_S1E_T6_T7_T9_mT8_S1G_bDpT10_ENKUlT_T0_E_clISt17integral_constantIbLb0EES1U_EEDaS1P_S1Q_EUlS1P_E_NS1_11comp_targetILNS1_3genE5ELNS1_11target_archE942ELNS1_3gpuE9ELNS1_3repE0EEENS1_30default_config_static_selectorELNS0_4arch9wavefront6targetE0EEEvS12_,comdat
	.globl	_ZN7rocprim17ROCPRIM_400000_NS6detail17trampoline_kernelINS0_13select_configILj256ELj13ELNS0_17block_load_methodE3ELS4_3ELS4_3ELNS0_20block_scan_algorithmE0ELj4294967295EEENS1_25partition_config_selectorILNS1_17partition_subalgoE4EjNS0_10empty_typeEbEEZZNS1_14partition_implILS8_4ELb0ES6_15HIP_vector_typeIjLj2EENS0_17counting_iteratorIjlEEPS9_SG_NS0_5tupleIJPjSI_NS0_16reverse_iteratorISI_EEEEENSH_IJSG_SG_SG_EEES9_SI_JZNS1_25segmented_radix_sort_implINS0_14default_configELb1EPKsPsPKlPlN2at6native12_GLOBAL__N_18offset_tEEE10hipError_tPvRmT1_PNSt15iterator_traitsIS12_E10value_typeET2_T3_PNS13_IS18_E10value_typeET4_jRbjT5_S1E_jjP12ihipStream_tbEUljE_ZNSN_ISO_Lb1ESQ_SR_ST_SU_SY_EESZ_S10_S11_S12_S16_S17_S18_S1B_S1C_jS1D_jS1E_S1E_jjS1G_bEUljE0_EEESZ_S10_S11_S18_S1C_S1E_T6_T7_T9_mT8_S1G_bDpT10_ENKUlT_T0_E_clISt17integral_constantIbLb0EES1U_EEDaS1P_S1Q_EUlS1P_E_NS1_11comp_targetILNS1_3genE5ELNS1_11target_archE942ELNS1_3gpuE9ELNS1_3repE0EEENS1_30default_config_static_selectorELNS0_4arch9wavefront6targetE0EEEvS12_ ; -- Begin function _ZN7rocprim17ROCPRIM_400000_NS6detail17trampoline_kernelINS0_13select_configILj256ELj13ELNS0_17block_load_methodE3ELS4_3ELS4_3ELNS0_20block_scan_algorithmE0ELj4294967295EEENS1_25partition_config_selectorILNS1_17partition_subalgoE4EjNS0_10empty_typeEbEEZZNS1_14partition_implILS8_4ELb0ES6_15HIP_vector_typeIjLj2EENS0_17counting_iteratorIjlEEPS9_SG_NS0_5tupleIJPjSI_NS0_16reverse_iteratorISI_EEEEENSH_IJSG_SG_SG_EEES9_SI_JZNS1_25segmented_radix_sort_implINS0_14default_configELb1EPKsPsPKlPlN2at6native12_GLOBAL__N_18offset_tEEE10hipError_tPvRmT1_PNSt15iterator_traitsIS12_E10value_typeET2_T3_PNS13_IS18_E10value_typeET4_jRbjT5_S1E_jjP12ihipStream_tbEUljE_ZNSN_ISO_Lb1ESQ_SR_ST_SU_SY_EESZ_S10_S11_S12_S16_S17_S18_S1B_S1C_jS1D_jS1E_S1E_jjS1G_bEUljE0_EEESZ_S10_S11_S18_S1C_S1E_T6_T7_T9_mT8_S1G_bDpT10_ENKUlT_T0_E_clISt17integral_constantIbLb0EES1U_EEDaS1P_S1Q_EUlS1P_E_NS1_11comp_targetILNS1_3genE5ELNS1_11target_archE942ELNS1_3gpuE9ELNS1_3repE0EEENS1_30default_config_static_selectorELNS0_4arch9wavefront6targetE0EEEvS12_
	.p2align	8
	.type	_ZN7rocprim17ROCPRIM_400000_NS6detail17trampoline_kernelINS0_13select_configILj256ELj13ELNS0_17block_load_methodE3ELS4_3ELS4_3ELNS0_20block_scan_algorithmE0ELj4294967295EEENS1_25partition_config_selectorILNS1_17partition_subalgoE4EjNS0_10empty_typeEbEEZZNS1_14partition_implILS8_4ELb0ES6_15HIP_vector_typeIjLj2EENS0_17counting_iteratorIjlEEPS9_SG_NS0_5tupleIJPjSI_NS0_16reverse_iteratorISI_EEEEENSH_IJSG_SG_SG_EEES9_SI_JZNS1_25segmented_radix_sort_implINS0_14default_configELb1EPKsPsPKlPlN2at6native12_GLOBAL__N_18offset_tEEE10hipError_tPvRmT1_PNSt15iterator_traitsIS12_E10value_typeET2_T3_PNS13_IS18_E10value_typeET4_jRbjT5_S1E_jjP12ihipStream_tbEUljE_ZNSN_ISO_Lb1ESQ_SR_ST_SU_SY_EESZ_S10_S11_S12_S16_S17_S18_S1B_S1C_jS1D_jS1E_S1E_jjS1G_bEUljE0_EEESZ_S10_S11_S18_S1C_S1E_T6_T7_T9_mT8_S1G_bDpT10_ENKUlT_T0_E_clISt17integral_constantIbLb0EES1U_EEDaS1P_S1Q_EUlS1P_E_NS1_11comp_targetILNS1_3genE5ELNS1_11target_archE942ELNS1_3gpuE9ELNS1_3repE0EEENS1_30default_config_static_selectorELNS0_4arch9wavefront6targetE0EEEvS12_,@function
_ZN7rocprim17ROCPRIM_400000_NS6detail17trampoline_kernelINS0_13select_configILj256ELj13ELNS0_17block_load_methodE3ELS4_3ELS4_3ELNS0_20block_scan_algorithmE0ELj4294967295EEENS1_25partition_config_selectorILNS1_17partition_subalgoE4EjNS0_10empty_typeEbEEZZNS1_14partition_implILS8_4ELb0ES6_15HIP_vector_typeIjLj2EENS0_17counting_iteratorIjlEEPS9_SG_NS0_5tupleIJPjSI_NS0_16reverse_iteratorISI_EEEEENSH_IJSG_SG_SG_EEES9_SI_JZNS1_25segmented_radix_sort_implINS0_14default_configELb1EPKsPsPKlPlN2at6native12_GLOBAL__N_18offset_tEEE10hipError_tPvRmT1_PNSt15iterator_traitsIS12_E10value_typeET2_T3_PNS13_IS18_E10value_typeET4_jRbjT5_S1E_jjP12ihipStream_tbEUljE_ZNSN_ISO_Lb1ESQ_SR_ST_SU_SY_EESZ_S10_S11_S12_S16_S17_S18_S1B_S1C_jS1D_jS1E_S1E_jjS1G_bEUljE0_EEESZ_S10_S11_S18_S1C_S1E_T6_T7_T9_mT8_S1G_bDpT10_ENKUlT_T0_E_clISt17integral_constantIbLb0EES1U_EEDaS1P_S1Q_EUlS1P_E_NS1_11comp_targetILNS1_3genE5ELNS1_11target_archE942ELNS1_3gpuE9ELNS1_3repE0EEENS1_30default_config_static_selectorELNS0_4arch9wavefront6targetE0EEEvS12_: ; @_ZN7rocprim17ROCPRIM_400000_NS6detail17trampoline_kernelINS0_13select_configILj256ELj13ELNS0_17block_load_methodE3ELS4_3ELS4_3ELNS0_20block_scan_algorithmE0ELj4294967295EEENS1_25partition_config_selectorILNS1_17partition_subalgoE4EjNS0_10empty_typeEbEEZZNS1_14partition_implILS8_4ELb0ES6_15HIP_vector_typeIjLj2EENS0_17counting_iteratorIjlEEPS9_SG_NS0_5tupleIJPjSI_NS0_16reverse_iteratorISI_EEEEENSH_IJSG_SG_SG_EEES9_SI_JZNS1_25segmented_radix_sort_implINS0_14default_configELb1EPKsPsPKlPlN2at6native12_GLOBAL__N_18offset_tEEE10hipError_tPvRmT1_PNSt15iterator_traitsIS12_E10value_typeET2_T3_PNS13_IS18_E10value_typeET4_jRbjT5_S1E_jjP12ihipStream_tbEUljE_ZNSN_ISO_Lb1ESQ_SR_ST_SU_SY_EESZ_S10_S11_S12_S16_S17_S18_S1B_S1C_jS1D_jS1E_S1E_jjS1G_bEUljE0_EEESZ_S10_S11_S18_S1C_S1E_T6_T7_T9_mT8_S1G_bDpT10_ENKUlT_T0_E_clISt17integral_constantIbLb0EES1U_EEDaS1P_S1Q_EUlS1P_E_NS1_11comp_targetILNS1_3genE5ELNS1_11target_archE942ELNS1_3gpuE9ELNS1_3repE0EEENS1_30default_config_static_selectorELNS0_4arch9wavefront6targetE0EEEvS12_
; %bb.0:
	.section	.rodata,"a",@progbits
	.p2align	6, 0x0
	.amdhsa_kernel _ZN7rocprim17ROCPRIM_400000_NS6detail17trampoline_kernelINS0_13select_configILj256ELj13ELNS0_17block_load_methodE3ELS4_3ELS4_3ELNS0_20block_scan_algorithmE0ELj4294967295EEENS1_25partition_config_selectorILNS1_17partition_subalgoE4EjNS0_10empty_typeEbEEZZNS1_14partition_implILS8_4ELb0ES6_15HIP_vector_typeIjLj2EENS0_17counting_iteratorIjlEEPS9_SG_NS0_5tupleIJPjSI_NS0_16reverse_iteratorISI_EEEEENSH_IJSG_SG_SG_EEES9_SI_JZNS1_25segmented_radix_sort_implINS0_14default_configELb1EPKsPsPKlPlN2at6native12_GLOBAL__N_18offset_tEEE10hipError_tPvRmT1_PNSt15iterator_traitsIS12_E10value_typeET2_T3_PNS13_IS18_E10value_typeET4_jRbjT5_S1E_jjP12ihipStream_tbEUljE_ZNSN_ISO_Lb1ESQ_SR_ST_SU_SY_EESZ_S10_S11_S12_S16_S17_S18_S1B_S1C_jS1D_jS1E_S1E_jjS1G_bEUljE0_EEESZ_S10_S11_S18_S1C_S1E_T6_T7_T9_mT8_S1G_bDpT10_ENKUlT_T0_E_clISt17integral_constantIbLb0EES1U_EEDaS1P_S1Q_EUlS1P_E_NS1_11comp_targetILNS1_3genE5ELNS1_11target_archE942ELNS1_3gpuE9ELNS1_3repE0EEENS1_30default_config_static_selectorELNS0_4arch9wavefront6targetE0EEEvS12_
		.amdhsa_group_segment_fixed_size 0
		.amdhsa_private_segment_fixed_size 0
		.amdhsa_kernarg_size 176
		.amdhsa_user_sgpr_count 15
		.amdhsa_user_sgpr_dispatch_ptr 0
		.amdhsa_user_sgpr_queue_ptr 0
		.amdhsa_user_sgpr_kernarg_segment_ptr 1
		.amdhsa_user_sgpr_dispatch_id 0
		.amdhsa_user_sgpr_private_segment_size 0
		.amdhsa_wavefront_size32 1
		.amdhsa_uses_dynamic_stack 0
		.amdhsa_enable_private_segment 0
		.amdhsa_system_sgpr_workgroup_id_x 1
		.amdhsa_system_sgpr_workgroup_id_y 0
		.amdhsa_system_sgpr_workgroup_id_z 0
		.amdhsa_system_sgpr_workgroup_info 0
		.amdhsa_system_vgpr_workitem_id 0
		.amdhsa_next_free_vgpr 1
		.amdhsa_next_free_sgpr 1
		.amdhsa_reserve_vcc 0
		.amdhsa_float_round_mode_32 0
		.amdhsa_float_round_mode_16_64 0
		.amdhsa_float_denorm_mode_32 3
		.amdhsa_float_denorm_mode_16_64 3
		.amdhsa_dx10_clamp 1
		.amdhsa_ieee_mode 1
		.amdhsa_fp16_overflow 0
		.amdhsa_workgroup_processor_mode 1
		.amdhsa_memory_ordered 1
		.amdhsa_forward_progress 0
		.amdhsa_shared_vgpr_count 0
		.amdhsa_exception_fp_ieee_invalid_op 0
		.amdhsa_exception_fp_denorm_src 0
		.amdhsa_exception_fp_ieee_div_zero 0
		.amdhsa_exception_fp_ieee_overflow 0
		.amdhsa_exception_fp_ieee_underflow 0
		.amdhsa_exception_fp_ieee_inexact 0
		.amdhsa_exception_int_div_zero 0
	.end_amdhsa_kernel
	.section	.text._ZN7rocprim17ROCPRIM_400000_NS6detail17trampoline_kernelINS0_13select_configILj256ELj13ELNS0_17block_load_methodE3ELS4_3ELS4_3ELNS0_20block_scan_algorithmE0ELj4294967295EEENS1_25partition_config_selectorILNS1_17partition_subalgoE4EjNS0_10empty_typeEbEEZZNS1_14partition_implILS8_4ELb0ES6_15HIP_vector_typeIjLj2EENS0_17counting_iteratorIjlEEPS9_SG_NS0_5tupleIJPjSI_NS0_16reverse_iteratorISI_EEEEENSH_IJSG_SG_SG_EEES9_SI_JZNS1_25segmented_radix_sort_implINS0_14default_configELb1EPKsPsPKlPlN2at6native12_GLOBAL__N_18offset_tEEE10hipError_tPvRmT1_PNSt15iterator_traitsIS12_E10value_typeET2_T3_PNS13_IS18_E10value_typeET4_jRbjT5_S1E_jjP12ihipStream_tbEUljE_ZNSN_ISO_Lb1ESQ_SR_ST_SU_SY_EESZ_S10_S11_S12_S16_S17_S18_S1B_S1C_jS1D_jS1E_S1E_jjS1G_bEUljE0_EEESZ_S10_S11_S18_S1C_S1E_T6_T7_T9_mT8_S1G_bDpT10_ENKUlT_T0_E_clISt17integral_constantIbLb0EES1U_EEDaS1P_S1Q_EUlS1P_E_NS1_11comp_targetILNS1_3genE5ELNS1_11target_archE942ELNS1_3gpuE9ELNS1_3repE0EEENS1_30default_config_static_selectorELNS0_4arch9wavefront6targetE0EEEvS12_,"axG",@progbits,_ZN7rocprim17ROCPRIM_400000_NS6detail17trampoline_kernelINS0_13select_configILj256ELj13ELNS0_17block_load_methodE3ELS4_3ELS4_3ELNS0_20block_scan_algorithmE0ELj4294967295EEENS1_25partition_config_selectorILNS1_17partition_subalgoE4EjNS0_10empty_typeEbEEZZNS1_14partition_implILS8_4ELb0ES6_15HIP_vector_typeIjLj2EENS0_17counting_iteratorIjlEEPS9_SG_NS0_5tupleIJPjSI_NS0_16reverse_iteratorISI_EEEEENSH_IJSG_SG_SG_EEES9_SI_JZNS1_25segmented_radix_sort_implINS0_14default_configELb1EPKsPsPKlPlN2at6native12_GLOBAL__N_18offset_tEEE10hipError_tPvRmT1_PNSt15iterator_traitsIS12_E10value_typeET2_T3_PNS13_IS18_E10value_typeET4_jRbjT5_S1E_jjP12ihipStream_tbEUljE_ZNSN_ISO_Lb1ESQ_SR_ST_SU_SY_EESZ_S10_S11_S12_S16_S17_S18_S1B_S1C_jS1D_jS1E_S1E_jjS1G_bEUljE0_EEESZ_S10_S11_S18_S1C_S1E_T6_T7_T9_mT8_S1G_bDpT10_ENKUlT_T0_E_clISt17integral_constantIbLb0EES1U_EEDaS1P_S1Q_EUlS1P_E_NS1_11comp_targetILNS1_3genE5ELNS1_11target_archE942ELNS1_3gpuE9ELNS1_3repE0EEENS1_30default_config_static_selectorELNS0_4arch9wavefront6targetE0EEEvS12_,comdat
.Lfunc_end848:
	.size	_ZN7rocprim17ROCPRIM_400000_NS6detail17trampoline_kernelINS0_13select_configILj256ELj13ELNS0_17block_load_methodE3ELS4_3ELS4_3ELNS0_20block_scan_algorithmE0ELj4294967295EEENS1_25partition_config_selectorILNS1_17partition_subalgoE4EjNS0_10empty_typeEbEEZZNS1_14partition_implILS8_4ELb0ES6_15HIP_vector_typeIjLj2EENS0_17counting_iteratorIjlEEPS9_SG_NS0_5tupleIJPjSI_NS0_16reverse_iteratorISI_EEEEENSH_IJSG_SG_SG_EEES9_SI_JZNS1_25segmented_radix_sort_implINS0_14default_configELb1EPKsPsPKlPlN2at6native12_GLOBAL__N_18offset_tEEE10hipError_tPvRmT1_PNSt15iterator_traitsIS12_E10value_typeET2_T3_PNS13_IS18_E10value_typeET4_jRbjT5_S1E_jjP12ihipStream_tbEUljE_ZNSN_ISO_Lb1ESQ_SR_ST_SU_SY_EESZ_S10_S11_S12_S16_S17_S18_S1B_S1C_jS1D_jS1E_S1E_jjS1G_bEUljE0_EEESZ_S10_S11_S18_S1C_S1E_T6_T7_T9_mT8_S1G_bDpT10_ENKUlT_T0_E_clISt17integral_constantIbLb0EES1U_EEDaS1P_S1Q_EUlS1P_E_NS1_11comp_targetILNS1_3genE5ELNS1_11target_archE942ELNS1_3gpuE9ELNS1_3repE0EEENS1_30default_config_static_selectorELNS0_4arch9wavefront6targetE0EEEvS12_, .Lfunc_end848-_ZN7rocprim17ROCPRIM_400000_NS6detail17trampoline_kernelINS0_13select_configILj256ELj13ELNS0_17block_load_methodE3ELS4_3ELS4_3ELNS0_20block_scan_algorithmE0ELj4294967295EEENS1_25partition_config_selectorILNS1_17partition_subalgoE4EjNS0_10empty_typeEbEEZZNS1_14partition_implILS8_4ELb0ES6_15HIP_vector_typeIjLj2EENS0_17counting_iteratorIjlEEPS9_SG_NS0_5tupleIJPjSI_NS0_16reverse_iteratorISI_EEEEENSH_IJSG_SG_SG_EEES9_SI_JZNS1_25segmented_radix_sort_implINS0_14default_configELb1EPKsPsPKlPlN2at6native12_GLOBAL__N_18offset_tEEE10hipError_tPvRmT1_PNSt15iterator_traitsIS12_E10value_typeET2_T3_PNS13_IS18_E10value_typeET4_jRbjT5_S1E_jjP12ihipStream_tbEUljE_ZNSN_ISO_Lb1ESQ_SR_ST_SU_SY_EESZ_S10_S11_S12_S16_S17_S18_S1B_S1C_jS1D_jS1E_S1E_jjS1G_bEUljE0_EEESZ_S10_S11_S18_S1C_S1E_T6_T7_T9_mT8_S1G_bDpT10_ENKUlT_T0_E_clISt17integral_constantIbLb0EES1U_EEDaS1P_S1Q_EUlS1P_E_NS1_11comp_targetILNS1_3genE5ELNS1_11target_archE942ELNS1_3gpuE9ELNS1_3repE0EEENS1_30default_config_static_selectorELNS0_4arch9wavefront6targetE0EEEvS12_
                                        ; -- End function
	.section	.AMDGPU.csdata,"",@progbits
; Kernel info:
; codeLenInByte = 0
; NumSgprs: 0
; NumVgprs: 0
; ScratchSize: 0
; MemoryBound: 0
; FloatMode: 240
; IeeeMode: 1
; LDSByteSize: 0 bytes/workgroup (compile time only)
; SGPRBlocks: 0
; VGPRBlocks: 0
; NumSGPRsForWavesPerEU: 1
; NumVGPRsForWavesPerEU: 1
; Occupancy: 16
; WaveLimiterHint : 0
; COMPUTE_PGM_RSRC2:SCRATCH_EN: 0
; COMPUTE_PGM_RSRC2:USER_SGPR: 15
; COMPUTE_PGM_RSRC2:TRAP_HANDLER: 0
; COMPUTE_PGM_RSRC2:TGID_X_EN: 1
; COMPUTE_PGM_RSRC2:TGID_Y_EN: 0
; COMPUTE_PGM_RSRC2:TGID_Z_EN: 0
; COMPUTE_PGM_RSRC2:TIDIG_COMP_CNT: 0
	.section	.text._ZN7rocprim17ROCPRIM_400000_NS6detail17trampoline_kernelINS0_13select_configILj256ELj13ELNS0_17block_load_methodE3ELS4_3ELS4_3ELNS0_20block_scan_algorithmE0ELj4294967295EEENS1_25partition_config_selectorILNS1_17partition_subalgoE4EjNS0_10empty_typeEbEEZZNS1_14partition_implILS8_4ELb0ES6_15HIP_vector_typeIjLj2EENS0_17counting_iteratorIjlEEPS9_SG_NS0_5tupleIJPjSI_NS0_16reverse_iteratorISI_EEEEENSH_IJSG_SG_SG_EEES9_SI_JZNS1_25segmented_radix_sort_implINS0_14default_configELb1EPKsPsPKlPlN2at6native12_GLOBAL__N_18offset_tEEE10hipError_tPvRmT1_PNSt15iterator_traitsIS12_E10value_typeET2_T3_PNS13_IS18_E10value_typeET4_jRbjT5_S1E_jjP12ihipStream_tbEUljE_ZNSN_ISO_Lb1ESQ_SR_ST_SU_SY_EESZ_S10_S11_S12_S16_S17_S18_S1B_S1C_jS1D_jS1E_S1E_jjS1G_bEUljE0_EEESZ_S10_S11_S18_S1C_S1E_T6_T7_T9_mT8_S1G_bDpT10_ENKUlT_T0_E_clISt17integral_constantIbLb0EES1U_EEDaS1P_S1Q_EUlS1P_E_NS1_11comp_targetILNS1_3genE4ELNS1_11target_archE910ELNS1_3gpuE8ELNS1_3repE0EEENS1_30default_config_static_selectorELNS0_4arch9wavefront6targetE0EEEvS12_,"axG",@progbits,_ZN7rocprim17ROCPRIM_400000_NS6detail17trampoline_kernelINS0_13select_configILj256ELj13ELNS0_17block_load_methodE3ELS4_3ELS4_3ELNS0_20block_scan_algorithmE0ELj4294967295EEENS1_25partition_config_selectorILNS1_17partition_subalgoE4EjNS0_10empty_typeEbEEZZNS1_14partition_implILS8_4ELb0ES6_15HIP_vector_typeIjLj2EENS0_17counting_iteratorIjlEEPS9_SG_NS0_5tupleIJPjSI_NS0_16reverse_iteratorISI_EEEEENSH_IJSG_SG_SG_EEES9_SI_JZNS1_25segmented_radix_sort_implINS0_14default_configELb1EPKsPsPKlPlN2at6native12_GLOBAL__N_18offset_tEEE10hipError_tPvRmT1_PNSt15iterator_traitsIS12_E10value_typeET2_T3_PNS13_IS18_E10value_typeET4_jRbjT5_S1E_jjP12ihipStream_tbEUljE_ZNSN_ISO_Lb1ESQ_SR_ST_SU_SY_EESZ_S10_S11_S12_S16_S17_S18_S1B_S1C_jS1D_jS1E_S1E_jjS1G_bEUljE0_EEESZ_S10_S11_S18_S1C_S1E_T6_T7_T9_mT8_S1G_bDpT10_ENKUlT_T0_E_clISt17integral_constantIbLb0EES1U_EEDaS1P_S1Q_EUlS1P_E_NS1_11comp_targetILNS1_3genE4ELNS1_11target_archE910ELNS1_3gpuE8ELNS1_3repE0EEENS1_30default_config_static_selectorELNS0_4arch9wavefront6targetE0EEEvS12_,comdat
	.globl	_ZN7rocprim17ROCPRIM_400000_NS6detail17trampoline_kernelINS0_13select_configILj256ELj13ELNS0_17block_load_methodE3ELS4_3ELS4_3ELNS0_20block_scan_algorithmE0ELj4294967295EEENS1_25partition_config_selectorILNS1_17partition_subalgoE4EjNS0_10empty_typeEbEEZZNS1_14partition_implILS8_4ELb0ES6_15HIP_vector_typeIjLj2EENS0_17counting_iteratorIjlEEPS9_SG_NS0_5tupleIJPjSI_NS0_16reverse_iteratorISI_EEEEENSH_IJSG_SG_SG_EEES9_SI_JZNS1_25segmented_radix_sort_implINS0_14default_configELb1EPKsPsPKlPlN2at6native12_GLOBAL__N_18offset_tEEE10hipError_tPvRmT1_PNSt15iterator_traitsIS12_E10value_typeET2_T3_PNS13_IS18_E10value_typeET4_jRbjT5_S1E_jjP12ihipStream_tbEUljE_ZNSN_ISO_Lb1ESQ_SR_ST_SU_SY_EESZ_S10_S11_S12_S16_S17_S18_S1B_S1C_jS1D_jS1E_S1E_jjS1G_bEUljE0_EEESZ_S10_S11_S18_S1C_S1E_T6_T7_T9_mT8_S1G_bDpT10_ENKUlT_T0_E_clISt17integral_constantIbLb0EES1U_EEDaS1P_S1Q_EUlS1P_E_NS1_11comp_targetILNS1_3genE4ELNS1_11target_archE910ELNS1_3gpuE8ELNS1_3repE0EEENS1_30default_config_static_selectorELNS0_4arch9wavefront6targetE0EEEvS12_ ; -- Begin function _ZN7rocprim17ROCPRIM_400000_NS6detail17trampoline_kernelINS0_13select_configILj256ELj13ELNS0_17block_load_methodE3ELS4_3ELS4_3ELNS0_20block_scan_algorithmE0ELj4294967295EEENS1_25partition_config_selectorILNS1_17partition_subalgoE4EjNS0_10empty_typeEbEEZZNS1_14partition_implILS8_4ELb0ES6_15HIP_vector_typeIjLj2EENS0_17counting_iteratorIjlEEPS9_SG_NS0_5tupleIJPjSI_NS0_16reverse_iteratorISI_EEEEENSH_IJSG_SG_SG_EEES9_SI_JZNS1_25segmented_radix_sort_implINS0_14default_configELb1EPKsPsPKlPlN2at6native12_GLOBAL__N_18offset_tEEE10hipError_tPvRmT1_PNSt15iterator_traitsIS12_E10value_typeET2_T3_PNS13_IS18_E10value_typeET4_jRbjT5_S1E_jjP12ihipStream_tbEUljE_ZNSN_ISO_Lb1ESQ_SR_ST_SU_SY_EESZ_S10_S11_S12_S16_S17_S18_S1B_S1C_jS1D_jS1E_S1E_jjS1G_bEUljE0_EEESZ_S10_S11_S18_S1C_S1E_T6_T7_T9_mT8_S1G_bDpT10_ENKUlT_T0_E_clISt17integral_constantIbLb0EES1U_EEDaS1P_S1Q_EUlS1P_E_NS1_11comp_targetILNS1_3genE4ELNS1_11target_archE910ELNS1_3gpuE8ELNS1_3repE0EEENS1_30default_config_static_selectorELNS0_4arch9wavefront6targetE0EEEvS12_
	.p2align	8
	.type	_ZN7rocprim17ROCPRIM_400000_NS6detail17trampoline_kernelINS0_13select_configILj256ELj13ELNS0_17block_load_methodE3ELS4_3ELS4_3ELNS0_20block_scan_algorithmE0ELj4294967295EEENS1_25partition_config_selectorILNS1_17partition_subalgoE4EjNS0_10empty_typeEbEEZZNS1_14partition_implILS8_4ELb0ES6_15HIP_vector_typeIjLj2EENS0_17counting_iteratorIjlEEPS9_SG_NS0_5tupleIJPjSI_NS0_16reverse_iteratorISI_EEEEENSH_IJSG_SG_SG_EEES9_SI_JZNS1_25segmented_radix_sort_implINS0_14default_configELb1EPKsPsPKlPlN2at6native12_GLOBAL__N_18offset_tEEE10hipError_tPvRmT1_PNSt15iterator_traitsIS12_E10value_typeET2_T3_PNS13_IS18_E10value_typeET4_jRbjT5_S1E_jjP12ihipStream_tbEUljE_ZNSN_ISO_Lb1ESQ_SR_ST_SU_SY_EESZ_S10_S11_S12_S16_S17_S18_S1B_S1C_jS1D_jS1E_S1E_jjS1G_bEUljE0_EEESZ_S10_S11_S18_S1C_S1E_T6_T7_T9_mT8_S1G_bDpT10_ENKUlT_T0_E_clISt17integral_constantIbLb0EES1U_EEDaS1P_S1Q_EUlS1P_E_NS1_11comp_targetILNS1_3genE4ELNS1_11target_archE910ELNS1_3gpuE8ELNS1_3repE0EEENS1_30default_config_static_selectorELNS0_4arch9wavefront6targetE0EEEvS12_,@function
_ZN7rocprim17ROCPRIM_400000_NS6detail17trampoline_kernelINS0_13select_configILj256ELj13ELNS0_17block_load_methodE3ELS4_3ELS4_3ELNS0_20block_scan_algorithmE0ELj4294967295EEENS1_25partition_config_selectorILNS1_17partition_subalgoE4EjNS0_10empty_typeEbEEZZNS1_14partition_implILS8_4ELb0ES6_15HIP_vector_typeIjLj2EENS0_17counting_iteratorIjlEEPS9_SG_NS0_5tupleIJPjSI_NS0_16reverse_iteratorISI_EEEEENSH_IJSG_SG_SG_EEES9_SI_JZNS1_25segmented_radix_sort_implINS0_14default_configELb1EPKsPsPKlPlN2at6native12_GLOBAL__N_18offset_tEEE10hipError_tPvRmT1_PNSt15iterator_traitsIS12_E10value_typeET2_T3_PNS13_IS18_E10value_typeET4_jRbjT5_S1E_jjP12ihipStream_tbEUljE_ZNSN_ISO_Lb1ESQ_SR_ST_SU_SY_EESZ_S10_S11_S12_S16_S17_S18_S1B_S1C_jS1D_jS1E_S1E_jjS1G_bEUljE0_EEESZ_S10_S11_S18_S1C_S1E_T6_T7_T9_mT8_S1G_bDpT10_ENKUlT_T0_E_clISt17integral_constantIbLb0EES1U_EEDaS1P_S1Q_EUlS1P_E_NS1_11comp_targetILNS1_3genE4ELNS1_11target_archE910ELNS1_3gpuE8ELNS1_3repE0EEENS1_30default_config_static_selectorELNS0_4arch9wavefront6targetE0EEEvS12_: ; @_ZN7rocprim17ROCPRIM_400000_NS6detail17trampoline_kernelINS0_13select_configILj256ELj13ELNS0_17block_load_methodE3ELS4_3ELS4_3ELNS0_20block_scan_algorithmE0ELj4294967295EEENS1_25partition_config_selectorILNS1_17partition_subalgoE4EjNS0_10empty_typeEbEEZZNS1_14partition_implILS8_4ELb0ES6_15HIP_vector_typeIjLj2EENS0_17counting_iteratorIjlEEPS9_SG_NS0_5tupleIJPjSI_NS0_16reverse_iteratorISI_EEEEENSH_IJSG_SG_SG_EEES9_SI_JZNS1_25segmented_radix_sort_implINS0_14default_configELb1EPKsPsPKlPlN2at6native12_GLOBAL__N_18offset_tEEE10hipError_tPvRmT1_PNSt15iterator_traitsIS12_E10value_typeET2_T3_PNS13_IS18_E10value_typeET4_jRbjT5_S1E_jjP12ihipStream_tbEUljE_ZNSN_ISO_Lb1ESQ_SR_ST_SU_SY_EESZ_S10_S11_S12_S16_S17_S18_S1B_S1C_jS1D_jS1E_S1E_jjS1G_bEUljE0_EEESZ_S10_S11_S18_S1C_S1E_T6_T7_T9_mT8_S1G_bDpT10_ENKUlT_T0_E_clISt17integral_constantIbLb0EES1U_EEDaS1P_S1Q_EUlS1P_E_NS1_11comp_targetILNS1_3genE4ELNS1_11target_archE910ELNS1_3gpuE8ELNS1_3repE0EEENS1_30default_config_static_selectorELNS0_4arch9wavefront6targetE0EEEvS12_
; %bb.0:
	.section	.rodata,"a",@progbits
	.p2align	6, 0x0
	.amdhsa_kernel _ZN7rocprim17ROCPRIM_400000_NS6detail17trampoline_kernelINS0_13select_configILj256ELj13ELNS0_17block_load_methodE3ELS4_3ELS4_3ELNS0_20block_scan_algorithmE0ELj4294967295EEENS1_25partition_config_selectorILNS1_17partition_subalgoE4EjNS0_10empty_typeEbEEZZNS1_14partition_implILS8_4ELb0ES6_15HIP_vector_typeIjLj2EENS0_17counting_iteratorIjlEEPS9_SG_NS0_5tupleIJPjSI_NS0_16reverse_iteratorISI_EEEEENSH_IJSG_SG_SG_EEES9_SI_JZNS1_25segmented_radix_sort_implINS0_14default_configELb1EPKsPsPKlPlN2at6native12_GLOBAL__N_18offset_tEEE10hipError_tPvRmT1_PNSt15iterator_traitsIS12_E10value_typeET2_T3_PNS13_IS18_E10value_typeET4_jRbjT5_S1E_jjP12ihipStream_tbEUljE_ZNSN_ISO_Lb1ESQ_SR_ST_SU_SY_EESZ_S10_S11_S12_S16_S17_S18_S1B_S1C_jS1D_jS1E_S1E_jjS1G_bEUljE0_EEESZ_S10_S11_S18_S1C_S1E_T6_T7_T9_mT8_S1G_bDpT10_ENKUlT_T0_E_clISt17integral_constantIbLb0EES1U_EEDaS1P_S1Q_EUlS1P_E_NS1_11comp_targetILNS1_3genE4ELNS1_11target_archE910ELNS1_3gpuE8ELNS1_3repE0EEENS1_30default_config_static_selectorELNS0_4arch9wavefront6targetE0EEEvS12_
		.amdhsa_group_segment_fixed_size 0
		.amdhsa_private_segment_fixed_size 0
		.amdhsa_kernarg_size 176
		.amdhsa_user_sgpr_count 15
		.amdhsa_user_sgpr_dispatch_ptr 0
		.amdhsa_user_sgpr_queue_ptr 0
		.amdhsa_user_sgpr_kernarg_segment_ptr 1
		.amdhsa_user_sgpr_dispatch_id 0
		.amdhsa_user_sgpr_private_segment_size 0
		.amdhsa_wavefront_size32 1
		.amdhsa_uses_dynamic_stack 0
		.amdhsa_enable_private_segment 0
		.amdhsa_system_sgpr_workgroup_id_x 1
		.amdhsa_system_sgpr_workgroup_id_y 0
		.amdhsa_system_sgpr_workgroup_id_z 0
		.amdhsa_system_sgpr_workgroup_info 0
		.amdhsa_system_vgpr_workitem_id 0
		.amdhsa_next_free_vgpr 1
		.amdhsa_next_free_sgpr 1
		.amdhsa_reserve_vcc 0
		.amdhsa_float_round_mode_32 0
		.amdhsa_float_round_mode_16_64 0
		.amdhsa_float_denorm_mode_32 3
		.amdhsa_float_denorm_mode_16_64 3
		.amdhsa_dx10_clamp 1
		.amdhsa_ieee_mode 1
		.amdhsa_fp16_overflow 0
		.amdhsa_workgroup_processor_mode 1
		.amdhsa_memory_ordered 1
		.amdhsa_forward_progress 0
		.amdhsa_shared_vgpr_count 0
		.amdhsa_exception_fp_ieee_invalid_op 0
		.amdhsa_exception_fp_denorm_src 0
		.amdhsa_exception_fp_ieee_div_zero 0
		.amdhsa_exception_fp_ieee_overflow 0
		.amdhsa_exception_fp_ieee_underflow 0
		.amdhsa_exception_fp_ieee_inexact 0
		.amdhsa_exception_int_div_zero 0
	.end_amdhsa_kernel
	.section	.text._ZN7rocprim17ROCPRIM_400000_NS6detail17trampoline_kernelINS0_13select_configILj256ELj13ELNS0_17block_load_methodE3ELS4_3ELS4_3ELNS0_20block_scan_algorithmE0ELj4294967295EEENS1_25partition_config_selectorILNS1_17partition_subalgoE4EjNS0_10empty_typeEbEEZZNS1_14partition_implILS8_4ELb0ES6_15HIP_vector_typeIjLj2EENS0_17counting_iteratorIjlEEPS9_SG_NS0_5tupleIJPjSI_NS0_16reverse_iteratorISI_EEEEENSH_IJSG_SG_SG_EEES9_SI_JZNS1_25segmented_radix_sort_implINS0_14default_configELb1EPKsPsPKlPlN2at6native12_GLOBAL__N_18offset_tEEE10hipError_tPvRmT1_PNSt15iterator_traitsIS12_E10value_typeET2_T3_PNS13_IS18_E10value_typeET4_jRbjT5_S1E_jjP12ihipStream_tbEUljE_ZNSN_ISO_Lb1ESQ_SR_ST_SU_SY_EESZ_S10_S11_S12_S16_S17_S18_S1B_S1C_jS1D_jS1E_S1E_jjS1G_bEUljE0_EEESZ_S10_S11_S18_S1C_S1E_T6_T7_T9_mT8_S1G_bDpT10_ENKUlT_T0_E_clISt17integral_constantIbLb0EES1U_EEDaS1P_S1Q_EUlS1P_E_NS1_11comp_targetILNS1_3genE4ELNS1_11target_archE910ELNS1_3gpuE8ELNS1_3repE0EEENS1_30default_config_static_selectorELNS0_4arch9wavefront6targetE0EEEvS12_,"axG",@progbits,_ZN7rocprim17ROCPRIM_400000_NS6detail17trampoline_kernelINS0_13select_configILj256ELj13ELNS0_17block_load_methodE3ELS4_3ELS4_3ELNS0_20block_scan_algorithmE0ELj4294967295EEENS1_25partition_config_selectorILNS1_17partition_subalgoE4EjNS0_10empty_typeEbEEZZNS1_14partition_implILS8_4ELb0ES6_15HIP_vector_typeIjLj2EENS0_17counting_iteratorIjlEEPS9_SG_NS0_5tupleIJPjSI_NS0_16reverse_iteratorISI_EEEEENSH_IJSG_SG_SG_EEES9_SI_JZNS1_25segmented_radix_sort_implINS0_14default_configELb1EPKsPsPKlPlN2at6native12_GLOBAL__N_18offset_tEEE10hipError_tPvRmT1_PNSt15iterator_traitsIS12_E10value_typeET2_T3_PNS13_IS18_E10value_typeET4_jRbjT5_S1E_jjP12ihipStream_tbEUljE_ZNSN_ISO_Lb1ESQ_SR_ST_SU_SY_EESZ_S10_S11_S12_S16_S17_S18_S1B_S1C_jS1D_jS1E_S1E_jjS1G_bEUljE0_EEESZ_S10_S11_S18_S1C_S1E_T6_T7_T9_mT8_S1G_bDpT10_ENKUlT_T0_E_clISt17integral_constantIbLb0EES1U_EEDaS1P_S1Q_EUlS1P_E_NS1_11comp_targetILNS1_3genE4ELNS1_11target_archE910ELNS1_3gpuE8ELNS1_3repE0EEENS1_30default_config_static_selectorELNS0_4arch9wavefront6targetE0EEEvS12_,comdat
.Lfunc_end849:
	.size	_ZN7rocprim17ROCPRIM_400000_NS6detail17trampoline_kernelINS0_13select_configILj256ELj13ELNS0_17block_load_methodE3ELS4_3ELS4_3ELNS0_20block_scan_algorithmE0ELj4294967295EEENS1_25partition_config_selectorILNS1_17partition_subalgoE4EjNS0_10empty_typeEbEEZZNS1_14partition_implILS8_4ELb0ES6_15HIP_vector_typeIjLj2EENS0_17counting_iteratorIjlEEPS9_SG_NS0_5tupleIJPjSI_NS0_16reverse_iteratorISI_EEEEENSH_IJSG_SG_SG_EEES9_SI_JZNS1_25segmented_radix_sort_implINS0_14default_configELb1EPKsPsPKlPlN2at6native12_GLOBAL__N_18offset_tEEE10hipError_tPvRmT1_PNSt15iterator_traitsIS12_E10value_typeET2_T3_PNS13_IS18_E10value_typeET4_jRbjT5_S1E_jjP12ihipStream_tbEUljE_ZNSN_ISO_Lb1ESQ_SR_ST_SU_SY_EESZ_S10_S11_S12_S16_S17_S18_S1B_S1C_jS1D_jS1E_S1E_jjS1G_bEUljE0_EEESZ_S10_S11_S18_S1C_S1E_T6_T7_T9_mT8_S1G_bDpT10_ENKUlT_T0_E_clISt17integral_constantIbLb0EES1U_EEDaS1P_S1Q_EUlS1P_E_NS1_11comp_targetILNS1_3genE4ELNS1_11target_archE910ELNS1_3gpuE8ELNS1_3repE0EEENS1_30default_config_static_selectorELNS0_4arch9wavefront6targetE0EEEvS12_, .Lfunc_end849-_ZN7rocprim17ROCPRIM_400000_NS6detail17trampoline_kernelINS0_13select_configILj256ELj13ELNS0_17block_load_methodE3ELS4_3ELS4_3ELNS0_20block_scan_algorithmE0ELj4294967295EEENS1_25partition_config_selectorILNS1_17partition_subalgoE4EjNS0_10empty_typeEbEEZZNS1_14partition_implILS8_4ELb0ES6_15HIP_vector_typeIjLj2EENS0_17counting_iteratorIjlEEPS9_SG_NS0_5tupleIJPjSI_NS0_16reverse_iteratorISI_EEEEENSH_IJSG_SG_SG_EEES9_SI_JZNS1_25segmented_radix_sort_implINS0_14default_configELb1EPKsPsPKlPlN2at6native12_GLOBAL__N_18offset_tEEE10hipError_tPvRmT1_PNSt15iterator_traitsIS12_E10value_typeET2_T3_PNS13_IS18_E10value_typeET4_jRbjT5_S1E_jjP12ihipStream_tbEUljE_ZNSN_ISO_Lb1ESQ_SR_ST_SU_SY_EESZ_S10_S11_S12_S16_S17_S18_S1B_S1C_jS1D_jS1E_S1E_jjS1G_bEUljE0_EEESZ_S10_S11_S18_S1C_S1E_T6_T7_T9_mT8_S1G_bDpT10_ENKUlT_T0_E_clISt17integral_constantIbLb0EES1U_EEDaS1P_S1Q_EUlS1P_E_NS1_11comp_targetILNS1_3genE4ELNS1_11target_archE910ELNS1_3gpuE8ELNS1_3repE0EEENS1_30default_config_static_selectorELNS0_4arch9wavefront6targetE0EEEvS12_
                                        ; -- End function
	.section	.AMDGPU.csdata,"",@progbits
; Kernel info:
; codeLenInByte = 0
; NumSgprs: 0
; NumVgprs: 0
; ScratchSize: 0
; MemoryBound: 0
; FloatMode: 240
; IeeeMode: 1
; LDSByteSize: 0 bytes/workgroup (compile time only)
; SGPRBlocks: 0
; VGPRBlocks: 0
; NumSGPRsForWavesPerEU: 1
; NumVGPRsForWavesPerEU: 1
; Occupancy: 16
; WaveLimiterHint : 0
; COMPUTE_PGM_RSRC2:SCRATCH_EN: 0
; COMPUTE_PGM_RSRC2:USER_SGPR: 15
; COMPUTE_PGM_RSRC2:TRAP_HANDLER: 0
; COMPUTE_PGM_RSRC2:TGID_X_EN: 1
; COMPUTE_PGM_RSRC2:TGID_Y_EN: 0
; COMPUTE_PGM_RSRC2:TGID_Z_EN: 0
; COMPUTE_PGM_RSRC2:TIDIG_COMP_CNT: 0
	.section	.text._ZN7rocprim17ROCPRIM_400000_NS6detail17trampoline_kernelINS0_13select_configILj256ELj13ELNS0_17block_load_methodE3ELS4_3ELS4_3ELNS0_20block_scan_algorithmE0ELj4294967295EEENS1_25partition_config_selectorILNS1_17partition_subalgoE4EjNS0_10empty_typeEbEEZZNS1_14partition_implILS8_4ELb0ES6_15HIP_vector_typeIjLj2EENS0_17counting_iteratorIjlEEPS9_SG_NS0_5tupleIJPjSI_NS0_16reverse_iteratorISI_EEEEENSH_IJSG_SG_SG_EEES9_SI_JZNS1_25segmented_radix_sort_implINS0_14default_configELb1EPKsPsPKlPlN2at6native12_GLOBAL__N_18offset_tEEE10hipError_tPvRmT1_PNSt15iterator_traitsIS12_E10value_typeET2_T3_PNS13_IS18_E10value_typeET4_jRbjT5_S1E_jjP12ihipStream_tbEUljE_ZNSN_ISO_Lb1ESQ_SR_ST_SU_SY_EESZ_S10_S11_S12_S16_S17_S18_S1B_S1C_jS1D_jS1E_S1E_jjS1G_bEUljE0_EEESZ_S10_S11_S18_S1C_S1E_T6_T7_T9_mT8_S1G_bDpT10_ENKUlT_T0_E_clISt17integral_constantIbLb0EES1U_EEDaS1P_S1Q_EUlS1P_E_NS1_11comp_targetILNS1_3genE3ELNS1_11target_archE908ELNS1_3gpuE7ELNS1_3repE0EEENS1_30default_config_static_selectorELNS0_4arch9wavefront6targetE0EEEvS12_,"axG",@progbits,_ZN7rocprim17ROCPRIM_400000_NS6detail17trampoline_kernelINS0_13select_configILj256ELj13ELNS0_17block_load_methodE3ELS4_3ELS4_3ELNS0_20block_scan_algorithmE0ELj4294967295EEENS1_25partition_config_selectorILNS1_17partition_subalgoE4EjNS0_10empty_typeEbEEZZNS1_14partition_implILS8_4ELb0ES6_15HIP_vector_typeIjLj2EENS0_17counting_iteratorIjlEEPS9_SG_NS0_5tupleIJPjSI_NS0_16reverse_iteratorISI_EEEEENSH_IJSG_SG_SG_EEES9_SI_JZNS1_25segmented_radix_sort_implINS0_14default_configELb1EPKsPsPKlPlN2at6native12_GLOBAL__N_18offset_tEEE10hipError_tPvRmT1_PNSt15iterator_traitsIS12_E10value_typeET2_T3_PNS13_IS18_E10value_typeET4_jRbjT5_S1E_jjP12ihipStream_tbEUljE_ZNSN_ISO_Lb1ESQ_SR_ST_SU_SY_EESZ_S10_S11_S12_S16_S17_S18_S1B_S1C_jS1D_jS1E_S1E_jjS1G_bEUljE0_EEESZ_S10_S11_S18_S1C_S1E_T6_T7_T9_mT8_S1G_bDpT10_ENKUlT_T0_E_clISt17integral_constantIbLb0EES1U_EEDaS1P_S1Q_EUlS1P_E_NS1_11comp_targetILNS1_3genE3ELNS1_11target_archE908ELNS1_3gpuE7ELNS1_3repE0EEENS1_30default_config_static_selectorELNS0_4arch9wavefront6targetE0EEEvS12_,comdat
	.globl	_ZN7rocprim17ROCPRIM_400000_NS6detail17trampoline_kernelINS0_13select_configILj256ELj13ELNS0_17block_load_methodE3ELS4_3ELS4_3ELNS0_20block_scan_algorithmE0ELj4294967295EEENS1_25partition_config_selectorILNS1_17partition_subalgoE4EjNS0_10empty_typeEbEEZZNS1_14partition_implILS8_4ELb0ES6_15HIP_vector_typeIjLj2EENS0_17counting_iteratorIjlEEPS9_SG_NS0_5tupleIJPjSI_NS0_16reverse_iteratorISI_EEEEENSH_IJSG_SG_SG_EEES9_SI_JZNS1_25segmented_radix_sort_implINS0_14default_configELb1EPKsPsPKlPlN2at6native12_GLOBAL__N_18offset_tEEE10hipError_tPvRmT1_PNSt15iterator_traitsIS12_E10value_typeET2_T3_PNS13_IS18_E10value_typeET4_jRbjT5_S1E_jjP12ihipStream_tbEUljE_ZNSN_ISO_Lb1ESQ_SR_ST_SU_SY_EESZ_S10_S11_S12_S16_S17_S18_S1B_S1C_jS1D_jS1E_S1E_jjS1G_bEUljE0_EEESZ_S10_S11_S18_S1C_S1E_T6_T7_T9_mT8_S1G_bDpT10_ENKUlT_T0_E_clISt17integral_constantIbLb0EES1U_EEDaS1P_S1Q_EUlS1P_E_NS1_11comp_targetILNS1_3genE3ELNS1_11target_archE908ELNS1_3gpuE7ELNS1_3repE0EEENS1_30default_config_static_selectorELNS0_4arch9wavefront6targetE0EEEvS12_ ; -- Begin function _ZN7rocprim17ROCPRIM_400000_NS6detail17trampoline_kernelINS0_13select_configILj256ELj13ELNS0_17block_load_methodE3ELS4_3ELS4_3ELNS0_20block_scan_algorithmE0ELj4294967295EEENS1_25partition_config_selectorILNS1_17partition_subalgoE4EjNS0_10empty_typeEbEEZZNS1_14partition_implILS8_4ELb0ES6_15HIP_vector_typeIjLj2EENS0_17counting_iteratorIjlEEPS9_SG_NS0_5tupleIJPjSI_NS0_16reverse_iteratorISI_EEEEENSH_IJSG_SG_SG_EEES9_SI_JZNS1_25segmented_radix_sort_implINS0_14default_configELb1EPKsPsPKlPlN2at6native12_GLOBAL__N_18offset_tEEE10hipError_tPvRmT1_PNSt15iterator_traitsIS12_E10value_typeET2_T3_PNS13_IS18_E10value_typeET4_jRbjT5_S1E_jjP12ihipStream_tbEUljE_ZNSN_ISO_Lb1ESQ_SR_ST_SU_SY_EESZ_S10_S11_S12_S16_S17_S18_S1B_S1C_jS1D_jS1E_S1E_jjS1G_bEUljE0_EEESZ_S10_S11_S18_S1C_S1E_T6_T7_T9_mT8_S1G_bDpT10_ENKUlT_T0_E_clISt17integral_constantIbLb0EES1U_EEDaS1P_S1Q_EUlS1P_E_NS1_11comp_targetILNS1_3genE3ELNS1_11target_archE908ELNS1_3gpuE7ELNS1_3repE0EEENS1_30default_config_static_selectorELNS0_4arch9wavefront6targetE0EEEvS12_
	.p2align	8
	.type	_ZN7rocprim17ROCPRIM_400000_NS6detail17trampoline_kernelINS0_13select_configILj256ELj13ELNS0_17block_load_methodE3ELS4_3ELS4_3ELNS0_20block_scan_algorithmE0ELj4294967295EEENS1_25partition_config_selectorILNS1_17partition_subalgoE4EjNS0_10empty_typeEbEEZZNS1_14partition_implILS8_4ELb0ES6_15HIP_vector_typeIjLj2EENS0_17counting_iteratorIjlEEPS9_SG_NS0_5tupleIJPjSI_NS0_16reverse_iteratorISI_EEEEENSH_IJSG_SG_SG_EEES9_SI_JZNS1_25segmented_radix_sort_implINS0_14default_configELb1EPKsPsPKlPlN2at6native12_GLOBAL__N_18offset_tEEE10hipError_tPvRmT1_PNSt15iterator_traitsIS12_E10value_typeET2_T3_PNS13_IS18_E10value_typeET4_jRbjT5_S1E_jjP12ihipStream_tbEUljE_ZNSN_ISO_Lb1ESQ_SR_ST_SU_SY_EESZ_S10_S11_S12_S16_S17_S18_S1B_S1C_jS1D_jS1E_S1E_jjS1G_bEUljE0_EEESZ_S10_S11_S18_S1C_S1E_T6_T7_T9_mT8_S1G_bDpT10_ENKUlT_T0_E_clISt17integral_constantIbLb0EES1U_EEDaS1P_S1Q_EUlS1P_E_NS1_11comp_targetILNS1_3genE3ELNS1_11target_archE908ELNS1_3gpuE7ELNS1_3repE0EEENS1_30default_config_static_selectorELNS0_4arch9wavefront6targetE0EEEvS12_,@function
_ZN7rocprim17ROCPRIM_400000_NS6detail17trampoline_kernelINS0_13select_configILj256ELj13ELNS0_17block_load_methodE3ELS4_3ELS4_3ELNS0_20block_scan_algorithmE0ELj4294967295EEENS1_25partition_config_selectorILNS1_17partition_subalgoE4EjNS0_10empty_typeEbEEZZNS1_14partition_implILS8_4ELb0ES6_15HIP_vector_typeIjLj2EENS0_17counting_iteratorIjlEEPS9_SG_NS0_5tupleIJPjSI_NS0_16reverse_iteratorISI_EEEEENSH_IJSG_SG_SG_EEES9_SI_JZNS1_25segmented_radix_sort_implINS0_14default_configELb1EPKsPsPKlPlN2at6native12_GLOBAL__N_18offset_tEEE10hipError_tPvRmT1_PNSt15iterator_traitsIS12_E10value_typeET2_T3_PNS13_IS18_E10value_typeET4_jRbjT5_S1E_jjP12ihipStream_tbEUljE_ZNSN_ISO_Lb1ESQ_SR_ST_SU_SY_EESZ_S10_S11_S12_S16_S17_S18_S1B_S1C_jS1D_jS1E_S1E_jjS1G_bEUljE0_EEESZ_S10_S11_S18_S1C_S1E_T6_T7_T9_mT8_S1G_bDpT10_ENKUlT_T0_E_clISt17integral_constantIbLb0EES1U_EEDaS1P_S1Q_EUlS1P_E_NS1_11comp_targetILNS1_3genE3ELNS1_11target_archE908ELNS1_3gpuE7ELNS1_3repE0EEENS1_30default_config_static_selectorELNS0_4arch9wavefront6targetE0EEEvS12_: ; @_ZN7rocprim17ROCPRIM_400000_NS6detail17trampoline_kernelINS0_13select_configILj256ELj13ELNS0_17block_load_methodE3ELS4_3ELS4_3ELNS0_20block_scan_algorithmE0ELj4294967295EEENS1_25partition_config_selectorILNS1_17partition_subalgoE4EjNS0_10empty_typeEbEEZZNS1_14partition_implILS8_4ELb0ES6_15HIP_vector_typeIjLj2EENS0_17counting_iteratorIjlEEPS9_SG_NS0_5tupleIJPjSI_NS0_16reverse_iteratorISI_EEEEENSH_IJSG_SG_SG_EEES9_SI_JZNS1_25segmented_radix_sort_implINS0_14default_configELb1EPKsPsPKlPlN2at6native12_GLOBAL__N_18offset_tEEE10hipError_tPvRmT1_PNSt15iterator_traitsIS12_E10value_typeET2_T3_PNS13_IS18_E10value_typeET4_jRbjT5_S1E_jjP12ihipStream_tbEUljE_ZNSN_ISO_Lb1ESQ_SR_ST_SU_SY_EESZ_S10_S11_S12_S16_S17_S18_S1B_S1C_jS1D_jS1E_S1E_jjS1G_bEUljE0_EEESZ_S10_S11_S18_S1C_S1E_T6_T7_T9_mT8_S1G_bDpT10_ENKUlT_T0_E_clISt17integral_constantIbLb0EES1U_EEDaS1P_S1Q_EUlS1P_E_NS1_11comp_targetILNS1_3genE3ELNS1_11target_archE908ELNS1_3gpuE7ELNS1_3repE0EEENS1_30default_config_static_selectorELNS0_4arch9wavefront6targetE0EEEvS12_
; %bb.0:
	.section	.rodata,"a",@progbits
	.p2align	6, 0x0
	.amdhsa_kernel _ZN7rocprim17ROCPRIM_400000_NS6detail17trampoline_kernelINS0_13select_configILj256ELj13ELNS0_17block_load_methodE3ELS4_3ELS4_3ELNS0_20block_scan_algorithmE0ELj4294967295EEENS1_25partition_config_selectorILNS1_17partition_subalgoE4EjNS0_10empty_typeEbEEZZNS1_14partition_implILS8_4ELb0ES6_15HIP_vector_typeIjLj2EENS0_17counting_iteratorIjlEEPS9_SG_NS0_5tupleIJPjSI_NS0_16reverse_iteratorISI_EEEEENSH_IJSG_SG_SG_EEES9_SI_JZNS1_25segmented_radix_sort_implINS0_14default_configELb1EPKsPsPKlPlN2at6native12_GLOBAL__N_18offset_tEEE10hipError_tPvRmT1_PNSt15iterator_traitsIS12_E10value_typeET2_T3_PNS13_IS18_E10value_typeET4_jRbjT5_S1E_jjP12ihipStream_tbEUljE_ZNSN_ISO_Lb1ESQ_SR_ST_SU_SY_EESZ_S10_S11_S12_S16_S17_S18_S1B_S1C_jS1D_jS1E_S1E_jjS1G_bEUljE0_EEESZ_S10_S11_S18_S1C_S1E_T6_T7_T9_mT8_S1G_bDpT10_ENKUlT_T0_E_clISt17integral_constantIbLb0EES1U_EEDaS1P_S1Q_EUlS1P_E_NS1_11comp_targetILNS1_3genE3ELNS1_11target_archE908ELNS1_3gpuE7ELNS1_3repE0EEENS1_30default_config_static_selectorELNS0_4arch9wavefront6targetE0EEEvS12_
		.amdhsa_group_segment_fixed_size 0
		.amdhsa_private_segment_fixed_size 0
		.amdhsa_kernarg_size 176
		.amdhsa_user_sgpr_count 15
		.amdhsa_user_sgpr_dispatch_ptr 0
		.amdhsa_user_sgpr_queue_ptr 0
		.amdhsa_user_sgpr_kernarg_segment_ptr 1
		.amdhsa_user_sgpr_dispatch_id 0
		.amdhsa_user_sgpr_private_segment_size 0
		.amdhsa_wavefront_size32 1
		.amdhsa_uses_dynamic_stack 0
		.amdhsa_enable_private_segment 0
		.amdhsa_system_sgpr_workgroup_id_x 1
		.amdhsa_system_sgpr_workgroup_id_y 0
		.amdhsa_system_sgpr_workgroup_id_z 0
		.amdhsa_system_sgpr_workgroup_info 0
		.amdhsa_system_vgpr_workitem_id 0
		.amdhsa_next_free_vgpr 1
		.amdhsa_next_free_sgpr 1
		.amdhsa_reserve_vcc 0
		.amdhsa_float_round_mode_32 0
		.amdhsa_float_round_mode_16_64 0
		.amdhsa_float_denorm_mode_32 3
		.amdhsa_float_denorm_mode_16_64 3
		.amdhsa_dx10_clamp 1
		.amdhsa_ieee_mode 1
		.amdhsa_fp16_overflow 0
		.amdhsa_workgroup_processor_mode 1
		.amdhsa_memory_ordered 1
		.amdhsa_forward_progress 0
		.amdhsa_shared_vgpr_count 0
		.amdhsa_exception_fp_ieee_invalid_op 0
		.amdhsa_exception_fp_denorm_src 0
		.amdhsa_exception_fp_ieee_div_zero 0
		.amdhsa_exception_fp_ieee_overflow 0
		.amdhsa_exception_fp_ieee_underflow 0
		.amdhsa_exception_fp_ieee_inexact 0
		.amdhsa_exception_int_div_zero 0
	.end_amdhsa_kernel
	.section	.text._ZN7rocprim17ROCPRIM_400000_NS6detail17trampoline_kernelINS0_13select_configILj256ELj13ELNS0_17block_load_methodE3ELS4_3ELS4_3ELNS0_20block_scan_algorithmE0ELj4294967295EEENS1_25partition_config_selectorILNS1_17partition_subalgoE4EjNS0_10empty_typeEbEEZZNS1_14partition_implILS8_4ELb0ES6_15HIP_vector_typeIjLj2EENS0_17counting_iteratorIjlEEPS9_SG_NS0_5tupleIJPjSI_NS0_16reverse_iteratorISI_EEEEENSH_IJSG_SG_SG_EEES9_SI_JZNS1_25segmented_radix_sort_implINS0_14default_configELb1EPKsPsPKlPlN2at6native12_GLOBAL__N_18offset_tEEE10hipError_tPvRmT1_PNSt15iterator_traitsIS12_E10value_typeET2_T3_PNS13_IS18_E10value_typeET4_jRbjT5_S1E_jjP12ihipStream_tbEUljE_ZNSN_ISO_Lb1ESQ_SR_ST_SU_SY_EESZ_S10_S11_S12_S16_S17_S18_S1B_S1C_jS1D_jS1E_S1E_jjS1G_bEUljE0_EEESZ_S10_S11_S18_S1C_S1E_T6_T7_T9_mT8_S1G_bDpT10_ENKUlT_T0_E_clISt17integral_constantIbLb0EES1U_EEDaS1P_S1Q_EUlS1P_E_NS1_11comp_targetILNS1_3genE3ELNS1_11target_archE908ELNS1_3gpuE7ELNS1_3repE0EEENS1_30default_config_static_selectorELNS0_4arch9wavefront6targetE0EEEvS12_,"axG",@progbits,_ZN7rocprim17ROCPRIM_400000_NS6detail17trampoline_kernelINS0_13select_configILj256ELj13ELNS0_17block_load_methodE3ELS4_3ELS4_3ELNS0_20block_scan_algorithmE0ELj4294967295EEENS1_25partition_config_selectorILNS1_17partition_subalgoE4EjNS0_10empty_typeEbEEZZNS1_14partition_implILS8_4ELb0ES6_15HIP_vector_typeIjLj2EENS0_17counting_iteratorIjlEEPS9_SG_NS0_5tupleIJPjSI_NS0_16reverse_iteratorISI_EEEEENSH_IJSG_SG_SG_EEES9_SI_JZNS1_25segmented_radix_sort_implINS0_14default_configELb1EPKsPsPKlPlN2at6native12_GLOBAL__N_18offset_tEEE10hipError_tPvRmT1_PNSt15iterator_traitsIS12_E10value_typeET2_T3_PNS13_IS18_E10value_typeET4_jRbjT5_S1E_jjP12ihipStream_tbEUljE_ZNSN_ISO_Lb1ESQ_SR_ST_SU_SY_EESZ_S10_S11_S12_S16_S17_S18_S1B_S1C_jS1D_jS1E_S1E_jjS1G_bEUljE0_EEESZ_S10_S11_S18_S1C_S1E_T6_T7_T9_mT8_S1G_bDpT10_ENKUlT_T0_E_clISt17integral_constantIbLb0EES1U_EEDaS1P_S1Q_EUlS1P_E_NS1_11comp_targetILNS1_3genE3ELNS1_11target_archE908ELNS1_3gpuE7ELNS1_3repE0EEENS1_30default_config_static_selectorELNS0_4arch9wavefront6targetE0EEEvS12_,comdat
.Lfunc_end850:
	.size	_ZN7rocprim17ROCPRIM_400000_NS6detail17trampoline_kernelINS0_13select_configILj256ELj13ELNS0_17block_load_methodE3ELS4_3ELS4_3ELNS0_20block_scan_algorithmE0ELj4294967295EEENS1_25partition_config_selectorILNS1_17partition_subalgoE4EjNS0_10empty_typeEbEEZZNS1_14partition_implILS8_4ELb0ES6_15HIP_vector_typeIjLj2EENS0_17counting_iteratorIjlEEPS9_SG_NS0_5tupleIJPjSI_NS0_16reverse_iteratorISI_EEEEENSH_IJSG_SG_SG_EEES9_SI_JZNS1_25segmented_radix_sort_implINS0_14default_configELb1EPKsPsPKlPlN2at6native12_GLOBAL__N_18offset_tEEE10hipError_tPvRmT1_PNSt15iterator_traitsIS12_E10value_typeET2_T3_PNS13_IS18_E10value_typeET4_jRbjT5_S1E_jjP12ihipStream_tbEUljE_ZNSN_ISO_Lb1ESQ_SR_ST_SU_SY_EESZ_S10_S11_S12_S16_S17_S18_S1B_S1C_jS1D_jS1E_S1E_jjS1G_bEUljE0_EEESZ_S10_S11_S18_S1C_S1E_T6_T7_T9_mT8_S1G_bDpT10_ENKUlT_T0_E_clISt17integral_constantIbLb0EES1U_EEDaS1P_S1Q_EUlS1P_E_NS1_11comp_targetILNS1_3genE3ELNS1_11target_archE908ELNS1_3gpuE7ELNS1_3repE0EEENS1_30default_config_static_selectorELNS0_4arch9wavefront6targetE0EEEvS12_, .Lfunc_end850-_ZN7rocprim17ROCPRIM_400000_NS6detail17trampoline_kernelINS0_13select_configILj256ELj13ELNS0_17block_load_methodE3ELS4_3ELS4_3ELNS0_20block_scan_algorithmE0ELj4294967295EEENS1_25partition_config_selectorILNS1_17partition_subalgoE4EjNS0_10empty_typeEbEEZZNS1_14partition_implILS8_4ELb0ES6_15HIP_vector_typeIjLj2EENS0_17counting_iteratorIjlEEPS9_SG_NS0_5tupleIJPjSI_NS0_16reverse_iteratorISI_EEEEENSH_IJSG_SG_SG_EEES9_SI_JZNS1_25segmented_radix_sort_implINS0_14default_configELb1EPKsPsPKlPlN2at6native12_GLOBAL__N_18offset_tEEE10hipError_tPvRmT1_PNSt15iterator_traitsIS12_E10value_typeET2_T3_PNS13_IS18_E10value_typeET4_jRbjT5_S1E_jjP12ihipStream_tbEUljE_ZNSN_ISO_Lb1ESQ_SR_ST_SU_SY_EESZ_S10_S11_S12_S16_S17_S18_S1B_S1C_jS1D_jS1E_S1E_jjS1G_bEUljE0_EEESZ_S10_S11_S18_S1C_S1E_T6_T7_T9_mT8_S1G_bDpT10_ENKUlT_T0_E_clISt17integral_constantIbLb0EES1U_EEDaS1P_S1Q_EUlS1P_E_NS1_11comp_targetILNS1_3genE3ELNS1_11target_archE908ELNS1_3gpuE7ELNS1_3repE0EEENS1_30default_config_static_selectorELNS0_4arch9wavefront6targetE0EEEvS12_
                                        ; -- End function
	.section	.AMDGPU.csdata,"",@progbits
; Kernel info:
; codeLenInByte = 0
; NumSgprs: 0
; NumVgprs: 0
; ScratchSize: 0
; MemoryBound: 0
; FloatMode: 240
; IeeeMode: 1
; LDSByteSize: 0 bytes/workgroup (compile time only)
; SGPRBlocks: 0
; VGPRBlocks: 0
; NumSGPRsForWavesPerEU: 1
; NumVGPRsForWavesPerEU: 1
; Occupancy: 16
; WaveLimiterHint : 0
; COMPUTE_PGM_RSRC2:SCRATCH_EN: 0
; COMPUTE_PGM_RSRC2:USER_SGPR: 15
; COMPUTE_PGM_RSRC2:TRAP_HANDLER: 0
; COMPUTE_PGM_RSRC2:TGID_X_EN: 1
; COMPUTE_PGM_RSRC2:TGID_Y_EN: 0
; COMPUTE_PGM_RSRC2:TGID_Z_EN: 0
; COMPUTE_PGM_RSRC2:TIDIG_COMP_CNT: 0
	.section	.text._ZN7rocprim17ROCPRIM_400000_NS6detail17trampoline_kernelINS0_13select_configILj256ELj13ELNS0_17block_load_methodE3ELS4_3ELS4_3ELNS0_20block_scan_algorithmE0ELj4294967295EEENS1_25partition_config_selectorILNS1_17partition_subalgoE4EjNS0_10empty_typeEbEEZZNS1_14partition_implILS8_4ELb0ES6_15HIP_vector_typeIjLj2EENS0_17counting_iteratorIjlEEPS9_SG_NS0_5tupleIJPjSI_NS0_16reverse_iteratorISI_EEEEENSH_IJSG_SG_SG_EEES9_SI_JZNS1_25segmented_radix_sort_implINS0_14default_configELb1EPKsPsPKlPlN2at6native12_GLOBAL__N_18offset_tEEE10hipError_tPvRmT1_PNSt15iterator_traitsIS12_E10value_typeET2_T3_PNS13_IS18_E10value_typeET4_jRbjT5_S1E_jjP12ihipStream_tbEUljE_ZNSN_ISO_Lb1ESQ_SR_ST_SU_SY_EESZ_S10_S11_S12_S16_S17_S18_S1B_S1C_jS1D_jS1E_S1E_jjS1G_bEUljE0_EEESZ_S10_S11_S18_S1C_S1E_T6_T7_T9_mT8_S1G_bDpT10_ENKUlT_T0_E_clISt17integral_constantIbLb0EES1U_EEDaS1P_S1Q_EUlS1P_E_NS1_11comp_targetILNS1_3genE2ELNS1_11target_archE906ELNS1_3gpuE6ELNS1_3repE0EEENS1_30default_config_static_selectorELNS0_4arch9wavefront6targetE0EEEvS12_,"axG",@progbits,_ZN7rocprim17ROCPRIM_400000_NS6detail17trampoline_kernelINS0_13select_configILj256ELj13ELNS0_17block_load_methodE3ELS4_3ELS4_3ELNS0_20block_scan_algorithmE0ELj4294967295EEENS1_25partition_config_selectorILNS1_17partition_subalgoE4EjNS0_10empty_typeEbEEZZNS1_14partition_implILS8_4ELb0ES6_15HIP_vector_typeIjLj2EENS0_17counting_iteratorIjlEEPS9_SG_NS0_5tupleIJPjSI_NS0_16reverse_iteratorISI_EEEEENSH_IJSG_SG_SG_EEES9_SI_JZNS1_25segmented_radix_sort_implINS0_14default_configELb1EPKsPsPKlPlN2at6native12_GLOBAL__N_18offset_tEEE10hipError_tPvRmT1_PNSt15iterator_traitsIS12_E10value_typeET2_T3_PNS13_IS18_E10value_typeET4_jRbjT5_S1E_jjP12ihipStream_tbEUljE_ZNSN_ISO_Lb1ESQ_SR_ST_SU_SY_EESZ_S10_S11_S12_S16_S17_S18_S1B_S1C_jS1D_jS1E_S1E_jjS1G_bEUljE0_EEESZ_S10_S11_S18_S1C_S1E_T6_T7_T9_mT8_S1G_bDpT10_ENKUlT_T0_E_clISt17integral_constantIbLb0EES1U_EEDaS1P_S1Q_EUlS1P_E_NS1_11comp_targetILNS1_3genE2ELNS1_11target_archE906ELNS1_3gpuE6ELNS1_3repE0EEENS1_30default_config_static_selectorELNS0_4arch9wavefront6targetE0EEEvS12_,comdat
	.globl	_ZN7rocprim17ROCPRIM_400000_NS6detail17trampoline_kernelINS0_13select_configILj256ELj13ELNS0_17block_load_methodE3ELS4_3ELS4_3ELNS0_20block_scan_algorithmE0ELj4294967295EEENS1_25partition_config_selectorILNS1_17partition_subalgoE4EjNS0_10empty_typeEbEEZZNS1_14partition_implILS8_4ELb0ES6_15HIP_vector_typeIjLj2EENS0_17counting_iteratorIjlEEPS9_SG_NS0_5tupleIJPjSI_NS0_16reverse_iteratorISI_EEEEENSH_IJSG_SG_SG_EEES9_SI_JZNS1_25segmented_radix_sort_implINS0_14default_configELb1EPKsPsPKlPlN2at6native12_GLOBAL__N_18offset_tEEE10hipError_tPvRmT1_PNSt15iterator_traitsIS12_E10value_typeET2_T3_PNS13_IS18_E10value_typeET4_jRbjT5_S1E_jjP12ihipStream_tbEUljE_ZNSN_ISO_Lb1ESQ_SR_ST_SU_SY_EESZ_S10_S11_S12_S16_S17_S18_S1B_S1C_jS1D_jS1E_S1E_jjS1G_bEUljE0_EEESZ_S10_S11_S18_S1C_S1E_T6_T7_T9_mT8_S1G_bDpT10_ENKUlT_T0_E_clISt17integral_constantIbLb0EES1U_EEDaS1P_S1Q_EUlS1P_E_NS1_11comp_targetILNS1_3genE2ELNS1_11target_archE906ELNS1_3gpuE6ELNS1_3repE0EEENS1_30default_config_static_selectorELNS0_4arch9wavefront6targetE0EEEvS12_ ; -- Begin function _ZN7rocprim17ROCPRIM_400000_NS6detail17trampoline_kernelINS0_13select_configILj256ELj13ELNS0_17block_load_methodE3ELS4_3ELS4_3ELNS0_20block_scan_algorithmE0ELj4294967295EEENS1_25partition_config_selectorILNS1_17partition_subalgoE4EjNS0_10empty_typeEbEEZZNS1_14partition_implILS8_4ELb0ES6_15HIP_vector_typeIjLj2EENS0_17counting_iteratorIjlEEPS9_SG_NS0_5tupleIJPjSI_NS0_16reverse_iteratorISI_EEEEENSH_IJSG_SG_SG_EEES9_SI_JZNS1_25segmented_radix_sort_implINS0_14default_configELb1EPKsPsPKlPlN2at6native12_GLOBAL__N_18offset_tEEE10hipError_tPvRmT1_PNSt15iterator_traitsIS12_E10value_typeET2_T3_PNS13_IS18_E10value_typeET4_jRbjT5_S1E_jjP12ihipStream_tbEUljE_ZNSN_ISO_Lb1ESQ_SR_ST_SU_SY_EESZ_S10_S11_S12_S16_S17_S18_S1B_S1C_jS1D_jS1E_S1E_jjS1G_bEUljE0_EEESZ_S10_S11_S18_S1C_S1E_T6_T7_T9_mT8_S1G_bDpT10_ENKUlT_T0_E_clISt17integral_constantIbLb0EES1U_EEDaS1P_S1Q_EUlS1P_E_NS1_11comp_targetILNS1_3genE2ELNS1_11target_archE906ELNS1_3gpuE6ELNS1_3repE0EEENS1_30default_config_static_selectorELNS0_4arch9wavefront6targetE0EEEvS12_
	.p2align	8
	.type	_ZN7rocprim17ROCPRIM_400000_NS6detail17trampoline_kernelINS0_13select_configILj256ELj13ELNS0_17block_load_methodE3ELS4_3ELS4_3ELNS0_20block_scan_algorithmE0ELj4294967295EEENS1_25partition_config_selectorILNS1_17partition_subalgoE4EjNS0_10empty_typeEbEEZZNS1_14partition_implILS8_4ELb0ES6_15HIP_vector_typeIjLj2EENS0_17counting_iteratorIjlEEPS9_SG_NS0_5tupleIJPjSI_NS0_16reverse_iteratorISI_EEEEENSH_IJSG_SG_SG_EEES9_SI_JZNS1_25segmented_radix_sort_implINS0_14default_configELb1EPKsPsPKlPlN2at6native12_GLOBAL__N_18offset_tEEE10hipError_tPvRmT1_PNSt15iterator_traitsIS12_E10value_typeET2_T3_PNS13_IS18_E10value_typeET4_jRbjT5_S1E_jjP12ihipStream_tbEUljE_ZNSN_ISO_Lb1ESQ_SR_ST_SU_SY_EESZ_S10_S11_S12_S16_S17_S18_S1B_S1C_jS1D_jS1E_S1E_jjS1G_bEUljE0_EEESZ_S10_S11_S18_S1C_S1E_T6_T7_T9_mT8_S1G_bDpT10_ENKUlT_T0_E_clISt17integral_constantIbLb0EES1U_EEDaS1P_S1Q_EUlS1P_E_NS1_11comp_targetILNS1_3genE2ELNS1_11target_archE906ELNS1_3gpuE6ELNS1_3repE0EEENS1_30default_config_static_selectorELNS0_4arch9wavefront6targetE0EEEvS12_,@function
_ZN7rocprim17ROCPRIM_400000_NS6detail17trampoline_kernelINS0_13select_configILj256ELj13ELNS0_17block_load_methodE3ELS4_3ELS4_3ELNS0_20block_scan_algorithmE0ELj4294967295EEENS1_25partition_config_selectorILNS1_17partition_subalgoE4EjNS0_10empty_typeEbEEZZNS1_14partition_implILS8_4ELb0ES6_15HIP_vector_typeIjLj2EENS0_17counting_iteratorIjlEEPS9_SG_NS0_5tupleIJPjSI_NS0_16reverse_iteratorISI_EEEEENSH_IJSG_SG_SG_EEES9_SI_JZNS1_25segmented_radix_sort_implINS0_14default_configELb1EPKsPsPKlPlN2at6native12_GLOBAL__N_18offset_tEEE10hipError_tPvRmT1_PNSt15iterator_traitsIS12_E10value_typeET2_T3_PNS13_IS18_E10value_typeET4_jRbjT5_S1E_jjP12ihipStream_tbEUljE_ZNSN_ISO_Lb1ESQ_SR_ST_SU_SY_EESZ_S10_S11_S12_S16_S17_S18_S1B_S1C_jS1D_jS1E_S1E_jjS1G_bEUljE0_EEESZ_S10_S11_S18_S1C_S1E_T6_T7_T9_mT8_S1G_bDpT10_ENKUlT_T0_E_clISt17integral_constantIbLb0EES1U_EEDaS1P_S1Q_EUlS1P_E_NS1_11comp_targetILNS1_3genE2ELNS1_11target_archE906ELNS1_3gpuE6ELNS1_3repE0EEENS1_30default_config_static_selectorELNS0_4arch9wavefront6targetE0EEEvS12_: ; @_ZN7rocprim17ROCPRIM_400000_NS6detail17trampoline_kernelINS0_13select_configILj256ELj13ELNS0_17block_load_methodE3ELS4_3ELS4_3ELNS0_20block_scan_algorithmE0ELj4294967295EEENS1_25partition_config_selectorILNS1_17partition_subalgoE4EjNS0_10empty_typeEbEEZZNS1_14partition_implILS8_4ELb0ES6_15HIP_vector_typeIjLj2EENS0_17counting_iteratorIjlEEPS9_SG_NS0_5tupleIJPjSI_NS0_16reverse_iteratorISI_EEEEENSH_IJSG_SG_SG_EEES9_SI_JZNS1_25segmented_radix_sort_implINS0_14default_configELb1EPKsPsPKlPlN2at6native12_GLOBAL__N_18offset_tEEE10hipError_tPvRmT1_PNSt15iterator_traitsIS12_E10value_typeET2_T3_PNS13_IS18_E10value_typeET4_jRbjT5_S1E_jjP12ihipStream_tbEUljE_ZNSN_ISO_Lb1ESQ_SR_ST_SU_SY_EESZ_S10_S11_S12_S16_S17_S18_S1B_S1C_jS1D_jS1E_S1E_jjS1G_bEUljE0_EEESZ_S10_S11_S18_S1C_S1E_T6_T7_T9_mT8_S1G_bDpT10_ENKUlT_T0_E_clISt17integral_constantIbLb0EES1U_EEDaS1P_S1Q_EUlS1P_E_NS1_11comp_targetILNS1_3genE2ELNS1_11target_archE906ELNS1_3gpuE6ELNS1_3repE0EEENS1_30default_config_static_selectorELNS0_4arch9wavefront6targetE0EEEvS12_
; %bb.0:
	.section	.rodata,"a",@progbits
	.p2align	6, 0x0
	.amdhsa_kernel _ZN7rocprim17ROCPRIM_400000_NS6detail17trampoline_kernelINS0_13select_configILj256ELj13ELNS0_17block_load_methodE3ELS4_3ELS4_3ELNS0_20block_scan_algorithmE0ELj4294967295EEENS1_25partition_config_selectorILNS1_17partition_subalgoE4EjNS0_10empty_typeEbEEZZNS1_14partition_implILS8_4ELb0ES6_15HIP_vector_typeIjLj2EENS0_17counting_iteratorIjlEEPS9_SG_NS0_5tupleIJPjSI_NS0_16reverse_iteratorISI_EEEEENSH_IJSG_SG_SG_EEES9_SI_JZNS1_25segmented_radix_sort_implINS0_14default_configELb1EPKsPsPKlPlN2at6native12_GLOBAL__N_18offset_tEEE10hipError_tPvRmT1_PNSt15iterator_traitsIS12_E10value_typeET2_T3_PNS13_IS18_E10value_typeET4_jRbjT5_S1E_jjP12ihipStream_tbEUljE_ZNSN_ISO_Lb1ESQ_SR_ST_SU_SY_EESZ_S10_S11_S12_S16_S17_S18_S1B_S1C_jS1D_jS1E_S1E_jjS1G_bEUljE0_EEESZ_S10_S11_S18_S1C_S1E_T6_T7_T9_mT8_S1G_bDpT10_ENKUlT_T0_E_clISt17integral_constantIbLb0EES1U_EEDaS1P_S1Q_EUlS1P_E_NS1_11comp_targetILNS1_3genE2ELNS1_11target_archE906ELNS1_3gpuE6ELNS1_3repE0EEENS1_30default_config_static_selectorELNS0_4arch9wavefront6targetE0EEEvS12_
		.amdhsa_group_segment_fixed_size 0
		.amdhsa_private_segment_fixed_size 0
		.amdhsa_kernarg_size 176
		.amdhsa_user_sgpr_count 15
		.amdhsa_user_sgpr_dispatch_ptr 0
		.amdhsa_user_sgpr_queue_ptr 0
		.amdhsa_user_sgpr_kernarg_segment_ptr 1
		.amdhsa_user_sgpr_dispatch_id 0
		.amdhsa_user_sgpr_private_segment_size 0
		.amdhsa_wavefront_size32 1
		.amdhsa_uses_dynamic_stack 0
		.amdhsa_enable_private_segment 0
		.amdhsa_system_sgpr_workgroup_id_x 1
		.amdhsa_system_sgpr_workgroup_id_y 0
		.amdhsa_system_sgpr_workgroup_id_z 0
		.amdhsa_system_sgpr_workgroup_info 0
		.amdhsa_system_vgpr_workitem_id 0
		.amdhsa_next_free_vgpr 1
		.amdhsa_next_free_sgpr 1
		.amdhsa_reserve_vcc 0
		.amdhsa_float_round_mode_32 0
		.amdhsa_float_round_mode_16_64 0
		.amdhsa_float_denorm_mode_32 3
		.amdhsa_float_denorm_mode_16_64 3
		.amdhsa_dx10_clamp 1
		.amdhsa_ieee_mode 1
		.amdhsa_fp16_overflow 0
		.amdhsa_workgroup_processor_mode 1
		.amdhsa_memory_ordered 1
		.amdhsa_forward_progress 0
		.amdhsa_shared_vgpr_count 0
		.amdhsa_exception_fp_ieee_invalid_op 0
		.amdhsa_exception_fp_denorm_src 0
		.amdhsa_exception_fp_ieee_div_zero 0
		.amdhsa_exception_fp_ieee_overflow 0
		.amdhsa_exception_fp_ieee_underflow 0
		.amdhsa_exception_fp_ieee_inexact 0
		.amdhsa_exception_int_div_zero 0
	.end_amdhsa_kernel
	.section	.text._ZN7rocprim17ROCPRIM_400000_NS6detail17trampoline_kernelINS0_13select_configILj256ELj13ELNS0_17block_load_methodE3ELS4_3ELS4_3ELNS0_20block_scan_algorithmE0ELj4294967295EEENS1_25partition_config_selectorILNS1_17partition_subalgoE4EjNS0_10empty_typeEbEEZZNS1_14partition_implILS8_4ELb0ES6_15HIP_vector_typeIjLj2EENS0_17counting_iteratorIjlEEPS9_SG_NS0_5tupleIJPjSI_NS0_16reverse_iteratorISI_EEEEENSH_IJSG_SG_SG_EEES9_SI_JZNS1_25segmented_radix_sort_implINS0_14default_configELb1EPKsPsPKlPlN2at6native12_GLOBAL__N_18offset_tEEE10hipError_tPvRmT1_PNSt15iterator_traitsIS12_E10value_typeET2_T3_PNS13_IS18_E10value_typeET4_jRbjT5_S1E_jjP12ihipStream_tbEUljE_ZNSN_ISO_Lb1ESQ_SR_ST_SU_SY_EESZ_S10_S11_S12_S16_S17_S18_S1B_S1C_jS1D_jS1E_S1E_jjS1G_bEUljE0_EEESZ_S10_S11_S18_S1C_S1E_T6_T7_T9_mT8_S1G_bDpT10_ENKUlT_T0_E_clISt17integral_constantIbLb0EES1U_EEDaS1P_S1Q_EUlS1P_E_NS1_11comp_targetILNS1_3genE2ELNS1_11target_archE906ELNS1_3gpuE6ELNS1_3repE0EEENS1_30default_config_static_selectorELNS0_4arch9wavefront6targetE0EEEvS12_,"axG",@progbits,_ZN7rocprim17ROCPRIM_400000_NS6detail17trampoline_kernelINS0_13select_configILj256ELj13ELNS0_17block_load_methodE3ELS4_3ELS4_3ELNS0_20block_scan_algorithmE0ELj4294967295EEENS1_25partition_config_selectorILNS1_17partition_subalgoE4EjNS0_10empty_typeEbEEZZNS1_14partition_implILS8_4ELb0ES6_15HIP_vector_typeIjLj2EENS0_17counting_iteratorIjlEEPS9_SG_NS0_5tupleIJPjSI_NS0_16reverse_iteratorISI_EEEEENSH_IJSG_SG_SG_EEES9_SI_JZNS1_25segmented_radix_sort_implINS0_14default_configELb1EPKsPsPKlPlN2at6native12_GLOBAL__N_18offset_tEEE10hipError_tPvRmT1_PNSt15iterator_traitsIS12_E10value_typeET2_T3_PNS13_IS18_E10value_typeET4_jRbjT5_S1E_jjP12ihipStream_tbEUljE_ZNSN_ISO_Lb1ESQ_SR_ST_SU_SY_EESZ_S10_S11_S12_S16_S17_S18_S1B_S1C_jS1D_jS1E_S1E_jjS1G_bEUljE0_EEESZ_S10_S11_S18_S1C_S1E_T6_T7_T9_mT8_S1G_bDpT10_ENKUlT_T0_E_clISt17integral_constantIbLb0EES1U_EEDaS1P_S1Q_EUlS1P_E_NS1_11comp_targetILNS1_3genE2ELNS1_11target_archE906ELNS1_3gpuE6ELNS1_3repE0EEENS1_30default_config_static_selectorELNS0_4arch9wavefront6targetE0EEEvS12_,comdat
.Lfunc_end851:
	.size	_ZN7rocprim17ROCPRIM_400000_NS6detail17trampoline_kernelINS0_13select_configILj256ELj13ELNS0_17block_load_methodE3ELS4_3ELS4_3ELNS0_20block_scan_algorithmE0ELj4294967295EEENS1_25partition_config_selectorILNS1_17partition_subalgoE4EjNS0_10empty_typeEbEEZZNS1_14partition_implILS8_4ELb0ES6_15HIP_vector_typeIjLj2EENS0_17counting_iteratorIjlEEPS9_SG_NS0_5tupleIJPjSI_NS0_16reverse_iteratorISI_EEEEENSH_IJSG_SG_SG_EEES9_SI_JZNS1_25segmented_radix_sort_implINS0_14default_configELb1EPKsPsPKlPlN2at6native12_GLOBAL__N_18offset_tEEE10hipError_tPvRmT1_PNSt15iterator_traitsIS12_E10value_typeET2_T3_PNS13_IS18_E10value_typeET4_jRbjT5_S1E_jjP12ihipStream_tbEUljE_ZNSN_ISO_Lb1ESQ_SR_ST_SU_SY_EESZ_S10_S11_S12_S16_S17_S18_S1B_S1C_jS1D_jS1E_S1E_jjS1G_bEUljE0_EEESZ_S10_S11_S18_S1C_S1E_T6_T7_T9_mT8_S1G_bDpT10_ENKUlT_T0_E_clISt17integral_constantIbLb0EES1U_EEDaS1P_S1Q_EUlS1P_E_NS1_11comp_targetILNS1_3genE2ELNS1_11target_archE906ELNS1_3gpuE6ELNS1_3repE0EEENS1_30default_config_static_selectorELNS0_4arch9wavefront6targetE0EEEvS12_, .Lfunc_end851-_ZN7rocprim17ROCPRIM_400000_NS6detail17trampoline_kernelINS0_13select_configILj256ELj13ELNS0_17block_load_methodE3ELS4_3ELS4_3ELNS0_20block_scan_algorithmE0ELj4294967295EEENS1_25partition_config_selectorILNS1_17partition_subalgoE4EjNS0_10empty_typeEbEEZZNS1_14partition_implILS8_4ELb0ES6_15HIP_vector_typeIjLj2EENS0_17counting_iteratorIjlEEPS9_SG_NS0_5tupleIJPjSI_NS0_16reverse_iteratorISI_EEEEENSH_IJSG_SG_SG_EEES9_SI_JZNS1_25segmented_radix_sort_implINS0_14default_configELb1EPKsPsPKlPlN2at6native12_GLOBAL__N_18offset_tEEE10hipError_tPvRmT1_PNSt15iterator_traitsIS12_E10value_typeET2_T3_PNS13_IS18_E10value_typeET4_jRbjT5_S1E_jjP12ihipStream_tbEUljE_ZNSN_ISO_Lb1ESQ_SR_ST_SU_SY_EESZ_S10_S11_S12_S16_S17_S18_S1B_S1C_jS1D_jS1E_S1E_jjS1G_bEUljE0_EEESZ_S10_S11_S18_S1C_S1E_T6_T7_T9_mT8_S1G_bDpT10_ENKUlT_T0_E_clISt17integral_constantIbLb0EES1U_EEDaS1P_S1Q_EUlS1P_E_NS1_11comp_targetILNS1_3genE2ELNS1_11target_archE906ELNS1_3gpuE6ELNS1_3repE0EEENS1_30default_config_static_selectorELNS0_4arch9wavefront6targetE0EEEvS12_
                                        ; -- End function
	.section	.AMDGPU.csdata,"",@progbits
; Kernel info:
; codeLenInByte = 0
; NumSgprs: 0
; NumVgprs: 0
; ScratchSize: 0
; MemoryBound: 0
; FloatMode: 240
; IeeeMode: 1
; LDSByteSize: 0 bytes/workgroup (compile time only)
; SGPRBlocks: 0
; VGPRBlocks: 0
; NumSGPRsForWavesPerEU: 1
; NumVGPRsForWavesPerEU: 1
; Occupancy: 16
; WaveLimiterHint : 0
; COMPUTE_PGM_RSRC2:SCRATCH_EN: 0
; COMPUTE_PGM_RSRC2:USER_SGPR: 15
; COMPUTE_PGM_RSRC2:TRAP_HANDLER: 0
; COMPUTE_PGM_RSRC2:TGID_X_EN: 1
; COMPUTE_PGM_RSRC2:TGID_Y_EN: 0
; COMPUTE_PGM_RSRC2:TGID_Z_EN: 0
; COMPUTE_PGM_RSRC2:TIDIG_COMP_CNT: 0
	.section	.text._ZN7rocprim17ROCPRIM_400000_NS6detail17trampoline_kernelINS0_13select_configILj256ELj13ELNS0_17block_load_methodE3ELS4_3ELS4_3ELNS0_20block_scan_algorithmE0ELj4294967295EEENS1_25partition_config_selectorILNS1_17partition_subalgoE4EjNS0_10empty_typeEbEEZZNS1_14partition_implILS8_4ELb0ES6_15HIP_vector_typeIjLj2EENS0_17counting_iteratorIjlEEPS9_SG_NS0_5tupleIJPjSI_NS0_16reverse_iteratorISI_EEEEENSH_IJSG_SG_SG_EEES9_SI_JZNS1_25segmented_radix_sort_implINS0_14default_configELb1EPKsPsPKlPlN2at6native12_GLOBAL__N_18offset_tEEE10hipError_tPvRmT1_PNSt15iterator_traitsIS12_E10value_typeET2_T3_PNS13_IS18_E10value_typeET4_jRbjT5_S1E_jjP12ihipStream_tbEUljE_ZNSN_ISO_Lb1ESQ_SR_ST_SU_SY_EESZ_S10_S11_S12_S16_S17_S18_S1B_S1C_jS1D_jS1E_S1E_jjS1G_bEUljE0_EEESZ_S10_S11_S18_S1C_S1E_T6_T7_T9_mT8_S1G_bDpT10_ENKUlT_T0_E_clISt17integral_constantIbLb0EES1U_EEDaS1P_S1Q_EUlS1P_E_NS1_11comp_targetILNS1_3genE10ELNS1_11target_archE1200ELNS1_3gpuE4ELNS1_3repE0EEENS1_30default_config_static_selectorELNS0_4arch9wavefront6targetE0EEEvS12_,"axG",@progbits,_ZN7rocprim17ROCPRIM_400000_NS6detail17trampoline_kernelINS0_13select_configILj256ELj13ELNS0_17block_load_methodE3ELS4_3ELS4_3ELNS0_20block_scan_algorithmE0ELj4294967295EEENS1_25partition_config_selectorILNS1_17partition_subalgoE4EjNS0_10empty_typeEbEEZZNS1_14partition_implILS8_4ELb0ES6_15HIP_vector_typeIjLj2EENS0_17counting_iteratorIjlEEPS9_SG_NS0_5tupleIJPjSI_NS0_16reverse_iteratorISI_EEEEENSH_IJSG_SG_SG_EEES9_SI_JZNS1_25segmented_radix_sort_implINS0_14default_configELb1EPKsPsPKlPlN2at6native12_GLOBAL__N_18offset_tEEE10hipError_tPvRmT1_PNSt15iterator_traitsIS12_E10value_typeET2_T3_PNS13_IS18_E10value_typeET4_jRbjT5_S1E_jjP12ihipStream_tbEUljE_ZNSN_ISO_Lb1ESQ_SR_ST_SU_SY_EESZ_S10_S11_S12_S16_S17_S18_S1B_S1C_jS1D_jS1E_S1E_jjS1G_bEUljE0_EEESZ_S10_S11_S18_S1C_S1E_T6_T7_T9_mT8_S1G_bDpT10_ENKUlT_T0_E_clISt17integral_constantIbLb0EES1U_EEDaS1P_S1Q_EUlS1P_E_NS1_11comp_targetILNS1_3genE10ELNS1_11target_archE1200ELNS1_3gpuE4ELNS1_3repE0EEENS1_30default_config_static_selectorELNS0_4arch9wavefront6targetE0EEEvS12_,comdat
	.globl	_ZN7rocprim17ROCPRIM_400000_NS6detail17trampoline_kernelINS0_13select_configILj256ELj13ELNS0_17block_load_methodE3ELS4_3ELS4_3ELNS0_20block_scan_algorithmE0ELj4294967295EEENS1_25partition_config_selectorILNS1_17partition_subalgoE4EjNS0_10empty_typeEbEEZZNS1_14partition_implILS8_4ELb0ES6_15HIP_vector_typeIjLj2EENS0_17counting_iteratorIjlEEPS9_SG_NS0_5tupleIJPjSI_NS0_16reverse_iteratorISI_EEEEENSH_IJSG_SG_SG_EEES9_SI_JZNS1_25segmented_radix_sort_implINS0_14default_configELb1EPKsPsPKlPlN2at6native12_GLOBAL__N_18offset_tEEE10hipError_tPvRmT1_PNSt15iterator_traitsIS12_E10value_typeET2_T3_PNS13_IS18_E10value_typeET4_jRbjT5_S1E_jjP12ihipStream_tbEUljE_ZNSN_ISO_Lb1ESQ_SR_ST_SU_SY_EESZ_S10_S11_S12_S16_S17_S18_S1B_S1C_jS1D_jS1E_S1E_jjS1G_bEUljE0_EEESZ_S10_S11_S18_S1C_S1E_T6_T7_T9_mT8_S1G_bDpT10_ENKUlT_T0_E_clISt17integral_constantIbLb0EES1U_EEDaS1P_S1Q_EUlS1P_E_NS1_11comp_targetILNS1_3genE10ELNS1_11target_archE1200ELNS1_3gpuE4ELNS1_3repE0EEENS1_30default_config_static_selectorELNS0_4arch9wavefront6targetE0EEEvS12_ ; -- Begin function _ZN7rocprim17ROCPRIM_400000_NS6detail17trampoline_kernelINS0_13select_configILj256ELj13ELNS0_17block_load_methodE3ELS4_3ELS4_3ELNS0_20block_scan_algorithmE0ELj4294967295EEENS1_25partition_config_selectorILNS1_17partition_subalgoE4EjNS0_10empty_typeEbEEZZNS1_14partition_implILS8_4ELb0ES6_15HIP_vector_typeIjLj2EENS0_17counting_iteratorIjlEEPS9_SG_NS0_5tupleIJPjSI_NS0_16reverse_iteratorISI_EEEEENSH_IJSG_SG_SG_EEES9_SI_JZNS1_25segmented_radix_sort_implINS0_14default_configELb1EPKsPsPKlPlN2at6native12_GLOBAL__N_18offset_tEEE10hipError_tPvRmT1_PNSt15iterator_traitsIS12_E10value_typeET2_T3_PNS13_IS18_E10value_typeET4_jRbjT5_S1E_jjP12ihipStream_tbEUljE_ZNSN_ISO_Lb1ESQ_SR_ST_SU_SY_EESZ_S10_S11_S12_S16_S17_S18_S1B_S1C_jS1D_jS1E_S1E_jjS1G_bEUljE0_EEESZ_S10_S11_S18_S1C_S1E_T6_T7_T9_mT8_S1G_bDpT10_ENKUlT_T0_E_clISt17integral_constantIbLb0EES1U_EEDaS1P_S1Q_EUlS1P_E_NS1_11comp_targetILNS1_3genE10ELNS1_11target_archE1200ELNS1_3gpuE4ELNS1_3repE0EEENS1_30default_config_static_selectorELNS0_4arch9wavefront6targetE0EEEvS12_
	.p2align	8
	.type	_ZN7rocprim17ROCPRIM_400000_NS6detail17trampoline_kernelINS0_13select_configILj256ELj13ELNS0_17block_load_methodE3ELS4_3ELS4_3ELNS0_20block_scan_algorithmE0ELj4294967295EEENS1_25partition_config_selectorILNS1_17partition_subalgoE4EjNS0_10empty_typeEbEEZZNS1_14partition_implILS8_4ELb0ES6_15HIP_vector_typeIjLj2EENS0_17counting_iteratorIjlEEPS9_SG_NS0_5tupleIJPjSI_NS0_16reverse_iteratorISI_EEEEENSH_IJSG_SG_SG_EEES9_SI_JZNS1_25segmented_radix_sort_implINS0_14default_configELb1EPKsPsPKlPlN2at6native12_GLOBAL__N_18offset_tEEE10hipError_tPvRmT1_PNSt15iterator_traitsIS12_E10value_typeET2_T3_PNS13_IS18_E10value_typeET4_jRbjT5_S1E_jjP12ihipStream_tbEUljE_ZNSN_ISO_Lb1ESQ_SR_ST_SU_SY_EESZ_S10_S11_S12_S16_S17_S18_S1B_S1C_jS1D_jS1E_S1E_jjS1G_bEUljE0_EEESZ_S10_S11_S18_S1C_S1E_T6_T7_T9_mT8_S1G_bDpT10_ENKUlT_T0_E_clISt17integral_constantIbLb0EES1U_EEDaS1P_S1Q_EUlS1P_E_NS1_11comp_targetILNS1_3genE10ELNS1_11target_archE1200ELNS1_3gpuE4ELNS1_3repE0EEENS1_30default_config_static_selectorELNS0_4arch9wavefront6targetE0EEEvS12_,@function
_ZN7rocprim17ROCPRIM_400000_NS6detail17trampoline_kernelINS0_13select_configILj256ELj13ELNS0_17block_load_methodE3ELS4_3ELS4_3ELNS0_20block_scan_algorithmE0ELj4294967295EEENS1_25partition_config_selectorILNS1_17partition_subalgoE4EjNS0_10empty_typeEbEEZZNS1_14partition_implILS8_4ELb0ES6_15HIP_vector_typeIjLj2EENS0_17counting_iteratorIjlEEPS9_SG_NS0_5tupleIJPjSI_NS0_16reverse_iteratorISI_EEEEENSH_IJSG_SG_SG_EEES9_SI_JZNS1_25segmented_radix_sort_implINS0_14default_configELb1EPKsPsPKlPlN2at6native12_GLOBAL__N_18offset_tEEE10hipError_tPvRmT1_PNSt15iterator_traitsIS12_E10value_typeET2_T3_PNS13_IS18_E10value_typeET4_jRbjT5_S1E_jjP12ihipStream_tbEUljE_ZNSN_ISO_Lb1ESQ_SR_ST_SU_SY_EESZ_S10_S11_S12_S16_S17_S18_S1B_S1C_jS1D_jS1E_S1E_jjS1G_bEUljE0_EEESZ_S10_S11_S18_S1C_S1E_T6_T7_T9_mT8_S1G_bDpT10_ENKUlT_T0_E_clISt17integral_constantIbLb0EES1U_EEDaS1P_S1Q_EUlS1P_E_NS1_11comp_targetILNS1_3genE10ELNS1_11target_archE1200ELNS1_3gpuE4ELNS1_3repE0EEENS1_30default_config_static_selectorELNS0_4arch9wavefront6targetE0EEEvS12_: ; @_ZN7rocprim17ROCPRIM_400000_NS6detail17trampoline_kernelINS0_13select_configILj256ELj13ELNS0_17block_load_methodE3ELS4_3ELS4_3ELNS0_20block_scan_algorithmE0ELj4294967295EEENS1_25partition_config_selectorILNS1_17partition_subalgoE4EjNS0_10empty_typeEbEEZZNS1_14partition_implILS8_4ELb0ES6_15HIP_vector_typeIjLj2EENS0_17counting_iteratorIjlEEPS9_SG_NS0_5tupleIJPjSI_NS0_16reverse_iteratorISI_EEEEENSH_IJSG_SG_SG_EEES9_SI_JZNS1_25segmented_radix_sort_implINS0_14default_configELb1EPKsPsPKlPlN2at6native12_GLOBAL__N_18offset_tEEE10hipError_tPvRmT1_PNSt15iterator_traitsIS12_E10value_typeET2_T3_PNS13_IS18_E10value_typeET4_jRbjT5_S1E_jjP12ihipStream_tbEUljE_ZNSN_ISO_Lb1ESQ_SR_ST_SU_SY_EESZ_S10_S11_S12_S16_S17_S18_S1B_S1C_jS1D_jS1E_S1E_jjS1G_bEUljE0_EEESZ_S10_S11_S18_S1C_S1E_T6_T7_T9_mT8_S1G_bDpT10_ENKUlT_T0_E_clISt17integral_constantIbLb0EES1U_EEDaS1P_S1Q_EUlS1P_E_NS1_11comp_targetILNS1_3genE10ELNS1_11target_archE1200ELNS1_3gpuE4ELNS1_3repE0EEENS1_30default_config_static_selectorELNS0_4arch9wavefront6targetE0EEEvS12_
; %bb.0:
	.section	.rodata,"a",@progbits
	.p2align	6, 0x0
	.amdhsa_kernel _ZN7rocprim17ROCPRIM_400000_NS6detail17trampoline_kernelINS0_13select_configILj256ELj13ELNS0_17block_load_methodE3ELS4_3ELS4_3ELNS0_20block_scan_algorithmE0ELj4294967295EEENS1_25partition_config_selectorILNS1_17partition_subalgoE4EjNS0_10empty_typeEbEEZZNS1_14partition_implILS8_4ELb0ES6_15HIP_vector_typeIjLj2EENS0_17counting_iteratorIjlEEPS9_SG_NS0_5tupleIJPjSI_NS0_16reverse_iteratorISI_EEEEENSH_IJSG_SG_SG_EEES9_SI_JZNS1_25segmented_radix_sort_implINS0_14default_configELb1EPKsPsPKlPlN2at6native12_GLOBAL__N_18offset_tEEE10hipError_tPvRmT1_PNSt15iterator_traitsIS12_E10value_typeET2_T3_PNS13_IS18_E10value_typeET4_jRbjT5_S1E_jjP12ihipStream_tbEUljE_ZNSN_ISO_Lb1ESQ_SR_ST_SU_SY_EESZ_S10_S11_S12_S16_S17_S18_S1B_S1C_jS1D_jS1E_S1E_jjS1G_bEUljE0_EEESZ_S10_S11_S18_S1C_S1E_T6_T7_T9_mT8_S1G_bDpT10_ENKUlT_T0_E_clISt17integral_constantIbLb0EES1U_EEDaS1P_S1Q_EUlS1P_E_NS1_11comp_targetILNS1_3genE10ELNS1_11target_archE1200ELNS1_3gpuE4ELNS1_3repE0EEENS1_30default_config_static_selectorELNS0_4arch9wavefront6targetE0EEEvS12_
		.amdhsa_group_segment_fixed_size 0
		.amdhsa_private_segment_fixed_size 0
		.amdhsa_kernarg_size 176
		.amdhsa_user_sgpr_count 15
		.amdhsa_user_sgpr_dispatch_ptr 0
		.amdhsa_user_sgpr_queue_ptr 0
		.amdhsa_user_sgpr_kernarg_segment_ptr 1
		.amdhsa_user_sgpr_dispatch_id 0
		.amdhsa_user_sgpr_private_segment_size 0
		.amdhsa_wavefront_size32 1
		.amdhsa_uses_dynamic_stack 0
		.amdhsa_enable_private_segment 0
		.amdhsa_system_sgpr_workgroup_id_x 1
		.amdhsa_system_sgpr_workgroup_id_y 0
		.amdhsa_system_sgpr_workgroup_id_z 0
		.amdhsa_system_sgpr_workgroup_info 0
		.amdhsa_system_vgpr_workitem_id 0
		.amdhsa_next_free_vgpr 1
		.amdhsa_next_free_sgpr 1
		.amdhsa_reserve_vcc 0
		.amdhsa_float_round_mode_32 0
		.amdhsa_float_round_mode_16_64 0
		.amdhsa_float_denorm_mode_32 3
		.amdhsa_float_denorm_mode_16_64 3
		.amdhsa_dx10_clamp 1
		.amdhsa_ieee_mode 1
		.amdhsa_fp16_overflow 0
		.amdhsa_workgroup_processor_mode 1
		.amdhsa_memory_ordered 1
		.amdhsa_forward_progress 0
		.amdhsa_shared_vgpr_count 0
		.amdhsa_exception_fp_ieee_invalid_op 0
		.amdhsa_exception_fp_denorm_src 0
		.amdhsa_exception_fp_ieee_div_zero 0
		.amdhsa_exception_fp_ieee_overflow 0
		.amdhsa_exception_fp_ieee_underflow 0
		.amdhsa_exception_fp_ieee_inexact 0
		.amdhsa_exception_int_div_zero 0
	.end_amdhsa_kernel
	.section	.text._ZN7rocprim17ROCPRIM_400000_NS6detail17trampoline_kernelINS0_13select_configILj256ELj13ELNS0_17block_load_methodE3ELS4_3ELS4_3ELNS0_20block_scan_algorithmE0ELj4294967295EEENS1_25partition_config_selectorILNS1_17partition_subalgoE4EjNS0_10empty_typeEbEEZZNS1_14partition_implILS8_4ELb0ES6_15HIP_vector_typeIjLj2EENS0_17counting_iteratorIjlEEPS9_SG_NS0_5tupleIJPjSI_NS0_16reverse_iteratorISI_EEEEENSH_IJSG_SG_SG_EEES9_SI_JZNS1_25segmented_radix_sort_implINS0_14default_configELb1EPKsPsPKlPlN2at6native12_GLOBAL__N_18offset_tEEE10hipError_tPvRmT1_PNSt15iterator_traitsIS12_E10value_typeET2_T3_PNS13_IS18_E10value_typeET4_jRbjT5_S1E_jjP12ihipStream_tbEUljE_ZNSN_ISO_Lb1ESQ_SR_ST_SU_SY_EESZ_S10_S11_S12_S16_S17_S18_S1B_S1C_jS1D_jS1E_S1E_jjS1G_bEUljE0_EEESZ_S10_S11_S18_S1C_S1E_T6_T7_T9_mT8_S1G_bDpT10_ENKUlT_T0_E_clISt17integral_constantIbLb0EES1U_EEDaS1P_S1Q_EUlS1P_E_NS1_11comp_targetILNS1_3genE10ELNS1_11target_archE1200ELNS1_3gpuE4ELNS1_3repE0EEENS1_30default_config_static_selectorELNS0_4arch9wavefront6targetE0EEEvS12_,"axG",@progbits,_ZN7rocprim17ROCPRIM_400000_NS6detail17trampoline_kernelINS0_13select_configILj256ELj13ELNS0_17block_load_methodE3ELS4_3ELS4_3ELNS0_20block_scan_algorithmE0ELj4294967295EEENS1_25partition_config_selectorILNS1_17partition_subalgoE4EjNS0_10empty_typeEbEEZZNS1_14partition_implILS8_4ELb0ES6_15HIP_vector_typeIjLj2EENS0_17counting_iteratorIjlEEPS9_SG_NS0_5tupleIJPjSI_NS0_16reverse_iteratorISI_EEEEENSH_IJSG_SG_SG_EEES9_SI_JZNS1_25segmented_radix_sort_implINS0_14default_configELb1EPKsPsPKlPlN2at6native12_GLOBAL__N_18offset_tEEE10hipError_tPvRmT1_PNSt15iterator_traitsIS12_E10value_typeET2_T3_PNS13_IS18_E10value_typeET4_jRbjT5_S1E_jjP12ihipStream_tbEUljE_ZNSN_ISO_Lb1ESQ_SR_ST_SU_SY_EESZ_S10_S11_S12_S16_S17_S18_S1B_S1C_jS1D_jS1E_S1E_jjS1G_bEUljE0_EEESZ_S10_S11_S18_S1C_S1E_T6_T7_T9_mT8_S1G_bDpT10_ENKUlT_T0_E_clISt17integral_constantIbLb0EES1U_EEDaS1P_S1Q_EUlS1P_E_NS1_11comp_targetILNS1_3genE10ELNS1_11target_archE1200ELNS1_3gpuE4ELNS1_3repE0EEENS1_30default_config_static_selectorELNS0_4arch9wavefront6targetE0EEEvS12_,comdat
.Lfunc_end852:
	.size	_ZN7rocprim17ROCPRIM_400000_NS6detail17trampoline_kernelINS0_13select_configILj256ELj13ELNS0_17block_load_methodE3ELS4_3ELS4_3ELNS0_20block_scan_algorithmE0ELj4294967295EEENS1_25partition_config_selectorILNS1_17partition_subalgoE4EjNS0_10empty_typeEbEEZZNS1_14partition_implILS8_4ELb0ES6_15HIP_vector_typeIjLj2EENS0_17counting_iteratorIjlEEPS9_SG_NS0_5tupleIJPjSI_NS0_16reverse_iteratorISI_EEEEENSH_IJSG_SG_SG_EEES9_SI_JZNS1_25segmented_radix_sort_implINS0_14default_configELb1EPKsPsPKlPlN2at6native12_GLOBAL__N_18offset_tEEE10hipError_tPvRmT1_PNSt15iterator_traitsIS12_E10value_typeET2_T3_PNS13_IS18_E10value_typeET4_jRbjT5_S1E_jjP12ihipStream_tbEUljE_ZNSN_ISO_Lb1ESQ_SR_ST_SU_SY_EESZ_S10_S11_S12_S16_S17_S18_S1B_S1C_jS1D_jS1E_S1E_jjS1G_bEUljE0_EEESZ_S10_S11_S18_S1C_S1E_T6_T7_T9_mT8_S1G_bDpT10_ENKUlT_T0_E_clISt17integral_constantIbLb0EES1U_EEDaS1P_S1Q_EUlS1P_E_NS1_11comp_targetILNS1_3genE10ELNS1_11target_archE1200ELNS1_3gpuE4ELNS1_3repE0EEENS1_30default_config_static_selectorELNS0_4arch9wavefront6targetE0EEEvS12_, .Lfunc_end852-_ZN7rocprim17ROCPRIM_400000_NS6detail17trampoline_kernelINS0_13select_configILj256ELj13ELNS0_17block_load_methodE3ELS4_3ELS4_3ELNS0_20block_scan_algorithmE0ELj4294967295EEENS1_25partition_config_selectorILNS1_17partition_subalgoE4EjNS0_10empty_typeEbEEZZNS1_14partition_implILS8_4ELb0ES6_15HIP_vector_typeIjLj2EENS0_17counting_iteratorIjlEEPS9_SG_NS0_5tupleIJPjSI_NS0_16reverse_iteratorISI_EEEEENSH_IJSG_SG_SG_EEES9_SI_JZNS1_25segmented_radix_sort_implINS0_14default_configELb1EPKsPsPKlPlN2at6native12_GLOBAL__N_18offset_tEEE10hipError_tPvRmT1_PNSt15iterator_traitsIS12_E10value_typeET2_T3_PNS13_IS18_E10value_typeET4_jRbjT5_S1E_jjP12ihipStream_tbEUljE_ZNSN_ISO_Lb1ESQ_SR_ST_SU_SY_EESZ_S10_S11_S12_S16_S17_S18_S1B_S1C_jS1D_jS1E_S1E_jjS1G_bEUljE0_EEESZ_S10_S11_S18_S1C_S1E_T6_T7_T9_mT8_S1G_bDpT10_ENKUlT_T0_E_clISt17integral_constantIbLb0EES1U_EEDaS1P_S1Q_EUlS1P_E_NS1_11comp_targetILNS1_3genE10ELNS1_11target_archE1200ELNS1_3gpuE4ELNS1_3repE0EEENS1_30default_config_static_selectorELNS0_4arch9wavefront6targetE0EEEvS12_
                                        ; -- End function
	.section	.AMDGPU.csdata,"",@progbits
; Kernel info:
; codeLenInByte = 0
; NumSgprs: 0
; NumVgprs: 0
; ScratchSize: 0
; MemoryBound: 0
; FloatMode: 240
; IeeeMode: 1
; LDSByteSize: 0 bytes/workgroup (compile time only)
; SGPRBlocks: 0
; VGPRBlocks: 0
; NumSGPRsForWavesPerEU: 1
; NumVGPRsForWavesPerEU: 1
; Occupancy: 16
; WaveLimiterHint : 0
; COMPUTE_PGM_RSRC2:SCRATCH_EN: 0
; COMPUTE_PGM_RSRC2:USER_SGPR: 15
; COMPUTE_PGM_RSRC2:TRAP_HANDLER: 0
; COMPUTE_PGM_RSRC2:TGID_X_EN: 1
; COMPUTE_PGM_RSRC2:TGID_Y_EN: 0
; COMPUTE_PGM_RSRC2:TGID_Z_EN: 0
; COMPUTE_PGM_RSRC2:TIDIG_COMP_CNT: 0
	.section	.text._ZN7rocprim17ROCPRIM_400000_NS6detail17trampoline_kernelINS0_13select_configILj256ELj13ELNS0_17block_load_methodE3ELS4_3ELS4_3ELNS0_20block_scan_algorithmE0ELj4294967295EEENS1_25partition_config_selectorILNS1_17partition_subalgoE4EjNS0_10empty_typeEbEEZZNS1_14partition_implILS8_4ELb0ES6_15HIP_vector_typeIjLj2EENS0_17counting_iteratorIjlEEPS9_SG_NS0_5tupleIJPjSI_NS0_16reverse_iteratorISI_EEEEENSH_IJSG_SG_SG_EEES9_SI_JZNS1_25segmented_radix_sort_implINS0_14default_configELb1EPKsPsPKlPlN2at6native12_GLOBAL__N_18offset_tEEE10hipError_tPvRmT1_PNSt15iterator_traitsIS12_E10value_typeET2_T3_PNS13_IS18_E10value_typeET4_jRbjT5_S1E_jjP12ihipStream_tbEUljE_ZNSN_ISO_Lb1ESQ_SR_ST_SU_SY_EESZ_S10_S11_S12_S16_S17_S18_S1B_S1C_jS1D_jS1E_S1E_jjS1G_bEUljE0_EEESZ_S10_S11_S18_S1C_S1E_T6_T7_T9_mT8_S1G_bDpT10_ENKUlT_T0_E_clISt17integral_constantIbLb0EES1U_EEDaS1P_S1Q_EUlS1P_E_NS1_11comp_targetILNS1_3genE9ELNS1_11target_archE1100ELNS1_3gpuE3ELNS1_3repE0EEENS1_30default_config_static_selectorELNS0_4arch9wavefront6targetE0EEEvS12_,"axG",@progbits,_ZN7rocprim17ROCPRIM_400000_NS6detail17trampoline_kernelINS0_13select_configILj256ELj13ELNS0_17block_load_methodE3ELS4_3ELS4_3ELNS0_20block_scan_algorithmE0ELj4294967295EEENS1_25partition_config_selectorILNS1_17partition_subalgoE4EjNS0_10empty_typeEbEEZZNS1_14partition_implILS8_4ELb0ES6_15HIP_vector_typeIjLj2EENS0_17counting_iteratorIjlEEPS9_SG_NS0_5tupleIJPjSI_NS0_16reverse_iteratorISI_EEEEENSH_IJSG_SG_SG_EEES9_SI_JZNS1_25segmented_radix_sort_implINS0_14default_configELb1EPKsPsPKlPlN2at6native12_GLOBAL__N_18offset_tEEE10hipError_tPvRmT1_PNSt15iterator_traitsIS12_E10value_typeET2_T3_PNS13_IS18_E10value_typeET4_jRbjT5_S1E_jjP12ihipStream_tbEUljE_ZNSN_ISO_Lb1ESQ_SR_ST_SU_SY_EESZ_S10_S11_S12_S16_S17_S18_S1B_S1C_jS1D_jS1E_S1E_jjS1G_bEUljE0_EEESZ_S10_S11_S18_S1C_S1E_T6_T7_T9_mT8_S1G_bDpT10_ENKUlT_T0_E_clISt17integral_constantIbLb0EES1U_EEDaS1P_S1Q_EUlS1P_E_NS1_11comp_targetILNS1_3genE9ELNS1_11target_archE1100ELNS1_3gpuE3ELNS1_3repE0EEENS1_30default_config_static_selectorELNS0_4arch9wavefront6targetE0EEEvS12_,comdat
	.globl	_ZN7rocprim17ROCPRIM_400000_NS6detail17trampoline_kernelINS0_13select_configILj256ELj13ELNS0_17block_load_methodE3ELS4_3ELS4_3ELNS0_20block_scan_algorithmE0ELj4294967295EEENS1_25partition_config_selectorILNS1_17partition_subalgoE4EjNS0_10empty_typeEbEEZZNS1_14partition_implILS8_4ELb0ES6_15HIP_vector_typeIjLj2EENS0_17counting_iteratorIjlEEPS9_SG_NS0_5tupleIJPjSI_NS0_16reverse_iteratorISI_EEEEENSH_IJSG_SG_SG_EEES9_SI_JZNS1_25segmented_radix_sort_implINS0_14default_configELb1EPKsPsPKlPlN2at6native12_GLOBAL__N_18offset_tEEE10hipError_tPvRmT1_PNSt15iterator_traitsIS12_E10value_typeET2_T3_PNS13_IS18_E10value_typeET4_jRbjT5_S1E_jjP12ihipStream_tbEUljE_ZNSN_ISO_Lb1ESQ_SR_ST_SU_SY_EESZ_S10_S11_S12_S16_S17_S18_S1B_S1C_jS1D_jS1E_S1E_jjS1G_bEUljE0_EEESZ_S10_S11_S18_S1C_S1E_T6_T7_T9_mT8_S1G_bDpT10_ENKUlT_T0_E_clISt17integral_constantIbLb0EES1U_EEDaS1P_S1Q_EUlS1P_E_NS1_11comp_targetILNS1_3genE9ELNS1_11target_archE1100ELNS1_3gpuE3ELNS1_3repE0EEENS1_30default_config_static_selectorELNS0_4arch9wavefront6targetE0EEEvS12_ ; -- Begin function _ZN7rocprim17ROCPRIM_400000_NS6detail17trampoline_kernelINS0_13select_configILj256ELj13ELNS0_17block_load_methodE3ELS4_3ELS4_3ELNS0_20block_scan_algorithmE0ELj4294967295EEENS1_25partition_config_selectorILNS1_17partition_subalgoE4EjNS0_10empty_typeEbEEZZNS1_14partition_implILS8_4ELb0ES6_15HIP_vector_typeIjLj2EENS0_17counting_iteratorIjlEEPS9_SG_NS0_5tupleIJPjSI_NS0_16reverse_iteratorISI_EEEEENSH_IJSG_SG_SG_EEES9_SI_JZNS1_25segmented_radix_sort_implINS0_14default_configELb1EPKsPsPKlPlN2at6native12_GLOBAL__N_18offset_tEEE10hipError_tPvRmT1_PNSt15iterator_traitsIS12_E10value_typeET2_T3_PNS13_IS18_E10value_typeET4_jRbjT5_S1E_jjP12ihipStream_tbEUljE_ZNSN_ISO_Lb1ESQ_SR_ST_SU_SY_EESZ_S10_S11_S12_S16_S17_S18_S1B_S1C_jS1D_jS1E_S1E_jjS1G_bEUljE0_EEESZ_S10_S11_S18_S1C_S1E_T6_T7_T9_mT8_S1G_bDpT10_ENKUlT_T0_E_clISt17integral_constantIbLb0EES1U_EEDaS1P_S1Q_EUlS1P_E_NS1_11comp_targetILNS1_3genE9ELNS1_11target_archE1100ELNS1_3gpuE3ELNS1_3repE0EEENS1_30default_config_static_selectorELNS0_4arch9wavefront6targetE0EEEvS12_
	.p2align	8
	.type	_ZN7rocprim17ROCPRIM_400000_NS6detail17trampoline_kernelINS0_13select_configILj256ELj13ELNS0_17block_load_methodE3ELS4_3ELS4_3ELNS0_20block_scan_algorithmE0ELj4294967295EEENS1_25partition_config_selectorILNS1_17partition_subalgoE4EjNS0_10empty_typeEbEEZZNS1_14partition_implILS8_4ELb0ES6_15HIP_vector_typeIjLj2EENS0_17counting_iteratorIjlEEPS9_SG_NS0_5tupleIJPjSI_NS0_16reverse_iteratorISI_EEEEENSH_IJSG_SG_SG_EEES9_SI_JZNS1_25segmented_radix_sort_implINS0_14default_configELb1EPKsPsPKlPlN2at6native12_GLOBAL__N_18offset_tEEE10hipError_tPvRmT1_PNSt15iterator_traitsIS12_E10value_typeET2_T3_PNS13_IS18_E10value_typeET4_jRbjT5_S1E_jjP12ihipStream_tbEUljE_ZNSN_ISO_Lb1ESQ_SR_ST_SU_SY_EESZ_S10_S11_S12_S16_S17_S18_S1B_S1C_jS1D_jS1E_S1E_jjS1G_bEUljE0_EEESZ_S10_S11_S18_S1C_S1E_T6_T7_T9_mT8_S1G_bDpT10_ENKUlT_T0_E_clISt17integral_constantIbLb0EES1U_EEDaS1P_S1Q_EUlS1P_E_NS1_11comp_targetILNS1_3genE9ELNS1_11target_archE1100ELNS1_3gpuE3ELNS1_3repE0EEENS1_30default_config_static_selectorELNS0_4arch9wavefront6targetE0EEEvS12_,@function
_ZN7rocprim17ROCPRIM_400000_NS6detail17trampoline_kernelINS0_13select_configILj256ELj13ELNS0_17block_load_methodE3ELS4_3ELS4_3ELNS0_20block_scan_algorithmE0ELj4294967295EEENS1_25partition_config_selectorILNS1_17partition_subalgoE4EjNS0_10empty_typeEbEEZZNS1_14partition_implILS8_4ELb0ES6_15HIP_vector_typeIjLj2EENS0_17counting_iteratorIjlEEPS9_SG_NS0_5tupleIJPjSI_NS0_16reverse_iteratorISI_EEEEENSH_IJSG_SG_SG_EEES9_SI_JZNS1_25segmented_radix_sort_implINS0_14default_configELb1EPKsPsPKlPlN2at6native12_GLOBAL__N_18offset_tEEE10hipError_tPvRmT1_PNSt15iterator_traitsIS12_E10value_typeET2_T3_PNS13_IS18_E10value_typeET4_jRbjT5_S1E_jjP12ihipStream_tbEUljE_ZNSN_ISO_Lb1ESQ_SR_ST_SU_SY_EESZ_S10_S11_S12_S16_S17_S18_S1B_S1C_jS1D_jS1E_S1E_jjS1G_bEUljE0_EEESZ_S10_S11_S18_S1C_S1E_T6_T7_T9_mT8_S1G_bDpT10_ENKUlT_T0_E_clISt17integral_constantIbLb0EES1U_EEDaS1P_S1Q_EUlS1P_E_NS1_11comp_targetILNS1_3genE9ELNS1_11target_archE1100ELNS1_3gpuE3ELNS1_3repE0EEENS1_30default_config_static_selectorELNS0_4arch9wavefront6targetE0EEEvS12_: ; @_ZN7rocprim17ROCPRIM_400000_NS6detail17trampoline_kernelINS0_13select_configILj256ELj13ELNS0_17block_load_methodE3ELS4_3ELS4_3ELNS0_20block_scan_algorithmE0ELj4294967295EEENS1_25partition_config_selectorILNS1_17partition_subalgoE4EjNS0_10empty_typeEbEEZZNS1_14partition_implILS8_4ELb0ES6_15HIP_vector_typeIjLj2EENS0_17counting_iteratorIjlEEPS9_SG_NS0_5tupleIJPjSI_NS0_16reverse_iteratorISI_EEEEENSH_IJSG_SG_SG_EEES9_SI_JZNS1_25segmented_radix_sort_implINS0_14default_configELb1EPKsPsPKlPlN2at6native12_GLOBAL__N_18offset_tEEE10hipError_tPvRmT1_PNSt15iterator_traitsIS12_E10value_typeET2_T3_PNS13_IS18_E10value_typeET4_jRbjT5_S1E_jjP12ihipStream_tbEUljE_ZNSN_ISO_Lb1ESQ_SR_ST_SU_SY_EESZ_S10_S11_S12_S16_S17_S18_S1B_S1C_jS1D_jS1E_S1E_jjS1G_bEUljE0_EEESZ_S10_S11_S18_S1C_S1E_T6_T7_T9_mT8_S1G_bDpT10_ENKUlT_T0_E_clISt17integral_constantIbLb0EES1U_EEDaS1P_S1Q_EUlS1P_E_NS1_11comp_targetILNS1_3genE9ELNS1_11target_archE1100ELNS1_3gpuE3ELNS1_3repE0EEENS1_30default_config_static_selectorELNS0_4arch9wavefront6targetE0EEEvS12_
; %bb.0:
	s_clause 0x6
	s_load_b32 s5, s[0:1], 0x80
	s_load_b64 s[34:35], s[0:1], 0x10
	s_load_b64 s[2:3], s[0:1], 0x68
	s_load_b32 s8, s[0:1], 0x8
	s_load_b128 s[24:27], s[0:1], 0x58
	s_load_b64 s[40:41], s[0:1], 0xa8
	s_load_b256 s[16:23], s[0:1], 0x88
	s_mul_i32 s33, s15, 0xd00
	s_waitcnt lgkmcnt(0)
	s_mul_i32 s4, s5, 0xd00
	s_add_i32 s5, s5, -1
	s_add_u32 s6, s34, s4
	s_addc_u32 s7, s35, 0
	s_load_b128 s[28:31], s[26:27], 0x0
	s_cmp_eq_u32 s15, s5
	v_cmp_lt_u64_e64 s3, s[6:7], s[2:3]
	s_cselect_b32 s14, -1, 0
	s_cmp_lg_u32 s15, s5
	s_cselect_b32 s5, -1, 0
	s_add_i32 s6, s8, s33
	s_delay_alu instid0(VALU_DEP_1) | instskip(SKIP_4) | instid1(VALU_DEP_1)
	s_or_b32 s3, s5, s3
	s_add_i32 s6, s6, s34
	s_and_b32 vcc_lo, exec_lo, s3
	v_add_nc_u32_e32 v1, s6, v0
	s_mov_b32 s5, -1
	v_add_nc_u32_e32 v2, 0x100, v1
	v_add_nc_u32_e32 v3, 0x200, v1
	;; [unrolled: 1-line block ×12, first 2 shown]
	s_cbranch_vccz .LBB853_2
; %bb.1:
	v_lshlrev_b32_e32 v14, 2, v0
	s_mov_b32 s5, 0
	ds_store_2addr_stride64_b32 v14, v1, v2 offset1:4
	ds_store_2addr_stride64_b32 v14, v3, v4 offset0:8 offset1:12
	ds_store_2addr_stride64_b32 v14, v5, v6 offset0:16 offset1:20
	;; [unrolled: 1-line block ×5, first 2 shown]
	ds_store_b32 v14, v13 offset:12288
	s_waitcnt lgkmcnt(0)
	s_barrier
.LBB853_2:
	s_and_not1_b32 vcc_lo, exec_lo, s5
	s_add_i32 s4, s4, s34
	s_cbranch_vccnz .LBB853_4
; %bb.3:
	v_lshlrev_b32_e32 v14, 2, v0
	ds_store_2addr_stride64_b32 v14, v1, v2 offset1:4
	ds_store_2addr_stride64_b32 v14, v3, v4 offset0:8 offset1:12
	ds_store_2addr_stride64_b32 v14, v5, v6 offset0:16 offset1:20
	;; [unrolled: 1-line block ×5, first 2 shown]
	ds_store_b32 v14, v13 offset:12288
	s_waitcnt lgkmcnt(0)
	s_barrier
.LBB853_4:
	v_mul_u32_u24_e32 v28, 13, v0
	s_clause 0x1
	s_load_b128 s[36:39], s[0:1], 0x28
	s_load_b64 s[26:27], s[0:1], 0x38
	s_waitcnt lgkmcnt(0)
	buffer_gl0_inv
	v_cndmask_b32_e64 v26, 0, 1, s3
	s_sub_i32 s44, s2, s4
	v_lshlrev_b32_e32 v1, 2, v28
	s_and_not1_b32 vcc_lo, exec_lo, s3
	ds_load_2addr_b32 v[16:17], v1 offset1:1
	ds_load_2addr_b32 v[14:15], v1 offset0:2 offset1:3
	ds_load_2addr_b32 v[12:13], v1 offset0:4 offset1:5
	;; [unrolled: 1-line block ×5, first 2 shown]
	ds_load_b32 v27, v1 offset:48
	s_waitcnt lgkmcnt(0)
	s_barrier
	buffer_gl0_inv
	s_cbranch_vccnz .LBB853_32
; %bb.5:
	v_add_nc_u32_e32 v1, s17, v16
	v_add_nc_u32_e32 v2, s19, v16
	s_mov_b32 s46, 0
	s_mov_b32 s45, 0
	s_mov_b32 s3, exec_lo
	v_mul_lo_u32 v1, v1, s16
	v_mul_lo_u32 v2, v2, s18
	s_delay_alu instid0(VALU_DEP_1) | instskip(NEXT) | instid1(VALU_DEP_1)
	v_sub_nc_u32_e32 v1, v1, v2
	v_cmp_lt_u32_e32 vcc_lo, s20, v1
	v_cmpx_ge_u32_e64 s20, v1
; %bb.6:
	v_add_nc_u32_e32 v1, s22, v16
	v_add_nc_u32_e32 v2, s40, v16
	s_delay_alu instid0(VALU_DEP_2) | instskip(NEXT) | instid1(VALU_DEP_2)
	v_mul_lo_u32 v1, v1, s21
	v_mul_lo_u32 v2, v2, s23
	s_delay_alu instid0(VALU_DEP_1) | instskip(NEXT) | instid1(VALU_DEP_1)
	v_sub_nc_u32_e32 v1, v1, v2
	v_cmp_lt_u32_e64 s2, s41, v1
	s_delay_alu instid0(VALU_DEP_1)
	s_and_b32 s45, s2, exec_lo
; %bb.7:
	s_or_b32 exec_lo, exec_lo, s3
	v_add_nc_u32_e32 v1, s17, v17
	v_add_nc_u32_e32 v2, s19, v17
	s_mov_b32 s4, exec_lo
	s_delay_alu instid0(VALU_DEP_2) | instskip(NEXT) | instid1(VALU_DEP_2)
	v_mul_lo_u32 v1, v1, s16
	v_mul_lo_u32 v2, v2, s18
	s_delay_alu instid0(VALU_DEP_1) | instskip(NEXT) | instid1(VALU_DEP_1)
	v_sub_nc_u32_e32 v1, v1, v2
	v_cmp_lt_u32_e64 s2, s20, v1
	v_cmpx_ge_u32_e64 s20, v1
; %bb.8:
	v_add_nc_u32_e32 v1, s22, v17
	v_add_nc_u32_e32 v2, s40, v17
	s_delay_alu instid0(VALU_DEP_2) | instskip(NEXT) | instid1(VALU_DEP_2)
	v_mul_lo_u32 v1, v1, s21
	v_mul_lo_u32 v2, v2, s23
	s_delay_alu instid0(VALU_DEP_1) | instskip(NEXT) | instid1(VALU_DEP_1)
	v_sub_nc_u32_e32 v1, v1, v2
	v_cmp_lt_u32_e64 s3, s41, v1
	s_delay_alu instid0(VALU_DEP_1)
	s_and_b32 s46, s3, exec_lo
; %bb.9:
	s_or_b32 exec_lo, exec_lo, s4
	v_add_nc_u32_e32 v1, s17, v14
	v_add_nc_u32_e32 v2, s19, v14
	s_mov_b32 s48, 0
	s_mov_b32 s47, 0
	s_mov_b32 s5, exec_lo
	v_mul_lo_u32 v1, v1, s16
	v_mul_lo_u32 v2, v2, s18
	s_delay_alu instid0(VALU_DEP_1) | instskip(NEXT) | instid1(VALU_DEP_1)
	v_sub_nc_u32_e32 v1, v1, v2
	v_cmp_lt_u32_e64 s3, s20, v1
	v_cmpx_ge_u32_e64 s20, v1
; %bb.10:
	v_add_nc_u32_e32 v1, s22, v14
	v_add_nc_u32_e32 v2, s40, v14
	s_delay_alu instid0(VALU_DEP_2) | instskip(NEXT) | instid1(VALU_DEP_2)
	v_mul_lo_u32 v1, v1, s21
	v_mul_lo_u32 v2, v2, s23
	s_delay_alu instid0(VALU_DEP_1) | instskip(NEXT) | instid1(VALU_DEP_1)
	v_sub_nc_u32_e32 v1, v1, v2
	v_cmp_lt_u32_e64 s4, s41, v1
	s_delay_alu instid0(VALU_DEP_1)
	s_and_b32 s47, s4, exec_lo
; %bb.11:
	s_or_b32 exec_lo, exec_lo, s5
	v_add_nc_u32_e32 v1, s17, v15
	v_add_nc_u32_e32 v2, s19, v15
	s_mov_b32 s6, exec_lo
	s_delay_alu instid0(VALU_DEP_2) | instskip(NEXT) | instid1(VALU_DEP_2)
	v_mul_lo_u32 v1, v1, s16
	v_mul_lo_u32 v2, v2, s18
	s_delay_alu instid0(VALU_DEP_1) | instskip(NEXT) | instid1(VALU_DEP_1)
	v_sub_nc_u32_e32 v1, v1, v2
	v_cmp_lt_u32_e64 s4, s20, v1
	v_cmpx_ge_u32_e64 s20, v1
; %bb.12:
	v_add_nc_u32_e32 v1, s22, v15
	v_add_nc_u32_e32 v2, s40, v15
	s_delay_alu instid0(VALU_DEP_2) | instskip(NEXT) | instid1(VALU_DEP_2)
	v_mul_lo_u32 v1, v1, s21
	v_mul_lo_u32 v2, v2, s23
	s_delay_alu instid0(VALU_DEP_1) | instskip(NEXT) | instid1(VALU_DEP_1)
	v_sub_nc_u32_e32 v1, v1, v2
	v_cmp_lt_u32_e64 s5, s41, v1
	s_delay_alu instid0(VALU_DEP_1)
	s_and_b32 s48, s5, exec_lo
; %bb.13:
	s_or_b32 exec_lo, exec_lo, s6
	v_add_nc_u32_e32 v1, s17, v12
	v_add_nc_u32_e32 v2, s19, v12
	s_mov_b32 s50, 0
	s_mov_b32 s49, 0
	s_mov_b32 s7, exec_lo
	v_mul_lo_u32 v1, v1, s16
	v_mul_lo_u32 v2, v2, s18
	s_delay_alu instid0(VALU_DEP_1) | instskip(NEXT) | instid1(VALU_DEP_1)
	v_sub_nc_u32_e32 v1, v1, v2
	v_cmp_lt_u32_e64 s5, s20, v1
	;; [unrolled: 47-line block ×5, first 2 shown]
	v_cmpx_ge_u32_e64 s20, v1
; %bb.26:
	v_add_nc_u32_e32 v1, s22, v6
	v_add_nc_u32_e32 v2, s40, v6
	s_delay_alu instid0(VALU_DEP_2) | instskip(NEXT) | instid1(VALU_DEP_2)
	v_mul_lo_u32 v1, v1, s21
	v_mul_lo_u32 v2, v2, s23
	s_delay_alu instid0(VALU_DEP_1) | instskip(NEXT) | instid1(VALU_DEP_1)
	v_sub_nc_u32_e32 v1, v1, v2
	v_cmp_lt_u32_e64 s12, s41, v1
	s_delay_alu instid0(VALU_DEP_1)
	s_and_b32 s57, s12, exec_lo
; %bb.27:
	s_or_b32 exec_lo, exec_lo, s13
	v_add_nc_u32_e32 v1, s17, v7
	v_add_nc_u32_e32 v2, s19, v7
	s_mov_b32 s42, exec_lo
	s_delay_alu instid0(VALU_DEP_2) | instskip(NEXT) | instid1(VALU_DEP_2)
	v_mul_lo_u32 v1, v1, s16
	v_mul_lo_u32 v2, v2, s18
	s_delay_alu instid0(VALU_DEP_1) | instskip(NEXT) | instid1(VALU_DEP_1)
	v_sub_nc_u32_e32 v1, v1, v2
	v_cmp_lt_u32_e64 s12, s20, v1
	v_cmpx_ge_u32_e64 s20, v1
; %bb.28:
	v_add_nc_u32_e32 v1, s22, v7
	v_add_nc_u32_e32 v2, s40, v7
	s_delay_alu instid0(VALU_DEP_2) | instskip(NEXT) | instid1(VALU_DEP_2)
	v_mul_lo_u32 v1, v1, s21
	v_mul_lo_u32 v2, v2, s23
	s_delay_alu instid0(VALU_DEP_1) | instskip(NEXT) | instid1(VALU_DEP_1)
	v_sub_nc_u32_e32 v1, v1, v2
	v_cmp_lt_u32_e64 s13, s41, v1
	s_delay_alu instid0(VALU_DEP_1)
	s_and_b32 s56, s13, exec_lo
; %bb.29:
	s_or_b32 exec_lo, exec_lo, s42
	v_add_nc_u32_e32 v1, s17, v27
	v_add_nc_u32_e32 v2, s19, v27
	s_mov_b32 s42, -1
	s_mov_b32 s53, 0
	s_mov_b32 s43, 0
	v_mul_lo_u32 v1, v1, s16
	v_mul_lo_u32 v2, v2, s18
	s_mov_b32 s58, exec_lo
	s_delay_alu instid0(VALU_DEP_1) | instskip(NEXT) | instid1(VALU_DEP_1)
	v_sub_nc_u32_e32 v1, v1, v2
	v_cmpx_ge_u32_e64 s20, v1
; %bb.30:
	v_add_nc_u32_e32 v1, s22, v27
	v_add_nc_u32_e32 v2, s40, v27
	s_xor_b32 s42, exec_lo, -1
	s_delay_alu instid0(VALU_DEP_2) | instskip(NEXT) | instid1(VALU_DEP_2)
	v_mul_lo_u32 v1, v1, s21
	v_mul_lo_u32 v2, v2, s23
	s_delay_alu instid0(VALU_DEP_1) | instskip(NEXT) | instid1(VALU_DEP_1)
	v_sub_nc_u32_e32 v1, v1, v2
	v_cmp_lt_u32_e64 s13, s41, v1
	s_delay_alu instid0(VALU_DEP_1)
	s_and_b32 s43, s13, exec_lo
; %bb.31:
	s_or_b32 exec_lo, exec_lo, s58
	v_cndmask_b32_e64 v48, 0, 1, s57
	v_cndmask_b32_e64 v51, 0, 1, s12
	v_cndmask_b32_e64 v47, 0, 1, s55
	v_cndmask_b32_e64 v50, 0, 1, s11
	v_cndmask_b32_e64 v45, 0, 1, s54
	v_cndmask_b32_e64 v49, 0, 1, s10
	v_cndmask_b32_e64 v43, 0, 1, s52
	v_cndmask_b32_e64 v46, 0, 1, s9
	v_cndmask_b32_e64 v40, 0, 1, s51
	v_cndmask_b32_e64 v44, 0, 1, s8
	v_cndmask_b32_e64 v39, 0, 1, s50
	v_cndmask_b32_e64 v42, 0, 1, s7
	v_cndmask_b32_e64 v37, 0, 1, s49
	v_cndmask_b32_e64 v41, 0, 1, s6
	v_cndmask_b32_e64 v35, 0, 1, s48
	v_cndmask_b32_e64 v38, 0, 1, s5
	v_cndmask_b32_e64 v36, 0, 1, s47
	v_cndmask_b32_e64 v32, 0, 1, s4
	v_cndmask_b32_e64 v34, 0, 1, s46
	v_cndmask_b32_e64 v31, 0, 1, s3
	v_cndmask_b32_e64 v30, 0, 1, s45
	v_cndmask_b32_e64 v33, 0, 1, s2
	v_cndmask_b32_e64 v29, 0, 1, vcc_lo
	v_cndmask_b32_e64 v52, 0, 1, s56
	s_load_b64 s[4:5], s[0:1], 0x78
	s_and_b32 vcc_lo, exec_lo, s53
	s_add_i32 s3, s44, 0xd00
	s_cbranch_vccnz .LBB853_33
	s_branch .LBB853_86
.LBB853_32:
                                        ; implicit-def: $sgpr42
                                        ; implicit-def: $sgpr43
                                        ; implicit-def: $vgpr52
                                        ; implicit-def: $vgpr48
                                        ; implicit-def: $vgpr47
                                        ; implicit-def: $vgpr45
                                        ; implicit-def: $vgpr43
                                        ; implicit-def: $vgpr40
                                        ; implicit-def: $vgpr39
                                        ; implicit-def: $vgpr37
                                        ; implicit-def: $vgpr35
                                        ; implicit-def: $vgpr29
                                        ; implicit-def: $vgpr33
                                        ; implicit-def: $vgpr31
                                        ; implicit-def: $vgpr32
                                        ; implicit-def: $vgpr38
                                        ; implicit-def: $vgpr41
                                        ; implicit-def: $vgpr42
                                        ; implicit-def: $vgpr44
                                        ; implicit-def: $vgpr46
                                        ; implicit-def: $vgpr49
                                        ; implicit-def: $vgpr50
                                        ; implicit-def: $vgpr51
                                        ; implicit-def: $vgpr30
                                        ; implicit-def: $vgpr34
                                        ; implicit-def: $vgpr36
	s_load_b64 s[4:5], s[0:1], 0x78
	s_add_i32 s3, s44, 0xd00
	s_cbranch_execz .LBB853_86
.LBB853_33:
	v_dual_mov_b32 v30, 0 :: v_dual_mov_b32 v29, 0
	s_mov_b32 s2, 0
	s_mov_b32 s1, exec_lo
	v_cmpx_gt_u32_e64 s3, v28
	s_cbranch_execz .LBB853_37
; %bb.34:
	v_add_nc_u32_e32 v1, s17, v16
	v_add_nc_u32_e32 v2, s19, v16
	s_mov_b32 s6, exec_lo
	s_delay_alu instid0(VALU_DEP_2) | instskip(NEXT) | instid1(VALU_DEP_2)
	v_mul_lo_u32 v1, v1, s16
	v_mul_lo_u32 v2, v2, s18
	s_delay_alu instid0(VALU_DEP_1) | instskip(NEXT) | instid1(VALU_DEP_1)
	v_sub_nc_u32_e32 v1, v1, v2
	v_cmp_lt_u32_e32 vcc_lo, s20, v1
	v_cmpx_ge_u32_e64 s20, v1
; %bb.35:
	v_add_nc_u32_e32 v1, s22, v16
	v_add_nc_u32_e32 v2, s40, v16
	s_delay_alu instid0(VALU_DEP_2) | instskip(NEXT) | instid1(VALU_DEP_2)
	v_mul_lo_u32 v1, v1, s21
	v_mul_lo_u32 v2, v2, s23
	s_delay_alu instid0(VALU_DEP_1) | instskip(NEXT) | instid1(VALU_DEP_1)
	v_sub_nc_u32_e32 v1, v1, v2
	v_cmp_lt_u32_e64 s0, s41, v1
	s_delay_alu instid0(VALU_DEP_1)
	s_and_b32 s2, s0, exec_lo
; %bb.36:
	s_or_b32 exec_lo, exec_lo, s6
	v_cndmask_b32_e64 v29, 0, 1, vcc_lo
	v_cndmask_b32_e64 v30, 0, 1, s2
.LBB853_37:
	s_or_b32 exec_lo, exec_lo, s1
	v_dual_mov_b32 v34, 0 :: v_dual_add_nc_u32 v1, 1, v28
	v_mov_b32_e32 v33, 0
	s_mov_b32 s2, 0
	s_mov_b32 s1, exec_lo
	s_delay_alu instid0(VALU_DEP_2)
	v_cmpx_gt_u32_e64 s3, v1
	s_cbranch_execz .LBB853_41
; %bb.38:
	v_add_nc_u32_e32 v1, s17, v17
	v_add_nc_u32_e32 v2, s19, v17
	s_mov_b32 s6, exec_lo
	s_delay_alu instid0(VALU_DEP_2) | instskip(NEXT) | instid1(VALU_DEP_2)
	v_mul_lo_u32 v1, v1, s16
	v_mul_lo_u32 v2, v2, s18
	s_delay_alu instid0(VALU_DEP_1) | instskip(NEXT) | instid1(VALU_DEP_1)
	v_sub_nc_u32_e32 v1, v1, v2
	v_cmp_lt_u32_e32 vcc_lo, s20, v1
	v_cmpx_ge_u32_e64 s20, v1
; %bb.39:
	v_add_nc_u32_e32 v1, s22, v17
	v_add_nc_u32_e32 v2, s40, v17
	s_delay_alu instid0(VALU_DEP_2) | instskip(NEXT) | instid1(VALU_DEP_2)
	v_mul_lo_u32 v1, v1, s21
	v_mul_lo_u32 v2, v2, s23
	s_delay_alu instid0(VALU_DEP_1) | instskip(NEXT) | instid1(VALU_DEP_1)
	v_sub_nc_u32_e32 v1, v1, v2
	v_cmp_lt_u32_e64 s0, s41, v1
	s_delay_alu instid0(VALU_DEP_1)
	s_and_b32 s2, s0, exec_lo
; %bb.40:
	s_or_b32 exec_lo, exec_lo, s6
	v_cndmask_b32_e64 v33, 0, 1, vcc_lo
	v_cndmask_b32_e64 v34, 0, 1, s2
.LBB853_41:
	s_or_b32 exec_lo, exec_lo, s1
	v_dual_mov_b32 v36, 0 :: v_dual_add_nc_u32 v1, 2, v28
	v_mov_b32_e32 v31, 0
	s_mov_b32 s2, 0
	s_mov_b32 s1, exec_lo
	s_delay_alu instid0(VALU_DEP_2)
	;; [unrolled: 35-line block ×4, first 2 shown]
	v_cmpx_gt_u32_e64 s3, v1
	s_cbranch_execz .LBB853_53
; %bb.50:
	v_add_nc_u32_e32 v1, s17, v12
	v_add_nc_u32_e32 v2, s19, v12
	s_mov_b32 s6, exec_lo
	s_delay_alu instid0(VALU_DEP_2) | instskip(NEXT) | instid1(VALU_DEP_2)
	v_mul_lo_u32 v1, v1, s16
	v_mul_lo_u32 v2, v2, s18
	s_delay_alu instid0(VALU_DEP_1) | instskip(NEXT) | instid1(VALU_DEP_1)
	v_sub_nc_u32_e32 v1, v1, v2
	v_cmp_lt_u32_e32 vcc_lo, s20, v1
	v_cmpx_ge_u32_e64 s20, v1
; %bb.51:
	v_add_nc_u32_e32 v1, s22, v12
	v_add_nc_u32_e32 v2, s40, v12
	s_delay_alu instid0(VALU_DEP_2) | instskip(NEXT) | instid1(VALU_DEP_2)
	v_mul_lo_u32 v1, v1, s21
	v_mul_lo_u32 v2, v2, s23
	s_delay_alu instid0(VALU_DEP_1) | instskip(NEXT) | instid1(VALU_DEP_1)
	v_sub_nc_u32_e32 v1, v1, v2
	v_cmp_lt_u32_e64 s0, s41, v1
	s_delay_alu instid0(VALU_DEP_1)
	s_and_b32 s2, s0, exec_lo
; %bb.52:
	s_or_b32 exec_lo, exec_lo, s6
	v_cndmask_b32_e64 v38, 0, 1, vcc_lo
	v_cndmask_b32_e64 v37, 0, 1, s2
.LBB853_53:
	s_or_b32 exec_lo, exec_lo, s1
	v_add_nc_u32_e32 v1, 5, v28
	v_mov_b32_e32 v39, 0
	v_mov_b32_e32 v41, 0
	s_mov_b32 s2, 0
	s_mov_b32 s1, exec_lo
	v_cmpx_gt_u32_e64 s3, v1
	s_cbranch_execz .LBB853_57
; %bb.54:
	v_add_nc_u32_e32 v1, s17, v13
	v_add_nc_u32_e32 v2, s19, v13
	s_mov_b32 s6, exec_lo
	s_delay_alu instid0(VALU_DEP_2) | instskip(NEXT) | instid1(VALU_DEP_2)
	v_mul_lo_u32 v1, v1, s16
	v_mul_lo_u32 v2, v2, s18
	s_delay_alu instid0(VALU_DEP_1) | instskip(NEXT) | instid1(VALU_DEP_1)
	v_sub_nc_u32_e32 v1, v1, v2
	v_cmp_lt_u32_e32 vcc_lo, s20, v1
	v_cmpx_ge_u32_e64 s20, v1
; %bb.55:
	v_add_nc_u32_e32 v1, s22, v13
	v_add_nc_u32_e32 v2, s40, v13
	s_delay_alu instid0(VALU_DEP_2) | instskip(NEXT) | instid1(VALU_DEP_2)
	v_mul_lo_u32 v1, v1, s21
	v_mul_lo_u32 v2, v2, s23
	s_delay_alu instid0(VALU_DEP_1) | instskip(NEXT) | instid1(VALU_DEP_1)
	v_sub_nc_u32_e32 v1, v1, v2
	v_cmp_lt_u32_e64 s0, s41, v1
	s_delay_alu instid0(VALU_DEP_1)
	s_and_b32 s2, s0, exec_lo
; %bb.56:
	s_or_b32 exec_lo, exec_lo, s6
	v_cndmask_b32_e64 v41, 0, 1, vcc_lo
	v_cndmask_b32_e64 v39, 0, 1, s2
.LBB853_57:
	s_or_b32 exec_lo, exec_lo, s1
	v_dual_mov_b32 v40, 0 :: v_dual_add_nc_u32 v1, 6, v28
	v_mov_b32_e32 v42, 0
	s_mov_b32 s2, 0
	s_mov_b32 s1, exec_lo
	s_delay_alu instid0(VALU_DEP_2)
	v_cmpx_gt_u32_e64 s3, v1
	s_cbranch_execz .LBB853_61
; %bb.58:
	v_add_nc_u32_e32 v1, s17, v10
	v_add_nc_u32_e32 v2, s19, v10
	s_mov_b32 s6, exec_lo
	s_delay_alu instid0(VALU_DEP_2) | instskip(NEXT) | instid1(VALU_DEP_2)
	v_mul_lo_u32 v1, v1, s16
	v_mul_lo_u32 v2, v2, s18
	s_delay_alu instid0(VALU_DEP_1) | instskip(NEXT) | instid1(VALU_DEP_1)
	v_sub_nc_u32_e32 v1, v1, v2
	v_cmp_lt_u32_e32 vcc_lo, s20, v1
	v_cmpx_ge_u32_e64 s20, v1
; %bb.59:
	v_add_nc_u32_e32 v1, s22, v10
	v_add_nc_u32_e32 v2, s40, v10
	s_delay_alu instid0(VALU_DEP_2) | instskip(NEXT) | instid1(VALU_DEP_2)
	v_mul_lo_u32 v1, v1, s21
	v_mul_lo_u32 v2, v2, s23
	s_delay_alu instid0(VALU_DEP_1) | instskip(NEXT) | instid1(VALU_DEP_1)
	v_sub_nc_u32_e32 v1, v1, v2
	v_cmp_lt_u32_e64 s0, s41, v1
	s_delay_alu instid0(VALU_DEP_1)
	s_and_b32 s2, s0, exec_lo
; %bb.60:
	s_or_b32 exec_lo, exec_lo, s6
	v_cndmask_b32_e64 v42, 0, 1, vcc_lo
	v_cndmask_b32_e64 v40, 0, 1, s2
.LBB853_61:
	s_or_b32 exec_lo, exec_lo, s1
	v_dual_mov_b32 v44, 0 :: v_dual_add_nc_u32 v1, 7, v28
	v_mov_b32_e32 v43, 0
	s_mov_b32 s2, 0
	s_mov_b32 s1, exec_lo
	s_delay_alu instid0(VALU_DEP_2)
	;; [unrolled: 35-line block ×3, first 2 shown]
	v_cmpx_gt_u32_e64 s3, v1
	s_cbranch_execz .LBB853_69
; %bb.66:
	v_add_nc_u32_e32 v1, s17, v8
	v_add_nc_u32_e32 v2, s19, v8
	s_mov_b32 s6, exec_lo
	s_delay_alu instid0(VALU_DEP_2) | instskip(NEXT) | instid1(VALU_DEP_2)
	v_mul_lo_u32 v1, v1, s16
	v_mul_lo_u32 v2, v2, s18
	s_delay_alu instid0(VALU_DEP_1) | instskip(NEXT) | instid1(VALU_DEP_1)
	v_sub_nc_u32_e32 v1, v1, v2
	v_cmp_lt_u32_e32 vcc_lo, s20, v1
	v_cmpx_ge_u32_e64 s20, v1
; %bb.67:
	v_add_nc_u32_e32 v1, s22, v8
	v_add_nc_u32_e32 v2, s40, v8
	s_delay_alu instid0(VALU_DEP_2) | instskip(NEXT) | instid1(VALU_DEP_2)
	v_mul_lo_u32 v1, v1, s21
	v_mul_lo_u32 v2, v2, s23
	s_delay_alu instid0(VALU_DEP_1) | instskip(NEXT) | instid1(VALU_DEP_1)
	v_sub_nc_u32_e32 v1, v1, v2
	v_cmp_lt_u32_e64 s0, s41, v1
	s_delay_alu instid0(VALU_DEP_1)
	s_and_b32 s2, s0, exec_lo
; %bb.68:
	s_or_b32 exec_lo, exec_lo, s6
	v_cndmask_b32_e64 v46, 0, 1, vcc_lo
	v_cndmask_b32_e64 v45, 0, 1, s2
.LBB853_69:
	s_or_b32 exec_lo, exec_lo, s1
	v_add_nc_u32_e32 v1, 9, v28
	v_mov_b32_e32 v47, 0
	v_mov_b32_e32 v49, 0
	s_mov_b32 s2, 0
	s_mov_b32 s1, exec_lo
	v_cmpx_gt_u32_e64 s3, v1
	s_cbranch_execz .LBB853_73
; %bb.70:
	v_add_nc_u32_e32 v1, s17, v9
	v_add_nc_u32_e32 v2, s19, v9
	s_mov_b32 s6, exec_lo
	s_delay_alu instid0(VALU_DEP_2) | instskip(NEXT) | instid1(VALU_DEP_2)
	v_mul_lo_u32 v1, v1, s16
	v_mul_lo_u32 v2, v2, s18
	s_delay_alu instid0(VALU_DEP_1) | instskip(NEXT) | instid1(VALU_DEP_1)
	v_sub_nc_u32_e32 v1, v1, v2
	v_cmp_lt_u32_e32 vcc_lo, s20, v1
	v_cmpx_ge_u32_e64 s20, v1
; %bb.71:
	v_add_nc_u32_e32 v1, s22, v9
	v_add_nc_u32_e32 v2, s40, v9
	s_delay_alu instid0(VALU_DEP_2) | instskip(NEXT) | instid1(VALU_DEP_2)
	v_mul_lo_u32 v1, v1, s21
	v_mul_lo_u32 v2, v2, s23
	s_delay_alu instid0(VALU_DEP_1) | instskip(NEXT) | instid1(VALU_DEP_1)
	v_sub_nc_u32_e32 v1, v1, v2
	v_cmp_lt_u32_e64 s0, s41, v1
	s_delay_alu instid0(VALU_DEP_1)
	s_and_b32 s2, s0, exec_lo
; %bb.72:
	s_or_b32 exec_lo, exec_lo, s6
	v_cndmask_b32_e64 v49, 0, 1, vcc_lo
	v_cndmask_b32_e64 v47, 0, 1, s2
.LBB853_73:
	s_or_b32 exec_lo, exec_lo, s1
	v_dual_mov_b32 v48, 0 :: v_dual_add_nc_u32 v1, 10, v28
	v_mov_b32_e32 v50, 0
	s_mov_b32 s2, 0
	s_mov_b32 s1, exec_lo
	s_delay_alu instid0(VALU_DEP_2)
	v_cmpx_gt_u32_e64 s3, v1
	s_cbranch_execz .LBB853_77
; %bb.74:
	v_add_nc_u32_e32 v1, s17, v6
	v_add_nc_u32_e32 v2, s19, v6
	s_mov_b32 s6, exec_lo
	s_delay_alu instid0(VALU_DEP_2) | instskip(NEXT) | instid1(VALU_DEP_2)
	v_mul_lo_u32 v1, v1, s16
	v_mul_lo_u32 v2, v2, s18
	s_delay_alu instid0(VALU_DEP_1) | instskip(NEXT) | instid1(VALU_DEP_1)
	v_sub_nc_u32_e32 v1, v1, v2
	v_cmp_lt_u32_e32 vcc_lo, s20, v1
	v_cmpx_ge_u32_e64 s20, v1
; %bb.75:
	v_add_nc_u32_e32 v1, s22, v6
	v_add_nc_u32_e32 v2, s40, v6
	s_delay_alu instid0(VALU_DEP_2) | instskip(NEXT) | instid1(VALU_DEP_2)
	v_mul_lo_u32 v1, v1, s21
	v_mul_lo_u32 v2, v2, s23
	s_delay_alu instid0(VALU_DEP_1) | instskip(NEXT) | instid1(VALU_DEP_1)
	v_sub_nc_u32_e32 v1, v1, v2
	v_cmp_lt_u32_e64 s0, s41, v1
	s_delay_alu instid0(VALU_DEP_1)
	s_and_b32 s2, s0, exec_lo
; %bb.76:
	s_or_b32 exec_lo, exec_lo, s6
	v_cndmask_b32_e64 v50, 0, 1, vcc_lo
	v_cndmask_b32_e64 v48, 0, 1, s2
.LBB853_77:
	s_or_b32 exec_lo, exec_lo, s1
	v_dual_mov_b32 v52, 0 :: v_dual_add_nc_u32 v1, 11, v28
	v_mov_b32_e32 v51, 0
	s_mov_b32 s2, 0
	s_mov_b32 s1, exec_lo
	s_delay_alu instid0(VALU_DEP_2)
	v_cmpx_gt_u32_e64 s3, v1
	s_cbranch_execz .LBB853_81
; %bb.78:
	v_add_nc_u32_e32 v1, s17, v7
	v_add_nc_u32_e32 v2, s19, v7
	s_mov_b32 s6, exec_lo
	s_delay_alu instid0(VALU_DEP_2) | instskip(NEXT) | instid1(VALU_DEP_2)
	v_mul_lo_u32 v1, v1, s16
	v_mul_lo_u32 v2, v2, s18
	s_delay_alu instid0(VALU_DEP_1) | instskip(NEXT) | instid1(VALU_DEP_1)
	v_sub_nc_u32_e32 v1, v1, v2
	v_cmp_lt_u32_e32 vcc_lo, s20, v1
	v_cmpx_ge_u32_e64 s20, v1
; %bb.79:
	v_add_nc_u32_e32 v1, s22, v7
	v_add_nc_u32_e32 v2, s40, v7
	s_delay_alu instid0(VALU_DEP_2) | instskip(NEXT) | instid1(VALU_DEP_2)
	v_mul_lo_u32 v1, v1, s21
	v_mul_lo_u32 v2, v2, s23
	s_delay_alu instid0(VALU_DEP_1) | instskip(NEXT) | instid1(VALU_DEP_1)
	v_sub_nc_u32_e32 v1, v1, v2
	v_cmp_lt_u32_e64 s0, s41, v1
	s_delay_alu instid0(VALU_DEP_1)
	s_and_b32 s2, s0, exec_lo
; %bb.80:
	s_or_b32 exec_lo, exec_lo, s6
	v_cndmask_b32_e64 v51, 0, 1, vcc_lo
	v_cndmask_b32_e64 v52, 0, 1, s2
.LBB853_81:
	s_or_b32 exec_lo, exec_lo, s1
	v_add_nc_u32_e32 v1, 12, v28
	s_mov_b32 s42, 0
	s_mov_b32 s43, 0
	s_mov_b32 s0, exec_lo
	s_delay_alu instid0(VALU_DEP_1)
	v_cmpx_gt_u32_e64 s3, v1
	s_cbranch_execz .LBB853_85
; %bb.82:
	v_add_nc_u32_e32 v1, s17, v27
	v_add_nc_u32_e32 v2, s19, v27
	s_mov_b32 s2, -1
	s_mov_b32 s6, 0
	s_mov_b32 s1, exec_lo
	v_mul_lo_u32 v1, v1, s16
	v_mul_lo_u32 v2, v2, s18
	s_delay_alu instid0(VALU_DEP_1) | instskip(NEXT) | instid1(VALU_DEP_1)
	v_sub_nc_u32_e32 v1, v1, v2
	v_cmpx_ge_u32_e64 s20, v1
; %bb.83:
	v_add_nc_u32_e32 v1, s22, v27
	v_add_nc_u32_e32 v2, s40, v27
	s_xor_b32 s2, exec_lo, -1
	s_delay_alu instid0(VALU_DEP_2) | instskip(NEXT) | instid1(VALU_DEP_2)
	v_mul_lo_u32 v1, v1, s21
	v_mul_lo_u32 v2, v2, s23
	s_delay_alu instid0(VALU_DEP_1) | instskip(NEXT) | instid1(VALU_DEP_1)
	v_sub_nc_u32_e32 v1, v1, v2
	v_cmp_lt_u32_e32 vcc_lo, s41, v1
	s_and_b32 s6, vcc_lo, exec_lo
; %bb.84:
	s_or_b32 exec_lo, exec_lo, s1
	s_delay_alu instid0(SALU_CYCLE_1)
	s_and_b32 s43, s6, exec_lo
	s_and_b32 s42, s2, exec_lo
.LBB853_85:
	s_or_b32 exec_lo, exec_lo, s0
.LBB853_86:
	v_and_b32_e32 v75, 0xff, v29
	v_and_b32_e32 v76, 0xff, v30
	;; [unrolled: 1-line block ×10, first 2 shown]
	v_add3_u32 v1, v71, v73, v75
	v_add3_u32 v2, v72, v74, v76
	v_and_b32_e32 v65, 0xff, v41
	v_and_b32_e32 v66, 0xff, v39
	v_and_b32_e32 v61, 0xff, v42
	v_and_b32_e32 v62, 0xff, v40
	v_add3_u32 v1, v1, v69, v67
	v_add3_u32 v2, v2, v70, v68
	v_and_b32_e32 v63, 0xff, v44
	v_and_b32_e32 v64, 0xff, v43
	v_and_b32_e32 v59, 0xff, v46
	v_and_b32_e32 v60, 0xff, v45
	;; [unrolled: 6-line block ×3, first 2 shown]
	v_add3_u32 v1, v1, v63, v59
	v_add3_u32 v2, v2, v64, v60
	v_mbcnt_lo_u32_b32 v77, -1, 0
	v_and_b32_e32 v53, 0xff, v51
	v_and_b32_e32 v54, 0xff, v52
	v_cndmask_b32_e64 v3, 0, 1, s43
	v_add3_u32 v1, v1, v57, v55
	v_cndmask_b32_e64 v4, 0, 1, s42
	v_add3_u32 v2, v2, v58, v56
	v_and_b32_e32 v81, 15, v77
	v_and_b32_e32 v80, 16, v77
	v_lshrrev_b32_e32 v78, 5, v0
	v_add3_u32 v82, v1, v53, v4
	v_add3_u32 v83, v2, v54, v3
	v_cmp_eq_u32_e64 s1, 0, v81
	v_cmp_lt_u32_e64 s0, 1, v81
	v_cmp_lt_u32_e64 s2, 3, v81
	v_cmp_lt_u32_e32 vcc_lo, 7, v81
	v_or_b32_e32 v79, 31, v0
	s_cmp_lg_u32 s15, 0
	s_mov_b32 s6, -1
	s_cbranch_scc0 .LBB853_114
; %bb.87:
	v_mov_b32_dpp v1, v83 row_shr:1 row_mask:0xf bank_mask:0xf
	v_mov_b32_dpp v2, v82 row_shr:1 row_mask:0xf bank_mask:0xf
	s_delay_alu instid0(VALU_DEP_2) | instskip(NEXT) | instid1(VALU_DEP_1)
	v_add_nc_u32_e32 v1, v1, v83
	v_cndmask_b32_e64 v1, v1, v83, s1
	s_delay_alu instid0(VALU_DEP_1) | instskip(NEXT) | instid1(VALU_DEP_1)
	v_mov_b32_dpp v3, v1 row_shr:2 row_mask:0xf bank_mask:0xf
	v_add_nc_u32_e32 v3, v1, v3
	s_delay_alu instid0(VALU_DEP_1) | instskip(NEXT) | instid1(VALU_DEP_1)
	v_cndmask_b32_e64 v1, v1, v3, s0
	v_mov_b32_dpp v3, v1 row_shr:4 row_mask:0xf bank_mask:0xf
	s_delay_alu instid0(VALU_DEP_1) | instskip(NEXT) | instid1(VALU_DEP_1)
	v_add_nc_u32_e32 v3, v1, v3
	v_cndmask_b32_e64 v1, v1, v3, s2
	s_delay_alu instid0(VALU_DEP_1) | instskip(NEXT) | instid1(VALU_DEP_1)
	v_mov_b32_dpp v3, v1 row_shr:8 row_mask:0xf bank_mask:0xf
	v_add_nc_u32_e32 v3, v1, v3
	s_delay_alu instid0(VALU_DEP_1) | instskip(NEXT) | instid1(VALU_DEP_1)
	v_dual_cndmask_b32 v1, v1, v3 :: v_dual_add_nc_u32 v2, v2, v82
	v_cndmask_b32_e64 v2, v2, v82, s1
	s_delay_alu instid0(VALU_DEP_1) | instskip(NEXT) | instid1(VALU_DEP_1)
	v_mov_b32_dpp v4, v2 row_shr:2 row_mask:0xf bank_mask:0xf
	v_add_nc_u32_e32 v4, v2, v4
	s_delay_alu instid0(VALU_DEP_1) | instskip(NEXT) | instid1(VALU_DEP_1)
	v_cndmask_b32_e64 v2, v2, v4, s0
	v_mov_b32_dpp v4, v2 row_shr:4 row_mask:0xf bank_mask:0xf
	s_delay_alu instid0(VALU_DEP_1) | instskip(NEXT) | instid1(VALU_DEP_1)
	v_add_nc_u32_e32 v4, v2, v4
	v_cndmask_b32_e64 v2, v2, v4, s2
	s_mov_b32 s2, exec_lo
	s_delay_alu instid0(VALU_DEP_1) | instskip(NEXT) | instid1(VALU_DEP_1)
	v_mov_b32_dpp v4, v2 row_shr:8 row_mask:0xf bank_mask:0xf
	v_add_nc_u32_e32 v4, v2, v4
	s_delay_alu instid0(VALU_DEP_1)
	v_cndmask_b32_e32 v3, v2, v4, vcc_lo
	ds_swizzle_b32 v2, v1 offset:swizzle(BROADCAST,32,15)
	v_cmp_eq_u32_e32 vcc_lo, 0, v80
	s_waitcnt lgkmcnt(0)
	v_add_nc_u32_e32 v2, v1, v2
	ds_swizzle_b32 v4, v3 offset:swizzle(BROADCAST,32,15)
	v_cndmask_b32_e32 v2, v2, v1, vcc_lo
	s_waitcnt lgkmcnt(0)
	v_add_nc_u32_e32 v4, v3, v4
	s_delay_alu instid0(VALU_DEP_1)
	v_cndmask_b32_e32 v1, v4, v3, vcc_lo
	v_cmpx_eq_u32_e64 v79, v0
	s_cbranch_execz .LBB853_89
; %bb.88:
	v_lshlrev_b32_e32 v3, 3, v78
	ds_store_b64 v3, v[1:2]
.LBB853_89:
	s_or_b32 exec_lo, exec_lo, s2
	s_delay_alu instid0(SALU_CYCLE_1)
	s_mov_b32 s2, exec_lo
	s_waitcnt lgkmcnt(0)
	s_barrier
	buffer_gl0_inv
	v_cmpx_gt_u32_e32 8, v0
	s_cbranch_execz .LBB853_91
; %bb.90:
	v_lshlrev_b32_e32 v5, 3, v0
	ds_load_b64 v[3:4], v5
	s_waitcnt lgkmcnt(0)
	v_mov_b32_dpp v18, v3 row_shr:1 row_mask:0xf bank_mask:0xf
	v_mov_b32_dpp v19, v4 row_shr:1 row_mask:0xf bank_mask:0xf
	s_delay_alu instid0(VALU_DEP_2) | instskip(SKIP_1) | instid1(VALU_DEP_3)
	v_add_nc_u32_e32 v18, v18, v3
	v_and_b32_e32 v20, 7, v77
	v_add_nc_u32_e32 v19, v19, v4
	s_delay_alu instid0(VALU_DEP_2) | instskip(NEXT) | instid1(VALU_DEP_2)
	v_cmp_eq_u32_e32 vcc_lo, 0, v20
	v_dual_cndmask_b32 v4, v19, v4 :: v_dual_cndmask_b32 v3, v18, v3
	v_cmp_lt_u32_e32 vcc_lo, 1, v20
	s_delay_alu instid0(VALU_DEP_2) | instskip(NEXT) | instid1(VALU_DEP_3)
	v_mov_b32_dpp v19, v4 row_shr:2 row_mask:0xf bank_mask:0xf
	v_mov_b32_dpp v18, v3 row_shr:2 row_mask:0xf bank_mask:0xf
	s_delay_alu instid0(VALU_DEP_2) | instskip(NEXT) | instid1(VALU_DEP_2)
	v_add_nc_u32_e32 v19, v4, v19
	v_add_nc_u32_e32 v18, v3, v18
	s_delay_alu instid0(VALU_DEP_1) | instskip(SKIP_1) | instid1(VALU_DEP_2)
	v_dual_cndmask_b32 v4, v4, v19 :: v_dual_cndmask_b32 v3, v3, v18
	v_cmp_lt_u32_e32 vcc_lo, 3, v20
	v_mov_b32_dpp v19, v4 row_shr:4 row_mask:0xf bank_mask:0xf
	s_delay_alu instid0(VALU_DEP_3) | instskip(NEXT) | instid1(VALU_DEP_1)
	v_mov_b32_dpp v18, v3 row_shr:4 row_mask:0xf bank_mask:0xf
	v_dual_cndmask_b32 v19, 0, v19 :: v_dual_cndmask_b32 v18, 0, v18
	s_delay_alu instid0(VALU_DEP_1) | instskip(NEXT) | instid1(VALU_DEP_2)
	v_add_nc_u32_e32 v4, v19, v4
	v_add_nc_u32_e32 v3, v18, v3
	ds_store_b64 v5, v[3:4]
.LBB853_91:
	s_or_b32 exec_lo, exec_lo, s2
	v_cmp_gt_u32_e32 vcc_lo, 32, v0
	v_cmp_lt_u32_e64 s2, 31, v0
	s_waitcnt lgkmcnt(0)
	s_barrier
	buffer_gl0_inv
                                        ; implicit-def: $vgpr19
	s_and_saveexec_b32 s6, s2
	s_delay_alu instid0(SALU_CYCLE_1)
	s_xor_b32 s2, exec_lo, s6
	s_cbranch_execz .LBB853_93
; %bb.92:
	v_lshl_add_u32 v3, v78, 3, -8
	ds_load_b64 v[18:19], v3
	s_waitcnt lgkmcnt(0)
	v_add_nc_u32_e32 v2, v19, v2
	v_add_nc_u32_e32 v1, v18, v1
.LBB853_93:
	s_and_not1_saveexec_b32 s2, s2
; %bb.94:
                                        ; implicit-def: $vgpr18
; %bb.95:
	s_delay_alu instid0(SALU_CYCLE_1) | instskip(SKIP_1) | instid1(VALU_DEP_1)
	s_or_b32 exec_lo, exec_lo, s2
	v_add_nc_u32_e32 v3, -1, v77
	v_cmp_gt_i32_e64 s2, 0, v3
	s_delay_alu instid0(VALU_DEP_1) | instskip(SKIP_1) | instid1(VALU_DEP_2)
	v_cndmask_b32_e64 v3, v3, v77, s2
	v_cmp_eq_u32_e64 s2, 0, v77
	v_lshlrev_b32_e32 v3, 2, v3
	ds_bpermute_b32 v84, v3, v1
	ds_bpermute_b32 v85, v3, v2
	s_and_saveexec_b32 s6, vcc_lo
	s_cbranch_execz .LBB853_113
; %bb.96:
	v_mov_b32_e32 v4, 0
	ds_load_b64 v[1:2], v4 offset:56
	s_waitcnt lgkmcnt(0)
	v_readfirstlane_b32 s7, v2
	s_and_saveexec_b32 s8, s2
	s_cbranch_execz .LBB853_98
; %bb.97:
	s_add_i32 s10, s15, 32
	s_mov_b32 s11, 0
	v_mov_b32_e32 v3, 1
	s_lshl_b64 s[12:13], s[10:11], 4
	s_mov_b32 s16, s11
	s_add_u32 s12, s4, s12
	s_addc_u32 s13, s5, s13
	s_and_b32 s17, s7, 0xff000000
	s_and_b32 s19, s7, 0xff0000
	s_mov_b32 s18, s11
	v_dual_mov_b32 v21, s13 :: v_dual_mov_b32 v20, s12
	s_or_b64 s[16:17], s[18:19], s[16:17]
	s_and_b32 s19, s7, 0xff00
	s_delay_alu instid0(SALU_CYCLE_1) | instskip(SKIP_1) | instid1(SALU_CYCLE_1)
	s_or_b64 s[16:17], s[16:17], s[18:19]
	s_and_b32 s19, s7, 0xff
	s_or_b64 s[10:11], s[16:17], s[18:19]
	s_delay_alu instid0(SALU_CYCLE_1)
	v_mov_b32_e32 v2, s11
	;;#ASMSTART
	global_store_dwordx4 v[20:21], v[1:4] off	
s_waitcnt vmcnt(0)
	;;#ASMEND
.LBB853_98:
	s_or_b32 exec_lo, exec_lo, s8
	v_xad_u32 v20, v77, -1, s15
	s_mov_b32 s9, 0
	s_mov_b32 s8, exec_lo
	s_delay_alu instid0(VALU_DEP_1) | instskip(NEXT) | instid1(VALU_DEP_1)
	v_add_nc_u32_e32 v3, 32, v20
	v_lshlrev_b64 v[2:3], 4, v[3:4]
	s_delay_alu instid0(VALU_DEP_1) | instskip(NEXT) | instid1(VALU_DEP_2)
	v_add_co_u32 v21, vcc_lo, s4, v2
	v_add_co_ci_u32_e32 v22, vcc_lo, s5, v3, vcc_lo
	;;#ASMSTART
	global_load_dwordx4 v[2:5], v[21:22] off glc	
s_waitcnt vmcnt(0)
	;;#ASMEND
	v_and_b32_e32 v5, 0xff, v3
	v_and_b32_e32 v23, 0xff00, v3
	v_or3_b32 v2, v2, 0, 0
	v_and_b32_e32 v24, 0xff000000, v3
	v_and_b32_e32 v3, 0xff0000, v3
	s_delay_alu instid0(VALU_DEP_4) | instskip(SKIP_2) | instid1(VALU_DEP_3)
	v_or3_b32 v5, 0, v5, v23
	v_and_b32_e32 v23, 0xff, v4
	v_or3_b32 v2, v2, 0, 0
	v_or3_b32 v3, v5, v3, v24
	s_delay_alu instid0(VALU_DEP_3)
	v_cmpx_eq_u16_e32 0, v23
	s_cbranch_execz .LBB853_101
.LBB853_99:                             ; =>This Inner Loop Header: Depth=1
	;;#ASMSTART
	global_load_dwordx4 v[2:5], v[21:22] off glc	
s_waitcnt vmcnt(0)
	;;#ASMEND
	v_and_b32_e32 v5, 0xff, v4
	s_delay_alu instid0(VALU_DEP_1) | instskip(SKIP_1) | instid1(SALU_CYCLE_1)
	v_cmp_ne_u16_e32 vcc_lo, 0, v5
	s_or_b32 s9, vcc_lo, s9
	s_and_not1_b32 exec_lo, exec_lo, s9
	s_cbranch_execnz .LBB853_99
; %bb.100:
	s_or_b32 exec_lo, exec_lo, s9
.LBB853_101:
	s_delay_alu instid0(SALU_CYCLE_1)
	s_or_b32 exec_lo, exec_lo, s8
	v_cmp_ne_u32_e32 vcc_lo, 31, v77
	v_lshlrev_b32_e64 v87, v77, -1
	v_add_nc_u32_e32 v91, 4, v77
	v_add_nc_u32_e32 v93, 8, v77
	;; [unrolled: 1-line block ×3, first 2 shown]
	v_add_co_ci_u32_e32 v5, vcc_lo, 0, v77, vcc_lo
	s_delay_alu instid0(VALU_DEP_1)
	v_lshlrev_b32_e32 v86, 2, v5
	ds_bpermute_b32 v21, v86, v3
	ds_bpermute_b32 v5, v86, v2
	s_waitcnt lgkmcnt(1)
	v_add_nc_u32_e32 v21, v21, v3
	v_and_b32_e32 v22, 0xff, v4
	s_waitcnt lgkmcnt(0)
	v_add_nc_u32_e32 v5, v5, v2
	s_delay_alu instid0(VALU_DEP_2) | instskip(SKIP_2) | instid1(VALU_DEP_2)
	v_cmp_eq_u16_e32 vcc_lo, 2, v22
	v_and_or_b32 v22, vcc_lo, v87, 0x80000000
	v_cmp_gt_u32_e32 vcc_lo, 30, v77
	v_ctz_i32_b32_e32 v22, v22
	v_cndmask_b32_e64 v23, 0, 1, vcc_lo
	s_delay_alu instid0(VALU_DEP_2) | instskip(NEXT) | instid1(VALU_DEP_2)
	v_cmp_lt_u32_e32 vcc_lo, v77, v22
	v_dual_cndmask_b32 v2, v2, v5 :: v_dual_lshlrev_b32 v23, 1, v23
	s_delay_alu instid0(VALU_DEP_1)
	v_add_lshl_u32 v88, v23, v77, 2
	v_cndmask_b32_e32 v3, v3, v21, vcc_lo
	v_cmp_gt_u32_e32 vcc_lo, 28, v77
	ds_bpermute_b32 v5, v88, v2
	ds_bpermute_b32 v21, v88, v3
	v_cndmask_b32_e64 v23, 0, 1, vcc_lo
	s_waitcnt lgkmcnt(1)
	v_add_nc_u32_e32 v5, v2, v5
	v_add_nc_u32_e32 v89, 2, v77
	s_waitcnt lgkmcnt(0)
	v_add_nc_u32_e32 v21, v3, v21
	s_delay_alu instid0(VALU_DEP_2) | instskip(SKIP_1) | instid1(VALU_DEP_3)
	v_cmp_gt_u32_e32 vcc_lo, v89, v22
	v_dual_cndmask_b32 v2, v5, v2 :: v_dual_lshlrev_b32 v23, 2, v23
	v_cndmask_b32_e32 v3, v21, v3, vcc_lo
	v_cmp_gt_u32_e32 vcc_lo, 24, v77
	s_delay_alu instid0(VALU_DEP_3)
	v_add_lshl_u32 v90, v23, v77, 2
	v_cndmask_b32_e64 v23, 0, 1, vcc_lo
	v_cmp_gt_u32_e32 vcc_lo, v91, v22
	ds_bpermute_b32 v5, v90, v2
	ds_bpermute_b32 v21, v90, v3
	v_lshlrev_b32_e32 v23, 3, v23
	s_delay_alu instid0(VALU_DEP_1) | instskip(SKIP_3) | instid1(VALU_DEP_1)
	v_add_lshl_u32 v92, v23, v77, 2
	s_waitcnt lgkmcnt(1)
	v_add_nc_u32_e32 v5, v2, v5
	s_waitcnt lgkmcnt(0)
	v_dual_cndmask_b32 v2, v5, v2 :: v_dual_add_nc_u32 v21, v3, v21
	s_delay_alu instid0(VALU_DEP_1)
	v_cndmask_b32_e32 v3, v21, v3, vcc_lo
	v_cmp_gt_u32_e32 vcc_lo, 16, v77
	ds_bpermute_b32 v5, v92, v2
	ds_bpermute_b32 v21, v92, v3
	v_cndmask_b32_e64 v23, 0, 1, vcc_lo
	v_cmp_gt_u32_e32 vcc_lo, v93, v22
	s_delay_alu instid0(VALU_DEP_2) | instskip(NEXT) | instid1(VALU_DEP_1)
	v_lshlrev_b32_e32 v23, 4, v23
	v_add_lshl_u32 v94, v23, v77, 2
	s_waitcnt lgkmcnt(1)
	v_add_nc_u32_e32 v5, v2, v5
	s_waitcnt lgkmcnt(0)
	s_delay_alu instid0(VALU_DEP_1) | instskip(NEXT) | instid1(VALU_DEP_1)
	v_dual_cndmask_b32 v2, v5, v2 :: v_dual_add_nc_u32 v21, v3, v21
	v_cndmask_b32_e32 v3, v21, v3, vcc_lo
	v_cmp_le_u32_e32 vcc_lo, v95, v22
	ds_bpermute_b32 v5, v94, v2
	ds_bpermute_b32 v21, v94, v3
	s_waitcnt lgkmcnt(1)
	v_cndmask_b32_e32 v5, 0, v5, vcc_lo
	s_waitcnt lgkmcnt(0)
	s_delay_alu instid0(VALU_DEP_1) | instskip(NEXT) | instid1(VALU_DEP_1)
	v_dual_cndmask_b32 v21, 0, v21 :: v_dual_add_nc_u32 v2, v5, v2
	v_add_nc_u32_e32 v3, v21, v3
	v_mov_b32_e32 v21, 0
	s_branch .LBB853_103
.LBB853_102:                            ;   in Loop: Header=BB853_103 Depth=1
	s_or_b32 exec_lo, exec_lo, s8
	ds_bpermute_b32 v5, v86, v2
	ds_bpermute_b32 v24, v86, v3
	v_subrev_nc_u32_e32 v20, 32, v20
	s_waitcnt lgkmcnt(1)
	v_add_nc_u32_e32 v5, v5, v2
	v_and_b32_e32 v25, 0xff, v4
	s_waitcnt lgkmcnt(0)
	v_add_nc_u32_e32 v24, v24, v3
	s_delay_alu instid0(VALU_DEP_2) | instskip(SKIP_1) | instid1(VALU_DEP_1)
	v_cmp_eq_u16_e32 vcc_lo, 2, v25
	v_and_or_b32 v25, vcc_lo, v87, 0x80000000
	v_ctz_i32_b32_e32 v25, v25
	s_delay_alu instid0(VALU_DEP_1)
	v_cmp_lt_u32_e32 vcc_lo, v77, v25
	v_cndmask_b32_e32 v2, v2, v5, vcc_lo
	ds_bpermute_b32 v5, v88, v2
	s_waitcnt lgkmcnt(0)
	v_add_nc_u32_e32 v5, v2, v5
	v_cndmask_b32_e32 v3, v3, v24, vcc_lo
	v_cmp_gt_u32_e32 vcc_lo, v89, v25
	s_delay_alu instid0(VALU_DEP_3)
	v_cndmask_b32_e32 v2, v5, v2, vcc_lo
	ds_bpermute_b32 v24, v88, v3
	ds_bpermute_b32 v5, v90, v2
	s_waitcnt lgkmcnt(1)
	v_add_nc_u32_e32 v24, v3, v24
	s_waitcnt lgkmcnt(0)
	v_add_nc_u32_e32 v5, v2, v5
	s_delay_alu instid0(VALU_DEP_2) | instskip(SKIP_1) | instid1(VALU_DEP_3)
	v_cndmask_b32_e32 v3, v24, v3, vcc_lo
	v_cmp_gt_u32_e32 vcc_lo, v91, v25
	v_cndmask_b32_e32 v2, v5, v2, vcc_lo
	ds_bpermute_b32 v24, v90, v3
	ds_bpermute_b32 v5, v92, v2
	s_waitcnt lgkmcnt(1)
	v_add_nc_u32_e32 v24, v3, v24
	s_waitcnt lgkmcnt(0)
	v_add_nc_u32_e32 v5, v2, v5
	s_delay_alu instid0(VALU_DEP_2) | instskip(SKIP_1) | instid1(VALU_DEP_3)
	v_cndmask_b32_e32 v3, v24, v3, vcc_lo
	v_cmp_gt_u32_e32 vcc_lo, v93, v25
	v_cndmask_b32_e32 v2, v5, v2, vcc_lo
	ds_bpermute_b32 v24, v92, v3
	ds_bpermute_b32 v5, v94, v2
	s_waitcnt lgkmcnt(1)
	v_add_nc_u32_e32 v24, v3, v24
	s_delay_alu instid0(VALU_DEP_1) | instskip(SKIP_4) | instid1(VALU_DEP_1)
	v_cndmask_b32_e32 v3, v24, v3, vcc_lo
	v_cmp_le_u32_e32 vcc_lo, v95, v25
	ds_bpermute_b32 v24, v94, v3
	s_waitcnt lgkmcnt(1)
	v_cndmask_b32_e32 v5, 0, v5, vcc_lo
	v_add3_u32 v2, v2, v22, v5
	s_waitcnt lgkmcnt(0)
	v_cndmask_b32_e32 v24, 0, v24, vcc_lo
	s_delay_alu instid0(VALU_DEP_1)
	v_add3_u32 v3, v3, v23, v24
.LBB853_103:                            ; =>This Loop Header: Depth=1
                                        ;     Child Loop BB853_106 Depth 2
	s_delay_alu instid0(VALU_DEP_1) | instskip(SKIP_1) | instid1(VALU_DEP_2)
	v_dual_mov_b32 v23, v3 :: v_dual_and_b32 v4, 0xff, v4
	v_mov_b32_e32 v22, v2
	v_cmp_ne_u16_e32 vcc_lo, 2, v4
	v_cndmask_b32_e64 v4, 0, 1, vcc_lo
	;;#ASMSTART
	;;#ASMEND
	s_delay_alu instid0(VALU_DEP_1)
	v_cmp_ne_u32_e32 vcc_lo, 0, v4
	s_cmp_lg_u32 vcc_lo, exec_lo
	s_cbranch_scc1 .LBB853_108
; %bb.104:                              ;   in Loop: Header=BB853_103 Depth=1
	v_lshlrev_b64 v[2:3], 4, v[20:21]
	s_mov_b32 s8, exec_lo
	s_delay_alu instid0(VALU_DEP_1) | instskip(NEXT) | instid1(VALU_DEP_2)
	v_add_co_u32 v24, vcc_lo, s4, v2
	v_add_co_ci_u32_e32 v25, vcc_lo, s5, v3, vcc_lo
	;;#ASMSTART
	global_load_dwordx4 v[2:5], v[24:25] off glc	
s_waitcnt vmcnt(0)
	;;#ASMEND
	v_and_b32_e32 v5, 0xff, v3
	v_and_b32_e32 v96, 0xff00, v3
	v_or3_b32 v2, v2, 0, 0
	v_and_b32_e32 v97, 0xff000000, v3
	v_and_b32_e32 v3, 0xff0000, v3
	s_delay_alu instid0(VALU_DEP_4) | instskip(SKIP_2) | instid1(VALU_DEP_3)
	v_or3_b32 v5, 0, v5, v96
	v_and_b32_e32 v96, 0xff, v4
	v_or3_b32 v2, v2, 0, 0
	v_or3_b32 v3, v5, v3, v97
	s_delay_alu instid0(VALU_DEP_3)
	v_cmpx_eq_u16_e32 0, v96
	s_cbranch_execz .LBB853_102
; %bb.105:                              ;   in Loop: Header=BB853_103 Depth=1
	s_mov_b32 s9, 0
.LBB853_106:                            ;   Parent Loop BB853_103 Depth=1
                                        ; =>  This Inner Loop Header: Depth=2
	;;#ASMSTART
	global_load_dwordx4 v[2:5], v[24:25] off glc	
s_waitcnt vmcnt(0)
	;;#ASMEND
	v_and_b32_e32 v5, 0xff, v4
	s_delay_alu instid0(VALU_DEP_1) | instskip(SKIP_1) | instid1(SALU_CYCLE_1)
	v_cmp_ne_u16_e32 vcc_lo, 0, v5
	s_or_b32 s9, vcc_lo, s9
	s_and_not1_b32 exec_lo, exec_lo, s9
	s_cbranch_execnz .LBB853_106
; %bb.107:                              ;   in Loop: Header=BB853_103 Depth=1
	s_or_b32 exec_lo, exec_lo, s9
	s_branch .LBB853_102
.LBB853_108:                            ;   in Loop: Header=BB853_103 Depth=1
                                        ; implicit-def: $vgpr4
                                        ; implicit-def: $vgpr2_vgpr3
	s_cbranch_execz .LBB853_103
; %bb.109:
	s_and_saveexec_b32 s8, s2
	s_cbranch_execnz .LBB853_352
; %bb.110:
	s_or_b32 exec_lo, exec_lo, s8
	s_and_saveexec_b32 s8, s2
	s_cbranch_execnz .LBB853_353
.LBB853_111:
	s_or_b32 exec_lo, exec_lo, s8
	v_cmp_eq_u32_e32 vcc_lo, 0, v0
	s_and_b32 exec_lo, exec_lo, vcc_lo
	s_cbranch_execz .LBB853_113
.LBB853_112:
	v_mov_b32_e32 v1, 0
	ds_store_b64 v1, v[22:23] offset:56
.LBB853_113:
	s_or_b32 exec_lo, exec_lo, s6
	v_cmp_eq_u32_e32 vcc_lo, 0, v0
	v_mov_b32_e32 v1, 0
	s_waitcnt lgkmcnt(0)
	s_barrier
	buffer_gl0_inv
	v_add_nc_u32_e64 v3, 0x3400, 0
	ds_load_b64 v[20:21], v1 offset:56
	s_waitcnt lgkmcnt(0)
	s_barrier
	buffer_gl0_inv
	ds_load_2addr_b32 v[1:2], v3 offset1:2
	ds_load_2addr_b32 v[3:4], v3 offset0:4 offset1:6
	v_cndmask_b32_e64 v5, v84, v18, s2
	v_cndmask_b32_e64 v18, v85, v19, s2
	s_delay_alu instid0(VALU_DEP_2) | instskip(NEXT) | instid1(VALU_DEP_1)
	v_add_nc_u32_e32 v19, v20, v5
	v_dual_cndmask_b32 v20, v19, v20 :: v_dual_add_nc_u32 v5, v21, v18
	s_delay_alu instid0(VALU_DEP_1)
	v_cndmask_b32_e32 v5, v5, v21, vcc_lo
	s_branch .LBB853_124
.LBB853_114:
                                        ; implicit-def: $vgpr5
                                        ; implicit-def: $vgpr3
                                        ; implicit-def: $vgpr1
                                        ; implicit-def: $vgpr20_vgpr21
	s_and_b32 vcc_lo, exec_lo, s6
	s_cbranch_vccz .LBB853_124
; %bb.115:
	s_waitcnt lgkmcnt(0)
	v_mov_b32_dpp v2, v83 row_shr:1 row_mask:0xf bank_mask:0xf
	v_cmp_lt_u32_e32 vcc_lo, 3, v81
	v_mov_b32_dpp v1, v82 row_shr:1 row_mask:0xf bank_mask:0xf
	s_delay_alu instid0(VALU_DEP_3) | instskip(NEXT) | instid1(VALU_DEP_1)
	v_add_nc_u32_e32 v2, v2, v83
	v_cndmask_b32_e64 v2, v2, v83, s1
	s_delay_alu instid0(VALU_DEP_1) | instskip(NEXT) | instid1(VALU_DEP_1)
	v_mov_b32_dpp v4, v2 row_shr:2 row_mask:0xf bank_mask:0xf
	v_add_nc_u32_e32 v4, v2, v4
	s_delay_alu instid0(VALU_DEP_1) | instskip(NEXT) | instid1(VALU_DEP_1)
	v_cndmask_b32_e64 v2, v2, v4, s0
	v_mov_b32_dpp v4, v2 row_shr:4 row_mask:0xf bank_mask:0xf
	s_delay_alu instid0(VALU_DEP_1) | instskip(NEXT) | instid1(VALU_DEP_1)
	v_add_nc_u32_e32 v4, v2, v4
	v_dual_cndmask_b32 v2, v2, v4 :: v_dual_add_nc_u32 v1, v1, v82
	s_delay_alu instid0(VALU_DEP_1) | instskip(NEXT) | instid1(VALU_DEP_2)
	v_cndmask_b32_e64 v1, v1, v82, s1
	v_mov_b32_dpp v4, v2 row_shr:8 row_mask:0xf bank_mask:0xf
	s_delay_alu instid0(VALU_DEP_2) | instskip(NEXT) | instid1(VALU_DEP_2)
	v_mov_b32_dpp v3, v1 row_shr:2 row_mask:0xf bank_mask:0xf
	v_add_nc_u32_e32 v4, v2, v4
	s_delay_alu instid0(VALU_DEP_2) | instskip(NEXT) | instid1(VALU_DEP_1)
	v_add_nc_u32_e32 v3, v1, v3
	v_cndmask_b32_e64 v1, v1, v3, s0
	s_mov_b32 s0, exec_lo
	s_delay_alu instid0(VALU_DEP_1) | instskip(NEXT) | instid1(VALU_DEP_1)
	v_mov_b32_dpp v3, v1 row_shr:4 row_mask:0xf bank_mask:0xf
	v_add_nc_u32_e32 v3, v1, v3
	s_delay_alu instid0(VALU_DEP_1) | instskip(SKIP_1) | instid1(VALU_DEP_2)
	v_cndmask_b32_e32 v1, v1, v3, vcc_lo
	v_cmp_lt_u32_e32 vcc_lo, 7, v81
	v_mov_b32_dpp v3, v1 row_shr:8 row_mask:0xf bank_mask:0xf
	s_delay_alu instid0(VALU_DEP_1) | instskip(NEXT) | instid1(VALU_DEP_1)
	v_dual_cndmask_b32 v2, v2, v4 :: v_dual_add_nc_u32 v3, v1, v3
	v_cndmask_b32_e32 v1, v1, v3, vcc_lo
	ds_swizzle_b32 v3, v2 offset:swizzle(BROADCAST,32,15)
	v_cmp_eq_u32_e32 vcc_lo, 0, v80
	ds_swizzle_b32 v4, v1 offset:swizzle(BROADCAST,32,15)
	s_waitcnt lgkmcnt(1)
	v_add_nc_u32_e32 v3, v2, v3
	s_waitcnt lgkmcnt(0)
	v_add_nc_u32_e32 v4, v1, v4
	s_delay_alu instid0(VALU_DEP_1)
	v_dual_cndmask_b32 v2, v3, v2 :: v_dual_cndmask_b32 v1, v4, v1
	v_cmpx_eq_u32_e64 v79, v0
	s_cbranch_execz .LBB853_117
; %bb.116:
	v_lshlrev_b32_e32 v3, 3, v78
	ds_store_b64 v3, v[1:2]
.LBB853_117:
	s_or_b32 exec_lo, exec_lo, s0
	s_delay_alu instid0(SALU_CYCLE_1)
	s_mov_b32 s0, exec_lo
	s_waitcnt lgkmcnt(0)
	s_barrier
	buffer_gl0_inv
	v_cmpx_gt_u32_e32 8, v0
	s_cbranch_execz .LBB853_119
; %bb.118:
	v_lshlrev_b32_e32 v5, 3, v0
	ds_load_b64 v[3:4], v5
	s_waitcnt lgkmcnt(0)
	v_mov_b32_dpp v18, v3 row_shr:1 row_mask:0xf bank_mask:0xf
	v_mov_b32_dpp v19, v4 row_shr:1 row_mask:0xf bank_mask:0xf
	s_delay_alu instid0(VALU_DEP_2) | instskip(SKIP_1) | instid1(VALU_DEP_3)
	v_add_nc_u32_e32 v18, v18, v3
	v_and_b32_e32 v20, 7, v77
	v_add_nc_u32_e32 v19, v19, v4
	s_delay_alu instid0(VALU_DEP_2) | instskip(NEXT) | instid1(VALU_DEP_2)
	v_cmp_eq_u32_e32 vcc_lo, 0, v20
	v_dual_cndmask_b32 v4, v19, v4 :: v_dual_cndmask_b32 v3, v18, v3
	v_cmp_lt_u32_e32 vcc_lo, 1, v20
	s_delay_alu instid0(VALU_DEP_2) | instskip(NEXT) | instid1(VALU_DEP_3)
	v_mov_b32_dpp v19, v4 row_shr:2 row_mask:0xf bank_mask:0xf
	v_mov_b32_dpp v18, v3 row_shr:2 row_mask:0xf bank_mask:0xf
	s_delay_alu instid0(VALU_DEP_2) | instskip(NEXT) | instid1(VALU_DEP_2)
	v_add_nc_u32_e32 v19, v4, v19
	v_add_nc_u32_e32 v18, v3, v18
	s_delay_alu instid0(VALU_DEP_1) | instskip(SKIP_1) | instid1(VALU_DEP_2)
	v_dual_cndmask_b32 v4, v4, v19 :: v_dual_cndmask_b32 v3, v3, v18
	v_cmp_lt_u32_e32 vcc_lo, 3, v20
	v_mov_b32_dpp v19, v4 row_shr:4 row_mask:0xf bank_mask:0xf
	s_delay_alu instid0(VALU_DEP_3) | instskip(NEXT) | instid1(VALU_DEP_1)
	v_mov_b32_dpp v18, v3 row_shr:4 row_mask:0xf bank_mask:0xf
	v_dual_cndmask_b32 v19, 0, v19 :: v_dual_cndmask_b32 v18, 0, v18
	s_delay_alu instid0(VALU_DEP_1) | instskip(NEXT) | instid1(VALU_DEP_2)
	v_add_nc_u32_e32 v4, v19, v4
	v_add_nc_u32_e32 v3, v18, v3
	ds_store_b64 v5, v[3:4]
.LBB853_119:
	s_or_b32 exec_lo, exec_lo, s0
	v_dual_mov_b32 v3, 0 :: v_dual_mov_b32 v18, 0
	v_mov_b32_e32 v19, 0
	s_mov_b32 s0, exec_lo
	s_waitcnt lgkmcnt(0)
	s_barrier
	buffer_gl0_inv
	v_cmpx_lt_u32_e32 31, v0
	s_cbranch_execz .LBB853_121
; %bb.120:
	v_lshl_add_u32 v4, v78, 3, -8
	ds_load_b64 v[18:19], v4
.LBB853_121:
	s_or_b32 exec_lo, exec_lo, s0
	v_add_nc_u32_e32 v4, -1, v77
	s_waitcnt lgkmcnt(0)
	v_add_nc_u32_e32 v20, v19, v2
	v_add_nc_u32_e32 v5, v18, v1
	ds_load_b64 v[1:2], v3 offset:56
	v_cmp_gt_i32_e32 vcc_lo, 0, v4
	v_cndmask_b32_e32 v4, v4, v77, vcc_lo
	v_cmp_eq_u32_e32 vcc_lo, 0, v0
	s_delay_alu instid0(VALU_DEP_2)
	v_lshlrev_b32_e32 v4, 2, v4
	ds_bpermute_b32 v5, v4, v5
	ds_bpermute_b32 v20, v4, v20
	s_waitcnt lgkmcnt(2)
	v_readfirstlane_b32 s1, v2
	s_and_saveexec_b32 s0, vcc_lo
	s_cbranch_execz .LBB853_123
; %bb.122:
	s_mov_b32 s6, 0
	s_add_u32 s4, s4, 0x200
	s_addc_u32 s5, s5, 0
	s_and_b32 s7, s1, 0xff000000
	s_and_b32 s9, s1, 0xff0000
	s_mov_b32 s8, s6
	v_mov_b32_e32 v22, s5
	s_or_b64 s[8:9], s[8:9], s[6:7]
	s_and_b32 s7, s1, 0xff00
	v_dual_mov_b32 v4, 0 :: v_dual_mov_b32 v21, s4
	s_or_b64 s[8:9], s[8:9], s[6:7]
	s_and_b32 s7, s1, 0xff
	v_mov_b32_e32 v3, 2
	s_or_b64 s[6:7], s[8:9], s[6:7]
	s_delay_alu instid0(SALU_CYCLE_1)
	v_mov_b32_e32 v2, s7
	;;#ASMSTART
	global_store_dwordx4 v[21:22], v[1:4] off	
s_waitcnt vmcnt(0)
	;;#ASMEND
.LBB853_123:
	s_or_b32 exec_lo, exec_lo, s0
	v_cmp_eq_u32_e64 s0, 0, v77
	v_dual_mov_b32 v3, 0 :: v_dual_mov_b32 v2, s1
	s_waitcnt lgkmcnt(0)
	s_barrier
	s_delay_alu instid0(VALU_DEP_2)
	v_cndmask_b32_e64 v4, v5, v18, s0
	v_cndmask_b32_e64 v5, v20, v19, s0
	buffer_gl0_inv
	v_cndmask_b32_e64 v20, v4, 0, vcc_lo
	v_cndmask_b32_e64 v5, v5, 0, vcc_lo
	v_mov_b32_e32 v4, 0
.LBB853_124:
	v_and_b32_e32 v30, 1, v30
	v_and_b32_e32 v34, 1, v34
	;; [unrolled: 1-line block ×4, first 2 shown]
	s_waitcnt lgkmcnt(0)
	v_add_co_u32 v18, s0, s28, v3
	v_cmp_eq_u32_e32 vcc_lo, 1, v30
	v_add_nc_u32_e32 v22, v5, v76
	v_sub_nc_u32_e32 v5, v5, v4
	v_add_co_ci_u32_e64 v19, null, s29, 0, s0
	s_mov_b32 s2, -1
	s_delay_alu instid0(VALU_DEP_3) | instskip(SKIP_3) | instid1(VALU_DEP_3)
	v_add_nc_u32_e32 v24, v22, v72
	v_sub_nc_u32_e32 v22, v22, v4
	v_add_nc_u32_e32 v5, v5, v1
	v_sub_co_u32 v72, s0, s30, v1
	v_add_nc_u32_e32 v22, v22, v1
	v_add_nc_u32_e32 v21, v20, v75
	v_sub_nc_u32_e32 v20, v20, v3
	s_delay_alu instid0(VALU_DEP_2)
	v_add_nc_u32_e32 v23, v21, v71
	v_add_nc_u32_e32 v71, v24, v74
	v_lshlrev_b32_e32 v74, 1, v1
	v_sub_nc_u32_e32 v21, v21, v3
	v_add_nc_u32_e32 v75, v20, v5
	v_sub_nc_u32_e32 v24, v24, v4
	s_delay_alu instid0(VALU_DEP_4) | instskip(NEXT) | instid1(VALU_DEP_4)
	v_add3_u32 v28, v74, v2, v28
	v_add_nc_u32_e32 v76, v22, v21
	s_delay_alu instid0(VALU_DEP_3) | instskip(NEXT) | instid1(VALU_DEP_3)
	v_add_nc_u32_e32 v24, v24, v1
	v_sub_nc_u32_e32 v75, v28, v75
	s_delay_alu instid0(VALU_DEP_3) | instskip(NEXT) | instid1(VALU_DEP_1)
	v_sub_nc_u32_e32 v76, v28, v76
	v_dual_cndmask_b32 v5, v75, v5 :: v_dual_add_nc_u32 v30, 1, v76
	v_cmp_eq_u32_e32 vcc_lo, 1, v34
	s_delay_alu instid0(VALU_DEP_2) | instskip(SKIP_1) | instid1(VALU_DEP_4)
	v_cndmask_b32_e32 v22, v30, v22, vcc_lo
	v_cmp_eq_u32_e32 vcc_lo, 1, v29
	v_cndmask_b32_e32 v5, v5, v20, vcc_lo
	v_and_b32_e32 v20, 1, v36
	v_cmp_eq_u32_e32 vcc_lo, 1, v33
	s_delay_alu instid0(VALU_DEP_3) | instskip(SKIP_1) | instid1(VALU_DEP_4)
	v_lshlrev_b32_e32 v5, 2, v5
	v_cndmask_b32_e32 v21, v22, v21, vcc_lo
	v_cmp_eq_u32_e32 vcc_lo, 1, v20
	v_add_nc_u32_e32 v25, v23, v73
	v_sub_nc_u32_e32 v23, v23, v3
	v_and_b32_e32 v22, 1, v31
	v_sub_co_ci_u32_e64 v73, null, s31, 0, s0
	v_and_b32_e32 v31, 1, v32
	s_delay_alu instid0(VALU_DEP_4) | instskip(NEXT) | instid1(VALU_DEP_1)
	v_add_nc_u32_e32 v77, v24, v23
	v_sub_nc_u32_e32 v75, v28, v77
	s_delay_alu instid0(VALU_DEP_1) | instskip(NEXT) | instid1(VALU_DEP_1)
	v_add_nc_u32_e32 v29, 2, v75
	v_cndmask_b32_e32 v20, v29, v24, vcc_lo
	v_sub_nc_u32_e32 v24, v71, v4
	v_cmp_eq_u32_e32 vcc_lo, 1, v22
	v_add_nc_u32_e32 v69, v25, v69
	v_lshlrev_b32_e32 v29, 2, v21
	ds_store_b32 v5, v16
	ds_store_b32 v29, v17
	v_cndmask_b32_e32 v22, v20, v23, vcc_lo
	v_sub_nc_u32_e32 v23, v25, v3
	v_add_nc_u32_e32 v24, v24, v1
	v_add_co_u32 v20, vcc_lo, v72, v4
	s_delay_alu instid0(VALU_DEP_4) | instskip(SKIP_1) | instid1(VALU_DEP_4)
	v_lshlrev_b32_e32 v5, 2, v22
	v_and_b32_e32 v22, 1, v35
	v_add_nc_u32_e32 v25, v23, v24
	v_add_co_ci_u32_e32 v21, vcc_lo, 0, v73, vcc_lo
	ds_store_b32 v5, v14
	v_cmp_eq_u32_e32 vcc_lo, 1, v22
	v_sub_nc_u32_e32 v17, v28, v25
	v_sub_nc_u32_e32 v29, v69, v3
	v_add_nc_u32_e32 v67, v69, v67
	s_delay_alu instid0(VALU_DEP_3) | instskip(NEXT) | instid1(VALU_DEP_2)
	v_add_nc_u32_e32 v17, 3, v17
	v_sub_nc_u32_e32 v30, v67, v3
	s_delay_alu instid0(VALU_DEP_2) | instskip(SKIP_2) | instid1(VALU_DEP_3)
	v_cndmask_b32_e32 v17, v17, v24, vcc_lo
	v_cmp_eq_u32_e32 vcc_lo, 1, v31
	v_and_b32_e32 v24, 1, v39
	v_cndmask_b32_e32 v14, v17, v23, vcc_lo
	v_add_nc_u32_e32 v70, v71, v70
	v_and_b32_e32 v23, 1, v38
	s_delay_alu instid0(VALU_DEP_3) | instskip(NEXT) | instid1(VALU_DEP_3)
	v_lshlrev_b32_e32 v14, 2, v14
	v_add_nc_u32_e32 v68, v70, v68
	v_sub_nc_u32_e32 v16, v70, v4
	ds_store_b32 v14, v15
	v_sub_nc_u32_e32 v25, v68, v4
	v_add_nc_u32_e32 v16, v16, v1
	s_delay_alu instid0(VALU_DEP_2) | instskip(NEXT) | instid1(VALU_DEP_2)
	v_add_nc_u32_e32 v25, v25, v1
	v_add_nc_u32_e32 v32, v29, v16
	s_delay_alu instid0(VALU_DEP_2) | instskip(NEXT) | instid1(VALU_DEP_2)
	v_add_nc_u32_e32 v22, v30, v25
	v_sub_nc_u32_e32 v5, v28, v32
	s_delay_alu instid0(VALU_DEP_2) | instskip(SKIP_1) | instid1(VALU_DEP_3)
	v_sub_nc_u32_e32 v17, v28, v22
	v_and_b32_e32 v22, 1, v37
	v_add_nc_u32_e32 v5, 4, v5
	s_delay_alu instid0(VALU_DEP_3) | instskip(NEXT) | instid1(VALU_DEP_3)
	v_add_nc_u32_e32 v17, 5, v17
	v_cmp_eq_u32_e32 vcc_lo, 1, v22
	s_delay_alu instid0(VALU_DEP_3)
	v_cndmask_b32_e32 v5, v5, v16, vcc_lo
	v_cmp_eq_u32_e32 vcc_lo, 1, v24
	v_and_b32_e32 v16, 1, v41
	v_cndmask_b32_e32 v17, v17, v25, vcc_lo
	v_cmp_eq_u32_e32 vcc_lo, 1, v23
	v_cndmask_b32_e32 v5, v5, v29, vcc_lo
	s_delay_alu instid0(VALU_DEP_4) | instskip(SKIP_1) | instid1(VALU_DEP_3)
	v_cmp_eq_u32_e32 vcc_lo, 1, v16
	v_add_nc_u32_e32 v66, v68, v66
	v_dual_cndmask_b32 v16, v17, v30 :: v_dual_lshlrev_b32 v5, 2, v5
	s_delay_alu instid0(VALU_DEP_2) | instskip(SKIP_1) | instid1(VALU_DEP_3)
	v_sub_nc_u32_e32 v22, v66, v4
	v_add_nc_u32_e32 v62, v66, v62
	v_lshlrev_b32_e32 v16, 2, v16
	ds_store_b32 v5, v12
	ds_store_b32 v16, v13
	v_and_b32_e32 v12, 1, v40
	v_add_nc_u32_e32 v22, v22, v1
	v_add_nc_u32_e32 v64, v62, v64
	v_sub_nc_u32_e32 v17, v62, v4
	v_and_b32_e32 v16, 1, v43
	v_cmp_eq_u32_e32 vcc_lo, 1, v12
	v_add_nc_u32_e32 v65, v67, v65
	v_sub_nc_u32_e32 v15, v64, v4
	v_add_nc_u32_e32 v17, v17, v1
	s_delay_alu instid0(VALU_DEP_3) | instskip(NEXT) | instid1(VALU_DEP_3)
	v_sub_nc_u32_e32 v23, v65, v3
	v_add_nc_u32_e32 v15, v15, v1
	s_delay_alu instid0(VALU_DEP_2) | instskip(NEXT) | instid1(VALU_DEP_1)
	v_add_nc_u32_e32 v24, v23, v22
	v_sub_nc_u32_e32 v14, v28, v24
	v_and_b32_e32 v24, 1, v48
	s_delay_alu instid0(VALU_DEP_2) | instskip(SKIP_1) | instid1(VALU_DEP_2)
	v_add_nc_u32_e32 v13, 6, v14
	v_and_b32_e32 v14, 1, v42
	v_cndmask_b32_e32 v12, v13, v22, vcc_lo
	v_add_nc_u32_e32 v61, v65, v61
	s_delay_alu instid0(VALU_DEP_3) | instskip(SKIP_1) | instid1(VALU_DEP_3)
	v_cmp_eq_u32_e32 vcc_lo, 1, v14
	v_and_b32_e32 v22, 1, v44
	v_sub_nc_u32_e32 v25, v61, v3
	v_add_nc_u32_e32 v63, v61, v63
	v_cndmask_b32_e32 v12, v12, v23, vcc_lo
	v_cmp_eq_u32_e32 vcc_lo, 1, v16
	v_and_b32_e32 v23, 1, v46
	v_add_nc_u32_e32 v5, v25, v17
	v_sub_nc_u32_e32 v13, v63, v3
	v_lshlrev_b32_e32 v12, 2, v12
	v_add_nc_u32_e32 v59, v63, v59
	s_delay_alu instid0(VALU_DEP_4) | instskip(NEXT) | instid1(VALU_DEP_4)
	v_sub_nc_u32_e32 v5, v28, v5
	v_add_nc_u32_e32 v14, v13, v15
	s_delay_alu instid0(VALU_DEP_3) | instskip(NEXT) | instid1(VALU_DEP_3)
	v_add_nc_u32_e32 v57, v59, v57
	v_add_nc_u32_e32 v5, 7, v5
	s_delay_alu instid0(VALU_DEP_3) | instskip(NEXT) | instid1(VALU_DEP_3)
	v_sub_nc_u32_e32 v14, v28, v14
	v_add_nc_u32_e32 v55, v57, v55
	s_delay_alu instid0(VALU_DEP_3)
	v_cndmask_b32_e32 v5, v5, v17, vcc_lo
	v_cmp_eq_u32_e32 vcc_lo, 1, v22
	v_and_b32_e32 v17, 1, v45
	v_add_nc_u32_e32 v14, 8, v14
	v_sub_nc_u32_e32 v22, v59, v3
	v_add_nc_u32_e32 v53, v55, v53
	v_cndmask_b32_e32 v5, v5, v25, vcc_lo
	v_cmp_eq_u32_e32 vcc_lo, 1, v17
	v_sub_nc_u32_e32 v17, v55, v3
	v_and_b32_e32 v25, 1, v52
	s_delay_alu instid0(VALU_DEP_4)
	v_dual_cndmask_b32 v14, v14, v15 :: v_dual_lshlrev_b32 v5, 2, v5
	v_cmp_eq_u32_e32 vcc_lo, 1, v23
	v_add_nc_u32_e32 v60, v64, v60
	ds_store_b32 v12, v10
	ds_store_b32 v5, v11
	v_and_b32_e32 v11, 1, v49
	v_cndmask_b32_e32 v5, v14, v13, vcc_lo
	v_sub_nc_u32_e32 v16, v60, v4
	v_add_nc_u32_e32 v58, v60, v58
	v_and_b32_e32 v13, 1, v47
	s_delay_alu instid0(VALU_DEP_4) | instskip(NEXT) | instid1(VALU_DEP_4)
	v_lshlrev_b32_e32 v5, 2, v5
	v_add_nc_u32_e32 v16, v16, v1
	s_delay_alu instid0(VALU_DEP_4) | instskip(SKIP_2) | instid1(VALU_DEP_4)
	v_add_nc_u32_e32 v56, v58, v56
	v_sub_nc_u32_e32 v12, v58, v4
	v_cmp_eq_u32_e32 vcc_lo, 1, v13
	v_add_nc_u32_e32 v15, v22, v16
	s_delay_alu instid0(VALU_DEP_4) | instskip(NEXT) | instid1(VALU_DEP_4)
	v_sub_nc_u32_e32 v14, v56, v4
	v_add_nc_u32_e32 v12, v12, v1
	v_add_nc_u32_e32 v54, v56, v54
	s_delay_alu instid0(VALU_DEP_4) | instskip(SKIP_2) | instid1(VALU_DEP_4)
	v_sub_nc_u32_e32 v10, v28, v15
	v_sub_nc_u32_e32 v15, v57, v3
	v_add_nc_u32_e32 v14, v14, v1
	v_sub_nc_u32_e32 v23, v54, v4
	v_sub_nc_u32_e32 v3, v53, v3
	v_add_nc_u32_e32 v10, 9, v10
	v_add_nc_u32_e32 v13, v15, v12
	s_delay_alu instid0(VALU_DEP_2) | instskip(SKIP_2) | instid1(VALU_DEP_4)
	v_dual_cndmask_b32 v10, v10, v16 :: v_dual_add_nc_u32 v23, v23, v1
	v_add_nc_u32_e32 v16, v17, v14
	v_cmp_eq_u32_e32 vcc_lo, 1, v11
	v_sub_nc_u32_e32 v11, v28, v13
	v_and_b32_e32 v13, 1, v50
	s_delay_alu instid0(VALU_DEP_4) | instskip(NEXT) | instid1(VALU_DEP_3)
	v_sub_nc_u32_e32 v16, v28, v16
	v_dual_cndmask_b32 v10, v10, v22 :: v_dual_add_nc_u32 v11, 10, v11
	v_cmp_eq_u32_e32 vcc_lo, 1, v24
	v_add_nc_u32_e32 v22, v3, v23
	s_delay_alu instid0(VALU_DEP_4) | instskip(NEXT) | instid1(VALU_DEP_4)
	v_add_nc_u32_e32 v16, 11, v16
	v_dual_cndmask_b32 v11, v11, v12 :: v_dual_lshlrev_b32 v10, 2, v10
	v_cmp_eq_u32_e32 vcc_lo, 1, v25
	s_delay_alu instid0(VALU_DEP_4) | instskip(SKIP_3) | instid1(VALU_DEP_4)
	v_sub_nc_u32_e32 v22, v28, v22
	v_and_b32_e32 v12, 1, v51
	v_cndmask_b32_e32 v14, v16, v14, vcc_lo
	v_cmp_eq_u32_e32 vcc_lo, 1, v13
	v_dual_cndmask_b32 v11, v11, v15 :: v_dual_add_nc_u32 v16, 12, v22
	s_delay_alu instid0(VALU_DEP_4) | instskip(NEXT) | instid1(VALU_DEP_2)
	v_cmp_eq_u32_e32 vcc_lo, 1, v12
	v_cndmask_b32_e64 v13, v16, v23, s43
	s_delay_alu instid0(VALU_DEP_3) | instskip(NEXT) | instid1(VALU_DEP_2)
	v_dual_cndmask_b32 v12, v14, v17 :: v_dual_lshlrev_b32 v11, 2, v11
	v_cndmask_b32_e64 v3, v13, v3, s42
	s_delay_alu instid0(VALU_DEP_2)
	v_lshlrev_b32_e32 v12, 2, v12
	ds_store_b32 v5, v8
	ds_store_b32 v10, v9
	;; [unrolled: 1-line block ×4, first 2 shown]
	v_lshlrev_b32_e32 v3, 2, v3
	v_add_co_u32 v5, s0, v2, v74
	s_delay_alu instid0(VALU_DEP_1) | instskip(SKIP_4) | instid1(VALU_DEP_2)
	v_add_co_ci_u32_e64 v6, null, 0, 0, s0
	ds_store_b32 v3, v27
	v_add_co_u32 v3, vcc_lo, v5, v20
	v_add_co_ci_u32_e32 v5, vcc_lo, v6, v21, vcc_lo
	s_add_u32 s0, s34, s33
	v_add_co_u32 v3, vcc_lo, v3, v18
	s_delay_alu instid0(VALU_DEP_2) | instskip(SKIP_1) | instid1(VALU_DEP_2)
	v_add_co_ci_u32_e32 v5, vcc_lo, v5, v19, vcc_lo
	s_addc_u32 s1, s35, 0
	v_sub_co_u32 v3, vcc_lo, s0, v3
	s_delay_alu instid0(VALU_DEP_2)
	v_sub_co_ci_u32_e32 v9, vcc_lo, s1, v5, vcc_lo
	v_lshlrev_b64 v[5:6], 2, v[20:21]
	v_lshlrev_b64 v[7:8], 2, v[18:19]
	v_add_nc_u32_e32 v10, v1, v2
	s_add_u32 s1, s26, -4
	s_waitcnt lgkmcnt(0)
	s_barrier
	v_add_co_u32 v5, vcc_lo, s38, v5
	v_add_co_ci_u32_e32 v6, vcc_lo, s39, v6, vcc_lo
	v_cmp_ne_u32_e32 vcc_lo, 1, v26
	v_add_co_u32 v7, s0, s36, v7
	s_delay_alu instid0(VALU_DEP_1)
	v_add_co_ci_u32_e64 v8, s0, s37, v8, s0
	s_addc_u32 s0, s27, -1
	buffer_gl0_inv
	s_cbranch_vccz .LBB853_128
; %bb.125:
	s_and_b32 vcc_lo, exec_lo, s2
	s_cbranch_vccnz .LBB853_233
.LBB853_126:
	v_cmp_eq_u32_e32 vcc_lo, 0, v0
	s_and_b32 s0, vcc_lo, s14
	s_delay_alu instid0(SALU_CYCLE_1)
	s_and_saveexec_b32 s1, s0
	s_cbranch_execnz .LBB853_351
.LBB853_127:
	s_nop 0
	s_sendmsg sendmsg(MSG_DEALLOC_VGPRS)
	s_endpgm
.LBB853_128:
	s_mov_b32 s2, exec_lo
	v_cmpx_le_u32_e64 v1, v0
	s_xor_b32 s2, exec_lo, s2
	s_cbranch_execz .LBB853_134
; %bb.129:
	s_mov_b32 s4, exec_lo
	v_cmpx_le_u32_e64 v10, v0
	s_xor_b32 s4, exec_lo, s4
	s_cbranch_execz .LBB853_131
; %bb.130:
	v_lshlrev_b32_e32 v11, 2, v0
	ds_load_b32 v13, v11
	v_add_co_u32 v11, vcc_lo, v3, v0
	v_add_co_ci_u32_e32 v12, vcc_lo, 0, v9, vcc_lo
	s_delay_alu instid0(VALU_DEP_1) | instskip(NEXT) | instid1(VALU_DEP_1)
	v_lshlrev_b64 v[11:12], 2, v[11:12]
	v_sub_co_u32 v11, vcc_lo, s26, v11
	s_delay_alu instid0(VALU_DEP_2)
	v_sub_co_ci_u32_e32 v12, vcc_lo, s27, v12, vcc_lo
	s_waitcnt lgkmcnt(0)
	global_store_b32 v[11:12], v13, off offset:-4
.LBB853_131:
	s_and_not1_saveexec_b32 s4, s4
	s_cbranch_execz .LBB853_133
; %bb.132:
	v_lshlrev_b32_e32 v11, 2, v0
	v_readfirstlane_b32 s6, v5
	v_readfirstlane_b32 s7, v6
	ds_load_b32 v12, v11
	s_waitcnt lgkmcnt(0)
	global_store_b32 v11, v12, s[6:7]
.LBB853_133:
	s_or_b32 exec_lo, exec_lo, s4
.LBB853_134:
	s_and_not1_saveexec_b32 s2, s2
	s_cbranch_execz .LBB853_136
; %bb.135:
	v_lshlrev_b32_e32 v11, 2, v0
	v_readfirstlane_b32 s4, v7
	v_readfirstlane_b32 s5, v8
	ds_load_b32 v12, v11
	s_waitcnt lgkmcnt(0)
	global_store_b32 v11, v12, s[4:5]
.LBB853_136:
	s_or_b32 exec_lo, exec_lo, s2
	v_or_b32_e32 v11, 0x100, v0
	s_mov_b32 s2, exec_lo
	s_delay_alu instid0(VALU_DEP_1)
	v_cmpx_le_u32_e64 v1, v11
	s_xor_b32 s2, exec_lo, s2
	s_cbranch_execz .LBB853_142
; %bb.137:
	s_mov_b32 s4, exec_lo
	v_cmpx_le_u32_e64 v10, v11
	s_xor_b32 s4, exec_lo, s4
	s_cbranch_execz .LBB853_139
; %bb.138:
	v_lshlrev_b32_e32 v11, 2, v0
	ds_load_b32 v13, v11 offset:1024
	v_add_co_u32 v11, vcc_lo, v3, v0
	v_add_co_ci_u32_e32 v12, vcc_lo, 0, v9, vcc_lo
	s_delay_alu instid0(VALU_DEP_1) | instskip(NEXT) | instid1(VALU_DEP_1)
	v_lshlrev_b64 v[11:12], 2, v[11:12]
	v_sub_co_u32 v11, vcc_lo, s1, v11
	s_delay_alu instid0(VALU_DEP_2)
	v_sub_co_ci_u32_e32 v12, vcc_lo, s0, v12, vcc_lo
	s_waitcnt lgkmcnt(0)
	global_store_b32 v[11:12], v13, off offset:-1024
.LBB853_139:
	s_and_not1_saveexec_b32 s4, s4
	s_cbranch_execz .LBB853_141
; %bb.140:
	v_lshlrev_b32_e32 v11, 2, v0
	v_readfirstlane_b32 s6, v5
	v_readfirstlane_b32 s7, v6
	ds_load_b32 v12, v11 offset:1024
	s_waitcnt lgkmcnt(0)
	global_store_b32 v11, v12, s[6:7] offset:1024
.LBB853_141:
	s_or_b32 exec_lo, exec_lo, s4
.LBB853_142:
	s_and_not1_saveexec_b32 s2, s2
	s_cbranch_execz .LBB853_144
; %bb.143:
	v_lshlrev_b32_e32 v11, 2, v0
	v_readfirstlane_b32 s4, v7
	v_readfirstlane_b32 s5, v8
	ds_load_b32 v12, v11 offset:1024
	s_waitcnt lgkmcnt(0)
	global_store_b32 v11, v12, s[4:5] offset:1024
.LBB853_144:
	s_or_b32 exec_lo, exec_lo, s2
	v_or_b32_e32 v11, 0x200, v0
	s_mov_b32 s2, exec_lo
	s_delay_alu instid0(VALU_DEP_1)
	v_cmpx_le_u32_e64 v1, v11
	s_xor_b32 s2, exec_lo, s2
	s_cbranch_execz .LBB853_150
; %bb.145:
	s_mov_b32 s4, exec_lo
	v_cmpx_le_u32_e64 v10, v11
	s_xor_b32 s4, exec_lo, s4
	s_cbranch_execz .LBB853_147
; %bb.146:
	v_lshlrev_b32_e32 v11, 2, v0
	ds_load_b32 v13, v11 offset:2048
	v_add_co_u32 v11, vcc_lo, v3, v0
	v_add_co_ci_u32_e32 v12, vcc_lo, 0, v9, vcc_lo
	s_delay_alu instid0(VALU_DEP_1) | instskip(NEXT) | instid1(VALU_DEP_1)
	v_lshlrev_b64 v[11:12], 2, v[11:12]
	v_sub_co_u32 v11, vcc_lo, s1, v11
	s_delay_alu instid0(VALU_DEP_2)
	v_sub_co_ci_u32_e32 v12, vcc_lo, s0, v12, vcc_lo
	s_waitcnt lgkmcnt(0)
	global_store_b32 v[11:12], v13, off offset:-2048
.LBB853_147:
	s_and_not1_saveexec_b32 s4, s4
	s_cbranch_execz .LBB853_149
; %bb.148:
	v_lshlrev_b32_e32 v11, 2, v0
	v_readfirstlane_b32 s6, v5
	v_readfirstlane_b32 s7, v6
	ds_load_b32 v12, v11 offset:2048
	s_waitcnt lgkmcnt(0)
	global_store_b32 v11, v12, s[6:7] offset:2048
.LBB853_149:
	s_or_b32 exec_lo, exec_lo, s4
.LBB853_150:
	s_and_not1_saveexec_b32 s2, s2
	s_cbranch_execz .LBB853_152
; %bb.151:
	v_lshlrev_b32_e32 v11, 2, v0
	v_readfirstlane_b32 s4, v7
	v_readfirstlane_b32 s5, v8
	ds_load_b32 v12, v11 offset:2048
	s_waitcnt lgkmcnt(0)
	global_store_b32 v11, v12, s[4:5] offset:2048
.LBB853_152:
	;; [unrolled: 47-line block ×3, first 2 shown]
	s_or_b32 exec_lo, exec_lo, s2
	v_or_b32_e32 v11, 0x400, v0
	s_mov_b32 s2, exec_lo
	s_delay_alu instid0(VALU_DEP_1)
	v_cmpx_le_u32_e64 v1, v11
	s_xor_b32 s2, exec_lo, s2
	s_cbranch_execz .LBB853_166
; %bb.161:
	s_mov_b32 s4, exec_lo
	v_cmpx_le_u32_e64 v10, v11
	s_xor_b32 s4, exec_lo, s4
	s_cbranch_execz .LBB853_163
; %bb.162:
	v_lshlrev_b32_e32 v11, 2, v0
	ds_load_b32 v13, v11 offset:4096
	v_add_co_u32 v11, vcc_lo, v3, v0
	v_add_co_ci_u32_e32 v12, vcc_lo, 0, v9, vcc_lo
	s_delay_alu instid0(VALU_DEP_1) | instskip(NEXT) | instid1(VALU_DEP_1)
	v_lshlrev_b64 v[11:12], 2, v[11:12]
	v_sub_co_u32 v11, vcc_lo, s1, v11
	s_delay_alu instid0(VALU_DEP_2)
	v_sub_co_ci_u32_e32 v12, vcc_lo, s0, v12, vcc_lo
	s_waitcnt lgkmcnt(0)
	global_store_b32 v[11:12], v13, off offset:-4096
                                        ; implicit-def: $vgpr11
.LBB853_163:
	s_and_not1_saveexec_b32 s4, s4
	s_cbranch_execz .LBB853_165
; %bb.164:
	v_lshlrev_b32_e32 v12, 2, v0
	v_lshlrev_b32_e32 v11, 2, v11
	v_readfirstlane_b32 s6, v5
	v_readfirstlane_b32 s7, v6
	ds_load_b32 v12, v12 offset:4096
	s_waitcnt lgkmcnt(0)
	global_store_b32 v11, v12, s[6:7]
.LBB853_165:
	s_or_b32 exec_lo, exec_lo, s4
                                        ; implicit-def: $vgpr11
.LBB853_166:
	s_and_not1_saveexec_b32 s2, s2
	s_cbranch_execz .LBB853_168
; %bb.167:
	v_lshlrev_b32_e32 v12, 2, v0
	v_lshlrev_b32_e32 v11, 2, v11
	v_readfirstlane_b32 s4, v7
	v_readfirstlane_b32 s5, v8
	ds_load_b32 v12, v12 offset:4096
	s_waitcnt lgkmcnt(0)
	global_store_b32 v11, v12, s[4:5]
.LBB853_168:
	s_or_b32 exec_lo, exec_lo, s2
	v_or_b32_e32 v11, 0x500, v0
	s_mov_b32 s2, exec_lo
	s_delay_alu instid0(VALU_DEP_1)
	v_cmpx_le_u32_e64 v1, v11
	s_xor_b32 s2, exec_lo, s2
	s_cbranch_execz .LBB853_174
; %bb.169:
	s_mov_b32 s4, exec_lo
	v_cmpx_le_u32_e64 v10, v11
	s_xor_b32 s4, exec_lo, s4
	s_cbranch_execz .LBB853_171
; %bb.170:
	v_lshlrev_b32_e32 v12, 2, v0
	v_add_co_u32 v11, vcc_lo, v3, v11
	ds_load_b32 v13, v12 offset:5120
	v_add_co_ci_u32_e32 v12, vcc_lo, 0, v9, vcc_lo
	s_delay_alu instid0(VALU_DEP_1) | instskip(NEXT) | instid1(VALU_DEP_1)
	v_lshlrev_b64 v[11:12], 2, v[11:12]
	v_sub_co_u32 v11, vcc_lo, s1, v11
	s_delay_alu instid0(VALU_DEP_2)
	v_sub_co_ci_u32_e32 v12, vcc_lo, s0, v12, vcc_lo
	s_waitcnt lgkmcnt(0)
	global_store_b32 v[11:12], v13, off
                                        ; implicit-def: $vgpr11
.LBB853_171:
	s_and_not1_saveexec_b32 s4, s4
	s_cbranch_execz .LBB853_173
; %bb.172:
	v_lshlrev_b32_e32 v12, 2, v0
	v_lshlrev_b32_e32 v11, 2, v11
	v_readfirstlane_b32 s6, v5
	v_readfirstlane_b32 s7, v6
	ds_load_b32 v12, v12 offset:5120
	s_waitcnt lgkmcnt(0)
	global_store_b32 v11, v12, s[6:7]
.LBB853_173:
	s_or_b32 exec_lo, exec_lo, s4
                                        ; implicit-def: $vgpr11
.LBB853_174:
	s_and_not1_saveexec_b32 s2, s2
	s_cbranch_execz .LBB853_176
; %bb.175:
	v_lshlrev_b32_e32 v12, 2, v0
	v_lshlrev_b32_e32 v11, 2, v11
	v_readfirstlane_b32 s4, v7
	v_readfirstlane_b32 s5, v8
	ds_load_b32 v12, v12 offset:5120
	s_waitcnt lgkmcnt(0)
	global_store_b32 v11, v12, s[4:5]
.LBB853_176:
	s_or_b32 exec_lo, exec_lo, s2
	v_or_b32_e32 v11, 0x600, v0
	s_mov_b32 s2, exec_lo
	s_delay_alu instid0(VALU_DEP_1)
	v_cmpx_le_u32_e64 v1, v11
	s_xor_b32 s2, exec_lo, s2
	s_cbranch_execz .LBB853_182
; %bb.177:
	s_mov_b32 s4, exec_lo
	v_cmpx_le_u32_e64 v10, v11
	s_xor_b32 s4, exec_lo, s4
	s_cbranch_execz .LBB853_179
; %bb.178:
	v_lshlrev_b32_e32 v12, 2, v0
	v_add_co_u32 v11, vcc_lo, v3, v11
	ds_load_b32 v13, v12 offset:6144
	v_add_co_ci_u32_e32 v12, vcc_lo, 0, v9, vcc_lo
	s_delay_alu instid0(VALU_DEP_1) | instskip(NEXT) | instid1(VALU_DEP_1)
	v_lshlrev_b64 v[11:12], 2, v[11:12]
	v_sub_co_u32 v11, vcc_lo, s1, v11
	s_delay_alu instid0(VALU_DEP_2)
	v_sub_co_ci_u32_e32 v12, vcc_lo, s0, v12, vcc_lo
	s_waitcnt lgkmcnt(0)
	global_store_b32 v[11:12], v13, off
                                        ; implicit-def: $vgpr11
.LBB853_179:
	s_and_not1_saveexec_b32 s4, s4
	s_cbranch_execz .LBB853_181
; %bb.180:
	v_lshlrev_b32_e32 v12, 2, v0
	v_lshlrev_b32_e32 v11, 2, v11
	v_readfirstlane_b32 s6, v5
	v_readfirstlane_b32 s7, v6
	ds_load_b32 v12, v12 offset:6144
	s_waitcnt lgkmcnt(0)
	global_store_b32 v11, v12, s[6:7]
.LBB853_181:
	s_or_b32 exec_lo, exec_lo, s4
                                        ; implicit-def: $vgpr11
.LBB853_182:
	;; [unrolled: 51-line block ×8, first 2 shown]
	s_and_not1_saveexec_b32 s2, s2
	s_cbranch_execz .LBB853_232
; %bb.231:
	v_lshlrev_b32_e32 v12, 2, v0
	v_lshlrev_b32_e32 v11, 2, v11
	v_readfirstlane_b32 s4, v7
	v_readfirstlane_b32 s5, v8
	ds_load_b32 v12, v12 offset:12288
	s_waitcnt lgkmcnt(0)
	global_store_b32 v11, v12, s[4:5]
.LBB853_232:
	s_or_b32 exec_lo, exec_lo, s2
	s_branch .LBB853_126
.LBB853_233:
	s_mov_b32 s2, exec_lo
	v_cmpx_gt_u32_e64 s3, v0
	s_cbranch_execz .LBB853_242
; %bb.234:
	s_mov_b32 s4, exec_lo
	v_cmpx_le_u32_e64 v1, v0
	s_xor_b32 s4, exec_lo, s4
	s_cbranch_execz .LBB853_240
; %bb.235:
	s_mov_b32 s5, exec_lo
	v_cmpx_le_u32_e64 v10, v0
	s_xor_b32 s5, exec_lo, s5
	s_cbranch_execz .LBB853_237
; %bb.236:
	v_lshlrev_b32_e32 v11, 2, v0
	ds_load_b32 v13, v11
	v_add_co_u32 v11, vcc_lo, v3, v0
	v_add_co_ci_u32_e32 v12, vcc_lo, 0, v9, vcc_lo
	s_delay_alu instid0(VALU_DEP_1) | instskip(NEXT) | instid1(VALU_DEP_1)
	v_lshlrev_b64 v[11:12], 2, v[11:12]
	v_sub_co_u32 v11, vcc_lo, s26, v11
	s_delay_alu instid0(VALU_DEP_2)
	v_sub_co_ci_u32_e32 v12, vcc_lo, s27, v12, vcc_lo
	s_waitcnt lgkmcnt(0)
	global_store_b32 v[11:12], v13, off offset:-4
.LBB853_237:
	s_and_not1_saveexec_b32 s5, s5
	s_cbranch_execz .LBB853_239
; %bb.238:
	v_lshlrev_b32_e32 v11, 2, v0
	v_readfirstlane_b32 s6, v5
	v_readfirstlane_b32 s7, v6
	ds_load_b32 v12, v11
	s_waitcnt lgkmcnt(0)
	global_store_b32 v11, v12, s[6:7]
.LBB853_239:
	s_or_b32 exec_lo, exec_lo, s5
.LBB853_240:
	s_and_not1_saveexec_b32 s4, s4
	s_cbranch_execz .LBB853_242
; %bb.241:
	v_lshlrev_b32_e32 v11, 2, v0
	v_readfirstlane_b32 s4, v7
	v_readfirstlane_b32 s5, v8
	ds_load_b32 v12, v11
	s_waitcnt lgkmcnt(0)
	global_store_b32 v11, v12, s[4:5]
.LBB853_242:
	s_or_b32 exec_lo, exec_lo, s2
	v_or_b32_e32 v11, 0x100, v0
	s_mov_b32 s2, exec_lo
	s_delay_alu instid0(VALU_DEP_1)
	v_cmpx_gt_u32_e64 s3, v11
	s_cbranch_execz .LBB853_251
; %bb.243:
	s_mov_b32 s4, exec_lo
	v_cmpx_le_u32_e64 v1, v11
	s_xor_b32 s4, exec_lo, s4
	s_cbranch_execz .LBB853_249
; %bb.244:
	s_mov_b32 s5, exec_lo
	v_cmpx_le_u32_e64 v10, v11
	s_xor_b32 s5, exec_lo, s5
	s_cbranch_execz .LBB853_246
; %bb.245:
	v_lshlrev_b32_e32 v11, 2, v0
	ds_load_b32 v13, v11 offset:1024
	v_add_co_u32 v11, vcc_lo, v3, v0
	v_add_co_ci_u32_e32 v12, vcc_lo, 0, v9, vcc_lo
	s_delay_alu instid0(VALU_DEP_1) | instskip(NEXT) | instid1(VALU_DEP_1)
	v_lshlrev_b64 v[11:12], 2, v[11:12]
	v_sub_co_u32 v11, vcc_lo, s1, v11
	s_delay_alu instid0(VALU_DEP_2)
	v_sub_co_ci_u32_e32 v12, vcc_lo, s0, v12, vcc_lo
	s_waitcnt lgkmcnt(0)
	global_store_b32 v[11:12], v13, off offset:-1024
.LBB853_246:
	s_and_not1_saveexec_b32 s5, s5
	s_cbranch_execz .LBB853_248
; %bb.247:
	v_lshlrev_b32_e32 v11, 2, v0
	v_readfirstlane_b32 s6, v5
	v_readfirstlane_b32 s7, v6
	ds_load_b32 v12, v11 offset:1024
	s_waitcnt lgkmcnt(0)
	global_store_b32 v11, v12, s[6:7] offset:1024
.LBB853_248:
	s_or_b32 exec_lo, exec_lo, s5
.LBB853_249:
	s_and_not1_saveexec_b32 s4, s4
	s_cbranch_execz .LBB853_251
; %bb.250:
	v_lshlrev_b32_e32 v11, 2, v0
	v_readfirstlane_b32 s4, v7
	v_readfirstlane_b32 s5, v8
	ds_load_b32 v12, v11 offset:1024
	s_waitcnt lgkmcnt(0)
	global_store_b32 v11, v12, s[4:5] offset:1024
.LBB853_251:
	s_or_b32 exec_lo, exec_lo, s2
	v_or_b32_e32 v11, 0x200, v0
	s_mov_b32 s2, exec_lo
	s_delay_alu instid0(VALU_DEP_1)
	v_cmpx_gt_u32_e64 s3, v11
	s_cbranch_execz .LBB853_260
; %bb.252:
	s_mov_b32 s4, exec_lo
	v_cmpx_le_u32_e64 v1, v11
	s_xor_b32 s4, exec_lo, s4
	s_cbranch_execz .LBB853_258
; %bb.253:
	s_mov_b32 s5, exec_lo
	v_cmpx_le_u32_e64 v10, v11
	s_xor_b32 s5, exec_lo, s5
	s_cbranch_execz .LBB853_255
; %bb.254:
	v_lshlrev_b32_e32 v11, 2, v0
	ds_load_b32 v13, v11 offset:2048
	v_add_co_u32 v11, vcc_lo, v3, v0
	v_add_co_ci_u32_e32 v12, vcc_lo, 0, v9, vcc_lo
	s_delay_alu instid0(VALU_DEP_1) | instskip(NEXT) | instid1(VALU_DEP_1)
	v_lshlrev_b64 v[11:12], 2, v[11:12]
	v_sub_co_u32 v11, vcc_lo, s1, v11
	s_delay_alu instid0(VALU_DEP_2)
	v_sub_co_ci_u32_e32 v12, vcc_lo, s0, v12, vcc_lo
	s_waitcnt lgkmcnt(0)
	global_store_b32 v[11:12], v13, off offset:-2048
.LBB853_255:
	s_and_not1_saveexec_b32 s5, s5
	s_cbranch_execz .LBB853_257
; %bb.256:
	v_lshlrev_b32_e32 v11, 2, v0
	v_readfirstlane_b32 s6, v5
	v_readfirstlane_b32 s7, v6
	ds_load_b32 v12, v11 offset:2048
	s_waitcnt lgkmcnt(0)
	global_store_b32 v11, v12, s[6:7] offset:2048
.LBB853_257:
	s_or_b32 exec_lo, exec_lo, s5
.LBB853_258:
	s_and_not1_saveexec_b32 s4, s4
	s_cbranch_execz .LBB853_260
; %bb.259:
	v_lshlrev_b32_e32 v11, 2, v0
	v_readfirstlane_b32 s4, v7
	v_readfirstlane_b32 s5, v8
	ds_load_b32 v12, v11 offset:2048
	s_waitcnt lgkmcnt(0)
	global_store_b32 v11, v12, s[4:5] offset:2048
.LBB853_260:
	;; [unrolled: 51-line block ×3, first 2 shown]
	s_or_b32 exec_lo, exec_lo, s2
	v_or_b32_e32 v11, 0x400, v0
	s_mov_b32 s2, exec_lo
	s_delay_alu instid0(VALU_DEP_1)
	v_cmpx_gt_u32_e64 s3, v11
	s_cbranch_execz .LBB853_278
; %bb.270:
	s_mov_b32 s4, exec_lo
	v_cmpx_le_u32_e64 v1, v11
	s_xor_b32 s4, exec_lo, s4
	s_cbranch_execz .LBB853_276
; %bb.271:
	s_mov_b32 s5, exec_lo
	v_cmpx_le_u32_e64 v10, v11
	s_xor_b32 s5, exec_lo, s5
	s_cbranch_execz .LBB853_273
; %bb.272:
	v_lshlrev_b32_e32 v11, 2, v0
	ds_load_b32 v13, v11 offset:4096
	v_add_co_u32 v11, vcc_lo, v3, v0
	v_add_co_ci_u32_e32 v12, vcc_lo, 0, v9, vcc_lo
	s_delay_alu instid0(VALU_DEP_1) | instskip(NEXT) | instid1(VALU_DEP_1)
	v_lshlrev_b64 v[11:12], 2, v[11:12]
	v_sub_co_u32 v11, vcc_lo, s1, v11
	s_delay_alu instid0(VALU_DEP_2)
	v_sub_co_ci_u32_e32 v12, vcc_lo, s0, v12, vcc_lo
	s_waitcnt lgkmcnt(0)
	global_store_b32 v[11:12], v13, off offset:-4096
                                        ; implicit-def: $vgpr11
.LBB853_273:
	s_and_not1_saveexec_b32 s5, s5
	s_cbranch_execz .LBB853_275
; %bb.274:
	v_lshlrev_b32_e32 v12, 2, v0
	v_lshlrev_b32_e32 v11, 2, v11
	v_readfirstlane_b32 s6, v5
	v_readfirstlane_b32 s7, v6
	ds_load_b32 v12, v12 offset:4096
	s_waitcnt lgkmcnt(0)
	global_store_b32 v11, v12, s[6:7]
.LBB853_275:
	s_or_b32 exec_lo, exec_lo, s5
                                        ; implicit-def: $vgpr11
.LBB853_276:
	s_and_not1_saveexec_b32 s4, s4
	s_cbranch_execz .LBB853_278
; %bb.277:
	v_lshlrev_b32_e32 v12, 2, v0
	v_lshlrev_b32_e32 v11, 2, v11
	v_readfirstlane_b32 s4, v7
	v_readfirstlane_b32 s5, v8
	ds_load_b32 v12, v12 offset:4096
	s_waitcnt lgkmcnt(0)
	global_store_b32 v11, v12, s[4:5]
.LBB853_278:
	s_or_b32 exec_lo, exec_lo, s2
	v_or_b32_e32 v11, 0x500, v0
	s_mov_b32 s2, exec_lo
	s_delay_alu instid0(VALU_DEP_1)
	v_cmpx_gt_u32_e64 s3, v11
	s_cbranch_execz .LBB853_287
; %bb.279:
	s_mov_b32 s4, exec_lo
	v_cmpx_le_u32_e64 v1, v11
	s_xor_b32 s4, exec_lo, s4
	s_cbranch_execz .LBB853_285
; %bb.280:
	s_mov_b32 s5, exec_lo
	v_cmpx_le_u32_e64 v10, v11
	s_xor_b32 s5, exec_lo, s5
	s_cbranch_execz .LBB853_282
; %bb.281:
	v_lshlrev_b32_e32 v12, 2, v0
	v_add_co_u32 v11, vcc_lo, v3, v11
	ds_load_b32 v13, v12 offset:5120
	v_add_co_ci_u32_e32 v12, vcc_lo, 0, v9, vcc_lo
	s_delay_alu instid0(VALU_DEP_1) | instskip(NEXT) | instid1(VALU_DEP_1)
	v_lshlrev_b64 v[11:12], 2, v[11:12]
	v_sub_co_u32 v11, vcc_lo, s1, v11
	s_delay_alu instid0(VALU_DEP_2)
	v_sub_co_ci_u32_e32 v12, vcc_lo, s0, v12, vcc_lo
	s_waitcnt lgkmcnt(0)
	global_store_b32 v[11:12], v13, off
                                        ; implicit-def: $vgpr11
.LBB853_282:
	s_and_not1_saveexec_b32 s5, s5
	s_cbranch_execz .LBB853_284
; %bb.283:
	v_lshlrev_b32_e32 v12, 2, v0
	v_lshlrev_b32_e32 v11, 2, v11
	v_readfirstlane_b32 s6, v5
	v_readfirstlane_b32 s7, v6
	ds_load_b32 v12, v12 offset:5120
	s_waitcnt lgkmcnt(0)
	global_store_b32 v11, v12, s[6:7]
.LBB853_284:
	s_or_b32 exec_lo, exec_lo, s5
                                        ; implicit-def: $vgpr11
.LBB853_285:
	s_and_not1_saveexec_b32 s4, s4
	s_cbranch_execz .LBB853_287
; %bb.286:
	v_lshlrev_b32_e32 v12, 2, v0
	v_lshlrev_b32_e32 v11, 2, v11
	v_readfirstlane_b32 s4, v7
	v_readfirstlane_b32 s5, v8
	ds_load_b32 v12, v12 offset:5120
	s_waitcnt lgkmcnt(0)
	global_store_b32 v11, v12, s[4:5]
.LBB853_287:
	s_or_b32 exec_lo, exec_lo, s2
	v_or_b32_e32 v11, 0x600, v0
	s_mov_b32 s2, exec_lo
	s_delay_alu instid0(VALU_DEP_1)
	v_cmpx_gt_u32_e64 s3, v11
	s_cbranch_execz .LBB853_296
; %bb.288:
	s_mov_b32 s4, exec_lo
	v_cmpx_le_u32_e64 v1, v11
	s_xor_b32 s4, exec_lo, s4
	s_cbranch_execz .LBB853_294
; %bb.289:
	s_mov_b32 s5, exec_lo
	v_cmpx_le_u32_e64 v10, v11
	s_xor_b32 s5, exec_lo, s5
	s_cbranch_execz .LBB853_291
; %bb.290:
	v_lshlrev_b32_e32 v12, 2, v0
	v_add_co_u32 v11, vcc_lo, v3, v11
	ds_load_b32 v13, v12 offset:6144
	v_add_co_ci_u32_e32 v12, vcc_lo, 0, v9, vcc_lo
	s_delay_alu instid0(VALU_DEP_1) | instskip(NEXT) | instid1(VALU_DEP_1)
	v_lshlrev_b64 v[11:12], 2, v[11:12]
	v_sub_co_u32 v11, vcc_lo, s1, v11
	s_delay_alu instid0(VALU_DEP_2)
	v_sub_co_ci_u32_e32 v12, vcc_lo, s0, v12, vcc_lo
	s_waitcnt lgkmcnt(0)
	global_store_b32 v[11:12], v13, off
                                        ; implicit-def: $vgpr11
.LBB853_291:
	s_and_not1_saveexec_b32 s5, s5
	s_cbranch_execz .LBB853_293
; %bb.292:
	v_lshlrev_b32_e32 v12, 2, v0
	v_lshlrev_b32_e32 v11, 2, v11
	v_readfirstlane_b32 s6, v5
	v_readfirstlane_b32 s7, v6
	ds_load_b32 v12, v12 offset:6144
	s_waitcnt lgkmcnt(0)
	global_store_b32 v11, v12, s[6:7]
.LBB853_293:
	s_or_b32 exec_lo, exec_lo, s5
                                        ; implicit-def: $vgpr11
.LBB853_294:
	s_and_not1_saveexec_b32 s4, s4
	s_cbranch_execz .LBB853_296
; %bb.295:
	v_lshlrev_b32_e32 v12, 2, v0
	v_lshlrev_b32_e32 v11, 2, v11
	v_readfirstlane_b32 s4, v7
	v_readfirstlane_b32 s5, v8
	ds_load_b32 v12, v12 offset:6144
	s_waitcnt lgkmcnt(0)
	global_store_b32 v11, v12, s[4:5]
.LBB853_296:
	s_or_b32 exec_lo, exec_lo, s2
	v_or_b32_e32 v11, 0x700, v0
	s_mov_b32 s2, exec_lo
	s_delay_alu instid0(VALU_DEP_1)
	v_cmpx_gt_u32_e64 s3, v11
	s_cbranch_execz .LBB853_305
; %bb.297:
	s_mov_b32 s4, exec_lo
	v_cmpx_le_u32_e64 v1, v11
	s_xor_b32 s4, exec_lo, s4
	s_cbranch_execz .LBB853_303
; %bb.298:
	s_mov_b32 s5, exec_lo
	v_cmpx_le_u32_e64 v10, v11
	s_xor_b32 s5, exec_lo, s5
	s_cbranch_execz .LBB853_300
; %bb.299:
	v_lshlrev_b32_e32 v12, 2, v0
	v_add_co_u32 v11, vcc_lo, v3, v11
	ds_load_b32 v13, v12 offset:7168
	v_add_co_ci_u32_e32 v12, vcc_lo, 0, v9, vcc_lo
	s_delay_alu instid0(VALU_DEP_1) | instskip(NEXT) | instid1(VALU_DEP_1)
	v_lshlrev_b64 v[11:12], 2, v[11:12]
	v_sub_co_u32 v11, vcc_lo, s1, v11
	s_delay_alu instid0(VALU_DEP_2)
	v_sub_co_ci_u32_e32 v12, vcc_lo, s0, v12, vcc_lo
	s_waitcnt lgkmcnt(0)
	global_store_b32 v[11:12], v13, off
                                        ; implicit-def: $vgpr11
.LBB853_300:
	s_and_not1_saveexec_b32 s5, s5
	s_cbranch_execz .LBB853_302
; %bb.301:
	v_lshlrev_b32_e32 v12, 2, v0
	v_lshlrev_b32_e32 v11, 2, v11
	v_readfirstlane_b32 s6, v5
	v_readfirstlane_b32 s7, v6
	ds_load_b32 v12, v12 offset:7168
	s_waitcnt lgkmcnt(0)
	global_store_b32 v11, v12, s[6:7]
.LBB853_302:
	s_or_b32 exec_lo, exec_lo, s5
                                        ; implicit-def: $vgpr11
.LBB853_303:
	s_and_not1_saveexec_b32 s4, s4
	s_cbranch_execz .LBB853_305
; %bb.304:
	v_lshlrev_b32_e32 v12, 2, v0
	v_lshlrev_b32_e32 v11, 2, v11
	v_readfirstlane_b32 s4, v7
	v_readfirstlane_b32 s5, v8
	ds_load_b32 v12, v12 offset:7168
	s_waitcnt lgkmcnt(0)
	global_store_b32 v11, v12, s[4:5]
.LBB853_305:
	s_or_b32 exec_lo, exec_lo, s2
	v_or_b32_e32 v11, 0x800, v0
	s_mov_b32 s2, exec_lo
	s_delay_alu instid0(VALU_DEP_1)
	v_cmpx_gt_u32_e64 s3, v11
	s_cbranch_execz .LBB853_314
; %bb.306:
	s_mov_b32 s4, exec_lo
	v_cmpx_le_u32_e64 v1, v11
	s_xor_b32 s4, exec_lo, s4
	s_cbranch_execz .LBB853_312
; %bb.307:
	s_mov_b32 s5, exec_lo
	v_cmpx_le_u32_e64 v10, v11
	s_xor_b32 s5, exec_lo, s5
	s_cbranch_execz .LBB853_309
; %bb.308:
	v_lshlrev_b32_e32 v12, 2, v0
	v_add_co_u32 v11, vcc_lo, v3, v11
	ds_load_b32 v13, v12 offset:8192
	v_add_co_ci_u32_e32 v12, vcc_lo, 0, v9, vcc_lo
	s_delay_alu instid0(VALU_DEP_1) | instskip(NEXT) | instid1(VALU_DEP_1)
	v_lshlrev_b64 v[11:12], 2, v[11:12]
	v_sub_co_u32 v11, vcc_lo, s1, v11
	s_delay_alu instid0(VALU_DEP_2)
	v_sub_co_ci_u32_e32 v12, vcc_lo, s0, v12, vcc_lo
	s_waitcnt lgkmcnt(0)
	global_store_b32 v[11:12], v13, off
                                        ; implicit-def: $vgpr11
.LBB853_309:
	s_and_not1_saveexec_b32 s5, s5
	s_cbranch_execz .LBB853_311
; %bb.310:
	v_lshlrev_b32_e32 v12, 2, v0
	v_lshlrev_b32_e32 v11, 2, v11
	v_readfirstlane_b32 s6, v5
	v_readfirstlane_b32 s7, v6
	ds_load_b32 v12, v12 offset:8192
	s_waitcnt lgkmcnt(0)
	global_store_b32 v11, v12, s[6:7]
.LBB853_311:
	s_or_b32 exec_lo, exec_lo, s5
                                        ; implicit-def: $vgpr11
.LBB853_312:
	s_and_not1_saveexec_b32 s4, s4
	s_cbranch_execz .LBB853_314
; %bb.313:
	v_lshlrev_b32_e32 v12, 2, v0
	v_lshlrev_b32_e32 v11, 2, v11
	v_readfirstlane_b32 s4, v7
	v_readfirstlane_b32 s5, v8
	ds_load_b32 v12, v12 offset:8192
	s_waitcnt lgkmcnt(0)
	global_store_b32 v11, v12, s[4:5]
.LBB853_314:
	s_or_b32 exec_lo, exec_lo, s2
	v_or_b32_e32 v11, 0x900, v0
	s_mov_b32 s2, exec_lo
	s_delay_alu instid0(VALU_DEP_1)
	v_cmpx_gt_u32_e64 s3, v11
	s_cbranch_execz .LBB853_323
; %bb.315:
	s_mov_b32 s4, exec_lo
	v_cmpx_le_u32_e64 v1, v11
	s_xor_b32 s4, exec_lo, s4
	s_cbranch_execz .LBB853_321
; %bb.316:
	s_mov_b32 s5, exec_lo
	v_cmpx_le_u32_e64 v10, v11
	s_xor_b32 s5, exec_lo, s5
	s_cbranch_execz .LBB853_318
; %bb.317:
	v_lshlrev_b32_e32 v12, 2, v0
	v_add_co_u32 v11, vcc_lo, v3, v11
	ds_load_b32 v13, v12 offset:9216
	v_add_co_ci_u32_e32 v12, vcc_lo, 0, v9, vcc_lo
	s_delay_alu instid0(VALU_DEP_1) | instskip(NEXT) | instid1(VALU_DEP_1)
	v_lshlrev_b64 v[11:12], 2, v[11:12]
	v_sub_co_u32 v11, vcc_lo, s1, v11
	s_delay_alu instid0(VALU_DEP_2)
	v_sub_co_ci_u32_e32 v12, vcc_lo, s0, v12, vcc_lo
	s_waitcnt lgkmcnt(0)
	global_store_b32 v[11:12], v13, off
                                        ; implicit-def: $vgpr11
.LBB853_318:
	s_and_not1_saveexec_b32 s5, s5
	s_cbranch_execz .LBB853_320
; %bb.319:
	v_lshlrev_b32_e32 v12, 2, v0
	v_lshlrev_b32_e32 v11, 2, v11
	v_readfirstlane_b32 s6, v5
	v_readfirstlane_b32 s7, v6
	ds_load_b32 v12, v12 offset:9216
	s_waitcnt lgkmcnt(0)
	global_store_b32 v11, v12, s[6:7]
.LBB853_320:
	s_or_b32 exec_lo, exec_lo, s5
                                        ; implicit-def: $vgpr11
.LBB853_321:
	s_and_not1_saveexec_b32 s4, s4
	s_cbranch_execz .LBB853_323
; %bb.322:
	v_lshlrev_b32_e32 v12, 2, v0
	v_lshlrev_b32_e32 v11, 2, v11
	v_readfirstlane_b32 s4, v7
	v_readfirstlane_b32 s5, v8
	ds_load_b32 v12, v12 offset:9216
	s_waitcnt lgkmcnt(0)
	global_store_b32 v11, v12, s[4:5]
.LBB853_323:
	s_or_b32 exec_lo, exec_lo, s2
	v_or_b32_e32 v11, 0xa00, v0
	s_mov_b32 s2, exec_lo
	s_delay_alu instid0(VALU_DEP_1)
	v_cmpx_gt_u32_e64 s3, v11
	s_cbranch_execz .LBB853_332
; %bb.324:
	s_mov_b32 s4, exec_lo
	v_cmpx_le_u32_e64 v1, v11
	s_xor_b32 s4, exec_lo, s4
	s_cbranch_execz .LBB853_330
; %bb.325:
	s_mov_b32 s5, exec_lo
	v_cmpx_le_u32_e64 v10, v11
	s_xor_b32 s5, exec_lo, s5
	s_cbranch_execz .LBB853_327
; %bb.326:
	v_lshlrev_b32_e32 v12, 2, v0
	v_add_co_u32 v11, vcc_lo, v3, v11
	ds_load_b32 v13, v12 offset:10240
	v_add_co_ci_u32_e32 v12, vcc_lo, 0, v9, vcc_lo
	s_delay_alu instid0(VALU_DEP_1) | instskip(NEXT) | instid1(VALU_DEP_1)
	v_lshlrev_b64 v[11:12], 2, v[11:12]
	v_sub_co_u32 v11, vcc_lo, s1, v11
	s_delay_alu instid0(VALU_DEP_2)
	v_sub_co_ci_u32_e32 v12, vcc_lo, s0, v12, vcc_lo
	s_waitcnt lgkmcnt(0)
	global_store_b32 v[11:12], v13, off
                                        ; implicit-def: $vgpr11
.LBB853_327:
	s_and_not1_saveexec_b32 s5, s5
	s_cbranch_execz .LBB853_329
; %bb.328:
	v_lshlrev_b32_e32 v12, 2, v0
	v_lshlrev_b32_e32 v11, 2, v11
	v_readfirstlane_b32 s6, v5
	v_readfirstlane_b32 s7, v6
	ds_load_b32 v12, v12 offset:10240
	s_waitcnt lgkmcnt(0)
	global_store_b32 v11, v12, s[6:7]
.LBB853_329:
	s_or_b32 exec_lo, exec_lo, s5
                                        ; implicit-def: $vgpr11
.LBB853_330:
	s_and_not1_saveexec_b32 s4, s4
	s_cbranch_execz .LBB853_332
; %bb.331:
	v_lshlrev_b32_e32 v12, 2, v0
	v_lshlrev_b32_e32 v11, 2, v11
	v_readfirstlane_b32 s4, v7
	v_readfirstlane_b32 s5, v8
	ds_load_b32 v12, v12 offset:10240
	s_waitcnt lgkmcnt(0)
	global_store_b32 v11, v12, s[4:5]
.LBB853_332:
	s_or_b32 exec_lo, exec_lo, s2
	v_or_b32_e32 v11, 0xb00, v0
	s_mov_b32 s2, exec_lo
	s_delay_alu instid0(VALU_DEP_1)
	v_cmpx_gt_u32_e64 s3, v11
	s_cbranch_execz .LBB853_341
; %bb.333:
	s_mov_b32 s4, exec_lo
	v_cmpx_le_u32_e64 v1, v11
	s_xor_b32 s4, exec_lo, s4
	s_cbranch_execz .LBB853_339
; %bb.334:
	s_mov_b32 s5, exec_lo
	v_cmpx_le_u32_e64 v10, v11
	s_xor_b32 s5, exec_lo, s5
	s_cbranch_execz .LBB853_336
; %bb.335:
	v_lshlrev_b32_e32 v12, 2, v0
	v_add_co_u32 v11, vcc_lo, v3, v11
	ds_load_b32 v13, v12 offset:11264
	v_add_co_ci_u32_e32 v12, vcc_lo, 0, v9, vcc_lo
	s_delay_alu instid0(VALU_DEP_1) | instskip(NEXT) | instid1(VALU_DEP_1)
	v_lshlrev_b64 v[11:12], 2, v[11:12]
	v_sub_co_u32 v11, vcc_lo, s1, v11
	s_delay_alu instid0(VALU_DEP_2)
	v_sub_co_ci_u32_e32 v12, vcc_lo, s0, v12, vcc_lo
	s_waitcnt lgkmcnt(0)
	global_store_b32 v[11:12], v13, off
                                        ; implicit-def: $vgpr11
.LBB853_336:
	s_and_not1_saveexec_b32 s5, s5
	s_cbranch_execz .LBB853_338
; %bb.337:
	v_lshlrev_b32_e32 v12, 2, v0
	v_lshlrev_b32_e32 v11, 2, v11
	v_readfirstlane_b32 s6, v5
	v_readfirstlane_b32 s7, v6
	ds_load_b32 v12, v12 offset:11264
	s_waitcnt lgkmcnt(0)
	global_store_b32 v11, v12, s[6:7]
.LBB853_338:
	s_or_b32 exec_lo, exec_lo, s5
                                        ; implicit-def: $vgpr11
.LBB853_339:
	s_and_not1_saveexec_b32 s4, s4
	s_cbranch_execz .LBB853_341
; %bb.340:
	v_lshlrev_b32_e32 v12, 2, v0
	v_lshlrev_b32_e32 v11, 2, v11
	v_readfirstlane_b32 s4, v7
	v_readfirstlane_b32 s5, v8
	ds_load_b32 v12, v12 offset:11264
	s_waitcnt lgkmcnt(0)
	global_store_b32 v11, v12, s[4:5]
.LBB853_341:
	s_or_b32 exec_lo, exec_lo, s2
	v_or_b32_e32 v11, 0xc00, v0
	s_mov_b32 s2, exec_lo
	s_delay_alu instid0(VALU_DEP_1)
	v_cmpx_gt_u32_e64 s3, v11
	s_cbranch_execz .LBB853_350
; %bb.342:
	s_mov_b32 s3, exec_lo
	v_cmpx_le_u32_e64 v1, v11
	s_xor_b32 s3, exec_lo, s3
	s_cbranch_execz .LBB853_348
; %bb.343:
	s_mov_b32 s4, exec_lo
	v_cmpx_le_u32_e64 v10, v11
	s_xor_b32 s4, exec_lo, s4
	s_cbranch_execz .LBB853_345
; %bb.344:
	v_lshlrev_b32_e32 v5, 2, v0
	ds_load_b32 v7, v5 offset:12288
	v_add_co_u32 v5, vcc_lo, v3, v11
	v_add_co_ci_u32_e32 v6, vcc_lo, 0, v9, vcc_lo
                                        ; implicit-def: $vgpr11
	s_delay_alu instid0(VALU_DEP_1) | instskip(NEXT) | instid1(VALU_DEP_1)
	v_lshlrev_b64 v[5:6], 2, v[5:6]
	v_sub_co_u32 v5, vcc_lo, s1, v5
	s_delay_alu instid0(VALU_DEP_2)
	v_sub_co_ci_u32_e32 v6, vcc_lo, s0, v6, vcc_lo
	s_waitcnt lgkmcnt(0)
	global_store_b32 v[5:6], v7, off
                                        ; implicit-def: $vgpr5_vgpr6
.LBB853_345:
	s_and_not1_saveexec_b32 s0, s4
	s_cbranch_execz .LBB853_347
; %bb.346:
	v_lshlrev_b32_e32 v3, 2, v0
	v_lshlrev_b32_e32 v7, 2, v11
	v_readfirstlane_b32 s4, v5
	v_readfirstlane_b32 s5, v6
	ds_load_b32 v3, v3 offset:12288
	s_waitcnt lgkmcnt(0)
	global_store_b32 v7, v3, s[4:5]
.LBB853_347:
	s_or_b32 exec_lo, exec_lo, s0
                                        ; implicit-def: $vgpr11
                                        ; implicit-def: $vgpr7_vgpr8
.LBB853_348:
	s_and_not1_saveexec_b32 s0, s3
	s_cbranch_execz .LBB853_350
; %bb.349:
	v_lshlrev_b32_e32 v3, 2, v0
	v_lshlrev_b32_e32 v5, 2, v11
	v_readfirstlane_b32 s0, v7
	v_readfirstlane_b32 s1, v8
	ds_load_b32 v3, v3 offset:12288
	s_waitcnt lgkmcnt(0)
	global_store_b32 v5, v3, s[0:1]
.LBB853_350:
	s_or_b32 exec_lo, exec_lo, s2
	v_cmp_eq_u32_e32 vcc_lo, 0, v0
	s_and_b32 s0, vcc_lo, s14
	s_delay_alu instid0(SALU_CYCLE_1)
	s_and_saveexec_b32 s1, s0
	s_cbranch_execz .LBB853_127
.LBB853_351:
	v_add_co_u32 v2, s0, s30, v2
	s_delay_alu instid0(VALU_DEP_1) | instskip(SKIP_2) | instid1(VALU_DEP_4)
	v_add_co_ci_u32_e64 v3, null, s31, 0, s0
	v_add_co_u32 v0, vcc_lo, v18, v1
	v_add_co_ci_u32_e32 v1, vcc_lo, 0, v19, vcc_lo
	v_add_co_u32 v2, vcc_lo, v2, v4
	v_mov_b32_e32 v5, 0
	v_add_co_ci_u32_e32 v3, vcc_lo, 0, v3, vcc_lo
	global_store_b128 v5, v[0:3], s[24:25]
	s_nop 0
	s_sendmsg sendmsg(MSG_DEALLOC_VGPRS)
	s_endpgm
.LBB853_352:
	v_add_nc_u32_e32 v3, s7, v23
	s_add_i32 s10, s15, 32
	s_mov_b32 s11, 0
	v_dual_mov_b32 v5, 0 :: v_dual_add_nc_u32 v2, v22, v1
	s_lshl_b64 s[10:11], s[10:11], 4
	v_and_b32_e32 v20, 0xff0000, v3
	s_add_u32 s10, s4, s10
	s_addc_u32 s11, s5, s11
	v_and_b32_e32 v4, 0xff000000, v3
	s_delay_alu instid0(VALU_DEP_1) | instskip(SKIP_2) | instid1(VALU_DEP_1)
	v_or_b32_e32 v20, v20, v4
	v_dual_mov_b32 v4, 2 :: v_dual_and_b32 v21, 0xff00, v3
	v_and_b32_e32 v3, 0xff, v3
	v_or3_b32 v3, v20, v21, v3
	v_dual_mov_b32 v21, s11 :: v_dual_mov_b32 v20, s10
	;;#ASMSTART
	global_store_dwordx4 v[20:21], v[2:5] off	
s_waitcnt vmcnt(0)
	;;#ASMEND
	s_or_b32 exec_lo, exec_lo, s8
	s_and_saveexec_b32 s8, s2
	s_cbranch_execz .LBB853_111
.LBB853_353:
	v_mov_b32_e32 v2, s7
	v_add_nc_u32_e64 v3, 0x3400, 0
	ds_store_2addr_b32 v3, v1, v2 offset1:2
	ds_store_2addr_b32 v3, v22, v23 offset0:4 offset1:6
	s_or_b32 exec_lo, exec_lo, s8
	v_cmp_eq_u32_e32 vcc_lo, 0, v0
	s_and_b32 exec_lo, exec_lo, vcc_lo
	s_cbranch_execnz .LBB853_112
	s_branch .LBB853_113
	.section	.rodata,"a",@progbits
	.p2align	6, 0x0
	.amdhsa_kernel _ZN7rocprim17ROCPRIM_400000_NS6detail17trampoline_kernelINS0_13select_configILj256ELj13ELNS0_17block_load_methodE3ELS4_3ELS4_3ELNS0_20block_scan_algorithmE0ELj4294967295EEENS1_25partition_config_selectorILNS1_17partition_subalgoE4EjNS0_10empty_typeEbEEZZNS1_14partition_implILS8_4ELb0ES6_15HIP_vector_typeIjLj2EENS0_17counting_iteratorIjlEEPS9_SG_NS0_5tupleIJPjSI_NS0_16reverse_iteratorISI_EEEEENSH_IJSG_SG_SG_EEES9_SI_JZNS1_25segmented_radix_sort_implINS0_14default_configELb1EPKsPsPKlPlN2at6native12_GLOBAL__N_18offset_tEEE10hipError_tPvRmT1_PNSt15iterator_traitsIS12_E10value_typeET2_T3_PNS13_IS18_E10value_typeET4_jRbjT5_S1E_jjP12ihipStream_tbEUljE_ZNSN_ISO_Lb1ESQ_SR_ST_SU_SY_EESZ_S10_S11_S12_S16_S17_S18_S1B_S1C_jS1D_jS1E_S1E_jjS1G_bEUljE0_EEESZ_S10_S11_S18_S1C_S1E_T6_T7_T9_mT8_S1G_bDpT10_ENKUlT_T0_E_clISt17integral_constantIbLb0EES1U_EEDaS1P_S1Q_EUlS1P_E_NS1_11comp_targetILNS1_3genE9ELNS1_11target_archE1100ELNS1_3gpuE3ELNS1_3repE0EEENS1_30default_config_static_selectorELNS0_4arch9wavefront6targetE0EEEvS12_
		.amdhsa_group_segment_fixed_size 13340
		.amdhsa_private_segment_fixed_size 0
		.amdhsa_kernarg_size 176
		.amdhsa_user_sgpr_count 15
		.amdhsa_user_sgpr_dispatch_ptr 0
		.amdhsa_user_sgpr_queue_ptr 0
		.amdhsa_user_sgpr_kernarg_segment_ptr 1
		.amdhsa_user_sgpr_dispatch_id 0
		.amdhsa_user_sgpr_private_segment_size 0
		.amdhsa_wavefront_size32 1
		.amdhsa_uses_dynamic_stack 0
		.amdhsa_enable_private_segment 0
		.amdhsa_system_sgpr_workgroup_id_x 1
		.amdhsa_system_sgpr_workgroup_id_y 0
		.amdhsa_system_sgpr_workgroup_id_z 0
		.amdhsa_system_sgpr_workgroup_info 0
		.amdhsa_system_vgpr_workitem_id 0
		.amdhsa_next_free_vgpr 98
		.amdhsa_next_free_sgpr 59
		.amdhsa_reserve_vcc 1
		.amdhsa_float_round_mode_32 0
		.amdhsa_float_round_mode_16_64 0
		.amdhsa_float_denorm_mode_32 3
		.amdhsa_float_denorm_mode_16_64 3
		.amdhsa_dx10_clamp 1
		.amdhsa_ieee_mode 1
		.amdhsa_fp16_overflow 0
		.amdhsa_workgroup_processor_mode 1
		.amdhsa_memory_ordered 1
		.amdhsa_forward_progress 0
		.amdhsa_shared_vgpr_count 0
		.amdhsa_exception_fp_ieee_invalid_op 0
		.amdhsa_exception_fp_denorm_src 0
		.amdhsa_exception_fp_ieee_div_zero 0
		.amdhsa_exception_fp_ieee_overflow 0
		.amdhsa_exception_fp_ieee_underflow 0
		.amdhsa_exception_fp_ieee_inexact 0
		.amdhsa_exception_int_div_zero 0
	.end_amdhsa_kernel
	.section	.text._ZN7rocprim17ROCPRIM_400000_NS6detail17trampoline_kernelINS0_13select_configILj256ELj13ELNS0_17block_load_methodE3ELS4_3ELS4_3ELNS0_20block_scan_algorithmE0ELj4294967295EEENS1_25partition_config_selectorILNS1_17partition_subalgoE4EjNS0_10empty_typeEbEEZZNS1_14partition_implILS8_4ELb0ES6_15HIP_vector_typeIjLj2EENS0_17counting_iteratorIjlEEPS9_SG_NS0_5tupleIJPjSI_NS0_16reverse_iteratorISI_EEEEENSH_IJSG_SG_SG_EEES9_SI_JZNS1_25segmented_radix_sort_implINS0_14default_configELb1EPKsPsPKlPlN2at6native12_GLOBAL__N_18offset_tEEE10hipError_tPvRmT1_PNSt15iterator_traitsIS12_E10value_typeET2_T3_PNS13_IS18_E10value_typeET4_jRbjT5_S1E_jjP12ihipStream_tbEUljE_ZNSN_ISO_Lb1ESQ_SR_ST_SU_SY_EESZ_S10_S11_S12_S16_S17_S18_S1B_S1C_jS1D_jS1E_S1E_jjS1G_bEUljE0_EEESZ_S10_S11_S18_S1C_S1E_T6_T7_T9_mT8_S1G_bDpT10_ENKUlT_T0_E_clISt17integral_constantIbLb0EES1U_EEDaS1P_S1Q_EUlS1P_E_NS1_11comp_targetILNS1_3genE9ELNS1_11target_archE1100ELNS1_3gpuE3ELNS1_3repE0EEENS1_30default_config_static_selectorELNS0_4arch9wavefront6targetE0EEEvS12_,"axG",@progbits,_ZN7rocprim17ROCPRIM_400000_NS6detail17trampoline_kernelINS0_13select_configILj256ELj13ELNS0_17block_load_methodE3ELS4_3ELS4_3ELNS0_20block_scan_algorithmE0ELj4294967295EEENS1_25partition_config_selectorILNS1_17partition_subalgoE4EjNS0_10empty_typeEbEEZZNS1_14partition_implILS8_4ELb0ES6_15HIP_vector_typeIjLj2EENS0_17counting_iteratorIjlEEPS9_SG_NS0_5tupleIJPjSI_NS0_16reverse_iteratorISI_EEEEENSH_IJSG_SG_SG_EEES9_SI_JZNS1_25segmented_radix_sort_implINS0_14default_configELb1EPKsPsPKlPlN2at6native12_GLOBAL__N_18offset_tEEE10hipError_tPvRmT1_PNSt15iterator_traitsIS12_E10value_typeET2_T3_PNS13_IS18_E10value_typeET4_jRbjT5_S1E_jjP12ihipStream_tbEUljE_ZNSN_ISO_Lb1ESQ_SR_ST_SU_SY_EESZ_S10_S11_S12_S16_S17_S18_S1B_S1C_jS1D_jS1E_S1E_jjS1G_bEUljE0_EEESZ_S10_S11_S18_S1C_S1E_T6_T7_T9_mT8_S1G_bDpT10_ENKUlT_T0_E_clISt17integral_constantIbLb0EES1U_EEDaS1P_S1Q_EUlS1P_E_NS1_11comp_targetILNS1_3genE9ELNS1_11target_archE1100ELNS1_3gpuE3ELNS1_3repE0EEENS1_30default_config_static_selectorELNS0_4arch9wavefront6targetE0EEEvS12_,comdat
.Lfunc_end853:
	.size	_ZN7rocprim17ROCPRIM_400000_NS6detail17trampoline_kernelINS0_13select_configILj256ELj13ELNS0_17block_load_methodE3ELS4_3ELS4_3ELNS0_20block_scan_algorithmE0ELj4294967295EEENS1_25partition_config_selectorILNS1_17partition_subalgoE4EjNS0_10empty_typeEbEEZZNS1_14partition_implILS8_4ELb0ES6_15HIP_vector_typeIjLj2EENS0_17counting_iteratorIjlEEPS9_SG_NS0_5tupleIJPjSI_NS0_16reverse_iteratorISI_EEEEENSH_IJSG_SG_SG_EEES9_SI_JZNS1_25segmented_radix_sort_implINS0_14default_configELb1EPKsPsPKlPlN2at6native12_GLOBAL__N_18offset_tEEE10hipError_tPvRmT1_PNSt15iterator_traitsIS12_E10value_typeET2_T3_PNS13_IS18_E10value_typeET4_jRbjT5_S1E_jjP12ihipStream_tbEUljE_ZNSN_ISO_Lb1ESQ_SR_ST_SU_SY_EESZ_S10_S11_S12_S16_S17_S18_S1B_S1C_jS1D_jS1E_S1E_jjS1G_bEUljE0_EEESZ_S10_S11_S18_S1C_S1E_T6_T7_T9_mT8_S1G_bDpT10_ENKUlT_T0_E_clISt17integral_constantIbLb0EES1U_EEDaS1P_S1Q_EUlS1P_E_NS1_11comp_targetILNS1_3genE9ELNS1_11target_archE1100ELNS1_3gpuE3ELNS1_3repE0EEENS1_30default_config_static_selectorELNS0_4arch9wavefront6targetE0EEEvS12_, .Lfunc_end853-_ZN7rocprim17ROCPRIM_400000_NS6detail17trampoline_kernelINS0_13select_configILj256ELj13ELNS0_17block_load_methodE3ELS4_3ELS4_3ELNS0_20block_scan_algorithmE0ELj4294967295EEENS1_25partition_config_selectorILNS1_17partition_subalgoE4EjNS0_10empty_typeEbEEZZNS1_14partition_implILS8_4ELb0ES6_15HIP_vector_typeIjLj2EENS0_17counting_iteratorIjlEEPS9_SG_NS0_5tupleIJPjSI_NS0_16reverse_iteratorISI_EEEEENSH_IJSG_SG_SG_EEES9_SI_JZNS1_25segmented_radix_sort_implINS0_14default_configELb1EPKsPsPKlPlN2at6native12_GLOBAL__N_18offset_tEEE10hipError_tPvRmT1_PNSt15iterator_traitsIS12_E10value_typeET2_T3_PNS13_IS18_E10value_typeET4_jRbjT5_S1E_jjP12ihipStream_tbEUljE_ZNSN_ISO_Lb1ESQ_SR_ST_SU_SY_EESZ_S10_S11_S12_S16_S17_S18_S1B_S1C_jS1D_jS1E_S1E_jjS1G_bEUljE0_EEESZ_S10_S11_S18_S1C_S1E_T6_T7_T9_mT8_S1G_bDpT10_ENKUlT_T0_E_clISt17integral_constantIbLb0EES1U_EEDaS1P_S1Q_EUlS1P_E_NS1_11comp_targetILNS1_3genE9ELNS1_11target_archE1100ELNS1_3gpuE3ELNS1_3repE0EEENS1_30default_config_static_selectorELNS0_4arch9wavefront6targetE0EEEvS12_
                                        ; -- End function
	.section	.AMDGPU.csdata,"",@progbits
; Kernel info:
; codeLenInByte = 14984
; NumSgprs: 61
; NumVgprs: 98
; ScratchSize: 0
; MemoryBound: 0
; FloatMode: 240
; IeeeMode: 1
; LDSByteSize: 13340 bytes/workgroup (compile time only)
; SGPRBlocks: 7
; VGPRBlocks: 12
; NumSGPRsForWavesPerEU: 61
; NumVGPRsForWavesPerEU: 98
; Occupancy: 12
; WaveLimiterHint : 1
; COMPUTE_PGM_RSRC2:SCRATCH_EN: 0
; COMPUTE_PGM_RSRC2:USER_SGPR: 15
; COMPUTE_PGM_RSRC2:TRAP_HANDLER: 0
; COMPUTE_PGM_RSRC2:TGID_X_EN: 1
; COMPUTE_PGM_RSRC2:TGID_Y_EN: 0
; COMPUTE_PGM_RSRC2:TGID_Z_EN: 0
; COMPUTE_PGM_RSRC2:TIDIG_COMP_CNT: 0
	.section	.text._ZN7rocprim17ROCPRIM_400000_NS6detail17trampoline_kernelINS0_13select_configILj256ELj13ELNS0_17block_load_methodE3ELS4_3ELS4_3ELNS0_20block_scan_algorithmE0ELj4294967295EEENS1_25partition_config_selectorILNS1_17partition_subalgoE4EjNS0_10empty_typeEbEEZZNS1_14partition_implILS8_4ELb0ES6_15HIP_vector_typeIjLj2EENS0_17counting_iteratorIjlEEPS9_SG_NS0_5tupleIJPjSI_NS0_16reverse_iteratorISI_EEEEENSH_IJSG_SG_SG_EEES9_SI_JZNS1_25segmented_radix_sort_implINS0_14default_configELb1EPKsPsPKlPlN2at6native12_GLOBAL__N_18offset_tEEE10hipError_tPvRmT1_PNSt15iterator_traitsIS12_E10value_typeET2_T3_PNS13_IS18_E10value_typeET4_jRbjT5_S1E_jjP12ihipStream_tbEUljE_ZNSN_ISO_Lb1ESQ_SR_ST_SU_SY_EESZ_S10_S11_S12_S16_S17_S18_S1B_S1C_jS1D_jS1E_S1E_jjS1G_bEUljE0_EEESZ_S10_S11_S18_S1C_S1E_T6_T7_T9_mT8_S1G_bDpT10_ENKUlT_T0_E_clISt17integral_constantIbLb0EES1U_EEDaS1P_S1Q_EUlS1P_E_NS1_11comp_targetILNS1_3genE8ELNS1_11target_archE1030ELNS1_3gpuE2ELNS1_3repE0EEENS1_30default_config_static_selectorELNS0_4arch9wavefront6targetE0EEEvS12_,"axG",@progbits,_ZN7rocprim17ROCPRIM_400000_NS6detail17trampoline_kernelINS0_13select_configILj256ELj13ELNS0_17block_load_methodE3ELS4_3ELS4_3ELNS0_20block_scan_algorithmE0ELj4294967295EEENS1_25partition_config_selectorILNS1_17partition_subalgoE4EjNS0_10empty_typeEbEEZZNS1_14partition_implILS8_4ELb0ES6_15HIP_vector_typeIjLj2EENS0_17counting_iteratorIjlEEPS9_SG_NS0_5tupleIJPjSI_NS0_16reverse_iteratorISI_EEEEENSH_IJSG_SG_SG_EEES9_SI_JZNS1_25segmented_radix_sort_implINS0_14default_configELb1EPKsPsPKlPlN2at6native12_GLOBAL__N_18offset_tEEE10hipError_tPvRmT1_PNSt15iterator_traitsIS12_E10value_typeET2_T3_PNS13_IS18_E10value_typeET4_jRbjT5_S1E_jjP12ihipStream_tbEUljE_ZNSN_ISO_Lb1ESQ_SR_ST_SU_SY_EESZ_S10_S11_S12_S16_S17_S18_S1B_S1C_jS1D_jS1E_S1E_jjS1G_bEUljE0_EEESZ_S10_S11_S18_S1C_S1E_T6_T7_T9_mT8_S1G_bDpT10_ENKUlT_T0_E_clISt17integral_constantIbLb0EES1U_EEDaS1P_S1Q_EUlS1P_E_NS1_11comp_targetILNS1_3genE8ELNS1_11target_archE1030ELNS1_3gpuE2ELNS1_3repE0EEENS1_30default_config_static_selectorELNS0_4arch9wavefront6targetE0EEEvS12_,comdat
	.globl	_ZN7rocprim17ROCPRIM_400000_NS6detail17trampoline_kernelINS0_13select_configILj256ELj13ELNS0_17block_load_methodE3ELS4_3ELS4_3ELNS0_20block_scan_algorithmE0ELj4294967295EEENS1_25partition_config_selectorILNS1_17partition_subalgoE4EjNS0_10empty_typeEbEEZZNS1_14partition_implILS8_4ELb0ES6_15HIP_vector_typeIjLj2EENS0_17counting_iteratorIjlEEPS9_SG_NS0_5tupleIJPjSI_NS0_16reverse_iteratorISI_EEEEENSH_IJSG_SG_SG_EEES9_SI_JZNS1_25segmented_radix_sort_implINS0_14default_configELb1EPKsPsPKlPlN2at6native12_GLOBAL__N_18offset_tEEE10hipError_tPvRmT1_PNSt15iterator_traitsIS12_E10value_typeET2_T3_PNS13_IS18_E10value_typeET4_jRbjT5_S1E_jjP12ihipStream_tbEUljE_ZNSN_ISO_Lb1ESQ_SR_ST_SU_SY_EESZ_S10_S11_S12_S16_S17_S18_S1B_S1C_jS1D_jS1E_S1E_jjS1G_bEUljE0_EEESZ_S10_S11_S18_S1C_S1E_T6_T7_T9_mT8_S1G_bDpT10_ENKUlT_T0_E_clISt17integral_constantIbLb0EES1U_EEDaS1P_S1Q_EUlS1P_E_NS1_11comp_targetILNS1_3genE8ELNS1_11target_archE1030ELNS1_3gpuE2ELNS1_3repE0EEENS1_30default_config_static_selectorELNS0_4arch9wavefront6targetE0EEEvS12_ ; -- Begin function _ZN7rocprim17ROCPRIM_400000_NS6detail17trampoline_kernelINS0_13select_configILj256ELj13ELNS0_17block_load_methodE3ELS4_3ELS4_3ELNS0_20block_scan_algorithmE0ELj4294967295EEENS1_25partition_config_selectorILNS1_17partition_subalgoE4EjNS0_10empty_typeEbEEZZNS1_14partition_implILS8_4ELb0ES6_15HIP_vector_typeIjLj2EENS0_17counting_iteratorIjlEEPS9_SG_NS0_5tupleIJPjSI_NS0_16reverse_iteratorISI_EEEEENSH_IJSG_SG_SG_EEES9_SI_JZNS1_25segmented_radix_sort_implINS0_14default_configELb1EPKsPsPKlPlN2at6native12_GLOBAL__N_18offset_tEEE10hipError_tPvRmT1_PNSt15iterator_traitsIS12_E10value_typeET2_T3_PNS13_IS18_E10value_typeET4_jRbjT5_S1E_jjP12ihipStream_tbEUljE_ZNSN_ISO_Lb1ESQ_SR_ST_SU_SY_EESZ_S10_S11_S12_S16_S17_S18_S1B_S1C_jS1D_jS1E_S1E_jjS1G_bEUljE0_EEESZ_S10_S11_S18_S1C_S1E_T6_T7_T9_mT8_S1G_bDpT10_ENKUlT_T0_E_clISt17integral_constantIbLb0EES1U_EEDaS1P_S1Q_EUlS1P_E_NS1_11comp_targetILNS1_3genE8ELNS1_11target_archE1030ELNS1_3gpuE2ELNS1_3repE0EEENS1_30default_config_static_selectorELNS0_4arch9wavefront6targetE0EEEvS12_
	.p2align	8
	.type	_ZN7rocprim17ROCPRIM_400000_NS6detail17trampoline_kernelINS0_13select_configILj256ELj13ELNS0_17block_load_methodE3ELS4_3ELS4_3ELNS0_20block_scan_algorithmE0ELj4294967295EEENS1_25partition_config_selectorILNS1_17partition_subalgoE4EjNS0_10empty_typeEbEEZZNS1_14partition_implILS8_4ELb0ES6_15HIP_vector_typeIjLj2EENS0_17counting_iteratorIjlEEPS9_SG_NS0_5tupleIJPjSI_NS0_16reverse_iteratorISI_EEEEENSH_IJSG_SG_SG_EEES9_SI_JZNS1_25segmented_radix_sort_implINS0_14default_configELb1EPKsPsPKlPlN2at6native12_GLOBAL__N_18offset_tEEE10hipError_tPvRmT1_PNSt15iterator_traitsIS12_E10value_typeET2_T3_PNS13_IS18_E10value_typeET4_jRbjT5_S1E_jjP12ihipStream_tbEUljE_ZNSN_ISO_Lb1ESQ_SR_ST_SU_SY_EESZ_S10_S11_S12_S16_S17_S18_S1B_S1C_jS1D_jS1E_S1E_jjS1G_bEUljE0_EEESZ_S10_S11_S18_S1C_S1E_T6_T7_T9_mT8_S1G_bDpT10_ENKUlT_T0_E_clISt17integral_constantIbLb0EES1U_EEDaS1P_S1Q_EUlS1P_E_NS1_11comp_targetILNS1_3genE8ELNS1_11target_archE1030ELNS1_3gpuE2ELNS1_3repE0EEENS1_30default_config_static_selectorELNS0_4arch9wavefront6targetE0EEEvS12_,@function
_ZN7rocprim17ROCPRIM_400000_NS6detail17trampoline_kernelINS0_13select_configILj256ELj13ELNS0_17block_load_methodE3ELS4_3ELS4_3ELNS0_20block_scan_algorithmE0ELj4294967295EEENS1_25partition_config_selectorILNS1_17partition_subalgoE4EjNS0_10empty_typeEbEEZZNS1_14partition_implILS8_4ELb0ES6_15HIP_vector_typeIjLj2EENS0_17counting_iteratorIjlEEPS9_SG_NS0_5tupleIJPjSI_NS0_16reverse_iteratorISI_EEEEENSH_IJSG_SG_SG_EEES9_SI_JZNS1_25segmented_radix_sort_implINS0_14default_configELb1EPKsPsPKlPlN2at6native12_GLOBAL__N_18offset_tEEE10hipError_tPvRmT1_PNSt15iterator_traitsIS12_E10value_typeET2_T3_PNS13_IS18_E10value_typeET4_jRbjT5_S1E_jjP12ihipStream_tbEUljE_ZNSN_ISO_Lb1ESQ_SR_ST_SU_SY_EESZ_S10_S11_S12_S16_S17_S18_S1B_S1C_jS1D_jS1E_S1E_jjS1G_bEUljE0_EEESZ_S10_S11_S18_S1C_S1E_T6_T7_T9_mT8_S1G_bDpT10_ENKUlT_T0_E_clISt17integral_constantIbLb0EES1U_EEDaS1P_S1Q_EUlS1P_E_NS1_11comp_targetILNS1_3genE8ELNS1_11target_archE1030ELNS1_3gpuE2ELNS1_3repE0EEENS1_30default_config_static_selectorELNS0_4arch9wavefront6targetE0EEEvS12_: ; @_ZN7rocprim17ROCPRIM_400000_NS6detail17trampoline_kernelINS0_13select_configILj256ELj13ELNS0_17block_load_methodE3ELS4_3ELS4_3ELNS0_20block_scan_algorithmE0ELj4294967295EEENS1_25partition_config_selectorILNS1_17partition_subalgoE4EjNS0_10empty_typeEbEEZZNS1_14partition_implILS8_4ELb0ES6_15HIP_vector_typeIjLj2EENS0_17counting_iteratorIjlEEPS9_SG_NS0_5tupleIJPjSI_NS0_16reverse_iteratorISI_EEEEENSH_IJSG_SG_SG_EEES9_SI_JZNS1_25segmented_radix_sort_implINS0_14default_configELb1EPKsPsPKlPlN2at6native12_GLOBAL__N_18offset_tEEE10hipError_tPvRmT1_PNSt15iterator_traitsIS12_E10value_typeET2_T3_PNS13_IS18_E10value_typeET4_jRbjT5_S1E_jjP12ihipStream_tbEUljE_ZNSN_ISO_Lb1ESQ_SR_ST_SU_SY_EESZ_S10_S11_S12_S16_S17_S18_S1B_S1C_jS1D_jS1E_S1E_jjS1G_bEUljE0_EEESZ_S10_S11_S18_S1C_S1E_T6_T7_T9_mT8_S1G_bDpT10_ENKUlT_T0_E_clISt17integral_constantIbLb0EES1U_EEDaS1P_S1Q_EUlS1P_E_NS1_11comp_targetILNS1_3genE8ELNS1_11target_archE1030ELNS1_3gpuE2ELNS1_3repE0EEENS1_30default_config_static_selectorELNS0_4arch9wavefront6targetE0EEEvS12_
; %bb.0:
	.section	.rodata,"a",@progbits
	.p2align	6, 0x0
	.amdhsa_kernel _ZN7rocprim17ROCPRIM_400000_NS6detail17trampoline_kernelINS0_13select_configILj256ELj13ELNS0_17block_load_methodE3ELS4_3ELS4_3ELNS0_20block_scan_algorithmE0ELj4294967295EEENS1_25partition_config_selectorILNS1_17partition_subalgoE4EjNS0_10empty_typeEbEEZZNS1_14partition_implILS8_4ELb0ES6_15HIP_vector_typeIjLj2EENS0_17counting_iteratorIjlEEPS9_SG_NS0_5tupleIJPjSI_NS0_16reverse_iteratorISI_EEEEENSH_IJSG_SG_SG_EEES9_SI_JZNS1_25segmented_radix_sort_implINS0_14default_configELb1EPKsPsPKlPlN2at6native12_GLOBAL__N_18offset_tEEE10hipError_tPvRmT1_PNSt15iterator_traitsIS12_E10value_typeET2_T3_PNS13_IS18_E10value_typeET4_jRbjT5_S1E_jjP12ihipStream_tbEUljE_ZNSN_ISO_Lb1ESQ_SR_ST_SU_SY_EESZ_S10_S11_S12_S16_S17_S18_S1B_S1C_jS1D_jS1E_S1E_jjS1G_bEUljE0_EEESZ_S10_S11_S18_S1C_S1E_T6_T7_T9_mT8_S1G_bDpT10_ENKUlT_T0_E_clISt17integral_constantIbLb0EES1U_EEDaS1P_S1Q_EUlS1P_E_NS1_11comp_targetILNS1_3genE8ELNS1_11target_archE1030ELNS1_3gpuE2ELNS1_3repE0EEENS1_30default_config_static_selectorELNS0_4arch9wavefront6targetE0EEEvS12_
		.amdhsa_group_segment_fixed_size 0
		.amdhsa_private_segment_fixed_size 0
		.amdhsa_kernarg_size 176
		.amdhsa_user_sgpr_count 15
		.amdhsa_user_sgpr_dispatch_ptr 0
		.amdhsa_user_sgpr_queue_ptr 0
		.amdhsa_user_sgpr_kernarg_segment_ptr 1
		.amdhsa_user_sgpr_dispatch_id 0
		.amdhsa_user_sgpr_private_segment_size 0
		.amdhsa_wavefront_size32 1
		.amdhsa_uses_dynamic_stack 0
		.amdhsa_enable_private_segment 0
		.amdhsa_system_sgpr_workgroup_id_x 1
		.amdhsa_system_sgpr_workgroup_id_y 0
		.amdhsa_system_sgpr_workgroup_id_z 0
		.amdhsa_system_sgpr_workgroup_info 0
		.amdhsa_system_vgpr_workitem_id 0
		.amdhsa_next_free_vgpr 1
		.amdhsa_next_free_sgpr 1
		.amdhsa_reserve_vcc 0
		.amdhsa_float_round_mode_32 0
		.amdhsa_float_round_mode_16_64 0
		.amdhsa_float_denorm_mode_32 3
		.amdhsa_float_denorm_mode_16_64 3
		.amdhsa_dx10_clamp 1
		.amdhsa_ieee_mode 1
		.amdhsa_fp16_overflow 0
		.amdhsa_workgroup_processor_mode 1
		.amdhsa_memory_ordered 1
		.amdhsa_forward_progress 0
		.amdhsa_shared_vgpr_count 0
		.amdhsa_exception_fp_ieee_invalid_op 0
		.amdhsa_exception_fp_denorm_src 0
		.amdhsa_exception_fp_ieee_div_zero 0
		.amdhsa_exception_fp_ieee_overflow 0
		.amdhsa_exception_fp_ieee_underflow 0
		.amdhsa_exception_fp_ieee_inexact 0
		.amdhsa_exception_int_div_zero 0
	.end_amdhsa_kernel
	.section	.text._ZN7rocprim17ROCPRIM_400000_NS6detail17trampoline_kernelINS0_13select_configILj256ELj13ELNS0_17block_load_methodE3ELS4_3ELS4_3ELNS0_20block_scan_algorithmE0ELj4294967295EEENS1_25partition_config_selectorILNS1_17partition_subalgoE4EjNS0_10empty_typeEbEEZZNS1_14partition_implILS8_4ELb0ES6_15HIP_vector_typeIjLj2EENS0_17counting_iteratorIjlEEPS9_SG_NS0_5tupleIJPjSI_NS0_16reverse_iteratorISI_EEEEENSH_IJSG_SG_SG_EEES9_SI_JZNS1_25segmented_radix_sort_implINS0_14default_configELb1EPKsPsPKlPlN2at6native12_GLOBAL__N_18offset_tEEE10hipError_tPvRmT1_PNSt15iterator_traitsIS12_E10value_typeET2_T3_PNS13_IS18_E10value_typeET4_jRbjT5_S1E_jjP12ihipStream_tbEUljE_ZNSN_ISO_Lb1ESQ_SR_ST_SU_SY_EESZ_S10_S11_S12_S16_S17_S18_S1B_S1C_jS1D_jS1E_S1E_jjS1G_bEUljE0_EEESZ_S10_S11_S18_S1C_S1E_T6_T7_T9_mT8_S1G_bDpT10_ENKUlT_T0_E_clISt17integral_constantIbLb0EES1U_EEDaS1P_S1Q_EUlS1P_E_NS1_11comp_targetILNS1_3genE8ELNS1_11target_archE1030ELNS1_3gpuE2ELNS1_3repE0EEENS1_30default_config_static_selectorELNS0_4arch9wavefront6targetE0EEEvS12_,"axG",@progbits,_ZN7rocprim17ROCPRIM_400000_NS6detail17trampoline_kernelINS0_13select_configILj256ELj13ELNS0_17block_load_methodE3ELS4_3ELS4_3ELNS0_20block_scan_algorithmE0ELj4294967295EEENS1_25partition_config_selectorILNS1_17partition_subalgoE4EjNS0_10empty_typeEbEEZZNS1_14partition_implILS8_4ELb0ES6_15HIP_vector_typeIjLj2EENS0_17counting_iteratorIjlEEPS9_SG_NS0_5tupleIJPjSI_NS0_16reverse_iteratorISI_EEEEENSH_IJSG_SG_SG_EEES9_SI_JZNS1_25segmented_radix_sort_implINS0_14default_configELb1EPKsPsPKlPlN2at6native12_GLOBAL__N_18offset_tEEE10hipError_tPvRmT1_PNSt15iterator_traitsIS12_E10value_typeET2_T3_PNS13_IS18_E10value_typeET4_jRbjT5_S1E_jjP12ihipStream_tbEUljE_ZNSN_ISO_Lb1ESQ_SR_ST_SU_SY_EESZ_S10_S11_S12_S16_S17_S18_S1B_S1C_jS1D_jS1E_S1E_jjS1G_bEUljE0_EEESZ_S10_S11_S18_S1C_S1E_T6_T7_T9_mT8_S1G_bDpT10_ENKUlT_T0_E_clISt17integral_constantIbLb0EES1U_EEDaS1P_S1Q_EUlS1P_E_NS1_11comp_targetILNS1_3genE8ELNS1_11target_archE1030ELNS1_3gpuE2ELNS1_3repE0EEENS1_30default_config_static_selectorELNS0_4arch9wavefront6targetE0EEEvS12_,comdat
.Lfunc_end854:
	.size	_ZN7rocprim17ROCPRIM_400000_NS6detail17trampoline_kernelINS0_13select_configILj256ELj13ELNS0_17block_load_methodE3ELS4_3ELS4_3ELNS0_20block_scan_algorithmE0ELj4294967295EEENS1_25partition_config_selectorILNS1_17partition_subalgoE4EjNS0_10empty_typeEbEEZZNS1_14partition_implILS8_4ELb0ES6_15HIP_vector_typeIjLj2EENS0_17counting_iteratorIjlEEPS9_SG_NS0_5tupleIJPjSI_NS0_16reverse_iteratorISI_EEEEENSH_IJSG_SG_SG_EEES9_SI_JZNS1_25segmented_radix_sort_implINS0_14default_configELb1EPKsPsPKlPlN2at6native12_GLOBAL__N_18offset_tEEE10hipError_tPvRmT1_PNSt15iterator_traitsIS12_E10value_typeET2_T3_PNS13_IS18_E10value_typeET4_jRbjT5_S1E_jjP12ihipStream_tbEUljE_ZNSN_ISO_Lb1ESQ_SR_ST_SU_SY_EESZ_S10_S11_S12_S16_S17_S18_S1B_S1C_jS1D_jS1E_S1E_jjS1G_bEUljE0_EEESZ_S10_S11_S18_S1C_S1E_T6_T7_T9_mT8_S1G_bDpT10_ENKUlT_T0_E_clISt17integral_constantIbLb0EES1U_EEDaS1P_S1Q_EUlS1P_E_NS1_11comp_targetILNS1_3genE8ELNS1_11target_archE1030ELNS1_3gpuE2ELNS1_3repE0EEENS1_30default_config_static_selectorELNS0_4arch9wavefront6targetE0EEEvS12_, .Lfunc_end854-_ZN7rocprim17ROCPRIM_400000_NS6detail17trampoline_kernelINS0_13select_configILj256ELj13ELNS0_17block_load_methodE3ELS4_3ELS4_3ELNS0_20block_scan_algorithmE0ELj4294967295EEENS1_25partition_config_selectorILNS1_17partition_subalgoE4EjNS0_10empty_typeEbEEZZNS1_14partition_implILS8_4ELb0ES6_15HIP_vector_typeIjLj2EENS0_17counting_iteratorIjlEEPS9_SG_NS0_5tupleIJPjSI_NS0_16reverse_iteratorISI_EEEEENSH_IJSG_SG_SG_EEES9_SI_JZNS1_25segmented_radix_sort_implINS0_14default_configELb1EPKsPsPKlPlN2at6native12_GLOBAL__N_18offset_tEEE10hipError_tPvRmT1_PNSt15iterator_traitsIS12_E10value_typeET2_T3_PNS13_IS18_E10value_typeET4_jRbjT5_S1E_jjP12ihipStream_tbEUljE_ZNSN_ISO_Lb1ESQ_SR_ST_SU_SY_EESZ_S10_S11_S12_S16_S17_S18_S1B_S1C_jS1D_jS1E_S1E_jjS1G_bEUljE0_EEESZ_S10_S11_S18_S1C_S1E_T6_T7_T9_mT8_S1G_bDpT10_ENKUlT_T0_E_clISt17integral_constantIbLb0EES1U_EEDaS1P_S1Q_EUlS1P_E_NS1_11comp_targetILNS1_3genE8ELNS1_11target_archE1030ELNS1_3gpuE2ELNS1_3repE0EEENS1_30default_config_static_selectorELNS0_4arch9wavefront6targetE0EEEvS12_
                                        ; -- End function
	.section	.AMDGPU.csdata,"",@progbits
; Kernel info:
; codeLenInByte = 0
; NumSgprs: 0
; NumVgprs: 0
; ScratchSize: 0
; MemoryBound: 0
; FloatMode: 240
; IeeeMode: 1
; LDSByteSize: 0 bytes/workgroup (compile time only)
; SGPRBlocks: 0
; VGPRBlocks: 0
; NumSGPRsForWavesPerEU: 1
; NumVGPRsForWavesPerEU: 1
; Occupancy: 16
; WaveLimiterHint : 0
; COMPUTE_PGM_RSRC2:SCRATCH_EN: 0
; COMPUTE_PGM_RSRC2:USER_SGPR: 15
; COMPUTE_PGM_RSRC2:TRAP_HANDLER: 0
; COMPUTE_PGM_RSRC2:TGID_X_EN: 1
; COMPUTE_PGM_RSRC2:TGID_Y_EN: 0
; COMPUTE_PGM_RSRC2:TGID_Z_EN: 0
; COMPUTE_PGM_RSRC2:TIDIG_COMP_CNT: 0
	.section	.text._ZN7rocprim17ROCPRIM_400000_NS6detail17trampoline_kernelINS0_13select_configILj256ELj13ELNS0_17block_load_methodE3ELS4_3ELS4_3ELNS0_20block_scan_algorithmE0ELj4294967295EEENS1_25partition_config_selectorILNS1_17partition_subalgoE4EjNS0_10empty_typeEbEEZZNS1_14partition_implILS8_4ELb0ES6_15HIP_vector_typeIjLj2EENS0_17counting_iteratorIjlEEPS9_SG_NS0_5tupleIJPjSI_NS0_16reverse_iteratorISI_EEEEENSH_IJSG_SG_SG_EEES9_SI_JZNS1_25segmented_radix_sort_implINS0_14default_configELb1EPKsPsPKlPlN2at6native12_GLOBAL__N_18offset_tEEE10hipError_tPvRmT1_PNSt15iterator_traitsIS12_E10value_typeET2_T3_PNS13_IS18_E10value_typeET4_jRbjT5_S1E_jjP12ihipStream_tbEUljE_ZNSN_ISO_Lb1ESQ_SR_ST_SU_SY_EESZ_S10_S11_S12_S16_S17_S18_S1B_S1C_jS1D_jS1E_S1E_jjS1G_bEUljE0_EEESZ_S10_S11_S18_S1C_S1E_T6_T7_T9_mT8_S1G_bDpT10_ENKUlT_T0_E_clISt17integral_constantIbLb1EES1U_EEDaS1P_S1Q_EUlS1P_E_NS1_11comp_targetILNS1_3genE0ELNS1_11target_archE4294967295ELNS1_3gpuE0ELNS1_3repE0EEENS1_30default_config_static_selectorELNS0_4arch9wavefront6targetE0EEEvS12_,"axG",@progbits,_ZN7rocprim17ROCPRIM_400000_NS6detail17trampoline_kernelINS0_13select_configILj256ELj13ELNS0_17block_load_methodE3ELS4_3ELS4_3ELNS0_20block_scan_algorithmE0ELj4294967295EEENS1_25partition_config_selectorILNS1_17partition_subalgoE4EjNS0_10empty_typeEbEEZZNS1_14partition_implILS8_4ELb0ES6_15HIP_vector_typeIjLj2EENS0_17counting_iteratorIjlEEPS9_SG_NS0_5tupleIJPjSI_NS0_16reverse_iteratorISI_EEEEENSH_IJSG_SG_SG_EEES9_SI_JZNS1_25segmented_radix_sort_implINS0_14default_configELb1EPKsPsPKlPlN2at6native12_GLOBAL__N_18offset_tEEE10hipError_tPvRmT1_PNSt15iterator_traitsIS12_E10value_typeET2_T3_PNS13_IS18_E10value_typeET4_jRbjT5_S1E_jjP12ihipStream_tbEUljE_ZNSN_ISO_Lb1ESQ_SR_ST_SU_SY_EESZ_S10_S11_S12_S16_S17_S18_S1B_S1C_jS1D_jS1E_S1E_jjS1G_bEUljE0_EEESZ_S10_S11_S18_S1C_S1E_T6_T7_T9_mT8_S1G_bDpT10_ENKUlT_T0_E_clISt17integral_constantIbLb1EES1U_EEDaS1P_S1Q_EUlS1P_E_NS1_11comp_targetILNS1_3genE0ELNS1_11target_archE4294967295ELNS1_3gpuE0ELNS1_3repE0EEENS1_30default_config_static_selectorELNS0_4arch9wavefront6targetE0EEEvS12_,comdat
	.globl	_ZN7rocprim17ROCPRIM_400000_NS6detail17trampoline_kernelINS0_13select_configILj256ELj13ELNS0_17block_load_methodE3ELS4_3ELS4_3ELNS0_20block_scan_algorithmE0ELj4294967295EEENS1_25partition_config_selectorILNS1_17partition_subalgoE4EjNS0_10empty_typeEbEEZZNS1_14partition_implILS8_4ELb0ES6_15HIP_vector_typeIjLj2EENS0_17counting_iteratorIjlEEPS9_SG_NS0_5tupleIJPjSI_NS0_16reverse_iteratorISI_EEEEENSH_IJSG_SG_SG_EEES9_SI_JZNS1_25segmented_radix_sort_implINS0_14default_configELb1EPKsPsPKlPlN2at6native12_GLOBAL__N_18offset_tEEE10hipError_tPvRmT1_PNSt15iterator_traitsIS12_E10value_typeET2_T3_PNS13_IS18_E10value_typeET4_jRbjT5_S1E_jjP12ihipStream_tbEUljE_ZNSN_ISO_Lb1ESQ_SR_ST_SU_SY_EESZ_S10_S11_S12_S16_S17_S18_S1B_S1C_jS1D_jS1E_S1E_jjS1G_bEUljE0_EEESZ_S10_S11_S18_S1C_S1E_T6_T7_T9_mT8_S1G_bDpT10_ENKUlT_T0_E_clISt17integral_constantIbLb1EES1U_EEDaS1P_S1Q_EUlS1P_E_NS1_11comp_targetILNS1_3genE0ELNS1_11target_archE4294967295ELNS1_3gpuE0ELNS1_3repE0EEENS1_30default_config_static_selectorELNS0_4arch9wavefront6targetE0EEEvS12_ ; -- Begin function _ZN7rocprim17ROCPRIM_400000_NS6detail17trampoline_kernelINS0_13select_configILj256ELj13ELNS0_17block_load_methodE3ELS4_3ELS4_3ELNS0_20block_scan_algorithmE0ELj4294967295EEENS1_25partition_config_selectorILNS1_17partition_subalgoE4EjNS0_10empty_typeEbEEZZNS1_14partition_implILS8_4ELb0ES6_15HIP_vector_typeIjLj2EENS0_17counting_iteratorIjlEEPS9_SG_NS0_5tupleIJPjSI_NS0_16reverse_iteratorISI_EEEEENSH_IJSG_SG_SG_EEES9_SI_JZNS1_25segmented_radix_sort_implINS0_14default_configELb1EPKsPsPKlPlN2at6native12_GLOBAL__N_18offset_tEEE10hipError_tPvRmT1_PNSt15iterator_traitsIS12_E10value_typeET2_T3_PNS13_IS18_E10value_typeET4_jRbjT5_S1E_jjP12ihipStream_tbEUljE_ZNSN_ISO_Lb1ESQ_SR_ST_SU_SY_EESZ_S10_S11_S12_S16_S17_S18_S1B_S1C_jS1D_jS1E_S1E_jjS1G_bEUljE0_EEESZ_S10_S11_S18_S1C_S1E_T6_T7_T9_mT8_S1G_bDpT10_ENKUlT_T0_E_clISt17integral_constantIbLb1EES1U_EEDaS1P_S1Q_EUlS1P_E_NS1_11comp_targetILNS1_3genE0ELNS1_11target_archE4294967295ELNS1_3gpuE0ELNS1_3repE0EEENS1_30default_config_static_selectorELNS0_4arch9wavefront6targetE0EEEvS12_
	.p2align	8
	.type	_ZN7rocprim17ROCPRIM_400000_NS6detail17trampoline_kernelINS0_13select_configILj256ELj13ELNS0_17block_load_methodE3ELS4_3ELS4_3ELNS0_20block_scan_algorithmE0ELj4294967295EEENS1_25partition_config_selectorILNS1_17partition_subalgoE4EjNS0_10empty_typeEbEEZZNS1_14partition_implILS8_4ELb0ES6_15HIP_vector_typeIjLj2EENS0_17counting_iteratorIjlEEPS9_SG_NS0_5tupleIJPjSI_NS0_16reverse_iteratorISI_EEEEENSH_IJSG_SG_SG_EEES9_SI_JZNS1_25segmented_radix_sort_implINS0_14default_configELb1EPKsPsPKlPlN2at6native12_GLOBAL__N_18offset_tEEE10hipError_tPvRmT1_PNSt15iterator_traitsIS12_E10value_typeET2_T3_PNS13_IS18_E10value_typeET4_jRbjT5_S1E_jjP12ihipStream_tbEUljE_ZNSN_ISO_Lb1ESQ_SR_ST_SU_SY_EESZ_S10_S11_S12_S16_S17_S18_S1B_S1C_jS1D_jS1E_S1E_jjS1G_bEUljE0_EEESZ_S10_S11_S18_S1C_S1E_T6_T7_T9_mT8_S1G_bDpT10_ENKUlT_T0_E_clISt17integral_constantIbLb1EES1U_EEDaS1P_S1Q_EUlS1P_E_NS1_11comp_targetILNS1_3genE0ELNS1_11target_archE4294967295ELNS1_3gpuE0ELNS1_3repE0EEENS1_30default_config_static_selectorELNS0_4arch9wavefront6targetE0EEEvS12_,@function
_ZN7rocprim17ROCPRIM_400000_NS6detail17trampoline_kernelINS0_13select_configILj256ELj13ELNS0_17block_load_methodE3ELS4_3ELS4_3ELNS0_20block_scan_algorithmE0ELj4294967295EEENS1_25partition_config_selectorILNS1_17partition_subalgoE4EjNS0_10empty_typeEbEEZZNS1_14partition_implILS8_4ELb0ES6_15HIP_vector_typeIjLj2EENS0_17counting_iteratorIjlEEPS9_SG_NS0_5tupleIJPjSI_NS0_16reverse_iteratorISI_EEEEENSH_IJSG_SG_SG_EEES9_SI_JZNS1_25segmented_radix_sort_implINS0_14default_configELb1EPKsPsPKlPlN2at6native12_GLOBAL__N_18offset_tEEE10hipError_tPvRmT1_PNSt15iterator_traitsIS12_E10value_typeET2_T3_PNS13_IS18_E10value_typeET4_jRbjT5_S1E_jjP12ihipStream_tbEUljE_ZNSN_ISO_Lb1ESQ_SR_ST_SU_SY_EESZ_S10_S11_S12_S16_S17_S18_S1B_S1C_jS1D_jS1E_S1E_jjS1G_bEUljE0_EEESZ_S10_S11_S18_S1C_S1E_T6_T7_T9_mT8_S1G_bDpT10_ENKUlT_T0_E_clISt17integral_constantIbLb1EES1U_EEDaS1P_S1Q_EUlS1P_E_NS1_11comp_targetILNS1_3genE0ELNS1_11target_archE4294967295ELNS1_3gpuE0ELNS1_3repE0EEENS1_30default_config_static_selectorELNS0_4arch9wavefront6targetE0EEEvS12_: ; @_ZN7rocprim17ROCPRIM_400000_NS6detail17trampoline_kernelINS0_13select_configILj256ELj13ELNS0_17block_load_methodE3ELS4_3ELS4_3ELNS0_20block_scan_algorithmE0ELj4294967295EEENS1_25partition_config_selectorILNS1_17partition_subalgoE4EjNS0_10empty_typeEbEEZZNS1_14partition_implILS8_4ELb0ES6_15HIP_vector_typeIjLj2EENS0_17counting_iteratorIjlEEPS9_SG_NS0_5tupleIJPjSI_NS0_16reverse_iteratorISI_EEEEENSH_IJSG_SG_SG_EEES9_SI_JZNS1_25segmented_radix_sort_implINS0_14default_configELb1EPKsPsPKlPlN2at6native12_GLOBAL__N_18offset_tEEE10hipError_tPvRmT1_PNSt15iterator_traitsIS12_E10value_typeET2_T3_PNS13_IS18_E10value_typeET4_jRbjT5_S1E_jjP12ihipStream_tbEUljE_ZNSN_ISO_Lb1ESQ_SR_ST_SU_SY_EESZ_S10_S11_S12_S16_S17_S18_S1B_S1C_jS1D_jS1E_S1E_jjS1G_bEUljE0_EEESZ_S10_S11_S18_S1C_S1E_T6_T7_T9_mT8_S1G_bDpT10_ENKUlT_T0_E_clISt17integral_constantIbLb1EES1U_EEDaS1P_S1Q_EUlS1P_E_NS1_11comp_targetILNS1_3genE0ELNS1_11target_archE4294967295ELNS1_3gpuE0ELNS1_3repE0EEENS1_30default_config_static_selectorELNS0_4arch9wavefront6targetE0EEEvS12_
; %bb.0:
	.section	.rodata,"a",@progbits
	.p2align	6, 0x0
	.amdhsa_kernel _ZN7rocprim17ROCPRIM_400000_NS6detail17trampoline_kernelINS0_13select_configILj256ELj13ELNS0_17block_load_methodE3ELS4_3ELS4_3ELNS0_20block_scan_algorithmE0ELj4294967295EEENS1_25partition_config_selectorILNS1_17partition_subalgoE4EjNS0_10empty_typeEbEEZZNS1_14partition_implILS8_4ELb0ES6_15HIP_vector_typeIjLj2EENS0_17counting_iteratorIjlEEPS9_SG_NS0_5tupleIJPjSI_NS0_16reverse_iteratorISI_EEEEENSH_IJSG_SG_SG_EEES9_SI_JZNS1_25segmented_radix_sort_implINS0_14default_configELb1EPKsPsPKlPlN2at6native12_GLOBAL__N_18offset_tEEE10hipError_tPvRmT1_PNSt15iterator_traitsIS12_E10value_typeET2_T3_PNS13_IS18_E10value_typeET4_jRbjT5_S1E_jjP12ihipStream_tbEUljE_ZNSN_ISO_Lb1ESQ_SR_ST_SU_SY_EESZ_S10_S11_S12_S16_S17_S18_S1B_S1C_jS1D_jS1E_S1E_jjS1G_bEUljE0_EEESZ_S10_S11_S18_S1C_S1E_T6_T7_T9_mT8_S1G_bDpT10_ENKUlT_T0_E_clISt17integral_constantIbLb1EES1U_EEDaS1P_S1Q_EUlS1P_E_NS1_11comp_targetILNS1_3genE0ELNS1_11target_archE4294967295ELNS1_3gpuE0ELNS1_3repE0EEENS1_30default_config_static_selectorELNS0_4arch9wavefront6targetE0EEEvS12_
		.amdhsa_group_segment_fixed_size 0
		.amdhsa_private_segment_fixed_size 0
		.amdhsa_kernarg_size 184
		.amdhsa_user_sgpr_count 15
		.amdhsa_user_sgpr_dispatch_ptr 0
		.amdhsa_user_sgpr_queue_ptr 0
		.amdhsa_user_sgpr_kernarg_segment_ptr 1
		.amdhsa_user_sgpr_dispatch_id 0
		.amdhsa_user_sgpr_private_segment_size 0
		.amdhsa_wavefront_size32 1
		.amdhsa_uses_dynamic_stack 0
		.amdhsa_enable_private_segment 0
		.amdhsa_system_sgpr_workgroup_id_x 1
		.amdhsa_system_sgpr_workgroup_id_y 0
		.amdhsa_system_sgpr_workgroup_id_z 0
		.amdhsa_system_sgpr_workgroup_info 0
		.amdhsa_system_vgpr_workitem_id 0
		.amdhsa_next_free_vgpr 1
		.amdhsa_next_free_sgpr 1
		.amdhsa_reserve_vcc 0
		.amdhsa_float_round_mode_32 0
		.amdhsa_float_round_mode_16_64 0
		.amdhsa_float_denorm_mode_32 3
		.amdhsa_float_denorm_mode_16_64 3
		.amdhsa_dx10_clamp 1
		.amdhsa_ieee_mode 1
		.amdhsa_fp16_overflow 0
		.amdhsa_workgroup_processor_mode 1
		.amdhsa_memory_ordered 1
		.amdhsa_forward_progress 0
		.amdhsa_shared_vgpr_count 0
		.amdhsa_exception_fp_ieee_invalid_op 0
		.amdhsa_exception_fp_denorm_src 0
		.amdhsa_exception_fp_ieee_div_zero 0
		.amdhsa_exception_fp_ieee_overflow 0
		.amdhsa_exception_fp_ieee_underflow 0
		.amdhsa_exception_fp_ieee_inexact 0
		.amdhsa_exception_int_div_zero 0
	.end_amdhsa_kernel
	.section	.text._ZN7rocprim17ROCPRIM_400000_NS6detail17trampoline_kernelINS0_13select_configILj256ELj13ELNS0_17block_load_methodE3ELS4_3ELS4_3ELNS0_20block_scan_algorithmE0ELj4294967295EEENS1_25partition_config_selectorILNS1_17partition_subalgoE4EjNS0_10empty_typeEbEEZZNS1_14partition_implILS8_4ELb0ES6_15HIP_vector_typeIjLj2EENS0_17counting_iteratorIjlEEPS9_SG_NS0_5tupleIJPjSI_NS0_16reverse_iteratorISI_EEEEENSH_IJSG_SG_SG_EEES9_SI_JZNS1_25segmented_radix_sort_implINS0_14default_configELb1EPKsPsPKlPlN2at6native12_GLOBAL__N_18offset_tEEE10hipError_tPvRmT1_PNSt15iterator_traitsIS12_E10value_typeET2_T3_PNS13_IS18_E10value_typeET4_jRbjT5_S1E_jjP12ihipStream_tbEUljE_ZNSN_ISO_Lb1ESQ_SR_ST_SU_SY_EESZ_S10_S11_S12_S16_S17_S18_S1B_S1C_jS1D_jS1E_S1E_jjS1G_bEUljE0_EEESZ_S10_S11_S18_S1C_S1E_T6_T7_T9_mT8_S1G_bDpT10_ENKUlT_T0_E_clISt17integral_constantIbLb1EES1U_EEDaS1P_S1Q_EUlS1P_E_NS1_11comp_targetILNS1_3genE0ELNS1_11target_archE4294967295ELNS1_3gpuE0ELNS1_3repE0EEENS1_30default_config_static_selectorELNS0_4arch9wavefront6targetE0EEEvS12_,"axG",@progbits,_ZN7rocprim17ROCPRIM_400000_NS6detail17trampoline_kernelINS0_13select_configILj256ELj13ELNS0_17block_load_methodE3ELS4_3ELS4_3ELNS0_20block_scan_algorithmE0ELj4294967295EEENS1_25partition_config_selectorILNS1_17partition_subalgoE4EjNS0_10empty_typeEbEEZZNS1_14partition_implILS8_4ELb0ES6_15HIP_vector_typeIjLj2EENS0_17counting_iteratorIjlEEPS9_SG_NS0_5tupleIJPjSI_NS0_16reverse_iteratorISI_EEEEENSH_IJSG_SG_SG_EEES9_SI_JZNS1_25segmented_radix_sort_implINS0_14default_configELb1EPKsPsPKlPlN2at6native12_GLOBAL__N_18offset_tEEE10hipError_tPvRmT1_PNSt15iterator_traitsIS12_E10value_typeET2_T3_PNS13_IS18_E10value_typeET4_jRbjT5_S1E_jjP12ihipStream_tbEUljE_ZNSN_ISO_Lb1ESQ_SR_ST_SU_SY_EESZ_S10_S11_S12_S16_S17_S18_S1B_S1C_jS1D_jS1E_S1E_jjS1G_bEUljE0_EEESZ_S10_S11_S18_S1C_S1E_T6_T7_T9_mT8_S1G_bDpT10_ENKUlT_T0_E_clISt17integral_constantIbLb1EES1U_EEDaS1P_S1Q_EUlS1P_E_NS1_11comp_targetILNS1_3genE0ELNS1_11target_archE4294967295ELNS1_3gpuE0ELNS1_3repE0EEENS1_30default_config_static_selectorELNS0_4arch9wavefront6targetE0EEEvS12_,comdat
.Lfunc_end855:
	.size	_ZN7rocprim17ROCPRIM_400000_NS6detail17trampoline_kernelINS0_13select_configILj256ELj13ELNS0_17block_load_methodE3ELS4_3ELS4_3ELNS0_20block_scan_algorithmE0ELj4294967295EEENS1_25partition_config_selectorILNS1_17partition_subalgoE4EjNS0_10empty_typeEbEEZZNS1_14partition_implILS8_4ELb0ES6_15HIP_vector_typeIjLj2EENS0_17counting_iteratorIjlEEPS9_SG_NS0_5tupleIJPjSI_NS0_16reverse_iteratorISI_EEEEENSH_IJSG_SG_SG_EEES9_SI_JZNS1_25segmented_radix_sort_implINS0_14default_configELb1EPKsPsPKlPlN2at6native12_GLOBAL__N_18offset_tEEE10hipError_tPvRmT1_PNSt15iterator_traitsIS12_E10value_typeET2_T3_PNS13_IS18_E10value_typeET4_jRbjT5_S1E_jjP12ihipStream_tbEUljE_ZNSN_ISO_Lb1ESQ_SR_ST_SU_SY_EESZ_S10_S11_S12_S16_S17_S18_S1B_S1C_jS1D_jS1E_S1E_jjS1G_bEUljE0_EEESZ_S10_S11_S18_S1C_S1E_T6_T7_T9_mT8_S1G_bDpT10_ENKUlT_T0_E_clISt17integral_constantIbLb1EES1U_EEDaS1P_S1Q_EUlS1P_E_NS1_11comp_targetILNS1_3genE0ELNS1_11target_archE4294967295ELNS1_3gpuE0ELNS1_3repE0EEENS1_30default_config_static_selectorELNS0_4arch9wavefront6targetE0EEEvS12_, .Lfunc_end855-_ZN7rocprim17ROCPRIM_400000_NS6detail17trampoline_kernelINS0_13select_configILj256ELj13ELNS0_17block_load_methodE3ELS4_3ELS4_3ELNS0_20block_scan_algorithmE0ELj4294967295EEENS1_25partition_config_selectorILNS1_17partition_subalgoE4EjNS0_10empty_typeEbEEZZNS1_14partition_implILS8_4ELb0ES6_15HIP_vector_typeIjLj2EENS0_17counting_iteratorIjlEEPS9_SG_NS0_5tupleIJPjSI_NS0_16reverse_iteratorISI_EEEEENSH_IJSG_SG_SG_EEES9_SI_JZNS1_25segmented_radix_sort_implINS0_14default_configELb1EPKsPsPKlPlN2at6native12_GLOBAL__N_18offset_tEEE10hipError_tPvRmT1_PNSt15iterator_traitsIS12_E10value_typeET2_T3_PNS13_IS18_E10value_typeET4_jRbjT5_S1E_jjP12ihipStream_tbEUljE_ZNSN_ISO_Lb1ESQ_SR_ST_SU_SY_EESZ_S10_S11_S12_S16_S17_S18_S1B_S1C_jS1D_jS1E_S1E_jjS1G_bEUljE0_EEESZ_S10_S11_S18_S1C_S1E_T6_T7_T9_mT8_S1G_bDpT10_ENKUlT_T0_E_clISt17integral_constantIbLb1EES1U_EEDaS1P_S1Q_EUlS1P_E_NS1_11comp_targetILNS1_3genE0ELNS1_11target_archE4294967295ELNS1_3gpuE0ELNS1_3repE0EEENS1_30default_config_static_selectorELNS0_4arch9wavefront6targetE0EEEvS12_
                                        ; -- End function
	.section	.AMDGPU.csdata,"",@progbits
; Kernel info:
; codeLenInByte = 0
; NumSgprs: 0
; NumVgprs: 0
; ScratchSize: 0
; MemoryBound: 0
; FloatMode: 240
; IeeeMode: 1
; LDSByteSize: 0 bytes/workgroup (compile time only)
; SGPRBlocks: 0
; VGPRBlocks: 0
; NumSGPRsForWavesPerEU: 1
; NumVGPRsForWavesPerEU: 1
; Occupancy: 16
; WaveLimiterHint : 0
; COMPUTE_PGM_RSRC2:SCRATCH_EN: 0
; COMPUTE_PGM_RSRC2:USER_SGPR: 15
; COMPUTE_PGM_RSRC2:TRAP_HANDLER: 0
; COMPUTE_PGM_RSRC2:TGID_X_EN: 1
; COMPUTE_PGM_RSRC2:TGID_Y_EN: 0
; COMPUTE_PGM_RSRC2:TGID_Z_EN: 0
; COMPUTE_PGM_RSRC2:TIDIG_COMP_CNT: 0
	.section	.text._ZN7rocprim17ROCPRIM_400000_NS6detail17trampoline_kernelINS0_13select_configILj256ELj13ELNS0_17block_load_methodE3ELS4_3ELS4_3ELNS0_20block_scan_algorithmE0ELj4294967295EEENS1_25partition_config_selectorILNS1_17partition_subalgoE4EjNS0_10empty_typeEbEEZZNS1_14partition_implILS8_4ELb0ES6_15HIP_vector_typeIjLj2EENS0_17counting_iteratorIjlEEPS9_SG_NS0_5tupleIJPjSI_NS0_16reverse_iteratorISI_EEEEENSH_IJSG_SG_SG_EEES9_SI_JZNS1_25segmented_radix_sort_implINS0_14default_configELb1EPKsPsPKlPlN2at6native12_GLOBAL__N_18offset_tEEE10hipError_tPvRmT1_PNSt15iterator_traitsIS12_E10value_typeET2_T3_PNS13_IS18_E10value_typeET4_jRbjT5_S1E_jjP12ihipStream_tbEUljE_ZNSN_ISO_Lb1ESQ_SR_ST_SU_SY_EESZ_S10_S11_S12_S16_S17_S18_S1B_S1C_jS1D_jS1E_S1E_jjS1G_bEUljE0_EEESZ_S10_S11_S18_S1C_S1E_T6_T7_T9_mT8_S1G_bDpT10_ENKUlT_T0_E_clISt17integral_constantIbLb1EES1U_EEDaS1P_S1Q_EUlS1P_E_NS1_11comp_targetILNS1_3genE5ELNS1_11target_archE942ELNS1_3gpuE9ELNS1_3repE0EEENS1_30default_config_static_selectorELNS0_4arch9wavefront6targetE0EEEvS12_,"axG",@progbits,_ZN7rocprim17ROCPRIM_400000_NS6detail17trampoline_kernelINS0_13select_configILj256ELj13ELNS0_17block_load_methodE3ELS4_3ELS4_3ELNS0_20block_scan_algorithmE0ELj4294967295EEENS1_25partition_config_selectorILNS1_17partition_subalgoE4EjNS0_10empty_typeEbEEZZNS1_14partition_implILS8_4ELb0ES6_15HIP_vector_typeIjLj2EENS0_17counting_iteratorIjlEEPS9_SG_NS0_5tupleIJPjSI_NS0_16reverse_iteratorISI_EEEEENSH_IJSG_SG_SG_EEES9_SI_JZNS1_25segmented_radix_sort_implINS0_14default_configELb1EPKsPsPKlPlN2at6native12_GLOBAL__N_18offset_tEEE10hipError_tPvRmT1_PNSt15iterator_traitsIS12_E10value_typeET2_T3_PNS13_IS18_E10value_typeET4_jRbjT5_S1E_jjP12ihipStream_tbEUljE_ZNSN_ISO_Lb1ESQ_SR_ST_SU_SY_EESZ_S10_S11_S12_S16_S17_S18_S1B_S1C_jS1D_jS1E_S1E_jjS1G_bEUljE0_EEESZ_S10_S11_S18_S1C_S1E_T6_T7_T9_mT8_S1G_bDpT10_ENKUlT_T0_E_clISt17integral_constantIbLb1EES1U_EEDaS1P_S1Q_EUlS1P_E_NS1_11comp_targetILNS1_3genE5ELNS1_11target_archE942ELNS1_3gpuE9ELNS1_3repE0EEENS1_30default_config_static_selectorELNS0_4arch9wavefront6targetE0EEEvS12_,comdat
	.globl	_ZN7rocprim17ROCPRIM_400000_NS6detail17trampoline_kernelINS0_13select_configILj256ELj13ELNS0_17block_load_methodE3ELS4_3ELS4_3ELNS0_20block_scan_algorithmE0ELj4294967295EEENS1_25partition_config_selectorILNS1_17partition_subalgoE4EjNS0_10empty_typeEbEEZZNS1_14partition_implILS8_4ELb0ES6_15HIP_vector_typeIjLj2EENS0_17counting_iteratorIjlEEPS9_SG_NS0_5tupleIJPjSI_NS0_16reverse_iteratorISI_EEEEENSH_IJSG_SG_SG_EEES9_SI_JZNS1_25segmented_radix_sort_implINS0_14default_configELb1EPKsPsPKlPlN2at6native12_GLOBAL__N_18offset_tEEE10hipError_tPvRmT1_PNSt15iterator_traitsIS12_E10value_typeET2_T3_PNS13_IS18_E10value_typeET4_jRbjT5_S1E_jjP12ihipStream_tbEUljE_ZNSN_ISO_Lb1ESQ_SR_ST_SU_SY_EESZ_S10_S11_S12_S16_S17_S18_S1B_S1C_jS1D_jS1E_S1E_jjS1G_bEUljE0_EEESZ_S10_S11_S18_S1C_S1E_T6_T7_T9_mT8_S1G_bDpT10_ENKUlT_T0_E_clISt17integral_constantIbLb1EES1U_EEDaS1P_S1Q_EUlS1P_E_NS1_11comp_targetILNS1_3genE5ELNS1_11target_archE942ELNS1_3gpuE9ELNS1_3repE0EEENS1_30default_config_static_selectorELNS0_4arch9wavefront6targetE0EEEvS12_ ; -- Begin function _ZN7rocprim17ROCPRIM_400000_NS6detail17trampoline_kernelINS0_13select_configILj256ELj13ELNS0_17block_load_methodE3ELS4_3ELS4_3ELNS0_20block_scan_algorithmE0ELj4294967295EEENS1_25partition_config_selectorILNS1_17partition_subalgoE4EjNS0_10empty_typeEbEEZZNS1_14partition_implILS8_4ELb0ES6_15HIP_vector_typeIjLj2EENS0_17counting_iteratorIjlEEPS9_SG_NS0_5tupleIJPjSI_NS0_16reverse_iteratorISI_EEEEENSH_IJSG_SG_SG_EEES9_SI_JZNS1_25segmented_radix_sort_implINS0_14default_configELb1EPKsPsPKlPlN2at6native12_GLOBAL__N_18offset_tEEE10hipError_tPvRmT1_PNSt15iterator_traitsIS12_E10value_typeET2_T3_PNS13_IS18_E10value_typeET4_jRbjT5_S1E_jjP12ihipStream_tbEUljE_ZNSN_ISO_Lb1ESQ_SR_ST_SU_SY_EESZ_S10_S11_S12_S16_S17_S18_S1B_S1C_jS1D_jS1E_S1E_jjS1G_bEUljE0_EEESZ_S10_S11_S18_S1C_S1E_T6_T7_T9_mT8_S1G_bDpT10_ENKUlT_T0_E_clISt17integral_constantIbLb1EES1U_EEDaS1P_S1Q_EUlS1P_E_NS1_11comp_targetILNS1_3genE5ELNS1_11target_archE942ELNS1_3gpuE9ELNS1_3repE0EEENS1_30default_config_static_selectorELNS0_4arch9wavefront6targetE0EEEvS12_
	.p2align	8
	.type	_ZN7rocprim17ROCPRIM_400000_NS6detail17trampoline_kernelINS0_13select_configILj256ELj13ELNS0_17block_load_methodE3ELS4_3ELS4_3ELNS0_20block_scan_algorithmE0ELj4294967295EEENS1_25partition_config_selectorILNS1_17partition_subalgoE4EjNS0_10empty_typeEbEEZZNS1_14partition_implILS8_4ELb0ES6_15HIP_vector_typeIjLj2EENS0_17counting_iteratorIjlEEPS9_SG_NS0_5tupleIJPjSI_NS0_16reverse_iteratorISI_EEEEENSH_IJSG_SG_SG_EEES9_SI_JZNS1_25segmented_radix_sort_implINS0_14default_configELb1EPKsPsPKlPlN2at6native12_GLOBAL__N_18offset_tEEE10hipError_tPvRmT1_PNSt15iterator_traitsIS12_E10value_typeET2_T3_PNS13_IS18_E10value_typeET4_jRbjT5_S1E_jjP12ihipStream_tbEUljE_ZNSN_ISO_Lb1ESQ_SR_ST_SU_SY_EESZ_S10_S11_S12_S16_S17_S18_S1B_S1C_jS1D_jS1E_S1E_jjS1G_bEUljE0_EEESZ_S10_S11_S18_S1C_S1E_T6_T7_T9_mT8_S1G_bDpT10_ENKUlT_T0_E_clISt17integral_constantIbLb1EES1U_EEDaS1P_S1Q_EUlS1P_E_NS1_11comp_targetILNS1_3genE5ELNS1_11target_archE942ELNS1_3gpuE9ELNS1_3repE0EEENS1_30default_config_static_selectorELNS0_4arch9wavefront6targetE0EEEvS12_,@function
_ZN7rocprim17ROCPRIM_400000_NS6detail17trampoline_kernelINS0_13select_configILj256ELj13ELNS0_17block_load_methodE3ELS4_3ELS4_3ELNS0_20block_scan_algorithmE0ELj4294967295EEENS1_25partition_config_selectorILNS1_17partition_subalgoE4EjNS0_10empty_typeEbEEZZNS1_14partition_implILS8_4ELb0ES6_15HIP_vector_typeIjLj2EENS0_17counting_iteratorIjlEEPS9_SG_NS0_5tupleIJPjSI_NS0_16reverse_iteratorISI_EEEEENSH_IJSG_SG_SG_EEES9_SI_JZNS1_25segmented_radix_sort_implINS0_14default_configELb1EPKsPsPKlPlN2at6native12_GLOBAL__N_18offset_tEEE10hipError_tPvRmT1_PNSt15iterator_traitsIS12_E10value_typeET2_T3_PNS13_IS18_E10value_typeET4_jRbjT5_S1E_jjP12ihipStream_tbEUljE_ZNSN_ISO_Lb1ESQ_SR_ST_SU_SY_EESZ_S10_S11_S12_S16_S17_S18_S1B_S1C_jS1D_jS1E_S1E_jjS1G_bEUljE0_EEESZ_S10_S11_S18_S1C_S1E_T6_T7_T9_mT8_S1G_bDpT10_ENKUlT_T0_E_clISt17integral_constantIbLb1EES1U_EEDaS1P_S1Q_EUlS1P_E_NS1_11comp_targetILNS1_3genE5ELNS1_11target_archE942ELNS1_3gpuE9ELNS1_3repE0EEENS1_30default_config_static_selectorELNS0_4arch9wavefront6targetE0EEEvS12_: ; @_ZN7rocprim17ROCPRIM_400000_NS6detail17trampoline_kernelINS0_13select_configILj256ELj13ELNS0_17block_load_methodE3ELS4_3ELS4_3ELNS0_20block_scan_algorithmE0ELj4294967295EEENS1_25partition_config_selectorILNS1_17partition_subalgoE4EjNS0_10empty_typeEbEEZZNS1_14partition_implILS8_4ELb0ES6_15HIP_vector_typeIjLj2EENS0_17counting_iteratorIjlEEPS9_SG_NS0_5tupleIJPjSI_NS0_16reverse_iteratorISI_EEEEENSH_IJSG_SG_SG_EEES9_SI_JZNS1_25segmented_radix_sort_implINS0_14default_configELb1EPKsPsPKlPlN2at6native12_GLOBAL__N_18offset_tEEE10hipError_tPvRmT1_PNSt15iterator_traitsIS12_E10value_typeET2_T3_PNS13_IS18_E10value_typeET4_jRbjT5_S1E_jjP12ihipStream_tbEUljE_ZNSN_ISO_Lb1ESQ_SR_ST_SU_SY_EESZ_S10_S11_S12_S16_S17_S18_S1B_S1C_jS1D_jS1E_S1E_jjS1G_bEUljE0_EEESZ_S10_S11_S18_S1C_S1E_T6_T7_T9_mT8_S1G_bDpT10_ENKUlT_T0_E_clISt17integral_constantIbLb1EES1U_EEDaS1P_S1Q_EUlS1P_E_NS1_11comp_targetILNS1_3genE5ELNS1_11target_archE942ELNS1_3gpuE9ELNS1_3repE0EEENS1_30default_config_static_selectorELNS0_4arch9wavefront6targetE0EEEvS12_
; %bb.0:
	.section	.rodata,"a",@progbits
	.p2align	6, 0x0
	.amdhsa_kernel _ZN7rocprim17ROCPRIM_400000_NS6detail17trampoline_kernelINS0_13select_configILj256ELj13ELNS0_17block_load_methodE3ELS4_3ELS4_3ELNS0_20block_scan_algorithmE0ELj4294967295EEENS1_25partition_config_selectorILNS1_17partition_subalgoE4EjNS0_10empty_typeEbEEZZNS1_14partition_implILS8_4ELb0ES6_15HIP_vector_typeIjLj2EENS0_17counting_iteratorIjlEEPS9_SG_NS0_5tupleIJPjSI_NS0_16reverse_iteratorISI_EEEEENSH_IJSG_SG_SG_EEES9_SI_JZNS1_25segmented_radix_sort_implINS0_14default_configELb1EPKsPsPKlPlN2at6native12_GLOBAL__N_18offset_tEEE10hipError_tPvRmT1_PNSt15iterator_traitsIS12_E10value_typeET2_T3_PNS13_IS18_E10value_typeET4_jRbjT5_S1E_jjP12ihipStream_tbEUljE_ZNSN_ISO_Lb1ESQ_SR_ST_SU_SY_EESZ_S10_S11_S12_S16_S17_S18_S1B_S1C_jS1D_jS1E_S1E_jjS1G_bEUljE0_EEESZ_S10_S11_S18_S1C_S1E_T6_T7_T9_mT8_S1G_bDpT10_ENKUlT_T0_E_clISt17integral_constantIbLb1EES1U_EEDaS1P_S1Q_EUlS1P_E_NS1_11comp_targetILNS1_3genE5ELNS1_11target_archE942ELNS1_3gpuE9ELNS1_3repE0EEENS1_30default_config_static_selectorELNS0_4arch9wavefront6targetE0EEEvS12_
		.amdhsa_group_segment_fixed_size 0
		.amdhsa_private_segment_fixed_size 0
		.amdhsa_kernarg_size 184
		.amdhsa_user_sgpr_count 15
		.amdhsa_user_sgpr_dispatch_ptr 0
		.amdhsa_user_sgpr_queue_ptr 0
		.amdhsa_user_sgpr_kernarg_segment_ptr 1
		.amdhsa_user_sgpr_dispatch_id 0
		.amdhsa_user_sgpr_private_segment_size 0
		.amdhsa_wavefront_size32 1
		.amdhsa_uses_dynamic_stack 0
		.amdhsa_enable_private_segment 0
		.amdhsa_system_sgpr_workgroup_id_x 1
		.amdhsa_system_sgpr_workgroup_id_y 0
		.amdhsa_system_sgpr_workgroup_id_z 0
		.amdhsa_system_sgpr_workgroup_info 0
		.amdhsa_system_vgpr_workitem_id 0
		.amdhsa_next_free_vgpr 1
		.amdhsa_next_free_sgpr 1
		.amdhsa_reserve_vcc 0
		.amdhsa_float_round_mode_32 0
		.amdhsa_float_round_mode_16_64 0
		.amdhsa_float_denorm_mode_32 3
		.amdhsa_float_denorm_mode_16_64 3
		.amdhsa_dx10_clamp 1
		.amdhsa_ieee_mode 1
		.amdhsa_fp16_overflow 0
		.amdhsa_workgroup_processor_mode 1
		.amdhsa_memory_ordered 1
		.amdhsa_forward_progress 0
		.amdhsa_shared_vgpr_count 0
		.amdhsa_exception_fp_ieee_invalid_op 0
		.amdhsa_exception_fp_denorm_src 0
		.amdhsa_exception_fp_ieee_div_zero 0
		.amdhsa_exception_fp_ieee_overflow 0
		.amdhsa_exception_fp_ieee_underflow 0
		.amdhsa_exception_fp_ieee_inexact 0
		.amdhsa_exception_int_div_zero 0
	.end_amdhsa_kernel
	.section	.text._ZN7rocprim17ROCPRIM_400000_NS6detail17trampoline_kernelINS0_13select_configILj256ELj13ELNS0_17block_load_methodE3ELS4_3ELS4_3ELNS0_20block_scan_algorithmE0ELj4294967295EEENS1_25partition_config_selectorILNS1_17partition_subalgoE4EjNS0_10empty_typeEbEEZZNS1_14partition_implILS8_4ELb0ES6_15HIP_vector_typeIjLj2EENS0_17counting_iteratorIjlEEPS9_SG_NS0_5tupleIJPjSI_NS0_16reverse_iteratorISI_EEEEENSH_IJSG_SG_SG_EEES9_SI_JZNS1_25segmented_radix_sort_implINS0_14default_configELb1EPKsPsPKlPlN2at6native12_GLOBAL__N_18offset_tEEE10hipError_tPvRmT1_PNSt15iterator_traitsIS12_E10value_typeET2_T3_PNS13_IS18_E10value_typeET4_jRbjT5_S1E_jjP12ihipStream_tbEUljE_ZNSN_ISO_Lb1ESQ_SR_ST_SU_SY_EESZ_S10_S11_S12_S16_S17_S18_S1B_S1C_jS1D_jS1E_S1E_jjS1G_bEUljE0_EEESZ_S10_S11_S18_S1C_S1E_T6_T7_T9_mT8_S1G_bDpT10_ENKUlT_T0_E_clISt17integral_constantIbLb1EES1U_EEDaS1P_S1Q_EUlS1P_E_NS1_11comp_targetILNS1_3genE5ELNS1_11target_archE942ELNS1_3gpuE9ELNS1_3repE0EEENS1_30default_config_static_selectorELNS0_4arch9wavefront6targetE0EEEvS12_,"axG",@progbits,_ZN7rocprim17ROCPRIM_400000_NS6detail17trampoline_kernelINS0_13select_configILj256ELj13ELNS0_17block_load_methodE3ELS4_3ELS4_3ELNS0_20block_scan_algorithmE0ELj4294967295EEENS1_25partition_config_selectorILNS1_17partition_subalgoE4EjNS0_10empty_typeEbEEZZNS1_14partition_implILS8_4ELb0ES6_15HIP_vector_typeIjLj2EENS0_17counting_iteratorIjlEEPS9_SG_NS0_5tupleIJPjSI_NS0_16reverse_iteratorISI_EEEEENSH_IJSG_SG_SG_EEES9_SI_JZNS1_25segmented_radix_sort_implINS0_14default_configELb1EPKsPsPKlPlN2at6native12_GLOBAL__N_18offset_tEEE10hipError_tPvRmT1_PNSt15iterator_traitsIS12_E10value_typeET2_T3_PNS13_IS18_E10value_typeET4_jRbjT5_S1E_jjP12ihipStream_tbEUljE_ZNSN_ISO_Lb1ESQ_SR_ST_SU_SY_EESZ_S10_S11_S12_S16_S17_S18_S1B_S1C_jS1D_jS1E_S1E_jjS1G_bEUljE0_EEESZ_S10_S11_S18_S1C_S1E_T6_T7_T9_mT8_S1G_bDpT10_ENKUlT_T0_E_clISt17integral_constantIbLb1EES1U_EEDaS1P_S1Q_EUlS1P_E_NS1_11comp_targetILNS1_3genE5ELNS1_11target_archE942ELNS1_3gpuE9ELNS1_3repE0EEENS1_30default_config_static_selectorELNS0_4arch9wavefront6targetE0EEEvS12_,comdat
.Lfunc_end856:
	.size	_ZN7rocprim17ROCPRIM_400000_NS6detail17trampoline_kernelINS0_13select_configILj256ELj13ELNS0_17block_load_methodE3ELS4_3ELS4_3ELNS0_20block_scan_algorithmE0ELj4294967295EEENS1_25partition_config_selectorILNS1_17partition_subalgoE4EjNS0_10empty_typeEbEEZZNS1_14partition_implILS8_4ELb0ES6_15HIP_vector_typeIjLj2EENS0_17counting_iteratorIjlEEPS9_SG_NS0_5tupleIJPjSI_NS0_16reverse_iteratorISI_EEEEENSH_IJSG_SG_SG_EEES9_SI_JZNS1_25segmented_radix_sort_implINS0_14default_configELb1EPKsPsPKlPlN2at6native12_GLOBAL__N_18offset_tEEE10hipError_tPvRmT1_PNSt15iterator_traitsIS12_E10value_typeET2_T3_PNS13_IS18_E10value_typeET4_jRbjT5_S1E_jjP12ihipStream_tbEUljE_ZNSN_ISO_Lb1ESQ_SR_ST_SU_SY_EESZ_S10_S11_S12_S16_S17_S18_S1B_S1C_jS1D_jS1E_S1E_jjS1G_bEUljE0_EEESZ_S10_S11_S18_S1C_S1E_T6_T7_T9_mT8_S1G_bDpT10_ENKUlT_T0_E_clISt17integral_constantIbLb1EES1U_EEDaS1P_S1Q_EUlS1P_E_NS1_11comp_targetILNS1_3genE5ELNS1_11target_archE942ELNS1_3gpuE9ELNS1_3repE0EEENS1_30default_config_static_selectorELNS0_4arch9wavefront6targetE0EEEvS12_, .Lfunc_end856-_ZN7rocprim17ROCPRIM_400000_NS6detail17trampoline_kernelINS0_13select_configILj256ELj13ELNS0_17block_load_methodE3ELS4_3ELS4_3ELNS0_20block_scan_algorithmE0ELj4294967295EEENS1_25partition_config_selectorILNS1_17partition_subalgoE4EjNS0_10empty_typeEbEEZZNS1_14partition_implILS8_4ELb0ES6_15HIP_vector_typeIjLj2EENS0_17counting_iteratorIjlEEPS9_SG_NS0_5tupleIJPjSI_NS0_16reverse_iteratorISI_EEEEENSH_IJSG_SG_SG_EEES9_SI_JZNS1_25segmented_radix_sort_implINS0_14default_configELb1EPKsPsPKlPlN2at6native12_GLOBAL__N_18offset_tEEE10hipError_tPvRmT1_PNSt15iterator_traitsIS12_E10value_typeET2_T3_PNS13_IS18_E10value_typeET4_jRbjT5_S1E_jjP12ihipStream_tbEUljE_ZNSN_ISO_Lb1ESQ_SR_ST_SU_SY_EESZ_S10_S11_S12_S16_S17_S18_S1B_S1C_jS1D_jS1E_S1E_jjS1G_bEUljE0_EEESZ_S10_S11_S18_S1C_S1E_T6_T7_T9_mT8_S1G_bDpT10_ENKUlT_T0_E_clISt17integral_constantIbLb1EES1U_EEDaS1P_S1Q_EUlS1P_E_NS1_11comp_targetILNS1_3genE5ELNS1_11target_archE942ELNS1_3gpuE9ELNS1_3repE0EEENS1_30default_config_static_selectorELNS0_4arch9wavefront6targetE0EEEvS12_
                                        ; -- End function
	.section	.AMDGPU.csdata,"",@progbits
; Kernel info:
; codeLenInByte = 0
; NumSgprs: 0
; NumVgprs: 0
; ScratchSize: 0
; MemoryBound: 0
; FloatMode: 240
; IeeeMode: 1
; LDSByteSize: 0 bytes/workgroup (compile time only)
; SGPRBlocks: 0
; VGPRBlocks: 0
; NumSGPRsForWavesPerEU: 1
; NumVGPRsForWavesPerEU: 1
; Occupancy: 16
; WaveLimiterHint : 0
; COMPUTE_PGM_RSRC2:SCRATCH_EN: 0
; COMPUTE_PGM_RSRC2:USER_SGPR: 15
; COMPUTE_PGM_RSRC2:TRAP_HANDLER: 0
; COMPUTE_PGM_RSRC2:TGID_X_EN: 1
; COMPUTE_PGM_RSRC2:TGID_Y_EN: 0
; COMPUTE_PGM_RSRC2:TGID_Z_EN: 0
; COMPUTE_PGM_RSRC2:TIDIG_COMP_CNT: 0
	.section	.text._ZN7rocprim17ROCPRIM_400000_NS6detail17trampoline_kernelINS0_13select_configILj256ELj13ELNS0_17block_load_methodE3ELS4_3ELS4_3ELNS0_20block_scan_algorithmE0ELj4294967295EEENS1_25partition_config_selectorILNS1_17partition_subalgoE4EjNS0_10empty_typeEbEEZZNS1_14partition_implILS8_4ELb0ES6_15HIP_vector_typeIjLj2EENS0_17counting_iteratorIjlEEPS9_SG_NS0_5tupleIJPjSI_NS0_16reverse_iteratorISI_EEEEENSH_IJSG_SG_SG_EEES9_SI_JZNS1_25segmented_radix_sort_implINS0_14default_configELb1EPKsPsPKlPlN2at6native12_GLOBAL__N_18offset_tEEE10hipError_tPvRmT1_PNSt15iterator_traitsIS12_E10value_typeET2_T3_PNS13_IS18_E10value_typeET4_jRbjT5_S1E_jjP12ihipStream_tbEUljE_ZNSN_ISO_Lb1ESQ_SR_ST_SU_SY_EESZ_S10_S11_S12_S16_S17_S18_S1B_S1C_jS1D_jS1E_S1E_jjS1G_bEUljE0_EEESZ_S10_S11_S18_S1C_S1E_T6_T7_T9_mT8_S1G_bDpT10_ENKUlT_T0_E_clISt17integral_constantIbLb1EES1U_EEDaS1P_S1Q_EUlS1P_E_NS1_11comp_targetILNS1_3genE4ELNS1_11target_archE910ELNS1_3gpuE8ELNS1_3repE0EEENS1_30default_config_static_selectorELNS0_4arch9wavefront6targetE0EEEvS12_,"axG",@progbits,_ZN7rocprim17ROCPRIM_400000_NS6detail17trampoline_kernelINS0_13select_configILj256ELj13ELNS0_17block_load_methodE3ELS4_3ELS4_3ELNS0_20block_scan_algorithmE0ELj4294967295EEENS1_25partition_config_selectorILNS1_17partition_subalgoE4EjNS0_10empty_typeEbEEZZNS1_14partition_implILS8_4ELb0ES6_15HIP_vector_typeIjLj2EENS0_17counting_iteratorIjlEEPS9_SG_NS0_5tupleIJPjSI_NS0_16reverse_iteratorISI_EEEEENSH_IJSG_SG_SG_EEES9_SI_JZNS1_25segmented_radix_sort_implINS0_14default_configELb1EPKsPsPKlPlN2at6native12_GLOBAL__N_18offset_tEEE10hipError_tPvRmT1_PNSt15iterator_traitsIS12_E10value_typeET2_T3_PNS13_IS18_E10value_typeET4_jRbjT5_S1E_jjP12ihipStream_tbEUljE_ZNSN_ISO_Lb1ESQ_SR_ST_SU_SY_EESZ_S10_S11_S12_S16_S17_S18_S1B_S1C_jS1D_jS1E_S1E_jjS1G_bEUljE0_EEESZ_S10_S11_S18_S1C_S1E_T6_T7_T9_mT8_S1G_bDpT10_ENKUlT_T0_E_clISt17integral_constantIbLb1EES1U_EEDaS1P_S1Q_EUlS1P_E_NS1_11comp_targetILNS1_3genE4ELNS1_11target_archE910ELNS1_3gpuE8ELNS1_3repE0EEENS1_30default_config_static_selectorELNS0_4arch9wavefront6targetE0EEEvS12_,comdat
	.globl	_ZN7rocprim17ROCPRIM_400000_NS6detail17trampoline_kernelINS0_13select_configILj256ELj13ELNS0_17block_load_methodE3ELS4_3ELS4_3ELNS0_20block_scan_algorithmE0ELj4294967295EEENS1_25partition_config_selectorILNS1_17partition_subalgoE4EjNS0_10empty_typeEbEEZZNS1_14partition_implILS8_4ELb0ES6_15HIP_vector_typeIjLj2EENS0_17counting_iteratorIjlEEPS9_SG_NS0_5tupleIJPjSI_NS0_16reverse_iteratorISI_EEEEENSH_IJSG_SG_SG_EEES9_SI_JZNS1_25segmented_radix_sort_implINS0_14default_configELb1EPKsPsPKlPlN2at6native12_GLOBAL__N_18offset_tEEE10hipError_tPvRmT1_PNSt15iterator_traitsIS12_E10value_typeET2_T3_PNS13_IS18_E10value_typeET4_jRbjT5_S1E_jjP12ihipStream_tbEUljE_ZNSN_ISO_Lb1ESQ_SR_ST_SU_SY_EESZ_S10_S11_S12_S16_S17_S18_S1B_S1C_jS1D_jS1E_S1E_jjS1G_bEUljE0_EEESZ_S10_S11_S18_S1C_S1E_T6_T7_T9_mT8_S1G_bDpT10_ENKUlT_T0_E_clISt17integral_constantIbLb1EES1U_EEDaS1P_S1Q_EUlS1P_E_NS1_11comp_targetILNS1_3genE4ELNS1_11target_archE910ELNS1_3gpuE8ELNS1_3repE0EEENS1_30default_config_static_selectorELNS0_4arch9wavefront6targetE0EEEvS12_ ; -- Begin function _ZN7rocprim17ROCPRIM_400000_NS6detail17trampoline_kernelINS0_13select_configILj256ELj13ELNS0_17block_load_methodE3ELS4_3ELS4_3ELNS0_20block_scan_algorithmE0ELj4294967295EEENS1_25partition_config_selectorILNS1_17partition_subalgoE4EjNS0_10empty_typeEbEEZZNS1_14partition_implILS8_4ELb0ES6_15HIP_vector_typeIjLj2EENS0_17counting_iteratorIjlEEPS9_SG_NS0_5tupleIJPjSI_NS0_16reverse_iteratorISI_EEEEENSH_IJSG_SG_SG_EEES9_SI_JZNS1_25segmented_radix_sort_implINS0_14default_configELb1EPKsPsPKlPlN2at6native12_GLOBAL__N_18offset_tEEE10hipError_tPvRmT1_PNSt15iterator_traitsIS12_E10value_typeET2_T3_PNS13_IS18_E10value_typeET4_jRbjT5_S1E_jjP12ihipStream_tbEUljE_ZNSN_ISO_Lb1ESQ_SR_ST_SU_SY_EESZ_S10_S11_S12_S16_S17_S18_S1B_S1C_jS1D_jS1E_S1E_jjS1G_bEUljE0_EEESZ_S10_S11_S18_S1C_S1E_T6_T7_T9_mT8_S1G_bDpT10_ENKUlT_T0_E_clISt17integral_constantIbLb1EES1U_EEDaS1P_S1Q_EUlS1P_E_NS1_11comp_targetILNS1_3genE4ELNS1_11target_archE910ELNS1_3gpuE8ELNS1_3repE0EEENS1_30default_config_static_selectorELNS0_4arch9wavefront6targetE0EEEvS12_
	.p2align	8
	.type	_ZN7rocprim17ROCPRIM_400000_NS6detail17trampoline_kernelINS0_13select_configILj256ELj13ELNS0_17block_load_methodE3ELS4_3ELS4_3ELNS0_20block_scan_algorithmE0ELj4294967295EEENS1_25partition_config_selectorILNS1_17partition_subalgoE4EjNS0_10empty_typeEbEEZZNS1_14partition_implILS8_4ELb0ES6_15HIP_vector_typeIjLj2EENS0_17counting_iteratorIjlEEPS9_SG_NS0_5tupleIJPjSI_NS0_16reverse_iteratorISI_EEEEENSH_IJSG_SG_SG_EEES9_SI_JZNS1_25segmented_radix_sort_implINS0_14default_configELb1EPKsPsPKlPlN2at6native12_GLOBAL__N_18offset_tEEE10hipError_tPvRmT1_PNSt15iterator_traitsIS12_E10value_typeET2_T3_PNS13_IS18_E10value_typeET4_jRbjT5_S1E_jjP12ihipStream_tbEUljE_ZNSN_ISO_Lb1ESQ_SR_ST_SU_SY_EESZ_S10_S11_S12_S16_S17_S18_S1B_S1C_jS1D_jS1E_S1E_jjS1G_bEUljE0_EEESZ_S10_S11_S18_S1C_S1E_T6_T7_T9_mT8_S1G_bDpT10_ENKUlT_T0_E_clISt17integral_constantIbLb1EES1U_EEDaS1P_S1Q_EUlS1P_E_NS1_11comp_targetILNS1_3genE4ELNS1_11target_archE910ELNS1_3gpuE8ELNS1_3repE0EEENS1_30default_config_static_selectorELNS0_4arch9wavefront6targetE0EEEvS12_,@function
_ZN7rocprim17ROCPRIM_400000_NS6detail17trampoline_kernelINS0_13select_configILj256ELj13ELNS0_17block_load_methodE3ELS4_3ELS4_3ELNS0_20block_scan_algorithmE0ELj4294967295EEENS1_25partition_config_selectorILNS1_17partition_subalgoE4EjNS0_10empty_typeEbEEZZNS1_14partition_implILS8_4ELb0ES6_15HIP_vector_typeIjLj2EENS0_17counting_iteratorIjlEEPS9_SG_NS0_5tupleIJPjSI_NS0_16reverse_iteratorISI_EEEEENSH_IJSG_SG_SG_EEES9_SI_JZNS1_25segmented_radix_sort_implINS0_14default_configELb1EPKsPsPKlPlN2at6native12_GLOBAL__N_18offset_tEEE10hipError_tPvRmT1_PNSt15iterator_traitsIS12_E10value_typeET2_T3_PNS13_IS18_E10value_typeET4_jRbjT5_S1E_jjP12ihipStream_tbEUljE_ZNSN_ISO_Lb1ESQ_SR_ST_SU_SY_EESZ_S10_S11_S12_S16_S17_S18_S1B_S1C_jS1D_jS1E_S1E_jjS1G_bEUljE0_EEESZ_S10_S11_S18_S1C_S1E_T6_T7_T9_mT8_S1G_bDpT10_ENKUlT_T0_E_clISt17integral_constantIbLb1EES1U_EEDaS1P_S1Q_EUlS1P_E_NS1_11comp_targetILNS1_3genE4ELNS1_11target_archE910ELNS1_3gpuE8ELNS1_3repE0EEENS1_30default_config_static_selectorELNS0_4arch9wavefront6targetE0EEEvS12_: ; @_ZN7rocprim17ROCPRIM_400000_NS6detail17trampoline_kernelINS0_13select_configILj256ELj13ELNS0_17block_load_methodE3ELS4_3ELS4_3ELNS0_20block_scan_algorithmE0ELj4294967295EEENS1_25partition_config_selectorILNS1_17partition_subalgoE4EjNS0_10empty_typeEbEEZZNS1_14partition_implILS8_4ELb0ES6_15HIP_vector_typeIjLj2EENS0_17counting_iteratorIjlEEPS9_SG_NS0_5tupleIJPjSI_NS0_16reverse_iteratorISI_EEEEENSH_IJSG_SG_SG_EEES9_SI_JZNS1_25segmented_radix_sort_implINS0_14default_configELb1EPKsPsPKlPlN2at6native12_GLOBAL__N_18offset_tEEE10hipError_tPvRmT1_PNSt15iterator_traitsIS12_E10value_typeET2_T3_PNS13_IS18_E10value_typeET4_jRbjT5_S1E_jjP12ihipStream_tbEUljE_ZNSN_ISO_Lb1ESQ_SR_ST_SU_SY_EESZ_S10_S11_S12_S16_S17_S18_S1B_S1C_jS1D_jS1E_S1E_jjS1G_bEUljE0_EEESZ_S10_S11_S18_S1C_S1E_T6_T7_T9_mT8_S1G_bDpT10_ENKUlT_T0_E_clISt17integral_constantIbLb1EES1U_EEDaS1P_S1Q_EUlS1P_E_NS1_11comp_targetILNS1_3genE4ELNS1_11target_archE910ELNS1_3gpuE8ELNS1_3repE0EEENS1_30default_config_static_selectorELNS0_4arch9wavefront6targetE0EEEvS12_
; %bb.0:
	.section	.rodata,"a",@progbits
	.p2align	6, 0x0
	.amdhsa_kernel _ZN7rocprim17ROCPRIM_400000_NS6detail17trampoline_kernelINS0_13select_configILj256ELj13ELNS0_17block_load_methodE3ELS4_3ELS4_3ELNS0_20block_scan_algorithmE0ELj4294967295EEENS1_25partition_config_selectorILNS1_17partition_subalgoE4EjNS0_10empty_typeEbEEZZNS1_14partition_implILS8_4ELb0ES6_15HIP_vector_typeIjLj2EENS0_17counting_iteratorIjlEEPS9_SG_NS0_5tupleIJPjSI_NS0_16reverse_iteratorISI_EEEEENSH_IJSG_SG_SG_EEES9_SI_JZNS1_25segmented_radix_sort_implINS0_14default_configELb1EPKsPsPKlPlN2at6native12_GLOBAL__N_18offset_tEEE10hipError_tPvRmT1_PNSt15iterator_traitsIS12_E10value_typeET2_T3_PNS13_IS18_E10value_typeET4_jRbjT5_S1E_jjP12ihipStream_tbEUljE_ZNSN_ISO_Lb1ESQ_SR_ST_SU_SY_EESZ_S10_S11_S12_S16_S17_S18_S1B_S1C_jS1D_jS1E_S1E_jjS1G_bEUljE0_EEESZ_S10_S11_S18_S1C_S1E_T6_T7_T9_mT8_S1G_bDpT10_ENKUlT_T0_E_clISt17integral_constantIbLb1EES1U_EEDaS1P_S1Q_EUlS1P_E_NS1_11comp_targetILNS1_3genE4ELNS1_11target_archE910ELNS1_3gpuE8ELNS1_3repE0EEENS1_30default_config_static_selectorELNS0_4arch9wavefront6targetE0EEEvS12_
		.amdhsa_group_segment_fixed_size 0
		.amdhsa_private_segment_fixed_size 0
		.amdhsa_kernarg_size 184
		.amdhsa_user_sgpr_count 15
		.amdhsa_user_sgpr_dispatch_ptr 0
		.amdhsa_user_sgpr_queue_ptr 0
		.amdhsa_user_sgpr_kernarg_segment_ptr 1
		.amdhsa_user_sgpr_dispatch_id 0
		.amdhsa_user_sgpr_private_segment_size 0
		.amdhsa_wavefront_size32 1
		.amdhsa_uses_dynamic_stack 0
		.amdhsa_enable_private_segment 0
		.amdhsa_system_sgpr_workgroup_id_x 1
		.amdhsa_system_sgpr_workgroup_id_y 0
		.amdhsa_system_sgpr_workgroup_id_z 0
		.amdhsa_system_sgpr_workgroup_info 0
		.amdhsa_system_vgpr_workitem_id 0
		.amdhsa_next_free_vgpr 1
		.amdhsa_next_free_sgpr 1
		.amdhsa_reserve_vcc 0
		.amdhsa_float_round_mode_32 0
		.amdhsa_float_round_mode_16_64 0
		.amdhsa_float_denorm_mode_32 3
		.amdhsa_float_denorm_mode_16_64 3
		.amdhsa_dx10_clamp 1
		.amdhsa_ieee_mode 1
		.amdhsa_fp16_overflow 0
		.amdhsa_workgroup_processor_mode 1
		.amdhsa_memory_ordered 1
		.amdhsa_forward_progress 0
		.amdhsa_shared_vgpr_count 0
		.amdhsa_exception_fp_ieee_invalid_op 0
		.amdhsa_exception_fp_denorm_src 0
		.amdhsa_exception_fp_ieee_div_zero 0
		.amdhsa_exception_fp_ieee_overflow 0
		.amdhsa_exception_fp_ieee_underflow 0
		.amdhsa_exception_fp_ieee_inexact 0
		.amdhsa_exception_int_div_zero 0
	.end_amdhsa_kernel
	.section	.text._ZN7rocprim17ROCPRIM_400000_NS6detail17trampoline_kernelINS0_13select_configILj256ELj13ELNS0_17block_load_methodE3ELS4_3ELS4_3ELNS0_20block_scan_algorithmE0ELj4294967295EEENS1_25partition_config_selectorILNS1_17partition_subalgoE4EjNS0_10empty_typeEbEEZZNS1_14partition_implILS8_4ELb0ES6_15HIP_vector_typeIjLj2EENS0_17counting_iteratorIjlEEPS9_SG_NS0_5tupleIJPjSI_NS0_16reverse_iteratorISI_EEEEENSH_IJSG_SG_SG_EEES9_SI_JZNS1_25segmented_radix_sort_implINS0_14default_configELb1EPKsPsPKlPlN2at6native12_GLOBAL__N_18offset_tEEE10hipError_tPvRmT1_PNSt15iterator_traitsIS12_E10value_typeET2_T3_PNS13_IS18_E10value_typeET4_jRbjT5_S1E_jjP12ihipStream_tbEUljE_ZNSN_ISO_Lb1ESQ_SR_ST_SU_SY_EESZ_S10_S11_S12_S16_S17_S18_S1B_S1C_jS1D_jS1E_S1E_jjS1G_bEUljE0_EEESZ_S10_S11_S18_S1C_S1E_T6_T7_T9_mT8_S1G_bDpT10_ENKUlT_T0_E_clISt17integral_constantIbLb1EES1U_EEDaS1P_S1Q_EUlS1P_E_NS1_11comp_targetILNS1_3genE4ELNS1_11target_archE910ELNS1_3gpuE8ELNS1_3repE0EEENS1_30default_config_static_selectorELNS0_4arch9wavefront6targetE0EEEvS12_,"axG",@progbits,_ZN7rocprim17ROCPRIM_400000_NS6detail17trampoline_kernelINS0_13select_configILj256ELj13ELNS0_17block_load_methodE3ELS4_3ELS4_3ELNS0_20block_scan_algorithmE0ELj4294967295EEENS1_25partition_config_selectorILNS1_17partition_subalgoE4EjNS0_10empty_typeEbEEZZNS1_14partition_implILS8_4ELb0ES6_15HIP_vector_typeIjLj2EENS0_17counting_iteratorIjlEEPS9_SG_NS0_5tupleIJPjSI_NS0_16reverse_iteratorISI_EEEEENSH_IJSG_SG_SG_EEES9_SI_JZNS1_25segmented_radix_sort_implINS0_14default_configELb1EPKsPsPKlPlN2at6native12_GLOBAL__N_18offset_tEEE10hipError_tPvRmT1_PNSt15iterator_traitsIS12_E10value_typeET2_T3_PNS13_IS18_E10value_typeET4_jRbjT5_S1E_jjP12ihipStream_tbEUljE_ZNSN_ISO_Lb1ESQ_SR_ST_SU_SY_EESZ_S10_S11_S12_S16_S17_S18_S1B_S1C_jS1D_jS1E_S1E_jjS1G_bEUljE0_EEESZ_S10_S11_S18_S1C_S1E_T6_T7_T9_mT8_S1G_bDpT10_ENKUlT_T0_E_clISt17integral_constantIbLb1EES1U_EEDaS1P_S1Q_EUlS1P_E_NS1_11comp_targetILNS1_3genE4ELNS1_11target_archE910ELNS1_3gpuE8ELNS1_3repE0EEENS1_30default_config_static_selectorELNS0_4arch9wavefront6targetE0EEEvS12_,comdat
.Lfunc_end857:
	.size	_ZN7rocprim17ROCPRIM_400000_NS6detail17trampoline_kernelINS0_13select_configILj256ELj13ELNS0_17block_load_methodE3ELS4_3ELS4_3ELNS0_20block_scan_algorithmE0ELj4294967295EEENS1_25partition_config_selectorILNS1_17partition_subalgoE4EjNS0_10empty_typeEbEEZZNS1_14partition_implILS8_4ELb0ES6_15HIP_vector_typeIjLj2EENS0_17counting_iteratorIjlEEPS9_SG_NS0_5tupleIJPjSI_NS0_16reverse_iteratorISI_EEEEENSH_IJSG_SG_SG_EEES9_SI_JZNS1_25segmented_radix_sort_implINS0_14default_configELb1EPKsPsPKlPlN2at6native12_GLOBAL__N_18offset_tEEE10hipError_tPvRmT1_PNSt15iterator_traitsIS12_E10value_typeET2_T3_PNS13_IS18_E10value_typeET4_jRbjT5_S1E_jjP12ihipStream_tbEUljE_ZNSN_ISO_Lb1ESQ_SR_ST_SU_SY_EESZ_S10_S11_S12_S16_S17_S18_S1B_S1C_jS1D_jS1E_S1E_jjS1G_bEUljE0_EEESZ_S10_S11_S18_S1C_S1E_T6_T7_T9_mT8_S1G_bDpT10_ENKUlT_T0_E_clISt17integral_constantIbLb1EES1U_EEDaS1P_S1Q_EUlS1P_E_NS1_11comp_targetILNS1_3genE4ELNS1_11target_archE910ELNS1_3gpuE8ELNS1_3repE0EEENS1_30default_config_static_selectorELNS0_4arch9wavefront6targetE0EEEvS12_, .Lfunc_end857-_ZN7rocprim17ROCPRIM_400000_NS6detail17trampoline_kernelINS0_13select_configILj256ELj13ELNS0_17block_load_methodE3ELS4_3ELS4_3ELNS0_20block_scan_algorithmE0ELj4294967295EEENS1_25partition_config_selectorILNS1_17partition_subalgoE4EjNS0_10empty_typeEbEEZZNS1_14partition_implILS8_4ELb0ES6_15HIP_vector_typeIjLj2EENS0_17counting_iteratorIjlEEPS9_SG_NS0_5tupleIJPjSI_NS0_16reverse_iteratorISI_EEEEENSH_IJSG_SG_SG_EEES9_SI_JZNS1_25segmented_radix_sort_implINS0_14default_configELb1EPKsPsPKlPlN2at6native12_GLOBAL__N_18offset_tEEE10hipError_tPvRmT1_PNSt15iterator_traitsIS12_E10value_typeET2_T3_PNS13_IS18_E10value_typeET4_jRbjT5_S1E_jjP12ihipStream_tbEUljE_ZNSN_ISO_Lb1ESQ_SR_ST_SU_SY_EESZ_S10_S11_S12_S16_S17_S18_S1B_S1C_jS1D_jS1E_S1E_jjS1G_bEUljE0_EEESZ_S10_S11_S18_S1C_S1E_T6_T7_T9_mT8_S1G_bDpT10_ENKUlT_T0_E_clISt17integral_constantIbLb1EES1U_EEDaS1P_S1Q_EUlS1P_E_NS1_11comp_targetILNS1_3genE4ELNS1_11target_archE910ELNS1_3gpuE8ELNS1_3repE0EEENS1_30default_config_static_selectorELNS0_4arch9wavefront6targetE0EEEvS12_
                                        ; -- End function
	.section	.AMDGPU.csdata,"",@progbits
; Kernel info:
; codeLenInByte = 0
; NumSgprs: 0
; NumVgprs: 0
; ScratchSize: 0
; MemoryBound: 0
; FloatMode: 240
; IeeeMode: 1
; LDSByteSize: 0 bytes/workgroup (compile time only)
; SGPRBlocks: 0
; VGPRBlocks: 0
; NumSGPRsForWavesPerEU: 1
; NumVGPRsForWavesPerEU: 1
; Occupancy: 16
; WaveLimiterHint : 0
; COMPUTE_PGM_RSRC2:SCRATCH_EN: 0
; COMPUTE_PGM_RSRC2:USER_SGPR: 15
; COMPUTE_PGM_RSRC2:TRAP_HANDLER: 0
; COMPUTE_PGM_RSRC2:TGID_X_EN: 1
; COMPUTE_PGM_RSRC2:TGID_Y_EN: 0
; COMPUTE_PGM_RSRC2:TGID_Z_EN: 0
; COMPUTE_PGM_RSRC2:TIDIG_COMP_CNT: 0
	.section	.text._ZN7rocprim17ROCPRIM_400000_NS6detail17trampoline_kernelINS0_13select_configILj256ELj13ELNS0_17block_load_methodE3ELS4_3ELS4_3ELNS0_20block_scan_algorithmE0ELj4294967295EEENS1_25partition_config_selectorILNS1_17partition_subalgoE4EjNS0_10empty_typeEbEEZZNS1_14partition_implILS8_4ELb0ES6_15HIP_vector_typeIjLj2EENS0_17counting_iteratorIjlEEPS9_SG_NS0_5tupleIJPjSI_NS0_16reverse_iteratorISI_EEEEENSH_IJSG_SG_SG_EEES9_SI_JZNS1_25segmented_radix_sort_implINS0_14default_configELb1EPKsPsPKlPlN2at6native12_GLOBAL__N_18offset_tEEE10hipError_tPvRmT1_PNSt15iterator_traitsIS12_E10value_typeET2_T3_PNS13_IS18_E10value_typeET4_jRbjT5_S1E_jjP12ihipStream_tbEUljE_ZNSN_ISO_Lb1ESQ_SR_ST_SU_SY_EESZ_S10_S11_S12_S16_S17_S18_S1B_S1C_jS1D_jS1E_S1E_jjS1G_bEUljE0_EEESZ_S10_S11_S18_S1C_S1E_T6_T7_T9_mT8_S1G_bDpT10_ENKUlT_T0_E_clISt17integral_constantIbLb1EES1U_EEDaS1P_S1Q_EUlS1P_E_NS1_11comp_targetILNS1_3genE3ELNS1_11target_archE908ELNS1_3gpuE7ELNS1_3repE0EEENS1_30default_config_static_selectorELNS0_4arch9wavefront6targetE0EEEvS12_,"axG",@progbits,_ZN7rocprim17ROCPRIM_400000_NS6detail17trampoline_kernelINS0_13select_configILj256ELj13ELNS0_17block_load_methodE3ELS4_3ELS4_3ELNS0_20block_scan_algorithmE0ELj4294967295EEENS1_25partition_config_selectorILNS1_17partition_subalgoE4EjNS0_10empty_typeEbEEZZNS1_14partition_implILS8_4ELb0ES6_15HIP_vector_typeIjLj2EENS0_17counting_iteratorIjlEEPS9_SG_NS0_5tupleIJPjSI_NS0_16reverse_iteratorISI_EEEEENSH_IJSG_SG_SG_EEES9_SI_JZNS1_25segmented_radix_sort_implINS0_14default_configELb1EPKsPsPKlPlN2at6native12_GLOBAL__N_18offset_tEEE10hipError_tPvRmT1_PNSt15iterator_traitsIS12_E10value_typeET2_T3_PNS13_IS18_E10value_typeET4_jRbjT5_S1E_jjP12ihipStream_tbEUljE_ZNSN_ISO_Lb1ESQ_SR_ST_SU_SY_EESZ_S10_S11_S12_S16_S17_S18_S1B_S1C_jS1D_jS1E_S1E_jjS1G_bEUljE0_EEESZ_S10_S11_S18_S1C_S1E_T6_T7_T9_mT8_S1G_bDpT10_ENKUlT_T0_E_clISt17integral_constantIbLb1EES1U_EEDaS1P_S1Q_EUlS1P_E_NS1_11comp_targetILNS1_3genE3ELNS1_11target_archE908ELNS1_3gpuE7ELNS1_3repE0EEENS1_30default_config_static_selectorELNS0_4arch9wavefront6targetE0EEEvS12_,comdat
	.globl	_ZN7rocprim17ROCPRIM_400000_NS6detail17trampoline_kernelINS0_13select_configILj256ELj13ELNS0_17block_load_methodE3ELS4_3ELS4_3ELNS0_20block_scan_algorithmE0ELj4294967295EEENS1_25partition_config_selectorILNS1_17partition_subalgoE4EjNS0_10empty_typeEbEEZZNS1_14partition_implILS8_4ELb0ES6_15HIP_vector_typeIjLj2EENS0_17counting_iteratorIjlEEPS9_SG_NS0_5tupleIJPjSI_NS0_16reverse_iteratorISI_EEEEENSH_IJSG_SG_SG_EEES9_SI_JZNS1_25segmented_radix_sort_implINS0_14default_configELb1EPKsPsPKlPlN2at6native12_GLOBAL__N_18offset_tEEE10hipError_tPvRmT1_PNSt15iterator_traitsIS12_E10value_typeET2_T3_PNS13_IS18_E10value_typeET4_jRbjT5_S1E_jjP12ihipStream_tbEUljE_ZNSN_ISO_Lb1ESQ_SR_ST_SU_SY_EESZ_S10_S11_S12_S16_S17_S18_S1B_S1C_jS1D_jS1E_S1E_jjS1G_bEUljE0_EEESZ_S10_S11_S18_S1C_S1E_T6_T7_T9_mT8_S1G_bDpT10_ENKUlT_T0_E_clISt17integral_constantIbLb1EES1U_EEDaS1P_S1Q_EUlS1P_E_NS1_11comp_targetILNS1_3genE3ELNS1_11target_archE908ELNS1_3gpuE7ELNS1_3repE0EEENS1_30default_config_static_selectorELNS0_4arch9wavefront6targetE0EEEvS12_ ; -- Begin function _ZN7rocprim17ROCPRIM_400000_NS6detail17trampoline_kernelINS0_13select_configILj256ELj13ELNS0_17block_load_methodE3ELS4_3ELS4_3ELNS0_20block_scan_algorithmE0ELj4294967295EEENS1_25partition_config_selectorILNS1_17partition_subalgoE4EjNS0_10empty_typeEbEEZZNS1_14partition_implILS8_4ELb0ES6_15HIP_vector_typeIjLj2EENS0_17counting_iteratorIjlEEPS9_SG_NS0_5tupleIJPjSI_NS0_16reverse_iteratorISI_EEEEENSH_IJSG_SG_SG_EEES9_SI_JZNS1_25segmented_radix_sort_implINS0_14default_configELb1EPKsPsPKlPlN2at6native12_GLOBAL__N_18offset_tEEE10hipError_tPvRmT1_PNSt15iterator_traitsIS12_E10value_typeET2_T3_PNS13_IS18_E10value_typeET4_jRbjT5_S1E_jjP12ihipStream_tbEUljE_ZNSN_ISO_Lb1ESQ_SR_ST_SU_SY_EESZ_S10_S11_S12_S16_S17_S18_S1B_S1C_jS1D_jS1E_S1E_jjS1G_bEUljE0_EEESZ_S10_S11_S18_S1C_S1E_T6_T7_T9_mT8_S1G_bDpT10_ENKUlT_T0_E_clISt17integral_constantIbLb1EES1U_EEDaS1P_S1Q_EUlS1P_E_NS1_11comp_targetILNS1_3genE3ELNS1_11target_archE908ELNS1_3gpuE7ELNS1_3repE0EEENS1_30default_config_static_selectorELNS0_4arch9wavefront6targetE0EEEvS12_
	.p2align	8
	.type	_ZN7rocprim17ROCPRIM_400000_NS6detail17trampoline_kernelINS0_13select_configILj256ELj13ELNS0_17block_load_methodE3ELS4_3ELS4_3ELNS0_20block_scan_algorithmE0ELj4294967295EEENS1_25partition_config_selectorILNS1_17partition_subalgoE4EjNS0_10empty_typeEbEEZZNS1_14partition_implILS8_4ELb0ES6_15HIP_vector_typeIjLj2EENS0_17counting_iteratorIjlEEPS9_SG_NS0_5tupleIJPjSI_NS0_16reverse_iteratorISI_EEEEENSH_IJSG_SG_SG_EEES9_SI_JZNS1_25segmented_radix_sort_implINS0_14default_configELb1EPKsPsPKlPlN2at6native12_GLOBAL__N_18offset_tEEE10hipError_tPvRmT1_PNSt15iterator_traitsIS12_E10value_typeET2_T3_PNS13_IS18_E10value_typeET4_jRbjT5_S1E_jjP12ihipStream_tbEUljE_ZNSN_ISO_Lb1ESQ_SR_ST_SU_SY_EESZ_S10_S11_S12_S16_S17_S18_S1B_S1C_jS1D_jS1E_S1E_jjS1G_bEUljE0_EEESZ_S10_S11_S18_S1C_S1E_T6_T7_T9_mT8_S1G_bDpT10_ENKUlT_T0_E_clISt17integral_constantIbLb1EES1U_EEDaS1P_S1Q_EUlS1P_E_NS1_11comp_targetILNS1_3genE3ELNS1_11target_archE908ELNS1_3gpuE7ELNS1_3repE0EEENS1_30default_config_static_selectorELNS0_4arch9wavefront6targetE0EEEvS12_,@function
_ZN7rocprim17ROCPRIM_400000_NS6detail17trampoline_kernelINS0_13select_configILj256ELj13ELNS0_17block_load_methodE3ELS4_3ELS4_3ELNS0_20block_scan_algorithmE0ELj4294967295EEENS1_25partition_config_selectorILNS1_17partition_subalgoE4EjNS0_10empty_typeEbEEZZNS1_14partition_implILS8_4ELb0ES6_15HIP_vector_typeIjLj2EENS0_17counting_iteratorIjlEEPS9_SG_NS0_5tupleIJPjSI_NS0_16reverse_iteratorISI_EEEEENSH_IJSG_SG_SG_EEES9_SI_JZNS1_25segmented_radix_sort_implINS0_14default_configELb1EPKsPsPKlPlN2at6native12_GLOBAL__N_18offset_tEEE10hipError_tPvRmT1_PNSt15iterator_traitsIS12_E10value_typeET2_T3_PNS13_IS18_E10value_typeET4_jRbjT5_S1E_jjP12ihipStream_tbEUljE_ZNSN_ISO_Lb1ESQ_SR_ST_SU_SY_EESZ_S10_S11_S12_S16_S17_S18_S1B_S1C_jS1D_jS1E_S1E_jjS1G_bEUljE0_EEESZ_S10_S11_S18_S1C_S1E_T6_T7_T9_mT8_S1G_bDpT10_ENKUlT_T0_E_clISt17integral_constantIbLb1EES1U_EEDaS1P_S1Q_EUlS1P_E_NS1_11comp_targetILNS1_3genE3ELNS1_11target_archE908ELNS1_3gpuE7ELNS1_3repE0EEENS1_30default_config_static_selectorELNS0_4arch9wavefront6targetE0EEEvS12_: ; @_ZN7rocprim17ROCPRIM_400000_NS6detail17trampoline_kernelINS0_13select_configILj256ELj13ELNS0_17block_load_methodE3ELS4_3ELS4_3ELNS0_20block_scan_algorithmE0ELj4294967295EEENS1_25partition_config_selectorILNS1_17partition_subalgoE4EjNS0_10empty_typeEbEEZZNS1_14partition_implILS8_4ELb0ES6_15HIP_vector_typeIjLj2EENS0_17counting_iteratorIjlEEPS9_SG_NS0_5tupleIJPjSI_NS0_16reverse_iteratorISI_EEEEENSH_IJSG_SG_SG_EEES9_SI_JZNS1_25segmented_radix_sort_implINS0_14default_configELb1EPKsPsPKlPlN2at6native12_GLOBAL__N_18offset_tEEE10hipError_tPvRmT1_PNSt15iterator_traitsIS12_E10value_typeET2_T3_PNS13_IS18_E10value_typeET4_jRbjT5_S1E_jjP12ihipStream_tbEUljE_ZNSN_ISO_Lb1ESQ_SR_ST_SU_SY_EESZ_S10_S11_S12_S16_S17_S18_S1B_S1C_jS1D_jS1E_S1E_jjS1G_bEUljE0_EEESZ_S10_S11_S18_S1C_S1E_T6_T7_T9_mT8_S1G_bDpT10_ENKUlT_T0_E_clISt17integral_constantIbLb1EES1U_EEDaS1P_S1Q_EUlS1P_E_NS1_11comp_targetILNS1_3genE3ELNS1_11target_archE908ELNS1_3gpuE7ELNS1_3repE0EEENS1_30default_config_static_selectorELNS0_4arch9wavefront6targetE0EEEvS12_
; %bb.0:
	.section	.rodata,"a",@progbits
	.p2align	6, 0x0
	.amdhsa_kernel _ZN7rocprim17ROCPRIM_400000_NS6detail17trampoline_kernelINS0_13select_configILj256ELj13ELNS0_17block_load_methodE3ELS4_3ELS4_3ELNS0_20block_scan_algorithmE0ELj4294967295EEENS1_25partition_config_selectorILNS1_17partition_subalgoE4EjNS0_10empty_typeEbEEZZNS1_14partition_implILS8_4ELb0ES6_15HIP_vector_typeIjLj2EENS0_17counting_iteratorIjlEEPS9_SG_NS0_5tupleIJPjSI_NS0_16reverse_iteratorISI_EEEEENSH_IJSG_SG_SG_EEES9_SI_JZNS1_25segmented_radix_sort_implINS0_14default_configELb1EPKsPsPKlPlN2at6native12_GLOBAL__N_18offset_tEEE10hipError_tPvRmT1_PNSt15iterator_traitsIS12_E10value_typeET2_T3_PNS13_IS18_E10value_typeET4_jRbjT5_S1E_jjP12ihipStream_tbEUljE_ZNSN_ISO_Lb1ESQ_SR_ST_SU_SY_EESZ_S10_S11_S12_S16_S17_S18_S1B_S1C_jS1D_jS1E_S1E_jjS1G_bEUljE0_EEESZ_S10_S11_S18_S1C_S1E_T6_T7_T9_mT8_S1G_bDpT10_ENKUlT_T0_E_clISt17integral_constantIbLb1EES1U_EEDaS1P_S1Q_EUlS1P_E_NS1_11comp_targetILNS1_3genE3ELNS1_11target_archE908ELNS1_3gpuE7ELNS1_3repE0EEENS1_30default_config_static_selectorELNS0_4arch9wavefront6targetE0EEEvS12_
		.amdhsa_group_segment_fixed_size 0
		.amdhsa_private_segment_fixed_size 0
		.amdhsa_kernarg_size 184
		.amdhsa_user_sgpr_count 15
		.amdhsa_user_sgpr_dispatch_ptr 0
		.amdhsa_user_sgpr_queue_ptr 0
		.amdhsa_user_sgpr_kernarg_segment_ptr 1
		.amdhsa_user_sgpr_dispatch_id 0
		.amdhsa_user_sgpr_private_segment_size 0
		.amdhsa_wavefront_size32 1
		.amdhsa_uses_dynamic_stack 0
		.amdhsa_enable_private_segment 0
		.amdhsa_system_sgpr_workgroup_id_x 1
		.amdhsa_system_sgpr_workgroup_id_y 0
		.amdhsa_system_sgpr_workgroup_id_z 0
		.amdhsa_system_sgpr_workgroup_info 0
		.amdhsa_system_vgpr_workitem_id 0
		.amdhsa_next_free_vgpr 1
		.amdhsa_next_free_sgpr 1
		.amdhsa_reserve_vcc 0
		.amdhsa_float_round_mode_32 0
		.amdhsa_float_round_mode_16_64 0
		.amdhsa_float_denorm_mode_32 3
		.amdhsa_float_denorm_mode_16_64 3
		.amdhsa_dx10_clamp 1
		.amdhsa_ieee_mode 1
		.amdhsa_fp16_overflow 0
		.amdhsa_workgroup_processor_mode 1
		.amdhsa_memory_ordered 1
		.amdhsa_forward_progress 0
		.amdhsa_shared_vgpr_count 0
		.amdhsa_exception_fp_ieee_invalid_op 0
		.amdhsa_exception_fp_denorm_src 0
		.amdhsa_exception_fp_ieee_div_zero 0
		.amdhsa_exception_fp_ieee_overflow 0
		.amdhsa_exception_fp_ieee_underflow 0
		.amdhsa_exception_fp_ieee_inexact 0
		.amdhsa_exception_int_div_zero 0
	.end_amdhsa_kernel
	.section	.text._ZN7rocprim17ROCPRIM_400000_NS6detail17trampoline_kernelINS0_13select_configILj256ELj13ELNS0_17block_load_methodE3ELS4_3ELS4_3ELNS0_20block_scan_algorithmE0ELj4294967295EEENS1_25partition_config_selectorILNS1_17partition_subalgoE4EjNS0_10empty_typeEbEEZZNS1_14partition_implILS8_4ELb0ES6_15HIP_vector_typeIjLj2EENS0_17counting_iteratorIjlEEPS9_SG_NS0_5tupleIJPjSI_NS0_16reverse_iteratorISI_EEEEENSH_IJSG_SG_SG_EEES9_SI_JZNS1_25segmented_radix_sort_implINS0_14default_configELb1EPKsPsPKlPlN2at6native12_GLOBAL__N_18offset_tEEE10hipError_tPvRmT1_PNSt15iterator_traitsIS12_E10value_typeET2_T3_PNS13_IS18_E10value_typeET4_jRbjT5_S1E_jjP12ihipStream_tbEUljE_ZNSN_ISO_Lb1ESQ_SR_ST_SU_SY_EESZ_S10_S11_S12_S16_S17_S18_S1B_S1C_jS1D_jS1E_S1E_jjS1G_bEUljE0_EEESZ_S10_S11_S18_S1C_S1E_T6_T7_T9_mT8_S1G_bDpT10_ENKUlT_T0_E_clISt17integral_constantIbLb1EES1U_EEDaS1P_S1Q_EUlS1P_E_NS1_11comp_targetILNS1_3genE3ELNS1_11target_archE908ELNS1_3gpuE7ELNS1_3repE0EEENS1_30default_config_static_selectorELNS0_4arch9wavefront6targetE0EEEvS12_,"axG",@progbits,_ZN7rocprim17ROCPRIM_400000_NS6detail17trampoline_kernelINS0_13select_configILj256ELj13ELNS0_17block_load_methodE3ELS4_3ELS4_3ELNS0_20block_scan_algorithmE0ELj4294967295EEENS1_25partition_config_selectorILNS1_17partition_subalgoE4EjNS0_10empty_typeEbEEZZNS1_14partition_implILS8_4ELb0ES6_15HIP_vector_typeIjLj2EENS0_17counting_iteratorIjlEEPS9_SG_NS0_5tupleIJPjSI_NS0_16reverse_iteratorISI_EEEEENSH_IJSG_SG_SG_EEES9_SI_JZNS1_25segmented_radix_sort_implINS0_14default_configELb1EPKsPsPKlPlN2at6native12_GLOBAL__N_18offset_tEEE10hipError_tPvRmT1_PNSt15iterator_traitsIS12_E10value_typeET2_T3_PNS13_IS18_E10value_typeET4_jRbjT5_S1E_jjP12ihipStream_tbEUljE_ZNSN_ISO_Lb1ESQ_SR_ST_SU_SY_EESZ_S10_S11_S12_S16_S17_S18_S1B_S1C_jS1D_jS1E_S1E_jjS1G_bEUljE0_EEESZ_S10_S11_S18_S1C_S1E_T6_T7_T9_mT8_S1G_bDpT10_ENKUlT_T0_E_clISt17integral_constantIbLb1EES1U_EEDaS1P_S1Q_EUlS1P_E_NS1_11comp_targetILNS1_3genE3ELNS1_11target_archE908ELNS1_3gpuE7ELNS1_3repE0EEENS1_30default_config_static_selectorELNS0_4arch9wavefront6targetE0EEEvS12_,comdat
.Lfunc_end858:
	.size	_ZN7rocprim17ROCPRIM_400000_NS6detail17trampoline_kernelINS0_13select_configILj256ELj13ELNS0_17block_load_methodE3ELS4_3ELS4_3ELNS0_20block_scan_algorithmE0ELj4294967295EEENS1_25partition_config_selectorILNS1_17partition_subalgoE4EjNS0_10empty_typeEbEEZZNS1_14partition_implILS8_4ELb0ES6_15HIP_vector_typeIjLj2EENS0_17counting_iteratorIjlEEPS9_SG_NS0_5tupleIJPjSI_NS0_16reverse_iteratorISI_EEEEENSH_IJSG_SG_SG_EEES9_SI_JZNS1_25segmented_radix_sort_implINS0_14default_configELb1EPKsPsPKlPlN2at6native12_GLOBAL__N_18offset_tEEE10hipError_tPvRmT1_PNSt15iterator_traitsIS12_E10value_typeET2_T3_PNS13_IS18_E10value_typeET4_jRbjT5_S1E_jjP12ihipStream_tbEUljE_ZNSN_ISO_Lb1ESQ_SR_ST_SU_SY_EESZ_S10_S11_S12_S16_S17_S18_S1B_S1C_jS1D_jS1E_S1E_jjS1G_bEUljE0_EEESZ_S10_S11_S18_S1C_S1E_T6_T7_T9_mT8_S1G_bDpT10_ENKUlT_T0_E_clISt17integral_constantIbLb1EES1U_EEDaS1P_S1Q_EUlS1P_E_NS1_11comp_targetILNS1_3genE3ELNS1_11target_archE908ELNS1_3gpuE7ELNS1_3repE0EEENS1_30default_config_static_selectorELNS0_4arch9wavefront6targetE0EEEvS12_, .Lfunc_end858-_ZN7rocprim17ROCPRIM_400000_NS6detail17trampoline_kernelINS0_13select_configILj256ELj13ELNS0_17block_load_methodE3ELS4_3ELS4_3ELNS0_20block_scan_algorithmE0ELj4294967295EEENS1_25partition_config_selectorILNS1_17partition_subalgoE4EjNS0_10empty_typeEbEEZZNS1_14partition_implILS8_4ELb0ES6_15HIP_vector_typeIjLj2EENS0_17counting_iteratorIjlEEPS9_SG_NS0_5tupleIJPjSI_NS0_16reverse_iteratorISI_EEEEENSH_IJSG_SG_SG_EEES9_SI_JZNS1_25segmented_radix_sort_implINS0_14default_configELb1EPKsPsPKlPlN2at6native12_GLOBAL__N_18offset_tEEE10hipError_tPvRmT1_PNSt15iterator_traitsIS12_E10value_typeET2_T3_PNS13_IS18_E10value_typeET4_jRbjT5_S1E_jjP12ihipStream_tbEUljE_ZNSN_ISO_Lb1ESQ_SR_ST_SU_SY_EESZ_S10_S11_S12_S16_S17_S18_S1B_S1C_jS1D_jS1E_S1E_jjS1G_bEUljE0_EEESZ_S10_S11_S18_S1C_S1E_T6_T7_T9_mT8_S1G_bDpT10_ENKUlT_T0_E_clISt17integral_constantIbLb1EES1U_EEDaS1P_S1Q_EUlS1P_E_NS1_11comp_targetILNS1_3genE3ELNS1_11target_archE908ELNS1_3gpuE7ELNS1_3repE0EEENS1_30default_config_static_selectorELNS0_4arch9wavefront6targetE0EEEvS12_
                                        ; -- End function
	.section	.AMDGPU.csdata,"",@progbits
; Kernel info:
; codeLenInByte = 0
; NumSgprs: 0
; NumVgprs: 0
; ScratchSize: 0
; MemoryBound: 0
; FloatMode: 240
; IeeeMode: 1
; LDSByteSize: 0 bytes/workgroup (compile time only)
; SGPRBlocks: 0
; VGPRBlocks: 0
; NumSGPRsForWavesPerEU: 1
; NumVGPRsForWavesPerEU: 1
; Occupancy: 16
; WaveLimiterHint : 0
; COMPUTE_PGM_RSRC2:SCRATCH_EN: 0
; COMPUTE_PGM_RSRC2:USER_SGPR: 15
; COMPUTE_PGM_RSRC2:TRAP_HANDLER: 0
; COMPUTE_PGM_RSRC2:TGID_X_EN: 1
; COMPUTE_PGM_RSRC2:TGID_Y_EN: 0
; COMPUTE_PGM_RSRC2:TGID_Z_EN: 0
; COMPUTE_PGM_RSRC2:TIDIG_COMP_CNT: 0
	.section	.text._ZN7rocprim17ROCPRIM_400000_NS6detail17trampoline_kernelINS0_13select_configILj256ELj13ELNS0_17block_load_methodE3ELS4_3ELS4_3ELNS0_20block_scan_algorithmE0ELj4294967295EEENS1_25partition_config_selectorILNS1_17partition_subalgoE4EjNS0_10empty_typeEbEEZZNS1_14partition_implILS8_4ELb0ES6_15HIP_vector_typeIjLj2EENS0_17counting_iteratorIjlEEPS9_SG_NS0_5tupleIJPjSI_NS0_16reverse_iteratorISI_EEEEENSH_IJSG_SG_SG_EEES9_SI_JZNS1_25segmented_radix_sort_implINS0_14default_configELb1EPKsPsPKlPlN2at6native12_GLOBAL__N_18offset_tEEE10hipError_tPvRmT1_PNSt15iterator_traitsIS12_E10value_typeET2_T3_PNS13_IS18_E10value_typeET4_jRbjT5_S1E_jjP12ihipStream_tbEUljE_ZNSN_ISO_Lb1ESQ_SR_ST_SU_SY_EESZ_S10_S11_S12_S16_S17_S18_S1B_S1C_jS1D_jS1E_S1E_jjS1G_bEUljE0_EEESZ_S10_S11_S18_S1C_S1E_T6_T7_T9_mT8_S1G_bDpT10_ENKUlT_T0_E_clISt17integral_constantIbLb1EES1U_EEDaS1P_S1Q_EUlS1P_E_NS1_11comp_targetILNS1_3genE2ELNS1_11target_archE906ELNS1_3gpuE6ELNS1_3repE0EEENS1_30default_config_static_selectorELNS0_4arch9wavefront6targetE0EEEvS12_,"axG",@progbits,_ZN7rocprim17ROCPRIM_400000_NS6detail17trampoline_kernelINS0_13select_configILj256ELj13ELNS0_17block_load_methodE3ELS4_3ELS4_3ELNS0_20block_scan_algorithmE0ELj4294967295EEENS1_25partition_config_selectorILNS1_17partition_subalgoE4EjNS0_10empty_typeEbEEZZNS1_14partition_implILS8_4ELb0ES6_15HIP_vector_typeIjLj2EENS0_17counting_iteratorIjlEEPS9_SG_NS0_5tupleIJPjSI_NS0_16reverse_iteratorISI_EEEEENSH_IJSG_SG_SG_EEES9_SI_JZNS1_25segmented_radix_sort_implINS0_14default_configELb1EPKsPsPKlPlN2at6native12_GLOBAL__N_18offset_tEEE10hipError_tPvRmT1_PNSt15iterator_traitsIS12_E10value_typeET2_T3_PNS13_IS18_E10value_typeET4_jRbjT5_S1E_jjP12ihipStream_tbEUljE_ZNSN_ISO_Lb1ESQ_SR_ST_SU_SY_EESZ_S10_S11_S12_S16_S17_S18_S1B_S1C_jS1D_jS1E_S1E_jjS1G_bEUljE0_EEESZ_S10_S11_S18_S1C_S1E_T6_T7_T9_mT8_S1G_bDpT10_ENKUlT_T0_E_clISt17integral_constantIbLb1EES1U_EEDaS1P_S1Q_EUlS1P_E_NS1_11comp_targetILNS1_3genE2ELNS1_11target_archE906ELNS1_3gpuE6ELNS1_3repE0EEENS1_30default_config_static_selectorELNS0_4arch9wavefront6targetE0EEEvS12_,comdat
	.globl	_ZN7rocprim17ROCPRIM_400000_NS6detail17trampoline_kernelINS0_13select_configILj256ELj13ELNS0_17block_load_methodE3ELS4_3ELS4_3ELNS0_20block_scan_algorithmE0ELj4294967295EEENS1_25partition_config_selectorILNS1_17partition_subalgoE4EjNS0_10empty_typeEbEEZZNS1_14partition_implILS8_4ELb0ES6_15HIP_vector_typeIjLj2EENS0_17counting_iteratorIjlEEPS9_SG_NS0_5tupleIJPjSI_NS0_16reverse_iteratorISI_EEEEENSH_IJSG_SG_SG_EEES9_SI_JZNS1_25segmented_radix_sort_implINS0_14default_configELb1EPKsPsPKlPlN2at6native12_GLOBAL__N_18offset_tEEE10hipError_tPvRmT1_PNSt15iterator_traitsIS12_E10value_typeET2_T3_PNS13_IS18_E10value_typeET4_jRbjT5_S1E_jjP12ihipStream_tbEUljE_ZNSN_ISO_Lb1ESQ_SR_ST_SU_SY_EESZ_S10_S11_S12_S16_S17_S18_S1B_S1C_jS1D_jS1E_S1E_jjS1G_bEUljE0_EEESZ_S10_S11_S18_S1C_S1E_T6_T7_T9_mT8_S1G_bDpT10_ENKUlT_T0_E_clISt17integral_constantIbLb1EES1U_EEDaS1P_S1Q_EUlS1P_E_NS1_11comp_targetILNS1_3genE2ELNS1_11target_archE906ELNS1_3gpuE6ELNS1_3repE0EEENS1_30default_config_static_selectorELNS0_4arch9wavefront6targetE0EEEvS12_ ; -- Begin function _ZN7rocprim17ROCPRIM_400000_NS6detail17trampoline_kernelINS0_13select_configILj256ELj13ELNS0_17block_load_methodE3ELS4_3ELS4_3ELNS0_20block_scan_algorithmE0ELj4294967295EEENS1_25partition_config_selectorILNS1_17partition_subalgoE4EjNS0_10empty_typeEbEEZZNS1_14partition_implILS8_4ELb0ES6_15HIP_vector_typeIjLj2EENS0_17counting_iteratorIjlEEPS9_SG_NS0_5tupleIJPjSI_NS0_16reverse_iteratorISI_EEEEENSH_IJSG_SG_SG_EEES9_SI_JZNS1_25segmented_radix_sort_implINS0_14default_configELb1EPKsPsPKlPlN2at6native12_GLOBAL__N_18offset_tEEE10hipError_tPvRmT1_PNSt15iterator_traitsIS12_E10value_typeET2_T3_PNS13_IS18_E10value_typeET4_jRbjT5_S1E_jjP12ihipStream_tbEUljE_ZNSN_ISO_Lb1ESQ_SR_ST_SU_SY_EESZ_S10_S11_S12_S16_S17_S18_S1B_S1C_jS1D_jS1E_S1E_jjS1G_bEUljE0_EEESZ_S10_S11_S18_S1C_S1E_T6_T7_T9_mT8_S1G_bDpT10_ENKUlT_T0_E_clISt17integral_constantIbLb1EES1U_EEDaS1P_S1Q_EUlS1P_E_NS1_11comp_targetILNS1_3genE2ELNS1_11target_archE906ELNS1_3gpuE6ELNS1_3repE0EEENS1_30default_config_static_selectorELNS0_4arch9wavefront6targetE0EEEvS12_
	.p2align	8
	.type	_ZN7rocprim17ROCPRIM_400000_NS6detail17trampoline_kernelINS0_13select_configILj256ELj13ELNS0_17block_load_methodE3ELS4_3ELS4_3ELNS0_20block_scan_algorithmE0ELj4294967295EEENS1_25partition_config_selectorILNS1_17partition_subalgoE4EjNS0_10empty_typeEbEEZZNS1_14partition_implILS8_4ELb0ES6_15HIP_vector_typeIjLj2EENS0_17counting_iteratorIjlEEPS9_SG_NS0_5tupleIJPjSI_NS0_16reverse_iteratorISI_EEEEENSH_IJSG_SG_SG_EEES9_SI_JZNS1_25segmented_radix_sort_implINS0_14default_configELb1EPKsPsPKlPlN2at6native12_GLOBAL__N_18offset_tEEE10hipError_tPvRmT1_PNSt15iterator_traitsIS12_E10value_typeET2_T3_PNS13_IS18_E10value_typeET4_jRbjT5_S1E_jjP12ihipStream_tbEUljE_ZNSN_ISO_Lb1ESQ_SR_ST_SU_SY_EESZ_S10_S11_S12_S16_S17_S18_S1B_S1C_jS1D_jS1E_S1E_jjS1G_bEUljE0_EEESZ_S10_S11_S18_S1C_S1E_T6_T7_T9_mT8_S1G_bDpT10_ENKUlT_T0_E_clISt17integral_constantIbLb1EES1U_EEDaS1P_S1Q_EUlS1P_E_NS1_11comp_targetILNS1_3genE2ELNS1_11target_archE906ELNS1_3gpuE6ELNS1_3repE0EEENS1_30default_config_static_selectorELNS0_4arch9wavefront6targetE0EEEvS12_,@function
_ZN7rocprim17ROCPRIM_400000_NS6detail17trampoline_kernelINS0_13select_configILj256ELj13ELNS0_17block_load_methodE3ELS4_3ELS4_3ELNS0_20block_scan_algorithmE0ELj4294967295EEENS1_25partition_config_selectorILNS1_17partition_subalgoE4EjNS0_10empty_typeEbEEZZNS1_14partition_implILS8_4ELb0ES6_15HIP_vector_typeIjLj2EENS0_17counting_iteratorIjlEEPS9_SG_NS0_5tupleIJPjSI_NS0_16reverse_iteratorISI_EEEEENSH_IJSG_SG_SG_EEES9_SI_JZNS1_25segmented_radix_sort_implINS0_14default_configELb1EPKsPsPKlPlN2at6native12_GLOBAL__N_18offset_tEEE10hipError_tPvRmT1_PNSt15iterator_traitsIS12_E10value_typeET2_T3_PNS13_IS18_E10value_typeET4_jRbjT5_S1E_jjP12ihipStream_tbEUljE_ZNSN_ISO_Lb1ESQ_SR_ST_SU_SY_EESZ_S10_S11_S12_S16_S17_S18_S1B_S1C_jS1D_jS1E_S1E_jjS1G_bEUljE0_EEESZ_S10_S11_S18_S1C_S1E_T6_T7_T9_mT8_S1G_bDpT10_ENKUlT_T0_E_clISt17integral_constantIbLb1EES1U_EEDaS1P_S1Q_EUlS1P_E_NS1_11comp_targetILNS1_3genE2ELNS1_11target_archE906ELNS1_3gpuE6ELNS1_3repE0EEENS1_30default_config_static_selectorELNS0_4arch9wavefront6targetE0EEEvS12_: ; @_ZN7rocprim17ROCPRIM_400000_NS6detail17trampoline_kernelINS0_13select_configILj256ELj13ELNS0_17block_load_methodE3ELS4_3ELS4_3ELNS0_20block_scan_algorithmE0ELj4294967295EEENS1_25partition_config_selectorILNS1_17partition_subalgoE4EjNS0_10empty_typeEbEEZZNS1_14partition_implILS8_4ELb0ES6_15HIP_vector_typeIjLj2EENS0_17counting_iteratorIjlEEPS9_SG_NS0_5tupleIJPjSI_NS0_16reverse_iteratorISI_EEEEENSH_IJSG_SG_SG_EEES9_SI_JZNS1_25segmented_radix_sort_implINS0_14default_configELb1EPKsPsPKlPlN2at6native12_GLOBAL__N_18offset_tEEE10hipError_tPvRmT1_PNSt15iterator_traitsIS12_E10value_typeET2_T3_PNS13_IS18_E10value_typeET4_jRbjT5_S1E_jjP12ihipStream_tbEUljE_ZNSN_ISO_Lb1ESQ_SR_ST_SU_SY_EESZ_S10_S11_S12_S16_S17_S18_S1B_S1C_jS1D_jS1E_S1E_jjS1G_bEUljE0_EEESZ_S10_S11_S18_S1C_S1E_T6_T7_T9_mT8_S1G_bDpT10_ENKUlT_T0_E_clISt17integral_constantIbLb1EES1U_EEDaS1P_S1Q_EUlS1P_E_NS1_11comp_targetILNS1_3genE2ELNS1_11target_archE906ELNS1_3gpuE6ELNS1_3repE0EEENS1_30default_config_static_selectorELNS0_4arch9wavefront6targetE0EEEvS12_
; %bb.0:
	.section	.rodata,"a",@progbits
	.p2align	6, 0x0
	.amdhsa_kernel _ZN7rocprim17ROCPRIM_400000_NS6detail17trampoline_kernelINS0_13select_configILj256ELj13ELNS0_17block_load_methodE3ELS4_3ELS4_3ELNS0_20block_scan_algorithmE0ELj4294967295EEENS1_25partition_config_selectorILNS1_17partition_subalgoE4EjNS0_10empty_typeEbEEZZNS1_14partition_implILS8_4ELb0ES6_15HIP_vector_typeIjLj2EENS0_17counting_iteratorIjlEEPS9_SG_NS0_5tupleIJPjSI_NS0_16reverse_iteratorISI_EEEEENSH_IJSG_SG_SG_EEES9_SI_JZNS1_25segmented_radix_sort_implINS0_14default_configELb1EPKsPsPKlPlN2at6native12_GLOBAL__N_18offset_tEEE10hipError_tPvRmT1_PNSt15iterator_traitsIS12_E10value_typeET2_T3_PNS13_IS18_E10value_typeET4_jRbjT5_S1E_jjP12ihipStream_tbEUljE_ZNSN_ISO_Lb1ESQ_SR_ST_SU_SY_EESZ_S10_S11_S12_S16_S17_S18_S1B_S1C_jS1D_jS1E_S1E_jjS1G_bEUljE0_EEESZ_S10_S11_S18_S1C_S1E_T6_T7_T9_mT8_S1G_bDpT10_ENKUlT_T0_E_clISt17integral_constantIbLb1EES1U_EEDaS1P_S1Q_EUlS1P_E_NS1_11comp_targetILNS1_3genE2ELNS1_11target_archE906ELNS1_3gpuE6ELNS1_3repE0EEENS1_30default_config_static_selectorELNS0_4arch9wavefront6targetE0EEEvS12_
		.amdhsa_group_segment_fixed_size 0
		.amdhsa_private_segment_fixed_size 0
		.amdhsa_kernarg_size 184
		.amdhsa_user_sgpr_count 15
		.amdhsa_user_sgpr_dispatch_ptr 0
		.amdhsa_user_sgpr_queue_ptr 0
		.amdhsa_user_sgpr_kernarg_segment_ptr 1
		.amdhsa_user_sgpr_dispatch_id 0
		.amdhsa_user_sgpr_private_segment_size 0
		.amdhsa_wavefront_size32 1
		.amdhsa_uses_dynamic_stack 0
		.amdhsa_enable_private_segment 0
		.amdhsa_system_sgpr_workgroup_id_x 1
		.amdhsa_system_sgpr_workgroup_id_y 0
		.amdhsa_system_sgpr_workgroup_id_z 0
		.amdhsa_system_sgpr_workgroup_info 0
		.amdhsa_system_vgpr_workitem_id 0
		.amdhsa_next_free_vgpr 1
		.amdhsa_next_free_sgpr 1
		.amdhsa_reserve_vcc 0
		.amdhsa_float_round_mode_32 0
		.amdhsa_float_round_mode_16_64 0
		.amdhsa_float_denorm_mode_32 3
		.amdhsa_float_denorm_mode_16_64 3
		.amdhsa_dx10_clamp 1
		.amdhsa_ieee_mode 1
		.amdhsa_fp16_overflow 0
		.amdhsa_workgroup_processor_mode 1
		.amdhsa_memory_ordered 1
		.amdhsa_forward_progress 0
		.amdhsa_shared_vgpr_count 0
		.amdhsa_exception_fp_ieee_invalid_op 0
		.amdhsa_exception_fp_denorm_src 0
		.amdhsa_exception_fp_ieee_div_zero 0
		.amdhsa_exception_fp_ieee_overflow 0
		.amdhsa_exception_fp_ieee_underflow 0
		.amdhsa_exception_fp_ieee_inexact 0
		.amdhsa_exception_int_div_zero 0
	.end_amdhsa_kernel
	.section	.text._ZN7rocprim17ROCPRIM_400000_NS6detail17trampoline_kernelINS0_13select_configILj256ELj13ELNS0_17block_load_methodE3ELS4_3ELS4_3ELNS0_20block_scan_algorithmE0ELj4294967295EEENS1_25partition_config_selectorILNS1_17partition_subalgoE4EjNS0_10empty_typeEbEEZZNS1_14partition_implILS8_4ELb0ES6_15HIP_vector_typeIjLj2EENS0_17counting_iteratorIjlEEPS9_SG_NS0_5tupleIJPjSI_NS0_16reverse_iteratorISI_EEEEENSH_IJSG_SG_SG_EEES9_SI_JZNS1_25segmented_radix_sort_implINS0_14default_configELb1EPKsPsPKlPlN2at6native12_GLOBAL__N_18offset_tEEE10hipError_tPvRmT1_PNSt15iterator_traitsIS12_E10value_typeET2_T3_PNS13_IS18_E10value_typeET4_jRbjT5_S1E_jjP12ihipStream_tbEUljE_ZNSN_ISO_Lb1ESQ_SR_ST_SU_SY_EESZ_S10_S11_S12_S16_S17_S18_S1B_S1C_jS1D_jS1E_S1E_jjS1G_bEUljE0_EEESZ_S10_S11_S18_S1C_S1E_T6_T7_T9_mT8_S1G_bDpT10_ENKUlT_T0_E_clISt17integral_constantIbLb1EES1U_EEDaS1P_S1Q_EUlS1P_E_NS1_11comp_targetILNS1_3genE2ELNS1_11target_archE906ELNS1_3gpuE6ELNS1_3repE0EEENS1_30default_config_static_selectorELNS0_4arch9wavefront6targetE0EEEvS12_,"axG",@progbits,_ZN7rocprim17ROCPRIM_400000_NS6detail17trampoline_kernelINS0_13select_configILj256ELj13ELNS0_17block_load_methodE3ELS4_3ELS4_3ELNS0_20block_scan_algorithmE0ELj4294967295EEENS1_25partition_config_selectorILNS1_17partition_subalgoE4EjNS0_10empty_typeEbEEZZNS1_14partition_implILS8_4ELb0ES6_15HIP_vector_typeIjLj2EENS0_17counting_iteratorIjlEEPS9_SG_NS0_5tupleIJPjSI_NS0_16reverse_iteratorISI_EEEEENSH_IJSG_SG_SG_EEES9_SI_JZNS1_25segmented_radix_sort_implINS0_14default_configELb1EPKsPsPKlPlN2at6native12_GLOBAL__N_18offset_tEEE10hipError_tPvRmT1_PNSt15iterator_traitsIS12_E10value_typeET2_T3_PNS13_IS18_E10value_typeET4_jRbjT5_S1E_jjP12ihipStream_tbEUljE_ZNSN_ISO_Lb1ESQ_SR_ST_SU_SY_EESZ_S10_S11_S12_S16_S17_S18_S1B_S1C_jS1D_jS1E_S1E_jjS1G_bEUljE0_EEESZ_S10_S11_S18_S1C_S1E_T6_T7_T9_mT8_S1G_bDpT10_ENKUlT_T0_E_clISt17integral_constantIbLb1EES1U_EEDaS1P_S1Q_EUlS1P_E_NS1_11comp_targetILNS1_3genE2ELNS1_11target_archE906ELNS1_3gpuE6ELNS1_3repE0EEENS1_30default_config_static_selectorELNS0_4arch9wavefront6targetE0EEEvS12_,comdat
.Lfunc_end859:
	.size	_ZN7rocprim17ROCPRIM_400000_NS6detail17trampoline_kernelINS0_13select_configILj256ELj13ELNS0_17block_load_methodE3ELS4_3ELS4_3ELNS0_20block_scan_algorithmE0ELj4294967295EEENS1_25partition_config_selectorILNS1_17partition_subalgoE4EjNS0_10empty_typeEbEEZZNS1_14partition_implILS8_4ELb0ES6_15HIP_vector_typeIjLj2EENS0_17counting_iteratorIjlEEPS9_SG_NS0_5tupleIJPjSI_NS0_16reverse_iteratorISI_EEEEENSH_IJSG_SG_SG_EEES9_SI_JZNS1_25segmented_radix_sort_implINS0_14default_configELb1EPKsPsPKlPlN2at6native12_GLOBAL__N_18offset_tEEE10hipError_tPvRmT1_PNSt15iterator_traitsIS12_E10value_typeET2_T3_PNS13_IS18_E10value_typeET4_jRbjT5_S1E_jjP12ihipStream_tbEUljE_ZNSN_ISO_Lb1ESQ_SR_ST_SU_SY_EESZ_S10_S11_S12_S16_S17_S18_S1B_S1C_jS1D_jS1E_S1E_jjS1G_bEUljE0_EEESZ_S10_S11_S18_S1C_S1E_T6_T7_T9_mT8_S1G_bDpT10_ENKUlT_T0_E_clISt17integral_constantIbLb1EES1U_EEDaS1P_S1Q_EUlS1P_E_NS1_11comp_targetILNS1_3genE2ELNS1_11target_archE906ELNS1_3gpuE6ELNS1_3repE0EEENS1_30default_config_static_selectorELNS0_4arch9wavefront6targetE0EEEvS12_, .Lfunc_end859-_ZN7rocprim17ROCPRIM_400000_NS6detail17trampoline_kernelINS0_13select_configILj256ELj13ELNS0_17block_load_methodE3ELS4_3ELS4_3ELNS0_20block_scan_algorithmE0ELj4294967295EEENS1_25partition_config_selectorILNS1_17partition_subalgoE4EjNS0_10empty_typeEbEEZZNS1_14partition_implILS8_4ELb0ES6_15HIP_vector_typeIjLj2EENS0_17counting_iteratorIjlEEPS9_SG_NS0_5tupleIJPjSI_NS0_16reverse_iteratorISI_EEEEENSH_IJSG_SG_SG_EEES9_SI_JZNS1_25segmented_radix_sort_implINS0_14default_configELb1EPKsPsPKlPlN2at6native12_GLOBAL__N_18offset_tEEE10hipError_tPvRmT1_PNSt15iterator_traitsIS12_E10value_typeET2_T3_PNS13_IS18_E10value_typeET4_jRbjT5_S1E_jjP12ihipStream_tbEUljE_ZNSN_ISO_Lb1ESQ_SR_ST_SU_SY_EESZ_S10_S11_S12_S16_S17_S18_S1B_S1C_jS1D_jS1E_S1E_jjS1G_bEUljE0_EEESZ_S10_S11_S18_S1C_S1E_T6_T7_T9_mT8_S1G_bDpT10_ENKUlT_T0_E_clISt17integral_constantIbLb1EES1U_EEDaS1P_S1Q_EUlS1P_E_NS1_11comp_targetILNS1_3genE2ELNS1_11target_archE906ELNS1_3gpuE6ELNS1_3repE0EEENS1_30default_config_static_selectorELNS0_4arch9wavefront6targetE0EEEvS12_
                                        ; -- End function
	.section	.AMDGPU.csdata,"",@progbits
; Kernel info:
; codeLenInByte = 0
; NumSgprs: 0
; NumVgprs: 0
; ScratchSize: 0
; MemoryBound: 0
; FloatMode: 240
; IeeeMode: 1
; LDSByteSize: 0 bytes/workgroup (compile time only)
; SGPRBlocks: 0
; VGPRBlocks: 0
; NumSGPRsForWavesPerEU: 1
; NumVGPRsForWavesPerEU: 1
; Occupancy: 16
; WaveLimiterHint : 0
; COMPUTE_PGM_RSRC2:SCRATCH_EN: 0
; COMPUTE_PGM_RSRC2:USER_SGPR: 15
; COMPUTE_PGM_RSRC2:TRAP_HANDLER: 0
; COMPUTE_PGM_RSRC2:TGID_X_EN: 1
; COMPUTE_PGM_RSRC2:TGID_Y_EN: 0
; COMPUTE_PGM_RSRC2:TGID_Z_EN: 0
; COMPUTE_PGM_RSRC2:TIDIG_COMP_CNT: 0
	.section	.text._ZN7rocprim17ROCPRIM_400000_NS6detail17trampoline_kernelINS0_13select_configILj256ELj13ELNS0_17block_load_methodE3ELS4_3ELS4_3ELNS0_20block_scan_algorithmE0ELj4294967295EEENS1_25partition_config_selectorILNS1_17partition_subalgoE4EjNS0_10empty_typeEbEEZZNS1_14partition_implILS8_4ELb0ES6_15HIP_vector_typeIjLj2EENS0_17counting_iteratorIjlEEPS9_SG_NS0_5tupleIJPjSI_NS0_16reverse_iteratorISI_EEEEENSH_IJSG_SG_SG_EEES9_SI_JZNS1_25segmented_radix_sort_implINS0_14default_configELb1EPKsPsPKlPlN2at6native12_GLOBAL__N_18offset_tEEE10hipError_tPvRmT1_PNSt15iterator_traitsIS12_E10value_typeET2_T3_PNS13_IS18_E10value_typeET4_jRbjT5_S1E_jjP12ihipStream_tbEUljE_ZNSN_ISO_Lb1ESQ_SR_ST_SU_SY_EESZ_S10_S11_S12_S16_S17_S18_S1B_S1C_jS1D_jS1E_S1E_jjS1G_bEUljE0_EEESZ_S10_S11_S18_S1C_S1E_T6_T7_T9_mT8_S1G_bDpT10_ENKUlT_T0_E_clISt17integral_constantIbLb1EES1U_EEDaS1P_S1Q_EUlS1P_E_NS1_11comp_targetILNS1_3genE10ELNS1_11target_archE1200ELNS1_3gpuE4ELNS1_3repE0EEENS1_30default_config_static_selectorELNS0_4arch9wavefront6targetE0EEEvS12_,"axG",@progbits,_ZN7rocprim17ROCPRIM_400000_NS6detail17trampoline_kernelINS0_13select_configILj256ELj13ELNS0_17block_load_methodE3ELS4_3ELS4_3ELNS0_20block_scan_algorithmE0ELj4294967295EEENS1_25partition_config_selectorILNS1_17partition_subalgoE4EjNS0_10empty_typeEbEEZZNS1_14partition_implILS8_4ELb0ES6_15HIP_vector_typeIjLj2EENS0_17counting_iteratorIjlEEPS9_SG_NS0_5tupleIJPjSI_NS0_16reverse_iteratorISI_EEEEENSH_IJSG_SG_SG_EEES9_SI_JZNS1_25segmented_radix_sort_implINS0_14default_configELb1EPKsPsPKlPlN2at6native12_GLOBAL__N_18offset_tEEE10hipError_tPvRmT1_PNSt15iterator_traitsIS12_E10value_typeET2_T3_PNS13_IS18_E10value_typeET4_jRbjT5_S1E_jjP12ihipStream_tbEUljE_ZNSN_ISO_Lb1ESQ_SR_ST_SU_SY_EESZ_S10_S11_S12_S16_S17_S18_S1B_S1C_jS1D_jS1E_S1E_jjS1G_bEUljE0_EEESZ_S10_S11_S18_S1C_S1E_T6_T7_T9_mT8_S1G_bDpT10_ENKUlT_T0_E_clISt17integral_constantIbLb1EES1U_EEDaS1P_S1Q_EUlS1P_E_NS1_11comp_targetILNS1_3genE10ELNS1_11target_archE1200ELNS1_3gpuE4ELNS1_3repE0EEENS1_30default_config_static_selectorELNS0_4arch9wavefront6targetE0EEEvS12_,comdat
	.globl	_ZN7rocprim17ROCPRIM_400000_NS6detail17trampoline_kernelINS0_13select_configILj256ELj13ELNS0_17block_load_methodE3ELS4_3ELS4_3ELNS0_20block_scan_algorithmE0ELj4294967295EEENS1_25partition_config_selectorILNS1_17partition_subalgoE4EjNS0_10empty_typeEbEEZZNS1_14partition_implILS8_4ELb0ES6_15HIP_vector_typeIjLj2EENS0_17counting_iteratorIjlEEPS9_SG_NS0_5tupleIJPjSI_NS0_16reverse_iteratorISI_EEEEENSH_IJSG_SG_SG_EEES9_SI_JZNS1_25segmented_radix_sort_implINS0_14default_configELb1EPKsPsPKlPlN2at6native12_GLOBAL__N_18offset_tEEE10hipError_tPvRmT1_PNSt15iterator_traitsIS12_E10value_typeET2_T3_PNS13_IS18_E10value_typeET4_jRbjT5_S1E_jjP12ihipStream_tbEUljE_ZNSN_ISO_Lb1ESQ_SR_ST_SU_SY_EESZ_S10_S11_S12_S16_S17_S18_S1B_S1C_jS1D_jS1E_S1E_jjS1G_bEUljE0_EEESZ_S10_S11_S18_S1C_S1E_T6_T7_T9_mT8_S1G_bDpT10_ENKUlT_T0_E_clISt17integral_constantIbLb1EES1U_EEDaS1P_S1Q_EUlS1P_E_NS1_11comp_targetILNS1_3genE10ELNS1_11target_archE1200ELNS1_3gpuE4ELNS1_3repE0EEENS1_30default_config_static_selectorELNS0_4arch9wavefront6targetE0EEEvS12_ ; -- Begin function _ZN7rocprim17ROCPRIM_400000_NS6detail17trampoline_kernelINS0_13select_configILj256ELj13ELNS0_17block_load_methodE3ELS4_3ELS4_3ELNS0_20block_scan_algorithmE0ELj4294967295EEENS1_25partition_config_selectorILNS1_17partition_subalgoE4EjNS0_10empty_typeEbEEZZNS1_14partition_implILS8_4ELb0ES6_15HIP_vector_typeIjLj2EENS0_17counting_iteratorIjlEEPS9_SG_NS0_5tupleIJPjSI_NS0_16reverse_iteratorISI_EEEEENSH_IJSG_SG_SG_EEES9_SI_JZNS1_25segmented_radix_sort_implINS0_14default_configELb1EPKsPsPKlPlN2at6native12_GLOBAL__N_18offset_tEEE10hipError_tPvRmT1_PNSt15iterator_traitsIS12_E10value_typeET2_T3_PNS13_IS18_E10value_typeET4_jRbjT5_S1E_jjP12ihipStream_tbEUljE_ZNSN_ISO_Lb1ESQ_SR_ST_SU_SY_EESZ_S10_S11_S12_S16_S17_S18_S1B_S1C_jS1D_jS1E_S1E_jjS1G_bEUljE0_EEESZ_S10_S11_S18_S1C_S1E_T6_T7_T9_mT8_S1G_bDpT10_ENKUlT_T0_E_clISt17integral_constantIbLb1EES1U_EEDaS1P_S1Q_EUlS1P_E_NS1_11comp_targetILNS1_3genE10ELNS1_11target_archE1200ELNS1_3gpuE4ELNS1_3repE0EEENS1_30default_config_static_selectorELNS0_4arch9wavefront6targetE0EEEvS12_
	.p2align	8
	.type	_ZN7rocprim17ROCPRIM_400000_NS6detail17trampoline_kernelINS0_13select_configILj256ELj13ELNS0_17block_load_methodE3ELS4_3ELS4_3ELNS0_20block_scan_algorithmE0ELj4294967295EEENS1_25partition_config_selectorILNS1_17partition_subalgoE4EjNS0_10empty_typeEbEEZZNS1_14partition_implILS8_4ELb0ES6_15HIP_vector_typeIjLj2EENS0_17counting_iteratorIjlEEPS9_SG_NS0_5tupleIJPjSI_NS0_16reverse_iteratorISI_EEEEENSH_IJSG_SG_SG_EEES9_SI_JZNS1_25segmented_radix_sort_implINS0_14default_configELb1EPKsPsPKlPlN2at6native12_GLOBAL__N_18offset_tEEE10hipError_tPvRmT1_PNSt15iterator_traitsIS12_E10value_typeET2_T3_PNS13_IS18_E10value_typeET4_jRbjT5_S1E_jjP12ihipStream_tbEUljE_ZNSN_ISO_Lb1ESQ_SR_ST_SU_SY_EESZ_S10_S11_S12_S16_S17_S18_S1B_S1C_jS1D_jS1E_S1E_jjS1G_bEUljE0_EEESZ_S10_S11_S18_S1C_S1E_T6_T7_T9_mT8_S1G_bDpT10_ENKUlT_T0_E_clISt17integral_constantIbLb1EES1U_EEDaS1P_S1Q_EUlS1P_E_NS1_11comp_targetILNS1_3genE10ELNS1_11target_archE1200ELNS1_3gpuE4ELNS1_3repE0EEENS1_30default_config_static_selectorELNS0_4arch9wavefront6targetE0EEEvS12_,@function
_ZN7rocprim17ROCPRIM_400000_NS6detail17trampoline_kernelINS0_13select_configILj256ELj13ELNS0_17block_load_methodE3ELS4_3ELS4_3ELNS0_20block_scan_algorithmE0ELj4294967295EEENS1_25partition_config_selectorILNS1_17partition_subalgoE4EjNS0_10empty_typeEbEEZZNS1_14partition_implILS8_4ELb0ES6_15HIP_vector_typeIjLj2EENS0_17counting_iteratorIjlEEPS9_SG_NS0_5tupleIJPjSI_NS0_16reverse_iteratorISI_EEEEENSH_IJSG_SG_SG_EEES9_SI_JZNS1_25segmented_radix_sort_implINS0_14default_configELb1EPKsPsPKlPlN2at6native12_GLOBAL__N_18offset_tEEE10hipError_tPvRmT1_PNSt15iterator_traitsIS12_E10value_typeET2_T3_PNS13_IS18_E10value_typeET4_jRbjT5_S1E_jjP12ihipStream_tbEUljE_ZNSN_ISO_Lb1ESQ_SR_ST_SU_SY_EESZ_S10_S11_S12_S16_S17_S18_S1B_S1C_jS1D_jS1E_S1E_jjS1G_bEUljE0_EEESZ_S10_S11_S18_S1C_S1E_T6_T7_T9_mT8_S1G_bDpT10_ENKUlT_T0_E_clISt17integral_constantIbLb1EES1U_EEDaS1P_S1Q_EUlS1P_E_NS1_11comp_targetILNS1_3genE10ELNS1_11target_archE1200ELNS1_3gpuE4ELNS1_3repE0EEENS1_30default_config_static_selectorELNS0_4arch9wavefront6targetE0EEEvS12_: ; @_ZN7rocprim17ROCPRIM_400000_NS6detail17trampoline_kernelINS0_13select_configILj256ELj13ELNS0_17block_load_methodE3ELS4_3ELS4_3ELNS0_20block_scan_algorithmE0ELj4294967295EEENS1_25partition_config_selectorILNS1_17partition_subalgoE4EjNS0_10empty_typeEbEEZZNS1_14partition_implILS8_4ELb0ES6_15HIP_vector_typeIjLj2EENS0_17counting_iteratorIjlEEPS9_SG_NS0_5tupleIJPjSI_NS0_16reverse_iteratorISI_EEEEENSH_IJSG_SG_SG_EEES9_SI_JZNS1_25segmented_radix_sort_implINS0_14default_configELb1EPKsPsPKlPlN2at6native12_GLOBAL__N_18offset_tEEE10hipError_tPvRmT1_PNSt15iterator_traitsIS12_E10value_typeET2_T3_PNS13_IS18_E10value_typeET4_jRbjT5_S1E_jjP12ihipStream_tbEUljE_ZNSN_ISO_Lb1ESQ_SR_ST_SU_SY_EESZ_S10_S11_S12_S16_S17_S18_S1B_S1C_jS1D_jS1E_S1E_jjS1G_bEUljE0_EEESZ_S10_S11_S18_S1C_S1E_T6_T7_T9_mT8_S1G_bDpT10_ENKUlT_T0_E_clISt17integral_constantIbLb1EES1U_EEDaS1P_S1Q_EUlS1P_E_NS1_11comp_targetILNS1_3genE10ELNS1_11target_archE1200ELNS1_3gpuE4ELNS1_3repE0EEENS1_30default_config_static_selectorELNS0_4arch9wavefront6targetE0EEEvS12_
; %bb.0:
	.section	.rodata,"a",@progbits
	.p2align	6, 0x0
	.amdhsa_kernel _ZN7rocprim17ROCPRIM_400000_NS6detail17trampoline_kernelINS0_13select_configILj256ELj13ELNS0_17block_load_methodE3ELS4_3ELS4_3ELNS0_20block_scan_algorithmE0ELj4294967295EEENS1_25partition_config_selectorILNS1_17partition_subalgoE4EjNS0_10empty_typeEbEEZZNS1_14partition_implILS8_4ELb0ES6_15HIP_vector_typeIjLj2EENS0_17counting_iteratorIjlEEPS9_SG_NS0_5tupleIJPjSI_NS0_16reverse_iteratorISI_EEEEENSH_IJSG_SG_SG_EEES9_SI_JZNS1_25segmented_radix_sort_implINS0_14default_configELb1EPKsPsPKlPlN2at6native12_GLOBAL__N_18offset_tEEE10hipError_tPvRmT1_PNSt15iterator_traitsIS12_E10value_typeET2_T3_PNS13_IS18_E10value_typeET4_jRbjT5_S1E_jjP12ihipStream_tbEUljE_ZNSN_ISO_Lb1ESQ_SR_ST_SU_SY_EESZ_S10_S11_S12_S16_S17_S18_S1B_S1C_jS1D_jS1E_S1E_jjS1G_bEUljE0_EEESZ_S10_S11_S18_S1C_S1E_T6_T7_T9_mT8_S1G_bDpT10_ENKUlT_T0_E_clISt17integral_constantIbLb1EES1U_EEDaS1P_S1Q_EUlS1P_E_NS1_11comp_targetILNS1_3genE10ELNS1_11target_archE1200ELNS1_3gpuE4ELNS1_3repE0EEENS1_30default_config_static_selectorELNS0_4arch9wavefront6targetE0EEEvS12_
		.amdhsa_group_segment_fixed_size 0
		.amdhsa_private_segment_fixed_size 0
		.amdhsa_kernarg_size 184
		.amdhsa_user_sgpr_count 15
		.amdhsa_user_sgpr_dispatch_ptr 0
		.amdhsa_user_sgpr_queue_ptr 0
		.amdhsa_user_sgpr_kernarg_segment_ptr 1
		.amdhsa_user_sgpr_dispatch_id 0
		.amdhsa_user_sgpr_private_segment_size 0
		.amdhsa_wavefront_size32 1
		.amdhsa_uses_dynamic_stack 0
		.amdhsa_enable_private_segment 0
		.amdhsa_system_sgpr_workgroup_id_x 1
		.amdhsa_system_sgpr_workgroup_id_y 0
		.amdhsa_system_sgpr_workgroup_id_z 0
		.amdhsa_system_sgpr_workgroup_info 0
		.amdhsa_system_vgpr_workitem_id 0
		.amdhsa_next_free_vgpr 1
		.amdhsa_next_free_sgpr 1
		.amdhsa_reserve_vcc 0
		.amdhsa_float_round_mode_32 0
		.amdhsa_float_round_mode_16_64 0
		.amdhsa_float_denorm_mode_32 3
		.amdhsa_float_denorm_mode_16_64 3
		.amdhsa_dx10_clamp 1
		.amdhsa_ieee_mode 1
		.amdhsa_fp16_overflow 0
		.amdhsa_workgroup_processor_mode 1
		.amdhsa_memory_ordered 1
		.amdhsa_forward_progress 0
		.amdhsa_shared_vgpr_count 0
		.amdhsa_exception_fp_ieee_invalid_op 0
		.amdhsa_exception_fp_denorm_src 0
		.amdhsa_exception_fp_ieee_div_zero 0
		.amdhsa_exception_fp_ieee_overflow 0
		.amdhsa_exception_fp_ieee_underflow 0
		.amdhsa_exception_fp_ieee_inexact 0
		.amdhsa_exception_int_div_zero 0
	.end_amdhsa_kernel
	.section	.text._ZN7rocprim17ROCPRIM_400000_NS6detail17trampoline_kernelINS0_13select_configILj256ELj13ELNS0_17block_load_methodE3ELS4_3ELS4_3ELNS0_20block_scan_algorithmE0ELj4294967295EEENS1_25partition_config_selectorILNS1_17partition_subalgoE4EjNS0_10empty_typeEbEEZZNS1_14partition_implILS8_4ELb0ES6_15HIP_vector_typeIjLj2EENS0_17counting_iteratorIjlEEPS9_SG_NS0_5tupleIJPjSI_NS0_16reverse_iteratorISI_EEEEENSH_IJSG_SG_SG_EEES9_SI_JZNS1_25segmented_radix_sort_implINS0_14default_configELb1EPKsPsPKlPlN2at6native12_GLOBAL__N_18offset_tEEE10hipError_tPvRmT1_PNSt15iterator_traitsIS12_E10value_typeET2_T3_PNS13_IS18_E10value_typeET4_jRbjT5_S1E_jjP12ihipStream_tbEUljE_ZNSN_ISO_Lb1ESQ_SR_ST_SU_SY_EESZ_S10_S11_S12_S16_S17_S18_S1B_S1C_jS1D_jS1E_S1E_jjS1G_bEUljE0_EEESZ_S10_S11_S18_S1C_S1E_T6_T7_T9_mT8_S1G_bDpT10_ENKUlT_T0_E_clISt17integral_constantIbLb1EES1U_EEDaS1P_S1Q_EUlS1P_E_NS1_11comp_targetILNS1_3genE10ELNS1_11target_archE1200ELNS1_3gpuE4ELNS1_3repE0EEENS1_30default_config_static_selectorELNS0_4arch9wavefront6targetE0EEEvS12_,"axG",@progbits,_ZN7rocprim17ROCPRIM_400000_NS6detail17trampoline_kernelINS0_13select_configILj256ELj13ELNS0_17block_load_methodE3ELS4_3ELS4_3ELNS0_20block_scan_algorithmE0ELj4294967295EEENS1_25partition_config_selectorILNS1_17partition_subalgoE4EjNS0_10empty_typeEbEEZZNS1_14partition_implILS8_4ELb0ES6_15HIP_vector_typeIjLj2EENS0_17counting_iteratorIjlEEPS9_SG_NS0_5tupleIJPjSI_NS0_16reverse_iteratorISI_EEEEENSH_IJSG_SG_SG_EEES9_SI_JZNS1_25segmented_radix_sort_implINS0_14default_configELb1EPKsPsPKlPlN2at6native12_GLOBAL__N_18offset_tEEE10hipError_tPvRmT1_PNSt15iterator_traitsIS12_E10value_typeET2_T3_PNS13_IS18_E10value_typeET4_jRbjT5_S1E_jjP12ihipStream_tbEUljE_ZNSN_ISO_Lb1ESQ_SR_ST_SU_SY_EESZ_S10_S11_S12_S16_S17_S18_S1B_S1C_jS1D_jS1E_S1E_jjS1G_bEUljE0_EEESZ_S10_S11_S18_S1C_S1E_T6_T7_T9_mT8_S1G_bDpT10_ENKUlT_T0_E_clISt17integral_constantIbLb1EES1U_EEDaS1P_S1Q_EUlS1P_E_NS1_11comp_targetILNS1_3genE10ELNS1_11target_archE1200ELNS1_3gpuE4ELNS1_3repE0EEENS1_30default_config_static_selectorELNS0_4arch9wavefront6targetE0EEEvS12_,comdat
.Lfunc_end860:
	.size	_ZN7rocprim17ROCPRIM_400000_NS6detail17trampoline_kernelINS0_13select_configILj256ELj13ELNS0_17block_load_methodE3ELS4_3ELS4_3ELNS0_20block_scan_algorithmE0ELj4294967295EEENS1_25partition_config_selectorILNS1_17partition_subalgoE4EjNS0_10empty_typeEbEEZZNS1_14partition_implILS8_4ELb0ES6_15HIP_vector_typeIjLj2EENS0_17counting_iteratorIjlEEPS9_SG_NS0_5tupleIJPjSI_NS0_16reverse_iteratorISI_EEEEENSH_IJSG_SG_SG_EEES9_SI_JZNS1_25segmented_radix_sort_implINS0_14default_configELb1EPKsPsPKlPlN2at6native12_GLOBAL__N_18offset_tEEE10hipError_tPvRmT1_PNSt15iterator_traitsIS12_E10value_typeET2_T3_PNS13_IS18_E10value_typeET4_jRbjT5_S1E_jjP12ihipStream_tbEUljE_ZNSN_ISO_Lb1ESQ_SR_ST_SU_SY_EESZ_S10_S11_S12_S16_S17_S18_S1B_S1C_jS1D_jS1E_S1E_jjS1G_bEUljE0_EEESZ_S10_S11_S18_S1C_S1E_T6_T7_T9_mT8_S1G_bDpT10_ENKUlT_T0_E_clISt17integral_constantIbLb1EES1U_EEDaS1P_S1Q_EUlS1P_E_NS1_11comp_targetILNS1_3genE10ELNS1_11target_archE1200ELNS1_3gpuE4ELNS1_3repE0EEENS1_30default_config_static_selectorELNS0_4arch9wavefront6targetE0EEEvS12_, .Lfunc_end860-_ZN7rocprim17ROCPRIM_400000_NS6detail17trampoline_kernelINS0_13select_configILj256ELj13ELNS0_17block_load_methodE3ELS4_3ELS4_3ELNS0_20block_scan_algorithmE0ELj4294967295EEENS1_25partition_config_selectorILNS1_17partition_subalgoE4EjNS0_10empty_typeEbEEZZNS1_14partition_implILS8_4ELb0ES6_15HIP_vector_typeIjLj2EENS0_17counting_iteratorIjlEEPS9_SG_NS0_5tupleIJPjSI_NS0_16reverse_iteratorISI_EEEEENSH_IJSG_SG_SG_EEES9_SI_JZNS1_25segmented_radix_sort_implINS0_14default_configELb1EPKsPsPKlPlN2at6native12_GLOBAL__N_18offset_tEEE10hipError_tPvRmT1_PNSt15iterator_traitsIS12_E10value_typeET2_T3_PNS13_IS18_E10value_typeET4_jRbjT5_S1E_jjP12ihipStream_tbEUljE_ZNSN_ISO_Lb1ESQ_SR_ST_SU_SY_EESZ_S10_S11_S12_S16_S17_S18_S1B_S1C_jS1D_jS1E_S1E_jjS1G_bEUljE0_EEESZ_S10_S11_S18_S1C_S1E_T6_T7_T9_mT8_S1G_bDpT10_ENKUlT_T0_E_clISt17integral_constantIbLb1EES1U_EEDaS1P_S1Q_EUlS1P_E_NS1_11comp_targetILNS1_3genE10ELNS1_11target_archE1200ELNS1_3gpuE4ELNS1_3repE0EEENS1_30default_config_static_selectorELNS0_4arch9wavefront6targetE0EEEvS12_
                                        ; -- End function
	.section	.AMDGPU.csdata,"",@progbits
; Kernel info:
; codeLenInByte = 0
; NumSgprs: 0
; NumVgprs: 0
; ScratchSize: 0
; MemoryBound: 0
; FloatMode: 240
; IeeeMode: 1
; LDSByteSize: 0 bytes/workgroup (compile time only)
; SGPRBlocks: 0
; VGPRBlocks: 0
; NumSGPRsForWavesPerEU: 1
; NumVGPRsForWavesPerEU: 1
; Occupancy: 16
; WaveLimiterHint : 0
; COMPUTE_PGM_RSRC2:SCRATCH_EN: 0
; COMPUTE_PGM_RSRC2:USER_SGPR: 15
; COMPUTE_PGM_RSRC2:TRAP_HANDLER: 0
; COMPUTE_PGM_RSRC2:TGID_X_EN: 1
; COMPUTE_PGM_RSRC2:TGID_Y_EN: 0
; COMPUTE_PGM_RSRC2:TGID_Z_EN: 0
; COMPUTE_PGM_RSRC2:TIDIG_COMP_CNT: 0
	.section	.text._ZN7rocprim17ROCPRIM_400000_NS6detail17trampoline_kernelINS0_13select_configILj256ELj13ELNS0_17block_load_methodE3ELS4_3ELS4_3ELNS0_20block_scan_algorithmE0ELj4294967295EEENS1_25partition_config_selectorILNS1_17partition_subalgoE4EjNS0_10empty_typeEbEEZZNS1_14partition_implILS8_4ELb0ES6_15HIP_vector_typeIjLj2EENS0_17counting_iteratorIjlEEPS9_SG_NS0_5tupleIJPjSI_NS0_16reverse_iteratorISI_EEEEENSH_IJSG_SG_SG_EEES9_SI_JZNS1_25segmented_radix_sort_implINS0_14default_configELb1EPKsPsPKlPlN2at6native12_GLOBAL__N_18offset_tEEE10hipError_tPvRmT1_PNSt15iterator_traitsIS12_E10value_typeET2_T3_PNS13_IS18_E10value_typeET4_jRbjT5_S1E_jjP12ihipStream_tbEUljE_ZNSN_ISO_Lb1ESQ_SR_ST_SU_SY_EESZ_S10_S11_S12_S16_S17_S18_S1B_S1C_jS1D_jS1E_S1E_jjS1G_bEUljE0_EEESZ_S10_S11_S18_S1C_S1E_T6_T7_T9_mT8_S1G_bDpT10_ENKUlT_T0_E_clISt17integral_constantIbLb1EES1U_EEDaS1P_S1Q_EUlS1P_E_NS1_11comp_targetILNS1_3genE9ELNS1_11target_archE1100ELNS1_3gpuE3ELNS1_3repE0EEENS1_30default_config_static_selectorELNS0_4arch9wavefront6targetE0EEEvS12_,"axG",@progbits,_ZN7rocprim17ROCPRIM_400000_NS6detail17trampoline_kernelINS0_13select_configILj256ELj13ELNS0_17block_load_methodE3ELS4_3ELS4_3ELNS0_20block_scan_algorithmE0ELj4294967295EEENS1_25partition_config_selectorILNS1_17partition_subalgoE4EjNS0_10empty_typeEbEEZZNS1_14partition_implILS8_4ELb0ES6_15HIP_vector_typeIjLj2EENS0_17counting_iteratorIjlEEPS9_SG_NS0_5tupleIJPjSI_NS0_16reverse_iteratorISI_EEEEENSH_IJSG_SG_SG_EEES9_SI_JZNS1_25segmented_radix_sort_implINS0_14default_configELb1EPKsPsPKlPlN2at6native12_GLOBAL__N_18offset_tEEE10hipError_tPvRmT1_PNSt15iterator_traitsIS12_E10value_typeET2_T3_PNS13_IS18_E10value_typeET4_jRbjT5_S1E_jjP12ihipStream_tbEUljE_ZNSN_ISO_Lb1ESQ_SR_ST_SU_SY_EESZ_S10_S11_S12_S16_S17_S18_S1B_S1C_jS1D_jS1E_S1E_jjS1G_bEUljE0_EEESZ_S10_S11_S18_S1C_S1E_T6_T7_T9_mT8_S1G_bDpT10_ENKUlT_T0_E_clISt17integral_constantIbLb1EES1U_EEDaS1P_S1Q_EUlS1P_E_NS1_11comp_targetILNS1_3genE9ELNS1_11target_archE1100ELNS1_3gpuE3ELNS1_3repE0EEENS1_30default_config_static_selectorELNS0_4arch9wavefront6targetE0EEEvS12_,comdat
	.globl	_ZN7rocprim17ROCPRIM_400000_NS6detail17trampoline_kernelINS0_13select_configILj256ELj13ELNS0_17block_load_methodE3ELS4_3ELS4_3ELNS0_20block_scan_algorithmE0ELj4294967295EEENS1_25partition_config_selectorILNS1_17partition_subalgoE4EjNS0_10empty_typeEbEEZZNS1_14partition_implILS8_4ELb0ES6_15HIP_vector_typeIjLj2EENS0_17counting_iteratorIjlEEPS9_SG_NS0_5tupleIJPjSI_NS0_16reverse_iteratorISI_EEEEENSH_IJSG_SG_SG_EEES9_SI_JZNS1_25segmented_radix_sort_implINS0_14default_configELb1EPKsPsPKlPlN2at6native12_GLOBAL__N_18offset_tEEE10hipError_tPvRmT1_PNSt15iterator_traitsIS12_E10value_typeET2_T3_PNS13_IS18_E10value_typeET4_jRbjT5_S1E_jjP12ihipStream_tbEUljE_ZNSN_ISO_Lb1ESQ_SR_ST_SU_SY_EESZ_S10_S11_S12_S16_S17_S18_S1B_S1C_jS1D_jS1E_S1E_jjS1G_bEUljE0_EEESZ_S10_S11_S18_S1C_S1E_T6_T7_T9_mT8_S1G_bDpT10_ENKUlT_T0_E_clISt17integral_constantIbLb1EES1U_EEDaS1P_S1Q_EUlS1P_E_NS1_11comp_targetILNS1_3genE9ELNS1_11target_archE1100ELNS1_3gpuE3ELNS1_3repE0EEENS1_30default_config_static_selectorELNS0_4arch9wavefront6targetE0EEEvS12_ ; -- Begin function _ZN7rocprim17ROCPRIM_400000_NS6detail17trampoline_kernelINS0_13select_configILj256ELj13ELNS0_17block_load_methodE3ELS4_3ELS4_3ELNS0_20block_scan_algorithmE0ELj4294967295EEENS1_25partition_config_selectorILNS1_17partition_subalgoE4EjNS0_10empty_typeEbEEZZNS1_14partition_implILS8_4ELb0ES6_15HIP_vector_typeIjLj2EENS0_17counting_iteratorIjlEEPS9_SG_NS0_5tupleIJPjSI_NS0_16reverse_iteratorISI_EEEEENSH_IJSG_SG_SG_EEES9_SI_JZNS1_25segmented_radix_sort_implINS0_14default_configELb1EPKsPsPKlPlN2at6native12_GLOBAL__N_18offset_tEEE10hipError_tPvRmT1_PNSt15iterator_traitsIS12_E10value_typeET2_T3_PNS13_IS18_E10value_typeET4_jRbjT5_S1E_jjP12ihipStream_tbEUljE_ZNSN_ISO_Lb1ESQ_SR_ST_SU_SY_EESZ_S10_S11_S12_S16_S17_S18_S1B_S1C_jS1D_jS1E_S1E_jjS1G_bEUljE0_EEESZ_S10_S11_S18_S1C_S1E_T6_T7_T9_mT8_S1G_bDpT10_ENKUlT_T0_E_clISt17integral_constantIbLb1EES1U_EEDaS1P_S1Q_EUlS1P_E_NS1_11comp_targetILNS1_3genE9ELNS1_11target_archE1100ELNS1_3gpuE3ELNS1_3repE0EEENS1_30default_config_static_selectorELNS0_4arch9wavefront6targetE0EEEvS12_
	.p2align	8
	.type	_ZN7rocprim17ROCPRIM_400000_NS6detail17trampoline_kernelINS0_13select_configILj256ELj13ELNS0_17block_load_methodE3ELS4_3ELS4_3ELNS0_20block_scan_algorithmE0ELj4294967295EEENS1_25partition_config_selectorILNS1_17partition_subalgoE4EjNS0_10empty_typeEbEEZZNS1_14partition_implILS8_4ELb0ES6_15HIP_vector_typeIjLj2EENS0_17counting_iteratorIjlEEPS9_SG_NS0_5tupleIJPjSI_NS0_16reverse_iteratorISI_EEEEENSH_IJSG_SG_SG_EEES9_SI_JZNS1_25segmented_radix_sort_implINS0_14default_configELb1EPKsPsPKlPlN2at6native12_GLOBAL__N_18offset_tEEE10hipError_tPvRmT1_PNSt15iterator_traitsIS12_E10value_typeET2_T3_PNS13_IS18_E10value_typeET4_jRbjT5_S1E_jjP12ihipStream_tbEUljE_ZNSN_ISO_Lb1ESQ_SR_ST_SU_SY_EESZ_S10_S11_S12_S16_S17_S18_S1B_S1C_jS1D_jS1E_S1E_jjS1G_bEUljE0_EEESZ_S10_S11_S18_S1C_S1E_T6_T7_T9_mT8_S1G_bDpT10_ENKUlT_T0_E_clISt17integral_constantIbLb1EES1U_EEDaS1P_S1Q_EUlS1P_E_NS1_11comp_targetILNS1_3genE9ELNS1_11target_archE1100ELNS1_3gpuE3ELNS1_3repE0EEENS1_30default_config_static_selectorELNS0_4arch9wavefront6targetE0EEEvS12_,@function
_ZN7rocprim17ROCPRIM_400000_NS6detail17trampoline_kernelINS0_13select_configILj256ELj13ELNS0_17block_load_methodE3ELS4_3ELS4_3ELNS0_20block_scan_algorithmE0ELj4294967295EEENS1_25partition_config_selectorILNS1_17partition_subalgoE4EjNS0_10empty_typeEbEEZZNS1_14partition_implILS8_4ELb0ES6_15HIP_vector_typeIjLj2EENS0_17counting_iteratorIjlEEPS9_SG_NS0_5tupleIJPjSI_NS0_16reverse_iteratorISI_EEEEENSH_IJSG_SG_SG_EEES9_SI_JZNS1_25segmented_radix_sort_implINS0_14default_configELb1EPKsPsPKlPlN2at6native12_GLOBAL__N_18offset_tEEE10hipError_tPvRmT1_PNSt15iterator_traitsIS12_E10value_typeET2_T3_PNS13_IS18_E10value_typeET4_jRbjT5_S1E_jjP12ihipStream_tbEUljE_ZNSN_ISO_Lb1ESQ_SR_ST_SU_SY_EESZ_S10_S11_S12_S16_S17_S18_S1B_S1C_jS1D_jS1E_S1E_jjS1G_bEUljE0_EEESZ_S10_S11_S18_S1C_S1E_T6_T7_T9_mT8_S1G_bDpT10_ENKUlT_T0_E_clISt17integral_constantIbLb1EES1U_EEDaS1P_S1Q_EUlS1P_E_NS1_11comp_targetILNS1_3genE9ELNS1_11target_archE1100ELNS1_3gpuE3ELNS1_3repE0EEENS1_30default_config_static_selectorELNS0_4arch9wavefront6targetE0EEEvS12_: ; @_ZN7rocprim17ROCPRIM_400000_NS6detail17trampoline_kernelINS0_13select_configILj256ELj13ELNS0_17block_load_methodE3ELS4_3ELS4_3ELNS0_20block_scan_algorithmE0ELj4294967295EEENS1_25partition_config_selectorILNS1_17partition_subalgoE4EjNS0_10empty_typeEbEEZZNS1_14partition_implILS8_4ELb0ES6_15HIP_vector_typeIjLj2EENS0_17counting_iteratorIjlEEPS9_SG_NS0_5tupleIJPjSI_NS0_16reverse_iteratorISI_EEEEENSH_IJSG_SG_SG_EEES9_SI_JZNS1_25segmented_radix_sort_implINS0_14default_configELb1EPKsPsPKlPlN2at6native12_GLOBAL__N_18offset_tEEE10hipError_tPvRmT1_PNSt15iterator_traitsIS12_E10value_typeET2_T3_PNS13_IS18_E10value_typeET4_jRbjT5_S1E_jjP12ihipStream_tbEUljE_ZNSN_ISO_Lb1ESQ_SR_ST_SU_SY_EESZ_S10_S11_S12_S16_S17_S18_S1B_S1C_jS1D_jS1E_S1E_jjS1G_bEUljE0_EEESZ_S10_S11_S18_S1C_S1E_T6_T7_T9_mT8_S1G_bDpT10_ENKUlT_T0_E_clISt17integral_constantIbLb1EES1U_EEDaS1P_S1Q_EUlS1P_E_NS1_11comp_targetILNS1_3genE9ELNS1_11target_archE1100ELNS1_3gpuE3ELNS1_3repE0EEENS1_30default_config_static_selectorELNS0_4arch9wavefront6targetE0EEEvS12_
; %bb.0:
	s_clause 0x7
	s_load_b64 s[34:35], s[0:1], 0x10
	s_load_b128 s[28:31], s[0:1], 0x28
	s_load_b64 s[14:15], s[0:1], 0x38
	s_load_b128 s[24:27], s[0:1], 0x58
	s_load_b64 s[4:5], s[0:1], 0x68
	s_load_b64 s[36:37], s[0:1], 0x78
	;; [unrolled: 1-line block ×3, first 2 shown]
	s_load_b256 s[16:23], s[0:1], 0x90
	v_cmp_eq_u32_e64 s2, 0, v0
	s_delay_alu instid0(VALU_DEP_1)
	s_and_saveexec_b32 s3, s2
	s_cbranch_execz .LBB861_4
; %bb.1:
	s_mov_b32 s7, exec_lo
	s_mov_b32 s6, exec_lo
	v_mbcnt_lo_u32_b32 v1, s7, 0
                                        ; implicit-def: $vgpr2
	s_delay_alu instid0(VALU_DEP_1)
	v_cmpx_eq_u32_e32 0, v1
	s_cbranch_execz .LBB861_3
; %bb.2:
	s_load_b64 s[8:9], s[0:1], 0x88
	s_bcnt1_i32_b32 s7, s7
	s_delay_alu instid0(SALU_CYCLE_1)
	v_dual_mov_b32 v2, 0 :: v_dual_mov_b32 v3, s7
	s_waitcnt lgkmcnt(0)
	global_atomic_add_u32 v2, v2, v3, s[8:9] glc
.LBB861_3:
	s_or_b32 exec_lo, exec_lo, s6
	s_waitcnt vmcnt(0)
	v_readfirstlane_b32 s6, v2
	s_delay_alu instid0(VALU_DEP_1)
	v_dual_mov_b32 v2, 0 :: v_dual_add_nc_u32 v1, s6, v1
	ds_store_b32 v2, v1
.LBB861_4:
	s_or_b32 exec_lo, exec_lo, s3
	v_mov_b32_e32 v1, 0
	s_clause 0x1
	s_load_b32 s3, s[0:1], 0x8
	s_load_b32 s0, s[0:1], 0x80
	s_waitcnt lgkmcnt(0)
	s_barrier
	buffer_gl0_inv
	ds_load_b32 v5, v1
	s_waitcnt lgkmcnt(0)
	s_barrier
	buffer_gl0_inv
	global_load_b128 v[1:4], v1, s[26:27]
	s_add_i32 s3, s3, s34
	s_mul_i32 s1, s0, 0xd00
	s_add_i32 s0, s0, -1
	s_add_u32 s6, s34, s1
	s_addc_u32 s7, s35, 0
	v_mul_lo_u32 v30, 0xd00, v5
	v_readfirstlane_b32 s26, v5
	v_cmp_lt_u64_e64 s5, s[6:7], s[4:5]
	v_cmp_ne_u32_e32 vcc_lo, s0, v5
	s_delay_alu instid0(VALU_DEP_3) | instskip(SKIP_1) | instid1(VALU_DEP_4)
	s_cmp_eq_u32 s26, s0
	s_cselect_b32 s13, -1, 0
	v_add3_u32 v5, v30, s3, v0
	s_delay_alu instid0(VALU_DEP_3) | instskip(SKIP_2) | instid1(VALU_DEP_1)
	s_or_b32 s0, s5, vcc_lo
	s_mov_b32 s3, -1
	s_and_b32 vcc_lo, exec_lo, s0
	v_add_nc_u32_e32 v6, 0x100, v5
	v_add_nc_u32_e32 v7, 0x200, v5
	;; [unrolled: 1-line block ×12, first 2 shown]
	s_cbranch_vccz .LBB861_6
; %bb.5:
	v_lshlrev_b32_e32 v18, 2, v0
	s_mov_b32 s3, 0
	ds_store_2addr_stride64_b32 v18, v5, v6 offset1:4
	ds_store_2addr_stride64_b32 v18, v7, v8 offset0:8 offset1:12
	ds_store_2addr_stride64_b32 v18, v9, v10 offset0:16 offset1:20
	;; [unrolled: 1-line block ×5, first 2 shown]
	ds_store_b32 v18, v17 offset:12288
	s_waitcnt vmcnt(0) lgkmcnt(0)
	s_barrier
.LBB861_6:
	s_and_not1_b32 vcc_lo, exec_lo, s3
	s_add_i32 s1, s1, s34
	s_cbranch_vccnz .LBB861_8
; %bb.7:
	v_lshlrev_b32_e32 v18, 2, v0
	ds_store_2addr_stride64_b32 v18, v5, v6 offset1:4
	ds_store_2addr_stride64_b32 v18, v7, v8 offset0:8 offset1:12
	ds_store_2addr_stride64_b32 v18, v9, v10 offset0:16 offset1:20
	;; [unrolled: 1-line block ×5, first 2 shown]
	ds_store_b32 v18, v17 offset:12288
	s_waitcnt vmcnt(0) lgkmcnt(0)
	s_barrier
.LBB861_8:
	v_mul_u32_u24_e32 v33, 13, v0
	s_waitcnt vmcnt(0)
	buffer_gl0_inv
	v_cndmask_b32_e64 v31, 0, 1, s0
	s_sub_i32 s40, s4, s1
	s_and_not1_b32 vcc_lo, exec_lo, s0
	v_lshlrev_b32_e32 v5, 2, v33
	ds_load_2addr_b32 v[20:21], v5 offset1:1
	ds_load_2addr_b32 v[18:19], v5 offset0:2 offset1:3
	ds_load_2addr_b32 v[16:17], v5 offset0:4 offset1:5
	ds_load_2addr_b32 v[14:15], v5 offset0:6 offset1:7
	ds_load_2addr_b32 v[12:13], v5 offset0:8 offset1:9
	ds_load_2addr_b32 v[10:11], v5 offset0:10 offset1:11
	ds_load_b32 v32, v5 offset:48
	s_waitcnt lgkmcnt(0)
	s_barrier
	buffer_gl0_inv
	s_cbranch_vccnz .LBB861_36
; %bb.9:
	v_add_nc_u32_e32 v5, s17, v20
	v_add_nc_u32_e32 v6, s19, v20
	s_mov_b32 s42, 0
	s_mov_b32 s41, 0
	s_mov_b32 s1, exec_lo
	v_mul_lo_u32 v5, v5, s16
	v_mul_lo_u32 v6, v6, s18
	s_delay_alu instid0(VALU_DEP_1) | instskip(NEXT) | instid1(VALU_DEP_1)
	v_sub_nc_u32_e32 v5, v5, v6
	v_cmp_lt_u32_e32 vcc_lo, s20, v5
	v_cmpx_ge_u32_e64 s20, v5
; %bb.10:
	v_add_nc_u32_e32 v5, s22, v20
	v_add_nc_u32_e32 v6, s38, v20
	s_delay_alu instid0(VALU_DEP_2) | instskip(NEXT) | instid1(VALU_DEP_2)
	v_mul_lo_u32 v5, v5, s21
	v_mul_lo_u32 v6, v6, s23
	s_delay_alu instid0(VALU_DEP_1) | instskip(NEXT) | instid1(VALU_DEP_1)
	v_sub_nc_u32_e32 v5, v5, v6
	v_cmp_lt_u32_e64 s0, s39, v5
	s_delay_alu instid0(VALU_DEP_1)
	s_and_b32 s41, s0, exec_lo
; %bb.11:
	s_or_b32 exec_lo, exec_lo, s1
	v_add_nc_u32_e32 v5, s17, v21
	v_add_nc_u32_e32 v6, s19, v21
	s_mov_b32 s3, exec_lo
	s_delay_alu instid0(VALU_DEP_2) | instskip(NEXT) | instid1(VALU_DEP_2)
	v_mul_lo_u32 v5, v5, s16
	v_mul_lo_u32 v6, v6, s18
	s_delay_alu instid0(VALU_DEP_1) | instskip(NEXT) | instid1(VALU_DEP_1)
	v_sub_nc_u32_e32 v5, v5, v6
	v_cmp_lt_u32_e64 s0, s20, v5
	v_cmpx_ge_u32_e64 s20, v5
; %bb.12:
	v_add_nc_u32_e32 v5, s22, v21
	v_add_nc_u32_e32 v6, s38, v21
	s_delay_alu instid0(VALU_DEP_2) | instskip(NEXT) | instid1(VALU_DEP_2)
	v_mul_lo_u32 v5, v5, s21
	v_mul_lo_u32 v6, v6, s23
	s_delay_alu instid0(VALU_DEP_1) | instskip(NEXT) | instid1(VALU_DEP_1)
	v_sub_nc_u32_e32 v5, v5, v6
	v_cmp_lt_u32_e64 s1, s39, v5
	s_delay_alu instid0(VALU_DEP_1)
	s_and_b32 s42, s1, exec_lo
; %bb.13:
	s_or_b32 exec_lo, exec_lo, s3
	v_add_nc_u32_e32 v5, s17, v18
	v_add_nc_u32_e32 v6, s19, v18
	s_mov_b32 s44, 0
	s_mov_b32 s43, 0
	s_mov_b32 s4, exec_lo
	v_mul_lo_u32 v5, v5, s16
	v_mul_lo_u32 v6, v6, s18
	s_delay_alu instid0(VALU_DEP_1) | instskip(NEXT) | instid1(VALU_DEP_1)
	v_sub_nc_u32_e32 v5, v5, v6
	v_cmp_lt_u32_e64 s1, s20, v5
	v_cmpx_ge_u32_e64 s20, v5
; %bb.14:
	v_add_nc_u32_e32 v5, s22, v18
	v_add_nc_u32_e32 v6, s38, v18
	s_delay_alu instid0(VALU_DEP_2) | instskip(NEXT) | instid1(VALU_DEP_2)
	v_mul_lo_u32 v5, v5, s21
	v_mul_lo_u32 v6, v6, s23
	s_delay_alu instid0(VALU_DEP_1) | instskip(NEXT) | instid1(VALU_DEP_1)
	v_sub_nc_u32_e32 v5, v5, v6
	v_cmp_lt_u32_e64 s3, s39, v5
	s_delay_alu instid0(VALU_DEP_1)
	s_and_b32 s43, s3, exec_lo
; %bb.15:
	s_or_b32 exec_lo, exec_lo, s4
	v_add_nc_u32_e32 v5, s17, v19
	v_add_nc_u32_e32 v6, s19, v19
	s_mov_b32 s5, exec_lo
	s_delay_alu instid0(VALU_DEP_2) | instskip(NEXT) | instid1(VALU_DEP_2)
	v_mul_lo_u32 v5, v5, s16
	v_mul_lo_u32 v6, v6, s18
	s_delay_alu instid0(VALU_DEP_1) | instskip(NEXT) | instid1(VALU_DEP_1)
	v_sub_nc_u32_e32 v5, v5, v6
	v_cmp_lt_u32_e64 s3, s20, v5
	v_cmpx_ge_u32_e64 s20, v5
; %bb.16:
	v_add_nc_u32_e32 v5, s22, v19
	v_add_nc_u32_e32 v6, s38, v19
	s_delay_alu instid0(VALU_DEP_2) | instskip(NEXT) | instid1(VALU_DEP_2)
	v_mul_lo_u32 v5, v5, s21
	v_mul_lo_u32 v6, v6, s23
	s_delay_alu instid0(VALU_DEP_1) | instskip(NEXT) | instid1(VALU_DEP_1)
	v_sub_nc_u32_e32 v5, v5, v6
	v_cmp_lt_u32_e64 s4, s39, v5
	s_delay_alu instid0(VALU_DEP_1)
	s_and_b32 s44, s4, exec_lo
; %bb.17:
	s_or_b32 exec_lo, exec_lo, s5
	v_add_nc_u32_e32 v5, s17, v16
	v_add_nc_u32_e32 v6, s19, v16
	s_mov_b32 s46, 0
	s_mov_b32 s45, 0
	s_mov_b32 s6, exec_lo
	v_mul_lo_u32 v5, v5, s16
	v_mul_lo_u32 v6, v6, s18
	s_delay_alu instid0(VALU_DEP_1) | instskip(NEXT) | instid1(VALU_DEP_1)
	v_sub_nc_u32_e32 v5, v5, v6
	v_cmp_lt_u32_e64 s4, s20, v5
	v_cmpx_ge_u32_e64 s20, v5
; %bb.18:
	v_add_nc_u32_e32 v5, s22, v16
	v_add_nc_u32_e32 v6, s38, v16
	s_delay_alu instid0(VALU_DEP_2) | instskip(NEXT) | instid1(VALU_DEP_2)
	v_mul_lo_u32 v5, v5, s21
	v_mul_lo_u32 v6, v6, s23
	s_delay_alu instid0(VALU_DEP_1) | instskip(NEXT) | instid1(VALU_DEP_1)
	v_sub_nc_u32_e32 v5, v5, v6
	v_cmp_lt_u32_e64 s5, s39, v5
	s_delay_alu instid0(VALU_DEP_1)
	s_and_b32 s45, s5, exec_lo
; %bb.19:
	s_or_b32 exec_lo, exec_lo, s6
	v_add_nc_u32_e32 v5, s17, v17
	v_add_nc_u32_e32 v6, s19, v17
	s_mov_b32 s7, exec_lo
	s_delay_alu instid0(VALU_DEP_2) | instskip(NEXT) | instid1(VALU_DEP_2)
	v_mul_lo_u32 v5, v5, s16
	v_mul_lo_u32 v6, v6, s18
	s_delay_alu instid0(VALU_DEP_1) | instskip(NEXT) | instid1(VALU_DEP_1)
	v_sub_nc_u32_e32 v5, v5, v6
	v_cmp_lt_u32_e64 s5, s20, v5
	v_cmpx_ge_u32_e64 s20, v5
; %bb.20:
	v_add_nc_u32_e32 v5, s22, v17
	v_add_nc_u32_e32 v6, s38, v17
	s_delay_alu instid0(VALU_DEP_2) | instskip(NEXT) | instid1(VALU_DEP_2)
	v_mul_lo_u32 v5, v5, s21
	v_mul_lo_u32 v6, v6, s23
	s_delay_alu instid0(VALU_DEP_1) | instskip(NEXT) | instid1(VALU_DEP_1)
	v_sub_nc_u32_e32 v5, v5, v6
	v_cmp_lt_u32_e64 s6, s39, v5
	s_delay_alu instid0(VALU_DEP_1)
	s_and_b32 s46, s6, exec_lo
; %bb.21:
	s_or_b32 exec_lo, exec_lo, s7
	v_add_nc_u32_e32 v5, s17, v14
	v_add_nc_u32_e32 v6, s19, v14
	s_mov_b32 s48, 0
	s_mov_b32 s47, 0
	s_mov_b32 s8, exec_lo
	v_mul_lo_u32 v5, v5, s16
	v_mul_lo_u32 v6, v6, s18
	s_delay_alu instid0(VALU_DEP_1) | instskip(NEXT) | instid1(VALU_DEP_1)
	v_sub_nc_u32_e32 v5, v5, v6
	v_cmp_lt_u32_e64 s6, s20, v5
	v_cmpx_ge_u32_e64 s20, v5
; %bb.22:
	v_add_nc_u32_e32 v5, s22, v14
	v_add_nc_u32_e32 v6, s38, v14
	s_delay_alu instid0(VALU_DEP_2) | instskip(NEXT) | instid1(VALU_DEP_2)
	v_mul_lo_u32 v5, v5, s21
	v_mul_lo_u32 v6, v6, s23
	s_delay_alu instid0(VALU_DEP_1) | instskip(NEXT) | instid1(VALU_DEP_1)
	v_sub_nc_u32_e32 v5, v5, v6
	v_cmp_lt_u32_e64 s7, s39, v5
	s_delay_alu instid0(VALU_DEP_1)
	s_and_b32 s47, s7, exec_lo
; %bb.23:
	s_or_b32 exec_lo, exec_lo, s8
	v_add_nc_u32_e32 v5, s17, v15
	v_add_nc_u32_e32 v6, s19, v15
	s_mov_b32 s9, exec_lo
	s_delay_alu instid0(VALU_DEP_2) | instskip(NEXT) | instid1(VALU_DEP_2)
	v_mul_lo_u32 v5, v5, s16
	v_mul_lo_u32 v6, v6, s18
	s_delay_alu instid0(VALU_DEP_1) | instskip(NEXT) | instid1(VALU_DEP_1)
	v_sub_nc_u32_e32 v5, v5, v6
	v_cmp_lt_u32_e64 s7, s20, v5
	v_cmpx_ge_u32_e64 s20, v5
; %bb.24:
	v_add_nc_u32_e32 v5, s22, v15
	v_add_nc_u32_e32 v6, s38, v15
	s_delay_alu instid0(VALU_DEP_2) | instskip(NEXT) | instid1(VALU_DEP_2)
	v_mul_lo_u32 v5, v5, s21
	v_mul_lo_u32 v6, v6, s23
	s_delay_alu instid0(VALU_DEP_1) | instskip(NEXT) | instid1(VALU_DEP_1)
	v_sub_nc_u32_e32 v5, v5, v6
	v_cmp_lt_u32_e64 s8, s39, v5
	s_delay_alu instid0(VALU_DEP_1)
	s_and_b32 s48, s8, exec_lo
; %bb.25:
	s_or_b32 exec_lo, exec_lo, s9
	v_add_nc_u32_e32 v5, s17, v12
	v_add_nc_u32_e32 v6, s19, v12
	s_mov_b32 s51, 0
	s_mov_b32 s50, 0
	s_mov_b32 s10, exec_lo
	v_mul_lo_u32 v5, v5, s16
	v_mul_lo_u32 v6, v6, s18
	s_delay_alu instid0(VALU_DEP_1) | instskip(NEXT) | instid1(VALU_DEP_1)
	v_sub_nc_u32_e32 v5, v5, v6
	v_cmp_lt_u32_e64 s8, s20, v5
	v_cmpx_ge_u32_e64 s20, v5
; %bb.26:
	v_add_nc_u32_e32 v5, s22, v12
	v_add_nc_u32_e32 v6, s38, v12
	s_delay_alu instid0(VALU_DEP_2) | instskip(NEXT) | instid1(VALU_DEP_2)
	v_mul_lo_u32 v5, v5, s21
	v_mul_lo_u32 v6, v6, s23
	s_delay_alu instid0(VALU_DEP_1) | instskip(NEXT) | instid1(VALU_DEP_1)
	v_sub_nc_u32_e32 v5, v5, v6
	v_cmp_lt_u32_e64 s9, s39, v5
	s_delay_alu instid0(VALU_DEP_1)
	s_and_b32 s50, s9, exec_lo
; %bb.27:
	s_or_b32 exec_lo, exec_lo, s10
	v_add_nc_u32_e32 v5, s17, v13
	v_add_nc_u32_e32 v6, s19, v13
	s_mov_b32 s11, exec_lo
	s_delay_alu instid0(VALU_DEP_2) | instskip(NEXT) | instid1(VALU_DEP_2)
	v_mul_lo_u32 v5, v5, s16
	v_mul_lo_u32 v6, v6, s18
	s_delay_alu instid0(VALU_DEP_1) | instskip(NEXT) | instid1(VALU_DEP_1)
	v_sub_nc_u32_e32 v5, v5, v6
	v_cmp_lt_u32_e64 s9, s20, v5
	v_cmpx_ge_u32_e64 s20, v5
; %bb.28:
	v_add_nc_u32_e32 v5, s22, v13
	v_add_nc_u32_e32 v6, s38, v13
	s_delay_alu instid0(VALU_DEP_2) | instskip(NEXT) | instid1(VALU_DEP_2)
	v_mul_lo_u32 v5, v5, s21
	v_mul_lo_u32 v6, v6, s23
	s_delay_alu instid0(VALU_DEP_1) | instskip(NEXT) | instid1(VALU_DEP_1)
	v_sub_nc_u32_e32 v5, v5, v6
	v_cmp_lt_u32_e64 s10, s39, v5
	s_delay_alu instid0(VALU_DEP_1)
	s_and_b32 s51, s10, exec_lo
; %bb.29:
	s_or_b32 exec_lo, exec_lo, s11
	v_add_nc_u32_e32 v5, s17, v10
	v_add_nc_u32_e32 v6, s19, v10
	s_mov_b32 s52, 0
	s_mov_b32 s53, 0
	s_mov_b32 s12, exec_lo
	v_mul_lo_u32 v5, v5, s16
	v_mul_lo_u32 v6, v6, s18
	s_delay_alu instid0(VALU_DEP_1) | instskip(NEXT) | instid1(VALU_DEP_1)
	v_sub_nc_u32_e32 v5, v5, v6
	v_cmp_lt_u32_e64 s10, s20, v5
	v_cmpx_ge_u32_e64 s20, v5
; %bb.30:
	v_add_nc_u32_e32 v5, s22, v10
	v_add_nc_u32_e32 v6, s38, v10
	s_delay_alu instid0(VALU_DEP_2) | instskip(NEXT) | instid1(VALU_DEP_2)
	v_mul_lo_u32 v5, v5, s21
	v_mul_lo_u32 v6, v6, s23
	s_delay_alu instid0(VALU_DEP_1) | instskip(NEXT) | instid1(VALU_DEP_1)
	v_sub_nc_u32_e32 v5, v5, v6
	v_cmp_lt_u32_e64 s11, s39, v5
	s_delay_alu instid0(VALU_DEP_1)
	s_and_b32 s53, s11, exec_lo
; %bb.31:
	s_or_b32 exec_lo, exec_lo, s12
	v_add_nc_u32_e32 v5, s17, v11
	v_add_nc_u32_e32 v6, s19, v11
	s_mov_b32 s27, exec_lo
	s_delay_alu instid0(VALU_DEP_2) | instskip(NEXT) | instid1(VALU_DEP_2)
	v_mul_lo_u32 v5, v5, s16
	v_mul_lo_u32 v6, v6, s18
	s_delay_alu instid0(VALU_DEP_1) | instskip(NEXT) | instid1(VALU_DEP_1)
	v_sub_nc_u32_e32 v5, v5, v6
	v_cmp_lt_u32_e64 s11, s20, v5
	v_cmpx_ge_u32_e64 s20, v5
; %bb.32:
	v_add_nc_u32_e32 v5, s22, v11
	v_add_nc_u32_e32 v6, s38, v11
	s_delay_alu instid0(VALU_DEP_2) | instskip(NEXT) | instid1(VALU_DEP_2)
	v_mul_lo_u32 v5, v5, s21
	v_mul_lo_u32 v6, v6, s23
	s_delay_alu instid0(VALU_DEP_1) | instskip(NEXT) | instid1(VALU_DEP_1)
	v_sub_nc_u32_e32 v5, v5, v6
	v_cmp_lt_u32_e64 s12, s39, v5
	s_delay_alu instid0(VALU_DEP_1)
	s_and_b32 s52, s12, exec_lo
; %bb.33:
	s_or_b32 exec_lo, exec_lo, s27
	v_add_nc_u32_e32 v5, s17, v32
	v_add_nc_u32_e32 v6, s19, v32
	s_mov_b32 s27, -1
	s_mov_b32 s49, 0
	s_mov_b32 s33, 0
	v_mul_lo_u32 v5, v5, s16
	v_mul_lo_u32 v6, v6, s18
	s_mov_b32 s54, exec_lo
	s_delay_alu instid0(VALU_DEP_1) | instskip(NEXT) | instid1(VALU_DEP_1)
	v_sub_nc_u32_e32 v5, v5, v6
	v_cmpx_ge_u32_e64 s20, v5
; %bb.34:
	v_add_nc_u32_e32 v5, s22, v32
	v_add_nc_u32_e32 v6, s38, v32
	s_xor_b32 s27, exec_lo, -1
	s_delay_alu instid0(VALU_DEP_2) | instskip(NEXT) | instid1(VALU_DEP_2)
	v_mul_lo_u32 v5, v5, s21
	v_mul_lo_u32 v6, v6, s23
	s_delay_alu instid0(VALU_DEP_1) | instskip(NEXT) | instid1(VALU_DEP_1)
	v_sub_nc_u32_e32 v5, v5, v6
	v_cmp_lt_u32_e64 s12, s39, v5
	s_delay_alu instid0(VALU_DEP_1)
	s_and_b32 s33, s12, exec_lo
; %bb.35:
	s_or_b32 exec_lo, exec_lo, s54
	v_cndmask_b32_e64 v53, 0, 1, s53
	v_cndmask_b32_e64 v56, 0, 1, s11
	;; [unrolled: 1-line block ×22, first 2 shown]
	v_cndmask_b32_e64 v34, 0, 1, vcc_lo
	v_cndmask_b32_e64 v57, 0, 1, s52
	s_and_b32 vcc_lo, exec_lo, s49
	s_add_i32 s4, s40, 0xd00
	s_cbranch_vccnz .LBB861_37
	s_branch .LBB861_90
.LBB861_36:
                                        ; implicit-def: $sgpr27
                                        ; implicit-def: $sgpr33
                                        ; implicit-def: $vgpr57
                                        ; implicit-def: $vgpr53
                                        ; implicit-def: $vgpr52
                                        ; implicit-def: $vgpr50
                                        ; implicit-def: $vgpr48
                                        ; implicit-def: $vgpr46
                                        ; implicit-def: $vgpr44
                                        ; implicit-def: $vgpr42
                                        ; implicit-def: $vgpr39
                                        ; implicit-def: $vgpr34
                                        ; implicit-def: $vgpr37
                                        ; implicit-def: $vgpr36
                                        ; implicit-def: $vgpr41
                                        ; implicit-def: $vgpr43
                                        ; implicit-def: $vgpr45
                                        ; implicit-def: $vgpr47
                                        ; implicit-def: $vgpr49
                                        ; implicit-def: $vgpr51
                                        ; implicit-def: $vgpr54
                                        ; implicit-def: $vgpr55
                                        ; implicit-def: $vgpr56
                                        ; implicit-def: $vgpr35
                                        ; implicit-def: $vgpr40
                                        ; implicit-def: $vgpr38
	s_add_i32 s4, s40, 0xd00
	s_cbranch_execz .LBB861_90
.LBB861_37:
	v_dual_mov_b32 v35, 0 :: v_dual_mov_b32 v34, 0
	s_mov_b32 s3, 0
	s_mov_b32 s1, exec_lo
	v_cmpx_gt_u32_e64 s4, v33
	s_cbranch_execz .LBB861_41
; %bb.38:
	v_add_nc_u32_e32 v5, s17, v20
	v_add_nc_u32_e32 v6, s19, v20
	s_mov_b32 s5, exec_lo
	s_delay_alu instid0(VALU_DEP_2) | instskip(NEXT) | instid1(VALU_DEP_2)
	v_mul_lo_u32 v5, v5, s16
	v_mul_lo_u32 v6, v6, s18
	s_delay_alu instid0(VALU_DEP_1) | instskip(NEXT) | instid1(VALU_DEP_1)
	v_sub_nc_u32_e32 v5, v5, v6
	v_cmp_lt_u32_e32 vcc_lo, s20, v5
	v_cmpx_ge_u32_e64 s20, v5
; %bb.39:
	v_add_nc_u32_e32 v5, s22, v20
	v_add_nc_u32_e32 v6, s38, v20
	s_delay_alu instid0(VALU_DEP_2) | instskip(NEXT) | instid1(VALU_DEP_2)
	v_mul_lo_u32 v5, v5, s21
	v_mul_lo_u32 v6, v6, s23
	s_delay_alu instid0(VALU_DEP_1) | instskip(NEXT) | instid1(VALU_DEP_1)
	v_sub_nc_u32_e32 v5, v5, v6
	v_cmp_lt_u32_e64 s0, s39, v5
	s_delay_alu instid0(VALU_DEP_1)
	s_and_b32 s3, s0, exec_lo
; %bb.40:
	s_or_b32 exec_lo, exec_lo, s5
	v_cndmask_b32_e64 v34, 0, 1, vcc_lo
	v_cndmask_b32_e64 v35, 0, 1, s3
.LBB861_41:
	s_or_b32 exec_lo, exec_lo, s1
	v_dual_mov_b32 v40, 0 :: v_dual_add_nc_u32 v5, 1, v33
	v_mov_b32_e32 v37, 0
	s_mov_b32 s3, 0
	s_mov_b32 s1, exec_lo
	s_delay_alu instid0(VALU_DEP_2)
	v_cmpx_gt_u32_e64 s4, v5
	s_cbranch_execz .LBB861_45
; %bb.42:
	v_add_nc_u32_e32 v5, s17, v21
	v_add_nc_u32_e32 v6, s19, v21
	s_mov_b32 s5, exec_lo
	s_delay_alu instid0(VALU_DEP_2) | instskip(NEXT) | instid1(VALU_DEP_2)
	v_mul_lo_u32 v5, v5, s16
	v_mul_lo_u32 v6, v6, s18
	s_delay_alu instid0(VALU_DEP_1) | instskip(NEXT) | instid1(VALU_DEP_1)
	v_sub_nc_u32_e32 v5, v5, v6
	v_cmp_lt_u32_e32 vcc_lo, s20, v5
	v_cmpx_ge_u32_e64 s20, v5
; %bb.43:
	v_add_nc_u32_e32 v5, s22, v21
	v_add_nc_u32_e32 v6, s38, v21
	s_delay_alu instid0(VALU_DEP_2) | instskip(NEXT) | instid1(VALU_DEP_2)
	v_mul_lo_u32 v5, v5, s21
	v_mul_lo_u32 v6, v6, s23
	s_delay_alu instid0(VALU_DEP_1) | instskip(NEXT) | instid1(VALU_DEP_1)
	v_sub_nc_u32_e32 v5, v5, v6
	v_cmp_lt_u32_e64 s0, s39, v5
	s_delay_alu instid0(VALU_DEP_1)
	s_and_b32 s3, s0, exec_lo
; %bb.44:
	s_or_b32 exec_lo, exec_lo, s5
	v_cndmask_b32_e64 v37, 0, 1, vcc_lo
	v_cndmask_b32_e64 v40, 0, 1, s3
.LBB861_45:
	s_or_b32 exec_lo, exec_lo, s1
	v_dual_mov_b32 v36, 0 :: v_dual_add_nc_u32 v5, 2, v33
	v_mov_b32_e32 v38, 0
	s_mov_b32 s3, 0
	s_mov_b32 s1, exec_lo
	s_delay_alu instid0(VALU_DEP_2)
	v_cmpx_gt_u32_e64 s4, v5
	s_cbranch_execz .LBB861_49
; %bb.46:
	v_add_nc_u32_e32 v5, s17, v18
	v_add_nc_u32_e32 v6, s19, v18
	s_mov_b32 s5, exec_lo
	s_delay_alu instid0(VALU_DEP_2) | instskip(NEXT) | instid1(VALU_DEP_2)
	v_mul_lo_u32 v5, v5, s16
	v_mul_lo_u32 v6, v6, s18
	s_delay_alu instid0(VALU_DEP_1) | instskip(NEXT) | instid1(VALU_DEP_1)
	v_sub_nc_u32_e32 v5, v5, v6
	v_cmp_lt_u32_e32 vcc_lo, s20, v5
	v_cmpx_ge_u32_e64 s20, v5
; %bb.47:
	v_add_nc_u32_e32 v5, s22, v18
	v_add_nc_u32_e32 v6, s38, v18
	s_delay_alu instid0(VALU_DEP_2) | instskip(NEXT) | instid1(VALU_DEP_2)
	v_mul_lo_u32 v5, v5, s21
	v_mul_lo_u32 v6, v6, s23
	s_delay_alu instid0(VALU_DEP_1) | instskip(NEXT) | instid1(VALU_DEP_1)
	v_sub_nc_u32_e32 v5, v5, v6
	v_cmp_lt_u32_e64 s0, s39, v5
	s_delay_alu instid0(VALU_DEP_1)
	s_and_b32 s3, s0, exec_lo
; %bb.48:
	s_or_b32 exec_lo, exec_lo, s5
	v_cndmask_b32_e64 v36, 0, 1, vcc_lo
	v_cndmask_b32_e64 v38, 0, 1, s3
.LBB861_49:
	s_or_b32 exec_lo, exec_lo, s1
	v_add_nc_u32_e32 v5, 3, v33
	v_mov_b32_e32 v39, 0
	v_mov_b32_e32 v41, 0
	s_mov_b32 s3, 0
	s_mov_b32 s1, exec_lo
	v_cmpx_gt_u32_e64 s4, v5
	s_cbranch_execz .LBB861_53
; %bb.50:
	v_add_nc_u32_e32 v5, s17, v19
	v_add_nc_u32_e32 v6, s19, v19
	s_mov_b32 s5, exec_lo
	s_delay_alu instid0(VALU_DEP_2) | instskip(NEXT) | instid1(VALU_DEP_2)
	v_mul_lo_u32 v5, v5, s16
	v_mul_lo_u32 v6, v6, s18
	s_delay_alu instid0(VALU_DEP_1) | instskip(NEXT) | instid1(VALU_DEP_1)
	v_sub_nc_u32_e32 v5, v5, v6
	v_cmp_lt_u32_e32 vcc_lo, s20, v5
	v_cmpx_ge_u32_e64 s20, v5
; %bb.51:
	v_add_nc_u32_e32 v5, s22, v19
	v_add_nc_u32_e32 v6, s38, v19
	s_delay_alu instid0(VALU_DEP_2) | instskip(NEXT) | instid1(VALU_DEP_2)
	v_mul_lo_u32 v5, v5, s21
	v_mul_lo_u32 v6, v6, s23
	s_delay_alu instid0(VALU_DEP_1) | instskip(NEXT) | instid1(VALU_DEP_1)
	v_sub_nc_u32_e32 v5, v5, v6
	v_cmp_lt_u32_e64 s0, s39, v5
	s_delay_alu instid0(VALU_DEP_1)
	s_and_b32 s3, s0, exec_lo
; %bb.52:
	s_or_b32 exec_lo, exec_lo, s5
	v_cndmask_b32_e64 v41, 0, 1, vcc_lo
	v_cndmask_b32_e64 v39, 0, 1, s3
.LBB861_53:
	s_or_b32 exec_lo, exec_lo, s1
	v_dual_mov_b32 v42, 0 :: v_dual_add_nc_u32 v5, 4, v33
	v_mov_b32_e32 v43, 0
	s_mov_b32 s3, 0
	s_mov_b32 s1, exec_lo
	s_delay_alu instid0(VALU_DEP_2)
	v_cmpx_gt_u32_e64 s4, v5
	s_cbranch_execz .LBB861_57
; %bb.54:
	v_add_nc_u32_e32 v5, s17, v16
	v_add_nc_u32_e32 v6, s19, v16
	s_mov_b32 s5, exec_lo
	s_delay_alu instid0(VALU_DEP_2) | instskip(NEXT) | instid1(VALU_DEP_2)
	v_mul_lo_u32 v5, v5, s16
	v_mul_lo_u32 v6, v6, s18
	s_delay_alu instid0(VALU_DEP_1) | instskip(NEXT) | instid1(VALU_DEP_1)
	v_sub_nc_u32_e32 v5, v5, v6
	v_cmp_lt_u32_e32 vcc_lo, s20, v5
	v_cmpx_ge_u32_e64 s20, v5
; %bb.55:
	v_add_nc_u32_e32 v5, s22, v16
	v_add_nc_u32_e32 v6, s38, v16
	s_delay_alu instid0(VALU_DEP_2) | instskip(NEXT) | instid1(VALU_DEP_2)
	v_mul_lo_u32 v5, v5, s21
	v_mul_lo_u32 v6, v6, s23
	s_delay_alu instid0(VALU_DEP_1) | instskip(NEXT) | instid1(VALU_DEP_1)
	v_sub_nc_u32_e32 v5, v5, v6
	v_cmp_lt_u32_e64 s0, s39, v5
	s_delay_alu instid0(VALU_DEP_1)
	s_and_b32 s3, s0, exec_lo
; %bb.56:
	s_or_b32 exec_lo, exec_lo, s5
	v_cndmask_b32_e64 v43, 0, 1, vcc_lo
	v_cndmask_b32_e64 v42, 0, 1, s3
.LBB861_57:
	s_or_b32 exec_lo, exec_lo, s1
	v_dual_mov_b32 v44, 0 :: v_dual_add_nc_u32 v5, 5, v33
	v_mov_b32_e32 v45, 0
	s_mov_b32 s3, 0
	s_mov_b32 s1, exec_lo
	s_delay_alu instid0(VALU_DEP_2)
	;; [unrolled: 35-line block ×6, first 2 shown]
	v_cmpx_gt_u32_e64 s4, v5
	s_cbranch_execz .LBB861_77
; %bb.74:
	v_add_nc_u32_e32 v5, s17, v13
	v_add_nc_u32_e32 v6, s19, v13
	s_mov_b32 s5, exec_lo
	s_delay_alu instid0(VALU_DEP_2) | instskip(NEXT) | instid1(VALU_DEP_2)
	v_mul_lo_u32 v5, v5, s16
	v_mul_lo_u32 v6, v6, s18
	s_delay_alu instid0(VALU_DEP_1) | instskip(NEXT) | instid1(VALU_DEP_1)
	v_sub_nc_u32_e32 v5, v5, v6
	v_cmp_lt_u32_e32 vcc_lo, s20, v5
	v_cmpx_ge_u32_e64 s20, v5
; %bb.75:
	v_add_nc_u32_e32 v5, s22, v13
	v_add_nc_u32_e32 v6, s38, v13
	s_delay_alu instid0(VALU_DEP_2) | instskip(NEXT) | instid1(VALU_DEP_2)
	v_mul_lo_u32 v5, v5, s21
	v_mul_lo_u32 v6, v6, s23
	s_delay_alu instid0(VALU_DEP_1) | instskip(NEXT) | instid1(VALU_DEP_1)
	v_sub_nc_u32_e32 v5, v5, v6
	v_cmp_lt_u32_e64 s0, s39, v5
	s_delay_alu instid0(VALU_DEP_1)
	s_and_b32 s3, s0, exec_lo
; %bb.76:
	s_or_b32 exec_lo, exec_lo, s5
	v_cndmask_b32_e64 v54, 0, 1, vcc_lo
	v_cndmask_b32_e64 v52, 0, 1, s3
.LBB861_77:
	s_or_b32 exec_lo, exec_lo, s1
	v_add_nc_u32_e32 v5, 10, v33
	v_mov_b32_e32 v53, 0
	v_mov_b32_e32 v55, 0
	s_mov_b32 s3, 0
	s_mov_b32 s1, exec_lo
	v_cmpx_gt_u32_e64 s4, v5
	s_cbranch_execz .LBB861_81
; %bb.78:
	v_add_nc_u32_e32 v5, s17, v10
	v_add_nc_u32_e32 v6, s19, v10
	s_mov_b32 s5, exec_lo
	s_delay_alu instid0(VALU_DEP_2) | instskip(NEXT) | instid1(VALU_DEP_2)
	v_mul_lo_u32 v5, v5, s16
	v_mul_lo_u32 v6, v6, s18
	s_delay_alu instid0(VALU_DEP_1) | instskip(NEXT) | instid1(VALU_DEP_1)
	v_sub_nc_u32_e32 v5, v5, v6
	v_cmp_lt_u32_e32 vcc_lo, s20, v5
	v_cmpx_ge_u32_e64 s20, v5
; %bb.79:
	v_add_nc_u32_e32 v5, s22, v10
	v_add_nc_u32_e32 v6, s38, v10
	s_delay_alu instid0(VALU_DEP_2) | instskip(NEXT) | instid1(VALU_DEP_2)
	v_mul_lo_u32 v5, v5, s21
	v_mul_lo_u32 v6, v6, s23
	s_delay_alu instid0(VALU_DEP_1) | instskip(NEXT) | instid1(VALU_DEP_1)
	v_sub_nc_u32_e32 v5, v5, v6
	v_cmp_lt_u32_e64 s0, s39, v5
	s_delay_alu instid0(VALU_DEP_1)
	s_and_b32 s3, s0, exec_lo
; %bb.80:
	s_or_b32 exec_lo, exec_lo, s5
	v_cndmask_b32_e64 v55, 0, 1, vcc_lo
	v_cndmask_b32_e64 v53, 0, 1, s3
.LBB861_81:
	s_or_b32 exec_lo, exec_lo, s1
	v_dual_mov_b32 v56, 0 :: v_dual_add_nc_u32 v5, 11, v33
	v_mov_b32_e32 v57, 0
	s_mov_b32 s3, 0
	s_mov_b32 s1, exec_lo
	s_delay_alu instid0(VALU_DEP_2)
	v_cmpx_gt_u32_e64 s4, v5
	s_cbranch_execz .LBB861_85
; %bb.82:
	v_add_nc_u32_e32 v5, s17, v11
	v_add_nc_u32_e32 v6, s19, v11
	s_mov_b32 s5, exec_lo
	s_delay_alu instid0(VALU_DEP_2) | instskip(NEXT) | instid1(VALU_DEP_2)
	v_mul_lo_u32 v5, v5, s16
	v_mul_lo_u32 v6, v6, s18
	s_delay_alu instid0(VALU_DEP_1) | instskip(NEXT) | instid1(VALU_DEP_1)
	v_sub_nc_u32_e32 v5, v5, v6
	v_cmp_lt_u32_e32 vcc_lo, s20, v5
	v_cmpx_ge_u32_e64 s20, v5
; %bb.83:
	v_add_nc_u32_e32 v5, s22, v11
	v_add_nc_u32_e32 v6, s38, v11
	s_delay_alu instid0(VALU_DEP_2) | instskip(NEXT) | instid1(VALU_DEP_2)
	v_mul_lo_u32 v5, v5, s21
	v_mul_lo_u32 v6, v6, s23
	s_delay_alu instid0(VALU_DEP_1) | instskip(NEXT) | instid1(VALU_DEP_1)
	v_sub_nc_u32_e32 v5, v5, v6
	v_cmp_lt_u32_e64 s0, s39, v5
	s_delay_alu instid0(VALU_DEP_1)
	s_and_b32 s3, s0, exec_lo
; %bb.84:
	s_or_b32 exec_lo, exec_lo, s5
	v_cndmask_b32_e64 v56, 0, 1, vcc_lo
	v_cndmask_b32_e64 v57, 0, 1, s3
.LBB861_85:
	s_or_b32 exec_lo, exec_lo, s1
	v_add_nc_u32_e32 v5, 12, v33
	s_mov_b32 s27, 0
	s_mov_b32 s33, 0
	s_mov_b32 s0, exec_lo
	s_delay_alu instid0(VALU_DEP_1)
	v_cmpx_gt_u32_e64 s4, v5
	s_cbranch_execz .LBB861_89
; %bb.86:
	v_add_nc_u32_e32 v5, s17, v32
	v_add_nc_u32_e32 v6, s19, v32
	s_mov_b32 s3, -1
	s_mov_b32 s5, 0
	s_mov_b32 s1, exec_lo
	v_mul_lo_u32 v5, v5, s16
	v_mul_lo_u32 v6, v6, s18
	s_delay_alu instid0(VALU_DEP_1) | instskip(NEXT) | instid1(VALU_DEP_1)
	v_sub_nc_u32_e32 v5, v5, v6
	v_cmpx_ge_u32_e64 s20, v5
; %bb.87:
	v_add_nc_u32_e32 v5, s22, v32
	v_add_nc_u32_e32 v6, s38, v32
	s_xor_b32 s3, exec_lo, -1
	s_delay_alu instid0(VALU_DEP_2) | instskip(NEXT) | instid1(VALU_DEP_2)
	v_mul_lo_u32 v5, v5, s21
	v_mul_lo_u32 v6, v6, s23
	s_delay_alu instid0(VALU_DEP_1) | instskip(NEXT) | instid1(VALU_DEP_1)
	v_sub_nc_u32_e32 v5, v5, v6
	v_cmp_lt_u32_e32 vcc_lo, s39, v5
	s_and_b32 s5, vcc_lo, exec_lo
; %bb.88:
	s_or_b32 exec_lo, exec_lo, s1
	s_delay_alu instid0(SALU_CYCLE_1)
	s_and_b32 s33, s5, exec_lo
	s_and_b32 s27, s3, exec_lo
.LBB861_89:
	s_or_b32 exec_lo, exec_lo, s0
.LBB861_90:
	v_and_b32_e32 v80, 0xff, v34
	v_and_b32_e32 v81, 0xff, v35
	;; [unrolled: 1-line block ×10, first 2 shown]
	v_add3_u32 v5, v76, v78, v80
	v_add3_u32 v6, v77, v79, v81
	v_and_b32_e32 v70, 0xff, v45
	v_and_b32_e32 v71, 0xff, v44
	v_and_b32_e32 v64, 0xff, v47
	v_and_b32_e32 v65, 0xff, v46
	v_add3_u32 v5, v5, v74, v72
	v_add3_u32 v6, v6, v75, v73
	v_and_b32_e32 v68, 0xff, v49
	v_and_b32_e32 v69, 0xff, v48
	v_and_b32_e32 v66, 0xff, v51
	v_and_b32_e32 v67, 0xff, v50
	;; [unrolled: 6-line block ×3, first 2 shown]
	v_add3_u32 v5, v5, v68, v66
	v_add3_u32 v6, v6, v69, v67
	v_mbcnt_lo_u32_b32 v82, -1, 0
	v_and_b32_e32 v58, 0xff, v56
	v_and_b32_e32 v59, 0xff, v57
	v_cndmask_b32_e64 v7, 0, 1, s33
	v_add3_u32 v5, v5, v61, v60
	v_cndmask_b32_e64 v8, 0, 1, s27
	v_add3_u32 v6, v6, v62, v63
	v_and_b32_e32 v86, 15, v82
	v_and_b32_e32 v85, 16, v82
	v_lshrrev_b32_e32 v83, 5, v0
	v_add3_u32 v87, v5, v58, v8
	v_add3_u32 v88, v6, v59, v7
	v_cmp_eq_u32_e64 s1, 0, v86
	v_cmp_lt_u32_e64 s0, 1, v86
	v_cmp_lt_u32_e64 s3, 3, v86
	v_cmp_lt_u32_e32 vcc_lo, 7, v86
	v_or_b32_e32 v84, 31, v0
	s_cmp_lg_u32 s26, 0
	s_mov_b32 s5, -1
	s_cbranch_scc0 .LBB861_123
; %bb.91:
	v_mov_b32_dpp v5, v88 row_shr:1 row_mask:0xf bank_mask:0xf
	v_mov_b32_dpp v6, v87 row_shr:1 row_mask:0xf bank_mask:0xf
	s_delay_alu instid0(VALU_DEP_2) | instskip(NEXT) | instid1(VALU_DEP_2)
	v_add_nc_u32_e32 v5, v5, v88
	v_add_nc_u32_e32 v6, v6, v87
	s_delay_alu instid0(VALU_DEP_2) | instskip(NEXT) | instid1(VALU_DEP_2)
	v_cndmask_b32_e64 v5, v5, v88, s1
	v_cndmask_b32_e64 v6, v6, v87, s1
	s_delay_alu instid0(VALU_DEP_2) | instskip(NEXT) | instid1(VALU_DEP_2)
	v_mov_b32_dpp v7, v5 row_shr:2 row_mask:0xf bank_mask:0xf
	v_mov_b32_dpp v8, v6 row_shr:2 row_mask:0xf bank_mask:0xf
	s_delay_alu instid0(VALU_DEP_2) | instskip(NEXT) | instid1(VALU_DEP_1)
	v_add_nc_u32_e32 v7, v5, v7
	v_cndmask_b32_e64 v5, v5, v7, s0
	s_delay_alu instid0(VALU_DEP_1) | instskip(NEXT) | instid1(VALU_DEP_1)
	v_mov_b32_dpp v7, v5 row_shr:4 row_mask:0xf bank_mask:0xf
	v_add_nc_u32_e32 v7, v5, v7
	s_delay_alu instid0(VALU_DEP_1) | instskip(NEXT) | instid1(VALU_DEP_1)
	v_cndmask_b32_e64 v5, v5, v7, s3
	v_mov_b32_dpp v7, v5 row_shr:8 row_mask:0xf bank_mask:0xf
	s_delay_alu instid0(VALU_DEP_1) | instskip(NEXT) | instid1(VALU_DEP_1)
	v_add_nc_u32_e32 v7, v5, v7
	v_dual_cndmask_b32 v5, v5, v7 :: v_dual_add_nc_u32 v8, v6, v8
	s_delay_alu instid0(VALU_DEP_1) | instskip(NEXT) | instid1(VALU_DEP_1)
	v_cndmask_b32_e64 v6, v6, v8, s0
	v_mov_b32_dpp v8, v6 row_shr:4 row_mask:0xf bank_mask:0xf
	s_delay_alu instid0(VALU_DEP_1) | instskip(NEXT) | instid1(VALU_DEP_1)
	v_add_nc_u32_e32 v8, v6, v8
	v_cndmask_b32_e64 v6, v6, v8, s3
	s_mov_b32 s3, exec_lo
	s_delay_alu instid0(VALU_DEP_1) | instskip(NEXT) | instid1(VALU_DEP_1)
	v_mov_b32_dpp v8, v6 row_shr:8 row_mask:0xf bank_mask:0xf
	v_add_nc_u32_e32 v8, v6, v8
	s_delay_alu instid0(VALU_DEP_1)
	v_cndmask_b32_e32 v7, v6, v8, vcc_lo
	ds_swizzle_b32 v6, v5 offset:swizzle(BROADCAST,32,15)
	v_cmp_eq_u32_e32 vcc_lo, 0, v85
	s_waitcnt lgkmcnt(0)
	v_add_nc_u32_e32 v6, v5, v6
	ds_swizzle_b32 v8, v7 offset:swizzle(BROADCAST,32,15)
	v_cndmask_b32_e32 v6, v6, v5, vcc_lo
	s_waitcnt lgkmcnt(0)
	v_add_nc_u32_e32 v8, v7, v8
	s_delay_alu instid0(VALU_DEP_1)
	v_cndmask_b32_e32 v5, v8, v7, vcc_lo
	v_cmpx_eq_u32_e64 v84, v0
	s_cbranch_execz .LBB861_93
; %bb.92:
	v_lshlrev_b32_e32 v7, 3, v83
	ds_store_b64 v7, v[5:6]
.LBB861_93:
	s_or_b32 exec_lo, exec_lo, s3
	s_delay_alu instid0(SALU_CYCLE_1)
	s_mov_b32 s3, exec_lo
	s_waitcnt lgkmcnt(0)
	s_barrier
	buffer_gl0_inv
	v_cmpx_gt_u32_e32 8, v0
	s_cbranch_execz .LBB861_95
; %bb.94:
	v_lshlrev_b32_e32 v9, 3, v0
	ds_load_b64 v[7:8], v9
	s_waitcnt lgkmcnt(0)
	v_mov_b32_dpp v22, v7 row_shr:1 row_mask:0xf bank_mask:0xf
	v_mov_b32_dpp v23, v8 row_shr:1 row_mask:0xf bank_mask:0xf
	s_delay_alu instid0(VALU_DEP_2) | instskip(SKIP_1) | instid1(VALU_DEP_3)
	v_add_nc_u32_e32 v22, v22, v7
	v_and_b32_e32 v24, 7, v82
	v_add_nc_u32_e32 v23, v23, v8
	s_delay_alu instid0(VALU_DEP_2) | instskip(NEXT) | instid1(VALU_DEP_2)
	v_cmp_eq_u32_e32 vcc_lo, 0, v24
	v_dual_cndmask_b32 v8, v23, v8 :: v_dual_cndmask_b32 v7, v22, v7
	v_cmp_lt_u32_e32 vcc_lo, 1, v24
	s_delay_alu instid0(VALU_DEP_2) | instskip(NEXT) | instid1(VALU_DEP_3)
	v_mov_b32_dpp v23, v8 row_shr:2 row_mask:0xf bank_mask:0xf
	v_mov_b32_dpp v22, v7 row_shr:2 row_mask:0xf bank_mask:0xf
	s_delay_alu instid0(VALU_DEP_2) | instskip(NEXT) | instid1(VALU_DEP_2)
	v_add_nc_u32_e32 v23, v8, v23
	v_add_nc_u32_e32 v22, v7, v22
	s_delay_alu instid0(VALU_DEP_1) | instskip(SKIP_1) | instid1(VALU_DEP_2)
	v_dual_cndmask_b32 v8, v8, v23 :: v_dual_cndmask_b32 v7, v7, v22
	v_cmp_lt_u32_e32 vcc_lo, 3, v24
	v_mov_b32_dpp v23, v8 row_shr:4 row_mask:0xf bank_mask:0xf
	s_delay_alu instid0(VALU_DEP_3) | instskip(NEXT) | instid1(VALU_DEP_1)
	v_mov_b32_dpp v22, v7 row_shr:4 row_mask:0xf bank_mask:0xf
	v_dual_cndmask_b32 v23, 0, v23 :: v_dual_cndmask_b32 v22, 0, v22
	s_delay_alu instid0(VALU_DEP_1) | instskip(NEXT) | instid1(VALU_DEP_2)
	v_add_nc_u32_e32 v8, v23, v8
	v_add_nc_u32_e32 v7, v22, v7
	ds_store_b64 v9, v[7:8]
.LBB861_95:
	s_or_b32 exec_lo, exec_lo, s3
	v_cmp_gt_u32_e32 vcc_lo, 32, v0
	v_cmp_lt_u32_e64 s3, 31, v0
	s_waitcnt lgkmcnt(0)
	s_barrier
	buffer_gl0_inv
                                        ; implicit-def: $vgpr23
	s_and_saveexec_b32 s5, s3
	s_delay_alu instid0(SALU_CYCLE_1)
	s_xor_b32 s3, exec_lo, s5
	s_cbranch_execz .LBB861_97
; %bb.96:
	v_lshl_add_u32 v7, v83, 3, -8
	ds_load_b64 v[22:23], v7
	s_waitcnt lgkmcnt(0)
	v_add_nc_u32_e32 v6, v23, v6
	v_add_nc_u32_e32 v5, v22, v5
.LBB861_97:
	s_and_not1_saveexec_b32 s3, s3
; %bb.98:
                                        ; implicit-def: $vgpr22
; %bb.99:
	s_delay_alu instid0(SALU_CYCLE_1) | instskip(SKIP_1) | instid1(VALU_DEP_1)
	s_or_b32 exec_lo, exec_lo, s3
	v_add_nc_u32_e32 v7, -1, v82
	v_cmp_gt_i32_e64 s3, 0, v7
	s_delay_alu instid0(VALU_DEP_1) | instskip(SKIP_1) | instid1(VALU_DEP_2)
	v_cndmask_b32_e64 v7, v7, v82, s3
	v_cmp_eq_u32_e64 s3, 0, v82
	v_lshlrev_b32_e32 v7, 2, v7
	ds_bpermute_b32 v89, v7, v5
	ds_bpermute_b32 v90, v7, v6
	s_and_saveexec_b32 s5, vcc_lo
	s_cbranch_execz .LBB861_122
; %bb.100:
	v_mov_b32_e32 v8, 0
	ds_load_b64 v[5:6], v8 offset:56
	s_waitcnt lgkmcnt(0)
	v_readfirstlane_b32 s6, v6
	s_and_saveexec_b32 s7, s3
	s_cbranch_execz .LBB861_102
; %bb.101:
	s_add_i32 s8, s26, 32
	s_mov_b32 s9, 0
	v_mov_b32_e32 v7, 1
	s_lshl_b64 s[10:11], s[8:9], 4
	s_mov_b32 s16, s9
	s_add_u32 s10, s36, s10
	s_addc_u32 s11, s37, s11
	s_and_b32 s17, s6, 0xff000000
	s_and_b32 s19, s6, 0xff0000
	s_mov_b32 s18, s9
	v_dual_mov_b32 v25, s11 :: v_dual_mov_b32 v24, s10
	s_or_b64 s[16:17], s[18:19], s[16:17]
	s_and_b32 s19, s6, 0xff00
	s_delay_alu instid0(SALU_CYCLE_1) | instskip(SKIP_1) | instid1(SALU_CYCLE_1)
	s_or_b64 s[16:17], s[16:17], s[18:19]
	s_and_b32 s19, s6, 0xff
	s_or_b64 s[8:9], s[16:17], s[18:19]
	s_delay_alu instid0(SALU_CYCLE_1)
	v_mov_b32_e32 v6, s9
	;;#ASMSTART
	global_store_dwordx4 v[24:25], v[5:8] off	
s_waitcnt vmcnt(0)
	;;#ASMEND
.LBB861_102:
	s_or_b32 exec_lo, exec_lo, s7
	v_xad_u32 v24, v82, -1, s26
	s_mov_b32 s8, 0
	s_mov_b32 s7, exec_lo
	s_delay_alu instid0(VALU_DEP_1) | instskip(NEXT) | instid1(VALU_DEP_1)
	v_add_nc_u32_e32 v7, 32, v24
	v_lshlrev_b64 v[6:7], 4, v[7:8]
	s_delay_alu instid0(VALU_DEP_1) | instskip(NEXT) | instid1(VALU_DEP_2)
	v_add_co_u32 v25, vcc_lo, s36, v6
	v_add_co_ci_u32_e32 v26, vcc_lo, s37, v7, vcc_lo
	;;#ASMSTART
	global_load_dwordx4 v[6:9], v[25:26] off glc	
s_waitcnt vmcnt(0)
	;;#ASMEND
	v_and_b32_e32 v9, 0xff, v7
	v_and_b32_e32 v27, 0xff00, v7
	v_or3_b32 v6, v6, 0, 0
	v_and_b32_e32 v28, 0xff000000, v7
	v_and_b32_e32 v7, 0xff0000, v7
	s_delay_alu instid0(VALU_DEP_4) | instskip(SKIP_2) | instid1(VALU_DEP_3)
	v_or3_b32 v9, 0, v9, v27
	v_and_b32_e32 v27, 0xff, v8
	v_or3_b32 v6, v6, 0, 0
	v_or3_b32 v7, v9, v7, v28
	s_delay_alu instid0(VALU_DEP_3)
	v_cmpx_eq_u16_e32 0, v27
	s_cbranch_execz .LBB861_108
; %bb.103:
	s_mov_b32 s9, 1
	.p2align	6
.LBB861_104:                            ; =>This Loop Header: Depth=1
                                        ;     Child Loop BB861_105 Depth 2
	s_delay_alu instid0(SALU_CYCLE_1)
	s_max_u32 s10, s9, 1
.LBB861_105:                            ;   Parent Loop BB861_104 Depth=1
                                        ; =>  This Inner Loop Header: Depth=2
	s_delay_alu instid0(SALU_CYCLE_1)
	s_add_i32 s10, s10, -1
	s_sleep 1
	s_cmp_eq_u32 s10, 0
	s_cbranch_scc0 .LBB861_105
; %bb.106:                              ;   in Loop: Header=BB861_104 Depth=1
	;;#ASMSTART
	global_load_dwordx4 v[6:9], v[25:26] off glc	
s_waitcnt vmcnt(0)
	;;#ASMEND
	v_and_b32_e32 v9, 0xff, v8
	s_cmp_lt_u32 s9, 32
	s_cselect_b32 s10, -1, 0
	s_delay_alu instid0(SALU_CYCLE_1) | instskip(NEXT) | instid1(VALU_DEP_1)
	s_cmp_lg_u32 s10, 0
	v_cmp_ne_u16_e32 vcc_lo, 0, v9
	s_addc_u32 s9, s9, 0
	s_or_b32 s8, vcc_lo, s8
	s_delay_alu instid0(SALU_CYCLE_1)
	s_and_not1_b32 exec_lo, exec_lo, s8
	s_cbranch_execnz .LBB861_104
; %bb.107:
	s_or_b32 exec_lo, exec_lo, s8
.LBB861_108:
	s_delay_alu instid0(SALU_CYCLE_1) | instskip(SKIP_3) | instid1(VALU_DEP_1)
	s_or_b32 exec_lo, exec_lo, s7
	v_cmp_ne_u32_e32 vcc_lo, 31, v82
	v_lshlrev_b32_e64 v92, v82, -1
	v_add_co_ci_u32_e32 v9, vcc_lo, 0, v82, vcc_lo
	v_lshlrev_b32_e32 v91, 2, v9
	ds_bpermute_b32 v25, v91, v7
	ds_bpermute_b32 v9, v91, v6
	s_waitcnt lgkmcnt(1)
	v_add_nc_u32_e32 v25, v25, v7
	v_and_b32_e32 v26, 0xff, v8
	s_waitcnt lgkmcnt(0)
	v_add_nc_u32_e32 v9, v9, v6
	s_delay_alu instid0(VALU_DEP_2) | instskip(SKIP_2) | instid1(VALU_DEP_2)
	v_cmp_eq_u16_e32 vcc_lo, 2, v26
	v_and_or_b32 v26, vcc_lo, v92, 0x80000000
	v_cmp_gt_u32_e32 vcc_lo, 30, v82
	v_ctz_i32_b32_e32 v26, v26
	v_cndmask_b32_e64 v27, 0, 1, vcc_lo
	s_delay_alu instid0(VALU_DEP_2) | instskip(NEXT) | instid1(VALU_DEP_2)
	v_cmp_lt_u32_e32 vcc_lo, v82, v26
	v_dual_cndmask_b32 v6, v6, v9 :: v_dual_lshlrev_b32 v27, 1, v27
	s_delay_alu instid0(VALU_DEP_1)
	v_add_lshl_u32 v93, v27, v82, 2
	v_cndmask_b32_e32 v7, v7, v25, vcc_lo
	v_cmp_gt_u32_e32 vcc_lo, 28, v82
	ds_bpermute_b32 v9, v93, v6
	ds_bpermute_b32 v25, v93, v7
	v_cndmask_b32_e64 v27, 0, 1, vcc_lo
	s_waitcnt lgkmcnt(1)
	v_add_nc_u32_e32 v9, v6, v9
	s_waitcnt lgkmcnt(0)
	v_add_nc_u32_e32 v25, v7, v25
	v_add_nc_u32_e32 v94, 2, v82
	s_delay_alu instid0(VALU_DEP_1) | instskip(NEXT) | instid1(VALU_DEP_3)
	v_cmp_gt_u32_e32 vcc_lo, v94, v26
	v_cndmask_b32_e32 v7, v25, v7, vcc_lo
	v_dual_cndmask_b32 v6, v9, v6 :: v_dual_lshlrev_b32 v27, 2, v27
	v_cmp_gt_u32_e32 vcc_lo, 24, v82
	s_delay_alu instid0(VALU_DEP_2) | instskip(SKIP_4) | instid1(VALU_DEP_1)
	v_add_lshl_u32 v95, v27, v82, 2
	v_cndmask_b32_e64 v27, 0, 1, vcc_lo
	ds_bpermute_b32 v25, v95, v7
	ds_bpermute_b32 v9, v95, v6
	v_lshlrev_b32_e32 v27, 3, v27
	v_add_lshl_u32 v97, v27, v82, 2
	s_waitcnt lgkmcnt(1)
	v_add_nc_u32_e32 v25, v7, v25
	v_add_nc_u32_e32 v96, 4, v82
	s_waitcnt lgkmcnt(0)
	v_add_nc_u32_e32 v9, v6, v9
	s_delay_alu instid0(VALU_DEP_2) | instskip(SKIP_1) | instid1(VALU_DEP_3)
	v_cmp_gt_u32_e32 vcc_lo, v96, v26
	v_cndmask_b32_e32 v7, v25, v7, vcc_lo
	v_cndmask_b32_e32 v6, v9, v6, vcc_lo
	v_cmp_gt_u32_e32 vcc_lo, 16, v82
	ds_bpermute_b32 v25, v97, v7
	ds_bpermute_b32 v9, v97, v6
	v_cndmask_b32_e64 v27, 0, 1, vcc_lo
	s_delay_alu instid0(VALU_DEP_1) | instskip(NEXT) | instid1(VALU_DEP_1)
	v_lshlrev_b32_e32 v27, 4, v27
	v_add_lshl_u32 v99, v27, v82, 2
	s_waitcnt lgkmcnt(1)
	v_add_nc_u32_e32 v25, v7, v25
	v_add_nc_u32_e32 v98, 8, v82
	s_waitcnt lgkmcnt(0)
	v_add_nc_u32_e32 v9, v6, v9
	s_delay_alu instid0(VALU_DEP_2) | instskip(SKIP_1) | instid1(VALU_DEP_3)
	v_cmp_gt_u32_e32 vcc_lo, v98, v26
	v_cndmask_b32_e32 v7, v25, v7, vcc_lo
	v_cndmask_b32_e32 v6, v9, v6, vcc_lo
	ds_bpermute_b32 v25, v99, v7
	ds_bpermute_b32 v9, v99, v6
	v_add_nc_u32_e32 v100, 16, v82
	s_delay_alu instid0(VALU_DEP_1) | instskip(SKIP_2) | instid1(VALU_DEP_1)
	v_cmp_le_u32_e32 vcc_lo, v100, v26
	s_waitcnt lgkmcnt(0)
	v_cndmask_b32_e32 v9, 0, v9, vcc_lo
	v_dual_cndmask_b32 v25, 0, v25 :: v_dual_add_nc_u32 v6, v9, v6
	s_delay_alu instid0(VALU_DEP_1)
	v_add_nc_u32_e32 v7, v25, v7
	v_mov_b32_e32 v25, 0
	s_branch .LBB861_110
.LBB861_109:                            ;   in Loop: Header=BB861_110 Depth=1
	s_or_b32 exec_lo, exec_lo, s7
	ds_bpermute_b32 v9, v91, v6
	ds_bpermute_b32 v28, v91, v7
	v_subrev_nc_u32_e32 v24, 32, v24
	s_waitcnt lgkmcnt(1)
	v_add_nc_u32_e32 v9, v9, v6
	v_and_b32_e32 v29, 0xff, v8
	s_waitcnt lgkmcnt(0)
	v_add_nc_u32_e32 v28, v28, v7
	s_delay_alu instid0(VALU_DEP_2) | instskip(SKIP_1) | instid1(VALU_DEP_1)
	v_cmp_eq_u16_e32 vcc_lo, 2, v29
	v_and_or_b32 v29, vcc_lo, v92, 0x80000000
	v_ctz_i32_b32_e32 v29, v29
	s_delay_alu instid0(VALU_DEP_1)
	v_cmp_lt_u32_e32 vcc_lo, v82, v29
	v_cndmask_b32_e32 v6, v6, v9, vcc_lo
	ds_bpermute_b32 v9, v93, v6
	s_waitcnt lgkmcnt(0)
	v_add_nc_u32_e32 v9, v6, v9
	v_cndmask_b32_e32 v7, v7, v28, vcc_lo
	v_cmp_gt_u32_e32 vcc_lo, v94, v29
	s_delay_alu instid0(VALU_DEP_3)
	v_cndmask_b32_e32 v6, v9, v6, vcc_lo
	ds_bpermute_b32 v28, v93, v7
	ds_bpermute_b32 v9, v95, v6
	s_waitcnt lgkmcnt(1)
	v_add_nc_u32_e32 v28, v7, v28
	s_waitcnt lgkmcnt(0)
	v_add_nc_u32_e32 v9, v6, v9
	s_delay_alu instid0(VALU_DEP_2) | instskip(SKIP_1) | instid1(VALU_DEP_3)
	v_cndmask_b32_e32 v7, v28, v7, vcc_lo
	v_cmp_gt_u32_e32 vcc_lo, v96, v29
	v_cndmask_b32_e32 v6, v9, v6, vcc_lo
	ds_bpermute_b32 v28, v95, v7
	ds_bpermute_b32 v9, v97, v6
	s_waitcnt lgkmcnt(1)
	v_add_nc_u32_e32 v28, v7, v28
	s_waitcnt lgkmcnt(0)
	v_add_nc_u32_e32 v9, v6, v9
	s_delay_alu instid0(VALU_DEP_2) | instskip(SKIP_1) | instid1(VALU_DEP_3)
	v_cndmask_b32_e32 v7, v28, v7, vcc_lo
	v_cmp_gt_u32_e32 vcc_lo, v98, v29
	v_cndmask_b32_e32 v6, v9, v6, vcc_lo
	ds_bpermute_b32 v28, v97, v7
	ds_bpermute_b32 v9, v99, v6
	s_waitcnt lgkmcnt(1)
	v_add_nc_u32_e32 v28, v7, v28
	s_delay_alu instid0(VALU_DEP_1) | instskip(SKIP_4) | instid1(VALU_DEP_1)
	v_cndmask_b32_e32 v7, v28, v7, vcc_lo
	v_cmp_le_u32_e32 vcc_lo, v100, v29
	ds_bpermute_b32 v28, v99, v7
	s_waitcnt lgkmcnt(1)
	v_cndmask_b32_e32 v9, 0, v9, vcc_lo
	v_add3_u32 v6, v6, v26, v9
	s_waitcnt lgkmcnt(0)
	v_cndmask_b32_e32 v28, 0, v28, vcc_lo
	s_delay_alu instid0(VALU_DEP_1)
	v_add3_u32 v7, v7, v27, v28
.LBB861_110:                            ; =>This Loop Header: Depth=1
                                        ;     Child Loop BB861_113 Depth 2
                                        ;       Child Loop BB861_114 Depth 3
	s_delay_alu instid0(VALU_DEP_1) | instskip(SKIP_1) | instid1(VALU_DEP_2)
	v_dual_mov_b32 v27, v7 :: v_dual_and_b32 v8, 0xff, v8
	v_mov_b32_e32 v26, v6
	v_cmp_ne_u16_e32 vcc_lo, 2, v8
	v_cndmask_b32_e64 v8, 0, 1, vcc_lo
	;;#ASMSTART
	;;#ASMEND
	s_delay_alu instid0(VALU_DEP_1)
	v_cmp_ne_u32_e32 vcc_lo, 0, v8
	s_cmp_lg_u32 vcc_lo, exec_lo
	s_cbranch_scc1 .LBB861_117
; %bb.111:                              ;   in Loop: Header=BB861_110 Depth=1
	v_lshlrev_b64 v[6:7], 4, v[24:25]
	s_mov_b32 s7, exec_lo
	s_delay_alu instid0(VALU_DEP_1) | instskip(NEXT) | instid1(VALU_DEP_2)
	v_add_co_u32 v28, vcc_lo, s36, v6
	v_add_co_ci_u32_e32 v29, vcc_lo, s37, v7, vcc_lo
	;;#ASMSTART
	global_load_dwordx4 v[6:9], v[28:29] off glc	
s_waitcnt vmcnt(0)
	;;#ASMEND
	v_and_b32_e32 v9, 0xff, v7
	v_and_b32_e32 v101, 0xff00, v7
	v_or3_b32 v6, v6, 0, 0
	v_and_b32_e32 v102, 0xff000000, v7
	v_and_b32_e32 v7, 0xff0000, v7
	s_delay_alu instid0(VALU_DEP_4) | instskip(SKIP_2) | instid1(VALU_DEP_3)
	v_or3_b32 v9, 0, v9, v101
	v_and_b32_e32 v101, 0xff, v8
	v_or3_b32 v6, v6, 0, 0
	v_or3_b32 v7, v9, v7, v102
	s_delay_alu instid0(VALU_DEP_3)
	v_cmpx_eq_u16_e32 0, v101
	s_cbranch_execz .LBB861_109
; %bb.112:                              ;   in Loop: Header=BB861_110 Depth=1
	s_mov_b32 s9, 1
	s_mov_b32 s8, 0
	.p2align	6
.LBB861_113:                            ;   Parent Loop BB861_110 Depth=1
                                        ; =>  This Loop Header: Depth=2
                                        ;       Child Loop BB861_114 Depth 3
	s_max_u32 s10, s9, 1
.LBB861_114:                            ;   Parent Loop BB861_110 Depth=1
                                        ;     Parent Loop BB861_113 Depth=2
                                        ; =>    This Inner Loop Header: Depth=3
	s_delay_alu instid0(SALU_CYCLE_1)
	s_add_i32 s10, s10, -1
	s_sleep 1
	s_cmp_eq_u32 s10, 0
	s_cbranch_scc0 .LBB861_114
; %bb.115:                              ;   in Loop: Header=BB861_113 Depth=2
	;;#ASMSTART
	global_load_dwordx4 v[6:9], v[28:29] off glc	
s_waitcnt vmcnt(0)
	;;#ASMEND
	v_and_b32_e32 v9, 0xff, v8
	s_cmp_lt_u32 s9, 32
	s_cselect_b32 s10, -1, 0
	s_delay_alu instid0(SALU_CYCLE_1) | instskip(NEXT) | instid1(VALU_DEP_1)
	s_cmp_lg_u32 s10, 0
	v_cmp_ne_u16_e32 vcc_lo, 0, v9
	s_addc_u32 s9, s9, 0
	s_or_b32 s8, vcc_lo, s8
	s_delay_alu instid0(SALU_CYCLE_1)
	s_and_not1_b32 exec_lo, exec_lo, s8
	s_cbranch_execnz .LBB861_113
; %bb.116:                              ;   in Loop: Header=BB861_110 Depth=1
	s_or_b32 exec_lo, exec_lo, s8
	s_branch .LBB861_109
.LBB861_117:                            ;   in Loop: Header=BB861_110 Depth=1
                                        ; implicit-def: $vgpr8
                                        ; implicit-def: $vgpr6_vgpr7
	s_cbranch_execz .LBB861_110
; %bb.118:
	s_and_saveexec_b32 s7, s3
	s_cbranch_execnz .LBB861_361
; %bb.119:
	s_or_b32 exec_lo, exec_lo, s7
	s_and_saveexec_b32 s7, s3
	s_cbranch_execnz .LBB861_362
.LBB861_120:
	s_or_b32 exec_lo, exec_lo, s7
	s_delay_alu instid0(SALU_CYCLE_1)
	s_and_b32 exec_lo, exec_lo, s2
	s_cbranch_execz .LBB861_122
.LBB861_121:
	v_mov_b32_e32 v5, 0
	ds_store_b64 v5, v[26:27] offset:56
.LBB861_122:
	s_or_b32 exec_lo, exec_lo, s5
	s_waitcnt lgkmcnt(1)
	v_cndmask_b32_e64 v22, v89, v22, s3
	v_mov_b32_e32 v5, 0
	s_waitcnt lgkmcnt(0)
	s_barrier
	buffer_gl0_inv
	v_add_nc_u32_e64 v7, 0x3400, 0
	ds_load_b64 v[24:25], v5 offset:56
	s_waitcnt lgkmcnt(0)
	s_barrier
	buffer_gl0_inv
	ds_load_2addr_b32 v[5:6], v7 offset1:2
	ds_load_2addr_b32 v[7:8], v7 offset0:4 offset1:6
	v_cndmask_b32_e64 v9, v90, v23, s3
	v_add_nc_u32_e32 v22, v24, v22
	s_delay_alu instid0(VALU_DEP_2) | instskip(NEXT) | instid1(VALU_DEP_2)
	v_add_nc_u32_e32 v9, v25, v9
	v_cndmask_b32_e64 v22, v22, v24, s2
	s_delay_alu instid0(VALU_DEP_2)
	v_cndmask_b32_e64 v9, v9, v25, s2
	s_branch .LBB861_133
.LBB861_123:
                                        ; implicit-def: $vgpr9
                                        ; implicit-def: $vgpr7
                                        ; implicit-def: $vgpr5
                                        ; implicit-def: $vgpr22_vgpr23
	s_and_b32 vcc_lo, exec_lo, s5
	s_cbranch_vccz .LBB861_133
; %bb.124:
	s_waitcnt lgkmcnt(1)
	v_mov_b32_dpp v6, v88 row_shr:1 row_mask:0xf bank_mask:0xf
	v_cmp_lt_u32_e32 vcc_lo, 3, v86
	v_mov_b32_dpp v5, v87 row_shr:1 row_mask:0xf bank_mask:0xf
	s_delay_alu instid0(VALU_DEP_3) | instskip(NEXT) | instid1(VALU_DEP_1)
	v_add_nc_u32_e32 v6, v6, v88
	v_cndmask_b32_e64 v6, v6, v88, s1
	s_waitcnt lgkmcnt(0)
	s_delay_alu instid0(VALU_DEP_1) | instskip(NEXT) | instid1(VALU_DEP_1)
	v_mov_b32_dpp v8, v6 row_shr:2 row_mask:0xf bank_mask:0xf
	v_add_nc_u32_e32 v8, v6, v8
	s_delay_alu instid0(VALU_DEP_1) | instskip(NEXT) | instid1(VALU_DEP_1)
	v_cndmask_b32_e64 v6, v6, v8, s0
	v_mov_b32_dpp v8, v6 row_shr:4 row_mask:0xf bank_mask:0xf
	s_delay_alu instid0(VALU_DEP_1) | instskip(NEXT) | instid1(VALU_DEP_1)
	v_add_nc_u32_e32 v8, v6, v8
	v_dual_cndmask_b32 v6, v6, v8 :: v_dual_add_nc_u32 v5, v5, v87
	s_delay_alu instid0(VALU_DEP_1) | instskip(NEXT) | instid1(VALU_DEP_2)
	v_cndmask_b32_e64 v5, v5, v87, s1
	v_mov_b32_dpp v8, v6 row_shr:8 row_mask:0xf bank_mask:0xf
	s_delay_alu instid0(VALU_DEP_2) | instskip(NEXT) | instid1(VALU_DEP_2)
	v_mov_b32_dpp v7, v5 row_shr:2 row_mask:0xf bank_mask:0xf
	v_add_nc_u32_e32 v8, v6, v8
	s_delay_alu instid0(VALU_DEP_2) | instskip(NEXT) | instid1(VALU_DEP_1)
	v_add_nc_u32_e32 v7, v5, v7
	v_cndmask_b32_e64 v5, v5, v7, s0
	s_mov_b32 s0, exec_lo
	s_delay_alu instid0(VALU_DEP_1) | instskip(NEXT) | instid1(VALU_DEP_1)
	v_mov_b32_dpp v7, v5 row_shr:4 row_mask:0xf bank_mask:0xf
	v_add_nc_u32_e32 v7, v5, v7
	s_delay_alu instid0(VALU_DEP_1) | instskip(SKIP_1) | instid1(VALU_DEP_2)
	v_cndmask_b32_e32 v5, v5, v7, vcc_lo
	v_cmp_lt_u32_e32 vcc_lo, 7, v86
	v_mov_b32_dpp v7, v5 row_shr:8 row_mask:0xf bank_mask:0xf
	s_delay_alu instid0(VALU_DEP_1) | instskip(NEXT) | instid1(VALU_DEP_1)
	v_dual_cndmask_b32 v6, v6, v8 :: v_dual_add_nc_u32 v7, v5, v7
	v_cndmask_b32_e32 v5, v5, v7, vcc_lo
	ds_swizzle_b32 v7, v6 offset:swizzle(BROADCAST,32,15)
	v_cmp_eq_u32_e32 vcc_lo, 0, v85
	ds_swizzle_b32 v8, v5 offset:swizzle(BROADCAST,32,15)
	s_waitcnt lgkmcnt(1)
	v_add_nc_u32_e32 v7, v6, v7
	s_waitcnt lgkmcnt(0)
	v_add_nc_u32_e32 v8, v5, v8
	s_delay_alu instid0(VALU_DEP_1)
	v_dual_cndmask_b32 v6, v7, v6 :: v_dual_cndmask_b32 v5, v8, v5
	v_cmpx_eq_u32_e64 v84, v0
	s_cbranch_execz .LBB861_126
; %bb.125:
	v_lshlrev_b32_e32 v7, 3, v83
	ds_store_b64 v7, v[5:6]
.LBB861_126:
	s_or_b32 exec_lo, exec_lo, s0
	s_delay_alu instid0(SALU_CYCLE_1)
	s_mov_b32 s0, exec_lo
	s_waitcnt lgkmcnt(0)
	s_barrier
	buffer_gl0_inv
	v_cmpx_gt_u32_e32 8, v0
	s_cbranch_execz .LBB861_128
; %bb.127:
	v_lshlrev_b32_e32 v9, 3, v0
	ds_load_b64 v[7:8], v9
	s_waitcnt lgkmcnt(0)
	v_mov_b32_dpp v22, v7 row_shr:1 row_mask:0xf bank_mask:0xf
	v_mov_b32_dpp v23, v8 row_shr:1 row_mask:0xf bank_mask:0xf
	s_delay_alu instid0(VALU_DEP_2) | instskip(SKIP_1) | instid1(VALU_DEP_3)
	v_add_nc_u32_e32 v22, v22, v7
	v_and_b32_e32 v24, 7, v82
	v_add_nc_u32_e32 v23, v23, v8
	s_delay_alu instid0(VALU_DEP_2) | instskip(NEXT) | instid1(VALU_DEP_2)
	v_cmp_eq_u32_e32 vcc_lo, 0, v24
	v_dual_cndmask_b32 v8, v23, v8 :: v_dual_cndmask_b32 v7, v22, v7
	v_cmp_lt_u32_e32 vcc_lo, 1, v24
	s_delay_alu instid0(VALU_DEP_2) | instskip(NEXT) | instid1(VALU_DEP_3)
	v_mov_b32_dpp v23, v8 row_shr:2 row_mask:0xf bank_mask:0xf
	v_mov_b32_dpp v22, v7 row_shr:2 row_mask:0xf bank_mask:0xf
	s_delay_alu instid0(VALU_DEP_2) | instskip(NEXT) | instid1(VALU_DEP_2)
	v_add_nc_u32_e32 v23, v8, v23
	v_add_nc_u32_e32 v22, v7, v22
	s_delay_alu instid0(VALU_DEP_1) | instskip(SKIP_1) | instid1(VALU_DEP_2)
	v_dual_cndmask_b32 v8, v8, v23 :: v_dual_cndmask_b32 v7, v7, v22
	v_cmp_lt_u32_e32 vcc_lo, 3, v24
	v_mov_b32_dpp v23, v8 row_shr:4 row_mask:0xf bank_mask:0xf
	s_delay_alu instid0(VALU_DEP_3) | instskip(NEXT) | instid1(VALU_DEP_1)
	v_mov_b32_dpp v22, v7 row_shr:4 row_mask:0xf bank_mask:0xf
	v_dual_cndmask_b32 v23, 0, v23 :: v_dual_cndmask_b32 v22, 0, v22
	s_delay_alu instid0(VALU_DEP_1) | instskip(NEXT) | instid1(VALU_DEP_2)
	v_add_nc_u32_e32 v8, v23, v8
	v_add_nc_u32_e32 v7, v22, v7
	ds_store_b64 v9, v[7:8]
.LBB861_128:
	s_or_b32 exec_lo, exec_lo, s0
	v_dual_mov_b32 v7, 0 :: v_dual_mov_b32 v22, 0
	v_mov_b32_e32 v23, 0
	s_mov_b32 s0, exec_lo
	s_waitcnt lgkmcnt(0)
	s_barrier
	buffer_gl0_inv
	v_cmpx_lt_u32_e32 31, v0
	s_cbranch_execz .LBB861_130
; %bb.129:
	v_lshl_add_u32 v8, v83, 3, -8
	ds_load_b64 v[22:23], v8
.LBB861_130:
	s_or_b32 exec_lo, exec_lo, s0
	v_add_nc_u32_e32 v8, -1, v82
	s_waitcnt lgkmcnt(0)
	v_add_nc_u32_e32 v24, v23, v6
	v_add_nc_u32_e32 v9, v22, v5
	ds_load_b64 v[5:6], v7 offset:56
	v_cmp_gt_i32_e32 vcc_lo, 0, v8
	v_cndmask_b32_e32 v8, v8, v82, vcc_lo
	s_delay_alu instid0(VALU_DEP_1)
	v_lshlrev_b32_e32 v8, 2, v8
	ds_bpermute_b32 v9, v8, v9
	ds_bpermute_b32 v24, v8, v24
	s_waitcnt lgkmcnt(2)
	v_readfirstlane_b32 s0, v6
	s_and_saveexec_b32 s1, s2
	s_cbranch_execz .LBB861_132
; %bb.131:
	s_mov_b32 s8, 0
	s_add_u32 s6, s36, 0x200
	s_addc_u32 s7, s37, 0
	s_and_b32 s9, s0, 0xff000000
	s_and_b32 s11, s0, 0xff0000
	s_mov_b32 s10, s8
	v_mov_b32_e32 v26, s7
	s_or_b64 s[10:11], s[10:11], s[8:9]
	s_and_b32 s9, s0, 0xff00
	v_dual_mov_b32 v8, 0 :: v_dual_mov_b32 v25, s6
	s_or_b64 s[10:11], s[10:11], s[8:9]
	s_and_b32 s9, s0, 0xff
	v_mov_b32_e32 v7, 2
	s_or_b64 s[8:9], s[10:11], s[8:9]
	s_delay_alu instid0(SALU_CYCLE_1)
	v_mov_b32_e32 v6, s9
	;;#ASMSTART
	global_store_dwordx4 v[25:26], v[5:8] off	
s_waitcnt vmcnt(0)
	;;#ASMEND
.LBB861_132:
	s_or_b32 exec_lo, exec_lo, s1
	v_cmp_eq_u32_e32 vcc_lo, 0, v82
	v_dual_mov_b32 v7, 0 :: v_dual_mov_b32 v6, s0
	s_waitcnt lgkmcnt(0)
	s_barrier
	v_dual_cndmask_b32 v8, v9, v22 :: v_dual_cndmask_b32 v9, v24, v23
	buffer_gl0_inv
	v_cndmask_b32_e64 v22, v8, 0, s2
	v_cndmask_b32_e64 v9, v9, 0, s2
	v_mov_b32_e32 v8, 0
.LBB861_133:
	s_delay_alu instid0(VALU_DEP_1) | instskip(SKIP_1) | instid1(VALU_DEP_2)
	v_add_nc_u32_e32 v24, v9, v81
	s_waitcnt lgkmcnt(0)
	v_sub_nc_u32_e32 v9, v9, v8
	v_add_co_u32 v1, vcc_lo, v1, v7
	v_and_b32_e32 v35, 1, v35
	v_add_nc_u32_e32 v26, v24, v77
	v_sub_nc_u32_e32 v24, v24, v8
	v_lshlrev_b32_e32 v77, 1, v5
	v_add_nc_u32_e32 v9, v9, v5
	v_add_co_ci_u32_e32 v2, vcc_lo, 0, v2, vcc_lo
	v_add_nc_u32_e32 v28, v26, v79
	s_delay_alu instid0(VALU_DEP_4)
	v_add3_u32 v33, v77, v6, v33
	v_and_b32_e32 v40, 1, v40
	v_and_b32_e32 v37, 1, v37
	;; [unrolled: 1-line block ×3, first 2 shown]
	v_add_nc_u32_e32 v29, v28, v75
	v_sub_nc_u32_e32 v28, v28, v8
	v_sub_co_u32 v75, vcc_lo, v3, v5
	s_add_u32 s1, s14, -4
	s_delay_alu instid0(VALU_DEP_3) | instskip(SKIP_4) | instid1(VALU_DEP_3)
	v_add_nc_u32_e32 v73, v29, v73
	v_sub_nc_u32_e32 v29, v29, v8
	v_add_nc_u32_e32 v28, v28, v5
	v_add_nc_u32_e32 v24, v24, v5
	s_mov_b32 s3, -1
	v_add_nc_u32_e32 v29, v29, v5
	v_add_nc_u32_e32 v23, v22, v80
	v_sub_nc_u32_e32 v22, v22, v7
	s_delay_alu instid0(VALU_DEP_2) | instskip(SKIP_3) | instid1(VALU_DEP_3)
	v_add_nc_u32_e32 v25, v23, v76
	v_sub_nc_u32_e32 v23, v23, v7
	v_subrev_co_ci_u32_e32 v76, vcc_lo, 0, v4, vcc_lo
	v_cmp_eq_u32_e32 vcc_lo, 1, v35
	v_add_nc_u32_e32 v79, v24, v23
	s_delay_alu instid0(VALU_DEP_1) | instskip(NEXT) | instid1(VALU_DEP_1)
	v_sub_nc_u32_e32 v79, v33, v79
	v_add_nc_u32_e32 v79, 1, v79
	v_add_nc_u32_e32 v27, v25, v78
	;; [unrolled: 1-line block ×3, first 2 shown]
	s_delay_alu instid0(VALU_DEP_1) | instskip(NEXT) | instid1(VALU_DEP_1)
	v_sub_nc_u32_e32 v78, v33, v78
	v_dual_cndmask_b32 v9, v78, v9 :: v_dual_and_b32 v34, 1, v34
	v_cmp_eq_u32_e32 vcc_lo, 1, v40
	v_cndmask_b32_e32 v24, v79, v24, vcc_lo
	s_delay_alu instid0(VALU_DEP_3) | instskip(NEXT) | instid1(VALU_DEP_4)
	v_cmp_eq_u32_e32 vcc_lo, 1, v34
	v_cndmask_b32_e32 v9, v9, v22, vcc_lo
	v_sub_nc_u32_e32 v26, v26, v8
	v_cmp_eq_u32_e32 vcc_lo, 1, v37
	v_and_b32_e32 v37, 1, v38
	s_delay_alu instid0(VALU_DEP_4) | instskip(NEXT) | instid1(VALU_DEP_4)
	v_lshlrev_b32_e32 v9, 2, v9
	v_add_nc_u32_e32 v26, v26, v5
	v_cndmask_b32_e32 v24, v24, v23, vcc_lo
	v_sub_nc_u32_e32 v25, v25, v7
	v_add_co_u32 v22, vcc_lo, v75, v8
	v_add_co_ci_u32_e32 v23, vcc_lo, 0, v76, vcc_lo
	s_delay_alu instid0(VALU_DEP_3)
	v_add_nc_u32_e32 v34, v26, v25
	v_cmp_eq_u32_e32 vcc_lo, 1, v37
	v_lshlrev_b32_e32 v24, 2, v24
	ds_store_b32 v9, v20
	v_sub_nc_u32_e32 v34, v33, v34
	ds_store_b32 v24, v21
	v_and_b32_e32 v24, 1, v39
	v_add_nc_u32_e32 v34, 2, v34
	s_delay_alu instid0(VALU_DEP_1) | instskip(SKIP_3) | instid1(VALU_DEP_4)
	v_cndmask_b32_e32 v26, v34, v26, vcc_lo
	v_cmp_eq_u32_e32 vcc_lo, 1, v36
	v_add_nc_u32_e32 v74, v27, v74
	v_sub_nc_u32_e32 v27, v27, v7
	v_cndmask_b32_e32 v25, v26, v25, vcc_lo
	s_delay_alu instid0(VALU_DEP_3) | instskip(NEXT) | instid1(VALU_DEP_3)
	v_sub_nc_u32_e32 v37, v74, v7
	v_add_nc_u32_e32 v34, v27, v28
	v_cmp_eq_u32_e32 vcc_lo, 1, v24
	v_sub_nc_u32_e32 v26, v73, v8
	v_lshlrev_b32_e32 v21, 2, v25
	v_and_b32_e32 v25, 1, v41
	v_sub_nc_u32_e32 v9, v33, v34
	v_add_nc_u32_e32 v20, v37, v29
	v_and_b32_e32 v24, 1, v42
	v_add_nc_u32_e32 v26, v26, v5
	ds_store_b32 v21, v18
	v_add_nc_u32_e32 v9, 3, v9
	v_sub_nc_u32_e32 v20, v33, v20
	s_delay_alu instid0(VALU_DEP_2) | instskip(SKIP_2) | instid1(VALU_DEP_4)
	v_cndmask_b32_e32 v9, v9, v28, vcc_lo
	v_cmp_eq_u32_e32 vcc_lo, 1, v25
	v_add_nc_u32_e32 v72, v74, v72
	v_add_nc_u32_e32 v20, 4, v20
	v_and_b32_e32 v25, 1, v43
	v_cndmask_b32_e32 v9, v9, v27, vcc_lo
	s_delay_alu instid0(VALU_DEP_4)
	v_sub_nc_u32_e32 v28, v72, v7
	v_cmp_eq_u32_e32 vcc_lo, 1, v24
	v_and_b32_e32 v24, 1, v44
	v_add_nc_u32_e32 v70, v72, v70
	v_lshlrev_b32_e32 v9, 2, v9
	v_add_nc_u32_e32 v27, v28, v26
	v_cndmask_b32_e32 v20, v20, v29, vcc_lo
	v_cmp_eq_u32_e32 vcc_lo, 1, v25
	v_and_b32_e32 v25, 1, v45
	v_add_nc_u32_e32 v64, v70, v64
	v_sub_nc_u32_e32 v18, v33, v27
	v_sub_nc_u32_e32 v27, v70, v7
	v_cndmask_b32_e32 v20, v20, v37, vcc_lo
	v_cmp_eq_u32_e32 vcc_lo, 1, v24
	ds_store_b32 v9, v19
	v_add_nc_u32_e32 v18, 5, v18
	v_and_b32_e32 v19, 1, v46
	v_lshlrev_b32_e32 v20, 2, v20
	v_add_nc_u32_e32 v68, v64, v68
	s_delay_alu instid0(VALU_DEP_4)
	v_cndmask_b32_e32 v18, v18, v26, vcc_lo
	v_cmp_eq_u32_e32 vcc_lo, 1, v25
	v_sub_nc_u32_e32 v25, v64, v7
	ds_store_b32 v20, v16
	v_and_b32_e32 v20, 1, v49
	v_add_nc_u32_e32 v66, v68, v66
	v_dual_cndmask_b32 v18, v18, v28 :: v_dual_add_nc_u32 v71, v73, v71
	v_cmp_eq_u32_e32 vcc_lo, 1, v19
	v_and_b32_e32 v19, 1, v48
	s_delay_alu instid0(VALU_DEP_4) | instskip(NEXT) | instid1(VALU_DEP_4)
	v_add_nc_u32_e32 v61, v66, v61
	v_lshlrev_b32_e32 v18, 2, v18
	v_add_nc_u32_e32 v65, v71, v65
	v_sub_nc_u32_e32 v21, v71, v8
	s_delay_alu instid0(VALU_DEP_4)
	v_add_nc_u32_e32 v60, v61, v60
	ds_store_b32 v18, v17
	v_sub_nc_u32_e32 v24, v65, v8
	v_add_nc_u32_e32 v21, v21, v5
	v_add_nc_u32_e32 v69, v65, v69
	v_and_b32_e32 v17, 1, v47
	s_delay_alu instid0(VALU_DEP_4) | instskip(NEXT) | instid1(VALU_DEP_4)
	v_add_nc_u32_e32 v24, v24, v5
	v_add_nc_u32_e32 v26, v27, v21
	s_delay_alu instid0(VALU_DEP_4) | instskip(NEXT) | instid1(VALU_DEP_3)
	v_sub_nc_u32_e32 v18, v69, v8
	v_add_nc_u32_e32 v16, v25, v24
	s_delay_alu instid0(VALU_DEP_3) | instskip(NEXT) | instid1(VALU_DEP_3)
	v_sub_nc_u32_e32 v9, v33, v26
	v_add_nc_u32_e32 v18, v18, v5
	v_sub_nc_u32_e32 v26, v60, v7
	s_delay_alu instid0(VALU_DEP_4) | instskip(NEXT) | instid1(VALU_DEP_4)
	v_sub_nc_u32_e32 v16, v33, v16
	v_add_nc_u32_e32 v9, 6, v9
	s_delay_alu instid0(VALU_DEP_1) | instskip(SKIP_2) | instid1(VALU_DEP_3)
	v_dual_cndmask_b32 v9, v9, v21 :: v_dual_add_nc_u32 v16, 7, v16
	v_cmp_eq_u32_e32 vcc_lo, 1, v19
	v_sub_nc_u32_e32 v21, v68, v7
	v_cndmask_b32_e32 v16, v16, v24, vcc_lo
	v_cmp_eq_u32_e32 vcc_lo, 1, v17
	s_delay_alu instid0(VALU_DEP_3) | instskip(SKIP_3) | instid1(VALU_DEP_4)
	v_add_nc_u32_e32 v17, v21, v18
	v_cndmask_b32_e32 v9, v9, v27, vcc_lo
	v_cmp_eq_u32_e32 vcc_lo, 1, v20
	v_add_nc_u32_e32 v67, v69, v67
	v_sub_nc_u32_e32 v17, v33, v17
	v_sub_nc_u32_e32 v20, v66, v7
	v_lshlrev_b32_e32 v9, 2, v9
	v_cndmask_b32_e32 v16, v16, v25, vcc_lo
	v_sub_nc_u32_e32 v19, v67, v8
	v_add_nc_u32_e32 v62, v67, v62
	v_sub_nc_u32_e32 v25, v61, v7
	ds_store_b32 v9, v14
	v_and_b32_e32 v9, 1, v50
	v_add_nc_u32_e32 v19, v19, v5
	v_add_nc_u32_e32 v14, 8, v17
	v_lshlrev_b32_e32 v16, 2, v16
	v_add_nc_u32_e32 v63, v62, v63
	v_cmp_eq_u32_e32 vcc_lo, 1, v9
	v_add_nc_u32_e32 v17, v20, v19
	ds_store_b32 v16, v15
	v_and_b32_e32 v15, 1, v51
	v_cndmask_b32_e32 v9, v14, v18, vcc_lo
	v_sub_nc_u32_e32 v14, v33, v17
	v_and_b32_e32 v18, 1, v52
	v_sub_nc_u32_e32 v17, v62, v8
	v_and_b32_e32 v16, 1, v54
	v_sub_nc_u32_e32 v24, v63, v8
	v_add_nc_u32_e32 v14, 9, v14
	v_cmp_eq_u32_e32 vcc_lo, 1, v18
	v_add_nc_u32_e32 v17, v17, v5
	v_add_nc_u32_e32 v35, v63, v59
	;; [unrolled: 1-line block ×3, first 2 shown]
	v_cndmask_b32_e32 v14, v14, v19, vcc_lo
	v_cmp_eq_u32_e32 vcc_lo, 1, v15
	v_add_nc_u32_e32 v15, v25, v17
	s_delay_alu instid0(VALU_DEP_4)
	v_add_nc_u32_e32 v18, v26, v24
	v_and_b32_e32 v19, 1, v55
	v_cndmask_b32_e32 v9, v9, v21, vcc_lo
	v_cmp_eq_u32_e32 vcc_lo, 1, v16
	v_sub_nc_u32_e32 v15, v33, v15
	v_sub_nc_u32_e32 v18, v33, v18
	v_and_b32_e32 v21, 1, v57
	v_sub_nc_u32_e32 v16, v35, v8
	v_cndmask_b32_e32 v14, v14, v20, vcc_lo
	v_and_b32_e32 v20, 1, v53
	v_add_nc_u32_e32 v15, 10, v15
	v_add_nc_u32_e32 v18, 11, v18
	;; [unrolled: 1-line block ×3, first 2 shown]
	v_lshlrev_b32_e32 v9, 2, v9
	v_cmp_eq_u32_e32 vcc_lo, 1, v20
	v_dual_cndmask_b32 v15, v15, v17 :: v_dual_lshlrev_b32 v14, 2, v14
	v_cmp_eq_u32_e32 vcc_lo, 1, v21
	v_and_b32_e32 v17, 1, v56
	v_cndmask_b32_e32 v18, v18, v24, vcc_lo
	v_cmp_eq_u32_e32 vcc_lo, 1, v19
	v_cndmask_b32_e32 v15, v15, v25, vcc_lo
	s_delay_alu instid0(VALU_DEP_4) | instskip(NEXT) | instid1(VALU_DEP_2)
	v_cmp_eq_u32_e32 vcc_lo, 1, v17
	v_lshlrev_b32_e32 v15, 2, v15
	v_cndmask_b32_e32 v17, v18, v26, vcc_lo
	v_add_nc_u32_e32 v40, v60, v58
	s_delay_alu instid0(VALU_DEP_2) | instskip(NEXT) | instid1(VALU_DEP_2)
	v_lshlrev_b32_e32 v17, 2, v17
	v_sub_nc_u32_e32 v7, v40, v7
	ds_store_b32 v9, v12
	ds_store_b32 v14, v13
	;; [unrolled: 1-line block ×4, first 2 shown]
	v_add_co_u32 v9, s0, v6, v77
	s_delay_alu instid0(VALU_DEP_1) | instskip(SKIP_1) | instid1(VALU_DEP_3)
	v_add_co_ci_u32_e64 v10, null, 0, 0, s0
	v_add_nc_u32_e32 v27, v7, v16
	v_add_co_u32 v9, vcc_lo, v9, v22
	s_delay_alu instid0(VALU_DEP_3) | instskip(NEXT) | instid1(VALU_DEP_3)
	v_add_co_ci_u32_e32 v10, vcc_lo, v10, v23, vcc_lo
	v_sub_nc_u32_e32 v20, v33, v27
	v_add_co_u32 v11, s0, s34, v30
	s_delay_alu instid0(VALU_DEP_4) | instskip(NEXT) | instid1(VALU_DEP_3)
	v_add_co_u32 v9, vcc_lo, v9, v1
	v_add_nc_u32_e32 v18, 12, v20
	v_add_co_ci_u32_e64 v12, null, s35, 0, s0
	v_add_co_ci_u32_e32 v10, vcc_lo, v10, v2, vcc_lo
	s_delay_alu instid0(VALU_DEP_3) | instskip(SKIP_1) | instid1(VALU_DEP_2)
	v_cndmask_b32_e64 v16, v18, v16, s33
	v_add_nc_u32_e32 v14, v5, v6
	v_cndmask_b32_e64 v7, v16, v7, s27
	s_delay_alu instid0(VALU_DEP_1)
	v_lshlrev_b32_e32 v7, 2, v7
	ds_store_b32 v7, v32
	v_sub_co_u32 v7, vcc_lo, v11, v9
	v_sub_co_ci_u32_e32 v13, vcc_lo, v12, v10, vcc_lo
	v_lshlrev_b64 v[9:10], 2, v[22:23]
	v_lshlrev_b64 v[11:12], 2, v[1:2]
	s_waitcnt lgkmcnt(0)
	s_barrier
	buffer_gl0_inv
	v_add_co_u32 v9, vcc_lo, s30, v9
	v_add_co_ci_u32_e32 v10, vcc_lo, s31, v10, vcc_lo
	v_cmp_ne_u32_e32 vcc_lo, 1, v31
	v_add_co_u32 v11, s0, s28, v11
	s_delay_alu instid0(VALU_DEP_1)
	v_add_co_ci_u32_e64 v12, s0, s29, v12, s0
	s_addc_u32 s0, s15, -1
	s_cbranch_vccz .LBB861_137
; %bb.134:
	s_and_b32 vcc_lo, exec_lo, s3
	s_cbranch_vccnz .LBB861_242
.LBB861_135:
	s_and_b32 s0, s2, s13
	s_delay_alu instid0(SALU_CYCLE_1)
	s_and_saveexec_b32 s1, s0
	s_cbranch_execnz .LBB861_360
.LBB861_136:
	s_nop 0
	s_sendmsg sendmsg(MSG_DEALLOC_VGPRS)
	s_endpgm
.LBB861_137:
	s_mov_b32 s3, exec_lo
	v_cmpx_le_u32_e64 v5, v0
	s_xor_b32 s3, exec_lo, s3
	s_cbranch_execz .LBB861_143
; %bb.138:
	s_mov_b32 s5, exec_lo
	v_cmpx_le_u32_e64 v14, v0
	s_xor_b32 s5, exec_lo, s5
	s_cbranch_execz .LBB861_140
; %bb.139:
	v_lshlrev_b32_e32 v15, 2, v0
	ds_load_b32 v17, v15
	v_add_co_u32 v15, vcc_lo, v7, v0
	v_add_co_ci_u32_e32 v16, vcc_lo, 0, v13, vcc_lo
	s_delay_alu instid0(VALU_DEP_1) | instskip(NEXT) | instid1(VALU_DEP_1)
	v_lshlrev_b64 v[15:16], 2, v[15:16]
	v_sub_co_u32 v15, vcc_lo, s14, v15
	s_delay_alu instid0(VALU_DEP_2)
	v_sub_co_ci_u32_e32 v16, vcc_lo, s15, v16, vcc_lo
	s_waitcnt lgkmcnt(0)
	global_store_b32 v[15:16], v17, off offset:-4
.LBB861_140:
	s_and_not1_saveexec_b32 s5, s5
	s_cbranch_execz .LBB861_142
; %bb.141:
	v_lshlrev_b32_e32 v15, 2, v0
	v_readfirstlane_b32 s6, v9
	v_readfirstlane_b32 s7, v10
	ds_load_b32 v16, v15
	s_waitcnt lgkmcnt(0)
	global_store_b32 v15, v16, s[6:7]
.LBB861_142:
	s_or_b32 exec_lo, exec_lo, s5
.LBB861_143:
	s_and_not1_saveexec_b32 s3, s3
	s_cbranch_execz .LBB861_145
; %bb.144:
	v_lshlrev_b32_e32 v15, 2, v0
	v_readfirstlane_b32 s6, v11
	v_readfirstlane_b32 s7, v12
	ds_load_b32 v16, v15
	s_waitcnt lgkmcnt(0)
	global_store_b32 v15, v16, s[6:7]
.LBB861_145:
	s_or_b32 exec_lo, exec_lo, s3
	v_or_b32_e32 v15, 0x100, v0
	s_mov_b32 s3, exec_lo
	s_delay_alu instid0(VALU_DEP_1)
	v_cmpx_le_u32_e64 v5, v15
	s_xor_b32 s3, exec_lo, s3
	s_cbranch_execz .LBB861_151
; %bb.146:
	s_mov_b32 s5, exec_lo
	v_cmpx_le_u32_e64 v14, v15
	s_xor_b32 s5, exec_lo, s5
	s_cbranch_execz .LBB861_148
; %bb.147:
	v_lshlrev_b32_e32 v15, 2, v0
	ds_load_b32 v17, v15 offset:1024
	v_add_co_u32 v15, vcc_lo, v7, v0
	v_add_co_ci_u32_e32 v16, vcc_lo, 0, v13, vcc_lo
	s_delay_alu instid0(VALU_DEP_1) | instskip(NEXT) | instid1(VALU_DEP_1)
	v_lshlrev_b64 v[15:16], 2, v[15:16]
	v_sub_co_u32 v15, vcc_lo, s1, v15
	s_delay_alu instid0(VALU_DEP_2)
	v_sub_co_ci_u32_e32 v16, vcc_lo, s0, v16, vcc_lo
	s_waitcnt lgkmcnt(0)
	global_store_b32 v[15:16], v17, off offset:-1024
.LBB861_148:
	s_and_not1_saveexec_b32 s5, s5
	s_cbranch_execz .LBB861_150
; %bb.149:
	v_lshlrev_b32_e32 v15, 2, v0
	v_readfirstlane_b32 s6, v9
	v_readfirstlane_b32 s7, v10
	ds_load_b32 v16, v15 offset:1024
	s_waitcnt lgkmcnt(0)
	global_store_b32 v15, v16, s[6:7] offset:1024
.LBB861_150:
	s_or_b32 exec_lo, exec_lo, s5
.LBB861_151:
	s_and_not1_saveexec_b32 s3, s3
	s_cbranch_execz .LBB861_153
; %bb.152:
	v_lshlrev_b32_e32 v15, 2, v0
	v_readfirstlane_b32 s6, v11
	v_readfirstlane_b32 s7, v12
	ds_load_b32 v16, v15 offset:1024
	s_waitcnt lgkmcnt(0)
	global_store_b32 v15, v16, s[6:7] offset:1024
.LBB861_153:
	s_or_b32 exec_lo, exec_lo, s3
	v_or_b32_e32 v15, 0x200, v0
	s_mov_b32 s3, exec_lo
	s_delay_alu instid0(VALU_DEP_1)
	v_cmpx_le_u32_e64 v5, v15
	s_xor_b32 s3, exec_lo, s3
	s_cbranch_execz .LBB861_159
; %bb.154:
	s_mov_b32 s5, exec_lo
	v_cmpx_le_u32_e64 v14, v15
	s_xor_b32 s5, exec_lo, s5
	s_cbranch_execz .LBB861_156
; %bb.155:
	v_lshlrev_b32_e32 v15, 2, v0
	ds_load_b32 v17, v15 offset:2048
	v_add_co_u32 v15, vcc_lo, v7, v0
	v_add_co_ci_u32_e32 v16, vcc_lo, 0, v13, vcc_lo
	s_delay_alu instid0(VALU_DEP_1) | instskip(NEXT) | instid1(VALU_DEP_1)
	v_lshlrev_b64 v[15:16], 2, v[15:16]
	v_sub_co_u32 v15, vcc_lo, s1, v15
	s_delay_alu instid0(VALU_DEP_2)
	v_sub_co_ci_u32_e32 v16, vcc_lo, s0, v16, vcc_lo
	s_waitcnt lgkmcnt(0)
	global_store_b32 v[15:16], v17, off offset:-2048
.LBB861_156:
	s_and_not1_saveexec_b32 s5, s5
	s_cbranch_execz .LBB861_158
; %bb.157:
	v_lshlrev_b32_e32 v15, 2, v0
	v_readfirstlane_b32 s6, v9
	v_readfirstlane_b32 s7, v10
	ds_load_b32 v16, v15 offset:2048
	s_waitcnt lgkmcnt(0)
	global_store_b32 v15, v16, s[6:7] offset:2048
.LBB861_158:
	s_or_b32 exec_lo, exec_lo, s5
.LBB861_159:
	s_and_not1_saveexec_b32 s3, s3
	s_cbranch_execz .LBB861_161
; %bb.160:
	v_lshlrev_b32_e32 v15, 2, v0
	v_readfirstlane_b32 s6, v11
	v_readfirstlane_b32 s7, v12
	ds_load_b32 v16, v15 offset:2048
	s_waitcnt lgkmcnt(0)
	global_store_b32 v15, v16, s[6:7] offset:2048
.LBB861_161:
	;; [unrolled: 47-line block ×3, first 2 shown]
	s_or_b32 exec_lo, exec_lo, s3
	v_or_b32_e32 v15, 0x400, v0
	s_mov_b32 s3, exec_lo
	s_delay_alu instid0(VALU_DEP_1)
	v_cmpx_le_u32_e64 v5, v15
	s_xor_b32 s3, exec_lo, s3
	s_cbranch_execz .LBB861_175
; %bb.170:
	s_mov_b32 s5, exec_lo
	v_cmpx_le_u32_e64 v14, v15
	s_xor_b32 s5, exec_lo, s5
	s_cbranch_execz .LBB861_172
; %bb.171:
	v_lshlrev_b32_e32 v15, 2, v0
	ds_load_b32 v17, v15 offset:4096
	v_add_co_u32 v15, vcc_lo, v7, v0
	v_add_co_ci_u32_e32 v16, vcc_lo, 0, v13, vcc_lo
	s_delay_alu instid0(VALU_DEP_1) | instskip(NEXT) | instid1(VALU_DEP_1)
	v_lshlrev_b64 v[15:16], 2, v[15:16]
	v_sub_co_u32 v15, vcc_lo, s1, v15
	s_delay_alu instid0(VALU_DEP_2)
	v_sub_co_ci_u32_e32 v16, vcc_lo, s0, v16, vcc_lo
	s_waitcnt lgkmcnt(0)
	global_store_b32 v[15:16], v17, off offset:-4096
                                        ; implicit-def: $vgpr15
.LBB861_172:
	s_and_not1_saveexec_b32 s5, s5
	s_cbranch_execz .LBB861_174
; %bb.173:
	v_lshlrev_b32_e32 v16, 2, v0
	v_lshlrev_b32_e32 v15, 2, v15
	v_readfirstlane_b32 s6, v9
	v_readfirstlane_b32 s7, v10
	ds_load_b32 v16, v16 offset:4096
	s_waitcnt lgkmcnt(0)
	global_store_b32 v15, v16, s[6:7]
.LBB861_174:
	s_or_b32 exec_lo, exec_lo, s5
                                        ; implicit-def: $vgpr15
.LBB861_175:
	s_and_not1_saveexec_b32 s3, s3
	s_cbranch_execz .LBB861_177
; %bb.176:
	v_lshlrev_b32_e32 v16, 2, v0
	v_lshlrev_b32_e32 v15, 2, v15
	v_readfirstlane_b32 s6, v11
	v_readfirstlane_b32 s7, v12
	ds_load_b32 v16, v16 offset:4096
	s_waitcnt lgkmcnt(0)
	global_store_b32 v15, v16, s[6:7]
.LBB861_177:
	s_or_b32 exec_lo, exec_lo, s3
	v_or_b32_e32 v15, 0x500, v0
	s_mov_b32 s3, exec_lo
	s_delay_alu instid0(VALU_DEP_1)
	v_cmpx_le_u32_e64 v5, v15
	s_xor_b32 s3, exec_lo, s3
	s_cbranch_execz .LBB861_183
; %bb.178:
	s_mov_b32 s5, exec_lo
	v_cmpx_le_u32_e64 v14, v15
	s_xor_b32 s5, exec_lo, s5
	s_cbranch_execz .LBB861_180
; %bb.179:
	v_lshlrev_b32_e32 v16, 2, v0
	v_add_co_u32 v15, vcc_lo, v7, v15
	ds_load_b32 v17, v16 offset:5120
	v_add_co_ci_u32_e32 v16, vcc_lo, 0, v13, vcc_lo
	s_delay_alu instid0(VALU_DEP_1) | instskip(NEXT) | instid1(VALU_DEP_1)
	v_lshlrev_b64 v[15:16], 2, v[15:16]
	v_sub_co_u32 v15, vcc_lo, s1, v15
	s_delay_alu instid0(VALU_DEP_2)
	v_sub_co_ci_u32_e32 v16, vcc_lo, s0, v16, vcc_lo
	s_waitcnt lgkmcnt(0)
	global_store_b32 v[15:16], v17, off
                                        ; implicit-def: $vgpr15
.LBB861_180:
	s_and_not1_saveexec_b32 s5, s5
	s_cbranch_execz .LBB861_182
; %bb.181:
	v_lshlrev_b32_e32 v16, 2, v0
	v_lshlrev_b32_e32 v15, 2, v15
	v_readfirstlane_b32 s6, v9
	v_readfirstlane_b32 s7, v10
	ds_load_b32 v16, v16 offset:5120
	s_waitcnt lgkmcnt(0)
	global_store_b32 v15, v16, s[6:7]
.LBB861_182:
	s_or_b32 exec_lo, exec_lo, s5
                                        ; implicit-def: $vgpr15
.LBB861_183:
	s_and_not1_saveexec_b32 s3, s3
	s_cbranch_execz .LBB861_185
; %bb.184:
	v_lshlrev_b32_e32 v16, 2, v0
	v_lshlrev_b32_e32 v15, 2, v15
	v_readfirstlane_b32 s6, v11
	v_readfirstlane_b32 s7, v12
	ds_load_b32 v16, v16 offset:5120
	s_waitcnt lgkmcnt(0)
	global_store_b32 v15, v16, s[6:7]
.LBB861_185:
	s_or_b32 exec_lo, exec_lo, s3
	v_or_b32_e32 v15, 0x600, v0
	s_mov_b32 s3, exec_lo
	s_delay_alu instid0(VALU_DEP_1)
	v_cmpx_le_u32_e64 v5, v15
	s_xor_b32 s3, exec_lo, s3
	s_cbranch_execz .LBB861_191
; %bb.186:
	s_mov_b32 s5, exec_lo
	v_cmpx_le_u32_e64 v14, v15
	s_xor_b32 s5, exec_lo, s5
	s_cbranch_execz .LBB861_188
; %bb.187:
	v_lshlrev_b32_e32 v16, 2, v0
	v_add_co_u32 v15, vcc_lo, v7, v15
	ds_load_b32 v17, v16 offset:6144
	v_add_co_ci_u32_e32 v16, vcc_lo, 0, v13, vcc_lo
	s_delay_alu instid0(VALU_DEP_1) | instskip(NEXT) | instid1(VALU_DEP_1)
	v_lshlrev_b64 v[15:16], 2, v[15:16]
	v_sub_co_u32 v15, vcc_lo, s1, v15
	s_delay_alu instid0(VALU_DEP_2)
	v_sub_co_ci_u32_e32 v16, vcc_lo, s0, v16, vcc_lo
	s_waitcnt lgkmcnt(0)
	global_store_b32 v[15:16], v17, off
                                        ; implicit-def: $vgpr15
.LBB861_188:
	s_and_not1_saveexec_b32 s5, s5
	s_cbranch_execz .LBB861_190
; %bb.189:
	v_lshlrev_b32_e32 v16, 2, v0
	v_lshlrev_b32_e32 v15, 2, v15
	v_readfirstlane_b32 s6, v9
	v_readfirstlane_b32 s7, v10
	ds_load_b32 v16, v16 offset:6144
	s_waitcnt lgkmcnt(0)
	global_store_b32 v15, v16, s[6:7]
.LBB861_190:
	s_or_b32 exec_lo, exec_lo, s5
                                        ; implicit-def: $vgpr15
.LBB861_191:
	;; [unrolled: 51-line block ×8, first 2 shown]
	s_and_not1_saveexec_b32 s3, s3
	s_cbranch_execz .LBB861_241
; %bb.240:
	v_lshlrev_b32_e32 v16, 2, v0
	v_lshlrev_b32_e32 v15, 2, v15
	v_readfirstlane_b32 s6, v11
	v_readfirstlane_b32 s7, v12
	ds_load_b32 v16, v16 offset:12288
	s_waitcnt lgkmcnt(0)
	global_store_b32 v15, v16, s[6:7]
.LBB861_241:
	s_or_b32 exec_lo, exec_lo, s3
	s_branch .LBB861_135
.LBB861_242:
	s_mov_b32 s3, exec_lo
	v_cmpx_gt_u32_e64 s4, v0
	s_cbranch_execz .LBB861_251
; %bb.243:
	s_mov_b32 s5, exec_lo
	v_cmpx_le_u32_e64 v5, v0
	s_xor_b32 s5, exec_lo, s5
	s_cbranch_execz .LBB861_249
; %bb.244:
	s_mov_b32 s6, exec_lo
	v_cmpx_le_u32_e64 v14, v0
	s_xor_b32 s6, exec_lo, s6
	s_cbranch_execz .LBB861_246
; %bb.245:
	v_lshlrev_b32_e32 v15, 2, v0
	ds_load_b32 v17, v15
	v_add_co_u32 v15, vcc_lo, v7, v0
	v_add_co_ci_u32_e32 v16, vcc_lo, 0, v13, vcc_lo
	s_delay_alu instid0(VALU_DEP_1) | instskip(NEXT) | instid1(VALU_DEP_1)
	v_lshlrev_b64 v[15:16], 2, v[15:16]
	v_sub_co_u32 v15, vcc_lo, s14, v15
	s_delay_alu instid0(VALU_DEP_2)
	v_sub_co_ci_u32_e32 v16, vcc_lo, s15, v16, vcc_lo
	s_waitcnt lgkmcnt(0)
	global_store_b32 v[15:16], v17, off offset:-4
.LBB861_246:
	s_and_not1_saveexec_b32 s6, s6
	s_cbranch_execz .LBB861_248
; %bb.247:
	v_lshlrev_b32_e32 v15, 2, v0
	v_readfirstlane_b32 s8, v9
	v_readfirstlane_b32 s9, v10
	ds_load_b32 v16, v15
	s_waitcnt lgkmcnt(0)
	global_store_b32 v15, v16, s[8:9]
.LBB861_248:
	s_or_b32 exec_lo, exec_lo, s6
.LBB861_249:
	s_and_not1_saveexec_b32 s5, s5
	s_cbranch_execz .LBB861_251
; %bb.250:
	v_lshlrev_b32_e32 v15, 2, v0
	v_readfirstlane_b32 s6, v11
	v_readfirstlane_b32 s7, v12
	ds_load_b32 v16, v15
	s_waitcnt lgkmcnt(0)
	global_store_b32 v15, v16, s[6:7]
.LBB861_251:
	s_or_b32 exec_lo, exec_lo, s3
	v_or_b32_e32 v15, 0x100, v0
	s_mov_b32 s3, exec_lo
	s_delay_alu instid0(VALU_DEP_1)
	v_cmpx_gt_u32_e64 s4, v15
	s_cbranch_execz .LBB861_260
; %bb.252:
	s_mov_b32 s5, exec_lo
	v_cmpx_le_u32_e64 v5, v15
	s_xor_b32 s5, exec_lo, s5
	s_cbranch_execz .LBB861_258
; %bb.253:
	s_mov_b32 s6, exec_lo
	v_cmpx_le_u32_e64 v14, v15
	s_xor_b32 s6, exec_lo, s6
	s_cbranch_execz .LBB861_255
; %bb.254:
	v_lshlrev_b32_e32 v15, 2, v0
	ds_load_b32 v17, v15 offset:1024
	v_add_co_u32 v15, vcc_lo, v7, v0
	v_add_co_ci_u32_e32 v16, vcc_lo, 0, v13, vcc_lo
	s_delay_alu instid0(VALU_DEP_1) | instskip(NEXT) | instid1(VALU_DEP_1)
	v_lshlrev_b64 v[15:16], 2, v[15:16]
	v_sub_co_u32 v15, vcc_lo, s1, v15
	s_delay_alu instid0(VALU_DEP_2)
	v_sub_co_ci_u32_e32 v16, vcc_lo, s0, v16, vcc_lo
	s_waitcnt lgkmcnt(0)
	global_store_b32 v[15:16], v17, off offset:-1024
.LBB861_255:
	s_and_not1_saveexec_b32 s6, s6
	s_cbranch_execz .LBB861_257
; %bb.256:
	v_lshlrev_b32_e32 v15, 2, v0
	v_readfirstlane_b32 s8, v9
	v_readfirstlane_b32 s9, v10
	ds_load_b32 v16, v15 offset:1024
	s_waitcnt lgkmcnt(0)
	global_store_b32 v15, v16, s[8:9] offset:1024
.LBB861_257:
	s_or_b32 exec_lo, exec_lo, s6
.LBB861_258:
	s_and_not1_saveexec_b32 s5, s5
	s_cbranch_execz .LBB861_260
; %bb.259:
	v_lshlrev_b32_e32 v15, 2, v0
	v_readfirstlane_b32 s6, v11
	v_readfirstlane_b32 s7, v12
	ds_load_b32 v16, v15 offset:1024
	s_waitcnt lgkmcnt(0)
	global_store_b32 v15, v16, s[6:7] offset:1024
.LBB861_260:
	s_or_b32 exec_lo, exec_lo, s3
	v_or_b32_e32 v15, 0x200, v0
	s_mov_b32 s3, exec_lo
	s_delay_alu instid0(VALU_DEP_1)
	v_cmpx_gt_u32_e64 s4, v15
	s_cbranch_execz .LBB861_269
; %bb.261:
	s_mov_b32 s5, exec_lo
	v_cmpx_le_u32_e64 v5, v15
	s_xor_b32 s5, exec_lo, s5
	s_cbranch_execz .LBB861_267
; %bb.262:
	s_mov_b32 s6, exec_lo
	v_cmpx_le_u32_e64 v14, v15
	s_xor_b32 s6, exec_lo, s6
	s_cbranch_execz .LBB861_264
; %bb.263:
	v_lshlrev_b32_e32 v15, 2, v0
	ds_load_b32 v17, v15 offset:2048
	v_add_co_u32 v15, vcc_lo, v7, v0
	v_add_co_ci_u32_e32 v16, vcc_lo, 0, v13, vcc_lo
	s_delay_alu instid0(VALU_DEP_1) | instskip(NEXT) | instid1(VALU_DEP_1)
	v_lshlrev_b64 v[15:16], 2, v[15:16]
	v_sub_co_u32 v15, vcc_lo, s1, v15
	s_delay_alu instid0(VALU_DEP_2)
	v_sub_co_ci_u32_e32 v16, vcc_lo, s0, v16, vcc_lo
	s_waitcnt lgkmcnt(0)
	global_store_b32 v[15:16], v17, off offset:-2048
.LBB861_264:
	s_and_not1_saveexec_b32 s6, s6
	s_cbranch_execz .LBB861_266
; %bb.265:
	v_lshlrev_b32_e32 v15, 2, v0
	v_readfirstlane_b32 s8, v9
	v_readfirstlane_b32 s9, v10
	ds_load_b32 v16, v15 offset:2048
	s_waitcnt lgkmcnt(0)
	global_store_b32 v15, v16, s[8:9] offset:2048
.LBB861_266:
	s_or_b32 exec_lo, exec_lo, s6
.LBB861_267:
	s_and_not1_saveexec_b32 s5, s5
	s_cbranch_execz .LBB861_269
; %bb.268:
	v_lshlrev_b32_e32 v15, 2, v0
	v_readfirstlane_b32 s6, v11
	v_readfirstlane_b32 s7, v12
	ds_load_b32 v16, v15 offset:2048
	s_waitcnt lgkmcnt(0)
	global_store_b32 v15, v16, s[6:7] offset:2048
.LBB861_269:
	s_or_b32 exec_lo, exec_lo, s3
	v_or_b32_e32 v15, 0x300, v0
	s_mov_b32 s3, exec_lo
	s_delay_alu instid0(VALU_DEP_1)
	v_cmpx_gt_u32_e64 s4, v15
	s_cbranch_execz .LBB861_278
; %bb.270:
	s_mov_b32 s5, exec_lo
	v_cmpx_le_u32_e64 v5, v15
	s_xor_b32 s5, exec_lo, s5
	s_cbranch_execz .LBB861_276
; %bb.271:
	s_mov_b32 s6, exec_lo
	v_cmpx_le_u32_e64 v14, v15
	s_xor_b32 s6, exec_lo, s6
	s_cbranch_execz .LBB861_273
; %bb.272:
	v_lshlrev_b32_e32 v15, 2, v0
	ds_load_b32 v17, v15 offset:3072
	v_add_co_u32 v15, vcc_lo, v7, v0
	v_add_co_ci_u32_e32 v16, vcc_lo, 0, v13, vcc_lo
	s_delay_alu instid0(VALU_DEP_1) | instskip(NEXT) | instid1(VALU_DEP_1)
	v_lshlrev_b64 v[15:16], 2, v[15:16]
	v_sub_co_u32 v15, vcc_lo, s1, v15
	s_delay_alu instid0(VALU_DEP_2)
	v_sub_co_ci_u32_e32 v16, vcc_lo, s0, v16, vcc_lo
	s_waitcnt lgkmcnt(0)
	global_store_b32 v[15:16], v17, off offset:-3072
.LBB861_273:
	s_and_not1_saveexec_b32 s6, s6
	s_cbranch_execz .LBB861_275
; %bb.274:
	v_lshlrev_b32_e32 v15, 2, v0
	v_readfirstlane_b32 s8, v9
	v_readfirstlane_b32 s9, v10
	ds_load_b32 v16, v15 offset:3072
	s_waitcnt lgkmcnt(0)
	global_store_b32 v15, v16, s[8:9] offset:3072
.LBB861_275:
	s_or_b32 exec_lo, exec_lo, s6
.LBB861_276:
	s_and_not1_saveexec_b32 s5, s5
	s_cbranch_execz .LBB861_278
; %bb.277:
	v_lshlrev_b32_e32 v15, 2, v0
	v_readfirstlane_b32 s6, v11
	v_readfirstlane_b32 s7, v12
	ds_load_b32 v16, v15 offset:3072
	s_waitcnt lgkmcnt(0)
	global_store_b32 v15, v16, s[6:7] offset:3072
.LBB861_278:
	s_or_b32 exec_lo, exec_lo, s3
	v_or_b32_e32 v15, 0x400, v0
	s_mov_b32 s3, exec_lo
	s_delay_alu instid0(VALU_DEP_1)
	v_cmpx_gt_u32_e64 s4, v15
	s_cbranch_execz .LBB861_287
; %bb.279:
	s_mov_b32 s5, exec_lo
	v_cmpx_le_u32_e64 v5, v15
	s_xor_b32 s5, exec_lo, s5
	s_cbranch_execz .LBB861_285
; %bb.280:
	s_mov_b32 s6, exec_lo
	v_cmpx_le_u32_e64 v14, v15
	s_xor_b32 s6, exec_lo, s6
	s_cbranch_execz .LBB861_282
; %bb.281:
	v_lshlrev_b32_e32 v15, 2, v0
	ds_load_b32 v17, v15 offset:4096
	v_add_co_u32 v15, vcc_lo, v7, v0
	v_add_co_ci_u32_e32 v16, vcc_lo, 0, v13, vcc_lo
	s_delay_alu instid0(VALU_DEP_1) | instskip(NEXT) | instid1(VALU_DEP_1)
	v_lshlrev_b64 v[15:16], 2, v[15:16]
	v_sub_co_u32 v15, vcc_lo, s1, v15
	s_delay_alu instid0(VALU_DEP_2)
	v_sub_co_ci_u32_e32 v16, vcc_lo, s0, v16, vcc_lo
	s_waitcnt lgkmcnt(0)
	global_store_b32 v[15:16], v17, off offset:-4096
                                        ; implicit-def: $vgpr15
.LBB861_282:
	s_and_not1_saveexec_b32 s6, s6
	s_cbranch_execz .LBB861_284
; %bb.283:
	v_lshlrev_b32_e32 v16, 2, v0
	v_lshlrev_b32_e32 v15, 2, v15
	v_readfirstlane_b32 s8, v9
	v_readfirstlane_b32 s9, v10
	ds_load_b32 v16, v16 offset:4096
	s_waitcnt lgkmcnt(0)
	global_store_b32 v15, v16, s[8:9]
.LBB861_284:
	s_or_b32 exec_lo, exec_lo, s6
                                        ; implicit-def: $vgpr15
.LBB861_285:
	s_and_not1_saveexec_b32 s5, s5
	s_cbranch_execz .LBB861_287
; %bb.286:
	v_lshlrev_b32_e32 v16, 2, v0
	v_lshlrev_b32_e32 v15, 2, v15
	v_readfirstlane_b32 s6, v11
	v_readfirstlane_b32 s7, v12
	ds_load_b32 v16, v16 offset:4096
	s_waitcnt lgkmcnt(0)
	global_store_b32 v15, v16, s[6:7]
.LBB861_287:
	s_or_b32 exec_lo, exec_lo, s3
	v_or_b32_e32 v15, 0x500, v0
	s_mov_b32 s3, exec_lo
	s_delay_alu instid0(VALU_DEP_1)
	v_cmpx_gt_u32_e64 s4, v15
	s_cbranch_execz .LBB861_296
; %bb.288:
	s_mov_b32 s5, exec_lo
	v_cmpx_le_u32_e64 v5, v15
	s_xor_b32 s5, exec_lo, s5
	s_cbranch_execz .LBB861_294
; %bb.289:
	s_mov_b32 s6, exec_lo
	v_cmpx_le_u32_e64 v14, v15
	s_xor_b32 s6, exec_lo, s6
	s_cbranch_execz .LBB861_291
; %bb.290:
	v_lshlrev_b32_e32 v16, 2, v0
	v_add_co_u32 v15, vcc_lo, v7, v15
	ds_load_b32 v17, v16 offset:5120
	v_add_co_ci_u32_e32 v16, vcc_lo, 0, v13, vcc_lo
	s_delay_alu instid0(VALU_DEP_1) | instskip(NEXT) | instid1(VALU_DEP_1)
	v_lshlrev_b64 v[15:16], 2, v[15:16]
	v_sub_co_u32 v15, vcc_lo, s1, v15
	s_delay_alu instid0(VALU_DEP_2)
	v_sub_co_ci_u32_e32 v16, vcc_lo, s0, v16, vcc_lo
	s_waitcnt lgkmcnt(0)
	global_store_b32 v[15:16], v17, off
                                        ; implicit-def: $vgpr15
.LBB861_291:
	s_and_not1_saveexec_b32 s6, s6
	s_cbranch_execz .LBB861_293
; %bb.292:
	v_lshlrev_b32_e32 v16, 2, v0
	v_lshlrev_b32_e32 v15, 2, v15
	v_readfirstlane_b32 s8, v9
	v_readfirstlane_b32 s9, v10
	ds_load_b32 v16, v16 offset:5120
	s_waitcnt lgkmcnt(0)
	global_store_b32 v15, v16, s[8:9]
.LBB861_293:
	s_or_b32 exec_lo, exec_lo, s6
                                        ; implicit-def: $vgpr15
.LBB861_294:
	s_and_not1_saveexec_b32 s5, s5
	s_cbranch_execz .LBB861_296
; %bb.295:
	v_lshlrev_b32_e32 v16, 2, v0
	v_lshlrev_b32_e32 v15, 2, v15
	v_readfirstlane_b32 s6, v11
	v_readfirstlane_b32 s7, v12
	ds_load_b32 v16, v16 offset:5120
	s_waitcnt lgkmcnt(0)
	global_store_b32 v15, v16, s[6:7]
.LBB861_296:
	s_or_b32 exec_lo, exec_lo, s3
	v_or_b32_e32 v15, 0x600, v0
	s_mov_b32 s3, exec_lo
	s_delay_alu instid0(VALU_DEP_1)
	v_cmpx_gt_u32_e64 s4, v15
	s_cbranch_execz .LBB861_305
; %bb.297:
	s_mov_b32 s5, exec_lo
	v_cmpx_le_u32_e64 v5, v15
	s_xor_b32 s5, exec_lo, s5
	s_cbranch_execz .LBB861_303
; %bb.298:
	s_mov_b32 s6, exec_lo
	v_cmpx_le_u32_e64 v14, v15
	s_xor_b32 s6, exec_lo, s6
	s_cbranch_execz .LBB861_300
; %bb.299:
	v_lshlrev_b32_e32 v16, 2, v0
	v_add_co_u32 v15, vcc_lo, v7, v15
	ds_load_b32 v17, v16 offset:6144
	v_add_co_ci_u32_e32 v16, vcc_lo, 0, v13, vcc_lo
	s_delay_alu instid0(VALU_DEP_1) | instskip(NEXT) | instid1(VALU_DEP_1)
	v_lshlrev_b64 v[15:16], 2, v[15:16]
	v_sub_co_u32 v15, vcc_lo, s1, v15
	s_delay_alu instid0(VALU_DEP_2)
	v_sub_co_ci_u32_e32 v16, vcc_lo, s0, v16, vcc_lo
	s_waitcnt lgkmcnt(0)
	global_store_b32 v[15:16], v17, off
                                        ; implicit-def: $vgpr15
.LBB861_300:
	s_and_not1_saveexec_b32 s6, s6
	s_cbranch_execz .LBB861_302
; %bb.301:
	v_lshlrev_b32_e32 v16, 2, v0
	v_lshlrev_b32_e32 v15, 2, v15
	v_readfirstlane_b32 s8, v9
	v_readfirstlane_b32 s9, v10
	ds_load_b32 v16, v16 offset:6144
	s_waitcnt lgkmcnt(0)
	global_store_b32 v15, v16, s[8:9]
.LBB861_302:
	s_or_b32 exec_lo, exec_lo, s6
                                        ; implicit-def: $vgpr15
.LBB861_303:
	s_and_not1_saveexec_b32 s5, s5
	s_cbranch_execz .LBB861_305
; %bb.304:
	v_lshlrev_b32_e32 v16, 2, v0
	v_lshlrev_b32_e32 v15, 2, v15
	v_readfirstlane_b32 s6, v11
	v_readfirstlane_b32 s7, v12
	ds_load_b32 v16, v16 offset:6144
	s_waitcnt lgkmcnt(0)
	global_store_b32 v15, v16, s[6:7]
.LBB861_305:
	s_or_b32 exec_lo, exec_lo, s3
	v_or_b32_e32 v15, 0x700, v0
	s_mov_b32 s3, exec_lo
	s_delay_alu instid0(VALU_DEP_1)
	v_cmpx_gt_u32_e64 s4, v15
	s_cbranch_execz .LBB861_314
; %bb.306:
	s_mov_b32 s5, exec_lo
	v_cmpx_le_u32_e64 v5, v15
	s_xor_b32 s5, exec_lo, s5
	s_cbranch_execz .LBB861_312
; %bb.307:
	s_mov_b32 s6, exec_lo
	v_cmpx_le_u32_e64 v14, v15
	s_xor_b32 s6, exec_lo, s6
	s_cbranch_execz .LBB861_309
; %bb.308:
	v_lshlrev_b32_e32 v16, 2, v0
	v_add_co_u32 v15, vcc_lo, v7, v15
	ds_load_b32 v17, v16 offset:7168
	v_add_co_ci_u32_e32 v16, vcc_lo, 0, v13, vcc_lo
	s_delay_alu instid0(VALU_DEP_1) | instskip(NEXT) | instid1(VALU_DEP_1)
	v_lshlrev_b64 v[15:16], 2, v[15:16]
	v_sub_co_u32 v15, vcc_lo, s1, v15
	s_delay_alu instid0(VALU_DEP_2)
	v_sub_co_ci_u32_e32 v16, vcc_lo, s0, v16, vcc_lo
	s_waitcnt lgkmcnt(0)
	global_store_b32 v[15:16], v17, off
                                        ; implicit-def: $vgpr15
.LBB861_309:
	s_and_not1_saveexec_b32 s6, s6
	s_cbranch_execz .LBB861_311
; %bb.310:
	v_lshlrev_b32_e32 v16, 2, v0
	v_lshlrev_b32_e32 v15, 2, v15
	v_readfirstlane_b32 s8, v9
	v_readfirstlane_b32 s9, v10
	ds_load_b32 v16, v16 offset:7168
	s_waitcnt lgkmcnt(0)
	global_store_b32 v15, v16, s[8:9]
.LBB861_311:
	s_or_b32 exec_lo, exec_lo, s6
                                        ; implicit-def: $vgpr15
.LBB861_312:
	s_and_not1_saveexec_b32 s5, s5
	s_cbranch_execz .LBB861_314
; %bb.313:
	v_lshlrev_b32_e32 v16, 2, v0
	v_lshlrev_b32_e32 v15, 2, v15
	v_readfirstlane_b32 s6, v11
	v_readfirstlane_b32 s7, v12
	ds_load_b32 v16, v16 offset:7168
	s_waitcnt lgkmcnt(0)
	global_store_b32 v15, v16, s[6:7]
.LBB861_314:
	s_or_b32 exec_lo, exec_lo, s3
	v_or_b32_e32 v15, 0x800, v0
	s_mov_b32 s3, exec_lo
	s_delay_alu instid0(VALU_DEP_1)
	v_cmpx_gt_u32_e64 s4, v15
	s_cbranch_execz .LBB861_323
; %bb.315:
	s_mov_b32 s5, exec_lo
	v_cmpx_le_u32_e64 v5, v15
	s_xor_b32 s5, exec_lo, s5
	s_cbranch_execz .LBB861_321
; %bb.316:
	s_mov_b32 s6, exec_lo
	v_cmpx_le_u32_e64 v14, v15
	s_xor_b32 s6, exec_lo, s6
	s_cbranch_execz .LBB861_318
; %bb.317:
	v_lshlrev_b32_e32 v16, 2, v0
	v_add_co_u32 v15, vcc_lo, v7, v15
	ds_load_b32 v17, v16 offset:8192
	v_add_co_ci_u32_e32 v16, vcc_lo, 0, v13, vcc_lo
	s_delay_alu instid0(VALU_DEP_1) | instskip(NEXT) | instid1(VALU_DEP_1)
	v_lshlrev_b64 v[15:16], 2, v[15:16]
	v_sub_co_u32 v15, vcc_lo, s1, v15
	s_delay_alu instid0(VALU_DEP_2)
	v_sub_co_ci_u32_e32 v16, vcc_lo, s0, v16, vcc_lo
	s_waitcnt lgkmcnt(0)
	global_store_b32 v[15:16], v17, off
                                        ; implicit-def: $vgpr15
.LBB861_318:
	s_and_not1_saveexec_b32 s6, s6
	s_cbranch_execz .LBB861_320
; %bb.319:
	v_lshlrev_b32_e32 v16, 2, v0
	v_lshlrev_b32_e32 v15, 2, v15
	v_readfirstlane_b32 s8, v9
	v_readfirstlane_b32 s9, v10
	ds_load_b32 v16, v16 offset:8192
	s_waitcnt lgkmcnt(0)
	global_store_b32 v15, v16, s[8:9]
.LBB861_320:
	s_or_b32 exec_lo, exec_lo, s6
                                        ; implicit-def: $vgpr15
.LBB861_321:
	s_and_not1_saveexec_b32 s5, s5
	s_cbranch_execz .LBB861_323
; %bb.322:
	v_lshlrev_b32_e32 v16, 2, v0
	v_lshlrev_b32_e32 v15, 2, v15
	v_readfirstlane_b32 s6, v11
	v_readfirstlane_b32 s7, v12
	ds_load_b32 v16, v16 offset:8192
	s_waitcnt lgkmcnt(0)
	global_store_b32 v15, v16, s[6:7]
.LBB861_323:
	s_or_b32 exec_lo, exec_lo, s3
	v_or_b32_e32 v15, 0x900, v0
	s_mov_b32 s3, exec_lo
	s_delay_alu instid0(VALU_DEP_1)
	v_cmpx_gt_u32_e64 s4, v15
	s_cbranch_execz .LBB861_332
; %bb.324:
	s_mov_b32 s5, exec_lo
	v_cmpx_le_u32_e64 v5, v15
	s_xor_b32 s5, exec_lo, s5
	s_cbranch_execz .LBB861_330
; %bb.325:
	s_mov_b32 s6, exec_lo
	v_cmpx_le_u32_e64 v14, v15
	s_xor_b32 s6, exec_lo, s6
	s_cbranch_execz .LBB861_327
; %bb.326:
	v_lshlrev_b32_e32 v16, 2, v0
	v_add_co_u32 v15, vcc_lo, v7, v15
	ds_load_b32 v17, v16 offset:9216
	v_add_co_ci_u32_e32 v16, vcc_lo, 0, v13, vcc_lo
	s_delay_alu instid0(VALU_DEP_1) | instskip(NEXT) | instid1(VALU_DEP_1)
	v_lshlrev_b64 v[15:16], 2, v[15:16]
	v_sub_co_u32 v15, vcc_lo, s1, v15
	s_delay_alu instid0(VALU_DEP_2)
	v_sub_co_ci_u32_e32 v16, vcc_lo, s0, v16, vcc_lo
	s_waitcnt lgkmcnt(0)
	global_store_b32 v[15:16], v17, off
                                        ; implicit-def: $vgpr15
.LBB861_327:
	s_and_not1_saveexec_b32 s6, s6
	s_cbranch_execz .LBB861_329
; %bb.328:
	v_lshlrev_b32_e32 v16, 2, v0
	v_lshlrev_b32_e32 v15, 2, v15
	v_readfirstlane_b32 s8, v9
	v_readfirstlane_b32 s9, v10
	ds_load_b32 v16, v16 offset:9216
	s_waitcnt lgkmcnt(0)
	global_store_b32 v15, v16, s[8:9]
.LBB861_329:
	s_or_b32 exec_lo, exec_lo, s6
                                        ; implicit-def: $vgpr15
.LBB861_330:
	s_and_not1_saveexec_b32 s5, s5
	s_cbranch_execz .LBB861_332
; %bb.331:
	v_lshlrev_b32_e32 v16, 2, v0
	v_lshlrev_b32_e32 v15, 2, v15
	v_readfirstlane_b32 s6, v11
	v_readfirstlane_b32 s7, v12
	ds_load_b32 v16, v16 offset:9216
	s_waitcnt lgkmcnt(0)
	global_store_b32 v15, v16, s[6:7]
.LBB861_332:
	s_or_b32 exec_lo, exec_lo, s3
	v_or_b32_e32 v15, 0xa00, v0
	s_mov_b32 s3, exec_lo
	s_delay_alu instid0(VALU_DEP_1)
	v_cmpx_gt_u32_e64 s4, v15
	s_cbranch_execz .LBB861_341
; %bb.333:
	s_mov_b32 s5, exec_lo
	v_cmpx_le_u32_e64 v5, v15
	s_xor_b32 s5, exec_lo, s5
	s_cbranch_execz .LBB861_339
; %bb.334:
	s_mov_b32 s6, exec_lo
	v_cmpx_le_u32_e64 v14, v15
	s_xor_b32 s6, exec_lo, s6
	s_cbranch_execz .LBB861_336
; %bb.335:
	v_lshlrev_b32_e32 v16, 2, v0
	v_add_co_u32 v15, vcc_lo, v7, v15
	ds_load_b32 v17, v16 offset:10240
	v_add_co_ci_u32_e32 v16, vcc_lo, 0, v13, vcc_lo
	s_delay_alu instid0(VALU_DEP_1) | instskip(NEXT) | instid1(VALU_DEP_1)
	v_lshlrev_b64 v[15:16], 2, v[15:16]
	v_sub_co_u32 v15, vcc_lo, s1, v15
	s_delay_alu instid0(VALU_DEP_2)
	v_sub_co_ci_u32_e32 v16, vcc_lo, s0, v16, vcc_lo
	s_waitcnt lgkmcnt(0)
	global_store_b32 v[15:16], v17, off
                                        ; implicit-def: $vgpr15
.LBB861_336:
	s_and_not1_saveexec_b32 s6, s6
	s_cbranch_execz .LBB861_338
; %bb.337:
	v_lshlrev_b32_e32 v16, 2, v0
	v_lshlrev_b32_e32 v15, 2, v15
	v_readfirstlane_b32 s8, v9
	v_readfirstlane_b32 s9, v10
	ds_load_b32 v16, v16 offset:10240
	s_waitcnt lgkmcnt(0)
	global_store_b32 v15, v16, s[8:9]
.LBB861_338:
	s_or_b32 exec_lo, exec_lo, s6
                                        ; implicit-def: $vgpr15
.LBB861_339:
	s_and_not1_saveexec_b32 s5, s5
	s_cbranch_execz .LBB861_341
; %bb.340:
	v_lshlrev_b32_e32 v16, 2, v0
	v_lshlrev_b32_e32 v15, 2, v15
	v_readfirstlane_b32 s6, v11
	v_readfirstlane_b32 s7, v12
	ds_load_b32 v16, v16 offset:10240
	s_waitcnt lgkmcnt(0)
	global_store_b32 v15, v16, s[6:7]
.LBB861_341:
	s_or_b32 exec_lo, exec_lo, s3
	v_or_b32_e32 v15, 0xb00, v0
	s_mov_b32 s3, exec_lo
	s_delay_alu instid0(VALU_DEP_1)
	v_cmpx_gt_u32_e64 s4, v15
	s_cbranch_execz .LBB861_350
; %bb.342:
	s_mov_b32 s5, exec_lo
	v_cmpx_le_u32_e64 v5, v15
	s_xor_b32 s5, exec_lo, s5
	s_cbranch_execz .LBB861_348
; %bb.343:
	s_mov_b32 s6, exec_lo
	v_cmpx_le_u32_e64 v14, v15
	s_xor_b32 s6, exec_lo, s6
	s_cbranch_execz .LBB861_345
; %bb.344:
	v_lshlrev_b32_e32 v16, 2, v0
	v_add_co_u32 v15, vcc_lo, v7, v15
	ds_load_b32 v17, v16 offset:11264
	v_add_co_ci_u32_e32 v16, vcc_lo, 0, v13, vcc_lo
	s_delay_alu instid0(VALU_DEP_1) | instskip(NEXT) | instid1(VALU_DEP_1)
	v_lshlrev_b64 v[15:16], 2, v[15:16]
	v_sub_co_u32 v15, vcc_lo, s1, v15
	s_delay_alu instid0(VALU_DEP_2)
	v_sub_co_ci_u32_e32 v16, vcc_lo, s0, v16, vcc_lo
	s_waitcnt lgkmcnt(0)
	global_store_b32 v[15:16], v17, off
                                        ; implicit-def: $vgpr15
.LBB861_345:
	s_and_not1_saveexec_b32 s6, s6
	s_cbranch_execz .LBB861_347
; %bb.346:
	v_lshlrev_b32_e32 v16, 2, v0
	v_lshlrev_b32_e32 v15, 2, v15
	v_readfirstlane_b32 s8, v9
	v_readfirstlane_b32 s9, v10
	ds_load_b32 v16, v16 offset:11264
	s_waitcnt lgkmcnt(0)
	global_store_b32 v15, v16, s[8:9]
.LBB861_347:
	s_or_b32 exec_lo, exec_lo, s6
                                        ; implicit-def: $vgpr15
.LBB861_348:
	s_and_not1_saveexec_b32 s5, s5
	s_cbranch_execz .LBB861_350
; %bb.349:
	v_lshlrev_b32_e32 v16, 2, v0
	v_lshlrev_b32_e32 v15, 2, v15
	v_readfirstlane_b32 s6, v11
	v_readfirstlane_b32 s7, v12
	ds_load_b32 v16, v16 offset:11264
	s_waitcnt lgkmcnt(0)
	global_store_b32 v15, v16, s[6:7]
.LBB861_350:
	s_or_b32 exec_lo, exec_lo, s3
	v_or_b32_e32 v15, 0xc00, v0
	s_mov_b32 s3, exec_lo
	s_delay_alu instid0(VALU_DEP_1)
	v_cmpx_gt_u32_e64 s4, v15
	s_cbranch_execz .LBB861_359
; %bb.351:
	s_mov_b32 s4, exec_lo
	v_cmpx_le_u32_e64 v5, v15
	s_xor_b32 s4, exec_lo, s4
	s_cbranch_execz .LBB861_357
; %bb.352:
	s_mov_b32 s5, exec_lo
	v_cmpx_le_u32_e64 v14, v15
	s_xor_b32 s5, exec_lo, s5
	s_cbranch_execz .LBB861_354
; %bb.353:
	v_lshlrev_b32_e32 v0, 2, v0
	v_add_co_u32 v9, vcc_lo, v7, v15
	v_add_co_ci_u32_e32 v10, vcc_lo, 0, v13, vcc_lo
	ds_load_b32 v0, v0 offset:12288
                                        ; implicit-def: $vgpr15
	v_lshlrev_b64 v[9:10], 2, v[9:10]
	s_delay_alu instid0(VALU_DEP_1) | instskip(NEXT) | instid1(VALU_DEP_2)
	v_sub_co_u32 v9, vcc_lo, s1, v9
	v_sub_co_ci_u32_e32 v10, vcc_lo, s0, v10, vcc_lo
	s_waitcnt lgkmcnt(0)
	global_store_b32 v[9:10], v0, off
                                        ; implicit-def: $vgpr0
                                        ; implicit-def: $vgpr9_vgpr10
.LBB861_354:
	s_and_not1_saveexec_b32 s0, s5
	s_cbranch_execz .LBB861_356
; %bb.355:
	v_lshlrev_b32_e32 v0, 2, v0
	v_lshlrev_b32_e32 v7, 2, v15
	v_readfirstlane_b32 s6, v9
	v_readfirstlane_b32 s7, v10
	ds_load_b32 v0, v0 offset:12288
	s_waitcnt lgkmcnt(0)
	global_store_b32 v7, v0, s[6:7]
.LBB861_356:
	s_or_b32 exec_lo, exec_lo, s0
                                        ; implicit-def: $vgpr0
                                        ; implicit-def: $vgpr15
                                        ; implicit-def: $vgpr11_vgpr12
.LBB861_357:
	s_and_not1_saveexec_b32 s0, s4
	s_cbranch_execz .LBB861_359
; %bb.358:
	v_lshlrev_b32_e32 v0, 2, v0
	v_lshlrev_b32_e32 v7, 2, v15
	v_readfirstlane_b32 s0, v11
	v_readfirstlane_b32 s1, v12
	ds_load_b32 v0, v0 offset:12288
	s_waitcnt lgkmcnt(0)
	global_store_b32 v7, v0, s[0:1]
.LBB861_359:
	s_or_b32 exec_lo, exec_lo, s3
	s_and_b32 s0, s2, s13
	s_delay_alu instid0(SALU_CYCLE_1)
	s_and_saveexec_b32 s1, s0
	s_cbranch_execz .LBB861_136
.LBB861_360:
	v_add_co_u32 v3, vcc_lo, v3, v6
	v_add_co_ci_u32_e32 v4, vcc_lo, 0, v4, vcc_lo
	v_add_co_u32 v0, vcc_lo, v1, v5
	v_add_co_ci_u32_e32 v1, vcc_lo, 0, v2, vcc_lo
	s_delay_alu instid0(VALU_DEP_4)
	v_add_co_u32 v2, vcc_lo, v3, v8
	v_mov_b32_e32 v7, 0
	v_add_co_ci_u32_e32 v3, vcc_lo, 0, v4, vcc_lo
	global_store_b128 v7, v[0:3], s[24:25]
	s_nop 0
	s_sendmsg sendmsg(MSG_DEALLOC_VGPRS)
	s_endpgm
.LBB861_361:
	v_add_nc_u32_e32 v7, s6, v27
	s_add_i32 s8, s26, 32
	s_mov_b32 s9, 0
	v_dual_mov_b32 v9, 0 :: v_dual_add_nc_u32 v6, v26, v5
	s_lshl_b64 s[8:9], s[8:9], 4
	v_and_b32_e32 v24, 0xff0000, v7
	s_add_u32 s8, s36, s8
	s_addc_u32 s9, s37, s9
	v_and_b32_e32 v8, 0xff000000, v7
	s_delay_alu instid0(VALU_DEP_1) | instskip(SKIP_2) | instid1(VALU_DEP_1)
	v_or_b32_e32 v24, v24, v8
	v_dual_mov_b32 v8, 2 :: v_dual_and_b32 v25, 0xff00, v7
	v_and_b32_e32 v7, 0xff, v7
	v_or3_b32 v7, v24, v25, v7
	v_dual_mov_b32 v25, s9 :: v_dual_mov_b32 v24, s8
	;;#ASMSTART
	global_store_dwordx4 v[24:25], v[6:9] off	
s_waitcnt vmcnt(0)
	;;#ASMEND
	s_or_b32 exec_lo, exec_lo, s7
	s_and_saveexec_b32 s7, s3
	s_cbranch_execz .LBB861_120
.LBB861_362:
	v_mov_b32_e32 v6, s6
	v_add_nc_u32_e64 v7, 0x3400, 0
	ds_store_2addr_b32 v7, v5, v6 offset1:2
	ds_store_2addr_b32 v7, v26, v27 offset0:4 offset1:6
	s_or_b32 exec_lo, exec_lo, s7
	s_delay_alu instid0(SALU_CYCLE_1)
	s_and_b32 exec_lo, exec_lo, s2
	s_cbranch_execnz .LBB861_121
	s_branch .LBB861_122
	.section	.rodata,"a",@progbits
	.p2align	6, 0x0
	.amdhsa_kernel _ZN7rocprim17ROCPRIM_400000_NS6detail17trampoline_kernelINS0_13select_configILj256ELj13ELNS0_17block_load_methodE3ELS4_3ELS4_3ELNS0_20block_scan_algorithmE0ELj4294967295EEENS1_25partition_config_selectorILNS1_17partition_subalgoE4EjNS0_10empty_typeEbEEZZNS1_14partition_implILS8_4ELb0ES6_15HIP_vector_typeIjLj2EENS0_17counting_iteratorIjlEEPS9_SG_NS0_5tupleIJPjSI_NS0_16reverse_iteratorISI_EEEEENSH_IJSG_SG_SG_EEES9_SI_JZNS1_25segmented_radix_sort_implINS0_14default_configELb1EPKsPsPKlPlN2at6native12_GLOBAL__N_18offset_tEEE10hipError_tPvRmT1_PNSt15iterator_traitsIS12_E10value_typeET2_T3_PNS13_IS18_E10value_typeET4_jRbjT5_S1E_jjP12ihipStream_tbEUljE_ZNSN_ISO_Lb1ESQ_SR_ST_SU_SY_EESZ_S10_S11_S12_S16_S17_S18_S1B_S1C_jS1D_jS1E_S1E_jjS1G_bEUljE0_EEESZ_S10_S11_S18_S1C_S1E_T6_T7_T9_mT8_S1G_bDpT10_ENKUlT_T0_E_clISt17integral_constantIbLb1EES1U_EEDaS1P_S1Q_EUlS1P_E_NS1_11comp_targetILNS1_3genE9ELNS1_11target_archE1100ELNS1_3gpuE3ELNS1_3repE0EEENS1_30default_config_static_selectorELNS0_4arch9wavefront6targetE0EEEvS12_
		.amdhsa_group_segment_fixed_size 13340
		.amdhsa_private_segment_fixed_size 0
		.amdhsa_kernarg_size 184
		.amdhsa_user_sgpr_count 15
		.amdhsa_user_sgpr_dispatch_ptr 0
		.amdhsa_user_sgpr_queue_ptr 0
		.amdhsa_user_sgpr_kernarg_segment_ptr 1
		.amdhsa_user_sgpr_dispatch_id 0
		.amdhsa_user_sgpr_private_segment_size 0
		.amdhsa_wavefront_size32 1
		.amdhsa_uses_dynamic_stack 0
		.amdhsa_enable_private_segment 0
		.amdhsa_system_sgpr_workgroup_id_x 1
		.amdhsa_system_sgpr_workgroup_id_y 0
		.amdhsa_system_sgpr_workgroup_id_z 0
		.amdhsa_system_sgpr_workgroup_info 0
		.amdhsa_system_vgpr_workitem_id 0
		.amdhsa_next_free_vgpr 103
		.amdhsa_next_free_sgpr 55
		.amdhsa_reserve_vcc 1
		.amdhsa_float_round_mode_32 0
		.amdhsa_float_round_mode_16_64 0
		.amdhsa_float_denorm_mode_32 3
		.amdhsa_float_denorm_mode_16_64 3
		.amdhsa_dx10_clamp 1
		.amdhsa_ieee_mode 1
		.amdhsa_fp16_overflow 0
		.amdhsa_workgroup_processor_mode 1
		.amdhsa_memory_ordered 1
		.amdhsa_forward_progress 0
		.amdhsa_shared_vgpr_count 0
		.amdhsa_exception_fp_ieee_invalid_op 0
		.amdhsa_exception_fp_denorm_src 0
		.amdhsa_exception_fp_ieee_div_zero 0
		.amdhsa_exception_fp_ieee_overflow 0
		.amdhsa_exception_fp_ieee_underflow 0
		.amdhsa_exception_fp_ieee_inexact 0
		.amdhsa_exception_int_div_zero 0
	.end_amdhsa_kernel
	.section	.text._ZN7rocprim17ROCPRIM_400000_NS6detail17trampoline_kernelINS0_13select_configILj256ELj13ELNS0_17block_load_methodE3ELS4_3ELS4_3ELNS0_20block_scan_algorithmE0ELj4294967295EEENS1_25partition_config_selectorILNS1_17partition_subalgoE4EjNS0_10empty_typeEbEEZZNS1_14partition_implILS8_4ELb0ES6_15HIP_vector_typeIjLj2EENS0_17counting_iteratorIjlEEPS9_SG_NS0_5tupleIJPjSI_NS0_16reverse_iteratorISI_EEEEENSH_IJSG_SG_SG_EEES9_SI_JZNS1_25segmented_radix_sort_implINS0_14default_configELb1EPKsPsPKlPlN2at6native12_GLOBAL__N_18offset_tEEE10hipError_tPvRmT1_PNSt15iterator_traitsIS12_E10value_typeET2_T3_PNS13_IS18_E10value_typeET4_jRbjT5_S1E_jjP12ihipStream_tbEUljE_ZNSN_ISO_Lb1ESQ_SR_ST_SU_SY_EESZ_S10_S11_S12_S16_S17_S18_S1B_S1C_jS1D_jS1E_S1E_jjS1G_bEUljE0_EEESZ_S10_S11_S18_S1C_S1E_T6_T7_T9_mT8_S1G_bDpT10_ENKUlT_T0_E_clISt17integral_constantIbLb1EES1U_EEDaS1P_S1Q_EUlS1P_E_NS1_11comp_targetILNS1_3genE9ELNS1_11target_archE1100ELNS1_3gpuE3ELNS1_3repE0EEENS1_30default_config_static_selectorELNS0_4arch9wavefront6targetE0EEEvS12_,"axG",@progbits,_ZN7rocprim17ROCPRIM_400000_NS6detail17trampoline_kernelINS0_13select_configILj256ELj13ELNS0_17block_load_methodE3ELS4_3ELS4_3ELNS0_20block_scan_algorithmE0ELj4294967295EEENS1_25partition_config_selectorILNS1_17partition_subalgoE4EjNS0_10empty_typeEbEEZZNS1_14partition_implILS8_4ELb0ES6_15HIP_vector_typeIjLj2EENS0_17counting_iteratorIjlEEPS9_SG_NS0_5tupleIJPjSI_NS0_16reverse_iteratorISI_EEEEENSH_IJSG_SG_SG_EEES9_SI_JZNS1_25segmented_radix_sort_implINS0_14default_configELb1EPKsPsPKlPlN2at6native12_GLOBAL__N_18offset_tEEE10hipError_tPvRmT1_PNSt15iterator_traitsIS12_E10value_typeET2_T3_PNS13_IS18_E10value_typeET4_jRbjT5_S1E_jjP12ihipStream_tbEUljE_ZNSN_ISO_Lb1ESQ_SR_ST_SU_SY_EESZ_S10_S11_S12_S16_S17_S18_S1B_S1C_jS1D_jS1E_S1E_jjS1G_bEUljE0_EEESZ_S10_S11_S18_S1C_S1E_T6_T7_T9_mT8_S1G_bDpT10_ENKUlT_T0_E_clISt17integral_constantIbLb1EES1U_EEDaS1P_S1Q_EUlS1P_E_NS1_11comp_targetILNS1_3genE9ELNS1_11target_archE1100ELNS1_3gpuE3ELNS1_3repE0EEENS1_30default_config_static_selectorELNS0_4arch9wavefront6targetE0EEEvS12_,comdat
.Lfunc_end861:
	.size	_ZN7rocprim17ROCPRIM_400000_NS6detail17trampoline_kernelINS0_13select_configILj256ELj13ELNS0_17block_load_methodE3ELS4_3ELS4_3ELNS0_20block_scan_algorithmE0ELj4294967295EEENS1_25partition_config_selectorILNS1_17partition_subalgoE4EjNS0_10empty_typeEbEEZZNS1_14partition_implILS8_4ELb0ES6_15HIP_vector_typeIjLj2EENS0_17counting_iteratorIjlEEPS9_SG_NS0_5tupleIJPjSI_NS0_16reverse_iteratorISI_EEEEENSH_IJSG_SG_SG_EEES9_SI_JZNS1_25segmented_radix_sort_implINS0_14default_configELb1EPKsPsPKlPlN2at6native12_GLOBAL__N_18offset_tEEE10hipError_tPvRmT1_PNSt15iterator_traitsIS12_E10value_typeET2_T3_PNS13_IS18_E10value_typeET4_jRbjT5_S1E_jjP12ihipStream_tbEUljE_ZNSN_ISO_Lb1ESQ_SR_ST_SU_SY_EESZ_S10_S11_S12_S16_S17_S18_S1B_S1C_jS1D_jS1E_S1E_jjS1G_bEUljE0_EEESZ_S10_S11_S18_S1C_S1E_T6_T7_T9_mT8_S1G_bDpT10_ENKUlT_T0_E_clISt17integral_constantIbLb1EES1U_EEDaS1P_S1Q_EUlS1P_E_NS1_11comp_targetILNS1_3genE9ELNS1_11target_archE1100ELNS1_3gpuE3ELNS1_3repE0EEENS1_30default_config_static_selectorELNS0_4arch9wavefront6targetE0EEEvS12_, .Lfunc_end861-_ZN7rocprim17ROCPRIM_400000_NS6detail17trampoline_kernelINS0_13select_configILj256ELj13ELNS0_17block_load_methodE3ELS4_3ELS4_3ELNS0_20block_scan_algorithmE0ELj4294967295EEENS1_25partition_config_selectorILNS1_17partition_subalgoE4EjNS0_10empty_typeEbEEZZNS1_14partition_implILS8_4ELb0ES6_15HIP_vector_typeIjLj2EENS0_17counting_iteratorIjlEEPS9_SG_NS0_5tupleIJPjSI_NS0_16reverse_iteratorISI_EEEEENSH_IJSG_SG_SG_EEES9_SI_JZNS1_25segmented_radix_sort_implINS0_14default_configELb1EPKsPsPKlPlN2at6native12_GLOBAL__N_18offset_tEEE10hipError_tPvRmT1_PNSt15iterator_traitsIS12_E10value_typeET2_T3_PNS13_IS18_E10value_typeET4_jRbjT5_S1E_jjP12ihipStream_tbEUljE_ZNSN_ISO_Lb1ESQ_SR_ST_SU_SY_EESZ_S10_S11_S12_S16_S17_S18_S1B_S1C_jS1D_jS1E_S1E_jjS1G_bEUljE0_EEESZ_S10_S11_S18_S1C_S1E_T6_T7_T9_mT8_S1G_bDpT10_ENKUlT_T0_E_clISt17integral_constantIbLb1EES1U_EEDaS1P_S1Q_EUlS1P_E_NS1_11comp_targetILNS1_3genE9ELNS1_11target_archE1100ELNS1_3gpuE3ELNS1_3repE0EEENS1_30default_config_static_selectorELNS0_4arch9wavefront6targetE0EEEvS12_
                                        ; -- End function
	.section	.AMDGPU.csdata,"",@progbits
; Kernel info:
; codeLenInByte = 15160
; NumSgprs: 57
; NumVgprs: 103
; ScratchSize: 0
; MemoryBound: 0
; FloatMode: 240
; IeeeMode: 1
; LDSByteSize: 13340 bytes/workgroup (compile time only)
; SGPRBlocks: 7
; VGPRBlocks: 12
; NumSGPRsForWavesPerEU: 57
; NumVGPRsForWavesPerEU: 103
; Occupancy: 12
; WaveLimiterHint : 1
; COMPUTE_PGM_RSRC2:SCRATCH_EN: 0
; COMPUTE_PGM_RSRC2:USER_SGPR: 15
; COMPUTE_PGM_RSRC2:TRAP_HANDLER: 0
; COMPUTE_PGM_RSRC2:TGID_X_EN: 1
; COMPUTE_PGM_RSRC2:TGID_Y_EN: 0
; COMPUTE_PGM_RSRC2:TGID_Z_EN: 0
; COMPUTE_PGM_RSRC2:TIDIG_COMP_CNT: 0
	.section	.text._ZN7rocprim17ROCPRIM_400000_NS6detail17trampoline_kernelINS0_13select_configILj256ELj13ELNS0_17block_load_methodE3ELS4_3ELS4_3ELNS0_20block_scan_algorithmE0ELj4294967295EEENS1_25partition_config_selectorILNS1_17partition_subalgoE4EjNS0_10empty_typeEbEEZZNS1_14partition_implILS8_4ELb0ES6_15HIP_vector_typeIjLj2EENS0_17counting_iteratorIjlEEPS9_SG_NS0_5tupleIJPjSI_NS0_16reverse_iteratorISI_EEEEENSH_IJSG_SG_SG_EEES9_SI_JZNS1_25segmented_radix_sort_implINS0_14default_configELb1EPKsPsPKlPlN2at6native12_GLOBAL__N_18offset_tEEE10hipError_tPvRmT1_PNSt15iterator_traitsIS12_E10value_typeET2_T3_PNS13_IS18_E10value_typeET4_jRbjT5_S1E_jjP12ihipStream_tbEUljE_ZNSN_ISO_Lb1ESQ_SR_ST_SU_SY_EESZ_S10_S11_S12_S16_S17_S18_S1B_S1C_jS1D_jS1E_S1E_jjS1G_bEUljE0_EEESZ_S10_S11_S18_S1C_S1E_T6_T7_T9_mT8_S1G_bDpT10_ENKUlT_T0_E_clISt17integral_constantIbLb1EES1U_EEDaS1P_S1Q_EUlS1P_E_NS1_11comp_targetILNS1_3genE8ELNS1_11target_archE1030ELNS1_3gpuE2ELNS1_3repE0EEENS1_30default_config_static_selectorELNS0_4arch9wavefront6targetE0EEEvS12_,"axG",@progbits,_ZN7rocprim17ROCPRIM_400000_NS6detail17trampoline_kernelINS0_13select_configILj256ELj13ELNS0_17block_load_methodE3ELS4_3ELS4_3ELNS0_20block_scan_algorithmE0ELj4294967295EEENS1_25partition_config_selectorILNS1_17partition_subalgoE4EjNS0_10empty_typeEbEEZZNS1_14partition_implILS8_4ELb0ES6_15HIP_vector_typeIjLj2EENS0_17counting_iteratorIjlEEPS9_SG_NS0_5tupleIJPjSI_NS0_16reverse_iteratorISI_EEEEENSH_IJSG_SG_SG_EEES9_SI_JZNS1_25segmented_radix_sort_implINS0_14default_configELb1EPKsPsPKlPlN2at6native12_GLOBAL__N_18offset_tEEE10hipError_tPvRmT1_PNSt15iterator_traitsIS12_E10value_typeET2_T3_PNS13_IS18_E10value_typeET4_jRbjT5_S1E_jjP12ihipStream_tbEUljE_ZNSN_ISO_Lb1ESQ_SR_ST_SU_SY_EESZ_S10_S11_S12_S16_S17_S18_S1B_S1C_jS1D_jS1E_S1E_jjS1G_bEUljE0_EEESZ_S10_S11_S18_S1C_S1E_T6_T7_T9_mT8_S1G_bDpT10_ENKUlT_T0_E_clISt17integral_constantIbLb1EES1U_EEDaS1P_S1Q_EUlS1P_E_NS1_11comp_targetILNS1_3genE8ELNS1_11target_archE1030ELNS1_3gpuE2ELNS1_3repE0EEENS1_30default_config_static_selectorELNS0_4arch9wavefront6targetE0EEEvS12_,comdat
	.globl	_ZN7rocprim17ROCPRIM_400000_NS6detail17trampoline_kernelINS0_13select_configILj256ELj13ELNS0_17block_load_methodE3ELS4_3ELS4_3ELNS0_20block_scan_algorithmE0ELj4294967295EEENS1_25partition_config_selectorILNS1_17partition_subalgoE4EjNS0_10empty_typeEbEEZZNS1_14partition_implILS8_4ELb0ES6_15HIP_vector_typeIjLj2EENS0_17counting_iteratorIjlEEPS9_SG_NS0_5tupleIJPjSI_NS0_16reverse_iteratorISI_EEEEENSH_IJSG_SG_SG_EEES9_SI_JZNS1_25segmented_radix_sort_implINS0_14default_configELb1EPKsPsPKlPlN2at6native12_GLOBAL__N_18offset_tEEE10hipError_tPvRmT1_PNSt15iterator_traitsIS12_E10value_typeET2_T3_PNS13_IS18_E10value_typeET4_jRbjT5_S1E_jjP12ihipStream_tbEUljE_ZNSN_ISO_Lb1ESQ_SR_ST_SU_SY_EESZ_S10_S11_S12_S16_S17_S18_S1B_S1C_jS1D_jS1E_S1E_jjS1G_bEUljE0_EEESZ_S10_S11_S18_S1C_S1E_T6_T7_T9_mT8_S1G_bDpT10_ENKUlT_T0_E_clISt17integral_constantIbLb1EES1U_EEDaS1P_S1Q_EUlS1P_E_NS1_11comp_targetILNS1_3genE8ELNS1_11target_archE1030ELNS1_3gpuE2ELNS1_3repE0EEENS1_30default_config_static_selectorELNS0_4arch9wavefront6targetE0EEEvS12_ ; -- Begin function _ZN7rocprim17ROCPRIM_400000_NS6detail17trampoline_kernelINS0_13select_configILj256ELj13ELNS0_17block_load_methodE3ELS4_3ELS4_3ELNS0_20block_scan_algorithmE0ELj4294967295EEENS1_25partition_config_selectorILNS1_17partition_subalgoE4EjNS0_10empty_typeEbEEZZNS1_14partition_implILS8_4ELb0ES6_15HIP_vector_typeIjLj2EENS0_17counting_iteratorIjlEEPS9_SG_NS0_5tupleIJPjSI_NS0_16reverse_iteratorISI_EEEEENSH_IJSG_SG_SG_EEES9_SI_JZNS1_25segmented_radix_sort_implINS0_14default_configELb1EPKsPsPKlPlN2at6native12_GLOBAL__N_18offset_tEEE10hipError_tPvRmT1_PNSt15iterator_traitsIS12_E10value_typeET2_T3_PNS13_IS18_E10value_typeET4_jRbjT5_S1E_jjP12ihipStream_tbEUljE_ZNSN_ISO_Lb1ESQ_SR_ST_SU_SY_EESZ_S10_S11_S12_S16_S17_S18_S1B_S1C_jS1D_jS1E_S1E_jjS1G_bEUljE0_EEESZ_S10_S11_S18_S1C_S1E_T6_T7_T9_mT8_S1G_bDpT10_ENKUlT_T0_E_clISt17integral_constantIbLb1EES1U_EEDaS1P_S1Q_EUlS1P_E_NS1_11comp_targetILNS1_3genE8ELNS1_11target_archE1030ELNS1_3gpuE2ELNS1_3repE0EEENS1_30default_config_static_selectorELNS0_4arch9wavefront6targetE0EEEvS12_
	.p2align	8
	.type	_ZN7rocprim17ROCPRIM_400000_NS6detail17trampoline_kernelINS0_13select_configILj256ELj13ELNS0_17block_load_methodE3ELS4_3ELS4_3ELNS0_20block_scan_algorithmE0ELj4294967295EEENS1_25partition_config_selectorILNS1_17partition_subalgoE4EjNS0_10empty_typeEbEEZZNS1_14partition_implILS8_4ELb0ES6_15HIP_vector_typeIjLj2EENS0_17counting_iteratorIjlEEPS9_SG_NS0_5tupleIJPjSI_NS0_16reverse_iteratorISI_EEEEENSH_IJSG_SG_SG_EEES9_SI_JZNS1_25segmented_radix_sort_implINS0_14default_configELb1EPKsPsPKlPlN2at6native12_GLOBAL__N_18offset_tEEE10hipError_tPvRmT1_PNSt15iterator_traitsIS12_E10value_typeET2_T3_PNS13_IS18_E10value_typeET4_jRbjT5_S1E_jjP12ihipStream_tbEUljE_ZNSN_ISO_Lb1ESQ_SR_ST_SU_SY_EESZ_S10_S11_S12_S16_S17_S18_S1B_S1C_jS1D_jS1E_S1E_jjS1G_bEUljE0_EEESZ_S10_S11_S18_S1C_S1E_T6_T7_T9_mT8_S1G_bDpT10_ENKUlT_T0_E_clISt17integral_constantIbLb1EES1U_EEDaS1P_S1Q_EUlS1P_E_NS1_11comp_targetILNS1_3genE8ELNS1_11target_archE1030ELNS1_3gpuE2ELNS1_3repE0EEENS1_30default_config_static_selectorELNS0_4arch9wavefront6targetE0EEEvS12_,@function
_ZN7rocprim17ROCPRIM_400000_NS6detail17trampoline_kernelINS0_13select_configILj256ELj13ELNS0_17block_load_methodE3ELS4_3ELS4_3ELNS0_20block_scan_algorithmE0ELj4294967295EEENS1_25partition_config_selectorILNS1_17partition_subalgoE4EjNS0_10empty_typeEbEEZZNS1_14partition_implILS8_4ELb0ES6_15HIP_vector_typeIjLj2EENS0_17counting_iteratorIjlEEPS9_SG_NS0_5tupleIJPjSI_NS0_16reverse_iteratorISI_EEEEENSH_IJSG_SG_SG_EEES9_SI_JZNS1_25segmented_radix_sort_implINS0_14default_configELb1EPKsPsPKlPlN2at6native12_GLOBAL__N_18offset_tEEE10hipError_tPvRmT1_PNSt15iterator_traitsIS12_E10value_typeET2_T3_PNS13_IS18_E10value_typeET4_jRbjT5_S1E_jjP12ihipStream_tbEUljE_ZNSN_ISO_Lb1ESQ_SR_ST_SU_SY_EESZ_S10_S11_S12_S16_S17_S18_S1B_S1C_jS1D_jS1E_S1E_jjS1G_bEUljE0_EEESZ_S10_S11_S18_S1C_S1E_T6_T7_T9_mT8_S1G_bDpT10_ENKUlT_T0_E_clISt17integral_constantIbLb1EES1U_EEDaS1P_S1Q_EUlS1P_E_NS1_11comp_targetILNS1_3genE8ELNS1_11target_archE1030ELNS1_3gpuE2ELNS1_3repE0EEENS1_30default_config_static_selectorELNS0_4arch9wavefront6targetE0EEEvS12_: ; @_ZN7rocprim17ROCPRIM_400000_NS6detail17trampoline_kernelINS0_13select_configILj256ELj13ELNS0_17block_load_methodE3ELS4_3ELS4_3ELNS0_20block_scan_algorithmE0ELj4294967295EEENS1_25partition_config_selectorILNS1_17partition_subalgoE4EjNS0_10empty_typeEbEEZZNS1_14partition_implILS8_4ELb0ES6_15HIP_vector_typeIjLj2EENS0_17counting_iteratorIjlEEPS9_SG_NS0_5tupleIJPjSI_NS0_16reverse_iteratorISI_EEEEENSH_IJSG_SG_SG_EEES9_SI_JZNS1_25segmented_radix_sort_implINS0_14default_configELb1EPKsPsPKlPlN2at6native12_GLOBAL__N_18offset_tEEE10hipError_tPvRmT1_PNSt15iterator_traitsIS12_E10value_typeET2_T3_PNS13_IS18_E10value_typeET4_jRbjT5_S1E_jjP12ihipStream_tbEUljE_ZNSN_ISO_Lb1ESQ_SR_ST_SU_SY_EESZ_S10_S11_S12_S16_S17_S18_S1B_S1C_jS1D_jS1E_S1E_jjS1G_bEUljE0_EEESZ_S10_S11_S18_S1C_S1E_T6_T7_T9_mT8_S1G_bDpT10_ENKUlT_T0_E_clISt17integral_constantIbLb1EES1U_EEDaS1P_S1Q_EUlS1P_E_NS1_11comp_targetILNS1_3genE8ELNS1_11target_archE1030ELNS1_3gpuE2ELNS1_3repE0EEENS1_30default_config_static_selectorELNS0_4arch9wavefront6targetE0EEEvS12_
; %bb.0:
	.section	.rodata,"a",@progbits
	.p2align	6, 0x0
	.amdhsa_kernel _ZN7rocprim17ROCPRIM_400000_NS6detail17trampoline_kernelINS0_13select_configILj256ELj13ELNS0_17block_load_methodE3ELS4_3ELS4_3ELNS0_20block_scan_algorithmE0ELj4294967295EEENS1_25partition_config_selectorILNS1_17partition_subalgoE4EjNS0_10empty_typeEbEEZZNS1_14partition_implILS8_4ELb0ES6_15HIP_vector_typeIjLj2EENS0_17counting_iteratorIjlEEPS9_SG_NS0_5tupleIJPjSI_NS0_16reverse_iteratorISI_EEEEENSH_IJSG_SG_SG_EEES9_SI_JZNS1_25segmented_radix_sort_implINS0_14default_configELb1EPKsPsPKlPlN2at6native12_GLOBAL__N_18offset_tEEE10hipError_tPvRmT1_PNSt15iterator_traitsIS12_E10value_typeET2_T3_PNS13_IS18_E10value_typeET4_jRbjT5_S1E_jjP12ihipStream_tbEUljE_ZNSN_ISO_Lb1ESQ_SR_ST_SU_SY_EESZ_S10_S11_S12_S16_S17_S18_S1B_S1C_jS1D_jS1E_S1E_jjS1G_bEUljE0_EEESZ_S10_S11_S18_S1C_S1E_T6_T7_T9_mT8_S1G_bDpT10_ENKUlT_T0_E_clISt17integral_constantIbLb1EES1U_EEDaS1P_S1Q_EUlS1P_E_NS1_11comp_targetILNS1_3genE8ELNS1_11target_archE1030ELNS1_3gpuE2ELNS1_3repE0EEENS1_30default_config_static_selectorELNS0_4arch9wavefront6targetE0EEEvS12_
		.amdhsa_group_segment_fixed_size 0
		.amdhsa_private_segment_fixed_size 0
		.amdhsa_kernarg_size 184
		.amdhsa_user_sgpr_count 15
		.amdhsa_user_sgpr_dispatch_ptr 0
		.amdhsa_user_sgpr_queue_ptr 0
		.amdhsa_user_sgpr_kernarg_segment_ptr 1
		.amdhsa_user_sgpr_dispatch_id 0
		.amdhsa_user_sgpr_private_segment_size 0
		.amdhsa_wavefront_size32 1
		.amdhsa_uses_dynamic_stack 0
		.amdhsa_enable_private_segment 0
		.amdhsa_system_sgpr_workgroup_id_x 1
		.amdhsa_system_sgpr_workgroup_id_y 0
		.amdhsa_system_sgpr_workgroup_id_z 0
		.amdhsa_system_sgpr_workgroup_info 0
		.amdhsa_system_vgpr_workitem_id 0
		.amdhsa_next_free_vgpr 1
		.amdhsa_next_free_sgpr 1
		.amdhsa_reserve_vcc 0
		.amdhsa_float_round_mode_32 0
		.amdhsa_float_round_mode_16_64 0
		.amdhsa_float_denorm_mode_32 3
		.amdhsa_float_denorm_mode_16_64 3
		.amdhsa_dx10_clamp 1
		.amdhsa_ieee_mode 1
		.amdhsa_fp16_overflow 0
		.amdhsa_workgroup_processor_mode 1
		.amdhsa_memory_ordered 1
		.amdhsa_forward_progress 0
		.amdhsa_shared_vgpr_count 0
		.amdhsa_exception_fp_ieee_invalid_op 0
		.amdhsa_exception_fp_denorm_src 0
		.amdhsa_exception_fp_ieee_div_zero 0
		.amdhsa_exception_fp_ieee_overflow 0
		.amdhsa_exception_fp_ieee_underflow 0
		.amdhsa_exception_fp_ieee_inexact 0
		.amdhsa_exception_int_div_zero 0
	.end_amdhsa_kernel
	.section	.text._ZN7rocprim17ROCPRIM_400000_NS6detail17trampoline_kernelINS0_13select_configILj256ELj13ELNS0_17block_load_methodE3ELS4_3ELS4_3ELNS0_20block_scan_algorithmE0ELj4294967295EEENS1_25partition_config_selectorILNS1_17partition_subalgoE4EjNS0_10empty_typeEbEEZZNS1_14partition_implILS8_4ELb0ES6_15HIP_vector_typeIjLj2EENS0_17counting_iteratorIjlEEPS9_SG_NS0_5tupleIJPjSI_NS0_16reverse_iteratorISI_EEEEENSH_IJSG_SG_SG_EEES9_SI_JZNS1_25segmented_radix_sort_implINS0_14default_configELb1EPKsPsPKlPlN2at6native12_GLOBAL__N_18offset_tEEE10hipError_tPvRmT1_PNSt15iterator_traitsIS12_E10value_typeET2_T3_PNS13_IS18_E10value_typeET4_jRbjT5_S1E_jjP12ihipStream_tbEUljE_ZNSN_ISO_Lb1ESQ_SR_ST_SU_SY_EESZ_S10_S11_S12_S16_S17_S18_S1B_S1C_jS1D_jS1E_S1E_jjS1G_bEUljE0_EEESZ_S10_S11_S18_S1C_S1E_T6_T7_T9_mT8_S1G_bDpT10_ENKUlT_T0_E_clISt17integral_constantIbLb1EES1U_EEDaS1P_S1Q_EUlS1P_E_NS1_11comp_targetILNS1_3genE8ELNS1_11target_archE1030ELNS1_3gpuE2ELNS1_3repE0EEENS1_30default_config_static_selectorELNS0_4arch9wavefront6targetE0EEEvS12_,"axG",@progbits,_ZN7rocprim17ROCPRIM_400000_NS6detail17trampoline_kernelINS0_13select_configILj256ELj13ELNS0_17block_load_methodE3ELS4_3ELS4_3ELNS0_20block_scan_algorithmE0ELj4294967295EEENS1_25partition_config_selectorILNS1_17partition_subalgoE4EjNS0_10empty_typeEbEEZZNS1_14partition_implILS8_4ELb0ES6_15HIP_vector_typeIjLj2EENS0_17counting_iteratorIjlEEPS9_SG_NS0_5tupleIJPjSI_NS0_16reverse_iteratorISI_EEEEENSH_IJSG_SG_SG_EEES9_SI_JZNS1_25segmented_radix_sort_implINS0_14default_configELb1EPKsPsPKlPlN2at6native12_GLOBAL__N_18offset_tEEE10hipError_tPvRmT1_PNSt15iterator_traitsIS12_E10value_typeET2_T3_PNS13_IS18_E10value_typeET4_jRbjT5_S1E_jjP12ihipStream_tbEUljE_ZNSN_ISO_Lb1ESQ_SR_ST_SU_SY_EESZ_S10_S11_S12_S16_S17_S18_S1B_S1C_jS1D_jS1E_S1E_jjS1G_bEUljE0_EEESZ_S10_S11_S18_S1C_S1E_T6_T7_T9_mT8_S1G_bDpT10_ENKUlT_T0_E_clISt17integral_constantIbLb1EES1U_EEDaS1P_S1Q_EUlS1P_E_NS1_11comp_targetILNS1_3genE8ELNS1_11target_archE1030ELNS1_3gpuE2ELNS1_3repE0EEENS1_30default_config_static_selectorELNS0_4arch9wavefront6targetE0EEEvS12_,comdat
.Lfunc_end862:
	.size	_ZN7rocprim17ROCPRIM_400000_NS6detail17trampoline_kernelINS0_13select_configILj256ELj13ELNS0_17block_load_methodE3ELS4_3ELS4_3ELNS0_20block_scan_algorithmE0ELj4294967295EEENS1_25partition_config_selectorILNS1_17partition_subalgoE4EjNS0_10empty_typeEbEEZZNS1_14partition_implILS8_4ELb0ES6_15HIP_vector_typeIjLj2EENS0_17counting_iteratorIjlEEPS9_SG_NS0_5tupleIJPjSI_NS0_16reverse_iteratorISI_EEEEENSH_IJSG_SG_SG_EEES9_SI_JZNS1_25segmented_radix_sort_implINS0_14default_configELb1EPKsPsPKlPlN2at6native12_GLOBAL__N_18offset_tEEE10hipError_tPvRmT1_PNSt15iterator_traitsIS12_E10value_typeET2_T3_PNS13_IS18_E10value_typeET4_jRbjT5_S1E_jjP12ihipStream_tbEUljE_ZNSN_ISO_Lb1ESQ_SR_ST_SU_SY_EESZ_S10_S11_S12_S16_S17_S18_S1B_S1C_jS1D_jS1E_S1E_jjS1G_bEUljE0_EEESZ_S10_S11_S18_S1C_S1E_T6_T7_T9_mT8_S1G_bDpT10_ENKUlT_T0_E_clISt17integral_constantIbLb1EES1U_EEDaS1P_S1Q_EUlS1P_E_NS1_11comp_targetILNS1_3genE8ELNS1_11target_archE1030ELNS1_3gpuE2ELNS1_3repE0EEENS1_30default_config_static_selectorELNS0_4arch9wavefront6targetE0EEEvS12_, .Lfunc_end862-_ZN7rocprim17ROCPRIM_400000_NS6detail17trampoline_kernelINS0_13select_configILj256ELj13ELNS0_17block_load_methodE3ELS4_3ELS4_3ELNS0_20block_scan_algorithmE0ELj4294967295EEENS1_25partition_config_selectorILNS1_17partition_subalgoE4EjNS0_10empty_typeEbEEZZNS1_14partition_implILS8_4ELb0ES6_15HIP_vector_typeIjLj2EENS0_17counting_iteratorIjlEEPS9_SG_NS0_5tupleIJPjSI_NS0_16reverse_iteratorISI_EEEEENSH_IJSG_SG_SG_EEES9_SI_JZNS1_25segmented_radix_sort_implINS0_14default_configELb1EPKsPsPKlPlN2at6native12_GLOBAL__N_18offset_tEEE10hipError_tPvRmT1_PNSt15iterator_traitsIS12_E10value_typeET2_T3_PNS13_IS18_E10value_typeET4_jRbjT5_S1E_jjP12ihipStream_tbEUljE_ZNSN_ISO_Lb1ESQ_SR_ST_SU_SY_EESZ_S10_S11_S12_S16_S17_S18_S1B_S1C_jS1D_jS1E_S1E_jjS1G_bEUljE0_EEESZ_S10_S11_S18_S1C_S1E_T6_T7_T9_mT8_S1G_bDpT10_ENKUlT_T0_E_clISt17integral_constantIbLb1EES1U_EEDaS1P_S1Q_EUlS1P_E_NS1_11comp_targetILNS1_3genE8ELNS1_11target_archE1030ELNS1_3gpuE2ELNS1_3repE0EEENS1_30default_config_static_selectorELNS0_4arch9wavefront6targetE0EEEvS12_
                                        ; -- End function
	.section	.AMDGPU.csdata,"",@progbits
; Kernel info:
; codeLenInByte = 0
; NumSgprs: 0
; NumVgprs: 0
; ScratchSize: 0
; MemoryBound: 0
; FloatMode: 240
; IeeeMode: 1
; LDSByteSize: 0 bytes/workgroup (compile time only)
; SGPRBlocks: 0
; VGPRBlocks: 0
; NumSGPRsForWavesPerEU: 1
; NumVGPRsForWavesPerEU: 1
; Occupancy: 16
; WaveLimiterHint : 0
; COMPUTE_PGM_RSRC2:SCRATCH_EN: 0
; COMPUTE_PGM_RSRC2:USER_SGPR: 15
; COMPUTE_PGM_RSRC2:TRAP_HANDLER: 0
; COMPUTE_PGM_RSRC2:TGID_X_EN: 1
; COMPUTE_PGM_RSRC2:TGID_Y_EN: 0
; COMPUTE_PGM_RSRC2:TGID_Z_EN: 0
; COMPUTE_PGM_RSRC2:TIDIG_COMP_CNT: 0
	.section	.text._ZN7rocprim17ROCPRIM_400000_NS6detail17trampoline_kernelINS0_13select_configILj256ELj13ELNS0_17block_load_methodE3ELS4_3ELS4_3ELNS0_20block_scan_algorithmE0ELj4294967295EEENS1_25partition_config_selectorILNS1_17partition_subalgoE4EjNS0_10empty_typeEbEEZZNS1_14partition_implILS8_4ELb0ES6_15HIP_vector_typeIjLj2EENS0_17counting_iteratorIjlEEPS9_SG_NS0_5tupleIJPjSI_NS0_16reverse_iteratorISI_EEEEENSH_IJSG_SG_SG_EEES9_SI_JZNS1_25segmented_radix_sort_implINS0_14default_configELb1EPKsPsPKlPlN2at6native12_GLOBAL__N_18offset_tEEE10hipError_tPvRmT1_PNSt15iterator_traitsIS12_E10value_typeET2_T3_PNS13_IS18_E10value_typeET4_jRbjT5_S1E_jjP12ihipStream_tbEUljE_ZNSN_ISO_Lb1ESQ_SR_ST_SU_SY_EESZ_S10_S11_S12_S16_S17_S18_S1B_S1C_jS1D_jS1E_S1E_jjS1G_bEUljE0_EEESZ_S10_S11_S18_S1C_S1E_T6_T7_T9_mT8_S1G_bDpT10_ENKUlT_T0_E_clISt17integral_constantIbLb1EES1T_IbLb0EEEEDaS1P_S1Q_EUlS1P_E_NS1_11comp_targetILNS1_3genE0ELNS1_11target_archE4294967295ELNS1_3gpuE0ELNS1_3repE0EEENS1_30default_config_static_selectorELNS0_4arch9wavefront6targetE0EEEvS12_,"axG",@progbits,_ZN7rocprim17ROCPRIM_400000_NS6detail17trampoline_kernelINS0_13select_configILj256ELj13ELNS0_17block_load_methodE3ELS4_3ELS4_3ELNS0_20block_scan_algorithmE0ELj4294967295EEENS1_25partition_config_selectorILNS1_17partition_subalgoE4EjNS0_10empty_typeEbEEZZNS1_14partition_implILS8_4ELb0ES6_15HIP_vector_typeIjLj2EENS0_17counting_iteratorIjlEEPS9_SG_NS0_5tupleIJPjSI_NS0_16reverse_iteratorISI_EEEEENSH_IJSG_SG_SG_EEES9_SI_JZNS1_25segmented_radix_sort_implINS0_14default_configELb1EPKsPsPKlPlN2at6native12_GLOBAL__N_18offset_tEEE10hipError_tPvRmT1_PNSt15iterator_traitsIS12_E10value_typeET2_T3_PNS13_IS18_E10value_typeET4_jRbjT5_S1E_jjP12ihipStream_tbEUljE_ZNSN_ISO_Lb1ESQ_SR_ST_SU_SY_EESZ_S10_S11_S12_S16_S17_S18_S1B_S1C_jS1D_jS1E_S1E_jjS1G_bEUljE0_EEESZ_S10_S11_S18_S1C_S1E_T6_T7_T9_mT8_S1G_bDpT10_ENKUlT_T0_E_clISt17integral_constantIbLb1EES1T_IbLb0EEEEDaS1P_S1Q_EUlS1P_E_NS1_11comp_targetILNS1_3genE0ELNS1_11target_archE4294967295ELNS1_3gpuE0ELNS1_3repE0EEENS1_30default_config_static_selectorELNS0_4arch9wavefront6targetE0EEEvS12_,comdat
	.globl	_ZN7rocprim17ROCPRIM_400000_NS6detail17trampoline_kernelINS0_13select_configILj256ELj13ELNS0_17block_load_methodE3ELS4_3ELS4_3ELNS0_20block_scan_algorithmE0ELj4294967295EEENS1_25partition_config_selectorILNS1_17partition_subalgoE4EjNS0_10empty_typeEbEEZZNS1_14partition_implILS8_4ELb0ES6_15HIP_vector_typeIjLj2EENS0_17counting_iteratorIjlEEPS9_SG_NS0_5tupleIJPjSI_NS0_16reverse_iteratorISI_EEEEENSH_IJSG_SG_SG_EEES9_SI_JZNS1_25segmented_radix_sort_implINS0_14default_configELb1EPKsPsPKlPlN2at6native12_GLOBAL__N_18offset_tEEE10hipError_tPvRmT1_PNSt15iterator_traitsIS12_E10value_typeET2_T3_PNS13_IS18_E10value_typeET4_jRbjT5_S1E_jjP12ihipStream_tbEUljE_ZNSN_ISO_Lb1ESQ_SR_ST_SU_SY_EESZ_S10_S11_S12_S16_S17_S18_S1B_S1C_jS1D_jS1E_S1E_jjS1G_bEUljE0_EEESZ_S10_S11_S18_S1C_S1E_T6_T7_T9_mT8_S1G_bDpT10_ENKUlT_T0_E_clISt17integral_constantIbLb1EES1T_IbLb0EEEEDaS1P_S1Q_EUlS1P_E_NS1_11comp_targetILNS1_3genE0ELNS1_11target_archE4294967295ELNS1_3gpuE0ELNS1_3repE0EEENS1_30default_config_static_selectorELNS0_4arch9wavefront6targetE0EEEvS12_ ; -- Begin function _ZN7rocprim17ROCPRIM_400000_NS6detail17trampoline_kernelINS0_13select_configILj256ELj13ELNS0_17block_load_methodE3ELS4_3ELS4_3ELNS0_20block_scan_algorithmE0ELj4294967295EEENS1_25partition_config_selectorILNS1_17partition_subalgoE4EjNS0_10empty_typeEbEEZZNS1_14partition_implILS8_4ELb0ES6_15HIP_vector_typeIjLj2EENS0_17counting_iteratorIjlEEPS9_SG_NS0_5tupleIJPjSI_NS0_16reverse_iteratorISI_EEEEENSH_IJSG_SG_SG_EEES9_SI_JZNS1_25segmented_radix_sort_implINS0_14default_configELb1EPKsPsPKlPlN2at6native12_GLOBAL__N_18offset_tEEE10hipError_tPvRmT1_PNSt15iterator_traitsIS12_E10value_typeET2_T3_PNS13_IS18_E10value_typeET4_jRbjT5_S1E_jjP12ihipStream_tbEUljE_ZNSN_ISO_Lb1ESQ_SR_ST_SU_SY_EESZ_S10_S11_S12_S16_S17_S18_S1B_S1C_jS1D_jS1E_S1E_jjS1G_bEUljE0_EEESZ_S10_S11_S18_S1C_S1E_T6_T7_T9_mT8_S1G_bDpT10_ENKUlT_T0_E_clISt17integral_constantIbLb1EES1T_IbLb0EEEEDaS1P_S1Q_EUlS1P_E_NS1_11comp_targetILNS1_3genE0ELNS1_11target_archE4294967295ELNS1_3gpuE0ELNS1_3repE0EEENS1_30default_config_static_selectorELNS0_4arch9wavefront6targetE0EEEvS12_
	.p2align	8
	.type	_ZN7rocprim17ROCPRIM_400000_NS6detail17trampoline_kernelINS0_13select_configILj256ELj13ELNS0_17block_load_methodE3ELS4_3ELS4_3ELNS0_20block_scan_algorithmE0ELj4294967295EEENS1_25partition_config_selectorILNS1_17partition_subalgoE4EjNS0_10empty_typeEbEEZZNS1_14partition_implILS8_4ELb0ES6_15HIP_vector_typeIjLj2EENS0_17counting_iteratorIjlEEPS9_SG_NS0_5tupleIJPjSI_NS0_16reverse_iteratorISI_EEEEENSH_IJSG_SG_SG_EEES9_SI_JZNS1_25segmented_radix_sort_implINS0_14default_configELb1EPKsPsPKlPlN2at6native12_GLOBAL__N_18offset_tEEE10hipError_tPvRmT1_PNSt15iterator_traitsIS12_E10value_typeET2_T3_PNS13_IS18_E10value_typeET4_jRbjT5_S1E_jjP12ihipStream_tbEUljE_ZNSN_ISO_Lb1ESQ_SR_ST_SU_SY_EESZ_S10_S11_S12_S16_S17_S18_S1B_S1C_jS1D_jS1E_S1E_jjS1G_bEUljE0_EEESZ_S10_S11_S18_S1C_S1E_T6_T7_T9_mT8_S1G_bDpT10_ENKUlT_T0_E_clISt17integral_constantIbLb1EES1T_IbLb0EEEEDaS1P_S1Q_EUlS1P_E_NS1_11comp_targetILNS1_3genE0ELNS1_11target_archE4294967295ELNS1_3gpuE0ELNS1_3repE0EEENS1_30default_config_static_selectorELNS0_4arch9wavefront6targetE0EEEvS12_,@function
_ZN7rocprim17ROCPRIM_400000_NS6detail17trampoline_kernelINS0_13select_configILj256ELj13ELNS0_17block_load_methodE3ELS4_3ELS4_3ELNS0_20block_scan_algorithmE0ELj4294967295EEENS1_25partition_config_selectorILNS1_17partition_subalgoE4EjNS0_10empty_typeEbEEZZNS1_14partition_implILS8_4ELb0ES6_15HIP_vector_typeIjLj2EENS0_17counting_iteratorIjlEEPS9_SG_NS0_5tupleIJPjSI_NS0_16reverse_iteratorISI_EEEEENSH_IJSG_SG_SG_EEES9_SI_JZNS1_25segmented_radix_sort_implINS0_14default_configELb1EPKsPsPKlPlN2at6native12_GLOBAL__N_18offset_tEEE10hipError_tPvRmT1_PNSt15iterator_traitsIS12_E10value_typeET2_T3_PNS13_IS18_E10value_typeET4_jRbjT5_S1E_jjP12ihipStream_tbEUljE_ZNSN_ISO_Lb1ESQ_SR_ST_SU_SY_EESZ_S10_S11_S12_S16_S17_S18_S1B_S1C_jS1D_jS1E_S1E_jjS1G_bEUljE0_EEESZ_S10_S11_S18_S1C_S1E_T6_T7_T9_mT8_S1G_bDpT10_ENKUlT_T0_E_clISt17integral_constantIbLb1EES1T_IbLb0EEEEDaS1P_S1Q_EUlS1P_E_NS1_11comp_targetILNS1_3genE0ELNS1_11target_archE4294967295ELNS1_3gpuE0ELNS1_3repE0EEENS1_30default_config_static_selectorELNS0_4arch9wavefront6targetE0EEEvS12_: ; @_ZN7rocprim17ROCPRIM_400000_NS6detail17trampoline_kernelINS0_13select_configILj256ELj13ELNS0_17block_load_methodE3ELS4_3ELS4_3ELNS0_20block_scan_algorithmE0ELj4294967295EEENS1_25partition_config_selectorILNS1_17partition_subalgoE4EjNS0_10empty_typeEbEEZZNS1_14partition_implILS8_4ELb0ES6_15HIP_vector_typeIjLj2EENS0_17counting_iteratorIjlEEPS9_SG_NS0_5tupleIJPjSI_NS0_16reverse_iteratorISI_EEEEENSH_IJSG_SG_SG_EEES9_SI_JZNS1_25segmented_radix_sort_implINS0_14default_configELb1EPKsPsPKlPlN2at6native12_GLOBAL__N_18offset_tEEE10hipError_tPvRmT1_PNSt15iterator_traitsIS12_E10value_typeET2_T3_PNS13_IS18_E10value_typeET4_jRbjT5_S1E_jjP12ihipStream_tbEUljE_ZNSN_ISO_Lb1ESQ_SR_ST_SU_SY_EESZ_S10_S11_S12_S16_S17_S18_S1B_S1C_jS1D_jS1E_S1E_jjS1G_bEUljE0_EEESZ_S10_S11_S18_S1C_S1E_T6_T7_T9_mT8_S1G_bDpT10_ENKUlT_T0_E_clISt17integral_constantIbLb1EES1T_IbLb0EEEEDaS1P_S1Q_EUlS1P_E_NS1_11comp_targetILNS1_3genE0ELNS1_11target_archE4294967295ELNS1_3gpuE0ELNS1_3repE0EEENS1_30default_config_static_selectorELNS0_4arch9wavefront6targetE0EEEvS12_
; %bb.0:
	.section	.rodata,"a",@progbits
	.p2align	6, 0x0
	.amdhsa_kernel _ZN7rocprim17ROCPRIM_400000_NS6detail17trampoline_kernelINS0_13select_configILj256ELj13ELNS0_17block_load_methodE3ELS4_3ELS4_3ELNS0_20block_scan_algorithmE0ELj4294967295EEENS1_25partition_config_selectorILNS1_17partition_subalgoE4EjNS0_10empty_typeEbEEZZNS1_14partition_implILS8_4ELb0ES6_15HIP_vector_typeIjLj2EENS0_17counting_iteratorIjlEEPS9_SG_NS0_5tupleIJPjSI_NS0_16reverse_iteratorISI_EEEEENSH_IJSG_SG_SG_EEES9_SI_JZNS1_25segmented_radix_sort_implINS0_14default_configELb1EPKsPsPKlPlN2at6native12_GLOBAL__N_18offset_tEEE10hipError_tPvRmT1_PNSt15iterator_traitsIS12_E10value_typeET2_T3_PNS13_IS18_E10value_typeET4_jRbjT5_S1E_jjP12ihipStream_tbEUljE_ZNSN_ISO_Lb1ESQ_SR_ST_SU_SY_EESZ_S10_S11_S12_S16_S17_S18_S1B_S1C_jS1D_jS1E_S1E_jjS1G_bEUljE0_EEESZ_S10_S11_S18_S1C_S1E_T6_T7_T9_mT8_S1G_bDpT10_ENKUlT_T0_E_clISt17integral_constantIbLb1EES1T_IbLb0EEEEDaS1P_S1Q_EUlS1P_E_NS1_11comp_targetILNS1_3genE0ELNS1_11target_archE4294967295ELNS1_3gpuE0ELNS1_3repE0EEENS1_30default_config_static_selectorELNS0_4arch9wavefront6targetE0EEEvS12_
		.amdhsa_group_segment_fixed_size 0
		.amdhsa_private_segment_fixed_size 0
		.amdhsa_kernarg_size 176
		.amdhsa_user_sgpr_count 15
		.amdhsa_user_sgpr_dispatch_ptr 0
		.amdhsa_user_sgpr_queue_ptr 0
		.amdhsa_user_sgpr_kernarg_segment_ptr 1
		.amdhsa_user_sgpr_dispatch_id 0
		.amdhsa_user_sgpr_private_segment_size 0
		.amdhsa_wavefront_size32 1
		.amdhsa_uses_dynamic_stack 0
		.amdhsa_enable_private_segment 0
		.amdhsa_system_sgpr_workgroup_id_x 1
		.amdhsa_system_sgpr_workgroup_id_y 0
		.amdhsa_system_sgpr_workgroup_id_z 0
		.amdhsa_system_sgpr_workgroup_info 0
		.amdhsa_system_vgpr_workitem_id 0
		.amdhsa_next_free_vgpr 1
		.amdhsa_next_free_sgpr 1
		.amdhsa_reserve_vcc 0
		.amdhsa_float_round_mode_32 0
		.amdhsa_float_round_mode_16_64 0
		.amdhsa_float_denorm_mode_32 3
		.amdhsa_float_denorm_mode_16_64 3
		.amdhsa_dx10_clamp 1
		.amdhsa_ieee_mode 1
		.amdhsa_fp16_overflow 0
		.amdhsa_workgroup_processor_mode 1
		.amdhsa_memory_ordered 1
		.amdhsa_forward_progress 0
		.amdhsa_shared_vgpr_count 0
		.amdhsa_exception_fp_ieee_invalid_op 0
		.amdhsa_exception_fp_denorm_src 0
		.amdhsa_exception_fp_ieee_div_zero 0
		.amdhsa_exception_fp_ieee_overflow 0
		.amdhsa_exception_fp_ieee_underflow 0
		.amdhsa_exception_fp_ieee_inexact 0
		.amdhsa_exception_int_div_zero 0
	.end_amdhsa_kernel
	.section	.text._ZN7rocprim17ROCPRIM_400000_NS6detail17trampoline_kernelINS0_13select_configILj256ELj13ELNS0_17block_load_methodE3ELS4_3ELS4_3ELNS0_20block_scan_algorithmE0ELj4294967295EEENS1_25partition_config_selectorILNS1_17partition_subalgoE4EjNS0_10empty_typeEbEEZZNS1_14partition_implILS8_4ELb0ES6_15HIP_vector_typeIjLj2EENS0_17counting_iteratorIjlEEPS9_SG_NS0_5tupleIJPjSI_NS0_16reverse_iteratorISI_EEEEENSH_IJSG_SG_SG_EEES9_SI_JZNS1_25segmented_radix_sort_implINS0_14default_configELb1EPKsPsPKlPlN2at6native12_GLOBAL__N_18offset_tEEE10hipError_tPvRmT1_PNSt15iterator_traitsIS12_E10value_typeET2_T3_PNS13_IS18_E10value_typeET4_jRbjT5_S1E_jjP12ihipStream_tbEUljE_ZNSN_ISO_Lb1ESQ_SR_ST_SU_SY_EESZ_S10_S11_S12_S16_S17_S18_S1B_S1C_jS1D_jS1E_S1E_jjS1G_bEUljE0_EEESZ_S10_S11_S18_S1C_S1E_T6_T7_T9_mT8_S1G_bDpT10_ENKUlT_T0_E_clISt17integral_constantIbLb1EES1T_IbLb0EEEEDaS1P_S1Q_EUlS1P_E_NS1_11comp_targetILNS1_3genE0ELNS1_11target_archE4294967295ELNS1_3gpuE0ELNS1_3repE0EEENS1_30default_config_static_selectorELNS0_4arch9wavefront6targetE0EEEvS12_,"axG",@progbits,_ZN7rocprim17ROCPRIM_400000_NS6detail17trampoline_kernelINS0_13select_configILj256ELj13ELNS0_17block_load_methodE3ELS4_3ELS4_3ELNS0_20block_scan_algorithmE0ELj4294967295EEENS1_25partition_config_selectorILNS1_17partition_subalgoE4EjNS0_10empty_typeEbEEZZNS1_14partition_implILS8_4ELb0ES6_15HIP_vector_typeIjLj2EENS0_17counting_iteratorIjlEEPS9_SG_NS0_5tupleIJPjSI_NS0_16reverse_iteratorISI_EEEEENSH_IJSG_SG_SG_EEES9_SI_JZNS1_25segmented_radix_sort_implINS0_14default_configELb1EPKsPsPKlPlN2at6native12_GLOBAL__N_18offset_tEEE10hipError_tPvRmT1_PNSt15iterator_traitsIS12_E10value_typeET2_T3_PNS13_IS18_E10value_typeET4_jRbjT5_S1E_jjP12ihipStream_tbEUljE_ZNSN_ISO_Lb1ESQ_SR_ST_SU_SY_EESZ_S10_S11_S12_S16_S17_S18_S1B_S1C_jS1D_jS1E_S1E_jjS1G_bEUljE0_EEESZ_S10_S11_S18_S1C_S1E_T6_T7_T9_mT8_S1G_bDpT10_ENKUlT_T0_E_clISt17integral_constantIbLb1EES1T_IbLb0EEEEDaS1P_S1Q_EUlS1P_E_NS1_11comp_targetILNS1_3genE0ELNS1_11target_archE4294967295ELNS1_3gpuE0ELNS1_3repE0EEENS1_30default_config_static_selectorELNS0_4arch9wavefront6targetE0EEEvS12_,comdat
.Lfunc_end863:
	.size	_ZN7rocprim17ROCPRIM_400000_NS6detail17trampoline_kernelINS0_13select_configILj256ELj13ELNS0_17block_load_methodE3ELS4_3ELS4_3ELNS0_20block_scan_algorithmE0ELj4294967295EEENS1_25partition_config_selectorILNS1_17partition_subalgoE4EjNS0_10empty_typeEbEEZZNS1_14partition_implILS8_4ELb0ES6_15HIP_vector_typeIjLj2EENS0_17counting_iteratorIjlEEPS9_SG_NS0_5tupleIJPjSI_NS0_16reverse_iteratorISI_EEEEENSH_IJSG_SG_SG_EEES9_SI_JZNS1_25segmented_radix_sort_implINS0_14default_configELb1EPKsPsPKlPlN2at6native12_GLOBAL__N_18offset_tEEE10hipError_tPvRmT1_PNSt15iterator_traitsIS12_E10value_typeET2_T3_PNS13_IS18_E10value_typeET4_jRbjT5_S1E_jjP12ihipStream_tbEUljE_ZNSN_ISO_Lb1ESQ_SR_ST_SU_SY_EESZ_S10_S11_S12_S16_S17_S18_S1B_S1C_jS1D_jS1E_S1E_jjS1G_bEUljE0_EEESZ_S10_S11_S18_S1C_S1E_T6_T7_T9_mT8_S1G_bDpT10_ENKUlT_T0_E_clISt17integral_constantIbLb1EES1T_IbLb0EEEEDaS1P_S1Q_EUlS1P_E_NS1_11comp_targetILNS1_3genE0ELNS1_11target_archE4294967295ELNS1_3gpuE0ELNS1_3repE0EEENS1_30default_config_static_selectorELNS0_4arch9wavefront6targetE0EEEvS12_, .Lfunc_end863-_ZN7rocprim17ROCPRIM_400000_NS6detail17trampoline_kernelINS0_13select_configILj256ELj13ELNS0_17block_load_methodE3ELS4_3ELS4_3ELNS0_20block_scan_algorithmE0ELj4294967295EEENS1_25partition_config_selectorILNS1_17partition_subalgoE4EjNS0_10empty_typeEbEEZZNS1_14partition_implILS8_4ELb0ES6_15HIP_vector_typeIjLj2EENS0_17counting_iteratorIjlEEPS9_SG_NS0_5tupleIJPjSI_NS0_16reverse_iteratorISI_EEEEENSH_IJSG_SG_SG_EEES9_SI_JZNS1_25segmented_radix_sort_implINS0_14default_configELb1EPKsPsPKlPlN2at6native12_GLOBAL__N_18offset_tEEE10hipError_tPvRmT1_PNSt15iterator_traitsIS12_E10value_typeET2_T3_PNS13_IS18_E10value_typeET4_jRbjT5_S1E_jjP12ihipStream_tbEUljE_ZNSN_ISO_Lb1ESQ_SR_ST_SU_SY_EESZ_S10_S11_S12_S16_S17_S18_S1B_S1C_jS1D_jS1E_S1E_jjS1G_bEUljE0_EEESZ_S10_S11_S18_S1C_S1E_T6_T7_T9_mT8_S1G_bDpT10_ENKUlT_T0_E_clISt17integral_constantIbLb1EES1T_IbLb0EEEEDaS1P_S1Q_EUlS1P_E_NS1_11comp_targetILNS1_3genE0ELNS1_11target_archE4294967295ELNS1_3gpuE0ELNS1_3repE0EEENS1_30default_config_static_selectorELNS0_4arch9wavefront6targetE0EEEvS12_
                                        ; -- End function
	.section	.AMDGPU.csdata,"",@progbits
; Kernel info:
; codeLenInByte = 0
; NumSgprs: 0
; NumVgprs: 0
; ScratchSize: 0
; MemoryBound: 0
; FloatMode: 240
; IeeeMode: 1
; LDSByteSize: 0 bytes/workgroup (compile time only)
; SGPRBlocks: 0
; VGPRBlocks: 0
; NumSGPRsForWavesPerEU: 1
; NumVGPRsForWavesPerEU: 1
; Occupancy: 16
; WaveLimiterHint : 0
; COMPUTE_PGM_RSRC2:SCRATCH_EN: 0
; COMPUTE_PGM_RSRC2:USER_SGPR: 15
; COMPUTE_PGM_RSRC2:TRAP_HANDLER: 0
; COMPUTE_PGM_RSRC2:TGID_X_EN: 1
; COMPUTE_PGM_RSRC2:TGID_Y_EN: 0
; COMPUTE_PGM_RSRC2:TGID_Z_EN: 0
; COMPUTE_PGM_RSRC2:TIDIG_COMP_CNT: 0
	.section	.text._ZN7rocprim17ROCPRIM_400000_NS6detail17trampoline_kernelINS0_13select_configILj256ELj13ELNS0_17block_load_methodE3ELS4_3ELS4_3ELNS0_20block_scan_algorithmE0ELj4294967295EEENS1_25partition_config_selectorILNS1_17partition_subalgoE4EjNS0_10empty_typeEbEEZZNS1_14partition_implILS8_4ELb0ES6_15HIP_vector_typeIjLj2EENS0_17counting_iteratorIjlEEPS9_SG_NS0_5tupleIJPjSI_NS0_16reverse_iteratorISI_EEEEENSH_IJSG_SG_SG_EEES9_SI_JZNS1_25segmented_radix_sort_implINS0_14default_configELb1EPKsPsPKlPlN2at6native12_GLOBAL__N_18offset_tEEE10hipError_tPvRmT1_PNSt15iterator_traitsIS12_E10value_typeET2_T3_PNS13_IS18_E10value_typeET4_jRbjT5_S1E_jjP12ihipStream_tbEUljE_ZNSN_ISO_Lb1ESQ_SR_ST_SU_SY_EESZ_S10_S11_S12_S16_S17_S18_S1B_S1C_jS1D_jS1E_S1E_jjS1G_bEUljE0_EEESZ_S10_S11_S18_S1C_S1E_T6_T7_T9_mT8_S1G_bDpT10_ENKUlT_T0_E_clISt17integral_constantIbLb1EES1T_IbLb0EEEEDaS1P_S1Q_EUlS1P_E_NS1_11comp_targetILNS1_3genE5ELNS1_11target_archE942ELNS1_3gpuE9ELNS1_3repE0EEENS1_30default_config_static_selectorELNS0_4arch9wavefront6targetE0EEEvS12_,"axG",@progbits,_ZN7rocprim17ROCPRIM_400000_NS6detail17trampoline_kernelINS0_13select_configILj256ELj13ELNS0_17block_load_methodE3ELS4_3ELS4_3ELNS0_20block_scan_algorithmE0ELj4294967295EEENS1_25partition_config_selectorILNS1_17partition_subalgoE4EjNS0_10empty_typeEbEEZZNS1_14partition_implILS8_4ELb0ES6_15HIP_vector_typeIjLj2EENS0_17counting_iteratorIjlEEPS9_SG_NS0_5tupleIJPjSI_NS0_16reverse_iteratorISI_EEEEENSH_IJSG_SG_SG_EEES9_SI_JZNS1_25segmented_radix_sort_implINS0_14default_configELb1EPKsPsPKlPlN2at6native12_GLOBAL__N_18offset_tEEE10hipError_tPvRmT1_PNSt15iterator_traitsIS12_E10value_typeET2_T3_PNS13_IS18_E10value_typeET4_jRbjT5_S1E_jjP12ihipStream_tbEUljE_ZNSN_ISO_Lb1ESQ_SR_ST_SU_SY_EESZ_S10_S11_S12_S16_S17_S18_S1B_S1C_jS1D_jS1E_S1E_jjS1G_bEUljE0_EEESZ_S10_S11_S18_S1C_S1E_T6_T7_T9_mT8_S1G_bDpT10_ENKUlT_T0_E_clISt17integral_constantIbLb1EES1T_IbLb0EEEEDaS1P_S1Q_EUlS1P_E_NS1_11comp_targetILNS1_3genE5ELNS1_11target_archE942ELNS1_3gpuE9ELNS1_3repE0EEENS1_30default_config_static_selectorELNS0_4arch9wavefront6targetE0EEEvS12_,comdat
	.globl	_ZN7rocprim17ROCPRIM_400000_NS6detail17trampoline_kernelINS0_13select_configILj256ELj13ELNS0_17block_load_methodE3ELS4_3ELS4_3ELNS0_20block_scan_algorithmE0ELj4294967295EEENS1_25partition_config_selectorILNS1_17partition_subalgoE4EjNS0_10empty_typeEbEEZZNS1_14partition_implILS8_4ELb0ES6_15HIP_vector_typeIjLj2EENS0_17counting_iteratorIjlEEPS9_SG_NS0_5tupleIJPjSI_NS0_16reverse_iteratorISI_EEEEENSH_IJSG_SG_SG_EEES9_SI_JZNS1_25segmented_radix_sort_implINS0_14default_configELb1EPKsPsPKlPlN2at6native12_GLOBAL__N_18offset_tEEE10hipError_tPvRmT1_PNSt15iterator_traitsIS12_E10value_typeET2_T3_PNS13_IS18_E10value_typeET4_jRbjT5_S1E_jjP12ihipStream_tbEUljE_ZNSN_ISO_Lb1ESQ_SR_ST_SU_SY_EESZ_S10_S11_S12_S16_S17_S18_S1B_S1C_jS1D_jS1E_S1E_jjS1G_bEUljE0_EEESZ_S10_S11_S18_S1C_S1E_T6_T7_T9_mT8_S1G_bDpT10_ENKUlT_T0_E_clISt17integral_constantIbLb1EES1T_IbLb0EEEEDaS1P_S1Q_EUlS1P_E_NS1_11comp_targetILNS1_3genE5ELNS1_11target_archE942ELNS1_3gpuE9ELNS1_3repE0EEENS1_30default_config_static_selectorELNS0_4arch9wavefront6targetE0EEEvS12_ ; -- Begin function _ZN7rocprim17ROCPRIM_400000_NS6detail17trampoline_kernelINS0_13select_configILj256ELj13ELNS0_17block_load_methodE3ELS4_3ELS4_3ELNS0_20block_scan_algorithmE0ELj4294967295EEENS1_25partition_config_selectorILNS1_17partition_subalgoE4EjNS0_10empty_typeEbEEZZNS1_14partition_implILS8_4ELb0ES6_15HIP_vector_typeIjLj2EENS0_17counting_iteratorIjlEEPS9_SG_NS0_5tupleIJPjSI_NS0_16reverse_iteratorISI_EEEEENSH_IJSG_SG_SG_EEES9_SI_JZNS1_25segmented_radix_sort_implINS0_14default_configELb1EPKsPsPKlPlN2at6native12_GLOBAL__N_18offset_tEEE10hipError_tPvRmT1_PNSt15iterator_traitsIS12_E10value_typeET2_T3_PNS13_IS18_E10value_typeET4_jRbjT5_S1E_jjP12ihipStream_tbEUljE_ZNSN_ISO_Lb1ESQ_SR_ST_SU_SY_EESZ_S10_S11_S12_S16_S17_S18_S1B_S1C_jS1D_jS1E_S1E_jjS1G_bEUljE0_EEESZ_S10_S11_S18_S1C_S1E_T6_T7_T9_mT8_S1G_bDpT10_ENKUlT_T0_E_clISt17integral_constantIbLb1EES1T_IbLb0EEEEDaS1P_S1Q_EUlS1P_E_NS1_11comp_targetILNS1_3genE5ELNS1_11target_archE942ELNS1_3gpuE9ELNS1_3repE0EEENS1_30default_config_static_selectorELNS0_4arch9wavefront6targetE0EEEvS12_
	.p2align	8
	.type	_ZN7rocprim17ROCPRIM_400000_NS6detail17trampoline_kernelINS0_13select_configILj256ELj13ELNS0_17block_load_methodE3ELS4_3ELS4_3ELNS0_20block_scan_algorithmE0ELj4294967295EEENS1_25partition_config_selectorILNS1_17partition_subalgoE4EjNS0_10empty_typeEbEEZZNS1_14partition_implILS8_4ELb0ES6_15HIP_vector_typeIjLj2EENS0_17counting_iteratorIjlEEPS9_SG_NS0_5tupleIJPjSI_NS0_16reverse_iteratorISI_EEEEENSH_IJSG_SG_SG_EEES9_SI_JZNS1_25segmented_radix_sort_implINS0_14default_configELb1EPKsPsPKlPlN2at6native12_GLOBAL__N_18offset_tEEE10hipError_tPvRmT1_PNSt15iterator_traitsIS12_E10value_typeET2_T3_PNS13_IS18_E10value_typeET4_jRbjT5_S1E_jjP12ihipStream_tbEUljE_ZNSN_ISO_Lb1ESQ_SR_ST_SU_SY_EESZ_S10_S11_S12_S16_S17_S18_S1B_S1C_jS1D_jS1E_S1E_jjS1G_bEUljE0_EEESZ_S10_S11_S18_S1C_S1E_T6_T7_T9_mT8_S1G_bDpT10_ENKUlT_T0_E_clISt17integral_constantIbLb1EES1T_IbLb0EEEEDaS1P_S1Q_EUlS1P_E_NS1_11comp_targetILNS1_3genE5ELNS1_11target_archE942ELNS1_3gpuE9ELNS1_3repE0EEENS1_30default_config_static_selectorELNS0_4arch9wavefront6targetE0EEEvS12_,@function
_ZN7rocprim17ROCPRIM_400000_NS6detail17trampoline_kernelINS0_13select_configILj256ELj13ELNS0_17block_load_methodE3ELS4_3ELS4_3ELNS0_20block_scan_algorithmE0ELj4294967295EEENS1_25partition_config_selectorILNS1_17partition_subalgoE4EjNS0_10empty_typeEbEEZZNS1_14partition_implILS8_4ELb0ES6_15HIP_vector_typeIjLj2EENS0_17counting_iteratorIjlEEPS9_SG_NS0_5tupleIJPjSI_NS0_16reverse_iteratorISI_EEEEENSH_IJSG_SG_SG_EEES9_SI_JZNS1_25segmented_radix_sort_implINS0_14default_configELb1EPKsPsPKlPlN2at6native12_GLOBAL__N_18offset_tEEE10hipError_tPvRmT1_PNSt15iterator_traitsIS12_E10value_typeET2_T3_PNS13_IS18_E10value_typeET4_jRbjT5_S1E_jjP12ihipStream_tbEUljE_ZNSN_ISO_Lb1ESQ_SR_ST_SU_SY_EESZ_S10_S11_S12_S16_S17_S18_S1B_S1C_jS1D_jS1E_S1E_jjS1G_bEUljE0_EEESZ_S10_S11_S18_S1C_S1E_T6_T7_T9_mT8_S1G_bDpT10_ENKUlT_T0_E_clISt17integral_constantIbLb1EES1T_IbLb0EEEEDaS1P_S1Q_EUlS1P_E_NS1_11comp_targetILNS1_3genE5ELNS1_11target_archE942ELNS1_3gpuE9ELNS1_3repE0EEENS1_30default_config_static_selectorELNS0_4arch9wavefront6targetE0EEEvS12_: ; @_ZN7rocprim17ROCPRIM_400000_NS6detail17trampoline_kernelINS0_13select_configILj256ELj13ELNS0_17block_load_methodE3ELS4_3ELS4_3ELNS0_20block_scan_algorithmE0ELj4294967295EEENS1_25partition_config_selectorILNS1_17partition_subalgoE4EjNS0_10empty_typeEbEEZZNS1_14partition_implILS8_4ELb0ES6_15HIP_vector_typeIjLj2EENS0_17counting_iteratorIjlEEPS9_SG_NS0_5tupleIJPjSI_NS0_16reverse_iteratorISI_EEEEENSH_IJSG_SG_SG_EEES9_SI_JZNS1_25segmented_radix_sort_implINS0_14default_configELb1EPKsPsPKlPlN2at6native12_GLOBAL__N_18offset_tEEE10hipError_tPvRmT1_PNSt15iterator_traitsIS12_E10value_typeET2_T3_PNS13_IS18_E10value_typeET4_jRbjT5_S1E_jjP12ihipStream_tbEUljE_ZNSN_ISO_Lb1ESQ_SR_ST_SU_SY_EESZ_S10_S11_S12_S16_S17_S18_S1B_S1C_jS1D_jS1E_S1E_jjS1G_bEUljE0_EEESZ_S10_S11_S18_S1C_S1E_T6_T7_T9_mT8_S1G_bDpT10_ENKUlT_T0_E_clISt17integral_constantIbLb1EES1T_IbLb0EEEEDaS1P_S1Q_EUlS1P_E_NS1_11comp_targetILNS1_3genE5ELNS1_11target_archE942ELNS1_3gpuE9ELNS1_3repE0EEENS1_30default_config_static_selectorELNS0_4arch9wavefront6targetE0EEEvS12_
; %bb.0:
	.section	.rodata,"a",@progbits
	.p2align	6, 0x0
	.amdhsa_kernel _ZN7rocprim17ROCPRIM_400000_NS6detail17trampoline_kernelINS0_13select_configILj256ELj13ELNS0_17block_load_methodE3ELS4_3ELS4_3ELNS0_20block_scan_algorithmE0ELj4294967295EEENS1_25partition_config_selectorILNS1_17partition_subalgoE4EjNS0_10empty_typeEbEEZZNS1_14partition_implILS8_4ELb0ES6_15HIP_vector_typeIjLj2EENS0_17counting_iteratorIjlEEPS9_SG_NS0_5tupleIJPjSI_NS0_16reverse_iteratorISI_EEEEENSH_IJSG_SG_SG_EEES9_SI_JZNS1_25segmented_radix_sort_implINS0_14default_configELb1EPKsPsPKlPlN2at6native12_GLOBAL__N_18offset_tEEE10hipError_tPvRmT1_PNSt15iterator_traitsIS12_E10value_typeET2_T3_PNS13_IS18_E10value_typeET4_jRbjT5_S1E_jjP12ihipStream_tbEUljE_ZNSN_ISO_Lb1ESQ_SR_ST_SU_SY_EESZ_S10_S11_S12_S16_S17_S18_S1B_S1C_jS1D_jS1E_S1E_jjS1G_bEUljE0_EEESZ_S10_S11_S18_S1C_S1E_T6_T7_T9_mT8_S1G_bDpT10_ENKUlT_T0_E_clISt17integral_constantIbLb1EES1T_IbLb0EEEEDaS1P_S1Q_EUlS1P_E_NS1_11comp_targetILNS1_3genE5ELNS1_11target_archE942ELNS1_3gpuE9ELNS1_3repE0EEENS1_30default_config_static_selectorELNS0_4arch9wavefront6targetE0EEEvS12_
		.amdhsa_group_segment_fixed_size 0
		.amdhsa_private_segment_fixed_size 0
		.amdhsa_kernarg_size 176
		.amdhsa_user_sgpr_count 15
		.amdhsa_user_sgpr_dispatch_ptr 0
		.amdhsa_user_sgpr_queue_ptr 0
		.amdhsa_user_sgpr_kernarg_segment_ptr 1
		.amdhsa_user_sgpr_dispatch_id 0
		.amdhsa_user_sgpr_private_segment_size 0
		.amdhsa_wavefront_size32 1
		.amdhsa_uses_dynamic_stack 0
		.amdhsa_enable_private_segment 0
		.amdhsa_system_sgpr_workgroup_id_x 1
		.amdhsa_system_sgpr_workgroup_id_y 0
		.amdhsa_system_sgpr_workgroup_id_z 0
		.amdhsa_system_sgpr_workgroup_info 0
		.amdhsa_system_vgpr_workitem_id 0
		.amdhsa_next_free_vgpr 1
		.amdhsa_next_free_sgpr 1
		.amdhsa_reserve_vcc 0
		.amdhsa_float_round_mode_32 0
		.amdhsa_float_round_mode_16_64 0
		.amdhsa_float_denorm_mode_32 3
		.amdhsa_float_denorm_mode_16_64 3
		.amdhsa_dx10_clamp 1
		.amdhsa_ieee_mode 1
		.amdhsa_fp16_overflow 0
		.amdhsa_workgroup_processor_mode 1
		.amdhsa_memory_ordered 1
		.amdhsa_forward_progress 0
		.amdhsa_shared_vgpr_count 0
		.amdhsa_exception_fp_ieee_invalid_op 0
		.amdhsa_exception_fp_denorm_src 0
		.amdhsa_exception_fp_ieee_div_zero 0
		.amdhsa_exception_fp_ieee_overflow 0
		.amdhsa_exception_fp_ieee_underflow 0
		.amdhsa_exception_fp_ieee_inexact 0
		.amdhsa_exception_int_div_zero 0
	.end_amdhsa_kernel
	.section	.text._ZN7rocprim17ROCPRIM_400000_NS6detail17trampoline_kernelINS0_13select_configILj256ELj13ELNS0_17block_load_methodE3ELS4_3ELS4_3ELNS0_20block_scan_algorithmE0ELj4294967295EEENS1_25partition_config_selectorILNS1_17partition_subalgoE4EjNS0_10empty_typeEbEEZZNS1_14partition_implILS8_4ELb0ES6_15HIP_vector_typeIjLj2EENS0_17counting_iteratorIjlEEPS9_SG_NS0_5tupleIJPjSI_NS0_16reverse_iteratorISI_EEEEENSH_IJSG_SG_SG_EEES9_SI_JZNS1_25segmented_radix_sort_implINS0_14default_configELb1EPKsPsPKlPlN2at6native12_GLOBAL__N_18offset_tEEE10hipError_tPvRmT1_PNSt15iterator_traitsIS12_E10value_typeET2_T3_PNS13_IS18_E10value_typeET4_jRbjT5_S1E_jjP12ihipStream_tbEUljE_ZNSN_ISO_Lb1ESQ_SR_ST_SU_SY_EESZ_S10_S11_S12_S16_S17_S18_S1B_S1C_jS1D_jS1E_S1E_jjS1G_bEUljE0_EEESZ_S10_S11_S18_S1C_S1E_T6_T7_T9_mT8_S1G_bDpT10_ENKUlT_T0_E_clISt17integral_constantIbLb1EES1T_IbLb0EEEEDaS1P_S1Q_EUlS1P_E_NS1_11comp_targetILNS1_3genE5ELNS1_11target_archE942ELNS1_3gpuE9ELNS1_3repE0EEENS1_30default_config_static_selectorELNS0_4arch9wavefront6targetE0EEEvS12_,"axG",@progbits,_ZN7rocprim17ROCPRIM_400000_NS6detail17trampoline_kernelINS0_13select_configILj256ELj13ELNS0_17block_load_methodE3ELS4_3ELS4_3ELNS0_20block_scan_algorithmE0ELj4294967295EEENS1_25partition_config_selectorILNS1_17partition_subalgoE4EjNS0_10empty_typeEbEEZZNS1_14partition_implILS8_4ELb0ES6_15HIP_vector_typeIjLj2EENS0_17counting_iteratorIjlEEPS9_SG_NS0_5tupleIJPjSI_NS0_16reverse_iteratorISI_EEEEENSH_IJSG_SG_SG_EEES9_SI_JZNS1_25segmented_radix_sort_implINS0_14default_configELb1EPKsPsPKlPlN2at6native12_GLOBAL__N_18offset_tEEE10hipError_tPvRmT1_PNSt15iterator_traitsIS12_E10value_typeET2_T3_PNS13_IS18_E10value_typeET4_jRbjT5_S1E_jjP12ihipStream_tbEUljE_ZNSN_ISO_Lb1ESQ_SR_ST_SU_SY_EESZ_S10_S11_S12_S16_S17_S18_S1B_S1C_jS1D_jS1E_S1E_jjS1G_bEUljE0_EEESZ_S10_S11_S18_S1C_S1E_T6_T7_T9_mT8_S1G_bDpT10_ENKUlT_T0_E_clISt17integral_constantIbLb1EES1T_IbLb0EEEEDaS1P_S1Q_EUlS1P_E_NS1_11comp_targetILNS1_3genE5ELNS1_11target_archE942ELNS1_3gpuE9ELNS1_3repE0EEENS1_30default_config_static_selectorELNS0_4arch9wavefront6targetE0EEEvS12_,comdat
.Lfunc_end864:
	.size	_ZN7rocprim17ROCPRIM_400000_NS6detail17trampoline_kernelINS0_13select_configILj256ELj13ELNS0_17block_load_methodE3ELS4_3ELS4_3ELNS0_20block_scan_algorithmE0ELj4294967295EEENS1_25partition_config_selectorILNS1_17partition_subalgoE4EjNS0_10empty_typeEbEEZZNS1_14partition_implILS8_4ELb0ES6_15HIP_vector_typeIjLj2EENS0_17counting_iteratorIjlEEPS9_SG_NS0_5tupleIJPjSI_NS0_16reverse_iteratorISI_EEEEENSH_IJSG_SG_SG_EEES9_SI_JZNS1_25segmented_radix_sort_implINS0_14default_configELb1EPKsPsPKlPlN2at6native12_GLOBAL__N_18offset_tEEE10hipError_tPvRmT1_PNSt15iterator_traitsIS12_E10value_typeET2_T3_PNS13_IS18_E10value_typeET4_jRbjT5_S1E_jjP12ihipStream_tbEUljE_ZNSN_ISO_Lb1ESQ_SR_ST_SU_SY_EESZ_S10_S11_S12_S16_S17_S18_S1B_S1C_jS1D_jS1E_S1E_jjS1G_bEUljE0_EEESZ_S10_S11_S18_S1C_S1E_T6_T7_T9_mT8_S1G_bDpT10_ENKUlT_T0_E_clISt17integral_constantIbLb1EES1T_IbLb0EEEEDaS1P_S1Q_EUlS1P_E_NS1_11comp_targetILNS1_3genE5ELNS1_11target_archE942ELNS1_3gpuE9ELNS1_3repE0EEENS1_30default_config_static_selectorELNS0_4arch9wavefront6targetE0EEEvS12_, .Lfunc_end864-_ZN7rocprim17ROCPRIM_400000_NS6detail17trampoline_kernelINS0_13select_configILj256ELj13ELNS0_17block_load_methodE3ELS4_3ELS4_3ELNS0_20block_scan_algorithmE0ELj4294967295EEENS1_25partition_config_selectorILNS1_17partition_subalgoE4EjNS0_10empty_typeEbEEZZNS1_14partition_implILS8_4ELb0ES6_15HIP_vector_typeIjLj2EENS0_17counting_iteratorIjlEEPS9_SG_NS0_5tupleIJPjSI_NS0_16reverse_iteratorISI_EEEEENSH_IJSG_SG_SG_EEES9_SI_JZNS1_25segmented_radix_sort_implINS0_14default_configELb1EPKsPsPKlPlN2at6native12_GLOBAL__N_18offset_tEEE10hipError_tPvRmT1_PNSt15iterator_traitsIS12_E10value_typeET2_T3_PNS13_IS18_E10value_typeET4_jRbjT5_S1E_jjP12ihipStream_tbEUljE_ZNSN_ISO_Lb1ESQ_SR_ST_SU_SY_EESZ_S10_S11_S12_S16_S17_S18_S1B_S1C_jS1D_jS1E_S1E_jjS1G_bEUljE0_EEESZ_S10_S11_S18_S1C_S1E_T6_T7_T9_mT8_S1G_bDpT10_ENKUlT_T0_E_clISt17integral_constantIbLb1EES1T_IbLb0EEEEDaS1P_S1Q_EUlS1P_E_NS1_11comp_targetILNS1_3genE5ELNS1_11target_archE942ELNS1_3gpuE9ELNS1_3repE0EEENS1_30default_config_static_selectorELNS0_4arch9wavefront6targetE0EEEvS12_
                                        ; -- End function
	.section	.AMDGPU.csdata,"",@progbits
; Kernel info:
; codeLenInByte = 0
; NumSgprs: 0
; NumVgprs: 0
; ScratchSize: 0
; MemoryBound: 0
; FloatMode: 240
; IeeeMode: 1
; LDSByteSize: 0 bytes/workgroup (compile time only)
; SGPRBlocks: 0
; VGPRBlocks: 0
; NumSGPRsForWavesPerEU: 1
; NumVGPRsForWavesPerEU: 1
; Occupancy: 16
; WaveLimiterHint : 0
; COMPUTE_PGM_RSRC2:SCRATCH_EN: 0
; COMPUTE_PGM_RSRC2:USER_SGPR: 15
; COMPUTE_PGM_RSRC2:TRAP_HANDLER: 0
; COMPUTE_PGM_RSRC2:TGID_X_EN: 1
; COMPUTE_PGM_RSRC2:TGID_Y_EN: 0
; COMPUTE_PGM_RSRC2:TGID_Z_EN: 0
; COMPUTE_PGM_RSRC2:TIDIG_COMP_CNT: 0
	.section	.text._ZN7rocprim17ROCPRIM_400000_NS6detail17trampoline_kernelINS0_13select_configILj256ELj13ELNS0_17block_load_methodE3ELS4_3ELS4_3ELNS0_20block_scan_algorithmE0ELj4294967295EEENS1_25partition_config_selectorILNS1_17partition_subalgoE4EjNS0_10empty_typeEbEEZZNS1_14partition_implILS8_4ELb0ES6_15HIP_vector_typeIjLj2EENS0_17counting_iteratorIjlEEPS9_SG_NS0_5tupleIJPjSI_NS0_16reverse_iteratorISI_EEEEENSH_IJSG_SG_SG_EEES9_SI_JZNS1_25segmented_radix_sort_implINS0_14default_configELb1EPKsPsPKlPlN2at6native12_GLOBAL__N_18offset_tEEE10hipError_tPvRmT1_PNSt15iterator_traitsIS12_E10value_typeET2_T3_PNS13_IS18_E10value_typeET4_jRbjT5_S1E_jjP12ihipStream_tbEUljE_ZNSN_ISO_Lb1ESQ_SR_ST_SU_SY_EESZ_S10_S11_S12_S16_S17_S18_S1B_S1C_jS1D_jS1E_S1E_jjS1G_bEUljE0_EEESZ_S10_S11_S18_S1C_S1E_T6_T7_T9_mT8_S1G_bDpT10_ENKUlT_T0_E_clISt17integral_constantIbLb1EES1T_IbLb0EEEEDaS1P_S1Q_EUlS1P_E_NS1_11comp_targetILNS1_3genE4ELNS1_11target_archE910ELNS1_3gpuE8ELNS1_3repE0EEENS1_30default_config_static_selectorELNS0_4arch9wavefront6targetE0EEEvS12_,"axG",@progbits,_ZN7rocprim17ROCPRIM_400000_NS6detail17trampoline_kernelINS0_13select_configILj256ELj13ELNS0_17block_load_methodE3ELS4_3ELS4_3ELNS0_20block_scan_algorithmE0ELj4294967295EEENS1_25partition_config_selectorILNS1_17partition_subalgoE4EjNS0_10empty_typeEbEEZZNS1_14partition_implILS8_4ELb0ES6_15HIP_vector_typeIjLj2EENS0_17counting_iteratorIjlEEPS9_SG_NS0_5tupleIJPjSI_NS0_16reverse_iteratorISI_EEEEENSH_IJSG_SG_SG_EEES9_SI_JZNS1_25segmented_radix_sort_implINS0_14default_configELb1EPKsPsPKlPlN2at6native12_GLOBAL__N_18offset_tEEE10hipError_tPvRmT1_PNSt15iterator_traitsIS12_E10value_typeET2_T3_PNS13_IS18_E10value_typeET4_jRbjT5_S1E_jjP12ihipStream_tbEUljE_ZNSN_ISO_Lb1ESQ_SR_ST_SU_SY_EESZ_S10_S11_S12_S16_S17_S18_S1B_S1C_jS1D_jS1E_S1E_jjS1G_bEUljE0_EEESZ_S10_S11_S18_S1C_S1E_T6_T7_T9_mT8_S1G_bDpT10_ENKUlT_T0_E_clISt17integral_constantIbLb1EES1T_IbLb0EEEEDaS1P_S1Q_EUlS1P_E_NS1_11comp_targetILNS1_3genE4ELNS1_11target_archE910ELNS1_3gpuE8ELNS1_3repE0EEENS1_30default_config_static_selectorELNS0_4arch9wavefront6targetE0EEEvS12_,comdat
	.globl	_ZN7rocprim17ROCPRIM_400000_NS6detail17trampoline_kernelINS0_13select_configILj256ELj13ELNS0_17block_load_methodE3ELS4_3ELS4_3ELNS0_20block_scan_algorithmE0ELj4294967295EEENS1_25partition_config_selectorILNS1_17partition_subalgoE4EjNS0_10empty_typeEbEEZZNS1_14partition_implILS8_4ELb0ES6_15HIP_vector_typeIjLj2EENS0_17counting_iteratorIjlEEPS9_SG_NS0_5tupleIJPjSI_NS0_16reverse_iteratorISI_EEEEENSH_IJSG_SG_SG_EEES9_SI_JZNS1_25segmented_radix_sort_implINS0_14default_configELb1EPKsPsPKlPlN2at6native12_GLOBAL__N_18offset_tEEE10hipError_tPvRmT1_PNSt15iterator_traitsIS12_E10value_typeET2_T3_PNS13_IS18_E10value_typeET4_jRbjT5_S1E_jjP12ihipStream_tbEUljE_ZNSN_ISO_Lb1ESQ_SR_ST_SU_SY_EESZ_S10_S11_S12_S16_S17_S18_S1B_S1C_jS1D_jS1E_S1E_jjS1G_bEUljE0_EEESZ_S10_S11_S18_S1C_S1E_T6_T7_T9_mT8_S1G_bDpT10_ENKUlT_T0_E_clISt17integral_constantIbLb1EES1T_IbLb0EEEEDaS1P_S1Q_EUlS1P_E_NS1_11comp_targetILNS1_3genE4ELNS1_11target_archE910ELNS1_3gpuE8ELNS1_3repE0EEENS1_30default_config_static_selectorELNS0_4arch9wavefront6targetE0EEEvS12_ ; -- Begin function _ZN7rocprim17ROCPRIM_400000_NS6detail17trampoline_kernelINS0_13select_configILj256ELj13ELNS0_17block_load_methodE3ELS4_3ELS4_3ELNS0_20block_scan_algorithmE0ELj4294967295EEENS1_25partition_config_selectorILNS1_17partition_subalgoE4EjNS0_10empty_typeEbEEZZNS1_14partition_implILS8_4ELb0ES6_15HIP_vector_typeIjLj2EENS0_17counting_iteratorIjlEEPS9_SG_NS0_5tupleIJPjSI_NS0_16reverse_iteratorISI_EEEEENSH_IJSG_SG_SG_EEES9_SI_JZNS1_25segmented_radix_sort_implINS0_14default_configELb1EPKsPsPKlPlN2at6native12_GLOBAL__N_18offset_tEEE10hipError_tPvRmT1_PNSt15iterator_traitsIS12_E10value_typeET2_T3_PNS13_IS18_E10value_typeET4_jRbjT5_S1E_jjP12ihipStream_tbEUljE_ZNSN_ISO_Lb1ESQ_SR_ST_SU_SY_EESZ_S10_S11_S12_S16_S17_S18_S1B_S1C_jS1D_jS1E_S1E_jjS1G_bEUljE0_EEESZ_S10_S11_S18_S1C_S1E_T6_T7_T9_mT8_S1G_bDpT10_ENKUlT_T0_E_clISt17integral_constantIbLb1EES1T_IbLb0EEEEDaS1P_S1Q_EUlS1P_E_NS1_11comp_targetILNS1_3genE4ELNS1_11target_archE910ELNS1_3gpuE8ELNS1_3repE0EEENS1_30default_config_static_selectorELNS0_4arch9wavefront6targetE0EEEvS12_
	.p2align	8
	.type	_ZN7rocprim17ROCPRIM_400000_NS6detail17trampoline_kernelINS0_13select_configILj256ELj13ELNS0_17block_load_methodE3ELS4_3ELS4_3ELNS0_20block_scan_algorithmE0ELj4294967295EEENS1_25partition_config_selectorILNS1_17partition_subalgoE4EjNS0_10empty_typeEbEEZZNS1_14partition_implILS8_4ELb0ES6_15HIP_vector_typeIjLj2EENS0_17counting_iteratorIjlEEPS9_SG_NS0_5tupleIJPjSI_NS0_16reverse_iteratorISI_EEEEENSH_IJSG_SG_SG_EEES9_SI_JZNS1_25segmented_radix_sort_implINS0_14default_configELb1EPKsPsPKlPlN2at6native12_GLOBAL__N_18offset_tEEE10hipError_tPvRmT1_PNSt15iterator_traitsIS12_E10value_typeET2_T3_PNS13_IS18_E10value_typeET4_jRbjT5_S1E_jjP12ihipStream_tbEUljE_ZNSN_ISO_Lb1ESQ_SR_ST_SU_SY_EESZ_S10_S11_S12_S16_S17_S18_S1B_S1C_jS1D_jS1E_S1E_jjS1G_bEUljE0_EEESZ_S10_S11_S18_S1C_S1E_T6_T7_T9_mT8_S1G_bDpT10_ENKUlT_T0_E_clISt17integral_constantIbLb1EES1T_IbLb0EEEEDaS1P_S1Q_EUlS1P_E_NS1_11comp_targetILNS1_3genE4ELNS1_11target_archE910ELNS1_3gpuE8ELNS1_3repE0EEENS1_30default_config_static_selectorELNS0_4arch9wavefront6targetE0EEEvS12_,@function
_ZN7rocprim17ROCPRIM_400000_NS6detail17trampoline_kernelINS0_13select_configILj256ELj13ELNS0_17block_load_methodE3ELS4_3ELS4_3ELNS0_20block_scan_algorithmE0ELj4294967295EEENS1_25partition_config_selectorILNS1_17partition_subalgoE4EjNS0_10empty_typeEbEEZZNS1_14partition_implILS8_4ELb0ES6_15HIP_vector_typeIjLj2EENS0_17counting_iteratorIjlEEPS9_SG_NS0_5tupleIJPjSI_NS0_16reverse_iteratorISI_EEEEENSH_IJSG_SG_SG_EEES9_SI_JZNS1_25segmented_radix_sort_implINS0_14default_configELb1EPKsPsPKlPlN2at6native12_GLOBAL__N_18offset_tEEE10hipError_tPvRmT1_PNSt15iterator_traitsIS12_E10value_typeET2_T3_PNS13_IS18_E10value_typeET4_jRbjT5_S1E_jjP12ihipStream_tbEUljE_ZNSN_ISO_Lb1ESQ_SR_ST_SU_SY_EESZ_S10_S11_S12_S16_S17_S18_S1B_S1C_jS1D_jS1E_S1E_jjS1G_bEUljE0_EEESZ_S10_S11_S18_S1C_S1E_T6_T7_T9_mT8_S1G_bDpT10_ENKUlT_T0_E_clISt17integral_constantIbLb1EES1T_IbLb0EEEEDaS1P_S1Q_EUlS1P_E_NS1_11comp_targetILNS1_3genE4ELNS1_11target_archE910ELNS1_3gpuE8ELNS1_3repE0EEENS1_30default_config_static_selectorELNS0_4arch9wavefront6targetE0EEEvS12_: ; @_ZN7rocprim17ROCPRIM_400000_NS6detail17trampoline_kernelINS0_13select_configILj256ELj13ELNS0_17block_load_methodE3ELS4_3ELS4_3ELNS0_20block_scan_algorithmE0ELj4294967295EEENS1_25partition_config_selectorILNS1_17partition_subalgoE4EjNS0_10empty_typeEbEEZZNS1_14partition_implILS8_4ELb0ES6_15HIP_vector_typeIjLj2EENS0_17counting_iteratorIjlEEPS9_SG_NS0_5tupleIJPjSI_NS0_16reverse_iteratorISI_EEEEENSH_IJSG_SG_SG_EEES9_SI_JZNS1_25segmented_radix_sort_implINS0_14default_configELb1EPKsPsPKlPlN2at6native12_GLOBAL__N_18offset_tEEE10hipError_tPvRmT1_PNSt15iterator_traitsIS12_E10value_typeET2_T3_PNS13_IS18_E10value_typeET4_jRbjT5_S1E_jjP12ihipStream_tbEUljE_ZNSN_ISO_Lb1ESQ_SR_ST_SU_SY_EESZ_S10_S11_S12_S16_S17_S18_S1B_S1C_jS1D_jS1E_S1E_jjS1G_bEUljE0_EEESZ_S10_S11_S18_S1C_S1E_T6_T7_T9_mT8_S1G_bDpT10_ENKUlT_T0_E_clISt17integral_constantIbLb1EES1T_IbLb0EEEEDaS1P_S1Q_EUlS1P_E_NS1_11comp_targetILNS1_3genE4ELNS1_11target_archE910ELNS1_3gpuE8ELNS1_3repE0EEENS1_30default_config_static_selectorELNS0_4arch9wavefront6targetE0EEEvS12_
; %bb.0:
	.section	.rodata,"a",@progbits
	.p2align	6, 0x0
	.amdhsa_kernel _ZN7rocprim17ROCPRIM_400000_NS6detail17trampoline_kernelINS0_13select_configILj256ELj13ELNS0_17block_load_methodE3ELS4_3ELS4_3ELNS0_20block_scan_algorithmE0ELj4294967295EEENS1_25partition_config_selectorILNS1_17partition_subalgoE4EjNS0_10empty_typeEbEEZZNS1_14partition_implILS8_4ELb0ES6_15HIP_vector_typeIjLj2EENS0_17counting_iteratorIjlEEPS9_SG_NS0_5tupleIJPjSI_NS0_16reverse_iteratorISI_EEEEENSH_IJSG_SG_SG_EEES9_SI_JZNS1_25segmented_radix_sort_implINS0_14default_configELb1EPKsPsPKlPlN2at6native12_GLOBAL__N_18offset_tEEE10hipError_tPvRmT1_PNSt15iterator_traitsIS12_E10value_typeET2_T3_PNS13_IS18_E10value_typeET4_jRbjT5_S1E_jjP12ihipStream_tbEUljE_ZNSN_ISO_Lb1ESQ_SR_ST_SU_SY_EESZ_S10_S11_S12_S16_S17_S18_S1B_S1C_jS1D_jS1E_S1E_jjS1G_bEUljE0_EEESZ_S10_S11_S18_S1C_S1E_T6_T7_T9_mT8_S1G_bDpT10_ENKUlT_T0_E_clISt17integral_constantIbLb1EES1T_IbLb0EEEEDaS1P_S1Q_EUlS1P_E_NS1_11comp_targetILNS1_3genE4ELNS1_11target_archE910ELNS1_3gpuE8ELNS1_3repE0EEENS1_30default_config_static_selectorELNS0_4arch9wavefront6targetE0EEEvS12_
		.amdhsa_group_segment_fixed_size 0
		.amdhsa_private_segment_fixed_size 0
		.amdhsa_kernarg_size 176
		.amdhsa_user_sgpr_count 15
		.amdhsa_user_sgpr_dispatch_ptr 0
		.amdhsa_user_sgpr_queue_ptr 0
		.amdhsa_user_sgpr_kernarg_segment_ptr 1
		.amdhsa_user_sgpr_dispatch_id 0
		.amdhsa_user_sgpr_private_segment_size 0
		.amdhsa_wavefront_size32 1
		.amdhsa_uses_dynamic_stack 0
		.amdhsa_enable_private_segment 0
		.amdhsa_system_sgpr_workgroup_id_x 1
		.amdhsa_system_sgpr_workgroup_id_y 0
		.amdhsa_system_sgpr_workgroup_id_z 0
		.amdhsa_system_sgpr_workgroup_info 0
		.amdhsa_system_vgpr_workitem_id 0
		.amdhsa_next_free_vgpr 1
		.amdhsa_next_free_sgpr 1
		.amdhsa_reserve_vcc 0
		.amdhsa_float_round_mode_32 0
		.amdhsa_float_round_mode_16_64 0
		.amdhsa_float_denorm_mode_32 3
		.amdhsa_float_denorm_mode_16_64 3
		.amdhsa_dx10_clamp 1
		.amdhsa_ieee_mode 1
		.amdhsa_fp16_overflow 0
		.amdhsa_workgroup_processor_mode 1
		.amdhsa_memory_ordered 1
		.amdhsa_forward_progress 0
		.amdhsa_shared_vgpr_count 0
		.amdhsa_exception_fp_ieee_invalid_op 0
		.amdhsa_exception_fp_denorm_src 0
		.amdhsa_exception_fp_ieee_div_zero 0
		.amdhsa_exception_fp_ieee_overflow 0
		.amdhsa_exception_fp_ieee_underflow 0
		.amdhsa_exception_fp_ieee_inexact 0
		.amdhsa_exception_int_div_zero 0
	.end_amdhsa_kernel
	.section	.text._ZN7rocprim17ROCPRIM_400000_NS6detail17trampoline_kernelINS0_13select_configILj256ELj13ELNS0_17block_load_methodE3ELS4_3ELS4_3ELNS0_20block_scan_algorithmE0ELj4294967295EEENS1_25partition_config_selectorILNS1_17partition_subalgoE4EjNS0_10empty_typeEbEEZZNS1_14partition_implILS8_4ELb0ES6_15HIP_vector_typeIjLj2EENS0_17counting_iteratorIjlEEPS9_SG_NS0_5tupleIJPjSI_NS0_16reverse_iteratorISI_EEEEENSH_IJSG_SG_SG_EEES9_SI_JZNS1_25segmented_radix_sort_implINS0_14default_configELb1EPKsPsPKlPlN2at6native12_GLOBAL__N_18offset_tEEE10hipError_tPvRmT1_PNSt15iterator_traitsIS12_E10value_typeET2_T3_PNS13_IS18_E10value_typeET4_jRbjT5_S1E_jjP12ihipStream_tbEUljE_ZNSN_ISO_Lb1ESQ_SR_ST_SU_SY_EESZ_S10_S11_S12_S16_S17_S18_S1B_S1C_jS1D_jS1E_S1E_jjS1G_bEUljE0_EEESZ_S10_S11_S18_S1C_S1E_T6_T7_T9_mT8_S1G_bDpT10_ENKUlT_T0_E_clISt17integral_constantIbLb1EES1T_IbLb0EEEEDaS1P_S1Q_EUlS1P_E_NS1_11comp_targetILNS1_3genE4ELNS1_11target_archE910ELNS1_3gpuE8ELNS1_3repE0EEENS1_30default_config_static_selectorELNS0_4arch9wavefront6targetE0EEEvS12_,"axG",@progbits,_ZN7rocprim17ROCPRIM_400000_NS6detail17trampoline_kernelINS0_13select_configILj256ELj13ELNS0_17block_load_methodE3ELS4_3ELS4_3ELNS0_20block_scan_algorithmE0ELj4294967295EEENS1_25partition_config_selectorILNS1_17partition_subalgoE4EjNS0_10empty_typeEbEEZZNS1_14partition_implILS8_4ELb0ES6_15HIP_vector_typeIjLj2EENS0_17counting_iteratorIjlEEPS9_SG_NS0_5tupleIJPjSI_NS0_16reverse_iteratorISI_EEEEENSH_IJSG_SG_SG_EEES9_SI_JZNS1_25segmented_radix_sort_implINS0_14default_configELb1EPKsPsPKlPlN2at6native12_GLOBAL__N_18offset_tEEE10hipError_tPvRmT1_PNSt15iterator_traitsIS12_E10value_typeET2_T3_PNS13_IS18_E10value_typeET4_jRbjT5_S1E_jjP12ihipStream_tbEUljE_ZNSN_ISO_Lb1ESQ_SR_ST_SU_SY_EESZ_S10_S11_S12_S16_S17_S18_S1B_S1C_jS1D_jS1E_S1E_jjS1G_bEUljE0_EEESZ_S10_S11_S18_S1C_S1E_T6_T7_T9_mT8_S1G_bDpT10_ENKUlT_T0_E_clISt17integral_constantIbLb1EES1T_IbLb0EEEEDaS1P_S1Q_EUlS1P_E_NS1_11comp_targetILNS1_3genE4ELNS1_11target_archE910ELNS1_3gpuE8ELNS1_3repE0EEENS1_30default_config_static_selectorELNS0_4arch9wavefront6targetE0EEEvS12_,comdat
.Lfunc_end865:
	.size	_ZN7rocprim17ROCPRIM_400000_NS6detail17trampoline_kernelINS0_13select_configILj256ELj13ELNS0_17block_load_methodE3ELS4_3ELS4_3ELNS0_20block_scan_algorithmE0ELj4294967295EEENS1_25partition_config_selectorILNS1_17partition_subalgoE4EjNS0_10empty_typeEbEEZZNS1_14partition_implILS8_4ELb0ES6_15HIP_vector_typeIjLj2EENS0_17counting_iteratorIjlEEPS9_SG_NS0_5tupleIJPjSI_NS0_16reverse_iteratorISI_EEEEENSH_IJSG_SG_SG_EEES9_SI_JZNS1_25segmented_radix_sort_implINS0_14default_configELb1EPKsPsPKlPlN2at6native12_GLOBAL__N_18offset_tEEE10hipError_tPvRmT1_PNSt15iterator_traitsIS12_E10value_typeET2_T3_PNS13_IS18_E10value_typeET4_jRbjT5_S1E_jjP12ihipStream_tbEUljE_ZNSN_ISO_Lb1ESQ_SR_ST_SU_SY_EESZ_S10_S11_S12_S16_S17_S18_S1B_S1C_jS1D_jS1E_S1E_jjS1G_bEUljE0_EEESZ_S10_S11_S18_S1C_S1E_T6_T7_T9_mT8_S1G_bDpT10_ENKUlT_T0_E_clISt17integral_constantIbLb1EES1T_IbLb0EEEEDaS1P_S1Q_EUlS1P_E_NS1_11comp_targetILNS1_3genE4ELNS1_11target_archE910ELNS1_3gpuE8ELNS1_3repE0EEENS1_30default_config_static_selectorELNS0_4arch9wavefront6targetE0EEEvS12_, .Lfunc_end865-_ZN7rocprim17ROCPRIM_400000_NS6detail17trampoline_kernelINS0_13select_configILj256ELj13ELNS0_17block_load_methodE3ELS4_3ELS4_3ELNS0_20block_scan_algorithmE0ELj4294967295EEENS1_25partition_config_selectorILNS1_17partition_subalgoE4EjNS0_10empty_typeEbEEZZNS1_14partition_implILS8_4ELb0ES6_15HIP_vector_typeIjLj2EENS0_17counting_iteratorIjlEEPS9_SG_NS0_5tupleIJPjSI_NS0_16reverse_iteratorISI_EEEEENSH_IJSG_SG_SG_EEES9_SI_JZNS1_25segmented_radix_sort_implINS0_14default_configELb1EPKsPsPKlPlN2at6native12_GLOBAL__N_18offset_tEEE10hipError_tPvRmT1_PNSt15iterator_traitsIS12_E10value_typeET2_T3_PNS13_IS18_E10value_typeET4_jRbjT5_S1E_jjP12ihipStream_tbEUljE_ZNSN_ISO_Lb1ESQ_SR_ST_SU_SY_EESZ_S10_S11_S12_S16_S17_S18_S1B_S1C_jS1D_jS1E_S1E_jjS1G_bEUljE0_EEESZ_S10_S11_S18_S1C_S1E_T6_T7_T9_mT8_S1G_bDpT10_ENKUlT_T0_E_clISt17integral_constantIbLb1EES1T_IbLb0EEEEDaS1P_S1Q_EUlS1P_E_NS1_11comp_targetILNS1_3genE4ELNS1_11target_archE910ELNS1_3gpuE8ELNS1_3repE0EEENS1_30default_config_static_selectorELNS0_4arch9wavefront6targetE0EEEvS12_
                                        ; -- End function
	.section	.AMDGPU.csdata,"",@progbits
; Kernel info:
; codeLenInByte = 0
; NumSgprs: 0
; NumVgprs: 0
; ScratchSize: 0
; MemoryBound: 0
; FloatMode: 240
; IeeeMode: 1
; LDSByteSize: 0 bytes/workgroup (compile time only)
; SGPRBlocks: 0
; VGPRBlocks: 0
; NumSGPRsForWavesPerEU: 1
; NumVGPRsForWavesPerEU: 1
; Occupancy: 16
; WaveLimiterHint : 0
; COMPUTE_PGM_RSRC2:SCRATCH_EN: 0
; COMPUTE_PGM_RSRC2:USER_SGPR: 15
; COMPUTE_PGM_RSRC2:TRAP_HANDLER: 0
; COMPUTE_PGM_RSRC2:TGID_X_EN: 1
; COMPUTE_PGM_RSRC2:TGID_Y_EN: 0
; COMPUTE_PGM_RSRC2:TGID_Z_EN: 0
; COMPUTE_PGM_RSRC2:TIDIG_COMP_CNT: 0
	.section	.text._ZN7rocprim17ROCPRIM_400000_NS6detail17trampoline_kernelINS0_13select_configILj256ELj13ELNS0_17block_load_methodE3ELS4_3ELS4_3ELNS0_20block_scan_algorithmE0ELj4294967295EEENS1_25partition_config_selectorILNS1_17partition_subalgoE4EjNS0_10empty_typeEbEEZZNS1_14partition_implILS8_4ELb0ES6_15HIP_vector_typeIjLj2EENS0_17counting_iteratorIjlEEPS9_SG_NS0_5tupleIJPjSI_NS0_16reverse_iteratorISI_EEEEENSH_IJSG_SG_SG_EEES9_SI_JZNS1_25segmented_radix_sort_implINS0_14default_configELb1EPKsPsPKlPlN2at6native12_GLOBAL__N_18offset_tEEE10hipError_tPvRmT1_PNSt15iterator_traitsIS12_E10value_typeET2_T3_PNS13_IS18_E10value_typeET4_jRbjT5_S1E_jjP12ihipStream_tbEUljE_ZNSN_ISO_Lb1ESQ_SR_ST_SU_SY_EESZ_S10_S11_S12_S16_S17_S18_S1B_S1C_jS1D_jS1E_S1E_jjS1G_bEUljE0_EEESZ_S10_S11_S18_S1C_S1E_T6_T7_T9_mT8_S1G_bDpT10_ENKUlT_T0_E_clISt17integral_constantIbLb1EES1T_IbLb0EEEEDaS1P_S1Q_EUlS1P_E_NS1_11comp_targetILNS1_3genE3ELNS1_11target_archE908ELNS1_3gpuE7ELNS1_3repE0EEENS1_30default_config_static_selectorELNS0_4arch9wavefront6targetE0EEEvS12_,"axG",@progbits,_ZN7rocprim17ROCPRIM_400000_NS6detail17trampoline_kernelINS0_13select_configILj256ELj13ELNS0_17block_load_methodE3ELS4_3ELS4_3ELNS0_20block_scan_algorithmE0ELj4294967295EEENS1_25partition_config_selectorILNS1_17partition_subalgoE4EjNS0_10empty_typeEbEEZZNS1_14partition_implILS8_4ELb0ES6_15HIP_vector_typeIjLj2EENS0_17counting_iteratorIjlEEPS9_SG_NS0_5tupleIJPjSI_NS0_16reverse_iteratorISI_EEEEENSH_IJSG_SG_SG_EEES9_SI_JZNS1_25segmented_radix_sort_implINS0_14default_configELb1EPKsPsPKlPlN2at6native12_GLOBAL__N_18offset_tEEE10hipError_tPvRmT1_PNSt15iterator_traitsIS12_E10value_typeET2_T3_PNS13_IS18_E10value_typeET4_jRbjT5_S1E_jjP12ihipStream_tbEUljE_ZNSN_ISO_Lb1ESQ_SR_ST_SU_SY_EESZ_S10_S11_S12_S16_S17_S18_S1B_S1C_jS1D_jS1E_S1E_jjS1G_bEUljE0_EEESZ_S10_S11_S18_S1C_S1E_T6_T7_T9_mT8_S1G_bDpT10_ENKUlT_T0_E_clISt17integral_constantIbLb1EES1T_IbLb0EEEEDaS1P_S1Q_EUlS1P_E_NS1_11comp_targetILNS1_3genE3ELNS1_11target_archE908ELNS1_3gpuE7ELNS1_3repE0EEENS1_30default_config_static_selectorELNS0_4arch9wavefront6targetE0EEEvS12_,comdat
	.globl	_ZN7rocprim17ROCPRIM_400000_NS6detail17trampoline_kernelINS0_13select_configILj256ELj13ELNS0_17block_load_methodE3ELS4_3ELS4_3ELNS0_20block_scan_algorithmE0ELj4294967295EEENS1_25partition_config_selectorILNS1_17partition_subalgoE4EjNS0_10empty_typeEbEEZZNS1_14partition_implILS8_4ELb0ES6_15HIP_vector_typeIjLj2EENS0_17counting_iteratorIjlEEPS9_SG_NS0_5tupleIJPjSI_NS0_16reverse_iteratorISI_EEEEENSH_IJSG_SG_SG_EEES9_SI_JZNS1_25segmented_radix_sort_implINS0_14default_configELb1EPKsPsPKlPlN2at6native12_GLOBAL__N_18offset_tEEE10hipError_tPvRmT1_PNSt15iterator_traitsIS12_E10value_typeET2_T3_PNS13_IS18_E10value_typeET4_jRbjT5_S1E_jjP12ihipStream_tbEUljE_ZNSN_ISO_Lb1ESQ_SR_ST_SU_SY_EESZ_S10_S11_S12_S16_S17_S18_S1B_S1C_jS1D_jS1E_S1E_jjS1G_bEUljE0_EEESZ_S10_S11_S18_S1C_S1E_T6_T7_T9_mT8_S1G_bDpT10_ENKUlT_T0_E_clISt17integral_constantIbLb1EES1T_IbLb0EEEEDaS1P_S1Q_EUlS1P_E_NS1_11comp_targetILNS1_3genE3ELNS1_11target_archE908ELNS1_3gpuE7ELNS1_3repE0EEENS1_30default_config_static_selectorELNS0_4arch9wavefront6targetE0EEEvS12_ ; -- Begin function _ZN7rocprim17ROCPRIM_400000_NS6detail17trampoline_kernelINS0_13select_configILj256ELj13ELNS0_17block_load_methodE3ELS4_3ELS4_3ELNS0_20block_scan_algorithmE0ELj4294967295EEENS1_25partition_config_selectorILNS1_17partition_subalgoE4EjNS0_10empty_typeEbEEZZNS1_14partition_implILS8_4ELb0ES6_15HIP_vector_typeIjLj2EENS0_17counting_iteratorIjlEEPS9_SG_NS0_5tupleIJPjSI_NS0_16reverse_iteratorISI_EEEEENSH_IJSG_SG_SG_EEES9_SI_JZNS1_25segmented_radix_sort_implINS0_14default_configELb1EPKsPsPKlPlN2at6native12_GLOBAL__N_18offset_tEEE10hipError_tPvRmT1_PNSt15iterator_traitsIS12_E10value_typeET2_T3_PNS13_IS18_E10value_typeET4_jRbjT5_S1E_jjP12ihipStream_tbEUljE_ZNSN_ISO_Lb1ESQ_SR_ST_SU_SY_EESZ_S10_S11_S12_S16_S17_S18_S1B_S1C_jS1D_jS1E_S1E_jjS1G_bEUljE0_EEESZ_S10_S11_S18_S1C_S1E_T6_T7_T9_mT8_S1G_bDpT10_ENKUlT_T0_E_clISt17integral_constantIbLb1EES1T_IbLb0EEEEDaS1P_S1Q_EUlS1P_E_NS1_11comp_targetILNS1_3genE3ELNS1_11target_archE908ELNS1_3gpuE7ELNS1_3repE0EEENS1_30default_config_static_selectorELNS0_4arch9wavefront6targetE0EEEvS12_
	.p2align	8
	.type	_ZN7rocprim17ROCPRIM_400000_NS6detail17trampoline_kernelINS0_13select_configILj256ELj13ELNS0_17block_load_methodE3ELS4_3ELS4_3ELNS0_20block_scan_algorithmE0ELj4294967295EEENS1_25partition_config_selectorILNS1_17partition_subalgoE4EjNS0_10empty_typeEbEEZZNS1_14partition_implILS8_4ELb0ES6_15HIP_vector_typeIjLj2EENS0_17counting_iteratorIjlEEPS9_SG_NS0_5tupleIJPjSI_NS0_16reverse_iteratorISI_EEEEENSH_IJSG_SG_SG_EEES9_SI_JZNS1_25segmented_radix_sort_implINS0_14default_configELb1EPKsPsPKlPlN2at6native12_GLOBAL__N_18offset_tEEE10hipError_tPvRmT1_PNSt15iterator_traitsIS12_E10value_typeET2_T3_PNS13_IS18_E10value_typeET4_jRbjT5_S1E_jjP12ihipStream_tbEUljE_ZNSN_ISO_Lb1ESQ_SR_ST_SU_SY_EESZ_S10_S11_S12_S16_S17_S18_S1B_S1C_jS1D_jS1E_S1E_jjS1G_bEUljE0_EEESZ_S10_S11_S18_S1C_S1E_T6_T7_T9_mT8_S1G_bDpT10_ENKUlT_T0_E_clISt17integral_constantIbLb1EES1T_IbLb0EEEEDaS1P_S1Q_EUlS1P_E_NS1_11comp_targetILNS1_3genE3ELNS1_11target_archE908ELNS1_3gpuE7ELNS1_3repE0EEENS1_30default_config_static_selectorELNS0_4arch9wavefront6targetE0EEEvS12_,@function
_ZN7rocprim17ROCPRIM_400000_NS6detail17trampoline_kernelINS0_13select_configILj256ELj13ELNS0_17block_load_methodE3ELS4_3ELS4_3ELNS0_20block_scan_algorithmE0ELj4294967295EEENS1_25partition_config_selectorILNS1_17partition_subalgoE4EjNS0_10empty_typeEbEEZZNS1_14partition_implILS8_4ELb0ES6_15HIP_vector_typeIjLj2EENS0_17counting_iteratorIjlEEPS9_SG_NS0_5tupleIJPjSI_NS0_16reverse_iteratorISI_EEEEENSH_IJSG_SG_SG_EEES9_SI_JZNS1_25segmented_radix_sort_implINS0_14default_configELb1EPKsPsPKlPlN2at6native12_GLOBAL__N_18offset_tEEE10hipError_tPvRmT1_PNSt15iterator_traitsIS12_E10value_typeET2_T3_PNS13_IS18_E10value_typeET4_jRbjT5_S1E_jjP12ihipStream_tbEUljE_ZNSN_ISO_Lb1ESQ_SR_ST_SU_SY_EESZ_S10_S11_S12_S16_S17_S18_S1B_S1C_jS1D_jS1E_S1E_jjS1G_bEUljE0_EEESZ_S10_S11_S18_S1C_S1E_T6_T7_T9_mT8_S1G_bDpT10_ENKUlT_T0_E_clISt17integral_constantIbLb1EES1T_IbLb0EEEEDaS1P_S1Q_EUlS1P_E_NS1_11comp_targetILNS1_3genE3ELNS1_11target_archE908ELNS1_3gpuE7ELNS1_3repE0EEENS1_30default_config_static_selectorELNS0_4arch9wavefront6targetE0EEEvS12_: ; @_ZN7rocprim17ROCPRIM_400000_NS6detail17trampoline_kernelINS0_13select_configILj256ELj13ELNS0_17block_load_methodE3ELS4_3ELS4_3ELNS0_20block_scan_algorithmE0ELj4294967295EEENS1_25partition_config_selectorILNS1_17partition_subalgoE4EjNS0_10empty_typeEbEEZZNS1_14partition_implILS8_4ELb0ES6_15HIP_vector_typeIjLj2EENS0_17counting_iteratorIjlEEPS9_SG_NS0_5tupleIJPjSI_NS0_16reverse_iteratorISI_EEEEENSH_IJSG_SG_SG_EEES9_SI_JZNS1_25segmented_radix_sort_implINS0_14default_configELb1EPKsPsPKlPlN2at6native12_GLOBAL__N_18offset_tEEE10hipError_tPvRmT1_PNSt15iterator_traitsIS12_E10value_typeET2_T3_PNS13_IS18_E10value_typeET4_jRbjT5_S1E_jjP12ihipStream_tbEUljE_ZNSN_ISO_Lb1ESQ_SR_ST_SU_SY_EESZ_S10_S11_S12_S16_S17_S18_S1B_S1C_jS1D_jS1E_S1E_jjS1G_bEUljE0_EEESZ_S10_S11_S18_S1C_S1E_T6_T7_T9_mT8_S1G_bDpT10_ENKUlT_T0_E_clISt17integral_constantIbLb1EES1T_IbLb0EEEEDaS1P_S1Q_EUlS1P_E_NS1_11comp_targetILNS1_3genE3ELNS1_11target_archE908ELNS1_3gpuE7ELNS1_3repE0EEENS1_30default_config_static_selectorELNS0_4arch9wavefront6targetE0EEEvS12_
; %bb.0:
	.section	.rodata,"a",@progbits
	.p2align	6, 0x0
	.amdhsa_kernel _ZN7rocprim17ROCPRIM_400000_NS6detail17trampoline_kernelINS0_13select_configILj256ELj13ELNS0_17block_load_methodE3ELS4_3ELS4_3ELNS0_20block_scan_algorithmE0ELj4294967295EEENS1_25partition_config_selectorILNS1_17partition_subalgoE4EjNS0_10empty_typeEbEEZZNS1_14partition_implILS8_4ELb0ES6_15HIP_vector_typeIjLj2EENS0_17counting_iteratorIjlEEPS9_SG_NS0_5tupleIJPjSI_NS0_16reverse_iteratorISI_EEEEENSH_IJSG_SG_SG_EEES9_SI_JZNS1_25segmented_radix_sort_implINS0_14default_configELb1EPKsPsPKlPlN2at6native12_GLOBAL__N_18offset_tEEE10hipError_tPvRmT1_PNSt15iterator_traitsIS12_E10value_typeET2_T3_PNS13_IS18_E10value_typeET4_jRbjT5_S1E_jjP12ihipStream_tbEUljE_ZNSN_ISO_Lb1ESQ_SR_ST_SU_SY_EESZ_S10_S11_S12_S16_S17_S18_S1B_S1C_jS1D_jS1E_S1E_jjS1G_bEUljE0_EEESZ_S10_S11_S18_S1C_S1E_T6_T7_T9_mT8_S1G_bDpT10_ENKUlT_T0_E_clISt17integral_constantIbLb1EES1T_IbLb0EEEEDaS1P_S1Q_EUlS1P_E_NS1_11comp_targetILNS1_3genE3ELNS1_11target_archE908ELNS1_3gpuE7ELNS1_3repE0EEENS1_30default_config_static_selectorELNS0_4arch9wavefront6targetE0EEEvS12_
		.amdhsa_group_segment_fixed_size 0
		.amdhsa_private_segment_fixed_size 0
		.amdhsa_kernarg_size 176
		.amdhsa_user_sgpr_count 15
		.amdhsa_user_sgpr_dispatch_ptr 0
		.amdhsa_user_sgpr_queue_ptr 0
		.amdhsa_user_sgpr_kernarg_segment_ptr 1
		.amdhsa_user_sgpr_dispatch_id 0
		.amdhsa_user_sgpr_private_segment_size 0
		.amdhsa_wavefront_size32 1
		.amdhsa_uses_dynamic_stack 0
		.amdhsa_enable_private_segment 0
		.amdhsa_system_sgpr_workgroup_id_x 1
		.amdhsa_system_sgpr_workgroup_id_y 0
		.amdhsa_system_sgpr_workgroup_id_z 0
		.amdhsa_system_sgpr_workgroup_info 0
		.amdhsa_system_vgpr_workitem_id 0
		.amdhsa_next_free_vgpr 1
		.amdhsa_next_free_sgpr 1
		.amdhsa_reserve_vcc 0
		.amdhsa_float_round_mode_32 0
		.amdhsa_float_round_mode_16_64 0
		.amdhsa_float_denorm_mode_32 3
		.amdhsa_float_denorm_mode_16_64 3
		.amdhsa_dx10_clamp 1
		.amdhsa_ieee_mode 1
		.amdhsa_fp16_overflow 0
		.amdhsa_workgroup_processor_mode 1
		.amdhsa_memory_ordered 1
		.amdhsa_forward_progress 0
		.amdhsa_shared_vgpr_count 0
		.amdhsa_exception_fp_ieee_invalid_op 0
		.amdhsa_exception_fp_denorm_src 0
		.amdhsa_exception_fp_ieee_div_zero 0
		.amdhsa_exception_fp_ieee_overflow 0
		.amdhsa_exception_fp_ieee_underflow 0
		.amdhsa_exception_fp_ieee_inexact 0
		.amdhsa_exception_int_div_zero 0
	.end_amdhsa_kernel
	.section	.text._ZN7rocprim17ROCPRIM_400000_NS6detail17trampoline_kernelINS0_13select_configILj256ELj13ELNS0_17block_load_methodE3ELS4_3ELS4_3ELNS0_20block_scan_algorithmE0ELj4294967295EEENS1_25partition_config_selectorILNS1_17partition_subalgoE4EjNS0_10empty_typeEbEEZZNS1_14partition_implILS8_4ELb0ES6_15HIP_vector_typeIjLj2EENS0_17counting_iteratorIjlEEPS9_SG_NS0_5tupleIJPjSI_NS0_16reverse_iteratorISI_EEEEENSH_IJSG_SG_SG_EEES9_SI_JZNS1_25segmented_radix_sort_implINS0_14default_configELb1EPKsPsPKlPlN2at6native12_GLOBAL__N_18offset_tEEE10hipError_tPvRmT1_PNSt15iterator_traitsIS12_E10value_typeET2_T3_PNS13_IS18_E10value_typeET4_jRbjT5_S1E_jjP12ihipStream_tbEUljE_ZNSN_ISO_Lb1ESQ_SR_ST_SU_SY_EESZ_S10_S11_S12_S16_S17_S18_S1B_S1C_jS1D_jS1E_S1E_jjS1G_bEUljE0_EEESZ_S10_S11_S18_S1C_S1E_T6_T7_T9_mT8_S1G_bDpT10_ENKUlT_T0_E_clISt17integral_constantIbLb1EES1T_IbLb0EEEEDaS1P_S1Q_EUlS1P_E_NS1_11comp_targetILNS1_3genE3ELNS1_11target_archE908ELNS1_3gpuE7ELNS1_3repE0EEENS1_30default_config_static_selectorELNS0_4arch9wavefront6targetE0EEEvS12_,"axG",@progbits,_ZN7rocprim17ROCPRIM_400000_NS6detail17trampoline_kernelINS0_13select_configILj256ELj13ELNS0_17block_load_methodE3ELS4_3ELS4_3ELNS0_20block_scan_algorithmE0ELj4294967295EEENS1_25partition_config_selectorILNS1_17partition_subalgoE4EjNS0_10empty_typeEbEEZZNS1_14partition_implILS8_4ELb0ES6_15HIP_vector_typeIjLj2EENS0_17counting_iteratorIjlEEPS9_SG_NS0_5tupleIJPjSI_NS0_16reverse_iteratorISI_EEEEENSH_IJSG_SG_SG_EEES9_SI_JZNS1_25segmented_radix_sort_implINS0_14default_configELb1EPKsPsPKlPlN2at6native12_GLOBAL__N_18offset_tEEE10hipError_tPvRmT1_PNSt15iterator_traitsIS12_E10value_typeET2_T3_PNS13_IS18_E10value_typeET4_jRbjT5_S1E_jjP12ihipStream_tbEUljE_ZNSN_ISO_Lb1ESQ_SR_ST_SU_SY_EESZ_S10_S11_S12_S16_S17_S18_S1B_S1C_jS1D_jS1E_S1E_jjS1G_bEUljE0_EEESZ_S10_S11_S18_S1C_S1E_T6_T7_T9_mT8_S1G_bDpT10_ENKUlT_T0_E_clISt17integral_constantIbLb1EES1T_IbLb0EEEEDaS1P_S1Q_EUlS1P_E_NS1_11comp_targetILNS1_3genE3ELNS1_11target_archE908ELNS1_3gpuE7ELNS1_3repE0EEENS1_30default_config_static_selectorELNS0_4arch9wavefront6targetE0EEEvS12_,comdat
.Lfunc_end866:
	.size	_ZN7rocprim17ROCPRIM_400000_NS6detail17trampoline_kernelINS0_13select_configILj256ELj13ELNS0_17block_load_methodE3ELS4_3ELS4_3ELNS0_20block_scan_algorithmE0ELj4294967295EEENS1_25partition_config_selectorILNS1_17partition_subalgoE4EjNS0_10empty_typeEbEEZZNS1_14partition_implILS8_4ELb0ES6_15HIP_vector_typeIjLj2EENS0_17counting_iteratorIjlEEPS9_SG_NS0_5tupleIJPjSI_NS0_16reverse_iteratorISI_EEEEENSH_IJSG_SG_SG_EEES9_SI_JZNS1_25segmented_radix_sort_implINS0_14default_configELb1EPKsPsPKlPlN2at6native12_GLOBAL__N_18offset_tEEE10hipError_tPvRmT1_PNSt15iterator_traitsIS12_E10value_typeET2_T3_PNS13_IS18_E10value_typeET4_jRbjT5_S1E_jjP12ihipStream_tbEUljE_ZNSN_ISO_Lb1ESQ_SR_ST_SU_SY_EESZ_S10_S11_S12_S16_S17_S18_S1B_S1C_jS1D_jS1E_S1E_jjS1G_bEUljE0_EEESZ_S10_S11_S18_S1C_S1E_T6_T7_T9_mT8_S1G_bDpT10_ENKUlT_T0_E_clISt17integral_constantIbLb1EES1T_IbLb0EEEEDaS1P_S1Q_EUlS1P_E_NS1_11comp_targetILNS1_3genE3ELNS1_11target_archE908ELNS1_3gpuE7ELNS1_3repE0EEENS1_30default_config_static_selectorELNS0_4arch9wavefront6targetE0EEEvS12_, .Lfunc_end866-_ZN7rocprim17ROCPRIM_400000_NS6detail17trampoline_kernelINS0_13select_configILj256ELj13ELNS0_17block_load_methodE3ELS4_3ELS4_3ELNS0_20block_scan_algorithmE0ELj4294967295EEENS1_25partition_config_selectorILNS1_17partition_subalgoE4EjNS0_10empty_typeEbEEZZNS1_14partition_implILS8_4ELb0ES6_15HIP_vector_typeIjLj2EENS0_17counting_iteratorIjlEEPS9_SG_NS0_5tupleIJPjSI_NS0_16reverse_iteratorISI_EEEEENSH_IJSG_SG_SG_EEES9_SI_JZNS1_25segmented_radix_sort_implINS0_14default_configELb1EPKsPsPKlPlN2at6native12_GLOBAL__N_18offset_tEEE10hipError_tPvRmT1_PNSt15iterator_traitsIS12_E10value_typeET2_T3_PNS13_IS18_E10value_typeET4_jRbjT5_S1E_jjP12ihipStream_tbEUljE_ZNSN_ISO_Lb1ESQ_SR_ST_SU_SY_EESZ_S10_S11_S12_S16_S17_S18_S1B_S1C_jS1D_jS1E_S1E_jjS1G_bEUljE0_EEESZ_S10_S11_S18_S1C_S1E_T6_T7_T9_mT8_S1G_bDpT10_ENKUlT_T0_E_clISt17integral_constantIbLb1EES1T_IbLb0EEEEDaS1P_S1Q_EUlS1P_E_NS1_11comp_targetILNS1_3genE3ELNS1_11target_archE908ELNS1_3gpuE7ELNS1_3repE0EEENS1_30default_config_static_selectorELNS0_4arch9wavefront6targetE0EEEvS12_
                                        ; -- End function
	.section	.AMDGPU.csdata,"",@progbits
; Kernel info:
; codeLenInByte = 0
; NumSgprs: 0
; NumVgprs: 0
; ScratchSize: 0
; MemoryBound: 0
; FloatMode: 240
; IeeeMode: 1
; LDSByteSize: 0 bytes/workgroup (compile time only)
; SGPRBlocks: 0
; VGPRBlocks: 0
; NumSGPRsForWavesPerEU: 1
; NumVGPRsForWavesPerEU: 1
; Occupancy: 16
; WaveLimiterHint : 0
; COMPUTE_PGM_RSRC2:SCRATCH_EN: 0
; COMPUTE_PGM_RSRC2:USER_SGPR: 15
; COMPUTE_PGM_RSRC2:TRAP_HANDLER: 0
; COMPUTE_PGM_RSRC2:TGID_X_EN: 1
; COMPUTE_PGM_RSRC2:TGID_Y_EN: 0
; COMPUTE_PGM_RSRC2:TGID_Z_EN: 0
; COMPUTE_PGM_RSRC2:TIDIG_COMP_CNT: 0
	.section	.text._ZN7rocprim17ROCPRIM_400000_NS6detail17trampoline_kernelINS0_13select_configILj256ELj13ELNS0_17block_load_methodE3ELS4_3ELS4_3ELNS0_20block_scan_algorithmE0ELj4294967295EEENS1_25partition_config_selectorILNS1_17partition_subalgoE4EjNS0_10empty_typeEbEEZZNS1_14partition_implILS8_4ELb0ES6_15HIP_vector_typeIjLj2EENS0_17counting_iteratorIjlEEPS9_SG_NS0_5tupleIJPjSI_NS0_16reverse_iteratorISI_EEEEENSH_IJSG_SG_SG_EEES9_SI_JZNS1_25segmented_radix_sort_implINS0_14default_configELb1EPKsPsPKlPlN2at6native12_GLOBAL__N_18offset_tEEE10hipError_tPvRmT1_PNSt15iterator_traitsIS12_E10value_typeET2_T3_PNS13_IS18_E10value_typeET4_jRbjT5_S1E_jjP12ihipStream_tbEUljE_ZNSN_ISO_Lb1ESQ_SR_ST_SU_SY_EESZ_S10_S11_S12_S16_S17_S18_S1B_S1C_jS1D_jS1E_S1E_jjS1G_bEUljE0_EEESZ_S10_S11_S18_S1C_S1E_T6_T7_T9_mT8_S1G_bDpT10_ENKUlT_T0_E_clISt17integral_constantIbLb1EES1T_IbLb0EEEEDaS1P_S1Q_EUlS1P_E_NS1_11comp_targetILNS1_3genE2ELNS1_11target_archE906ELNS1_3gpuE6ELNS1_3repE0EEENS1_30default_config_static_selectorELNS0_4arch9wavefront6targetE0EEEvS12_,"axG",@progbits,_ZN7rocprim17ROCPRIM_400000_NS6detail17trampoline_kernelINS0_13select_configILj256ELj13ELNS0_17block_load_methodE3ELS4_3ELS4_3ELNS0_20block_scan_algorithmE0ELj4294967295EEENS1_25partition_config_selectorILNS1_17partition_subalgoE4EjNS0_10empty_typeEbEEZZNS1_14partition_implILS8_4ELb0ES6_15HIP_vector_typeIjLj2EENS0_17counting_iteratorIjlEEPS9_SG_NS0_5tupleIJPjSI_NS0_16reverse_iteratorISI_EEEEENSH_IJSG_SG_SG_EEES9_SI_JZNS1_25segmented_radix_sort_implINS0_14default_configELb1EPKsPsPKlPlN2at6native12_GLOBAL__N_18offset_tEEE10hipError_tPvRmT1_PNSt15iterator_traitsIS12_E10value_typeET2_T3_PNS13_IS18_E10value_typeET4_jRbjT5_S1E_jjP12ihipStream_tbEUljE_ZNSN_ISO_Lb1ESQ_SR_ST_SU_SY_EESZ_S10_S11_S12_S16_S17_S18_S1B_S1C_jS1D_jS1E_S1E_jjS1G_bEUljE0_EEESZ_S10_S11_S18_S1C_S1E_T6_T7_T9_mT8_S1G_bDpT10_ENKUlT_T0_E_clISt17integral_constantIbLb1EES1T_IbLb0EEEEDaS1P_S1Q_EUlS1P_E_NS1_11comp_targetILNS1_3genE2ELNS1_11target_archE906ELNS1_3gpuE6ELNS1_3repE0EEENS1_30default_config_static_selectorELNS0_4arch9wavefront6targetE0EEEvS12_,comdat
	.globl	_ZN7rocprim17ROCPRIM_400000_NS6detail17trampoline_kernelINS0_13select_configILj256ELj13ELNS0_17block_load_methodE3ELS4_3ELS4_3ELNS0_20block_scan_algorithmE0ELj4294967295EEENS1_25partition_config_selectorILNS1_17partition_subalgoE4EjNS0_10empty_typeEbEEZZNS1_14partition_implILS8_4ELb0ES6_15HIP_vector_typeIjLj2EENS0_17counting_iteratorIjlEEPS9_SG_NS0_5tupleIJPjSI_NS0_16reverse_iteratorISI_EEEEENSH_IJSG_SG_SG_EEES9_SI_JZNS1_25segmented_radix_sort_implINS0_14default_configELb1EPKsPsPKlPlN2at6native12_GLOBAL__N_18offset_tEEE10hipError_tPvRmT1_PNSt15iterator_traitsIS12_E10value_typeET2_T3_PNS13_IS18_E10value_typeET4_jRbjT5_S1E_jjP12ihipStream_tbEUljE_ZNSN_ISO_Lb1ESQ_SR_ST_SU_SY_EESZ_S10_S11_S12_S16_S17_S18_S1B_S1C_jS1D_jS1E_S1E_jjS1G_bEUljE0_EEESZ_S10_S11_S18_S1C_S1E_T6_T7_T9_mT8_S1G_bDpT10_ENKUlT_T0_E_clISt17integral_constantIbLb1EES1T_IbLb0EEEEDaS1P_S1Q_EUlS1P_E_NS1_11comp_targetILNS1_3genE2ELNS1_11target_archE906ELNS1_3gpuE6ELNS1_3repE0EEENS1_30default_config_static_selectorELNS0_4arch9wavefront6targetE0EEEvS12_ ; -- Begin function _ZN7rocprim17ROCPRIM_400000_NS6detail17trampoline_kernelINS0_13select_configILj256ELj13ELNS0_17block_load_methodE3ELS4_3ELS4_3ELNS0_20block_scan_algorithmE0ELj4294967295EEENS1_25partition_config_selectorILNS1_17partition_subalgoE4EjNS0_10empty_typeEbEEZZNS1_14partition_implILS8_4ELb0ES6_15HIP_vector_typeIjLj2EENS0_17counting_iteratorIjlEEPS9_SG_NS0_5tupleIJPjSI_NS0_16reverse_iteratorISI_EEEEENSH_IJSG_SG_SG_EEES9_SI_JZNS1_25segmented_radix_sort_implINS0_14default_configELb1EPKsPsPKlPlN2at6native12_GLOBAL__N_18offset_tEEE10hipError_tPvRmT1_PNSt15iterator_traitsIS12_E10value_typeET2_T3_PNS13_IS18_E10value_typeET4_jRbjT5_S1E_jjP12ihipStream_tbEUljE_ZNSN_ISO_Lb1ESQ_SR_ST_SU_SY_EESZ_S10_S11_S12_S16_S17_S18_S1B_S1C_jS1D_jS1E_S1E_jjS1G_bEUljE0_EEESZ_S10_S11_S18_S1C_S1E_T6_T7_T9_mT8_S1G_bDpT10_ENKUlT_T0_E_clISt17integral_constantIbLb1EES1T_IbLb0EEEEDaS1P_S1Q_EUlS1P_E_NS1_11comp_targetILNS1_3genE2ELNS1_11target_archE906ELNS1_3gpuE6ELNS1_3repE0EEENS1_30default_config_static_selectorELNS0_4arch9wavefront6targetE0EEEvS12_
	.p2align	8
	.type	_ZN7rocprim17ROCPRIM_400000_NS6detail17trampoline_kernelINS0_13select_configILj256ELj13ELNS0_17block_load_methodE3ELS4_3ELS4_3ELNS0_20block_scan_algorithmE0ELj4294967295EEENS1_25partition_config_selectorILNS1_17partition_subalgoE4EjNS0_10empty_typeEbEEZZNS1_14partition_implILS8_4ELb0ES6_15HIP_vector_typeIjLj2EENS0_17counting_iteratorIjlEEPS9_SG_NS0_5tupleIJPjSI_NS0_16reverse_iteratorISI_EEEEENSH_IJSG_SG_SG_EEES9_SI_JZNS1_25segmented_radix_sort_implINS0_14default_configELb1EPKsPsPKlPlN2at6native12_GLOBAL__N_18offset_tEEE10hipError_tPvRmT1_PNSt15iterator_traitsIS12_E10value_typeET2_T3_PNS13_IS18_E10value_typeET4_jRbjT5_S1E_jjP12ihipStream_tbEUljE_ZNSN_ISO_Lb1ESQ_SR_ST_SU_SY_EESZ_S10_S11_S12_S16_S17_S18_S1B_S1C_jS1D_jS1E_S1E_jjS1G_bEUljE0_EEESZ_S10_S11_S18_S1C_S1E_T6_T7_T9_mT8_S1G_bDpT10_ENKUlT_T0_E_clISt17integral_constantIbLb1EES1T_IbLb0EEEEDaS1P_S1Q_EUlS1P_E_NS1_11comp_targetILNS1_3genE2ELNS1_11target_archE906ELNS1_3gpuE6ELNS1_3repE0EEENS1_30default_config_static_selectorELNS0_4arch9wavefront6targetE0EEEvS12_,@function
_ZN7rocprim17ROCPRIM_400000_NS6detail17trampoline_kernelINS0_13select_configILj256ELj13ELNS0_17block_load_methodE3ELS4_3ELS4_3ELNS0_20block_scan_algorithmE0ELj4294967295EEENS1_25partition_config_selectorILNS1_17partition_subalgoE4EjNS0_10empty_typeEbEEZZNS1_14partition_implILS8_4ELb0ES6_15HIP_vector_typeIjLj2EENS0_17counting_iteratorIjlEEPS9_SG_NS0_5tupleIJPjSI_NS0_16reverse_iteratorISI_EEEEENSH_IJSG_SG_SG_EEES9_SI_JZNS1_25segmented_radix_sort_implINS0_14default_configELb1EPKsPsPKlPlN2at6native12_GLOBAL__N_18offset_tEEE10hipError_tPvRmT1_PNSt15iterator_traitsIS12_E10value_typeET2_T3_PNS13_IS18_E10value_typeET4_jRbjT5_S1E_jjP12ihipStream_tbEUljE_ZNSN_ISO_Lb1ESQ_SR_ST_SU_SY_EESZ_S10_S11_S12_S16_S17_S18_S1B_S1C_jS1D_jS1E_S1E_jjS1G_bEUljE0_EEESZ_S10_S11_S18_S1C_S1E_T6_T7_T9_mT8_S1G_bDpT10_ENKUlT_T0_E_clISt17integral_constantIbLb1EES1T_IbLb0EEEEDaS1P_S1Q_EUlS1P_E_NS1_11comp_targetILNS1_3genE2ELNS1_11target_archE906ELNS1_3gpuE6ELNS1_3repE0EEENS1_30default_config_static_selectorELNS0_4arch9wavefront6targetE0EEEvS12_: ; @_ZN7rocprim17ROCPRIM_400000_NS6detail17trampoline_kernelINS0_13select_configILj256ELj13ELNS0_17block_load_methodE3ELS4_3ELS4_3ELNS0_20block_scan_algorithmE0ELj4294967295EEENS1_25partition_config_selectorILNS1_17partition_subalgoE4EjNS0_10empty_typeEbEEZZNS1_14partition_implILS8_4ELb0ES6_15HIP_vector_typeIjLj2EENS0_17counting_iteratorIjlEEPS9_SG_NS0_5tupleIJPjSI_NS0_16reverse_iteratorISI_EEEEENSH_IJSG_SG_SG_EEES9_SI_JZNS1_25segmented_radix_sort_implINS0_14default_configELb1EPKsPsPKlPlN2at6native12_GLOBAL__N_18offset_tEEE10hipError_tPvRmT1_PNSt15iterator_traitsIS12_E10value_typeET2_T3_PNS13_IS18_E10value_typeET4_jRbjT5_S1E_jjP12ihipStream_tbEUljE_ZNSN_ISO_Lb1ESQ_SR_ST_SU_SY_EESZ_S10_S11_S12_S16_S17_S18_S1B_S1C_jS1D_jS1E_S1E_jjS1G_bEUljE0_EEESZ_S10_S11_S18_S1C_S1E_T6_T7_T9_mT8_S1G_bDpT10_ENKUlT_T0_E_clISt17integral_constantIbLb1EES1T_IbLb0EEEEDaS1P_S1Q_EUlS1P_E_NS1_11comp_targetILNS1_3genE2ELNS1_11target_archE906ELNS1_3gpuE6ELNS1_3repE0EEENS1_30default_config_static_selectorELNS0_4arch9wavefront6targetE0EEEvS12_
; %bb.0:
	.section	.rodata,"a",@progbits
	.p2align	6, 0x0
	.amdhsa_kernel _ZN7rocprim17ROCPRIM_400000_NS6detail17trampoline_kernelINS0_13select_configILj256ELj13ELNS0_17block_load_methodE3ELS4_3ELS4_3ELNS0_20block_scan_algorithmE0ELj4294967295EEENS1_25partition_config_selectorILNS1_17partition_subalgoE4EjNS0_10empty_typeEbEEZZNS1_14partition_implILS8_4ELb0ES6_15HIP_vector_typeIjLj2EENS0_17counting_iteratorIjlEEPS9_SG_NS0_5tupleIJPjSI_NS0_16reverse_iteratorISI_EEEEENSH_IJSG_SG_SG_EEES9_SI_JZNS1_25segmented_radix_sort_implINS0_14default_configELb1EPKsPsPKlPlN2at6native12_GLOBAL__N_18offset_tEEE10hipError_tPvRmT1_PNSt15iterator_traitsIS12_E10value_typeET2_T3_PNS13_IS18_E10value_typeET4_jRbjT5_S1E_jjP12ihipStream_tbEUljE_ZNSN_ISO_Lb1ESQ_SR_ST_SU_SY_EESZ_S10_S11_S12_S16_S17_S18_S1B_S1C_jS1D_jS1E_S1E_jjS1G_bEUljE0_EEESZ_S10_S11_S18_S1C_S1E_T6_T7_T9_mT8_S1G_bDpT10_ENKUlT_T0_E_clISt17integral_constantIbLb1EES1T_IbLb0EEEEDaS1P_S1Q_EUlS1P_E_NS1_11comp_targetILNS1_3genE2ELNS1_11target_archE906ELNS1_3gpuE6ELNS1_3repE0EEENS1_30default_config_static_selectorELNS0_4arch9wavefront6targetE0EEEvS12_
		.amdhsa_group_segment_fixed_size 0
		.amdhsa_private_segment_fixed_size 0
		.amdhsa_kernarg_size 176
		.amdhsa_user_sgpr_count 15
		.amdhsa_user_sgpr_dispatch_ptr 0
		.amdhsa_user_sgpr_queue_ptr 0
		.amdhsa_user_sgpr_kernarg_segment_ptr 1
		.amdhsa_user_sgpr_dispatch_id 0
		.amdhsa_user_sgpr_private_segment_size 0
		.amdhsa_wavefront_size32 1
		.amdhsa_uses_dynamic_stack 0
		.amdhsa_enable_private_segment 0
		.amdhsa_system_sgpr_workgroup_id_x 1
		.amdhsa_system_sgpr_workgroup_id_y 0
		.amdhsa_system_sgpr_workgroup_id_z 0
		.amdhsa_system_sgpr_workgroup_info 0
		.amdhsa_system_vgpr_workitem_id 0
		.amdhsa_next_free_vgpr 1
		.amdhsa_next_free_sgpr 1
		.amdhsa_reserve_vcc 0
		.amdhsa_float_round_mode_32 0
		.amdhsa_float_round_mode_16_64 0
		.amdhsa_float_denorm_mode_32 3
		.amdhsa_float_denorm_mode_16_64 3
		.amdhsa_dx10_clamp 1
		.amdhsa_ieee_mode 1
		.amdhsa_fp16_overflow 0
		.amdhsa_workgroup_processor_mode 1
		.amdhsa_memory_ordered 1
		.amdhsa_forward_progress 0
		.amdhsa_shared_vgpr_count 0
		.amdhsa_exception_fp_ieee_invalid_op 0
		.amdhsa_exception_fp_denorm_src 0
		.amdhsa_exception_fp_ieee_div_zero 0
		.amdhsa_exception_fp_ieee_overflow 0
		.amdhsa_exception_fp_ieee_underflow 0
		.amdhsa_exception_fp_ieee_inexact 0
		.amdhsa_exception_int_div_zero 0
	.end_amdhsa_kernel
	.section	.text._ZN7rocprim17ROCPRIM_400000_NS6detail17trampoline_kernelINS0_13select_configILj256ELj13ELNS0_17block_load_methodE3ELS4_3ELS4_3ELNS0_20block_scan_algorithmE0ELj4294967295EEENS1_25partition_config_selectorILNS1_17partition_subalgoE4EjNS0_10empty_typeEbEEZZNS1_14partition_implILS8_4ELb0ES6_15HIP_vector_typeIjLj2EENS0_17counting_iteratorIjlEEPS9_SG_NS0_5tupleIJPjSI_NS0_16reverse_iteratorISI_EEEEENSH_IJSG_SG_SG_EEES9_SI_JZNS1_25segmented_radix_sort_implINS0_14default_configELb1EPKsPsPKlPlN2at6native12_GLOBAL__N_18offset_tEEE10hipError_tPvRmT1_PNSt15iterator_traitsIS12_E10value_typeET2_T3_PNS13_IS18_E10value_typeET4_jRbjT5_S1E_jjP12ihipStream_tbEUljE_ZNSN_ISO_Lb1ESQ_SR_ST_SU_SY_EESZ_S10_S11_S12_S16_S17_S18_S1B_S1C_jS1D_jS1E_S1E_jjS1G_bEUljE0_EEESZ_S10_S11_S18_S1C_S1E_T6_T7_T9_mT8_S1G_bDpT10_ENKUlT_T0_E_clISt17integral_constantIbLb1EES1T_IbLb0EEEEDaS1P_S1Q_EUlS1P_E_NS1_11comp_targetILNS1_3genE2ELNS1_11target_archE906ELNS1_3gpuE6ELNS1_3repE0EEENS1_30default_config_static_selectorELNS0_4arch9wavefront6targetE0EEEvS12_,"axG",@progbits,_ZN7rocprim17ROCPRIM_400000_NS6detail17trampoline_kernelINS0_13select_configILj256ELj13ELNS0_17block_load_methodE3ELS4_3ELS4_3ELNS0_20block_scan_algorithmE0ELj4294967295EEENS1_25partition_config_selectorILNS1_17partition_subalgoE4EjNS0_10empty_typeEbEEZZNS1_14partition_implILS8_4ELb0ES6_15HIP_vector_typeIjLj2EENS0_17counting_iteratorIjlEEPS9_SG_NS0_5tupleIJPjSI_NS0_16reverse_iteratorISI_EEEEENSH_IJSG_SG_SG_EEES9_SI_JZNS1_25segmented_radix_sort_implINS0_14default_configELb1EPKsPsPKlPlN2at6native12_GLOBAL__N_18offset_tEEE10hipError_tPvRmT1_PNSt15iterator_traitsIS12_E10value_typeET2_T3_PNS13_IS18_E10value_typeET4_jRbjT5_S1E_jjP12ihipStream_tbEUljE_ZNSN_ISO_Lb1ESQ_SR_ST_SU_SY_EESZ_S10_S11_S12_S16_S17_S18_S1B_S1C_jS1D_jS1E_S1E_jjS1G_bEUljE0_EEESZ_S10_S11_S18_S1C_S1E_T6_T7_T9_mT8_S1G_bDpT10_ENKUlT_T0_E_clISt17integral_constantIbLb1EES1T_IbLb0EEEEDaS1P_S1Q_EUlS1P_E_NS1_11comp_targetILNS1_3genE2ELNS1_11target_archE906ELNS1_3gpuE6ELNS1_3repE0EEENS1_30default_config_static_selectorELNS0_4arch9wavefront6targetE0EEEvS12_,comdat
.Lfunc_end867:
	.size	_ZN7rocprim17ROCPRIM_400000_NS6detail17trampoline_kernelINS0_13select_configILj256ELj13ELNS0_17block_load_methodE3ELS4_3ELS4_3ELNS0_20block_scan_algorithmE0ELj4294967295EEENS1_25partition_config_selectorILNS1_17partition_subalgoE4EjNS0_10empty_typeEbEEZZNS1_14partition_implILS8_4ELb0ES6_15HIP_vector_typeIjLj2EENS0_17counting_iteratorIjlEEPS9_SG_NS0_5tupleIJPjSI_NS0_16reverse_iteratorISI_EEEEENSH_IJSG_SG_SG_EEES9_SI_JZNS1_25segmented_radix_sort_implINS0_14default_configELb1EPKsPsPKlPlN2at6native12_GLOBAL__N_18offset_tEEE10hipError_tPvRmT1_PNSt15iterator_traitsIS12_E10value_typeET2_T3_PNS13_IS18_E10value_typeET4_jRbjT5_S1E_jjP12ihipStream_tbEUljE_ZNSN_ISO_Lb1ESQ_SR_ST_SU_SY_EESZ_S10_S11_S12_S16_S17_S18_S1B_S1C_jS1D_jS1E_S1E_jjS1G_bEUljE0_EEESZ_S10_S11_S18_S1C_S1E_T6_T7_T9_mT8_S1G_bDpT10_ENKUlT_T0_E_clISt17integral_constantIbLb1EES1T_IbLb0EEEEDaS1P_S1Q_EUlS1P_E_NS1_11comp_targetILNS1_3genE2ELNS1_11target_archE906ELNS1_3gpuE6ELNS1_3repE0EEENS1_30default_config_static_selectorELNS0_4arch9wavefront6targetE0EEEvS12_, .Lfunc_end867-_ZN7rocprim17ROCPRIM_400000_NS6detail17trampoline_kernelINS0_13select_configILj256ELj13ELNS0_17block_load_methodE3ELS4_3ELS4_3ELNS0_20block_scan_algorithmE0ELj4294967295EEENS1_25partition_config_selectorILNS1_17partition_subalgoE4EjNS0_10empty_typeEbEEZZNS1_14partition_implILS8_4ELb0ES6_15HIP_vector_typeIjLj2EENS0_17counting_iteratorIjlEEPS9_SG_NS0_5tupleIJPjSI_NS0_16reverse_iteratorISI_EEEEENSH_IJSG_SG_SG_EEES9_SI_JZNS1_25segmented_radix_sort_implINS0_14default_configELb1EPKsPsPKlPlN2at6native12_GLOBAL__N_18offset_tEEE10hipError_tPvRmT1_PNSt15iterator_traitsIS12_E10value_typeET2_T3_PNS13_IS18_E10value_typeET4_jRbjT5_S1E_jjP12ihipStream_tbEUljE_ZNSN_ISO_Lb1ESQ_SR_ST_SU_SY_EESZ_S10_S11_S12_S16_S17_S18_S1B_S1C_jS1D_jS1E_S1E_jjS1G_bEUljE0_EEESZ_S10_S11_S18_S1C_S1E_T6_T7_T9_mT8_S1G_bDpT10_ENKUlT_T0_E_clISt17integral_constantIbLb1EES1T_IbLb0EEEEDaS1P_S1Q_EUlS1P_E_NS1_11comp_targetILNS1_3genE2ELNS1_11target_archE906ELNS1_3gpuE6ELNS1_3repE0EEENS1_30default_config_static_selectorELNS0_4arch9wavefront6targetE0EEEvS12_
                                        ; -- End function
	.section	.AMDGPU.csdata,"",@progbits
; Kernel info:
; codeLenInByte = 0
; NumSgprs: 0
; NumVgprs: 0
; ScratchSize: 0
; MemoryBound: 0
; FloatMode: 240
; IeeeMode: 1
; LDSByteSize: 0 bytes/workgroup (compile time only)
; SGPRBlocks: 0
; VGPRBlocks: 0
; NumSGPRsForWavesPerEU: 1
; NumVGPRsForWavesPerEU: 1
; Occupancy: 16
; WaveLimiterHint : 0
; COMPUTE_PGM_RSRC2:SCRATCH_EN: 0
; COMPUTE_PGM_RSRC2:USER_SGPR: 15
; COMPUTE_PGM_RSRC2:TRAP_HANDLER: 0
; COMPUTE_PGM_RSRC2:TGID_X_EN: 1
; COMPUTE_PGM_RSRC2:TGID_Y_EN: 0
; COMPUTE_PGM_RSRC2:TGID_Z_EN: 0
; COMPUTE_PGM_RSRC2:TIDIG_COMP_CNT: 0
	.section	.text._ZN7rocprim17ROCPRIM_400000_NS6detail17trampoline_kernelINS0_13select_configILj256ELj13ELNS0_17block_load_methodE3ELS4_3ELS4_3ELNS0_20block_scan_algorithmE0ELj4294967295EEENS1_25partition_config_selectorILNS1_17partition_subalgoE4EjNS0_10empty_typeEbEEZZNS1_14partition_implILS8_4ELb0ES6_15HIP_vector_typeIjLj2EENS0_17counting_iteratorIjlEEPS9_SG_NS0_5tupleIJPjSI_NS0_16reverse_iteratorISI_EEEEENSH_IJSG_SG_SG_EEES9_SI_JZNS1_25segmented_radix_sort_implINS0_14default_configELb1EPKsPsPKlPlN2at6native12_GLOBAL__N_18offset_tEEE10hipError_tPvRmT1_PNSt15iterator_traitsIS12_E10value_typeET2_T3_PNS13_IS18_E10value_typeET4_jRbjT5_S1E_jjP12ihipStream_tbEUljE_ZNSN_ISO_Lb1ESQ_SR_ST_SU_SY_EESZ_S10_S11_S12_S16_S17_S18_S1B_S1C_jS1D_jS1E_S1E_jjS1G_bEUljE0_EEESZ_S10_S11_S18_S1C_S1E_T6_T7_T9_mT8_S1G_bDpT10_ENKUlT_T0_E_clISt17integral_constantIbLb1EES1T_IbLb0EEEEDaS1P_S1Q_EUlS1P_E_NS1_11comp_targetILNS1_3genE10ELNS1_11target_archE1200ELNS1_3gpuE4ELNS1_3repE0EEENS1_30default_config_static_selectorELNS0_4arch9wavefront6targetE0EEEvS12_,"axG",@progbits,_ZN7rocprim17ROCPRIM_400000_NS6detail17trampoline_kernelINS0_13select_configILj256ELj13ELNS0_17block_load_methodE3ELS4_3ELS4_3ELNS0_20block_scan_algorithmE0ELj4294967295EEENS1_25partition_config_selectorILNS1_17partition_subalgoE4EjNS0_10empty_typeEbEEZZNS1_14partition_implILS8_4ELb0ES6_15HIP_vector_typeIjLj2EENS0_17counting_iteratorIjlEEPS9_SG_NS0_5tupleIJPjSI_NS0_16reverse_iteratorISI_EEEEENSH_IJSG_SG_SG_EEES9_SI_JZNS1_25segmented_radix_sort_implINS0_14default_configELb1EPKsPsPKlPlN2at6native12_GLOBAL__N_18offset_tEEE10hipError_tPvRmT1_PNSt15iterator_traitsIS12_E10value_typeET2_T3_PNS13_IS18_E10value_typeET4_jRbjT5_S1E_jjP12ihipStream_tbEUljE_ZNSN_ISO_Lb1ESQ_SR_ST_SU_SY_EESZ_S10_S11_S12_S16_S17_S18_S1B_S1C_jS1D_jS1E_S1E_jjS1G_bEUljE0_EEESZ_S10_S11_S18_S1C_S1E_T6_T7_T9_mT8_S1G_bDpT10_ENKUlT_T0_E_clISt17integral_constantIbLb1EES1T_IbLb0EEEEDaS1P_S1Q_EUlS1P_E_NS1_11comp_targetILNS1_3genE10ELNS1_11target_archE1200ELNS1_3gpuE4ELNS1_3repE0EEENS1_30default_config_static_selectorELNS0_4arch9wavefront6targetE0EEEvS12_,comdat
	.globl	_ZN7rocprim17ROCPRIM_400000_NS6detail17trampoline_kernelINS0_13select_configILj256ELj13ELNS0_17block_load_methodE3ELS4_3ELS4_3ELNS0_20block_scan_algorithmE0ELj4294967295EEENS1_25partition_config_selectorILNS1_17partition_subalgoE4EjNS0_10empty_typeEbEEZZNS1_14partition_implILS8_4ELb0ES6_15HIP_vector_typeIjLj2EENS0_17counting_iteratorIjlEEPS9_SG_NS0_5tupleIJPjSI_NS0_16reverse_iteratorISI_EEEEENSH_IJSG_SG_SG_EEES9_SI_JZNS1_25segmented_radix_sort_implINS0_14default_configELb1EPKsPsPKlPlN2at6native12_GLOBAL__N_18offset_tEEE10hipError_tPvRmT1_PNSt15iterator_traitsIS12_E10value_typeET2_T3_PNS13_IS18_E10value_typeET4_jRbjT5_S1E_jjP12ihipStream_tbEUljE_ZNSN_ISO_Lb1ESQ_SR_ST_SU_SY_EESZ_S10_S11_S12_S16_S17_S18_S1B_S1C_jS1D_jS1E_S1E_jjS1G_bEUljE0_EEESZ_S10_S11_S18_S1C_S1E_T6_T7_T9_mT8_S1G_bDpT10_ENKUlT_T0_E_clISt17integral_constantIbLb1EES1T_IbLb0EEEEDaS1P_S1Q_EUlS1P_E_NS1_11comp_targetILNS1_3genE10ELNS1_11target_archE1200ELNS1_3gpuE4ELNS1_3repE0EEENS1_30default_config_static_selectorELNS0_4arch9wavefront6targetE0EEEvS12_ ; -- Begin function _ZN7rocprim17ROCPRIM_400000_NS6detail17trampoline_kernelINS0_13select_configILj256ELj13ELNS0_17block_load_methodE3ELS4_3ELS4_3ELNS0_20block_scan_algorithmE0ELj4294967295EEENS1_25partition_config_selectorILNS1_17partition_subalgoE4EjNS0_10empty_typeEbEEZZNS1_14partition_implILS8_4ELb0ES6_15HIP_vector_typeIjLj2EENS0_17counting_iteratorIjlEEPS9_SG_NS0_5tupleIJPjSI_NS0_16reverse_iteratorISI_EEEEENSH_IJSG_SG_SG_EEES9_SI_JZNS1_25segmented_radix_sort_implINS0_14default_configELb1EPKsPsPKlPlN2at6native12_GLOBAL__N_18offset_tEEE10hipError_tPvRmT1_PNSt15iterator_traitsIS12_E10value_typeET2_T3_PNS13_IS18_E10value_typeET4_jRbjT5_S1E_jjP12ihipStream_tbEUljE_ZNSN_ISO_Lb1ESQ_SR_ST_SU_SY_EESZ_S10_S11_S12_S16_S17_S18_S1B_S1C_jS1D_jS1E_S1E_jjS1G_bEUljE0_EEESZ_S10_S11_S18_S1C_S1E_T6_T7_T9_mT8_S1G_bDpT10_ENKUlT_T0_E_clISt17integral_constantIbLb1EES1T_IbLb0EEEEDaS1P_S1Q_EUlS1P_E_NS1_11comp_targetILNS1_3genE10ELNS1_11target_archE1200ELNS1_3gpuE4ELNS1_3repE0EEENS1_30default_config_static_selectorELNS0_4arch9wavefront6targetE0EEEvS12_
	.p2align	8
	.type	_ZN7rocprim17ROCPRIM_400000_NS6detail17trampoline_kernelINS0_13select_configILj256ELj13ELNS0_17block_load_methodE3ELS4_3ELS4_3ELNS0_20block_scan_algorithmE0ELj4294967295EEENS1_25partition_config_selectorILNS1_17partition_subalgoE4EjNS0_10empty_typeEbEEZZNS1_14partition_implILS8_4ELb0ES6_15HIP_vector_typeIjLj2EENS0_17counting_iteratorIjlEEPS9_SG_NS0_5tupleIJPjSI_NS0_16reverse_iteratorISI_EEEEENSH_IJSG_SG_SG_EEES9_SI_JZNS1_25segmented_radix_sort_implINS0_14default_configELb1EPKsPsPKlPlN2at6native12_GLOBAL__N_18offset_tEEE10hipError_tPvRmT1_PNSt15iterator_traitsIS12_E10value_typeET2_T3_PNS13_IS18_E10value_typeET4_jRbjT5_S1E_jjP12ihipStream_tbEUljE_ZNSN_ISO_Lb1ESQ_SR_ST_SU_SY_EESZ_S10_S11_S12_S16_S17_S18_S1B_S1C_jS1D_jS1E_S1E_jjS1G_bEUljE0_EEESZ_S10_S11_S18_S1C_S1E_T6_T7_T9_mT8_S1G_bDpT10_ENKUlT_T0_E_clISt17integral_constantIbLb1EES1T_IbLb0EEEEDaS1P_S1Q_EUlS1P_E_NS1_11comp_targetILNS1_3genE10ELNS1_11target_archE1200ELNS1_3gpuE4ELNS1_3repE0EEENS1_30default_config_static_selectorELNS0_4arch9wavefront6targetE0EEEvS12_,@function
_ZN7rocprim17ROCPRIM_400000_NS6detail17trampoline_kernelINS0_13select_configILj256ELj13ELNS0_17block_load_methodE3ELS4_3ELS4_3ELNS0_20block_scan_algorithmE0ELj4294967295EEENS1_25partition_config_selectorILNS1_17partition_subalgoE4EjNS0_10empty_typeEbEEZZNS1_14partition_implILS8_4ELb0ES6_15HIP_vector_typeIjLj2EENS0_17counting_iteratorIjlEEPS9_SG_NS0_5tupleIJPjSI_NS0_16reverse_iteratorISI_EEEEENSH_IJSG_SG_SG_EEES9_SI_JZNS1_25segmented_radix_sort_implINS0_14default_configELb1EPKsPsPKlPlN2at6native12_GLOBAL__N_18offset_tEEE10hipError_tPvRmT1_PNSt15iterator_traitsIS12_E10value_typeET2_T3_PNS13_IS18_E10value_typeET4_jRbjT5_S1E_jjP12ihipStream_tbEUljE_ZNSN_ISO_Lb1ESQ_SR_ST_SU_SY_EESZ_S10_S11_S12_S16_S17_S18_S1B_S1C_jS1D_jS1E_S1E_jjS1G_bEUljE0_EEESZ_S10_S11_S18_S1C_S1E_T6_T7_T9_mT8_S1G_bDpT10_ENKUlT_T0_E_clISt17integral_constantIbLb1EES1T_IbLb0EEEEDaS1P_S1Q_EUlS1P_E_NS1_11comp_targetILNS1_3genE10ELNS1_11target_archE1200ELNS1_3gpuE4ELNS1_3repE0EEENS1_30default_config_static_selectorELNS0_4arch9wavefront6targetE0EEEvS12_: ; @_ZN7rocprim17ROCPRIM_400000_NS6detail17trampoline_kernelINS0_13select_configILj256ELj13ELNS0_17block_load_methodE3ELS4_3ELS4_3ELNS0_20block_scan_algorithmE0ELj4294967295EEENS1_25partition_config_selectorILNS1_17partition_subalgoE4EjNS0_10empty_typeEbEEZZNS1_14partition_implILS8_4ELb0ES6_15HIP_vector_typeIjLj2EENS0_17counting_iteratorIjlEEPS9_SG_NS0_5tupleIJPjSI_NS0_16reverse_iteratorISI_EEEEENSH_IJSG_SG_SG_EEES9_SI_JZNS1_25segmented_radix_sort_implINS0_14default_configELb1EPKsPsPKlPlN2at6native12_GLOBAL__N_18offset_tEEE10hipError_tPvRmT1_PNSt15iterator_traitsIS12_E10value_typeET2_T3_PNS13_IS18_E10value_typeET4_jRbjT5_S1E_jjP12ihipStream_tbEUljE_ZNSN_ISO_Lb1ESQ_SR_ST_SU_SY_EESZ_S10_S11_S12_S16_S17_S18_S1B_S1C_jS1D_jS1E_S1E_jjS1G_bEUljE0_EEESZ_S10_S11_S18_S1C_S1E_T6_T7_T9_mT8_S1G_bDpT10_ENKUlT_T0_E_clISt17integral_constantIbLb1EES1T_IbLb0EEEEDaS1P_S1Q_EUlS1P_E_NS1_11comp_targetILNS1_3genE10ELNS1_11target_archE1200ELNS1_3gpuE4ELNS1_3repE0EEENS1_30default_config_static_selectorELNS0_4arch9wavefront6targetE0EEEvS12_
; %bb.0:
	.section	.rodata,"a",@progbits
	.p2align	6, 0x0
	.amdhsa_kernel _ZN7rocprim17ROCPRIM_400000_NS6detail17trampoline_kernelINS0_13select_configILj256ELj13ELNS0_17block_load_methodE3ELS4_3ELS4_3ELNS0_20block_scan_algorithmE0ELj4294967295EEENS1_25partition_config_selectorILNS1_17partition_subalgoE4EjNS0_10empty_typeEbEEZZNS1_14partition_implILS8_4ELb0ES6_15HIP_vector_typeIjLj2EENS0_17counting_iteratorIjlEEPS9_SG_NS0_5tupleIJPjSI_NS0_16reverse_iteratorISI_EEEEENSH_IJSG_SG_SG_EEES9_SI_JZNS1_25segmented_radix_sort_implINS0_14default_configELb1EPKsPsPKlPlN2at6native12_GLOBAL__N_18offset_tEEE10hipError_tPvRmT1_PNSt15iterator_traitsIS12_E10value_typeET2_T3_PNS13_IS18_E10value_typeET4_jRbjT5_S1E_jjP12ihipStream_tbEUljE_ZNSN_ISO_Lb1ESQ_SR_ST_SU_SY_EESZ_S10_S11_S12_S16_S17_S18_S1B_S1C_jS1D_jS1E_S1E_jjS1G_bEUljE0_EEESZ_S10_S11_S18_S1C_S1E_T6_T7_T9_mT8_S1G_bDpT10_ENKUlT_T0_E_clISt17integral_constantIbLb1EES1T_IbLb0EEEEDaS1P_S1Q_EUlS1P_E_NS1_11comp_targetILNS1_3genE10ELNS1_11target_archE1200ELNS1_3gpuE4ELNS1_3repE0EEENS1_30default_config_static_selectorELNS0_4arch9wavefront6targetE0EEEvS12_
		.amdhsa_group_segment_fixed_size 0
		.amdhsa_private_segment_fixed_size 0
		.amdhsa_kernarg_size 176
		.amdhsa_user_sgpr_count 15
		.amdhsa_user_sgpr_dispatch_ptr 0
		.amdhsa_user_sgpr_queue_ptr 0
		.amdhsa_user_sgpr_kernarg_segment_ptr 1
		.amdhsa_user_sgpr_dispatch_id 0
		.amdhsa_user_sgpr_private_segment_size 0
		.amdhsa_wavefront_size32 1
		.amdhsa_uses_dynamic_stack 0
		.amdhsa_enable_private_segment 0
		.amdhsa_system_sgpr_workgroup_id_x 1
		.amdhsa_system_sgpr_workgroup_id_y 0
		.amdhsa_system_sgpr_workgroup_id_z 0
		.amdhsa_system_sgpr_workgroup_info 0
		.amdhsa_system_vgpr_workitem_id 0
		.amdhsa_next_free_vgpr 1
		.amdhsa_next_free_sgpr 1
		.amdhsa_reserve_vcc 0
		.amdhsa_float_round_mode_32 0
		.amdhsa_float_round_mode_16_64 0
		.amdhsa_float_denorm_mode_32 3
		.amdhsa_float_denorm_mode_16_64 3
		.amdhsa_dx10_clamp 1
		.amdhsa_ieee_mode 1
		.amdhsa_fp16_overflow 0
		.amdhsa_workgroup_processor_mode 1
		.amdhsa_memory_ordered 1
		.amdhsa_forward_progress 0
		.amdhsa_shared_vgpr_count 0
		.amdhsa_exception_fp_ieee_invalid_op 0
		.amdhsa_exception_fp_denorm_src 0
		.amdhsa_exception_fp_ieee_div_zero 0
		.amdhsa_exception_fp_ieee_overflow 0
		.amdhsa_exception_fp_ieee_underflow 0
		.amdhsa_exception_fp_ieee_inexact 0
		.amdhsa_exception_int_div_zero 0
	.end_amdhsa_kernel
	.section	.text._ZN7rocprim17ROCPRIM_400000_NS6detail17trampoline_kernelINS0_13select_configILj256ELj13ELNS0_17block_load_methodE3ELS4_3ELS4_3ELNS0_20block_scan_algorithmE0ELj4294967295EEENS1_25partition_config_selectorILNS1_17partition_subalgoE4EjNS0_10empty_typeEbEEZZNS1_14partition_implILS8_4ELb0ES6_15HIP_vector_typeIjLj2EENS0_17counting_iteratorIjlEEPS9_SG_NS0_5tupleIJPjSI_NS0_16reverse_iteratorISI_EEEEENSH_IJSG_SG_SG_EEES9_SI_JZNS1_25segmented_radix_sort_implINS0_14default_configELb1EPKsPsPKlPlN2at6native12_GLOBAL__N_18offset_tEEE10hipError_tPvRmT1_PNSt15iterator_traitsIS12_E10value_typeET2_T3_PNS13_IS18_E10value_typeET4_jRbjT5_S1E_jjP12ihipStream_tbEUljE_ZNSN_ISO_Lb1ESQ_SR_ST_SU_SY_EESZ_S10_S11_S12_S16_S17_S18_S1B_S1C_jS1D_jS1E_S1E_jjS1G_bEUljE0_EEESZ_S10_S11_S18_S1C_S1E_T6_T7_T9_mT8_S1G_bDpT10_ENKUlT_T0_E_clISt17integral_constantIbLb1EES1T_IbLb0EEEEDaS1P_S1Q_EUlS1P_E_NS1_11comp_targetILNS1_3genE10ELNS1_11target_archE1200ELNS1_3gpuE4ELNS1_3repE0EEENS1_30default_config_static_selectorELNS0_4arch9wavefront6targetE0EEEvS12_,"axG",@progbits,_ZN7rocprim17ROCPRIM_400000_NS6detail17trampoline_kernelINS0_13select_configILj256ELj13ELNS0_17block_load_methodE3ELS4_3ELS4_3ELNS0_20block_scan_algorithmE0ELj4294967295EEENS1_25partition_config_selectorILNS1_17partition_subalgoE4EjNS0_10empty_typeEbEEZZNS1_14partition_implILS8_4ELb0ES6_15HIP_vector_typeIjLj2EENS0_17counting_iteratorIjlEEPS9_SG_NS0_5tupleIJPjSI_NS0_16reverse_iteratorISI_EEEEENSH_IJSG_SG_SG_EEES9_SI_JZNS1_25segmented_radix_sort_implINS0_14default_configELb1EPKsPsPKlPlN2at6native12_GLOBAL__N_18offset_tEEE10hipError_tPvRmT1_PNSt15iterator_traitsIS12_E10value_typeET2_T3_PNS13_IS18_E10value_typeET4_jRbjT5_S1E_jjP12ihipStream_tbEUljE_ZNSN_ISO_Lb1ESQ_SR_ST_SU_SY_EESZ_S10_S11_S12_S16_S17_S18_S1B_S1C_jS1D_jS1E_S1E_jjS1G_bEUljE0_EEESZ_S10_S11_S18_S1C_S1E_T6_T7_T9_mT8_S1G_bDpT10_ENKUlT_T0_E_clISt17integral_constantIbLb1EES1T_IbLb0EEEEDaS1P_S1Q_EUlS1P_E_NS1_11comp_targetILNS1_3genE10ELNS1_11target_archE1200ELNS1_3gpuE4ELNS1_3repE0EEENS1_30default_config_static_selectorELNS0_4arch9wavefront6targetE0EEEvS12_,comdat
.Lfunc_end868:
	.size	_ZN7rocprim17ROCPRIM_400000_NS6detail17trampoline_kernelINS0_13select_configILj256ELj13ELNS0_17block_load_methodE3ELS4_3ELS4_3ELNS0_20block_scan_algorithmE0ELj4294967295EEENS1_25partition_config_selectorILNS1_17partition_subalgoE4EjNS0_10empty_typeEbEEZZNS1_14partition_implILS8_4ELb0ES6_15HIP_vector_typeIjLj2EENS0_17counting_iteratorIjlEEPS9_SG_NS0_5tupleIJPjSI_NS0_16reverse_iteratorISI_EEEEENSH_IJSG_SG_SG_EEES9_SI_JZNS1_25segmented_radix_sort_implINS0_14default_configELb1EPKsPsPKlPlN2at6native12_GLOBAL__N_18offset_tEEE10hipError_tPvRmT1_PNSt15iterator_traitsIS12_E10value_typeET2_T3_PNS13_IS18_E10value_typeET4_jRbjT5_S1E_jjP12ihipStream_tbEUljE_ZNSN_ISO_Lb1ESQ_SR_ST_SU_SY_EESZ_S10_S11_S12_S16_S17_S18_S1B_S1C_jS1D_jS1E_S1E_jjS1G_bEUljE0_EEESZ_S10_S11_S18_S1C_S1E_T6_T7_T9_mT8_S1G_bDpT10_ENKUlT_T0_E_clISt17integral_constantIbLb1EES1T_IbLb0EEEEDaS1P_S1Q_EUlS1P_E_NS1_11comp_targetILNS1_3genE10ELNS1_11target_archE1200ELNS1_3gpuE4ELNS1_3repE0EEENS1_30default_config_static_selectorELNS0_4arch9wavefront6targetE0EEEvS12_, .Lfunc_end868-_ZN7rocprim17ROCPRIM_400000_NS6detail17trampoline_kernelINS0_13select_configILj256ELj13ELNS0_17block_load_methodE3ELS4_3ELS4_3ELNS0_20block_scan_algorithmE0ELj4294967295EEENS1_25partition_config_selectorILNS1_17partition_subalgoE4EjNS0_10empty_typeEbEEZZNS1_14partition_implILS8_4ELb0ES6_15HIP_vector_typeIjLj2EENS0_17counting_iteratorIjlEEPS9_SG_NS0_5tupleIJPjSI_NS0_16reverse_iteratorISI_EEEEENSH_IJSG_SG_SG_EEES9_SI_JZNS1_25segmented_radix_sort_implINS0_14default_configELb1EPKsPsPKlPlN2at6native12_GLOBAL__N_18offset_tEEE10hipError_tPvRmT1_PNSt15iterator_traitsIS12_E10value_typeET2_T3_PNS13_IS18_E10value_typeET4_jRbjT5_S1E_jjP12ihipStream_tbEUljE_ZNSN_ISO_Lb1ESQ_SR_ST_SU_SY_EESZ_S10_S11_S12_S16_S17_S18_S1B_S1C_jS1D_jS1E_S1E_jjS1G_bEUljE0_EEESZ_S10_S11_S18_S1C_S1E_T6_T7_T9_mT8_S1G_bDpT10_ENKUlT_T0_E_clISt17integral_constantIbLb1EES1T_IbLb0EEEEDaS1P_S1Q_EUlS1P_E_NS1_11comp_targetILNS1_3genE10ELNS1_11target_archE1200ELNS1_3gpuE4ELNS1_3repE0EEENS1_30default_config_static_selectorELNS0_4arch9wavefront6targetE0EEEvS12_
                                        ; -- End function
	.section	.AMDGPU.csdata,"",@progbits
; Kernel info:
; codeLenInByte = 0
; NumSgprs: 0
; NumVgprs: 0
; ScratchSize: 0
; MemoryBound: 0
; FloatMode: 240
; IeeeMode: 1
; LDSByteSize: 0 bytes/workgroup (compile time only)
; SGPRBlocks: 0
; VGPRBlocks: 0
; NumSGPRsForWavesPerEU: 1
; NumVGPRsForWavesPerEU: 1
; Occupancy: 16
; WaveLimiterHint : 0
; COMPUTE_PGM_RSRC2:SCRATCH_EN: 0
; COMPUTE_PGM_RSRC2:USER_SGPR: 15
; COMPUTE_PGM_RSRC2:TRAP_HANDLER: 0
; COMPUTE_PGM_RSRC2:TGID_X_EN: 1
; COMPUTE_PGM_RSRC2:TGID_Y_EN: 0
; COMPUTE_PGM_RSRC2:TGID_Z_EN: 0
; COMPUTE_PGM_RSRC2:TIDIG_COMP_CNT: 0
	.section	.text._ZN7rocprim17ROCPRIM_400000_NS6detail17trampoline_kernelINS0_13select_configILj256ELj13ELNS0_17block_load_methodE3ELS4_3ELS4_3ELNS0_20block_scan_algorithmE0ELj4294967295EEENS1_25partition_config_selectorILNS1_17partition_subalgoE4EjNS0_10empty_typeEbEEZZNS1_14partition_implILS8_4ELb0ES6_15HIP_vector_typeIjLj2EENS0_17counting_iteratorIjlEEPS9_SG_NS0_5tupleIJPjSI_NS0_16reverse_iteratorISI_EEEEENSH_IJSG_SG_SG_EEES9_SI_JZNS1_25segmented_radix_sort_implINS0_14default_configELb1EPKsPsPKlPlN2at6native12_GLOBAL__N_18offset_tEEE10hipError_tPvRmT1_PNSt15iterator_traitsIS12_E10value_typeET2_T3_PNS13_IS18_E10value_typeET4_jRbjT5_S1E_jjP12ihipStream_tbEUljE_ZNSN_ISO_Lb1ESQ_SR_ST_SU_SY_EESZ_S10_S11_S12_S16_S17_S18_S1B_S1C_jS1D_jS1E_S1E_jjS1G_bEUljE0_EEESZ_S10_S11_S18_S1C_S1E_T6_T7_T9_mT8_S1G_bDpT10_ENKUlT_T0_E_clISt17integral_constantIbLb1EES1T_IbLb0EEEEDaS1P_S1Q_EUlS1P_E_NS1_11comp_targetILNS1_3genE9ELNS1_11target_archE1100ELNS1_3gpuE3ELNS1_3repE0EEENS1_30default_config_static_selectorELNS0_4arch9wavefront6targetE0EEEvS12_,"axG",@progbits,_ZN7rocprim17ROCPRIM_400000_NS6detail17trampoline_kernelINS0_13select_configILj256ELj13ELNS0_17block_load_methodE3ELS4_3ELS4_3ELNS0_20block_scan_algorithmE0ELj4294967295EEENS1_25partition_config_selectorILNS1_17partition_subalgoE4EjNS0_10empty_typeEbEEZZNS1_14partition_implILS8_4ELb0ES6_15HIP_vector_typeIjLj2EENS0_17counting_iteratorIjlEEPS9_SG_NS0_5tupleIJPjSI_NS0_16reverse_iteratorISI_EEEEENSH_IJSG_SG_SG_EEES9_SI_JZNS1_25segmented_radix_sort_implINS0_14default_configELb1EPKsPsPKlPlN2at6native12_GLOBAL__N_18offset_tEEE10hipError_tPvRmT1_PNSt15iterator_traitsIS12_E10value_typeET2_T3_PNS13_IS18_E10value_typeET4_jRbjT5_S1E_jjP12ihipStream_tbEUljE_ZNSN_ISO_Lb1ESQ_SR_ST_SU_SY_EESZ_S10_S11_S12_S16_S17_S18_S1B_S1C_jS1D_jS1E_S1E_jjS1G_bEUljE0_EEESZ_S10_S11_S18_S1C_S1E_T6_T7_T9_mT8_S1G_bDpT10_ENKUlT_T0_E_clISt17integral_constantIbLb1EES1T_IbLb0EEEEDaS1P_S1Q_EUlS1P_E_NS1_11comp_targetILNS1_3genE9ELNS1_11target_archE1100ELNS1_3gpuE3ELNS1_3repE0EEENS1_30default_config_static_selectorELNS0_4arch9wavefront6targetE0EEEvS12_,comdat
	.globl	_ZN7rocprim17ROCPRIM_400000_NS6detail17trampoline_kernelINS0_13select_configILj256ELj13ELNS0_17block_load_methodE3ELS4_3ELS4_3ELNS0_20block_scan_algorithmE0ELj4294967295EEENS1_25partition_config_selectorILNS1_17partition_subalgoE4EjNS0_10empty_typeEbEEZZNS1_14partition_implILS8_4ELb0ES6_15HIP_vector_typeIjLj2EENS0_17counting_iteratorIjlEEPS9_SG_NS0_5tupleIJPjSI_NS0_16reverse_iteratorISI_EEEEENSH_IJSG_SG_SG_EEES9_SI_JZNS1_25segmented_radix_sort_implINS0_14default_configELb1EPKsPsPKlPlN2at6native12_GLOBAL__N_18offset_tEEE10hipError_tPvRmT1_PNSt15iterator_traitsIS12_E10value_typeET2_T3_PNS13_IS18_E10value_typeET4_jRbjT5_S1E_jjP12ihipStream_tbEUljE_ZNSN_ISO_Lb1ESQ_SR_ST_SU_SY_EESZ_S10_S11_S12_S16_S17_S18_S1B_S1C_jS1D_jS1E_S1E_jjS1G_bEUljE0_EEESZ_S10_S11_S18_S1C_S1E_T6_T7_T9_mT8_S1G_bDpT10_ENKUlT_T0_E_clISt17integral_constantIbLb1EES1T_IbLb0EEEEDaS1P_S1Q_EUlS1P_E_NS1_11comp_targetILNS1_3genE9ELNS1_11target_archE1100ELNS1_3gpuE3ELNS1_3repE0EEENS1_30default_config_static_selectorELNS0_4arch9wavefront6targetE0EEEvS12_ ; -- Begin function _ZN7rocprim17ROCPRIM_400000_NS6detail17trampoline_kernelINS0_13select_configILj256ELj13ELNS0_17block_load_methodE3ELS4_3ELS4_3ELNS0_20block_scan_algorithmE0ELj4294967295EEENS1_25partition_config_selectorILNS1_17partition_subalgoE4EjNS0_10empty_typeEbEEZZNS1_14partition_implILS8_4ELb0ES6_15HIP_vector_typeIjLj2EENS0_17counting_iteratorIjlEEPS9_SG_NS0_5tupleIJPjSI_NS0_16reverse_iteratorISI_EEEEENSH_IJSG_SG_SG_EEES9_SI_JZNS1_25segmented_radix_sort_implINS0_14default_configELb1EPKsPsPKlPlN2at6native12_GLOBAL__N_18offset_tEEE10hipError_tPvRmT1_PNSt15iterator_traitsIS12_E10value_typeET2_T3_PNS13_IS18_E10value_typeET4_jRbjT5_S1E_jjP12ihipStream_tbEUljE_ZNSN_ISO_Lb1ESQ_SR_ST_SU_SY_EESZ_S10_S11_S12_S16_S17_S18_S1B_S1C_jS1D_jS1E_S1E_jjS1G_bEUljE0_EEESZ_S10_S11_S18_S1C_S1E_T6_T7_T9_mT8_S1G_bDpT10_ENKUlT_T0_E_clISt17integral_constantIbLb1EES1T_IbLb0EEEEDaS1P_S1Q_EUlS1P_E_NS1_11comp_targetILNS1_3genE9ELNS1_11target_archE1100ELNS1_3gpuE3ELNS1_3repE0EEENS1_30default_config_static_selectorELNS0_4arch9wavefront6targetE0EEEvS12_
	.p2align	8
	.type	_ZN7rocprim17ROCPRIM_400000_NS6detail17trampoline_kernelINS0_13select_configILj256ELj13ELNS0_17block_load_methodE3ELS4_3ELS4_3ELNS0_20block_scan_algorithmE0ELj4294967295EEENS1_25partition_config_selectorILNS1_17partition_subalgoE4EjNS0_10empty_typeEbEEZZNS1_14partition_implILS8_4ELb0ES6_15HIP_vector_typeIjLj2EENS0_17counting_iteratorIjlEEPS9_SG_NS0_5tupleIJPjSI_NS0_16reverse_iteratorISI_EEEEENSH_IJSG_SG_SG_EEES9_SI_JZNS1_25segmented_radix_sort_implINS0_14default_configELb1EPKsPsPKlPlN2at6native12_GLOBAL__N_18offset_tEEE10hipError_tPvRmT1_PNSt15iterator_traitsIS12_E10value_typeET2_T3_PNS13_IS18_E10value_typeET4_jRbjT5_S1E_jjP12ihipStream_tbEUljE_ZNSN_ISO_Lb1ESQ_SR_ST_SU_SY_EESZ_S10_S11_S12_S16_S17_S18_S1B_S1C_jS1D_jS1E_S1E_jjS1G_bEUljE0_EEESZ_S10_S11_S18_S1C_S1E_T6_T7_T9_mT8_S1G_bDpT10_ENKUlT_T0_E_clISt17integral_constantIbLb1EES1T_IbLb0EEEEDaS1P_S1Q_EUlS1P_E_NS1_11comp_targetILNS1_3genE9ELNS1_11target_archE1100ELNS1_3gpuE3ELNS1_3repE0EEENS1_30default_config_static_selectorELNS0_4arch9wavefront6targetE0EEEvS12_,@function
_ZN7rocprim17ROCPRIM_400000_NS6detail17trampoline_kernelINS0_13select_configILj256ELj13ELNS0_17block_load_methodE3ELS4_3ELS4_3ELNS0_20block_scan_algorithmE0ELj4294967295EEENS1_25partition_config_selectorILNS1_17partition_subalgoE4EjNS0_10empty_typeEbEEZZNS1_14partition_implILS8_4ELb0ES6_15HIP_vector_typeIjLj2EENS0_17counting_iteratorIjlEEPS9_SG_NS0_5tupleIJPjSI_NS0_16reverse_iteratorISI_EEEEENSH_IJSG_SG_SG_EEES9_SI_JZNS1_25segmented_radix_sort_implINS0_14default_configELb1EPKsPsPKlPlN2at6native12_GLOBAL__N_18offset_tEEE10hipError_tPvRmT1_PNSt15iterator_traitsIS12_E10value_typeET2_T3_PNS13_IS18_E10value_typeET4_jRbjT5_S1E_jjP12ihipStream_tbEUljE_ZNSN_ISO_Lb1ESQ_SR_ST_SU_SY_EESZ_S10_S11_S12_S16_S17_S18_S1B_S1C_jS1D_jS1E_S1E_jjS1G_bEUljE0_EEESZ_S10_S11_S18_S1C_S1E_T6_T7_T9_mT8_S1G_bDpT10_ENKUlT_T0_E_clISt17integral_constantIbLb1EES1T_IbLb0EEEEDaS1P_S1Q_EUlS1P_E_NS1_11comp_targetILNS1_3genE9ELNS1_11target_archE1100ELNS1_3gpuE3ELNS1_3repE0EEENS1_30default_config_static_selectorELNS0_4arch9wavefront6targetE0EEEvS12_: ; @_ZN7rocprim17ROCPRIM_400000_NS6detail17trampoline_kernelINS0_13select_configILj256ELj13ELNS0_17block_load_methodE3ELS4_3ELS4_3ELNS0_20block_scan_algorithmE0ELj4294967295EEENS1_25partition_config_selectorILNS1_17partition_subalgoE4EjNS0_10empty_typeEbEEZZNS1_14partition_implILS8_4ELb0ES6_15HIP_vector_typeIjLj2EENS0_17counting_iteratorIjlEEPS9_SG_NS0_5tupleIJPjSI_NS0_16reverse_iteratorISI_EEEEENSH_IJSG_SG_SG_EEES9_SI_JZNS1_25segmented_radix_sort_implINS0_14default_configELb1EPKsPsPKlPlN2at6native12_GLOBAL__N_18offset_tEEE10hipError_tPvRmT1_PNSt15iterator_traitsIS12_E10value_typeET2_T3_PNS13_IS18_E10value_typeET4_jRbjT5_S1E_jjP12ihipStream_tbEUljE_ZNSN_ISO_Lb1ESQ_SR_ST_SU_SY_EESZ_S10_S11_S12_S16_S17_S18_S1B_S1C_jS1D_jS1E_S1E_jjS1G_bEUljE0_EEESZ_S10_S11_S18_S1C_S1E_T6_T7_T9_mT8_S1G_bDpT10_ENKUlT_T0_E_clISt17integral_constantIbLb1EES1T_IbLb0EEEEDaS1P_S1Q_EUlS1P_E_NS1_11comp_targetILNS1_3genE9ELNS1_11target_archE1100ELNS1_3gpuE3ELNS1_3repE0EEENS1_30default_config_static_selectorELNS0_4arch9wavefront6targetE0EEEvS12_
; %bb.0:
	s_clause 0x6
	s_load_b32 s5, s[0:1], 0x80
	s_load_b64 s[34:35], s[0:1], 0x10
	s_load_b64 s[2:3], s[0:1], 0x68
	s_load_b32 s8, s[0:1], 0x8
	s_load_b128 s[24:27], s[0:1], 0x58
	s_load_b64 s[40:41], s[0:1], 0xa8
	s_load_b256 s[16:23], s[0:1], 0x88
	s_mul_i32 s33, s15, 0xd00
	s_waitcnt lgkmcnt(0)
	s_mul_i32 s4, s5, 0xd00
	s_add_i32 s5, s5, -1
	s_add_u32 s6, s34, s4
	s_addc_u32 s7, s35, 0
	s_load_b128 s[28:31], s[26:27], 0x0
	s_cmp_eq_u32 s15, s5
	v_cmp_lt_u64_e64 s3, s[6:7], s[2:3]
	s_cselect_b32 s14, -1, 0
	s_cmp_lg_u32 s15, s5
	s_cselect_b32 s5, -1, 0
	s_add_i32 s6, s8, s33
	s_delay_alu instid0(VALU_DEP_1) | instskip(SKIP_4) | instid1(VALU_DEP_1)
	s_or_b32 s3, s5, s3
	s_add_i32 s6, s6, s34
	s_and_b32 vcc_lo, exec_lo, s3
	v_add_nc_u32_e32 v1, s6, v0
	s_mov_b32 s5, -1
	v_add_nc_u32_e32 v2, 0x100, v1
	v_add_nc_u32_e32 v3, 0x200, v1
	;; [unrolled: 1-line block ×12, first 2 shown]
	s_cbranch_vccz .LBB869_2
; %bb.1:
	v_lshlrev_b32_e32 v14, 2, v0
	s_mov_b32 s5, 0
	ds_store_2addr_stride64_b32 v14, v1, v2 offset1:4
	ds_store_2addr_stride64_b32 v14, v3, v4 offset0:8 offset1:12
	ds_store_2addr_stride64_b32 v14, v5, v6 offset0:16 offset1:20
	;; [unrolled: 1-line block ×5, first 2 shown]
	ds_store_b32 v14, v13 offset:12288
	s_waitcnt lgkmcnt(0)
	s_barrier
.LBB869_2:
	s_and_not1_b32 vcc_lo, exec_lo, s5
	s_add_i32 s4, s4, s34
	s_cbranch_vccnz .LBB869_4
; %bb.3:
	v_lshlrev_b32_e32 v14, 2, v0
	ds_store_2addr_stride64_b32 v14, v1, v2 offset1:4
	ds_store_2addr_stride64_b32 v14, v3, v4 offset0:8 offset1:12
	ds_store_2addr_stride64_b32 v14, v5, v6 offset0:16 offset1:20
	;; [unrolled: 1-line block ×5, first 2 shown]
	ds_store_b32 v14, v13 offset:12288
	s_waitcnt lgkmcnt(0)
	s_barrier
.LBB869_4:
	v_mul_u32_u24_e32 v28, 13, v0
	s_clause 0x1
	s_load_b128 s[36:39], s[0:1], 0x28
	s_load_b64 s[26:27], s[0:1], 0x38
	s_waitcnt lgkmcnt(0)
	buffer_gl0_inv
	v_cndmask_b32_e64 v26, 0, 1, s3
	s_sub_i32 s44, s2, s4
	v_lshlrev_b32_e32 v1, 2, v28
	s_and_not1_b32 vcc_lo, exec_lo, s3
	ds_load_2addr_b32 v[16:17], v1 offset1:1
	ds_load_2addr_b32 v[14:15], v1 offset0:2 offset1:3
	ds_load_2addr_b32 v[12:13], v1 offset0:4 offset1:5
	ds_load_2addr_b32 v[10:11], v1 offset0:6 offset1:7
	ds_load_2addr_b32 v[8:9], v1 offset0:8 offset1:9
	ds_load_2addr_b32 v[6:7], v1 offset0:10 offset1:11
	ds_load_b32 v27, v1 offset:48
	s_waitcnt lgkmcnt(0)
	s_barrier
	buffer_gl0_inv
	s_cbranch_vccnz .LBB869_32
; %bb.5:
	v_add_nc_u32_e32 v1, s17, v16
	v_add_nc_u32_e32 v2, s19, v16
	s_mov_b32 s46, 0
	s_mov_b32 s45, 0
	s_mov_b32 s3, exec_lo
	v_mul_lo_u32 v1, v1, s16
	v_mul_lo_u32 v2, v2, s18
	s_delay_alu instid0(VALU_DEP_1) | instskip(NEXT) | instid1(VALU_DEP_1)
	v_sub_nc_u32_e32 v1, v1, v2
	v_cmp_lt_u32_e32 vcc_lo, s20, v1
	v_cmpx_ge_u32_e64 s20, v1
; %bb.6:
	v_add_nc_u32_e32 v1, s22, v16
	v_add_nc_u32_e32 v2, s40, v16
	s_delay_alu instid0(VALU_DEP_2) | instskip(NEXT) | instid1(VALU_DEP_2)
	v_mul_lo_u32 v1, v1, s21
	v_mul_lo_u32 v2, v2, s23
	s_delay_alu instid0(VALU_DEP_1) | instskip(NEXT) | instid1(VALU_DEP_1)
	v_sub_nc_u32_e32 v1, v1, v2
	v_cmp_lt_u32_e64 s2, s41, v1
	s_delay_alu instid0(VALU_DEP_1)
	s_and_b32 s45, s2, exec_lo
; %bb.7:
	s_or_b32 exec_lo, exec_lo, s3
	v_add_nc_u32_e32 v1, s17, v17
	v_add_nc_u32_e32 v2, s19, v17
	s_mov_b32 s4, exec_lo
	s_delay_alu instid0(VALU_DEP_2) | instskip(NEXT) | instid1(VALU_DEP_2)
	v_mul_lo_u32 v1, v1, s16
	v_mul_lo_u32 v2, v2, s18
	s_delay_alu instid0(VALU_DEP_1) | instskip(NEXT) | instid1(VALU_DEP_1)
	v_sub_nc_u32_e32 v1, v1, v2
	v_cmp_lt_u32_e64 s2, s20, v1
	v_cmpx_ge_u32_e64 s20, v1
; %bb.8:
	v_add_nc_u32_e32 v1, s22, v17
	v_add_nc_u32_e32 v2, s40, v17
	s_delay_alu instid0(VALU_DEP_2) | instskip(NEXT) | instid1(VALU_DEP_2)
	v_mul_lo_u32 v1, v1, s21
	v_mul_lo_u32 v2, v2, s23
	s_delay_alu instid0(VALU_DEP_1) | instskip(NEXT) | instid1(VALU_DEP_1)
	v_sub_nc_u32_e32 v1, v1, v2
	v_cmp_lt_u32_e64 s3, s41, v1
	s_delay_alu instid0(VALU_DEP_1)
	s_and_b32 s46, s3, exec_lo
; %bb.9:
	s_or_b32 exec_lo, exec_lo, s4
	v_add_nc_u32_e32 v1, s17, v14
	v_add_nc_u32_e32 v2, s19, v14
	s_mov_b32 s48, 0
	s_mov_b32 s47, 0
	s_mov_b32 s5, exec_lo
	v_mul_lo_u32 v1, v1, s16
	v_mul_lo_u32 v2, v2, s18
	s_delay_alu instid0(VALU_DEP_1) | instskip(NEXT) | instid1(VALU_DEP_1)
	v_sub_nc_u32_e32 v1, v1, v2
	v_cmp_lt_u32_e64 s3, s20, v1
	v_cmpx_ge_u32_e64 s20, v1
; %bb.10:
	v_add_nc_u32_e32 v1, s22, v14
	v_add_nc_u32_e32 v2, s40, v14
	s_delay_alu instid0(VALU_DEP_2) | instskip(NEXT) | instid1(VALU_DEP_2)
	v_mul_lo_u32 v1, v1, s21
	v_mul_lo_u32 v2, v2, s23
	s_delay_alu instid0(VALU_DEP_1) | instskip(NEXT) | instid1(VALU_DEP_1)
	v_sub_nc_u32_e32 v1, v1, v2
	v_cmp_lt_u32_e64 s4, s41, v1
	s_delay_alu instid0(VALU_DEP_1)
	s_and_b32 s47, s4, exec_lo
; %bb.11:
	s_or_b32 exec_lo, exec_lo, s5
	v_add_nc_u32_e32 v1, s17, v15
	v_add_nc_u32_e32 v2, s19, v15
	s_mov_b32 s6, exec_lo
	s_delay_alu instid0(VALU_DEP_2) | instskip(NEXT) | instid1(VALU_DEP_2)
	v_mul_lo_u32 v1, v1, s16
	v_mul_lo_u32 v2, v2, s18
	s_delay_alu instid0(VALU_DEP_1) | instskip(NEXT) | instid1(VALU_DEP_1)
	v_sub_nc_u32_e32 v1, v1, v2
	v_cmp_lt_u32_e64 s4, s20, v1
	v_cmpx_ge_u32_e64 s20, v1
; %bb.12:
	v_add_nc_u32_e32 v1, s22, v15
	v_add_nc_u32_e32 v2, s40, v15
	s_delay_alu instid0(VALU_DEP_2) | instskip(NEXT) | instid1(VALU_DEP_2)
	v_mul_lo_u32 v1, v1, s21
	v_mul_lo_u32 v2, v2, s23
	s_delay_alu instid0(VALU_DEP_1) | instskip(NEXT) | instid1(VALU_DEP_1)
	v_sub_nc_u32_e32 v1, v1, v2
	v_cmp_lt_u32_e64 s5, s41, v1
	s_delay_alu instid0(VALU_DEP_1)
	s_and_b32 s48, s5, exec_lo
; %bb.13:
	s_or_b32 exec_lo, exec_lo, s6
	v_add_nc_u32_e32 v1, s17, v12
	v_add_nc_u32_e32 v2, s19, v12
	s_mov_b32 s50, 0
	s_mov_b32 s49, 0
	s_mov_b32 s7, exec_lo
	v_mul_lo_u32 v1, v1, s16
	v_mul_lo_u32 v2, v2, s18
	s_delay_alu instid0(VALU_DEP_1) | instskip(NEXT) | instid1(VALU_DEP_1)
	v_sub_nc_u32_e32 v1, v1, v2
	v_cmp_lt_u32_e64 s5, s20, v1
	;; [unrolled: 47-line block ×5, first 2 shown]
	v_cmpx_ge_u32_e64 s20, v1
; %bb.26:
	v_add_nc_u32_e32 v1, s22, v6
	v_add_nc_u32_e32 v2, s40, v6
	s_delay_alu instid0(VALU_DEP_2) | instskip(NEXT) | instid1(VALU_DEP_2)
	v_mul_lo_u32 v1, v1, s21
	v_mul_lo_u32 v2, v2, s23
	s_delay_alu instid0(VALU_DEP_1) | instskip(NEXT) | instid1(VALU_DEP_1)
	v_sub_nc_u32_e32 v1, v1, v2
	v_cmp_lt_u32_e64 s12, s41, v1
	s_delay_alu instid0(VALU_DEP_1)
	s_and_b32 s57, s12, exec_lo
; %bb.27:
	s_or_b32 exec_lo, exec_lo, s13
	v_add_nc_u32_e32 v1, s17, v7
	v_add_nc_u32_e32 v2, s19, v7
	s_mov_b32 s42, exec_lo
	s_delay_alu instid0(VALU_DEP_2) | instskip(NEXT) | instid1(VALU_DEP_2)
	v_mul_lo_u32 v1, v1, s16
	v_mul_lo_u32 v2, v2, s18
	s_delay_alu instid0(VALU_DEP_1) | instskip(NEXT) | instid1(VALU_DEP_1)
	v_sub_nc_u32_e32 v1, v1, v2
	v_cmp_lt_u32_e64 s12, s20, v1
	v_cmpx_ge_u32_e64 s20, v1
; %bb.28:
	v_add_nc_u32_e32 v1, s22, v7
	v_add_nc_u32_e32 v2, s40, v7
	s_delay_alu instid0(VALU_DEP_2) | instskip(NEXT) | instid1(VALU_DEP_2)
	v_mul_lo_u32 v1, v1, s21
	v_mul_lo_u32 v2, v2, s23
	s_delay_alu instid0(VALU_DEP_1) | instskip(NEXT) | instid1(VALU_DEP_1)
	v_sub_nc_u32_e32 v1, v1, v2
	v_cmp_lt_u32_e64 s13, s41, v1
	s_delay_alu instid0(VALU_DEP_1)
	s_and_b32 s56, s13, exec_lo
; %bb.29:
	s_or_b32 exec_lo, exec_lo, s42
	v_add_nc_u32_e32 v1, s17, v27
	v_add_nc_u32_e32 v2, s19, v27
	s_mov_b32 s42, -1
	s_mov_b32 s53, 0
	s_mov_b32 s43, 0
	v_mul_lo_u32 v1, v1, s16
	v_mul_lo_u32 v2, v2, s18
	s_mov_b32 s58, exec_lo
	s_delay_alu instid0(VALU_DEP_1) | instskip(NEXT) | instid1(VALU_DEP_1)
	v_sub_nc_u32_e32 v1, v1, v2
	v_cmpx_ge_u32_e64 s20, v1
; %bb.30:
	v_add_nc_u32_e32 v1, s22, v27
	v_add_nc_u32_e32 v2, s40, v27
	s_xor_b32 s42, exec_lo, -1
	s_delay_alu instid0(VALU_DEP_2) | instskip(NEXT) | instid1(VALU_DEP_2)
	v_mul_lo_u32 v1, v1, s21
	v_mul_lo_u32 v2, v2, s23
	s_delay_alu instid0(VALU_DEP_1) | instskip(NEXT) | instid1(VALU_DEP_1)
	v_sub_nc_u32_e32 v1, v1, v2
	v_cmp_lt_u32_e64 s13, s41, v1
	s_delay_alu instid0(VALU_DEP_1)
	s_and_b32 s43, s13, exec_lo
; %bb.31:
	s_or_b32 exec_lo, exec_lo, s58
	v_cndmask_b32_e64 v48, 0, 1, s57
	v_cndmask_b32_e64 v51, 0, 1, s12
	;; [unrolled: 1-line block ×22, first 2 shown]
	v_cndmask_b32_e64 v29, 0, 1, vcc_lo
	v_cndmask_b32_e64 v52, 0, 1, s56
	s_load_b64 s[4:5], s[0:1], 0x78
	s_and_b32 vcc_lo, exec_lo, s53
	s_add_i32 s3, s44, 0xd00
	s_cbranch_vccnz .LBB869_33
	s_branch .LBB869_86
.LBB869_32:
                                        ; implicit-def: $sgpr42
                                        ; implicit-def: $sgpr43
                                        ; implicit-def: $vgpr52
                                        ; implicit-def: $vgpr48
                                        ; implicit-def: $vgpr47
                                        ; implicit-def: $vgpr45
                                        ; implicit-def: $vgpr43
                                        ; implicit-def: $vgpr40
                                        ; implicit-def: $vgpr39
                                        ; implicit-def: $vgpr37
                                        ; implicit-def: $vgpr35
                                        ; implicit-def: $vgpr29
                                        ; implicit-def: $vgpr33
                                        ; implicit-def: $vgpr31
                                        ; implicit-def: $vgpr32
                                        ; implicit-def: $vgpr38
                                        ; implicit-def: $vgpr41
                                        ; implicit-def: $vgpr42
                                        ; implicit-def: $vgpr44
                                        ; implicit-def: $vgpr46
                                        ; implicit-def: $vgpr49
                                        ; implicit-def: $vgpr50
                                        ; implicit-def: $vgpr51
                                        ; implicit-def: $vgpr30
                                        ; implicit-def: $vgpr34
                                        ; implicit-def: $vgpr36
	s_load_b64 s[4:5], s[0:1], 0x78
	s_add_i32 s3, s44, 0xd00
	s_cbranch_execz .LBB869_86
.LBB869_33:
	v_dual_mov_b32 v30, 0 :: v_dual_mov_b32 v29, 0
	s_mov_b32 s2, 0
	s_mov_b32 s1, exec_lo
	v_cmpx_gt_u32_e64 s3, v28
	s_cbranch_execz .LBB869_37
; %bb.34:
	v_add_nc_u32_e32 v1, s17, v16
	v_add_nc_u32_e32 v2, s19, v16
	s_mov_b32 s6, exec_lo
	s_delay_alu instid0(VALU_DEP_2) | instskip(NEXT) | instid1(VALU_DEP_2)
	v_mul_lo_u32 v1, v1, s16
	v_mul_lo_u32 v2, v2, s18
	s_delay_alu instid0(VALU_DEP_1) | instskip(NEXT) | instid1(VALU_DEP_1)
	v_sub_nc_u32_e32 v1, v1, v2
	v_cmp_lt_u32_e32 vcc_lo, s20, v1
	v_cmpx_ge_u32_e64 s20, v1
; %bb.35:
	v_add_nc_u32_e32 v1, s22, v16
	v_add_nc_u32_e32 v2, s40, v16
	s_delay_alu instid0(VALU_DEP_2) | instskip(NEXT) | instid1(VALU_DEP_2)
	v_mul_lo_u32 v1, v1, s21
	v_mul_lo_u32 v2, v2, s23
	s_delay_alu instid0(VALU_DEP_1) | instskip(NEXT) | instid1(VALU_DEP_1)
	v_sub_nc_u32_e32 v1, v1, v2
	v_cmp_lt_u32_e64 s0, s41, v1
	s_delay_alu instid0(VALU_DEP_1)
	s_and_b32 s2, s0, exec_lo
; %bb.36:
	s_or_b32 exec_lo, exec_lo, s6
	v_cndmask_b32_e64 v29, 0, 1, vcc_lo
	v_cndmask_b32_e64 v30, 0, 1, s2
.LBB869_37:
	s_or_b32 exec_lo, exec_lo, s1
	v_dual_mov_b32 v34, 0 :: v_dual_add_nc_u32 v1, 1, v28
	v_mov_b32_e32 v33, 0
	s_mov_b32 s2, 0
	s_mov_b32 s1, exec_lo
	s_delay_alu instid0(VALU_DEP_2)
	v_cmpx_gt_u32_e64 s3, v1
	s_cbranch_execz .LBB869_41
; %bb.38:
	v_add_nc_u32_e32 v1, s17, v17
	v_add_nc_u32_e32 v2, s19, v17
	s_mov_b32 s6, exec_lo
	s_delay_alu instid0(VALU_DEP_2) | instskip(NEXT) | instid1(VALU_DEP_2)
	v_mul_lo_u32 v1, v1, s16
	v_mul_lo_u32 v2, v2, s18
	s_delay_alu instid0(VALU_DEP_1) | instskip(NEXT) | instid1(VALU_DEP_1)
	v_sub_nc_u32_e32 v1, v1, v2
	v_cmp_lt_u32_e32 vcc_lo, s20, v1
	v_cmpx_ge_u32_e64 s20, v1
; %bb.39:
	v_add_nc_u32_e32 v1, s22, v17
	v_add_nc_u32_e32 v2, s40, v17
	s_delay_alu instid0(VALU_DEP_2) | instskip(NEXT) | instid1(VALU_DEP_2)
	v_mul_lo_u32 v1, v1, s21
	v_mul_lo_u32 v2, v2, s23
	s_delay_alu instid0(VALU_DEP_1) | instskip(NEXT) | instid1(VALU_DEP_1)
	v_sub_nc_u32_e32 v1, v1, v2
	v_cmp_lt_u32_e64 s0, s41, v1
	s_delay_alu instid0(VALU_DEP_1)
	s_and_b32 s2, s0, exec_lo
; %bb.40:
	s_or_b32 exec_lo, exec_lo, s6
	v_cndmask_b32_e64 v33, 0, 1, vcc_lo
	v_cndmask_b32_e64 v34, 0, 1, s2
.LBB869_41:
	s_or_b32 exec_lo, exec_lo, s1
	v_dual_mov_b32 v36, 0 :: v_dual_add_nc_u32 v1, 2, v28
	v_mov_b32_e32 v31, 0
	s_mov_b32 s2, 0
	s_mov_b32 s1, exec_lo
	s_delay_alu instid0(VALU_DEP_2)
	;; [unrolled: 35-line block ×4, first 2 shown]
	v_cmpx_gt_u32_e64 s3, v1
	s_cbranch_execz .LBB869_53
; %bb.50:
	v_add_nc_u32_e32 v1, s17, v12
	v_add_nc_u32_e32 v2, s19, v12
	s_mov_b32 s6, exec_lo
	s_delay_alu instid0(VALU_DEP_2) | instskip(NEXT) | instid1(VALU_DEP_2)
	v_mul_lo_u32 v1, v1, s16
	v_mul_lo_u32 v2, v2, s18
	s_delay_alu instid0(VALU_DEP_1) | instskip(NEXT) | instid1(VALU_DEP_1)
	v_sub_nc_u32_e32 v1, v1, v2
	v_cmp_lt_u32_e32 vcc_lo, s20, v1
	v_cmpx_ge_u32_e64 s20, v1
; %bb.51:
	v_add_nc_u32_e32 v1, s22, v12
	v_add_nc_u32_e32 v2, s40, v12
	s_delay_alu instid0(VALU_DEP_2) | instskip(NEXT) | instid1(VALU_DEP_2)
	v_mul_lo_u32 v1, v1, s21
	v_mul_lo_u32 v2, v2, s23
	s_delay_alu instid0(VALU_DEP_1) | instskip(NEXT) | instid1(VALU_DEP_1)
	v_sub_nc_u32_e32 v1, v1, v2
	v_cmp_lt_u32_e64 s0, s41, v1
	s_delay_alu instid0(VALU_DEP_1)
	s_and_b32 s2, s0, exec_lo
; %bb.52:
	s_or_b32 exec_lo, exec_lo, s6
	v_cndmask_b32_e64 v38, 0, 1, vcc_lo
	v_cndmask_b32_e64 v37, 0, 1, s2
.LBB869_53:
	s_or_b32 exec_lo, exec_lo, s1
	v_add_nc_u32_e32 v1, 5, v28
	v_mov_b32_e32 v39, 0
	v_mov_b32_e32 v41, 0
	s_mov_b32 s2, 0
	s_mov_b32 s1, exec_lo
	v_cmpx_gt_u32_e64 s3, v1
	s_cbranch_execz .LBB869_57
; %bb.54:
	v_add_nc_u32_e32 v1, s17, v13
	v_add_nc_u32_e32 v2, s19, v13
	s_mov_b32 s6, exec_lo
	s_delay_alu instid0(VALU_DEP_2) | instskip(NEXT) | instid1(VALU_DEP_2)
	v_mul_lo_u32 v1, v1, s16
	v_mul_lo_u32 v2, v2, s18
	s_delay_alu instid0(VALU_DEP_1) | instskip(NEXT) | instid1(VALU_DEP_1)
	v_sub_nc_u32_e32 v1, v1, v2
	v_cmp_lt_u32_e32 vcc_lo, s20, v1
	v_cmpx_ge_u32_e64 s20, v1
; %bb.55:
	v_add_nc_u32_e32 v1, s22, v13
	v_add_nc_u32_e32 v2, s40, v13
	s_delay_alu instid0(VALU_DEP_2) | instskip(NEXT) | instid1(VALU_DEP_2)
	v_mul_lo_u32 v1, v1, s21
	v_mul_lo_u32 v2, v2, s23
	s_delay_alu instid0(VALU_DEP_1) | instskip(NEXT) | instid1(VALU_DEP_1)
	v_sub_nc_u32_e32 v1, v1, v2
	v_cmp_lt_u32_e64 s0, s41, v1
	s_delay_alu instid0(VALU_DEP_1)
	s_and_b32 s2, s0, exec_lo
; %bb.56:
	s_or_b32 exec_lo, exec_lo, s6
	v_cndmask_b32_e64 v41, 0, 1, vcc_lo
	v_cndmask_b32_e64 v39, 0, 1, s2
.LBB869_57:
	s_or_b32 exec_lo, exec_lo, s1
	v_dual_mov_b32 v40, 0 :: v_dual_add_nc_u32 v1, 6, v28
	v_mov_b32_e32 v42, 0
	s_mov_b32 s2, 0
	s_mov_b32 s1, exec_lo
	s_delay_alu instid0(VALU_DEP_2)
	v_cmpx_gt_u32_e64 s3, v1
	s_cbranch_execz .LBB869_61
; %bb.58:
	v_add_nc_u32_e32 v1, s17, v10
	v_add_nc_u32_e32 v2, s19, v10
	s_mov_b32 s6, exec_lo
	s_delay_alu instid0(VALU_DEP_2) | instskip(NEXT) | instid1(VALU_DEP_2)
	v_mul_lo_u32 v1, v1, s16
	v_mul_lo_u32 v2, v2, s18
	s_delay_alu instid0(VALU_DEP_1) | instskip(NEXT) | instid1(VALU_DEP_1)
	v_sub_nc_u32_e32 v1, v1, v2
	v_cmp_lt_u32_e32 vcc_lo, s20, v1
	v_cmpx_ge_u32_e64 s20, v1
; %bb.59:
	v_add_nc_u32_e32 v1, s22, v10
	v_add_nc_u32_e32 v2, s40, v10
	s_delay_alu instid0(VALU_DEP_2) | instskip(NEXT) | instid1(VALU_DEP_2)
	v_mul_lo_u32 v1, v1, s21
	v_mul_lo_u32 v2, v2, s23
	s_delay_alu instid0(VALU_DEP_1) | instskip(NEXT) | instid1(VALU_DEP_1)
	v_sub_nc_u32_e32 v1, v1, v2
	v_cmp_lt_u32_e64 s0, s41, v1
	s_delay_alu instid0(VALU_DEP_1)
	s_and_b32 s2, s0, exec_lo
; %bb.60:
	s_or_b32 exec_lo, exec_lo, s6
	v_cndmask_b32_e64 v42, 0, 1, vcc_lo
	v_cndmask_b32_e64 v40, 0, 1, s2
.LBB869_61:
	s_or_b32 exec_lo, exec_lo, s1
	v_dual_mov_b32 v44, 0 :: v_dual_add_nc_u32 v1, 7, v28
	v_mov_b32_e32 v43, 0
	s_mov_b32 s2, 0
	s_mov_b32 s1, exec_lo
	s_delay_alu instid0(VALU_DEP_2)
	;; [unrolled: 35-line block ×3, first 2 shown]
	v_cmpx_gt_u32_e64 s3, v1
	s_cbranch_execz .LBB869_69
; %bb.66:
	v_add_nc_u32_e32 v1, s17, v8
	v_add_nc_u32_e32 v2, s19, v8
	s_mov_b32 s6, exec_lo
	s_delay_alu instid0(VALU_DEP_2) | instskip(NEXT) | instid1(VALU_DEP_2)
	v_mul_lo_u32 v1, v1, s16
	v_mul_lo_u32 v2, v2, s18
	s_delay_alu instid0(VALU_DEP_1) | instskip(NEXT) | instid1(VALU_DEP_1)
	v_sub_nc_u32_e32 v1, v1, v2
	v_cmp_lt_u32_e32 vcc_lo, s20, v1
	v_cmpx_ge_u32_e64 s20, v1
; %bb.67:
	v_add_nc_u32_e32 v1, s22, v8
	v_add_nc_u32_e32 v2, s40, v8
	s_delay_alu instid0(VALU_DEP_2) | instskip(NEXT) | instid1(VALU_DEP_2)
	v_mul_lo_u32 v1, v1, s21
	v_mul_lo_u32 v2, v2, s23
	s_delay_alu instid0(VALU_DEP_1) | instskip(NEXT) | instid1(VALU_DEP_1)
	v_sub_nc_u32_e32 v1, v1, v2
	v_cmp_lt_u32_e64 s0, s41, v1
	s_delay_alu instid0(VALU_DEP_1)
	s_and_b32 s2, s0, exec_lo
; %bb.68:
	s_or_b32 exec_lo, exec_lo, s6
	v_cndmask_b32_e64 v46, 0, 1, vcc_lo
	v_cndmask_b32_e64 v45, 0, 1, s2
.LBB869_69:
	s_or_b32 exec_lo, exec_lo, s1
	v_add_nc_u32_e32 v1, 9, v28
	v_mov_b32_e32 v47, 0
	v_mov_b32_e32 v49, 0
	s_mov_b32 s2, 0
	s_mov_b32 s1, exec_lo
	v_cmpx_gt_u32_e64 s3, v1
	s_cbranch_execz .LBB869_73
; %bb.70:
	v_add_nc_u32_e32 v1, s17, v9
	v_add_nc_u32_e32 v2, s19, v9
	s_mov_b32 s6, exec_lo
	s_delay_alu instid0(VALU_DEP_2) | instskip(NEXT) | instid1(VALU_DEP_2)
	v_mul_lo_u32 v1, v1, s16
	v_mul_lo_u32 v2, v2, s18
	s_delay_alu instid0(VALU_DEP_1) | instskip(NEXT) | instid1(VALU_DEP_1)
	v_sub_nc_u32_e32 v1, v1, v2
	v_cmp_lt_u32_e32 vcc_lo, s20, v1
	v_cmpx_ge_u32_e64 s20, v1
; %bb.71:
	v_add_nc_u32_e32 v1, s22, v9
	v_add_nc_u32_e32 v2, s40, v9
	s_delay_alu instid0(VALU_DEP_2) | instskip(NEXT) | instid1(VALU_DEP_2)
	v_mul_lo_u32 v1, v1, s21
	v_mul_lo_u32 v2, v2, s23
	s_delay_alu instid0(VALU_DEP_1) | instskip(NEXT) | instid1(VALU_DEP_1)
	v_sub_nc_u32_e32 v1, v1, v2
	v_cmp_lt_u32_e64 s0, s41, v1
	s_delay_alu instid0(VALU_DEP_1)
	s_and_b32 s2, s0, exec_lo
; %bb.72:
	s_or_b32 exec_lo, exec_lo, s6
	v_cndmask_b32_e64 v49, 0, 1, vcc_lo
	v_cndmask_b32_e64 v47, 0, 1, s2
.LBB869_73:
	s_or_b32 exec_lo, exec_lo, s1
	v_dual_mov_b32 v48, 0 :: v_dual_add_nc_u32 v1, 10, v28
	v_mov_b32_e32 v50, 0
	s_mov_b32 s2, 0
	s_mov_b32 s1, exec_lo
	s_delay_alu instid0(VALU_DEP_2)
	v_cmpx_gt_u32_e64 s3, v1
	s_cbranch_execz .LBB869_77
; %bb.74:
	v_add_nc_u32_e32 v1, s17, v6
	v_add_nc_u32_e32 v2, s19, v6
	s_mov_b32 s6, exec_lo
	s_delay_alu instid0(VALU_DEP_2) | instskip(NEXT) | instid1(VALU_DEP_2)
	v_mul_lo_u32 v1, v1, s16
	v_mul_lo_u32 v2, v2, s18
	s_delay_alu instid0(VALU_DEP_1) | instskip(NEXT) | instid1(VALU_DEP_1)
	v_sub_nc_u32_e32 v1, v1, v2
	v_cmp_lt_u32_e32 vcc_lo, s20, v1
	v_cmpx_ge_u32_e64 s20, v1
; %bb.75:
	v_add_nc_u32_e32 v1, s22, v6
	v_add_nc_u32_e32 v2, s40, v6
	s_delay_alu instid0(VALU_DEP_2) | instskip(NEXT) | instid1(VALU_DEP_2)
	v_mul_lo_u32 v1, v1, s21
	v_mul_lo_u32 v2, v2, s23
	s_delay_alu instid0(VALU_DEP_1) | instskip(NEXT) | instid1(VALU_DEP_1)
	v_sub_nc_u32_e32 v1, v1, v2
	v_cmp_lt_u32_e64 s0, s41, v1
	s_delay_alu instid0(VALU_DEP_1)
	s_and_b32 s2, s0, exec_lo
; %bb.76:
	s_or_b32 exec_lo, exec_lo, s6
	v_cndmask_b32_e64 v50, 0, 1, vcc_lo
	v_cndmask_b32_e64 v48, 0, 1, s2
.LBB869_77:
	s_or_b32 exec_lo, exec_lo, s1
	v_dual_mov_b32 v52, 0 :: v_dual_add_nc_u32 v1, 11, v28
	v_mov_b32_e32 v51, 0
	s_mov_b32 s2, 0
	s_mov_b32 s1, exec_lo
	s_delay_alu instid0(VALU_DEP_2)
	v_cmpx_gt_u32_e64 s3, v1
	s_cbranch_execz .LBB869_81
; %bb.78:
	v_add_nc_u32_e32 v1, s17, v7
	v_add_nc_u32_e32 v2, s19, v7
	s_mov_b32 s6, exec_lo
	s_delay_alu instid0(VALU_DEP_2) | instskip(NEXT) | instid1(VALU_DEP_2)
	v_mul_lo_u32 v1, v1, s16
	v_mul_lo_u32 v2, v2, s18
	s_delay_alu instid0(VALU_DEP_1) | instskip(NEXT) | instid1(VALU_DEP_1)
	v_sub_nc_u32_e32 v1, v1, v2
	v_cmp_lt_u32_e32 vcc_lo, s20, v1
	v_cmpx_ge_u32_e64 s20, v1
; %bb.79:
	v_add_nc_u32_e32 v1, s22, v7
	v_add_nc_u32_e32 v2, s40, v7
	s_delay_alu instid0(VALU_DEP_2) | instskip(NEXT) | instid1(VALU_DEP_2)
	v_mul_lo_u32 v1, v1, s21
	v_mul_lo_u32 v2, v2, s23
	s_delay_alu instid0(VALU_DEP_1) | instskip(NEXT) | instid1(VALU_DEP_1)
	v_sub_nc_u32_e32 v1, v1, v2
	v_cmp_lt_u32_e64 s0, s41, v1
	s_delay_alu instid0(VALU_DEP_1)
	s_and_b32 s2, s0, exec_lo
; %bb.80:
	s_or_b32 exec_lo, exec_lo, s6
	v_cndmask_b32_e64 v51, 0, 1, vcc_lo
	v_cndmask_b32_e64 v52, 0, 1, s2
.LBB869_81:
	s_or_b32 exec_lo, exec_lo, s1
	v_add_nc_u32_e32 v1, 12, v28
	s_mov_b32 s42, 0
	s_mov_b32 s43, 0
	s_mov_b32 s0, exec_lo
	s_delay_alu instid0(VALU_DEP_1)
	v_cmpx_gt_u32_e64 s3, v1
	s_cbranch_execz .LBB869_85
; %bb.82:
	v_add_nc_u32_e32 v1, s17, v27
	v_add_nc_u32_e32 v2, s19, v27
	s_mov_b32 s2, -1
	s_mov_b32 s6, 0
	s_mov_b32 s1, exec_lo
	v_mul_lo_u32 v1, v1, s16
	v_mul_lo_u32 v2, v2, s18
	s_delay_alu instid0(VALU_DEP_1) | instskip(NEXT) | instid1(VALU_DEP_1)
	v_sub_nc_u32_e32 v1, v1, v2
	v_cmpx_ge_u32_e64 s20, v1
; %bb.83:
	v_add_nc_u32_e32 v1, s22, v27
	v_add_nc_u32_e32 v2, s40, v27
	s_xor_b32 s2, exec_lo, -1
	s_delay_alu instid0(VALU_DEP_2) | instskip(NEXT) | instid1(VALU_DEP_2)
	v_mul_lo_u32 v1, v1, s21
	v_mul_lo_u32 v2, v2, s23
	s_delay_alu instid0(VALU_DEP_1) | instskip(NEXT) | instid1(VALU_DEP_1)
	v_sub_nc_u32_e32 v1, v1, v2
	v_cmp_lt_u32_e32 vcc_lo, s41, v1
	s_and_b32 s6, vcc_lo, exec_lo
; %bb.84:
	s_or_b32 exec_lo, exec_lo, s1
	s_delay_alu instid0(SALU_CYCLE_1)
	s_and_b32 s43, s6, exec_lo
	s_and_b32 s42, s2, exec_lo
.LBB869_85:
	s_or_b32 exec_lo, exec_lo, s0
.LBB869_86:
	v_and_b32_e32 v75, 0xff, v29
	v_and_b32_e32 v76, 0xff, v30
	;; [unrolled: 1-line block ×10, first 2 shown]
	v_add3_u32 v1, v71, v73, v75
	v_add3_u32 v2, v72, v74, v76
	v_and_b32_e32 v65, 0xff, v41
	v_and_b32_e32 v66, 0xff, v39
	v_and_b32_e32 v61, 0xff, v42
	v_and_b32_e32 v62, 0xff, v40
	v_add3_u32 v1, v1, v69, v67
	v_add3_u32 v2, v2, v70, v68
	v_and_b32_e32 v63, 0xff, v44
	v_and_b32_e32 v64, 0xff, v43
	v_and_b32_e32 v59, 0xff, v46
	v_and_b32_e32 v60, 0xff, v45
	;; [unrolled: 6-line block ×3, first 2 shown]
	v_add3_u32 v1, v1, v63, v59
	v_add3_u32 v2, v2, v64, v60
	v_mbcnt_lo_u32_b32 v77, -1, 0
	v_and_b32_e32 v53, 0xff, v51
	v_and_b32_e32 v54, 0xff, v52
	v_cndmask_b32_e64 v3, 0, 1, s43
	v_add3_u32 v1, v1, v57, v55
	v_cndmask_b32_e64 v4, 0, 1, s42
	v_add3_u32 v2, v2, v58, v56
	v_and_b32_e32 v81, 15, v77
	v_and_b32_e32 v80, 16, v77
	v_lshrrev_b32_e32 v78, 5, v0
	v_add3_u32 v82, v1, v53, v4
	v_add3_u32 v83, v2, v54, v3
	v_cmp_eq_u32_e64 s1, 0, v81
	v_cmp_lt_u32_e64 s0, 1, v81
	v_cmp_lt_u32_e64 s2, 3, v81
	v_cmp_lt_u32_e32 vcc_lo, 7, v81
	v_or_b32_e32 v79, 31, v0
	s_cmp_lg_u32 s15, 0
	s_mov_b32 s6, -1
	s_cbranch_scc0 .LBB869_119
; %bb.87:
	v_mov_b32_dpp v1, v83 row_shr:1 row_mask:0xf bank_mask:0xf
	v_mov_b32_dpp v2, v82 row_shr:1 row_mask:0xf bank_mask:0xf
	s_delay_alu instid0(VALU_DEP_2) | instskip(NEXT) | instid1(VALU_DEP_1)
	v_add_nc_u32_e32 v1, v1, v83
	v_cndmask_b32_e64 v1, v1, v83, s1
	s_delay_alu instid0(VALU_DEP_1) | instskip(NEXT) | instid1(VALU_DEP_1)
	v_mov_b32_dpp v3, v1 row_shr:2 row_mask:0xf bank_mask:0xf
	v_add_nc_u32_e32 v3, v1, v3
	s_delay_alu instid0(VALU_DEP_1) | instskip(NEXT) | instid1(VALU_DEP_1)
	v_cndmask_b32_e64 v1, v1, v3, s0
	v_mov_b32_dpp v3, v1 row_shr:4 row_mask:0xf bank_mask:0xf
	s_delay_alu instid0(VALU_DEP_1) | instskip(NEXT) | instid1(VALU_DEP_1)
	v_add_nc_u32_e32 v3, v1, v3
	v_cndmask_b32_e64 v1, v1, v3, s2
	s_delay_alu instid0(VALU_DEP_1) | instskip(NEXT) | instid1(VALU_DEP_1)
	v_mov_b32_dpp v3, v1 row_shr:8 row_mask:0xf bank_mask:0xf
	v_add_nc_u32_e32 v3, v1, v3
	s_delay_alu instid0(VALU_DEP_1) | instskip(NEXT) | instid1(VALU_DEP_1)
	v_dual_cndmask_b32 v1, v1, v3 :: v_dual_add_nc_u32 v2, v2, v82
	v_cndmask_b32_e64 v2, v2, v82, s1
	s_delay_alu instid0(VALU_DEP_1) | instskip(NEXT) | instid1(VALU_DEP_1)
	v_mov_b32_dpp v4, v2 row_shr:2 row_mask:0xf bank_mask:0xf
	v_add_nc_u32_e32 v4, v2, v4
	s_delay_alu instid0(VALU_DEP_1) | instskip(NEXT) | instid1(VALU_DEP_1)
	v_cndmask_b32_e64 v2, v2, v4, s0
	v_mov_b32_dpp v4, v2 row_shr:4 row_mask:0xf bank_mask:0xf
	s_delay_alu instid0(VALU_DEP_1) | instskip(NEXT) | instid1(VALU_DEP_1)
	v_add_nc_u32_e32 v4, v2, v4
	v_cndmask_b32_e64 v2, v2, v4, s2
	s_mov_b32 s2, exec_lo
	s_delay_alu instid0(VALU_DEP_1) | instskip(NEXT) | instid1(VALU_DEP_1)
	v_mov_b32_dpp v4, v2 row_shr:8 row_mask:0xf bank_mask:0xf
	v_add_nc_u32_e32 v4, v2, v4
	s_delay_alu instid0(VALU_DEP_1)
	v_cndmask_b32_e32 v3, v2, v4, vcc_lo
	ds_swizzle_b32 v2, v1 offset:swizzle(BROADCAST,32,15)
	v_cmp_eq_u32_e32 vcc_lo, 0, v80
	s_waitcnt lgkmcnt(0)
	v_add_nc_u32_e32 v2, v1, v2
	ds_swizzle_b32 v4, v3 offset:swizzle(BROADCAST,32,15)
	v_cndmask_b32_e32 v2, v2, v1, vcc_lo
	s_waitcnt lgkmcnt(0)
	v_add_nc_u32_e32 v4, v3, v4
	s_delay_alu instid0(VALU_DEP_1)
	v_cndmask_b32_e32 v1, v4, v3, vcc_lo
	v_cmpx_eq_u32_e64 v79, v0
	s_cbranch_execz .LBB869_89
; %bb.88:
	v_lshlrev_b32_e32 v3, 3, v78
	ds_store_b64 v3, v[1:2]
.LBB869_89:
	s_or_b32 exec_lo, exec_lo, s2
	s_delay_alu instid0(SALU_CYCLE_1)
	s_mov_b32 s2, exec_lo
	s_waitcnt lgkmcnt(0)
	s_barrier
	buffer_gl0_inv
	v_cmpx_gt_u32_e32 8, v0
	s_cbranch_execz .LBB869_91
; %bb.90:
	v_lshlrev_b32_e32 v5, 3, v0
	ds_load_b64 v[3:4], v5
	s_waitcnt lgkmcnt(0)
	v_mov_b32_dpp v18, v3 row_shr:1 row_mask:0xf bank_mask:0xf
	v_mov_b32_dpp v19, v4 row_shr:1 row_mask:0xf bank_mask:0xf
	s_delay_alu instid0(VALU_DEP_2) | instskip(SKIP_1) | instid1(VALU_DEP_3)
	v_add_nc_u32_e32 v18, v18, v3
	v_and_b32_e32 v20, 7, v77
	v_add_nc_u32_e32 v19, v19, v4
	s_delay_alu instid0(VALU_DEP_2) | instskip(NEXT) | instid1(VALU_DEP_2)
	v_cmp_eq_u32_e32 vcc_lo, 0, v20
	v_dual_cndmask_b32 v4, v19, v4 :: v_dual_cndmask_b32 v3, v18, v3
	v_cmp_lt_u32_e32 vcc_lo, 1, v20
	s_delay_alu instid0(VALU_DEP_2) | instskip(NEXT) | instid1(VALU_DEP_3)
	v_mov_b32_dpp v19, v4 row_shr:2 row_mask:0xf bank_mask:0xf
	v_mov_b32_dpp v18, v3 row_shr:2 row_mask:0xf bank_mask:0xf
	s_delay_alu instid0(VALU_DEP_2) | instskip(NEXT) | instid1(VALU_DEP_2)
	v_add_nc_u32_e32 v19, v4, v19
	v_add_nc_u32_e32 v18, v3, v18
	s_delay_alu instid0(VALU_DEP_1) | instskip(SKIP_1) | instid1(VALU_DEP_2)
	v_dual_cndmask_b32 v4, v4, v19 :: v_dual_cndmask_b32 v3, v3, v18
	v_cmp_lt_u32_e32 vcc_lo, 3, v20
	v_mov_b32_dpp v19, v4 row_shr:4 row_mask:0xf bank_mask:0xf
	s_delay_alu instid0(VALU_DEP_3) | instskip(NEXT) | instid1(VALU_DEP_1)
	v_mov_b32_dpp v18, v3 row_shr:4 row_mask:0xf bank_mask:0xf
	v_dual_cndmask_b32 v19, 0, v19 :: v_dual_cndmask_b32 v18, 0, v18
	s_delay_alu instid0(VALU_DEP_1) | instskip(NEXT) | instid1(VALU_DEP_2)
	v_add_nc_u32_e32 v4, v19, v4
	v_add_nc_u32_e32 v3, v18, v3
	ds_store_b64 v5, v[3:4]
.LBB869_91:
	s_or_b32 exec_lo, exec_lo, s2
	v_cmp_gt_u32_e32 vcc_lo, 32, v0
	v_cmp_lt_u32_e64 s2, 31, v0
	s_waitcnt lgkmcnt(0)
	s_barrier
	buffer_gl0_inv
                                        ; implicit-def: $vgpr19
	s_and_saveexec_b32 s6, s2
	s_delay_alu instid0(SALU_CYCLE_1)
	s_xor_b32 s2, exec_lo, s6
	s_cbranch_execz .LBB869_93
; %bb.92:
	v_lshl_add_u32 v3, v78, 3, -8
	ds_load_b64 v[18:19], v3
	s_waitcnt lgkmcnt(0)
	v_add_nc_u32_e32 v2, v19, v2
	v_add_nc_u32_e32 v1, v18, v1
.LBB869_93:
	s_and_not1_saveexec_b32 s2, s2
; %bb.94:
                                        ; implicit-def: $vgpr18
; %bb.95:
	s_delay_alu instid0(SALU_CYCLE_1) | instskip(SKIP_1) | instid1(VALU_DEP_1)
	s_or_b32 exec_lo, exec_lo, s2
	v_add_nc_u32_e32 v3, -1, v77
	v_cmp_gt_i32_e64 s2, 0, v3
	s_delay_alu instid0(VALU_DEP_1) | instskip(SKIP_1) | instid1(VALU_DEP_2)
	v_cndmask_b32_e64 v3, v3, v77, s2
	v_cmp_eq_u32_e64 s2, 0, v77
	v_lshlrev_b32_e32 v3, 2, v3
	ds_bpermute_b32 v84, v3, v1
	ds_bpermute_b32 v85, v3, v2
	s_and_saveexec_b32 s6, vcc_lo
	s_cbranch_execz .LBB869_118
; %bb.96:
	v_mov_b32_e32 v4, 0
	ds_load_b64 v[1:2], v4 offset:56
	s_waitcnt lgkmcnt(0)
	v_readfirstlane_b32 s7, v2
	s_and_saveexec_b32 s8, s2
	s_cbranch_execz .LBB869_98
; %bb.97:
	s_add_i32 s10, s15, 32
	s_mov_b32 s11, 0
	v_mov_b32_e32 v3, 1
	s_lshl_b64 s[12:13], s[10:11], 4
	s_mov_b32 s16, s11
	s_add_u32 s12, s4, s12
	s_addc_u32 s13, s5, s13
	s_and_b32 s17, s7, 0xff000000
	s_and_b32 s19, s7, 0xff0000
	s_mov_b32 s18, s11
	v_dual_mov_b32 v21, s13 :: v_dual_mov_b32 v20, s12
	s_or_b64 s[16:17], s[18:19], s[16:17]
	s_and_b32 s19, s7, 0xff00
	s_delay_alu instid0(SALU_CYCLE_1) | instskip(SKIP_1) | instid1(SALU_CYCLE_1)
	s_or_b64 s[16:17], s[16:17], s[18:19]
	s_and_b32 s19, s7, 0xff
	s_or_b64 s[10:11], s[16:17], s[18:19]
	s_delay_alu instid0(SALU_CYCLE_1)
	v_mov_b32_e32 v2, s11
	;;#ASMSTART
	global_store_dwordx4 v[20:21], v[1:4] off	
s_waitcnt vmcnt(0)
	;;#ASMEND
.LBB869_98:
	s_or_b32 exec_lo, exec_lo, s8
	v_xad_u32 v20, v77, -1, s15
	s_mov_b32 s9, 0
	s_mov_b32 s8, exec_lo
	s_delay_alu instid0(VALU_DEP_1) | instskip(NEXT) | instid1(VALU_DEP_1)
	v_add_nc_u32_e32 v3, 32, v20
	v_lshlrev_b64 v[2:3], 4, v[3:4]
	s_delay_alu instid0(VALU_DEP_1) | instskip(NEXT) | instid1(VALU_DEP_2)
	v_add_co_u32 v21, vcc_lo, s4, v2
	v_add_co_ci_u32_e32 v22, vcc_lo, s5, v3, vcc_lo
	;;#ASMSTART
	global_load_dwordx4 v[2:5], v[21:22] off glc	
s_waitcnt vmcnt(0)
	;;#ASMEND
	v_and_b32_e32 v5, 0xff, v3
	v_and_b32_e32 v23, 0xff00, v3
	v_or3_b32 v2, v2, 0, 0
	v_and_b32_e32 v24, 0xff000000, v3
	v_and_b32_e32 v3, 0xff0000, v3
	s_delay_alu instid0(VALU_DEP_4) | instskip(SKIP_2) | instid1(VALU_DEP_3)
	v_or3_b32 v5, 0, v5, v23
	v_and_b32_e32 v23, 0xff, v4
	v_or3_b32 v2, v2, 0, 0
	v_or3_b32 v3, v5, v3, v24
	s_delay_alu instid0(VALU_DEP_3)
	v_cmpx_eq_u16_e32 0, v23
	s_cbranch_execz .LBB869_104
; %bb.99:
	s_mov_b32 s10, 1
	.p2align	6
.LBB869_100:                            ; =>This Loop Header: Depth=1
                                        ;     Child Loop BB869_101 Depth 2
	s_delay_alu instid0(SALU_CYCLE_1)
	s_max_u32 s11, s10, 1
.LBB869_101:                            ;   Parent Loop BB869_100 Depth=1
                                        ; =>  This Inner Loop Header: Depth=2
	s_delay_alu instid0(SALU_CYCLE_1)
	s_add_i32 s11, s11, -1
	s_sleep 1
	s_cmp_eq_u32 s11, 0
	s_cbranch_scc0 .LBB869_101
; %bb.102:                              ;   in Loop: Header=BB869_100 Depth=1
	;;#ASMSTART
	global_load_dwordx4 v[2:5], v[21:22] off glc	
s_waitcnt vmcnt(0)
	;;#ASMEND
	v_and_b32_e32 v5, 0xff, v4
	s_cmp_lt_u32 s10, 32
	s_cselect_b32 s11, -1, 0
	s_delay_alu instid0(SALU_CYCLE_1) | instskip(NEXT) | instid1(VALU_DEP_1)
	s_cmp_lg_u32 s11, 0
	v_cmp_ne_u16_e32 vcc_lo, 0, v5
	s_addc_u32 s10, s10, 0
	s_or_b32 s9, vcc_lo, s9
	s_delay_alu instid0(SALU_CYCLE_1)
	s_and_not1_b32 exec_lo, exec_lo, s9
	s_cbranch_execnz .LBB869_100
; %bb.103:
	s_or_b32 exec_lo, exec_lo, s9
.LBB869_104:
	s_delay_alu instid0(SALU_CYCLE_1)
	s_or_b32 exec_lo, exec_lo, s8
	v_cmp_ne_u32_e32 vcc_lo, 31, v77
	v_lshlrev_b32_e64 v87, v77, -1
	v_add_nc_u32_e32 v91, 4, v77
	v_add_nc_u32_e32 v93, 8, v77
	;; [unrolled: 1-line block ×3, first 2 shown]
	v_add_co_ci_u32_e32 v5, vcc_lo, 0, v77, vcc_lo
	s_delay_alu instid0(VALU_DEP_1)
	v_lshlrev_b32_e32 v86, 2, v5
	ds_bpermute_b32 v21, v86, v3
	ds_bpermute_b32 v5, v86, v2
	s_waitcnt lgkmcnt(1)
	v_add_nc_u32_e32 v21, v21, v3
	v_and_b32_e32 v22, 0xff, v4
	s_waitcnt lgkmcnt(0)
	v_add_nc_u32_e32 v5, v5, v2
	s_delay_alu instid0(VALU_DEP_2) | instskip(SKIP_2) | instid1(VALU_DEP_2)
	v_cmp_eq_u16_e32 vcc_lo, 2, v22
	v_and_or_b32 v22, vcc_lo, v87, 0x80000000
	v_cmp_gt_u32_e32 vcc_lo, 30, v77
	v_ctz_i32_b32_e32 v22, v22
	v_cndmask_b32_e64 v23, 0, 1, vcc_lo
	s_delay_alu instid0(VALU_DEP_2) | instskip(NEXT) | instid1(VALU_DEP_2)
	v_cmp_lt_u32_e32 vcc_lo, v77, v22
	v_dual_cndmask_b32 v2, v2, v5 :: v_dual_lshlrev_b32 v23, 1, v23
	s_delay_alu instid0(VALU_DEP_1)
	v_add_lshl_u32 v88, v23, v77, 2
	v_cndmask_b32_e32 v3, v3, v21, vcc_lo
	v_cmp_gt_u32_e32 vcc_lo, 28, v77
	ds_bpermute_b32 v5, v88, v2
	ds_bpermute_b32 v21, v88, v3
	v_cndmask_b32_e64 v23, 0, 1, vcc_lo
	s_waitcnt lgkmcnt(1)
	v_add_nc_u32_e32 v5, v2, v5
	v_add_nc_u32_e32 v89, 2, v77
	s_waitcnt lgkmcnt(0)
	v_add_nc_u32_e32 v21, v3, v21
	s_delay_alu instid0(VALU_DEP_2) | instskip(SKIP_1) | instid1(VALU_DEP_3)
	v_cmp_gt_u32_e32 vcc_lo, v89, v22
	v_dual_cndmask_b32 v2, v5, v2 :: v_dual_lshlrev_b32 v23, 2, v23
	v_cndmask_b32_e32 v3, v21, v3, vcc_lo
	v_cmp_gt_u32_e32 vcc_lo, 24, v77
	s_delay_alu instid0(VALU_DEP_3)
	v_add_lshl_u32 v90, v23, v77, 2
	v_cndmask_b32_e64 v23, 0, 1, vcc_lo
	v_cmp_gt_u32_e32 vcc_lo, v91, v22
	ds_bpermute_b32 v5, v90, v2
	ds_bpermute_b32 v21, v90, v3
	v_lshlrev_b32_e32 v23, 3, v23
	s_delay_alu instid0(VALU_DEP_1) | instskip(SKIP_3) | instid1(VALU_DEP_1)
	v_add_lshl_u32 v92, v23, v77, 2
	s_waitcnt lgkmcnt(1)
	v_add_nc_u32_e32 v5, v2, v5
	s_waitcnt lgkmcnt(0)
	v_dual_cndmask_b32 v2, v5, v2 :: v_dual_add_nc_u32 v21, v3, v21
	s_delay_alu instid0(VALU_DEP_1)
	v_cndmask_b32_e32 v3, v21, v3, vcc_lo
	v_cmp_gt_u32_e32 vcc_lo, 16, v77
	ds_bpermute_b32 v5, v92, v2
	ds_bpermute_b32 v21, v92, v3
	v_cndmask_b32_e64 v23, 0, 1, vcc_lo
	v_cmp_gt_u32_e32 vcc_lo, v93, v22
	s_delay_alu instid0(VALU_DEP_2) | instskip(NEXT) | instid1(VALU_DEP_1)
	v_lshlrev_b32_e32 v23, 4, v23
	v_add_lshl_u32 v94, v23, v77, 2
	s_waitcnt lgkmcnt(1)
	v_add_nc_u32_e32 v5, v2, v5
	s_waitcnt lgkmcnt(0)
	s_delay_alu instid0(VALU_DEP_1) | instskip(NEXT) | instid1(VALU_DEP_1)
	v_dual_cndmask_b32 v2, v5, v2 :: v_dual_add_nc_u32 v21, v3, v21
	v_cndmask_b32_e32 v3, v21, v3, vcc_lo
	v_cmp_le_u32_e32 vcc_lo, v95, v22
	ds_bpermute_b32 v5, v94, v2
	ds_bpermute_b32 v21, v94, v3
	s_waitcnt lgkmcnt(1)
	v_cndmask_b32_e32 v5, 0, v5, vcc_lo
	s_waitcnt lgkmcnt(0)
	s_delay_alu instid0(VALU_DEP_1) | instskip(NEXT) | instid1(VALU_DEP_1)
	v_dual_cndmask_b32 v21, 0, v21 :: v_dual_add_nc_u32 v2, v5, v2
	v_add_nc_u32_e32 v3, v21, v3
	v_mov_b32_e32 v21, 0
	s_branch .LBB869_106
.LBB869_105:                            ;   in Loop: Header=BB869_106 Depth=1
	s_or_b32 exec_lo, exec_lo, s8
	ds_bpermute_b32 v5, v86, v2
	ds_bpermute_b32 v24, v86, v3
	v_subrev_nc_u32_e32 v20, 32, v20
	s_waitcnt lgkmcnt(1)
	v_add_nc_u32_e32 v5, v5, v2
	v_and_b32_e32 v25, 0xff, v4
	s_waitcnt lgkmcnt(0)
	v_add_nc_u32_e32 v24, v24, v3
	s_delay_alu instid0(VALU_DEP_2) | instskip(SKIP_1) | instid1(VALU_DEP_1)
	v_cmp_eq_u16_e32 vcc_lo, 2, v25
	v_and_or_b32 v25, vcc_lo, v87, 0x80000000
	v_ctz_i32_b32_e32 v25, v25
	s_delay_alu instid0(VALU_DEP_1)
	v_cmp_lt_u32_e32 vcc_lo, v77, v25
	v_cndmask_b32_e32 v2, v2, v5, vcc_lo
	ds_bpermute_b32 v5, v88, v2
	s_waitcnt lgkmcnt(0)
	v_add_nc_u32_e32 v5, v2, v5
	v_cndmask_b32_e32 v3, v3, v24, vcc_lo
	v_cmp_gt_u32_e32 vcc_lo, v89, v25
	s_delay_alu instid0(VALU_DEP_3)
	v_cndmask_b32_e32 v2, v5, v2, vcc_lo
	ds_bpermute_b32 v24, v88, v3
	ds_bpermute_b32 v5, v90, v2
	s_waitcnt lgkmcnt(1)
	v_add_nc_u32_e32 v24, v3, v24
	s_waitcnt lgkmcnt(0)
	v_add_nc_u32_e32 v5, v2, v5
	s_delay_alu instid0(VALU_DEP_2) | instskip(SKIP_1) | instid1(VALU_DEP_3)
	v_cndmask_b32_e32 v3, v24, v3, vcc_lo
	v_cmp_gt_u32_e32 vcc_lo, v91, v25
	v_cndmask_b32_e32 v2, v5, v2, vcc_lo
	ds_bpermute_b32 v24, v90, v3
	ds_bpermute_b32 v5, v92, v2
	s_waitcnt lgkmcnt(1)
	v_add_nc_u32_e32 v24, v3, v24
	s_waitcnt lgkmcnt(0)
	v_add_nc_u32_e32 v5, v2, v5
	s_delay_alu instid0(VALU_DEP_2) | instskip(SKIP_1) | instid1(VALU_DEP_3)
	v_cndmask_b32_e32 v3, v24, v3, vcc_lo
	v_cmp_gt_u32_e32 vcc_lo, v93, v25
	v_cndmask_b32_e32 v2, v5, v2, vcc_lo
	ds_bpermute_b32 v24, v92, v3
	ds_bpermute_b32 v5, v94, v2
	s_waitcnt lgkmcnt(1)
	v_add_nc_u32_e32 v24, v3, v24
	s_delay_alu instid0(VALU_DEP_1) | instskip(SKIP_4) | instid1(VALU_DEP_1)
	v_cndmask_b32_e32 v3, v24, v3, vcc_lo
	v_cmp_le_u32_e32 vcc_lo, v95, v25
	ds_bpermute_b32 v24, v94, v3
	s_waitcnt lgkmcnt(1)
	v_cndmask_b32_e32 v5, 0, v5, vcc_lo
	v_add3_u32 v2, v2, v22, v5
	s_waitcnt lgkmcnt(0)
	v_cndmask_b32_e32 v24, 0, v24, vcc_lo
	s_delay_alu instid0(VALU_DEP_1)
	v_add3_u32 v3, v3, v23, v24
.LBB869_106:                            ; =>This Loop Header: Depth=1
                                        ;     Child Loop BB869_109 Depth 2
                                        ;       Child Loop BB869_110 Depth 3
	s_delay_alu instid0(VALU_DEP_1) | instskip(SKIP_1) | instid1(VALU_DEP_2)
	v_dual_mov_b32 v23, v3 :: v_dual_and_b32 v4, 0xff, v4
	v_mov_b32_e32 v22, v2
	v_cmp_ne_u16_e32 vcc_lo, 2, v4
	v_cndmask_b32_e64 v4, 0, 1, vcc_lo
	;;#ASMSTART
	;;#ASMEND
	s_delay_alu instid0(VALU_DEP_1)
	v_cmp_ne_u32_e32 vcc_lo, 0, v4
	s_cmp_lg_u32 vcc_lo, exec_lo
	s_cbranch_scc1 .LBB869_113
; %bb.107:                              ;   in Loop: Header=BB869_106 Depth=1
	v_lshlrev_b64 v[2:3], 4, v[20:21]
	s_mov_b32 s8, exec_lo
	s_delay_alu instid0(VALU_DEP_1) | instskip(NEXT) | instid1(VALU_DEP_2)
	v_add_co_u32 v24, vcc_lo, s4, v2
	v_add_co_ci_u32_e32 v25, vcc_lo, s5, v3, vcc_lo
	;;#ASMSTART
	global_load_dwordx4 v[2:5], v[24:25] off glc	
s_waitcnt vmcnt(0)
	;;#ASMEND
	v_and_b32_e32 v5, 0xff, v3
	v_and_b32_e32 v96, 0xff00, v3
	v_or3_b32 v2, v2, 0, 0
	v_and_b32_e32 v97, 0xff000000, v3
	v_and_b32_e32 v3, 0xff0000, v3
	s_delay_alu instid0(VALU_DEP_4) | instskip(SKIP_2) | instid1(VALU_DEP_3)
	v_or3_b32 v5, 0, v5, v96
	v_and_b32_e32 v96, 0xff, v4
	v_or3_b32 v2, v2, 0, 0
	v_or3_b32 v3, v5, v3, v97
	s_delay_alu instid0(VALU_DEP_3)
	v_cmpx_eq_u16_e32 0, v96
	s_cbranch_execz .LBB869_105
; %bb.108:                              ;   in Loop: Header=BB869_106 Depth=1
	s_mov_b32 s10, 1
	s_mov_b32 s9, 0
	.p2align	6
.LBB869_109:                            ;   Parent Loop BB869_106 Depth=1
                                        ; =>  This Loop Header: Depth=2
                                        ;       Child Loop BB869_110 Depth 3
	s_max_u32 s11, s10, 1
.LBB869_110:                            ;   Parent Loop BB869_106 Depth=1
                                        ;     Parent Loop BB869_109 Depth=2
                                        ; =>    This Inner Loop Header: Depth=3
	s_delay_alu instid0(SALU_CYCLE_1)
	s_add_i32 s11, s11, -1
	s_sleep 1
	s_cmp_eq_u32 s11, 0
	s_cbranch_scc0 .LBB869_110
; %bb.111:                              ;   in Loop: Header=BB869_109 Depth=2
	;;#ASMSTART
	global_load_dwordx4 v[2:5], v[24:25] off glc	
s_waitcnt vmcnt(0)
	;;#ASMEND
	v_and_b32_e32 v5, 0xff, v4
	s_cmp_lt_u32 s10, 32
	s_cselect_b32 s11, -1, 0
	s_delay_alu instid0(SALU_CYCLE_1) | instskip(NEXT) | instid1(VALU_DEP_1)
	s_cmp_lg_u32 s11, 0
	v_cmp_ne_u16_e32 vcc_lo, 0, v5
	s_addc_u32 s10, s10, 0
	s_or_b32 s9, vcc_lo, s9
	s_delay_alu instid0(SALU_CYCLE_1)
	s_and_not1_b32 exec_lo, exec_lo, s9
	s_cbranch_execnz .LBB869_109
; %bb.112:                              ;   in Loop: Header=BB869_106 Depth=1
	s_or_b32 exec_lo, exec_lo, s9
	s_branch .LBB869_105
.LBB869_113:                            ;   in Loop: Header=BB869_106 Depth=1
                                        ; implicit-def: $vgpr4
                                        ; implicit-def: $vgpr2_vgpr3
	s_cbranch_execz .LBB869_106
; %bb.114:
	s_and_saveexec_b32 s8, s2
	s_cbranch_execnz .LBB869_357
; %bb.115:
	s_or_b32 exec_lo, exec_lo, s8
	s_and_saveexec_b32 s8, s2
	s_cbranch_execnz .LBB869_358
.LBB869_116:
	s_or_b32 exec_lo, exec_lo, s8
	v_cmp_eq_u32_e32 vcc_lo, 0, v0
	s_and_b32 exec_lo, exec_lo, vcc_lo
	s_cbranch_execz .LBB869_118
.LBB869_117:
	v_mov_b32_e32 v1, 0
	ds_store_b64 v1, v[22:23] offset:56
.LBB869_118:
	s_or_b32 exec_lo, exec_lo, s6
	v_cmp_eq_u32_e32 vcc_lo, 0, v0
	v_mov_b32_e32 v1, 0
	s_waitcnt lgkmcnt(0)
	s_barrier
	buffer_gl0_inv
	v_add_nc_u32_e64 v3, 0x3400, 0
	ds_load_b64 v[20:21], v1 offset:56
	s_waitcnt lgkmcnt(0)
	s_barrier
	buffer_gl0_inv
	ds_load_2addr_b32 v[1:2], v3 offset1:2
	ds_load_2addr_b32 v[3:4], v3 offset0:4 offset1:6
	v_cndmask_b32_e64 v5, v84, v18, s2
	v_cndmask_b32_e64 v18, v85, v19, s2
	s_delay_alu instid0(VALU_DEP_2) | instskip(NEXT) | instid1(VALU_DEP_1)
	v_add_nc_u32_e32 v19, v20, v5
	v_dual_cndmask_b32 v20, v19, v20 :: v_dual_add_nc_u32 v5, v21, v18
	s_delay_alu instid0(VALU_DEP_1)
	v_cndmask_b32_e32 v5, v5, v21, vcc_lo
	s_branch .LBB869_129
.LBB869_119:
                                        ; implicit-def: $vgpr5
                                        ; implicit-def: $vgpr3
                                        ; implicit-def: $vgpr1
                                        ; implicit-def: $vgpr20_vgpr21
	s_and_b32 vcc_lo, exec_lo, s6
	s_cbranch_vccz .LBB869_129
; %bb.120:
	s_waitcnt lgkmcnt(0)
	v_mov_b32_dpp v2, v83 row_shr:1 row_mask:0xf bank_mask:0xf
	v_cmp_lt_u32_e32 vcc_lo, 3, v81
	v_mov_b32_dpp v1, v82 row_shr:1 row_mask:0xf bank_mask:0xf
	s_delay_alu instid0(VALU_DEP_3) | instskip(NEXT) | instid1(VALU_DEP_1)
	v_add_nc_u32_e32 v2, v2, v83
	v_cndmask_b32_e64 v2, v2, v83, s1
	s_delay_alu instid0(VALU_DEP_1) | instskip(NEXT) | instid1(VALU_DEP_1)
	v_mov_b32_dpp v4, v2 row_shr:2 row_mask:0xf bank_mask:0xf
	v_add_nc_u32_e32 v4, v2, v4
	s_delay_alu instid0(VALU_DEP_1) | instskip(NEXT) | instid1(VALU_DEP_1)
	v_cndmask_b32_e64 v2, v2, v4, s0
	v_mov_b32_dpp v4, v2 row_shr:4 row_mask:0xf bank_mask:0xf
	s_delay_alu instid0(VALU_DEP_1) | instskip(NEXT) | instid1(VALU_DEP_1)
	v_add_nc_u32_e32 v4, v2, v4
	v_dual_cndmask_b32 v2, v2, v4 :: v_dual_add_nc_u32 v1, v1, v82
	s_delay_alu instid0(VALU_DEP_1) | instskip(NEXT) | instid1(VALU_DEP_2)
	v_cndmask_b32_e64 v1, v1, v82, s1
	v_mov_b32_dpp v4, v2 row_shr:8 row_mask:0xf bank_mask:0xf
	s_delay_alu instid0(VALU_DEP_2) | instskip(NEXT) | instid1(VALU_DEP_2)
	v_mov_b32_dpp v3, v1 row_shr:2 row_mask:0xf bank_mask:0xf
	v_add_nc_u32_e32 v4, v2, v4
	s_delay_alu instid0(VALU_DEP_2) | instskip(NEXT) | instid1(VALU_DEP_1)
	v_add_nc_u32_e32 v3, v1, v3
	v_cndmask_b32_e64 v1, v1, v3, s0
	s_mov_b32 s0, exec_lo
	s_delay_alu instid0(VALU_DEP_1) | instskip(NEXT) | instid1(VALU_DEP_1)
	v_mov_b32_dpp v3, v1 row_shr:4 row_mask:0xf bank_mask:0xf
	v_add_nc_u32_e32 v3, v1, v3
	s_delay_alu instid0(VALU_DEP_1) | instskip(SKIP_1) | instid1(VALU_DEP_2)
	v_cndmask_b32_e32 v1, v1, v3, vcc_lo
	v_cmp_lt_u32_e32 vcc_lo, 7, v81
	v_mov_b32_dpp v3, v1 row_shr:8 row_mask:0xf bank_mask:0xf
	s_delay_alu instid0(VALU_DEP_1) | instskip(NEXT) | instid1(VALU_DEP_1)
	v_dual_cndmask_b32 v2, v2, v4 :: v_dual_add_nc_u32 v3, v1, v3
	v_cndmask_b32_e32 v1, v1, v3, vcc_lo
	ds_swizzle_b32 v3, v2 offset:swizzle(BROADCAST,32,15)
	v_cmp_eq_u32_e32 vcc_lo, 0, v80
	ds_swizzle_b32 v4, v1 offset:swizzle(BROADCAST,32,15)
	s_waitcnt lgkmcnt(1)
	v_add_nc_u32_e32 v3, v2, v3
	s_waitcnt lgkmcnt(0)
	v_add_nc_u32_e32 v4, v1, v4
	s_delay_alu instid0(VALU_DEP_1)
	v_dual_cndmask_b32 v2, v3, v2 :: v_dual_cndmask_b32 v1, v4, v1
	v_cmpx_eq_u32_e64 v79, v0
	s_cbranch_execz .LBB869_122
; %bb.121:
	v_lshlrev_b32_e32 v3, 3, v78
	ds_store_b64 v3, v[1:2]
.LBB869_122:
	s_or_b32 exec_lo, exec_lo, s0
	s_delay_alu instid0(SALU_CYCLE_1)
	s_mov_b32 s0, exec_lo
	s_waitcnt lgkmcnt(0)
	s_barrier
	buffer_gl0_inv
	v_cmpx_gt_u32_e32 8, v0
	s_cbranch_execz .LBB869_124
; %bb.123:
	v_lshlrev_b32_e32 v5, 3, v0
	ds_load_b64 v[3:4], v5
	s_waitcnt lgkmcnt(0)
	v_mov_b32_dpp v18, v3 row_shr:1 row_mask:0xf bank_mask:0xf
	v_mov_b32_dpp v19, v4 row_shr:1 row_mask:0xf bank_mask:0xf
	s_delay_alu instid0(VALU_DEP_2) | instskip(SKIP_1) | instid1(VALU_DEP_3)
	v_add_nc_u32_e32 v18, v18, v3
	v_and_b32_e32 v20, 7, v77
	v_add_nc_u32_e32 v19, v19, v4
	s_delay_alu instid0(VALU_DEP_2) | instskip(NEXT) | instid1(VALU_DEP_2)
	v_cmp_eq_u32_e32 vcc_lo, 0, v20
	v_dual_cndmask_b32 v4, v19, v4 :: v_dual_cndmask_b32 v3, v18, v3
	v_cmp_lt_u32_e32 vcc_lo, 1, v20
	s_delay_alu instid0(VALU_DEP_2) | instskip(NEXT) | instid1(VALU_DEP_3)
	v_mov_b32_dpp v19, v4 row_shr:2 row_mask:0xf bank_mask:0xf
	v_mov_b32_dpp v18, v3 row_shr:2 row_mask:0xf bank_mask:0xf
	s_delay_alu instid0(VALU_DEP_2) | instskip(NEXT) | instid1(VALU_DEP_2)
	v_add_nc_u32_e32 v19, v4, v19
	v_add_nc_u32_e32 v18, v3, v18
	s_delay_alu instid0(VALU_DEP_1) | instskip(SKIP_1) | instid1(VALU_DEP_2)
	v_dual_cndmask_b32 v4, v4, v19 :: v_dual_cndmask_b32 v3, v3, v18
	v_cmp_lt_u32_e32 vcc_lo, 3, v20
	v_mov_b32_dpp v19, v4 row_shr:4 row_mask:0xf bank_mask:0xf
	s_delay_alu instid0(VALU_DEP_3) | instskip(NEXT) | instid1(VALU_DEP_1)
	v_mov_b32_dpp v18, v3 row_shr:4 row_mask:0xf bank_mask:0xf
	v_dual_cndmask_b32 v19, 0, v19 :: v_dual_cndmask_b32 v18, 0, v18
	s_delay_alu instid0(VALU_DEP_1) | instskip(NEXT) | instid1(VALU_DEP_2)
	v_add_nc_u32_e32 v4, v19, v4
	v_add_nc_u32_e32 v3, v18, v3
	ds_store_b64 v5, v[3:4]
.LBB869_124:
	s_or_b32 exec_lo, exec_lo, s0
	v_dual_mov_b32 v3, 0 :: v_dual_mov_b32 v18, 0
	v_mov_b32_e32 v19, 0
	s_mov_b32 s0, exec_lo
	s_waitcnt lgkmcnt(0)
	s_barrier
	buffer_gl0_inv
	v_cmpx_lt_u32_e32 31, v0
	s_cbranch_execz .LBB869_126
; %bb.125:
	v_lshl_add_u32 v4, v78, 3, -8
	ds_load_b64 v[18:19], v4
.LBB869_126:
	s_or_b32 exec_lo, exec_lo, s0
	v_add_nc_u32_e32 v4, -1, v77
	s_waitcnt lgkmcnt(0)
	v_add_nc_u32_e32 v20, v19, v2
	v_add_nc_u32_e32 v5, v18, v1
	ds_load_b64 v[1:2], v3 offset:56
	v_cmp_gt_i32_e32 vcc_lo, 0, v4
	v_cndmask_b32_e32 v4, v4, v77, vcc_lo
	v_cmp_eq_u32_e32 vcc_lo, 0, v0
	s_delay_alu instid0(VALU_DEP_2)
	v_lshlrev_b32_e32 v4, 2, v4
	ds_bpermute_b32 v5, v4, v5
	ds_bpermute_b32 v20, v4, v20
	s_waitcnt lgkmcnt(2)
	v_readfirstlane_b32 s1, v2
	s_and_saveexec_b32 s0, vcc_lo
	s_cbranch_execz .LBB869_128
; %bb.127:
	s_mov_b32 s6, 0
	s_add_u32 s4, s4, 0x200
	s_addc_u32 s5, s5, 0
	s_and_b32 s7, s1, 0xff000000
	s_and_b32 s9, s1, 0xff0000
	s_mov_b32 s8, s6
	v_mov_b32_e32 v22, s5
	s_or_b64 s[8:9], s[8:9], s[6:7]
	s_and_b32 s7, s1, 0xff00
	v_dual_mov_b32 v4, 0 :: v_dual_mov_b32 v21, s4
	s_or_b64 s[8:9], s[8:9], s[6:7]
	s_and_b32 s7, s1, 0xff
	v_mov_b32_e32 v3, 2
	s_or_b64 s[6:7], s[8:9], s[6:7]
	s_delay_alu instid0(SALU_CYCLE_1)
	v_mov_b32_e32 v2, s7
	;;#ASMSTART
	global_store_dwordx4 v[21:22], v[1:4] off	
s_waitcnt vmcnt(0)
	;;#ASMEND
.LBB869_128:
	s_or_b32 exec_lo, exec_lo, s0
	v_cmp_eq_u32_e64 s0, 0, v77
	v_dual_mov_b32 v3, 0 :: v_dual_mov_b32 v2, s1
	s_waitcnt lgkmcnt(0)
	s_barrier
	s_delay_alu instid0(VALU_DEP_2)
	v_cndmask_b32_e64 v4, v5, v18, s0
	v_cndmask_b32_e64 v5, v20, v19, s0
	buffer_gl0_inv
	v_cndmask_b32_e64 v20, v4, 0, vcc_lo
	v_cndmask_b32_e64 v5, v5, 0, vcc_lo
	v_mov_b32_e32 v4, 0
.LBB869_129:
	v_and_b32_e32 v30, 1, v30
	v_and_b32_e32 v34, 1, v34
	;; [unrolled: 1-line block ×4, first 2 shown]
	s_waitcnt lgkmcnt(0)
	v_add_co_u32 v18, s0, s28, v3
	v_cmp_eq_u32_e32 vcc_lo, 1, v30
	v_add_nc_u32_e32 v22, v5, v76
	v_sub_nc_u32_e32 v5, v5, v4
	v_add_co_ci_u32_e64 v19, null, s29, 0, s0
	s_mov_b32 s2, -1
	s_delay_alu instid0(VALU_DEP_3) | instskip(SKIP_3) | instid1(VALU_DEP_3)
	v_add_nc_u32_e32 v24, v22, v72
	v_sub_nc_u32_e32 v22, v22, v4
	v_add_nc_u32_e32 v5, v5, v1
	v_sub_co_u32 v72, s0, s30, v1
	v_add_nc_u32_e32 v22, v22, v1
	v_add_nc_u32_e32 v21, v20, v75
	v_sub_nc_u32_e32 v20, v20, v3
	s_delay_alu instid0(VALU_DEP_2)
	v_add_nc_u32_e32 v23, v21, v71
	v_add_nc_u32_e32 v71, v24, v74
	v_lshlrev_b32_e32 v74, 1, v1
	v_sub_nc_u32_e32 v21, v21, v3
	v_add_nc_u32_e32 v75, v20, v5
	v_sub_nc_u32_e32 v24, v24, v4
	s_delay_alu instid0(VALU_DEP_4) | instskip(NEXT) | instid1(VALU_DEP_4)
	v_add3_u32 v28, v74, v2, v28
	v_add_nc_u32_e32 v76, v22, v21
	s_delay_alu instid0(VALU_DEP_3) | instskip(NEXT) | instid1(VALU_DEP_3)
	v_add_nc_u32_e32 v24, v24, v1
	v_sub_nc_u32_e32 v75, v28, v75
	s_delay_alu instid0(VALU_DEP_3) | instskip(NEXT) | instid1(VALU_DEP_1)
	v_sub_nc_u32_e32 v76, v28, v76
	v_dual_cndmask_b32 v5, v75, v5 :: v_dual_add_nc_u32 v30, 1, v76
	v_cmp_eq_u32_e32 vcc_lo, 1, v34
	s_delay_alu instid0(VALU_DEP_2) | instskip(SKIP_1) | instid1(VALU_DEP_4)
	v_cndmask_b32_e32 v22, v30, v22, vcc_lo
	v_cmp_eq_u32_e32 vcc_lo, 1, v29
	v_cndmask_b32_e32 v5, v5, v20, vcc_lo
	v_and_b32_e32 v20, 1, v36
	v_cmp_eq_u32_e32 vcc_lo, 1, v33
	s_delay_alu instid0(VALU_DEP_3) | instskip(SKIP_1) | instid1(VALU_DEP_4)
	v_lshlrev_b32_e32 v5, 2, v5
	v_cndmask_b32_e32 v21, v22, v21, vcc_lo
	v_cmp_eq_u32_e32 vcc_lo, 1, v20
	v_add_nc_u32_e32 v25, v23, v73
	v_sub_nc_u32_e32 v23, v23, v3
	v_and_b32_e32 v22, 1, v31
	v_sub_co_ci_u32_e64 v73, null, s31, 0, s0
	v_and_b32_e32 v31, 1, v32
	s_delay_alu instid0(VALU_DEP_4) | instskip(NEXT) | instid1(VALU_DEP_1)
	v_add_nc_u32_e32 v77, v24, v23
	v_sub_nc_u32_e32 v75, v28, v77
	s_delay_alu instid0(VALU_DEP_1) | instskip(NEXT) | instid1(VALU_DEP_1)
	v_add_nc_u32_e32 v29, 2, v75
	v_cndmask_b32_e32 v20, v29, v24, vcc_lo
	v_sub_nc_u32_e32 v24, v71, v4
	v_cmp_eq_u32_e32 vcc_lo, 1, v22
	v_add_nc_u32_e32 v69, v25, v69
	v_lshlrev_b32_e32 v29, 2, v21
	ds_store_b32 v5, v16
	ds_store_b32 v29, v17
	v_cndmask_b32_e32 v22, v20, v23, vcc_lo
	v_sub_nc_u32_e32 v23, v25, v3
	v_add_nc_u32_e32 v24, v24, v1
	v_add_co_u32 v20, vcc_lo, v72, v4
	s_delay_alu instid0(VALU_DEP_4) | instskip(SKIP_1) | instid1(VALU_DEP_4)
	v_lshlrev_b32_e32 v5, 2, v22
	v_and_b32_e32 v22, 1, v35
	v_add_nc_u32_e32 v25, v23, v24
	v_add_co_ci_u32_e32 v21, vcc_lo, 0, v73, vcc_lo
	ds_store_b32 v5, v14
	v_cmp_eq_u32_e32 vcc_lo, 1, v22
	v_sub_nc_u32_e32 v17, v28, v25
	v_sub_nc_u32_e32 v29, v69, v3
	v_add_nc_u32_e32 v67, v69, v67
	s_delay_alu instid0(VALU_DEP_3) | instskip(NEXT) | instid1(VALU_DEP_2)
	v_add_nc_u32_e32 v17, 3, v17
	v_sub_nc_u32_e32 v30, v67, v3
	s_delay_alu instid0(VALU_DEP_2) | instskip(SKIP_2) | instid1(VALU_DEP_3)
	v_cndmask_b32_e32 v17, v17, v24, vcc_lo
	v_cmp_eq_u32_e32 vcc_lo, 1, v31
	v_and_b32_e32 v24, 1, v39
	v_cndmask_b32_e32 v14, v17, v23, vcc_lo
	v_add_nc_u32_e32 v70, v71, v70
	v_and_b32_e32 v23, 1, v38
	s_delay_alu instid0(VALU_DEP_3) | instskip(NEXT) | instid1(VALU_DEP_3)
	v_lshlrev_b32_e32 v14, 2, v14
	v_add_nc_u32_e32 v68, v70, v68
	v_sub_nc_u32_e32 v16, v70, v4
	ds_store_b32 v14, v15
	v_sub_nc_u32_e32 v25, v68, v4
	v_add_nc_u32_e32 v16, v16, v1
	s_delay_alu instid0(VALU_DEP_2) | instskip(NEXT) | instid1(VALU_DEP_2)
	v_add_nc_u32_e32 v25, v25, v1
	v_add_nc_u32_e32 v32, v29, v16
	s_delay_alu instid0(VALU_DEP_2) | instskip(NEXT) | instid1(VALU_DEP_2)
	v_add_nc_u32_e32 v22, v30, v25
	v_sub_nc_u32_e32 v5, v28, v32
	s_delay_alu instid0(VALU_DEP_2) | instskip(SKIP_1) | instid1(VALU_DEP_3)
	v_sub_nc_u32_e32 v17, v28, v22
	v_and_b32_e32 v22, 1, v37
	v_add_nc_u32_e32 v5, 4, v5
	s_delay_alu instid0(VALU_DEP_3) | instskip(NEXT) | instid1(VALU_DEP_3)
	v_add_nc_u32_e32 v17, 5, v17
	v_cmp_eq_u32_e32 vcc_lo, 1, v22
	s_delay_alu instid0(VALU_DEP_3)
	v_cndmask_b32_e32 v5, v5, v16, vcc_lo
	v_cmp_eq_u32_e32 vcc_lo, 1, v24
	v_and_b32_e32 v16, 1, v41
	v_cndmask_b32_e32 v17, v17, v25, vcc_lo
	v_cmp_eq_u32_e32 vcc_lo, 1, v23
	v_cndmask_b32_e32 v5, v5, v29, vcc_lo
	s_delay_alu instid0(VALU_DEP_4) | instskip(SKIP_1) | instid1(VALU_DEP_3)
	v_cmp_eq_u32_e32 vcc_lo, 1, v16
	v_add_nc_u32_e32 v66, v68, v66
	v_dual_cndmask_b32 v16, v17, v30 :: v_dual_lshlrev_b32 v5, 2, v5
	s_delay_alu instid0(VALU_DEP_2) | instskip(SKIP_1) | instid1(VALU_DEP_3)
	v_sub_nc_u32_e32 v22, v66, v4
	v_add_nc_u32_e32 v62, v66, v62
	v_lshlrev_b32_e32 v16, 2, v16
	ds_store_b32 v5, v12
	ds_store_b32 v16, v13
	v_and_b32_e32 v12, 1, v40
	v_add_nc_u32_e32 v22, v22, v1
	v_add_nc_u32_e32 v64, v62, v64
	v_sub_nc_u32_e32 v17, v62, v4
	v_and_b32_e32 v16, 1, v43
	v_cmp_eq_u32_e32 vcc_lo, 1, v12
	v_add_nc_u32_e32 v65, v67, v65
	v_sub_nc_u32_e32 v15, v64, v4
	v_add_nc_u32_e32 v17, v17, v1
	s_delay_alu instid0(VALU_DEP_3) | instskip(NEXT) | instid1(VALU_DEP_3)
	v_sub_nc_u32_e32 v23, v65, v3
	v_add_nc_u32_e32 v15, v15, v1
	s_delay_alu instid0(VALU_DEP_2) | instskip(NEXT) | instid1(VALU_DEP_1)
	v_add_nc_u32_e32 v24, v23, v22
	v_sub_nc_u32_e32 v14, v28, v24
	v_and_b32_e32 v24, 1, v48
	s_delay_alu instid0(VALU_DEP_2) | instskip(SKIP_1) | instid1(VALU_DEP_2)
	v_add_nc_u32_e32 v13, 6, v14
	v_and_b32_e32 v14, 1, v42
	v_cndmask_b32_e32 v12, v13, v22, vcc_lo
	v_add_nc_u32_e32 v61, v65, v61
	s_delay_alu instid0(VALU_DEP_3) | instskip(SKIP_1) | instid1(VALU_DEP_3)
	v_cmp_eq_u32_e32 vcc_lo, 1, v14
	v_and_b32_e32 v22, 1, v44
	v_sub_nc_u32_e32 v25, v61, v3
	v_add_nc_u32_e32 v63, v61, v63
	v_cndmask_b32_e32 v12, v12, v23, vcc_lo
	v_cmp_eq_u32_e32 vcc_lo, 1, v16
	v_and_b32_e32 v23, 1, v46
	v_add_nc_u32_e32 v5, v25, v17
	v_sub_nc_u32_e32 v13, v63, v3
	v_lshlrev_b32_e32 v12, 2, v12
	v_add_nc_u32_e32 v59, v63, v59
	s_delay_alu instid0(VALU_DEP_4) | instskip(NEXT) | instid1(VALU_DEP_4)
	v_sub_nc_u32_e32 v5, v28, v5
	v_add_nc_u32_e32 v14, v13, v15
	s_delay_alu instid0(VALU_DEP_3) | instskip(NEXT) | instid1(VALU_DEP_3)
	v_add_nc_u32_e32 v57, v59, v57
	v_add_nc_u32_e32 v5, 7, v5
	s_delay_alu instid0(VALU_DEP_3) | instskip(NEXT) | instid1(VALU_DEP_3)
	v_sub_nc_u32_e32 v14, v28, v14
	v_add_nc_u32_e32 v55, v57, v55
	s_delay_alu instid0(VALU_DEP_3)
	v_cndmask_b32_e32 v5, v5, v17, vcc_lo
	v_cmp_eq_u32_e32 vcc_lo, 1, v22
	v_and_b32_e32 v17, 1, v45
	v_add_nc_u32_e32 v14, 8, v14
	v_sub_nc_u32_e32 v22, v59, v3
	v_add_nc_u32_e32 v53, v55, v53
	v_cndmask_b32_e32 v5, v5, v25, vcc_lo
	v_cmp_eq_u32_e32 vcc_lo, 1, v17
	v_sub_nc_u32_e32 v17, v55, v3
	v_and_b32_e32 v25, 1, v52
	s_delay_alu instid0(VALU_DEP_4)
	v_dual_cndmask_b32 v14, v14, v15 :: v_dual_lshlrev_b32 v5, 2, v5
	v_cmp_eq_u32_e32 vcc_lo, 1, v23
	v_add_nc_u32_e32 v60, v64, v60
	ds_store_b32 v12, v10
	ds_store_b32 v5, v11
	v_and_b32_e32 v11, 1, v49
	v_cndmask_b32_e32 v5, v14, v13, vcc_lo
	v_sub_nc_u32_e32 v16, v60, v4
	v_add_nc_u32_e32 v58, v60, v58
	v_and_b32_e32 v13, 1, v47
	s_delay_alu instid0(VALU_DEP_4) | instskip(NEXT) | instid1(VALU_DEP_4)
	v_lshlrev_b32_e32 v5, 2, v5
	v_add_nc_u32_e32 v16, v16, v1
	s_delay_alu instid0(VALU_DEP_4) | instskip(SKIP_2) | instid1(VALU_DEP_4)
	v_add_nc_u32_e32 v56, v58, v56
	v_sub_nc_u32_e32 v12, v58, v4
	v_cmp_eq_u32_e32 vcc_lo, 1, v13
	v_add_nc_u32_e32 v15, v22, v16
	s_delay_alu instid0(VALU_DEP_4) | instskip(NEXT) | instid1(VALU_DEP_4)
	v_sub_nc_u32_e32 v14, v56, v4
	v_add_nc_u32_e32 v12, v12, v1
	v_add_nc_u32_e32 v54, v56, v54
	s_delay_alu instid0(VALU_DEP_4) | instskip(SKIP_2) | instid1(VALU_DEP_4)
	v_sub_nc_u32_e32 v10, v28, v15
	v_sub_nc_u32_e32 v15, v57, v3
	v_add_nc_u32_e32 v14, v14, v1
	v_sub_nc_u32_e32 v23, v54, v4
	v_sub_nc_u32_e32 v3, v53, v3
	v_add_nc_u32_e32 v10, 9, v10
	v_add_nc_u32_e32 v13, v15, v12
	s_delay_alu instid0(VALU_DEP_2) | instskip(SKIP_2) | instid1(VALU_DEP_4)
	v_dual_cndmask_b32 v10, v10, v16 :: v_dual_add_nc_u32 v23, v23, v1
	v_add_nc_u32_e32 v16, v17, v14
	v_cmp_eq_u32_e32 vcc_lo, 1, v11
	v_sub_nc_u32_e32 v11, v28, v13
	v_and_b32_e32 v13, 1, v50
	s_delay_alu instid0(VALU_DEP_4) | instskip(NEXT) | instid1(VALU_DEP_3)
	v_sub_nc_u32_e32 v16, v28, v16
	v_dual_cndmask_b32 v10, v10, v22 :: v_dual_add_nc_u32 v11, 10, v11
	v_cmp_eq_u32_e32 vcc_lo, 1, v24
	v_add_nc_u32_e32 v22, v3, v23
	s_delay_alu instid0(VALU_DEP_4) | instskip(NEXT) | instid1(VALU_DEP_4)
	v_add_nc_u32_e32 v16, 11, v16
	v_dual_cndmask_b32 v11, v11, v12 :: v_dual_lshlrev_b32 v10, 2, v10
	v_cmp_eq_u32_e32 vcc_lo, 1, v25
	s_delay_alu instid0(VALU_DEP_4) | instskip(SKIP_3) | instid1(VALU_DEP_4)
	v_sub_nc_u32_e32 v22, v28, v22
	v_and_b32_e32 v12, 1, v51
	v_cndmask_b32_e32 v14, v16, v14, vcc_lo
	v_cmp_eq_u32_e32 vcc_lo, 1, v13
	v_dual_cndmask_b32 v11, v11, v15 :: v_dual_add_nc_u32 v16, 12, v22
	s_delay_alu instid0(VALU_DEP_4) | instskip(NEXT) | instid1(VALU_DEP_2)
	v_cmp_eq_u32_e32 vcc_lo, 1, v12
	v_cndmask_b32_e64 v13, v16, v23, s43
	s_delay_alu instid0(VALU_DEP_3) | instskip(NEXT) | instid1(VALU_DEP_2)
	v_dual_cndmask_b32 v12, v14, v17 :: v_dual_lshlrev_b32 v11, 2, v11
	v_cndmask_b32_e64 v3, v13, v3, s42
	s_delay_alu instid0(VALU_DEP_2)
	v_lshlrev_b32_e32 v12, 2, v12
	ds_store_b32 v5, v8
	ds_store_b32 v10, v9
	;; [unrolled: 1-line block ×4, first 2 shown]
	v_lshlrev_b32_e32 v3, 2, v3
	v_add_co_u32 v5, s0, v2, v74
	s_delay_alu instid0(VALU_DEP_1) | instskip(SKIP_4) | instid1(VALU_DEP_2)
	v_add_co_ci_u32_e64 v6, null, 0, 0, s0
	ds_store_b32 v3, v27
	v_add_co_u32 v3, vcc_lo, v5, v20
	v_add_co_ci_u32_e32 v5, vcc_lo, v6, v21, vcc_lo
	s_add_u32 s0, s34, s33
	v_add_co_u32 v3, vcc_lo, v3, v18
	s_delay_alu instid0(VALU_DEP_2) | instskip(SKIP_1) | instid1(VALU_DEP_2)
	v_add_co_ci_u32_e32 v5, vcc_lo, v5, v19, vcc_lo
	s_addc_u32 s1, s35, 0
	v_sub_co_u32 v3, vcc_lo, s0, v3
	s_delay_alu instid0(VALU_DEP_2)
	v_sub_co_ci_u32_e32 v9, vcc_lo, s1, v5, vcc_lo
	v_lshlrev_b64 v[5:6], 2, v[20:21]
	v_lshlrev_b64 v[7:8], 2, v[18:19]
	v_add_nc_u32_e32 v10, v1, v2
	s_add_u32 s1, s26, -4
	s_waitcnt lgkmcnt(0)
	s_barrier
	v_add_co_u32 v5, vcc_lo, s38, v5
	v_add_co_ci_u32_e32 v6, vcc_lo, s39, v6, vcc_lo
	v_cmp_ne_u32_e32 vcc_lo, 1, v26
	v_add_co_u32 v7, s0, s36, v7
	s_delay_alu instid0(VALU_DEP_1)
	v_add_co_ci_u32_e64 v8, s0, s37, v8, s0
	s_addc_u32 s0, s27, -1
	buffer_gl0_inv
	s_cbranch_vccz .LBB869_133
; %bb.130:
	s_and_b32 vcc_lo, exec_lo, s2
	s_cbranch_vccnz .LBB869_238
.LBB869_131:
	v_cmp_eq_u32_e32 vcc_lo, 0, v0
	s_and_b32 s0, vcc_lo, s14
	s_delay_alu instid0(SALU_CYCLE_1)
	s_and_saveexec_b32 s1, s0
	s_cbranch_execnz .LBB869_356
.LBB869_132:
	s_nop 0
	s_sendmsg sendmsg(MSG_DEALLOC_VGPRS)
	s_endpgm
.LBB869_133:
	s_mov_b32 s2, exec_lo
	v_cmpx_le_u32_e64 v1, v0
	s_xor_b32 s2, exec_lo, s2
	s_cbranch_execz .LBB869_139
; %bb.134:
	s_mov_b32 s4, exec_lo
	v_cmpx_le_u32_e64 v10, v0
	s_xor_b32 s4, exec_lo, s4
	s_cbranch_execz .LBB869_136
; %bb.135:
	v_lshlrev_b32_e32 v11, 2, v0
	ds_load_b32 v13, v11
	v_add_co_u32 v11, vcc_lo, v3, v0
	v_add_co_ci_u32_e32 v12, vcc_lo, 0, v9, vcc_lo
	s_delay_alu instid0(VALU_DEP_1) | instskip(NEXT) | instid1(VALU_DEP_1)
	v_lshlrev_b64 v[11:12], 2, v[11:12]
	v_sub_co_u32 v11, vcc_lo, s26, v11
	s_delay_alu instid0(VALU_DEP_2)
	v_sub_co_ci_u32_e32 v12, vcc_lo, s27, v12, vcc_lo
	s_waitcnt lgkmcnt(0)
	global_store_b32 v[11:12], v13, off offset:-4
.LBB869_136:
	s_and_not1_saveexec_b32 s4, s4
	s_cbranch_execz .LBB869_138
; %bb.137:
	v_lshlrev_b32_e32 v11, 2, v0
	v_readfirstlane_b32 s6, v5
	v_readfirstlane_b32 s7, v6
	ds_load_b32 v12, v11
	s_waitcnt lgkmcnt(0)
	global_store_b32 v11, v12, s[6:7]
.LBB869_138:
	s_or_b32 exec_lo, exec_lo, s4
.LBB869_139:
	s_and_not1_saveexec_b32 s2, s2
	s_cbranch_execz .LBB869_141
; %bb.140:
	v_lshlrev_b32_e32 v11, 2, v0
	v_readfirstlane_b32 s4, v7
	v_readfirstlane_b32 s5, v8
	ds_load_b32 v12, v11
	s_waitcnt lgkmcnt(0)
	global_store_b32 v11, v12, s[4:5]
.LBB869_141:
	s_or_b32 exec_lo, exec_lo, s2
	v_or_b32_e32 v11, 0x100, v0
	s_mov_b32 s2, exec_lo
	s_delay_alu instid0(VALU_DEP_1)
	v_cmpx_le_u32_e64 v1, v11
	s_xor_b32 s2, exec_lo, s2
	s_cbranch_execz .LBB869_147
; %bb.142:
	s_mov_b32 s4, exec_lo
	v_cmpx_le_u32_e64 v10, v11
	s_xor_b32 s4, exec_lo, s4
	s_cbranch_execz .LBB869_144
; %bb.143:
	v_lshlrev_b32_e32 v11, 2, v0
	ds_load_b32 v13, v11 offset:1024
	v_add_co_u32 v11, vcc_lo, v3, v0
	v_add_co_ci_u32_e32 v12, vcc_lo, 0, v9, vcc_lo
	s_delay_alu instid0(VALU_DEP_1) | instskip(NEXT) | instid1(VALU_DEP_1)
	v_lshlrev_b64 v[11:12], 2, v[11:12]
	v_sub_co_u32 v11, vcc_lo, s1, v11
	s_delay_alu instid0(VALU_DEP_2)
	v_sub_co_ci_u32_e32 v12, vcc_lo, s0, v12, vcc_lo
	s_waitcnt lgkmcnt(0)
	global_store_b32 v[11:12], v13, off offset:-1024
.LBB869_144:
	s_and_not1_saveexec_b32 s4, s4
	s_cbranch_execz .LBB869_146
; %bb.145:
	v_lshlrev_b32_e32 v11, 2, v0
	v_readfirstlane_b32 s6, v5
	v_readfirstlane_b32 s7, v6
	ds_load_b32 v12, v11 offset:1024
	s_waitcnt lgkmcnt(0)
	global_store_b32 v11, v12, s[6:7] offset:1024
.LBB869_146:
	s_or_b32 exec_lo, exec_lo, s4
.LBB869_147:
	s_and_not1_saveexec_b32 s2, s2
	s_cbranch_execz .LBB869_149
; %bb.148:
	v_lshlrev_b32_e32 v11, 2, v0
	v_readfirstlane_b32 s4, v7
	v_readfirstlane_b32 s5, v8
	ds_load_b32 v12, v11 offset:1024
	s_waitcnt lgkmcnt(0)
	global_store_b32 v11, v12, s[4:5] offset:1024
.LBB869_149:
	s_or_b32 exec_lo, exec_lo, s2
	v_or_b32_e32 v11, 0x200, v0
	s_mov_b32 s2, exec_lo
	s_delay_alu instid0(VALU_DEP_1)
	v_cmpx_le_u32_e64 v1, v11
	s_xor_b32 s2, exec_lo, s2
	s_cbranch_execz .LBB869_155
; %bb.150:
	s_mov_b32 s4, exec_lo
	v_cmpx_le_u32_e64 v10, v11
	s_xor_b32 s4, exec_lo, s4
	s_cbranch_execz .LBB869_152
; %bb.151:
	v_lshlrev_b32_e32 v11, 2, v0
	ds_load_b32 v13, v11 offset:2048
	v_add_co_u32 v11, vcc_lo, v3, v0
	v_add_co_ci_u32_e32 v12, vcc_lo, 0, v9, vcc_lo
	s_delay_alu instid0(VALU_DEP_1) | instskip(NEXT) | instid1(VALU_DEP_1)
	v_lshlrev_b64 v[11:12], 2, v[11:12]
	v_sub_co_u32 v11, vcc_lo, s1, v11
	s_delay_alu instid0(VALU_DEP_2)
	v_sub_co_ci_u32_e32 v12, vcc_lo, s0, v12, vcc_lo
	s_waitcnt lgkmcnt(0)
	global_store_b32 v[11:12], v13, off offset:-2048
.LBB869_152:
	s_and_not1_saveexec_b32 s4, s4
	s_cbranch_execz .LBB869_154
; %bb.153:
	v_lshlrev_b32_e32 v11, 2, v0
	v_readfirstlane_b32 s6, v5
	v_readfirstlane_b32 s7, v6
	ds_load_b32 v12, v11 offset:2048
	s_waitcnt lgkmcnt(0)
	global_store_b32 v11, v12, s[6:7] offset:2048
.LBB869_154:
	s_or_b32 exec_lo, exec_lo, s4
.LBB869_155:
	s_and_not1_saveexec_b32 s2, s2
	s_cbranch_execz .LBB869_157
; %bb.156:
	v_lshlrev_b32_e32 v11, 2, v0
	v_readfirstlane_b32 s4, v7
	v_readfirstlane_b32 s5, v8
	ds_load_b32 v12, v11 offset:2048
	s_waitcnt lgkmcnt(0)
	global_store_b32 v11, v12, s[4:5] offset:2048
.LBB869_157:
	;; [unrolled: 47-line block ×3, first 2 shown]
	s_or_b32 exec_lo, exec_lo, s2
	v_or_b32_e32 v11, 0x400, v0
	s_mov_b32 s2, exec_lo
	s_delay_alu instid0(VALU_DEP_1)
	v_cmpx_le_u32_e64 v1, v11
	s_xor_b32 s2, exec_lo, s2
	s_cbranch_execz .LBB869_171
; %bb.166:
	s_mov_b32 s4, exec_lo
	v_cmpx_le_u32_e64 v10, v11
	s_xor_b32 s4, exec_lo, s4
	s_cbranch_execz .LBB869_168
; %bb.167:
	v_lshlrev_b32_e32 v11, 2, v0
	ds_load_b32 v13, v11 offset:4096
	v_add_co_u32 v11, vcc_lo, v3, v0
	v_add_co_ci_u32_e32 v12, vcc_lo, 0, v9, vcc_lo
	s_delay_alu instid0(VALU_DEP_1) | instskip(NEXT) | instid1(VALU_DEP_1)
	v_lshlrev_b64 v[11:12], 2, v[11:12]
	v_sub_co_u32 v11, vcc_lo, s1, v11
	s_delay_alu instid0(VALU_DEP_2)
	v_sub_co_ci_u32_e32 v12, vcc_lo, s0, v12, vcc_lo
	s_waitcnt lgkmcnt(0)
	global_store_b32 v[11:12], v13, off offset:-4096
                                        ; implicit-def: $vgpr11
.LBB869_168:
	s_and_not1_saveexec_b32 s4, s4
	s_cbranch_execz .LBB869_170
; %bb.169:
	v_lshlrev_b32_e32 v12, 2, v0
	v_lshlrev_b32_e32 v11, 2, v11
	v_readfirstlane_b32 s6, v5
	v_readfirstlane_b32 s7, v6
	ds_load_b32 v12, v12 offset:4096
	s_waitcnt lgkmcnt(0)
	global_store_b32 v11, v12, s[6:7]
.LBB869_170:
	s_or_b32 exec_lo, exec_lo, s4
                                        ; implicit-def: $vgpr11
.LBB869_171:
	s_and_not1_saveexec_b32 s2, s2
	s_cbranch_execz .LBB869_173
; %bb.172:
	v_lshlrev_b32_e32 v12, 2, v0
	v_lshlrev_b32_e32 v11, 2, v11
	v_readfirstlane_b32 s4, v7
	v_readfirstlane_b32 s5, v8
	ds_load_b32 v12, v12 offset:4096
	s_waitcnt lgkmcnt(0)
	global_store_b32 v11, v12, s[4:5]
.LBB869_173:
	s_or_b32 exec_lo, exec_lo, s2
	v_or_b32_e32 v11, 0x500, v0
	s_mov_b32 s2, exec_lo
	s_delay_alu instid0(VALU_DEP_1)
	v_cmpx_le_u32_e64 v1, v11
	s_xor_b32 s2, exec_lo, s2
	s_cbranch_execz .LBB869_179
; %bb.174:
	s_mov_b32 s4, exec_lo
	v_cmpx_le_u32_e64 v10, v11
	s_xor_b32 s4, exec_lo, s4
	s_cbranch_execz .LBB869_176
; %bb.175:
	v_lshlrev_b32_e32 v12, 2, v0
	v_add_co_u32 v11, vcc_lo, v3, v11
	ds_load_b32 v13, v12 offset:5120
	v_add_co_ci_u32_e32 v12, vcc_lo, 0, v9, vcc_lo
	s_delay_alu instid0(VALU_DEP_1) | instskip(NEXT) | instid1(VALU_DEP_1)
	v_lshlrev_b64 v[11:12], 2, v[11:12]
	v_sub_co_u32 v11, vcc_lo, s1, v11
	s_delay_alu instid0(VALU_DEP_2)
	v_sub_co_ci_u32_e32 v12, vcc_lo, s0, v12, vcc_lo
	s_waitcnt lgkmcnt(0)
	global_store_b32 v[11:12], v13, off
                                        ; implicit-def: $vgpr11
.LBB869_176:
	s_and_not1_saveexec_b32 s4, s4
	s_cbranch_execz .LBB869_178
; %bb.177:
	v_lshlrev_b32_e32 v12, 2, v0
	v_lshlrev_b32_e32 v11, 2, v11
	v_readfirstlane_b32 s6, v5
	v_readfirstlane_b32 s7, v6
	ds_load_b32 v12, v12 offset:5120
	s_waitcnt lgkmcnt(0)
	global_store_b32 v11, v12, s[6:7]
.LBB869_178:
	s_or_b32 exec_lo, exec_lo, s4
                                        ; implicit-def: $vgpr11
.LBB869_179:
	s_and_not1_saveexec_b32 s2, s2
	s_cbranch_execz .LBB869_181
; %bb.180:
	v_lshlrev_b32_e32 v12, 2, v0
	v_lshlrev_b32_e32 v11, 2, v11
	v_readfirstlane_b32 s4, v7
	v_readfirstlane_b32 s5, v8
	ds_load_b32 v12, v12 offset:5120
	s_waitcnt lgkmcnt(0)
	global_store_b32 v11, v12, s[4:5]
.LBB869_181:
	s_or_b32 exec_lo, exec_lo, s2
	v_or_b32_e32 v11, 0x600, v0
	s_mov_b32 s2, exec_lo
	s_delay_alu instid0(VALU_DEP_1)
	v_cmpx_le_u32_e64 v1, v11
	s_xor_b32 s2, exec_lo, s2
	s_cbranch_execz .LBB869_187
; %bb.182:
	s_mov_b32 s4, exec_lo
	v_cmpx_le_u32_e64 v10, v11
	s_xor_b32 s4, exec_lo, s4
	s_cbranch_execz .LBB869_184
; %bb.183:
	v_lshlrev_b32_e32 v12, 2, v0
	v_add_co_u32 v11, vcc_lo, v3, v11
	ds_load_b32 v13, v12 offset:6144
	v_add_co_ci_u32_e32 v12, vcc_lo, 0, v9, vcc_lo
	s_delay_alu instid0(VALU_DEP_1) | instskip(NEXT) | instid1(VALU_DEP_1)
	v_lshlrev_b64 v[11:12], 2, v[11:12]
	v_sub_co_u32 v11, vcc_lo, s1, v11
	s_delay_alu instid0(VALU_DEP_2)
	v_sub_co_ci_u32_e32 v12, vcc_lo, s0, v12, vcc_lo
	s_waitcnt lgkmcnt(0)
	global_store_b32 v[11:12], v13, off
                                        ; implicit-def: $vgpr11
.LBB869_184:
	s_and_not1_saveexec_b32 s4, s4
	s_cbranch_execz .LBB869_186
; %bb.185:
	v_lshlrev_b32_e32 v12, 2, v0
	v_lshlrev_b32_e32 v11, 2, v11
	v_readfirstlane_b32 s6, v5
	v_readfirstlane_b32 s7, v6
	ds_load_b32 v12, v12 offset:6144
	s_waitcnt lgkmcnt(0)
	global_store_b32 v11, v12, s[6:7]
.LBB869_186:
	s_or_b32 exec_lo, exec_lo, s4
                                        ; implicit-def: $vgpr11
.LBB869_187:
	;; [unrolled: 51-line block ×8, first 2 shown]
	s_and_not1_saveexec_b32 s2, s2
	s_cbranch_execz .LBB869_237
; %bb.236:
	v_lshlrev_b32_e32 v12, 2, v0
	v_lshlrev_b32_e32 v11, 2, v11
	v_readfirstlane_b32 s4, v7
	v_readfirstlane_b32 s5, v8
	ds_load_b32 v12, v12 offset:12288
	s_waitcnt lgkmcnt(0)
	global_store_b32 v11, v12, s[4:5]
.LBB869_237:
	s_or_b32 exec_lo, exec_lo, s2
	s_branch .LBB869_131
.LBB869_238:
	s_mov_b32 s2, exec_lo
	v_cmpx_gt_u32_e64 s3, v0
	s_cbranch_execz .LBB869_247
; %bb.239:
	s_mov_b32 s4, exec_lo
	v_cmpx_le_u32_e64 v1, v0
	s_xor_b32 s4, exec_lo, s4
	s_cbranch_execz .LBB869_245
; %bb.240:
	s_mov_b32 s5, exec_lo
	v_cmpx_le_u32_e64 v10, v0
	s_xor_b32 s5, exec_lo, s5
	s_cbranch_execz .LBB869_242
; %bb.241:
	v_lshlrev_b32_e32 v11, 2, v0
	ds_load_b32 v13, v11
	v_add_co_u32 v11, vcc_lo, v3, v0
	v_add_co_ci_u32_e32 v12, vcc_lo, 0, v9, vcc_lo
	s_delay_alu instid0(VALU_DEP_1) | instskip(NEXT) | instid1(VALU_DEP_1)
	v_lshlrev_b64 v[11:12], 2, v[11:12]
	v_sub_co_u32 v11, vcc_lo, s26, v11
	s_delay_alu instid0(VALU_DEP_2)
	v_sub_co_ci_u32_e32 v12, vcc_lo, s27, v12, vcc_lo
	s_waitcnt lgkmcnt(0)
	global_store_b32 v[11:12], v13, off offset:-4
.LBB869_242:
	s_and_not1_saveexec_b32 s5, s5
	s_cbranch_execz .LBB869_244
; %bb.243:
	v_lshlrev_b32_e32 v11, 2, v0
	v_readfirstlane_b32 s6, v5
	v_readfirstlane_b32 s7, v6
	ds_load_b32 v12, v11
	s_waitcnt lgkmcnt(0)
	global_store_b32 v11, v12, s[6:7]
.LBB869_244:
	s_or_b32 exec_lo, exec_lo, s5
.LBB869_245:
	s_and_not1_saveexec_b32 s4, s4
	s_cbranch_execz .LBB869_247
; %bb.246:
	v_lshlrev_b32_e32 v11, 2, v0
	v_readfirstlane_b32 s4, v7
	v_readfirstlane_b32 s5, v8
	ds_load_b32 v12, v11
	s_waitcnt lgkmcnt(0)
	global_store_b32 v11, v12, s[4:5]
.LBB869_247:
	s_or_b32 exec_lo, exec_lo, s2
	v_or_b32_e32 v11, 0x100, v0
	s_mov_b32 s2, exec_lo
	s_delay_alu instid0(VALU_DEP_1)
	v_cmpx_gt_u32_e64 s3, v11
	s_cbranch_execz .LBB869_256
; %bb.248:
	s_mov_b32 s4, exec_lo
	v_cmpx_le_u32_e64 v1, v11
	s_xor_b32 s4, exec_lo, s4
	s_cbranch_execz .LBB869_254
; %bb.249:
	s_mov_b32 s5, exec_lo
	v_cmpx_le_u32_e64 v10, v11
	s_xor_b32 s5, exec_lo, s5
	s_cbranch_execz .LBB869_251
; %bb.250:
	v_lshlrev_b32_e32 v11, 2, v0
	ds_load_b32 v13, v11 offset:1024
	v_add_co_u32 v11, vcc_lo, v3, v0
	v_add_co_ci_u32_e32 v12, vcc_lo, 0, v9, vcc_lo
	s_delay_alu instid0(VALU_DEP_1) | instskip(NEXT) | instid1(VALU_DEP_1)
	v_lshlrev_b64 v[11:12], 2, v[11:12]
	v_sub_co_u32 v11, vcc_lo, s1, v11
	s_delay_alu instid0(VALU_DEP_2)
	v_sub_co_ci_u32_e32 v12, vcc_lo, s0, v12, vcc_lo
	s_waitcnt lgkmcnt(0)
	global_store_b32 v[11:12], v13, off offset:-1024
.LBB869_251:
	s_and_not1_saveexec_b32 s5, s5
	s_cbranch_execz .LBB869_253
; %bb.252:
	v_lshlrev_b32_e32 v11, 2, v0
	v_readfirstlane_b32 s6, v5
	v_readfirstlane_b32 s7, v6
	ds_load_b32 v12, v11 offset:1024
	s_waitcnt lgkmcnt(0)
	global_store_b32 v11, v12, s[6:7] offset:1024
.LBB869_253:
	s_or_b32 exec_lo, exec_lo, s5
.LBB869_254:
	s_and_not1_saveexec_b32 s4, s4
	s_cbranch_execz .LBB869_256
; %bb.255:
	v_lshlrev_b32_e32 v11, 2, v0
	v_readfirstlane_b32 s4, v7
	v_readfirstlane_b32 s5, v8
	ds_load_b32 v12, v11 offset:1024
	s_waitcnt lgkmcnt(0)
	global_store_b32 v11, v12, s[4:5] offset:1024
.LBB869_256:
	s_or_b32 exec_lo, exec_lo, s2
	v_or_b32_e32 v11, 0x200, v0
	s_mov_b32 s2, exec_lo
	s_delay_alu instid0(VALU_DEP_1)
	v_cmpx_gt_u32_e64 s3, v11
	s_cbranch_execz .LBB869_265
; %bb.257:
	s_mov_b32 s4, exec_lo
	v_cmpx_le_u32_e64 v1, v11
	s_xor_b32 s4, exec_lo, s4
	s_cbranch_execz .LBB869_263
; %bb.258:
	s_mov_b32 s5, exec_lo
	v_cmpx_le_u32_e64 v10, v11
	s_xor_b32 s5, exec_lo, s5
	s_cbranch_execz .LBB869_260
; %bb.259:
	v_lshlrev_b32_e32 v11, 2, v0
	ds_load_b32 v13, v11 offset:2048
	v_add_co_u32 v11, vcc_lo, v3, v0
	v_add_co_ci_u32_e32 v12, vcc_lo, 0, v9, vcc_lo
	s_delay_alu instid0(VALU_DEP_1) | instskip(NEXT) | instid1(VALU_DEP_1)
	v_lshlrev_b64 v[11:12], 2, v[11:12]
	v_sub_co_u32 v11, vcc_lo, s1, v11
	s_delay_alu instid0(VALU_DEP_2)
	v_sub_co_ci_u32_e32 v12, vcc_lo, s0, v12, vcc_lo
	s_waitcnt lgkmcnt(0)
	global_store_b32 v[11:12], v13, off offset:-2048
.LBB869_260:
	s_and_not1_saveexec_b32 s5, s5
	s_cbranch_execz .LBB869_262
; %bb.261:
	v_lshlrev_b32_e32 v11, 2, v0
	v_readfirstlane_b32 s6, v5
	v_readfirstlane_b32 s7, v6
	ds_load_b32 v12, v11 offset:2048
	s_waitcnt lgkmcnt(0)
	global_store_b32 v11, v12, s[6:7] offset:2048
.LBB869_262:
	s_or_b32 exec_lo, exec_lo, s5
.LBB869_263:
	s_and_not1_saveexec_b32 s4, s4
	s_cbranch_execz .LBB869_265
; %bb.264:
	v_lshlrev_b32_e32 v11, 2, v0
	v_readfirstlane_b32 s4, v7
	v_readfirstlane_b32 s5, v8
	ds_load_b32 v12, v11 offset:2048
	s_waitcnt lgkmcnt(0)
	global_store_b32 v11, v12, s[4:5] offset:2048
.LBB869_265:
	;; [unrolled: 51-line block ×3, first 2 shown]
	s_or_b32 exec_lo, exec_lo, s2
	v_or_b32_e32 v11, 0x400, v0
	s_mov_b32 s2, exec_lo
	s_delay_alu instid0(VALU_DEP_1)
	v_cmpx_gt_u32_e64 s3, v11
	s_cbranch_execz .LBB869_283
; %bb.275:
	s_mov_b32 s4, exec_lo
	v_cmpx_le_u32_e64 v1, v11
	s_xor_b32 s4, exec_lo, s4
	s_cbranch_execz .LBB869_281
; %bb.276:
	s_mov_b32 s5, exec_lo
	v_cmpx_le_u32_e64 v10, v11
	s_xor_b32 s5, exec_lo, s5
	s_cbranch_execz .LBB869_278
; %bb.277:
	v_lshlrev_b32_e32 v11, 2, v0
	ds_load_b32 v13, v11 offset:4096
	v_add_co_u32 v11, vcc_lo, v3, v0
	v_add_co_ci_u32_e32 v12, vcc_lo, 0, v9, vcc_lo
	s_delay_alu instid0(VALU_DEP_1) | instskip(NEXT) | instid1(VALU_DEP_1)
	v_lshlrev_b64 v[11:12], 2, v[11:12]
	v_sub_co_u32 v11, vcc_lo, s1, v11
	s_delay_alu instid0(VALU_DEP_2)
	v_sub_co_ci_u32_e32 v12, vcc_lo, s0, v12, vcc_lo
	s_waitcnt lgkmcnt(0)
	global_store_b32 v[11:12], v13, off offset:-4096
                                        ; implicit-def: $vgpr11
.LBB869_278:
	s_and_not1_saveexec_b32 s5, s5
	s_cbranch_execz .LBB869_280
; %bb.279:
	v_lshlrev_b32_e32 v12, 2, v0
	v_lshlrev_b32_e32 v11, 2, v11
	v_readfirstlane_b32 s6, v5
	v_readfirstlane_b32 s7, v6
	ds_load_b32 v12, v12 offset:4096
	s_waitcnt lgkmcnt(0)
	global_store_b32 v11, v12, s[6:7]
.LBB869_280:
	s_or_b32 exec_lo, exec_lo, s5
                                        ; implicit-def: $vgpr11
.LBB869_281:
	s_and_not1_saveexec_b32 s4, s4
	s_cbranch_execz .LBB869_283
; %bb.282:
	v_lshlrev_b32_e32 v12, 2, v0
	v_lshlrev_b32_e32 v11, 2, v11
	v_readfirstlane_b32 s4, v7
	v_readfirstlane_b32 s5, v8
	ds_load_b32 v12, v12 offset:4096
	s_waitcnt lgkmcnt(0)
	global_store_b32 v11, v12, s[4:5]
.LBB869_283:
	s_or_b32 exec_lo, exec_lo, s2
	v_or_b32_e32 v11, 0x500, v0
	s_mov_b32 s2, exec_lo
	s_delay_alu instid0(VALU_DEP_1)
	v_cmpx_gt_u32_e64 s3, v11
	s_cbranch_execz .LBB869_292
; %bb.284:
	s_mov_b32 s4, exec_lo
	v_cmpx_le_u32_e64 v1, v11
	s_xor_b32 s4, exec_lo, s4
	s_cbranch_execz .LBB869_290
; %bb.285:
	s_mov_b32 s5, exec_lo
	v_cmpx_le_u32_e64 v10, v11
	s_xor_b32 s5, exec_lo, s5
	s_cbranch_execz .LBB869_287
; %bb.286:
	v_lshlrev_b32_e32 v12, 2, v0
	v_add_co_u32 v11, vcc_lo, v3, v11
	ds_load_b32 v13, v12 offset:5120
	v_add_co_ci_u32_e32 v12, vcc_lo, 0, v9, vcc_lo
	s_delay_alu instid0(VALU_DEP_1) | instskip(NEXT) | instid1(VALU_DEP_1)
	v_lshlrev_b64 v[11:12], 2, v[11:12]
	v_sub_co_u32 v11, vcc_lo, s1, v11
	s_delay_alu instid0(VALU_DEP_2)
	v_sub_co_ci_u32_e32 v12, vcc_lo, s0, v12, vcc_lo
	s_waitcnt lgkmcnt(0)
	global_store_b32 v[11:12], v13, off
                                        ; implicit-def: $vgpr11
.LBB869_287:
	s_and_not1_saveexec_b32 s5, s5
	s_cbranch_execz .LBB869_289
; %bb.288:
	v_lshlrev_b32_e32 v12, 2, v0
	v_lshlrev_b32_e32 v11, 2, v11
	v_readfirstlane_b32 s6, v5
	v_readfirstlane_b32 s7, v6
	ds_load_b32 v12, v12 offset:5120
	s_waitcnt lgkmcnt(0)
	global_store_b32 v11, v12, s[6:7]
.LBB869_289:
	s_or_b32 exec_lo, exec_lo, s5
                                        ; implicit-def: $vgpr11
.LBB869_290:
	s_and_not1_saveexec_b32 s4, s4
	s_cbranch_execz .LBB869_292
; %bb.291:
	v_lshlrev_b32_e32 v12, 2, v0
	v_lshlrev_b32_e32 v11, 2, v11
	v_readfirstlane_b32 s4, v7
	v_readfirstlane_b32 s5, v8
	ds_load_b32 v12, v12 offset:5120
	s_waitcnt lgkmcnt(0)
	global_store_b32 v11, v12, s[4:5]
.LBB869_292:
	s_or_b32 exec_lo, exec_lo, s2
	v_or_b32_e32 v11, 0x600, v0
	s_mov_b32 s2, exec_lo
	s_delay_alu instid0(VALU_DEP_1)
	v_cmpx_gt_u32_e64 s3, v11
	s_cbranch_execz .LBB869_301
; %bb.293:
	s_mov_b32 s4, exec_lo
	v_cmpx_le_u32_e64 v1, v11
	s_xor_b32 s4, exec_lo, s4
	s_cbranch_execz .LBB869_299
; %bb.294:
	s_mov_b32 s5, exec_lo
	v_cmpx_le_u32_e64 v10, v11
	s_xor_b32 s5, exec_lo, s5
	s_cbranch_execz .LBB869_296
; %bb.295:
	v_lshlrev_b32_e32 v12, 2, v0
	v_add_co_u32 v11, vcc_lo, v3, v11
	ds_load_b32 v13, v12 offset:6144
	v_add_co_ci_u32_e32 v12, vcc_lo, 0, v9, vcc_lo
	s_delay_alu instid0(VALU_DEP_1) | instskip(NEXT) | instid1(VALU_DEP_1)
	v_lshlrev_b64 v[11:12], 2, v[11:12]
	v_sub_co_u32 v11, vcc_lo, s1, v11
	s_delay_alu instid0(VALU_DEP_2)
	v_sub_co_ci_u32_e32 v12, vcc_lo, s0, v12, vcc_lo
	s_waitcnt lgkmcnt(0)
	global_store_b32 v[11:12], v13, off
                                        ; implicit-def: $vgpr11
.LBB869_296:
	s_and_not1_saveexec_b32 s5, s5
	s_cbranch_execz .LBB869_298
; %bb.297:
	v_lshlrev_b32_e32 v12, 2, v0
	v_lshlrev_b32_e32 v11, 2, v11
	v_readfirstlane_b32 s6, v5
	v_readfirstlane_b32 s7, v6
	ds_load_b32 v12, v12 offset:6144
	s_waitcnt lgkmcnt(0)
	global_store_b32 v11, v12, s[6:7]
.LBB869_298:
	s_or_b32 exec_lo, exec_lo, s5
                                        ; implicit-def: $vgpr11
.LBB869_299:
	s_and_not1_saveexec_b32 s4, s4
	s_cbranch_execz .LBB869_301
; %bb.300:
	v_lshlrev_b32_e32 v12, 2, v0
	v_lshlrev_b32_e32 v11, 2, v11
	v_readfirstlane_b32 s4, v7
	v_readfirstlane_b32 s5, v8
	ds_load_b32 v12, v12 offset:6144
	s_waitcnt lgkmcnt(0)
	global_store_b32 v11, v12, s[4:5]
.LBB869_301:
	;; [unrolled: 55-line block ×7, first 2 shown]
	s_or_b32 exec_lo, exec_lo, s2
	v_or_b32_e32 v11, 0xc00, v0
	s_mov_b32 s2, exec_lo
	s_delay_alu instid0(VALU_DEP_1)
	v_cmpx_gt_u32_e64 s3, v11
	s_cbranch_execz .LBB869_355
; %bb.347:
	s_mov_b32 s3, exec_lo
	v_cmpx_le_u32_e64 v1, v11
	s_xor_b32 s3, exec_lo, s3
	s_cbranch_execz .LBB869_353
; %bb.348:
	s_mov_b32 s4, exec_lo
	v_cmpx_le_u32_e64 v10, v11
	s_xor_b32 s4, exec_lo, s4
	s_cbranch_execz .LBB869_350
; %bb.349:
	v_lshlrev_b32_e32 v5, 2, v0
	ds_load_b32 v7, v5 offset:12288
	v_add_co_u32 v5, vcc_lo, v3, v11
	v_add_co_ci_u32_e32 v6, vcc_lo, 0, v9, vcc_lo
                                        ; implicit-def: $vgpr11
	s_delay_alu instid0(VALU_DEP_1) | instskip(NEXT) | instid1(VALU_DEP_1)
	v_lshlrev_b64 v[5:6], 2, v[5:6]
	v_sub_co_u32 v5, vcc_lo, s1, v5
	s_delay_alu instid0(VALU_DEP_2)
	v_sub_co_ci_u32_e32 v6, vcc_lo, s0, v6, vcc_lo
	s_waitcnt lgkmcnt(0)
	global_store_b32 v[5:6], v7, off
                                        ; implicit-def: $vgpr5_vgpr6
.LBB869_350:
	s_and_not1_saveexec_b32 s0, s4
	s_cbranch_execz .LBB869_352
; %bb.351:
	v_lshlrev_b32_e32 v3, 2, v0
	v_lshlrev_b32_e32 v7, 2, v11
	v_readfirstlane_b32 s4, v5
	v_readfirstlane_b32 s5, v6
	ds_load_b32 v3, v3 offset:12288
	s_waitcnt lgkmcnt(0)
	global_store_b32 v7, v3, s[4:5]
.LBB869_352:
	s_or_b32 exec_lo, exec_lo, s0
                                        ; implicit-def: $vgpr11
                                        ; implicit-def: $vgpr7_vgpr8
.LBB869_353:
	s_and_not1_saveexec_b32 s0, s3
	s_cbranch_execz .LBB869_355
; %bb.354:
	v_lshlrev_b32_e32 v3, 2, v0
	v_lshlrev_b32_e32 v5, 2, v11
	v_readfirstlane_b32 s0, v7
	v_readfirstlane_b32 s1, v8
	ds_load_b32 v3, v3 offset:12288
	s_waitcnt lgkmcnt(0)
	global_store_b32 v5, v3, s[0:1]
.LBB869_355:
	s_or_b32 exec_lo, exec_lo, s2
	v_cmp_eq_u32_e32 vcc_lo, 0, v0
	s_and_b32 s0, vcc_lo, s14
	s_delay_alu instid0(SALU_CYCLE_1)
	s_and_saveexec_b32 s1, s0
	s_cbranch_execz .LBB869_132
.LBB869_356:
	v_add_co_u32 v2, s0, s30, v2
	s_delay_alu instid0(VALU_DEP_1) | instskip(SKIP_2) | instid1(VALU_DEP_4)
	v_add_co_ci_u32_e64 v3, null, s31, 0, s0
	v_add_co_u32 v0, vcc_lo, v18, v1
	v_add_co_ci_u32_e32 v1, vcc_lo, 0, v19, vcc_lo
	v_add_co_u32 v2, vcc_lo, v2, v4
	v_mov_b32_e32 v5, 0
	v_add_co_ci_u32_e32 v3, vcc_lo, 0, v3, vcc_lo
	global_store_b128 v5, v[0:3], s[24:25]
	s_nop 0
	s_sendmsg sendmsg(MSG_DEALLOC_VGPRS)
	s_endpgm
.LBB869_357:
	v_add_nc_u32_e32 v3, s7, v23
	s_add_i32 s10, s15, 32
	s_mov_b32 s11, 0
	v_dual_mov_b32 v5, 0 :: v_dual_add_nc_u32 v2, v22, v1
	s_lshl_b64 s[10:11], s[10:11], 4
	v_and_b32_e32 v20, 0xff0000, v3
	s_add_u32 s10, s4, s10
	s_addc_u32 s11, s5, s11
	v_and_b32_e32 v4, 0xff000000, v3
	s_delay_alu instid0(VALU_DEP_1) | instskip(SKIP_2) | instid1(VALU_DEP_1)
	v_or_b32_e32 v20, v20, v4
	v_dual_mov_b32 v4, 2 :: v_dual_and_b32 v21, 0xff00, v3
	v_and_b32_e32 v3, 0xff, v3
	v_or3_b32 v3, v20, v21, v3
	v_dual_mov_b32 v21, s11 :: v_dual_mov_b32 v20, s10
	;;#ASMSTART
	global_store_dwordx4 v[20:21], v[2:5] off	
s_waitcnt vmcnt(0)
	;;#ASMEND
	s_or_b32 exec_lo, exec_lo, s8
	s_and_saveexec_b32 s8, s2
	s_cbranch_execz .LBB869_116
.LBB869_358:
	v_mov_b32_e32 v2, s7
	v_add_nc_u32_e64 v3, 0x3400, 0
	ds_store_2addr_b32 v3, v1, v2 offset1:2
	ds_store_2addr_b32 v3, v22, v23 offset0:4 offset1:6
	s_or_b32 exec_lo, exec_lo, s8
	v_cmp_eq_u32_e32 vcc_lo, 0, v0
	s_and_b32 exec_lo, exec_lo, vcc_lo
	s_cbranch_execnz .LBB869_117
	s_branch .LBB869_118
	.section	.rodata,"a",@progbits
	.p2align	6, 0x0
	.amdhsa_kernel _ZN7rocprim17ROCPRIM_400000_NS6detail17trampoline_kernelINS0_13select_configILj256ELj13ELNS0_17block_load_methodE3ELS4_3ELS4_3ELNS0_20block_scan_algorithmE0ELj4294967295EEENS1_25partition_config_selectorILNS1_17partition_subalgoE4EjNS0_10empty_typeEbEEZZNS1_14partition_implILS8_4ELb0ES6_15HIP_vector_typeIjLj2EENS0_17counting_iteratorIjlEEPS9_SG_NS0_5tupleIJPjSI_NS0_16reverse_iteratorISI_EEEEENSH_IJSG_SG_SG_EEES9_SI_JZNS1_25segmented_radix_sort_implINS0_14default_configELb1EPKsPsPKlPlN2at6native12_GLOBAL__N_18offset_tEEE10hipError_tPvRmT1_PNSt15iterator_traitsIS12_E10value_typeET2_T3_PNS13_IS18_E10value_typeET4_jRbjT5_S1E_jjP12ihipStream_tbEUljE_ZNSN_ISO_Lb1ESQ_SR_ST_SU_SY_EESZ_S10_S11_S12_S16_S17_S18_S1B_S1C_jS1D_jS1E_S1E_jjS1G_bEUljE0_EEESZ_S10_S11_S18_S1C_S1E_T6_T7_T9_mT8_S1G_bDpT10_ENKUlT_T0_E_clISt17integral_constantIbLb1EES1T_IbLb0EEEEDaS1P_S1Q_EUlS1P_E_NS1_11comp_targetILNS1_3genE9ELNS1_11target_archE1100ELNS1_3gpuE3ELNS1_3repE0EEENS1_30default_config_static_selectorELNS0_4arch9wavefront6targetE0EEEvS12_
		.amdhsa_group_segment_fixed_size 13340
		.amdhsa_private_segment_fixed_size 0
		.amdhsa_kernarg_size 176
		.amdhsa_user_sgpr_count 15
		.amdhsa_user_sgpr_dispatch_ptr 0
		.amdhsa_user_sgpr_queue_ptr 0
		.amdhsa_user_sgpr_kernarg_segment_ptr 1
		.amdhsa_user_sgpr_dispatch_id 0
		.amdhsa_user_sgpr_private_segment_size 0
		.amdhsa_wavefront_size32 1
		.amdhsa_uses_dynamic_stack 0
		.amdhsa_enable_private_segment 0
		.amdhsa_system_sgpr_workgroup_id_x 1
		.amdhsa_system_sgpr_workgroup_id_y 0
		.amdhsa_system_sgpr_workgroup_id_z 0
		.amdhsa_system_sgpr_workgroup_info 0
		.amdhsa_system_vgpr_workitem_id 0
		.amdhsa_next_free_vgpr 98
		.amdhsa_next_free_sgpr 59
		.amdhsa_reserve_vcc 1
		.amdhsa_float_round_mode_32 0
		.amdhsa_float_round_mode_16_64 0
		.amdhsa_float_denorm_mode_32 3
		.amdhsa_float_denorm_mode_16_64 3
		.amdhsa_dx10_clamp 1
		.amdhsa_ieee_mode 1
		.amdhsa_fp16_overflow 0
		.amdhsa_workgroup_processor_mode 1
		.amdhsa_memory_ordered 1
		.amdhsa_forward_progress 0
		.amdhsa_shared_vgpr_count 0
		.amdhsa_exception_fp_ieee_invalid_op 0
		.amdhsa_exception_fp_denorm_src 0
		.amdhsa_exception_fp_ieee_div_zero 0
		.amdhsa_exception_fp_ieee_overflow 0
		.amdhsa_exception_fp_ieee_underflow 0
		.amdhsa_exception_fp_ieee_inexact 0
		.amdhsa_exception_int_div_zero 0
	.end_amdhsa_kernel
	.section	.text._ZN7rocprim17ROCPRIM_400000_NS6detail17trampoline_kernelINS0_13select_configILj256ELj13ELNS0_17block_load_methodE3ELS4_3ELS4_3ELNS0_20block_scan_algorithmE0ELj4294967295EEENS1_25partition_config_selectorILNS1_17partition_subalgoE4EjNS0_10empty_typeEbEEZZNS1_14partition_implILS8_4ELb0ES6_15HIP_vector_typeIjLj2EENS0_17counting_iteratorIjlEEPS9_SG_NS0_5tupleIJPjSI_NS0_16reverse_iteratorISI_EEEEENSH_IJSG_SG_SG_EEES9_SI_JZNS1_25segmented_radix_sort_implINS0_14default_configELb1EPKsPsPKlPlN2at6native12_GLOBAL__N_18offset_tEEE10hipError_tPvRmT1_PNSt15iterator_traitsIS12_E10value_typeET2_T3_PNS13_IS18_E10value_typeET4_jRbjT5_S1E_jjP12ihipStream_tbEUljE_ZNSN_ISO_Lb1ESQ_SR_ST_SU_SY_EESZ_S10_S11_S12_S16_S17_S18_S1B_S1C_jS1D_jS1E_S1E_jjS1G_bEUljE0_EEESZ_S10_S11_S18_S1C_S1E_T6_T7_T9_mT8_S1G_bDpT10_ENKUlT_T0_E_clISt17integral_constantIbLb1EES1T_IbLb0EEEEDaS1P_S1Q_EUlS1P_E_NS1_11comp_targetILNS1_3genE9ELNS1_11target_archE1100ELNS1_3gpuE3ELNS1_3repE0EEENS1_30default_config_static_selectorELNS0_4arch9wavefront6targetE0EEEvS12_,"axG",@progbits,_ZN7rocprim17ROCPRIM_400000_NS6detail17trampoline_kernelINS0_13select_configILj256ELj13ELNS0_17block_load_methodE3ELS4_3ELS4_3ELNS0_20block_scan_algorithmE0ELj4294967295EEENS1_25partition_config_selectorILNS1_17partition_subalgoE4EjNS0_10empty_typeEbEEZZNS1_14partition_implILS8_4ELb0ES6_15HIP_vector_typeIjLj2EENS0_17counting_iteratorIjlEEPS9_SG_NS0_5tupleIJPjSI_NS0_16reverse_iteratorISI_EEEEENSH_IJSG_SG_SG_EEES9_SI_JZNS1_25segmented_radix_sort_implINS0_14default_configELb1EPKsPsPKlPlN2at6native12_GLOBAL__N_18offset_tEEE10hipError_tPvRmT1_PNSt15iterator_traitsIS12_E10value_typeET2_T3_PNS13_IS18_E10value_typeET4_jRbjT5_S1E_jjP12ihipStream_tbEUljE_ZNSN_ISO_Lb1ESQ_SR_ST_SU_SY_EESZ_S10_S11_S12_S16_S17_S18_S1B_S1C_jS1D_jS1E_S1E_jjS1G_bEUljE0_EEESZ_S10_S11_S18_S1C_S1E_T6_T7_T9_mT8_S1G_bDpT10_ENKUlT_T0_E_clISt17integral_constantIbLb1EES1T_IbLb0EEEEDaS1P_S1Q_EUlS1P_E_NS1_11comp_targetILNS1_3genE9ELNS1_11target_archE1100ELNS1_3gpuE3ELNS1_3repE0EEENS1_30default_config_static_selectorELNS0_4arch9wavefront6targetE0EEEvS12_,comdat
.Lfunc_end869:
	.size	_ZN7rocprim17ROCPRIM_400000_NS6detail17trampoline_kernelINS0_13select_configILj256ELj13ELNS0_17block_load_methodE3ELS4_3ELS4_3ELNS0_20block_scan_algorithmE0ELj4294967295EEENS1_25partition_config_selectorILNS1_17partition_subalgoE4EjNS0_10empty_typeEbEEZZNS1_14partition_implILS8_4ELb0ES6_15HIP_vector_typeIjLj2EENS0_17counting_iteratorIjlEEPS9_SG_NS0_5tupleIJPjSI_NS0_16reverse_iteratorISI_EEEEENSH_IJSG_SG_SG_EEES9_SI_JZNS1_25segmented_radix_sort_implINS0_14default_configELb1EPKsPsPKlPlN2at6native12_GLOBAL__N_18offset_tEEE10hipError_tPvRmT1_PNSt15iterator_traitsIS12_E10value_typeET2_T3_PNS13_IS18_E10value_typeET4_jRbjT5_S1E_jjP12ihipStream_tbEUljE_ZNSN_ISO_Lb1ESQ_SR_ST_SU_SY_EESZ_S10_S11_S12_S16_S17_S18_S1B_S1C_jS1D_jS1E_S1E_jjS1G_bEUljE0_EEESZ_S10_S11_S18_S1C_S1E_T6_T7_T9_mT8_S1G_bDpT10_ENKUlT_T0_E_clISt17integral_constantIbLb1EES1T_IbLb0EEEEDaS1P_S1Q_EUlS1P_E_NS1_11comp_targetILNS1_3genE9ELNS1_11target_archE1100ELNS1_3gpuE3ELNS1_3repE0EEENS1_30default_config_static_selectorELNS0_4arch9wavefront6targetE0EEEvS12_, .Lfunc_end869-_ZN7rocprim17ROCPRIM_400000_NS6detail17trampoline_kernelINS0_13select_configILj256ELj13ELNS0_17block_load_methodE3ELS4_3ELS4_3ELNS0_20block_scan_algorithmE0ELj4294967295EEENS1_25partition_config_selectorILNS1_17partition_subalgoE4EjNS0_10empty_typeEbEEZZNS1_14partition_implILS8_4ELb0ES6_15HIP_vector_typeIjLj2EENS0_17counting_iteratorIjlEEPS9_SG_NS0_5tupleIJPjSI_NS0_16reverse_iteratorISI_EEEEENSH_IJSG_SG_SG_EEES9_SI_JZNS1_25segmented_radix_sort_implINS0_14default_configELb1EPKsPsPKlPlN2at6native12_GLOBAL__N_18offset_tEEE10hipError_tPvRmT1_PNSt15iterator_traitsIS12_E10value_typeET2_T3_PNS13_IS18_E10value_typeET4_jRbjT5_S1E_jjP12ihipStream_tbEUljE_ZNSN_ISO_Lb1ESQ_SR_ST_SU_SY_EESZ_S10_S11_S12_S16_S17_S18_S1B_S1C_jS1D_jS1E_S1E_jjS1G_bEUljE0_EEESZ_S10_S11_S18_S1C_S1E_T6_T7_T9_mT8_S1G_bDpT10_ENKUlT_T0_E_clISt17integral_constantIbLb1EES1T_IbLb0EEEEDaS1P_S1Q_EUlS1P_E_NS1_11comp_targetILNS1_3genE9ELNS1_11target_archE1100ELNS1_3gpuE3ELNS1_3repE0EEENS1_30default_config_static_selectorELNS0_4arch9wavefront6targetE0EEEvS12_
                                        ; -- End function
	.section	.AMDGPU.csdata,"",@progbits
; Kernel info:
; codeLenInByte = 15084
; NumSgprs: 61
; NumVgprs: 98
; ScratchSize: 0
; MemoryBound: 0
; FloatMode: 240
; IeeeMode: 1
; LDSByteSize: 13340 bytes/workgroup (compile time only)
; SGPRBlocks: 7
; VGPRBlocks: 12
; NumSGPRsForWavesPerEU: 61
; NumVGPRsForWavesPerEU: 98
; Occupancy: 12
; WaveLimiterHint : 1
; COMPUTE_PGM_RSRC2:SCRATCH_EN: 0
; COMPUTE_PGM_RSRC2:USER_SGPR: 15
; COMPUTE_PGM_RSRC2:TRAP_HANDLER: 0
; COMPUTE_PGM_RSRC2:TGID_X_EN: 1
; COMPUTE_PGM_RSRC2:TGID_Y_EN: 0
; COMPUTE_PGM_RSRC2:TGID_Z_EN: 0
; COMPUTE_PGM_RSRC2:TIDIG_COMP_CNT: 0
	.section	.text._ZN7rocprim17ROCPRIM_400000_NS6detail17trampoline_kernelINS0_13select_configILj256ELj13ELNS0_17block_load_methodE3ELS4_3ELS4_3ELNS0_20block_scan_algorithmE0ELj4294967295EEENS1_25partition_config_selectorILNS1_17partition_subalgoE4EjNS0_10empty_typeEbEEZZNS1_14partition_implILS8_4ELb0ES6_15HIP_vector_typeIjLj2EENS0_17counting_iteratorIjlEEPS9_SG_NS0_5tupleIJPjSI_NS0_16reverse_iteratorISI_EEEEENSH_IJSG_SG_SG_EEES9_SI_JZNS1_25segmented_radix_sort_implINS0_14default_configELb1EPKsPsPKlPlN2at6native12_GLOBAL__N_18offset_tEEE10hipError_tPvRmT1_PNSt15iterator_traitsIS12_E10value_typeET2_T3_PNS13_IS18_E10value_typeET4_jRbjT5_S1E_jjP12ihipStream_tbEUljE_ZNSN_ISO_Lb1ESQ_SR_ST_SU_SY_EESZ_S10_S11_S12_S16_S17_S18_S1B_S1C_jS1D_jS1E_S1E_jjS1G_bEUljE0_EEESZ_S10_S11_S18_S1C_S1E_T6_T7_T9_mT8_S1G_bDpT10_ENKUlT_T0_E_clISt17integral_constantIbLb1EES1T_IbLb0EEEEDaS1P_S1Q_EUlS1P_E_NS1_11comp_targetILNS1_3genE8ELNS1_11target_archE1030ELNS1_3gpuE2ELNS1_3repE0EEENS1_30default_config_static_selectorELNS0_4arch9wavefront6targetE0EEEvS12_,"axG",@progbits,_ZN7rocprim17ROCPRIM_400000_NS6detail17trampoline_kernelINS0_13select_configILj256ELj13ELNS0_17block_load_methodE3ELS4_3ELS4_3ELNS0_20block_scan_algorithmE0ELj4294967295EEENS1_25partition_config_selectorILNS1_17partition_subalgoE4EjNS0_10empty_typeEbEEZZNS1_14partition_implILS8_4ELb0ES6_15HIP_vector_typeIjLj2EENS0_17counting_iteratorIjlEEPS9_SG_NS0_5tupleIJPjSI_NS0_16reverse_iteratorISI_EEEEENSH_IJSG_SG_SG_EEES9_SI_JZNS1_25segmented_radix_sort_implINS0_14default_configELb1EPKsPsPKlPlN2at6native12_GLOBAL__N_18offset_tEEE10hipError_tPvRmT1_PNSt15iterator_traitsIS12_E10value_typeET2_T3_PNS13_IS18_E10value_typeET4_jRbjT5_S1E_jjP12ihipStream_tbEUljE_ZNSN_ISO_Lb1ESQ_SR_ST_SU_SY_EESZ_S10_S11_S12_S16_S17_S18_S1B_S1C_jS1D_jS1E_S1E_jjS1G_bEUljE0_EEESZ_S10_S11_S18_S1C_S1E_T6_T7_T9_mT8_S1G_bDpT10_ENKUlT_T0_E_clISt17integral_constantIbLb1EES1T_IbLb0EEEEDaS1P_S1Q_EUlS1P_E_NS1_11comp_targetILNS1_3genE8ELNS1_11target_archE1030ELNS1_3gpuE2ELNS1_3repE0EEENS1_30default_config_static_selectorELNS0_4arch9wavefront6targetE0EEEvS12_,comdat
	.globl	_ZN7rocprim17ROCPRIM_400000_NS6detail17trampoline_kernelINS0_13select_configILj256ELj13ELNS0_17block_load_methodE3ELS4_3ELS4_3ELNS0_20block_scan_algorithmE0ELj4294967295EEENS1_25partition_config_selectorILNS1_17partition_subalgoE4EjNS0_10empty_typeEbEEZZNS1_14partition_implILS8_4ELb0ES6_15HIP_vector_typeIjLj2EENS0_17counting_iteratorIjlEEPS9_SG_NS0_5tupleIJPjSI_NS0_16reverse_iteratorISI_EEEEENSH_IJSG_SG_SG_EEES9_SI_JZNS1_25segmented_radix_sort_implINS0_14default_configELb1EPKsPsPKlPlN2at6native12_GLOBAL__N_18offset_tEEE10hipError_tPvRmT1_PNSt15iterator_traitsIS12_E10value_typeET2_T3_PNS13_IS18_E10value_typeET4_jRbjT5_S1E_jjP12ihipStream_tbEUljE_ZNSN_ISO_Lb1ESQ_SR_ST_SU_SY_EESZ_S10_S11_S12_S16_S17_S18_S1B_S1C_jS1D_jS1E_S1E_jjS1G_bEUljE0_EEESZ_S10_S11_S18_S1C_S1E_T6_T7_T9_mT8_S1G_bDpT10_ENKUlT_T0_E_clISt17integral_constantIbLb1EES1T_IbLb0EEEEDaS1P_S1Q_EUlS1P_E_NS1_11comp_targetILNS1_3genE8ELNS1_11target_archE1030ELNS1_3gpuE2ELNS1_3repE0EEENS1_30default_config_static_selectorELNS0_4arch9wavefront6targetE0EEEvS12_ ; -- Begin function _ZN7rocprim17ROCPRIM_400000_NS6detail17trampoline_kernelINS0_13select_configILj256ELj13ELNS0_17block_load_methodE3ELS4_3ELS4_3ELNS0_20block_scan_algorithmE0ELj4294967295EEENS1_25partition_config_selectorILNS1_17partition_subalgoE4EjNS0_10empty_typeEbEEZZNS1_14partition_implILS8_4ELb0ES6_15HIP_vector_typeIjLj2EENS0_17counting_iteratorIjlEEPS9_SG_NS0_5tupleIJPjSI_NS0_16reverse_iteratorISI_EEEEENSH_IJSG_SG_SG_EEES9_SI_JZNS1_25segmented_radix_sort_implINS0_14default_configELb1EPKsPsPKlPlN2at6native12_GLOBAL__N_18offset_tEEE10hipError_tPvRmT1_PNSt15iterator_traitsIS12_E10value_typeET2_T3_PNS13_IS18_E10value_typeET4_jRbjT5_S1E_jjP12ihipStream_tbEUljE_ZNSN_ISO_Lb1ESQ_SR_ST_SU_SY_EESZ_S10_S11_S12_S16_S17_S18_S1B_S1C_jS1D_jS1E_S1E_jjS1G_bEUljE0_EEESZ_S10_S11_S18_S1C_S1E_T6_T7_T9_mT8_S1G_bDpT10_ENKUlT_T0_E_clISt17integral_constantIbLb1EES1T_IbLb0EEEEDaS1P_S1Q_EUlS1P_E_NS1_11comp_targetILNS1_3genE8ELNS1_11target_archE1030ELNS1_3gpuE2ELNS1_3repE0EEENS1_30default_config_static_selectorELNS0_4arch9wavefront6targetE0EEEvS12_
	.p2align	8
	.type	_ZN7rocprim17ROCPRIM_400000_NS6detail17trampoline_kernelINS0_13select_configILj256ELj13ELNS0_17block_load_methodE3ELS4_3ELS4_3ELNS0_20block_scan_algorithmE0ELj4294967295EEENS1_25partition_config_selectorILNS1_17partition_subalgoE4EjNS0_10empty_typeEbEEZZNS1_14partition_implILS8_4ELb0ES6_15HIP_vector_typeIjLj2EENS0_17counting_iteratorIjlEEPS9_SG_NS0_5tupleIJPjSI_NS0_16reverse_iteratorISI_EEEEENSH_IJSG_SG_SG_EEES9_SI_JZNS1_25segmented_radix_sort_implINS0_14default_configELb1EPKsPsPKlPlN2at6native12_GLOBAL__N_18offset_tEEE10hipError_tPvRmT1_PNSt15iterator_traitsIS12_E10value_typeET2_T3_PNS13_IS18_E10value_typeET4_jRbjT5_S1E_jjP12ihipStream_tbEUljE_ZNSN_ISO_Lb1ESQ_SR_ST_SU_SY_EESZ_S10_S11_S12_S16_S17_S18_S1B_S1C_jS1D_jS1E_S1E_jjS1G_bEUljE0_EEESZ_S10_S11_S18_S1C_S1E_T6_T7_T9_mT8_S1G_bDpT10_ENKUlT_T0_E_clISt17integral_constantIbLb1EES1T_IbLb0EEEEDaS1P_S1Q_EUlS1P_E_NS1_11comp_targetILNS1_3genE8ELNS1_11target_archE1030ELNS1_3gpuE2ELNS1_3repE0EEENS1_30default_config_static_selectorELNS0_4arch9wavefront6targetE0EEEvS12_,@function
_ZN7rocprim17ROCPRIM_400000_NS6detail17trampoline_kernelINS0_13select_configILj256ELj13ELNS0_17block_load_methodE3ELS4_3ELS4_3ELNS0_20block_scan_algorithmE0ELj4294967295EEENS1_25partition_config_selectorILNS1_17partition_subalgoE4EjNS0_10empty_typeEbEEZZNS1_14partition_implILS8_4ELb0ES6_15HIP_vector_typeIjLj2EENS0_17counting_iteratorIjlEEPS9_SG_NS0_5tupleIJPjSI_NS0_16reverse_iteratorISI_EEEEENSH_IJSG_SG_SG_EEES9_SI_JZNS1_25segmented_radix_sort_implINS0_14default_configELb1EPKsPsPKlPlN2at6native12_GLOBAL__N_18offset_tEEE10hipError_tPvRmT1_PNSt15iterator_traitsIS12_E10value_typeET2_T3_PNS13_IS18_E10value_typeET4_jRbjT5_S1E_jjP12ihipStream_tbEUljE_ZNSN_ISO_Lb1ESQ_SR_ST_SU_SY_EESZ_S10_S11_S12_S16_S17_S18_S1B_S1C_jS1D_jS1E_S1E_jjS1G_bEUljE0_EEESZ_S10_S11_S18_S1C_S1E_T6_T7_T9_mT8_S1G_bDpT10_ENKUlT_T0_E_clISt17integral_constantIbLb1EES1T_IbLb0EEEEDaS1P_S1Q_EUlS1P_E_NS1_11comp_targetILNS1_3genE8ELNS1_11target_archE1030ELNS1_3gpuE2ELNS1_3repE0EEENS1_30default_config_static_selectorELNS0_4arch9wavefront6targetE0EEEvS12_: ; @_ZN7rocprim17ROCPRIM_400000_NS6detail17trampoline_kernelINS0_13select_configILj256ELj13ELNS0_17block_load_methodE3ELS4_3ELS4_3ELNS0_20block_scan_algorithmE0ELj4294967295EEENS1_25partition_config_selectorILNS1_17partition_subalgoE4EjNS0_10empty_typeEbEEZZNS1_14partition_implILS8_4ELb0ES6_15HIP_vector_typeIjLj2EENS0_17counting_iteratorIjlEEPS9_SG_NS0_5tupleIJPjSI_NS0_16reverse_iteratorISI_EEEEENSH_IJSG_SG_SG_EEES9_SI_JZNS1_25segmented_radix_sort_implINS0_14default_configELb1EPKsPsPKlPlN2at6native12_GLOBAL__N_18offset_tEEE10hipError_tPvRmT1_PNSt15iterator_traitsIS12_E10value_typeET2_T3_PNS13_IS18_E10value_typeET4_jRbjT5_S1E_jjP12ihipStream_tbEUljE_ZNSN_ISO_Lb1ESQ_SR_ST_SU_SY_EESZ_S10_S11_S12_S16_S17_S18_S1B_S1C_jS1D_jS1E_S1E_jjS1G_bEUljE0_EEESZ_S10_S11_S18_S1C_S1E_T6_T7_T9_mT8_S1G_bDpT10_ENKUlT_T0_E_clISt17integral_constantIbLb1EES1T_IbLb0EEEEDaS1P_S1Q_EUlS1P_E_NS1_11comp_targetILNS1_3genE8ELNS1_11target_archE1030ELNS1_3gpuE2ELNS1_3repE0EEENS1_30default_config_static_selectorELNS0_4arch9wavefront6targetE0EEEvS12_
; %bb.0:
	.section	.rodata,"a",@progbits
	.p2align	6, 0x0
	.amdhsa_kernel _ZN7rocprim17ROCPRIM_400000_NS6detail17trampoline_kernelINS0_13select_configILj256ELj13ELNS0_17block_load_methodE3ELS4_3ELS4_3ELNS0_20block_scan_algorithmE0ELj4294967295EEENS1_25partition_config_selectorILNS1_17partition_subalgoE4EjNS0_10empty_typeEbEEZZNS1_14partition_implILS8_4ELb0ES6_15HIP_vector_typeIjLj2EENS0_17counting_iteratorIjlEEPS9_SG_NS0_5tupleIJPjSI_NS0_16reverse_iteratorISI_EEEEENSH_IJSG_SG_SG_EEES9_SI_JZNS1_25segmented_radix_sort_implINS0_14default_configELb1EPKsPsPKlPlN2at6native12_GLOBAL__N_18offset_tEEE10hipError_tPvRmT1_PNSt15iterator_traitsIS12_E10value_typeET2_T3_PNS13_IS18_E10value_typeET4_jRbjT5_S1E_jjP12ihipStream_tbEUljE_ZNSN_ISO_Lb1ESQ_SR_ST_SU_SY_EESZ_S10_S11_S12_S16_S17_S18_S1B_S1C_jS1D_jS1E_S1E_jjS1G_bEUljE0_EEESZ_S10_S11_S18_S1C_S1E_T6_T7_T9_mT8_S1G_bDpT10_ENKUlT_T0_E_clISt17integral_constantIbLb1EES1T_IbLb0EEEEDaS1P_S1Q_EUlS1P_E_NS1_11comp_targetILNS1_3genE8ELNS1_11target_archE1030ELNS1_3gpuE2ELNS1_3repE0EEENS1_30default_config_static_selectorELNS0_4arch9wavefront6targetE0EEEvS12_
		.amdhsa_group_segment_fixed_size 0
		.amdhsa_private_segment_fixed_size 0
		.amdhsa_kernarg_size 176
		.amdhsa_user_sgpr_count 15
		.amdhsa_user_sgpr_dispatch_ptr 0
		.amdhsa_user_sgpr_queue_ptr 0
		.amdhsa_user_sgpr_kernarg_segment_ptr 1
		.amdhsa_user_sgpr_dispatch_id 0
		.amdhsa_user_sgpr_private_segment_size 0
		.amdhsa_wavefront_size32 1
		.amdhsa_uses_dynamic_stack 0
		.amdhsa_enable_private_segment 0
		.amdhsa_system_sgpr_workgroup_id_x 1
		.amdhsa_system_sgpr_workgroup_id_y 0
		.amdhsa_system_sgpr_workgroup_id_z 0
		.amdhsa_system_sgpr_workgroup_info 0
		.amdhsa_system_vgpr_workitem_id 0
		.amdhsa_next_free_vgpr 1
		.amdhsa_next_free_sgpr 1
		.amdhsa_reserve_vcc 0
		.amdhsa_float_round_mode_32 0
		.amdhsa_float_round_mode_16_64 0
		.amdhsa_float_denorm_mode_32 3
		.amdhsa_float_denorm_mode_16_64 3
		.amdhsa_dx10_clamp 1
		.amdhsa_ieee_mode 1
		.amdhsa_fp16_overflow 0
		.amdhsa_workgroup_processor_mode 1
		.amdhsa_memory_ordered 1
		.amdhsa_forward_progress 0
		.amdhsa_shared_vgpr_count 0
		.amdhsa_exception_fp_ieee_invalid_op 0
		.amdhsa_exception_fp_denorm_src 0
		.amdhsa_exception_fp_ieee_div_zero 0
		.amdhsa_exception_fp_ieee_overflow 0
		.amdhsa_exception_fp_ieee_underflow 0
		.amdhsa_exception_fp_ieee_inexact 0
		.amdhsa_exception_int_div_zero 0
	.end_amdhsa_kernel
	.section	.text._ZN7rocprim17ROCPRIM_400000_NS6detail17trampoline_kernelINS0_13select_configILj256ELj13ELNS0_17block_load_methodE3ELS4_3ELS4_3ELNS0_20block_scan_algorithmE0ELj4294967295EEENS1_25partition_config_selectorILNS1_17partition_subalgoE4EjNS0_10empty_typeEbEEZZNS1_14partition_implILS8_4ELb0ES6_15HIP_vector_typeIjLj2EENS0_17counting_iteratorIjlEEPS9_SG_NS0_5tupleIJPjSI_NS0_16reverse_iteratorISI_EEEEENSH_IJSG_SG_SG_EEES9_SI_JZNS1_25segmented_radix_sort_implINS0_14default_configELb1EPKsPsPKlPlN2at6native12_GLOBAL__N_18offset_tEEE10hipError_tPvRmT1_PNSt15iterator_traitsIS12_E10value_typeET2_T3_PNS13_IS18_E10value_typeET4_jRbjT5_S1E_jjP12ihipStream_tbEUljE_ZNSN_ISO_Lb1ESQ_SR_ST_SU_SY_EESZ_S10_S11_S12_S16_S17_S18_S1B_S1C_jS1D_jS1E_S1E_jjS1G_bEUljE0_EEESZ_S10_S11_S18_S1C_S1E_T6_T7_T9_mT8_S1G_bDpT10_ENKUlT_T0_E_clISt17integral_constantIbLb1EES1T_IbLb0EEEEDaS1P_S1Q_EUlS1P_E_NS1_11comp_targetILNS1_3genE8ELNS1_11target_archE1030ELNS1_3gpuE2ELNS1_3repE0EEENS1_30default_config_static_selectorELNS0_4arch9wavefront6targetE0EEEvS12_,"axG",@progbits,_ZN7rocprim17ROCPRIM_400000_NS6detail17trampoline_kernelINS0_13select_configILj256ELj13ELNS0_17block_load_methodE3ELS4_3ELS4_3ELNS0_20block_scan_algorithmE0ELj4294967295EEENS1_25partition_config_selectorILNS1_17partition_subalgoE4EjNS0_10empty_typeEbEEZZNS1_14partition_implILS8_4ELb0ES6_15HIP_vector_typeIjLj2EENS0_17counting_iteratorIjlEEPS9_SG_NS0_5tupleIJPjSI_NS0_16reverse_iteratorISI_EEEEENSH_IJSG_SG_SG_EEES9_SI_JZNS1_25segmented_radix_sort_implINS0_14default_configELb1EPKsPsPKlPlN2at6native12_GLOBAL__N_18offset_tEEE10hipError_tPvRmT1_PNSt15iterator_traitsIS12_E10value_typeET2_T3_PNS13_IS18_E10value_typeET4_jRbjT5_S1E_jjP12ihipStream_tbEUljE_ZNSN_ISO_Lb1ESQ_SR_ST_SU_SY_EESZ_S10_S11_S12_S16_S17_S18_S1B_S1C_jS1D_jS1E_S1E_jjS1G_bEUljE0_EEESZ_S10_S11_S18_S1C_S1E_T6_T7_T9_mT8_S1G_bDpT10_ENKUlT_T0_E_clISt17integral_constantIbLb1EES1T_IbLb0EEEEDaS1P_S1Q_EUlS1P_E_NS1_11comp_targetILNS1_3genE8ELNS1_11target_archE1030ELNS1_3gpuE2ELNS1_3repE0EEENS1_30default_config_static_selectorELNS0_4arch9wavefront6targetE0EEEvS12_,comdat
.Lfunc_end870:
	.size	_ZN7rocprim17ROCPRIM_400000_NS6detail17trampoline_kernelINS0_13select_configILj256ELj13ELNS0_17block_load_methodE3ELS4_3ELS4_3ELNS0_20block_scan_algorithmE0ELj4294967295EEENS1_25partition_config_selectorILNS1_17partition_subalgoE4EjNS0_10empty_typeEbEEZZNS1_14partition_implILS8_4ELb0ES6_15HIP_vector_typeIjLj2EENS0_17counting_iteratorIjlEEPS9_SG_NS0_5tupleIJPjSI_NS0_16reverse_iteratorISI_EEEEENSH_IJSG_SG_SG_EEES9_SI_JZNS1_25segmented_radix_sort_implINS0_14default_configELb1EPKsPsPKlPlN2at6native12_GLOBAL__N_18offset_tEEE10hipError_tPvRmT1_PNSt15iterator_traitsIS12_E10value_typeET2_T3_PNS13_IS18_E10value_typeET4_jRbjT5_S1E_jjP12ihipStream_tbEUljE_ZNSN_ISO_Lb1ESQ_SR_ST_SU_SY_EESZ_S10_S11_S12_S16_S17_S18_S1B_S1C_jS1D_jS1E_S1E_jjS1G_bEUljE0_EEESZ_S10_S11_S18_S1C_S1E_T6_T7_T9_mT8_S1G_bDpT10_ENKUlT_T0_E_clISt17integral_constantIbLb1EES1T_IbLb0EEEEDaS1P_S1Q_EUlS1P_E_NS1_11comp_targetILNS1_3genE8ELNS1_11target_archE1030ELNS1_3gpuE2ELNS1_3repE0EEENS1_30default_config_static_selectorELNS0_4arch9wavefront6targetE0EEEvS12_, .Lfunc_end870-_ZN7rocprim17ROCPRIM_400000_NS6detail17trampoline_kernelINS0_13select_configILj256ELj13ELNS0_17block_load_methodE3ELS4_3ELS4_3ELNS0_20block_scan_algorithmE0ELj4294967295EEENS1_25partition_config_selectorILNS1_17partition_subalgoE4EjNS0_10empty_typeEbEEZZNS1_14partition_implILS8_4ELb0ES6_15HIP_vector_typeIjLj2EENS0_17counting_iteratorIjlEEPS9_SG_NS0_5tupleIJPjSI_NS0_16reverse_iteratorISI_EEEEENSH_IJSG_SG_SG_EEES9_SI_JZNS1_25segmented_radix_sort_implINS0_14default_configELb1EPKsPsPKlPlN2at6native12_GLOBAL__N_18offset_tEEE10hipError_tPvRmT1_PNSt15iterator_traitsIS12_E10value_typeET2_T3_PNS13_IS18_E10value_typeET4_jRbjT5_S1E_jjP12ihipStream_tbEUljE_ZNSN_ISO_Lb1ESQ_SR_ST_SU_SY_EESZ_S10_S11_S12_S16_S17_S18_S1B_S1C_jS1D_jS1E_S1E_jjS1G_bEUljE0_EEESZ_S10_S11_S18_S1C_S1E_T6_T7_T9_mT8_S1G_bDpT10_ENKUlT_T0_E_clISt17integral_constantIbLb1EES1T_IbLb0EEEEDaS1P_S1Q_EUlS1P_E_NS1_11comp_targetILNS1_3genE8ELNS1_11target_archE1030ELNS1_3gpuE2ELNS1_3repE0EEENS1_30default_config_static_selectorELNS0_4arch9wavefront6targetE0EEEvS12_
                                        ; -- End function
	.section	.AMDGPU.csdata,"",@progbits
; Kernel info:
; codeLenInByte = 0
; NumSgprs: 0
; NumVgprs: 0
; ScratchSize: 0
; MemoryBound: 0
; FloatMode: 240
; IeeeMode: 1
; LDSByteSize: 0 bytes/workgroup (compile time only)
; SGPRBlocks: 0
; VGPRBlocks: 0
; NumSGPRsForWavesPerEU: 1
; NumVGPRsForWavesPerEU: 1
; Occupancy: 16
; WaveLimiterHint : 0
; COMPUTE_PGM_RSRC2:SCRATCH_EN: 0
; COMPUTE_PGM_RSRC2:USER_SGPR: 15
; COMPUTE_PGM_RSRC2:TRAP_HANDLER: 0
; COMPUTE_PGM_RSRC2:TGID_X_EN: 1
; COMPUTE_PGM_RSRC2:TGID_Y_EN: 0
; COMPUTE_PGM_RSRC2:TGID_Z_EN: 0
; COMPUTE_PGM_RSRC2:TIDIG_COMP_CNT: 0
	.section	.text._ZN7rocprim17ROCPRIM_400000_NS6detail17trampoline_kernelINS0_13select_configILj256ELj13ELNS0_17block_load_methodE3ELS4_3ELS4_3ELNS0_20block_scan_algorithmE0ELj4294967295EEENS1_25partition_config_selectorILNS1_17partition_subalgoE4EjNS0_10empty_typeEbEEZZNS1_14partition_implILS8_4ELb0ES6_15HIP_vector_typeIjLj2EENS0_17counting_iteratorIjlEEPS9_SG_NS0_5tupleIJPjSI_NS0_16reverse_iteratorISI_EEEEENSH_IJSG_SG_SG_EEES9_SI_JZNS1_25segmented_radix_sort_implINS0_14default_configELb1EPKsPsPKlPlN2at6native12_GLOBAL__N_18offset_tEEE10hipError_tPvRmT1_PNSt15iterator_traitsIS12_E10value_typeET2_T3_PNS13_IS18_E10value_typeET4_jRbjT5_S1E_jjP12ihipStream_tbEUljE_ZNSN_ISO_Lb1ESQ_SR_ST_SU_SY_EESZ_S10_S11_S12_S16_S17_S18_S1B_S1C_jS1D_jS1E_S1E_jjS1G_bEUljE0_EEESZ_S10_S11_S18_S1C_S1E_T6_T7_T9_mT8_S1G_bDpT10_ENKUlT_T0_E_clISt17integral_constantIbLb0EES1T_IbLb1EEEEDaS1P_S1Q_EUlS1P_E_NS1_11comp_targetILNS1_3genE0ELNS1_11target_archE4294967295ELNS1_3gpuE0ELNS1_3repE0EEENS1_30default_config_static_selectorELNS0_4arch9wavefront6targetE0EEEvS12_,"axG",@progbits,_ZN7rocprim17ROCPRIM_400000_NS6detail17trampoline_kernelINS0_13select_configILj256ELj13ELNS0_17block_load_methodE3ELS4_3ELS4_3ELNS0_20block_scan_algorithmE0ELj4294967295EEENS1_25partition_config_selectorILNS1_17partition_subalgoE4EjNS0_10empty_typeEbEEZZNS1_14partition_implILS8_4ELb0ES6_15HIP_vector_typeIjLj2EENS0_17counting_iteratorIjlEEPS9_SG_NS0_5tupleIJPjSI_NS0_16reverse_iteratorISI_EEEEENSH_IJSG_SG_SG_EEES9_SI_JZNS1_25segmented_radix_sort_implINS0_14default_configELb1EPKsPsPKlPlN2at6native12_GLOBAL__N_18offset_tEEE10hipError_tPvRmT1_PNSt15iterator_traitsIS12_E10value_typeET2_T3_PNS13_IS18_E10value_typeET4_jRbjT5_S1E_jjP12ihipStream_tbEUljE_ZNSN_ISO_Lb1ESQ_SR_ST_SU_SY_EESZ_S10_S11_S12_S16_S17_S18_S1B_S1C_jS1D_jS1E_S1E_jjS1G_bEUljE0_EEESZ_S10_S11_S18_S1C_S1E_T6_T7_T9_mT8_S1G_bDpT10_ENKUlT_T0_E_clISt17integral_constantIbLb0EES1T_IbLb1EEEEDaS1P_S1Q_EUlS1P_E_NS1_11comp_targetILNS1_3genE0ELNS1_11target_archE4294967295ELNS1_3gpuE0ELNS1_3repE0EEENS1_30default_config_static_selectorELNS0_4arch9wavefront6targetE0EEEvS12_,comdat
	.globl	_ZN7rocprim17ROCPRIM_400000_NS6detail17trampoline_kernelINS0_13select_configILj256ELj13ELNS0_17block_load_methodE3ELS4_3ELS4_3ELNS0_20block_scan_algorithmE0ELj4294967295EEENS1_25partition_config_selectorILNS1_17partition_subalgoE4EjNS0_10empty_typeEbEEZZNS1_14partition_implILS8_4ELb0ES6_15HIP_vector_typeIjLj2EENS0_17counting_iteratorIjlEEPS9_SG_NS0_5tupleIJPjSI_NS0_16reverse_iteratorISI_EEEEENSH_IJSG_SG_SG_EEES9_SI_JZNS1_25segmented_radix_sort_implINS0_14default_configELb1EPKsPsPKlPlN2at6native12_GLOBAL__N_18offset_tEEE10hipError_tPvRmT1_PNSt15iterator_traitsIS12_E10value_typeET2_T3_PNS13_IS18_E10value_typeET4_jRbjT5_S1E_jjP12ihipStream_tbEUljE_ZNSN_ISO_Lb1ESQ_SR_ST_SU_SY_EESZ_S10_S11_S12_S16_S17_S18_S1B_S1C_jS1D_jS1E_S1E_jjS1G_bEUljE0_EEESZ_S10_S11_S18_S1C_S1E_T6_T7_T9_mT8_S1G_bDpT10_ENKUlT_T0_E_clISt17integral_constantIbLb0EES1T_IbLb1EEEEDaS1P_S1Q_EUlS1P_E_NS1_11comp_targetILNS1_3genE0ELNS1_11target_archE4294967295ELNS1_3gpuE0ELNS1_3repE0EEENS1_30default_config_static_selectorELNS0_4arch9wavefront6targetE0EEEvS12_ ; -- Begin function _ZN7rocprim17ROCPRIM_400000_NS6detail17trampoline_kernelINS0_13select_configILj256ELj13ELNS0_17block_load_methodE3ELS4_3ELS4_3ELNS0_20block_scan_algorithmE0ELj4294967295EEENS1_25partition_config_selectorILNS1_17partition_subalgoE4EjNS0_10empty_typeEbEEZZNS1_14partition_implILS8_4ELb0ES6_15HIP_vector_typeIjLj2EENS0_17counting_iteratorIjlEEPS9_SG_NS0_5tupleIJPjSI_NS0_16reverse_iteratorISI_EEEEENSH_IJSG_SG_SG_EEES9_SI_JZNS1_25segmented_radix_sort_implINS0_14default_configELb1EPKsPsPKlPlN2at6native12_GLOBAL__N_18offset_tEEE10hipError_tPvRmT1_PNSt15iterator_traitsIS12_E10value_typeET2_T3_PNS13_IS18_E10value_typeET4_jRbjT5_S1E_jjP12ihipStream_tbEUljE_ZNSN_ISO_Lb1ESQ_SR_ST_SU_SY_EESZ_S10_S11_S12_S16_S17_S18_S1B_S1C_jS1D_jS1E_S1E_jjS1G_bEUljE0_EEESZ_S10_S11_S18_S1C_S1E_T6_T7_T9_mT8_S1G_bDpT10_ENKUlT_T0_E_clISt17integral_constantIbLb0EES1T_IbLb1EEEEDaS1P_S1Q_EUlS1P_E_NS1_11comp_targetILNS1_3genE0ELNS1_11target_archE4294967295ELNS1_3gpuE0ELNS1_3repE0EEENS1_30default_config_static_selectorELNS0_4arch9wavefront6targetE0EEEvS12_
	.p2align	8
	.type	_ZN7rocprim17ROCPRIM_400000_NS6detail17trampoline_kernelINS0_13select_configILj256ELj13ELNS0_17block_load_methodE3ELS4_3ELS4_3ELNS0_20block_scan_algorithmE0ELj4294967295EEENS1_25partition_config_selectorILNS1_17partition_subalgoE4EjNS0_10empty_typeEbEEZZNS1_14partition_implILS8_4ELb0ES6_15HIP_vector_typeIjLj2EENS0_17counting_iteratorIjlEEPS9_SG_NS0_5tupleIJPjSI_NS0_16reverse_iteratorISI_EEEEENSH_IJSG_SG_SG_EEES9_SI_JZNS1_25segmented_radix_sort_implINS0_14default_configELb1EPKsPsPKlPlN2at6native12_GLOBAL__N_18offset_tEEE10hipError_tPvRmT1_PNSt15iterator_traitsIS12_E10value_typeET2_T3_PNS13_IS18_E10value_typeET4_jRbjT5_S1E_jjP12ihipStream_tbEUljE_ZNSN_ISO_Lb1ESQ_SR_ST_SU_SY_EESZ_S10_S11_S12_S16_S17_S18_S1B_S1C_jS1D_jS1E_S1E_jjS1G_bEUljE0_EEESZ_S10_S11_S18_S1C_S1E_T6_T7_T9_mT8_S1G_bDpT10_ENKUlT_T0_E_clISt17integral_constantIbLb0EES1T_IbLb1EEEEDaS1P_S1Q_EUlS1P_E_NS1_11comp_targetILNS1_3genE0ELNS1_11target_archE4294967295ELNS1_3gpuE0ELNS1_3repE0EEENS1_30default_config_static_selectorELNS0_4arch9wavefront6targetE0EEEvS12_,@function
_ZN7rocprim17ROCPRIM_400000_NS6detail17trampoline_kernelINS0_13select_configILj256ELj13ELNS0_17block_load_methodE3ELS4_3ELS4_3ELNS0_20block_scan_algorithmE0ELj4294967295EEENS1_25partition_config_selectorILNS1_17partition_subalgoE4EjNS0_10empty_typeEbEEZZNS1_14partition_implILS8_4ELb0ES6_15HIP_vector_typeIjLj2EENS0_17counting_iteratorIjlEEPS9_SG_NS0_5tupleIJPjSI_NS0_16reverse_iteratorISI_EEEEENSH_IJSG_SG_SG_EEES9_SI_JZNS1_25segmented_radix_sort_implINS0_14default_configELb1EPKsPsPKlPlN2at6native12_GLOBAL__N_18offset_tEEE10hipError_tPvRmT1_PNSt15iterator_traitsIS12_E10value_typeET2_T3_PNS13_IS18_E10value_typeET4_jRbjT5_S1E_jjP12ihipStream_tbEUljE_ZNSN_ISO_Lb1ESQ_SR_ST_SU_SY_EESZ_S10_S11_S12_S16_S17_S18_S1B_S1C_jS1D_jS1E_S1E_jjS1G_bEUljE0_EEESZ_S10_S11_S18_S1C_S1E_T6_T7_T9_mT8_S1G_bDpT10_ENKUlT_T0_E_clISt17integral_constantIbLb0EES1T_IbLb1EEEEDaS1P_S1Q_EUlS1P_E_NS1_11comp_targetILNS1_3genE0ELNS1_11target_archE4294967295ELNS1_3gpuE0ELNS1_3repE0EEENS1_30default_config_static_selectorELNS0_4arch9wavefront6targetE0EEEvS12_: ; @_ZN7rocprim17ROCPRIM_400000_NS6detail17trampoline_kernelINS0_13select_configILj256ELj13ELNS0_17block_load_methodE3ELS4_3ELS4_3ELNS0_20block_scan_algorithmE0ELj4294967295EEENS1_25partition_config_selectorILNS1_17partition_subalgoE4EjNS0_10empty_typeEbEEZZNS1_14partition_implILS8_4ELb0ES6_15HIP_vector_typeIjLj2EENS0_17counting_iteratorIjlEEPS9_SG_NS0_5tupleIJPjSI_NS0_16reverse_iteratorISI_EEEEENSH_IJSG_SG_SG_EEES9_SI_JZNS1_25segmented_radix_sort_implINS0_14default_configELb1EPKsPsPKlPlN2at6native12_GLOBAL__N_18offset_tEEE10hipError_tPvRmT1_PNSt15iterator_traitsIS12_E10value_typeET2_T3_PNS13_IS18_E10value_typeET4_jRbjT5_S1E_jjP12ihipStream_tbEUljE_ZNSN_ISO_Lb1ESQ_SR_ST_SU_SY_EESZ_S10_S11_S12_S16_S17_S18_S1B_S1C_jS1D_jS1E_S1E_jjS1G_bEUljE0_EEESZ_S10_S11_S18_S1C_S1E_T6_T7_T9_mT8_S1G_bDpT10_ENKUlT_T0_E_clISt17integral_constantIbLb0EES1T_IbLb1EEEEDaS1P_S1Q_EUlS1P_E_NS1_11comp_targetILNS1_3genE0ELNS1_11target_archE4294967295ELNS1_3gpuE0ELNS1_3repE0EEENS1_30default_config_static_selectorELNS0_4arch9wavefront6targetE0EEEvS12_
; %bb.0:
	.section	.rodata,"a",@progbits
	.p2align	6, 0x0
	.amdhsa_kernel _ZN7rocprim17ROCPRIM_400000_NS6detail17trampoline_kernelINS0_13select_configILj256ELj13ELNS0_17block_load_methodE3ELS4_3ELS4_3ELNS0_20block_scan_algorithmE0ELj4294967295EEENS1_25partition_config_selectorILNS1_17partition_subalgoE4EjNS0_10empty_typeEbEEZZNS1_14partition_implILS8_4ELb0ES6_15HIP_vector_typeIjLj2EENS0_17counting_iteratorIjlEEPS9_SG_NS0_5tupleIJPjSI_NS0_16reverse_iteratorISI_EEEEENSH_IJSG_SG_SG_EEES9_SI_JZNS1_25segmented_radix_sort_implINS0_14default_configELb1EPKsPsPKlPlN2at6native12_GLOBAL__N_18offset_tEEE10hipError_tPvRmT1_PNSt15iterator_traitsIS12_E10value_typeET2_T3_PNS13_IS18_E10value_typeET4_jRbjT5_S1E_jjP12ihipStream_tbEUljE_ZNSN_ISO_Lb1ESQ_SR_ST_SU_SY_EESZ_S10_S11_S12_S16_S17_S18_S1B_S1C_jS1D_jS1E_S1E_jjS1G_bEUljE0_EEESZ_S10_S11_S18_S1C_S1E_T6_T7_T9_mT8_S1G_bDpT10_ENKUlT_T0_E_clISt17integral_constantIbLb0EES1T_IbLb1EEEEDaS1P_S1Q_EUlS1P_E_NS1_11comp_targetILNS1_3genE0ELNS1_11target_archE4294967295ELNS1_3gpuE0ELNS1_3repE0EEENS1_30default_config_static_selectorELNS0_4arch9wavefront6targetE0EEEvS12_
		.amdhsa_group_segment_fixed_size 0
		.amdhsa_private_segment_fixed_size 0
		.amdhsa_kernarg_size 184
		.amdhsa_user_sgpr_count 15
		.amdhsa_user_sgpr_dispatch_ptr 0
		.amdhsa_user_sgpr_queue_ptr 0
		.amdhsa_user_sgpr_kernarg_segment_ptr 1
		.amdhsa_user_sgpr_dispatch_id 0
		.amdhsa_user_sgpr_private_segment_size 0
		.amdhsa_wavefront_size32 1
		.amdhsa_uses_dynamic_stack 0
		.amdhsa_enable_private_segment 0
		.amdhsa_system_sgpr_workgroup_id_x 1
		.amdhsa_system_sgpr_workgroup_id_y 0
		.amdhsa_system_sgpr_workgroup_id_z 0
		.amdhsa_system_sgpr_workgroup_info 0
		.amdhsa_system_vgpr_workitem_id 0
		.amdhsa_next_free_vgpr 1
		.amdhsa_next_free_sgpr 1
		.amdhsa_reserve_vcc 0
		.amdhsa_float_round_mode_32 0
		.amdhsa_float_round_mode_16_64 0
		.amdhsa_float_denorm_mode_32 3
		.amdhsa_float_denorm_mode_16_64 3
		.amdhsa_dx10_clamp 1
		.amdhsa_ieee_mode 1
		.amdhsa_fp16_overflow 0
		.amdhsa_workgroup_processor_mode 1
		.amdhsa_memory_ordered 1
		.amdhsa_forward_progress 0
		.amdhsa_shared_vgpr_count 0
		.amdhsa_exception_fp_ieee_invalid_op 0
		.amdhsa_exception_fp_denorm_src 0
		.amdhsa_exception_fp_ieee_div_zero 0
		.amdhsa_exception_fp_ieee_overflow 0
		.amdhsa_exception_fp_ieee_underflow 0
		.amdhsa_exception_fp_ieee_inexact 0
		.amdhsa_exception_int_div_zero 0
	.end_amdhsa_kernel
	.section	.text._ZN7rocprim17ROCPRIM_400000_NS6detail17trampoline_kernelINS0_13select_configILj256ELj13ELNS0_17block_load_methodE3ELS4_3ELS4_3ELNS0_20block_scan_algorithmE0ELj4294967295EEENS1_25partition_config_selectorILNS1_17partition_subalgoE4EjNS0_10empty_typeEbEEZZNS1_14partition_implILS8_4ELb0ES6_15HIP_vector_typeIjLj2EENS0_17counting_iteratorIjlEEPS9_SG_NS0_5tupleIJPjSI_NS0_16reverse_iteratorISI_EEEEENSH_IJSG_SG_SG_EEES9_SI_JZNS1_25segmented_radix_sort_implINS0_14default_configELb1EPKsPsPKlPlN2at6native12_GLOBAL__N_18offset_tEEE10hipError_tPvRmT1_PNSt15iterator_traitsIS12_E10value_typeET2_T3_PNS13_IS18_E10value_typeET4_jRbjT5_S1E_jjP12ihipStream_tbEUljE_ZNSN_ISO_Lb1ESQ_SR_ST_SU_SY_EESZ_S10_S11_S12_S16_S17_S18_S1B_S1C_jS1D_jS1E_S1E_jjS1G_bEUljE0_EEESZ_S10_S11_S18_S1C_S1E_T6_T7_T9_mT8_S1G_bDpT10_ENKUlT_T0_E_clISt17integral_constantIbLb0EES1T_IbLb1EEEEDaS1P_S1Q_EUlS1P_E_NS1_11comp_targetILNS1_3genE0ELNS1_11target_archE4294967295ELNS1_3gpuE0ELNS1_3repE0EEENS1_30default_config_static_selectorELNS0_4arch9wavefront6targetE0EEEvS12_,"axG",@progbits,_ZN7rocprim17ROCPRIM_400000_NS6detail17trampoline_kernelINS0_13select_configILj256ELj13ELNS0_17block_load_methodE3ELS4_3ELS4_3ELNS0_20block_scan_algorithmE0ELj4294967295EEENS1_25partition_config_selectorILNS1_17partition_subalgoE4EjNS0_10empty_typeEbEEZZNS1_14partition_implILS8_4ELb0ES6_15HIP_vector_typeIjLj2EENS0_17counting_iteratorIjlEEPS9_SG_NS0_5tupleIJPjSI_NS0_16reverse_iteratorISI_EEEEENSH_IJSG_SG_SG_EEES9_SI_JZNS1_25segmented_radix_sort_implINS0_14default_configELb1EPKsPsPKlPlN2at6native12_GLOBAL__N_18offset_tEEE10hipError_tPvRmT1_PNSt15iterator_traitsIS12_E10value_typeET2_T3_PNS13_IS18_E10value_typeET4_jRbjT5_S1E_jjP12ihipStream_tbEUljE_ZNSN_ISO_Lb1ESQ_SR_ST_SU_SY_EESZ_S10_S11_S12_S16_S17_S18_S1B_S1C_jS1D_jS1E_S1E_jjS1G_bEUljE0_EEESZ_S10_S11_S18_S1C_S1E_T6_T7_T9_mT8_S1G_bDpT10_ENKUlT_T0_E_clISt17integral_constantIbLb0EES1T_IbLb1EEEEDaS1P_S1Q_EUlS1P_E_NS1_11comp_targetILNS1_3genE0ELNS1_11target_archE4294967295ELNS1_3gpuE0ELNS1_3repE0EEENS1_30default_config_static_selectorELNS0_4arch9wavefront6targetE0EEEvS12_,comdat
.Lfunc_end871:
	.size	_ZN7rocprim17ROCPRIM_400000_NS6detail17trampoline_kernelINS0_13select_configILj256ELj13ELNS0_17block_load_methodE3ELS4_3ELS4_3ELNS0_20block_scan_algorithmE0ELj4294967295EEENS1_25partition_config_selectorILNS1_17partition_subalgoE4EjNS0_10empty_typeEbEEZZNS1_14partition_implILS8_4ELb0ES6_15HIP_vector_typeIjLj2EENS0_17counting_iteratorIjlEEPS9_SG_NS0_5tupleIJPjSI_NS0_16reverse_iteratorISI_EEEEENSH_IJSG_SG_SG_EEES9_SI_JZNS1_25segmented_radix_sort_implINS0_14default_configELb1EPKsPsPKlPlN2at6native12_GLOBAL__N_18offset_tEEE10hipError_tPvRmT1_PNSt15iterator_traitsIS12_E10value_typeET2_T3_PNS13_IS18_E10value_typeET4_jRbjT5_S1E_jjP12ihipStream_tbEUljE_ZNSN_ISO_Lb1ESQ_SR_ST_SU_SY_EESZ_S10_S11_S12_S16_S17_S18_S1B_S1C_jS1D_jS1E_S1E_jjS1G_bEUljE0_EEESZ_S10_S11_S18_S1C_S1E_T6_T7_T9_mT8_S1G_bDpT10_ENKUlT_T0_E_clISt17integral_constantIbLb0EES1T_IbLb1EEEEDaS1P_S1Q_EUlS1P_E_NS1_11comp_targetILNS1_3genE0ELNS1_11target_archE4294967295ELNS1_3gpuE0ELNS1_3repE0EEENS1_30default_config_static_selectorELNS0_4arch9wavefront6targetE0EEEvS12_, .Lfunc_end871-_ZN7rocprim17ROCPRIM_400000_NS6detail17trampoline_kernelINS0_13select_configILj256ELj13ELNS0_17block_load_methodE3ELS4_3ELS4_3ELNS0_20block_scan_algorithmE0ELj4294967295EEENS1_25partition_config_selectorILNS1_17partition_subalgoE4EjNS0_10empty_typeEbEEZZNS1_14partition_implILS8_4ELb0ES6_15HIP_vector_typeIjLj2EENS0_17counting_iteratorIjlEEPS9_SG_NS0_5tupleIJPjSI_NS0_16reverse_iteratorISI_EEEEENSH_IJSG_SG_SG_EEES9_SI_JZNS1_25segmented_radix_sort_implINS0_14default_configELb1EPKsPsPKlPlN2at6native12_GLOBAL__N_18offset_tEEE10hipError_tPvRmT1_PNSt15iterator_traitsIS12_E10value_typeET2_T3_PNS13_IS18_E10value_typeET4_jRbjT5_S1E_jjP12ihipStream_tbEUljE_ZNSN_ISO_Lb1ESQ_SR_ST_SU_SY_EESZ_S10_S11_S12_S16_S17_S18_S1B_S1C_jS1D_jS1E_S1E_jjS1G_bEUljE0_EEESZ_S10_S11_S18_S1C_S1E_T6_T7_T9_mT8_S1G_bDpT10_ENKUlT_T0_E_clISt17integral_constantIbLb0EES1T_IbLb1EEEEDaS1P_S1Q_EUlS1P_E_NS1_11comp_targetILNS1_3genE0ELNS1_11target_archE4294967295ELNS1_3gpuE0ELNS1_3repE0EEENS1_30default_config_static_selectorELNS0_4arch9wavefront6targetE0EEEvS12_
                                        ; -- End function
	.section	.AMDGPU.csdata,"",@progbits
; Kernel info:
; codeLenInByte = 0
; NumSgprs: 0
; NumVgprs: 0
; ScratchSize: 0
; MemoryBound: 0
; FloatMode: 240
; IeeeMode: 1
; LDSByteSize: 0 bytes/workgroup (compile time only)
; SGPRBlocks: 0
; VGPRBlocks: 0
; NumSGPRsForWavesPerEU: 1
; NumVGPRsForWavesPerEU: 1
; Occupancy: 16
; WaveLimiterHint : 0
; COMPUTE_PGM_RSRC2:SCRATCH_EN: 0
; COMPUTE_PGM_RSRC2:USER_SGPR: 15
; COMPUTE_PGM_RSRC2:TRAP_HANDLER: 0
; COMPUTE_PGM_RSRC2:TGID_X_EN: 1
; COMPUTE_PGM_RSRC2:TGID_Y_EN: 0
; COMPUTE_PGM_RSRC2:TGID_Z_EN: 0
; COMPUTE_PGM_RSRC2:TIDIG_COMP_CNT: 0
	.section	.text._ZN7rocprim17ROCPRIM_400000_NS6detail17trampoline_kernelINS0_13select_configILj256ELj13ELNS0_17block_load_methodE3ELS4_3ELS4_3ELNS0_20block_scan_algorithmE0ELj4294967295EEENS1_25partition_config_selectorILNS1_17partition_subalgoE4EjNS0_10empty_typeEbEEZZNS1_14partition_implILS8_4ELb0ES6_15HIP_vector_typeIjLj2EENS0_17counting_iteratorIjlEEPS9_SG_NS0_5tupleIJPjSI_NS0_16reverse_iteratorISI_EEEEENSH_IJSG_SG_SG_EEES9_SI_JZNS1_25segmented_radix_sort_implINS0_14default_configELb1EPKsPsPKlPlN2at6native12_GLOBAL__N_18offset_tEEE10hipError_tPvRmT1_PNSt15iterator_traitsIS12_E10value_typeET2_T3_PNS13_IS18_E10value_typeET4_jRbjT5_S1E_jjP12ihipStream_tbEUljE_ZNSN_ISO_Lb1ESQ_SR_ST_SU_SY_EESZ_S10_S11_S12_S16_S17_S18_S1B_S1C_jS1D_jS1E_S1E_jjS1G_bEUljE0_EEESZ_S10_S11_S18_S1C_S1E_T6_T7_T9_mT8_S1G_bDpT10_ENKUlT_T0_E_clISt17integral_constantIbLb0EES1T_IbLb1EEEEDaS1P_S1Q_EUlS1P_E_NS1_11comp_targetILNS1_3genE5ELNS1_11target_archE942ELNS1_3gpuE9ELNS1_3repE0EEENS1_30default_config_static_selectorELNS0_4arch9wavefront6targetE0EEEvS12_,"axG",@progbits,_ZN7rocprim17ROCPRIM_400000_NS6detail17trampoline_kernelINS0_13select_configILj256ELj13ELNS0_17block_load_methodE3ELS4_3ELS4_3ELNS0_20block_scan_algorithmE0ELj4294967295EEENS1_25partition_config_selectorILNS1_17partition_subalgoE4EjNS0_10empty_typeEbEEZZNS1_14partition_implILS8_4ELb0ES6_15HIP_vector_typeIjLj2EENS0_17counting_iteratorIjlEEPS9_SG_NS0_5tupleIJPjSI_NS0_16reverse_iteratorISI_EEEEENSH_IJSG_SG_SG_EEES9_SI_JZNS1_25segmented_radix_sort_implINS0_14default_configELb1EPKsPsPKlPlN2at6native12_GLOBAL__N_18offset_tEEE10hipError_tPvRmT1_PNSt15iterator_traitsIS12_E10value_typeET2_T3_PNS13_IS18_E10value_typeET4_jRbjT5_S1E_jjP12ihipStream_tbEUljE_ZNSN_ISO_Lb1ESQ_SR_ST_SU_SY_EESZ_S10_S11_S12_S16_S17_S18_S1B_S1C_jS1D_jS1E_S1E_jjS1G_bEUljE0_EEESZ_S10_S11_S18_S1C_S1E_T6_T7_T9_mT8_S1G_bDpT10_ENKUlT_T0_E_clISt17integral_constantIbLb0EES1T_IbLb1EEEEDaS1P_S1Q_EUlS1P_E_NS1_11comp_targetILNS1_3genE5ELNS1_11target_archE942ELNS1_3gpuE9ELNS1_3repE0EEENS1_30default_config_static_selectorELNS0_4arch9wavefront6targetE0EEEvS12_,comdat
	.globl	_ZN7rocprim17ROCPRIM_400000_NS6detail17trampoline_kernelINS0_13select_configILj256ELj13ELNS0_17block_load_methodE3ELS4_3ELS4_3ELNS0_20block_scan_algorithmE0ELj4294967295EEENS1_25partition_config_selectorILNS1_17partition_subalgoE4EjNS0_10empty_typeEbEEZZNS1_14partition_implILS8_4ELb0ES6_15HIP_vector_typeIjLj2EENS0_17counting_iteratorIjlEEPS9_SG_NS0_5tupleIJPjSI_NS0_16reverse_iteratorISI_EEEEENSH_IJSG_SG_SG_EEES9_SI_JZNS1_25segmented_radix_sort_implINS0_14default_configELb1EPKsPsPKlPlN2at6native12_GLOBAL__N_18offset_tEEE10hipError_tPvRmT1_PNSt15iterator_traitsIS12_E10value_typeET2_T3_PNS13_IS18_E10value_typeET4_jRbjT5_S1E_jjP12ihipStream_tbEUljE_ZNSN_ISO_Lb1ESQ_SR_ST_SU_SY_EESZ_S10_S11_S12_S16_S17_S18_S1B_S1C_jS1D_jS1E_S1E_jjS1G_bEUljE0_EEESZ_S10_S11_S18_S1C_S1E_T6_T7_T9_mT8_S1G_bDpT10_ENKUlT_T0_E_clISt17integral_constantIbLb0EES1T_IbLb1EEEEDaS1P_S1Q_EUlS1P_E_NS1_11comp_targetILNS1_3genE5ELNS1_11target_archE942ELNS1_3gpuE9ELNS1_3repE0EEENS1_30default_config_static_selectorELNS0_4arch9wavefront6targetE0EEEvS12_ ; -- Begin function _ZN7rocprim17ROCPRIM_400000_NS6detail17trampoline_kernelINS0_13select_configILj256ELj13ELNS0_17block_load_methodE3ELS4_3ELS4_3ELNS0_20block_scan_algorithmE0ELj4294967295EEENS1_25partition_config_selectorILNS1_17partition_subalgoE4EjNS0_10empty_typeEbEEZZNS1_14partition_implILS8_4ELb0ES6_15HIP_vector_typeIjLj2EENS0_17counting_iteratorIjlEEPS9_SG_NS0_5tupleIJPjSI_NS0_16reverse_iteratorISI_EEEEENSH_IJSG_SG_SG_EEES9_SI_JZNS1_25segmented_radix_sort_implINS0_14default_configELb1EPKsPsPKlPlN2at6native12_GLOBAL__N_18offset_tEEE10hipError_tPvRmT1_PNSt15iterator_traitsIS12_E10value_typeET2_T3_PNS13_IS18_E10value_typeET4_jRbjT5_S1E_jjP12ihipStream_tbEUljE_ZNSN_ISO_Lb1ESQ_SR_ST_SU_SY_EESZ_S10_S11_S12_S16_S17_S18_S1B_S1C_jS1D_jS1E_S1E_jjS1G_bEUljE0_EEESZ_S10_S11_S18_S1C_S1E_T6_T7_T9_mT8_S1G_bDpT10_ENKUlT_T0_E_clISt17integral_constantIbLb0EES1T_IbLb1EEEEDaS1P_S1Q_EUlS1P_E_NS1_11comp_targetILNS1_3genE5ELNS1_11target_archE942ELNS1_3gpuE9ELNS1_3repE0EEENS1_30default_config_static_selectorELNS0_4arch9wavefront6targetE0EEEvS12_
	.p2align	8
	.type	_ZN7rocprim17ROCPRIM_400000_NS6detail17trampoline_kernelINS0_13select_configILj256ELj13ELNS0_17block_load_methodE3ELS4_3ELS4_3ELNS0_20block_scan_algorithmE0ELj4294967295EEENS1_25partition_config_selectorILNS1_17partition_subalgoE4EjNS0_10empty_typeEbEEZZNS1_14partition_implILS8_4ELb0ES6_15HIP_vector_typeIjLj2EENS0_17counting_iteratorIjlEEPS9_SG_NS0_5tupleIJPjSI_NS0_16reverse_iteratorISI_EEEEENSH_IJSG_SG_SG_EEES9_SI_JZNS1_25segmented_radix_sort_implINS0_14default_configELb1EPKsPsPKlPlN2at6native12_GLOBAL__N_18offset_tEEE10hipError_tPvRmT1_PNSt15iterator_traitsIS12_E10value_typeET2_T3_PNS13_IS18_E10value_typeET4_jRbjT5_S1E_jjP12ihipStream_tbEUljE_ZNSN_ISO_Lb1ESQ_SR_ST_SU_SY_EESZ_S10_S11_S12_S16_S17_S18_S1B_S1C_jS1D_jS1E_S1E_jjS1G_bEUljE0_EEESZ_S10_S11_S18_S1C_S1E_T6_T7_T9_mT8_S1G_bDpT10_ENKUlT_T0_E_clISt17integral_constantIbLb0EES1T_IbLb1EEEEDaS1P_S1Q_EUlS1P_E_NS1_11comp_targetILNS1_3genE5ELNS1_11target_archE942ELNS1_3gpuE9ELNS1_3repE0EEENS1_30default_config_static_selectorELNS0_4arch9wavefront6targetE0EEEvS12_,@function
_ZN7rocprim17ROCPRIM_400000_NS6detail17trampoline_kernelINS0_13select_configILj256ELj13ELNS0_17block_load_methodE3ELS4_3ELS4_3ELNS0_20block_scan_algorithmE0ELj4294967295EEENS1_25partition_config_selectorILNS1_17partition_subalgoE4EjNS0_10empty_typeEbEEZZNS1_14partition_implILS8_4ELb0ES6_15HIP_vector_typeIjLj2EENS0_17counting_iteratorIjlEEPS9_SG_NS0_5tupleIJPjSI_NS0_16reverse_iteratorISI_EEEEENSH_IJSG_SG_SG_EEES9_SI_JZNS1_25segmented_radix_sort_implINS0_14default_configELb1EPKsPsPKlPlN2at6native12_GLOBAL__N_18offset_tEEE10hipError_tPvRmT1_PNSt15iterator_traitsIS12_E10value_typeET2_T3_PNS13_IS18_E10value_typeET4_jRbjT5_S1E_jjP12ihipStream_tbEUljE_ZNSN_ISO_Lb1ESQ_SR_ST_SU_SY_EESZ_S10_S11_S12_S16_S17_S18_S1B_S1C_jS1D_jS1E_S1E_jjS1G_bEUljE0_EEESZ_S10_S11_S18_S1C_S1E_T6_T7_T9_mT8_S1G_bDpT10_ENKUlT_T0_E_clISt17integral_constantIbLb0EES1T_IbLb1EEEEDaS1P_S1Q_EUlS1P_E_NS1_11comp_targetILNS1_3genE5ELNS1_11target_archE942ELNS1_3gpuE9ELNS1_3repE0EEENS1_30default_config_static_selectorELNS0_4arch9wavefront6targetE0EEEvS12_: ; @_ZN7rocprim17ROCPRIM_400000_NS6detail17trampoline_kernelINS0_13select_configILj256ELj13ELNS0_17block_load_methodE3ELS4_3ELS4_3ELNS0_20block_scan_algorithmE0ELj4294967295EEENS1_25partition_config_selectorILNS1_17partition_subalgoE4EjNS0_10empty_typeEbEEZZNS1_14partition_implILS8_4ELb0ES6_15HIP_vector_typeIjLj2EENS0_17counting_iteratorIjlEEPS9_SG_NS0_5tupleIJPjSI_NS0_16reverse_iteratorISI_EEEEENSH_IJSG_SG_SG_EEES9_SI_JZNS1_25segmented_radix_sort_implINS0_14default_configELb1EPKsPsPKlPlN2at6native12_GLOBAL__N_18offset_tEEE10hipError_tPvRmT1_PNSt15iterator_traitsIS12_E10value_typeET2_T3_PNS13_IS18_E10value_typeET4_jRbjT5_S1E_jjP12ihipStream_tbEUljE_ZNSN_ISO_Lb1ESQ_SR_ST_SU_SY_EESZ_S10_S11_S12_S16_S17_S18_S1B_S1C_jS1D_jS1E_S1E_jjS1G_bEUljE0_EEESZ_S10_S11_S18_S1C_S1E_T6_T7_T9_mT8_S1G_bDpT10_ENKUlT_T0_E_clISt17integral_constantIbLb0EES1T_IbLb1EEEEDaS1P_S1Q_EUlS1P_E_NS1_11comp_targetILNS1_3genE5ELNS1_11target_archE942ELNS1_3gpuE9ELNS1_3repE0EEENS1_30default_config_static_selectorELNS0_4arch9wavefront6targetE0EEEvS12_
; %bb.0:
	.section	.rodata,"a",@progbits
	.p2align	6, 0x0
	.amdhsa_kernel _ZN7rocprim17ROCPRIM_400000_NS6detail17trampoline_kernelINS0_13select_configILj256ELj13ELNS0_17block_load_methodE3ELS4_3ELS4_3ELNS0_20block_scan_algorithmE0ELj4294967295EEENS1_25partition_config_selectorILNS1_17partition_subalgoE4EjNS0_10empty_typeEbEEZZNS1_14partition_implILS8_4ELb0ES6_15HIP_vector_typeIjLj2EENS0_17counting_iteratorIjlEEPS9_SG_NS0_5tupleIJPjSI_NS0_16reverse_iteratorISI_EEEEENSH_IJSG_SG_SG_EEES9_SI_JZNS1_25segmented_radix_sort_implINS0_14default_configELb1EPKsPsPKlPlN2at6native12_GLOBAL__N_18offset_tEEE10hipError_tPvRmT1_PNSt15iterator_traitsIS12_E10value_typeET2_T3_PNS13_IS18_E10value_typeET4_jRbjT5_S1E_jjP12ihipStream_tbEUljE_ZNSN_ISO_Lb1ESQ_SR_ST_SU_SY_EESZ_S10_S11_S12_S16_S17_S18_S1B_S1C_jS1D_jS1E_S1E_jjS1G_bEUljE0_EEESZ_S10_S11_S18_S1C_S1E_T6_T7_T9_mT8_S1G_bDpT10_ENKUlT_T0_E_clISt17integral_constantIbLb0EES1T_IbLb1EEEEDaS1P_S1Q_EUlS1P_E_NS1_11comp_targetILNS1_3genE5ELNS1_11target_archE942ELNS1_3gpuE9ELNS1_3repE0EEENS1_30default_config_static_selectorELNS0_4arch9wavefront6targetE0EEEvS12_
		.amdhsa_group_segment_fixed_size 0
		.amdhsa_private_segment_fixed_size 0
		.amdhsa_kernarg_size 184
		.amdhsa_user_sgpr_count 15
		.amdhsa_user_sgpr_dispatch_ptr 0
		.amdhsa_user_sgpr_queue_ptr 0
		.amdhsa_user_sgpr_kernarg_segment_ptr 1
		.amdhsa_user_sgpr_dispatch_id 0
		.amdhsa_user_sgpr_private_segment_size 0
		.amdhsa_wavefront_size32 1
		.amdhsa_uses_dynamic_stack 0
		.amdhsa_enable_private_segment 0
		.amdhsa_system_sgpr_workgroup_id_x 1
		.amdhsa_system_sgpr_workgroup_id_y 0
		.amdhsa_system_sgpr_workgroup_id_z 0
		.amdhsa_system_sgpr_workgroup_info 0
		.amdhsa_system_vgpr_workitem_id 0
		.amdhsa_next_free_vgpr 1
		.amdhsa_next_free_sgpr 1
		.amdhsa_reserve_vcc 0
		.amdhsa_float_round_mode_32 0
		.amdhsa_float_round_mode_16_64 0
		.amdhsa_float_denorm_mode_32 3
		.amdhsa_float_denorm_mode_16_64 3
		.amdhsa_dx10_clamp 1
		.amdhsa_ieee_mode 1
		.amdhsa_fp16_overflow 0
		.amdhsa_workgroup_processor_mode 1
		.amdhsa_memory_ordered 1
		.amdhsa_forward_progress 0
		.amdhsa_shared_vgpr_count 0
		.amdhsa_exception_fp_ieee_invalid_op 0
		.amdhsa_exception_fp_denorm_src 0
		.amdhsa_exception_fp_ieee_div_zero 0
		.amdhsa_exception_fp_ieee_overflow 0
		.amdhsa_exception_fp_ieee_underflow 0
		.amdhsa_exception_fp_ieee_inexact 0
		.amdhsa_exception_int_div_zero 0
	.end_amdhsa_kernel
	.section	.text._ZN7rocprim17ROCPRIM_400000_NS6detail17trampoline_kernelINS0_13select_configILj256ELj13ELNS0_17block_load_methodE3ELS4_3ELS4_3ELNS0_20block_scan_algorithmE0ELj4294967295EEENS1_25partition_config_selectorILNS1_17partition_subalgoE4EjNS0_10empty_typeEbEEZZNS1_14partition_implILS8_4ELb0ES6_15HIP_vector_typeIjLj2EENS0_17counting_iteratorIjlEEPS9_SG_NS0_5tupleIJPjSI_NS0_16reverse_iteratorISI_EEEEENSH_IJSG_SG_SG_EEES9_SI_JZNS1_25segmented_radix_sort_implINS0_14default_configELb1EPKsPsPKlPlN2at6native12_GLOBAL__N_18offset_tEEE10hipError_tPvRmT1_PNSt15iterator_traitsIS12_E10value_typeET2_T3_PNS13_IS18_E10value_typeET4_jRbjT5_S1E_jjP12ihipStream_tbEUljE_ZNSN_ISO_Lb1ESQ_SR_ST_SU_SY_EESZ_S10_S11_S12_S16_S17_S18_S1B_S1C_jS1D_jS1E_S1E_jjS1G_bEUljE0_EEESZ_S10_S11_S18_S1C_S1E_T6_T7_T9_mT8_S1G_bDpT10_ENKUlT_T0_E_clISt17integral_constantIbLb0EES1T_IbLb1EEEEDaS1P_S1Q_EUlS1P_E_NS1_11comp_targetILNS1_3genE5ELNS1_11target_archE942ELNS1_3gpuE9ELNS1_3repE0EEENS1_30default_config_static_selectorELNS0_4arch9wavefront6targetE0EEEvS12_,"axG",@progbits,_ZN7rocprim17ROCPRIM_400000_NS6detail17trampoline_kernelINS0_13select_configILj256ELj13ELNS0_17block_load_methodE3ELS4_3ELS4_3ELNS0_20block_scan_algorithmE0ELj4294967295EEENS1_25partition_config_selectorILNS1_17partition_subalgoE4EjNS0_10empty_typeEbEEZZNS1_14partition_implILS8_4ELb0ES6_15HIP_vector_typeIjLj2EENS0_17counting_iteratorIjlEEPS9_SG_NS0_5tupleIJPjSI_NS0_16reverse_iteratorISI_EEEEENSH_IJSG_SG_SG_EEES9_SI_JZNS1_25segmented_radix_sort_implINS0_14default_configELb1EPKsPsPKlPlN2at6native12_GLOBAL__N_18offset_tEEE10hipError_tPvRmT1_PNSt15iterator_traitsIS12_E10value_typeET2_T3_PNS13_IS18_E10value_typeET4_jRbjT5_S1E_jjP12ihipStream_tbEUljE_ZNSN_ISO_Lb1ESQ_SR_ST_SU_SY_EESZ_S10_S11_S12_S16_S17_S18_S1B_S1C_jS1D_jS1E_S1E_jjS1G_bEUljE0_EEESZ_S10_S11_S18_S1C_S1E_T6_T7_T9_mT8_S1G_bDpT10_ENKUlT_T0_E_clISt17integral_constantIbLb0EES1T_IbLb1EEEEDaS1P_S1Q_EUlS1P_E_NS1_11comp_targetILNS1_3genE5ELNS1_11target_archE942ELNS1_3gpuE9ELNS1_3repE0EEENS1_30default_config_static_selectorELNS0_4arch9wavefront6targetE0EEEvS12_,comdat
.Lfunc_end872:
	.size	_ZN7rocprim17ROCPRIM_400000_NS6detail17trampoline_kernelINS0_13select_configILj256ELj13ELNS0_17block_load_methodE3ELS4_3ELS4_3ELNS0_20block_scan_algorithmE0ELj4294967295EEENS1_25partition_config_selectorILNS1_17partition_subalgoE4EjNS0_10empty_typeEbEEZZNS1_14partition_implILS8_4ELb0ES6_15HIP_vector_typeIjLj2EENS0_17counting_iteratorIjlEEPS9_SG_NS0_5tupleIJPjSI_NS0_16reverse_iteratorISI_EEEEENSH_IJSG_SG_SG_EEES9_SI_JZNS1_25segmented_radix_sort_implINS0_14default_configELb1EPKsPsPKlPlN2at6native12_GLOBAL__N_18offset_tEEE10hipError_tPvRmT1_PNSt15iterator_traitsIS12_E10value_typeET2_T3_PNS13_IS18_E10value_typeET4_jRbjT5_S1E_jjP12ihipStream_tbEUljE_ZNSN_ISO_Lb1ESQ_SR_ST_SU_SY_EESZ_S10_S11_S12_S16_S17_S18_S1B_S1C_jS1D_jS1E_S1E_jjS1G_bEUljE0_EEESZ_S10_S11_S18_S1C_S1E_T6_T7_T9_mT8_S1G_bDpT10_ENKUlT_T0_E_clISt17integral_constantIbLb0EES1T_IbLb1EEEEDaS1P_S1Q_EUlS1P_E_NS1_11comp_targetILNS1_3genE5ELNS1_11target_archE942ELNS1_3gpuE9ELNS1_3repE0EEENS1_30default_config_static_selectorELNS0_4arch9wavefront6targetE0EEEvS12_, .Lfunc_end872-_ZN7rocprim17ROCPRIM_400000_NS6detail17trampoline_kernelINS0_13select_configILj256ELj13ELNS0_17block_load_methodE3ELS4_3ELS4_3ELNS0_20block_scan_algorithmE0ELj4294967295EEENS1_25partition_config_selectorILNS1_17partition_subalgoE4EjNS0_10empty_typeEbEEZZNS1_14partition_implILS8_4ELb0ES6_15HIP_vector_typeIjLj2EENS0_17counting_iteratorIjlEEPS9_SG_NS0_5tupleIJPjSI_NS0_16reverse_iteratorISI_EEEEENSH_IJSG_SG_SG_EEES9_SI_JZNS1_25segmented_radix_sort_implINS0_14default_configELb1EPKsPsPKlPlN2at6native12_GLOBAL__N_18offset_tEEE10hipError_tPvRmT1_PNSt15iterator_traitsIS12_E10value_typeET2_T3_PNS13_IS18_E10value_typeET4_jRbjT5_S1E_jjP12ihipStream_tbEUljE_ZNSN_ISO_Lb1ESQ_SR_ST_SU_SY_EESZ_S10_S11_S12_S16_S17_S18_S1B_S1C_jS1D_jS1E_S1E_jjS1G_bEUljE0_EEESZ_S10_S11_S18_S1C_S1E_T6_T7_T9_mT8_S1G_bDpT10_ENKUlT_T0_E_clISt17integral_constantIbLb0EES1T_IbLb1EEEEDaS1P_S1Q_EUlS1P_E_NS1_11comp_targetILNS1_3genE5ELNS1_11target_archE942ELNS1_3gpuE9ELNS1_3repE0EEENS1_30default_config_static_selectorELNS0_4arch9wavefront6targetE0EEEvS12_
                                        ; -- End function
	.section	.AMDGPU.csdata,"",@progbits
; Kernel info:
; codeLenInByte = 0
; NumSgprs: 0
; NumVgprs: 0
; ScratchSize: 0
; MemoryBound: 0
; FloatMode: 240
; IeeeMode: 1
; LDSByteSize: 0 bytes/workgroup (compile time only)
; SGPRBlocks: 0
; VGPRBlocks: 0
; NumSGPRsForWavesPerEU: 1
; NumVGPRsForWavesPerEU: 1
; Occupancy: 16
; WaveLimiterHint : 0
; COMPUTE_PGM_RSRC2:SCRATCH_EN: 0
; COMPUTE_PGM_RSRC2:USER_SGPR: 15
; COMPUTE_PGM_RSRC2:TRAP_HANDLER: 0
; COMPUTE_PGM_RSRC2:TGID_X_EN: 1
; COMPUTE_PGM_RSRC2:TGID_Y_EN: 0
; COMPUTE_PGM_RSRC2:TGID_Z_EN: 0
; COMPUTE_PGM_RSRC2:TIDIG_COMP_CNT: 0
	.section	.text._ZN7rocprim17ROCPRIM_400000_NS6detail17trampoline_kernelINS0_13select_configILj256ELj13ELNS0_17block_load_methodE3ELS4_3ELS4_3ELNS0_20block_scan_algorithmE0ELj4294967295EEENS1_25partition_config_selectorILNS1_17partition_subalgoE4EjNS0_10empty_typeEbEEZZNS1_14partition_implILS8_4ELb0ES6_15HIP_vector_typeIjLj2EENS0_17counting_iteratorIjlEEPS9_SG_NS0_5tupleIJPjSI_NS0_16reverse_iteratorISI_EEEEENSH_IJSG_SG_SG_EEES9_SI_JZNS1_25segmented_radix_sort_implINS0_14default_configELb1EPKsPsPKlPlN2at6native12_GLOBAL__N_18offset_tEEE10hipError_tPvRmT1_PNSt15iterator_traitsIS12_E10value_typeET2_T3_PNS13_IS18_E10value_typeET4_jRbjT5_S1E_jjP12ihipStream_tbEUljE_ZNSN_ISO_Lb1ESQ_SR_ST_SU_SY_EESZ_S10_S11_S12_S16_S17_S18_S1B_S1C_jS1D_jS1E_S1E_jjS1G_bEUljE0_EEESZ_S10_S11_S18_S1C_S1E_T6_T7_T9_mT8_S1G_bDpT10_ENKUlT_T0_E_clISt17integral_constantIbLb0EES1T_IbLb1EEEEDaS1P_S1Q_EUlS1P_E_NS1_11comp_targetILNS1_3genE4ELNS1_11target_archE910ELNS1_3gpuE8ELNS1_3repE0EEENS1_30default_config_static_selectorELNS0_4arch9wavefront6targetE0EEEvS12_,"axG",@progbits,_ZN7rocprim17ROCPRIM_400000_NS6detail17trampoline_kernelINS0_13select_configILj256ELj13ELNS0_17block_load_methodE3ELS4_3ELS4_3ELNS0_20block_scan_algorithmE0ELj4294967295EEENS1_25partition_config_selectorILNS1_17partition_subalgoE4EjNS0_10empty_typeEbEEZZNS1_14partition_implILS8_4ELb0ES6_15HIP_vector_typeIjLj2EENS0_17counting_iteratorIjlEEPS9_SG_NS0_5tupleIJPjSI_NS0_16reverse_iteratorISI_EEEEENSH_IJSG_SG_SG_EEES9_SI_JZNS1_25segmented_radix_sort_implINS0_14default_configELb1EPKsPsPKlPlN2at6native12_GLOBAL__N_18offset_tEEE10hipError_tPvRmT1_PNSt15iterator_traitsIS12_E10value_typeET2_T3_PNS13_IS18_E10value_typeET4_jRbjT5_S1E_jjP12ihipStream_tbEUljE_ZNSN_ISO_Lb1ESQ_SR_ST_SU_SY_EESZ_S10_S11_S12_S16_S17_S18_S1B_S1C_jS1D_jS1E_S1E_jjS1G_bEUljE0_EEESZ_S10_S11_S18_S1C_S1E_T6_T7_T9_mT8_S1G_bDpT10_ENKUlT_T0_E_clISt17integral_constantIbLb0EES1T_IbLb1EEEEDaS1P_S1Q_EUlS1P_E_NS1_11comp_targetILNS1_3genE4ELNS1_11target_archE910ELNS1_3gpuE8ELNS1_3repE0EEENS1_30default_config_static_selectorELNS0_4arch9wavefront6targetE0EEEvS12_,comdat
	.globl	_ZN7rocprim17ROCPRIM_400000_NS6detail17trampoline_kernelINS0_13select_configILj256ELj13ELNS0_17block_load_methodE3ELS4_3ELS4_3ELNS0_20block_scan_algorithmE0ELj4294967295EEENS1_25partition_config_selectorILNS1_17partition_subalgoE4EjNS0_10empty_typeEbEEZZNS1_14partition_implILS8_4ELb0ES6_15HIP_vector_typeIjLj2EENS0_17counting_iteratorIjlEEPS9_SG_NS0_5tupleIJPjSI_NS0_16reverse_iteratorISI_EEEEENSH_IJSG_SG_SG_EEES9_SI_JZNS1_25segmented_radix_sort_implINS0_14default_configELb1EPKsPsPKlPlN2at6native12_GLOBAL__N_18offset_tEEE10hipError_tPvRmT1_PNSt15iterator_traitsIS12_E10value_typeET2_T3_PNS13_IS18_E10value_typeET4_jRbjT5_S1E_jjP12ihipStream_tbEUljE_ZNSN_ISO_Lb1ESQ_SR_ST_SU_SY_EESZ_S10_S11_S12_S16_S17_S18_S1B_S1C_jS1D_jS1E_S1E_jjS1G_bEUljE0_EEESZ_S10_S11_S18_S1C_S1E_T6_T7_T9_mT8_S1G_bDpT10_ENKUlT_T0_E_clISt17integral_constantIbLb0EES1T_IbLb1EEEEDaS1P_S1Q_EUlS1P_E_NS1_11comp_targetILNS1_3genE4ELNS1_11target_archE910ELNS1_3gpuE8ELNS1_3repE0EEENS1_30default_config_static_selectorELNS0_4arch9wavefront6targetE0EEEvS12_ ; -- Begin function _ZN7rocprim17ROCPRIM_400000_NS6detail17trampoline_kernelINS0_13select_configILj256ELj13ELNS0_17block_load_methodE3ELS4_3ELS4_3ELNS0_20block_scan_algorithmE0ELj4294967295EEENS1_25partition_config_selectorILNS1_17partition_subalgoE4EjNS0_10empty_typeEbEEZZNS1_14partition_implILS8_4ELb0ES6_15HIP_vector_typeIjLj2EENS0_17counting_iteratorIjlEEPS9_SG_NS0_5tupleIJPjSI_NS0_16reverse_iteratorISI_EEEEENSH_IJSG_SG_SG_EEES9_SI_JZNS1_25segmented_radix_sort_implINS0_14default_configELb1EPKsPsPKlPlN2at6native12_GLOBAL__N_18offset_tEEE10hipError_tPvRmT1_PNSt15iterator_traitsIS12_E10value_typeET2_T3_PNS13_IS18_E10value_typeET4_jRbjT5_S1E_jjP12ihipStream_tbEUljE_ZNSN_ISO_Lb1ESQ_SR_ST_SU_SY_EESZ_S10_S11_S12_S16_S17_S18_S1B_S1C_jS1D_jS1E_S1E_jjS1G_bEUljE0_EEESZ_S10_S11_S18_S1C_S1E_T6_T7_T9_mT8_S1G_bDpT10_ENKUlT_T0_E_clISt17integral_constantIbLb0EES1T_IbLb1EEEEDaS1P_S1Q_EUlS1P_E_NS1_11comp_targetILNS1_3genE4ELNS1_11target_archE910ELNS1_3gpuE8ELNS1_3repE0EEENS1_30default_config_static_selectorELNS0_4arch9wavefront6targetE0EEEvS12_
	.p2align	8
	.type	_ZN7rocprim17ROCPRIM_400000_NS6detail17trampoline_kernelINS0_13select_configILj256ELj13ELNS0_17block_load_methodE3ELS4_3ELS4_3ELNS0_20block_scan_algorithmE0ELj4294967295EEENS1_25partition_config_selectorILNS1_17partition_subalgoE4EjNS0_10empty_typeEbEEZZNS1_14partition_implILS8_4ELb0ES6_15HIP_vector_typeIjLj2EENS0_17counting_iteratorIjlEEPS9_SG_NS0_5tupleIJPjSI_NS0_16reverse_iteratorISI_EEEEENSH_IJSG_SG_SG_EEES9_SI_JZNS1_25segmented_radix_sort_implINS0_14default_configELb1EPKsPsPKlPlN2at6native12_GLOBAL__N_18offset_tEEE10hipError_tPvRmT1_PNSt15iterator_traitsIS12_E10value_typeET2_T3_PNS13_IS18_E10value_typeET4_jRbjT5_S1E_jjP12ihipStream_tbEUljE_ZNSN_ISO_Lb1ESQ_SR_ST_SU_SY_EESZ_S10_S11_S12_S16_S17_S18_S1B_S1C_jS1D_jS1E_S1E_jjS1G_bEUljE0_EEESZ_S10_S11_S18_S1C_S1E_T6_T7_T9_mT8_S1G_bDpT10_ENKUlT_T0_E_clISt17integral_constantIbLb0EES1T_IbLb1EEEEDaS1P_S1Q_EUlS1P_E_NS1_11comp_targetILNS1_3genE4ELNS1_11target_archE910ELNS1_3gpuE8ELNS1_3repE0EEENS1_30default_config_static_selectorELNS0_4arch9wavefront6targetE0EEEvS12_,@function
_ZN7rocprim17ROCPRIM_400000_NS6detail17trampoline_kernelINS0_13select_configILj256ELj13ELNS0_17block_load_methodE3ELS4_3ELS4_3ELNS0_20block_scan_algorithmE0ELj4294967295EEENS1_25partition_config_selectorILNS1_17partition_subalgoE4EjNS0_10empty_typeEbEEZZNS1_14partition_implILS8_4ELb0ES6_15HIP_vector_typeIjLj2EENS0_17counting_iteratorIjlEEPS9_SG_NS0_5tupleIJPjSI_NS0_16reverse_iteratorISI_EEEEENSH_IJSG_SG_SG_EEES9_SI_JZNS1_25segmented_radix_sort_implINS0_14default_configELb1EPKsPsPKlPlN2at6native12_GLOBAL__N_18offset_tEEE10hipError_tPvRmT1_PNSt15iterator_traitsIS12_E10value_typeET2_T3_PNS13_IS18_E10value_typeET4_jRbjT5_S1E_jjP12ihipStream_tbEUljE_ZNSN_ISO_Lb1ESQ_SR_ST_SU_SY_EESZ_S10_S11_S12_S16_S17_S18_S1B_S1C_jS1D_jS1E_S1E_jjS1G_bEUljE0_EEESZ_S10_S11_S18_S1C_S1E_T6_T7_T9_mT8_S1G_bDpT10_ENKUlT_T0_E_clISt17integral_constantIbLb0EES1T_IbLb1EEEEDaS1P_S1Q_EUlS1P_E_NS1_11comp_targetILNS1_3genE4ELNS1_11target_archE910ELNS1_3gpuE8ELNS1_3repE0EEENS1_30default_config_static_selectorELNS0_4arch9wavefront6targetE0EEEvS12_: ; @_ZN7rocprim17ROCPRIM_400000_NS6detail17trampoline_kernelINS0_13select_configILj256ELj13ELNS0_17block_load_methodE3ELS4_3ELS4_3ELNS0_20block_scan_algorithmE0ELj4294967295EEENS1_25partition_config_selectorILNS1_17partition_subalgoE4EjNS0_10empty_typeEbEEZZNS1_14partition_implILS8_4ELb0ES6_15HIP_vector_typeIjLj2EENS0_17counting_iteratorIjlEEPS9_SG_NS0_5tupleIJPjSI_NS0_16reverse_iteratorISI_EEEEENSH_IJSG_SG_SG_EEES9_SI_JZNS1_25segmented_radix_sort_implINS0_14default_configELb1EPKsPsPKlPlN2at6native12_GLOBAL__N_18offset_tEEE10hipError_tPvRmT1_PNSt15iterator_traitsIS12_E10value_typeET2_T3_PNS13_IS18_E10value_typeET4_jRbjT5_S1E_jjP12ihipStream_tbEUljE_ZNSN_ISO_Lb1ESQ_SR_ST_SU_SY_EESZ_S10_S11_S12_S16_S17_S18_S1B_S1C_jS1D_jS1E_S1E_jjS1G_bEUljE0_EEESZ_S10_S11_S18_S1C_S1E_T6_T7_T9_mT8_S1G_bDpT10_ENKUlT_T0_E_clISt17integral_constantIbLb0EES1T_IbLb1EEEEDaS1P_S1Q_EUlS1P_E_NS1_11comp_targetILNS1_3genE4ELNS1_11target_archE910ELNS1_3gpuE8ELNS1_3repE0EEENS1_30default_config_static_selectorELNS0_4arch9wavefront6targetE0EEEvS12_
; %bb.0:
	.section	.rodata,"a",@progbits
	.p2align	6, 0x0
	.amdhsa_kernel _ZN7rocprim17ROCPRIM_400000_NS6detail17trampoline_kernelINS0_13select_configILj256ELj13ELNS0_17block_load_methodE3ELS4_3ELS4_3ELNS0_20block_scan_algorithmE0ELj4294967295EEENS1_25partition_config_selectorILNS1_17partition_subalgoE4EjNS0_10empty_typeEbEEZZNS1_14partition_implILS8_4ELb0ES6_15HIP_vector_typeIjLj2EENS0_17counting_iteratorIjlEEPS9_SG_NS0_5tupleIJPjSI_NS0_16reverse_iteratorISI_EEEEENSH_IJSG_SG_SG_EEES9_SI_JZNS1_25segmented_radix_sort_implINS0_14default_configELb1EPKsPsPKlPlN2at6native12_GLOBAL__N_18offset_tEEE10hipError_tPvRmT1_PNSt15iterator_traitsIS12_E10value_typeET2_T3_PNS13_IS18_E10value_typeET4_jRbjT5_S1E_jjP12ihipStream_tbEUljE_ZNSN_ISO_Lb1ESQ_SR_ST_SU_SY_EESZ_S10_S11_S12_S16_S17_S18_S1B_S1C_jS1D_jS1E_S1E_jjS1G_bEUljE0_EEESZ_S10_S11_S18_S1C_S1E_T6_T7_T9_mT8_S1G_bDpT10_ENKUlT_T0_E_clISt17integral_constantIbLb0EES1T_IbLb1EEEEDaS1P_S1Q_EUlS1P_E_NS1_11comp_targetILNS1_3genE4ELNS1_11target_archE910ELNS1_3gpuE8ELNS1_3repE0EEENS1_30default_config_static_selectorELNS0_4arch9wavefront6targetE0EEEvS12_
		.amdhsa_group_segment_fixed_size 0
		.amdhsa_private_segment_fixed_size 0
		.amdhsa_kernarg_size 184
		.amdhsa_user_sgpr_count 15
		.amdhsa_user_sgpr_dispatch_ptr 0
		.amdhsa_user_sgpr_queue_ptr 0
		.amdhsa_user_sgpr_kernarg_segment_ptr 1
		.amdhsa_user_sgpr_dispatch_id 0
		.amdhsa_user_sgpr_private_segment_size 0
		.amdhsa_wavefront_size32 1
		.amdhsa_uses_dynamic_stack 0
		.amdhsa_enable_private_segment 0
		.amdhsa_system_sgpr_workgroup_id_x 1
		.amdhsa_system_sgpr_workgroup_id_y 0
		.amdhsa_system_sgpr_workgroup_id_z 0
		.amdhsa_system_sgpr_workgroup_info 0
		.amdhsa_system_vgpr_workitem_id 0
		.amdhsa_next_free_vgpr 1
		.amdhsa_next_free_sgpr 1
		.amdhsa_reserve_vcc 0
		.amdhsa_float_round_mode_32 0
		.amdhsa_float_round_mode_16_64 0
		.amdhsa_float_denorm_mode_32 3
		.amdhsa_float_denorm_mode_16_64 3
		.amdhsa_dx10_clamp 1
		.amdhsa_ieee_mode 1
		.amdhsa_fp16_overflow 0
		.amdhsa_workgroup_processor_mode 1
		.amdhsa_memory_ordered 1
		.amdhsa_forward_progress 0
		.amdhsa_shared_vgpr_count 0
		.amdhsa_exception_fp_ieee_invalid_op 0
		.amdhsa_exception_fp_denorm_src 0
		.amdhsa_exception_fp_ieee_div_zero 0
		.amdhsa_exception_fp_ieee_overflow 0
		.amdhsa_exception_fp_ieee_underflow 0
		.amdhsa_exception_fp_ieee_inexact 0
		.amdhsa_exception_int_div_zero 0
	.end_amdhsa_kernel
	.section	.text._ZN7rocprim17ROCPRIM_400000_NS6detail17trampoline_kernelINS0_13select_configILj256ELj13ELNS0_17block_load_methodE3ELS4_3ELS4_3ELNS0_20block_scan_algorithmE0ELj4294967295EEENS1_25partition_config_selectorILNS1_17partition_subalgoE4EjNS0_10empty_typeEbEEZZNS1_14partition_implILS8_4ELb0ES6_15HIP_vector_typeIjLj2EENS0_17counting_iteratorIjlEEPS9_SG_NS0_5tupleIJPjSI_NS0_16reverse_iteratorISI_EEEEENSH_IJSG_SG_SG_EEES9_SI_JZNS1_25segmented_radix_sort_implINS0_14default_configELb1EPKsPsPKlPlN2at6native12_GLOBAL__N_18offset_tEEE10hipError_tPvRmT1_PNSt15iterator_traitsIS12_E10value_typeET2_T3_PNS13_IS18_E10value_typeET4_jRbjT5_S1E_jjP12ihipStream_tbEUljE_ZNSN_ISO_Lb1ESQ_SR_ST_SU_SY_EESZ_S10_S11_S12_S16_S17_S18_S1B_S1C_jS1D_jS1E_S1E_jjS1G_bEUljE0_EEESZ_S10_S11_S18_S1C_S1E_T6_T7_T9_mT8_S1G_bDpT10_ENKUlT_T0_E_clISt17integral_constantIbLb0EES1T_IbLb1EEEEDaS1P_S1Q_EUlS1P_E_NS1_11comp_targetILNS1_3genE4ELNS1_11target_archE910ELNS1_3gpuE8ELNS1_3repE0EEENS1_30default_config_static_selectorELNS0_4arch9wavefront6targetE0EEEvS12_,"axG",@progbits,_ZN7rocprim17ROCPRIM_400000_NS6detail17trampoline_kernelINS0_13select_configILj256ELj13ELNS0_17block_load_methodE3ELS4_3ELS4_3ELNS0_20block_scan_algorithmE0ELj4294967295EEENS1_25partition_config_selectorILNS1_17partition_subalgoE4EjNS0_10empty_typeEbEEZZNS1_14partition_implILS8_4ELb0ES6_15HIP_vector_typeIjLj2EENS0_17counting_iteratorIjlEEPS9_SG_NS0_5tupleIJPjSI_NS0_16reverse_iteratorISI_EEEEENSH_IJSG_SG_SG_EEES9_SI_JZNS1_25segmented_radix_sort_implINS0_14default_configELb1EPKsPsPKlPlN2at6native12_GLOBAL__N_18offset_tEEE10hipError_tPvRmT1_PNSt15iterator_traitsIS12_E10value_typeET2_T3_PNS13_IS18_E10value_typeET4_jRbjT5_S1E_jjP12ihipStream_tbEUljE_ZNSN_ISO_Lb1ESQ_SR_ST_SU_SY_EESZ_S10_S11_S12_S16_S17_S18_S1B_S1C_jS1D_jS1E_S1E_jjS1G_bEUljE0_EEESZ_S10_S11_S18_S1C_S1E_T6_T7_T9_mT8_S1G_bDpT10_ENKUlT_T0_E_clISt17integral_constantIbLb0EES1T_IbLb1EEEEDaS1P_S1Q_EUlS1P_E_NS1_11comp_targetILNS1_3genE4ELNS1_11target_archE910ELNS1_3gpuE8ELNS1_3repE0EEENS1_30default_config_static_selectorELNS0_4arch9wavefront6targetE0EEEvS12_,comdat
.Lfunc_end873:
	.size	_ZN7rocprim17ROCPRIM_400000_NS6detail17trampoline_kernelINS0_13select_configILj256ELj13ELNS0_17block_load_methodE3ELS4_3ELS4_3ELNS0_20block_scan_algorithmE0ELj4294967295EEENS1_25partition_config_selectorILNS1_17partition_subalgoE4EjNS0_10empty_typeEbEEZZNS1_14partition_implILS8_4ELb0ES6_15HIP_vector_typeIjLj2EENS0_17counting_iteratorIjlEEPS9_SG_NS0_5tupleIJPjSI_NS0_16reverse_iteratorISI_EEEEENSH_IJSG_SG_SG_EEES9_SI_JZNS1_25segmented_radix_sort_implINS0_14default_configELb1EPKsPsPKlPlN2at6native12_GLOBAL__N_18offset_tEEE10hipError_tPvRmT1_PNSt15iterator_traitsIS12_E10value_typeET2_T3_PNS13_IS18_E10value_typeET4_jRbjT5_S1E_jjP12ihipStream_tbEUljE_ZNSN_ISO_Lb1ESQ_SR_ST_SU_SY_EESZ_S10_S11_S12_S16_S17_S18_S1B_S1C_jS1D_jS1E_S1E_jjS1G_bEUljE0_EEESZ_S10_S11_S18_S1C_S1E_T6_T7_T9_mT8_S1G_bDpT10_ENKUlT_T0_E_clISt17integral_constantIbLb0EES1T_IbLb1EEEEDaS1P_S1Q_EUlS1P_E_NS1_11comp_targetILNS1_3genE4ELNS1_11target_archE910ELNS1_3gpuE8ELNS1_3repE0EEENS1_30default_config_static_selectorELNS0_4arch9wavefront6targetE0EEEvS12_, .Lfunc_end873-_ZN7rocprim17ROCPRIM_400000_NS6detail17trampoline_kernelINS0_13select_configILj256ELj13ELNS0_17block_load_methodE3ELS4_3ELS4_3ELNS0_20block_scan_algorithmE0ELj4294967295EEENS1_25partition_config_selectorILNS1_17partition_subalgoE4EjNS0_10empty_typeEbEEZZNS1_14partition_implILS8_4ELb0ES6_15HIP_vector_typeIjLj2EENS0_17counting_iteratorIjlEEPS9_SG_NS0_5tupleIJPjSI_NS0_16reverse_iteratorISI_EEEEENSH_IJSG_SG_SG_EEES9_SI_JZNS1_25segmented_radix_sort_implINS0_14default_configELb1EPKsPsPKlPlN2at6native12_GLOBAL__N_18offset_tEEE10hipError_tPvRmT1_PNSt15iterator_traitsIS12_E10value_typeET2_T3_PNS13_IS18_E10value_typeET4_jRbjT5_S1E_jjP12ihipStream_tbEUljE_ZNSN_ISO_Lb1ESQ_SR_ST_SU_SY_EESZ_S10_S11_S12_S16_S17_S18_S1B_S1C_jS1D_jS1E_S1E_jjS1G_bEUljE0_EEESZ_S10_S11_S18_S1C_S1E_T6_T7_T9_mT8_S1G_bDpT10_ENKUlT_T0_E_clISt17integral_constantIbLb0EES1T_IbLb1EEEEDaS1P_S1Q_EUlS1P_E_NS1_11comp_targetILNS1_3genE4ELNS1_11target_archE910ELNS1_3gpuE8ELNS1_3repE0EEENS1_30default_config_static_selectorELNS0_4arch9wavefront6targetE0EEEvS12_
                                        ; -- End function
	.section	.AMDGPU.csdata,"",@progbits
; Kernel info:
; codeLenInByte = 0
; NumSgprs: 0
; NumVgprs: 0
; ScratchSize: 0
; MemoryBound: 0
; FloatMode: 240
; IeeeMode: 1
; LDSByteSize: 0 bytes/workgroup (compile time only)
; SGPRBlocks: 0
; VGPRBlocks: 0
; NumSGPRsForWavesPerEU: 1
; NumVGPRsForWavesPerEU: 1
; Occupancy: 16
; WaveLimiterHint : 0
; COMPUTE_PGM_RSRC2:SCRATCH_EN: 0
; COMPUTE_PGM_RSRC2:USER_SGPR: 15
; COMPUTE_PGM_RSRC2:TRAP_HANDLER: 0
; COMPUTE_PGM_RSRC2:TGID_X_EN: 1
; COMPUTE_PGM_RSRC2:TGID_Y_EN: 0
; COMPUTE_PGM_RSRC2:TGID_Z_EN: 0
; COMPUTE_PGM_RSRC2:TIDIG_COMP_CNT: 0
	.section	.text._ZN7rocprim17ROCPRIM_400000_NS6detail17trampoline_kernelINS0_13select_configILj256ELj13ELNS0_17block_load_methodE3ELS4_3ELS4_3ELNS0_20block_scan_algorithmE0ELj4294967295EEENS1_25partition_config_selectorILNS1_17partition_subalgoE4EjNS0_10empty_typeEbEEZZNS1_14partition_implILS8_4ELb0ES6_15HIP_vector_typeIjLj2EENS0_17counting_iteratorIjlEEPS9_SG_NS0_5tupleIJPjSI_NS0_16reverse_iteratorISI_EEEEENSH_IJSG_SG_SG_EEES9_SI_JZNS1_25segmented_radix_sort_implINS0_14default_configELb1EPKsPsPKlPlN2at6native12_GLOBAL__N_18offset_tEEE10hipError_tPvRmT1_PNSt15iterator_traitsIS12_E10value_typeET2_T3_PNS13_IS18_E10value_typeET4_jRbjT5_S1E_jjP12ihipStream_tbEUljE_ZNSN_ISO_Lb1ESQ_SR_ST_SU_SY_EESZ_S10_S11_S12_S16_S17_S18_S1B_S1C_jS1D_jS1E_S1E_jjS1G_bEUljE0_EEESZ_S10_S11_S18_S1C_S1E_T6_T7_T9_mT8_S1G_bDpT10_ENKUlT_T0_E_clISt17integral_constantIbLb0EES1T_IbLb1EEEEDaS1P_S1Q_EUlS1P_E_NS1_11comp_targetILNS1_3genE3ELNS1_11target_archE908ELNS1_3gpuE7ELNS1_3repE0EEENS1_30default_config_static_selectorELNS0_4arch9wavefront6targetE0EEEvS12_,"axG",@progbits,_ZN7rocprim17ROCPRIM_400000_NS6detail17trampoline_kernelINS0_13select_configILj256ELj13ELNS0_17block_load_methodE3ELS4_3ELS4_3ELNS0_20block_scan_algorithmE0ELj4294967295EEENS1_25partition_config_selectorILNS1_17partition_subalgoE4EjNS0_10empty_typeEbEEZZNS1_14partition_implILS8_4ELb0ES6_15HIP_vector_typeIjLj2EENS0_17counting_iteratorIjlEEPS9_SG_NS0_5tupleIJPjSI_NS0_16reverse_iteratorISI_EEEEENSH_IJSG_SG_SG_EEES9_SI_JZNS1_25segmented_radix_sort_implINS0_14default_configELb1EPKsPsPKlPlN2at6native12_GLOBAL__N_18offset_tEEE10hipError_tPvRmT1_PNSt15iterator_traitsIS12_E10value_typeET2_T3_PNS13_IS18_E10value_typeET4_jRbjT5_S1E_jjP12ihipStream_tbEUljE_ZNSN_ISO_Lb1ESQ_SR_ST_SU_SY_EESZ_S10_S11_S12_S16_S17_S18_S1B_S1C_jS1D_jS1E_S1E_jjS1G_bEUljE0_EEESZ_S10_S11_S18_S1C_S1E_T6_T7_T9_mT8_S1G_bDpT10_ENKUlT_T0_E_clISt17integral_constantIbLb0EES1T_IbLb1EEEEDaS1P_S1Q_EUlS1P_E_NS1_11comp_targetILNS1_3genE3ELNS1_11target_archE908ELNS1_3gpuE7ELNS1_3repE0EEENS1_30default_config_static_selectorELNS0_4arch9wavefront6targetE0EEEvS12_,comdat
	.globl	_ZN7rocprim17ROCPRIM_400000_NS6detail17trampoline_kernelINS0_13select_configILj256ELj13ELNS0_17block_load_methodE3ELS4_3ELS4_3ELNS0_20block_scan_algorithmE0ELj4294967295EEENS1_25partition_config_selectorILNS1_17partition_subalgoE4EjNS0_10empty_typeEbEEZZNS1_14partition_implILS8_4ELb0ES6_15HIP_vector_typeIjLj2EENS0_17counting_iteratorIjlEEPS9_SG_NS0_5tupleIJPjSI_NS0_16reverse_iteratorISI_EEEEENSH_IJSG_SG_SG_EEES9_SI_JZNS1_25segmented_radix_sort_implINS0_14default_configELb1EPKsPsPKlPlN2at6native12_GLOBAL__N_18offset_tEEE10hipError_tPvRmT1_PNSt15iterator_traitsIS12_E10value_typeET2_T3_PNS13_IS18_E10value_typeET4_jRbjT5_S1E_jjP12ihipStream_tbEUljE_ZNSN_ISO_Lb1ESQ_SR_ST_SU_SY_EESZ_S10_S11_S12_S16_S17_S18_S1B_S1C_jS1D_jS1E_S1E_jjS1G_bEUljE0_EEESZ_S10_S11_S18_S1C_S1E_T6_T7_T9_mT8_S1G_bDpT10_ENKUlT_T0_E_clISt17integral_constantIbLb0EES1T_IbLb1EEEEDaS1P_S1Q_EUlS1P_E_NS1_11comp_targetILNS1_3genE3ELNS1_11target_archE908ELNS1_3gpuE7ELNS1_3repE0EEENS1_30default_config_static_selectorELNS0_4arch9wavefront6targetE0EEEvS12_ ; -- Begin function _ZN7rocprim17ROCPRIM_400000_NS6detail17trampoline_kernelINS0_13select_configILj256ELj13ELNS0_17block_load_methodE3ELS4_3ELS4_3ELNS0_20block_scan_algorithmE0ELj4294967295EEENS1_25partition_config_selectorILNS1_17partition_subalgoE4EjNS0_10empty_typeEbEEZZNS1_14partition_implILS8_4ELb0ES6_15HIP_vector_typeIjLj2EENS0_17counting_iteratorIjlEEPS9_SG_NS0_5tupleIJPjSI_NS0_16reverse_iteratorISI_EEEEENSH_IJSG_SG_SG_EEES9_SI_JZNS1_25segmented_radix_sort_implINS0_14default_configELb1EPKsPsPKlPlN2at6native12_GLOBAL__N_18offset_tEEE10hipError_tPvRmT1_PNSt15iterator_traitsIS12_E10value_typeET2_T3_PNS13_IS18_E10value_typeET4_jRbjT5_S1E_jjP12ihipStream_tbEUljE_ZNSN_ISO_Lb1ESQ_SR_ST_SU_SY_EESZ_S10_S11_S12_S16_S17_S18_S1B_S1C_jS1D_jS1E_S1E_jjS1G_bEUljE0_EEESZ_S10_S11_S18_S1C_S1E_T6_T7_T9_mT8_S1G_bDpT10_ENKUlT_T0_E_clISt17integral_constantIbLb0EES1T_IbLb1EEEEDaS1P_S1Q_EUlS1P_E_NS1_11comp_targetILNS1_3genE3ELNS1_11target_archE908ELNS1_3gpuE7ELNS1_3repE0EEENS1_30default_config_static_selectorELNS0_4arch9wavefront6targetE0EEEvS12_
	.p2align	8
	.type	_ZN7rocprim17ROCPRIM_400000_NS6detail17trampoline_kernelINS0_13select_configILj256ELj13ELNS0_17block_load_methodE3ELS4_3ELS4_3ELNS0_20block_scan_algorithmE0ELj4294967295EEENS1_25partition_config_selectorILNS1_17partition_subalgoE4EjNS0_10empty_typeEbEEZZNS1_14partition_implILS8_4ELb0ES6_15HIP_vector_typeIjLj2EENS0_17counting_iteratorIjlEEPS9_SG_NS0_5tupleIJPjSI_NS0_16reverse_iteratorISI_EEEEENSH_IJSG_SG_SG_EEES9_SI_JZNS1_25segmented_radix_sort_implINS0_14default_configELb1EPKsPsPKlPlN2at6native12_GLOBAL__N_18offset_tEEE10hipError_tPvRmT1_PNSt15iterator_traitsIS12_E10value_typeET2_T3_PNS13_IS18_E10value_typeET4_jRbjT5_S1E_jjP12ihipStream_tbEUljE_ZNSN_ISO_Lb1ESQ_SR_ST_SU_SY_EESZ_S10_S11_S12_S16_S17_S18_S1B_S1C_jS1D_jS1E_S1E_jjS1G_bEUljE0_EEESZ_S10_S11_S18_S1C_S1E_T6_T7_T9_mT8_S1G_bDpT10_ENKUlT_T0_E_clISt17integral_constantIbLb0EES1T_IbLb1EEEEDaS1P_S1Q_EUlS1P_E_NS1_11comp_targetILNS1_3genE3ELNS1_11target_archE908ELNS1_3gpuE7ELNS1_3repE0EEENS1_30default_config_static_selectorELNS0_4arch9wavefront6targetE0EEEvS12_,@function
_ZN7rocprim17ROCPRIM_400000_NS6detail17trampoline_kernelINS0_13select_configILj256ELj13ELNS0_17block_load_methodE3ELS4_3ELS4_3ELNS0_20block_scan_algorithmE0ELj4294967295EEENS1_25partition_config_selectorILNS1_17partition_subalgoE4EjNS0_10empty_typeEbEEZZNS1_14partition_implILS8_4ELb0ES6_15HIP_vector_typeIjLj2EENS0_17counting_iteratorIjlEEPS9_SG_NS0_5tupleIJPjSI_NS0_16reverse_iteratorISI_EEEEENSH_IJSG_SG_SG_EEES9_SI_JZNS1_25segmented_radix_sort_implINS0_14default_configELb1EPKsPsPKlPlN2at6native12_GLOBAL__N_18offset_tEEE10hipError_tPvRmT1_PNSt15iterator_traitsIS12_E10value_typeET2_T3_PNS13_IS18_E10value_typeET4_jRbjT5_S1E_jjP12ihipStream_tbEUljE_ZNSN_ISO_Lb1ESQ_SR_ST_SU_SY_EESZ_S10_S11_S12_S16_S17_S18_S1B_S1C_jS1D_jS1E_S1E_jjS1G_bEUljE0_EEESZ_S10_S11_S18_S1C_S1E_T6_T7_T9_mT8_S1G_bDpT10_ENKUlT_T0_E_clISt17integral_constantIbLb0EES1T_IbLb1EEEEDaS1P_S1Q_EUlS1P_E_NS1_11comp_targetILNS1_3genE3ELNS1_11target_archE908ELNS1_3gpuE7ELNS1_3repE0EEENS1_30default_config_static_selectorELNS0_4arch9wavefront6targetE0EEEvS12_: ; @_ZN7rocprim17ROCPRIM_400000_NS6detail17trampoline_kernelINS0_13select_configILj256ELj13ELNS0_17block_load_methodE3ELS4_3ELS4_3ELNS0_20block_scan_algorithmE0ELj4294967295EEENS1_25partition_config_selectorILNS1_17partition_subalgoE4EjNS0_10empty_typeEbEEZZNS1_14partition_implILS8_4ELb0ES6_15HIP_vector_typeIjLj2EENS0_17counting_iteratorIjlEEPS9_SG_NS0_5tupleIJPjSI_NS0_16reverse_iteratorISI_EEEEENSH_IJSG_SG_SG_EEES9_SI_JZNS1_25segmented_radix_sort_implINS0_14default_configELb1EPKsPsPKlPlN2at6native12_GLOBAL__N_18offset_tEEE10hipError_tPvRmT1_PNSt15iterator_traitsIS12_E10value_typeET2_T3_PNS13_IS18_E10value_typeET4_jRbjT5_S1E_jjP12ihipStream_tbEUljE_ZNSN_ISO_Lb1ESQ_SR_ST_SU_SY_EESZ_S10_S11_S12_S16_S17_S18_S1B_S1C_jS1D_jS1E_S1E_jjS1G_bEUljE0_EEESZ_S10_S11_S18_S1C_S1E_T6_T7_T9_mT8_S1G_bDpT10_ENKUlT_T0_E_clISt17integral_constantIbLb0EES1T_IbLb1EEEEDaS1P_S1Q_EUlS1P_E_NS1_11comp_targetILNS1_3genE3ELNS1_11target_archE908ELNS1_3gpuE7ELNS1_3repE0EEENS1_30default_config_static_selectorELNS0_4arch9wavefront6targetE0EEEvS12_
; %bb.0:
	.section	.rodata,"a",@progbits
	.p2align	6, 0x0
	.amdhsa_kernel _ZN7rocprim17ROCPRIM_400000_NS6detail17trampoline_kernelINS0_13select_configILj256ELj13ELNS0_17block_load_methodE3ELS4_3ELS4_3ELNS0_20block_scan_algorithmE0ELj4294967295EEENS1_25partition_config_selectorILNS1_17partition_subalgoE4EjNS0_10empty_typeEbEEZZNS1_14partition_implILS8_4ELb0ES6_15HIP_vector_typeIjLj2EENS0_17counting_iteratorIjlEEPS9_SG_NS0_5tupleIJPjSI_NS0_16reverse_iteratorISI_EEEEENSH_IJSG_SG_SG_EEES9_SI_JZNS1_25segmented_radix_sort_implINS0_14default_configELb1EPKsPsPKlPlN2at6native12_GLOBAL__N_18offset_tEEE10hipError_tPvRmT1_PNSt15iterator_traitsIS12_E10value_typeET2_T3_PNS13_IS18_E10value_typeET4_jRbjT5_S1E_jjP12ihipStream_tbEUljE_ZNSN_ISO_Lb1ESQ_SR_ST_SU_SY_EESZ_S10_S11_S12_S16_S17_S18_S1B_S1C_jS1D_jS1E_S1E_jjS1G_bEUljE0_EEESZ_S10_S11_S18_S1C_S1E_T6_T7_T9_mT8_S1G_bDpT10_ENKUlT_T0_E_clISt17integral_constantIbLb0EES1T_IbLb1EEEEDaS1P_S1Q_EUlS1P_E_NS1_11comp_targetILNS1_3genE3ELNS1_11target_archE908ELNS1_3gpuE7ELNS1_3repE0EEENS1_30default_config_static_selectorELNS0_4arch9wavefront6targetE0EEEvS12_
		.amdhsa_group_segment_fixed_size 0
		.amdhsa_private_segment_fixed_size 0
		.amdhsa_kernarg_size 184
		.amdhsa_user_sgpr_count 15
		.amdhsa_user_sgpr_dispatch_ptr 0
		.amdhsa_user_sgpr_queue_ptr 0
		.amdhsa_user_sgpr_kernarg_segment_ptr 1
		.amdhsa_user_sgpr_dispatch_id 0
		.amdhsa_user_sgpr_private_segment_size 0
		.amdhsa_wavefront_size32 1
		.amdhsa_uses_dynamic_stack 0
		.amdhsa_enable_private_segment 0
		.amdhsa_system_sgpr_workgroup_id_x 1
		.amdhsa_system_sgpr_workgroup_id_y 0
		.amdhsa_system_sgpr_workgroup_id_z 0
		.amdhsa_system_sgpr_workgroup_info 0
		.amdhsa_system_vgpr_workitem_id 0
		.amdhsa_next_free_vgpr 1
		.amdhsa_next_free_sgpr 1
		.amdhsa_reserve_vcc 0
		.amdhsa_float_round_mode_32 0
		.amdhsa_float_round_mode_16_64 0
		.amdhsa_float_denorm_mode_32 3
		.amdhsa_float_denorm_mode_16_64 3
		.amdhsa_dx10_clamp 1
		.amdhsa_ieee_mode 1
		.amdhsa_fp16_overflow 0
		.amdhsa_workgroup_processor_mode 1
		.amdhsa_memory_ordered 1
		.amdhsa_forward_progress 0
		.amdhsa_shared_vgpr_count 0
		.amdhsa_exception_fp_ieee_invalid_op 0
		.amdhsa_exception_fp_denorm_src 0
		.amdhsa_exception_fp_ieee_div_zero 0
		.amdhsa_exception_fp_ieee_overflow 0
		.amdhsa_exception_fp_ieee_underflow 0
		.amdhsa_exception_fp_ieee_inexact 0
		.amdhsa_exception_int_div_zero 0
	.end_amdhsa_kernel
	.section	.text._ZN7rocprim17ROCPRIM_400000_NS6detail17trampoline_kernelINS0_13select_configILj256ELj13ELNS0_17block_load_methodE3ELS4_3ELS4_3ELNS0_20block_scan_algorithmE0ELj4294967295EEENS1_25partition_config_selectorILNS1_17partition_subalgoE4EjNS0_10empty_typeEbEEZZNS1_14partition_implILS8_4ELb0ES6_15HIP_vector_typeIjLj2EENS0_17counting_iteratorIjlEEPS9_SG_NS0_5tupleIJPjSI_NS0_16reverse_iteratorISI_EEEEENSH_IJSG_SG_SG_EEES9_SI_JZNS1_25segmented_radix_sort_implINS0_14default_configELb1EPKsPsPKlPlN2at6native12_GLOBAL__N_18offset_tEEE10hipError_tPvRmT1_PNSt15iterator_traitsIS12_E10value_typeET2_T3_PNS13_IS18_E10value_typeET4_jRbjT5_S1E_jjP12ihipStream_tbEUljE_ZNSN_ISO_Lb1ESQ_SR_ST_SU_SY_EESZ_S10_S11_S12_S16_S17_S18_S1B_S1C_jS1D_jS1E_S1E_jjS1G_bEUljE0_EEESZ_S10_S11_S18_S1C_S1E_T6_T7_T9_mT8_S1G_bDpT10_ENKUlT_T0_E_clISt17integral_constantIbLb0EES1T_IbLb1EEEEDaS1P_S1Q_EUlS1P_E_NS1_11comp_targetILNS1_3genE3ELNS1_11target_archE908ELNS1_3gpuE7ELNS1_3repE0EEENS1_30default_config_static_selectorELNS0_4arch9wavefront6targetE0EEEvS12_,"axG",@progbits,_ZN7rocprim17ROCPRIM_400000_NS6detail17trampoline_kernelINS0_13select_configILj256ELj13ELNS0_17block_load_methodE3ELS4_3ELS4_3ELNS0_20block_scan_algorithmE0ELj4294967295EEENS1_25partition_config_selectorILNS1_17partition_subalgoE4EjNS0_10empty_typeEbEEZZNS1_14partition_implILS8_4ELb0ES6_15HIP_vector_typeIjLj2EENS0_17counting_iteratorIjlEEPS9_SG_NS0_5tupleIJPjSI_NS0_16reverse_iteratorISI_EEEEENSH_IJSG_SG_SG_EEES9_SI_JZNS1_25segmented_radix_sort_implINS0_14default_configELb1EPKsPsPKlPlN2at6native12_GLOBAL__N_18offset_tEEE10hipError_tPvRmT1_PNSt15iterator_traitsIS12_E10value_typeET2_T3_PNS13_IS18_E10value_typeET4_jRbjT5_S1E_jjP12ihipStream_tbEUljE_ZNSN_ISO_Lb1ESQ_SR_ST_SU_SY_EESZ_S10_S11_S12_S16_S17_S18_S1B_S1C_jS1D_jS1E_S1E_jjS1G_bEUljE0_EEESZ_S10_S11_S18_S1C_S1E_T6_T7_T9_mT8_S1G_bDpT10_ENKUlT_T0_E_clISt17integral_constantIbLb0EES1T_IbLb1EEEEDaS1P_S1Q_EUlS1P_E_NS1_11comp_targetILNS1_3genE3ELNS1_11target_archE908ELNS1_3gpuE7ELNS1_3repE0EEENS1_30default_config_static_selectorELNS0_4arch9wavefront6targetE0EEEvS12_,comdat
.Lfunc_end874:
	.size	_ZN7rocprim17ROCPRIM_400000_NS6detail17trampoline_kernelINS0_13select_configILj256ELj13ELNS0_17block_load_methodE3ELS4_3ELS4_3ELNS0_20block_scan_algorithmE0ELj4294967295EEENS1_25partition_config_selectorILNS1_17partition_subalgoE4EjNS0_10empty_typeEbEEZZNS1_14partition_implILS8_4ELb0ES6_15HIP_vector_typeIjLj2EENS0_17counting_iteratorIjlEEPS9_SG_NS0_5tupleIJPjSI_NS0_16reverse_iteratorISI_EEEEENSH_IJSG_SG_SG_EEES9_SI_JZNS1_25segmented_radix_sort_implINS0_14default_configELb1EPKsPsPKlPlN2at6native12_GLOBAL__N_18offset_tEEE10hipError_tPvRmT1_PNSt15iterator_traitsIS12_E10value_typeET2_T3_PNS13_IS18_E10value_typeET4_jRbjT5_S1E_jjP12ihipStream_tbEUljE_ZNSN_ISO_Lb1ESQ_SR_ST_SU_SY_EESZ_S10_S11_S12_S16_S17_S18_S1B_S1C_jS1D_jS1E_S1E_jjS1G_bEUljE0_EEESZ_S10_S11_S18_S1C_S1E_T6_T7_T9_mT8_S1G_bDpT10_ENKUlT_T0_E_clISt17integral_constantIbLb0EES1T_IbLb1EEEEDaS1P_S1Q_EUlS1P_E_NS1_11comp_targetILNS1_3genE3ELNS1_11target_archE908ELNS1_3gpuE7ELNS1_3repE0EEENS1_30default_config_static_selectorELNS0_4arch9wavefront6targetE0EEEvS12_, .Lfunc_end874-_ZN7rocprim17ROCPRIM_400000_NS6detail17trampoline_kernelINS0_13select_configILj256ELj13ELNS0_17block_load_methodE3ELS4_3ELS4_3ELNS0_20block_scan_algorithmE0ELj4294967295EEENS1_25partition_config_selectorILNS1_17partition_subalgoE4EjNS0_10empty_typeEbEEZZNS1_14partition_implILS8_4ELb0ES6_15HIP_vector_typeIjLj2EENS0_17counting_iteratorIjlEEPS9_SG_NS0_5tupleIJPjSI_NS0_16reverse_iteratorISI_EEEEENSH_IJSG_SG_SG_EEES9_SI_JZNS1_25segmented_radix_sort_implINS0_14default_configELb1EPKsPsPKlPlN2at6native12_GLOBAL__N_18offset_tEEE10hipError_tPvRmT1_PNSt15iterator_traitsIS12_E10value_typeET2_T3_PNS13_IS18_E10value_typeET4_jRbjT5_S1E_jjP12ihipStream_tbEUljE_ZNSN_ISO_Lb1ESQ_SR_ST_SU_SY_EESZ_S10_S11_S12_S16_S17_S18_S1B_S1C_jS1D_jS1E_S1E_jjS1G_bEUljE0_EEESZ_S10_S11_S18_S1C_S1E_T6_T7_T9_mT8_S1G_bDpT10_ENKUlT_T0_E_clISt17integral_constantIbLb0EES1T_IbLb1EEEEDaS1P_S1Q_EUlS1P_E_NS1_11comp_targetILNS1_3genE3ELNS1_11target_archE908ELNS1_3gpuE7ELNS1_3repE0EEENS1_30default_config_static_selectorELNS0_4arch9wavefront6targetE0EEEvS12_
                                        ; -- End function
	.section	.AMDGPU.csdata,"",@progbits
; Kernel info:
; codeLenInByte = 0
; NumSgprs: 0
; NumVgprs: 0
; ScratchSize: 0
; MemoryBound: 0
; FloatMode: 240
; IeeeMode: 1
; LDSByteSize: 0 bytes/workgroup (compile time only)
; SGPRBlocks: 0
; VGPRBlocks: 0
; NumSGPRsForWavesPerEU: 1
; NumVGPRsForWavesPerEU: 1
; Occupancy: 16
; WaveLimiterHint : 0
; COMPUTE_PGM_RSRC2:SCRATCH_EN: 0
; COMPUTE_PGM_RSRC2:USER_SGPR: 15
; COMPUTE_PGM_RSRC2:TRAP_HANDLER: 0
; COMPUTE_PGM_RSRC2:TGID_X_EN: 1
; COMPUTE_PGM_RSRC2:TGID_Y_EN: 0
; COMPUTE_PGM_RSRC2:TGID_Z_EN: 0
; COMPUTE_PGM_RSRC2:TIDIG_COMP_CNT: 0
	.section	.text._ZN7rocprim17ROCPRIM_400000_NS6detail17trampoline_kernelINS0_13select_configILj256ELj13ELNS0_17block_load_methodE3ELS4_3ELS4_3ELNS0_20block_scan_algorithmE0ELj4294967295EEENS1_25partition_config_selectorILNS1_17partition_subalgoE4EjNS0_10empty_typeEbEEZZNS1_14partition_implILS8_4ELb0ES6_15HIP_vector_typeIjLj2EENS0_17counting_iteratorIjlEEPS9_SG_NS0_5tupleIJPjSI_NS0_16reverse_iteratorISI_EEEEENSH_IJSG_SG_SG_EEES9_SI_JZNS1_25segmented_radix_sort_implINS0_14default_configELb1EPKsPsPKlPlN2at6native12_GLOBAL__N_18offset_tEEE10hipError_tPvRmT1_PNSt15iterator_traitsIS12_E10value_typeET2_T3_PNS13_IS18_E10value_typeET4_jRbjT5_S1E_jjP12ihipStream_tbEUljE_ZNSN_ISO_Lb1ESQ_SR_ST_SU_SY_EESZ_S10_S11_S12_S16_S17_S18_S1B_S1C_jS1D_jS1E_S1E_jjS1G_bEUljE0_EEESZ_S10_S11_S18_S1C_S1E_T6_T7_T9_mT8_S1G_bDpT10_ENKUlT_T0_E_clISt17integral_constantIbLb0EES1T_IbLb1EEEEDaS1P_S1Q_EUlS1P_E_NS1_11comp_targetILNS1_3genE2ELNS1_11target_archE906ELNS1_3gpuE6ELNS1_3repE0EEENS1_30default_config_static_selectorELNS0_4arch9wavefront6targetE0EEEvS12_,"axG",@progbits,_ZN7rocprim17ROCPRIM_400000_NS6detail17trampoline_kernelINS0_13select_configILj256ELj13ELNS0_17block_load_methodE3ELS4_3ELS4_3ELNS0_20block_scan_algorithmE0ELj4294967295EEENS1_25partition_config_selectorILNS1_17partition_subalgoE4EjNS0_10empty_typeEbEEZZNS1_14partition_implILS8_4ELb0ES6_15HIP_vector_typeIjLj2EENS0_17counting_iteratorIjlEEPS9_SG_NS0_5tupleIJPjSI_NS0_16reverse_iteratorISI_EEEEENSH_IJSG_SG_SG_EEES9_SI_JZNS1_25segmented_radix_sort_implINS0_14default_configELb1EPKsPsPKlPlN2at6native12_GLOBAL__N_18offset_tEEE10hipError_tPvRmT1_PNSt15iterator_traitsIS12_E10value_typeET2_T3_PNS13_IS18_E10value_typeET4_jRbjT5_S1E_jjP12ihipStream_tbEUljE_ZNSN_ISO_Lb1ESQ_SR_ST_SU_SY_EESZ_S10_S11_S12_S16_S17_S18_S1B_S1C_jS1D_jS1E_S1E_jjS1G_bEUljE0_EEESZ_S10_S11_S18_S1C_S1E_T6_T7_T9_mT8_S1G_bDpT10_ENKUlT_T0_E_clISt17integral_constantIbLb0EES1T_IbLb1EEEEDaS1P_S1Q_EUlS1P_E_NS1_11comp_targetILNS1_3genE2ELNS1_11target_archE906ELNS1_3gpuE6ELNS1_3repE0EEENS1_30default_config_static_selectorELNS0_4arch9wavefront6targetE0EEEvS12_,comdat
	.globl	_ZN7rocprim17ROCPRIM_400000_NS6detail17trampoline_kernelINS0_13select_configILj256ELj13ELNS0_17block_load_methodE3ELS4_3ELS4_3ELNS0_20block_scan_algorithmE0ELj4294967295EEENS1_25partition_config_selectorILNS1_17partition_subalgoE4EjNS0_10empty_typeEbEEZZNS1_14partition_implILS8_4ELb0ES6_15HIP_vector_typeIjLj2EENS0_17counting_iteratorIjlEEPS9_SG_NS0_5tupleIJPjSI_NS0_16reverse_iteratorISI_EEEEENSH_IJSG_SG_SG_EEES9_SI_JZNS1_25segmented_radix_sort_implINS0_14default_configELb1EPKsPsPKlPlN2at6native12_GLOBAL__N_18offset_tEEE10hipError_tPvRmT1_PNSt15iterator_traitsIS12_E10value_typeET2_T3_PNS13_IS18_E10value_typeET4_jRbjT5_S1E_jjP12ihipStream_tbEUljE_ZNSN_ISO_Lb1ESQ_SR_ST_SU_SY_EESZ_S10_S11_S12_S16_S17_S18_S1B_S1C_jS1D_jS1E_S1E_jjS1G_bEUljE0_EEESZ_S10_S11_S18_S1C_S1E_T6_T7_T9_mT8_S1G_bDpT10_ENKUlT_T0_E_clISt17integral_constantIbLb0EES1T_IbLb1EEEEDaS1P_S1Q_EUlS1P_E_NS1_11comp_targetILNS1_3genE2ELNS1_11target_archE906ELNS1_3gpuE6ELNS1_3repE0EEENS1_30default_config_static_selectorELNS0_4arch9wavefront6targetE0EEEvS12_ ; -- Begin function _ZN7rocprim17ROCPRIM_400000_NS6detail17trampoline_kernelINS0_13select_configILj256ELj13ELNS0_17block_load_methodE3ELS4_3ELS4_3ELNS0_20block_scan_algorithmE0ELj4294967295EEENS1_25partition_config_selectorILNS1_17partition_subalgoE4EjNS0_10empty_typeEbEEZZNS1_14partition_implILS8_4ELb0ES6_15HIP_vector_typeIjLj2EENS0_17counting_iteratorIjlEEPS9_SG_NS0_5tupleIJPjSI_NS0_16reverse_iteratorISI_EEEEENSH_IJSG_SG_SG_EEES9_SI_JZNS1_25segmented_radix_sort_implINS0_14default_configELb1EPKsPsPKlPlN2at6native12_GLOBAL__N_18offset_tEEE10hipError_tPvRmT1_PNSt15iterator_traitsIS12_E10value_typeET2_T3_PNS13_IS18_E10value_typeET4_jRbjT5_S1E_jjP12ihipStream_tbEUljE_ZNSN_ISO_Lb1ESQ_SR_ST_SU_SY_EESZ_S10_S11_S12_S16_S17_S18_S1B_S1C_jS1D_jS1E_S1E_jjS1G_bEUljE0_EEESZ_S10_S11_S18_S1C_S1E_T6_T7_T9_mT8_S1G_bDpT10_ENKUlT_T0_E_clISt17integral_constantIbLb0EES1T_IbLb1EEEEDaS1P_S1Q_EUlS1P_E_NS1_11comp_targetILNS1_3genE2ELNS1_11target_archE906ELNS1_3gpuE6ELNS1_3repE0EEENS1_30default_config_static_selectorELNS0_4arch9wavefront6targetE0EEEvS12_
	.p2align	8
	.type	_ZN7rocprim17ROCPRIM_400000_NS6detail17trampoline_kernelINS0_13select_configILj256ELj13ELNS0_17block_load_methodE3ELS4_3ELS4_3ELNS0_20block_scan_algorithmE0ELj4294967295EEENS1_25partition_config_selectorILNS1_17partition_subalgoE4EjNS0_10empty_typeEbEEZZNS1_14partition_implILS8_4ELb0ES6_15HIP_vector_typeIjLj2EENS0_17counting_iteratorIjlEEPS9_SG_NS0_5tupleIJPjSI_NS0_16reverse_iteratorISI_EEEEENSH_IJSG_SG_SG_EEES9_SI_JZNS1_25segmented_radix_sort_implINS0_14default_configELb1EPKsPsPKlPlN2at6native12_GLOBAL__N_18offset_tEEE10hipError_tPvRmT1_PNSt15iterator_traitsIS12_E10value_typeET2_T3_PNS13_IS18_E10value_typeET4_jRbjT5_S1E_jjP12ihipStream_tbEUljE_ZNSN_ISO_Lb1ESQ_SR_ST_SU_SY_EESZ_S10_S11_S12_S16_S17_S18_S1B_S1C_jS1D_jS1E_S1E_jjS1G_bEUljE0_EEESZ_S10_S11_S18_S1C_S1E_T6_T7_T9_mT8_S1G_bDpT10_ENKUlT_T0_E_clISt17integral_constantIbLb0EES1T_IbLb1EEEEDaS1P_S1Q_EUlS1P_E_NS1_11comp_targetILNS1_3genE2ELNS1_11target_archE906ELNS1_3gpuE6ELNS1_3repE0EEENS1_30default_config_static_selectorELNS0_4arch9wavefront6targetE0EEEvS12_,@function
_ZN7rocprim17ROCPRIM_400000_NS6detail17trampoline_kernelINS0_13select_configILj256ELj13ELNS0_17block_load_methodE3ELS4_3ELS4_3ELNS0_20block_scan_algorithmE0ELj4294967295EEENS1_25partition_config_selectorILNS1_17partition_subalgoE4EjNS0_10empty_typeEbEEZZNS1_14partition_implILS8_4ELb0ES6_15HIP_vector_typeIjLj2EENS0_17counting_iteratorIjlEEPS9_SG_NS0_5tupleIJPjSI_NS0_16reverse_iteratorISI_EEEEENSH_IJSG_SG_SG_EEES9_SI_JZNS1_25segmented_radix_sort_implINS0_14default_configELb1EPKsPsPKlPlN2at6native12_GLOBAL__N_18offset_tEEE10hipError_tPvRmT1_PNSt15iterator_traitsIS12_E10value_typeET2_T3_PNS13_IS18_E10value_typeET4_jRbjT5_S1E_jjP12ihipStream_tbEUljE_ZNSN_ISO_Lb1ESQ_SR_ST_SU_SY_EESZ_S10_S11_S12_S16_S17_S18_S1B_S1C_jS1D_jS1E_S1E_jjS1G_bEUljE0_EEESZ_S10_S11_S18_S1C_S1E_T6_T7_T9_mT8_S1G_bDpT10_ENKUlT_T0_E_clISt17integral_constantIbLb0EES1T_IbLb1EEEEDaS1P_S1Q_EUlS1P_E_NS1_11comp_targetILNS1_3genE2ELNS1_11target_archE906ELNS1_3gpuE6ELNS1_3repE0EEENS1_30default_config_static_selectorELNS0_4arch9wavefront6targetE0EEEvS12_: ; @_ZN7rocprim17ROCPRIM_400000_NS6detail17trampoline_kernelINS0_13select_configILj256ELj13ELNS0_17block_load_methodE3ELS4_3ELS4_3ELNS0_20block_scan_algorithmE0ELj4294967295EEENS1_25partition_config_selectorILNS1_17partition_subalgoE4EjNS0_10empty_typeEbEEZZNS1_14partition_implILS8_4ELb0ES6_15HIP_vector_typeIjLj2EENS0_17counting_iteratorIjlEEPS9_SG_NS0_5tupleIJPjSI_NS0_16reverse_iteratorISI_EEEEENSH_IJSG_SG_SG_EEES9_SI_JZNS1_25segmented_radix_sort_implINS0_14default_configELb1EPKsPsPKlPlN2at6native12_GLOBAL__N_18offset_tEEE10hipError_tPvRmT1_PNSt15iterator_traitsIS12_E10value_typeET2_T3_PNS13_IS18_E10value_typeET4_jRbjT5_S1E_jjP12ihipStream_tbEUljE_ZNSN_ISO_Lb1ESQ_SR_ST_SU_SY_EESZ_S10_S11_S12_S16_S17_S18_S1B_S1C_jS1D_jS1E_S1E_jjS1G_bEUljE0_EEESZ_S10_S11_S18_S1C_S1E_T6_T7_T9_mT8_S1G_bDpT10_ENKUlT_T0_E_clISt17integral_constantIbLb0EES1T_IbLb1EEEEDaS1P_S1Q_EUlS1P_E_NS1_11comp_targetILNS1_3genE2ELNS1_11target_archE906ELNS1_3gpuE6ELNS1_3repE0EEENS1_30default_config_static_selectorELNS0_4arch9wavefront6targetE0EEEvS12_
; %bb.0:
	.section	.rodata,"a",@progbits
	.p2align	6, 0x0
	.amdhsa_kernel _ZN7rocprim17ROCPRIM_400000_NS6detail17trampoline_kernelINS0_13select_configILj256ELj13ELNS0_17block_load_methodE3ELS4_3ELS4_3ELNS0_20block_scan_algorithmE0ELj4294967295EEENS1_25partition_config_selectorILNS1_17partition_subalgoE4EjNS0_10empty_typeEbEEZZNS1_14partition_implILS8_4ELb0ES6_15HIP_vector_typeIjLj2EENS0_17counting_iteratorIjlEEPS9_SG_NS0_5tupleIJPjSI_NS0_16reverse_iteratorISI_EEEEENSH_IJSG_SG_SG_EEES9_SI_JZNS1_25segmented_radix_sort_implINS0_14default_configELb1EPKsPsPKlPlN2at6native12_GLOBAL__N_18offset_tEEE10hipError_tPvRmT1_PNSt15iterator_traitsIS12_E10value_typeET2_T3_PNS13_IS18_E10value_typeET4_jRbjT5_S1E_jjP12ihipStream_tbEUljE_ZNSN_ISO_Lb1ESQ_SR_ST_SU_SY_EESZ_S10_S11_S12_S16_S17_S18_S1B_S1C_jS1D_jS1E_S1E_jjS1G_bEUljE0_EEESZ_S10_S11_S18_S1C_S1E_T6_T7_T9_mT8_S1G_bDpT10_ENKUlT_T0_E_clISt17integral_constantIbLb0EES1T_IbLb1EEEEDaS1P_S1Q_EUlS1P_E_NS1_11comp_targetILNS1_3genE2ELNS1_11target_archE906ELNS1_3gpuE6ELNS1_3repE0EEENS1_30default_config_static_selectorELNS0_4arch9wavefront6targetE0EEEvS12_
		.amdhsa_group_segment_fixed_size 0
		.amdhsa_private_segment_fixed_size 0
		.amdhsa_kernarg_size 184
		.amdhsa_user_sgpr_count 15
		.amdhsa_user_sgpr_dispatch_ptr 0
		.amdhsa_user_sgpr_queue_ptr 0
		.amdhsa_user_sgpr_kernarg_segment_ptr 1
		.amdhsa_user_sgpr_dispatch_id 0
		.amdhsa_user_sgpr_private_segment_size 0
		.amdhsa_wavefront_size32 1
		.amdhsa_uses_dynamic_stack 0
		.amdhsa_enable_private_segment 0
		.amdhsa_system_sgpr_workgroup_id_x 1
		.amdhsa_system_sgpr_workgroup_id_y 0
		.amdhsa_system_sgpr_workgroup_id_z 0
		.amdhsa_system_sgpr_workgroup_info 0
		.amdhsa_system_vgpr_workitem_id 0
		.amdhsa_next_free_vgpr 1
		.amdhsa_next_free_sgpr 1
		.amdhsa_reserve_vcc 0
		.amdhsa_float_round_mode_32 0
		.amdhsa_float_round_mode_16_64 0
		.amdhsa_float_denorm_mode_32 3
		.amdhsa_float_denorm_mode_16_64 3
		.amdhsa_dx10_clamp 1
		.amdhsa_ieee_mode 1
		.amdhsa_fp16_overflow 0
		.amdhsa_workgroup_processor_mode 1
		.amdhsa_memory_ordered 1
		.amdhsa_forward_progress 0
		.amdhsa_shared_vgpr_count 0
		.amdhsa_exception_fp_ieee_invalid_op 0
		.amdhsa_exception_fp_denorm_src 0
		.amdhsa_exception_fp_ieee_div_zero 0
		.amdhsa_exception_fp_ieee_overflow 0
		.amdhsa_exception_fp_ieee_underflow 0
		.amdhsa_exception_fp_ieee_inexact 0
		.amdhsa_exception_int_div_zero 0
	.end_amdhsa_kernel
	.section	.text._ZN7rocprim17ROCPRIM_400000_NS6detail17trampoline_kernelINS0_13select_configILj256ELj13ELNS0_17block_load_methodE3ELS4_3ELS4_3ELNS0_20block_scan_algorithmE0ELj4294967295EEENS1_25partition_config_selectorILNS1_17partition_subalgoE4EjNS0_10empty_typeEbEEZZNS1_14partition_implILS8_4ELb0ES6_15HIP_vector_typeIjLj2EENS0_17counting_iteratorIjlEEPS9_SG_NS0_5tupleIJPjSI_NS0_16reverse_iteratorISI_EEEEENSH_IJSG_SG_SG_EEES9_SI_JZNS1_25segmented_radix_sort_implINS0_14default_configELb1EPKsPsPKlPlN2at6native12_GLOBAL__N_18offset_tEEE10hipError_tPvRmT1_PNSt15iterator_traitsIS12_E10value_typeET2_T3_PNS13_IS18_E10value_typeET4_jRbjT5_S1E_jjP12ihipStream_tbEUljE_ZNSN_ISO_Lb1ESQ_SR_ST_SU_SY_EESZ_S10_S11_S12_S16_S17_S18_S1B_S1C_jS1D_jS1E_S1E_jjS1G_bEUljE0_EEESZ_S10_S11_S18_S1C_S1E_T6_T7_T9_mT8_S1G_bDpT10_ENKUlT_T0_E_clISt17integral_constantIbLb0EES1T_IbLb1EEEEDaS1P_S1Q_EUlS1P_E_NS1_11comp_targetILNS1_3genE2ELNS1_11target_archE906ELNS1_3gpuE6ELNS1_3repE0EEENS1_30default_config_static_selectorELNS0_4arch9wavefront6targetE0EEEvS12_,"axG",@progbits,_ZN7rocprim17ROCPRIM_400000_NS6detail17trampoline_kernelINS0_13select_configILj256ELj13ELNS0_17block_load_methodE3ELS4_3ELS4_3ELNS0_20block_scan_algorithmE0ELj4294967295EEENS1_25partition_config_selectorILNS1_17partition_subalgoE4EjNS0_10empty_typeEbEEZZNS1_14partition_implILS8_4ELb0ES6_15HIP_vector_typeIjLj2EENS0_17counting_iteratorIjlEEPS9_SG_NS0_5tupleIJPjSI_NS0_16reverse_iteratorISI_EEEEENSH_IJSG_SG_SG_EEES9_SI_JZNS1_25segmented_radix_sort_implINS0_14default_configELb1EPKsPsPKlPlN2at6native12_GLOBAL__N_18offset_tEEE10hipError_tPvRmT1_PNSt15iterator_traitsIS12_E10value_typeET2_T3_PNS13_IS18_E10value_typeET4_jRbjT5_S1E_jjP12ihipStream_tbEUljE_ZNSN_ISO_Lb1ESQ_SR_ST_SU_SY_EESZ_S10_S11_S12_S16_S17_S18_S1B_S1C_jS1D_jS1E_S1E_jjS1G_bEUljE0_EEESZ_S10_S11_S18_S1C_S1E_T6_T7_T9_mT8_S1G_bDpT10_ENKUlT_T0_E_clISt17integral_constantIbLb0EES1T_IbLb1EEEEDaS1P_S1Q_EUlS1P_E_NS1_11comp_targetILNS1_3genE2ELNS1_11target_archE906ELNS1_3gpuE6ELNS1_3repE0EEENS1_30default_config_static_selectorELNS0_4arch9wavefront6targetE0EEEvS12_,comdat
.Lfunc_end875:
	.size	_ZN7rocprim17ROCPRIM_400000_NS6detail17trampoline_kernelINS0_13select_configILj256ELj13ELNS0_17block_load_methodE3ELS4_3ELS4_3ELNS0_20block_scan_algorithmE0ELj4294967295EEENS1_25partition_config_selectorILNS1_17partition_subalgoE4EjNS0_10empty_typeEbEEZZNS1_14partition_implILS8_4ELb0ES6_15HIP_vector_typeIjLj2EENS0_17counting_iteratorIjlEEPS9_SG_NS0_5tupleIJPjSI_NS0_16reverse_iteratorISI_EEEEENSH_IJSG_SG_SG_EEES9_SI_JZNS1_25segmented_radix_sort_implINS0_14default_configELb1EPKsPsPKlPlN2at6native12_GLOBAL__N_18offset_tEEE10hipError_tPvRmT1_PNSt15iterator_traitsIS12_E10value_typeET2_T3_PNS13_IS18_E10value_typeET4_jRbjT5_S1E_jjP12ihipStream_tbEUljE_ZNSN_ISO_Lb1ESQ_SR_ST_SU_SY_EESZ_S10_S11_S12_S16_S17_S18_S1B_S1C_jS1D_jS1E_S1E_jjS1G_bEUljE0_EEESZ_S10_S11_S18_S1C_S1E_T6_T7_T9_mT8_S1G_bDpT10_ENKUlT_T0_E_clISt17integral_constantIbLb0EES1T_IbLb1EEEEDaS1P_S1Q_EUlS1P_E_NS1_11comp_targetILNS1_3genE2ELNS1_11target_archE906ELNS1_3gpuE6ELNS1_3repE0EEENS1_30default_config_static_selectorELNS0_4arch9wavefront6targetE0EEEvS12_, .Lfunc_end875-_ZN7rocprim17ROCPRIM_400000_NS6detail17trampoline_kernelINS0_13select_configILj256ELj13ELNS0_17block_load_methodE3ELS4_3ELS4_3ELNS0_20block_scan_algorithmE0ELj4294967295EEENS1_25partition_config_selectorILNS1_17partition_subalgoE4EjNS0_10empty_typeEbEEZZNS1_14partition_implILS8_4ELb0ES6_15HIP_vector_typeIjLj2EENS0_17counting_iteratorIjlEEPS9_SG_NS0_5tupleIJPjSI_NS0_16reverse_iteratorISI_EEEEENSH_IJSG_SG_SG_EEES9_SI_JZNS1_25segmented_radix_sort_implINS0_14default_configELb1EPKsPsPKlPlN2at6native12_GLOBAL__N_18offset_tEEE10hipError_tPvRmT1_PNSt15iterator_traitsIS12_E10value_typeET2_T3_PNS13_IS18_E10value_typeET4_jRbjT5_S1E_jjP12ihipStream_tbEUljE_ZNSN_ISO_Lb1ESQ_SR_ST_SU_SY_EESZ_S10_S11_S12_S16_S17_S18_S1B_S1C_jS1D_jS1E_S1E_jjS1G_bEUljE0_EEESZ_S10_S11_S18_S1C_S1E_T6_T7_T9_mT8_S1G_bDpT10_ENKUlT_T0_E_clISt17integral_constantIbLb0EES1T_IbLb1EEEEDaS1P_S1Q_EUlS1P_E_NS1_11comp_targetILNS1_3genE2ELNS1_11target_archE906ELNS1_3gpuE6ELNS1_3repE0EEENS1_30default_config_static_selectorELNS0_4arch9wavefront6targetE0EEEvS12_
                                        ; -- End function
	.section	.AMDGPU.csdata,"",@progbits
; Kernel info:
; codeLenInByte = 0
; NumSgprs: 0
; NumVgprs: 0
; ScratchSize: 0
; MemoryBound: 0
; FloatMode: 240
; IeeeMode: 1
; LDSByteSize: 0 bytes/workgroup (compile time only)
; SGPRBlocks: 0
; VGPRBlocks: 0
; NumSGPRsForWavesPerEU: 1
; NumVGPRsForWavesPerEU: 1
; Occupancy: 16
; WaveLimiterHint : 0
; COMPUTE_PGM_RSRC2:SCRATCH_EN: 0
; COMPUTE_PGM_RSRC2:USER_SGPR: 15
; COMPUTE_PGM_RSRC2:TRAP_HANDLER: 0
; COMPUTE_PGM_RSRC2:TGID_X_EN: 1
; COMPUTE_PGM_RSRC2:TGID_Y_EN: 0
; COMPUTE_PGM_RSRC2:TGID_Z_EN: 0
; COMPUTE_PGM_RSRC2:TIDIG_COMP_CNT: 0
	.section	.text._ZN7rocprim17ROCPRIM_400000_NS6detail17trampoline_kernelINS0_13select_configILj256ELj13ELNS0_17block_load_methodE3ELS4_3ELS4_3ELNS0_20block_scan_algorithmE0ELj4294967295EEENS1_25partition_config_selectorILNS1_17partition_subalgoE4EjNS0_10empty_typeEbEEZZNS1_14partition_implILS8_4ELb0ES6_15HIP_vector_typeIjLj2EENS0_17counting_iteratorIjlEEPS9_SG_NS0_5tupleIJPjSI_NS0_16reverse_iteratorISI_EEEEENSH_IJSG_SG_SG_EEES9_SI_JZNS1_25segmented_radix_sort_implINS0_14default_configELb1EPKsPsPKlPlN2at6native12_GLOBAL__N_18offset_tEEE10hipError_tPvRmT1_PNSt15iterator_traitsIS12_E10value_typeET2_T3_PNS13_IS18_E10value_typeET4_jRbjT5_S1E_jjP12ihipStream_tbEUljE_ZNSN_ISO_Lb1ESQ_SR_ST_SU_SY_EESZ_S10_S11_S12_S16_S17_S18_S1B_S1C_jS1D_jS1E_S1E_jjS1G_bEUljE0_EEESZ_S10_S11_S18_S1C_S1E_T6_T7_T9_mT8_S1G_bDpT10_ENKUlT_T0_E_clISt17integral_constantIbLb0EES1T_IbLb1EEEEDaS1P_S1Q_EUlS1P_E_NS1_11comp_targetILNS1_3genE10ELNS1_11target_archE1200ELNS1_3gpuE4ELNS1_3repE0EEENS1_30default_config_static_selectorELNS0_4arch9wavefront6targetE0EEEvS12_,"axG",@progbits,_ZN7rocprim17ROCPRIM_400000_NS6detail17trampoline_kernelINS0_13select_configILj256ELj13ELNS0_17block_load_methodE3ELS4_3ELS4_3ELNS0_20block_scan_algorithmE0ELj4294967295EEENS1_25partition_config_selectorILNS1_17partition_subalgoE4EjNS0_10empty_typeEbEEZZNS1_14partition_implILS8_4ELb0ES6_15HIP_vector_typeIjLj2EENS0_17counting_iteratorIjlEEPS9_SG_NS0_5tupleIJPjSI_NS0_16reverse_iteratorISI_EEEEENSH_IJSG_SG_SG_EEES9_SI_JZNS1_25segmented_radix_sort_implINS0_14default_configELb1EPKsPsPKlPlN2at6native12_GLOBAL__N_18offset_tEEE10hipError_tPvRmT1_PNSt15iterator_traitsIS12_E10value_typeET2_T3_PNS13_IS18_E10value_typeET4_jRbjT5_S1E_jjP12ihipStream_tbEUljE_ZNSN_ISO_Lb1ESQ_SR_ST_SU_SY_EESZ_S10_S11_S12_S16_S17_S18_S1B_S1C_jS1D_jS1E_S1E_jjS1G_bEUljE0_EEESZ_S10_S11_S18_S1C_S1E_T6_T7_T9_mT8_S1G_bDpT10_ENKUlT_T0_E_clISt17integral_constantIbLb0EES1T_IbLb1EEEEDaS1P_S1Q_EUlS1P_E_NS1_11comp_targetILNS1_3genE10ELNS1_11target_archE1200ELNS1_3gpuE4ELNS1_3repE0EEENS1_30default_config_static_selectorELNS0_4arch9wavefront6targetE0EEEvS12_,comdat
	.globl	_ZN7rocprim17ROCPRIM_400000_NS6detail17trampoline_kernelINS0_13select_configILj256ELj13ELNS0_17block_load_methodE3ELS4_3ELS4_3ELNS0_20block_scan_algorithmE0ELj4294967295EEENS1_25partition_config_selectorILNS1_17partition_subalgoE4EjNS0_10empty_typeEbEEZZNS1_14partition_implILS8_4ELb0ES6_15HIP_vector_typeIjLj2EENS0_17counting_iteratorIjlEEPS9_SG_NS0_5tupleIJPjSI_NS0_16reverse_iteratorISI_EEEEENSH_IJSG_SG_SG_EEES9_SI_JZNS1_25segmented_radix_sort_implINS0_14default_configELb1EPKsPsPKlPlN2at6native12_GLOBAL__N_18offset_tEEE10hipError_tPvRmT1_PNSt15iterator_traitsIS12_E10value_typeET2_T3_PNS13_IS18_E10value_typeET4_jRbjT5_S1E_jjP12ihipStream_tbEUljE_ZNSN_ISO_Lb1ESQ_SR_ST_SU_SY_EESZ_S10_S11_S12_S16_S17_S18_S1B_S1C_jS1D_jS1E_S1E_jjS1G_bEUljE0_EEESZ_S10_S11_S18_S1C_S1E_T6_T7_T9_mT8_S1G_bDpT10_ENKUlT_T0_E_clISt17integral_constantIbLb0EES1T_IbLb1EEEEDaS1P_S1Q_EUlS1P_E_NS1_11comp_targetILNS1_3genE10ELNS1_11target_archE1200ELNS1_3gpuE4ELNS1_3repE0EEENS1_30default_config_static_selectorELNS0_4arch9wavefront6targetE0EEEvS12_ ; -- Begin function _ZN7rocprim17ROCPRIM_400000_NS6detail17trampoline_kernelINS0_13select_configILj256ELj13ELNS0_17block_load_methodE3ELS4_3ELS4_3ELNS0_20block_scan_algorithmE0ELj4294967295EEENS1_25partition_config_selectorILNS1_17partition_subalgoE4EjNS0_10empty_typeEbEEZZNS1_14partition_implILS8_4ELb0ES6_15HIP_vector_typeIjLj2EENS0_17counting_iteratorIjlEEPS9_SG_NS0_5tupleIJPjSI_NS0_16reverse_iteratorISI_EEEEENSH_IJSG_SG_SG_EEES9_SI_JZNS1_25segmented_radix_sort_implINS0_14default_configELb1EPKsPsPKlPlN2at6native12_GLOBAL__N_18offset_tEEE10hipError_tPvRmT1_PNSt15iterator_traitsIS12_E10value_typeET2_T3_PNS13_IS18_E10value_typeET4_jRbjT5_S1E_jjP12ihipStream_tbEUljE_ZNSN_ISO_Lb1ESQ_SR_ST_SU_SY_EESZ_S10_S11_S12_S16_S17_S18_S1B_S1C_jS1D_jS1E_S1E_jjS1G_bEUljE0_EEESZ_S10_S11_S18_S1C_S1E_T6_T7_T9_mT8_S1G_bDpT10_ENKUlT_T0_E_clISt17integral_constantIbLb0EES1T_IbLb1EEEEDaS1P_S1Q_EUlS1P_E_NS1_11comp_targetILNS1_3genE10ELNS1_11target_archE1200ELNS1_3gpuE4ELNS1_3repE0EEENS1_30default_config_static_selectorELNS0_4arch9wavefront6targetE0EEEvS12_
	.p2align	8
	.type	_ZN7rocprim17ROCPRIM_400000_NS6detail17trampoline_kernelINS0_13select_configILj256ELj13ELNS0_17block_load_methodE3ELS4_3ELS4_3ELNS0_20block_scan_algorithmE0ELj4294967295EEENS1_25partition_config_selectorILNS1_17partition_subalgoE4EjNS0_10empty_typeEbEEZZNS1_14partition_implILS8_4ELb0ES6_15HIP_vector_typeIjLj2EENS0_17counting_iteratorIjlEEPS9_SG_NS0_5tupleIJPjSI_NS0_16reverse_iteratorISI_EEEEENSH_IJSG_SG_SG_EEES9_SI_JZNS1_25segmented_radix_sort_implINS0_14default_configELb1EPKsPsPKlPlN2at6native12_GLOBAL__N_18offset_tEEE10hipError_tPvRmT1_PNSt15iterator_traitsIS12_E10value_typeET2_T3_PNS13_IS18_E10value_typeET4_jRbjT5_S1E_jjP12ihipStream_tbEUljE_ZNSN_ISO_Lb1ESQ_SR_ST_SU_SY_EESZ_S10_S11_S12_S16_S17_S18_S1B_S1C_jS1D_jS1E_S1E_jjS1G_bEUljE0_EEESZ_S10_S11_S18_S1C_S1E_T6_T7_T9_mT8_S1G_bDpT10_ENKUlT_T0_E_clISt17integral_constantIbLb0EES1T_IbLb1EEEEDaS1P_S1Q_EUlS1P_E_NS1_11comp_targetILNS1_3genE10ELNS1_11target_archE1200ELNS1_3gpuE4ELNS1_3repE0EEENS1_30default_config_static_selectorELNS0_4arch9wavefront6targetE0EEEvS12_,@function
_ZN7rocprim17ROCPRIM_400000_NS6detail17trampoline_kernelINS0_13select_configILj256ELj13ELNS0_17block_load_methodE3ELS4_3ELS4_3ELNS0_20block_scan_algorithmE0ELj4294967295EEENS1_25partition_config_selectorILNS1_17partition_subalgoE4EjNS0_10empty_typeEbEEZZNS1_14partition_implILS8_4ELb0ES6_15HIP_vector_typeIjLj2EENS0_17counting_iteratorIjlEEPS9_SG_NS0_5tupleIJPjSI_NS0_16reverse_iteratorISI_EEEEENSH_IJSG_SG_SG_EEES9_SI_JZNS1_25segmented_radix_sort_implINS0_14default_configELb1EPKsPsPKlPlN2at6native12_GLOBAL__N_18offset_tEEE10hipError_tPvRmT1_PNSt15iterator_traitsIS12_E10value_typeET2_T3_PNS13_IS18_E10value_typeET4_jRbjT5_S1E_jjP12ihipStream_tbEUljE_ZNSN_ISO_Lb1ESQ_SR_ST_SU_SY_EESZ_S10_S11_S12_S16_S17_S18_S1B_S1C_jS1D_jS1E_S1E_jjS1G_bEUljE0_EEESZ_S10_S11_S18_S1C_S1E_T6_T7_T9_mT8_S1G_bDpT10_ENKUlT_T0_E_clISt17integral_constantIbLb0EES1T_IbLb1EEEEDaS1P_S1Q_EUlS1P_E_NS1_11comp_targetILNS1_3genE10ELNS1_11target_archE1200ELNS1_3gpuE4ELNS1_3repE0EEENS1_30default_config_static_selectorELNS0_4arch9wavefront6targetE0EEEvS12_: ; @_ZN7rocprim17ROCPRIM_400000_NS6detail17trampoline_kernelINS0_13select_configILj256ELj13ELNS0_17block_load_methodE3ELS4_3ELS4_3ELNS0_20block_scan_algorithmE0ELj4294967295EEENS1_25partition_config_selectorILNS1_17partition_subalgoE4EjNS0_10empty_typeEbEEZZNS1_14partition_implILS8_4ELb0ES6_15HIP_vector_typeIjLj2EENS0_17counting_iteratorIjlEEPS9_SG_NS0_5tupleIJPjSI_NS0_16reverse_iteratorISI_EEEEENSH_IJSG_SG_SG_EEES9_SI_JZNS1_25segmented_radix_sort_implINS0_14default_configELb1EPKsPsPKlPlN2at6native12_GLOBAL__N_18offset_tEEE10hipError_tPvRmT1_PNSt15iterator_traitsIS12_E10value_typeET2_T3_PNS13_IS18_E10value_typeET4_jRbjT5_S1E_jjP12ihipStream_tbEUljE_ZNSN_ISO_Lb1ESQ_SR_ST_SU_SY_EESZ_S10_S11_S12_S16_S17_S18_S1B_S1C_jS1D_jS1E_S1E_jjS1G_bEUljE0_EEESZ_S10_S11_S18_S1C_S1E_T6_T7_T9_mT8_S1G_bDpT10_ENKUlT_T0_E_clISt17integral_constantIbLb0EES1T_IbLb1EEEEDaS1P_S1Q_EUlS1P_E_NS1_11comp_targetILNS1_3genE10ELNS1_11target_archE1200ELNS1_3gpuE4ELNS1_3repE0EEENS1_30default_config_static_selectorELNS0_4arch9wavefront6targetE0EEEvS12_
; %bb.0:
	.section	.rodata,"a",@progbits
	.p2align	6, 0x0
	.amdhsa_kernel _ZN7rocprim17ROCPRIM_400000_NS6detail17trampoline_kernelINS0_13select_configILj256ELj13ELNS0_17block_load_methodE3ELS4_3ELS4_3ELNS0_20block_scan_algorithmE0ELj4294967295EEENS1_25partition_config_selectorILNS1_17partition_subalgoE4EjNS0_10empty_typeEbEEZZNS1_14partition_implILS8_4ELb0ES6_15HIP_vector_typeIjLj2EENS0_17counting_iteratorIjlEEPS9_SG_NS0_5tupleIJPjSI_NS0_16reverse_iteratorISI_EEEEENSH_IJSG_SG_SG_EEES9_SI_JZNS1_25segmented_radix_sort_implINS0_14default_configELb1EPKsPsPKlPlN2at6native12_GLOBAL__N_18offset_tEEE10hipError_tPvRmT1_PNSt15iterator_traitsIS12_E10value_typeET2_T3_PNS13_IS18_E10value_typeET4_jRbjT5_S1E_jjP12ihipStream_tbEUljE_ZNSN_ISO_Lb1ESQ_SR_ST_SU_SY_EESZ_S10_S11_S12_S16_S17_S18_S1B_S1C_jS1D_jS1E_S1E_jjS1G_bEUljE0_EEESZ_S10_S11_S18_S1C_S1E_T6_T7_T9_mT8_S1G_bDpT10_ENKUlT_T0_E_clISt17integral_constantIbLb0EES1T_IbLb1EEEEDaS1P_S1Q_EUlS1P_E_NS1_11comp_targetILNS1_3genE10ELNS1_11target_archE1200ELNS1_3gpuE4ELNS1_3repE0EEENS1_30default_config_static_selectorELNS0_4arch9wavefront6targetE0EEEvS12_
		.amdhsa_group_segment_fixed_size 0
		.amdhsa_private_segment_fixed_size 0
		.amdhsa_kernarg_size 184
		.amdhsa_user_sgpr_count 15
		.amdhsa_user_sgpr_dispatch_ptr 0
		.amdhsa_user_sgpr_queue_ptr 0
		.amdhsa_user_sgpr_kernarg_segment_ptr 1
		.amdhsa_user_sgpr_dispatch_id 0
		.amdhsa_user_sgpr_private_segment_size 0
		.amdhsa_wavefront_size32 1
		.amdhsa_uses_dynamic_stack 0
		.amdhsa_enable_private_segment 0
		.amdhsa_system_sgpr_workgroup_id_x 1
		.amdhsa_system_sgpr_workgroup_id_y 0
		.amdhsa_system_sgpr_workgroup_id_z 0
		.amdhsa_system_sgpr_workgroup_info 0
		.amdhsa_system_vgpr_workitem_id 0
		.amdhsa_next_free_vgpr 1
		.amdhsa_next_free_sgpr 1
		.amdhsa_reserve_vcc 0
		.amdhsa_float_round_mode_32 0
		.amdhsa_float_round_mode_16_64 0
		.amdhsa_float_denorm_mode_32 3
		.amdhsa_float_denorm_mode_16_64 3
		.amdhsa_dx10_clamp 1
		.amdhsa_ieee_mode 1
		.amdhsa_fp16_overflow 0
		.amdhsa_workgroup_processor_mode 1
		.amdhsa_memory_ordered 1
		.amdhsa_forward_progress 0
		.amdhsa_shared_vgpr_count 0
		.amdhsa_exception_fp_ieee_invalid_op 0
		.amdhsa_exception_fp_denorm_src 0
		.amdhsa_exception_fp_ieee_div_zero 0
		.amdhsa_exception_fp_ieee_overflow 0
		.amdhsa_exception_fp_ieee_underflow 0
		.amdhsa_exception_fp_ieee_inexact 0
		.amdhsa_exception_int_div_zero 0
	.end_amdhsa_kernel
	.section	.text._ZN7rocprim17ROCPRIM_400000_NS6detail17trampoline_kernelINS0_13select_configILj256ELj13ELNS0_17block_load_methodE3ELS4_3ELS4_3ELNS0_20block_scan_algorithmE0ELj4294967295EEENS1_25partition_config_selectorILNS1_17partition_subalgoE4EjNS0_10empty_typeEbEEZZNS1_14partition_implILS8_4ELb0ES6_15HIP_vector_typeIjLj2EENS0_17counting_iteratorIjlEEPS9_SG_NS0_5tupleIJPjSI_NS0_16reverse_iteratorISI_EEEEENSH_IJSG_SG_SG_EEES9_SI_JZNS1_25segmented_radix_sort_implINS0_14default_configELb1EPKsPsPKlPlN2at6native12_GLOBAL__N_18offset_tEEE10hipError_tPvRmT1_PNSt15iterator_traitsIS12_E10value_typeET2_T3_PNS13_IS18_E10value_typeET4_jRbjT5_S1E_jjP12ihipStream_tbEUljE_ZNSN_ISO_Lb1ESQ_SR_ST_SU_SY_EESZ_S10_S11_S12_S16_S17_S18_S1B_S1C_jS1D_jS1E_S1E_jjS1G_bEUljE0_EEESZ_S10_S11_S18_S1C_S1E_T6_T7_T9_mT8_S1G_bDpT10_ENKUlT_T0_E_clISt17integral_constantIbLb0EES1T_IbLb1EEEEDaS1P_S1Q_EUlS1P_E_NS1_11comp_targetILNS1_3genE10ELNS1_11target_archE1200ELNS1_3gpuE4ELNS1_3repE0EEENS1_30default_config_static_selectorELNS0_4arch9wavefront6targetE0EEEvS12_,"axG",@progbits,_ZN7rocprim17ROCPRIM_400000_NS6detail17trampoline_kernelINS0_13select_configILj256ELj13ELNS0_17block_load_methodE3ELS4_3ELS4_3ELNS0_20block_scan_algorithmE0ELj4294967295EEENS1_25partition_config_selectorILNS1_17partition_subalgoE4EjNS0_10empty_typeEbEEZZNS1_14partition_implILS8_4ELb0ES6_15HIP_vector_typeIjLj2EENS0_17counting_iteratorIjlEEPS9_SG_NS0_5tupleIJPjSI_NS0_16reverse_iteratorISI_EEEEENSH_IJSG_SG_SG_EEES9_SI_JZNS1_25segmented_radix_sort_implINS0_14default_configELb1EPKsPsPKlPlN2at6native12_GLOBAL__N_18offset_tEEE10hipError_tPvRmT1_PNSt15iterator_traitsIS12_E10value_typeET2_T3_PNS13_IS18_E10value_typeET4_jRbjT5_S1E_jjP12ihipStream_tbEUljE_ZNSN_ISO_Lb1ESQ_SR_ST_SU_SY_EESZ_S10_S11_S12_S16_S17_S18_S1B_S1C_jS1D_jS1E_S1E_jjS1G_bEUljE0_EEESZ_S10_S11_S18_S1C_S1E_T6_T7_T9_mT8_S1G_bDpT10_ENKUlT_T0_E_clISt17integral_constantIbLb0EES1T_IbLb1EEEEDaS1P_S1Q_EUlS1P_E_NS1_11comp_targetILNS1_3genE10ELNS1_11target_archE1200ELNS1_3gpuE4ELNS1_3repE0EEENS1_30default_config_static_selectorELNS0_4arch9wavefront6targetE0EEEvS12_,comdat
.Lfunc_end876:
	.size	_ZN7rocprim17ROCPRIM_400000_NS6detail17trampoline_kernelINS0_13select_configILj256ELj13ELNS0_17block_load_methodE3ELS4_3ELS4_3ELNS0_20block_scan_algorithmE0ELj4294967295EEENS1_25partition_config_selectorILNS1_17partition_subalgoE4EjNS0_10empty_typeEbEEZZNS1_14partition_implILS8_4ELb0ES6_15HIP_vector_typeIjLj2EENS0_17counting_iteratorIjlEEPS9_SG_NS0_5tupleIJPjSI_NS0_16reverse_iteratorISI_EEEEENSH_IJSG_SG_SG_EEES9_SI_JZNS1_25segmented_radix_sort_implINS0_14default_configELb1EPKsPsPKlPlN2at6native12_GLOBAL__N_18offset_tEEE10hipError_tPvRmT1_PNSt15iterator_traitsIS12_E10value_typeET2_T3_PNS13_IS18_E10value_typeET4_jRbjT5_S1E_jjP12ihipStream_tbEUljE_ZNSN_ISO_Lb1ESQ_SR_ST_SU_SY_EESZ_S10_S11_S12_S16_S17_S18_S1B_S1C_jS1D_jS1E_S1E_jjS1G_bEUljE0_EEESZ_S10_S11_S18_S1C_S1E_T6_T7_T9_mT8_S1G_bDpT10_ENKUlT_T0_E_clISt17integral_constantIbLb0EES1T_IbLb1EEEEDaS1P_S1Q_EUlS1P_E_NS1_11comp_targetILNS1_3genE10ELNS1_11target_archE1200ELNS1_3gpuE4ELNS1_3repE0EEENS1_30default_config_static_selectorELNS0_4arch9wavefront6targetE0EEEvS12_, .Lfunc_end876-_ZN7rocprim17ROCPRIM_400000_NS6detail17trampoline_kernelINS0_13select_configILj256ELj13ELNS0_17block_load_methodE3ELS4_3ELS4_3ELNS0_20block_scan_algorithmE0ELj4294967295EEENS1_25partition_config_selectorILNS1_17partition_subalgoE4EjNS0_10empty_typeEbEEZZNS1_14partition_implILS8_4ELb0ES6_15HIP_vector_typeIjLj2EENS0_17counting_iteratorIjlEEPS9_SG_NS0_5tupleIJPjSI_NS0_16reverse_iteratorISI_EEEEENSH_IJSG_SG_SG_EEES9_SI_JZNS1_25segmented_radix_sort_implINS0_14default_configELb1EPKsPsPKlPlN2at6native12_GLOBAL__N_18offset_tEEE10hipError_tPvRmT1_PNSt15iterator_traitsIS12_E10value_typeET2_T3_PNS13_IS18_E10value_typeET4_jRbjT5_S1E_jjP12ihipStream_tbEUljE_ZNSN_ISO_Lb1ESQ_SR_ST_SU_SY_EESZ_S10_S11_S12_S16_S17_S18_S1B_S1C_jS1D_jS1E_S1E_jjS1G_bEUljE0_EEESZ_S10_S11_S18_S1C_S1E_T6_T7_T9_mT8_S1G_bDpT10_ENKUlT_T0_E_clISt17integral_constantIbLb0EES1T_IbLb1EEEEDaS1P_S1Q_EUlS1P_E_NS1_11comp_targetILNS1_3genE10ELNS1_11target_archE1200ELNS1_3gpuE4ELNS1_3repE0EEENS1_30default_config_static_selectorELNS0_4arch9wavefront6targetE0EEEvS12_
                                        ; -- End function
	.section	.AMDGPU.csdata,"",@progbits
; Kernel info:
; codeLenInByte = 0
; NumSgprs: 0
; NumVgprs: 0
; ScratchSize: 0
; MemoryBound: 0
; FloatMode: 240
; IeeeMode: 1
; LDSByteSize: 0 bytes/workgroup (compile time only)
; SGPRBlocks: 0
; VGPRBlocks: 0
; NumSGPRsForWavesPerEU: 1
; NumVGPRsForWavesPerEU: 1
; Occupancy: 16
; WaveLimiterHint : 0
; COMPUTE_PGM_RSRC2:SCRATCH_EN: 0
; COMPUTE_PGM_RSRC2:USER_SGPR: 15
; COMPUTE_PGM_RSRC2:TRAP_HANDLER: 0
; COMPUTE_PGM_RSRC2:TGID_X_EN: 1
; COMPUTE_PGM_RSRC2:TGID_Y_EN: 0
; COMPUTE_PGM_RSRC2:TGID_Z_EN: 0
; COMPUTE_PGM_RSRC2:TIDIG_COMP_CNT: 0
	.section	.text._ZN7rocprim17ROCPRIM_400000_NS6detail17trampoline_kernelINS0_13select_configILj256ELj13ELNS0_17block_load_methodE3ELS4_3ELS4_3ELNS0_20block_scan_algorithmE0ELj4294967295EEENS1_25partition_config_selectorILNS1_17partition_subalgoE4EjNS0_10empty_typeEbEEZZNS1_14partition_implILS8_4ELb0ES6_15HIP_vector_typeIjLj2EENS0_17counting_iteratorIjlEEPS9_SG_NS0_5tupleIJPjSI_NS0_16reverse_iteratorISI_EEEEENSH_IJSG_SG_SG_EEES9_SI_JZNS1_25segmented_radix_sort_implINS0_14default_configELb1EPKsPsPKlPlN2at6native12_GLOBAL__N_18offset_tEEE10hipError_tPvRmT1_PNSt15iterator_traitsIS12_E10value_typeET2_T3_PNS13_IS18_E10value_typeET4_jRbjT5_S1E_jjP12ihipStream_tbEUljE_ZNSN_ISO_Lb1ESQ_SR_ST_SU_SY_EESZ_S10_S11_S12_S16_S17_S18_S1B_S1C_jS1D_jS1E_S1E_jjS1G_bEUljE0_EEESZ_S10_S11_S18_S1C_S1E_T6_T7_T9_mT8_S1G_bDpT10_ENKUlT_T0_E_clISt17integral_constantIbLb0EES1T_IbLb1EEEEDaS1P_S1Q_EUlS1P_E_NS1_11comp_targetILNS1_3genE9ELNS1_11target_archE1100ELNS1_3gpuE3ELNS1_3repE0EEENS1_30default_config_static_selectorELNS0_4arch9wavefront6targetE0EEEvS12_,"axG",@progbits,_ZN7rocprim17ROCPRIM_400000_NS6detail17trampoline_kernelINS0_13select_configILj256ELj13ELNS0_17block_load_methodE3ELS4_3ELS4_3ELNS0_20block_scan_algorithmE0ELj4294967295EEENS1_25partition_config_selectorILNS1_17partition_subalgoE4EjNS0_10empty_typeEbEEZZNS1_14partition_implILS8_4ELb0ES6_15HIP_vector_typeIjLj2EENS0_17counting_iteratorIjlEEPS9_SG_NS0_5tupleIJPjSI_NS0_16reverse_iteratorISI_EEEEENSH_IJSG_SG_SG_EEES9_SI_JZNS1_25segmented_radix_sort_implINS0_14default_configELb1EPKsPsPKlPlN2at6native12_GLOBAL__N_18offset_tEEE10hipError_tPvRmT1_PNSt15iterator_traitsIS12_E10value_typeET2_T3_PNS13_IS18_E10value_typeET4_jRbjT5_S1E_jjP12ihipStream_tbEUljE_ZNSN_ISO_Lb1ESQ_SR_ST_SU_SY_EESZ_S10_S11_S12_S16_S17_S18_S1B_S1C_jS1D_jS1E_S1E_jjS1G_bEUljE0_EEESZ_S10_S11_S18_S1C_S1E_T6_T7_T9_mT8_S1G_bDpT10_ENKUlT_T0_E_clISt17integral_constantIbLb0EES1T_IbLb1EEEEDaS1P_S1Q_EUlS1P_E_NS1_11comp_targetILNS1_3genE9ELNS1_11target_archE1100ELNS1_3gpuE3ELNS1_3repE0EEENS1_30default_config_static_selectorELNS0_4arch9wavefront6targetE0EEEvS12_,comdat
	.globl	_ZN7rocprim17ROCPRIM_400000_NS6detail17trampoline_kernelINS0_13select_configILj256ELj13ELNS0_17block_load_methodE3ELS4_3ELS4_3ELNS0_20block_scan_algorithmE0ELj4294967295EEENS1_25partition_config_selectorILNS1_17partition_subalgoE4EjNS0_10empty_typeEbEEZZNS1_14partition_implILS8_4ELb0ES6_15HIP_vector_typeIjLj2EENS0_17counting_iteratorIjlEEPS9_SG_NS0_5tupleIJPjSI_NS0_16reverse_iteratorISI_EEEEENSH_IJSG_SG_SG_EEES9_SI_JZNS1_25segmented_radix_sort_implINS0_14default_configELb1EPKsPsPKlPlN2at6native12_GLOBAL__N_18offset_tEEE10hipError_tPvRmT1_PNSt15iterator_traitsIS12_E10value_typeET2_T3_PNS13_IS18_E10value_typeET4_jRbjT5_S1E_jjP12ihipStream_tbEUljE_ZNSN_ISO_Lb1ESQ_SR_ST_SU_SY_EESZ_S10_S11_S12_S16_S17_S18_S1B_S1C_jS1D_jS1E_S1E_jjS1G_bEUljE0_EEESZ_S10_S11_S18_S1C_S1E_T6_T7_T9_mT8_S1G_bDpT10_ENKUlT_T0_E_clISt17integral_constantIbLb0EES1T_IbLb1EEEEDaS1P_S1Q_EUlS1P_E_NS1_11comp_targetILNS1_3genE9ELNS1_11target_archE1100ELNS1_3gpuE3ELNS1_3repE0EEENS1_30default_config_static_selectorELNS0_4arch9wavefront6targetE0EEEvS12_ ; -- Begin function _ZN7rocprim17ROCPRIM_400000_NS6detail17trampoline_kernelINS0_13select_configILj256ELj13ELNS0_17block_load_methodE3ELS4_3ELS4_3ELNS0_20block_scan_algorithmE0ELj4294967295EEENS1_25partition_config_selectorILNS1_17partition_subalgoE4EjNS0_10empty_typeEbEEZZNS1_14partition_implILS8_4ELb0ES6_15HIP_vector_typeIjLj2EENS0_17counting_iteratorIjlEEPS9_SG_NS0_5tupleIJPjSI_NS0_16reverse_iteratorISI_EEEEENSH_IJSG_SG_SG_EEES9_SI_JZNS1_25segmented_radix_sort_implINS0_14default_configELb1EPKsPsPKlPlN2at6native12_GLOBAL__N_18offset_tEEE10hipError_tPvRmT1_PNSt15iterator_traitsIS12_E10value_typeET2_T3_PNS13_IS18_E10value_typeET4_jRbjT5_S1E_jjP12ihipStream_tbEUljE_ZNSN_ISO_Lb1ESQ_SR_ST_SU_SY_EESZ_S10_S11_S12_S16_S17_S18_S1B_S1C_jS1D_jS1E_S1E_jjS1G_bEUljE0_EEESZ_S10_S11_S18_S1C_S1E_T6_T7_T9_mT8_S1G_bDpT10_ENKUlT_T0_E_clISt17integral_constantIbLb0EES1T_IbLb1EEEEDaS1P_S1Q_EUlS1P_E_NS1_11comp_targetILNS1_3genE9ELNS1_11target_archE1100ELNS1_3gpuE3ELNS1_3repE0EEENS1_30default_config_static_selectorELNS0_4arch9wavefront6targetE0EEEvS12_
	.p2align	8
	.type	_ZN7rocprim17ROCPRIM_400000_NS6detail17trampoline_kernelINS0_13select_configILj256ELj13ELNS0_17block_load_methodE3ELS4_3ELS4_3ELNS0_20block_scan_algorithmE0ELj4294967295EEENS1_25partition_config_selectorILNS1_17partition_subalgoE4EjNS0_10empty_typeEbEEZZNS1_14partition_implILS8_4ELb0ES6_15HIP_vector_typeIjLj2EENS0_17counting_iteratorIjlEEPS9_SG_NS0_5tupleIJPjSI_NS0_16reverse_iteratorISI_EEEEENSH_IJSG_SG_SG_EEES9_SI_JZNS1_25segmented_radix_sort_implINS0_14default_configELb1EPKsPsPKlPlN2at6native12_GLOBAL__N_18offset_tEEE10hipError_tPvRmT1_PNSt15iterator_traitsIS12_E10value_typeET2_T3_PNS13_IS18_E10value_typeET4_jRbjT5_S1E_jjP12ihipStream_tbEUljE_ZNSN_ISO_Lb1ESQ_SR_ST_SU_SY_EESZ_S10_S11_S12_S16_S17_S18_S1B_S1C_jS1D_jS1E_S1E_jjS1G_bEUljE0_EEESZ_S10_S11_S18_S1C_S1E_T6_T7_T9_mT8_S1G_bDpT10_ENKUlT_T0_E_clISt17integral_constantIbLb0EES1T_IbLb1EEEEDaS1P_S1Q_EUlS1P_E_NS1_11comp_targetILNS1_3genE9ELNS1_11target_archE1100ELNS1_3gpuE3ELNS1_3repE0EEENS1_30default_config_static_selectorELNS0_4arch9wavefront6targetE0EEEvS12_,@function
_ZN7rocprim17ROCPRIM_400000_NS6detail17trampoline_kernelINS0_13select_configILj256ELj13ELNS0_17block_load_methodE3ELS4_3ELS4_3ELNS0_20block_scan_algorithmE0ELj4294967295EEENS1_25partition_config_selectorILNS1_17partition_subalgoE4EjNS0_10empty_typeEbEEZZNS1_14partition_implILS8_4ELb0ES6_15HIP_vector_typeIjLj2EENS0_17counting_iteratorIjlEEPS9_SG_NS0_5tupleIJPjSI_NS0_16reverse_iteratorISI_EEEEENSH_IJSG_SG_SG_EEES9_SI_JZNS1_25segmented_radix_sort_implINS0_14default_configELb1EPKsPsPKlPlN2at6native12_GLOBAL__N_18offset_tEEE10hipError_tPvRmT1_PNSt15iterator_traitsIS12_E10value_typeET2_T3_PNS13_IS18_E10value_typeET4_jRbjT5_S1E_jjP12ihipStream_tbEUljE_ZNSN_ISO_Lb1ESQ_SR_ST_SU_SY_EESZ_S10_S11_S12_S16_S17_S18_S1B_S1C_jS1D_jS1E_S1E_jjS1G_bEUljE0_EEESZ_S10_S11_S18_S1C_S1E_T6_T7_T9_mT8_S1G_bDpT10_ENKUlT_T0_E_clISt17integral_constantIbLb0EES1T_IbLb1EEEEDaS1P_S1Q_EUlS1P_E_NS1_11comp_targetILNS1_3genE9ELNS1_11target_archE1100ELNS1_3gpuE3ELNS1_3repE0EEENS1_30default_config_static_selectorELNS0_4arch9wavefront6targetE0EEEvS12_: ; @_ZN7rocprim17ROCPRIM_400000_NS6detail17trampoline_kernelINS0_13select_configILj256ELj13ELNS0_17block_load_methodE3ELS4_3ELS4_3ELNS0_20block_scan_algorithmE0ELj4294967295EEENS1_25partition_config_selectorILNS1_17partition_subalgoE4EjNS0_10empty_typeEbEEZZNS1_14partition_implILS8_4ELb0ES6_15HIP_vector_typeIjLj2EENS0_17counting_iteratorIjlEEPS9_SG_NS0_5tupleIJPjSI_NS0_16reverse_iteratorISI_EEEEENSH_IJSG_SG_SG_EEES9_SI_JZNS1_25segmented_radix_sort_implINS0_14default_configELb1EPKsPsPKlPlN2at6native12_GLOBAL__N_18offset_tEEE10hipError_tPvRmT1_PNSt15iterator_traitsIS12_E10value_typeET2_T3_PNS13_IS18_E10value_typeET4_jRbjT5_S1E_jjP12ihipStream_tbEUljE_ZNSN_ISO_Lb1ESQ_SR_ST_SU_SY_EESZ_S10_S11_S12_S16_S17_S18_S1B_S1C_jS1D_jS1E_S1E_jjS1G_bEUljE0_EEESZ_S10_S11_S18_S1C_S1E_T6_T7_T9_mT8_S1G_bDpT10_ENKUlT_T0_E_clISt17integral_constantIbLb0EES1T_IbLb1EEEEDaS1P_S1Q_EUlS1P_E_NS1_11comp_targetILNS1_3genE9ELNS1_11target_archE1100ELNS1_3gpuE3ELNS1_3repE0EEENS1_30default_config_static_selectorELNS0_4arch9wavefront6targetE0EEEvS12_
; %bb.0:
	s_clause 0x7
	s_load_b64 s[34:35], s[0:1], 0x10
	s_load_b128 s[28:31], s[0:1], 0x28
	s_load_b64 s[14:15], s[0:1], 0x38
	s_load_b128 s[24:27], s[0:1], 0x58
	s_load_b64 s[4:5], s[0:1], 0x68
	s_load_b64 s[36:37], s[0:1], 0x78
	;; [unrolled: 1-line block ×3, first 2 shown]
	s_load_b256 s[16:23], s[0:1], 0x90
	v_cmp_eq_u32_e64 s2, 0, v0
	s_delay_alu instid0(VALU_DEP_1)
	s_and_saveexec_b32 s3, s2
	s_cbranch_execz .LBB877_4
; %bb.1:
	s_mov_b32 s7, exec_lo
	s_mov_b32 s6, exec_lo
	v_mbcnt_lo_u32_b32 v1, s7, 0
                                        ; implicit-def: $vgpr2
	s_delay_alu instid0(VALU_DEP_1)
	v_cmpx_eq_u32_e32 0, v1
	s_cbranch_execz .LBB877_3
; %bb.2:
	s_load_b64 s[8:9], s[0:1], 0x88
	s_bcnt1_i32_b32 s7, s7
	s_delay_alu instid0(SALU_CYCLE_1)
	v_dual_mov_b32 v2, 0 :: v_dual_mov_b32 v3, s7
	s_waitcnt lgkmcnt(0)
	global_atomic_add_u32 v2, v2, v3, s[8:9] glc
.LBB877_3:
	s_or_b32 exec_lo, exec_lo, s6
	s_waitcnt vmcnt(0)
	v_readfirstlane_b32 s6, v2
	s_delay_alu instid0(VALU_DEP_1)
	v_dual_mov_b32 v2, 0 :: v_dual_add_nc_u32 v1, s6, v1
	ds_store_b32 v2, v1
.LBB877_4:
	s_or_b32 exec_lo, exec_lo, s3
	v_mov_b32_e32 v1, 0
	s_clause 0x1
	s_load_b32 s3, s[0:1], 0x8
	s_load_b32 s0, s[0:1], 0x80
	s_waitcnt lgkmcnt(0)
	s_barrier
	buffer_gl0_inv
	ds_load_b32 v5, v1
	s_waitcnt lgkmcnt(0)
	s_barrier
	buffer_gl0_inv
	global_load_b128 v[1:4], v1, s[26:27]
	s_add_i32 s3, s3, s34
	s_mul_i32 s1, s0, 0xd00
	s_add_i32 s0, s0, -1
	s_add_u32 s6, s34, s1
	s_addc_u32 s7, s35, 0
	v_mul_lo_u32 v30, 0xd00, v5
	v_readfirstlane_b32 s26, v5
	v_cmp_lt_u64_e64 s5, s[6:7], s[4:5]
	v_cmp_ne_u32_e32 vcc_lo, s0, v5
	s_delay_alu instid0(VALU_DEP_3) | instskip(SKIP_1) | instid1(VALU_DEP_4)
	s_cmp_eq_u32 s26, s0
	s_cselect_b32 s13, -1, 0
	v_add3_u32 v5, v30, s3, v0
	s_delay_alu instid0(VALU_DEP_3) | instskip(SKIP_2) | instid1(VALU_DEP_1)
	s_or_b32 s0, s5, vcc_lo
	s_mov_b32 s3, -1
	s_and_b32 vcc_lo, exec_lo, s0
	v_add_nc_u32_e32 v6, 0x100, v5
	v_add_nc_u32_e32 v7, 0x200, v5
	;; [unrolled: 1-line block ×12, first 2 shown]
	s_cbranch_vccz .LBB877_6
; %bb.5:
	v_lshlrev_b32_e32 v18, 2, v0
	s_mov_b32 s3, 0
	ds_store_2addr_stride64_b32 v18, v5, v6 offset1:4
	ds_store_2addr_stride64_b32 v18, v7, v8 offset0:8 offset1:12
	ds_store_2addr_stride64_b32 v18, v9, v10 offset0:16 offset1:20
	;; [unrolled: 1-line block ×5, first 2 shown]
	ds_store_b32 v18, v17 offset:12288
	s_waitcnt vmcnt(0) lgkmcnt(0)
	s_barrier
.LBB877_6:
	s_and_not1_b32 vcc_lo, exec_lo, s3
	s_add_i32 s1, s1, s34
	s_cbranch_vccnz .LBB877_8
; %bb.7:
	v_lshlrev_b32_e32 v18, 2, v0
	ds_store_2addr_stride64_b32 v18, v5, v6 offset1:4
	ds_store_2addr_stride64_b32 v18, v7, v8 offset0:8 offset1:12
	ds_store_2addr_stride64_b32 v18, v9, v10 offset0:16 offset1:20
	;; [unrolled: 1-line block ×5, first 2 shown]
	ds_store_b32 v18, v17 offset:12288
	s_waitcnt vmcnt(0) lgkmcnt(0)
	s_barrier
.LBB877_8:
	v_mul_u32_u24_e32 v33, 13, v0
	s_waitcnt vmcnt(0)
	buffer_gl0_inv
	v_cndmask_b32_e64 v31, 0, 1, s0
	s_sub_i32 s40, s4, s1
	s_and_not1_b32 vcc_lo, exec_lo, s0
	v_lshlrev_b32_e32 v5, 2, v33
	ds_load_2addr_b32 v[20:21], v5 offset1:1
	ds_load_2addr_b32 v[18:19], v5 offset0:2 offset1:3
	ds_load_2addr_b32 v[16:17], v5 offset0:4 offset1:5
	ds_load_2addr_b32 v[14:15], v5 offset0:6 offset1:7
	ds_load_2addr_b32 v[12:13], v5 offset0:8 offset1:9
	ds_load_2addr_b32 v[10:11], v5 offset0:10 offset1:11
	ds_load_b32 v32, v5 offset:48
	s_waitcnt lgkmcnt(0)
	s_barrier
	buffer_gl0_inv
	s_cbranch_vccnz .LBB877_36
; %bb.9:
	v_add_nc_u32_e32 v5, s17, v20
	v_add_nc_u32_e32 v6, s19, v20
	s_mov_b32 s42, 0
	s_mov_b32 s41, 0
	s_mov_b32 s1, exec_lo
	v_mul_lo_u32 v5, v5, s16
	v_mul_lo_u32 v6, v6, s18
	s_delay_alu instid0(VALU_DEP_1) | instskip(NEXT) | instid1(VALU_DEP_1)
	v_sub_nc_u32_e32 v5, v5, v6
	v_cmp_lt_u32_e32 vcc_lo, s20, v5
	v_cmpx_ge_u32_e64 s20, v5
; %bb.10:
	v_add_nc_u32_e32 v5, s22, v20
	v_add_nc_u32_e32 v6, s38, v20
	s_delay_alu instid0(VALU_DEP_2) | instskip(NEXT) | instid1(VALU_DEP_2)
	v_mul_lo_u32 v5, v5, s21
	v_mul_lo_u32 v6, v6, s23
	s_delay_alu instid0(VALU_DEP_1) | instskip(NEXT) | instid1(VALU_DEP_1)
	v_sub_nc_u32_e32 v5, v5, v6
	v_cmp_lt_u32_e64 s0, s39, v5
	s_delay_alu instid0(VALU_DEP_1)
	s_and_b32 s41, s0, exec_lo
; %bb.11:
	s_or_b32 exec_lo, exec_lo, s1
	v_add_nc_u32_e32 v5, s17, v21
	v_add_nc_u32_e32 v6, s19, v21
	s_mov_b32 s3, exec_lo
	s_delay_alu instid0(VALU_DEP_2) | instskip(NEXT) | instid1(VALU_DEP_2)
	v_mul_lo_u32 v5, v5, s16
	v_mul_lo_u32 v6, v6, s18
	s_delay_alu instid0(VALU_DEP_1) | instskip(NEXT) | instid1(VALU_DEP_1)
	v_sub_nc_u32_e32 v5, v5, v6
	v_cmp_lt_u32_e64 s0, s20, v5
	v_cmpx_ge_u32_e64 s20, v5
; %bb.12:
	v_add_nc_u32_e32 v5, s22, v21
	v_add_nc_u32_e32 v6, s38, v21
	s_delay_alu instid0(VALU_DEP_2) | instskip(NEXT) | instid1(VALU_DEP_2)
	v_mul_lo_u32 v5, v5, s21
	v_mul_lo_u32 v6, v6, s23
	s_delay_alu instid0(VALU_DEP_1) | instskip(NEXT) | instid1(VALU_DEP_1)
	v_sub_nc_u32_e32 v5, v5, v6
	v_cmp_lt_u32_e64 s1, s39, v5
	s_delay_alu instid0(VALU_DEP_1)
	s_and_b32 s42, s1, exec_lo
; %bb.13:
	s_or_b32 exec_lo, exec_lo, s3
	v_add_nc_u32_e32 v5, s17, v18
	v_add_nc_u32_e32 v6, s19, v18
	s_mov_b32 s44, 0
	s_mov_b32 s43, 0
	s_mov_b32 s4, exec_lo
	v_mul_lo_u32 v5, v5, s16
	v_mul_lo_u32 v6, v6, s18
	s_delay_alu instid0(VALU_DEP_1) | instskip(NEXT) | instid1(VALU_DEP_1)
	v_sub_nc_u32_e32 v5, v5, v6
	v_cmp_lt_u32_e64 s1, s20, v5
	v_cmpx_ge_u32_e64 s20, v5
; %bb.14:
	v_add_nc_u32_e32 v5, s22, v18
	v_add_nc_u32_e32 v6, s38, v18
	s_delay_alu instid0(VALU_DEP_2) | instskip(NEXT) | instid1(VALU_DEP_2)
	v_mul_lo_u32 v5, v5, s21
	v_mul_lo_u32 v6, v6, s23
	s_delay_alu instid0(VALU_DEP_1) | instskip(NEXT) | instid1(VALU_DEP_1)
	v_sub_nc_u32_e32 v5, v5, v6
	v_cmp_lt_u32_e64 s3, s39, v5
	s_delay_alu instid0(VALU_DEP_1)
	s_and_b32 s43, s3, exec_lo
; %bb.15:
	s_or_b32 exec_lo, exec_lo, s4
	v_add_nc_u32_e32 v5, s17, v19
	v_add_nc_u32_e32 v6, s19, v19
	s_mov_b32 s5, exec_lo
	s_delay_alu instid0(VALU_DEP_2) | instskip(NEXT) | instid1(VALU_DEP_2)
	v_mul_lo_u32 v5, v5, s16
	v_mul_lo_u32 v6, v6, s18
	s_delay_alu instid0(VALU_DEP_1) | instskip(NEXT) | instid1(VALU_DEP_1)
	v_sub_nc_u32_e32 v5, v5, v6
	v_cmp_lt_u32_e64 s3, s20, v5
	v_cmpx_ge_u32_e64 s20, v5
; %bb.16:
	v_add_nc_u32_e32 v5, s22, v19
	v_add_nc_u32_e32 v6, s38, v19
	s_delay_alu instid0(VALU_DEP_2) | instskip(NEXT) | instid1(VALU_DEP_2)
	v_mul_lo_u32 v5, v5, s21
	v_mul_lo_u32 v6, v6, s23
	s_delay_alu instid0(VALU_DEP_1) | instskip(NEXT) | instid1(VALU_DEP_1)
	v_sub_nc_u32_e32 v5, v5, v6
	v_cmp_lt_u32_e64 s4, s39, v5
	s_delay_alu instid0(VALU_DEP_1)
	s_and_b32 s44, s4, exec_lo
; %bb.17:
	s_or_b32 exec_lo, exec_lo, s5
	v_add_nc_u32_e32 v5, s17, v16
	v_add_nc_u32_e32 v6, s19, v16
	s_mov_b32 s46, 0
	s_mov_b32 s45, 0
	s_mov_b32 s6, exec_lo
	v_mul_lo_u32 v5, v5, s16
	v_mul_lo_u32 v6, v6, s18
	s_delay_alu instid0(VALU_DEP_1) | instskip(NEXT) | instid1(VALU_DEP_1)
	v_sub_nc_u32_e32 v5, v5, v6
	v_cmp_lt_u32_e64 s4, s20, v5
	v_cmpx_ge_u32_e64 s20, v5
; %bb.18:
	v_add_nc_u32_e32 v5, s22, v16
	v_add_nc_u32_e32 v6, s38, v16
	s_delay_alu instid0(VALU_DEP_2) | instskip(NEXT) | instid1(VALU_DEP_2)
	v_mul_lo_u32 v5, v5, s21
	v_mul_lo_u32 v6, v6, s23
	s_delay_alu instid0(VALU_DEP_1) | instskip(NEXT) | instid1(VALU_DEP_1)
	v_sub_nc_u32_e32 v5, v5, v6
	v_cmp_lt_u32_e64 s5, s39, v5
	s_delay_alu instid0(VALU_DEP_1)
	s_and_b32 s45, s5, exec_lo
; %bb.19:
	s_or_b32 exec_lo, exec_lo, s6
	v_add_nc_u32_e32 v5, s17, v17
	v_add_nc_u32_e32 v6, s19, v17
	s_mov_b32 s7, exec_lo
	s_delay_alu instid0(VALU_DEP_2) | instskip(NEXT) | instid1(VALU_DEP_2)
	v_mul_lo_u32 v5, v5, s16
	v_mul_lo_u32 v6, v6, s18
	s_delay_alu instid0(VALU_DEP_1) | instskip(NEXT) | instid1(VALU_DEP_1)
	v_sub_nc_u32_e32 v5, v5, v6
	v_cmp_lt_u32_e64 s5, s20, v5
	v_cmpx_ge_u32_e64 s20, v5
; %bb.20:
	v_add_nc_u32_e32 v5, s22, v17
	v_add_nc_u32_e32 v6, s38, v17
	s_delay_alu instid0(VALU_DEP_2) | instskip(NEXT) | instid1(VALU_DEP_2)
	v_mul_lo_u32 v5, v5, s21
	v_mul_lo_u32 v6, v6, s23
	s_delay_alu instid0(VALU_DEP_1) | instskip(NEXT) | instid1(VALU_DEP_1)
	v_sub_nc_u32_e32 v5, v5, v6
	v_cmp_lt_u32_e64 s6, s39, v5
	s_delay_alu instid0(VALU_DEP_1)
	s_and_b32 s46, s6, exec_lo
; %bb.21:
	s_or_b32 exec_lo, exec_lo, s7
	v_add_nc_u32_e32 v5, s17, v14
	v_add_nc_u32_e32 v6, s19, v14
	s_mov_b32 s48, 0
	s_mov_b32 s47, 0
	s_mov_b32 s8, exec_lo
	v_mul_lo_u32 v5, v5, s16
	v_mul_lo_u32 v6, v6, s18
	s_delay_alu instid0(VALU_DEP_1) | instskip(NEXT) | instid1(VALU_DEP_1)
	v_sub_nc_u32_e32 v5, v5, v6
	v_cmp_lt_u32_e64 s6, s20, v5
	v_cmpx_ge_u32_e64 s20, v5
; %bb.22:
	v_add_nc_u32_e32 v5, s22, v14
	v_add_nc_u32_e32 v6, s38, v14
	s_delay_alu instid0(VALU_DEP_2) | instskip(NEXT) | instid1(VALU_DEP_2)
	v_mul_lo_u32 v5, v5, s21
	v_mul_lo_u32 v6, v6, s23
	s_delay_alu instid0(VALU_DEP_1) | instskip(NEXT) | instid1(VALU_DEP_1)
	v_sub_nc_u32_e32 v5, v5, v6
	v_cmp_lt_u32_e64 s7, s39, v5
	s_delay_alu instid0(VALU_DEP_1)
	s_and_b32 s47, s7, exec_lo
; %bb.23:
	s_or_b32 exec_lo, exec_lo, s8
	v_add_nc_u32_e32 v5, s17, v15
	v_add_nc_u32_e32 v6, s19, v15
	s_mov_b32 s9, exec_lo
	s_delay_alu instid0(VALU_DEP_2) | instskip(NEXT) | instid1(VALU_DEP_2)
	v_mul_lo_u32 v5, v5, s16
	v_mul_lo_u32 v6, v6, s18
	s_delay_alu instid0(VALU_DEP_1) | instskip(NEXT) | instid1(VALU_DEP_1)
	v_sub_nc_u32_e32 v5, v5, v6
	v_cmp_lt_u32_e64 s7, s20, v5
	v_cmpx_ge_u32_e64 s20, v5
; %bb.24:
	v_add_nc_u32_e32 v5, s22, v15
	v_add_nc_u32_e32 v6, s38, v15
	s_delay_alu instid0(VALU_DEP_2) | instskip(NEXT) | instid1(VALU_DEP_2)
	v_mul_lo_u32 v5, v5, s21
	v_mul_lo_u32 v6, v6, s23
	s_delay_alu instid0(VALU_DEP_1) | instskip(NEXT) | instid1(VALU_DEP_1)
	v_sub_nc_u32_e32 v5, v5, v6
	v_cmp_lt_u32_e64 s8, s39, v5
	s_delay_alu instid0(VALU_DEP_1)
	s_and_b32 s48, s8, exec_lo
; %bb.25:
	s_or_b32 exec_lo, exec_lo, s9
	v_add_nc_u32_e32 v5, s17, v12
	v_add_nc_u32_e32 v6, s19, v12
	s_mov_b32 s51, 0
	s_mov_b32 s50, 0
	s_mov_b32 s10, exec_lo
	v_mul_lo_u32 v5, v5, s16
	v_mul_lo_u32 v6, v6, s18
	s_delay_alu instid0(VALU_DEP_1) | instskip(NEXT) | instid1(VALU_DEP_1)
	v_sub_nc_u32_e32 v5, v5, v6
	v_cmp_lt_u32_e64 s8, s20, v5
	v_cmpx_ge_u32_e64 s20, v5
; %bb.26:
	v_add_nc_u32_e32 v5, s22, v12
	v_add_nc_u32_e32 v6, s38, v12
	s_delay_alu instid0(VALU_DEP_2) | instskip(NEXT) | instid1(VALU_DEP_2)
	v_mul_lo_u32 v5, v5, s21
	v_mul_lo_u32 v6, v6, s23
	s_delay_alu instid0(VALU_DEP_1) | instskip(NEXT) | instid1(VALU_DEP_1)
	v_sub_nc_u32_e32 v5, v5, v6
	v_cmp_lt_u32_e64 s9, s39, v5
	s_delay_alu instid0(VALU_DEP_1)
	s_and_b32 s50, s9, exec_lo
; %bb.27:
	s_or_b32 exec_lo, exec_lo, s10
	v_add_nc_u32_e32 v5, s17, v13
	v_add_nc_u32_e32 v6, s19, v13
	s_mov_b32 s11, exec_lo
	s_delay_alu instid0(VALU_DEP_2) | instskip(NEXT) | instid1(VALU_DEP_2)
	v_mul_lo_u32 v5, v5, s16
	v_mul_lo_u32 v6, v6, s18
	s_delay_alu instid0(VALU_DEP_1) | instskip(NEXT) | instid1(VALU_DEP_1)
	v_sub_nc_u32_e32 v5, v5, v6
	v_cmp_lt_u32_e64 s9, s20, v5
	v_cmpx_ge_u32_e64 s20, v5
; %bb.28:
	v_add_nc_u32_e32 v5, s22, v13
	v_add_nc_u32_e32 v6, s38, v13
	s_delay_alu instid0(VALU_DEP_2) | instskip(NEXT) | instid1(VALU_DEP_2)
	v_mul_lo_u32 v5, v5, s21
	v_mul_lo_u32 v6, v6, s23
	s_delay_alu instid0(VALU_DEP_1) | instskip(NEXT) | instid1(VALU_DEP_1)
	v_sub_nc_u32_e32 v5, v5, v6
	v_cmp_lt_u32_e64 s10, s39, v5
	s_delay_alu instid0(VALU_DEP_1)
	s_and_b32 s51, s10, exec_lo
; %bb.29:
	s_or_b32 exec_lo, exec_lo, s11
	v_add_nc_u32_e32 v5, s17, v10
	v_add_nc_u32_e32 v6, s19, v10
	s_mov_b32 s52, 0
	s_mov_b32 s53, 0
	s_mov_b32 s12, exec_lo
	v_mul_lo_u32 v5, v5, s16
	v_mul_lo_u32 v6, v6, s18
	s_delay_alu instid0(VALU_DEP_1) | instskip(NEXT) | instid1(VALU_DEP_1)
	v_sub_nc_u32_e32 v5, v5, v6
	v_cmp_lt_u32_e64 s10, s20, v5
	v_cmpx_ge_u32_e64 s20, v5
; %bb.30:
	v_add_nc_u32_e32 v5, s22, v10
	v_add_nc_u32_e32 v6, s38, v10
	s_delay_alu instid0(VALU_DEP_2) | instskip(NEXT) | instid1(VALU_DEP_2)
	v_mul_lo_u32 v5, v5, s21
	v_mul_lo_u32 v6, v6, s23
	s_delay_alu instid0(VALU_DEP_1) | instskip(NEXT) | instid1(VALU_DEP_1)
	v_sub_nc_u32_e32 v5, v5, v6
	v_cmp_lt_u32_e64 s11, s39, v5
	s_delay_alu instid0(VALU_DEP_1)
	s_and_b32 s53, s11, exec_lo
; %bb.31:
	s_or_b32 exec_lo, exec_lo, s12
	v_add_nc_u32_e32 v5, s17, v11
	v_add_nc_u32_e32 v6, s19, v11
	s_mov_b32 s27, exec_lo
	s_delay_alu instid0(VALU_DEP_2) | instskip(NEXT) | instid1(VALU_DEP_2)
	v_mul_lo_u32 v5, v5, s16
	v_mul_lo_u32 v6, v6, s18
	s_delay_alu instid0(VALU_DEP_1) | instskip(NEXT) | instid1(VALU_DEP_1)
	v_sub_nc_u32_e32 v5, v5, v6
	v_cmp_lt_u32_e64 s11, s20, v5
	v_cmpx_ge_u32_e64 s20, v5
; %bb.32:
	v_add_nc_u32_e32 v5, s22, v11
	v_add_nc_u32_e32 v6, s38, v11
	s_delay_alu instid0(VALU_DEP_2) | instskip(NEXT) | instid1(VALU_DEP_2)
	v_mul_lo_u32 v5, v5, s21
	v_mul_lo_u32 v6, v6, s23
	s_delay_alu instid0(VALU_DEP_1) | instskip(NEXT) | instid1(VALU_DEP_1)
	v_sub_nc_u32_e32 v5, v5, v6
	v_cmp_lt_u32_e64 s12, s39, v5
	s_delay_alu instid0(VALU_DEP_1)
	s_and_b32 s52, s12, exec_lo
; %bb.33:
	s_or_b32 exec_lo, exec_lo, s27
	v_add_nc_u32_e32 v5, s17, v32
	v_add_nc_u32_e32 v6, s19, v32
	s_mov_b32 s27, -1
	s_mov_b32 s49, 0
	s_mov_b32 s33, 0
	v_mul_lo_u32 v5, v5, s16
	v_mul_lo_u32 v6, v6, s18
	s_mov_b32 s54, exec_lo
	s_delay_alu instid0(VALU_DEP_1) | instskip(NEXT) | instid1(VALU_DEP_1)
	v_sub_nc_u32_e32 v5, v5, v6
	v_cmpx_ge_u32_e64 s20, v5
; %bb.34:
	v_add_nc_u32_e32 v5, s22, v32
	v_add_nc_u32_e32 v6, s38, v32
	s_xor_b32 s27, exec_lo, -1
	s_delay_alu instid0(VALU_DEP_2) | instskip(NEXT) | instid1(VALU_DEP_2)
	v_mul_lo_u32 v5, v5, s21
	v_mul_lo_u32 v6, v6, s23
	s_delay_alu instid0(VALU_DEP_1) | instskip(NEXT) | instid1(VALU_DEP_1)
	v_sub_nc_u32_e32 v5, v5, v6
	v_cmp_lt_u32_e64 s12, s39, v5
	s_delay_alu instid0(VALU_DEP_1)
	s_and_b32 s33, s12, exec_lo
; %bb.35:
	s_or_b32 exec_lo, exec_lo, s54
	v_cndmask_b32_e64 v53, 0, 1, s53
	v_cndmask_b32_e64 v56, 0, 1, s11
	;; [unrolled: 1-line block ×22, first 2 shown]
	v_cndmask_b32_e64 v34, 0, 1, vcc_lo
	v_cndmask_b32_e64 v57, 0, 1, s52
	s_and_b32 vcc_lo, exec_lo, s49
	s_add_i32 s4, s40, 0xd00
	s_cbranch_vccnz .LBB877_37
	s_branch .LBB877_90
.LBB877_36:
                                        ; implicit-def: $sgpr27
                                        ; implicit-def: $sgpr33
                                        ; implicit-def: $vgpr57
                                        ; implicit-def: $vgpr53
                                        ; implicit-def: $vgpr52
                                        ; implicit-def: $vgpr50
                                        ; implicit-def: $vgpr48
                                        ; implicit-def: $vgpr46
                                        ; implicit-def: $vgpr44
                                        ; implicit-def: $vgpr42
                                        ; implicit-def: $vgpr39
                                        ; implicit-def: $vgpr34
                                        ; implicit-def: $vgpr37
                                        ; implicit-def: $vgpr36
                                        ; implicit-def: $vgpr41
                                        ; implicit-def: $vgpr43
                                        ; implicit-def: $vgpr45
                                        ; implicit-def: $vgpr47
                                        ; implicit-def: $vgpr49
                                        ; implicit-def: $vgpr51
                                        ; implicit-def: $vgpr54
                                        ; implicit-def: $vgpr55
                                        ; implicit-def: $vgpr56
                                        ; implicit-def: $vgpr35
                                        ; implicit-def: $vgpr40
                                        ; implicit-def: $vgpr38
	s_add_i32 s4, s40, 0xd00
	s_cbranch_execz .LBB877_90
.LBB877_37:
	v_dual_mov_b32 v35, 0 :: v_dual_mov_b32 v34, 0
	s_mov_b32 s3, 0
	s_mov_b32 s1, exec_lo
	v_cmpx_gt_u32_e64 s4, v33
	s_cbranch_execz .LBB877_41
; %bb.38:
	v_add_nc_u32_e32 v5, s17, v20
	v_add_nc_u32_e32 v6, s19, v20
	s_mov_b32 s5, exec_lo
	s_delay_alu instid0(VALU_DEP_2) | instskip(NEXT) | instid1(VALU_DEP_2)
	v_mul_lo_u32 v5, v5, s16
	v_mul_lo_u32 v6, v6, s18
	s_delay_alu instid0(VALU_DEP_1) | instskip(NEXT) | instid1(VALU_DEP_1)
	v_sub_nc_u32_e32 v5, v5, v6
	v_cmp_lt_u32_e32 vcc_lo, s20, v5
	v_cmpx_ge_u32_e64 s20, v5
; %bb.39:
	v_add_nc_u32_e32 v5, s22, v20
	v_add_nc_u32_e32 v6, s38, v20
	s_delay_alu instid0(VALU_DEP_2) | instskip(NEXT) | instid1(VALU_DEP_2)
	v_mul_lo_u32 v5, v5, s21
	v_mul_lo_u32 v6, v6, s23
	s_delay_alu instid0(VALU_DEP_1) | instskip(NEXT) | instid1(VALU_DEP_1)
	v_sub_nc_u32_e32 v5, v5, v6
	v_cmp_lt_u32_e64 s0, s39, v5
	s_delay_alu instid0(VALU_DEP_1)
	s_and_b32 s3, s0, exec_lo
; %bb.40:
	s_or_b32 exec_lo, exec_lo, s5
	v_cndmask_b32_e64 v34, 0, 1, vcc_lo
	v_cndmask_b32_e64 v35, 0, 1, s3
.LBB877_41:
	s_or_b32 exec_lo, exec_lo, s1
	v_dual_mov_b32 v40, 0 :: v_dual_add_nc_u32 v5, 1, v33
	v_mov_b32_e32 v37, 0
	s_mov_b32 s3, 0
	s_mov_b32 s1, exec_lo
	s_delay_alu instid0(VALU_DEP_2)
	v_cmpx_gt_u32_e64 s4, v5
	s_cbranch_execz .LBB877_45
; %bb.42:
	v_add_nc_u32_e32 v5, s17, v21
	v_add_nc_u32_e32 v6, s19, v21
	s_mov_b32 s5, exec_lo
	s_delay_alu instid0(VALU_DEP_2) | instskip(NEXT) | instid1(VALU_DEP_2)
	v_mul_lo_u32 v5, v5, s16
	v_mul_lo_u32 v6, v6, s18
	s_delay_alu instid0(VALU_DEP_1) | instskip(NEXT) | instid1(VALU_DEP_1)
	v_sub_nc_u32_e32 v5, v5, v6
	v_cmp_lt_u32_e32 vcc_lo, s20, v5
	v_cmpx_ge_u32_e64 s20, v5
; %bb.43:
	v_add_nc_u32_e32 v5, s22, v21
	v_add_nc_u32_e32 v6, s38, v21
	s_delay_alu instid0(VALU_DEP_2) | instskip(NEXT) | instid1(VALU_DEP_2)
	v_mul_lo_u32 v5, v5, s21
	v_mul_lo_u32 v6, v6, s23
	s_delay_alu instid0(VALU_DEP_1) | instskip(NEXT) | instid1(VALU_DEP_1)
	v_sub_nc_u32_e32 v5, v5, v6
	v_cmp_lt_u32_e64 s0, s39, v5
	s_delay_alu instid0(VALU_DEP_1)
	s_and_b32 s3, s0, exec_lo
; %bb.44:
	s_or_b32 exec_lo, exec_lo, s5
	v_cndmask_b32_e64 v37, 0, 1, vcc_lo
	v_cndmask_b32_e64 v40, 0, 1, s3
.LBB877_45:
	s_or_b32 exec_lo, exec_lo, s1
	v_dual_mov_b32 v36, 0 :: v_dual_add_nc_u32 v5, 2, v33
	v_mov_b32_e32 v38, 0
	s_mov_b32 s3, 0
	s_mov_b32 s1, exec_lo
	s_delay_alu instid0(VALU_DEP_2)
	v_cmpx_gt_u32_e64 s4, v5
	s_cbranch_execz .LBB877_49
; %bb.46:
	v_add_nc_u32_e32 v5, s17, v18
	v_add_nc_u32_e32 v6, s19, v18
	s_mov_b32 s5, exec_lo
	s_delay_alu instid0(VALU_DEP_2) | instskip(NEXT) | instid1(VALU_DEP_2)
	v_mul_lo_u32 v5, v5, s16
	v_mul_lo_u32 v6, v6, s18
	s_delay_alu instid0(VALU_DEP_1) | instskip(NEXT) | instid1(VALU_DEP_1)
	v_sub_nc_u32_e32 v5, v5, v6
	v_cmp_lt_u32_e32 vcc_lo, s20, v5
	v_cmpx_ge_u32_e64 s20, v5
; %bb.47:
	v_add_nc_u32_e32 v5, s22, v18
	v_add_nc_u32_e32 v6, s38, v18
	s_delay_alu instid0(VALU_DEP_2) | instskip(NEXT) | instid1(VALU_DEP_2)
	v_mul_lo_u32 v5, v5, s21
	v_mul_lo_u32 v6, v6, s23
	s_delay_alu instid0(VALU_DEP_1) | instskip(NEXT) | instid1(VALU_DEP_1)
	v_sub_nc_u32_e32 v5, v5, v6
	v_cmp_lt_u32_e64 s0, s39, v5
	s_delay_alu instid0(VALU_DEP_1)
	s_and_b32 s3, s0, exec_lo
; %bb.48:
	s_or_b32 exec_lo, exec_lo, s5
	v_cndmask_b32_e64 v36, 0, 1, vcc_lo
	v_cndmask_b32_e64 v38, 0, 1, s3
.LBB877_49:
	s_or_b32 exec_lo, exec_lo, s1
	v_add_nc_u32_e32 v5, 3, v33
	v_mov_b32_e32 v39, 0
	v_mov_b32_e32 v41, 0
	s_mov_b32 s3, 0
	s_mov_b32 s1, exec_lo
	v_cmpx_gt_u32_e64 s4, v5
	s_cbranch_execz .LBB877_53
; %bb.50:
	v_add_nc_u32_e32 v5, s17, v19
	v_add_nc_u32_e32 v6, s19, v19
	s_mov_b32 s5, exec_lo
	s_delay_alu instid0(VALU_DEP_2) | instskip(NEXT) | instid1(VALU_DEP_2)
	v_mul_lo_u32 v5, v5, s16
	v_mul_lo_u32 v6, v6, s18
	s_delay_alu instid0(VALU_DEP_1) | instskip(NEXT) | instid1(VALU_DEP_1)
	v_sub_nc_u32_e32 v5, v5, v6
	v_cmp_lt_u32_e32 vcc_lo, s20, v5
	v_cmpx_ge_u32_e64 s20, v5
; %bb.51:
	v_add_nc_u32_e32 v5, s22, v19
	v_add_nc_u32_e32 v6, s38, v19
	s_delay_alu instid0(VALU_DEP_2) | instskip(NEXT) | instid1(VALU_DEP_2)
	v_mul_lo_u32 v5, v5, s21
	v_mul_lo_u32 v6, v6, s23
	s_delay_alu instid0(VALU_DEP_1) | instskip(NEXT) | instid1(VALU_DEP_1)
	v_sub_nc_u32_e32 v5, v5, v6
	v_cmp_lt_u32_e64 s0, s39, v5
	s_delay_alu instid0(VALU_DEP_1)
	s_and_b32 s3, s0, exec_lo
; %bb.52:
	s_or_b32 exec_lo, exec_lo, s5
	v_cndmask_b32_e64 v41, 0, 1, vcc_lo
	v_cndmask_b32_e64 v39, 0, 1, s3
.LBB877_53:
	s_or_b32 exec_lo, exec_lo, s1
	v_dual_mov_b32 v42, 0 :: v_dual_add_nc_u32 v5, 4, v33
	v_mov_b32_e32 v43, 0
	s_mov_b32 s3, 0
	s_mov_b32 s1, exec_lo
	s_delay_alu instid0(VALU_DEP_2)
	v_cmpx_gt_u32_e64 s4, v5
	s_cbranch_execz .LBB877_57
; %bb.54:
	v_add_nc_u32_e32 v5, s17, v16
	v_add_nc_u32_e32 v6, s19, v16
	s_mov_b32 s5, exec_lo
	s_delay_alu instid0(VALU_DEP_2) | instskip(NEXT) | instid1(VALU_DEP_2)
	v_mul_lo_u32 v5, v5, s16
	v_mul_lo_u32 v6, v6, s18
	s_delay_alu instid0(VALU_DEP_1) | instskip(NEXT) | instid1(VALU_DEP_1)
	v_sub_nc_u32_e32 v5, v5, v6
	v_cmp_lt_u32_e32 vcc_lo, s20, v5
	v_cmpx_ge_u32_e64 s20, v5
; %bb.55:
	v_add_nc_u32_e32 v5, s22, v16
	v_add_nc_u32_e32 v6, s38, v16
	s_delay_alu instid0(VALU_DEP_2) | instskip(NEXT) | instid1(VALU_DEP_2)
	v_mul_lo_u32 v5, v5, s21
	v_mul_lo_u32 v6, v6, s23
	s_delay_alu instid0(VALU_DEP_1) | instskip(NEXT) | instid1(VALU_DEP_1)
	v_sub_nc_u32_e32 v5, v5, v6
	v_cmp_lt_u32_e64 s0, s39, v5
	s_delay_alu instid0(VALU_DEP_1)
	s_and_b32 s3, s0, exec_lo
; %bb.56:
	s_or_b32 exec_lo, exec_lo, s5
	v_cndmask_b32_e64 v43, 0, 1, vcc_lo
	v_cndmask_b32_e64 v42, 0, 1, s3
.LBB877_57:
	s_or_b32 exec_lo, exec_lo, s1
	v_dual_mov_b32 v44, 0 :: v_dual_add_nc_u32 v5, 5, v33
	v_mov_b32_e32 v45, 0
	s_mov_b32 s3, 0
	s_mov_b32 s1, exec_lo
	s_delay_alu instid0(VALU_DEP_2)
	;; [unrolled: 35-line block ×6, first 2 shown]
	v_cmpx_gt_u32_e64 s4, v5
	s_cbranch_execz .LBB877_77
; %bb.74:
	v_add_nc_u32_e32 v5, s17, v13
	v_add_nc_u32_e32 v6, s19, v13
	s_mov_b32 s5, exec_lo
	s_delay_alu instid0(VALU_DEP_2) | instskip(NEXT) | instid1(VALU_DEP_2)
	v_mul_lo_u32 v5, v5, s16
	v_mul_lo_u32 v6, v6, s18
	s_delay_alu instid0(VALU_DEP_1) | instskip(NEXT) | instid1(VALU_DEP_1)
	v_sub_nc_u32_e32 v5, v5, v6
	v_cmp_lt_u32_e32 vcc_lo, s20, v5
	v_cmpx_ge_u32_e64 s20, v5
; %bb.75:
	v_add_nc_u32_e32 v5, s22, v13
	v_add_nc_u32_e32 v6, s38, v13
	s_delay_alu instid0(VALU_DEP_2) | instskip(NEXT) | instid1(VALU_DEP_2)
	v_mul_lo_u32 v5, v5, s21
	v_mul_lo_u32 v6, v6, s23
	s_delay_alu instid0(VALU_DEP_1) | instskip(NEXT) | instid1(VALU_DEP_1)
	v_sub_nc_u32_e32 v5, v5, v6
	v_cmp_lt_u32_e64 s0, s39, v5
	s_delay_alu instid0(VALU_DEP_1)
	s_and_b32 s3, s0, exec_lo
; %bb.76:
	s_or_b32 exec_lo, exec_lo, s5
	v_cndmask_b32_e64 v54, 0, 1, vcc_lo
	v_cndmask_b32_e64 v52, 0, 1, s3
.LBB877_77:
	s_or_b32 exec_lo, exec_lo, s1
	v_add_nc_u32_e32 v5, 10, v33
	v_mov_b32_e32 v53, 0
	v_mov_b32_e32 v55, 0
	s_mov_b32 s3, 0
	s_mov_b32 s1, exec_lo
	v_cmpx_gt_u32_e64 s4, v5
	s_cbranch_execz .LBB877_81
; %bb.78:
	v_add_nc_u32_e32 v5, s17, v10
	v_add_nc_u32_e32 v6, s19, v10
	s_mov_b32 s5, exec_lo
	s_delay_alu instid0(VALU_DEP_2) | instskip(NEXT) | instid1(VALU_DEP_2)
	v_mul_lo_u32 v5, v5, s16
	v_mul_lo_u32 v6, v6, s18
	s_delay_alu instid0(VALU_DEP_1) | instskip(NEXT) | instid1(VALU_DEP_1)
	v_sub_nc_u32_e32 v5, v5, v6
	v_cmp_lt_u32_e32 vcc_lo, s20, v5
	v_cmpx_ge_u32_e64 s20, v5
; %bb.79:
	v_add_nc_u32_e32 v5, s22, v10
	v_add_nc_u32_e32 v6, s38, v10
	s_delay_alu instid0(VALU_DEP_2) | instskip(NEXT) | instid1(VALU_DEP_2)
	v_mul_lo_u32 v5, v5, s21
	v_mul_lo_u32 v6, v6, s23
	s_delay_alu instid0(VALU_DEP_1) | instskip(NEXT) | instid1(VALU_DEP_1)
	v_sub_nc_u32_e32 v5, v5, v6
	v_cmp_lt_u32_e64 s0, s39, v5
	s_delay_alu instid0(VALU_DEP_1)
	s_and_b32 s3, s0, exec_lo
; %bb.80:
	s_or_b32 exec_lo, exec_lo, s5
	v_cndmask_b32_e64 v55, 0, 1, vcc_lo
	v_cndmask_b32_e64 v53, 0, 1, s3
.LBB877_81:
	s_or_b32 exec_lo, exec_lo, s1
	v_dual_mov_b32 v56, 0 :: v_dual_add_nc_u32 v5, 11, v33
	v_mov_b32_e32 v57, 0
	s_mov_b32 s3, 0
	s_mov_b32 s1, exec_lo
	s_delay_alu instid0(VALU_DEP_2)
	v_cmpx_gt_u32_e64 s4, v5
	s_cbranch_execz .LBB877_85
; %bb.82:
	v_add_nc_u32_e32 v5, s17, v11
	v_add_nc_u32_e32 v6, s19, v11
	s_mov_b32 s5, exec_lo
	s_delay_alu instid0(VALU_DEP_2) | instskip(NEXT) | instid1(VALU_DEP_2)
	v_mul_lo_u32 v5, v5, s16
	v_mul_lo_u32 v6, v6, s18
	s_delay_alu instid0(VALU_DEP_1) | instskip(NEXT) | instid1(VALU_DEP_1)
	v_sub_nc_u32_e32 v5, v5, v6
	v_cmp_lt_u32_e32 vcc_lo, s20, v5
	v_cmpx_ge_u32_e64 s20, v5
; %bb.83:
	v_add_nc_u32_e32 v5, s22, v11
	v_add_nc_u32_e32 v6, s38, v11
	s_delay_alu instid0(VALU_DEP_2) | instskip(NEXT) | instid1(VALU_DEP_2)
	v_mul_lo_u32 v5, v5, s21
	v_mul_lo_u32 v6, v6, s23
	s_delay_alu instid0(VALU_DEP_1) | instskip(NEXT) | instid1(VALU_DEP_1)
	v_sub_nc_u32_e32 v5, v5, v6
	v_cmp_lt_u32_e64 s0, s39, v5
	s_delay_alu instid0(VALU_DEP_1)
	s_and_b32 s3, s0, exec_lo
; %bb.84:
	s_or_b32 exec_lo, exec_lo, s5
	v_cndmask_b32_e64 v56, 0, 1, vcc_lo
	v_cndmask_b32_e64 v57, 0, 1, s3
.LBB877_85:
	s_or_b32 exec_lo, exec_lo, s1
	v_add_nc_u32_e32 v5, 12, v33
	s_mov_b32 s27, 0
	s_mov_b32 s33, 0
	s_mov_b32 s0, exec_lo
	s_delay_alu instid0(VALU_DEP_1)
	v_cmpx_gt_u32_e64 s4, v5
	s_cbranch_execz .LBB877_89
; %bb.86:
	v_add_nc_u32_e32 v5, s17, v32
	v_add_nc_u32_e32 v6, s19, v32
	s_mov_b32 s3, -1
	s_mov_b32 s5, 0
	s_mov_b32 s1, exec_lo
	v_mul_lo_u32 v5, v5, s16
	v_mul_lo_u32 v6, v6, s18
	s_delay_alu instid0(VALU_DEP_1) | instskip(NEXT) | instid1(VALU_DEP_1)
	v_sub_nc_u32_e32 v5, v5, v6
	v_cmpx_ge_u32_e64 s20, v5
; %bb.87:
	v_add_nc_u32_e32 v5, s22, v32
	v_add_nc_u32_e32 v6, s38, v32
	s_xor_b32 s3, exec_lo, -1
	s_delay_alu instid0(VALU_DEP_2) | instskip(NEXT) | instid1(VALU_DEP_2)
	v_mul_lo_u32 v5, v5, s21
	v_mul_lo_u32 v6, v6, s23
	s_delay_alu instid0(VALU_DEP_1) | instskip(NEXT) | instid1(VALU_DEP_1)
	v_sub_nc_u32_e32 v5, v5, v6
	v_cmp_lt_u32_e32 vcc_lo, s39, v5
	s_and_b32 s5, vcc_lo, exec_lo
; %bb.88:
	s_or_b32 exec_lo, exec_lo, s1
	s_delay_alu instid0(SALU_CYCLE_1)
	s_and_b32 s33, s5, exec_lo
	s_and_b32 s27, s3, exec_lo
.LBB877_89:
	s_or_b32 exec_lo, exec_lo, s0
.LBB877_90:
	v_and_b32_e32 v80, 0xff, v34
	v_and_b32_e32 v81, 0xff, v35
	;; [unrolled: 1-line block ×10, first 2 shown]
	v_add3_u32 v5, v76, v78, v80
	v_add3_u32 v6, v77, v79, v81
	v_and_b32_e32 v70, 0xff, v45
	v_and_b32_e32 v71, 0xff, v44
	v_and_b32_e32 v64, 0xff, v47
	v_and_b32_e32 v65, 0xff, v46
	v_add3_u32 v5, v5, v74, v72
	v_add3_u32 v6, v6, v75, v73
	v_and_b32_e32 v68, 0xff, v49
	v_and_b32_e32 v69, 0xff, v48
	v_and_b32_e32 v66, 0xff, v51
	v_and_b32_e32 v67, 0xff, v50
	;; [unrolled: 6-line block ×3, first 2 shown]
	v_add3_u32 v5, v5, v68, v66
	v_add3_u32 v6, v6, v69, v67
	v_mbcnt_lo_u32_b32 v82, -1, 0
	v_and_b32_e32 v58, 0xff, v56
	v_and_b32_e32 v59, 0xff, v57
	v_cndmask_b32_e64 v7, 0, 1, s33
	v_add3_u32 v5, v5, v61, v60
	v_cndmask_b32_e64 v8, 0, 1, s27
	v_add3_u32 v6, v6, v62, v63
	v_and_b32_e32 v86, 15, v82
	v_and_b32_e32 v85, 16, v82
	v_lshrrev_b32_e32 v83, 5, v0
	v_add3_u32 v87, v5, v58, v8
	v_add3_u32 v88, v6, v59, v7
	v_cmp_eq_u32_e64 s1, 0, v86
	v_cmp_lt_u32_e64 s0, 1, v86
	v_cmp_lt_u32_e64 s3, 3, v86
	v_cmp_lt_u32_e32 vcc_lo, 7, v86
	v_or_b32_e32 v84, 31, v0
	s_cmp_lg_u32 s26, 0
	s_mov_b32 s5, -1
	s_cbranch_scc0 .LBB877_118
; %bb.91:
	v_mov_b32_dpp v5, v88 row_shr:1 row_mask:0xf bank_mask:0xf
	v_mov_b32_dpp v6, v87 row_shr:1 row_mask:0xf bank_mask:0xf
	s_delay_alu instid0(VALU_DEP_2) | instskip(NEXT) | instid1(VALU_DEP_2)
	v_add_nc_u32_e32 v5, v5, v88
	v_add_nc_u32_e32 v6, v6, v87
	s_delay_alu instid0(VALU_DEP_2) | instskip(NEXT) | instid1(VALU_DEP_2)
	v_cndmask_b32_e64 v5, v5, v88, s1
	v_cndmask_b32_e64 v6, v6, v87, s1
	s_delay_alu instid0(VALU_DEP_2) | instskip(NEXT) | instid1(VALU_DEP_2)
	v_mov_b32_dpp v7, v5 row_shr:2 row_mask:0xf bank_mask:0xf
	v_mov_b32_dpp v8, v6 row_shr:2 row_mask:0xf bank_mask:0xf
	s_delay_alu instid0(VALU_DEP_2) | instskip(NEXT) | instid1(VALU_DEP_1)
	v_add_nc_u32_e32 v7, v5, v7
	v_cndmask_b32_e64 v5, v5, v7, s0
	s_delay_alu instid0(VALU_DEP_1) | instskip(NEXT) | instid1(VALU_DEP_1)
	v_mov_b32_dpp v7, v5 row_shr:4 row_mask:0xf bank_mask:0xf
	v_add_nc_u32_e32 v7, v5, v7
	s_delay_alu instid0(VALU_DEP_1) | instskip(NEXT) | instid1(VALU_DEP_1)
	v_cndmask_b32_e64 v5, v5, v7, s3
	v_mov_b32_dpp v7, v5 row_shr:8 row_mask:0xf bank_mask:0xf
	s_delay_alu instid0(VALU_DEP_1) | instskip(NEXT) | instid1(VALU_DEP_1)
	v_add_nc_u32_e32 v7, v5, v7
	v_dual_cndmask_b32 v5, v5, v7 :: v_dual_add_nc_u32 v8, v6, v8
	s_delay_alu instid0(VALU_DEP_1) | instskip(NEXT) | instid1(VALU_DEP_1)
	v_cndmask_b32_e64 v6, v6, v8, s0
	v_mov_b32_dpp v8, v6 row_shr:4 row_mask:0xf bank_mask:0xf
	s_delay_alu instid0(VALU_DEP_1) | instskip(NEXT) | instid1(VALU_DEP_1)
	v_add_nc_u32_e32 v8, v6, v8
	v_cndmask_b32_e64 v6, v6, v8, s3
	s_mov_b32 s3, exec_lo
	s_delay_alu instid0(VALU_DEP_1) | instskip(NEXT) | instid1(VALU_DEP_1)
	v_mov_b32_dpp v8, v6 row_shr:8 row_mask:0xf bank_mask:0xf
	v_add_nc_u32_e32 v8, v6, v8
	s_delay_alu instid0(VALU_DEP_1)
	v_cndmask_b32_e32 v7, v6, v8, vcc_lo
	ds_swizzle_b32 v6, v5 offset:swizzle(BROADCAST,32,15)
	v_cmp_eq_u32_e32 vcc_lo, 0, v85
	s_waitcnt lgkmcnt(0)
	v_add_nc_u32_e32 v6, v5, v6
	ds_swizzle_b32 v8, v7 offset:swizzle(BROADCAST,32,15)
	v_cndmask_b32_e32 v6, v6, v5, vcc_lo
	s_waitcnt lgkmcnt(0)
	v_add_nc_u32_e32 v8, v7, v8
	s_delay_alu instid0(VALU_DEP_1)
	v_cndmask_b32_e32 v5, v8, v7, vcc_lo
	v_cmpx_eq_u32_e64 v84, v0
	s_cbranch_execz .LBB877_93
; %bb.92:
	v_lshlrev_b32_e32 v7, 3, v83
	ds_store_b64 v7, v[5:6]
.LBB877_93:
	s_or_b32 exec_lo, exec_lo, s3
	s_delay_alu instid0(SALU_CYCLE_1)
	s_mov_b32 s3, exec_lo
	s_waitcnt lgkmcnt(0)
	s_barrier
	buffer_gl0_inv
	v_cmpx_gt_u32_e32 8, v0
	s_cbranch_execz .LBB877_95
; %bb.94:
	v_lshlrev_b32_e32 v9, 3, v0
	ds_load_b64 v[7:8], v9
	s_waitcnt lgkmcnt(0)
	v_mov_b32_dpp v22, v7 row_shr:1 row_mask:0xf bank_mask:0xf
	v_mov_b32_dpp v23, v8 row_shr:1 row_mask:0xf bank_mask:0xf
	s_delay_alu instid0(VALU_DEP_2) | instskip(SKIP_1) | instid1(VALU_DEP_3)
	v_add_nc_u32_e32 v22, v22, v7
	v_and_b32_e32 v24, 7, v82
	v_add_nc_u32_e32 v23, v23, v8
	s_delay_alu instid0(VALU_DEP_2) | instskip(NEXT) | instid1(VALU_DEP_2)
	v_cmp_eq_u32_e32 vcc_lo, 0, v24
	v_dual_cndmask_b32 v8, v23, v8 :: v_dual_cndmask_b32 v7, v22, v7
	v_cmp_lt_u32_e32 vcc_lo, 1, v24
	s_delay_alu instid0(VALU_DEP_2) | instskip(NEXT) | instid1(VALU_DEP_3)
	v_mov_b32_dpp v23, v8 row_shr:2 row_mask:0xf bank_mask:0xf
	v_mov_b32_dpp v22, v7 row_shr:2 row_mask:0xf bank_mask:0xf
	s_delay_alu instid0(VALU_DEP_2) | instskip(NEXT) | instid1(VALU_DEP_2)
	v_add_nc_u32_e32 v23, v8, v23
	v_add_nc_u32_e32 v22, v7, v22
	s_delay_alu instid0(VALU_DEP_1) | instskip(SKIP_1) | instid1(VALU_DEP_2)
	v_dual_cndmask_b32 v8, v8, v23 :: v_dual_cndmask_b32 v7, v7, v22
	v_cmp_lt_u32_e32 vcc_lo, 3, v24
	v_mov_b32_dpp v23, v8 row_shr:4 row_mask:0xf bank_mask:0xf
	s_delay_alu instid0(VALU_DEP_3) | instskip(NEXT) | instid1(VALU_DEP_1)
	v_mov_b32_dpp v22, v7 row_shr:4 row_mask:0xf bank_mask:0xf
	v_dual_cndmask_b32 v23, 0, v23 :: v_dual_cndmask_b32 v22, 0, v22
	s_delay_alu instid0(VALU_DEP_1) | instskip(NEXT) | instid1(VALU_DEP_2)
	v_add_nc_u32_e32 v8, v23, v8
	v_add_nc_u32_e32 v7, v22, v7
	ds_store_b64 v9, v[7:8]
.LBB877_95:
	s_or_b32 exec_lo, exec_lo, s3
	v_cmp_gt_u32_e32 vcc_lo, 32, v0
	v_cmp_lt_u32_e64 s3, 31, v0
	s_waitcnt lgkmcnt(0)
	s_barrier
	buffer_gl0_inv
                                        ; implicit-def: $vgpr23
	s_and_saveexec_b32 s5, s3
	s_delay_alu instid0(SALU_CYCLE_1)
	s_xor_b32 s3, exec_lo, s5
	s_cbranch_execz .LBB877_97
; %bb.96:
	v_lshl_add_u32 v7, v83, 3, -8
	ds_load_b64 v[22:23], v7
	s_waitcnt lgkmcnt(0)
	v_add_nc_u32_e32 v6, v23, v6
	v_add_nc_u32_e32 v5, v22, v5
.LBB877_97:
	s_and_not1_saveexec_b32 s3, s3
; %bb.98:
                                        ; implicit-def: $vgpr22
; %bb.99:
	s_delay_alu instid0(SALU_CYCLE_1) | instskip(SKIP_1) | instid1(VALU_DEP_1)
	s_or_b32 exec_lo, exec_lo, s3
	v_add_nc_u32_e32 v7, -1, v82
	v_cmp_gt_i32_e64 s3, 0, v7
	s_delay_alu instid0(VALU_DEP_1) | instskip(SKIP_1) | instid1(VALU_DEP_2)
	v_cndmask_b32_e64 v7, v7, v82, s3
	v_cmp_eq_u32_e64 s3, 0, v82
	v_lshlrev_b32_e32 v7, 2, v7
	ds_bpermute_b32 v89, v7, v5
	ds_bpermute_b32 v90, v7, v6
	s_and_saveexec_b32 s5, vcc_lo
	s_cbranch_execz .LBB877_117
; %bb.100:
	v_mov_b32_e32 v8, 0
	ds_load_b64 v[5:6], v8 offset:56
	s_waitcnt lgkmcnt(0)
	v_readfirstlane_b32 s6, v6
	s_and_saveexec_b32 s7, s3
	s_cbranch_execz .LBB877_102
; %bb.101:
	s_add_i32 s8, s26, 32
	s_mov_b32 s9, 0
	v_mov_b32_e32 v7, 1
	s_lshl_b64 s[10:11], s[8:9], 4
	s_mov_b32 s16, s9
	s_add_u32 s10, s36, s10
	s_addc_u32 s11, s37, s11
	s_and_b32 s17, s6, 0xff000000
	s_and_b32 s19, s6, 0xff0000
	s_mov_b32 s18, s9
	v_dual_mov_b32 v25, s11 :: v_dual_mov_b32 v24, s10
	s_or_b64 s[16:17], s[18:19], s[16:17]
	s_and_b32 s19, s6, 0xff00
	s_delay_alu instid0(SALU_CYCLE_1) | instskip(SKIP_1) | instid1(SALU_CYCLE_1)
	s_or_b64 s[16:17], s[16:17], s[18:19]
	s_and_b32 s19, s6, 0xff
	s_or_b64 s[8:9], s[16:17], s[18:19]
	s_delay_alu instid0(SALU_CYCLE_1)
	v_mov_b32_e32 v6, s9
	;;#ASMSTART
	global_store_dwordx4 v[24:25], v[5:8] off	
s_waitcnt vmcnt(0)
	;;#ASMEND
.LBB877_102:
	s_or_b32 exec_lo, exec_lo, s7
	v_xad_u32 v24, v82, -1, s26
	s_mov_b32 s8, 0
	s_mov_b32 s7, exec_lo
	s_delay_alu instid0(VALU_DEP_1) | instskip(NEXT) | instid1(VALU_DEP_1)
	v_add_nc_u32_e32 v7, 32, v24
	v_lshlrev_b64 v[6:7], 4, v[7:8]
	s_delay_alu instid0(VALU_DEP_1) | instskip(NEXT) | instid1(VALU_DEP_2)
	v_add_co_u32 v25, vcc_lo, s36, v6
	v_add_co_ci_u32_e32 v26, vcc_lo, s37, v7, vcc_lo
	;;#ASMSTART
	global_load_dwordx4 v[6:9], v[25:26] off glc	
s_waitcnt vmcnt(0)
	;;#ASMEND
	v_and_b32_e32 v9, 0xff, v7
	v_and_b32_e32 v27, 0xff00, v7
	v_or3_b32 v6, v6, 0, 0
	v_and_b32_e32 v28, 0xff000000, v7
	v_and_b32_e32 v7, 0xff0000, v7
	s_delay_alu instid0(VALU_DEP_4) | instskip(SKIP_2) | instid1(VALU_DEP_3)
	v_or3_b32 v9, 0, v9, v27
	v_and_b32_e32 v27, 0xff, v8
	v_or3_b32 v6, v6, 0, 0
	v_or3_b32 v7, v9, v7, v28
	s_delay_alu instid0(VALU_DEP_3)
	v_cmpx_eq_u16_e32 0, v27
	s_cbranch_execz .LBB877_105
.LBB877_103:                            ; =>This Inner Loop Header: Depth=1
	;;#ASMSTART
	global_load_dwordx4 v[6:9], v[25:26] off glc	
s_waitcnt vmcnt(0)
	;;#ASMEND
	v_and_b32_e32 v9, 0xff, v8
	s_delay_alu instid0(VALU_DEP_1) | instskip(SKIP_1) | instid1(SALU_CYCLE_1)
	v_cmp_ne_u16_e32 vcc_lo, 0, v9
	s_or_b32 s8, vcc_lo, s8
	s_and_not1_b32 exec_lo, exec_lo, s8
	s_cbranch_execnz .LBB877_103
; %bb.104:
	s_or_b32 exec_lo, exec_lo, s8
.LBB877_105:
	s_delay_alu instid0(SALU_CYCLE_1) | instskip(SKIP_3) | instid1(VALU_DEP_1)
	s_or_b32 exec_lo, exec_lo, s7
	v_cmp_ne_u32_e32 vcc_lo, 31, v82
	v_lshlrev_b32_e64 v92, v82, -1
	v_add_co_ci_u32_e32 v9, vcc_lo, 0, v82, vcc_lo
	v_lshlrev_b32_e32 v91, 2, v9
	ds_bpermute_b32 v25, v91, v7
	ds_bpermute_b32 v9, v91, v6
	s_waitcnt lgkmcnt(1)
	v_add_nc_u32_e32 v25, v25, v7
	v_and_b32_e32 v26, 0xff, v8
	s_waitcnt lgkmcnt(0)
	v_add_nc_u32_e32 v9, v9, v6
	s_delay_alu instid0(VALU_DEP_2) | instskip(SKIP_2) | instid1(VALU_DEP_2)
	v_cmp_eq_u16_e32 vcc_lo, 2, v26
	v_and_or_b32 v26, vcc_lo, v92, 0x80000000
	v_cmp_gt_u32_e32 vcc_lo, 30, v82
	v_ctz_i32_b32_e32 v26, v26
	v_cndmask_b32_e64 v27, 0, 1, vcc_lo
	s_delay_alu instid0(VALU_DEP_2) | instskip(NEXT) | instid1(VALU_DEP_2)
	v_cmp_lt_u32_e32 vcc_lo, v82, v26
	v_dual_cndmask_b32 v6, v6, v9 :: v_dual_lshlrev_b32 v27, 1, v27
	s_delay_alu instid0(VALU_DEP_1)
	v_add_lshl_u32 v93, v27, v82, 2
	v_cndmask_b32_e32 v7, v7, v25, vcc_lo
	v_cmp_gt_u32_e32 vcc_lo, 28, v82
	ds_bpermute_b32 v9, v93, v6
	ds_bpermute_b32 v25, v93, v7
	v_cndmask_b32_e64 v27, 0, 1, vcc_lo
	s_waitcnt lgkmcnt(1)
	v_add_nc_u32_e32 v9, v6, v9
	s_waitcnt lgkmcnt(0)
	v_add_nc_u32_e32 v25, v7, v25
	v_add_nc_u32_e32 v94, 2, v82
	s_delay_alu instid0(VALU_DEP_1) | instskip(NEXT) | instid1(VALU_DEP_3)
	v_cmp_gt_u32_e32 vcc_lo, v94, v26
	v_cndmask_b32_e32 v7, v25, v7, vcc_lo
	v_dual_cndmask_b32 v6, v9, v6 :: v_dual_lshlrev_b32 v27, 2, v27
	v_cmp_gt_u32_e32 vcc_lo, 24, v82
	s_delay_alu instid0(VALU_DEP_2) | instskip(SKIP_4) | instid1(VALU_DEP_1)
	v_add_lshl_u32 v95, v27, v82, 2
	v_cndmask_b32_e64 v27, 0, 1, vcc_lo
	ds_bpermute_b32 v25, v95, v7
	ds_bpermute_b32 v9, v95, v6
	v_lshlrev_b32_e32 v27, 3, v27
	v_add_lshl_u32 v97, v27, v82, 2
	s_waitcnt lgkmcnt(1)
	v_add_nc_u32_e32 v25, v7, v25
	v_add_nc_u32_e32 v96, 4, v82
	s_waitcnt lgkmcnt(0)
	v_add_nc_u32_e32 v9, v6, v9
	s_delay_alu instid0(VALU_DEP_2) | instskip(SKIP_1) | instid1(VALU_DEP_3)
	v_cmp_gt_u32_e32 vcc_lo, v96, v26
	v_cndmask_b32_e32 v7, v25, v7, vcc_lo
	v_cndmask_b32_e32 v6, v9, v6, vcc_lo
	v_cmp_gt_u32_e32 vcc_lo, 16, v82
	ds_bpermute_b32 v25, v97, v7
	ds_bpermute_b32 v9, v97, v6
	v_cndmask_b32_e64 v27, 0, 1, vcc_lo
	s_delay_alu instid0(VALU_DEP_1) | instskip(NEXT) | instid1(VALU_DEP_1)
	v_lshlrev_b32_e32 v27, 4, v27
	v_add_lshl_u32 v99, v27, v82, 2
	s_waitcnt lgkmcnt(1)
	v_add_nc_u32_e32 v25, v7, v25
	v_add_nc_u32_e32 v98, 8, v82
	s_waitcnt lgkmcnt(0)
	v_add_nc_u32_e32 v9, v6, v9
	s_delay_alu instid0(VALU_DEP_2) | instskip(SKIP_1) | instid1(VALU_DEP_3)
	v_cmp_gt_u32_e32 vcc_lo, v98, v26
	v_cndmask_b32_e32 v7, v25, v7, vcc_lo
	v_cndmask_b32_e32 v6, v9, v6, vcc_lo
	ds_bpermute_b32 v25, v99, v7
	ds_bpermute_b32 v9, v99, v6
	v_add_nc_u32_e32 v100, 16, v82
	s_delay_alu instid0(VALU_DEP_1) | instskip(SKIP_2) | instid1(VALU_DEP_1)
	v_cmp_le_u32_e32 vcc_lo, v100, v26
	s_waitcnt lgkmcnt(0)
	v_cndmask_b32_e32 v9, 0, v9, vcc_lo
	v_dual_cndmask_b32 v25, 0, v25 :: v_dual_add_nc_u32 v6, v9, v6
	s_delay_alu instid0(VALU_DEP_1)
	v_add_nc_u32_e32 v7, v25, v7
	v_mov_b32_e32 v25, 0
	s_branch .LBB877_107
.LBB877_106:                            ;   in Loop: Header=BB877_107 Depth=1
	s_or_b32 exec_lo, exec_lo, s7
	ds_bpermute_b32 v9, v91, v6
	ds_bpermute_b32 v28, v91, v7
	v_subrev_nc_u32_e32 v24, 32, v24
	s_waitcnt lgkmcnt(1)
	v_add_nc_u32_e32 v9, v9, v6
	v_and_b32_e32 v29, 0xff, v8
	s_waitcnt lgkmcnt(0)
	v_add_nc_u32_e32 v28, v28, v7
	s_delay_alu instid0(VALU_DEP_2) | instskip(SKIP_1) | instid1(VALU_DEP_1)
	v_cmp_eq_u16_e32 vcc_lo, 2, v29
	v_and_or_b32 v29, vcc_lo, v92, 0x80000000
	v_ctz_i32_b32_e32 v29, v29
	s_delay_alu instid0(VALU_DEP_1)
	v_cmp_lt_u32_e32 vcc_lo, v82, v29
	v_cndmask_b32_e32 v6, v6, v9, vcc_lo
	ds_bpermute_b32 v9, v93, v6
	s_waitcnt lgkmcnt(0)
	v_add_nc_u32_e32 v9, v6, v9
	v_cndmask_b32_e32 v7, v7, v28, vcc_lo
	v_cmp_gt_u32_e32 vcc_lo, v94, v29
	s_delay_alu instid0(VALU_DEP_3)
	v_cndmask_b32_e32 v6, v9, v6, vcc_lo
	ds_bpermute_b32 v28, v93, v7
	ds_bpermute_b32 v9, v95, v6
	s_waitcnt lgkmcnt(1)
	v_add_nc_u32_e32 v28, v7, v28
	s_waitcnt lgkmcnt(0)
	v_add_nc_u32_e32 v9, v6, v9
	s_delay_alu instid0(VALU_DEP_2) | instskip(SKIP_1) | instid1(VALU_DEP_3)
	v_cndmask_b32_e32 v7, v28, v7, vcc_lo
	v_cmp_gt_u32_e32 vcc_lo, v96, v29
	v_cndmask_b32_e32 v6, v9, v6, vcc_lo
	ds_bpermute_b32 v28, v95, v7
	ds_bpermute_b32 v9, v97, v6
	s_waitcnt lgkmcnt(1)
	v_add_nc_u32_e32 v28, v7, v28
	s_waitcnt lgkmcnt(0)
	v_add_nc_u32_e32 v9, v6, v9
	s_delay_alu instid0(VALU_DEP_2) | instskip(SKIP_1) | instid1(VALU_DEP_3)
	v_cndmask_b32_e32 v7, v28, v7, vcc_lo
	v_cmp_gt_u32_e32 vcc_lo, v98, v29
	v_cndmask_b32_e32 v6, v9, v6, vcc_lo
	ds_bpermute_b32 v28, v97, v7
	ds_bpermute_b32 v9, v99, v6
	s_waitcnt lgkmcnt(1)
	v_add_nc_u32_e32 v28, v7, v28
	s_delay_alu instid0(VALU_DEP_1) | instskip(SKIP_4) | instid1(VALU_DEP_1)
	v_cndmask_b32_e32 v7, v28, v7, vcc_lo
	v_cmp_le_u32_e32 vcc_lo, v100, v29
	ds_bpermute_b32 v28, v99, v7
	s_waitcnt lgkmcnt(1)
	v_cndmask_b32_e32 v9, 0, v9, vcc_lo
	v_add3_u32 v6, v6, v26, v9
	s_waitcnt lgkmcnt(0)
	v_cndmask_b32_e32 v28, 0, v28, vcc_lo
	s_delay_alu instid0(VALU_DEP_1)
	v_add3_u32 v7, v7, v27, v28
.LBB877_107:                            ; =>This Loop Header: Depth=1
                                        ;     Child Loop BB877_110 Depth 2
	s_delay_alu instid0(VALU_DEP_1) | instskip(SKIP_1) | instid1(VALU_DEP_2)
	v_dual_mov_b32 v27, v7 :: v_dual_and_b32 v8, 0xff, v8
	v_mov_b32_e32 v26, v6
	v_cmp_ne_u16_e32 vcc_lo, 2, v8
	v_cndmask_b32_e64 v8, 0, 1, vcc_lo
	;;#ASMSTART
	;;#ASMEND
	s_delay_alu instid0(VALU_DEP_1)
	v_cmp_ne_u32_e32 vcc_lo, 0, v8
	s_cmp_lg_u32 vcc_lo, exec_lo
	s_cbranch_scc1 .LBB877_112
; %bb.108:                              ;   in Loop: Header=BB877_107 Depth=1
	v_lshlrev_b64 v[6:7], 4, v[24:25]
	s_mov_b32 s7, exec_lo
	s_delay_alu instid0(VALU_DEP_1) | instskip(NEXT) | instid1(VALU_DEP_2)
	v_add_co_u32 v28, vcc_lo, s36, v6
	v_add_co_ci_u32_e32 v29, vcc_lo, s37, v7, vcc_lo
	;;#ASMSTART
	global_load_dwordx4 v[6:9], v[28:29] off glc	
s_waitcnt vmcnt(0)
	;;#ASMEND
	v_and_b32_e32 v9, 0xff, v7
	v_and_b32_e32 v101, 0xff00, v7
	v_or3_b32 v6, v6, 0, 0
	v_and_b32_e32 v102, 0xff000000, v7
	v_and_b32_e32 v7, 0xff0000, v7
	s_delay_alu instid0(VALU_DEP_4) | instskip(SKIP_2) | instid1(VALU_DEP_3)
	v_or3_b32 v9, 0, v9, v101
	v_and_b32_e32 v101, 0xff, v8
	v_or3_b32 v6, v6, 0, 0
	v_or3_b32 v7, v9, v7, v102
	s_delay_alu instid0(VALU_DEP_3)
	v_cmpx_eq_u16_e32 0, v101
	s_cbranch_execz .LBB877_106
; %bb.109:                              ;   in Loop: Header=BB877_107 Depth=1
	s_mov_b32 s8, 0
.LBB877_110:                            ;   Parent Loop BB877_107 Depth=1
                                        ; =>  This Inner Loop Header: Depth=2
	;;#ASMSTART
	global_load_dwordx4 v[6:9], v[28:29] off glc	
s_waitcnt vmcnt(0)
	;;#ASMEND
	v_and_b32_e32 v9, 0xff, v8
	s_delay_alu instid0(VALU_DEP_1) | instskip(SKIP_1) | instid1(SALU_CYCLE_1)
	v_cmp_ne_u16_e32 vcc_lo, 0, v9
	s_or_b32 s8, vcc_lo, s8
	s_and_not1_b32 exec_lo, exec_lo, s8
	s_cbranch_execnz .LBB877_110
; %bb.111:                              ;   in Loop: Header=BB877_107 Depth=1
	s_or_b32 exec_lo, exec_lo, s8
	s_branch .LBB877_106
.LBB877_112:                            ;   in Loop: Header=BB877_107 Depth=1
                                        ; implicit-def: $vgpr8
                                        ; implicit-def: $vgpr6_vgpr7
	s_cbranch_execz .LBB877_107
; %bb.113:
	s_and_saveexec_b32 s7, s3
	s_cbranch_execnz .LBB877_356
; %bb.114:
	s_or_b32 exec_lo, exec_lo, s7
	s_and_saveexec_b32 s7, s3
	s_cbranch_execnz .LBB877_357
.LBB877_115:
	s_or_b32 exec_lo, exec_lo, s7
	s_delay_alu instid0(SALU_CYCLE_1)
	s_and_b32 exec_lo, exec_lo, s2
	s_cbranch_execz .LBB877_117
.LBB877_116:
	v_mov_b32_e32 v5, 0
	ds_store_b64 v5, v[26:27] offset:56
.LBB877_117:
	s_or_b32 exec_lo, exec_lo, s5
	s_waitcnt lgkmcnt(1)
	v_cndmask_b32_e64 v22, v89, v22, s3
	v_mov_b32_e32 v5, 0
	s_waitcnt lgkmcnt(0)
	s_barrier
	buffer_gl0_inv
	v_add_nc_u32_e64 v7, 0x3400, 0
	ds_load_b64 v[24:25], v5 offset:56
	s_waitcnt lgkmcnt(0)
	s_barrier
	buffer_gl0_inv
	ds_load_2addr_b32 v[5:6], v7 offset1:2
	ds_load_2addr_b32 v[7:8], v7 offset0:4 offset1:6
	v_cndmask_b32_e64 v9, v90, v23, s3
	v_add_nc_u32_e32 v22, v24, v22
	s_delay_alu instid0(VALU_DEP_2) | instskip(NEXT) | instid1(VALU_DEP_2)
	v_add_nc_u32_e32 v9, v25, v9
	v_cndmask_b32_e64 v22, v22, v24, s2
	s_delay_alu instid0(VALU_DEP_2)
	v_cndmask_b32_e64 v9, v9, v25, s2
	s_branch .LBB877_128
.LBB877_118:
                                        ; implicit-def: $vgpr9
                                        ; implicit-def: $vgpr7
                                        ; implicit-def: $vgpr5
                                        ; implicit-def: $vgpr22_vgpr23
	s_and_b32 vcc_lo, exec_lo, s5
	s_cbranch_vccz .LBB877_128
; %bb.119:
	s_waitcnt lgkmcnt(1)
	v_mov_b32_dpp v6, v88 row_shr:1 row_mask:0xf bank_mask:0xf
	v_cmp_lt_u32_e32 vcc_lo, 3, v86
	v_mov_b32_dpp v5, v87 row_shr:1 row_mask:0xf bank_mask:0xf
	s_delay_alu instid0(VALU_DEP_3) | instskip(NEXT) | instid1(VALU_DEP_1)
	v_add_nc_u32_e32 v6, v6, v88
	v_cndmask_b32_e64 v6, v6, v88, s1
	s_waitcnt lgkmcnt(0)
	s_delay_alu instid0(VALU_DEP_1) | instskip(NEXT) | instid1(VALU_DEP_1)
	v_mov_b32_dpp v8, v6 row_shr:2 row_mask:0xf bank_mask:0xf
	v_add_nc_u32_e32 v8, v6, v8
	s_delay_alu instid0(VALU_DEP_1) | instskip(NEXT) | instid1(VALU_DEP_1)
	v_cndmask_b32_e64 v6, v6, v8, s0
	v_mov_b32_dpp v8, v6 row_shr:4 row_mask:0xf bank_mask:0xf
	s_delay_alu instid0(VALU_DEP_1) | instskip(NEXT) | instid1(VALU_DEP_1)
	v_add_nc_u32_e32 v8, v6, v8
	v_dual_cndmask_b32 v6, v6, v8 :: v_dual_add_nc_u32 v5, v5, v87
	s_delay_alu instid0(VALU_DEP_1) | instskip(NEXT) | instid1(VALU_DEP_2)
	v_cndmask_b32_e64 v5, v5, v87, s1
	v_mov_b32_dpp v8, v6 row_shr:8 row_mask:0xf bank_mask:0xf
	s_delay_alu instid0(VALU_DEP_2) | instskip(NEXT) | instid1(VALU_DEP_2)
	v_mov_b32_dpp v7, v5 row_shr:2 row_mask:0xf bank_mask:0xf
	v_add_nc_u32_e32 v8, v6, v8
	s_delay_alu instid0(VALU_DEP_2) | instskip(NEXT) | instid1(VALU_DEP_1)
	v_add_nc_u32_e32 v7, v5, v7
	v_cndmask_b32_e64 v5, v5, v7, s0
	s_mov_b32 s0, exec_lo
	s_delay_alu instid0(VALU_DEP_1) | instskip(NEXT) | instid1(VALU_DEP_1)
	v_mov_b32_dpp v7, v5 row_shr:4 row_mask:0xf bank_mask:0xf
	v_add_nc_u32_e32 v7, v5, v7
	s_delay_alu instid0(VALU_DEP_1) | instskip(SKIP_1) | instid1(VALU_DEP_2)
	v_cndmask_b32_e32 v5, v5, v7, vcc_lo
	v_cmp_lt_u32_e32 vcc_lo, 7, v86
	v_mov_b32_dpp v7, v5 row_shr:8 row_mask:0xf bank_mask:0xf
	s_delay_alu instid0(VALU_DEP_1) | instskip(NEXT) | instid1(VALU_DEP_1)
	v_dual_cndmask_b32 v6, v6, v8 :: v_dual_add_nc_u32 v7, v5, v7
	v_cndmask_b32_e32 v5, v5, v7, vcc_lo
	ds_swizzle_b32 v7, v6 offset:swizzle(BROADCAST,32,15)
	v_cmp_eq_u32_e32 vcc_lo, 0, v85
	ds_swizzle_b32 v8, v5 offset:swizzle(BROADCAST,32,15)
	s_waitcnt lgkmcnt(1)
	v_add_nc_u32_e32 v7, v6, v7
	s_waitcnt lgkmcnt(0)
	v_add_nc_u32_e32 v8, v5, v8
	s_delay_alu instid0(VALU_DEP_1)
	v_dual_cndmask_b32 v6, v7, v6 :: v_dual_cndmask_b32 v5, v8, v5
	v_cmpx_eq_u32_e64 v84, v0
	s_cbranch_execz .LBB877_121
; %bb.120:
	v_lshlrev_b32_e32 v7, 3, v83
	ds_store_b64 v7, v[5:6]
.LBB877_121:
	s_or_b32 exec_lo, exec_lo, s0
	s_delay_alu instid0(SALU_CYCLE_1)
	s_mov_b32 s0, exec_lo
	s_waitcnt lgkmcnt(0)
	s_barrier
	buffer_gl0_inv
	v_cmpx_gt_u32_e32 8, v0
	s_cbranch_execz .LBB877_123
; %bb.122:
	v_lshlrev_b32_e32 v9, 3, v0
	ds_load_b64 v[7:8], v9
	s_waitcnt lgkmcnt(0)
	v_mov_b32_dpp v22, v7 row_shr:1 row_mask:0xf bank_mask:0xf
	v_mov_b32_dpp v23, v8 row_shr:1 row_mask:0xf bank_mask:0xf
	s_delay_alu instid0(VALU_DEP_2) | instskip(SKIP_1) | instid1(VALU_DEP_3)
	v_add_nc_u32_e32 v22, v22, v7
	v_and_b32_e32 v24, 7, v82
	v_add_nc_u32_e32 v23, v23, v8
	s_delay_alu instid0(VALU_DEP_2) | instskip(NEXT) | instid1(VALU_DEP_2)
	v_cmp_eq_u32_e32 vcc_lo, 0, v24
	v_dual_cndmask_b32 v8, v23, v8 :: v_dual_cndmask_b32 v7, v22, v7
	v_cmp_lt_u32_e32 vcc_lo, 1, v24
	s_delay_alu instid0(VALU_DEP_2) | instskip(NEXT) | instid1(VALU_DEP_3)
	v_mov_b32_dpp v23, v8 row_shr:2 row_mask:0xf bank_mask:0xf
	v_mov_b32_dpp v22, v7 row_shr:2 row_mask:0xf bank_mask:0xf
	s_delay_alu instid0(VALU_DEP_2) | instskip(NEXT) | instid1(VALU_DEP_2)
	v_add_nc_u32_e32 v23, v8, v23
	v_add_nc_u32_e32 v22, v7, v22
	s_delay_alu instid0(VALU_DEP_1) | instskip(SKIP_1) | instid1(VALU_DEP_2)
	v_dual_cndmask_b32 v8, v8, v23 :: v_dual_cndmask_b32 v7, v7, v22
	v_cmp_lt_u32_e32 vcc_lo, 3, v24
	v_mov_b32_dpp v23, v8 row_shr:4 row_mask:0xf bank_mask:0xf
	s_delay_alu instid0(VALU_DEP_3) | instskip(NEXT) | instid1(VALU_DEP_1)
	v_mov_b32_dpp v22, v7 row_shr:4 row_mask:0xf bank_mask:0xf
	v_dual_cndmask_b32 v23, 0, v23 :: v_dual_cndmask_b32 v22, 0, v22
	s_delay_alu instid0(VALU_DEP_1) | instskip(NEXT) | instid1(VALU_DEP_2)
	v_add_nc_u32_e32 v8, v23, v8
	v_add_nc_u32_e32 v7, v22, v7
	ds_store_b64 v9, v[7:8]
.LBB877_123:
	s_or_b32 exec_lo, exec_lo, s0
	v_dual_mov_b32 v7, 0 :: v_dual_mov_b32 v22, 0
	v_mov_b32_e32 v23, 0
	s_mov_b32 s0, exec_lo
	s_waitcnt lgkmcnt(0)
	s_barrier
	buffer_gl0_inv
	v_cmpx_lt_u32_e32 31, v0
	s_cbranch_execz .LBB877_125
; %bb.124:
	v_lshl_add_u32 v8, v83, 3, -8
	ds_load_b64 v[22:23], v8
.LBB877_125:
	s_or_b32 exec_lo, exec_lo, s0
	v_add_nc_u32_e32 v8, -1, v82
	s_waitcnt lgkmcnt(0)
	v_add_nc_u32_e32 v24, v23, v6
	v_add_nc_u32_e32 v9, v22, v5
	ds_load_b64 v[5:6], v7 offset:56
	v_cmp_gt_i32_e32 vcc_lo, 0, v8
	v_cndmask_b32_e32 v8, v8, v82, vcc_lo
	s_delay_alu instid0(VALU_DEP_1)
	v_lshlrev_b32_e32 v8, 2, v8
	ds_bpermute_b32 v9, v8, v9
	ds_bpermute_b32 v24, v8, v24
	s_waitcnt lgkmcnt(2)
	v_readfirstlane_b32 s0, v6
	s_and_saveexec_b32 s1, s2
	s_cbranch_execz .LBB877_127
; %bb.126:
	s_mov_b32 s8, 0
	s_add_u32 s6, s36, 0x200
	s_addc_u32 s7, s37, 0
	s_and_b32 s9, s0, 0xff000000
	s_and_b32 s11, s0, 0xff0000
	s_mov_b32 s10, s8
	v_mov_b32_e32 v26, s7
	s_or_b64 s[10:11], s[10:11], s[8:9]
	s_and_b32 s9, s0, 0xff00
	v_dual_mov_b32 v8, 0 :: v_dual_mov_b32 v25, s6
	s_or_b64 s[10:11], s[10:11], s[8:9]
	s_and_b32 s9, s0, 0xff
	v_mov_b32_e32 v7, 2
	s_or_b64 s[8:9], s[10:11], s[8:9]
	s_delay_alu instid0(SALU_CYCLE_1)
	v_mov_b32_e32 v6, s9
	;;#ASMSTART
	global_store_dwordx4 v[25:26], v[5:8] off	
s_waitcnt vmcnt(0)
	;;#ASMEND
.LBB877_127:
	s_or_b32 exec_lo, exec_lo, s1
	v_cmp_eq_u32_e32 vcc_lo, 0, v82
	v_dual_mov_b32 v7, 0 :: v_dual_mov_b32 v6, s0
	s_waitcnt lgkmcnt(0)
	s_barrier
	v_dual_cndmask_b32 v8, v9, v22 :: v_dual_cndmask_b32 v9, v24, v23
	buffer_gl0_inv
	v_cndmask_b32_e64 v22, v8, 0, s2
	v_cndmask_b32_e64 v9, v9, 0, s2
	v_mov_b32_e32 v8, 0
.LBB877_128:
	s_delay_alu instid0(VALU_DEP_1) | instskip(SKIP_1) | instid1(VALU_DEP_2)
	v_add_nc_u32_e32 v24, v9, v81
	s_waitcnt lgkmcnt(0)
	v_sub_nc_u32_e32 v9, v9, v8
	v_add_co_u32 v1, vcc_lo, v1, v7
	v_and_b32_e32 v35, 1, v35
	v_add_nc_u32_e32 v26, v24, v77
	v_sub_nc_u32_e32 v24, v24, v8
	v_lshlrev_b32_e32 v77, 1, v5
	v_add_nc_u32_e32 v9, v9, v5
	v_add_co_ci_u32_e32 v2, vcc_lo, 0, v2, vcc_lo
	v_add_nc_u32_e32 v28, v26, v79
	s_delay_alu instid0(VALU_DEP_4)
	v_add3_u32 v33, v77, v6, v33
	v_and_b32_e32 v40, 1, v40
	v_and_b32_e32 v37, 1, v37
	;; [unrolled: 1-line block ×3, first 2 shown]
	v_add_nc_u32_e32 v29, v28, v75
	v_sub_nc_u32_e32 v28, v28, v8
	v_sub_co_u32 v75, vcc_lo, v3, v5
	s_add_u32 s1, s14, -4
	s_delay_alu instid0(VALU_DEP_3) | instskip(SKIP_4) | instid1(VALU_DEP_3)
	v_add_nc_u32_e32 v73, v29, v73
	v_sub_nc_u32_e32 v29, v29, v8
	v_add_nc_u32_e32 v28, v28, v5
	v_add_nc_u32_e32 v24, v24, v5
	s_mov_b32 s3, -1
	v_add_nc_u32_e32 v29, v29, v5
	v_add_nc_u32_e32 v23, v22, v80
	v_sub_nc_u32_e32 v22, v22, v7
	s_delay_alu instid0(VALU_DEP_2) | instskip(SKIP_3) | instid1(VALU_DEP_3)
	v_add_nc_u32_e32 v25, v23, v76
	v_sub_nc_u32_e32 v23, v23, v7
	v_subrev_co_ci_u32_e32 v76, vcc_lo, 0, v4, vcc_lo
	v_cmp_eq_u32_e32 vcc_lo, 1, v35
	v_add_nc_u32_e32 v79, v24, v23
	s_delay_alu instid0(VALU_DEP_1) | instskip(NEXT) | instid1(VALU_DEP_1)
	v_sub_nc_u32_e32 v79, v33, v79
	v_add_nc_u32_e32 v79, 1, v79
	v_add_nc_u32_e32 v27, v25, v78
	;; [unrolled: 1-line block ×3, first 2 shown]
	s_delay_alu instid0(VALU_DEP_1) | instskip(NEXT) | instid1(VALU_DEP_1)
	v_sub_nc_u32_e32 v78, v33, v78
	v_dual_cndmask_b32 v9, v78, v9 :: v_dual_and_b32 v34, 1, v34
	v_cmp_eq_u32_e32 vcc_lo, 1, v40
	v_cndmask_b32_e32 v24, v79, v24, vcc_lo
	s_delay_alu instid0(VALU_DEP_3) | instskip(NEXT) | instid1(VALU_DEP_4)
	v_cmp_eq_u32_e32 vcc_lo, 1, v34
	v_cndmask_b32_e32 v9, v9, v22, vcc_lo
	v_sub_nc_u32_e32 v26, v26, v8
	v_cmp_eq_u32_e32 vcc_lo, 1, v37
	v_and_b32_e32 v37, 1, v38
	s_delay_alu instid0(VALU_DEP_4) | instskip(NEXT) | instid1(VALU_DEP_4)
	v_lshlrev_b32_e32 v9, 2, v9
	v_add_nc_u32_e32 v26, v26, v5
	v_cndmask_b32_e32 v24, v24, v23, vcc_lo
	v_sub_nc_u32_e32 v25, v25, v7
	v_add_co_u32 v22, vcc_lo, v75, v8
	v_add_co_ci_u32_e32 v23, vcc_lo, 0, v76, vcc_lo
	s_delay_alu instid0(VALU_DEP_3)
	v_add_nc_u32_e32 v34, v26, v25
	v_cmp_eq_u32_e32 vcc_lo, 1, v37
	v_lshlrev_b32_e32 v24, 2, v24
	ds_store_b32 v9, v20
	v_sub_nc_u32_e32 v34, v33, v34
	ds_store_b32 v24, v21
	v_and_b32_e32 v24, 1, v39
	v_add_nc_u32_e32 v34, 2, v34
	s_delay_alu instid0(VALU_DEP_1) | instskip(SKIP_3) | instid1(VALU_DEP_4)
	v_cndmask_b32_e32 v26, v34, v26, vcc_lo
	v_cmp_eq_u32_e32 vcc_lo, 1, v36
	v_add_nc_u32_e32 v74, v27, v74
	v_sub_nc_u32_e32 v27, v27, v7
	v_cndmask_b32_e32 v25, v26, v25, vcc_lo
	s_delay_alu instid0(VALU_DEP_3) | instskip(NEXT) | instid1(VALU_DEP_3)
	v_sub_nc_u32_e32 v37, v74, v7
	v_add_nc_u32_e32 v34, v27, v28
	v_cmp_eq_u32_e32 vcc_lo, 1, v24
	v_sub_nc_u32_e32 v26, v73, v8
	v_lshlrev_b32_e32 v21, 2, v25
	v_and_b32_e32 v25, 1, v41
	v_sub_nc_u32_e32 v9, v33, v34
	v_add_nc_u32_e32 v20, v37, v29
	v_and_b32_e32 v24, 1, v42
	v_add_nc_u32_e32 v26, v26, v5
	ds_store_b32 v21, v18
	v_add_nc_u32_e32 v9, 3, v9
	v_sub_nc_u32_e32 v20, v33, v20
	s_delay_alu instid0(VALU_DEP_2) | instskip(SKIP_2) | instid1(VALU_DEP_4)
	v_cndmask_b32_e32 v9, v9, v28, vcc_lo
	v_cmp_eq_u32_e32 vcc_lo, 1, v25
	v_add_nc_u32_e32 v72, v74, v72
	v_add_nc_u32_e32 v20, 4, v20
	v_and_b32_e32 v25, 1, v43
	v_cndmask_b32_e32 v9, v9, v27, vcc_lo
	s_delay_alu instid0(VALU_DEP_4)
	v_sub_nc_u32_e32 v28, v72, v7
	v_cmp_eq_u32_e32 vcc_lo, 1, v24
	v_and_b32_e32 v24, 1, v44
	v_add_nc_u32_e32 v70, v72, v70
	v_lshlrev_b32_e32 v9, 2, v9
	v_add_nc_u32_e32 v27, v28, v26
	v_cndmask_b32_e32 v20, v20, v29, vcc_lo
	v_cmp_eq_u32_e32 vcc_lo, 1, v25
	v_and_b32_e32 v25, 1, v45
	v_add_nc_u32_e32 v64, v70, v64
	v_sub_nc_u32_e32 v18, v33, v27
	v_sub_nc_u32_e32 v27, v70, v7
	v_cndmask_b32_e32 v20, v20, v37, vcc_lo
	v_cmp_eq_u32_e32 vcc_lo, 1, v24
	ds_store_b32 v9, v19
	v_add_nc_u32_e32 v18, 5, v18
	v_and_b32_e32 v19, 1, v46
	v_lshlrev_b32_e32 v20, 2, v20
	v_add_nc_u32_e32 v68, v64, v68
	s_delay_alu instid0(VALU_DEP_4)
	v_cndmask_b32_e32 v18, v18, v26, vcc_lo
	v_cmp_eq_u32_e32 vcc_lo, 1, v25
	v_sub_nc_u32_e32 v25, v64, v7
	ds_store_b32 v20, v16
	v_and_b32_e32 v20, 1, v49
	v_add_nc_u32_e32 v66, v68, v66
	v_dual_cndmask_b32 v18, v18, v28 :: v_dual_add_nc_u32 v71, v73, v71
	v_cmp_eq_u32_e32 vcc_lo, 1, v19
	v_and_b32_e32 v19, 1, v48
	s_delay_alu instid0(VALU_DEP_4) | instskip(NEXT) | instid1(VALU_DEP_4)
	v_add_nc_u32_e32 v61, v66, v61
	v_lshlrev_b32_e32 v18, 2, v18
	v_add_nc_u32_e32 v65, v71, v65
	v_sub_nc_u32_e32 v21, v71, v8
	s_delay_alu instid0(VALU_DEP_4)
	v_add_nc_u32_e32 v60, v61, v60
	ds_store_b32 v18, v17
	v_sub_nc_u32_e32 v24, v65, v8
	v_add_nc_u32_e32 v21, v21, v5
	v_add_nc_u32_e32 v69, v65, v69
	v_and_b32_e32 v17, 1, v47
	s_delay_alu instid0(VALU_DEP_4) | instskip(NEXT) | instid1(VALU_DEP_4)
	v_add_nc_u32_e32 v24, v24, v5
	v_add_nc_u32_e32 v26, v27, v21
	s_delay_alu instid0(VALU_DEP_4) | instskip(NEXT) | instid1(VALU_DEP_3)
	v_sub_nc_u32_e32 v18, v69, v8
	v_add_nc_u32_e32 v16, v25, v24
	s_delay_alu instid0(VALU_DEP_3) | instskip(NEXT) | instid1(VALU_DEP_3)
	v_sub_nc_u32_e32 v9, v33, v26
	v_add_nc_u32_e32 v18, v18, v5
	v_sub_nc_u32_e32 v26, v60, v7
	s_delay_alu instid0(VALU_DEP_4) | instskip(NEXT) | instid1(VALU_DEP_4)
	v_sub_nc_u32_e32 v16, v33, v16
	v_add_nc_u32_e32 v9, 6, v9
	s_delay_alu instid0(VALU_DEP_1) | instskip(SKIP_2) | instid1(VALU_DEP_3)
	v_dual_cndmask_b32 v9, v9, v21 :: v_dual_add_nc_u32 v16, 7, v16
	v_cmp_eq_u32_e32 vcc_lo, 1, v19
	v_sub_nc_u32_e32 v21, v68, v7
	v_cndmask_b32_e32 v16, v16, v24, vcc_lo
	v_cmp_eq_u32_e32 vcc_lo, 1, v17
	s_delay_alu instid0(VALU_DEP_3) | instskip(SKIP_3) | instid1(VALU_DEP_4)
	v_add_nc_u32_e32 v17, v21, v18
	v_cndmask_b32_e32 v9, v9, v27, vcc_lo
	v_cmp_eq_u32_e32 vcc_lo, 1, v20
	v_add_nc_u32_e32 v67, v69, v67
	v_sub_nc_u32_e32 v17, v33, v17
	v_sub_nc_u32_e32 v20, v66, v7
	v_lshlrev_b32_e32 v9, 2, v9
	v_cndmask_b32_e32 v16, v16, v25, vcc_lo
	v_sub_nc_u32_e32 v19, v67, v8
	v_add_nc_u32_e32 v62, v67, v62
	v_sub_nc_u32_e32 v25, v61, v7
	ds_store_b32 v9, v14
	v_and_b32_e32 v9, 1, v50
	v_add_nc_u32_e32 v19, v19, v5
	v_add_nc_u32_e32 v14, 8, v17
	v_lshlrev_b32_e32 v16, 2, v16
	v_add_nc_u32_e32 v63, v62, v63
	v_cmp_eq_u32_e32 vcc_lo, 1, v9
	v_add_nc_u32_e32 v17, v20, v19
	ds_store_b32 v16, v15
	v_and_b32_e32 v15, 1, v51
	v_cndmask_b32_e32 v9, v14, v18, vcc_lo
	v_sub_nc_u32_e32 v14, v33, v17
	v_and_b32_e32 v18, 1, v52
	v_sub_nc_u32_e32 v17, v62, v8
	v_and_b32_e32 v16, 1, v54
	v_sub_nc_u32_e32 v24, v63, v8
	v_add_nc_u32_e32 v14, 9, v14
	v_cmp_eq_u32_e32 vcc_lo, 1, v18
	v_add_nc_u32_e32 v17, v17, v5
	v_add_nc_u32_e32 v35, v63, v59
	;; [unrolled: 1-line block ×3, first 2 shown]
	v_cndmask_b32_e32 v14, v14, v19, vcc_lo
	v_cmp_eq_u32_e32 vcc_lo, 1, v15
	v_add_nc_u32_e32 v15, v25, v17
	s_delay_alu instid0(VALU_DEP_4)
	v_add_nc_u32_e32 v18, v26, v24
	v_and_b32_e32 v19, 1, v55
	v_cndmask_b32_e32 v9, v9, v21, vcc_lo
	v_cmp_eq_u32_e32 vcc_lo, 1, v16
	v_sub_nc_u32_e32 v15, v33, v15
	v_sub_nc_u32_e32 v18, v33, v18
	v_and_b32_e32 v21, 1, v57
	v_sub_nc_u32_e32 v16, v35, v8
	v_cndmask_b32_e32 v14, v14, v20, vcc_lo
	v_and_b32_e32 v20, 1, v53
	v_add_nc_u32_e32 v15, 10, v15
	v_add_nc_u32_e32 v18, 11, v18
	v_add_nc_u32_e32 v16, v16, v5
	v_lshlrev_b32_e32 v9, 2, v9
	v_cmp_eq_u32_e32 vcc_lo, 1, v20
	v_dual_cndmask_b32 v15, v15, v17 :: v_dual_lshlrev_b32 v14, 2, v14
	v_cmp_eq_u32_e32 vcc_lo, 1, v21
	v_and_b32_e32 v17, 1, v56
	v_cndmask_b32_e32 v18, v18, v24, vcc_lo
	v_cmp_eq_u32_e32 vcc_lo, 1, v19
	v_cndmask_b32_e32 v15, v15, v25, vcc_lo
	s_delay_alu instid0(VALU_DEP_4) | instskip(NEXT) | instid1(VALU_DEP_2)
	v_cmp_eq_u32_e32 vcc_lo, 1, v17
	v_lshlrev_b32_e32 v15, 2, v15
	v_cndmask_b32_e32 v17, v18, v26, vcc_lo
	v_add_nc_u32_e32 v40, v60, v58
	s_delay_alu instid0(VALU_DEP_2) | instskip(NEXT) | instid1(VALU_DEP_2)
	v_lshlrev_b32_e32 v17, 2, v17
	v_sub_nc_u32_e32 v7, v40, v7
	ds_store_b32 v9, v12
	ds_store_b32 v14, v13
	;; [unrolled: 1-line block ×4, first 2 shown]
	v_add_co_u32 v9, s0, v6, v77
	s_delay_alu instid0(VALU_DEP_1) | instskip(SKIP_1) | instid1(VALU_DEP_3)
	v_add_co_ci_u32_e64 v10, null, 0, 0, s0
	v_add_nc_u32_e32 v27, v7, v16
	v_add_co_u32 v9, vcc_lo, v9, v22
	s_delay_alu instid0(VALU_DEP_3) | instskip(NEXT) | instid1(VALU_DEP_3)
	v_add_co_ci_u32_e32 v10, vcc_lo, v10, v23, vcc_lo
	v_sub_nc_u32_e32 v20, v33, v27
	v_add_co_u32 v11, s0, s34, v30
	s_delay_alu instid0(VALU_DEP_4) | instskip(NEXT) | instid1(VALU_DEP_3)
	v_add_co_u32 v9, vcc_lo, v9, v1
	v_add_nc_u32_e32 v18, 12, v20
	v_add_co_ci_u32_e64 v12, null, s35, 0, s0
	v_add_co_ci_u32_e32 v10, vcc_lo, v10, v2, vcc_lo
	s_delay_alu instid0(VALU_DEP_3) | instskip(SKIP_1) | instid1(VALU_DEP_2)
	v_cndmask_b32_e64 v16, v18, v16, s33
	v_add_nc_u32_e32 v14, v5, v6
	v_cndmask_b32_e64 v7, v16, v7, s27
	s_delay_alu instid0(VALU_DEP_1)
	v_lshlrev_b32_e32 v7, 2, v7
	ds_store_b32 v7, v32
	v_sub_co_u32 v7, vcc_lo, v11, v9
	v_sub_co_ci_u32_e32 v13, vcc_lo, v12, v10, vcc_lo
	v_lshlrev_b64 v[9:10], 2, v[22:23]
	v_lshlrev_b64 v[11:12], 2, v[1:2]
	s_waitcnt lgkmcnt(0)
	s_barrier
	buffer_gl0_inv
	v_add_co_u32 v9, vcc_lo, s30, v9
	v_add_co_ci_u32_e32 v10, vcc_lo, s31, v10, vcc_lo
	v_cmp_ne_u32_e32 vcc_lo, 1, v31
	v_add_co_u32 v11, s0, s28, v11
	s_delay_alu instid0(VALU_DEP_1)
	v_add_co_ci_u32_e64 v12, s0, s29, v12, s0
	s_addc_u32 s0, s15, -1
	s_cbranch_vccz .LBB877_132
; %bb.129:
	s_and_b32 vcc_lo, exec_lo, s3
	s_cbranch_vccnz .LBB877_237
.LBB877_130:
	s_and_b32 s0, s2, s13
	s_delay_alu instid0(SALU_CYCLE_1)
	s_and_saveexec_b32 s1, s0
	s_cbranch_execnz .LBB877_355
.LBB877_131:
	s_nop 0
	s_sendmsg sendmsg(MSG_DEALLOC_VGPRS)
	s_endpgm
.LBB877_132:
	s_mov_b32 s3, exec_lo
	v_cmpx_le_u32_e64 v5, v0
	s_xor_b32 s3, exec_lo, s3
	s_cbranch_execz .LBB877_138
; %bb.133:
	s_mov_b32 s5, exec_lo
	v_cmpx_le_u32_e64 v14, v0
	s_xor_b32 s5, exec_lo, s5
	s_cbranch_execz .LBB877_135
; %bb.134:
	v_lshlrev_b32_e32 v15, 2, v0
	ds_load_b32 v17, v15
	v_add_co_u32 v15, vcc_lo, v7, v0
	v_add_co_ci_u32_e32 v16, vcc_lo, 0, v13, vcc_lo
	s_delay_alu instid0(VALU_DEP_1) | instskip(NEXT) | instid1(VALU_DEP_1)
	v_lshlrev_b64 v[15:16], 2, v[15:16]
	v_sub_co_u32 v15, vcc_lo, s14, v15
	s_delay_alu instid0(VALU_DEP_2)
	v_sub_co_ci_u32_e32 v16, vcc_lo, s15, v16, vcc_lo
	s_waitcnt lgkmcnt(0)
	global_store_b32 v[15:16], v17, off offset:-4
.LBB877_135:
	s_and_not1_saveexec_b32 s5, s5
	s_cbranch_execz .LBB877_137
; %bb.136:
	v_lshlrev_b32_e32 v15, 2, v0
	v_readfirstlane_b32 s6, v9
	v_readfirstlane_b32 s7, v10
	ds_load_b32 v16, v15
	s_waitcnt lgkmcnt(0)
	global_store_b32 v15, v16, s[6:7]
.LBB877_137:
	s_or_b32 exec_lo, exec_lo, s5
.LBB877_138:
	s_and_not1_saveexec_b32 s3, s3
	s_cbranch_execz .LBB877_140
; %bb.139:
	v_lshlrev_b32_e32 v15, 2, v0
	v_readfirstlane_b32 s6, v11
	v_readfirstlane_b32 s7, v12
	ds_load_b32 v16, v15
	s_waitcnt lgkmcnt(0)
	global_store_b32 v15, v16, s[6:7]
.LBB877_140:
	s_or_b32 exec_lo, exec_lo, s3
	v_or_b32_e32 v15, 0x100, v0
	s_mov_b32 s3, exec_lo
	s_delay_alu instid0(VALU_DEP_1)
	v_cmpx_le_u32_e64 v5, v15
	s_xor_b32 s3, exec_lo, s3
	s_cbranch_execz .LBB877_146
; %bb.141:
	s_mov_b32 s5, exec_lo
	v_cmpx_le_u32_e64 v14, v15
	s_xor_b32 s5, exec_lo, s5
	s_cbranch_execz .LBB877_143
; %bb.142:
	v_lshlrev_b32_e32 v15, 2, v0
	ds_load_b32 v17, v15 offset:1024
	v_add_co_u32 v15, vcc_lo, v7, v0
	v_add_co_ci_u32_e32 v16, vcc_lo, 0, v13, vcc_lo
	s_delay_alu instid0(VALU_DEP_1) | instskip(NEXT) | instid1(VALU_DEP_1)
	v_lshlrev_b64 v[15:16], 2, v[15:16]
	v_sub_co_u32 v15, vcc_lo, s1, v15
	s_delay_alu instid0(VALU_DEP_2)
	v_sub_co_ci_u32_e32 v16, vcc_lo, s0, v16, vcc_lo
	s_waitcnt lgkmcnt(0)
	global_store_b32 v[15:16], v17, off offset:-1024
.LBB877_143:
	s_and_not1_saveexec_b32 s5, s5
	s_cbranch_execz .LBB877_145
; %bb.144:
	v_lshlrev_b32_e32 v15, 2, v0
	v_readfirstlane_b32 s6, v9
	v_readfirstlane_b32 s7, v10
	ds_load_b32 v16, v15 offset:1024
	s_waitcnt lgkmcnt(0)
	global_store_b32 v15, v16, s[6:7] offset:1024
.LBB877_145:
	s_or_b32 exec_lo, exec_lo, s5
.LBB877_146:
	s_and_not1_saveexec_b32 s3, s3
	s_cbranch_execz .LBB877_148
; %bb.147:
	v_lshlrev_b32_e32 v15, 2, v0
	v_readfirstlane_b32 s6, v11
	v_readfirstlane_b32 s7, v12
	ds_load_b32 v16, v15 offset:1024
	s_waitcnt lgkmcnt(0)
	global_store_b32 v15, v16, s[6:7] offset:1024
.LBB877_148:
	s_or_b32 exec_lo, exec_lo, s3
	v_or_b32_e32 v15, 0x200, v0
	s_mov_b32 s3, exec_lo
	s_delay_alu instid0(VALU_DEP_1)
	v_cmpx_le_u32_e64 v5, v15
	s_xor_b32 s3, exec_lo, s3
	s_cbranch_execz .LBB877_154
; %bb.149:
	s_mov_b32 s5, exec_lo
	v_cmpx_le_u32_e64 v14, v15
	s_xor_b32 s5, exec_lo, s5
	s_cbranch_execz .LBB877_151
; %bb.150:
	v_lshlrev_b32_e32 v15, 2, v0
	ds_load_b32 v17, v15 offset:2048
	v_add_co_u32 v15, vcc_lo, v7, v0
	v_add_co_ci_u32_e32 v16, vcc_lo, 0, v13, vcc_lo
	s_delay_alu instid0(VALU_DEP_1) | instskip(NEXT) | instid1(VALU_DEP_1)
	v_lshlrev_b64 v[15:16], 2, v[15:16]
	v_sub_co_u32 v15, vcc_lo, s1, v15
	s_delay_alu instid0(VALU_DEP_2)
	v_sub_co_ci_u32_e32 v16, vcc_lo, s0, v16, vcc_lo
	s_waitcnt lgkmcnt(0)
	global_store_b32 v[15:16], v17, off offset:-2048
.LBB877_151:
	s_and_not1_saveexec_b32 s5, s5
	s_cbranch_execz .LBB877_153
; %bb.152:
	v_lshlrev_b32_e32 v15, 2, v0
	v_readfirstlane_b32 s6, v9
	v_readfirstlane_b32 s7, v10
	ds_load_b32 v16, v15 offset:2048
	s_waitcnt lgkmcnt(0)
	global_store_b32 v15, v16, s[6:7] offset:2048
.LBB877_153:
	s_or_b32 exec_lo, exec_lo, s5
.LBB877_154:
	s_and_not1_saveexec_b32 s3, s3
	s_cbranch_execz .LBB877_156
; %bb.155:
	v_lshlrev_b32_e32 v15, 2, v0
	v_readfirstlane_b32 s6, v11
	v_readfirstlane_b32 s7, v12
	ds_load_b32 v16, v15 offset:2048
	s_waitcnt lgkmcnt(0)
	global_store_b32 v15, v16, s[6:7] offset:2048
.LBB877_156:
	;; [unrolled: 47-line block ×3, first 2 shown]
	s_or_b32 exec_lo, exec_lo, s3
	v_or_b32_e32 v15, 0x400, v0
	s_mov_b32 s3, exec_lo
	s_delay_alu instid0(VALU_DEP_1)
	v_cmpx_le_u32_e64 v5, v15
	s_xor_b32 s3, exec_lo, s3
	s_cbranch_execz .LBB877_170
; %bb.165:
	s_mov_b32 s5, exec_lo
	v_cmpx_le_u32_e64 v14, v15
	s_xor_b32 s5, exec_lo, s5
	s_cbranch_execz .LBB877_167
; %bb.166:
	v_lshlrev_b32_e32 v15, 2, v0
	ds_load_b32 v17, v15 offset:4096
	v_add_co_u32 v15, vcc_lo, v7, v0
	v_add_co_ci_u32_e32 v16, vcc_lo, 0, v13, vcc_lo
	s_delay_alu instid0(VALU_DEP_1) | instskip(NEXT) | instid1(VALU_DEP_1)
	v_lshlrev_b64 v[15:16], 2, v[15:16]
	v_sub_co_u32 v15, vcc_lo, s1, v15
	s_delay_alu instid0(VALU_DEP_2)
	v_sub_co_ci_u32_e32 v16, vcc_lo, s0, v16, vcc_lo
	s_waitcnt lgkmcnt(0)
	global_store_b32 v[15:16], v17, off offset:-4096
                                        ; implicit-def: $vgpr15
.LBB877_167:
	s_and_not1_saveexec_b32 s5, s5
	s_cbranch_execz .LBB877_169
; %bb.168:
	v_lshlrev_b32_e32 v16, 2, v0
	v_lshlrev_b32_e32 v15, 2, v15
	v_readfirstlane_b32 s6, v9
	v_readfirstlane_b32 s7, v10
	ds_load_b32 v16, v16 offset:4096
	s_waitcnt lgkmcnt(0)
	global_store_b32 v15, v16, s[6:7]
.LBB877_169:
	s_or_b32 exec_lo, exec_lo, s5
                                        ; implicit-def: $vgpr15
.LBB877_170:
	s_and_not1_saveexec_b32 s3, s3
	s_cbranch_execz .LBB877_172
; %bb.171:
	v_lshlrev_b32_e32 v16, 2, v0
	v_lshlrev_b32_e32 v15, 2, v15
	v_readfirstlane_b32 s6, v11
	v_readfirstlane_b32 s7, v12
	ds_load_b32 v16, v16 offset:4096
	s_waitcnt lgkmcnt(0)
	global_store_b32 v15, v16, s[6:7]
.LBB877_172:
	s_or_b32 exec_lo, exec_lo, s3
	v_or_b32_e32 v15, 0x500, v0
	s_mov_b32 s3, exec_lo
	s_delay_alu instid0(VALU_DEP_1)
	v_cmpx_le_u32_e64 v5, v15
	s_xor_b32 s3, exec_lo, s3
	s_cbranch_execz .LBB877_178
; %bb.173:
	s_mov_b32 s5, exec_lo
	v_cmpx_le_u32_e64 v14, v15
	s_xor_b32 s5, exec_lo, s5
	s_cbranch_execz .LBB877_175
; %bb.174:
	v_lshlrev_b32_e32 v16, 2, v0
	v_add_co_u32 v15, vcc_lo, v7, v15
	ds_load_b32 v17, v16 offset:5120
	v_add_co_ci_u32_e32 v16, vcc_lo, 0, v13, vcc_lo
	s_delay_alu instid0(VALU_DEP_1) | instskip(NEXT) | instid1(VALU_DEP_1)
	v_lshlrev_b64 v[15:16], 2, v[15:16]
	v_sub_co_u32 v15, vcc_lo, s1, v15
	s_delay_alu instid0(VALU_DEP_2)
	v_sub_co_ci_u32_e32 v16, vcc_lo, s0, v16, vcc_lo
	s_waitcnt lgkmcnt(0)
	global_store_b32 v[15:16], v17, off
                                        ; implicit-def: $vgpr15
.LBB877_175:
	s_and_not1_saveexec_b32 s5, s5
	s_cbranch_execz .LBB877_177
; %bb.176:
	v_lshlrev_b32_e32 v16, 2, v0
	v_lshlrev_b32_e32 v15, 2, v15
	v_readfirstlane_b32 s6, v9
	v_readfirstlane_b32 s7, v10
	ds_load_b32 v16, v16 offset:5120
	s_waitcnt lgkmcnt(0)
	global_store_b32 v15, v16, s[6:7]
.LBB877_177:
	s_or_b32 exec_lo, exec_lo, s5
                                        ; implicit-def: $vgpr15
.LBB877_178:
	s_and_not1_saveexec_b32 s3, s3
	s_cbranch_execz .LBB877_180
; %bb.179:
	v_lshlrev_b32_e32 v16, 2, v0
	v_lshlrev_b32_e32 v15, 2, v15
	v_readfirstlane_b32 s6, v11
	v_readfirstlane_b32 s7, v12
	ds_load_b32 v16, v16 offset:5120
	s_waitcnt lgkmcnt(0)
	global_store_b32 v15, v16, s[6:7]
.LBB877_180:
	s_or_b32 exec_lo, exec_lo, s3
	v_or_b32_e32 v15, 0x600, v0
	s_mov_b32 s3, exec_lo
	s_delay_alu instid0(VALU_DEP_1)
	v_cmpx_le_u32_e64 v5, v15
	s_xor_b32 s3, exec_lo, s3
	s_cbranch_execz .LBB877_186
; %bb.181:
	s_mov_b32 s5, exec_lo
	v_cmpx_le_u32_e64 v14, v15
	s_xor_b32 s5, exec_lo, s5
	s_cbranch_execz .LBB877_183
; %bb.182:
	v_lshlrev_b32_e32 v16, 2, v0
	v_add_co_u32 v15, vcc_lo, v7, v15
	ds_load_b32 v17, v16 offset:6144
	v_add_co_ci_u32_e32 v16, vcc_lo, 0, v13, vcc_lo
	s_delay_alu instid0(VALU_DEP_1) | instskip(NEXT) | instid1(VALU_DEP_1)
	v_lshlrev_b64 v[15:16], 2, v[15:16]
	v_sub_co_u32 v15, vcc_lo, s1, v15
	s_delay_alu instid0(VALU_DEP_2)
	v_sub_co_ci_u32_e32 v16, vcc_lo, s0, v16, vcc_lo
	s_waitcnt lgkmcnt(0)
	global_store_b32 v[15:16], v17, off
                                        ; implicit-def: $vgpr15
.LBB877_183:
	s_and_not1_saveexec_b32 s5, s5
	s_cbranch_execz .LBB877_185
; %bb.184:
	v_lshlrev_b32_e32 v16, 2, v0
	v_lshlrev_b32_e32 v15, 2, v15
	v_readfirstlane_b32 s6, v9
	v_readfirstlane_b32 s7, v10
	ds_load_b32 v16, v16 offset:6144
	s_waitcnt lgkmcnt(0)
	global_store_b32 v15, v16, s[6:7]
.LBB877_185:
	s_or_b32 exec_lo, exec_lo, s5
                                        ; implicit-def: $vgpr15
.LBB877_186:
	;; [unrolled: 51-line block ×8, first 2 shown]
	s_and_not1_saveexec_b32 s3, s3
	s_cbranch_execz .LBB877_236
; %bb.235:
	v_lshlrev_b32_e32 v16, 2, v0
	v_lshlrev_b32_e32 v15, 2, v15
	v_readfirstlane_b32 s6, v11
	v_readfirstlane_b32 s7, v12
	ds_load_b32 v16, v16 offset:12288
	s_waitcnt lgkmcnt(0)
	global_store_b32 v15, v16, s[6:7]
.LBB877_236:
	s_or_b32 exec_lo, exec_lo, s3
	s_branch .LBB877_130
.LBB877_237:
	s_mov_b32 s3, exec_lo
	v_cmpx_gt_u32_e64 s4, v0
	s_cbranch_execz .LBB877_246
; %bb.238:
	s_mov_b32 s5, exec_lo
	v_cmpx_le_u32_e64 v5, v0
	s_xor_b32 s5, exec_lo, s5
	s_cbranch_execz .LBB877_244
; %bb.239:
	s_mov_b32 s6, exec_lo
	v_cmpx_le_u32_e64 v14, v0
	s_xor_b32 s6, exec_lo, s6
	s_cbranch_execz .LBB877_241
; %bb.240:
	v_lshlrev_b32_e32 v15, 2, v0
	ds_load_b32 v17, v15
	v_add_co_u32 v15, vcc_lo, v7, v0
	v_add_co_ci_u32_e32 v16, vcc_lo, 0, v13, vcc_lo
	s_delay_alu instid0(VALU_DEP_1) | instskip(NEXT) | instid1(VALU_DEP_1)
	v_lshlrev_b64 v[15:16], 2, v[15:16]
	v_sub_co_u32 v15, vcc_lo, s14, v15
	s_delay_alu instid0(VALU_DEP_2)
	v_sub_co_ci_u32_e32 v16, vcc_lo, s15, v16, vcc_lo
	s_waitcnt lgkmcnt(0)
	global_store_b32 v[15:16], v17, off offset:-4
.LBB877_241:
	s_and_not1_saveexec_b32 s6, s6
	s_cbranch_execz .LBB877_243
; %bb.242:
	v_lshlrev_b32_e32 v15, 2, v0
	v_readfirstlane_b32 s8, v9
	v_readfirstlane_b32 s9, v10
	ds_load_b32 v16, v15
	s_waitcnt lgkmcnt(0)
	global_store_b32 v15, v16, s[8:9]
.LBB877_243:
	s_or_b32 exec_lo, exec_lo, s6
.LBB877_244:
	s_and_not1_saveexec_b32 s5, s5
	s_cbranch_execz .LBB877_246
; %bb.245:
	v_lshlrev_b32_e32 v15, 2, v0
	v_readfirstlane_b32 s6, v11
	v_readfirstlane_b32 s7, v12
	ds_load_b32 v16, v15
	s_waitcnt lgkmcnt(0)
	global_store_b32 v15, v16, s[6:7]
.LBB877_246:
	s_or_b32 exec_lo, exec_lo, s3
	v_or_b32_e32 v15, 0x100, v0
	s_mov_b32 s3, exec_lo
	s_delay_alu instid0(VALU_DEP_1)
	v_cmpx_gt_u32_e64 s4, v15
	s_cbranch_execz .LBB877_255
; %bb.247:
	s_mov_b32 s5, exec_lo
	v_cmpx_le_u32_e64 v5, v15
	s_xor_b32 s5, exec_lo, s5
	s_cbranch_execz .LBB877_253
; %bb.248:
	s_mov_b32 s6, exec_lo
	v_cmpx_le_u32_e64 v14, v15
	s_xor_b32 s6, exec_lo, s6
	s_cbranch_execz .LBB877_250
; %bb.249:
	v_lshlrev_b32_e32 v15, 2, v0
	ds_load_b32 v17, v15 offset:1024
	v_add_co_u32 v15, vcc_lo, v7, v0
	v_add_co_ci_u32_e32 v16, vcc_lo, 0, v13, vcc_lo
	s_delay_alu instid0(VALU_DEP_1) | instskip(NEXT) | instid1(VALU_DEP_1)
	v_lshlrev_b64 v[15:16], 2, v[15:16]
	v_sub_co_u32 v15, vcc_lo, s1, v15
	s_delay_alu instid0(VALU_DEP_2)
	v_sub_co_ci_u32_e32 v16, vcc_lo, s0, v16, vcc_lo
	s_waitcnt lgkmcnt(0)
	global_store_b32 v[15:16], v17, off offset:-1024
.LBB877_250:
	s_and_not1_saveexec_b32 s6, s6
	s_cbranch_execz .LBB877_252
; %bb.251:
	v_lshlrev_b32_e32 v15, 2, v0
	v_readfirstlane_b32 s8, v9
	v_readfirstlane_b32 s9, v10
	ds_load_b32 v16, v15 offset:1024
	s_waitcnt lgkmcnt(0)
	global_store_b32 v15, v16, s[8:9] offset:1024
.LBB877_252:
	s_or_b32 exec_lo, exec_lo, s6
.LBB877_253:
	s_and_not1_saveexec_b32 s5, s5
	s_cbranch_execz .LBB877_255
; %bb.254:
	v_lshlrev_b32_e32 v15, 2, v0
	v_readfirstlane_b32 s6, v11
	v_readfirstlane_b32 s7, v12
	ds_load_b32 v16, v15 offset:1024
	s_waitcnt lgkmcnt(0)
	global_store_b32 v15, v16, s[6:7] offset:1024
.LBB877_255:
	s_or_b32 exec_lo, exec_lo, s3
	v_or_b32_e32 v15, 0x200, v0
	s_mov_b32 s3, exec_lo
	s_delay_alu instid0(VALU_DEP_1)
	v_cmpx_gt_u32_e64 s4, v15
	s_cbranch_execz .LBB877_264
; %bb.256:
	s_mov_b32 s5, exec_lo
	v_cmpx_le_u32_e64 v5, v15
	s_xor_b32 s5, exec_lo, s5
	s_cbranch_execz .LBB877_262
; %bb.257:
	s_mov_b32 s6, exec_lo
	v_cmpx_le_u32_e64 v14, v15
	s_xor_b32 s6, exec_lo, s6
	s_cbranch_execz .LBB877_259
; %bb.258:
	v_lshlrev_b32_e32 v15, 2, v0
	ds_load_b32 v17, v15 offset:2048
	v_add_co_u32 v15, vcc_lo, v7, v0
	v_add_co_ci_u32_e32 v16, vcc_lo, 0, v13, vcc_lo
	s_delay_alu instid0(VALU_DEP_1) | instskip(NEXT) | instid1(VALU_DEP_1)
	v_lshlrev_b64 v[15:16], 2, v[15:16]
	v_sub_co_u32 v15, vcc_lo, s1, v15
	s_delay_alu instid0(VALU_DEP_2)
	v_sub_co_ci_u32_e32 v16, vcc_lo, s0, v16, vcc_lo
	s_waitcnt lgkmcnt(0)
	global_store_b32 v[15:16], v17, off offset:-2048
.LBB877_259:
	s_and_not1_saveexec_b32 s6, s6
	s_cbranch_execz .LBB877_261
; %bb.260:
	v_lshlrev_b32_e32 v15, 2, v0
	v_readfirstlane_b32 s8, v9
	v_readfirstlane_b32 s9, v10
	ds_load_b32 v16, v15 offset:2048
	s_waitcnt lgkmcnt(0)
	global_store_b32 v15, v16, s[8:9] offset:2048
.LBB877_261:
	s_or_b32 exec_lo, exec_lo, s6
.LBB877_262:
	s_and_not1_saveexec_b32 s5, s5
	s_cbranch_execz .LBB877_264
; %bb.263:
	v_lshlrev_b32_e32 v15, 2, v0
	v_readfirstlane_b32 s6, v11
	v_readfirstlane_b32 s7, v12
	ds_load_b32 v16, v15 offset:2048
	s_waitcnt lgkmcnt(0)
	global_store_b32 v15, v16, s[6:7] offset:2048
.LBB877_264:
	;; [unrolled: 51-line block ×3, first 2 shown]
	s_or_b32 exec_lo, exec_lo, s3
	v_or_b32_e32 v15, 0x400, v0
	s_mov_b32 s3, exec_lo
	s_delay_alu instid0(VALU_DEP_1)
	v_cmpx_gt_u32_e64 s4, v15
	s_cbranch_execz .LBB877_282
; %bb.274:
	s_mov_b32 s5, exec_lo
	v_cmpx_le_u32_e64 v5, v15
	s_xor_b32 s5, exec_lo, s5
	s_cbranch_execz .LBB877_280
; %bb.275:
	s_mov_b32 s6, exec_lo
	v_cmpx_le_u32_e64 v14, v15
	s_xor_b32 s6, exec_lo, s6
	s_cbranch_execz .LBB877_277
; %bb.276:
	v_lshlrev_b32_e32 v15, 2, v0
	ds_load_b32 v17, v15 offset:4096
	v_add_co_u32 v15, vcc_lo, v7, v0
	v_add_co_ci_u32_e32 v16, vcc_lo, 0, v13, vcc_lo
	s_delay_alu instid0(VALU_DEP_1) | instskip(NEXT) | instid1(VALU_DEP_1)
	v_lshlrev_b64 v[15:16], 2, v[15:16]
	v_sub_co_u32 v15, vcc_lo, s1, v15
	s_delay_alu instid0(VALU_DEP_2)
	v_sub_co_ci_u32_e32 v16, vcc_lo, s0, v16, vcc_lo
	s_waitcnt lgkmcnt(0)
	global_store_b32 v[15:16], v17, off offset:-4096
                                        ; implicit-def: $vgpr15
.LBB877_277:
	s_and_not1_saveexec_b32 s6, s6
	s_cbranch_execz .LBB877_279
; %bb.278:
	v_lshlrev_b32_e32 v16, 2, v0
	v_lshlrev_b32_e32 v15, 2, v15
	v_readfirstlane_b32 s8, v9
	v_readfirstlane_b32 s9, v10
	ds_load_b32 v16, v16 offset:4096
	s_waitcnt lgkmcnt(0)
	global_store_b32 v15, v16, s[8:9]
.LBB877_279:
	s_or_b32 exec_lo, exec_lo, s6
                                        ; implicit-def: $vgpr15
.LBB877_280:
	s_and_not1_saveexec_b32 s5, s5
	s_cbranch_execz .LBB877_282
; %bb.281:
	v_lshlrev_b32_e32 v16, 2, v0
	v_lshlrev_b32_e32 v15, 2, v15
	v_readfirstlane_b32 s6, v11
	v_readfirstlane_b32 s7, v12
	ds_load_b32 v16, v16 offset:4096
	s_waitcnt lgkmcnt(0)
	global_store_b32 v15, v16, s[6:7]
.LBB877_282:
	s_or_b32 exec_lo, exec_lo, s3
	v_or_b32_e32 v15, 0x500, v0
	s_mov_b32 s3, exec_lo
	s_delay_alu instid0(VALU_DEP_1)
	v_cmpx_gt_u32_e64 s4, v15
	s_cbranch_execz .LBB877_291
; %bb.283:
	s_mov_b32 s5, exec_lo
	v_cmpx_le_u32_e64 v5, v15
	s_xor_b32 s5, exec_lo, s5
	s_cbranch_execz .LBB877_289
; %bb.284:
	s_mov_b32 s6, exec_lo
	v_cmpx_le_u32_e64 v14, v15
	s_xor_b32 s6, exec_lo, s6
	s_cbranch_execz .LBB877_286
; %bb.285:
	v_lshlrev_b32_e32 v16, 2, v0
	v_add_co_u32 v15, vcc_lo, v7, v15
	ds_load_b32 v17, v16 offset:5120
	v_add_co_ci_u32_e32 v16, vcc_lo, 0, v13, vcc_lo
	s_delay_alu instid0(VALU_DEP_1) | instskip(NEXT) | instid1(VALU_DEP_1)
	v_lshlrev_b64 v[15:16], 2, v[15:16]
	v_sub_co_u32 v15, vcc_lo, s1, v15
	s_delay_alu instid0(VALU_DEP_2)
	v_sub_co_ci_u32_e32 v16, vcc_lo, s0, v16, vcc_lo
	s_waitcnt lgkmcnt(0)
	global_store_b32 v[15:16], v17, off
                                        ; implicit-def: $vgpr15
.LBB877_286:
	s_and_not1_saveexec_b32 s6, s6
	s_cbranch_execz .LBB877_288
; %bb.287:
	v_lshlrev_b32_e32 v16, 2, v0
	v_lshlrev_b32_e32 v15, 2, v15
	v_readfirstlane_b32 s8, v9
	v_readfirstlane_b32 s9, v10
	ds_load_b32 v16, v16 offset:5120
	s_waitcnt lgkmcnt(0)
	global_store_b32 v15, v16, s[8:9]
.LBB877_288:
	s_or_b32 exec_lo, exec_lo, s6
                                        ; implicit-def: $vgpr15
.LBB877_289:
	s_and_not1_saveexec_b32 s5, s5
	s_cbranch_execz .LBB877_291
; %bb.290:
	v_lshlrev_b32_e32 v16, 2, v0
	v_lshlrev_b32_e32 v15, 2, v15
	v_readfirstlane_b32 s6, v11
	v_readfirstlane_b32 s7, v12
	ds_load_b32 v16, v16 offset:5120
	s_waitcnt lgkmcnt(0)
	global_store_b32 v15, v16, s[6:7]
.LBB877_291:
	s_or_b32 exec_lo, exec_lo, s3
	v_or_b32_e32 v15, 0x600, v0
	s_mov_b32 s3, exec_lo
	s_delay_alu instid0(VALU_DEP_1)
	v_cmpx_gt_u32_e64 s4, v15
	s_cbranch_execz .LBB877_300
; %bb.292:
	s_mov_b32 s5, exec_lo
	v_cmpx_le_u32_e64 v5, v15
	s_xor_b32 s5, exec_lo, s5
	s_cbranch_execz .LBB877_298
; %bb.293:
	s_mov_b32 s6, exec_lo
	v_cmpx_le_u32_e64 v14, v15
	s_xor_b32 s6, exec_lo, s6
	s_cbranch_execz .LBB877_295
; %bb.294:
	v_lshlrev_b32_e32 v16, 2, v0
	v_add_co_u32 v15, vcc_lo, v7, v15
	ds_load_b32 v17, v16 offset:6144
	v_add_co_ci_u32_e32 v16, vcc_lo, 0, v13, vcc_lo
	s_delay_alu instid0(VALU_DEP_1) | instskip(NEXT) | instid1(VALU_DEP_1)
	v_lshlrev_b64 v[15:16], 2, v[15:16]
	v_sub_co_u32 v15, vcc_lo, s1, v15
	s_delay_alu instid0(VALU_DEP_2)
	v_sub_co_ci_u32_e32 v16, vcc_lo, s0, v16, vcc_lo
	s_waitcnt lgkmcnt(0)
	global_store_b32 v[15:16], v17, off
                                        ; implicit-def: $vgpr15
.LBB877_295:
	s_and_not1_saveexec_b32 s6, s6
	s_cbranch_execz .LBB877_297
; %bb.296:
	v_lshlrev_b32_e32 v16, 2, v0
	v_lshlrev_b32_e32 v15, 2, v15
	v_readfirstlane_b32 s8, v9
	v_readfirstlane_b32 s9, v10
	ds_load_b32 v16, v16 offset:6144
	s_waitcnt lgkmcnt(0)
	global_store_b32 v15, v16, s[8:9]
.LBB877_297:
	s_or_b32 exec_lo, exec_lo, s6
                                        ; implicit-def: $vgpr15
.LBB877_298:
	s_and_not1_saveexec_b32 s5, s5
	s_cbranch_execz .LBB877_300
; %bb.299:
	v_lshlrev_b32_e32 v16, 2, v0
	v_lshlrev_b32_e32 v15, 2, v15
	v_readfirstlane_b32 s6, v11
	v_readfirstlane_b32 s7, v12
	ds_load_b32 v16, v16 offset:6144
	s_waitcnt lgkmcnt(0)
	global_store_b32 v15, v16, s[6:7]
.LBB877_300:
	;; [unrolled: 55-line block ×7, first 2 shown]
	s_or_b32 exec_lo, exec_lo, s3
	v_or_b32_e32 v15, 0xc00, v0
	s_mov_b32 s3, exec_lo
	s_delay_alu instid0(VALU_DEP_1)
	v_cmpx_gt_u32_e64 s4, v15
	s_cbranch_execz .LBB877_354
; %bb.346:
	s_mov_b32 s4, exec_lo
	v_cmpx_le_u32_e64 v5, v15
	s_xor_b32 s4, exec_lo, s4
	s_cbranch_execz .LBB877_352
; %bb.347:
	s_mov_b32 s5, exec_lo
	v_cmpx_le_u32_e64 v14, v15
	s_xor_b32 s5, exec_lo, s5
	s_cbranch_execz .LBB877_349
; %bb.348:
	v_lshlrev_b32_e32 v0, 2, v0
	v_add_co_u32 v9, vcc_lo, v7, v15
	v_add_co_ci_u32_e32 v10, vcc_lo, 0, v13, vcc_lo
	ds_load_b32 v0, v0 offset:12288
                                        ; implicit-def: $vgpr15
	v_lshlrev_b64 v[9:10], 2, v[9:10]
	s_delay_alu instid0(VALU_DEP_1) | instskip(NEXT) | instid1(VALU_DEP_2)
	v_sub_co_u32 v9, vcc_lo, s1, v9
	v_sub_co_ci_u32_e32 v10, vcc_lo, s0, v10, vcc_lo
	s_waitcnt lgkmcnt(0)
	global_store_b32 v[9:10], v0, off
                                        ; implicit-def: $vgpr0
                                        ; implicit-def: $vgpr9_vgpr10
.LBB877_349:
	s_and_not1_saveexec_b32 s0, s5
	s_cbranch_execz .LBB877_351
; %bb.350:
	v_lshlrev_b32_e32 v0, 2, v0
	v_lshlrev_b32_e32 v7, 2, v15
	v_readfirstlane_b32 s6, v9
	v_readfirstlane_b32 s7, v10
	ds_load_b32 v0, v0 offset:12288
	s_waitcnt lgkmcnt(0)
	global_store_b32 v7, v0, s[6:7]
.LBB877_351:
	s_or_b32 exec_lo, exec_lo, s0
                                        ; implicit-def: $vgpr0
                                        ; implicit-def: $vgpr15
                                        ; implicit-def: $vgpr11_vgpr12
.LBB877_352:
	s_and_not1_saveexec_b32 s0, s4
	s_cbranch_execz .LBB877_354
; %bb.353:
	v_lshlrev_b32_e32 v0, 2, v0
	v_lshlrev_b32_e32 v7, 2, v15
	v_readfirstlane_b32 s0, v11
	v_readfirstlane_b32 s1, v12
	ds_load_b32 v0, v0 offset:12288
	s_waitcnt lgkmcnt(0)
	global_store_b32 v7, v0, s[0:1]
.LBB877_354:
	s_or_b32 exec_lo, exec_lo, s3
	s_and_b32 s0, s2, s13
	s_delay_alu instid0(SALU_CYCLE_1)
	s_and_saveexec_b32 s1, s0
	s_cbranch_execz .LBB877_131
.LBB877_355:
	v_add_co_u32 v3, vcc_lo, v3, v6
	v_add_co_ci_u32_e32 v4, vcc_lo, 0, v4, vcc_lo
	v_add_co_u32 v0, vcc_lo, v1, v5
	v_add_co_ci_u32_e32 v1, vcc_lo, 0, v2, vcc_lo
	s_delay_alu instid0(VALU_DEP_4)
	v_add_co_u32 v2, vcc_lo, v3, v8
	v_mov_b32_e32 v7, 0
	v_add_co_ci_u32_e32 v3, vcc_lo, 0, v4, vcc_lo
	global_store_b128 v7, v[0:3], s[24:25]
	s_nop 0
	s_sendmsg sendmsg(MSG_DEALLOC_VGPRS)
	s_endpgm
.LBB877_356:
	v_add_nc_u32_e32 v7, s6, v27
	s_add_i32 s8, s26, 32
	s_mov_b32 s9, 0
	v_dual_mov_b32 v9, 0 :: v_dual_add_nc_u32 v6, v26, v5
	s_lshl_b64 s[8:9], s[8:9], 4
	v_and_b32_e32 v24, 0xff0000, v7
	s_add_u32 s8, s36, s8
	s_addc_u32 s9, s37, s9
	v_and_b32_e32 v8, 0xff000000, v7
	s_delay_alu instid0(VALU_DEP_1) | instskip(SKIP_2) | instid1(VALU_DEP_1)
	v_or_b32_e32 v24, v24, v8
	v_dual_mov_b32 v8, 2 :: v_dual_and_b32 v25, 0xff00, v7
	v_and_b32_e32 v7, 0xff, v7
	v_or3_b32 v7, v24, v25, v7
	v_dual_mov_b32 v25, s9 :: v_dual_mov_b32 v24, s8
	;;#ASMSTART
	global_store_dwordx4 v[24:25], v[6:9] off	
s_waitcnt vmcnt(0)
	;;#ASMEND
	s_or_b32 exec_lo, exec_lo, s7
	s_and_saveexec_b32 s7, s3
	s_cbranch_execz .LBB877_115
.LBB877_357:
	v_mov_b32_e32 v6, s6
	v_add_nc_u32_e64 v7, 0x3400, 0
	ds_store_2addr_b32 v7, v5, v6 offset1:2
	ds_store_2addr_b32 v7, v26, v27 offset0:4 offset1:6
	s_or_b32 exec_lo, exec_lo, s7
	s_delay_alu instid0(SALU_CYCLE_1)
	s_and_b32 exec_lo, exec_lo, s2
	s_cbranch_execnz .LBB877_116
	s_branch .LBB877_117
	.section	.rodata,"a",@progbits
	.p2align	6, 0x0
	.amdhsa_kernel _ZN7rocprim17ROCPRIM_400000_NS6detail17trampoline_kernelINS0_13select_configILj256ELj13ELNS0_17block_load_methodE3ELS4_3ELS4_3ELNS0_20block_scan_algorithmE0ELj4294967295EEENS1_25partition_config_selectorILNS1_17partition_subalgoE4EjNS0_10empty_typeEbEEZZNS1_14partition_implILS8_4ELb0ES6_15HIP_vector_typeIjLj2EENS0_17counting_iteratorIjlEEPS9_SG_NS0_5tupleIJPjSI_NS0_16reverse_iteratorISI_EEEEENSH_IJSG_SG_SG_EEES9_SI_JZNS1_25segmented_radix_sort_implINS0_14default_configELb1EPKsPsPKlPlN2at6native12_GLOBAL__N_18offset_tEEE10hipError_tPvRmT1_PNSt15iterator_traitsIS12_E10value_typeET2_T3_PNS13_IS18_E10value_typeET4_jRbjT5_S1E_jjP12ihipStream_tbEUljE_ZNSN_ISO_Lb1ESQ_SR_ST_SU_SY_EESZ_S10_S11_S12_S16_S17_S18_S1B_S1C_jS1D_jS1E_S1E_jjS1G_bEUljE0_EEESZ_S10_S11_S18_S1C_S1E_T6_T7_T9_mT8_S1G_bDpT10_ENKUlT_T0_E_clISt17integral_constantIbLb0EES1T_IbLb1EEEEDaS1P_S1Q_EUlS1P_E_NS1_11comp_targetILNS1_3genE9ELNS1_11target_archE1100ELNS1_3gpuE3ELNS1_3repE0EEENS1_30default_config_static_selectorELNS0_4arch9wavefront6targetE0EEEvS12_
		.amdhsa_group_segment_fixed_size 13340
		.amdhsa_private_segment_fixed_size 0
		.amdhsa_kernarg_size 184
		.amdhsa_user_sgpr_count 15
		.amdhsa_user_sgpr_dispatch_ptr 0
		.amdhsa_user_sgpr_queue_ptr 0
		.amdhsa_user_sgpr_kernarg_segment_ptr 1
		.amdhsa_user_sgpr_dispatch_id 0
		.amdhsa_user_sgpr_private_segment_size 0
		.amdhsa_wavefront_size32 1
		.amdhsa_uses_dynamic_stack 0
		.amdhsa_enable_private_segment 0
		.amdhsa_system_sgpr_workgroup_id_x 1
		.amdhsa_system_sgpr_workgroup_id_y 0
		.amdhsa_system_sgpr_workgroup_id_z 0
		.amdhsa_system_sgpr_workgroup_info 0
		.amdhsa_system_vgpr_workitem_id 0
		.amdhsa_next_free_vgpr 103
		.amdhsa_next_free_sgpr 55
		.amdhsa_reserve_vcc 1
		.amdhsa_float_round_mode_32 0
		.amdhsa_float_round_mode_16_64 0
		.amdhsa_float_denorm_mode_32 3
		.amdhsa_float_denorm_mode_16_64 3
		.amdhsa_dx10_clamp 1
		.amdhsa_ieee_mode 1
		.amdhsa_fp16_overflow 0
		.amdhsa_workgroup_processor_mode 1
		.amdhsa_memory_ordered 1
		.amdhsa_forward_progress 0
		.amdhsa_shared_vgpr_count 0
		.amdhsa_exception_fp_ieee_invalid_op 0
		.amdhsa_exception_fp_denorm_src 0
		.amdhsa_exception_fp_ieee_div_zero 0
		.amdhsa_exception_fp_ieee_overflow 0
		.amdhsa_exception_fp_ieee_underflow 0
		.amdhsa_exception_fp_ieee_inexact 0
		.amdhsa_exception_int_div_zero 0
	.end_amdhsa_kernel
	.section	.text._ZN7rocprim17ROCPRIM_400000_NS6detail17trampoline_kernelINS0_13select_configILj256ELj13ELNS0_17block_load_methodE3ELS4_3ELS4_3ELNS0_20block_scan_algorithmE0ELj4294967295EEENS1_25partition_config_selectorILNS1_17partition_subalgoE4EjNS0_10empty_typeEbEEZZNS1_14partition_implILS8_4ELb0ES6_15HIP_vector_typeIjLj2EENS0_17counting_iteratorIjlEEPS9_SG_NS0_5tupleIJPjSI_NS0_16reverse_iteratorISI_EEEEENSH_IJSG_SG_SG_EEES9_SI_JZNS1_25segmented_radix_sort_implINS0_14default_configELb1EPKsPsPKlPlN2at6native12_GLOBAL__N_18offset_tEEE10hipError_tPvRmT1_PNSt15iterator_traitsIS12_E10value_typeET2_T3_PNS13_IS18_E10value_typeET4_jRbjT5_S1E_jjP12ihipStream_tbEUljE_ZNSN_ISO_Lb1ESQ_SR_ST_SU_SY_EESZ_S10_S11_S12_S16_S17_S18_S1B_S1C_jS1D_jS1E_S1E_jjS1G_bEUljE0_EEESZ_S10_S11_S18_S1C_S1E_T6_T7_T9_mT8_S1G_bDpT10_ENKUlT_T0_E_clISt17integral_constantIbLb0EES1T_IbLb1EEEEDaS1P_S1Q_EUlS1P_E_NS1_11comp_targetILNS1_3genE9ELNS1_11target_archE1100ELNS1_3gpuE3ELNS1_3repE0EEENS1_30default_config_static_selectorELNS0_4arch9wavefront6targetE0EEEvS12_,"axG",@progbits,_ZN7rocprim17ROCPRIM_400000_NS6detail17trampoline_kernelINS0_13select_configILj256ELj13ELNS0_17block_load_methodE3ELS4_3ELS4_3ELNS0_20block_scan_algorithmE0ELj4294967295EEENS1_25partition_config_selectorILNS1_17partition_subalgoE4EjNS0_10empty_typeEbEEZZNS1_14partition_implILS8_4ELb0ES6_15HIP_vector_typeIjLj2EENS0_17counting_iteratorIjlEEPS9_SG_NS0_5tupleIJPjSI_NS0_16reverse_iteratorISI_EEEEENSH_IJSG_SG_SG_EEES9_SI_JZNS1_25segmented_radix_sort_implINS0_14default_configELb1EPKsPsPKlPlN2at6native12_GLOBAL__N_18offset_tEEE10hipError_tPvRmT1_PNSt15iterator_traitsIS12_E10value_typeET2_T3_PNS13_IS18_E10value_typeET4_jRbjT5_S1E_jjP12ihipStream_tbEUljE_ZNSN_ISO_Lb1ESQ_SR_ST_SU_SY_EESZ_S10_S11_S12_S16_S17_S18_S1B_S1C_jS1D_jS1E_S1E_jjS1G_bEUljE0_EEESZ_S10_S11_S18_S1C_S1E_T6_T7_T9_mT8_S1G_bDpT10_ENKUlT_T0_E_clISt17integral_constantIbLb0EES1T_IbLb1EEEEDaS1P_S1Q_EUlS1P_E_NS1_11comp_targetILNS1_3genE9ELNS1_11target_archE1100ELNS1_3gpuE3ELNS1_3repE0EEENS1_30default_config_static_selectorELNS0_4arch9wavefront6targetE0EEEvS12_,comdat
.Lfunc_end877:
	.size	_ZN7rocprim17ROCPRIM_400000_NS6detail17trampoline_kernelINS0_13select_configILj256ELj13ELNS0_17block_load_methodE3ELS4_3ELS4_3ELNS0_20block_scan_algorithmE0ELj4294967295EEENS1_25partition_config_selectorILNS1_17partition_subalgoE4EjNS0_10empty_typeEbEEZZNS1_14partition_implILS8_4ELb0ES6_15HIP_vector_typeIjLj2EENS0_17counting_iteratorIjlEEPS9_SG_NS0_5tupleIJPjSI_NS0_16reverse_iteratorISI_EEEEENSH_IJSG_SG_SG_EEES9_SI_JZNS1_25segmented_radix_sort_implINS0_14default_configELb1EPKsPsPKlPlN2at6native12_GLOBAL__N_18offset_tEEE10hipError_tPvRmT1_PNSt15iterator_traitsIS12_E10value_typeET2_T3_PNS13_IS18_E10value_typeET4_jRbjT5_S1E_jjP12ihipStream_tbEUljE_ZNSN_ISO_Lb1ESQ_SR_ST_SU_SY_EESZ_S10_S11_S12_S16_S17_S18_S1B_S1C_jS1D_jS1E_S1E_jjS1G_bEUljE0_EEESZ_S10_S11_S18_S1C_S1E_T6_T7_T9_mT8_S1G_bDpT10_ENKUlT_T0_E_clISt17integral_constantIbLb0EES1T_IbLb1EEEEDaS1P_S1Q_EUlS1P_E_NS1_11comp_targetILNS1_3genE9ELNS1_11target_archE1100ELNS1_3gpuE3ELNS1_3repE0EEENS1_30default_config_static_selectorELNS0_4arch9wavefront6targetE0EEEvS12_, .Lfunc_end877-_ZN7rocprim17ROCPRIM_400000_NS6detail17trampoline_kernelINS0_13select_configILj256ELj13ELNS0_17block_load_methodE3ELS4_3ELS4_3ELNS0_20block_scan_algorithmE0ELj4294967295EEENS1_25partition_config_selectorILNS1_17partition_subalgoE4EjNS0_10empty_typeEbEEZZNS1_14partition_implILS8_4ELb0ES6_15HIP_vector_typeIjLj2EENS0_17counting_iteratorIjlEEPS9_SG_NS0_5tupleIJPjSI_NS0_16reverse_iteratorISI_EEEEENSH_IJSG_SG_SG_EEES9_SI_JZNS1_25segmented_radix_sort_implINS0_14default_configELb1EPKsPsPKlPlN2at6native12_GLOBAL__N_18offset_tEEE10hipError_tPvRmT1_PNSt15iterator_traitsIS12_E10value_typeET2_T3_PNS13_IS18_E10value_typeET4_jRbjT5_S1E_jjP12ihipStream_tbEUljE_ZNSN_ISO_Lb1ESQ_SR_ST_SU_SY_EESZ_S10_S11_S12_S16_S17_S18_S1B_S1C_jS1D_jS1E_S1E_jjS1G_bEUljE0_EEESZ_S10_S11_S18_S1C_S1E_T6_T7_T9_mT8_S1G_bDpT10_ENKUlT_T0_E_clISt17integral_constantIbLb0EES1T_IbLb1EEEEDaS1P_S1Q_EUlS1P_E_NS1_11comp_targetILNS1_3genE9ELNS1_11target_archE1100ELNS1_3gpuE3ELNS1_3repE0EEENS1_30default_config_static_selectorELNS0_4arch9wavefront6targetE0EEEvS12_
                                        ; -- End function
	.section	.AMDGPU.csdata,"",@progbits
; Kernel info:
; codeLenInByte = 15060
; NumSgprs: 57
; NumVgprs: 103
; ScratchSize: 0
; MemoryBound: 0
; FloatMode: 240
; IeeeMode: 1
; LDSByteSize: 13340 bytes/workgroup (compile time only)
; SGPRBlocks: 7
; VGPRBlocks: 12
; NumSGPRsForWavesPerEU: 57
; NumVGPRsForWavesPerEU: 103
; Occupancy: 12
; WaveLimiterHint : 1
; COMPUTE_PGM_RSRC2:SCRATCH_EN: 0
; COMPUTE_PGM_RSRC2:USER_SGPR: 15
; COMPUTE_PGM_RSRC2:TRAP_HANDLER: 0
; COMPUTE_PGM_RSRC2:TGID_X_EN: 1
; COMPUTE_PGM_RSRC2:TGID_Y_EN: 0
; COMPUTE_PGM_RSRC2:TGID_Z_EN: 0
; COMPUTE_PGM_RSRC2:TIDIG_COMP_CNT: 0
	.section	.text._ZN7rocprim17ROCPRIM_400000_NS6detail17trampoline_kernelINS0_13select_configILj256ELj13ELNS0_17block_load_methodE3ELS4_3ELS4_3ELNS0_20block_scan_algorithmE0ELj4294967295EEENS1_25partition_config_selectorILNS1_17partition_subalgoE4EjNS0_10empty_typeEbEEZZNS1_14partition_implILS8_4ELb0ES6_15HIP_vector_typeIjLj2EENS0_17counting_iteratorIjlEEPS9_SG_NS0_5tupleIJPjSI_NS0_16reverse_iteratorISI_EEEEENSH_IJSG_SG_SG_EEES9_SI_JZNS1_25segmented_radix_sort_implINS0_14default_configELb1EPKsPsPKlPlN2at6native12_GLOBAL__N_18offset_tEEE10hipError_tPvRmT1_PNSt15iterator_traitsIS12_E10value_typeET2_T3_PNS13_IS18_E10value_typeET4_jRbjT5_S1E_jjP12ihipStream_tbEUljE_ZNSN_ISO_Lb1ESQ_SR_ST_SU_SY_EESZ_S10_S11_S12_S16_S17_S18_S1B_S1C_jS1D_jS1E_S1E_jjS1G_bEUljE0_EEESZ_S10_S11_S18_S1C_S1E_T6_T7_T9_mT8_S1G_bDpT10_ENKUlT_T0_E_clISt17integral_constantIbLb0EES1T_IbLb1EEEEDaS1P_S1Q_EUlS1P_E_NS1_11comp_targetILNS1_3genE8ELNS1_11target_archE1030ELNS1_3gpuE2ELNS1_3repE0EEENS1_30default_config_static_selectorELNS0_4arch9wavefront6targetE0EEEvS12_,"axG",@progbits,_ZN7rocprim17ROCPRIM_400000_NS6detail17trampoline_kernelINS0_13select_configILj256ELj13ELNS0_17block_load_methodE3ELS4_3ELS4_3ELNS0_20block_scan_algorithmE0ELj4294967295EEENS1_25partition_config_selectorILNS1_17partition_subalgoE4EjNS0_10empty_typeEbEEZZNS1_14partition_implILS8_4ELb0ES6_15HIP_vector_typeIjLj2EENS0_17counting_iteratorIjlEEPS9_SG_NS0_5tupleIJPjSI_NS0_16reverse_iteratorISI_EEEEENSH_IJSG_SG_SG_EEES9_SI_JZNS1_25segmented_radix_sort_implINS0_14default_configELb1EPKsPsPKlPlN2at6native12_GLOBAL__N_18offset_tEEE10hipError_tPvRmT1_PNSt15iterator_traitsIS12_E10value_typeET2_T3_PNS13_IS18_E10value_typeET4_jRbjT5_S1E_jjP12ihipStream_tbEUljE_ZNSN_ISO_Lb1ESQ_SR_ST_SU_SY_EESZ_S10_S11_S12_S16_S17_S18_S1B_S1C_jS1D_jS1E_S1E_jjS1G_bEUljE0_EEESZ_S10_S11_S18_S1C_S1E_T6_T7_T9_mT8_S1G_bDpT10_ENKUlT_T0_E_clISt17integral_constantIbLb0EES1T_IbLb1EEEEDaS1P_S1Q_EUlS1P_E_NS1_11comp_targetILNS1_3genE8ELNS1_11target_archE1030ELNS1_3gpuE2ELNS1_3repE0EEENS1_30default_config_static_selectorELNS0_4arch9wavefront6targetE0EEEvS12_,comdat
	.globl	_ZN7rocprim17ROCPRIM_400000_NS6detail17trampoline_kernelINS0_13select_configILj256ELj13ELNS0_17block_load_methodE3ELS4_3ELS4_3ELNS0_20block_scan_algorithmE0ELj4294967295EEENS1_25partition_config_selectorILNS1_17partition_subalgoE4EjNS0_10empty_typeEbEEZZNS1_14partition_implILS8_4ELb0ES6_15HIP_vector_typeIjLj2EENS0_17counting_iteratorIjlEEPS9_SG_NS0_5tupleIJPjSI_NS0_16reverse_iteratorISI_EEEEENSH_IJSG_SG_SG_EEES9_SI_JZNS1_25segmented_radix_sort_implINS0_14default_configELb1EPKsPsPKlPlN2at6native12_GLOBAL__N_18offset_tEEE10hipError_tPvRmT1_PNSt15iterator_traitsIS12_E10value_typeET2_T3_PNS13_IS18_E10value_typeET4_jRbjT5_S1E_jjP12ihipStream_tbEUljE_ZNSN_ISO_Lb1ESQ_SR_ST_SU_SY_EESZ_S10_S11_S12_S16_S17_S18_S1B_S1C_jS1D_jS1E_S1E_jjS1G_bEUljE0_EEESZ_S10_S11_S18_S1C_S1E_T6_T7_T9_mT8_S1G_bDpT10_ENKUlT_T0_E_clISt17integral_constantIbLb0EES1T_IbLb1EEEEDaS1P_S1Q_EUlS1P_E_NS1_11comp_targetILNS1_3genE8ELNS1_11target_archE1030ELNS1_3gpuE2ELNS1_3repE0EEENS1_30default_config_static_selectorELNS0_4arch9wavefront6targetE0EEEvS12_ ; -- Begin function _ZN7rocprim17ROCPRIM_400000_NS6detail17trampoline_kernelINS0_13select_configILj256ELj13ELNS0_17block_load_methodE3ELS4_3ELS4_3ELNS0_20block_scan_algorithmE0ELj4294967295EEENS1_25partition_config_selectorILNS1_17partition_subalgoE4EjNS0_10empty_typeEbEEZZNS1_14partition_implILS8_4ELb0ES6_15HIP_vector_typeIjLj2EENS0_17counting_iteratorIjlEEPS9_SG_NS0_5tupleIJPjSI_NS0_16reverse_iteratorISI_EEEEENSH_IJSG_SG_SG_EEES9_SI_JZNS1_25segmented_radix_sort_implINS0_14default_configELb1EPKsPsPKlPlN2at6native12_GLOBAL__N_18offset_tEEE10hipError_tPvRmT1_PNSt15iterator_traitsIS12_E10value_typeET2_T3_PNS13_IS18_E10value_typeET4_jRbjT5_S1E_jjP12ihipStream_tbEUljE_ZNSN_ISO_Lb1ESQ_SR_ST_SU_SY_EESZ_S10_S11_S12_S16_S17_S18_S1B_S1C_jS1D_jS1E_S1E_jjS1G_bEUljE0_EEESZ_S10_S11_S18_S1C_S1E_T6_T7_T9_mT8_S1G_bDpT10_ENKUlT_T0_E_clISt17integral_constantIbLb0EES1T_IbLb1EEEEDaS1P_S1Q_EUlS1P_E_NS1_11comp_targetILNS1_3genE8ELNS1_11target_archE1030ELNS1_3gpuE2ELNS1_3repE0EEENS1_30default_config_static_selectorELNS0_4arch9wavefront6targetE0EEEvS12_
	.p2align	8
	.type	_ZN7rocprim17ROCPRIM_400000_NS6detail17trampoline_kernelINS0_13select_configILj256ELj13ELNS0_17block_load_methodE3ELS4_3ELS4_3ELNS0_20block_scan_algorithmE0ELj4294967295EEENS1_25partition_config_selectorILNS1_17partition_subalgoE4EjNS0_10empty_typeEbEEZZNS1_14partition_implILS8_4ELb0ES6_15HIP_vector_typeIjLj2EENS0_17counting_iteratorIjlEEPS9_SG_NS0_5tupleIJPjSI_NS0_16reverse_iteratorISI_EEEEENSH_IJSG_SG_SG_EEES9_SI_JZNS1_25segmented_radix_sort_implINS0_14default_configELb1EPKsPsPKlPlN2at6native12_GLOBAL__N_18offset_tEEE10hipError_tPvRmT1_PNSt15iterator_traitsIS12_E10value_typeET2_T3_PNS13_IS18_E10value_typeET4_jRbjT5_S1E_jjP12ihipStream_tbEUljE_ZNSN_ISO_Lb1ESQ_SR_ST_SU_SY_EESZ_S10_S11_S12_S16_S17_S18_S1B_S1C_jS1D_jS1E_S1E_jjS1G_bEUljE0_EEESZ_S10_S11_S18_S1C_S1E_T6_T7_T9_mT8_S1G_bDpT10_ENKUlT_T0_E_clISt17integral_constantIbLb0EES1T_IbLb1EEEEDaS1P_S1Q_EUlS1P_E_NS1_11comp_targetILNS1_3genE8ELNS1_11target_archE1030ELNS1_3gpuE2ELNS1_3repE0EEENS1_30default_config_static_selectorELNS0_4arch9wavefront6targetE0EEEvS12_,@function
_ZN7rocprim17ROCPRIM_400000_NS6detail17trampoline_kernelINS0_13select_configILj256ELj13ELNS0_17block_load_methodE3ELS4_3ELS4_3ELNS0_20block_scan_algorithmE0ELj4294967295EEENS1_25partition_config_selectorILNS1_17partition_subalgoE4EjNS0_10empty_typeEbEEZZNS1_14partition_implILS8_4ELb0ES6_15HIP_vector_typeIjLj2EENS0_17counting_iteratorIjlEEPS9_SG_NS0_5tupleIJPjSI_NS0_16reverse_iteratorISI_EEEEENSH_IJSG_SG_SG_EEES9_SI_JZNS1_25segmented_radix_sort_implINS0_14default_configELb1EPKsPsPKlPlN2at6native12_GLOBAL__N_18offset_tEEE10hipError_tPvRmT1_PNSt15iterator_traitsIS12_E10value_typeET2_T3_PNS13_IS18_E10value_typeET4_jRbjT5_S1E_jjP12ihipStream_tbEUljE_ZNSN_ISO_Lb1ESQ_SR_ST_SU_SY_EESZ_S10_S11_S12_S16_S17_S18_S1B_S1C_jS1D_jS1E_S1E_jjS1G_bEUljE0_EEESZ_S10_S11_S18_S1C_S1E_T6_T7_T9_mT8_S1G_bDpT10_ENKUlT_T0_E_clISt17integral_constantIbLb0EES1T_IbLb1EEEEDaS1P_S1Q_EUlS1P_E_NS1_11comp_targetILNS1_3genE8ELNS1_11target_archE1030ELNS1_3gpuE2ELNS1_3repE0EEENS1_30default_config_static_selectorELNS0_4arch9wavefront6targetE0EEEvS12_: ; @_ZN7rocprim17ROCPRIM_400000_NS6detail17trampoline_kernelINS0_13select_configILj256ELj13ELNS0_17block_load_methodE3ELS4_3ELS4_3ELNS0_20block_scan_algorithmE0ELj4294967295EEENS1_25partition_config_selectorILNS1_17partition_subalgoE4EjNS0_10empty_typeEbEEZZNS1_14partition_implILS8_4ELb0ES6_15HIP_vector_typeIjLj2EENS0_17counting_iteratorIjlEEPS9_SG_NS0_5tupleIJPjSI_NS0_16reverse_iteratorISI_EEEEENSH_IJSG_SG_SG_EEES9_SI_JZNS1_25segmented_radix_sort_implINS0_14default_configELb1EPKsPsPKlPlN2at6native12_GLOBAL__N_18offset_tEEE10hipError_tPvRmT1_PNSt15iterator_traitsIS12_E10value_typeET2_T3_PNS13_IS18_E10value_typeET4_jRbjT5_S1E_jjP12ihipStream_tbEUljE_ZNSN_ISO_Lb1ESQ_SR_ST_SU_SY_EESZ_S10_S11_S12_S16_S17_S18_S1B_S1C_jS1D_jS1E_S1E_jjS1G_bEUljE0_EEESZ_S10_S11_S18_S1C_S1E_T6_T7_T9_mT8_S1G_bDpT10_ENKUlT_T0_E_clISt17integral_constantIbLb0EES1T_IbLb1EEEEDaS1P_S1Q_EUlS1P_E_NS1_11comp_targetILNS1_3genE8ELNS1_11target_archE1030ELNS1_3gpuE2ELNS1_3repE0EEENS1_30default_config_static_selectorELNS0_4arch9wavefront6targetE0EEEvS12_
; %bb.0:
	.section	.rodata,"a",@progbits
	.p2align	6, 0x0
	.amdhsa_kernel _ZN7rocprim17ROCPRIM_400000_NS6detail17trampoline_kernelINS0_13select_configILj256ELj13ELNS0_17block_load_methodE3ELS4_3ELS4_3ELNS0_20block_scan_algorithmE0ELj4294967295EEENS1_25partition_config_selectorILNS1_17partition_subalgoE4EjNS0_10empty_typeEbEEZZNS1_14partition_implILS8_4ELb0ES6_15HIP_vector_typeIjLj2EENS0_17counting_iteratorIjlEEPS9_SG_NS0_5tupleIJPjSI_NS0_16reverse_iteratorISI_EEEEENSH_IJSG_SG_SG_EEES9_SI_JZNS1_25segmented_radix_sort_implINS0_14default_configELb1EPKsPsPKlPlN2at6native12_GLOBAL__N_18offset_tEEE10hipError_tPvRmT1_PNSt15iterator_traitsIS12_E10value_typeET2_T3_PNS13_IS18_E10value_typeET4_jRbjT5_S1E_jjP12ihipStream_tbEUljE_ZNSN_ISO_Lb1ESQ_SR_ST_SU_SY_EESZ_S10_S11_S12_S16_S17_S18_S1B_S1C_jS1D_jS1E_S1E_jjS1G_bEUljE0_EEESZ_S10_S11_S18_S1C_S1E_T6_T7_T9_mT8_S1G_bDpT10_ENKUlT_T0_E_clISt17integral_constantIbLb0EES1T_IbLb1EEEEDaS1P_S1Q_EUlS1P_E_NS1_11comp_targetILNS1_3genE8ELNS1_11target_archE1030ELNS1_3gpuE2ELNS1_3repE0EEENS1_30default_config_static_selectorELNS0_4arch9wavefront6targetE0EEEvS12_
		.amdhsa_group_segment_fixed_size 0
		.amdhsa_private_segment_fixed_size 0
		.amdhsa_kernarg_size 184
		.amdhsa_user_sgpr_count 15
		.amdhsa_user_sgpr_dispatch_ptr 0
		.amdhsa_user_sgpr_queue_ptr 0
		.amdhsa_user_sgpr_kernarg_segment_ptr 1
		.amdhsa_user_sgpr_dispatch_id 0
		.amdhsa_user_sgpr_private_segment_size 0
		.amdhsa_wavefront_size32 1
		.amdhsa_uses_dynamic_stack 0
		.amdhsa_enable_private_segment 0
		.amdhsa_system_sgpr_workgroup_id_x 1
		.amdhsa_system_sgpr_workgroup_id_y 0
		.amdhsa_system_sgpr_workgroup_id_z 0
		.amdhsa_system_sgpr_workgroup_info 0
		.amdhsa_system_vgpr_workitem_id 0
		.amdhsa_next_free_vgpr 1
		.amdhsa_next_free_sgpr 1
		.amdhsa_reserve_vcc 0
		.amdhsa_float_round_mode_32 0
		.amdhsa_float_round_mode_16_64 0
		.amdhsa_float_denorm_mode_32 3
		.amdhsa_float_denorm_mode_16_64 3
		.amdhsa_dx10_clamp 1
		.amdhsa_ieee_mode 1
		.amdhsa_fp16_overflow 0
		.amdhsa_workgroup_processor_mode 1
		.amdhsa_memory_ordered 1
		.amdhsa_forward_progress 0
		.amdhsa_shared_vgpr_count 0
		.amdhsa_exception_fp_ieee_invalid_op 0
		.amdhsa_exception_fp_denorm_src 0
		.amdhsa_exception_fp_ieee_div_zero 0
		.amdhsa_exception_fp_ieee_overflow 0
		.amdhsa_exception_fp_ieee_underflow 0
		.amdhsa_exception_fp_ieee_inexact 0
		.amdhsa_exception_int_div_zero 0
	.end_amdhsa_kernel
	.section	.text._ZN7rocprim17ROCPRIM_400000_NS6detail17trampoline_kernelINS0_13select_configILj256ELj13ELNS0_17block_load_methodE3ELS4_3ELS4_3ELNS0_20block_scan_algorithmE0ELj4294967295EEENS1_25partition_config_selectorILNS1_17partition_subalgoE4EjNS0_10empty_typeEbEEZZNS1_14partition_implILS8_4ELb0ES6_15HIP_vector_typeIjLj2EENS0_17counting_iteratorIjlEEPS9_SG_NS0_5tupleIJPjSI_NS0_16reverse_iteratorISI_EEEEENSH_IJSG_SG_SG_EEES9_SI_JZNS1_25segmented_radix_sort_implINS0_14default_configELb1EPKsPsPKlPlN2at6native12_GLOBAL__N_18offset_tEEE10hipError_tPvRmT1_PNSt15iterator_traitsIS12_E10value_typeET2_T3_PNS13_IS18_E10value_typeET4_jRbjT5_S1E_jjP12ihipStream_tbEUljE_ZNSN_ISO_Lb1ESQ_SR_ST_SU_SY_EESZ_S10_S11_S12_S16_S17_S18_S1B_S1C_jS1D_jS1E_S1E_jjS1G_bEUljE0_EEESZ_S10_S11_S18_S1C_S1E_T6_T7_T9_mT8_S1G_bDpT10_ENKUlT_T0_E_clISt17integral_constantIbLb0EES1T_IbLb1EEEEDaS1P_S1Q_EUlS1P_E_NS1_11comp_targetILNS1_3genE8ELNS1_11target_archE1030ELNS1_3gpuE2ELNS1_3repE0EEENS1_30default_config_static_selectorELNS0_4arch9wavefront6targetE0EEEvS12_,"axG",@progbits,_ZN7rocprim17ROCPRIM_400000_NS6detail17trampoline_kernelINS0_13select_configILj256ELj13ELNS0_17block_load_methodE3ELS4_3ELS4_3ELNS0_20block_scan_algorithmE0ELj4294967295EEENS1_25partition_config_selectorILNS1_17partition_subalgoE4EjNS0_10empty_typeEbEEZZNS1_14partition_implILS8_4ELb0ES6_15HIP_vector_typeIjLj2EENS0_17counting_iteratorIjlEEPS9_SG_NS0_5tupleIJPjSI_NS0_16reverse_iteratorISI_EEEEENSH_IJSG_SG_SG_EEES9_SI_JZNS1_25segmented_radix_sort_implINS0_14default_configELb1EPKsPsPKlPlN2at6native12_GLOBAL__N_18offset_tEEE10hipError_tPvRmT1_PNSt15iterator_traitsIS12_E10value_typeET2_T3_PNS13_IS18_E10value_typeET4_jRbjT5_S1E_jjP12ihipStream_tbEUljE_ZNSN_ISO_Lb1ESQ_SR_ST_SU_SY_EESZ_S10_S11_S12_S16_S17_S18_S1B_S1C_jS1D_jS1E_S1E_jjS1G_bEUljE0_EEESZ_S10_S11_S18_S1C_S1E_T6_T7_T9_mT8_S1G_bDpT10_ENKUlT_T0_E_clISt17integral_constantIbLb0EES1T_IbLb1EEEEDaS1P_S1Q_EUlS1P_E_NS1_11comp_targetILNS1_3genE8ELNS1_11target_archE1030ELNS1_3gpuE2ELNS1_3repE0EEENS1_30default_config_static_selectorELNS0_4arch9wavefront6targetE0EEEvS12_,comdat
.Lfunc_end878:
	.size	_ZN7rocprim17ROCPRIM_400000_NS6detail17trampoline_kernelINS0_13select_configILj256ELj13ELNS0_17block_load_methodE3ELS4_3ELS4_3ELNS0_20block_scan_algorithmE0ELj4294967295EEENS1_25partition_config_selectorILNS1_17partition_subalgoE4EjNS0_10empty_typeEbEEZZNS1_14partition_implILS8_4ELb0ES6_15HIP_vector_typeIjLj2EENS0_17counting_iteratorIjlEEPS9_SG_NS0_5tupleIJPjSI_NS0_16reverse_iteratorISI_EEEEENSH_IJSG_SG_SG_EEES9_SI_JZNS1_25segmented_radix_sort_implINS0_14default_configELb1EPKsPsPKlPlN2at6native12_GLOBAL__N_18offset_tEEE10hipError_tPvRmT1_PNSt15iterator_traitsIS12_E10value_typeET2_T3_PNS13_IS18_E10value_typeET4_jRbjT5_S1E_jjP12ihipStream_tbEUljE_ZNSN_ISO_Lb1ESQ_SR_ST_SU_SY_EESZ_S10_S11_S12_S16_S17_S18_S1B_S1C_jS1D_jS1E_S1E_jjS1G_bEUljE0_EEESZ_S10_S11_S18_S1C_S1E_T6_T7_T9_mT8_S1G_bDpT10_ENKUlT_T0_E_clISt17integral_constantIbLb0EES1T_IbLb1EEEEDaS1P_S1Q_EUlS1P_E_NS1_11comp_targetILNS1_3genE8ELNS1_11target_archE1030ELNS1_3gpuE2ELNS1_3repE0EEENS1_30default_config_static_selectorELNS0_4arch9wavefront6targetE0EEEvS12_, .Lfunc_end878-_ZN7rocprim17ROCPRIM_400000_NS6detail17trampoline_kernelINS0_13select_configILj256ELj13ELNS0_17block_load_methodE3ELS4_3ELS4_3ELNS0_20block_scan_algorithmE0ELj4294967295EEENS1_25partition_config_selectorILNS1_17partition_subalgoE4EjNS0_10empty_typeEbEEZZNS1_14partition_implILS8_4ELb0ES6_15HIP_vector_typeIjLj2EENS0_17counting_iteratorIjlEEPS9_SG_NS0_5tupleIJPjSI_NS0_16reverse_iteratorISI_EEEEENSH_IJSG_SG_SG_EEES9_SI_JZNS1_25segmented_radix_sort_implINS0_14default_configELb1EPKsPsPKlPlN2at6native12_GLOBAL__N_18offset_tEEE10hipError_tPvRmT1_PNSt15iterator_traitsIS12_E10value_typeET2_T3_PNS13_IS18_E10value_typeET4_jRbjT5_S1E_jjP12ihipStream_tbEUljE_ZNSN_ISO_Lb1ESQ_SR_ST_SU_SY_EESZ_S10_S11_S12_S16_S17_S18_S1B_S1C_jS1D_jS1E_S1E_jjS1G_bEUljE0_EEESZ_S10_S11_S18_S1C_S1E_T6_T7_T9_mT8_S1G_bDpT10_ENKUlT_T0_E_clISt17integral_constantIbLb0EES1T_IbLb1EEEEDaS1P_S1Q_EUlS1P_E_NS1_11comp_targetILNS1_3genE8ELNS1_11target_archE1030ELNS1_3gpuE2ELNS1_3repE0EEENS1_30default_config_static_selectorELNS0_4arch9wavefront6targetE0EEEvS12_
                                        ; -- End function
	.section	.AMDGPU.csdata,"",@progbits
; Kernel info:
; codeLenInByte = 0
; NumSgprs: 0
; NumVgprs: 0
; ScratchSize: 0
; MemoryBound: 0
; FloatMode: 240
; IeeeMode: 1
; LDSByteSize: 0 bytes/workgroup (compile time only)
; SGPRBlocks: 0
; VGPRBlocks: 0
; NumSGPRsForWavesPerEU: 1
; NumVGPRsForWavesPerEU: 1
; Occupancy: 16
; WaveLimiterHint : 0
; COMPUTE_PGM_RSRC2:SCRATCH_EN: 0
; COMPUTE_PGM_RSRC2:USER_SGPR: 15
; COMPUTE_PGM_RSRC2:TRAP_HANDLER: 0
; COMPUTE_PGM_RSRC2:TGID_X_EN: 1
; COMPUTE_PGM_RSRC2:TGID_Y_EN: 0
; COMPUTE_PGM_RSRC2:TGID_Z_EN: 0
; COMPUTE_PGM_RSRC2:TIDIG_COMP_CNT: 0
	.section	.text._ZN7rocprim17ROCPRIM_400000_NS6detail17trampoline_kernelINS0_13select_configILj256ELj13ELNS0_17block_load_methodE3ELS4_3ELS4_3ELNS0_20block_scan_algorithmE0ELj4294967295EEENS1_25partition_config_selectorILNS1_17partition_subalgoE3EjNS0_10empty_typeEbEEZZNS1_14partition_implILS8_3ELb0ES6_jNS0_17counting_iteratorIjlEEPS9_SE_NS0_5tupleIJPjSE_EEENSF_IJSE_SE_EEES9_SG_JZNS1_25segmented_radix_sort_implINS0_14default_configELb1EPKsPsPKlPlN2at6native12_GLOBAL__N_18offset_tEEE10hipError_tPvRmT1_PNSt15iterator_traitsISY_E10value_typeET2_T3_PNSZ_IS14_E10value_typeET4_jRbjT5_S1A_jjP12ihipStream_tbEUljE_EEESV_SW_SX_S14_S18_S1A_T6_T7_T9_mT8_S1C_bDpT10_ENKUlT_T0_E_clISt17integral_constantIbLb0EES1P_EEDaS1K_S1L_EUlS1K_E_NS1_11comp_targetILNS1_3genE0ELNS1_11target_archE4294967295ELNS1_3gpuE0ELNS1_3repE0EEENS1_30default_config_static_selectorELNS0_4arch9wavefront6targetE0EEEvSY_,"axG",@progbits,_ZN7rocprim17ROCPRIM_400000_NS6detail17trampoline_kernelINS0_13select_configILj256ELj13ELNS0_17block_load_methodE3ELS4_3ELS4_3ELNS0_20block_scan_algorithmE0ELj4294967295EEENS1_25partition_config_selectorILNS1_17partition_subalgoE3EjNS0_10empty_typeEbEEZZNS1_14partition_implILS8_3ELb0ES6_jNS0_17counting_iteratorIjlEEPS9_SE_NS0_5tupleIJPjSE_EEENSF_IJSE_SE_EEES9_SG_JZNS1_25segmented_radix_sort_implINS0_14default_configELb1EPKsPsPKlPlN2at6native12_GLOBAL__N_18offset_tEEE10hipError_tPvRmT1_PNSt15iterator_traitsISY_E10value_typeET2_T3_PNSZ_IS14_E10value_typeET4_jRbjT5_S1A_jjP12ihipStream_tbEUljE_EEESV_SW_SX_S14_S18_S1A_T6_T7_T9_mT8_S1C_bDpT10_ENKUlT_T0_E_clISt17integral_constantIbLb0EES1P_EEDaS1K_S1L_EUlS1K_E_NS1_11comp_targetILNS1_3genE0ELNS1_11target_archE4294967295ELNS1_3gpuE0ELNS1_3repE0EEENS1_30default_config_static_selectorELNS0_4arch9wavefront6targetE0EEEvSY_,comdat
	.globl	_ZN7rocprim17ROCPRIM_400000_NS6detail17trampoline_kernelINS0_13select_configILj256ELj13ELNS0_17block_load_methodE3ELS4_3ELS4_3ELNS0_20block_scan_algorithmE0ELj4294967295EEENS1_25partition_config_selectorILNS1_17partition_subalgoE3EjNS0_10empty_typeEbEEZZNS1_14partition_implILS8_3ELb0ES6_jNS0_17counting_iteratorIjlEEPS9_SE_NS0_5tupleIJPjSE_EEENSF_IJSE_SE_EEES9_SG_JZNS1_25segmented_radix_sort_implINS0_14default_configELb1EPKsPsPKlPlN2at6native12_GLOBAL__N_18offset_tEEE10hipError_tPvRmT1_PNSt15iterator_traitsISY_E10value_typeET2_T3_PNSZ_IS14_E10value_typeET4_jRbjT5_S1A_jjP12ihipStream_tbEUljE_EEESV_SW_SX_S14_S18_S1A_T6_T7_T9_mT8_S1C_bDpT10_ENKUlT_T0_E_clISt17integral_constantIbLb0EES1P_EEDaS1K_S1L_EUlS1K_E_NS1_11comp_targetILNS1_3genE0ELNS1_11target_archE4294967295ELNS1_3gpuE0ELNS1_3repE0EEENS1_30default_config_static_selectorELNS0_4arch9wavefront6targetE0EEEvSY_ ; -- Begin function _ZN7rocprim17ROCPRIM_400000_NS6detail17trampoline_kernelINS0_13select_configILj256ELj13ELNS0_17block_load_methodE3ELS4_3ELS4_3ELNS0_20block_scan_algorithmE0ELj4294967295EEENS1_25partition_config_selectorILNS1_17partition_subalgoE3EjNS0_10empty_typeEbEEZZNS1_14partition_implILS8_3ELb0ES6_jNS0_17counting_iteratorIjlEEPS9_SE_NS0_5tupleIJPjSE_EEENSF_IJSE_SE_EEES9_SG_JZNS1_25segmented_radix_sort_implINS0_14default_configELb1EPKsPsPKlPlN2at6native12_GLOBAL__N_18offset_tEEE10hipError_tPvRmT1_PNSt15iterator_traitsISY_E10value_typeET2_T3_PNSZ_IS14_E10value_typeET4_jRbjT5_S1A_jjP12ihipStream_tbEUljE_EEESV_SW_SX_S14_S18_S1A_T6_T7_T9_mT8_S1C_bDpT10_ENKUlT_T0_E_clISt17integral_constantIbLb0EES1P_EEDaS1K_S1L_EUlS1K_E_NS1_11comp_targetILNS1_3genE0ELNS1_11target_archE4294967295ELNS1_3gpuE0ELNS1_3repE0EEENS1_30default_config_static_selectorELNS0_4arch9wavefront6targetE0EEEvSY_
	.p2align	8
	.type	_ZN7rocprim17ROCPRIM_400000_NS6detail17trampoline_kernelINS0_13select_configILj256ELj13ELNS0_17block_load_methodE3ELS4_3ELS4_3ELNS0_20block_scan_algorithmE0ELj4294967295EEENS1_25partition_config_selectorILNS1_17partition_subalgoE3EjNS0_10empty_typeEbEEZZNS1_14partition_implILS8_3ELb0ES6_jNS0_17counting_iteratorIjlEEPS9_SE_NS0_5tupleIJPjSE_EEENSF_IJSE_SE_EEES9_SG_JZNS1_25segmented_radix_sort_implINS0_14default_configELb1EPKsPsPKlPlN2at6native12_GLOBAL__N_18offset_tEEE10hipError_tPvRmT1_PNSt15iterator_traitsISY_E10value_typeET2_T3_PNSZ_IS14_E10value_typeET4_jRbjT5_S1A_jjP12ihipStream_tbEUljE_EEESV_SW_SX_S14_S18_S1A_T6_T7_T9_mT8_S1C_bDpT10_ENKUlT_T0_E_clISt17integral_constantIbLb0EES1P_EEDaS1K_S1L_EUlS1K_E_NS1_11comp_targetILNS1_3genE0ELNS1_11target_archE4294967295ELNS1_3gpuE0ELNS1_3repE0EEENS1_30default_config_static_selectorELNS0_4arch9wavefront6targetE0EEEvSY_,@function
_ZN7rocprim17ROCPRIM_400000_NS6detail17trampoline_kernelINS0_13select_configILj256ELj13ELNS0_17block_load_methodE3ELS4_3ELS4_3ELNS0_20block_scan_algorithmE0ELj4294967295EEENS1_25partition_config_selectorILNS1_17partition_subalgoE3EjNS0_10empty_typeEbEEZZNS1_14partition_implILS8_3ELb0ES6_jNS0_17counting_iteratorIjlEEPS9_SE_NS0_5tupleIJPjSE_EEENSF_IJSE_SE_EEES9_SG_JZNS1_25segmented_radix_sort_implINS0_14default_configELb1EPKsPsPKlPlN2at6native12_GLOBAL__N_18offset_tEEE10hipError_tPvRmT1_PNSt15iterator_traitsISY_E10value_typeET2_T3_PNSZ_IS14_E10value_typeET4_jRbjT5_S1A_jjP12ihipStream_tbEUljE_EEESV_SW_SX_S14_S18_S1A_T6_T7_T9_mT8_S1C_bDpT10_ENKUlT_T0_E_clISt17integral_constantIbLb0EES1P_EEDaS1K_S1L_EUlS1K_E_NS1_11comp_targetILNS1_3genE0ELNS1_11target_archE4294967295ELNS1_3gpuE0ELNS1_3repE0EEENS1_30default_config_static_selectorELNS0_4arch9wavefront6targetE0EEEvSY_: ; @_ZN7rocprim17ROCPRIM_400000_NS6detail17trampoline_kernelINS0_13select_configILj256ELj13ELNS0_17block_load_methodE3ELS4_3ELS4_3ELNS0_20block_scan_algorithmE0ELj4294967295EEENS1_25partition_config_selectorILNS1_17partition_subalgoE3EjNS0_10empty_typeEbEEZZNS1_14partition_implILS8_3ELb0ES6_jNS0_17counting_iteratorIjlEEPS9_SE_NS0_5tupleIJPjSE_EEENSF_IJSE_SE_EEES9_SG_JZNS1_25segmented_radix_sort_implINS0_14default_configELb1EPKsPsPKlPlN2at6native12_GLOBAL__N_18offset_tEEE10hipError_tPvRmT1_PNSt15iterator_traitsISY_E10value_typeET2_T3_PNSZ_IS14_E10value_typeET4_jRbjT5_S1A_jjP12ihipStream_tbEUljE_EEESV_SW_SX_S14_S18_S1A_T6_T7_T9_mT8_S1C_bDpT10_ENKUlT_T0_E_clISt17integral_constantIbLb0EES1P_EEDaS1K_S1L_EUlS1K_E_NS1_11comp_targetILNS1_3genE0ELNS1_11target_archE4294967295ELNS1_3gpuE0ELNS1_3repE0EEENS1_30default_config_static_selectorELNS0_4arch9wavefront6targetE0EEEvSY_
; %bb.0:
	.section	.rodata,"a",@progbits
	.p2align	6, 0x0
	.amdhsa_kernel _ZN7rocprim17ROCPRIM_400000_NS6detail17trampoline_kernelINS0_13select_configILj256ELj13ELNS0_17block_load_methodE3ELS4_3ELS4_3ELNS0_20block_scan_algorithmE0ELj4294967295EEENS1_25partition_config_selectorILNS1_17partition_subalgoE3EjNS0_10empty_typeEbEEZZNS1_14partition_implILS8_3ELb0ES6_jNS0_17counting_iteratorIjlEEPS9_SE_NS0_5tupleIJPjSE_EEENSF_IJSE_SE_EEES9_SG_JZNS1_25segmented_radix_sort_implINS0_14default_configELb1EPKsPsPKlPlN2at6native12_GLOBAL__N_18offset_tEEE10hipError_tPvRmT1_PNSt15iterator_traitsISY_E10value_typeET2_T3_PNSZ_IS14_E10value_typeET4_jRbjT5_S1A_jjP12ihipStream_tbEUljE_EEESV_SW_SX_S14_S18_S1A_T6_T7_T9_mT8_S1C_bDpT10_ENKUlT_T0_E_clISt17integral_constantIbLb0EES1P_EEDaS1K_S1L_EUlS1K_E_NS1_11comp_targetILNS1_3genE0ELNS1_11target_archE4294967295ELNS1_3gpuE0ELNS1_3repE0EEENS1_30default_config_static_selectorELNS0_4arch9wavefront6targetE0EEEvSY_
		.amdhsa_group_segment_fixed_size 0
		.amdhsa_private_segment_fixed_size 0
		.amdhsa_kernarg_size 144
		.amdhsa_user_sgpr_count 15
		.amdhsa_user_sgpr_dispatch_ptr 0
		.amdhsa_user_sgpr_queue_ptr 0
		.amdhsa_user_sgpr_kernarg_segment_ptr 1
		.amdhsa_user_sgpr_dispatch_id 0
		.amdhsa_user_sgpr_private_segment_size 0
		.amdhsa_wavefront_size32 1
		.amdhsa_uses_dynamic_stack 0
		.amdhsa_enable_private_segment 0
		.amdhsa_system_sgpr_workgroup_id_x 1
		.amdhsa_system_sgpr_workgroup_id_y 0
		.amdhsa_system_sgpr_workgroup_id_z 0
		.amdhsa_system_sgpr_workgroup_info 0
		.amdhsa_system_vgpr_workitem_id 0
		.amdhsa_next_free_vgpr 1
		.amdhsa_next_free_sgpr 1
		.amdhsa_reserve_vcc 0
		.amdhsa_float_round_mode_32 0
		.amdhsa_float_round_mode_16_64 0
		.amdhsa_float_denorm_mode_32 3
		.amdhsa_float_denorm_mode_16_64 3
		.amdhsa_dx10_clamp 1
		.amdhsa_ieee_mode 1
		.amdhsa_fp16_overflow 0
		.amdhsa_workgroup_processor_mode 1
		.amdhsa_memory_ordered 1
		.amdhsa_forward_progress 0
		.amdhsa_shared_vgpr_count 0
		.amdhsa_exception_fp_ieee_invalid_op 0
		.amdhsa_exception_fp_denorm_src 0
		.amdhsa_exception_fp_ieee_div_zero 0
		.amdhsa_exception_fp_ieee_overflow 0
		.amdhsa_exception_fp_ieee_underflow 0
		.amdhsa_exception_fp_ieee_inexact 0
		.amdhsa_exception_int_div_zero 0
	.end_amdhsa_kernel
	.section	.text._ZN7rocprim17ROCPRIM_400000_NS6detail17trampoline_kernelINS0_13select_configILj256ELj13ELNS0_17block_load_methodE3ELS4_3ELS4_3ELNS0_20block_scan_algorithmE0ELj4294967295EEENS1_25partition_config_selectorILNS1_17partition_subalgoE3EjNS0_10empty_typeEbEEZZNS1_14partition_implILS8_3ELb0ES6_jNS0_17counting_iteratorIjlEEPS9_SE_NS0_5tupleIJPjSE_EEENSF_IJSE_SE_EEES9_SG_JZNS1_25segmented_radix_sort_implINS0_14default_configELb1EPKsPsPKlPlN2at6native12_GLOBAL__N_18offset_tEEE10hipError_tPvRmT1_PNSt15iterator_traitsISY_E10value_typeET2_T3_PNSZ_IS14_E10value_typeET4_jRbjT5_S1A_jjP12ihipStream_tbEUljE_EEESV_SW_SX_S14_S18_S1A_T6_T7_T9_mT8_S1C_bDpT10_ENKUlT_T0_E_clISt17integral_constantIbLb0EES1P_EEDaS1K_S1L_EUlS1K_E_NS1_11comp_targetILNS1_3genE0ELNS1_11target_archE4294967295ELNS1_3gpuE0ELNS1_3repE0EEENS1_30default_config_static_selectorELNS0_4arch9wavefront6targetE0EEEvSY_,"axG",@progbits,_ZN7rocprim17ROCPRIM_400000_NS6detail17trampoline_kernelINS0_13select_configILj256ELj13ELNS0_17block_load_methodE3ELS4_3ELS4_3ELNS0_20block_scan_algorithmE0ELj4294967295EEENS1_25partition_config_selectorILNS1_17partition_subalgoE3EjNS0_10empty_typeEbEEZZNS1_14partition_implILS8_3ELb0ES6_jNS0_17counting_iteratorIjlEEPS9_SE_NS0_5tupleIJPjSE_EEENSF_IJSE_SE_EEES9_SG_JZNS1_25segmented_radix_sort_implINS0_14default_configELb1EPKsPsPKlPlN2at6native12_GLOBAL__N_18offset_tEEE10hipError_tPvRmT1_PNSt15iterator_traitsISY_E10value_typeET2_T3_PNSZ_IS14_E10value_typeET4_jRbjT5_S1A_jjP12ihipStream_tbEUljE_EEESV_SW_SX_S14_S18_S1A_T6_T7_T9_mT8_S1C_bDpT10_ENKUlT_T0_E_clISt17integral_constantIbLb0EES1P_EEDaS1K_S1L_EUlS1K_E_NS1_11comp_targetILNS1_3genE0ELNS1_11target_archE4294967295ELNS1_3gpuE0ELNS1_3repE0EEENS1_30default_config_static_selectorELNS0_4arch9wavefront6targetE0EEEvSY_,comdat
.Lfunc_end879:
	.size	_ZN7rocprim17ROCPRIM_400000_NS6detail17trampoline_kernelINS0_13select_configILj256ELj13ELNS0_17block_load_methodE3ELS4_3ELS4_3ELNS0_20block_scan_algorithmE0ELj4294967295EEENS1_25partition_config_selectorILNS1_17partition_subalgoE3EjNS0_10empty_typeEbEEZZNS1_14partition_implILS8_3ELb0ES6_jNS0_17counting_iteratorIjlEEPS9_SE_NS0_5tupleIJPjSE_EEENSF_IJSE_SE_EEES9_SG_JZNS1_25segmented_radix_sort_implINS0_14default_configELb1EPKsPsPKlPlN2at6native12_GLOBAL__N_18offset_tEEE10hipError_tPvRmT1_PNSt15iterator_traitsISY_E10value_typeET2_T3_PNSZ_IS14_E10value_typeET4_jRbjT5_S1A_jjP12ihipStream_tbEUljE_EEESV_SW_SX_S14_S18_S1A_T6_T7_T9_mT8_S1C_bDpT10_ENKUlT_T0_E_clISt17integral_constantIbLb0EES1P_EEDaS1K_S1L_EUlS1K_E_NS1_11comp_targetILNS1_3genE0ELNS1_11target_archE4294967295ELNS1_3gpuE0ELNS1_3repE0EEENS1_30default_config_static_selectorELNS0_4arch9wavefront6targetE0EEEvSY_, .Lfunc_end879-_ZN7rocprim17ROCPRIM_400000_NS6detail17trampoline_kernelINS0_13select_configILj256ELj13ELNS0_17block_load_methodE3ELS4_3ELS4_3ELNS0_20block_scan_algorithmE0ELj4294967295EEENS1_25partition_config_selectorILNS1_17partition_subalgoE3EjNS0_10empty_typeEbEEZZNS1_14partition_implILS8_3ELb0ES6_jNS0_17counting_iteratorIjlEEPS9_SE_NS0_5tupleIJPjSE_EEENSF_IJSE_SE_EEES9_SG_JZNS1_25segmented_radix_sort_implINS0_14default_configELb1EPKsPsPKlPlN2at6native12_GLOBAL__N_18offset_tEEE10hipError_tPvRmT1_PNSt15iterator_traitsISY_E10value_typeET2_T3_PNSZ_IS14_E10value_typeET4_jRbjT5_S1A_jjP12ihipStream_tbEUljE_EEESV_SW_SX_S14_S18_S1A_T6_T7_T9_mT8_S1C_bDpT10_ENKUlT_T0_E_clISt17integral_constantIbLb0EES1P_EEDaS1K_S1L_EUlS1K_E_NS1_11comp_targetILNS1_3genE0ELNS1_11target_archE4294967295ELNS1_3gpuE0ELNS1_3repE0EEENS1_30default_config_static_selectorELNS0_4arch9wavefront6targetE0EEEvSY_
                                        ; -- End function
	.section	.AMDGPU.csdata,"",@progbits
; Kernel info:
; codeLenInByte = 0
; NumSgprs: 0
; NumVgprs: 0
; ScratchSize: 0
; MemoryBound: 0
; FloatMode: 240
; IeeeMode: 1
; LDSByteSize: 0 bytes/workgroup (compile time only)
; SGPRBlocks: 0
; VGPRBlocks: 0
; NumSGPRsForWavesPerEU: 1
; NumVGPRsForWavesPerEU: 1
; Occupancy: 16
; WaveLimiterHint : 0
; COMPUTE_PGM_RSRC2:SCRATCH_EN: 0
; COMPUTE_PGM_RSRC2:USER_SGPR: 15
; COMPUTE_PGM_RSRC2:TRAP_HANDLER: 0
; COMPUTE_PGM_RSRC2:TGID_X_EN: 1
; COMPUTE_PGM_RSRC2:TGID_Y_EN: 0
; COMPUTE_PGM_RSRC2:TGID_Z_EN: 0
; COMPUTE_PGM_RSRC2:TIDIG_COMP_CNT: 0
	.section	.text._ZN7rocprim17ROCPRIM_400000_NS6detail17trampoline_kernelINS0_13select_configILj256ELj13ELNS0_17block_load_methodE3ELS4_3ELS4_3ELNS0_20block_scan_algorithmE0ELj4294967295EEENS1_25partition_config_selectorILNS1_17partition_subalgoE3EjNS0_10empty_typeEbEEZZNS1_14partition_implILS8_3ELb0ES6_jNS0_17counting_iteratorIjlEEPS9_SE_NS0_5tupleIJPjSE_EEENSF_IJSE_SE_EEES9_SG_JZNS1_25segmented_radix_sort_implINS0_14default_configELb1EPKsPsPKlPlN2at6native12_GLOBAL__N_18offset_tEEE10hipError_tPvRmT1_PNSt15iterator_traitsISY_E10value_typeET2_T3_PNSZ_IS14_E10value_typeET4_jRbjT5_S1A_jjP12ihipStream_tbEUljE_EEESV_SW_SX_S14_S18_S1A_T6_T7_T9_mT8_S1C_bDpT10_ENKUlT_T0_E_clISt17integral_constantIbLb0EES1P_EEDaS1K_S1L_EUlS1K_E_NS1_11comp_targetILNS1_3genE5ELNS1_11target_archE942ELNS1_3gpuE9ELNS1_3repE0EEENS1_30default_config_static_selectorELNS0_4arch9wavefront6targetE0EEEvSY_,"axG",@progbits,_ZN7rocprim17ROCPRIM_400000_NS6detail17trampoline_kernelINS0_13select_configILj256ELj13ELNS0_17block_load_methodE3ELS4_3ELS4_3ELNS0_20block_scan_algorithmE0ELj4294967295EEENS1_25partition_config_selectorILNS1_17partition_subalgoE3EjNS0_10empty_typeEbEEZZNS1_14partition_implILS8_3ELb0ES6_jNS0_17counting_iteratorIjlEEPS9_SE_NS0_5tupleIJPjSE_EEENSF_IJSE_SE_EEES9_SG_JZNS1_25segmented_radix_sort_implINS0_14default_configELb1EPKsPsPKlPlN2at6native12_GLOBAL__N_18offset_tEEE10hipError_tPvRmT1_PNSt15iterator_traitsISY_E10value_typeET2_T3_PNSZ_IS14_E10value_typeET4_jRbjT5_S1A_jjP12ihipStream_tbEUljE_EEESV_SW_SX_S14_S18_S1A_T6_T7_T9_mT8_S1C_bDpT10_ENKUlT_T0_E_clISt17integral_constantIbLb0EES1P_EEDaS1K_S1L_EUlS1K_E_NS1_11comp_targetILNS1_3genE5ELNS1_11target_archE942ELNS1_3gpuE9ELNS1_3repE0EEENS1_30default_config_static_selectorELNS0_4arch9wavefront6targetE0EEEvSY_,comdat
	.globl	_ZN7rocprim17ROCPRIM_400000_NS6detail17trampoline_kernelINS0_13select_configILj256ELj13ELNS0_17block_load_methodE3ELS4_3ELS4_3ELNS0_20block_scan_algorithmE0ELj4294967295EEENS1_25partition_config_selectorILNS1_17partition_subalgoE3EjNS0_10empty_typeEbEEZZNS1_14partition_implILS8_3ELb0ES6_jNS0_17counting_iteratorIjlEEPS9_SE_NS0_5tupleIJPjSE_EEENSF_IJSE_SE_EEES9_SG_JZNS1_25segmented_radix_sort_implINS0_14default_configELb1EPKsPsPKlPlN2at6native12_GLOBAL__N_18offset_tEEE10hipError_tPvRmT1_PNSt15iterator_traitsISY_E10value_typeET2_T3_PNSZ_IS14_E10value_typeET4_jRbjT5_S1A_jjP12ihipStream_tbEUljE_EEESV_SW_SX_S14_S18_S1A_T6_T7_T9_mT8_S1C_bDpT10_ENKUlT_T0_E_clISt17integral_constantIbLb0EES1P_EEDaS1K_S1L_EUlS1K_E_NS1_11comp_targetILNS1_3genE5ELNS1_11target_archE942ELNS1_3gpuE9ELNS1_3repE0EEENS1_30default_config_static_selectorELNS0_4arch9wavefront6targetE0EEEvSY_ ; -- Begin function _ZN7rocprim17ROCPRIM_400000_NS6detail17trampoline_kernelINS0_13select_configILj256ELj13ELNS0_17block_load_methodE3ELS4_3ELS4_3ELNS0_20block_scan_algorithmE0ELj4294967295EEENS1_25partition_config_selectorILNS1_17partition_subalgoE3EjNS0_10empty_typeEbEEZZNS1_14partition_implILS8_3ELb0ES6_jNS0_17counting_iteratorIjlEEPS9_SE_NS0_5tupleIJPjSE_EEENSF_IJSE_SE_EEES9_SG_JZNS1_25segmented_radix_sort_implINS0_14default_configELb1EPKsPsPKlPlN2at6native12_GLOBAL__N_18offset_tEEE10hipError_tPvRmT1_PNSt15iterator_traitsISY_E10value_typeET2_T3_PNSZ_IS14_E10value_typeET4_jRbjT5_S1A_jjP12ihipStream_tbEUljE_EEESV_SW_SX_S14_S18_S1A_T6_T7_T9_mT8_S1C_bDpT10_ENKUlT_T0_E_clISt17integral_constantIbLb0EES1P_EEDaS1K_S1L_EUlS1K_E_NS1_11comp_targetILNS1_3genE5ELNS1_11target_archE942ELNS1_3gpuE9ELNS1_3repE0EEENS1_30default_config_static_selectorELNS0_4arch9wavefront6targetE0EEEvSY_
	.p2align	8
	.type	_ZN7rocprim17ROCPRIM_400000_NS6detail17trampoline_kernelINS0_13select_configILj256ELj13ELNS0_17block_load_methodE3ELS4_3ELS4_3ELNS0_20block_scan_algorithmE0ELj4294967295EEENS1_25partition_config_selectorILNS1_17partition_subalgoE3EjNS0_10empty_typeEbEEZZNS1_14partition_implILS8_3ELb0ES6_jNS0_17counting_iteratorIjlEEPS9_SE_NS0_5tupleIJPjSE_EEENSF_IJSE_SE_EEES9_SG_JZNS1_25segmented_radix_sort_implINS0_14default_configELb1EPKsPsPKlPlN2at6native12_GLOBAL__N_18offset_tEEE10hipError_tPvRmT1_PNSt15iterator_traitsISY_E10value_typeET2_T3_PNSZ_IS14_E10value_typeET4_jRbjT5_S1A_jjP12ihipStream_tbEUljE_EEESV_SW_SX_S14_S18_S1A_T6_T7_T9_mT8_S1C_bDpT10_ENKUlT_T0_E_clISt17integral_constantIbLb0EES1P_EEDaS1K_S1L_EUlS1K_E_NS1_11comp_targetILNS1_3genE5ELNS1_11target_archE942ELNS1_3gpuE9ELNS1_3repE0EEENS1_30default_config_static_selectorELNS0_4arch9wavefront6targetE0EEEvSY_,@function
_ZN7rocprim17ROCPRIM_400000_NS6detail17trampoline_kernelINS0_13select_configILj256ELj13ELNS0_17block_load_methodE3ELS4_3ELS4_3ELNS0_20block_scan_algorithmE0ELj4294967295EEENS1_25partition_config_selectorILNS1_17partition_subalgoE3EjNS0_10empty_typeEbEEZZNS1_14partition_implILS8_3ELb0ES6_jNS0_17counting_iteratorIjlEEPS9_SE_NS0_5tupleIJPjSE_EEENSF_IJSE_SE_EEES9_SG_JZNS1_25segmented_radix_sort_implINS0_14default_configELb1EPKsPsPKlPlN2at6native12_GLOBAL__N_18offset_tEEE10hipError_tPvRmT1_PNSt15iterator_traitsISY_E10value_typeET2_T3_PNSZ_IS14_E10value_typeET4_jRbjT5_S1A_jjP12ihipStream_tbEUljE_EEESV_SW_SX_S14_S18_S1A_T6_T7_T9_mT8_S1C_bDpT10_ENKUlT_T0_E_clISt17integral_constantIbLb0EES1P_EEDaS1K_S1L_EUlS1K_E_NS1_11comp_targetILNS1_3genE5ELNS1_11target_archE942ELNS1_3gpuE9ELNS1_3repE0EEENS1_30default_config_static_selectorELNS0_4arch9wavefront6targetE0EEEvSY_: ; @_ZN7rocprim17ROCPRIM_400000_NS6detail17trampoline_kernelINS0_13select_configILj256ELj13ELNS0_17block_load_methodE3ELS4_3ELS4_3ELNS0_20block_scan_algorithmE0ELj4294967295EEENS1_25partition_config_selectorILNS1_17partition_subalgoE3EjNS0_10empty_typeEbEEZZNS1_14partition_implILS8_3ELb0ES6_jNS0_17counting_iteratorIjlEEPS9_SE_NS0_5tupleIJPjSE_EEENSF_IJSE_SE_EEES9_SG_JZNS1_25segmented_radix_sort_implINS0_14default_configELb1EPKsPsPKlPlN2at6native12_GLOBAL__N_18offset_tEEE10hipError_tPvRmT1_PNSt15iterator_traitsISY_E10value_typeET2_T3_PNSZ_IS14_E10value_typeET4_jRbjT5_S1A_jjP12ihipStream_tbEUljE_EEESV_SW_SX_S14_S18_S1A_T6_T7_T9_mT8_S1C_bDpT10_ENKUlT_T0_E_clISt17integral_constantIbLb0EES1P_EEDaS1K_S1L_EUlS1K_E_NS1_11comp_targetILNS1_3genE5ELNS1_11target_archE942ELNS1_3gpuE9ELNS1_3repE0EEENS1_30default_config_static_selectorELNS0_4arch9wavefront6targetE0EEEvSY_
; %bb.0:
	.section	.rodata,"a",@progbits
	.p2align	6, 0x0
	.amdhsa_kernel _ZN7rocprim17ROCPRIM_400000_NS6detail17trampoline_kernelINS0_13select_configILj256ELj13ELNS0_17block_load_methodE3ELS4_3ELS4_3ELNS0_20block_scan_algorithmE0ELj4294967295EEENS1_25partition_config_selectorILNS1_17partition_subalgoE3EjNS0_10empty_typeEbEEZZNS1_14partition_implILS8_3ELb0ES6_jNS0_17counting_iteratorIjlEEPS9_SE_NS0_5tupleIJPjSE_EEENSF_IJSE_SE_EEES9_SG_JZNS1_25segmented_radix_sort_implINS0_14default_configELb1EPKsPsPKlPlN2at6native12_GLOBAL__N_18offset_tEEE10hipError_tPvRmT1_PNSt15iterator_traitsISY_E10value_typeET2_T3_PNSZ_IS14_E10value_typeET4_jRbjT5_S1A_jjP12ihipStream_tbEUljE_EEESV_SW_SX_S14_S18_S1A_T6_T7_T9_mT8_S1C_bDpT10_ENKUlT_T0_E_clISt17integral_constantIbLb0EES1P_EEDaS1K_S1L_EUlS1K_E_NS1_11comp_targetILNS1_3genE5ELNS1_11target_archE942ELNS1_3gpuE9ELNS1_3repE0EEENS1_30default_config_static_selectorELNS0_4arch9wavefront6targetE0EEEvSY_
		.amdhsa_group_segment_fixed_size 0
		.amdhsa_private_segment_fixed_size 0
		.amdhsa_kernarg_size 144
		.amdhsa_user_sgpr_count 15
		.amdhsa_user_sgpr_dispatch_ptr 0
		.amdhsa_user_sgpr_queue_ptr 0
		.amdhsa_user_sgpr_kernarg_segment_ptr 1
		.amdhsa_user_sgpr_dispatch_id 0
		.amdhsa_user_sgpr_private_segment_size 0
		.amdhsa_wavefront_size32 1
		.amdhsa_uses_dynamic_stack 0
		.amdhsa_enable_private_segment 0
		.amdhsa_system_sgpr_workgroup_id_x 1
		.amdhsa_system_sgpr_workgroup_id_y 0
		.amdhsa_system_sgpr_workgroup_id_z 0
		.amdhsa_system_sgpr_workgroup_info 0
		.amdhsa_system_vgpr_workitem_id 0
		.amdhsa_next_free_vgpr 1
		.amdhsa_next_free_sgpr 1
		.amdhsa_reserve_vcc 0
		.amdhsa_float_round_mode_32 0
		.amdhsa_float_round_mode_16_64 0
		.amdhsa_float_denorm_mode_32 3
		.amdhsa_float_denorm_mode_16_64 3
		.amdhsa_dx10_clamp 1
		.amdhsa_ieee_mode 1
		.amdhsa_fp16_overflow 0
		.amdhsa_workgroup_processor_mode 1
		.amdhsa_memory_ordered 1
		.amdhsa_forward_progress 0
		.amdhsa_shared_vgpr_count 0
		.amdhsa_exception_fp_ieee_invalid_op 0
		.amdhsa_exception_fp_denorm_src 0
		.amdhsa_exception_fp_ieee_div_zero 0
		.amdhsa_exception_fp_ieee_overflow 0
		.amdhsa_exception_fp_ieee_underflow 0
		.amdhsa_exception_fp_ieee_inexact 0
		.amdhsa_exception_int_div_zero 0
	.end_amdhsa_kernel
	.section	.text._ZN7rocprim17ROCPRIM_400000_NS6detail17trampoline_kernelINS0_13select_configILj256ELj13ELNS0_17block_load_methodE3ELS4_3ELS4_3ELNS0_20block_scan_algorithmE0ELj4294967295EEENS1_25partition_config_selectorILNS1_17partition_subalgoE3EjNS0_10empty_typeEbEEZZNS1_14partition_implILS8_3ELb0ES6_jNS0_17counting_iteratorIjlEEPS9_SE_NS0_5tupleIJPjSE_EEENSF_IJSE_SE_EEES9_SG_JZNS1_25segmented_radix_sort_implINS0_14default_configELb1EPKsPsPKlPlN2at6native12_GLOBAL__N_18offset_tEEE10hipError_tPvRmT1_PNSt15iterator_traitsISY_E10value_typeET2_T3_PNSZ_IS14_E10value_typeET4_jRbjT5_S1A_jjP12ihipStream_tbEUljE_EEESV_SW_SX_S14_S18_S1A_T6_T7_T9_mT8_S1C_bDpT10_ENKUlT_T0_E_clISt17integral_constantIbLb0EES1P_EEDaS1K_S1L_EUlS1K_E_NS1_11comp_targetILNS1_3genE5ELNS1_11target_archE942ELNS1_3gpuE9ELNS1_3repE0EEENS1_30default_config_static_selectorELNS0_4arch9wavefront6targetE0EEEvSY_,"axG",@progbits,_ZN7rocprim17ROCPRIM_400000_NS6detail17trampoline_kernelINS0_13select_configILj256ELj13ELNS0_17block_load_methodE3ELS4_3ELS4_3ELNS0_20block_scan_algorithmE0ELj4294967295EEENS1_25partition_config_selectorILNS1_17partition_subalgoE3EjNS0_10empty_typeEbEEZZNS1_14partition_implILS8_3ELb0ES6_jNS0_17counting_iteratorIjlEEPS9_SE_NS0_5tupleIJPjSE_EEENSF_IJSE_SE_EEES9_SG_JZNS1_25segmented_radix_sort_implINS0_14default_configELb1EPKsPsPKlPlN2at6native12_GLOBAL__N_18offset_tEEE10hipError_tPvRmT1_PNSt15iterator_traitsISY_E10value_typeET2_T3_PNSZ_IS14_E10value_typeET4_jRbjT5_S1A_jjP12ihipStream_tbEUljE_EEESV_SW_SX_S14_S18_S1A_T6_T7_T9_mT8_S1C_bDpT10_ENKUlT_T0_E_clISt17integral_constantIbLb0EES1P_EEDaS1K_S1L_EUlS1K_E_NS1_11comp_targetILNS1_3genE5ELNS1_11target_archE942ELNS1_3gpuE9ELNS1_3repE0EEENS1_30default_config_static_selectorELNS0_4arch9wavefront6targetE0EEEvSY_,comdat
.Lfunc_end880:
	.size	_ZN7rocprim17ROCPRIM_400000_NS6detail17trampoline_kernelINS0_13select_configILj256ELj13ELNS0_17block_load_methodE3ELS4_3ELS4_3ELNS0_20block_scan_algorithmE0ELj4294967295EEENS1_25partition_config_selectorILNS1_17partition_subalgoE3EjNS0_10empty_typeEbEEZZNS1_14partition_implILS8_3ELb0ES6_jNS0_17counting_iteratorIjlEEPS9_SE_NS0_5tupleIJPjSE_EEENSF_IJSE_SE_EEES9_SG_JZNS1_25segmented_radix_sort_implINS0_14default_configELb1EPKsPsPKlPlN2at6native12_GLOBAL__N_18offset_tEEE10hipError_tPvRmT1_PNSt15iterator_traitsISY_E10value_typeET2_T3_PNSZ_IS14_E10value_typeET4_jRbjT5_S1A_jjP12ihipStream_tbEUljE_EEESV_SW_SX_S14_S18_S1A_T6_T7_T9_mT8_S1C_bDpT10_ENKUlT_T0_E_clISt17integral_constantIbLb0EES1P_EEDaS1K_S1L_EUlS1K_E_NS1_11comp_targetILNS1_3genE5ELNS1_11target_archE942ELNS1_3gpuE9ELNS1_3repE0EEENS1_30default_config_static_selectorELNS0_4arch9wavefront6targetE0EEEvSY_, .Lfunc_end880-_ZN7rocprim17ROCPRIM_400000_NS6detail17trampoline_kernelINS0_13select_configILj256ELj13ELNS0_17block_load_methodE3ELS4_3ELS4_3ELNS0_20block_scan_algorithmE0ELj4294967295EEENS1_25partition_config_selectorILNS1_17partition_subalgoE3EjNS0_10empty_typeEbEEZZNS1_14partition_implILS8_3ELb0ES6_jNS0_17counting_iteratorIjlEEPS9_SE_NS0_5tupleIJPjSE_EEENSF_IJSE_SE_EEES9_SG_JZNS1_25segmented_radix_sort_implINS0_14default_configELb1EPKsPsPKlPlN2at6native12_GLOBAL__N_18offset_tEEE10hipError_tPvRmT1_PNSt15iterator_traitsISY_E10value_typeET2_T3_PNSZ_IS14_E10value_typeET4_jRbjT5_S1A_jjP12ihipStream_tbEUljE_EEESV_SW_SX_S14_S18_S1A_T6_T7_T9_mT8_S1C_bDpT10_ENKUlT_T0_E_clISt17integral_constantIbLb0EES1P_EEDaS1K_S1L_EUlS1K_E_NS1_11comp_targetILNS1_3genE5ELNS1_11target_archE942ELNS1_3gpuE9ELNS1_3repE0EEENS1_30default_config_static_selectorELNS0_4arch9wavefront6targetE0EEEvSY_
                                        ; -- End function
	.section	.AMDGPU.csdata,"",@progbits
; Kernel info:
; codeLenInByte = 0
; NumSgprs: 0
; NumVgprs: 0
; ScratchSize: 0
; MemoryBound: 0
; FloatMode: 240
; IeeeMode: 1
; LDSByteSize: 0 bytes/workgroup (compile time only)
; SGPRBlocks: 0
; VGPRBlocks: 0
; NumSGPRsForWavesPerEU: 1
; NumVGPRsForWavesPerEU: 1
; Occupancy: 16
; WaveLimiterHint : 0
; COMPUTE_PGM_RSRC2:SCRATCH_EN: 0
; COMPUTE_PGM_RSRC2:USER_SGPR: 15
; COMPUTE_PGM_RSRC2:TRAP_HANDLER: 0
; COMPUTE_PGM_RSRC2:TGID_X_EN: 1
; COMPUTE_PGM_RSRC2:TGID_Y_EN: 0
; COMPUTE_PGM_RSRC2:TGID_Z_EN: 0
; COMPUTE_PGM_RSRC2:TIDIG_COMP_CNT: 0
	.section	.text._ZN7rocprim17ROCPRIM_400000_NS6detail17trampoline_kernelINS0_13select_configILj256ELj13ELNS0_17block_load_methodE3ELS4_3ELS4_3ELNS0_20block_scan_algorithmE0ELj4294967295EEENS1_25partition_config_selectorILNS1_17partition_subalgoE3EjNS0_10empty_typeEbEEZZNS1_14partition_implILS8_3ELb0ES6_jNS0_17counting_iteratorIjlEEPS9_SE_NS0_5tupleIJPjSE_EEENSF_IJSE_SE_EEES9_SG_JZNS1_25segmented_radix_sort_implINS0_14default_configELb1EPKsPsPKlPlN2at6native12_GLOBAL__N_18offset_tEEE10hipError_tPvRmT1_PNSt15iterator_traitsISY_E10value_typeET2_T3_PNSZ_IS14_E10value_typeET4_jRbjT5_S1A_jjP12ihipStream_tbEUljE_EEESV_SW_SX_S14_S18_S1A_T6_T7_T9_mT8_S1C_bDpT10_ENKUlT_T0_E_clISt17integral_constantIbLb0EES1P_EEDaS1K_S1L_EUlS1K_E_NS1_11comp_targetILNS1_3genE4ELNS1_11target_archE910ELNS1_3gpuE8ELNS1_3repE0EEENS1_30default_config_static_selectorELNS0_4arch9wavefront6targetE0EEEvSY_,"axG",@progbits,_ZN7rocprim17ROCPRIM_400000_NS6detail17trampoline_kernelINS0_13select_configILj256ELj13ELNS0_17block_load_methodE3ELS4_3ELS4_3ELNS0_20block_scan_algorithmE0ELj4294967295EEENS1_25partition_config_selectorILNS1_17partition_subalgoE3EjNS0_10empty_typeEbEEZZNS1_14partition_implILS8_3ELb0ES6_jNS0_17counting_iteratorIjlEEPS9_SE_NS0_5tupleIJPjSE_EEENSF_IJSE_SE_EEES9_SG_JZNS1_25segmented_radix_sort_implINS0_14default_configELb1EPKsPsPKlPlN2at6native12_GLOBAL__N_18offset_tEEE10hipError_tPvRmT1_PNSt15iterator_traitsISY_E10value_typeET2_T3_PNSZ_IS14_E10value_typeET4_jRbjT5_S1A_jjP12ihipStream_tbEUljE_EEESV_SW_SX_S14_S18_S1A_T6_T7_T9_mT8_S1C_bDpT10_ENKUlT_T0_E_clISt17integral_constantIbLb0EES1P_EEDaS1K_S1L_EUlS1K_E_NS1_11comp_targetILNS1_3genE4ELNS1_11target_archE910ELNS1_3gpuE8ELNS1_3repE0EEENS1_30default_config_static_selectorELNS0_4arch9wavefront6targetE0EEEvSY_,comdat
	.globl	_ZN7rocprim17ROCPRIM_400000_NS6detail17trampoline_kernelINS0_13select_configILj256ELj13ELNS0_17block_load_methodE3ELS4_3ELS4_3ELNS0_20block_scan_algorithmE0ELj4294967295EEENS1_25partition_config_selectorILNS1_17partition_subalgoE3EjNS0_10empty_typeEbEEZZNS1_14partition_implILS8_3ELb0ES6_jNS0_17counting_iteratorIjlEEPS9_SE_NS0_5tupleIJPjSE_EEENSF_IJSE_SE_EEES9_SG_JZNS1_25segmented_radix_sort_implINS0_14default_configELb1EPKsPsPKlPlN2at6native12_GLOBAL__N_18offset_tEEE10hipError_tPvRmT1_PNSt15iterator_traitsISY_E10value_typeET2_T3_PNSZ_IS14_E10value_typeET4_jRbjT5_S1A_jjP12ihipStream_tbEUljE_EEESV_SW_SX_S14_S18_S1A_T6_T7_T9_mT8_S1C_bDpT10_ENKUlT_T0_E_clISt17integral_constantIbLb0EES1P_EEDaS1K_S1L_EUlS1K_E_NS1_11comp_targetILNS1_3genE4ELNS1_11target_archE910ELNS1_3gpuE8ELNS1_3repE0EEENS1_30default_config_static_selectorELNS0_4arch9wavefront6targetE0EEEvSY_ ; -- Begin function _ZN7rocprim17ROCPRIM_400000_NS6detail17trampoline_kernelINS0_13select_configILj256ELj13ELNS0_17block_load_methodE3ELS4_3ELS4_3ELNS0_20block_scan_algorithmE0ELj4294967295EEENS1_25partition_config_selectorILNS1_17partition_subalgoE3EjNS0_10empty_typeEbEEZZNS1_14partition_implILS8_3ELb0ES6_jNS0_17counting_iteratorIjlEEPS9_SE_NS0_5tupleIJPjSE_EEENSF_IJSE_SE_EEES9_SG_JZNS1_25segmented_radix_sort_implINS0_14default_configELb1EPKsPsPKlPlN2at6native12_GLOBAL__N_18offset_tEEE10hipError_tPvRmT1_PNSt15iterator_traitsISY_E10value_typeET2_T3_PNSZ_IS14_E10value_typeET4_jRbjT5_S1A_jjP12ihipStream_tbEUljE_EEESV_SW_SX_S14_S18_S1A_T6_T7_T9_mT8_S1C_bDpT10_ENKUlT_T0_E_clISt17integral_constantIbLb0EES1P_EEDaS1K_S1L_EUlS1K_E_NS1_11comp_targetILNS1_3genE4ELNS1_11target_archE910ELNS1_3gpuE8ELNS1_3repE0EEENS1_30default_config_static_selectorELNS0_4arch9wavefront6targetE0EEEvSY_
	.p2align	8
	.type	_ZN7rocprim17ROCPRIM_400000_NS6detail17trampoline_kernelINS0_13select_configILj256ELj13ELNS0_17block_load_methodE3ELS4_3ELS4_3ELNS0_20block_scan_algorithmE0ELj4294967295EEENS1_25partition_config_selectorILNS1_17partition_subalgoE3EjNS0_10empty_typeEbEEZZNS1_14partition_implILS8_3ELb0ES6_jNS0_17counting_iteratorIjlEEPS9_SE_NS0_5tupleIJPjSE_EEENSF_IJSE_SE_EEES9_SG_JZNS1_25segmented_radix_sort_implINS0_14default_configELb1EPKsPsPKlPlN2at6native12_GLOBAL__N_18offset_tEEE10hipError_tPvRmT1_PNSt15iterator_traitsISY_E10value_typeET2_T3_PNSZ_IS14_E10value_typeET4_jRbjT5_S1A_jjP12ihipStream_tbEUljE_EEESV_SW_SX_S14_S18_S1A_T6_T7_T9_mT8_S1C_bDpT10_ENKUlT_T0_E_clISt17integral_constantIbLb0EES1P_EEDaS1K_S1L_EUlS1K_E_NS1_11comp_targetILNS1_3genE4ELNS1_11target_archE910ELNS1_3gpuE8ELNS1_3repE0EEENS1_30default_config_static_selectorELNS0_4arch9wavefront6targetE0EEEvSY_,@function
_ZN7rocprim17ROCPRIM_400000_NS6detail17trampoline_kernelINS0_13select_configILj256ELj13ELNS0_17block_load_methodE3ELS4_3ELS4_3ELNS0_20block_scan_algorithmE0ELj4294967295EEENS1_25partition_config_selectorILNS1_17partition_subalgoE3EjNS0_10empty_typeEbEEZZNS1_14partition_implILS8_3ELb0ES6_jNS0_17counting_iteratorIjlEEPS9_SE_NS0_5tupleIJPjSE_EEENSF_IJSE_SE_EEES9_SG_JZNS1_25segmented_radix_sort_implINS0_14default_configELb1EPKsPsPKlPlN2at6native12_GLOBAL__N_18offset_tEEE10hipError_tPvRmT1_PNSt15iterator_traitsISY_E10value_typeET2_T3_PNSZ_IS14_E10value_typeET4_jRbjT5_S1A_jjP12ihipStream_tbEUljE_EEESV_SW_SX_S14_S18_S1A_T6_T7_T9_mT8_S1C_bDpT10_ENKUlT_T0_E_clISt17integral_constantIbLb0EES1P_EEDaS1K_S1L_EUlS1K_E_NS1_11comp_targetILNS1_3genE4ELNS1_11target_archE910ELNS1_3gpuE8ELNS1_3repE0EEENS1_30default_config_static_selectorELNS0_4arch9wavefront6targetE0EEEvSY_: ; @_ZN7rocprim17ROCPRIM_400000_NS6detail17trampoline_kernelINS0_13select_configILj256ELj13ELNS0_17block_load_methodE3ELS4_3ELS4_3ELNS0_20block_scan_algorithmE0ELj4294967295EEENS1_25partition_config_selectorILNS1_17partition_subalgoE3EjNS0_10empty_typeEbEEZZNS1_14partition_implILS8_3ELb0ES6_jNS0_17counting_iteratorIjlEEPS9_SE_NS0_5tupleIJPjSE_EEENSF_IJSE_SE_EEES9_SG_JZNS1_25segmented_radix_sort_implINS0_14default_configELb1EPKsPsPKlPlN2at6native12_GLOBAL__N_18offset_tEEE10hipError_tPvRmT1_PNSt15iterator_traitsISY_E10value_typeET2_T3_PNSZ_IS14_E10value_typeET4_jRbjT5_S1A_jjP12ihipStream_tbEUljE_EEESV_SW_SX_S14_S18_S1A_T6_T7_T9_mT8_S1C_bDpT10_ENKUlT_T0_E_clISt17integral_constantIbLb0EES1P_EEDaS1K_S1L_EUlS1K_E_NS1_11comp_targetILNS1_3genE4ELNS1_11target_archE910ELNS1_3gpuE8ELNS1_3repE0EEENS1_30default_config_static_selectorELNS0_4arch9wavefront6targetE0EEEvSY_
; %bb.0:
	.section	.rodata,"a",@progbits
	.p2align	6, 0x0
	.amdhsa_kernel _ZN7rocprim17ROCPRIM_400000_NS6detail17trampoline_kernelINS0_13select_configILj256ELj13ELNS0_17block_load_methodE3ELS4_3ELS4_3ELNS0_20block_scan_algorithmE0ELj4294967295EEENS1_25partition_config_selectorILNS1_17partition_subalgoE3EjNS0_10empty_typeEbEEZZNS1_14partition_implILS8_3ELb0ES6_jNS0_17counting_iteratorIjlEEPS9_SE_NS0_5tupleIJPjSE_EEENSF_IJSE_SE_EEES9_SG_JZNS1_25segmented_radix_sort_implINS0_14default_configELb1EPKsPsPKlPlN2at6native12_GLOBAL__N_18offset_tEEE10hipError_tPvRmT1_PNSt15iterator_traitsISY_E10value_typeET2_T3_PNSZ_IS14_E10value_typeET4_jRbjT5_S1A_jjP12ihipStream_tbEUljE_EEESV_SW_SX_S14_S18_S1A_T6_T7_T9_mT8_S1C_bDpT10_ENKUlT_T0_E_clISt17integral_constantIbLb0EES1P_EEDaS1K_S1L_EUlS1K_E_NS1_11comp_targetILNS1_3genE4ELNS1_11target_archE910ELNS1_3gpuE8ELNS1_3repE0EEENS1_30default_config_static_selectorELNS0_4arch9wavefront6targetE0EEEvSY_
		.amdhsa_group_segment_fixed_size 0
		.amdhsa_private_segment_fixed_size 0
		.amdhsa_kernarg_size 144
		.amdhsa_user_sgpr_count 15
		.amdhsa_user_sgpr_dispatch_ptr 0
		.amdhsa_user_sgpr_queue_ptr 0
		.amdhsa_user_sgpr_kernarg_segment_ptr 1
		.amdhsa_user_sgpr_dispatch_id 0
		.amdhsa_user_sgpr_private_segment_size 0
		.amdhsa_wavefront_size32 1
		.amdhsa_uses_dynamic_stack 0
		.amdhsa_enable_private_segment 0
		.amdhsa_system_sgpr_workgroup_id_x 1
		.amdhsa_system_sgpr_workgroup_id_y 0
		.amdhsa_system_sgpr_workgroup_id_z 0
		.amdhsa_system_sgpr_workgroup_info 0
		.amdhsa_system_vgpr_workitem_id 0
		.amdhsa_next_free_vgpr 1
		.amdhsa_next_free_sgpr 1
		.amdhsa_reserve_vcc 0
		.amdhsa_float_round_mode_32 0
		.amdhsa_float_round_mode_16_64 0
		.amdhsa_float_denorm_mode_32 3
		.amdhsa_float_denorm_mode_16_64 3
		.amdhsa_dx10_clamp 1
		.amdhsa_ieee_mode 1
		.amdhsa_fp16_overflow 0
		.amdhsa_workgroup_processor_mode 1
		.amdhsa_memory_ordered 1
		.amdhsa_forward_progress 0
		.amdhsa_shared_vgpr_count 0
		.amdhsa_exception_fp_ieee_invalid_op 0
		.amdhsa_exception_fp_denorm_src 0
		.amdhsa_exception_fp_ieee_div_zero 0
		.amdhsa_exception_fp_ieee_overflow 0
		.amdhsa_exception_fp_ieee_underflow 0
		.amdhsa_exception_fp_ieee_inexact 0
		.amdhsa_exception_int_div_zero 0
	.end_amdhsa_kernel
	.section	.text._ZN7rocprim17ROCPRIM_400000_NS6detail17trampoline_kernelINS0_13select_configILj256ELj13ELNS0_17block_load_methodE3ELS4_3ELS4_3ELNS0_20block_scan_algorithmE0ELj4294967295EEENS1_25partition_config_selectorILNS1_17partition_subalgoE3EjNS0_10empty_typeEbEEZZNS1_14partition_implILS8_3ELb0ES6_jNS0_17counting_iteratorIjlEEPS9_SE_NS0_5tupleIJPjSE_EEENSF_IJSE_SE_EEES9_SG_JZNS1_25segmented_radix_sort_implINS0_14default_configELb1EPKsPsPKlPlN2at6native12_GLOBAL__N_18offset_tEEE10hipError_tPvRmT1_PNSt15iterator_traitsISY_E10value_typeET2_T3_PNSZ_IS14_E10value_typeET4_jRbjT5_S1A_jjP12ihipStream_tbEUljE_EEESV_SW_SX_S14_S18_S1A_T6_T7_T9_mT8_S1C_bDpT10_ENKUlT_T0_E_clISt17integral_constantIbLb0EES1P_EEDaS1K_S1L_EUlS1K_E_NS1_11comp_targetILNS1_3genE4ELNS1_11target_archE910ELNS1_3gpuE8ELNS1_3repE0EEENS1_30default_config_static_selectorELNS0_4arch9wavefront6targetE0EEEvSY_,"axG",@progbits,_ZN7rocprim17ROCPRIM_400000_NS6detail17trampoline_kernelINS0_13select_configILj256ELj13ELNS0_17block_load_methodE3ELS4_3ELS4_3ELNS0_20block_scan_algorithmE0ELj4294967295EEENS1_25partition_config_selectorILNS1_17partition_subalgoE3EjNS0_10empty_typeEbEEZZNS1_14partition_implILS8_3ELb0ES6_jNS0_17counting_iteratorIjlEEPS9_SE_NS0_5tupleIJPjSE_EEENSF_IJSE_SE_EEES9_SG_JZNS1_25segmented_radix_sort_implINS0_14default_configELb1EPKsPsPKlPlN2at6native12_GLOBAL__N_18offset_tEEE10hipError_tPvRmT1_PNSt15iterator_traitsISY_E10value_typeET2_T3_PNSZ_IS14_E10value_typeET4_jRbjT5_S1A_jjP12ihipStream_tbEUljE_EEESV_SW_SX_S14_S18_S1A_T6_T7_T9_mT8_S1C_bDpT10_ENKUlT_T0_E_clISt17integral_constantIbLb0EES1P_EEDaS1K_S1L_EUlS1K_E_NS1_11comp_targetILNS1_3genE4ELNS1_11target_archE910ELNS1_3gpuE8ELNS1_3repE0EEENS1_30default_config_static_selectorELNS0_4arch9wavefront6targetE0EEEvSY_,comdat
.Lfunc_end881:
	.size	_ZN7rocprim17ROCPRIM_400000_NS6detail17trampoline_kernelINS0_13select_configILj256ELj13ELNS0_17block_load_methodE3ELS4_3ELS4_3ELNS0_20block_scan_algorithmE0ELj4294967295EEENS1_25partition_config_selectorILNS1_17partition_subalgoE3EjNS0_10empty_typeEbEEZZNS1_14partition_implILS8_3ELb0ES6_jNS0_17counting_iteratorIjlEEPS9_SE_NS0_5tupleIJPjSE_EEENSF_IJSE_SE_EEES9_SG_JZNS1_25segmented_radix_sort_implINS0_14default_configELb1EPKsPsPKlPlN2at6native12_GLOBAL__N_18offset_tEEE10hipError_tPvRmT1_PNSt15iterator_traitsISY_E10value_typeET2_T3_PNSZ_IS14_E10value_typeET4_jRbjT5_S1A_jjP12ihipStream_tbEUljE_EEESV_SW_SX_S14_S18_S1A_T6_T7_T9_mT8_S1C_bDpT10_ENKUlT_T0_E_clISt17integral_constantIbLb0EES1P_EEDaS1K_S1L_EUlS1K_E_NS1_11comp_targetILNS1_3genE4ELNS1_11target_archE910ELNS1_3gpuE8ELNS1_3repE0EEENS1_30default_config_static_selectorELNS0_4arch9wavefront6targetE0EEEvSY_, .Lfunc_end881-_ZN7rocprim17ROCPRIM_400000_NS6detail17trampoline_kernelINS0_13select_configILj256ELj13ELNS0_17block_load_methodE3ELS4_3ELS4_3ELNS0_20block_scan_algorithmE0ELj4294967295EEENS1_25partition_config_selectorILNS1_17partition_subalgoE3EjNS0_10empty_typeEbEEZZNS1_14partition_implILS8_3ELb0ES6_jNS0_17counting_iteratorIjlEEPS9_SE_NS0_5tupleIJPjSE_EEENSF_IJSE_SE_EEES9_SG_JZNS1_25segmented_radix_sort_implINS0_14default_configELb1EPKsPsPKlPlN2at6native12_GLOBAL__N_18offset_tEEE10hipError_tPvRmT1_PNSt15iterator_traitsISY_E10value_typeET2_T3_PNSZ_IS14_E10value_typeET4_jRbjT5_S1A_jjP12ihipStream_tbEUljE_EEESV_SW_SX_S14_S18_S1A_T6_T7_T9_mT8_S1C_bDpT10_ENKUlT_T0_E_clISt17integral_constantIbLb0EES1P_EEDaS1K_S1L_EUlS1K_E_NS1_11comp_targetILNS1_3genE4ELNS1_11target_archE910ELNS1_3gpuE8ELNS1_3repE0EEENS1_30default_config_static_selectorELNS0_4arch9wavefront6targetE0EEEvSY_
                                        ; -- End function
	.section	.AMDGPU.csdata,"",@progbits
; Kernel info:
; codeLenInByte = 0
; NumSgprs: 0
; NumVgprs: 0
; ScratchSize: 0
; MemoryBound: 0
; FloatMode: 240
; IeeeMode: 1
; LDSByteSize: 0 bytes/workgroup (compile time only)
; SGPRBlocks: 0
; VGPRBlocks: 0
; NumSGPRsForWavesPerEU: 1
; NumVGPRsForWavesPerEU: 1
; Occupancy: 16
; WaveLimiterHint : 0
; COMPUTE_PGM_RSRC2:SCRATCH_EN: 0
; COMPUTE_PGM_RSRC2:USER_SGPR: 15
; COMPUTE_PGM_RSRC2:TRAP_HANDLER: 0
; COMPUTE_PGM_RSRC2:TGID_X_EN: 1
; COMPUTE_PGM_RSRC2:TGID_Y_EN: 0
; COMPUTE_PGM_RSRC2:TGID_Z_EN: 0
; COMPUTE_PGM_RSRC2:TIDIG_COMP_CNT: 0
	.section	.text._ZN7rocprim17ROCPRIM_400000_NS6detail17trampoline_kernelINS0_13select_configILj256ELj13ELNS0_17block_load_methodE3ELS4_3ELS4_3ELNS0_20block_scan_algorithmE0ELj4294967295EEENS1_25partition_config_selectorILNS1_17partition_subalgoE3EjNS0_10empty_typeEbEEZZNS1_14partition_implILS8_3ELb0ES6_jNS0_17counting_iteratorIjlEEPS9_SE_NS0_5tupleIJPjSE_EEENSF_IJSE_SE_EEES9_SG_JZNS1_25segmented_radix_sort_implINS0_14default_configELb1EPKsPsPKlPlN2at6native12_GLOBAL__N_18offset_tEEE10hipError_tPvRmT1_PNSt15iterator_traitsISY_E10value_typeET2_T3_PNSZ_IS14_E10value_typeET4_jRbjT5_S1A_jjP12ihipStream_tbEUljE_EEESV_SW_SX_S14_S18_S1A_T6_T7_T9_mT8_S1C_bDpT10_ENKUlT_T0_E_clISt17integral_constantIbLb0EES1P_EEDaS1K_S1L_EUlS1K_E_NS1_11comp_targetILNS1_3genE3ELNS1_11target_archE908ELNS1_3gpuE7ELNS1_3repE0EEENS1_30default_config_static_selectorELNS0_4arch9wavefront6targetE0EEEvSY_,"axG",@progbits,_ZN7rocprim17ROCPRIM_400000_NS6detail17trampoline_kernelINS0_13select_configILj256ELj13ELNS0_17block_load_methodE3ELS4_3ELS4_3ELNS0_20block_scan_algorithmE0ELj4294967295EEENS1_25partition_config_selectorILNS1_17partition_subalgoE3EjNS0_10empty_typeEbEEZZNS1_14partition_implILS8_3ELb0ES6_jNS0_17counting_iteratorIjlEEPS9_SE_NS0_5tupleIJPjSE_EEENSF_IJSE_SE_EEES9_SG_JZNS1_25segmented_radix_sort_implINS0_14default_configELb1EPKsPsPKlPlN2at6native12_GLOBAL__N_18offset_tEEE10hipError_tPvRmT1_PNSt15iterator_traitsISY_E10value_typeET2_T3_PNSZ_IS14_E10value_typeET4_jRbjT5_S1A_jjP12ihipStream_tbEUljE_EEESV_SW_SX_S14_S18_S1A_T6_T7_T9_mT8_S1C_bDpT10_ENKUlT_T0_E_clISt17integral_constantIbLb0EES1P_EEDaS1K_S1L_EUlS1K_E_NS1_11comp_targetILNS1_3genE3ELNS1_11target_archE908ELNS1_3gpuE7ELNS1_3repE0EEENS1_30default_config_static_selectorELNS0_4arch9wavefront6targetE0EEEvSY_,comdat
	.globl	_ZN7rocprim17ROCPRIM_400000_NS6detail17trampoline_kernelINS0_13select_configILj256ELj13ELNS0_17block_load_methodE3ELS4_3ELS4_3ELNS0_20block_scan_algorithmE0ELj4294967295EEENS1_25partition_config_selectorILNS1_17partition_subalgoE3EjNS0_10empty_typeEbEEZZNS1_14partition_implILS8_3ELb0ES6_jNS0_17counting_iteratorIjlEEPS9_SE_NS0_5tupleIJPjSE_EEENSF_IJSE_SE_EEES9_SG_JZNS1_25segmented_radix_sort_implINS0_14default_configELb1EPKsPsPKlPlN2at6native12_GLOBAL__N_18offset_tEEE10hipError_tPvRmT1_PNSt15iterator_traitsISY_E10value_typeET2_T3_PNSZ_IS14_E10value_typeET4_jRbjT5_S1A_jjP12ihipStream_tbEUljE_EEESV_SW_SX_S14_S18_S1A_T6_T7_T9_mT8_S1C_bDpT10_ENKUlT_T0_E_clISt17integral_constantIbLb0EES1P_EEDaS1K_S1L_EUlS1K_E_NS1_11comp_targetILNS1_3genE3ELNS1_11target_archE908ELNS1_3gpuE7ELNS1_3repE0EEENS1_30default_config_static_selectorELNS0_4arch9wavefront6targetE0EEEvSY_ ; -- Begin function _ZN7rocprim17ROCPRIM_400000_NS6detail17trampoline_kernelINS0_13select_configILj256ELj13ELNS0_17block_load_methodE3ELS4_3ELS4_3ELNS0_20block_scan_algorithmE0ELj4294967295EEENS1_25partition_config_selectorILNS1_17partition_subalgoE3EjNS0_10empty_typeEbEEZZNS1_14partition_implILS8_3ELb0ES6_jNS0_17counting_iteratorIjlEEPS9_SE_NS0_5tupleIJPjSE_EEENSF_IJSE_SE_EEES9_SG_JZNS1_25segmented_radix_sort_implINS0_14default_configELb1EPKsPsPKlPlN2at6native12_GLOBAL__N_18offset_tEEE10hipError_tPvRmT1_PNSt15iterator_traitsISY_E10value_typeET2_T3_PNSZ_IS14_E10value_typeET4_jRbjT5_S1A_jjP12ihipStream_tbEUljE_EEESV_SW_SX_S14_S18_S1A_T6_T7_T9_mT8_S1C_bDpT10_ENKUlT_T0_E_clISt17integral_constantIbLb0EES1P_EEDaS1K_S1L_EUlS1K_E_NS1_11comp_targetILNS1_3genE3ELNS1_11target_archE908ELNS1_3gpuE7ELNS1_3repE0EEENS1_30default_config_static_selectorELNS0_4arch9wavefront6targetE0EEEvSY_
	.p2align	8
	.type	_ZN7rocprim17ROCPRIM_400000_NS6detail17trampoline_kernelINS0_13select_configILj256ELj13ELNS0_17block_load_methodE3ELS4_3ELS4_3ELNS0_20block_scan_algorithmE0ELj4294967295EEENS1_25partition_config_selectorILNS1_17partition_subalgoE3EjNS0_10empty_typeEbEEZZNS1_14partition_implILS8_3ELb0ES6_jNS0_17counting_iteratorIjlEEPS9_SE_NS0_5tupleIJPjSE_EEENSF_IJSE_SE_EEES9_SG_JZNS1_25segmented_radix_sort_implINS0_14default_configELb1EPKsPsPKlPlN2at6native12_GLOBAL__N_18offset_tEEE10hipError_tPvRmT1_PNSt15iterator_traitsISY_E10value_typeET2_T3_PNSZ_IS14_E10value_typeET4_jRbjT5_S1A_jjP12ihipStream_tbEUljE_EEESV_SW_SX_S14_S18_S1A_T6_T7_T9_mT8_S1C_bDpT10_ENKUlT_T0_E_clISt17integral_constantIbLb0EES1P_EEDaS1K_S1L_EUlS1K_E_NS1_11comp_targetILNS1_3genE3ELNS1_11target_archE908ELNS1_3gpuE7ELNS1_3repE0EEENS1_30default_config_static_selectorELNS0_4arch9wavefront6targetE0EEEvSY_,@function
_ZN7rocprim17ROCPRIM_400000_NS6detail17trampoline_kernelINS0_13select_configILj256ELj13ELNS0_17block_load_methodE3ELS4_3ELS4_3ELNS0_20block_scan_algorithmE0ELj4294967295EEENS1_25partition_config_selectorILNS1_17partition_subalgoE3EjNS0_10empty_typeEbEEZZNS1_14partition_implILS8_3ELb0ES6_jNS0_17counting_iteratorIjlEEPS9_SE_NS0_5tupleIJPjSE_EEENSF_IJSE_SE_EEES9_SG_JZNS1_25segmented_radix_sort_implINS0_14default_configELb1EPKsPsPKlPlN2at6native12_GLOBAL__N_18offset_tEEE10hipError_tPvRmT1_PNSt15iterator_traitsISY_E10value_typeET2_T3_PNSZ_IS14_E10value_typeET4_jRbjT5_S1A_jjP12ihipStream_tbEUljE_EEESV_SW_SX_S14_S18_S1A_T6_T7_T9_mT8_S1C_bDpT10_ENKUlT_T0_E_clISt17integral_constantIbLb0EES1P_EEDaS1K_S1L_EUlS1K_E_NS1_11comp_targetILNS1_3genE3ELNS1_11target_archE908ELNS1_3gpuE7ELNS1_3repE0EEENS1_30default_config_static_selectorELNS0_4arch9wavefront6targetE0EEEvSY_: ; @_ZN7rocprim17ROCPRIM_400000_NS6detail17trampoline_kernelINS0_13select_configILj256ELj13ELNS0_17block_load_methodE3ELS4_3ELS4_3ELNS0_20block_scan_algorithmE0ELj4294967295EEENS1_25partition_config_selectorILNS1_17partition_subalgoE3EjNS0_10empty_typeEbEEZZNS1_14partition_implILS8_3ELb0ES6_jNS0_17counting_iteratorIjlEEPS9_SE_NS0_5tupleIJPjSE_EEENSF_IJSE_SE_EEES9_SG_JZNS1_25segmented_radix_sort_implINS0_14default_configELb1EPKsPsPKlPlN2at6native12_GLOBAL__N_18offset_tEEE10hipError_tPvRmT1_PNSt15iterator_traitsISY_E10value_typeET2_T3_PNSZ_IS14_E10value_typeET4_jRbjT5_S1A_jjP12ihipStream_tbEUljE_EEESV_SW_SX_S14_S18_S1A_T6_T7_T9_mT8_S1C_bDpT10_ENKUlT_T0_E_clISt17integral_constantIbLb0EES1P_EEDaS1K_S1L_EUlS1K_E_NS1_11comp_targetILNS1_3genE3ELNS1_11target_archE908ELNS1_3gpuE7ELNS1_3repE0EEENS1_30default_config_static_selectorELNS0_4arch9wavefront6targetE0EEEvSY_
; %bb.0:
	.section	.rodata,"a",@progbits
	.p2align	6, 0x0
	.amdhsa_kernel _ZN7rocprim17ROCPRIM_400000_NS6detail17trampoline_kernelINS0_13select_configILj256ELj13ELNS0_17block_load_methodE3ELS4_3ELS4_3ELNS0_20block_scan_algorithmE0ELj4294967295EEENS1_25partition_config_selectorILNS1_17partition_subalgoE3EjNS0_10empty_typeEbEEZZNS1_14partition_implILS8_3ELb0ES6_jNS0_17counting_iteratorIjlEEPS9_SE_NS0_5tupleIJPjSE_EEENSF_IJSE_SE_EEES9_SG_JZNS1_25segmented_radix_sort_implINS0_14default_configELb1EPKsPsPKlPlN2at6native12_GLOBAL__N_18offset_tEEE10hipError_tPvRmT1_PNSt15iterator_traitsISY_E10value_typeET2_T3_PNSZ_IS14_E10value_typeET4_jRbjT5_S1A_jjP12ihipStream_tbEUljE_EEESV_SW_SX_S14_S18_S1A_T6_T7_T9_mT8_S1C_bDpT10_ENKUlT_T0_E_clISt17integral_constantIbLb0EES1P_EEDaS1K_S1L_EUlS1K_E_NS1_11comp_targetILNS1_3genE3ELNS1_11target_archE908ELNS1_3gpuE7ELNS1_3repE0EEENS1_30default_config_static_selectorELNS0_4arch9wavefront6targetE0EEEvSY_
		.amdhsa_group_segment_fixed_size 0
		.amdhsa_private_segment_fixed_size 0
		.amdhsa_kernarg_size 144
		.amdhsa_user_sgpr_count 15
		.amdhsa_user_sgpr_dispatch_ptr 0
		.amdhsa_user_sgpr_queue_ptr 0
		.amdhsa_user_sgpr_kernarg_segment_ptr 1
		.amdhsa_user_sgpr_dispatch_id 0
		.amdhsa_user_sgpr_private_segment_size 0
		.amdhsa_wavefront_size32 1
		.amdhsa_uses_dynamic_stack 0
		.amdhsa_enable_private_segment 0
		.amdhsa_system_sgpr_workgroup_id_x 1
		.amdhsa_system_sgpr_workgroup_id_y 0
		.amdhsa_system_sgpr_workgroup_id_z 0
		.amdhsa_system_sgpr_workgroup_info 0
		.amdhsa_system_vgpr_workitem_id 0
		.amdhsa_next_free_vgpr 1
		.amdhsa_next_free_sgpr 1
		.amdhsa_reserve_vcc 0
		.amdhsa_float_round_mode_32 0
		.amdhsa_float_round_mode_16_64 0
		.amdhsa_float_denorm_mode_32 3
		.amdhsa_float_denorm_mode_16_64 3
		.amdhsa_dx10_clamp 1
		.amdhsa_ieee_mode 1
		.amdhsa_fp16_overflow 0
		.amdhsa_workgroup_processor_mode 1
		.amdhsa_memory_ordered 1
		.amdhsa_forward_progress 0
		.amdhsa_shared_vgpr_count 0
		.amdhsa_exception_fp_ieee_invalid_op 0
		.amdhsa_exception_fp_denorm_src 0
		.amdhsa_exception_fp_ieee_div_zero 0
		.amdhsa_exception_fp_ieee_overflow 0
		.amdhsa_exception_fp_ieee_underflow 0
		.amdhsa_exception_fp_ieee_inexact 0
		.amdhsa_exception_int_div_zero 0
	.end_amdhsa_kernel
	.section	.text._ZN7rocprim17ROCPRIM_400000_NS6detail17trampoline_kernelINS0_13select_configILj256ELj13ELNS0_17block_load_methodE3ELS4_3ELS4_3ELNS0_20block_scan_algorithmE0ELj4294967295EEENS1_25partition_config_selectorILNS1_17partition_subalgoE3EjNS0_10empty_typeEbEEZZNS1_14partition_implILS8_3ELb0ES6_jNS0_17counting_iteratorIjlEEPS9_SE_NS0_5tupleIJPjSE_EEENSF_IJSE_SE_EEES9_SG_JZNS1_25segmented_radix_sort_implINS0_14default_configELb1EPKsPsPKlPlN2at6native12_GLOBAL__N_18offset_tEEE10hipError_tPvRmT1_PNSt15iterator_traitsISY_E10value_typeET2_T3_PNSZ_IS14_E10value_typeET4_jRbjT5_S1A_jjP12ihipStream_tbEUljE_EEESV_SW_SX_S14_S18_S1A_T6_T7_T9_mT8_S1C_bDpT10_ENKUlT_T0_E_clISt17integral_constantIbLb0EES1P_EEDaS1K_S1L_EUlS1K_E_NS1_11comp_targetILNS1_3genE3ELNS1_11target_archE908ELNS1_3gpuE7ELNS1_3repE0EEENS1_30default_config_static_selectorELNS0_4arch9wavefront6targetE0EEEvSY_,"axG",@progbits,_ZN7rocprim17ROCPRIM_400000_NS6detail17trampoline_kernelINS0_13select_configILj256ELj13ELNS0_17block_load_methodE3ELS4_3ELS4_3ELNS0_20block_scan_algorithmE0ELj4294967295EEENS1_25partition_config_selectorILNS1_17partition_subalgoE3EjNS0_10empty_typeEbEEZZNS1_14partition_implILS8_3ELb0ES6_jNS0_17counting_iteratorIjlEEPS9_SE_NS0_5tupleIJPjSE_EEENSF_IJSE_SE_EEES9_SG_JZNS1_25segmented_radix_sort_implINS0_14default_configELb1EPKsPsPKlPlN2at6native12_GLOBAL__N_18offset_tEEE10hipError_tPvRmT1_PNSt15iterator_traitsISY_E10value_typeET2_T3_PNSZ_IS14_E10value_typeET4_jRbjT5_S1A_jjP12ihipStream_tbEUljE_EEESV_SW_SX_S14_S18_S1A_T6_T7_T9_mT8_S1C_bDpT10_ENKUlT_T0_E_clISt17integral_constantIbLb0EES1P_EEDaS1K_S1L_EUlS1K_E_NS1_11comp_targetILNS1_3genE3ELNS1_11target_archE908ELNS1_3gpuE7ELNS1_3repE0EEENS1_30default_config_static_selectorELNS0_4arch9wavefront6targetE0EEEvSY_,comdat
.Lfunc_end882:
	.size	_ZN7rocprim17ROCPRIM_400000_NS6detail17trampoline_kernelINS0_13select_configILj256ELj13ELNS0_17block_load_methodE3ELS4_3ELS4_3ELNS0_20block_scan_algorithmE0ELj4294967295EEENS1_25partition_config_selectorILNS1_17partition_subalgoE3EjNS0_10empty_typeEbEEZZNS1_14partition_implILS8_3ELb0ES6_jNS0_17counting_iteratorIjlEEPS9_SE_NS0_5tupleIJPjSE_EEENSF_IJSE_SE_EEES9_SG_JZNS1_25segmented_radix_sort_implINS0_14default_configELb1EPKsPsPKlPlN2at6native12_GLOBAL__N_18offset_tEEE10hipError_tPvRmT1_PNSt15iterator_traitsISY_E10value_typeET2_T3_PNSZ_IS14_E10value_typeET4_jRbjT5_S1A_jjP12ihipStream_tbEUljE_EEESV_SW_SX_S14_S18_S1A_T6_T7_T9_mT8_S1C_bDpT10_ENKUlT_T0_E_clISt17integral_constantIbLb0EES1P_EEDaS1K_S1L_EUlS1K_E_NS1_11comp_targetILNS1_3genE3ELNS1_11target_archE908ELNS1_3gpuE7ELNS1_3repE0EEENS1_30default_config_static_selectorELNS0_4arch9wavefront6targetE0EEEvSY_, .Lfunc_end882-_ZN7rocprim17ROCPRIM_400000_NS6detail17trampoline_kernelINS0_13select_configILj256ELj13ELNS0_17block_load_methodE3ELS4_3ELS4_3ELNS0_20block_scan_algorithmE0ELj4294967295EEENS1_25partition_config_selectorILNS1_17partition_subalgoE3EjNS0_10empty_typeEbEEZZNS1_14partition_implILS8_3ELb0ES6_jNS0_17counting_iteratorIjlEEPS9_SE_NS0_5tupleIJPjSE_EEENSF_IJSE_SE_EEES9_SG_JZNS1_25segmented_radix_sort_implINS0_14default_configELb1EPKsPsPKlPlN2at6native12_GLOBAL__N_18offset_tEEE10hipError_tPvRmT1_PNSt15iterator_traitsISY_E10value_typeET2_T3_PNSZ_IS14_E10value_typeET4_jRbjT5_S1A_jjP12ihipStream_tbEUljE_EEESV_SW_SX_S14_S18_S1A_T6_T7_T9_mT8_S1C_bDpT10_ENKUlT_T0_E_clISt17integral_constantIbLb0EES1P_EEDaS1K_S1L_EUlS1K_E_NS1_11comp_targetILNS1_3genE3ELNS1_11target_archE908ELNS1_3gpuE7ELNS1_3repE0EEENS1_30default_config_static_selectorELNS0_4arch9wavefront6targetE0EEEvSY_
                                        ; -- End function
	.section	.AMDGPU.csdata,"",@progbits
; Kernel info:
; codeLenInByte = 0
; NumSgprs: 0
; NumVgprs: 0
; ScratchSize: 0
; MemoryBound: 0
; FloatMode: 240
; IeeeMode: 1
; LDSByteSize: 0 bytes/workgroup (compile time only)
; SGPRBlocks: 0
; VGPRBlocks: 0
; NumSGPRsForWavesPerEU: 1
; NumVGPRsForWavesPerEU: 1
; Occupancy: 16
; WaveLimiterHint : 0
; COMPUTE_PGM_RSRC2:SCRATCH_EN: 0
; COMPUTE_PGM_RSRC2:USER_SGPR: 15
; COMPUTE_PGM_RSRC2:TRAP_HANDLER: 0
; COMPUTE_PGM_RSRC2:TGID_X_EN: 1
; COMPUTE_PGM_RSRC2:TGID_Y_EN: 0
; COMPUTE_PGM_RSRC2:TGID_Z_EN: 0
; COMPUTE_PGM_RSRC2:TIDIG_COMP_CNT: 0
	.section	.text._ZN7rocprim17ROCPRIM_400000_NS6detail17trampoline_kernelINS0_13select_configILj256ELj13ELNS0_17block_load_methodE3ELS4_3ELS4_3ELNS0_20block_scan_algorithmE0ELj4294967295EEENS1_25partition_config_selectorILNS1_17partition_subalgoE3EjNS0_10empty_typeEbEEZZNS1_14partition_implILS8_3ELb0ES6_jNS0_17counting_iteratorIjlEEPS9_SE_NS0_5tupleIJPjSE_EEENSF_IJSE_SE_EEES9_SG_JZNS1_25segmented_radix_sort_implINS0_14default_configELb1EPKsPsPKlPlN2at6native12_GLOBAL__N_18offset_tEEE10hipError_tPvRmT1_PNSt15iterator_traitsISY_E10value_typeET2_T3_PNSZ_IS14_E10value_typeET4_jRbjT5_S1A_jjP12ihipStream_tbEUljE_EEESV_SW_SX_S14_S18_S1A_T6_T7_T9_mT8_S1C_bDpT10_ENKUlT_T0_E_clISt17integral_constantIbLb0EES1P_EEDaS1K_S1L_EUlS1K_E_NS1_11comp_targetILNS1_3genE2ELNS1_11target_archE906ELNS1_3gpuE6ELNS1_3repE0EEENS1_30default_config_static_selectorELNS0_4arch9wavefront6targetE0EEEvSY_,"axG",@progbits,_ZN7rocprim17ROCPRIM_400000_NS6detail17trampoline_kernelINS0_13select_configILj256ELj13ELNS0_17block_load_methodE3ELS4_3ELS4_3ELNS0_20block_scan_algorithmE0ELj4294967295EEENS1_25partition_config_selectorILNS1_17partition_subalgoE3EjNS0_10empty_typeEbEEZZNS1_14partition_implILS8_3ELb0ES6_jNS0_17counting_iteratorIjlEEPS9_SE_NS0_5tupleIJPjSE_EEENSF_IJSE_SE_EEES9_SG_JZNS1_25segmented_radix_sort_implINS0_14default_configELb1EPKsPsPKlPlN2at6native12_GLOBAL__N_18offset_tEEE10hipError_tPvRmT1_PNSt15iterator_traitsISY_E10value_typeET2_T3_PNSZ_IS14_E10value_typeET4_jRbjT5_S1A_jjP12ihipStream_tbEUljE_EEESV_SW_SX_S14_S18_S1A_T6_T7_T9_mT8_S1C_bDpT10_ENKUlT_T0_E_clISt17integral_constantIbLb0EES1P_EEDaS1K_S1L_EUlS1K_E_NS1_11comp_targetILNS1_3genE2ELNS1_11target_archE906ELNS1_3gpuE6ELNS1_3repE0EEENS1_30default_config_static_selectorELNS0_4arch9wavefront6targetE0EEEvSY_,comdat
	.globl	_ZN7rocprim17ROCPRIM_400000_NS6detail17trampoline_kernelINS0_13select_configILj256ELj13ELNS0_17block_load_methodE3ELS4_3ELS4_3ELNS0_20block_scan_algorithmE0ELj4294967295EEENS1_25partition_config_selectorILNS1_17partition_subalgoE3EjNS0_10empty_typeEbEEZZNS1_14partition_implILS8_3ELb0ES6_jNS0_17counting_iteratorIjlEEPS9_SE_NS0_5tupleIJPjSE_EEENSF_IJSE_SE_EEES9_SG_JZNS1_25segmented_radix_sort_implINS0_14default_configELb1EPKsPsPKlPlN2at6native12_GLOBAL__N_18offset_tEEE10hipError_tPvRmT1_PNSt15iterator_traitsISY_E10value_typeET2_T3_PNSZ_IS14_E10value_typeET4_jRbjT5_S1A_jjP12ihipStream_tbEUljE_EEESV_SW_SX_S14_S18_S1A_T6_T7_T9_mT8_S1C_bDpT10_ENKUlT_T0_E_clISt17integral_constantIbLb0EES1P_EEDaS1K_S1L_EUlS1K_E_NS1_11comp_targetILNS1_3genE2ELNS1_11target_archE906ELNS1_3gpuE6ELNS1_3repE0EEENS1_30default_config_static_selectorELNS0_4arch9wavefront6targetE0EEEvSY_ ; -- Begin function _ZN7rocprim17ROCPRIM_400000_NS6detail17trampoline_kernelINS0_13select_configILj256ELj13ELNS0_17block_load_methodE3ELS4_3ELS4_3ELNS0_20block_scan_algorithmE0ELj4294967295EEENS1_25partition_config_selectorILNS1_17partition_subalgoE3EjNS0_10empty_typeEbEEZZNS1_14partition_implILS8_3ELb0ES6_jNS0_17counting_iteratorIjlEEPS9_SE_NS0_5tupleIJPjSE_EEENSF_IJSE_SE_EEES9_SG_JZNS1_25segmented_radix_sort_implINS0_14default_configELb1EPKsPsPKlPlN2at6native12_GLOBAL__N_18offset_tEEE10hipError_tPvRmT1_PNSt15iterator_traitsISY_E10value_typeET2_T3_PNSZ_IS14_E10value_typeET4_jRbjT5_S1A_jjP12ihipStream_tbEUljE_EEESV_SW_SX_S14_S18_S1A_T6_T7_T9_mT8_S1C_bDpT10_ENKUlT_T0_E_clISt17integral_constantIbLb0EES1P_EEDaS1K_S1L_EUlS1K_E_NS1_11comp_targetILNS1_3genE2ELNS1_11target_archE906ELNS1_3gpuE6ELNS1_3repE0EEENS1_30default_config_static_selectorELNS0_4arch9wavefront6targetE0EEEvSY_
	.p2align	8
	.type	_ZN7rocprim17ROCPRIM_400000_NS6detail17trampoline_kernelINS0_13select_configILj256ELj13ELNS0_17block_load_methodE3ELS4_3ELS4_3ELNS0_20block_scan_algorithmE0ELj4294967295EEENS1_25partition_config_selectorILNS1_17partition_subalgoE3EjNS0_10empty_typeEbEEZZNS1_14partition_implILS8_3ELb0ES6_jNS0_17counting_iteratorIjlEEPS9_SE_NS0_5tupleIJPjSE_EEENSF_IJSE_SE_EEES9_SG_JZNS1_25segmented_radix_sort_implINS0_14default_configELb1EPKsPsPKlPlN2at6native12_GLOBAL__N_18offset_tEEE10hipError_tPvRmT1_PNSt15iterator_traitsISY_E10value_typeET2_T3_PNSZ_IS14_E10value_typeET4_jRbjT5_S1A_jjP12ihipStream_tbEUljE_EEESV_SW_SX_S14_S18_S1A_T6_T7_T9_mT8_S1C_bDpT10_ENKUlT_T0_E_clISt17integral_constantIbLb0EES1P_EEDaS1K_S1L_EUlS1K_E_NS1_11comp_targetILNS1_3genE2ELNS1_11target_archE906ELNS1_3gpuE6ELNS1_3repE0EEENS1_30default_config_static_selectorELNS0_4arch9wavefront6targetE0EEEvSY_,@function
_ZN7rocprim17ROCPRIM_400000_NS6detail17trampoline_kernelINS0_13select_configILj256ELj13ELNS0_17block_load_methodE3ELS4_3ELS4_3ELNS0_20block_scan_algorithmE0ELj4294967295EEENS1_25partition_config_selectorILNS1_17partition_subalgoE3EjNS0_10empty_typeEbEEZZNS1_14partition_implILS8_3ELb0ES6_jNS0_17counting_iteratorIjlEEPS9_SE_NS0_5tupleIJPjSE_EEENSF_IJSE_SE_EEES9_SG_JZNS1_25segmented_radix_sort_implINS0_14default_configELb1EPKsPsPKlPlN2at6native12_GLOBAL__N_18offset_tEEE10hipError_tPvRmT1_PNSt15iterator_traitsISY_E10value_typeET2_T3_PNSZ_IS14_E10value_typeET4_jRbjT5_S1A_jjP12ihipStream_tbEUljE_EEESV_SW_SX_S14_S18_S1A_T6_T7_T9_mT8_S1C_bDpT10_ENKUlT_T0_E_clISt17integral_constantIbLb0EES1P_EEDaS1K_S1L_EUlS1K_E_NS1_11comp_targetILNS1_3genE2ELNS1_11target_archE906ELNS1_3gpuE6ELNS1_3repE0EEENS1_30default_config_static_selectorELNS0_4arch9wavefront6targetE0EEEvSY_: ; @_ZN7rocprim17ROCPRIM_400000_NS6detail17trampoline_kernelINS0_13select_configILj256ELj13ELNS0_17block_load_methodE3ELS4_3ELS4_3ELNS0_20block_scan_algorithmE0ELj4294967295EEENS1_25partition_config_selectorILNS1_17partition_subalgoE3EjNS0_10empty_typeEbEEZZNS1_14partition_implILS8_3ELb0ES6_jNS0_17counting_iteratorIjlEEPS9_SE_NS0_5tupleIJPjSE_EEENSF_IJSE_SE_EEES9_SG_JZNS1_25segmented_radix_sort_implINS0_14default_configELb1EPKsPsPKlPlN2at6native12_GLOBAL__N_18offset_tEEE10hipError_tPvRmT1_PNSt15iterator_traitsISY_E10value_typeET2_T3_PNSZ_IS14_E10value_typeET4_jRbjT5_S1A_jjP12ihipStream_tbEUljE_EEESV_SW_SX_S14_S18_S1A_T6_T7_T9_mT8_S1C_bDpT10_ENKUlT_T0_E_clISt17integral_constantIbLb0EES1P_EEDaS1K_S1L_EUlS1K_E_NS1_11comp_targetILNS1_3genE2ELNS1_11target_archE906ELNS1_3gpuE6ELNS1_3repE0EEENS1_30default_config_static_selectorELNS0_4arch9wavefront6targetE0EEEvSY_
; %bb.0:
	.section	.rodata,"a",@progbits
	.p2align	6, 0x0
	.amdhsa_kernel _ZN7rocprim17ROCPRIM_400000_NS6detail17trampoline_kernelINS0_13select_configILj256ELj13ELNS0_17block_load_methodE3ELS4_3ELS4_3ELNS0_20block_scan_algorithmE0ELj4294967295EEENS1_25partition_config_selectorILNS1_17partition_subalgoE3EjNS0_10empty_typeEbEEZZNS1_14partition_implILS8_3ELb0ES6_jNS0_17counting_iteratorIjlEEPS9_SE_NS0_5tupleIJPjSE_EEENSF_IJSE_SE_EEES9_SG_JZNS1_25segmented_radix_sort_implINS0_14default_configELb1EPKsPsPKlPlN2at6native12_GLOBAL__N_18offset_tEEE10hipError_tPvRmT1_PNSt15iterator_traitsISY_E10value_typeET2_T3_PNSZ_IS14_E10value_typeET4_jRbjT5_S1A_jjP12ihipStream_tbEUljE_EEESV_SW_SX_S14_S18_S1A_T6_T7_T9_mT8_S1C_bDpT10_ENKUlT_T0_E_clISt17integral_constantIbLb0EES1P_EEDaS1K_S1L_EUlS1K_E_NS1_11comp_targetILNS1_3genE2ELNS1_11target_archE906ELNS1_3gpuE6ELNS1_3repE0EEENS1_30default_config_static_selectorELNS0_4arch9wavefront6targetE0EEEvSY_
		.amdhsa_group_segment_fixed_size 0
		.amdhsa_private_segment_fixed_size 0
		.amdhsa_kernarg_size 144
		.amdhsa_user_sgpr_count 15
		.amdhsa_user_sgpr_dispatch_ptr 0
		.amdhsa_user_sgpr_queue_ptr 0
		.amdhsa_user_sgpr_kernarg_segment_ptr 1
		.amdhsa_user_sgpr_dispatch_id 0
		.amdhsa_user_sgpr_private_segment_size 0
		.amdhsa_wavefront_size32 1
		.amdhsa_uses_dynamic_stack 0
		.amdhsa_enable_private_segment 0
		.amdhsa_system_sgpr_workgroup_id_x 1
		.amdhsa_system_sgpr_workgroup_id_y 0
		.amdhsa_system_sgpr_workgroup_id_z 0
		.amdhsa_system_sgpr_workgroup_info 0
		.amdhsa_system_vgpr_workitem_id 0
		.amdhsa_next_free_vgpr 1
		.amdhsa_next_free_sgpr 1
		.amdhsa_reserve_vcc 0
		.amdhsa_float_round_mode_32 0
		.amdhsa_float_round_mode_16_64 0
		.amdhsa_float_denorm_mode_32 3
		.amdhsa_float_denorm_mode_16_64 3
		.amdhsa_dx10_clamp 1
		.amdhsa_ieee_mode 1
		.amdhsa_fp16_overflow 0
		.amdhsa_workgroup_processor_mode 1
		.amdhsa_memory_ordered 1
		.amdhsa_forward_progress 0
		.amdhsa_shared_vgpr_count 0
		.amdhsa_exception_fp_ieee_invalid_op 0
		.amdhsa_exception_fp_denorm_src 0
		.amdhsa_exception_fp_ieee_div_zero 0
		.amdhsa_exception_fp_ieee_overflow 0
		.amdhsa_exception_fp_ieee_underflow 0
		.amdhsa_exception_fp_ieee_inexact 0
		.amdhsa_exception_int_div_zero 0
	.end_amdhsa_kernel
	.section	.text._ZN7rocprim17ROCPRIM_400000_NS6detail17trampoline_kernelINS0_13select_configILj256ELj13ELNS0_17block_load_methodE3ELS4_3ELS4_3ELNS0_20block_scan_algorithmE0ELj4294967295EEENS1_25partition_config_selectorILNS1_17partition_subalgoE3EjNS0_10empty_typeEbEEZZNS1_14partition_implILS8_3ELb0ES6_jNS0_17counting_iteratorIjlEEPS9_SE_NS0_5tupleIJPjSE_EEENSF_IJSE_SE_EEES9_SG_JZNS1_25segmented_radix_sort_implINS0_14default_configELb1EPKsPsPKlPlN2at6native12_GLOBAL__N_18offset_tEEE10hipError_tPvRmT1_PNSt15iterator_traitsISY_E10value_typeET2_T3_PNSZ_IS14_E10value_typeET4_jRbjT5_S1A_jjP12ihipStream_tbEUljE_EEESV_SW_SX_S14_S18_S1A_T6_T7_T9_mT8_S1C_bDpT10_ENKUlT_T0_E_clISt17integral_constantIbLb0EES1P_EEDaS1K_S1L_EUlS1K_E_NS1_11comp_targetILNS1_3genE2ELNS1_11target_archE906ELNS1_3gpuE6ELNS1_3repE0EEENS1_30default_config_static_selectorELNS0_4arch9wavefront6targetE0EEEvSY_,"axG",@progbits,_ZN7rocprim17ROCPRIM_400000_NS6detail17trampoline_kernelINS0_13select_configILj256ELj13ELNS0_17block_load_methodE3ELS4_3ELS4_3ELNS0_20block_scan_algorithmE0ELj4294967295EEENS1_25partition_config_selectorILNS1_17partition_subalgoE3EjNS0_10empty_typeEbEEZZNS1_14partition_implILS8_3ELb0ES6_jNS0_17counting_iteratorIjlEEPS9_SE_NS0_5tupleIJPjSE_EEENSF_IJSE_SE_EEES9_SG_JZNS1_25segmented_radix_sort_implINS0_14default_configELb1EPKsPsPKlPlN2at6native12_GLOBAL__N_18offset_tEEE10hipError_tPvRmT1_PNSt15iterator_traitsISY_E10value_typeET2_T3_PNSZ_IS14_E10value_typeET4_jRbjT5_S1A_jjP12ihipStream_tbEUljE_EEESV_SW_SX_S14_S18_S1A_T6_T7_T9_mT8_S1C_bDpT10_ENKUlT_T0_E_clISt17integral_constantIbLb0EES1P_EEDaS1K_S1L_EUlS1K_E_NS1_11comp_targetILNS1_3genE2ELNS1_11target_archE906ELNS1_3gpuE6ELNS1_3repE0EEENS1_30default_config_static_selectorELNS0_4arch9wavefront6targetE0EEEvSY_,comdat
.Lfunc_end883:
	.size	_ZN7rocprim17ROCPRIM_400000_NS6detail17trampoline_kernelINS0_13select_configILj256ELj13ELNS0_17block_load_methodE3ELS4_3ELS4_3ELNS0_20block_scan_algorithmE0ELj4294967295EEENS1_25partition_config_selectorILNS1_17partition_subalgoE3EjNS0_10empty_typeEbEEZZNS1_14partition_implILS8_3ELb0ES6_jNS0_17counting_iteratorIjlEEPS9_SE_NS0_5tupleIJPjSE_EEENSF_IJSE_SE_EEES9_SG_JZNS1_25segmented_radix_sort_implINS0_14default_configELb1EPKsPsPKlPlN2at6native12_GLOBAL__N_18offset_tEEE10hipError_tPvRmT1_PNSt15iterator_traitsISY_E10value_typeET2_T3_PNSZ_IS14_E10value_typeET4_jRbjT5_S1A_jjP12ihipStream_tbEUljE_EEESV_SW_SX_S14_S18_S1A_T6_T7_T9_mT8_S1C_bDpT10_ENKUlT_T0_E_clISt17integral_constantIbLb0EES1P_EEDaS1K_S1L_EUlS1K_E_NS1_11comp_targetILNS1_3genE2ELNS1_11target_archE906ELNS1_3gpuE6ELNS1_3repE0EEENS1_30default_config_static_selectorELNS0_4arch9wavefront6targetE0EEEvSY_, .Lfunc_end883-_ZN7rocprim17ROCPRIM_400000_NS6detail17trampoline_kernelINS0_13select_configILj256ELj13ELNS0_17block_load_methodE3ELS4_3ELS4_3ELNS0_20block_scan_algorithmE0ELj4294967295EEENS1_25partition_config_selectorILNS1_17partition_subalgoE3EjNS0_10empty_typeEbEEZZNS1_14partition_implILS8_3ELb0ES6_jNS0_17counting_iteratorIjlEEPS9_SE_NS0_5tupleIJPjSE_EEENSF_IJSE_SE_EEES9_SG_JZNS1_25segmented_radix_sort_implINS0_14default_configELb1EPKsPsPKlPlN2at6native12_GLOBAL__N_18offset_tEEE10hipError_tPvRmT1_PNSt15iterator_traitsISY_E10value_typeET2_T3_PNSZ_IS14_E10value_typeET4_jRbjT5_S1A_jjP12ihipStream_tbEUljE_EEESV_SW_SX_S14_S18_S1A_T6_T7_T9_mT8_S1C_bDpT10_ENKUlT_T0_E_clISt17integral_constantIbLb0EES1P_EEDaS1K_S1L_EUlS1K_E_NS1_11comp_targetILNS1_3genE2ELNS1_11target_archE906ELNS1_3gpuE6ELNS1_3repE0EEENS1_30default_config_static_selectorELNS0_4arch9wavefront6targetE0EEEvSY_
                                        ; -- End function
	.section	.AMDGPU.csdata,"",@progbits
; Kernel info:
; codeLenInByte = 0
; NumSgprs: 0
; NumVgprs: 0
; ScratchSize: 0
; MemoryBound: 0
; FloatMode: 240
; IeeeMode: 1
; LDSByteSize: 0 bytes/workgroup (compile time only)
; SGPRBlocks: 0
; VGPRBlocks: 0
; NumSGPRsForWavesPerEU: 1
; NumVGPRsForWavesPerEU: 1
; Occupancy: 16
; WaveLimiterHint : 0
; COMPUTE_PGM_RSRC2:SCRATCH_EN: 0
; COMPUTE_PGM_RSRC2:USER_SGPR: 15
; COMPUTE_PGM_RSRC2:TRAP_HANDLER: 0
; COMPUTE_PGM_RSRC2:TGID_X_EN: 1
; COMPUTE_PGM_RSRC2:TGID_Y_EN: 0
; COMPUTE_PGM_RSRC2:TGID_Z_EN: 0
; COMPUTE_PGM_RSRC2:TIDIG_COMP_CNT: 0
	.section	.text._ZN7rocprim17ROCPRIM_400000_NS6detail17trampoline_kernelINS0_13select_configILj256ELj13ELNS0_17block_load_methodE3ELS4_3ELS4_3ELNS0_20block_scan_algorithmE0ELj4294967295EEENS1_25partition_config_selectorILNS1_17partition_subalgoE3EjNS0_10empty_typeEbEEZZNS1_14partition_implILS8_3ELb0ES6_jNS0_17counting_iteratorIjlEEPS9_SE_NS0_5tupleIJPjSE_EEENSF_IJSE_SE_EEES9_SG_JZNS1_25segmented_radix_sort_implINS0_14default_configELb1EPKsPsPKlPlN2at6native12_GLOBAL__N_18offset_tEEE10hipError_tPvRmT1_PNSt15iterator_traitsISY_E10value_typeET2_T3_PNSZ_IS14_E10value_typeET4_jRbjT5_S1A_jjP12ihipStream_tbEUljE_EEESV_SW_SX_S14_S18_S1A_T6_T7_T9_mT8_S1C_bDpT10_ENKUlT_T0_E_clISt17integral_constantIbLb0EES1P_EEDaS1K_S1L_EUlS1K_E_NS1_11comp_targetILNS1_3genE10ELNS1_11target_archE1200ELNS1_3gpuE4ELNS1_3repE0EEENS1_30default_config_static_selectorELNS0_4arch9wavefront6targetE0EEEvSY_,"axG",@progbits,_ZN7rocprim17ROCPRIM_400000_NS6detail17trampoline_kernelINS0_13select_configILj256ELj13ELNS0_17block_load_methodE3ELS4_3ELS4_3ELNS0_20block_scan_algorithmE0ELj4294967295EEENS1_25partition_config_selectorILNS1_17partition_subalgoE3EjNS0_10empty_typeEbEEZZNS1_14partition_implILS8_3ELb0ES6_jNS0_17counting_iteratorIjlEEPS9_SE_NS0_5tupleIJPjSE_EEENSF_IJSE_SE_EEES9_SG_JZNS1_25segmented_radix_sort_implINS0_14default_configELb1EPKsPsPKlPlN2at6native12_GLOBAL__N_18offset_tEEE10hipError_tPvRmT1_PNSt15iterator_traitsISY_E10value_typeET2_T3_PNSZ_IS14_E10value_typeET4_jRbjT5_S1A_jjP12ihipStream_tbEUljE_EEESV_SW_SX_S14_S18_S1A_T6_T7_T9_mT8_S1C_bDpT10_ENKUlT_T0_E_clISt17integral_constantIbLb0EES1P_EEDaS1K_S1L_EUlS1K_E_NS1_11comp_targetILNS1_3genE10ELNS1_11target_archE1200ELNS1_3gpuE4ELNS1_3repE0EEENS1_30default_config_static_selectorELNS0_4arch9wavefront6targetE0EEEvSY_,comdat
	.globl	_ZN7rocprim17ROCPRIM_400000_NS6detail17trampoline_kernelINS0_13select_configILj256ELj13ELNS0_17block_load_methodE3ELS4_3ELS4_3ELNS0_20block_scan_algorithmE0ELj4294967295EEENS1_25partition_config_selectorILNS1_17partition_subalgoE3EjNS0_10empty_typeEbEEZZNS1_14partition_implILS8_3ELb0ES6_jNS0_17counting_iteratorIjlEEPS9_SE_NS0_5tupleIJPjSE_EEENSF_IJSE_SE_EEES9_SG_JZNS1_25segmented_radix_sort_implINS0_14default_configELb1EPKsPsPKlPlN2at6native12_GLOBAL__N_18offset_tEEE10hipError_tPvRmT1_PNSt15iterator_traitsISY_E10value_typeET2_T3_PNSZ_IS14_E10value_typeET4_jRbjT5_S1A_jjP12ihipStream_tbEUljE_EEESV_SW_SX_S14_S18_S1A_T6_T7_T9_mT8_S1C_bDpT10_ENKUlT_T0_E_clISt17integral_constantIbLb0EES1P_EEDaS1K_S1L_EUlS1K_E_NS1_11comp_targetILNS1_3genE10ELNS1_11target_archE1200ELNS1_3gpuE4ELNS1_3repE0EEENS1_30default_config_static_selectorELNS0_4arch9wavefront6targetE0EEEvSY_ ; -- Begin function _ZN7rocprim17ROCPRIM_400000_NS6detail17trampoline_kernelINS0_13select_configILj256ELj13ELNS0_17block_load_methodE3ELS4_3ELS4_3ELNS0_20block_scan_algorithmE0ELj4294967295EEENS1_25partition_config_selectorILNS1_17partition_subalgoE3EjNS0_10empty_typeEbEEZZNS1_14partition_implILS8_3ELb0ES6_jNS0_17counting_iteratorIjlEEPS9_SE_NS0_5tupleIJPjSE_EEENSF_IJSE_SE_EEES9_SG_JZNS1_25segmented_radix_sort_implINS0_14default_configELb1EPKsPsPKlPlN2at6native12_GLOBAL__N_18offset_tEEE10hipError_tPvRmT1_PNSt15iterator_traitsISY_E10value_typeET2_T3_PNSZ_IS14_E10value_typeET4_jRbjT5_S1A_jjP12ihipStream_tbEUljE_EEESV_SW_SX_S14_S18_S1A_T6_T7_T9_mT8_S1C_bDpT10_ENKUlT_T0_E_clISt17integral_constantIbLb0EES1P_EEDaS1K_S1L_EUlS1K_E_NS1_11comp_targetILNS1_3genE10ELNS1_11target_archE1200ELNS1_3gpuE4ELNS1_3repE0EEENS1_30default_config_static_selectorELNS0_4arch9wavefront6targetE0EEEvSY_
	.p2align	8
	.type	_ZN7rocprim17ROCPRIM_400000_NS6detail17trampoline_kernelINS0_13select_configILj256ELj13ELNS0_17block_load_methodE3ELS4_3ELS4_3ELNS0_20block_scan_algorithmE0ELj4294967295EEENS1_25partition_config_selectorILNS1_17partition_subalgoE3EjNS0_10empty_typeEbEEZZNS1_14partition_implILS8_3ELb0ES6_jNS0_17counting_iteratorIjlEEPS9_SE_NS0_5tupleIJPjSE_EEENSF_IJSE_SE_EEES9_SG_JZNS1_25segmented_radix_sort_implINS0_14default_configELb1EPKsPsPKlPlN2at6native12_GLOBAL__N_18offset_tEEE10hipError_tPvRmT1_PNSt15iterator_traitsISY_E10value_typeET2_T3_PNSZ_IS14_E10value_typeET4_jRbjT5_S1A_jjP12ihipStream_tbEUljE_EEESV_SW_SX_S14_S18_S1A_T6_T7_T9_mT8_S1C_bDpT10_ENKUlT_T0_E_clISt17integral_constantIbLb0EES1P_EEDaS1K_S1L_EUlS1K_E_NS1_11comp_targetILNS1_3genE10ELNS1_11target_archE1200ELNS1_3gpuE4ELNS1_3repE0EEENS1_30default_config_static_selectorELNS0_4arch9wavefront6targetE0EEEvSY_,@function
_ZN7rocprim17ROCPRIM_400000_NS6detail17trampoline_kernelINS0_13select_configILj256ELj13ELNS0_17block_load_methodE3ELS4_3ELS4_3ELNS0_20block_scan_algorithmE0ELj4294967295EEENS1_25partition_config_selectorILNS1_17partition_subalgoE3EjNS0_10empty_typeEbEEZZNS1_14partition_implILS8_3ELb0ES6_jNS0_17counting_iteratorIjlEEPS9_SE_NS0_5tupleIJPjSE_EEENSF_IJSE_SE_EEES9_SG_JZNS1_25segmented_radix_sort_implINS0_14default_configELb1EPKsPsPKlPlN2at6native12_GLOBAL__N_18offset_tEEE10hipError_tPvRmT1_PNSt15iterator_traitsISY_E10value_typeET2_T3_PNSZ_IS14_E10value_typeET4_jRbjT5_S1A_jjP12ihipStream_tbEUljE_EEESV_SW_SX_S14_S18_S1A_T6_T7_T9_mT8_S1C_bDpT10_ENKUlT_T0_E_clISt17integral_constantIbLb0EES1P_EEDaS1K_S1L_EUlS1K_E_NS1_11comp_targetILNS1_3genE10ELNS1_11target_archE1200ELNS1_3gpuE4ELNS1_3repE0EEENS1_30default_config_static_selectorELNS0_4arch9wavefront6targetE0EEEvSY_: ; @_ZN7rocprim17ROCPRIM_400000_NS6detail17trampoline_kernelINS0_13select_configILj256ELj13ELNS0_17block_load_methodE3ELS4_3ELS4_3ELNS0_20block_scan_algorithmE0ELj4294967295EEENS1_25partition_config_selectorILNS1_17partition_subalgoE3EjNS0_10empty_typeEbEEZZNS1_14partition_implILS8_3ELb0ES6_jNS0_17counting_iteratorIjlEEPS9_SE_NS0_5tupleIJPjSE_EEENSF_IJSE_SE_EEES9_SG_JZNS1_25segmented_radix_sort_implINS0_14default_configELb1EPKsPsPKlPlN2at6native12_GLOBAL__N_18offset_tEEE10hipError_tPvRmT1_PNSt15iterator_traitsISY_E10value_typeET2_T3_PNSZ_IS14_E10value_typeET4_jRbjT5_S1A_jjP12ihipStream_tbEUljE_EEESV_SW_SX_S14_S18_S1A_T6_T7_T9_mT8_S1C_bDpT10_ENKUlT_T0_E_clISt17integral_constantIbLb0EES1P_EEDaS1K_S1L_EUlS1K_E_NS1_11comp_targetILNS1_3genE10ELNS1_11target_archE1200ELNS1_3gpuE4ELNS1_3repE0EEENS1_30default_config_static_selectorELNS0_4arch9wavefront6targetE0EEEvSY_
; %bb.0:
	.section	.rodata,"a",@progbits
	.p2align	6, 0x0
	.amdhsa_kernel _ZN7rocprim17ROCPRIM_400000_NS6detail17trampoline_kernelINS0_13select_configILj256ELj13ELNS0_17block_load_methodE3ELS4_3ELS4_3ELNS0_20block_scan_algorithmE0ELj4294967295EEENS1_25partition_config_selectorILNS1_17partition_subalgoE3EjNS0_10empty_typeEbEEZZNS1_14partition_implILS8_3ELb0ES6_jNS0_17counting_iteratorIjlEEPS9_SE_NS0_5tupleIJPjSE_EEENSF_IJSE_SE_EEES9_SG_JZNS1_25segmented_radix_sort_implINS0_14default_configELb1EPKsPsPKlPlN2at6native12_GLOBAL__N_18offset_tEEE10hipError_tPvRmT1_PNSt15iterator_traitsISY_E10value_typeET2_T3_PNSZ_IS14_E10value_typeET4_jRbjT5_S1A_jjP12ihipStream_tbEUljE_EEESV_SW_SX_S14_S18_S1A_T6_T7_T9_mT8_S1C_bDpT10_ENKUlT_T0_E_clISt17integral_constantIbLb0EES1P_EEDaS1K_S1L_EUlS1K_E_NS1_11comp_targetILNS1_3genE10ELNS1_11target_archE1200ELNS1_3gpuE4ELNS1_3repE0EEENS1_30default_config_static_selectorELNS0_4arch9wavefront6targetE0EEEvSY_
		.amdhsa_group_segment_fixed_size 0
		.amdhsa_private_segment_fixed_size 0
		.amdhsa_kernarg_size 144
		.amdhsa_user_sgpr_count 15
		.amdhsa_user_sgpr_dispatch_ptr 0
		.amdhsa_user_sgpr_queue_ptr 0
		.amdhsa_user_sgpr_kernarg_segment_ptr 1
		.amdhsa_user_sgpr_dispatch_id 0
		.amdhsa_user_sgpr_private_segment_size 0
		.amdhsa_wavefront_size32 1
		.amdhsa_uses_dynamic_stack 0
		.amdhsa_enable_private_segment 0
		.amdhsa_system_sgpr_workgroup_id_x 1
		.amdhsa_system_sgpr_workgroup_id_y 0
		.amdhsa_system_sgpr_workgroup_id_z 0
		.amdhsa_system_sgpr_workgroup_info 0
		.amdhsa_system_vgpr_workitem_id 0
		.amdhsa_next_free_vgpr 1
		.amdhsa_next_free_sgpr 1
		.amdhsa_reserve_vcc 0
		.amdhsa_float_round_mode_32 0
		.amdhsa_float_round_mode_16_64 0
		.amdhsa_float_denorm_mode_32 3
		.amdhsa_float_denorm_mode_16_64 3
		.amdhsa_dx10_clamp 1
		.amdhsa_ieee_mode 1
		.amdhsa_fp16_overflow 0
		.amdhsa_workgroup_processor_mode 1
		.amdhsa_memory_ordered 1
		.amdhsa_forward_progress 0
		.amdhsa_shared_vgpr_count 0
		.amdhsa_exception_fp_ieee_invalid_op 0
		.amdhsa_exception_fp_denorm_src 0
		.amdhsa_exception_fp_ieee_div_zero 0
		.amdhsa_exception_fp_ieee_overflow 0
		.amdhsa_exception_fp_ieee_underflow 0
		.amdhsa_exception_fp_ieee_inexact 0
		.amdhsa_exception_int_div_zero 0
	.end_amdhsa_kernel
	.section	.text._ZN7rocprim17ROCPRIM_400000_NS6detail17trampoline_kernelINS0_13select_configILj256ELj13ELNS0_17block_load_methodE3ELS4_3ELS4_3ELNS0_20block_scan_algorithmE0ELj4294967295EEENS1_25partition_config_selectorILNS1_17partition_subalgoE3EjNS0_10empty_typeEbEEZZNS1_14partition_implILS8_3ELb0ES6_jNS0_17counting_iteratorIjlEEPS9_SE_NS0_5tupleIJPjSE_EEENSF_IJSE_SE_EEES9_SG_JZNS1_25segmented_radix_sort_implINS0_14default_configELb1EPKsPsPKlPlN2at6native12_GLOBAL__N_18offset_tEEE10hipError_tPvRmT1_PNSt15iterator_traitsISY_E10value_typeET2_T3_PNSZ_IS14_E10value_typeET4_jRbjT5_S1A_jjP12ihipStream_tbEUljE_EEESV_SW_SX_S14_S18_S1A_T6_T7_T9_mT8_S1C_bDpT10_ENKUlT_T0_E_clISt17integral_constantIbLb0EES1P_EEDaS1K_S1L_EUlS1K_E_NS1_11comp_targetILNS1_3genE10ELNS1_11target_archE1200ELNS1_3gpuE4ELNS1_3repE0EEENS1_30default_config_static_selectorELNS0_4arch9wavefront6targetE0EEEvSY_,"axG",@progbits,_ZN7rocprim17ROCPRIM_400000_NS6detail17trampoline_kernelINS0_13select_configILj256ELj13ELNS0_17block_load_methodE3ELS4_3ELS4_3ELNS0_20block_scan_algorithmE0ELj4294967295EEENS1_25partition_config_selectorILNS1_17partition_subalgoE3EjNS0_10empty_typeEbEEZZNS1_14partition_implILS8_3ELb0ES6_jNS0_17counting_iteratorIjlEEPS9_SE_NS0_5tupleIJPjSE_EEENSF_IJSE_SE_EEES9_SG_JZNS1_25segmented_radix_sort_implINS0_14default_configELb1EPKsPsPKlPlN2at6native12_GLOBAL__N_18offset_tEEE10hipError_tPvRmT1_PNSt15iterator_traitsISY_E10value_typeET2_T3_PNSZ_IS14_E10value_typeET4_jRbjT5_S1A_jjP12ihipStream_tbEUljE_EEESV_SW_SX_S14_S18_S1A_T6_T7_T9_mT8_S1C_bDpT10_ENKUlT_T0_E_clISt17integral_constantIbLb0EES1P_EEDaS1K_S1L_EUlS1K_E_NS1_11comp_targetILNS1_3genE10ELNS1_11target_archE1200ELNS1_3gpuE4ELNS1_3repE0EEENS1_30default_config_static_selectorELNS0_4arch9wavefront6targetE0EEEvSY_,comdat
.Lfunc_end884:
	.size	_ZN7rocprim17ROCPRIM_400000_NS6detail17trampoline_kernelINS0_13select_configILj256ELj13ELNS0_17block_load_methodE3ELS4_3ELS4_3ELNS0_20block_scan_algorithmE0ELj4294967295EEENS1_25partition_config_selectorILNS1_17partition_subalgoE3EjNS0_10empty_typeEbEEZZNS1_14partition_implILS8_3ELb0ES6_jNS0_17counting_iteratorIjlEEPS9_SE_NS0_5tupleIJPjSE_EEENSF_IJSE_SE_EEES9_SG_JZNS1_25segmented_radix_sort_implINS0_14default_configELb1EPKsPsPKlPlN2at6native12_GLOBAL__N_18offset_tEEE10hipError_tPvRmT1_PNSt15iterator_traitsISY_E10value_typeET2_T3_PNSZ_IS14_E10value_typeET4_jRbjT5_S1A_jjP12ihipStream_tbEUljE_EEESV_SW_SX_S14_S18_S1A_T6_T7_T9_mT8_S1C_bDpT10_ENKUlT_T0_E_clISt17integral_constantIbLb0EES1P_EEDaS1K_S1L_EUlS1K_E_NS1_11comp_targetILNS1_3genE10ELNS1_11target_archE1200ELNS1_3gpuE4ELNS1_3repE0EEENS1_30default_config_static_selectorELNS0_4arch9wavefront6targetE0EEEvSY_, .Lfunc_end884-_ZN7rocprim17ROCPRIM_400000_NS6detail17trampoline_kernelINS0_13select_configILj256ELj13ELNS0_17block_load_methodE3ELS4_3ELS4_3ELNS0_20block_scan_algorithmE0ELj4294967295EEENS1_25partition_config_selectorILNS1_17partition_subalgoE3EjNS0_10empty_typeEbEEZZNS1_14partition_implILS8_3ELb0ES6_jNS0_17counting_iteratorIjlEEPS9_SE_NS0_5tupleIJPjSE_EEENSF_IJSE_SE_EEES9_SG_JZNS1_25segmented_radix_sort_implINS0_14default_configELb1EPKsPsPKlPlN2at6native12_GLOBAL__N_18offset_tEEE10hipError_tPvRmT1_PNSt15iterator_traitsISY_E10value_typeET2_T3_PNSZ_IS14_E10value_typeET4_jRbjT5_S1A_jjP12ihipStream_tbEUljE_EEESV_SW_SX_S14_S18_S1A_T6_T7_T9_mT8_S1C_bDpT10_ENKUlT_T0_E_clISt17integral_constantIbLb0EES1P_EEDaS1K_S1L_EUlS1K_E_NS1_11comp_targetILNS1_3genE10ELNS1_11target_archE1200ELNS1_3gpuE4ELNS1_3repE0EEENS1_30default_config_static_selectorELNS0_4arch9wavefront6targetE0EEEvSY_
                                        ; -- End function
	.section	.AMDGPU.csdata,"",@progbits
; Kernel info:
; codeLenInByte = 0
; NumSgprs: 0
; NumVgprs: 0
; ScratchSize: 0
; MemoryBound: 0
; FloatMode: 240
; IeeeMode: 1
; LDSByteSize: 0 bytes/workgroup (compile time only)
; SGPRBlocks: 0
; VGPRBlocks: 0
; NumSGPRsForWavesPerEU: 1
; NumVGPRsForWavesPerEU: 1
; Occupancy: 16
; WaveLimiterHint : 0
; COMPUTE_PGM_RSRC2:SCRATCH_EN: 0
; COMPUTE_PGM_RSRC2:USER_SGPR: 15
; COMPUTE_PGM_RSRC2:TRAP_HANDLER: 0
; COMPUTE_PGM_RSRC2:TGID_X_EN: 1
; COMPUTE_PGM_RSRC2:TGID_Y_EN: 0
; COMPUTE_PGM_RSRC2:TGID_Z_EN: 0
; COMPUTE_PGM_RSRC2:TIDIG_COMP_CNT: 0
	.section	.text._ZN7rocprim17ROCPRIM_400000_NS6detail17trampoline_kernelINS0_13select_configILj256ELj13ELNS0_17block_load_methodE3ELS4_3ELS4_3ELNS0_20block_scan_algorithmE0ELj4294967295EEENS1_25partition_config_selectorILNS1_17partition_subalgoE3EjNS0_10empty_typeEbEEZZNS1_14partition_implILS8_3ELb0ES6_jNS0_17counting_iteratorIjlEEPS9_SE_NS0_5tupleIJPjSE_EEENSF_IJSE_SE_EEES9_SG_JZNS1_25segmented_radix_sort_implINS0_14default_configELb1EPKsPsPKlPlN2at6native12_GLOBAL__N_18offset_tEEE10hipError_tPvRmT1_PNSt15iterator_traitsISY_E10value_typeET2_T3_PNSZ_IS14_E10value_typeET4_jRbjT5_S1A_jjP12ihipStream_tbEUljE_EEESV_SW_SX_S14_S18_S1A_T6_T7_T9_mT8_S1C_bDpT10_ENKUlT_T0_E_clISt17integral_constantIbLb0EES1P_EEDaS1K_S1L_EUlS1K_E_NS1_11comp_targetILNS1_3genE9ELNS1_11target_archE1100ELNS1_3gpuE3ELNS1_3repE0EEENS1_30default_config_static_selectorELNS0_4arch9wavefront6targetE0EEEvSY_,"axG",@progbits,_ZN7rocprim17ROCPRIM_400000_NS6detail17trampoline_kernelINS0_13select_configILj256ELj13ELNS0_17block_load_methodE3ELS4_3ELS4_3ELNS0_20block_scan_algorithmE0ELj4294967295EEENS1_25partition_config_selectorILNS1_17partition_subalgoE3EjNS0_10empty_typeEbEEZZNS1_14partition_implILS8_3ELb0ES6_jNS0_17counting_iteratorIjlEEPS9_SE_NS0_5tupleIJPjSE_EEENSF_IJSE_SE_EEES9_SG_JZNS1_25segmented_radix_sort_implINS0_14default_configELb1EPKsPsPKlPlN2at6native12_GLOBAL__N_18offset_tEEE10hipError_tPvRmT1_PNSt15iterator_traitsISY_E10value_typeET2_T3_PNSZ_IS14_E10value_typeET4_jRbjT5_S1A_jjP12ihipStream_tbEUljE_EEESV_SW_SX_S14_S18_S1A_T6_T7_T9_mT8_S1C_bDpT10_ENKUlT_T0_E_clISt17integral_constantIbLb0EES1P_EEDaS1K_S1L_EUlS1K_E_NS1_11comp_targetILNS1_3genE9ELNS1_11target_archE1100ELNS1_3gpuE3ELNS1_3repE0EEENS1_30default_config_static_selectorELNS0_4arch9wavefront6targetE0EEEvSY_,comdat
	.globl	_ZN7rocprim17ROCPRIM_400000_NS6detail17trampoline_kernelINS0_13select_configILj256ELj13ELNS0_17block_load_methodE3ELS4_3ELS4_3ELNS0_20block_scan_algorithmE0ELj4294967295EEENS1_25partition_config_selectorILNS1_17partition_subalgoE3EjNS0_10empty_typeEbEEZZNS1_14partition_implILS8_3ELb0ES6_jNS0_17counting_iteratorIjlEEPS9_SE_NS0_5tupleIJPjSE_EEENSF_IJSE_SE_EEES9_SG_JZNS1_25segmented_radix_sort_implINS0_14default_configELb1EPKsPsPKlPlN2at6native12_GLOBAL__N_18offset_tEEE10hipError_tPvRmT1_PNSt15iterator_traitsISY_E10value_typeET2_T3_PNSZ_IS14_E10value_typeET4_jRbjT5_S1A_jjP12ihipStream_tbEUljE_EEESV_SW_SX_S14_S18_S1A_T6_T7_T9_mT8_S1C_bDpT10_ENKUlT_T0_E_clISt17integral_constantIbLb0EES1P_EEDaS1K_S1L_EUlS1K_E_NS1_11comp_targetILNS1_3genE9ELNS1_11target_archE1100ELNS1_3gpuE3ELNS1_3repE0EEENS1_30default_config_static_selectorELNS0_4arch9wavefront6targetE0EEEvSY_ ; -- Begin function _ZN7rocprim17ROCPRIM_400000_NS6detail17trampoline_kernelINS0_13select_configILj256ELj13ELNS0_17block_load_methodE3ELS4_3ELS4_3ELNS0_20block_scan_algorithmE0ELj4294967295EEENS1_25partition_config_selectorILNS1_17partition_subalgoE3EjNS0_10empty_typeEbEEZZNS1_14partition_implILS8_3ELb0ES6_jNS0_17counting_iteratorIjlEEPS9_SE_NS0_5tupleIJPjSE_EEENSF_IJSE_SE_EEES9_SG_JZNS1_25segmented_radix_sort_implINS0_14default_configELb1EPKsPsPKlPlN2at6native12_GLOBAL__N_18offset_tEEE10hipError_tPvRmT1_PNSt15iterator_traitsISY_E10value_typeET2_T3_PNSZ_IS14_E10value_typeET4_jRbjT5_S1A_jjP12ihipStream_tbEUljE_EEESV_SW_SX_S14_S18_S1A_T6_T7_T9_mT8_S1C_bDpT10_ENKUlT_T0_E_clISt17integral_constantIbLb0EES1P_EEDaS1K_S1L_EUlS1K_E_NS1_11comp_targetILNS1_3genE9ELNS1_11target_archE1100ELNS1_3gpuE3ELNS1_3repE0EEENS1_30default_config_static_selectorELNS0_4arch9wavefront6targetE0EEEvSY_
	.p2align	8
	.type	_ZN7rocprim17ROCPRIM_400000_NS6detail17trampoline_kernelINS0_13select_configILj256ELj13ELNS0_17block_load_methodE3ELS4_3ELS4_3ELNS0_20block_scan_algorithmE0ELj4294967295EEENS1_25partition_config_selectorILNS1_17partition_subalgoE3EjNS0_10empty_typeEbEEZZNS1_14partition_implILS8_3ELb0ES6_jNS0_17counting_iteratorIjlEEPS9_SE_NS0_5tupleIJPjSE_EEENSF_IJSE_SE_EEES9_SG_JZNS1_25segmented_radix_sort_implINS0_14default_configELb1EPKsPsPKlPlN2at6native12_GLOBAL__N_18offset_tEEE10hipError_tPvRmT1_PNSt15iterator_traitsISY_E10value_typeET2_T3_PNSZ_IS14_E10value_typeET4_jRbjT5_S1A_jjP12ihipStream_tbEUljE_EEESV_SW_SX_S14_S18_S1A_T6_T7_T9_mT8_S1C_bDpT10_ENKUlT_T0_E_clISt17integral_constantIbLb0EES1P_EEDaS1K_S1L_EUlS1K_E_NS1_11comp_targetILNS1_3genE9ELNS1_11target_archE1100ELNS1_3gpuE3ELNS1_3repE0EEENS1_30default_config_static_selectorELNS0_4arch9wavefront6targetE0EEEvSY_,@function
_ZN7rocprim17ROCPRIM_400000_NS6detail17trampoline_kernelINS0_13select_configILj256ELj13ELNS0_17block_load_methodE3ELS4_3ELS4_3ELNS0_20block_scan_algorithmE0ELj4294967295EEENS1_25partition_config_selectorILNS1_17partition_subalgoE3EjNS0_10empty_typeEbEEZZNS1_14partition_implILS8_3ELb0ES6_jNS0_17counting_iteratorIjlEEPS9_SE_NS0_5tupleIJPjSE_EEENSF_IJSE_SE_EEES9_SG_JZNS1_25segmented_radix_sort_implINS0_14default_configELb1EPKsPsPKlPlN2at6native12_GLOBAL__N_18offset_tEEE10hipError_tPvRmT1_PNSt15iterator_traitsISY_E10value_typeET2_T3_PNSZ_IS14_E10value_typeET4_jRbjT5_S1A_jjP12ihipStream_tbEUljE_EEESV_SW_SX_S14_S18_S1A_T6_T7_T9_mT8_S1C_bDpT10_ENKUlT_T0_E_clISt17integral_constantIbLb0EES1P_EEDaS1K_S1L_EUlS1K_E_NS1_11comp_targetILNS1_3genE9ELNS1_11target_archE1100ELNS1_3gpuE3ELNS1_3repE0EEENS1_30default_config_static_selectorELNS0_4arch9wavefront6targetE0EEEvSY_: ; @_ZN7rocprim17ROCPRIM_400000_NS6detail17trampoline_kernelINS0_13select_configILj256ELj13ELNS0_17block_load_methodE3ELS4_3ELS4_3ELNS0_20block_scan_algorithmE0ELj4294967295EEENS1_25partition_config_selectorILNS1_17partition_subalgoE3EjNS0_10empty_typeEbEEZZNS1_14partition_implILS8_3ELb0ES6_jNS0_17counting_iteratorIjlEEPS9_SE_NS0_5tupleIJPjSE_EEENSF_IJSE_SE_EEES9_SG_JZNS1_25segmented_radix_sort_implINS0_14default_configELb1EPKsPsPKlPlN2at6native12_GLOBAL__N_18offset_tEEE10hipError_tPvRmT1_PNSt15iterator_traitsISY_E10value_typeET2_T3_PNSZ_IS14_E10value_typeET4_jRbjT5_S1A_jjP12ihipStream_tbEUljE_EEESV_SW_SX_S14_S18_S1A_T6_T7_T9_mT8_S1C_bDpT10_ENKUlT_T0_E_clISt17integral_constantIbLb0EES1P_EEDaS1K_S1L_EUlS1K_E_NS1_11comp_targetILNS1_3genE9ELNS1_11target_archE1100ELNS1_3gpuE3ELNS1_3repE0EEENS1_30default_config_static_selectorELNS0_4arch9wavefront6targetE0EEEvSY_
; %bb.0:
	s_clause 0x5
	s_load_b32 s2, s[0:1], 0x70
	s_load_b64 s[16:17], s[0:1], 0x10
	s_load_b64 s[12:13], s[0:1], 0x58
	s_load_b32 s18, s[0:1], 0x8
	s_load_b128 s[8:11], s[0:1], 0x48
	s_load_b128 s[4:7], s[0:1], 0x78
	s_mul_i32 s23, s15, 0xd00
	v_lshlrev_b32_e32 v30, 2, v0
	s_waitcnt lgkmcnt(0)
	s_mul_i32 s20, s2, 0xd00
	s_add_i32 s19, s2, -1
	s_add_u32 s2, s16, s20
	s_addc_u32 s3, s17, 0
	s_cmp_eq_u32 s15, s19
	v_cmp_lt_u64_e64 s3, s[2:3], s[12:13]
	s_cselect_b32 s14, -1, 0
	s_cmp_lg_u32 s15, s19
	s_cselect_b32 s21, -1, 0
	s_add_i32 s2, s18, s23
	s_delay_alu instid0(VALU_DEP_1)
	s_or_b32 s3, s21, s3
	s_add_i32 s18, s2, s16
	s_load_b32 s2, s[0:1], 0x88
	v_add_nc_u32_e32 v1, s18, v0
	s_load_b64 s[18:19], s[10:11], 0x0
	s_and_b32 vcc_lo, exec_lo, s3
	s_mov_b32 s10, -1
	s_delay_alu instid0(VALU_DEP_1)
	v_add_nc_u32_e32 v2, 0x100, v1
	v_add_nc_u32_e32 v3, 0x200, v1
	;; [unrolled: 1-line block ×12, first 2 shown]
	s_cbranch_vccz .LBB885_2
; %bb.1:
	ds_store_2addr_stride64_b32 v30, v1, v2 offset1:4
	ds_store_2addr_stride64_b32 v30, v3, v4 offset0:8 offset1:12
	ds_store_2addr_stride64_b32 v30, v5, v6 offset0:16 offset1:20
	;; [unrolled: 1-line block ×5, first 2 shown]
	ds_store_b32 v30, v13 offset:12288
	s_waitcnt lgkmcnt(0)
	s_mov_b32 s10, 0
	s_barrier
.LBB885_2:
	s_and_not1_b32 vcc_lo, exec_lo, s10
	s_add_i32 s20, s20, s16
	s_cbranch_vccnz .LBB885_4
; %bb.3:
	ds_store_2addr_stride64_b32 v30, v1, v2 offset1:4
	ds_store_2addr_stride64_b32 v30, v3, v4 offset0:8 offset1:12
	ds_store_2addr_stride64_b32 v30, v5, v6 offset0:16 offset1:20
	;; [unrolled: 1-line block ×5, first 2 shown]
	ds_store_b32 v30, v13 offset:12288
	s_waitcnt lgkmcnt(0)
	s_barrier
.LBB885_4:
	v_mul_u32_u24_e32 v33, 13, v0
	s_waitcnt lgkmcnt(0)
	buffer_gl0_inv
	v_cndmask_b32_e64 v31, 0, 1, s3
	s_sub_i32 s22, s12, s20
	s_and_not1_b32 vcc_lo, exec_lo, s3
	v_lshlrev_b32_e32 v1, 2, v33
	ds_load_2addr_b32 v[28:29], v1 offset1:1
	ds_load_2addr_b32 v[26:27], v1 offset0:2 offset1:3
	ds_load_2addr_b32 v[24:25], v1 offset0:4 offset1:5
	;; [unrolled: 1-line block ×5, first 2 shown]
	ds_load_b32 v32, v1 offset:48
	s_waitcnt lgkmcnt(0)
	s_barrier
	buffer_gl0_inv
	s_cbranch_vccnz .LBB885_6
; %bb.5:
	v_add_nc_u32_e32 v1, s5, v28
	v_add_nc_u32_e32 v2, s7, v28
	v_add_nc_u32_e32 v3, s5, v29
	v_add_nc_u32_e32 v4, s7, v29
	v_add_nc_u32_e32 v5, s5, v26
	v_mul_lo_u32 v1, v1, s4
	v_mul_lo_u32 v2, v2, s6
	;; [unrolled: 1-line block ×4, first 2 shown]
	v_add_nc_u32_e32 v6, s7, v26
	v_add_nc_u32_e32 v7, s5, v27
	;; [unrolled: 1-line block ×3, first 2 shown]
	v_mul_lo_u32 v5, v5, s4
	v_add_nc_u32_e32 v9, s5, v22
	v_sub_nc_u32_e32 v1, v1, v2
	v_mul_lo_u32 v2, v6, s6
	v_sub_nc_u32_e32 v3, v3, v4
	v_mul_lo_u32 v4, v7, s4
	v_mul_lo_u32 v6, v8, s6
	v_add_nc_u32_e32 v7, s5, v24
	v_cmp_lt_u32_e32 vcc_lo, s2, v1
	v_add_nc_u32_e32 v8, s5, v25
	v_add_nc_u32_e32 v10, s7, v22
	v_sub_nc_u32_e32 v2, v5, v2
	v_add_nc_u32_e32 v5, s7, v24
	v_cndmask_b32_e64 v1, 0, 1, vcc_lo
	v_sub_nc_u32_e32 v4, v4, v6
	v_mul_lo_u32 v6, v7, s4
	v_add_nc_u32_e32 v7, s7, v25
	v_cmp_lt_u32_e32 vcc_lo, s2, v3
	v_mul_lo_u32 v5, v5, s6
	v_mul_lo_u32 v8, v8, s4
	;; [unrolled: 1-line block ×4, first 2 shown]
	v_cndmask_b32_e64 v3, 0, 1, vcc_lo
	v_cmp_lt_u32_e32 vcc_lo, s2, v2
	v_mul_lo_u32 v10, v10, s6
	v_add_nc_u32_e32 v11, s5, v20
	v_sub_nc_u32_e32 v5, v6, v5
	v_add_nc_u32_e32 v12, s7, v20
	v_cndmask_b32_e64 v2, 0, 1, vcc_lo
	v_sub_nc_u32_e32 v6, v8, v7
	v_add_nc_u32_e32 v7, s5, v23
	v_add_nc_u32_e32 v8, s7, v23
	v_cmp_lt_u32_e32 vcc_lo, s2, v4
	v_sub_nc_u32_e32 v9, v9, v10
	v_mul_lo_u32 v10, v11, s4
	v_mul_lo_u32 v7, v7, s4
	;; [unrolled: 1-line block ×4, first 2 shown]
	v_cndmask_b32_e64 v4, 0, 1, vcc_lo
	v_cmp_lt_u32_e32 vcc_lo, s2, v5
	v_add_nc_u32_e32 v12, s5, v21
	v_add_nc_u32_e32 v13, s7, v18
	;; [unrolled: 1-line block ×4, first 2 shown]
	v_cndmask_b32_e64 v5, 0, 1, vcc_lo
	v_cmp_lt_u32_e32 vcc_lo, s2, v6
	v_sub_nc_u32_e32 v7, v7, v8
	v_sub_nc_u32_e32 v8, v10, v11
	v_add_nc_u32_e32 v11, s7, v21
	v_mul_lo_u32 v10, v12, s4
	v_cndmask_b32_e64 v6, 0, 1, vcc_lo
	v_cmp_lt_u32_e32 vcc_lo, s2, v9
	v_add_nc_u32_e32 v12, s5, v18
	v_mul_lo_u32 v11, v11, s6
	v_mul_lo_u32 v13, v13, s6
	;; [unrolled: 1-line block ×3, first 2 shown]
	v_cndmask_b32_e64 v9, 0, 1, vcc_lo
	v_cmp_lt_u32_e32 vcc_lo, s2, v7
	v_mul_lo_u32 v12, v12, s4
	v_mul_lo_u32 v15, v15, s6
	v_lshlrev_b16 v3, 8, v3
	v_sub_nc_u32_e32 v10, v10, v11
	v_cndmask_b32_e64 v7, 0, 1, vcc_lo
	v_cmp_lt_u32_e32 vcc_lo, s2, v8
	v_add_nc_u32_e32 v11, s5, v32
	v_or_b32_e32 v1, v1, v3
	v_sub_nc_u32_e32 v12, v12, v13
	v_sub_nc_u32_e32 v13, v14, v15
	v_cndmask_b32_e64 v8, 0, 1, vcc_lo
	v_cmp_lt_u32_e32 vcc_lo, s2, v10
	v_add_nc_u32_e32 v16, s7, v32
	v_mul_lo_u32 v11, v11, s4
	v_lshlrev_b16 v4, 8, v4
	v_lshlrev_b16 v6, 8, v6
	v_cndmask_b32_e64 v10, 0, 1, vcc_lo
	v_cmp_lt_u32_e32 vcc_lo, s2, v12
	v_mul_lo_u32 v14, v16, s6
	v_lshlrev_b16 v7, 8, v7
	v_or_b32_e32 v2, v2, v4
	v_lshlrev_b16 v10, 8, v10
	v_cndmask_b32_e64 v3, 0, 1, vcc_lo
	v_cmp_lt_u32_e32 vcc_lo, s2, v13
	v_or_b32_e32 v4, v5, v6
	v_or_b32_e32 v5, v9, v7
	v_sub_nc_u32_e32 v11, v11, v14
	v_or_b32_e32 v6, v8, v10
	v_cndmask_b32_e64 v12, 0, 1, vcc_lo
	v_and_b32_e32 v1, 0xffff, v1
	v_lshlrev_b32_e32 v2, 16, v2
	v_and_b32_e32 v4, 0xffff, v4
	v_lshlrev_b32_e32 v5, 16, v5
	v_lshlrev_b16 v12, 8, v12
	v_and_b32_e32 v6, 0xffff, v6
	v_cmp_lt_u32_e32 vcc_lo, s2, v11
	v_or_b32_e32 v39, v1, v2
	v_or_b32_e32 v37, v4, v5
	;; [unrolled: 1-line block ×3, first 2 shown]
	s_mov_b32 s3, 0
	v_cndmask_b32_e64 v34, 0, 1, vcc_lo
	s_delay_alu instid0(VALU_DEP_2) | instskip(NEXT) | instid1(VALU_DEP_1)
	v_lshlrev_b32_e32 v3, 16, v3
	v_or_b32_e32 v35, v6, v3
	s_branch .LBB885_7
.LBB885_6:
	s_mov_b32 s3, -1
                                        ; implicit-def: $vgpr34
                                        ; implicit-def: $vgpr35
                                        ; implicit-def: $vgpr37
                                        ; implicit-def: $vgpr39
.LBB885_7:
	s_clause 0x1
	s_load_b64 s[10:11], s[0:1], 0x28
	s_load_b64 s[20:21], s[0:1], 0x68
	s_and_not1_b32 vcc_lo, exec_lo, s3
	s_addk_i32 s22, 0xd00
	s_cbranch_vccnz .LBB885_35
; %bb.8:
	v_dual_mov_b32 v2, 0 :: v_dual_mov_b32 v1, 0
	s_mov_b32 s0, exec_lo
	v_cmpx_gt_u32_e64 s22, v33
; %bb.9:
	v_add_nc_u32_e32 v1, s5, v28
	v_add_nc_u32_e32 v3, s7, v28
	s_delay_alu instid0(VALU_DEP_2) | instskip(NEXT) | instid1(VALU_DEP_2)
	v_mul_lo_u32 v1, v1, s4
	v_mul_lo_u32 v3, v3, s6
	s_delay_alu instid0(VALU_DEP_1) | instskip(NEXT) | instid1(VALU_DEP_1)
	v_sub_nc_u32_e32 v1, v1, v3
	v_cmp_lt_u32_e32 vcc_lo, s2, v1
	v_cndmask_b32_e64 v1, 0, 1, vcc_lo
; %bb.10:
	s_or_b32 exec_lo, exec_lo, s0
	v_add_nc_u32_e32 v3, 1, v33
	s_mov_b32 s0, exec_lo
	s_delay_alu instid0(VALU_DEP_1)
	v_cmpx_gt_u32_e64 s22, v3
; %bb.11:
	v_add_nc_u32_e32 v2, s5, v29
	v_add_nc_u32_e32 v3, s7, v29
	s_delay_alu instid0(VALU_DEP_2) | instskip(NEXT) | instid1(VALU_DEP_2)
	v_mul_lo_u32 v2, v2, s4
	v_mul_lo_u32 v3, v3, s6
	s_delay_alu instid0(VALU_DEP_1) | instskip(NEXT) | instid1(VALU_DEP_1)
	v_sub_nc_u32_e32 v2, v2, v3
	v_cmp_lt_u32_e32 vcc_lo, s2, v2
	v_cndmask_b32_e64 v2, 0, 1, vcc_lo
; %bb.12:
	s_or_b32 exec_lo, exec_lo, s0
	v_dual_mov_b32 v4, 0 :: v_dual_add_nc_u32 v3, 2, v33
	s_delay_alu instid0(VALU_DEP_1)
	v_cmp_gt_u32_e32 vcc_lo, s22, v3
	v_mov_b32_e32 v3, 0
	s_and_saveexec_b32 s0, vcc_lo
; %bb.13:
	v_add_nc_u32_e32 v3, s5, v26
	v_add_nc_u32_e32 v5, s7, v26
	s_delay_alu instid0(VALU_DEP_2) | instskip(NEXT) | instid1(VALU_DEP_2)
	v_mul_lo_u32 v3, v3, s4
	v_mul_lo_u32 v5, v5, s6
	s_delay_alu instid0(VALU_DEP_1) | instskip(NEXT) | instid1(VALU_DEP_1)
	v_sub_nc_u32_e32 v3, v3, v5
	v_cmp_lt_u32_e32 vcc_lo, s2, v3
	v_cndmask_b32_e64 v3, 0, 1, vcc_lo
; %bb.14:
	s_or_b32 exec_lo, exec_lo, s0
	v_add_nc_u32_e32 v5, 3, v33
	s_mov_b32 s0, exec_lo
	s_delay_alu instid0(VALU_DEP_1)
	v_cmpx_gt_u32_e64 s22, v5
; %bb.15:
	v_add_nc_u32_e32 v4, s5, v27
	v_add_nc_u32_e32 v5, s7, v27
	s_delay_alu instid0(VALU_DEP_2) | instskip(NEXT) | instid1(VALU_DEP_2)
	v_mul_lo_u32 v4, v4, s4
	v_mul_lo_u32 v5, v5, s6
	s_delay_alu instid0(VALU_DEP_1) | instskip(NEXT) | instid1(VALU_DEP_1)
	v_sub_nc_u32_e32 v4, v4, v5
	v_cmp_lt_u32_e32 vcc_lo, s2, v4
	v_cndmask_b32_e64 v4, 0, 1, vcc_lo
; %bb.16:
	s_or_b32 exec_lo, exec_lo, s0
	v_dual_mov_b32 v6, 0 :: v_dual_add_nc_u32 v5, 4, v33
	s_delay_alu instid0(VALU_DEP_1)
	v_cmp_gt_u32_e32 vcc_lo, s22, v5
	v_mov_b32_e32 v5, 0
	s_and_saveexec_b32 s0, vcc_lo
	;; [unrolled: 33-line block ×5, first 2 shown]
; %bb.29:
	v_add_nc_u32_e32 v11, s5, v18
	v_add_nc_u32_e32 v13, s7, v18
	s_delay_alu instid0(VALU_DEP_2) | instskip(NEXT) | instid1(VALU_DEP_2)
	v_mul_lo_u32 v11, v11, s4
	v_mul_lo_u32 v13, v13, s6
	s_delay_alu instid0(VALU_DEP_1) | instskip(NEXT) | instid1(VALU_DEP_1)
	v_sub_nc_u32_e32 v11, v11, v13
	v_cmp_lt_u32_e32 vcc_lo, s2, v11
	v_cndmask_b32_e64 v11, 0, 1, vcc_lo
; %bb.30:
	s_or_b32 exec_lo, exec_lo, s0
	v_add_nc_u32_e32 v13, 11, v33
	s_mov_b32 s0, exec_lo
	s_delay_alu instid0(VALU_DEP_1)
	v_cmpx_gt_u32_e64 s22, v13
; %bb.31:
	v_add_nc_u32_e32 v12, s5, v19
	v_add_nc_u32_e32 v13, s7, v19
	s_delay_alu instid0(VALU_DEP_2) | instskip(NEXT) | instid1(VALU_DEP_2)
	v_mul_lo_u32 v12, v12, s4
	v_mul_lo_u32 v13, v13, s6
	s_delay_alu instid0(VALU_DEP_1) | instskip(NEXT) | instid1(VALU_DEP_1)
	v_sub_nc_u32_e32 v12, v12, v13
	v_cmp_lt_u32_e32 vcc_lo, s2, v12
	v_cndmask_b32_e64 v12, 0, 1, vcc_lo
; %bb.32:
	s_or_b32 exec_lo, exec_lo, s0
	v_dual_mov_b32 v34, 0 :: v_dual_add_nc_u32 v13, 12, v33
	s_mov_b32 s0, exec_lo
	s_delay_alu instid0(VALU_DEP_1)
	v_cmpx_gt_u32_e64 s22, v13
; %bb.33:
	v_add_nc_u32_e32 v13, s5, v32
	v_add_nc_u32_e32 v14, s7, v32
	s_delay_alu instid0(VALU_DEP_2) | instskip(NEXT) | instid1(VALU_DEP_2)
	v_mul_lo_u32 v13, v13, s4
	v_mul_lo_u32 v14, v14, s6
	s_delay_alu instid0(VALU_DEP_1) | instskip(NEXT) | instid1(VALU_DEP_1)
	v_sub_nc_u32_e32 v13, v13, v14
	v_cmp_lt_u32_e32 vcc_lo, s2, v13
	v_cndmask_b32_e64 v34, 0, 1, vcc_lo
; %bb.34:
	s_or_b32 exec_lo, exec_lo, s0
	v_lshlrev_b16 v2, 8, v2
	v_lshlrev_b16 v4, 8, v4
	;; [unrolled: 1-line block ×5, first 2 shown]
	v_or_b32_e32 v1, v1, v2
	v_lshlrev_b16 v2, 8, v12
	v_or_b32_e32 v3, v3, v4
	v_or_b32_e32 v4, v5, v6
	;; [unrolled: 1-line block ×5, first 2 shown]
	v_and_b32_e32 v1, 0xffff, v1
	v_lshlrev_b32_e32 v3, 16, v3
	v_and_b32_e32 v4, 0xffff, v4
	v_lshlrev_b32_e32 v5, 16, v5
	;; [unrolled: 2-line block ×3, first 2 shown]
	v_or_b32_e32 v39, v1, v3
	s_delay_alu instid0(VALU_DEP_4) | instskip(NEXT) | instid1(VALU_DEP_3)
	v_or_b32_e32 v37, v4, v5
	v_or_b32_e32 v35, v6, v2
.LBB885_35:
	s_delay_alu instid0(VALU_DEP_3)
	v_and_b32_e32 v41, 0xff, v39
	v_bfe_u32 v42, v39, 8, 8
	v_bfe_u32 v43, v39, 16, 8
	v_lshrrev_b32_e32 v40, 24, v39
	v_and_b32_e32 v44, 0xff, v37
	v_bfe_u32 v45, v37, 8, 8
	v_bfe_u32 v46, v37, 16, 8
	v_add3_u32 v1, v42, v41, v43
	v_lshrrev_b32_e32 v38, 24, v37
	v_and_b32_e32 v47, 0xff, v35
	v_bfe_u32 v48, v35, 8, 8
	v_mbcnt_lo_u32_b32 v50, -1, 0
	v_add3_u32 v1, v1, v40, v44
	v_bfe_u32 v49, v35, 16, 8
	v_lshrrev_b32_e32 v36, 24, v35
	v_and_b32_e32 v2, 0xff, v34
	v_and_b32_e32 v3, 15, v50
	v_add3_u32 v1, v1, v45, v46
	v_or_b32_e32 v4, 31, v0
	v_and_b32_e32 v5, 16, v50
	v_lshrrev_b32_e32 v51, 5, v0
	v_cmp_eq_u32_e64 s5, 0, v3
	v_add3_u32 v1, v1, v38, v47
	v_cmp_lt_u32_e64 s4, 1, v3
	v_cmp_lt_u32_e64 s3, 3, v3
	;; [unrolled: 1-line block ×3, first 2 shown]
	v_cmp_eq_u32_e64 s1, 0, v5
	v_add3_u32 v1, v1, v48, v49
	v_cmp_eq_u32_e64 s0, v4, v0
	s_cmp_lg_u32 s15, 0
	s_mov_b32 s6, -1
	s_delay_alu instid0(VALU_DEP_2)
	v_add3_u32 v52, v1, v36, v2
	s_cbranch_scc0 .LBB885_61
; %bb.36:
	s_delay_alu instid0(VALU_DEP_1) | instskip(NEXT) | instid1(VALU_DEP_1)
	v_mov_b32_dpp v1, v52 row_shr:1 row_mask:0xf bank_mask:0xf
	v_cndmask_b32_e64 v1, v1, 0, s5
	s_delay_alu instid0(VALU_DEP_1) | instskip(NEXT) | instid1(VALU_DEP_1)
	v_add_nc_u32_e32 v1, v1, v52
	v_mov_b32_dpp v2, v1 row_shr:2 row_mask:0xf bank_mask:0xf
	s_delay_alu instid0(VALU_DEP_1) | instskip(NEXT) | instid1(VALU_DEP_1)
	v_cndmask_b32_e64 v2, 0, v2, s4
	v_add_nc_u32_e32 v1, v1, v2
	s_delay_alu instid0(VALU_DEP_1) | instskip(NEXT) | instid1(VALU_DEP_1)
	v_mov_b32_dpp v2, v1 row_shr:4 row_mask:0xf bank_mask:0xf
	v_cndmask_b32_e64 v2, 0, v2, s3
	s_delay_alu instid0(VALU_DEP_1) | instskip(NEXT) | instid1(VALU_DEP_1)
	v_add_nc_u32_e32 v1, v1, v2
	v_mov_b32_dpp v2, v1 row_shr:8 row_mask:0xf bank_mask:0xf
	s_delay_alu instid0(VALU_DEP_1) | instskip(NEXT) | instid1(VALU_DEP_1)
	v_cndmask_b32_e64 v2, 0, v2, s2
	v_add_nc_u32_e32 v1, v1, v2
	ds_swizzle_b32 v2, v1 offset:swizzle(BROADCAST,32,15)
	s_waitcnt lgkmcnt(0)
	v_cndmask_b32_e64 v2, v2, 0, s1
	s_delay_alu instid0(VALU_DEP_1)
	v_add_nc_u32_e32 v1, v1, v2
	s_and_saveexec_b32 s6, s0
	s_cbranch_execz .LBB885_38
; %bb.37:
	v_lshlrev_b32_e32 v2, 2, v51
	ds_store_b32 v2, v1
.LBB885_38:
	s_or_b32 exec_lo, exec_lo, s6
	s_delay_alu instid0(SALU_CYCLE_1)
	s_mov_b32 s6, exec_lo
	s_waitcnt lgkmcnt(0)
	s_barrier
	buffer_gl0_inv
	v_cmpx_gt_u32_e32 8, v0
	s_cbranch_execz .LBB885_40
; %bb.39:
	ds_load_b32 v2, v30
	s_waitcnt lgkmcnt(0)
	v_mov_b32_dpp v4, v2 row_shr:1 row_mask:0xf bank_mask:0xf
	v_and_b32_e32 v3, 7, v50
	s_delay_alu instid0(VALU_DEP_1) | instskip(NEXT) | instid1(VALU_DEP_3)
	v_cmp_ne_u32_e32 vcc_lo, 0, v3
	v_cndmask_b32_e32 v4, 0, v4, vcc_lo
	v_cmp_lt_u32_e32 vcc_lo, 1, v3
	s_delay_alu instid0(VALU_DEP_2) | instskip(NEXT) | instid1(VALU_DEP_1)
	v_add_nc_u32_e32 v2, v4, v2
	v_mov_b32_dpp v4, v2 row_shr:2 row_mask:0xf bank_mask:0xf
	s_delay_alu instid0(VALU_DEP_1) | instskip(SKIP_1) | instid1(VALU_DEP_2)
	v_cndmask_b32_e32 v4, 0, v4, vcc_lo
	v_cmp_lt_u32_e32 vcc_lo, 3, v3
	v_add_nc_u32_e32 v2, v2, v4
	s_delay_alu instid0(VALU_DEP_1) | instskip(NEXT) | instid1(VALU_DEP_1)
	v_mov_b32_dpp v4, v2 row_shr:4 row_mask:0xf bank_mask:0xf
	v_cndmask_b32_e32 v3, 0, v4, vcc_lo
	s_delay_alu instid0(VALU_DEP_1)
	v_add_nc_u32_e32 v2, v2, v3
	ds_store_b32 v30, v2
.LBB885_40:
	s_or_b32 exec_lo, exec_lo, s6
	v_cmp_gt_u32_e32 vcc_lo, 32, v0
	s_mov_b32 s7, exec_lo
	s_waitcnt lgkmcnt(0)
	s_barrier
	buffer_gl0_inv
                                        ; implicit-def: $vgpr8
	v_cmpx_lt_u32_e32 31, v0
	s_cbranch_execz .LBB885_42
; %bb.41:
	v_lshl_add_u32 v2, v51, 2, -4
	ds_load_b32 v8, v2
	s_waitcnt lgkmcnt(0)
	v_add_nc_u32_e32 v1, v8, v1
.LBB885_42:
	s_or_b32 exec_lo, exec_lo, s7
	v_add_nc_u32_e32 v2, -1, v50
	s_delay_alu instid0(VALU_DEP_1) | instskip(NEXT) | instid1(VALU_DEP_1)
	v_cmp_gt_i32_e64 s6, 0, v2
	v_cndmask_b32_e64 v2, v2, v50, s6
	v_cmp_eq_u32_e64 s6, 0, v50
	s_delay_alu instid0(VALU_DEP_2)
	v_lshlrev_b32_e32 v2, 2, v2
	ds_bpermute_b32 v9, v2, v1
	s_and_saveexec_b32 s7, vcc_lo
	s_cbranch_execz .LBB885_60
; %bb.43:
	v_mov_b32_e32 v4, 0
	ds_load_b32 v1, v4 offset:28
	s_and_saveexec_b32 s24, s6
	s_cbranch_execz .LBB885_45
; %bb.44:
	s_add_i32 s26, s15, 32
	s_mov_b32 s27, 0
	v_mov_b32_e32 v2, 1
	s_lshl_b64 s[26:27], s[26:27], 3
	s_delay_alu instid0(SALU_CYCLE_1)
	s_add_u32 s26, s20, s26
	s_addc_u32 s27, s21, s27
	s_waitcnt lgkmcnt(0)
	global_store_b64 v4, v[1:2], s[26:27]
.LBB885_45:
	s_or_b32 exec_lo, exec_lo, s24
	v_xad_u32 v2, v50, -1, s15
	s_mov_b32 s25, 0
	s_mov_b32 s24, exec_lo
	s_delay_alu instid0(VALU_DEP_1) | instskip(NEXT) | instid1(VALU_DEP_1)
	v_add_nc_u32_e32 v3, 32, v2
	v_lshlrev_b64 v[3:4], 3, v[3:4]
	s_delay_alu instid0(VALU_DEP_1) | instskip(NEXT) | instid1(VALU_DEP_2)
	v_add_co_u32 v6, vcc_lo, s20, v3
	v_add_co_ci_u32_e32 v7, vcc_lo, s21, v4, vcc_lo
	global_load_b64 v[4:5], v[6:7], off glc
	s_waitcnt vmcnt(0)
	v_and_b32_e32 v3, 0xff, v5
	s_delay_alu instid0(VALU_DEP_1)
	v_cmpx_eq_u16_e32 0, v3
	s_cbranch_execz .LBB885_48
.LBB885_46:                             ; =>This Inner Loop Header: Depth=1
	global_load_b64 v[4:5], v[6:7], off glc
	s_waitcnt vmcnt(0)
	v_and_b32_e32 v3, 0xff, v5
	s_delay_alu instid0(VALU_DEP_1) | instskip(SKIP_1) | instid1(SALU_CYCLE_1)
	v_cmp_ne_u16_e32 vcc_lo, 0, v3
	s_or_b32 s25, vcc_lo, s25
	s_and_not1_b32 exec_lo, exec_lo, s25
	s_cbranch_execnz .LBB885_46
; %bb.47:
	s_or_b32 exec_lo, exec_lo, s25
.LBB885_48:
	s_delay_alu instid0(SALU_CYCLE_1)
	s_or_b32 exec_lo, exec_lo, s24
	v_cmp_ne_u32_e32 vcc_lo, 31, v50
	v_lshlrev_b32_e64 v11, v50, -1
	v_add_nc_u32_e32 v13, 2, v50
	v_add_nc_u32_e32 v16, 4, v50
	;; [unrolled: 1-line block ×3, first 2 shown]
	v_add_co_ci_u32_e32 v3, vcc_lo, 0, v50, vcc_lo
	v_add_nc_u32_e32 v55, 16, v50
	s_delay_alu instid0(VALU_DEP_2) | instskip(SKIP_2) | instid1(VALU_DEP_1)
	v_lshlrev_b32_e32 v10, 2, v3
	ds_bpermute_b32 v6, v10, v4
	v_and_b32_e32 v3, 0xff, v5
	v_cmp_eq_u16_e32 vcc_lo, 2, v3
	v_and_or_b32 v3, vcc_lo, v11, 0x80000000
	v_cmp_gt_u32_e32 vcc_lo, 30, v50
	s_delay_alu instid0(VALU_DEP_2) | instskip(SKIP_1) | instid1(VALU_DEP_2)
	v_ctz_i32_b32_e32 v3, v3
	v_cndmask_b32_e64 v7, 0, 1, vcc_lo
	v_cmp_lt_u32_e32 vcc_lo, v50, v3
	s_waitcnt lgkmcnt(0)
	s_delay_alu instid0(VALU_DEP_2) | instskip(NEXT) | instid1(VALU_DEP_1)
	v_dual_cndmask_b32 v6, 0, v6 :: v_dual_lshlrev_b32 v7, 1, v7
	v_add_lshl_u32 v12, v7, v50, 2
	v_cmp_gt_u32_e32 vcc_lo, 28, v50
	s_delay_alu instid0(VALU_DEP_3) | instskip(SKIP_4) | instid1(VALU_DEP_1)
	v_add_nc_u32_e32 v4, v6, v4
	v_cndmask_b32_e64 v7, 0, 1, vcc_lo
	v_cmp_le_u32_e32 vcc_lo, v13, v3
	ds_bpermute_b32 v6, v12, v4
	v_lshlrev_b32_e32 v7, 2, v7
	v_add_lshl_u32 v14, v7, v50, 2
	s_waitcnt lgkmcnt(0)
	v_cndmask_b32_e32 v6, 0, v6, vcc_lo
	v_cmp_gt_u32_e32 vcc_lo, 24, v50
	s_delay_alu instid0(VALU_DEP_2) | instskip(SKIP_4) | instid1(VALU_DEP_1)
	v_add_nc_u32_e32 v4, v4, v6
	v_cndmask_b32_e64 v7, 0, 1, vcc_lo
	v_cmp_le_u32_e32 vcc_lo, v16, v3
	ds_bpermute_b32 v6, v14, v4
	v_lshlrev_b32_e32 v7, 3, v7
	v_add_lshl_u32 v17, v7, v50, 2
	s_waitcnt lgkmcnt(0)
	v_cndmask_b32_e32 v6, 0, v6, vcc_lo
	v_cmp_gt_u32_e32 vcc_lo, 16, v50
	s_delay_alu instid0(VALU_DEP_2) | instskip(SKIP_4) | instid1(VALU_DEP_1)
	v_add_nc_u32_e32 v4, v4, v6
	v_cndmask_b32_e64 v7, 0, 1, vcc_lo
	v_cmp_le_u32_e32 vcc_lo, v53, v3
	ds_bpermute_b32 v6, v17, v4
	v_lshlrev_b32_e32 v7, 4, v7
	v_add_lshl_u32 v54, v7, v50, 2
	s_waitcnt lgkmcnt(0)
	v_cndmask_b32_e32 v6, 0, v6, vcc_lo
	v_cmp_le_u32_e32 vcc_lo, v55, v3
	s_delay_alu instid0(VALU_DEP_2) | instskip(SKIP_3) | instid1(VALU_DEP_1)
	v_add_nc_u32_e32 v4, v4, v6
	ds_bpermute_b32 v6, v54, v4
	s_waitcnt lgkmcnt(0)
	v_cndmask_b32_e32 v3, 0, v6, vcc_lo
	v_dual_mov_b32 v3, 0 :: v_dual_add_nc_u32 v4, v4, v3
	s_branch .LBB885_50
.LBB885_49:                             ;   in Loop: Header=BB885_50 Depth=1
	s_or_b32 exec_lo, exec_lo, s24
	ds_bpermute_b32 v7, v10, v4
	v_and_b32_e32 v6, 0xff, v5
	v_subrev_nc_u32_e32 v2, 32, v2
	s_delay_alu instid0(VALU_DEP_2) | instskip(SKIP_1) | instid1(VALU_DEP_1)
	v_cmp_eq_u16_e32 vcc_lo, 2, v6
	v_and_or_b32 v6, vcc_lo, v11, 0x80000000
	v_ctz_i32_b32_e32 v6, v6
	s_delay_alu instid0(VALU_DEP_1) | instskip(SKIP_3) | instid1(VALU_DEP_2)
	v_cmp_lt_u32_e32 vcc_lo, v50, v6
	s_waitcnt lgkmcnt(0)
	v_cndmask_b32_e32 v7, 0, v7, vcc_lo
	v_cmp_le_u32_e32 vcc_lo, v13, v6
	v_add_nc_u32_e32 v4, v7, v4
	ds_bpermute_b32 v7, v12, v4
	s_waitcnt lgkmcnt(0)
	v_cndmask_b32_e32 v7, 0, v7, vcc_lo
	v_cmp_le_u32_e32 vcc_lo, v16, v6
	s_delay_alu instid0(VALU_DEP_2) | instskip(SKIP_4) | instid1(VALU_DEP_2)
	v_add_nc_u32_e32 v4, v4, v7
	ds_bpermute_b32 v7, v14, v4
	s_waitcnt lgkmcnt(0)
	v_cndmask_b32_e32 v7, 0, v7, vcc_lo
	v_cmp_le_u32_e32 vcc_lo, v53, v6
	v_add_nc_u32_e32 v4, v4, v7
	ds_bpermute_b32 v7, v17, v4
	s_waitcnt lgkmcnt(0)
	v_cndmask_b32_e32 v7, 0, v7, vcc_lo
	v_cmp_le_u32_e32 vcc_lo, v55, v6
	s_delay_alu instid0(VALU_DEP_2) | instskip(SKIP_3) | instid1(VALU_DEP_1)
	v_add_nc_u32_e32 v4, v4, v7
	ds_bpermute_b32 v7, v54, v4
	s_waitcnt lgkmcnt(0)
	v_cndmask_b32_e32 v6, 0, v7, vcc_lo
	v_add3_u32 v4, v6, v15, v4
.LBB885_50:                             ; =>This Loop Header: Depth=1
                                        ;     Child Loop BB885_53 Depth 2
	v_and_b32_e32 v5, 0xff, v5
	s_delay_alu instid0(VALU_DEP_2) | instskip(NEXT) | instid1(VALU_DEP_2)
	v_mov_b32_e32 v15, v4
	v_cmp_ne_u16_e32 vcc_lo, 2, v5
	v_cndmask_b32_e64 v5, 0, 1, vcc_lo
	;;#ASMSTART
	;;#ASMEND
	s_delay_alu instid0(VALU_DEP_1)
	v_cmp_ne_u32_e32 vcc_lo, 0, v5
	s_cmp_lg_u32 vcc_lo, exec_lo
	s_cbranch_scc1 .LBB885_55
; %bb.51:                               ;   in Loop: Header=BB885_50 Depth=1
	v_lshlrev_b64 v[4:5], 3, v[2:3]
	s_mov_b32 s24, exec_lo
	s_delay_alu instid0(VALU_DEP_1) | instskip(NEXT) | instid1(VALU_DEP_2)
	v_add_co_u32 v6, vcc_lo, s20, v4
	v_add_co_ci_u32_e32 v7, vcc_lo, s21, v5, vcc_lo
	global_load_b64 v[4:5], v[6:7], off glc
	s_waitcnt vmcnt(0)
	v_and_b32_e32 v56, 0xff, v5
	s_delay_alu instid0(VALU_DEP_1)
	v_cmpx_eq_u16_e32 0, v56
	s_cbranch_execz .LBB885_49
; %bb.52:                               ;   in Loop: Header=BB885_50 Depth=1
	s_mov_b32 s25, 0
.LBB885_53:                             ;   Parent Loop BB885_50 Depth=1
                                        ; =>  This Inner Loop Header: Depth=2
	global_load_b64 v[4:5], v[6:7], off glc
	s_waitcnt vmcnt(0)
	v_and_b32_e32 v56, 0xff, v5
	s_delay_alu instid0(VALU_DEP_1) | instskip(SKIP_1) | instid1(SALU_CYCLE_1)
	v_cmp_ne_u16_e32 vcc_lo, 0, v56
	s_or_b32 s25, vcc_lo, s25
	s_and_not1_b32 exec_lo, exec_lo, s25
	s_cbranch_execnz .LBB885_53
; %bb.54:                               ;   in Loop: Header=BB885_50 Depth=1
	s_or_b32 exec_lo, exec_lo, s25
	s_branch .LBB885_49
.LBB885_55:                             ;   in Loop: Header=BB885_50 Depth=1
                                        ; implicit-def: $vgpr4
                                        ; implicit-def: $vgpr5
	s_cbranch_execz .LBB885_50
; %bb.56:
	s_and_saveexec_b32 s24, s6
	s_cbranch_execz .LBB885_58
; %bb.57:
	s_add_i32 s26, s15, 32
	s_mov_b32 s27, 0
	v_dual_mov_b32 v3, 2 :: v_dual_add_nc_u32 v2, v15, v1
	s_lshl_b64 s[26:27], s[26:27], 3
	v_mov_b32_e32 v4, 0
	v_add_nc_u32_e64 v5, 0x3400, 0
	s_add_u32 s26, s20, s26
	s_addc_u32 s27, s21, s27
	global_store_b64 v4, v[2:3], s[26:27]
	ds_store_2addr_b32 v5, v1, v15 offset1:2
.LBB885_58:
	s_or_b32 exec_lo, exec_lo, s24
	v_cmp_eq_u32_e32 vcc_lo, 0, v0
	s_and_b32 exec_lo, exec_lo, vcc_lo
	s_cbranch_execz .LBB885_60
; %bb.59:
	v_mov_b32_e32 v1, 0
	ds_store_b32 v1, v15 offset:28
.LBB885_60:
	s_or_b32 exec_lo, exec_lo, s7
	s_waitcnt lgkmcnt(0)
	v_cndmask_b32_e64 v2, v9, v8, s6
	v_cmp_ne_u32_e32 vcc_lo, 0, v0
	v_mov_b32_e32 v1, 0
	s_waitcnt_vscnt null, 0x0
	s_barrier
	buffer_gl0_inv
	v_cndmask_b32_e32 v2, 0, v2, vcc_lo
	ds_load_b32 v1, v1 offset:28
	v_add_nc_u32_e64 v11, 0x3400, 0
	s_waitcnt lgkmcnt(0)
	s_barrier
	buffer_gl0_inv
	ds_load_2addr_b32 v[16:17], v11 offset1:2
	v_add_nc_u32_e32 v1, v1, v2
	s_delay_alu instid0(VALU_DEP_1) | instskip(NEXT) | instid1(VALU_DEP_1)
	v_add_nc_u32_e32 v2, v1, v41
	v_add_nc_u32_e32 v3, v2, v42
	s_delay_alu instid0(VALU_DEP_1) | instskip(NEXT) | instid1(VALU_DEP_1)
	v_add_nc_u32_e32 v4, v3, v43
	;; [unrolled: 3-line block ×6, first 2 shown]
	v_add_nc_u32_e32 v13, v12, v36
	s_branch .LBB885_71
.LBB885_61:
                                        ; implicit-def: $vgpr17
                                        ; implicit-def: $vgpr1_vgpr2_vgpr3_vgpr4_vgpr5_vgpr6_vgpr7_vgpr8_vgpr9_vgpr10_vgpr11_vgpr12_vgpr13_vgpr14_vgpr15_vgpr16
	s_and_b32 vcc_lo, exec_lo, s6
	s_cbranch_vccz .LBB885_71
; %bb.62:
	s_delay_alu instid0(VALU_DEP_1) | instskip(NEXT) | instid1(VALU_DEP_1)
	v_mov_b32_dpp v1, v52 row_shr:1 row_mask:0xf bank_mask:0xf
	v_cndmask_b32_e64 v1, v1, 0, s5
	s_delay_alu instid0(VALU_DEP_1) | instskip(NEXT) | instid1(VALU_DEP_1)
	v_add_nc_u32_e32 v1, v1, v52
	v_mov_b32_dpp v2, v1 row_shr:2 row_mask:0xf bank_mask:0xf
	s_delay_alu instid0(VALU_DEP_1) | instskip(NEXT) | instid1(VALU_DEP_1)
	v_cndmask_b32_e64 v2, 0, v2, s4
	v_add_nc_u32_e32 v1, v1, v2
	s_delay_alu instid0(VALU_DEP_1) | instskip(NEXT) | instid1(VALU_DEP_1)
	v_mov_b32_dpp v2, v1 row_shr:4 row_mask:0xf bank_mask:0xf
	v_cndmask_b32_e64 v2, 0, v2, s3
	s_delay_alu instid0(VALU_DEP_1) | instskip(NEXT) | instid1(VALU_DEP_1)
	v_add_nc_u32_e32 v1, v1, v2
	v_mov_b32_dpp v2, v1 row_shr:8 row_mask:0xf bank_mask:0xf
	s_delay_alu instid0(VALU_DEP_1) | instskip(NEXT) | instid1(VALU_DEP_1)
	v_cndmask_b32_e64 v2, 0, v2, s2
	v_add_nc_u32_e32 v1, v1, v2
	ds_swizzle_b32 v2, v1 offset:swizzle(BROADCAST,32,15)
	s_waitcnt lgkmcnt(0)
	v_cndmask_b32_e64 v2, v2, 0, s1
	s_delay_alu instid0(VALU_DEP_1)
	v_add_nc_u32_e32 v1, v1, v2
	s_and_saveexec_b32 s1, s0
	s_cbranch_execz .LBB885_64
; %bb.63:
	v_lshlrev_b32_e32 v2, 2, v51
	ds_store_b32 v2, v1
.LBB885_64:
	s_or_b32 exec_lo, exec_lo, s1
	s_delay_alu instid0(SALU_CYCLE_1)
	s_mov_b32 s0, exec_lo
	s_waitcnt lgkmcnt(0)
	s_barrier
	buffer_gl0_inv
	v_cmpx_gt_u32_e32 8, v0
	s_cbranch_execz .LBB885_66
; %bb.65:
	ds_load_b32 v2, v30
	s_waitcnt lgkmcnt(0)
	v_mov_b32_dpp v4, v2 row_shr:1 row_mask:0xf bank_mask:0xf
	v_and_b32_e32 v3, 7, v50
	s_delay_alu instid0(VALU_DEP_1) | instskip(NEXT) | instid1(VALU_DEP_3)
	v_cmp_ne_u32_e32 vcc_lo, 0, v3
	v_cndmask_b32_e32 v4, 0, v4, vcc_lo
	v_cmp_lt_u32_e32 vcc_lo, 1, v3
	s_delay_alu instid0(VALU_DEP_2) | instskip(NEXT) | instid1(VALU_DEP_1)
	v_add_nc_u32_e32 v2, v4, v2
	v_mov_b32_dpp v4, v2 row_shr:2 row_mask:0xf bank_mask:0xf
	s_delay_alu instid0(VALU_DEP_1) | instskip(SKIP_1) | instid1(VALU_DEP_2)
	v_cndmask_b32_e32 v4, 0, v4, vcc_lo
	v_cmp_lt_u32_e32 vcc_lo, 3, v3
	v_add_nc_u32_e32 v2, v2, v4
	s_delay_alu instid0(VALU_DEP_1) | instskip(NEXT) | instid1(VALU_DEP_1)
	v_mov_b32_dpp v4, v2 row_shr:4 row_mask:0xf bank_mask:0xf
	v_cndmask_b32_e32 v3, 0, v4, vcc_lo
	s_delay_alu instid0(VALU_DEP_1)
	v_add_nc_u32_e32 v2, v2, v3
	ds_store_b32 v30, v2
.LBB885_66:
	s_or_b32 exec_lo, exec_lo, s0
	v_dual_mov_b32 v3, 0 :: v_dual_mov_b32 v2, 0
	s_mov_b32 s0, exec_lo
	s_waitcnt lgkmcnt(0)
	s_barrier
	buffer_gl0_inv
	v_cmpx_lt_u32_e32 31, v0
	s_cbranch_execz .LBB885_68
; %bb.67:
	v_lshl_add_u32 v2, v51, 2, -4
	ds_load_b32 v2, v2
.LBB885_68:
	s_or_b32 exec_lo, exec_lo, s0
	v_add_nc_u32_e32 v4, -1, v50
	ds_load_b32 v16, v3 offset:28
	s_waitcnt lgkmcnt(1)
	v_add_nc_u32_e32 v1, v2, v1
	v_cmp_gt_i32_e32 vcc_lo, 0, v4
	v_cndmask_b32_e32 v4, v4, v50, vcc_lo
	v_cmp_eq_u32_e32 vcc_lo, 0, v0
	s_delay_alu instid0(VALU_DEP_2)
	v_lshlrev_b32_e32 v4, 2, v4
	ds_bpermute_b32 v1, v4, v1
	s_and_saveexec_b32 s0, vcc_lo
	s_cbranch_execz .LBB885_70
; %bb.69:
	v_mov_b32_e32 v3, 0
	v_mov_b32_e32 v17, 2
	s_waitcnt lgkmcnt(1)
	global_store_b64 v3, v[16:17], s[20:21] offset:256
.LBB885_70:
	s_or_b32 exec_lo, exec_lo, s0
	v_cmp_eq_u32_e64 s0, 0, v50
	s_waitcnt lgkmcnt(0)
	s_waitcnt_vscnt null, 0x0
	s_barrier
	buffer_gl0_inv
	v_mov_b32_e32 v17, 0
	v_cndmask_b32_e64 v1, v1, v2, s0
	s_delay_alu instid0(VALU_DEP_1) | instskip(NEXT) | instid1(VALU_DEP_1)
	v_cndmask_b32_e64 v1, v1, 0, vcc_lo
	v_add_nc_u32_e32 v2, v1, v41
	s_delay_alu instid0(VALU_DEP_1) | instskip(NEXT) | instid1(VALU_DEP_1)
	v_add_nc_u32_e32 v3, v2, v42
	v_add_nc_u32_e32 v4, v3, v43
	s_delay_alu instid0(VALU_DEP_1) | instskip(NEXT) | instid1(VALU_DEP_1)
	v_add_nc_u32_e32 v5, v4, v40
	;; [unrolled: 3-line block ×5, first 2 shown]
	v_add_nc_u32_e32 v12, v11, v49
	s_delay_alu instid0(VALU_DEP_1)
	v_add_nc_u32_e32 v13, v12, v36
.LBB885_71:
	v_lshrrev_b32_e32 v44, 8, v39
	v_lshrrev_b32_e32 v43, 16, v39
	s_waitcnt lgkmcnt(0)
	v_sub_nc_u32_e32 v1, v1, v17
	v_and_b32_e32 v39, 1, v39
	v_sub_nc_u32_e32 v3, v3, v17
	v_add_nc_u32_e32 v33, v16, v33
	v_sub_nc_u32_e32 v2, v2, v17
	v_sub_nc_u32_e32 v4, v4, v17
	v_cmp_eq_u32_e32 vcc_lo, 1, v39
	v_and_b32_e32 v39, 1, v43
	v_sub_nc_u32_e32 v45, v33, v1
	v_and_b32_e32 v44, 1, v44
	v_sub_nc_u32_e32 v43, v33, v2
	v_lshrrev_b32_e32 v42, 8, v37
	v_lshrrev_b32_e32 v41, 16, v37
	v_cndmask_b32_e32 v1, v45, v1, vcc_lo
	v_sub_nc_u32_e32 v45, v33, v3
	v_add_nc_u32_e32 v43, 1, v43
	v_cmp_eq_u32_e32 vcc_lo, 1, v44
	v_and_b32_e32 v40, 1, v40
	v_lshlrev_b32_e32 v1, 2, v1
	v_add_nc_u32_e32 v45, 2, v45
	v_lshrrev_b32_e32 v15, 8, v35
	v_lshrrev_b32_e32 v14, 16, v35
	ds_store_b32 v1, v28
	v_cndmask_b32_e32 v1, v43, v2, vcc_lo
	v_cmp_eq_u32_e32 vcc_lo, 1, v39
	v_or_b32_e32 v28, 0x500, v0
	s_delay_alu instid0(VALU_DEP_3)
	v_dual_cndmask_b32 v2, v45, v3 :: v_dual_lshlrev_b32 v1, 2, v1
	v_sub_nc_u32_e32 v46, v33, v4
	v_cmp_eq_u32_e32 vcc_lo, 1, v40
	ds_store_b32 v1, v29
	v_lshlrev_b32_e32 v2, 2, v2
	v_add_nc_u32_e32 v46, 3, v46
	v_or_b32_e32 v29, 0x400, v0
	s_delay_alu instid0(VALU_DEP_2) | instskip(SKIP_2) | instid1(VALU_DEP_3)
	v_cndmask_b32_e32 v3, v46, v4, vcc_lo
	v_sub_nc_u32_e32 v4, v5, v17
	v_sub_nc_u32_e32 v5, v6, v17
	v_lshlrev_b32_e32 v3, 2, v3
	s_delay_alu instid0(VALU_DEP_3) | instskip(NEXT) | instid1(VALU_DEP_3)
	v_sub_nc_u32_e32 v1, v33, v4
	v_sub_nc_u32_e32 v6, v33, v5
	ds_store_b32 v2, v26
	ds_store_b32 v3, v27
	v_and_b32_e32 v2, 1, v37
	v_add_nc_u32_e32 v1, 4, v1
	v_add_nc_u32_e32 v3, 5, v6
	v_sub_nc_u32_e32 v6, v7, v17
	v_and_b32_e32 v7, 1, v42
	v_cmp_eq_u32_e32 vcc_lo, 1, v2
	v_sub_nc_u32_e32 v2, v8, v17
	v_and_b32_e32 v8, 1, v38
	v_or_b32_e32 v27, 0x600, v0
	v_or_b32_e32 v26, 0x700, v0
	v_cndmask_b32_e32 v1, v1, v4, vcc_lo
	v_sub_nc_u32_e32 v4, v33, v6
	v_cmp_eq_u32_e32 vcc_lo, 1, v7
	v_and_b32_e32 v7, 1, v41
	s_delay_alu instid0(VALU_DEP_4) | instskip(NEXT) | instid1(VALU_DEP_4)
	v_lshlrev_b32_e32 v1, 2, v1
	v_dual_cndmask_b32 v3, v3, v5 :: v_dual_add_nc_u32 v4, 6, v4
	v_sub_nc_u32_e32 v5, v33, v2
	s_delay_alu instid0(VALU_DEP_4) | instskip(SKIP_1) | instid1(VALU_DEP_4)
	v_cmp_eq_u32_e32 vcc_lo, 1, v7
	v_sub_nc_u32_e32 v7, v13, v17
	v_lshlrev_b32_e32 v3, 2, v3
	s_delay_alu instid0(VALU_DEP_4)
	v_dual_cndmask_b32 v4, v4, v6 :: v_dual_add_nc_u32 v5, 7, v5
	v_cmp_eq_u32_e32 vcc_lo, 1, v8
	v_sub_nc_u32_e32 v6, v9, v17
	ds_store_b32 v1, v24
	ds_store_b32 v3, v25
	v_or_b32_e32 v25, 0x800, v0
	v_dual_cndmask_b32 v2, v5, v2 :: v_dual_lshlrev_b32 v3, 2, v4
	v_and_b32_e32 v5, 1, v35
	v_sub_nc_u32_e32 v1, v33, v6
	v_sub_nc_u32_e32 v4, v10, v17
	v_and_b32_e32 v10, 1, v36
	v_or_b32_e32 v24, 0x900, v0
	v_cmp_eq_u32_e32 vcc_lo, 1, v5
	v_sub_nc_u32_e32 v5, v12, v17
	v_add_nc_u32_e32 v1, 8, v1
	s_delay_alu instid0(VALU_DEP_2) | instskip(NEXT) | instid1(VALU_DEP_2)
	v_sub_nc_u32_e32 v9, v33, v5
	v_dual_cndmask_b32 v1, v1, v6 :: v_dual_and_b32 v6, 1, v15
	v_add_co_u32 v15, s0, s18, v17
	s_delay_alu instid0(VALU_DEP_3)
	v_add_nc_u32_e32 v9, 11, v9
	v_lshlrev_b32_e32 v2, 2, v2
	ds_store_b32 v3, v22
	ds_store_b32 v2, v23
	v_sub_nc_u32_e32 v3, v11, v17
	v_sub_nc_u32_e32 v2, v33, v4
	v_cmp_eq_u32_e32 vcc_lo, 1, v6
	v_and_b32_e32 v11, 1, v34
	v_lshlrev_b32_e32 v1, 2, v1
	v_sub_nc_u32_e32 v8, v33, v3
	v_add_nc_u32_e32 v2, 9, v2
	v_add_co_ci_u32_e64 v17, null, s19, 0, s0
	s_add_u32 s0, s16, s23
	s_delay_alu instid0(VALU_DEP_3)
	v_add_nc_u32_e32 v6, 10, v8
	v_and_b32_e32 v8, 1, v14
	v_cndmask_b32_e32 v2, v2, v4, vcc_lo
	v_sub_nc_u32_e32 v4, v33, v7
	s_addc_u32 s1, s17, 0
	s_sub_u32 s0, s12, s0
	v_cmp_eq_u32_e32 vcc_lo, 1, v8
	v_lshlrev_b32_e32 v2, 2, v2
	v_add_nc_u32_e32 v4, 12, v4
	s_subb_u32 s1, s13, s1
	v_add_co_u32 v13, s0, s0, v16
	v_cndmask_b32_e32 v3, v6, v3, vcc_lo
	v_cmp_eq_u32_e32 vcc_lo, 1, v10
	v_add_co_ci_u32_e64 v14, null, s1, 0, s0
	v_or_b32_e32 v34, 0x100, v0
	s_delay_alu instid0(VALU_DEP_4)
	v_lshlrev_b32_e32 v3, 2, v3
	v_cndmask_b32_e32 v5, v9, v5, vcc_lo
	v_cmp_eq_u32_e32 vcc_lo, 1, v11
	v_or_b32_e32 v33, 0x200, v0
	v_or_b32_e32 v23, 0xa00, v0
	v_or_b32_e32 v22, 0xb00, v0
	v_dual_cndmask_b32 v4, v4, v7 :: v_dual_lshlrev_b32 v5, 2, v5
	v_cmp_ne_u32_e32 vcc_lo, 1, v31
	s_delay_alu instid0(VALU_DEP_2)
	v_lshlrev_b32_e32 v4, 2, v4
	ds_store_b32 v1, v20
	ds_store_b32 v2, v21
	;; [unrolled: 1-line block ×5, first 2 shown]
	s_waitcnt lgkmcnt(0)
	s_barrier
	buffer_gl0_inv
	ds_load_2addr_stride64_b32 v[11:12], v30 offset1:4
	ds_load_2addr_stride64_b32 v[9:10], v30 offset0:8 offset1:12
	ds_load_2addr_stride64_b32 v[7:8], v30 offset0:16 offset1:20
	;; [unrolled: 1-line block ×5, first 2 shown]
	ds_load_b32 v18, v30 offset:12288
	v_add_co_u32 v20, s0, v13, v15
	v_or_b32_e32 v32, 0x300, v0
	v_or_b32_e32 v19, 0xc00, v0
	v_add_co_ci_u32_e64 v21, s0, v14, v17, s0
	s_mov_b32 s0, 0
	s_cbranch_vccnz .LBB885_125
; %bb.72:
	s_mov_b32 s0, exec_lo
                                        ; implicit-def: $vgpr13_vgpr14
	v_cmpx_ge_u32_e64 v0, v16
	s_xor_b32 s0, exec_lo, s0
; %bb.73:
	v_not_b32_e32 v13, v0
	s_delay_alu instid0(VALU_DEP_1) | instskip(SKIP_1) | instid1(VALU_DEP_2)
	v_ashrrev_i32_e32 v14, 31, v13
	v_add_co_u32 v13, vcc_lo, v20, v13
	v_add_co_ci_u32_e32 v14, vcc_lo, v21, v14, vcc_lo
; %bb.74:
	s_and_not1_saveexec_b32 s0, s0
; %bb.75:
	v_add_co_u32 v13, vcc_lo, v15, v0
	v_add_co_ci_u32_e32 v14, vcc_lo, 0, v17, vcc_lo
; %bb.76:
	s_or_b32 exec_lo, exec_lo, s0
	s_delay_alu instid0(VALU_DEP_1) | instskip(SKIP_1) | instid1(VALU_DEP_1)
	v_lshlrev_b64 v[13:14], 2, v[13:14]
	s_mov_b32 s0, exec_lo
	v_add_co_u32 v13, vcc_lo, s10, v13
	s_delay_alu instid0(VALU_DEP_2)
	v_add_co_ci_u32_e32 v14, vcc_lo, s11, v14, vcc_lo
	s_waitcnt lgkmcnt(6)
	global_store_b32 v[13:14], v11, off
                                        ; implicit-def: $vgpr13_vgpr14
	v_cmpx_ge_u32_e64 v34, v16
	s_xor_b32 s0, exec_lo, s0
; %bb.77:
	v_xor_b32_e32 v13, 0xfffffeff, v0
	s_delay_alu instid0(VALU_DEP_1) | instskip(SKIP_1) | instid1(VALU_DEP_2)
	v_ashrrev_i32_e32 v14, 31, v13
	v_add_co_u32 v13, vcc_lo, v20, v13
	v_add_co_ci_u32_e32 v14, vcc_lo, v21, v14, vcc_lo
; %bb.78:
	s_and_not1_saveexec_b32 s0, s0
; %bb.79:
	v_add_co_u32 v13, vcc_lo, v15, v34
	v_add_co_ci_u32_e32 v14, vcc_lo, 0, v17, vcc_lo
; %bb.80:
	s_or_b32 exec_lo, exec_lo, s0
	s_delay_alu instid0(VALU_DEP_1) | instskip(SKIP_1) | instid1(VALU_DEP_1)
	v_lshlrev_b64 v[13:14], 2, v[13:14]
	s_mov_b32 s0, exec_lo
	v_add_co_u32 v13, vcc_lo, s10, v13
	s_delay_alu instid0(VALU_DEP_2)
	v_add_co_ci_u32_e32 v14, vcc_lo, s11, v14, vcc_lo
	global_store_b32 v[13:14], v12, off
                                        ; implicit-def: $vgpr13_vgpr14
	v_cmpx_ge_u32_e64 v33, v16
	s_xor_b32 s0, exec_lo, s0
; %bb.81:
	v_xor_b32_e32 v13, 0xfffffdff, v0
	s_delay_alu instid0(VALU_DEP_1) | instskip(SKIP_1) | instid1(VALU_DEP_2)
	v_ashrrev_i32_e32 v14, 31, v13
	v_add_co_u32 v13, vcc_lo, v20, v13
	v_add_co_ci_u32_e32 v14, vcc_lo, v21, v14, vcc_lo
; %bb.82:
	s_and_not1_saveexec_b32 s0, s0
; %bb.83:
	v_add_co_u32 v13, vcc_lo, v15, v33
	v_add_co_ci_u32_e32 v14, vcc_lo, 0, v17, vcc_lo
; %bb.84:
	s_or_b32 exec_lo, exec_lo, s0
	s_delay_alu instid0(VALU_DEP_1) | instskip(SKIP_1) | instid1(VALU_DEP_1)
	v_lshlrev_b64 v[13:14], 2, v[13:14]
	s_mov_b32 s0, exec_lo
	v_add_co_u32 v13, vcc_lo, s10, v13
	s_delay_alu instid0(VALU_DEP_2)
	v_add_co_ci_u32_e32 v14, vcc_lo, s11, v14, vcc_lo
	s_waitcnt lgkmcnt(5)
	global_store_b32 v[13:14], v9, off
                                        ; implicit-def: $vgpr13_vgpr14
	v_cmpx_ge_u32_e64 v32, v16
	s_xor_b32 s0, exec_lo, s0
; %bb.85:
	v_xor_b32_e32 v13, 0xfffffcff, v0
	s_delay_alu instid0(VALU_DEP_1) | instskip(SKIP_1) | instid1(VALU_DEP_2)
	v_ashrrev_i32_e32 v14, 31, v13
	v_add_co_u32 v13, vcc_lo, v20, v13
	v_add_co_ci_u32_e32 v14, vcc_lo, v21, v14, vcc_lo
; %bb.86:
	s_and_not1_saveexec_b32 s0, s0
; %bb.87:
	v_add_co_u32 v13, vcc_lo, v15, v32
	v_add_co_ci_u32_e32 v14, vcc_lo, 0, v17, vcc_lo
; %bb.88:
	s_or_b32 exec_lo, exec_lo, s0
	s_delay_alu instid0(VALU_DEP_1) | instskip(SKIP_1) | instid1(VALU_DEP_1)
	v_lshlrev_b64 v[13:14], 2, v[13:14]
	s_mov_b32 s0, exec_lo
	v_add_co_u32 v13, vcc_lo, s10, v13
	s_delay_alu instid0(VALU_DEP_2)
	v_add_co_ci_u32_e32 v14, vcc_lo, s11, v14, vcc_lo
	global_store_b32 v[13:14], v10, off
                                        ; implicit-def: $vgpr13_vgpr14
	v_cmpx_ge_u32_e64 v29, v16
	s_xor_b32 s0, exec_lo, s0
; %bb.89:
	v_xor_b32_e32 v13, 0xfffffbff, v0
	;; [unrolled: 47-line block ×6, first 2 shown]
	s_delay_alu instid0(VALU_DEP_1) | instskip(SKIP_1) | instid1(VALU_DEP_2)
	v_ashrrev_i32_e32 v14, 31, v13
	v_add_co_u32 v13, vcc_lo, v20, v13
	v_add_co_ci_u32_e32 v14, vcc_lo, v21, v14, vcc_lo
; %bb.122:
	s_and_not1_saveexec_b32 s0, s0
; %bb.123:
	v_add_co_u32 v13, vcc_lo, v15, v19
	v_add_co_ci_u32_e32 v14, vcc_lo, 0, v17, vcc_lo
; %bb.124:
	s_or_b32 exec_lo, exec_lo, s0
	s_mov_b32 s0, -1
	s_branch .LBB885_205
.LBB885_125:
                                        ; implicit-def: $vgpr13_vgpr14
	s_cbranch_execz .LBB885_205
; %bb.126:
	s_mov_b32 s1, exec_lo
	v_cmpx_gt_u32_e64 s22, v0
	s_cbranch_execz .LBB885_162
; %bb.127:
	s_mov_b32 s2, exec_lo
                                        ; implicit-def: $vgpr13_vgpr14
	v_cmpx_ge_u32_e64 v0, v16
	s_xor_b32 s2, exec_lo, s2
; %bb.128:
	v_not_b32_e32 v13, v0
	s_delay_alu instid0(VALU_DEP_1) | instskip(SKIP_1) | instid1(VALU_DEP_2)
	v_ashrrev_i32_e32 v14, 31, v13
	v_add_co_u32 v13, vcc_lo, v20, v13
	v_add_co_ci_u32_e32 v14, vcc_lo, v21, v14, vcc_lo
; %bb.129:
	s_and_not1_saveexec_b32 s2, s2
; %bb.130:
	v_add_co_u32 v13, vcc_lo, v15, v0
	v_add_co_ci_u32_e32 v14, vcc_lo, 0, v17, vcc_lo
; %bb.131:
	s_or_b32 exec_lo, exec_lo, s2
	s_delay_alu instid0(VALU_DEP_1) | instskip(NEXT) | instid1(VALU_DEP_1)
	v_lshlrev_b64 v[13:14], 2, v[13:14]
	v_add_co_u32 v13, vcc_lo, s10, v13
	s_delay_alu instid0(VALU_DEP_2) | instskip(SKIP_3) | instid1(SALU_CYCLE_1)
	v_add_co_ci_u32_e32 v14, vcc_lo, s11, v14, vcc_lo
	s_waitcnt lgkmcnt(6)
	global_store_b32 v[13:14], v11, off
	s_or_b32 exec_lo, exec_lo, s1
	s_mov_b32 s1, exec_lo
	v_cmpx_gt_u32_e64 s22, v34
	s_cbranch_execnz .LBB885_163
.LBB885_132:
	s_or_b32 exec_lo, exec_lo, s1
	s_delay_alu instid0(SALU_CYCLE_1)
	s_mov_b32 s1, exec_lo
	v_cmpx_gt_u32_e64 s22, v33
	s_cbranch_execz .LBB885_168
.LBB885_133:
	s_mov_b32 s2, exec_lo
                                        ; implicit-def: $vgpr11_vgpr12
	v_cmpx_ge_u32_e64 v33, v16
	s_xor_b32 s2, exec_lo, s2
	s_cbranch_execz .LBB885_135
; %bb.134:
	s_waitcnt lgkmcnt(6)
	v_xor_b32_e32 v11, 0xfffffdff, v0
                                        ; implicit-def: $vgpr33
	s_delay_alu instid0(VALU_DEP_1) | instskip(SKIP_1) | instid1(VALU_DEP_2)
	v_ashrrev_i32_e32 v12, 31, v11
	v_add_co_u32 v11, vcc_lo, v20, v11
	v_add_co_ci_u32_e32 v12, vcc_lo, v21, v12, vcc_lo
.LBB885_135:
	s_and_not1_saveexec_b32 s2, s2
	s_cbranch_execz .LBB885_137
; %bb.136:
	s_waitcnt lgkmcnt(6)
	v_add_co_u32 v11, vcc_lo, v15, v33
	v_add_co_ci_u32_e32 v12, vcc_lo, 0, v17, vcc_lo
.LBB885_137:
	s_or_b32 exec_lo, exec_lo, s2
	s_waitcnt lgkmcnt(6)
	s_delay_alu instid0(VALU_DEP_1) | instskip(NEXT) | instid1(VALU_DEP_1)
	v_lshlrev_b64 v[11:12], 2, v[11:12]
	v_add_co_u32 v11, vcc_lo, s10, v11
	s_delay_alu instid0(VALU_DEP_2) | instskip(SKIP_3) | instid1(SALU_CYCLE_1)
	v_add_co_ci_u32_e32 v12, vcc_lo, s11, v12, vcc_lo
	s_waitcnt lgkmcnt(5)
	global_store_b32 v[11:12], v9, off
	s_or_b32 exec_lo, exec_lo, s1
	s_mov_b32 s1, exec_lo
	v_cmpx_gt_u32_e64 s22, v32
	s_cbranch_execnz .LBB885_169
.LBB885_138:
	s_or_b32 exec_lo, exec_lo, s1
	s_delay_alu instid0(SALU_CYCLE_1)
	s_mov_b32 s1, exec_lo
	v_cmpx_gt_u32_e64 s22, v29
	s_cbranch_execz .LBB885_174
.LBB885_139:
	s_mov_b32 s2, exec_lo
                                        ; implicit-def: $vgpr9_vgpr10
	v_cmpx_ge_u32_e64 v29, v16
	s_xor_b32 s2, exec_lo, s2
	s_cbranch_execz .LBB885_141
; %bb.140:
	s_waitcnt lgkmcnt(5)
	v_xor_b32_e32 v9, 0xfffffbff, v0
                                        ; implicit-def: $vgpr29
	s_delay_alu instid0(VALU_DEP_1) | instskip(SKIP_1) | instid1(VALU_DEP_2)
	v_ashrrev_i32_e32 v10, 31, v9
	v_add_co_u32 v9, vcc_lo, v20, v9
	v_add_co_ci_u32_e32 v10, vcc_lo, v21, v10, vcc_lo
.LBB885_141:
	s_and_not1_saveexec_b32 s2, s2
	s_cbranch_execz .LBB885_143
; %bb.142:
	s_waitcnt lgkmcnt(5)
	v_add_co_u32 v9, vcc_lo, v15, v29
	v_add_co_ci_u32_e32 v10, vcc_lo, 0, v17, vcc_lo
.LBB885_143:
	s_or_b32 exec_lo, exec_lo, s2
	s_waitcnt lgkmcnt(5)
	s_delay_alu instid0(VALU_DEP_1) | instskip(NEXT) | instid1(VALU_DEP_1)
	v_lshlrev_b64 v[9:10], 2, v[9:10]
	v_add_co_u32 v9, vcc_lo, s10, v9
	s_delay_alu instid0(VALU_DEP_2) | instskip(SKIP_3) | instid1(SALU_CYCLE_1)
	v_add_co_ci_u32_e32 v10, vcc_lo, s11, v10, vcc_lo
	s_waitcnt lgkmcnt(4)
	global_store_b32 v[9:10], v7, off
	s_or_b32 exec_lo, exec_lo, s1
	s_mov_b32 s1, exec_lo
	v_cmpx_gt_u32_e64 s22, v28
	s_cbranch_execnz .LBB885_175
.LBB885_144:
	s_or_b32 exec_lo, exec_lo, s1
	s_delay_alu instid0(SALU_CYCLE_1)
	s_mov_b32 s1, exec_lo
	v_cmpx_gt_u32_e64 s22, v27
	s_cbranch_execz .LBB885_180
.LBB885_145:
	s_mov_b32 s2, exec_lo
                                        ; implicit-def: $vgpr7_vgpr8
	v_cmpx_ge_u32_e64 v27, v16
	s_xor_b32 s2, exec_lo, s2
	s_cbranch_execz .LBB885_147
; %bb.146:
	s_waitcnt lgkmcnt(4)
	v_xor_b32_e32 v7, 0xfffff9ff, v0
                                        ; implicit-def: $vgpr27
	s_delay_alu instid0(VALU_DEP_1) | instskip(SKIP_1) | instid1(VALU_DEP_2)
	v_ashrrev_i32_e32 v8, 31, v7
	v_add_co_u32 v7, vcc_lo, v20, v7
	v_add_co_ci_u32_e32 v8, vcc_lo, v21, v8, vcc_lo
.LBB885_147:
	s_and_not1_saveexec_b32 s2, s2
	s_cbranch_execz .LBB885_149
; %bb.148:
	s_waitcnt lgkmcnt(4)
	v_add_co_u32 v7, vcc_lo, v15, v27
	v_add_co_ci_u32_e32 v8, vcc_lo, 0, v17, vcc_lo
.LBB885_149:
	s_or_b32 exec_lo, exec_lo, s2
	s_waitcnt lgkmcnt(4)
	s_delay_alu instid0(VALU_DEP_1) | instskip(NEXT) | instid1(VALU_DEP_1)
	v_lshlrev_b64 v[7:8], 2, v[7:8]
	v_add_co_u32 v7, vcc_lo, s10, v7
	s_delay_alu instid0(VALU_DEP_2) | instskip(SKIP_3) | instid1(SALU_CYCLE_1)
	v_add_co_ci_u32_e32 v8, vcc_lo, s11, v8, vcc_lo
	s_waitcnt lgkmcnt(3)
	global_store_b32 v[7:8], v5, off
	s_or_b32 exec_lo, exec_lo, s1
	s_mov_b32 s1, exec_lo
	v_cmpx_gt_u32_e64 s22, v26
	s_cbranch_execnz .LBB885_181
.LBB885_150:
	s_or_b32 exec_lo, exec_lo, s1
	s_delay_alu instid0(SALU_CYCLE_1)
	s_mov_b32 s1, exec_lo
	v_cmpx_gt_u32_e64 s22, v25
	s_cbranch_execz .LBB885_186
.LBB885_151:
	s_mov_b32 s2, exec_lo
                                        ; implicit-def: $vgpr5_vgpr6
	v_cmpx_ge_u32_e64 v25, v16
	s_xor_b32 s2, exec_lo, s2
	s_cbranch_execz .LBB885_153
; %bb.152:
	s_waitcnt lgkmcnt(3)
	v_xor_b32_e32 v5, 0xfffff7ff, v0
                                        ; implicit-def: $vgpr25
	s_delay_alu instid0(VALU_DEP_1) | instskip(SKIP_1) | instid1(VALU_DEP_2)
	v_ashrrev_i32_e32 v6, 31, v5
	v_add_co_u32 v5, vcc_lo, v20, v5
	v_add_co_ci_u32_e32 v6, vcc_lo, v21, v6, vcc_lo
.LBB885_153:
	s_and_not1_saveexec_b32 s2, s2
	s_cbranch_execz .LBB885_155
; %bb.154:
	s_waitcnt lgkmcnt(3)
	v_add_co_u32 v5, vcc_lo, v15, v25
	v_add_co_ci_u32_e32 v6, vcc_lo, 0, v17, vcc_lo
.LBB885_155:
	s_or_b32 exec_lo, exec_lo, s2
	s_waitcnt lgkmcnt(3)
	s_delay_alu instid0(VALU_DEP_1) | instskip(NEXT) | instid1(VALU_DEP_1)
	v_lshlrev_b64 v[5:6], 2, v[5:6]
	v_add_co_u32 v5, vcc_lo, s10, v5
	s_delay_alu instid0(VALU_DEP_2) | instskip(SKIP_3) | instid1(SALU_CYCLE_1)
	v_add_co_ci_u32_e32 v6, vcc_lo, s11, v6, vcc_lo
	s_waitcnt lgkmcnt(2)
	global_store_b32 v[5:6], v3, off
	s_or_b32 exec_lo, exec_lo, s1
	s_mov_b32 s1, exec_lo
	v_cmpx_gt_u32_e64 s22, v24
	s_cbranch_execnz .LBB885_187
.LBB885_156:
	s_or_b32 exec_lo, exec_lo, s1
	s_delay_alu instid0(SALU_CYCLE_1)
	s_mov_b32 s1, exec_lo
	v_cmpx_gt_u32_e64 s22, v23
	s_cbranch_execz .LBB885_192
.LBB885_157:
	s_mov_b32 s2, exec_lo
                                        ; implicit-def: $vgpr3_vgpr4
	v_cmpx_ge_u32_e64 v23, v16
	s_xor_b32 s2, exec_lo, s2
	s_cbranch_execz .LBB885_159
; %bb.158:
	s_waitcnt lgkmcnt(2)
	v_xor_b32_e32 v3, 0xfffff5ff, v0
                                        ; implicit-def: $vgpr23
	s_delay_alu instid0(VALU_DEP_1) | instskip(SKIP_1) | instid1(VALU_DEP_2)
	v_ashrrev_i32_e32 v4, 31, v3
	v_add_co_u32 v3, vcc_lo, v20, v3
	v_add_co_ci_u32_e32 v4, vcc_lo, v21, v4, vcc_lo
.LBB885_159:
	s_and_not1_saveexec_b32 s2, s2
	s_cbranch_execz .LBB885_161
; %bb.160:
	s_waitcnt lgkmcnt(2)
	v_add_co_u32 v3, vcc_lo, v15, v23
	v_add_co_ci_u32_e32 v4, vcc_lo, 0, v17, vcc_lo
.LBB885_161:
	s_or_b32 exec_lo, exec_lo, s2
	s_waitcnt lgkmcnt(2)
	s_delay_alu instid0(VALU_DEP_1) | instskip(NEXT) | instid1(VALU_DEP_1)
	v_lshlrev_b64 v[3:4], 2, v[3:4]
	v_add_co_u32 v3, vcc_lo, s10, v3
	s_delay_alu instid0(VALU_DEP_2) | instskip(SKIP_3) | instid1(SALU_CYCLE_1)
	v_add_co_ci_u32_e32 v4, vcc_lo, s11, v4, vcc_lo
	s_waitcnt lgkmcnt(1)
	global_store_b32 v[3:4], v1, off
	s_or_b32 exec_lo, exec_lo, s1
	s_mov_b32 s1, exec_lo
	v_cmpx_gt_u32_e64 s22, v22
	s_cbranch_execz .LBB885_198
	s_branch .LBB885_193
.LBB885_162:
	s_or_b32 exec_lo, exec_lo, s1
	s_delay_alu instid0(SALU_CYCLE_1)
	s_mov_b32 s1, exec_lo
	v_cmpx_gt_u32_e64 s22, v34
	s_cbranch_execz .LBB885_132
.LBB885_163:
	s_mov_b32 s2, exec_lo
                                        ; implicit-def: $vgpr13_vgpr14
	v_cmpx_ge_u32_e64 v34, v16
	s_xor_b32 s2, exec_lo, s2
	s_cbranch_execz .LBB885_165
; %bb.164:
	s_waitcnt lgkmcnt(6)
	v_xor_b32_e32 v11, 0xfffffeff, v0
                                        ; implicit-def: $vgpr34
	s_delay_alu instid0(VALU_DEP_1) | instskip(SKIP_1) | instid1(VALU_DEP_2)
	v_ashrrev_i32_e32 v14, 31, v11
	v_add_co_u32 v13, vcc_lo, v20, v11
	v_add_co_ci_u32_e32 v14, vcc_lo, v21, v14, vcc_lo
.LBB885_165:
	s_and_not1_saveexec_b32 s2, s2
; %bb.166:
	v_add_co_u32 v13, vcc_lo, v15, v34
	v_add_co_ci_u32_e32 v14, vcc_lo, 0, v17, vcc_lo
; %bb.167:
	s_or_b32 exec_lo, exec_lo, s2
	s_delay_alu instid0(VALU_DEP_1) | instskip(NEXT) | instid1(VALU_DEP_1)
	v_lshlrev_b64 v[13:14], 2, v[13:14]
	v_add_co_u32 v13, vcc_lo, s10, v13
	s_delay_alu instid0(VALU_DEP_2) | instskip(SKIP_3) | instid1(SALU_CYCLE_1)
	v_add_co_ci_u32_e32 v14, vcc_lo, s11, v14, vcc_lo
	s_waitcnt lgkmcnt(6)
	global_store_b32 v[13:14], v12, off
	s_or_b32 exec_lo, exec_lo, s1
	s_mov_b32 s1, exec_lo
	v_cmpx_gt_u32_e64 s22, v33
	s_cbranch_execnz .LBB885_133
.LBB885_168:
	s_or_b32 exec_lo, exec_lo, s1
	s_delay_alu instid0(SALU_CYCLE_1)
	s_mov_b32 s1, exec_lo
	v_cmpx_gt_u32_e64 s22, v32
	s_cbranch_execz .LBB885_138
.LBB885_169:
	s_mov_b32 s2, exec_lo
                                        ; implicit-def: $vgpr11_vgpr12
	v_cmpx_ge_u32_e64 v32, v16
	s_xor_b32 s2, exec_lo, s2
	s_cbranch_execz .LBB885_171
; %bb.170:
	s_waitcnt lgkmcnt(5)
	v_xor_b32_e32 v9, 0xfffffcff, v0
                                        ; implicit-def: $vgpr32
	s_delay_alu instid0(VALU_DEP_1) | instskip(SKIP_1) | instid1(VALU_DEP_2)
	v_ashrrev_i32_e32 v12, 31, v9
	v_add_co_u32 v11, vcc_lo, v20, v9
	v_add_co_ci_u32_e32 v12, vcc_lo, v21, v12, vcc_lo
.LBB885_171:
	s_and_not1_saveexec_b32 s2, s2
	s_cbranch_execz .LBB885_173
; %bb.172:
	s_waitcnt lgkmcnt(6)
	v_add_co_u32 v11, vcc_lo, v15, v32
	v_add_co_ci_u32_e32 v12, vcc_lo, 0, v17, vcc_lo
.LBB885_173:
	s_or_b32 exec_lo, exec_lo, s2
	s_waitcnt lgkmcnt(6)
	s_delay_alu instid0(VALU_DEP_1) | instskip(NEXT) | instid1(VALU_DEP_1)
	v_lshlrev_b64 v[11:12], 2, v[11:12]
	v_add_co_u32 v11, vcc_lo, s10, v11
	s_delay_alu instid0(VALU_DEP_2) | instskip(SKIP_3) | instid1(SALU_CYCLE_1)
	v_add_co_ci_u32_e32 v12, vcc_lo, s11, v12, vcc_lo
	s_waitcnt lgkmcnt(5)
	global_store_b32 v[11:12], v10, off
	s_or_b32 exec_lo, exec_lo, s1
	s_mov_b32 s1, exec_lo
	v_cmpx_gt_u32_e64 s22, v29
	s_cbranch_execnz .LBB885_139
.LBB885_174:
	s_or_b32 exec_lo, exec_lo, s1
	s_delay_alu instid0(SALU_CYCLE_1)
	s_mov_b32 s1, exec_lo
	v_cmpx_gt_u32_e64 s22, v28
	s_cbranch_execz .LBB885_144
.LBB885_175:
	s_mov_b32 s2, exec_lo
                                        ; implicit-def: $vgpr9_vgpr10
	v_cmpx_ge_u32_e64 v28, v16
	s_xor_b32 s2, exec_lo, s2
	s_cbranch_execz .LBB885_177
; %bb.176:
	s_waitcnt lgkmcnt(4)
	v_xor_b32_e32 v7, 0xfffffaff, v0
                                        ; implicit-def: $vgpr28
	s_delay_alu instid0(VALU_DEP_1) | instskip(SKIP_1) | instid1(VALU_DEP_2)
	v_ashrrev_i32_e32 v10, 31, v7
	v_add_co_u32 v9, vcc_lo, v20, v7
	v_add_co_ci_u32_e32 v10, vcc_lo, v21, v10, vcc_lo
.LBB885_177:
	s_and_not1_saveexec_b32 s2, s2
	s_cbranch_execz .LBB885_179
; %bb.178:
	s_waitcnt lgkmcnt(5)
	v_add_co_u32 v9, vcc_lo, v15, v28
	v_add_co_ci_u32_e32 v10, vcc_lo, 0, v17, vcc_lo
.LBB885_179:
	s_or_b32 exec_lo, exec_lo, s2
	s_waitcnt lgkmcnt(5)
	s_delay_alu instid0(VALU_DEP_1) | instskip(NEXT) | instid1(VALU_DEP_1)
	v_lshlrev_b64 v[9:10], 2, v[9:10]
	v_add_co_u32 v9, vcc_lo, s10, v9
	s_delay_alu instid0(VALU_DEP_2) | instskip(SKIP_3) | instid1(SALU_CYCLE_1)
	v_add_co_ci_u32_e32 v10, vcc_lo, s11, v10, vcc_lo
	s_waitcnt lgkmcnt(4)
	global_store_b32 v[9:10], v8, off
	s_or_b32 exec_lo, exec_lo, s1
	s_mov_b32 s1, exec_lo
	v_cmpx_gt_u32_e64 s22, v27
	s_cbranch_execnz .LBB885_145
.LBB885_180:
	s_or_b32 exec_lo, exec_lo, s1
	s_delay_alu instid0(SALU_CYCLE_1)
	s_mov_b32 s1, exec_lo
	v_cmpx_gt_u32_e64 s22, v26
	s_cbranch_execz .LBB885_150
.LBB885_181:
	s_mov_b32 s2, exec_lo
                                        ; implicit-def: $vgpr7_vgpr8
	v_cmpx_ge_u32_e64 v26, v16
	s_xor_b32 s2, exec_lo, s2
	s_cbranch_execz .LBB885_183
; %bb.182:
	s_waitcnt lgkmcnt(3)
	v_xor_b32_e32 v5, 0xfffff8ff, v0
                                        ; implicit-def: $vgpr26
	s_delay_alu instid0(VALU_DEP_1) | instskip(SKIP_1) | instid1(VALU_DEP_2)
	v_ashrrev_i32_e32 v8, 31, v5
	v_add_co_u32 v7, vcc_lo, v20, v5
	v_add_co_ci_u32_e32 v8, vcc_lo, v21, v8, vcc_lo
.LBB885_183:
	s_and_not1_saveexec_b32 s2, s2
	s_cbranch_execz .LBB885_185
; %bb.184:
	s_waitcnt lgkmcnt(4)
	v_add_co_u32 v7, vcc_lo, v15, v26
	v_add_co_ci_u32_e32 v8, vcc_lo, 0, v17, vcc_lo
.LBB885_185:
	s_or_b32 exec_lo, exec_lo, s2
	s_waitcnt lgkmcnt(4)
	s_delay_alu instid0(VALU_DEP_1) | instskip(NEXT) | instid1(VALU_DEP_1)
	v_lshlrev_b64 v[7:8], 2, v[7:8]
	v_add_co_u32 v7, vcc_lo, s10, v7
	s_delay_alu instid0(VALU_DEP_2) | instskip(SKIP_3) | instid1(SALU_CYCLE_1)
	v_add_co_ci_u32_e32 v8, vcc_lo, s11, v8, vcc_lo
	s_waitcnt lgkmcnt(3)
	global_store_b32 v[7:8], v6, off
	s_or_b32 exec_lo, exec_lo, s1
	s_mov_b32 s1, exec_lo
	v_cmpx_gt_u32_e64 s22, v25
	s_cbranch_execnz .LBB885_151
.LBB885_186:
	s_or_b32 exec_lo, exec_lo, s1
	s_delay_alu instid0(SALU_CYCLE_1)
	s_mov_b32 s1, exec_lo
	v_cmpx_gt_u32_e64 s22, v24
	s_cbranch_execz .LBB885_156
.LBB885_187:
	s_mov_b32 s2, exec_lo
                                        ; implicit-def: $vgpr5_vgpr6
	v_cmpx_ge_u32_e64 v24, v16
	s_xor_b32 s2, exec_lo, s2
	s_cbranch_execz .LBB885_189
; %bb.188:
	s_waitcnt lgkmcnt(2)
	v_xor_b32_e32 v3, 0xfffff6ff, v0
                                        ; implicit-def: $vgpr24
	s_delay_alu instid0(VALU_DEP_1) | instskip(SKIP_1) | instid1(VALU_DEP_2)
	v_ashrrev_i32_e32 v6, 31, v3
	v_add_co_u32 v5, vcc_lo, v20, v3
	v_add_co_ci_u32_e32 v6, vcc_lo, v21, v6, vcc_lo
.LBB885_189:
	s_and_not1_saveexec_b32 s2, s2
	s_cbranch_execz .LBB885_191
; %bb.190:
	s_waitcnt lgkmcnt(3)
	v_add_co_u32 v5, vcc_lo, v15, v24
	v_add_co_ci_u32_e32 v6, vcc_lo, 0, v17, vcc_lo
.LBB885_191:
	s_or_b32 exec_lo, exec_lo, s2
	s_waitcnt lgkmcnt(3)
	s_delay_alu instid0(VALU_DEP_1) | instskip(NEXT) | instid1(VALU_DEP_1)
	v_lshlrev_b64 v[5:6], 2, v[5:6]
	v_add_co_u32 v5, vcc_lo, s10, v5
	s_delay_alu instid0(VALU_DEP_2) | instskip(SKIP_3) | instid1(SALU_CYCLE_1)
	v_add_co_ci_u32_e32 v6, vcc_lo, s11, v6, vcc_lo
	s_waitcnt lgkmcnt(2)
	global_store_b32 v[5:6], v4, off
	s_or_b32 exec_lo, exec_lo, s1
	s_mov_b32 s1, exec_lo
	v_cmpx_gt_u32_e64 s22, v23
	s_cbranch_execnz .LBB885_157
.LBB885_192:
	s_or_b32 exec_lo, exec_lo, s1
	s_delay_alu instid0(SALU_CYCLE_1)
	s_mov_b32 s1, exec_lo
	v_cmpx_gt_u32_e64 s22, v22
	s_cbranch_execz .LBB885_198
.LBB885_193:
	s_mov_b32 s2, exec_lo
                                        ; implicit-def: $vgpr3_vgpr4
	v_cmpx_ge_u32_e64 v22, v16
	s_xor_b32 s2, exec_lo, s2
	s_cbranch_execz .LBB885_195
; %bb.194:
	s_waitcnt lgkmcnt(1)
	v_xor_b32_e32 v1, 0xfffff4ff, v0
                                        ; implicit-def: $vgpr22
	s_delay_alu instid0(VALU_DEP_1) | instskip(SKIP_1) | instid1(VALU_DEP_2)
	v_ashrrev_i32_e32 v4, 31, v1
	v_add_co_u32 v3, vcc_lo, v20, v1
	v_add_co_ci_u32_e32 v4, vcc_lo, v21, v4, vcc_lo
.LBB885_195:
	s_and_not1_saveexec_b32 s2, s2
	s_cbranch_execz .LBB885_197
; %bb.196:
	s_waitcnt lgkmcnt(2)
	v_add_co_u32 v3, vcc_lo, v15, v22
	v_add_co_ci_u32_e32 v4, vcc_lo, 0, v17, vcc_lo
.LBB885_197:
	s_or_b32 exec_lo, exec_lo, s2
	s_waitcnt lgkmcnt(2)
	s_delay_alu instid0(VALU_DEP_1) | instskip(NEXT) | instid1(VALU_DEP_1)
	v_lshlrev_b64 v[3:4], 2, v[3:4]
	v_add_co_u32 v3, vcc_lo, s10, v3
	s_delay_alu instid0(VALU_DEP_2)
	v_add_co_ci_u32_e32 v4, vcc_lo, s11, v4, vcc_lo
	s_waitcnt lgkmcnt(1)
	global_store_b32 v[3:4], v2, off
.LBB885_198:
	s_or_b32 exec_lo, exec_lo, s1
	s_delay_alu instid0(SALU_CYCLE_1)
	s_mov_b32 s1, exec_lo
                                        ; implicit-def: $vgpr13_vgpr14
	v_cmpx_gt_u32_e64 s22, v19
	s_cbranch_execz .LBB885_204
; %bb.199:
	s_mov_b32 s2, exec_lo
                                        ; implicit-def: $vgpr13_vgpr14
	v_cmpx_ge_u32_e64 v19, v16
	s_xor_b32 s2, exec_lo, s2
	s_cbranch_execz .LBB885_201
; %bb.200:
	s_waitcnt lgkmcnt(1)
	v_xor_b32_e32 v1, 0xfffff3ff, v0
                                        ; implicit-def: $vgpr19
	s_delay_alu instid0(VALU_DEP_1) | instskip(SKIP_1) | instid1(VALU_DEP_2)
	v_ashrrev_i32_e32 v2, 31, v1
	v_add_co_u32 v13, vcc_lo, v20, v1
	v_add_co_ci_u32_e32 v14, vcc_lo, v21, v2, vcc_lo
.LBB885_201:
	s_and_not1_saveexec_b32 s2, s2
; %bb.202:
	v_add_co_u32 v13, vcc_lo, v15, v19
	v_add_co_ci_u32_e32 v14, vcc_lo, 0, v17, vcc_lo
; %bb.203:
	s_or_b32 exec_lo, exec_lo, s2
	s_delay_alu instid0(SALU_CYCLE_1)
	s_or_b32 s0, s0, exec_lo
.LBB885_204:
	s_or_b32 exec_lo, exec_lo, s1
.LBB885_205:
	s_and_saveexec_b32 s1, s0
	s_cbranch_execz .LBB885_207
; %bb.206:
	s_waitcnt lgkmcnt(1)
	v_lshlrev_b64 v[1:2], 2, v[13:14]
	s_delay_alu instid0(VALU_DEP_1) | instskip(NEXT) | instid1(VALU_DEP_2)
	v_add_co_u32 v1, vcc_lo, s10, v1
	v_add_co_ci_u32_e32 v2, vcc_lo, s11, v2, vcc_lo
	s_waitcnt lgkmcnt(0)
	global_store_b32 v[1:2], v18, off
.LBB885_207:
	s_or_b32 exec_lo, exec_lo, s1
	v_cmp_eq_u32_e32 vcc_lo, 0, v0
	s_and_b32 s0, vcc_lo, s14
	s_delay_alu instid0(SALU_CYCLE_1)
	s_and_saveexec_b32 s1, s0
	s_cbranch_execz .LBB885_209
; %bb.208:
	v_add_co_u32 v0, vcc_lo, v15, v16
	s_waitcnt lgkmcnt(1)
	v_mov_b32_e32 v2, 0
	v_add_co_ci_u32_e32 v1, vcc_lo, 0, v17, vcc_lo
	global_store_b64 v2, v[0:1], s[8:9]
.LBB885_209:
	s_nop 0
	s_sendmsg sendmsg(MSG_DEALLOC_VGPRS)
	s_endpgm
	.section	.rodata,"a",@progbits
	.p2align	6, 0x0
	.amdhsa_kernel _ZN7rocprim17ROCPRIM_400000_NS6detail17trampoline_kernelINS0_13select_configILj256ELj13ELNS0_17block_load_methodE3ELS4_3ELS4_3ELNS0_20block_scan_algorithmE0ELj4294967295EEENS1_25partition_config_selectorILNS1_17partition_subalgoE3EjNS0_10empty_typeEbEEZZNS1_14partition_implILS8_3ELb0ES6_jNS0_17counting_iteratorIjlEEPS9_SE_NS0_5tupleIJPjSE_EEENSF_IJSE_SE_EEES9_SG_JZNS1_25segmented_radix_sort_implINS0_14default_configELb1EPKsPsPKlPlN2at6native12_GLOBAL__N_18offset_tEEE10hipError_tPvRmT1_PNSt15iterator_traitsISY_E10value_typeET2_T3_PNSZ_IS14_E10value_typeET4_jRbjT5_S1A_jjP12ihipStream_tbEUljE_EEESV_SW_SX_S14_S18_S1A_T6_T7_T9_mT8_S1C_bDpT10_ENKUlT_T0_E_clISt17integral_constantIbLb0EES1P_EEDaS1K_S1L_EUlS1K_E_NS1_11comp_targetILNS1_3genE9ELNS1_11target_archE1100ELNS1_3gpuE3ELNS1_3repE0EEENS1_30default_config_static_selectorELNS0_4arch9wavefront6targetE0EEEvSY_
		.amdhsa_group_segment_fixed_size 13324
		.amdhsa_private_segment_fixed_size 0
		.amdhsa_kernarg_size 144
		.amdhsa_user_sgpr_count 15
		.amdhsa_user_sgpr_dispatch_ptr 0
		.amdhsa_user_sgpr_queue_ptr 0
		.amdhsa_user_sgpr_kernarg_segment_ptr 1
		.amdhsa_user_sgpr_dispatch_id 0
		.amdhsa_user_sgpr_private_segment_size 0
		.amdhsa_wavefront_size32 1
		.amdhsa_uses_dynamic_stack 0
		.amdhsa_enable_private_segment 0
		.amdhsa_system_sgpr_workgroup_id_x 1
		.amdhsa_system_sgpr_workgroup_id_y 0
		.amdhsa_system_sgpr_workgroup_id_z 0
		.amdhsa_system_sgpr_workgroup_info 0
		.amdhsa_system_vgpr_workitem_id 0
		.amdhsa_next_free_vgpr 57
		.amdhsa_next_free_sgpr 28
		.amdhsa_reserve_vcc 1
		.amdhsa_float_round_mode_32 0
		.amdhsa_float_round_mode_16_64 0
		.amdhsa_float_denorm_mode_32 3
		.amdhsa_float_denorm_mode_16_64 3
		.amdhsa_dx10_clamp 1
		.amdhsa_ieee_mode 1
		.amdhsa_fp16_overflow 0
		.amdhsa_workgroup_processor_mode 1
		.amdhsa_memory_ordered 1
		.amdhsa_forward_progress 0
		.amdhsa_shared_vgpr_count 0
		.amdhsa_exception_fp_ieee_invalid_op 0
		.amdhsa_exception_fp_denorm_src 0
		.amdhsa_exception_fp_ieee_div_zero 0
		.amdhsa_exception_fp_ieee_overflow 0
		.amdhsa_exception_fp_ieee_underflow 0
		.amdhsa_exception_fp_ieee_inexact 0
		.amdhsa_exception_int_div_zero 0
	.end_amdhsa_kernel
	.section	.text._ZN7rocprim17ROCPRIM_400000_NS6detail17trampoline_kernelINS0_13select_configILj256ELj13ELNS0_17block_load_methodE3ELS4_3ELS4_3ELNS0_20block_scan_algorithmE0ELj4294967295EEENS1_25partition_config_selectorILNS1_17partition_subalgoE3EjNS0_10empty_typeEbEEZZNS1_14partition_implILS8_3ELb0ES6_jNS0_17counting_iteratorIjlEEPS9_SE_NS0_5tupleIJPjSE_EEENSF_IJSE_SE_EEES9_SG_JZNS1_25segmented_radix_sort_implINS0_14default_configELb1EPKsPsPKlPlN2at6native12_GLOBAL__N_18offset_tEEE10hipError_tPvRmT1_PNSt15iterator_traitsISY_E10value_typeET2_T3_PNSZ_IS14_E10value_typeET4_jRbjT5_S1A_jjP12ihipStream_tbEUljE_EEESV_SW_SX_S14_S18_S1A_T6_T7_T9_mT8_S1C_bDpT10_ENKUlT_T0_E_clISt17integral_constantIbLb0EES1P_EEDaS1K_S1L_EUlS1K_E_NS1_11comp_targetILNS1_3genE9ELNS1_11target_archE1100ELNS1_3gpuE3ELNS1_3repE0EEENS1_30default_config_static_selectorELNS0_4arch9wavefront6targetE0EEEvSY_,"axG",@progbits,_ZN7rocprim17ROCPRIM_400000_NS6detail17trampoline_kernelINS0_13select_configILj256ELj13ELNS0_17block_load_methodE3ELS4_3ELS4_3ELNS0_20block_scan_algorithmE0ELj4294967295EEENS1_25partition_config_selectorILNS1_17partition_subalgoE3EjNS0_10empty_typeEbEEZZNS1_14partition_implILS8_3ELb0ES6_jNS0_17counting_iteratorIjlEEPS9_SE_NS0_5tupleIJPjSE_EEENSF_IJSE_SE_EEES9_SG_JZNS1_25segmented_radix_sort_implINS0_14default_configELb1EPKsPsPKlPlN2at6native12_GLOBAL__N_18offset_tEEE10hipError_tPvRmT1_PNSt15iterator_traitsISY_E10value_typeET2_T3_PNSZ_IS14_E10value_typeET4_jRbjT5_S1A_jjP12ihipStream_tbEUljE_EEESV_SW_SX_S14_S18_S1A_T6_T7_T9_mT8_S1C_bDpT10_ENKUlT_T0_E_clISt17integral_constantIbLb0EES1P_EEDaS1K_S1L_EUlS1K_E_NS1_11comp_targetILNS1_3genE9ELNS1_11target_archE1100ELNS1_3gpuE3ELNS1_3repE0EEENS1_30default_config_static_selectorELNS0_4arch9wavefront6targetE0EEEvSY_,comdat
.Lfunc_end885:
	.size	_ZN7rocprim17ROCPRIM_400000_NS6detail17trampoline_kernelINS0_13select_configILj256ELj13ELNS0_17block_load_methodE3ELS4_3ELS4_3ELNS0_20block_scan_algorithmE0ELj4294967295EEENS1_25partition_config_selectorILNS1_17partition_subalgoE3EjNS0_10empty_typeEbEEZZNS1_14partition_implILS8_3ELb0ES6_jNS0_17counting_iteratorIjlEEPS9_SE_NS0_5tupleIJPjSE_EEENSF_IJSE_SE_EEES9_SG_JZNS1_25segmented_radix_sort_implINS0_14default_configELb1EPKsPsPKlPlN2at6native12_GLOBAL__N_18offset_tEEE10hipError_tPvRmT1_PNSt15iterator_traitsISY_E10value_typeET2_T3_PNSZ_IS14_E10value_typeET4_jRbjT5_S1A_jjP12ihipStream_tbEUljE_EEESV_SW_SX_S14_S18_S1A_T6_T7_T9_mT8_S1C_bDpT10_ENKUlT_T0_E_clISt17integral_constantIbLb0EES1P_EEDaS1K_S1L_EUlS1K_E_NS1_11comp_targetILNS1_3genE9ELNS1_11target_archE1100ELNS1_3gpuE3ELNS1_3repE0EEENS1_30default_config_static_selectorELNS0_4arch9wavefront6targetE0EEEvSY_, .Lfunc_end885-_ZN7rocprim17ROCPRIM_400000_NS6detail17trampoline_kernelINS0_13select_configILj256ELj13ELNS0_17block_load_methodE3ELS4_3ELS4_3ELNS0_20block_scan_algorithmE0ELj4294967295EEENS1_25partition_config_selectorILNS1_17partition_subalgoE3EjNS0_10empty_typeEbEEZZNS1_14partition_implILS8_3ELb0ES6_jNS0_17counting_iteratorIjlEEPS9_SE_NS0_5tupleIJPjSE_EEENSF_IJSE_SE_EEES9_SG_JZNS1_25segmented_radix_sort_implINS0_14default_configELb1EPKsPsPKlPlN2at6native12_GLOBAL__N_18offset_tEEE10hipError_tPvRmT1_PNSt15iterator_traitsISY_E10value_typeET2_T3_PNSZ_IS14_E10value_typeET4_jRbjT5_S1A_jjP12ihipStream_tbEUljE_EEESV_SW_SX_S14_S18_S1A_T6_T7_T9_mT8_S1C_bDpT10_ENKUlT_T0_E_clISt17integral_constantIbLb0EES1P_EEDaS1K_S1L_EUlS1K_E_NS1_11comp_targetILNS1_3genE9ELNS1_11target_archE1100ELNS1_3gpuE3ELNS1_3repE0EEENS1_30default_config_static_selectorELNS0_4arch9wavefront6targetE0EEEvSY_
                                        ; -- End function
	.section	.AMDGPU.csdata,"",@progbits
; Kernel info:
; codeLenInByte = 8864
; NumSgprs: 30
; NumVgprs: 57
; ScratchSize: 0
; MemoryBound: 0
; FloatMode: 240
; IeeeMode: 1
; LDSByteSize: 13324 bytes/workgroup (compile time only)
; SGPRBlocks: 3
; VGPRBlocks: 7
; NumSGPRsForWavesPerEU: 30
; NumVGPRsForWavesPerEU: 57
; Occupancy: 16
; WaveLimiterHint : 0
; COMPUTE_PGM_RSRC2:SCRATCH_EN: 0
; COMPUTE_PGM_RSRC2:USER_SGPR: 15
; COMPUTE_PGM_RSRC2:TRAP_HANDLER: 0
; COMPUTE_PGM_RSRC2:TGID_X_EN: 1
; COMPUTE_PGM_RSRC2:TGID_Y_EN: 0
; COMPUTE_PGM_RSRC2:TGID_Z_EN: 0
; COMPUTE_PGM_RSRC2:TIDIG_COMP_CNT: 0
	.section	.text._ZN7rocprim17ROCPRIM_400000_NS6detail17trampoline_kernelINS0_13select_configILj256ELj13ELNS0_17block_load_methodE3ELS4_3ELS4_3ELNS0_20block_scan_algorithmE0ELj4294967295EEENS1_25partition_config_selectorILNS1_17partition_subalgoE3EjNS0_10empty_typeEbEEZZNS1_14partition_implILS8_3ELb0ES6_jNS0_17counting_iteratorIjlEEPS9_SE_NS0_5tupleIJPjSE_EEENSF_IJSE_SE_EEES9_SG_JZNS1_25segmented_radix_sort_implINS0_14default_configELb1EPKsPsPKlPlN2at6native12_GLOBAL__N_18offset_tEEE10hipError_tPvRmT1_PNSt15iterator_traitsISY_E10value_typeET2_T3_PNSZ_IS14_E10value_typeET4_jRbjT5_S1A_jjP12ihipStream_tbEUljE_EEESV_SW_SX_S14_S18_S1A_T6_T7_T9_mT8_S1C_bDpT10_ENKUlT_T0_E_clISt17integral_constantIbLb0EES1P_EEDaS1K_S1L_EUlS1K_E_NS1_11comp_targetILNS1_3genE8ELNS1_11target_archE1030ELNS1_3gpuE2ELNS1_3repE0EEENS1_30default_config_static_selectorELNS0_4arch9wavefront6targetE0EEEvSY_,"axG",@progbits,_ZN7rocprim17ROCPRIM_400000_NS6detail17trampoline_kernelINS0_13select_configILj256ELj13ELNS0_17block_load_methodE3ELS4_3ELS4_3ELNS0_20block_scan_algorithmE0ELj4294967295EEENS1_25partition_config_selectorILNS1_17partition_subalgoE3EjNS0_10empty_typeEbEEZZNS1_14partition_implILS8_3ELb0ES6_jNS0_17counting_iteratorIjlEEPS9_SE_NS0_5tupleIJPjSE_EEENSF_IJSE_SE_EEES9_SG_JZNS1_25segmented_radix_sort_implINS0_14default_configELb1EPKsPsPKlPlN2at6native12_GLOBAL__N_18offset_tEEE10hipError_tPvRmT1_PNSt15iterator_traitsISY_E10value_typeET2_T3_PNSZ_IS14_E10value_typeET4_jRbjT5_S1A_jjP12ihipStream_tbEUljE_EEESV_SW_SX_S14_S18_S1A_T6_T7_T9_mT8_S1C_bDpT10_ENKUlT_T0_E_clISt17integral_constantIbLb0EES1P_EEDaS1K_S1L_EUlS1K_E_NS1_11comp_targetILNS1_3genE8ELNS1_11target_archE1030ELNS1_3gpuE2ELNS1_3repE0EEENS1_30default_config_static_selectorELNS0_4arch9wavefront6targetE0EEEvSY_,comdat
	.globl	_ZN7rocprim17ROCPRIM_400000_NS6detail17trampoline_kernelINS0_13select_configILj256ELj13ELNS0_17block_load_methodE3ELS4_3ELS4_3ELNS0_20block_scan_algorithmE0ELj4294967295EEENS1_25partition_config_selectorILNS1_17partition_subalgoE3EjNS0_10empty_typeEbEEZZNS1_14partition_implILS8_3ELb0ES6_jNS0_17counting_iteratorIjlEEPS9_SE_NS0_5tupleIJPjSE_EEENSF_IJSE_SE_EEES9_SG_JZNS1_25segmented_radix_sort_implINS0_14default_configELb1EPKsPsPKlPlN2at6native12_GLOBAL__N_18offset_tEEE10hipError_tPvRmT1_PNSt15iterator_traitsISY_E10value_typeET2_T3_PNSZ_IS14_E10value_typeET4_jRbjT5_S1A_jjP12ihipStream_tbEUljE_EEESV_SW_SX_S14_S18_S1A_T6_T7_T9_mT8_S1C_bDpT10_ENKUlT_T0_E_clISt17integral_constantIbLb0EES1P_EEDaS1K_S1L_EUlS1K_E_NS1_11comp_targetILNS1_3genE8ELNS1_11target_archE1030ELNS1_3gpuE2ELNS1_3repE0EEENS1_30default_config_static_selectorELNS0_4arch9wavefront6targetE0EEEvSY_ ; -- Begin function _ZN7rocprim17ROCPRIM_400000_NS6detail17trampoline_kernelINS0_13select_configILj256ELj13ELNS0_17block_load_methodE3ELS4_3ELS4_3ELNS0_20block_scan_algorithmE0ELj4294967295EEENS1_25partition_config_selectorILNS1_17partition_subalgoE3EjNS0_10empty_typeEbEEZZNS1_14partition_implILS8_3ELb0ES6_jNS0_17counting_iteratorIjlEEPS9_SE_NS0_5tupleIJPjSE_EEENSF_IJSE_SE_EEES9_SG_JZNS1_25segmented_radix_sort_implINS0_14default_configELb1EPKsPsPKlPlN2at6native12_GLOBAL__N_18offset_tEEE10hipError_tPvRmT1_PNSt15iterator_traitsISY_E10value_typeET2_T3_PNSZ_IS14_E10value_typeET4_jRbjT5_S1A_jjP12ihipStream_tbEUljE_EEESV_SW_SX_S14_S18_S1A_T6_T7_T9_mT8_S1C_bDpT10_ENKUlT_T0_E_clISt17integral_constantIbLb0EES1P_EEDaS1K_S1L_EUlS1K_E_NS1_11comp_targetILNS1_3genE8ELNS1_11target_archE1030ELNS1_3gpuE2ELNS1_3repE0EEENS1_30default_config_static_selectorELNS0_4arch9wavefront6targetE0EEEvSY_
	.p2align	8
	.type	_ZN7rocprim17ROCPRIM_400000_NS6detail17trampoline_kernelINS0_13select_configILj256ELj13ELNS0_17block_load_methodE3ELS4_3ELS4_3ELNS0_20block_scan_algorithmE0ELj4294967295EEENS1_25partition_config_selectorILNS1_17partition_subalgoE3EjNS0_10empty_typeEbEEZZNS1_14partition_implILS8_3ELb0ES6_jNS0_17counting_iteratorIjlEEPS9_SE_NS0_5tupleIJPjSE_EEENSF_IJSE_SE_EEES9_SG_JZNS1_25segmented_radix_sort_implINS0_14default_configELb1EPKsPsPKlPlN2at6native12_GLOBAL__N_18offset_tEEE10hipError_tPvRmT1_PNSt15iterator_traitsISY_E10value_typeET2_T3_PNSZ_IS14_E10value_typeET4_jRbjT5_S1A_jjP12ihipStream_tbEUljE_EEESV_SW_SX_S14_S18_S1A_T6_T7_T9_mT8_S1C_bDpT10_ENKUlT_T0_E_clISt17integral_constantIbLb0EES1P_EEDaS1K_S1L_EUlS1K_E_NS1_11comp_targetILNS1_3genE8ELNS1_11target_archE1030ELNS1_3gpuE2ELNS1_3repE0EEENS1_30default_config_static_selectorELNS0_4arch9wavefront6targetE0EEEvSY_,@function
_ZN7rocprim17ROCPRIM_400000_NS6detail17trampoline_kernelINS0_13select_configILj256ELj13ELNS0_17block_load_methodE3ELS4_3ELS4_3ELNS0_20block_scan_algorithmE0ELj4294967295EEENS1_25partition_config_selectorILNS1_17partition_subalgoE3EjNS0_10empty_typeEbEEZZNS1_14partition_implILS8_3ELb0ES6_jNS0_17counting_iteratorIjlEEPS9_SE_NS0_5tupleIJPjSE_EEENSF_IJSE_SE_EEES9_SG_JZNS1_25segmented_radix_sort_implINS0_14default_configELb1EPKsPsPKlPlN2at6native12_GLOBAL__N_18offset_tEEE10hipError_tPvRmT1_PNSt15iterator_traitsISY_E10value_typeET2_T3_PNSZ_IS14_E10value_typeET4_jRbjT5_S1A_jjP12ihipStream_tbEUljE_EEESV_SW_SX_S14_S18_S1A_T6_T7_T9_mT8_S1C_bDpT10_ENKUlT_T0_E_clISt17integral_constantIbLb0EES1P_EEDaS1K_S1L_EUlS1K_E_NS1_11comp_targetILNS1_3genE8ELNS1_11target_archE1030ELNS1_3gpuE2ELNS1_3repE0EEENS1_30default_config_static_selectorELNS0_4arch9wavefront6targetE0EEEvSY_: ; @_ZN7rocprim17ROCPRIM_400000_NS6detail17trampoline_kernelINS0_13select_configILj256ELj13ELNS0_17block_load_methodE3ELS4_3ELS4_3ELNS0_20block_scan_algorithmE0ELj4294967295EEENS1_25partition_config_selectorILNS1_17partition_subalgoE3EjNS0_10empty_typeEbEEZZNS1_14partition_implILS8_3ELb0ES6_jNS0_17counting_iteratorIjlEEPS9_SE_NS0_5tupleIJPjSE_EEENSF_IJSE_SE_EEES9_SG_JZNS1_25segmented_radix_sort_implINS0_14default_configELb1EPKsPsPKlPlN2at6native12_GLOBAL__N_18offset_tEEE10hipError_tPvRmT1_PNSt15iterator_traitsISY_E10value_typeET2_T3_PNSZ_IS14_E10value_typeET4_jRbjT5_S1A_jjP12ihipStream_tbEUljE_EEESV_SW_SX_S14_S18_S1A_T6_T7_T9_mT8_S1C_bDpT10_ENKUlT_T0_E_clISt17integral_constantIbLb0EES1P_EEDaS1K_S1L_EUlS1K_E_NS1_11comp_targetILNS1_3genE8ELNS1_11target_archE1030ELNS1_3gpuE2ELNS1_3repE0EEENS1_30default_config_static_selectorELNS0_4arch9wavefront6targetE0EEEvSY_
; %bb.0:
	.section	.rodata,"a",@progbits
	.p2align	6, 0x0
	.amdhsa_kernel _ZN7rocprim17ROCPRIM_400000_NS6detail17trampoline_kernelINS0_13select_configILj256ELj13ELNS0_17block_load_methodE3ELS4_3ELS4_3ELNS0_20block_scan_algorithmE0ELj4294967295EEENS1_25partition_config_selectorILNS1_17partition_subalgoE3EjNS0_10empty_typeEbEEZZNS1_14partition_implILS8_3ELb0ES6_jNS0_17counting_iteratorIjlEEPS9_SE_NS0_5tupleIJPjSE_EEENSF_IJSE_SE_EEES9_SG_JZNS1_25segmented_radix_sort_implINS0_14default_configELb1EPKsPsPKlPlN2at6native12_GLOBAL__N_18offset_tEEE10hipError_tPvRmT1_PNSt15iterator_traitsISY_E10value_typeET2_T3_PNSZ_IS14_E10value_typeET4_jRbjT5_S1A_jjP12ihipStream_tbEUljE_EEESV_SW_SX_S14_S18_S1A_T6_T7_T9_mT8_S1C_bDpT10_ENKUlT_T0_E_clISt17integral_constantIbLb0EES1P_EEDaS1K_S1L_EUlS1K_E_NS1_11comp_targetILNS1_3genE8ELNS1_11target_archE1030ELNS1_3gpuE2ELNS1_3repE0EEENS1_30default_config_static_selectorELNS0_4arch9wavefront6targetE0EEEvSY_
		.amdhsa_group_segment_fixed_size 0
		.amdhsa_private_segment_fixed_size 0
		.amdhsa_kernarg_size 144
		.amdhsa_user_sgpr_count 15
		.amdhsa_user_sgpr_dispatch_ptr 0
		.amdhsa_user_sgpr_queue_ptr 0
		.amdhsa_user_sgpr_kernarg_segment_ptr 1
		.amdhsa_user_sgpr_dispatch_id 0
		.amdhsa_user_sgpr_private_segment_size 0
		.amdhsa_wavefront_size32 1
		.amdhsa_uses_dynamic_stack 0
		.amdhsa_enable_private_segment 0
		.amdhsa_system_sgpr_workgroup_id_x 1
		.amdhsa_system_sgpr_workgroup_id_y 0
		.amdhsa_system_sgpr_workgroup_id_z 0
		.amdhsa_system_sgpr_workgroup_info 0
		.amdhsa_system_vgpr_workitem_id 0
		.amdhsa_next_free_vgpr 1
		.amdhsa_next_free_sgpr 1
		.amdhsa_reserve_vcc 0
		.amdhsa_float_round_mode_32 0
		.amdhsa_float_round_mode_16_64 0
		.amdhsa_float_denorm_mode_32 3
		.amdhsa_float_denorm_mode_16_64 3
		.amdhsa_dx10_clamp 1
		.amdhsa_ieee_mode 1
		.amdhsa_fp16_overflow 0
		.amdhsa_workgroup_processor_mode 1
		.amdhsa_memory_ordered 1
		.amdhsa_forward_progress 0
		.amdhsa_shared_vgpr_count 0
		.amdhsa_exception_fp_ieee_invalid_op 0
		.amdhsa_exception_fp_denorm_src 0
		.amdhsa_exception_fp_ieee_div_zero 0
		.amdhsa_exception_fp_ieee_overflow 0
		.amdhsa_exception_fp_ieee_underflow 0
		.amdhsa_exception_fp_ieee_inexact 0
		.amdhsa_exception_int_div_zero 0
	.end_amdhsa_kernel
	.section	.text._ZN7rocprim17ROCPRIM_400000_NS6detail17trampoline_kernelINS0_13select_configILj256ELj13ELNS0_17block_load_methodE3ELS4_3ELS4_3ELNS0_20block_scan_algorithmE0ELj4294967295EEENS1_25partition_config_selectorILNS1_17partition_subalgoE3EjNS0_10empty_typeEbEEZZNS1_14partition_implILS8_3ELb0ES6_jNS0_17counting_iteratorIjlEEPS9_SE_NS0_5tupleIJPjSE_EEENSF_IJSE_SE_EEES9_SG_JZNS1_25segmented_radix_sort_implINS0_14default_configELb1EPKsPsPKlPlN2at6native12_GLOBAL__N_18offset_tEEE10hipError_tPvRmT1_PNSt15iterator_traitsISY_E10value_typeET2_T3_PNSZ_IS14_E10value_typeET4_jRbjT5_S1A_jjP12ihipStream_tbEUljE_EEESV_SW_SX_S14_S18_S1A_T6_T7_T9_mT8_S1C_bDpT10_ENKUlT_T0_E_clISt17integral_constantIbLb0EES1P_EEDaS1K_S1L_EUlS1K_E_NS1_11comp_targetILNS1_3genE8ELNS1_11target_archE1030ELNS1_3gpuE2ELNS1_3repE0EEENS1_30default_config_static_selectorELNS0_4arch9wavefront6targetE0EEEvSY_,"axG",@progbits,_ZN7rocprim17ROCPRIM_400000_NS6detail17trampoline_kernelINS0_13select_configILj256ELj13ELNS0_17block_load_methodE3ELS4_3ELS4_3ELNS0_20block_scan_algorithmE0ELj4294967295EEENS1_25partition_config_selectorILNS1_17partition_subalgoE3EjNS0_10empty_typeEbEEZZNS1_14partition_implILS8_3ELb0ES6_jNS0_17counting_iteratorIjlEEPS9_SE_NS0_5tupleIJPjSE_EEENSF_IJSE_SE_EEES9_SG_JZNS1_25segmented_radix_sort_implINS0_14default_configELb1EPKsPsPKlPlN2at6native12_GLOBAL__N_18offset_tEEE10hipError_tPvRmT1_PNSt15iterator_traitsISY_E10value_typeET2_T3_PNSZ_IS14_E10value_typeET4_jRbjT5_S1A_jjP12ihipStream_tbEUljE_EEESV_SW_SX_S14_S18_S1A_T6_T7_T9_mT8_S1C_bDpT10_ENKUlT_T0_E_clISt17integral_constantIbLb0EES1P_EEDaS1K_S1L_EUlS1K_E_NS1_11comp_targetILNS1_3genE8ELNS1_11target_archE1030ELNS1_3gpuE2ELNS1_3repE0EEENS1_30default_config_static_selectorELNS0_4arch9wavefront6targetE0EEEvSY_,comdat
.Lfunc_end886:
	.size	_ZN7rocprim17ROCPRIM_400000_NS6detail17trampoline_kernelINS0_13select_configILj256ELj13ELNS0_17block_load_methodE3ELS4_3ELS4_3ELNS0_20block_scan_algorithmE0ELj4294967295EEENS1_25partition_config_selectorILNS1_17partition_subalgoE3EjNS0_10empty_typeEbEEZZNS1_14partition_implILS8_3ELb0ES6_jNS0_17counting_iteratorIjlEEPS9_SE_NS0_5tupleIJPjSE_EEENSF_IJSE_SE_EEES9_SG_JZNS1_25segmented_radix_sort_implINS0_14default_configELb1EPKsPsPKlPlN2at6native12_GLOBAL__N_18offset_tEEE10hipError_tPvRmT1_PNSt15iterator_traitsISY_E10value_typeET2_T3_PNSZ_IS14_E10value_typeET4_jRbjT5_S1A_jjP12ihipStream_tbEUljE_EEESV_SW_SX_S14_S18_S1A_T6_T7_T9_mT8_S1C_bDpT10_ENKUlT_T0_E_clISt17integral_constantIbLb0EES1P_EEDaS1K_S1L_EUlS1K_E_NS1_11comp_targetILNS1_3genE8ELNS1_11target_archE1030ELNS1_3gpuE2ELNS1_3repE0EEENS1_30default_config_static_selectorELNS0_4arch9wavefront6targetE0EEEvSY_, .Lfunc_end886-_ZN7rocprim17ROCPRIM_400000_NS6detail17trampoline_kernelINS0_13select_configILj256ELj13ELNS0_17block_load_methodE3ELS4_3ELS4_3ELNS0_20block_scan_algorithmE0ELj4294967295EEENS1_25partition_config_selectorILNS1_17partition_subalgoE3EjNS0_10empty_typeEbEEZZNS1_14partition_implILS8_3ELb0ES6_jNS0_17counting_iteratorIjlEEPS9_SE_NS0_5tupleIJPjSE_EEENSF_IJSE_SE_EEES9_SG_JZNS1_25segmented_radix_sort_implINS0_14default_configELb1EPKsPsPKlPlN2at6native12_GLOBAL__N_18offset_tEEE10hipError_tPvRmT1_PNSt15iterator_traitsISY_E10value_typeET2_T3_PNSZ_IS14_E10value_typeET4_jRbjT5_S1A_jjP12ihipStream_tbEUljE_EEESV_SW_SX_S14_S18_S1A_T6_T7_T9_mT8_S1C_bDpT10_ENKUlT_T0_E_clISt17integral_constantIbLb0EES1P_EEDaS1K_S1L_EUlS1K_E_NS1_11comp_targetILNS1_3genE8ELNS1_11target_archE1030ELNS1_3gpuE2ELNS1_3repE0EEENS1_30default_config_static_selectorELNS0_4arch9wavefront6targetE0EEEvSY_
                                        ; -- End function
	.section	.AMDGPU.csdata,"",@progbits
; Kernel info:
; codeLenInByte = 0
; NumSgprs: 0
; NumVgprs: 0
; ScratchSize: 0
; MemoryBound: 0
; FloatMode: 240
; IeeeMode: 1
; LDSByteSize: 0 bytes/workgroup (compile time only)
; SGPRBlocks: 0
; VGPRBlocks: 0
; NumSGPRsForWavesPerEU: 1
; NumVGPRsForWavesPerEU: 1
; Occupancy: 16
; WaveLimiterHint : 0
; COMPUTE_PGM_RSRC2:SCRATCH_EN: 0
; COMPUTE_PGM_RSRC2:USER_SGPR: 15
; COMPUTE_PGM_RSRC2:TRAP_HANDLER: 0
; COMPUTE_PGM_RSRC2:TGID_X_EN: 1
; COMPUTE_PGM_RSRC2:TGID_Y_EN: 0
; COMPUTE_PGM_RSRC2:TGID_Z_EN: 0
; COMPUTE_PGM_RSRC2:TIDIG_COMP_CNT: 0
	.section	.text._ZN7rocprim17ROCPRIM_400000_NS6detail17trampoline_kernelINS0_13select_configILj256ELj13ELNS0_17block_load_methodE3ELS4_3ELS4_3ELNS0_20block_scan_algorithmE0ELj4294967295EEENS1_25partition_config_selectorILNS1_17partition_subalgoE3EjNS0_10empty_typeEbEEZZNS1_14partition_implILS8_3ELb0ES6_jNS0_17counting_iteratorIjlEEPS9_SE_NS0_5tupleIJPjSE_EEENSF_IJSE_SE_EEES9_SG_JZNS1_25segmented_radix_sort_implINS0_14default_configELb1EPKsPsPKlPlN2at6native12_GLOBAL__N_18offset_tEEE10hipError_tPvRmT1_PNSt15iterator_traitsISY_E10value_typeET2_T3_PNSZ_IS14_E10value_typeET4_jRbjT5_S1A_jjP12ihipStream_tbEUljE_EEESV_SW_SX_S14_S18_S1A_T6_T7_T9_mT8_S1C_bDpT10_ENKUlT_T0_E_clISt17integral_constantIbLb1EES1P_EEDaS1K_S1L_EUlS1K_E_NS1_11comp_targetILNS1_3genE0ELNS1_11target_archE4294967295ELNS1_3gpuE0ELNS1_3repE0EEENS1_30default_config_static_selectorELNS0_4arch9wavefront6targetE0EEEvSY_,"axG",@progbits,_ZN7rocprim17ROCPRIM_400000_NS6detail17trampoline_kernelINS0_13select_configILj256ELj13ELNS0_17block_load_methodE3ELS4_3ELS4_3ELNS0_20block_scan_algorithmE0ELj4294967295EEENS1_25partition_config_selectorILNS1_17partition_subalgoE3EjNS0_10empty_typeEbEEZZNS1_14partition_implILS8_3ELb0ES6_jNS0_17counting_iteratorIjlEEPS9_SE_NS0_5tupleIJPjSE_EEENSF_IJSE_SE_EEES9_SG_JZNS1_25segmented_radix_sort_implINS0_14default_configELb1EPKsPsPKlPlN2at6native12_GLOBAL__N_18offset_tEEE10hipError_tPvRmT1_PNSt15iterator_traitsISY_E10value_typeET2_T3_PNSZ_IS14_E10value_typeET4_jRbjT5_S1A_jjP12ihipStream_tbEUljE_EEESV_SW_SX_S14_S18_S1A_T6_T7_T9_mT8_S1C_bDpT10_ENKUlT_T0_E_clISt17integral_constantIbLb1EES1P_EEDaS1K_S1L_EUlS1K_E_NS1_11comp_targetILNS1_3genE0ELNS1_11target_archE4294967295ELNS1_3gpuE0ELNS1_3repE0EEENS1_30default_config_static_selectorELNS0_4arch9wavefront6targetE0EEEvSY_,comdat
	.globl	_ZN7rocprim17ROCPRIM_400000_NS6detail17trampoline_kernelINS0_13select_configILj256ELj13ELNS0_17block_load_methodE3ELS4_3ELS4_3ELNS0_20block_scan_algorithmE0ELj4294967295EEENS1_25partition_config_selectorILNS1_17partition_subalgoE3EjNS0_10empty_typeEbEEZZNS1_14partition_implILS8_3ELb0ES6_jNS0_17counting_iteratorIjlEEPS9_SE_NS0_5tupleIJPjSE_EEENSF_IJSE_SE_EEES9_SG_JZNS1_25segmented_radix_sort_implINS0_14default_configELb1EPKsPsPKlPlN2at6native12_GLOBAL__N_18offset_tEEE10hipError_tPvRmT1_PNSt15iterator_traitsISY_E10value_typeET2_T3_PNSZ_IS14_E10value_typeET4_jRbjT5_S1A_jjP12ihipStream_tbEUljE_EEESV_SW_SX_S14_S18_S1A_T6_T7_T9_mT8_S1C_bDpT10_ENKUlT_T0_E_clISt17integral_constantIbLb1EES1P_EEDaS1K_S1L_EUlS1K_E_NS1_11comp_targetILNS1_3genE0ELNS1_11target_archE4294967295ELNS1_3gpuE0ELNS1_3repE0EEENS1_30default_config_static_selectorELNS0_4arch9wavefront6targetE0EEEvSY_ ; -- Begin function _ZN7rocprim17ROCPRIM_400000_NS6detail17trampoline_kernelINS0_13select_configILj256ELj13ELNS0_17block_load_methodE3ELS4_3ELS4_3ELNS0_20block_scan_algorithmE0ELj4294967295EEENS1_25partition_config_selectorILNS1_17partition_subalgoE3EjNS0_10empty_typeEbEEZZNS1_14partition_implILS8_3ELb0ES6_jNS0_17counting_iteratorIjlEEPS9_SE_NS0_5tupleIJPjSE_EEENSF_IJSE_SE_EEES9_SG_JZNS1_25segmented_radix_sort_implINS0_14default_configELb1EPKsPsPKlPlN2at6native12_GLOBAL__N_18offset_tEEE10hipError_tPvRmT1_PNSt15iterator_traitsISY_E10value_typeET2_T3_PNSZ_IS14_E10value_typeET4_jRbjT5_S1A_jjP12ihipStream_tbEUljE_EEESV_SW_SX_S14_S18_S1A_T6_T7_T9_mT8_S1C_bDpT10_ENKUlT_T0_E_clISt17integral_constantIbLb1EES1P_EEDaS1K_S1L_EUlS1K_E_NS1_11comp_targetILNS1_3genE0ELNS1_11target_archE4294967295ELNS1_3gpuE0ELNS1_3repE0EEENS1_30default_config_static_selectorELNS0_4arch9wavefront6targetE0EEEvSY_
	.p2align	8
	.type	_ZN7rocprim17ROCPRIM_400000_NS6detail17trampoline_kernelINS0_13select_configILj256ELj13ELNS0_17block_load_methodE3ELS4_3ELS4_3ELNS0_20block_scan_algorithmE0ELj4294967295EEENS1_25partition_config_selectorILNS1_17partition_subalgoE3EjNS0_10empty_typeEbEEZZNS1_14partition_implILS8_3ELb0ES6_jNS0_17counting_iteratorIjlEEPS9_SE_NS0_5tupleIJPjSE_EEENSF_IJSE_SE_EEES9_SG_JZNS1_25segmented_radix_sort_implINS0_14default_configELb1EPKsPsPKlPlN2at6native12_GLOBAL__N_18offset_tEEE10hipError_tPvRmT1_PNSt15iterator_traitsISY_E10value_typeET2_T3_PNSZ_IS14_E10value_typeET4_jRbjT5_S1A_jjP12ihipStream_tbEUljE_EEESV_SW_SX_S14_S18_S1A_T6_T7_T9_mT8_S1C_bDpT10_ENKUlT_T0_E_clISt17integral_constantIbLb1EES1P_EEDaS1K_S1L_EUlS1K_E_NS1_11comp_targetILNS1_3genE0ELNS1_11target_archE4294967295ELNS1_3gpuE0ELNS1_3repE0EEENS1_30default_config_static_selectorELNS0_4arch9wavefront6targetE0EEEvSY_,@function
_ZN7rocprim17ROCPRIM_400000_NS6detail17trampoline_kernelINS0_13select_configILj256ELj13ELNS0_17block_load_methodE3ELS4_3ELS4_3ELNS0_20block_scan_algorithmE0ELj4294967295EEENS1_25partition_config_selectorILNS1_17partition_subalgoE3EjNS0_10empty_typeEbEEZZNS1_14partition_implILS8_3ELb0ES6_jNS0_17counting_iteratorIjlEEPS9_SE_NS0_5tupleIJPjSE_EEENSF_IJSE_SE_EEES9_SG_JZNS1_25segmented_radix_sort_implINS0_14default_configELb1EPKsPsPKlPlN2at6native12_GLOBAL__N_18offset_tEEE10hipError_tPvRmT1_PNSt15iterator_traitsISY_E10value_typeET2_T3_PNSZ_IS14_E10value_typeET4_jRbjT5_S1A_jjP12ihipStream_tbEUljE_EEESV_SW_SX_S14_S18_S1A_T6_T7_T9_mT8_S1C_bDpT10_ENKUlT_T0_E_clISt17integral_constantIbLb1EES1P_EEDaS1K_S1L_EUlS1K_E_NS1_11comp_targetILNS1_3genE0ELNS1_11target_archE4294967295ELNS1_3gpuE0ELNS1_3repE0EEENS1_30default_config_static_selectorELNS0_4arch9wavefront6targetE0EEEvSY_: ; @_ZN7rocprim17ROCPRIM_400000_NS6detail17trampoline_kernelINS0_13select_configILj256ELj13ELNS0_17block_load_methodE3ELS4_3ELS4_3ELNS0_20block_scan_algorithmE0ELj4294967295EEENS1_25partition_config_selectorILNS1_17partition_subalgoE3EjNS0_10empty_typeEbEEZZNS1_14partition_implILS8_3ELb0ES6_jNS0_17counting_iteratorIjlEEPS9_SE_NS0_5tupleIJPjSE_EEENSF_IJSE_SE_EEES9_SG_JZNS1_25segmented_radix_sort_implINS0_14default_configELb1EPKsPsPKlPlN2at6native12_GLOBAL__N_18offset_tEEE10hipError_tPvRmT1_PNSt15iterator_traitsISY_E10value_typeET2_T3_PNSZ_IS14_E10value_typeET4_jRbjT5_S1A_jjP12ihipStream_tbEUljE_EEESV_SW_SX_S14_S18_S1A_T6_T7_T9_mT8_S1C_bDpT10_ENKUlT_T0_E_clISt17integral_constantIbLb1EES1P_EEDaS1K_S1L_EUlS1K_E_NS1_11comp_targetILNS1_3genE0ELNS1_11target_archE4294967295ELNS1_3gpuE0ELNS1_3repE0EEENS1_30default_config_static_selectorELNS0_4arch9wavefront6targetE0EEEvSY_
; %bb.0:
	.section	.rodata,"a",@progbits
	.p2align	6, 0x0
	.amdhsa_kernel _ZN7rocprim17ROCPRIM_400000_NS6detail17trampoline_kernelINS0_13select_configILj256ELj13ELNS0_17block_load_methodE3ELS4_3ELS4_3ELNS0_20block_scan_algorithmE0ELj4294967295EEENS1_25partition_config_selectorILNS1_17partition_subalgoE3EjNS0_10empty_typeEbEEZZNS1_14partition_implILS8_3ELb0ES6_jNS0_17counting_iteratorIjlEEPS9_SE_NS0_5tupleIJPjSE_EEENSF_IJSE_SE_EEES9_SG_JZNS1_25segmented_radix_sort_implINS0_14default_configELb1EPKsPsPKlPlN2at6native12_GLOBAL__N_18offset_tEEE10hipError_tPvRmT1_PNSt15iterator_traitsISY_E10value_typeET2_T3_PNSZ_IS14_E10value_typeET4_jRbjT5_S1A_jjP12ihipStream_tbEUljE_EEESV_SW_SX_S14_S18_S1A_T6_T7_T9_mT8_S1C_bDpT10_ENKUlT_T0_E_clISt17integral_constantIbLb1EES1P_EEDaS1K_S1L_EUlS1K_E_NS1_11comp_targetILNS1_3genE0ELNS1_11target_archE4294967295ELNS1_3gpuE0ELNS1_3repE0EEENS1_30default_config_static_selectorELNS0_4arch9wavefront6targetE0EEEvSY_
		.amdhsa_group_segment_fixed_size 0
		.amdhsa_private_segment_fixed_size 0
		.amdhsa_kernarg_size 152
		.amdhsa_user_sgpr_count 15
		.amdhsa_user_sgpr_dispatch_ptr 0
		.amdhsa_user_sgpr_queue_ptr 0
		.amdhsa_user_sgpr_kernarg_segment_ptr 1
		.amdhsa_user_sgpr_dispatch_id 0
		.amdhsa_user_sgpr_private_segment_size 0
		.amdhsa_wavefront_size32 1
		.amdhsa_uses_dynamic_stack 0
		.amdhsa_enable_private_segment 0
		.amdhsa_system_sgpr_workgroup_id_x 1
		.amdhsa_system_sgpr_workgroup_id_y 0
		.amdhsa_system_sgpr_workgroup_id_z 0
		.amdhsa_system_sgpr_workgroup_info 0
		.amdhsa_system_vgpr_workitem_id 0
		.amdhsa_next_free_vgpr 1
		.amdhsa_next_free_sgpr 1
		.amdhsa_reserve_vcc 0
		.amdhsa_float_round_mode_32 0
		.amdhsa_float_round_mode_16_64 0
		.amdhsa_float_denorm_mode_32 3
		.amdhsa_float_denorm_mode_16_64 3
		.amdhsa_dx10_clamp 1
		.amdhsa_ieee_mode 1
		.amdhsa_fp16_overflow 0
		.amdhsa_workgroup_processor_mode 1
		.amdhsa_memory_ordered 1
		.amdhsa_forward_progress 0
		.amdhsa_shared_vgpr_count 0
		.amdhsa_exception_fp_ieee_invalid_op 0
		.amdhsa_exception_fp_denorm_src 0
		.amdhsa_exception_fp_ieee_div_zero 0
		.amdhsa_exception_fp_ieee_overflow 0
		.amdhsa_exception_fp_ieee_underflow 0
		.amdhsa_exception_fp_ieee_inexact 0
		.amdhsa_exception_int_div_zero 0
	.end_amdhsa_kernel
	.section	.text._ZN7rocprim17ROCPRIM_400000_NS6detail17trampoline_kernelINS0_13select_configILj256ELj13ELNS0_17block_load_methodE3ELS4_3ELS4_3ELNS0_20block_scan_algorithmE0ELj4294967295EEENS1_25partition_config_selectorILNS1_17partition_subalgoE3EjNS0_10empty_typeEbEEZZNS1_14partition_implILS8_3ELb0ES6_jNS0_17counting_iteratorIjlEEPS9_SE_NS0_5tupleIJPjSE_EEENSF_IJSE_SE_EEES9_SG_JZNS1_25segmented_radix_sort_implINS0_14default_configELb1EPKsPsPKlPlN2at6native12_GLOBAL__N_18offset_tEEE10hipError_tPvRmT1_PNSt15iterator_traitsISY_E10value_typeET2_T3_PNSZ_IS14_E10value_typeET4_jRbjT5_S1A_jjP12ihipStream_tbEUljE_EEESV_SW_SX_S14_S18_S1A_T6_T7_T9_mT8_S1C_bDpT10_ENKUlT_T0_E_clISt17integral_constantIbLb1EES1P_EEDaS1K_S1L_EUlS1K_E_NS1_11comp_targetILNS1_3genE0ELNS1_11target_archE4294967295ELNS1_3gpuE0ELNS1_3repE0EEENS1_30default_config_static_selectorELNS0_4arch9wavefront6targetE0EEEvSY_,"axG",@progbits,_ZN7rocprim17ROCPRIM_400000_NS6detail17trampoline_kernelINS0_13select_configILj256ELj13ELNS0_17block_load_methodE3ELS4_3ELS4_3ELNS0_20block_scan_algorithmE0ELj4294967295EEENS1_25partition_config_selectorILNS1_17partition_subalgoE3EjNS0_10empty_typeEbEEZZNS1_14partition_implILS8_3ELb0ES6_jNS0_17counting_iteratorIjlEEPS9_SE_NS0_5tupleIJPjSE_EEENSF_IJSE_SE_EEES9_SG_JZNS1_25segmented_radix_sort_implINS0_14default_configELb1EPKsPsPKlPlN2at6native12_GLOBAL__N_18offset_tEEE10hipError_tPvRmT1_PNSt15iterator_traitsISY_E10value_typeET2_T3_PNSZ_IS14_E10value_typeET4_jRbjT5_S1A_jjP12ihipStream_tbEUljE_EEESV_SW_SX_S14_S18_S1A_T6_T7_T9_mT8_S1C_bDpT10_ENKUlT_T0_E_clISt17integral_constantIbLb1EES1P_EEDaS1K_S1L_EUlS1K_E_NS1_11comp_targetILNS1_3genE0ELNS1_11target_archE4294967295ELNS1_3gpuE0ELNS1_3repE0EEENS1_30default_config_static_selectorELNS0_4arch9wavefront6targetE0EEEvSY_,comdat
.Lfunc_end887:
	.size	_ZN7rocprim17ROCPRIM_400000_NS6detail17trampoline_kernelINS0_13select_configILj256ELj13ELNS0_17block_load_methodE3ELS4_3ELS4_3ELNS0_20block_scan_algorithmE0ELj4294967295EEENS1_25partition_config_selectorILNS1_17partition_subalgoE3EjNS0_10empty_typeEbEEZZNS1_14partition_implILS8_3ELb0ES6_jNS0_17counting_iteratorIjlEEPS9_SE_NS0_5tupleIJPjSE_EEENSF_IJSE_SE_EEES9_SG_JZNS1_25segmented_radix_sort_implINS0_14default_configELb1EPKsPsPKlPlN2at6native12_GLOBAL__N_18offset_tEEE10hipError_tPvRmT1_PNSt15iterator_traitsISY_E10value_typeET2_T3_PNSZ_IS14_E10value_typeET4_jRbjT5_S1A_jjP12ihipStream_tbEUljE_EEESV_SW_SX_S14_S18_S1A_T6_T7_T9_mT8_S1C_bDpT10_ENKUlT_T0_E_clISt17integral_constantIbLb1EES1P_EEDaS1K_S1L_EUlS1K_E_NS1_11comp_targetILNS1_3genE0ELNS1_11target_archE4294967295ELNS1_3gpuE0ELNS1_3repE0EEENS1_30default_config_static_selectorELNS0_4arch9wavefront6targetE0EEEvSY_, .Lfunc_end887-_ZN7rocprim17ROCPRIM_400000_NS6detail17trampoline_kernelINS0_13select_configILj256ELj13ELNS0_17block_load_methodE3ELS4_3ELS4_3ELNS0_20block_scan_algorithmE0ELj4294967295EEENS1_25partition_config_selectorILNS1_17partition_subalgoE3EjNS0_10empty_typeEbEEZZNS1_14partition_implILS8_3ELb0ES6_jNS0_17counting_iteratorIjlEEPS9_SE_NS0_5tupleIJPjSE_EEENSF_IJSE_SE_EEES9_SG_JZNS1_25segmented_radix_sort_implINS0_14default_configELb1EPKsPsPKlPlN2at6native12_GLOBAL__N_18offset_tEEE10hipError_tPvRmT1_PNSt15iterator_traitsISY_E10value_typeET2_T3_PNSZ_IS14_E10value_typeET4_jRbjT5_S1A_jjP12ihipStream_tbEUljE_EEESV_SW_SX_S14_S18_S1A_T6_T7_T9_mT8_S1C_bDpT10_ENKUlT_T0_E_clISt17integral_constantIbLb1EES1P_EEDaS1K_S1L_EUlS1K_E_NS1_11comp_targetILNS1_3genE0ELNS1_11target_archE4294967295ELNS1_3gpuE0ELNS1_3repE0EEENS1_30default_config_static_selectorELNS0_4arch9wavefront6targetE0EEEvSY_
                                        ; -- End function
	.section	.AMDGPU.csdata,"",@progbits
; Kernel info:
; codeLenInByte = 0
; NumSgprs: 0
; NumVgprs: 0
; ScratchSize: 0
; MemoryBound: 0
; FloatMode: 240
; IeeeMode: 1
; LDSByteSize: 0 bytes/workgroup (compile time only)
; SGPRBlocks: 0
; VGPRBlocks: 0
; NumSGPRsForWavesPerEU: 1
; NumVGPRsForWavesPerEU: 1
; Occupancy: 16
; WaveLimiterHint : 0
; COMPUTE_PGM_RSRC2:SCRATCH_EN: 0
; COMPUTE_PGM_RSRC2:USER_SGPR: 15
; COMPUTE_PGM_RSRC2:TRAP_HANDLER: 0
; COMPUTE_PGM_RSRC2:TGID_X_EN: 1
; COMPUTE_PGM_RSRC2:TGID_Y_EN: 0
; COMPUTE_PGM_RSRC2:TGID_Z_EN: 0
; COMPUTE_PGM_RSRC2:TIDIG_COMP_CNT: 0
	.section	.text._ZN7rocprim17ROCPRIM_400000_NS6detail17trampoline_kernelINS0_13select_configILj256ELj13ELNS0_17block_load_methodE3ELS4_3ELS4_3ELNS0_20block_scan_algorithmE0ELj4294967295EEENS1_25partition_config_selectorILNS1_17partition_subalgoE3EjNS0_10empty_typeEbEEZZNS1_14partition_implILS8_3ELb0ES6_jNS0_17counting_iteratorIjlEEPS9_SE_NS0_5tupleIJPjSE_EEENSF_IJSE_SE_EEES9_SG_JZNS1_25segmented_radix_sort_implINS0_14default_configELb1EPKsPsPKlPlN2at6native12_GLOBAL__N_18offset_tEEE10hipError_tPvRmT1_PNSt15iterator_traitsISY_E10value_typeET2_T3_PNSZ_IS14_E10value_typeET4_jRbjT5_S1A_jjP12ihipStream_tbEUljE_EEESV_SW_SX_S14_S18_S1A_T6_T7_T9_mT8_S1C_bDpT10_ENKUlT_T0_E_clISt17integral_constantIbLb1EES1P_EEDaS1K_S1L_EUlS1K_E_NS1_11comp_targetILNS1_3genE5ELNS1_11target_archE942ELNS1_3gpuE9ELNS1_3repE0EEENS1_30default_config_static_selectorELNS0_4arch9wavefront6targetE0EEEvSY_,"axG",@progbits,_ZN7rocprim17ROCPRIM_400000_NS6detail17trampoline_kernelINS0_13select_configILj256ELj13ELNS0_17block_load_methodE3ELS4_3ELS4_3ELNS0_20block_scan_algorithmE0ELj4294967295EEENS1_25partition_config_selectorILNS1_17partition_subalgoE3EjNS0_10empty_typeEbEEZZNS1_14partition_implILS8_3ELb0ES6_jNS0_17counting_iteratorIjlEEPS9_SE_NS0_5tupleIJPjSE_EEENSF_IJSE_SE_EEES9_SG_JZNS1_25segmented_radix_sort_implINS0_14default_configELb1EPKsPsPKlPlN2at6native12_GLOBAL__N_18offset_tEEE10hipError_tPvRmT1_PNSt15iterator_traitsISY_E10value_typeET2_T3_PNSZ_IS14_E10value_typeET4_jRbjT5_S1A_jjP12ihipStream_tbEUljE_EEESV_SW_SX_S14_S18_S1A_T6_T7_T9_mT8_S1C_bDpT10_ENKUlT_T0_E_clISt17integral_constantIbLb1EES1P_EEDaS1K_S1L_EUlS1K_E_NS1_11comp_targetILNS1_3genE5ELNS1_11target_archE942ELNS1_3gpuE9ELNS1_3repE0EEENS1_30default_config_static_selectorELNS0_4arch9wavefront6targetE0EEEvSY_,comdat
	.globl	_ZN7rocprim17ROCPRIM_400000_NS6detail17trampoline_kernelINS0_13select_configILj256ELj13ELNS0_17block_load_methodE3ELS4_3ELS4_3ELNS0_20block_scan_algorithmE0ELj4294967295EEENS1_25partition_config_selectorILNS1_17partition_subalgoE3EjNS0_10empty_typeEbEEZZNS1_14partition_implILS8_3ELb0ES6_jNS0_17counting_iteratorIjlEEPS9_SE_NS0_5tupleIJPjSE_EEENSF_IJSE_SE_EEES9_SG_JZNS1_25segmented_radix_sort_implINS0_14default_configELb1EPKsPsPKlPlN2at6native12_GLOBAL__N_18offset_tEEE10hipError_tPvRmT1_PNSt15iterator_traitsISY_E10value_typeET2_T3_PNSZ_IS14_E10value_typeET4_jRbjT5_S1A_jjP12ihipStream_tbEUljE_EEESV_SW_SX_S14_S18_S1A_T6_T7_T9_mT8_S1C_bDpT10_ENKUlT_T0_E_clISt17integral_constantIbLb1EES1P_EEDaS1K_S1L_EUlS1K_E_NS1_11comp_targetILNS1_3genE5ELNS1_11target_archE942ELNS1_3gpuE9ELNS1_3repE0EEENS1_30default_config_static_selectorELNS0_4arch9wavefront6targetE0EEEvSY_ ; -- Begin function _ZN7rocprim17ROCPRIM_400000_NS6detail17trampoline_kernelINS0_13select_configILj256ELj13ELNS0_17block_load_methodE3ELS4_3ELS4_3ELNS0_20block_scan_algorithmE0ELj4294967295EEENS1_25partition_config_selectorILNS1_17partition_subalgoE3EjNS0_10empty_typeEbEEZZNS1_14partition_implILS8_3ELb0ES6_jNS0_17counting_iteratorIjlEEPS9_SE_NS0_5tupleIJPjSE_EEENSF_IJSE_SE_EEES9_SG_JZNS1_25segmented_radix_sort_implINS0_14default_configELb1EPKsPsPKlPlN2at6native12_GLOBAL__N_18offset_tEEE10hipError_tPvRmT1_PNSt15iterator_traitsISY_E10value_typeET2_T3_PNSZ_IS14_E10value_typeET4_jRbjT5_S1A_jjP12ihipStream_tbEUljE_EEESV_SW_SX_S14_S18_S1A_T6_T7_T9_mT8_S1C_bDpT10_ENKUlT_T0_E_clISt17integral_constantIbLb1EES1P_EEDaS1K_S1L_EUlS1K_E_NS1_11comp_targetILNS1_3genE5ELNS1_11target_archE942ELNS1_3gpuE9ELNS1_3repE0EEENS1_30default_config_static_selectorELNS0_4arch9wavefront6targetE0EEEvSY_
	.p2align	8
	.type	_ZN7rocprim17ROCPRIM_400000_NS6detail17trampoline_kernelINS0_13select_configILj256ELj13ELNS0_17block_load_methodE3ELS4_3ELS4_3ELNS0_20block_scan_algorithmE0ELj4294967295EEENS1_25partition_config_selectorILNS1_17partition_subalgoE3EjNS0_10empty_typeEbEEZZNS1_14partition_implILS8_3ELb0ES6_jNS0_17counting_iteratorIjlEEPS9_SE_NS0_5tupleIJPjSE_EEENSF_IJSE_SE_EEES9_SG_JZNS1_25segmented_radix_sort_implINS0_14default_configELb1EPKsPsPKlPlN2at6native12_GLOBAL__N_18offset_tEEE10hipError_tPvRmT1_PNSt15iterator_traitsISY_E10value_typeET2_T3_PNSZ_IS14_E10value_typeET4_jRbjT5_S1A_jjP12ihipStream_tbEUljE_EEESV_SW_SX_S14_S18_S1A_T6_T7_T9_mT8_S1C_bDpT10_ENKUlT_T0_E_clISt17integral_constantIbLb1EES1P_EEDaS1K_S1L_EUlS1K_E_NS1_11comp_targetILNS1_3genE5ELNS1_11target_archE942ELNS1_3gpuE9ELNS1_3repE0EEENS1_30default_config_static_selectorELNS0_4arch9wavefront6targetE0EEEvSY_,@function
_ZN7rocprim17ROCPRIM_400000_NS6detail17trampoline_kernelINS0_13select_configILj256ELj13ELNS0_17block_load_methodE3ELS4_3ELS4_3ELNS0_20block_scan_algorithmE0ELj4294967295EEENS1_25partition_config_selectorILNS1_17partition_subalgoE3EjNS0_10empty_typeEbEEZZNS1_14partition_implILS8_3ELb0ES6_jNS0_17counting_iteratorIjlEEPS9_SE_NS0_5tupleIJPjSE_EEENSF_IJSE_SE_EEES9_SG_JZNS1_25segmented_radix_sort_implINS0_14default_configELb1EPKsPsPKlPlN2at6native12_GLOBAL__N_18offset_tEEE10hipError_tPvRmT1_PNSt15iterator_traitsISY_E10value_typeET2_T3_PNSZ_IS14_E10value_typeET4_jRbjT5_S1A_jjP12ihipStream_tbEUljE_EEESV_SW_SX_S14_S18_S1A_T6_T7_T9_mT8_S1C_bDpT10_ENKUlT_T0_E_clISt17integral_constantIbLb1EES1P_EEDaS1K_S1L_EUlS1K_E_NS1_11comp_targetILNS1_3genE5ELNS1_11target_archE942ELNS1_3gpuE9ELNS1_3repE0EEENS1_30default_config_static_selectorELNS0_4arch9wavefront6targetE0EEEvSY_: ; @_ZN7rocprim17ROCPRIM_400000_NS6detail17trampoline_kernelINS0_13select_configILj256ELj13ELNS0_17block_load_methodE3ELS4_3ELS4_3ELNS0_20block_scan_algorithmE0ELj4294967295EEENS1_25partition_config_selectorILNS1_17partition_subalgoE3EjNS0_10empty_typeEbEEZZNS1_14partition_implILS8_3ELb0ES6_jNS0_17counting_iteratorIjlEEPS9_SE_NS0_5tupleIJPjSE_EEENSF_IJSE_SE_EEES9_SG_JZNS1_25segmented_radix_sort_implINS0_14default_configELb1EPKsPsPKlPlN2at6native12_GLOBAL__N_18offset_tEEE10hipError_tPvRmT1_PNSt15iterator_traitsISY_E10value_typeET2_T3_PNSZ_IS14_E10value_typeET4_jRbjT5_S1A_jjP12ihipStream_tbEUljE_EEESV_SW_SX_S14_S18_S1A_T6_T7_T9_mT8_S1C_bDpT10_ENKUlT_T0_E_clISt17integral_constantIbLb1EES1P_EEDaS1K_S1L_EUlS1K_E_NS1_11comp_targetILNS1_3genE5ELNS1_11target_archE942ELNS1_3gpuE9ELNS1_3repE0EEENS1_30default_config_static_selectorELNS0_4arch9wavefront6targetE0EEEvSY_
; %bb.0:
	.section	.rodata,"a",@progbits
	.p2align	6, 0x0
	.amdhsa_kernel _ZN7rocprim17ROCPRIM_400000_NS6detail17trampoline_kernelINS0_13select_configILj256ELj13ELNS0_17block_load_methodE3ELS4_3ELS4_3ELNS0_20block_scan_algorithmE0ELj4294967295EEENS1_25partition_config_selectorILNS1_17partition_subalgoE3EjNS0_10empty_typeEbEEZZNS1_14partition_implILS8_3ELb0ES6_jNS0_17counting_iteratorIjlEEPS9_SE_NS0_5tupleIJPjSE_EEENSF_IJSE_SE_EEES9_SG_JZNS1_25segmented_radix_sort_implINS0_14default_configELb1EPKsPsPKlPlN2at6native12_GLOBAL__N_18offset_tEEE10hipError_tPvRmT1_PNSt15iterator_traitsISY_E10value_typeET2_T3_PNSZ_IS14_E10value_typeET4_jRbjT5_S1A_jjP12ihipStream_tbEUljE_EEESV_SW_SX_S14_S18_S1A_T6_T7_T9_mT8_S1C_bDpT10_ENKUlT_T0_E_clISt17integral_constantIbLb1EES1P_EEDaS1K_S1L_EUlS1K_E_NS1_11comp_targetILNS1_3genE5ELNS1_11target_archE942ELNS1_3gpuE9ELNS1_3repE0EEENS1_30default_config_static_selectorELNS0_4arch9wavefront6targetE0EEEvSY_
		.amdhsa_group_segment_fixed_size 0
		.amdhsa_private_segment_fixed_size 0
		.amdhsa_kernarg_size 152
		.amdhsa_user_sgpr_count 15
		.amdhsa_user_sgpr_dispatch_ptr 0
		.amdhsa_user_sgpr_queue_ptr 0
		.amdhsa_user_sgpr_kernarg_segment_ptr 1
		.amdhsa_user_sgpr_dispatch_id 0
		.amdhsa_user_sgpr_private_segment_size 0
		.amdhsa_wavefront_size32 1
		.amdhsa_uses_dynamic_stack 0
		.amdhsa_enable_private_segment 0
		.amdhsa_system_sgpr_workgroup_id_x 1
		.amdhsa_system_sgpr_workgroup_id_y 0
		.amdhsa_system_sgpr_workgroup_id_z 0
		.amdhsa_system_sgpr_workgroup_info 0
		.amdhsa_system_vgpr_workitem_id 0
		.amdhsa_next_free_vgpr 1
		.amdhsa_next_free_sgpr 1
		.amdhsa_reserve_vcc 0
		.amdhsa_float_round_mode_32 0
		.amdhsa_float_round_mode_16_64 0
		.amdhsa_float_denorm_mode_32 3
		.amdhsa_float_denorm_mode_16_64 3
		.amdhsa_dx10_clamp 1
		.amdhsa_ieee_mode 1
		.amdhsa_fp16_overflow 0
		.amdhsa_workgroup_processor_mode 1
		.amdhsa_memory_ordered 1
		.amdhsa_forward_progress 0
		.amdhsa_shared_vgpr_count 0
		.amdhsa_exception_fp_ieee_invalid_op 0
		.amdhsa_exception_fp_denorm_src 0
		.amdhsa_exception_fp_ieee_div_zero 0
		.amdhsa_exception_fp_ieee_overflow 0
		.amdhsa_exception_fp_ieee_underflow 0
		.amdhsa_exception_fp_ieee_inexact 0
		.amdhsa_exception_int_div_zero 0
	.end_amdhsa_kernel
	.section	.text._ZN7rocprim17ROCPRIM_400000_NS6detail17trampoline_kernelINS0_13select_configILj256ELj13ELNS0_17block_load_methodE3ELS4_3ELS4_3ELNS0_20block_scan_algorithmE0ELj4294967295EEENS1_25partition_config_selectorILNS1_17partition_subalgoE3EjNS0_10empty_typeEbEEZZNS1_14partition_implILS8_3ELb0ES6_jNS0_17counting_iteratorIjlEEPS9_SE_NS0_5tupleIJPjSE_EEENSF_IJSE_SE_EEES9_SG_JZNS1_25segmented_radix_sort_implINS0_14default_configELb1EPKsPsPKlPlN2at6native12_GLOBAL__N_18offset_tEEE10hipError_tPvRmT1_PNSt15iterator_traitsISY_E10value_typeET2_T3_PNSZ_IS14_E10value_typeET4_jRbjT5_S1A_jjP12ihipStream_tbEUljE_EEESV_SW_SX_S14_S18_S1A_T6_T7_T9_mT8_S1C_bDpT10_ENKUlT_T0_E_clISt17integral_constantIbLb1EES1P_EEDaS1K_S1L_EUlS1K_E_NS1_11comp_targetILNS1_3genE5ELNS1_11target_archE942ELNS1_3gpuE9ELNS1_3repE0EEENS1_30default_config_static_selectorELNS0_4arch9wavefront6targetE0EEEvSY_,"axG",@progbits,_ZN7rocprim17ROCPRIM_400000_NS6detail17trampoline_kernelINS0_13select_configILj256ELj13ELNS0_17block_load_methodE3ELS4_3ELS4_3ELNS0_20block_scan_algorithmE0ELj4294967295EEENS1_25partition_config_selectorILNS1_17partition_subalgoE3EjNS0_10empty_typeEbEEZZNS1_14partition_implILS8_3ELb0ES6_jNS0_17counting_iteratorIjlEEPS9_SE_NS0_5tupleIJPjSE_EEENSF_IJSE_SE_EEES9_SG_JZNS1_25segmented_radix_sort_implINS0_14default_configELb1EPKsPsPKlPlN2at6native12_GLOBAL__N_18offset_tEEE10hipError_tPvRmT1_PNSt15iterator_traitsISY_E10value_typeET2_T3_PNSZ_IS14_E10value_typeET4_jRbjT5_S1A_jjP12ihipStream_tbEUljE_EEESV_SW_SX_S14_S18_S1A_T6_T7_T9_mT8_S1C_bDpT10_ENKUlT_T0_E_clISt17integral_constantIbLb1EES1P_EEDaS1K_S1L_EUlS1K_E_NS1_11comp_targetILNS1_3genE5ELNS1_11target_archE942ELNS1_3gpuE9ELNS1_3repE0EEENS1_30default_config_static_selectorELNS0_4arch9wavefront6targetE0EEEvSY_,comdat
.Lfunc_end888:
	.size	_ZN7rocprim17ROCPRIM_400000_NS6detail17trampoline_kernelINS0_13select_configILj256ELj13ELNS0_17block_load_methodE3ELS4_3ELS4_3ELNS0_20block_scan_algorithmE0ELj4294967295EEENS1_25partition_config_selectorILNS1_17partition_subalgoE3EjNS0_10empty_typeEbEEZZNS1_14partition_implILS8_3ELb0ES6_jNS0_17counting_iteratorIjlEEPS9_SE_NS0_5tupleIJPjSE_EEENSF_IJSE_SE_EEES9_SG_JZNS1_25segmented_radix_sort_implINS0_14default_configELb1EPKsPsPKlPlN2at6native12_GLOBAL__N_18offset_tEEE10hipError_tPvRmT1_PNSt15iterator_traitsISY_E10value_typeET2_T3_PNSZ_IS14_E10value_typeET4_jRbjT5_S1A_jjP12ihipStream_tbEUljE_EEESV_SW_SX_S14_S18_S1A_T6_T7_T9_mT8_S1C_bDpT10_ENKUlT_T0_E_clISt17integral_constantIbLb1EES1P_EEDaS1K_S1L_EUlS1K_E_NS1_11comp_targetILNS1_3genE5ELNS1_11target_archE942ELNS1_3gpuE9ELNS1_3repE0EEENS1_30default_config_static_selectorELNS0_4arch9wavefront6targetE0EEEvSY_, .Lfunc_end888-_ZN7rocprim17ROCPRIM_400000_NS6detail17trampoline_kernelINS0_13select_configILj256ELj13ELNS0_17block_load_methodE3ELS4_3ELS4_3ELNS0_20block_scan_algorithmE0ELj4294967295EEENS1_25partition_config_selectorILNS1_17partition_subalgoE3EjNS0_10empty_typeEbEEZZNS1_14partition_implILS8_3ELb0ES6_jNS0_17counting_iteratorIjlEEPS9_SE_NS0_5tupleIJPjSE_EEENSF_IJSE_SE_EEES9_SG_JZNS1_25segmented_radix_sort_implINS0_14default_configELb1EPKsPsPKlPlN2at6native12_GLOBAL__N_18offset_tEEE10hipError_tPvRmT1_PNSt15iterator_traitsISY_E10value_typeET2_T3_PNSZ_IS14_E10value_typeET4_jRbjT5_S1A_jjP12ihipStream_tbEUljE_EEESV_SW_SX_S14_S18_S1A_T6_T7_T9_mT8_S1C_bDpT10_ENKUlT_T0_E_clISt17integral_constantIbLb1EES1P_EEDaS1K_S1L_EUlS1K_E_NS1_11comp_targetILNS1_3genE5ELNS1_11target_archE942ELNS1_3gpuE9ELNS1_3repE0EEENS1_30default_config_static_selectorELNS0_4arch9wavefront6targetE0EEEvSY_
                                        ; -- End function
	.section	.AMDGPU.csdata,"",@progbits
; Kernel info:
; codeLenInByte = 0
; NumSgprs: 0
; NumVgprs: 0
; ScratchSize: 0
; MemoryBound: 0
; FloatMode: 240
; IeeeMode: 1
; LDSByteSize: 0 bytes/workgroup (compile time only)
; SGPRBlocks: 0
; VGPRBlocks: 0
; NumSGPRsForWavesPerEU: 1
; NumVGPRsForWavesPerEU: 1
; Occupancy: 16
; WaveLimiterHint : 0
; COMPUTE_PGM_RSRC2:SCRATCH_EN: 0
; COMPUTE_PGM_RSRC2:USER_SGPR: 15
; COMPUTE_PGM_RSRC2:TRAP_HANDLER: 0
; COMPUTE_PGM_RSRC2:TGID_X_EN: 1
; COMPUTE_PGM_RSRC2:TGID_Y_EN: 0
; COMPUTE_PGM_RSRC2:TGID_Z_EN: 0
; COMPUTE_PGM_RSRC2:TIDIG_COMP_CNT: 0
	.section	.text._ZN7rocprim17ROCPRIM_400000_NS6detail17trampoline_kernelINS0_13select_configILj256ELj13ELNS0_17block_load_methodE3ELS4_3ELS4_3ELNS0_20block_scan_algorithmE0ELj4294967295EEENS1_25partition_config_selectorILNS1_17partition_subalgoE3EjNS0_10empty_typeEbEEZZNS1_14partition_implILS8_3ELb0ES6_jNS0_17counting_iteratorIjlEEPS9_SE_NS0_5tupleIJPjSE_EEENSF_IJSE_SE_EEES9_SG_JZNS1_25segmented_radix_sort_implINS0_14default_configELb1EPKsPsPKlPlN2at6native12_GLOBAL__N_18offset_tEEE10hipError_tPvRmT1_PNSt15iterator_traitsISY_E10value_typeET2_T3_PNSZ_IS14_E10value_typeET4_jRbjT5_S1A_jjP12ihipStream_tbEUljE_EEESV_SW_SX_S14_S18_S1A_T6_T7_T9_mT8_S1C_bDpT10_ENKUlT_T0_E_clISt17integral_constantIbLb1EES1P_EEDaS1K_S1L_EUlS1K_E_NS1_11comp_targetILNS1_3genE4ELNS1_11target_archE910ELNS1_3gpuE8ELNS1_3repE0EEENS1_30default_config_static_selectorELNS0_4arch9wavefront6targetE0EEEvSY_,"axG",@progbits,_ZN7rocprim17ROCPRIM_400000_NS6detail17trampoline_kernelINS0_13select_configILj256ELj13ELNS0_17block_load_methodE3ELS4_3ELS4_3ELNS0_20block_scan_algorithmE0ELj4294967295EEENS1_25partition_config_selectorILNS1_17partition_subalgoE3EjNS0_10empty_typeEbEEZZNS1_14partition_implILS8_3ELb0ES6_jNS0_17counting_iteratorIjlEEPS9_SE_NS0_5tupleIJPjSE_EEENSF_IJSE_SE_EEES9_SG_JZNS1_25segmented_radix_sort_implINS0_14default_configELb1EPKsPsPKlPlN2at6native12_GLOBAL__N_18offset_tEEE10hipError_tPvRmT1_PNSt15iterator_traitsISY_E10value_typeET2_T3_PNSZ_IS14_E10value_typeET4_jRbjT5_S1A_jjP12ihipStream_tbEUljE_EEESV_SW_SX_S14_S18_S1A_T6_T7_T9_mT8_S1C_bDpT10_ENKUlT_T0_E_clISt17integral_constantIbLb1EES1P_EEDaS1K_S1L_EUlS1K_E_NS1_11comp_targetILNS1_3genE4ELNS1_11target_archE910ELNS1_3gpuE8ELNS1_3repE0EEENS1_30default_config_static_selectorELNS0_4arch9wavefront6targetE0EEEvSY_,comdat
	.globl	_ZN7rocprim17ROCPRIM_400000_NS6detail17trampoline_kernelINS0_13select_configILj256ELj13ELNS0_17block_load_methodE3ELS4_3ELS4_3ELNS0_20block_scan_algorithmE0ELj4294967295EEENS1_25partition_config_selectorILNS1_17partition_subalgoE3EjNS0_10empty_typeEbEEZZNS1_14partition_implILS8_3ELb0ES6_jNS0_17counting_iteratorIjlEEPS9_SE_NS0_5tupleIJPjSE_EEENSF_IJSE_SE_EEES9_SG_JZNS1_25segmented_radix_sort_implINS0_14default_configELb1EPKsPsPKlPlN2at6native12_GLOBAL__N_18offset_tEEE10hipError_tPvRmT1_PNSt15iterator_traitsISY_E10value_typeET2_T3_PNSZ_IS14_E10value_typeET4_jRbjT5_S1A_jjP12ihipStream_tbEUljE_EEESV_SW_SX_S14_S18_S1A_T6_T7_T9_mT8_S1C_bDpT10_ENKUlT_T0_E_clISt17integral_constantIbLb1EES1P_EEDaS1K_S1L_EUlS1K_E_NS1_11comp_targetILNS1_3genE4ELNS1_11target_archE910ELNS1_3gpuE8ELNS1_3repE0EEENS1_30default_config_static_selectorELNS0_4arch9wavefront6targetE0EEEvSY_ ; -- Begin function _ZN7rocprim17ROCPRIM_400000_NS6detail17trampoline_kernelINS0_13select_configILj256ELj13ELNS0_17block_load_methodE3ELS4_3ELS4_3ELNS0_20block_scan_algorithmE0ELj4294967295EEENS1_25partition_config_selectorILNS1_17partition_subalgoE3EjNS0_10empty_typeEbEEZZNS1_14partition_implILS8_3ELb0ES6_jNS0_17counting_iteratorIjlEEPS9_SE_NS0_5tupleIJPjSE_EEENSF_IJSE_SE_EEES9_SG_JZNS1_25segmented_radix_sort_implINS0_14default_configELb1EPKsPsPKlPlN2at6native12_GLOBAL__N_18offset_tEEE10hipError_tPvRmT1_PNSt15iterator_traitsISY_E10value_typeET2_T3_PNSZ_IS14_E10value_typeET4_jRbjT5_S1A_jjP12ihipStream_tbEUljE_EEESV_SW_SX_S14_S18_S1A_T6_T7_T9_mT8_S1C_bDpT10_ENKUlT_T0_E_clISt17integral_constantIbLb1EES1P_EEDaS1K_S1L_EUlS1K_E_NS1_11comp_targetILNS1_3genE4ELNS1_11target_archE910ELNS1_3gpuE8ELNS1_3repE0EEENS1_30default_config_static_selectorELNS0_4arch9wavefront6targetE0EEEvSY_
	.p2align	8
	.type	_ZN7rocprim17ROCPRIM_400000_NS6detail17trampoline_kernelINS0_13select_configILj256ELj13ELNS0_17block_load_methodE3ELS4_3ELS4_3ELNS0_20block_scan_algorithmE0ELj4294967295EEENS1_25partition_config_selectorILNS1_17partition_subalgoE3EjNS0_10empty_typeEbEEZZNS1_14partition_implILS8_3ELb0ES6_jNS0_17counting_iteratorIjlEEPS9_SE_NS0_5tupleIJPjSE_EEENSF_IJSE_SE_EEES9_SG_JZNS1_25segmented_radix_sort_implINS0_14default_configELb1EPKsPsPKlPlN2at6native12_GLOBAL__N_18offset_tEEE10hipError_tPvRmT1_PNSt15iterator_traitsISY_E10value_typeET2_T3_PNSZ_IS14_E10value_typeET4_jRbjT5_S1A_jjP12ihipStream_tbEUljE_EEESV_SW_SX_S14_S18_S1A_T6_T7_T9_mT8_S1C_bDpT10_ENKUlT_T0_E_clISt17integral_constantIbLb1EES1P_EEDaS1K_S1L_EUlS1K_E_NS1_11comp_targetILNS1_3genE4ELNS1_11target_archE910ELNS1_3gpuE8ELNS1_3repE0EEENS1_30default_config_static_selectorELNS0_4arch9wavefront6targetE0EEEvSY_,@function
_ZN7rocprim17ROCPRIM_400000_NS6detail17trampoline_kernelINS0_13select_configILj256ELj13ELNS0_17block_load_methodE3ELS4_3ELS4_3ELNS0_20block_scan_algorithmE0ELj4294967295EEENS1_25partition_config_selectorILNS1_17partition_subalgoE3EjNS0_10empty_typeEbEEZZNS1_14partition_implILS8_3ELb0ES6_jNS0_17counting_iteratorIjlEEPS9_SE_NS0_5tupleIJPjSE_EEENSF_IJSE_SE_EEES9_SG_JZNS1_25segmented_radix_sort_implINS0_14default_configELb1EPKsPsPKlPlN2at6native12_GLOBAL__N_18offset_tEEE10hipError_tPvRmT1_PNSt15iterator_traitsISY_E10value_typeET2_T3_PNSZ_IS14_E10value_typeET4_jRbjT5_S1A_jjP12ihipStream_tbEUljE_EEESV_SW_SX_S14_S18_S1A_T6_T7_T9_mT8_S1C_bDpT10_ENKUlT_T0_E_clISt17integral_constantIbLb1EES1P_EEDaS1K_S1L_EUlS1K_E_NS1_11comp_targetILNS1_3genE4ELNS1_11target_archE910ELNS1_3gpuE8ELNS1_3repE0EEENS1_30default_config_static_selectorELNS0_4arch9wavefront6targetE0EEEvSY_: ; @_ZN7rocprim17ROCPRIM_400000_NS6detail17trampoline_kernelINS0_13select_configILj256ELj13ELNS0_17block_load_methodE3ELS4_3ELS4_3ELNS0_20block_scan_algorithmE0ELj4294967295EEENS1_25partition_config_selectorILNS1_17partition_subalgoE3EjNS0_10empty_typeEbEEZZNS1_14partition_implILS8_3ELb0ES6_jNS0_17counting_iteratorIjlEEPS9_SE_NS0_5tupleIJPjSE_EEENSF_IJSE_SE_EEES9_SG_JZNS1_25segmented_radix_sort_implINS0_14default_configELb1EPKsPsPKlPlN2at6native12_GLOBAL__N_18offset_tEEE10hipError_tPvRmT1_PNSt15iterator_traitsISY_E10value_typeET2_T3_PNSZ_IS14_E10value_typeET4_jRbjT5_S1A_jjP12ihipStream_tbEUljE_EEESV_SW_SX_S14_S18_S1A_T6_T7_T9_mT8_S1C_bDpT10_ENKUlT_T0_E_clISt17integral_constantIbLb1EES1P_EEDaS1K_S1L_EUlS1K_E_NS1_11comp_targetILNS1_3genE4ELNS1_11target_archE910ELNS1_3gpuE8ELNS1_3repE0EEENS1_30default_config_static_selectorELNS0_4arch9wavefront6targetE0EEEvSY_
; %bb.0:
	.section	.rodata,"a",@progbits
	.p2align	6, 0x0
	.amdhsa_kernel _ZN7rocprim17ROCPRIM_400000_NS6detail17trampoline_kernelINS0_13select_configILj256ELj13ELNS0_17block_load_methodE3ELS4_3ELS4_3ELNS0_20block_scan_algorithmE0ELj4294967295EEENS1_25partition_config_selectorILNS1_17partition_subalgoE3EjNS0_10empty_typeEbEEZZNS1_14partition_implILS8_3ELb0ES6_jNS0_17counting_iteratorIjlEEPS9_SE_NS0_5tupleIJPjSE_EEENSF_IJSE_SE_EEES9_SG_JZNS1_25segmented_radix_sort_implINS0_14default_configELb1EPKsPsPKlPlN2at6native12_GLOBAL__N_18offset_tEEE10hipError_tPvRmT1_PNSt15iterator_traitsISY_E10value_typeET2_T3_PNSZ_IS14_E10value_typeET4_jRbjT5_S1A_jjP12ihipStream_tbEUljE_EEESV_SW_SX_S14_S18_S1A_T6_T7_T9_mT8_S1C_bDpT10_ENKUlT_T0_E_clISt17integral_constantIbLb1EES1P_EEDaS1K_S1L_EUlS1K_E_NS1_11comp_targetILNS1_3genE4ELNS1_11target_archE910ELNS1_3gpuE8ELNS1_3repE0EEENS1_30default_config_static_selectorELNS0_4arch9wavefront6targetE0EEEvSY_
		.amdhsa_group_segment_fixed_size 0
		.amdhsa_private_segment_fixed_size 0
		.amdhsa_kernarg_size 152
		.amdhsa_user_sgpr_count 15
		.amdhsa_user_sgpr_dispatch_ptr 0
		.amdhsa_user_sgpr_queue_ptr 0
		.amdhsa_user_sgpr_kernarg_segment_ptr 1
		.amdhsa_user_sgpr_dispatch_id 0
		.amdhsa_user_sgpr_private_segment_size 0
		.amdhsa_wavefront_size32 1
		.amdhsa_uses_dynamic_stack 0
		.amdhsa_enable_private_segment 0
		.amdhsa_system_sgpr_workgroup_id_x 1
		.amdhsa_system_sgpr_workgroup_id_y 0
		.amdhsa_system_sgpr_workgroup_id_z 0
		.amdhsa_system_sgpr_workgroup_info 0
		.amdhsa_system_vgpr_workitem_id 0
		.amdhsa_next_free_vgpr 1
		.amdhsa_next_free_sgpr 1
		.amdhsa_reserve_vcc 0
		.amdhsa_float_round_mode_32 0
		.amdhsa_float_round_mode_16_64 0
		.amdhsa_float_denorm_mode_32 3
		.amdhsa_float_denorm_mode_16_64 3
		.amdhsa_dx10_clamp 1
		.amdhsa_ieee_mode 1
		.amdhsa_fp16_overflow 0
		.amdhsa_workgroup_processor_mode 1
		.amdhsa_memory_ordered 1
		.amdhsa_forward_progress 0
		.amdhsa_shared_vgpr_count 0
		.amdhsa_exception_fp_ieee_invalid_op 0
		.amdhsa_exception_fp_denorm_src 0
		.amdhsa_exception_fp_ieee_div_zero 0
		.amdhsa_exception_fp_ieee_overflow 0
		.amdhsa_exception_fp_ieee_underflow 0
		.amdhsa_exception_fp_ieee_inexact 0
		.amdhsa_exception_int_div_zero 0
	.end_amdhsa_kernel
	.section	.text._ZN7rocprim17ROCPRIM_400000_NS6detail17trampoline_kernelINS0_13select_configILj256ELj13ELNS0_17block_load_methodE3ELS4_3ELS4_3ELNS0_20block_scan_algorithmE0ELj4294967295EEENS1_25partition_config_selectorILNS1_17partition_subalgoE3EjNS0_10empty_typeEbEEZZNS1_14partition_implILS8_3ELb0ES6_jNS0_17counting_iteratorIjlEEPS9_SE_NS0_5tupleIJPjSE_EEENSF_IJSE_SE_EEES9_SG_JZNS1_25segmented_radix_sort_implINS0_14default_configELb1EPKsPsPKlPlN2at6native12_GLOBAL__N_18offset_tEEE10hipError_tPvRmT1_PNSt15iterator_traitsISY_E10value_typeET2_T3_PNSZ_IS14_E10value_typeET4_jRbjT5_S1A_jjP12ihipStream_tbEUljE_EEESV_SW_SX_S14_S18_S1A_T6_T7_T9_mT8_S1C_bDpT10_ENKUlT_T0_E_clISt17integral_constantIbLb1EES1P_EEDaS1K_S1L_EUlS1K_E_NS1_11comp_targetILNS1_3genE4ELNS1_11target_archE910ELNS1_3gpuE8ELNS1_3repE0EEENS1_30default_config_static_selectorELNS0_4arch9wavefront6targetE0EEEvSY_,"axG",@progbits,_ZN7rocprim17ROCPRIM_400000_NS6detail17trampoline_kernelINS0_13select_configILj256ELj13ELNS0_17block_load_methodE3ELS4_3ELS4_3ELNS0_20block_scan_algorithmE0ELj4294967295EEENS1_25partition_config_selectorILNS1_17partition_subalgoE3EjNS0_10empty_typeEbEEZZNS1_14partition_implILS8_3ELb0ES6_jNS0_17counting_iteratorIjlEEPS9_SE_NS0_5tupleIJPjSE_EEENSF_IJSE_SE_EEES9_SG_JZNS1_25segmented_radix_sort_implINS0_14default_configELb1EPKsPsPKlPlN2at6native12_GLOBAL__N_18offset_tEEE10hipError_tPvRmT1_PNSt15iterator_traitsISY_E10value_typeET2_T3_PNSZ_IS14_E10value_typeET4_jRbjT5_S1A_jjP12ihipStream_tbEUljE_EEESV_SW_SX_S14_S18_S1A_T6_T7_T9_mT8_S1C_bDpT10_ENKUlT_T0_E_clISt17integral_constantIbLb1EES1P_EEDaS1K_S1L_EUlS1K_E_NS1_11comp_targetILNS1_3genE4ELNS1_11target_archE910ELNS1_3gpuE8ELNS1_3repE0EEENS1_30default_config_static_selectorELNS0_4arch9wavefront6targetE0EEEvSY_,comdat
.Lfunc_end889:
	.size	_ZN7rocprim17ROCPRIM_400000_NS6detail17trampoline_kernelINS0_13select_configILj256ELj13ELNS0_17block_load_methodE3ELS4_3ELS4_3ELNS0_20block_scan_algorithmE0ELj4294967295EEENS1_25partition_config_selectorILNS1_17partition_subalgoE3EjNS0_10empty_typeEbEEZZNS1_14partition_implILS8_3ELb0ES6_jNS0_17counting_iteratorIjlEEPS9_SE_NS0_5tupleIJPjSE_EEENSF_IJSE_SE_EEES9_SG_JZNS1_25segmented_radix_sort_implINS0_14default_configELb1EPKsPsPKlPlN2at6native12_GLOBAL__N_18offset_tEEE10hipError_tPvRmT1_PNSt15iterator_traitsISY_E10value_typeET2_T3_PNSZ_IS14_E10value_typeET4_jRbjT5_S1A_jjP12ihipStream_tbEUljE_EEESV_SW_SX_S14_S18_S1A_T6_T7_T9_mT8_S1C_bDpT10_ENKUlT_T0_E_clISt17integral_constantIbLb1EES1P_EEDaS1K_S1L_EUlS1K_E_NS1_11comp_targetILNS1_3genE4ELNS1_11target_archE910ELNS1_3gpuE8ELNS1_3repE0EEENS1_30default_config_static_selectorELNS0_4arch9wavefront6targetE0EEEvSY_, .Lfunc_end889-_ZN7rocprim17ROCPRIM_400000_NS6detail17trampoline_kernelINS0_13select_configILj256ELj13ELNS0_17block_load_methodE3ELS4_3ELS4_3ELNS0_20block_scan_algorithmE0ELj4294967295EEENS1_25partition_config_selectorILNS1_17partition_subalgoE3EjNS0_10empty_typeEbEEZZNS1_14partition_implILS8_3ELb0ES6_jNS0_17counting_iteratorIjlEEPS9_SE_NS0_5tupleIJPjSE_EEENSF_IJSE_SE_EEES9_SG_JZNS1_25segmented_radix_sort_implINS0_14default_configELb1EPKsPsPKlPlN2at6native12_GLOBAL__N_18offset_tEEE10hipError_tPvRmT1_PNSt15iterator_traitsISY_E10value_typeET2_T3_PNSZ_IS14_E10value_typeET4_jRbjT5_S1A_jjP12ihipStream_tbEUljE_EEESV_SW_SX_S14_S18_S1A_T6_T7_T9_mT8_S1C_bDpT10_ENKUlT_T0_E_clISt17integral_constantIbLb1EES1P_EEDaS1K_S1L_EUlS1K_E_NS1_11comp_targetILNS1_3genE4ELNS1_11target_archE910ELNS1_3gpuE8ELNS1_3repE0EEENS1_30default_config_static_selectorELNS0_4arch9wavefront6targetE0EEEvSY_
                                        ; -- End function
	.section	.AMDGPU.csdata,"",@progbits
; Kernel info:
; codeLenInByte = 0
; NumSgprs: 0
; NumVgprs: 0
; ScratchSize: 0
; MemoryBound: 0
; FloatMode: 240
; IeeeMode: 1
; LDSByteSize: 0 bytes/workgroup (compile time only)
; SGPRBlocks: 0
; VGPRBlocks: 0
; NumSGPRsForWavesPerEU: 1
; NumVGPRsForWavesPerEU: 1
; Occupancy: 16
; WaveLimiterHint : 0
; COMPUTE_PGM_RSRC2:SCRATCH_EN: 0
; COMPUTE_PGM_RSRC2:USER_SGPR: 15
; COMPUTE_PGM_RSRC2:TRAP_HANDLER: 0
; COMPUTE_PGM_RSRC2:TGID_X_EN: 1
; COMPUTE_PGM_RSRC2:TGID_Y_EN: 0
; COMPUTE_PGM_RSRC2:TGID_Z_EN: 0
; COMPUTE_PGM_RSRC2:TIDIG_COMP_CNT: 0
	.section	.text._ZN7rocprim17ROCPRIM_400000_NS6detail17trampoline_kernelINS0_13select_configILj256ELj13ELNS0_17block_load_methodE3ELS4_3ELS4_3ELNS0_20block_scan_algorithmE0ELj4294967295EEENS1_25partition_config_selectorILNS1_17partition_subalgoE3EjNS0_10empty_typeEbEEZZNS1_14partition_implILS8_3ELb0ES6_jNS0_17counting_iteratorIjlEEPS9_SE_NS0_5tupleIJPjSE_EEENSF_IJSE_SE_EEES9_SG_JZNS1_25segmented_radix_sort_implINS0_14default_configELb1EPKsPsPKlPlN2at6native12_GLOBAL__N_18offset_tEEE10hipError_tPvRmT1_PNSt15iterator_traitsISY_E10value_typeET2_T3_PNSZ_IS14_E10value_typeET4_jRbjT5_S1A_jjP12ihipStream_tbEUljE_EEESV_SW_SX_S14_S18_S1A_T6_T7_T9_mT8_S1C_bDpT10_ENKUlT_T0_E_clISt17integral_constantIbLb1EES1P_EEDaS1K_S1L_EUlS1K_E_NS1_11comp_targetILNS1_3genE3ELNS1_11target_archE908ELNS1_3gpuE7ELNS1_3repE0EEENS1_30default_config_static_selectorELNS0_4arch9wavefront6targetE0EEEvSY_,"axG",@progbits,_ZN7rocprim17ROCPRIM_400000_NS6detail17trampoline_kernelINS0_13select_configILj256ELj13ELNS0_17block_load_methodE3ELS4_3ELS4_3ELNS0_20block_scan_algorithmE0ELj4294967295EEENS1_25partition_config_selectorILNS1_17partition_subalgoE3EjNS0_10empty_typeEbEEZZNS1_14partition_implILS8_3ELb0ES6_jNS0_17counting_iteratorIjlEEPS9_SE_NS0_5tupleIJPjSE_EEENSF_IJSE_SE_EEES9_SG_JZNS1_25segmented_radix_sort_implINS0_14default_configELb1EPKsPsPKlPlN2at6native12_GLOBAL__N_18offset_tEEE10hipError_tPvRmT1_PNSt15iterator_traitsISY_E10value_typeET2_T3_PNSZ_IS14_E10value_typeET4_jRbjT5_S1A_jjP12ihipStream_tbEUljE_EEESV_SW_SX_S14_S18_S1A_T6_T7_T9_mT8_S1C_bDpT10_ENKUlT_T0_E_clISt17integral_constantIbLb1EES1P_EEDaS1K_S1L_EUlS1K_E_NS1_11comp_targetILNS1_3genE3ELNS1_11target_archE908ELNS1_3gpuE7ELNS1_3repE0EEENS1_30default_config_static_selectorELNS0_4arch9wavefront6targetE0EEEvSY_,comdat
	.globl	_ZN7rocprim17ROCPRIM_400000_NS6detail17trampoline_kernelINS0_13select_configILj256ELj13ELNS0_17block_load_methodE3ELS4_3ELS4_3ELNS0_20block_scan_algorithmE0ELj4294967295EEENS1_25partition_config_selectorILNS1_17partition_subalgoE3EjNS0_10empty_typeEbEEZZNS1_14partition_implILS8_3ELb0ES6_jNS0_17counting_iteratorIjlEEPS9_SE_NS0_5tupleIJPjSE_EEENSF_IJSE_SE_EEES9_SG_JZNS1_25segmented_radix_sort_implINS0_14default_configELb1EPKsPsPKlPlN2at6native12_GLOBAL__N_18offset_tEEE10hipError_tPvRmT1_PNSt15iterator_traitsISY_E10value_typeET2_T3_PNSZ_IS14_E10value_typeET4_jRbjT5_S1A_jjP12ihipStream_tbEUljE_EEESV_SW_SX_S14_S18_S1A_T6_T7_T9_mT8_S1C_bDpT10_ENKUlT_T0_E_clISt17integral_constantIbLb1EES1P_EEDaS1K_S1L_EUlS1K_E_NS1_11comp_targetILNS1_3genE3ELNS1_11target_archE908ELNS1_3gpuE7ELNS1_3repE0EEENS1_30default_config_static_selectorELNS0_4arch9wavefront6targetE0EEEvSY_ ; -- Begin function _ZN7rocprim17ROCPRIM_400000_NS6detail17trampoline_kernelINS0_13select_configILj256ELj13ELNS0_17block_load_methodE3ELS4_3ELS4_3ELNS0_20block_scan_algorithmE0ELj4294967295EEENS1_25partition_config_selectorILNS1_17partition_subalgoE3EjNS0_10empty_typeEbEEZZNS1_14partition_implILS8_3ELb0ES6_jNS0_17counting_iteratorIjlEEPS9_SE_NS0_5tupleIJPjSE_EEENSF_IJSE_SE_EEES9_SG_JZNS1_25segmented_radix_sort_implINS0_14default_configELb1EPKsPsPKlPlN2at6native12_GLOBAL__N_18offset_tEEE10hipError_tPvRmT1_PNSt15iterator_traitsISY_E10value_typeET2_T3_PNSZ_IS14_E10value_typeET4_jRbjT5_S1A_jjP12ihipStream_tbEUljE_EEESV_SW_SX_S14_S18_S1A_T6_T7_T9_mT8_S1C_bDpT10_ENKUlT_T0_E_clISt17integral_constantIbLb1EES1P_EEDaS1K_S1L_EUlS1K_E_NS1_11comp_targetILNS1_3genE3ELNS1_11target_archE908ELNS1_3gpuE7ELNS1_3repE0EEENS1_30default_config_static_selectorELNS0_4arch9wavefront6targetE0EEEvSY_
	.p2align	8
	.type	_ZN7rocprim17ROCPRIM_400000_NS6detail17trampoline_kernelINS0_13select_configILj256ELj13ELNS0_17block_load_methodE3ELS4_3ELS4_3ELNS0_20block_scan_algorithmE0ELj4294967295EEENS1_25partition_config_selectorILNS1_17partition_subalgoE3EjNS0_10empty_typeEbEEZZNS1_14partition_implILS8_3ELb0ES6_jNS0_17counting_iteratorIjlEEPS9_SE_NS0_5tupleIJPjSE_EEENSF_IJSE_SE_EEES9_SG_JZNS1_25segmented_radix_sort_implINS0_14default_configELb1EPKsPsPKlPlN2at6native12_GLOBAL__N_18offset_tEEE10hipError_tPvRmT1_PNSt15iterator_traitsISY_E10value_typeET2_T3_PNSZ_IS14_E10value_typeET4_jRbjT5_S1A_jjP12ihipStream_tbEUljE_EEESV_SW_SX_S14_S18_S1A_T6_T7_T9_mT8_S1C_bDpT10_ENKUlT_T0_E_clISt17integral_constantIbLb1EES1P_EEDaS1K_S1L_EUlS1K_E_NS1_11comp_targetILNS1_3genE3ELNS1_11target_archE908ELNS1_3gpuE7ELNS1_3repE0EEENS1_30default_config_static_selectorELNS0_4arch9wavefront6targetE0EEEvSY_,@function
_ZN7rocprim17ROCPRIM_400000_NS6detail17trampoline_kernelINS0_13select_configILj256ELj13ELNS0_17block_load_methodE3ELS4_3ELS4_3ELNS0_20block_scan_algorithmE0ELj4294967295EEENS1_25partition_config_selectorILNS1_17partition_subalgoE3EjNS0_10empty_typeEbEEZZNS1_14partition_implILS8_3ELb0ES6_jNS0_17counting_iteratorIjlEEPS9_SE_NS0_5tupleIJPjSE_EEENSF_IJSE_SE_EEES9_SG_JZNS1_25segmented_radix_sort_implINS0_14default_configELb1EPKsPsPKlPlN2at6native12_GLOBAL__N_18offset_tEEE10hipError_tPvRmT1_PNSt15iterator_traitsISY_E10value_typeET2_T3_PNSZ_IS14_E10value_typeET4_jRbjT5_S1A_jjP12ihipStream_tbEUljE_EEESV_SW_SX_S14_S18_S1A_T6_T7_T9_mT8_S1C_bDpT10_ENKUlT_T0_E_clISt17integral_constantIbLb1EES1P_EEDaS1K_S1L_EUlS1K_E_NS1_11comp_targetILNS1_3genE3ELNS1_11target_archE908ELNS1_3gpuE7ELNS1_3repE0EEENS1_30default_config_static_selectorELNS0_4arch9wavefront6targetE0EEEvSY_: ; @_ZN7rocprim17ROCPRIM_400000_NS6detail17trampoline_kernelINS0_13select_configILj256ELj13ELNS0_17block_load_methodE3ELS4_3ELS4_3ELNS0_20block_scan_algorithmE0ELj4294967295EEENS1_25partition_config_selectorILNS1_17partition_subalgoE3EjNS0_10empty_typeEbEEZZNS1_14partition_implILS8_3ELb0ES6_jNS0_17counting_iteratorIjlEEPS9_SE_NS0_5tupleIJPjSE_EEENSF_IJSE_SE_EEES9_SG_JZNS1_25segmented_radix_sort_implINS0_14default_configELb1EPKsPsPKlPlN2at6native12_GLOBAL__N_18offset_tEEE10hipError_tPvRmT1_PNSt15iterator_traitsISY_E10value_typeET2_T3_PNSZ_IS14_E10value_typeET4_jRbjT5_S1A_jjP12ihipStream_tbEUljE_EEESV_SW_SX_S14_S18_S1A_T6_T7_T9_mT8_S1C_bDpT10_ENKUlT_T0_E_clISt17integral_constantIbLb1EES1P_EEDaS1K_S1L_EUlS1K_E_NS1_11comp_targetILNS1_3genE3ELNS1_11target_archE908ELNS1_3gpuE7ELNS1_3repE0EEENS1_30default_config_static_selectorELNS0_4arch9wavefront6targetE0EEEvSY_
; %bb.0:
	.section	.rodata,"a",@progbits
	.p2align	6, 0x0
	.amdhsa_kernel _ZN7rocprim17ROCPRIM_400000_NS6detail17trampoline_kernelINS0_13select_configILj256ELj13ELNS0_17block_load_methodE3ELS4_3ELS4_3ELNS0_20block_scan_algorithmE0ELj4294967295EEENS1_25partition_config_selectorILNS1_17partition_subalgoE3EjNS0_10empty_typeEbEEZZNS1_14partition_implILS8_3ELb0ES6_jNS0_17counting_iteratorIjlEEPS9_SE_NS0_5tupleIJPjSE_EEENSF_IJSE_SE_EEES9_SG_JZNS1_25segmented_radix_sort_implINS0_14default_configELb1EPKsPsPKlPlN2at6native12_GLOBAL__N_18offset_tEEE10hipError_tPvRmT1_PNSt15iterator_traitsISY_E10value_typeET2_T3_PNSZ_IS14_E10value_typeET4_jRbjT5_S1A_jjP12ihipStream_tbEUljE_EEESV_SW_SX_S14_S18_S1A_T6_T7_T9_mT8_S1C_bDpT10_ENKUlT_T0_E_clISt17integral_constantIbLb1EES1P_EEDaS1K_S1L_EUlS1K_E_NS1_11comp_targetILNS1_3genE3ELNS1_11target_archE908ELNS1_3gpuE7ELNS1_3repE0EEENS1_30default_config_static_selectorELNS0_4arch9wavefront6targetE0EEEvSY_
		.amdhsa_group_segment_fixed_size 0
		.amdhsa_private_segment_fixed_size 0
		.amdhsa_kernarg_size 152
		.amdhsa_user_sgpr_count 15
		.amdhsa_user_sgpr_dispatch_ptr 0
		.amdhsa_user_sgpr_queue_ptr 0
		.amdhsa_user_sgpr_kernarg_segment_ptr 1
		.amdhsa_user_sgpr_dispatch_id 0
		.amdhsa_user_sgpr_private_segment_size 0
		.amdhsa_wavefront_size32 1
		.amdhsa_uses_dynamic_stack 0
		.amdhsa_enable_private_segment 0
		.amdhsa_system_sgpr_workgroup_id_x 1
		.amdhsa_system_sgpr_workgroup_id_y 0
		.amdhsa_system_sgpr_workgroup_id_z 0
		.amdhsa_system_sgpr_workgroup_info 0
		.amdhsa_system_vgpr_workitem_id 0
		.amdhsa_next_free_vgpr 1
		.amdhsa_next_free_sgpr 1
		.amdhsa_reserve_vcc 0
		.amdhsa_float_round_mode_32 0
		.amdhsa_float_round_mode_16_64 0
		.amdhsa_float_denorm_mode_32 3
		.amdhsa_float_denorm_mode_16_64 3
		.amdhsa_dx10_clamp 1
		.amdhsa_ieee_mode 1
		.amdhsa_fp16_overflow 0
		.amdhsa_workgroup_processor_mode 1
		.amdhsa_memory_ordered 1
		.amdhsa_forward_progress 0
		.amdhsa_shared_vgpr_count 0
		.amdhsa_exception_fp_ieee_invalid_op 0
		.amdhsa_exception_fp_denorm_src 0
		.amdhsa_exception_fp_ieee_div_zero 0
		.amdhsa_exception_fp_ieee_overflow 0
		.amdhsa_exception_fp_ieee_underflow 0
		.amdhsa_exception_fp_ieee_inexact 0
		.amdhsa_exception_int_div_zero 0
	.end_amdhsa_kernel
	.section	.text._ZN7rocprim17ROCPRIM_400000_NS6detail17trampoline_kernelINS0_13select_configILj256ELj13ELNS0_17block_load_methodE3ELS4_3ELS4_3ELNS0_20block_scan_algorithmE0ELj4294967295EEENS1_25partition_config_selectorILNS1_17partition_subalgoE3EjNS0_10empty_typeEbEEZZNS1_14partition_implILS8_3ELb0ES6_jNS0_17counting_iteratorIjlEEPS9_SE_NS0_5tupleIJPjSE_EEENSF_IJSE_SE_EEES9_SG_JZNS1_25segmented_radix_sort_implINS0_14default_configELb1EPKsPsPKlPlN2at6native12_GLOBAL__N_18offset_tEEE10hipError_tPvRmT1_PNSt15iterator_traitsISY_E10value_typeET2_T3_PNSZ_IS14_E10value_typeET4_jRbjT5_S1A_jjP12ihipStream_tbEUljE_EEESV_SW_SX_S14_S18_S1A_T6_T7_T9_mT8_S1C_bDpT10_ENKUlT_T0_E_clISt17integral_constantIbLb1EES1P_EEDaS1K_S1L_EUlS1K_E_NS1_11comp_targetILNS1_3genE3ELNS1_11target_archE908ELNS1_3gpuE7ELNS1_3repE0EEENS1_30default_config_static_selectorELNS0_4arch9wavefront6targetE0EEEvSY_,"axG",@progbits,_ZN7rocprim17ROCPRIM_400000_NS6detail17trampoline_kernelINS0_13select_configILj256ELj13ELNS0_17block_load_methodE3ELS4_3ELS4_3ELNS0_20block_scan_algorithmE0ELj4294967295EEENS1_25partition_config_selectorILNS1_17partition_subalgoE3EjNS0_10empty_typeEbEEZZNS1_14partition_implILS8_3ELb0ES6_jNS0_17counting_iteratorIjlEEPS9_SE_NS0_5tupleIJPjSE_EEENSF_IJSE_SE_EEES9_SG_JZNS1_25segmented_radix_sort_implINS0_14default_configELb1EPKsPsPKlPlN2at6native12_GLOBAL__N_18offset_tEEE10hipError_tPvRmT1_PNSt15iterator_traitsISY_E10value_typeET2_T3_PNSZ_IS14_E10value_typeET4_jRbjT5_S1A_jjP12ihipStream_tbEUljE_EEESV_SW_SX_S14_S18_S1A_T6_T7_T9_mT8_S1C_bDpT10_ENKUlT_T0_E_clISt17integral_constantIbLb1EES1P_EEDaS1K_S1L_EUlS1K_E_NS1_11comp_targetILNS1_3genE3ELNS1_11target_archE908ELNS1_3gpuE7ELNS1_3repE0EEENS1_30default_config_static_selectorELNS0_4arch9wavefront6targetE0EEEvSY_,comdat
.Lfunc_end890:
	.size	_ZN7rocprim17ROCPRIM_400000_NS6detail17trampoline_kernelINS0_13select_configILj256ELj13ELNS0_17block_load_methodE3ELS4_3ELS4_3ELNS0_20block_scan_algorithmE0ELj4294967295EEENS1_25partition_config_selectorILNS1_17partition_subalgoE3EjNS0_10empty_typeEbEEZZNS1_14partition_implILS8_3ELb0ES6_jNS0_17counting_iteratorIjlEEPS9_SE_NS0_5tupleIJPjSE_EEENSF_IJSE_SE_EEES9_SG_JZNS1_25segmented_radix_sort_implINS0_14default_configELb1EPKsPsPKlPlN2at6native12_GLOBAL__N_18offset_tEEE10hipError_tPvRmT1_PNSt15iterator_traitsISY_E10value_typeET2_T3_PNSZ_IS14_E10value_typeET4_jRbjT5_S1A_jjP12ihipStream_tbEUljE_EEESV_SW_SX_S14_S18_S1A_T6_T7_T9_mT8_S1C_bDpT10_ENKUlT_T0_E_clISt17integral_constantIbLb1EES1P_EEDaS1K_S1L_EUlS1K_E_NS1_11comp_targetILNS1_3genE3ELNS1_11target_archE908ELNS1_3gpuE7ELNS1_3repE0EEENS1_30default_config_static_selectorELNS0_4arch9wavefront6targetE0EEEvSY_, .Lfunc_end890-_ZN7rocprim17ROCPRIM_400000_NS6detail17trampoline_kernelINS0_13select_configILj256ELj13ELNS0_17block_load_methodE3ELS4_3ELS4_3ELNS0_20block_scan_algorithmE0ELj4294967295EEENS1_25partition_config_selectorILNS1_17partition_subalgoE3EjNS0_10empty_typeEbEEZZNS1_14partition_implILS8_3ELb0ES6_jNS0_17counting_iteratorIjlEEPS9_SE_NS0_5tupleIJPjSE_EEENSF_IJSE_SE_EEES9_SG_JZNS1_25segmented_radix_sort_implINS0_14default_configELb1EPKsPsPKlPlN2at6native12_GLOBAL__N_18offset_tEEE10hipError_tPvRmT1_PNSt15iterator_traitsISY_E10value_typeET2_T3_PNSZ_IS14_E10value_typeET4_jRbjT5_S1A_jjP12ihipStream_tbEUljE_EEESV_SW_SX_S14_S18_S1A_T6_T7_T9_mT8_S1C_bDpT10_ENKUlT_T0_E_clISt17integral_constantIbLb1EES1P_EEDaS1K_S1L_EUlS1K_E_NS1_11comp_targetILNS1_3genE3ELNS1_11target_archE908ELNS1_3gpuE7ELNS1_3repE0EEENS1_30default_config_static_selectorELNS0_4arch9wavefront6targetE0EEEvSY_
                                        ; -- End function
	.section	.AMDGPU.csdata,"",@progbits
; Kernel info:
; codeLenInByte = 0
; NumSgprs: 0
; NumVgprs: 0
; ScratchSize: 0
; MemoryBound: 0
; FloatMode: 240
; IeeeMode: 1
; LDSByteSize: 0 bytes/workgroup (compile time only)
; SGPRBlocks: 0
; VGPRBlocks: 0
; NumSGPRsForWavesPerEU: 1
; NumVGPRsForWavesPerEU: 1
; Occupancy: 16
; WaveLimiterHint : 0
; COMPUTE_PGM_RSRC2:SCRATCH_EN: 0
; COMPUTE_PGM_RSRC2:USER_SGPR: 15
; COMPUTE_PGM_RSRC2:TRAP_HANDLER: 0
; COMPUTE_PGM_RSRC2:TGID_X_EN: 1
; COMPUTE_PGM_RSRC2:TGID_Y_EN: 0
; COMPUTE_PGM_RSRC2:TGID_Z_EN: 0
; COMPUTE_PGM_RSRC2:TIDIG_COMP_CNT: 0
	.section	.text._ZN7rocprim17ROCPRIM_400000_NS6detail17trampoline_kernelINS0_13select_configILj256ELj13ELNS0_17block_load_methodE3ELS4_3ELS4_3ELNS0_20block_scan_algorithmE0ELj4294967295EEENS1_25partition_config_selectorILNS1_17partition_subalgoE3EjNS0_10empty_typeEbEEZZNS1_14partition_implILS8_3ELb0ES6_jNS0_17counting_iteratorIjlEEPS9_SE_NS0_5tupleIJPjSE_EEENSF_IJSE_SE_EEES9_SG_JZNS1_25segmented_radix_sort_implINS0_14default_configELb1EPKsPsPKlPlN2at6native12_GLOBAL__N_18offset_tEEE10hipError_tPvRmT1_PNSt15iterator_traitsISY_E10value_typeET2_T3_PNSZ_IS14_E10value_typeET4_jRbjT5_S1A_jjP12ihipStream_tbEUljE_EEESV_SW_SX_S14_S18_S1A_T6_T7_T9_mT8_S1C_bDpT10_ENKUlT_T0_E_clISt17integral_constantIbLb1EES1P_EEDaS1K_S1L_EUlS1K_E_NS1_11comp_targetILNS1_3genE2ELNS1_11target_archE906ELNS1_3gpuE6ELNS1_3repE0EEENS1_30default_config_static_selectorELNS0_4arch9wavefront6targetE0EEEvSY_,"axG",@progbits,_ZN7rocprim17ROCPRIM_400000_NS6detail17trampoline_kernelINS0_13select_configILj256ELj13ELNS0_17block_load_methodE3ELS4_3ELS4_3ELNS0_20block_scan_algorithmE0ELj4294967295EEENS1_25partition_config_selectorILNS1_17partition_subalgoE3EjNS0_10empty_typeEbEEZZNS1_14partition_implILS8_3ELb0ES6_jNS0_17counting_iteratorIjlEEPS9_SE_NS0_5tupleIJPjSE_EEENSF_IJSE_SE_EEES9_SG_JZNS1_25segmented_radix_sort_implINS0_14default_configELb1EPKsPsPKlPlN2at6native12_GLOBAL__N_18offset_tEEE10hipError_tPvRmT1_PNSt15iterator_traitsISY_E10value_typeET2_T3_PNSZ_IS14_E10value_typeET4_jRbjT5_S1A_jjP12ihipStream_tbEUljE_EEESV_SW_SX_S14_S18_S1A_T6_T7_T9_mT8_S1C_bDpT10_ENKUlT_T0_E_clISt17integral_constantIbLb1EES1P_EEDaS1K_S1L_EUlS1K_E_NS1_11comp_targetILNS1_3genE2ELNS1_11target_archE906ELNS1_3gpuE6ELNS1_3repE0EEENS1_30default_config_static_selectorELNS0_4arch9wavefront6targetE0EEEvSY_,comdat
	.globl	_ZN7rocprim17ROCPRIM_400000_NS6detail17trampoline_kernelINS0_13select_configILj256ELj13ELNS0_17block_load_methodE3ELS4_3ELS4_3ELNS0_20block_scan_algorithmE0ELj4294967295EEENS1_25partition_config_selectorILNS1_17partition_subalgoE3EjNS0_10empty_typeEbEEZZNS1_14partition_implILS8_3ELb0ES6_jNS0_17counting_iteratorIjlEEPS9_SE_NS0_5tupleIJPjSE_EEENSF_IJSE_SE_EEES9_SG_JZNS1_25segmented_radix_sort_implINS0_14default_configELb1EPKsPsPKlPlN2at6native12_GLOBAL__N_18offset_tEEE10hipError_tPvRmT1_PNSt15iterator_traitsISY_E10value_typeET2_T3_PNSZ_IS14_E10value_typeET4_jRbjT5_S1A_jjP12ihipStream_tbEUljE_EEESV_SW_SX_S14_S18_S1A_T6_T7_T9_mT8_S1C_bDpT10_ENKUlT_T0_E_clISt17integral_constantIbLb1EES1P_EEDaS1K_S1L_EUlS1K_E_NS1_11comp_targetILNS1_3genE2ELNS1_11target_archE906ELNS1_3gpuE6ELNS1_3repE0EEENS1_30default_config_static_selectorELNS0_4arch9wavefront6targetE0EEEvSY_ ; -- Begin function _ZN7rocprim17ROCPRIM_400000_NS6detail17trampoline_kernelINS0_13select_configILj256ELj13ELNS0_17block_load_methodE3ELS4_3ELS4_3ELNS0_20block_scan_algorithmE0ELj4294967295EEENS1_25partition_config_selectorILNS1_17partition_subalgoE3EjNS0_10empty_typeEbEEZZNS1_14partition_implILS8_3ELb0ES6_jNS0_17counting_iteratorIjlEEPS9_SE_NS0_5tupleIJPjSE_EEENSF_IJSE_SE_EEES9_SG_JZNS1_25segmented_radix_sort_implINS0_14default_configELb1EPKsPsPKlPlN2at6native12_GLOBAL__N_18offset_tEEE10hipError_tPvRmT1_PNSt15iterator_traitsISY_E10value_typeET2_T3_PNSZ_IS14_E10value_typeET4_jRbjT5_S1A_jjP12ihipStream_tbEUljE_EEESV_SW_SX_S14_S18_S1A_T6_T7_T9_mT8_S1C_bDpT10_ENKUlT_T0_E_clISt17integral_constantIbLb1EES1P_EEDaS1K_S1L_EUlS1K_E_NS1_11comp_targetILNS1_3genE2ELNS1_11target_archE906ELNS1_3gpuE6ELNS1_3repE0EEENS1_30default_config_static_selectorELNS0_4arch9wavefront6targetE0EEEvSY_
	.p2align	8
	.type	_ZN7rocprim17ROCPRIM_400000_NS6detail17trampoline_kernelINS0_13select_configILj256ELj13ELNS0_17block_load_methodE3ELS4_3ELS4_3ELNS0_20block_scan_algorithmE0ELj4294967295EEENS1_25partition_config_selectorILNS1_17partition_subalgoE3EjNS0_10empty_typeEbEEZZNS1_14partition_implILS8_3ELb0ES6_jNS0_17counting_iteratorIjlEEPS9_SE_NS0_5tupleIJPjSE_EEENSF_IJSE_SE_EEES9_SG_JZNS1_25segmented_radix_sort_implINS0_14default_configELb1EPKsPsPKlPlN2at6native12_GLOBAL__N_18offset_tEEE10hipError_tPvRmT1_PNSt15iterator_traitsISY_E10value_typeET2_T3_PNSZ_IS14_E10value_typeET4_jRbjT5_S1A_jjP12ihipStream_tbEUljE_EEESV_SW_SX_S14_S18_S1A_T6_T7_T9_mT8_S1C_bDpT10_ENKUlT_T0_E_clISt17integral_constantIbLb1EES1P_EEDaS1K_S1L_EUlS1K_E_NS1_11comp_targetILNS1_3genE2ELNS1_11target_archE906ELNS1_3gpuE6ELNS1_3repE0EEENS1_30default_config_static_selectorELNS0_4arch9wavefront6targetE0EEEvSY_,@function
_ZN7rocprim17ROCPRIM_400000_NS6detail17trampoline_kernelINS0_13select_configILj256ELj13ELNS0_17block_load_methodE3ELS4_3ELS4_3ELNS0_20block_scan_algorithmE0ELj4294967295EEENS1_25partition_config_selectorILNS1_17partition_subalgoE3EjNS0_10empty_typeEbEEZZNS1_14partition_implILS8_3ELb0ES6_jNS0_17counting_iteratorIjlEEPS9_SE_NS0_5tupleIJPjSE_EEENSF_IJSE_SE_EEES9_SG_JZNS1_25segmented_radix_sort_implINS0_14default_configELb1EPKsPsPKlPlN2at6native12_GLOBAL__N_18offset_tEEE10hipError_tPvRmT1_PNSt15iterator_traitsISY_E10value_typeET2_T3_PNSZ_IS14_E10value_typeET4_jRbjT5_S1A_jjP12ihipStream_tbEUljE_EEESV_SW_SX_S14_S18_S1A_T6_T7_T9_mT8_S1C_bDpT10_ENKUlT_T0_E_clISt17integral_constantIbLb1EES1P_EEDaS1K_S1L_EUlS1K_E_NS1_11comp_targetILNS1_3genE2ELNS1_11target_archE906ELNS1_3gpuE6ELNS1_3repE0EEENS1_30default_config_static_selectorELNS0_4arch9wavefront6targetE0EEEvSY_: ; @_ZN7rocprim17ROCPRIM_400000_NS6detail17trampoline_kernelINS0_13select_configILj256ELj13ELNS0_17block_load_methodE3ELS4_3ELS4_3ELNS0_20block_scan_algorithmE0ELj4294967295EEENS1_25partition_config_selectorILNS1_17partition_subalgoE3EjNS0_10empty_typeEbEEZZNS1_14partition_implILS8_3ELb0ES6_jNS0_17counting_iteratorIjlEEPS9_SE_NS0_5tupleIJPjSE_EEENSF_IJSE_SE_EEES9_SG_JZNS1_25segmented_radix_sort_implINS0_14default_configELb1EPKsPsPKlPlN2at6native12_GLOBAL__N_18offset_tEEE10hipError_tPvRmT1_PNSt15iterator_traitsISY_E10value_typeET2_T3_PNSZ_IS14_E10value_typeET4_jRbjT5_S1A_jjP12ihipStream_tbEUljE_EEESV_SW_SX_S14_S18_S1A_T6_T7_T9_mT8_S1C_bDpT10_ENKUlT_T0_E_clISt17integral_constantIbLb1EES1P_EEDaS1K_S1L_EUlS1K_E_NS1_11comp_targetILNS1_3genE2ELNS1_11target_archE906ELNS1_3gpuE6ELNS1_3repE0EEENS1_30default_config_static_selectorELNS0_4arch9wavefront6targetE0EEEvSY_
; %bb.0:
	.section	.rodata,"a",@progbits
	.p2align	6, 0x0
	.amdhsa_kernel _ZN7rocprim17ROCPRIM_400000_NS6detail17trampoline_kernelINS0_13select_configILj256ELj13ELNS0_17block_load_methodE3ELS4_3ELS4_3ELNS0_20block_scan_algorithmE0ELj4294967295EEENS1_25partition_config_selectorILNS1_17partition_subalgoE3EjNS0_10empty_typeEbEEZZNS1_14partition_implILS8_3ELb0ES6_jNS0_17counting_iteratorIjlEEPS9_SE_NS0_5tupleIJPjSE_EEENSF_IJSE_SE_EEES9_SG_JZNS1_25segmented_radix_sort_implINS0_14default_configELb1EPKsPsPKlPlN2at6native12_GLOBAL__N_18offset_tEEE10hipError_tPvRmT1_PNSt15iterator_traitsISY_E10value_typeET2_T3_PNSZ_IS14_E10value_typeET4_jRbjT5_S1A_jjP12ihipStream_tbEUljE_EEESV_SW_SX_S14_S18_S1A_T6_T7_T9_mT8_S1C_bDpT10_ENKUlT_T0_E_clISt17integral_constantIbLb1EES1P_EEDaS1K_S1L_EUlS1K_E_NS1_11comp_targetILNS1_3genE2ELNS1_11target_archE906ELNS1_3gpuE6ELNS1_3repE0EEENS1_30default_config_static_selectorELNS0_4arch9wavefront6targetE0EEEvSY_
		.amdhsa_group_segment_fixed_size 0
		.amdhsa_private_segment_fixed_size 0
		.amdhsa_kernarg_size 152
		.amdhsa_user_sgpr_count 15
		.amdhsa_user_sgpr_dispatch_ptr 0
		.amdhsa_user_sgpr_queue_ptr 0
		.amdhsa_user_sgpr_kernarg_segment_ptr 1
		.amdhsa_user_sgpr_dispatch_id 0
		.amdhsa_user_sgpr_private_segment_size 0
		.amdhsa_wavefront_size32 1
		.amdhsa_uses_dynamic_stack 0
		.amdhsa_enable_private_segment 0
		.amdhsa_system_sgpr_workgroup_id_x 1
		.amdhsa_system_sgpr_workgroup_id_y 0
		.amdhsa_system_sgpr_workgroup_id_z 0
		.amdhsa_system_sgpr_workgroup_info 0
		.amdhsa_system_vgpr_workitem_id 0
		.amdhsa_next_free_vgpr 1
		.amdhsa_next_free_sgpr 1
		.amdhsa_reserve_vcc 0
		.amdhsa_float_round_mode_32 0
		.amdhsa_float_round_mode_16_64 0
		.amdhsa_float_denorm_mode_32 3
		.amdhsa_float_denorm_mode_16_64 3
		.amdhsa_dx10_clamp 1
		.amdhsa_ieee_mode 1
		.amdhsa_fp16_overflow 0
		.amdhsa_workgroup_processor_mode 1
		.amdhsa_memory_ordered 1
		.amdhsa_forward_progress 0
		.amdhsa_shared_vgpr_count 0
		.amdhsa_exception_fp_ieee_invalid_op 0
		.amdhsa_exception_fp_denorm_src 0
		.amdhsa_exception_fp_ieee_div_zero 0
		.amdhsa_exception_fp_ieee_overflow 0
		.amdhsa_exception_fp_ieee_underflow 0
		.amdhsa_exception_fp_ieee_inexact 0
		.amdhsa_exception_int_div_zero 0
	.end_amdhsa_kernel
	.section	.text._ZN7rocprim17ROCPRIM_400000_NS6detail17trampoline_kernelINS0_13select_configILj256ELj13ELNS0_17block_load_methodE3ELS4_3ELS4_3ELNS0_20block_scan_algorithmE0ELj4294967295EEENS1_25partition_config_selectorILNS1_17partition_subalgoE3EjNS0_10empty_typeEbEEZZNS1_14partition_implILS8_3ELb0ES6_jNS0_17counting_iteratorIjlEEPS9_SE_NS0_5tupleIJPjSE_EEENSF_IJSE_SE_EEES9_SG_JZNS1_25segmented_radix_sort_implINS0_14default_configELb1EPKsPsPKlPlN2at6native12_GLOBAL__N_18offset_tEEE10hipError_tPvRmT1_PNSt15iterator_traitsISY_E10value_typeET2_T3_PNSZ_IS14_E10value_typeET4_jRbjT5_S1A_jjP12ihipStream_tbEUljE_EEESV_SW_SX_S14_S18_S1A_T6_T7_T9_mT8_S1C_bDpT10_ENKUlT_T0_E_clISt17integral_constantIbLb1EES1P_EEDaS1K_S1L_EUlS1K_E_NS1_11comp_targetILNS1_3genE2ELNS1_11target_archE906ELNS1_3gpuE6ELNS1_3repE0EEENS1_30default_config_static_selectorELNS0_4arch9wavefront6targetE0EEEvSY_,"axG",@progbits,_ZN7rocprim17ROCPRIM_400000_NS6detail17trampoline_kernelINS0_13select_configILj256ELj13ELNS0_17block_load_methodE3ELS4_3ELS4_3ELNS0_20block_scan_algorithmE0ELj4294967295EEENS1_25partition_config_selectorILNS1_17partition_subalgoE3EjNS0_10empty_typeEbEEZZNS1_14partition_implILS8_3ELb0ES6_jNS0_17counting_iteratorIjlEEPS9_SE_NS0_5tupleIJPjSE_EEENSF_IJSE_SE_EEES9_SG_JZNS1_25segmented_radix_sort_implINS0_14default_configELb1EPKsPsPKlPlN2at6native12_GLOBAL__N_18offset_tEEE10hipError_tPvRmT1_PNSt15iterator_traitsISY_E10value_typeET2_T3_PNSZ_IS14_E10value_typeET4_jRbjT5_S1A_jjP12ihipStream_tbEUljE_EEESV_SW_SX_S14_S18_S1A_T6_T7_T9_mT8_S1C_bDpT10_ENKUlT_T0_E_clISt17integral_constantIbLb1EES1P_EEDaS1K_S1L_EUlS1K_E_NS1_11comp_targetILNS1_3genE2ELNS1_11target_archE906ELNS1_3gpuE6ELNS1_3repE0EEENS1_30default_config_static_selectorELNS0_4arch9wavefront6targetE0EEEvSY_,comdat
.Lfunc_end891:
	.size	_ZN7rocprim17ROCPRIM_400000_NS6detail17trampoline_kernelINS0_13select_configILj256ELj13ELNS0_17block_load_methodE3ELS4_3ELS4_3ELNS0_20block_scan_algorithmE0ELj4294967295EEENS1_25partition_config_selectorILNS1_17partition_subalgoE3EjNS0_10empty_typeEbEEZZNS1_14partition_implILS8_3ELb0ES6_jNS0_17counting_iteratorIjlEEPS9_SE_NS0_5tupleIJPjSE_EEENSF_IJSE_SE_EEES9_SG_JZNS1_25segmented_radix_sort_implINS0_14default_configELb1EPKsPsPKlPlN2at6native12_GLOBAL__N_18offset_tEEE10hipError_tPvRmT1_PNSt15iterator_traitsISY_E10value_typeET2_T3_PNSZ_IS14_E10value_typeET4_jRbjT5_S1A_jjP12ihipStream_tbEUljE_EEESV_SW_SX_S14_S18_S1A_T6_T7_T9_mT8_S1C_bDpT10_ENKUlT_T0_E_clISt17integral_constantIbLb1EES1P_EEDaS1K_S1L_EUlS1K_E_NS1_11comp_targetILNS1_3genE2ELNS1_11target_archE906ELNS1_3gpuE6ELNS1_3repE0EEENS1_30default_config_static_selectorELNS0_4arch9wavefront6targetE0EEEvSY_, .Lfunc_end891-_ZN7rocprim17ROCPRIM_400000_NS6detail17trampoline_kernelINS0_13select_configILj256ELj13ELNS0_17block_load_methodE3ELS4_3ELS4_3ELNS0_20block_scan_algorithmE0ELj4294967295EEENS1_25partition_config_selectorILNS1_17partition_subalgoE3EjNS0_10empty_typeEbEEZZNS1_14partition_implILS8_3ELb0ES6_jNS0_17counting_iteratorIjlEEPS9_SE_NS0_5tupleIJPjSE_EEENSF_IJSE_SE_EEES9_SG_JZNS1_25segmented_radix_sort_implINS0_14default_configELb1EPKsPsPKlPlN2at6native12_GLOBAL__N_18offset_tEEE10hipError_tPvRmT1_PNSt15iterator_traitsISY_E10value_typeET2_T3_PNSZ_IS14_E10value_typeET4_jRbjT5_S1A_jjP12ihipStream_tbEUljE_EEESV_SW_SX_S14_S18_S1A_T6_T7_T9_mT8_S1C_bDpT10_ENKUlT_T0_E_clISt17integral_constantIbLb1EES1P_EEDaS1K_S1L_EUlS1K_E_NS1_11comp_targetILNS1_3genE2ELNS1_11target_archE906ELNS1_3gpuE6ELNS1_3repE0EEENS1_30default_config_static_selectorELNS0_4arch9wavefront6targetE0EEEvSY_
                                        ; -- End function
	.section	.AMDGPU.csdata,"",@progbits
; Kernel info:
; codeLenInByte = 0
; NumSgprs: 0
; NumVgprs: 0
; ScratchSize: 0
; MemoryBound: 0
; FloatMode: 240
; IeeeMode: 1
; LDSByteSize: 0 bytes/workgroup (compile time only)
; SGPRBlocks: 0
; VGPRBlocks: 0
; NumSGPRsForWavesPerEU: 1
; NumVGPRsForWavesPerEU: 1
; Occupancy: 16
; WaveLimiterHint : 0
; COMPUTE_PGM_RSRC2:SCRATCH_EN: 0
; COMPUTE_PGM_RSRC2:USER_SGPR: 15
; COMPUTE_PGM_RSRC2:TRAP_HANDLER: 0
; COMPUTE_PGM_RSRC2:TGID_X_EN: 1
; COMPUTE_PGM_RSRC2:TGID_Y_EN: 0
; COMPUTE_PGM_RSRC2:TGID_Z_EN: 0
; COMPUTE_PGM_RSRC2:TIDIG_COMP_CNT: 0
	.section	.text._ZN7rocprim17ROCPRIM_400000_NS6detail17trampoline_kernelINS0_13select_configILj256ELj13ELNS0_17block_load_methodE3ELS4_3ELS4_3ELNS0_20block_scan_algorithmE0ELj4294967295EEENS1_25partition_config_selectorILNS1_17partition_subalgoE3EjNS0_10empty_typeEbEEZZNS1_14partition_implILS8_3ELb0ES6_jNS0_17counting_iteratorIjlEEPS9_SE_NS0_5tupleIJPjSE_EEENSF_IJSE_SE_EEES9_SG_JZNS1_25segmented_radix_sort_implINS0_14default_configELb1EPKsPsPKlPlN2at6native12_GLOBAL__N_18offset_tEEE10hipError_tPvRmT1_PNSt15iterator_traitsISY_E10value_typeET2_T3_PNSZ_IS14_E10value_typeET4_jRbjT5_S1A_jjP12ihipStream_tbEUljE_EEESV_SW_SX_S14_S18_S1A_T6_T7_T9_mT8_S1C_bDpT10_ENKUlT_T0_E_clISt17integral_constantIbLb1EES1P_EEDaS1K_S1L_EUlS1K_E_NS1_11comp_targetILNS1_3genE10ELNS1_11target_archE1200ELNS1_3gpuE4ELNS1_3repE0EEENS1_30default_config_static_selectorELNS0_4arch9wavefront6targetE0EEEvSY_,"axG",@progbits,_ZN7rocprim17ROCPRIM_400000_NS6detail17trampoline_kernelINS0_13select_configILj256ELj13ELNS0_17block_load_methodE3ELS4_3ELS4_3ELNS0_20block_scan_algorithmE0ELj4294967295EEENS1_25partition_config_selectorILNS1_17partition_subalgoE3EjNS0_10empty_typeEbEEZZNS1_14partition_implILS8_3ELb0ES6_jNS0_17counting_iteratorIjlEEPS9_SE_NS0_5tupleIJPjSE_EEENSF_IJSE_SE_EEES9_SG_JZNS1_25segmented_radix_sort_implINS0_14default_configELb1EPKsPsPKlPlN2at6native12_GLOBAL__N_18offset_tEEE10hipError_tPvRmT1_PNSt15iterator_traitsISY_E10value_typeET2_T3_PNSZ_IS14_E10value_typeET4_jRbjT5_S1A_jjP12ihipStream_tbEUljE_EEESV_SW_SX_S14_S18_S1A_T6_T7_T9_mT8_S1C_bDpT10_ENKUlT_T0_E_clISt17integral_constantIbLb1EES1P_EEDaS1K_S1L_EUlS1K_E_NS1_11comp_targetILNS1_3genE10ELNS1_11target_archE1200ELNS1_3gpuE4ELNS1_3repE0EEENS1_30default_config_static_selectorELNS0_4arch9wavefront6targetE0EEEvSY_,comdat
	.globl	_ZN7rocprim17ROCPRIM_400000_NS6detail17trampoline_kernelINS0_13select_configILj256ELj13ELNS0_17block_load_methodE3ELS4_3ELS4_3ELNS0_20block_scan_algorithmE0ELj4294967295EEENS1_25partition_config_selectorILNS1_17partition_subalgoE3EjNS0_10empty_typeEbEEZZNS1_14partition_implILS8_3ELb0ES6_jNS0_17counting_iteratorIjlEEPS9_SE_NS0_5tupleIJPjSE_EEENSF_IJSE_SE_EEES9_SG_JZNS1_25segmented_radix_sort_implINS0_14default_configELb1EPKsPsPKlPlN2at6native12_GLOBAL__N_18offset_tEEE10hipError_tPvRmT1_PNSt15iterator_traitsISY_E10value_typeET2_T3_PNSZ_IS14_E10value_typeET4_jRbjT5_S1A_jjP12ihipStream_tbEUljE_EEESV_SW_SX_S14_S18_S1A_T6_T7_T9_mT8_S1C_bDpT10_ENKUlT_T0_E_clISt17integral_constantIbLb1EES1P_EEDaS1K_S1L_EUlS1K_E_NS1_11comp_targetILNS1_3genE10ELNS1_11target_archE1200ELNS1_3gpuE4ELNS1_3repE0EEENS1_30default_config_static_selectorELNS0_4arch9wavefront6targetE0EEEvSY_ ; -- Begin function _ZN7rocprim17ROCPRIM_400000_NS6detail17trampoline_kernelINS0_13select_configILj256ELj13ELNS0_17block_load_methodE3ELS4_3ELS4_3ELNS0_20block_scan_algorithmE0ELj4294967295EEENS1_25partition_config_selectorILNS1_17partition_subalgoE3EjNS0_10empty_typeEbEEZZNS1_14partition_implILS8_3ELb0ES6_jNS0_17counting_iteratorIjlEEPS9_SE_NS0_5tupleIJPjSE_EEENSF_IJSE_SE_EEES9_SG_JZNS1_25segmented_radix_sort_implINS0_14default_configELb1EPKsPsPKlPlN2at6native12_GLOBAL__N_18offset_tEEE10hipError_tPvRmT1_PNSt15iterator_traitsISY_E10value_typeET2_T3_PNSZ_IS14_E10value_typeET4_jRbjT5_S1A_jjP12ihipStream_tbEUljE_EEESV_SW_SX_S14_S18_S1A_T6_T7_T9_mT8_S1C_bDpT10_ENKUlT_T0_E_clISt17integral_constantIbLb1EES1P_EEDaS1K_S1L_EUlS1K_E_NS1_11comp_targetILNS1_3genE10ELNS1_11target_archE1200ELNS1_3gpuE4ELNS1_3repE0EEENS1_30default_config_static_selectorELNS0_4arch9wavefront6targetE0EEEvSY_
	.p2align	8
	.type	_ZN7rocprim17ROCPRIM_400000_NS6detail17trampoline_kernelINS0_13select_configILj256ELj13ELNS0_17block_load_methodE3ELS4_3ELS4_3ELNS0_20block_scan_algorithmE0ELj4294967295EEENS1_25partition_config_selectorILNS1_17partition_subalgoE3EjNS0_10empty_typeEbEEZZNS1_14partition_implILS8_3ELb0ES6_jNS0_17counting_iteratorIjlEEPS9_SE_NS0_5tupleIJPjSE_EEENSF_IJSE_SE_EEES9_SG_JZNS1_25segmented_radix_sort_implINS0_14default_configELb1EPKsPsPKlPlN2at6native12_GLOBAL__N_18offset_tEEE10hipError_tPvRmT1_PNSt15iterator_traitsISY_E10value_typeET2_T3_PNSZ_IS14_E10value_typeET4_jRbjT5_S1A_jjP12ihipStream_tbEUljE_EEESV_SW_SX_S14_S18_S1A_T6_T7_T9_mT8_S1C_bDpT10_ENKUlT_T0_E_clISt17integral_constantIbLb1EES1P_EEDaS1K_S1L_EUlS1K_E_NS1_11comp_targetILNS1_3genE10ELNS1_11target_archE1200ELNS1_3gpuE4ELNS1_3repE0EEENS1_30default_config_static_selectorELNS0_4arch9wavefront6targetE0EEEvSY_,@function
_ZN7rocprim17ROCPRIM_400000_NS6detail17trampoline_kernelINS0_13select_configILj256ELj13ELNS0_17block_load_methodE3ELS4_3ELS4_3ELNS0_20block_scan_algorithmE0ELj4294967295EEENS1_25partition_config_selectorILNS1_17partition_subalgoE3EjNS0_10empty_typeEbEEZZNS1_14partition_implILS8_3ELb0ES6_jNS0_17counting_iteratorIjlEEPS9_SE_NS0_5tupleIJPjSE_EEENSF_IJSE_SE_EEES9_SG_JZNS1_25segmented_radix_sort_implINS0_14default_configELb1EPKsPsPKlPlN2at6native12_GLOBAL__N_18offset_tEEE10hipError_tPvRmT1_PNSt15iterator_traitsISY_E10value_typeET2_T3_PNSZ_IS14_E10value_typeET4_jRbjT5_S1A_jjP12ihipStream_tbEUljE_EEESV_SW_SX_S14_S18_S1A_T6_T7_T9_mT8_S1C_bDpT10_ENKUlT_T0_E_clISt17integral_constantIbLb1EES1P_EEDaS1K_S1L_EUlS1K_E_NS1_11comp_targetILNS1_3genE10ELNS1_11target_archE1200ELNS1_3gpuE4ELNS1_3repE0EEENS1_30default_config_static_selectorELNS0_4arch9wavefront6targetE0EEEvSY_: ; @_ZN7rocprim17ROCPRIM_400000_NS6detail17trampoline_kernelINS0_13select_configILj256ELj13ELNS0_17block_load_methodE3ELS4_3ELS4_3ELNS0_20block_scan_algorithmE0ELj4294967295EEENS1_25partition_config_selectorILNS1_17partition_subalgoE3EjNS0_10empty_typeEbEEZZNS1_14partition_implILS8_3ELb0ES6_jNS0_17counting_iteratorIjlEEPS9_SE_NS0_5tupleIJPjSE_EEENSF_IJSE_SE_EEES9_SG_JZNS1_25segmented_radix_sort_implINS0_14default_configELb1EPKsPsPKlPlN2at6native12_GLOBAL__N_18offset_tEEE10hipError_tPvRmT1_PNSt15iterator_traitsISY_E10value_typeET2_T3_PNSZ_IS14_E10value_typeET4_jRbjT5_S1A_jjP12ihipStream_tbEUljE_EEESV_SW_SX_S14_S18_S1A_T6_T7_T9_mT8_S1C_bDpT10_ENKUlT_T0_E_clISt17integral_constantIbLb1EES1P_EEDaS1K_S1L_EUlS1K_E_NS1_11comp_targetILNS1_3genE10ELNS1_11target_archE1200ELNS1_3gpuE4ELNS1_3repE0EEENS1_30default_config_static_selectorELNS0_4arch9wavefront6targetE0EEEvSY_
; %bb.0:
	.section	.rodata,"a",@progbits
	.p2align	6, 0x0
	.amdhsa_kernel _ZN7rocprim17ROCPRIM_400000_NS6detail17trampoline_kernelINS0_13select_configILj256ELj13ELNS0_17block_load_methodE3ELS4_3ELS4_3ELNS0_20block_scan_algorithmE0ELj4294967295EEENS1_25partition_config_selectorILNS1_17partition_subalgoE3EjNS0_10empty_typeEbEEZZNS1_14partition_implILS8_3ELb0ES6_jNS0_17counting_iteratorIjlEEPS9_SE_NS0_5tupleIJPjSE_EEENSF_IJSE_SE_EEES9_SG_JZNS1_25segmented_radix_sort_implINS0_14default_configELb1EPKsPsPKlPlN2at6native12_GLOBAL__N_18offset_tEEE10hipError_tPvRmT1_PNSt15iterator_traitsISY_E10value_typeET2_T3_PNSZ_IS14_E10value_typeET4_jRbjT5_S1A_jjP12ihipStream_tbEUljE_EEESV_SW_SX_S14_S18_S1A_T6_T7_T9_mT8_S1C_bDpT10_ENKUlT_T0_E_clISt17integral_constantIbLb1EES1P_EEDaS1K_S1L_EUlS1K_E_NS1_11comp_targetILNS1_3genE10ELNS1_11target_archE1200ELNS1_3gpuE4ELNS1_3repE0EEENS1_30default_config_static_selectorELNS0_4arch9wavefront6targetE0EEEvSY_
		.amdhsa_group_segment_fixed_size 0
		.amdhsa_private_segment_fixed_size 0
		.amdhsa_kernarg_size 152
		.amdhsa_user_sgpr_count 15
		.amdhsa_user_sgpr_dispatch_ptr 0
		.amdhsa_user_sgpr_queue_ptr 0
		.amdhsa_user_sgpr_kernarg_segment_ptr 1
		.amdhsa_user_sgpr_dispatch_id 0
		.amdhsa_user_sgpr_private_segment_size 0
		.amdhsa_wavefront_size32 1
		.amdhsa_uses_dynamic_stack 0
		.amdhsa_enable_private_segment 0
		.amdhsa_system_sgpr_workgroup_id_x 1
		.amdhsa_system_sgpr_workgroup_id_y 0
		.amdhsa_system_sgpr_workgroup_id_z 0
		.amdhsa_system_sgpr_workgroup_info 0
		.amdhsa_system_vgpr_workitem_id 0
		.amdhsa_next_free_vgpr 1
		.amdhsa_next_free_sgpr 1
		.amdhsa_reserve_vcc 0
		.amdhsa_float_round_mode_32 0
		.amdhsa_float_round_mode_16_64 0
		.amdhsa_float_denorm_mode_32 3
		.amdhsa_float_denorm_mode_16_64 3
		.amdhsa_dx10_clamp 1
		.amdhsa_ieee_mode 1
		.amdhsa_fp16_overflow 0
		.amdhsa_workgroup_processor_mode 1
		.amdhsa_memory_ordered 1
		.amdhsa_forward_progress 0
		.amdhsa_shared_vgpr_count 0
		.amdhsa_exception_fp_ieee_invalid_op 0
		.amdhsa_exception_fp_denorm_src 0
		.amdhsa_exception_fp_ieee_div_zero 0
		.amdhsa_exception_fp_ieee_overflow 0
		.amdhsa_exception_fp_ieee_underflow 0
		.amdhsa_exception_fp_ieee_inexact 0
		.amdhsa_exception_int_div_zero 0
	.end_amdhsa_kernel
	.section	.text._ZN7rocprim17ROCPRIM_400000_NS6detail17trampoline_kernelINS0_13select_configILj256ELj13ELNS0_17block_load_methodE3ELS4_3ELS4_3ELNS0_20block_scan_algorithmE0ELj4294967295EEENS1_25partition_config_selectorILNS1_17partition_subalgoE3EjNS0_10empty_typeEbEEZZNS1_14partition_implILS8_3ELb0ES6_jNS0_17counting_iteratorIjlEEPS9_SE_NS0_5tupleIJPjSE_EEENSF_IJSE_SE_EEES9_SG_JZNS1_25segmented_radix_sort_implINS0_14default_configELb1EPKsPsPKlPlN2at6native12_GLOBAL__N_18offset_tEEE10hipError_tPvRmT1_PNSt15iterator_traitsISY_E10value_typeET2_T3_PNSZ_IS14_E10value_typeET4_jRbjT5_S1A_jjP12ihipStream_tbEUljE_EEESV_SW_SX_S14_S18_S1A_T6_T7_T9_mT8_S1C_bDpT10_ENKUlT_T0_E_clISt17integral_constantIbLb1EES1P_EEDaS1K_S1L_EUlS1K_E_NS1_11comp_targetILNS1_3genE10ELNS1_11target_archE1200ELNS1_3gpuE4ELNS1_3repE0EEENS1_30default_config_static_selectorELNS0_4arch9wavefront6targetE0EEEvSY_,"axG",@progbits,_ZN7rocprim17ROCPRIM_400000_NS6detail17trampoline_kernelINS0_13select_configILj256ELj13ELNS0_17block_load_methodE3ELS4_3ELS4_3ELNS0_20block_scan_algorithmE0ELj4294967295EEENS1_25partition_config_selectorILNS1_17partition_subalgoE3EjNS0_10empty_typeEbEEZZNS1_14partition_implILS8_3ELb0ES6_jNS0_17counting_iteratorIjlEEPS9_SE_NS0_5tupleIJPjSE_EEENSF_IJSE_SE_EEES9_SG_JZNS1_25segmented_radix_sort_implINS0_14default_configELb1EPKsPsPKlPlN2at6native12_GLOBAL__N_18offset_tEEE10hipError_tPvRmT1_PNSt15iterator_traitsISY_E10value_typeET2_T3_PNSZ_IS14_E10value_typeET4_jRbjT5_S1A_jjP12ihipStream_tbEUljE_EEESV_SW_SX_S14_S18_S1A_T6_T7_T9_mT8_S1C_bDpT10_ENKUlT_T0_E_clISt17integral_constantIbLb1EES1P_EEDaS1K_S1L_EUlS1K_E_NS1_11comp_targetILNS1_3genE10ELNS1_11target_archE1200ELNS1_3gpuE4ELNS1_3repE0EEENS1_30default_config_static_selectorELNS0_4arch9wavefront6targetE0EEEvSY_,comdat
.Lfunc_end892:
	.size	_ZN7rocprim17ROCPRIM_400000_NS6detail17trampoline_kernelINS0_13select_configILj256ELj13ELNS0_17block_load_methodE3ELS4_3ELS4_3ELNS0_20block_scan_algorithmE0ELj4294967295EEENS1_25partition_config_selectorILNS1_17partition_subalgoE3EjNS0_10empty_typeEbEEZZNS1_14partition_implILS8_3ELb0ES6_jNS0_17counting_iteratorIjlEEPS9_SE_NS0_5tupleIJPjSE_EEENSF_IJSE_SE_EEES9_SG_JZNS1_25segmented_radix_sort_implINS0_14default_configELb1EPKsPsPKlPlN2at6native12_GLOBAL__N_18offset_tEEE10hipError_tPvRmT1_PNSt15iterator_traitsISY_E10value_typeET2_T3_PNSZ_IS14_E10value_typeET4_jRbjT5_S1A_jjP12ihipStream_tbEUljE_EEESV_SW_SX_S14_S18_S1A_T6_T7_T9_mT8_S1C_bDpT10_ENKUlT_T0_E_clISt17integral_constantIbLb1EES1P_EEDaS1K_S1L_EUlS1K_E_NS1_11comp_targetILNS1_3genE10ELNS1_11target_archE1200ELNS1_3gpuE4ELNS1_3repE0EEENS1_30default_config_static_selectorELNS0_4arch9wavefront6targetE0EEEvSY_, .Lfunc_end892-_ZN7rocprim17ROCPRIM_400000_NS6detail17trampoline_kernelINS0_13select_configILj256ELj13ELNS0_17block_load_methodE3ELS4_3ELS4_3ELNS0_20block_scan_algorithmE0ELj4294967295EEENS1_25partition_config_selectorILNS1_17partition_subalgoE3EjNS0_10empty_typeEbEEZZNS1_14partition_implILS8_3ELb0ES6_jNS0_17counting_iteratorIjlEEPS9_SE_NS0_5tupleIJPjSE_EEENSF_IJSE_SE_EEES9_SG_JZNS1_25segmented_radix_sort_implINS0_14default_configELb1EPKsPsPKlPlN2at6native12_GLOBAL__N_18offset_tEEE10hipError_tPvRmT1_PNSt15iterator_traitsISY_E10value_typeET2_T3_PNSZ_IS14_E10value_typeET4_jRbjT5_S1A_jjP12ihipStream_tbEUljE_EEESV_SW_SX_S14_S18_S1A_T6_T7_T9_mT8_S1C_bDpT10_ENKUlT_T0_E_clISt17integral_constantIbLb1EES1P_EEDaS1K_S1L_EUlS1K_E_NS1_11comp_targetILNS1_3genE10ELNS1_11target_archE1200ELNS1_3gpuE4ELNS1_3repE0EEENS1_30default_config_static_selectorELNS0_4arch9wavefront6targetE0EEEvSY_
                                        ; -- End function
	.section	.AMDGPU.csdata,"",@progbits
; Kernel info:
; codeLenInByte = 0
; NumSgprs: 0
; NumVgprs: 0
; ScratchSize: 0
; MemoryBound: 0
; FloatMode: 240
; IeeeMode: 1
; LDSByteSize: 0 bytes/workgroup (compile time only)
; SGPRBlocks: 0
; VGPRBlocks: 0
; NumSGPRsForWavesPerEU: 1
; NumVGPRsForWavesPerEU: 1
; Occupancy: 16
; WaveLimiterHint : 0
; COMPUTE_PGM_RSRC2:SCRATCH_EN: 0
; COMPUTE_PGM_RSRC2:USER_SGPR: 15
; COMPUTE_PGM_RSRC2:TRAP_HANDLER: 0
; COMPUTE_PGM_RSRC2:TGID_X_EN: 1
; COMPUTE_PGM_RSRC2:TGID_Y_EN: 0
; COMPUTE_PGM_RSRC2:TGID_Z_EN: 0
; COMPUTE_PGM_RSRC2:TIDIG_COMP_CNT: 0
	.section	.text._ZN7rocprim17ROCPRIM_400000_NS6detail17trampoline_kernelINS0_13select_configILj256ELj13ELNS0_17block_load_methodE3ELS4_3ELS4_3ELNS0_20block_scan_algorithmE0ELj4294967295EEENS1_25partition_config_selectorILNS1_17partition_subalgoE3EjNS0_10empty_typeEbEEZZNS1_14partition_implILS8_3ELb0ES6_jNS0_17counting_iteratorIjlEEPS9_SE_NS0_5tupleIJPjSE_EEENSF_IJSE_SE_EEES9_SG_JZNS1_25segmented_radix_sort_implINS0_14default_configELb1EPKsPsPKlPlN2at6native12_GLOBAL__N_18offset_tEEE10hipError_tPvRmT1_PNSt15iterator_traitsISY_E10value_typeET2_T3_PNSZ_IS14_E10value_typeET4_jRbjT5_S1A_jjP12ihipStream_tbEUljE_EEESV_SW_SX_S14_S18_S1A_T6_T7_T9_mT8_S1C_bDpT10_ENKUlT_T0_E_clISt17integral_constantIbLb1EES1P_EEDaS1K_S1L_EUlS1K_E_NS1_11comp_targetILNS1_3genE9ELNS1_11target_archE1100ELNS1_3gpuE3ELNS1_3repE0EEENS1_30default_config_static_selectorELNS0_4arch9wavefront6targetE0EEEvSY_,"axG",@progbits,_ZN7rocprim17ROCPRIM_400000_NS6detail17trampoline_kernelINS0_13select_configILj256ELj13ELNS0_17block_load_methodE3ELS4_3ELS4_3ELNS0_20block_scan_algorithmE0ELj4294967295EEENS1_25partition_config_selectorILNS1_17partition_subalgoE3EjNS0_10empty_typeEbEEZZNS1_14partition_implILS8_3ELb0ES6_jNS0_17counting_iteratorIjlEEPS9_SE_NS0_5tupleIJPjSE_EEENSF_IJSE_SE_EEES9_SG_JZNS1_25segmented_radix_sort_implINS0_14default_configELb1EPKsPsPKlPlN2at6native12_GLOBAL__N_18offset_tEEE10hipError_tPvRmT1_PNSt15iterator_traitsISY_E10value_typeET2_T3_PNSZ_IS14_E10value_typeET4_jRbjT5_S1A_jjP12ihipStream_tbEUljE_EEESV_SW_SX_S14_S18_S1A_T6_T7_T9_mT8_S1C_bDpT10_ENKUlT_T0_E_clISt17integral_constantIbLb1EES1P_EEDaS1K_S1L_EUlS1K_E_NS1_11comp_targetILNS1_3genE9ELNS1_11target_archE1100ELNS1_3gpuE3ELNS1_3repE0EEENS1_30default_config_static_selectorELNS0_4arch9wavefront6targetE0EEEvSY_,comdat
	.globl	_ZN7rocprim17ROCPRIM_400000_NS6detail17trampoline_kernelINS0_13select_configILj256ELj13ELNS0_17block_load_methodE3ELS4_3ELS4_3ELNS0_20block_scan_algorithmE0ELj4294967295EEENS1_25partition_config_selectorILNS1_17partition_subalgoE3EjNS0_10empty_typeEbEEZZNS1_14partition_implILS8_3ELb0ES6_jNS0_17counting_iteratorIjlEEPS9_SE_NS0_5tupleIJPjSE_EEENSF_IJSE_SE_EEES9_SG_JZNS1_25segmented_radix_sort_implINS0_14default_configELb1EPKsPsPKlPlN2at6native12_GLOBAL__N_18offset_tEEE10hipError_tPvRmT1_PNSt15iterator_traitsISY_E10value_typeET2_T3_PNSZ_IS14_E10value_typeET4_jRbjT5_S1A_jjP12ihipStream_tbEUljE_EEESV_SW_SX_S14_S18_S1A_T6_T7_T9_mT8_S1C_bDpT10_ENKUlT_T0_E_clISt17integral_constantIbLb1EES1P_EEDaS1K_S1L_EUlS1K_E_NS1_11comp_targetILNS1_3genE9ELNS1_11target_archE1100ELNS1_3gpuE3ELNS1_3repE0EEENS1_30default_config_static_selectorELNS0_4arch9wavefront6targetE0EEEvSY_ ; -- Begin function _ZN7rocprim17ROCPRIM_400000_NS6detail17trampoline_kernelINS0_13select_configILj256ELj13ELNS0_17block_load_methodE3ELS4_3ELS4_3ELNS0_20block_scan_algorithmE0ELj4294967295EEENS1_25partition_config_selectorILNS1_17partition_subalgoE3EjNS0_10empty_typeEbEEZZNS1_14partition_implILS8_3ELb0ES6_jNS0_17counting_iteratorIjlEEPS9_SE_NS0_5tupleIJPjSE_EEENSF_IJSE_SE_EEES9_SG_JZNS1_25segmented_radix_sort_implINS0_14default_configELb1EPKsPsPKlPlN2at6native12_GLOBAL__N_18offset_tEEE10hipError_tPvRmT1_PNSt15iterator_traitsISY_E10value_typeET2_T3_PNSZ_IS14_E10value_typeET4_jRbjT5_S1A_jjP12ihipStream_tbEUljE_EEESV_SW_SX_S14_S18_S1A_T6_T7_T9_mT8_S1C_bDpT10_ENKUlT_T0_E_clISt17integral_constantIbLb1EES1P_EEDaS1K_S1L_EUlS1K_E_NS1_11comp_targetILNS1_3genE9ELNS1_11target_archE1100ELNS1_3gpuE3ELNS1_3repE0EEENS1_30default_config_static_selectorELNS0_4arch9wavefront6targetE0EEEvSY_
	.p2align	8
	.type	_ZN7rocprim17ROCPRIM_400000_NS6detail17trampoline_kernelINS0_13select_configILj256ELj13ELNS0_17block_load_methodE3ELS4_3ELS4_3ELNS0_20block_scan_algorithmE0ELj4294967295EEENS1_25partition_config_selectorILNS1_17partition_subalgoE3EjNS0_10empty_typeEbEEZZNS1_14partition_implILS8_3ELb0ES6_jNS0_17counting_iteratorIjlEEPS9_SE_NS0_5tupleIJPjSE_EEENSF_IJSE_SE_EEES9_SG_JZNS1_25segmented_radix_sort_implINS0_14default_configELb1EPKsPsPKlPlN2at6native12_GLOBAL__N_18offset_tEEE10hipError_tPvRmT1_PNSt15iterator_traitsISY_E10value_typeET2_T3_PNSZ_IS14_E10value_typeET4_jRbjT5_S1A_jjP12ihipStream_tbEUljE_EEESV_SW_SX_S14_S18_S1A_T6_T7_T9_mT8_S1C_bDpT10_ENKUlT_T0_E_clISt17integral_constantIbLb1EES1P_EEDaS1K_S1L_EUlS1K_E_NS1_11comp_targetILNS1_3genE9ELNS1_11target_archE1100ELNS1_3gpuE3ELNS1_3repE0EEENS1_30default_config_static_selectorELNS0_4arch9wavefront6targetE0EEEvSY_,@function
_ZN7rocprim17ROCPRIM_400000_NS6detail17trampoline_kernelINS0_13select_configILj256ELj13ELNS0_17block_load_methodE3ELS4_3ELS4_3ELNS0_20block_scan_algorithmE0ELj4294967295EEENS1_25partition_config_selectorILNS1_17partition_subalgoE3EjNS0_10empty_typeEbEEZZNS1_14partition_implILS8_3ELb0ES6_jNS0_17counting_iteratorIjlEEPS9_SE_NS0_5tupleIJPjSE_EEENSF_IJSE_SE_EEES9_SG_JZNS1_25segmented_radix_sort_implINS0_14default_configELb1EPKsPsPKlPlN2at6native12_GLOBAL__N_18offset_tEEE10hipError_tPvRmT1_PNSt15iterator_traitsISY_E10value_typeET2_T3_PNSZ_IS14_E10value_typeET4_jRbjT5_S1A_jjP12ihipStream_tbEUljE_EEESV_SW_SX_S14_S18_S1A_T6_T7_T9_mT8_S1C_bDpT10_ENKUlT_T0_E_clISt17integral_constantIbLb1EES1P_EEDaS1K_S1L_EUlS1K_E_NS1_11comp_targetILNS1_3genE9ELNS1_11target_archE1100ELNS1_3gpuE3ELNS1_3repE0EEENS1_30default_config_static_selectorELNS0_4arch9wavefront6targetE0EEEvSY_: ; @_ZN7rocprim17ROCPRIM_400000_NS6detail17trampoline_kernelINS0_13select_configILj256ELj13ELNS0_17block_load_methodE3ELS4_3ELS4_3ELNS0_20block_scan_algorithmE0ELj4294967295EEENS1_25partition_config_selectorILNS1_17partition_subalgoE3EjNS0_10empty_typeEbEEZZNS1_14partition_implILS8_3ELb0ES6_jNS0_17counting_iteratorIjlEEPS9_SE_NS0_5tupleIJPjSE_EEENSF_IJSE_SE_EEES9_SG_JZNS1_25segmented_radix_sort_implINS0_14default_configELb1EPKsPsPKlPlN2at6native12_GLOBAL__N_18offset_tEEE10hipError_tPvRmT1_PNSt15iterator_traitsISY_E10value_typeET2_T3_PNSZ_IS14_E10value_typeET4_jRbjT5_S1A_jjP12ihipStream_tbEUljE_EEESV_SW_SX_S14_S18_S1A_T6_T7_T9_mT8_S1C_bDpT10_ENKUlT_T0_E_clISt17integral_constantIbLb1EES1P_EEDaS1K_S1L_EUlS1K_E_NS1_11comp_targetILNS1_3genE9ELNS1_11target_archE1100ELNS1_3gpuE3ELNS1_3repE0EEENS1_30default_config_static_selectorELNS0_4arch9wavefront6targetE0EEEvSY_
; %bb.0:
	s_clause 0x6
	s_load_b64 s[16:17], s[0:1], 0x10
	s_load_b64 s[12:13], s[0:1], 0x28
	;; [unrolled: 1-line block ×3, first 2 shown]
	s_load_b128 s[8:11], s[0:1], 0x48
	s_load_b32 s3, s[0:1], 0x90
	s_load_b64 s[18:19], s[0:1], 0x68
	s_load_b128 s[4:7], s[0:1], 0x80
	v_cmp_eq_u32_e64 s2, 0, v0
	s_delay_alu instid0(VALU_DEP_1)
	s_and_saveexec_b32 s20, s2
	s_cbranch_execz .LBB893_4
; %bb.1:
	s_mov_b32 s22, exec_lo
	s_mov_b32 s21, exec_lo
	v_mbcnt_lo_u32_b32 v1, s22, 0
                                        ; implicit-def: $vgpr2
	s_delay_alu instid0(VALU_DEP_1)
	v_cmpx_eq_u32_e32 0, v1
	s_cbranch_execz .LBB893_3
; %bb.2:
	s_load_b64 s[24:25], s[0:1], 0x78
	s_bcnt1_i32_b32 s22, s22
	s_delay_alu instid0(SALU_CYCLE_1)
	v_dual_mov_b32 v2, 0 :: v_dual_mov_b32 v3, s22
	s_waitcnt lgkmcnt(0)
	global_atomic_add_u32 v2, v2, v3, s[24:25] glc
.LBB893_3:
	s_or_b32 exec_lo, exec_lo, s21
	s_waitcnt vmcnt(0)
	v_readfirstlane_b32 s21, v2
	s_delay_alu instid0(VALU_DEP_1)
	v_dual_mov_b32 v2, 0 :: v_dual_add_nc_u32 v1, s21, v1
	ds_store_b32 v2, v1
.LBB893_4:
	s_or_b32 exec_lo, exec_lo, s20
	v_mov_b32_e32 v1, 0
	s_clause 0x1
	s_load_b32 s20, s[0:1], 0x8
	s_load_b32 s0, s[0:1], 0x70
	s_waitcnt lgkmcnt(0)
	s_barrier
	buffer_gl0_inv
	ds_load_b32 v2, v1
	s_waitcnt lgkmcnt(0)
	s_barrier
	buffer_gl0_inv
	global_load_b64 v[18:19], v1, s[10:11]
	v_lshlrev_b32_e32 v33, 2, v0
	s_add_i32 s21, s20, s16
	s_mul_i32 s1, s0, 0xd00
	s_add_i32 s0, s0, -1
	s_add_u32 s10, s16, s1
	s_addc_u32 s11, s17, 0
	v_mul_lo_u32 v32, 0xd00, v2
	v_readfirstlane_b32 s20, v2
	v_cmp_lt_u64_e64 s11, s[10:11], s[14:15]
	v_cmp_ne_u32_e32 vcc_lo, s0, v2
	s_delay_alu instid0(VALU_DEP_3) | instskip(SKIP_1) | instid1(VALU_DEP_4)
	s_cmp_eq_u32 s20, s0
	s_cselect_b32 s10, -1, 0
	v_add3_u32 v1, v32, s21, v0
	s_delay_alu instid0(VALU_DEP_3) | instskip(SKIP_2) | instid1(VALU_DEP_1)
	s_or_b32 s0, s11, vcc_lo
	s_mov_b32 s11, -1
	s_and_b32 vcc_lo, exec_lo, s0
	v_add_nc_u32_e32 v2, 0x100, v1
	v_add_nc_u32_e32 v3, 0x200, v1
	;; [unrolled: 1-line block ×12, first 2 shown]
	s_cbranch_vccz .LBB893_6
; %bb.5:
	ds_store_2addr_stride64_b32 v33, v1, v2 offset1:4
	ds_store_2addr_stride64_b32 v33, v3, v4 offset0:8 offset1:12
	ds_store_2addr_stride64_b32 v33, v5, v6 offset0:16 offset1:20
	;; [unrolled: 1-line block ×5, first 2 shown]
	ds_store_b32 v33, v13 offset:12288
	s_waitcnt vmcnt(0) lgkmcnt(0)
	s_mov_b32 s11, 0
	s_barrier
.LBB893_6:
	s_and_not1_b32 vcc_lo, exec_lo, s11
	s_add_i32 s1, s1, s16
	s_cbranch_vccnz .LBB893_8
; %bb.7:
	ds_store_2addr_stride64_b32 v33, v1, v2 offset1:4
	ds_store_2addr_stride64_b32 v33, v3, v4 offset0:8 offset1:12
	ds_store_2addr_stride64_b32 v33, v5, v6 offset0:16 offset1:20
	;; [unrolled: 1-line block ×5, first 2 shown]
	ds_store_b32 v33, v13 offset:12288
	s_waitcnt vmcnt(0) lgkmcnt(0)
	s_barrier
.LBB893_8:
	v_mul_u32_u24_e32 v36, 13, v0
	s_waitcnt vmcnt(0)
	buffer_gl0_inv
	v_cndmask_b32_e64 v34, 0, 1, s0
	s_sub_i32 s11, s14, s1
	s_and_not1_b32 vcc_lo, exec_lo, s0
	v_lshlrev_b32_e32 v1, 2, v36
	ds_load_2addr_b32 v[30:31], v1 offset1:1
	ds_load_2addr_b32 v[28:29], v1 offset0:2 offset1:3
	ds_load_2addr_b32 v[26:27], v1 offset0:4 offset1:5
	;; [unrolled: 1-line block ×5, first 2 shown]
	ds_load_b32 v35, v1 offset:48
	s_waitcnt lgkmcnt(0)
	s_barrier
	buffer_gl0_inv
	s_cbranch_vccnz .LBB893_10
; %bb.9:
	v_add_nc_u32_e32 v1, s5, v30
	v_add_nc_u32_e32 v2, s7, v30
	;; [unrolled: 1-line block ×5, first 2 shown]
	v_mul_lo_u32 v1, v1, s4
	v_mul_lo_u32 v2, v2, s6
	;; [unrolled: 1-line block ×4, first 2 shown]
	v_add_nc_u32_e32 v6, s7, v28
	v_add_nc_u32_e32 v7, s5, v29
	;; [unrolled: 1-line block ×3, first 2 shown]
	v_mul_lo_u32 v5, v5, s4
	v_add_nc_u32_e32 v9, s5, v24
	v_sub_nc_u32_e32 v1, v1, v2
	v_mul_lo_u32 v2, v6, s6
	v_sub_nc_u32_e32 v3, v3, v4
	v_mul_lo_u32 v4, v7, s4
	v_mul_lo_u32 v6, v8, s6
	v_add_nc_u32_e32 v7, s5, v26
	v_cmp_lt_u32_e32 vcc_lo, s3, v1
	v_add_nc_u32_e32 v8, s5, v27
	v_add_nc_u32_e32 v10, s7, v24
	v_sub_nc_u32_e32 v2, v5, v2
	v_add_nc_u32_e32 v5, s7, v26
	v_cndmask_b32_e64 v1, 0, 1, vcc_lo
	v_sub_nc_u32_e32 v4, v4, v6
	v_mul_lo_u32 v6, v7, s4
	v_add_nc_u32_e32 v7, s7, v27
	v_cmp_lt_u32_e32 vcc_lo, s3, v3
	v_mul_lo_u32 v5, v5, s6
	v_mul_lo_u32 v8, v8, s4
	;; [unrolled: 1-line block ×4, first 2 shown]
	v_cndmask_b32_e64 v3, 0, 1, vcc_lo
	v_cmp_lt_u32_e32 vcc_lo, s3, v2
	v_mul_lo_u32 v10, v10, s6
	v_add_nc_u32_e32 v11, s5, v22
	v_sub_nc_u32_e32 v5, v6, v5
	v_add_nc_u32_e32 v12, s7, v22
	v_cndmask_b32_e64 v2, 0, 1, vcc_lo
	v_sub_nc_u32_e32 v6, v8, v7
	v_add_nc_u32_e32 v7, s5, v25
	v_add_nc_u32_e32 v8, s7, v25
	v_cmp_lt_u32_e32 vcc_lo, s3, v4
	v_sub_nc_u32_e32 v9, v9, v10
	v_mul_lo_u32 v10, v11, s4
	v_mul_lo_u32 v7, v7, s4
	;; [unrolled: 1-line block ×4, first 2 shown]
	v_cndmask_b32_e64 v4, 0, 1, vcc_lo
	v_cmp_lt_u32_e32 vcc_lo, s3, v5
	v_add_nc_u32_e32 v12, s5, v23
	v_add_nc_u32_e32 v13, s7, v20
	;; [unrolled: 1-line block ×4, first 2 shown]
	v_cndmask_b32_e64 v5, 0, 1, vcc_lo
	v_cmp_lt_u32_e32 vcc_lo, s3, v6
	v_sub_nc_u32_e32 v7, v7, v8
	v_sub_nc_u32_e32 v8, v10, v11
	v_add_nc_u32_e32 v11, s7, v23
	v_mul_lo_u32 v10, v12, s4
	v_cndmask_b32_e64 v6, 0, 1, vcc_lo
	v_cmp_lt_u32_e32 vcc_lo, s3, v9
	v_add_nc_u32_e32 v12, s5, v20
	v_mul_lo_u32 v11, v11, s6
	v_mul_lo_u32 v13, v13, s6
	;; [unrolled: 1-line block ×3, first 2 shown]
	v_cndmask_b32_e64 v9, 0, 1, vcc_lo
	v_cmp_lt_u32_e32 vcc_lo, s3, v7
	v_mul_lo_u32 v12, v12, s4
	v_mul_lo_u32 v15, v15, s6
	v_lshlrev_b16 v3, 8, v3
	v_sub_nc_u32_e32 v10, v10, v11
	v_cndmask_b32_e64 v7, 0, 1, vcc_lo
	v_cmp_lt_u32_e32 vcc_lo, s3, v8
	v_add_nc_u32_e32 v11, s5, v35
	v_or_b32_e32 v1, v1, v3
	v_sub_nc_u32_e32 v12, v12, v13
	v_sub_nc_u32_e32 v13, v14, v15
	v_cndmask_b32_e64 v8, 0, 1, vcc_lo
	v_cmp_lt_u32_e32 vcc_lo, s3, v10
	v_add_nc_u32_e32 v16, s7, v35
	v_mul_lo_u32 v11, v11, s4
	v_lshlrev_b16 v4, 8, v4
	v_lshlrev_b16 v6, 8, v6
	v_cndmask_b32_e64 v10, 0, 1, vcc_lo
	v_cmp_lt_u32_e32 vcc_lo, s3, v12
	v_mul_lo_u32 v14, v16, s6
	v_lshlrev_b16 v7, 8, v7
	v_or_b32_e32 v2, v2, v4
	v_lshlrev_b16 v10, 8, v10
	v_cndmask_b32_e64 v3, 0, 1, vcc_lo
	v_cmp_lt_u32_e32 vcc_lo, s3, v13
	v_or_b32_e32 v4, v5, v6
	v_or_b32_e32 v5, v9, v7
	v_sub_nc_u32_e32 v11, v11, v14
	v_or_b32_e32 v6, v8, v10
	v_cndmask_b32_e64 v12, 0, 1, vcc_lo
	v_and_b32_e32 v1, 0xffff, v1
	v_lshlrev_b32_e32 v2, 16, v2
	v_and_b32_e32 v4, 0xffff, v4
	v_lshlrev_b32_e32 v5, 16, v5
	v_lshlrev_b16 v12, 8, v12
	v_and_b32_e32 v6, 0xffff, v6
	v_cmp_lt_u32_e32 vcc_lo, s3, v11
	v_or_b32_e32 v42, v1, v2
	v_or_b32_e32 v40, v4, v5
	;; [unrolled: 1-line block ×3, first 2 shown]
	v_cndmask_b32_e64 v37, 0, 1, vcc_lo
	s_delay_alu instid0(VALU_DEP_2) | instskip(NEXT) | instid1(VALU_DEP_1)
	v_lshlrev_b32_e32 v3, 16, v3
	v_or_b32_e32 v38, v6, v3
	s_addk_i32 s11, 0xd00
	s_cbranch_execz .LBB893_11
	s_branch .LBB893_38
.LBB893_10:
                                        ; implicit-def: $vgpr37
                                        ; implicit-def: $vgpr38
                                        ; implicit-def: $vgpr40
                                        ; implicit-def: $vgpr42
	s_addk_i32 s11, 0xd00
.LBB893_11:
	v_dual_mov_b32 v2, 0 :: v_dual_mov_b32 v1, 0
	s_mov_b32 s0, exec_lo
	v_cmpx_gt_u32_e64 s11, v36
; %bb.12:
	v_add_nc_u32_e32 v1, s5, v30
	v_add_nc_u32_e32 v3, s7, v30
	s_delay_alu instid0(VALU_DEP_2) | instskip(NEXT) | instid1(VALU_DEP_2)
	v_mul_lo_u32 v1, v1, s4
	v_mul_lo_u32 v3, v3, s6
	s_delay_alu instid0(VALU_DEP_1) | instskip(NEXT) | instid1(VALU_DEP_1)
	v_sub_nc_u32_e32 v1, v1, v3
	v_cmp_lt_u32_e32 vcc_lo, s3, v1
	v_cndmask_b32_e64 v1, 0, 1, vcc_lo
; %bb.13:
	s_or_b32 exec_lo, exec_lo, s0
	v_add_nc_u32_e32 v3, 1, v36
	s_mov_b32 s0, exec_lo
	s_delay_alu instid0(VALU_DEP_1)
	v_cmpx_gt_u32_e64 s11, v3
; %bb.14:
	v_add_nc_u32_e32 v2, s5, v31
	v_add_nc_u32_e32 v3, s7, v31
	s_delay_alu instid0(VALU_DEP_2) | instskip(NEXT) | instid1(VALU_DEP_2)
	v_mul_lo_u32 v2, v2, s4
	v_mul_lo_u32 v3, v3, s6
	s_delay_alu instid0(VALU_DEP_1) | instskip(NEXT) | instid1(VALU_DEP_1)
	v_sub_nc_u32_e32 v2, v2, v3
	v_cmp_lt_u32_e32 vcc_lo, s3, v2
	v_cndmask_b32_e64 v2, 0, 1, vcc_lo
; %bb.15:
	s_or_b32 exec_lo, exec_lo, s0
	v_dual_mov_b32 v4, 0 :: v_dual_add_nc_u32 v3, 2, v36
	s_delay_alu instid0(VALU_DEP_1)
	v_cmp_gt_u32_e32 vcc_lo, s11, v3
	v_mov_b32_e32 v3, 0
	s_and_saveexec_b32 s0, vcc_lo
; %bb.16:
	v_add_nc_u32_e32 v3, s5, v28
	v_add_nc_u32_e32 v5, s7, v28
	s_delay_alu instid0(VALU_DEP_2) | instskip(NEXT) | instid1(VALU_DEP_2)
	v_mul_lo_u32 v3, v3, s4
	v_mul_lo_u32 v5, v5, s6
	s_delay_alu instid0(VALU_DEP_1) | instskip(NEXT) | instid1(VALU_DEP_1)
	v_sub_nc_u32_e32 v3, v3, v5
	v_cmp_lt_u32_e32 vcc_lo, s3, v3
	v_cndmask_b32_e64 v3, 0, 1, vcc_lo
; %bb.17:
	s_or_b32 exec_lo, exec_lo, s0
	v_add_nc_u32_e32 v5, 3, v36
	s_mov_b32 s0, exec_lo
	s_delay_alu instid0(VALU_DEP_1)
	v_cmpx_gt_u32_e64 s11, v5
; %bb.18:
	v_add_nc_u32_e32 v4, s5, v29
	v_add_nc_u32_e32 v5, s7, v29
	s_delay_alu instid0(VALU_DEP_2) | instskip(NEXT) | instid1(VALU_DEP_2)
	v_mul_lo_u32 v4, v4, s4
	v_mul_lo_u32 v5, v5, s6
	s_delay_alu instid0(VALU_DEP_1) | instskip(NEXT) | instid1(VALU_DEP_1)
	v_sub_nc_u32_e32 v4, v4, v5
	v_cmp_lt_u32_e32 vcc_lo, s3, v4
	v_cndmask_b32_e64 v4, 0, 1, vcc_lo
; %bb.19:
	s_or_b32 exec_lo, exec_lo, s0
	v_dual_mov_b32 v6, 0 :: v_dual_add_nc_u32 v5, 4, v36
	s_delay_alu instid0(VALU_DEP_1)
	v_cmp_gt_u32_e32 vcc_lo, s11, v5
	v_mov_b32_e32 v5, 0
	s_and_saveexec_b32 s0, vcc_lo
	;; [unrolled: 33-line block ×5, first 2 shown]
; %bb.32:
	v_add_nc_u32_e32 v11, s5, v20
	v_add_nc_u32_e32 v13, s7, v20
	s_delay_alu instid0(VALU_DEP_2) | instskip(NEXT) | instid1(VALU_DEP_2)
	v_mul_lo_u32 v11, v11, s4
	v_mul_lo_u32 v13, v13, s6
	s_delay_alu instid0(VALU_DEP_1) | instskip(NEXT) | instid1(VALU_DEP_1)
	v_sub_nc_u32_e32 v11, v11, v13
	v_cmp_lt_u32_e32 vcc_lo, s3, v11
	v_cndmask_b32_e64 v11, 0, 1, vcc_lo
; %bb.33:
	s_or_b32 exec_lo, exec_lo, s0
	v_add_nc_u32_e32 v13, 11, v36
	s_mov_b32 s0, exec_lo
	s_delay_alu instid0(VALU_DEP_1)
	v_cmpx_gt_u32_e64 s11, v13
; %bb.34:
	v_add_nc_u32_e32 v12, s5, v21
	v_add_nc_u32_e32 v13, s7, v21
	s_delay_alu instid0(VALU_DEP_2) | instskip(NEXT) | instid1(VALU_DEP_2)
	v_mul_lo_u32 v12, v12, s4
	v_mul_lo_u32 v13, v13, s6
	s_delay_alu instid0(VALU_DEP_1) | instskip(NEXT) | instid1(VALU_DEP_1)
	v_sub_nc_u32_e32 v12, v12, v13
	v_cmp_lt_u32_e32 vcc_lo, s3, v12
	v_cndmask_b32_e64 v12, 0, 1, vcc_lo
; %bb.35:
	s_or_b32 exec_lo, exec_lo, s0
	v_add_nc_u32_e32 v13, 12, v36
	v_mov_b32_e32 v37, 0
	s_mov_b32 s0, exec_lo
	s_delay_alu instid0(VALU_DEP_2)
	v_cmpx_gt_u32_e64 s11, v13
; %bb.36:
	v_add_nc_u32_e32 v13, s5, v35
	v_add_nc_u32_e32 v14, s7, v35
	s_delay_alu instid0(VALU_DEP_2) | instskip(NEXT) | instid1(VALU_DEP_2)
	v_mul_lo_u32 v13, v13, s4
	v_mul_lo_u32 v14, v14, s6
	s_delay_alu instid0(VALU_DEP_1) | instskip(NEXT) | instid1(VALU_DEP_1)
	v_sub_nc_u32_e32 v13, v13, v14
	v_cmp_lt_u32_e32 vcc_lo, s3, v13
	v_cndmask_b32_e64 v37, 0, 1, vcc_lo
; %bb.37:
	s_or_b32 exec_lo, exec_lo, s0
	v_lshlrev_b16 v2, 8, v2
	v_lshlrev_b16 v4, 8, v4
	;; [unrolled: 1-line block ×5, first 2 shown]
	v_or_b32_e32 v1, v1, v2
	v_lshlrev_b16 v2, 8, v12
	v_or_b32_e32 v3, v3, v4
	v_or_b32_e32 v4, v5, v6
	;; [unrolled: 1-line block ×5, first 2 shown]
	v_and_b32_e32 v1, 0xffff, v1
	v_lshlrev_b32_e32 v3, 16, v3
	v_and_b32_e32 v4, 0xffff, v4
	v_lshlrev_b32_e32 v5, 16, v5
	;; [unrolled: 2-line block ×3, first 2 shown]
	v_or_b32_e32 v42, v1, v3
	s_delay_alu instid0(VALU_DEP_4) | instskip(NEXT) | instid1(VALU_DEP_3)
	v_or_b32_e32 v40, v4, v5
	v_or_b32_e32 v38, v6, v2
.LBB893_38:
	s_delay_alu instid0(VALU_DEP_3)
	v_and_b32_e32 v44, 0xff, v42
	v_bfe_u32 v45, v42, 8, 8
	v_bfe_u32 v46, v42, 16, 8
	v_lshrrev_b32_e32 v43, 24, v42
	v_and_b32_e32 v47, 0xff, v40
	v_bfe_u32 v48, v40, 8, 8
	v_bfe_u32 v49, v40, 16, 8
	v_add3_u32 v1, v45, v44, v46
	v_lshrrev_b32_e32 v41, 24, v40
	v_and_b32_e32 v50, 0xff, v38
	v_bfe_u32 v51, v38, 8, 8
	v_mbcnt_lo_u32_b32 v53, -1, 0
	v_add3_u32 v1, v1, v43, v47
	v_bfe_u32 v52, v38, 16, 8
	v_lshrrev_b32_e32 v39, 24, v38
	v_and_b32_e32 v2, 0xff, v37
	v_and_b32_e32 v3, 15, v53
	v_add3_u32 v1, v1, v48, v49
	v_or_b32_e32 v4, 31, v0
	v_and_b32_e32 v5, 16, v53
	v_lshrrev_b32_e32 v54, 5, v0
	v_cmp_eq_u32_e64 s6, 0, v3
	v_add3_u32 v1, v1, v41, v50
	v_cmp_lt_u32_e64 s5, 1, v3
	v_cmp_lt_u32_e64 s4, 3, v3
	;; [unrolled: 1-line block ×3, first 2 shown]
	v_cmp_eq_u32_e64 s1, 0, v5
	v_add3_u32 v1, v1, v51, v52
	v_cmp_eq_u32_e64 s0, v4, v0
	s_cmp_lg_u32 s20, 0
	s_mov_b32 s7, -1
	s_delay_alu instid0(VALU_DEP_2)
	v_add3_u32 v55, v1, v39, v2
	s_cbranch_scc0 .LBB893_69
; %bb.39:
	s_delay_alu instid0(VALU_DEP_1) | instskip(NEXT) | instid1(VALU_DEP_1)
	v_mov_b32_dpp v1, v55 row_shr:1 row_mask:0xf bank_mask:0xf
	v_cndmask_b32_e64 v1, v1, 0, s6
	s_delay_alu instid0(VALU_DEP_1) | instskip(NEXT) | instid1(VALU_DEP_1)
	v_add_nc_u32_e32 v1, v1, v55
	v_mov_b32_dpp v2, v1 row_shr:2 row_mask:0xf bank_mask:0xf
	s_delay_alu instid0(VALU_DEP_1) | instskip(NEXT) | instid1(VALU_DEP_1)
	v_cndmask_b32_e64 v2, 0, v2, s5
	v_add_nc_u32_e32 v1, v1, v2
	s_delay_alu instid0(VALU_DEP_1) | instskip(NEXT) | instid1(VALU_DEP_1)
	v_mov_b32_dpp v2, v1 row_shr:4 row_mask:0xf bank_mask:0xf
	v_cndmask_b32_e64 v2, 0, v2, s4
	s_delay_alu instid0(VALU_DEP_1) | instskip(NEXT) | instid1(VALU_DEP_1)
	v_add_nc_u32_e32 v1, v1, v2
	v_mov_b32_dpp v2, v1 row_shr:8 row_mask:0xf bank_mask:0xf
	s_delay_alu instid0(VALU_DEP_1) | instskip(NEXT) | instid1(VALU_DEP_1)
	v_cndmask_b32_e64 v2, 0, v2, s3
	v_add_nc_u32_e32 v1, v1, v2
	ds_swizzle_b32 v2, v1 offset:swizzle(BROADCAST,32,15)
	s_waitcnt lgkmcnt(0)
	v_cndmask_b32_e64 v2, v2, 0, s1
	s_delay_alu instid0(VALU_DEP_1)
	v_add_nc_u32_e32 v1, v1, v2
	s_and_saveexec_b32 s7, s0
	s_cbranch_execz .LBB893_41
; %bb.40:
	v_lshlrev_b32_e32 v2, 2, v54
	ds_store_b32 v2, v1
.LBB893_41:
	s_or_b32 exec_lo, exec_lo, s7
	s_delay_alu instid0(SALU_CYCLE_1)
	s_mov_b32 s7, exec_lo
	s_waitcnt lgkmcnt(0)
	s_barrier
	buffer_gl0_inv
	v_cmpx_gt_u32_e32 8, v0
	s_cbranch_execz .LBB893_43
; %bb.42:
	ds_load_b32 v2, v33
	s_waitcnt lgkmcnt(0)
	v_mov_b32_dpp v4, v2 row_shr:1 row_mask:0xf bank_mask:0xf
	v_and_b32_e32 v3, 7, v53
	s_delay_alu instid0(VALU_DEP_1) | instskip(NEXT) | instid1(VALU_DEP_3)
	v_cmp_ne_u32_e32 vcc_lo, 0, v3
	v_cndmask_b32_e32 v4, 0, v4, vcc_lo
	v_cmp_lt_u32_e32 vcc_lo, 1, v3
	s_delay_alu instid0(VALU_DEP_2) | instskip(NEXT) | instid1(VALU_DEP_1)
	v_add_nc_u32_e32 v2, v4, v2
	v_mov_b32_dpp v4, v2 row_shr:2 row_mask:0xf bank_mask:0xf
	s_delay_alu instid0(VALU_DEP_1) | instskip(SKIP_1) | instid1(VALU_DEP_2)
	v_cndmask_b32_e32 v4, 0, v4, vcc_lo
	v_cmp_lt_u32_e32 vcc_lo, 3, v3
	v_add_nc_u32_e32 v2, v2, v4
	s_delay_alu instid0(VALU_DEP_1) | instskip(NEXT) | instid1(VALU_DEP_1)
	v_mov_b32_dpp v4, v2 row_shr:4 row_mask:0xf bank_mask:0xf
	v_cndmask_b32_e32 v3, 0, v4, vcc_lo
	s_delay_alu instid0(VALU_DEP_1)
	v_add_nc_u32_e32 v2, v2, v3
	ds_store_b32 v33, v2
.LBB893_43:
	s_or_b32 exec_lo, exec_lo, s7
	v_cmp_gt_u32_e32 vcc_lo, 32, v0
	s_mov_b32 s21, exec_lo
	s_waitcnt lgkmcnt(0)
	s_barrier
	buffer_gl0_inv
                                        ; implicit-def: $vgpr8
	v_cmpx_lt_u32_e32 31, v0
	s_cbranch_execz .LBB893_45
; %bb.44:
	v_lshl_add_u32 v2, v54, 2, -4
	ds_load_b32 v8, v2
	s_waitcnt lgkmcnt(0)
	v_add_nc_u32_e32 v1, v8, v1
.LBB893_45:
	s_or_b32 exec_lo, exec_lo, s21
	v_add_nc_u32_e32 v2, -1, v53
	s_delay_alu instid0(VALU_DEP_1) | instskip(NEXT) | instid1(VALU_DEP_1)
	v_cmp_gt_i32_e64 s7, 0, v2
	v_cndmask_b32_e64 v2, v2, v53, s7
	v_cmp_eq_u32_e64 s7, 0, v53
	s_delay_alu instid0(VALU_DEP_2)
	v_lshlrev_b32_e32 v2, 2, v2
	ds_bpermute_b32 v9, v2, v1
	s_and_saveexec_b32 s21, vcc_lo
	s_cbranch_execz .LBB893_68
; %bb.46:
	v_mov_b32_e32 v4, 0
	ds_load_b32 v1, v4 offset:28
	s_and_saveexec_b32 s22, s7
	s_cbranch_execz .LBB893_48
; %bb.47:
	s_add_i32 s24, s20, 32
	s_mov_b32 s25, 0
	v_mov_b32_e32 v2, 1
	s_lshl_b64 s[24:25], s[24:25], 3
	s_delay_alu instid0(SALU_CYCLE_1)
	s_add_u32 s24, s18, s24
	s_addc_u32 s25, s19, s25
	s_waitcnt lgkmcnt(0)
	global_store_b64 v4, v[1:2], s[24:25]
.LBB893_48:
	s_or_b32 exec_lo, exec_lo, s22
	v_xad_u32 v2, v53, -1, s20
	s_mov_b32 s23, 0
	s_mov_b32 s22, exec_lo
	s_delay_alu instid0(VALU_DEP_1) | instskip(NEXT) | instid1(VALU_DEP_1)
	v_add_nc_u32_e32 v3, 32, v2
	v_lshlrev_b64 v[3:4], 3, v[3:4]
	s_delay_alu instid0(VALU_DEP_1) | instskip(NEXT) | instid1(VALU_DEP_2)
	v_add_co_u32 v6, vcc_lo, s18, v3
	v_add_co_ci_u32_e32 v7, vcc_lo, s19, v4, vcc_lo
	global_load_b64 v[4:5], v[6:7], off glc
	s_waitcnt vmcnt(0)
	v_and_b32_e32 v3, 0xff, v5
	s_delay_alu instid0(VALU_DEP_1)
	v_cmpx_eq_u16_e32 0, v3
	s_cbranch_execz .LBB893_54
; %bb.49:
	s_mov_b32 s24, 1
	.p2align	6
.LBB893_50:                             ; =>This Loop Header: Depth=1
                                        ;     Child Loop BB893_51 Depth 2
	s_delay_alu instid0(SALU_CYCLE_1)
	s_max_u32 s25, s24, 1
.LBB893_51:                             ;   Parent Loop BB893_50 Depth=1
                                        ; =>  This Inner Loop Header: Depth=2
	s_delay_alu instid0(SALU_CYCLE_1)
	s_add_i32 s25, s25, -1
	s_sleep 1
	s_cmp_eq_u32 s25, 0
	s_cbranch_scc0 .LBB893_51
; %bb.52:                               ;   in Loop: Header=BB893_50 Depth=1
	global_load_b64 v[4:5], v[6:7], off glc
	s_cmp_lt_u32 s24, 32
	s_cselect_b32 s25, -1, 0
	s_delay_alu instid0(SALU_CYCLE_1) | instskip(SKIP_3) | instid1(VALU_DEP_1)
	s_cmp_lg_u32 s25, 0
	s_addc_u32 s24, s24, 0
	s_waitcnt vmcnt(0)
	v_and_b32_e32 v3, 0xff, v5
	v_cmp_ne_u16_e32 vcc_lo, 0, v3
	s_or_b32 s23, vcc_lo, s23
	s_delay_alu instid0(SALU_CYCLE_1)
	s_and_not1_b32 exec_lo, exec_lo, s23
	s_cbranch_execnz .LBB893_50
; %bb.53:
	s_or_b32 exec_lo, exec_lo, s23
.LBB893_54:
	s_delay_alu instid0(SALU_CYCLE_1)
	s_or_b32 exec_lo, exec_lo, s22
	v_cmp_ne_u32_e32 vcc_lo, 31, v53
	v_lshlrev_b32_e64 v11, v53, -1
	v_add_nc_u32_e32 v13, 2, v53
	v_add_nc_u32_e32 v15, 4, v53
	;; [unrolled: 1-line block ×3, first 2 shown]
	v_add_co_ci_u32_e32 v3, vcc_lo, 0, v53, vcc_lo
	v_add_nc_u32_e32 v58, 16, v53
	s_delay_alu instid0(VALU_DEP_2) | instskip(SKIP_2) | instid1(VALU_DEP_1)
	v_lshlrev_b32_e32 v10, 2, v3
	ds_bpermute_b32 v6, v10, v4
	v_and_b32_e32 v3, 0xff, v5
	v_cmp_eq_u16_e32 vcc_lo, 2, v3
	v_and_or_b32 v3, vcc_lo, v11, 0x80000000
	v_cmp_gt_u32_e32 vcc_lo, 30, v53
	s_delay_alu instid0(VALU_DEP_2) | instskip(SKIP_1) | instid1(VALU_DEP_2)
	v_ctz_i32_b32_e32 v3, v3
	v_cndmask_b32_e64 v7, 0, 1, vcc_lo
	v_cmp_lt_u32_e32 vcc_lo, v53, v3
	s_waitcnt lgkmcnt(0)
	s_delay_alu instid0(VALU_DEP_2) | instskip(NEXT) | instid1(VALU_DEP_1)
	v_dual_cndmask_b32 v6, 0, v6 :: v_dual_lshlrev_b32 v7, 1, v7
	v_add_lshl_u32 v12, v7, v53, 2
	v_cmp_gt_u32_e32 vcc_lo, 28, v53
	s_delay_alu instid0(VALU_DEP_3) | instskip(SKIP_4) | instid1(VALU_DEP_1)
	v_add_nc_u32_e32 v4, v6, v4
	v_cndmask_b32_e64 v7, 0, 1, vcc_lo
	v_cmp_le_u32_e32 vcc_lo, v13, v3
	ds_bpermute_b32 v6, v12, v4
	v_lshlrev_b32_e32 v7, 2, v7
	v_add_lshl_u32 v14, v7, v53, 2
	s_waitcnt lgkmcnt(0)
	v_cndmask_b32_e32 v6, 0, v6, vcc_lo
	v_cmp_gt_u32_e32 vcc_lo, 24, v53
	s_delay_alu instid0(VALU_DEP_2) | instskip(SKIP_4) | instid1(VALU_DEP_1)
	v_add_nc_u32_e32 v4, v4, v6
	v_cndmask_b32_e64 v7, 0, 1, vcc_lo
	v_cmp_le_u32_e32 vcc_lo, v15, v3
	ds_bpermute_b32 v6, v14, v4
	v_lshlrev_b32_e32 v7, 3, v7
	v_add_lshl_u32 v17, v7, v53, 2
	s_waitcnt lgkmcnt(0)
	v_cndmask_b32_e32 v6, 0, v6, vcc_lo
	v_cmp_gt_u32_e32 vcc_lo, 16, v53
	s_delay_alu instid0(VALU_DEP_2) | instskip(SKIP_4) | instid1(VALU_DEP_1)
	v_add_nc_u32_e32 v4, v4, v6
	v_cndmask_b32_e64 v7, 0, 1, vcc_lo
	v_cmp_le_u32_e32 vcc_lo, v56, v3
	ds_bpermute_b32 v6, v17, v4
	v_lshlrev_b32_e32 v7, 4, v7
	v_add_lshl_u32 v57, v7, v53, 2
	s_waitcnt lgkmcnt(0)
	v_cndmask_b32_e32 v6, 0, v6, vcc_lo
	v_cmp_le_u32_e32 vcc_lo, v58, v3
	s_delay_alu instid0(VALU_DEP_2) | instskip(SKIP_3) | instid1(VALU_DEP_1)
	v_add_nc_u32_e32 v4, v4, v6
	ds_bpermute_b32 v6, v57, v4
	s_waitcnt lgkmcnt(0)
	v_cndmask_b32_e32 v3, 0, v6, vcc_lo
	v_dual_mov_b32 v3, 0 :: v_dual_add_nc_u32 v4, v4, v3
	s_branch .LBB893_56
.LBB893_55:                             ;   in Loop: Header=BB893_56 Depth=1
	s_or_b32 exec_lo, exec_lo, s22
	ds_bpermute_b32 v7, v10, v4
	v_and_b32_e32 v6, 0xff, v5
	v_subrev_nc_u32_e32 v2, 32, v2
	s_delay_alu instid0(VALU_DEP_2) | instskip(SKIP_1) | instid1(VALU_DEP_1)
	v_cmp_eq_u16_e32 vcc_lo, 2, v6
	v_and_or_b32 v6, vcc_lo, v11, 0x80000000
	v_ctz_i32_b32_e32 v6, v6
	s_delay_alu instid0(VALU_DEP_1) | instskip(SKIP_3) | instid1(VALU_DEP_2)
	v_cmp_lt_u32_e32 vcc_lo, v53, v6
	s_waitcnt lgkmcnt(0)
	v_cndmask_b32_e32 v7, 0, v7, vcc_lo
	v_cmp_le_u32_e32 vcc_lo, v13, v6
	v_add_nc_u32_e32 v4, v7, v4
	ds_bpermute_b32 v7, v12, v4
	s_waitcnt lgkmcnt(0)
	v_cndmask_b32_e32 v7, 0, v7, vcc_lo
	v_cmp_le_u32_e32 vcc_lo, v15, v6
	s_delay_alu instid0(VALU_DEP_2) | instskip(SKIP_4) | instid1(VALU_DEP_2)
	v_add_nc_u32_e32 v4, v4, v7
	ds_bpermute_b32 v7, v14, v4
	s_waitcnt lgkmcnt(0)
	v_cndmask_b32_e32 v7, 0, v7, vcc_lo
	v_cmp_le_u32_e32 vcc_lo, v56, v6
	v_add_nc_u32_e32 v4, v4, v7
	ds_bpermute_b32 v7, v17, v4
	s_waitcnt lgkmcnt(0)
	v_cndmask_b32_e32 v7, 0, v7, vcc_lo
	v_cmp_le_u32_e32 vcc_lo, v58, v6
	s_delay_alu instid0(VALU_DEP_2) | instskip(SKIP_3) | instid1(VALU_DEP_1)
	v_add_nc_u32_e32 v4, v4, v7
	ds_bpermute_b32 v7, v57, v4
	s_waitcnt lgkmcnt(0)
	v_cndmask_b32_e32 v6, 0, v7, vcc_lo
	v_add3_u32 v4, v6, v16, v4
.LBB893_56:                             ; =>This Loop Header: Depth=1
                                        ;     Child Loop BB893_59 Depth 2
                                        ;       Child Loop BB893_60 Depth 3
	s_delay_alu instid0(VALU_DEP_1) | instskip(NEXT) | instid1(VALU_DEP_1)
	v_dual_mov_b32 v16, v4 :: v_dual_and_b32 v5, 0xff, v5
	v_cmp_ne_u16_e32 vcc_lo, 2, v5
	v_cndmask_b32_e64 v5, 0, 1, vcc_lo
	;;#ASMSTART
	;;#ASMEND
	s_delay_alu instid0(VALU_DEP_1)
	v_cmp_ne_u32_e32 vcc_lo, 0, v5
	s_cmp_lg_u32 vcc_lo, exec_lo
	s_cbranch_scc1 .LBB893_63
; %bb.57:                               ;   in Loop: Header=BB893_56 Depth=1
	v_lshlrev_b64 v[4:5], 3, v[2:3]
	s_mov_b32 s22, exec_lo
	s_delay_alu instid0(VALU_DEP_1) | instskip(NEXT) | instid1(VALU_DEP_2)
	v_add_co_u32 v6, vcc_lo, s18, v4
	v_add_co_ci_u32_e32 v7, vcc_lo, s19, v5, vcc_lo
	global_load_b64 v[4:5], v[6:7], off glc
	s_waitcnt vmcnt(0)
	v_and_b32_e32 v59, 0xff, v5
	s_delay_alu instid0(VALU_DEP_1)
	v_cmpx_eq_u16_e32 0, v59
	s_cbranch_execz .LBB893_55
; %bb.58:                               ;   in Loop: Header=BB893_56 Depth=1
	s_mov_b32 s24, 1
	s_mov_b32 s23, 0
	.p2align	6
.LBB893_59:                             ;   Parent Loop BB893_56 Depth=1
                                        ; =>  This Loop Header: Depth=2
                                        ;       Child Loop BB893_60 Depth 3
	s_max_u32 s25, s24, 1
.LBB893_60:                             ;   Parent Loop BB893_56 Depth=1
                                        ;     Parent Loop BB893_59 Depth=2
                                        ; =>    This Inner Loop Header: Depth=3
	s_delay_alu instid0(SALU_CYCLE_1)
	s_add_i32 s25, s25, -1
	s_sleep 1
	s_cmp_eq_u32 s25, 0
	s_cbranch_scc0 .LBB893_60
; %bb.61:                               ;   in Loop: Header=BB893_59 Depth=2
	global_load_b64 v[4:5], v[6:7], off glc
	s_cmp_lt_u32 s24, 32
	s_cselect_b32 s25, -1, 0
	s_delay_alu instid0(SALU_CYCLE_1) | instskip(SKIP_3) | instid1(VALU_DEP_1)
	s_cmp_lg_u32 s25, 0
	s_addc_u32 s24, s24, 0
	s_waitcnt vmcnt(0)
	v_and_b32_e32 v59, 0xff, v5
	v_cmp_ne_u16_e32 vcc_lo, 0, v59
	s_or_b32 s23, vcc_lo, s23
	s_delay_alu instid0(SALU_CYCLE_1)
	s_and_not1_b32 exec_lo, exec_lo, s23
	s_cbranch_execnz .LBB893_59
; %bb.62:                               ;   in Loop: Header=BB893_56 Depth=1
	s_or_b32 exec_lo, exec_lo, s23
	s_branch .LBB893_55
.LBB893_63:                             ;   in Loop: Header=BB893_56 Depth=1
                                        ; implicit-def: $vgpr4
                                        ; implicit-def: $vgpr5
	s_cbranch_execz .LBB893_56
; %bb.64:
	s_and_saveexec_b32 s22, s7
	s_cbranch_execz .LBB893_66
; %bb.65:
	s_add_i32 s24, s20, 32
	s_mov_b32 s25, 0
	v_dual_mov_b32 v3, 2 :: v_dual_add_nc_u32 v2, v16, v1
	s_lshl_b64 s[24:25], s[24:25], 3
	v_mov_b32_e32 v4, 0
	v_add_nc_u32_e64 v5, 0x3400, 0
	s_add_u32 s24, s18, s24
	s_addc_u32 s25, s19, s25
	global_store_b64 v4, v[2:3], s[24:25]
	ds_store_2addr_b32 v5, v1, v16 offset1:2
.LBB893_66:
	s_or_b32 exec_lo, exec_lo, s22
	s_delay_alu instid0(SALU_CYCLE_1)
	s_and_b32 exec_lo, exec_lo, s2
	s_cbranch_execz .LBB893_68
; %bb.67:
	v_mov_b32_e32 v1, 0
	ds_store_b32 v1, v16 offset:28
.LBB893_68:
	s_or_b32 exec_lo, exec_lo, s21
	v_mov_b32_e32 v1, 0
	s_waitcnt lgkmcnt(0)
	s_waitcnt_vscnt null, 0x0
	s_barrier
	buffer_gl0_inv
	v_cndmask_b32_e64 v2, v9, v8, s7
	ds_load_b32 v1, v1 offset:28
	v_add_nc_u32_e64 v11, 0x3400, 0
	s_waitcnt lgkmcnt(0)
	s_barrier
	v_cndmask_b32_e64 v2, v2, 0, s2
	buffer_gl0_inv
	ds_load_2addr_b32 v[16:17], v11 offset1:2
	v_add_nc_u32_e32 v1, v1, v2
	s_delay_alu instid0(VALU_DEP_1) | instskip(NEXT) | instid1(VALU_DEP_1)
	v_add_nc_u32_e32 v2, v1, v44
	v_add_nc_u32_e32 v3, v2, v45
	s_delay_alu instid0(VALU_DEP_1) | instskip(NEXT) | instid1(VALU_DEP_1)
	v_add_nc_u32_e32 v4, v3, v46
	;; [unrolled: 3-line block ×6, first 2 shown]
	v_add_nc_u32_e32 v13, v12, v39
	s_branch .LBB893_79
.LBB893_69:
                                        ; implicit-def: $vgpr17
                                        ; implicit-def: $vgpr1_vgpr2_vgpr3_vgpr4_vgpr5_vgpr6_vgpr7_vgpr8_vgpr9_vgpr10_vgpr11_vgpr12_vgpr13_vgpr14_vgpr15_vgpr16
	s_and_b32 vcc_lo, exec_lo, s7
	s_cbranch_vccz .LBB893_79
; %bb.70:
	s_delay_alu instid0(VALU_DEP_1) | instskip(NEXT) | instid1(VALU_DEP_1)
	v_mov_b32_dpp v1, v55 row_shr:1 row_mask:0xf bank_mask:0xf
	v_cndmask_b32_e64 v1, v1, 0, s6
	s_delay_alu instid0(VALU_DEP_1) | instskip(NEXT) | instid1(VALU_DEP_1)
	v_add_nc_u32_e32 v1, v1, v55
	v_mov_b32_dpp v2, v1 row_shr:2 row_mask:0xf bank_mask:0xf
	s_delay_alu instid0(VALU_DEP_1) | instskip(NEXT) | instid1(VALU_DEP_1)
	v_cndmask_b32_e64 v2, 0, v2, s5
	v_add_nc_u32_e32 v1, v1, v2
	s_delay_alu instid0(VALU_DEP_1) | instskip(NEXT) | instid1(VALU_DEP_1)
	v_mov_b32_dpp v2, v1 row_shr:4 row_mask:0xf bank_mask:0xf
	v_cndmask_b32_e64 v2, 0, v2, s4
	s_delay_alu instid0(VALU_DEP_1) | instskip(NEXT) | instid1(VALU_DEP_1)
	v_add_nc_u32_e32 v1, v1, v2
	v_mov_b32_dpp v2, v1 row_shr:8 row_mask:0xf bank_mask:0xf
	s_delay_alu instid0(VALU_DEP_1) | instskip(NEXT) | instid1(VALU_DEP_1)
	v_cndmask_b32_e64 v2, 0, v2, s3
	v_add_nc_u32_e32 v1, v1, v2
	ds_swizzle_b32 v2, v1 offset:swizzle(BROADCAST,32,15)
	s_waitcnt lgkmcnt(0)
	v_cndmask_b32_e64 v2, v2, 0, s1
	s_delay_alu instid0(VALU_DEP_1)
	v_add_nc_u32_e32 v1, v1, v2
	s_and_saveexec_b32 s1, s0
	s_cbranch_execz .LBB893_72
; %bb.71:
	v_lshlrev_b32_e32 v2, 2, v54
	ds_store_b32 v2, v1
.LBB893_72:
	s_or_b32 exec_lo, exec_lo, s1
	s_delay_alu instid0(SALU_CYCLE_1)
	s_mov_b32 s0, exec_lo
	s_waitcnt lgkmcnt(0)
	s_barrier
	buffer_gl0_inv
	v_cmpx_gt_u32_e32 8, v0
	s_cbranch_execz .LBB893_74
; %bb.73:
	ds_load_b32 v2, v33
	s_waitcnt lgkmcnt(0)
	v_mov_b32_dpp v4, v2 row_shr:1 row_mask:0xf bank_mask:0xf
	v_and_b32_e32 v3, 7, v53
	s_delay_alu instid0(VALU_DEP_1) | instskip(NEXT) | instid1(VALU_DEP_3)
	v_cmp_ne_u32_e32 vcc_lo, 0, v3
	v_cndmask_b32_e32 v4, 0, v4, vcc_lo
	v_cmp_lt_u32_e32 vcc_lo, 1, v3
	s_delay_alu instid0(VALU_DEP_2) | instskip(NEXT) | instid1(VALU_DEP_1)
	v_add_nc_u32_e32 v2, v4, v2
	v_mov_b32_dpp v4, v2 row_shr:2 row_mask:0xf bank_mask:0xf
	s_delay_alu instid0(VALU_DEP_1) | instskip(SKIP_1) | instid1(VALU_DEP_2)
	v_cndmask_b32_e32 v4, 0, v4, vcc_lo
	v_cmp_lt_u32_e32 vcc_lo, 3, v3
	v_add_nc_u32_e32 v2, v2, v4
	s_delay_alu instid0(VALU_DEP_1) | instskip(NEXT) | instid1(VALU_DEP_1)
	v_mov_b32_dpp v4, v2 row_shr:4 row_mask:0xf bank_mask:0xf
	v_cndmask_b32_e32 v3, 0, v4, vcc_lo
	s_delay_alu instid0(VALU_DEP_1)
	v_add_nc_u32_e32 v2, v2, v3
	ds_store_b32 v33, v2
.LBB893_74:
	s_or_b32 exec_lo, exec_lo, s0
	v_dual_mov_b32 v3, 0 :: v_dual_mov_b32 v2, 0
	s_mov_b32 s0, exec_lo
	s_waitcnt lgkmcnt(0)
	s_barrier
	buffer_gl0_inv
	v_cmpx_lt_u32_e32 31, v0
	s_cbranch_execz .LBB893_76
; %bb.75:
	v_lshl_add_u32 v2, v54, 2, -4
	ds_load_b32 v2, v2
.LBB893_76:
	s_or_b32 exec_lo, exec_lo, s0
	v_add_nc_u32_e32 v4, -1, v53
	s_waitcnt lgkmcnt(0)
	v_add_nc_u32_e32 v1, v2, v1
	ds_load_b32 v16, v3 offset:28
	v_cmp_gt_i32_e32 vcc_lo, 0, v4
	v_cndmask_b32_e32 v4, v4, v53, vcc_lo
	s_delay_alu instid0(VALU_DEP_1)
	v_lshlrev_b32_e32 v4, 2, v4
	ds_bpermute_b32 v1, v4, v1
	s_and_saveexec_b32 s0, s2
	s_cbranch_execz .LBB893_78
; %bb.77:
	v_mov_b32_e32 v3, 0
	v_mov_b32_e32 v17, 2
	s_waitcnt lgkmcnt(1)
	global_store_b64 v3, v[16:17], s[18:19] offset:256
.LBB893_78:
	s_or_b32 exec_lo, exec_lo, s0
	v_cmp_eq_u32_e32 vcc_lo, 0, v53
	s_waitcnt lgkmcnt(0)
	s_waitcnt_vscnt null, 0x0
	s_barrier
	buffer_gl0_inv
	v_mov_b32_e32 v17, 0
	v_cndmask_b32_e32 v1, v1, v2, vcc_lo
	s_delay_alu instid0(VALU_DEP_1) | instskip(NEXT) | instid1(VALU_DEP_1)
	v_cndmask_b32_e64 v1, v1, 0, s2
	v_add_nc_u32_e32 v2, v1, v44
	s_delay_alu instid0(VALU_DEP_1) | instskip(NEXT) | instid1(VALU_DEP_1)
	v_add_nc_u32_e32 v3, v2, v45
	v_add_nc_u32_e32 v4, v3, v46
	s_delay_alu instid0(VALU_DEP_1) | instskip(NEXT) | instid1(VALU_DEP_1)
	v_add_nc_u32_e32 v5, v4, v43
	;; [unrolled: 3-line block ×5, first 2 shown]
	v_add_nc_u32_e32 v12, v11, v52
	s_delay_alu instid0(VALU_DEP_1)
	v_add_nc_u32_e32 v13, v12, v39
.LBB893_79:
	s_waitcnt lgkmcnt(0)
	v_sub_nc_u32_e32 v1, v1, v17
	v_sub_nc_u32_e32 v2, v2, v17
	v_add_nc_u32_e32 v36, v16, v36
	v_lshrrev_b32_e32 v47, 8, v42
	v_lshrrev_b32_e32 v46, 16, v42
	v_sub_nc_u32_e32 v4, v4, v17
	v_sub_nc_u32_e32 v3, v3, v17
	;; [unrolled: 1-line block ×3, first 2 shown]
	v_and_b32_e32 v42, 1, v42
	v_and_b32_e32 v47, 1, v47
	;; [unrolled: 1-line block ×3, first 2 shown]
	v_lshrrev_b32_e32 v45, 8, v40
	v_lshrrev_b32_e32 v44, 16, v40
	v_cmp_eq_u32_e32 vcc_lo, 1, v42
	v_and_b32_e32 v42, 1, v46
	v_sub_nc_u32_e32 v46, v36, v2
	v_lshrrev_b32_e32 v15, 8, v38
	v_lshrrev_b32_e32 v14, 16, v38
	v_cndmask_b32_e32 v1, v48, v1, vcc_lo
	v_cmp_eq_u32_e32 vcc_lo, 1, v47
	v_add_nc_u32_e32 v46, 1, v46
	s_delay_alu instid0(VALU_DEP_3)
	v_lshlrev_b32_e32 v1, 2, v1
	ds_store_b32 v1, v30
	v_cndmask_b32_e32 v1, v46, v2, vcc_lo
	v_sub_nc_u32_e32 v48, v36, v3
	v_sub_nc_u32_e32 v49, v36, v4
	v_cmp_eq_u32_e32 vcc_lo, 1, v42
	v_or_b32_e32 v30, 0x300, v0
	v_lshlrev_b32_e32 v1, 2, v1
	v_add_nc_u32_e32 v48, 2, v48
	v_add_nc_u32_e32 v49, 3, v49
	ds_store_b32 v1, v31
	v_cndmask_b32_e32 v2, v48, v3, vcc_lo
	v_cmp_eq_u32_e32 vcc_lo, 1, v43
	v_or_b32_e32 v31, 0x200, v0
	s_delay_alu instid0(VALU_DEP_3) | instskip(SKIP_2) | instid1(VALU_DEP_3)
	v_dual_cndmask_b32 v3, v49, v4 :: v_dual_lshlrev_b32 v2, 2, v2
	v_sub_nc_u32_e32 v4, v5, v17
	v_sub_nc_u32_e32 v5, v6, v17
	v_lshlrev_b32_e32 v3, 2, v3
	s_delay_alu instid0(VALU_DEP_3) | instskip(NEXT) | instid1(VALU_DEP_3)
	v_sub_nc_u32_e32 v1, v36, v4
	v_sub_nc_u32_e32 v6, v36, v5
	ds_store_b32 v2, v28
	ds_store_b32 v3, v29
	v_and_b32_e32 v2, 1, v40
	v_add_nc_u32_e32 v1, 4, v1
	v_add_nc_u32_e32 v3, 5, v6
	v_sub_nc_u32_e32 v6, v7, v17
	v_and_b32_e32 v7, 1, v45
	v_cmp_eq_u32_e32 vcc_lo, 1, v2
	v_sub_nc_u32_e32 v2, v8, v17
	v_and_b32_e32 v8, 1, v41
	v_or_b32_e32 v29, 0x400, v0
	v_or_b32_e32 v28, 0x500, v0
	v_cndmask_b32_e32 v1, v1, v4, vcc_lo
	v_sub_nc_u32_e32 v4, v36, v6
	v_cmp_eq_u32_e32 vcc_lo, 1, v7
	v_and_b32_e32 v7, 1, v44
	s_delay_alu instid0(VALU_DEP_4) | instskip(NEXT) | instid1(VALU_DEP_4)
	v_lshlrev_b32_e32 v1, 2, v1
	v_dual_cndmask_b32 v3, v3, v5 :: v_dual_add_nc_u32 v4, 6, v4
	v_sub_nc_u32_e32 v5, v36, v2
	s_delay_alu instid0(VALU_DEP_4) | instskip(SKIP_2) | instid1(VALU_DEP_4)
	v_cmp_eq_u32_e32 vcc_lo, 1, v7
	v_sub_nc_u32_e32 v7, v13, v17
	v_add_co_u32 v13, s0, s16, v32
	v_dual_cndmask_b32 v4, v4, v6 :: v_dual_add_nc_u32 v5, 7, v5
	v_cmp_eq_u32_e32 vcc_lo, 1, v8
	v_sub_nc_u32_e32 v6, v9, v17
	v_lshlrev_b32_e32 v3, 2, v3
	ds_store_b32 v1, v26
	ds_store_b32 v3, v27
	v_cndmask_b32_e32 v2, v5, v2, vcc_lo
	v_sub_nc_u32_e32 v1, v36, v6
	v_lshlrev_b32_e32 v3, 2, v4
	v_and_b32_e32 v5, 1, v38
	v_sub_nc_u32_e32 v4, v10, v17
	v_lshlrev_b32_e32 v2, 2, v2
	v_add_nc_u32_e32 v1, 8, v1
	ds_store_b32 v3, v24
	ds_store_b32 v2, v25
	v_cmp_eq_u32_e32 vcc_lo, 1, v5
	v_sub_nc_u32_e32 v3, v11, v17
	v_sub_nc_u32_e32 v2, v36, v4
	;; [unrolled: 1-line block ×3, first 2 shown]
	v_dual_cndmask_b32 v1, v1, v6 :: v_dual_and_b32 v10, 1, v39
	v_and_b32_e32 v6, 1, v15
	v_sub_nc_u32_e32 v8, v36, v3
	v_add_nc_u32_e32 v2, 9, v2
	v_sub_nc_u32_e32 v9, v36, v5
	v_and_b32_e32 v11, 1, v37
	v_cmp_eq_u32_e32 vcc_lo, 1, v6
	v_add_nc_u32_e32 v6, 10, v8
	v_and_b32_e32 v8, 1, v14
	v_add_nc_u32_e32 v9, 11, v9
	v_dual_cndmask_b32 v2, v2, v4 :: v_dual_lshlrev_b32 v1, 2, v1
	v_sub_nc_u32_e32 v4, v36, v7
	s_delay_alu instid0(VALU_DEP_4) | instskip(SKIP_1) | instid1(VALU_DEP_4)
	v_cmp_eq_u32_e32 vcc_lo, 1, v8
	v_add_co_ci_u32_e64 v14, null, s17, 0, s0
	v_lshlrev_b32_e32 v2, 2, v2
	s_delay_alu instid0(VALU_DEP_4)
	v_dual_cndmask_b32 v3, v6, v3 :: v_dual_add_nc_u32 v4, 12, v4
	v_cmp_eq_u32_e32 vcc_lo, 1, v10
	v_or_b32_e32 v27, 0x600, v0
	v_or_b32_e32 v26, 0x700, v0
	;; [unrolled: 1-line block ×3, first 2 shown]
	v_lshlrev_b32_e32 v3, 2, v3
	v_cndmask_b32_e32 v5, v9, v5, vcc_lo
	v_cmp_eq_u32_e32 vcc_lo, 1, v11
	v_or_b32_e32 v24, 0x900, v0
	s_delay_alu instid0(VALU_DEP_3) | instskip(SKIP_2) | instid1(VALU_DEP_3)
	v_dual_cndmask_b32 v4, v4, v7 :: v_dual_lshlrev_b32 v5, 2, v5
	v_sub_co_u32 v13, vcc_lo, s14, v13
	v_sub_co_ci_u32_e32 v14, vcc_lo, s15, v14, vcc_lo
	v_lshlrev_b32_e32 v4, 2, v4
	ds_store_b32 v1, v22
	ds_store_b32 v2, v23
	;; [unrolled: 1-line block ×5, first 2 shown]
	s_waitcnt lgkmcnt(0)
	s_barrier
	buffer_gl0_inv
	ds_load_2addr_stride64_b32 v[11:12], v33 offset1:4
	ds_load_2addr_stride64_b32 v[9:10], v33 offset0:8 offset1:12
	ds_load_2addr_stride64_b32 v[7:8], v33 offset0:16 offset1:20
	;; [unrolled: 1-line block ×5, first 2 shown]
	ds_load_b32 v20, v33 offset:12288
	v_add_co_u32 v15, vcc_lo, v18, v17
	v_add_co_ci_u32_e32 v17, vcc_lo, 0, v19, vcc_lo
	v_add_co_u32 v13, vcc_lo, v13, v16
	v_add_co_ci_u32_e32 v14, vcc_lo, 0, v14, vcc_lo
	v_cmp_ne_u32_e32 vcc_lo, 1, v34
	s_delay_alu instid0(VALU_DEP_3)
	v_add_co_u32 v18, s0, v13, v15
	v_or_b32_e32 v35, 0x100, v0
	v_or_b32_e32 v23, 0xa00, v0
	v_or_b32_e32 v22, 0xb00, v0
	v_or_b32_e32 v21, 0xc00, v0
	v_add_co_ci_u32_e64 v19, s0, v14, v17, s0
	s_mov_b32 s0, 0
	s_cbranch_vccnz .LBB893_136
; %bb.80:
	s_mov_b32 s0, exec_lo
                                        ; implicit-def: $vgpr13_vgpr14
	v_cmpx_ge_u32_e64 v0, v16
	s_xor_b32 s0, exec_lo, s0
; %bb.81:
	v_not_b32_e32 v13, v0
	s_delay_alu instid0(VALU_DEP_1) | instskip(SKIP_1) | instid1(VALU_DEP_2)
	v_ashrrev_i32_e32 v14, 31, v13
	v_add_co_u32 v13, vcc_lo, v18, v13
	v_add_co_ci_u32_e32 v14, vcc_lo, v19, v14, vcc_lo
; %bb.82:
	s_and_not1_saveexec_b32 s0, s0
; %bb.83:
	v_add_co_u32 v13, vcc_lo, v15, v0
	v_add_co_ci_u32_e32 v14, vcc_lo, 0, v17, vcc_lo
; %bb.84:
	s_or_b32 exec_lo, exec_lo, s0
	s_delay_alu instid0(VALU_DEP_1) | instskip(SKIP_1) | instid1(VALU_DEP_1)
	v_lshlrev_b64 v[13:14], 2, v[13:14]
	s_mov_b32 s0, exec_lo
	v_add_co_u32 v13, vcc_lo, s12, v13
	s_delay_alu instid0(VALU_DEP_2)
	v_add_co_ci_u32_e32 v14, vcc_lo, s13, v14, vcc_lo
	s_waitcnt lgkmcnt(6)
	global_store_b32 v[13:14], v11, off
                                        ; implicit-def: $vgpr13_vgpr14
	v_cmpx_ge_u32_e64 v35, v16
	s_xor_b32 s0, exec_lo, s0
; %bb.85:
	v_xor_b32_e32 v13, 0xfffffeff, v0
	s_delay_alu instid0(VALU_DEP_1) | instskip(SKIP_1) | instid1(VALU_DEP_2)
	v_ashrrev_i32_e32 v14, 31, v13
	v_add_co_u32 v13, vcc_lo, v18, v13
	v_add_co_ci_u32_e32 v14, vcc_lo, v19, v14, vcc_lo
; %bb.86:
	s_and_not1_saveexec_b32 s0, s0
; %bb.87:
	v_add_co_u32 v13, vcc_lo, v15, v35
	v_add_co_ci_u32_e32 v14, vcc_lo, 0, v17, vcc_lo
; %bb.88:
	s_or_b32 exec_lo, exec_lo, s0
	s_delay_alu instid0(VALU_DEP_1) | instskip(SKIP_1) | instid1(VALU_DEP_1)
	v_lshlrev_b64 v[13:14], 2, v[13:14]
	s_mov_b32 s0, exec_lo
	v_add_co_u32 v13, vcc_lo, s12, v13
	s_delay_alu instid0(VALU_DEP_2)
	v_add_co_ci_u32_e32 v14, vcc_lo, s13, v14, vcc_lo
	global_store_b32 v[13:14], v12, off
                                        ; implicit-def: $vgpr13_vgpr14
	v_cmpx_ge_u32_e64 v31, v16
	s_xor_b32 s0, exec_lo, s0
; %bb.89:
	v_xor_b32_e32 v13, 0xfffffdff, v0
	s_delay_alu instid0(VALU_DEP_1) | instskip(SKIP_1) | instid1(VALU_DEP_2)
	v_ashrrev_i32_e32 v14, 31, v13
	v_add_co_u32 v13, vcc_lo, v18, v13
	v_add_co_ci_u32_e32 v14, vcc_lo, v19, v14, vcc_lo
; %bb.90:
	s_and_not1_saveexec_b32 s0, s0
; %bb.91:
	v_add_co_u32 v13, vcc_lo, v15, v31
	v_add_co_ci_u32_e32 v14, vcc_lo, 0, v17, vcc_lo
; %bb.92:
	s_or_b32 exec_lo, exec_lo, s0
	s_delay_alu instid0(VALU_DEP_1) | instskip(SKIP_1) | instid1(VALU_DEP_1)
	v_lshlrev_b64 v[13:14], 2, v[13:14]
	s_mov_b32 s0, exec_lo
	v_add_co_u32 v13, vcc_lo, s12, v13
	s_delay_alu instid0(VALU_DEP_2)
	v_add_co_ci_u32_e32 v14, vcc_lo, s13, v14, vcc_lo
	s_waitcnt lgkmcnt(5)
	global_store_b32 v[13:14], v9, off
                                        ; implicit-def: $vgpr13_vgpr14
	v_cmpx_ge_u32_e64 v30, v16
	s_xor_b32 s0, exec_lo, s0
; %bb.93:
	v_xor_b32_e32 v13, 0xfffffcff, v0
	s_delay_alu instid0(VALU_DEP_1) | instskip(SKIP_1) | instid1(VALU_DEP_2)
	v_ashrrev_i32_e32 v14, 31, v13
	v_add_co_u32 v13, vcc_lo, v18, v13
	v_add_co_ci_u32_e32 v14, vcc_lo, v19, v14, vcc_lo
; %bb.94:
	s_and_not1_saveexec_b32 s0, s0
; %bb.95:
	v_add_co_u32 v13, vcc_lo, v15, v30
	v_add_co_ci_u32_e32 v14, vcc_lo, 0, v17, vcc_lo
; %bb.96:
	s_or_b32 exec_lo, exec_lo, s0
	s_delay_alu instid0(VALU_DEP_1) | instskip(SKIP_1) | instid1(VALU_DEP_1)
	v_lshlrev_b64 v[13:14], 2, v[13:14]
	s_mov_b32 s0, exec_lo
	v_add_co_u32 v13, vcc_lo, s12, v13
	s_delay_alu instid0(VALU_DEP_2)
	v_add_co_ci_u32_e32 v14, vcc_lo, s13, v14, vcc_lo
	global_store_b32 v[13:14], v10, off
                                        ; implicit-def: $vgpr13_vgpr14
	v_cmpx_ge_u32_e64 v29, v16
	s_xor_b32 s0, exec_lo, s0
; %bb.97:
	v_xor_b32_e32 v13, 0xfffffbff, v0
	;; [unrolled: 47-line block ×6, first 2 shown]
	s_delay_alu instid0(VALU_DEP_1) | instskip(SKIP_1) | instid1(VALU_DEP_2)
	v_ashrrev_i32_e32 v14, 31, v13
	v_add_co_u32 v13, vcc_lo, v18, v13
	v_add_co_ci_u32_e32 v14, vcc_lo, v19, v14, vcc_lo
; %bb.130:
	s_and_not1_saveexec_b32 s0, s0
; %bb.131:
	v_add_co_u32 v13, vcc_lo, v15, v21
	v_add_co_ci_u32_e32 v14, vcc_lo, 0, v17, vcc_lo
; %bb.132:
	s_or_b32 exec_lo, exec_lo, s0
	s_mov_b32 s0, -1
.LBB893_133:
	s_delay_alu instid0(SALU_CYCLE_1)
	s_and_saveexec_b32 s1, s0
	s_cbranch_execz .LBB893_216
.LBB893_134:
	s_waitcnt lgkmcnt(1)
	v_lshlrev_b64 v[0:1], 2, v[13:14]
	s_delay_alu instid0(VALU_DEP_1) | instskip(NEXT) | instid1(VALU_DEP_2)
	v_add_co_u32 v0, vcc_lo, s12, v0
	v_add_co_ci_u32_e32 v1, vcc_lo, s13, v1, vcc_lo
	s_waitcnt lgkmcnt(0)
	global_store_b32 v[0:1], v20, off
	s_or_b32 exec_lo, exec_lo, s1
	s_and_b32 s0, s2, s10
	s_delay_alu instid0(SALU_CYCLE_1)
	s_and_saveexec_b32 s1, s0
	s_cbranch_execnz .LBB893_217
.LBB893_135:
	s_nop 0
	s_sendmsg sendmsg(MSG_DEALLOC_VGPRS)
	s_endpgm
.LBB893_136:
                                        ; implicit-def: $vgpr13_vgpr14
	s_cbranch_execz .LBB893_133
; %bb.137:
	s_mov_b32 s1, exec_lo
	v_cmpx_gt_u32_e64 s11, v0
	s_cbranch_execz .LBB893_173
; %bb.138:
	s_mov_b32 s3, exec_lo
                                        ; implicit-def: $vgpr13_vgpr14
	v_cmpx_ge_u32_e64 v0, v16
	s_xor_b32 s3, exec_lo, s3
; %bb.139:
	v_not_b32_e32 v13, v0
	s_delay_alu instid0(VALU_DEP_1) | instskip(SKIP_1) | instid1(VALU_DEP_2)
	v_ashrrev_i32_e32 v14, 31, v13
	v_add_co_u32 v13, vcc_lo, v18, v13
	v_add_co_ci_u32_e32 v14, vcc_lo, v19, v14, vcc_lo
; %bb.140:
	s_and_not1_saveexec_b32 s3, s3
; %bb.141:
	v_add_co_u32 v13, vcc_lo, v15, v0
	v_add_co_ci_u32_e32 v14, vcc_lo, 0, v17, vcc_lo
; %bb.142:
	s_or_b32 exec_lo, exec_lo, s3
	s_delay_alu instid0(VALU_DEP_1) | instskip(NEXT) | instid1(VALU_DEP_1)
	v_lshlrev_b64 v[13:14], 2, v[13:14]
	v_add_co_u32 v13, vcc_lo, s12, v13
	s_delay_alu instid0(VALU_DEP_2) | instskip(SKIP_3) | instid1(SALU_CYCLE_1)
	v_add_co_ci_u32_e32 v14, vcc_lo, s13, v14, vcc_lo
	s_waitcnt lgkmcnt(6)
	global_store_b32 v[13:14], v11, off
	s_or_b32 exec_lo, exec_lo, s1
	s_mov_b32 s1, exec_lo
	v_cmpx_gt_u32_e64 s11, v35
	s_cbranch_execnz .LBB893_174
.LBB893_143:
	s_or_b32 exec_lo, exec_lo, s1
	s_delay_alu instid0(SALU_CYCLE_1)
	s_mov_b32 s1, exec_lo
	v_cmpx_gt_u32_e64 s11, v31
	s_cbranch_execz .LBB893_179
.LBB893_144:
	s_mov_b32 s3, exec_lo
                                        ; implicit-def: $vgpr11_vgpr12
	v_cmpx_ge_u32_e64 v31, v16
	s_xor_b32 s3, exec_lo, s3
	s_cbranch_execz .LBB893_146
; %bb.145:
	s_waitcnt lgkmcnt(6)
	v_xor_b32_e32 v11, 0xfffffdff, v0
                                        ; implicit-def: $vgpr31
	s_delay_alu instid0(VALU_DEP_1) | instskip(SKIP_1) | instid1(VALU_DEP_2)
	v_ashrrev_i32_e32 v12, 31, v11
	v_add_co_u32 v11, vcc_lo, v18, v11
	v_add_co_ci_u32_e32 v12, vcc_lo, v19, v12, vcc_lo
.LBB893_146:
	s_and_not1_saveexec_b32 s3, s3
	s_cbranch_execz .LBB893_148
; %bb.147:
	s_waitcnt lgkmcnt(6)
	v_add_co_u32 v11, vcc_lo, v15, v31
	v_add_co_ci_u32_e32 v12, vcc_lo, 0, v17, vcc_lo
.LBB893_148:
	s_or_b32 exec_lo, exec_lo, s3
	s_waitcnt lgkmcnt(6)
	s_delay_alu instid0(VALU_DEP_1) | instskip(NEXT) | instid1(VALU_DEP_1)
	v_lshlrev_b64 v[11:12], 2, v[11:12]
	v_add_co_u32 v11, vcc_lo, s12, v11
	s_delay_alu instid0(VALU_DEP_2) | instskip(SKIP_3) | instid1(SALU_CYCLE_1)
	v_add_co_ci_u32_e32 v12, vcc_lo, s13, v12, vcc_lo
	s_waitcnt lgkmcnt(5)
	global_store_b32 v[11:12], v9, off
	s_or_b32 exec_lo, exec_lo, s1
	s_mov_b32 s1, exec_lo
	v_cmpx_gt_u32_e64 s11, v30
	s_cbranch_execnz .LBB893_180
.LBB893_149:
	s_or_b32 exec_lo, exec_lo, s1
	s_delay_alu instid0(SALU_CYCLE_1)
	s_mov_b32 s1, exec_lo
	v_cmpx_gt_u32_e64 s11, v29
	s_cbranch_execz .LBB893_185
.LBB893_150:
	s_mov_b32 s3, exec_lo
                                        ; implicit-def: $vgpr9_vgpr10
	v_cmpx_ge_u32_e64 v29, v16
	s_xor_b32 s3, exec_lo, s3
	s_cbranch_execz .LBB893_152
; %bb.151:
	s_waitcnt lgkmcnt(5)
	v_xor_b32_e32 v9, 0xfffffbff, v0
                                        ; implicit-def: $vgpr29
	s_delay_alu instid0(VALU_DEP_1) | instskip(SKIP_1) | instid1(VALU_DEP_2)
	v_ashrrev_i32_e32 v10, 31, v9
	v_add_co_u32 v9, vcc_lo, v18, v9
	v_add_co_ci_u32_e32 v10, vcc_lo, v19, v10, vcc_lo
.LBB893_152:
	s_and_not1_saveexec_b32 s3, s3
	s_cbranch_execz .LBB893_154
; %bb.153:
	s_waitcnt lgkmcnt(5)
	v_add_co_u32 v9, vcc_lo, v15, v29
	v_add_co_ci_u32_e32 v10, vcc_lo, 0, v17, vcc_lo
.LBB893_154:
	s_or_b32 exec_lo, exec_lo, s3
	s_waitcnt lgkmcnt(5)
	s_delay_alu instid0(VALU_DEP_1) | instskip(NEXT) | instid1(VALU_DEP_1)
	v_lshlrev_b64 v[9:10], 2, v[9:10]
	v_add_co_u32 v9, vcc_lo, s12, v9
	s_delay_alu instid0(VALU_DEP_2) | instskip(SKIP_3) | instid1(SALU_CYCLE_1)
	v_add_co_ci_u32_e32 v10, vcc_lo, s13, v10, vcc_lo
	s_waitcnt lgkmcnt(4)
	global_store_b32 v[9:10], v7, off
	s_or_b32 exec_lo, exec_lo, s1
	s_mov_b32 s1, exec_lo
	v_cmpx_gt_u32_e64 s11, v28
	s_cbranch_execnz .LBB893_186
.LBB893_155:
	s_or_b32 exec_lo, exec_lo, s1
	s_delay_alu instid0(SALU_CYCLE_1)
	s_mov_b32 s1, exec_lo
	v_cmpx_gt_u32_e64 s11, v27
	s_cbranch_execz .LBB893_191
.LBB893_156:
	s_mov_b32 s3, exec_lo
                                        ; implicit-def: $vgpr7_vgpr8
	v_cmpx_ge_u32_e64 v27, v16
	s_xor_b32 s3, exec_lo, s3
	s_cbranch_execz .LBB893_158
; %bb.157:
	s_waitcnt lgkmcnt(4)
	v_xor_b32_e32 v7, 0xfffff9ff, v0
                                        ; implicit-def: $vgpr27
	s_delay_alu instid0(VALU_DEP_1) | instskip(SKIP_1) | instid1(VALU_DEP_2)
	v_ashrrev_i32_e32 v8, 31, v7
	v_add_co_u32 v7, vcc_lo, v18, v7
	v_add_co_ci_u32_e32 v8, vcc_lo, v19, v8, vcc_lo
.LBB893_158:
	s_and_not1_saveexec_b32 s3, s3
	s_cbranch_execz .LBB893_160
; %bb.159:
	s_waitcnt lgkmcnt(4)
	v_add_co_u32 v7, vcc_lo, v15, v27
	v_add_co_ci_u32_e32 v8, vcc_lo, 0, v17, vcc_lo
.LBB893_160:
	s_or_b32 exec_lo, exec_lo, s3
	s_waitcnt lgkmcnt(4)
	s_delay_alu instid0(VALU_DEP_1) | instskip(NEXT) | instid1(VALU_DEP_1)
	v_lshlrev_b64 v[7:8], 2, v[7:8]
	v_add_co_u32 v7, vcc_lo, s12, v7
	s_delay_alu instid0(VALU_DEP_2) | instskip(SKIP_3) | instid1(SALU_CYCLE_1)
	v_add_co_ci_u32_e32 v8, vcc_lo, s13, v8, vcc_lo
	s_waitcnt lgkmcnt(3)
	global_store_b32 v[7:8], v5, off
	s_or_b32 exec_lo, exec_lo, s1
	s_mov_b32 s1, exec_lo
	v_cmpx_gt_u32_e64 s11, v26
	s_cbranch_execnz .LBB893_192
.LBB893_161:
	s_or_b32 exec_lo, exec_lo, s1
	s_delay_alu instid0(SALU_CYCLE_1)
	s_mov_b32 s1, exec_lo
	v_cmpx_gt_u32_e64 s11, v25
	s_cbranch_execz .LBB893_197
.LBB893_162:
	s_mov_b32 s3, exec_lo
                                        ; implicit-def: $vgpr5_vgpr6
	v_cmpx_ge_u32_e64 v25, v16
	s_xor_b32 s3, exec_lo, s3
	s_cbranch_execz .LBB893_164
; %bb.163:
	s_waitcnt lgkmcnt(3)
	v_xor_b32_e32 v5, 0xfffff7ff, v0
                                        ; implicit-def: $vgpr25
	s_delay_alu instid0(VALU_DEP_1) | instskip(SKIP_1) | instid1(VALU_DEP_2)
	v_ashrrev_i32_e32 v6, 31, v5
	v_add_co_u32 v5, vcc_lo, v18, v5
	v_add_co_ci_u32_e32 v6, vcc_lo, v19, v6, vcc_lo
.LBB893_164:
	s_and_not1_saveexec_b32 s3, s3
	s_cbranch_execz .LBB893_166
; %bb.165:
	s_waitcnt lgkmcnt(3)
	v_add_co_u32 v5, vcc_lo, v15, v25
	v_add_co_ci_u32_e32 v6, vcc_lo, 0, v17, vcc_lo
.LBB893_166:
	s_or_b32 exec_lo, exec_lo, s3
	s_waitcnt lgkmcnt(3)
	s_delay_alu instid0(VALU_DEP_1) | instskip(NEXT) | instid1(VALU_DEP_1)
	v_lshlrev_b64 v[5:6], 2, v[5:6]
	v_add_co_u32 v5, vcc_lo, s12, v5
	s_delay_alu instid0(VALU_DEP_2) | instskip(SKIP_3) | instid1(SALU_CYCLE_1)
	v_add_co_ci_u32_e32 v6, vcc_lo, s13, v6, vcc_lo
	s_waitcnt lgkmcnt(2)
	global_store_b32 v[5:6], v3, off
	s_or_b32 exec_lo, exec_lo, s1
	s_mov_b32 s1, exec_lo
	v_cmpx_gt_u32_e64 s11, v24
	s_cbranch_execnz .LBB893_198
.LBB893_167:
	s_or_b32 exec_lo, exec_lo, s1
	s_delay_alu instid0(SALU_CYCLE_1)
	s_mov_b32 s1, exec_lo
	v_cmpx_gt_u32_e64 s11, v23
	s_cbranch_execz .LBB893_203
.LBB893_168:
	s_mov_b32 s3, exec_lo
                                        ; implicit-def: $vgpr3_vgpr4
	v_cmpx_ge_u32_e64 v23, v16
	s_xor_b32 s3, exec_lo, s3
	s_cbranch_execz .LBB893_170
; %bb.169:
	s_waitcnt lgkmcnt(2)
	v_xor_b32_e32 v3, 0xfffff5ff, v0
                                        ; implicit-def: $vgpr23
	s_delay_alu instid0(VALU_DEP_1) | instskip(SKIP_1) | instid1(VALU_DEP_2)
	v_ashrrev_i32_e32 v4, 31, v3
	v_add_co_u32 v3, vcc_lo, v18, v3
	v_add_co_ci_u32_e32 v4, vcc_lo, v19, v4, vcc_lo
.LBB893_170:
	s_and_not1_saveexec_b32 s3, s3
	s_cbranch_execz .LBB893_172
; %bb.171:
	s_waitcnt lgkmcnt(2)
	v_add_co_u32 v3, vcc_lo, v15, v23
	v_add_co_ci_u32_e32 v4, vcc_lo, 0, v17, vcc_lo
.LBB893_172:
	s_or_b32 exec_lo, exec_lo, s3
	s_waitcnt lgkmcnt(2)
	s_delay_alu instid0(VALU_DEP_1) | instskip(NEXT) | instid1(VALU_DEP_1)
	v_lshlrev_b64 v[3:4], 2, v[3:4]
	v_add_co_u32 v3, vcc_lo, s12, v3
	s_delay_alu instid0(VALU_DEP_2) | instskip(SKIP_3) | instid1(SALU_CYCLE_1)
	v_add_co_ci_u32_e32 v4, vcc_lo, s13, v4, vcc_lo
	s_waitcnt lgkmcnt(1)
	global_store_b32 v[3:4], v1, off
	s_or_b32 exec_lo, exec_lo, s1
	s_mov_b32 s1, exec_lo
	v_cmpx_gt_u32_e64 s11, v22
	s_cbranch_execz .LBB893_209
	s_branch .LBB893_204
.LBB893_173:
	s_or_b32 exec_lo, exec_lo, s1
	s_delay_alu instid0(SALU_CYCLE_1)
	s_mov_b32 s1, exec_lo
	v_cmpx_gt_u32_e64 s11, v35
	s_cbranch_execz .LBB893_143
.LBB893_174:
	s_mov_b32 s3, exec_lo
                                        ; implicit-def: $vgpr13_vgpr14
	v_cmpx_ge_u32_e64 v35, v16
	s_xor_b32 s3, exec_lo, s3
	s_cbranch_execz .LBB893_176
; %bb.175:
	s_waitcnt lgkmcnt(6)
	v_xor_b32_e32 v11, 0xfffffeff, v0
                                        ; implicit-def: $vgpr35
	s_delay_alu instid0(VALU_DEP_1) | instskip(SKIP_1) | instid1(VALU_DEP_2)
	v_ashrrev_i32_e32 v14, 31, v11
	v_add_co_u32 v13, vcc_lo, v18, v11
	v_add_co_ci_u32_e32 v14, vcc_lo, v19, v14, vcc_lo
.LBB893_176:
	s_and_not1_saveexec_b32 s3, s3
; %bb.177:
	v_add_co_u32 v13, vcc_lo, v15, v35
	v_add_co_ci_u32_e32 v14, vcc_lo, 0, v17, vcc_lo
; %bb.178:
	s_or_b32 exec_lo, exec_lo, s3
	s_delay_alu instid0(VALU_DEP_1) | instskip(NEXT) | instid1(VALU_DEP_1)
	v_lshlrev_b64 v[13:14], 2, v[13:14]
	v_add_co_u32 v13, vcc_lo, s12, v13
	s_delay_alu instid0(VALU_DEP_2) | instskip(SKIP_3) | instid1(SALU_CYCLE_1)
	v_add_co_ci_u32_e32 v14, vcc_lo, s13, v14, vcc_lo
	s_waitcnt lgkmcnt(6)
	global_store_b32 v[13:14], v12, off
	s_or_b32 exec_lo, exec_lo, s1
	s_mov_b32 s1, exec_lo
	v_cmpx_gt_u32_e64 s11, v31
	s_cbranch_execnz .LBB893_144
.LBB893_179:
	s_or_b32 exec_lo, exec_lo, s1
	s_delay_alu instid0(SALU_CYCLE_1)
	s_mov_b32 s1, exec_lo
	v_cmpx_gt_u32_e64 s11, v30
	s_cbranch_execz .LBB893_149
.LBB893_180:
	s_mov_b32 s3, exec_lo
                                        ; implicit-def: $vgpr11_vgpr12
	v_cmpx_ge_u32_e64 v30, v16
	s_xor_b32 s3, exec_lo, s3
	s_cbranch_execz .LBB893_182
; %bb.181:
	s_waitcnt lgkmcnt(5)
	v_xor_b32_e32 v9, 0xfffffcff, v0
                                        ; implicit-def: $vgpr30
	s_delay_alu instid0(VALU_DEP_1) | instskip(SKIP_1) | instid1(VALU_DEP_2)
	v_ashrrev_i32_e32 v12, 31, v9
	v_add_co_u32 v11, vcc_lo, v18, v9
	v_add_co_ci_u32_e32 v12, vcc_lo, v19, v12, vcc_lo
.LBB893_182:
	s_and_not1_saveexec_b32 s3, s3
	s_cbranch_execz .LBB893_184
; %bb.183:
	s_waitcnt lgkmcnt(6)
	v_add_co_u32 v11, vcc_lo, v15, v30
	v_add_co_ci_u32_e32 v12, vcc_lo, 0, v17, vcc_lo
.LBB893_184:
	s_or_b32 exec_lo, exec_lo, s3
	s_waitcnt lgkmcnt(6)
	s_delay_alu instid0(VALU_DEP_1) | instskip(NEXT) | instid1(VALU_DEP_1)
	v_lshlrev_b64 v[11:12], 2, v[11:12]
	v_add_co_u32 v11, vcc_lo, s12, v11
	s_delay_alu instid0(VALU_DEP_2) | instskip(SKIP_3) | instid1(SALU_CYCLE_1)
	v_add_co_ci_u32_e32 v12, vcc_lo, s13, v12, vcc_lo
	s_waitcnt lgkmcnt(5)
	global_store_b32 v[11:12], v10, off
	s_or_b32 exec_lo, exec_lo, s1
	s_mov_b32 s1, exec_lo
	v_cmpx_gt_u32_e64 s11, v29
	s_cbranch_execnz .LBB893_150
.LBB893_185:
	s_or_b32 exec_lo, exec_lo, s1
	s_delay_alu instid0(SALU_CYCLE_1)
	s_mov_b32 s1, exec_lo
	v_cmpx_gt_u32_e64 s11, v28
	s_cbranch_execz .LBB893_155
.LBB893_186:
	s_mov_b32 s3, exec_lo
                                        ; implicit-def: $vgpr9_vgpr10
	v_cmpx_ge_u32_e64 v28, v16
	s_xor_b32 s3, exec_lo, s3
	s_cbranch_execz .LBB893_188
; %bb.187:
	s_waitcnt lgkmcnt(4)
	v_xor_b32_e32 v7, 0xfffffaff, v0
                                        ; implicit-def: $vgpr28
	s_delay_alu instid0(VALU_DEP_1) | instskip(SKIP_1) | instid1(VALU_DEP_2)
	v_ashrrev_i32_e32 v10, 31, v7
	v_add_co_u32 v9, vcc_lo, v18, v7
	v_add_co_ci_u32_e32 v10, vcc_lo, v19, v10, vcc_lo
.LBB893_188:
	s_and_not1_saveexec_b32 s3, s3
	s_cbranch_execz .LBB893_190
; %bb.189:
	s_waitcnt lgkmcnt(5)
	v_add_co_u32 v9, vcc_lo, v15, v28
	v_add_co_ci_u32_e32 v10, vcc_lo, 0, v17, vcc_lo
.LBB893_190:
	s_or_b32 exec_lo, exec_lo, s3
	s_waitcnt lgkmcnt(5)
	s_delay_alu instid0(VALU_DEP_1) | instskip(NEXT) | instid1(VALU_DEP_1)
	v_lshlrev_b64 v[9:10], 2, v[9:10]
	v_add_co_u32 v9, vcc_lo, s12, v9
	s_delay_alu instid0(VALU_DEP_2) | instskip(SKIP_3) | instid1(SALU_CYCLE_1)
	v_add_co_ci_u32_e32 v10, vcc_lo, s13, v10, vcc_lo
	s_waitcnt lgkmcnt(4)
	global_store_b32 v[9:10], v8, off
	s_or_b32 exec_lo, exec_lo, s1
	s_mov_b32 s1, exec_lo
	v_cmpx_gt_u32_e64 s11, v27
	s_cbranch_execnz .LBB893_156
.LBB893_191:
	s_or_b32 exec_lo, exec_lo, s1
	s_delay_alu instid0(SALU_CYCLE_1)
	s_mov_b32 s1, exec_lo
	v_cmpx_gt_u32_e64 s11, v26
	s_cbranch_execz .LBB893_161
.LBB893_192:
	s_mov_b32 s3, exec_lo
                                        ; implicit-def: $vgpr7_vgpr8
	v_cmpx_ge_u32_e64 v26, v16
	s_xor_b32 s3, exec_lo, s3
	s_cbranch_execz .LBB893_194
; %bb.193:
	s_waitcnt lgkmcnt(3)
	v_xor_b32_e32 v5, 0xfffff8ff, v0
                                        ; implicit-def: $vgpr26
	s_delay_alu instid0(VALU_DEP_1) | instskip(SKIP_1) | instid1(VALU_DEP_2)
	v_ashrrev_i32_e32 v8, 31, v5
	v_add_co_u32 v7, vcc_lo, v18, v5
	v_add_co_ci_u32_e32 v8, vcc_lo, v19, v8, vcc_lo
.LBB893_194:
	s_and_not1_saveexec_b32 s3, s3
	s_cbranch_execz .LBB893_196
; %bb.195:
	s_waitcnt lgkmcnt(4)
	v_add_co_u32 v7, vcc_lo, v15, v26
	v_add_co_ci_u32_e32 v8, vcc_lo, 0, v17, vcc_lo
.LBB893_196:
	s_or_b32 exec_lo, exec_lo, s3
	s_waitcnt lgkmcnt(4)
	s_delay_alu instid0(VALU_DEP_1) | instskip(NEXT) | instid1(VALU_DEP_1)
	v_lshlrev_b64 v[7:8], 2, v[7:8]
	v_add_co_u32 v7, vcc_lo, s12, v7
	s_delay_alu instid0(VALU_DEP_2) | instskip(SKIP_3) | instid1(SALU_CYCLE_1)
	v_add_co_ci_u32_e32 v8, vcc_lo, s13, v8, vcc_lo
	s_waitcnt lgkmcnt(3)
	global_store_b32 v[7:8], v6, off
	s_or_b32 exec_lo, exec_lo, s1
	s_mov_b32 s1, exec_lo
	v_cmpx_gt_u32_e64 s11, v25
	s_cbranch_execnz .LBB893_162
.LBB893_197:
	s_or_b32 exec_lo, exec_lo, s1
	s_delay_alu instid0(SALU_CYCLE_1)
	s_mov_b32 s1, exec_lo
	v_cmpx_gt_u32_e64 s11, v24
	s_cbranch_execz .LBB893_167
.LBB893_198:
	s_mov_b32 s3, exec_lo
                                        ; implicit-def: $vgpr5_vgpr6
	v_cmpx_ge_u32_e64 v24, v16
	s_xor_b32 s3, exec_lo, s3
	s_cbranch_execz .LBB893_200
; %bb.199:
	s_waitcnt lgkmcnt(2)
	v_xor_b32_e32 v3, 0xfffff6ff, v0
                                        ; implicit-def: $vgpr24
	s_delay_alu instid0(VALU_DEP_1) | instskip(SKIP_1) | instid1(VALU_DEP_2)
	v_ashrrev_i32_e32 v6, 31, v3
	v_add_co_u32 v5, vcc_lo, v18, v3
	v_add_co_ci_u32_e32 v6, vcc_lo, v19, v6, vcc_lo
.LBB893_200:
	s_and_not1_saveexec_b32 s3, s3
	s_cbranch_execz .LBB893_202
; %bb.201:
	s_waitcnt lgkmcnt(3)
	v_add_co_u32 v5, vcc_lo, v15, v24
	v_add_co_ci_u32_e32 v6, vcc_lo, 0, v17, vcc_lo
.LBB893_202:
	s_or_b32 exec_lo, exec_lo, s3
	s_waitcnt lgkmcnt(3)
	s_delay_alu instid0(VALU_DEP_1) | instskip(NEXT) | instid1(VALU_DEP_1)
	v_lshlrev_b64 v[5:6], 2, v[5:6]
	v_add_co_u32 v5, vcc_lo, s12, v5
	s_delay_alu instid0(VALU_DEP_2) | instskip(SKIP_3) | instid1(SALU_CYCLE_1)
	v_add_co_ci_u32_e32 v6, vcc_lo, s13, v6, vcc_lo
	s_waitcnt lgkmcnt(2)
	global_store_b32 v[5:6], v4, off
	s_or_b32 exec_lo, exec_lo, s1
	s_mov_b32 s1, exec_lo
	v_cmpx_gt_u32_e64 s11, v23
	s_cbranch_execnz .LBB893_168
.LBB893_203:
	s_or_b32 exec_lo, exec_lo, s1
	s_delay_alu instid0(SALU_CYCLE_1)
	s_mov_b32 s1, exec_lo
	v_cmpx_gt_u32_e64 s11, v22
	s_cbranch_execz .LBB893_209
.LBB893_204:
	s_mov_b32 s3, exec_lo
                                        ; implicit-def: $vgpr3_vgpr4
	v_cmpx_ge_u32_e64 v22, v16
	s_xor_b32 s3, exec_lo, s3
	s_cbranch_execz .LBB893_206
; %bb.205:
	s_waitcnt lgkmcnt(1)
	v_xor_b32_e32 v1, 0xfffff4ff, v0
                                        ; implicit-def: $vgpr22
	s_delay_alu instid0(VALU_DEP_1) | instskip(SKIP_1) | instid1(VALU_DEP_2)
	v_ashrrev_i32_e32 v4, 31, v1
	v_add_co_u32 v3, vcc_lo, v18, v1
	v_add_co_ci_u32_e32 v4, vcc_lo, v19, v4, vcc_lo
.LBB893_206:
	s_and_not1_saveexec_b32 s3, s3
	s_cbranch_execz .LBB893_208
; %bb.207:
	s_waitcnt lgkmcnt(2)
	v_add_co_u32 v3, vcc_lo, v15, v22
	v_add_co_ci_u32_e32 v4, vcc_lo, 0, v17, vcc_lo
.LBB893_208:
	s_or_b32 exec_lo, exec_lo, s3
	s_waitcnt lgkmcnt(2)
	s_delay_alu instid0(VALU_DEP_1) | instskip(NEXT) | instid1(VALU_DEP_1)
	v_lshlrev_b64 v[3:4], 2, v[3:4]
	v_add_co_u32 v3, vcc_lo, s12, v3
	s_delay_alu instid0(VALU_DEP_2)
	v_add_co_ci_u32_e32 v4, vcc_lo, s13, v4, vcc_lo
	s_waitcnt lgkmcnt(1)
	global_store_b32 v[3:4], v2, off
.LBB893_209:
	s_or_b32 exec_lo, exec_lo, s1
	s_delay_alu instid0(SALU_CYCLE_1)
	s_mov_b32 s1, exec_lo
                                        ; implicit-def: $vgpr13_vgpr14
	v_cmpx_gt_u32_e64 s11, v21
	s_cbranch_execz .LBB893_215
; %bb.210:
	s_mov_b32 s3, exec_lo
                                        ; implicit-def: $vgpr13_vgpr14
	v_cmpx_ge_u32_e64 v21, v16
	s_xor_b32 s3, exec_lo, s3
	s_cbranch_execz .LBB893_212
; %bb.211:
	v_xor_b32_e32 v0, 0xfffff3ff, v0
                                        ; implicit-def: $vgpr21
	s_waitcnt lgkmcnt(1)
	s_delay_alu instid0(VALU_DEP_1) | instskip(SKIP_1) | instid1(VALU_DEP_2)
	v_ashrrev_i32_e32 v1, 31, v0
	v_add_co_u32 v13, vcc_lo, v18, v0
	v_add_co_ci_u32_e32 v14, vcc_lo, v19, v1, vcc_lo
.LBB893_212:
	s_and_not1_saveexec_b32 s3, s3
; %bb.213:
	v_add_co_u32 v13, vcc_lo, v15, v21
	v_add_co_ci_u32_e32 v14, vcc_lo, 0, v17, vcc_lo
; %bb.214:
	s_or_b32 exec_lo, exec_lo, s3
	s_delay_alu instid0(SALU_CYCLE_1)
	s_or_b32 s0, s0, exec_lo
.LBB893_215:
	s_or_b32 exec_lo, exec_lo, s1
	s_and_saveexec_b32 s1, s0
	s_cbranch_execnz .LBB893_134
.LBB893_216:
	s_or_b32 exec_lo, exec_lo, s1
	s_and_b32 s0, s2, s10
	s_delay_alu instid0(SALU_CYCLE_1)
	s_and_saveexec_b32 s1, s0
	s_cbranch_execz .LBB893_135
.LBB893_217:
	v_add_co_u32 v0, vcc_lo, v15, v16
	s_waitcnt lgkmcnt(1)
	v_mov_b32_e32 v2, 0
	v_add_co_ci_u32_e32 v1, vcc_lo, 0, v17, vcc_lo
	global_store_b64 v2, v[0:1], s[8:9]
	s_nop 0
	s_sendmsg sendmsg(MSG_DEALLOC_VGPRS)
	s_endpgm
	.section	.rodata,"a",@progbits
	.p2align	6, 0x0
	.amdhsa_kernel _ZN7rocprim17ROCPRIM_400000_NS6detail17trampoline_kernelINS0_13select_configILj256ELj13ELNS0_17block_load_methodE3ELS4_3ELS4_3ELNS0_20block_scan_algorithmE0ELj4294967295EEENS1_25partition_config_selectorILNS1_17partition_subalgoE3EjNS0_10empty_typeEbEEZZNS1_14partition_implILS8_3ELb0ES6_jNS0_17counting_iteratorIjlEEPS9_SE_NS0_5tupleIJPjSE_EEENSF_IJSE_SE_EEES9_SG_JZNS1_25segmented_radix_sort_implINS0_14default_configELb1EPKsPsPKlPlN2at6native12_GLOBAL__N_18offset_tEEE10hipError_tPvRmT1_PNSt15iterator_traitsISY_E10value_typeET2_T3_PNSZ_IS14_E10value_typeET4_jRbjT5_S1A_jjP12ihipStream_tbEUljE_EEESV_SW_SX_S14_S18_S1A_T6_T7_T9_mT8_S1C_bDpT10_ENKUlT_T0_E_clISt17integral_constantIbLb1EES1P_EEDaS1K_S1L_EUlS1K_E_NS1_11comp_targetILNS1_3genE9ELNS1_11target_archE1100ELNS1_3gpuE3ELNS1_3repE0EEENS1_30default_config_static_selectorELNS0_4arch9wavefront6targetE0EEEvSY_
		.amdhsa_group_segment_fixed_size 13324
		.amdhsa_private_segment_fixed_size 0
		.amdhsa_kernarg_size 152
		.amdhsa_user_sgpr_count 15
		.amdhsa_user_sgpr_dispatch_ptr 0
		.amdhsa_user_sgpr_queue_ptr 0
		.amdhsa_user_sgpr_kernarg_segment_ptr 1
		.amdhsa_user_sgpr_dispatch_id 0
		.amdhsa_user_sgpr_private_segment_size 0
		.amdhsa_wavefront_size32 1
		.amdhsa_uses_dynamic_stack 0
		.amdhsa_enable_private_segment 0
		.amdhsa_system_sgpr_workgroup_id_x 1
		.amdhsa_system_sgpr_workgroup_id_y 0
		.amdhsa_system_sgpr_workgroup_id_z 0
		.amdhsa_system_sgpr_workgroup_info 0
		.amdhsa_system_vgpr_workitem_id 0
		.amdhsa_next_free_vgpr 60
		.amdhsa_next_free_sgpr 26
		.amdhsa_reserve_vcc 1
		.amdhsa_float_round_mode_32 0
		.amdhsa_float_round_mode_16_64 0
		.amdhsa_float_denorm_mode_32 3
		.amdhsa_float_denorm_mode_16_64 3
		.amdhsa_dx10_clamp 1
		.amdhsa_ieee_mode 1
		.amdhsa_fp16_overflow 0
		.amdhsa_workgroup_processor_mode 1
		.amdhsa_memory_ordered 1
		.amdhsa_forward_progress 0
		.amdhsa_shared_vgpr_count 0
		.amdhsa_exception_fp_ieee_invalid_op 0
		.amdhsa_exception_fp_denorm_src 0
		.amdhsa_exception_fp_ieee_div_zero 0
		.amdhsa_exception_fp_ieee_overflow 0
		.amdhsa_exception_fp_ieee_underflow 0
		.amdhsa_exception_fp_ieee_inexact 0
		.amdhsa_exception_int_div_zero 0
	.end_amdhsa_kernel
	.section	.text._ZN7rocprim17ROCPRIM_400000_NS6detail17trampoline_kernelINS0_13select_configILj256ELj13ELNS0_17block_load_methodE3ELS4_3ELS4_3ELNS0_20block_scan_algorithmE0ELj4294967295EEENS1_25partition_config_selectorILNS1_17partition_subalgoE3EjNS0_10empty_typeEbEEZZNS1_14partition_implILS8_3ELb0ES6_jNS0_17counting_iteratorIjlEEPS9_SE_NS0_5tupleIJPjSE_EEENSF_IJSE_SE_EEES9_SG_JZNS1_25segmented_radix_sort_implINS0_14default_configELb1EPKsPsPKlPlN2at6native12_GLOBAL__N_18offset_tEEE10hipError_tPvRmT1_PNSt15iterator_traitsISY_E10value_typeET2_T3_PNSZ_IS14_E10value_typeET4_jRbjT5_S1A_jjP12ihipStream_tbEUljE_EEESV_SW_SX_S14_S18_S1A_T6_T7_T9_mT8_S1C_bDpT10_ENKUlT_T0_E_clISt17integral_constantIbLb1EES1P_EEDaS1K_S1L_EUlS1K_E_NS1_11comp_targetILNS1_3genE9ELNS1_11target_archE1100ELNS1_3gpuE3ELNS1_3repE0EEENS1_30default_config_static_selectorELNS0_4arch9wavefront6targetE0EEEvSY_,"axG",@progbits,_ZN7rocprim17ROCPRIM_400000_NS6detail17trampoline_kernelINS0_13select_configILj256ELj13ELNS0_17block_load_methodE3ELS4_3ELS4_3ELNS0_20block_scan_algorithmE0ELj4294967295EEENS1_25partition_config_selectorILNS1_17partition_subalgoE3EjNS0_10empty_typeEbEEZZNS1_14partition_implILS8_3ELb0ES6_jNS0_17counting_iteratorIjlEEPS9_SE_NS0_5tupleIJPjSE_EEENSF_IJSE_SE_EEES9_SG_JZNS1_25segmented_radix_sort_implINS0_14default_configELb1EPKsPsPKlPlN2at6native12_GLOBAL__N_18offset_tEEE10hipError_tPvRmT1_PNSt15iterator_traitsISY_E10value_typeET2_T3_PNSZ_IS14_E10value_typeET4_jRbjT5_S1A_jjP12ihipStream_tbEUljE_EEESV_SW_SX_S14_S18_S1A_T6_T7_T9_mT8_S1C_bDpT10_ENKUlT_T0_E_clISt17integral_constantIbLb1EES1P_EEDaS1K_S1L_EUlS1K_E_NS1_11comp_targetILNS1_3genE9ELNS1_11target_archE1100ELNS1_3gpuE3ELNS1_3repE0EEENS1_30default_config_static_selectorELNS0_4arch9wavefront6targetE0EEEvSY_,comdat
.Lfunc_end893:
	.size	_ZN7rocprim17ROCPRIM_400000_NS6detail17trampoline_kernelINS0_13select_configILj256ELj13ELNS0_17block_load_methodE3ELS4_3ELS4_3ELNS0_20block_scan_algorithmE0ELj4294967295EEENS1_25partition_config_selectorILNS1_17partition_subalgoE3EjNS0_10empty_typeEbEEZZNS1_14partition_implILS8_3ELb0ES6_jNS0_17counting_iteratorIjlEEPS9_SE_NS0_5tupleIJPjSE_EEENSF_IJSE_SE_EEES9_SG_JZNS1_25segmented_radix_sort_implINS0_14default_configELb1EPKsPsPKlPlN2at6native12_GLOBAL__N_18offset_tEEE10hipError_tPvRmT1_PNSt15iterator_traitsISY_E10value_typeET2_T3_PNSZ_IS14_E10value_typeET4_jRbjT5_S1A_jjP12ihipStream_tbEUljE_EEESV_SW_SX_S14_S18_S1A_T6_T7_T9_mT8_S1C_bDpT10_ENKUlT_T0_E_clISt17integral_constantIbLb1EES1P_EEDaS1K_S1L_EUlS1K_E_NS1_11comp_targetILNS1_3genE9ELNS1_11target_archE1100ELNS1_3gpuE3ELNS1_3repE0EEENS1_30default_config_static_selectorELNS0_4arch9wavefront6targetE0EEEvSY_, .Lfunc_end893-_ZN7rocprim17ROCPRIM_400000_NS6detail17trampoline_kernelINS0_13select_configILj256ELj13ELNS0_17block_load_methodE3ELS4_3ELS4_3ELNS0_20block_scan_algorithmE0ELj4294967295EEENS1_25partition_config_selectorILNS1_17partition_subalgoE3EjNS0_10empty_typeEbEEZZNS1_14partition_implILS8_3ELb0ES6_jNS0_17counting_iteratorIjlEEPS9_SE_NS0_5tupleIJPjSE_EEENSF_IJSE_SE_EEES9_SG_JZNS1_25segmented_radix_sort_implINS0_14default_configELb1EPKsPsPKlPlN2at6native12_GLOBAL__N_18offset_tEEE10hipError_tPvRmT1_PNSt15iterator_traitsISY_E10value_typeET2_T3_PNSZ_IS14_E10value_typeET4_jRbjT5_S1A_jjP12ihipStream_tbEUljE_EEESV_SW_SX_S14_S18_S1A_T6_T7_T9_mT8_S1C_bDpT10_ENKUlT_T0_E_clISt17integral_constantIbLb1EES1P_EEDaS1K_S1L_EUlS1K_E_NS1_11comp_targetILNS1_3genE9ELNS1_11target_archE1100ELNS1_3gpuE3ELNS1_3repE0EEENS1_30default_config_static_selectorELNS0_4arch9wavefront6targetE0EEEvSY_
                                        ; -- End function
	.section	.AMDGPU.csdata,"",@progbits
; Kernel info:
; codeLenInByte = 9140
; NumSgprs: 28
; NumVgprs: 60
; ScratchSize: 0
; MemoryBound: 0
; FloatMode: 240
; IeeeMode: 1
; LDSByteSize: 13324 bytes/workgroup (compile time only)
; SGPRBlocks: 3
; VGPRBlocks: 7
; NumSGPRsForWavesPerEU: 28
; NumVGPRsForWavesPerEU: 60
; Occupancy: 16
; WaveLimiterHint : 0
; COMPUTE_PGM_RSRC2:SCRATCH_EN: 0
; COMPUTE_PGM_RSRC2:USER_SGPR: 15
; COMPUTE_PGM_RSRC2:TRAP_HANDLER: 0
; COMPUTE_PGM_RSRC2:TGID_X_EN: 1
; COMPUTE_PGM_RSRC2:TGID_Y_EN: 0
; COMPUTE_PGM_RSRC2:TGID_Z_EN: 0
; COMPUTE_PGM_RSRC2:TIDIG_COMP_CNT: 0
	.section	.text._ZN7rocprim17ROCPRIM_400000_NS6detail17trampoline_kernelINS0_13select_configILj256ELj13ELNS0_17block_load_methodE3ELS4_3ELS4_3ELNS0_20block_scan_algorithmE0ELj4294967295EEENS1_25partition_config_selectorILNS1_17partition_subalgoE3EjNS0_10empty_typeEbEEZZNS1_14partition_implILS8_3ELb0ES6_jNS0_17counting_iteratorIjlEEPS9_SE_NS0_5tupleIJPjSE_EEENSF_IJSE_SE_EEES9_SG_JZNS1_25segmented_radix_sort_implINS0_14default_configELb1EPKsPsPKlPlN2at6native12_GLOBAL__N_18offset_tEEE10hipError_tPvRmT1_PNSt15iterator_traitsISY_E10value_typeET2_T3_PNSZ_IS14_E10value_typeET4_jRbjT5_S1A_jjP12ihipStream_tbEUljE_EEESV_SW_SX_S14_S18_S1A_T6_T7_T9_mT8_S1C_bDpT10_ENKUlT_T0_E_clISt17integral_constantIbLb1EES1P_EEDaS1K_S1L_EUlS1K_E_NS1_11comp_targetILNS1_3genE8ELNS1_11target_archE1030ELNS1_3gpuE2ELNS1_3repE0EEENS1_30default_config_static_selectorELNS0_4arch9wavefront6targetE0EEEvSY_,"axG",@progbits,_ZN7rocprim17ROCPRIM_400000_NS6detail17trampoline_kernelINS0_13select_configILj256ELj13ELNS0_17block_load_methodE3ELS4_3ELS4_3ELNS0_20block_scan_algorithmE0ELj4294967295EEENS1_25partition_config_selectorILNS1_17partition_subalgoE3EjNS0_10empty_typeEbEEZZNS1_14partition_implILS8_3ELb0ES6_jNS0_17counting_iteratorIjlEEPS9_SE_NS0_5tupleIJPjSE_EEENSF_IJSE_SE_EEES9_SG_JZNS1_25segmented_radix_sort_implINS0_14default_configELb1EPKsPsPKlPlN2at6native12_GLOBAL__N_18offset_tEEE10hipError_tPvRmT1_PNSt15iterator_traitsISY_E10value_typeET2_T3_PNSZ_IS14_E10value_typeET4_jRbjT5_S1A_jjP12ihipStream_tbEUljE_EEESV_SW_SX_S14_S18_S1A_T6_T7_T9_mT8_S1C_bDpT10_ENKUlT_T0_E_clISt17integral_constantIbLb1EES1P_EEDaS1K_S1L_EUlS1K_E_NS1_11comp_targetILNS1_3genE8ELNS1_11target_archE1030ELNS1_3gpuE2ELNS1_3repE0EEENS1_30default_config_static_selectorELNS0_4arch9wavefront6targetE0EEEvSY_,comdat
	.globl	_ZN7rocprim17ROCPRIM_400000_NS6detail17trampoline_kernelINS0_13select_configILj256ELj13ELNS0_17block_load_methodE3ELS4_3ELS4_3ELNS0_20block_scan_algorithmE0ELj4294967295EEENS1_25partition_config_selectorILNS1_17partition_subalgoE3EjNS0_10empty_typeEbEEZZNS1_14partition_implILS8_3ELb0ES6_jNS0_17counting_iteratorIjlEEPS9_SE_NS0_5tupleIJPjSE_EEENSF_IJSE_SE_EEES9_SG_JZNS1_25segmented_radix_sort_implINS0_14default_configELb1EPKsPsPKlPlN2at6native12_GLOBAL__N_18offset_tEEE10hipError_tPvRmT1_PNSt15iterator_traitsISY_E10value_typeET2_T3_PNSZ_IS14_E10value_typeET4_jRbjT5_S1A_jjP12ihipStream_tbEUljE_EEESV_SW_SX_S14_S18_S1A_T6_T7_T9_mT8_S1C_bDpT10_ENKUlT_T0_E_clISt17integral_constantIbLb1EES1P_EEDaS1K_S1L_EUlS1K_E_NS1_11comp_targetILNS1_3genE8ELNS1_11target_archE1030ELNS1_3gpuE2ELNS1_3repE0EEENS1_30default_config_static_selectorELNS0_4arch9wavefront6targetE0EEEvSY_ ; -- Begin function _ZN7rocprim17ROCPRIM_400000_NS6detail17trampoline_kernelINS0_13select_configILj256ELj13ELNS0_17block_load_methodE3ELS4_3ELS4_3ELNS0_20block_scan_algorithmE0ELj4294967295EEENS1_25partition_config_selectorILNS1_17partition_subalgoE3EjNS0_10empty_typeEbEEZZNS1_14partition_implILS8_3ELb0ES6_jNS0_17counting_iteratorIjlEEPS9_SE_NS0_5tupleIJPjSE_EEENSF_IJSE_SE_EEES9_SG_JZNS1_25segmented_radix_sort_implINS0_14default_configELb1EPKsPsPKlPlN2at6native12_GLOBAL__N_18offset_tEEE10hipError_tPvRmT1_PNSt15iterator_traitsISY_E10value_typeET2_T3_PNSZ_IS14_E10value_typeET4_jRbjT5_S1A_jjP12ihipStream_tbEUljE_EEESV_SW_SX_S14_S18_S1A_T6_T7_T9_mT8_S1C_bDpT10_ENKUlT_T0_E_clISt17integral_constantIbLb1EES1P_EEDaS1K_S1L_EUlS1K_E_NS1_11comp_targetILNS1_3genE8ELNS1_11target_archE1030ELNS1_3gpuE2ELNS1_3repE0EEENS1_30default_config_static_selectorELNS0_4arch9wavefront6targetE0EEEvSY_
	.p2align	8
	.type	_ZN7rocprim17ROCPRIM_400000_NS6detail17trampoline_kernelINS0_13select_configILj256ELj13ELNS0_17block_load_methodE3ELS4_3ELS4_3ELNS0_20block_scan_algorithmE0ELj4294967295EEENS1_25partition_config_selectorILNS1_17partition_subalgoE3EjNS0_10empty_typeEbEEZZNS1_14partition_implILS8_3ELb0ES6_jNS0_17counting_iteratorIjlEEPS9_SE_NS0_5tupleIJPjSE_EEENSF_IJSE_SE_EEES9_SG_JZNS1_25segmented_radix_sort_implINS0_14default_configELb1EPKsPsPKlPlN2at6native12_GLOBAL__N_18offset_tEEE10hipError_tPvRmT1_PNSt15iterator_traitsISY_E10value_typeET2_T3_PNSZ_IS14_E10value_typeET4_jRbjT5_S1A_jjP12ihipStream_tbEUljE_EEESV_SW_SX_S14_S18_S1A_T6_T7_T9_mT8_S1C_bDpT10_ENKUlT_T0_E_clISt17integral_constantIbLb1EES1P_EEDaS1K_S1L_EUlS1K_E_NS1_11comp_targetILNS1_3genE8ELNS1_11target_archE1030ELNS1_3gpuE2ELNS1_3repE0EEENS1_30default_config_static_selectorELNS0_4arch9wavefront6targetE0EEEvSY_,@function
_ZN7rocprim17ROCPRIM_400000_NS6detail17trampoline_kernelINS0_13select_configILj256ELj13ELNS0_17block_load_methodE3ELS4_3ELS4_3ELNS0_20block_scan_algorithmE0ELj4294967295EEENS1_25partition_config_selectorILNS1_17partition_subalgoE3EjNS0_10empty_typeEbEEZZNS1_14partition_implILS8_3ELb0ES6_jNS0_17counting_iteratorIjlEEPS9_SE_NS0_5tupleIJPjSE_EEENSF_IJSE_SE_EEES9_SG_JZNS1_25segmented_radix_sort_implINS0_14default_configELb1EPKsPsPKlPlN2at6native12_GLOBAL__N_18offset_tEEE10hipError_tPvRmT1_PNSt15iterator_traitsISY_E10value_typeET2_T3_PNSZ_IS14_E10value_typeET4_jRbjT5_S1A_jjP12ihipStream_tbEUljE_EEESV_SW_SX_S14_S18_S1A_T6_T7_T9_mT8_S1C_bDpT10_ENKUlT_T0_E_clISt17integral_constantIbLb1EES1P_EEDaS1K_S1L_EUlS1K_E_NS1_11comp_targetILNS1_3genE8ELNS1_11target_archE1030ELNS1_3gpuE2ELNS1_3repE0EEENS1_30default_config_static_selectorELNS0_4arch9wavefront6targetE0EEEvSY_: ; @_ZN7rocprim17ROCPRIM_400000_NS6detail17trampoline_kernelINS0_13select_configILj256ELj13ELNS0_17block_load_methodE3ELS4_3ELS4_3ELNS0_20block_scan_algorithmE0ELj4294967295EEENS1_25partition_config_selectorILNS1_17partition_subalgoE3EjNS0_10empty_typeEbEEZZNS1_14partition_implILS8_3ELb0ES6_jNS0_17counting_iteratorIjlEEPS9_SE_NS0_5tupleIJPjSE_EEENSF_IJSE_SE_EEES9_SG_JZNS1_25segmented_radix_sort_implINS0_14default_configELb1EPKsPsPKlPlN2at6native12_GLOBAL__N_18offset_tEEE10hipError_tPvRmT1_PNSt15iterator_traitsISY_E10value_typeET2_T3_PNSZ_IS14_E10value_typeET4_jRbjT5_S1A_jjP12ihipStream_tbEUljE_EEESV_SW_SX_S14_S18_S1A_T6_T7_T9_mT8_S1C_bDpT10_ENKUlT_T0_E_clISt17integral_constantIbLb1EES1P_EEDaS1K_S1L_EUlS1K_E_NS1_11comp_targetILNS1_3genE8ELNS1_11target_archE1030ELNS1_3gpuE2ELNS1_3repE0EEENS1_30default_config_static_selectorELNS0_4arch9wavefront6targetE0EEEvSY_
; %bb.0:
	.section	.rodata,"a",@progbits
	.p2align	6, 0x0
	.amdhsa_kernel _ZN7rocprim17ROCPRIM_400000_NS6detail17trampoline_kernelINS0_13select_configILj256ELj13ELNS0_17block_load_methodE3ELS4_3ELS4_3ELNS0_20block_scan_algorithmE0ELj4294967295EEENS1_25partition_config_selectorILNS1_17partition_subalgoE3EjNS0_10empty_typeEbEEZZNS1_14partition_implILS8_3ELb0ES6_jNS0_17counting_iteratorIjlEEPS9_SE_NS0_5tupleIJPjSE_EEENSF_IJSE_SE_EEES9_SG_JZNS1_25segmented_radix_sort_implINS0_14default_configELb1EPKsPsPKlPlN2at6native12_GLOBAL__N_18offset_tEEE10hipError_tPvRmT1_PNSt15iterator_traitsISY_E10value_typeET2_T3_PNSZ_IS14_E10value_typeET4_jRbjT5_S1A_jjP12ihipStream_tbEUljE_EEESV_SW_SX_S14_S18_S1A_T6_T7_T9_mT8_S1C_bDpT10_ENKUlT_T0_E_clISt17integral_constantIbLb1EES1P_EEDaS1K_S1L_EUlS1K_E_NS1_11comp_targetILNS1_3genE8ELNS1_11target_archE1030ELNS1_3gpuE2ELNS1_3repE0EEENS1_30default_config_static_selectorELNS0_4arch9wavefront6targetE0EEEvSY_
		.amdhsa_group_segment_fixed_size 0
		.amdhsa_private_segment_fixed_size 0
		.amdhsa_kernarg_size 152
		.amdhsa_user_sgpr_count 15
		.amdhsa_user_sgpr_dispatch_ptr 0
		.amdhsa_user_sgpr_queue_ptr 0
		.amdhsa_user_sgpr_kernarg_segment_ptr 1
		.amdhsa_user_sgpr_dispatch_id 0
		.amdhsa_user_sgpr_private_segment_size 0
		.amdhsa_wavefront_size32 1
		.amdhsa_uses_dynamic_stack 0
		.amdhsa_enable_private_segment 0
		.amdhsa_system_sgpr_workgroup_id_x 1
		.amdhsa_system_sgpr_workgroup_id_y 0
		.amdhsa_system_sgpr_workgroup_id_z 0
		.amdhsa_system_sgpr_workgroup_info 0
		.amdhsa_system_vgpr_workitem_id 0
		.amdhsa_next_free_vgpr 1
		.amdhsa_next_free_sgpr 1
		.amdhsa_reserve_vcc 0
		.amdhsa_float_round_mode_32 0
		.amdhsa_float_round_mode_16_64 0
		.amdhsa_float_denorm_mode_32 3
		.amdhsa_float_denorm_mode_16_64 3
		.amdhsa_dx10_clamp 1
		.amdhsa_ieee_mode 1
		.amdhsa_fp16_overflow 0
		.amdhsa_workgroup_processor_mode 1
		.amdhsa_memory_ordered 1
		.amdhsa_forward_progress 0
		.amdhsa_shared_vgpr_count 0
		.amdhsa_exception_fp_ieee_invalid_op 0
		.amdhsa_exception_fp_denorm_src 0
		.amdhsa_exception_fp_ieee_div_zero 0
		.amdhsa_exception_fp_ieee_overflow 0
		.amdhsa_exception_fp_ieee_underflow 0
		.amdhsa_exception_fp_ieee_inexact 0
		.amdhsa_exception_int_div_zero 0
	.end_amdhsa_kernel
	.section	.text._ZN7rocprim17ROCPRIM_400000_NS6detail17trampoline_kernelINS0_13select_configILj256ELj13ELNS0_17block_load_methodE3ELS4_3ELS4_3ELNS0_20block_scan_algorithmE0ELj4294967295EEENS1_25partition_config_selectorILNS1_17partition_subalgoE3EjNS0_10empty_typeEbEEZZNS1_14partition_implILS8_3ELb0ES6_jNS0_17counting_iteratorIjlEEPS9_SE_NS0_5tupleIJPjSE_EEENSF_IJSE_SE_EEES9_SG_JZNS1_25segmented_radix_sort_implINS0_14default_configELb1EPKsPsPKlPlN2at6native12_GLOBAL__N_18offset_tEEE10hipError_tPvRmT1_PNSt15iterator_traitsISY_E10value_typeET2_T3_PNSZ_IS14_E10value_typeET4_jRbjT5_S1A_jjP12ihipStream_tbEUljE_EEESV_SW_SX_S14_S18_S1A_T6_T7_T9_mT8_S1C_bDpT10_ENKUlT_T0_E_clISt17integral_constantIbLb1EES1P_EEDaS1K_S1L_EUlS1K_E_NS1_11comp_targetILNS1_3genE8ELNS1_11target_archE1030ELNS1_3gpuE2ELNS1_3repE0EEENS1_30default_config_static_selectorELNS0_4arch9wavefront6targetE0EEEvSY_,"axG",@progbits,_ZN7rocprim17ROCPRIM_400000_NS6detail17trampoline_kernelINS0_13select_configILj256ELj13ELNS0_17block_load_methodE3ELS4_3ELS4_3ELNS0_20block_scan_algorithmE0ELj4294967295EEENS1_25partition_config_selectorILNS1_17partition_subalgoE3EjNS0_10empty_typeEbEEZZNS1_14partition_implILS8_3ELb0ES6_jNS0_17counting_iteratorIjlEEPS9_SE_NS0_5tupleIJPjSE_EEENSF_IJSE_SE_EEES9_SG_JZNS1_25segmented_radix_sort_implINS0_14default_configELb1EPKsPsPKlPlN2at6native12_GLOBAL__N_18offset_tEEE10hipError_tPvRmT1_PNSt15iterator_traitsISY_E10value_typeET2_T3_PNSZ_IS14_E10value_typeET4_jRbjT5_S1A_jjP12ihipStream_tbEUljE_EEESV_SW_SX_S14_S18_S1A_T6_T7_T9_mT8_S1C_bDpT10_ENKUlT_T0_E_clISt17integral_constantIbLb1EES1P_EEDaS1K_S1L_EUlS1K_E_NS1_11comp_targetILNS1_3genE8ELNS1_11target_archE1030ELNS1_3gpuE2ELNS1_3repE0EEENS1_30default_config_static_selectorELNS0_4arch9wavefront6targetE0EEEvSY_,comdat
.Lfunc_end894:
	.size	_ZN7rocprim17ROCPRIM_400000_NS6detail17trampoline_kernelINS0_13select_configILj256ELj13ELNS0_17block_load_methodE3ELS4_3ELS4_3ELNS0_20block_scan_algorithmE0ELj4294967295EEENS1_25partition_config_selectorILNS1_17partition_subalgoE3EjNS0_10empty_typeEbEEZZNS1_14partition_implILS8_3ELb0ES6_jNS0_17counting_iteratorIjlEEPS9_SE_NS0_5tupleIJPjSE_EEENSF_IJSE_SE_EEES9_SG_JZNS1_25segmented_radix_sort_implINS0_14default_configELb1EPKsPsPKlPlN2at6native12_GLOBAL__N_18offset_tEEE10hipError_tPvRmT1_PNSt15iterator_traitsISY_E10value_typeET2_T3_PNSZ_IS14_E10value_typeET4_jRbjT5_S1A_jjP12ihipStream_tbEUljE_EEESV_SW_SX_S14_S18_S1A_T6_T7_T9_mT8_S1C_bDpT10_ENKUlT_T0_E_clISt17integral_constantIbLb1EES1P_EEDaS1K_S1L_EUlS1K_E_NS1_11comp_targetILNS1_3genE8ELNS1_11target_archE1030ELNS1_3gpuE2ELNS1_3repE0EEENS1_30default_config_static_selectorELNS0_4arch9wavefront6targetE0EEEvSY_, .Lfunc_end894-_ZN7rocprim17ROCPRIM_400000_NS6detail17trampoline_kernelINS0_13select_configILj256ELj13ELNS0_17block_load_methodE3ELS4_3ELS4_3ELNS0_20block_scan_algorithmE0ELj4294967295EEENS1_25partition_config_selectorILNS1_17partition_subalgoE3EjNS0_10empty_typeEbEEZZNS1_14partition_implILS8_3ELb0ES6_jNS0_17counting_iteratorIjlEEPS9_SE_NS0_5tupleIJPjSE_EEENSF_IJSE_SE_EEES9_SG_JZNS1_25segmented_radix_sort_implINS0_14default_configELb1EPKsPsPKlPlN2at6native12_GLOBAL__N_18offset_tEEE10hipError_tPvRmT1_PNSt15iterator_traitsISY_E10value_typeET2_T3_PNSZ_IS14_E10value_typeET4_jRbjT5_S1A_jjP12ihipStream_tbEUljE_EEESV_SW_SX_S14_S18_S1A_T6_T7_T9_mT8_S1C_bDpT10_ENKUlT_T0_E_clISt17integral_constantIbLb1EES1P_EEDaS1K_S1L_EUlS1K_E_NS1_11comp_targetILNS1_3genE8ELNS1_11target_archE1030ELNS1_3gpuE2ELNS1_3repE0EEENS1_30default_config_static_selectorELNS0_4arch9wavefront6targetE0EEEvSY_
                                        ; -- End function
	.section	.AMDGPU.csdata,"",@progbits
; Kernel info:
; codeLenInByte = 0
; NumSgprs: 0
; NumVgprs: 0
; ScratchSize: 0
; MemoryBound: 0
; FloatMode: 240
; IeeeMode: 1
; LDSByteSize: 0 bytes/workgroup (compile time only)
; SGPRBlocks: 0
; VGPRBlocks: 0
; NumSGPRsForWavesPerEU: 1
; NumVGPRsForWavesPerEU: 1
; Occupancy: 16
; WaveLimiterHint : 0
; COMPUTE_PGM_RSRC2:SCRATCH_EN: 0
; COMPUTE_PGM_RSRC2:USER_SGPR: 15
; COMPUTE_PGM_RSRC2:TRAP_HANDLER: 0
; COMPUTE_PGM_RSRC2:TGID_X_EN: 1
; COMPUTE_PGM_RSRC2:TGID_Y_EN: 0
; COMPUTE_PGM_RSRC2:TGID_Z_EN: 0
; COMPUTE_PGM_RSRC2:TIDIG_COMP_CNT: 0
	.section	.text._ZN7rocprim17ROCPRIM_400000_NS6detail17trampoline_kernelINS0_13select_configILj256ELj13ELNS0_17block_load_methodE3ELS4_3ELS4_3ELNS0_20block_scan_algorithmE0ELj4294967295EEENS1_25partition_config_selectorILNS1_17partition_subalgoE3EjNS0_10empty_typeEbEEZZNS1_14partition_implILS8_3ELb0ES6_jNS0_17counting_iteratorIjlEEPS9_SE_NS0_5tupleIJPjSE_EEENSF_IJSE_SE_EEES9_SG_JZNS1_25segmented_radix_sort_implINS0_14default_configELb1EPKsPsPKlPlN2at6native12_GLOBAL__N_18offset_tEEE10hipError_tPvRmT1_PNSt15iterator_traitsISY_E10value_typeET2_T3_PNSZ_IS14_E10value_typeET4_jRbjT5_S1A_jjP12ihipStream_tbEUljE_EEESV_SW_SX_S14_S18_S1A_T6_T7_T9_mT8_S1C_bDpT10_ENKUlT_T0_E_clISt17integral_constantIbLb1EES1O_IbLb0EEEEDaS1K_S1L_EUlS1K_E_NS1_11comp_targetILNS1_3genE0ELNS1_11target_archE4294967295ELNS1_3gpuE0ELNS1_3repE0EEENS1_30default_config_static_selectorELNS0_4arch9wavefront6targetE0EEEvSY_,"axG",@progbits,_ZN7rocprim17ROCPRIM_400000_NS6detail17trampoline_kernelINS0_13select_configILj256ELj13ELNS0_17block_load_methodE3ELS4_3ELS4_3ELNS0_20block_scan_algorithmE0ELj4294967295EEENS1_25partition_config_selectorILNS1_17partition_subalgoE3EjNS0_10empty_typeEbEEZZNS1_14partition_implILS8_3ELb0ES6_jNS0_17counting_iteratorIjlEEPS9_SE_NS0_5tupleIJPjSE_EEENSF_IJSE_SE_EEES9_SG_JZNS1_25segmented_radix_sort_implINS0_14default_configELb1EPKsPsPKlPlN2at6native12_GLOBAL__N_18offset_tEEE10hipError_tPvRmT1_PNSt15iterator_traitsISY_E10value_typeET2_T3_PNSZ_IS14_E10value_typeET4_jRbjT5_S1A_jjP12ihipStream_tbEUljE_EEESV_SW_SX_S14_S18_S1A_T6_T7_T9_mT8_S1C_bDpT10_ENKUlT_T0_E_clISt17integral_constantIbLb1EES1O_IbLb0EEEEDaS1K_S1L_EUlS1K_E_NS1_11comp_targetILNS1_3genE0ELNS1_11target_archE4294967295ELNS1_3gpuE0ELNS1_3repE0EEENS1_30default_config_static_selectorELNS0_4arch9wavefront6targetE0EEEvSY_,comdat
	.globl	_ZN7rocprim17ROCPRIM_400000_NS6detail17trampoline_kernelINS0_13select_configILj256ELj13ELNS0_17block_load_methodE3ELS4_3ELS4_3ELNS0_20block_scan_algorithmE0ELj4294967295EEENS1_25partition_config_selectorILNS1_17partition_subalgoE3EjNS0_10empty_typeEbEEZZNS1_14partition_implILS8_3ELb0ES6_jNS0_17counting_iteratorIjlEEPS9_SE_NS0_5tupleIJPjSE_EEENSF_IJSE_SE_EEES9_SG_JZNS1_25segmented_radix_sort_implINS0_14default_configELb1EPKsPsPKlPlN2at6native12_GLOBAL__N_18offset_tEEE10hipError_tPvRmT1_PNSt15iterator_traitsISY_E10value_typeET2_T3_PNSZ_IS14_E10value_typeET4_jRbjT5_S1A_jjP12ihipStream_tbEUljE_EEESV_SW_SX_S14_S18_S1A_T6_T7_T9_mT8_S1C_bDpT10_ENKUlT_T0_E_clISt17integral_constantIbLb1EES1O_IbLb0EEEEDaS1K_S1L_EUlS1K_E_NS1_11comp_targetILNS1_3genE0ELNS1_11target_archE4294967295ELNS1_3gpuE0ELNS1_3repE0EEENS1_30default_config_static_selectorELNS0_4arch9wavefront6targetE0EEEvSY_ ; -- Begin function _ZN7rocprim17ROCPRIM_400000_NS6detail17trampoline_kernelINS0_13select_configILj256ELj13ELNS0_17block_load_methodE3ELS4_3ELS4_3ELNS0_20block_scan_algorithmE0ELj4294967295EEENS1_25partition_config_selectorILNS1_17partition_subalgoE3EjNS0_10empty_typeEbEEZZNS1_14partition_implILS8_3ELb0ES6_jNS0_17counting_iteratorIjlEEPS9_SE_NS0_5tupleIJPjSE_EEENSF_IJSE_SE_EEES9_SG_JZNS1_25segmented_radix_sort_implINS0_14default_configELb1EPKsPsPKlPlN2at6native12_GLOBAL__N_18offset_tEEE10hipError_tPvRmT1_PNSt15iterator_traitsISY_E10value_typeET2_T3_PNSZ_IS14_E10value_typeET4_jRbjT5_S1A_jjP12ihipStream_tbEUljE_EEESV_SW_SX_S14_S18_S1A_T6_T7_T9_mT8_S1C_bDpT10_ENKUlT_T0_E_clISt17integral_constantIbLb1EES1O_IbLb0EEEEDaS1K_S1L_EUlS1K_E_NS1_11comp_targetILNS1_3genE0ELNS1_11target_archE4294967295ELNS1_3gpuE0ELNS1_3repE0EEENS1_30default_config_static_selectorELNS0_4arch9wavefront6targetE0EEEvSY_
	.p2align	8
	.type	_ZN7rocprim17ROCPRIM_400000_NS6detail17trampoline_kernelINS0_13select_configILj256ELj13ELNS0_17block_load_methodE3ELS4_3ELS4_3ELNS0_20block_scan_algorithmE0ELj4294967295EEENS1_25partition_config_selectorILNS1_17partition_subalgoE3EjNS0_10empty_typeEbEEZZNS1_14partition_implILS8_3ELb0ES6_jNS0_17counting_iteratorIjlEEPS9_SE_NS0_5tupleIJPjSE_EEENSF_IJSE_SE_EEES9_SG_JZNS1_25segmented_radix_sort_implINS0_14default_configELb1EPKsPsPKlPlN2at6native12_GLOBAL__N_18offset_tEEE10hipError_tPvRmT1_PNSt15iterator_traitsISY_E10value_typeET2_T3_PNSZ_IS14_E10value_typeET4_jRbjT5_S1A_jjP12ihipStream_tbEUljE_EEESV_SW_SX_S14_S18_S1A_T6_T7_T9_mT8_S1C_bDpT10_ENKUlT_T0_E_clISt17integral_constantIbLb1EES1O_IbLb0EEEEDaS1K_S1L_EUlS1K_E_NS1_11comp_targetILNS1_3genE0ELNS1_11target_archE4294967295ELNS1_3gpuE0ELNS1_3repE0EEENS1_30default_config_static_selectorELNS0_4arch9wavefront6targetE0EEEvSY_,@function
_ZN7rocprim17ROCPRIM_400000_NS6detail17trampoline_kernelINS0_13select_configILj256ELj13ELNS0_17block_load_methodE3ELS4_3ELS4_3ELNS0_20block_scan_algorithmE0ELj4294967295EEENS1_25partition_config_selectorILNS1_17partition_subalgoE3EjNS0_10empty_typeEbEEZZNS1_14partition_implILS8_3ELb0ES6_jNS0_17counting_iteratorIjlEEPS9_SE_NS0_5tupleIJPjSE_EEENSF_IJSE_SE_EEES9_SG_JZNS1_25segmented_radix_sort_implINS0_14default_configELb1EPKsPsPKlPlN2at6native12_GLOBAL__N_18offset_tEEE10hipError_tPvRmT1_PNSt15iterator_traitsISY_E10value_typeET2_T3_PNSZ_IS14_E10value_typeET4_jRbjT5_S1A_jjP12ihipStream_tbEUljE_EEESV_SW_SX_S14_S18_S1A_T6_T7_T9_mT8_S1C_bDpT10_ENKUlT_T0_E_clISt17integral_constantIbLb1EES1O_IbLb0EEEEDaS1K_S1L_EUlS1K_E_NS1_11comp_targetILNS1_3genE0ELNS1_11target_archE4294967295ELNS1_3gpuE0ELNS1_3repE0EEENS1_30default_config_static_selectorELNS0_4arch9wavefront6targetE0EEEvSY_: ; @_ZN7rocprim17ROCPRIM_400000_NS6detail17trampoline_kernelINS0_13select_configILj256ELj13ELNS0_17block_load_methodE3ELS4_3ELS4_3ELNS0_20block_scan_algorithmE0ELj4294967295EEENS1_25partition_config_selectorILNS1_17partition_subalgoE3EjNS0_10empty_typeEbEEZZNS1_14partition_implILS8_3ELb0ES6_jNS0_17counting_iteratorIjlEEPS9_SE_NS0_5tupleIJPjSE_EEENSF_IJSE_SE_EEES9_SG_JZNS1_25segmented_radix_sort_implINS0_14default_configELb1EPKsPsPKlPlN2at6native12_GLOBAL__N_18offset_tEEE10hipError_tPvRmT1_PNSt15iterator_traitsISY_E10value_typeET2_T3_PNSZ_IS14_E10value_typeET4_jRbjT5_S1A_jjP12ihipStream_tbEUljE_EEESV_SW_SX_S14_S18_S1A_T6_T7_T9_mT8_S1C_bDpT10_ENKUlT_T0_E_clISt17integral_constantIbLb1EES1O_IbLb0EEEEDaS1K_S1L_EUlS1K_E_NS1_11comp_targetILNS1_3genE0ELNS1_11target_archE4294967295ELNS1_3gpuE0ELNS1_3repE0EEENS1_30default_config_static_selectorELNS0_4arch9wavefront6targetE0EEEvSY_
; %bb.0:
	.section	.rodata,"a",@progbits
	.p2align	6, 0x0
	.amdhsa_kernel _ZN7rocprim17ROCPRIM_400000_NS6detail17trampoline_kernelINS0_13select_configILj256ELj13ELNS0_17block_load_methodE3ELS4_3ELS4_3ELNS0_20block_scan_algorithmE0ELj4294967295EEENS1_25partition_config_selectorILNS1_17partition_subalgoE3EjNS0_10empty_typeEbEEZZNS1_14partition_implILS8_3ELb0ES6_jNS0_17counting_iteratorIjlEEPS9_SE_NS0_5tupleIJPjSE_EEENSF_IJSE_SE_EEES9_SG_JZNS1_25segmented_radix_sort_implINS0_14default_configELb1EPKsPsPKlPlN2at6native12_GLOBAL__N_18offset_tEEE10hipError_tPvRmT1_PNSt15iterator_traitsISY_E10value_typeET2_T3_PNSZ_IS14_E10value_typeET4_jRbjT5_S1A_jjP12ihipStream_tbEUljE_EEESV_SW_SX_S14_S18_S1A_T6_T7_T9_mT8_S1C_bDpT10_ENKUlT_T0_E_clISt17integral_constantIbLb1EES1O_IbLb0EEEEDaS1K_S1L_EUlS1K_E_NS1_11comp_targetILNS1_3genE0ELNS1_11target_archE4294967295ELNS1_3gpuE0ELNS1_3repE0EEENS1_30default_config_static_selectorELNS0_4arch9wavefront6targetE0EEEvSY_
		.amdhsa_group_segment_fixed_size 0
		.amdhsa_private_segment_fixed_size 0
		.amdhsa_kernarg_size 144
		.amdhsa_user_sgpr_count 15
		.amdhsa_user_sgpr_dispatch_ptr 0
		.amdhsa_user_sgpr_queue_ptr 0
		.amdhsa_user_sgpr_kernarg_segment_ptr 1
		.amdhsa_user_sgpr_dispatch_id 0
		.amdhsa_user_sgpr_private_segment_size 0
		.amdhsa_wavefront_size32 1
		.amdhsa_uses_dynamic_stack 0
		.amdhsa_enable_private_segment 0
		.amdhsa_system_sgpr_workgroup_id_x 1
		.amdhsa_system_sgpr_workgroup_id_y 0
		.amdhsa_system_sgpr_workgroup_id_z 0
		.amdhsa_system_sgpr_workgroup_info 0
		.amdhsa_system_vgpr_workitem_id 0
		.amdhsa_next_free_vgpr 1
		.amdhsa_next_free_sgpr 1
		.amdhsa_reserve_vcc 0
		.amdhsa_float_round_mode_32 0
		.amdhsa_float_round_mode_16_64 0
		.amdhsa_float_denorm_mode_32 3
		.amdhsa_float_denorm_mode_16_64 3
		.amdhsa_dx10_clamp 1
		.amdhsa_ieee_mode 1
		.amdhsa_fp16_overflow 0
		.amdhsa_workgroup_processor_mode 1
		.amdhsa_memory_ordered 1
		.amdhsa_forward_progress 0
		.amdhsa_shared_vgpr_count 0
		.amdhsa_exception_fp_ieee_invalid_op 0
		.amdhsa_exception_fp_denorm_src 0
		.amdhsa_exception_fp_ieee_div_zero 0
		.amdhsa_exception_fp_ieee_overflow 0
		.amdhsa_exception_fp_ieee_underflow 0
		.amdhsa_exception_fp_ieee_inexact 0
		.amdhsa_exception_int_div_zero 0
	.end_amdhsa_kernel
	.section	.text._ZN7rocprim17ROCPRIM_400000_NS6detail17trampoline_kernelINS0_13select_configILj256ELj13ELNS0_17block_load_methodE3ELS4_3ELS4_3ELNS0_20block_scan_algorithmE0ELj4294967295EEENS1_25partition_config_selectorILNS1_17partition_subalgoE3EjNS0_10empty_typeEbEEZZNS1_14partition_implILS8_3ELb0ES6_jNS0_17counting_iteratorIjlEEPS9_SE_NS0_5tupleIJPjSE_EEENSF_IJSE_SE_EEES9_SG_JZNS1_25segmented_radix_sort_implINS0_14default_configELb1EPKsPsPKlPlN2at6native12_GLOBAL__N_18offset_tEEE10hipError_tPvRmT1_PNSt15iterator_traitsISY_E10value_typeET2_T3_PNSZ_IS14_E10value_typeET4_jRbjT5_S1A_jjP12ihipStream_tbEUljE_EEESV_SW_SX_S14_S18_S1A_T6_T7_T9_mT8_S1C_bDpT10_ENKUlT_T0_E_clISt17integral_constantIbLb1EES1O_IbLb0EEEEDaS1K_S1L_EUlS1K_E_NS1_11comp_targetILNS1_3genE0ELNS1_11target_archE4294967295ELNS1_3gpuE0ELNS1_3repE0EEENS1_30default_config_static_selectorELNS0_4arch9wavefront6targetE0EEEvSY_,"axG",@progbits,_ZN7rocprim17ROCPRIM_400000_NS6detail17trampoline_kernelINS0_13select_configILj256ELj13ELNS0_17block_load_methodE3ELS4_3ELS4_3ELNS0_20block_scan_algorithmE0ELj4294967295EEENS1_25partition_config_selectorILNS1_17partition_subalgoE3EjNS0_10empty_typeEbEEZZNS1_14partition_implILS8_3ELb0ES6_jNS0_17counting_iteratorIjlEEPS9_SE_NS0_5tupleIJPjSE_EEENSF_IJSE_SE_EEES9_SG_JZNS1_25segmented_radix_sort_implINS0_14default_configELb1EPKsPsPKlPlN2at6native12_GLOBAL__N_18offset_tEEE10hipError_tPvRmT1_PNSt15iterator_traitsISY_E10value_typeET2_T3_PNSZ_IS14_E10value_typeET4_jRbjT5_S1A_jjP12ihipStream_tbEUljE_EEESV_SW_SX_S14_S18_S1A_T6_T7_T9_mT8_S1C_bDpT10_ENKUlT_T0_E_clISt17integral_constantIbLb1EES1O_IbLb0EEEEDaS1K_S1L_EUlS1K_E_NS1_11comp_targetILNS1_3genE0ELNS1_11target_archE4294967295ELNS1_3gpuE0ELNS1_3repE0EEENS1_30default_config_static_selectorELNS0_4arch9wavefront6targetE0EEEvSY_,comdat
.Lfunc_end895:
	.size	_ZN7rocprim17ROCPRIM_400000_NS6detail17trampoline_kernelINS0_13select_configILj256ELj13ELNS0_17block_load_methodE3ELS4_3ELS4_3ELNS0_20block_scan_algorithmE0ELj4294967295EEENS1_25partition_config_selectorILNS1_17partition_subalgoE3EjNS0_10empty_typeEbEEZZNS1_14partition_implILS8_3ELb0ES6_jNS0_17counting_iteratorIjlEEPS9_SE_NS0_5tupleIJPjSE_EEENSF_IJSE_SE_EEES9_SG_JZNS1_25segmented_radix_sort_implINS0_14default_configELb1EPKsPsPKlPlN2at6native12_GLOBAL__N_18offset_tEEE10hipError_tPvRmT1_PNSt15iterator_traitsISY_E10value_typeET2_T3_PNSZ_IS14_E10value_typeET4_jRbjT5_S1A_jjP12ihipStream_tbEUljE_EEESV_SW_SX_S14_S18_S1A_T6_T7_T9_mT8_S1C_bDpT10_ENKUlT_T0_E_clISt17integral_constantIbLb1EES1O_IbLb0EEEEDaS1K_S1L_EUlS1K_E_NS1_11comp_targetILNS1_3genE0ELNS1_11target_archE4294967295ELNS1_3gpuE0ELNS1_3repE0EEENS1_30default_config_static_selectorELNS0_4arch9wavefront6targetE0EEEvSY_, .Lfunc_end895-_ZN7rocprim17ROCPRIM_400000_NS6detail17trampoline_kernelINS0_13select_configILj256ELj13ELNS0_17block_load_methodE3ELS4_3ELS4_3ELNS0_20block_scan_algorithmE0ELj4294967295EEENS1_25partition_config_selectorILNS1_17partition_subalgoE3EjNS0_10empty_typeEbEEZZNS1_14partition_implILS8_3ELb0ES6_jNS0_17counting_iteratorIjlEEPS9_SE_NS0_5tupleIJPjSE_EEENSF_IJSE_SE_EEES9_SG_JZNS1_25segmented_radix_sort_implINS0_14default_configELb1EPKsPsPKlPlN2at6native12_GLOBAL__N_18offset_tEEE10hipError_tPvRmT1_PNSt15iterator_traitsISY_E10value_typeET2_T3_PNSZ_IS14_E10value_typeET4_jRbjT5_S1A_jjP12ihipStream_tbEUljE_EEESV_SW_SX_S14_S18_S1A_T6_T7_T9_mT8_S1C_bDpT10_ENKUlT_T0_E_clISt17integral_constantIbLb1EES1O_IbLb0EEEEDaS1K_S1L_EUlS1K_E_NS1_11comp_targetILNS1_3genE0ELNS1_11target_archE4294967295ELNS1_3gpuE0ELNS1_3repE0EEENS1_30default_config_static_selectorELNS0_4arch9wavefront6targetE0EEEvSY_
                                        ; -- End function
	.section	.AMDGPU.csdata,"",@progbits
; Kernel info:
; codeLenInByte = 0
; NumSgprs: 0
; NumVgprs: 0
; ScratchSize: 0
; MemoryBound: 0
; FloatMode: 240
; IeeeMode: 1
; LDSByteSize: 0 bytes/workgroup (compile time only)
; SGPRBlocks: 0
; VGPRBlocks: 0
; NumSGPRsForWavesPerEU: 1
; NumVGPRsForWavesPerEU: 1
; Occupancy: 16
; WaveLimiterHint : 0
; COMPUTE_PGM_RSRC2:SCRATCH_EN: 0
; COMPUTE_PGM_RSRC2:USER_SGPR: 15
; COMPUTE_PGM_RSRC2:TRAP_HANDLER: 0
; COMPUTE_PGM_RSRC2:TGID_X_EN: 1
; COMPUTE_PGM_RSRC2:TGID_Y_EN: 0
; COMPUTE_PGM_RSRC2:TGID_Z_EN: 0
; COMPUTE_PGM_RSRC2:TIDIG_COMP_CNT: 0
	.section	.text._ZN7rocprim17ROCPRIM_400000_NS6detail17trampoline_kernelINS0_13select_configILj256ELj13ELNS0_17block_load_methodE3ELS4_3ELS4_3ELNS0_20block_scan_algorithmE0ELj4294967295EEENS1_25partition_config_selectorILNS1_17partition_subalgoE3EjNS0_10empty_typeEbEEZZNS1_14partition_implILS8_3ELb0ES6_jNS0_17counting_iteratorIjlEEPS9_SE_NS0_5tupleIJPjSE_EEENSF_IJSE_SE_EEES9_SG_JZNS1_25segmented_radix_sort_implINS0_14default_configELb1EPKsPsPKlPlN2at6native12_GLOBAL__N_18offset_tEEE10hipError_tPvRmT1_PNSt15iterator_traitsISY_E10value_typeET2_T3_PNSZ_IS14_E10value_typeET4_jRbjT5_S1A_jjP12ihipStream_tbEUljE_EEESV_SW_SX_S14_S18_S1A_T6_T7_T9_mT8_S1C_bDpT10_ENKUlT_T0_E_clISt17integral_constantIbLb1EES1O_IbLb0EEEEDaS1K_S1L_EUlS1K_E_NS1_11comp_targetILNS1_3genE5ELNS1_11target_archE942ELNS1_3gpuE9ELNS1_3repE0EEENS1_30default_config_static_selectorELNS0_4arch9wavefront6targetE0EEEvSY_,"axG",@progbits,_ZN7rocprim17ROCPRIM_400000_NS6detail17trampoline_kernelINS0_13select_configILj256ELj13ELNS0_17block_load_methodE3ELS4_3ELS4_3ELNS0_20block_scan_algorithmE0ELj4294967295EEENS1_25partition_config_selectorILNS1_17partition_subalgoE3EjNS0_10empty_typeEbEEZZNS1_14partition_implILS8_3ELb0ES6_jNS0_17counting_iteratorIjlEEPS9_SE_NS0_5tupleIJPjSE_EEENSF_IJSE_SE_EEES9_SG_JZNS1_25segmented_radix_sort_implINS0_14default_configELb1EPKsPsPKlPlN2at6native12_GLOBAL__N_18offset_tEEE10hipError_tPvRmT1_PNSt15iterator_traitsISY_E10value_typeET2_T3_PNSZ_IS14_E10value_typeET4_jRbjT5_S1A_jjP12ihipStream_tbEUljE_EEESV_SW_SX_S14_S18_S1A_T6_T7_T9_mT8_S1C_bDpT10_ENKUlT_T0_E_clISt17integral_constantIbLb1EES1O_IbLb0EEEEDaS1K_S1L_EUlS1K_E_NS1_11comp_targetILNS1_3genE5ELNS1_11target_archE942ELNS1_3gpuE9ELNS1_3repE0EEENS1_30default_config_static_selectorELNS0_4arch9wavefront6targetE0EEEvSY_,comdat
	.globl	_ZN7rocprim17ROCPRIM_400000_NS6detail17trampoline_kernelINS0_13select_configILj256ELj13ELNS0_17block_load_methodE3ELS4_3ELS4_3ELNS0_20block_scan_algorithmE0ELj4294967295EEENS1_25partition_config_selectorILNS1_17partition_subalgoE3EjNS0_10empty_typeEbEEZZNS1_14partition_implILS8_3ELb0ES6_jNS0_17counting_iteratorIjlEEPS9_SE_NS0_5tupleIJPjSE_EEENSF_IJSE_SE_EEES9_SG_JZNS1_25segmented_radix_sort_implINS0_14default_configELb1EPKsPsPKlPlN2at6native12_GLOBAL__N_18offset_tEEE10hipError_tPvRmT1_PNSt15iterator_traitsISY_E10value_typeET2_T3_PNSZ_IS14_E10value_typeET4_jRbjT5_S1A_jjP12ihipStream_tbEUljE_EEESV_SW_SX_S14_S18_S1A_T6_T7_T9_mT8_S1C_bDpT10_ENKUlT_T0_E_clISt17integral_constantIbLb1EES1O_IbLb0EEEEDaS1K_S1L_EUlS1K_E_NS1_11comp_targetILNS1_3genE5ELNS1_11target_archE942ELNS1_3gpuE9ELNS1_3repE0EEENS1_30default_config_static_selectorELNS0_4arch9wavefront6targetE0EEEvSY_ ; -- Begin function _ZN7rocprim17ROCPRIM_400000_NS6detail17trampoline_kernelINS0_13select_configILj256ELj13ELNS0_17block_load_methodE3ELS4_3ELS4_3ELNS0_20block_scan_algorithmE0ELj4294967295EEENS1_25partition_config_selectorILNS1_17partition_subalgoE3EjNS0_10empty_typeEbEEZZNS1_14partition_implILS8_3ELb0ES6_jNS0_17counting_iteratorIjlEEPS9_SE_NS0_5tupleIJPjSE_EEENSF_IJSE_SE_EEES9_SG_JZNS1_25segmented_radix_sort_implINS0_14default_configELb1EPKsPsPKlPlN2at6native12_GLOBAL__N_18offset_tEEE10hipError_tPvRmT1_PNSt15iterator_traitsISY_E10value_typeET2_T3_PNSZ_IS14_E10value_typeET4_jRbjT5_S1A_jjP12ihipStream_tbEUljE_EEESV_SW_SX_S14_S18_S1A_T6_T7_T9_mT8_S1C_bDpT10_ENKUlT_T0_E_clISt17integral_constantIbLb1EES1O_IbLb0EEEEDaS1K_S1L_EUlS1K_E_NS1_11comp_targetILNS1_3genE5ELNS1_11target_archE942ELNS1_3gpuE9ELNS1_3repE0EEENS1_30default_config_static_selectorELNS0_4arch9wavefront6targetE0EEEvSY_
	.p2align	8
	.type	_ZN7rocprim17ROCPRIM_400000_NS6detail17trampoline_kernelINS0_13select_configILj256ELj13ELNS0_17block_load_methodE3ELS4_3ELS4_3ELNS0_20block_scan_algorithmE0ELj4294967295EEENS1_25partition_config_selectorILNS1_17partition_subalgoE3EjNS0_10empty_typeEbEEZZNS1_14partition_implILS8_3ELb0ES6_jNS0_17counting_iteratorIjlEEPS9_SE_NS0_5tupleIJPjSE_EEENSF_IJSE_SE_EEES9_SG_JZNS1_25segmented_radix_sort_implINS0_14default_configELb1EPKsPsPKlPlN2at6native12_GLOBAL__N_18offset_tEEE10hipError_tPvRmT1_PNSt15iterator_traitsISY_E10value_typeET2_T3_PNSZ_IS14_E10value_typeET4_jRbjT5_S1A_jjP12ihipStream_tbEUljE_EEESV_SW_SX_S14_S18_S1A_T6_T7_T9_mT8_S1C_bDpT10_ENKUlT_T0_E_clISt17integral_constantIbLb1EES1O_IbLb0EEEEDaS1K_S1L_EUlS1K_E_NS1_11comp_targetILNS1_3genE5ELNS1_11target_archE942ELNS1_3gpuE9ELNS1_3repE0EEENS1_30default_config_static_selectorELNS0_4arch9wavefront6targetE0EEEvSY_,@function
_ZN7rocprim17ROCPRIM_400000_NS6detail17trampoline_kernelINS0_13select_configILj256ELj13ELNS0_17block_load_methodE3ELS4_3ELS4_3ELNS0_20block_scan_algorithmE0ELj4294967295EEENS1_25partition_config_selectorILNS1_17partition_subalgoE3EjNS0_10empty_typeEbEEZZNS1_14partition_implILS8_3ELb0ES6_jNS0_17counting_iteratorIjlEEPS9_SE_NS0_5tupleIJPjSE_EEENSF_IJSE_SE_EEES9_SG_JZNS1_25segmented_radix_sort_implINS0_14default_configELb1EPKsPsPKlPlN2at6native12_GLOBAL__N_18offset_tEEE10hipError_tPvRmT1_PNSt15iterator_traitsISY_E10value_typeET2_T3_PNSZ_IS14_E10value_typeET4_jRbjT5_S1A_jjP12ihipStream_tbEUljE_EEESV_SW_SX_S14_S18_S1A_T6_T7_T9_mT8_S1C_bDpT10_ENKUlT_T0_E_clISt17integral_constantIbLb1EES1O_IbLb0EEEEDaS1K_S1L_EUlS1K_E_NS1_11comp_targetILNS1_3genE5ELNS1_11target_archE942ELNS1_3gpuE9ELNS1_3repE0EEENS1_30default_config_static_selectorELNS0_4arch9wavefront6targetE0EEEvSY_: ; @_ZN7rocprim17ROCPRIM_400000_NS6detail17trampoline_kernelINS0_13select_configILj256ELj13ELNS0_17block_load_methodE3ELS4_3ELS4_3ELNS0_20block_scan_algorithmE0ELj4294967295EEENS1_25partition_config_selectorILNS1_17partition_subalgoE3EjNS0_10empty_typeEbEEZZNS1_14partition_implILS8_3ELb0ES6_jNS0_17counting_iteratorIjlEEPS9_SE_NS0_5tupleIJPjSE_EEENSF_IJSE_SE_EEES9_SG_JZNS1_25segmented_radix_sort_implINS0_14default_configELb1EPKsPsPKlPlN2at6native12_GLOBAL__N_18offset_tEEE10hipError_tPvRmT1_PNSt15iterator_traitsISY_E10value_typeET2_T3_PNSZ_IS14_E10value_typeET4_jRbjT5_S1A_jjP12ihipStream_tbEUljE_EEESV_SW_SX_S14_S18_S1A_T6_T7_T9_mT8_S1C_bDpT10_ENKUlT_T0_E_clISt17integral_constantIbLb1EES1O_IbLb0EEEEDaS1K_S1L_EUlS1K_E_NS1_11comp_targetILNS1_3genE5ELNS1_11target_archE942ELNS1_3gpuE9ELNS1_3repE0EEENS1_30default_config_static_selectorELNS0_4arch9wavefront6targetE0EEEvSY_
; %bb.0:
	.section	.rodata,"a",@progbits
	.p2align	6, 0x0
	.amdhsa_kernel _ZN7rocprim17ROCPRIM_400000_NS6detail17trampoline_kernelINS0_13select_configILj256ELj13ELNS0_17block_load_methodE3ELS4_3ELS4_3ELNS0_20block_scan_algorithmE0ELj4294967295EEENS1_25partition_config_selectorILNS1_17partition_subalgoE3EjNS0_10empty_typeEbEEZZNS1_14partition_implILS8_3ELb0ES6_jNS0_17counting_iteratorIjlEEPS9_SE_NS0_5tupleIJPjSE_EEENSF_IJSE_SE_EEES9_SG_JZNS1_25segmented_radix_sort_implINS0_14default_configELb1EPKsPsPKlPlN2at6native12_GLOBAL__N_18offset_tEEE10hipError_tPvRmT1_PNSt15iterator_traitsISY_E10value_typeET2_T3_PNSZ_IS14_E10value_typeET4_jRbjT5_S1A_jjP12ihipStream_tbEUljE_EEESV_SW_SX_S14_S18_S1A_T6_T7_T9_mT8_S1C_bDpT10_ENKUlT_T0_E_clISt17integral_constantIbLb1EES1O_IbLb0EEEEDaS1K_S1L_EUlS1K_E_NS1_11comp_targetILNS1_3genE5ELNS1_11target_archE942ELNS1_3gpuE9ELNS1_3repE0EEENS1_30default_config_static_selectorELNS0_4arch9wavefront6targetE0EEEvSY_
		.amdhsa_group_segment_fixed_size 0
		.amdhsa_private_segment_fixed_size 0
		.amdhsa_kernarg_size 144
		.amdhsa_user_sgpr_count 15
		.amdhsa_user_sgpr_dispatch_ptr 0
		.amdhsa_user_sgpr_queue_ptr 0
		.amdhsa_user_sgpr_kernarg_segment_ptr 1
		.amdhsa_user_sgpr_dispatch_id 0
		.amdhsa_user_sgpr_private_segment_size 0
		.amdhsa_wavefront_size32 1
		.amdhsa_uses_dynamic_stack 0
		.amdhsa_enable_private_segment 0
		.amdhsa_system_sgpr_workgroup_id_x 1
		.amdhsa_system_sgpr_workgroup_id_y 0
		.amdhsa_system_sgpr_workgroup_id_z 0
		.amdhsa_system_sgpr_workgroup_info 0
		.amdhsa_system_vgpr_workitem_id 0
		.amdhsa_next_free_vgpr 1
		.amdhsa_next_free_sgpr 1
		.amdhsa_reserve_vcc 0
		.amdhsa_float_round_mode_32 0
		.amdhsa_float_round_mode_16_64 0
		.amdhsa_float_denorm_mode_32 3
		.amdhsa_float_denorm_mode_16_64 3
		.amdhsa_dx10_clamp 1
		.amdhsa_ieee_mode 1
		.amdhsa_fp16_overflow 0
		.amdhsa_workgroup_processor_mode 1
		.amdhsa_memory_ordered 1
		.amdhsa_forward_progress 0
		.amdhsa_shared_vgpr_count 0
		.amdhsa_exception_fp_ieee_invalid_op 0
		.amdhsa_exception_fp_denorm_src 0
		.amdhsa_exception_fp_ieee_div_zero 0
		.amdhsa_exception_fp_ieee_overflow 0
		.amdhsa_exception_fp_ieee_underflow 0
		.amdhsa_exception_fp_ieee_inexact 0
		.amdhsa_exception_int_div_zero 0
	.end_amdhsa_kernel
	.section	.text._ZN7rocprim17ROCPRIM_400000_NS6detail17trampoline_kernelINS0_13select_configILj256ELj13ELNS0_17block_load_methodE3ELS4_3ELS4_3ELNS0_20block_scan_algorithmE0ELj4294967295EEENS1_25partition_config_selectorILNS1_17partition_subalgoE3EjNS0_10empty_typeEbEEZZNS1_14partition_implILS8_3ELb0ES6_jNS0_17counting_iteratorIjlEEPS9_SE_NS0_5tupleIJPjSE_EEENSF_IJSE_SE_EEES9_SG_JZNS1_25segmented_radix_sort_implINS0_14default_configELb1EPKsPsPKlPlN2at6native12_GLOBAL__N_18offset_tEEE10hipError_tPvRmT1_PNSt15iterator_traitsISY_E10value_typeET2_T3_PNSZ_IS14_E10value_typeET4_jRbjT5_S1A_jjP12ihipStream_tbEUljE_EEESV_SW_SX_S14_S18_S1A_T6_T7_T9_mT8_S1C_bDpT10_ENKUlT_T0_E_clISt17integral_constantIbLb1EES1O_IbLb0EEEEDaS1K_S1L_EUlS1K_E_NS1_11comp_targetILNS1_3genE5ELNS1_11target_archE942ELNS1_3gpuE9ELNS1_3repE0EEENS1_30default_config_static_selectorELNS0_4arch9wavefront6targetE0EEEvSY_,"axG",@progbits,_ZN7rocprim17ROCPRIM_400000_NS6detail17trampoline_kernelINS0_13select_configILj256ELj13ELNS0_17block_load_methodE3ELS4_3ELS4_3ELNS0_20block_scan_algorithmE0ELj4294967295EEENS1_25partition_config_selectorILNS1_17partition_subalgoE3EjNS0_10empty_typeEbEEZZNS1_14partition_implILS8_3ELb0ES6_jNS0_17counting_iteratorIjlEEPS9_SE_NS0_5tupleIJPjSE_EEENSF_IJSE_SE_EEES9_SG_JZNS1_25segmented_radix_sort_implINS0_14default_configELb1EPKsPsPKlPlN2at6native12_GLOBAL__N_18offset_tEEE10hipError_tPvRmT1_PNSt15iterator_traitsISY_E10value_typeET2_T3_PNSZ_IS14_E10value_typeET4_jRbjT5_S1A_jjP12ihipStream_tbEUljE_EEESV_SW_SX_S14_S18_S1A_T6_T7_T9_mT8_S1C_bDpT10_ENKUlT_T0_E_clISt17integral_constantIbLb1EES1O_IbLb0EEEEDaS1K_S1L_EUlS1K_E_NS1_11comp_targetILNS1_3genE5ELNS1_11target_archE942ELNS1_3gpuE9ELNS1_3repE0EEENS1_30default_config_static_selectorELNS0_4arch9wavefront6targetE0EEEvSY_,comdat
.Lfunc_end896:
	.size	_ZN7rocprim17ROCPRIM_400000_NS6detail17trampoline_kernelINS0_13select_configILj256ELj13ELNS0_17block_load_methodE3ELS4_3ELS4_3ELNS0_20block_scan_algorithmE0ELj4294967295EEENS1_25partition_config_selectorILNS1_17partition_subalgoE3EjNS0_10empty_typeEbEEZZNS1_14partition_implILS8_3ELb0ES6_jNS0_17counting_iteratorIjlEEPS9_SE_NS0_5tupleIJPjSE_EEENSF_IJSE_SE_EEES9_SG_JZNS1_25segmented_radix_sort_implINS0_14default_configELb1EPKsPsPKlPlN2at6native12_GLOBAL__N_18offset_tEEE10hipError_tPvRmT1_PNSt15iterator_traitsISY_E10value_typeET2_T3_PNSZ_IS14_E10value_typeET4_jRbjT5_S1A_jjP12ihipStream_tbEUljE_EEESV_SW_SX_S14_S18_S1A_T6_T7_T9_mT8_S1C_bDpT10_ENKUlT_T0_E_clISt17integral_constantIbLb1EES1O_IbLb0EEEEDaS1K_S1L_EUlS1K_E_NS1_11comp_targetILNS1_3genE5ELNS1_11target_archE942ELNS1_3gpuE9ELNS1_3repE0EEENS1_30default_config_static_selectorELNS0_4arch9wavefront6targetE0EEEvSY_, .Lfunc_end896-_ZN7rocprim17ROCPRIM_400000_NS6detail17trampoline_kernelINS0_13select_configILj256ELj13ELNS0_17block_load_methodE3ELS4_3ELS4_3ELNS0_20block_scan_algorithmE0ELj4294967295EEENS1_25partition_config_selectorILNS1_17partition_subalgoE3EjNS0_10empty_typeEbEEZZNS1_14partition_implILS8_3ELb0ES6_jNS0_17counting_iteratorIjlEEPS9_SE_NS0_5tupleIJPjSE_EEENSF_IJSE_SE_EEES9_SG_JZNS1_25segmented_radix_sort_implINS0_14default_configELb1EPKsPsPKlPlN2at6native12_GLOBAL__N_18offset_tEEE10hipError_tPvRmT1_PNSt15iterator_traitsISY_E10value_typeET2_T3_PNSZ_IS14_E10value_typeET4_jRbjT5_S1A_jjP12ihipStream_tbEUljE_EEESV_SW_SX_S14_S18_S1A_T6_T7_T9_mT8_S1C_bDpT10_ENKUlT_T0_E_clISt17integral_constantIbLb1EES1O_IbLb0EEEEDaS1K_S1L_EUlS1K_E_NS1_11comp_targetILNS1_3genE5ELNS1_11target_archE942ELNS1_3gpuE9ELNS1_3repE0EEENS1_30default_config_static_selectorELNS0_4arch9wavefront6targetE0EEEvSY_
                                        ; -- End function
	.section	.AMDGPU.csdata,"",@progbits
; Kernel info:
; codeLenInByte = 0
; NumSgprs: 0
; NumVgprs: 0
; ScratchSize: 0
; MemoryBound: 0
; FloatMode: 240
; IeeeMode: 1
; LDSByteSize: 0 bytes/workgroup (compile time only)
; SGPRBlocks: 0
; VGPRBlocks: 0
; NumSGPRsForWavesPerEU: 1
; NumVGPRsForWavesPerEU: 1
; Occupancy: 16
; WaveLimiterHint : 0
; COMPUTE_PGM_RSRC2:SCRATCH_EN: 0
; COMPUTE_PGM_RSRC2:USER_SGPR: 15
; COMPUTE_PGM_RSRC2:TRAP_HANDLER: 0
; COMPUTE_PGM_RSRC2:TGID_X_EN: 1
; COMPUTE_PGM_RSRC2:TGID_Y_EN: 0
; COMPUTE_PGM_RSRC2:TGID_Z_EN: 0
; COMPUTE_PGM_RSRC2:TIDIG_COMP_CNT: 0
	.section	.text._ZN7rocprim17ROCPRIM_400000_NS6detail17trampoline_kernelINS0_13select_configILj256ELj13ELNS0_17block_load_methodE3ELS4_3ELS4_3ELNS0_20block_scan_algorithmE0ELj4294967295EEENS1_25partition_config_selectorILNS1_17partition_subalgoE3EjNS0_10empty_typeEbEEZZNS1_14partition_implILS8_3ELb0ES6_jNS0_17counting_iteratorIjlEEPS9_SE_NS0_5tupleIJPjSE_EEENSF_IJSE_SE_EEES9_SG_JZNS1_25segmented_radix_sort_implINS0_14default_configELb1EPKsPsPKlPlN2at6native12_GLOBAL__N_18offset_tEEE10hipError_tPvRmT1_PNSt15iterator_traitsISY_E10value_typeET2_T3_PNSZ_IS14_E10value_typeET4_jRbjT5_S1A_jjP12ihipStream_tbEUljE_EEESV_SW_SX_S14_S18_S1A_T6_T7_T9_mT8_S1C_bDpT10_ENKUlT_T0_E_clISt17integral_constantIbLb1EES1O_IbLb0EEEEDaS1K_S1L_EUlS1K_E_NS1_11comp_targetILNS1_3genE4ELNS1_11target_archE910ELNS1_3gpuE8ELNS1_3repE0EEENS1_30default_config_static_selectorELNS0_4arch9wavefront6targetE0EEEvSY_,"axG",@progbits,_ZN7rocprim17ROCPRIM_400000_NS6detail17trampoline_kernelINS0_13select_configILj256ELj13ELNS0_17block_load_methodE3ELS4_3ELS4_3ELNS0_20block_scan_algorithmE0ELj4294967295EEENS1_25partition_config_selectorILNS1_17partition_subalgoE3EjNS0_10empty_typeEbEEZZNS1_14partition_implILS8_3ELb0ES6_jNS0_17counting_iteratorIjlEEPS9_SE_NS0_5tupleIJPjSE_EEENSF_IJSE_SE_EEES9_SG_JZNS1_25segmented_radix_sort_implINS0_14default_configELb1EPKsPsPKlPlN2at6native12_GLOBAL__N_18offset_tEEE10hipError_tPvRmT1_PNSt15iterator_traitsISY_E10value_typeET2_T3_PNSZ_IS14_E10value_typeET4_jRbjT5_S1A_jjP12ihipStream_tbEUljE_EEESV_SW_SX_S14_S18_S1A_T6_T7_T9_mT8_S1C_bDpT10_ENKUlT_T0_E_clISt17integral_constantIbLb1EES1O_IbLb0EEEEDaS1K_S1L_EUlS1K_E_NS1_11comp_targetILNS1_3genE4ELNS1_11target_archE910ELNS1_3gpuE8ELNS1_3repE0EEENS1_30default_config_static_selectorELNS0_4arch9wavefront6targetE0EEEvSY_,comdat
	.globl	_ZN7rocprim17ROCPRIM_400000_NS6detail17trampoline_kernelINS0_13select_configILj256ELj13ELNS0_17block_load_methodE3ELS4_3ELS4_3ELNS0_20block_scan_algorithmE0ELj4294967295EEENS1_25partition_config_selectorILNS1_17partition_subalgoE3EjNS0_10empty_typeEbEEZZNS1_14partition_implILS8_3ELb0ES6_jNS0_17counting_iteratorIjlEEPS9_SE_NS0_5tupleIJPjSE_EEENSF_IJSE_SE_EEES9_SG_JZNS1_25segmented_radix_sort_implINS0_14default_configELb1EPKsPsPKlPlN2at6native12_GLOBAL__N_18offset_tEEE10hipError_tPvRmT1_PNSt15iterator_traitsISY_E10value_typeET2_T3_PNSZ_IS14_E10value_typeET4_jRbjT5_S1A_jjP12ihipStream_tbEUljE_EEESV_SW_SX_S14_S18_S1A_T6_T7_T9_mT8_S1C_bDpT10_ENKUlT_T0_E_clISt17integral_constantIbLb1EES1O_IbLb0EEEEDaS1K_S1L_EUlS1K_E_NS1_11comp_targetILNS1_3genE4ELNS1_11target_archE910ELNS1_3gpuE8ELNS1_3repE0EEENS1_30default_config_static_selectorELNS0_4arch9wavefront6targetE0EEEvSY_ ; -- Begin function _ZN7rocprim17ROCPRIM_400000_NS6detail17trampoline_kernelINS0_13select_configILj256ELj13ELNS0_17block_load_methodE3ELS4_3ELS4_3ELNS0_20block_scan_algorithmE0ELj4294967295EEENS1_25partition_config_selectorILNS1_17partition_subalgoE3EjNS0_10empty_typeEbEEZZNS1_14partition_implILS8_3ELb0ES6_jNS0_17counting_iteratorIjlEEPS9_SE_NS0_5tupleIJPjSE_EEENSF_IJSE_SE_EEES9_SG_JZNS1_25segmented_radix_sort_implINS0_14default_configELb1EPKsPsPKlPlN2at6native12_GLOBAL__N_18offset_tEEE10hipError_tPvRmT1_PNSt15iterator_traitsISY_E10value_typeET2_T3_PNSZ_IS14_E10value_typeET4_jRbjT5_S1A_jjP12ihipStream_tbEUljE_EEESV_SW_SX_S14_S18_S1A_T6_T7_T9_mT8_S1C_bDpT10_ENKUlT_T0_E_clISt17integral_constantIbLb1EES1O_IbLb0EEEEDaS1K_S1L_EUlS1K_E_NS1_11comp_targetILNS1_3genE4ELNS1_11target_archE910ELNS1_3gpuE8ELNS1_3repE0EEENS1_30default_config_static_selectorELNS0_4arch9wavefront6targetE0EEEvSY_
	.p2align	8
	.type	_ZN7rocprim17ROCPRIM_400000_NS6detail17trampoline_kernelINS0_13select_configILj256ELj13ELNS0_17block_load_methodE3ELS4_3ELS4_3ELNS0_20block_scan_algorithmE0ELj4294967295EEENS1_25partition_config_selectorILNS1_17partition_subalgoE3EjNS0_10empty_typeEbEEZZNS1_14partition_implILS8_3ELb0ES6_jNS0_17counting_iteratorIjlEEPS9_SE_NS0_5tupleIJPjSE_EEENSF_IJSE_SE_EEES9_SG_JZNS1_25segmented_radix_sort_implINS0_14default_configELb1EPKsPsPKlPlN2at6native12_GLOBAL__N_18offset_tEEE10hipError_tPvRmT1_PNSt15iterator_traitsISY_E10value_typeET2_T3_PNSZ_IS14_E10value_typeET4_jRbjT5_S1A_jjP12ihipStream_tbEUljE_EEESV_SW_SX_S14_S18_S1A_T6_T7_T9_mT8_S1C_bDpT10_ENKUlT_T0_E_clISt17integral_constantIbLb1EES1O_IbLb0EEEEDaS1K_S1L_EUlS1K_E_NS1_11comp_targetILNS1_3genE4ELNS1_11target_archE910ELNS1_3gpuE8ELNS1_3repE0EEENS1_30default_config_static_selectorELNS0_4arch9wavefront6targetE0EEEvSY_,@function
_ZN7rocprim17ROCPRIM_400000_NS6detail17trampoline_kernelINS0_13select_configILj256ELj13ELNS0_17block_load_methodE3ELS4_3ELS4_3ELNS0_20block_scan_algorithmE0ELj4294967295EEENS1_25partition_config_selectorILNS1_17partition_subalgoE3EjNS0_10empty_typeEbEEZZNS1_14partition_implILS8_3ELb0ES6_jNS0_17counting_iteratorIjlEEPS9_SE_NS0_5tupleIJPjSE_EEENSF_IJSE_SE_EEES9_SG_JZNS1_25segmented_radix_sort_implINS0_14default_configELb1EPKsPsPKlPlN2at6native12_GLOBAL__N_18offset_tEEE10hipError_tPvRmT1_PNSt15iterator_traitsISY_E10value_typeET2_T3_PNSZ_IS14_E10value_typeET4_jRbjT5_S1A_jjP12ihipStream_tbEUljE_EEESV_SW_SX_S14_S18_S1A_T6_T7_T9_mT8_S1C_bDpT10_ENKUlT_T0_E_clISt17integral_constantIbLb1EES1O_IbLb0EEEEDaS1K_S1L_EUlS1K_E_NS1_11comp_targetILNS1_3genE4ELNS1_11target_archE910ELNS1_3gpuE8ELNS1_3repE0EEENS1_30default_config_static_selectorELNS0_4arch9wavefront6targetE0EEEvSY_: ; @_ZN7rocprim17ROCPRIM_400000_NS6detail17trampoline_kernelINS0_13select_configILj256ELj13ELNS0_17block_load_methodE3ELS4_3ELS4_3ELNS0_20block_scan_algorithmE0ELj4294967295EEENS1_25partition_config_selectorILNS1_17partition_subalgoE3EjNS0_10empty_typeEbEEZZNS1_14partition_implILS8_3ELb0ES6_jNS0_17counting_iteratorIjlEEPS9_SE_NS0_5tupleIJPjSE_EEENSF_IJSE_SE_EEES9_SG_JZNS1_25segmented_radix_sort_implINS0_14default_configELb1EPKsPsPKlPlN2at6native12_GLOBAL__N_18offset_tEEE10hipError_tPvRmT1_PNSt15iterator_traitsISY_E10value_typeET2_T3_PNSZ_IS14_E10value_typeET4_jRbjT5_S1A_jjP12ihipStream_tbEUljE_EEESV_SW_SX_S14_S18_S1A_T6_T7_T9_mT8_S1C_bDpT10_ENKUlT_T0_E_clISt17integral_constantIbLb1EES1O_IbLb0EEEEDaS1K_S1L_EUlS1K_E_NS1_11comp_targetILNS1_3genE4ELNS1_11target_archE910ELNS1_3gpuE8ELNS1_3repE0EEENS1_30default_config_static_selectorELNS0_4arch9wavefront6targetE0EEEvSY_
; %bb.0:
	.section	.rodata,"a",@progbits
	.p2align	6, 0x0
	.amdhsa_kernel _ZN7rocprim17ROCPRIM_400000_NS6detail17trampoline_kernelINS0_13select_configILj256ELj13ELNS0_17block_load_methodE3ELS4_3ELS4_3ELNS0_20block_scan_algorithmE0ELj4294967295EEENS1_25partition_config_selectorILNS1_17partition_subalgoE3EjNS0_10empty_typeEbEEZZNS1_14partition_implILS8_3ELb0ES6_jNS0_17counting_iteratorIjlEEPS9_SE_NS0_5tupleIJPjSE_EEENSF_IJSE_SE_EEES9_SG_JZNS1_25segmented_radix_sort_implINS0_14default_configELb1EPKsPsPKlPlN2at6native12_GLOBAL__N_18offset_tEEE10hipError_tPvRmT1_PNSt15iterator_traitsISY_E10value_typeET2_T3_PNSZ_IS14_E10value_typeET4_jRbjT5_S1A_jjP12ihipStream_tbEUljE_EEESV_SW_SX_S14_S18_S1A_T6_T7_T9_mT8_S1C_bDpT10_ENKUlT_T0_E_clISt17integral_constantIbLb1EES1O_IbLb0EEEEDaS1K_S1L_EUlS1K_E_NS1_11comp_targetILNS1_3genE4ELNS1_11target_archE910ELNS1_3gpuE8ELNS1_3repE0EEENS1_30default_config_static_selectorELNS0_4arch9wavefront6targetE0EEEvSY_
		.amdhsa_group_segment_fixed_size 0
		.amdhsa_private_segment_fixed_size 0
		.amdhsa_kernarg_size 144
		.amdhsa_user_sgpr_count 15
		.amdhsa_user_sgpr_dispatch_ptr 0
		.amdhsa_user_sgpr_queue_ptr 0
		.amdhsa_user_sgpr_kernarg_segment_ptr 1
		.amdhsa_user_sgpr_dispatch_id 0
		.amdhsa_user_sgpr_private_segment_size 0
		.amdhsa_wavefront_size32 1
		.amdhsa_uses_dynamic_stack 0
		.amdhsa_enable_private_segment 0
		.amdhsa_system_sgpr_workgroup_id_x 1
		.amdhsa_system_sgpr_workgroup_id_y 0
		.amdhsa_system_sgpr_workgroup_id_z 0
		.amdhsa_system_sgpr_workgroup_info 0
		.amdhsa_system_vgpr_workitem_id 0
		.amdhsa_next_free_vgpr 1
		.amdhsa_next_free_sgpr 1
		.amdhsa_reserve_vcc 0
		.amdhsa_float_round_mode_32 0
		.amdhsa_float_round_mode_16_64 0
		.amdhsa_float_denorm_mode_32 3
		.amdhsa_float_denorm_mode_16_64 3
		.amdhsa_dx10_clamp 1
		.amdhsa_ieee_mode 1
		.amdhsa_fp16_overflow 0
		.amdhsa_workgroup_processor_mode 1
		.amdhsa_memory_ordered 1
		.amdhsa_forward_progress 0
		.amdhsa_shared_vgpr_count 0
		.amdhsa_exception_fp_ieee_invalid_op 0
		.amdhsa_exception_fp_denorm_src 0
		.amdhsa_exception_fp_ieee_div_zero 0
		.amdhsa_exception_fp_ieee_overflow 0
		.amdhsa_exception_fp_ieee_underflow 0
		.amdhsa_exception_fp_ieee_inexact 0
		.amdhsa_exception_int_div_zero 0
	.end_amdhsa_kernel
	.section	.text._ZN7rocprim17ROCPRIM_400000_NS6detail17trampoline_kernelINS0_13select_configILj256ELj13ELNS0_17block_load_methodE3ELS4_3ELS4_3ELNS0_20block_scan_algorithmE0ELj4294967295EEENS1_25partition_config_selectorILNS1_17partition_subalgoE3EjNS0_10empty_typeEbEEZZNS1_14partition_implILS8_3ELb0ES6_jNS0_17counting_iteratorIjlEEPS9_SE_NS0_5tupleIJPjSE_EEENSF_IJSE_SE_EEES9_SG_JZNS1_25segmented_radix_sort_implINS0_14default_configELb1EPKsPsPKlPlN2at6native12_GLOBAL__N_18offset_tEEE10hipError_tPvRmT1_PNSt15iterator_traitsISY_E10value_typeET2_T3_PNSZ_IS14_E10value_typeET4_jRbjT5_S1A_jjP12ihipStream_tbEUljE_EEESV_SW_SX_S14_S18_S1A_T6_T7_T9_mT8_S1C_bDpT10_ENKUlT_T0_E_clISt17integral_constantIbLb1EES1O_IbLb0EEEEDaS1K_S1L_EUlS1K_E_NS1_11comp_targetILNS1_3genE4ELNS1_11target_archE910ELNS1_3gpuE8ELNS1_3repE0EEENS1_30default_config_static_selectorELNS0_4arch9wavefront6targetE0EEEvSY_,"axG",@progbits,_ZN7rocprim17ROCPRIM_400000_NS6detail17trampoline_kernelINS0_13select_configILj256ELj13ELNS0_17block_load_methodE3ELS4_3ELS4_3ELNS0_20block_scan_algorithmE0ELj4294967295EEENS1_25partition_config_selectorILNS1_17partition_subalgoE3EjNS0_10empty_typeEbEEZZNS1_14partition_implILS8_3ELb0ES6_jNS0_17counting_iteratorIjlEEPS9_SE_NS0_5tupleIJPjSE_EEENSF_IJSE_SE_EEES9_SG_JZNS1_25segmented_radix_sort_implINS0_14default_configELb1EPKsPsPKlPlN2at6native12_GLOBAL__N_18offset_tEEE10hipError_tPvRmT1_PNSt15iterator_traitsISY_E10value_typeET2_T3_PNSZ_IS14_E10value_typeET4_jRbjT5_S1A_jjP12ihipStream_tbEUljE_EEESV_SW_SX_S14_S18_S1A_T6_T7_T9_mT8_S1C_bDpT10_ENKUlT_T0_E_clISt17integral_constantIbLb1EES1O_IbLb0EEEEDaS1K_S1L_EUlS1K_E_NS1_11comp_targetILNS1_3genE4ELNS1_11target_archE910ELNS1_3gpuE8ELNS1_3repE0EEENS1_30default_config_static_selectorELNS0_4arch9wavefront6targetE0EEEvSY_,comdat
.Lfunc_end897:
	.size	_ZN7rocprim17ROCPRIM_400000_NS6detail17trampoline_kernelINS0_13select_configILj256ELj13ELNS0_17block_load_methodE3ELS4_3ELS4_3ELNS0_20block_scan_algorithmE0ELj4294967295EEENS1_25partition_config_selectorILNS1_17partition_subalgoE3EjNS0_10empty_typeEbEEZZNS1_14partition_implILS8_3ELb0ES6_jNS0_17counting_iteratorIjlEEPS9_SE_NS0_5tupleIJPjSE_EEENSF_IJSE_SE_EEES9_SG_JZNS1_25segmented_radix_sort_implINS0_14default_configELb1EPKsPsPKlPlN2at6native12_GLOBAL__N_18offset_tEEE10hipError_tPvRmT1_PNSt15iterator_traitsISY_E10value_typeET2_T3_PNSZ_IS14_E10value_typeET4_jRbjT5_S1A_jjP12ihipStream_tbEUljE_EEESV_SW_SX_S14_S18_S1A_T6_T7_T9_mT8_S1C_bDpT10_ENKUlT_T0_E_clISt17integral_constantIbLb1EES1O_IbLb0EEEEDaS1K_S1L_EUlS1K_E_NS1_11comp_targetILNS1_3genE4ELNS1_11target_archE910ELNS1_3gpuE8ELNS1_3repE0EEENS1_30default_config_static_selectorELNS0_4arch9wavefront6targetE0EEEvSY_, .Lfunc_end897-_ZN7rocprim17ROCPRIM_400000_NS6detail17trampoline_kernelINS0_13select_configILj256ELj13ELNS0_17block_load_methodE3ELS4_3ELS4_3ELNS0_20block_scan_algorithmE0ELj4294967295EEENS1_25partition_config_selectorILNS1_17partition_subalgoE3EjNS0_10empty_typeEbEEZZNS1_14partition_implILS8_3ELb0ES6_jNS0_17counting_iteratorIjlEEPS9_SE_NS0_5tupleIJPjSE_EEENSF_IJSE_SE_EEES9_SG_JZNS1_25segmented_radix_sort_implINS0_14default_configELb1EPKsPsPKlPlN2at6native12_GLOBAL__N_18offset_tEEE10hipError_tPvRmT1_PNSt15iterator_traitsISY_E10value_typeET2_T3_PNSZ_IS14_E10value_typeET4_jRbjT5_S1A_jjP12ihipStream_tbEUljE_EEESV_SW_SX_S14_S18_S1A_T6_T7_T9_mT8_S1C_bDpT10_ENKUlT_T0_E_clISt17integral_constantIbLb1EES1O_IbLb0EEEEDaS1K_S1L_EUlS1K_E_NS1_11comp_targetILNS1_3genE4ELNS1_11target_archE910ELNS1_3gpuE8ELNS1_3repE0EEENS1_30default_config_static_selectorELNS0_4arch9wavefront6targetE0EEEvSY_
                                        ; -- End function
	.section	.AMDGPU.csdata,"",@progbits
; Kernel info:
; codeLenInByte = 0
; NumSgprs: 0
; NumVgprs: 0
; ScratchSize: 0
; MemoryBound: 0
; FloatMode: 240
; IeeeMode: 1
; LDSByteSize: 0 bytes/workgroup (compile time only)
; SGPRBlocks: 0
; VGPRBlocks: 0
; NumSGPRsForWavesPerEU: 1
; NumVGPRsForWavesPerEU: 1
; Occupancy: 16
; WaveLimiterHint : 0
; COMPUTE_PGM_RSRC2:SCRATCH_EN: 0
; COMPUTE_PGM_RSRC2:USER_SGPR: 15
; COMPUTE_PGM_RSRC2:TRAP_HANDLER: 0
; COMPUTE_PGM_RSRC2:TGID_X_EN: 1
; COMPUTE_PGM_RSRC2:TGID_Y_EN: 0
; COMPUTE_PGM_RSRC2:TGID_Z_EN: 0
; COMPUTE_PGM_RSRC2:TIDIG_COMP_CNT: 0
	.section	.text._ZN7rocprim17ROCPRIM_400000_NS6detail17trampoline_kernelINS0_13select_configILj256ELj13ELNS0_17block_load_methodE3ELS4_3ELS4_3ELNS0_20block_scan_algorithmE0ELj4294967295EEENS1_25partition_config_selectorILNS1_17partition_subalgoE3EjNS0_10empty_typeEbEEZZNS1_14partition_implILS8_3ELb0ES6_jNS0_17counting_iteratorIjlEEPS9_SE_NS0_5tupleIJPjSE_EEENSF_IJSE_SE_EEES9_SG_JZNS1_25segmented_radix_sort_implINS0_14default_configELb1EPKsPsPKlPlN2at6native12_GLOBAL__N_18offset_tEEE10hipError_tPvRmT1_PNSt15iterator_traitsISY_E10value_typeET2_T3_PNSZ_IS14_E10value_typeET4_jRbjT5_S1A_jjP12ihipStream_tbEUljE_EEESV_SW_SX_S14_S18_S1A_T6_T7_T9_mT8_S1C_bDpT10_ENKUlT_T0_E_clISt17integral_constantIbLb1EES1O_IbLb0EEEEDaS1K_S1L_EUlS1K_E_NS1_11comp_targetILNS1_3genE3ELNS1_11target_archE908ELNS1_3gpuE7ELNS1_3repE0EEENS1_30default_config_static_selectorELNS0_4arch9wavefront6targetE0EEEvSY_,"axG",@progbits,_ZN7rocprim17ROCPRIM_400000_NS6detail17trampoline_kernelINS0_13select_configILj256ELj13ELNS0_17block_load_methodE3ELS4_3ELS4_3ELNS0_20block_scan_algorithmE0ELj4294967295EEENS1_25partition_config_selectorILNS1_17partition_subalgoE3EjNS0_10empty_typeEbEEZZNS1_14partition_implILS8_3ELb0ES6_jNS0_17counting_iteratorIjlEEPS9_SE_NS0_5tupleIJPjSE_EEENSF_IJSE_SE_EEES9_SG_JZNS1_25segmented_radix_sort_implINS0_14default_configELb1EPKsPsPKlPlN2at6native12_GLOBAL__N_18offset_tEEE10hipError_tPvRmT1_PNSt15iterator_traitsISY_E10value_typeET2_T3_PNSZ_IS14_E10value_typeET4_jRbjT5_S1A_jjP12ihipStream_tbEUljE_EEESV_SW_SX_S14_S18_S1A_T6_T7_T9_mT8_S1C_bDpT10_ENKUlT_T0_E_clISt17integral_constantIbLb1EES1O_IbLb0EEEEDaS1K_S1L_EUlS1K_E_NS1_11comp_targetILNS1_3genE3ELNS1_11target_archE908ELNS1_3gpuE7ELNS1_3repE0EEENS1_30default_config_static_selectorELNS0_4arch9wavefront6targetE0EEEvSY_,comdat
	.globl	_ZN7rocprim17ROCPRIM_400000_NS6detail17trampoline_kernelINS0_13select_configILj256ELj13ELNS0_17block_load_methodE3ELS4_3ELS4_3ELNS0_20block_scan_algorithmE0ELj4294967295EEENS1_25partition_config_selectorILNS1_17partition_subalgoE3EjNS0_10empty_typeEbEEZZNS1_14partition_implILS8_3ELb0ES6_jNS0_17counting_iteratorIjlEEPS9_SE_NS0_5tupleIJPjSE_EEENSF_IJSE_SE_EEES9_SG_JZNS1_25segmented_radix_sort_implINS0_14default_configELb1EPKsPsPKlPlN2at6native12_GLOBAL__N_18offset_tEEE10hipError_tPvRmT1_PNSt15iterator_traitsISY_E10value_typeET2_T3_PNSZ_IS14_E10value_typeET4_jRbjT5_S1A_jjP12ihipStream_tbEUljE_EEESV_SW_SX_S14_S18_S1A_T6_T7_T9_mT8_S1C_bDpT10_ENKUlT_T0_E_clISt17integral_constantIbLb1EES1O_IbLb0EEEEDaS1K_S1L_EUlS1K_E_NS1_11comp_targetILNS1_3genE3ELNS1_11target_archE908ELNS1_3gpuE7ELNS1_3repE0EEENS1_30default_config_static_selectorELNS0_4arch9wavefront6targetE0EEEvSY_ ; -- Begin function _ZN7rocprim17ROCPRIM_400000_NS6detail17trampoline_kernelINS0_13select_configILj256ELj13ELNS0_17block_load_methodE3ELS4_3ELS4_3ELNS0_20block_scan_algorithmE0ELj4294967295EEENS1_25partition_config_selectorILNS1_17partition_subalgoE3EjNS0_10empty_typeEbEEZZNS1_14partition_implILS8_3ELb0ES6_jNS0_17counting_iteratorIjlEEPS9_SE_NS0_5tupleIJPjSE_EEENSF_IJSE_SE_EEES9_SG_JZNS1_25segmented_radix_sort_implINS0_14default_configELb1EPKsPsPKlPlN2at6native12_GLOBAL__N_18offset_tEEE10hipError_tPvRmT1_PNSt15iterator_traitsISY_E10value_typeET2_T3_PNSZ_IS14_E10value_typeET4_jRbjT5_S1A_jjP12ihipStream_tbEUljE_EEESV_SW_SX_S14_S18_S1A_T6_T7_T9_mT8_S1C_bDpT10_ENKUlT_T0_E_clISt17integral_constantIbLb1EES1O_IbLb0EEEEDaS1K_S1L_EUlS1K_E_NS1_11comp_targetILNS1_3genE3ELNS1_11target_archE908ELNS1_3gpuE7ELNS1_3repE0EEENS1_30default_config_static_selectorELNS0_4arch9wavefront6targetE0EEEvSY_
	.p2align	8
	.type	_ZN7rocprim17ROCPRIM_400000_NS6detail17trampoline_kernelINS0_13select_configILj256ELj13ELNS0_17block_load_methodE3ELS4_3ELS4_3ELNS0_20block_scan_algorithmE0ELj4294967295EEENS1_25partition_config_selectorILNS1_17partition_subalgoE3EjNS0_10empty_typeEbEEZZNS1_14partition_implILS8_3ELb0ES6_jNS0_17counting_iteratorIjlEEPS9_SE_NS0_5tupleIJPjSE_EEENSF_IJSE_SE_EEES9_SG_JZNS1_25segmented_radix_sort_implINS0_14default_configELb1EPKsPsPKlPlN2at6native12_GLOBAL__N_18offset_tEEE10hipError_tPvRmT1_PNSt15iterator_traitsISY_E10value_typeET2_T3_PNSZ_IS14_E10value_typeET4_jRbjT5_S1A_jjP12ihipStream_tbEUljE_EEESV_SW_SX_S14_S18_S1A_T6_T7_T9_mT8_S1C_bDpT10_ENKUlT_T0_E_clISt17integral_constantIbLb1EES1O_IbLb0EEEEDaS1K_S1L_EUlS1K_E_NS1_11comp_targetILNS1_3genE3ELNS1_11target_archE908ELNS1_3gpuE7ELNS1_3repE0EEENS1_30default_config_static_selectorELNS0_4arch9wavefront6targetE0EEEvSY_,@function
_ZN7rocprim17ROCPRIM_400000_NS6detail17trampoline_kernelINS0_13select_configILj256ELj13ELNS0_17block_load_methodE3ELS4_3ELS4_3ELNS0_20block_scan_algorithmE0ELj4294967295EEENS1_25partition_config_selectorILNS1_17partition_subalgoE3EjNS0_10empty_typeEbEEZZNS1_14partition_implILS8_3ELb0ES6_jNS0_17counting_iteratorIjlEEPS9_SE_NS0_5tupleIJPjSE_EEENSF_IJSE_SE_EEES9_SG_JZNS1_25segmented_radix_sort_implINS0_14default_configELb1EPKsPsPKlPlN2at6native12_GLOBAL__N_18offset_tEEE10hipError_tPvRmT1_PNSt15iterator_traitsISY_E10value_typeET2_T3_PNSZ_IS14_E10value_typeET4_jRbjT5_S1A_jjP12ihipStream_tbEUljE_EEESV_SW_SX_S14_S18_S1A_T6_T7_T9_mT8_S1C_bDpT10_ENKUlT_T0_E_clISt17integral_constantIbLb1EES1O_IbLb0EEEEDaS1K_S1L_EUlS1K_E_NS1_11comp_targetILNS1_3genE3ELNS1_11target_archE908ELNS1_3gpuE7ELNS1_3repE0EEENS1_30default_config_static_selectorELNS0_4arch9wavefront6targetE0EEEvSY_: ; @_ZN7rocprim17ROCPRIM_400000_NS6detail17trampoline_kernelINS0_13select_configILj256ELj13ELNS0_17block_load_methodE3ELS4_3ELS4_3ELNS0_20block_scan_algorithmE0ELj4294967295EEENS1_25partition_config_selectorILNS1_17partition_subalgoE3EjNS0_10empty_typeEbEEZZNS1_14partition_implILS8_3ELb0ES6_jNS0_17counting_iteratorIjlEEPS9_SE_NS0_5tupleIJPjSE_EEENSF_IJSE_SE_EEES9_SG_JZNS1_25segmented_radix_sort_implINS0_14default_configELb1EPKsPsPKlPlN2at6native12_GLOBAL__N_18offset_tEEE10hipError_tPvRmT1_PNSt15iterator_traitsISY_E10value_typeET2_T3_PNSZ_IS14_E10value_typeET4_jRbjT5_S1A_jjP12ihipStream_tbEUljE_EEESV_SW_SX_S14_S18_S1A_T6_T7_T9_mT8_S1C_bDpT10_ENKUlT_T0_E_clISt17integral_constantIbLb1EES1O_IbLb0EEEEDaS1K_S1L_EUlS1K_E_NS1_11comp_targetILNS1_3genE3ELNS1_11target_archE908ELNS1_3gpuE7ELNS1_3repE0EEENS1_30default_config_static_selectorELNS0_4arch9wavefront6targetE0EEEvSY_
; %bb.0:
	.section	.rodata,"a",@progbits
	.p2align	6, 0x0
	.amdhsa_kernel _ZN7rocprim17ROCPRIM_400000_NS6detail17trampoline_kernelINS0_13select_configILj256ELj13ELNS0_17block_load_methodE3ELS4_3ELS4_3ELNS0_20block_scan_algorithmE0ELj4294967295EEENS1_25partition_config_selectorILNS1_17partition_subalgoE3EjNS0_10empty_typeEbEEZZNS1_14partition_implILS8_3ELb0ES6_jNS0_17counting_iteratorIjlEEPS9_SE_NS0_5tupleIJPjSE_EEENSF_IJSE_SE_EEES9_SG_JZNS1_25segmented_radix_sort_implINS0_14default_configELb1EPKsPsPKlPlN2at6native12_GLOBAL__N_18offset_tEEE10hipError_tPvRmT1_PNSt15iterator_traitsISY_E10value_typeET2_T3_PNSZ_IS14_E10value_typeET4_jRbjT5_S1A_jjP12ihipStream_tbEUljE_EEESV_SW_SX_S14_S18_S1A_T6_T7_T9_mT8_S1C_bDpT10_ENKUlT_T0_E_clISt17integral_constantIbLb1EES1O_IbLb0EEEEDaS1K_S1L_EUlS1K_E_NS1_11comp_targetILNS1_3genE3ELNS1_11target_archE908ELNS1_3gpuE7ELNS1_3repE0EEENS1_30default_config_static_selectorELNS0_4arch9wavefront6targetE0EEEvSY_
		.amdhsa_group_segment_fixed_size 0
		.amdhsa_private_segment_fixed_size 0
		.amdhsa_kernarg_size 144
		.amdhsa_user_sgpr_count 15
		.amdhsa_user_sgpr_dispatch_ptr 0
		.amdhsa_user_sgpr_queue_ptr 0
		.amdhsa_user_sgpr_kernarg_segment_ptr 1
		.amdhsa_user_sgpr_dispatch_id 0
		.amdhsa_user_sgpr_private_segment_size 0
		.amdhsa_wavefront_size32 1
		.amdhsa_uses_dynamic_stack 0
		.amdhsa_enable_private_segment 0
		.amdhsa_system_sgpr_workgroup_id_x 1
		.amdhsa_system_sgpr_workgroup_id_y 0
		.amdhsa_system_sgpr_workgroup_id_z 0
		.amdhsa_system_sgpr_workgroup_info 0
		.amdhsa_system_vgpr_workitem_id 0
		.amdhsa_next_free_vgpr 1
		.amdhsa_next_free_sgpr 1
		.amdhsa_reserve_vcc 0
		.amdhsa_float_round_mode_32 0
		.amdhsa_float_round_mode_16_64 0
		.amdhsa_float_denorm_mode_32 3
		.amdhsa_float_denorm_mode_16_64 3
		.amdhsa_dx10_clamp 1
		.amdhsa_ieee_mode 1
		.amdhsa_fp16_overflow 0
		.amdhsa_workgroup_processor_mode 1
		.amdhsa_memory_ordered 1
		.amdhsa_forward_progress 0
		.amdhsa_shared_vgpr_count 0
		.amdhsa_exception_fp_ieee_invalid_op 0
		.amdhsa_exception_fp_denorm_src 0
		.amdhsa_exception_fp_ieee_div_zero 0
		.amdhsa_exception_fp_ieee_overflow 0
		.amdhsa_exception_fp_ieee_underflow 0
		.amdhsa_exception_fp_ieee_inexact 0
		.amdhsa_exception_int_div_zero 0
	.end_amdhsa_kernel
	.section	.text._ZN7rocprim17ROCPRIM_400000_NS6detail17trampoline_kernelINS0_13select_configILj256ELj13ELNS0_17block_load_methodE3ELS4_3ELS4_3ELNS0_20block_scan_algorithmE0ELj4294967295EEENS1_25partition_config_selectorILNS1_17partition_subalgoE3EjNS0_10empty_typeEbEEZZNS1_14partition_implILS8_3ELb0ES6_jNS0_17counting_iteratorIjlEEPS9_SE_NS0_5tupleIJPjSE_EEENSF_IJSE_SE_EEES9_SG_JZNS1_25segmented_radix_sort_implINS0_14default_configELb1EPKsPsPKlPlN2at6native12_GLOBAL__N_18offset_tEEE10hipError_tPvRmT1_PNSt15iterator_traitsISY_E10value_typeET2_T3_PNSZ_IS14_E10value_typeET4_jRbjT5_S1A_jjP12ihipStream_tbEUljE_EEESV_SW_SX_S14_S18_S1A_T6_T7_T9_mT8_S1C_bDpT10_ENKUlT_T0_E_clISt17integral_constantIbLb1EES1O_IbLb0EEEEDaS1K_S1L_EUlS1K_E_NS1_11comp_targetILNS1_3genE3ELNS1_11target_archE908ELNS1_3gpuE7ELNS1_3repE0EEENS1_30default_config_static_selectorELNS0_4arch9wavefront6targetE0EEEvSY_,"axG",@progbits,_ZN7rocprim17ROCPRIM_400000_NS6detail17trampoline_kernelINS0_13select_configILj256ELj13ELNS0_17block_load_methodE3ELS4_3ELS4_3ELNS0_20block_scan_algorithmE0ELj4294967295EEENS1_25partition_config_selectorILNS1_17partition_subalgoE3EjNS0_10empty_typeEbEEZZNS1_14partition_implILS8_3ELb0ES6_jNS0_17counting_iteratorIjlEEPS9_SE_NS0_5tupleIJPjSE_EEENSF_IJSE_SE_EEES9_SG_JZNS1_25segmented_radix_sort_implINS0_14default_configELb1EPKsPsPKlPlN2at6native12_GLOBAL__N_18offset_tEEE10hipError_tPvRmT1_PNSt15iterator_traitsISY_E10value_typeET2_T3_PNSZ_IS14_E10value_typeET4_jRbjT5_S1A_jjP12ihipStream_tbEUljE_EEESV_SW_SX_S14_S18_S1A_T6_T7_T9_mT8_S1C_bDpT10_ENKUlT_T0_E_clISt17integral_constantIbLb1EES1O_IbLb0EEEEDaS1K_S1L_EUlS1K_E_NS1_11comp_targetILNS1_3genE3ELNS1_11target_archE908ELNS1_3gpuE7ELNS1_3repE0EEENS1_30default_config_static_selectorELNS0_4arch9wavefront6targetE0EEEvSY_,comdat
.Lfunc_end898:
	.size	_ZN7rocprim17ROCPRIM_400000_NS6detail17trampoline_kernelINS0_13select_configILj256ELj13ELNS0_17block_load_methodE3ELS4_3ELS4_3ELNS0_20block_scan_algorithmE0ELj4294967295EEENS1_25partition_config_selectorILNS1_17partition_subalgoE3EjNS0_10empty_typeEbEEZZNS1_14partition_implILS8_3ELb0ES6_jNS0_17counting_iteratorIjlEEPS9_SE_NS0_5tupleIJPjSE_EEENSF_IJSE_SE_EEES9_SG_JZNS1_25segmented_radix_sort_implINS0_14default_configELb1EPKsPsPKlPlN2at6native12_GLOBAL__N_18offset_tEEE10hipError_tPvRmT1_PNSt15iterator_traitsISY_E10value_typeET2_T3_PNSZ_IS14_E10value_typeET4_jRbjT5_S1A_jjP12ihipStream_tbEUljE_EEESV_SW_SX_S14_S18_S1A_T6_T7_T9_mT8_S1C_bDpT10_ENKUlT_T0_E_clISt17integral_constantIbLb1EES1O_IbLb0EEEEDaS1K_S1L_EUlS1K_E_NS1_11comp_targetILNS1_3genE3ELNS1_11target_archE908ELNS1_3gpuE7ELNS1_3repE0EEENS1_30default_config_static_selectorELNS0_4arch9wavefront6targetE0EEEvSY_, .Lfunc_end898-_ZN7rocprim17ROCPRIM_400000_NS6detail17trampoline_kernelINS0_13select_configILj256ELj13ELNS0_17block_load_methodE3ELS4_3ELS4_3ELNS0_20block_scan_algorithmE0ELj4294967295EEENS1_25partition_config_selectorILNS1_17partition_subalgoE3EjNS0_10empty_typeEbEEZZNS1_14partition_implILS8_3ELb0ES6_jNS0_17counting_iteratorIjlEEPS9_SE_NS0_5tupleIJPjSE_EEENSF_IJSE_SE_EEES9_SG_JZNS1_25segmented_radix_sort_implINS0_14default_configELb1EPKsPsPKlPlN2at6native12_GLOBAL__N_18offset_tEEE10hipError_tPvRmT1_PNSt15iterator_traitsISY_E10value_typeET2_T3_PNSZ_IS14_E10value_typeET4_jRbjT5_S1A_jjP12ihipStream_tbEUljE_EEESV_SW_SX_S14_S18_S1A_T6_T7_T9_mT8_S1C_bDpT10_ENKUlT_T0_E_clISt17integral_constantIbLb1EES1O_IbLb0EEEEDaS1K_S1L_EUlS1K_E_NS1_11comp_targetILNS1_3genE3ELNS1_11target_archE908ELNS1_3gpuE7ELNS1_3repE0EEENS1_30default_config_static_selectorELNS0_4arch9wavefront6targetE0EEEvSY_
                                        ; -- End function
	.section	.AMDGPU.csdata,"",@progbits
; Kernel info:
; codeLenInByte = 0
; NumSgprs: 0
; NumVgprs: 0
; ScratchSize: 0
; MemoryBound: 0
; FloatMode: 240
; IeeeMode: 1
; LDSByteSize: 0 bytes/workgroup (compile time only)
; SGPRBlocks: 0
; VGPRBlocks: 0
; NumSGPRsForWavesPerEU: 1
; NumVGPRsForWavesPerEU: 1
; Occupancy: 16
; WaveLimiterHint : 0
; COMPUTE_PGM_RSRC2:SCRATCH_EN: 0
; COMPUTE_PGM_RSRC2:USER_SGPR: 15
; COMPUTE_PGM_RSRC2:TRAP_HANDLER: 0
; COMPUTE_PGM_RSRC2:TGID_X_EN: 1
; COMPUTE_PGM_RSRC2:TGID_Y_EN: 0
; COMPUTE_PGM_RSRC2:TGID_Z_EN: 0
; COMPUTE_PGM_RSRC2:TIDIG_COMP_CNT: 0
	.section	.text._ZN7rocprim17ROCPRIM_400000_NS6detail17trampoline_kernelINS0_13select_configILj256ELj13ELNS0_17block_load_methodE3ELS4_3ELS4_3ELNS0_20block_scan_algorithmE0ELj4294967295EEENS1_25partition_config_selectorILNS1_17partition_subalgoE3EjNS0_10empty_typeEbEEZZNS1_14partition_implILS8_3ELb0ES6_jNS0_17counting_iteratorIjlEEPS9_SE_NS0_5tupleIJPjSE_EEENSF_IJSE_SE_EEES9_SG_JZNS1_25segmented_radix_sort_implINS0_14default_configELb1EPKsPsPKlPlN2at6native12_GLOBAL__N_18offset_tEEE10hipError_tPvRmT1_PNSt15iterator_traitsISY_E10value_typeET2_T3_PNSZ_IS14_E10value_typeET4_jRbjT5_S1A_jjP12ihipStream_tbEUljE_EEESV_SW_SX_S14_S18_S1A_T6_T7_T9_mT8_S1C_bDpT10_ENKUlT_T0_E_clISt17integral_constantIbLb1EES1O_IbLb0EEEEDaS1K_S1L_EUlS1K_E_NS1_11comp_targetILNS1_3genE2ELNS1_11target_archE906ELNS1_3gpuE6ELNS1_3repE0EEENS1_30default_config_static_selectorELNS0_4arch9wavefront6targetE0EEEvSY_,"axG",@progbits,_ZN7rocprim17ROCPRIM_400000_NS6detail17trampoline_kernelINS0_13select_configILj256ELj13ELNS0_17block_load_methodE3ELS4_3ELS4_3ELNS0_20block_scan_algorithmE0ELj4294967295EEENS1_25partition_config_selectorILNS1_17partition_subalgoE3EjNS0_10empty_typeEbEEZZNS1_14partition_implILS8_3ELb0ES6_jNS0_17counting_iteratorIjlEEPS9_SE_NS0_5tupleIJPjSE_EEENSF_IJSE_SE_EEES9_SG_JZNS1_25segmented_radix_sort_implINS0_14default_configELb1EPKsPsPKlPlN2at6native12_GLOBAL__N_18offset_tEEE10hipError_tPvRmT1_PNSt15iterator_traitsISY_E10value_typeET2_T3_PNSZ_IS14_E10value_typeET4_jRbjT5_S1A_jjP12ihipStream_tbEUljE_EEESV_SW_SX_S14_S18_S1A_T6_T7_T9_mT8_S1C_bDpT10_ENKUlT_T0_E_clISt17integral_constantIbLb1EES1O_IbLb0EEEEDaS1K_S1L_EUlS1K_E_NS1_11comp_targetILNS1_3genE2ELNS1_11target_archE906ELNS1_3gpuE6ELNS1_3repE0EEENS1_30default_config_static_selectorELNS0_4arch9wavefront6targetE0EEEvSY_,comdat
	.globl	_ZN7rocprim17ROCPRIM_400000_NS6detail17trampoline_kernelINS0_13select_configILj256ELj13ELNS0_17block_load_methodE3ELS4_3ELS4_3ELNS0_20block_scan_algorithmE0ELj4294967295EEENS1_25partition_config_selectorILNS1_17partition_subalgoE3EjNS0_10empty_typeEbEEZZNS1_14partition_implILS8_3ELb0ES6_jNS0_17counting_iteratorIjlEEPS9_SE_NS0_5tupleIJPjSE_EEENSF_IJSE_SE_EEES9_SG_JZNS1_25segmented_radix_sort_implINS0_14default_configELb1EPKsPsPKlPlN2at6native12_GLOBAL__N_18offset_tEEE10hipError_tPvRmT1_PNSt15iterator_traitsISY_E10value_typeET2_T3_PNSZ_IS14_E10value_typeET4_jRbjT5_S1A_jjP12ihipStream_tbEUljE_EEESV_SW_SX_S14_S18_S1A_T6_T7_T9_mT8_S1C_bDpT10_ENKUlT_T0_E_clISt17integral_constantIbLb1EES1O_IbLb0EEEEDaS1K_S1L_EUlS1K_E_NS1_11comp_targetILNS1_3genE2ELNS1_11target_archE906ELNS1_3gpuE6ELNS1_3repE0EEENS1_30default_config_static_selectorELNS0_4arch9wavefront6targetE0EEEvSY_ ; -- Begin function _ZN7rocprim17ROCPRIM_400000_NS6detail17trampoline_kernelINS0_13select_configILj256ELj13ELNS0_17block_load_methodE3ELS4_3ELS4_3ELNS0_20block_scan_algorithmE0ELj4294967295EEENS1_25partition_config_selectorILNS1_17partition_subalgoE3EjNS0_10empty_typeEbEEZZNS1_14partition_implILS8_3ELb0ES6_jNS0_17counting_iteratorIjlEEPS9_SE_NS0_5tupleIJPjSE_EEENSF_IJSE_SE_EEES9_SG_JZNS1_25segmented_radix_sort_implINS0_14default_configELb1EPKsPsPKlPlN2at6native12_GLOBAL__N_18offset_tEEE10hipError_tPvRmT1_PNSt15iterator_traitsISY_E10value_typeET2_T3_PNSZ_IS14_E10value_typeET4_jRbjT5_S1A_jjP12ihipStream_tbEUljE_EEESV_SW_SX_S14_S18_S1A_T6_T7_T9_mT8_S1C_bDpT10_ENKUlT_T0_E_clISt17integral_constantIbLb1EES1O_IbLb0EEEEDaS1K_S1L_EUlS1K_E_NS1_11comp_targetILNS1_3genE2ELNS1_11target_archE906ELNS1_3gpuE6ELNS1_3repE0EEENS1_30default_config_static_selectorELNS0_4arch9wavefront6targetE0EEEvSY_
	.p2align	8
	.type	_ZN7rocprim17ROCPRIM_400000_NS6detail17trampoline_kernelINS0_13select_configILj256ELj13ELNS0_17block_load_methodE3ELS4_3ELS4_3ELNS0_20block_scan_algorithmE0ELj4294967295EEENS1_25partition_config_selectorILNS1_17partition_subalgoE3EjNS0_10empty_typeEbEEZZNS1_14partition_implILS8_3ELb0ES6_jNS0_17counting_iteratorIjlEEPS9_SE_NS0_5tupleIJPjSE_EEENSF_IJSE_SE_EEES9_SG_JZNS1_25segmented_radix_sort_implINS0_14default_configELb1EPKsPsPKlPlN2at6native12_GLOBAL__N_18offset_tEEE10hipError_tPvRmT1_PNSt15iterator_traitsISY_E10value_typeET2_T3_PNSZ_IS14_E10value_typeET4_jRbjT5_S1A_jjP12ihipStream_tbEUljE_EEESV_SW_SX_S14_S18_S1A_T6_T7_T9_mT8_S1C_bDpT10_ENKUlT_T0_E_clISt17integral_constantIbLb1EES1O_IbLb0EEEEDaS1K_S1L_EUlS1K_E_NS1_11comp_targetILNS1_3genE2ELNS1_11target_archE906ELNS1_3gpuE6ELNS1_3repE0EEENS1_30default_config_static_selectorELNS0_4arch9wavefront6targetE0EEEvSY_,@function
_ZN7rocprim17ROCPRIM_400000_NS6detail17trampoline_kernelINS0_13select_configILj256ELj13ELNS0_17block_load_methodE3ELS4_3ELS4_3ELNS0_20block_scan_algorithmE0ELj4294967295EEENS1_25partition_config_selectorILNS1_17partition_subalgoE3EjNS0_10empty_typeEbEEZZNS1_14partition_implILS8_3ELb0ES6_jNS0_17counting_iteratorIjlEEPS9_SE_NS0_5tupleIJPjSE_EEENSF_IJSE_SE_EEES9_SG_JZNS1_25segmented_radix_sort_implINS0_14default_configELb1EPKsPsPKlPlN2at6native12_GLOBAL__N_18offset_tEEE10hipError_tPvRmT1_PNSt15iterator_traitsISY_E10value_typeET2_T3_PNSZ_IS14_E10value_typeET4_jRbjT5_S1A_jjP12ihipStream_tbEUljE_EEESV_SW_SX_S14_S18_S1A_T6_T7_T9_mT8_S1C_bDpT10_ENKUlT_T0_E_clISt17integral_constantIbLb1EES1O_IbLb0EEEEDaS1K_S1L_EUlS1K_E_NS1_11comp_targetILNS1_3genE2ELNS1_11target_archE906ELNS1_3gpuE6ELNS1_3repE0EEENS1_30default_config_static_selectorELNS0_4arch9wavefront6targetE0EEEvSY_: ; @_ZN7rocprim17ROCPRIM_400000_NS6detail17trampoline_kernelINS0_13select_configILj256ELj13ELNS0_17block_load_methodE3ELS4_3ELS4_3ELNS0_20block_scan_algorithmE0ELj4294967295EEENS1_25partition_config_selectorILNS1_17partition_subalgoE3EjNS0_10empty_typeEbEEZZNS1_14partition_implILS8_3ELb0ES6_jNS0_17counting_iteratorIjlEEPS9_SE_NS0_5tupleIJPjSE_EEENSF_IJSE_SE_EEES9_SG_JZNS1_25segmented_radix_sort_implINS0_14default_configELb1EPKsPsPKlPlN2at6native12_GLOBAL__N_18offset_tEEE10hipError_tPvRmT1_PNSt15iterator_traitsISY_E10value_typeET2_T3_PNSZ_IS14_E10value_typeET4_jRbjT5_S1A_jjP12ihipStream_tbEUljE_EEESV_SW_SX_S14_S18_S1A_T6_T7_T9_mT8_S1C_bDpT10_ENKUlT_T0_E_clISt17integral_constantIbLb1EES1O_IbLb0EEEEDaS1K_S1L_EUlS1K_E_NS1_11comp_targetILNS1_3genE2ELNS1_11target_archE906ELNS1_3gpuE6ELNS1_3repE0EEENS1_30default_config_static_selectorELNS0_4arch9wavefront6targetE0EEEvSY_
; %bb.0:
	.section	.rodata,"a",@progbits
	.p2align	6, 0x0
	.amdhsa_kernel _ZN7rocprim17ROCPRIM_400000_NS6detail17trampoline_kernelINS0_13select_configILj256ELj13ELNS0_17block_load_methodE3ELS4_3ELS4_3ELNS0_20block_scan_algorithmE0ELj4294967295EEENS1_25partition_config_selectorILNS1_17partition_subalgoE3EjNS0_10empty_typeEbEEZZNS1_14partition_implILS8_3ELb0ES6_jNS0_17counting_iteratorIjlEEPS9_SE_NS0_5tupleIJPjSE_EEENSF_IJSE_SE_EEES9_SG_JZNS1_25segmented_radix_sort_implINS0_14default_configELb1EPKsPsPKlPlN2at6native12_GLOBAL__N_18offset_tEEE10hipError_tPvRmT1_PNSt15iterator_traitsISY_E10value_typeET2_T3_PNSZ_IS14_E10value_typeET4_jRbjT5_S1A_jjP12ihipStream_tbEUljE_EEESV_SW_SX_S14_S18_S1A_T6_T7_T9_mT8_S1C_bDpT10_ENKUlT_T0_E_clISt17integral_constantIbLb1EES1O_IbLb0EEEEDaS1K_S1L_EUlS1K_E_NS1_11comp_targetILNS1_3genE2ELNS1_11target_archE906ELNS1_3gpuE6ELNS1_3repE0EEENS1_30default_config_static_selectorELNS0_4arch9wavefront6targetE0EEEvSY_
		.amdhsa_group_segment_fixed_size 0
		.amdhsa_private_segment_fixed_size 0
		.amdhsa_kernarg_size 144
		.amdhsa_user_sgpr_count 15
		.amdhsa_user_sgpr_dispatch_ptr 0
		.amdhsa_user_sgpr_queue_ptr 0
		.amdhsa_user_sgpr_kernarg_segment_ptr 1
		.amdhsa_user_sgpr_dispatch_id 0
		.amdhsa_user_sgpr_private_segment_size 0
		.amdhsa_wavefront_size32 1
		.amdhsa_uses_dynamic_stack 0
		.amdhsa_enable_private_segment 0
		.amdhsa_system_sgpr_workgroup_id_x 1
		.amdhsa_system_sgpr_workgroup_id_y 0
		.amdhsa_system_sgpr_workgroup_id_z 0
		.amdhsa_system_sgpr_workgroup_info 0
		.amdhsa_system_vgpr_workitem_id 0
		.amdhsa_next_free_vgpr 1
		.amdhsa_next_free_sgpr 1
		.amdhsa_reserve_vcc 0
		.amdhsa_float_round_mode_32 0
		.amdhsa_float_round_mode_16_64 0
		.amdhsa_float_denorm_mode_32 3
		.amdhsa_float_denorm_mode_16_64 3
		.amdhsa_dx10_clamp 1
		.amdhsa_ieee_mode 1
		.amdhsa_fp16_overflow 0
		.amdhsa_workgroup_processor_mode 1
		.amdhsa_memory_ordered 1
		.amdhsa_forward_progress 0
		.amdhsa_shared_vgpr_count 0
		.amdhsa_exception_fp_ieee_invalid_op 0
		.amdhsa_exception_fp_denorm_src 0
		.amdhsa_exception_fp_ieee_div_zero 0
		.amdhsa_exception_fp_ieee_overflow 0
		.amdhsa_exception_fp_ieee_underflow 0
		.amdhsa_exception_fp_ieee_inexact 0
		.amdhsa_exception_int_div_zero 0
	.end_amdhsa_kernel
	.section	.text._ZN7rocprim17ROCPRIM_400000_NS6detail17trampoline_kernelINS0_13select_configILj256ELj13ELNS0_17block_load_methodE3ELS4_3ELS4_3ELNS0_20block_scan_algorithmE0ELj4294967295EEENS1_25partition_config_selectorILNS1_17partition_subalgoE3EjNS0_10empty_typeEbEEZZNS1_14partition_implILS8_3ELb0ES6_jNS0_17counting_iteratorIjlEEPS9_SE_NS0_5tupleIJPjSE_EEENSF_IJSE_SE_EEES9_SG_JZNS1_25segmented_radix_sort_implINS0_14default_configELb1EPKsPsPKlPlN2at6native12_GLOBAL__N_18offset_tEEE10hipError_tPvRmT1_PNSt15iterator_traitsISY_E10value_typeET2_T3_PNSZ_IS14_E10value_typeET4_jRbjT5_S1A_jjP12ihipStream_tbEUljE_EEESV_SW_SX_S14_S18_S1A_T6_T7_T9_mT8_S1C_bDpT10_ENKUlT_T0_E_clISt17integral_constantIbLb1EES1O_IbLb0EEEEDaS1K_S1L_EUlS1K_E_NS1_11comp_targetILNS1_3genE2ELNS1_11target_archE906ELNS1_3gpuE6ELNS1_3repE0EEENS1_30default_config_static_selectorELNS0_4arch9wavefront6targetE0EEEvSY_,"axG",@progbits,_ZN7rocprim17ROCPRIM_400000_NS6detail17trampoline_kernelINS0_13select_configILj256ELj13ELNS0_17block_load_methodE3ELS4_3ELS4_3ELNS0_20block_scan_algorithmE0ELj4294967295EEENS1_25partition_config_selectorILNS1_17partition_subalgoE3EjNS0_10empty_typeEbEEZZNS1_14partition_implILS8_3ELb0ES6_jNS0_17counting_iteratorIjlEEPS9_SE_NS0_5tupleIJPjSE_EEENSF_IJSE_SE_EEES9_SG_JZNS1_25segmented_radix_sort_implINS0_14default_configELb1EPKsPsPKlPlN2at6native12_GLOBAL__N_18offset_tEEE10hipError_tPvRmT1_PNSt15iterator_traitsISY_E10value_typeET2_T3_PNSZ_IS14_E10value_typeET4_jRbjT5_S1A_jjP12ihipStream_tbEUljE_EEESV_SW_SX_S14_S18_S1A_T6_T7_T9_mT8_S1C_bDpT10_ENKUlT_T0_E_clISt17integral_constantIbLb1EES1O_IbLb0EEEEDaS1K_S1L_EUlS1K_E_NS1_11comp_targetILNS1_3genE2ELNS1_11target_archE906ELNS1_3gpuE6ELNS1_3repE0EEENS1_30default_config_static_selectorELNS0_4arch9wavefront6targetE0EEEvSY_,comdat
.Lfunc_end899:
	.size	_ZN7rocprim17ROCPRIM_400000_NS6detail17trampoline_kernelINS0_13select_configILj256ELj13ELNS0_17block_load_methodE3ELS4_3ELS4_3ELNS0_20block_scan_algorithmE0ELj4294967295EEENS1_25partition_config_selectorILNS1_17partition_subalgoE3EjNS0_10empty_typeEbEEZZNS1_14partition_implILS8_3ELb0ES6_jNS0_17counting_iteratorIjlEEPS9_SE_NS0_5tupleIJPjSE_EEENSF_IJSE_SE_EEES9_SG_JZNS1_25segmented_radix_sort_implINS0_14default_configELb1EPKsPsPKlPlN2at6native12_GLOBAL__N_18offset_tEEE10hipError_tPvRmT1_PNSt15iterator_traitsISY_E10value_typeET2_T3_PNSZ_IS14_E10value_typeET4_jRbjT5_S1A_jjP12ihipStream_tbEUljE_EEESV_SW_SX_S14_S18_S1A_T6_T7_T9_mT8_S1C_bDpT10_ENKUlT_T0_E_clISt17integral_constantIbLb1EES1O_IbLb0EEEEDaS1K_S1L_EUlS1K_E_NS1_11comp_targetILNS1_3genE2ELNS1_11target_archE906ELNS1_3gpuE6ELNS1_3repE0EEENS1_30default_config_static_selectorELNS0_4arch9wavefront6targetE0EEEvSY_, .Lfunc_end899-_ZN7rocprim17ROCPRIM_400000_NS6detail17trampoline_kernelINS0_13select_configILj256ELj13ELNS0_17block_load_methodE3ELS4_3ELS4_3ELNS0_20block_scan_algorithmE0ELj4294967295EEENS1_25partition_config_selectorILNS1_17partition_subalgoE3EjNS0_10empty_typeEbEEZZNS1_14partition_implILS8_3ELb0ES6_jNS0_17counting_iteratorIjlEEPS9_SE_NS0_5tupleIJPjSE_EEENSF_IJSE_SE_EEES9_SG_JZNS1_25segmented_radix_sort_implINS0_14default_configELb1EPKsPsPKlPlN2at6native12_GLOBAL__N_18offset_tEEE10hipError_tPvRmT1_PNSt15iterator_traitsISY_E10value_typeET2_T3_PNSZ_IS14_E10value_typeET4_jRbjT5_S1A_jjP12ihipStream_tbEUljE_EEESV_SW_SX_S14_S18_S1A_T6_T7_T9_mT8_S1C_bDpT10_ENKUlT_T0_E_clISt17integral_constantIbLb1EES1O_IbLb0EEEEDaS1K_S1L_EUlS1K_E_NS1_11comp_targetILNS1_3genE2ELNS1_11target_archE906ELNS1_3gpuE6ELNS1_3repE0EEENS1_30default_config_static_selectorELNS0_4arch9wavefront6targetE0EEEvSY_
                                        ; -- End function
	.section	.AMDGPU.csdata,"",@progbits
; Kernel info:
; codeLenInByte = 0
; NumSgprs: 0
; NumVgprs: 0
; ScratchSize: 0
; MemoryBound: 0
; FloatMode: 240
; IeeeMode: 1
; LDSByteSize: 0 bytes/workgroup (compile time only)
; SGPRBlocks: 0
; VGPRBlocks: 0
; NumSGPRsForWavesPerEU: 1
; NumVGPRsForWavesPerEU: 1
; Occupancy: 16
; WaveLimiterHint : 0
; COMPUTE_PGM_RSRC2:SCRATCH_EN: 0
; COMPUTE_PGM_RSRC2:USER_SGPR: 15
; COMPUTE_PGM_RSRC2:TRAP_HANDLER: 0
; COMPUTE_PGM_RSRC2:TGID_X_EN: 1
; COMPUTE_PGM_RSRC2:TGID_Y_EN: 0
; COMPUTE_PGM_RSRC2:TGID_Z_EN: 0
; COMPUTE_PGM_RSRC2:TIDIG_COMP_CNT: 0
	.section	.text._ZN7rocprim17ROCPRIM_400000_NS6detail17trampoline_kernelINS0_13select_configILj256ELj13ELNS0_17block_load_methodE3ELS4_3ELS4_3ELNS0_20block_scan_algorithmE0ELj4294967295EEENS1_25partition_config_selectorILNS1_17partition_subalgoE3EjNS0_10empty_typeEbEEZZNS1_14partition_implILS8_3ELb0ES6_jNS0_17counting_iteratorIjlEEPS9_SE_NS0_5tupleIJPjSE_EEENSF_IJSE_SE_EEES9_SG_JZNS1_25segmented_radix_sort_implINS0_14default_configELb1EPKsPsPKlPlN2at6native12_GLOBAL__N_18offset_tEEE10hipError_tPvRmT1_PNSt15iterator_traitsISY_E10value_typeET2_T3_PNSZ_IS14_E10value_typeET4_jRbjT5_S1A_jjP12ihipStream_tbEUljE_EEESV_SW_SX_S14_S18_S1A_T6_T7_T9_mT8_S1C_bDpT10_ENKUlT_T0_E_clISt17integral_constantIbLb1EES1O_IbLb0EEEEDaS1K_S1L_EUlS1K_E_NS1_11comp_targetILNS1_3genE10ELNS1_11target_archE1200ELNS1_3gpuE4ELNS1_3repE0EEENS1_30default_config_static_selectorELNS0_4arch9wavefront6targetE0EEEvSY_,"axG",@progbits,_ZN7rocprim17ROCPRIM_400000_NS6detail17trampoline_kernelINS0_13select_configILj256ELj13ELNS0_17block_load_methodE3ELS4_3ELS4_3ELNS0_20block_scan_algorithmE0ELj4294967295EEENS1_25partition_config_selectorILNS1_17partition_subalgoE3EjNS0_10empty_typeEbEEZZNS1_14partition_implILS8_3ELb0ES6_jNS0_17counting_iteratorIjlEEPS9_SE_NS0_5tupleIJPjSE_EEENSF_IJSE_SE_EEES9_SG_JZNS1_25segmented_radix_sort_implINS0_14default_configELb1EPKsPsPKlPlN2at6native12_GLOBAL__N_18offset_tEEE10hipError_tPvRmT1_PNSt15iterator_traitsISY_E10value_typeET2_T3_PNSZ_IS14_E10value_typeET4_jRbjT5_S1A_jjP12ihipStream_tbEUljE_EEESV_SW_SX_S14_S18_S1A_T6_T7_T9_mT8_S1C_bDpT10_ENKUlT_T0_E_clISt17integral_constantIbLb1EES1O_IbLb0EEEEDaS1K_S1L_EUlS1K_E_NS1_11comp_targetILNS1_3genE10ELNS1_11target_archE1200ELNS1_3gpuE4ELNS1_3repE0EEENS1_30default_config_static_selectorELNS0_4arch9wavefront6targetE0EEEvSY_,comdat
	.globl	_ZN7rocprim17ROCPRIM_400000_NS6detail17trampoline_kernelINS0_13select_configILj256ELj13ELNS0_17block_load_methodE3ELS4_3ELS4_3ELNS0_20block_scan_algorithmE0ELj4294967295EEENS1_25partition_config_selectorILNS1_17partition_subalgoE3EjNS0_10empty_typeEbEEZZNS1_14partition_implILS8_3ELb0ES6_jNS0_17counting_iteratorIjlEEPS9_SE_NS0_5tupleIJPjSE_EEENSF_IJSE_SE_EEES9_SG_JZNS1_25segmented_radix_sort_implINS0_14default_configELb1EPKsPsPKlPlN2at6native12_GLOBAL__N_18offset_tEEE10hipError_tPvRmT1_PNSt15iterator_traitsISY_E10value_typeET2_T3_PNSZ_IS14_E10value_typeET4_jRbjT5_S1A_jjP12ihipStream_tbEUljE_EEESV_SW_SX_S14_S18_S1A_T6_T7_T9_mT8_S1C_bDpT10_ENKUlT_T0_E_clISt17integral_constantIbLb1EES1O_IbLb0EEEEDaS1K_S1L_EUlS1K_E_NS1_11comp_targetILNS1_3genE10ELNS1_11target_archE1200ELNS1_3gpuE4ELNS1_3repE0EEENS1_30default_config_static_selectorELNS0_4arch9wavefront6targetE0EEEvSY_ ; -- Begin function _ZN7rocprim17ROCPRIM_400000_NS6detail17trampoline_kernelINS0_13select_configILj256ELj13ELNS0_17block_load_methodE3ELS4_3ELS4_3ELNS0_20block_scan_algorithmE0ELj4294967295EEENS1_25partition_config_selectorILNS1_17partition_subalgoE3EjNS0_10empty_typeEbEEZZNS1_14partition_implILS8_3ELb0ES6_jNS0_17counting_iteratorIjlEEPS9_SE_NS0_5tupleIJPjSE_EEENSF_IJSE_SE_EEES9_SG_JZNS1_25segmented_radix_sort_implINS0_14default_configELb1EPKsPsPKlPlN2at6native12_GLOBAL__N_18offset_tEEE10hipError_tPvRmT1_PNSt15iterator_traitsISY_E10value_typeET2_T3_PNSZ_IS14_E10value_typeET4_jRbjT5_S1A_jjP12ihipStream_tbEUljE_EEESV_SW_SX_S14_S18_S1A_T6_T7_T9_mT8_S1C_bDpT10_ENKUlT_T0_E_clISt17integral_constantIbLb1EES1O_IbLb0EEEEDaS1K_S1L_EUlS1K_E_NS1_11comp_targetILNS1_3genE10ELNS1_11target_archE1200ELNS1_3gpuE4ELNS1_3repE0EEENS1_30default_config_static_selectorELNS0_4arch9wavefront6targetE0EEEvSY_
	.p2align	8
	.type	_ZN7rocprim17ROCPRIM_400000_NS6detail17trampoline_kernelINS0_13select_configILj256ELj13ELNS0_17block_load_methodE3ELS4_3ELS4_3ELNS0_20block_scan_algorithmE0ELj4294967295EEENS1_25partition_config_selectorILNS1_17partition_subalgoE3EjNS0_10empty_typeEbEEZZNS1_14partition_implILS8_3ELb0ES6_jNS0_17counting_iteratorIjlEEPS9_SE_NS0_5tupleIJPjSE_EEENSF_IJSE_SE_EEES9_SG_JZNS1_25segmented_radix_sort_implINS0_14default_configELb1EPKsPsPKlPlN2at6native12_GLOBAL__N_18offset_tEEE10hipError_tPvRmT1_PNSt15iterator_traitsISY_E10value_typeET2_T3_PNSZ_IS14_E10value_typeET4_jRbjT5_S1A_jjP12ihipStream_tbEUljE_EEESV_SW_SX_S14_S18_S1A_T6_T7_T9_mT8_S1C_bDpT10_ENKUlT_T0_E_clISt17integral_constantIbLb1EES1O_IbLb0EEEEDaS1K_S1L_EUlS1K_E_NS1_11comp_targetILNS1_3genE10ELNS1_11target_archE1200ELNS1_3gpuE4ELNS1_3repE0EEENS1_30default_config_static_selectorELNS0_4arch9wavefront6targetE0EEEvSY_,@function
_ZN7rocprim17ROCPRIM_400000_NS6detail17trampoline_kernelINS0_13select_configILj256ELj13ELNS0_17block_load_methodE3ELS4_3ELS4_3ELNS0_20block_scan_algorithmE0ELj4294967295EEENS1_25partition_config_selectorILNS1_17partition_subalgoE3EjNS0_10empty_typeEbEEZZNS1_14partition_implILS8_3ELb0ES6_jNS0_17counting_iteratorIjlEEPS9_SE_NS0_5tupleIJPjSE_EEENSF_IJSE_SE_EEES9_SG_JZNS1_25segmented_radix_sort_implINS0_14default_configELb1EPKsPsPKlPlN2at6native12_GLOBAL__N_18offset_tEEE10hipError_tPvRmT1_PNSt15iterator_traitsISY_E10value_typeET2_T3_PNSZ_IS14_E10value_typeET4_jRbjT5_S1A_jjP12ihipStream_tbEUljE_EEESV_SW_SX_S14_S18_S1A_T6_T7_T9_mT8_S1C_bDpT10_ENKUlT_T0_E_clISt17integral_constantIbLb1EES1O_IbLb0EEEEDaS1K_S1L_EUlS1K_E_NS1_11comp_targetILNS1_3genE10ELNS1_11target_archE1200ELNS1_3gpuE4ELNS1_3repE0EEENS1_30default_config_static_selectorELNS0_4arch9wavefront6targetE0EEEvSY_: ; @_ZN7rocprim17ROCPRIM_400000_NS6detail17trampoline_kernelINS0_13select_configILj256ELj13ELNS0_17block_load_methodE3ELS4_3ELS4_3ELNS0_20block_scan_algorithmE0ELj4294967295EEENS1_25partition_config_selectorILNS1_17partition_subalgoE3EjNS0_10empty_typeEbEEZZNS1_14partition_implILS8_3ELb0ES6_jNS0_17counting_iteratorIjlEEPS9_SE_NS0_5tupleIJPjSE_EEENSF_IJSE_SE_EEES9_SG_JZNS1_25segmented_radix_sort_implINS0_14default_configELb1EPKsPsPKlPlN2at6native12_GLOBAL__N_18offset_tEEE10hipError_tPvRmT1_PNSt15iterator_traitsISY_E10value_typeET2_T3_PNSZ_IS14_E10value_typeET4_jRbjT5_S1A_jjP12ihipStream_tbEUljE_EEESV_SW_SX_S14_S18_S1A_T6_T7_T9_mT8_S1C_bDpT10_ENKUlT_T0_E_clISt17integral_constantIbLb1EES1O_IbLb0EEEEDaS1K_S1L_EUlS1K_E_NS1_11comp_targetILNS1_3genE10ELNS1_11target_archE1200ELNS1_3gpuE4ELNS1_3repE0EEENS1_30default_config_static_selectorELNS0_4arch9wavefront6targetE0EEEvSY_
; %bb.0:
	.section	.rodata,"a",@progbits
	.p2align	6, 0x0
	.amdhsa_kernel _ZN7rocprim17ROCPRIM_400000_NS6detail17trampoline_kernelINS0_13select_configILj256ELj13ELNS0_17block_load_methodE3ELS4_3ELS4_3ELNS0_20block_scan_algorithmE0ELj4294967295EEENS1_25partition_config_selectorILNS1_17partition_subalgoE3EjNS0_10empty_typeEbEEZZNS1_14partition_implILS8_3ELb0ES6_jNS0_17counting_iteratorIjlEEPS9_SE_NS0_5tupleIJPjSE_EEENSF_IJSE_SE_EEES9_SG_JZNS1_25segmented_radix_sort_implINS0_14default_configELb1EPKsPsPKlPlN2at6native12_GLOBAL__N_18offset_tEEE10hipError_tPvRmT1_PNSt15iterator_traitsISY_E10value_typeET2_T3_PNSZ_IS14_E10value_typeET4_jRbjT5_S1A_jjP12ihipStream_tbEUljE_EEESV_SW_SX_S14_S18_S1A_T6_T7_T9_mT8_S1C_bDpT10_ENKUlT_T0_E_clISt17integral_constantIbLb1EES1O_IbLb0EEEEDaS1K_S1L_EUlS1K_E_NS1_11comp_targetILNS1_3genE10ELNS1_11target_archE1200ELNS1_3gpuE4ELNS1_3repE0EEENS1_30default_config_static_selectorELNS0_4arch9wavefront6targetE0EEEvSY_
		.amdhsa_group_segment_fixed_size 0
		.amdhsa_private_segment_fixed_size 0
		.amdhsa_kernarg_size 144
		.amdhsa_user_sgpr_count 15
		.amdhsa_user_sgpr_dispatch_ptr 0
		.amdhsa_user_sgpr_queue_ptr 0
		.amdhsa_user_sgpr_kernarg_segment_ptr 1
		.amdhsa_user_sgpr_dispatch_id 0
		.amdhsa_user_sgpr_private_segment_size 0
		.amdhsa_wavefront_size32 1
		.amdhsa_uses_dynamic_stack 0
		.amdhsa_enable_private_segment 0
		.amdhsa_system_sgpr_workgroup_id_x 1
		.amdhsa_system_sgpr_workgroup_id_y 0
		.amdhsa_system_sgpr_workgroup_id_z 0
		.amdhsa_system_sgpr_workgroup_info 0
		.amdhsa_system_vgpr_workitem_id 0
		.amdhsa_next_free_vgpr 1
		.amdhsa_next_free_sgpr 1
		.amdhsa_reserve_vcc 0
		.amdhsa_float_round_mode_32 0
		.amdhsa_float_round_mode_16_64 0
		.amdhsa_float_denorm_mode_32 3
		.amdhsa_float_denorm_mode_16_64 3
		.amdhsa_dx10_clamp 1
		.amdhsa_ieee_mode 1
		.amdhsa_fp16_overflow 0
		.amdhsa_workgroup_processor_mode 1
		.amdhsa_memory_ordered 1
		.amdhsa_forward_progress 0
		.amdhsa_shared_vgpr_count 0
		.amdhsa_exception_fp_ieee_invalid_op 0
		.amdhsa_exception_fp_denorm_src 0
		.amdhsa_exception_fp_ieee_div_zero 0
		.amdhsa_exception_fp_ieee_overflow 0
		.amdhsa_exception_fp_ieee_underflow 0
		.amdhsa_exception_fp_ieee_inexact 0
		.amdhsa_exception_int_div_zero 0
	.end_amdhsa_kernel
	.section	.text._ZN7rocprim17ROCPRIM_400000_NS6detail17trampoline_kernelINS0_13select_configILj256ELj13ELNS0_17block_load_methodE3ELS4_3ELS4_3ELNS0_20block_scan_algorithmE0ELj4294967295EEENS1_25partition_config_selectorILNS1_17partition_subalgoE3EjNS0_10empty_typeEbEEZZNS1_14partition_implILS8_3ELb0ES6_jNS0_17counting_iteratorIjlEEPS9_SE_NS0_5tupleIJPjSE_EEENSF_IJSE_SE_EEES9_SG_JZNS1_25segmented_radix_sort_implINS0_14default_configELb1EPKsPsPKlPlN2at6native12_GLOBAL__N_18offset_tEEE10hipError_tPvRmT1_PNSt15iterator_traitsISY_E10value_typeET2_T3_PNSZ_IS14_E10value_typeET4_jRbjT5_S1A_jjP12ihipStream_tbEUljE_EEESV_SW_SX_S14_S18_S1A_T6_T7_T9_mT8_S1C_bDpT10_ENKUlT_T0_E_clISt17integral_constantIbLb1EES1O_IbLb0EEEEDaS1K_S1L_EUlS1K_E_NS1_11comp_targetILNS1_3genE10ELNS1_11target_archE1200ELNS1_3gpuE4ELNS1_3repE0EEENS1_30default_config_static_selectorELNS0_4arch9wavefront6targetE0EEEvSY_,"axG",@progbits,_ZN7rocprim17ROCPRIM_400000_NS6detail17trampoline_kernelINS0_13select_configILj256ELj13ELNS0_17block_load_methodE3ELS4_3ELS4_3ELNS0_20block_scan_algorithmE0ELj4294967295EEENS1_25partition_config_selectorILNS1_17partition_subalgoE3EjNS0_10empty_typeEbEEZZNS1_14partition_implILS8_3ELb0ES6_jNS0_17counting_iteratorIjlEEPS9_SE_NS0_5tupleIJPjSE_EEENSF_IJSE_SE_EEES9_SG_JZNS1_25segmented_radix_sort_implINS0_14default_configELb1EPKsPsPKlPlN2at6native12_GLOBAL__N_18offset_tEEE10hipError_tPvRmT1_PNSt15iterator_traitsISY_E10value_typeET2_T3_PNSZ_IS14_E10value_typeET4_jRbjT5_S1A_jjP12ihipStream_tbEUljE_EEESV_SW_SX_S14_S18_S1A_T6_T7_T9_mT8_S1C_bDpT10_ENKUlT_T0_E_clISt17integral_constantIbLb1EES1O_IbLb0EEEEDaS1K_S1L_EUlS1K_E_NS1_11comp_targetILNS1_3genE10ELNS1_11target_archE1200ELNS1_3gpuE4ELNS1_3repE0EEENS1_30default_config_static_selectorELNS0_4arch9wavefront6targetE0EEEvSY_,comdat
.Lfunc_end900:
	.size	_ZN7rocprim17ROCPRIM_400000_NS6detail17trampoline_kernelINS0_13select_configILj256ELj13ELNS0_17block_load_methodE3ELS4_3ELS4_3ELNS0_20block_scan_algorithmE0ELj4294967295EEENS1_25partition_config_selectorILNS1_17partition_subalgoE3EjNS0_10empty_typeEbEEZZNS1_14partition_implILS8_3ELb0ES6_jNS0_17counting_iteratorIjlEEPS9_SE_NS0_5tupleIJPjSE_EEENSF_IJSE_SE_EEES9_SG_JZNS1_25segmented_radix_sort_implINS0_14default_configELb1EPKsPsPKlPlN2at6native12_GLOBAL__N_18offset_tEEE10hipError_tPvRmT1_PNSt15iterator_traitsISY_E10value_typeET2_T3_PNSZ_IS14_E10value_typeET4_jRbjT5_S1A_jjP12ihipStream_tbEUljE_EEESV_SW_SX_S14_S18_S1A_T6_T7_T9_mT8_S1C_bDpT10_ENKUlT_T0_E_clISt17integral_constantIbLb1EES1O_IbLb0EEEEDaS1K_S1L_EUlS1K_E_NS1_11comp_targetILNS1_3genE10ELNS1_11target_archE1200ELNS1_3gpuE4ELNS1_3repE0EEENS1_30default_config_static_selectorELNS0_4arch9wavefront6targetE0EEEvSY_, .Lfunc_end900-_ZN7rocprim17ROCPRIM_400000_NS6detail17trampoline_kernelINS0_13select_configILj256ELj13ELNS0_17block_load_methodE3ELS4_3ELS4_3ELNS0_20block_scan_algorithmE0ELj4294967295EEENS1_25partition_config_selectorILNS1_17partition_subalgoE3EjNS0_10empty_typeEbEEZZNS1_14partition_implILS8_3ELb0ES6_jNS0_17counting_iteratorIjlEEPS9_SE_NS0_5tupleIJPjSE_EEENSF_IJSE_SE_EEES9_SG_JZNS1_25segmented_radix_sort_implINS0_14default_configELb1EPKsPsPKlPlN2at6native12_GLOBAL__N_18offset_tEEE10hipError_tPvRmT1_PNSt15iterator_traitsISY_E10value_typeET2_T3_PNSZ_IS14_E10value_typeET4_jRbjT5_S1A_jjP12ihipStream_tbEUljE_EEESV_SW_SX_S14_S18_S1A_T6_T7_T9_mT8_S1C_bDpT10_ENKUlT_T0_E_clISt17integral_constantIbLb1EES1O_IbLb0EEEEDaS1K_S1L_EUlS1K_E_NS1_11comp_targetILNS1_3genE10ELNS1_11target_archE1200ELNS1_3gpuE4ELNS1_3repE0EEENS1_30default_config_static_selectorELNS0_4arch9wavefront6targetE0EEEvSY_
                                        ; -- End function
	.section	.AMDGPU.csdata,"",@progbits
; Kernel info:
; codeLenInByte = 0
; NumSgprs: 0
; NumVgprs: 0
; ScratchSize: 0
; MemoryBound: 0
; FloatMode: 240
; IeeeMode: 1
; LDSByteSize: 0 bytes/workgroup (compile time only)
; SGPRBlocks: 0
; VGPRBlocks: 0
; NumSGPRsForWavesPerEU: 1
; NumVGPRsForWavesPerEU: 1
; Occupancy: 16
; WaveLimiterHint : 0
; COMPUTE_PGM_RSRC2:SCRATCH_EN: 0
; COMPUTE_PGM_RSRC2:USER_SGPR: 15
; COMPUTE_PGM_RSRC2:TRAP_HANDLER: 0
; COMPUTE_PGM_RSRC2:TGID_X_EN: 1
; COMPUTE_PGM_RSRC2:TGID_Y_EN: 0
; COMPUTE_PGM_RSRC2:TGID_Z_EN: 0
; COMPUTE_PGM_RSRC2:TIDIG_COMP_CNT: 0
	.section	.text._ZN7rocprim17ROCPRIM_400000_NS6detail17trampoline_kernelINS0_13select_configILj256ELj13ELNS0_17block_load_methodE3ELS4_3ELS4_3ELNS0_20block_scan_algorithmE0ELj4294967295EEENS1_25partition_config_selectorILNS1_17partition_subalgoE3EjNS0_10empty_typeEbEEZZNS1_14partition_implILS8_3ELb0ES6_jNS0_17counting_iteratorIjlEEPS9_SE_NS0_5tupleIJPjSE_EEENSF_IJSE_SE_EEES9_SG_JZNS1_25segmented_radix_sort_implINS0_14default_configELb1EPKsPsPKlPlN2at6native12_GLOBAL__N_18offset_tEEE10hipError_tPvRmT1_PNSt15iterator_traitsISY_E10value_typeET2_T3_PNSZ_IS14_E10value_typeET4_jRbjT5_S1A_jjP12ihipStream_tbEUljE_EEESV_SW_SX_S14_S18_S1A_T6_T7_T9_mT8_S1C_bDpT10_ENKUlT_T0_E_clISt17integral_constantIbLb1EES1O_IbLb0EEEEDaS1K_S1L_EUlS1K_E_NS1_11comp_targetILNS1_3genE9ELNS1_11target_archE1100ELNS1_3gpuE3ELNS1_3repE0EEENS1_30default_config_static_selectorELNS0_4arch9wavefront6targetE0EEEvSY_,"axG",@progbits,_ZN7rocprim17ROCPRIM_400000_NS6detail17trampoline_kernelINS0_13select_configILj256ELj13ELNS0_17block_load_methodE3ELS4_3ELS4_3ELNS0_20block_scan_algorithmE0ELj4294967295EEENS1_25partition_config_selectorILNS1_17partition_subalgoE3EjNS0_10empty_typeEbEEZZNS1_14partition_implILS8_3ELb0ES6_jNS0_17counting_iteratorIjlEEPS9_SE_NS0_5tupleIJPjSE_EEENSF_IJSE_SE_EEES9_SG_JZNS1_25segmented_radix_sort_implINS0_14default_configELb1EPKsPsPKlPlN2at6native12_GLOBAL__N_18offset_tEEE10hipError_tPvRmT1_PNSt15iterator_traitsISY_E10value_typeET2_T3_PNSZ_IS14_E10value_typeET4_jRbjT5_S1A_jjP12ihipStream_tbEUljE_EEESV_SW_SX_S14_S18_S1A_T6_T7_T9_mT8_S1C_bDpT10_ENKUlT_T0_E_clISt17integral_constantIbLb1EES1O_IbLb0EEEEDaS1K_S1L_EUlS1K_E_NS1_11comp_targetILNS1_3genE9ELNS1_11target_archE1100ELNS1_3gpuE3ELNS1_3repE0EEENS1_30default_config_static_selectorELNS0_4arch9wavefront6targetE0EEEvSY_,comdat
	.globl	_ZN7rocprim17ROCPRIM_400000_NS6detail17trampoline_kernelINS0_13select_configILj256ELj13ELNS0_17block_load_methodE3ELS4_3ELS4_3ELNS0_20block_scan_algorithmE0ELj4294967295EEENS1_25partition_config_selectorILNS1_17partition_subalgoE3EjNS0_10empty_typeEbEEZZNS1_14partition_implILS8_3ELb0ES6_jNS0_17counting_iteratorIjlEEPS9_SE_NS0_5tupleIJPjSE_EEENSF_IJSE_SE_EEES9_SG_JZNS1_25segmented_radix_sort_implINS0_14default_configELb1EPKsPsPKlPlN2at6native12_GLOBAL__N_18offset_tEEE10hipError_tPvRmT1_PNSt15iterator_traitsISY_E10value_typeET2_T3_PNSZ_IS14_E10value_typeET4_jRbjT5_S1A_jjP12ihipStream_tbEUljE_EEESV_SW_SX_S14_S18_S1A_T6_T7_T9_mT8_S1C_bDpT10_ENKUlT_T0_E_clISt17integral_constantIbLb1EES1O_IbLb0EEEEDaS1K_S1L_EUlS1K_E_NS1_11comp_targetILNS1_3genE9ELNS1_11target_archE1100ELNS1_3gpuE3ELNS1_3repE0EEENS1_30default_config_static_selectorELNS0_4arch9wavefront6targetE0EEEvSY_ ; -- Begin function _ZN7rocprim17ROCPRIM_400000_NS6detail17trampoline_kernelINS0_13select_configILj256ELj13ELNS0_17block_load_methodE3ELS4_3ELS4_3ELNS0_20block_scan_algorithmE0ELj4294967295EEENS1_25partition_config_selectorILNS1_17partition_subalgoE3EjNS0_10empty_typeEbEEZZNS1_14partition_implILS8_3ELb0ES6_jNS0_17counting_iteratorIjlEEPS9_SE_NS0_5tupleIJPjSE_EEENSF_IJSE_SE_EEES9_SG_JZNS1_25segmented_radix_sort_implINS0_14default_configELb1EPKsPsPKlPlN2at6native12_GLOBAL__N_18offset_tEEE10hipError_tPvRmT1_PNSt15iterator_traitsISY_E10value_typeET2_T3_PNSZ_IS14_E10value_typeET4_jRbjT5_S1A_jjP12ihipStream_tbEUljE_EEESV_SW_SX_S14_S18_S1A_T6_T7_T9_mT8_S1C_bDpT10_ENKUlT_T0_E_clISt17integral_constantIbLb1EES1O_IbLb0EEEEDaS1K_S1L_EUlS1K_E_NS1_11comp_targetILNS1_3genE9ELNS1_11target_archE1100ELNS1_3gpuE3ELNS1_3repE0EEENS1_30default_config_static_selectorELNS0_4arch9wavefront6targetE0EEEvSY_
	.p2align	8
	.type	_ZN7rocprim17ROCPRIM_400000_NS6detail17trampoline_kernelINS0_13select_configILj256ELj13ELNS0_17block_load_methodE3ELS4_3ELS4_3ELNS0_20block_scan_algorithmE0ELj4294967295EEENS1_25partition_config_selectorILNS1_17partition_subalgoE3EjNS0_10empty_typeEbEEZZNS1_14partition_implILS8_3ELb0ES6_jNS0_17counting_iteratorIjlEEPS9_SE_NS0_5tupleIJPjSE_EEENSF_IJSE_SE_EEES9_SG_JZNS1_25segmented_radix_sort_implINS0_14default_configELb1EPKsPsPKlPlN2at6native12_GLOBAL__N_18offset_tEEE10hipError_tPvRmT1_PNSt15iterator_traitsISY_E10value_typeET2_T3_PNSZ_IS14_E10value_typeET4_jRbjT5_S1A_jjP12ihipStream_tbEUljE_EEESV_SW_SX_S14_S18_S1A_T6_T7_T9_mT8_S1C_bDpT10_ENKUlT_T0_E_clISt17integral_constantIbLb1EES1O_IbLb0EEEEDaS1K_S1L_EUlS1K_E_NS1_11comp_targetILNS1_3genE9ELNS1_11target_archE1100ELNS1_3gpuE3ELNS1_3repE0EEENS1_30default_config_static_selectorELNS0_4arch9wavefront6targetE0EEEvSY_,@function
_ZN7rocprim17ROCPRIM_400000_NS6detail17trampoline_kernelINS0_13select_configILj256ELj13ELNS0_17block_load_methodE3ELS4_3ELS4_3ELNS0_20block_scan_algorithmE0ELj4294967295EEENS1_25partition_config_selectorILNS1_17partition_subalgoE3EjNS0_10empty_typeEbEEZZNS1_14partition_implILS8_3ELb0ES6_jNS0_17counting_iteratorIjlEEPS9_SE_NS0_5tupleIJPjSE_EEENSF_IJSE_SE_EEES9_SG_JZNS1_25segmented_radix_sort_implINS0_14default_configELb1EPKsPsPKlPlN2at6native12_GLOBAL__N_18offset_tEEE10hipError_tPvRmT1_PNSt15iterator_traitsISY_E10value_typeET2_T3_PNSZ_IS14_E10value_typeET4_jRbjT5_S1A_jjP12ihipStream_tbEUljE_EEESV_SW_SX_S14_S18_S1A_T6_T7_T9_mT8_S1C_bDpT10_ENKUlT_T0_E_clISt17integral_constantIbLb1EES1O_IbLb0EEEEDaS1K_S1L_EUlS1K_E_NS1_11comp_targetILNS1_3genE9ELNS1_11target_archE1100ELNS1_3gpuE3ELNS1_3repE0EEENS1_30default_config_static_selectorELNS0_4arch9wavefront6targetE0EEEvSY_: ; @_ZN7rocprim17ROCPRIM_400000_NS6detail17trampoline_kernelINS0_13select_configILj256ELj13ELNS0_17block_load_methodE3ELS4_3ELS4_3ELNS0_20block_scan_algorithmE0ELj4294967295EEENS1_25partition_config_selectorILNS1_17partition_subalgoE3EjNS0_10empty_typeEbEEZZNS1_14partition_implILS8_3ELb0ES6_jNS0_17counting_iteratorIjlEEPS9_SE_NS0_5tupleIJPjSE_EEENSF_IJSE_SE_EEES9_SG_JZNS1_25segmented_radix_sort_implINS0_14default_configELb1EPKsPsPKlPlN2at6native12_GLOBAL__N_18offset_tEEE10hipError_tPvRmT1_PNSt15iterator_traitsISY_E10value_typeET2_T3_PNSZ_IS14_E10value_typeET4_jRbjT5_S1A_jjP12ihipStream_tbEUljE_EEESV_SW_SX_S14_S18_S1A_T6_T7_T9_mT8_S1C_bDpT10_ENKUlT_T0_E_clISt17integral_constantIbLb1EES1O_IbLb0EEEEDaS1K_S1L_EUlS1K_E_NS1_11comp_targetILNS1_3genE9ELNS1_11target_archE1100ELNS1_3gpuE3ELNS1_3repE0EEENS1_30default_config_static_selectorELNS0_4arch9wavefront6targetE0EEEvSY_
; %bb.0:
	s_clause 0x5
	s_load_b32 s2, s[0:1], 0x70
	s_load_b64 s[16:17], s[0:1], 0x10
	s_load_b64 s[12:13], s[0:1], 0x58
	s_load_b32 s18, s[0:1], 0x8
	s_load_b128 s[8:11], s[0:1], 0x48
	s_load_b128 s[4:7], s[0:1], 0x78
	s_mul_i32 s23, s15, 0xd00
	v_lshlrev_b32_e32 v30, 2, v0
	s_waitcnt lgkmcnt(0)
	s_mul_i32 s20, s2, 0xd00
	s_add_i32 s19, s2, -1
	s_add_u32 s2, s16, s20
	s_addc_u32 s3, s17, 0
	s_cmp_eq_u32 s15, s19
	v_cmp_lt_u64_e64 s3, s[2:3], s[12:13]
	s_cselect_b32 s14, -1, 0
	s_cmp_lg_u32 s15, s19
	s_cselect_b32 s21, -1, 0
	s_add_i32 s2, s18, s23
	s_delay_alu instid0(VALU_DEP_1)
	s_or_b32 s3, s21, s3
	s_add_i32 s18, s2, s16
	s_load_b32 s2, s[0:1], 0x88
	v_add_nc_u32_e32 v1, s18, v0
	s_load_b64 s[18:19], s[10:11], 0x0
	s_and_b32 vcc_lo, exec_lo, s3
	s_mov_b32 s10, -1
	s_delay_alu instid0(VALU_DEP_1)
	v_add_nc_u32_e32 v2, 0x100, v1
	v_add_nc_u32_e32 v3, 0x200, v1
	;; [unrolled: 1-line block ×12, first 2 shown]
	s_cbranch_vccz .LBB901_2
; %bb.1:
	ds_store_2addr_stride64_b32 v30, v1, v2 offset1:4
	ds_store_2addr_stride64_b32 v30, v3, v4 offset0:8 offset1:12
	ds_store_2addr_stride64_b32 v30, v5, v6 offset0:16 offset1:20
	;; [unrolled: 1-line block ×5, first 2 shown]
	ds_store_b32 v30, v13 offset:12288
	s_waitcnt lgkmcnt(0)
	s_mov_b32 s10, 0
	s_barrier
.LBB901_2:
	s_and_not1_b32 vcc_lo, exec_lo, s10
	s_add_i32 s20, s20, s16
	s_cbranch_vccnz .LBB901_4
; %bb.3:
	ds_store_2addr_stride64_b32 v30, v1, v2 offset1:4
	ds_store_2addr_stride64_b32 v30, v3, v4 offset0:8 offset1:12
	ds_store_2addr_stride64_b32 v30, v5, v6 offset0:16 offset1:20
	;; [unrolled: 1-line block ×5, first 2 shown]
	ds_store_b32 v30, v13 offset:12288
	s_waitcnt lgkmcnt(0)
	s_barrier
.LBB901_4:
	v_mul_u32_u24_e32 v33, 13, v0
	s_waitcnt lgkmcnt(0)
	buffer_gl0_inv
	v_cndmask_b32_e64 v31, 0, 1, s3
	s_sub_i32 s22, s12, s20
	s_and_not1_b32 vcc_lo, exec_lo, s3
	v_lshlrev_b32_e32 v1, 2, v33
	ds_load_2addr_b32 v[28:29], v1 offset1:1
	ds_load_2addr_b32 v[26:27], v1 offset0:2 offset1:3
	ds_load_2addr_b32 v[24:25], v1 offset0:4 offset1:5
	;; [unrolled: 1-line block ×5, first 2 shown]
	ds_load_b32 v32, v1 offset:48
	s_waitcnt lgkmcnt(0)
	s_barrier
	buffer_gl0_inv
	s_cbranch_vccnz .LBB901_6
; %bb.5:
	v_add_nc_u32_e32 v1, s5, v28
	v_add_nc_u32_e32 v2, s7, v28
	;; [unrolled: 1-line block ×5, first 2 shown]
	v_mul_lo_u32 v1, v1, s4
	v_mul_lo_u32 v2, v2, s6
	;; [unrolled: 1-line block ×4, first 2 shown]
	v_add_nc_u32_e32 v6, s7, v26
	v_add_nc_u32_e32 v7, s5, v27
	;; [unrolled: 1-line block ×3, first 2 shown]
	v_mul_lo_u32 v5, v5, s4
	v_add_nc_u32_e32 v9, s5, v22
	v_sub_nc_u32_e32 v1, v1, v2
	v_mul_lo_u32 v2, v6, s6
	v_sub_nc_u32_e32 v3, v3, v4
	v_mul_lo_u32 v4, v7, s4
	v_mul_lo_u32 v6, v8, s6
	v_add_nc_u32_e32 v7, s5, v24
	v_cmp_lt_u32_e32 vcc_lo, s2, v1
	v_add_nc_u32_e32 v8, s5, v25
	v_add_nc_u32_e32 v10, s7, v22
	v_sub_nc_u32_e32 v2, v5, v2
	v_add_nc_u32_e32 v5, s7, v24
	v_cndmask_b32_e64 v1, 0, 1, vcc_lo
	v_sub_nc_u32_e32 v4, v4, v6
	v_mul_lo_u32 v6, v7, s4
	v_add_nc_u32_e32 v7, s7, v25
	v_cmp_lt_u32_e32 vcc_lo, s2, v3
	v_mul_lo_u32 v5, v5, s6
	v_mul_lo_u32 v8, v8, s4
	;; [unrolled: 1-line block ×4, first 2 shown]
	v_cndmask_b32_e64 v3, 0, 1, vcc_lo
	v_cmp_lt_u32_e32 vcc_lo, s2, v2
	v_mul_lo_u32 v10, v10, s6
	v_add_nc_u32_e32 v11, s5, v20
	v_sub_nc_u32_e32 v5, v6, v5
	v_add_nc_u32_e32 v12, s7, v20
	v_cndmask_b32_e64 v2, 0, 1, vcc_lo
	v_sub_nc_u32_e32 v6, v8, v7
	v_add_nc_u32_e32 v7, s5, v23
	v_add_nc_u32_e32 v8, s7, v23
	v_cmp_lt_u32_e32 vcc_lo, s2, v4
	v_sub_nc_u32_e32 v9, v9, v10
	v_mul_lo_u32 v10, v11, s4
	v_mul_lo_u32 v7, v7, s4
	;; [unrolled: 1-line block ×4, first 2 shown]
	v_cndmask_b32_e64 v4, 0, 1, vcc_lo
	v_cmp_lt_u32_e32 vcc_lo, s2, v5
	v_add_nc_u32_e32 v12, s5, v21
	v_add_nc_u32_e32 v13, s7, v18
	;; [unrolled: 1-line block ×4, first 2 shown]
	v_cndmask_b32_e64 v5, 0, 1, vcc_lo
	v_cmp_lt_u32_e32 vcc_lo, s2, v6
	v_sub_nc_u32_e32 v7, v7, v8
	v_sub_nc_u32_e32 v8, v10, v11
	v_add_nc_u32_e32 v11, s7, v21
	v_mul_lo_u32 v10, v12, s4
	v_cndmask_b32_e64 v6, 0, 1, vcc_lo
	v_cmp_lt_u32_e32 vcc_lo, s2, v9
	v_add_nc_u32_e32 v12, s5, v18
	v_mul_lo_u32 v11, v11, s6
	v_mul_lo_u32 v13, v13, s6
	;; [unrolled: 1-line block ×3, first 2 shown]
	v_cndmask_b32_e64 v9, 0, 1, vcc_lo
	v_cmp_lt_u32_e32 vcc_lo, s2, v7
	v_mul_lo_u32 v12, v12, s4
	v_mul_lo_u32 v15, v15, s6
	v_lshlrev_b16 v3, 8, v3
	v_sub_nc_u32_e32 v10, v10, v11
	v_cndmask_b32_e64 v7, 0, 1, vcc_lo
	v_cmp_lt_u32_e32 vcc_lo, s2, v8
	v_add_nc_u32_e32 v11, s5, v32
	v_or_b32_e32 v1, v1, v3
	v_sub_nc_u32_e32 v12, v12, v13
	v_sub_nc_u32_e32 v13, v14, v15
	v_cndmask_b32_e64 v8, 0, 1, vcc_lo
	v_cmp_lt_u32_e32 vcc_lo, s2, v10
	v_add_nc_u32_e32 v16, s7, v32
	v_mul_lo_u32 v11, v11, s4
	v_lshlrev_b16 v4, 8, v4
	v_lshlrev_b16 v6, 8, v6
	v_cndmask_b32_e64 v10, 0, 1, vcc_lo
	v_cmp_lt_u32_e32 vcc_lo, s2, v12
	v_mul_lo_u32 v14, v16, s6
	v_lshlrev_b16 v7, 8, v7
	v_or_b32_e32 v2, v2, v4
	v_lshlrev_b16 v10, 8, v10
	v_cndmask_b32_e64 v3, 0, 1, vcc_lo
	v_cmp_lt_u32_e32 vcc_lo, s2, v13
	v_or_b32_e32 v4, v5, v6
	v_or_b32_e32 v5, v9, v7
	v_sub_nc_u32_e32 v11, v11, v14
	v_or_b32_e32 v6, v8, v10
	v_cndmask_b32_e64 v12, 0, 1, vcc_lo
	v_and_b32_e32 v1, 0xffff, v1
	v_lshlrev_b32_e32 v2, 16, v2
	v_and_b32_e32 v4, 0xffff, v4
	v_lshlrev_b32_e32 v5, 16, v5
	v_lshlrev_b16 v12, 8, v12
	v_and_b32_e32 v6, 0xffff, v6
	v_cmp_lt_u32_e32 vcc_lo, s2, v11
	v_or_b32_e32 v39, v1, v2
	v_or_b32_e32 v37, v4, v5
	;; [unrolled: 1-line block ×3, first 2 shown]
	s_mov_b32 s3, 0
	v_cndmask_b32_e64 v34, 0, 1, vcc_lo
	s_delay_alu instid0(VALU_DEP_2) | instskip(NEXT) | instid1(VALU_DEP_1)
	v_lshlrev_b32_e32 v3, 16, v3
	v_or_b32_e32 v35, v6, v3
	s_branch .LBB901_7
.LBB901_6:
	s_mov_b32 s3, -1
                                        ; implicit-def: $vgpr34
                                        ; implicit-def: $vgpr35
                                        ; implicit-def: $vgpr37
                                        ; implicit-def: $vgpr39
.LBB901_7:
	s_clause 0x1
	s_load_b64 s[10:11], s[0:1], 0x28
	s_load_b64 s[20:21], s[0:1], 0x68
	s_and_not1_b32 vcc_lo, exec_lo, s3
	s_addk_i32 s22, 0xd00
	s_cbranch_vccnz .LBB901_35
; %bb.8:
	v_dual_mov_b32 v2, 0 :: v_dual_mov_b32 v1, 0
	s_mov_b32 s0, exec_lo
	v_cmpx_gt_u32_e64 s22, v33
; %bb.9:
	v_add_nc_u32_e32 v1, s5, v28
	v_add_nc_u32_e32 v3, s7, v28
	s_delay_alu instid0(VALU_DEP_2) | instskip(NEXT) | instid1(VALU_DEP_2)
	v_mul_lo_u32 v1, v1, s4
	v_mul_lo_u32 v3, v3, s6
	s_delay_alu instid0(VALU_DEP_1) | instskip(NEXT) | instid1(VALU_DEP_1)
	v_sub_nc_u32_e32 v1, v1, v3
	v_cmp_lt_u32_e32 vcc_lo, s2, v1
	v_cndmask_b32_e64 v1, 0, 1, vcc_lo
; %bb.10:
	s_or_b32 exec_lo, exec_lo, s0
	v_add_nc_u32_e32 v3, 1, v33
	s_mov_b32 s0, exec_lo
	s_delay_alu instid0(VALU_DEP_1)
	v_cmpx_gt_u32_e64 s22, v3
; %bb.11:
	v_add_nc_u32_e32 v2, s5, v29
	v_add_nc_u32_e32 v3, s7, v29
	s_delay_alu instid0(VALU_DEP_2) | instskip(NEXT) | instid1(VALU_DEP_2)
	v_mul_lo_u32 v2, v2, s4
	v_mul_lo_u32 v3, v3, s6
	s_delay_alu instid0(VALU_DEP_1) | instskip(NEXT) | instid1(VALU_DEP_1)
	v_sub_nc_u32_e32 v2, v2, v3
	v_cmp_lt_u32_e32 vcc_lo, s2, v2
	v_cndmask_b32_e64 v2, 0, 1, vcc_lo
; %bb.12:
	s_or_b32 exec_lo, exec_lo, s0
	v_dual_mov_b32 v4, 0 :: v_dual_add_nc_u32 v3, 2, v33
	s_delay_alu instid0(VALU_DEP_1)
	v_cmp_gt_u32_e32 vcc_lo, s22, v3
	v_mov_b32_e32 v3, 0
	s_and_saveexec_b32 s0, vcc_lo
; %bb.13:
	v_add_nc_u32_e32 v3, s5, v26
	v_add_nc_u32_e32 v5, s7, v26
	s_delay_alu instid0(VALU_DEP_2) | instskip(NEXT) | instid1(VALU_DEP_2)
	v_mul_lo_u32 v3, v3, s4
	v_mul_lo_u32 v5, v5, s6
	s_delay_alu instid0(VALU_DEP_1) | instskip(NEXT) | instid1(VALU_DEP_1)
	v_sub_nc_u32_e32 v3, v3, v5
	v_cmp_lt_u32_e32 vcc_lo, s2, v3
	v_cndmask_b32_e64 v3, 0, 1, vcc_lo
; %bb.14:
	s_or_b32 exec_lo, exec_lo, s0
	v_add_nc_u32_e32 v5, 3, v33
	s_mov_b32 s0, exec_lo
	s_delay_alu instid0(VALU_DEP_1)
	v_cmpx_gt_u32_e64 s22, v5
; %bb.15:
	v_add_nc_u32_e32 v4, s5, v27
	v_add_nc_u32_e32 v5, s7, v27
	s_delay_alu instid0(VALU_DEP_2) | instskip(NEXT) | instid1(VALU_DEP_2)
	v_mul_lo_u32 v4, v4, s4
	v_mul_lo_u32 v5, v5, s6
	s_delay_alu instid0(VALU_DEP_1) | instskip(NEXT) | instid1(VALU_DEP_1)
	v_sub_nc_u32_e32 v4, v4, v5
	v_cmp_lt_u32_e32 vcc_lo, s2, v4
	v_cndmask_b32_e64 v4, 0, 1, vcc_lo
; %bb.16:
	s_or_b32 exec_lo, exec_lo, s0
	v_dual_mov_b32 v6, 0 :: v_dual_add_nc_u32 v5, 4, v33
	s_delay_alu instid0(VALU_DEP_1)
	v_cmp_gt_u32_e32 vcc_lo, s22, v5
	v_mov_b32_e32 v5, 0
	s_and_saveexec_b32 s0, vcc_lo
	;; [unrolled: 33-line block ×5, first 2 shown]
; %bb.29:
	v_add_nc_u32_e32 v11, s5, v18
	v_add_nc_u32_e32 v13, s7, v18
	s_delay_alu instid0(VALU_DEP_2) | instskip(NEXT) | instid1(VALU_DEP_2)
	v_mul_lo_u32 v11, v11, s4
	v_mul_lo_u32 v13, v13, s6
	s_delay_alu instid0(VALU_DEP_1) | instskip(NEXT) | instid1(VALU_DEP_1)
	v_sub_nc_u32_e32 v11, v11, v13
	v_cmp_lt_u32_e32 vcc_lo, s2, v11
	v_cndmask_b32_e64 v11, 0, 1, vcc_lo
; %bb.30:
	s_or_b32 exec_lo, exec_lo, s0
	v_add_nc_u32_e32 v13, 11, v33
	s_mov_b32 s0, exec_lo
	s_delay_alu instid0(VALU_DEP_1)
	v_cmpx_gt_u32_e64 s22, v13
; %bb.31:
	v_add_nc_u32_e32 v12, s5, v19
	v_add_nc_u32_e32 v13, s7, v19
	s_delay_alu instid0(VALU_DEP_2) | instskip(NEXT) | instid1(VALU_DEP_2)
	v_mul_lo_u32 v12, v12, s4
	v_mul_lo_u32 v13, v13, s6
	s_delay_alu instid0(VALU_DEP_1) | instskip(NEXT) | instid1(VALU_DEP_1)
	v_sub_nc_u32_e32 v12, v12, v13
	v_cmp_lt_u32_e32 vcc_lo, s2, v12
	v_cndmask_b32_e64 v12, 0, 1, vcc_lo
; %bb.32:
	s_or_b32 exec_lo, exec_lo, s0
	v_dual_mov_b32 v34, 0 :: v_dual_add_nc_u32 v13, 12, v33
	s_mov_b32 s0, exec_lo
	s_delay_alu instid0(VALU_DEP_1)
	v_cmpx_gt_u32_e64 s22, v13
; %bb.33:
	v_add_nc_u32_e32 v13, s5, v32
	v_add_nc_u32_e32 v14, s7, v32
	s_delay_alu instid0(VALU_DEP_2) | instskip(NEXT) | instid1(VALU_DEP_2)
	v_mul_lo_u32 v13, v13, s4
	v_mul_lo_u32 v14, v14, s6
	s_delay_alu instid0(VALU_DEP_1) | instskip(NEXT) | instid1(VALU_DEP_1)
	v_sub_nc_u32_e32 v13, v13, v14
	v_cmp_lt_u32_e32 vcc_lo, s2, v13
	v_cndmask_b32_e64 v34, 0, 1, vcc_lo
; %bb.34:
	s_or_b32 exec_lo, exec_lo, s0
	v_lshlrev_b16 v2, 8, v2
	v_lshlrev_b16 v4, 8, v4
	;; [unrolled: 1-line block ×5, first 2 shown]
	v_or_b32_e32 v1, v1, v2
	v_lshlrev_b16 v2, 8, v12
	v_or_b32_e32 v3, v3, v4
	v_or_b32_e32 v4, v5, v6
	;; [unrolled: 1-line block ×5, first 2 shown]
	v_and_b32_e32 v1, 0xffff, v1
	v_lshlrev_b32_e32 v3, 16, v3
	v_and_b32_e32 v4, 0xffff, v4
	v_lshlrev_b32_e32 v5, 16, v5
	v_and_b32_e32 v6, 0xffff, v6
	v_lshlrev_b32_e32 v2, 16, v2
	v_or_b32_e32 v39, v1, v3
	s_delay_alu instid0(VALU_DEP_4) | instskip(NEXT) | instid1(VALU_DEP_3)
	v_or_b32_e32 v37, v4, v5
	v_or_b32_e32 v35, v6, v2
.LBB901_35:
	s_delay_alu instid0(VALU_DEP_3)
	v_and_b32_e32 v41, 0xff, v39
	v_bfe_u32 v42, v39, 8, 8
	v_bfe_u32 v43, v39, 16, 8
	v_lshrrev_b32_e32 v40, 24, v39
	v_and_b32_e32 v44, 0xff, v37
	v_bfe_u32 v45, v37, 8, 8
	v_bfe_u32 v46, v37, 16, 8
	v_add3_u32 v1, v42, v41, v43
	v_lshrrev_b32_e32 v38, 24, v37
	v_and_b32_e32 v47, 0xff, v35
	v_bfe_u32 v48, v35, 8, 8
	v_mbcnt_lo_u32_b32 v50, -1, 0
	v_add3_u32 v1, v1, v40, v44
	v_bfe_u32 v49, v35, 16, 8
	v_lshrrev_b32_e32 v36, 24, v35
	v_and_b32_e32 v2, 0xff, v34
	v_and_b32_e32 v3, 15, v50
	v_add3_u32 v1, v1, v45, v46
	v_or_b32_e32 v4, 31, v0
	v_and_b32_e32 v5, 16, v50
	v_lshrrev_b32_e32 v51, 5, v0
	v_cmp_eq_u32_e64 s5, 0, v3
	v_add3_u32 v1, v1, v38, v47
	v_cmp_lt_u32_e64 s4, 1, v3
	v_cmp_lt_u32_e64 s3, 3, v3
	;; [unrolled: 1-line block ×3, first 2 shown]
	v_cmp_eq_u32_e64 s1, 0, v5
	v_add3_u32 v1, v1, v48, v49
	v_cmp_eq_u32_e64 s0, v4, v0
	s_cmp_lg_u32 s15, 0
	s_mov_b32 s6, -1
	s_delay_alu instid0(VALU_DEP_2)
	v_add3_u32 v52, v1, v36, v2
	s_cbranch_scc0 .LBB901_66
; %bb.36:
	s_delay_alu instid0(VALU_DEP_1) | instskip(NEXT) | instid1(VALU_DEP_1)
	v_mov_b32_dpp v1, v52 row_shr:1 row_mask:0xf bank_mask:0xf
	v_cndmask_b32_e64 v1, v1, 0, s5
	s_delay_alu instid0(VALU_DEP_1) | instskip(NEXT) | instid1(VALU_DEP_1)
	v_add_nc_u32_e32 v1, v1, v52
	v_mov_b32_dpp v2, v1 row_shr:2 row_mask:0xf bank_mask:0xf
	s_delay_alu instid0(VALU_DEP_1) | instskip(NEXT) | instid1(VALU_DEP_1)
	v_cndmask_b32_e64 v2, 0, v2, s4
	v_add_nc_u32_e32 v1, v1, v2
	s_delay_alu instid0(VALU_DEP_1) | instskip(NEXT) | instid1(VALU_DEP_1)
	v_mov_b32_dpp v2, v1 row_shr:4 row_mask:0xf bank_mask:0xf
	v_cndmask_b32_e64 v2, 0, v2, s3
	s_delay_alu instid0(VALU_DEP_1) | instskip(NEXT) | instid1(VALU_DEP_1)
	v_add_nc_u32_e32 v1, v1, v2
	v_mov_b32_dpp v2, v1 row_shr:8 row_mask:0xf bank_mask:0xf
	s_delay_alu instid0(VALU_DEP_1) | instskip(NEXT) | instid1(VALU_DEP_1)
	v_cndmask_b32_e64 v2, 0, v2, s2
	v_add_nc_u32_e32 v1, v1, v2
	ds_swizzle_b32 v2, v1 offset:swizzle(BROADCAST,32,15)
	s_waitcnt lgkmcnt(0)
	v_cndmask_b32_e64 v2, v2, 0, s1
	s_delay_alu instid0(VALU_DEP_1)
	v_add_nc_u32_e32 v1, v1, v2
	s_and_saveexec_b32 s6, s0
	s_cbranch_execz .LBB901_38
; %bb.37:
	v_lshlrev_b32_e32 v2, 2, v51
	ds_store_b32 v2, v1
.LBB901_38:
	s_or_b32 exec_lo, exec_lo, s6
	s_delay_alu instid0(SALU_CYCLE_1)
	s_mov_b32 s6, exec_lo
	s_waitcnt lgkmcnt(0)
	s_barrier
	buffer_gl0_inv
	v_cmpx_gt_u32_e32 8, v0
	s_cbranch_execz .LBB901_40
; %bb.39:
	ds_load_b32 v2, v30
	s_waitcnt lgkmcnt(0)
	v_mov_b32_dpp v4, v2 row_shr:1 row_mask:0xf bank_mask:0xf
	v_and_b32_e32 v3, 7, v50
	s_delay_alu instid0(VALU_DEP_1) | instskip(NEXT) | instid1(VALU_DEP_3)
	v_cmp_ne_u32_e32 vcc_lo, 0, v3
	v_cndmask_b32_e32 v4, 0, v4, vcc_lo
	v_cmp_lt_u32_e32 vcc_lo, 1, v3
	s_delay_alu instid0(VALU_DEP_2) | instskip(NEXT) | instid1(VALU_DEP_1)
	v_add_nc_u32_e32 v2, v4, v2
	v_mov_b32_dpp v4, v2 row_shr:2 row_mask:0xf bank_mask:0xf
	s_delay_alu instid0(VALU_DEP_1) | instskip(SKIP_1) | instid1(VALU_DEP_2)
	v_cndmask_b32_e32 v4, 0, v4, vcc_lo
	v_cmp_lt_u32_e32 vcc_lo, 3, v3
	v_add_nc_u32_e32 v2, v2, v4
	s_delay_alu instid0(VALU_DEP_1) | instskip(NEXT) | instid1(VALU_DEP_1)
	v_mov_b32_dpp v4, v2 row_shr:4 row_mask:0xf bank_mask:0xf
	v_cndmask_b32_e32 v3, 0, v4, vcc_lo
	s_delay_alu instid0(VALU_DEP_1)
	v_add_nc_u32_e32 v2, v2, v3
	ds_store_b32 v30, v2
.LBB901_40:
	s_or_b32 exec_lo, exec_lo, s6
	v_cmp_gt_u32_e32 vcc_lo, 32, v0
	s_mov_b32 s7, exec_lo
	s_waitcnt lgkmcnt(0)
	s_barrier
	buffer_gl0_inv
                                        ; implicit-def: $vgpr8
	v_cmpx_lt_u32_e32 31, v0
	s_cbranch_execz .LBB901_42
; %bb.41:
	v_lshl_add_u32 v2, v51, 2, -4
	ds_load_b32 v8, v2
	s_waitcnt lgkmcnt(0)
	v_add_nc_u32_e32 v1, v8, v1
.LBB901_42:
	s_or_b32 exec_lo, exec_lo, s7
	v_add_nc_u32_e32 v2, -1, v50
	s_delay_alu instid0(VALU_DEP_1) | instskip(NEXT) | instid1(VALU_DEP_1)
	v_cmp_gt_i32_e64 s6, 0, v2
	v_cndmask_b32_e64 v2, v2, v50, s6
	v_cmp_eq_u32_e64 s6, 0, v50
	s_delay_alu instid0(VALU_DEP_2)
	v_lshlrev_b32_e32 v2, 2, v2
	ds_bpermute_b32 v9, v2, v1
	s_and_saveexec_b32 s7, vcc_lo
	s_cbranch_execz .LBB901_65
; %bb.43:
	v_mov_b32_e32 v4, 0
	ds_load_b32 v1, v4 offset:28
	s_and_saveexec_b32 s24, s6
	s_cbranch_execz .LBB901_45
; %bb.44:
	s_add_i32 s26, s15, 32
	s_mov_b32 s27, 0
	v_mov_b32_e32 v2, 1
	s_lshl_b64 s[26:27], s[26:27], 3
	s_delay_alu instid0(SALU_CYCLE_1)
	s_add_u32 s26, s20, s26
	s_addc_u32 s27, s21, s27
	s_waitcnt lgkmcnt(0)
	global_store_b64 v4, v[1:2], s[26:27]
.LBB901_45:
	s_or_b32 exec_lo, exec_lo, s24
	v_xad_u32 v2, v50, -1, s15
	s_mov_b32 s25, 0
	s_mov_b32 s24, exec_lo
	s_delay_alu instid0(VALU_DEP_1) | instskip(NEXT) | instid1(VALU_DEP_1)
	v_add_nc_u32_e32 v3, 32, v2
	v_lshlrev_b64 v[3:4], 3, v[3:4]
	s_delay_alu instid0(VALU_DEP_1) | instskip(NEXT) | instid1(VALU_DEP_2)
	v_add_co_u32 v6, vcc_lo, s20, v3
	v_add_co_ci_u32_e32 v7, vcc_lo, s21, v4, vcc_lo
	global_load_b64 v[4:5], v[6:7], off glc
	s_waitcnt vmcnt(0)
	v_and_b32_e32 v3, 0xff, v5
	s_delay_alu instid0(VALU_DEP_1)
	v_cmpx_eq_u16_e32 0, v3
	s_cbranch_execz .LBB901_51
; %bb.46:
	s_mov_b32 s26, 1
	.p2align	6
.LBB901_47:                             ; =>This Loop Header: Depth=1
                                        ;     Child Loop BB901_48 Depth 2
	s_delay_alu instid0(SALU_CYCLE_1)
	s_max_u32 s27, s26, 1
.LBB901_48:                             ;   Parent Loop BB901_47 Depth=1
                                        ; =>  This Inner Loop Header: Depth=2
	s_delay_alu instid0(SALU_CYCLE_1)
	s_add_i32 s27, s27, -1
	s_sleep 1
	s_cmp_eq_u32 s27, 0
	s_cbranch_scc0 .LBB901_48
; %bb.49:                               ;   in Loop: Header=BB901_47 Depth=1
	global_load_b64 v[4:5], v[6:7], off glc
	s_cmp_lt_u32 s26, 32
	s_cselect_b32 s27, -1, 0
	s_delay_alu instid0(SALU_CYCLE_1) | instskip(SKIP_3) | instid1(VALU_DEP_1)
	s_cmp_lg_u32 s27, 0
	s_addc_u32 s26, s26, 0
	s_waitcnt vmcnt(0)
	v_and_b32_e32 v3, 0xff, v5
	v_cmp_ne_u16_e32 vcc_lo, 0, v3
	s_or_b32 s25, vcc_lo, s25
	s_delay_alu instid0(SALU_CYCLE_1)
	s_and_not1_b32 exec_lo, exec_lo, s25
	s_cbranch_execnz .LBB901_47
; %bb.50:
	s_or_b32 exec_lo, exec_lo, s25
.LBB901_51:
	s_delay_alu instid0(SALU_CYCLE_1)
	s_or_b32 exec_lo, exec_lo, s24
	v_cmp_ne_u32_e32 vcc_lo, 31, v50
	v_lshlrev_b32_e64 v11, v50, -1
	v_add_nc_u32_e32 v13, 2, v50
	v_add_nc_u32_e32 v16, 4, v50
	;; [unrolled: 1-line block ×3, first 2 shown]
	v_add_co_ci_u32_e32 v3, vcc_lo, 0, v50, vcc_lo
	v_add_nc_u32_e32 v55, 16, v50
	s_delay_alu instid0(VALU_DEP_2) | instskip(SKIP_2) | instid1(VALU_DEP_1)
	v_lshlrev_b32_e32 v10, 2, v3
	ds_bpermute_b32 v6, v10, v4
	v_and_b32_e32 v3, 0xff, v5
	v_cmp_eq_u16_e32 vcc_lo, 2, v3
	v_and_or_b32 v3, vcc_lo, v11, 0x80000000
	v_cmp_gt_u32_e32 vcc_lo, 30, v50
	s_delay_alu instid0(VALU_DEP_2) | instskip(SKIP_1) | instid1(VALU_DEP_2)
	v_ctz_i32_b32_e32 v3, v3
	v_cndmask_b32_e64 v7, 0, 1, vcc_lo
	v_cmp_lt_u32_e32 vcc_lo, v50, v3
	s_waitcnt lgkmcnt(0)
	s_delay_alu instid0(VALU_DEP_2) | instskip(NEXT) | instid1(VALU_DEP_1)
	v_dual_cndmask_b32 v6, 0, v6 :: v_dual_lshlrev_b32 v7, 1, v7
	v_add_lshl_u32 v12, v7, v50, 2
	v_cmp_gt_u32_e32 vcc_lo, 28, v50
	s_delay_alu instid0(VALU_DEP_3) | instskip(SKIP_4) | instid1(VALU_DEP_1)
	v_add_nc_u32_e32 v4, v6, v4
	v_cndmask_b32_e64 v7, 0, 1, vcc_lo
	v_cmp_le_u32_e32 vcc_lo, v13, v3
	ds_bpermute_b32 v6, v12, v4
	v_lshlrev_b32_e32 v7, 2, v7
	v_add_lshl_u32 v14, v7, v50, 2
	s_waitcnt lgkmcnt(0)
	v_cndmask_b32_e32 v6, 0, v6, vcc_lo
	v_cmp_gt_u32_e32 vcc_lo, 24, v50
	s_delay_alu instid0(VALU_DEP_2) | instskip(SKIP_4) | instid1(VALU_DEP_1)
	v_add_nc_u32_e32 v4, v4, v6
	v_cndmask_b32_e64 v7, 0, 1, vcc_lo
	v_cmp_le_u32_e32 vcc_lo, v16, v3
	ds_bpermute_b32 v6, v14, v4
	v_lshlrev_b32_e32 v7, 3, v7
	v_add_lshl_u32 v17, v7, v50, 2
	s_waitcnt lgkmcnt(0)
	v_cndmask_b32_e32 v6, 0, v6, vcc_lo
	v_cmp_gt_u32_e32 vcc_lo, 16, v50
	s_delay_alu instid0(VALU_DEP_2) | instskip(SKIP_4) | instid1(VALU_DEP_1)
	v_add_nc_u32_e32 v4, v4, v6
	v_cndmask_b32_e64 v7, 0, 1, vcc_lo
	v_cmp_le_u32_e32 vcc_lo, v53, v3
	ds_bpermute_b32 v6, v17, v4
	v_lshlrev_b32_e32 v7, 4, v7
	v_add_lshl_u32 v54, v7, v50, 2
	s_waitcnt lgkmcnt(0)
	v_cndmask_b32_e32 v6, 0, v6, vcc_lo
	v_cmp_le_u32_e32 vcc_lo, v55, v3
	s_delay_alu instid0(VALU_DEP_2) | instskip(SKIP_3) | instid1(VALU_DEP_1)
	v_add_nc_u32_e32 v4, v4, v6
	ds_bpermute_b32 v6, v54, v4
	s_waitcnt lgkmcnt(0)
	v_cndmask_b32_e32 v3, 0, v6, vcc_lo
	v_dual_mov_b32 v3, 0 :: v_dual_add_nc_u32 v4, v4, v3
	s_branch .LBB901_53
.LBB901_52:                             ;   in Loop: Header=BB901_53 Depth=1
	s_or_b32 exec_lo, exec_lo, s24
	ds_bpermute_b32 v7, v10, v4
	v_and_b32_e32 v6, 0xff, v5
	v_subrev_nc_u32_e32 v2, 32, v2
	s_delay_alu instid0(VALU_DEP_2) | instskip(SKIP_1) | instid1(VALU_DEP_1)
	v_cmp_eq_u16_e32 vcc_lo, 2, v6
	v_and_or_b32 v6, vcc_lo, v11, 0x80000000
	v_ctz_i32_b32_e32 v6, v6
	s_delay_alu instid0(VALU_DEP_1) | instskip(SKIP_3) | instid1(VALU_DEP_2)
	v_cmp_lt_u32_e32 vcc_lo, v50, v6
	s_waitcnt lgkmcnt(0)
	v_cndmask_b32_e32 v7, 0, v7, vcc_lo
	v_cmp_le_u32_e32 vcc_lo, v13, v6
	v_add_nc_u32_e32 v4, v7, v4
	ds_bpermute_b32 v7, v12, v4
	s_waitcnt lgkmcnt(0)
	v_cndmask_b32_e32 v7, 0, v7, vcc_lo
	v_cmp_le_u32_e32 vcc_lo, v16, v6
	s_delay_alu instid0(VALU_DEP_2) | instskip(SKIP_4) | instid1(VALU_DEP_2)
	v_add_nc_u32_e32 v4, v4, v7
	ds_bpermute_b32 v7, v14, v4
	s_waitcnt lgkmcnt(0)
	v_cndmask_b32_e32 v7, 0, v7, vcc_lo
	v_cmp_le_u32_e32 vcc_lo, v53, v6
	v_add_nc_u32_e32 v4, v4, v7
	ds_bpermute_b32 v7, v17, v4
	s_waitcnt lgkmcnt(0)
	v_cndmask_b32_e32 v7, 0, v7, vcc_lo
	v_cmp_le_u32_e32 vcc_lo, v55, v6
	s_delay_alu instid0(VALU_DEP_2) | instskip(SKIP_3) | instid1(VALU_DEP_1)
	v_add_nc_u32_e32 v4, v4, v7
	ds_bpermute_b32 v7, v54, v4
	s_waitcnt lgkmcnt(0)
	v_cndmask_b32_e32 v6, 0, v7, vcc_lo
	v_add3_u32 v4, v6, v15, v4
.LBB901_53:                             ; =>This Loop Header: Depth=1
                                        ;     Child Loop BB901_56 Depth 2
                                        ;       Child Loop BB901_57 Depth 3
	v_and_b32_e32 v5, 0xff, v5
	s_delay_alu instid0(VALU_DEP_2) | instskip(NEXT) | instid1(VALU_DEP_2)
	v_mov_b32_e32 v15, v4
	v_cmp_ne_u16_e32 vcc_lo, 2, v5
	v_cndmask_b32_e64 v5, 0, 1, vcc_lo
	;;#ASMSTART
	;;#ASMEND
	s_delay_alu instid0(VALU_DEP_1)
	v_cmp_ne_u32_e32 vcc_lo, 0, v5
	s_cmp_lg_u32 vcc_lo, exec_lo
	s_cbranch_scc1 .LBB901_60
; %bb.54:                               ;   in Loop: Header=BB901_53 Depth=1
	v_lshlrev_b64 v[4:5], 3, v[2:3]
	s_mov_b32 s24, exec_lo
	s_delay_alu instid0(VALU_DEP_1) | instskip(NEXT) | instid1(VALU_DEP_2)
	v_add_co_u32 v6, vcc_lo, s20, v4
	v_add_co_ci_u32_e32 v7, vcc_lo, s21, v5, vcc_lo
	global_load_b64 v[4:5], v[6:7], off glc
	s_waitcnt vmcnt(0)
	v_and_b32_e32 v56, 0xff, v5
	s_delay_alu instid0(VALU_DEP_1)
	v_cmpx_eq_u16_e32 0, v56
	s_cbranch_execz .LBB901_52
; %bb.55:                               ;   in Loop: Header=BB901_53 Depth=1
	s_mov_b32 s26, 1
	s_mov_b32 s25, 0
	.p2align	6
.LBB901_56:                             ;   Parent Loop BB901_53 Depth=1
                                        ; =>  This Loop Header: Depth=2
                                        ;       Child Loop BB901_57 Depth 3
	s_max_u32 s27, s26, 1
.LBB901_57:                             ;   Parent Loop BB901_53 Depth=1
                                        ;     Parent Loop BB901_56 Depth=2
                                        ; =>    This Inner Loop Header: Depth=3
	s_delay_alu instid0(SALU_CYCLE_1)
	s_add_i32 s27, s27, -1
	s_sleep 1
	s_cmp_eq_u32 s27, 0
	s_cbranch_scc0 .LBB901_57
; %bb.58:                               ;   in Loop: Header=BB901_56 Depth=2
	global_load_b64 v[4:5], v[6:7], off glc
	s_cmp_lt_u32 s26, 32
	s_cselect_b32 s27, -1, 0
	s_delay_alu instid0(SALU_CYCLE_1) | instskip(SKIP_3) | instid1(VALU_DEP_1)
	s_cmp_lg_u32 s27, 0
	s_addc_u32 s26, s26, 0
	s_waitcnt vmcnt(0)
	v_and_b32_e32 v56, 0xff, v5
	v_cmp_ne_u16_e32 vcc_lo, 0, v56
	s_or_b32 s25, vcc_lo, s25
	s_delay_alu instid0(SALU_CYCLE_1)
	s_and_not1_b32 exec_lo, exec_lo, s25
	s_cbranch_execnz .LBB901_56
; %bb.59:                               ;   in Loop: Header=BB901_53 Depth=1
	s_or_b32 exec_lo, exec_lo, s25
	s_branch .LBB901_52
.LBB901_60:                             ;   in Loop: Header=BB901_53 Depth=1
                                        ; implicit-def: $vgpr4
                                        ; implicit-def: $vgpr5
	s_cbranch_execz .LBB901_53
; %bb.61:
	s_and_saveexec_b32 s24, s6
	s_cbranch_execz .LBB901_63
; %bb.62:
	s_add_i32 s26, s15, 32
	s_mov_b32 s27, 0
	v_dual_mov_b32 v3, 2 :: v_dual_add_nc_u32 v2, v15, v1
	s_lshl_b64 s[26:27], s[26:27], 3
	v_mov_b32_e32 v4, 0
	v_add_nc_u32_e64 v5, 0x3400, 0
	s_add_u32 s26, s20, s26
	s_addc_u32 s27, s21, s27
	global_store_b64 v4, v[2:3], s[26:27]
	ds_store_2addr_b32 v5, v1, v15 offset1:2
.LBB901_63:
	s_or_b32 exec_lo, exec_lo, s24
	v_cmp_eq_u32_e32 vcc_lo, 0, v0
	s_and_b32 exec_lo, exec_lo, vcc_lo
	s_cbranch_execz .LBB901_65
; %bb.64:
	v_mov_b32_e32 v1, 0
	ds_store_b32 v1, v15 offset:28
.LBB901_65:
	s_or_b32 exec_lo, exec_lo, s7
	s_waitcnt lgkmcnt(0)
	v_cndmask_b32_e64 v2, v9, v8, s6
	v_cmp_ne_u32_e32 vcc_lo, 0, v0
	v_mov_b32_e32 v1, 0
	s_waitcnt_vscnt null, 0x0
	s_barrier
	buffer_gl0_inv
	v_cndmask_b32_e32 v2, 0, v2, vcc_lo
	ds_load_b32 v1, v1 offset:28
	v_add_nc_u32_e64 v11, 0x3400, 0
	s_waitcnt lgkmcnt(0)
	s_barrier
	buffer_gl0_inv
	ds_load_2addr_b32 v[16:17], v11 offset1:2
	v_add_nc_u32_e32 v1, v1, v2
	s_delay_alu instid0(VALU_DEP_1) | instskip(NEXT) | instid1(VALU_DEP_1)
	v_add_nc_u32_e32 v2, v1, v41
	v_add_nc_u32_e32 v3, v2, v42
	s_delay_alu instid0(VALU_DEP_1) | instskip(NEXT) | instid1(VALU_DEP_1)
	v_add_nc_u32_e32 v4, v3, v43
	;; [unrolled: 3-line block ×6, first 2 shown]
	v_add_nc_u32_e32 v13, v12, v36
	s_branch .LBB901_76
.LBB901_66:
                                        ; implicit-def: $vgpr17
                                        ; implicit-def: $vgpr1_vgpr2_vgpr3_vgpr4_vgpr5_vgpr6_vgpr7_vgpr8_vgpr9_vgpr10_vgpr11_vgpr12_vgpr13_vgpr14_vgpr15_vgpr16
	s_and_b32 vcc_lo, exec_lo, s6
	s_cbranch_vccz .LBB901_76
; %bb.67:
	s_delay_alu instid0(VALU_DEP_1) | instskip(NEXT) | instid1(VALU_DEP_1)
	v_mov_b32_dpp v1, v52 row_shr:1 row_mask:0xf bank_mask:0xf
	v_cndmask_b32_e64 v1, v1, 0, s5
	s_delay_alu instid0(VALU_DEP_1) | instskip(NEXT) | instid1(VALU_DEP_1)
	v_add_nc_u32_e32 v1, v1, v52
	v_mov_b32_dpp v2, v1 row_shr:2 row_mask:0xf bank_mask:0xf
	s_delay_alu instid0(VALU_DEP_1) | instskip(NEXT) | instid1(VALU_DEP_1)
	v_cndmask_b32_e64 v2, 0, v2, s4
	v_add_nc_u32_e32 v1, v1, v2
	s_delay_alu instid0(VALU_DEP_1) | instskip(NEXT) | instid1(VALU_DEP_1)
	v_mov_b32_dpp v2, v1 row_shr:4 row_mask:0xf bank_mask:0xf
	v_cndmask_b32_e64 v2, 0, v2, s3
	s_delay_alu instid0(VALU_DEP_1) | instskip(NEXT) | instid1(VALU_DEP_1)
	v_add_nc_u32_e32 v1, v1, v2
	v_mov_b32_dpp v2, v1 row_shr:8 row_mask:0xf bank_mask:0xf
	s_delay_alu instid0(VALU_DEP_1) | instskip(NEXT) | instid1(VALU_DEP_1)
	v_cndmask_b32_e64 v2, 0, v2, s2
	v_add_nc_u32_e32 v1, v1, v2
	ds_swizzle_b32 v2, v1 offset:swizzle(BROADCAST,32,15)
	s_waitcnt lgkmcnt(0)
	v_cndmask_b32_e64 v2, v2, 0, s1
	s_delay_alu instid0(VALU_DEP_1)
	v_add_nc_u32_e32 v1, v1, v2
	s_and_saveexec_b32 s1, s0
	s_cbranch_execz .LBB901_69
; %bb.68:
	v_lshlrev_b32_e32 v2, 2, v51
	ds_store_b32 v2, v1
.LBB901_69:
	s_or_b32 exec_lo, exec_lo, s1
	s_delay_alu instid0(SALU_CYCLE_1)
	s_mov_b32 s0, exec_lo
	s_waitcnt lgkmcnt(0)
	s_barrier
	buffer_gl0_inv
	v_cmpx_gt_u32_e32 8, v0
	s_cbranch_execz .LBB901_71
; %bb.70:
	ds_load_b32 v2, v30
	s_waitcnt lgkmcnt(0)
	v_mov_b32_dpp v4, v2 row_shr:1 row_mask:0xf bank_mask:0xf
	v_and_b32_e32 v3, 7, v50
	s_delay_alu instid0(VALU_DEP_1) | instskip(NEXT) | instid1(VALU_DEP_3)
	v_cmp_ne_u32_e32 vcc_lo, 0, v3
	v_cndmask_b32_e32 v4, 0, v4, vcc_lo
	v_cmp_lt_u32_e32 vcc_lo, 1, v3
	s_delay_alu instid0(VALU_DEP_2) | instskip(NEXT) | instid1(VALU_DEP_1)
	v_add_nc_u32_e32 v2, v4, v2
	v_mov_b32_dpp v4, v2 row_shr:2 row_mask:0xf bank_mask:0xf
	s_delay_alu instid0(VALU_DEP_1) | instskip(SKIP_1) | instid1(VALU_DEP_2)
	v_cndmask_b32_e32 v4, 0, v4, vcc_lo
	v_cmp_lt_u32_e32 vcc_lo, 3, v3
	v_add_nc_u32_e32 v2, v2, v4
	s_delay_alu instid0(VALU_DEP_1) | instskip(NEXT) | instid1(VALU_DEP_1)
	v_mov_b32_dpp v4, v2 row_shr:4 row_mask:0xf bank_mask:0xf
	v_cndmask_b32_e32 v3, 0, v4, vcc_lo
	s_delay_alu instid0(VALU_DEP_1)
	v_add_nc_u32_e32 v2, v2, v3
	ds_store_b32 v30, v2
.LBB901_71:
	s_or_b32 exec_lo, exec_lo, s0
	v_dual_mov_b32 v3, 0 :: v_dual_mov_b32 v2, 0
	s_mov_b32 s0, exec_lo
	s_waitcnt lgkmcnt(0)
	s_barrier
	buffer_gl0_inv
	v_cmpx_lt_u32_e32 31, v0
	s_cbranch_execz .LBB901_73
; %bb.72:
	v_lshl_add_u32 v2, v51, 2, -4
	ds_load_b32 v2, v2
.LBB901_73:
	s_or_b32 exec_lo, exec_lo, s0
	v_add_nc_u32_e32 v4, -1, v50
	ds_load_b32 v16, v3 offset:28
	s_waitcnt lgkmcnt(1)
	v_add_nc_u32_e32 v1, v2, v1
	v_cmp_gt_i32_e32 vcc_lo, 0, v4
	v_cndmask_b32_e32 v4, v4, v50, vcc_lo
	v_cmp_eq_u32_e32 vcc_lo, 0, v0
	s_delay_alu instid0(VALU_DEP_2)
	v_lshlrev_b32_e32 v4, 2, v4
	ds_bpermute_b32 v1, v4, v1
	s_and_saveexec_b32 s0, vcc_lo
	s_cbranch_execz .LBB901_75
; %bb.74:
	v_mov_b32_e32 v3, 0
	v_mov_b32_e32 v17, 2
	s_waitcnt lgkmcnt(1)
	global_store_b64 v3, v[16:17], s[20:21] offset:256
.LBB901_75:
	s_or_b32 exec_lo, exec_lo, s0
	v_cmp_eq_u32_e64 s0, 0, v50
	s_waitcnt lgkmcnt(0)
	s_waitcnt_vscnt null, 0x0
	s_barrier
	buffer_gl0_inv
	v_mov_b32_e32 v17, 0
	v_cndmask_b32_e64 v1, v1, v2, s0
	s_delay_alu instid0(VALU_DEP_1) | instskip(NEXT) | instid1(VALU_DEP_1)
	v_cndmask_b32_e64 v1, v1, 0, vcc_lo
	v_add_nc_u32_e32 v2, v1, v41
	s_delay_alu instid0(VALU_DEP_1) | instskip(NEXT) | instid1(VALU_DEP_1)
	v_add_nc_u32_e32 v3, v2, v42
	v_add_nc_u32_e32 v4, v3, v43
	s_delay_alu instid0(VALU_DEP_1) | instskip(NEXT) | instid1(VALU_DEP_1)
	v_add_nc_u32_e32 v5, v4, v40
	;; [unrolled: 3-line block ×5, first 2 shown]
	v_add_nc_u32_e32 v12, v11, v49
	s_delay_alu instid0(VALU_DEP_1)
	v_add_nc_u32_e32 v13, v12, v36
.LBB901_76:
	v_lshrrev_b32_e32 v44, 8, v39
	v_lshrrev_b32_e32 v43, 16, v39
	s_waitcnt lgkmcnt(0)
	v_sub_nc_u32_e32 v1, v1, v17
	v_and_b32_e32 v39, 1, v39
	v_sub_nc_u32_e32 v3, v3, v17
	v_add_nc_u32_e32 v33, v16, v33
	v_sub_nc_u32_e32 v2, v2, v17
	v_sub_nc_u32_e32 v4, v4, v17
	v_cmp_eq_u32_e32 vcc_lo, 1, v39
	v_and_b32_e32 v39, 1, v43
	v_sub_nc_u32_e32 v45, v33, v1
	v_and_b32_e32 v44, 1, v44
	v_sub_nc_u32_e32 v43, v33, v2
	v_lshrrev_b32_e32 v42, 8, v37
	v_lshrrev_b32_e32 v41, 16, v37
	v_cndmask_b32_e32 v1, v45, v1, vcc_lo
	v_sub_nc_u32_e32 v45, v33, v3
	v_add_nc_u32_e32 v43, 1, v43
	v_cmp_eq_u32_e32 vcc_lo, 1, v44
	v_and_b32_e32 v40, 1, v40
	v_lshlrev_b32_e32 v1, 2, v1
	v_add_nc_u32_e32 v45, 2, v45
	v_lshrrev_b32_e32 v15, 8, v35
	v_lshrrev_b32_e32 v14, 16, v35
	ds_store_b32 v1, v28
	v_cndmask_b32_e32 v1, v43, v2, vcc_lo
	v_cmp_eq_u32_e32 vcc_lo, 1, v39
	v_or_b32_e32 v28, 0x500, v0
	s_delay_alu instid0(VALU_DEP_3)
	v_dual_cndmask_b32 v2, v45, v3 :: v_dual_lshlrev_b32 v1, 2, v1
	v_sub_nc_u32_e32 v46, v33, v4
	v_cmp_eq_u32_e32 vcc_lo, 1, v40
	ds_store_b32 v1, v29
	v_lshlrev_b32_e32 v2, 2, v2
	v_add_nc_u32_e32 v46, 3, v46
	v_or_b32_e32 v29, 0x400, v0
	s_delay_alu instid0(VALU_DEP_2) | instskip(SKIP_2) | instid1(VALU_DEP_3)
	v_cndmask_b32_e32 v3, v46, v4, vcc_lo
	v_sub_nc_u32_e32 v4, v5, v17
	v_sub_nc_u32_e32 v5, v6, v17
	v_lshlrev_b32_e32 v3, 2, v3
	s_delay_alu instid0(VALU_DEP_3) | instskip(NEXT) | instid1(VALU_DEP_3)
	v_sub_nc_u32_e32 v1, v33, v4
	v_sub_nc_u32_e32 v6, v33, v5
	ds_store_b32 v2, v26
	ds_store_b32 v3, v27
	v_and_b32_e32 v2, 1, v37
	v_add_nc_u32_e32 v1, 4, v1
	v_add_nc_u32_e32 v3, 5, v6
	v_sub_nc_u32_e32 v6, v7, v17
	v_and_b32_e32 v7, 1, v42
	v_cmp_eq_u32_e32 vcc_lo, 1, v2
	v_sub_nc_u32_e32 v2, v8, v17
	v_and_b32_e32 v8, 1, v38
	v_or_b32_e32 v27, 0x600, v0
	v_or_b32_e32 v26, 0x700, v0
	v_cndmask_b32_e32 v1, v1, v4, vcc_lo
	v_sub_nc_u32_e32 v4, v33, v6
	v_cmp_eq_u32_e32 vcc_lo, 1, v7
	v_and_b32_e32 v7, 1, v41
	s_delay_alu instid0(VALU_DEP_4) | instskip(NEXT) | instid1(VALU_DEP_4)
	v_lshlrev_b32_e32 v1, 2, v1
	v_dual_cndmask_b32 v3, v3, v5 :: v_dual_add_nc_u32 v4, 6, v4
	v_sub_nc_u32_e32 v5, v33, v2
	s_delay_alu instid0(VALU_DEP_4) | instskip(SKIP_1) | instid1(VALU_DEP_4)
	v_cmp_eq_u32_e32 vcc_lo, 1, v7
	v_sub_nc_u32_e32 v7, v13, v17
	v_lshlrev_b32_e32 v3, 2, v3
	s_delay_alu instid0(VALU_DEP_4)
	v_dual_cndmask_b32 v4, v4, v6 :: v_dual_add_nc_u32 v5, 7, v5
	v_cmp_eq_u32_e32 vcc_lo, 1, v8
	v_sub_nc_u32_e32 v6, v9, v17
	ds_store_b32 v1, v24
	ds_store_b32 v3, v25
	v_or_b32_e32 v25, 0x800, v0
	v_dual_cndmask_b32 v2, v5, v2 :: v_dual_lshlrev_b32 v3, 2, v4
	v_and_b32_e32 v5, 1, v35
	v_sub_nc_u32_e32 v1, v33, v6
	v_sub_nc_u32_e32 v4, v10, v17
	v_and_b32_e32 v10, 1, v36
	v_or_b32_e32 v24, 0x900, v0
	v_cmp_eq_u32_e32 vcc_lo, 1, v5
	v_sub_nc_u32_e32 v5, v12, v17
	v_add_nc_u32_e32 v1, 8, v1
	s_delay_alu instid0(VALU_DEP_2) | instskip(NEXT) | instid1(VALU_DEP_2)
	v_sub_nc_u32_e32 v9, v33, v5
	v_dual_cndmask_b32 v1, v1, v6 :: v_dual_and_b32 v6, 1, v15
	v_add_co_u32 v15, s0, s18, v17
	s_delay_alu instid0(VALU_DEP_3)
	v_add_nc_u32_e32 v9, 11, v9
	v_lshlrev_b32_e32 v2, 2, v2
	ds_store_b32 v3, v22
	ds_store_b32 v2, v23
	v_sub_nc_u32_e32 v3, v11, v17
	v_sub_nc_u32_e32 v2, v33, v4
	v_cmp_eq_u32_e32 vcc_lo, 1, v6
	v_and_b32_e32 v11, 1, v34
	v_lshlrev_b32_e32 v1, 2, v1
	v_sub_nc_u32_e32 v8, v33, v3
	v_add_nc_u32_e32 v2, 9, v2
	v_add_co_ci_u32_e64 v17, null, s19, 0, s0
	s_add_u32 s0, s16, s23
	s_delay_alu instid0(VALU_DEP_3)
	v_add_nc_u32_e32 v6, 10, v8
	v_and_b32_e32 v8, 1, v14
	v_cndmask_b32_e32 v2, v2, v4, vcc_lo
	v_sub_nc_u32_e32 v4, v33, v7
	s_addc_u32 s1, s17, 0
	s_sub_u32 s0, s12, s0
	v_cmp_eq_u32_e32 vcc_lo, 1, v8
	v_lshlrev_b32_e32 v2, 2, v2
	v_add_nc_u32_e32 v4, 12, v4
	s_subb_u32 s1, s13, s1
	v_add_co_u32 v13, s0, s0, v16
	v_cndmask_b32_e32 v3, v6, v3, vcc_lo
	v_cmp_eq_u32_e32 vcc_lo, 1, v10
	v_add_co_ci_u32_e64 v14, null, s1, 0, s0
	v_or_b32_e32 v34, 0x100, v0
	s_delay_alu instid0(VALU_DEP_4)
	v_lshlrev_b32_e32 v3, 2, v3
	v_cndmask_b32_e32 v5, v9, v5, vcc_lo
	v_cmp_eq_u32_e32 vcc_lo, 1, v11
	v_or_b32_e32 v33, 0x200, v0
	v_or_b32_e32 v23, 0xa00, v0
	;; [unrolled: 1-line block ×3, first 2 shown]
	v_dual_cndmask_b32 v4, v4, v7 :: v_dual_lshlrev_b32 v5, 2, v5
	v_cmp_ne_u32_e32 vcc_lo, 1, v31
	s_delay_alu instid0(VALU_DEP_2)
	v_lshlrev_b32_e32 v4, 2, v4
	ds_store_b32 v1, v20
	ds_store_b32 v2, v21
	;; [unrolled: 1-line block ×5, first 2 shown]
	s_waitcnt lgkmcnt(0)
	s_barrier
	buffer_gl0_inv
	ds_load_2addr_stride64_b32 v[11:12], v30 offset1:4
	ds_load_2addr_stride64_b32 v[9:10], v30 offset0:8 offset1:12
	ds_load_2addr_stride64_b32 v[7:8], v30 offset0:16 offset1:20
	;; [unrolled: 1-line block ×5, first 2 shown]
	ds_load_b32 v18, v30 offset:12288
	v_add_co_u32 v20, s0, v13, v15
	v_or_b32_e32 v32, 0x300, v0
	v_or_b32_e32 v19, 0xc00, v0
	v_add_co_ci_u32_e64 v21, s0, v14, v17, s0
	s_mov_b32 s0, 0
	s_cbranch_vccnz .LBB901_130
; %bb.77:
	s_mov_b32 s0, exec_lo
                                        ; implicit-def: $vgpr13_vgpr14
	v_cmpx_ge_u32_e64 v0, v16
	s_xor_b32 s0, exec_lo, s0
; %bb.78:
	v_not_b32_e32 v13, v0
	s_delay_alu instid0(VALU_DEP_1) | instskip(SKIP_1) | instid1(VALU_DEP_2)
	v_ashrrev_i32_e32 v14, 31, v13
	v_add_co_u32 v13, vcc_lo, v20, v13
	v_add_co_ci_u32_e32 v14, vcc_lo, v21, v14, vcc_lo
; %bb.79:
	s_and_not1_saveexec_b32 s0, s0
; %bb.80:
	v_add_co_u32 v13, vcc_lo, v15, v0
	v_add_co_ci_u32_e32 v14, vcc_lo, 0, v17, vcc_lo
; %bb.81:
	s_or_b32 exec_lo, exec_lo, s0
	s_delay_alu instid0(VALU_DEP_1) | instskip(SKIP_1) | instid1(VALU_DEP_1)
	v_lshlrev_b64 v[13:14], 2, v[13:14]
	s_mov_b32 s0, exec_lo
	v_add_co_u32 v13, vcc_lo, s10, v13
	s_delay_alu instid0(VALU_DEP_2)
	v_add_co_ci_u32_e32 v14, vcc_lo, s11, v14, vcc_lo
	s_waitcnt lgkmcnt(6)
	global_store_b32 v[13:14], v11, off
                                        ; implicit-def: $vgpr13_vgpr14
	v_cmpx_ge_u32_e64 v34, v16
	s_xor_b32 s0, exec_lo, s0
; %bb.82:
	v_xor_b32_e32 v13, 0xfffffeff, v0
	s_delay_alu instid0(VALU_DEP_1) | instskip(SKIP_1) | instid1(VALU_DEP_2)
	v_ashrrev_i32_e32 v14, 31, v13
	v_add_co_u32 v13, vcc_lo, v20, v13
	v_add_co_ci_u32_e32 v14, vcc_lo, v21, v14, vcc_lo
; %bb.83:
	s_and_not1_saveexec_b32 s0, s0
; %bb.84:
	v_add_co_u32 v13, vcc_lo, v15, v34
	v_add_co_ci_u32_e32 v14, vcc_lo, 0, v17, vcc_lo
; %bb.85:
	s_or_b32 exec_lo, exec_lo, s0
	s_delay_alu instid0(VALU_DEP_1) | instskip(SKIP_1) | instid1(VALU_DEP_1)
	v_lshlrev_b64 v[13:14], 2, v[13:14]
	s_mov_b32 s0, exec_lo
	v_add_co_u32 v13, vcc_lo, s10, v13
	s_delay_alu instid0(VALU_DEP_2)
	v_add_co_ci_u32_e32 v14, vcc_lo, s11, v14, vcc_lo
	global_store_b32 v[13:14], v12, off
                                        ; implicit-def: $vgpr13_vgpr14
	v_cmpx_ge_u32_e64 v33, v16
	s_xor_b32 s0, exec_lo, s0
; %bb.86:
	v_xor_b32_e32 v13, 0xfffffdff, v0
	s_delay_alu instid0(VALU_DEP_1) | instskip(SKIP_1) | instid1(VALU_DEP_2)
	v_ashrrev_i32_e32 v14, 31, v13
	v_add_co_u32 v13, vcc_lo, v20, v13
	v_add_co_ci_u32_e32 v14, vcc_lo, v21, v14, vcc_lo
; %bb.87:
	s_and_not1_saveexec_b32 s0, s0
; %bb.88:
	v_add_co_u32 v13, vcc_lo, v15, v33
	v_add_co_ci_u32_e32 v14, vcc_lo, 0, v17, vcc_lo
; %bb.89:
	s_or_b32 exec_lo, exec_lo, s0
	s_delay_alu instid0(VALU_DEP_1) | instskip(SKIP_1) | instid1(VALU_DEP_1)
	v_lshlrev_b64 v[13:14], 2, v[13:14]
	s_mov_b32 s0, exec_lo
	v_add_co_u32 v13, vcc_lo, s10, v13
	s_delay_alu instid0(VALU_DEP_2)
	v_add_co_ci_u32_e32 v14, vcc_lo, s11, v14, vcc_lo
	s_waitcnt lgkmcnt(5)
	global_store_b32 v[13:14], v9, off
                                        ; implicit-def: $vgpr13_vgpr14
	v_cmpx_ge_u32_e64 v32, v16
	s_xor_b32 s0, exec_lo, s0
; %bb.90:
	v_xor_b32_e32 v13, 0xfffffcff, v0
	s_delay_alu instid0(VALU_DEP_1) | instskip(SKIP_1) | instid1(VALU_DEP_2)
	v_ashrrev_i32_e32 v14, 31, v13
	v_add_co_u32 v13, vcc_lo, v20, v13
	v_add_co_ci_u32_e32 v14, vcc_lo, v21, v14, vcc_lo
; %bb.91:
	s_and_not1_saveexec_b32 s0, s0
; %bb.92:
	v_add_co_u32 v13, vcc_lo, v15, v32
	v_add_co_ci_u32_e32 v14, vcc_lo, 0, v17, vcc_lo
; %bb.93:
	s_or_b32 exec_lo, exec_lo, s0
	s_delay_alu instid0(VALU_DEP_1) | instskip(SKIP_1) | instid1(VALU_DEP_1)
	v_lshlrev_b64 v[13:14], 2, v[13:14]
	s_mov_b32 s0, exec_lo
	v_add_co_u32 v13, vcc_lo, s10, v13
	s_delay_alu instid0(VALU_DEP_2)
	v_add_co_ci_u32_e32 v14, vcc_lo, s11, v14, vcc_lo
	global_store_b32 v[13:14], v10, off
                                        ; implicit-def: $vgpr13_vgpr14
	v_cmpx_ge_u32_e64 v29, v16
	s_xor_b32 s0, exec_lo, s0
; %bb.94:
	v_xor_b32_e32 v13, 0xfffffbff, v0
	s_delay_alu instid0(VALU_DEP_1) | instskip(SKIP_1) | instid1(VALU_DEP_2)
	v_ashrrev_i32_e32 v14, 31, v13
	v_add_co_u32 v13, vcc_lo, v20, v13
	v_add_co_ci_u32_e32 v14, vcc_lo, v21, v14, vcc_lo
; %bb.95:
	s_and_not1_saveexec_b32 s0, s0
; %bb.96:
	v_add_co_u32 v13, vcc_lo, v15, v29
	v_add_co_ci_u32_e32 v14, vcc_lo, 0, v17, vcc_lo
; %bb.97:
	s_or_b32 exec_lo, exec_lo, s0
	s_delay_alu instid0(VALU_DEP_1) | instskip(SKIP_1) | instid1(VALU_DEP_1)
	v_lshlrev_b64 v[13:14], 2, v[13:14]
	s_mov_b32 s0, exec_lo
	v_add_co_u32 v13, vcc_lo, s10, v13
	s_delay_alu instid0(VALU_DEP_2)
	v_add_co_ci_u32_e32 v14, vcc_lo, s11, v14, vcc_lo
	s_waitcnt lgkmcnt(4)
	global_store_b32 v[13:14], v7, off
                                        ; implicit-def: $vgpr13_vgpr14
	v_cmpx_ge_u32_e64 v28, v16
	s_xor_b32 s0, exec_lo, s0
; %bb.98:
	v_xor_b32_e32 v13, 0xfffffaff, v0
	s_delay_alu instid0(VALU_DEP_1) | instskip(SKIP_1) | instid1(VALU_DEP_2)
	v_ashrrev_i32_e32 v14, 31, v13
	v_add_co_u32 v13, vcc_lo, v20, v13
	v_add_co_ci_u32_e32 v14, vcc_lo, v21, v14, vcc_lo
; %bb.99:
	s_and_not1_saveexec_b32 s0, s0
; %bb.100:
	v_add_co_u32 v13, vcc_lo, v15, v28
	v_add_co_ci_u32_e32 v14, vcc_lo, 0, v17, vcc_lo
; %bb.101:
	s_or_b32 exec_lo, exec_lo, s0
	s_delay_alu instid0(VALU_DEP_1) | instskip(SKIP_1) | instid1(VALU_DEP_1)
	v_lshlrev_b64 v[13:14], 2, v[13:14]
	s_mov_b32 s0, exec_lo
	v_add_co_u32 v13, vcc_lo, s10, v13
	s_delay_alu instid0(VALU_DEP_2)
	v_add_co_ci_u32_e32 v14, vcc_lo, s11, v14, vcc_lo
	global_store_b32 v[13:14], v8, off
                                        ; implicit-def: $vgpr13_vgpr14
	v_cmpx_ge_u32_e64 v27, v16
	s_xor_b32 s0, exec_lo, s0
; %bb.102:
	v_xor_b32_e32 v13, 0xfffff9ff, v0
	s_delay_alu instid0(VALU_DEP_1) | instskip(SKIP_1) | instid1(VALU_DEP_2)
	v_ashrrev_i32_e32 v14, 31, v13
	v_add_co_u32 v13, vcc_lo, v20, v13
	v_add_co_ci_u32_e32 v14, vcc_lo, v21, v14, vcc_lo
; %bb.103:
	s_and_not1_saveexec_b32 s0, s0
; %bb.104:
	v_add_co_u32 v13, vcc_lo, v15, v27
	v_add_co_ci_u32_e32 v14, vcc_lo, 0, v17, vcc_lo
; %bb.105:
	s_or_b32 exec_lo, exec_lo, s0
	s_delay_alu instid0(VALU_DEP_1) | instskip(SKIP_1) | instid1(VALU_DEP_1)
	v_lshlrev_b64 v[13:14], 2, v[13:14]
	s_mov_b32 s0, exec_lo
	v_add_co_u32 v13, vcc_lo, s10, v13
	s_delay_alu instid0(VALU_DEP_2)
	v_add_co_ci_u32_e32 v14, vcc_lo, s11, v14, vcc_lo
	s_waitcnt lgkmcnt(3)
	global_store_b32 v[13:14], v5, off
                                        ; implicit-def: $vgpr13_vgpr14
	v_cmpx_ge_u32_e64 v26, v16
	s_xor_b32 s0, exec_lo, s0
; %bb.106:
	v_xor_b32_e32 v13, 0xfffff8ff, v0
	s_delay_alu instid0(VALU_DEP_1) | instskip(SKIP_1) | instid1(VALU_DEP_2)
	v_ashrrev_i32_e32 v14, 31, v13
	v_add_co_u32 v13, vcc_lo, v20, v13
	v_add_co_ci_u32_e32 v14, vcc_lo, v21, v14, vcc_lo
; %bb.107:
	s_and_not1_saveexec_b32 s0, s0
; %bb.108:
	v_add_co_u32 v13, vcc_lo, v15, v26
	v_add_co_ci_u32_e32 v14, vcc_lo, 0, v17, vcc_lo
; %bb.109:
	s_or_b32 exec_lo, exec_lo, s0
	s_delay_alu instid0(VALU_DEP_1) | instskip(SKIP_1) | instid1(VALU_DEP_1)
	v_lshlrev_b64 v[13:14], 2, v[13:14]
	s_mov_b32 s0, exec_lo
	v_add_co_u32 v13, vcc_lo, s10, v13
	s_delay_alu instid0(VALU_DEP_2)
	v_add_co_ci_u32_e32 v14, vcc_lo, s11, v14, vcc_lo
	global_store_b32 v[13:14], v6, off
                                        ; implicit-def: $vgpr13_vgpr14
	v_cmpx_ge_u32_e64 v25, v16
	s_xor_b32 s0, exec_lo, s0
; %bb.110:
	v_xor_b32_e32 v13, 0xfffff7ff, v0
	s_delay_alu instid0(VALU_DEP_1) | instskip(SKIP_1) | instid1(VALU_DEP_2)
	v_ashrrev_i32_e32 v14, 31, v13
	v_add_co_u32 v13, vcc_lo, v20, v13
	v_add_co_ci_u32_e32 v14, vcc_lo, v21, v14, vcc_lo
; %bb.111:
	s_and_not1_saveexec_b32 s0, s0
; %bb.112:
	v_add_co_u32 v13, vcc_lo, v15, v25
	v_add_co_ci_u32_e32 v14, vcc_lo, 0, v17, vcc_lo
; %bb.113:
	s_or_b32 exec_lo, exec_lo, s0
	s_delay_alu instid0(VALU_DEP_1) | instskip(SKIP_1) | instid1(VALU_DEP_1)
	v_lshlrev_b64 v[13:14], 2, v[13:14]
	s_mov_b32 s0, exec_lo
	v_add_co_u32 v13, vcc_lo, s10, v13
	s_delay_alu instid0(VALU_DEP_2)
	v_add_co_ci_u32_e32 v14, vcc_lo, s11, v14, vcc_lo
	s_waitcnt lgkmcnt(2)
	global_store_b32 v[13:14], v3, off
                                        ; implicit-def: $vgpr13_vgpr14
	v_cmpx_ge_u32_e64 v24, v16
	s_xor_b32 s0, exec_lo, s0
; %bb.114:
	v_xor_b32_e32 v13, 0xfffff6ff, v0
	s_delay_alu instid0(VALU_DEP_1) | instskip(SKIP_1) | instid1(VALU_DEP_2)
	v_ashrrev_i32_e32 v14, 31, v13
	v_add_co_u32 v13, vcc_lo, v20, v13
	v_add_co_ci_u32_e32 v14, vcc_lo, v21, v14, vcc_lo
; %bb.115:
	s_and_not1_saveexec_b32 s0, s0
; %bb.116:
	v_add_co_u32 v13, vcc_lo, v15, v24
	v_add_co_ci_u32_e32 v14, vcc_lo, 0, v17, vcc_lo
; %bb.117:
	s_or_b32 exec_lo, exec_lo, s0
	s_delay_alu instid0(VALU_DEP_1) | instskip(SKIP_1) | instid1(VALU_DEP_1)
	v_lshlrev_b64 v[13:14], 2, v[13:14]
	s_mov_b32 s0, exec_lo
	v_add_co_u32 v13, vcc_lo, s10, v13
	s_delay_alu instid0(VALU_DEP_2)
	v_add_co_ci_u32_e32 v14, vcc_lo, s11, v14, vcc_lo
	global_store_b32 v[13:14], v4, off
                                        ; implicit-def: $vgpr13_vgpr14
	v_cmpx_ge_u32_e64 v23, v16
	s_xor_b32 s0, exec_lo, s0
; %bb.118:
	v_xor_b32_e32 v13, 0xfffff5ff, v0
	s_delay_alu instid0(VALU_DEP_1) | instskip(SKIP_1) | instid1(VALU_DEP_2)
	v_ashrrev_i32_e32 v14, 31, v13
	v_add_co_u32 v13, vcc_lo, v20, v13
	v_add_co_ci_u32_e32 v14, vcc_lo, v21, v14, vcc_lo
; %bb.119:
	s_and_not1_saveexec_b32 s0, s0
; %bb.120:
	v_add_co_u32 v13, vcc_lo, v15, v23
	v_add_co_ci_u32_e32 v14, vcc_lo, 0, v17, vcc_lo
; %bb.121:
	s_or_b32 exec_lo, exec_lo, s0
	s_delay_alu instid0(VALU_DEP_1) | instskip(SKIP_1) | instid1(VALU_DEP_1)
	v_lshlrev_b64 v[13:14], 2, v[13:14]
	s_mov_b32 s0, exec_lo
	v_add_co_u32 v13, vcc_lo, s10, v13
	s_delay_alu instid0(VALU_DEP_2)
	v_add_co_ci_u32_e32 v14, vcc_lo, s11, v14, vcc_lo
	s_waitcnt lgkmcnt(1)
	global_store_b32 v[13:14], v1, off
                                        ; implicit-def: $vgpr13_vgpr14
	v_cmpx_ge_u32_e64 v22, v16
	s_xor_b32 s0, exec_lo, s0
; %bb.122:
	v_xor_b32_e32 v13, 0xfffff4ff, v0
	s_delay_alu instid0(VALU_DEP_1) | instskip(SKIP_1) | instid1(VALU_DEP_2)
	v_ashrrev_i32_e32 v14, 31, v13
	v_add_co_u32 v13, vcc_lo, v20, v13
	v_add_co_ci_u32_e32 v14, vcc_lo, v21, v14, vcc_lo
; %bb.123:
	s_and_not1_saveexec_b32 s0, s0
; %bb.124:
	v_add_co_u32 v13, vcc_lo, v15, v22
	v_add_co_ci_u32_e32 v14, vcc_lo, 0, v17, vcc_lo
; %bb.125:
	s_or_b32 exec_lo, exec_lo, s0
	s_delay_alu instid0(VALU_DEP_1) | instskip(SKIP_1) | instid1(VALU_DEP_1)
	v_lshlrev_b64 v[13:14], 2, v[13:14]
	s_mov_b32 s0, exec_lo
	v_add_co_u32 v13, vcc_lo, s10, v13
	s_delay_alu instid0(VALU_DEP_2)
	v_add_co_ci_u32_e32 v14, vcc_lo, s11, v14, vcc_lo
	global_store_b32 v[13:14], v2, off
                                        ; implicit-def: $vgpr13_vgpr14
	v_cmpx_ge_u32_e64 v19, v16
	s_xor_b32 s0, exec_lo, s0
; %bb.126:
	v_xor_b32_e32 v13, 0xfffff3ff, v0
	s_delay_alu instid0(VALU_DEP_1) | instskip(SKIP_1) | instid1(VALU_DEP_2)
	v_ashrrev_i32_e32 v14, 31, v13
	v_add_co_u32 v13, vcc_lo, v20, v13
	v_add_co_ci_u32_e32 v14, vcc_lo, v21, v14, vcc_lo
; %bb.127:
	s_and_not1_saveexec_b32 s0, s0
; %bb.128:
	v_add_co_u32 v13, vcc_lo, v15, v19
	v_add_co_ci_u32_e32 v14, vcc_lo, 0, v17, vcc_lo
; %bb.129:
	s_or_b32 exec_lo, exec_lo, s0
	s_mov_b32 s0, -1
	s_branch .LBB901_210
.LBB901_130:
                                        ; implicit-def: $vgpr13_vgpr14
	s_cbranch_execz .LBB901_210
; %bb.131:
	s_mov_b32 s1, exec_lo
	v_cmpx_gt_u32_e64 s22, v0
	s_cbranch_execz .LBB901_167
; %bb.132:
	s_mov_b32 s2, exec_lo
                                        ; implicit-def: $vgpr13_vgpr14
	v_cmpx_ge_u32_e64 v0, v16
	s_xor_b32 s2, exec_lo, s2
; %bb.133:
	v_not_b32_e32 v13, v0
	s_delay_alu instid0(VALU_DEP_1) | instskip(SKIP_1) | instid1(VALU_DEP_2)
	v_ashrrev_i32_e32 v14, 31, v13
	v_add_co_u32 v13, vcc_lo, v20, v13
	v_add_co_ci_u32_e32 v14, vcc_lo, v21, v14, vcc_lo
; %bb.134:
	s_and_not1_saveexec_b32 s2, s2
; %bb.135:
	v_add_co_u32 v13, vcc_lo, v15, v0
	v_add_co_ci_u32_e32 v14, vcc_lo, 0, v17, vcc_lo
; %bb.136:
	s_or_b32 exec_lo, exec_lo, s2
	s_delay_alu instid0(VALU_DEP_1) | instskip(NEXT) | instid1(VALU_DEP_1)
	v_lshlrev_b64 v[13:14], 2, v[13:14]
	v_add_co_u32 v13, vcc_lo, s10, v13
	s_delay_alu instid0(VALU_DEP_2) | instskip(SKIP_3) | instid1(SALU_CYCLE_1)
	v_add_co_ci_u32_e32 v14, vcc_lo, s11, v14, vcc_lo
	s_waitcnt lgkmcnt(6)
	global_store_b32 v[13:14], v11, off
	s_or_b32 exec_lo, exec_lo, s1
	s_mov_b32 s1, exec_lo
	v_cmpx_gt_u32_e64 s22, v34
	s_cbranch_execnz .LBB901_168
.LBB901_137:
	s_or_b32 exec_lo, exec_lo, s1
	s_delay_alu instid0(SALU_CYCLE_1)
	s_mov_b32 s1, exec_lo
	v_cmpx_gt_u32_e64 s22, v33
	s_cbranch_execz .LBB901_173
.LBB901_138:
	s_mov_b32 s2, exec_lo
                                        ; implicit-def: $vgpr11_vgpr12
	v_cmpx_ge_u32_e64 v33, v16
	s_xor_b32 s2, exec_lo, s2
	s_cbranch_execz .LBB901_140
; %bb.139:
	s_waitcnt lgkmcnt(6)
	v_xor_b32_e32 v11, 0xfffffdff, v0
                                        ; implicit-def: $vgpr33
	s_delay_alu instid0(VALU_DEP_1) | instskip(SKIP_1) | instid1(VALU_DEP_2)
	v_ashrrev_i32_e32 v12, 31, v11
	v_add_co_u32 v11, vcc_lo, v20, v11
	v_add_co_ci_u32_e32 v12, vcc_lo, v21, v12, vcc_lo
.LBB901_140:
	s_and_not1_saveexec_b32 s2, s2
	s_cbranch_execz .LBB901_142
; %bb.141:
	s_waitcnt lgkmcnt(6)
	v_add_co_u32 v11, vcc_lo, v15, v33
	v_add_co_ci_u32_e32 v12, vcc_lo, 0, v17, vcc_lo
.LBB901_142:
	s_or_b32 exec_lo, exec_lo, s2
	s_waitcnt lgkmcnt(6)
	s_delay_alu instid0(VALU_DEP_1) | instskip(NEXT) | instid1(VALU_DEP_1)
	v_lshlrev_b64 v[11:12], 2, v[11:12]
	v_add_co_u32 v11, vcc_lo, s10, v11
	s_delay_alu instid0(VALU_DEP_2) | instskip(SKIP_3) | instid1(SALU_CYCLE_1)
	v_add_co_ci_u32_e32 v12, vcc_lo, s11, v12, vcc_lo
	s_waitcnt lgkmcnt(5)
	global_store_b32 v[11:12], v9, off
	s_or_b32 exec_lo, exec_lo, s1
	s_mov_b32 s1, exec_lo
	v_cmpx_gt_u32_e64 s22, v32
	s_cbranch_execnz .LBB901_174
.LBB901_143:
	s_or_b32 exec_lo, exec_lo, s1
	s_delay_alu instid0(SALU_CYCLE_1)
	s_mov_b32 s1, exec_lo
	v_cmpx_gt_u32_e64 s22, v29
	s_cbranch_execz .LBB901_179
.LBB901_144:
	s_mov_b32 s2, exec_lo
                                        ; implicit-def: $vgpr9_vgpr10
	v_cmpx_ge_u32_e64 v29, v16
	s_xor_b32 s2, exec_lo, s2
	s_cbranch_execz .LBB901_146
; %bb.145:
	s_waitcnt lgkmcnt(5)
	v_xor_b32_e32 v9, 0xfffffbff, v0
                                        ; implicit-def: $vgpr29
	s_delay_alu instid0(VALU_DEP_1) | instskip(SKIP_1) | instid1(VALU_DEP_2)
	v_ashrrev_i32_e32 v10, 31, v9
	v_add_co_u32 v9, vcc_lo, v20, v9
	v_add_co_ci_u32_e32 v10, vcc_lo, v21, v10, vcc_lo
.LBB901_146:
	s_and_not1_saveexec_b32 s2, s2
	s_cbranch_execz .LBB901_148
; %bb.147:
	s_waitcnt lgkmcnt(5)
	v_add_co_u32 v9, vcc_lo, v15, v29
	v_add_co_ci_u32_e32 v10, vcc_lo, 0, v17, vcc_lo
.LBB901_148:
	s_or_b32 exec_lo, exec_lo, s2
	s_waitcnt lgkmcnt(5)
	s_delay_alu instid0(VALU_DEP_1) | instskip(NEXT) | instid1(VALU_DEP_1)
	v_lshlrev_b64 v[9:10], 2, v[9:10]
	v_add_co_u32 v9, vcc_lo, s10, v9
	s_delay_alu instid0(VALU_DEP_2) | instskip(SKIP_3) | instid1(SALU_CYCLE_1)
	v_add_co_ci_u32_e32 v10, vcc_lo, s11, v10, vcc_lo
	s_waitcnt lgkmcnt(4)
	global_store_b32 v[9:10], v7, off
	s_or_b32 exec_lo, exec_lo, s1
	s_mov_b32 s1, exec_lo
	v_cmpx_gt_u32_e64 s22, v28
	s_cbranch_execnz .LBB901_180
.LBB901_149:
	s_or_b32 exec_lo, exec_lo, s1
	s_delay_alu instid0(SALU_CYCLE_1)
	s_mov_b32 s1, exec_lo
	v_cmpx_gt_u32_e64 s22, v27
	s_cbranch_execz .LBB901_185
.LBB901_150:
	s_mov_b32 s2, exec_lo
                                        ; implicit-def: $vgpr7_vgpr8
	v_cmpx_ge_u32_e64 v27, v16
	s_xor_b32 s2, exec_lo, s2
	s_cbranch_execz .LBB901_152
; %bb.151:
	s_waitcnt lgkmcnt(4)
	v_xor_b32_e32 v7, 0xfffff9ff, v0
                                        ; implicit-def: $vgpr27
	s_delay_alu instid0(VALU_DEP_1) | instskip(SKIP_1) | instid1(VALU_DEP_2)
	v_ashrrev_i32_e32 v8, 31, v7
	v_add_co_u32 v7, vcc_lo, v20, v7
	v_add_co_ci_u32_e32 v8, vcc_lo, v21, v8, vcc_lo
.LBB901_152:
	s_and_not1_saveexec_b32 s2, s2
	s_cbranch_execz .LBB901_154
; %bb.153:
	s_waitcnt lgkmcnt(4)
	v_add_co_u32 v7, vcc_lo, v15, v27
	v_add_co_ci_u32_e32 v8, vcc_lo, 0, v17, vcc_lo
.LBB901_154:
	s_or_b32 exec_lo, exec_lo, s2
	s_waitcnt lgkmcnt(4)
	s_delay_alu instid0(VALU_DEP_1) | instskip(NEXT) | instid1(VALU_DEP_1)
	v_lshlrev_b64 v[7:8], 2, v[7:8]
	v_add_co_u32 v7, vcc_lo, s10, v7
	s_delay_alu instid0(VALU_DEP_2) | instskip(SKIP_3) | instid1(SALU_CYCLE_1)
	v_add_co_ci_u32_e32 v8, vcc_lo, s11, v8, vcc_lo
	s_waitcnt lgkmcnt(3)
	global_store_b32 v[7:8], v5, off
	s_or_b32 exec_lo, exec_lo, s1
	s_mov_b32 s1, exec_lo
	v_cmpx_gt_u32_e64 s22, v26
	s_cbranch_execnz .LBB901_186
.LBB901_155:
	s_or_b32 exec_lo, exec_lo, s1
	s_delay_alu instid0(SALU_CYCLE_1)
	s_mov_b32 s1, exec_lo
	v_cmpx_gt_u32_e64 s22, v25
	s_cbranch_execz .LBB901_191
.LBB901_156:
	s_mov_b32 s2, exec_lo
                                        ; implicit-def: $vgpr5_vgpr6
	v_cmpx_ge_u32_e64 v25, v16
	s_xor_b32 s2, exec_lo, s2
	s_cbranch_execz .LBB901_158
; %bb.157:
	s_waitcnt lgkmcnt(3)
	v_xor_b32_e32 v5, 0xfffff7ff, v0
                                        ; implicit-def: $vgpr25
	s_delay_alu instid0(VALU_DEP_1) | instskip(SKIP_1) | instid1(VALU_DEP_2)
	v_ashrrev_i32_e32 v6, 31, v5
	v_add_co_u32 v5, vcc_lo, v20, v5
	v_add_co_ci_u32_e32 v6, vcc_lo, v21, v6, vcc_lo
.LBB901_158:
	s_and_not1_saveexec_b32 s2, s2
	s_cbranch_execz .LBB901_160
; %bb.159:
	s_waitcnt lgkmcnt(3)
	v_add_co_u32 v5, vcc_lo, v15, v25
	v_add_co_ci_u32_e32 v6, vcc_lo, 0, v17, vcc_lo
.LBB901_160:
	s_or_b32 exec_lo, exec_lo, s2
	s_waitcnt lgkmcnt(3)
	s_delay_alu instid0(VALU_DEP_1) | instskip(NEXT) | instid1(VALU_DEP_1)
	v_lshlrev_b64 v[5:6], 2, v[5:6]
	v_add_co_u32 v5, vcc_lo, s10, v5
	s_delay_alu instid0(VALU_DEP_2) | instskip(SKIP_3) | instid1(SALU_CYCLE_1)
	v_add_co_ci_u32_e32 v6, vcc_lo, s11, v6, vcc_lo
	s_waitcnt lgkmcnt(2)
	global_store_b32 v[5:6], v3, off
	s_or_b32 exec_lo, exec_lo, s1
	s_mov_b32 s1, exec_lo
	v_cmpx_gt_u32_e64 s22, v24
	s_cbranch_execnz .LBB901_192
.LBB901_161:
	s_or_b32 exec_lo, exec_lo, s1
	s_delay_alu instid0(SALU_CYCLE_1)
	s_mov_b32 s1, exec_lo
	v_cmpx_gt_u32_e64 s22, v23
	s_cbranch_execz .LBB901_197
.LBB901_162:
	s_mov_b32 s2, exec_lo
                                        ; implicit-def: $vgpr3_vgpr4
	v_cmpx_ge_u32_e64 v23, v16
	s_xor_b32 s2, exec_lo, s2
	s_cbranch_execz .LBB901_164
; %bb.163:
	s_waitcnt lgkmcnt(2)
	v_xor_b32_e32 v3, 0xfffff5ff, v0
                                        ; implicit-def: $vgpr23
	s_delay_alu instid0(VALU_DEP_1) | instskip(SKIP_1) | instid1(VALU_DEP_2)
	v_ashrrev_i32_e32 v4, 31, v3
	v_add_co_u32 v3, vcc_lo, v20, v3
	v_add_co_ci_u32_e32 v4, vcc_lo, v21, v4, vcc_lo
.LBB901_164:
	s_and_not1_saveexec_b32 s2, s2
	s_cbranch_execz .LBB901_166
; %bb.165:
	s_waitcnt lgkmcnt(2)
	v_add_co_u32 v3, vcc_lo, v15, v23
	v_add_co_ci_u32_e32 v4, vcc_lo, 0, v17, vcc_lo
.LBB901_166:
	s_or_b32 exec_lo, exec_lo, s2
	s_waitcnt lgkmcnt(2)
	s_delay_alu instid0(VALU_DEP_1) | instskip(NEXT) | instid1(VALU_DEP_1)
	v_lshlrev_b64 v[3:4], 2, v[3:4]
	v_add_co_u32 v3, vcc_lo, s10, v3
	s_delay_alu instid0(VALU_DEP_2) | instskip(SKIP_3) | instid1(SALU_CYCLE_1)
	v_add_co_ci_u32_e32 v4, vcc_lo, s11, v4, vcc_lo
	s_waitcnt lgkmcnt(1)
	global_store_b32 v[3:4], v1, off
	s_or_b32 exec_lo, exec_lo, s1
	s_mov_b32 s1, exec_lo
	v_cmpx_gt_u32_e64 s22, v22
	s_cbranch_execz .LBB901_203
	s_branch .LBB901_198
.LBB901_167:
	s_or_b32 exec_lo, exec_lo, s1
	s_delay_alu instid0(SALU_CYCLE_1)
	s_mov_b32 s1, exec_lo
	v_cmpx_gt_u32_e64 s22, v34
	s_cbranch_execz .LBB901_137
.LBB901_168:
	s_mov_b32 s2, exec_lo
                                        ; implicit-def: $vgpr13_vgpr14
	v_cmpx_ge_u32_e64 v34, v16
	s_xor_b32 s2, exec_lo, s2
	s_cbranch_execz .LBB901_170
; %bb.169:
	s_waitcnt lgkmcnt(6)
	v_xor_b32_e32 v11, 0xfffffeff, v0
                                        ; implicit-def: $vgpr34
	s_delay_alu instid0(VALU_DEP_1) | instskip(SKIP_1) | instid1(VALU_DEP_2)
	v_ashrrev_i32_e32 v14, 31, v11
	v_add_co_u32 v13, vcc_lo, v20, v11
	v_add_co_ci_u32_e32 v14, vcc_lo, v21, v14, vcc_lo
.LBB901_170:
	s_and_not1_saveexec_b32 s2, s2
; %bb.171:
	v_add_co_u32 v13, vcc_lo, v15, v34
	v_add_co_ci_u32_e32 v14, vcc_lo, 0, v17, vcc_lo
; %bb.172:
	s_or_b32 exec_lo, exec_lo, s2
	s_delay_alu instid0(VALU_DEP_1) | instskip(NEXT) | instid1(VALU_DEP_1)
	v_lshlrev_b64 v[13:14], 2, v[13:14]
	v_add_co_u32 v13, vcc_lo, s10, v13
	s_delay_alu instid0(VALU_DEP_2) | instskip(SKIP_3) | instid1(SALU_CYCLE_1)
	v_add_co_ci_u32_e32 v14, vcc_lo, s11, v14, vcc_lo
	s_waitcnt lgkmcnt(6)
	global_store_b32 v[13:14], v12, off
	s_or_b32 exec_lo, exec_lo, s1
	s_mov_b32 s1, exec_lo
	v_cmpx_gt_u32_e64 s22, v33
	s_cbranch_execnz .LBB901_138
.LBB901_173:
	s_or_b32 exec_lo, exec_lo, s1
	s_delay_alu instid0(SALU_CYCLE_1)
	s_mov_b32 s1, exec_lo
	v_cmpx_gt_u32_e64 s22, v32
	s_cbranch_execz .LBB901_143
.LBB901_174:
	s_mov_b32 s2, exec_lo
                                        ; implicit-def: $vgpr11_vgpr12
	v_cmpx_ge_u32_e64 v32, v16
	s_xor_b32 s2, exec_lo, s2
	s_cbranch_execz .LBB901_176
; %bb.175:
	s_waitcnt lgkmcnt(5)
	v_xor_b32_e32 v9, 0xfffffcff, v0
                                        ; implicit-def: $vgpr32
	s_delay_alu instid0(VALU_DEP_1) | instskip(SKIP_1) | instid1(VALU_DEP_2)
	v_ashrrev_i32_e32 v12, 31, v9
	v_add_co_u32 v11, vcc_lo, v20, v9
	v_add_co_ci_u32_e32 v12, vcc_lo, v21, v12, vcc_lo
.LBB901_176:
	s_and_not1_saveexec_b32 s2, s2
	s_cbranch_execz .LBB901_178
; %bb.177:
	s_waitcnt lgkmcnt(6)
	v_add_co_u32 v11, vcc_lo, v15, v32
	v_add_co_ci_u32_e32 v12, vcc_lo, 0, v17, vcc_lo
.LBB901_178:
	s_or_b32 exec_lo, exec_lo, s2
	s_waitcnt lgkmcnt(6)
	s_delay_alu instid0(VALU_DEP_1) | instskip(NEXT) | instid1(VALU_DEP_1)
	v_lshlrev_b64 v[11:12], 2, v[11:12]
	v_add_co_u32 v11, vcc_lo, s10, v11
	s_delay_alu instid0(VALU_DEP_2) | instskip(SKIP_3) | instid1(SALU_CYCLE_1)
	v_add_co_ci_u32_e32 v12, vcc_lo, s11, v12, vcc_lo
	s_waitcnt lgkmcnt(5)
	global_store_b32 v[11:12], v10, off
	s_or_b32 exec_lo, exec_lo, s1
	s_mov_b32 s1, exec_lo
	v_cmpx_gt_u32_e64 s22, v29
	s_cbranch_execnz .LBB901_144
.LBB901_179:
	s_or_b32 exec_lo, exec_lo, s1
	s_delay_alu instid0(SALU_CYCLE_1)
	s_mov_b32 s1, exec_lo
	v_cmpx_gt_u32_e64 s22, v28
	s_cbranch_execz .LBB901_149
.LBB901_180:
	s_mov_b32 s2, exec_lo
                                        ; implicit-def: $vgpr9_vgpr10
	v_cmpx_ge_u32_e64 v28, v16
	s_xor_b32 s2, exec_lo, s2
	s_cbranch_execz .LBB901_182
; %bb.181:
	s_waitcnt lgkmcnt(4)
	v_xor_b32_e32 v7, 0xfffffaff, v0
                                        ; implicit-def: $vgpr28
	s_delay_alu instid0(VALU_DEP_1) | instskip(SKIP_1) | instid1(VALU_DEP_2)
	v_ashrrev_i32_e32 v10, 31, v7
	v_add_co_u32 v9, vcc_lo, v20, v7
	v_add_co_ci_u32_e32 v10, vcc_lo, v21, v10, vcc_lo
.LBB901_182:
	s_and_not1_saveexec_b32 s2, s2
	s_cbranch_execz .LBB901_184
; %bb.183:
	s_waitcnt lgkmcnt(5)
	v_add_co_u32 v9, vcc_lo, v15, v28
	v_add_co_ci_u32_e32 v10, vcc_lo, 0, v17, vcc_lo
.LBB901_184:
	s_or_b32 exec_lo, exec_lo, s2
	s_waitcnt lgkmcnt(5)
	s_delay_alu instid0(VALU_DEP_1) | instskip(NEXT) | instid1(VALU_DEP_1)
	v_lshlrev_b64 v[9:10], 2, v[9:10]
	v_add_co_u32 v9, vcc_lo, s10, v9
	s_delay_alu instid0(VALU_DEP_2) | instskip(SKIP_3) | instid1(SALU_CYCLE_1)
	v_add_co_ci_u32_e32 v10, vcc_lo, s11, v10, vcc_lo
	s_waitcnt lgkmcnt(4)
	global_store_b32 v[9:10], v8, off
	s_or_b32 exec_lo, exec_lo, s1
	s_mov_b32 s1, exec_lo
	v_cmpx_gt_u32_e64 s22, v27
	s_cbranch_execnz .LBB901_150
.LBB901_185:
	s_or_b32 exec_lo, exec_lo, s1
	s_delay_alu instid0(SALU_CYCLE_1)
	s_mov_b32 s1, exec_lo
	v_cmpx_gt_u32_e64 s22, v26
	s_cbranch_execz .LBB901_155
.LBB901_186:
	s_mov_b32 s2, exec_lo
                                        ; implicit-def: $vgpr7_vgpr8
	v_cmpx_ge_u32_e64 v26, v16
	s_xor_b32 s2, exec_lo, s2
	s_cbranch_execz .LBB901_188
; %bb.187:
	s_waitcnt lgkmcnt(3)
	v_xor_b32_e32 v5, 0xfffff8ff, v0
                                        ; implicit-def: $vgpr26
	s_delay_alu instid0(VALU_DEP_1) | instskip(SKIP_1) | instid1(VALU_DEP_2)
	v_ashrrev_i32_e32 v8, 31, v5
	v_add_co_u32 v7, vcc_lo, v20, v5
	v_add_co_ci_u32_e32 v8, vcc_lo, v21, v8, vcc_lo
.LBB901_188:
	s_and_not1_saveexec_b32 s2, s2
	s_cbranch_execz .LBB901_190
; %bb.189:
	s_waitcnt lgkmcnt(4)
	v_add_co_u32 v7, vcc_lo, v15, v26
	v_add_co_ci_u32_e32 v8, vcc_lo, 0, v17, vcc_lo
.LBB901_190:
	s_or_b32 exec_lo, exec_lo, s2
	s_waitcnt lgkmcnt(4)
	s_delay_alu instid0(VALU_DEP_1) | instskip(NEXT) | instid1(VALU_DEP_1)
	v_lshlrev_b64 v[7:8], 2, v[7:8]
	v_add_co_u32 v7, vcc_lo, s10, v7
	s_delay_alu instid0(VALU_DEP_2) | instskip(SKIP_3) | instid1(SALU_CYCLE_1)
	v_add_co_ci_u32_e32 v8, vcc_lo, s11, v8, vcc_lo
	s_waitcnt lgkmcnt(3)
	global_store_b32 v[7:8], v6, off
	s_or_b32 exec_lo, exec_lo, s1
	s_mov_b32 s1, exec_lo
	v_cmpx_gt_u32_e64 s22, v25
	s_cbranch_execnz .LBB901_156
.LBB901_191:
	s_or_b32 exec_lo, exec_lo, s1
	s_delay_alu instid0(SALU_CYCLE_1)
	s_mov_b32 s1, exec_lo
	v_cmpx_gt_u32_e64 s22, v24
	s_cbranch_execz .LBB901_161
.LBB901_192:
	s_mov_b32 s2, exec_lo
                                        ; implicit-def: $vgpr5_vgpr6
	v_cmpx_ge_u32_e64 v24, v16
	s_xor_b32 s2, exec_lo, s2
	s_cbranch_execz .LBB901_194
; %bb.193:
	s_waitcnt lgkmcnt(2)
	v_xor_b32_e32 v3, 0xfffff6ff, v0
                                        ; implicit-def: $vgpr24
	s_delay_alu instid0(VALU_DEP_1) | instskip(SKIP_1) | instid1(VALU_DEP_2)
	v_ashrrev_i32_e32 v6, 31, v3
	v_add_co_u32 v5, vcc_lo, v20, v3
	v_add_co_ci_u32_e32 v6, vcc_lo, v21, v6, vcc_lo
.LBB901_194:
	s_and_not1_saveexec_b32 s2, s2
	s_cbranch_execz .LBB901_196
; %bb.195:
	s_waitcnt lgkmcnt(3)
	v_add_co_u32 v5, vcc_lo, v15, v24
	v_add_co_ci_u32_e32 v6, vcc_lo, 0, v17, vcc_lo
.LBB901_196:
	s_or_b32 exec_lo, exec_lo, s2
	s_waitcnt lgkmcnt(3)
	s_delay_alu instid0(VALU_DEP_1) | instskip(NEXT) | instid1(VALU_DEP_1)
	v_lshlrev_b64 v[5:6], 2, v[5:6]
	v_add_co_u32 v5, vcc_lo, s10, v5
	s_delay_alu instid0(VALU_DEP_2) | instskip(SKIP_3) | instid1(SALU_CYCLE_1)
	v_add_co_ci_u32_e32 v6, vcc_lo, s11, v6, vcc_lo
	s_waitcnt lgkmcnt(2)
	global_store_b32 v[5:6], v4, off
	s_or_b32 exec_lo, exec_lo, s1
	s_mov_b32 s1, exec_lo
	v_cmpx_gt_u32_e64 s22, v23
	s_cbranch_execnz .LBB901_162
.LBB901_197:
	s_or_b32 exec_lo, exec_lo, s1
	s_delay_alu instid0(SALU_CYCLE_1)
	s_mov_b32 s1, exec_lo
	v_cmpx_gt_u32_e64 s22, v22
	s_cbranch_execz .LBB901_203
.LBB901_198:
	s_mov_b32 s2, exec_lo
                                        ; implicit-def: $vgpr3_vgpr4
	v_cmpx_ge_u32_e64 v22, v16
	s_xor_b32 s2, exec_lo, s2
	s_cbranch_execz .LBB901_200
; %bb.199:
	s_waitcnt lgkmcnt(1)
	v_xor_b32_e32 v1, 0xfffff4ff, v0
                                        ; implicit-def: $vgpr22
	s_delay_alu instid0(VALU_DEP_1) | instskip(SKIP_1) | instid1(VALU_DEP_2)
	v_ashrrev_i32_e32 v4, 31, v1
	v_add_co_u32 v3, vcc_lo, v20, v1
	v_add_co_ci_u32_e32 v4, vcc_lo, v21, v4, vcc_lo
.LBB901_200:
	s_and_not1_saveexec_b32 s2, s2
	s_cbranch_execz .LBB901_202
; %bb.201:
	s_waitcnt lgkmcnt(2)
	v_add_co_u32 v3, vcc_lo, v15, v22
	v_add_co_ci_u32_e32 v4, vcc_lo, 0, v17, vcc_lo
.LBB901_202:
	s_or_b32 exec_lo, exec_lo, s2
	s_waitcnt lgkmcnt(2)
	s_delay_alu instid0(VALU_DEP_1) | instskip(NEXT) | instid1(VALU_DEP_1)
	v_lshlrev_b64 v[3:4], 2, v[3:4]
	v_add_co_u32 v3, vcc_lo, s10, v3
	s_delay_alu instid0(VALU_DEP_2)
	v_add_co_ci_u32_e32 v4, vcc_lo, s11, v4, vcc_lo
	s_waitcnt lgkmcnt(1)
	global_store_b32 v[3:4], v2, off
.LBB901_203:
	s_or_b32 exec_lo, exec_lo, s1
	s_delay_alu instid0(SALU_CYCLE_1)
	s_mov_b32 s1, exec_lo
                                        ; implicit-def: $vgpr13_vgpr14
	v_cmpx_gt_u32_e64 s22, v19
	s_cbranch_execz .LBB901_209
; %bb.204:
	s_mov_b32 s2, exec_lo
                                        ; implicit-def: $vgpr13_vgpr14
	v_cmpx_ge_u32_e64 v19, v16
	s_xor_b32 s2, exec_lo, s2
	s_cbranch_execz .LBB901_206
; %bb.205:
	s_waitcnt lgkmcnt(1)
	v_xor_b32_e32 v1, 0xfffff3ff, v0
                                        ; implicit-def: $vgpr19
	s_delay_alu instid0(VALU_DEP_1) | instskip(SKIP_1) | instid1(VALU_DEP_2)
	v_ashrrev_i32_e32 v2, 31, v1
	v_add_co_u32 v13, vcc_lo, v20, v1
	v_add_co_ci_u32_e32 v14, vcc_lo, v21, v2, vcc_lo
.LBB901_206:
	s_and_not1_saveexec_b32 s2, s2
; %bb.207:
	v_add_co_u32 v13, vcc_lo, v15, v19
	v_add_co_ci_u32_e32 v14, vcc_lo, 0, v17, vcc_lo
; %bb.208:
	s_or_b32 exec_lo, exec_lo, s2
	s_delay_alu instid0(SALU_CYCLE_1)
	s_or_b32 s0, s0, exec_lo
.LBB901_209:
	s_or_b32 exec_lo, exec_lo, s1
.LBB901_210:
	s_and_saveexec_b32 s1, s0
	s_cbranch_execz .LBB901_212
; %bb.211:
	s_waitcnt lgkmcnt(1)
	v_lshlrev_b64 v[1:2], 2, v[13:14]
	s_delay_alu instid0(VALU_DEP_1) | instskip(NEXT) | instid1(VALU_DEP_2)
	v_add_co_u32 v1, vcc_lo, s10, v1
	v_add_co_ci_u32_e32 v2, vcc_lo, s11, v2, vcc_lo
	s_waitcnt lgkmcnt(0)
	global_store_b32 v[1:2], v18, off
.LBB901_212:
	s_or_b32 exec_lo, exec_lo, s1
	v_cmp_eq_u32_e32 vcc_lo, 0, v0
	s_and_b32 s0, vcc_lo, s14
	s_delay_alu instid0(SALU_CYCLE_1)
	s_and_saveexec_b32 s1, s0
	s_cbranch_execz .LBB901_214
; %bb.213:
	v_add_co_u32 v0, vcc_lo, v15, v16
	s_waitcnt lgkmcnt(1)
	v_mov_b32_e32 v2, 0
	v_add_co_ci_u32_e32 v1, vcc_lo, 0, v17, vcc_lo
	global_store_b64 v2, v[0:1], s[8:9]
.LBB901_214:
	s_nop 0
	s_sendmsg sendmsg(MSG_DEALLOC_VGPRS)
	s_endpgm
	.section	.rodata,"a",@progbits
	.p2align	6, 0x0
	.amdhsa_kernel _ZN7rocprim17ROCPRIM_400000_NS6detail17trampoline_kernelINS0_13select_configILj256ELj13ELNS0_17block_load_methodE3ELS4_3ELS4_3ELNS0_20block_scan_algorithmE0ELj4294967295EEENS1_25partition_config_selectorILNS1_17partition_subalgoE3EjNS0_10empty_typeEbEEZZNS1_14partition_implILS8_3ELb0ES6_jNS0_17counting_iteratorIjlEEPS9_SE_NS0_5tupleIJPjSE_EEENSF_IJSE_SE_EEES9_SG_JZNS1_25segmented_radix_sort_implINS0_14default_configELb1EPKsPsPKlPlN2at6native12_GLOBAL__N_18offset_tEEE10hipError_tPvRmT1_PNSt15iterator_traitsISY_E10value_typeET2_T3_PNSZ_IS14_E10value_typeET4_jRbjT5_S1A_jjP12ihipStream_tbEUljE_EEESV_SW_SX_S14_S18_S1A_T6_T7_T9_mT8_S1C_bDpT10_ENKUlT_T0_E_clISt17integral_constantIbLb1EES1O_IbLb0EEEEDaS1K_S1L_EUlS1K_E_NS1_11comp_targetILNS1_3genE9ELNS1_11target_archE1100ELNS1_3gpuE3ELNS1_3repE0EEENS1_30default_config_static_selectorELNS0_4arch9wavefront6targetE0EEEvSY_
		.amdhsa_group_segment_fixed_size 13324
		.amdhsa_private_segment_fixed_size 0
		.amdhsa_kernarg_size 144
		.amdhsa_user_sgpr_count 15
		.amdhsa_user_sgpr_dispatch_ptr 0
		.amdhsa_user_sgpr_queue_ptr 0
		.amdhsa_user_sgpr_kernarg_segment_ptr 1
		.amdhsa_user_sgpr_dispatch_id 0
		.amdhsa_user_sgpr_private_segment_size 0
		.amdhsa_wavefront_size32 1
		.amdhsa_uses_dynamic_stack 0
		.amdhsa_enable_private_segment 0
		.amdhsa_system_sgpr_workgroup_id_x 1
		.amdhsa_system_sgpr_workgroup_id_y 0
		.amdhsa_system_sgpr_workgroup_id_z 0
		.amdhsa_system_sgpr_workgroup_info 0
		.amdhsa_system_vgpr_workitem_id 0
		.amdhsa_next_free_vgpr 57
		.amdhsa_next_free_sgpr 28
		.amdhsa_reserve_vcc 1
		.amdhsa_float_round_mode_32 0
		.amdhsa_float_round_mode_16_64 0
		.amdhsa_float_denorm_mode_32 3
		.amdhsa_float_denorm_mode_16_64 3
		.amdhsa_dx10_clamp 1
		.amdhsa_ieee_mode 1
		.amdhsa_fp16_overflow 0
		.amdhsa_workgroup_processor_mode 1
		.amdhsa_memory_ordered 1
		.amdhsa_forward_progress 0
		.amdhsa_shared_vgpr_count 0
		.amdhsa_exception_fp_ieee_invalid_op 0
		.amdhsa_exception_fp_denorm_src 0
		.amdhsa_exception_fp_ieee_div_zero 0
		.amdhsa_exception_fp_ieee_overflow 0
		.amdhsa_exception_fp_ieee_underflow 0
		.amdhsa_exception_fp_ieee_inexact 0
		.amdhsa_exception_int_div_zero 0
	.end_amdhsa_kernel
	.section	.text._ZN7rocprim17ROCPRIM_400000_NS6detail17trampoline_kernelINS0_13select_configILj256ELj13ELNS0_17block_load_methodE3ELS4_3ELS4_3ELNS0_20block_scan_algorithmE0ELj4294967295EEENS1_25partition_config_selectorILNS1_17partition_subalgoE3EjNS0_10empty_typeEbEEZZNS1_14partition_implILS8_3ELb0ES6_jNS0_17counting_iteratorIjlEEPS9_SE_NS0_5tupleIJPjSE_EEENSF_IJSE_SE_EEES9_SG_JZNS1_25segmented_radix_sort_implINS0_14default_configELb1EPKsPsPKlPlN2at6native12_GLOBAL__N_18offset_tEEE10hipError_tPvRmT1_PNSt15iterator_traitsISY_E10value_typeET2_T3_PNSZ_IS14_E10value_typeET4_jRbjT5_S1A_jjP12ihipStream_tbEUljE_EEESV_SW_SX_S14_S18_S1A_T6_T7_T9_mT8_S1C_bDpT10_ENKUlT_T0_E_clISt17integral_constantIbLb1EES1O_IbLb0EEEEDaS1K_S1L_EUlS1K_E_NS1_11comp_targetILNS1_3genE9ELNS1_11target_archE1100ELNS1_3gpuE3ELNS1_3repE0EEENS1_30default_config_static_selectorELNS0_4arch9wavefront6targetE0EEEvSY_,"axG",@progbits,_ZN7rocprim17ROCPRIM_400000_NS6detail17trampoline_kernelINS0_13select_configILj256ELj13ELNS0_17block_load_methodE3ELS4_3ELS4_3ELNS0_20block_scan_algorithmE0ELj4294967295EEENS1_25partition_config_selectorILNS1_17partition_subalgoE3EjNS0_10empty_typeEbEEZZNS1_14partition_implILS8_3ELb0ES6_jNS0_17counting_iteratorIjlEEPS9_SE_NS0_5tupleIJPjSE_EEENSF_IJSE_SE_EEES9_SG_JZNS1_25segmented_radix_sort_implINS0_14default_configELb1EPKsPsPKlPlN2at6native12_GLOBAL__N_18offset_tEEE10hipError_tPvRmT1_PNSt15iterator_traitsISY_E10value_typeET2_T3_PNSZ_IS14_E10value_typeET4_jRbjT5_S1A_jjP12ihipStream_tbEUljE_EEESV_SW_SX_S14_S18_S1A_T6_T7_T9_mT8_S1C_bDpT10_ENKUlT_T0_E_clISt17integral_constantIbLb1EES1O_IbLb0EEEEDaS1K_S1L_EUlS1K_E_NS1_11comp_targetILNS1_3genE9ELNS1_11target_archE1100ELNS1_3gpuE3ELNS1_3repE0EEENS1_30default_config_static_selectorELNS0_4arch9wavefront6targetE0EEEvSY_,comdat
.Lfunc_end901:
	.size	_ZN7rocprim17ROCPRIM_400000_NS6detail17trampoline_kernelINS0_13select_configILj256ELj13ELNS0_17block_load_methodE3ELS4_3ELS4_3ELNS0_20block_scan_algorithmE0ELj4294967295EEENS1_25partition_config_selectorILNS1_17partition_subalgoE3EjNS0_10empty_typeEbEEZZNS1_14partition_implILS8_3ELb0ES6_jNS0_17counting_iteratorIjlEEPS9_SE_NS0_5tupleIJPjSE_EEENSF_IJSE_SE_EEES9_SG_JZNS1_25segmented_radix_sort_implINS0_14default_configELb1EPKsPsPKlPlN2at6native12_GLOBAL__N_18offset_tEEE10hipError_tPvRmT1_PNSt15iterator_traitsISY_E10value_typeET2_T3_PNSZ_IS14_E10value_typeET4_jRbjT5_S1A_jjP12ihipStream_tbEUljE_EEESV_SW_SX_S14_S18_S1A_T6_T7_T9_mT8_S1C_bDpT10_ENKUlT_T0_E_clISt17integral_constantIbLb1EES1O_IbLb0EEEEDaS1K_S1L_EUlS1K_E_NS1_11comp_targetILNS1_3genE9ELNS1_11target_archE1100ELNS1_3gpuE3ELNS1_3repE0EEENS1_30default_config_static_selectorELNS0_4arch9wavefront6targetE0EEEvSY_, .Lfunc_end901-_ZN7rocprim17ROCPRIM_400000_NS6detail17trampoline_kernelINS0_13select_configILj256ELj13ELNS0_17block_load_methodE3ELS4_3ELS4_3ELNS0_20block_scan_algorithmE0ELj4294967295EEENS1_25partition_config_selectorILNS1_17partition_subalgoE3EjNS0_10empty_typeEbEEZZNS1_14partition_implILS8_3ELb0ES6_jNS0_17counting_iteratorIjlEEPS9_SE_NS0_5tupleIJPjSE_EEENSF_IJSE_SE_EEES9_SG_JZNS1_25segmented_radix_sort_implINS0_14default_configELb1EPKsPsPKlPlN2at6native12_GLOBAL__N_18offset_tEEE10hipError_tPvRmT1_PNSt15iterator_traitsISY_E10value_typeET2_T3_PNSZ_IS14_E10value_typeET4_jRbjT5_S1A_jjP12ihipStream_tbEUljE_EEESV_SW_SX_S14_S18_S1A_T6_T7_T9_mT8_S1C_bDpT10_ENKUlT_T0_E_clISt17integral_constantIbLb1EES1O_IbLb0EEEEDaS1K_S1L_EUlS1K_E_NS1_11comp_targetILNS1_3genE9ELNS1_11target_archE1100ELNS1_3gpuE3ELNS1_3repE0EEENS1_30default_config_static_selectorELNS0_4arch9wavefront6targetE0EEEvSY_
                                        ; -- End function
	.section	.AMDGPU.csdata,"",@progbits
; Kernel info:
; codeLenInByte = 8964
; NumSgprs: 30
; NumVgprs: 57
; ScratchSize: 0
; MemoryBound: 0
; FloatMode: 240
; IeeeMode: 1
; LDSByteSize: 13324 bytes/workgroup (compile time only)
; SGPRBlocks: 3
; VGPRBlocks: 7
; NumSGPRsForWavesPerEU: 30
; NumVGPRsForWavesPerEU: 57
; Occupancy: 16
; WaveLimiterHint : 0
; COMPUTE_PGM_RSRC2:SCRATCH_EN: 0
; COMPUTE_PGM_RSRC2:USER_SGPR: 15
; COMPUTE_PGM_RSRC2:TRAP_HANDLER: 0
; COMPUTE_PGM_RSRC2:TGID_X_EN: 1
; COMPUTE_PGM_RSRC2:TGID_Y_EN: 0
; COMPUTE_PGM_RSRC2:TGID_Z_EN: 0
; COMPUTE_PGM_RSRC2:TIDIG_COMP_CNT: 0
	.section	.text._ZN7rocprim17ROCPRIM_400000_NS6detail17trampoline_kernelINS0_13select_configILj256ELj13ELNS0_17block_load_methodE3ELS4_3ELS4_3ELNS0_20block_scan_algorithmE0ELj4294967295EEENS1_25partition_config_selectorILNS1_17partition_subalgoE3EjNS0_10empty_typeEbEEZZNS1_14partition_implILS8_3ELb0ES6_jNS0_17counting_iteratorIjlEEPS9_SE_NS0_5tupleIJPjSE_EEENSF_IJSE_SE_EEES9_SG_JZNS1_25segmented_radix_sort_implINS0_14default_configELb1EPKsPsPKlPlN2at6native12_GLOBAL__N_18offset_tEEE10hipError_tPvRmT1_PNSt15iterator_traitsISY_E10value_typeET2_T3_PNSZ_IS14_E10value_typeET4_jRbjT5_S1A_jjP12ihipStream_tbEUljE_EEESV_SW_SX_S14_S18_S1A_T6_T7_T9_mT8_S1C_bDpT10_ENKUlT_T0_E_clISt17integral_constantIbLb1EES1O_IbLb0EEEEDaS1K_S1L_EUlS1K_E_NS1_11comp_targetILNS1_3genE8ELNS1_11target_archE1030ELNS1_3gpuE2ELNS1_3repE0EEENS1_30default_config_static_selectorELNS0_4arch9wavefront6targetE0EEEvSY_,"axG",@progbits,_ZN7rocprim17ROCPRIM_400000_NS6detail17trampoline_kernelINS0_13select_configILj256ELj13ELNS0_17block_load_methodE3ELS4_3ELS4_3ELNS0_20block_scan_algorithmE0ELj4294967295EEENS1_25partition_config_selectorILNS1_17partition_subalgoE3EjNS0_10empty_typeEbEEZZNS1_14partition_implILS8_3ELb0ES6_jNS0_17counting_iteratorIjlEEPS9_SE_NS0_5tupleIJPjSE_EEENSF_IJSE_SE_EEES9_SG_JZNS1_25segmented_radix_sort_implINS0_14default_configELb1EPKsPsPKlPlN2at6native12_GLOBAL__N_18offset_tEEE10hipError_tPvRmT1_PNSt15iterator_traitsISY_E10value_typeET2_T3_PNSZ_IS14_E10value_typeET4_jRbjT5_S1A_jjP12ihipStream_tbEUljE_EEESV_SW_SX_S14_S18_S1A_T6_T7_T9_mT8_S1C_bDpT10_ENKUlT_T0_E_clISt17integral_constantIbLb1EES1O_IbLb0EEEEDaS1K_S1L_EUlS1K_E_NS1_11comp_targetILNS1_3genE8ELNS1_11target_archE1030ELNS1_3gpuE2ELNS1_3repE0EEENS1_30default_config_static_selectorELNS0_4arch9wavefront6targetE0EEEvSY_,comdat
	.globl	_ZN7rocprim17ROCPRIM_400000_NS6detail17trampoline_kernelINS0_13select_configILj256ELj13ELNS0_17block_load_methodE3ELS4_3ELS4_3ELNS0_20block_scan_algorithmE0ELj4294967295EEENS1_25partition_config_selectorILNS1_17partition_subalgoE3EjNS0_10empty_typeEbEEZZNS1_14partition_implILS8_3ELb0ES6_jNS0_17counting_iteratorIjlEEPS9_SE_NS0_5tupleIJPjSE_EEENSF_IJSE_SE_EEES9_SG_JZNS1_25segmented_radix_sort_implINS0_14default_configELb1EPKsPsPKlPlN2at6native12_GLOBAL__N_18offset_tEEE10hipError_tPvRmT1_PNSt15iterator_traitsISY_E10value_typeET2_T3_PNSZ_IS14_E10value_typeET4_jRbjT5_S1A_jjP12ihipStream_tbEUljE_EEESV_SW_SX_S14_S18_S1A_T6_T7_T9_mT8_S1C_bDpT10_ENKUlT_T0_E_clISt17integral_constantIbLb1EES1O_IbLb0EEEEDaS1K_S1L_EUlS1K_E_NS1_11comp_targetILNS1_3genE8ELNS1_11target_archE1030ELNS1_3gpuE2ELNS1_3repE0EEENS1_30default_config_static_selectorELNS0_4arch9wavefront6targetE0EEEvSY_ ; -- Begin function _ZN7rocprim17ROCPRIM_400000_NS6detail17trampoline_kernelINS0_13select_configILj256ELj13ELNS0_17block_load_methodE3ELS4_3ELS4_3ELNS0_20block_scan_algorithmE0ELj4294967295EEENS1_25partition_config_selectorILNS1_17partition_subalgoE3EjNS0_10empty_typeEbEEZZNS1_14partition_implILS8_3ELb0ES6_jNS0_17counting_iteratorIjlEEPS9_SE_NS0_5tupleIJPjSE_EEENSF_IJSE_SE_EEES9_SG_JZNS1_25segmented_radix_sort_implINS0_14default_configELb1EPKsPsPKlPlN2at6native12_GLOBAL__N_18offset_tEEE10hipError_tPvRmT1_PNSt15iterator_traitsISY_E10value_typeET2_T3_PNSZ_IS14_E10value_typeET4_jRbjT5_S1A_jjP12ihipStream_tbEUljE_EEESV_SW_SX_S14_S18_S1A_T6_T7_T9_mT8_S1C_bDpT10_ENKUlT_T0_E_clISt17integral_constantIbLb1EES1O_IbLb0EEEEDaS1K_S1L_EUlS1K_E_NS1_11comp_targetILNS1_3genE8ELNS1_11target_archE1030ELNS1_3gpuE2ELNS1_3repE0EEENS1_30default_config_static_selectorELNS0_4arch9wavefront6targetE0EEEvSY_
	.p2align	8
	.type	_ZN7rocprim17ROCPRIM_400000_NS6detail17trampoline_kernelINS0_13select_configILj256ELj13ELNS0_17block_load_methodE3ELS4_3ELS4_3ELNS0_20block_scan_algorithmE0ELj4294967295EEENS1_25partition_config_selectorILNS1_17partition_subalgoE3EjNS0_10empty_typeEbEEZZNS1_14partition_implILS8_3ELb0ES6_jNS0_17counting_iteratorIjlEEPS9_SE_NS0_5tupleIJPjSE_EEENSF_IJSE_SE_EEES9_SG_JZNS1_25segmented_radix_sort_implINS0_14default_configELb1EPKsPsPKlPlN2at6native12_GLOBAL__N_18offset_tEEE10hipError_tPvRmT1_PNSt15iterator_traitsISY_E10value_typeET2_T3_PNSZ_IS14_E10value_typeET4_jRbjT5_S1A_jjP12ihipStream_tbEUljE_EEESV_SW_SX_S14_S18_S1A_T6_T7_T9_mT8_S1C_bDpT10_ENKUlT_T0_E_clISt17integral_constantIbLb1EES1O_IbLb0EEEEDaS1K_S1L_EUlS1K_E_NS1_11comp_targetILNS1_3genE8ELNS1_11target_archE1030ELNS1_3gpuE2ELNS1_3repE0EEENS1_30default_config_static_selectorELNS0_4arch9wavefront6targetE0EEEvSY_,@function
_ZN7rocprim17ROCPRIM_400000_NS6detail17trampoline_kernelINS0_13select_configILj256ELj13ELNS0_17block_load_methodE3ELS4_3ELS4_3ELNS0_20block_scan_algorithmE0ELj4294967295EEENS1_25partition_config_selectorILNS1_17partition_subalgoE3EjNS0_10empty_typeEbEEZZNS1_14partition_implILS8_3ELb0ES6_jNS0_17counting_iteratorIjlEEPS9_SE_NS0_5tupleIJPjSE_EEENSF_IJSE_SE_EEES9_SG_JZNS1_25segmented_radix_sort_implINS0_14default_configELb1EPKsPsPKlPlN2at6native12_GLOBAL__N_18offset_tEEE10hipError_tPvRmT1_PNSt15iterator_traitsISY_E10value_typeET2_T3_PNSZ_IS14_E10value_typeET4_jRbjT5_S1A_jjP12ihipStream_tbEUljE_EEESV_SW_SX_S14_S18_S1A_T6_T7_T9_mT8_S1C_bDpT10_ENKUlT_T0_E_clISt17integral_constantIbLb1EES1O_IbLb0EEEEDaS1K_S1L_EUlS1K_E_NS1_11comp_targetILNS1_3genE8ELNS1_11target_archE1030ELNS1_3gpuE2ELNS1_3repE0EEENS1_30default_config_static_selectorELNS0_4arch9wavefront6targetE0EEEvSY_: ; @_ZN7rocprim17ROCPRIM_400000_NS6detail17trampoline_kernelINS0_13select_configILj256ELj13ELNS0_17block_load_methodE3ELS4_3ELS4_3ELNS0_20block_scan_algorithmE0ELj4294967295EEENS1_25partition_config_selectorILNS1_17partition_subalgoE3EjNS0_10empty_typeEbEEZZNS1_14partition_implILS8_3ELb0ES6_jNS0_17counting_iteratorIjlEEPS9_SE_NS0_5tupleIJPjSE_EEENSF_IJSE_SE_EEES9_SG_JZNS1_25segmented_radix_sort_implINS0_14default_configELb1EPKsPsPKlPlN2at6native12_GLOBAL__N_18offset_tEEE10hipError_tPvRmT1_PNSt15iterator_traitsISY_E10value_typeET2_T3_PNSZ_IS14_E10value_typeET4_jRbjT5_S1A_jjP12ihipStream_tbEUljE_EEESV_SW_SX_S14_S18_S1A_T6_T7_T9_mT8_S1C_bDpT10_ENKUlT_T0_E_clISt17integral_constantIbLb1EES1O_IbLb0EEEEDaS1K_S1L_EUlS1K_E_NS1_11comp_targetILNS1_3genE8ELNS1_11target_archE1030ELNS1_3gpuE2ELNS1_3repE0EEENS1_30default_config_static_selectorELNS0_4arch9wavefront6targetE0EEEvSY_
; %bb.0:
	.section	.rodata,"a",@progbits
	.p2align	6, 0x0
	.amdhsa_kernel _ZN7rocprim17ROCPRIM_400000_NS6detail17trampoline_kernelINS0_13select_configILj256ELj13ELNS0_17block_load_methodE3ELS4_3ELS4_3ELNS0_20block_scan_algorithmE0ELj4294967295EEENS1_25partition_config_selectorILNS1_17partition_subalgoE3EjNS0_10empty_typeEbEEZZNS1_14partition_implILS8_3ELb0ES6_jNS0_17counting_iteratorIjlEEPS9_SE_NS0_5tupleIJPjSE_EEENSF_IJSE_SE_EEES9_SG_JZNS1_25segmented_radix_sort_implINS0_14default_configELb1EPKsPsPKlPlN2at6native12_GLOBAL__N_18offset_tEEE10hipError_tPvRmT1_PNSt15iterator_traitsISY_E10value_typeET2_T3_PNSZ_IS14_E10value_typeET4_jRbjT5_S1A_jjP12ihipStream_tbEUljE_EEESV_SW_SX_S14_S18_S1A_T6_T7_T9_mT8_S1C_bDpT10_ENKUlT_T0_E_clISt17integral_constantIbLb1EES1O_IbLb0EEEEDaS1K_S1L_EUlS1K_E_NS1_11comp_targetILNS1_3genE8ELNS1_11target_archE1030ELNS1_3gpuE2ELNS1_3repE0EEENS1_30default_config_static_selectorELNS0_4arch9wavefront6targetE0EEEvSY_
		.amdhsa_group_segment_fixed_size 0
		.amdhsa_private_segment_fixed_size 0
		.amdhsa_kernarg_size 144
		.amdhsa_user_sgpr_count 15
		.amdhsa_user_sgpr_dispatch_ptr 0
		.amdhsa_user_sgpr_queue_ptr 0
		.amdhsa_user_sgpr_kernarg_segment_ptr 1
		.amdhsa_user_sgpr_dispatch_id 0
		.amdhsa_user_sgpr_private_segment_size 0
		.amdhsa_wavefront_size32 1
		.amdhsa_uses_dynamic_stack 0
		.amdhsa_enable_private_segment 0
		.amdhsa_system_sgpr_workgroup_id_x 1
		.amdhsa_system_sgpr_workgroup_id_y 0
		.amdhsa_system_sgpr_workgroup_id_z 0
		.amdhsa_system_sgpr_workgroup_info 0
		.amdhsa_system_vgpr_workitem_id 0
		.amdhsa_next_free_vgpr 1
		.amdhsa_next_free_sgpr 1
		.amdhsa_reserve_vcc 0
		.amdhsa_float_round_mode_32 0
		.amdhsa_float_round_mode_16_64 0
		.amdhsa_float_denorm_mode_32 3
		.amdhsa_float_denorm_mode_16_64 3
		.amdhsa_dx10_clamp 1
		.amdhsa_ieee_mode 1
		.amdhsa_fp16_overflow 0
		.amdhsa_workgroup_processor_mode 1
		.amdhsa_memory_ordered 1
		.amdhsa_forward_progress 0
		.amdhsa_shared_vgpr_count 0
		.amdhsa_exception_fp_ieee_invalid_op 0
		.amdhsa_exception_fp_denorm_src 0
		.amdhsa_exception_fp_ieee_div_zero 0
		.amdhsa_exception_fp_ieee_overflow 0
		.amdhsa_exception_fp_ieee_underflow 0
		.amdhsa_exception_fp_ieee_inexact 0
		.amdhsa_exception_int_div_zero 0
	.end_amdhsa_kernel
	.section	.text._ZN7rocprim17ROCPRIM_400000_NS6detail17trampoline_kernelINS0_13select_configILj256ELj13ELNS0_17block_load_methodE3ELS4_3ELS4_3ELNS0_20block_scan_algorithmE0ELj4294967295EEENS1_25partition_config_selectorILNS1_17partition_subalgoE3EjNS0_10empty_typeEbEEZZNS1_14partition_implILS8_3ELb0ES6_jNS0_17counting_iteratorIjlEEPS9_SE_NS0_5tupleIJPjSE_EEENSF_IJSE_SE_EEES9_SG_JZNS1_25segmented_radix_sort_implINS0_14default_configELb1EPKsPsPKlPlN2at6native12_GLOBAL__N_18offset_tEEE10hipError_tPvRmT1_PNSt15iterator_traitsISY_E10value_typeET2_T3_PNSZ_IS14_E10value_typeET4_jRbjT5_S1A_jjP12ihipStream_tbEUljE_EEESV_SW_SX_S14_S18_S1A_T6_T7_T9_mT8_S1C_bDpT10_ENKUlT_T0_E_clISt17integral_constantIbLb1EES1O_IbLb0EEEEDaS1K_S1L_EUlS1K_E_NS1_11comp_targetILNS1_3genE8ELNS1_11target_archE1030ELNS1_3gpuE2ELNS1_3repE0EEENS1_30default_config_static_selectorELNS0_4arch9wavefront6targetE0EEEvSY_,"axG",@progbits,_ZN7rocprim17ROCPRIM_400000_NS6detail17trampoline_kernelINS0_13select_configILj256ELj13ELNS0_17block_load_methodE3ELS4_3ELS4_3ELNS0_20block_scan_algorithmE0ELj4294967295EEENS1_25partition_config_selectorILNS1_17partition_subalgoE3EjNS0_10empty_typeEbEEZZNS1_14partition_implILS8_3ELb0ES6_jNS0_17counting_iteratorIjlEEPS9_SE_NS0_5tupleIJPjSE_EEENSF_IJSE_SE_EEES9_SG_JZNS1_25segmented_radix_sort_implINS0_14default_configELb1EPKsPsPKlPlN2at6native12_GLOBAL__N_18offset_tEEE10hipError_tPvRmT1_PNSt15iterator_traitsISY_E10value_typeET2_T3_PNSZ_IS14_E10value_typeET4_jRbjT5_S1A_jjP12ihipStream_tbEUljE_EEESV_SW_SX_S14_S18_S1A_T6_T7_T9_mT8_S1C_bDpT10_ENKUlT_T0_E_clISt17integral_constantIbLb1EES1O_IbLb0EEEEDaS1K_S1L_EUlS1K_E_NS1_11comp_targetILNS1_3genE8ELNS1_11target_archE1030ELNS1_3gpuE2ELNS1_3repE0EEENS1_30default_config_static_selectorELNS0_4arch9wavefront6targetE0EEEvSY_,comdat
.Lfunc_end902:
	.size	_ZN7rocprim17ROCPRIM_400000_NS6detail17trampoline_kernelINS0_13select_configILj256ELj13ELNS0_17block_load_methodE3ELS4_3ELS4_3ELNS0_20block_scan_algorithmE0ELj4294967295EEENS1_25partition_config_selectorILNS1_17partition_subalgoE3EjNS0_10empty_typeEbEEZZNS1_14partition_implILS8_3ELb0ES6_jNS0_17counting_iteratorIjlEEPS9_SE_NS0_5tupleIJPjSE_EEENSF_IJSE_SE_EEES9_SG_JZNS1_25segmented_radix_sort_implINS0_14default_configELb1EPKsPsPKlPlN2at6native12_GLOBAL__N_18offset_tEEE10hipError_tPvRmT1_PNSt15iterator_traitsISY_E10value_typeET2_T3_PNSZ_IS14_E10value_typeET4_jRbjT5_S1A_jjP12ihipStream_tbEUljE_EEESV_SW_SX_S14_S18_S1A_T6_T7_T9_mT8_S1C_bDpT10_ENKUlT_T0_E_clISt17integral_constantIbLb1EES1O_IbLb0EEEEDaS1K_S1L_EUlS1K_E_NS1_11comp_targetILNS1_3genE8ELNS1_11target_archE1030ELNS1_3gpuE2ELNS1_3repE0EEENS1_30default_config_static_selectorELNS0_4arch9wavefront6targetE0EEEvSY_, .Lfunc_end902-_ZN7rocprim17ROCPRIM_400000_NS6detail17trampoline_kernelINS0_13select_configILj256ELj13ELNS0_17block_load_methodE3ELS4_3ELS4_3ELNS0_20block_scan_algorithmE0ELj4294967295EEENS1_25partition_config_selectorILNS1_17partition_subalgoE3EjNS0_10empty_typeEbEEZZNS1_14partition_implILS8_3ELb0ES6_jNS0_17counting_iteratorIjlEEPS9_SE_NS0_5tupleIJPjSE_EEENSF_IJSE_SE_EEES9_SG_JZNS1_25segmented_radix_sort_implINS0_14default_configELb1EPKsPsPKlPlN2at6native12_GLOBAL__N_18offset_tEEE10hipError_tPvRmT1_PNSt15iterator_traitsISY_E10value_typeET2_T3_PNSZ_IS14_E10value_typeET4_jRbjT5_S1A_jjP12ihipStream_tbEUljE_EEESV_SW_SX_S14_S18_S1A_T6_T7_T9_mT8_S1C_bDpT10_ENKUlT_T0_E_clISt17integral_constantIbLb1EES1O_IbLb0EEEEDaS1K_S1L_EUlS1K_E_NS1_11comp_targetILNS1_3genE8ELNS1_11target_archE1030ELNS1_3gpuE2ELNS1_3repE0EEENS1_30default_config_static_selectorELNS0_4arch9wavefront6targetE0EEEvSY_
                                        ; -- End function
	.section	.AMDGPU.csdata,"",@progbits
; Kernel info:
; codeLenInByte = 0
; NumSgprs: 0
; NumVgprs: 0
; ScratchSize: 0
; MemoryBound: 0
; FloatMode: 240
; IeeeMode: 1
; LDSByteSize: 0 bytes/workgroup (compile time only)
; SGPRBlocks: 0
; VGPRBlocks: 0
; NumSGPRsForWavesPerEU: 1
; NumVGPRsForWavesPerEU: 1
; Occupancy: 16
; WaveLimiterHint : 0
; COMPUTE_PGM_RSRC2:SCRATCH_EN: 0
; COMPUTE_PGM_RSRC2:USER_SGPR: 15
; COMPUTE_PGM_RSRC2:TRAP_HANDLER: 0
; COMPUTE_PGM_RSRC2:TGID_X_EN: 1
; COMPUTE_PGM_RSRC2:TGID_Y_EN: 0
; COMPUTE_PGM_RSRC2:TGID_Z_EN: 0
; COMPUTE_PGM_RSRC2:TIDIG_COMP_CNT: 0
	.section	.text._ZN7rocprim17ROCPRIM_400000_NS6detail17trampoline_kernelINS0_13select_configILj256ELj13ELNS0_17block_load_methodE3ELS4_3ELS4_3ELNS0_20block_scan_algorithmE0ELj4294967295EEENS1_25partition_config_selectorILNS1_17partition_subalgoE3EjNS0_10empty_typeEbEEZZNS1_14partition_implILS8_3ELb0ES6_jNS0_17counting_iteratorIjlEEPS9_SE_NS0_5tupleIJPjSE_EEENSF_IJSE_SE_EEES9_SG_JZNS1_25segmented_radix_sort_implINS0_14default_configELb1EPKsPsPKlPlN2at6native12_GLOBAL__N_18offset_tEEE10hipError_tPvRmT1_PNSt15iterator_traitsISY_E10value_typeET2_T3_PNSZ_IS14_E10value_typeET4_jRbjT5_S1A_jjP12ihipStream_tbEUljE_EEESV_SW_SX_S14_S18_S1A_T6_T7_T9_mT8_S1C_bDpT10_ENKUlT_T0_E_clISt17integral_constantIbLb0EES1O_IbLb1EEEEDaS1K_S1L_EUlS1K_E_NS1_11comp_targetILNS1_3genE0ELNS1_11target_archE4294967295ELNS1_3gpuE0ELNS1_3repE0EEENS1_30default_config_static_selectorELNS0_4arch9wavefront6targetE0EEEvSY_,"axG",@progbits,_ZN7rocprim17ROCPRIM_400000_NS6detail17trampoline_kernelINS0_13select_configILj256ELj13ELNS0_17block_load_methodE3ELS4_3ELS4_3ELNS0_20block_scan_algorithmE0ELj4294967295EEENS1_25partition_config_selectorILNS1_17partition_subalgoE3EjNS0_10empty_typeEbEEZZNS1_14partition_implILS8_3ELb0ES6_jNS0_17counting_iteratorIjlEEPS9_SE_NS0_5tupleIJPjSE_EEENSF_IJSE_SE_EEES9_SG_JZNS1_25segmented_radix_sort_implINS0_14default_configELb1EPKsPsPKlPlN2at6native12_GLOBAL__N_18offset_tEEE10hipError_tPvRmT1_PNSt15iterator_traitsISY_E10value_typeET2_T3_PNSZ_IS14_E10value_typeET4_jRbjT5_S1A_jjP12ihipStream_tbEUljE_EEESV_SW_SX_S14_S18_S1A_T6_T7_T9_mT8_S1C_bDpT10_ENKUlT_T0_E_clISt17integral_constantIbLb0EES1O_IbLb1EEEEDaS1K_S1L_EUlS1K_E_NS1_11comp_targetILNS1_3genE0ELNS1_11target_archE4294967295ELNS1_3gpuE0ELNS1_3repE0EEENS1_30default_config_static_selectorELNS0_4arch9wavefront6targetE0EEEvSY_,comdat
	.globl	_ZN7rocprim17ROCPRIM_400000_NS6detail17trampoline_kernelINS0_13select_configILj256ELj13ELNS0_17block_load_methodE3ELS4_3ELS4_3ELNS0_20block_scan_algorithmE0ELj4294967295EEENS1_25partition_config_selectorILNS1_17partition_subalgoE3EjNS0_10empty_typeEbEEZZNS1_14partition_implILS8_3ELb0ES6_jNS0_17counting_iteratorIjlEEPS9_SE_NS0_5tupleIJPjSE_EEENSF_IJSE_SE_EEES9_SG_JZNS1_25segmented_radix_sort_implINS0_14default_configELb1EPKsPsPKlPlN2at6native12_GLOBAL__N_18offset_tEEE10hipError_tPvRmT1_PNSt15iterator_traitsISY_E10value_typeET2_T3_PNSZ_IS14_E10value_typeET4_jRbjT5_S1A_jjP12ihipStream_tbEUljE_EEESV_SW_SX_S14_S18_S1A_T6_T7_T9_mT8_S1C_bDpT10_ENKUlT_T0_E_clISt17integral_constantIbLb0EES1O_IbLb1EEEEDaS1K_S1L_EUlS1K_E_NS1_11comp_targetILNS1_3genE0ELNS1_11target_archE4294967295ELNS1_3gpuE0ELNS1_3repE0EEENS1_30default_config_static_selectorELNS0_4arch9wavefront6targetE0EEEvSY_ ; -- Begin function _ZN7rocprim17ROCPRIM_400000_NS6detail17trampoline_kernelINS0_13select_configILj256ELj13ELNS0_17block_load_methodE3ELS4_3ELS4_3ELNS0_20block_scan_algorithmE0ELj4294967295EEENS1_25partition_config_selectorILNS1_17partition_subalgoE3EjNS0_10empty_typeEbEEZZNS1_14partition_implILS8_3ELb0ES6_jNS0_17counting_iteratorIjlEEPS9_SE_NS0_5tupleIJPjSE_EEENSF_IJSE_SE_EEES9_SG_JZNS1_25segmented_radix_sort_implINS0_14default_configELb1EPKsPsPKlPlN2at6native12_GLOBAL__N_18offset_tEEE10hipError_tPvRmT1_PNSt15iterator_traitsISY_E10value_typeET2_T3_PNSZ_IS14_E10value_typeET4_jRbjT5_S1A_jjP12ihipStream_tbEUljE_EEESV_SW_SX_S14_S18_S1A_T6_T7_T9_mT8_S1C_bDpT10_ENKUlT_T0_E_clISt17integral_constantIbLb0EES1O_IbLb1EEEEDaS1K_S1L_EUlS1K_E_NS1_11comp_targetILNS1_3genE0ELNS1_11target_archE4294967295ELNS1_3gpuE0ELNS1_3repE0EEENS1_30default_config_static_selectorELNS0_4arch9wavefront6targetE0EEEvSY_
	.p2align	8
	.type	_ZN7rocprim17ROCPRIM_400000_NS6detail17trampoline_kernelINS0_13select_configILj256ELj13ELNS0_17block_load_methodE3ELS4_3ELS4_3ELNS0_20block_scan_algorithmE0ELj4294967295EEENS1_25partition_config_selectorILNS1_17partition_subalgoE3EjNS0_10empty_typeEbEEZZNS1_14partition_implILS8_3ELb0ES6_jNS0_17counting_iteratorIjlEEPS9_SE_NS0_5tupleIJPjSE_EEENSF_IJSE_SE_EEES9_SG_JZNS1_25segmented_radix_sort_implINS0_14default_configELb1EPKsPsPKlPlN2at6native12_GLOBAL__N_18offset_tEEE10hipError_tPvRmT1_PNSt15iterator_traitsISY_E10value_typeET2_T3_PNSZ_IS14_E10value_typeET4_jRbjT5_S1A_jjP12ihipStream_tbEUljE_EEESV_SW_SX_S14_S18_S1A_T6_T7_T9_mT8_S1C_bDpT10_ENKUlT_T0_E_clISt17integral_constantIbLb0EES1O_IbLb1EEEEDaS1K_S1L_EUlS1K_E_NS1_11comp_targetILNS1_3genE0ELNS1_11target_archE4294967295ELNS1_3gpuE0ELNS1_3repE0EEENS1_30default_config_static_selectorELNS0_4arch9wavefront6targetE0EEEvSY_,@function
_ZN7rocprim17ROCPRIM_400000_NS6detail17trampoline_kernelINS0_13select_configILj256ELj13ELNS0_17block_load_methodE3ELS4_3ELS4_3ELNS0_20block_scan_algorithmE0ELj4294967295EEENS1_25partition_config_selectorILNS1_17partition_subalgoE3EjNS0_10empty_typeEbEEZZNS1_14partition_implILS8_3ELb0ES6_jNS0_17counting_iteratorIjlEEPS9_SE_NS0_5tupleIJPjSE_EEENSF_IJSE_SE_EEES9_SG_JZNS1_25segmented_radix_sort_implINS0_14default_configELb1EPKsPsPKlPlN2at6native12_GLOBAL__N_18offset_tEEE10hipError_tPvRmT1_PNSt15iterator_traitsISY_E10value_typeET2_T3_PNSZ_IS14_E10value_typeET4_jRbjT5_S1A_jjP12ihipStream_tbEUljE_EEESV_SW_SX_S14_S18_S1A_T6_T7_T9_mT8_S1C_bDpT10_ENKUlT_T0_E_clISt17integral_constantIbLb0EES1O_IbLb1EEEEDaS1K_S1L_EUlS1K_E_NS1_11comp_targetILNS1_3genE0ELNS1_11target_archE4294967295ELNS1_3gpuE0ELNS1_3repE0EEENS1_30default_config_static_selectorELNS0_4arch9wavefront6targetE0EEEvSY_: ; @_ZN7rocprim17ROCPRIM_400000_NS6detail17trampoline_kernelINS0_13select_configILj256ELj13ELNS0_17block_load_methodE3ELS4_3ELS4_3ELNS0_20block_scan_algorithmE0ELj4294967295EEENS1_25partition_config_selectorILNS1_17partition_subalgoE3EjNS0_10empty_typeEbEEZZNS1_14partition_implILS8_3ELb0ES6_jNS0_17counting_iteratorIjlEEPS9_SE_NS0_5tupleIJPjSE_EEENSF_IJSE_SE_EEES9_SG_JZNS1_25segmented_radix_sort_implINS0_14default_configELb1EPKsPsPKlPlN2at6native12_GLOBAL__N_18offset_tEEE10hipError_tPvRmT1_PNSt15iterator_traitsISY_E10value_typeET2_T3_PNSZ_IS14_E10value_typeET4_jRbjT5_S1A_jjP12ihipStream_tbEUljE_EEESV_SW_SX_S14_S18_S1A_T6_T7_T9_mT8_S1C_bDpT10_ENKUlT_T0_E_clISt17integral_constantIbLb0EES1O_IbLb1EEEEDaS1K_S1L_EUlS1K_E_NS1_11comp_targetILNS1_3genE0ELNS1_11target_archE4294967295ELNS1_3gpuE0ELNS1_3repE0EEENS1_30default_config_static_selectorELNS0_4arch9wavefront6targetE0EEEvSY_
; %bb.0:
	.section	.rodata,"a",@progbits
	.p2align	6, 0x0
	.amdhsa_kernel _ZN7rocprim17ROCPRIM_400000_NS6detail17trampoline_kernelINS0_13select_configILj256ELj13ELNS0_17block_load_methodE3ELS4_3ELS4_3ELNS0_20block_scan_algorithmE0ELj4294967295EEENS1_25partition_config_selectorILNS1_17partition_subalgoE3EjNS0_10empty_typeEbEEZZNS1_14partition_implILS8_3ELb0ES6_jNS0_17counting_iteratorIjlEEPS9_SE_NS0_5tupleIJPjSE_EEENSF_IJSE_SE_EEES9_SG_JZNS1_25segmented_radix_sort_implINS0_14default_configELb1EPKsPsPKlPlN2at6native12_GLOBAL__N_18offset_tEEE10hipError_tPvRmT1_PNSt15iterator_traitsISY_E10value_typeET2_T3_PNSZ_IS14_E10value_typeET4_jRbjT5_S1A_jjP12ihipStream_tbEUljE_EEESV_SW_SX_S14_S18_S1A_T6_T7_T9_mT8_S1C_bDpT10_ENKUlT_T0_E_clISt17integral_constantIbLb0EES1O_IbLb1EEEEDaS1K_S1L_EUlS1K_E_NS1_11comp_targetILNS1_3genE0ELNS1_11target_archE4294967295ELNS1_3gpuE0ELNS1_3repE0EEENS1_30default_config_static_selectorELNS0_4arch9wavefront6targetE0EEEvSY_
		.amdhsa_group_segment_fixed_size 0
		.amdhsa_private_segment_fixed_size 0
		.amdhsa_kernarg_size 152
		.amdhsa_user_sgpr_count 15
		.amdhsa_user_sgpr_dispatch_ptr 0
		.amdhsa_user_sgpr_queue_ptr 0
		.amdhsa_user_sgpr_kernarg_segment_ptr 1
		.amdhsa_user_sgpr_dispatch_id 0
		.amdhsa_user_sgpr_private_segment_size 0
		.amdhsa_wavefront_size32 1
		.amdhsa_uses_dynamic_stack 0
		.amdhsa_enable_private_segment 0
		.amdhsa_system_sgpr_workgroup_id_x 1
		.amdhsa_system_sgpr_workgroup_id_y 0
		.amdhsa_system_sgpr_workgroup_id_z 0
		.amdhsa_system_sgpr_workgroup_info 0
		.amdhsa_system_vgpr_workitem_id 0
		.amdhsa_next_free_vgpr 1
		.amdhsa_next_free_sgpr 1
		.amdhsa_reserve_vcc 0
		.amdhsa_float_round_mode_32 0
		.amdhsa_float_round_mode_16_64 0
		.amdhsa_float_denorm_mode_32 3
		.amdhsa_float_denorm_mode_16_64 3
		.amdhsa_dx10_clamp 1
		.amdhsa_ieee_mode 1
		.amdhsa_fp16_overflow 0
		.amdhsa_workgroup_processor_mode 1
		.amdhsa_memory_ordered 1
		.amdhsa_forward_progress 0
		.amdhsa_shared_vgpr_count 0
		.amdhsa_exception_fp_ieee_invalid_op 0
		.amdhsa_exception_fp_denorm_src 0
		.amdhsa_exception_fp_ieee_div_zero 0
		.amdhsa_exception_fp_ieee_overflow 0
		.amdhsa_exception_fp_ieee_underflow 0
		.amdhsa_exception_fp_ieee_inexact 0
		.amdhsa_exception_int_div_zero 0
	.end_amdhsa_kernel
	.section	.text._ZN7rocprim17ROCPRIM_400000_NS6detail17trampoline_kernelINS0_13select_configILj256ELj13ELNS0_17block_load_methodE3ELS4_3ELS4_3ELNS0_20block_scan_algorithmE0ELj4294967295EEENS1_25partition_config_selectorILNS1_17partition_subalgoE3EjNS0_10empty_typeEbEEZZNS1_14partition_implILS8_3ELb0ES6_jNS0_17counting_iteratorIjlEEPS9_SE_NS0_5tupleIJPjSE_EEENSF_IJSE_SE_EEES9_SG_JZNS1_25segmented_radix_sort_implINS0_14default_configELb1EPKsPsPKlPlN2at6native12_GLOBAL__N_18offset_tEEE10hipError_tPvRmT1_PNSt15iterator_traitsISY_E10value_typeET2_T3_PNSZ_IS14_E10value_typeET4_jRbjT5_S1A_jjP12ihipStream_tbEUljE_EEESV_SW_SX_S14_S18_S1A_T6_T7_T9_mT8_S1C_bDpT10_ENKUlT_T0_E_clISt17integral_constantIbLb0EES1O_IbLb1EEEEDaS1K_S1L_EUlS1K_E_NS1_11comp_targetILNS1_3genE0ELNS1_11target_archE4294967295ELNS1_3gpuE0ELNS1_3repE0EEENS1_30default_config_static_selectorELNS0_4arch9wavefront6targetE0EEEvSY_,"axG",@progbits,_ZN7rocprim17ROCPRIM_400000_NS6detail17trampoline_kernelINS0_13select_configILj256ELj13ELNS0_17block_load_methodE3ELS4_3ELS4_3ELNS0_20block_scan_algorithmE0ELj4294967295EEENS1_25partition_config_selectorILNS1_17partition_subalgoE3EjNS0_10empty_typeEbEEZZNS1_14partition_implILS8_3ELb0ES6_jNS0_17counting_iteratorIjlEEPS9_SE_NS0_5tupleIJPjSE_EEENSF_IJSE_SE_EEES9_SG_JZNS1_25segmented_radix_sort_implINS0_14default_configELb1EPKsPsPKlPlN2at6native12_GLOBAL__N_18offset_tEEE10hipError_tPvRmT1_PNSt15iterator_traitsISY_E10value_typeET2_T3_PNSZ_IS14_E10value_typeET4_jRbjT5_S1A_jjP12ihipStream_tbEUljE_EEESV_SW_SX_S14_S18_S1A_T6_T7_T9_mT8_S1C_bDpT10_ENKUlT_T0_E_clISt17integral_constantIbLb0EES1O_IbLb1EEEEDaS1K_S1L_EUlS1K_E_NS1_11comp_targetILNS1_3genE0ELNS1_11target_archE4294967295ELNS1_3gpuE0ELNS1_3repE0EEENS1_30default_config_static_selectorELNS0_4arch9wavefront6targetE0EEEvSY_,comdat
.Lfunc_end903:
	.size	_ZN7rocprim17ROCPRIM_400000_NS6detail17trampoline_kernelINS0_13select_configILj256ELj13ELNS0_17block_load_methodE3ELS4_3ELS4_3ELNS0_20block_scan_algorithmE0ELj4294967295EEENS1_25partition_config_selectorILNS1_17partition_subalgoE3EjNS0_10empty_typeEbEEZZNS1_14partition_implILS8_3ELb0ES6_jNS0_17counting_iteratorIjlEEPS9_SE_NS0_5tupleIJPjSE_EEENSF_IJSE_SE_EEES9_SG_JZNS1_25segmented_radix_sort_implINS0_14default_configELb1EPKsPsPKlPlN2at6native12_GLOBAL__N_18offset_tEEE10hipError_tPvRmT1_PNSt15iterator_traitsISY_E10value_typeET2_T3_PNSZ_IS14_E10value_typeET4_jRbjT5_S1A_jjP12ihipStream_tbEUljE_EEESV_SW_SX_S14_S18_S1A_T6_T7_T9_mT8_S1C_bDpT10_ENKUlT_T0_E_clISt17integral_constantIbLb0EES1O_IbLb1EEEEDaS1K_S1L_EUlS1K_E_NS1_11comp_targetILNS1_3genE0ELNS1_11target_archE4294967295ELNS1_3gpuE0ELNS1_3repE0EEENS1_30default_config_static_selectorELNS0_4arch9wavefront6targetE0EEEvSY_, .Lfunc_end903-_ZN7rocprim17ROCPRIM_400000_NS6detail17trampoline_kernelINS0_13select_configILj256ELj13ELNS0_17block_load_methodE3ELS4_3ELS4_3ELNS0_20block_scan_algorithmE0ELj4294967295EEENS1_25partition_config_selectorILNS1_17partition_subalgoE3EjNS0_10empty_typeEbEEZZNS1_14partition_implILS8_3ELb0ES6_jNS0_17counting_iteratorIjlEEPS9_SE_NS0_5tupleIJPjSE_EEENSF_IJSE_SE_EEES9_SG_JZNS1_25segmented_radix_sort_implINS0_14default_configELb1EPKsPsPKlPlN2at6native12_GLOBAL__N_18offset_tEEE10hipError_tPvRmT1_PNSt15iterator_traitsISY_E10value_typeET2_T3_PNSZ_IS14_E10value_typeET4_jRbjT5_S1A_jjP12ihipStream_tbEUljE_EEESV_SW_SX_S14_S18_S1A_T6_T7_T9_mT8_S1C_bDpT10_ENKUlT_T0_E_clISt17integral_constantIbLb0EES1O_IbLb1EEEEDaS1K_S1L_EUlS1K_E_NS1_11comp_targetILNS1_3genE0ELNS1_11target_archE4294967295ELNS1_3gpuE0ELNS1_3repE0EEENS1_30default_config_static_selectorELNS0_4arch9wavefront6targetE0EEEvSY_
                                        ; -- End function
	.section	.AMDGPU.csdata,"",@progbits
; Kernel info:
; codeLenInByte = 0
; NumSgprs: 0
; NumVgprs: 0
; ScratchSize: 0
; MemoryBound: 0
; FloatMode: 240
; IeeeMode: 1
; LDSByteSize: 0 bytes/workgroup (compile time only)
; SGPRBlocks: 0
; VGPRBlocks: 0
; NumSGPRsForWavesPerEU: 1
; NumVGPRsForWavesPerEU: 1
; Occupancy: 16
; WaveLimiterHint : 0
; COMPUTE_PGM_RSRC2:SCRATCH_EN: 0
; COMPUTE_PGM_RSRC2:USER_SGPR: 15
; COMPUTE_PGM_RSRC2:TRAP_HANDLER: 0
; COMPUTE_PGM_RSRC2:TGID_X_EN: 1
; COMPUTE_PGM_RSRC2:TGID_Y_EN: 0
; COMPUTE_PGM_RSRC2:TGID_Z_EN: 0
; COMPUTE_PGM_RSRC2:TIDIG_COMP_CNT: 0
	.section	.text._ZN7rocprim17ROCPRIM_400000_NS6detail17trampoline_kernelINS0_13select_configILj256ELj13ELNS0_17block_load_methodE3ELS4_3ELS4_3ELNS0_20block_scan_algorithmE0ELj4294967295EEENS1_25partition_config_selectorILNS1_17partition_subalgoE3EjNS0_10empty_typeEbEEZZNS1_14partition_implILS8_3ELb0ES6_jNS0_17counting_iteratorIjlEEPS9_SE_NS0_5tupleIJPjSE_EEENSF_IJSE_SE_EEES9_SG_JZNS1_25segmented_radix_sort_implINS0_14default_configELb1EPKsPsPKlPlN2at6native12_GLOBAL__N_18offset_tEEE10hipError_tPvRmT1_PNSt15iterator_traitsISY_E10value_typeET2_T3_PNSZ_IS14_E10value_typeET4_jRbjT5_S1A_jjP12ihipStream_tbEUljE_EEESV_SW_SX_S14_S18_S1A_T6_T7_T9_mT8_S1C_bDpT10_ENKUlT_T0_E_clISt17integral_constantIbLb0EES1O_IbLb1EEEEDaS1K_S1L_EUlS1K_E_NS1_11comp_targetILNS1_3genE5ELNS1_11target_archE942ELNS1_3gpuE9ELNS1_3repE0EEENS1_30default_config_static_selectorELNS0_4arch9wavefront6targetE0EEEvSY_,"axG",@progbits,_ZN7rocprim17ROCPRIM_400000_NS6detail17trampoline_kernelINS0_13select_configILj256ELj13ELNS0_17block_load_methodE3ELS4_3ELS4_3ELNS0_20block_scan_algorithmE0ELj4294967295EEENS1_25partition_config_selectorILNS1_17partition_subalgoE3EjNS0_10empty_typeEbEEZZNS1_14partition_implILS8_3ELb0ES6_jNS0_17counting_iteratorIjlEEPS9_SE_NS0_5tupleIJPjSE_EEENSF_IJSE_SE_EEES9_SG_JZNS1_25segmented_radix_sort_implINS0_14default_configELb1EPKsPsPKlPlN2at6native12_GLOBAL__N_18offset_tEEE10hipError_tPvRmT1_PNSt15iterator_traitsISY_E10value_typeET2_T3_PNSZ_IS14_E10value_typeET4_jRbjT5_S1A_jjP12ihipStream_tbEUljE_EEESV_SW_SX_S14_S18_S1A_T6_T7_T9_mT8_S1C_bDpT10_ENKUlT_T0_E_clISt17integral_constantIbLb0EES1O_IbLb1EEEEDaS1K_S1L_EUlS1K_E_NS1_11comp_targetILNS1_3genE5ELNS1_11target_archE942ELNS1_3gpuE9ELNS1_3repE0EEENS1_30default_config_static_selectorELNS0_4arch9wavefront6targetE0EEEvSY_,comdat
	.globl	_ZN7rocprim17ROCPRIM_400000_NS6detail17trampoline_kernelINS0_13select_configILj256ELj13ELNS0_17block_load_methodE3ELS4_3ELS4_3ELNS0_20block_scan_algorithmE0ELj4294967295EEENS1_25partition_config_selectorILNS1_17partition_subalgoE3EjNS0_10empty_typeEbEEZZNS1_14partition_implILS8_3ELb0ES6_jNS0_17counting_iteratorIjlEEPS9_SE_NS0_5tupleIJPjSE_EEENSF_IJSE_SE_EEES9_SG_JZNS1_25segmented_radix_sort_implINS0_14default_configELb1EPKsPsPKlPlN2at6native12_GLOBAL__N_18offset_tEEE10hipError_tPvRmT1_PNSt15iterator_traitsISY_E10value_typeET2_T3_PNSZ_IS14_E10value_typeET4_jRbjT5_S1A_jjP12ihipStream_tbEUljE_EEESV_SW_SX_S14_S18_S1A_T6_T7_T9_mT8_S1C_bDpT10_ENKUlT_T0_E_clISt17integral_constantIbLb0EES1O_IbLb1EEEEDaS1K_S1L_EUlS1K_E_NS1_11comp_targetILNS1_3genE5ELNS1_11target_archE942ELNS1_3gpuE9ELNS1_3repE0EEENS1_30default_config_static_selectorELNS0_4arch9wavefront6targetE0EEEvSY_ ; -- Begin function _ZN7rocprim17ROCPRIM_400000_NS6detail17trampoline_kernelINS0_13select_configILj256ELj13ELNS0_17block_load_methodE3ELS4_3ELS4_3ELNS0_20block_scan_algorithmE0ELj4294967295EEENS1_25partition_config_selectorILNS1_17partition_subalgoE3EjNS0_10empty_typeEbEEZZNS1_14partition_implILS8_3ELb0ES6_jNS0_17counting_iteratorIjlEEPS9_SE_NS0_5tupleIJPjSE_EEENSF_IJSE_SE_EEES9_SG_JZNS1_25segmented_radix_sort_implINS0_14default_configELb1EPKsPsPKlPlN2at6native12_GLOBAL__N_18offset_tEEE10hipError_tPvRmT1_PNSt15iterator_traitsISY_E10value_typeET2_T3_PNSZ_IS14_E10value_typeET4_jRbjT5_S1A_jjP12ihipStream_tbEUljE_EEESV_SW_SX_S14_S18_S1A_T6_T7_T9_mT8_S1C_bDpT10_ENKUlT_T0_E_clISt17integral_constantIbLb0EES1O_IbLb1EEEEDaS1K_S1L_EUlS1K_E_NS1_11comp_targetILNS1_3genE5ELNS1_11target_archE942ELNS1_3gpuE9ELNS1_3repE0EEENS1_30default_config_static_selectorELNS0_4arch9wavefront6targetE0EEEvSY_
	.p2align	8
	.type	_ZN7rocprim17ROCPRIM_400000_NS6detail17trampoline_kernelINS0_13select_configILj256ELj13ELNS0_17block_load_methodE3ELS4_3ELS4_3ELNS0_20block_scan_algorithmE0ELj4294967295EEENS1_25partition_config_selectorILNS1_17partition_subalgoE3EjNS0_10empty_typeEbEEZZNS1_14partition_implILS8_3ELb0ES6_jNS0_17counting_iteratorIjlEEPS9_SE_NS0_5tupleIJPjSE_EEENSF_IJSE_SE_EEES9_SG_JZNS1_25segmented_radix_sort_implINS0_14default_configELb1EPKsPsPKlPlN2at6native12_GLOBAL__N_18offset_tEEE10hipError_tPvRmT1_PNSt15iterator_traitsISY_E10value_typeET2_T3_PNSZ_IS14_E10value_typeET4_jRbjT5_S1A_jjP12ihipStream_tbEUljE_EEESV_SW_SX_S14_S18_S1A_T6_T7_T9_mT8_S1C_bDpT10_ENKUlT_T0_E_clISt17integral_constantIbLb0EES1O_IbLb1EEEEDaS1K_S1L_EUlS1K_E_NS1_11comp_targetILNS1_3genE5ELNS1_11target_archE942ELNS1_3gpuE9ELNS1_3repE0EEENS1_30default_config_static_selectorELNS0_4arch9wavefront6targetE0EEEvSY_,@function
_ZN7rocprim17ROCPRIM_400000_NS6detail17trampoline_kernelINS0_13select_configILj256ELj13ELNS0_17block_load_methodE3ELS4_3ELS4_3ELNS0_20block_scan_algorithmE0ELj4294967295EEENS1_25partition_config_selectorILNS1_17partition_subalgoE3EjNS0_10empty_typeEbEEZZNS1_14partition_implILS8_3ELb0ES6_jNS0_17counting_iteratorIjlEEPS9_SE_NS0_5tupleIJPjSE_EEENSF_IJSE_SE_EEES9_SG_JZNS1_25segmented_radix_sort_implINS0_14default_configELb1EPKsPsPKlPlN2at6native12_GLOBAL__N_18offset_tEEE10hipError_tPvRmT1_PNSt15iterator_traitsISY_E10value_typeET2_T3_PNSZ_IS14_E10value_typeET4_jRbjT5_S1A_jjP12ihipStream_tbEUljE_EEESV_SW_SX_S14_S18_S1A_T6_T7_T9_mT8_S1C_bDpT10_ENKUlT_T0_E_clISt17integral_constantIbLb0EES1O_IbLb1EEEEDaS1K_S1L_EUlS1K_E_NS1_11comp_targetILNS1_3genE5ELNS1_11target_archE942ELNS1_3gpuE9ELNS1_3repE0EEENS1_30default_config_static_selectorELNS0_4arch9wavefront6targetE0EEEvSY_: ; @_ZN7rocprim17ROCPRIM_400000_NS6detail17trampoline_kernelINS0_13select_configILj256ELj13ELNS0_17block_load_methodE3ELS4_3ELS4_3ELNS0_20block_scan_algorithmE0ELj4294967295EEENS1_25partition_config_selectorILNS1_17partition_subalgoE3EjNS0_10empty_typeEbEEZZNS1_14partition_implILS8_3ELb0ES6_jNS0_17counting_iteratorIjlEEPS9_SE_NS0_5tupleIJPjSE_EEENSF_IJSE_SE_EEES9_SG_JZNS1_25segmented_radix_sort_implINS0_14default_configELb1EPKsPsPKlPlN2at6native12_GLOBAL__N_18offset_tEEE10hipError_tPvRmT1_PNSt15iterator_traitsISY_E10value_typeET2_T3_PNSZ_IS14_E10value_typeET4_jRbjT5_S1A_jjP12ihipStream_tbEUljE_EEESV_SW_SX_S14_S18_S1A_T6_T7_T9_mT8_S1C_bDpT10_ENKUlT_T0_E_clISt17integral_constantIbLb0EES1O_IbLb1EEEEDaS1K_S1L_EUlS1K_E_NS1_11comp_targetILNS1_3genE5ELNS1_11target_archE942ELNS1_3gpuE9ELNS1_3repE0EEENS1_30default_config_static_selectorELNS0_4arch9wavefront6targetE0EEEvSY_
; %bb.0:
	.section	.rodata,"a",@progbits
	.p2align	6, 0x0
	.amdhsa_kernel _ZN7rocprim17ROCPRIM_400000_NS6detail17trampoline_kernelINS0_13select_configILj256ELj13ELNS0_17block_load_methodE3ELS4_3ELS4_3ELNS0_20block_scan_algorithmE0ELj4294967295EEENS1_25partition_config_selectorILNS1_17partition_subalgoE3EjNS0_10empty_typeEbEEZZNS1_14partition_implILS8_3ELb0ES6_jNS0_17counting_iteratorIjlEEPS9_SE_NS0_5tupleIJPjSE_EEENSF_IJSE_SE_EEES9_SG_JZNS1_25segmented_radix_sort_implINS0_14default_configELb1EPKsPsPKlPlN2at6native12_GLOBAL__N_18offset_tEEE10hipError_tPvRmT1_PNSt15iterator_traitsISY_E10value_typeET2_T3_PNSZ_IS14_E10value_typeET4_jRbjT5_S1A_jjP12ihipStream_tbEUljE_EEESV_SW_SX_S14_S18_S1A_T6_T7_T9_mT8_S1C_bDpT10_ENKUlT_T0_E_clISt17integral_constantIbLb0EES1O_IbLb1EEEEDaS1K_S1L_EUlS1K_E_NS1_11comp_targetILNS1_3genE5ELNS1_11target_archE942ELNS1_3gpuE9ELNS1_3repE0EEENS1_30default_config_static_selectorELNS0_4arch9wavefront6targetE0EEEvSY_
		.amdhsa_group_segment_fixed_size 0
		.amdhsa_private_segment_fixed_size 0
		.amdhsa_kernarg_size 152
		.amdhsa_user_sgpr_count 15
		.amdhsa_user_sgpr_dispatch_ptr 0
		.amdhsa_user_sgpr_queue_ptr 0
		.amdhsa_user_sgpr_kernarg_segment_ptr 1
		.amdhsa_user_sgpr_dispatch_id 0
		.amdhsa_user_sgpr_private_segment_size 0
		.amdhsa_wavefront_size32 1
		.amdhsa_uses_dynamic_stack 0
		.amdhsa_enable_private_segment 0
		.amdhsa_system_sgpr_workgroup_id_x 1
		.amdhsa_system_sgpr_workgroup_id_y 0
		.amdhsa_system_sgpr_workgroup_id_z 0
		.amdhsa_system_sgpr_workgroup_info 0
		.amdhsa_system_vgpr_workitem_id 0
		.amdhsa_next_free_vgpr 1
		.amdhsa_next_free_sgpr 1
		.amdhsa_reserve_vcc 0
		.amdhsa_float_round_mode_32 0
		.amdhsa_float_round_mode_16_64 0
		.amdhsa_float_denorm_mode_32 3
		.amdhsa_float_denorm_mode_16_64 3
		.amdhsa_dx10_clamp 1
		.amdhsa_ieee_mode 1
		.amdhsa_fp16_overflow 0
		.amdhsa_workgroup_processor_mode 1
		.amdhsa_memory_ordered 1
		.amdhsa_forward_progress 0
		.amdhsa_shared_vgpr_count 0
		.amdhsa_exception_fp_ieee_invalid_op 0
		.amdhsa_exception_fp_denorm_src 0
		.amdhsa_exception_fp_ieee_div_zero 0
		.amdhsa_exception_fp_ieee_overflow 0
		.amdhsa_exception_fp_ieee_underflow 0
		.amdhsa_exception_fp_ieee_inexact 0
		.amdhsa_exception_int_div_zero 0
	.end_amdhsa_kernel
	.section	.text._ZN7rocprim17ROCPRIM_400000_NS6detail17trampoline_kernelINS0_13select_configILj256ELj13ELNS0_17block_load_methodE3ELS4_3ELS4_3ELNS0_20block_scan_algorithmE0ELj4294967295EEENS1_25partition_config_selectorILNS1_17partition_subalgoE3EjNS0_10empty_typeEbEEZZNS1_14partition_implILS8_3ELb0ES6_jNS0_17counting_iteratorIjlEEPS9_SE_NS0_5tupleIJPjSE_EEENSF_IJSE_SE_EEES9_SG_JZNS1_25segmented_radix_sort_implINS0_14default_configELb1EPKsPsPKlPlN2at6native12_GLOBAL__N_18offset_tEEE10hipError_tPvRmT1_PNSt15iterator_traitsISY_E10value_typeET2_T3_PNSZ_IS14_E10value_typeET4_jRbjT5_S1A_jjP12ihipStream_tbEUljE_EEESV_SW_SX_S14_S18_S1A_T6_T7_T9_mT8_S1C_bDpT10_ENKUlT_T0_E_clISt17integral_constantIbLb0EES1O_IbLb1EEEEDaS1K_S1L_EUlS1K_E_NS1_11comp_targetILNS1_3genE5ELNS1_11target_archE942ELNS1_3gpuE9ELNS1_3repE0EEENS1_30default_config_static_selectorELNS0_4arch9wavefront6targetE0EEEvSY_,"axG",@progbits,_ZN7rocprim17ROCPRIM_400000_NS6detail17trampoline_kernelINS0_13select_configILj256ELj13ELNS0_17block_load_methodE3ELS4_3ELS4_3ELNS0_20block_scan_algorithmE0ELj4294967295EEENS1_25partition_config_selectorILNS1_17partition_subalgoE3EjNS0_10empty_typeEbEEZZNS1_14partition_implILS8_3ELb0ES6_jNS0_17counting_iteratorIjlEEPS9_SE_NS0_5tupleIJPjSE_EEENSF_IJSE_SE_EEES9_SG_JZNS1_25segmented_radix_sort_implINS0_14default_configELb1EPKsPsPKlPlN2at6native12_GLOBAL__N_18offset_tEEE10hipError_tPvRmT1_PNSt15iterator_traitsISY_E10value_typeET2_T3_PNSZ_IS14_E10value_typeET4_jRbjT5_S1A_jjP12ihipStream_tbEUljE_EEESV_SW_SX_S14_S18_S1A_T6_T7_T9_mT8_S1C_bDpT10_ENKUlT_T0_E_clISt17integral_constantIbLb0EES1O_IbLb1EEEEDaS1K_S1L_EUlS1K_E_NS1_11comp_targetILNS1_3genE5ELNS1_11target_archE942ELNS1_3gpuE9ELNS1_3repE0EEENS1_30default_config_static_selectorELNS0_4arch9wavefront6targetE0EEEvSY_,comdat
.Lfunc_end904:
	.size	_ZN7rocprim17ROCPRIM_400000_NS6detail17trampoline_kernelINS0_13select_configILj256ELj13ELNS0_17block_load_methodE3ELS4_3ELS4_3ELNS0_20block_scan_algorithmE0ELj4294967295EEENS1_25partition_config_selectorILNS1_17partition_subalgoE3EjNS0_10empty_typeEbEEZZNS1_14partition_implILS8_3ELb0ES6_jNS0_17counting_iteratorIjlEEPS9_SE_NS0_5tupleIJPjSE_EEENSF_IJSE_SE_EEES9_SG_JZNS1_25segmented_radix_sort_implINS0_14default_configELb1EPKsPsPKlPlN2at6native12_GLOBAL__N_18offset_tEEE10hipError_tPvRmT1_PNSt15iterator_traitsISY_E10value_typeET2_T3_PNSZ_IS14_E10value_typeET4_jRbjT5_S1A_jjP12ihipStream_tbEUljE_EEESV_SW_SX_S14_S18_S1A_T6_T7_T9_mT8_S1C_bDpT10_ENKUlT_T0_E_clISt17integral_constantIbLb0EES1O_IbLb1EEEEDaS1K_S1L_EUlS1K_E_NS1_11comp_targetILNS1_3genE5ELNS1_11target_archE942ELNS1_3gpuE9ELNS1_3repE0EEENS1_30default_config_static_selectorELNS0_4arch9wavefront6targetE0EEEvSY_, .Lfunc_end904-_ZN7rocprim17ROCPRIM_400000_NS6detail17trampoline_kernelINS0_13select_configILj256ELj13ELNS0_17block_load_methodE3ELS4_3ELS4_3ELNS0_20block_scan_algorithmE0ELj4294967295EEENS1_25partition_config_selectorILNS1_17partition_subalgoE3EjNS0_10empty_typeEbEEZZNS1_14partition_implILS8_3ELb0ES6_jNS0_17counting_iteratorIjlEEPS9_SE_NS0_5tupleIJPjSE_EEENSF_IJSE_SE_EEES9_SG_JZNS1_25segmented_radix_sort_implINS0_14default_configELb1EPKsPsPKlPlN2at6native12_GLOBAL__N_18offset_tEEE10hipError_tPvRmT1_PNSt15iterator_traitsISY_E10value_typeET2_T3_PNSZ_IS14_E10value_typeET4_jRbjT5_S1A_jjP12ihipStream_tbEUljE_EEESV_SW_SX_S14_S18_S1A_T6_T7_T9_mT8_S1C_bDpT10_ENKUlT_T0_E_clISt17integral_constantIbLb0EES1O_IbLb1EEEEDaS1K_S1L_EUlS1K_E_NS1_11comp_targetILNS1_3genE5ELNS1_11target_archE942ELNS1_3gpuE9ELNS1_3repE0EEENS1_30default_config_static_selectorELNS0_4arch9wavefront6targetE0EEEvSY_
                                        ; -- End function
	.section	.AMDGPU.csdata,"",@progbits
; Kernel info:
; codeLenInByte = 0
; NumSgprs: 0
; NumVgprs: 0
; ScratchSize: 0
; MemoryBound: 0
; FloatMode: 240
; IeeeMode: 1
; LDSByteSize: 0 bytes/workgroup (compile time only)
; SGPRBlocks: 0
; VGPRBlocks: 0
; NumSGPRsForWavesPerEU: 1
; NumVGPRsForWavesPerEU: 1
; Occupancy: 16
; WaveLimiterHint : 0
; COMPUTE_PGM_RSRC2:SCRATCH_EN: 0
; COMPUTE_PGM_RSRC2:USER_SGPR: 15
; COMPUTE_PGM_RSRC2:TRAP_HANDLER: 0
; COMPUTE_PGM_RSRC2:TGID_X_EN: 1
; COMPUTE_PGM_RSRC2:TGID_Y_EN: 0
; COMPUTE_PGM_RSRC2:TGID_Z_EN: 0
; COMPUTE_PGM_RSRC2:TIDIG_COMP_CNT: 0
	.section	.text._ZN7rocprim17ROCPRIM_400000_NS6detail17trampoline_kernelINS0_13select_configILj256ELj13ELNS0_17block_load_methodE3ELS4_3ELS4_3ELNS0_20block_scan_algorithmE0ELj4294967295EEENS1_25partition_config_selectorILNS1_17partition_subalgoE3EjNS0_10empty_typeEbEEZZNS1_14partition_implILS8_3ELb0ES6_jNS0_17counting_iteratorIjlEEPS9_SE_NS0_5tupleIJPjSE_EEENSF_IJSE_SE_EEES9_SG_JZNS1_25segmented_radix_sort_implINS0_14default_configELb1EPKsPsPKlPlN2at6native12_GLOBAL__N_18offset_tEEE10hipError_tPvRmT1_PNSt15iterator_traitsISY_E10value_typeET2_T3_PNSZ_IS14_E10value_typeET4_jRbjT5_S1A_jjP12ihipStream_tbEUljE_EEESV_SW_SX_S14_S18_S1A_T6_T7_T9_mT8_S1C_bDpT10_ENKUlT_T0_E_clISt17integral_constantIbLb0EES1O_IbLb1EEEEDaS1K_S1L_EUlS1K_E_NS1_11comp_targetILNS1_3genE4ELNS1_11target_archE910ELNS1_3gpuE8ELNS1_3repE0EEENS1_30default_config_static_selectorELNS0_4arch9wavefront6targetE0EEEvSY_,"axG",@progbits,_ZN7rocprim17ROCPRIM_400000_NS6detail17trampoline_kernelINS0_13select_configILj256ELj13ELNS0_17block_load_methodE3ELS4_3ELS4_3ELNS0_20block_scan_algorithmE0ELj4294967295EEENS1_25partition_config_selectorILNS1_17partition_subalgoE3EjNS0_10empty_typeEbEEZZNS1_14partition_implILS8_3ELb0ES6_jNS0_17counting_iteratorIjlEEPS9_SE_NS0_5tupleIJPjSE_EEENSF_IJSE_SE_EEES9_SG_JZNS1_25segmented_radix_sort_implINS0_14default_configELb1EPKsPsPKlPlN2at6native12_GLOBAL__N_18offset_tEEE10hipError_tPvRmT1_PNSt15iterator_traitsISY_E10value_typeET2_T3_PNSZ_IS14_E10value_typeET4_jRbjT5_S1A_jjP12ihipStream_tbEUljE_EEESV_SW_SX_S14_S18_S1A_T6_T7_T9_mT8_S1C_bDpT10_ENKUlT_T0_E_clISt17integral_constantIbLb0EES1O_IbLb1EEEEDaS1K_S1L_EUlS1K_E_NS1_11comp_targetILNS1_3genE4ELNS1_11target_archE910ELNS1_3gpuE8ELNS1_3repE0EEENS1_30default_config_static_selectorELNS0_4arch9wavefront6targetE0EEEvSY_,comdat
	.globl	_ZN7rocprim17ROCPRIM_400000_NS6detail17trampoline_kernelINS0_13select_configILj256ELj13ELNS0_17block_load_methodE3ELS4_3ELS4_3ELNS0_20block_scan_algorithmE0ELj4294967295EEENS1_25partition_config_selectorILNS1_17partition_subalgoE3EjNS0_10empty_typeEbEEZZNS1_14partition_implILS8_3ELb0ES6_jNS0_17counting_iteratorIjlEEPS9_SE_NS0_5tupleIJPjSE_EEENSF_IJSE_SE_EEES9_SG_JZNS1_25segmented_radix_sort_implINS0_14default_configELb1EPKsPsPKlPlN2at6native12_GLOBAL__N_18offset_tEEE10hipError_tPvRmT1_PNSt15iterator_traitsISY_E10value_typeET2_T3_PNSZ_IS14_E10value_typeET4_jRbjT5_S1A_jjP12ihipStream_tbEUljE_EEESV_SW_SX_S14_S18_S1A_T6_T7_T9_mT8_S1C_bDpT10_ENKUlT_T0_E_clISt17integral_constantIbLb0EES1O_IbLb1EEEEDaS1K_S1L_EUlS1K_E_NS1_11comp_targetILNS1_3genE4ELNS1_11target_archE910ELNS1_3gpuE8ELNS1_3repE0EEENS1_30default_config_static_selectorELNS0_4arch9wavefront6targetE0EEEvSY_ ; -- Begin function _ZN7rocprim17ROCPRIM_400000_NS6detail17trampoline_kernelINS0_13select_configILj256ELj13ELNS0_17block_load_methodE3ELS4_3ELS4_3ELNS0_20block_scan_algorithmE0ELj4294967295EEENS1_25partition_config_selectorILNS1_17partition_subalgoE3EjNS0_10empty_typeEbEEZZNS1_14partition_implILS8_3ELb0ES6_jNS0_17counting_iteratorIjlEEPS9_SE_NS0_5tupleIJPjSE_EEENSF_IJSE_SE_EEES9_SG_JZNS1_25segmented_radix_sort_implINS0_14default_configELb1EPKsPsPKlPlN2at6native12_GLOBAL__N_18offset_tEEE10hipError_tPvRmT1_PNSt15iterator_traitsISY_E10value_typeET2_T3_PNSZ_IS14_E10value_typeET4_jRbjT5_S1A_jjP12ihipStream_tbEUljE_EEESV_SW_SX_S14_S18_S1A_T6_T7_T9_mT8_S1C_bDpT10_ENKUlT_T0_E_clISt17integral_constantIbLb0EES1O_IbLb1EEEEDaS1K_S1L_EUlS1K_E_NS1_11comp_targetILNS1_3genE4ELNS1_11target_archE910ELNS1_3gpuE8ELNS1_3repE0EEENS1_30default_config_static_selectorELNS0_4arch9wavefront6targetE0EEEvSY_
	.p2align	8
	.type	_ZN7rocprim17ROCPRIM_400000_NS6detail17trampoline_kernelINS0_13select_configILj256ELj13ELNS0_17block_load_methodE3ELS4_3ELS4_3ELNS0_20block_scan_algorithmE0ELj4294967295EEENS1_25partition_config_selectorILNS1_17partition_subalgoE3EjNS0_10empty_typeEbEEZZNS1_14partition_implILS8_3ELb0ES6_jNS0_17counting_iteratorIjlEEPS9_SE_NS0_5tupleIJPjSE_EEENSF_IJSE_SE_EEES9_SG_JZNS1_25segmented_radix_sort_implINS0_14default_configELb1EPKsPsPKlPlN2at6native12_GLOBAL__N_18offset_tEEE10hipError_tPvRmT1_PNSt15iterator_traitsISY_E10value_typeET2_T3_PNSZ_IS14_E10value_typeET4_jRbjT5_S1A_jjP12ihipStream_tbEUljE_EEESV_SW_SX_S14_S18_S1A_T6_T7_T9_mT8_S1C_bDpT10_ENKUlT_T0_E_clISt17integral_constantIbLb0EES1O_IbLb1EEEEDaS1K_S1L_EUlS1K_E_NS1_11comp_targetILNS1_3genE4ELNS1_11target_archE910ELNS1_3gpuE8ELNS1_3repE0EEENS1_30default_config_static_selectorELNS0_4arch9wavefront6targetE0EEEvSY_,@function
_ZN7rocprim17ROCPRIM_400000_NS6detail17trampoline_kernelINS0_13select_configILj256ELj13ELNS0_17block_load_methodE3ELS4_3ELS4_3ELNS0_20block_scan_algorithmE0ELj4294967295EEENS1_25partition_config_selectorILNS1_17partition_subalgoE3EjNS0_10empty_typeEbEEZZNS1_14partition_implILS8_3ELb0ES6_jNS0_17counting_iteratorIjlEEPS9_SE_NS0_5tupleIJPjSE_EEENSF_IJSE_SE_EEES9_SG_JZNS1_25segmented_radix_sort_implINS0_14default_configELb1EPKsPsPKlPlN2at6native12_GLOBAL__N_18offset_tEEE10hipError_tPvRmT1_PNSt15iterator_traitsISY_E10value_typeET2_T3_PNSZ_IS14_E10value_typeET4_jRbjT5_S1A_jjP12ihipStream_tbEUljE_EEESV_SW_SX_S14_S18_S1A_T6_T7_T9_mT8_S1C_bDpT10_ENKUlT_T0_E_clISt17integral_constantIbLb0EES1O_IbLb1EEEEDaS1K_S1L_EUlS1K_E_NS1_11comp_targetILNS1_3genE4ELNS1_11target_archE910ELNS1_3gpuE8ELNS1_3repE0EEENS1_30default_config_static_selectorELNS0_4arch9wavefront6targetE0EEEvSY_: ; @_ZN7rocprim17ROCPRIM_400000_NS6detail17trampoline_kernelINS0_13select_configILj256ELj13ELNS0_17block_load_methodE3ELS4_3ELS4_3ELNS0_20block_scan_algorithmE0ELj4294967295EEENS1_25partition_config_selectorILNS1_17partition_subalgoE3EjNS0_10empty_typeEbEEZZNS1_14partition_implILS8_3ELb0ES6_jNS0_17counting_iteratorIjlEEPS9_SE_NS0_5tupleIJPjSE_EEENSF_IJSE_SE_EEES9_SG_JZNS1_25segmented_radix_sort_implINS0_14default_configELb1EPKsPsPKlPlN2at6native12_GLOBAL__N_18offset_tEEE10hipError_tPvRmT1_PNSt15iterator_traitsISY_E10value_typeET2_T3_PNSZ_IS14_E10value_typeET4_jRbjT5_S1A_jjP12ihipStream_tbEUljE_EEESV_SW_SX_S14_S18_S1A_T6_T7_T9_mT8_S1C_bDpT10_ENKUlT_T0_E_clISt17integral_constantIbLb0EES1O_IbLb1EEEEDaS1K_S1L_EUlS1K_E_NS1_11comp_targetILNS1_3genE4ELNS1_11target_archE910ELNS1_3gpuE8ELNS1_3repE0EEENS1_30default_config_static_selectorELNS0_4arch9wavefront6targetE0EEEvSY_
; %bb.0:
	.section	.rodata,"a",@progbits
	.p2align	6, 0x0
	.amdhsa_kernel _ZN7rocprim17ROCPRIM_400000_NS6detail17trampoline_kernelINS0_13select_configILj256ELj13ELNS0_17block_load_methodE3ELS4_3ELS4_3ELNS0_20block_scan_algorithmE0ELj4294967295EEENS1_25partition_config_selectorILNS1_17partition_subalgoE3EjNS0_10empty_typeEbEEZZNS1_14partition_implILS8_3ELb0ES6_jNS0_17counting_iteratorIjlEEPS9_SE_NS0_5tupleIJPjSE_EEENSF_IJSE_SE_EEES9_SG_JZNS1_25segmented_radix_sort_implINS0_14default_configELb1EPKsPsPKlPlN2at6native12_GLOBAL__N_18offset_tEEE10hipError_tPvRmT1_PNSt15iterator_traitsISY_E10value_typeET2_T3_PNSZ_IS14_E10value_typeET4_jRbjT5_S1A_jjP12ihipStream_tbEUljE_EEESV_SW_SX_S14_S18_S1A_T6_T7_T9_mT8_S1C_bDpT10_ENKUlT_T0_E_clISt17integral_constantIbLb0EES1O_IbLb1EEEEDaS1K_S1L_EUlS1K_E_NS1_11comp_targetILNS1_3genE4ELNS1_11target_archE910ELNS1_3gpuE8ELNS1_3repE0EEENS1_30default_config_static_selectorELNS0_4arch9wavefront6targetE0EEEvSY_
		.amdhsa_group_segment_fixed_size 0
		.amdhsa_private_segment_fixed_size 0
		.amdhsa_kernarg_size 152
		.amdhsa_user_sgpr_count 15
		.amdhsa_user_sgpr_dispatch_ptr 0
		.amdhsa_user_sgpr_queue_ptr 0
		.amdhsa_user_sgpr_kernarg_segment_ptr 1
		.amdhsa_user_sgpr_dispatch_id 0
		.amdhsa_user_sgpr_private_segment_size 0
		.amdhsa_wavefront_size32 1
		.amdhsa_uses_dynamic_stack 0
		.amdhsa_enable_private_segment 0
		.amdhsa_system_sgpr_workgroup_id_x 1
		.amdhsa_system_sgpr_workgroup_id_y 0
		.amdhsa_system_sgpr_workgroup_id_z 0
		.amdhsa_system_sgpr_workgroup_info 0
		.amdhsa_system_vgpr_workitem_id 0
		.amdhsa_next_free_vgpr 1
		.amdhsa_next_free_sgpr 1
		.amdhsa_reserve_vcc 0
		.amdhsa_float_round_mode_32 0
		.amdhsa_float_round_mode_16_64 0
		.amdhsa_float_denorm_mode_32 3
		.amdhsa_float_denorm_mode_16_64 3
		.amdhsa_dx10_clamp 1
		.amdhsa_ieee_mode 1
		.amdhsa_fp16_overflow 0
		.amdhsa_workgroup_processor_mode 1
		.amdhsa_memory_ordered 1
		.amdhsa_forward_progress 0
		.amdhsa_shared_vgpr_count 0
		.amdhsa_exception_fp_ieee_invalid_op 0
		.amdhsa_exception_fp_denorm_src 0
		.amdhsa_exception_fp_ieee_div_zero 0
		.amdhsa_exception_fp_ieee_overflow 0
		.amdhsa_exception_fp_ieee_underflow 0
		.amdhsa_exception_fp_ieee_inexact 0
		.amdhsa_exception_int_div_zero 0
	.end_amdhsa_kernel
	.section	.text._ZN7rocprim17ROCPRIM_400000_NS6detail17trampoline_kernelINS0_13select_configILj256ELj13ELNS0_17block_load_methodE3ELS4_3ELS4_3ELNS0_20block_scan_algorithmE0ELj4294967295EEENS1_25partition_config_selectorILNS1_17partition_subalgoE3EjNS0_10empty_typeEbEEZZNS1_14partition_implILS8_3ELb0ES6_jNS0_17counting_iteratorIjlEEPS9_SE_NS0_5tupleIJPjSE_EEENSF_IJSE_SE_EEES9_SG_JZNS1_25segmented_radix_sort_implINS0_14default_configELb1EPKsPsPKlPlN2at6native12_GLOBAL__N_18offset_tEEE10hipError_tPvRmT1_PNSt15iterator_traitsISY_E10value_typeET2_T3_PNSZ_IS14_E10value_typeET4_jRbjT5_S1A_jjP12ihipStream_tbEUljE_EEESV_SW_SX_S14_S18_S1A_T6_T7_T9_mT8_S1C_bDpT10_ENKUlT_T0_E_clISt17integral_constantIbLb0EES1O_IbLb1EEEEDaS1K_S1L_EUlS1K_E_NS1_11comp_targetILNS1_3genE4ELNS1_11target_archE910ELNS1_3gpuE8ELNS1_3repE0EEENS1_30default_config_static_selectorELNS0_4arch9wavefront6targetE0EEEvSY_,"axG",@progbits,_ZN7rocprim17ROCPRIM_400000_NS6detail17trampoline_kernelINS0_13select_configILj256ELj13ELNS0_17block_load_methodE3ELS4_3ELS4_3ELNS0_20block_scan_algorithmE0ELj4294967295EEENS1_25partition_config_selectorILNS1_17partition_subalgoE3EjNS0_10empty_typeEbEEZZNS1_14partition_implILS8_3ELb0ES6_jNS0_17counting_iteratorIjlEEPS9_SE_NS0_5tupleIJPjSE_EEENSF_IJSE_SE_EEES9_SG_JZNS1_25segmented_radix_sort_implINS0_14default_configELb1EPKsPsPKlPlN2at6native12_GLOBAL__N_18offset_tEEE10hipError_tPvRmT1_PNSt15iterator_traitsISY_E10value_typeET2_T3_PNSZ_IS14_E10value_typeET4_jRbjT5_S1A_jjP12ihipStream_tbEUljE_EEESV_SW_SX_S14_S18_S1A_T6_T7_T9_mT8_S1C_bDpT10_ENKUlT_T0_E_clISt17integral_constantIbLb0EES1O_IbLb1EEEEDaS1K_S1L_EUlS1K_E_NS1_11comp_targetILNS1_3genE4ELNS1_11target_archE910ELNS1_3gpuE8ELNS1_3repE0EEENS1_30default_config_static_selectorELNS0_4arch9wavefront6targetE0EEEvSY_,comdat
.Lfunc_end905:
	.size	_ZN7rocprim17ROCPRIM_400000_NS6detail17trampoline_kernelINS0_13select_configILj256ELj13ELNS0_17block_load_methodE3ELS4_3ELS4_3ELNS0_20block_scan_algorithmE0ELj4294967295EEENS1_25partition_config_selectorILNS1_17partition_subalgoE3EjNS0_10empty_typeEbEEZZNS1_14partition_implILS8_3ELb0ES6_jNS0_17counting_iteratorIjlEEPS9_SE_NS0_5tupleIJPjSE_EEENSF_IJSE_SE_EEES9_SG_JZNS1_25segmented_radix_sort_implINS0_14default_configELb1EPKsPsPKlPlN2at6native12_GLOBAL__N_18offset_tEEE10hipError_tPvRmT1_PNSt15iterator_traitsISY_E10value_typeET2_T3_PNSZ_IS14_E10value_typeET4_jRbjT5_S1A_jjP12ihipStream_tbEUljE_EEESV_SW_SX_S14_S18_S1A_T6_T7_T9_mT8_S1C_bDpT10_ENKUlT_T0_E_clISt17integral_constantIbLb0EES1O_IbLb1EEEEDaS1K_S1L_EUlS1K_E_NS1_11comp_targetILNS1_3genE4ELNS1_11target_archE910ELNS1_3gpuE8ELNS1_3repE0EEENS1_30default_config_static_selectorELNS0_4arch9wavefront6targetE0EEEvSY_, .Lfunc_end905-_ZN7rocprim17ROCPRIM_400000_NS6detail17trampoline_kernelINS0_13select_configILj256ELj13ELNS0_17block_load_methodE3ELS4_3ELS4_3ELNS0_20block_scan_algorithmE0ELj4294967295EEENS1_25partition_config_selectorILNS1_17partition_subalgoE3EjNS0_10empty_typeEbEEZZNS1_14partition_implILS8_3ELb0ES6_jNS0_17counting_iteratorIjlEEPS9_SE_NS0_5tupleIJPjSE_EEENSF_IJSE_SE_EEES9_SG_JZNS1_25segmented_radix_sort_implINS0_14default_configELb1EPKsPsPKlPlN2at6native12_GLOBAL__N_18offset_tEEE10hipError_tPvRmT1_PNSt15iterator_traitsISY_E10value_typeET2_T3_PNSZ_IS14_E10value_typeET4_jRbjT5_S1A_jjP12ihipStream_tbEUljE_EEESV_SW_SX_S14_S18_S1A_T6_T7_T9_mT8_S1C_bDpT10_ENKUlT_T0_E_clISt17integral_constantIbLb0EES1O_IbLb1EEEEDaS1K_S1L_EUlS1K_E_NS1_11comp_targetILNS1_3genE4ELNS1_11target_archE910ELNS1_3gpuE8ELNS1_3repE0EEENS1_30default_config_static_selectorELNS0_4arch9wavefront6targetE0EEEvSY_
                                        ; -- End function
	.section	.AMDGPU.csdata,"",@progbits
; Kernel info:
; codeLenInByte = 0
; NumSgprs: 0
; NumVgprs: 0
; ScratchSize: 0
; MemoryBound: 0
; FloatMode: 240
; IeeeMode: 1
; LDSByteSize: 0 bytes/workgroup (compile time only)
; SGPRBlocks: 0
; VGPRBlocks: 0
; NumSGPRsForWavesPerEU: 1
; NumVGPRsForWavesPerEU: 1
; Occupancy: 16
; WaveLimiterHint : 0
; COMPUTE_PGM_RSRC2:SCRATCH_EN: 0
; COMPUTE_PGM_RSRC2:USER_SGPR: 15
; COMPUTE_PGM_RSRC2:TRAP_HANDLER: 0
; COMPUTE_PGM_RSRC2:TGID_X_EN: 1
; COMPUTE_PGM_RSRC2:TGID_Y_EN: 0
; COMPUTE_PGM_RSRC2:TGID_Z_EN: 0
; COMPUTE_PGM_RSRC2:TIDIG_COMP_CNT: 0
	.section	.text._ZN7rocprim17ROCPRIM_400000_NS6detail17trampoline_kernelINS0_13select_configILj256ELj13ELNS0_17block_load_methodE3ELS4_3ELS4_3ELNS0_20block_scan_algorithmE0ELj4294967295EEENS1_25partition_config_selectorILNS1_17partition_subalgoE3EjNS0_10empty_typeEbEEZZNS1_14partition_implILS8_3ELb0ES6_jNS0_17counting_iteratorIjlEEPS9_SE_NS0_5tupleIJPjSE_EEENSF_IJSE_SE_EEES9_SG_JZNS1_25segmented_radix_sort_implINS0_14default_configELb1EPKsPsPKlPlN2at6native12_GLOBAL__N_18offset_tEEE10hipError_tPvRmT1_PNSt15iterator_traitsISY_E10value_typeET2_T3_PNSZ_IS14_E10value_typeET4_jRbjT5_S1A_jjP12ihipStream_tbEUljE_EEESV_SW_SX_S14_S18_S1A_T6_T7_T9_mT8_S1C_bDpT10_ENKUlT_T0_E_clISt17integral_constantIbLb0EES1O_IbLb1EEEEDaS1K_S1L_EUlS1K_E_NS1_11comp_targetILNS1_3genE3ELNS1_11target_archE908ELNS1_3gpuE7ELNS1_3repE0EEENS1_30default_config_static_selectorELNS0_4arch9wavefront6targetE0EEEvSY_,"axG",@progbits,_ZN7rocprim17ROCPRIM_400000_NS6detail17trampoline_kernelINS0_13select_configILj256ELj13ELNS0_17block_load_methodE3ELS4_3ELS4_3ELNS0_20block_scan_algorithmE0ELj4294967295EEENS1_25partition_config_selectorILNS1_17partition_subalgoE3EjNS0_10empty_typeEbEEZZNS1_14partition_implILS8_3ELb0ES6_jNS0_17counting_iteratorIjlEEPS9_SE_NS0_5tupleIJPjSE_EEENSF_IJSE_SE_EEES9_SG_JZNS1_25segmented_radix_sort_implINS0_14default_configELb1EPKsPsPKlPlN2at6native12_GLOBAL__N_18offset_tEEE10hipError_tPvRmT1_PNSt15iterator_traitsISY_E10value_typeET2_T3_PNSZ_IS14_E10value_typeET4_jRbjT5_S1A_jjP12ihipStream_tbEUljE_EEESV_SW_SX_S14_S18_S1A_T6_T7_T9_mT8_S1C_bDpT10_ENKUlT_T0_E_clISt17integral_constantIbLb0EES1O_IbLb1EEEEDaS1K_S1L_EUlS1K_E_NS1_11comp_targetILNS1_3genE3ELNS1_11target_archE908ELNS1_3gpuE7ELNS1_3repE0EEENS1_30default_config_static_selectorELNS0_4arch9wavefront6targetE0EEEvSY_,comdat
	.globl	_ZN7rocprim17ROCPRIM_400000_NS6detail17trampoline_kernelINS0_13select_configILj256ELj13ELNS0_17block_load_methodE3ELS4_3ELS4_3ELNS0_20block_scan_algorithmE0ELj4294967295EEENS1_25partition_config_selectorILNS1_17partition_subalgoE3EjNS0_10empty_typeEbEEZZNS1_14partition_implILS8_3ELb0ES6_jNS0_17counting_iteratorIjlEEPS9_SE_NS0_5tupleIJPjSE_EEENSF_IJSE_SE_EEES9_SG_JZNS1_25segmented_radix_sort_implINS0_14default_configELb1EPKsPsPKlPlN2at6native12_GLOBAL__N_18offset_tEEE10hipError_tPvRmT1_PNSt15iterator_traitsISY_E10value_typeET2_T3_PNSZ_IS14_E10value_typeET4_jRbjT5_S1A_jjP12ihipStream_tbEUljE_EEESV_SW_SX_S14_S18_S1A_T6_T7_T9_mT8_S1C_bDpT10_ENKUlT_T0_E_clISt17integral_constantIbLb0EES1O_IbLb1EEEEDaS1K_S1L_EUlS1K_E_NS1_11comp_targetILNS1_3genE3ELNS1_11target_archE908ELNS1_3gpuE7ELNS1_3repE0EEENS1_30default_config_static_selectorELNS0_4arch9wavefront6targetE0EEEvSY_ ; -- Begin function _ZN7rocprim17ROCPRIM_400000_NS6detail17trampoline_kernelINS0_13select_configILj256ELj13ELNS0_17block_load_methodE3ELS4_3ELS4_3ELNS0_20block_scan_algorithmE0ELj4294967295EEENS1_25partition_config_selectorILNS1_17partition_subalgoE3EjNS0_10empty_typeEbEEZZNS1_14partition_implILS8_3ELb0ES6_jNS0_17counting_iteratorIjlEEPS9_SE_NS0_5tupleIJPjSE_EEENSF_IJSE_SE_EEES9_SG_JZNS1_25segmented_radix_sort_implINS0_14default_configELb1EPKsPsPKlPlN2at6native12_GLOBAL__N_18offset_tEEE10hipError_tPvRmT1_PNSt15iterator_traitsISY_E10value_typeET2_T3_PNSZ_IS14_E10value_typeET4_jRbjT5_S1A_jjP12ihipStream_tbEUljE_EEESV_SW_SX_S14_S18_S1A_T6_T7_T9_mT8_S1C_bDpT10_ENKUlT_T0_E_clISt17integral_constantIbLb0EES1O_IbLb1EEEEDaS1K_S1L_EUlS1K_E_NS1_11comp_targetILNS1_3genE3ELNS1_11target_archE908ELNS1_3gpuE7ELNS1_3repE0EEENS1_30default_config_static_selectorELNS0_4arch9wavefront6targetE0EEEvSY_
	.p2align	8
	.type	_ZN7rocprim17ROCPRIM_400000_NS6detail17trampoline_kernelINS0_13select_configILj256ELj13ELNS0_17block_load_methodE3ELS4_3ELS4_3ELNS0_20block_scan_algorithmE0ELj4294967295EEENS1_25partition_config_selectorILNS1_17partition_subalgoE3EjNS0_10empty_typeEbEEZZNS1_14partition_implILS8_3ELb0ES6_jNS0_17counting_iteratorIjlEEPS9_SE_NS0_5tupleIJPjSE_EEENSF_IJSE_SE_EEES9_SG_JZNS1_25segmented_radix_sort_implINS0_14default_configELb1EPKsPsPKlPlN2at6native12_GLOBAL__N_18offset_tEEE10hipError_tPvRmT1_PNSt15iterator_traitsISY_E10value_typeET2_T3_PNSZ_IS14_E10value_typeET4_jRbjT5_S1A_jjP12ihipStream_tbEUljE_EEESV_SW_SX_S14_S18_S1A_T6_T7_T9_mT8_S1C_bDpT10_ENKUlT_T0_E_clISt17integral_constantIbLb0EES1O_IbLb1EEEEDaS1K_S1L_EUlS1K_E_NS1_11comp_targetILNS1_3genE3ELNS1_11target_archE908ELNS1_3gpuE7ELNS1_3repE0EEENS1_30default_config_static_selectorELNS0_4arch9wavefront6targetE0EEEvSY_,@function
_ZN7rocprim17ROCPRIM_400000_NS6detail17trampoline_kernelINS0_13select_configILj256ELj13ELNS0_17block_load_methodE3ELS4_3ELS4_3ELNS0_20block_scan_algorithmE0ELj4294967295EEENS1_25partition_config_selectorILNS1_17partition_subalgoE3EjNS0_10empty_typeEbEEZZNS1_14partition_implILS8_3ELb0ES6_jNS0_17counting_iteratorIjlEEPS9_SE_NS0_5tupleIJPjSE_EEENSF_IJSE_SE_EEES9_SG_JZNS1_25segmented_radix_sort_implINS0_14default_configELb1EPKsPsPKlPlN2at6native12_GLOBAL__N_18offset_tEEE10hipError_tPvRmT1_PNSt15iterator_traitsISY_E10value_typeET2_T3_PNSZ_IS14_E10value_typeET4_jRbjT5_S1A_jjP12ihipStream_tbEUljE_EEESV_SW_SX_S14_S18_S1A_T6_T7_T9_mT8_S1C_bDpT10_ENKUlT_T0_E_clISt17integral_constantIbLb0EES1O_IbLb1EEEEDaS1K_S1L_EUlS1K_E_NS1_11comp_targetILNS1_3genE3ELNS1_11target_archE908ELNS1_3gpuE7ELNS1_3repE0EEENS1_30default_config_static_selectorELNS0_4arch9wavefront6targetE0EEEvSY_: ; @_ZN7rocprim17ROCPRIM_400000_NS6detail17trampoline_kernelINS0_13select_configILj256ELj13ELNS0_17block_load_methodE3ELS4_3ELS4_3ELNS0_20block_scan_algorithmE0ELj4294967295EEENS1_25partition_config_selectorILNS1_17partition_subalgoE3EjNS0_10empty_typeEbEEZZNS1_14partition_implILS8_3ELb0ES6_jNS0_17counting_iteratorIjlEEPS9_SE_NS0_5tupleIJPjSE_EEENSF_IJSE_SE_EEES9_SG_JZNS1_25segmented_radix_sort_implINS0_14default_configELb1EPKsPsPKlPlN2at6native12_GLOBAL__N_18offset_tEEE10hipError_tPvRmT1_PNSt15iterator_traitsISY_E10value_typeET2_T3_PNSZ_IS14_E10value_typeET4_jRbjT5_S1A_jjP12ihipStream_tbEUljE_EEESV_SW_SX_S14_S18_S1A_T6_T7_T9_mT8_S1C_bDpT10_ENKUlT_T0_E_clISt17integral_constantIbLb0EES1O_IbLb1EEEEDaS1K_S1L_EUlS1K_E_NS1_11comp_targetILNS1_3genE3ELNS1_11target_archE908ELNS1_3gpuE7ELNS1_3repE0EEENS1_30default_config_static_selectorELNS0_4arch9wavefront6targetE0EEEvSY_
; %bb.0:
	.section	.rodata,"a",@progbits
	.p2align	6, 0x0
	.amdhsa_kernel _ZN7rocprim17ROCPRIM_400000_NS6detail17trampoline_kernelINS0_13select_configILj256ELj13ELNS0_17block_load_methodE3ELS4_3ELS4_3ELNS0_20block_scan_algorithmE0ELj4294967295EEENS1_25partition_config_selectorILNS1_17partition_subalgoE3EjNS0_10empty_typeEbEEZZNS1_14partition_implILS8_3ELb0ES6_jNS0_17counting_iteratorIjlEEPS9_SE_NS0_5tupleIJPjSE_EEENSF_IJSE_SE_EEES9_SG_JZNS1_25segmented_radix_sort_implINS0_14default_configELb1EPKsPsPKlPlN2at6native12_GLOBAL__N_18offset_tEEE10hipError_tPvRmT1_PNSt15iterator_traitsISY_E10value_typeET2_T3_PNSZ_IS14_E10value_typeET4_jRbjT5_S1A_jjP12ihipStream_tbEUljE_EEESV_SW_SX_S14_S18_S1A_T6_T7_T9_mT8_S1C_bDpT10_ENKUlT_T0_E_clISt17integral_constantIbLb0EES1O_IbLb1EEEEDaS1K_S1L_EUlS1K_E_NS1_11comp_targetILNS1_3genE3ELNS1_11target_archE908ELNS1_3gpuE7ELNS1_3repE0EEENS1_30default_config_static_selectorELNS0_4arch9wavefront6targetE0EEEvSY_
		.amdhsa_group_segment_fixed_size 0
		.amdhsa_private_segment_fixed_size 0
		.amdhsa_kernarg_size 152
		.amdhsa_user_sgpr_count 15
		.amdhsa_user_sgpr_dispatch_ptr 0
		.amdhsa_user_sgpr_queue_ptr 0
		.amdhsa_user_sgpr_kernarg_segment_ptr 1
		.amdhsa_user_sgpr_dispatch_id 0
		.amdhsa_user_sgpr_private_segment_size 0
		.amdhsa_wavefront_size32 1
		.amdhsa_uses_dynamic_stack 0
		.amdhsa_enable_private_segment 0
		.amdhsa_system_sgpr_workgroup_id_x 1
		.amdhsa_system_sgpr_workgroup_id_y 0
		.amdhsa_system_sgpr_workgroup_id_z 0
		.amdhsa_system_sgpr_workgroup_info 0
		.amdhsa_system_vgpr_workitem_id 0
		.amdhsa_next_free_vgpr 1
		.amdhsa_next_free_sgpr 1
		.amdhsa_reserve_vcc 0
		.amdhsa_float_round_mode_32 0
		.amdhsa_float_round_mode_16_64 0
		.amdhsa_float_denorm_mode_32 3
		.amdhsa_float_denorm_mode_16_64 3
		.amdhsa_dx10_clamp 1
		.amdhsa_ieee_mode 1
		.amdhsa_fp16_overflow 0
		.amdhsa_workgroup_processor_mode 1
		.amdhsa_memory_ordered 1
		.amdhsa_forward_progress 0
		.amdhsa_shared_vgpr_count 0
		.amdhsa_exception_fp_ieee_invalid_op 0
		.amdhsa_exception_fp_denorm_src 0
		.amdhsa_exception_fp_ieee_div_zero 0
		.amdhsa_exception_fp_ieee_overflow 0
		.amdhsa_exception_fp_ieee_underflow 0
		.amdhsa_exception_fp_ieee_inexact 0
		.amdhsa_exception_int_div_zero 0
	.end_amdhsa_kernel
	.section	.text._ZN7rocprim17ROCPRIM_400000_NS6detail17trampoline_kernelINS0_13select_configILj256ELj13ELNS0_17block_load_methodE3ELS4_3ELS4_3ELNS0_20block_scan_algorithmE0ELj4294967295EEENS1_25partition_config_selectorILNS1_17partition_subalgoE3EjNS0_10empty_typeEbEEZZNS1_14partition_implILS8_3ELb0ES6_jNS0_17counting_iteratorIjlEEPS9_SE_NS0_5tupleIJPjSE_EEENSF_IJSE_SE_EEES9_SG_JZNS1_25segmented_radix_sort_implINS0_14default_configELb1EPKsPsPKlPlN2at6native12_GLOBAL__N_18offset_tEEE10hipError_tPvRmT1_PNSt15iterator_traitsISY_E10value_typeET2_T3_PNSZ_IS14_E10value_typeET4_jRbjT5_S1A_jjP12ihipStream_tbEUljE_EEESV_SW_SX_S14_S18_S1A_T6_T7_T9_mT8_S1C_bDpT10_ENKUlT_T0_E_clISt17integral_constantIbLb0EES1O_IbLb1EEEEDaS1K_S1L_EUlS1K_E_NS1_11comp_targetILNS1_3genE3ELNS1_11target_archE908ELNS1_3gpuE7ELNS1_3repE0EEENS1_30default_config_static_selectorELNS0_4arch9wavefront6targetE0EEEvSY_,"axG",@progbits,_ZN7rocprim17ROCPRIM_400000_NS6detail17trampoline_kernelINS0_13select_configILj256ELj13ELNS0_17block_load_methodE3ELS4_3ELS4_3ELNS0_20block_scan_algorithmE0ELj4294967295EEENS1_25partition_config_selectorILNS1_17partition_subalgoE3EjNS0_10empty_typeEbEEZZNS1_14partition_implILS8_3ELb0ES6_jNS0_17counting_iteratorIjlEEPS9_SE_NS0_5tupleIJPjSE_EEENSF_IJSE_SE_EEES9_SG_JZNS1_25segmented_radix_sort_implINS0_14default_configELb1EPKsPsPKlPlN2at6native12_GLOBAL__N_18offset_tEEE10hipError_tPvRmT1_PNSt15iterator_traitsISY_E10value_typeET2_T3_PNSZ_IS14_E10value_typeET4_jRbjT5_S1A_jjP12ihipStream_tbEUljE_EEESV_SW_SX_S14_S18_S1A_T6_T7_T9_mT8_S1C_bDpT10_ENKUlT_T0_E_clISt17integral_constantIbLb0EES1O_IbLb1EEEEDaS1K_S1L_EUlS1K_E_NS1_11comp_targetILNS1_3genE3ELNS1_11target_archE908ELNS1_3gpuE7ELNS1_3repE0EEENS1_30default_config_static_selectorELNS0_4arch9wavefront6targetE0EEEvSY_,comdat
.Lfunc_end906:
	.size	_ZN7rocprim17ROCPRIM_400000_NS6detail17trampoline_kernelINS0_13select_configILj256ELj13ELNS0_17block_load_methodE3ELS4_3ELS4_3ELNS0_20block_scan_algorithmE0ELj4294967295EEENS1_25partition_config_selectorILNS1_17partition_subalgoE3EjNS0_10empty_typeEbEEZZNS1_14partition_implILS8_3ELb0ES6_jNS0_17counting_iteratorIjlEEPS9_SE_NS0_5tupleIJPjSE_EEENSF_IJSE_SE_EEES9_SG_JZNS1_25segmented_radix_sort_implINS0_14default_configELb1EPKsPsPKlPlN2at6native12_GLOBAL__N_18offset_tEEE10hipError_tPvRmT1_PNSt15iterator_traitsISY_E10value_typeET2_T3_PNSZ_IS14_E10value_typeET4_jRbjT5_S1A_jjP12ihipStream_tbEUljE_EEESV_SW_SX_S14_S18_S1A_T6_T7_T9_mT8_S1C_bDpT10_ENKUlT_T0_E_clISt17integral_constantIbLb0EES1O_IbLb1EEEEDaS1K_S1L_EUlS1K_E_NS1_11comp_targetILNS1_3genE3ELNS1_11target_archE908ELNS1_3gpuE7ELNS1_3repE0EEENS1_30default_config_static_selectorELNS0_4arch9wavefront6targetE0EEEvSY_, .Lfunc_end906-_ZN7rocprim17ROCPRIM_400000_NS6detail17trampoline_kernelINS0_13select_configILj256ELj13ELNS0_17block_load_methodE3ELS4_3ELS4_3ELNS0_20block_scan_algorithmE0ELj4294967295EEENS1_25partition_config_selectorILNS1_17partition_subalgoE3EjNS0_10empty_typeEbEEZZNS1_14partition_implILS8_3ELb0ES6_jNS0_17counting_iteratorIjlEEPS9_SE_NS0_5tupleIJPjSE_EEENSF_IJSE_SE_EEES9_SG_JZNS1_25segmented_radix_sort_implINS0_14default_configELb1EPKsPsPKlPlN2at6native12_GLOBAL__N_18offset_tEEE10hipError_tPvRmT1_PNSt15iterator_traitsISY_E10value_typeET2_T3_PNSZ_IS14_E10value_typeET4_jRbjT5_S1A_jjP12ihipStream_tbEUljE_EEESV_SW_SX_S14_S18_S1A_T6_T7_T9_mT8_S1C_bDpT10_ENKUlT_T0_E_clISt17integral_constantIbLb0EES1O_IbLb1EEEEDaS1K_S1L_EUlS1K_E_NS1_11comp_targetILNS1_3genE3ELNS1_11target_archE908ELNS1_3gpuE7ELNS1_3repE0EEENS1_30default_config_static_selectorELNS0_4arch9wavefront6targetE0EEEvSY_
                                        ; -- End function
	.section	.AMDGPU.csdata,"",@progbits
; Kernel info:
; codeLenInByte = 0
; NumSgprs: 0
; NumVgprs: 0
; ScratchSize: 0
; MemoryBound: 0
; FloatMode: 240
; IeeeMode: 1
; LDSByteSize: 0 bytes/workgroup (compile time only)
; SGPRBlocks: 0
; VGPRBlocks: 0
; NumSGPRsForWavesPerEU: 1
; NumVGPRsForWavesPerEU: 1
; Occupancy: 16
; WaveLimiterHint : 0
; COMPUTE_PGM_RSRC2:SCRATCH_EN: 0
; COMPUTE_PGM_RSRC2:USER_SGPR: 15
; COMPUTE_PGM_RSRC2:TRAP_HANDLER: 0
; COMPUTE_PGM_RSRC2:TGID_X_EN: 1
; COMPUTE_PGM_RSRC2:TGID_Y_EN: 0
; COMPUTE_PGM_RSRC2:TGID_Z_EN: 0
; COMPUTE_PGM_RSRC2:TIDIG_COMP_CNT: 0
	.section	.text._ZN7rocprim17ROCPRIM_400000_NS6detail17trampoline_kernelINS0_13select_configILj256ELj13ELNS0_17block_load_methodE3ELS4_3ELS4_3ELNS0_20block_scan_algorithmE0ELj4294967295EEENS1_25partition_config_selectorILNS1_17partition_subalgoE3EjNS0_10empty_typeEbEEZZNS1_14partition_implILS8_3ELb0ES6_jNS0_17counting_iteratorIjlEEPS9_SE_NS0_5tupleIJPjSE_EEENSF_IJSE_SE_EEES9_SG_JZNS1_25segmented_radix_sort_implINS0_14default_configELb1EPKsPsPKlPlN2at6native12_GLOBAL__N_18offset_tEEE10hipError_tPvRmT1_PNSt15iterator_traitsISY_E10value_typeET2_T3_PNSZ_IS14_E10value_typeET4_jRbjT5_S1A_jjP12ihipStream_tbEUljE_EEESV_SW_SX_S14_S18_S1A_T6_T7_T9_mT8_S1C_bDpT10_ENKUlT_T0_E_clISt17integral_constantIbLb0EES1O_IbLb1EEEEDaS1K_S1L_EUlS1K_E_NS1_11comp_targetILNS1_3genE2ELNS1_11target_archE906ELNS1_3gpuE6ELNS1_3repE0EEENS1_30default_config_static_selectorELNS0_4arch9wavefront6targetE0EEEvSY_,"axG",@progbits,_ZN7rocprim17ROCPRIM_400000_NS6detail17trampoline_kernelINS0_13select_configILj256ELj13ELNS0_17block_load_methodE3ELS4_3ELS4_3ELNS0_20block_scan_algorithmE0ELj4294967295EEENS1_25partition_config_selectorILNS1_17partition_subalgoE3EjNS0_10empty_typeEbEEZZNS1_14partition_implILS8_3ELb0ES6_jNS0_17counting_iteratorIjlEEPS9_SE_NS0_5tupleIJPjSE_EEENSF_IJSE_SE_EEES9_SG_JZNS1_25segmented_radix_sort_implINS0_14default_configELb1EPKsPsPKlPlN2at6native12_GLOBAL__N_18offset_tEEE10hipError_tPvRmT1_PNSt15iterator_traitsISY_E10value_typeET2_T3_PNSZ_IS14_E10value_typeET4_jRbjT5_S1A_jjP12ihipStream_tbEUljE_EEESV_SW_SX_S14_S18_S1A_T6_T7_T9_mT8_S1C_bDpT10_ENKUlT_T0_E_clISt17integral_constantIbLb0EES1O_IbLb1EEEEDaS1K_S1L_EUlS1K_E_NS1_11comp_targetILNS1_3genE2ELNS1_11target_archE906ELNS1_3gpuE6ELNS1_3repE0EEENS1_30default_config_static_selectorELNS0_4arch9wavefront6targetE0EEEvSY_,comdat
	.globl	_ZN7rocprim17ROCPRIM_400000_NS6detail17trampoline_kernelINS0_13select_configILj256ELj13ELNS0_17block_load_methodE3ELS4_3ELS4_3ELNS0_20block_scan_algorithmE0ELj4294967295EEENS1_25partition_config_selectorILNS1_17partition_subalgoE3EjNS0_10empty_typeEbEEZZNS1_14partition_implILS8_3ELb0ES6_jNS0_17counting_iteratorIjlEEPS9_SE_NS0_5tupleIJPjSE_EEENSF_IJSE_SE_EEES9_SG_JZNS1_25segmented_radix_sort_implINS0_14default_configELb1EPKsPsPKlPlN2at6native12_GLOBAL__N_18offset_tEEE10hipError_tPvRmT1_PNSt15iterator_traitsISY_E10value_typeET2_T3_PNSZ_IS14_E10value_typeET4_jRbjT5_S1A_jjP12ihipStream_tbEUljE_EEESV_SW_SX_S14_S18_S1A_T6_T7_T9_mT8_S1C_bDpT10_ENKUlT_T0_E_clISt17integral_constantIbLb0EES1O_IbLb1EEEEDaS1K_S1L_EUlS1K_E_NS1_11comp_targetILNS1_3genE2ELNS1_11target_archE906ELNS1_3gpuE6ELNS1_3repE0EEENS1_30default_config_static_selectorELNS0_4arch9wavefront6targetE0EEEvSY_ ; -- Begin function _ZN7rocprim17ROCPRIM_400000_NS6detail17trampoline_kernelINS0_13select_configILj256ELj13ELNS0_17block_load_methodE3ELS4_3ELS4_3ELNS0_20block_scan_algorithmE0ELj4294967295EEENS1_25partition_config_selectorILNS1_17partition_subalgoE3EjNS0_10empty_typeEbEEZZNS1_14partition_implILS8_3ELb0ES6_jNS0_17counting_iteratorIjlEEPS9_SE_NS0_5tupleIJPjSE_EEENSF_IJSE_SE_EEES9_SG_JZNS1_25segmented_radix_sort_implINS0_14default_configELb1EPKsPsPKlPlN2at6native12_GLOBAL__N_18offset_tEEE10hipError_tPvRmT1_PNSt15iterator_traitsISY_E10value_typeET2_T3_PNSZ_IS14_E10value_typeET4_jRbjT5_S1A_jjP12ihipStream_tbEUljE_EEESV_SW_SX_S14_S18_S1A_T6_T7_T9_mT8_S1C_bDpT10_ENKUlT_T0_E_clISt17integral_constantIbLb0EES1O_IbLb1EEEEDaS1K_S1L_EUlS1K_E_NS1_11comp_targetILNS1_3genE2ELNS1_11target_archE906ELNS1_3gpuE6ELNS1_3repE0EEENS1_30default_config_static_selectorELNS0_4arch9wavefront6targetE0EEEvSY_
	.p2align	8
	.type	_ZN7rocprim17ROCPRIM_400000_NS6detail17trampoline_kernelINS0_13select_configILj256ELj13ELNS0_17block_load_methodE3ELS4_3ELS4_3ELNS0_20block_scan_algorithmE0ELj4294967295EEENS1_25partition_config_selectorILNS1_17partition_subalgoE3EjNS0_10empty_typeEbEEZZNS1_14partition_implILS8_3ELb0ES6_jNS0_17counting_iteratorIjlEEPS9_SE_NS0_5tupleIJPjSE_EEENSF_IJSE_SE_EEES9_SG_JZNS1_25segmented_radix_sort_implINS0_14default_configELb1EPKsPsPKlPlN2at6native12_GLOBAL__N_18offset_tEEE10hipError_tPvRmT1_PNSt15iterator_traitsISY_E10value_typeET2_T3_PNSZ_IS14_E10value_typeET4_jRbjT5_S1A_jjP12ihipStream_tbEUljE_EEESV_SW_SX_S14_S18_S1A_T6_T7_T9_mT8_S1C_bDpT10_ENKUlT_T0_E_clISt17integral_constantIbLb0EES1O_IbLb1EEEEDaS1K_S1L_EUlS1K_E_NS1_11comp_targetILNS1_3genE2ELNS1_11target_archE906ELNS1_3gpuE6ELNS1_3repE0EEENS1_30default_config_static_selectorELNS0_4arch9wavefront6targetE0EEEvSY_,@function
_ZN7rocprim17ROCPRIM_400000_NS6detail17trampoline_kernelINS0_13select_configILj256ELj13ELNS0_17block_load_methodE3ELS4_3ELS4_3ELNS0_20block_scan_algorithmE0ELj4294967295EEENS1_25partition_config_selectorILNS1_17partition_subalgoE3EjNS0_10empty_typeEbEEZZNS1_14partition_implILS8_3ELb0ES6_jNS0_17counting_iteratorIjlEEPS9_SE_NS0_5tupleIJPjSE_EEENSF_IJSE_SE_EEES9_SG_JZNS1_25segmented_radix_sort_implINS0_14default_configELb1EPKsPsPKlPlN2at6native12_GLOBAL__N_18offset_tEEE10hipError_tPvRmT1_PNSt15iterator_traitsISY_E10value_typeET2_T3_PNSZ_IS14_E10value_typeET4_jRbjT5_S1A_jjP12ihipStream_tbEUljE_EEESV_SW_SX_S14_S18_S1A_T6_T7_T9_mT8_S1C_bDpT10_ENKUlT_T0_E_clISt17integral_constantIbLb0EES1O_IbLb1EEEEDaS1K_S1L_EUlS1K_E_NS1_11comp_targetILNS1_3genE2ELNS1_11target_archE906ELNS1_3gpuE6ELNS1_3repE0EEENS1_30default_config_static_selectorELNS0_4arch9wavefront6targetE0EEEvSY_: ; @_ZN7rocprim17ROCPRIM_400000_NS6detail17trampoline_kernelINS0_13select_configILj256ELj13ELNS0_17block_load_methodE3ELS4_3ELS4_3ELNS0_20block_scan_algorithmE0ELj4294967295EEENS1_25partition_config_selectorILNS1_17partition_subalgoE3EjNS0_10empty_typeEbEEZZNS1_14partition_implILS8_3ELb0ES6_jNS0_17counting_iteratorIjlEEPS9_SE_NS0_5tupleIJPjSE_EEENSF_IJSE_SE_EEES9_SG_JZNS1_25segmented_radix_sort_implINS0_14default_configELb1EPKsPsPKlPlN2at6native12_GLOBAL__N_18offset_tEEE10hipError_tPvRmT1_PNSt15iterator_traitsISY_E10value_typeET2_T3_PNSZ_IS14_E10value_typeET4_jRbjT5_S1A_jjP12ihipStream_tbEUljE_EEESV_SW_SX_S14_S18_S1A_T6_T7_T9_mT8_S1C_bDpT10_ENKUlT_T0_E_clISt17integral_constantIbLb0EES1O_IbLb1EEEEDaS1K_S1L_EUlS1K_E_NS1_11comp_targetILNS1_3genE2ELNS1_11target_archE906ELNS1_3gpuE6ELNS1_3repE0EEENS1_30default_config_static_selectorELNS0_4arch9wavefront6targetE0EEEvSY_
; %bb.0:
	.section	.rodata,"a",@progbits
	.p2align	6, 0x0
	.amdhsa_kernel _ZN7rocprim17ROCPRIM_400000_NS6detail17trampoline_kernelINS0_13select_configILj256ELj13ELNS0_17block_load_methodE3ELS4_3ELS4_3ELNS0_20block_scan_algorithmE0ELj4294967295EEENS1_25partition_config_selectorILNS1_17partition_subalgoE3EjNS0_10empty_typeEbEEZZNS1_14partition_implILS8_3ELb0ES6_jNS0_17counting_iteratorIjlEEPS9_SE_NS0_5tupleIJPjSE_EEENSF_IJSE_SE_EEES9_SG_JZNS1_25segmented_radix_sort_implINS0_14default_configELb1EPKsPsPKlPlN2at6native12_GLOBAL__N_18offset_tEEE10hipError_tPvRmT1_PNSt15iterator_traitsISY_E10value_typeET2_T3_PNSZ_IS14_E10value_typeET4_jRbjT5_S1A_jjP12ihipStream_tbEUljE_EEESV_SW_SX_S14_S18_S1A_T6_T7_T9_mT8_S1C_bDpT10_ENKUlT_T0_E_clISt17integral_constantIbLb0EES1O_IbLb1EEEEDaS1K_S1L_EUlS1K_E_NS1_11comp_targetILNS1_3genE2ELNS1_11target_archE906ELNS1_3gpuE6ELNS1_3repE0EEENS1_30default_config_static_selectorELNS0_4arch9wavefront6targetE0EEEvSY_
		.amdhsa_group_segment_fixed_size 0
		.amdhsa_private_segment_fixed_size 0
		.amdhsa_kernarg_size 152
		.amdhsa_user_sgpr_count 15
		.amdhsa_user_sgpr_dispatch_ptr 0
		.amdhsa_user_sgpr_queue_ptr 0
		.amdhsa_user_sgpr_kernarg_segment_ptr 1
		.amdhsa_user_sgpr_dispatch_id 0
		.amdhsa_user_sgpr_private_segment_size 0
		.amdhsa_wavefront_size32 1
		.amdhsa_uses_dynamic_stack 0
		.amdhsa_enable_private_segment 0
		.amdhsa_system_sgpr_workgroup_id_x 1
		.amdhsa_system_sgpr_workgroup_id_y 0
		.amdhsa_system_sgpr_workgroup_id_z 0
		.amdhsa_system_sgpr_workgroup_info 0
		.amdhsa_system_vgpr_workitem_id 0
		.amdhsa_next_free_vgpr 1
		.amdhsa_next_free_sgpr 1
		.amdhsa_reserve_vcc 0
		.amdhsa_float_round_mode_32 0
		.amdhsa_float_round_mode_16_64 0
		.amdhsa_float_denorm_mode_32 3
		.amdhsa_float_denorm_mode_16_64 3
		.amdhsa_dx10_clamp 1
		.amdhsa_ieee_mode 1
		.amdhsa_fp16_overflow 0
		.amdhsa_workgroup_processor_mode 1
		.amdhsa_memory_ordered 1
		.amdhsa_forward_progress 0
		.amdhsa_shared_vgpr_count 0
		.amdhsa_exception_fp_ieee_invalid_op 0
		.amdhsa_exception_fp_denorm_src 0
		.amdhsa_exception_fp_ieee_div_zero 0
		.amdhsa_exception_fp_ieee_overflow 0
		.amdhsa_exception_fp_ieee_underflow 0
		.amdhsa_exception_fp_ieee_inexact 0
		.amdhsa_exception_int_div_zero 0
	.end_amdhsa_kernel
	.section	.text._ZN7rocprim17ROCPRIM_400000_NS6detail17trampoline_kernelINS0_13select_configILj256ELj13ELNS0_17block_load_methodE3ELS4_3ELS4_3ELNS0_20block_scan_algorithmE0ELj4294967295EEENS1_25partition_config_selectorILNS1_17partition_subalgoE3EjNS0_10empty_typeEbEEZZNS1_14partition_implILS8_3ELb0ES6_jNS0_17counting_iteratorIjlEEPS9_SE_NS0_5tupleIJPjSE_EEENSF_IJSE_SE_EEES9_SG_JZNS1_25segmented_radix_sort_implINS0_14default_configELb1EPKsPsPKlPlN2at6native12_GLOBAL__N_18offset_tEEE10hipError_tPvRmT1_PNSt15iterator_traitsISY_E10value_typeET2_T3_PNSZ_IS14_E10value_typeET4_jRbjT5_S1A_jjP12ihipStream_tbEUljE_EEESV_SW_SX_S14_S18_S1A_T6_T7_T9_mT8_S1C_bDpT10_ENKUlT_T0_E_clISt17integral_constantIbLb0EES1O_IbLb1EEEEDaS1K_S1L_EUlS1K_E_NS1_11comp_targetILNS1_3genE2ELNS1_11target_archE906ELNS1_3gpuE6ELNS1_3repE0EEENS1_30default_config_static_selectorELNS0_4arch9wavefront6targetE0EEEvSY_,"axG",@progbits,_ZN7rocprim17ROCPRIM_400000_NS6detail17trampoline_kernelINS0_13select_configILj256ELj13ELNS0_17block_load_methodE3ELS4_3ELS4_3ELNS0_20block_scan_algorithmE0ELj4294967295EEENS1_25partition_config_selectorILNS1_17partition_subalgoE3EjNS0_10empty_typeEbEEZZNS1_14partition_implILS8_3ELb0ES6_jNS0_17counting_iteratorIjlEEPS9_SE_NS0_5tupleIJPjSE_EEENSF_IJSE_SE_EEES9_SG_JZNS1_25segmented_radix_sort_implINS0_14default_configELb1EPKsPsPKlPlN2at6native12_GLOBAL__N_18offset_tEEE10hipError_tPvRmT1_PNSt15iterator_traitsISY_E10value_typeET2_T3_PNSZ_IS14_E10value_typeET4_jRbjT5_S1A_jjP12ihipStream_tbEUljE_EEESV_SW_SX_S14_S18_S1A_T6_T7_T9_mT8_S1C_bDpT10_ENKUlT_T0_E_clISt17integral_constantIbLb0EES1O_IbLb1EEEEDaS1K_S1L_EUlS1K_E_NS1_11comp_targetILNS1_3genE2ELNS1_11target_archE906ELNS1_3gpuE6ELNS1_3repE0EEENS1_30default_config_static_selectorELNS0_4arch9wavefront6targetE0EEEvSY_,comdat
.Lfunc_end907:
	.size	_ZN7rocprim17ROCPRIM_400000_NS6detail17trampoline_kernelINS0_13select_configILj256ELj13ELNS0_17block_load_methodE3ELS4_3ELS4_3ELNS0_20block_scan_algorithmE0ELj4294967295EEENS1_25partition_config_selectorILNS1_17partition_subalgoE3EjNS0_10empty_typeEbEEZZNS1_14partition_implILS8_3ELb0ES6_jNS0_17counting_iteratorIjlEEPS9_SE_NS0_5tupleIJPjSE_EEENSF_IJSE_SE_EEES9_SG_JZNS1_25segmented_radix_sort_implINS0_14default_configELb1EPKsPsPKlPlN2at6native12_GLOBAL__N_18offset_tEEE10hipError_tPvRmT1_PNSt15iterator_traitsISY_E10value_typeET2_T3_PNSZ_IS14_E10value_typeET4_jRbjT5_S1A_jjP12ihipStream_tbEUljE_EEESV_SW_SX_S14_S18_S1A_T6_T7_T9_mT8_S1C_bDpT10_ENKUlT_T0_E_clISt17integral_constantIbLb0EES1O_IbLb1EEEEDaS1K_S1L_EUlS1K_E_NS1_11comp_targetILNS1_3genE2ELNS1_11target_archE906ELNS1_3gpuE6ELNS1_3repE0EEENS1_30default_config_static_selectorELNS0_4arch9wavefront6targetE0EEEvSY_, .Lfunc_end907-_ZN7rocprim17ROCPRIM_400000_NS6detail17trampoline_kernelINS0_13select_configILj256ELj13ELNS0_17block_load_methodE3ELS4_3ELS4_3ELNS0_20block_scan_algorithmE0ELj4294967295EEENS1_25partition_config_selectorILNS1_17partition_subalgoE3EjNS0_10empty_typeEbEEZZNS1_14partition_implILS8_3ELb0ES6_jNS0_17counting_iteratorIjlEEPS9_SE_NS0_5tupleIJPjSE_EEENSF_IJSE_SE_EEES9_SG_JZNS1_25segmented_radix_sort_implINS0_14default_configELb1EPKsPsPKlPlN2at6native12_GLOBAL__N_18offset_tEEE10hipError_tPvRmT1_PNSt15iterator_traitsISY_E10value_typeET2_T3_PNSZ_IS14_E10value_typeET4_jRbjT5_S1A_jjP12ihipStream_tbEUljE_EEESV_SW_SX_S14_S18_S1A_T6_T7_T9_mT8_S1C_bDpT10_ENKUlT_T0_E_clISt17integral_constantIbLb0EES1O_IbLb1EEEEDaS1K_S1L_EUlS1K_E_NS1_11comp_targetILNS1_3genE2ELNS1_11target_archE906ELNS1_3gpuE6ELNS1_3repE0EEENS1_30default_config_static_selectorELNS0_4arch9wavefront6targetE0EEEvSY_
                                        ; -- End function
	.section	.AMDGPU.csdata,"",@progbits
; Kernel info:
; codeLenInByte = 0
; NumSgprs: 0
; NumVgprs: 0
; ScratchSize: 0
; MemoryBound: 0
; FloatMode: 240
; IeeeMode: 1
; LDSByteSize: 0 bytes/workgroup (compile time only)
; SGPRBlocks: 0
; VGPRBlocks: 0
; NumSGPRsForWavesPerEU: 1
; NumVGPRsForWavesPerEU: 1
; Occupancy: 16
; WaveLimiterHint : 0
; COMPUTE_PGM_RSRC2:SCRATCH_EN: 0
; COMPUTE_PGM_RSRC2:USER_SGPR: 15
; COMPUTE_PGM_RSRC2:TRAP_HANDLER: 0
; COMPUTE_PGM_RSRC2:TGID_X_EN: 1
; COMPUTE_PGM_RSRC2:TGID_Y_EN: 0
; COMPUTE_PGM_RSRC2:TGID_Z_EN: 0
; COMPUTE_PGM_RSRC2:TIDIG_COMP_CNT: 0
	.section	.text._ZN7rocprim17ROCPRIM_400000_NS6detail17trampoline_kernelINS0_13select_configILj256ELj13ELNS0_17block_load_methodE3ELS4_3ELS4_3ELNS0_20block_scan_algorithmE0ELj4294967295EEENS1_25partition_config_selectorILNS1_17partition_subalgoE3EjNS0_10empty_typeEbEEZZNS1_14partition_implILS8_3ELb0ES6_jNS0_17counting_iteratorIjlEEPS9_SE_NS0_5tupleIJPjSE_EEENSF_IJSE_SE_EEES9_SG_JZNS1_25segmented_radix_sort_implINS0_14default_configELb1EPKsPsPKlPlN2at6native12_GLOBAL__N_18offset_tEEE10hipError_tPvRmT1_PNSt15iterator_traitsISY_E10value_typeET2_T3_PNSZ_IS14_E10value_typeET4_jRbjT5_S1A_jjP12ihipStream_tbEUljE_EEESV_SW_SX_S14_S18_S1A_T6_T7_T9_mT8_S1C_bDpT10_ENKUlT_T0_E_clISt17integral_constantIbLb0EES1O_IbLb1EEEEDaS1K_S1L_EUlS1K_E_NS1_11comp_targetILNS1_3genE10ELNS1_11target_archE1200ELNS1_3gpuE4ELNS1_3repE0EEENS1_30default_config_static_selectorELNS0_4arch9wavefront6targetE0EEEvSY_,"axG",@progbits,_ZN7rocprim17ROCPRIM_400000_NS6detail17trampoline_kernelINS0_13select_configILj256ELj13ELNS0_17block_load_methodE3ELS4_3ELS4_3ELNS0_20block_scan_algorithmE0ELj4294967295EEENS1_25partition_config_selectorILNS1_17partition_subalgoE3EjNS0_10empty_typeEbEEZZNS1_14partition_implILS8_3ELb0ES6_jNS0_17counting_iteratorIjlEEPS9_SE_NS0_5tupleIJPjSE_EEENSF_IJSE_SE_EEES9_SG_JZNS1_25segmented_radix_sort_implINS0_14default_configELb1EPKsPsPKlPlN2at6native12_GLOBAL__N_18offset_tEEE10hipError_tPvRmT1_PNSt15iterator_traitsISY_E10value_typeET2_T3_PNSZ_IS14_E10value_typeET4_jRbjT5_S1A_jjP12ihipStream_tbEUljE_EEESV_SW_SX_S14_S18_S1A_T6_T7_T9_mT8_S1C_bDpT10_ENKUlT_T0_E_clISt17integral_constantIbLb0EES1O_IbLb1EEEEDaS1K_S1L_EUlS1K_E_NS1_11comp_targetILNS1_3genE10ELNS1_11target_archE1200ELNS1_3gpuE4ELNS1_3repE0EEENS1_30default_config_static_selectorELNS0_4arch9wavefront6targetE0EEEvSY_,comdat
	.globl	_ZN7rocprim17ROCPRIM_400000_NS6detail17trampoline_kernelINS0_13select_configILj256ELj13ELNS0_17block_load_methodE3ELS4_3ELS4_3ELNS0_20block_scan_algorithmE0ELj4294967295EEENS1_25partition_config_selectorILNS1_17partition_subalgoE3EjNS0_10empty_typeEbEEZZNS1_14partition_implILS8_3ELb0ES6_jNS0_17counting_iteratorIjlEEPS9_SE_NS0_5tupleIJPjSE_EEENSF_IJSE_SE_EEES9_SG_JZNS1_25segmented_radix_sort_implINS0_14default_configELb1EPKsPsPKlPlN2at6native12_GLOBAL__N_18offset_tEEE10hipError_tPvRmT1_PNSt15iterator_traitsISY_E10value_typeET2_T3_PNSZ_IS14_E10value_typeET4_jRbjT5_S1A_jjP12ihipStream_tbEUljE_EEESV_SW_SX_S14_S18_S1A_T6_T7_T9_mT8_S1C_bDpT10_ENKUlT_T0_E_clISt17integral_constantIbLb0EES1O_IbLb1EEEEDaS1K_S1L_EUlS1K_E_NS1_11comp_targetILNS1_3genE10ELNS1_11target_archE1200ELNS1_3gpuE4ELNS1_3repE0EEENS1_30default_config_static_selectorELNS0_4arch9wavefront6targetE0EEEvSY_ ; -- Begin function _ZN7rocprim17ROCPRIM_400000_NS6detail17trampoline_kernelINS0_13select_configILj256ELj13ELNS0_17block_load_methodE3ELS4_3ELS4_3ELNS0_20block_scan_algorithmE0ELj4294967295EEENS1_25partition_config_selectorILNS1_17partition_subalgoE3EjNS0_10empty_typeEbEEZZNS1_14partition_implILS8_3ELb0ES6_jNS0_17counting_iteratorIjlEEPS9_SE_NS0_5tupleIJPjSE_EEENSF_IJSE_SE_EEES9_SG_JZNS1_25segmented_radix_sort_implINS0_14default_configELb1EPKsPsPKlPlN2at6native12_GLOBAL__N_18offset_tEEE10hipError_tPvRmT1_PNSt15iterator_traitsISY_E10value_typeET2_T3_PNSZ_IS14_E10value_typeET4_jRbjT5_S1A_jjP12ihipStream_tbEUljE_EEESV_SW_SX_S14_S18_S1A_T6_T7_T9_mT8_S1C_bDpT10_ENKUlT_T0_E_clISt17integral_constantIbLb0EES1O_IbLb1EEEEDaS1K_S1L_EUlS1K_E_NS1_11comp_targetILNS1_3genE10ELNS1_11target_archE1200ELNS1_3gpuE4ELNS1_3repE0EEENS1_30default_config_static_selectorELNS0_4arch9wavefront6targetE0EEEvSY_
	.p2align	8
	.type	_ZN7rocprim17ROCPRIM_400000_NS6detail17trampoline_kernelINS0_13select_configILj256ELj13ELNS0_17block_load_methodE3ELS4_3ELS4_3ELNS0_20block_scan_algorithmE0ELj4294967295EEENS1_25partition_config_selectorILNS1_17partition_subalgoE3EjNS0_10empty_typeEbEEZZNS1_14partition_implILS8_3ELb0ES6_jNS0_17counting_iteratorIjlEEPS9_SE_NS0_5tupleIJPjSE_EEENSF_IJSE_SE_EEES9_SG_JZNS1_25segmented_radix_sort_implINS0_14default_configELb1EPKsPsPKlPlN2at6native12_GLOBAL__N_18offset_tEEE10hipError_tPvRmT1_PNSt15iterator_traitsISY_E10value_typeET2_T3_PNSZ_IS14_E10value_typeET4_jRbjT5_S1A_jjP12ihipStream_tbEUljE_EEESV_SW_SX_S14_S18_S1A_T6_T7_T9_mT8_S1C_bDpT10_ENKUlT_T0_E_clISt17integral_constantIbLb0EES1O_IbLb1EEEEDaS1K_S1L_EUlS1K_E_NS1_11comp_targetILNS1_3genE10ELNS1_11target_archE1200ELNS1_3gpuE4ELNS1_3repE0EEENS1_30default_config_static_selectorELNS0_4arch9wavefront6targetE0EEEvSY_,@function
_ZN7rocprim17ROCPRIM_400000_NS6detail17trampoline_kernelINS0_13select_configILj256ELj13ELNS0_17block_load_methodE3ELS4_3ELS4_3ELNS0_20block_scan_algorithmE0ELj4294967295EEENS1_25partition_config_selectorILNS1_17partition_subalgoE3EjNS0_10empty_typeEbEEZZNS1_14partition_implILS8_3ELb0ES6_jNS0_17counting_iteratorIjlEEPS9_SE_NS0_5tupleIJPjSE_EEENSF_IJSE_SE_EEES9_SG_JZNS1_25segmented_radix_sort_implINS0_14default_configELb1EPKsPsPKlPlN2at6native12_GLOBAL__N_18offset_tEEE10hipError_tPvRmT1_PNSt15iterator_traitsISY_E10value_typeET2_T3_PNSZ_IS14_E10value_typeET4_jRbjT5_S1A_jjP12ihipStream_tbEUljE_EEESV_SW_SX_S14_S18_S1A_T6_T7_T9_mT8_S1C_bDpT10_ENKUlT_T0_E_clISt17integral_constantIbLb0EES1O_IbLb1EEEEDaS1K_S1L_EUlS1K_E_NS1_11comp_targetILNS1_3genE10ELNS1_11target_archE1200ELNS1_3gpuE4ELNS1_3repE0EEENS1_30default_config_static_selectorELNS0_4arch9wavefront6targetE0EEEvSY_: ; @_ZN7rocprim17ROCPRIM_400000_NS6detail17trampoline_kernelINS0_13select_configILj256ELj13ELNS0_17block_load_methodE3ELS4_3ELS4_3ELNS0_20block_scan_algorithmE0ELj4294967295EEENS1_25partition_config_selectorILNS1_17partition_subalgoE3EjNS0_10empty_typeEbEEZZNS1_14partition_implILS8_3ELb0ES6_jNS0_17counting_iteratorIjlEEPS9_SE_NS0_5tupleIJPjSE_EEENSF_IJSE_SE_EEES9_SG_JZNS1_25segmented_radix_sort_implINS0_14default_configELb1EPKsPsPKlPlN2at6native12_GLOBAL__N_18offset_tEEE10hipError_tPvRmT1_PNSt15iterator_traitsISY_E10value_typeET2_T3_PNSZ_IS14_E10value_typeET4_jRbjT5_S1A_jjP12ihipStream_tbEUljE_EEESV_SW_SX_S14_S18_S1A_T6_T7_T9_mT8_S1C_bDpT10_ENKUlT_T0_E_clISt17integral_constantIbLb0EES1O_IbLb1EEEEDaS1K_S1L_EUlS1K_E_NS1_11comp_targetILNS1_3genE10ELNS1_11target_archE1200ELNS1_3gpuE4ELNS1_3repE0EEENS1_30default_config_static_selectorELNS0_4arch9wavefront6targetE0EEEvSY_
; %bb.0:
	.section	.rodata,"a",@progbits
	.p2align	6, 0x0
	.amdhsa_kernel _ZN7rocprim17ROCPRIM_400000_NS6detail17trampoline_kernelINS0_13select_configILj256ELj13ELNS0_17block_load_methodE3ELS4_3ELS4_3ELNS0_20block_scan_algorithmE0ELj4294967295EEENS1_25partition_config_selectorILNS1_17partition_subalgoE3EjNS0_10empty_typeEbEEZZNS1_14partition_implILS8_3ELb0ES6_jNS0_17counting_iteratorIjlEEPS9_SE_NS0_5tupleIJPjSE_EEENSF_IJSE_SE_EEES9_SG_JZNS1_25segmented_radix_sort_implINS0_14default_configELb1EPKsPsPKlPlN2at6native12_GLOBAL__N_18offset_tEEE10hipError_tPvRmT1_PNSt15iterator_traitsISY_E10value_typeET2_T3_PNSZ_IS14_E10value_typeET4_jRbjT5_S1A_jjP12ihipStream_tbEUljE_EEESV_SW_SX_S14_S18_S1A_T6_T7_T9_mT8_S1C_bDpT10_ENKUlT_T0_E_clISt17integral_constantIbLb0EES1O_IbLb1EEEEDaS1K_S1L_EUlS1K_E_NS1_11comp_targetILNS1_3genE10ELNS1_11target_archE1200ELNS1_3gpuE4ELNS1_3repE0EEENS1_30default_config_static_selectorELNS0_4arch9wavefront6targetE0EEEvSY_
		.amdhsa_group_segment_fixed_size 0
		.amdhsa_private_segment_fixed_size 0
		.amdhsa_kernarg_size 152
		.amdhsa_user_sgpr_count 15
		.amdhsa_user_sgpr_dispatch_ptr 0
		.amdhsa_user_sgpr_queue_ptr 0
		.amdhsa_user_sgpr_kernarg_segment_ptr 1
		.amdhsa_user_sgpr_dispatch_id 0
		.amdhsa_user_sgpr_private_segment_size 0
		.amdhsa_wavefront_size32 1
		.amdhsa_uses_dynamic_stack 0
		.amdhsa_enable_private_segment 0
		.amdhsa_system_sgpr_workgroup_id_x 1
		.amdhsa_system_sgpr_workgroup_id_y 0
		.amdhsa_system_sgpr_workgroup_id_z 0
		.amdhsa_system_sgpr_workgroup_info 0
		.amdhsa_system_vgpr_workitem_id 0
		.amdhsa_next_free_vgpr 1
		.amdhsa_next_free_sgpr 1
		.amdhsa_reserve_vcc 0
		.amdhsa_float_round_mode_32 0
		.amdhsa_float_round_mode_16_64 0
		.amdhsa_float_denorm_mode_32 3
		.amdhsa_float_denorm_mode_16_64 3
		.amdhsa_dx10_clamp 1
		.amdhsa_ieee_mode 1
		.amdhsa_fp16_overflow 0
		.amdhsa_workgroup_processor_mode 1
		.amdhsa_memory_ordered 1
		.amdhsa_forward_progress 0
		.amdhsa_shared_vgpr_count 0
		.amdhsa_exception_fp_ieee_invalid_op 0
		.amdhsa_exception_fp_denorm_src 0
		.amdhsa_exception_fp_ieee_div_zero 0
		.amdhsa_exception_fp_ieee_overflow 0
		.amdhsa_exception_fp_ieee_underflow 0
		.amdhsa_exception_fp_ieee_inexact 0
		.amdhsa_exception_int_div_zero 0
	.end_amdhsa_kernel
	.section	.text._ZN7rocprim17ROCPRIM_400000_NS6detail17trampoline_kernelINS0_13select_configILj256ELj13ELNS0_17block_load_methodE3ELS4_3ELS4_3ELNS0_20block_scan_algorithmE0ELj4294967295EEENS1_25partition_config_selectorILNS1_17partition_subalgoE3EjNS0_10empty_typeEbEEZZNS1_14partition_implILS8_3ELb0ES6_jNS0_17counting_iteratorIjlEEPS9_SE_NS0_5tupleIJPjSE_EEENSF_IJSE_SE_EEES9_SG_JZNS1_25segmented_radix_sort_implINS0_14default_configELb1EPKsPsPKlPlN2at6native12_GLOBAL__N_18offset_tEEE10hipError_tPvRmT1_PNSt15iterator_traitsISY_E10value_typeET2_T3_PNSZ_IS14_E10value_typeET4_jRbjT5_S1A_jjP12ihipStream_tbEUljE_EEESV_SW_SX_S14_S18_S1A_T6_T7_T9_mT8_S1C_bDpT10_ENKUlT_T0_E_clISt17integral_constantIbLb0EES1O_IbLb1EEEEDaS1K_S1L_EUlS1K_E_NS1_11comp_targetILNS1_3genE10ELNS1_11target_archE1200ELNS1_3gpuE4ELNS1_3repE0EEENS1_30default_config_static_selectorELNS0_4arch9wavefront6targetE0EEEvSY_,"axG",@progbits,_ZN7rocprim17ROCPRIM_400000_NS6detail17trampoline_kernelINS0_13select_configILj256ELj13ELNS0_17block_load_methodE3ELS4_3ELS4_3ELNS0_20block_scan_algorithmE0ELj4294967295EEENS1_25partition_config_selectorILNS1_17partition_subalgoE3EjNS0_10empty_typeEbEEZZNS1_14partition_implILS8_3ELb0ES6_jNS0_17counting_iteratorIjlEEPS9_SE_NS0_5tupleIJPjSE_EEENSF_IJSE_SE_EEES9_SG_JZNS1_25segmented_radix_sort_implINS0_14default_configELb1EPKsPsPKlPlN2at6native12_GLOBAL__N_18offset_tEEE10hipError_tPvRmT1_PNSt15iterator_traitsISY_E10value_typeET2_T3_PNSZ_IS14_E10value_typeET4_jRbjT5_S1A_jjP12ihipStream_tbEUljE_EEESV_SW_SX_S14_S18_S1A_T6_T7_T9_mT8_S1C_bDpT10_ENKUlT_T0_E_clISt17integral_constantIbLb0EES1O_IbLb1EEEEDaS1K_S1L_EUlS1K_E_NS1_11comp_targetILNS1_3genE10ELNS1_11target_archE1200ELNS1_3gpuE4ELNS1_3repE0EEENS1_30default_config_static_selectorELNS0_4arch9wavefront6targetE0EEEvSY_,comdat
.Lfunc_end908:
	.size	_ZN7rocprim17ROCPRIM_400000_NS6detail17trampoline_kernelINS0_13select_configILj256ELj13ELNS0_17block_load_methodE3ELS4_3ELS4_3ELNS0_20block_scan_algorithmE0ELj4294967295EEENS1_25partition_config_selectorILNS1_17partition_subalgoE3EjNS0_10empty_typeEbEEZZNS1_14partition_implILS8_3ELb0ES6_jNS0_17counting_iteratorIjlEEPS9_SE_NS0_5tupleIJPjSE_EEENSF_IJSE_SE_EEES9_SG_JZNS1_25segmented_radix_sort_implINS0_14default_configELb1EPKsPsPKlPlN2at6native12_GLOBAL__N_18offset_tEEE10hipError_tPvRmT1_PNSt15iterator_traitsISY_E10value_typeET2_T3_PNSZ_IS14_E10value_typeET4_jRbjT5_S1A_jjP12ihipStream_tbEUljE_EEESV_SW_SX_S14_S18_S1A_T6_T7_T9_mT8_S1C_bDpT10_ENKUlT_T0_E_clISt17integral_constantIbLb0EES1O_IbLb1EEEEDaS1K_S1L_EUlS1K_E_NS1_11comp_targetILNS1_3genE10ELNS1_11target_archE1200ELNS1_3gpuE4ELNS1_3repE0EEENS1_30default_config_static_selectorELNS0_4arch9wavefront6targetE0EEEvSY_, .Lfunc_end908-_ZN7rocprim17ROCPRIM_400000_NS6detail17trampoline_kernelINS0_13select_configILj256ELj13ELNS0_17block_load_methodE3ELS4_3ELS4_3ELNS0_20block_scan_algorithmE0ELj4294967295EEENS1_25partition_config_selectorILNS1_17partition_subalgoE3EjNS0_10empty_typeEbEEZZNS1_14partition_implILS8_3ELb0ES6_jNS0_17counting_iteratorIjlEEPS9_SE_NS0_5tupleIJPjSE_EEENSF_IJSE_SE_EEES9_SG_JZNS1_25segmented_radix_sort_implINS0_14default_configELb1EPKsPsPKlPlN2at6native12_GLOBAL__N_18offset_tEEE10hipError_tPvRmT1_PNSt15iterator_traitsISY_E10value_typeET2_T3_PNSZ_IS14_E10value_typeET4_jRbjT5_S1A_jjP12ihipStream_tbEUljE_EEESV_SW_SX_S14_S18_S1A_T6_T7_T9_mT8_S1C_bDpT10_ENKUlT_T0_E_clISt17integral_constantIbLb0EES1O_IbLb1EEEEDaS1K_S1L_EUlS1K_E_NS1_11comp_targetILNS1_3genE10ELNS1_11target_archE1200ELNS1_3gpuE4ELNS1_3repE0EEENS1_30default_config_static_selectorELNS0_4arch9wavefront6targetE0EEEvSY_
                                        ; -- End function
	.section	.AMDGPU.csdata,"",@progbits
; Kernel info:
; codeLenInByte = 0
; NumSgprs: 0
; NumVgprs: 0
; ScratchSize: 0
; MemoryBound: 0
; FloatMode: 240
; IeeeMode: 1
; LDSByteSize: 0 bytes/workgroup (compile time only)
; SGPRBlocks: 0
; VGPRBlocks: 0
; NumSGPRsForWavesPerEU: 1
; NumVGPRsForWavesPerEU: 1
; Occupancy: 16
; WaveLimiterHint : 0
; COMPUTE_PGM_RSRC2:SCRATCH_EN: 0
; COMPUTE_PGM_RSRC2:USER_SGPR: 15
; COMPUTE_PGM_RSRC2:TRAP_HANDLER: 0
; COMPUTE_PGM_RSRC2:TGID_X_EN: 1
; COMPUTE_PGM_RSRC2:TGID_Y_EN: 0
; COMPUTE_PGM_RSRC2:TGID_Z_EN: 0
; COMPUTE_PGM_RSRC2:TIDIG_COMP_CNT: 0
	.section	.text._ZN7rocprim17ROCPRIM_400000_NS6detail17trampoline_kernelINS0_13select_configILj256ELj13ELNS0_17block_load_methodE3ELS4_3ELS4_3ELNS0_20block_scan_algorithmE0ELj4294967295EEENS1_25partition_config_selectorILNS1_17partition_subalgoE3EjNS0_10empty_typeEbEEZZNS1_14partition_implILS8_3ELb0ES6_jNS0_17counting_iteratorIjlEEPS9_SE_NS0_5tupleIJPjSE_EEENSF_IJSE_SE_EEES9_SG_JZNS1_25segmented_radix_sort_implINS0_14default_configELb1EPKsPsPKlPlN2at6native12_GLOBAL__N_18offset_tEEE10hipError_tPvRmT1_PNSt15iterator_traitsISY_E10value_typeET2_T3_PNSZ_IS14_E10value_typeET4_jRbjT5_S1A_jjP12ihipStream_tbEUljE_EEESV_SW_SX_S14_S18_S1A_T6_T7_T9_mT8_S1C_bDpT10_ENKUlT_T0_E_clISt17integral_constantIbLb0EES1O_IbLb1EEEEDaS1K_S1L_EUlS1K_E_NS1_11comp_targetILNS1_3genE9ELNS1_11target_archE1100ELNS1_3gpuE3ELNS1_3repE0EEENS1_30default_config_static_selectorELNS0_4arch9wavefront6targetE0EEEvSY_,"axG",@progbits,_ZN7rocprim17ROCPRIM_400000_NS6detail17trampoline_kernelINS0_13select_configILj256ELj13ELNS0_17block_load_methodE3ELS4_3ELS4_3ELNS0_20block_scan_algorithmE0ELj4294967295EEENS1_25partition_config_selectorILNS1_17partition_subalgoE3EjNS0_10empty_typeEbEEZZNS1_14partition_implILS8_3ELb0ES6_jNS0_17counting_iteratorIjlEEPS9_SE_NS0_5tupleIJPjSE_EEENSF_IJSE_SE_EEES9_SG_JZNS1_25segmented_radix_sort_implINS0_14default_configELb1EPKsPsPKlPlN2at6native12_GLOBAL__N_18offset_tEEE10hipError_tPvRmT1_PNSt15iterator_traitsISY_E10value_typeET2_T3_PNSZ_IS14_E10value_typeET4_jRbjT5_S1A_jjP12ihipStream_tbEUljE_EEESV_SW_SX_S14_S18_S1A_T6_T7_T9_mT8_S1C_bDpT10_ENKUlT_T0_E_clISt17integral_constantIbLb0EES1O_IbLb1EEEEDaS1K_S1L_EUlS1K_E_NS1_11comp_targetILNS1_3genE9ELNS1_11target_archE1100ELNS1_3gpuE3ELNS1_3repE0EEENS1_30default_config_static_selectorELNS0_4arch9wavefront6targetE0EEEvSY_,comdat
	.globl	_ZN7rocprim17ROCPRIM_400000_NS6detail17trampoline_kernelINS0_13select_configILj256ELj13ELNS0_17block_load_methodE3ELS4_3ELS4_3ELNS0_20block_scan_algorithmE0ELj4294967295EEENS1_25partition_config_selectorILNS1_17partition_subalgoE3EjNS0_10empty_typeEbEEZZNS1_14partition_implILS8_3ELb0ES6_jNS0_17counting_iteratorIjlEEPS9_SE_NS0_5tupleIJPjSE_EEENSF_IJSE_SE_EEES9_SG_JZNS1_25segmented_radix_sort_implINS0_14default_configELb1EPKsPsPKlPlN2at6native12_GLOBAL__N_18offset_tEEE10hipError_tPvRmT1_PNSt15iterator_traitsISY_E10value_typeET2_T3_PNSZ_IS14_E10value_typeET4_jRbjT5_S1A_jjP12ihipStream_tbEUljE_EEESV_SW_SX_S14_S18_S1A_T6_T7_T9_mT8_S1C_bDpT10_ENKUlT_T0_E_clISt17integral_constantIbLb0EES1O_IbLb1EEEEDaS1K_S1L_EUlS1K_E_NS1_11comp_targetILNS1_3genE9ELNS1_11target_archE1100ELNS1_3gpuE3ELNS1_3repE0EEENS1_30default_config_static_selectorELNS0_4arch9wavefront6targetE0EEEvSY_ ; -- Begin function _ZN7rocprim17ROCPRIM_400000_NS6detail17trampoline_kernelINS0_13select_configILj256ELj13ELNS0_17block_load_methodE3ELS4_3ELS4_3ELNS0_20block_scan_algorithmE0ELj4294967295EEENS1_25partition_config_selectorILNS1_17partition_subalgoE3EjNS0_10empty_typeEbEEZZNS1_14partition_implILS8_3ELb0ES6_jNS0_17counting_iteratorIjlEEPS9_SE_NS0_5tupleIJPjSE_EEENSF_IJSE_SE_EEES9_SG_JZNS1_25segmented_radix_sort_implINS0_14default_configELb1EPKsPsPKlPlN2at6native12_GLOBAL__N_18offset_tEEE10hipError_tPvRmT1_PNSt15iterator_traitsISY_E10value_typeET2_T3_PNSZ_IS14_E10value_typeET4_jRbjT5_S1A_jjP12ihipStream_tbEUljE_EEESV_SW_SX_S14_S18_S1A_T6_T7_T9_mT8_S1C_bDpT10_ENKUlT_T0_E_clISt17integral_constantIbLb0EES1O_IbLb1EEEEDaS1K_S1L_EUlS1K_E_NS1_11comp_targetILNS1_3genE9ELNS1_11target_archE1100ELNS1_3gpuE3ELNS1_3repE0EEENS1_30default_config_static_selectorELNS0_4arch9wavefront6targetE0EEEvSY_
	.p2align	8
	.type	_ZN7rocprim17ROCPRIM_400000_NS6detail17trampoline_kernelINS0_13select_configILj256ELj13ELNS0_17block_load_methodE3ELS4_3ELS4_3ELNS0_20block_scan_algorithmE0ELj4294967295EEENS1_25partition_config_selectorILNS1_17partition_subalgoE3EjNS0_10empty_typeEbEEZZNS1_14partition_implILS8_3ELb0ES6_jNS0_17counting_iteratorIjlEEPS9_SE_NS0_5tupleIJPjSE_EEENSF_IJSE_SE_EEES9_SG_JZNS1_25segmented_radix_sort_implINS0_14default_configELb1EPKsPsPKlPlN2at6native12_GLOBAL__N_18offset_tEEE10hipError_tPvRmT1_PNSt15iterator_traitsISY_E10value_typeET2_T3_PNSZ_IS14_E10value_typeET4_jRbjT5_S1A_jjP12ihipStream_tbEUljE_EEESV_SW_SX_S14_S18_S1A_T6_T7_T9_mT8_S1C_bDpT10_ENKUlT_T0_E_clISt17integral_constantIbLb0EES1O_IbLb1EEEEDaS1K_S1L_EUlS1K_E_NS1_11comp_targetILNS1_3genE9ELNS1_11target_archE1100ELNS1_3gpuE3ELNS1_3repE0EEENS1_30default_config_static_selectorELNS0_4arch9wavefront6targetE0EEEvSY_,@function
_ZN7rocprim17ROCPRIM_400000_NS6detail17trampoline_kernelINS0_13select_configILj256ELj13ELNS0_17block_load_methodE3ELS4_3ELS4_3ELNS0_20block_scan_algorithmE0ELj4294967295EEENS1_25partition_config_selectorILNS1_17partition_subalgoE3EjNS0_10empty_typeEbEEZZNS1_14partition_implILS8_3ELb0ES6_jNS0_17counting_iteratorIjlEEPS9_SE_NS0_5tupleIJPjSE_EEENSF_IJSE_SE_EEES9_SG_JZNS1_25segmented_radix_sort_implINS0_14default_configELb1EPKsPsPKlPlN2at6native12_GLOBAL__N_18offset_tEEE10hipError_tPvRmT1_PNSt15iterator_traitsISY_E10value_typeET2_T3_PNSZ_IS14_E10value_typeET4_jRbjT5_S1A_jjP12ihipStream_tbEUljE_EEESV_SW_SX_S14_S18_S1A_T6_T7_T9_mT8_S1C_bDpT10_ENKUlT_T0_E_clISt17integral_constantIbLb0EES1O_IbLb1EEEEDaS1K_S1L_EUlS1K_E_NS1_11comp_targetILNS1_3genE9ELNS1_11target_archE1100ELNS1_3gpuE3ELNS1_3repE0EEENS1_30default_config_static_selectorELNS0_4arch9wavefront6targetE0EEEvSY_: ; @_ZN7rocprim17ROCPRIM_400000_NS6detail17trampoline_kernelINS0_13select_configILj256ELj13ELNS0_17block_load_methodE3ELS4_3ELS4_3ELNS0_20block_scan_algorithmE0ELj4294967295EEENS1_25partition_config_selectorILNS1_17partition_subalgoE3EjNS0_10empty_typeEbEEZZNS1_14partition_implILS8_3ELb0ES6_jNS0_17counting_iteratorIjlEEPS9_SE_NS0_5tupleIJPjSE_EEENSF_IJSE_SE_EEES9_SG_JZNS1_25segmented_radix_sort_implINS0_14default_configELb1EPKsPsPKlPlN2at6native12_GLOBAL__N_18offset_tEEE10hipError_tPvRmT1_PNSt15iterator_traitsISY_E10value_typeET2_T3_PNSZ_IS14_E10value_typeET4_jRbjT5_S1A_jjP12ihipStream_tbEUljE_EEESV_SW_SX_S14_S18_S1A_T6_T7_T9_mT8_S1C_bDpT10_ENKUlT_T0_E_clISt17integral_constantIbLb0EES1O_IbLb1EEEEDaS1K_S1L_EUlS1K_E_NS1_11comp_targetILNS1_3genE9ELNS1_11target_archE1100ELNS1_3gpuE3ELNS1_3repE0EEENS1_30default_config_static_selectorELNS0_4arch9wavefront6targetE0EEEvSY_
; %bb.0:
	s_clause 0x6
	s_load_b64 s[16:17], s[0:1], 0x10
	s_load_b64 s[12:13], s[0:1], 0x28
	;; [unrolled: 1-line block ×3, first 2 shown]
	s_load_b128 s[8:11], s[0:1], 0x48
	s_load_b32 s3, s[0:1], 0x90
	s_load_b64 s[18:19], s[0:1], 0x68
	s_load_b128 s[4:7], s[0:1], 0x80
	v_cmp_eq_u32_e64 s2, 0, v0
	s_delay_alu instid0(VALU_DEP_1)
	s_and_saveexec_b32 s20, s2
	s_cbranch_execz .LBB909_4
; %bb.1:
	s_mov_b32 s22, exec_lo
	s_mov_b32 s21, exec_lo
	v_mbcnt_lo_u32_b32 v1, s22, 0
                                        ; implicit-def: $vgpr2
	s_delay_alu instid0(VALU_DEP_1)
	v_cmpx_eq_u32_e32 0, v1
	s_cbranch_execz .LBB909_3
; %bb.2:
	s_load_b64 s[24:25], s[0:1], 0x78
	s_bcnt1_i32_b32 s22, s22
	s_delay_alu instid0(SALU_CYCLE_1)
	v_dual_mov_b32 v2, 0 :: v_dual_mov_b32 v3, s22
	s_waitcnt lgkmcnt(0)
	global_atomic_add_u32 v2, v2, v3, s[24:25] glc
.LBB909_3:
	s_or_b32 exec_lo, exec_lo, s21
	s_waitcnt vmcnt(0)
	v_readfirstlane_b32 s21, v2
	s_delay_alu instid0(VALU_DEP_1)
	v_dual_mov_b32 v2, 0 :: v_dual_add_nc_u32 v1, s21, v1
	ds_store_b32 v2, v1
.LBB909_4:
	s_or_b32 exec_lo, exec_lo, s20
	v_mov_b32_e32 v1, 0
	s_clause 0x1
	s_load_b32 s20, s[0:1], 0x8
	s_load_b32 s0, s[0:1], 0x70
	s_waitcnt lgkmcnt(0)
	s_barrier
	buffer_gl0_inv
	ds_load_b32 v2, v1
	s_waitcnt lgkmcnt(0)
	s_barrier
	buffer_gl0_inv
	global_load_b64 v[18:19], v1, s[10:11]
	v_lshlrev_b32_e32 v33, 2, v0
	s_add_i32 s21, s20, s16
	s_mul_i32 s1, s0, 0xd00
	s_add_i32 s0, s0, -1
	s_add_u32 s10, s16, s1
	s_addc_u32 s11, s17, 0
	v_mul_lo_u32 v32, 0xd00, v2
	v_readfirstlane_b32 s20, v2
	v_cmp_lt_u64_e64 s11, s[10:11], s[14:15]
	v_cmp_ne_u32_e32 vcc_lo, s0, v2
	s_delay_alu instid0(VALU_DEP_3) | instskip(SKIP_1) | instid1(VALU_DEP_4)
	s_cmp_eq_u32 s20, s0
	s_cselect_b32 s10, -1, 0
	v_add3_u32 v1, v32, s21, v0
	s_delay_alu instid0(VALU_DEP_3) | instskip(SKIP_2) | instid1(VALU_DEP_1)
	s_or_b32 s0, s11, vcc_lo
	s_mov_b32 s11, -1
	s_and_b32 vcc_lo, exec_lo, s0
	v_add_nc_u32_e32 v2, 0x100, v1
	v_add_nc_u32_e32 v3, 0x200, v1
	;; [unrolled: 1-line block ×12, first 2 shown]
	s_cbranch_vccz .LBB909_6
; %bb.5:
	ds_store_2addr_stride64_b32 v33, v1, v2 offset1:4
	ds_store_2addr_stride64_b32 v33, v3, v4 offset0:8 offset1:12
	ds_store_2addr_stride64_b32 v33, v5, v6 offset0:16 offset1:20
	;; [unrolled: 1-line block ×5, first 2 shown]
	ds_store_b32 v33, v13 offset:12288
	s_waitcnt vmcnt(0) lgkmcnt(0)
	s_mov_b32 s11, 0
	s_barrier
.LBB909_6:
	s_and_not1_b32 vcc_lo, exec_lo, s11
	s_add_i32 s1, s1, s16
	s_cbranch_vccnz .LBB909_8
; %bb.7:
	ds_store_2addr_stride64_b32 v33, v1, v2 offset1:4
	ds_store_2addr_stride64_b32 v33, v3, v4 offset0:8 offset1:12
	ds_store_2addr_stride64_b32 v33, v5, v6 offset0:16 offset1:20
	;; [unrolled: 1-line block ×5, first 2 shown]
	ds_store_b32 v33, v13 offset:12288
	s_waitcnt vmcnt(0) lgkmcnt(0)
	s_barrier
.LBB909_8:
	v_mul_u32_u24_e32 v36, 13, v0
	s_waitcnt vmcnt(0)
	buffer_gl0_inv
	v_cndmask_b32_e64 v34, 0, 1, s0
	s_sub_i32 s11, s14, s1
	s_and_not1_b32 vcc_lo, exec_lo, s0
	v_lshlrev_b32_e32 v1, 2, v36
	ds_load_2addr_b32 v[30:31], v1 offset1:1
	ds_load_2addr_b32 v[28:29], v1 offset0:2 offset1:3
	ds_load_2addr_b32 v[26:27], v1 offset0:4 offset1:5
	;; [unrolled: 1-line block ×5, first 2 shown]
	ds_load_b32 v35, v1 offset:48
	s_waitcnt lgkmcnt(0)
	s_barrier
	buffer_gl0_inv
	s_cbranch_vccnz .LBB909_10
; %bb.9:
	v_add_nc_u32_e32 v1, s5, v30
	v_add_nc_u32_e32 v2, s7, v30
	;; [unrolled: 1-line block ×5, first 2 shown]
	v_mul_lo_u32 v1, v1, s4
	v_mul_lo_u32 v2, v2, s6
	;; [unrolled: 1-line block ×4, first 2 shown]
	v_add_nc_u32_e32 v6, s7, v28
	v_add_nc_u32_e32 v7, s5, v29
	;; [unrolled: 1-line block ×3, first 2 shown]
	v_mul_lo_u32 v5, v5, s4
	v_add_nc_u32_e32 v9, s5, v24
	v_sub_nc_u32_e32 v1, v1, v2
	v_mul_lo_u32 v2, v6, s6
	v_sub_nc_u32_e32 v3, v3, v4
	v_mul_lo_u32 v4, v7, s4
	v_mul_lo_u32 v6, v8, s6
	v_add_nc_u32_e32 v7, s5, v26
	v_cmp_lt_u32_e32 vcc_lo, s3, v1
	v_add_nc_u32_e32 v8, s5, v27
	v_add_nc_u32_e32 v10, s7, v24
	v_sub_nc_u32_e32 v2, v5, v2
	v_add_nc_u32_e32 v5, s7, v26
	v_cndmask_b32_e64 v1, 0, 1, vcc_lo
	v_sub_nc_u32_e32 v4, v4, v6
	v_mul_lo_u32 v6, v7, s4
	v_add_nc_u32_e32 v7, s7, v27
	v_cmp_lt_u32_e32 vcc_lo, s3, v3
	v_mul_lo_u32 v5, v5, s6
	v_mul_lo_u32 v8, v8, s4
	;; [unrolled: 1-line block ×4, first 2 shown]
	v_cndmask_b32_e64 v3, 0, 1, vcc_lo
	v_cmp_lt_u32_e32 vcc_lo, s3, v2
	v_mul_lo_u32 v10, v10, s6
	v_add_nc_u32_e32 v11, s5, v22
	v_sub_nc_u32_e32 v5, v6, v5
	v_add_nc_u32_e32 v12, s7, v22
	v_cndmask_b32_e64 v2, 0, 1, vcc_lo
	v_sub_nc_u32_e32 v6, v8, v7
	v_add_nc_u32_e32 v7, s5, v25
	v_add_nc_u32_e32 v8, s7, v25
	v_cmp_lt_u32_e32 vcc_lo, s3, v4
	v_sub_nc_u32_e32 v9, v9, v10
	v_mul_lo_u32 v10, v11, s4
	v_mul_lo_u32 v7, v7, s4
	;; [unrolled: 1-line block ×4, first 2 shown]
	v_cndmask_b32_e64 v4, 0, 1, vcc_lo
	v_cmp_lt_u32_e32 vcc_lo, s3, v5
	v_add_nc_u32_e32 v12, s5, v23
	v_add_nc_u32_e32 v13, s7, v20
	;; [unrolled: 1-line block ×4, first 2 shown]
	v_cndmask_b32_e64 v5, 0, 1, vcc_lo
	v_cmp_lt_u32_e32 vcc_lo, s3, v6
	v_sub_nc_u32_e32 v7, v7, v8
	v_sub_nc_u32_e32 v8, v10, v11
	v_add_nc_u32_e32 v11, s7, v23
	v_mul_lo_u32 v10, v12, s4
	v_cndmask_b32_e64 v6, 0, 1, vcc_lo
	v_cmp_lt_u32_e32 vcc_lo, s3, v9
	v_add_nc_u32_e32 v12, s5, v20
	v_mul_lo_u32 v11, v11, s6
	v_mul_lo_u32 v13, v13, s6
	;; [unrolled: 1-line block ×3, first 2 shown]
	v_cndmask_b32_e64 v9, 0, 1, vcc_lo
	v_cmp_lt_u32_e32 vcc_lo, s3, v7
	v_mul_lo_u32 v12, v12, s4
	v_mul_lo_u32 v15, v15, s6
	v_lshlrev_b16 v3, 8, v3
	v_sub_nc_u32_e32 v10, v10, v11
	v_cndmask_b32_e64 v7, 0, 1, vcc_lo
	v_cmp_lt_u32_e32 vcc_lo, s3, v8
	v_add_nc_u32_e32 v11, s5, v35
	v_or_b32_e32 v1, v1, v3
	v_sub_nc_u32_e32 v12, v12, v13
	v_sub_nc_u32_e32 v13, v14, v15
	v_cndmask_b32_e64 v8, 0, 1, vcc_lo
	v_cmp_lt_u32_e32 vcc_lo, s3, v10
	v_add_nc_u32_e32 v16, s7, v35
	v_mul_lo_u32 v11, v11, s4
	v_lshlrev_b16 v4, 8, v4
	v_lshlrev_b16 v6, 8, v6
	v_cndmask_b32_e64 v10, 0, 1, vcc_lo
	v_cmp_lt_u32_e32 vcc_lo, s3, v12
	v_mul_lo_u32 v14, v16, s6
	v_lshlrev_b16 v7, 8, v7
	v_or_b32_e32 v2, v2, v4
	v_lshlrev_b16 v10, 8, v10
	v_cndmask_b32_e64 v3, 0, 1, vcc_lo
	v_cmp_lt_u32_e32 vcc_lo, s3, v13
	v_or_b32_e32 v4, v5, v6
	v_or_b32_e32 v5, v9, v7
	v_sub_nc_u32_e32 v11, v11, v14
	v_or_b32_e32 v6, v8, v10
	v_cndmask_b32_e64 v12, 0, 1, vcc_lo
	v_and_b32_e32 v1, 0xffff, v1
	v_lshlrev_b32_e32 v2, 16, v2
	v_and_b32_e32 v4, 0xffff, v4
	v_lshlrev_b32_e32 v5, 16, v5
	v_lshlrev_b16 v12, 8, v12
	v_and_b32_e32 v6, 0xffff, v6
	v_cmp_lt_u32_e32 vcc_lo, s3, v11
	v_or_b32_e32 v42, v1, v2
	v_or_b32_e32 v40, v4, v5
	;; [unrolled: 1-line block ×3, first 2 shown]
	v_cndmask_b32_e64 v37, 0, 1, vcc_lo
	s_delay_alu instid0(VALU_DEP_2) | instskip(NEXT) | instid1(VALU_DEP_1)
	v_lshlrev_b32_e32 v3, 16, v3
	v_or_b32_e32 v38, v6, v3
	s_addk_i32 s11, 0xd00
	s_cbranch_execz .LBB909_11
	s_branch .LBB909_38
.LBB909_10:
                                        ; implicit-def: $vgpr37
                                        ; implicit-def: $vgpr38
                                        ; implicit-def: $vgpr40
                                        ; implicit-def: $vgpr42
	s_addk_i32 s11, 0xd00
.LBB909_11:
	v_dual_mov_b32 v2, 0 :: v_dual_mov_b32 v1, 0
	s_mov_b32 s0, exec_lo
	v_cmpx_gt_u32_e64 s11, v36
; %bb.12:
	v_add_nc_u32_e32 v1, s5, v30
	v_add_nc_u32_e32 v3, s7, v30
	s_delay_alu instid0(VALU_DEP_2) | instskip(NEXT) | instid1(VALU_DEP_2)
	v_mul_lo_u32 v1, v1, s4
	v_mul_lo_u32 v3, v3, s6
	s_delay_alu instid0(VALU_DEP_1) | instskip(NEXT) | instid1(VALU_DEP_1)
	v_sub_nc_u32_e32 v1, v1, v3
	v_cmp_lt_u32_e32 vcc_lo, s3, v1
	v_cndmask_b32_e64 v1, 0, 1, vcc_lo
; %bb.13:
	s_or_b32 exec_lo, exec_lo, s0
	v_add_nc_u32_e32 v3, 1, v36
	s_mov_b32 s0, exec_lo
	s_delay_alu instid0(VALU_DEP_1)
	v_cmpx_gt_u32_e64 s11, v3
; %bb.14:
	v_add_nc_u32_e32 v2, s5, v31
	v_add_nc_u32_e32 v3, s7, v31
	s_delay_alu instid0(VALU_DEP_2) | instskip(NEXT) | instid1(VALU_DEP_2)
	v_mul_lo_u32 v2, v2, s4
	v_mul_lo_u32 v3, v3, s6
	s_delay_alu instid0(VALU_DEP_1) | instskip(NEXT) | instid1(VALU_DEP_1)
	v_sub_nc_u32_e32 v2, v2, v3
	v_cmp_lt_u32_e32 vcc_lo, s3, v2
	v_cndmask_b32_e64 v2, 0, 1, vcc_lo
; %bb.15:
	s_or_b32 exec_lo, exec_lo, s0
	v_dual_mov_b32 v4, 0 :: v_dual_add_nc_u32 v3, 2, v36
	s_delay_alu instid0(VALU_DEP_1)
	v_cmp_gt_u32_e32 vcc_lo, s11, v3
	v_mov_b32_e32 v3, 0
	s_and_saveexec_b32 s0, vcc_lo
; %bb.16:
	v_add_nc_u32_e32 v3, s5, v28
	v_add_nc_u32_e32 v5, s7, v28
	s_delay_alu instid0(VALU_DEP_2) | instskip(NEXT) | instid1(VALU_DEP_2)
	v_mul_lo_u32 v3, v3, s4
	v_mul_lo_u32 v5, v5, s6
	s_delay_alu instid0(VALU_DEP_1) | instskip(NEXT) | instid1(VALU_DEP_1)
	v_sub_nc_u32_e32 v3, v3, v5
	v_cmp_lt_u32_e32 vcc_lo, s3, v3
	v_cndmask_b32_e64 v3, 0, 1, vcc_lo
; %bb.17:
	s_or_b32 exec_lo, exec_lo, s0
	v_add_nc_u32_e32 v5, 3, v36
	s_mov_b32 s0, exec_lo
	s_delay_alu instid0(VALU_DEP_1)
	v_cmpx_gt_u32_e64 s11, v5
; %bb.18:
	v_add_nc_u32_e32 v4, s5, v29
	v_add_nc_u32_e32 v5, s7, v29
	s_delay_alu instid0(VALU_DEP_2) | instskip(NEXT) | instid1(VALU_DEP_2)
	v_mul_lo_u32 v4, v4, s4
	v_mul_lo_u32 v5, v5, s6
	s_delay_alu instid0(VALU_DEP_1) | instskip(NEXT) | instid1(VALU_DEP_1)
	v_sub_nc_u32_e32 v4, v4, v5
	v_cmp_lt_u32_e32 vcc_lo, s3, v4
	v_cndmask_b32_e64 v4, 0, 1, vcc_lo
; %bb.19:
	s_or_b32 exec_lo, exec_lo, s0
	v_dual_mov_b32 v6, 0 :: v_dual_add_nc_u32 v5, 4, v36
	s_delay_alu instid0(VALU_DEP_1)
	v_cmp_gt_u32_e32 vcc_lo, s11, v5
	v_mov_b32_e32 v5, 0
	s_and_saveexec_b32 s0, vcc_lo
	;; [unrolled: 33-line block ×5, first 2 shown]
; %bb.32:
	v_add_nc_u32_e32 v11, s5, v20
	v_add_nc_u32_e32 v13, s7, v20
	s_delay_alu instid0(VALU_DEP_2) | instskip(NEXT) | instid1(VALU_DEP_2)
	v_mul_lo_u32 v11, v11, s4
	v_mul_lo_u32 v13, v13, s6
	s_delay_alu instid0(VALU_DEP_1) | instskip(NEXT) | instid1(VALU_DEP_1)
	v_sub_nc_u32_e32 v11, v11, v13
	v_cmp_lt_u32_e32 vcc_lo, s3, v11
	v_cndmask_b32_e64 v11, 0, 1, vcc_lo
; %bb.33:
	s_or_b32 exec_lo, exec_lo, s0
	v_add_nc_u32_e32 v13, 11, v36
	s_mov_b32 s0, exec_lo
	s_delay_alu instid0(VALU_DEP_1)
	v_cmpx_gt_u32_e64 s11, v13
; %bb.34:
	v_add_nc_u32_e32 v12, s5, v21
	v_add_nc_u32_e32 v13, s7, v21
	s_delay_alu instid0(VALU_DEP_2) | instskip(NEXT) | instid1(VALU_DEP_2)
	v_mul_lo_u32 v12, v12, s4
	v_mul_lo_u32 v13, v13, s6
	s_delay_alu instid0(VALU_DEP_1) | instskip(NEXT) | instid1(VALU_DEP_1)
	v_sub_nc_u32_e32 v12, v12, v13
	v_cmp_lt_u32_e32 vcc_lo, s3, v12
	v_cndmask_b32_e64 v12, 0, 1, vcc_lo
; %bb.35:
	s_or_b32 exec_lo, exec_lo, s0
	v_add_nc_u32_e32 v13, 12, v36
	v_mov_b32_e32 v37, 0
	s_mov_b32 s0, exec_lo
	s_delay_alu instid0(VALU_DEP_2)
	v_cmpx_gt_u32_e64 s11, v13
; %bb.36:
	v_add_nc_u32_e32 v13, s5, v35
	v_add_nc_u32_e32 v14, s7, v35
	s_delay_alu instid0(VALU_DEP_2) | instskip(NEXT) | instid1(VALU_DEP_2)
	v_mul_lo_u32 v13, v13, s4
	v_mul_lo_u32 v14, v14, s6
	s_delay_alu instid0(VALU_DEP_1) | instskip(NEXT) | instid1(VALU_DEP_1)
	v_sub_nc_u32_e32 v13, v13, v14
	v_cmp_lt_u32_e32 vcc_lo, s3, v13
	v_cndmask_b32_e64 v37, 0, 1, vcc_lo
; %bb.37:
	s_or_b32 exec_lo, exec_lo, s0
	v_lshlrev_b16 v2, 8, v2
	v_lshlrev_b16 v4, 8, v4
	;; [unrolled: 1-line block ×5, first 2 shown]
	v_or_b32_e32 v1, v1, v2
	v_lshlrev_b16 v2, 8, v12
	v_or_b32_e32 v3, v3, v4
	v_or_b32_e32 v4, v5, v6
	v_or_b32_e32 v5, v7, v8
	v_or_b32_e32 v6, v9, v10
	v_or_b32_e32 v2, v11, v2
	v_and_b32_e32 v1, 0xffff, v1
	v_lshlrev_b32_e32 v3, 16, v3
	v_and_b32_e32 v4, 0xffff, v4
	v_lshlrev_b32_e32 v5, 16, v5
	;; [unrolled: 2-line block ×3, first 2 shown]
	v_or_b32_e32 v42, v1, v3
	s_delay_alu instid0(VALU_DEP_4) | instskip(NEXT) | instid1(VALU_DEP_3)
	v_or_b32_e32 v40, v4, v5
	v_or_b32_e32 v38, v6, v2
.LBB909_38:
	s_delay_alu instid0(VALU_DEP_3)
	v_and_b32_e32 v44, 0xff, v42
	v_bfe_u32 v45, v42, 8, 8
	v_bfe_u32 v46, v42, 16, 8
	v_lshrrev_b32_e32 v43, 24, v42
	v_and_b32_e32 v47, 0xff, v40
	v_bfe_u32 v48, v40, 8, 8
	v_bfe_u32 v49, v40, 16, 8
	v_add3_u32 v1, v45, v44, v46
	v_lshrrev_b32_e32 v41, 24, v40
	v_and_b32_e32 v50, 0xff, v38
	v_bfe_u32 v51, v38, 8, 8
	v_mbcnt_lo_u32_b32 v53, -1, 0
	v_add3_u32 v1, v1, v43, v47
	v_bfe_u32 v52, v38, 16, 8
	v_lshrrev_b32_e32 v39, 24, v38
	v_and_b32_e32 v2, 0xff, v37
	v_and_b32_e32 v3, 15, v53
	v_add3_u32 v1, v1, v48, v49
	v_or_b32_e32 v4, 31, v0
	v_and_b32_e32 v5, 16, v53
	v_lshrrev_b32_e32 v54, 5, v0
	v_cmp_eq_u32_e64 s6, 0, v3
	v_add3_u32 v1, v1, v41, v50
	v_cmp_lt_u32_e64 s5, 1, v3
	v_cmp_lt_u32_e64 s4, 3, v3
	;; [unrolled: 1-line block ×3, first 2 shown]
	v_cmp_eq_u32_e64 s1, 0, v5
	v_add3_u32 v1, v1, v51, v52
	v_cmp_eq_u32_e64 s0, v4, v0
	s_cmp_lg_u32 s20, 0
	s_mov_b32 s7, -1
	s_delay_alu instid0(VALU_DEP_2)
	v_add3_u32 v55, v1, v39, v2
	s_cbranch_scc0 .LBB909_64
; %bb.39:
	s_delay_alu instid0(VALU_DEP_1) | instskip(NEXT) | instid1(VALU_DEP_1)
	v_mov_b32_dpp v1, v55 row_shr:1 row_mask:0xf bank_mask:0xf
	v_cndmask_b32_e64 v1, v1, 0, s6
	s_delay_alu instid0(VALU_DEP_1) | instskip(NEXT) | instid1(VALU_DEP_1)
	v_add_nc_u32_e32 v1, v1, v55
	v_mov_b32_dpp v2, v1 row_shr:2 row_mask:0xf bank_mask:0xf
	s_delay_alu instid0(VALU_DEP_1) | instskip(NEXT) | instid1(VALU_DEP_1)
	v_cndmask_b32_e64 v2, 0, v2, s5
	v_add_nc_u32_e32 v1, v1, v2
	s_delay_alu instid0(VALU_DEP_1) | instskip(NEXT) | instid1(VALU_DEP_1)
	v_mov_b32_dpp v2, v1 row_shr:4 row_mask:0xf bank_mask:0xf
	v_cndmask_b32_e64 v2, 0, v2, s4
	s_delay_alu instid0(VALU_DEP_1) | instskip(NEXT) | instid1(VALU_DEP_1)
	v_add_nc_u32_e32 v1, v1, v2
	v_mov_b32_dpp v2, v1 row_shr:8 row_mask:0xf bank_mask:0xf
	s_delay_alu instid0(VALU_DEP_1) | instskip(NEXT) | instid1(VALU_DEP_1)
	v_cndmask_b32_e64 v2, 0, v2, s3
	v_add_nc_u32_e32 v1, v1, v2
	ds_swizzle_b32 v2, v1 offset:swizzle(BROADCAST,32,15)
	s_waitcnt lgkmcnt(0)
	v_cndmask_b32_e64 v2, v2, 0, s1
	s_delay_alu instid0(VALU_DEP_1)
	v_add_nc_u32_e32 v1, v1, v2
	s_and_saveexec_b32 s7, s0
	s_cbranch_execz .LBB909_41
; %bb.40:
	v_lshlrev_b32_e32 v2, 2, v54
	ds_store_b32 v2, v1
.LBB909_41:
	s_or_b32 exec_lo, exec_lo, s7
	s_delay_alu instid0(SALU_CYCLE_1)
	s_mov_b32 s7, exec_lo
	s_waitcnt lgkmcnt(0)
	s_barrier
	buffer_gl0_inv
	v_cmpx_gt_u32_e32 8, v0
	s_cbranch_execz .LBB909_43
; %bb.42:
	ds_load_b32 v2, v33
	s_waitcnt lgkmcnt(0)
	v_mov_b32_dpp v4, v2 row_shr:1 row_mask:0xf bank_mask:0xf
	v_and_b32_e32 v3, 7, v53
	s_delay_alu instid0(VALU_DEP_1) | instskip(NEXT) | instid1(VALU_DEP_3)
	v_cmp_ne_u32_e32 vcc_lo, 0, v3
	v_cndmask_b32_e32 v4, 0, v4, vcc_lo
	v_cmp_lt_u32_e32 vcc_lo, 1, v3
	s_delay_alu instid0(VALU_DEP_2) | instskip(NEXT) | instid1(VALU_DEP_1)
	v_add_nc_u32_e32 v2, v4, v2
	v_mov_b32_dpp v4, v2 row_shr:2 row_mask:0xf bank_mask:0xf
	s_delay_alu instid0(VALU_DEP_1) | instskip(SKIP_1) | instid1(VALU_DEP_2)
	v_cndmask_b32_e32 v4, 0, v4, vcc_lo
	v_cmp_lt_u32_e32 vcc_lo, 3, v3
	v_add_nc_u32_e32 v2, v2, v4
	s_delay_alu instid0(VALU_DEP_1) | instskip(NEXT) | instid1(VALU_DEP_1)
	v_mov_b32_dpp v4, v2 row_shr:4 row_mask:0xf bank_mask:0xf
	v_cndmask_b32_e32 v3, 0, v4, vcc_lo
	s_delay_alu instid0(VALU_DEP_1)
	v_add_nc_u32_e32 v2, v2, v3
	ds_store_b32 v33, v2
.LBB909_43:
	s_or_b32 exec_lo, exec_lo, s7
	v_cmp_gt_u32_e32 vcc_lo, 32, v0
	s_mov_b32 s21, exec_lo
	s_waitcnt lgkmcnt(0)
	s_barrier
	buffer_gl0_inv
                                        ; implicit-def: $vgpr8
	v_cmpx_lt_u32_e32 31, v0
	s_cbranch_execz .LBB909_45
; %bb.44:
	v_lshl_add_u32 v2, v54, 2, -4
	ds_load_b32 v8, v2
	s_waitcnt lgkmcnt(0)
	v_add_nc_u32_e32 v1, v8, v1
.LBB909_45:
	s_or_b32 exec_lo, exec_lo, s21
	v_add_nc_u32_e32 v2, -1, v53
	s_delay_alu instid0(VALU_DEP_1) | instskip(NEXT) | instid1(VALU_DEP_1)
	v_cmp_gt_i32_e64 s7, 0, v2
	v_cndmask_b32_e64 v2, v2, v53, s7
	v_cmp_eq_u32_e64 s7, 0, v53
	s_delay_alu instid0(VALU_DEP_2)
	v_lshlrev_b32_e32 v2, 2, v2
	ds_bpermute_b32 v9, v2, v1
	s_and_saveexec_b32 s21, vcc_lo
	s_cbranch_execz .LBB909_63
; %bb.46:
	v_mov_b32_e32 v4, 0
	ds_load_b32 v1, v4 offset:28
	s_and_saveexec_b32 s22, s7
	s_cbranch_execz .LBB909_48
; %bb.47:
	s_add_i32 s24, s20, 32
	s_mov_b32 s25, 0
	v_mov_b32_e32 v2, 1
	s_lshl_b64 s[24:25], s[24:25], 3
	s_delay_alu instid0(SALU_CYCLE_1)
	s_add_u32 s24, s18, s24
	s_addc_u32 s25, s19, s25
	s_waitcnt lgkmcnt(0)
	global_store_b64 v4, v[1:2], s[24:25]
.LBB909_48:
	s_or_b32 exec_lo, exec_lo, s22
	v_xad_u32 v2, v53, -1, s20
	s_mov_b32 s23, 0
	s_mov_b32 s22, exec_lo
	s_delay_alu instid0(VALU_DEP_1) | instskip(NEXT) | instid1(VALU_DEP_1)
	v_add_nc_u32_e32 v3, 32, v2
	v_lshlrev_b64 v[3:4], 3, v[3:4]
	s_delay_alu instid0(VALU_DEP_1) | instskip(NEXT) | instid1(VALU_DEP_2)
	v_add_co_u32 v6, vcc_lo, s18, v3
	v_add_co_ci_u32_e32 v7, vcc_lo, s19, v4, vcc_lo
	global_load_b64 v[4:5], v[6:7], off glc
	s_waitcnt vmcnt(0)
	v_and_b32_e32 v3, 0xff, v5
	s_delay_alu instid0(VALU_DEP_1)
	v_cmpx_eq_u16_e32 0, v3
	s_cbranch_execz .LBB909_51
.LBB909_49:                             ; =>This Inner Loop Header: Depth=1
	global_load_b64 v[4:5], v[6:7], off glc
	s_waitcnt vmcnt(0)
	v_and_b32_e32 v3, 0xff, v5
	s_delay_alu instid0(VALU_DEP_1) | instskip(SKIP_1) | instid1(SALU_CYCLE_1)
	v_cmp_ne_u16_e32 vcc_lo, 0, v3
	s_or_b32 s23, vcc_lo, s23
	s_and_not1_b32 exec_lo, exec_lo, s23
	s_cbranch_execnz .LBB909_49
; %bb.50:
	s_or_b32 exec_lo, exec_lo, s23
.LBB909_51:
	s_delay_alu instid0(SALU_CYCLE_1)
	s_or_b32 exec_lo, exec_lo, s22
	v_cmp_ne_u32_e32 vcc_lo, 31, v53
	v_lshlrev_b32_e64 v11, v53, -1
	v_add_nc_u32_e32 v13, 2, v53
	v_add_nc_u32_e32 v15, 4, v53
	;; [unrolled: 1-line block ×3, first 2 shown]
	v_add_co_ci_u32_e32 v3, vcc_lo, 0, v53, vcc_lo
	v_add_nc_u32_e32 v58, 16, v53
	s_delay_alu instid0(VALU_DEP_2) | instskip(SKIP_2) | instid1(VALU_DEP_1)
	v_lshlrev_b32_e32 v10, 2, v3
	ds_bpermute_b32 v6, v10, v4
	v_and_b32_e32 v3, 0xff, v5
	v_cmp_eq_u16_e32 vcc_lo, 2, v3
	v_and_or_b32 v3, vcc_lo, v11, 0x80000000
	v_cmp_gt_u32_e32 vcc_lo, 30, v53
	s_delay_alu instid0(VALU_DEP_2) | instskip(SKIP_1) | instid1(VALU_DEP_2)
	v_ctz_i32_b32_e32 v3, v3
	v_cndmask_b32_e64 v7, 0, 1, vcc_lo
	v_cmp_lt_u32_e32 vcc_lo, v53, v3
	s_waitcnt lgkmcnt(0)
	s_delay_alu instid0(VALU_DEP_2) | instskip(NEXT) | instid1(VALU_DEP_1)
	v_dual_cndmask_b32 v6, 0, v6 :: v_dual_lshlrev_b32 v7, 1, v7
	v_add_lshl_u32 v12, v7, v53, 2
	v_cmp_gt_u32_e32 vcc_lo, 28, v53
	s_delay_alu instid0(VALU_DEP_3) | instskip(SKIP_4) | instid1(VALU_DEP_1)
	v_add_nc_u32_e32 v4, v6, v4
	v_cndmask_b32_e64 v7, 0, 1, vcc_lo
	v_cmp_le_u32_e32 vcc_lo, v13, v3
	ds_bpermute_b32 v6, v12, v4
	v_lshlrev_b32_e32 v7, 2, v7
	v_add_lshl_u32 v14, v7, v53, 2
	s_waitcnt lgkmcnt(0)
	v_cndmask_b32_e32 v6, 0, v6, vcc_lo
	v_cmp_gt_u32_e32 vcc_lo, 24, v53
	s_delay_alu instid0(VALU_DEP_2) | instskip(SKIP_4) | instid1(VALU_DEP_1)
	v_add_nc_u32_e32 v4, v4, v6
	v_cndmask_b32_e64 v7, 0, 1, vcc_lo
	v_cmp_le_u32_e32 vcc_lo, v15, v3
	ds_bpermute_b32 v6, v14, v4
	v_lshlrev_b32_e32 v7, 3, v7
	v_add_lshl_u32 v17, v7, v53, 2
	s_waitcnt lgkmcnt(0)
	v_cndmask_b32_e32 v6, 0, v6, vcc_lo
	v_cmp_gt_u32_e32 vcc_lo, 16, v53
	s_delay_alu instid0(VALU_DEP_2) | instskip(SKIP_4) | instid1(VALU_DEP_1)
	v_add_nc_u32_e32 v4, v4, v6
	v_cndmask_b32_e64 v7, 0, 1, vcc_lo
	v_cmp_le_u32_e32 vcc_lo, v56, v3
	ds_bpermute_b32 v6, v17, v4
	v_lshlrev_b32_e32 v7, 4, v7
	v_add_lshl_u32 v57, v7, v53, 2
	s_waitcnt lgkmcnt(0)
	v_cndmask_b32_e32 v6, 0, v6, vcc_lo
	v_cmp_le_u32_e32 vcc_lo, v58, v3
	s_delay_alu instid0(VALU_DEP_2) | instskip(SKIP_3) | instid1(VALU_DEP_1)
	v_add_nc_u32_e32 v4, v4, v6
	ds_bpermute_b32 v6, v57, v4
	s_waitcnt lgkmcnt(0)
	v_cndmask_b32_e32 v3, 0, v6, vcc_lo
	v_dual_mov_b32 v3, 0 :: v_dual_add_nc_u32 v4, v4, v3
	s_branch .LBB909_53
.LBB909_52:                             ;   in Loop: Header=BB909_53 Depth=1
	s_or_b32 exec_lo, exec_lo, s22
	ds_bpermute_b32 v7, v10, v4
	v_and_b32_e32 v6, 0xff, v5
	v_subrev_nc_u32_e32 v2, 32, v2
	s_delay_alu instid0(VALU_DEP_2) | instskip(SKIP_1) | instid1(VALU_DEP_1)
	v_cmp_eq_u16_e32 vcc_lo, 2, v6
	v_and_or_b32 v6, vcc_lo, v11, 0x80000000
	v_ctz_i32_b32_e32 v6, v6
	s_delay_alu instid0(VALU_DEP_1) | instskip(SKIP_3) | instid1(VALU_DEP_2)
	v_cmp_lt_u32_e32 vcc_lo, v53, v6
	s_waitcnt lgkmcnt(0)
	v_cndmask_b32_e32 v7, 0, v7, vcc_lo
	v_cmp_le_u32_e32 vcc_lo, v13, v6
	v_add_nc_u32_e32 v4, v7, v4
	ds_bpermute_b32 v7, v12, v4
	s_waitcnt lgkmcnt(0)
	v_cndmask_b32_e32 v7, 0, v7, vcc_lo
	v_cmp_le_u32_e32 vcc_lo, v15, v6
	s_delay_alu instid0(VALU_DEP_2) | instskip(SKIP_4) | instid1(VALU_DEP_2)
	v_add_nc_u32_e32 v4, v4, v7
	ds_bpermute_b32 v7, v14, v4
	s_waitcnt lgkmcnt(0)
	v_cndmask_b32_e32 v7, 0, v7, vcc_lo
	v_cmp_le_u32_e32 vcc_lo, v56, v6
	v_add_nc_u32_e32 v4, v4, v7
	ds_bpermute_b32 v7, v17, v4
	s_waitcnt lgkmcnt(0)
	v_cndmask_b32_e32 v7, 0, v7, vcc_lo
	v_cmp_le_u32_e32 vcc_lo, v58, v6
	s_delay_alu instid0(VALU_DEP_2) | instskip(SKIP_3) | instid1(VALU_DEP_1)
	v_add_nc_u32_e32 v4, v4, v7
	ds_bpermute_b32 v7, v57, v4
	s_waitcnt lgkmcnt(0)
	v_cndmask_b32_e32 v6, 0, v7, vcc_lo
	v_add3_u32 v4, v6, v16, v4
.LBB909_53:                             ; =>This Loop Header: Depth=1
                                        ;     Child Loop BB909_56 Depth 2
	s_delay_alu instid0(VALU_DEP_1) | instskip(NEXT) | instid1(VALU_DEP_1)
	v_dual_mov_b32 v16, v4 :: v_dual_and_b32 v5, 0xff, v5
	v_cmp_ne_u16_e32 vcc_lo, 2, v5
	v_cndmask_b32_e64 v5, 0, 1, vcc_lo
	;;#ASMSTART
	;;#ASMEND
	s_delay_alu instid0(VALU_DEP_1)
	v_cmp_ne_u32_e32 vcc_lo, 0, v5
	s_cmp_lg_u32 vcc_lo, exec_lo
	s_cbranch_scc1 .LBB909_58
; %bb.54:                               ;   in Loop: Header=BB909_53 Depth=1
	v_lshlrev_b64 v[4:5], 3, v[2:3]
	s_mov_b32 s22, exec_lo
	s_delay_alu instid0(VALU_DEP_1) | instskip(NEXT) | instid1(VALU_DEP_2)
	v_add_co_u32 v6, vcc_lo, s18, v4
	v_add_co_ci_u32_e32 v7, vcc_lo, s19, v5, vcc_lo
	global_load_b64 v[4:5], v[6:7], off glc
	s_waitcnt vmcnt(0)
	v_and_b32_e32 v59, 0xff, v5
	s_delay_alu instid0(VALU_DEP_1)
	v_cmpx_eq_u16_e32 0, v59
	s_cbranch_execz .LBB909_52
; %bb.55:                               ;   in Loop: Header=BB909_53 Depth=1
	s_mov_b32 s23, 0
.LBB909_56:                             ;   Parent Loop BB909_53 Depth=1
                                        ; =>  This Inner Loop Header: Depth=2
	global_load_b64 v[4:5], v[6:7], off glc
	s_waitcnt vmcnt(0)
	v_and_b32_e32 v59, 0xff, v5
	s_delay_alu instid0(VALU_DEP_1) | instskip(SKIP_1) | instid1(SALU_CYCLE_1)
	v_cmp_ne_u16_e32 vcc_lo, 0, v59
	s_or_b32 s23, vcc_lo, s23
	s_and_not1_b32 exec_lo, exec_lo, s23
	s_cbranch_execnz .LBB909_56
; %bb.57:                               ;   in Loop: Header=BB909_53 Depth=1
	s_or_b32 exec_lo, exec_lo, s23
	s_branch .LBB909_52
.LBB909_58:                             ;   in Loop: Header=BB909_53 Depth=1
                                        ; implicit-def: $vgpr4
                                        ; implicit-def: $vgpr5
	s_cbranch_execz .LBB909_53
; %bb.59:
	s_and_saveexec_b32 s22, s7
	s_cbranch_execz .LBB909_61
; %bb.60:
	s_add_i32 s24, s20, 32
	s_mov_b32 s25, 0
	v_dual_mov_b32 v3, 2 :: v_dual_add_nc_u32 v2, v16, v1
	s_lshl_b64 s[24:25], s[24:25], 3
	v_mov_b32_e32 v4, 0
	v_add_nc_u32_e64 v5, 0x3400, 0
	s_add_u32 s24, s18, s24
	s_addc_u32 s25, s19, s25
	global_store_b64 v4, v[2:3], s[24:25]
	ds_store_2addr_b32 v5, v1, v16 offset1:2
.LBB909_61:
	s_or_b32 exec_lo, exec_lo, s22
	s_delay_alu instid0(SALU_CYCLE_1)
	s_and_b32 exec_lo, exec_lo, s2
	s_cbranch_execz .LBB909_63
; %bb.62:
	v_mov_b32_e32 v1, 0
	ds_store_b32 v1, v16 offset:28
.LBB909_63:
	s_or_b32 exec_lo, exec_lo, s21
	v_mov_b32_e32 v1, 0
	s_waitcnt lgkmcnt(0)
	s_waitcnt_vscnt null, 0x0
	s_barrier
	buffer_gl0_inv
	v_cndmask_b32_e64 v2, v9, v8, s7
	ds_load_b32 v1, v1 offset:28
	v_add_nc_u32_e64 v11, 0x3400, 0
	s_waitcnt lgkmcnt(0)
	s_barrier
	v_cndmask_b32_e64 v2, v2, 0, s2
	buffer_gl0_inv
	ds_load_2addr_b32 v[16:17], v11 offset1:2
	v_add_nc_u32_e32 v1, v1, v2
	s_delay_alu instid0(VALU_DEP_1) | instskip(NEXT) | instid1(VALU_DEP_1)
	v_add_nc_u32_e32 v2, v1, v44
	v_add_nc_u32_e32 v3, v2, v45
	s_delay_alu instid0(VALU_DEP_1) | instskip(NEXT) | instid1(VALU_DEP_1)
	v_add_nc_u32_e32 v4, v3, v46
	;; [unrolled: 3-line block ×6, first 2 shown]
	v_add_nc_u32_e32 v13, v12, v39
	s_branch .LBB909_74
.LBB909_64:
                                        ; implicit-def: $vgpr17
                                        ; implicit-def: $vgpr1_vgpr2_vgpr3_vgpr4_vgpr5_vgpr6_vgpr7_vgpr8_vgpr9_vgpr10_vgpr11_vgpr12_vgpr13_vgpr14_vgpr15_vgpr16
	s_and_b32 vcc_lo, exec_lo, s7
	s_cbranch_vccz .LBB909_74
; %bb.65:
	s_delay_alu instid0(VALU_DEP_1) | instskip(NEXT) | instid1(VALU_DEP_1)
	v_mov_b32_dpp v1, v55 row_shr:1 row_mask:0xf bank_mask:0xf
	v_cndmask_b32_e64 v1, v1, 0, s6
	s_delay_alu instid0(VALU_DEP_1) | instskip(NEXT) | instid1(VALU_DEP_1)
	v_add_nc_u32_e32 v1, v1, v55
	v_mov_b32_dpp v2, v1 row_shr:2 row_mask:0xf bank_mask:0xf
	s_delay_alu instid0(VALU_DEP_1) | instskip(NEXT) | instid1(VALU_DEP_1)
	v_cndmask_b32_e64 v2, 0, v2, s5
	v_add_nc_u32_e32 v1, v1, v2
	s_delay_alu instid0(VALU_DEP_1) | instskip(NEXT) | instid1(VALU_DEP_1)
	v_mov_b32_dpp v2, v1 row_shr:4 row_mask:0xf bank_mask:0xf
	v_cndmask_b32_e64 v2, 0, v2, s4
	s_delay_alu instid0(VALU_DEP_1) | instskip(NEXT) | instid1(VALU_DEP_1)
	v_add_nc_u32_e32 v1, v1, v2
	v_mov_b32_dpp v2, v1 row_shr:8 row_mask:0xf bank_mask:0xf
	s_delay_alu instid0(VALU_DEP_1) | instskip(NEXT) | instid1(VALU_DEP_1)
	v_cndmask_b32_e64 v2, 0, v2, s3
	v_add_nc_u32_e32 v1, v1, v2
	ds_swizzle_b32 v2, v1 offset:swizzle(BROADCAST,32,15)
	s_waitcnt lgkmcnt(0)
	v_cndmask_b32_e64 v2, v2, 0, s1
	s_delay_alu instid0(VALU_DEP_1)
	v_add_nc_u32_e32 v1, v1, v2
	s_and_saveexec_b32 s1, s0
	s_cbranch_execz .LBB909_67
; %bb.66:
	v_lshlrev_b32_e32 v2, 2, v54
	ds_store_b32 v2, v1
.LBB909_67:
	s_or_b32 exec_lo, exec_lo, s1
	s_delay_alu instid0(SALU_CYCLE_1)
	s_mov_b32 s0, exec_lo
	s_waitcnt lgkmcnt(0)
	s_barrier
	buffer_gl0_inv
	v_cmpx_gt_u32_e32 8, v0
	s_cbranch_execz .LBB909_69
; %bb.68:
	ds_load_b32 v2, v33
	s_waitcnt lgkmcnt(0)
	v_mov_b32_dpp v4, v2 row_shr:1 row_mask:0xf bank_mask:0xf
	v_and_b32_e32 v3, 7, v53
	s_delay_alu instid0(VALU_DEP_1) | instskip(NEXT) | instid1(VALU_DEP_3)
	v_cmp_ne_u32_e32 vcc_lo, 0, v3
	v_cndmask_b32_e32 v4, 0, v4, vcc_lo
	v_cmp_lt_u32_e32 vcc_lo, 1, v3
	s_delay_alu instid0(VALU_DEP_2) | instskip(NEXT) | instid1(VALU_DEP_1)
	v_add_nc_u32_e32 v2, v4, v2
	v_mov_b32_dpp v4, v2 row_shr:2 row_mask:0xf bank_mask:0xf
	s_delay_alu instid0(VALU_DEP_1) | instskip(SKIP_1) | instid1(VALU_DEP_2)
	v_cndmask_b32_e32 v4, 0, v4, vcc_lo
	v_cmp_lt_u32_e32 vcc_lo, 3, v3
	v_add_nc_u32_e32 v2, v2, v4
	s_delay_alu instid0(VALU_DEP_1) | instskip(NEXT) | instid1(VALU_DEP_1)
	v_mov_b32_dpp v4, v2 row_shr:4 row_mask:0xf bank_mask:0xf
	v_cndmask_b32_e32 v3, 0, v4, vcc_lo
	s_delay_alu instid0(VALU_DEP_1)
	v_add_nc_u32_e32 v2, v2, v3
	ds_store_b32 v33, v2
.LBB909_69:
	s_or_b32 exec_lo, exec_lo, s0
	v_dual_mov_b32 v3, 0 :: v_dual_mov_b32 v2, 0
	s_mov_b32 s0, exec_lo
	s_waitcnt lgkmcnt(0)
	s_barrier
	buffer_gl0_inv
	v_cmpx_lt_u32_e32 31, v0
	s_cbranch_execz .LBB909_71
; %bb.70:
	v_lshl_add_u32 v2, v54, 2, -4
	ds_load_b32 v2, v2
.LBB909_71:
	s_or_b32 exec_lo, exec_lo, s0
	v_add_nc_u32_e32 v4, -1, v53
	s_waitcnt lgkmcnt(0)
	v_add_nc_u32_e32 v1, v2, v1
	ds_load_b32 v16, v3 offset:28
	v_cmp_gt_i32_e32 vcc_lo, 0, v4
	v_cndmask_b32_e32 v4, v4, v53, vcc_lo
	s_delay_alu instid0(VALU_DEP_1)
	v_lshlrev_b32_e32 v4, 2, v4
	ds_bpermute_b32 v1, v4, v1
	s_and_saveexec_b32 s0, s2
	s_cbranch_execz .LBB909_73
; %bb.72:
	v_mov_b32_e32 v3, 0
	v_mov_b32_e32 v17, 2
	s_waitcnt lgkmcnt(1)
	global_store_b64 v3, v[16:17], s[18:19] offset:256
.LBB909_73:
	s_or_b32 exec_lo, exec_lo, s0
	v_cmp_eq_u32_e32 vcc_lo, 0, v53
	s_waitcnt lgkmcnt(0)
	s_waitcnt_vscnt null, 0x0
	s_barrier
	buffer_gl0_inv
	v_mov_b32_e32 v17, 0
	v_cndmask_b32_e32 v1, v1, v2, vcc_lo
	s_delay_alu instid0(VALU_DEP_1) | instskip(NEXT) | instid1(VALU_DEP_1)
	v_cndmask_b32_e64 v1, v1, 0, s2
	v_add_nc_u32_e32 v2, v1, v44
	s_delay_alu instid0(VALU_DEP_1) | instskip(NEXT) | instid1(VALU_DEP_1)
	v_add_nc_u32_e32 v3, v2, v45
	v_add_nc_u32_e32 v4, v3, v46
	s_delay_alu instid0(VALU_DEP_1) | instskip(NEXT) | instid1(VALU_DEP_1)
	v_add_nc_u32_e32 v5, v4, v43
	;; [unrolled: 3-line block ×5, first 2 shown]
	v_add_nc_u32_e32 v12, v11, v52
	s_delay_alu instid0(VALU_DEP_1)
	v_add_nc_u32_e32 v13, v12, v39
.LBB909_74:
	s_waitcnt lgkmcnt(0)
	v_sub_nc_u32_e32 v1, v1, v17
	v_sub_nc_u32_e32 v2, v2, v17
	v_add_nc_u32_e32 v36, v16, v36
	v_lshrrev_b32_e32 v47, 8, v42
	v_lshrrev_b32_e32 v46, 16, v42
	v_sub_nc_u32_e32 v4, v4, v17
	v_sub_nc_u32_e32 v3, v3, v17
	;; [unrolled: 1-line block ×3, first 2 shown]
	v_and_b32_e32 v42, 1, v42
	v_and_b32_e32 v47, 1, v47
	;; [unrolled: 1-line block ×3, first 2 shown]
	v_lshrrev_b32_e32 v45, 8, v40
	v_lshrrev_b32_e32 v44, 16, v40
	v_cmp_eq_u32_e32 vcc_lo, 1, v42
	v_and_b32_e32 v42, 1, v46
	v_sub_nc_u32_e32 v46, v36, v2
	v_lshrrev_b32_e32 v15, 8, v38
	v_lshrrev_b32_e32 v14, 16, v38
	v_cndmask_b32_e32 v1, v48, v1, vcc_lo
	v_cmp_eq_u32_e32 vcc_lo, 1, v47
	v_add_nc_u32_e32 v46, 1, v46
	s_delay_alu instid0(VALU_DEP_3)
	v_lshlrev_b32_e32 v1, 2, v1
	ds_store_b32 v1, v30
	v_cndmask_b32_e32 v1, v46, v2, vcc_lo
	v_sub_nc_u32_e32 v48, v36, v3
	v_sub_nc_u32_e32 v49, v36, v4
	v_cmp_eq_u32_e32 vcc_lo, 1, v42
	v_or_b32_e32 v30, 0x300, v0
	v_lshlrev_b32_e32 v1, 2, v1
	v_add_nc_u32_e32 v48, 2, v48
	v_add_nc_u32_e32 v49, 3, v49
	ds_store_b32 v1, v31
	v_cndmask_b32_e32 v2, v48, v3, vcc_lo
	v_cmp_eq_u32_e32 vcc_lo, 1, v43
	v_or_b32_e32 v31, 0x200, v0
	s_delay_alu instid0(VALU_DEP_3) | instskip(SKIP_2) | instid1(VALU_DEP_3)
	v_dual_cndmask_b32 v3, v49, v4 :: v_dual_lshlrev_b32 v2, 2, v2
	v_sub_nc_u32_e32 v4, v5, v17
	v_sub_nc_u32_e32 v5, v6, v17
	v_lshlrev_b32_e32 v3, 2, v3
	s_delay_alu instid0(VALU_DEP_3) | instskip(NEXT) | instid1(VALU_DEP_3)
	v_sub_nc_u32_e32 v1, v36, v4
	v_sub_nc_u32_e32 v6, v36, v5
	ds_store_b32 v2, v28
	ds_store_b32 v3, v29
	v_and_b32_e32 v2, 1, v40
	v_add_nc_u32_e32 v1, 4, v1
	v_add_nc_u32_e32 v3, 5, v6
	v_sub_nc_u32_e32 v6, v7, v17
	v_and_b32_e32 v7, 1, v45
	v_cmp_eq_u32_e32 vcc_lo, 1, v2
	v_sub_nc_u32_e32 v2, v8, v17
	v_and_b32_e32 v8, 1, v41
	v_or_b32_e32 v29, 0x400, v0
	v_or_b32_e32 v28, 0x500, v0
	v_cndmask_b32_e32 v1, v1, v4, vcc_lo
	v_sub_nc_u32_e32 v4, v36, v6
	v_cmp_eq_u32_e32 vcc_lo, 1, v7
	v_and_b32_e32 v7, 1, v44
	s_delay_alu instid0(VALU_DEP_4) | instskip(NEXT) | instid1(VALU_DEP_4)
	v_lshlrev_b32_e32 v1, 2, v1
	v_dual_cndmask_b32 v3, v3, v5 :: v_dual_add_nc_u32 v4, 6, v4
	v_sub_nc_u32_e32 v5, v36, v2
	s_delay_alu instid0(VALU_DEP_4) | instskip(SKIP_2) | instid1(VALU_DEP_4)
	v_cmp_eq_u32_e32 vcc_lo, 1, v7
	v_sub_nc_u32_e32 v7, v13, v17
	v_add_co_u32 v13, s0, s16, v32
	v_dual_cndmask_b32 v4, v4, v6 :: v_dual_add_nc_u32 v5, 7, v5
	v_cmp_eq_u32_e32 vcc_lo, 1, v8
	v_sub_nc_u32_e32 v6, v9, v17
	v_lshlrev_b32_e32 v3, 2, v3
	ds_store_b32 v1, v26
	ds_store_b32 v3, v27
	v_cndmask_b32_e32 v2, v5, v2, vcc_lo
	v_sub_nc_u32_e32 v1, v36, v6
	v_lshlrev_b32_e32 v3, 2, v4
	v_and_b32_e32 v5, 1, v38
	v_sub_nc_u32_e32 v4, v10, v17
	v_lshlrev_b32_e32 v2, 2, v2
	v_add_nc_u32_e32 v1, 8, v1
	ds_store_b32 v3, v24
	ds_store_b32 v2, v25
	v_cmp_eq_u32_e32 vcc_lo, 1, v5
	v_sub_nc_u32_e32 v3, v11, v17
	v_sub_nc_u32_e32 v2, v36, v4
	v_sub_nc_u32_e32 v5, v12, v17
	v_dual_cndmask_b32 v1, v1, v6 :: v_dual_and_b32 v10, 1, v39
	v_and_b32_e32 v6, 1, v15
	v_sub_nc_u32_e32 v8, v36, v3
	v_add_nc_u32_e32 v2, 9, v2
	v_sub_nc_u32_e32 v9, v36, v5
	v_and_b32_e32 v11, 1, v37
	v_cmp_eq_u32_e32 vcc_lo, 1, v6
	v_add_nc_u32_e32 v6, 10, v8
	v_and_b32_e32 v8, 1, v14
	v_add_nc_u32_e32 v9, 11, v9
	v_dual_cndmask_b32 v2, v2, v4 :: v_dual_lshlrev_b32 v1, 2, v1
	v_sub_nc_u32_e32 v4, v36, v7
	s_delay_alu instid0(VALU_DEP_4) | instskip(SKIP_1) | instid1(VALU_DEP_4)
	v_cmp_eq_u32_e32 vcc_lo, 1, v8
	v_add_co_ci_u32_e64 v14, null, s17, 0, s0
	v_lshlrev_b32_e32 v2, 2, v2
	s_delay_alu instid0(VALU_DEP_4)
	v_dual_cndmask_b32 v3, v6, v3 :: v_dual_add_nc_u32 v4, 12, v4
	v_cmp_eq_u32_e32 vcc_lo, 1, v10
	v_or_b32_e32 v27, 0x600, v0
	v_or_b32_e32 v26, 0x700, v0
	;; [unrolled: 1-line block ×3, first 2 shown]
	v_lshlrev_b32_e32 v3, 2, v3
	v_cndmask_b32_e32 v5, v9, v5, vcc_lo
	v_cmp_eq_u32_e32 vcc_lo, 1, v11
	v_or_b32_e32 v24, 0x900, v0
	s_delay_alu instid0(VALU_DEP_3) | instskip(SKIP_2) | instid1(VALU_DEP_3)
	v_dual_cndmask_b32 v4, v4, v7 :: v_dual_lshlrev_b32 v5, 2, v5
	v_sub_co_u32 v13, vcc_lo, s14, v13
	v_sub_co_ci_u32_e32 v14, vcc_lo, s15, v14, vcc_lo
	v_lshlrev_b32_e32 v4, 2, v4
	ds_store_b32 v1, v22
	ds_store_b32 v2, v23
	;; [unrolled: 1-line block ×5, first 2 shown]
	s_waitcnt lgkmcnt(0)
	s_barrier
	buffer_gl0_inv
	ds_load_2addr_stride64_b32 v[11:12], v33 offset1:4
	ds_load_2addr_stride64_b32 v[9:10], v33 offset0:8 offset1:12
	ds_load_2addr_stride64_b32 v[7:8], v33 offset0:16 offset1:20
	;; [unrolled: 1-line block ×5, first 2 shown]
	ds_load_b32 v20, v33 offset:12288
	v_add_co_u32 v15, vcc_lo, v18, v17
	v_add_co_ci_u32_e32 v17, vcc_lo, 0, v19, vcc_lo
	v_add_co_u32 v13, vcc_lo, v13, v16
	v_add_co_ci_u32_e32 v14, vcc_lo, 0, v14, vcc_lo
	v_cmp_ne_u32_e32 vcc_lo, 1, v34
	s_delay_alu instid0(VALU_DEP_3)
	v_add_co_u32 v18, s0, v13, v15
	v_or_b32_e32 v35, 0x100, v0
	v_or_b32_e32 v23, 0xa00, v0
	;; [unrolled: 1-line block ×4, first 2 shown]
	v_add_co_ci_u32_e64 v19, s0, v14, v17, s0
	s_mov_b32 s0, 0
	s_cbranch_vccnz .LBB909_131
; %bb.75:
	s_mov_b32 s0, exec_lo
                                        ; implicit-def: $vgpr13_vgpr14
	v_cmpx_ge_u32_e64 v0, v16
	s_xor_b32 s0, exec_lo, s0
; %bb.76:
	v_not_b32_e32 v13, v0
	s_delay_alu instid0(VALU_DEP_1) | instskip(SKIP_1) | instid1(VALU_DEP_2)
	v_ashrrev_i32_e32 v14, 31, v13
	v_add_co_u32 v13, vcc_lo, v18, v13
	v_add_co_ci_u32_e32 v14, vcc_lo, v19, v14, vcc_lo
; %bb.77:
	s_and_not1_saveexec_b32 s0, s0
; %bb.78:
	v_add_co_u32 v13, vcc_lo, v15, v0
	v_add_co_ci_u32_e32 v14, vcc_lo, 0, v17, vcc_lo
; %bb.79:
	s_or_b32 exec_lo, exec_lo, s0
	s_delay_alu instid0(VALU_DEP_1) | instskip(SKIP_1) | instid1(VALU_DEP_1)
	v_lshlrev_b64 v[13:14], 2, v[13:14]
	s_mov_b32 s0, exec_lo
	v_add_co_u32 v13, vcc_lo, s12, v13
	s_delay_alu instid0(VALU_DEP_2)
	v_add_co_ci_u32_e32 v14, vcc_lo, s13, v14, vcc_lo
	s_waitcnt lgkmcnt(6)
	global_store_b32 v[13:14], v11, off
                                        ; implicit-def: $vgpr13_vgpr14
	v_cmpx_ge_u32_e64 v35, v16
	s_xor_b32 s0, exec_lo, s0
; %bb.80:
	v_xor_b32_e32 v13, 0xfffffeff, v0
	s_delay_alu instid0(VALU_DEP_1) | instskip(SKIP_1) | instid1(VALU_DEP_2)
	v_ashrrev_i32_e32 v14, 31, v13
	v_add_co_u32 v13, vcc_lo, v18, v13
	v_add_co_ci_u32_e32 v14, vcc_lo, v19, v14, vcc_lo
; %bb.81:
	s_and_not1_saveexec_b32 s0, s0
; %bb.82:
	v_add_co_u32 v13, vcc_lo, v15, v35
	v_add_co_ci_u32_e32 v14, vcc_lo, 0, v17, vcc_lo
; %bb.83:
	s_or_b32 exec_lo, exec_lo, s0
	s_delay_alu instid0(VALU_DEP_1) | instskip(SKIP_1) | instid1(VALU_DEP_1)
	v_lshlrev_b64 v[13:14], 2, v[13:14]
	s_mov_b32 s0, exec_lo
	v_add_co_u32 v13, vcc_lo, s12, v13
	s_delay_alu instid0(VALU_DEP_2)
	v_add_co_ci_u32_e32 v14, vcc_lo, s13, v14, vcc_lo
	global_store_b32 v[13:14], v12, off
                                        ; implicit-def: $vgpr13_vgpr14
	v_cmpx_ge_u32_e64 v31, v16
	s_xor_b32 s0, exec_lo, s0
; %bb.84:
	v_xor_b32_e32 v13, 0xfffffdff, v0
	s_delay_alu instid0(VALU_DEP_1) | instskip(SKIP_1) | instid1(VALU_DEP_2)
	v_ashrrev_i32_e32 v14, 31, v13
	v_add_co_u32 v13, vcc_lo, v18, v13
	v_add_co_ci_u32_e32 v14, vcc_lo, v19, v14, vcc_lo
; %bb.85:
	s_and_not1_saveexec_b32 s0, s0
; %bb.86:
	v_add_co_u32 v13, vcc_lo, v15, v31
	v_add_co_ci_u32_e32 v14, vcc_lo, 0, v17, vcc_lo
; %bb.87:
	s_or_b32 exec_lo, exec_lo, s0
	s_delay_alu instid0(VALU_DEP_1) | instskip(SKIP_1) | instid1(VALU_DEP_1)
	v_lshlrev_b64 v[13:14], 2, v[13:14]
	s_mov_b32 s0, exec_lo
	v_add_co_u32 v13, vcc_lo, s12, v13
	s_delay_alu instid0(VALU_DEP_2)
	v_add_co_ci_u32_e32 v14, vcc_lo, s13, v14, vcc_lo
	s_waitcnt lgkmcnt(5)
	global_store_b32 v[13:14], v9, off
                                        ; implicit-def: $vgpr13_vgpr14
	v_cmpx_ge_u32_e64 v30, v16
	s_xor_b32 s0, exec_lo, s0
; %bb.88:
	v_xor_b32_e32 v13, 0xfffffcff, v0
	s_delay_alu instid0(VALU_DEP_1) | instskip(SKIP_1) | instid1(VALU_DEP_2)
	v_ashrrev_i32_e32 v14, 31, v13
	v_add_co_u32 v13, vcc_lo, v18, v13
	v_add_co_ci_u32_e32 v14, vcc_lo, v19, v14, vcc_lo
; %bb.89:
	s_and_not1_saveexec_b32 s0, s0
; %bb.90:
	v_add_co_u32 v13, vcc_lo, v15, v30
	v_add_co_ci_u32_e32 v14, vcc_lo, 0, v17, vcc_lo
; %bb.91:
	s_or_b32 exec_lo, exec_lo, s0
	s_delay_alu instid0(VALU_DEP_1) | instskip(SKIP_1) | instid1(VALU_DEP_1)
	v_lshlrev_b64 v[13:14], 2, v[13:14]
	s_mov_b32 s0, exec_lo
	v_add_co_u32 v13, vcc_lo, s12, v13
	s_delay_alu instid0(VALU_DEP_2)
	v_add_co_ci_u32_e32 v14, vcc_lo, s13, v14, vcc_lo
	global_store_b32 v[13:14], v10, off
                                        ; implicit-def: $vgpr13_vgpr14
	v_cmpx_ge_u32_e64 v29, v16
	s_xor_b32 s0, exec_lo, s0
; %bb.92:
	v_xor_b32_e32 v13, 0xfffffbff, v0
	s_delay_alu instid0(VALU_DEP_1) | instskip(SKIP_1) | instid1(VALU_DEP_2)
	v_ashrrev_i32_e32 v14, 31, v13
	v_add_co_u32 v13, vcc_lo, v18, v13
	v_add_co_ci_u32_e32 v14, vcc_lo, v19, v14, vcc_lo
; %bb.93:
	s_and_not1_saveexec_b32 s0, s0
; %bb.94:
	v_add_co_u32 v13, vcc_lo, v15, v29
	v_add_co_ci_u32_e32 v14, vcc_lo, 0, v17, vcc_lo
; %bb.95:
	s_or_b32 exec_lo, exec_lo, s0
	s_delay_alu instid0(VALU_DEP_1) | instskip(SKIP_1) | instid1(VALU_DEP_1)
	v_lshlrev_b64 v[13:14], 2, v[13:14]
	s_mov_b32 s0, exec_lo
	v_add_co_u32 v13, vcc_lo, s12, v13
	s_delay_alu instid0(VALU_DEP_2)
	v_add_co_ci_u32_e32 v14, vcc_lo, s13, v14, vcc_lo
	s_waitcnt lgkmcnt(4)
	global_store_b32 v[13:14], v7, off
                                        ; implicit-def: $vgpr13_vgpr14
	v_cmpx_ge_u32_e64 v28, v16
	s_xor_b32 s0, exec_lo, s0
; %bb.96:
	v_xor_b32_e32 v13, 0xfffffaff, v0
	s_delay_alu instid0(VALU_DEP_1) | instskip(SKIP_1) | instid1(VALU_DEP_2)
	v_ashrrev_i32_e32 v14, 31, v13
	v_add_co_u32 v13, vcc_lo, v18, v13
	v_add_co_ci_u32_e32 v14, vcc_lo, v19, v14, vcc_lo
; %bb.97:
	s_and_not1_saveexec_b32 s0, s0
; %bb.98:
	v_add_co_u32 v13, vcc_lo, v15, v28
	v_add_co_ci_u32_e32 v14, vcc_lo, 0, v17, vcc_lo
; %bb.99:
	s_or_b32 exec_lo, exec_lo, s0
	s_delay_alu instid0(VALU_DEP_1) | instskip(SKIP_1) | instid1(VALU_DEP_1)
	v_lshlrev_b64 v[13:14], 2, v[13:14]
	s_mov_b32 s0, exec_lo
	v_add_co_u32 v13, vcc_lo, s12, v13
	s_delay_alu instid0(VALU_DEP_2)
	v_add_co_ci_u32_e32 v14, vcc_lo, s13, v14, vcc_lo
	global_store_b32 v[13:14], v8, off
                                        ; implicit-def: $vgpr13_vgpr14
	v_cmpx_ge_u32_e64 v27, v16
	s_xor_b32 s0, exec_lo, s0
; %bb.100:
	v_xor_b32_e32 v13, 0xfffff9ff, v0
	s_delay_alu instid0(VALU_DEP_1) | instskip(SKIP_1) | instid1(VALU_DEP_2)
	v_ashrrev_i32_e32 v14, 31, v13
	v_add_co_u32 v13, vcc_lo, v18, v13
	v_add_co_ci_u32_e32 v14, vcc_lo, v19, v14, vcc_lo
; %bb.101:
	s_and_not1_saveexec_b32 s0, s0
; %bb.102:
	v_add_co_u32 v13, vcc_lo, v15, v27
	v_add_co_ci_u32_e32 v14, vcc_lo, 0, v17, vcc_lo
; %bb.103:
	s_or_b32 exec_lo, exec_lo, s0
	s_delay_alu instid0(VALU_DEP_1) | instskip(SKIP_1) | instid1(VALU_DEP_1)
	v_lshlrev_b64 v[13:14], 2, v[13:14]
	s_mov_b32 s0, exec_lo
	v_add_co_u32 v13, vcc_lo, s12, v13
	s_delay_alu instid0(VALU_DEP_2)
	v_add_co_ci_u32_e32 v14, vcc_lo, s13, v14, vcc_lo
	s_waitcnt lgkmcnt(3)
	global_store_b32 v[13:14], v5, off
                                        ; implicit-def: $vgpr13_vgpr14
	v_cmpx_ge_u32_e64 v26, v16
	s_xor_b32 s0, exec_lo, s0
; %bb.104:
	v_xor_b32_e32 v13, 0xfffff8ff, v0
	s_delay_alu instid0(VALU_DEP_1) | instskip(SKIP_1) | instid1(VALU_DEP_2)
	v_ashrrev_i32_e32 v14, 31, v13
	v_add_co_u32 v13, vcc_lo, v18, v13
	v_add_co_ci_u32_e32 v14, vcc_lo, v19, v14, vcc_lo
; %bb.105:
	s_and_not1_saveexec_b32 s0, s0
; %bb.106:
	v_add_co_u32 v13, vcc_lo, v15, v26
	v_add_co_ci_u32_e32 v14, vcc_lo, 0, v17, vcc_lo
; %bb.107:
	s_or_b32 exec_lo, exec_lo, s0
	s_delay_alu instid0(VALU_DEP_1) | instskip(SKIP_1) | instid1(VALU_DEP_1)
	v_lshlrev_b64 v[13:14], 2, v[13:14]
	s_mov_b32 s0, exec_lo
	v_add_co_u32 v13, vcc_lo, s12, v13
	s_delay_alu instid0(VALU_DEP_2)
	v_add_co_ci_u32_e32 v14, vcc_lo, s13, v14, vcc_lo
	global_store_b32 v[13:14], v6, off
                                        ; implicit-def: $vgpr13_vgpr14
	v_cmpx_ge_u32_e64 v25, v16
	s_xor_b32 s0, exec_lo, s0
; %bb.108:
	v_xor_b32_e32 v13, 0xfffff7ff, v0
	s_delay_alu instid0(VALU_DEP_1) | instskip(SKIP_1) | instid1(VALU_DEP_2)
	v_ashrrev_i32_e32 v14, 31, v13
	v_add_co_u32 v13, vcc_lo, v18, v13
	v_add_co_ci_u32_e32 v14, vcc_lo, v19, v14, vcc_lo
; %bb.109:
	s_and_not1_saveexec_b32 s0, s0
; %bb.110:
	v_add_co_u32 v13, vcc_lo, v15, v25
	v_add_co_ci_u32_e32 v14, vcc_lo, 0, v17, vcc_lo
; %bb.111:
	s_or_b32 exec_lo, exec_lo, s0
	s_delay_alu instid0(VALU_DEP_1) | instskip(SKIP_1) | instid1(VALU_DEP_1)
	v_lshlrev_b64 v[13:14], 2, v[13:14]
	s_mov_b32 s0, exec_lo
	v_add_co_u32 v13, vcc_lo, s12, v13
	s_delay_alu instid0(VALU_DEP_2)
	v_add_co_ci_u32_e32 v14, vcc_lo, s13, v14, vcc_lo
	s_waitcnt lgkmcnt(2)
	global_store_b32 v[13:14], v3, off
                                        ; implicit-def: $vgpr13_vgpr14
	v_cmpx_ge_u32_e64 v24, v16
	s_xor_b32 s0, exec_lo, s0
; %bb.112:
	v_xor_b32_e32 v13, 0xfffff6ff, v0
	s_delay_alu instid0(VALU_DEP_1) | instskip(SKIP_1) | instid1(VALU_DEP_2)
	v_ashrrev_i32_e32 v14, 31, v13
	v_add_co_u32 v13, vcc_lo, v18, v13
	v_add_co_ci_u32_e32 v14, vcc_lo, v19, v14, vcc_lo
; %bb.113:
	s_and_not1_saveexec_b32 s0, s0
; %bb.114:
	v_add_co_u32 v13, vcc_lo, v15, v24
	v_add_co_ci_u32_e32 v14, vcc_lo, 0, v17, vcc_lo
; %bb.115:
	s_or_b32 exec_lo, exec_lo, s0
	s_delay_alu instid0(VALU_DEP_1) | instskip(SKIP_1) | instid1(VALU_DEP_1)
	v_lshlrev_b64 v[13:14], 2, v[13:14]
	s_mov_b32 s0, exec_lo
	v_add_co_u32 v13, vcc_lo, s12, v13
	s_delay_alu instid0(VALU_DEP_2)
	v_add_co_ci_u32_e32 v14, vcc_lo, s13, v14, vcc_lo
	global_store_b32 v[13:14], v4, off
                                        ; implicit-def: $vgpr13_vgpr14
	v_cmpx_ge_u32_e64 v23, v16
	s_xor_b32 s0, exec_lo, s0
; %bb.116:
	v_xor_b32_e32 v13, 0xfffff5ff, v0
	s_delay_alu instid0(VALU_DEP_1) | instskip(SKIP_1) | instid1(VALU_DEP_2)
	v_ashrrev_i32_e32 v14, 31, v13
	v_add_co_u32 v13, vcc_lo, v18, v13
	v_add_co_ci_u32_e32 v14, vcc_lo, v19, v14, vcc_lo
; %bb.117:
	s_and_not1_saveexec_b32 s0, s0
; %bb.118:
	v_add_co_u32 v13, vcc_lo, v15, v23
	v_add_co_ci_u32_e32 v14, vcc_lo, 0, v17, vcc_lo
; %bb.119:
	s_or_b32 exec_lo, exec_lo, s0
	s_delay_alu instid0(VALU_DEP_1) | instskip(SKIP_1) | instid1(VALU_DEP_1)
	v_lshlrev_b64 v[13:14], 2, v[13:14]
	s_mov_b32 s0, exec_lo
	v_add_co_u32 v13, vcc_lo, s12, v13
	s_delay_alu instid0(VALU_DEP_2)
	v_add_co_ci_u32_e32 v14, vcc_lo, s13, v14, vcc_lo
	s_waitcnt lgkmcnt(1)
	global_store_b32 v[13:14], v1, off
                                        ; implicit-def: $vgpr13_vgpr14
	v_cmpx_ge_u32_e64 v22, v16
	s_xor_b32 s0, exec_lo, s0
; %bb.120:
	v_xor_b32_e32 v13, 0xfffff4ff, v0
	s_delay_alu instid0(VALU_DEP_1) | instskip(SKIP_1) | instid1(VALU_DEP_2)
	v_ashrrev_i32_e32 v14, 31, v13
	v_add_co_u32 v13, vcc_lo, v18, v13
	v_add_co_ci_u32_e32 v14, vcc_lo, v19, v14, vcc_lo
; %bb.121:
	s_and_not1_saveexec_b32 s0, s0
; %bb.122:
	v_add_co_u32 v13, vcc_lo, v15, v22
	v_add_co_ci_u32_e32 v14, vcc_lo, 0, v17, vcc_lo
; %bb.123:
	s_or_b32 exec_lo, exec_lo, s0
	s_delay_alu instid0(VALU_DEP_1) | instskip(SKIP_1) | instid1(VALU_DEP_1)
	v_lshlrev_b64 v[13:14], 2, v[13:14]
	s_mov_b32 s0, exec_lo
	v_add_co_u32 v13, vcc_lo, s12, v13
	s_delay_alu instid0(VALU_DEP_2)
	v_add_co_ci_u32_e32 v14, vcc_lo, s13, v14, vcc_lo
	global_store_b32 v[13:14], v2, off
                                        ; implicit-def: $vgpr13_vgpr14
	v_cmpx_ge_u32_e64 v21, v16
	s_xor_b32 s0, exec_lo, s0
; %bb.124:
	v_xor_b32_e32 v13, 0xfffff3ff, v0
	s_delay_alu instid0(VALU_DEP_1) | instskip(SKIP_1) | instid1(VALU_DEP_2)
	v_ashrrev_i32_e32 v14, 31, v13
	v_add_co_u32 v13, vcc_lo, v18, v13
	v_add_co_ci_u32_e32 v14, vcc_lo, v19, v14, vcc_lo
; %bb.125:
	s_and_not1_saveexec_b32 s0, s0
; %bb.126:
	v_add_co_u32 v13, vcc_lo, v15, v21
	v_add_co_ci_u32_e32 v14, vcc_lo, 0, v17, vcc_lo
; %bb.127:
	s_or_b32 exec_lo, exec_lo, s0
	s_mov_b32 s0, -1
.LBB909_128:
	s_delay_alu instid0(SALU_CYCLE_1)
	s_and_saveexec_b32 s1, s0
	s_cbranch_execz .LBB909_211
.LBB909_129:
	s_waitcnt lgkmcnt(1)
	v_lshlrev_b64 v[0:1], 2, v[13:14]
	s_delay_alu instid0(VALU_DEP_1) | instskip(NEXT) | instid1(VALU_DEP_2)
	v_add_co_u32 v0, vcc_lo, s12, v0
	v_add_co_ci_u32_e32 v1, vcc_lo, s13, v1, vcc_lo
	s_waitcnt lgkmcnt(0)
	global_store_b32 v[0:1], v20, off
	s_or_b32 exec_lo, exec_lo, s1
	s_and_b32 s0, s2, s10
	s_delay_alu instid0(SALU_CYCLE_1)
	s_and_saveexec_b32 s1, s0
	s_cbranch_execnz .LBB909_212
.LBB909_130:
	s_nop 0
	s_sendmsg sendmsg(MSG_DEALLOC_VGPRS)
	s_endpgm
.LBB909_131:
                                        ; implicit-def: $vgpr13_vgpr14
	s_cbranch_execz .LBB909_128
; %bb.132:
	s_mov_b32 s1, exec_lo
	v_cmpx_gt_u32_e64 s11, v0
	s_cbranch_execz .LBB909_168
; %bb.133:
	s_mov_b32 s3, exec_lo
                                        ; implicit-def: $vgpr13_vgpr14
	v_cmpx_ge_u32_e64 v0, v16
	s_xor_b32 s3, exec_lo, s3
; %bb.134:
	v_not_b32_e32 v13, v0
	s_delay_alu instid0(VALU_DEP_1) | instskip(SKIP_1) | instid1(VALU_DEP_2)
	v_ashrrev_i32_e32 v14, 31, v13
	v_add_co_u32 v13, vcc_lo, v18, v13
	v_add_co_ci_u32_e32 v14, vcc_lo, v19, v14, vcc_lo
; %bb.135:
	s_and_not1_saveexec_b32 s3, s3
; %bb.136:
	v_add_co_u32 v13, vcc_lo, v15, v0
	v_add_co_ci_u32_e32 v14, vcc_lo, 0, v17, vcc_lo
; %bb.137:
	s_or_b32 exec_lo, exec_lo, s3
	s_delay_alu instid0(VALU_DEP_1) | instskip(NEXT) | instid1(VALU_DEP_1)
	v_lshlrev_b64 v[13:14], 2, v[13:14]
	v_add_co_u32 v13, vcc_lo, s12, v13
	s_delay_alu instid0(VALU_DEP_2) | instskip(SKIP_3) | instid1(SALU_CYCLE_1)
	v_add_co_ci_u32_e32 v14, vcc_lo, s13, v14, vcc_lo
	s_waitcnt lgkmcnt(6)
	global_store_b32 v[13:14], v11, off
	s_or_b32 exec_lo, exec_lo, s1
	s_mov_b32 s1, exec_lo
	v_cmpx_gt_u32_e64 s11, v35
	s_cbranch_execnz .LBB909_169
.LBB909_138:
	s_or_b32 exec_lo, exec_lo, s1
	s_delay_alu instid0(SALU_CYCLE_1)
	s_mov_b32 s1, exec_lo
	v_cmpx_gt_u32_e64 s11, v31
	s_cbranch_execz .LBB909_174
.LBB909_139:
	s_mov_b32 s3, exec_lo
                                        ; implicit-def: $vgpr11_vgpr12
	v_cmpx_ge_u32_e64 v31, v16
	s_xor_b32 s3, exec_lo, s3
	s_cbranch_execz .LBB909_141
; %bb.140:
	s_waitcnt lgkmcnt(6)
	v_xor_b32_e32 v11, 0xfffffdff, v0
                                        ; implicit-def: $vgpr31
	s_delay_alu instid0(VALU_DEP_1) | instskip(SKIP_1) | instid1(VALU_DEP_2)
	v_ashrrev_i32_e32 v12, 31, v11
	v_add_co_u32 v11, vcc_lo, v18, v11
	v_add_co_ci_u32_e32 v12, vcc_lo, v19, v12, vcc_lo
.LBB909_141:
	s_and_not1_saveexec_b32 s3, s3
	s_cbranch_execz .LBB909_143
; %bb.142:
	s_waitcnt lgkmcnt(6)
	v_add_co_u32 v11, vcc_lo, v15, v31
	v_add_co_ci_u32_e32 v12, vcc_lo, 0, v17, vcc_lo
.LBB909_143:
	s_or_b32 exec_lo, exec_lo, s3
	s_waitcnt lgkmcnt(6)
	s_delay_alu instid0(VALU_DEP_1) | instskip(NEXT) | instid1(VALU_DEP_1)
	v_lshlrev_b64 v[11:12], 2, v[11:12]
	v_add_co_u32 v11, vcc_lo, s12, v11
	s_delay_alu instid0(VALU_DEP_2) | instskip(SKIP_3) | instid1(SALU_CYCLE_1)
	v_add_co_ci_u32_e32 v12, vcc_lo, s13, v12, vcc_lo
	s_waitcnt lgkmcnt(5)
	global_store_b32 v[11:12], v9, off
	s_or_b32 exec_lo, exec_lo, s1
	s_mov_b32 s1, exec_lo
	v_cmpx_gt_u32_e64 s11, v30
	s_cbranch_execnz .LBB909_175
.LBB909_144:
	s_or_b32 exec_lo, exec_lo, s1
	s_delay_alu instid0(SALU_CYCLE_1)
	s_mov_b32 s1, exec_lo
	v_cmpx_gt_u32_e64 s11, v29
	s_cbranch_execz .LBB909_180
.LBB909_145:
	s_mov_b32 s3, exec_lo
                                        ; implicit-def: $vgpr9_vgpr10
	v_cmpx_ge_u32_e64 v29, v16
	s_xor_b32 s3, exec_lo, s3
	s_cbranch_execz .LBB909_147
; %bb.146:
	s_waitcnt lgkmcnt(5)
	v_xor_b32_e32 v9, 0xfffffbff, v0
                                        ; implicit-def: $vgpr29
	s_delay_alu instid0(VALU_DEP_1) | instskip(SKIP_1) | instid1(VALU_DEP_2)
	v_ashrrev_i32_e32 v10, 31, v9
	v_add_co_u32 v9, vcc_lo, v18, v9
	v_add_co_ci_u32_e32 v10, vcc_lo, v19, v10, vcc_lo
.LBB909_147:
	s_and_not1_saveexec_b32 s3, s3
	s_cbranch_execz .LBB909_149
; %bb.148:
	s_waitcnt lgkmcnt(5)
	v_add_co_u32 v9, vcc_lo, v15, v29
	v_add_co_ci_u32_e32 v10, vcc_lo, 0, v17, vcc_lo
.LBB909_149:
	s_or_b32 exec_lo, exec_lo, s3
	s_waitcnt lgkmcnt(5)
	s_delay_alu instid0(VALU_DEP_1) | instskip(NEXT) | instid1(VALU_DEP_1)
	v_lshlrev_b64 v[9:10], 2, v[9:10]
	v_add_co_u32 v9, vcc_lo, s12, v9
	s_delay_alu instid0(VALU_DEP_2) | instskip(SKIP_3) | instid1(SALU_CYCLE_1)
	v_add_co_ci_u32_e32 v10, vcc_lo, s13, v10, vcc_lo
	s_waitcnt lgkmcnt(4)
	global_store_b32 v[9:10], v7, off
	s_or_b32 exec_lo, exec_lo, s1
	s_mov_b32 s1, exec_lo
	v_cmpx_gt_u32_e64 s11, v28
	s_cbranch_execnz .LBB909_181
.LBB909_150:
	s_or_b32 exec_lo, exec_lo, s1
	s_delay_alu instid0(SALU_CYCLE_1)
	s_mov_b32 s1, exec_lo
	v_cmpx_gt_u32_e64 s11, v27
	s_cbranch_execz .LBB909_186
.LBB909_151:
	s_mov_b32 s3, exec_lo
                                        ; implicit-def: $vgpr7_vgpr8
	v_cmpx_ge_u32_e64 v27, v16
	s_xor_b32 s3, exec_lo, s3
	s_cbranch_execz .LBB909_153
; %bb.152:
	s_waitcnt lgkmcnt(4)
	v_xor_b32_e32 v7, 0xfffff9ff, v0
                                        ; implicit-def: $vgpr27
	s_delay_alu instid0(VALU_DEP_1) | instskip(SKIP_1) | instid1(VALU_DEP_2)
	v_ashrrev_i32_e32 v8, 31, v7
	v_add_co_u32 v7, vcc_lo, v18, v7
	v_add_co_ci_u32_e32 v8, vcc_lo, v19, v8, vcc_lo
.LBB909_153:
	s_and_not1_saveexec_b32 s3, s3
	s_cbranch_execz .LBB909_155
; %bb.154:
	s_waitcnt lgkmcnt(4)
	v_add_co_u32 v7, vcc_lo, v15, v27
	v_add_co_ci_u32_e32 v8, vcc_lo, 0, v17, vcc_lo
.LBB909_155:
	s_or_b32 exec_lo, exec_lo, s3
	s_waitcnt lgkmcnt(4)
	s_delay_alu instid0(VALU_DEP_1) | instskip(NEXT) | instid1(VALU_DEP_1)
	v_lshlrev_b64 v[7:8], 2, v[7:8]
	v_add_co_u32 v7, vcc_lo, s12, v7
	s_delay_alu instid0(VALU_DEP_2) | instskip(SKIP_3) | instid1(SALU_CYCLE_1)
	v_add_co_ci_u32_e32 v8, vcc_lo, s13, v8, vcc_lo
	s_waitcnt lgkmcnt(3)
	global_store_b32 v[7:8], v5, off
	s_or_b32 exec_lo, exec_lo, s1
	s_mov_b32 s1, exec_lo
	v_cmpx_gt_u32_e64 s11, v26
	s_cbranch_execnz .LBB909_187
.LBB909_156:
	s_or_b32 exec_lo, exec_lo, s1
	s_delay_alu instid0(SALU_CYCLE_1)
	s_mov_b32 s1, exec_lo
	v_cmpx_gt_u32_e64 s11, v25
	s_cbranch_execz .LBB909_192
.LBB909_157:
	s_mov_b32 s3, exec_lo
                                        ; implicit-def: $vgpr5_vgpr6
	v_cmpx_ge_u32_e64 v25, v16
	s_xor_b32 s3, exec_lo, s3
	s_cbranch_execz .LBB909_159
; %bb.158:
	s_waitcnt lgkmcnt(3)
	v_xor_b32_e32 v5, 0xfffff7ff, v0
                                        ; implicit-def: $vgpr25
	s_delay_alu instid0(VALU_DEP_1) | instskip(SKIP_1) | instid1(VALU_DEP_2)
	v_ashrrev_i32_e32 v6, 31, v5
	v_add_co_u32 v5, vcc_lo, v18, v5
	v_add_co_ci_u32_e32 v6, vcc_lo, v19, v6, vcc_lo
.LBB909_159:
	s_and_not1_saveexec_b32 s3, s3
	s_cbranch_execz .LBB909_161
; %bb.160:
	s_waitcnt lgkmcnt(3)
	v_add_co_u32 v5, vcc_lo, v15, v25
	v_add_co_ci_u32_e32 v6, vcc_lo, 0, v17, vcc_lo
.LBB909_161:
	s_or_b32 exec_lo, exec_lo, s3
	s_waitcnt lgkmcnt(3)
	s_delay_alu instid0(VALU_DEP_1) | instskip(NEXT) | instid1(VALU_DEP_1)
	v_lshlrev_b64 v[5:6], 2, v[5:6]
	v_add_co_u32 v5, vcc_lo, s12, v5
	s_delay_alu instid0(VALU_DEP_2) | instskip(SKIP_3) | instid1(SALU_CYCLE_1)
	v_add_co_ci_u32_e32 v6, vcc_lo, s13, v6, vcc_lo
	s_waitcnt lgkmcnt(2)
	global_store_b32 v[5:6], v3, off
	s_or_b32 exec_lo, exec_lo, s1
	s_mov_b32 s1, exec_lo
	v_cmpx_gt_u32_e64 s11, v24
	s_cbranch_execnz .LBB909_193
.LBB909_162:
	s_or_b32 exec_lo, exec_lo, s1
	s_delay_alu instid0(SALU_CYCLE_1)
	s_mov_b32 s1, exec_lo
	v_cmpx_gt_u32_e64 s11, v23
	s_cbranch_execz .LBB909_198
.LBB909_163:
	s_mov_b32 s3, exec_lo
                                        ; implicit-def: $vgpr3_vgpr4
	v_cmpx_ge_u32_e64 v23, v16
	s_xor_b32 s3, exec_lo, s3
	s_cbranch_execz .LBB909_165
; %bb.164:
	s_waitcnt lgkmcnt(2)
	v_xor_b32_e32 v3, 0xfffff5ff, v0
                                        ; implicit-def: $vgpr23
	s_delay_alu instid0(VALU_DEP_1) | instskip(SKIP_1) | instid1(VALU_DEP_2)
	v_ashrrev_i32_e32 v4, 31, v3
	v_add_co_u32 v3, vcc_lo, v18, v3
	v_add_co_ci_u32_e32 v4, vcc_lo, v19, v4, vcc_lo
.LBB909_165:
	s_and_not1_saveexec_b32 s3, s3
	s_cbranch_execz .LBB909_167
; %bb.166:
	s_waitcnt lgkmcnt(2)
	v_add_co_u32 v3, vcc_lo, v15, v23
	v_add_co_ci_u32_e32 v4, vcc_lo, 0, v17, vcc_lo
.LBB909_167:
	s_or_b32 exec_lo, exec_lo, s3
	s_waitcnt lgkmcnt(2)
	s_delay_alu instid0(VALU_DEP_1) | instskip(NEXT) | instid1(VALU_DEP_1)
	v_lshlrev_b64 v[3:4], 2, v[3:4]
	v_add_co_u32 v3, vcc_lo, s12, v3
	s_delay_alu instid0(VALU_DEP_2) | instskip(SKIP_3) | instid1(SALU_CYCLE_1)
	v_add_co_ci_u32_e32 v4, vcc_lo, s13, v4, vcc_lo
	s_waitcnt lgkmcnt(1)
	global_store_b32 v[3:4], v1, off
	s_or_b32 exec_lo, exec_lo, s1
	s_mov_b32 s1, exec_lo
	v_cmpx_gt_u32_e64 s11, v22
	s_cbranch_execz .LBB909_204
	s_branch .LBB909_199
.LBB909_168:
	s_or_b32 exec_lo, exec_lo, s1
	s_delay_alu instid0(SALU_CYCLE_1)
	s_mov_b32 s1, exec_lo
	v_cmpx_gt_u32_e64 s11, v35
	s_cbranch_execz .LBB909_138
.LBB909_169:
	s_mov_b32 s3, exec_lo
                                        ; implicit-def: $vgpr13_vgpr14
	v_cmpx_ge_u32_e64 v35, v16
	s_xor_b32 s3, exec_lo, s3
	s_cbranch_execz .LBB909_171
; %bb.170:
	s_waitcnt lgkmcnt(6)
	v_xor_b32_e32 v11, 0xfffffeff, v0
                                        ; implicit-def: $vgpr35
	s_delay_alu instid0(VALU_DEP_1) | instskip(SKIP_1) | instid1(VALU_DEP_2)
	v_ashrrev_i32_e32 v14, 31, v11
	v_add_co_u32 v13, vcc_lo, v18, v11
	v_add_co_ci_u32_e32 v14, vcc_lo, v19, v14, vcc_lo
.LBB909_171:
	s_and_not1_saveexec_b32 s3, s3
; %bb.172:
	v_add_co_u32 v13, vcc_lo, v15, v35
	v_add_co_ci_u32_e32 v14, vcc_lo, 0, v17, vcc_lo
; %bb.173:
	s_or_b32 exec_lo, exec_lo, s3
	s_delay_alu instid0(VALU_DEP_1) | instskip(NEXT) | instid1(VALU_DEP_1)
	v_lshlrev_b64 v[13:14], 2, v[13:14]
	v_add_co_u32 v13, vcc_lo, s12, v13
	s_delay_alu instid0(VALU_DEP_2) | instskip(SKIP_3) | instid1(SALU_CYCLE_1)
	v_add_co_ci_u32_e32 v14, vcc_lo, s13, v14, vcc_lo
	s_waitcnt lgkmcnt(6)
	global_store_b32 v[13:14], v12, off
	s_or_b32 exec_lo, exec_lo, s1
	s_mov_b32 s1, exec_lo
	v_cmpx_gt_u32_e64 s11, v31
	s_cbranch_execnz .LBB909_139
.LBB909_174:
	s_or_b32 exec_lo, exec_lo, s1
	s_delay_alu instid0(SALU_CYCLE_1)
	s_mov_b32 s1, exec_lo
	v_cmpx_gt_u32_e64 s11, v30
	s_cbranch_execz .LBB909_144
.LBB909_175:
	s_mov_b32 s3, exec_lo
                                        ; implicit-def: $vgpr11_vgpr12
	v_cmpx_ge_u32_e64 v30, v16
	s_xor_b32 s3, exec_lo, s3
	s_cbranch_execz .LBB909_177
; %bb.176:
	s_waitcnt lgkmcnt(5)
	v_xor_b32_e32 v9, 0xfffffcff, v0
                                        ; implicit-def: $vgpr30
	s_delay_alu instid0(VALU_DEP_1) | instskip(SKIP_1) | instid1(VALU_DEP_2)
	v_ashrrev_i32_e32 v12, 31, v9
	v_add_co_u32 v11, vcc_lo, v18, v9
	v_add_co_ci_u32_e32 v12, vcc_lo, v19, v12, vcc_lo
.LBB909_177:
	s_and_not1_saveexec_b32 s3, s3
	s_cbranch_execz .LBB909_179
; %bb.178:
	s_waitcnt lgkmcnt(6)
	v_add_co_u32 v11, vcc_lo, v15, v30
	v_add_co_ci_u32_e32 v12, vcc_lo, 0, v17, vcc_lo
.LBB909_179:
	s_or_b32 exec_lo, exec_lo, s3
	s_waitcnt lgkmcnt(6)
	s_delay_alu instid0(VALU_DEP_1) | instskip(NEXT) | instid1(VALU_DEP_1)
	v_lshlrev_b64 v[11:12], 2, v[11:12]
	v_add_co_u32 v11, vcc_lo, s12, v11
	s_delay_alu instid0(VALU_DEP_2) | instskip(SKIP_3) | instid1(SALU_CYCLE_1)
	v_add_co_ci_u32_e32 v12, vcc_lo, s13, v12, vcc_lo
	s_waitcnt lgkmcnt(5)
	global_store_b32 v[11:12], v10, off
	s_or_b32 exec_lo, exec_lo, s1
	s_mov_b32 s1, exec_lo
	v_cmpx_gt_u32_e64 s11, v29
	s_cbranch_execnz .LBB909_145
.LBB909_180:
	s_or_b32 exec_lo, exec_lo, s1
	s_delay_alu instid0(SALU_CYCLE_1)
	s_mov_b32 s1, exec_lo
	v_cmpx_gt_u32_e64 s11, v28
	s_cbranch_execz .LBB909_150
.LBB909_181:
	s_mov_b32 s3, exec_lo
                                        ; implicit-def: $vgpr9_vgpr10
	v_cmpx_ge_u32_e64 v28, v16
	s_xor_b32 s3, exec_lo, s3
	s_cbranch_execz .LBB909_183
; %bb.182:
	s_waitcnt lgkmcnt(4)
	v_xor_b32_e32 v7, 0xfffffaff, v0
                                        ; implicit-def: $vgpr28
	s_delay_alu instid0(VALU_DEP_1) | instskip(SKIP_1) | instid1(VALU_DEP_2)
	v_ashrrev_i32_e32 v10, 31, v7
	v_add_co_u32 v9, vcc_lo, v18, v7
	v_add_co_ci_u32_e32 v10, vcc_lo, v19, v10, vcc_lo
.LBB909_183:
	s_and_not1_saveexec_b32 s3, s3
	s_cbranch_execz .LBB909_185
; %bb.184:
	s_waitcnt lgkmcnt(5)
	v_add_co_u32 v9, vcc_lo, v15, v28
	v_add_co_ci_u32_e32 v10, vcc_lo, 0, v17, vcc_lo
.LBB909_185:
	s_or_b32 exec_lo, exec_lo, s3
	s_waitcnt lgkmcnt(5)
	s_delay_alu instid0(VALU_DEP_1) | instskip(NEXT) | instid1(VALU_DEP_1)
	v_lshlrev_b64 v[9:10], 2, v[9:10]
	v_add_co_u32 v9, vcc_lo, s12, v9
	s_delay_alu instid0(VALU_DEP_2) | instskip(SKIP_3) | instid1(SALU_CYCLE_1)
	v_add_co_ci_u32_e32 v10, vcc_lo, s13, v10, vcc_lo
	s_waitcnt lgkmcnt(4)
	global_store_b32 v[9:10], v8, off
	s_or_b32 exec_lo, exec_lo, s1
	s_mov_b32 s1, exec_lo
	v_cmpx_gt_u32_e64 s11, v27
	s_cbranch_execnz .LBB909_151
.LBB909_186:
	s_or_b32 exec_lo, exec_lo, s1
	s_delay_alu instid0(SALU_CYCLE_1)
	s_mov_b32 s1, exec_lo
	v_cmpx_gt_u32_e64 s11, v26
	s_cbranch_execz .LBB909_156
.LBB909_187:
	s_mov_b32 s3, exec_lo
                                        ; implicit-def: $vgpr7_vgpr8
	v_cmpx_ge_u32_e64 v26, v16
	s_xor_b32 s3, exec_lo, s3
	s_cbranch_execz .LBB909_189
; %bb.188:
	s_waitcnt lgkmcnt(3)
	v_xor_b32_e32 v5, 0xfffff8ff, v0
                                        ; implicit-def: $vgpr26
	s_delay_alu instid0(VALU_DEP_1) | instskip(SKIP_1) | instid1(VALU_DEP_2)
	v_ashrrev_i32_e32 v8, 31, v5
	v_add_co_u32 v7, vcc_lo, v18, v5
	v_add_co_ci_u32_e32 v8, vcc_lo, v19, v8, vcc_lo
.LBB909_189:
	s_and_not1_saveexec_b32 s3, s3
	s_cbranch_execz .LBB909_191
; %bb.190:
	s_waitcnt lgkmcnt(4)
	v_add_co_u32 v7, vcc_lo, v15, v26
	v_add_co_ci_u32_e32 v8, vcc_lo, 0, v17, vcc_lo
.LBB909_191:
	s_or_b32 exec_lo, exec_lo, s3
	s_waitcnt lgkmcnt(4)
	s_delay_alu instid0(VALU_DEP_1) | instskip(NEXT) | instid1(VALU_DEP_1)
	v_lshlrev_b64 v[7:8], 2, v[7:8]
	v_add_co_u32 v7, vcc_lo, s12, v7
	s_delay_alu instid0(VALU_DEP_2) | instskip(SKIP_3) | instid1(SALU_CYCLE_1)
	v_add_co_ci_u32_e32 v8, vcc_lo, s13, v8, vcc_lo
	s_waitcnt lgkmcnt(3)
	global_store_b32 v[7:8], v6, off
	s_or_b32 exec_lo, exec_lo, s1
	s_mov_b32 s1, exec_lo
	v_cmpx_gt_u32_e64 s11, v25
	s_cbranch_execnz .LBB909_157
.LBB909_192:
	s_or_b32 exec_lo, exec_lo, s1
	s_delay_alu instid0(SALU_CYCLE_1)
	s_mov_b32 s1, exec_lo
	v_cmpx_gt_u32_e64 s11, v24
	s_cbranch_execz .LBB909_162
.LBB909_193:
	s_mov_b32 s3, exec_lo
                                        ; implicit-def: $vgpr5_vgpr6
	v_cmpx_ge_u32_e64 v24, v16
	s_xor_b32 s3, exec_lo, s3
	s_cbranch_execz .LBB909_195
; %bb.194:
	s_waitcnt lgkmcnt(2)
	v_xor_b32_e32 v3, 0xfffff6ff, v0
                                        ; implicit-def: $vgpr24
	s_delay_alu instid0(VALU_DEP_1) | instskip(SKIP_1) | instid1(VALU_DEP_2)
	v_ashrrev_i32_e32 v6, 31, v3
	v_add_co_u32 v5, vcc_lo, v18, v3
	v_add_co_ci_u32_e32 v6, vcc_lo, v19, v6, vcc_lo
.LBB909_195:
	s_and_not1_saveexec_b32 s3, s3
	s_cbranch_execz .LBB909_197
; %bb.196:
	s_waitcnt lgkmcnt(3)
	v_add_co_u32 v5, vcc_lo, v15, v24
	v_add_co_ci_u32_e32 v6, vcc_lo, 0, v17, vcc_lo
.LBB909_197:
	s_or_b32 exec_lo, exec_lo, s3
	s_waitcnt lgkmcnt(3)
	s_delay_alu instid0(VALU_DEP_1) | instskip(NEXT) | instid1(VALU_DEP_1)
	v_lshlrev_b64 v[5:6], 2, v[5:6]
	v_add_co_u32 v5, vcc_lo, s12, v5
	s_delay_alu instid0(VALU_DEP_2) | instskip(SKIP_3) | instid1(SALU_CYCLE_1)
	v_add_co_ci_u32_e32 v6, vcc_lo, s13, v6, vcc_lo
	s_waitcnt lgkmcnt(2)
	global_store_b32 v[5:6], v4, off
	s_or_b32 exec_lo, exec_lo, s1
	s_mov_b32 s1, exec_lo
	v_cmpx_gt_u32_e64 s11, v23
	s_cbranch_execnz .LBB909_163
.LBB909_198:
	s_or_b32 exec_lo, exec_lo, s1
	s_delay_alu instid0(SALU_CYCLE_1)
	s_mov_b32 s1, exec_lo
	v_cmpx_gt_u32_e64 s11, v22
	s_cbranch_execz .LBB909_204
.LBB909_199:
	s_mov_b32 s3, exec_lo
                                        ; implicit-def: $vgpr3_vgpr4
	v_cmpx_ge_u32_e64 v22, v16
	s_xor_b32 s3, exec_lo, s3
	s_cbranch_execz .LBB909_201
; %bb.200:
	s_waitcnt lgkmcnt(1)
	v_xor_b32_e32 v1, 0xfffff4ff, v0
                                        ; implicit-def: $vgpr22
	s_delay_alu instid0(VALU_DEP_1) | instskip(SKIP_1) | instid1(VALU_DEP_2)
	v_ashrrev_i32_e32 v4, 31, v1
	v_add_co_u32 v3, vcc_lo, v18, v1
	v_add_co_ci_u32_e32 v4, vcc_lo, v19, v4, vcc_lo
.LBB909_201:
	s_and_not1_saveexec_b32 s3, s3
	s_cbranch_execz .LBB909_203
; %bb.202:
	s_waitcnt lgkmcnt(2)
	v_add_co_u32 v3, vcc_lo, v15, v22
	v_add_co_ci_u32_e32 v4, vcc_lo, 0, v17, vcc_lo
.LBB909_203:
	s_or_b32 exec_lo, exec_lo, s3
	s_waitcnt lgkmcnt(2)
	s_delay_alu instid0(VALU_DEP_1) | instskip(NEXT) | instid1(VALU_DEP_1)
	v_lshlrev_b64 v[3:4], 2, v[3:4]
	v_add_co_u32 v3, vcc_lo, s12, v3
	s_delay_alu instid0(VALU_DEP_2)
	v_add_co_ci_u32_e32 v4, vcc_lo, s13, v4, vcc_lo
	s_waitcnt lgkmcnt(1)
	global_store_b32 v[3:4], v2, off
.LBB909_204:
	s_or_b32 exec_lo, exec_lo, s1
	s_delay_alu instid0(SALU_CYCLE_1)
	s_mov_b32 s1, exec_lo
                                        ; implicit-def: $vgpr13_vgpr14
	v_cmpx_gt_u32_e64 s11, v21
	s_cbranch_execz .LBB909_210
; %bb.205:
	s_mov_b32 s3, exec_lo
                                        ; implicit-def: $vgpr13_vgpr14
	v_cmpx_ge_u32_e64 v21, v16
	s_xor_b32 s3, exec_lo, s3
	s_cbranch_execz .LBB909_207
; %bb.206:
	v_xor_b32_e32 v0, 0xfffff3ff, v0
                                        ; implicit-def: $vgpr21
	s_waitcnt lgkmcnt(1)
	s_delay_alu instid0(VALU_DEP_1) | instskip(SKIP_1) | instid1(VALU_DEP_2)
	v_ashrrev_i32_e32 v1, 31, v0
	v_add_co_u32 v13, vcc_lo, v18, v0
	v_add_co_ci_u32_e32 v14, vcc_lo, v19, v1, vcc_lo
.LBB909_207:
	s_and_not1_saveexec_b32 s3, s3
; %bb.208:
	v_add_co_u32 v13, vcc_lo, v15, v21
	v_add_co_ci_u32_e32 v14, vcc_lo, 0, v17, vcc_lo
; %bb.209:
	s_or_b32 exec_lo, exec_lo, s3
	s_delay_alu instid0(SALU_CYCLE_1)
	s_or_b32 s0, s0, exec_lo
.LBB909_210:
	s_or_b32 exec_lo, exec_lo, s1
	s_and_saveexec_b32 s1, s0
	s_cbranch_execnz .LBB909_129
.LBB909_211:
	s_or_b32 exec_lo, exec_lo, s1
	s_and_b32 s0, s2, s10
	s_delay_alu instid0(SALU_CYCLE_1)
	s_and_saveexec_b32 s1, s0
	s_cbranch_execz .LBB909_130
.LBB909_212:
	v_add_co_u32 v0, vcc_lo, v15, v16
	s_waitcnt lgkmcnt(1)
	v_mov_b32_e32 v2, 0
	v_add_co_ci_u32_e32 v1, vcc_lo, 0, v17, vcc_lo
	global_store_b64 v2, v[0:1], s[8:9]
	s_nop 0
	s_sendmsg sendmsg(MSG_DEALLOC_VGPRS)
	s_endpgm
	.section	.rodata,"a",@progbits
	.p2align	6, 0x0
	.amdhsa_kernel _ZN7rocprim17ROCPRIM_400000_NS6detail17trampoline_kernelINS0_13select_configILj256ELj13ELNS0_17block_load_methodE3ELS4_3ELS4_3ELNS0_20block_scan_algorithmE0ELj4294967295EEENS1_25partition_config_selectorILNS1_17partition_subalgoE3EjNS0_10empty_typeEbEEZZNS1_14partition_implILS8_3ELb0ES6_jNS0_17counting_iteratorIjlEEPS9_SE_NS0_5tupleIJPjSE_EEENSF_IJSE_SE_EEES9_SG_JZNS1_25segmented_radix_sort_implINS0_14default_configELb1EPKsPsPKlPlN2at6native12_GLOBAL__N_18offset_tEEE10hipError_tPvRmT1_PNSt15iterator_traitsISY_E10value_typeET2_T3_PNSZ_IS14_E10value_typeET4_jRbjT5_S1A_jjP12ihipStream_tbEUljE_EEESV_SW_SX_S14_S18_S1A_T6_T7_T9_mT8_S1C_bDpT10_ENKUlT_T0_E_clISt17integral_constantIbLb0EES1O_IbLb1EEEEDaS1K_S1L_EUlS1K_E_NS1_11comp_targetILNS1_3genE9ELNS1_11target_archE1100ELNS1_3gpuE3ELNS1_3repE0EEENS1_30default_config_static_selectorELNS0_4arch9wavefront6targetE0EEEvSY_
		.amdhsa_group_segment_fixed_size 13324
		.amdhsa_private_segment_fixed_size 0
		.amdhsa_kernarg_size 152
		.amdhsa_user_sgpr_count 15
		.amdhsa_user_sgpr_dispatch_ptr 0
		.amdhsa_user_sgpr_queue_ptr 0
		.amdhsa_user_sgpr_kernarg_segment_ptr 1
		.amdhsa_user_sgpr_dispatch_id 0
		.amdhsa_user_sgpr_private_segment_size 0
		.amdhsa_wavefront_size32 1
		.amdhsa_uses_dynamic_stack 0
		.amdhsa_enable_private_segment 0
		.amdhsa_system_sgpr_workgroup_id_x 1
		.amdhsa_system_sgpr_workgroup_id_y 0
		.amdhsa_system_sgpr_workgroup_id_z 0
		.amdhsa_system_sgpr_workgroup_info 0
		.amdhsa_system_vgpr_workitem_id 0
		.amdhsa_next_free_vgpr 60
		.amdhsa_next_free_sgpr 26
		.amdhsa_reserve_vcc 1
		.amdhsa_float_round_mode_32 0
		.amdhsa_float_round_mode_16_64 0
		.amdhsa_float_denorm_mode_32 3
		.amdhsa_float_denorm_mode_16_64 3
		.amdhsa_dx10_clamp 1
		.amdhsa_ieee_mode 1
		.amdhsa_fp16_overflow 0
		.amdhsa_workgroup_processor_mode 1
		.amdhsa_memory_ordered 1
		.amdhsa_forward_progress 0
		.amdhsa_shared_vgpr_count 0
		.amdhsa_exception_fp_ieee_invalid_op 0
		.amdhsa_exception_fp_denorm_src 0
		.amdhsa_exception_fp_ieee_div_zero 0
		.amdhsa_exception_fp_ieee_overflow 0
		.amdhsa_exception_fp_ieee_underflow 0
		.amdhsa_exception_fp_ieee_inexact 0
		.amdhsa_exception_int_div_zero 0
	.end_amdhsa_kernel
	.section	.text._ZN7rocprim17ROCPRIM_400000_NS6detail17trampoline_kernelINS0_13select_configILj256ELj13ELNS0_17block_load_methodE3ELS4_3ELS4_3ELNS0_20block_scan_algorithmE0ELj4294967295EEENS1_25partition_config_selectorILNS1_17partition_subalgoE3EjNS0_10empty_typeEbEEZZNS1_14partition_implILS8_3ELb0ES6_jNS0_17counting_iteratorIjlEEPS9_SE_NS0_5tupleIJPjSE_EEENSF_IJSE_SE_EEES9_SG_JZNS1_25segmented_radix_sort_implINS0_14default_configELb1EPKsPsPKlPlN2at6native12_GLOBAL__N_18offset_tEEE10hipError_tPvRmT1_PNSt15iterator_traitsISY_E10value_typeET2_T3_PNSZ_IS14_E10value_typeET4_jRbjT5_S1A_jjP12ihipStream_tbEUljE_EEESV_SW_SX_S14_S18_S1A_T6_T7_T9_mT8_S1C_bDpT10_ENKUlT_T0_E_clISt17integral_constantIbLb0EES1O_IbLb1EEEEDaS1K_S1L_EUlS1K_E_NS1_11comp_targetILNS1_3genE9ELNS1_11target_archE1100ELNS1_3gpuE3ELNS1_3repE0EEENS1_30default_config_static_selectorELNS0_4arch9wavefront6targetE0EEEvSY_,"axG",@progbits,_ZN7rocprim17ROCPRIM_400000_NS6detail17trampoline_kernelINS0_13select_configILj256ELj13ELNS0_17block_load_methodE3ELS4_3ELS4_3ELNS0_20block_scan_algorithmE0ELj4294967295EEENS1_25partition_config_selectorILNS1_17partition_subalgoE3EjNS0_10empty_typeEbEEZZNS1_14partition_implILS8_3ELb0ES6_jNS0_17counting_iteratorIjlEEPS9_SE_NS0_5tupleIJPjSE_EEENSF_IJSE_SE_EEES9_SG_JZNS1_25segmented_radix_sort_implINS0_14default_configELb1EPKsPsPKlPlN2at6native12_GLOBAL__N_18offset_tEEE10hipError_tPvRmT1_PNSt15iterator_traitsISY_E10value_typeET2_T3_PNSZ_IS14_E10value_typeET4_jRbjT5_S1A_jjP12ihipStream_tbEUljE_EEESV_SW_SX_S14_S18_S1A_T6_T7_T9_mT8_S1C_bDpT10_ENKUlT_T0_E_clISt17integral_constantIbLb0EES1O_IbLb1EEEEDaS1K_S1L_EUlS1K_E_NS1_11comp_targetILNS1_3genE9ELNS1_11target_archE1100ELNS1_3gpuE3ELNS1_3repE0EEENS1_30default_config_static_selectorELNS0_4arch9wavefront6targetE0EEEvSY_,comdat
.Lfunc_end909:
	.size	_ZN7rocprim17ROCPRIM_400000_NS6detail17trampoline_kernelINS0_13select_configILj256ELj13ELNS0_17block_load_methodE3ELS4_3ELS4_3ELNS0_20block_scan_algorithmE0ELj4294967295EEENS1_25partition_config_selectorILNS1_17partition_subalgoE3EjNS0_10empty_typeEbEEZZNS1_14partition_implILS8_3ELb0ES6_jNS0_17counting_iteratorIjlEEPS9_SE_NS0_5tupleIJPjSE_EEENSF_IJSE_SE_EEES9_SG_JZNS1_25segmented_radix_sort_implINS0_14default_configELb1EPKsPsPKlPlN2at6native12_GLOBAL__N_18offset_tEEE10hipError_tPvRmT1_PNSt15iterator_traitsISY_E10value_typeET2_T3_PNSZ_IS14_E10value_typeET4_jRbjT5_S1A_jjP12ihipStream_tbEUljE_EEESV_SW_SX_S14_S18_S1A_T6_T7_T9_mT8_S1C_bDpT10_ENKUlT_T0_E_clISt17integral_constantIbLb0EES1O_IbLb1EEEEDaS1K_S1L_EUlS1K_E_NS1_11comp_targetILNS1_3genE9ELNS1_11target_archE1100ELNS1_3gpuE3ELNS1_3repE0EEENS1_30default_config_static_selectorELNS0_4arch9wavefront6targetE0EEEvSY_, .Lfunc_end909-_ZN7rocprim17ROCPRIM_400000_NS6detail17trampoline_kernelINS0_13select_configILj256ELj13ELNS0_17block_load_methodE3ELS4_3ELS4_3ELNS0_20block_scan_algorithmE0ELj4294967295EEENS1_25partition_config_selectorILNS1_17partition_subalgoE3EjNS0_10empty_typeEbEEZZNS1_14partition_implILS8_3ELb0ES6_jNS0_17counting_iteratorIjlEEPS9_SE_NS0_5tupleIJPjSE_EEENSF_IJSE_SE_EEES9_SG_JZNS1_25segmented_radix_sort_implINS0_14default_configELb1EPKsPsPKlPlN2at6native12_GLOBAL__N_18offset_tEEE10hipError_tPvRmT1_PNSt15iterator_traitsISY_E10value_typeET2_T3_PNSZ_IS14_E10value_typeET4_jRbjT5_S1A_jjP12ihipStream_tbEUljE_EEESV_SW_SX_S14_S18_S1A_T6_T7_T9_mT8_S1C_bDpT10_ENKUlT_T0_E_clISt17integral_constantIbLb0EES1O_IbLb1EEEEDaS1K_S1L_EUlS1K_E_NS1_11comp_targetILNS1_3genE9ELNS1_11target_archE1100ELNS1_3gpuE3ELNS1_3repE0EEENS1_30default_config_static_selectorELNS0_4arch9wavefront6targetE0EEEvSY_
                                        ; -- End function
	.section	.AMDGPU.csdata,"",@progbits
; Kernel info:
; codeLenInByte = 9040
; NumSgprs: 28
; NumVgprs: 60
; ScratchSize: 0
; MemoryBound: 0
; FloatMode: 240
; IeeeMode: 1
; LDSByteSize: 13324 bytes/workgroup (compile time only)
; SGPRBlocks: 3
; VGPRBlocks: 7
; NumSGPRsForWavesPerEU: 28
; NumVGPRsForWavesPerEU: 60
; Occupancy: 16
; WaveLimiterHint : 0
; COMPUTE_PGM_RSRC2:SCRATCH_EN: 0
; COMPUTE_PGM_RSRC2:USER_SGPR: 15
; COMPUTE_PGM_RSRC2:TRAP_HANDLER: 0
; COMPUTE_PGM_RSRC2:TGID_X_EN: 1
; COMPUTE_PGM_RSRC2:TGID_Y_EN: 0
; COMPUTE_PGM_RSRC2:TGID_Z_EN: 0
; COMPUTE_PGM_RSRC2:TIDIG_COMP_CNT: 0
	.section	.text._ZN7rocprim17ROCPRIM_400000_NS6detail17trampoline_kernelINS0_13select_configILj256ELj13ELNS0_17block_load_methodE3ELS4_3ELS4_3ELNS0_20block_scan_algorithmE0ELj4294967295EEENS1_25partition_config_selectorILNS1_17partition_subalgoE3EjNS0_10empty_typeEbEEZZNS1_14partition_implILS8_3ELb0ES6_jNS0_17counting_iteratorIjlEEPS9_SE_NS0_5tupleIJPjSE_EEENSF_IJSE_SE_EEES9_SG_JZNS1_25segmented_radix_sort_implINS0_14default_configELb1EPKsPsPKlPlN2at6native12_GLOBAL__N_18offset_tEEE10hipError_tPvRmT1_PNSt15iterator_traitsISY_E10value_typeET2_T3_PNSZ_IS14_E10value_typeET4_jRbjT5_S1A_jjP12ihipStream_tbEUljE_EEESV_SW_SX_S14_S18_S1A_T6_T7_T9_mT8_S1C_bDpT10_ENKUlT_T0_E_clISt17integral_constantIbLb0EES1O_IbLb1EEEEDaS1K_S1L_EUlS1K_E_NS1_11comp_targetILNS1_3genE8ELNS1_11target_archE1030ELNS1_3gpuE2ELNS1_3repE0EEENS1_30default_config_static_selectorELNS0_4arch9wavefront6targetE0EEEvSY_,"axG",@progbits,_ZN7rocprim17ROCPRIM_400000_NS6detail17trampoline_kernelINS0_13select_configILj256ELj13ELNS0_17block_load_methodE3ELS4_3ELS4_3ELNS0_20block_scan_algorithmE0ELj4294967295EEENS1_25partition_config_selectorILNS1_17partition_subalgoE3EjNS0_10empty_typeEbEEZZNS1_14partition_implILS8_3ELb0ES6_jNS0_17counting_iteratorIjlEEPS9_SE_NS0_5tupleIJPjSE_EEENSF_IJSE_SE_EEES9_SG_JZNS1_25segmented_radix_sort_implINS0_14default_configELb1EPKsPsPKlPlN2at6native12_GLOBAL__N_18offset_tEEE10hipError_tPvRmT1_PNSt15iterator_traitsISY_E10value_typeET2_T3_PNSZ_IS14_E10value_typeET4_jRbjT5_S1A_jjP12ihipStream_tbEUljE_EEESV_SW_SX_S14_S18_S1A_T6_T7_T9_mT8_S1C_bDpT10_ENKUlT_T0_E_clISt17integral_constantIbLb0EES1O_IbLb1EEEEDaS1K_S1L_EUlS1K_E_NS1_11comp_targetILNS1_3genE8ELNS1_11target_archE1030ELNS1_3gpuE2ELNS1_3repE0EEENS1_30default_config_static_selectorELNS0_4arch9wavefront6targetE0EEEvSY_,comdat
	.globl	_ZN7rocprim17ROCPRIM_400000_NS6detail17trampoline_kernelINS0_13select_configILj256ELj13ELNS0_17block_load_methodE3ELS4_3ELS4_3ELNS0_20block_scan_algorithmE0ELj4294967295EEENS1_25partition_config_selectorILNS1_17partition_subalgoE3EjNS0_10empty_typeEbEEZZNS1_14partition_implILS8_3ELb0ES6_jNS0_17counting_iteratorIjlEEPS9_SE_NS0_5tupleIJPjSE_EEENSF_IJSE_SE_EEES9_SG_JZNS1_25segmented_radix_sort_implINS0_14default_configELb1EPKsPsPKlPlN2at6native12_GLOBAL__N_18offset_tEEE10hipError_tPvRmT1_PNSt15iterator_traitsISY_E10value_typeET2_T3_PNSZ_IS14_E10value_typeET4_jRbjT5_S1A_jjP12ihipStream_tbEUljE_EEESV_SW_SX_S14_S18_S1A_T6_T7_T9_mT8_S1C_bDpT10_ENKUlT_T0_E_clISt17integral_constantIbLb0EES1O_IbLb1EEEEDaS1K_S1L_EUlS1K_E_NS1_11comp_targetILNS1_3genE8ELNS1_11target_archE1030ELNS1_3gpuE2ELNS1_3repE0EEENS1_30default_config_static_selectorELNS0_4arch9wavefront6targetE0EEEvSY_ ; -- Begin function _ZN7rocprim17ROCPRIM_400000_NS6detail17trampoline_kernelINS0_13select_configILj256ELj13ELNS0_17block_load_methodE3ELS4_3ELS4_3ELNS0_20block_scan_algorithmE0ELj4294967295EEENS1_25partition_config_selectorILNS1_17partition_subalgoE3EjNS0_10empty_typeEbEEZZNS1_14partition_implILS8_3ELb0ES6_jNS0_17counting_iteratorIjlEEPS9_SE_NS0_5tupleIJPjSE_EEENSF_IJSE_SE_EEES9_SG_JZNS1_25segmented_radix_sort_implINS0_14default_configELb1EPKsPsPKlPlN2at6native12_GLOBAL__N_18offset_tEEE10hipError_tPvRmT1_PNSt15iterator_traitsISY_E10value_typeET2_T3_PNSZ_IS14_E10value_typeET4_jRbjT5_S1A_jjP12ihipStream_tbEUljE_EEESV_SW_SX_S14_S18_S1A_T6_T7_T9_mT8_S1C_bDpT10_ENKUlT_T0_E_clISt17integral_constantIbLb0EES1O_IbLb1EEEEDaS1K_S1L_EUlS1K_E_NS1_11comp_targetILNS1_3genE8ELNS1_11target_archE1030ELNS1_3gpuE2ELNS1_3repE0EEENS1_30default_config_static_selectorELNS0_4arch9wavefront6targetE0EEEvSY_
	.p2align	8
	.type	_ZN7rocprim17ROCPRIM_400000_NS6detail17trampoline_kernelINS0_13select_configILj256ELj13ELNS0_17block_load_methodE3ELS4_3ELS4_3ELNS0_20block_scan_algorithmE0ELj4294967295EEENS1_25partition_config_selectorILNS1_17partition_subalgoE3EjNS0_10empty_typeEbEEZZNS1_14partition_implILS8_3ELb0ES6_jNS0_17counting_iteratorIjlEEPS9_SE_NS0_5tupleIJPjSE_EEENSF_IJSE_SE_EEES9_SG_JZNS1_25segmented_radix_sort_implINS0_14default_configELb1EPKsPsPKlPlN2at6native12_GLOBAL__N_18offset_tEEE10hipError_tPvRmT1_PNSt15iterator_traitsISY_E10value_typeET2_T3_PNSZ_IS14_E10value_typeET4_jRbjT5_S1A_jjP12ihipStream_tbEUljE_EEESV_SW_SX_S14_S18_S1A_T6_T7_T9_mT8_S1C_bDpT10_ENKUlT_T0_E_clISt17integral_constantIbLb0EES1O_IbLb1EEEEDaS1K_S1L_EUlS1K_E_NS1_11comp_targetILNS1_3genE8ELNS1_11target_archE1030ELNS1_3gpuE2ELNS1_3repE0EEENS1_30default_config_static_selectorELNS0_4arch9wavefront6targetE0EEEvSY_,@function
_ZN7rocprim17ROCPRIM_400000_NS6detail17trampoline_kernelINS0_13select_configILj256ELj13ELNS0_17block_load_methodE3ELS4_3ELS4_3ELNS0_20block_scan_algorithmE0ELj4294967295EEENS1_25partition_config_selectorILNS1_17partition_subalgoE3EjNS0_10empty_typeEbEEZZNS1_14partition_implILS8_3ELb0ES6_jNS0_17counting_iteratorIjlEEPS9_SE_NS0_5tupleIJPjSE_EEENSF_IJSE_SE_EEES9_SG_JZNS1_25segmented_radix_sort_implINS0_14default_configELb1EPKsPsPKlPlN2at6native12_GLOBAL__N_18offset_tEEE10hipError_tPvRmT1_PNSt15iterator_traitsISY_E10value_typeET2_T3_PNSZ_IS14_E10value_typeET4_jRbjT5_S1A_jjP12ihipStream_tbEUljE_EEESV_SW_SX_S14_S18_S1A_T6_T7_T9_mT8_S1C_bDpT10_ENKUlT_T0_E_clISt17integral_constantIbLb0EES1O_IbLb1EEEEDaS1K_S1L_EUlS1K_E_NS1_11comp_targetILNS1_3genE8ELNS1_11target_archE1030ELNS1_3gpuE2ELNS1_3repE0EEENS1_30default_config_static_selectorELNS0_4arch9wavefront6targetE0EEEvSY_: ; @_ZN7rocprim17ROCPRIM_400000_NS6detail17trampoline_kernelINS0_13select_configILj256ELj13ELNS0_17block_load_methodE3ELS4_3ELS4_3ELNS0_20block_scan_algorithmE0ELj4294967295EEENS1_25partition_config_selectorILNS1_17partition_subalgoE3EjNS0_10empty_typeEbEEZZNS1_14partition_implILS8_3ELb0ES6_jNS0_17counting_iteratorIjlEEPS9_SE_NS0_5tupleIJPjSE_EEENSF_IJSE_SE_EEES9_SG_JZNS1_25segmented_radix_sort_implINS0_14default_configELb1EPKsPsPKlPlN2at6native12_GLOBAL__N_18offset_tEEE10hipError_tPvRmT1_PNSt15iterator_traitsISY_E10value_typeET2_T3_PNSZ_IS14_E10value_typeET4_jRbjT5_S1A_jjP12ihipStream_tbEUljE_EEESV_SW_SX_S14_S18_S1A_T6_T7_T9_mT8_S1C_bDpT10_ENKUlT_T0_E_clISt17integral_constantIbLb0EES1O_IbLb1EEEEDaS1K_S1L_EUlS1K_E_NS1_11comp_targetILNS1_3genE8ELNS1_11target_archE1030ELNS1_3gpuE2ELNS1_3repE0EEENS1_30default_config_static_selectorELNS0_4arch9wavefront6targetE0EEEvSY_
; %bb.0:
	.section	.rodata,"a",@progbits
	.p2align	6, 0x0
	.amdhsa_kernel _ZN7rocprim17ROCPRIM_400000_NS6detail17trampoline_kernelINS0_13select_configILj256ELj13ELNS0_17block_load_methodE3ELS4_3ELS4_3ELNS0_20block_scan_algorithmE0ELj4294967295EEENS1_25partition_config_selectorILNS1_17partition_subalgoE3EjNS0_10empty_typeEbEEZZNS1_14partition_implILS8_3ELb0ES6_jNS0_17counting_iteratorIjlEEPS9_SE_NS0_5tupleIJPjSE_EEENSF_IJSE_SE_EEES9_SG_JZNS1_25segmented_radix_sort_implINS0_14default_configELb1EPKsPsPKlPlN2at6native12_GLOBAL__N_18offset_tEEE10hipError_tPvRmT1_PNSt15iterator_traitsISY_E10value_typeET2_T3_PNSZ_IS14_E10value_typeET4_jRbjT5_S1A_jjP12ihipStream_tbEUljE_EEESV_SW_SX_S14_S18_S1A_T6_T7_T9_mT8_S1C_bDpT10_ENKUlT_T0_E_clISt17integral_constantIbLb0EES1O_IbLb1EEEEDaS1K_S1L_EUlS1K_E_NS1_11comp_targetILNS1_3genE8ELNS1_11target_archE1030ELNS1_3gpuE2ELNS1_3repE0EEENS1_30default_config_static_selectorELNS0_4arch9wavefront6targetE0EEEvSY_
		.amdhsa_group_segment_fixed_size 0
		.amdhsa_private_segment_fixed_size 0
		.amdhsa_kernarg_size 152
		.amdhsa_user_sgpr_count 15
		.amdhsa_user_sgpr_dispatch_ptr 0
		.amdhsa_user_sgpr_queue_ptr 0
		.amdhsa_user_sgpr_kernarg_segment_ptr 1
		.amdhsa_user_sgpr_dispatch_id 0
		.amdhsa_user_sgpr_private_segment_size 0
		.amdhsa_wavefront_size32 1
		.amdhsa_uses_dynamic_stack 0
		.amdhsa_enable_private_segment 0
		.amdhsa_system_sgpr_workgroup_id_x 1
		.amdhsa_system_sgpr_workgroup_id_y 0
		.amdhsa_system_sgpr_workgroup_id_z 0
		.amdhsa_system_sgpr_workgroup_info 0
		.amdhsa_system_vgpr_workitem_id 0
		.amdhsa_next_free_vgpr 1
		.amdhsa_next_free_sgpr 1
		.amdhsa_reserve_vcc 0
		.amdhsa_float_round_mode_32 0
		.amdhsa_float_round_mode_16_64 0
		.amdhsa_float_denorm_mode_32 3
		.amdhsa_float_denorm_mode_16_64 3
		.amdhsa_dx10_clamp 1
		.amdhsa_ieee_mode 1
		.amdhsa_fp16_overflow 0
		.amdhsa_workgroup_processor_mode 1
		.amdhsa_memory_ordered 1
		.amdhsa_forward_progress 0
		.amdhsa_shared_vgpr_count 0
		.amdhsa_exception_fp_ieee_invalid_op 0
		.amdhsa_exception_fp_denorm_src 0
		.amdhsa_exception_fp_ieee_div_zero 0
		.amdhsa_exception_fp_ieee_overflow 0
		.amdhsa_exception_fp_ieee_underflow 0
		.amdhsa_exception_fp_ieee_inexact 0
		.amdhsa_exception_int_div_zero 0
	.end_amdhsa_kernel
	.section	.text._ZN7rocprim17ROCPRIM_400000_NS6detail17trampoline_kernelINS0_13select_configILj256ELj13ELNS0_17block_load_methodE3ELS4_3ELS4_3ELNS0_20block_scan_algorithmE0ELj4294967295EEENS1_25partition_config_selectorILNS1_17partition_subalgoE3EjNS0_10empty_typeEbEEZZNS1_14partition_implILS8_3ELb0ES6_jNS0_17counting_iteratorIjlEEPS9_SE_NS0_5tupleIJPjSE_EEENSF_IJSE_SE_EEES9_SG_JZNS1_25segmented_radix_sort_implINS0_14default_configELb1EPKsPsPKlPlN2at6native12_GLOBAL__N_18offset_tEEE10hipError_tPvRmT1_PNSt15iterator_traitsISY_E10value_typeET2_T3_PNSZ_IS14_E10value_typeET4_jRbjT5_S1A_jjP12ihipStream_tbEUljE_EEESV_SW_SX_S14_S18_S1A_T6_T7_T9_mT8_S1C_bDpT10_ENKUlT_T0_E_clISt17integral_constantIbLb0EES1O_IbLb1EEEEDaS1K_S1L_EUlS1K_E_NS1_11comp_targetILNS1_3genE8ELNS1_11target_archE1030ELNS1_3gpuE2ELNS1_3repE0EEENS1_30default_config_static_selectorELNS0_4arch9wavefront6targetE0EEEvSY_,"axG",@progbits,_ZN7rocprim17ROCPRIM_400000_NS6detail17trampoline_kernelINS0_13select_configILj256ELj13ELNS0_17block_load_methodE3ELS4_3ELS4_3ELNS0_20block_scan_algorithmE0ELj4294967295EEENS1_25partition_config_selectorILNS1_17partition_subalgoE3EjNS0_10empty_typeEbEEZZNS1_14partition_implILS8_3ELb0ES6_jNS0_17counting_iteratorIjlEEPS9_SE_NS0_5tupleIJPjSE_EEENSF_IJSE_SE_EEES9_SG_JZNS1_25segmented_radix_sort_implINS0_14default_configELb1EPKsPsPKlPlN2at6native12_GLOBAL__N_18offset_tEEE10hipError_tPvRmT1_PNSt15iterator_traitsISY_E10value_typeET2_T3_PNSZ_IS14_E10value_typeET4_jRbjT5_S1A_jjP12ihipStream_tbEUljE_EEESV_SW_SX_S14_S18_S1A_T6_T7_T9_mT8_S1C_bDpT10_ENKUlT_T0_E_clISt17integral_constantIbLb0EES1O_IbLb1EEEEDaS1K_S1L_EUlS1K_E_NS1_11comp_targetILNS1_3genE8ELNS1_11target_archE1030ELNS1_3gpuE2ELNS1_3repE0EEENS1_30default_config_static_selectorELNS0_4arch9wavefront6targetE0EEEvSY_,comdat
.Lfunc_end910:
	.size	_ZN7rocprim17ROCPRIM_400000_NS6detail17trampoline_kernelINS0_13select_configILj256ELj13ELNS0_17block_load_methodE3ELS4_3ELS4_3ELNS0_20block_scan_algorithmE0ELj4294967295EEENS1_25partition_config_selectorILNS1_17partition_subalgoE3EjNS0_10empty_typeEbEEZZNS1_14partition_implILS8_3ELb0ES6_jNS0_17counting_iteratorIjlEEPS9_SE_NS0_5tupleIJPjSE_EEENSF_IJSE_SE_EEES9_SG_JZNS1_25segmented_radix_sort_implINS0_14default_configELb1EPKsPsPKlPlN2at6native12_GLOBAL__N_18offset_tEEE10hipError_tPvRmT1_PNSt15iterator_traitsISY_E10value_typeET2_T3_PNSZ_IS14_E10value_typeET4_jRbjT5_S1A_jjP12ihipStream_tbEUljE_EEESV_SW_SX_S14_S18_S1A_T6_T7_T9_mT8_S1C_bDpT10_ENKUlT_T0_E_clISt17integral_constantIbLb0EES1O_IbLb1EEEEDaS1K_S1L_EUlS1K_E_NS1_11comp_targetILNS1_3genE8ELNS1_11target_archE1030ELNS1_3gpuE2ELNS1_3repE0EEENS1_30default_config_static_selectorELNS0_4arch9wavefront6targetE0EEEvSY_, .Lfunc_end910-_ZN7rocprim17ROCPRIM_400000_NS6detail17trampoline_kernelINS0_13select_configILj256ELj13ELNS0_17block_load_methodE3ELS4_3ELS4_3ELNS0_20block_scan_algorithmE0ELj4294967295EEENS1_25partition_config_selectorILNS1_17partition_subalgoE3EjNS0_10empty_typeEbEEZZNS1_14partition_implILS8_3ELb0ES6_jNS0_17counting_iteratorIjlEEPS9_SE_NS0_5tupleIJPjSE_EEENSF_IJSE_SE_EEES9_SG_JZNS1_25segmented_radix_sort_implINS0_14default_configELb1EPKsPsPKlPlN2at6native12_GLOBAL__N_18offset_tEEE10hipError_tPvRmT1_PNSt15iterator_traitsISY_E10value_typeET2_T3_PNSZ_IS14_E10value_typeET4_jRbjT5_S1A_jjP12ihipStream_tbEUljE_EEESV_SW_SX_S14_S18_S1A_T6_T7_T9_mT8_S1C_bDpT10_ENKUlT_T0_E_clISt17integral_constantIbLb0EES1O_IbLb1EEEEDaS1K_S1L_EUlS1K_E_NS1_11comp_targetILNS1_3genE8ELNS1_11target_archE1030ELNS1_3gpuE2ELNS1_3repE0EEENS1_30default_config_static_selectorELNS0_4arch9wavefront6targetE0EEEvSY_
                                        ; -- End function
	.section	.AMDGPU.csdata,"",@progbits
; Kernel info:
; codeLenInByte = 0
; NumSgprs: 0
; NumVgprs: 0
; ScratchSize: 0
; MemoryBound: 0
; FloatMode: 240
; IeeeMode: 1
; LDSByteSize: 0 bytes/workgroup (compile time only)
; SGPRBlocks: 0
; VGPRBlocks: 0
; NumSGPRsForWavesPerEU: 1
; NumVGPRsForWavesPerEU: 1
; Occupancy: 16
; WaveLimiterHint : 0
; COMPUTE_PGM_RSRC2:SCRATCH_EN: 0
; COMPUTE_PGM_RSRC2:USER_SGPR: 15
; COMPUTE_PGM_RSRC2:TRAP_HANDLER: 0
; COMPUTE_PGM_RSRC2:TGID_X_EN: 1
; COMPUTE_PGM_RSRC2:TGID_Y_EN: 0
; COMPUTE_PGM_RSRC2:TGID_Z_EN: 0
; COMPUTE_PGM_RSRC2:TIDIG_COMP_CNT: 0
	.section	.text._ZN7rocprim17ROCPRIM_400000_NS6detail17trampoline_kernelINS0_14default_configENS1_36segmented_radix_sort_config_selectorIslEEZNS1_25segmented_radix_sort_implIS3_Lb1EPKsPsPKlPlN2at6native12_GLOBAL__N_18offset_tEEE10hipError_tPvRmT1_PNSt15iterator_traitsISK_E10value_typeET2_T3_PNSL_ISQ_E10value_typeET4_jRbjT5_SW_jjP12ihipStream_tbEUlT_E_NS1_11comp_targetILNS1_3genE0ELNS1_11target_archE4294967295ELNS1_3gpuE0ELNS1_3repE0EEENS1_30default_config_static_selectorELNS0_4arch9wavefront6targetE0EEEvSK_,"axG",@progbits,_ZN7rocprim17ROCPRIM_400000_NS6detail17trampoline_kernelINS0_14default_configENS1_36segmented_radix_sort_config_selectorIslEEZNS1_25segmented_radix_sort_implIS3_Lb1EPKsPsPKlPlN2at6native12_GLOBAL__N_18offset_tEEE10hipError_tPvRmT1_PNSt15iterator_traitsISK_E10value_typeET2_T3_PNSL_ISQ_E10value_typeET4_jRbjT5_SW_jjP12ihipStream_tbEUlT_E_NS1_11comp_targetILNS1_3genE0ELNS1_11target_archE4294967295ELNS1_3gpuE0ELNS1_3repE0EEENS1_30default_config_static_selectorELNS0_4arch9wavefront6targetE0EEEvSK_,comdat
	.globl	_ZN7rocprim17ROCPRIM_400000_NS6detail17trampoline_kernelINS0_14default_configENS1_36segmented_radix_sort_config_selectorIslEEZNS1_25segmented_radix_sort_implIS3_Lb1EPKsPsPKlPlN2at6native12_GLOBAL__N_18offset_tEEE10hipError_tPvRmT1_PNSt15iterator_traitsISK_E10value_typeET2_T3_PNSL_ISQ_E10value_typeET4_jRbjT5_SW_jjP12ihipStream_tbEUlT_E_NS1_11comp_targetILNS1_3genE0ELNS1_11target_archE4294967295ELNS1_3gpuE0ELNS1_3repE0EEENS1_30default_config_static_selectorELNS0_4arch9wavefront6targetE0EEEvSK_ ; -- Begin function _ZN7rocprim17ROCPRIM_400000_NS6detail17trampoline_kernelINS0_14default_configENS1_36segmented_radix_sort_config_selectorIslEEZNS1_25segmented_radix_sort_implIS3_Lb1EPKsPsPKlPlN2at6native12_GLOBAL__N_18offset_tEEE10hipError_tPvRmT1_PNSt15iterator_traitsISK_E10value_typeET2_T3_PNSL_ISQ_E10value_typeET4_jRbjT5_SW_jjP12ihipStream_tbEUlT_E_NS1_11comp_targetILNS1_3genE0ELNS1_11target_archE4294967295ELNS1_3gpuE0ELNS1_3repE0EEENS1_30default_config_static_selectorELNS0_4arch9wavefront6targetE0EEEvSK_
	.p2align	8
	.type	_ZN7rocprim17ROCPRIM_400000_NS6detail17trampoline_kernelINS0_14default_configENS1_36segmented_radix_sort_config_selectorIslEEZNS1_25segmented_radix_sort_implIS3_Lb1EPKsPsPKlPlN2at6native12_GLOBAL__N_18offset_tEEE10hipError_tPvRmT1_PNSt15iterator_traitsISK_E10value_typeET2_T3_PNSL_ISQ_E10value_typeET4_jRbjT5_SW_jjP12ihipStream_tbEUlT_E_NS1_11comp_targetILNS1_3genE0ELNS1_11target_archE4294967295ELNS1_3gpuE0ELNS1_3repE0EEENS1_30default_config_static_selectorELNS0_4arch9wavefront6targetE0EEEvSK_,@function
_ZN7rocprim17ROCPRIM_400000_NS6detail17trampoline_kernelINS0_14default_configENS1_36segmented_radix_sort_config_selectorIslEEZNS1_25segmented_radix_sort_implIS3_Lb1EPKsPsPKlPlN2at6native12_GLOBAL__N_18offset_tEEE10hipError_tPvRmT1_PNSt15iterator_traitsISK_E10value_typeET2_T3_PNSL_ISQ_E10value_typeET4_jRbjT5_SW_jjP12ihipStream_tbEUlT_E_NS1_11comp_targetILNS1_3genE0ELNS1_11target_archE4294967295ELNS1_3gpuE0ELNS1_3repE0EEENS1_30default_config_static_selectorELNS0_4arch9wavefront6targetE0EEEvSK_: ; @_ZN7rocprim17ROCPRIM_400000_NS6detail17trampoline_kernelINS0_14default_configENS1_36segmented_radix_sort_config_selectorIslEEZNS1_25segmented_radix_sort_implIS3_Lb1EPKsPsPKlPlN2at6native12_GLOBAL__N_18offset_tEEE10hipError_tPvRmT1_PNSt15iterator_traitsISK_E10value_typeET2_T3_PNSL_ISQ_E10value_typeET4_jRbjT5_SW_jjP12ihipStream_tbEUlT_E_NS1_11comp_targetILNS1_3genE0ELNS1_11target_archE4294967295ELNS1_3gpuE0ELNS1_3repE0EEENS1_30default_config_static_selectorELNS0_4arch9wavefront6targetE0EEEvSK_
; %bb.0:
	.section	.rodata,"a",@progbits
	.p2align	6, 0x0
	.amdhsa_kernel _ZN7rocprim17ROCPRIM_400000_NS6detail17trampoline_kernelINS0_14default_configENS1_36segmented_radix_sort_config_selectorIslEEZNS1_25segmented_radix_sort_implIS3_Lb1EPKsPsPKlPlN2at6native12_GLOBAL__N_18offset_tEEE10hipError_tPvRmT1_PNSt15iterator_traitsISK_E10value_typeET2_T3_PNSL_ISQ_E10value_typeET4_jRbjT5_SW_jjP12ihipStream_tbEUlT_E_NS1_11comp_targetILNS1_3genE0ELNS1_11target_archE4294967295ELNS1_3gpuE0ELNS1_3repE0EEENS1_30default_config_static_selectorELNS0_4arch9wavefront6targetE0EEEvSK_
		.amdhsa_group_segment_fixed_size 0
		.amdhsa_private_segment_fixed_size 0
		.amdhsa_kernarg_size 96
		.amdhsa_user_sgpr_count 15
		.amdhsa_user_sgpr_dispatch_ptr 0
		.amdhsa_user_sgpr_queue_ptr 0
		.amdhsa_user_sgpr_kernarg_segment_ptr 1
		.amdhsa_user_sgpr_dispatch_id 0
		.amdhsa_user_sgpr_private_segment_size 0
		.amdhsa_wavefront_size32 1
		.amdhsa_uses_dynamic_stack 0
		.amdhsa_enable_private_segment 0
		.amdhsa_system_sgpr_workgroup_id_x 1
		.amdhsa_system_sgpr_workgroup_id_y 0
		.amdhsa_system_sgpr_workgroup_id_z 0
		.amdhsa_system_sgpr_workgroup_info 0
		.amdhsa_system_vgpr_workitem_id 0
		.amdhsa_next_free_vgpr 1
		.amdhsa_next_free_sgpr 1
		.amdhsa_reserve_vcc 0
		.amdhsa_float_round_mode_32 0
		.amdhsa_float_round_mode_16_64 0
		.amdhsa_float_denorm_mode_32 3
		.amdhsa_float_denorm_mode_16_64 3
		.amdhsa_dx10_clamp 1
		.amdhsa_ieee_mode 1
		.amdhsa_fp16_overflow 0
		.amdhsa_workgroup_processor_mode 1
		.amdhsa_memory_ordered 1
		.amdhsa_forward_progress 0
		.amdhsa_shared_vgpr_count 0
		.amdhsa_exception_fp_ieee_invalid_op 0
		.amdhsa_exception_fp_denorm_src 0
		.amdhsa_exception_fp_ieee_div_zero 0
		.amdhsa_exception_fp_ieee_overflow 0
		.amdhsa_exception_fp_ieee_underflow 0
		.amdhsa_exception_fp_ieee_inexact 0
		.amdhsa_exception_int_div_zero 0
	.end_amdhsa_kernel
	.section	.text._ZN7rocprim17ROCPRIM_400000_NS6detail17trampoline_kernelINS0_14default_configENS1_36segmented_radix_sort_config_selectorIslEEZNS1_25segmented_radix_sort_implIS3_Lb1EPKsPsPKlPlN2at6native12_GLOBAL__N_18offset_tEEE10hipError_tPvRmT1_PNSt15iterator_traitsISK_E10value_typeET2_T3_PNSL_ISQ_E10value_typeET4_jRbjT5_SW_jjP12ihipStream_tbEUlT_E_NS1_11comp_targetILNS1_3genE0ELNS1_11target_archE4294967295ELNS1_3gpuE0ELNS1_3repE0EEENS1_30default_config_static_selectorELNS0_4arch9wavefront6targetE0EEEvSK_,"axG",@progbits,_ZN7rocprim17ROCPRIM_400000_NS6detail17trampoline_kernelINS0_14default_configENS1_36segmented_radix_sort_config_selectorIslEEZNS1_25segmented_radix_sort_implIS3_Lb1EPKsPsPKlPlN2at6native12_GLOBAL__N_18offset_tEEE10hipError_tPvRmT1_PNSt15iterator_traitsISK_E10value_typeET2_T3_PNSL_ISQ_E10value_typeET4_jRbjT5_SW_jjP12ihipStream_tbEUlT_E_NS1_11comp_targetILNS1_3genE0ELNS1_11target_archE4294967295ELNS1_3gpuE0ELNS1_3repE0EEENS1_30default_config_static_selectorELNS0_4arch9wavefront6targetE0EEEvSK_,comdat
.Lfunc_end911:
	.size	_ZN7rocprim17ROCPRIM_400000_NS6detail17trampoline_kernelINS0_14default_configENS1_36segmented_radix_sort_config_selectorIslEEZNS1_25segmented_radix_sort_implIS3_Lb1EPKsPsPKlPlN2at6native12_GLOBAL__N_18offset_tEEE10hipError_tPvRmT1_PNSt15iterator_traitsISK_E10value_typeET2_T3_PNSL_ISQ_E10value_typeET4_jRbjT5_SW_jjP12ihipStream_tbEUlT_E_NS1_11comp_targetILNS1_3genE0ELNS1_11target_archE4294967295ELNS1_3gpuE0ELNS1_3repE0EEENS1_30default_config_static_selectorELNS0_4arch9wavefront6targetE0EEEvSK_, .Lfunc_end911-_ZN7rocprim17ROCPRIM_400000_NS6detail17trampoline_kernelINS0_14default_configENS1_36segmented_radix_sort_config_selectorIslEEZNS1_25segmented_radix_sort_implIS3_Lb1EPKsPsPKlPlN2at6native12_GLOBAL__N_18offset_tEEE10hipError_tPvRmT1_PNSt15iterator_traitsISK_E10value_typeET2_T3_PNSL_ISQ_E10value_typeET4_jRbjT5_SW_jjP12ihipStream_tbEUlT_E_NS1_11comp_targetILNS1_3genE0ELNS1_11target_archE4294967295ELNS1_3gpuE0ELNS1_3repE0EEENS1_30default_config_static_selectorELNS0_4arch9wavefront6targetE0EEEvSK_
                                        ; -- End function
	.section	.AMDGPU.csdata,"",@progbits
; Kernel info:
; codeLenInByte = 0
; NumSgprs: 0
; NumVgprs: 0
; ScratchSize: 0
; MemoryBound: 0
; FloatMode: 240
; IeeeMode: 1
; LDSByteSize: 0 bytes/workgroup (compile time only)
; SGPRBlocks: 0
; VGPRBlocks: 0
; NumSGPRsForWavesPerEU: 1
; NumVGPRsForWavesPerEU: 1
; Occupancy: 16
; WaveLimiterHint : 0
; COMPUTE_PGM_RSRC2:SCRATCH_EN: 0
; COMPUTE_PGM_RSRC2:USER_SGPR: 15
; COMPUTE_PGM_RSRC2:TRAP_HANDLER: 0
; COMPUTE_PGM_RSRC2:TGID_X_EN: 1
; COMPUTE_PGM_RSRC2:TGID_Y_EN: 0
; COMPUTE_PGM_RSRC2:TGID_Z_EN: 0
; COMPUTE_PGM_RSRC2:TIDIG_COMP_CNT: 0
	.section	.text._ZN7rocprim17ROCPRIM_400000_NS6detail17trampoline_kernelINS0_14default_configENS1_36segmented_radix_sort_config_selectorIslEEZNS1_25segmented_radix_sort_implIS3_Lb1EPKsPsPKlPlN2at6native12_GLOBAL__N_18offset_tEEE10hipError_tPvRmT1_PNSt15iterator_traitsISK_E10value_typeET2_T3_PNSL_ISQ_E10value_typeET4_jRbjT5_SW_jjP12ihipStream_tbEUlT_E_NS1_11comp_targetILNS1_3genE5ELNS1_11target_archE942ELNS1_3gpuE9ELNS1_3repE0EEENS1_30default_config_static_selectorELNS0_4arch9wavefront6targetE0EEEvSK_,"axG",@progbits,_ZN7rocprim17ROCPRIM_400000_NS6detail17trampoline_kernelINS0_14default_configENS1_36segmented_radix_sort_config_selectorIslEEZNS1_25segmented_radix_sort_implIS3_Lb1EPKsPsPKlPlN2at6native12_GLOBAL__N_18offset_tEEE10hipError_tPvRmT1_PNSt15iterator_traitsISK_E10value_typeET2_T3_PNSL_ISQ_E10value_typeET4_jRbjT5_SW_jjP12ihipStream_tbEUlT_E_NS1_11comp_targetILNS1_3genE5ELNS1_11target_archE942ELNS1_3gpuE9ELNS1_3repE0EEENS1_30default_config_static_selectorELNS0_4arch9wavefront6targetE0EEEvSK_,comdat
	.globl	_ZN7rocprim17ROCPRIM_400000_NS6detail17trampoline_kernelINS0_14default_configENS1_36segmented_radix_sort_config_selectorIslEEZNS1_25segmented_radix_sort_implIS3_Lb1EPKsPsPKlPlN2at6native12_GLOBAL__N_18offset_tEEE10hipError_tPvRmT1_PNSt15iterator_traitsISK_E10value_typeET2_T3_PNSL_ISQ_E10value_typeET4_jRbjT5_SW_jjP12ihipStream_tbEUlT_E_NS1_11comp_targetILNS1_3genE5ELNS1_11target_archE942ELNS1_3gpuE9ELNS1_3repE0EEENS1_30default_config_static_selectorELNS0_4arch9wavefront6targetE0EEEvSK_ ; -- Begin function _ZN7rocprim17ROCPRIM_400000_NS6detail17trampoline_kernelINS0_14default_configENS1_36segmented_radix_sort_config_selectorIslEEZNS1_25segmented_radix_sort_implIS3_Lb1EPKsPsPKlPlN2at6native12_GLOBAL__N_18offset_tEEE10hipError_tPvRmT1_PNSt15iterator_traitsISK_E10value_typeET2_T3_PNSL_ISQ_E10value_typeET4_jRbjT5_SW_jjP12ihipStream_tbEUlT_E_NS1_11comp_targetILNS1_3genE5ELNS1_11target_archE942ELNS1_3gpuE9ELNS1_3repE0EEENS1_30default_config_static_selectorELNS0_4arch9wavefront6targetE0EEEvSK_
	.p2align	8
	.type	_ZN7rocprim17ROCPRIM_400000_NS6detail17trampoline_kernelINS0_14default_configENS1_36segmented_radix_sort_config_selectorIslEEZNS1_25segmented_radix_sort_implIS3_Lb1EPKsPsPKlPlN2at6native12_GLOBAL__N_18offset_tEEE10hipError_tPvRmT1_PNSt15iterator_traitsISK_E10value_typeET2_T3_PNSL_ISQ_E10value_typeET4_jRbjT5_SW_jjP12ihipStream_tbEUlT_E_NS1_11comp_targetILNS1_3genE5ELNS1_11target_archE942ELNS1_3gpuE9ELNS1_3repE0EEENS1_30default_config_static_selectorELNS0_4arch9wavefront6targetE0EEEvSK_,@function
_ZN7rocprim17ROCPRIM_400000_NS6detail17trampoline_kernelINS0_14default_configENS1_36segmented_radix_sort_config_selectorIslEEZNS1_25segmented_radix_sort_implIS3_Lb1EPKsPsPKlPlN2at6native12_GLOBAL__N_18offset_tEEE10hipError_tPvRmT1_PNSt15iterator_traitsISK_E10value_typeET2_T3_PNSL_ISQ_E10value_typeET4_jRbjT5_SW_jjP12ihipStream_tbEUlT_E_NS1_11comp_targetILNS1_3genE5ELNS1_11target_archE942ELNS1_3gpuE9ELNS1_3repE0EEENS1_30default_config_static_selectorELNS0_4arch9wavefront6targetE0EEEvSK_: ; @_ZN7rocprim17ROCPRIM_400000_NS6detail17trampoline_kernelINS0_14default_configENS1_36segmented_radix_sort_config_selectorIslEEZNS1_25segmented_radix_sort_implIS3_Lb1EPKsPsPKlPlN2at6native12_GLOBAL__N_18offset_tEEE10hipError_tPvRmT1_PNSt15iterator_traitsISK_E10value_typeET2_T3_PNSL_ISQ_E10value_typeET4_jRbjT5_SW_jjP12ihipStream_tbEUlT_E_NS1_11comp_targetILNS1_3genE5ELNS1_11target_archE942ELNS1_3gpuE9ELNS1_3repE0EEENS1_30default_config_static_selectorELNS0_4arch9wavefront6targetE0EEEvSK_
; %bb.0:
	.section	.rodata,"a",@progbits
	.p2align	6, 0x0
	.amdhsa_kernel _ZN7rocprim17ROCPRIM_400000_NS6detail17trampoline_kernelINS0_14default_configENS1_36segmented_radix_sort_config_selectorIslEEZNS1_25segmented_radix_sort_implIS3_Lb1EPKsPsPKlPlN2at6native12_GLOBAL__N_18offset_tEEE10hipError_tPvRmT1_PNSt15iterator_traitsISK_E10value_typeET2_T3_PNSL_ISQ_E10value_typeET4_jRbjT5_SW_jjP12ihipStream_tbEUlT_E_NS1_11comp_targetILNS1_3genE5ELNS1_11target_archE942ELNS1_3gpuE9ELNS1_3repE0EEENS1_30default_config_static_selectorELNS0_4arch9wavefront6targetE0EEEvSK_
		.amdhsa_group_segment_fixed_size 0
		.amdhsa_private_segment_fixed_size 0
		.amdhsa_kernarg_size 96
		.amdhsa_user_sgpr_count 15
		.amdhsa_user_sgpr_dispatch_ptr 0
		.amdhsa_user_sgpr_queue_ptr 0
		.amdhsa_user_sgpr_kernarg_segment_ptr 1
		.amdhsa_user_sgpr_dispatch_id 0
		.amdhsa_user_sgpr_private_segment_size 0
		.amdhsa_wavefront_size32 1
		.amdhsa_uses_dynamic_stack 0
		.amdhsa_enable_private_segment 0
		.amdhsa_system_sgpr_workgroup_id_x 1
		.amdhsa_system_sgpr_workgroup_id_y 0
		.amdhsa_system_sgpr_workgroup_id_z 0
		.amdhsa_system_sgpr_workgroup_info 0
		.amdhsa_system_vgpr_workitem_id 0
		.amdhsa_next_free_vgpr 1
		.amdhsa_next_free_sgpr 1
		.amdhsa_reserve_vcc 0
		.amdhsa_float_round_mode_32 0
		.amdhsa_float_round_mode_16_64 0
		.amdhsa_float_denorm_mode_32 3
		.amdhsa_float_denorm_mode_16_64 3
		.amdhsa_dx10_clamp 1
		.amdhsa_ieee_mode 1
		.amdhsa_fp16_overflow 0
		.amdhsa_workgroup_processor_mode 1
		.amdhsa_memory_ordered 1
		.amdhsa_forward_progress 0
		.amdhsa_shared_vgpr_count 0
		.amdhsa_exception_fp_ieee_invalid_op 0
		.amdhsa_exception_fp_denorm_src 0
		.amdhsa_exception_fp_ieee_div_zero 0
		.amdhsa_exception_fp_ieee_overflow 0
		.amdhsa_exception_fp_ieee_underflow 0
		.amdhsa_exception_fp_ieee_inexact 0
		.amdhsa_exception_int_div_zero 0
	.end_amdhsa_kernel
	.section	.text._ZN7rocprim17ROCPRIM_400000_NS6detail17trampoline_kernelINS0_14default_configENS1_36segmented_radix_sort_config_selectorIslEEZNS1_25segmented_radix_sort_implIS3_Lb1EPKsPsPKlPlN2at6native12_GLOBAL__N_18offset_tEEE10hipError_tPvRmT1_PNSt15iterator_traitsISK_E10value_typeET2_T3_PNSL_ISQ_E10value_typeET4_jRbjT5_SW_jjP12ihipStream_tbEUlT_E_NS1_11comp_targetILNS1_3genE5ELNS1_11target_archE942ELNS1_3gpuE9ELNS1_3repE0EEENS1_30default_config_static_selectorELNS0_4arch9wavefront6targetE0EEEvSK_,"axG",@progbits,_ZN7rocprim17ROCPRIM_400000_NS6detail17trampoline_kernelINS0_14default_configENS1_36segmented_radix_sort_config_selectorIslEEZNS1_25segmented_radix_sort_implIS3_Lb1EPKsPsPKlPlN2at6native12_GLOBAL__N_18offset_tEEE10hipError_tPvRmT1_PNSt15iterator_traitsISK_E10value_typeET2_T3_PNSL_ISQ_E10value_typeET4_jRbjT5_SW_jjP12ihipStream_tbEUlT_E_NS1_11comp_targetILNS1_3genE5ELNS1_11target_archE942ELNS1_3gpuE9ELNS1_3repE0EEENS1_30default_config_static_selectorELNS0_4arch9wavefront6targetE0EEEvSK_,comdat
.Lfunc_end912:
	.size	_ZN7rocprim17ROCPRIM_400000_NS6detail17trampoline_kernelINS0_14default_configENS1_36segmented_radix_sort_config_selectorIslEEZNS1_25segmented_radix_sort_implIS3_Lb1EPKsPsPKlPlN2at6native12_GLOBAL__N_18offset_tEEE10hipError_tPvRmT1_PNSt15iterator_traitsISK_E10value_typeET2_T3_PNSL_ISQ_E10value_typeET4_jRbjT5_SW_jjP12ihipStream_tbEUlT_E_NS1_11comp_targetILNS1_3genE5ELNS1_11target_archE942ELNS1_3gpuE9ELNS1_3repE0EEENS1_30default_config_static_selectorELNS0_4arch9wavefront6targetE0EEEvSK_, .Lfunc_end912-_ZN7rocprim17ROCPRIM_400000_NS6detail17trampoline_kernelINS0_14default_configENS1_36segmented_radix_sort_config_selectorIslEEZNS1_25segmented_radix_sort_implIS3_Lb1EPKsPsPKlPlN2at6native12_GLOBAL__N_18offset_tEEE10hipError_tPvRmT1_PNSt15iterator_traitsISK_E10value_typeET2_T3_PNSL_ISQ_E10value_typeET4_jRbjT5_SW_jjP12ihipStream_tbEUlT_E_NS1_11comp_targetILNS1_3genE5ELNS1_11target_archE942ELNS1_3gpuE9ELNS1_3repE0EEENS1_30default_config_static_selectorELNS0_4arch9wavefront6targetE0EEEvSK_
                                        ; -- End function
	.section	.AMDGPU.csdata,"",@progbits
; Kernel info:
; codeLenInByte = 0
; NumSgprs: 0
; NumVgprs: 0
; ScratchSize: 0
; MemoryBound: 0
; FloatMode: 240
; IeeeMode: 1
; LDSByteSize: 0 bytes/workgroup (compile time only)
; SGPRBlocks: 0
; VGPRBlocks: 0
; NumSGPRsForWavesPerEU: 1
; NumVGPRsForWavesPerEU: 1
; Occupancy: 16
; WaveLimiterHint : 0
; COMPUTE_PGM_RSRC2:SCRATCH_EN: 0
; COMPUTE_PGM_RSRC2:USER_SGPR: 15
; COMPUTE_PGM_RSRC2:TRAP_HANDLER: 0
; COMPUTE_PGM_RSRC2:TGID_X_EN: 1
; COMPUTE_PGM_RSRC2:TGID_Y_EN: 0
; COMPUTE_PGM_RSRC2:TGID_Z_EN: 0
; COMPUTE_PGM_RSRC2:TIDIG_COMP_CNT: 0
	.section	.text._ZN7rocprim17ROCPRIM_400000_NS6detail17trampoline_kernelINS0_14default_configENS1_36segmented_radix_sort_config_selectorIslEEZNS1_25segmented_radix_sort_implIS3_Lb1EPKsPsPKlPlN2at6native12_GLOBAL__N_18offset_tEEE10hipError_tPvRmT1_PNSt15iterator_traitsISK_E10value_typeET2_T3_PNSL_ISQ_E10value_typeET4_jRbjT5_SW_jjP12ihipStream_tbEUlT_E_NS1_11comp_targetILNS1_3genE4ELNS1_11target_archE910ELNS1_3gpuE8ELNS1_3repE0EEENS1_30default_config_static_selectorELNS0_4arch9wavefront6targetE0EEEvSK_,"axG",@progbits,_ZN7rocprim17ROCPRIM_400000_NS6detail17trampoline_kernelINS0_14default_configENS1_36segmented_radix_sort_config_selectorIslEEZNS1_25segmented_radix_sort_implIS3_Lb1EPKsPsPKlPlN2at6native12_GLOBAL__N_18offset_tEEE10hipError_tPvRmT1_PNSt15iterator_traitsISK_E10value_typeET2_T3_PNSL_ISQ_E10value_typeET4_jRbjT5_SW_jjP12ihipStream_tbEUlT_E_NS1_11comp_targetILNS1_3genE4ELNS1_11target_archE910ELNS1_3gpuE8ELNS1_3repE0EEENS1_30default_config_static_selectorELNS0_4arch9wavefront6targetE0EEEvSK_,comdat
	.globl	_ZN7rocprim17ROCPRIM_400000_NS6detail17trampoline_kernelINS0_14default_configENS1_36segmented_radix_sort_config_selectorIslEEZNS1_25segmented_radix_sort_implIS3_Lb1EPKsPsPKlPlN2at6native12_GLOBAL__N_18offset_tEEE10hipError_tPvRmT1_PNSt15iterator_traitsISK_E10value_typeET2_T3_PNSL_ISQ_E10value_typeET4_jRbjT5_SW_jjP12ihipStream_tbEUlT_E_NS1_11comp_targetILNS1_3genE4ELNS1_11target_archE910ELNS1_3gpuE8ELNS1_3repE0EEENS1_30default_config_static_selectorELNS0_4arch9wavefront6targetE0EEEvSK_ ; -- Begin function _ZN7rocprim17ROCPRIM_400000_NS6detail17trampoline_kernelINS0_14default_configENS1_36segmented_radix_sort_config_selectorIslEEZNS1_25segmented_radix_sort_implIS3_Lb1EPKsPsPKlPlN2at6native12_GLOBAL__N_18offset_tEEE10hipError_tPvRmT1_PNSt15iterator_traitsISK_E10value_typeET2_T3_PNSL_ISQ_E10value_typeET4_jRbjT5_SW_jjP12ihipStream_tbEUlT_E_NS1_11comp_targetILNS1_3genE4ELNS1_11target_archE910ELNS1_3gpuE8ELNS1_3repE0EEENS1_30default_config_static_selectorELNS0_4arch9wavefront6targetE0EEEvSK_
	.p2align	8
	.type	_ZN7rocprim17ROCPRIM_400000_NS6detail17trampoline_kernelINS0_14default_configENS1_36segmented_radix_sort_config_selectorIslEEZNS1_25segmented_radix_sort_implIS3_Lb1EPKsPsPKlPlN2at6native12_GLOBAL__N_18offset_tEEE10hipError_tPvRmT1_PNSt15iterator_traitsISK_E10value_typeET2_T3_PNSL_ISQ_E10value_typeET4_jRbjT5_SW_jjP12ihipStream_tbEUlT_E_NS1_11comp_targetILNS1_3genE4ELNS1_11target_archE910ELNS1_3gpuE8ELNS1_3repE0EEENS1_30default_config_static_selectorELNS0_4arch9wavefront6targetE0EEEvSK_,@function
_ZN7rocprim17ROCPRIM_400000_NS6detail17trampoline_kernelINS0_14default_configENS1_36segmented_radix_sort_config_selectorIslEEZNS1_25segmented_radix_sort_implIS3_Lb1EPKsPsPKlPlN2at6native12_GLOBAL__N_18offset_tEEE10hipError_tPvRmT1_PNSt15iterator_traitsISK_E10value_typeET2_T3_PNSL_ISQ_E10value_typeET4_jRbjT5_SW_jjP12ihipStream_tbEUlT_E_NS1_11comp_targetILNS1_3genE4ELNS1_11target_archE910ELNS1_3gpuE8ELNS1_3repE0EEENS1_30default_config_static_selectorELNS0_4arch9wavefront6targetE0EEEvSK_: ; @_ZN7rocprim17ROCPRIM_400000_NS6detail17trampoline_kernelINS0_14default_configENS1_36segmented_radix_sort_config_selectorIslEEZNS1_25segmented_radix_sort_implIS3_Lb1EPKsPsPKlPlN2at6native12_GLOBAL__N_18offset_tEEE10hipError_tPvRmT1_PNSt15iterator_traitsISK_E10value_typeET2_T3_PNSL_ISQ_E10value_typeET4_jRbjT5_SW_jjP12ihipStream_tbEUlT_E_NS1_11comp_targetILNS1_3genE4ELNS1_11target_archE910ELNS1_3gpuE8ELNS1_3repE0EEENS1_30default_config_static_selectorELNS0_4arch9wavefront6targetE0EEEvSK_
; %bb.0:
	.section	.rodata,"a",@progbits
	.p2align	6, 0x0
	.amdhsa_kernel _ZN7rocprim17ROCPRIM_400000_NS6detail17trampoline_kernelINS0_14default_configENS1_36segmented_radix_sort_config_selectorIslEEZNS1_25segmented_radix_sort_implIS3_Lb1EPKsPsPKlPlN2at6native12_GLOBAL__N_18offset_tEEE10hipError_tPvRmT1_PNSt15iterator_traitsISK_E10value_typeET2_T3_PNSL_ISQ_E10value_typeET4_jRbjT5_SW_jjP12ihipStream_tbEUlT_E_NS1_11comp_targetILNS1_3genE4ELNS1_11target_archE910ELNS1_3gpuE8ELNS1_3repE0EEENS1_30default_config_static_selectorELNS0_4arch9wavefront6targetE0EEEvSK_
		.amdhsa_group_segment_fixed_size 0
		.amdhsa_private_segment_fixed_size 0
		.amdhsa_kernarg_size 96
		.amdhsa_user_sgpr_count 15
		.amdhsa_user_sgpr_dispatch_ptr 0
		.amdhsa_user_sgpr_queue_ptr 0
		.amdhsa_user_sgpr_kernarg_segment_ptr 1
		.amdhsa_user_sgpr_dispatch_id 0
		.amdhsa_user_sgpr_private_segment_size 0
		.amdhsa_wavefront_size32 1
		.amdhsa_uses_dynamic_stack 0
		.amdhsa_enable_private_segment 0
		.amdhsa_system_sgpr_workgroup_id_x 1
		.amdhsa_system_sgpr_workgroup_id_y 0
		.amdhsa_system_sgpr_workgroup_id_z 0
		.amdhsa_system_sgpr_workgroup_info 0
		.amdhsa_system_vgpr_workitem_id 0
		.amdhsa_next_free_vgpr 1
		.amdhsa_next_free_sgpr 1
		.amdhsa_reserve_vcc 0
		.amdhsa_float_round_mode_32 0
		.amdhsa_float_round_mode_16_64 0
		.amdhsa_float_denorm_mode_32 3
		.amdhsa_float_denorm_mode_16_64 3
		.amdhsa_dx10_clamp 1
		.amdhsa_ieee_mode 1
		.amdhsa_fp16_overflow 0
		.amdhsa_workgroup_processor_mode 1
		.amdhsa_memory_ordered 1
		.amdhsa_forward_progress 0
		.amdhsa_shared_vgpr_count 0
		.amdhsa_exception_fp_ieee_invalid_op 0
		.amdhsa_exception_fp_denorm_src 0
		.amdhsa_exception_fp_ieee_div_zero 0
		.amdhsa_exception_fp_ieee_overflow 0
		.amdhsa_exception_fp_ieee_underflow 0
		.amdhsa_exception_fp_ieee_inexact 0
		.amdhsa_exception_int_div_zero 0
	.end_amdhsa_kernel
	.section	.text._ZN7rocprim17ROCPRIM_400000_NS6detail17trampoline_kernelINS0_14default_configENS1_36segmented_radix_sort_config_selectorIslEEZNS1_25segmented_radix_sort_implIS3_Lb1EPKsPsPKlPlN2at6native12_GLOBAL__N_18offset_tEEE10hipError_tPvRmT1_PNSt15iterator_traitsISK_E10value_typeET2_T3_PNSL_ISQ_E10value_typeET4_jRbjT5_SW_jjP12ihipStream_tbEUlT_E_NS1_11comp_targetILNS1_3genE4ELNS1_11target_archE910ELNS1_3gpuE8ELNS1_3repE0EEENS1_30default_config_static_selectorELNS0_4arch9wavefront6targetE0EEEvSK_,"axG",@progbits,_ZN7rocprim17ROCPRIM_400000_NS6detail17trampoline_kernelINS0_14default_configENS1_36segmented_radix_sort_config_selectorIslEEZNS1_25segmented_radix_sort_implIS3_Lb1EPKsPsPKlPlN2at6native12_GLOBAL__N_18offset_tEEE10hipError_tPvRmT1_PNSt15iterator_traitsISK_E10value_typeET2_T3_PNSL_ISQ_E10value_typeET4_jRbjT5_SW_jjP12ihipStream_tbEUlT_E_NS1_11comp_targetILNS1_3genE4ELNS1_11target_archE910ELNS1_3gpuE8ELNS1_3repE0EEENS1_30default_config_static_selectorELNS0_4arch9wavefront6targetE0EEEvSK_,comdat
.Lfunc_end913:
	.size	_ZN7rocprim17ROCPRIM_400000_NS6detail17trampoline_kernelINS0_14default_configENS1_36segmented_radix_sort_config_selectorIslEEZNS1_25segmented_radix_sort_implIS3_Lb1EPKsPsPKlPlN2at6native12_GLOBAL__N_18offset_tEEE10hipError_tPvRmT1_PNSt15iterator_traitsISK_E10value_typeET2_T3_PNSL_ISQ_E10value_typeET4_jRbjT5_SW_jjP12ihipStream_tbEUlT_E_NS1_11comp_targetILNS1_3genE4ELNS1_11target_archE910ELNS1_3gpuE8ELNS1_3repE0EEENS1_30default_config_static_selectorELNS0_4arch9wavefront6targetE0EEEvSK_, .Lfunc_end913-_ZN7rocprim17ROCPRIM_400000_NS6detail17trampoline_kernelINS0_14default_configENS1_36segmented_radix_sort_config_selectorIslEEZNS1_25segmented_radix_sort_implIS3_Lb1EPKsPsPKlPlN2at6native12_GLOBAL__N_18offset_tEEE10hipError_tPvRmT1_PNSt15iterator_traitsISK_E10value_typeET2_T3_PNSL_ISQ_E10value_typeET4_jRbjT5_SW_jjP12ihipStream_tbEUlT_E_NS1_11comp_targetILNS1_3genE4ELNS1_11target_archE910ELNS1_3gpuE8ELNS1_3repE0EEENS1_30default_config_static_selectorELNS0_4arch9wavefront6targetE0EEEvSK_
                                        ; -- End function
	.section	.AMDGPU.csdata,"",@progbits
; Kernel info:
; codeLenInByte = 0
; NumSgprs: 0
; NumVgprs: 0
; ScratchSize: 0
; MemoryBound: 0
; FloatMode: 240
; IeeeMode: 1
; LDSByteSize: 0 bytes/workgroup (compile time only)
; SGPRBlocks: 0
; VGPRBlocks: 0
; NumSGPRsForWavesPerEU: 1
; NumVGPRsForWavesPerEU: 1
; Occupancy: 16
; WaveLimiterHint : 0
; COMPUTE_PGM_RSRC2:SCRATCH_EN: 0
; COMPUTE_PGM_RSRC2:USER_SGPR: 15
; COMPUTE_PGM_RSRC2:TRAP_HANDLER: 0
; COMPUTE_PGM_RSRC2:TGID_X_EN: 1
; COMPUTE_PGM_RSRC2:TGID_Y_EN: 0
; COMPUTE_PGM_RSRC2:TGID_Z_EN: 0
; COMPUTE_PGM_RSRC2:TIDIG_COMP_CNT: 0
	.section	.text._ZN7rocprim17ROCPRIM_400000_NS6detail17trampoline_kernelINS0_14default_configENS1_36segmented_radix_sort_config_selectorIslEEZNS1_25segmented_radix_sort_implIS3_Lb1EPKsPsPKlPlN2at6native12_GLOBAL__N_18offset_tEEE10hipError_tPvRmT1_PNSt15iterator_traitsISK_E10value_typeET2_T3_PNSL_ISQ_E10value_typeET4_jRbjT5_SW_jjP12ihipStream_tbEUlT_E_NS1_11comp_targetILNS1_3genE3ELNS1_11target_archE908ELNS1_3gpuE7ELNS1_3repE0EEENS1_30default_config_static_selectorELNS0_4arch9wavefront6targetE0EEEvSK_,"axG",@progbits,_ZN7rocprim17ROCPRIM_400000_NS6detail17trampoline_kernelINS0_14default_configENS1_36segmented_radix_sort_config_selectorIslEEZNS1_25segmented_radix_sort_implIS3_Lb1EPKsPsPKlPlN2at6native12_GLOBAL__N_18offset_tEEE10hipError_tPvRmT1_PNSt15iterator_traitsISK_E10value_typeET2_T3_PNSL_ISQ_E10value_typeET4_jRbjT5_SW_jjP12ihipStream_tbEUlT_E_NS1_11comp_targetILNS1_3genE3ELNS1_11target_archE908ELNS1_3gpuE7ELNS1_3repE0EEENS1_30default_config_static_selectorELNS0_4arch9wavefront6targetE0EEEvSK_,comdat
	.globl	_ZN7rocprim17ROCPRIM_400000_NS6detail17trampoline_kernelINS0_14default_configENS1_36segmented_radix_sort_config_selectorIslEEZNS1_25segmented_radix_sort_implIS3_Lb1EPKsPsPKlPlN2at6native12_GLOBAL__N_18offset_tEEE10hipError_tPvRmT1_PNSt15iterator_traitsISK_E10value_typeET2_T3_PNSL_ISQ_E10value_typeET4_jRbjT5_SW_jjP12ihipStream_tbEUlT_E_NS1_11comp_targetILNS1_3genE3ELNS1_11target_archE908ELNS1_3gpuE7ELNS1_3repE0EEENS1_30default_config_static_selectorELNS0_4arch9wavefront6targetE0EEEvSK_ ; -- Begin function _ZN7rocprim17ROCPRIM_400000_NS6detail17trampoline_kernelINS0_14default_configENS1_36segmented_radix_sort_config_selectorIslEEZNS1_25segmented_radix_sort_implIS3_Lb1EPKsPsPKlPlN2at6native12_GLOBAL__N_18offset_tEEE10hipError_tPvRmT1_PNSt15iterator_traitsISK_E10value_typeET2_T3_PNSL_ISQ_E10value_typeET4_jRbjT5_SW_jjP12ihipStream_tbEUlT_E_NS1_11comp_targetILNS1_3genE3ELNS1_11target_archE908ELNS1_3gpuE7ELNS1_3repE0EEENS1_30default_config_static_selectorELNS0_4arch9wavefront6targetE0EEEvSK_
	.p2align	8
	.type	_ZN7rocprim17ROCPRIM_400000_NS6detail17trampoline_kernelINS0_14default_configENS1_36segmented_radix_sort_config_selectorIslEEZNS1_25segmented_radix_sort_implIS3_Lb1EPKsPsPKlPlN2at6native12_GLOBAL__N_18offset_tEEE10hipError_tPvRmT1_PNSt15iterator_traitsISK_E10value_typeET2_T3_PNSL_ISQ_E10value_typeET4_jRbjT5_SW_jjP12ihipStream_tbEUlT_E_NS1_11comp_targetILNS1_3genE3ELNS1_11target_archE908ELNS1_3gpuE7ELNS1_3repE0EEENS1_30default_config_static_selectorELNS0_4arch9wavefront6targetE0EEEvSK_,@function
_ZN7rocprim17ROCPRIM_400000_NS6detail17trampoline_kernelINS0_14default_configENS1_36segmented_radix_sort_config_selectorIslEEZNS1_25segmented_radix_sort_implIS3_Lb1EPKsPsPKlPlN2at6native12_GLOBAL__N_18offset_tEEE10hipError_tPvRmT1_PNSt15iterator_traitsISK_E10value_typeET2_T3_PNSL_ISQ_E10value_typeET4_jRbjT5_SW_jjP12ihipStream_tbEUlT_E_NS1_11comp_targetILNS1_3genE3ELNS1_11target_archE908ELNS1_3gpuE7ELNS1_3repE0EEENS1_30default_config_static_selectorELNS0_4arch9wavefront6targetE0EEEvSK_: ; @_ZN7rocprim17ROCPRIM_400000_NS6detail17trampoline_kernelINS0_14default_configENS1_36segmented_radix_sort_config_selectorIslEEZNS1_25segmented_radix_sort_implIS3_Lb1EPKsPsPKlPlN2at6native12_GLOBAL__N_18offset_tEEE10hipError_tPvRmT1_PNSt15iterator_traitsISK_E10value_typeET2_T3_PNSL_ISQ_E10value_typeET4_jRbjT5_SW_jjP12ihipStream_tbEUlT_E_NS1_11comp_targetILNS1_3genE3ELNS1_11target_archE908ELNS1_3gpuE7ELNS1_3repE0EEENS1_30default_config_static_selectorELNS0_4arch9wavefront6targetE0EEEvSK_
; %bb.0:
	.section	.rodata,"a",@progbits
	.p2align	6, 0x0
	.amdhsa_kernel _ZN7rocprim17ROCPRIM_400000_NS6detail17trampoline_kernelINS0_14default_configENS1_36segmented_radix_sort_config_selectorIslEEZNS1_25segmented_radix_sort_implIS3_Lb1EPKsPsPKlPlN2at6native12_GLOBAL__N_18offset_tEEE10hipError_tPvRmT1_PNSt15iterator_traitsISK_E10value_typeET2_T3_PNSL_ISQ_E10value_typeET4_jRbjT5_SW_jjP12ihipStream_tbEUlT_E_NS1_11comp_targetILNS1_3genE3ELNS1_11target_archE908ELNS1_3gpuE7ELNS1_3repE0EEENS1_30default_config_static_selectorELNS0_4arch9wavefront6targetE0EEEvSK_
		.amdhsa_group_segment_fixed_size 0
		.amdhsa_private_segment_fixed_size 0
		.amdhsa_kernarg_size 96
		.amdhsa_user_sgpr_count 15
		.amdhsa_user_sgpr_dispatch_ptr 0
		.amdhsa_user_sgpr_queue_ptr 0
		.amdhsa_user_sgpr_kernarg_segment_ptr 1
		.amdhsa_user_sgpr_dispatch_id 0
		.amdhsa_user_sgpr_private_segment_size 0
		.amdhsa_wavefront_size32 1
		.amdhsa_uses_dynamic_stack 0
		.amdhsa_enable_private_segment 0
		.amdhsa_system_sgpr_workgroup_id_x 1
		.amdhsa_system_sgpr_workgroup_id_y 0
		.amdhsa_system_sgpr_workgroup_id_z 0
		.amdhsa_system_sgpr_workgroup_info 0
		.amdhsa_system_vgpr_workitem_id 0
		.amdhsa_next_free_vgpr 1
		.amdhsa_next_free_sgpr 1
		.amdhsa_reserve_vcc 0
		.amdhsa_float_round_mode_32 0
		.amdhsa_float_round_mode_16_64 0
		.amdhsa_float_denorm_mode_32 3
		.amdhsa_float_denorm_mode_16_64 3
		.amdhsa_dx10_clamp 1
		.amdhsa_ieee_mode 1
		.amdhsa_fp16_overflow 0
		.amdhsa_workgroup_processor_mode 1
		.amdhsa_memory_ordered 1
		.amdhsa_forward_progress 0
		.amdhsa_shared_vgpr_count 0
		.amdhsa_exception_fp_ieee_invalid_op 0
		.amdhsa_exception_fp_denorm_src 0
		.amdhsa_exception_fp_ieee_div_zero 0
		.amdhsa_exception_fp_ieee_overflow 0
		.amdhsa_exception_fp_ieee_underflow 0
		.amdhsa_exception_fp_ieee_inexact 0
		.amdhsa_exception_int_div_zero 0
	.end_amdhsa_kernel
	.section	.text._ZN7rocprim17ROCPRIM_400000_NS6detail17trampoline_kernelINS0_14default_configENS1_36segmented_radix_sort_config_selectorIslEEZNS1_25segmented_radix_sort_implIS3_Lb1EPKsPsPKlPlN2at6native12_GLOBAL__N_18offset_tEEE10hipError_tPvRmT1_PNSt15iterator_traitsISK_E10value_typeET2_T3_PNSL_ISQ_E10value_typeET4_jRbjT5_SW_jjP12ihipStream_tbEUlT_E_NS1_11comp_targetILNS1_3genE3ELNS1_11target_archE908ELNS1_3gpuE7ELNS1_3repE0EEENS1_30default_config_static_selectorELNS0_4arch9wavefront6targetE0EEEvSK_,"axG",@progbits,_ZN7rocprim17ROCPRIM_400000_NS6detail17trampoline_kernelINS0_14default_configENS1_36segmented_radix_sort_config_selectorIslEEZNS1_25segmented_radix_sort_implIS3_Lb1EPKsPsPKlPlN2at6native12_GLOBAL__N_18offset_tEEE10hipError_tPvRmT1_PNSt15iterator_traitsISK_E10value_typeET2_T3_PNSL_ISQ_E10value_typeET4_jRbjT5_SW_jjP12ihipStream_tbEUlT_E_NS1_11comp_targetILNS1_3genE3ELNS1_11target_archE908ELNS1_3gpuE7ELNS1_3repE0EEENS1_30default_config_static_selectorELNS0_4arch9wavefront6targetE0EEEvSK_,comdat
.Lfunc_end914:
	.size	_ZN7rocprim17ROCPRIM_400000_NS6detail17trampoline_kernelINS0_14default_configENS1_36segmented_radix_sort_config_selectorIslEEZNS1_25segmented_radix_sort_implIS3_Lb1EPKsPsPKlPlN2at6native12_GLOBAL__N_18offset_tEEE10hipError_tPvRmT1_PNSt15iterator_traitsISK_E10value_typeET2_T3_PNSL_ISQ_E10value_typeET4_jRbjT5_SW_jjP12ihipStream_tbEUlT_E_NS1_11comp_targetILNS1_3genE3ELNS1_11target_archE908ELNS1_3gpuE7ELNS1_3repE0EEENS1_30default_config_static_selectorELNS0_4arch9wavefront6targetE0EEEvSK_, .Lfunc_end914-_ZN7rocprim17ROCPRIM_400000_NS6detail17trampoline_kernelINS0_14default_configENS1_36segmented_radix_sort_config_selectorIslEEZNS1_25segmented_radix_sort_implIS3_Lb1EPKsPsPKlPlN2at6native12_GLOBAL__N_18offset_tEEE10hipError_tPvRmT1_PNSt15iterator_traitsISK_E10value_typeET2_T3_PNSL_ISQ_E10value_typeET4_jRbjT5_SW_jjP12ihipStream_tbEUlT_E_NS1_11comp_targetILNS1_3genE3ELNS1_11target_archE908ELNS1_3gpuE7ELNS1_3repE0EEENS1_30default_config_static_selectorELNS0_4arch9wavefront6targetE0EEEvSK_
                                        ; -- End function
	.section	.AMDGPU.csdata,"",@progbits
; Kernel info:
; codeLenInByte = 0
; NumSgprs: 0
; NumVgprs: 0
; ScratchSize: 0
; MemoryBound: 0
; FloatMode: 240
; IeeeMode: 1
; LDSByteSize: 0 bytes/workgroup (compile time only)
; SGPRBlocks: 0
; VGPRBlocks: 0
; NumSGPRsForWavesPerEU: 1
; NumVGPRsForWavesPerEU: 1
; Occupancy: 16
; WaveLimiterHint : 0
; COMPUTE_PGM_RSRC2:SCRATCH_EN: 0
; COMPUTE_PGM_RSRC2:USER_SGPR: 15
; COMPUTE_PGM_RSRC2:TRAP_HANDLER: 0
; COMPUTE_PGM_RSRC2:TGID_X_EN: 1
; COMPUTE_PGM_RSRC2:TGID_Y_EN: 0
; COMPUTE_PGM_RSRC2:TGID_Z_EN: 0
; COMPUTE_PGM_RSRC2:TIDIG_COMP_CNT: 0
	.section	.text._ZN7rocprim17ROCPRIM_400000_NS6detail17trampoline_kernelINS0_14default_configENS1_36segmented_radix_sort_config_selectorIslEEZNS1_25segmented_radix_sort_implIS3_Lb1EPKsPsPKlPlN2at6native12_GLOBAL__N_18offset_tEEE10hipError_tPvRmT1_PNSt15iterator_traitsISK_E10value_typeET2_T3_PNSL_ISQ_E10value_typeET4_jRbjT5_SW_jjP12ihipStream_tbEUlT_E_NS1_11comp_targetILNS1_3genE2ELNS1_11target_archE906ELNS1_3gpuE6ELNS1_3repE0EEENS1_30default_config_static_selectorELNS0_4arch9wavefront6targetE0EEEvSK_,"axG",@progbits,_ZN7rocprim17ROCPRIM_400000_NS6detail17trampoline_kernelINS0_14default_configENS1_36segmented_radix_sort_config_selectorIslEEZNS1_25segmented_radix_sort_implIS3_Lb1EPKsPsPKlPlN2at6native12_GLOBAL__N_18offset_tEEE10hipError_tPvRmT1_PNSt15iterator_traitsISK_E10value_typeET2_T3_PNSL_ISQ_E10value_typeET4_jRbjT5_SW_jjP12ihipStream_tbEUlT_E_NS1_11comp_targetILNS1_3genE2ELNS1_11target_archE906ELNS1_3gpuE6ELNS1_3repE0EEENS1_30default_config_static_selectorELNS0_4arch9wavefront6targetE0EEEvSK_,comdat
	.globl	_ZN7rocprim17ROCPRIM_400000_NS6detail17trampoline_kernelINS0_14default_configENS1_36segmented_radix_sort_config_selectorIslEEZNS1_25segmented_radix_sort_implIS3_Lb1EPKsPsPKlPlN2at6native12_GLOBAL__N_18offset_tEEE10hipError_tPvRmT1_PNSt15iterator_traitsISK_E10value_typeET2_T3_PNSL_ISQ_E10value_typeET4_jRbjT5_SW_jjP12ihipStream_tbEUlT_E_NS1_11comp_targetILNS1_3genE2ELNS1_11target_archE906ELNS1_3gpuE6ELNS1_3repE0EEENS1_30default_config_static_selectorELNS0_4arch9wavefront6targetE0EEEvSK_ ; -- Begin function _ZN7rocprim17ROCPRIM_400000_NS6detail17trampoline_kernelINS0_14default_configENS1_36segmented_radix_sort_config_selectorIslEEZNS1_25segmented_radix_sort_implIS3_Lb1EPKsPsPKlPlN2at6native12_GLOBAL__N_18offset_tEEE10hipError_tPvRmT1_PNSt15iterator_traitsISK_E10value_typeET2_T3_PNSL_ISQ_E10value_typeET4_jRbjT5_SW_jjP12ihipStream_tbEUlT_E_NS1_11comp_targetILNS1_3genE2ELNS1_11target_archE906ELNS1_3gpuE6ELNS1_3repE0EEENS1_30default_config_static_selectorELNS0_4arch9wavefront6targetE0EEEvSK_
	.p2align	8
	.type	_ZN7rocprim17ROCPRIM_400000_NS6detail17trampoline_kernelINS0_14default_configENS1_36segmented_radix_sort_config_selectorIslEEZNS1_25segmented_radix_sort_implIS3_Lb1EPKsPsPKlPlN2at6native12_GLOBAL__N_18offset_tEEE10hipError_tPvRmT1_PNSt15iterator_traitsISK_E10value_typeET2_T3_PNSL_ISQ_E10value_typeET4_jRbjT5_SW_jjP12ihipStream_tbEUlT_E_NS1_11comp_targetILNS1_3genE2ELNS1_11target_archE906ELNS1_3gpuE6ELNS1_3repE0EEENS1_30default_config_static_selectorELNS0_4arch9wavefront6targetE0EEEvSK_,@function
_ZN7rocprim17ROCPRIM_400000_NS6detail17trampoline_kernelINS0_14default_configENS1_36segmented_radix_sort_config_selectorIslEEZNS1_25segmented_radix_sort_implIS3_Lb1EPKsPsPKlPlN2at6native12_GLOBAL__N_18offset_tEEE10hipError_tPvRmT1_PNSt15iterator_traitsISK_E10value_typeET2_T3_PNSL_ISQ_E10value_typeET4_jRbjT5_SW_jjP12ihipStream_tbEUlT_E_NS1_11comp_targetILNS1_3genE2ELNS1_11target_archE906ELNS1_3gpuE6ELNS1_3repE0EEENS1_30default_config_static_selectorELNS0_4arch9wavefront6targetE0EEEvSK_: ; @_ZN7rocprim17ROCPRIM_400000_NS6detail17trampoline_kernelINS0_14default_configENS1_36segmented_radix_sort_config_selectorIslEEZNS1_25segmented_radix_sort_implIS3_Lb1EPKsPsPKlPlN2at6native12_GLOBAL__N_18offset_tEEE10hipError_tPvRmT1_PNSt15iterator_traitsISK_E10value_typeET2_T3_PNSL_ISQ_E10value_typeET4_jRbjT5_SW_jjP12ihipStream_tbEUlT_E_NS1_11comp_targetILNS1_3genE2ELNS1_11target_archE906ELNS1_3gpuE6ELNS1_3repE0EEENS1_30default_config_static_selectorELNS0_4arch9wavefront6targetE0EEEvSK_
; %bb.0:
	.section	.rodata,"a",@progbits
	.p2align	6, 0x0
	.amdhsa_kernel _ZN7rocprim17ROCPRIM_400000_NS6detail17trampoline_kernelINS0_14default_configENS1_36segmented_radix_sort_config_selectorIslEEZNS1_25segmented_radix_sort_implIS3_Lb1EPKsPsPKlPlN2at6native12_GLOBAL__N_18offset_tEEE10hipError_tPvRmT1_PNSt15iterator_traitsISK_E10value_typeET2_T3_PNSL_ISQ_E10value_typeET4_jRbjT5_SW_jjP12ihipStream_tbEUlT_E_NS1_11comp_targetILNS1_3genE2ELNS1_11target_archE906ELNS1_3gpuE6ELNS1_3repE0EEENS1_30default_config_static_selectorELNS0_4arch9wavefront6targetE0EEEvSK_
		.amdhsa_group_segment_fixed_size 0
		.amdhsa_private_segment_fixed_size 0
		.amdhsa_kernarg_size 96
		.amdhsa_user_sgpr_count 15
		.amdhsa_user_sgpr_dispatch_ptr 0
		.amdhsa_user_sgpr_queue_ptr 0
		.amdhsa_user_sgpr_kernarg_segment_ptr 1
		.amdhsa_user_sgpr_dispatch_id 0
		.amdhsa_user_sgpr_private_segment_size 0
		.amdhsa_wavefront_size32 1
		.amdhsa_uses_dynamic_stack 0
		.amdhsa_enable_private_segment 0
		.amdhsa_system_sgpr_workgroup_id_x 1
		.amdhsa_system_sgpr_workgroup_id_y 0
		.amdhsa_system_sgpr_workgroup_id_z 0
		.amdhsa_system_sgpr_workgroup_info 0
		.amdhsa_system_vgpr_workitem_id 0
		.amdhsa_next_free_vgpr 1
		.amdhsa_next_free_sgpr 1
		.amdhsa_reserve_vcc 0
		.amdhsa_float_round_mode_32 0
		.amdhsa_float_round_mode_16_64 0
		.amdhsa_float_denorm_mode_32 3
		.amdhsa_float_denorm_mode_16_64 3
		.amdhsa_dx10_clamp 1
		.amdhsa_ieee_mode 1
		.amdhsa_fp16_overflow 0
		.amdhsa_workgroup_processor_mode 1
		.amdhsa_memory_ordered 1
		.amdhsa_forward_progress 0
		.amdhsa_shared_vgpr_count 0
		.amdhsa_exception_fp_ieee_invalid_op 0
		.amdhsa_exception_fp_denorm_src 0
		.amdhsa_exception_fp_ieee_div_zero 0
		.amdhsa_exception_fp_ieee_overflow 0
		.amdhsa_exception_fp_ieee_underflow 0
		.amdhsa_exception_fp_ieee_inexact 0
		.amdhsa_exception_int_div_zero 0
	.end_amdhsa_kernel
	.section	.text._ZN7rocprim17ROCPRIM_400000_NS6detail17trampoline_kernelINS0_14default_configENS1_36segmented_radix_sort_config_selectorIslEEZNS1_25segmented_radix_sort_implIS3_Lb1EPKsPsPKlPlN2at6native12_GLOBAL__N_18offset_tEEE10hipError_tPvRmT1_PNSt15iterator_traitsISK_E10value_typeET2_T3_PNSL_ISQ_E10value_typeET4_jRbjT5_SW_jjP12ihipStream_tbEUlT_E_NS1_11comp_targetILNS1_3genE2ELNS1_11target_archE906ELNS1_3gpuE6ELNS1_3repE0EEENS1_30default_config_static_selectorELNS0_4arch9wavefront6targetE0EEEvSK_,"axG",@progbits,_ZN7rocprim17ROCPRIM_400000_NS6detail17trampoline_kernelINS0_14default_configENS1_36segmented_radix_sort_config_selectorIslEEZNS1_25segmented_radix_sort_implIS3_Lb1EPKsPsPKlPlN2at6native12_GLOBAL__N_18offset_tEEE10hipError_tPvRmT1_PNSt15iterator_traitsISK_E10value_typeET2_T3_PNSL_ISQ_E10value_typeET4_jRbjT5_SW_jjP12ihipStream_tbEUlT_E_NS1_11comp_targetILNS1_3genE2ELNS1_11target_archE906ELNS1_3gpuE6ELNS1_3repE0EEENS1_30default_config_static_selectorELNS0_4arch9wavefront6targetE0EEEvSK_,comdat
.Lfunc_end915:
	.size	_ZN7rocprim17ROCPRIM_400000_NS6detail17trampoline_kernelINS0_14default_configENS1_36segmented_radix_sort_config_selectorIslEEZNS1_25segmented_radix_sort_implIS3_Lb1EPKsPsPKlPlN2at6native12_GLOBAL__N_18offset_tEEE10hipError_tPvRmT1_PNSt15iterator_traitsISK_E10value_typeET2_T3_PNSL_ISQ_E10value_typeET4_jRbjT5_SW_jjP12ihipStream_tbEUlT_E_NS1_11comp_targetILNS1_3genE2ELNS1_11target_archE906ELNS1_3gpuE6ELNS1_3repE0EEENS1_30default_config_static_selectorELNS0_4arch9wavefront6targetE0EEEvSK_, .Lfunc_end915-_ZN7rocprim17ROCPRIM_400000_NS6detail17trampoline_kernelINS0_14default_configENS1_36segmented_radix_sort_config_selectorIslEEZNS1_25segmented_radix_sort_implIS3_Lb1EPKsPsPKlPlN2at6native12_GLOBAL__N_18offset_tEEE10hipError_tPvRmT1_PNSt15iterator_traitsISK_E10value_typeET2_T3_PNSL_ISQ_E10value_typeET4_jRbjT5_SW_jjP12ihipStream_tbEUlT_E_NS1_11comp_targetILNS1_3genE2ELNS1_11target_archE906ELNS1_3gpuE6ELNS1_3repE0EEENS1_30default_config_static_selectorELNS0_4arch9wavefront6targetE0EEEvSK_
                                        ; -- End function
	.section	.AMDGPU.csdata,"",@progbits
; Kernel info:
; codeLenInByte = 0
; NumSgprs: 0
; NumVgprs: 0
; ScratchSize: 0
; MemoryBound: 0
; FloatMode: 240
; IeeeMode: 1
; LDSByteSize: 0 bytes/workgroup (compile time only)
; SGPRBlocks: 0
; VGPRBlocks: 0
; NumSGPRsForWavesPerEU: 1
; NumVGPRsForWavesPerEU: 1
; Occupancy: 16
; WaveLimiterHint : 0
; COMPUTE_PGM_RSRC2:SCRATCH_EN: 0
; COMPUTE_PGM_RSRC2:USER_SGPR: 15
; COMPUTE_PGM_RSRC2:TRAP_HANDLER: 0
; COMPUTE_PGM_RSRC2:TGID_X_EN: 1
; COMPUTE_PGM_RSRC2:TGID_Y_EN: 0
; COMPUTE_PGM_RSRC2:TGID_Z_EN: 0
; COMPUTE_PGM_RSRC2:TIDIG_COMP_CNT: 0
	.section	.text._ZN7rocprim17ROCPRIM_400000_NS6detail17trampoline_kernelINS0_14default_configENS1_36segmented_radix_sort_config_selectorIslEEZNS1_25segmented_radix_sort_implIS3_Lb1EPKsPsPKlPlN2at6native12_GLOBAL__N_18offset_tEEE10hipError_tPvRmT1_PNSt15iterator_traitsISK_E10value_typeET2_T3_PNSL_ISQ_E10value_typeET4_jRbjT5_SW_jjP12ihipStream_tbEUlT_E_NS1_11comp_targetILNS1_3genE10ELNS1_11target_archE1201ELNS1_3gpuE5ELNS1_3repE0EEENS1_30default_config_static_selectorELNS0_4arch9wavefront6targetE0EEEvSK_,"axG",@progbits,_ZN7rocprim17ROCPRIM_400000_NS6detail17trampoline_kernelINS0_14default_configENS1_36segmented_radix_sort_config_selectorIslEEZNS1_25segmented_radix_sort_implIS3_Lb1EPKsPsPKlPlN2at6native12_GLOBAL__N_18offset_tEEE10hipError_tPvRmT1_PNSt15iterator_traitsISK_E10value_typeET2_T3_PNSL_ISQ_E10value_typeET4_jRbjT5_SW_jjP12ihipStream_tbEUlT_E_NS1_11comp_targetILNS1_3genE10ELNS1_11target_archE1201ELNS1_3gpuE5ELNS1_3repE0EEENS1_30default_config_static_selectorELNS0_4arch9wavefront6targetE0EEEvSK_,comdat
	.globl	_ZN7rocprim17ROCPRIM_400000_NS6detail17trampoline_kernelINS0_14default_configENS1_36segmented_radix_sort_config_selectorIslEEZNS1_25segmented_radix_sort_implIS3_Lb1EPKsPsPKlPlN2at6native12_GLOBAL__N_18offset_tEEE10hipError_tPvRmT1_PNSt15iterator_traitsISK_E10value_typeET2_T3_PNSL_ISQ_E10value_typeET4_jRbjT5_SW_jjP12ihipStream_tbEUlT_E_NS1_11comp_targetILNS1_3genE10ELNS1_11target_archE1201ELNS1_3gpuE5ELNS1_3repE0EEENS1_30default_config_static_selectorELNS0_4arch9wavefront6targetE0EEEvSK_ ; -- Begin function _ZN7rocprim17ROCPRIM_400000_NS6detail17trampoline_kernelINS0_14default_configENS1_36segmented_radix_sort_config_selectorIslEEZNS1_25segmented_radix_sort_implIS3_Lb1EPKsPsPKlPlN2at6native12_GLOBAL__N_18offset_tEEE10hipError_tPvRmT1_PNSt15iterator_traitsISK_E10value_typeET2_T3_PNSL_ISQ_E10value_typeET4_jRbjT5_SW_jjP12ihipStream_tbEUlT_E_NS1_11comp_targetILNS1_3genE10ELNS1_11target_archE1201ELNS1_3gpuE5ELNS1_3repE0EEENS1_30default_config_static_selectorELNS0_4arch9wavefront6targetE0EEEvSK_
	.p2align	8
	.type	_ZN7rocprim17ROCPRIM_400000_NS6detail17trampoline_kernelINS0_14default_configENS1_36segmented_radix_sort_config_selectorIslEEZNS1_25segmented_radix_sort_implIS3_Lb1EPKsPsPKlPlN2at6native12_GLOBAL__N_18offset_tEEE10hipError_tPvRmT1_PNSt15iterator_traitsISK_E10value_typeET2_T3_PNSL_ISQ_E10value_typeET4_jRbjT5_SW_jjP12ihipStream_tbEUlT_E_NS1_11comp_targetILNS1_3genE10ELNS1_11target_archE1201ELNS1_3gpuE5ELNS1_3repE0EEENS1_30default_config_static_selectorELNS0_4arch9wavefront6targetE0EEEvSK_,@function
_ZN7rocprim17ROCPRIM_400000_NS6detail17trampoline_kernelINS0_14default_configENS1_36segmented_radix_sort_config_selectorIslEEZNS1_25segmented_radix_sort_implIS3_Lb1EPKsPsPKlPlN2at6native12_GLOBAL__N_18offset_tEEE10hipError_tPvRmT1_PNSt15iterator_traitsISK_E10value_typeET2_T3_PNSL_ISQ_E10value_typeET4_jRbjT5_SW_jjP12ihipStream_tbEUlT_E_NS1_11comp_targetILNS1_3genE10ELNS1_11target_archE1201ELNS1_3gpuE5ELNS1_3repE0EEENS1_30default_config_static_selectorELNS0_4arch9wavefront6targetE0EEEvSK_: ; @_ZN7rocprim17ROCPRIM_400000_NS6detail17trampoline_kernelINS0_14default_configENS1_36segmented_radix_sort_config_selectorIslEEZNS1_25segmented_radix_sort_implIS3_Lb1EPKsPsPKlPlN2at6native12_GLOBAL__N_18offset_tEEE10hipError_tPvRmT1_PNSt15iterator_traitsISK_E10value_typeET2_T3_PNSL_ISQ_E10value_typeET4_jRbjT5_SW_jjP12ihipStream_tbEUlT_E_NS1_11comp_targetILNS1_3genE10ELNS1_11target_archE1201ELNS1_3gpuE5ELNS1_3repE0EEENS1_30default_config_static_selectorELNS0_4arch9wavefront6targetE0EEEvSK_
; %bb.0:
	.section	.rodata,"a",@progbits
	.p2align	6, 0x0
	.amdhsa_kernel _ZN7rocprim17ROCPRIM_400000_NS6detail17trampoline_kernelINS0_14default_configENS1_36segmented_radix_sort_config_selectorIslEEZNS1_25segmented_radix_sort_implIS3_Lb1EPKsPsPKlPlN2at6native12_GLOBAL__N_18offset_tEEE10hipError_tPvRmT1_PNSt15iterator_traitsISK_E10value_typeET2_T3_PNSL_ISQ_E10value_typeET4_jRbjT5_SW_jjP12ihipStream_tbEUlT_E_NS1_11comp_targetILNS1_3genE10ELNS1_11target_archE1201ELNS1_3gpuE5ELNS1_3repE0EEENS1_30default_config_static_selectorELNS0_4arch9wavefront6targetE0EEEvSK_
		.amdhsa_group_segment_fixed_size 0
		.amdhsa_private_segment_fixed_size 0
		.amdhsa_kernarg_size 96
		.amdhsa_user_sgpr_count 15
		.amdhsa_user_sgpr_dispatch_ptr 0
		.amdhsa_user_sgpr_queue_ptr 0
		.amdhsa_user_sgpr_kernarg_segment_ptr 1
		.amdhsa_user_sgpr_dispatch_id 0
		.amdhsa_user_sgpr_private_segment_size 0
		.amdhsa_wavefront_size32 1
		.amdhsa_uses_dynamic_stack 0
		.amdhsa_enable_private_segment 0
		.amdhsa_system_sgpr_workgroup_id_x 1
		.amdhsa_system_sgpr_workgroup_id_y 0
		.amdhsa_system_sgpr_workgroup_id_z 0
		.amdhsa_system_sgpr_workgroup_info 0
		.amdhsa_system_vgpr_workitem_id 0
		.amdhsa_next_free_vgpr 1
		.amdhsa_next_free_sgpr 1
		.amdhsa_reserve_vcc 0
		.amdhsa_float_round_mode_32 0
		.amdhsa_float_round_mode_16_64 0
		.amdhsa_float_denorm_mode_32 3
		.amdhsa_float_denorm_mode_16_64 3
		.amdhsa_dx10_clamp 1
		.amdhsa_ieee_mode 1
		.amdhsa_fp16_overflow 0
		.amdhsa_workgroup_processor_mode 1
		.amdhsa_memory_ordered 1
		.amdhsa_forward_progress 0
		.amdhsa_shared_vgpr_count 0
		.amdhsa_exception_fp_ieee_invalid_op 0
		.amdhsa_exception_fp_denorm_src 0
		.amdhsa_exception_fp_ieee_div_zero 0
		.amdhsa_exception_fp_ieee_overflow 0
		.amdhsa_exception_fp_ieee_underflow 0
		.amdhsa_exception_fp_ieee_inexact 0
		.amdhsa_exception_int_div_zero 0
	.end_amdhsa_kernel
	.section	.text._ZN7rocprim17ROCPRIM_400000_NS6detail17trampoline_kernelINS0_14default_configENS1_36segmented_radix_sort_config_selectorIslEEZNS1_25segmented_radix_sort_implIS3_Lb1EPKsPsPKlPlN2at6native12_GLOBAL__N_18offset_tEEE10hipError_tPvRmT1_PNSt15iterator_traitsISK_E10value_typeET2_T3_PNSL_ISQ_E10value_typeET4_jRbjT5_SW_jjP12ihipStream_tbEUlT_E_NS1_11comp_targetILNS1_3genE10ELNS1_11target_archE1201ELNS1_3gpuE5ELNS1_3repE0EEENS1_30default_config_static_selectorELNS0_4arch9wavefront6targetE0EEEvSK_,"axG",@progbits,_ZN7rocprim17ROCPRIM_400000_NS6detail17trampoline_kernelINS0_14default_configENS1_36segmented_radix_sort_config_selectorIslEEZNS1_25segmented_radix_sort_implIS3_Lb1EPKsPsPKlPlN2at6native12_GLOBAL__N_18offset_tEEE10hipError_tPvRmT1_PNSt15iterator_traitsISK_E10value_typeET2_T3_PNSL_ISQ_E10value_typeET4_jRbjT5_SW_jjP12ihipStream_tbEUlT_E_NS1_11comp_targetILNS1_3genE10ELNS1_11target_archE1201ELNS1_3gpuE5ELNS1_3repE0EEENS1_30default_config_static_selectorELNS0_4arch9wavefront6targetE0EEEvSK_,comdat
.Lfunc_end916:
	.size	_ZN7rocprim17ROCPRIM_400000_NS6detail17trampoline_kernelINS0_14default_configENS1_36segmented_radix_sort_config_selectorIslEEZNS1_25segmented_radix_sort_implIS3_Lb1EPKsPsPKlPlN2at6native12_GLOBAL__N_18offset_tEEE10hipError_tPvRmT1_PNSt15iterator_traitsISK_E10value_typeET2_T3_PNSL_ISQ_E10value_typeET4_jRbjT5_SW_jjP12ihipStream_tbEUlT_E_NS1_11comp_targetILNS1_3genE10ELNS1_11target_archE1201ELNS1_3gpuE5ELNS1_3repE0EEENS1_30default_config_static_selectorELNS0_4arch9wavefront6targetE0EEEvSK_, .Lfunc_end916-_ZN7rocprim17ROCPRIM_400000_NS6detail17trampoline_kernelINS0_14default_configENS1_36segmented_radix_sort_config_selectorIslEEZNS1_25segmented_radix_sort_implIS3_Lb1EPKsPsPKlPlN2at6native12_GLOBAL__N_18offset_tEEE10hipError_tPvRmT1_PNSt15iterator_traitsISK_E10value_typeET2_T3_PNSL_ISQ_E10value_typeET4_jRbjT5_SW_jjP12ihipStream_tbEUlT_E_NS1_11comp_targetILNS1_3genE10ELNS1_11target_archE1201ELNS1_3gpuE5ELNS1_3repE0EEENS1_30default_config_static_selectorELNS0_4arch9wavefront6targetE0EEEvSK_
                                        ; -- End function
	.section	.AMDGPU.csdata,"",@progbits
; Kernel info:
; codeLenInByte = 0
; NumSgprs: 0
; NumVgprs: 0
; ScratchSize: 0
; MemoryBound: 0
; FloatMode: 240
; IeeeMode: 1
; LDSByteSize: 0 bytes/workgroup (compile time only)
; SGPRBlocks: 0
; VGPRBlocks: 0
; NumSGPRsForWavesPerEU: 1
; NumVGPRsForWavesPerEU: 1
; Occupancy: 16
; WaveLimiterHint : 0
; COMPUTE_PGM_RSRC2:SCRATCH_EN: 0
; COMPUTE_PGM_RSRC2:USER_SGPR: 15
; COMPUTE_PGM_RSRC2:TRAP_HANDLER: 0
; COMPUTE_PGM_RSRC2:TGID_X_EN: 1
; COMPUTE_PGM_RSRC2:TGID_Y_EN: 0
; COMPUTE_PGM_RSRC2:TGID_Z_EN: 0
; COMPUTE_PGM_RSRC2:TIDIG_COMP_CNT: 0
	.section	.text._ZN7rocprim17ROCPRIM_400000_NS6detail17trampoline_kernelINS0_14default_configENS1_36segmented_radix_sort_config_selectorIslEEZNS1_25segmented_radix_sort_implIS3_Lb1EPKsPsPKlPlN2at6native12_GLOBAL__N_18offset_tEEE10hipError_tPvRmT1_PNSt15iterator_traitsISK_E10value_typeET2_T3_PNSL_ISQ_E10value_typeET4_jRbjT5_SW_jjP12ihipStream_tbEUlT_E_NS1_11comp_targetILNS1_3genE10ELNS1_11target_archE1200ELNS1_3gpuE4ELNS1_3repE0EEENS1_30default_config_static_selectorELNS0_4arch9wavefront6targetE0EEEvSK_,"axG",@progbits,_ZN7rocprim17ROCPRIM_400000_NS6detail17trampoline_kernelINS0_14default_configENS1_36segmented_radix_sort_config_selectorIslEEZNS1_25segmented_radix_sort_implIS3_Lb1EPKsPsPKlPlN2at6native12_GLOBAL__N_18offset_tEEE10hipError_tPvRmT1_PNSt15iterator_traitsISK_E10value_typeET2_T3_PNSL_ISQ_E10value_typeET4_jRbjT5_SW_jjP12ihipStream_tbEUlT_E_NS1_11comp_targetILNS1_3genE10ELNS1_11target_archE1200ELNS1_3gpuE4ELNS1_3repE0EEENS1_30default_config_static_selectorELNS0_4arch9wavefront6targetE0EEEvSK_,comdat
	.globl	_ZN7rocprim17ROCPRIM_400000_NS6detail17trampoline_kernelINS0_14default_configENS1_36segmented_radix_sort_config_selectorIslEEZNS1_25segmented_radix_sort_implIS3_Lb1EPKsPsPKlPlN2at6native12_GLOBAL__N_18offset_tEEE10hipError_tPvRmT1_PNSt15iterator_traitsISK_E10value_typeET2_T3_PNSL_ISQ_E10value_typeET4_jRbjT5_SW_jjP12ihipStream_tbEUlT_E_NS1_11comp_targetILNS1_3genE10ELNS1_11target_archE1200ELNS1_3gpuE4ELNS1_3repE0EEENS1_30default_config_static_selectorELNS0_4arch9wavefront6targetE0EEEvSK_ ; -- Begin function _ZN7rocprim17ROCPRIM_400000_NS6detail17trampoline_kernelINS0_14default_configENS1_36segmented_radix_sort_config_selectorIslEEZNS1_25segmented_radix_sort_implIS3_Lb1EPKsPsPKlPlN2at6native12_GLOBAL__N_18offset_tEEE10hipError_tPvRmT1_PNSt15iterator_traitsISK_E10value_typeET2_T3_PNSL_ISQ_E10value_typeET4_jRbjT5_SW_jjP12ihipStream_tbEUlT_E_NS1_11comp_targetILNS1_3genE10ELNS1_11target_archE1200ELNS1_3gpuE4ELNS1_3repE0EEENS1_30default_config_static_selectorELNS0_4arch9wavefront6targetE0EEEvSK_
	.p2align	8
	.type	_ZN7rocprim17ROCPRIM_400000_NS6detail17trampoline_kernelINS0_14default_configENS1_36segmented_radix_sort_config_selectorIslEEZNS1_25segmented_radix_sort_implIS3_Lb1EPKsPsPKlPlN2at6native12_GLOBAL__N_18offset_tEEE10hipError_tPvRmT1_PNSt15iterator_traitsISK_E10value_typeET2_T3_PNSL_ISQ_E10value_typeET4_jRbjT5_SW_jjP12ihipStream_tbEUlT_E_NS1_11comp_targetILNS1_3genE10ELNS1_11target_archE1200ELNS1_3gpuE4ELNS1_3repE0EEENS1_30default_config_static_selectorELNS0_4arch9wavefront6targetE0EEEvSK_,@function
_ZN7rocprim17ROCPRIM_400000_NS6detail17trampoline_kernelINS0_14default_configENS1_36segmented_radix_sort_config_selectorIslEEZNS1_25segmented_radix_sort_implIS3_Lb1EPKsPsPKlPlN2at6native12_GLOBAL__N_18offset_tEEE10hipError_tPvRmT1_PNSt15iterator_traitsISK_E10value_typeET2_T3_PNSL_ISQ_E10value_typeET4_jRbjT5_SW_jjP12ihipStream_tbEUlT_E_NS1_11comp_targetILNS1_3genE10ELNS1_11target_archE1200ELNS1_3gpuE4ELNS1_3repE0EEENS1_30default_config_static_selectorELNS0_4arch9wavefront6targetE0EEEvSK_: ; @_ZN7rocprim17ROCPRIM_400000_NS6detail17trampoline_kernelINS0_14default_configENS1_36segmented_radix_sort_config_selectorIslEEZNS1_25segmented_radix_sort_implIS3_Lb1EPKsPsPKlPlN2at6native12_GLOBAL__N_18offset_tEEE10hipError_tPvRmT1_PNSt15iterator_traitsISK_E10value_typeET2_T3_PNSL_ISQ_E10value_typeET4_jRbjT5_SW_jjP12ihipStream_tbEUlT_E_NS1_11comp_targetILNS1_3genE10ELNS1_11target_archE1200ELNS1_3gpuE4ELNS1_3repE0EEENS1_30default_config_static_selectorELNS0_4arch9wavefront6targetE0EEEvSK_
; %bb.0:
	.section	.rodata,"a",@progbits
	.p2align	6, 0x0
	.amdhsa_kernel _ZN7rocprim17ROCPRIM_400000_NS6detail17trampoline_kernelINS0_14default_configENS1_36segmented_radix_sort_config_selectorIslEEZNS1_25segmented_radix_sort_implIS3_Lb1EPKsPsPKlPlN2at6native12_GLOBAL__N_18offset_tEEE10hipError_tPvRmT1_PNSt15iterator_traitsISK_E10value_typeET2_T3_PNSL_ISQ_E10value_typeET4_jRbjT5_SW_jjP12ihipStream_tbEUlT_E_NS1_11comp_targetILNS1_3genE10ELNS1_11target_archE1200ELNS1_3gpuE4ELNS1_3repE0EEENS1_30default_config_static_selectorELNS0_4arch9wavefront6targetE0EEEvSK_
		.amdhsa_group_segment_fixed_size 0
		.amdhsa_private_segment_fixed_size 0
		.amdhsa_kernarg_size 96
		.amdhsa_user_sgpr_count 15
		.amdhsa_user_sgpr_dispatch_ptr 0
		.amdhsa_user_sgpr_queue_ptr 0
		.amdhsa_user_sgpr_kernarg_segment_ptr 1
		.amdhsa_user_sgpr_dispatch_id 0
		.amdhsa_user_sgpr_private_segment_size 0
		.amdhsa_wavefront_size32 1
		.amdhsa_uses_dynamic_stack 0
		.amdhsa_enable_private_segment 0
		.amdhsa_system_sgpr_workgroup_id_x 1
		.amdhsa_system_sgpr_workgroup_id_y 0
		.amdhsa_system_sgpr_workgroup_id_z 0
		.amdhsa_system_sgpr_workgroup_info 0
		.amdhsa_system_vgpr_workitem_id 0
		.amdhsa_next_free_vgpr 1
		.amdhsa_next_free_sgpr 1
		.amdhsa_reserve_vcc 0
		.amdhsa_float_round_mode_32 0
		.amdhsa_float_round_mode_16_64 0
		.amdhsa_float_denorm_mode_32 3
		.amdhsa_float_denorm_mode_16_64 3
		.amdhsa_dx10_clamp 1
		.amdhsa_ieee_mode 1
		.amdhsa_fp16_overflow 0
		.amdhsa_workgroup_processor_mode 1
		.amdhsa_memory_ordered 1
		.amdhsa_forward_progress 0
		.amdhsa_shared_vgpr_count 0
		.amdhsa_exception_fp_ieee_invalid_op 0
		.amdhsa_exception_fp_denorm_src 0
		.amdhsa_exception_fp_ieee_div_zero 0
		.amdhsa_exception_fp_ieee_overflow 0
		.amdhsa_exception_fp_ieee_underflow 0
		.amdhsa_exception_fp_ieee_inexact 0
		.amdhsa_exception_int_div_zero 0
	.end_amdhsa_kernel
	.section	.text._ZN7rocprim17ROCPRIM_400000_NS6detail17trampoline_kernelINS0_14default_configENS1_36segmented_radix_sort_config_selectorIslEEZNS1_25segmented_radix_sort_implIS3_Lb1EPKsPsPKlPlN2at6native12_GLOBAL__N_18offset_tEEE10hipError_tPvRmT1_PNSt15iterator_traitsISK_E10value_typeET2_T3_PNSL_ISQ_E10value_typeET4_jRbjT5_SW_jjP12ihipStream_tbEUlT_E_NS1_11comp_targetILNS1_3genE10ELNS1_11target_archE1200ELNS1_3gpuE4ELNS1_3repE0EEENS1_30default_config_static_selectorELNS0_4arch9wavefront6targetE0EEEvSK_,"axG",@progbits,_ZN7rocprim17ROCPRIM_400000_NS6detail17trampoline_kernelINS0_14default_configENS1_36segmented_radix_sort_config_selectorIslEEZNS1_25segmented_radix_sort_implIS3_Lb1EPKsPsPKlPlN2at6native12_GLOBAL__N_18offset_tEEE10hipError_tPvRmT1_PNSt15iterator_traitsISK_E10value_typeET2_T3_PNSL_ISQ_E10value_typeET4_jRbjT5_SW_jjP12ihipStream_tbEUlT_E_NS1_11comp_targetILNS1_3genE10ELNS1_11target_archE1200ELNS1_3gpuE4ELNS1_3repE0EEENS1_30default_config_static_selectorELNS0_4arch9wavefront6targetE0EEEvSK_,comdat
.Lfunc_end917:
	.size	_ZN7rocprim17ROCPRIM_400000_NS6detail17trampoline_kernelINS0_14default_configENS1_36segmented_radix_sort_config_selectorIslEEZNS1_25segmented_radix_sort_implIS3_Lb1EPKsPsPKlPlN2at6native12_GLOBAL__N_18offset_tEEE10hipError_tPvRmT1_PNSt15iterator_traitsISK_E10value_typeET2_T3_PNSL_ISQ_E10value_typeET4_jRbjT5_SW_jjP12ihipStream_tbEUlT_E_NS1_11comp_targetILNS1_3genE10ELNS1_11target_archE1200ELNS1_3gpuE4ELNS1_3repE0EEENS1_30default_config_static_selectorELNS0_4arch9wavefront6targetE0EEEvSK_, .Lfunc_end917-_ZN7rocprim17ROCPRIM_400000_NS6detail17trampoline_kernelINS0_14default_configENS1_36segmented_radix_sort_config_selectorIslEEZNS1_25segmented_radix_sort_implIS3_Lb1EPKsPsPKlPlN2at6native12_GLOBAL__N_18offset_tEEE10hipError_tPvRmT1_PNSt15iterator_traitsISK_E10value_typeET2_T3_PNSL_ISQ_E10value_typeET4_jRbjT5_SW_jjP12ihipStream_tbEUlT_E_NS1_11comp_targetILNS1_3genE10ELNS1_11target_archE1200ELNS1_3gpuE4ELNS1_3repE0EEENS1_30default_config_static_selectorELNS0_4arch9wavefront6targetE0EEEvSK_
                                        ; -- End function
	.section	.AMDGPU.csdata,"",@progbits
; Kernel info:
; codeLenInByte = 0
; NumSgprs: 0
; NumVgprs: 0
; ScratchSize: 0
; MemoryBound: 0
; FloatMode: 240
; IeeeMode: 1
; LDSByteSize: 0 bytes/workgroup (compile time only)
; SGPRBlocks: 0
; VGPRBlocks: 0
; NumSGPRsForWavesPerEU: 1
; NumVGPRsForWavesPerEU: 1
; Occupancy: 16
; WaveLimiterHint : 0
; COMPUTE_PGM_RSRC2:SCRATCH_EN: 0
; COMPUTE_PGM_RSRC2:USER_SGPR: 15
; COMPUTE_PGM_RSRC2:TRAP_HANDLER: 0
; COMPUTE_PGM_RSRC2:TGID_X_EN: 1
; COMPUTE_PGM_RSRC2:TGID_Y_EN: 0
; COMPUTE_PGM_RSRC2:TGID_Z_EN: 0
; COMPUTE_PGM_RSRC2:TIDIG_COMP_CNT: 0
	.text
	.p2align	2                               ; -- Begin function _ZN7rocprim17ROCPRIM_400000_NS6detail40segmented_radix_sort_single_block_helperIslLj256ELj16ELb1EE4sortIPKsPsPKlPlEEbT_T0_T1_T2_jjjjRNS3_12storage_typeE
	.type	_ZN7rocprim17ROCPRIM_400000_NS6detail40segmented_radix_sort_single_block_helperIslLj256ELj16ELb1EE4sortIPKsPsPKlPlEEbT_T0_T1_T2_jjjjRNS3_12storage_typeE,@function
_ZN7rocprim17ROCPRIM_400000_NS6detail40segmented_radix_sort_single_block_helperIslLj256ELj16ELb1EE4sortIPKsPsPKlPlEEbT_T0_T1_T2_jjjjRNS3_12storage_typeE: ; @_ZN7rocprim17ROCPRIM_400000_NS6detail40segmented_radix_sort_single_block_helperIslLj256ELj16ELb1EE4sortIPKsPsPKlPlEEbT_T0_T1_T2_jjjjRNS3_12storage_typeE
; %bb.0:
	s_waitcnt vmcnt(0) expcnt(0) lgkmcnt(0)
	s_clause 0x1f
	scratch_store_b32 off, v40, s32 offset:180
	; meta instruction
	scratch_store_b32 off, v41, s32 offset:176
	; meta instruction
	scratch_store_b32 off, v42, s32 offset:172
	; meta instruction
	scratch_store_b32 off, v43, s32 offset:168
	; meta instruction
	scratch_store_b32 off, v44, s32 offset:164
	; meta instruction
	scratch_store_b32 off, v45, s32 offset:160
	; meta instruction
	scratch_store_b32 off, v46, s32 offset:156
	; meta instruction
	scratch_store_b32 off, v47, s32 offset:152
	; meta instruction
	scratch_store_b32 off, v56, s32 offset:148
	; meta instruction
	scratch_store_b32 off, v57, s32 offset:144
	; meta instruction
	scratch_store_b32 off, v58, s32 offset:140
	; meta instruction
	scratch_store_b32 off, v59, s32 offset:136
	; meta instruction
	scratch_store_b32 off, v60, s32 offset:132
	; meta instruction
	scratch_store_b32 off, v61, s32 offset:128
	; meta instruction
	scratch_store_b32 off, v62, s32 offset:124
	; meta instruction
	scratch_store_b32 off, v63, s32 offset:120
	; meta instruction
	scratch_store_b32 off, v72, s32 offset:116
	; meta instruction
	scratch_store_b32 off, v73, s32 offset:112
	; meta instruction
	scratch_store_b32 off, v74, s32 offset:108
	; meta instruction
	scratch_store_b32 off, v75, s32 offset:104
	; meta instruction
	scratch_store_b32 off, v76, s32 offset:100
	; meta instruction
	scratch_store_b32 off, v77, s32 offset:96
	; meta instruction
	scratch_store_b32 off, v78, s32 offset:92
	; meta instruction
	scratch_store_b32 off, v79, s32 offset:88
	; meta instruction
	scratch_store_b32 off, v88, s32 offset:84
	; meta instruction
	scratch_store_b32 off, v89, s32 offset:80
	; meta instruction
	scratch_store_b32 off, v90, s32 offset:76
	; meta instruction
	scratch_store_b32 off, v91, s32 offset:72
	; meta instruction
	scratch_store_b32 off, v92, s32 offset:68
	; meta instruction
	scratch_store_b32 off, v93, s32 offset:64
	; meta instruction
	scratch_store_b32 off, v94, s32 offset:60
	; meta instruction
	scratch_store_b32 off, v95, s32 offset:56
	s_clause 0xd
	scratch_store_b32 off, v104, s32 offset:52
	; meta instruction
	scratch_store_b32 off, v105, s32 offset:48
	; meta instruction
	;; [unrolled: 2-line block ×13, first 2 shown]
	scratch_store_b32 off, v125, s32
	v_sub_nc_u32_e32 v47, v9, v8
	s_mov_b32 s24, exec_lo
	s_delay_alu instid0(VALU_DEP_1)
	v_cmpx_gt_u32_e32 0x1001, v47
	s_cbranch_execz .LBB918_372
; %bb.1:
	v_bfe_u32 v14, v31, 10, 10
	v_bfe_u32 v15, v31, 20, 10
	v_and_b32_e32 v26, 0x3ff, v31
	v_mbcnt_lo_u32_b32 v35, -1, 0
	s_mov_b32 s0, exec_lo
	v_cmpx_lt_u32_e32 0x800, v47
	s_xor_b32 s25, exec_lo, s0
	s_cbranch_execz .LBB918_143
; %bb.2:
	s_load_b64 s[0:1], s[8:9], 0x0
	v_mov_b32_e32 v9, 0
	s_mov_b32 s16, 0x80008000
	s_delay_alu instid0(SALU_CYCLE_1)
	s_mov_b32 s17, s16
	s_mov_b32 s18, s16
	;; [unrolled: 1-line block ×7, first 2 shown]
	s_waitcnt lgkmcnt(0)
	s_cmp_lt_u32 s13, s1
	s_cselect_b32 s1, 14, 20
	s_delay_alu instid0(SALU_CYCLE_1) | instskip(SKIP_4) | instid1(SALU_CYCLE_1)
	s_add_u32 s2, s8, s1
	s_addc_u32 s3, s9, 0
	s_cmp_lt_u32 s12, s0
	global_load_u16 v16, v9, s[2:3]
	s_cselect_b32 s0, 12, 18
	s_add_u32 s0, s8, s0
	s_addc_u32 s1, s9, 0
	global_load_u16 v17, v9, s[0:1]
	s_waitcnt vmcnt(1)
	v_mad_u32_u24 v14, v15, v16, v14
	s_waitcnt vmcnt(0)
	s_delay_alu instid0(VALU_DEP_1) | instskip(SKIP_2) | instid1(VALU_DEP_3)
	v_mad_u64_u32 v[27:28], null, v14, v17, v[26:27]
	v_lshlrev_b32_e32 v14, 1, v35
	v_lshlrev_b64 v[29:30], 1, v[8:9]
	v_lshlrev_b32_e32 v15, 4, v27
	s_delay_alu instid0(VALU_DEP_1) | instskip(NEXT) | instid1(VALU_DEP_3)
	v_dual_mov_b32 v23, v9 :: v_dual_and_b32 v22, 0xfffffe00, v15
	v_add_co_u32 v15, vcc_lo, v0, v29
	s_delay_alu instid0(VALU_DEP_4) | instskip(NEXT) | instid1(VALU_DEP_3)
	v_add_co_ci_u32_e32 v16, vcc_lo, v1, v30, vcc_lo
	v_lshlrev_b64 v[0:1], 1, v[22:23]
	s_delay_alu instid0(VALU_DEP_3) | instskip(NEXT) | instid1(VALU_DEP_3)
	v_add_co_u32 v14, vcc_lo, v15, v14
	v_add_co_ci_u32_e32 v15, vcc_lo, 0, v16, vcc_lo
	v_or_b32_e32 v24, v22, v35
	s_delay_alu instid0(VALU_DEP_3) | instskip(NEXT) | instid1(VALU_DEP_1)
	v_add_co_u32 v0, s0, v14, v0
	v_add_co_ci_u32_e64 v1, s0, v15, v1, s0
	v_dual_mov_b32 v14, s16 :: v_dual_mov_b32 v15, s17
	s_delay_alu instid0(VALU_DEP_4)
	v_cmp_lt_u32_e32 vcc_lo, v24, v47
	v_dual_mov_b32 v16, s18 :: v_dual_mov_b32 v17, s19
	v_dual_mov_b32 v18, s20 :: v_dual_mov_b32 v19, s21
	;; [unrolled: 1-line block ×3, first 2 shown]
	s_and_saveexec_b32 s0, vcc_lo
	s_cbranch_execz .LBB918_4
; %bb.3:
	v_bfrev_b32_e32 v14, 1
	v_mov_b32_e32 v15, 0x80008000
	flat_load_d16_b16 v14, v[0:1]
	v_mov_b32_e32 v16, v15
	v_mov_b32_e32 v17, v15
	;; [unrolled: 1-line block ×6, first 2 shown]
.LBB918_4:
	s_or_b32 exec_lo, exec_lo, s0
	v_or_b32_e32 v25, 32, v24
	s_delay_alu instid0(VALU_DEP_1) | instskip(NEXT) | instid1(VALU_DEP_1)
	v_cmp_lt_u32_e64 s0, v25, v47
	s_and_saveexec_b32 s1, s0
	s_cbranch_execz .LBB918_6
; %bb.5:
	s_waitcnt vmcnt(0) lgkmcnt(0)
	flat_load_d16_hi_b16 v14, v[0:1] offset:64
.LBB918_6:
	s_or_b32 exec_lo, exec_lo, s1
	v_or_b32_e32 v25, 64, v24
	s_delay_alu instid0(VALU_DEP_1) | instskip(NEXT) | instid1(VALU_DEP_1)
	v_cmp_lt_u32_e64 s1, v25, v47
	s_and_saveexec_b32 s2, s1
	s_cbranch_execz .LBB918_8
; %bb.7:
	flat_load_d16_b16 v15, v[0:1] offset:128
.LBB918_8:
	s_or_b32 exec_lo, exec_lo, s2
	v_or_b32_e32 v25, 0x60, v24
	s_delay_alu instid0(VALU_DEP_1) | instskip(NEXT) | instid1(VALU_DEP_1)
	v_cmp_lt_u32_e64 s2, v25, v47
	s_and_saveexec_b32 s3, s2
	s_cbranch_execz .LBB918_10
; %bb.9:
	s_waitcnt vmcnt(0) lgkmcnt(0)
	flat_load_d16_hi_b16 v15, v[0:1] offset:192
.LBB918_10:
	s_or_b32 exec_lo, exec_lo, s3
	v_or_b32_e32 v25, 0x80, v24
	s_delay_alu instid0(VALU_DEP_1) | instskip(NEXT) | instid1(VALU_DEP_1)
	v_cmp_lt_u32_e64 s3, v25, v47
	s_and_saveexec_b32 s4, s3
	s_cbranch_execz .LBB918_12
; %bb.11:
	flat_load_d16_b16 v16, v[0:1] offset:256
.LBB918_12:
	;; [unrolled: 19-line block ×7, first 2 shown]
	s_or_b32 exec_lo, exec_lo, s18
	v_or_b32_e32 v24, 0x1e0, v24
	s_delay_alu instid0(VALU_DEP_1) | instskip(NEXT) | instid1(VALU_DEP_1)
	v_cmp_lt_u32_e64 s18, v24, v47
	s_and_saveexec_b32 s19, s18
	s_cbranch_execz .LBB918_34
; %bb.33:
	s_waitcnt vmcnt(0) lgkmcnt(0)
	flat_load_d16_hi_b16 v21, v[0:1] offset:960
.LBB918_34:
	s_or_b32 exec_lo, exec_lo, s19
	v_lshlrev_b64 v[0:1], 3, v[8:9]
	v_lshlrev_b32_e32 v8, 3, v35
                                        ; implicit-def: $vgpr166_vgpr167
	s_delay_alu instid0(VALU_DEP_2) | instskip(NEXT) | instid1(VALU_DEP_1)
	v_add_co_u32 v9, s19, v4, v0
	v_add_co_ci_u32_e64 v24, s19, v5, v1, s19
	v_lshlrev_b64 v[4:5], 3, v[22:23]
	s_delay_alu instid0(VALU_DEP_3) | instskip(NEXT) | instid1(VALU_DEP_1)
	v_add_co_u32 v8, s19, v9, v8
	v_add_co_ci_u32_e64 v9, s19, 0, v24, s19
	s_delay_alu instid0(VALU_DEP_2) | instskip(NEXT) | instid1(VALU_DEP_1)
	v_add_co_u32 v4, s19, v8, v4
	v_add_co_ci_u32_e64 v5, s19, v9, v5, s19
	s_and_saveexec_b32 s19, vcc_lo
	s_cbranch_execnz .LBB918_196
; %bb.35:
	s_or_b32 exec_lo, exec_lo, s19
                                        ; implicit-def: $vgpr178_vgpr179
	s_and_saveexec_b32 s19, s0
	s_cbranch_execnz .LBB918_197
.LBB918_36:
	s_or_b32 exec_lo, exec_lo, s19
                                        ; implicit-def: $vgpr182_vgpr183
	s_and_saveexec_b32 s0, s1
	s_cbranch_execnz .LBB918_198
.LBB918_37:
	s_or_b32 exec_lo, exec_lo, s0
                                        ; implicit-def: $vgpr194_vgpr195
	s_and_saveexec_b32 s0, s2
	s_cbranch_execnz .LBB918_199
.LBB918_38:
	s_or_b32 exec_lo, exec_lo, s0
                                        ; implicit-def: $vgpr198_vgpr199
	s_and_saveexec_b32 s0, s3
	s_cbranch_execnz .LBB918_200
.LBB918_39:
	s_or_b32 exec_lo, exec_lo, s0
                                        ; implicit-def: $vgpr116_vgpr117
	s_and_saveexec_b32 s0, s4
	s_cbranch_execnz .LBB918_201
.LBB918_40:
	s_or_b32 exec_lo, exec_lo, s0
                                        ; implicit-def: $vgpr146_vgpr147
	s_and_saveexec_b32 s0, s5
	s_cbranch_execnz .LBB918_202
.LBB918_41:
	s_or_b32 exec_lo, exec_lo, s0
                                        ; implicit-def: $vgpr176_vgpr177
	s_and_saveexec_b32 s0, s6
	s_cbranch_execnz .LBB918_203
.LBB918_42:
	s_or_b32 exec_lo, exec_lo, s0
                                        ; implicit-def: $vgpr180_vgpr181
	s_and_saveexec_b32 s0, s7
	s_cbranch_execnz .LBB918_204
.LBB918_43:
	s_or_b32 exec_lo, exec_lo, s0
                                        ; implicit-def: $vgpr192_vgpr193
	s_and_saveexec_b32 s0, s10
	s_cbranch_execnz .LBB918_205
.LBB918_44:
	s_or_b32 exec_lo, exec_lo, s0
                                        ; implicit-def: $vgpr196_vgpr197
	s_and_saveexec_b32 s0, s11
	s_cbranch_execnz .LBB918_206
.LBB918_45:
	s_or_b32 exec_lo, exec_lo, s0
                                        ; implicit-def: $vgpr208_vgpr209
	s_and_saveexec_b32 s0, s14
	s_cbranch_execnz .LBB918_207
.LBB918_46:
	s_or_b32 exec_lo, exec_lo, s0
                                        ; implicit-def: $vgpr210_vgpr211
	s_and_saveexec_b32 s0, s15
	s_cbranch_execnz .LBB918_208
.LBB918_47:
	s_or_b32 exec_lo, exec_lo, s0
                                        ; implicit-def: $vgpr212_vgpr213
	s_and_saveexec_b32 s0, s16
	s_cbranch_execnz .LBB918_209
.LBB918_48:
	s_or_b32 exec_lo, exec_lo, s0
                                        ; implicit-def: $vgpr214_vgpr215
	s_and_saveexec_b32 s0, s17
	s_cbranch_execnz .LBB918_210
.LBB918_49:
	s_or_b32 exec_lo, exec_lo, s0
                                        ; implicit-def: $vgpr224_vgpr225
	s_and_saveexec_b32 s0, s18
	s_cbranch_execz .LBB918_51
.LBB918_50:
	flat_load_b64 v[224:225], v[4:5] offset:3840
.LBB918_51:
	s_or_b32 exec_lo, exec_lo, s0
	v_dual_mov_b32 v5, 0 :: v_dual_lshlrev_b32 v4, 5, v26
	s_mov_b32 s20, 0
	s_waitcnt vmcnt(0) lgkmcnt(0)
	v_xor_b32_e32 v121, 0x7fff7fff, v17
	v_add_co_u32 v28, vcc_lo, v12, 32
	v_add_nc_u32_e32 v17, -1, v35
	v_xor_b32_e32 v120, 0x7fff7fff, v16
	s_mov_b32 s21, s20
	s_mov_b32 s22, s20
	;; [unrolled: 1-line block ×3, first 2 shown]
	v_and_b32_e32 v16, 0x3e0, v26
	v_add_co_ci_u32_e32 v74, vcc_lo, 0, v13, vcc_lo
	v_add_co_u32 v8, vcc_lo, v12, v4
	v_xor_b32_e32 v111, 0x7fff7fff, v15
	v_add_co_ci_u32_e32 v9, vcc_lo, 0, v13, vcc_lo
	v_and_b32_e32 v15, 15, v35
	v_cmp_gt_i32_e64 s4, 0, v17
	v_add_co_u32 v31, vcc_lo, v28, v4
	v_min_u32_e32 v4, 0xe0, v16
	v_and_b32_e32 v16, 16, v35
	s_getpc_b64 s[0:1]
	s_add_u32 s0, s0, _ZN7rocprim17ROCPRIM_400000_NS16block_radix_sortIsLj256ELj16ElLj1ELj1ELj8ELNS0_26block_radix_rank_algorithmE2ELNS0_18block_padding_hintE2ELNS0_4arch9wavefront6targetE0EE19radix_bits_per_passE@rel32@lo+4
	s_addc_u32 s1, s1, _ZN7rocprim17ROCPRIM_400000_NS16block_radix_sortIsLj256ELj16ElLj1ELj1ELj8ELNS0_26block_radix_rank_algorithmE2ELNS0_18block_padding_hintE2ELNS0_4arch9wavefront6targetE0EE19radix_bits_per_passE@rel32@hi+12
	v_add_co_ci_u32_e32 v32, vcc_lo, 0, v74, vcc_lo
	s_load_b32 s19, s[0:1], 0x0
	v_cmp_eq_u32_e32 vcc_lo, 0, v15
	v_cmp_lt_u32_e64 s0, 1, v15
	v_cmp_lt_u32_e64 s1, 3, v15
	;; [unrolled: 1-line block ×3, first 2 shown]
	v_cndmask_b32_e64 v15, v17, v35, s4
	v_lshlrev_b32_e32 v17, 4, v26
	v_or_b32_e32 v4, 31, v4
	v_cmp_eq_u32_e64 s3, 0, v16
	v_lshrrev_b32_e32 v16, 5, v26
	v_xor_b32_e32 v123, 0x7fff7fff, v19
	v_and_or_b32 v17, 0x3e00, v17, v35
	v_cmp_eq_u32_e64 s4, v4, v26
	v_lshlrev_b32_e32 v76, 2, v15
	v_lshlrev_b32_e32 v4, 2, v16
	;; [unrolled: 1-line block ×4, first 2 shown]
	v_xor_b32_e32 v122, 0x7fff7fff, v18
	v_and_b32_e32 v18, 7, v35
	v_add_co_u32 v70, s11, v12, v4
	v_add_nc_u32_e32 v4, -1, v16
	v_add_co_ci_u32_e64 v71, s11, 0, v13, s11
	v_add_co_u32 v82, s16, v12, v19
	v_add_co_u32 v80, s11, v12, v15
	s_delay_alu instid0(VALU_DEP_4) | instskip(SKIP_3) | instid1(VALU_DEP_4)
	v_lshlrev_b64 v[15:16], 2, v[4:5]
	v_add_co_ci_u32_e64 v83, s16, 0, v13, s16
	v_add_co_ci_u32_e64 v81, s11, 0, v13, s11
	v_xor_b32_e32 v78, 0x7fff7fff, v14
	v_add_co_u32 v86, s16, v12, v15
	s_delay_alu instid0(VALU_DEP_4)
	v_mad_u64_u32 v[102:103], null, v17, 6, v[82:83]
	v_add_co_ci_u32_e64 v87, s16, v13, v16, s16
	v_mov_b32_e32 v14, s20
	v_xor_b32_e32 v124, 0x7fff7fff, v20
	v_xor_b32_e32 v125, 0x7fff7fff, v21
	v_lshrrev_b32_e32 v75, 5, v27
	v_cmp_gt_u32_e64 s5, 8, v26
	v_cmp_lt_u32_e64 s6, 31, v26
	v_cmp_eq_u32_e64 s7, 0, v35
	v_cmp_eq_u32_e64 s10, 0, v26
	;; [unrolled: 1-line block ×3, first 2 shown]
	v_cmp_lt_u32_e64 s14, 1, v18
	v_cmp_lt_u32_e64 s15, 3, v18
	v_sub_nc_u32_e32 v77, v11, v10
	v_dual_mov_b32 v15, s21 :: v_dual_mov_b32 v16, s22
	v_mov_b32_e32 v17, s23
	s_waitcnt lgkmcnt(0)
	s_waitcnt_vscnt null, 0x0
	s_barrier
	buffer_gl0_inv
	s_branch .LBB918_53
.LBB918_52:                             ;   in Loop: Header=BB918_53 Depth=1
	s_or_b32 exec_lo, exec_lo, s17
	s_delay_alu instid0(SALU_CYCLE_1) | instskip(NEXT) | instid1(SALU_CYCLE_1)
	s_and_b32 s16, exec_lo, s18
	s_or_b32 s20, s16, s20
	s_delay_alu instid0(SALU_CYCLE_1)
	s_and_not1_b32 exec_lo, exec_lo, s20
	s_cbranch_execz .LBB918_93
.LBB918_53:                             ; =>This Inner Loop Header: Depth=1
	v_min_u32_e32 v4, s19, v77
	v_dual_mov_b32 v79, v125 :: v_dual_and_b32 v18, 0xffff, v78
	v_dual_mov_b32 v88, v124 :: v_dual_mov_b32 v89, v123
	s_delay_alu instid0(VALU_DEP_3) | instskip(SKIP_1) | instid1(VALU_DEP_4)
	v_lshlrev_b32_e64 v4, v4, -1
	v_dual_mov_b32 v90, v122 :: v_dual_mov_b32 v91, v121
	v_lshrrev_b32_e32 v19, v10, v18
	v_dual_mov_b32 v92, v120 :: v_dual_mov_b32 v93, v111
	s_delay_alu instid0(VALU_DEP_4) | instskip(SKIP_2) | instid1(VALU_DEP_3)
	v_not_b32_e32 v18, v4
	v_dual_mov_b32 v64, v166 :: v_dual_mov_b32 v65, v167
	v_dual_mov_b32 v68, v178 :: v_dual_mov_b32 v69, v179
	v_dual_mov_b32 v35, v194 :: v_dual_and_b32 v4, v19, v18
	v_dual_mov_b32 v36, v195 :: v_dual_mov_b32 v33, v198
	s_delay_alu instid0(VALU_DEP_2) | instskip(SKIP_3) | instid1(VALU_DEP_4)
	v_dual_mov_b32 v34, v199 :: v_dual_and_b32 v19, 1, v4
	v_lshlrev_b32_e32 v20, 30, v4
	v_dual_mov_b32 v112, v116 :: v_dual_lshlrev_b32 v21, 29, v4
	v_mov_b32_e32 v113, v117
	v_add_co_u32 v19, s16, v19, -1
	s_delay_alu instid0(VALU_DEP_1)
	v_cndmask_b32_e64 v23, 0, 1, s16
	v_not_b32_e32 v38, v20
	v_lshlrev_b32_e32 v22, 28, v4
	v_cmp_gt_i32_e64 s17, 0, v20
	v_not_b32_e32 v20, v21
	v_cmp_ne_u32_e64 s16, 0, v23
	v_ashrrev_i32_e32 v38, 31, v38
	v_dual_mov_b32 v114, v146 :: v_dual_lshlrev_b32 v25, 26, v4
	v_lshlrev_b32_e32 v24, 27, v4
	s_delay_alu instid0(VALU_DEP_4)
	v_xor_b32_e32 v19, s16, v19
	v_cmp_gt_i32_e64 s16, 0, v21
	v_ashrrev_i32_e32 v20, 31, v20
	v_xor_b32_e32 v38, s17, v38
	v_mov_b32_e32 v115, v147
	v_not_b32_e32 v21, v22
	v_dual_mov_b32 v98, v192 :: v_dual_and_b32 v19, exec_lo, v19
	v_dual_mov_b32 v100, v176 :: v_dual_lshlrev_b32 v37, 25, v4
	v_cmp_gt_i32_e64 s17, 0, v22
	s_delay_alu instid0(VALU_DEP_4)
	v_ashrrev_i32_e32 v21, 31, v21
	v_xor_b32_e32 v20, s16, v20
	v_dual_mov_b32 v96, v196 :: v_dual_and_b32 v19, v19, v38
	v_mov_b32_e32 v101, v177
	v_not_b32_e32 v22, v24
	v_cmp_gt_i32_e64 s16, 0, v24
	v_not_b32_e32 v24, v25
	v_xor_b32_e32 v21, s17, v21
	v_dual_mov_b32 v50, v208 :: v_dual_and_b32 v19, v19, v20
	v_ashrrev_i32_e32 v22, 31, v22
	v_dual_mov_b32 v84, v180 :: v_dual_lshlrev_b32 v23, 24, v4
	v_cmp_gt_i32_e64 s17, 0, v25
	v_not_b32_e32 v20, v37
	v_ashrrev_i32_e32 v24, 31, v24
	v_xor_b32_e32 v22, s16, v22
	v_dual_mov_b32 v48, v210 :: v_dual_and_b32 v19, v19, v21
	v_cmp_gt_i32_e64 s16, 0, v37
	v_not_b32_e32 v21, v23
	v_ashrrev_i32_e32 v20, 31, v20
	v_xor_b32_e32 v24, s17, v24
	v_dual_mov_b32 v54, v212 :: v_dual_and_b32 v19, v19, v22
	v_cmp_gt_i32_e64 s17, 0, v23
	v_ashrrev_i32_e32 v21, 31, v21
	v_xor_b32_e32 v20, s16, v20
	s_delay_alu instid0(VALU_DEP_4) | instskip(SKIP_1) | instid1(VALU_DEP_4)
	v_dual_mov_b32 v52, v214 :: v_dual_and_b32 v19, v19, v24
	v_mov_b32_e32 v37, v224
	v_xor_b32_e32 v21, s17, v21
	v_mov_b32_e32 v85, v181
	s_delay_alu instid0(VALU_DEP_4) | instskip(SKIP_2) | instid1(VALU_DEP_3)
	v_dual_mov_b32 v38, v225 :: v_dual_and_b32 v19, v19, v20
	v_lshlrev_b32_e32 v20, 3, v4
	v_dual_mov_b32 v66, v182 :: v_dual_mov_b32 v67, v183
	v_and_b32_e32 v19, v19, v21
	v_mov_b32_e32 v99, v193
	s_delay_alu instid0(VALU_DEP_4)
	v_add_lshl_u32 v20, v20, v75, 2
	v_mov_b32_e32 v97, v197
	v_mov_b32_e32 v51, v209
	v_mbcnt_lo_u32_b32 v4, v19, 0
	v_cmp_ne_u32_e64 s17, 0, v19
	v_add_co_u32 v116, s18, v28, v20
	v_mov_b32_e32 v49, v211
	s_delay_alu instid0(VALU_DEP_4) | instskip(SKIP_3) | instid1(VALU_DEP_4)
	v_cmp_eq_u32_e64 s16, 0, v4
	v_mov_b32_e32 v55, v213
	v_mov_b32_e32 v53, v215
	v_add_co_ci_u32_e64 v117, s18, 0, v74, s18
	s_and_b32 s17, s17, s16
	s_clause 0x1
	flat_store_b128 v[8:9], v[14:17] offset:32
	flat_store_b128 v[31:32], v[14:17] offset:16
	s_waitcnt lgkmcnt(0)
	s_waitcnt_vscnt null, 0x0
	s_barrier
	buffer_gl0_inv
	; wave barrier
	s_and_saveexec_b32 s16, s17
	s_cbranch_execz .LBB918_55
; %bb.54:                               ;   in Loop: Header=BB918_53 Depth=1
	v_bcnt_u32_b32 v19, v19, 0
	flat_store_b32 v[116:117], v19
.LBB918_55:                             ;   in Loop: Header=BB918_53 Depth=1
	s_or_b32 exec_lo, exec_lo, s16
	v_lshrrev_b32_e32 v94, 16, v78
	; wave barrier
	s_delay_alu instid0(VALU_DEP_1) | instskip(NEXT) | instid1(VALU_DEP_1)
	v_lshrrev_b32_e32 v19, v10, v94
	v_and_b32_e32 v19, v19, v18
	s_delay_alu instid0(VALU_DEP_1) | instskip(SKIP_3) | instid1(VALU_DEP_4)
	v_lshlrev_b32_e32 v20, 3, v19
	v_lshlrev_b32_e32 v22, 30, v19
	v_lshlrev_b32_e32 v23, 29, v19
	v_lshlrev_b32_e32 v24, 28, v19
	v_add_lshl_u32 v20, v20, v75, 2
	s_delay_alu instid0(VALU_DEP_1) | instskip(NEXT) | instid1(VALU_DEP_1)
	v_add_co_u32 v118, s16, v28, v20
	v_add_co_ci_u32_e64 v119, s16, 0, v74, s16
	v_and_b32_e32 v20, 1, v19
	flat_load_b32 v39, v[118:119]
	v_add_co_u32 v20, s16, v20, -1
	s_delay_alu instid0(VALU_DEP_1) | instskip(NEXT) | instid1(VALU_DEP_1)
	v_cndmask_b32_e64 v21, 0, 1, s16
	; wave barrier
	v_cmp_ne_u32_e64 s16, 0, v21
	v_not_b32_e32 v21, v22
	s_delay_alu instid0(VALU_DEP_2) | instskip(SKIP_1) | instid1(VALU_DEP_3)
	v_xor_b32_e32 v20, s16, v20
	v_cmp_gt_i32_e64 s16, 0, v22
	v_ashrrev_i32_e32 v21, 31, v21
	v_not_b32_e32 v22, v23
	s_delay_alu instid0(VALU_DEP_4) | instskip(NEXT) | instid1(VALU_DEP_3)
	v_and_b32_e32 v20, exec_lo, v20
	v_xor_b32_e32 v21, s16, v21
	v_cmp_gt_i32_e64 s16, 0, v23
	s_delay_alu instid0(VALU_DEP_4) | instskip(SKIP_1) | instid1(VALU_DEP_4)
	v_ashrrev_i32_e32 v22, 31, v22
	v_not_b32_e32 v23, v24
	v_and_b32_e32 v20, v20, v21
	v_lshlrev_b32_e32 v21, 27, v19
	s_delay_alu instid0(VALU_DEP_4) | instskip(SKIP_2) | instid1(VALU_DEP_4)
	v_xor_b32_e32 v22, s16, v22
	v_cmp_gt_i32_e64 s16, 0, v24
	v_ashrrev_i32_e32 v23, 31, v23
	v_not_b32_e32 v24, v21
	s_delay_alu instid0(VALU_DEP_4) | instskip(SKIP_1) | instid1(VALU_DEP_4)
	v_and_b32_e32 v20, v20, v22
	v_lshlrev_b32_e32 v22, 26, v19
	v_xor_b32_e32 v23, s16, v23
	v_cmp_gt_i32_e64 s16, 0, v21
	v_ashrrev_i32_e32 v21, 31, v24
	s_delay_alu instid0(VALU_DEP_4) | instskip(NEXT) | instid1(VALU_DEP_4)
	v_not_b32_e32 v24, v22
	v_and_b32_e32 v20, v20, v23
	v_lshlrev_b32_e32 v23, 25, v19
	s_delay_alu instid0(VALU_DEP_4)
	v_xor_b32_e32 v21, s16, v21
	v_cmp_gt_i32_e64 s16, 0, v22
	v_ashrrev_i32_e32 v22, 31, v24
	v_lshlrev_b32_e32 v19, 24, v19
	v_not_b32_e32 v24, v23
	v_and_b32_e32 v20, v20, v21
	s_delay_alu instid0(VALU_DEP_4) | instskip(SKIP_1) | instid1(VALU_DEP_4)
	v_xor_b32_e32 v21, s16, v22
	v_cmp_gt_i32_e64 s16, 0, v23
	v_ashrrev_i32_e32 v22, 31, v24
	v_not_b32_e32 v23, v19
	s_delay_alu instid0(VALU_DEP_4) | instskip(NEXT) | instid1(VALU_DEP_3)
	v_and_b32_e32 v20, v20, v21
	v_xor_b32_e32 v21, s16, v22
	v_cmp_gt_i32_e64 s16, 0, v19
	s_delay_alu instid0(VALU_DEP_4) | instskip(NEXT) | instid1(VALU_DEP_3)
	v_ashrrev_i32_e32 v19, 31, v23
	v_and_b32_e32 v20, v20, v21
	s_delay_alu instid0(VALU_DEP_2) | instskip(NEXT) | instid1(VALU_DEP_1)
	v_xor_b32_e32 v19, s16, v19
	v_and_b32_e32 v19, v20, v19
	s_delay_alu instid0(VALU_DEP_1) | instskip(SKIP_1) | instid1(VALU_DEP_2)
	v_mbcnt_lo_u32_b32 v180, v19, 0
	v_cmp_ne_u32_e64 s17, 0, v19
	v_cmp_eq_u32_e64 s16, 0, v180
	s_delay_alu instid0(VALU_DEP_1) | instskip(NEXT) | instid1(SALU_CYCLE_1)
	s_and_b32 s17, s17, s16
	s_and_saveexec_b32 s16, s17
	s_cbranch_execz .LBB918_57
; %bb.56:                               ;   in Loop: Header=BB918_53 Depth=1
	s_waitcnt vmcnt(0) lgkmcnt(0)
	v_bcnt_u32_b32 v19, v19, v39
	flat_store_b32 v[118:119], v19
.LBB918_57:                             ;   in Loop: Header=BB918_53 Depth=1
	s_or_b32 exec_lo, exec_lo, s16
	v_and_b32_e32 v19, 0xffff, v93
	; wave barrier
	s_delay_alu instid0(VALU_DEP_1) | instskip(NEXT) | instid1(VALU_DEP_1)
	v_lshrrev_b32_e32 v19, v10, v19
	v_and_b32_e32 v19, v19, v18
	s_delay_alu instid0(VALU_DEP_1) | instskip(SKIP_3) | instid1(VALU_DEP_4)
	v_lshlrev_b32_e32 v20, 3, v19
	v_lshlrev_b32_e32 v22, 30, v19
	;; [unrolled: 1-line block ×4, first 2 shown]
	v_add_lshl_u32 v20, v20, v75, 2
	s_delay_alu instid0(VALU_DEP_1) | instskip(NEXT) | instid1(VALU_DEP_1)
	v_add_co_u32 v128, s16, v28, v20
	v_add_co_ci_u32_e64 v129, s16, 0, v74, s16
	v_and_b32_e32 v20, 1, v19
	flat_load_b32 v181, v[128:129]
	v_add_co_u32 v20, s16, v20, -1
	s_delay_alu instid0(VALU_DEP_1) | instskip(NEXT) | instid1(VALU_DEP_1)
	v_cndmask_b32_e64 v21, 0, 1, s16
	; wave barrier
	v_cmp_ne_u32_e64 s16, 0, v21
	v_not_b32_e32 v21, v22
	s_delay_alu instid0(VALU_DEP_2) | instskip(SKIP_1) | instid1(VALU_DEP_3)
	v_xor_b32_e32 v20, s16, v20
	v_cmp_gt_i32_e64 s16, 0, v22
	v_ashrrev_i32_e32 v21, 31, v21
	v_not_b32_e32 v22, v23
	s_delay_alu instid0(VALU_DEP_4) | instskip(NEXT) | instid1(VALU_DEP_3)
	v_and_b32_e32 v20, exec_lo, v20
	v_xor_b32_e32 v21, s16, v21
	v_cmp_gt_i32_e64 s16, 0, v23
	s_delay_alu instid0(VALU_DEP_4) | instskip(SKIP_1) | instid1(VALU_DEP_4)
	v_ashrrev_i32_e32 v22, 31, v22
	v_not_b32_e32 v23, v24
	v_and_b32_e32 v20, v20, v21
	v_lshlrev_b32_e32 v21, 27, v19
	s_delay_alu instid0(VALU_DEP_4) | instskip(SKIP_2) | instid1(VALU_DEP_4)
	v_xor_b32_e32 v22, s16, v22
	v_cmp_gt_i32_e64 s16, 0, v24
	v_ashrrev_i32_e32 v23, 31, v23
	v_not_b32_e32 v24, v21
	s_delay_alu instid0(VALU_DEP_4) | instskip(SKIP_1) | instid1(VALU_DEP_4)
	v_and_b32_e32 v20, v20, v22
	v_lshlrev_b32_e32 v22, 26, v19
	v_xor_b32_e32 v23, s16, v23
	v_cmp_gt_i32_e64 s16, 0, v21
	v_ashrrev_i32_e32 v21, 31, v24
	s_delay_alu instid0(VALU_DEP_4) | instskip(NEXT) | instid1(VALU_DEP_4)
	v_not_b32_e32 v24, v22
	v_and_b32_e32 v20, v20, v23
	v_lshlrev_b32_e32 v23, 25, v19
	s_delay_alu instid0(VALU_DEP_4)
	v_xor_b32_e32 v21, s16, v21
	v_cmp_gt_i32_e64 s16, 0, v22
	v_ashrrev_i32_e32 v22, 31, v24
	v_lshlrev_b32_e32 v19, 24, v19
	v_not_b32_e32 v24, v23
	v_and_b32_e32 v20, v20, v21
	s_delay_alu instid0(VALU_DEP_4) | instskip(SKIP_1) | instid1(VALU_DEP_4)
	v_xor_b32_e32 v21, s16, v22
	v_cmp_gt_i32_e64 s16, 0, v23
	v_ashrrev_i32_e32 v22, 31, v24
	v_not_b32_e32 v23, v19
	s_delay_alu instid0(VALU_DEP_4) | instskip(NEXT) | instid1(VALU_DEP_3)
	v_and_b32_e32 v20, v20, v21
	v_xor_b32_e32 v21, s16, v22
	v_cmp_gt_i32_e64 s16, 0, v19
	s_delay_alu instid0(VALU_DEP_4) | instskip(NEXT) | instid1(VALU_DEP_3)
	v_ashrrev_i32_e32 v19, 31, v23
	v_and_b32_e32 v20, v20, v21
	s_delay_alu instid0(VALU_DEP_2) | instskip(NEXT) | instid1(VALU_DEP_1)
	v_xor_b32_e32 v19, s16, v19
	v_and_b32_e32 v19, v20, v19
	s_delay_alu instid0(VALU_DEP_1) | instskip(SKIP_1) | instid1(VALU_DEP_2)
	v_mbcnt_lo_u32_b32 v182, v19, 0
	v_cmp_ne_u32_e64 s17, 0, v19
	v_cmp_eq_u32_e64 s16, 0, v182
	s_delay_alu instid0(VALU_DEP_1) | instskip(NEXT) | instid1(SALU_CYCLE_1)
	s_and_b32 s17, s17, s16
	s_and_saveexec_b32 s16, s17
	s_cbranch_execz .LBB918_59
; %bb.58:                               ;   in Loop: Header=BB918_53 Depth=1
	s_waitcnt vmcnt(0) lgkmcnt(0)
	v_bcnt_u32_b32 v19, v19, v181
	flat_store_b32 v[128:129], v19
.LBB918_59:                             ;   in Loop: Header=BB918_53 Depth=1
	s_or_b32 exec_lo, exec_lo, s16
	v_lshrrev_b32_e32 v95, 16, v93
	; wave barrier
	s_delay_alu instid0(VALU_DEP_1) | instskip(NEXT) | instid1(VALU_DEP_1)
	v_lshrrev_b32_e32 v19, v10, v95
	v_and_b32_e32 v19, v19, v18
	s_delay_alu instid0(VALU_DEP_1) | instskip(SKIP_3) | instid1(VALU_DEP_4)
	v_lshlrev_b32_e32 v20, 3, v19
	v_lshlrev_b32_e32 v22, 30, v19
	;; [unrolled: 1-line block ×4, first 2 shown]
	v_add_lshl_u32 v20, v20, v75, 2
	s_delay_alu instid0(VALU_DEP_1) | instskip(NEXT) | instid1(VALU_DEP_1)
	v_add_co_u32 v130, s16, v28, v20
	v_add_co_ci_u32_e64 v131, s16, 0, v74, s16
	v_and_b32_e32 v20, 1, v19
	flat_load_b32 v183, v[130:131]
	v_add_co_u32 v20, s16, v20, -1
	s_delay_alu instid0(VALU_DEP_1) | instskip(NEXT) | instid1(VALU_DEP_1)
	v_cndmask_b32_e64 v21, 0, 1, s16
	; wave barrier
	v_cmp_ne_u32_e64 s16, 0, v21
	v_not_b32_e32 v21, v22
	s_delay_alu instid0(VALU_DEP_2) | instskip(SKIP_1) | instid1(VALU_DEP_3)
	v_xor_b32_e32 v20, s16, v20
	v_cmp_gt_i32_e64 s16, 0, v22
	v_ashrrev_i32_e32 v21, 31, v21
	v_not_b32_e32 v22, v23
	s_delay_alu instid0(VALU_DEP_4) | instskip(NEXT) | instid1(VALU_DEP_3)
	v_and_b32_e32 v20, exec_lo, v20
	v_xor_b32_e32 v21, s16, v21
	v_cmp_gt_i32_e64 s16, 0, v23
	s_delay_alu instid0(VALU_DEP_4) | instskip(SKIP_1) | instid1(VALU_DEP_4)
	v_ashrrev_i32_e32 v22, 31, v22
	v_not_b32_e32 v23, v24
	v_and_b32_e32 v20, v20, v21
	v_lshlrev_b32_e32 v21, 27, v19
	s_delay_alu instid0(VALU_DEP_4) | instskip(SKIP_2) | instid1(VALU_DEP_4)
	v_xor_b32_e32 v22, s16, v22
	v_cmp_gt_i32_e64 s16, 0, v24
	v_ashrrev_i32_e32 v23, 31, v23
	v_not_b32_e32 v24, v21
	s_delay_alu instid0(VALU_DEP_4) | instskip(SKIP_1) | instid1(VALU_DEP_4)
	v_and_b32_e32 v20, v20, v22
	v_lshlrev_b32_e32 v22, 26, v19
	v_xor_b32_e32 v23, s16, v23
	v_cmp_gt_i32_e64 s16, 0, v21
	v_ashrrev_i32_e32 v21, 31, v24
	s_delay_alu instid0(VALU_DEP_4) | instskip(NEXT) | instid1(VALU_DEP_4)
	v_not_b32_e32 v24, v22
	v_and_b32_e32 v20, v20, v23
	v_lshlrev_b32_e32 v23, 25, v19
	s_delay_alu instid0(VALU_DEP_4)
	v_xor_b32_e32 v21, s16, v21
	v_cmp_gt_i32_e64 s16, 0, v22
	v_ashrrev_i32_e32 v22, 31, v24
	v_lshlrev_b32_e32 v19, 24, v19
	v_not_b32_e32 v24, v23
	v_and_b32_e32 v20, v20, v21
	s_delay_alu instid0(VALU_DEP_4) | instskip(SKIP_1) | instid1(VALU_DEP_4)
	v_xor_b32_e32 v21, s16, v22
	v_cmp_gt_i32_e64 s16, 0, v23
	v_ashrrev_i32_e32 v22, 31, v24
	v_not_b32_e32 v23, v19
	s_delay_alu instid0(VALU_DEP_4) | instskip(NEXT) | instid1(VALU_DEP_3)
	v_and_b32_e32 v20, v20, v21
	v_xor_b32_e32 v21, s16, v22
	v_cmp_gt_i32_e64 s16, 0, v19
	s_delay_alu instid0(VALU_DEP_4) | instskip(NEXT) | instid1(VALU_DEP_3)
	v_ashrrev_i32_e32 v19, 31, v23
	v_and_b32_e32 v20, v20, v21
	s_delay_alu instid0(VALU_DEP_2) | instskip(NEXT) | instid1(VALU_DEP_1)
	v_xor_b32_e32 v19, s16, v19
	v_and_b32_e32 v19, v20, v19
	s_delay_alu instid0(VALU_DEP_1) | instskip(SKIP_1) | instid1(VALU_DEP_2)
	v_mbcnt_lo_u32_b32 v192, v19, 0
	v_cmp_ne_u32_e64 s17, 0, v19
	v_cmp_eq_u32_e64 s16, 0, v192
	s_delay_alu instid0(VALU_DEP_1) | instskip(NEXT) | instid1(SALU_CYCLE_1)
	s_and_b32 s17, s17, s16
	s_and_saveexec_b32 s16, s17
	s_cbranch_execz .LBB918_61
; %bb.60:                               ;   in Loop: Header=BB918_53 Depth=1
	s_waitcnt vmcnt(0) lgkmcnt(0)
	v_bcnt_u32_b32 v19, v19, v183
	flat_store_b32 v[130:131], v19
.LBB918_61:                             ;   in Loop: Header=BB918_53 Depth=1
	s_or_b32 exec_lo, exec_lo, s16
	v_and_b32_e32 v19, 0xffff, v92
	; wave barrier
	s_delay_alu instid0(VALU_DEP_1) | instskip(NEXT) | instid1(VALU_DEP_1)
	v_lshrrev_b32_e32 v19, v10, v19
	v_and_b32_e32 v19, v19, v18
	s_delay_alu instid0(VALU_DEP_1) | instskip(SKIP_3) | instid1(VALU_DEP_4)
	v_lshlrev_b32_e32 v20, 3, v19
	v_lshlrev_b32_e32 v22, 30, v19
	;; [unrolled: 1-line block ×4, first 2 shown]
	v_add_lshl_u32 v20, v20, v75, 2
	s_delay_alu instid0(VALU_DEP_1) | instskip(NEXT) | instid1(VALU_DEP_1)
	v_add_co_u32 v132, s16, v28, v20
	v_add_co_ci_u32_e64 v133, s16, 0, v74, s16
	v_and_b32_e32 v20, 1, v19
	flat_load_b32 v193, v[132:133]
	v_add_co_u32 v20, s16, v20, -1
	s_delay_alu instid0(VALU_DEP_1) | instskip(NEXT) | instid1(VALU_DEP_1)
	v_cndmask_b32_e64 v21, 0, 1, s16
	; wave barrier
	v_cmp_ne_u32_e64 s16, 0, v21
	v_not_b32_e32 v21, v22
	s_delay_alu instid0(VALU_DEP_2) | instskip(SKIP_1) | instid1(VALU_DEP_3)
	v_xor_b32_e32 v20, s16, v20
	v_cmp_gt_i32_e64 s16, 0, v22
	v_ashrrev_i32_e32 v21, 31, v21
	v_not_b32_e32 v22, v23
	s_delay_alu instid0(VALU_DEP_4) | instskip(NEXT) | instid1(VALU_DEP_3)
	v_and_b32_e32 v20, exec_lo, v20
	v_xor_b32_e32 v21, s16, v21
	v_cmp_gt_i32_e64 s16, 0, v23
	s_delay_alu instid0(VALU_DEP_4) | instskip(SKIP_1) | instid1(VALU_DEP_4)
	v_ashrrev_i32_e32 v22, 31, v22
	v_not_b32_e32 v23, v24
	v_and_b32_e32 v20, v20, v21
	v_lshlrev_b32_e32 v21, 27, v19
	s_delay_alu instid0(VALU_DEP_4) | instskip(SKIP_2) | instid1(VALU_DEP_4)
	v_xor_b32_e32 v22, s16, v22
	v_cmp_gt_i32_e64 s16, 0, v24
	v_ashrrev_i32_e32 v23, 31, v23
	v_not_b32_e32 v24, v21
	s_delay_alu instid0(VALU_DEP_4) | instskip(SKIP_1) | instid1(VALU_DEP_4)
	v_and_b32_e32 v20, v20, v22
	v_lshlrev_b32_e32 v22, 26, v19
	v_xor_b32_e32 v23, s16, v23
	v_cmp_gt_i32_e64 s16, 0, v21
	v_ashrrev_i32_e32 v21, 31, v24
	s_delay_alu instid0(VALU_DEP_4) | instskip(NEXT) | instid1(VALU_DEP_4)
	v_not_b32_e32 v24, v22
	v_and_b32_e32 v20, v20, v23
	v_lshlrev_b32_e32 v23, 25, v19
	s_delay_alu instid0(VALU_DEP_4)
	v_xor_b32_e32 v21, s16, v21
	v_cmp_gt_i32_e64 s16, 0, v22
	v_ashrrev_i32_e32 v22, 31, v24
	v_lshlrev_b32_e32 v19, 24, v19
	v_not_b32_e32 v24, v23
	v_and_b32_e32 v20, v20, v21
	s_delay_alu instid0(VALU_DEP_4) | instskip(SKIP_1) | instid1(VALU_DEP_4)
	v_xor_b32_e32 v21, s16, v22
	v_cmp_gt_i32_e64 s16, 0, v23
	v_ashrrev_i32_e32 v22, 31, v24
	v_not_b32_e32 v23, v19
	s_delay_alu instid0(VALU_DEP_4) | instskip(NEXT) | instid1(VALU_DEP_3)
	v_and_b32_e32 v20, v20, v21
	v_xor_b32_e32 v21, s16, v22
	v_cmp_gt_i32_e64 s16, 0, v19
	s_delay_alu instid0(VALU_DEP_4) | instskip(NEXT) | instid1(VALU_DEP_3)
	v_ashrrev_i32_e32 v19, 31, v23
	v_and_b32_e32 v20, v20, v21
	s_delay_alu instid0(VALU_DEP_2) | instskip(NEXT) | instid1(VALU_DEP_1)
	v_xor_b32_e32 v19, s16, v19
	v_and_b32_e32 v19, v20, v19
	s_delay_alu instid0(VALU_DEP_1) | instskip(SKIP_1) | instid1(VALU_DEP_2)
	v_mbcnt_lo_u32_b32 v194, v19, 0
	v_cmp_ne_u32_e64 s17, 0, v19
	v_cmp_eq_u32_e64 s16, 0, v194
	s_delay_alu instid0(VALU_DEP_1) | instskip(NEXT) | instid1(SALU_CYCLE_1)
	s_and_b32 s17, s17, s16
	s_and_saveexec_b32 s16, s17
	s_cbranch_execz .LBB918_63
; %bb.62:                               ;   in Loop: Header=BB918_53 Depth=1
	s_waitcnt vmcnt(0) lgkmcnt(0)
	v_bcnt_u32_b32 v19, v19, v193
	flat_store_b32 v[132:133], v19
.LBB918_63:                             ;   in Loop: Header=BB918_53 Depth=1
	s_or_b32 exec_lo, exec_lo, s16
	v_lshrrev_b32_e32 v104, 16, v92
	; wave barrier
	s_delay_alu instid0(VALU_DEP_1) | instskip(NEXT) | instid1(VALU_DEP_1)
	v_lshrrev_b32_e32 v19, v10, v104
	v_and_b32_e32 v19, v19, v18
	s_delay_alu instid0(VALU_DEP_1) | instskip(SKIP_3) | instid1(VALU_DEP_4)
	v_lshlrev_b32_e32 v20, 3, v19
	v_lshlrev_b32_e32 v22, 30, v19
	v_lshlrev_b32_e32 v23, 29, v19
	v_lshlrev_b32_e32 v24, 28, v19
	v_add_lshl_u32 v20, v20, v75, 2
	s_delay_alu instid0(VALU_DEP_1) | instskip(NEXT) | instid1(VALU_DEP_1)
	v_add_co_u32 v134, s16, v28, v20
	v_add_co_ci_u32_e64 v135, s16, 0, v74, s16
	v_and_b32_e32 v20, 1, v19
	flat_load_b32 v195, v[134:135]
	v_add_co_u32 v20, s16, v20, -1
	s_delay_alu instid0(VALU_DEP_1) | instskip(NEXT) | instid1(VALU_DEP_1)
	v_cndmask_b32_e64 v21, 0, 1, s16
	; wave barrier
	v_cmp_ne_u32_e64 s16, 0, v21
	v_not_b32_e32 v21, v22
	s_delay_alu instid0(VALU_DEP_2) | instskip(SKIP_1) | instid1(VALU_DEP_3)
	v_xor_b32_e32 v20, s16, v20
	v_cmp_gt_i32_e64 s16, 0, v22
	v_ashrrev_i32_e32 v21, 31, v21
	v_not_b32_e32 v22, v23
	s_delay_alu instid0(VALU_DEP_4) | instskip(NEXT) | instid1(VALU_DEP_3)
	v_and_b32_e32 v20, exec_lo, v20
	v_xor_b32_e32 v21, s16, v21
	v_cmp_gt_i32_e64 s16, 0, v23
	s_delay_alu instid0(VALU_DEP_4) | instskip(SKIP_1) | instid1(VALU_DEP_4)
	v_ashrrev_i32_e32 v22, 31, v22
	v_not_b32_e32 v23, v24
	v_and_b32_e32 v20, v20, v21
	v_lshlrev_b32_e32 v21, 27, v19
	s_delay_alu instid0(VALU_DEP_4) | instskip(SKIP_2) | instid1(VALU_DEP_4)
	v_xor_b32_e32 v22, s16, v22
	v_cmp_gt_i32_e64 s16, 0, v24
	v_ashrrev_i32_e32 v23, 31, v23
	v_not_b32_e32 v24, v21
	s_delay_alu instid0(VALU_DEP_4) | instskip(SKIP_1) | instid1(VALU_DEP_4)
	v_and_b32_e32 v20, v20, v22
	v_lshlrev_b32_e32 v22, 26, v19
	v_xor_b32_e32 v23, s16, v23
	v_cmp_gt_i32_e64 s16, 0, v21
	v_ashrrev_i32_e32 v21, 31, v24
	s_delay_alu instid0(VALU_DEP_4) | instskip(NEXT) | instid1(VALU_DEP_4)
	v_not_b32_e32 v24, v22
	v_and_b32_e32 v20, v20, v23
	v_lshlrev_b32_e32 v23, 25, v19
	s_delay_alu instid0(VALU_DEP_4)
	v_xor_b32_e32 v21, s16, v21
	v_cmp_gt_i32_e64 s16, 0, v22
	v_ashrrev_i32_e32 v22, 31, v24
	v_lshlrev_b32_e32 v19, 24, v19
	v_not_b32_e32 v24, v23
	v_and_b32_e32 v20, v20, v21
	s_delay_alu instid0(VALU_DEP_4) | instskip(SKIP_1) | instid1(VALU_DEP_4)
	v_xor_b32_e32 v21, s16, v22
	v_cmp_gt_i32_e64 s16, 0, v23
	v_ashrrev_i32_e32 v22, 31, v24
	v_not_b32_e32 v23, v19
	s_delay_alu instid0(VALU_DEP_4) | instskip(NEXT) | instid1(VALU_DEP_3)
	v_and_b32_e32 v20, v20, v21
	v_xor_b32_e32 v21, s16, v22
	v_cmp_gt_i32_e64 s16, 0, v19
	s_delay_alu instid0(VALU_DEP_4) | instskip(NEXT) | instid1(VALU_DEP_3)
	v_ashrrev_i32_e32 v19, 31, v23
	v_and_b32_e32 v20, v20, v21
	s_delay_alu instid0(VALU_DEP_2) | instskip(NEXT) | instid1(VALU_DEP_1)
	v_xor_b32_e32 v19, s16, v19
	v_and_b32_e32 v19, v20, v19
	s_delay_alu instid0(VALU_DEP_1) | instskip(SKIP_1) | instid1(VALU_DEP_2)
	v_mbcnt_lo_u32_b32 v196, v19, 0
	v_cmp_ne_u32_e64 s17, 0, v19
	v_cmp_eq_u32_e64 s16, 0, v196
	s_delay_alu instid0(VALU_DEP_1) | instskip(NEXT) | instid1(SALU_CYCLE_1)
	s_and_b32 s17, s17, s16
	s_and_saveexec_b32 s16, s17
	s_cbranch_execz .LBB918_65
; %bb.64:                               ;   in Loop: Header=BB918_53 Depth=1
	s_waitcnt vmcnt(0) lgkmcnt(0)
	v_bcnt_u32_b32 v19, v19, v195
	flat_store_b32 v[134:135], v19
.LBB918_65:                             ;   in Loop: Header=BB918_53 Depth=1
	s_or_b32 exec_lo, exec_lo, s16
	v_and_b32_e32 v19, 0xffff, v91
	; wave barrier
	s_delay_alu instid0(VALU_DEP_1) | instskip(NEXT) | instid1(VALU_DEP_1)
	v_lshrrev_b32_e32 v19, v10, v19
	v_and_b32_e32 v19, v19, v18
	s_delay_alu instid0(VALU_DEP_1) | instskip(SKIP_3) | instid1(VALU_DEP_4)
	v_lshlrev_b32_e32 v20, 3, v19
	v_lshlrev_b32_e32 v22, 30, v19
	;; [unrolled: 1-line block ×4, first 2 shown]
	v_add_lshl_u32 v20, v20, v75, 2
	s_delay_alu instid0(VALU_DEP_1) | instskip(NEXT) | instid1(VALU_DEP_1)
	v_add_co_u32 v144, s16, v28, v20
	v_add_co_ci_u32_e64 v145, s16, 0, v74, s16
	v_and_b32_e32 v20, 1, v19
	flat_load_b32 v197, v[144:145]
	v_add_co_u32 v20, s16, v20, -1
	s_delay_alu instid0(VALU_DEP_1) | instskip(NEXT) | instid1(VALU_DEP_1)
	v_cndmask_b32_e64 v21, 0, 1, s16
	; wave barrier
	v_cmp_ne_u32_e64 s16, 0, v21
	v_not_b32_e32 v21, v22
	s_delay_alu instid0(VALU_DEP_2) | instskip(SKIP_1) | instid1(VALU_DEP_3)
	v_xor_b32_e32 v20, s16, v20
	v_cmp_gt_i32_e64 s16, 0, v22
	v_ashrrev_i32_e32 v21, 31, v21
	v_not_b32_e32 v22, v23
	s_delay_alu instid0(VALU_DEP_4) | instskip(NEXT) | instid1(VALU_DEP_3)
	v_and_b32_e32 v20, exec_lo, v20
	v_xor_b32_e32 v21, s16, v21
	v_cmp_gt_i32_e64 s16, 0, v23
	s_delay_alu instid0(VALU_DEP_4) | instskip(SKIP_1) | instid1(VALU_DEP_4)
	v_ashrrev_i32_e32 v22, 31, v22
	v_not_b32_e32 v23, v24
	v_and_b32_e32 v20, v20, v21
	v_lshlrev_b32_e32 v21, 27, v19
	s_delay_alu instid0(VALU_DEP_4) | instskip(SKIP_2) | instid1(VALU_DEP_4)
	v_xor_b32_e32 v22, s16, v22
	v_cmp_gt_i32_e64 s16, 0, v24
	v_ashrrev_i32_e32 v23, 31, v23
	v_not_b32_e32 v24, v21
	s_delay_alu instid0(VALU_DEP_4) | instskip(SKIP_1) | instid1(VALU_DEP_4)
	v_and_b32_e32 v20, v20, v22
	v_lshlrev_b32_e32 v22, 26, v19
	v_xor_b32_e32 v23, s16, v23
	v_cmp_gt_i32_e64 s16, 0, v21
	v_ashrrev_i32_e32 v21, 31, v24
	s_delay_alu instid0(VALU_DEP_4) | instskip(NEXT) | instid1(VALU_DEP_4)
	v_not_b32_e32 v24, v22
	v_and_b32_e32 v20, v20, v23
	v_lshlrev_b32_e32 v23, 25, v19
	s_delay_alu instid0(VALU_DEP_4)
	v_xor_b32_e32 v21, s16, v21
	v_cmp_gt_i32_e64 s16, 0, v22
	v_ashrrev_i32_e32 v22, 31, v24
	v_lshlrev_b32_e32 v19, 24, v19
	v_not_b32_e32 v24, v23
	v_and_b32_e32 v20, v20, v21
	s_delay_alu instid0(VALU_DEP_4) | instskip(SKIP_1) | instid1(VALU_DEP_4)
	v_xor_b32_e32 v21, s16, v22
	v_cmp_gt_i32_e64 s16, 0, v23
	v_ashrrev_i32_e32 v22, 31, v24
	v_not_b32_e32 v23, v19
	s_delay_alu instid0(VALU_DEP_4) | instskip(NEXT) | instid1(VALU_DEP_3)
	v_and_b32_e32 v20, v20, v21
	v_xor_b32_e32 v21, s16, v22
	v_cmp_gt_i32_e64 s16, 0, v19
	s_delay_alu instid0(VALU_DEP_4) | instskip(NEXT) | instid1(VALU_DEP_3)
	v_ashrrev_i32_e32 v19, 31, v23
	v_and_b32_e32 v20, v20, v21
	s_delay_alu instid0(VALU_DEP_2) | instskip(NEXT) | instid1(VALU_DEP_1)
	v_xor_b32_e32 v19, s16, v19
	v_and_b32_e32 v19, v20, v19
	s_delay_alu instid0(VALU_DEP_1) | instskip(SKIP_1) | instid1(VALU_DEP_2)
	v_mbcnt_lo_u32_b32 v198, v19, 0
	v_cmp_ne_u32_e64 s17, 0, v19
	v_cmp_eq_u32_e64 s16, 0, v198
	s_delay_alu instid0(VALU_DEP_1) | instskip(NEXT) | instid1(SALU_CYCLE_1)
	s_and_b32 s17, s17, s16
	s_and_saveexec_b32 s16, s17
	s_cbranch_execz .LBB918_67
; %bb.66:                               ;   in Loop: Header=BB918_53 Depth=1
	s_waitcnt vmcnt(0) lgkmcnt(0)
	v_bcnt_u32_b32 v19, v19, v197
	flat_store_b32 v[144:145], v19
.LBB918_67:                             ;   in Loop: Header=BB918_53 Depth=1
	s_or_b32 exec_lo, exec_lo, s16
	v_lshrrev_b32_e32 v105, 16, v91
	; wave barrier
	s_delay_alu instid0(VALU_DEP_1) | instskip(NEXT) | instid1(VALU_DEP_1)
	v_lshrrev_b32_e32 v19, v10, v105
	v_and_b32_e32 v19, v19, v18
	s_delay_alu instid0(VALU_DEP_1) | instskip(SKIP_3) | instid1(VALU_DEP_4)
	v_lshlrev_b32_e32 v20, 3, v19
	v_lshlrev_b32_e32 v22, 30, v19
	;; [unrolled: 1-line block ×4, first 2 shown]
	v_add_lshl_u32 v20, v20, v75, 2
	s_delay_alu instid0(VALU_DEP_1) | instskip(NEXT) | instid1(VALU_DEP_1)
	v_add_co_u32 v146, s16, v28, v20
	v_add_co_ci_u32_e64 v147, s16, 0, v74, s16
	v_and_b32_e32 v20, 1, v19
	flat_load_b32 v199, v[146:147]
	v_add_co_u32 v20, s16, v20, -1
	s_delay_alu instid0(VALU_DEP_1) | instskip(NEXT) | instid1(VALU_DEP_1)
	v_cndmask_b32_e64 v21, 0, 1, s16
	; wave barrier
	v_cmp_ne_u32_e64 s16, 0, v21
	v_not_b32_e32 v21, v22
	s_delay_alu instid0(VALU_DEP_2) | instskip(SKIP_1) | instid1(VALU_DEP_3)
	v_xor_b32_e32 v20, s16, v20
	v_cmp_gt_i32_e64 s16, 0, v22
	v_ashrrev_i32_e32 v21, 31, v21
	v_not_b32_e32 v22, v23
	s_delay_alu instid0(VALU_DEP_4) | instskip(NEXT) | instid1(VALU_DEP_3)
	v_and_b32_e32 v20, exec_lo, v20
	v_xor_b32_e32 v21, s16, v21
	v_cmp_gt_i32_e64 s16, 0, v23
	s_delay_alu instid0(VALU_DEP_4) | instskip(SKIP_1) | instid1(VALU_DEP_4)
	v_ashrrev_i32_e32 v22, 31, v22
	v_not_b32_e32 v23, v24
	v_and_b32_e32 v20, v20, v21
	v_lshlrev_b32_e32 v21, 27, v19
	s_delay_alu instid0(VALU_DEP_4) | instskip(SKIP_2) | instid1(VALU_DEP_4)
	v_xor_b32_e32 v22, s16, v22
	v_cmp_gt_i32_e64 s16, 0, v24
	v_ashrrev_i32_e32 v23, 31, v23
	v_not_b32_e32 v24, v21
	s_delay_alu instid0(VALU_DEP_4) | instskip(SKIP_1) | instid1(VALU_DEP_4)
	v_and_b32_e32 v20, v20, v22
	v_lshlrev_b32_e32 v22, 26, v19
	v_xor_b32_e32 v23, s16, v23
	v_cmp_gt_i32_e64 s16, 0, v21
	v_ashrrev_i32_e32 v21, 31, v24
	s_delay_alu instid0(VALU_DEP_4) | instskip(NEXT) | instid1(VALU_DEP_4)
	v_not_b32_e32 v24, v22
	v_and_b32_e32 v20, v20, v23
	v_lshlrev_b32_e32 v23, 25, v19
	s_delay_alu instid0(VALU_DEP_4)
	v_xor_b32_e32 v21, s16, v21
	v_cmp_gt_i32_e64 s16, 0, v22
	v_ashrrev_i32_e32 v22, 31, v24
	v_lshlrev_b32_e32 v19, 24, v19
	v_not_b32_e32 v24, v23
	v_and_b32_e32 v20, v20, v21
	s_delay_alu instid0(VALU_DEP_4) | instskip(SKIP_1) | instid1(VALU_DEP_4)
	v_xor_b32_e32 v21, s16, v22
	v_cmp_gt_i32_e64 s16, 0, v23
	v_ashrrev_i32_e32 v22, 31, v24
	v_not_b32_e32 v23, v19
	s_delay_alu instid0(VALU_DEP_4) | instskip(NEXT) | instid1(VALU_DEP_3)
	v_and_b32_e32 v20, v20, v21
	v_xor_b32_e32 v21, s16, v22
	v_cmp_gt_i32_e64 s16, 0, v19
	s_delay_alu instid0(VALU_DEP_4) | instskip(NEXT) | instid1(VALU_DEP_3)
	v_ashrrev_i32_e32 v19, 31, v23
	v_and_b32_e32 v20, v20, v21
	s_delay_alu instid0(VALU_DEP_2) | instskip(NEXT) | instid1(VALU_DEP_1)
	v_xor_b32_e32 v19, s16, v19
	v_and_b32_e32 v19, v20, v19
	s_delay_alu instid0(VALU_DEP_1) | instskip(SKIP_1) | instid1(VALU_DEP_2)
	v_mbcnt_lo_u32_b32 v208, v19, 0
	v_cmp_ne_u32_e64 s17, 0, v19
	v_cmp_eq_u32_e64 s16, 0, v208
	s_delay_alu instid0(VALU_DEP_1) | instskip(NEXT) | instid1(SALU_CYCLE_1)
	s_and_b32 s17, s17, s16
	s_and_saveexec_b32 s16, s17
	s_cbranch_execz .LBB918_69
; %bb.68:                               ;   in Loop: Header=BB918_53 Depth=1
	s_waitcnt vmcnt(0) lgkmcnt(0)
	v_bcnt_u32_b32 v19, v19, v199
	flat_store_b32 v[146:147], v19
.LBB918_69:                             ;   in Loop: Header=BB918_53 Depth=1
	s_or_b32 exec_lo, exec_lo, s16
	v_and_b32_e32 v19, 0xffff, v90
	; wave barrier
	s_delay_alu instid0(VALU_DEP_1) | instskip(NEXT) | instid1(VALU_DEP_1)
	v_lshrrev_b32_e32 v19, v10, v19
	v_and_b32_e32 v19, v19, v18
	s_delay_alu instid0(VALU_DEP_1) | instskip(SKIP_3) | instid1(VALU_DEP_4)
	v_lshlrev_b32_e32 v20, 3, v19
	v_lshlrev_b32_e32 v22, 30, v19
	;; [unrolled: 1-line block ×4, first 2 shown]
	v_add_lshl_u32 v20, v20, v75, 2
	s_delay_alu instid0(VALU_DEP_1) | instskip(NEXT) | instid1(VALU_DEP_1)
	v_add_co_u32 v148, s16, v28, v20
	v_add_co_ci_u32_e64 v149, s16, 0, v74, s16
	v_and_b32_e32 v20, 1, v19
	flat_load_b32 v209, v[148:149]
	v_add_co_u32 v20, s16, v20, -1
	s_delay_alu instid0(VALU_DEP_1) | instskip(NEXT) | instid1(VALU_DEP_1)
	v_cndmask_b32_e64 v21, 0, 1, s16
	; wave barrier
	v_cmp_ne_u32_e64 s16, 0, v21
	v_not_b32_e32 v21, v22
	s_delay_alu instid0(VALU_DEP_2) | instskip(SKIP_1) | instid1(VALU_DEP_3)
	v_xor_b32_e32 v20, s16, v20
	v_cmp_gt_i32_e64 s16, 0, v22
	v_ashrrev_i32_e32 v21, 31, v21
	v_not_b32_e32 v22, v23
	s_delay_alu instid0(VALU_DEP_4) | instskip(NEXT) | instid1(VALU_DEP_3)
	v_and_b32_e32 v20, exec_lo, v20
	v_xor_b32_e32 v21, s16, v21
	v_cmp_gt_i32_e64 s16, 0, v23
	s_delay_alu instid0(VALU_DEP_4) | instskip(SKIP_1) | instid1(VALU_DEP_4)
	v_ashrrev_i32_e32 v22, 31, v22
	v_not_b32_e32 v23, v24
	v_and_b32_e32 v20, v20, v21
	v_lshlrev_b32_e32 v21, 27, v19
	s_delay_alu instid0(VALU_DEP_4) | instskip(SKIP_2) | instid1(VALU_DEP_4)
	v_xor_b32_e32 v22, s16, v22
	v_cmp_gt_i32_e64 s16, 0, v24
	v_ashrrev_i32_e32 v23, 31, v23
	v_not_b32_e32 v24, v21
	s_delay_alu instid0(VALU_DEP_4) | instskip(SKIP_1) | instid1(VALU_DEP_4)
	v_and_b32_e32 v20, v20, v22
	v_lshlrev_b32_e32 v22, 26, v19
	v_xor_b32_e32 v23, s16, v23
	v_cmp_gt_i32_e64 s16, 0, v21
	v_ashrrev_i32_e32 v21, 31, v24
	s_delay_alu instid0(VALU_DEP_4) | instskip(NEXT) | instid1(VALU_DEP_4)
	v_not_b32_e32 v24, v22
	v_and_b32_e32 v20, v20, v23
	v_lshlrev_b32_e32 v23, 25, v19
	s_delay_alu instid0(VALU_DEP_4)
	v_xor_b32_e32 v21, s16, v21
	v_cmp_gt_i32_e64 s16, 0, v22
	v_ashrrev_i32_e32 v22, 31, v24
	v_lshlrev_b32_e32 v19, 24, v19
	v_not_b32_e32 v24, v23
	v_and_b32_e32 v20, v20, v21
	s_delay_alu instid0(VALU_DEP_4) | instskip(SKIP_1) | instid1(VALU_DEP_4)
	v_xor_b32_e32 v21, s16, v22
	v_cmp_gt_i32_e64 s16, 0, v23
	v_ashrrev_i32_e32 v22, 31, v24
	v_not_b32_e32 v23, v19
	s_delay_alu instid0(VALU_DEP_4) | instskip(NEXT) | instid1(VALU_DEP_3)
	v_and_b32_e32 v20, v20, v21
	v_xor_b32_e32 v21, s16, v22
	v_cmp_gt_i32_e64 s16, 0, v19
	s_delay_alu instid0(VALU_DEP_4) | instskip(NEXT) | instid1(VALU_DEP_3)
	v_ashrrev_i32_e32 v19, 31, v23
	v_and_b32_e32 v20, v20, v21
	s_delay_alu instid0(VALU_DEP_2) | instskip(NEXT) | instid1(VALU_DEP_1)
	v_xor_b32_e32 v19, s16, v19
	v_and_b32_e32 v19, v20, v19
	s_delay_alu instid0(VALU_DEP_1) | instskip(SKIP_1) | instid1(VALU_DEP_2)
	v_mbcnt_lo_u32_b32 v210, v19, 0
	v_cmp_ne_u32_e64 s17, 0, v19
	v_cmp_eq_u32_e64 s16, 0, v210
	s_delay_alu instid0(VALU_DEP_1) | instskip(NEXT) | instid1(SALU_CYCLE_1)
	s_and_b32 s17, s17, s16
	s_and_saveexec_b32 s16, s17
	s_cbranch_execz .LBB918_71
; %bb.70:                               ;   in Loop: Header=BB918_53 Depth=1
	s_waitcnt vmcnt(0) lgkmcnt(0)
	v_bcnt_u32_b32 v19, v19, v209
	flat_store_b32 v[148:149], v19
.LBB918_71:                             ;   in Loop: Header=BB918_53 Depth=1
	s_or_b32 exec_lo, exec_lo, s16
	v_lshrrev_b32_e32 v106, 16, v90
	; wave barrier
	s_delay_alu instid0(VALU_DEP_1) | instskip(NEXT) | instid1(VALU_DEP_1)
	v_lshrrev_b32_e32 v19, v10, v106
	v_and_b32_e32 v19, v19, v18
	s_delay_alu instid0(VALU_DEP_1) | instskip(SKIP_3) | instid1(VALU_DEP_4)
	v_lshlrev_b32_e32 v20, 3, v19
	v_lshlrev_b32_e32 v22, 30, v19
	;; [unrolled: 1-line block ×4, first 2 shown]
	v_add_lshl_u32 v20, v20, v75, 2
	s_delay_alu instid0(VALU_DEP_1) | instskip(NEXT) | instid1(VALU_DEP_1)
	v_add_co_u32 v150, s16, v28, v20
	v_add_co_ci_u32_e64 v151, s16, 0, v74, s16
	v_and_b32_e32 v20, 1, v19
	flat_load_b32 v211, v[150:151]
	v_add_co_u32 v20, s16, v20, -1
	s_delay_alu instid0(VALU_DEP_1) | instskip(NEXT) | instid1(VALU_DEP_1)
	v_cndmask_b32_e64 v21, 0, 1, s16
	; wave barrier
	v_cmp_ne_u32_e64 s16, 0, v21
	v_not_b32_e32 v21, v22
	s_delay_alu instid0(VALU_DEP_2) | instskip(SKIP_1) | instid1(VALU_DEP_3)
	v_xor_b32_e32 v20, s16, v20
	v_cmp_gt_i32_e64 s16, 0, v22
	v_ashrrev_i32_e32 v21, 31, v21
	v_not_b32_e32 v22, v23
	s_delay_alu instid0(VALU_DEP_4) | instskip(NEXT) | instid1(VALU_DEP_3)
	v_and_b32_e32 v20, exec_lo, v20
	v_xor_b32_e32 v21, s16, v21
	v_cmp_gt_i32_e64 s16, 0, v23
	s_delay_alu instid0(VALU_DEP_4) | instskip(SKIP_1) | instid1(VALU_DEP_4)
	v_ashrrev_i32_e32 v22, 31, v22
	v_not_b32_e32 v23, v24
	v_and_b32_e32 v20, v20, v21
	v_lshlrev_b32_e32 v21, 27, v19
	s_delay_alu instid0(VALU_DEP_4) | instskip(SKIP_2) | instid1(VALU_DEP_4)
	v_xor_b32_e32 v22, s16, v22
	v_cmp_gt_i32_e64 s16, 0, v24
	v_ashrrev_i32_e32 v23, 31, v23
	v_not_b32_e32 v24, v21
	s_delay_alu instid0(VALU_DEP_4) | instskip(SKIP_1) | instid1(VALU_DEP_4)
	v_and_b32_e32 v20, v20, v22
	v_lshlrev_b32_e32 v22, 26, v19
	v_xor_b32_e32 v23, s16, v23
	v_cmp_gt_i32_e64 s16, 0, v21
	v_ashrrev_i32_e32 v21, 31, v24
	s_delay_alu instid0(VALU_DEP_4) | instskip(NEXT) | instid1(VALU_DEP_4)
	v_not_b32_e32 v24, v22
	v_and_b32_e32 v20, v20, v23
	v_lshlrev_b32_e32 v23, 25, v19
	s_delay_alu instid0(VALU_DEP_4)
	v_xor_b32_e32 v21, s16, v21
	v_cmp_gt_i32_e64 s16, 0, v22
	v_ashrrev_i32_e32 v22, 31, v24
	v_lshlrev_b32_e32 v19, 24, v19
	v_not_b32_e32 v24, v23
	v_and_b32_e32 v20, v20, v21
	s_delay_alu instid0(VALU_DEP_4) | instskip(SKIP_1) | instid1(VALU_DEP_4)
	v_xor_b32_e32 v21, s16, v22
	v_cmp_gt_i32_e64 s16, 0, v23
	v_ashrrev_i32_e32 v22, 31, v24
	v_not_b32_e32 v23, v19
	s_delay_alu instid0(VALU_DEP_4) | instskip(NEXT) | instid1(VALU_DEP_3)
	v_and_b32_e32 v20, v20, v21
	v_xor_b32_e32 v21, s16, v22
	v_cmp_gt_i32_e64 s16, 0, v19
	s_delay_alu instid0(VALU_DEP_4) | instskip(NEXT) | instid1(VALU_DEP_3)
	v_ashrrev_i32_e32 v19, 31, v23
	v_and_b32_e32 v20, v20, v21
	s_delay_alu instid0(VALU_DEP_2) | instskip(NEXT) | instid1(VALU_DEP_1)
	v_xor_b32_e32 v19, s16, v19
	v_and_b32_e32 v19, v20, v19
	s_delay_alu instid0(VALU_DEP_1) | instskip(SKIP_1) | instid1(VALU_DEP_2)
	v_mbcnt_lo_u32_b32 v212, v19, 0
	v_cmp_ne_u32_e64 s17, 0, v19
	v_cmp_eq_u32_e64 s16, 0, v212
	s_delay_alu instid0(VALU_DEP_1) | instskip(NEXT) | instid1(SALU_CYCLE_1)
	s_and_b32 s17, s17, s16
	s_and_saveexec_b32 s16, s17
	s_cbranch_execz .LBB918_73
; %bb.72:                               ;   in Loop: Header=BB918_53 Depth=1
	s_waitcnt vmcnt(0) lgkmcnt(0)
	v_bcnt_u32_b32 v19, v19, v211
	flat_store_b32 v[150:151], v19
.LBB918_73:                             ;   in Loop: Header=BB918_53 Depth=1
	s_or_b32 exec_lo, exec_lo, s16
	v_and_b32_e32 v19, 0xffff, v89
	; wave barrier
	s_delay_alu instid0(VALU_DEP_1) | instskip(NEXT) | instid1(VALU_DEP_1)
	v_lshrrev_b32_e32 v19, v10, v19
	v_and_b32_e32 v19, v19, v18
	s_delay_alu instid0(VALU_DEP_1) | instskip(SKIP_3) | instid1(VALU_DEP_4)
	v_lshlrev_b32_e32 v20, 3, v19
	v_lshlrev_b32_e32 v22, 30, v19
	;; [unrolled: 1-line block ×4, first 2 shown]
	v_add_lshl_u32 v20, v20, v75, 2
	s_delay_alu instid0(VALU_DEP_1) | instskip(NEXT) | instid1(VALU_DEP_1)
	v_add_co_u32 v160, s16, v28, v20
	v_add_co_ci_u32_e64 v161, s16, 0, v74, s16
	v_and_b32_e32 v20, 1, v19
	flat_load_b32 v213, v[160:161]
	v_add_co_u32 v20, s16, v20, -1
	s_delay_alu instid0(VALU_DEP_1) | instskip(NEXT) | instid1(VALU_DEP_1)
	v_cndmask_b32_e64 v21, 0, 1, s16
	; wave barrier
	v_cmp_ne_u32_e64 s16, 0, v21
	v_not_b32_e32 v21, v22
	s_delay_alu instid0(VALU_DEP_2) | instskip(SKIP_1) | instid1(VALU_DEP_3)
	v_xor_b32_e32 v20, s16, v20
	v_cmp_gt_i32_e64 s16, 0, v22
	v_ashrrev_i32_e32 v21, 31, v21
	v_not_b32_e32 v22, v23
	s_delay_alu instid0(VALU_DEP_4) | instskip(NEXT) | instid1(VALU_DEP_3)
	v_and_b32_e32 v20, exec_lo, v20
	v_xor_b32_e32 v21, s16, v21
	v_cmp_gt_i32_e64 s16, 0, v23
	s_delay_alu instid0(VALU_DEP_4) | instskip(SKIP_1) | instid1(VALU_DEP_4)
	v_ashrrev_i32_e32 v22, 31, v22
	v_not_b32_e32 v23, v24
	v_and_b32_e32 v20, v20, v21
	v_lshlrev_b32_e32 v21, 27, v19
	s_delay_alu instid0(VALU_DEP_4) | instskip(SKIP_2) | instid1(VALU_DEP_4)
	v_xor_b32_e32 v22, s16, v22
	v_cmp_gt_i32_e64 s16, 0, v24
	v_ashrrev_i32_e32 v23, 31, v23
	v_not_b32_e32 v24, v21
	s_delay_alu instid0(VALU_DEP_4) | instskip(SKIP_1) | instid1(VALU_DEP_4)
	v_and_b32_e32 v20, v20, v22
	v_lshlrev_b32_e32 v22, 26, v19
	v_xor_b32_e32 v23, s16, v23
	v_cmp_gt_i32_e64 s16, 0, v21
	v_ashrrev_i32_e32 v21, 31, v24
	s_delay_alu instid0(VALU_DEP_4) | instskip(NEXT) | instid1(VALU_DEP_4)
	v_not_b32_e32 v24, v22
	v_and_b32_e32 v20, v20, v23
	v_lshlrev_b32_e32 v23, 25, v19
	s_delay_alu instid0(VALU_DEP_4)
	v_xor_b32_e32 v21, s16, v21
	v_cmp_gt_i32_e64 s16, 0, v22
	v_ashrrev_i32_e32 v22, 31, v24
	v_lshlrev_b32_e32 v19, 24, v19
	v_not_b32_e32 v24, v23
	v_and_b32_e32 v20, v20, v21
	s_delay_alu instid0(VALU_DEP_4) | instskip(SKIP_1) | instid1(VALU_DEP_4)
	v_xor_b32_e32 v21, s16, v22
	v_cmp_gt_i32_e64 s16, 0, v23
	v_ashrrev_i32_e32 v22, 31, v24
	v_not_b32_e32 v23, v19
	s_delay_alu instid0(VALU_DEP_4) | instskip(NEXT) | instid1(VALU_DEP_3)
	v_and_b32_e32 v20, v20, v21
	v_xor_b32_e32 v21, s16, v22
	v_cmp_gt_i32_e64 s16, 0, v19
	s_delay_alu instid0(VALU_DEP_4) | instskip(NEXT) | instid1(VALU_DEP_3)
	v_ashrrev_i32_e32 v19, 31, v23
	v_and_b32_e32 v20, v20, v21
	s_delay_alu instid0(VALU_DEP_2) | instskip(NEXT) | instid1(VALU_DEP_1)
	v_xor_b32_e32 v19, s16, v19
	v_and_b32_e32 v19, v20, v19
	s_delay_alu instid0(VALU_DEP_1) | instskip(SKIP_1) | instid1(VALU_DEP_2)
	v_mbcnt_lo_u32_b32 v214, v19, 0
	v_cmp_ne_u32_e64 s17, 0, v19
	v_cmp_eq_u32_e64 s16, 0, v214
	s_delay_alu instid0(VALU_DEP_1) | instskip(NEXT) | instid1(SALU_CYCLE_1)
	s_and_b32 s17, s17, s16
	s_and_saveexec_b32 s16, s17
	s_cbranch_execz .LBB918_75
; %bb.74:                               ;   in Loop: Header=BB918_53 Depth=1
	s_waitcnt vmcnt(0) lgkmcnt(0)
	v_bcnt_u32_b32 v19, v19, v213
	flat_store_b32 v[160:161], v19
.LBB918_75:                             ;   in Loop: Header=BB918_53 Depth=1
	s_or_b32 exec_lo, exec_lo, s16
	v_lshrrev_b32_e32 v107, 16, v89
	; wave barrier
	s_delay_alu instid0(VALU_DEP_1) | instskip(NEXT) | instid1(VALU_DEP_1)
	v_lshrrev_b32_e32 v19, v10, v107
	v_and_b32_e32 v19, v19, v18
	s_delay_alu instid0(VALU_DEP_1) | instskip(SKIP_3) | instid1(VALU_DEP_4)
	v_lshlrev_b32_e32 v20, 3, v19
	v_lshlrev_b32_e32 v22, 30, v19
	;; [unrolled: 1-line block ×4, first 2 shown]
	v_add_lshl_u32 v20, v20, v75, 2
	s_delay_alu instid0(VALU_DEP_1) | instskip(NEXT) | instid1(VALU_DEP_1)
	v_add_co_u32 v162, s16, v28, v20
	v_add_co_ci_u32_e64 v163, s16, 0, v74, s16
	v_and_b32_e32 v20, 1, v19
	flat_load_b32 v215, v[162:163]
	v_add_co_u32 v20, s16, v20, -1
	s_delay_alu instid0(VALU_DEP_1) | instskip(NEXT) | instid1(VALU_DEP_1)
	v_cndmask_b32_e64 v21, 0, 1, s16
	; wave barrier
	v_cmp_ne_u32_e64 s16, 0, v21
	v_not_b32_e32 v21, v22
	s_delay_alu instid0(VALU_DEP_2) | instskip(SKIP_1) | instid1(VALU_DEP_3)
	v_xor_b32_e32 v20, s16, v20
	v_cmp_gt_i32_e64 s16, 0, v22
	v_ashrrev_i32_e32 v21, 31, v21
	v_not_b32_e32 v22, v23
	s_delay_alu instid0(VALU_DEP_4) | instskip(NEXT) | instid1(VALU_DEP_3)
	v_and_b32_e32 v20, exec_lo, v20
	v_xor_b32_e32 v21, s16, v21
	v_cmp_gt_i32_e64 s16, 0, v23
	s_delay_alu instid0(VALU_DEP_4) | instskip(SKIP_1) | instid1(VALU_DEP_4)
	v_ashrrev_i32_e32 v22, 31, v22
	v_not_b32_e32 v23, v24
	v_and_b32_e32 v20, v20, v21
	v_lshlrev_b32_e32 v21, 27, v19
	s_delay_alu instid0(VALU_DEP_4) | instskip(SKIP_2) | instid1(VALU_DEP_4)
	v_xor_b32_e32 v22, s16, v22
	v_cmp_gt_i32_e64 s16, 0, v24
	v_ashrrev_i32_e32 v23, 31, v23
	v_not_b32_e32 v24, v21
	s_delay_alu instid0(VALU_DEP_4) | instskip(SKIP_1) | instid1(VALU_DEP_4)
	v_and_b32_e32 v20, v20, v22
	v_lshlrev_b32_e32 v22, 26, v19
	v_xor_b32_e32 v23, s16, v23
	v_cmp_gt_i32_e64 s16, 0, v21
	v_ashrrev_i32_e32 v21, 31, v24
	s_delay_alu instid0(VALU_DEP_4) | instskip(NEXT) | instid1(VALU_DEP_4)
	v_not_b32_e32 v24, v22
	v_and_b32_e32 v20, v20, v23
	v_lshlrev_b32_e32 v23, 25, v19
	s_delay_alu instid0(VALU_DEP_4)
	v_xor_b32_e32 v21, s16, v21
	v_cmp_gt_i32_e64 s16, 0, v22
	v_ashrrev_i32_e32 v22, 31, v24
	v_lshlrev_b32_e32 v19, 24, v19
	v_not_b32_e32 v24, v23
	v_and_b32_e32 v20, v20, v21
	s_delay_alu instid0(VALU_DEP_4) | instskip(SKIP_1) | instid1(VALU_DEP_4)
	v_xor_b32_e32 v21, s16, v22
	v_cmp_gt_i32_e64 s16, 0, v23
	v_ashrrev_i32_e32 v22, 31, v24
	v_not_b32_e32 v23, v19
	s_delay_alu instid0(VALU_DEP_4) | instskip(NEXT) | instid1(VALU_DEP_3)
	v_and_b32_e32 v20, v20, v21
	v_xor_b32_e32 v21, s16, v22
	v_cmp_gt_i32_e64 s16, 0, v19
	s_delay_alu instid0(VALU_DEP_4) | instskip(NEXT) | instid1(VALU_DEP_3)
	v_ashrrev_i32_e32 v19, 31, v23
	v_and_b32_e32 v20, v20, v21
	s_delay_alu instid0(VALU_DEP_2) | instskip(NEXT) | instid1(VALU_DEP_1)
	v_xor_b32_e32 v19, s16, v19
	v_and_b32_e32 v19, v20, v19
	s_delay_alu instid0(VALU_DEP_1) | instskip(SKIP_1) | instid1(VALU_DEP_2)
	v_mbcnt_lo_u32_b32 v224, v19, 0
	v_cmp_ne_u32_e64 s17, 0, v19
	v_cmp_eq_u32_e64 s16, 0, v224
	s_delay_alu instid0(VALU_DEP_1) | instskip(NEXT) | instid1(SALU_CYCLE_1)
	s_and_b32 s17, s17, s16
	s_and_saveexec_b32 s16, s17
	s_cbranch_execz .LBB918_77
; %bb.76:                               ;   in Loop: Header=BB918_53 Depth=1
	s_waitcnt vmcnt(0) lgkmcnt(0)
	v_bcnt_u32_b32 v19, v19, v215
	flat_store_b32 v[162:163], v19
.LBB918_77:                             ;   in Loop: Header=BB918_53 Depth=1
	s_or_b32 exec_lo, exec_lo, s16
	v_and_b32_e32 v19, 0xffff, v88
	; wave barrier
	s_delay_alu instid0(VALU_DEP_1) | instskip(NEXT) | instid1(VALU_DEP_1)
	v_lshrrev_b32_e32 v19, v10, v19
	v_and_b32_e32 v19, v19, v18
	s_delay_alu instid0(VALU_DEP_1) | instskip(SKIP_3) | instid1(VALU_DEP_4)
	v_lshlrev_b32_e32 v20, 3, v19
	v_lshlrev_b32_e32 v22, 30, v19
	;; [unrolled: 1-line block ×4, first 2 shown]
	v_add_lshl_u32 v20, v20, v75, 2
	s_delay_alu instid0(VALU_DEP_1) | instskip(NEXT) | instid1(VALU_DEP_1)
	v_add_co_u32 v164, s16, v28, v20
	v_add_co_ci_u32_e64 v165, s16, 0, v74, s16
	v_and_b32_e32 v20, 1, v19
	flat_load_b32 v225, v[164:165]
	v_add_co_u32 v20, s16, v20, -1
	s_delay_alu instid0(VALU_DEP_1) | instskip(NEXT) | instid1(VALU_DEP_1)
	v_cndmask_b32_e64 v21, 0, 1, s16
	; wave barrier
	v_cmp_ne_u32_e64 s16, 0, v21
	v_not_b32_e32 v21, v22
	s_delay_alu instid0(VALU_DEP_2) | instskip(SKIP_1) | instid1(VALU_DEP_3)
	v_xor_b32_e32 v20, s16, v20
	v_cmp_gt_i32_e64 s16, 0, v22
	v_ashrrev_i32_e32 v21, 31, v21
	v_not_b32_e32 v22, v23
	s_delay_alu instid0(VALU_DEP_4) | instskip(NEXT) | instid1(VALU_DEP_3)
	v_and_b32_e32 v20, exec_lo, v20
	v_xor_b32_e32 v21, s16, v21
	v_cmp_gt_i32_e64 s16, 0, v23
	s_delay_alu instid0(VALU_DEP_4) | instskip(SKIP_1) | instid1(VALU_DEP_4)
	v_ashrrev_i32_e32 v22, 31, v22
	v_not_b32_e32 v23, v24
	v_and_b32_e32 v20, v20, v21
	v_lshlrev_b32_e32 v21, 27, v19
	s_delay_alu instid0(VALU_DEP_4) | instskip(SKIP_2) | instid1(VALU_DEP_4)
	v_xor_b32_e32 v22, s16, v22
	v_cmp_gt_i32_e64 s16, 0, v24
	v_ashrrev_i32_e32 v23, 31, v23
	v_not_b32_e32 v24, v21
	s_delay_alu instid0(VALU_DEP_4) | instskip(SKIP_1) | instid1(VALU_DEP_4)
	v_and_b32_e32 v20, v20, v22
	v_lshlrev_b32_e32 v22, 26, v19
	v_xor_b32_e32 v23, s16, v23
	v_cmp_gt_i32_e64 s16, 0, v21
	v_ashrrev_i32_e32 v21, 31, v24
	s_delay_alu instid0(VALU_DEP_4) | instskip(NEXT) | instid1(VALU_DEP_4)
	v_not_b32_e32 v24, v22
	v_and_b32_e32 v20, v20, v23
	v_lshlrev_b32_e32 v23, 25, v19
	s_delay_alu instid0(VALU_DEP_4)
	v_xor_b32_e32 v21, s16, v21
	v_cmp_gt_i32_e64 s16, 0, v22
	v_ashrrev_i32_e32 v22, 31, v24
	v_lshlrev_b32_e32 v19, 24, v19
	v_not_b32_e32 v24, v23
	v_and_b32_e32 v20, v20, v21
	s_delay_alu instid0(VALU_DEP_4) | instskip(SKIP_1) | instid1(VALU_DEP_4)
	v_xor_b32_e32 v21, s16, v22
	v_cmp_gt_i32_e64 s16, 0, v23
	v_ashrrev_i32_e32 v22, 31, v24
	v_not_b32_e32 v23, v19
	s_delay_alu instid0(VALU_DEP_4) | instskip(NEXT) | instid1(VALU_DEP_3)
	v_and_b32_e32 v20, v20, v21
	v_xor_b32_e32 v21, s16, v22
	v_cmp_gt_i32_e64 s16, 0, v19
	s_delay_alu instid0(VALU_DEP_4) | instskip(NEXT) | instid1(VALU_DEP_3)
	v_ashrrev_i32_e32 v19, 31, v23
	v_and_b32_e32 v20, v20, v21
	s_delay_alu instid0(VALU_DEP_2) | instskip(NEXT) | instid1(VALU_DEP_1)
	v_xor_b32_e32 v19, s16, v19
	v_and_b32_e32 v19, v20, v19
	s_delay_alu instid0(VALU_DEP_1) | instskip(SKIP_1) | instid1(VALU_DEP_2)
	v_mbcnt_lo_u32_b32 v226, v19, 0
	v_cmp_ne_u32_e64 s17, 0, v19
	v_cmp_eq_u32_e64 s16, 0, v226
	s_delay_alu instid0(VALU_DEP_1) | instskip(NEXT) | instid1(SALU_CYCLE_1)
	s_and_b32 s17, s17, s16
	s_and_saveexec_b32 s16, s17
	s_cbranch_execz .LBB918_79
; %bb.78:                               ;   in Loop: Header=BB918_53 Depth=1
	s_waitcnt vmcnt(0) lgkmcnt(0)
	v_bcnt_u32_b32 v19, v19, v225
	flat_store_b32 v[164:165], v19
.LBB918_79:                             ;   in Loop: Header=BB918_53 Depth=1
	s_or_b32 exec_lo, exec_lo, s16
	v_lshrrev_b32_e32 v108, 16, v88
	; wave barrier
	s_delay_alu instid0(VALU_DEP_1) | instskip(NEXT) | instid1(VALU_DEP_1)
	v_lshrrev_b32_e32 v19, v10, v108
	v_and_b32_e32 v19, v19, v18
	s_delay_alu instid0(VALU_DEP_1) | instskip(SKIP_3) | instid1(VALU_DEP_4)
	v_lshlrev_b32_e32 v20, 3, v19
	v_lshlrev_b32_e32 v22, 30, v19
	;; [unrolled: 1-line block ×4, first 2 shown]
	v_add_lshl_u32 v20, v20, v75, 2
	s_delay_alu instid0(VALU_DEP_1) | instskip(NEXT) | instid1(VALU_DEP_1)
	v_add_co_u32 v166, s16, v28, v20
	v_add_co_ci_u32_e64 v167, s16, 0, v74, s16
	v_and_b32_e32 v20, 1, v19
	flat_load_b32 v227, v[166:167]
	v_add_co_u32 v20, s16, v20, -1
	s_delay_alu instid0(VALU_DEP_1) | instskip(NEXT) | instid1(VALU_DEP_1)
	v_cndmask_b32_e64 v21, 0, 1, s16
	; wave barrier
	v_cmp_ne_u32_e64 s16, 0, v21
	v_not_b32_e32 v21, v22
	s_delay_alu instid0(VALU_DEP_2) | instskip(SKIP_1) | instid1(VALU_DEP_3)
	v_xor_b32_e32 v20, s16, v20
	v_cmp_gt_i32_e64 s16, 0, v22
	v_ashrrev_i32_e32 v21, 31, v21
	v_not_b32_e32 v22, v23
	s_delay_alu instid0(VALU_DEP_4) | instskip(NEXT) | instid1(VALU_DEP_3)
	v_and_b32_e32 v20, exec_lo, v20
	v_xor_b32_e32 v21, s16, v21
	v_cmp_gt_i32_e64 s16, 0, v23
	s_delay_alu instid0(VALU_DEP_4) | instskip(SKIP_1) | instid1(VALU_DEP_4)
	v_ashrrev_i32_e32 v22, 31, v22
	v_not_b32_e32 v23, v24
	v_and_b32_e32 v20, v20, v21
	v_lshlrev_b32_e32 v21, 27, v19
	s_delay_alu instid0(VALU_DEP_4) | instskip(SKIP_2) | instid1(VALU_DEP_4)
	v_xor_b32_e32 v22, s16, v22
	v_cmp_gt_i32_e64 s16, 0, v24
	v_ashrrev_i32_e32 v23, 31, v23
	v_not_b32_e32 v24, v21
	s_delay_alu instid0(VALU_DEP_4) | instskip(SKIP_1) | instid1(VALU_DEP_4)
	v_and_b32_e32 v20, v20, v22
	v_lshlrev_b32_e32 v22, 26, v19
	v_xor_b32_e32 v23, s16, v23
	v_cmp_gt_i32_e64 s16, 0, v21
	v_ashrrev_i32_e32 v21, 31, v24
	s_delay_alu instid0(VALU_DEP_4) | instskip(NEXT) | instid1(VALU_DEP_4)
	v_not_b32_e32 v24, v22
	v_and_b32_e32 v20, v20, v23
	v_lshlrev_b32_e32 v23, 25, v19
	s_delay_alu instid0(VALU_DEP_4)
	v_xor_b32_e32 v21, s16, v21
	v_cmp_gt_i32_e64 s16, 0, v22
	v_ashrrev_i32_e32 v22, 31, v24
	v_lshlrev_b32_e32 v19, 24, v19
	v_not_b32_e32 v24, v23
	v_and_b32_e32 v20, v20, v21
	s_delay_alu instid0(VALU_DEP_4) | instskip(SKIP_1) | instid1(VALU_DEP_4)
	v_xor_b32_e32 v21, s16, v22
	v_cmp_gt_i32_e64 s16, 0, v23
	v_ashrrev_i32_e32 v22, 31, v24
	v_not_b32_e32 v23, v19
	s_delay_alu instid0(VALU_DEP_4) | instskip(NEXT) | instid1(VALU_DEP_3)
	v_and_b32_e32 v20, v20, v21
	v_xor_b32_e32 v21, s16, v22
	v_cmp_gt_i32_e64 s16, 0, v19
	s_delay_alu instid0(VALU_DEP_4) | instskip(NEXT) | instid1(VALU_DEP_3)
	v_ashrrev_i32_e32 v19, 31, v23
	v_and_b32_e32 v20, v20, v21
	s_delay_alu instid0(VALU_DEP_2) | instskip(NEXT) | instid1(VALU_DEP_1)
	v_xor_b32_e32 v19, s16, v19
	v_and_b32_e32 v19, v20, v19
	s_delay_alu instid0(VALU_DEP_1) | instskip(SKIP_1) | instid1(VALU_DEP_2)
	v_mbcnt_lo_u32_b32 v228, v19, 0
	v_cmp_ne_u32_e64 s17, 0, v19
	v_cmp_eq_u32_e64 s16, 0, v228
	s_delay_alu instid0(VALU_DEP_1) | instskip(NEXT) | instid1(SALU_CYCLE_1)
	s_and_b32 s17, s17, s16
	s_and_saveexec_b32 s16, s17
	s_cbranch_execz .LBB918_81
; %bb.80:                               ;   in Loop: Header=BB918_53 Depth=1
	s_waitcnt vmcnt(0) lgkmcnt(0)
	v_bcnt_u32_b32 v19, v19, v227
	flat_store_b32 v[166:167], v19
.LBB918_81:                             ;   in Loop: Header=BB918_53 Depth=1
	s_or_b32 exec_lo, exec_lo, s16
	v_and_b32_e32 v19, 0xffff, v79
	; wave barrier
	s_delay_alu instid0(VALU_DEP_1) | instskip(NEXT) | instid1(VALU_DEP_1)
	v_lshrrev_b32_e32 v19, v10, v19
	v_and_b32_e32 v19, v19, v18
	s_delay_alu instid0(VALU_DEP_1) | instskip(SKIP_3) | instid1(VALU_DEP_4)
	v_lshlrev_b32_e32 v20, 3, v19
	v_lshlrev_b32_e32 v22, 30, v19
	;; [unrolled: 1-line block ×4, first 2 shown]
	v_add_lshl_u32 v20, v20, v75, 2
	s_delay_alu instid0(VALU_DEP_1) | instskip(NEXT) | instid1(VALU_DEP_1)
	v_add_co_u32 v176, s16, v28, v20
	v_add_co_ci_u32_e64 v177, s16, 0, v74, s16
	v_and_b32_e32 v20, 1, v19
	flat_load_b32 v229, v[176:177]
	v_add_co_u32 v20, s16, v20, -1
	s_delay_alu instid0(VALU_DEP_1) | instskip(NEXT) | instid1(VALU_DEP_1)
	v_cndmask_b32_e64 v21, 0, 1, s16
	; wave barrier
	v_cmp_ne_u32_e64 s16, 0, v21
	v_not_b32_e32 v21, v22
	s_delay_alu instid0(VALU_DEP_2) | instskip(SKIP_1) | instid1(VALU_DEP_3)
	v_xor_b32_e32 v20, s16, v20
	v_cmp_gt_i32_e64 s16, 0, v22
	v_ashrrev_i32_e32 v21, 31, v21
	v_not_b32_e32 v22, v23
	s_delay_alu instid0(VALU_DEP_4) | instskip(NEXT) | instid1(VALU_DEP_3)
	v_and_b32_e32 v20, exec_lo, v20
	v_xor_b32_e32 v21, s16, v21
	v_cmp_gt_i32_e64 s16, 0, v23
	s_delay_alu instid0(VALU_DEP_4) | instskip(SKIP_1) | instid1(VALU_DEP_4)
	v_ashrrev_i32_e32 v22, 31, v22
	v_not_b32_e32 v23, v24
	v_and_b32_e32 v20, v20, v21
	v_lshlrev_b32_e32 v21, 27, v19
	s_delay_alu instid0(VALU_DEP_4) | instskip(SKIP_2) | instid1(VALU_DEP_4)
	v_xor_b32_e32 v22, s16, v22
	v_cmp_gt_i32_e64 s16, 0, v24
	v_ashrrev_i32_e32 v23, 31, v23
	v_not_b32_e32 v24, v21
	s_delay_alu instid0(VALU_DEP_4) | instskip(SKIP_1) | instid1(VALU_DEP_4)
	v_and_b32_e32 v20, v20, v22
	v_lshlrev_b32_e32 v22, 26, v19
	v_xor_b32_e32 v23, s16, v23
	v_cmp_gt_i32_e64 s16, 0, v21
	v_ashrrev_i32_e32 v21, 31, v24
	s_delay_alu instid0(VALU_DEP_4) | instskip(NEXT) | instid1(VALU_DEP_4)
	v_not_b32_e32 v24, v22
	v_and_b32_e32 v20, v20, v23
	v_lshlrev_b32_e32 v23, 25, v19
	s_delay_alu instid0(VALU_DEP_4)
	v_xor_b32_e32 v21, s16, v21
	v_cmp_gt_i32_e64 s16, 0, v22
	v_ashrrev_i32_e32 v22, 31, v24
	v_lshlrev_b32_e32 v19, 24, v19
	v_not_b32_e32 v24, v23
	v_and_b32_e32 v20, v20, v21
	s_delay_alu instid0(VALU_DEP_4) | instskip(SKIP_1) | instid1(VALU_DEP_4)
	v_xor_b32_e32 v21, s16, v22
	v_cmp_gt_i32_e64 s16, 0, v23
	v_ashrrev_i32_e32 v22, 31, v24
	v_not_b32_e32 v23, v19
	s_delay_alu instid0(VALU_DEP_4) | instskip(NEXT) | instid1(VALU_DEP_3)
	v_and_b32_e32 v20, v20, v21
	v_xor_b32_e32 v21, s16, v22
	v_cmp_gt_i32_e64 s16, 0, v19
	s_delay_alu instid0(VALU_DEP_4) | instskip(NEXT) | instid1(VALU_DEP_3)
	v_ashrrev_i32_e32 v19, 31, v23
	v_and_b32_e32 v20, v20, v21
	s_delay_alu instid0(VALU_DEP_2) | instskip(NEXT) | instid1(VALU_DEP_1)
	v_xor_b32_e32 v19, s16, v19
	v_and_b32_e32 v19, v20, v19
	s_delay_alu instid0(VALU_DEP_1) | instskip(SKIP_1) | instid1(VALU_DEP_2)
	v_mbcnt_lo_u32_b32 v230, v19, 0
	v_cmp_ne_u32_e64 s17, 0, v19
	v_cmp_eq_u32_e64 s16, 0, v230
	s_delay_alu instid0(VALU_DEP_1) | instskip(NEXT) | instid1(SALU_CYCLE_1)
	s_and_b32 s17, s17, s16
	s_and_saveexec_b32 s16, s17
	s_cbranch_execz .LBB918_83
; %bb.82:                               ;   in Loop: Header=BB918_53 Depth=1
	s_waitcnt vmcnt(0) lgkmcnt(0)
	v_bcnt_u32_b32 v19, v19, v229
	flat_store_b32 v[176:177], v19
.LBB918_83:                             ;   in Loop: Header=BB918_53 Depth=1
	s_or_b32 exec_lo, exec_lo, s16
	v_lshrrev_b32_e32 v109, 16, v79
	; wave barrier
	s_delay_alu instid0(VALU_DEP_1) | instskip(NEXT) | instid1(VALU_DEP_1)
	v_lshrrev_b32_e32 v19, v10, v109
	v_and_b32_e32 v18, v19, v18
	s_delay_alu instid0(VALU_DEP_1) | instskip(SKIP_3) | instid1(VALU_DEP_4)
	v_lshlrev_b32_e32 v19, 3, v18
	v_lshlrev_b32_e32 v21, 30, v18
	;; [unrolled: 1-line block ×4, first 2 shown]
	v_add_lshl_u32 v19, v19, v75, 2
	s_delay_alu instid0(VALU_DEP_1) | instskip(NEXT) | instid1(VALU_DEP_1)
	v_add_co_u32 v178, s16, v28, v19
	v_add_co_ci_u32_e64 v179, s16, 0, v74, s16
	v_and_b32_e32 v19, 1, v18
	flat_load_b32 v231, v[178:179]
	v_add_co_u32 v19, s16, v19, -1
	s_delay_alu instid0(VALU_DEP_1) | instskip(NEXT) | instid1(VALU_DEP_1)
	v_cndmask_b32_e64 v20, 0, 1, s16
	; wave barrier
	v_cmp_ne_u32_e64 s16, 0, v20
	v_not_b32_e32 v20, v21
	s_delay_alu instid0(VALU_DEP_2) | instskip(SKIP_1) | instid1(VALU_DEP_3)
	v_xor_b32_e32 v19, s16, v19
	v_cmp_gt_i32_e64 s16, 0, v21
	v_ashrrev_i32_e32 v20, 31, v20
	v_not_b32_e32 v21, v22
	s_delay_alu instid0(VALU_DEP_4) | instskip(NEXT) | instid1(VALU_DEP_3)
	v_and_b32_e32 v19, exec_lo, v19
	v_xor_b32_e32 v20, s16, v20
	v_cmp_gt_i32_e64 s16, 0, v22
	s_delay_alu instid0(VALU_DEP_4) | instskip(SKIP_1) | instid1(VALU_DEP_4)
	v_ashrrev_i32_e32 v21, 31, v21
	v_not_b32_e32 v22, v23
	v_and_b32_e32 v19, v19, v20
	v_lshlrev_b32_e32 v20, 27, v18
	s_delay_alu instid0(VALU_DEP_4) | instskip(SKIP_2) | instid1(VALU_DEP_4)
	v_xor_b32_e32 v21, s16, v21
	v_cmp_gt_i32_e64 s16, 0, v23
	v_ashrrev_i32_e32 v22, 31, v22
	v_not_b32_e32 v23, v20
	s_delay_alu instid0(VALU_DEP_4) | instskip(SKIP_1) | instid1(VALU_DEP_4)
	v_and_b32_e32 v19, v19, v21
	v_lshlrev_b32_e32 v21, 26, v18
	v_xor_b32_e32 v22, s16, v22
	v_cmp_gt_i32_e64 s16, 0, v20
	v_ashrrev_i32_e32 v20, 31, v23
	s_delay_alu instid0(VALU_DEP_4) | instskip(NEXT) | instid1(VALU_DEP_4)
	v_not_b32_e32 v23, v21
	v_and_b32_e32 v19, v19, v22
	v_lshlrev_b32_e32 v22, 25, v18
	s_delay_alu instid0(VALU_DEP_4)
	v_xor_b32_e32 v20, s16, v20
	v_cmp_gt_i32_e64 s16, 0, v21
	v_ashrrev_i32_e32 v21, 31, v23
	v_lshlrev_b32_e32 v18, 24, v18
	v_not_b32_e32 v23, v22
	v_and_b32_e32 v19, v19, v20
	s_delay_alu instid0(VALU_DEP_4) | instskip(SKIP_1) | instid1(VALU_DEP_4)
	v_xor_b32_e32 v20, s16, v21
	v_cmp_gt_i32_e64 s16, 0, v22
	v_ashrrev_i32_e32 v21, 31, v23
	v_not_b32_e32 v22, v18
	s_delay_alu instid0(VALU_DEP_4) | instskip(NEXT) | instid1(VALU_DEP_3)
	v_and_b32_e32 v19, v19, v20
	v_xor_b32_e32 v20, s16, v21
	v_cmp_gt_i32_e64 s16, 0, v18
	s_delay_alu instid0(VALU_DEP_4) | instskip(NEXT) | instid1(VALU_DEP_3)
	v_ashrrev_i32_e32 v18, 31, v22
	v_and_b32_e32 v19, v19, v20
	s_delay_alu instid0(VALU_DEP_2) | instskip(NEXT) | instid1(VALU_DEP_1)
	v_xor_b32_e32 v18, s16, v18
	v_and_b32_e32 v18, v19, v18
	s_delay_alu instid0(VALU_DEP_1) | instskip(SKIP_1) | instid1(VALU_DEP_2)
	v_mbcnt_lo_u32_b32 v240, v18, 0
	v_cmp_ne_u32_e64 s17, 0, v18
	v_cmp_eq_u32_e64 s16, 0, v240
	s_delay_alu instid0(VALU_DEP_1) | instskip(NEXT) | instid1(SALU_CYCLE_1)
	s_and_b32 s17, s17, s16
	s_and_saveexec_b32 s16, s17
	s_cbranch_execz .LBB918_85
; %bb.84:                               ;   in Loop: Header=BB918_53 Depth=1
	s_waitcnt vmcnt(0) lgkmcnt(0)
	v_bcnt_u32_b32 v18, v18, v231
	flat_store_b32 v[178:179], v18
.LBB918_85:                             ;   in Loop: Header=BB918_53 Depth=1
	s_or_b32 exec_lo, exec_lo, s16
	; wave barrier
	s_waitcnt vmcnt(0) lgkmcnt(0)
	s_waitcnt_vscnt null, 0x0
	s_barrier
	buffer_gl0_inv
	s_clause 0x1
	flat_load_b128 v[22:25], v[8:9] offset:32
	flat_load_b128 v[18:21], v[31:32] offset:16
	s_waitcnt vmcnt(1) lgkmcnt(1)
	v_add_nc_u32_e32 v241, v23, v22
	s_delay_alu instid0(VALU_DEP_1) | instskip(SKIP_1) | instid1(VALU_DEP_1)
	v_add3_u32 v241, v241, v24, v25
	s_waitcnt vmcnt(0) lgkmcnt(0)
	v_add3_u32 v241, v241, v18, v19
	s_delay_alu instid0(VALU_DEP_1) | instskip(NEXT) | instid1(VALU_DEP_1)
	v_add3_u32 v21, v241, v20, v21
	v_mov_b32_dpp v241, v21 row_shr:1 row_mask:0xf bank_mask:0xf
	s_delay_alu instid0(VALU_DEP_1) | instskip(NEXT) | instid1(VALU_DEP_1)
	v_cndmask_b32_e64 v241, v241, 0, vcc_lo
	v_add_nc_u32_e32 v21, v241, v21
	s_delay_alu instid0(VALU_DEP_1) | instskip(NEXT) | instid1(VALU_DEP_1)
	v_mov_b32_dpp v241, v21 row_shr:2 row_mask:0xf bank_mask:0xf
	v_cndmask_b32_e64 v241, 0, v241, s0
	s_delay_alu instid0(VALU_DEP_1) | instskip(NEXT) | instid1(VALU_DEP_1)
	v_add_nc_u32_e32 v21, v21, v241
	v_mov_b32_dpp v241, v21 row_shr:4 row_mask:0xf bank_mask:0xf
	s_delay_alu instid0(VALU_DEP_1) | instskip(NEXT) | instid1(VALU_DEP_1)
	v_cndmask_b32_e64 v241, 0, v241, s1
	v_add_nc_u32_e32 v21, v21, v241
	s_delay_alu instid0(VALU_DEP_1) | instskip(NEXT) | instid1(VALU_DEP_1)
	v_mov_b32_dpp v241, v21 row_shr:8 row_mask:0xf bank_mask:0xf
	v_cndmask_b32_e64 v241, 0, v241, s2
	s_delay_alu instid0(VALU_DEP_1) | instskip(SKIP_3) | instid1(VALU_DEP_1)
	v_add_nc_u32_e32 v21, v21, v241
	ds_swizzle_b32 v241, v21 offset:swizzle(BROADCAST,32,15)
	s_waitcnt lgkmcnt(0)
	v_cndmask_b32_e64 v241, v241, 0, s3
	v_add_nc_u32_e32 v21, v21, v241
	s_and_saveexec_b32 s16, s4
	s_cbranch_execz .LBB918_87
; %bb.86:                               ;   in Loop: Header=BB918_53 Depth=1
	flat_store_b32 v[70:71], v21
.LBB918_87:                             ;   in Loop: Header=BB918_53 Depth=1
	s_or_b32 exec_lo, exec_lo, s16
	s_waitcnt lgkmcnt(0)
	s_waitcnt_vscnt null, 0x0
	s_barrier
	buffer_gl0_inv
	s_and_saveexec_b32 s16, s5
	s_cbranch_execz .LBB918_89
; %bb.88:                               ;   in Loop: Header=BB918_53 Depth=1
	flat_load_b32 v241, v[80:81]
	s_waitcnt vmcnt(0) lgkmcnt(0)
	v_mov_b32_dpp v242, v241 row_shr:1 row_mask:0xf bank_mask:0xf
	s_delay_alu instid0(VALU_DEP_1) | instskip(NEXT) | instid1(VALU_DEP_1)
	v_cndmask_b32_e64 v242, v242, 0, s11
	v_add_nc_u32_e32 v241, v242, v241
	s_delay_alu instid0(VALU_DEP_1) | instskip(NEXT) | instid1(VALU_DEP_1)
	v_mov_b32_dpp v242, v241 row_shr:2 row_mask:0xf bank_mask:0xf
	v_cndmask_b32_e64 v242, 0, v242, s14
	s_delay_alu instid0(VALU_DEP_1) | instskip(NEXT) | instid1(VALU_DEP_1)
	v_add_nc_u32_e32 v241, v241, v242
	v_mov_b32_dpp v242, v241 row_shr:4 row_mask:0xf bank_mask:0xf
	s_delay_alu instid0(VALU_DEP_1) | instskip(NEXT) | instid1(VALU_DEP_1)
	v_cndmask_b32_e64 v242, 0, v242, s15
	v_add_nc_u32_e32 v241, v241, v242
	flat_store_b32 v[80:81], v241
.LBB918_89:                             ;   in Loop: Header=BB918_53 Depth=1
	s_or_b32 exec_lo, exec_lo, s16
	v_mov_b32_e32 v241, 0
	s_waitcnt lgkmcnt(0)
	s_waitcnt_vscnt null, 0x0
	s_barrier
	buffer_gl0_inv
	s_and_saveexec_b32 s16, s6
	s_cbranch_execz .LBB918_91
; %bb.90:                               ;   in Loop: Header=BB918_53 Depth=1
	flat_load_b32 v241, v[86:87]
.LBB918_91:                             ;   in Loop: Header=BB918_53 Depth=1
	s_or_b32 exec_lo, exec_lo, s16
	s_waitcnt vmcnt(0) lgkmcnt(0)
	v_dual_mov_b32 v110, v78 :: v_dual_add_nc_u32 v21, v241, v21
	v_add_nc_u32_e32 v10, 8, v10
	s_mov_b32 s18, -1
                                        ; implicit-def: $vgpr125
                                        ; implicit-def: $vgpr124
                                        ; implicit-def: $vgpr123
                                        ; implicit-def: $vgpr122
                                        ; implicit-def: $vgpr121
                                        ; implicit-def: $vgpr120
                                        ; implicit-def: $vgpr111
	ds_bpermute_b32 v21, v76, v21
	s_waitcnt lgkmcnt(0)
	v_cndmask_b32_e64 v21, v21, v241, s7
	s_delay_alu instid0(VALU_DEP_1) | instskip(NEXT) | instid1(VALU_DEP_1)
	v_cndmask_b32_e64 v21, v21, 0, s10
	v_add_nc_u32_e32 v22, v21, v22
	s_delay_alu instid0(VALU_DEP_1) | instskip(NEXT) | instid1(VALU_DEP_1)
	v_add_nc_u32_e32 v23, v22, v23
	v_add_nc_u32_e32 v24, v23, v24
	s_delay_alu instid0(VALU_DEP_1) | instskip(SKIP_1) | instid1(VALU_DEP_2)
	v_add_nc_u32_e32 v241, v24, v25
	v_mov_b32_e32 v25, v5
	v_add_nc_u32_e32 v242, v241, v18
	s_delay_alu instid0(VALU_DEP_1) | instskip(NEXT) | instid1(VALU_DEP_1)
	v_add_nc_u32_e32 v243, v242, v19
	v_dual_mov_b32 v19, v5 :: v_dual_add_nc_u32 v244, v243, v20
	s_clause 0x1
	flat_store_b128 v[8:9], v[21:24] offset:32
	flat_store_b128 v[31:32], v[241:244] offset:16
	s_waitcnt lgkmcnt(0)
	s_waitcnt_vscnt null, 0x0
	s_barrier
	buffer_gl0_inv
	s_clause 0xf
	flat_load_b32 v18, v[116:117]
	flat_load_b32 v20, v[118:119]
	;; [unrolled: 1-line block ×16, first 2 shown]
	v_mov_b32_e32 v163, v5
	v_mov_b32_e32 v151, v5
	;; [unrolled: 1-line block ×13, first 2 shown]
	v_cmp_lt_u32_e64 s16, v10, v11
	s_waitcnt vmcnt(0) lgkmcnt(0)
	v_add_nc_u32_e32 v4, v18, v4
	v_add3_u32 v164, v180, v39, v20
	v_add3_u32 v162, v182, v181, v22
	;; [unrolled: 1-line block ×5, first 2 shown]
	v_lshlrev_b64 v[116:117], 1, v[4:5]
	v_add3_u32 v134, v208, v199, v128
	v_add3_u32 v132, v210, v209, v130
	;; [unrolled: 1-line block ×4, first 2 shown]
	v_lshlrev_b64 v[146:147], 1, v[164:165]
	v_add3_u32 v24, v226, v225, v242
	v_add3_u32 v22, v228, v227, v166
	;; [unrolled: 1-line block ×3, first 2 shown]
	v_lshlrev_b64 v[166:167], 1, v[162:163]
	v_add_co_u32 v226, s17, v12, v116
	s_delay_alu instid0(VALU_DEP_1) | instskip(SKIP_3) | instid1(VALU_DEP_1)
	v_add_co_ci_u32_e64 v227, s17, v13, v117, s17
	v_add3_u32 v18, v240, v231, v176
	v_lshlrev_b64 v[176:177], 1, v[160:161]
	v_add_co_u32 v228, s17, v12, v146
	v_add_co_ci_u32_e64 v229, s17, v13, v147, s17
	v_lshlrev_b64 v[178:179], 1, v[150:151]
	v_add_co_u32 v230, s17, v12, v166
	v_add3_u32 v144, v198, v197, v118
	v_add_co_ci_u32_e64 v231, s17, v13, v167, s17
	v_lshlrev_b64 v[180:181], 1, v[148:149]
	v_add_co_u32 v240, s17, v12, v176
	v_add3_u32 v118, v224, v215, v241
	v_add_co_ci_u32_e64 v241, s17, v13, v177, s17
	v_lshlrev_b64 v[182:183], 1, v[144:145]
	v_add_co_u32 v242, s17, v12, v178
	s_delay_alu instid0(VALU_DEP_1) | instskip(SKIP_2) | instid1(VALU_DEP_1)
	v_add_co_ci_u32_e64 v243, s17, v13, v179, s17
	v_lshlrev_b64 v[192:193], 1, v[134:135]
	v_add_co_u32 v244, s17, v12, v180
	v_add_co_ci_u32_e64 v245, s17, v13, v181, s17
	v_lshlrev_b64 v[194:195], 1, v[132:133]
	v_add_co_u32 v246, s17, v12, v182
	s_delay_alu instid0(VALU_DEP_1) | instskip(SKIP_2) | instid1(VALU_DEP_1)
	v_add_co_ci_u32_e64 v247, s17, v13, v183, s17
	v_lshlrev_b64 v[196:197], 1, v[130:131]
	v_add_co_u32 v39, s17, v12, v192
	;; [unrolled: 7-line block ×5, first 2 shown]
	v_add_co_ci_u32_e64 v73, s17, v13, v213, s17
	v_add_co_u32 v43, s17, v12, v214
	s_delay_alu instid0(VALU_DEP_1) | instskip(SKIP_1) | instid1(VALU_DEP_1)
	v_add_co_ci_u32_e64 v44, s17, v13, v215, s17
	v_add_co_u32 v56, s17, v12, v224
	v_add_co_ci_u32_e64 v57, s17, v13, v225, s17
                                        ; implicit-def: $vgpr166_vgpr167
                                        ; implicit-def: $vgpr178_vgpr179
                                        ; implicit-def: $vgpr182_vgpr183
                                        ; implicit-def: $vgpr194_vgpr195
                                        ; implicit-def: $vgpr198_vgpr199
                                        ; implicit-def: $vgpr116_vgpr117
                                        ; implicit-def: $vgpr146_vgpr147
                                        ; implicit-def: $vgpr176_vgpr177
                                        ; implicit-def: $vgpr180_vgpr181
                                        ; implicit-def: $vgpr192_vgpr193
                                        ; implicit-def: $vgpr196_vgpr197
                                        ; implicit-def: $vgpr208_vgpr209
                                        ; implicit-def: $vgpr210_vgpr211
                                        ; implicit-def: $vgpr212_vgpr213
                                        ; implicit-def: $vgpr214_vgpr215
                                        ; implicit-def: $vgpr224_vgpr225
	s_and_saveexec_b32 s17, s16
	s_cbranch_execz .LBB918_52
; %bb.92:                               ;   in Loop: Header=BB918_53 Depth=1
	s_barrier
	buffer_gl0_inv
	s_clause 0xf
	flat_store_b16 v[226:227], v78
	flat_store_b16 v[228:229], v94
	;; [unrolled: 1-line block ×16, first 2 shown]
	s_waitcnt lgkmcnt(0)
	s_waitcnt_vscnt null, 0x0
	s_barrier
	buffer_gl0_inv
	s_clause 0x7
	flat_load_u16 v78, v[82:83]
	flat_load_u16 v111, v[82:83] offset:128
	flat_load_u16 v120, v[82:83] offset:256
	;; [unrolled: 1-line block ×7, first 2 shown]
	v_mad_u64_u32 v[116:117], null, v4, 6, v[226:227]
	v_mad_u64_u32 v[146:147], null, v164, 6, v[228:229]
	;; [unrolled: 1-line block ×16, first 2 shown]
	v_add_nc_u32_e32 v77, -8, v77
	s_xor_b32 s18, exec_lo, -1
	s_waitcnt vmcnt(7) lgkmcnt(7)
	flat_load_d16_hi_b16 v78, v[82:83] offset:64
	s_waitcnt vmcnt(7) lgkmcnt(7)
	flat_load_d16_hi_b16 v111, v[82:83] offset:192
	;; [unrolled: 2-line block ×8, first 2 shown]
	s_waitcnt vmcnt(0) lgkmcnt(0)
	s_barrier
	buffer_gl0_inv
	s_clause 0xf
	flat_store_b64 v[116:117], v[64:65]
	flat_store_b64 v[146:147], v[68:69]
	flat_store_b64 v[166:167], v[66:67]
	flat_store_b64 v[176:177], v[35:36]
	flat_store_b64 v[178:179], v[33:34]
	flat_store_b64 v[180:181], v[112:113]
	flat_store_b64 v[182:183], v[114:115]
	flat_store_b64 v[192:193], v[100:101]
	flat_store_b64 v[194:195], v[84:85]
	flat_store_b64 v[196:197], v[98:99]
	flat_store_b64 v[198:199], v[96:97]
	flat_store_b64 v[208:209], v[50:51]
	flat_store_b64 v[210:211], v[48:49]
	flat_store_b64 v[212:213], v[54:55]
	flat_store_b64 v[214:215], v[52:53]
	flat_store_b64 v[224:225], v[37:38]
	s_waitcnt lgkmcnt(0)
	s_waitcnt_vscnt null, 0x0
	s_barrier
	buffer_gl0_inv
	s_clause 0xf
	flat_load_b64 v[166:167], v[102:103]
	flat_load_b64 v[178:179], v[102:103] offset:256
	flat_load_b64 v[182:183], v[102:103] offset:512
	;; [unrolled: 1-line block ×15, first 2 shown]
	s_waitcnt vmcnt(0) lgkmcnt(0)
	s_barrier
	buffer_gl0_inv
	s_branch .LBB918_52
.LBB918_93:
	s_or_b32 exec_lo, exec_lo, s20
	v_or_b32_e32 v28, 0x800, v26
	v_lshlrev_b32_e32 v8, 1, v26
	v_or_b32_e32 v167, 0xc00, v26
	v_lshlrev_b64 v[4:5], 3, v[4:5]
	s_barrier
	v_lshlrev_b32_e32 v10, 1, v28
	v_add_co_u32 v8, vcc_lo, v12, v8
	v_add_co_ci_u32_e32 v9, vcc_lo, 0, v13, vcc_lo
	s_delay_alu instid0(VALU_DEP_3) | instskip(SKIP_4) | instid1(VALU_DEP_4)
	v_add_co_u32 v10, vcc_lo, v12, v10
	v_lshlrev_b32_e32 v16, 1, v167
	v_add_co_ci_u32_e32 v11, vcc_lo, 0, v13, vcc_lo
	v_add_co_u32 v14, vcc_lo, 0x1000, v8
	v_add_co_ci_u32_e32 v15, vcc_lo, 0, v9, vcc_lo
	v_add_co_u32 v16, vcc_lo, v12, v16
	v_add_co_ci_u32_e32 v17, vcc_lo, 0, v13, vcc_lo
	buffer_gl0_inv
	s_clause 0xf
	flat_store_b16 v[226:227], v110
	flat_store_b16 v[228:229], v94
	;; [unrolled: 1-line block ×16, first 2 shown]
	s_waitcnt lgkmcnt(0)
	s_waitcnt_vscnt null, 0x0
	s_barrier
	buffer_gl0_inv
	s_clause 0xd
	flat_load_u16 v166, v[8:9]
	flat_load_u16 v147, v[8:9] offset:512
	flat_load_u16 v146, v[8:9] offset:1024
	;; [unrolled: 1-line block ×7, first 2 shown]
	flat_load_u16 v87, v[10:11]
	flat_load_u16 v83, v[14:15] offset:512
	flat_load_u16 v82, v[14:15] offset:1024
	;; [unrolled: 1-line block ×5, first 2 shown]
	v_add_co_u32 v8, vcc_lo, 0x1e00, v8
	v_lshlrev_b64 v[10:11], 3, v[164:165]
	v_add_co_ci_u32_e32 v9, vcc_lo, 0, v9, vcc_lo
	s_clause 0x1
	flat_load_u16 v81, v[16:17]
	flat_load_u16 v39, v[14:15] offset:3584
	v_add_co_u32 v4, vcc_lo, v12, v4
	v_lshlrev_b64 v[14:15], 3, v[162:163]
	v_add_co_ci_u32_e32 v5, vcc_lo, v13, v5, vcc_lo
	v_add_co_u32 v10, vcc_lo, v12, v10
	v_add_co_ci_u32_e32 v11, vcc_lo, v13, v11, vcc_lo
	s_delay_alu instid0(VALU_DEP_4)
	v_add_co_u32 v14, vcc_lo, v12, v14
	v_add_co_ci_u32_e32 v15, vcc_lo, v13, v15, vcc_lo
	v_lshlrev_b64 v[16:17], 3, v[160:161]
	s_waitcnt vmcnt(0) lgkmcnt(0)
	s_barrier
	buffer_gl0_inv
	s_clause 0x2
	flat_store_b64 v[4:5], v[64:65]
	flat_store_b64 v[10:11], v[68:69]
	;; [unrolled: 1-line block ×3, first 2 shown]
	v_lshlrev_b64 v[4:5], 3, v[150:151]
	v_add_co_u32 v10, vcc_lo, v12, v16
	v_lshlrev_b64 v[14:15], 3, v[148:149]
	v_add_co_ci_u32_e32 v11, vcc_lo, v13, v17, vcc_lo
	s_delay_alu instid0(VALU_DEP_4) | instskip(SKIP_4) | instid1(VALU_DEP_4)
	v_add_co_u32 v4, vcc_lo, v12, v4
	v_lshlrev_b64 v[16:17], 3, v[144:145]
	v_add_co_ci_u32_e32 v5, vcc_lo, v13, v5, vcc_lo
	v_add_co_u32 v14, vcc_lo, v12, v14
	v_add_co_ci_u32_e32 v15, vcc_lo, v13, v15, vcc_lo
	v_add_co_u32 v16, vcc_lo, v12, v16
	v_add_co_ci_u32_e32 v17, vcc_lo, v13, v17, vcc_lo
	flat_store_b64 v[10:11], v[35:36]
	v_lshlrev_b64 v[10:11], 3, v[134:135]
	s_clause 0x2
	flat_store_b64 v[4:5], v[33:34]
	flat_store_b64 v[14:15], v[112:113]
	;; [unrolled: 1-line block ×3, first 2 shown]
	v_lshlrev_b64 v[4:5], 3, v[132:133]
	v_lshlrev_b64 v[14:15], 3, v[130:131]
	;; [unrolled: 1-line block ×4, first 2 shown]
	v_add_co_u32 v10, vcc_lo, v12, v10
	v_add_co_ci_u32_e32 v11, vcc_lo, v13, v11, vcc_lo
	v_add_co_u32 v4, vcc_lo, v12, v4
	v_add_co_ci_u32_e32 v5, vcc_lo, v13, v5, vcc_lo
	;; [unrolled: 2-line block ×4, first 2 shown]
	flat_store_b64 v[10:11], v[100:101]
	v_lshlrev_b64 v[10:11], 3, v[118:119]
	s_clause 0x2
	flat_store_b64 v[4:5], v[84:85]
	flat_store_b64 v[14:15], v[98:99]
	;; [unrolled: 1-line block ×3, first 2 shown]
	v_lshlrev_b64 v[4:5], 3, v[24:25]
	v_lshlrev_b64 v[14:15], 3, v[22:23]
	;; [unrolled: 1-line block ×3, first 2 shown]
	v_add_nc_u32_e32 v176, 0xf00, v26
	v_add_co_u32 v10, vcc_lo, v12, v10
	v_add_co_ci_u32_e32 v11, vcc_lo, v13, v11, vcc_lo
	v_add_co_u32 v4, vcc_lo, v12, v4
	v_add_co_ci_u32_e32 v5, vcc_lo, v13, v5, vcc_lo
	;; [unrolled: 2-line block ×5, first 2 shown]
	s_clause 0x4
	flat_store_b64 v[10:11], v[50:51]
	flat_store_b64 v[4:5], v[48:49]
	;; [unrolled: 1-line block ×5, first 2 shown]
	v_lshlrev_b32_e32 v4, 3, v26
	v_lshl_or_b32 v14, v26, 3, 0x2000
	s_waitcnt lgkmcnt(0)
	s_waitcnt_vscnt null, 0x0
	s_barrier
	buffer_gl0_inv
	v_add_co_u32 v4, vcc_lo, v12, v4
	v_add_co_ci_u32_e32 v5, vcc_lo, 0, v13, vcc_lo
	v_mad_u64_u32 v[64:65], null, v176, 6, v[8:9]
	s_delay_alu instid0(VALU_DEP_3) | instskip(NEXT) | instid1(VALU_DEP_3)
	v_add_co_u32 v10, vcc_lo, 0x1000, v4
	v_add_co_ci_u32_e32 v11, vcc_lo, 0, v5, vcc_lo
	v_add_co_u32 v14, vcc_lo, v12, v14
	v_add_co_ci_u32_e32 v15, vcc_lo, 0, v13, vcc_lo
	v_add_co_u32 v16, vcc_lo, 0x2000, v4
	s_clause 0x3
	flat_load_b64 v[50:51], v[4:5]
	flat_load_b64 v[48:49], v[4:5] offset:2048
	flat_load_b64 v[37:38], v[10:11]
	flat_load_b64 v[35:36], v[10:11] offset:2048
	v_lshlrev_b32_e32 v10, 3, v28
	v_add_co_ci_u32_e32 v17, vcc_lo, 0, v5, vcc_lo
	v_add_co_u32 v18, vcc_lo, 0x3000, v4
	v_add_co_ci_u32_e32 v19, vcc_lo, 0, v5, vcc_lo
	s_delay_alu instid0(VALU_DEP_4)
	v_add_co_u32 v10, vcc_lo, v12, v10
	v_add_co_ci_u32_e32 v11, vcc_lo, 0, v13, vcc_lo
	s_clause 0x3
	flat_load_b64 v[33:34], v[14:15]
	flat_load_b64 v[31:32], v[16:17] offset:2048
	flat_load_b64 v[22:23], v[18:19]
	flat_load_b64 v[18:19], v[18:19] offset:2048
	v_add_co_u32 v14, vcc_lo, 0x4000, v4
	v_lshlrev_b32_e32 v16, 3, v167
	v_add_co_ci_u32_e32 v15, vcc_lo, 0, v5, vcc_lo
	v_add_co_u32 v52, vcc_lo, 0x5000, v4
	v_add_co_ci_u32_e32 v53, vcc_lo, 0, v5, vcc_lo
	s_delay_alu instid0(VALU_DEP_4)
	v_add_co_u32 v12, vcc_lo, v12, v16
	v_add_co_ci_u32_e32 v13, vcc_lo, 0, v13, vcc_lo
	v_add_co_u32 v54, vcc_lo, 0x6000, v4
	v_add_co_ci_u32_e32 v55, vcc_lo, 0, v5, vcc_lo
	;; [unrolled: 2-line block ×3, first 2 shown]
	s_clause 0x7
	flat_load_b64 v[24:25], v[10:11]
	flat_load_b64 v[20:21], v[14:15] offset:2048
	flat_load_b64 v[16:17], v[52:53]
	flat_load_b64 v[14:15], v[52:53] offset:2048
	;; [unrolled: 2-line block ×3, first 2 shown]
	flat_load_b64 v[8:9], v[4:5]
	flat_load_b64 v[4:5], v[64:65]
	v_mov_b32_e32 v28, 0
	v_add_co_u32 v2, vcc_lo, v2, v29
	v_add_co_ci_u32_e32 v3, vcc_lo, v3, v30, vcc_lo
	s_delay_alu instid0(VALU_DEP_3)
	v_lshlrev_b64 v[52:53], 1, v[27:28]
	s_waitcnt vmcnt(0) lgkmcnt(0)
	s_barrier
	buffer_gl0_inv
	v_add_co_u32 v2, vcc_lo, v2, v52
	v_add_co_ci_u32_e32 v3, vcc_lo, v3, v53, vcc_lo
	v_cmp_lt_u32_e32 vcc_lo, v27, v47
	s_and_saveexec_b32 s0, vcc_lo
	s_cbranch_execz .LBB918_95
; %bb.94:
	v_xor_b32_e32 v26, 0x7fff, v166
	flat_store_b16 v[2:3], v26
.LBB918_95:
	s_or_b32 exec_lo, exec_lo, s0
	v_add_nc_u32_e32 v26, 0x100, v27
	s_delay_alu instid0(VALU_DEP_1) | instskip(NEXT) | instid1(VALU_DEP_1)
	v_cmp_lt_u32_e64 s3, v26, v47
	s_and_saveexec_b32 s0, s3
	s_cbranch_execz .LBB918_97
; %bb.96:
	v_xor_b32_e32 v26, 0x7fff, v147
	flat_store_b16 v[2:3], v26 offset:512
.LBB918_97:
	s_or_b32 exec_lo, exec_lo, s0
	v_add_nc_u32_e32 v26, 0x200, v27
	s_delay_alu instid0(VALU_DEP_1) | instskip(NEXT) | instid1(VALU_DEP_1)
	v_cmp_lt_u32_e64 s10, v26, v47
	s_and_saveexec_b32 s0, s10
	s_cbranch_execz .LBB918_99
; %bb.98:
	v_xor_b32_e32 v26, 0x7fff, v146
	flat_store_b16 v[2:3], v26 offset:1024
.LBB918_99:
	;; [unrolled: 10-line block ×7, first 2 shown]
	s_or_b32 exec_lo, exec_lo, s0
	v_add_nc_u32_e32 v26, 0x800, v27
	s_delay_alu instid0(VALU_DEP_1) | instskip(NEXT) | instid1(VALU_DEP_1)
	v_cmp_lt_u32_e64 s0, v26, v47
	s_and_saveexec_b32 s11, s0
	s_cbranch_execz .LBB918_111
; %bb.110:
	v_add_co_u32 v29, s5, 0x1000, v2
	v_xor_b32_e32 v26, 0x7fff, v87
	v_add_co_ci_u32_e64 v30, s5, 0, v3, s5
	flat_store_b16 v[29:30], v26
.LBB918_111:
	s_or_b32 exec_lo, exec_lo, s11
	v_add_nc_u32_e32 v26, 0x900, v27
	s_delay_alu instid0(VALU_DEP_1) | instskip(NEXT) | instid1(VALU_DEP_1)
	v_cmp_lt_u32_e64 s5, v26, v47
	s_and_saveexec_b32 s14, s5
	s_cbranch_execz .LBB918_113
; %bb.112:
	v_add_co_u32 v29, s11, 0x1000, v2
	v_xor_b32_e32 v26, 0x7fff, v83
	v_add_co_ci_u32_e64 v30, s11, 0, v3, s11
	flat_store_b16 v[29:30], v26 offset:512
.LBB918_113:
	s_or_b32 exec_lo, exec_lo, s14
	v_add_nc_u32_e32 v26, 0xa00, v27
	s_delay_alu instid0(VALU_DEP_1) | instskip(NEXT) | instid1(VALU_DEP_1)
	v_cmp_lt_u32_e64 s11, v26, v47
	s_and_saveexec_b32 s15, s11
	s_cbranch_execz .LBB918_115
; %bb.114:
	v_add_co_u32 v29, s14, 0x1000, v2
	v_xor_b32_e32 v26, 0x7fff, v82
	v_add_co_ci_u32_e64 v30, s14, 0, v3, s14
	flat_store_b16 v[29:30], v26 offset:1024
.LBB918_115:
	;; [unrolled: 12-line block ×7, first 2 shown]
	s_or_b32 exec_lo, exec_lo, s20
	v_lshlrev_b64 v[2:3], 3, v[27:28]
	v_add_co_u32 v0, s19, v6, v0
	s_delay_alu instid0(VALU_DEP_1) | instskip(NEXT) | instid1(VALU_DEP_2)
	v_add_co_ci_u32_e64 v1, s19, v7, v1, s19
	v_add_co_u32 v0, s19, v0, v2
	s_delay_alu instid0(VALU_DEP_1)
	v_add_co_ci_u32_e64 v1, s19, v1, v3, s19
	s_and_saveexec_b32 s19, vcc_lo
	s_cbranch_execnz .LBB918_211
; %bb.126:
	s_or_b32 exec_lo, exec_lo, s19
	s_and_saveexec_b32 s19, s3
	s_cbranch_execnz .LBB918_212
.LBB918_127:
	s_or_b32 exec_lo, exec_lo, s19
	s_and_saveexec_b32 s3, s10
	s_cbranch_execnz .LBB918_213
.LBB918_128:
	s_or_b32 exec_lo, exec_lo, s3
	s_and_saveexec_b32 s3, s7
	s_cbranch_execnz .LBB918_214
.LBB918_129:
	s_or_b32 exec_lo, exec_lo, s3
	s_and_saveexec_b32 s3, s6
	s_cbranch_execnz .LBB918_215
.LBB918_130:
	s_or_b32 exec_lo, exec_lo, s3
	s_and_saveexec_b32 s3, s4
	s_cbranch_execnz .LBB918_216
.LBB918_131:
	s_or_b32 exec_lo, exec_lo, s3
	s_and_saveexec_b32 s3, s2
	s_cbranch_execnz .LBB918_217
.LBB918_132:
	s_or_b32 exec_lo, exec_lo, s3
	s_and_saveexec_b32 s2, s1
	s_cbranch_execnz .LBB918_218
.LBB918_133:
	s_or_b32 exec_lo, exec_lo, s2
	s_and_saveexec_b32 s1, s0
	s_cbranch_execnz .LBB918_219
.LBB918_134:
	s_or_b32 exec_lo, exec_lo, s1
	s_and_saveexec_b32 s0, s5
	s_cbranch_execnz .LBB918_220
.LBB918_135:
	s_or_b32 exec_lo, exec_lo, s0
	s_and_saveexec_b32 s0, s11
	s_cbranch_execnz .LBB918_221
.LBB918_136:
	s_or_b32 exec_lo, exec_lo, s0
	s_and_saveexec_b32 s0, s14
	s_cbranch_execnz .LBB918_222
.LBB918_137:
	s_or_b32 exec_lo, exec_lo, s0
	s_and_saveexec_b32 s0, s15
	s_cbranch_execnz .LBB918_223
.LBB918_138:
	s_or_b32 exec_lo, exec_lo, s0
	s_and_saveexec_b32 s0, s16
	s_cbranch_execnz .LBB918_224
.LBB918_139:
	s_or_b32 exec_lo, exec_lo, s0
	s_and_saveexec_b32 s0, s17
	s_cbranch_execnz .LBB918_225
.LBB918_140:
	s_or_b32 exec_lo, exec_lo, s0
	s_and_saveexec_b32 s0, s18
	s_cbranch_execz .LBB918_142
.LBB918_141:
	v_add_co_u32 v0, vcc_lo, 0x7000, v0
	v_add_co_ci_u32_e32 v1, vcc_lo, 0, v1, vcc_lo
	flat_store_b64 v[0:1], v[4:5] offset:2048
.LBB918_142:
	s_or_b32 exec_lo, exec_lo, s0
                                        ; implicit-def: $vgpr47
                                        ; implicit-def: $vgpr0
                                        ; implicit-def: $vgpr1
                                        ; implicit-def: $vgpr2
                                        ; implicit-def: $vgpr3
                                        ; implicit-def: $vgpr4
                                        ; implicit-def: $vgpr5
                                        ; implicit-def: $vgpr6
                                        ; implicit-def: $vgpr7
                                        ; implicit-def: $vgpr8
                                        ; implicit-def: $vgpr10
                                        ; implicit-def: $vgpr11
                                        ; implicit-def: $vgpr12
                                        ; implicit-def: $vgpr13
                                        ; implicit-def: $vgpr14
                                        ; implicit-def: $vgpr15
                                        ; implicit-def: $vgpr26
                                        ; implicit-def: $vgpr35
.LBB918_143:
	s_and_not1_saveexec_b32 s0, s25
	s_cbranch_execz .LBB918_372
; %bb.144:
	s_mov_b32 s0, exec_lo
	v_cmpx_lt_u32_e32 0x400, v47
	s_xor_b32 s19, exec_lo, s0
	s_cbranch_execz .LBB918_252
; %bb.145:
	s_load_b64 s[0:1], s[8:9], 0x0
	v_mov_b32_e32 v9, 0
	s_mov_b32 s4, 0x80008000
	s_delay_alu instid0(SALU_CYCLE_1)
	s_mov_b32 s5, s4
	s_mov_b32 s6, s4
	;; [unrolled: 1-line block ×3, first 2 shown]
	s_waitcnt lgkmcnt(0)
	s_cmp_lt_u32 s13, s1
	s_cselect_b32 s1, 14, 20
	s_delay_alu instid0(SALU_CYCLE_1) | instskip(SKIP_4) | instid1(SALU_CYCLE_1)
	s_add_u32 s2, s8, s1
	s_addc_u32 s3, s9, 0
	s_cmp_lt_u32 s12, s0
	global_load_u16 v16, v9, s[2:3]
	s_cselect_b32 s0, 12, 18
	s_add_u32 s0, s8, s0
	s_addc_u32 s1, s9, 0
	global_load_u16 v17, v9, s[0:1]
	s_waitcnt vmcnt(1)
	v_mad_u32_u24 v14, v15, v16, v14
	s_waitcnt vmcnt(0)
	s_delay_alu instid0(VALU_DEP_1) | instskip(SKIP_2) | instid1(VALU_DEP_3)
	v_mad_u64_u32 v[27:28], null, v14, v17, v[26:27]
	v_lshlrev_b32_e32 v14, 1, v35
	v_lshlrev_b64 v[29:30], 1, v[8:9]
	v_lshlrev_b32_e32 v15, 3, v27
	s_delay_alu instid0(VALU_DEP_1) | instskip(NEXT) | instid1(VALU_DEP_3)
	v_dual_mov_b32 v19, v9 :: v_dual_and_b32 v18, 0xffffff00, v15
	v_add_co_u32 v15, vcc_lo, v0, v29
	s_delay_alu instid0(VALU_DEP_4) | instskip(NEXT) | instid1(VALU_DEP_3)
	v_add_co_ci_u32_e32 v16, vcc_lo, v1, v30, vcc_lo
	v_lshlrev_b64 v[0:1], 1, v[18:19]
	s_delay_alu instid0(VALU_DEP_3) | instskip(NEXT) | instid1(VALU_DEP_3)
	v_add_co_u32 v14, vcc_lo, v15, v14
	v_add_co_ci_u32_e32 v15, vcc_lo, 0, v16, vcc_lo
	v_or_b32_e32 v20, v18, v35
	s_delay_alu instid0(VALU_DEP_3) | instskip(NEXT) | instid1(VALU_DEP_1)
	v_add_co_u32 v0, s0, v14, v0
	v_add_co_ci_u32_e64 v1, s0, v15, v1, s0
	v_dual_mov_b32 v17, s7 :: v_dual_mov_b32 v14, s4
	s_delay_alu instid0(VALU_DEP_4)
	v_cmp_lt_u32_e32 vcc_lo, v20, v47
	v_dual_mov_b32 v16, s6 :: v_dual_mov_b32 v15, s5
	s_and_saveexec_b32 s0, vcc_lo
	s_cbranch_execz .LBB918_147
; %bb.146:
	v_bfrev_b32_e32 v14, 1
	v_mov_b32_e32 v15, 0x80008000
	flat_load_d16_b16 v14, v[0:1]
	v_mov_b32_e32 v16, v15
	v_mov_b32_e32 v17, v15
.LBB918_147:
	s_or_b32 exec_lo, exec_lo, s0
	v_or_b32_e32 v21, 32, v20
	s_delay_alu instid0(VALU_DEP_1) | instskip(NEXT) | instid1(VALU_DEP_1)
	v_cmp_lt_u32_e64 s0, v21, v47
	s_and_saveexec_b32 s1, s0
	s_cbranch_execz .LBB918_149
; %bb.148:
	s_waitcnt vmcnt(0) lgkmcnt(0)
	flat_load_d16_hi_b16 v14, v[0:1] offset:64
.LBB918_149:
	s_or_b32 exec_lo, exec_lo, s1
	v_or_b32_e32 v21, 64, v20
	s_delay_alu instid0(VALU_DEP_1) | instskip(NEXT) | instid1(VALU_DEP_1)
	v_cmp_lt_u32_e64 s1, v21, v47
	s_and_saveexec_b32 s2, s1
	s_cbranch_execz .LBB918_151
; %bb.150:
	flat_load_d16_b16 v15, v[0:1] offset:128
.LBB918_151:
	s_or_b32 exec_lo, exec_lo, s2
	v_or_b32_e32 v21, 0x60, v20
	s_delay_alu instid0(VALU_DEP_1) | instskip(NEXT) | instid1(VALU_DEP_1)
	v_cmp_lt_u32_e64 s2, v21, v47
	s_and_saveexec_b32 s3, s2
	s_cbranch_execz .LBB918_153
; %bb.152:
	s_waitcnt vmcnt(0) lgkmcnt(0)
	flat_load_d16_hi_b16 v15, v[0:1] offset:192
.LBB918_153:
	s_or_b32 exec_lo, exec_lo, s3
	v_or_b32_e32 v21, 0x80, v20
	s_delay_alu instid0(VALU_DEP_1) | instskip(NEXT) | instid1(VALU_DEP_1)
	v_cmp_lt_u32_e64 s3, v21, v47
	s_and_saveexec_b32 s4, s3
	s_cbranch_execz .LBB918_155
; %bb.154:
	flat_load_d16_b16 v16, v[0:1] offset:256
.LBB918_155:
	;; [unrolled: 19-line block ×3, first 2 shown]
	s_or_b32 exec_lo, exec_lo, s6
	v_or_b32_e32 v20, 0xe0, v20
	s_delay_alu instid0(VALU_DEP_1) | instskip(NEXT) | instid1(VALU_DEP_1)
	v_cmp_lt_u32_e64 s6, v20, v47
	s_and_saveexec_b32 s7, s6
	s_cbranch_execz .LBB918_161
; %bb.160:
	s_waitcnt vmcnt(0) lgkmcnt(0)
	flat_load_d16_hi_b16 v17, v[0:1] offset:448
.LBB918_161:
	s_or_b32 exec_lo, exec_lo, s7
	v_lshlrev_b64 v[0:1], 3, v[8:9]
	v_lshlrev_b32_e32 v8, 3, v35
	s_delay_alu instid0(VALU_DEP_2) | instskip(NEXT) | instid1(VALU_DEP_1)
	v_add_co_u32 v9, s7, v4, v0
	v_add_co_ci_u32_e64 v20, s7, v5, v1, s7
	v_lshlrev_b64 v[4:5], 3, v[18:19]
	s_delay_alu instid0(VALU_DEP_3) | instskip(NEXT) | instid1(VALU_DEP_1)
	v_add_co_u32 v8, s7, v9, v8
	v_add_co_ci_u32_e64 v9, s7, 0, v20, s7
                                        ; implicit-def: $vgpr18_vgpr19
	s_delay_alu instid0(VALU_DEP_2) | instskip(NEXT) | instid1(VALU_DEP_1)
	v_add_co_u32 v4, s7, v8, v4
	v_add_co_ci_u32_e64 v5, s7, v9, v5, s7
	s_and_saveexec_b32 s7, vcc_lo
	s_cbranch_execnz .LBB918_285
; %bb.162:
	s_or_b32 exec_lo, exec_lo, s7
                                        ; implicit-def: $vgpr20_vgpr21
	s_and_saveexec_b32 s7, s0
	s_cbranch_execnz .LBB918_286
.LBB918_163:
	s_or_b32 exec_lo, exec_lo, s7
                                        ; implicit-def: $vgpr22_vgpr23
	s_and_saveexec_b32 s0, s1
	s_cbranch_execnz .LBB918_287
.LBB918_164:
	s_or_b32 exec_lo, exec_lo, s0
                                        ; implicit-def: $vgpr24_vgpr25
	s_and_saveexec_b32 s0, s2
	s_cbranch_execnz .LBB918_288
.LBB918_165:
	s_or_b32 exec_lo, exec_lo, s0
                                        ; implicit-def: $vgpr84_vgpr85
	s_and_saveexec_b32 s0, s3
	s_cbranch_execnz .LBB918_289
.LBB918_166:
	s_or_b32 exec_lo, exec_lo, s0
                                        ; implicit-def: $vgpr86_vgpr87
	s_and_saveexec_b32 s0, s4
	s_cbranch_execnz .LBB918_290
.LBB918_167:
	s_or_b32 exec_lo, exec_lo, s0
                                        ; implicit-def: $vgpr96_vgpr97
	s_and_saveexec_b32 s0, s5
	s_cbranch_execnz .LBB918_291
.LBB918_168:
	s_or_b32 exec_lo, exec_lo, s0
                                        ; implicit-def: $vgpr98_vgpr99
	s_and_saveexec_b32 s0, s6
	s_cbranch_execz .LBB918_170
.LBB918_169:
	flat_load_b64 v[98:99], v[4:5] offset:1792
.LBB918_170:
	s_or_b32 exec_lo, exec_lo, s0
	v_dual_mov_b32 v5, 0 :: v_dual_lshlrev_b32 v4, 5, v26
	v_add_co_u32 v28, vcc_lo, v12, 32
	s_waitcnt vmcnt(0) lgkmcnt(0)
	v_xor_b32_e32 v113, 0x7fff7fff, v17
	v_and_b32_e32 v17, 0x3e0, v26
	v_add_co_ci_u32_e32 v39, vcc_lo, 0, v13, vcc_lo
	s_mov_b32 s20, 0
	v_add_co_u32 v8, vcc_lo, v12, v4
	s_mov_b32 s21, s20
	s_mov_b32 s22, s20
	;; [unrolled: 1-line block ×3, first 2 shown]
	v_add_nc_u32_e32 v33, -1, v35
	v_add_co_ci_u32_e32 v9, vcc_lo, 0, v13, vcc_lo
	v_add_co_u32 v31, vcc_lo, v28, v4
	v_min_u32_e32 v4, 0xe0, v17
	v_and_b32_e32 v17, 16, v35
	v_xor_b32_e32 v103, 0x7fff7fff, v16
	v_and_b32_e32 v16, 15, v35
	v_cmp_gt_i32_e64 s4, 0, v33
	v_or_b32_e32 v4, 31, v4
	v_cmp_eq_u32_e64 s3, 0, v17
	v_lshrrev_b32_e32 v17, 5, v26
	s_getpc_b64 s[0:1]
	s_add_u32 s0, s0, _ZN7rocprim17ROCPRIM_400000_NS16block_radix_sortIsLj256ELj8ElLj1ELj1ELj8ELNS0_26block_radix_rank_algorithmE2ELNS0_18block_padding_hintE2ELNS0_4arch9wavefront6targetE0EE19radix_bits_per_passE@rel32@lo+4
	s_addc_u32 s1, s1, _ZN7rocprim17ROCPRIM_400000_NS16block_radix_sortIsLj256ELj8ElLj1ELj1ELj8ELNS0_26block_radix_rank_algorithmE2ELNS0_18block_padding_hintE2ELNS0_4arch9wavefront6targetE0EE19radix_bits_per_passE@rel32@hi+12
	v_xor_b32_e32 v101, 0x7fff7fff, v15
	v_lshlrev_b32_e32 v15, 3, v26
	v_add_co_ci_u32_e32 v32, vcc_lo, 0, v39, vcc_lo
	s_load_b32 s25, s[0:1], 0x0
	v_cmp_eq_u32_e32 vcc_lo, 0, v16
	v_cmp_lt_u32_e64 s0, 1, v16
	v_cmp_lt_u32_e64 s1, 3, v16
	;; [unrolled: 1-line block ×3, first 2 shown]
	v_cndmask_b32_e64 v16, v33, v35, s4
	v_cmp_eq_u32_e64 s4, v4, v26
	v_lshlrev_b32_e32 v4, 2, v17
	v_and_or_b32 v52, 0x1f00, v15, v35
	v_and_b32_e32 v37, 7, v35
	v_lshlrev_b32_e32 v162, 2, v16
	v_lshlrev_b32_e32 v16, 2, v26
	v_add_co_u32 v33, s11, v12, v4
	v_add_nc_u32_e32 v4, -1, v17
	v_lshlrev_b32_e32 v17, 1, v52
	v_add_co_ci_u32_e64 v34, s11, 0, v13, s11
	v_cmp_eq_u32_e64 s7, 0, v35
	v_add_co_u32 v35, s11, v12, v16
	s_delay_alu instid0(VALU_DEP_1)
	v_add_co_ci_u32_e64 v36, s11, 0, v13, s11
	v_cmp_eq_u32_e64 s11, 0, v37
	v_cmp_lt_u32_e64 s14, 1, v37
	v_cmp_lt_u32_e64 s15, 3, v37
	v_add_co_u32 v37, s16, v12, v17
	v_lshlrev_b64 v[15:16], 2, v[4:5]
	v_add_co_ci_u32_e64 v38, s16, 0, v13, s16
	v_xor_b32_e32 v164, 0x7fff7fff, v14
	v_lshrrev_b32_e32 v135, 5, v27
	v_cmp_gt_u32_e64 s5, 8, v26
	v_add_co_u32 v48, s16, v12, v15
	v_mad_u64_u32 v[50:51], null, v52, 6, v[37:38]
	v_add_co_ci_u32_e64 v49, s16, v13, v16, s16
	v_dual_mov_b32 v14, s20 :: v_dual_mov_b32 v17, s23
	v_cmp_lt_u32_e64 s6, 31, v26
	v_cmp_eq_u32_e64 s10, 0, v26
	v_sub_nc_u32_e32 v163, v11, v10
	v_dual_mov_b32 v15, s21 :: v_dual_mov_b32 v16, s22
	s_waitcnt lgkmcnt(0)
	s_waitcnt_vscnt null, 0x0
	s_barrier
	buffer_gl0_inv
	s_branch .LBB918_172
.LBB918_171:                            ;   in Loop: Header=BB918_172 Depth=1
	s_or_b32 exec_lo, exec_lo, s17
	s_delay_alu instid0(SALU_CYCLE_1) | instskip(NEXT) | instid1(SALU_CYCLE_1)
	s_and_b32 s16, exec_lo, s18
	s_or_b32 s20, s16, s20
	s_delay_alu instid0(SALU_CYCLE_1)
	s_and_not1_b32 exec_lo, exec_lo, s20
	s_cbranch_execz .LBB918_226
.LBB918_172:                            ; =>This Inner Loop Header: Depth=1
	v_min_u32_e32 v4, s25, v163
	v_dual_mov_b32 v165, v113 :: v_dual_and_b32 v52, 0xffff, v164
	s_clause 0x1
	flat_store_b128 v[8:9], v[14:17] offset:32
	flat_store_b128 v[31:32], v[14:17] offset:16
	s_waitcnt lgkmcnt(0)
	s_waitcnt_vscnt null, 0x0
	v_lshlrev_b32_e64 v4, v4, -1
	v_lshrrev_b32_e32 v52, v10, v52
	s_barrier
	buffer_gl0_inv
	v_not_b32_e32 v114, v4
	; wave barrier
	v_mov_b32_e32 v167, v101
	v_mov_b32_e32 v83, v19
	s_delay_alu instid0(VALU_DEP_3) | instskip(SKIP_3) | instid1(VALU_DEP_4)
	v_dual_mov_b32 v81, v21 :: v_dual_and_b32 v4, v52, v114
	v_mov_b32_e32 v166, v103
	v_mov_b32_e32 v82, v18
	v_dual_mov_b32 v80, v20 :: v_dual_mov_b32 v71, v25
	v_lshlrev_b32_e32 v53, 30, v4
	v_and_b32_e32 v52, 1, v4
	v_lshlrev_b32_e32 v54, 29, v4
	v_lshlrev_b32_e32 v55, 28, v4
	;; [unrolled: 1-line block ×3, first 2 shown]
	v_not_b32_e32 v68, v53
	v_add_co_u32 v52, s16, v52, -1
	s_delay_alu instid0(VALU_DEP_1)
	v_cndmask_b32_e64 v64, 0, 1, s16
	v_cmp_gt_i32_e64 s17, 0, v53
	v_not_b32_e32 v53, v54
	v_ashrrev_i32_e32 v68, 31, v68
	v_lshlrev_b32_e32 v66, 26, v4
	v_cmp_ne_u32_e64 s16, 0, v64
	v_lshlrev_b32_e32 v64, 24, v4
	v_ashrrev_i32_e32 v53, 31, v53
	v_xor_b32_e32 v68, s17, v68
	v_cmp_gt_i32_e64 s17, 0, v55
	v_xor_b32_e32 v52, s16, v52
	v_cmp_gt_i32_e64 s16, 0, v54
	v_not_b32_e32 v54, v55
	v_not_b32_e32 v55, v65
	v_lshlrev_b32_e32 v67, 25, v4
	v_and_b32_e32 v52, exec_lo, v52
	v_xor_b32_e32 v53, s16, v53
	v_ashrrev_i32_e32 v54, 31, v54
	v_cmp_gt_i32_e64 s16, 0, v65
	v_not_b32_e32 v65, v66
	v_and_b32_e32 v52, v52, v68
	v_ashrrev_i32_e32 v55, 31, v55
	v_xor_b32_e32 v54, s17, v54
	v_cmp_gt_i32_e64 s17, 0, v66
	v_ashrrev_i32_e32 v65, 31, v65
	v_and_b32_e32 v52, v52, v53
	v_xor_b32_e32 v55, s16, v55
	v_mov_b32_e32 v70, v24
	v_mov_b32_e32 v68, v84
	v_xor_b32_e32 v65, s17, v65
	v_and_b32_e32 v52, v52, v54
	v_not_b32_e32 v54, v64
	v_cmp_gt_i32_e64 s17, 0, v64
	s_delay_alu instid0(VALU_DEP_3) | instskip(NEXT) | instid1(VALU_DEP_3)
	v_dual_mov_b32 v69, v85 :: v_dual_and_b32 v52, v52, v55
	v_ashrrev_i32_e32 v54, 31, v54
	s_delay_alu instid0(VALU_DEP_2)
	v_dual_mov_b32 v65, v23 :: v_dual_and_b32 v52, v52, v65
	v_mov_b32_e32 v64, v22
	v_not_b32_e32 v53, v67
	v_cmp_gt_i32_e64 s16, 0, v67
	v_xor_b32_e32 v18, s17, v54
	v_dual_mov_b32 v54, v98 :: v_dual_mov_b32 v55, v99
	s_delay_alu instid0(VALU_DEP_4) | instskip(SKIP_1) | instid1(VALU_DEP_2)
	v_ashrrev_i32_e32 v53, 31, v53
	v_dual_mov_b32 v66, v86 :: v_dual_mov_b32 v67, v87
	v_xor_b32_e32 v53, s16, v53
	s_delay_alu instid0(VALU_DEP_1) | instskip(SKIP_1) | instid1(VALU_DEP_2)
	v_and_b32_e32 v19, v52, v53
	v_dual_mov_b32 v52, v96 :: v_dual_mov_b32 v53, v97
	v_and_b32_e32 v18, v19, v18
	v_lshlrev_b32_e32 v19, 3, v4
	s_delay_alu instid0(VALU_DEP_2) | instskip(NEXT) | instid1(VALU_DEP_2)
	v_mbcnt_lo_u32_b32 v4, v18, 0
	v_add_lshl_u32 v19, v19, v135, 2
	v_cmp_ne_u32_e64 s16, 0, v18
	s_delay_alu instid0(VALU_DEP_3) | instskip(NEXT) | instid1(VALU_DEP_3)
	v_cmp_eq_u32_e64 s17, 0, v4
	v_add_co_u32 v84, s18, v28, v19
	s_delay_alu instid0(VALU_DEP_1) | instskip(NEXT) | instid1(VALU_DEP_3)
	v_add_co_ci_u32_e64 v85, s18, 0, v39, s18
	s_and_b32 s17, s16, s17
	s_delay_alu instid0(SALU_CYCLE_1)
	s_and_saveexec_b32 s16, s17
	s_cbranch_execz .LBB918_174
; %bb.173:                              ;   in Loop: Header=BB918_172 Depth=1
	v_bcnt_u32_b32 v18, v18, 0
	flat_store_b32 v[84:85], v18
.LBB918_174:                            ;   in Loop: Header=BB918_172 Depth=1
	s_or_b32 exec_lo, exec_lo, s16
	v_lshrrev_b32_e32 v176, 16, v164
	; wave barrier
	s_delay_alu instid0(VALU_DEP_1) | instskip(NEXT) | instid1(VALU_DEP_1)
	v_lshrrev_b32_e32 v18, v10, v176
	v_and_b32_e32 v18, v18, v114
	s_delay_alu instid0(VALU_DEP_1) | instskip(SKIP_3) | instid1(VALU_DEP_4)
	v_lshlrev_b32_e32 v19, 3, v18
	v_lshlrev_b32_e32 v21, 30, v18
	;; [unrolled: 1-line block ×4, first 2 shown]
	v_add_lshl_u32 v19, v19, v135, 2
	s_delay_alu instid0(VALU_DEP_1) | instskip(NEXT) | instid1(VALU_DEP_1)
	v_add_co_u32 v86, s16, v28, v19
	v_add_co_ci_u32_e64 v87, s16, 0, v39, s16
	v_and_b32_e32 v19, 1, v18
	flat_load_b32 v116, v[86:87]
	v_add_co_u32 v19, s16, v19, -1
	s_delay_alu instid0(VALU_DEP_1) | instskip(NEXT) | instid1(VALU_DEP_1)
	v_cndmask_b32_e64 v20, 0, 1, s16
	; wave barrier
	v_cmp_ne_u32_e64 s16, 0, v20
	v_not_b32_e32 v20, v21
	s_delay_alu instid0(VALU_DEP_2) | instskip(SKIP_1) | instid1(VALU_DEP_3)
	v_xor_b32_e32 v19, s16, v19
	v_cmp_gt_i32_e64 s16, 0, v21
	v_ashrrev_i32_e32 v20, 31, v20
	v_not_b32_e32 v21, v22
	s_delay_alu instid0(VALU_DEP_4) | instskip(NEXT) | instid1(VALU_DEP_3)
	v_and_b32_e32 v19, exec_lo, v19
	v_xor_b32_e32 v20, s16, v20
	v_cmp_gt_i32_e64 s16, 0, v22
	s_delay_alu instid0(VALU_DEP_4) | instskip(SKIP_1) | instid1(VALU_DEP_4)
	v_ashrrev_i32_e32 v21, 31, v21
	v_not_b32_e32 v22, v23
	v_and_b32_e32 v19, v19, v20
	v_lshlrev_b32_e32 v20, 27, v18
	s_delay_alu instid0(VALU_DEP_4) | instskip(SKIP_2) | instid1(VALU_DEP_4)
	v_xor_b32_e32 v21, s16, v21
	v_cmp_gt_i32_e64 s16, 0, v23
	v_ashrrev_i32_e32 v22, 31, v22
	v_not_b32_e32 v23, v20
	s_delay_alu instid0(VALU_DEP_4) | instskip(SKIP_1) | instid1(VALU_DEP_4)
	v_and_b32_e32 v19, v19, v21
	v_lshlrev_b32_e32 v21, 26, v18
	v_xor_b32_e32 v22, s16, v22
	v_cmp_gt_i32_e64 s16, 0, v20
	v_ashrrev_i32_e32 v20, 31, v23
	s_delay_alu instid0(VALU_DEP_4) | instskip(NEXT) | instid1(VALU_DEP_4)
	v_not_b32_e32 v23, v21
	v_and_b32_e32 v19, v19, v22
	v_lshlrev_b32_e32 v22, 25, v18
	s_delay_alu instid0(VALU_DEP_4)
	v_xor_b32_e32 v20, s16, v20
	v_cmp_gt_i32_e64 s16, 0, v21
	v_ashrrev_i32_e32 v21, 31, v23
	v_lshlrev_b32_e32 v18, 24, v18
	v_not_b32_e32 v23, v22
	v_and_b32_e32 v19, v19, v20
	s_delay_alu instid0(VALU_DEP_4) | instskip(SKIP_1) | instid1(VALU_DEP_4)
	v_xor_b32_e32 v20, s16, v21
	v_cmp_gt_i32_e64 s16, 0, v22
	v_ashrrev_i32_e32 v21, 31, v23
	v_not_b32_e32 v22, v18
	s_delay_alu instid0(VALU_DEP_4) | instskip(NEXT) | instid1(VALU_DEP_3)
	v_and_b32_e32 v19, v19, v20
	v_xor_b32_e32 v20, s16, v21
	v_cmp_gt_i32_e64 s16, 0, v18
	s_delay_alu instid0(VALU_DEP_4) | instskip(NEXT) | instid1(VALU_DEP_3)
	v_ashrrev_i32_e32 v18, 31, v22
	v_and_b32_e32 v19, v19, v20
	s_delay_alu instid0(VALU_DEP_2) | instskip(NEXT) | instid1(VALU_DEP_1)
	v_xor_b32_e32 v18, s16, v18
	v_and_b32_e32 v18, v19, v18
	s_delay_alu instid0(VALU_DEP_1) | instskip(SKIP_1) | instid1(VALU_DEP_2)
	v_mbcnt_lo_u32_b32 v118, v18, 0
	v_cmp_ne_u32_e64 s17, 0, v18
	v_cmp_eq_u32_e64 s16, 0, v118
	s_delay_alu instid0(VALU_DEP_1) | instskip(NEXT) | instid1(SALU_CYCLE_1)
	s_and_b32 s17, s17, s16
	s_and_saveexec_b32 s16, s17
	s_cbranch_execz .LBB918_176
; %bb.175:                              ;   in Loop: Header=BB918_172 Depth=1
	s_waitcnt vmcnt(0) lgkmcnt(0)
	v_bcnt_u32_b32 v18, v18, v116
	flat_store_b32 v[86:87], v18
.LBB918_176:                            ;   in Loop: Header=BB918_172 Depth=1
	s_or_b32 exec_lo, exec_lo, s16
	v_and_b32_e32 v18, 0xffff, v167
	; wave barrier
	s_delay_alu instid0(VALU_DEP_1) | instskip(NEXT) | instid1(VALU_DEP_1)
	v_lshrrev_b32_e32 v18, v10, v18
	v_and_b32_e32 v18, v18, v114
	s_delay_alu instid0(VALU_DEP_1) | instskip(SKIP_3) | instid1(VALU_DEP_4)
	v_lshlrev_b32_e32 v19, 3, v18
	v_lshlrev_b32_e32 v21, 30, v18
	;; [unrolled: 1-line block ×4, first 2 shown]
	v_add_lshl_u32 v19, v19, v135, 2
	s_delay_alu instid0(VALU_DEP_1) | instskip(NEXT) | instid1(VALU_DEP_1)
	v_add_co_u32 v96, s16, v28, v19
	v_add_co_ci_u32_e64 v97, s16, 0, v39, s16
	v_and_b32_e32 v19, 1, v18
	flat_load_b32 v128, v[96:97]
	v_add_co_u32 v19, s16, v19, -1
	s_delay_alu instid0(VALU_DEP_1) | instskip(NEXT) | instid1(VALU_DEP_1)
	v_cndmask_b32_e64 v20, 0, 1, s16
	; wave barrier
	v_cmp_ne_u32_e64 s16, 0, v20
	v_not_b32_e32 v20, v21
	s_delay_alu instid0(VALU_DEP_2) | instskip(SKIP_1) | instid1(VALU_DEP_3)
	v_xor_b32_e32 v19, s16, v19
	v_cmp_gt_i32_e64 s16, 0, v21
	v_ashrrev_i32_e32 v20, 31, v20
	v_not_b32_e32 v21, v22
	s_delay_alu instid0(VALU_DEP_4) | instskip(NEXT) | instid1(VALU_DEP_3)
	v_and_b32_e32 v19, exec_lo, v19
	v_xor_b32_e32 v20, s16, v20
	v_cmp_gt_i32_e64 s16, 0, v22
	s_delay_alu instid0(VALU_DEP_4) | instskip(SKIP_1) | instid1(VALU_DEP_4)
	v_ashrrev_i32_e32 v21, 31, v21
	v_not_b32_e32 v22, v23
	v_and_b32_e32 v19, v19, v20
	v_lshlrev_b32_e32 v20, 27, v18
	s_delay_alu instid0(VALU_DEP_4) | instskip(SKIP_2) | instid1(VALU_DEP_4)
	v_xor_b32_e32 v21, s16, v21
	v_cmp_gt_i32_e64 s16, 0, v23
	v_ashrrev_i32_e32 v22, 31, v22
	v_not_b32_e32 v23, v20
	s_delay_alu instid0(VALU_DEP_4) | instskip(SKIP_1) | instid1(VALU_DEP_4)
	v_and_b32_e32 v19, v19, v21
	v_lshlrev_b32_e32 v21, 26, v18
	v_xor_b32_e32 v22, s16, v22
	v_cmp_gt_i32_e64 s16, 0, v20
	v_ashrrev_i32_e32 v20, 31, v23
	s_delay_alu instid0(VALU_DEP_4) | instskip(NEXT) | instid1(VALU_DEP_4)
	v_not_b32_e32 v23, v21
	v_and_b32_e32 v19, v19, v22
	v_lshlrev_b32_e32 v22, 25, v18
	s_delay_alu instid0(VALU_DEP_4)
	v_xor_b32_e32 v20, s16, v20
	v_cmp_gt_i32_e64 s16, 0, v21
	v_ashrrev_i32_e32 v21, 31, v23
	v_lshlrev_b32_e32 v18, 24, v18
	v_not_b32_e32 v23, v22
	v_and_b32_e32 v19, v19, v20
	s_delay_alu instid0(VALU_DEP_4) | instskip(SKIP_1) | instid1(VALU_DEP_4)
	v_xor_b32_e32 v20, s16, v21
	v_cmp_gt_i32_e64 s16, 0, v22
	v_ashrrev_i32_e32 v21, 31, v23
	v_not_b32_e32 v22, v18
	s_delay_alu instid0(VALU_DEP_4) | instskip(NEXT) | instid1(VALU_DEP_3)
	v_and_b32_e32 v19, v19, v20
	v_xor_b32_e32 v20, s16, v21
	v_cmp_gt_i32_e64 s16, 0, v18
	s_delay_alu instid0(VALU_DEP_4) | instskip(NEXT) | instid1(VALU_DEP_3)
	v_ashrrev_i32_e32 v18, 31, v22
	v_and_b32_e32 v19, v19, v20
	s_delay_alu instid0(VALU_DEP_2) | instskip(NEXT) | instid1(VALU_DEP_1)
	v_xor_b32_e32 v18, s16, v18
	v_and_b32_e32 v18, v19, v18
	s_delay_alu instid0(VALU_DEP_1) | instskip(SKIP_1) | instid1(VALU_DEP_2)
	v_mbcnt_lo_u32_b32 v130, v18, 0
	v_cmp_ne_u32_e64 s17, 0, v18
	v_cmp_eq_u32_e64 s16, 0, v130
	s_delay_alu instid0(VALU_DEP_1) | instskip(NEXT) | instid1(SALU_CYCLE_1)
	s_and_b32 s17, s17, s16
	s_and_saveexec_b32 s16, s17
	s_cbranch_execz .LBB918_178
; %bb.177:                              ;   in Loop: Header=BB918_172 Depth=1
	s_waitcnt vmcnt(0) lgkmcnt(0)
	v_bcnt_u32_b32 v18, v18, v128
	flat_store_b32 v[96:97], v18
.LBB918_178:                            ;   in Loop: Header=BB918_172 Depth=1
	s_or_b32 exec_lo, exec_lo, s16
	v_lshrrev_b32_e32 v177, 16, v167
	; wave barrier
	s_delay_alu instid0(VALU_DEP_1) | instskip(NEXT) | instid1(VALU_DEP_1)
	v_lshrrev_b32_e32 v18, v10, v177
	v_and_b32_e32 v18, v18, v114
	s_delay_alu instid0(VALU_DEP_1) | instskip(SKIP_3) | instid1(VALU_DEP_4)
	v_lshlrev_b32_e32 v19, 3, v18
	v_lshlrev_b32_e32 v21, 30, v18
	v_lshlrev_b32_e32 v22, 29, v18
	v_lshlrev_b32_e32 v23, 28, v18
	v_add_lshl_u32 v19, v19, v135, 2
	s_delay_alu instid0(VALU_DEP_1) | instskip(NEXT) | instid1(VALU_DEP_1)
	v_add_co_u32 v98, s16, v28, v19
	v_add_co_ci_u32_e64 v99, s16, 0, v39, s16
	v_and_b32_e32 v19, 1, v18
	flat_load_b32 v131, v[98:99]
	v_add_co_u32 v19, s16, v19, -1
	s_delay_alu instid0(VALU_DEP_1) | instskip(NEXT) | instid1(VALU_DEP_1)
	v_cndmask_b32_e64 v20, 0, 1, s16
	; wave barrier
	v_cmp_ne_u32_e64 s16, 0, v20
	v_not_b32_e32 v20, v21
	s_delay_alu instid0(VALU_DEP_2) | instskip(SKIP_1) | instid1(VALU_DEP_3)
	v_xor_b32_e32 v19, s16, v19
	v_cmp_gt_i32_e64 s16, 0, v21
	v_ashrrev_i32_e32 v20, 31, v20
	v_not_b32_e32 v21, v22
	s_delay_alu instid0(VALU_DEP_4) | instskip(NEXT) | instid1(VALU_DEP_3)
	v_and_b32_e32 v19, exec_lo, v19
	v_xor_b32_e32 v20, s16, v20
	v_cmp_gt_i32_e64 s16, 0, v22
	s_delay_alu instid0(VALU_DEP_4) | instskip(SKIP_1) | instid1(VALU_DEP_4)
	v_ashrrev_i32_e32 v21, 31, v21
	v_not_b32_e32 v22, v23
	v_and_b32_e32 v19, v19, v20
	v_lshlrev_b32_e32 v20, 27, v18
	s_delay_alu instid0(VALU_DEP_4) | instskip(SKIP_2) | instid1(VALU_DEP_4)
	v_xor_b32_e32 v21, s16, v21
	v_cmp_gt_i32_e64 s16, 0, v23
	v_ashrrev_i32_e32 v22, 31, v22
	v_not_b32_e32 v23, v20
	s_delay_alu instid0(VALU_DEP_4) | instskip(SKIP_1) | instid1(VALU_DEP_4)
	v_and_b32_e32 v19, v19, v21
	v_lshlrev_b32_e32 v21, 26, v18
	v_xor_b32_e32 v22, s16, v22
	v_cmp_gt_i32_e64 s16, 0, v20
	v_ashrrev_i32_e32 v20, 31, v23
	s_delay_alu instid0(VALU_DEP_4) | instskip(NEXT) | instid1(VALU_DEP_4)
	v_not_b32_e32 v23, v21
	v_and_b32_e32 v19, v19, v22
	v_lshlrev_b32_e32 v22, 25, v18
	s_delay_alu instid0(VALU_DEP_4)
	v_xor_b32_e32 v20, s16, v20
	v_cmp_gt_i32_e64 s16, 0, v21
	v_ashrrev_i32_e32 v21, 31, v23
	v_lshlrev_b32_e32 v18, 24, v18
	v_not_b32_e32 v23, v22
	v_and_b32_e32 v19, v19, v20
	s_delay_alu instid0(VALU_DEP_4) | instskip(SKIP_1) | instid1(VALU_DEP_4)
	v_xor_b32_e32 v20, s16, v21
	v_cmp_gt_i32_e64 s16, 0, v22
	v_ashrrev_i32_e32 v21, 31, v23
	v_not_b32_e32 v22, v18
	s_delay_alu instid0(VALU_DEP_4) | instskip(NEXT) | instid1(VALU_DEP_3)
	v_and_b32_e32 v19, v19, v20
	v_xor_b32_e32 v20, s16, v21
	v_cmp_gt_i32_e64 s16, 0, v18
	s_delay_alu instid0(VALU_DEP_4) | instskip(NEXT) | instid1(VALU_DEP_3)
	v_ashrrev_i32_e32 v18, 31, v22
	v_and_b32_e32 v19, v19, v20
	s_delay_alu instid0(VALU_DEP_2) | instskip(NEXT) | instid1(VALU_DEP_1)
	v_xor_b32_e32 v18, s16, v18
	v_and_b32_e32 v18, v19, v18
	s_delay_alu instid0(VALU_DEP_1) | instskip(SKIP_1) | instid1(VALU_DEP_2)
	v_mbcnt_lo_u32_b32 v132, v18, 0
	v_cmp_ne_u32_e64 s17, 0, v18
	v_cmp_eq_u32_e64 s16, 0, v132
	s_delay_alu instid0(VALU_DEP_1) | instskip(NEXT) | instid1(SALU_CYCLE_1)
	s_and_b32 s17, s17, s16
	s_and_saveexec_b32 s16, s17
	s_cbranch_execz .LBB918_180
; %bb.179:                              ;   in Loop: Header=BB918_172 Depth=1
	s_waitcnt vmcnt(0) lgkmcnt(0)
	v_bcnt_u32_b32 v18, v18, v131
	flat_store_b32 v[98:99], v18
.LBB918_180:                            ;   in Loop: Header=BB918_172 Depth=1
	s_or_b32 exec_lo, exec_lo, s16
	v_and_b32_e32 v18, 0xffff, v166
	; wave barrier
	s_delay_alu instid0(VALU_DEP_1) | instskip(NEXT) | instid1(VALU_DEP_1)
	v_lshrrev_b32_e32 v18, v10, v18
	v_and_b32_e32 v18, v18, v114
	s_delay_alu instid0(VALU_DEP_1) | instskip(SKIP_3) | instid1(VALU_DEP_4)
	v_lshlrev_b32_e32 v19, 3, v18
	v_lshlrev_b32_e32 v21, 30, v18
	;; [unrolled: 1-line block ×4, first 2 shown]
	v_add_lshl_u32 v19, v19, v135, 2
	s_delay_alu instid0(VALU_DEP_1) | instskip(NEXT) | instid1(VALU_DEP_1)
	v_add_co_u32 v100, s16, v28, v19
	v_add_co_ci_u32_e64 v101, s16, 0, v39, s16
	v_and_b32_e32 v19, 1, v18
	flat_load_b32 v133, v[100:101]
	v_add_co_u32 v19, s16, v19, -1
	s_delay_alu instid0(VALU_DEP_1) | instskip(NEXT) | instid1(VALU_DEP_1)
	v_cndmask_b32_e64 v20, 0, 1, s16
	; wave barrier
	v_cmp_ne_u32_e64 s16, 0, v20
	v_not_b32_e32 v20, v21
	s_delay_alu instid0(VALU_DEP_2) | instskip(SKIP_1) | instid1(VALU_DEP_3)
	v_xor_b32_e32 v19, s16, v19
	v_cmp_gt_i32_e64 s16, 0, v21
	v_ashrrev_i32_e32 v20, 31, v20
	v_not_b32_e32 v21, v22
	s_delay_alu instid0(VALU_DEP_4) | instskip(NEXT) | instid1(VALU_DEP_3)
	v_and_b32_e32 v19, exec_lo, v19
	v_xor_b32_e32 v20, s16, v20
	v_cmp_gt_i32_e64 s16, 0, v22
	s_delay_alu instid0(VALU_DEP_4) | instskip(SKIP_1) | instid1(VALU_DEP_4)
	v_ashrrev_i32_e32 v21, 31, v21
	v_not_b32_e32 v22, v23
	v_and_b32_e32 v19, v19, v20
	v_lshlrev_b32_e32 v20, 27, v18
	s_delay_alu instid0(VALU_DEP_4) | instskip(SKIP_2) | instid1(VALU_DEP_4)
	v_xor_b32_e32 v21, s16, v21
	v_cmp_gt_i32_e64 s16, 0, v23
	v_ashrrev_i32_e32 v22, 31, v22
	v_not_b32_e32 v23, v20
	s_delay_alu instid0(VALU_DEP_4) | instskip(SKIP_1) | instid1(VALU_DEP_4)
	v_and_b32_e32 v19, v19, v21
	v_lshlrev_b32_e32 v21, 26, v18
	v_xor_b32_e32 v22, s16, v22
	v_cmp_gt_i32_e64 s16, 0, v20
	v_ashrrev_i32_e32 v20, 31, v23
	s_delay_alu instid0(VALU_DEP_4) | instskip(NEXT) | instid1(VALU_DEP_4)
	v_not_b32_e32 v23, v21
	v_and_b32_e32 v19, v19, v22
	v_lshlrev_b32_e32 v22, 25, v18
	s_delay_alu instid0(VALU_DEP_4)
	v_xor_b32_e32 v20, s16, v20
	v_cmp_gt_i32_e64 s16, 0, v21
	v_ashrrev_i32_e32 v21, 31, v23
	v_lshlrev_b32_e32 v18, 24, v18
	v_not_b32_e32 v23, v22
	v_and_b32_e32 v19, v19, v20
	s_delay_alu instid0(VALU_DEP_4) | instskip(SKIP_1) | instid1(VALU_DEP_4)
	v_xor_b32_e32 v20, s16, v21
	v_cmp_gt_i32_e64 s16, 0, v22
	v_ashrrev_i32_e32 v21, 31, v23
	v_not_b32_e32 v22, v18
	s_delay_alu instid0(VALU_DEP_4) | instskip(NEXT) | instid1(VALU_DEP_3)
	v_and_b32_e32 v19, v19, v20
	v_xor_b32_e32 v20, s16, v21
	v_cmp_gt_i32_e64 s16, 0, v18
	s_delay_alu instid0(VALU_DEP_4) | instskip(NEXT) | instid1(VALU_DEP_3)
	v_ashrrev_i32_e32 v18, 31, v22
	v_and_b32_e32 v19, v19, v20
	s_delay_alu instid0(VALU_DEP_2) | instskip(NEXT) | instid1(VALU_DEP_1)
	v_xor_b32_e32 v18, s16, v18
	v_and_b32_e32 v18, v19, v18
	s_delay_alu instid0(VALU_DEP_1) | instskip(SKIP_1) | instid1(VALU_DEP_2)
	v_mbcnt_lo_u32_b32 v134, v18, 0
	v_cmp_ne_u32_e64 s17, 0, v18
	v_cmp_eq_u32_e64 s16, 0, v134
	s_delay_alu instid0(VALU_DEP_1) | instskip(NEXT) | instid1(SALU_CYCLE_1)
	s_and_b32 s17, s17, s16
	s_and_saveexec_b32 s16, s17
	s_cbranch_execz .LBB918_182
; %bb.181:                              ;   in Loop: Header=BB918_172 Depth=1
	s_waitcnt vmcnt(0) lgkmcnt(0)
	v_bcnt_u32_b32 v18, v18, v133
	flat_store_b32 v[100:101], v18
.LBB918_182:                            ;   in Loop: Header=BB918_172 Depth=1
	s_or_b32 exec_lo, exec_lo, s16
	v_lshrrev_b32_e32 v178, 16, v166
	; wave barrier
	s_delay_alu instid0(VALU_DEP_1) | instskip(NEXT) | instid1(VALU_DEP_1)
	v_lshrrev_b32_e32 v18, v10, v178
	v_and_b32_e32 v18, v18, v114
	s_delay_alu instid0(VALU_DEP_1) | instskip(SKIP_3) | instid1(VALU_DEP_4)
	v_lshlrev_b32_e32 v19, 3, v18
	v_lshlrev_b32_e32 v21, 30, v18
	;; [unrolled: 1-line block ×4, first 2 shown]
	v_add_lshl_u32 v19, v19, v135, 2
	s_delay_alu instid0(VALU_DEP_1) | instskip(NEXT) | instid1(VALU_DEP_1)
	v_add_co_u32 v102, s16, v28, v19
	v_add_co_ci_u32_e64 v103, s16, 0, v39, s16
	v_and_b32_e32 v19, 1, v18
	flat_load_b32 v144, v[102:103]
	v_add_co_u32 v19, s16, v19, -1
	s_delay_alu instid0(VALU_DEP_1) | instskip(NEXT) | instid1(VALU_DEP_1)
	v_cndmask_b32_e64 v20, 0, 1, s16
	; wave barrier
	v_cmp_ne_u32_e64 s16, 0, v20
	v_not_b32_e32 v20, v21
	s_delay_alu instid0(VALU_DEP_2) | instskip(SKIP_1) | instid1(VALU_DEP_3)
	v_xor_b32_e32 v19, s16, v19
	v_cmp_gt_i32_e64 s16, 0, v21
	v_ashrrev_i32_e32 v20, 31, v20
	v_not_b32_e32 v21, v22
	s_delay_alu instid0(VALU_DEP_4) | instskip(NEXT) | instid1(VALU_DEP_3)
	v_and_b32_e32 v19, exec_lo, v19
	v_xor_b32_e32 v20, s16, v20
	v_cmp_gt_i32_e64 s16, 0, v22
	s_delay_alu instid0(VALU_DEP_4) | instskip(SKIP_1) | instid1(VALU_DEP_4)
	v_ashrrev_i32_e32 v21, 31, v21
	v_not_b32_e32 v22, v23
	v_and_b32_e32 v19, v19, v20
	v_lshlrev_b32_e32 v20, 27, v18
	s_delay_alu instid0(VALU_DEP_4) | instskip(SKIP_2) | instid1(VALU_DEP_4)
	v_xor_b32_e32 v21, s16, v21
	v_cmp_gt_i32_e64 s16, 0, v23
	v_ashrrev_i32_e32 v22, 31, v22
	v_not_b32_e32 v23, v20
	s_delay_alu instid0(VALU_DEP_4) | instskip(SKIP_1) | instid1(VALU_DEP_4)
	v_and_b32_e32 v19, v19, v21
	v_lshlrev_b32_e32 v21, 26, v18
	v_xor_b32_e32 v22, s16, v22
	v_cmp_gt_i32_e64 s16, 0, v20
	v_ashrrev_i32_e32 v20, 31, v23
	s_delay_alu instid0(VALU_DEP_4) | instskip(NEXT) | instid1(VALU_DEP_4)
	v_not_b32_e32 v23, v21
	v_and_b32_e32 v19, v19, v22
	v_lshlrev_b32_e32 v22, 25, v18
	s_delay_alu instid0(VALU_DEP_4)
	v_xor_b32_e32 v20, s16, v20
	v_cmp_gt_i32_e64 s16, 0, v21
	v_ashrrev_i32_e32 v21, 31, v23
	v_lshlrev_b32_e32 v18, 24, v18
	v_not_b32_e32 v23, v22
	v_and_b32_e32 v19, v19, v20
	s_delay_alu instid0(VALU_DEP_4) | instskip(SKIP_1) | instid1(VALU_DEP_4)
	v_xor_b32_e32 v20, s16, v21
	v_cmp_gt_i32_e64 s16, 0, v22
	v_ashrrev_i32_e32 v21, 31, v23
	v_not_b32_e32 v22, v18
	s_delay_alu instid0(VALU_DEP_4) | instskip(NEXT) | instid1(VALU_DEP_3)
	v_and_b32_e32 v19, v19, v20
	v_xor_b32_e32 v20, s16, v21
	v_cmp_gt_i32_e64 s16, 0, v18
	s_delay_alu instid0(VALU_DEP_4) | instskip(NEXT) | instid1(VALU_DEP_3)
	v_ashrrev_i32_e32 v18, 31, v22
	v_and_b32_e32 v19, v19, v20
	s_delay_alu instid0(VALU_DEP_2) | instskip(NEXT) | instid1(VALU_DEP_1)
	v_xor_b32_e32 v18, s16, v18
	v_and_b32_e32 v18, v19, v18
	s_delay_alu instid0(VALU_DEP_1) | instskip(SKIP_1) | instid1(VALU_DEP_2)
	v_mbcnt_lo_u32_b32 v145, v18, 0
	v_cmp_ne_u32_e64 s17, 0, v18
	v_cmp_eq_u32_e64 s16, 0, v145
	s_delay_alu instid0(VALU_DEP_1) | instskip(NEXT) | instid1(SALU_CYCLE_1)
	s_and_b32 s17, s17, s16
	s_and_saveexec_b32 s16, s17
	s_cbranch_execz .LBB918_184
; %bb.183:                              ;   in Loop: Header=BB918_172 Depth=1
	s_waitcnt vmcnt(0) lgkmcnt(0)
	v_bcnt_u32_b32 v18, v18, v144
	flat_store_b32 v[102:103], v18
.LBB918_184:                            ;   in Loop: Header=BB918_172 Depth=1
	s_or_b32 exec_lo, exec_lo, s16
	v_and_b32_e32 v18, 0xffff, v165
	; wave barrier
	s_delay_alu instid0(VALU_DEP_1) | instskip(NEXT) | instid1(VALU_DEP_1)
	v_lshrrev_b32_e32 v18, v10, v18
	v_and_b32_e32 v18, v18, v114
	s_delay_alu instid0(VALU_DEP_1) | instskip(SKIP_3) | instid1(VALU_DEP_4)
	v_lshlrev_b32_e32 v19, 3, v18
	v_lshlrev_b32_e32 v21, 30, v18
	;; [unrolled: 1-line block ×4, first 2 shown]
	v_add_lshl_u32 v19, v19, v135, 2
	s_delay_alu instid0(VALU_DEP_1) | instskip(NEXT) | instid1(VALU_DEP_1)
	v_add_co_u32 v112, s16, v28, v19
	v_add_co_ci_u32_e64 v113, s16, 0, v39, s16
	v_and_b32_e32 v19, 1, v18
	flat_load_b32 v146, v[112:113]
	v_add_co_u32 v19, s16, v19, -1
	s_delay_alu instid0(VALU_DEP_1) | instskip(NEXT) | instid1(VALU_DEP_1)
	v_cndmask_b32_e64 v20, 0, 1, s16
	; wave barrier
	v_cmp_ne_u32_e64 s16, 0, v20
	v_not_b32_e32 v20, v21
	s_delay_alu instid0(VALU_DEP_2) | instskip(SKIP_1) | instid1(VALU_DEP_3)
	v_xor_b32_e32 v19, s16, v19
	v_cmp_gt_i32_e64 s16, 0, v21
	v_ashrrev_i32_e32 v20, 31, v20
	v_not_b32_e32 v21, v22
	s_delay_alu instid0(VALU_DEP_4) | instskip(NEXT) | instid1(VALU_DEP_3)
	v_and_b32_e32 v19, exec_lo, v19
	v_xor_b32_e32 v20, s16, v20
	v_cmp_gt_i32_e64 s16, 0, v22
	s_delay_alu instid0(VALU_DEP_4) | instskip(SKIP_1) | instid1(VALU_DEP_4)
	v_ashrrev_i32_e32 v21, 31, v21
	v_not_b32_e32 v22, v23
	v_and_b32_e32 v19, v19, v20
	v_lshlrev_b32_e32 v20, 27, v18
	s_delay_alu instid0(VALU_DEP_4) | instskip(SKIP_2) | instid1(VALU_DEP_4)
	v_xor_b32_e32 v21, s16, v21
	v_cmp_gt_i32_e64 s16, 0, v23
	v_ashrrev_i32_e32 v22, 31, v22
	v_not_b32_e32 v23, v20
	s_delay_alu instid0(VALU_DEP_4) | instskip(SKIP_1) | instid1(VALU_DEP_4)
	v_and_b32_e32 v19, v19, v21
	v_lshlrev_b32_e32 v21, 26, v18
	v_xor_b32_e32 v22, s16, v22
	v_cmp_gt_i32_e64 s16, 0, v20
	v_ashrrev_i32_e32 v20, 31, v23
	s_delay_alu instid0(VALU_DEP_4) | instskip(NEXT) | instid1(VALU_DEP_4)
	v_not_b32_e32 v23, v21
	v_and_b32_e32 v19, v19, v22
	v_lshlrev_b32_e32 v22, 25, v18
	s_delay_alu instid0(VALU_DEP_4)
	v_xor_b32_e32 v20, s16, v20
	v_cmp_gt_i32_e64 s16, 0, v21
	v_ashrrev_i32_e32 v21, 31, v23
	v_lshlrev_b32_e32 v18, 24, v18
	v_not_b32_e32 v23, v22
	v_and_b32_e32 v19, v19, v20
	s_delay_alu instid0(VALU_DEP_4) | instskip(SKIP_1) | instid1(VALU_DEP_4)
	v_xor_b32_e32 v20, s16, v21
	v_cmp_gt_i32_e64 s16, 0, v22
	v_ashrrev_i32_e32 v21, 31, v23
	v_not_b32_e32 v22, v18
	s_delay_alu instid0(VALU_DEP_4) | instskip(NEXT) | instid1(VALU_DEP_3)
	v_and_b32_e32 v19, v19, v20
	v_xor_b32_e32 v20, s16, v21
	v_cmp_gt_i32_e64 s16, 0, v18
	s_delay_alu instid0(VALU_DEP_4) | instskip(NEXT) | instid1(VALU_DEP_3)
	v_ashrrev_i32_e32 v18, 31, v22
	v_and_b32_e32 v19, v19, v20
	s_delay_alu instid0(VALU_DEP_2) | instskip(NEXT) | instid1(VALU_DEP_1)
	v_xor_b32_e32 v18, s16, v18
	v_and_b32_e32 v18, v19, v18
	s_delay_alu instid0(VALU_DEP_1) | instskip(SKIP_1) | instid1(VALU_DEP_2)
	v_mbcnt_lo_u32_b32 v147, v18, 0
	v_cmp_ne_u32_e64 s17, 0, v18
	v_cmp_eq_u32_e64 s16, 0, v147
	s_delay_alu instid0(VALU_DEP_1) | instskip(NEXT) | instid1(SALU_CYCLE_1)
	s_and_b32 s17, s17, s16
	s_and_saveexec_b32 s16, s17
	s_cbranch_execz .LBB918_186
; %bb.185:                              ;   in Loop: Header=BB918_172 Depth=1
	s_waitcnt vmcnt(0) lgkmcnt(0)
	v_bcnt_u32_b32 v18, v18, v146
	flat_store_b32 v[112:113], v18
.LBB918_186:                            ;   in Loop: Header=BB918_172 Depth=1
	s_or_b32 exec_lo, exec_lo, s16
	v_lshrrev_b32_e32 v179, 16, v165
	; wave barrier
	s_delay_alu instid0(VALU_DEP_1) | instskip(NEXT) | instid1(VALU_DEP_1)
	v_lshrrev_b32_e32 v18, v10, v179
	v_and_b32_e32 v18, v18, v114
	s_delay_alu instid0(VALU_DEP_1) | instskip(SKIP_3) | instid1(VALU_DEP_4)
	v_lshlrev_b32_e32 v19, 3, v18
	v_lshlrev_b32_e32 v21, 30, v18
	;; [unrolled: 1-line block ×4, first 2 shown]
	v_add_lshl_u32 v19, v19, v135, 2
	s_delay_alu instid0(VALU_DEP_1) | instskip(NEXT) | instid1(VALU_DEP_1)
	v_add_co_u32 v114, s16, v28, v19
	v_add_co_ci_u32_e64 v115, s16, 0, v39, s16
	v_and_b32_e32 v19, 1, v18
	flat_load_b32 v148, v[114:115]
	v_add_co_u32 v19, s16, v19, -1
	s_delay_alu instid0(VALU_DEP_1) | instskip(NEXT) | instid1(VALU_DEP_1)
	v_cndmask_b32_e64 v20, 0, 1, s16
	; wave barrier
	v_cmp_ne_u32_e64 s16, 0, v20
	v_not_b32_e32 v20, v21
	s_delay_alu instid0(VALU_DEP_2) | instskip(SKIP_1) | instid1(VALU_DEP_3)
	v_xor_b32_e32 v19, s16, v19
	v_cmp_gt_i32_e64 s16, 0, v21
	v_ashrrev_i32_e32 v20, 31, v20
	v_not_b32_e32 v21, v22
	s_delay_alu instid0(VALU_DEP_4) | instskip(NEXT) | instid1(VALU_DEP_3)
	v_and_b32_e32 v19, exec_lo, v19
	v_xor_b32_e32 v20, s16, v20
	v_cmp_gt_i32_e64 s16, 0, v22
	s_delay_alu instid0(VALU_DEP_4) | instskip(SKIP_1) | instid1(VALU_DEP_4)
	v_ashrrev_i32_e32 v21, 31, v21
	v_not_b32_e32 v22, v23
	v_and_b32_e32 v19, v19, v20
	v_lshlrev_b32_e32 v20, 27, v18
	s_delay_alu instid0(VALU_DEP_4) | instskip(SKIP_2) | instid1(VALU_DEP_4)
	v_xor_b32_e32 v21, s16, v21
	v_cmp_gt_i32_e64 s16, 0, v23
	v_ashrrev_i32_e32 v22, 31, v22
	v_not_b32_e32 v23, v20
	s_delay_alu instid0(VALU_DEP_4) | instskip(SKIP_1) | instid1(VALU_DEP_4)
	v_and_b32_e32 v19, v19, v21
	v_lshlrev_b32_e32 v21, 26, v18
	v_xor_b32_e32 v22, s16, v22
	v_cmp_gt_i32_e64 s16, 0, v20
	v_ashrrev_i32_e32 v20, 31, v23
	s_delay_alu instid0(VALU_DEP_4) | instskip(NEXT) | instid1(VALU_DEP_4)
	v_not_b32_e32 v23, v21
	v_and_b32_e32 v19, v19, v22
	v_lshlrev_b32_e32 v22, 25, v18
	s_delay_alu instid0(VALU_DEP_4)
	v_xor_b32_e32 v20, s16, v20
	v_cmp_gt_i32_e64 s16, 0, v21
	v_ashrrev_i32_e32 v21, 31, v23
	v_lshlrev_b32_e32 v18, 24, v18
	v_not_b32_e32 v23, v22
	v_and_b32_e32 v19, v19, v20
	s_delay_alu instid0(VALU_DEP_4) | instskip(SKIP_1) | instid1(VALU_DEP_4)
	v_xor_b32_e32 v20, s16, v21
	v_cmp_gt_i32_e64 s16, 0, v22
	v_ashrrev_i32_e32 v21, 31, v23
	v_not_b32_e32 v22, v18
	s_delay_alu instid0(VALU_DEP_4) | instskip(NEXT) | instid1(VALU_DEP_3)
	v_and_b32_e32 v19, v19, v20
	v_xor_b32_e32 v20, s16, v21
	v_cmp_gt_i32_e64 s16, 0, v18
	s_delay_alu instid0(VALU_DEP_4) | instskip(NEXT) | instid1(VALU_DEP_3)
	v_ashrrev_i32_e32 v18, 31, v22
	v_and_b32_e32 v19, v19, v20
	s_delay_alu instid0(VALU_DEP_2) | instskip(NEXT) | instid1(VALU_DEP_1)
	v_xor_b32_e32 v18, s16, v18
	v_and_b32_e32 v18, v19, v18
	s_delay_alu instid0(VALU_DEP_1) | instskip(SKIP_1) | instid1(VALU_DEP_2)
	v_mbcnt_lo_u32_b32 v149, v18, 0
	v_cmp_ne_u32_e64 s17, 0, v18
	v_cmp_eq_u32_e64 s16, 0, v149
	s_delay_alu instid0(VALU_DEP_1) | instskip(NEXT) | instid1(SALU_CYCLE_1)
	s_and_b32 s17, s17, s16
	s_and_saveexec_b32 s16, s17
	s_cbranch_execz .LBB918_188
; %bb.187:                              ;   in Loop: Header=BB918_172 Depth=1
	s_waitcnt vmcnt(0) lgkmcnt(0)
	v_bcnt_u32_b32 v18, v18, v148
	flat_store_b32 v[114:115], v18
.LBB918_188:                            ;   in Loop: Header=BB918_172 Depth=1
	s_or_b32 exec_lo, exec_lo, s16
	; wave barrier
	s_waitcnt vmcnt(0) lgkmcnt(0)
	s_waitcnt_vscnt null, 0x0
	s_barrier
	buffer_gl0_inv
	s_clause 0x1
	flat_load_b128 v[22:25], v[8:9] offset:32
	flat_load_b128 v[18:21], v[31:32] offset:16
	s_waitcnt vmcnt(1) lgkmcnt(1)
	v_add_nc_u32_e32 v117, v23, v22
	s_delay_alu instid0(VALU_DEP_1) | instskip(SKIP_1) | instid1(VALU_DEP_1)
	v_add3_u32 v117, v117, v24, v25
	s_waitcnt vmcnt(0) lgkmcnt(0)
	v_add3_u32 v117, v117, v18, v19
	s_delay_alu instid0(VALU_DEP_1) | instskip(NEXT) | instid1(VALU_DEP_1)
	v_add3_u32 v21, v117, v20, v21
	v_mov_b32_dpp v117, v21 row_shr:1 row_mask:0xf bank_mask:0xf
	s_delay_alu instid0(VALU_DEP_1) | instskip(NEXT) | instid1(VALU_DEP_1)
	v_cndmask_b32_e64 v117, v117, 0, vcc_lo
	v_add_nc_u32_e32 v21, v117, v21
	s_delay_alu instid0(VALU_DEP_1) | instskip(NEXT) | instid1(VALU_DEP_1)
	v_mov_b32_dpp v117, v21 row_shr:2 row_mask:0xf bank_mask:0xf
	v_cndmask_b32_e64 v117, 0, v117, s0
	s_delay_alu instid0(VALU_DEP_1) | instskip(NEXT) | instid1(VALU_DEP_1)
	v_add_nc_u32_e32 v21, v21, v117
	v_mov_b32_dpp v117, v21 row_shr:4 row_mask:0xf bank_mask:0xf
	s_delay_alu instid0(VALU_DEP_1) | instskip(NEXT) | instid1(VALU_DEP_1)
	v_cndmask_b32_e64 v117, 0, v117, s1
	v_add_nc_u32_e32 v21, v21, v117
	s_delay_alu instid0(VALU_DEP_1) | instskip(NEXT) | instid1(VALU_DEP_1)
	v_mov_b32_dpp v117, v21 row_shr:8 row_mask:0xf bank_mask:0xf
	v_cndmask_b32_e64 v117, 0, v117, s2
	s_delay_alu instid0(VALU_DEP_1) | instskip(SKIP_3) | instid1(VALU_DEP_1)
	v_add_nc_u32_e32 v21, v21, v117
	ds_swizzle_b32 v117, v21 offset:swizzle(BROADCAST,32,15)
	s_waitcnt lgkmcnt(0)
	v_cndmask_b32_e64 v117, v117, 0, s3
	v_add_nc_u32_e32 v21, v21, v117
	s_and_saveexec_b32 s16, s4
	s_cbranch_execz .LBB918_190
; %bb.189:                              ;   in Loop: Header=BB918_172 Depth=1
	flat_store_b32 v[33:34], v21
.LBB918_190:                            ;   in Loop: Header=BB918_172 Depth=1
	s_or_b32 exec_lo, exec_lo, s16
	s_waitcnt lgkmcnt(0)
	s_waitcnt_vscnt null, 0x0
	s_barrier
	buffer_gl0_inv
	s_and_saveexec_b32 s16, s5
	s_cbranch_execz .LBB918_192
; %bb.191:                              ;   in Loop: Header=BB918_172 Depth=1
	flat_load_b32 v117, v[35:36]
	s_waitcnt vmcnt(0) lgkmcnt(0)
	v_mov_b32_dpp v119, v117 row_shr:1 row_mask:0xf bank_mask:0xf
	s_delay_alu instid0(VALU_DEP_1) | instskip(NEXT) | instid1(VALU_DEP_1)
	v_cndmask_b32_e64 v119, v119, 0, s11
	v_add_nc_u32_e32 v117, v119, v117
	s_delay_alu instid0(VALU_DEP_1) | instskip(NEXT) | instid1(VALU_DEP_1)
	v_mov_b32_dpp v119, v117 row_shr:2 row_mask:0xf bank_mask:0xf
	v_cndmask_b32_e64 v119, 0, v119, s14
	s_delay_alu instid0(VALU_DEP_1) | instskip(NEXT) | instid1(VALU_DEP_1)
	v_add_nc_u32_e32 v117, v117, v119
	v_mov_b32_dpp v119, v117 row_shr:4 row_mask:0xf bank_mask:0xf
	s_delay_alu instid0(VALU_DEP_1) | instskip(NEXT) | instid1(VALU_DEP_1)
	v_cndmask_b32_e64 v119, 0, v119, s15
	v_add_nc_u32_e32 v117, v117, v119
	flat_store_b32 v[35:36], v117
.LBB918_192:                            ;   in Loop: Header=BB918_172 Depth=1
	s_or_b32 exec_lo, exec_lo, s16
	v_mov_b32_e32 v117, 0
	s_waitcnt lgkmcnt(0)
	s_waitcnt_vscnt null, 0x0
	s_barrier
	buffer_gl0_inv
	s_and_saveexec_b32 s16, s6
	s_cbranch_execz .LBB918_194
; %bb.193:                              ;   in Loop: Header=BB918_172 Depth=1
	flat_load_b32 v117, v[48:49]
.LBB918_194:                            ;   in Loop: Header=BB918_172 Depth=1
	s_or_b32 exec_lo, exec_lo, s16
	s_waitcnt vmcnt(0) lgkmcnt(0)
	v_add_nc_u32_e32 v21, v117, v21
	v_dual_mov_b32 v129, v5 :: v_dual_add_nc_u32 v10, 8, v10
	v_mov_b32_e32 v119, v5
	s_mov_b32 s18, -1
	ds_bpermute_b32 v21, v162, v21
	s_waitcnt lgkmcnt(0)
	v_cndmask_b32_e64 v21, v21, v117, s7
	v_mov_b32_e32 v117, v5
	s_delay_alu instid0(VALU_DEP_2) | instskip(NEXT) | instid1(VALU_DEP_1)
	v_cndmask_b32_e64 v21, v21, 0, s10
	v_add_nc_u32_e32 v22, v21, v22
	s_delay_alu instid0(VALU_DEP_1) | instskip(NEXT) | instid1(VALU_DEP_1)
	v_add_nc_u32_e32 v23, v22, v23
	v_add_nc_u32_e32 v24, v23, v24
	s_delay_alu instid0(VALU_DEP_1) | instskip(NEXT) | instid1(VALU_DEP_1)
	v_add_nc_u32_e32 v180, v24, v25
	;; [unrolled: 3-line block ×3, first 2 shown]
	v_add_nc_u32_e32 v183, v182, v20
	s_clause 0x1
	flat_store_b128 v[8:9], v[21:24] offset:32
	flat_store_b128 v[31:32], v[180:183] offset:16
	s_waitcnt lgkmcnt(0)
	s_waitcnt_vscnt null, 0x0
	s_barrier
	buffer_gl0_inv
	s_clause 0x7
	flat_load_b32 v18, v[84:85]
	flat_load_b32 v19, v[86:87]
	;; [unrolled: 1-line block ×8, first 2 shown]
	v_mov_b32_e32 v101, v5
	v_mov_b32_e32 v115, v5
	;; [unrolled: 1-line block ×3, first 2 shown]
	v_dual_mov_b32 v103, v5 :: v_dual_mov_b32 v180, v164
	v_cmp_lt_u32_e64 s16, v10, v11
	s_waitcnt vmcnt(0) lgkmcnt(0)
	v_add_nc_u32_e32 v4, v18, v4
	v_add3_u32 v112, v118, v116, v19
	v_add3_u32 v100, v130, v128, v20
	;; [unrolled: 1-line block ×4, first 2 shown]
	v_lshlrev_b64 v[18:19], 1, v[4:5]
	v_lshlrev_b64 v[20:21], 1, v[112:113]
	v_add3_u32 v116, v145, v144, v23
	v_lshlrev_b64 v[22:23], 1, v[100:101]
	v_add3_u32 v128, v149, v148, v25
	v_add3_u32 v118, v147, v146, v24
	v_add_co_u32 v150, s17, v12, v18
	s_delay_alu instid0(VALU_DEP_1) | instskip(SKIP_2) | instid1(VALU_DEP_1)
	v_add_co_ci_u32_e64 v151, s17, v13, v19, s17
	v_lshlrev_b64 v[24:25], 1, v[102:103]
	v_add_co_u32 v160, s17, v12, v20
	v_add_co_ci_u32_e64 v161, s17, v13, v21, s17
	v_lshlrev_b64 v[84:85], 1, v[114:115]
	v_lshlrev_b64 v[98:99], 1, v[128:129]
	v_add_co_u32 v129, s17, v12, v22
	s_delay_alu instid0(VALU_DEP_1) | instskip(SKIP_2) | instid1(VALU_DEP_1)
	v_add_co_ci_u32_e64 v130, s17, v13, v23, s17
	v_lshlrev_b64 v[86:87], 1, v[116:117]
	v_add_co_u32 v131, s17, v12, v24
	v_add_co_ci_u32_e64 v132, s17, v13, v25, s17
	v_lshlrev_b64 v[96:97], 1, v[118:119]
	v_add_co_u32 v133, s17, v12, v84
	s_delay_alu instid0(VALU_DEP_1) | instskip(SKIP_1) | instid1(VALU_DEP_1)
	v_add_co_ci_u32_e64 v134, s17, v13, v85, s17
	v_add_co_u32 v144, s17, v12, v86
	v_add_co_ci_u32_e64 v145, s17, v13, v87, s17
	v_add_co_u32 v146, s17, v12, v96
	s_delay_alu instid0(VALU_DEP_1) | instskip(SKIP_1) | instid1(VALU_DEP_1)
	v_add_co_ci_u32_e64 v147, s17, v13, v97, s17
	v_add_co_u32 v148, s17, v12, v98
	v_add_co_ci_u32_e64 v149, s17, v13, v99, s17
                                        ; implicit-def: $vgpr113
                                        ; implicit-def: $vgpr103
                                        ; implicit-def: $vgpr101
                                        ; implicit-def: $vgpr18_vgpr19
                                        ; implicit-def: $vgpr20_vgpr21
                                        ; implicit-def: $vgpr22_vgpr23
                                        ; implicit-def: $vgpr24_vgpr25
                                        ; implicit-def: $vgpr84_vgpr85
                                        ; implicit-def: $vgpr86_vgpr87
                                        ; implicit-def: $vgpr96_vgpr97
                                        ; implicit-def: $vgpr98_vgpr99
	s_and_saveexec_b32 s17, s16
	s_cbranch_execz .LBB918_171
; %bb.195:                              ;   in Loop: Header=BB918_172 Depth=1
	s_barrier
	buffer_gl0_inv
	s_clause 0x7
	flat_store_b16 v[150:151], v164
	flat_store_b16 v[160:161], v176
	;; [unrolled: 1-line block ×8, first 2 shown]
	s_waitcnt lgkmcnt(0)
	s_waitcnt_vscnt null, 0x0
	s_barrier
	buffer_gl0_inv
	s_clause 0x3
	flat_load_u16 v164, v[37:38]
	flat_load_u16 v101, v[37:38] offset:128
	flat_load_u16 v103, v[37:38] offset:256
	;; [unrolled: 1-line block ×3, first 2 shown]
	v_mad_u64_u32 v[18:19], null, v4, 6, v[150:151]
	v_mad_u64_u32 v[20:21], null, v112, 6, v[160:161]
	;; [unrolled: 1-line block ×8, first 2 shown]
	v_add_nc_u32_e32 v163, -8, v163
	s_xor_b32 s18, exec_lo, -1
	s_waitcnt vmcnt(3) lgkmcnt(3)
	flat_load_d16_hi_b16 v164, v[37:38] offset:64
	s_waitcnt vmcnt(3) lgkmcnt(3)
	flat_load_d16_hi_b16 v101, v[37:38] offset:192
	;; [unrolled: 2-line block ×4, first 2 shown]
	s_waitcnt vmcnt(0) lgkmcnt(0)
	s_barrier
	buffer_gl0_inv
	s_clause 0x7
	flat_store_b64 v[18:19], v[82:83]
	flat_store_b64 v[20:21], v[80:81]
	;; [unrolled: 1-line block ×8, first 2 shown]
	s_waitcnt lgkmcnt(0)
	s_waitcnt_vscnt null, 0x0
	s_barrier
	buffer_gl0_inv
	s_clause 0x7
	flat_load_b64 v[18:19], v[50:51]
	flat_load_b64 v[20:21], v[50:51] offset:256
	flat_load_b64 v[22:23], v[50:51] offset:512
	;; [unrolled: 1-line block ×7, first 2 shown]
	s_waitcnt vmcnt(0) lgkmcnt(0)
	s_barrier
	buffer_gl0_inv
	s_branch .LBB918_171
.LBB918_196:
	flat_load_b64 v[166:167], v[4:5]
	s_or_b32 exec_lo, exec_lo, s19
                                        ; implicit-def: $vgpr178_vgpr179
	s_and_saveexec_b32 s19, s0
	s_cbranch_execz .LBB918_36
.LBB918_197:
	flat_load_b64 v[178:179], v[4:5] offset:256
	s_or_b32 exec_lo, exec_lo, s19
                                        ; implicit-def: $vgpr182_vgpr183
	s_and_saveexec_b32 s0, s1
	s_cbranch_execz .LBB918_37
.LBB918_198:
	flat_load_b64 v[182:183], v[4:5] offset:512
	s_or_b32 exec_lo, exec_lo, s0
                                        ; implicit-def: $vgpr194_vgpr195
	s_and_saveexec_b32 s0, s2
	s_cbranch_execz .LBB918_38
.LBB918_199:
	flat_load_b64 v[194:195], v[4:5] offset:768
	s_or_b32 exec_lo, exec_lo, s0
                                        ; implicit-def: $vgpr198_vgpr199
	s_and_saveexec_b32 s0, s3
	s_cbranch_execz .LBB918_39
.LBB918_200:
	flat_load_b64 v[198:199], v[4:5] offset:1024
	s_or_b32 exec_lo, exec_lo, s0
                                        ; implicit-def: $vgpr116_vgpr117
	s_and_saveexec_b32 s0, s4
	s_cbranch_execz .LBB918_40
.LBB918_201:
	flat_load_b64 v[116:117], v[4:5] offset:1280
	s_or_b32 exec_lo, exec_lo, s0
                                        ; implicit-def: $vgpr146_vgpr147
	s_and_saveexec_b32 s0, s5
	s_cbranch_execz .LBB918_41
.LBB918_202:
	flat_load_b64 v[146:147], v[4:5] offset:1536
	s_or_b32 exec_lo, exec_lo, s0
                                        ; implicit-def: $vgpr176_vgpr177
	s_and_saveexec_b32 s0, s6
	s_cbranch_execz .LBB918_42
.LBB918_203:
	flat_load_b64 v[176:177], v[4:5] offset:1792
	s_or_b32 exec_lo, exec_lo, s0
                                        ; implicit-def: $vgpr180_vgpr181
	s_and_saveexec_b32 s0, s7
	s_cbranch_execz .LBB918_43
.LBB918_204:
	flat_load_b64 v[180:181], v[4:5] offset:2048
	s_or_b32 exec_lo, exec_lo, s0
                                        ; implicit-def: $vgpr192_vgpr193
	s_and_saveexec_b32 s0, s10
	s_cbranch_execz .LBB918_44
.LBB918_205:
	flat_load_b64 v[192:193], v[4:5] offset:2304
	s_or_b32 exec_lo, exec_lo, s0
                                        ; implicit-def: $vgpr196_vgpr197
	s_and_saveexec_b32 s0, s11
	s_cbranch_execz .LBB918_45
.LBB918_206:
	flat_load_b64 v[196:197], v[4:5] offset:2560
	s_or_b32 exec_lo, exec_lo, s0
                                        ; implicit-def: $vgpr208_vgpr209
	s_and_saveexec_b32 s0, s14
	s_cbranch_execz .LBB918_46
.LBB918_207:
	flat_load_b64 v[208:209], v[4:5] offset:2816
	s_or_b32 exec_lo, exec_lo, s0
                                        ; implicit-def: $vgpr210_vgpr211
	s_and_saveexec_b32 s0, s15
	s_cbranch_execz .LBB918_47
.LBB918_208:
	flat_load_b64 v[210:211], v[4:5] offset:3072
	s_or_b32 exec_lo, exec_lo, s0
                                        ; implicit-def: $vgpr212_vgpr213
	s_and_saveexec_b32 s0, s16
	s_cbranch_execz .LBB918_48
.LBB918_209:
	flat_load_b64 v[212:213], v[4:5] offset:3328
	s_or_b32 exec_lo, exec_lo, s0
                                        ; implicit-def: $vgpr214_vgpr215
	s_and_saveexec_b32 s0, s17
	s_cbranch_execz .LBB918_49
.LBB918_210:
	flat_load_b64 v[214:215], v[4:5] offset:3584
	s_or_b32 exec_lo, exec_lo, s0
                                        ; implicit-def: $vgpr224_vgpr225
	s_and_saveexec_b32 s0, s18
	s_cbranch_execnz .LBB918_50
	s_branch .LBB918_51
.LBB918_211:
	flat_store_b64 v[0:1], v[50:51]
	s_or_b32 exec_lo, exec_lo, s19
	s_and_saveexec_b32 s19, s3
	s_cbranch_execz .LBB918_127
.LBB918_212:
	flat_store_b64 v[0:1], v[48:49] offset:2048
	s_or_b32 exec_lo, exec_lo, s19
	s_and_saveexec_b32 s3, s10
	s_cbranch_execz .LBB918_128
.LBB918_213:
	v_add_co_u32 v2, vcc_lo, 0x1000, v0
	v_add_co_ci_u32_e32 v3, vcc_lo, 0, v1, vcc_lo
	flat_store_b64 v[2:3], v[37:38]
	s_or_b32 exec_lo, exec_lo, s3
	s_and_saveexec_b32 s3, s7
	s_cbranch_execz .LBB918_129
.LBB918_214:
	v_add_co_u32 v2, vcc_lo, 0x1000, v0
	v_add_co_ci_u32_e32 v3, vcc_lo, 0, v1, vcc_lo
	flat_store_b64 v[2:3], v[35:36] offset:2048
	s_or_b32 exec_lo, exec_lo, s3
	s_and_saveexec_b32 s3, s6
	s_cbranch_execz .LBB918_130
.LBB918_215:
	v_add_co_u32 v2, vcc_lo, 0x2000, v0
	v_add_co_ci_u32_e32 v3, vcc_lo, 0, v1, vcc_lo
	flat_store_b64 v[2:3], v[33:34]
	s_or_b32 exec_lo, exec_lo, s3
	s_and_saveexec_b32 s3, s4
	s_cbranch_execz .LBB918_131
.LBB918_216:
	v_add_co_u32 v2, vcc_lo, 0x2000, v0
	v_add_co_ci_u32_e32 v3, vcc_lo, 0, v1, vcc_lo
	flat_store_b64 v[2:3], v[31:32] offset:2048
	s_or_b32 exec_lo, exec_lo, s3
	s_and_saveexec_b32 s3, s2
	s_cbranch_execz .LBB918_132
.LBB918_217:
	v_add_co_u32 v2, vcc_lo, 0x3000, v0
	v_add_co_ci_u32_e32 v3, vcc_lo, 0, v1, vcc_lo
	flat_store_b64 v[2:3], v[22:23]
	s_or_b32 exec_lo, exec_lo, s3
	s_and_saveexec_b32 s2, s1
	s_cbranch_execz .LBB918_133
.LBB918_218:
	v_add_co_u32 v2, vcc_lo, 0x3000, v0
	v_add_co_ci_u32_e32 v3, vcc_lo, 0, v1, vcc_lo
	flat_store_b64 v[2:3], v[18:19] offset:2048
	s_or_b32 exec_lo, exec_lo, s2
	s_and_saveexec_b32 s1, s0
	s_cbranch_execz .LBB918_134
.LBB918_219:
	v_add_co_u32 v2, vcc_lo, 0x4000, v0
	v_add_co_ci_u32_e32 v3, vcc_lo, 0, v1, vcc_lo
	flat_store_b64 v[2:3], v[24:25]
	s_or_b32 exec_lo, exec_lo, s1
	s_and_saveexec_b32 s0, s5
	s_cbranch_execz .LBB918_135
.LBB918_220:
	v_add_co_u32 v2, vcc_lo, 0x4000, v0
	v_add_co_ci_u32_e32 v3, vcc_lo, 0, v1, vcc_lo
	flat_store_b64 v[2:3], v[20:21] offset:2048
	s_or_b32 exec_lo, exec_lo, s0
	s_and_saveexec_b32 s0, s11
	s_cbranch_execz .LBB918_136
.LBB918_221:
	v_add_co_u32 v2, vcc_lo, 0x5000, v0
	v_add_co_ci_u32_e32 v3, vcc_lo, 0, v1, vcc_lo
	flat_store_b64 v[2:3], v[16:17]
	s_or_b32 exec_lo, exec_lo, s0
	s_and_saveexec_b32 s0, s14
	s_cbranch_execz .LBB918_137
.LBB918_222:
	v_add_co_u32 v2, vcc_lo, 0x5000, v0
	v_add_co_ci_u32_e32 v3, vcc_lo, 0, v1, vcc_lo
	flat_store_b64 v[2:3], v[14:15] offset:2048
	s_or_b32 exec_lo, exec_lo, s0
	s_and_saveexec_b32 s0, s15
	s_cbranch_execz .LBB918_138
.LBB918_223:
	v_add_co_u32 v2, vcc_lo, 0x6000, v0
	v_add_co_ci_u32_e32 v3, vcc_lo, 0, v1, vcc_lo
	flat_store_b64 v[2:3], v[12:13]
	s_or_b32 exec_lo, exec_lo, s0
	s_and_saveexec_b32 s0, s16
	s_cbranch_execz .LBB918_139
.LBB918_224:
	v_add_co_u32 v2, vcc_lo, 0x6000, v0
	v_add_co_ci_u32_e32 v3, vcc_lo, 0, v1, vcc_lo
	flat_store_b64 v[2:3], v[10:11] offset:2048
	s_or_b32 exec_lo, exec_lo, s0
	s_and_saveexec_b32 s0, s17
	s_cbranch_execz .LBB918_140
.LBB918_225:
	v_add_co_u32 v2, vcc_lo, 0x7000, v0
	v_add_co_ci_u32_e32 v3, vcc_lo, 0, v1, vcc_lo
	flat_store_b64 v[2:3], v[8:9]
	s_or_b32 exec_lo, exec_lo, s0
	s_and_saveexec_b32 s0, s18
	s_cbranch_execnz .LBB918_141
	s_branch .LBB918_142
.LBB918_226:
	s_or_b32 exec_lo, exec_lo, s20
	v_dual_mov_b32 v28, 0 :: v_dual_lshlrev_b32 v5, 1, v26
	v_mad_u64_u32 v[10:11], null, v4, 6, v[150:151]
	s_barrier
	s_delay_alu instid0(VALU_DEP_2)
	v_add_co_u32 v8, vcc_lo, v12, v5
	v_mad_u64_u32 v[4:5], null, v112, 6, v[160:161]
	v_add_co_ci_u32_e32 v9, vcc_lo, 0, v13, vcc_lo
	buffer_gl0_inv
	s_clause 0x7
	flat_store_b16 v[150:151], v180
	flat_store_b16 v[160:161], v176
	;; [unrolled: 1-line block ×8, first 2 shown]
	s_waitcnt lgkmcnt(0)
	s_waitcnt_vscnt null, 0x0
	s_barrier
	buffer_gl0_inv
	s_clause 0x7
	flat_load_u16 v34, v[8:9]
	flat_load_u16 v33, v[8:9] offset:512
	flat_load_u16 v32, v[8:9] offset:1024
	;; [unrolled: 1-line block ×7, first 2 shown]
	s_waitcnt vmcnt(0) lgkmcnt(0)
	s_barrier
	buffer_gl0_inv
	s_clause 0x1
	flat_store_b64 v[10:11], v[82:83]
	flat_store_b64 v[4:5], v[80:81]
	v_mad_u64_u32 v[4:5], null, v100, 6, v[129:130]
	v_mad_u64_u32 v[10:11], null, v102, 6, v[131:132]
	;; [unrolled: 1-line block ×4, first 2 shown]
	s_clause 0x3
	flat_store_b64 v[4:5], v[64:65]
	flat_store_b64 v[10:11], v[70:71]
	;; [unrolled: 1-line block ×4, first 2 shown]
	v_mad_u64_u32 v[4:5], null, v26, 6, v[8:9]
	v_lshl_or_b32 v10, v26, 3, 0x2000
	v_mad_u64_u32 v[18:19], null, v118, 6, v[146:147]
	v_mad_u64_u32 v[20:21], null, v128, 6, v[148:149]
	s_clause 0x1
	flat_store_b64 v[18:19], v[52:53]
	flat_store_b64 v[20:21], v[54:55]
	v_add_co_u32 v8, vcc_lo, 0x1000, v4
	v_add_co_ci_u32_e32 v9, vcc_lo, 0, v5, vcc_lo
	v_add_co_u32 v10, vcc_lo, v12, v10
	v_add_co_ci_u32_e32 v11, vcc_lo, 0, v13, vcc_lo
	;; [unrolled: 2-line block ×3, first 2 shown]
	v_add_co_u32 v37, vcc_lo, 0x3000, v4
	s_waitcnt lgkmcnt(0)
	s_waitcnt_vscnt null, 0x0
	s_barrier
	buffer_gl0_inv
	v_add_co_ci_u32_e32 v38, vcc_lo, 0, v5, vcc_lo
	s_clause 0x7
	flat_load_b64 v[20:21], v[4:5]
	flat_load_b64 v[18:19], v[4:5] offset:2048
	flat_load_b64 v[16:17], v[8:9]
	flat_load_b64 v[14:15], v[8:9] offset:2048
	;; [unrolled: 2-line block ×4, first 2 shown]
	v_lshlrev_b64 v[35:36], 1, v[27:28]
	v_add_co_u32 v2, vcc_lo, v2, v29
	v_add_co_ci_u32_e32 v3, vcc_lo, v3, v30, vcc_lo
	s_waitcnt vmcnt(0) lgkmcnt(0)
	s_delay_alu instid0(VALU_DEP_2) | instskip(NEXT) | instid1(VALU_DEP_2)
	v_add_co_u32 v2, vcc_lo, v2, v35
	v_add_co_ci_u32_e32 v3, vcc_lo, v3, v36, vcc_lo
	v_cmp_lt_u32_e32 vcc_lo, v27, v47
	s_barrier
	buffer_gl0_inv
	s_and_saveexec_b32 s0, vcc_lo
	s_cbranch_execz .LBB918_228
; %bb.227:
	v_xor_b32_e32 v26, 0x7fff, v34
	flat_store_b16 v[2:3], v26
.LBB918_228:
	s_or_b32 exec_lo, exec_lo, s0
	v_add_nc_u32_e32 v26, 0x100, v27
	s_delay_alu instid0(VALU_DEP_1) | instskip(NEXT) | instid1(VALU_DEP_1)
	v_cmp_lt_u32_e64 s2, v26, v47
	s_and_saveexec_b32 s0, s2
	s_cbranch_execz .LBB918_230
; %bb.229:
	v_xor_b32_e32 v26, 0x7fff, v33
	flat_store_b16 v[2:3], v26 offset:512
.LBB918_230:
	s_or_b32 exec_lo, exec_lo, s0
	v_add_nc_u32_e32 v26, 0x200, v27
	s_delay_alu instid0(VALU_DEP_1) | instskip(NEXT) | instid1(VALU_DEP_1)
	v_cmp_lt_u32_e64 s6, v26, v47
	s_and_saveexec_b32 s0, s6
	s_cbranch_execz .LBB918_232
; %bb.231:
	v_xor_b32_e32 v26, 0x7fff, v32
	flat_store_b16 v[2:3], v26 offset:1024
.LBB918_232:
	;; [unrolled: 10-line block ×7, first 2 shown]
	s_or_b32 exec_lo, exec_lo, s7
	v_lshlrev_b64 v[2:3], 3, v[27:28]
	v_add_co_u32 v0, s7, v6, v0
	s_delay_alu instid0(VALU_DEP_1) | instskip(NEXT) | instid1(VALU_DEP_2)
	v_add_co_ci_u32_e64 v1, s7, v7, v1, s7
	v_add_co_u32 v0, s7, v0, v2
	s_delay_alu instid0(VALU_DEP_1)
	v_add_co_ci_u32_e64 v1, s7, v1, v3, s7
	s_and_saveexec_b32 s7, vcc_lo
	s_cbranch_execnz .LBB918_292
; %bb.243:
	s_or_b32 exec_lo, exec_lo, s7
	s_and_saveexec_b32 s7, s2
	s_cbranch_execnz .LBB918_293
.LBB918_244:
	s_or_b32 exec_lo, exec_lo, s7
	s_and_saveexec_b32 s2, s6
	s_cbranch_execnz .LBB918_294
.LBB918_245:
	s_or_b32 exec_lo, exec_lo, s2
	s_and_saveexec_b32 s2, s5
	s_cbranch_execnz .LBB918_295
.LBB918_246:
	s_or_b32 exec_lo, exec_lo, s2
	s_and_saveexec_b32 s2, s4
	s_cbranch_execnz .LBB918_296
.LBB918_247:
	s_or_b32 exec_lo, exec_lo, s2
	s_and_saveexec_b32 s2, s3
	s_cbranch_execnz .LBB918_297
.LBB918_248:
	s_or_b32 exec_lo, exec_lo, s2
	s_and_saveexec_b32 s2, s1
	s_cbranch_execnz .LBB918_298
.LBB918_249:
	s_or_b32 exec_lo, exec_lo, s2
	s_and_saveexec_b32 s1, s0
	s_cbranch_execz .LBB918_251
.LBB918_250:
	v_add_co_u32 v0, vcc_lo, 0x3000, v0
	v_add_co_ci_u32_e32 v1, vcc_lo, 0, v1, vcc_lo
	flat_store_b64 v[0:1], v[4:5] offset:2048
.LBB918_251:
	s_or_b32 exec_lo, exec_lo, s1
                                        ; implicit-def: $vgpr47
                                        ; implicit-def: $vgpr0
                                        ; implicit-def: $vgpr1
                                        ; implicit-def: $vgpr2
                                        ; implicit-def: $vgpr3
                                        ; implicit-def: $vgpr4
                                        ; implicit-def: $vgpr5
                                        ; implicit-def: $vgpr6
                                        ; implicit-def: $vgpr7
                                        ; implicit-def: $vgpr8
                                        ; implicit-def: $vgpr10
                                        ; implicit-def: $vgpr11
                                        ; implicit-def: $vgpr12
                                        ; implicit-def: $vgpr13
                                        ; implicit-def: $vgpr14
                                        ; implicit-def: $vgpr15
                                        ; implicit-def: $vgpr26
                                        ; implicit-def: $vgpr35
.LBB918_252:
	s_and_not1_saveexec_b32 s0, s19
	s_cbranch_execz .LBB918_372
; %bb.253:
	s_mov_b32 s0, exec_lo
	v_cmpx_lt_u32_e32 0x200, v47
	s_xor_b32 s19, exec_lo, s0
	s_cbranch_execz .LBB918_313
; %bb.254:
	s_load_b64 s[0:1], s[8:9], 0x0
	v_mov_b32_e32 v9, 0
	s_waitcnt lgkmcnt(0)
	s_cmp_lt_u32 s13, s1
	s_cselect_b32 s1, 14, 20
	s_delay_alu instid0(SALU_CYCLE_1) | instskip(SKIP_4) | instid1(SALU_CYCLE_1)
	s_add_u32 s2, s8, s1
	s_addc_u32 s3, s9, 0
	s_cmp_lt_u32 s12, s0
	global_load_u16 v16, v9, s[2:3]
	s_cselect_b32 s0, 12, 18
	s_add_u32 s0, s8, s0
	s_addc_u32 s1, s9, 0
	global_load_u16 v17, v9, s[0:1]
	s_mov_b32 s2, 0x80008000
	s_delay_alu instid0(SALU_CYCLE_1) | instskip(SKIP_4) | instid1(VALU_DEP_2)
	s_mov_b32 s3, s2
	s_waitcnt vmcnt(1)
	v_mad_u32_u24 v14, v15, v16, v14
	v_lshlrev_b32_e32 v15, 1, v35
	s_waitcnt vmcnt(0)
	v_mad_u64_u32 v[27:28], null, v14, v17, v[26:27]
	s_delay_alu instid0(VALU_DEP_1) | instskip(SKIP_1) | instid1(VALU_DEP_2)
	v_lshlrev_b32_e32 v14, 2, v27
	v_lshlrev_b64 v[29:30], 1, v[8:9]
	v_dual_mov_b32 v17, v9 :: v_dual_and_b32 v16, 0xffffff80, v14
	s_delay_alu instid0(VALU_DEP_2) | instskip(NEXT) | instid1(VALU_DEP_3)
	v_add_co_u32 v14, vcc_lo, v0, v29
	v_add_co_ci_u32_e32 v19, vcc_lo, v1, v30, vcc_lo
	s_delay_alu instid0(VALU_DEP_3) | instskip(NEXT) | instid1(VALU_DEP_3)
	v_lshlrev_b64 v[0:1], 1, v[16:17]
	v_add_co_u32 v14, vcc_lo, v14, v15
	s_delay_alu instid0(VALU_DEP_3) | instskip(SKIP_1) | instid1(VALU_DEP_3)
	v_add_co_ci_u32_e32 v15, vcc_lo, 0, v19, vcc_lo
	v_or_b32_e32 v18, v16, v35
	v_add_co_u32 v0, s0, v14, v0
	s_delay_alu instid0(VALU_DEP_1) | instskip(SKIP_1) | instid1(VALU_DEP_4)
	v_add_co_ci_u32_e64 v1, s0, v15, v1, s0
	v_mov_b32_e32 v15, s3
	v_cmp_lt_u32_e32 vcc_lo, v18, v47
	v_mov_b32_e32 v14, s2
	s_and_saveexec_b32 s0, vcc_lo
	s_cbranch_execz .LBB918_256
; %bb.255:
	v_bfrev_b32_e32 v14, 1
	v_mov_b32_e32 v15, 0x80008000
	flat_load_d16_b16 v14, v[0:1]
.LBB918_256:
	s_or_b32 exec_lo, exec_lo, s0
	v_or_b32_e32 v19, 32, v18
	s_delay_alu instid0(VALU_DEP_1) | instskip(NEXT) | instid1(VALU_DEP_1)
	v_cmp_lt_u32_e64 s0, v19, v47
	s_and_saveexec_b32 s1, s0
	s_cbranch_execz .LBB918_258
; %bb.257:
	s_waitcnt vmcnt(0) lgkmcnt(0)
	flat_load_d16_hi_b16 v14, v[0:1] offset:64
.LBB918_258:
	s_or_b32 exec_lo, exec_lo, s1
	v_or_b32_e32 v19, 64, v18
	s_delay_alu instid0(VALU_DEP_1) | instskip(NEXT) | instid1(VALU_DEP_1)
	v_cmp_lt_u32_e64 s1, v19, v47
	s_and_saveexec_b32 s2, s1
	s_cbranch_execz .LBB918_260
; %bb.259:
	flat_load_d16_b16 v15, v[0:1] offset:128
.LBB918_260:
	s_or_b32 exec_lo, exec_lo, s2
	v_or_b32_e32 v18, 0x60, v18
	s_delay_alu instid0(VALU_DEP_1) | instskip(NEXT) | instid1(VALU_DEP_1)
	v_cmp_lt_u32_e64 s2, v18, v47
	s_and_saveexec_b32 s3, s2
	s_cbranch_execz .LBB918_262
; %bb.261:
	s_waitcnt vmcnt(0) lgkmcnt(0)
	flat_load_d16_hi_b16 v15, v[0:1] offset:192
.LBB918_262:
	s_or_b32 exec_lo, exec_lo, s3
	v_lshlrev_b64 v[0:1], 3, v[8:9]
	v_lshlrev_b32_e32 v8, 3, v35
	s_delay_alu instid0(VALU_DEP_2) | instskip(NEXT) | instid1(VALU_DEP_1)
	v_add_co_u32 v9, s3, v4, v0
	v_add_co_ci_u32_e64 v18, s3, v5, v1, s3
	v_lshlrev_b64 v[4:5], 3, v[16:17]
	s_delay_alu instid0(VALU_DEP_3) | instskip(NEXT) | instid1(VALU_DEP_1)
	v_add_co_u32 v8, s3, v9, v8
	v_add_co_ci_u32_e64 v9, s3, 0, v18, s3
                                        ; implicit-def: $vgpr18_vgpr19
	s_delay_alu instid0(VALU_DEP_2) | instskip(NEXT) | instid1(VALU_DEP_1)
	v_add_co_u32 v4, s3, v8, v4
	v_add_co_ci_u32_e64 v5, s3, v9, v5, s3
	s_and_saveexec_b32 s3, vcc_lo
	s_cbranch_execnz .LBB918_337
; %bb.263:
	s_or_b32 exec_lo, exec_lo, s3
                                        ; implicit-def: $vgpr20_vgpr21
	s_and_saveexec_b32 s3, s0
	s_cbranch_execnz .LBB918_338
.LBB918_264:
	s_or_b32 exec_lo, exec_lo, s3
                                        ; implicit-def: $vgpr22_vgpr23
	s_and_saveexec_b32 s0, s1
	s_cbranch_execnz .LBB918_339
.LBB918_265:
	s_or_b32 exec_lo, exec_lo, s0
                                        ; implicit-def: $vgpr24_vgpr25
	s_and_saveexec_b32 s0, s2
	s_cbranch_execz .LBB918_267
.LBB918_266:
	flat_load_b64 v[24:25], v[4:5] offset:768
.LBB918_267:
	s_or_b32 exec_lo, exec_lo, s0
	v_dual_mov_b32 v5, 0 :: v_dual_lshlrev_b32 v4, 5, v26
	v_add_nc_u32_e32 v17, -1, v35
	v_add_co_u32 v28, vcc_lo, v12, 32
	v_add_co_ci_u32_e32 v39, vcc_lo, 0, v13, vcc_lo
	s_mov_b32 s20, 0
	v_add_co_u32 v8, vcc_lo, v12, v4
	s_waitcnt vmcnt(0) lgkmcnt(0)
	v_xor_b32_e32 v69, 0x7fff7fff, v15
	v_cmp_gt_i32_e64 s4, 0, v17
	s_mov_b32 s21, s20
	s_mov_b32 s22, s20
	;; [unrolled: 1-line block ×3, first 2 shown]
	v_and_b32_e32 v15, 15, v35
	v_add_co_ci_u32_e32 v9, vcc_lo, 0, v13, vcc_lo
	v_and_b32_e32 v16, 0x3e0, v26
	v_add_co_u32 v31, vcc_lo, v28, v4
	s_getpc_b64 s[0:1]
	s_add_u32 s0, s0, _ZN7rocprim17ROCPRIM_400000_NS16block_radix_sortIsLj256ELj4ElLj1ELj1ELj8ELNS0_26block_radix_rank_algorithmE2ELNS0_18block_padding_hintE2ELNS0_4arch9wavefront6targetE0EE19radix_bits_per_passE@rel32@lo+4
	s_addc_u32 s1, s1, _ZN7rocprim17ROCPRIM_400000_NS16block_radix_sortIsLj256ELj4ElLj1ELj1ELj8ELNS0_26block_radix_rank_algorithmE2ELNS0_18block_padding_hintE2ELNS0_4arch9wavefront6targetE0EE19radix_bits_per_passE@rel32@hi+12
	v_add_co_ci_u32_e32 v32, vcc_lo, 0, v39, vcc_lo
	s_load_b32 s25, s[0:1], 0x0
	v_cmp_eq_u32_e32 vcc_lo, 0, v15
	v_cmp_lt_u32_e64 s0, 1, v15
	v_cmp_lt_u32_e64 s1, 3, v15
	;; [unrolled: 1-line block ×3, first 2 shown]
	v_cndmask_b32_e64 v15, v17, v35, s4
	v_min_u32_e32 v4, 0xe0, v16
	v_and_b32_e32 v16, 16, v35
	v_cmp_eq_u32_e64 s7, 0, v35
	v_and_b32_e32 v17, 7, v35
	v_lshlrev_b32_e32 v98, 2, v15
	v_lshlrev_b32_e32 v15, 2, v26
	v_or_b32_e32 v4, 31, v4
	v_cmp_eq_u32_e64 s3, 0, v16
	v_lshrrev_b32_e32 v16, 5, v26
	v_cmp_lt_u32_e64 s14, 1, v17
	v_and_or_b32 v52, 0xf80, v15, v35
	v_cmp_eq_u32_e64 s4, v4, v26
	v_cmp_lt_u32_e64 s15, 3, v17
	v_lshlrev_b32_e32 v4, 2, v16
	v_xor_b32_e32 v100, 0x7fff7fff, v14
	v_lshlrev_b32_e32 v37, 1, v52
	v_lshrrev_b32_e32 v87, 5, v27
	v_cmp_gt_u32_e64 s5, 8, v26
	v_add_co_u32 v33, s11, v12, v4
	v_add_nc_u32_e32 v4, -1, v16
	v_add_co_ci_u32_e64 v34, s11, 0, v13, s11
	v_add_co_u32 v37, s16, v12, v37
	v_add_co_u32 v35, s11, v12, v15
	s_delay_alu instid0(VALU_DEP_4) | instskip(SKIP_3) | instid1(VALU_DEP_4)
	v_lshlrev_b64 v[15:16], 2, v[4:5]
	v_add_co_ci_u32_e64 v38, s16, 0, v13, s16
	v_add_co_ci_u32_e64 v36, s11, 0, v13, s11
	v_cmp_eq_u32_e64 s11, 0, v17
	v_add_co_u32 v48, s16, v12, v15
	s_delay_alu instid0(VALU_DEP_4)
	v_mad_u64_u32 v[50:51], null, v52, 6, v[37:38]
	v_add_co_ci_u32_e64 v49, s16, v13, v16, s16
	v_mov_b32_e32 v14, s20
	v_cmp_lt_u32_e64 s6, 31, v26
	v_cmp_eq_u32_e64 s10, 0, v26
	v_sub_nc_u32_e32 v99, v11, v10
	v_dual_mov_b32 v15, s21 :: v_dual_mov_b32 v16, s22
	v_mov_b32_e32 v17, s23
	s_waitcnt lgkmcnt(0)
	s_waitcnt_vscnt null, 0x0
	s_barrier
	buffer_gl0_inv
	s_branch .LBB918_269
.LBB918_268:                            ;   in Loop: Header=BB918_269 Depth=1
	s_or_b32 exec_lo, exec_lo, s17
	s_delay_alu instid0(SALU_CYCLE_1) | instskip(NEXT) | instid1(SALU_CYCLE_1)
	s_and_b32 s16, exec_lo, s18
	s_or_b32 s20, s16, s20
	s_delay_alu instid0(SALU_CYCLE_1)
	s_and_not1_b32 exec_lo, exec_lo, s20
	s_cbranch_execz .LBB918_299
.LBB918_269:                            ; =>This Inner Loop Header: Depth=1
	v_min_u32_e32 v4, s25, v99
	v_dual_mov_b32 v101, v69 :: v_dual_and_b32 v52, 0xffff, v100
	s_clause 0x1
	flat_store_b128 v[8:9], v[14:17] offset:32
	flat_store_b128 v[31:32], v[14:17] offset:16
	s_waitcnt lgkmcnt(0)
	s_waitcnt_vscnt null, 0x0
	v_lshlrev_b32_e64 v4, v4, -1
	v_lshrrev_b32_e32 v52, v10, v52
	s_barrier
	buffer_gl0_inv
	v_not_b32_e32 v82, v4
	; wave barrier
	s_delay_alu instid0(VALU_DEP_1) | instskip(NEXT) | instid1(VALU_DEP_1)
	v_and_b32_e32 v4, v52, v82
	v_and_b32_e32 v52, 1, v4
	v_lshlrev_b32_e32 v53, 30, v4
	v_lshlrev_b32_e32 v54, 29, v4
	;; [unrolled: 1-line block ×4, first 2 shown]
	v_add_co_u32 v52, s16, v52, -1
	s_delay_alu instid0(VALU_DEP_1)
	v_cndmask_b32_e64 v64, 0, 1, s16
	v_not_b32_e32 v68, v53
	v_cmp_gt_i32_e64 s17, 0, v53
	v_not_b32_e32 v53, v54
	v_lshlrev_b32_e32 v66, 26, v4
	v_cmp_ne_u32_e64 s16, 0, v64
	v_ashrrev_i32_e32 v68, 31, v68
	v_lshlrev_b32_e32 v64, 24, v4
	v_ashrrev_i32_e32 v53, 31, v53
	s_delay_alu instid0(VALU_DEP_4)
	v_xor_b32_e32 v52, s16, v52
	v_cmp_gt_i32_e64 s16, 0, v54
	v_not_b32_e32 v54, v55
	v_xor_b32_e32 v68, s17, v68
	v_cmp_gt_i32_e64 s17, 0, v55
	v_and_b32_e32 v52, exec_lo, v52
	v_not_b32_e32 v55, v65
	v_ashrrev_i32_e32 v54, 31, v54
	v_xor_b32_e32 v53, s16, v53
	v_cmp_gt_i32_e64 s16, 0, v65
	v_and_b32_e32 v52, v52, v68
	v_not_b32_e32 v65, v66
	v_ashrrev_i32_e32 v55, 31, v55
	v_xor_b32_e32 v54, s17, v54
	v_cmp_gt_i32_e64 s17, 0, v66
	v_and_b32_e32 v52, v52, v53
	v_ashrrev_i32_e32 v65, 31, v65
	v_xor_b32_e32 v55, s16, v55
	s_delay_alu instid0(VALU_DEP_3) | instskip(NEXT) | instid1(VALU_DEP_3)
	v_and_b32_e32 v52, v52, v54
	v_xor_b32_e32 v65, s17, v65
	v_not_b32_e32 v54, v64
	v_cmp_gt_i32_e64 s17, 0, v64
	s_delay_alu instid0(VALU_DEP_4) | instskip(NEXT) | instid1(VALU_DEP_3)
	v_and_b32_e32 v52, v52, v55
	v_ashrrev_i32_e32 v54, 31, v54
	s_delay_alu instid0(VALU_DEP_2) | instskip(SKIP_1) | instid1(VALU_DEP_3)
	v_dual_mov_b32 v65, v19 :: v_dual_and_b32 v52, v52, v65
	v_lshlrev_b32_e32 v67, 25, v4
	v_xor_b32_e32 v66, s17, v54
	v_dual_mov_b32 v64, v18 :: v_dual_lshlrev_b32 v19, 3, v4
	v_mov_b32_e32 v55, v21
	s_delay_alu instid0(VALU_DEP_4) | instskip(SKIP_3) | instid1(VALU_DEP_4)
	v_not_b32_e32 v53, v67
	v_cmp_gt_i32_e64 s16, 0, v67
	v_mov_b32_e32 v54, v20
	v_add_lshl_u32 v19, v19, v87, 2
	v_ashrrev_i32_e32 v53, 31, v53
	s_delay_alu instid0(VALU_DEP_2) | instskip(NEXT) | instid1(VALU_DEP_2)
	v_add_co_u32 v68, s18, v28, v19
	v_xor_b32_e32 v53, s16, v53
	v_add_co_ci_u32_e64 v69, s18, 0, v39, s18
	s_delay_alu instid0(VALU_DEP_2) | instskip(SKIP_1) | instid1(VALU_DEP_2)
	v_and_b32_e32 v67, v52, v53
	v_dual_mov_b32 v53, v23 :: v_dual_mov_b32 v52, v22
	v_dual_mov_b32 v67, v25 :: v_dual_and_b32 v18, v67, v66
	v_mov_b32_e32 v66, v24
	s_delay_alu instid0(VALU_DEP_2) | instskip(SKIP_1) | instid1(VALU_DEP_2)
	v_mbcnt_lo_u32_b32 v4, v18, 0
	v_cmp_ne_u32_e64 s16, 0, v18
	v_cmp_eq_u32_e64 s17, 0, v4
	s_delay_alu instid0(VALU_DEP_1) | instskip(NEXT) | instid1(SALU_CYCLE_1)
	s_and_b32 s17, s16, s17
	s_and_saveexec_b32 s16, s17
	s_cbranch_execz .LBB918_271
; %bb.270:                              ;   in Loop: Header=BB918_269 Depth=1
	v_bcnt_u32_b32 v18, v18, 0
	flat_store_b32 v[68:69], v18
.LBB918_271:                            ;   in Loop: Header=BB918_269 Depth=1
	s_or_b32 exec_lo, exec_lo, s16
	v_lshrrev_b32_e32 v102, 16, v100
	; wave barrier
	s_delay_alu instid0(VALU_DEP_1) | instskip(NEXT) | instid1(VALU_DEP_1)
	v_lshrrev_b32_e32 v18, v10, v102
	v_and_b32_e32 v18, v18, v82
	s_delay_alu instid0(VALU_DEP_1) | instskip(SKIP_3) | instid1(VALU_DEP_4)
	v_lshlrev_b32_e32 v19, 3, v18
	v_lshlrev_b32_e32 v21, 30, v18
	;; [unrolled: 1-line block ×4, first 2 shown]
	v_add_lshl_u32 v19, v19, v87, 2
	s_delay_alu instid0(VALU_DEP_1) | instskip(NEXT) | instid1(VALU_DEP_1)
	v_add_co_u32 v70, s16, v28, v19
	v_add_co_ci_u32_e64 v71, s16, 0, v39, s16
	v_and_b32_e32 v19, 1, v18
	flat_load_b32 v84, v[70:71]
	v_add_co_u32 v19, s16, v19, -1
	s_delay_alu instid0(VALU_DEP_1) | instskip(NEXT) | instid1(VALU_DEP_1)
	v_cndmask_b32_e64 v20, 0, 1, s16
	; wave barrier
	v_cmp_ne_u32_e64 s16, 0, v20
	v_not_b32_e32 v20, v21
	s_delay_alu instid0(VALU_DEP_2) | instskip(SKIP_1) | instid1(VALU_DEP_3)
	v_xor_b32_e32 v19, s16, v19
	v_cmp_gt_i32_e64 s16, 0, v21
	v_ashrrev_i32_e32 v20, 31, v20
	v_not_b32_e32 v21, v22
	s_delay_alu instid0(VALU_DEP_4) | instskip(NEXT) | instid1(VALU_DEP_3)
	v_and_b32_e32 v19, exec_lo, v19
	v_xor_b32_e32 v20, s16, v20
	v_cmp_gt_i32_e64 s16, 0, v22
	s_delay_alu instid0(VALU_DEP_4) | instskip(SKIP_1) | instid1(VALU_DEP_4)
	v_ashrrev_i32_e32 v21, 31, v21
	v_not_b32_e32 v22, v23
	v_and_b32_e32 v19, v19, v20
	v_lshlrev_b32_e32 v20, 27, v18
	s_delay_alu instid0(VALU_DEP_4) | instskip(SKIP_2) | instid1(VALU_DEP_4)
	v_xor_b32_e32 v21, s16, v21
	v_cmp_gt_i32_e64 s16, 0, v23
	v_ashrrev_i32_e32 v22, 31, v22
	v_not_b32_e32 v23, v20
	s_delay_alu instid0(VALU_DEP_4) | instskip(SKIP_1) | instid1(VALU_DEP_4)
	v_and_b32_e32 v19, v19, v21
	v_lshlrev_b32_e32 v21, 26, v18
	v_xor_b32_e32 v22, s16, v22
	v_cmp_gt_i32_e64 s16, 0, v20
	v_ashrrev_i32_e32 v20, 31, v23
	s_delay_alu instid0(VALU_DEP_4) | instskip(NEXT) | instid1(VALU_DEP_4)
	v_not_b32_e32 v23, v21
	v_and_b32_e32 v19, v19, v22
	v_lshlrev_b32_e32 v22, 25, v18
	s_delay_alu instid0(VALU_DEP_4)
	v_xor_b32_e32 v20, s16, v20
	v_cmp_gt_i32_e64 s16, 0, v21
	v_ashrrev_i32_e32 v21, 31, v23
	v_lshlrev_b32_e32 v18, 24, v18
	v_not_b32_e32 v23, v22
	v_and_b32_e32 v19, v19, v20
	s_delay_alu instid0(VALU_DEP_4) | instskip(SKIP_1) | instid1(VALU_DEP_4)
	v_xor_b32_e32 v20, s16, v21
	v_cmp_gt_i32_e64 s16, 0, v22
	v_ashrrev_i32_e32 v21, 31, v23
	v_not_b32_e32 v22, v18
	s_delay_alu instid0(VALU_DEP_4) | instskip(NEXT) | instid1(VALU_DEP_3)
	v_and_b32_e32 v19, v19, v20
	v_xor_b32_e32 v20, s16, v21
	v_cmp_gt_i32_e64 s16, 0, v18
	s_delay_alu instid0(VALU_DEP_4) | instskip(NEXT) | instid1(VALU_DEP_3)
	v_ashrrev_i32_e32 v18, 31, v22
	v_and_b32_e32 v19, v19, v20
	s_delay_alu instid0(VALU_DEP_2) | instskip(NEXT) | instid1(VALU_DEP_1)
	v_xor_b32_e32 v18, s16, v18
	v_and_b32_e32 v18, v19, v18
	s_delay_alu instid0(VALU_DEP_1) | instskip(SKIP_1) | instid1(VALU_DEP_2)
	v_mbcnt_lo_u32_b32 v85, v18, 0
	v_cmp_ne_u32_e64 s17, 0, v18
	v_cmp_eq_u32_e64 s16, 0, v85
	s_delay_alu instid0(VALU_DEP_1) | instskip(NEXT) | instid1(SALU_CYCLE_1)
	s_and_b32 s17, s17, s16
	s_and_saveexec_b32 s16, s17
	s_cbranch_execz .LBB918_273
; %bb.272:                              ;   in Loop: Header=BB918_269 Depth=1
	s_waitcnt vmcnt(0) lgkmcnt(0)
	v_bcnt_u32_b32 v18, v18, v84
	flat_store_b32 v[70:71], v18
.LBB918_273:                            ;   in Loop: Header=BB918_269 Depth=1
	s_or_b32 exec_lo, exec_lo, s16
	v_and_b32_e32 v18, 0xffff, v101
	; wave barrier
	s_delay_alu instid0(VALU_DEP_1) | instskip(NEXT) | instid1(VALU_DEP_1)
	v_lshrrev_b32_e32 v18, v10, v18
	v_and_b32_e32 v18, v18, v82
	s_delay_alu instid0(VALU_DEP_1) | instskip(SKIP_3) | instid1(VALU_DEP_4)
	v_lshlrev_b32_e32 v19, 3, v18
	v_lshlrev_b32_e32 v21, 30, v18
	;; [unrolled: 1-line block ×4, first 2 shown]
	v_add_lshl_u32 v19, v19, v87, 2
	s_delay_alu instid0(VALU_DEP_1) | instskip(NEXT) | instid1(VALU_DEP_1)
	v_add_co_u32 v80, s16, v28, v19
	v_add_co_ci_u32_e64 v81, s16, 0, v39, s16
	v_and_b32_e32 v19, 1, v18
	flat_load_b32 v86, v[80:81]
	v_add_co_u32 v19, s16, v19, -1
	s_delay_alu instid0(VALU_DEP_1) | instskip(NEXT) | instid1(VALU_DEP_1)
	v_cndmask_b32_e64 v20, 0, 1, s16
	; wave barrier
	v_cmp_ne_u32_e64 s16, 0, v20
	v_not_b32_e32 v20, v21
	s_delay_alu instid0(VALU_DEP_2) | instskip(SKIP_1) | instid1(VALU_DEP_3)
	v_xor_b32_e32 v19, s16, v19
	v_cmp_gt_i32_e64 s16, 0, v21
	v_ashrrev_i32_e32 v20, 31, v20
	v_not_b32_e32 v21, v22
	s_delay_alu instid0(VALU_DEP_4) | instskip(NEXT) | instid1(VALU_DEP_3)
	v_and_b32_e32 v19, exec_lo, v19
	v_xor_b32_e32 v20, s16, v20
	v_cmp_gt_i32_e64 s16, 0, v22
	s_delay_alu instid0(VALU_DEP_4) | instskip(SKIP_1) | instid1(VALU_DEP_4)
	v_ashrrev_i32_e32 v21, 31, v21
	v_not_b32_e32 v22, v23
	v_and_b32_e32 v19, v19, v20
	v_lshlrev_b32_e32 v20, 27, v18
	s_delay_alu instid0(VALU_DEP_4) | instskip(SKIP_2) | instid1(VALU_DEP_4)
	v_xor_b32_e32 v21, s16, v21
	v_cmp_gt_i32_e64 s16, 0, v23
	v_ashrrev_i32_e32 v22, 31, v22
	v_not_b32_e32 v23, v20
	s_delay_alu instid0(VALU_DEP_4) | instskip(SKIP_1) | instid1(VALU_DEP_4)
	v_and_b32_e32 v19, v19, v21
	v_lshlrev_b32_e32 v21, 26, v18
	v_xor_b32_e32 v22, s16, v22
	v_cmp_gt_i32_e64 s16, 0, v20
	v_ashrrev_i32_e32 v20, 31, v23
	s_delay_alu instid0(VALU_DEP_4) | instskip(NEXT) | instid1(VALU_DEP_4)
	v_not_b32_e32 v23, v21
	v_and_b32_e32 v19, v19, v22
	v_lshlrev_b32_e32 v22, 25, v18
	s_delay_alu instid0(VALU_DEP_4)
	v_xor_b32_e32 v20, s16, v20
	v_cmp_gt_i32_e64 s16, 0, v21
	v_ashrrev_i32_e32 v21, 31, v23
	v_lshlrev_b32_e32 v18, 24, v18
	v_not_b32_e32 v23, v22
	v_and_b32_e32 v19, v19, v20
	s_delay_alu instid0(VALU_DEP_4) | instskip(SKIP_1) | instid1(VALU_DEP_4)
	v_xor_b32_e32 v20, s16, v21
	v_cmp_gt_i32_e64 s16, 0, v22
	v_ashrrev_i32_e32 v21, 31, v23
	v_not_b32_e32 v22, v18
	s_delay_alu instid0(VALU_DEP_4) | instskip(NEXT) | instid1(VALU_DEP_3)
	v_and_b32_e32 v19, v19, v20
	v_xor_b32_e32 v20, s16, v21
	v_cmp_gt_i32_e64 s16, 0, v18
	s_delay_alu instid0(VALU_DEP_4) | instskip(NEXT) | instid1(VALU_DEP_3)
	v_ashrrev_i32_e32 v18, 31, v22
	v_and_b32_e32 v19, v19, v20
	s_delay_alu instid0(VALU_DEP_2) | instskip(NEXT) | instid1(VALU_DEP_1)
	v_xor_b32_e32 v18, s16, v18
	v_and_b32_e32 v18, v19, v18
	s_delay_alu instid0(VALU_DEP_1) | instskip(SKIP_1) | instid1(VALU_DEP_2)
	v_mbcnt_lo_u32_b32 v96, v18, 0
	v_cmp_ne_u32_e64 s17, 0, v18
	v_cmp_eq_u32_e64 s16, 0, v96
	s_delay_alu instid0(VALU_DEP_1) | instskip(NEXT) | instid1(SALU_CYCLE_1)
	s_and_b32 s17, s17, s16
	s_and_saveexec_b32 s16, s17
	s_cbranch_execz .LBB918_275
; %bb.274:                              ;   in Loop: Header=BB918_269 Depth=1
	s_waitcnt vmcnt(0) lgkmcnt(0)
	v_bcnt_u32_b32 v18, v18, v86
	flat_store_b32 v[80:81], v18
.LBB918_275:                            ;   in Loop: Header=BB918_269 Depth=1
	s_or_b32 exec_lo, exec_lo, s16
	v_lshrrev_b32_e32 v103, 16, v101
	; wave barrier
	s_delay_alu instid0(VALU_DEP_1) | instskip(NEXT) | instid1(VALU_DEP_1)
	v_lshrrev_b32_e32 v18, v10, v103
	v_and_b32_e32 v18, v18, v82
	s_delay_alu instid0(VALU_DEP_1) | instskip(SKIP_3) | instid1(VALU_DEP_4)
	v_lshlrev_b32_e32 v19, 3, v18
	v_lshlrev_b32_e32 v21, 30, v18
	;; [unrolled: 1-line block ×4, first 2 shown]
	v_add_lshl_u32 v19, v19, v87, 2
	s_delay_alu instid0(VALU_DEP_1) | instskip(NEXT) | instid1(VALU_DEP_1)
	v_add_co_u32 v82, s16, v28, v19
	v_add_co_ci_u32_e64 v83, s16, 0, v39, s16
	v_and_b32_e32 v19, 1, v18
	flat_load_b32 v97, v[82:83]
	v_add_co_u32 v19, s16, v19, -1
	s_delay_alu instid0(VALU_DEP_1) | instskip(NEXT) | instid1(VALU_DEP_1)
	v_cndmask_b32_e64 v20, 0, 1, s16
	; wave barrier
	v_cmp_ne_u32_e64 s16, 0, v20
	v_not_b32_e32 v20, v21
	s_delay_alu instid0(VALU_DEP_2) | instskip(SKIP_1) | instid1(VALU_DEP_3)
	v_xor_b32_e32 v19, s16, v19
	v_cmp_gt_i32_e64 s16, 0, v21
	v_ashrrev_i32_e32 v20, 31, v20
	v_not_b32_e32 v21, v22
	s_delay_alu instid0(VALU_DEP_4) | instskip(NEXT) | instid1(VALU_DEP_3)
	v_and_b32_e32 v19, exec_lo, v19
	v_xor_b32_e32 v20, s16, v20
	v_cmp_gt_i32_e64 s16, 0, v22
	s_delay_alu instid0(VALU_DEP_4) | instskip(SKIP_1) | instid1(VALU_DEP_4)
	v_ashrrev_i32_e32 v21, 31, v21
	v_not_b32_e32 v22, v23
	v_and_b32_e32 v19, v19, v20
	v_lshlrev_b32_e32 v20, 27, v18
	s_delay_alu instid0(VALU_DEP_4) | instskip(SKIP_2) | instid1(VALU_DEP_4)
	v_xor_b32_e32 v21, s16, v21
	v_cmp_gt_i32_e64 s16, 0, v23
	v_ashrrev_i32_e32 v22, 31, v22
	v_not_b32_e32 v23, v20
	s_delay_alu instid0(VALU_DEP_4) | instskip(SKIP_1) | instid1(VALU_DEP_4)
	v_and_b32_e32 v19, v19, v21
	v_lshlrev_b32_e32 v21, 26, v18
	v_xor_b32_e32 v22, s16, v22
	v_cmp_gt_i32_e64 s16, 0, v20
	v_ashrrev_i32_e32 v20, 31, v23
	s_delay_alu instid0(VALU_DEP_4) | instskip(NEXT) | instid1(VALU_DEP_4)
	v_not_b32_e32 v23, v21
	v_and_b32_e32 v19, v19, v22
	v_lshlrev_b32_e32 v22, 25, v18
	s_delay_alu instid0(VALU_DEP_4)
	v_xor_b32_e32 v20, s16, v20
	v_cmp_gt_i32_e64 s16, 0, v21
	v_ashrrev_i32_e32 v21, 31, v23
	v_lshlrev_b32_e32 v18, 24, v18
	v_not_b32_e32 v23, v22
	v_and_b32_e32 v19, v19, v20
	s_delay_alu instid0(VALU_DEP_4) | instskip(SKIP_1) | instid1(VALU_DEP_4)
	v_xor_b32_e32 v20, s16, v21
	v_cmp_gt_i32_e64 s16, 0, v22
	v_ashrrev_i32_e32 v21, 31, v23
	v_not_b32_e32 v22, v18
	s_delay_alu instid0(VALU_DEP_4) | instskip(NEXT) | instid1(VALU_DEP_3)
	v_and_b32_e32 v19, v19, v20
	v_xor_b32_e32 v20, s16, v21
	v_cmp_gt_i32_e64 s16, 0, v18
	s_delay_alu instid0(VALU_DEP_4) | instskip(NEXT) | instid1(VALU_DEP_3)
	v_ashrrev_i32_e32 v18, 31, v22
	v_and_b32_e32 v19, v19, v20
	s_delay_alu instid0(VALU_DEP_2) | instskip(NEXT) | instid1(VALU_DEP_1)
	v_xor_b32_e32 v18, s16, v18
	v_and_b32_e32 v18, v19, v18
	s_delay_alu instid0(VALU_DEP_1) | instskip(SKIP_1) | instid1(VALU_DEP_2)
	v_mbcnt_lo_u32_b32 v113, v18, 0
	v_cmp_ne_u32_e64 s17, 0, v18
	v_cmp_eq_u32_e64 s16, 0, v113
	s_delay_alu instid0(VALU_DEP_1) | instskip(NEXT) | instid1(SALU_CYCLE_1)
	s_and_b32 s17, s17, s16
	s_and_saveexec_b32 s16, s17
	s_cbranch_execz .LBB918_277
; %bb.276:                              ;   in Loop: Header=BB918_269 Depth=1
	s_waitcnt vmcnt(0) lgkmcnt(0)
	v_bcnt_u32_b32 v18, v18, v97
	flat_store_b32 v[82:83], v18
.LBB918_277:                            ;   in Loop: Header=BB918_269 Depth=1
	s_or_b32 exec_lo, exec_lo, s16
	; wave barrier
	s_waitcnt vmcnt(0) lgkmcnt(0)
	s_waitcnt_vscnt null, 0x0
	s_barrier
	buffer_gl0_inv
	s_clause 0x1
	flat_load_b128 v[22:25], v[8:9] offset:32
	flat_load_b128 v[18:21], v[31:32] offset:16
	s_waitcnt vmcnt(1) lgkmcnt(1)
	v_add_nc_u32_e32 v112, v23, v22
	s_delay_alu instid0(VALU_DEP_1) | instskip(SKIP_1) | instid1(VALU_DEP_1)
	v_add3_u32 v112, v112, v24, v25
	s_waitcnt vmcnt(0) lgkmcnt(0)
	v_add3_u32 v112, v112, v18, v19
	s_delay_alu instid0(VALU_DEP_1) | instskip(NEXT) | instid1(VALU_DEP_1)
	v_add3_u32 v21, v112, v20, v21
	v_mov_b32_dpp v112, v21 row_shr:1 row_mask:0xf bank_mask:0xf
	s_delay_alu instid0(VALU_DEP_1) | instskip(NEXT) | instid1(VALU_DEP_1)
	v_cndmask_b32_e64 v112, v112, 0, vcc_lo
	v_add_nc_u32_e32 v21, v112, v21
	s_delay_alu instid0(VALU_DEP_1) | instskip(NEXT) | instid1(VALU_DEP_1)
	v_mov_b32_dpp v112, v21 row_shr:2 row_mask:0xf bank_mask:0xf
	v_cndmask_b32_e64 v112, 0, v112, s0
	s_delay_alu instid0(VALU_DEP_1) | instskip(NEXT) | instid1(VALU_DEP_1)
	v_add_nc_u32_e32 v21, v21, v112
	v_mov_b32_dpp v112, v21 row_shr:4 row_mask:0xf bank_mask:0xf
	s_delay_alu instid0(VALU_DEP_1) | instskip(NEXT) | instid1(VALU_DEP_1)
	v_cndmask_b32_e64 v112, 0, v112, s1
	v_add_nc_u32_e32 v21, v21, v112
	s_delay_alu instid0(VALU_DEP_1) | instskip(NEXT) | instid1(VALU_DEP_1)
	v_mov_b32_dpp v112, v21 row_shr:8 row_mask:0xf bank_mask:0xf
	v_cndmask_b32_e64 v112, 0, v112, s2
	s_delay_alu instid0(VALU_DEP_1) | instskip(SKIP_3) | instid1(VALU_DEP_1)
	v_add_nc_u32_e32 v21, v21, v112
	ds_swizzle_b32 v112, v21 offset:swizzle(BROADCAST,32,15)
	s_waitcnt lgkmcnt(0)
	v_cndmask_b32_e64 v112, v112, 0, s3
	v_add_nc_u32_e32 v21, v21, v112
	s_and_saveexec_b32 s16, s4
	s_cbranch_execz .LBB918_279
; %bb.278:                              ;   in Loop: Header=BB918_269 Depth=1
	flat_store_b32 v[33:34], v21
.LBB918_279:                            ;   in Loop: Header=BB918_269 Depth=1
	s_or_b32 exec_lo, exec_lo, s16
	s_waitcnt lgkmcnt(0)
	s_waitcnt_vscnt null, 0x0
	s_barrier
	buffer_gl0_inv
	s_and_saveexec_b32 s16, s5
	s_cbranch_execz .LBB918_281
; %bb.280:                              ;   in Loop: Header=BB918_269 Depth=1
	flat_load_b32 v112, v[35:36]
	s_waitcnt vmcnt(0) lgkmcnt(0)
	v_mov_b32_dpp v114, v112 row_shr:1 row_mask:0xf bank_mask:0xf
	s_delay_alu instid0(VALU_DEP_1) | instskip(NEXT) | instid1(VALU_DEP_1)
	v_cndmask_b32_e64 v114, v114, 0, s11
	v_add_nc_u32_e32 v112, v114, v112
	s_delay_alu instid0(VALU_DEP_1) | instskip(NEXT) | instid1(VALU_DEP_1)
	v_mov_b32_dpp v114, v112 row_shr:2 row_mask:0xf bank_mask:0xf
	v_cndmask_b32_e64 v114, 0, v114, s14
	s_delay_alu instid0(VALU_DEP_1) | instskip(NEXT) | instid1(VALU_DEP_1)
	v_add_nc_u32_e32 v112, v112, v114
	v_mov_b32_dpp v114, v112 row_shr:4 row_mask:0xf bank_mask:0xf
	s_delay_alu instid0(VALU_DEP_1) | instskip(NEXT) | instid1(VALU_DEP_1)
	v_cndmask_b32_e64 v114, 0, v114, s15
	v_add_nc_u32_e32 v112, v112, v114
	flat_store_b32 v[35:36], v112
.LBB918_281:                            ;   in Loop: Header=BB918_269 Depth=1
	s_or_b32 exec_lo, exec_lo, s16
	v_mov_b32_e32 v112, 0
	s_waitcnt lgkmcnt(0)
	s_waitcnt_vscnt null, 0x0
	s_barrier
	buffer_gl0_inv
	s_and_saveexec_b32 s16, s6
	s_cbranch_execz .LBB918_283
; %bb.282:                              ;   in Loop: Header=BB918_269 Depth=1
	flat_load_b32 v112, v[48:49]
.LBB918_283:                            ;   in Loop: Header=BB918_269 Depth=1
	s_or_b32 exec_lo, exec_lo, s16
	s_waitcnt vmcnt(0) lgkmcnt(0)
	v_add_nc_u32_e32 v21, v112, v21
	v_add_nc_u32_e32 v10, 8, v10
	s_mov_b32 s18, -1
	ds_bpermute_b32 v21, v98, v21
	s_waitcnt lgkmcnt(0)
	v_cndmask_b32_e64 v21, v21, v112, s7
	v_mov_b32_e32 v112, v100
	s_delay_alu instid0(VALU_DEP_2) | instskip(NEXT) | instid1(VALU_DEP_1)
	v_cndmask_b32_e64 v21, v21, 0, s10
	v_add_nc_u32_e32 v22, v21, v22
	s_delay_alu instid0(VALU_DEP_1) | instskip(NEXT) | instid1(VALU_DEP_1)
	v_add_nc_u32_e32 v23, v22, v23
	v_add_nc_u32_e32 v24, v23, v24
	s_delay_alu instid0(VALU_DEP_1) | instskip(NEXT) | instid1(VALU_DEP_1)
	v_add_nc_u32_e32 v114, v24, v25
	;; [unrolled: 3-line block ×3, first 2 shown]
	v_add_nc_u32_e32 v117, v116, v20
	s_clause 0x1
	flat_store_b128 v[8:9], v[21:24] offset:32
	flat_store_b128 v[31:32], v[114:117] offset:16
	s_waitcnt lgkmcnt(0)
	s_waitcnt_vscnt null, 0x0
	s_barrier
	buffer_gl0_inv
	s_clause 0x3
	flat_load_b32 v18, v[68:69]
	flat_load_b32 v19, v[70:71]
	;; [unrolled: 1-line block ×4, first 2 shown]
	v_mov_b32_e32 v81, v5
	v_mov_b32_e32 v69, v5
	;; [unrolled: 1-line block ×3, first 2 shown]
	s_waitcnt vmcnt(0) lgkmcnt(0)
	v_add_nc_u32_e32 v4, v18, v4
	v_add3_u32 v68, v85, v84, v19
	v_add3_u32 v70, v96, v86, v20
	;; [unrolled: 1-line block ×3, first 2 shown]
	s_delay_alu instid0(VALU_DEP_4) | instskip(NEXT) | instid1(VALU_DEP_4)
	v_lshlrev_b64 v[18:19], 1, v[4:5]
	v_lshlrev_b64 v[20:21], 1, v[68:69]
	s_delay_alu instid0(VALU_DEP_4) | instskip(NEXT) | instid1(VALU_DEP_4)
	v_lshlrev_b64 v[22:23], 1, v[70:71]
	v_lshlrev_b64 v[24:25], 1, v[80:81]
                                        ; implicit-def: $vgpr69
	s_delay_alu instid0(VALU_DEP_4) | instskip(NEXT) | instid1(VALU_DEP_1)
	v_add_co_u32 v81, s17, v12, v18
	v_add_co_ci_u32_e64 v82, s17, v13, v19, s17
	v_add_co_u32 v83, s17, v12, v20
	s_delay_alu instid0(VALU_DEP_1) | instskip(SKIP_1) | instid1(VALU_DEP_1)
	v_add_co_ci_u32_e64 v84, s17, v13, v21, s17
	v_add_co_u32 v85, s17, v12, v22
	v_add_co_ci_u32_e64 v86, s17, v13, v23, s17
	v_add_co_u32 v96, s17, v12, v24
	s_delay_alu instid0(VALU_DEP_1)
	v_add_co_ci_u32_e64 v97, s17, v13, v25, s17
	s_mov_b32 s17, exec_lo
                                        ; implicit-def: $vgpr18_vgpr19
                                        ; implicit-def: $vgpr20_vgpr21
                                        ; implicit-def: $vgpr22_vgpr23
                                        ; implicit-def: $vgpr24_vgpr25
	v_cmpx_lt_u32_e64 v10, v11
	s_cbranch_execz .LBB918_268
; %bb.284:                              ;   in Loop: Header=BB918_269 Depth=1
	s_barrier
	buffer_gl0_inv
	s_clause 0x3
	flat_store_b16 v[81:82], v100
	flat_store_b16 v[83:84], v102
	;; [unrolled: 1-line block ×4, first 2 shown]
	s_waitcnt lgkmcnt(0)
	s_waitcnt_vscnt null, 0x0
	s_barrier
	buffer_gl0_inv
	s_clause 0x1
	flat_load_u16 v100, v[37:38]
	flat_load_u16 v69, v[37:38] offset:128
	v_mad_u64_u32 v[18:19], null, v4, 6, v[81:82]
	v_mad_u64_u32 v[20:21], null, v68, 6, v[83:84]
	;; [unrolled: 1-line block ×4, first 2 shown]
	v_add_nc_u32_e32 v99, -8, v99
	s_xor_b32 s18, exec_lo, -1
	s_waitcnt vmcnt(1) lgkmcnt(1)
	flat_load_d16_hi_b16 v100, v[37:38] offset:64
	s_waitcnt vmcnt(1) lgkmcnt(1)
	flat_load_d16_hi_b16 v69, v[37:38] offset:192
	s_waitcnt vmcnt(0) lgkmcnt(0)
	s_barrier
	buffer_gl0_inv
	s_clause 0x3
	flat_store_b64 v[18:19], v[64:65]
	flat_store_b64 v[20:21], v[54:55]
	;; [unrolled: 1-line block ×4, first 2 shown]
	s_waitcnt lgkmcnt(0)
	s_waitcnt_vscnt null, 0x0
	s_barrier
	buffer_gl0_inv
	s_clause 0x3
	flat_load_b64 v[18:19], v[50:51]
	flat_load_b64 v[20:21], v[50:51] offset:256
	flat_load_b64 v[22:23], v[50:51] offset:512
	;; [unrolled: 1-line block ×3, first 2 shown]
	s_waitcnt vmcnt(0) lgkmcnt(0)
	s_barrier
	buffer_gl0_inv
	s_branch .LBB918_268
.LBB918_285:
	flat_load_b64 v[18:19], v[4:5]
	s_or_b32 exec_lo, exec_lo, s7
                                        ; implicit-def: $vgpr20_vgpr21
	s_and_saveexec_b32 s7, s0
	s_cbranch_execz .LBB918_163
.LBB918_286:
	flat_load_b64 v[20:21], v[4:5] offset:256
	s_or_b32 exec_lo, exec_lo, s7
                                        ; implicit-def: $vgpr22_vgpr23
	s_and_saveexec_b32 s0, s1
	s_cbranch_execz .LBB918_164
.LBB918_287:
	flat_load_b64 v[22:23], v[4:5] offset:512
	s_or_b32 exec_lo, exec_lo, s0
                                        ; implicit-def: $vgpr24_vgpr25
	s_and_saveexec_b32 s0, s2
	s_cbranch_execz .LBB918_165
.LBB918_288:
	flat_load_b64 v[24:25], v[4:5] offset:768
	s_or_b32 exec_lo, exec_lo, s0
                                        ; implicit-def: $vgpr84_vgpr85
	s_and_saveexec_b32 s0, s3
	s_cbranch_execz .LBB918_166
.LBB918_289:
	flat_load_b64 v[84:85], v[4:5] offset:1024
	s_or_b32 exec_lo, exec_lo, s0
                                        ; implicit-def: $vgpr86_vgpr87
	s_and_saveexec_b32 s0, s4
	s_cbranch_execz .LBB918_167
.LBB918_290:
	flat_load_b64 v[86:87], v[4:5] offset:1280
	s_or_b32 exec_lo, exec_lo, s0
                                        ; implicit-def: $vgpr96_vgpr97
	s_and_saveexec_b32 s0, s5
	s_cbranch_execz .LBB918_168
.LBB918_291:
	flat_load_b64 v[96:97], v[4:5] offset:1536
	s_or_b32 exec_lo, exec_lo, s0
                                        ; implicit-def: $vgpr98_vgpr99
	s_and_saveexec_b32 s0, s6
	s_cbranch_execnz .LBB918_169
	s_branch .LBB918_170
.LBB918_292:
	flat_store_b64 v[0:1], v[20:21]
	s_or_b32 exec_lo, exec_lo, s7
	s_and_saveexec_b32 s7, s2
	s_cbranch_execz .LBB918_244
.LBB918_293:
	flat_store_b64 v[0:1], v[18:19] offset:2048
	s_or_b32 exec_lo, exec_lo, s7
	s_and_saveexec_b32 s2, s6
	s_cbranch_execz .LBB918_245
.LBB918_294:
	v_add_co_u32 v2, vcc_lo, 0x1000, v0
	v_add_co_ci_u32_e32 v3, vcc_lo, 0, v1, vcc_lo
	flat_store_b64 v[2:3], v[16:17]
	s_or_b32 exec_lo, exec_lo, s2
	s_and_saveexec_b32 s2, s5
	s_cbranch_execz .LBB918_246
.LBB918_295:
	v_add_co_u32 v2, vcc_lo, 0x1000, v0
	v_add_co_ci_u32_e32 v3, vcc_lo, 0, v1, vcc_lo
	flat_store_b64 v[2:3], v[14:15] offset:2048
	s_or_b32 exec_lo, exec_lo, s2
	s_and_saveexec_b32 s2, s4
	s_cbranch_execz .LBB918_247
.LBB918_296:
	v_add_co_u32 v2, vcc_lo, 0x2000, v0
	v_add_co_ci_u32_e32 v3, vcc_lo, 0, v1, vcc_lo
	flat_store_b64 v[2:3], v[12:13]
	s_or_b32 exec_lo, exec_lo, s2
	s_and_saveexec_b32 s2, s3
	s_cbranch_execz .LBB918_248
.LBB918_297:
	v_add_co_u32 v2, vcc_lo, 0x2000, v0
	v_add_co_ci_u32_e32 v3, vcc_lo, 0, v1, vcc_lo
	flat_store_b64 v[2:3], v[10:11] offset:2048
	s_or_b32 exec_lo, exec_lo, s2
	s_and_saveexec_b32 s2, s1
	s_cbranch_execz .LBB918_249
.LBB918_298:
	v_add_co_u32 v2, vcc_lo, 0x3000, v0
	v_add_co_ci_u32_e32 v3, vcc_lo, 0, v1, vcc_lo
	flat_store_b64 v[2:3], v[8:9]
	s_or_b32 exec_lo, exec_lo, s2
	s_and_saveexec_b32 s1, s0
	s_cbranch_execnz .LBB918_250
	s_branch .LBB918_251
.LBB918_299:
	s_or_b32 exec_lo, exec_lo, s20
	v_dual_mov_b32 v28, 0 :: v_dual_lshlrev_b32 v5, 1, v26
	v_mad_u64_u32 v[10:11], null, v4, 6, v[81:82]
	v_mad_u64_u32 v[18:19], null, v80, 6, v[96:97]
	s_delay_alu instid0(VALU_DEP_3) | instskip(SKIP_3) | instid1(VALU_DEP_3)
	v_add_co_u32 v8, vcc_lo, v12, v5
	v_add_co_ci_u32_e32 v9, vcc_lo, 0, v13, vcc_lo
	v_mad_u64_u32 v[4:5], null, v68, 6, v[83:84]
	v_mad_u64_u32 v[12:13], null, v70, 6, v[85:86]
	;; [unrolled: 1-line block ×3, first 2 shown]
	s_barrier
	buffer_gl0_inv
	s_clause 0x3
	flat_store_b16 v[81:82], v112
	flat_store_b16 v[83:84], v102
	;; [unrolled: 1-line block ×4, first 2 shown]
	s_waitcnt lgkmcnt(0)
	s_waitcnt_vscnt null, 0x0
	s_barrier
	buffer_gl0_inv
	s_clause 0x3
	flat_load_u16 v17, v[8:9]
	flat_load_u16 v16, v[8:9] offset:512
	flat_load_u16 v15, v[8:9] offset:1024
	;; [unrolled: 1-line block ×3, first 2 shown]
	s_waitcnt vmcnt(0) lgkmcnt(0)
	s_barrier
	buffer_gl0_inv
	s_clause 0x3
	flat_store_b64 v[10:11], v[64:65]
	flat_store_b64 v[4:5], v[54:55]
	flat_store_b64 v[12:13], v[52:53]
	flat_store_b64 v[18:19], v[66:67]
	v_add_co_u32 v4, vcc_lo, 0x1000, v20
	v_add_co_ci_u32_e32 v5, vcc_lo, 0, v21, vcc_lo
	s_waitcnt lgkmcnt(0)
	s_waitcnt_vscnt null, 0x0
	s_barrier
	buffer_gl0_inv
	s_clause 0x3
	flat_load_b64 v[12:13], v[20:21]
	flat_load_b64 v[10:11], v[20:21] offset:2048
	flat_load_b64 v[8:9], v[4:5]
	flat_load_b64 v[4:5], v[4:5] offset:2048
	v_lshlrev_b64 v[18:19], 1, v[27:28]
	v_add_co_u32 v2, vcc_lo, v2, v29
	v_add_co_ci_u32_e32 v3, vcc_lo, v3, v30, vcc_lo
	s_waitcnt vmcnt(0) lgkmcnt(0)
	s_delay_alu instid0(VALU_DEP_2) | instskip(NEXT) | instid1(VALU_DEP_2)
	v_add_co_u32 v2, vcc_lo, v2, v18
	v_add_co_ci_u32_e32 v3, vcc_lo, v3, v19, vcc_lo
	v_cmp_lt_u32_e32 vcc_lo, v27, v47
	s_barrier
	buffer_gl0_inv
	s_and_saveexec_b32 s0, vcc_lo
	s_cbranch_execz .LBB918_301
; %bb.300:
	v_xor_b32_e32 v17, 0x7fff, v17
	flat_store_b16 v[2:3], v17
.LBB918_301:
	s_or_b32 exec_lo, exec_lo, s0
	v_add_nc_u32_e32 v17, 0x100, v27
	s_delay_alu instid0(VALU_DEP_1) | instskip(NEXT) | instid1(VALU_DEP_1)
	v_cmp_lt_u32_e64 s0, v17, v47
	s_and_saveexec_b32 s1, s0
	s_cbranch_execz .LBB918_303
; %bb.302:
	v_xor_b32_e32 v16, 0x7fff, v16
	flat_store_b16 v[2:3], v16 offset:512
.LBB918_303:
	s_or_b32 exec_lo, exec_lo, s1
	v_add_nc_u32_e32 v16, 0x200, v27
	s_delay_alu instid0(VALU_DEP_1) | instskip(NEXT) | instid1(VALU_DEP_1)
	v_cmp_lt_u32_e64 s2, v16, v47
	s_and_saveexec_b32 s1, s2
	s_cbranch_execz .LBB918_305
; %bb.304:
	v_xor_b32_e32 v15, 0x7fff, v15
	flat_store_b16 v[2:3], v15 offset:1024
.LBB918_305:
	;; [unrolled: 10-line block ×3, first 2 shown]
	s_or_b32 exec_lo, exec_lo, s3
	v_lshlrev_b64 v[2:3], 3, v[27:28]
	v_add_co_u32 v0, s3, v6, v0
	s_delay_alu instid0(VALU_DEP_1) | instskip(NEXT) | instid1(VALU_DEP_2)
	v_add_co_ci_u32_e64 v1, s3, v7, v1, s3
	v_add_co_u32 v0, s3, v0, v2
	s_delay_alu instid0(VALU_DEP_1)
	v_add_co_ci_u32_e64 v1, s3, v1, v3, s3
	s_and_saveexec_b32 s3, vcc_lo
	s_cbranch_execnz .LBB918_340
; %bb.308:
	s_or_b32 exec_lo, exec_lo, s3
	s_and_saveexec_b32 s3, s0
	s_cbranch_execnz .LBB918_341
.LBB918_309:
	s_or_b32 exec_lo, exec_lo, s3
	s_and_saveexec_b32 s0, s2
	s_cbranch_execnz .LBB918_342
.LBB918_310:
	s_or_b32 exec_lo, exec_lo, s0
	s_and_saveexec_b32 s0, s1
	s_cbranch_execz .LBB918_312
.LBB918_311:
	v_add_co_u32 v0, vcc_lo, 0x1000, v0
	v_add_co_ci_u32_e32 v1, vcc_lo, 0, v1, vcc_lo
	flat_store_b64 v[0:1], v[4:5] offset:2048
.LBB918_312:
	s_or_b32 exec_lo, exec_lo, s0
                                        ; implicit-def: $vgpr47
                                        ; implicit-def: $vgpr0
                                        ; implicit-def: $vgpr1
                                        ; implicit-def: $vgpr2
                                        ; implicit-def: $vgpr3
                                        ; implicit-def: $vgpr4
                                        ; implicit-def: $vgpr5
                                        ; implicit-def: $vgpr6
                                        ; implicit-def: $vgpr7
                                        ; implicit-def: $vgpr8
                                        ; implicit-def: $vgpr10
                                        ; implicit-def: $vgpr11
                                        ; implicit-def: $vgpr12
                                        ; implicit-def: $vgpr13
                                        ; implicit-def: $vgpr14
                                        ; implicit-def: $vgpr15
                                        ; implicit-def: $vgpr26
                                        ; implicit-def: $vgpr35
.LBB918_313:
	s_and_not1_saveexec_b32 s0, s19
	s_cbranch_execz .LBB918_372
; %bb.314:
	s_load_b64 s[0:1], s[8:9], 0x0
	v_mov_b32_e32 v9, 0
	s_delay_alu instid0(VALU_DEP_1) | instskip(SKIP_3) | instid1(SALU_CYCLE_1)
	v_lshlrev_b64 v[29:30], 1, v[8:9]
	s_waitcnt lgkmcnt(0)
	s_cmp_lt_u32 s13, s1
	s_cselect_b32 s1, 14, 20
	s_add_u32 s2, s8, s1
	s_addc_u32 s3, s9, 0
	s_cmp_lt_u32 s12, s0
	global_load_u16 v16, v9, s[2:3]
	s_cselect_b32 s0, 12, 18
	s_delay_alu instid0(SALU_CYCLE_1)
	s_add_u32 s0, s8, s0
	s_addc_u32 s1, s9, 0
	global_load_u16 v17, v9, s[0:1]
	s_mov_b32 s0, exec_lo
	s_waitcnt vmcnt(1)
	v_mad_u32_u24 v14, v15, v16, v14
	s_waitcnt vmcnt(0)
	s_delay_alu instid0(VALU_DEP_1)
	v_mad_u64_u32 v[27:28], null, v14, v17, v[26:27]
	v_cmpx_lt_u32_e32 0x100, v47
	s_xor_b32 s15, exec_lo, s0
	s_cbranch_execz .LBB918_352
; %bb.315:
	s_delay_alu instid0(VALU_DEP_2) | instskip(SKIP_2) | instid1(VALU_DEP_3)
	v_dual_mov_b32 v15, v9 :: v_dual_lshlrev_b32 v14, 1, v27
	v_lshlrev_b32_e32 v16, 1, v35
	v_add_co_u32 v17, vcc_lo, v0, v29
	v_and_b32_e32 v14, 0xffffffc0, v14
	v_add_co_ci_u32_e32 v18, vcc_lo, v1, v30, vcc_lo
	s_delay_alu instid0(VALU_DEP_3) | instskip(NEXT) | instid1(VALU_DEP_3)
	v_add_co_u32 v16, vcc_lo, v17, v16
	v_lshlrev_b64 v[0:1], 1, v[14:15]
	s_delay_alu instid0(VALU_DEP_3) | instskip(SKIP_1) | instid1(VALU_DEP_3)
	v_add_co_ci_u32_e32 v18, vcc_lo, 0, v18, vcc_lo
	v_or_b32_e32 v17, v35, v14
	v_add_co_u32 v0, vcc_lo, v16, v0
	s_delay_alu instid0(VALU_DEP_3) | instskip(NEXT) | instid1(VALU_DEP_3)
	v_add_co_ci_u32_e32 v1, vcc_lo, v18, v1, vcc_lo
	v_cmp_lt_u32_e32 vcc_lo, v17, v47
	v_mov_b32_e32 v16, 0x80008000
	s_and_saveexec_b32 s0, vcc_lo
	s_cbranch_execz .LBB918_317
; %bb.316:
	v_bfrev_b32_e32 v16, 1
	flat_load_d16_b16 v16, v[0:1]
.LBB918_317:
	s_or_b32 exec_lo, exec_lo, s0
	v_or_b32_e32 v17, 32, v17
	s_delay_alu instid0(VALU_DEP_1) | instskip(NEXT) | instid1(VALU_DEP_1)
	v_cmp_lt_u32_e64 s0, v17, v47
	s_and_saveexec_b32 s1, s0
	s_cbranch_execz .LBB918_319
; %bb.318:
	s_waitcnt vmcnt(0) lgkmcnt(0)
	flat_load_d16_hi_b16 v16, v[0:1] offset:64
.LBB918_319:
	s_or_b32 exec_lo, exec_lo, s1
	v_lshlrev_b64 v[0:1], 3, v[8:9]
	v_lshlrev_b32_e32 v8, 3, v35
                                        ; implicit-def: $vgpr18_vgpr19
	s_delay_alu instid0(VALU_DEP_2) | instskip(NEXT) | instid1(VALU_DEP_1)
	v_add_co_u32 v9, s1, v4, v0
	v_add_co_ci_u32_e64 v17, s1, v5, v1, s1
	v_lshlrev_b64 v[4:5], 3, v[14:15]
	s_delay_alu instid0(VALU_DEP_3) | instskip(NEXT) | instid1(VALU_DEP_1)
	v_add_co_u32 v8, s1, v9, v8
	v_add_co_ci_u32_e64 v9, s1, 0, v17, s1
	s_delay_alu instid0(VALU_DEP_2) | instskip(NEXT) | instid1(VALU_DEP_1)
	v_add_co_u32 v4, s1, v8, v4
	v_add_co_ci_u32_e64 v5, s1, v9, v5, s1
	s_and_saveexec_b32 s1, vcc_lo
	s_cbranch_execz .LBB918_321
; %bb.320:
	flat_load_b64 v[18:19], v[4:5]
.LBB918_321:
	s_or_b32 exec_lo, exec_lo, s1
                                        ; implicit-def: $vgpr20_vgpr21
	s_and_saveexec_b32 s1, s0
	s_cbranch_execz .LBB918_323
; %bb.322:
	flat_load_b64 v[20:21], v[4:5] offset:256
.LBB918_323:
	s_or_b32 exec_lo, exec_lo, s1
	v_dual_mov_b32 v5, 0 :: v_dual_lshlrev_b32 v4, 5, v26
	s_mov_b32 s16, 0
	s_waitcnt vmcnt(0) lgkmcnt(0)
	v_xor_b32_e32 v28, 0x7fff7fff, v16
	v_add_co_u32 v39, vcc_lo, v12, 32
	s_mov_b32 s17, s16
	s_mov_b32 s18, s16
	;; [unrolled: 1-line block ×3, first 2 shown]
	v_add_nc_u32_e32 v16, -1, v35
	v_and_b32_e32 v15, 0x3e0, v26
	v_add_co_ci_u32_e32 v68, vcc_lo, 0, v13, vcc_lo
	v_add_co_u32 v8, vcc_lo, v12, v4
	v_add_co_ci_u32_e32 v9, vcc_lo, 0, v13, vcc_lo
	v_and_b32_e32 v14, 15, v35
	v_cmp_gt_i32_e64 s4, 0, v16
	v_add_co_u32 v31, vcc_lo, v39, v4
	v_min_u32_e32 v4, 0xe0, v15
	v_and_b32_e32 v15, 16, v35
	s_getpc_b64 s[0:1]
	s_add_u32 s0, s0, _ZN7rocprim17ROCPRIM_400000_NS16block_radix_sortIsLj256ELj2ElLj1ELj1ELj8ELNS0_26block_radix_rank_algorithmE2ELNS0_18block_padding_hintE2ELNS0_4arch9wavefront6targetE0EE19radix_bits_per_passE@rel32@lo+4
	s_addc_u32 s1, s1, _ZN7rocprim17ROCPRIM_400000_NS16block_radix_sortIsLj256ELj2ElLj1ELj1ELj8ELNS0_26block_radix_rank_algorithmE2ELNS0_18block_padding_hintE2ELNS0_4arch9wavefront6targetE0EE19radix_bits_per_passE@rel32@hi+12
	v_add_co_ci_u32_e32 v32, vcc_lo, 0, v68, vcc_lo
	s_load_b32 s20, s[0:1], 0x0
	v_cmp_eq_u32_e32 vcc_lo, 0, v14
	v_cmp_lt_u32_e64 s0, 1, v14
	v_cmp_lt_u32_e64 s1, 3, v14
	;; [unrolled: 1-line block ×3, first 2 shown]
	v_cndmask_b32_e64 v14, v16, v35, s4
	v_lshlrev_b32_e32 v16, 1, v26
	v_or_b32_e32 v4, 31, v4
	v_cmp_eq_u32_e64 s3, 0, v15
	v_lshrrev_b32_e32 v15, 5, v26
	v_lshlrev_b32_e32 v70, 2, v14
	v_and_or_b32 v16, 0x7c0, v16, v35
	v_cmp_eq_u32_e64 s4, v4, v26
	v_lshlrev_b32_e32 v14, 2, v26
	v_lshlrev_b32_e32 v4, 2, v15
	v_cmp_eq_u32_e64 s7, 0, v35
	v_lshlrev_b32_e32 v22, 1, v16
	v_and_b32_e32 v17, 7, v35
	v_lshrrev_b32_e32 v69, 5, v27
	v_add_co_u32 v33, s9, v12, v4
	v_add_nc_u32_e32 v4, -1, v15
	v_add_co_ci_u32_e64 v34, s9, 0, v13, s9
	v_add_co_u32 v37, s12, v12, v22
	v_add_co_u32 v35, s9, v12, v14
	s_delay_alu instid0(VALU_DEP_4) | instskip(SKIP_3) | instid1(VALU_DEP_4)
	v_lshlrev_b64 v[14:15], 2, v[4:5]
	v_add_co_ci_u32_e64 v38, s12, 0, v13, s12
	v_add_co_ci_u32_e64 v36, s9, 0, v13, s9
	v_cmp_eq_u32_e64 s9, 0, v17
	v_add_co_u32 v48, s12, v12, v14
	s_delay_alu instid0(VALU_DEP_4)
	v_mad_u64_u32 v[50:51], null, v16, 6, v[37:38]
	v_cmp_lt_u32_e64 s10, 1, v17
	v_cmp_lt_u32_e64 s11, 3, v17
	v_add_co_ci_u32_e64 v49, s12, v13, v15, s12
	v_dual_mov_b32 v14, s16 :: v_dual_mov_b32 v15, s17
	v_cmp_gt_u32_e64 s5, 8, v26
	v_cmp_lt_u32_e64 s6, 31, v26
	v_cmp_eq_u32_e64 s8, 0, v26
	v_sub_nc_u32_e32 v71, v11, v10
	v_dual_mov_b32 v16, s18 :: v_dual_mov_b32 v17, s19
	s_waitcnt lgkmcnt(0)
	s_waitcnt_vscnt null, 0x0
	s_barrier
	buffer_gl0_inv
	s_branch .LBB918_325
.LBB918_324:                            ;   in Loop: Header=BB918_325 Depth=1
	s_or_b32 exec_lo, exec_lo, s13
	s_delay_alu instid0(SALU_CYCLE_1) | instskip(NEXT) | instid1(SALU_CYCLE_1)
	s_and_b32 s12, exec_lo, s14
	s_or_b32 s16, s12, s16
	s_delay_alu instid0(SALU_CYCLE_1)
	s_and_not1_b32 exec_lo, exec_lo, s16
	s_cbranch_execz .LBB918_343
.LBB918_325:                            ; =>This Inner Loop Header: Depth=1
	v_min_u32_e32 v4, s20, v71
	v_and_b32_e32 v22, 0xffff, v28
	s_clause 0x1
	flat_store_b128 v[8:9], v[14:17] offset:32
	flat_store_b128 v[31:32], v[14:17] offset:16
	s_waitcnt lgkmcnt(0)
	s_waitcnt_vscnt null, 0x0
	s_barrier
	v_lshlrev_b32_e64 v4, v4, -1
	v_lshrrev_b32_e32 v23, v10, v22
	buffer_gl0_inv
	; wave barrier
	v_not_b32_e32 v22, v4
	s_delay_alu instid0(VALU_DEP_1) | instskip(NEXT) | instid1(VALU_DEP_1)
	v_and_b32_e32 v4, v23, v22
	v_and_b32_e32 v23, 1, v4
	v_lshlrev_b32_e32 v24, 30, v4
	v_lshlrev_b32_e32 v25, 29, v4
	;; [unrolled: 1-line block ×4, first 2 shown]
	v_add_co_u32 v23, s12, v23, -1
	s_delay_alu instid0(VALU_DEP_1)
	v_cndmask_b32_e64 v53, 0, 1, s12
	v_not_b32_e32 v65, v24
	v_cmp_gt_i32_e64 s13, 0, v24
	v_not_b32_e32 v24, v25
	v_lshlrev_b32_e32 v55, 26, v4
	v_cmp_ne_u32_e64 s12, 0, v53
	v_ashrrev_i32_e32 v65, 31, v65
	v_lshlrev_b32_e32 v64, 25, v4
	v_ashrrev_i32_e32 v24, 31, v24
	v_lshlrev_b32_e32 v53, 24, v4
	v_xor_b32_e32 v23, s12, v23
	v_cmp_gt_i32_e64 s12, 0, v25
	v_not_b32_e32 v25, v52
	v_xor_b32_e32 v65, s13, v65
	v_cmp_gt_i32_e64 s13, 0, v52
	v_and_b32_e32 v23, exec_lo, v23
	v_not_b32_e32 v52, v54
	v_ashrrev_i32_e32 v25, 31, v25
	v_xor_b32_e32 v24, s12, v24
	v_cmp_gt_i32_e64 s12, 0, v54
	v_and_b32_e32 v23, v23, v65
	v_not_b32_e32 v54, v55
	v_ashrrev_i32_e32 v52, 31, v52
	v_xor_b32_e32 v25, s13, v25
	v_cmp_gt_i32_e64 s13, 0, v55
	v_and_b32_e32 v23, v23, v24
	;; [unrolled: 5-line block ×4, first 2 shown]
	v_ashrrev_i32_e32 v25, 31, v25
	v_xor_b32_e32 v24, s12, v24
	v_dual_mov_b32 v53, v21 :: v_dual_mov_b32 v52, v20
	s_delay_alu instid0(VALU_DEP_4) | instskip(NEXT) | instid1(VALU_DEP_4)
	v_and_b32_e32 v23, v23, v54
	v_xor_b32_e32 v25, s13, v25
	v_dual_mov_b32 v55, v19 :: v_dual_mov_b32 v54, v18
	v_lshlrev_b32_e32 v18, 3, v4
	s_delay_alu instid0(VALU_DEP_4) | instskip(NEXT) | instid1(VALU_DEP_2)
	v_and_b32_e32 v23, v23, v24
	v_add_lshl_u32 v18, v18, v69, 2
	s_delay_alu instid0(VALU_DEP_2) | instskip(NEXT) | instid1(VALU_DEP_2)
	v_and_b32_e32 v20, v23, v25
	v_add_co_u32 v64, s14, v39, v18
	s_delay_alu instid0(VALU_DEP_2) | instskip(SKIP_2) | instid1(VALU_DEP_3)
	v_mbcnt_lo_u32_b32 v4, v20, 0
	v_cmp_ne_u32_e64 s12, 0, v20
	v_add_co_ci_u32_e64 v65, s14, 0, v68, s14
	v_cmp_eq_u32_e64 s13, 0, v4
	s_delay_alu instid0(VALU_DEP_1) | instskip(NEXT) | instid1(SALU_CYCLE_1)
	s_and_b32 s13, s12, s13
	s_and_saveexec_b32 s12, s13
	s_cbranch_execz .LBB918_327
; %bb.326:                              ;   in Loop: Header=BB918_325 Depth=1
	v_bcnt_u32_b32 v18, v20, 0
	flat_store_b32 v[64:65], v18
.LBB918_327:                            ;   in Loop: Header=BB918_325 Depth=1
	s_or_b32 exec_lo, exec_lo, s12
	v_lshrrev_b32_e32 v80, 16, v28
	; wave barrier
	s_delay_alu instid0(VALU_DEP_1) | instskip(NEXT) | instid1(VALU_DEP_1)
	v_lshrrev_b32_e32 v18, v10, v80
	v_and_b32_e32 v18, v18, v22
	s_delay_alu instid0(VALU_DEP_1) | instskip(SKIP_3) | instid1(VALU_DEP_4)
	v_lshlrev_b32_e32 v19, 3, v18
	v_lshlrev_b32_e32 v21, 30, v18
	;; [unrolled: 1-line block ×4, first 2 shown]
	v_add_lshl_u32 v19, v19, v69, 2
	s_delay_alu instid0(VALU_DEP_1) | instskip(NEXT) | instid1(VALU_DEP_1)
	v_add_co_u32 v66, s12, v39, v19
	v_add_co_ci_u32_e64 v67, s12, 0, v68, s12
	v_and_b32_e32 v19, 1, v18
	flat_load_b32 v81, v[66:67]
	v_add_co_u32 v19, s12, v19, -1
	s_delay_alu instid0(VALU_DEP_1) | instskip(NEXT) | instid1(VALU_DEP_1)
	v_cndmask_b32_e64 v20, 0, 1, s12
	; wave barrier
	v_cmp_ne_u32_e64 s12, 0, v20
	v_not_b32_e32 v20, v21
	s_delay_alu instid0(VALU_DEP_2) | instskip(SKIP_1) | instid1(VALU_DEP_3)
	v_xor_b32_e32 v19, s12, v19
	v_cmp_gt_i32_e64 s12, 0, v21
	v_ashrrev_i32_e32 v20, 31, v20
	v_not_b32_e32 v21, v22
	s_delay_alu instid0(VALU_DEP_4) | instskip(NEXT) | instid1(VALU_DEP_3)
	v_and_b32_e32 v19, exec_lo, v19
	v_xor_b32_e32 v20, s12, v20
	v_cmp_gt_i32_e64 s12, 0, v22
	s_delay_alu instid0(VALU_DEP_4) | instskip(SKIP_1) | instid1(VALU_DEP_4)
	v_ashrrev_i32_e32 v21, 31, v21
	v_not_b32_e32 v22, v23
	v_and_b32_e32 v19, v19, v20
	v_lshlrev_b32_e32 v20, 27, v18
	s_delay_alu instid0(VALU_DEP_4) | instskip(SKIP_2) | instid1(VALU_DEP_4)
	v_xor_b32_e32 v21, s12, v21
	v_cmp_gt_i32_e64 s12, 0, v23
	v_ashrrev_i32_e32 v22, 31, v22
	v_not_b32_e32 v23, v20
	s_delay_alu instid0(VALU_DEP_4) | instskip(SKIP_1) | instid1(VALU_DEP_4)
	v_and_b32_e32 v19, v19, v21
	v_lshlrev_b32_e32 v21, 26, v18
	v_xor_b32_e32 v22, s12, v22
	v_cmp_gt_i32_e64 s12, 0, v20
	v_ashrrev_i32_e32 v20, 31, v23
	s_delay_alu instid0(VALU_DEP_4) | instskip(NEXT) | instid1(VALU_DEP_4)
	v_not_b32_e32 v23, v21
	v_and_b32_e32 v19, v19, v22
	v_lshlrev_b32_e32 v22, 25, v18
	s_delay_alu instid0(VALU_DEP_4)
	v_xor_b32_e32 v20, s12, v20
	v_cmp_gt_i32_e64 s12, 0, v21
	v_ashrrev_i32_e32 v21, 31, v23
	v_lshlrev_b32_e32 v18, 24, v18
	v_not_b32_e32 v23, v22
	v_and_b32_e32 v19, v19, v20
	s_delay_alu instid0(VALU_DEP_4) | instskip(SKIP_1) | instid1(VALU_DEP_4)
	v_xor_b32_e32 v20, s12, v21
	v_cmp_gt_i32_e64 s12, 0, v22
	v_ashrrev_i32_e32 v21, 31, v23
	v_not_b32_e32 v22, v18
	s_delay_alu instid0(VALU_DEP_4) | instskip(NEXT) | instid1(VALU_DEP_3)
	v_and_b32_e32 v19, v19, v20
	v_xor_b32_e32 v20, s12, v21
	v_cmp_gt_i32_e64 s12, 0, v18
	s_delay_alu instid0(VALU_DEP_4) | instskip(NEXT) | instid1(VALU_DEP_3)
	v_ashrrev_i32_e32 v18, 31, v22
	v_and_b32_e32 v19, v19, v20
	s_delay_alu instid0(VALU_DEP_2) | instskip(NEXT) | instid1(VALU_DEP_1)
	v_xor_b32_e32 v18, s12, v18
	v_and_b32_e32 v18, v19, v18
	s_delay_alu instid0(VALU_DEP_1) | instskip(SKIP_1) | instid1(VALU_DEP_2)
	v_mbcnt_lo_u32_b32 v82, v18, 0
	v_cmp_ne_u32_e64 s13, 0, v18
	v_cmp_eq_u32_e64 s12, 0, v82
	s_delay_alu instid0(VALU_DEP_1) | instskip(NEXT) | instid1(SALU_CYCLE_1)
	s_and_b32 s13, s13, s12
	s_and_saveexec_b32 s12, s13
	s_cbranch_execz .LBB918_329
; %bb.328:                              ;   in Loop: Header=BB918_325 Depth=1
	s_waitcnt vmcnt(0) lgkmcnt(0)
	v_bcnt_u32_b32 v18, v18, v81
	flat_store_b32 v[66:67], v18
.LBB918_329:                            ;   in Loop: Header=BB918_325 Depth=1
	s_or_b32 exec_lo, exec_lo, s12
	; wave barrier
	s_waitcnt vmcnt(0) lgkmcnt(0)
	s_waitcnt_vscnt null, 0x0
	s_barrier
	buffer_gl0_inv
	s_clause 0x1
	flat_load_b128 v[22:25], v[8:9] offset:32
	flat_load_b128 v[18:21], v[31:32] offset:16
	s_waitcnt vmcnt(1) lgkmcnt(1)
	v_add_nc_u32_e32 v83, v23, v22
	s_delay_alu instid0(VALU_DEP_1) | instskip(SKIP_1) | instid1(VALU_DEP_1)
	v_add3_u32 v83, v83, v24, v25
	s_waitcnt vmcnt(0) lgkmcnt(0)
	v_add3_u32 v83, v83, v18, v19
	s_delay_alu instid0(VALU_DEP_1) | instskip(NEXT) | instid1(VALU_DEP_1)
	v_add3_u32 v21, v83, v20, v21
	v_mov_b32_dpp v83, v21 row_shr:1 row_mask:0xf bank_mask:0xf
	s_delay_alu instid0(VALU_DEP_1) | instskip(NEXT) | instid1(VALU_DEP_1)
	v_cndmask_b32_e64 v83, v83, 0, vcc_lo
	v_add_nc_u32_e32 v21, v83, v21
	s_delay_alu instid0(VALU_DEP_1) | instskip(NEXT) | instid1(VALU_DEP_1)
	v_mov_b32_dpp v83, v21 row_shr:2 row_mask:0xf bank_mask:0xf
	v_cndmask_b32_e64 v83, 0, v83, s0
	s_delay_alu instid0(VALU_DEP_1) | instskip(NEXT) | instid1(VALU_DEP_1)
	v_add_nc_u32_e32 v21, v21, v83
	v_mov_b32_dpp v83, v21 row_shr:4 row_mask:0xf bank_mask:0xf
	s_delay_alu instid0(VALU_DEP_1) | instskip(NEXT) | instid1(VALU_DEP_1)
	v_cndmask_b32_e64 v83, 0, v83, s1
	v_add_nc_u32_e32 v21, v21, v83
	s_delay_alu instid0(VALU_DEP_1) | instskip(NEXT) | instid1(VALU_DEP_1)
	v_mov_b32_dpp v83, v21 row_shr:8 row_mask:0xf bank_mask:0xf
	v_cndmask_b32_e64 v83, 0, v83, s2
	s_delay_alu instid0(VALU_DEP_1) | instskip(SKIP_3) | instid1(VALU_DEP_1)
	v_add_nc_u32_e32 v21, v21, v83
	ds_swizzle_b32 v83, v21 offset:swizzle(BROADCAST,32,15)
	s_waitcnt lgkmcnt(0)
	v_cndmask_b32_e64 v83, v83, 0, s3
	v_add_nc_u32_e32 v21, v21, v83
	s_and_saveexec_b32 s12, s4
	s_cbranch_execz .LBB918_331
; %bb.330:                              ;   in Loop: Header=BB918_325 Depth=1
	flat_store_b32 v[33:34], v21
.LBB918_331:                            ;   in Loop: Header=BB918_325 Depth=1
	s_or_b32 exec_lo, exec_lo, s12
	s_waitcnt lgkmcnt(0)
	s_waitcnt_vscnt null, 0x0
	s_barrier
	buffer_gl0_inv
	s_and_saveexec_b32 s12, s5
	s_cbranch_execz .LBB918_333
; %bb.332:                              ;   in Loop: Header=BB918_325 Depth=1
	flat_load_b32 v83, v[35:36]
	s_waitcnt vmcnt(0) lgkmcnt(0)
	v_mov_b32_dpp v84, v83 row_shr:1 row_mask:0xf bank_mask:0xf
	s_delay_alu instid0(VALU_DEP_1) | instskip(NEXT) | instid1(VALU_DEP_1)
	v_cndmask_b32_e64 v84, v84, 0, s9
	v_add_nc_u32_e32 v83, v84, v83
	s_delay_alu instid0(VALU_DEP_1) | instskip(NEXT) | instid1(VALU_DEP_1)
	v_mov_b32_dpp v84, v83 row_shr:2 row_mask:0xf bank_mask:0xf
	v_cndmask_b32_e64 v84, 0, v84, s10
	s_delay_alu instid0(VALU_DEP_1) | instskip(NEXT) | instid1(VALU_DEP_1)
	v_add_nc_u32_e32 v83, v83, v84
	v_mov_b32_dpp v84, v83 row_shr:4 row_mask:0xf bank_mask:0xf
	s_delay_alu instid0(VALU_DEP_1) | instskip(NEXT) | instid1(VALU_DEP_1)
	v_cndmask_b32_e64 v84, 0, v84, s11
	v_add_nc_u32_e32 v83, v83, v84
	flat_store_b32 v[35:36], v83
.LBB918_333:                            ;   in Loop: Header=BB918_325 Depth=1
	s_or_b32 exec_lo, exec_lo, s12
	v_mov_b32_e32 v83, 0
	s_waitcnt lgkmcnt(0)
	s_waitcnt_vscnt null, 0x0
	s_barrier
	buffer_gl0_inv
	s_and_saveexec_b32 s12, s6
	s_cbranch_execz .LBB918_335
; %bb.334:                              ;   in Loop: Header=BB918_325 Depth=1
	flat_load_b32 v83, v[48:49]
.LBB918_335:                            ;   in Loop: Header=BB918_325 Depth=1
	s_or_b32 exec_lo, exec_lo, s12
	s_waitcnt vmcnt(0) lgkmcnt(0)
	v_add_nc_u32_e32 v21, v83, v21
	v_add_nc_u32_e32 v10, 8, v10
	s_mov_b32 s14, -1
	ds_bpermute_b32 v21, v70, v21
	s_waitcnt lgkmcnt(0)
	v_cndmask_b32_e64 v21, v21, v83, s7
	s_delay_alu instid0(VALU_DEP_1) | instskip(NEXT) | instid1(VALU_DEP_1)
	v_cndmask_b32_e64 v21, v21, 0, s8
	v_add_nc_u32_e32 v22, v21, v22
	s_delay_alu instid0(VALU_DEP_1) | instskip(NEXT) | instid1(VALU_DEP_1)
	v_add_nc_u32_e32 v23, v22, v23
	v_add_nc_u32_e32 v24, v23, v24
	s_delay_alu instid0(VALU_DEP_1) | instskip(NEXT) | instid1(VALU_DEP_1)
	v_add_nc_u32_e32 v83, v24, v25
	v_dual_mov_b32 v25, v28 :: v_dual_add_nc_u32 v84, v83, v18
	s_delay_alu instid0(VALU_DEP_1) | instskip(NEXT) | instid1(VALU_DEP_1)
	v_add_nc_u32_e32 v85, v84, v19
	v_add_nc_u32_e32 v86, v85, v20
	s_clause 0x1
	flat_store_b128 v[8:9], v[21:24] offset:32
	flat_store_b128 v[31:32], v[83:86] offset:16
	v_mov_b32_e32 v23, v5
	s_waitcnt lgkmcnt(0)
	s_waitcnt_vscnt null, 0x0
	s_barrier
	buffer_gl0_inv
	s_clause 0x1
	flat_load_b32 v18, v[64:65]
	flat_load_b32 v19, v[66:67]
	s_waitcnt vmcnt(0) lgkmcnt(0)
	v_add_nc_u32_e32 v4, v18, v4
	v_add3_u32 v22, v82, v81, v19
	s_delay_alu instid0(VALU_DEP_2) | instskip(NEXT) | instid1(VALU_DEP_2)
	v_lshlrev_b64 v[18:19], 1, v[4:5]
	v_lshlrev_b64 v[20:21], 1, v[22:23]
	s_delay_alu instid0(VALU_DEP_2) | instskip(NEXT) | instid1(VALU_DEP_1)
	v_add_co_u32 v23, s13, v12, v18
	v_add_co_ci_u32_e64 v24, s13, v13, v19, s13
	s_delay_alu instid0(VALU_DEP_3) | instskip(NEXT) | instid1(VALU_DEP_1)
	v_add_co_u32 v64, s13, v12, v20
	v_add_co_ci_u32_e64 v65, s13, v13, v21, s13
	s_mov_b32 s13, exec_lo
                                        ; implicit-def: $vgpr20_vgpr21
                                        ; implicit-def: $vgpr18_vgpr19
	v_cmpx_lt_u32_e64 v10, v11
	s_cbranch_execz .LBB918_324
; %bb.336:                              ;   in Loop: Header=BB918_325 Depth=1
	s_barrier
	buffer_gl0_inv
	s_clause 0x1
	flat_store_b16 v[23:24], v28
	flat_store_b16 v[64:65], v80
	s_waitcnt lgkmcnt(0)
	s_waitcnt_vscnt null, 0x0
	s_barrier
	buffer_gl0_inv
	flat_load_u16 v28, v[37:38]
	v_mad_u64_u32 v[18:19], null, v4, 6, v[23:24]
	v_mad_u64_u32 v[20:21], null, v22, 6, v[64:65]
	v_add_nc_u32_e32 v71, -8, v71
	s_xor_b32 s14, exec_lo, -1
	s_waitcnt vmcnt(0) lgkmcnt(0)
	flat_load_d16_hi_b16 v28, v[37:38] offset:64
	s_waitcnt vmcnt(0) lgkmcnt(0)
	s_barrier
	buffer_gl0_inv
	s_clause 0x1
	flat_store_b64 v[18:19], v[54:55]
	flat_store_b64 v[20:21], v[52:53]
	s_waitcnt lgkmcnt(0)
	s_waitcnt_vscnt null, 0x0
	s_barrier
	buffer_gl0_inv
	s_clause 0x1
	flat_load_b64 v[18:19], v[50:51]
	flat_load_b64 v[20:21], v[50:51] offset:256
	s_waitcnt vmcnt(0) lgkmcnt(0)
	s_barrier
	buffer_gl0_inv
	s_branch .LBB918_324
.LBB918_337:
	flat_load_b64 v[18:19], v[4:5]
	s_or_b32 exec_lo, exec_lo, s3
                                        ; implicit-def: $vgpr20_vgpr21
	s_and_saveexec_b32 s3, s0
	s_cbranch_execz .LBB918_264
.LBB918_338:
	flat_load_b64 v[20:21], v[4:5] offset:256
	s_or_b32 exec_lo, exec_lo, s3
                                        ; implicit-def: $vgpr22_vgpr23
	s_and_saveexec_b32 s0, s1
	s_cbranch_execz .LBB918_265
.LBB918_339:
	flat_load_b64 v[22:23], v[4:5] offset:512
	s_or_b32 exec_lo, exec_lo, s0
                                        ; implicit-def: $vgpr24_vgpr25
	s_and_saveexec_b32 s0, s2
	s_cbranch_execnz .LBB918_266
	s_branch .LBB918_267
.LBB918_340:
	flat_store_b64 v[0:1], v[12:13]
	s_or_b32 exec_lo, exec_lo, s3
	s_and_saveexec_b32 s3, s0
	s_cbranch_execz .LBB918_309
.LBB918_341:
	flat_store_b64 v[0:1], v[10:11] offset:2048
	s_or_b32 exec_lo, exec_lo, s3
	s_and_saveexec_b32 s0, s2
	s_cbranch_execz .LBB918_310
.LBB918_342:
	v_add_co_u32 v2, vcc_lo, 0x1000, v0
	v_add_co_ci_u32_e32 v3, vcc_lo, 0, v1, vcc_lo
	flat_store_b64 v[2:3], v[8:9]
	s_or_b32 exec_lo, exec_lo, s0
	s_and_saveexec_b32 s0, s1
	s_cbranch_execnz .LBB918_311
	s_branch .LBB918_312
.LBB918_343:
	s_or_b32 exec_lo, exec_lo, s16
	v_dual_mov_b32 v28, 0 :: v_dual_lshlrev_b32 v5, 1, v26
	s_barrier
	buffer_gl0_inv
	s_clause 0x1
	flat_store_b16 v[23:24], v25
	flat_store_b16 v[64:65], v80
	v_add_co_u32 v8, vcc_lo, v12, v5
	v_add_co_ci_u32_e32 v9, vcc_lo, 0, v13, vcc_lo
	v_mad_u64_u32 v[12:13], null, v4, 6, v[23:24]
	v_mad_u64_u32 v[4:5], null, v22, 6, v[64:65]
	s_delay_alu instid0(VALU_DEP_3)
	v_mad_u64_u32 v[14:15], null, v26, 6, v[8:9]
	s_waitcnt lgkmcnt(0)
	s_waitcnt_vscnt null, 0x0
	s_barrier
	buffer_gl0_inv
	s_clause 0x1
	flat_load_u16 v11, v[8:9]
	flat_load_u16 v10, v[8:9] offset:512
	s_waitcnt vmcnt(0) lgkmcnt(0)
	s_barrier
	buffer_gl0_inv
	s_clause 0x1
	flat_store_b64 v[12:13], v[54:55]
	flat_store_b64 v[4:5], v[52:53]
	s_waitcnt lgkmcnt(0)
	s_waitcnt_vscnt null, 0x0
	s_barrier
	buffer_gl0_inv
	s_clause 0x1
	flat_load_b64 v[8:9], v[14:15]
	flat_load_b64 v[4:5], v[14:15] offset:2048
	v_lshlrev_b64 v[12:13], 1, v[27:28]
	v_add_co_u32 v2, vcc_lo, v2, v29
	v_add_co_ci_u32_e32 v3, vcc_lo, v3, v30, vcc_lo
	s_waitcnt vmcnt(0) lgkmcnt(0)
	s_delay_alu instid0(VALU_DEP_2) | instskip(NEXT) | instid1(VALU_DEP_2)
	v_add_co_u32 v2, vcc_lo, v2, v12
	v_add_co_ci_u32_e32 v3, vcc_lo, v3, v13, vcc_lo
	v_cmp_lt_u32_e32 vcc_lo, v27, v47
	s_barrier
	buffer_gl0_inv
	s_and_saveexec_b32 s0, vcc_lo
	s_cbranch_execz .LBB918_345
; %bb.344:
	v_xor_b32_e32 v11, 0x7fff, v11
	flat_store_b16 v[2:3], v11
.LBB918_345:
	s_or_b32 exec_lo, exec_lo, s0
	v_add_nc_u32_e32 v11, 0x100, v27
	s_delay_alu instid0(VALU_DEP_1) | instskip(NEXT) | instid1(VALU_DEP_1)
	v_cmp_lt_u32_e64 s0, v11, v47
	s_and_saveexec_b32 s1, s0
	s_cbranch_execz .LBB918_347
; %bb.346:
	v_xor_b32_e32 v10, 0x7fff, v10
	flat_store_b16 v[2:3], v10 offset:512
.LBB918_347:
	s_or_b32 exec_lo, exec_lo, s1
	v_lshlrev_b64 v[2:3], 3, v[27:28]
	v_add_co_u32 v0, s1, v6, v0
	s_delay_alu instid0(VALU_DEP_1) | instskip(NEXT) | instid1(VALU_DEP_2)
	v_add_co_ci_u32_e64 v1, s1, v7, v1, s1
	v_add_co_u32 v0, s1, v0, v2
	s_delay_alu instid0(VALU_DEP_1)
	v_add_co_ci_u32_e64 v1, s1, v1, v3, s1
	s_and_saveexec_b32 s1, vcc_lo
	s_cbranch_execz .LBB918_349
; %bb.348:
	flat_store_b64 v[0:1], v[8:9]
.LBB918_349:
	s_or_b32 exec_lo, exec_lo, s1
	s_and_saveexec_b32 s1, s0
	s_cbranch_execz .LBB918_351
; %bb.350:
	flat_store_b64 v[0:1], v[4:5] offset:2048
.LBB918_351:
	s_or_b32 exec_lo, exec_lo, s1
                                        ; implicit-def: $vgpr27_vgpr28
                                        ; implicit-def: $vgpr8_vgpr9
                                        ; implicit-def: $vgpr29_vgpr30
                                        ; implicit-def: $vgpr47
                                        ; implicit-def: $vgpr0
                                        ; implicit-def: $vgpr1
                                        ; implicit-def: $vgpr2
                                        ; implicit-def: $vgpr3
                                        ; implicit-def: $vgpr4
                                        ; implicit-def: $vgpr5
                                        ; implicit-def: $vgpr6
                                        ; implicit-def: $vgpr7
                                        ; implicit-def: $vgpr10
                                        ; implicit-def: $vgpr11
                                        ; implicit-def: $vgpr12
                                        ; implicit-def: $vgpr13
                                        ; implicit-def: $vgpr26
                                        ; implicit-def: $vgpr35
.LBB918_352:
	s_and_not1_saveexec_b32 s0, s15
	s_cbranch_execz .LBB918_372
; %bb.353:
	s_delay_alu instid0(VALU_DEP_2) | instskip(SKIP_1) | instid1(VALU_DEP_2)
	v_and_b32_e32 v14, 0xffffffe0, v27
	v_mov_b32_e32 v22, -1
	v_or_b32_e32 v15, v35, v14
	s_delay_alu instid0(VALU_DEP_1)
	v_cmp_lt_u32_e32 vcc_lo, v15, v47
	s_and_saveexec_b32 s1, vcc_lo
	s_cbranch_execz .LBB918_355
; %bb.354:
	v_dual_mov_b32 v15, 0 :: v_dual_lshlrev_b32 v16, 1, v35
	v_add_co_u32 v17, s0, v0, v29
	s_delay_alu instid0(VALU_DEP_1) | instskip(NEXT) | instid1(VALU_DEP_3)
	v_add_co_ci_u32_e64 v18, s0, v1, v30, s0
	v_lshlrev_b64 v[0:1], 1, v[14:15]
	s_delay_alu instid0(VALU_DEP_3) | instskip(NEXT) | instid1(VALU_DEP_1)
	v_add_co_u32 v15, s0, v17, v16
	v_add_co_ci_u32_e64 v16, s0, 0, v18, s0
	s_delay_alu instid0(VALU_DEP_2) | instskip(NEXT) | instid1(VALU_DEP_1)
	v_add_co_u32 v0, s0, v15, v0
	v_add_co_ci_u32_e64 v1, s0, v16, v1, s0
	flat_load_u16 v0, v[0:1]
	s_waitcnt vmcnt(0) lgkmcnt(0)
	v_xor_b32_e32 v22, 0x7fff, v0
.LBB918_355:
	s_or_b32 exec_lo, exec_lo, s1
	v_lshlrev_b64 v[0:1], 3, v[8:9]
                                        ; implicit-def: $vgpr18_vgpr19
	s_and_saveexec_b32 s0, vcc_lo
	s_cbranch_execz .LBB918_357
; %bb.356:
	v_dual_mov_b32 v15, 0 :: v_dual_lshlrev_b32 v8, 3, v35
	s_delay_alu instid0(VALU_DEP_2) | instskip(NEXT) | instid1(VALU_DEP_3)
	v_add_co_u32 v9, vcc_lo, v4, v0
	v_add_co_ci_u32_e32 v16, vcc_lo, v5, v1, vcc_lo
	s_delay_alu instid0(VALU_DEP_3) | instskip(NEXT) | instid1(VALU_DEP_3)
	v_lshlrev_b64 v[4:5], 3, v[14:15]
	v_add_co_u32 v8, vcc_lo, v9, v8
	s_delay_alu instid0(VALU_DEP_3) | instskip(NEXT) | instid1(VALU_DEP_2)
	v_add_co_ci_u32_e32 v9, vcc_lo, 0, v16, vcc_lo
	v_add_co_u32 v4, vcc_lo, v8, v4
	s_delay_alu instid0(VALU_DEP_2)
	v_add_co_ci_u32_e32 v5, vcc_lo, v9, v5, vcc_lo
	flat_load_b64 v[18:19], v[4:5]
.LBB918_357:
	s_or_b32 exec_lo, exec_lo, s0
	v_dual_mov_b32 v5, 0 :: v_dual_lshlrev_b32 v4, 5, v26
	s_mov_b32 s16, 0
	v_add_co_u32 v28, vcc_lo, v12, 32
	s_mov_b32 s17, s16
	s_mov_b32 s18, s16
	;; [unrolled: 1-line block ×3, first 2 shown]
	v_and_b32_e32 v15, 0x3e0, v26
	v_add_co_ci_u32_e32 v39, vcc_lo, 0, v13, vcc_lo
	v_add_co_u32 v8, vcc_lo, v12, v4
	v_add_co_ci_u32_e32 v9, vcc_lo, 0, v13, vcc_lo
	v_add_co_u32 v31, vcc_lo, v28, v4
	v_min_u32_e32 v4, 0xe0, v15
	v_and_b32_e32 v16, 16, v35
	v_add_nc_u32_e32 v17, -1, v35
	v_and_b32_e32 v14, 15, v35
	s_getpc_b64 s[0:1]
	s_add_u32 s0, s0, _ZN7rocprim17ROCPRIM_400000_NS16block_radix_sortIsLj256ELj1ElLj1ELj1ELj8ELNS0_26block_radix_rank_algorithmE2ELNS0_18block_padding_hintE2ELNS0_4arch9wavefront6targetE0EE19radix_bits_per_passE@rel32@lo+4
	s_addc_u32 s1, s1, _ZN7rocprim17ROCPRIM_400000_NS16block_radix_sortIsLj256ELj1ElLj1ELj1ELj8ELNS0_26block_radix_rank_algorithmE2ELNS0_18block_padding_hintE2ELNS0_4arch9wavefront6targetE0EE19radix_bits_per_passE@rel32@hi+12
	v_or_b32_e32 v4, 31, v4
	v_cmp_eq_u32_e64 s3, 0, v16
	v_cmp_gt_i32_e64 s4, 0, v17
	v_lshrrev_b32_e32 v16, 5, v26
	v_add_co_ci_u32_e32 v32, vcc_lo, 0, v39, vcc_lo
	s_load_b32 s15, s[0:1], 0x0
	v_cmp_eq_u32_e32 vcc_lo, 0, v14
	v_cmp_lt_u32_e64 s0, 1, v14
	v_cmp_lt_u32_e64 s1, 3, v14
	;; [unrolled: 1-line block ×3, first 2 shown]
	v_cndmask_b32_e64 v14, v17, v35, s4
	v_cmp_eq_u32_e64 s4, v4, v26
	v_lshlrev_b32_e32 v4, 2, v16
	v_or_b32_e32 v20, v35, v15
	v_cmp_eq_u32_e64 s7, 0, v35
	v_lshlrev_b32_e32 v65, 2, v14
	v_lshlrev_b32_e32 v14, 2, v26
	v_add_co_u32 v33, s9, v12, v4
	v_add_nc_u32_e32 v4, -1, v16
	v_lshlrev_b32_e32 v16, 1, v20
	v_add_co_ci_u32_e64 v34, s9, 0, v13, s9
	v_and_b32_e32 v17, 7, v35
	v_add_co_u32 v35, s9, v12, v14
	s_delay_alu instid0(VALU_DEP_4) | instskip(SKIP_4) | instid1(VALU_DEP_4)
	v_add_co_u32 v37, s12, v12, v16
	v_lshlrev_b64 v[14:15], 2, v[4:5]
	v_add_co_ci_u32_e64 v38, s12, 0, v13, s12
	v_add_co_ci_u32_e64 v36, s9, 0, v13, s9
	v_cmp_eq_u32_e64 s9, 0, v17
	v_add_co_u32 v48, s12, v12, v14
	s_delay_alu instid0(VALU_DEP_4)
	v_mad_u64_u32 v[50:51], null, v20, 6, v[37:38]
	v_cmp_lt_u32_e64 s10, 1, v17
	v_cmp_lt_u32_e64 s11, 3, v17
	v_add_co_ci_u32_e64 v49, s12, v13, v15, s12
	v_mov_b32_e32 v14, s16
	v_lshrrev_b32_e32 v64, 5, v27
	v_cmp_gt_u32_e64 s5, 8, v26
	v_cmp_lt_u32_e64 s6, 31, v26
	v_cmp_eq_u32_e64 s8, 0, v26
	v_sub_nc_u32_e32 v66, v11, v10
	v_dual_mov_b32 v15, s17 :: v_dual_mov_b32 v16, s18
	v_mov_b32_e32 v17, s19
	s_waitcnt vmcnt(0) lgkmcnt(0)
	s_waitcnt_vscnt null, 0x0
	s_barrier
	buffer_gl0_inv
	s_branch .LBB918_359
.LBB918_358:                            ;   in Loop: Header=BB918_359 Depth=1
	s_or_b32 exec_lo, exec_lo, s13
	s_delay_alu instid0(SALU_CYCLE_1) | instskip(NEXT) | instid1(SALU_CYCLE_1)
	s_and_b32 s12, exec_lo, s14
	s_or_b32 s16, s12, s16
	s_delay_alu instid0(SALU_CYCLE_1)
	s_and_not1_b32 exec_lo, exec_lo, s16
	s_cbranch_execz .LBB918_369
.LBB918_359:                            ; =>This Inner Loop Header: Depth=1
	v_mov_b32_e32 v67, v22
	v_min_u32_e32 v20, s15, v66
	s_clause 0x1
	flat_store_b128 v[8:9], v[14:17] offset:32
	flat_store_b128 v[31:32], v[14:17] offset:16
	s_waitcnt lgkmcnt(0)
	s_waitcnt_vscnt null, 0x0
	s_barrier
	v_and_b32_e32 v4, 0xffff, v67
	buffer_gl0_inv
	; wave barrier
	v_lshrrev_b32_e32 v4, v10, v4
	s_delay_alu instid0(VALU_DEP_1) | instskip(NEXT) | instid1(VALU_DEP_1)
	v_bfe_u32 v4, v4, 0, v20
	v_and_b32_e32 v20, 1, v4
	v_lshlrev_b32_e32 v21, 30, v4
	v_lshlrev_b32_e32 v22, 29, v4
	;; [unrolled: 1-line block ×4, first 2 shown]
	v_add_co_u32 v20, s12, v20, -1
	s_delay_alu instid0(VALU_DEP_1)
	v_cndmask_b32_e64 v24, 0, 1, s12
	v_not_b32_e32 v54, v21
	v_cmp_gt_i32_e64 s13, 0, v21
	v_not_b32_e32 v21, v22
	v_lshlrev_b32_e32 v52, 26, v4
	v_cmp_ne_u32_e64 s12, 0, v24
	v_ashrrev_i32_e32 v54, 31, v54
	v_lshlrev_b32_e32 v53, 25, v4
	v_ashrrev_i32_e32 v21, 31, v21
	v_lshlrev_b32_e32 v24, 24, v4
	v_xor_b32_e32 v20, s12, v20
	v_cmp_gt_i32_e64 s12, 0, v22
	v_not_b32_e32 v22, v23
	v_xor_b32_e32 v54, s13, v54
	v_cmp_gt_i32_e64 s13, 0, v23
	v_and_b32_e32 v20, exec_lo, v20
	v_not_b32_e32 v23, v25
	v_ashrrev_i32_e32 v22, 31, v22
	v_xor_b32_e32 v21, s12, v21
	v_cmp_gt_i32_e64 s12, 0, v25
	v_and_b32_e32 v20, v20, v54
	v_not_b32_e32 v25, v52
	v_ashrrev_i32_e32 v23, 31, v23
	v_xor_b32_e32 v22, s13, v22
	v_cmp_gt_i32_e64 s13, 0, v52
	v_and_b32_e32 v20, v20, v21
	;; [unrolled: 5-line block ×4, first 2 shown]
	v_ashrrev_i32_e32 v22, 31, v22
	v_xor_b32_e32 v21, s12, v21
	v_dual_mov_b32 v53, v19 :: v_dual_mov_b32 v52, v18
	s_delay_alu instid0(VALU_DEP_4) | instskip(NEXT) | instid1(VALU_DEP_4)
	v_and_b32_e32 v20, v20, v25
	v_xor_b32_e32 v22, s13, v22
	v_lshlrev_b32_e32 v18, 3, v4
	s_delay_alu instid0(VALU_DEP_3) | instskip(NEXT) | instid1(VALU_DEP_2)
	v_and_b32_e32 v20, v20, v21
	v_add_lshl_u32 v18, v18, v64, 2
	s_delay_alu instid0(VALU_DEP_2) | instskip(NEXT) | instid1(VALU_DEP_2)
	v_and_b32_e32 v20, v20, v22
	v_add_co_u32 v54, s14, v28, v18
	s_delay_alu instid0(VALU_DEP_1) | instskip(NEXT) | instid1(VALU_DEP_3)
	v_add_co_ci_u32_e64 v55, s14, 0, v39, s14
	v_mbcnt_lo_u32_b32 v4, v20, 0
	v_cmp_ne_u32_e64 s12, 0, v20
	s_delay_alu instid0(VALU_DEP_2) | instskip(NEXT) | instid1(VALU_DEP_1)
	v_cmp_eq_u32_e64 s13, 0, v4
	s_and_b32 s13, s12, s13
	s_delay_alu instid0(SALU_CYCLE_1)
	s_and_saveexec_b32 s12, s13
	s_cbranch_execz .LBB918_361
; %bb.360:                              ;   in Loop: Header=BB918_359 Depth=1
	v_bcnt_u32_b32 v18, v20, 0
	flat_store_b32 v[54:55], v18
.LBB918_361:                            ;   in Loop: Header=BB918_359 Depth=1
	s_or_b32 exec_lo, exec_lo, s12
	; wave barrier
	s_waitcnt lgkmcnt(0)
	s_waitcnt_vscnt null, 0x0
	s_barrier
	buffer_gl0_inv
	s_clause 0x1
	flat_load_b128 v[22:25], v[8:9] offset:32
	flat_load_b128 v[18:21], v[31:32] offset:16
	s_waitcnt vmcnt(1) lgkmcnt(1)
	v_add_nc_u32_e32 v68, v23, v22
	s_delay_alu instid0(VALU_DEP_1) | instskip(SKIP_1) | instid1(VALU_DEP_1)
	v_add3_u32 v68, v68, v24, v25
	s_waitcnt vmcnt(0) lgkmcnt(0)
	v_add3_u32 v68, v68, v18, v19
	s_delay_alu instid0(VALU_DEP_1) | instskip(NEXT) | instid1(VALU_DEP_1)
	v_add3_u32 v21, v68, v20, v21
	v_mov_b32_dpp v68, v21 row_shr:1 row_mask:0xf bank_mask:0xf
	s_delay_alu instid0(VALU_DEP_1) | instskip(NEXT) | instid1(VALU_DEP_1)
	v_cndmask_b32_e64 v68, v68, 0, vcc_lo
	v_add_nc_u32_e32 v21, v68, v21
	s_delay_alu instid0(VALU_DEP_1) | instskip(NEXT) | instid1(VALU_DEP_1)
	v_mov_b32_dpp v68, v21 row_shr:2 row_mask:0xf bank_mask:0xf
	v_cndmask_b32_e64 v68, 0, v68, s0
	s_delay_alu instid0(VALU_DEP_1) | instskip(NEXT) | instid1(VALU_DEP_1)
	v_add_nc_u32_e32 v21, v21, v68
	v_mov_b32_dpp v68, v21 row_shr:4 row_mask:0xf bank_mask:0xf
	s_delay_alu instid0(VALU_DEP_1) | instskip(NEXT) | instid1(VALU_DEP_1)
	v_cndmask_b32_e64 v68, 0, v68, s1
	v_add_nc_u32_e32 v21, v21, v68
	s_delay_alu instid0(VALU_DEP_1) | instskip(NEXT) | instid1(VALU_DEP_1)
	v_mov_b32_dpp v68, v21 row_shr:8 row_mask:0xf bank_mask:0xf
	v_cndmask_b32_e64 v68, 0, v68, s2
	s_delay_alu instid0(VALU_DEP_1) | instskip(SKIP_3) | instid1(VALU_DEP_1)
	v_add_nc_u32_e32 v21, v21, v68
	ds_swizzle_b32 v68, v21 offset:swizzle(BROADCAST,32,15)
	s_waitcnt lgkmcnt(0)
	v_cndmask_b32_e64 v68, v68, 0, s3
	v_add_nc_u32_e32 v21, v21, v68
	s_and_saveexec_b32 s12, s4
	s_cbranch_execz .LBB918_363
; %bb.362:                              ;   in Loop: Header=BB918_359 Depth=1
	flat_store_b32 v[33:34], v21
.LBB918_363:                            ;   in Loop: Header=BB918_359 Depth=1
	s_or_b32 exec_lo, exec_lo, s12
	s_waitcnt lgkmcnt(0)
	s_waitcnt_vscnt null, 0x0
	s_barrier
	buffer_gl0_inv
	s_and_saveexec_b32 s12, s5
	s_cbranch_execz .LBB918_365
; %bb.364:                              ;   in Loop: Header=BB918_359 Depth=1
	flat_load_b32 v68, v[35:36]
	s_waitcnt vmcnt(0) lgkmcnt(0)
	v_mov_b32_dpp v69, v68 row_shr:1 row_mask:0xf bank_mask:0xf
	s_delay_alu instid0(VALU_DEP_1) | instskip(NEXT) | instid1(VALU_DEP_1)
	v_cndmask_b32_e64 v69, v69, 0, s9
	v_add_nc_u32_e32 v68, v69, v68
	s_delay_alu instid0(VALU_DEP_1) | instskip(NEXT) | instid1(VALU_DEP_1)
	v_mov_b32_dpp v69, v68 row_shr:2 row_mask:0xf bank_mask:0xf
	v_cndmask_b32_e64 v69, 0, v69, s10
	s_delay_alu instid0(VALU_DEP_1) | instskip(NEXT) | instid1(VALU_DEP_1)
	v_add_nc_u32_e32 v68, v68, v69
	v_mov_b32_dpp v69, v68 row_shr:4 row_mask:0xf bank_mask:0xf
	s_delay_alu instid0(VALU_DEP_1) | instskip(NEXT) | instid1(VALU_DEP_1)
	v_cndmask_b32_e64 v69, 0, v69, s11
	v_add_nc_u32_e32 v68, v68, v69
	flat_store_b32 v[35:36], v68
.LBB918_365:                            ;   in Loop: Header=BB918_359 Depth=1
	s_or_b32 exec_lo, exec_lo, s12
	v_mov_b32_e32 v68, 0
	s_waitcnt lgkmcnt(0)
	s_waitcnt_vscnt null, 0x0
	s_barrier
	buffer_gl0_inv
	s_and_saveexec_b32 s12, s6
	s_cbranch_execz .LBB918_367
; %bb.366:                              ;   in Loop: Header=BB918_359 Depth=1
	flat_load_b32 v68, v[48:49]
.LBB918_367:                            ;   in Loop: Header=BB918_359 Depth=1
	s_or_b32 exec_lo, exec_lo, s12
	s_waitcnt vmcnt(0) lgkmcnt(0)
	v_add_nc_u32_e32 v21, v68, v21
	v_add_nc_u32_e32 v10, 8, v10
	s_mov_b32 s14, -1
	ds_bpermute_b32 v21, v65, v21
	s_waitcnt lgkmcnt(0)
	v_cndmask_b32_e64 v21, v21, v68, s7
	s_delay_alu instid0(VALU_DEP_1) | instskip(NEXT) | instid1(VALU_DEP_1)
	v_cndmask_b32_e64 v21, v21, 0, s8
	v_add_nc_u32_e32 v22, v21, v22
	s_delay_alu instid0(VALU_DEP_1) | instskip(NEXT) | instid1(VALU_DEP_1)
	v_add_nc_u32_e32 v23, v22, v23
	v_add_nc_u32_e32 v24, v23, v24
	s_delay_alu instid0(VALU_DEP_1) | instskip(NEXT) | instid1(VALU_DEP_1)
	v_add_nc_u32_e32 v68, v24, v25
	;; [unrolled: 3-line block ×3, first 2 shown]
	v_add_nc_u32_e32 v71, v70, v20
	s_clause 0x1
	flat_store_b128 v[8:9], v[21:24] offset:32
	flat_store_b128 v[31:32], v[68:71] offset:16
	s_waitcnt lgkmcnt(0)
	s_waitcnt_vscnt null, 0x0
	s_barrier
	buffer_gl0_inv
	flat_load_b32 v18, v[54:55]
	s_waitcnt vmcnt(0) lgkmcnt(0)
	s_waitcnt_vscnt null, 0x0
                                        ; implicit-def: $vgpr22
	s_waitcnt vmcnt(0) lgkmcnt(0)
	v_add_nc_u32_e32 v4, v18, v4
	s_delay_alu instid0(VALU_DEP_1) | instskip(NEXT) | instid1(VALU_DEP_1)
	v_lshlrev_b64 v[18:19], 1, v[4:5]
	v_add_co_u32 v20, s13, v12, v18
	s_delay_alu instid0(VALU_DEP_1)
	v_add_co_ci_u32_e64 v21, s13, v13, v19, s13
	s_mov_b32 s13, exec_lo
                                        ; implicit-def: $vgpr18_vgpr19
	v_cmpx_lt_u32_e64 v10, v11
	s_cbranch_execz .LBB918_358
; %bb.368:                              ;   in Loop: Header=BB918_359 Depth=1
	s_delay_alu instid0(VALU_DEP_2)
	v_mad_u64_u32 v[18:19], null, v4, 6, v[20:21]
	s_barrier
	buffer_gl0_inv
	flat_store_b16 v[20:21], v67
	s_waitcnt lgkmcnt(0)
	s_waitcnt_vscnt null, 0x0
	s_barrier
	buffer_gl0_inv
	flat_load_u16 v22, v[37:38]
	s_waitcnt vmcnt(0) lgkmcnt(0)
	s_barrier
	buffer_gl0_inv
	flat_store_b64 v[18:19], v[52:53]
	s_waitcnt lgkmcnt(0)
	s_waitcnt_vscnt null, 0x0
	s_barrier
	buffer_gl0_inv
	flat_load_b64 v[18:19], v[50:51]
	v_add_nc_u32_e32 v66, -8, v66
	s_xor_b32 s14, exec_lo, -1
	s_waitcnt vmcnt(0) lgkmcnt(0)
	s_barrier
	buffer_gl0_inv
	s_branch .LBB918_358
.LBB918_369:
	s_or_b32 exec_lo, exec_lo, s16
	v_dual_mov_b32 v28, 0 :: v_dual_lshlrev_b32 v5, 1, v26
	s_barrier
	buffer_gl0_inv
	flat_store_b16 v[20:21], v67
	v_add_co_u32 v9, vcc_lo, v12, v5
	v_add_co_ci_u32_e32 v10, vcc_lo, 0, v13, vcc_lo
	v_mad_u64_u32 v[11:12], null, v4, 6, v[20:21]
	s_waitcnt lgkmcnt(0)
	s_waitcnt_vscnt null, 0x0
	s_delay_alu instid0(VALU_DEP_2)
	v_mad_u64_u32 v[4:5], null, v26, 6, v[9:10]
	s_barrier
	buffer_gl0_inv
	flat_load_u16 v8, v[9:10]
	s_waitcnt vmcnt(0) lgkmcnt(0)
	s_barrier
	buffer_gl0_inv
	flat_store_b64 v[11:12], v[52:53]
	s_waitcnt lgkmcnt(0)
	s_waitcnt_vscnt null, 0x0
	s_barrier
	buffer_gl0_inv
	flat_load_b64 v[4:5], v[4:5]
	s_mov_b32 s0, exec_lo
	s_waitcnt vmcnt(0) lgkmcnt(0)
	s_barrier
	buffer_gl0_inv
	v_cmpx_lt_u32_e64 v27, v47
	s_cbranch_execz .LBB918_371
; %bb.370:
	v_lshlrev_b64 v[9:10], 1, v[27:28]
	v_add_co_u32 v2, vcc_lo, v2, v29
	v_add_co_ci_u32_e32 v3, vcc_lo, v3, v30, vcc_lo
	s_delay_alu instid0(VALU_DEP_2) | instskip(NEXT) | instid1(VALU_DEP_2)
	v_add_co_u32 v2, vcc_lo, v2, v9
	v_add_co_ci_u32_e32 v3, vcc_lo, v3, v10, vcc_lo
	v_lshlrev_b64 v[9:10], 3, v[27:28]
	v_add_co_u32 v0, vcc_lo, v6, v0
	v_add_co_ci_u32_e32 v1, vcc_lo, v7, v1, vcc_lo
	v_xor_b32_e32 v6, 0x7fff, v8
	s_delay_alu instid0(VALU_DEP_3) | instskip(NEXT) | instid1(VALU_DEP_3)
	v_add_co_u32 v0, vcc_lo, v0, v9
	v_add_co_ci_u32_e32 v1, vcc_lo, v1, v10, vcc_lo
	flat_store_b16 v[2:3], v6
	flat_store_b64 v[0:1], v[4:5]
.LBB918_371:
	s_or_b32 exec_lo, exec_lo, s0
.LBB918_372:
	s_delay_alu instid0(SALU_CYCLE_1)
	s_or_b32 exec_lo, exec_lo, s24
	s_clause 0x1f
	scratch_load_b32 v125, off, s32
	scratch_load_b32 v124, off, s32 offset:4
	scratch_load_b32 v123, off, s32 offset:8
	;; [unrolled: 1-line block ×31, first 2 shown]
	s_clause 0xd
	scratch_load_b32 v61, off, s32 offset:128
	scratch_load_b32 v60, off, s32 offset:132
	;; [unrolled: 1-line block ×14, first 2 shown]
	s_waitcnt vmcnt(0) lgkmcnt(0)
	s_setpc_b64 s[30:31]
.Lfunc_end918:
	.size	_ZN7rocprim17ROCPRIM_400000_NS6detail40segmented_radix_sort_single_block_helperIslLj256ELj16ELb1EE4sortIPKsPsPKlPlEEbT_T0_T1_T2_jjjjRNS3_12storage_typeE, .Lfunc_end918-_ZN7rocprim17ROCPRIM_400000_NS6detail40segmented_radix_sort_single_block_helperIslLj256ELj16ELb1EE4sortIPKsPsPKlPlEEbT_T0_T1_T2_jjjjRNS3_12storage_typeE
                                        ; -- End function
	.section	.AMDGPU.csdata,"",@progbits
; Function info:
; codeLenInByte = 31776
; NumSgprs: 35
; NumVgprs: 248
; ScratchSize: 188
; MemoryBound: 1
	.section	.text._ZN7rocprim17ROCPRIM_400000_NS6detail17trampoline_kernelINS0_14default_configENS1_36segmented_radix_sort_config_selectorIslEEZNS1_25segmented_radix_sort_implIS3_Lb1EPKsPsPKlPlN2at6native12_GLOBAL__N_18offset_tEEE10hipError_tPvRmT1_PNSt15iterator_traitsISK_E10value_typeET2_T3_PNSL_ISQ_E10value_typeET4_jRbjT5_SW_jjP12ihipStream_tbEUlT_E_NS1_11comp_targetILNS1_3genE9ELNS1_11target_archE1100ELNS1_3gpuE3ELNS1_3repE0EEENS1_30default_config_static_selectorELNS0_4arch9wavefront6targetE0EEEvSK_,"axG",@progbits,_ZN7rocprim17ROCPRIM_400000_NS6detail17trampoline_kernelINS0_14default_configENS1_36segmented_radix_sort_config_selectorIslEEZNS1_25segmented_radix_sort_implIS3_Lb1EPKsPsPKlPlN2at6native12_GLOBAL__N_18offset_tEEE10hipError_tPvRmT1_PNSt15iterator_traitsISK_E10value_typeET2_T3_PNSL_ISQ_E10value_typeET4_jRbjT5_SW_jjP12ihipStream_tbEUlT_E_NS1_11comp_targetILNS1_3genE9ELNS1_11target_archE1100ELNS1_3gpuE3ELNS1_3repE0EEENS1_30default_config_static_selectorELNS0_4arch9wavefront6targetE0EEEvSK_,comdat
	.globl	_ZN7rocprim17ROCPRIM_400000_NS6detail17trampoline_kernelINS0_14default_configENS1_36segmented_radix_sort_config_selectorIslEEZNS1_25segmented_radix_sort_implIS3_Lb1EPKsPsPKlPlN2at6native12_GLOBAL__N_18offset_tEEE10hipError_tPvRmT1_PNSt15iterator_traitsISK_E10value_typeET2_T3_PNSL_ISQ_E10value_typeET4_jRbjT5_SW_jjP12ihipStream_tbEUlT_E_NS1_11comp_targetILNS1_3genE9ELNS1_11target_archE1100ELNS1_3gpuE3ELNS1_3repE0EEENS1_30default_config_static_selectorELNS0_4arch9wavefront6targetE0EEEvSK_ ; -- Begin function _ZN7rocprim17ROCPRIM_400000_NS6detail17trampoline_kernelINS0_14default_configENS1_36segmented_radix_sort_config_selectorIslEEZNS1_25segmented_radix_sort_implIS3_Lb1EPKsPsPKlPlN2at6native12_GLOBAL__N_18offset_tEEE10hipError_tPvRmT1_PNSt15iterator_traitsISK_E10value_typeET2_T3_PNSL_ISQ_E10value_typeET4_jRbjT5_SW_jjP12ihipStream_tbEUlT_E_NS1_11comp_targetILNS1_3genE9ELNS1_11target_archE1100ELNS1_3gpuE3ELNS1_3repE0EEENS1_30default_config_static_selectorELNS0_4arch9wavefront6targetE0EEEvSK_
	.p2align	8
	.type	_ZN7rocprim17ROCPRIM_400000_NS6detail17trampoline_kernelINS0_14default_configENS1_36segmented_radix_sort_config_selectorIslEEZNS1_25segmented_radix_sort_implIS3_Lb1EPKsPsPKlPlN2at6native12_GLOBAL__N_18offset_tEEE10hipError_tPvRmT1_PNSt15iterator_traitsISK_E10value_typeET2_T3_PNSL_ISQ_E10value_typeET4_jRbjT5_SW_jjP12ihipStream_tbEUlT_E_NS1_11comp_targetILNS1_3genE9ELNS1_11target_archE1100ELNS1_3gpuE3ELNS1_3repE0EEENS1_30default_config_static_selectorELNS0_4arch9wavefront6targetE0EEEvSK_,@function
_ZN7rocprim17ROCPRIM_400000_NS6detail17trampoline_kernelINS0_14default_configENS1_36segmented_radix_sort_config_selectorIslEEZNS1_25segmented_radix_sort_implIS3_Lb1EPKsPsPKlPlN2at6native12_GLOBAL__N_18offset_tEEE10hipError_tPvRmT1_PNSt15iterator_traitsISK_E10value_typeET2_T3_PNSL_ISQ_E10value_typeET4_jRbjT5_SW_jjP12ihipStream_tbEUlT_E_NS1_11comp_targetILNS1_3genE9ELNS1_11target_archE1100ELNS1_3gpuE3ELNS1_3repE0EEENS1_30default_config_static_selectorELNS0_4arch9wavefront6targetE0EEEvSK_: ; @_ZN7rocprim17ROCPRIM_400000_NS6detail17trampoline_kernelINS0_14default_configENS1_36segmented_radix_sort_config_selectorIslEEZNS1_25segmented_radix_sort_implIS3_Lb1EPKsPsPKlPlN2at6native12_GLOBAL__N_18offset_tEEE10hipError_tPvRmT1_PNSt15iterator_traitsISK_E10value_typeET2_T3_PNSL_ISQ_E10value_typeET4_jRbjT5_SW_jjP12ihipStream_tbEUlT_E_NS1_11comp_targetILNS1_3genE9ELNS1_11target_archE1100ELNS1_3gpuE3ELNS1_3repE0EEENS1_30default_config_static_selectorELNS0_4arch9wavefront6targetE0EEEvSK_
; %bb.0:
	s_clause 0x1
	s_load_b64 s[2:3], s[0:1], 0x38
	s_load_b128 s[4:7], s[0:1], 0x40
	s_mov_b32 s26, s14
	s_mov_b32 s27, 0
	;; [unrolled: 1-line block ×3, first 2 shown]
	s_lshl_b64 s[8:9], s[26:27], 2
	s_waitcnt lgkmcnt(0)
	s_add_u32 s2, s2, s8
	s_addc_u32 s3, s3, s9
	s_load_b32 s2, s[2:3], 0x0
	s_waitcnt lgkmcnt(0)
	s_add_i32 s62, s2, s5
	s_add_i32 s63, s2, s7
	s_mul_i32 s62, s62, s4
	s_mul_i32 s63, s63, s6
	s_delay_alu instid0(SALU_CYCLE_1)
	s_cmp_le_u32 s63, s62
	s_cbranch_scc1 .LBB919_1190
; %bb.1:
	s_clause 0x3
	s_load_b32 s2, s[0:1], 0x30
	s_load_b128 s[52:55], s[0:1], 0x20
	s_load_b128 s[56:59], s[0:1], 0x50
	s_load_b256 s[36:43], s[0:1], 0x0
	s_waitcnt lgkmcnt(0)
	s_bitcmp1_b32 s2, 0
	s_mov_b32 s2, -1
	s_cselect_b32 s59, -1, 0
	s_sub_i32 s64, s63, s62
	s_delay_alu instid0(SALU_CYCLE_1)
	s_cmpk_lt_u32 s64, 0x1001
	s_cbranch_scc0 .LBB919_7
; %bb.2:
	v_cndmask_b32_e64 v1, 0, 1, s59
	s_and_b32 s2, s56, 1
	s_delay_alu instid0(VALU_DEP_1) | instid1(SALU_CYCLE_1)
	v_cmp_ne_u32_e32 vcc_lo, s2, v1
	s_mov_b32 s2, -1
	s_cbranch_vccnz .LBB919_4
; %bb.3:
	s_mov_b64 s[2:3], src_shared_base
	v_mov_b32_e32 v31, v0
	v_dual_mov_b32 v40, v0 :: v_dual_mov_b32 v1, s37
	v_mov_b32_e32 v0, s36
	v_dual_mov_b32 v2, s40 :: v_dual_mov_b32 v3, s41
	v_dual_mov_b32 v4, s42 :: v_dual_mov_b32 v5, s43
	;; [unrolled: 1-line block ×6, first 2 shown]
	s_add_u32 s8, s0, 0x60
	s_addc_u32 s9, s1, 0
	s_mov_b32 s12, s26
	s_mov_b32 s13, s15
	s_getpc_b64 s[4:5]
	s_add_u32 s4, s4, _ZN7rocprim17ROCPRIM_400000_NS6detail40segmented_radix_sort_single_block_helperIslLj256ELj16ELb1EE4sortIPKsPsPKlPlEEbT_T0_T1_T2_jjjjRNS3_12storage_typeE@rel32@lo+4
	s_addc_u32 s5, s5, _ZN7rocprim17ROCPRIM_400000_NS6detail40segmented_radix_sort_single_block_helperIslLj256ELj16ELb1EE4sortIPKsPsPKlPlEEbT_T0_T1_T2_jjjjRNS3_12storage_typeE@rel32@hi+12
	s_mov_b64 s[28:29], s[0:1]
	s_mov_b32 s27, s15
	s_swappc_b64 s[30:31], s[4:5]
	v_mov_b32_e32 v0, v40
	s_mov_b32 s15, s27
	s_mov_b64 s[0:1], s[28:29]
	s_mov_b32 s2, 0
.LBB919_4:
	s_delay_alu instid0(SALU_CYCLE_1)
	s_and_not1_b32 vcc_lo, exec_lo, s2
	s_cbranch_vccnz .LBB919_6
; %bb.5:
	s_mov_b64 s[2:3], src_shared_base
	v_mov_b32_e32 v31, v0
	v_dual_mov_b32 v40, v0 :: v_dual_mov_b32 v1, s37
	v_mov_b32_e32 v0, s36
	v_dual_mov_b32 v2, s38 :: v_dual_mov_b32 v3, s39
	v_dual_mov_b32 v4, s42 :: v_dual_mov_b32 v5, s43
	;; [unrolled: 1-line block ×6, first 2 shown]
	s_add_u32 s8, s0, 0x60
	s_addc_u32 s9, s1, 0
	s_mov_b32 s12, s26
	s_mov_b32 s13, s15
	s_getpc_b64 s[4:5]
	s_add_u32 s4, s4, _ZN7rocprim17ROCPRIM_400000_NS6detail40segmented_radix_sort_single_block_helperIslLj256ELj16ELb1EE4sortIPKsPsPKlPlEEbT_T0_T1_T2_jjjjRNS3_12storage_typeE@rel32@lo+4
	s_addc_u32 s5, s5, _ZN7rocprim17ROCPRIM_400000_NS6detail40segmented_radix_sort_single_block_helperIslLj256ELj16ELb1EE4sortIPKsPsPKlPlEEbT_T0_T1_T2_jjjjRNS3_12storage_typeE@rel32@hi+12
	s_mov_b64 s[28:29], s[0:1]
	s_mov_b32 s27, s15
	s_swappc_b64 s[30:31], s[4:5]
	v_mov_b32_e32 v0, v40
	s_mov_b32 s15, s27
	s_mov_b64 s[0:1], s[28:29]
.LBB919_6:
	s_mov_b32 s2, 0
.LBB919_7:
	s_delay_alu instid0(SALU_CYCLE_1)
	s_and_not1_b32 vcc_lo, exec_lo, s2
	s_cbranch_vccnz .LBB919_1190
; %bb.8:
	s_cmp_ge_u32 s57, s58
	s_cbranch_scc1 .LBB919_1190
; %bb.9:
	v_and_b32_e32 v18, 0x3ff, v0
	v_bfe_u32 v72, v0, 20, 10
	v_bfe_u32 v74, v0, 10, 10
	v_mov_b32_e32 v20, 0
	s_add_u32 s60, s0, 0x60
	v_lshlrev_b32_e32 v47, 2, v18
	v_lshrrev_b32_e32 v2, 3, v18
	v_or_b32_e32 v3, 31, v18
	v_dual_mov_b32 v98, 1 :: v_dual_lshlrev_b32 v1, 1, v18
	s_delay_alu instid0(VALU_DEP_4) | instskip(NEXT) | instid1(VALU_DEP_4)
	v_mad_u32_u24 v67, v18, 12, v47
	v_and_b32_e32 v65, 28, v2
	v_lshlrev_b32_e32 v2, 4, v18
	v_cmp_eq_u32_e64 s3, v3, v18
	v_add_nc_u32_e32 v3, 1, v18
	v_mad_u32_u24 v73, v18, 20, v67
	v_lshlrev_b32_e32 v4, 5, v18
	v_and_b32_e32 v71, 0xe00, v2
	v_mul_u32_u24_e32 v2, 9, v18
	v_mul_u32_u24_e32 v0, 9, v3
	v_add_co_u32 v52, s2, s40, v1
	v_or_b32_e32 v48, 0x100, v18
	s_delay_alu instid0(VALU_DEP_4)
	v_lshl_add_u32 v75, v2, 2, 0x420
	v_lshlrev_b32_e32 v2, 3, v71
	v_lshlrev_b32_e32 v77, 2, v0
	;; [unrolled: 1-line block ×3, first 2 shown]
	v_or_b32_e32 v49, 0x200, v18
	v_or_b32_e32 v50, 0x300, v18
	v_add_co_u32 v78, s7, s54, v2
	s_delay_alu instid0(VALU_DEP_1) | instskip(SKIP_1) | instid1(VALU_DEP_1)
	v_add_co_ci_u32_e64 v79, null, s55, 0, s7
	v_add_co_u32 v80, s7, s40, v0
	v_add_co_ci_u32_e64 v81, null, s41, 0, s7
	v_add_co_u32 v86, s7, s38, v1
	s_delay_alu instid0(VALU_DEP_1) | instskip(SKIP_1) | instid1(VALU_DEP_1)
	v_add_co_ci_u32_e64 v87, null, s39, 0, s7
	v_add_co_u32 v88, s7, s52, v2
	v_add_co_ci_u32_e64 v89, null, s53, 0, s7
	;; [unrolled: 5-line block ×3, first 2 shown]
	v_add_co_u32 v94, s7, s42, v2
	s_delay_alu instid0(VALU_DEP_1)
	v_add_co_ci_u32_e64 v95, null, s43, 0, s7
	v_add_co_u32 v96, s7, s36, v0
	v_and_b32_e32 v51, 3, v18
	v_add_co_ci_u32_e64 v53, null, s41, 0, s2
	v_or_b32_e32 v54, 0x400, v18
	v_or_b32_e32 v55, 0x500, v18
	;; [unrolled: 1-line block ×12, first 2 shown]
	v_cmp_gt_u32_e64 s2, 0x100, v18
	v_or_b32_e32 v68, 0x8400, v65
	v_cmp_gt_u32_e64 s4, 8, v18
	v_add_nc_u32_e32 v69, 0x8400, v47
	v_cmp_lt_u32_e64 s5, 31, v18
	v_add_nc_u32_e32 v70, 0x83fc, v65
	v_sub_nc_u32_e32 v76, v73, v4
	v_cmp_eq_u32_e64 s0, 0, v18
	v_cmp_ne_u32_e64 s6, 0x100, v3
	v_sub_nc_u32_e32 v82, 0, v1
	v_add_nc_u32_e32 v83, 0x400, v1
	v_dual_mov_b32 v1, 0x80008000 :: v_dual_lshlrev_b32 v84, 3, v18
	v_mul_u32_u24_e32 v85, 6, v18
	v_add_co_ci_u32_e64 v97, null, s37, 0, s7
	v_lshlrev_b32_e32 v99, 1, v18
	v_mbcnt_lo_u32_b32 v100, -1, 0
	s_mov_b32 s35, 0
	s_addc_u32 s61, s1, 0
	s_mov_b32 s44, 0x80008000
	s_mov_b32 s42, s57
	s_branch .LBB919_12
.LBB919_10:                             ;   in Loop: Header=BB919_12 Depth=1
	s_waitcnt lgkmcnt(0)
	s_barrier
.LBB919_11:                             ;   in Loop: Header=BB919_12 Depth=1
	s_add_i32 s42, s42, 8
	buffer_gl0_inv
	s_cmp_ge_u32 s42, s58
	s_cbranch_scc1 .LBB919_1190
.LBB919_12:                             ; =>This Loop Header: Depth=1
                                        ;     Child Loop BB919_16 Depth 2
                                        ;     Child Loop BB919_98 Depth 2
	;; [unrolled: 1-line block ×8, first 2 shown]
	s_sub_i32 s1, s58, s42
	s_xor_b32 s59, s59, -1
	s_min_u32 s1, s1, 8
	ds_store_2addr_stride64_b32 v47, v20, v20 offset1:4
	s_lshl_b32 s1, -1, s1
	ds_store_2addr_stride64_b32 v47, v20, v20 offset0:8 offset1:12
	s_not_b32 s43, s1
	s_cmp_lg_u32 s42, s57
	s_mov_b32 s1, -1
	s_waitcnt lgkmcnt(0)
	s_waitcnt_vscnt null, 0x0
	s_cbranch_scc0 .LBB919_602
; %bb.13:                               ;   in Loop: Header=BB919_12 Depth=1
	s_and_b32 vcc_lo, exec_lo, s59
	s_cbranch_vccz .LBB919_307
; %bb.14:                               ;   in Loop: Header=BB919_12 Depth=1
	s_mov_b32 s1, s64
	s_mov_b32 s34, s62
	s_barrier
	buffer_gl0_inv
                                        ; implicit-def: $vgpr2_vgpr3_vgpr4_vgpr5_vgpr6_vgpr7_vgpr8_vgpr9
	s_branch .LBB919_16
.LBB919_15:                             ;   in Loop: Header=BB919_16 Depth=2
	s_or_b32 exec_lo, exec_lo, s8
	s_addk_i32 s1, 0xf000
	s_cmp_ge_u32 s7, s63
	s_mov_b32 s34, s7
	s_cbranch_scc1 .LBB919_86
.LBB919_16:                             ;   Parent Loop BB919_12 Depth=1
                                        ; =>  This Inner Loop Header: Depth=2
	s_add_i32 s7, s34, 0x1000
	s_delay_alu instid0(SALU_CYCLE_1)
	s_cmp_gt_u32 s7, s63
	s_cbranch_scc1 .LBB919_19
; %bb.17:                               ;   in Loop: Header=BB919_16 Depth=2
	s_mov_b32 s9, 0
	s_mov_b32 s8, s34
	s_waitcnt vmcnt(7)
	v_mov_b32_e32 v17, v9
	s_lshl_b64 s[10:11], s[8:9], 1
	s_delay_alu instid0(SALU_CYCLE_1) | instskip(SKIP_2) | instid1(VALU_DEP_2)
	v_add_co_u32 v21, vcc_lo, v52, s10
	v_add_co_ci_u32_e32 v22, vcc_lo, s11, v53, vcc_lo
	s_movk_i32 s11, 0x1000
	v_add_co_u32 v23, vcc_lo, 0x1000, v21
	s_delay_alu instid0(VALU_DEP_2)
	v_add_co_ci_u32_e32 v24, vcc_lo, 0, v22, vcc_lo
	s_clause 0x6
	global_load_u16 v10, v[21:22], off
	global_load_u16 v11, v[21:22], off offset:1024
	global_load_u16 v12, v[21:22], off offset:2048
	;; [unrolled: 1-line block ×3, first 2 shown]
	global_load_u16 v14, v[23:24], off
	global_load_u16 v15, v[23:24], off offset:1024
	global_load_u16 v16, v[23:24], off offset:2048
	s_mov_b32 s10, -1
	s_clause 0x7
	global_load_d16_b16 v17, v[23:24], off offset:3072
	global_load_d16_hi_b16 v10, v[21:22], off offset:512
	global_load_d16_hi_b16 v11, v[21:22], off offset:1536
	;; [unrolled: 1-line block ×7, first 2 shown]
	v_add_co_u32 v21, vcc_lo, 0x1e00, v21
	v_add_co_ci_u32_e32 v22, vcc_lo, 0, v22, vcc_lo
	s_cbranch_execz .LBB919_20
; %bb.18:                               ;   in Loop: Header=BB919_16 Depth=2
                                        ; implicit-def: $vgpr2_vgpr3_vgpr4_vgpr5_vgpr6_vgpr7_vgpr8_vgpr9
	v_mov_b32_e32 v0, s1
	s_and_saveexec_b32 s8, s10
	s_cbranch_execnz .LBB919_39
	s_branch .LBB919_40
.LBB919_19:                             ;   in Loop: Header=BB919_16 Depth=2
	s_mov_b32 s10, 0
                                        ; implicit-def: $sgpr11
                                        ; implicit-def: $vgpr10_vgpr11_vgpr12_vgpr13_vgpr14_vgpr15_vgpr16_vgpr17
                                        ; implicit-def: $vgpr21_vgpr22
.LBB919_20:                             ;   in Loop: Header=BB919_16 Depth=2
	s_lshl_b64 s[8:9], s[34:35], 1
	s_mov_b32 s11, exec_lo
	s_add_u32 s8, s40, s8
	s_addc_u32 s9, s41, s9
	v_cmpx_gt_u32_e64 s1, v18
	s_cbranch_execz .LBB919_72
; %bb.21:                               ;   in Loop: Header=BB919_16 Depth=2
	global_load_d16_b16 v2, v99, s[8:9]
	s_or_b32 exec_lo, exec_lo, s11
	s_delay_alu instid0(SALU_CYCLE_1)
	s_mov_b32 s11, exec_lo
	v_cmpx_gt_u32_e64 s1, v48
	s_cbranch_execnz .LBB919_73
.LBB919_22:                             ;   in Loop: Header=BB919_16 Depth=2
	s_or_b32 exec_lo, exec_lo, s11
	s_delay_alu instid0(SALU_CYCLE_1)
	s_mov_b32 s11, exec_lo
	v_cmpx_gt_u32_e64 s1, v49
	s_cbranch_execz .LBB919_74
.LBB919_23:                             ;   in Loop: Header=BB919_16 Depth=2
	global_load_d16_b16 v3, v99, s[8:9] offset:1024
	s_or_b32 exec_lo, exec_lo, s11
	s_delay_alu instid0(SALU_CYCLE_1)
	s_mov_b32 s11, exec_lo
	v_cmpx_gt_u32_e64 s1, v50
	s_cbranch_execnz .LBB919_75
.LBB919_24:                             ;   in Loop: Header=BB919_16 Depth=2
	s_or_b32 exec_lo, exec_lo, s11
	s_delay_alu instid0(SALU_CYCLE_1)
	s_mov_b32 s11, exec_lo
	v_cmpx_gt_u32_e64 s1, v54
	s_cbranch_execz .LBB919_76
.LBB919_25:                             ;   in Loop: Header=BB919_16 Depth=2
	global_load_d16_b16 v4, v99, s[8:9] offset:2048
	s_or_b32 exec_lo, exec_lo, s11
	s_delay_alu instid0(SALU_CYCLE_1)
	s_mov_b32 s11, exec_lo
	v_cmpx_gt_u32_e64 s1, v55
	s_cbranch_execnz .LBB919_77
.LBB919_26:                             ;   in Loop: Header=BB919_16 Depth=2
	s_or_b32 exec_lo, exec_lo, s11
	s_delay_alu instid0(SALU_CYCLE_1)
	s_mov_b32 s11, exec_lo
	v_cmpx_gt_u32_e64 s1, v56
	s_cbranch_execz .LBB919_78
.LBB919_27:                             ;   in Loop: Header=BB919_16 Depth=2
	global_load_d16_b16 v5, v99, s[8:9] offset:3072
	s_or_b32 exec_lo, exec_lo, s11
	s_delay_alu instid0(SALU_CYCLE_1)
	s_mov_b32 s11, exec_lo
	v_cmpx_gt_u32_e64 s1, v57
	s_cbranch_execnz .LBB919_79
.LBB919_28:                             ;   in Loop: Header=BB919_16 Depth=2
	s_or_b32 exec_lo, exec_lo, s11
	s_delay_alu instid0(SALU_CYCLE_1)
	s_mov_b32 s11, exec_lo
	v_cmpx_gt_u32_e64 s1, v58
	s_cbranch_execz .LBB919_80
.LBB919_29:                             ;   in Loop: Header=BB919_16 Depth=2
	v_lshlrev_b32_e32 v0, 1, v58
	global_load_d16_b16 v6, v0, s[8:9]
	s_or_b32 exec_lo, exec_lo, s11
	s_delay_alu instid0(SALU_CYCLE_1)
	s_mov_b32 s11, exec_lo
	v_cmpx_gt_u32_e64 s1, v59
	s_cbranch_execnz .LBB919_81
.LBB919_30:                             ;   in Loop: Header=BB919_16 Depth=2
	s_or_b32 exec_lo, exec_lo, s11
	s_delay_alu instid0(SALU_CYCLE_1)
	s_mov_b32 s11, exec_lo
	v_cmpx_gt_u32_e64 s1, v60
	s_cbranch_execz .LBB919_82
.LBB919_31:                             ;   in Loop: Header=BB919_16 Depth=2
	v_lshlrev_b32_e32 v0, 1, v60
	global_load_d16_b16 v7, v0, s[8:9]
	s_or_b32 exec_lo, exec_lo, s11
	s_delay_alu instid0(SALU_CYCLE_1)
	s_mov_b32 s11, exec_lo
	v_cmpx_gt_u32_e64 s1, v61
	s_cbranch_execnz .LBB919_83
.LBB919_32:                             ;   in Loop: Header=BB919_16 Depth=2
	s_or_b32 exec_lo, exec_lo, s11
	s_delay_alu instid0(SALU_CYCLE_1)
	s_mov_b32 s11, exec_lo
	v_cmpx_gt_u32_e64 s1, v62
	s_cbranch_execz .LBB919_84
.LBB919_33:                             ;   in Loop: Header=BB919_16 Depth=2
	v_lshlrev_b32_e32 v0, 1, v62
	global_load_d16_b16 v8, v0, s[8:9]
	s_or_b32 exec_lo, exec_lo, s11
	s_delay_alu instid0(SALU_CYCLE_1)
	s_mov_b32 s11, exec_lo
	v_cmpx_gt_u32_e64 s1, v63
	s_cbranch_execnz .LBB919_85
.LBB919_34:                             ;   in Loop: Header=BB919_16 Depth=2
	s_or_b32 exec_lo, exec_lo, s11
	s_delay_alu instid0(SALU_CYCLE_1)
	s_mov_b32 s11, exec_lo
	v_cmpx_gt_u32_e64 s1, v64
	s_cbranch_execz .LBB919_36
.LBB919_35:                             ;   in Loop: Header=BB919_16 Depth=2
	v_lshlrev_b32_e32 v0, 1, v64
	global_load_d16_b16 v9, v0, s[8:9]
.LBB919_36:                             ;   in Loop: Header=BB919_16 Depth=2
	s_or_b32 exec_lo, exec_lo, s11
	s_delay_alu instid0(SALU_CYCLE_1)
	s_mov_b32 s12, exec_lo
                                        ; implicit-def: $sgpr11
                                        ; implicit-def: $vgpr21_vgpr22
	v_cmpx_gt_u32_e64 s1, v66
; %bb.37:                               ;   in Loop: Header=BB919_16 Depth=2
	v_lshlrev_b32_e32 v0, 1, v66
	s_sub_i32 s11, s63, s34
	s_or_b32 s10, s10, exec_lo
	s_delay_alu instid0(VALU_DEP_1) | instskip(NEXT) | instid1(VALU_DEP_1)
	v_add_co_u32 v21, s8, s8, v0
	v_add_co_ci_u32_e64 v22, null, s9, 0, s8
; %bb.38:                               ;   in Loop: Header=BB919_16 Depth=2
	s_or_b32 exec_lo, exec_lo, s12
	s_waitcnt vmcnt(0)
	v_dual_mov_b32 v17, v9 :: v_dual_mov_b32 v16, v8
	v_dual_mov_b32 v15, v7 :: v_dual_mov_b32 v14, v6
	;; [unrolled: 1-line block ×4, first 2 shown]
	v_mov_b32_e32 v0, s1
	s_and_saveexec_b32 s8, s10
	s_cbranch_execz .LBB919_40
.LBB919_39:                             ;   in Loop: Header=BB919_16 Depth=2
	global_load_d16_hi_b16 v17, v[21:22], off
	s_waitcnt vmcnt(0)
	v_dual_mov_b32 v2, v10 :: v_dual_mov_b32 v5, v13
	v_dual_mov_b32 v0, s11 :: v_dual_mov_b32 v3, v11
	;; [unrolled: 1-line block ×3, first 2 shown]
	v_mov_b32_e32 v6, v14
	v_dual_mov_b32 v8, v16 :: v_dual_mov_b32 v9, v17
.LBB919_40:                             ;   in Loop: Header=BB919_16 Depth=2
	s_or_b32 exec_lo, exec_lo, s8
	s_delay_alu instid0(SALU_CYCLE_1)
	s_mov_b32 s8, exec_lo
	v_cmpx_lt_u32_e64 v18, v0
	s_cbranch_execz .LBB919_56
; %bb.41:                               ;   in Loop: Header=BB919_16 Depth=2
	s_waitcnt vmcnt(6)
	v_xor_b32_e32 v10, 0x7fff, v2
	s_waitcnt vmcnt(5)
	v_lshlrev_b32_e32 v11, 2, v51
	s_delay_alu instid0(VALU_DEP_2) | instskip(NEXT) | instid1(VALU_DEP_1)
	v_and_b32_e32 v10, 0xffff, v10
	v_lshrrev_b32_e32 v10, s42, v10
	s_delay_alu instid0(VALU_DEP_1) | instskip(NEXT) | instid1(VALU_DEP_1)
	v_and_b32_e32 v10, s43, v10
	v_lshl_or_b32 v10, v10, 4, v11
	ds_add_u32 v10, v98
	s_or_b32 exec_lo, exec_lo, s8
	s_delay_alu instid0(SALU_CYCLE_1)
	s_mov_b32 s8, exec_lo
	v_cmpx_lt_u32_e64 v48, v0
	s_cbranch_execnz .LBB919_57
.LBB919_42:                             ;   in Loop: Header=BB919_16 Depth=2
	s_or_b32 exec_lo, exec_lo, s8
	s_delay_alu instid0(SALU_CYCLE_1)
	s_mov_b32 s8, exec_lo
	v_cmpx_lt_u32_e64 v49, v0
	s_cbranch_execz .LBB919_58
.LBB919_43:                             ;   in Loop: Header=BB919_16 Depth=2
	s_waitcnt vmcnt(6)
	v_xor_b32_e32 v10, 0x7fff, v3
	s_waitcnt vmcnt(5)
	v_lshlrev_b32_e32 v11, 2, v51
	s_delay_alu instid0(VALU_DEP_2) | instskip(NEXT) | instid1(VALU_DEP_1)
	v_and_b32_e32 v10, 0xffff, v10
	v_lshrrev_b32_e32 v10, s42, v10
	s_delay_alu instid0(VALU_DEP_1) | instskip(NEXT) | instid1(VALU_DEP_1)
	v_and_b32_e32 v10, s43, v10
	v_lshl_or_b32 v10, v10, 4, v11
	ds_add_u32 v10, v98
	s_or_b32 exec_lo, exec_lo, s8
	s_delay_alu instid0(SALU_CYCLE_1)
	s_mov_b32 s8, exec_lo
	v_cmpx_lt_u32_e64 v50, v0
	s_cbranch_execnz .LBB919_59
.LBB919_44:                             ;   in Loop: Header=BB919_16 Depth=2
	s_or_b32 exec_lo, exec_lo, s8
	s_delay_alu instid0(SALU_CYCLE_1)
	s_mov_b32 s8, exec_lo
	v_cmpx_lt_u32_e64 v54, v0
	s_cbranch_execz .LBB919_60
.LBB919_45:                             ;   in Loop: Header=BB919_16 Depth=2
	s_waitcnt vmcnt(6)
	v_xor_b32_e32 v10, 0x7fff, v4
	s_waitcnt vmcnt(5)
	v_lshlrev_b32_e32 v11, 2, v51
	s_delay_alu instid0(VALU_DEP_2) | instskip(NEXT) | instid1(VALU_DEP_1)
	v_and_b32_e32 v10, 0xffff, v10
	v_lshrrev_b32_e32 v10, s42, v10
	s_delay_alu instid0(VALU_DEP_1) | instskip(NEXT) | instid1(VALU_DEP_1)
	v_and_b32_e32 v10, s43, v10
	v_lshl_or_b32 v10, v10, 4, v11
	ds_add_u32 v10, v98
	s_or_b32 exec_lo, exec_lo, s8
	s_delay_alu instid0(SALU_CYCLE_1)
	s_mov_b32 s8, exec_lo
	v_cmpx_lt_u32_e64 v55, v0
	s_cbranch_execnz .LBB919_61
.LBB919_46:                             ;   in Loop: Header=BB919_16 Depth=2
	s_or_b32 exec_lo, exec_lo, s8
	s_delay_alu instid0(SALU_CYCLE_1)
	s_mov_b32 s8, exec_lo
	v_cmpx_lt_u32_e64 v56, v0
	s_cbranch_execz .LBB919_62
.LBB919_47:                             ;   in Loop: Header=BB919_16 Depth=2
	s_waitcnt vmcnt(6)
	v_xor_b32_e32 v10, 0x7fff, v5
	s_waitcnt vmcnt(5)
	v_lshlrev_b32_e32 v11, 2, v51
	s_delay_alu instid0(VALU_DEP_2) | instskip(NEXT) | instid1(VALU_DEP_1)
	v_and_b32_e32 v10, 0xffff, v10
	v_lshrrev_b32_e32 v10, s42, v10
	s_delay_alu instid0(VALU_DEP_1) | instskip(NEXT) | instid1(VALU_DEP_1)
	v_and_b32_e32 v10, s43, v10
	v_lshl_or_b32 v10, v10, 4, v11
	ds_add_u32 v10, v98
	s_or_b32 exec_lo, exec_lo, s8
	s_delay_alu instid0(SALU_CYCLE_1)
	s_mov_b32 s8, exec_lo
	v_cmpx_lt_u32_e64 v57, v0
	s_cbranch_execnz .LBB919_63
.LBB919_48:                             ;   in Loop: Header=BB919_16 Depth=2
	s_or_b32 exec_lo, exec_lo, s8
	s_delay_alu instid0(SALU_CYCLE_1)
	s_mov_b32 s8, exec_lo
	v_cmpx_lt_u32_e64 v58, v0
	s_cbranch_execz .LBB919_64
.LBB919_49:                             ;   in Loop: Header=BB919_16 Depth=2
	s_waitcnt vmcnt(6)
	v_xor_b32_e32 v10, 0x7fff, v6
	s_waitcnt vmcnt(5)
	v_lshlrev_b32_e32 v11, 2, v51
	s_delay_alu instid0(VALU_DEP_2) | instskip(NEXT) | instid1(VALU_DEP_1)
	v_and_b32_e32 v10, 0xffff, v10
	v_lshrrev_b32_e32 v10, s42, v10
	s_delay_alu instid0(VALU_DEP_1) | instskip(NEXT) | instid1(VALU_DEP_1)
	v_and_b32_e32 v10, s43, v10
	v_lshl_or_b32 v10, v10, 4, v11
	ds_add_u32 v10, v98
	s_or_b32 exec_lo, exec_lo, s8
	s_delay_alu instid0(SALU_CYCLE_1)
	s_mov_b32 s8, exec_lo
	v_cmpx_lt_u32_e64 v59, v0
	s_cbranch_execnz .LBB919_65
.LBB919_50:                             ;   in Loop: Header=BB919_16 Depth=2
	s_or_b32 exec_lo, exec_lo, s8
	s_delay_alu instid0(SALU_CYCLE_1)
	s_mov_b32 s8, exec_lo
	v_cmpx_lt_u32_e64 v60, v0
	s_cbranch_execz .LBB919_66
.LBB919_51:                             ;   in Loop: Header=BB919_16 Depth=2
	s_waitcnt vmcnt(6)
	v_xor_b32_e32 v10, 0x7fff, v7
	s_waitcnt vmcnt(5)
	v_lshlrev_b32_e32 v11, 2, v51
	s_delay_alu instid0(VALU_DEP_2) | instskip(NEXT) | instid1(VALU_DEP_1)
	v_and_b32_e32 v10, 0xffff, v10
	v_lshrrev_b32_e32 v10, s42, v10
	s_delay_alu instid0(VALU_DEP_1) | instskip(NEXT) | instid1(VALU_DEP_1)
	v_and_b32_e32 v10, s43, v10
	v_lshl_or_b32 v10, v10, 4, v11
	ds_add_u32 v10, v98
	s_or_b32 exec_lo, exec_lo, s8
	s_delay_alu instid0(SALU_CYCLE_1)
	s_mov_b32 s8, exec_lo
	v_cmpx_lt_u32_e64 v61, v0
	s_cbranch_execnz .LBB919_67
.LBB919_52:                             ;   in Loop: Header=BB919_16 Depth=2
	s_or_b32 exec_lo, exec_lo, s8
	s_delay_alu instid0(SALU_CYCLE_1)
	s_mov_b32 s8, exec_lo
	v_cmpx_lt_u32_e64 v62, v0
	s_cbranch_execz .LBB919_68
.LBB919_53:                             ;   in Loop: Header=BB919_16 Depth=2
	s_waitcnt vmcnt(6)
	v_xor_b32_e32 v10, 0x7fff, v8
	s_waitcnt vmcnt(5)
	v_lshlrev_b32_e32 v11, 2, v51
	s_delay_alu instid0(VALU_DEP_2) | instskip(NEXT) | instid1(VALU_DEP_1)
	v_and_b32_e32 v10, 0xffff, v10
	v_lshrrev_b32_e32 v10, s42, v10
	s_delay_alu instid0(VALU_DEP_1) | instskip(NEXT) | instid1(VALU_DEP_1)
	v_and_b32_e32 v10, s43, v10
	v_lshl_or_b32 v10, v10, 4, v11
	ds_add_u32 v10, v98
	s_or_b32 exec_lo, exec_lo, s8
	s_delay_alu instid0(SALU_CYCLE_1)
	s_mov_b32 s8, exec_lo
	v_cmpx_lt_u32_e64 v63, v0
	s_cbranch_execnz .LBB919_69
.LBB919_54:                             ;   in Loop: Header=BB919_16 Depth=2
	s_or_b32 exec_lo, exec_lo, s8
	s_delay_alu instid0(SALU_CYCLE_1)
	s_mov_b32 s8, exec_lo
	v_cmpx_lt_u32_e64 v64, v0
	s_cbranch_execz .LBB919_70
.LBB919_55:                             ;   in Loop: Header=BB919_16 Depth=2
	s_waitcnt vmcnt(6)
	v_xor_b32_e32 v10, 0x7fff, v9
	s_waitcnt vmcnt(5)
	v_lshlrev_b32_e32 v11, 2, v51
	s_delay_alu instid0(VALU_DEP_2) | instskip(NEXT) | instid1(VALU_DEP_1)
	v_and_b32_e32 v10, 0xffff, v10
	v_lshrrev_b32_e32 v10, s42, v10
	s_delay_alu instid0(VALU_DEP_1) | instskip(NEXT) | instid1(VALU_DEP_1)
	v_and_b32_e32 v10, s43, v10
	v_lshl_or_b32 v10, v10, 4, v11
	ds_add_u32 v10, v98
	s_or_b32 exec_lo, exec_lo, s8
	s_delay_alu instid0(SALU_CYCLE_1)
	s_mov_b32 s8, exec_lo
	v_cmpx_lt_u32_e64 v66, v0
	s_cbranch_execz .LBB919_15
	s_branch .LBB919_71
.LBB919_56:                             ;   in Loop: Header=BB919_16 Depth=2
	s_or_b32 exec_lo, exec_lo, s8
	s_delay_alu instid0(SALU_CYCLE_1)
	s_mov_b32 s8, exec_lo
	v_cmpx_lt_u32_e64 v48, v0
	s_cbranch_execz .LBB919_42
.LBB919_57:                             ;   in Loop: Header=BB919_16 Depth=2
	s_waitcnt vmcnt(6)
	v_lshrrev_b32_e32 v10, 16, v2
	s_waitcnt vmcnt(5)
	v_lshlrev_b32_e32 v11, 2, v51
	s_delay_alu instid0(VALU_DEP_2) | instskip(NEXT) | instid1(VALU_DEP_1)
	v_xor_b32_e32 v10, 0x7fff, v10
	v_and_b32_e32 v10, 0xffff, v10
	s_delay_alu instid0(VALU_DEP_1) | instskip(NEXT) | instid1(VALU_DEP_1)
	v_lshrrev_b32_e32 v10, s42, v10
	v_and_b32_e32 v10, s43, v10
	s_delay_alu instid0(VALU_DEP_1) | instskip(SKIP_2) | instid1(SALU_CYCLE_1)
	v_lshl_or_b32 v10, v10, 4, v11
	ds_add_u32 v10, v98
	s_or_b32 exec_lo, exec_lo, s8
	s_mov_b32 s8, exec_lo
	v_cmpx_lt_u32_e64 v49, v0
	s_cbranch_execnz .LBB919_43
.LBB919_58:                             ;   in Loop: Header=BB919_16 Depth=2
	s_or_b32 exec_lo, exec_lo, s8
	s_delay_alu instid0(SALU_CYCLE_1)
	s_mov_b32 s8, exec_lo
	v_cmpx_lt_u32_e64 v50, v0
	s_cbranch_execz .LBB919_44
.LBB919_59:                             ;   in Loop: Header=BB919_16 Depth=2
	s_waitcnt vmcnt(6)
	v_lshrrev_b32_e32 v10, 16, v3
	s_waitcnt vmcnt(5)
	v_lshlrev_b32_e32 v11, 2, v51
	s_delay_alu instid0(VALU_DEP_2) | instskip(NEXT) | instid1(VALU_DEP_1)
	v_xor_b32_e32 v10, 0x7fff, v10
	v_and_b32_e32 v10, 0xffff, v10
	s_delay_alu instid0(VALU_DEP_1) | instskip(NEXT) | instid1(VALU_DEP_1)
	v_lshrrev_b32_e32 v10, s42, v10
	v_and_b32_e32 v10, s43, v10
	s_delay_alu instid0(VALU_DEP_1) | instskip(SKIP_2) | instid1(SALU_CYCLE_1)
	v_lshl_or_b32 v10, v10, 4, v11
	ds_add_u32 v10, v98
	s_or_b32 exec_lo, exec_lo, s8
	s_mov_b32 s8, exec_lo
	v_cmpx_lt_u32_e64 v54, v0
	s_cbranch_execnz .LBB919_45
.LBB919_60:                             ;   in Loop: Header=BB919_16 Depth=2
	s_or_b32 exec_lo, exec_lo, s8
	s_delay_alu instid0(SALU_CYCLE_1)
	s_mov_b32 s8, exec_lo
	v_cmpx_lt_u32_e64 v55, v0
	s_cbranch_execz .LBB919_46
.LBB919_61:                             ;   in Loop: Header=BB919_16 Depth=2
	s_waitcnt vmcnt(6)
	v_lshrrev_b32_e32 v10, 16, v4
	s_waitcnt vmcnt(5)
	v_lshlrev_b32_e32 v11, 2, v51
	s_delay_alu instid0(VALU_DEP_2) | instskip(NEXT) | instid1(VALU_DEP_1)
	v_xor_b32_e32 v10, 0x7fff, v10
	v_and_b32_e32 v10, 0xffff, v10
	s_delay_alu instid0(VALU_DEP_1) | instskip(NEXT) | instid1(VALU_DEP_1)
	v_lshrrev_b32_e32 v10, s42, v10
	v_and_b32_e32 v10, s43, v10
	s_delay_alu instid0(VALU_DEP_1) | instskip(SKIP_2) | instid1(SALU_CYCLE_1)
	v_lshl_or_b32 v10, v10, 4, v11
	ds_add_u32 v10, v98
	s_or_b32 exec_lo, exec_lo, s8
	s_mov_b32 s8, exec_lo
	v_cmpx_lt_u32_e64 v56, v0
	s_cbranch_execnz .LBB919_47
.LBB919_62:                             ;   in Loop: Header=BB919_16 Depth=2
	s_or_b32 exec_lo, exec_lo, s8
	s_delay_alu instid0(SALU_CYCLE_1)
	s_mov_b32 s8, exec_lo
	v_cmpx_lt_u32_e64 v57, v0
	s_cbranch_execz .LBB919_48
.LBB919_63:                             ;   in Loop: Header=BB919_16 Depth=2
	s_waitcnt vmcnt(6)
	v_lshrrev_b32_e32 v10, 16, v5
	s_waitcnt vmcnt(5)
	v_lshlrev_b32_e32 v11, 2, v51
	s_delay_alu instid0(VALU_DEP_2) | instskip(NEXT) | instid1(VALU_DEP_1)
	v_xor_b32_e32 v10, 0x7fff, v10
	v_and_b32_e32 v10, 0xffff, v10
	s_delay_alu instid0(VALU_DEP_1) | instskip(NEXT) | instid1(VALU_DEP_1)
	v_lshrrev_b32_e32 v10, s42, v10
	v_and_b32_e32 v10, s43, v10
	s_delay_alu instid0(VALU_DEP_1) | instskip(SKIP_2) | instid1(SALU_CYCLE_1)
	v_lshl_or_b32 v10, v10, 4, v11
	ds_add_u32 v10, v98
	s_or_b32 exec_lo, exec_lo, s8
	s_mov_b32 s8, exec_lo
	v_cmpx_lt_u32_e64 v58, v0
	s_cbranch_execnz .LBB919_49
.LBB919_64:                             ;   in Loop: Header=BB919_16 Depth=2
	s_or_b32 exec_lo, exec_lo, s8
	s_delay_alu instid0(SALU_CYCLE_1)
	s_mov_b32 s8, exec_lo
	v_cmpx_lt_u32_e64 v59, v0
	s_cbranch_execz .LBB919_50
.LBB919_65:                             ;   in Loop: Header=BB919_16 Depth=2
	s_waitcnt vmcnt(6)
	v_lshrrev_b32_e32 v10, 16, v6
	s_waitcnt vmcnt(5)
	v_lshlrev_b32_e32 v11, 2, v51
	s_delay_alu instid0(VALU_DEP_2) | instskip(NEXT) | instid1(VALU_DEP_1)
	v_xor_b32_e32 v10, 0x7fff, v10
	v_and_b32_e32 v10, 0xffff, v10
	s_delay_alu instid0(VALU_DEP_1) | instskip(NEXT) | instid1(VALU_DEP_1)
	v_lshrrev_b32_e32 v10, s42, v10
	v_and_b32_e32 v10, s43, v10
	s_delay_alu instid0(VALU_DEP_1) | instskip(SKIP_2) | instid1(SALU_CYCLE_1)
	v_lshl_or_b32 v10, v10, 4, v11
	ds_add_u32 v10, v98
	s_or_b32 exec_lo, exec_lo, s8
	s_mov_b32 s8, exec_lo
	v_cmpx_lt_u32_e64 v60, v0
	s_cbranch_execnz .LBB919_51
.LBB919_66:                             ;   in Loop: Header=BB919_16 Depth=2
	s_or_b32 exec_lo, exec_lo, s8
	s_delay_alu instid0(SALU_CYCLE_1)
	s_mov_b32 s8, exec_lo
	v_cmpx_lt_u32_e64 v61, v0
	s_cbranch_execz .LBB919_52
.LBB919_67:                             ;   in Loop: Header=BB919_16 Depth=2
	s_waitcnt vmcnt(6)
	v_lshrrev_b32_e32 v10, 16, v7
	s_waitcnt vmcnt(5)
	v_lshlrev_b32_e32 v11, 2, v51
	s_delay_alu instid0(VALU_DEP_2) | instskip(NEXT) | instid1(VALU_DEP_1)
	v_xor_b32_e32 v10, 0x7fff, v10
	v_and_b32_e32 v10, 0xffff, v10
	s_delay_alu instid0(VALU_DEP_1) | instskip(NEXT) | instid1(VALU_DEP_1)
	v_lshrrev_b32_e32 v10, s42, v10
	v_and_b32_e32 v10, s43, v10
	s_delay_alu instid0(VALU_DEP_1) | instskip(SKIP_2) | instid1(SALU_CYCLE_1)
	v_lshl_or_b32 v10, v10, 4, v11
	ds_add_u32 v10, v98
	s_or_b32 exec_lo, exec_lo, s8
	s_mov_b32 s8, exec_lo
	v_cmpx_lt_u32_e64 v62, v0
	s_cbranch_execnz .LBB919_53
.LBB919_68:                             ;   in Loop: Header=BB919_16 Depth=2
	s_or_b32 exec_lo, exec_lo, s8
	s_delay_alu instid0(SALU_CYCLE_1)
	s_mov_b32 s8, exec_lo
	v_cmpx_lt_u32_e64 v63, v0
	s_cbranch_execz .LBB919_54
.LBB919_69:                             ;   in Loop: Header=BB919_16 Depth=2
	s_waitcnt vmcnt(6)
	v_lshrrev_b32_e32 v10, 16, v8
	s_waitcnt vmcnt(5)
	v_lshlrev_b32_e32 v11, 2, v51
	s_delay_alu instid0(VALU_DEP_2) | instskip(NEXT) | instid1(VALU_DEP_1)
	v_xor_b32_e32 v10, 0x7fff, v10
	v_and_b32_e32 v10, 0xffff, v10
	s_delay_alu instid0(VALU_DEP_1) | instskip(NEXT) | instid1(VALU_DEP_1)
	v_lshrrev_b32_e32 v10, s42, v10
	v_and_b32_e32 v10, s43, v10
	s_delay_alu instid0(VALU_DEP_1) | instskip(SKIP_2) | instid1(SALU_CYCLE_1)
	v_lshl_or_b32 v10, v10, 4, v11
	ds_add_u32 v10, v98
	s_or_b32 exec_lo, exec_lo, s8
	s_mov_b32 s8, exec_lo
	v_cmpx_lt_u32_e64 v64, v0
	s_cbranch_execnz .LBB919_55
.LBB919_70:                             ;   in Loop: Header=BB919_16 Depth=2
	s_or_b32 exec_lo, exec_lo, s8
	s_delay_alu instid0(SALU_CYCLE_1)
	s_mov_b32 s8, exec_lo
	v_cmpx_lt_u32_e64 v66, v0
	s_cbranch_execz .LBB919_15
.LBB919_71:                             ;   in Loop: Header=BB919_16 Depth=2
	v_lshrrev_b32_e32 v0, 16, v9
	s_waitcnt vmcnt(6)
	v_lshlrev_b32_e32 v10, 2, v51
	s_delay_alu instid0(VALU_DEP_2) | instskip(NEXT) | instid1(VALU_DEP_1)
	v_xor_b32_e32 v0, 0x7fff, v0
	v_and_b32_e32 v0, 0xffff, v0
	s_delay_alu instid0(VALU_DEP_1) | instskip(NEXT) | instid1(VALU_DEP_1)
	v_lshrrev_b32_e32 v0, s42, v0
	v_and_b32_e32 v0, s43, v0
	s_delay_alu instid0(VALU_DEP_1)
	v_lshl_or_b32 v0, v0, 4, v10
	ds_add_u32 v0, v98
	s_branch .LBB919_15
.LBB919_72:                             ;   in Loop: Header=BB919_16 Depth=2
	s_or_b32 exec_lo, exec_lo, s11
	s_delay_alu instid0(SALU_CYCLE_1)
	s_mov_b32 s11, exec_lo
	v_cmpx_gt_u32_e64 s1, v48
	s_cbranch_execz .LBB919_22
.LBB919_73:                             ;   in Loop: Header=BB919_16 Depth=2
	global_load_d16_hi_b16 v2, v99, s[8:9] offset:512
	s_or_b32 exec_lo, exec_lo, s11
	s_delay_alu instid0(SALU_CYCLE_1)
	s_mov_b32 s11, exec_lo
	v_cmpx_gt_u32_e64 s1, v49
	s_cbranch_execnz .LBB919_23
.LBB919_74:                             ;   in Loop: Header=BB919_16 Depth=2
	s_or_b32 exec_lo, exec_lo, s11
	s_delay_alu instid0(SALU_CYCLE_1)
	s_mov_b32 s11, exec_lo
	v_cmpx_gt_u32_e64 s1, v50
	s_cbranch_execz .LBB919_24
.LBB919_75:                             ;   in Loop: Header=BB919_16 Depth=2
	global_load_d16_hi_b16 v3, v99, s[8:9] offset:1536
	s_or_b32 exec_lo, exec_lo, s11
	s_delay_alu instid0(SALU_CYCLE_1)
	s_mov_b32 s11, exec_lo
	v_cmpx_gt_u32_e64 s1, v54
	s_cbranch_execnz .LBB919_25
.LBB919_76:                             ;   in Loop: Header=BB919_16 Depth=2
	s_or_b32 exec_lo, exec_lo, s11
	s_delay_alu instid0(SALU_CYCLE_1)
	s_mov_b32 s11, exec_lo
	v_cmpx_gt_u32_e64 s1, v55
	s_cbranch_execz .LBB919_26
.LBB919_77:                             ;   in Loop: Header=BB919_16 Depth=2
	global_load_d16_hi_b16 v4, v99, s[8:9] offset:2560
	s_or_b32 exec_lo, exec_lo, s11
	s_delay_alu instid0(SALU_CYCLE_1)
	s_mov_b32 s11, exec_lo
	v_cmpx_gt_u32_e64 s1, v56
	s_cbranch_execnz .LBB919_27
.LBB919_78:                             ;   in Loop: Header=BB919_16 Depth=2
	s_or_b32 exec_lo, exec_lo, s11
	s_delay_alu instid0(SALU_CYCLE_1)
	s_mov_b32 s11, exec_lo
	v_cmpx_gt_u32_e64 s1, v57
	s_cbranch_execz .LBB919_28
.LBB919_79:                             ;   in Loop: Header=BB919_16 Depth=2
	global_load_d16_hi_b16 v5, v99, s[8:9] offset:3584
	s_or_b32 exec_lo, exec_lo, s11
	s_delay_alu instid0(SALU_CYCLE_1)
	s_mov_b32 s11, exec_lo
	v_cmpx_gt_u32_e64 s1, v58
	s_cbranch_execnz .LBB919_29
.LBB919_80:                             ;   in Loop: Header=BB919_16 Depth=2
	s_or_b32 exec_lo, exec_lo, s11
	s_delay_alu instid0(SALU_CYCLE_1)
	s_mov_b32 s11, exec_lo
	v_cmpx_gt_u32_e64 s1, v59
	s_cbranch_execz .LBB919_30
.LBB919_81:                             ;   in Loop: Header=BB919_16 Depth=2
	v_lshlrev_b32_e32 v0, 1, v59
	global_load_d16_hi_b16 v6, v0, s[8:9]
	s_or_b32 exec_lo, exec_lo, s11
	s_delay_alu instid0(SALU_CYCLE_1)
	s_mov_b32 s11, exec_lo
	v_cmpx_gt_u32_e64 s1, v60
	s_cbranch_execnz .LBB919_31
.LBB919_82:                             ;   in Loop: Header=BB919_16 Depth=2
	s_or_b32 exec_lo, exec_lo, s11
	s_delay_alu instid0(SALU_CYCLE_1)
	s_mov_b32 s11, exec_lo
	v_cmpx_gt_u32_e64 s1, v61
	s_cbranch_execz .LBB919_32
.LBB919_83:                             ;   in Loop: Header=BB919_16 Depth=2
	v_lshlrev_b32_e32 v0, 1, v61
	global_load_d16_hi_b16 v7, v0, s[8:9]
	s_or_b32 exec_lo, exec_lo, s11
	s_delay_alu instid0(SALU_CYCLE_1)
	s_mov_b32 s11, exec_lo
	v_cmpx_gt_u32_e64 s1, v62
	s_cbranch_execnz .LBB919_33
.LBB919_84:                             ;   in Loop: Header=BB919_16 Depth=2
	s_or_b32 exec_lo, exec_lo, s11
	s_delay_alu instid0(SALU_CYCLE_1)
	s_mov_b32 s11, exec_lo
	v_cmpx_gt_u32_e64 s1, v63
	s_cbranch_execz .LBB919_34
.LBB919_85:                             ;   in Loop: Header=BB919_16 Depth=2
	v_lshlrev_b32_e32 v0, 1, v63
	global_load_d16_hi_b16 v8, v0, s[8:9]
	s_or_b32 exec_lo, exec_lo, s11
	s_delay_alu instid0(SALU_CYCLE_1)
	s_mov_b32 s11, exec_lo
	v_cmpx_gt_u32_e64 s1, v64
	s_cbranch_execz .LBB919_36
	s_branch .LBB919_35
.LBB919_86:                             ;   in Loop: Header=BB919_12 Depth=1
	v_mov_b32_e32 v0, 0
	s_waitcnt vmcnt(0) lgkmcnt(0)
	s_barrier
	buffer_gl0_inv
	s_and_saveexec_b32 s1, s2
	s_cbranch_execz .LBB919_88
; %bb.87:                               ;   in Loop: Header=BB919_12 Depth=1
	ds_load_2addr_b64 v[2:5], v67 offset1:1
	s_waitcnt lgkmcnt(0)
	v_add_nc_u32_e32 v0, v3, v2
	s_delay_alu instid0(VALU_DEP_1)
	v_add3_u32 v0, v0, v4, v5
.LBB919_88:                             ;   in Loop: Header=BB919_12 Depth=1
	s_or_b32 exec_lo, exec_lo, s1
	v_and_b32_e32 v2, 15, v100
	s_delay_alu instid0(VALU_DEP_2) | instskip(SKIP_1) | instid1(VALU_DEP_3)
	v_mov_b32_dpp v3, v0 row_shr:1 row_mask:0xf bank_mask:0xf
	v_and_b32_e32 v4, 16, v100
	v_cmp_eq_u32_e64 s1, 0, v2
	v_cmp_lt_u32_e64 s7, 1, v2
	v_cmp_lt_u32_e64 s8, 3, v2
	;; [unrolled: 1-line block ×3, first 2 shown]
	v_cmp_eq_u32_e64 s10, 0, v4
	v_cndmask_b32_e64 v3, v3, 0, s1
	s_delay_alu instid0(VALU_DEP_1) | instskip(NEXT) | instid1(VALU_DEP_1)
	v_add_nc_u32_e32 v0, v3, v0
	v_mov_b32_dpp v3, v0 row_shr:2 row_mask:0xf bank_mask:0xf
	s_delay_alu instid0(VALU_DEP_1) | instskip(NEXT) | instid1(VALU_DEP_1)
	v_cndmask_b32_e64 v3, 0, v3, s7
	v_add_nc_u32_e32 v0, v0, v3
	s_delay_alu instid0(VALU_DEP_1) | instskip(NEXT) | instid1(VALU_DEP_1)
	v_mov_b32_dpp v3, v0 row_shr:4 row_mask:0xf bank_mask:0xf
	v_cndmask_b32_e64 v3, 0, v3, s8
	s_delay_alu instid0(VALU_DEP_1) | instskip(NEXT) | instid1(VALU_DEP_1)
	v_add_nc_u32_e32 v0, v0, v3
	v_mov_b32_dpp v3, v0 row_shr:8 row_mask:0xf bank_mask:0xf
	s_delay_alu instid0(VALU_DEP_1) | instskip(SKIP_1) | instid1(VALU_DEP_2)
	v_cndmask_b32_e64 v2, 0, v3, s9
	v_bfe_i32 v3, v100, 4, 1
	v_add_nc_u32_e32 v0, v0, v2
	ds_swizzle_b32 v2, v0 offset:swizzle(BROADCAST,32,15)
	s_waitcnt lgkmcnt(0)
	v_and_b32_e32 v2, v3, v2
	s_delay_alu instid0(VALU_DEP_1)
	v_add_nc_u32_e32 v2, v0, v2
	s_and_saveexec_b32 s11, s3
	s_cbranch_execz .LBB919_90
; %bb.89:                               ;   in Loop: Header=BB919_12 Depth=1
	ds_store_b32 v68, v2
.LBB919_90:                             ;   in Loop: Header=BB919_12 Depth=1
	s_or_b32 exec_lo, exec_lo, s11
	v_and_b32_e32 v0, 7, v100
	s_waitcnt lgkmcnt(0)
	s_barrier
	buffer_gl0_inv
	s_and_saveexec_b32 s11, s4
	s_cbranch_execz .LBB919_92
; %bb.91:                               ;   in Loop: Header=BB919_12 Depth=1
	ds_load_b32 v3, v69
	v_cmp_ne_u32_e32 vcc_lo, 0, v0
	s_waitcnt lgkmcnt(0)
	v_mov_b32_dpp v4, v3 row_shr:1 row_mask:0xf bank_mask:0xf
	s_delay_alu instid0(VALU_DEP_1) | instskip(SKIP_1) | instid1(VALU_DEP_2)
	v_cndmask_b32_e32 v4, 0, v4, vcc_lo
	v_cmp_lt_u32_e32 vcc_lo, 1, v0
	v_add_nc_u32_e32 v3, v4, v3
	s_delay_alu instid0(VALU_DEP_1) | instskip(NEXT) | instid1(VALU_DEP_1)
	v_mov_b32_dpp v4, v3 row_shr:2 row_mask:0xf bank_mask:0xf
	v_cndmask_b32_e32 v4, 0, v4, vcc_lo
	v_cmp_lt_u32_e32 vcc_lo, 3, v0
	s_delay_alu instid0(VALU_DEP_2) | instskip(NEXT) | instid1(VALU_DEP_1)
	v_add_nc_u32_e32 v3, v3, v4
	v_mov_b32_dpp v4, v3 row_shr:4 row_mask:0xf bank_mask:0xf
	s_delay_alu instid0(VALU_DEP_1) | instskip(NEXT) | instid1(VALU_DEP_1)
	v_cndmask_b32_e32 v4, 0, v4, vcc_lo
	v_add_nc_u32_e32 v3, v3, v4
	ds_store_b32 v69, v3
.LBB919_92:                             ;   in Loop: Header=BB919_12 Depth=1
	s_or_b32 exec_lo, exec_lo, s11
	v_mov_b32_e32 v3, 0
	s_waitcnt lgkmcnt(0)
	s_barrier
	buffer_gl0_inv
	s_and_saveexec_b32 s11, s5
	s_cbranch_execz .LBB919_94
; %bb.93:                               ;   in Loop: Header=BB919_12 Depth=1
	ds_load_b32 v3, v70
.LBB919_94:                             ;   in Loop: Header=BB919_12 Depth=1
	s_or_b32 exec_lo, exec_lo, s11
	v_add_nc_u32_e32 v4, -1, v100
	s_waitcnt lgkmcnt(0)
	v_add_nc_u32_e32 v2, v3, v2
	v_cmp_eq_u32_e64 s11, 0, v100
	s_barrier
	v_cmp_gt_i32_e32 vcc_lo, 0, v4
	buffer_gl0_inv
	v_cndmask_b32_e32 v4, v4, v100, vcc_lo
	s_delay_alu instid0(VALU_DEP_1)
	v_lshlrev_b32_e32 v101, 2, v4
	ds_bpermute_b32 v2, v101, v2
	s_and_saveexec_b32 s12, s2
	s_cbranch_execz .LBB919_96
; %bb.95:                               ;   in Loop: Header=BB919_12 Depth=1
	s_waitcnt lgkmcnt(0)
	v_cndmask_b32_e64 v2, v2, v3, s11
	s_delay_alu instid0(VALU_DEP_1)
	v_add_nc_u32_e32 v2, s62, v2
	ds_store_b32 v47, v2
.LBB919_96:                             ;   in Loop: Header=BB919_12 Depth=1
	s_or_b32 exec_lo, exec_lo, s12
	s_clause 0x1
	s_load_b32 s12, s[60:61], 0x4
	s_load_b32 s16, s[60:61], 0xc
	v_lshlrev_b32_e32 v3, 3, v100
	v_cmp_lt_u32_e64 s14, 3, v0
	v_or_b32_e32 v102, v100, v71
	s_mov_b32 s56, s64
	s_mov_b32 s34, s62
	v_add_co_u32 v103, vcc_lo, v78, v3
	v_add_co_ci_u32_e32 v104, vcc_lo, 0, v79, vcc_lo
	v_or_b32_e32 v105, 32, v102
	v_or_b32_e32 v106, 64, v102
	;; [unrolled: 1-line block ×9, first 2 shown]
	s_waitcnt lgkmcnt(0)
	s_cmp_lt_u32 s15, s12
	v_or_b32_e32 v114, 0x140, v102
	s_cselect_b32 s12, 14, 20
	v_or_b32_e32 v115, 0x160, v102
	s_add_u32 s12, s60, s12
	s_addc_u32 s13, s61, 0
	s_and_b32 s16, s16, 0xffff
	global_load_u16 v2, v20, s[12:13]
	v_cmp_eq_u32_e64 s12, 0, v0
	v_cmp_lt_u32_e64 s13, 1, v0
	v_lshlrev_b32_e32 v0, 1, v100
	v_or_b32_e32 v116, 0x180, v102
	v_or_b32_e32 v117, 0x1a0, v102
	v_or_b32_e32 v118, 0x1c0, v102
	v_or_b32_e32 v119, 0x1e0, v102
	v_add_co_u32 v120, vcc_lo, v80, v0
	v_add_co_ci_u32_e32 v121, vcc_lo, 0, v81, vcc_lo
                                        ; implicit-def: $vgpr10_vgpr11
                                        ; implicit-def: $vgpr12_vgpr13
                                        ; implicit-def: $vgpr14_vgpr15
                                        ; implicit-def: $vgpr16_vgpr17
                                        ; implicit-def: $vgpr21_vgpr22
                                        ; implicit-def: $vgpr23_vgpr24
                                        ; implicit-def: $vgpr25_vgpr26
                                        ; implicit-def: $vgpr27_vgpr28
                                        ; implicit-def: $vgpr29_vgpr30
                                        ; implicit-def: $vgpr31_vgpr32
                                        ; implicit-def: $vgpr33_vgpr34
                                        ; implicit-def: $vgpr35_vgpr36
                                        ; implicit-def: $vgpr37_vgpr38
                                        ; implicit-def: $vgpr39_vgpr40
                                        ; implicit-def: $vgpr41_vgpr42
                                        ; implicit-def: $vgpr43_vgpr44
                                        ; implicit-def: $vgpr125
                                        ; implicit-def: $vgpr126
                                        ; implicit-def: $vgpr127
                                        ; implicit-def: $vgpr128
                                        ; implicit-def: $vgpr129
                                        ; implicit-def: $vgpr130
                                        ; implicit-def: $vgpr131
                                        ; implicit-def: $vgpr132
                                        ; implicit-def: $vgpr133
                                        ; implicit-def: $vgpr134
                                        ; implicit-def: $vgpr135
                                        ; implicit-def: $vgpr136
                                        ; implicit-def: $vgpr137
                                        ; implicit-def: $vgpr138
                                        ; implicit-def: $vgpr139
                                        ; implicit-def: $vgpr140
                                        ; implicit-def: $vgpr9
	s_delay_alu instid0(VALU_DEP_2) | instskip(NEXT) | instid1(VALU_DEP_2)
	v_add_co_u32 v123, vcc_lo, 0x3c0, v120
	v_add_co_ci_u32_e32 v124, vcc_lo, 0, v121, vcc_lo
	s_waitcnt vmcnt(0)
	v_mad_u32_u24 v4, v72, v2, v74
	s_delay_alu instid0(VALU_DEP_1) | instskip(NEXT) | instid1(VALU_DEP_1)
	v_mad_u64_u32 v[2:3], null, v4, s16, v[18:19]
	v_lshrrev_b32_e32 v122, 5, v2
	s_branch .LBB919_98
.LBB919_97:                             ;   in Loop: Header=BB919_98 Depth=2
	s_or_b32 exec_lo, exec_lo, s16
	s_addk_i32 s56, 0xf000
	s_cmp_lt_u32 s65, s63
	s_mov_b32 s34, s65
	s_cbranch_scc0 .LBB919_306
.LBB919_98:                             ;   Parent Loop BB919_12 Depth=1
                                        ; =>  This Inner Loop Header: Depth=2
	s_add_i32 s65, s34, 0x1000
	s_delay_alu instid0(SALU_CYCLE_1)
	s_cmp_gt_u32 s65, s63
	s_cbranch_scc1 .LBB919_100
; %bb.99:                               ;   in Loop: Header=BB919_98 Depth=2
	s_mov_b32 s17, 0
	s_mov_b32 s16, s34
	s_delay_alu instid0(SALU_CYCLE_1) | instskip(NEXT) | instid1(SALU_CYCLE_1)
	s_lshl_b64 s[18:19], s[16:17], 1
	v_add_co_u32 v45, vcc_lo, v120, s18
	v_add_co_ci_u32_e32 v46, vcc_lo, s19, v121, vcc_lo
	s_mov_b32 s19, -1
	s_movk_i32 s18, 0x1000
	s_clause 0xe
	global_load_u16 v2, v[45:46], off
	global_load_u16 v3, v[45:46], off offset:128
	global_load_u16 v4, v[45:46], off offset:256
	;; [unrolled: 1-line block ×6, first 2 shown]
	global_load_d16_b16 v9, v[45:46], off offset:896
	global_load_d16_hi_b16 v2, v[45:46], off offset:64
	global_load_d16_hi_b16 v3, v[45:46], off offset:192
	;; [unrolled: 1-line block ×7, first 2 shown]
	s_cbranch_execz .LBB919_101
	s_branch .LBB919_118
.LBB919_100:                            ;   in Loop: Header=BB919_98 Depth=2
	s_mov_b32 s17, -1
	s_mov_b32 s19, 0
                                        ; implicit-def: $sgpr18
                                        ; implicit-def: $vgpr2_vgpr3_vgpr4_vgpr5_vgpr6_vgpr7_vgpr8_vgpr9
.LBB919_101:                            ;   in Loop: Header=BB919_98 Depth=2
	s_lshl_b64 s[16:17], s[34:35], 1
	s_mov_b32 s45, s44
	v_add_co_u32 v45, vcc_lo, v120, s16
	s_mov_b32 s46, s44
	s_mov_b32 s47, s44
	;; [unrolled: 1-line block ×6, first 2 shown]
	s_waitcnt vmcnt(0)
	v_dual_mov_b32 v2, s44 :: v_dual_mov_b32 v3, s45
	v_add_co_ci_u32_e32 v46, vcc_lo, s17, v121, vcc_lo
	v_dual_mov_b32 v4, s46 :: v_dual_mov_b32 v5, s47
	v_dual_mov_b32 v6, s48 :: v_dual_mov_b32 v7, s49
	;; [unrolled: 1-line block ×3, first 2 shown]
	s_mov_b32 s16, exec_lo
	v_cmpx_gt_u32_e64 s56, v102
	s_cbranch_execz .LBB919_292
; %bb.102:                              ;   in Loop: Header=BB919_98 Depth=2
	v_bfrev_b32_e32 v0, 1
	v_mov_b32_e32 v7, v1
	v_mov_b32_e32 v2, v1
	v_mov_b32_e32 v3, v1
	v_mov_b32_e32 v4, v1
	global_load_d16_b16 v0, v[45:46], off
	v_mov_b32_e32 v5, v1
	v_mov_b32_e32 v6, v1
	s_waitcnt vmcnt(0)
	v_mov_b32_e32 v9, v7
	s_delay_alu instid0(VALU_DEP_2)
	v_dual_mov_b32 v8, v6 :: v_dual_mov_b32 v7, v5
	v_mov_b32_e32 v6, v4
	v_mov_b32_e32 v5, v3
	;; [unrolled: 1-line block ×5, first 2 shown]
	s_or_b32 exec_lo, exec_lo, s16
	s_delay_alu instid0(SALU_CYCLE_1)
	s_mov_b32 s16, exec_lo
	v_cmpx_gt_u32_e64 s56, v105
	s_cbranch_execnz .LBB919_293
.LBB919_103:                            ;   in Loop: Header=BB919_98 Depth=2
	s_or_b32 exec_lo, exec_lo, s16
	s_delay_alu instid0(SALU_CYCLE_1)
	s_mov_b32 s16, exec_lo
	v_cmpx_gt_u32_e64 s56, v106
	s_cbranch_execz .LBB919_294
.LBB919_104:                            ;   in Loop: Header=BB919_98 Depth=2
	global_load_d16_b16 v3, v[45:46], off offset:128
	s_or_b32 exec_lo, exec_lo, s16
	s_delay_alu instid0(SALU_CYCLE_1)
	s_mov_b32 s16, exec_lo
	v_cmpx_gt_u32_e64 s56, v107
	s_cbranch_execnz .LBB919_295
.LBB919_105:                            ;   in Loop: Header=BB919_98 Depth=2
	s_or_b32 exec_lo, exec_lo, s16
	s_delay_alu instid0(SALU_CYCLE_1)
	s_mov_b32 s16, exec_lo
	v_cmpx_gt_u32_e64 s56, v108
	s_cbranch_execz .LBB919_296
.LBB919_106:                            ;   in Loop: Header=BB919_98 Depth=2
	global_load_d16_b16 v4, v[45:46], off offset:256
	s_or_b32 exec_lo, exec_lo, s16
	s_delay_alu instid0(SALU_CYCLE_1)
	s_mov_b32 s16, exec_lo
	v_cmpx_gt_u32_e64 s56, v109
	s_cbranch_execnz .LBB919_297
.LBB919_107:                            ;   in Loop: Header=BB919_98 Depth=2
	s_or_b32 exec_lo, exec_lo, s16
	s_delay_alu instid0(SALU_CYCLE_1)
	s_mov_b32 s16, exec_lo
	v_cmpx_gt_u32_e64 s56, v110
	s_cbranch_execz .LBB919_298
.LBB919_108:                            ;   in Loop: Header=BB919_98 Depth=2
	global_load_d16_b16 v5, v[45:46], off offset:384
	s_or_b32 exec_lo, exec_lo, s16
	s_delay_alu instid0(SALU_CYCLE_1)
	s_mov_b32 s16, exec_lo
	v_cmpx_gt_u32_e64 s56, v111
	s_cbranch_execnz .LBB919_299
.LBB919_109:                            ;   in Loop: Header=BB919_98 Depth=2
	s_or_b32 exec_lo, exec_lo, s16
	s_delay_alu instid0(SALU_CYCLE_1)
	s_mov_b32 s16, exec_lo
	v_cmpx_gt_u32_e64 s56, v112
	s_cbranch_execz .LBB919_300
.LBB919_110:                            ;   in Loop: Header=BB919_98 Depth=2
	global_load_d16_b16 v6, v[45:46], off offset:512
	s_or_b32 exec_lo, exec_lo, s16
	s_delay_alu instid0(SALU_CYCLE_1)
	s_mov_b32 s16, exec_lo
	v_cmpx_gt_u32_e64 s56, v113
	s_cbranch_execnz .LBB919_301
.LBB919_111:                            ;   in Loop: Header=BB919_98 Depth=2
	s_or_b32 exec_lo, exec_lo, s16
	s_delay_alu instid0(SALU_CYCLE_1)
	s_mov_b32 s16, exec_lo
	v_cmpx_gt_u32_e64 s56, v114
	s_cbranch_execz .LBB919_302
.LBB919_112:                            ;   in Loop: Header=BB919_98 Depth=2
	global_load_d16_b16 v7, v[45:46], off offset:640
	s_or_b32 exec_lo, exec_lo, s16
	s_delay_alu instid0(SALU_CYCLE_1)
	s_mov_b32 s16, exec_lo
	v_cmpx_gt_u32_e64 s56, v115
	s_cbranch_execnz .LBB919_303
.LBB919_113:                            ;   in Loop: Header=BB919_98 Depth=2
	s_or_b32 exec_lo, exec_lo, s16
	s_delay_alu instid0(SALU_CYCLE_1)
	s_mov_b32 s16, exec_lo
	v_cmpx_gt_u32_e64 s56, v116
	s_cbranch_execz .LBB919_304
.LBB919_114:                            ;   in Loop: Header=BB919_98 Depth=2
	global_load_d16_b16 v8, v[45:46], off offset:768
	s_or_b32 exec_lo, exec_lo, s16
	s_delay_alu instid0(SALU_CYCLE_1)
	s_mov_b32 s16, exec_lo
	v_cmpx_gt_u32_e64 s56, v117
	s_cbranch_execnz .LBB919_305
.LBB919_115:                            ;   in Loop: Header=BB919_98 Depth=2
	s_or_b32 exec_lo, exec_lo, s16
	s_delay_alu instid0(SALU_CYCLE_1)
	s_mov_b32 s16, exec_lo
	v_cmpx_gt_u32_e64 s56, v118
	s_cbranch_execz .LBB919_117
.LBB919_116:                            ;   in Loop: Header=BB919_98 Depth=2
	global_load_d16_b16 v9, v[45:46], off offset:896
.LBB919_117:                            ;   in Loop: Header=BB919_98 Depth=2
	s_or_b32 exec_lo, exec_lo, s16
	v_cmp_gt_u32_e64 s19, s56, v119
	s_sub_i32 s18, s63, s34
	s_mov_b64 s[16:17], s[34:35]
.LBB919_118:                            ;   in Loop: Header=BB919_98 Depth=2
	v_mov_b32_e32 v0, s56
	s_delay_alu instid0(VALU_DEP_2)
	s_and_saveexec_b32 s20, s19
	s_cbranch_execz .LBB919_120
; %bb.119:                              ;   in Loop: Header=BB919_98 Depth=2
	s_lshl_b64 s[16:17], s[16:17], 1
	v_mov_b32_e32 v0, s18
	v_add_co_u32 v45, vcc_lo, v123, s16
	v_add_co_ci_u32_e32 v46, vcc_lo, s17, v124, vcc_lo
	global_load_d16_hi_b16 v9, v[45:46], off
.LBB919_120:                            ;   in Loop: Header=BB919_98 Depth=2
	s_or_b32 exec_lo, exec_lo, s20
	s_waitcnt vmcnt(0)
	v_xor_b32_e32 v19, 0x7fff7fff, v2
	ds_store_b32 v73, v20 offset:1056
	ds_store_2addr_b32 v75, v20, v20 offset0:1 offset1:2
	ds_store_2addr_b32 v75, v20, v20 offset0:3 offset1:4
	;; [unrolled: 1-line block ×4, first 2 shown]
	s_waitcnt lgkmcnt(0)
	s_barrier
	v_and_b32_e32 v2, 0xffff, v19
	buffer_gl0_inv
	; wave barrier
	v_lshrrev_b32_e32 v2, s42, v2
	s_delay_alu instid0(VALU_DEP_1) | instskip(NEXT) | instid1(VALU_DEP_1)
	v_and_b32_e32 v45, s43, v2
	v_and_b32_e32 v2, 1, v45
	v_lshlrev_b32_e32 v46, 30, v45
	v_lshlrev_b32_e32 v141, 29, v45
	;; [unrolled: 1-line block ×4, first 2 shown]
	v_add_co_u32 v2, s16, v2, -1
	s_delay_alu instid0(VALU_DEP_1)
	v_cndmask_b32_e64 v143, 0, 1, s16
	v_not_b32_e32 v147, v46
	v_cmp_gt_i32_e64 s16, 0, v46
	v_not_b32_e32 v46, v141
	v_lshlrev_b32_e32 v145, 26, v45
	v_cmp_ne_u32_e32 vcc_lo, 0, v143
	v_ashrrev_i32_e32 v147, 31, v147
	v_lshlrev_b32_e32 v146, 25, v45
	v_ashrrev_i32_e32 v46, 31, v46
	v_lshlrev_b32_e32 v143, 24, v45
	v_xor_b32_e32 v2, vcc_lo, v2
	v_cmp_gt_i32_e32 vcc_lo, 0, v141
	v_not_b32_e32 v141, v142
	v_xor_b32_e32 v147, s16, v147
	v_cmp_gt_i32_e64 s16, 0, v142
	v_and_b32_e32 v2, exec_lo, v2
	v_not_b32_e32 v142, v144
	v_ashrrev_i32_e32 v141, 31, v141
	v_xor_b32_e32 v46, vcc_lo, v46
	v_cmp_gt_i32_e32 vcc_lo, 0, v144
	v_and_b32_e32 v2, v2, v147
	v_not_b32_e32 v144, v145
	v_ashrrev_i32_e32 v142, 31, v142
	v_xor_b32_e32 v141, s16, v141
	v_cmp_gt_i32_e64 s16, 0, v145
	v_and_b32_e32 v2, v2, v46
	v_not_b32_e32 v46, v146
	v_ashrrev_i32_e32 v144, 31, v144
	v_xor_b32_e32 v142, vcc_lo, v142
	v_cmp_gt_i32_e32 vcc_lo, 0, v146
	v_and_b32_e32 v2, v2, v141
	v_not_b32_e32 v141, v143
	v_ashrrev_i32_e32 v46, 31, v46
	v_xor_b32_e32 v144, s16, v144
	v_cmp_gt_i32_e64 s16, 0, v143
	v_and_b32_e32 v2, v2, v142
	v_ashrrev_i32_e32 v141, 31, v141
	v_xor_b32_e32 v46, vcc_lo, v46
	v_mad_u32_u24 v45, v45, 9, v122
	s_delay_alu instid0(VALU_DEP_4) | instskip(NEXT) | instid1(VALU_DEP_4)
	v_and_b32_e32 v2, v2, v144
	v_xor_b32_e32 v141, s16, v141
	s_delay_alu instid0(VALU_DEP_3) | instskip(NEXT) | instid1(VALU_DEP_3)
	v_lshl_add_u32 v143, v45, 2, 0x420
	v_and_b32_e32 v2, v2, v46
	s_delay_alu instid0(VALU_DEP_1) | instskip(NEXT) | instid1(VALU_DEP_1)
	v_and_b32_e32 v2, v2, v141
	v_mbcnt_lo_u32_b32 v141, v2, 0
	v_cmp_ne_u32_e64 s16, 0, v2
	s_delay_alu instid0(VALU_DEP_2) | instskip(NEXT) | instid1(VALU_DEP_2)
	v_cmp_eq_u32_e32 vcc_lo, 0, v141
	s_and_b32 s17, s16, vcc_lo
	s_delay_alu instid0(SALU_CYCLE_1)
	s_and_saveexec_b32 s16, s17
	s_cbranch_execz .LBB919_122
; %bb.121:                              ;   in Loop: Header=BB919_98 Depth=2
	v_bcnt_u32_b32 v2, v2, 0
	ds_store_b32 v143, v2
.LBB919_122:                            ;   in Loop: Header=BB919_98 Depth=2
	s_or_b32 exec_lo, exec_lo, s16
	v_lshrrev_b32_e32 v142, 16, v19
	; wave barrier
	s_delay_alu instid0(VALU_DEP_1) | instskip(NEXT) | instid1(VALU_DEP_1)
	v_lshrrev_b32_e32 v2, s42, v142
	v_and_b32_e32 v2, s43, v2
	s_delay_alu instid0(VALU_DEP_1)
	v_and_b32_e32 v45, 1, v2
	v_lshlrev_b32_e32 v46, 30, v2
	v_lshlrev_b32_e32 v144, 29, v2
	;; [unrolled: 1-line block ×4, first 2 shown]
	v_add_co_u32 v45, s16, v45, -1
	s_delay_alu instid0(VALU_DEP_1)
	v_cndmask_b32_e64 v146, 0, 1, s16
	v_not_b32_e32 v150, v46
	v_cmp_gt_i32_e64 s16, 0, v46
	v_not_b32_e32 v46, v144
	v_lshlrev_b32_e32 v148, 26, v2
	v_cmp_ne_u32_e32 vcc_lo, 0, v146
	v_ashrrev_i32_e32 v150, 31, v150
	v_lshlrev_b32_e32 v149, 25, v2
	v_ashrrev_i32_e32 v46, 31, v46
	v_lshlrev_b32_e32 v146, 24, v2
	v_xor_b32_e32 v45, vcc_lo, v45
	v_cmp_gt_i32_e32 vcc_lo, 0, v144
	v_not_b32_e32 v144, v145
	v_xor_b32_e32 v150, s16, v150
	v_cmp_gt_i32_e64 s16, 0, v145
	v_and_b32_e32 v45, exec_lo, v45
	v_not_b32_e32 v145, v147
	v_ashrrev_i32_e32 v144, 31, v144
	v_xor_b32_e32 v46, vcc_lo, v46
	v_cmp_gt_i32_e32 vcc_lo, 0, v147
	v_and_b32_e32 v45, v45, v150
	v_not_b32_e32 v147, v148
	v_ashrrev_i32_e32 v145, 31, v145
	v_xor_b32_e32 v144, s16, v144
	v_cmp_gt_i32_e64 s16, 0, v148
	v_and_b32_e32 v45, v45, v46
	v_not_b32_e32 v46, v149
	v_ashrrev_i32_e32 v147, 31, v147
	v_xor_b32_e32 v145, vcc_lo, v145
	v_cmp_gt_i32_e32 vcc_lo, 0, v149
	v_and_b32_e32 v45, v45, v144
	v_not_b32_e32 v144, v146
	v_ashrrev_i32_e32 v46, 31, v46
	v_xor_b32_e32 v147, s16, v147
	v_mul_u32_u24_e32 v2, 9, v2
	v_and_b32_e32 v45, v45, v145
	v_cmp_gt_i32_e64 s16, 0, v146
	v_ashrrev_i32_e32 v144, 31, v144
	v_xor_b32_e32 v46, vcc_lo, v46
	s_delay_alu instid0(VALU_DEP_4) | instskip(SKIP_1) | instid1(VALU_DEP_4)
	v_and_b32_e32 v45, v45, v147
	v_add_lshl_u32 v147, v2, v122, 2
	v_xor_b32_e32 v2, s16, v144
	s_delay_alu instid0(VALU_DEP_3) | instskip(SKIP_3) | instid1(VALU_DEP_1)
	v_and_b32_e32 v45, v45, v46
	ds_load_b32 v145, v147 offset:1056
	v_add_nc_u32_e32 v147, 0x420, v147
	; wave barrier
	v_and_b32_e32 v2, v45, v2
	v_mbcnt_lo_u32_b32 v146, v2, 0
	v_cmp_ne_u32_e64 s16, 0, v2
	s_delay_alu instid0(VALU_DEP_2) | instskip(NEXT) | instid1(VALU_DEP_2)
	v_cmp_eq_u32_e32 vcc_lo, 0, v146
	s_and_b32 s17, s16, vcc_lo
	s_delay_alu instid0(SALU_CYCLE_1)
	s_and_saveexec_b32 s16, s17
	s_cbranch_execz .LBB919_124
; %bb.123:                              ;   in Loop: Header=BB919_98 Depth=2
	s_waitcnt lgkmcnt(0)
	v_bcnt_u32_b32 v2, v2, v145
	ds_store_b32 v147, v2
.LBB919_124:                            ;   in Loop: Header=BB919_98 Depth=2
	s_or_b32 exec_lo, exec_lo, s16
	v_xor_b32_e32 v144, 0x7fff7fff, v3
	; wave barrier
	s_delay_alu instid0(VALU_DEP_1) | instskip(NEXT) | instid1(VALU_DEP_1)
	v_and_b32_e32 v2, 0xffff, v144
	v_lshrrev_b32_e32 v2, s42, v2
	s_delay_alu instid0(VALU_DEP_1) | instskip(NEXT) | instid1(VALU_DEP_1)
	v_and_b32_e32 v2, s43, v2
	v_and_b32_e32 v3, 1, v2
	v_lshlrev_b32_e32 v45, 30, v2
	v_lshlrev_b32_e32 v46, 29, v2
	;; [unrolled: 1-line block ×4, first 2 shown]
	v_add_co_u32 v3, s16, v3, -1
	s_delay_alu instid0(VALU_DEP_1)
	v_cndmask_b32_e64 v149, 0, 1, s16
	v_not_b32_e32 v153, v45
	v_cmp_gt_i32_e64 s16, 0, v45
	v_not_b32_e32 v45, v46
	v_lshlrev_b32_e32 v151, 26, v2
	v_cmp_ne_u32_e32 vcc_lo, 0, v149
	v_ashrrev_i32_e32 v153, 31, v153
	v_lshlrev_b32_e32 v152, 25, v2
	v_ashrrev_i32_e32 v45, 31, v45
	v_lshlrev_b32_e32 v149, 24, v2
	v_xor_b32_e32 v3, vcc_lo, v3
	v_cmp_gt_i32_e32 vcc_lo, 0, v46
	v_not_b32_e32 v46, v148
	v_xor_b32_e32 v153, s16, v153
	v_cmp_gt_i32_e64 s16, 0, v148
	v_and_b32_e32 v3, exec_lo, v3
	v_not_b32_e32 v148, v150
	v_ashrrev_i32_e32 v46, 31, v46
	v_xor_b32_e32 v45, vcc_lo, v45
	v_cmp_gt_i32_e32 vcc_lo, 0, v150
	v_and_b32_e32 v3, v3, v153
	v_not_b32_e32 v150, v151
	v_ashrrev_i32_e32 v148, 31, v148
	v_xor_b32_e32 v46, s16, v46
	v_cmp_gt_i32_e64 s16, 0, v151
	v_and_b32_e32 v3, v3, v45
	v_not_b32_e32 v45, v152
	v_ashrrev_i32_e32 v150, 31, v150
	v_xor_b32_e32 v148, vcc_lo, v148
	v_cmp_gt_i32_e32 vcc_lo, 0, v152
	v_and_b32_e32 v3, v3, v46
	v_not_b32_e32 v46, v149
	v_ashrrev_i32_e32 v45, 31, v45
	v_xor_b32_e32 v150, s16, v150
	v_mul_u32_u24_e32 v2, 9, v2
	v_and_b32_e32 v3, v3, v148
	v_cmp_gt_i32_e64 s16, 0, v149
	v_ashrrev_i32_e32 v46, 31, v46
	v_xor_b32_e32 v45, vcc_lo, v45
	v_add_lshl_u32 v148, v2, v122, 2
	v_and_b32_e32 v3, v3, v150
	s_delay_alu instid0(VALU_DEP_4) | instskip(SKIP_3) | instid1(VALU_DEP_2)
	v_xor_b32_e32 v2, s16, v46
	ds_load_b32 v149, v148 offset:1056
	v_and_b32_e32 v3, v3, v45
	v_add_nc_u32_e32 v151, 0x420, v148
	; wave barrier
	v_and_b32_e32 v2, v3, v2
	s_delay_alu instid0(VALU_DEP_1) | instskip(SKIP_1) | instid1(VALU_DEP_2)
	v_mbcnt_lo_u32_b32 v150, v2, 0
	v_cmp_ne_u32_e64 s16, 0, v2
	v_cmp_eq_u32_e32 vcc_lo, 0, v150
	s_delay_alu instid0(VALU_DEP_2) | instskip(NEXT) | instid1(SALU_CYCLE_1)
	s_and_b32 s17, s16, vcc_lo
	s_and_saveexec_b32 s16, s17
	s_cbranch_execz .LBB919_126
; %bb.125:                              ;   in Loop: Header=BB919_98 Depth=2
	s_waitcnt lgkmcnt(0)
	v_bcnt_u32_b32 v2, v2, v149
	ds_store_b32 v151, v2
.LBB919_126:                            ;   in Loop: Header=BB919_98 Depth=2
	s_or_b32 exec_lo, exec_lo, s16
	v_lshrrev_b32_e32 v148, 16, v144
	; wave barrier
	s_delay_alu instid0(VALU_DEP_1) | instskip(NEXT) | instid1(VALU_DEP_1)
	v_lshrrev_b32_e32 v2, s42, v148
	v_and_b32_e32 v2, s43, v2
	s_delay_alu instid0(VALU_DEP_1)
	v_and_b32_e32 v3, 1, v2
	v_lshlrev_b32_e32 v45, 30, v2
	v_lshlrev_b32_e32 v46, 29, v2
	;; [unrolled: 1-line block ×4, first 2 shown]
	v_add_co_u32 v3, s16, v3, -1
	s_delay_alu instid0(VALU_DEP_1)
	v_cndmask_b32_e64 v153, 0, 1, s16
	v_not_b32_e32 v157, v45
	v_cmp_gt_i32_e64 s16, 0, v45
	v_not_b32_e32 v45, v46
	v_lshlrev_b32_e32 v155, 26, v2
	v_cmp_ne_u32_e32 vcc_lo, 0, v153
	v_ashrrev_i32_e32 v157, 31, v157
	v_lshlrev_b32_e32 v156, 25, v2
	v_ashrrev_i32_e32 v45, 31, v45
	v_lshlrev_b32_e32 v153, 24, v2
	v_xor_b32_e32 v3, vcc_lo, v3
	v_cmp_gt_i32_e32 vcc_lo, 0, v46
	v_not_b32_e32 v46, v152
	v_xor_b32_e32 v157, s16, v157
	v_cmp_gt_i32_e64 s16, 0, v152
	v_and_b32_e32 v3, exec_lo, v3
	v_not_b32_e32 v152, v154
	v_ashrrev_i32_e32 v46, 31, v46
	v_xor_b32_e32 v45, vcc_lo, v45
	v_cmp_gt_i32_e32 vcc_lo, 0, v154
	v_and_b32_e32 v3, v3, v157
	v_not_b32_e32 v154, v155
	v_ashrrev_i32_e32 v152, 31, v152
	v_xor_b32_e32 v46, s16, v46
	v_cmp_gt_i32_e64 s16, 0, v155
	v_and_b32_e32 v3, v3, v45
	v_not_b32_e32 v45, v156
	v_ashrrev_i32_e32 v154, 31, v154
	v_xor_b32_e32 v152, vcc_lo, v152
	v_cmp_gt_i32_e32 vcc_lo, 0, v156
	v_and_b32_e32 v3, v3, v46
	v_not_b32_e32 v46, v153
	v_ashrrev_i32_e32 v45, 31, v45
	v_xor_b32_e32 v154, s16, v154
	v_mul_u32_u24_e32 v2, 9, v2
	v_and_b32_e32 v3, v3, v152
	v_cmp_gt_i32_e64 s16, 0, v153
	v_ashrrev_i32_e32 v46, 31, v46
	v_xor_b32_e32 v45, vcc_lo, v45
	v_add_lshl_u32 v152, v2, v122, 2
	v_and_b32_e32 v3, v3, v154
	s_delay_alu instid0(VALU_DEP_4) | instskip(SKIP_3) | instid1(VALU_DEP_2)
	v_xor_b32_e32 v2, s16, v46
	ds_load_b32 v153, v152 offset:1056
	v_and_b32_e32 v3, v3, v45
	v_add_nc_u32_e32 v155, 0x420, v152
	; wave barrier
	v_and_b32_e32 v2, v3, v2
	s_delay_alu instid0(VALU_DEP_1) | instskip(SKIP_1) | instid1(VALU_DEP_2)
	v_mbcnt_lo_u32_b32 v154, v2, 0
	v_cmp_ne_u32_e64 s16, 0, v2
	v_cmp_eq_u32_e32 vcc_lo, 0, v154
	s_delay_alu instid0(VALU_DEP_2) | instskip(NEXT) | instid1(SALU_CYCLE_1)
	s_and_b32 s17, s16, vcc_lo
	s_and_saveexec_b32 s16, s17
	s_cbranch_execz .LBB919_128
; %bb.127:                              ;   in Loop: Header=BB919_98 Depth=2
	s_waitcnt lgkmcnt(0)
	v_bcnt_u32_b32 v2, v2, v153
	ds_store_b32 v155, v2
.LBB919_128:                            ;   in Loop: Header=BB919_98 Depth=2
	s_or_b32 exec_lo, exec_lo, s16
	v_xor_b32_e32 v152, 0x7fff7fff, v4
	; wave barrier
	s_delay_alu instid0(VALU_DEP_1) | instskip(NEXT) | instid1(VALU_DEP_1)
	v_and_b32_e32 v2, 0xffff, v152
	v_lshrrev_b32_e32 v2, s42, v2
	s_delay_alu instid0(VALU_DEP_1) | instskip(NEXT) | instid1(VALU_DEP_1)
	v_and_b32_e32 v2, s43, v2
	v_and_b32_e32 v3, 1, v2
	v_lshlrev_b32_e32 v4, 30, v2
	v_lshlrev_b32_e32 v45, 29, v2
	v_lshlrev_b32_e32 v46, 28, v2
	v_lshlrev_b32_e32 v157, 27, v2
	v_add_co_u32 v3, s16, v3, -1
	s_delay_alu instid0(VALU_DEP_1)
	v_cndmask_b32_e64 v156, 0, 1, s16
	v_not_b32_e32 v160, v4
	v_cmp_gt_i32_e64 s16, 0, v4
	v_not_b32_e32 v4, v45
	v_lshlrev_b32_e32 v158, 26, v2
	v_cmp_ne_u32_e32 vcc_lo, 0, v156
	v_ashrrev_i32_e32 v160, 31, v160
	v_lshlrev_b32_e32 v159, 25, v2
	v_ashrrev_i32_e32 v4, 31, v4
	v_lshlrev_b32_e32 v156, 24, v2
	v_xor_b32_e32 v3, vcc_lo, v3
	v_cmp_gt_i32_e32 vcc_lo, 0, v45
	v_not_b32_e32 v45, v46
	v_xor_b32_e32 v160, s16, v160
	v_cmp_gt_i32_e64 s16, 0, v46
	v_and_b32_e32 v3, exec_lo, v3
	v_not_b32_e32 v46, v157
	v_ashrrev_i32_e32 v45, 31, v45
	v_xor_b32_e32 v4, vcc_lo, v4
	v_cmp_gt_i32_e32 vcc_lo, 0, v157
	v_and_b32_e32 v3, v3, v160
	v_not_b32_e32 v157, v158
	v_ashrrev_i32_e32 v46, 31, v46
	v_xor_b32_e32 v45, s16, v45
	v_cmp_gt_i32_e64 s16, 0, v158
	v_and_b32_e32 v3, v3, v4
	v_not_b32_e32 v4, v159
	v_ashrrev_i32_e32 v157, 31, v157
	v_xor_b32_e32 v46, vcc_lo, v46
	v_cmp_gt_i32_e32 vcc_lo, 0, v159
	v_and_b32_e32 v3, v3, v45
	v_not_b32_e32 v45, v156
	v_ashrrev_i32_e32 v4, 31, v4
	v_xor_b32_e32 v157, s16, v157
	v_mul_u32_u24_e32 v2, 9, v2
	v_and_b32_e32 v3, v3, v46
	v_cmp_gt_i32_e64 s16, 0, v156
	v_ashrrev_i32_e32 v45, 31, v45
	v_xor_b32_e32 v4, vcc_lo, v4
	v_add_lshl_u32 v46, v2, v122, 2
	v_and_b32_e32 v3, v3, v157
	s_delay_alu instid0(VALU_DEP_4) | instskip(SKIP_3) | instid1(VALU_DEP_2)
	v_xor_b32_e32 v2, s16, v45
	ds_load_b32 v157, v46 offset:1056
	v_and_b32_e32 v3, v3, v4
	v_add_nc_u32_e32 v159, 0x420, v46
	; wave barrier
	v_and_b32_e32 v2, v3, v2
	s_delay_alu instid0(VALU_DEP_1) | instskip(SKIP_1) | instid1(VALU_DEP_2)
	v_mbcnt_lo_u32_b32 v158, v2, 0
	v_cmp_ne_u32_e64 s16, 0, v2
	v_cmp_eq_u32_e32 vcc_lo, 0, v158
	s_delay_alu instid0(VALU_DEP_2) | instskip(NEXT) | instid1(SALU_CYCLE_1)
	s_and_b32 s17, s16, vcc_lo
	s_and_saveexec_b32 s16, s17
	s_cbranch_execz .LBB919_130
; %bb.129:                              ;   in Loop: Header=BB919_98 Depth=2
	s_waitcnt lgkmcnt(0)
	v_bcnt_u32_b32 v2, v2, v157
	ds_store_b32 v159, v2
.LBB919_130:                            ;   in Loop: Header=BB919_98 Depth=2
	s_or_b32 exec_lo, exec_lo, s16
	v_lshrrev_b32_e32 v156, 16, v152
	; wave barrier
	s_delay_alu instid0(VALU_DEP_1) | instskip(NEXT) | instid1(VALU_DEP_1)
	v_lshrrev_b32_e32 v2, s42, v156
	v_and_b32_e32 v2, s43, v2
	s_delay_alu instid0(VALU_DEP_1)
	v_and_b32_e32 v3, 1, v2
	v_lshlrev_b32_e32 v4, 30, v2
	v_lshlrev_b32_e32 v45, 29, v2
	;; [unrolled: 1-line block ×4, first 2 shown]
	v_add_co_u32 v3, s16, v3, -1
	s_delay_alu instid0(VALU_DEP_1)
	v_cndmask_b32_e64 v160, 0, 1, s16
	v_not_b32_e32 v164, v4
	v_cmp_gt_i32_e64 s16, 0, v4
	v_not_b32_e32 v4, v45
	v_lshlrev_b32_e32 v162, 26, v2
	v_cmp_ne_u32_e32 vcc_lo, 0, v160
	v_ashrrev_i32_e32 v164, 31, v164
	v_lshlrev_b32_e32 v163, 25, v2
	v_ashrrev_i32_e32 v4, 31, v4
	v_lshlrev_b32_e32 v160, 24, v2
	v_xor_b32_e32 v3, vcc_lo, v3
	v_cmp_gt_i32_e32 vcc_lo, 0, v45
	v_not_b32_e32 v45, v46
	v_xor_b32_e32 v164, s16, v164
	v_cmp_gt_i32_e64 s16, 0, v46
	v_and_b32_e32 v3, exec_lo, v3
	v_not_b32_e32 v46, v161
	v_ashrrev_i32_e32 v45, 31, v45
	v_xor_b32_e32 v4, vcc_lo, v4
	v_cmp_gt_i32_e32 vcc_lo, 0, v161
	v_and_b32_e32 v3, v3, v164
	v_not_b32_e32 v161, v162
	v_ashrrev_i32_e32 v46, 31, v46
	v_xor_b32_e32 v45, s16, v45
	v_cmp_gt_i32_e64 s16, 0, v162
	v_and_b32_e32 v3, v3, v4
	v_not_b32_e32 v4, v163
	v_ashrrev_i32_e32 v161, 31, v161
	v_xor_b32_e32 v46, vcc_lo, v46
	v_cmp_gt_i32_e32 vcc_lo, 0, v163
	v_and_b32_e32 v3, v3, v45
	v_not_b32_e32 v45, v160
	v_ashrrev_i32_e32 v4, 31, v4
	v_xor_b32_e32 v161, s16, v161
	v_mul_u32_u24_e32 v2, 9, v2
	v_and_b32_e32 v3, v3, v46
	v_cmp_gt_i32_e64 s16, 0, v160
	v_ashrrev_i32_e32 v45, 31, v45
	v_xor_b32_e32 v4, vcc_lo, v4
	v_add_lshl_u32 v46, v2, v122, 2
	v_and_b32_e32 v3, v3, v161
	s_delay_alu instid0(VALU_DEP_4) | instskip(SKIP_3) | instid1(VALU_DEP_2)
	v_xor_b32_e32 v2, s16, v45
	ds_load_b32 v161, v46 offset:1056
	v_and_b32_e32 v3, v3, v4
	v_add_nc_u32_e32 v163, 0x420, v46
	; wave barrier
	v_and_b32_e32 v2, v3, v2
	s_delay_alu instid0(VALU_DEP_1) | instskip(SKIP_1) | instid1(VALU_DEP_2)
	v_mbcnt_lo_u32_b32 v162, v2, 0
	v_cmp_ne_u32_e64 s16, 0, v2
	v_cmp_eq_u32_e32 vcc_lo, 0, v162
	s_delay_alu instid0(VALU_DEP_2) | instskip(NEXT) | instid1(SALU_CYCLE_1)
	s_and_b32 s17, s16, vcc_lo
	s_and_saveexec_b32 s16, s17
	s_cbranch_execz .LBB919_132
; %bb.131:                              ;   in Loop: Header=BB919_98 Depth=2
	s_waitcnt lgkmcnt(0)
	v_bcnt_u32_b32 v2, v2, v161
	ds_store_b32 v163, v2
.LBB919_132:                            ;   in Loop: Header=BB919_98 Depth=2
	s_or_b32 exec_lo, exec_lo, s16
	v_xor_b32_e32 v160, 0x7fff7fff, v5
	; wave barrier
	s_delay_alu instid0(VALU_DEP_1) | instskip(NEXT) | instid1(VALU_DEP_1)
	v_and_b32_e32 v2, 0xffff, v160
	v_lshrrev_b32_e32 v2, s42, v2
	s_delay_alu instid0(VALU_DEP_1) | instskip(NEXT) | instid1(VALU_DEP_1)
	v_and_b32_e32 v2, s43, v2
	v_and_b32_e32 v3, 1, v2
	v_lshlrev_b32_e32 v4, 30, v2
	v_lshlrev_b32_e32 v5, 29, v2
	;; [unrolled: 1-line block ×4, first 2 shown]
	v_add_co_u32 v3, s16, v3, -1
	s_delay_alu instid0(VALU_DEP_1)
	v_cndmask_b32_e64 v46, 0, 1, s16
	v_not_b32_e32 v167, v4
	v_cmp_gt_i32_e64 s16, 0, v4
	v_not_b32_e32 v4, v5
	v_lshlrev_b32_e32 v165, 26, v2
	v_cmp_ne_u32_e32 vcc_lo, 0, v46
	v_ashrrev_i32_e32 v167, 31, v167
	v_lshlrev_b32_e32 v166, 25, v2
	v_ashrrev_i32_e32 v4, 31, v4
	v_lshlrev_b32_e32 v46, 24, v2
	v_xor_b32_e32 v3, vcc_lo, v3
	v_cmp_gt_i32_e32 vcc_lo, 0, v5
	v_not_b32_e32 v5, v45
	v_xor_b32_e32 v167, s16, v167
	v_cmp_gt_i32_e64 s16, 0, v45
	v_and_b32_e32 v3, exec_lo, v3
	v_not_b32_e32 v45, v164
	v_ashrrev_i32_e32 v5, 31, v5
	v_xor_b32_e32 v4, vcc_lo, v4
	v_cmp_gt_i32_e32 vcc_lo, 0, v164
	v_and_b32_e32 v3, v3, v167
	v_not_b32_e32 v164, v165
	v_ashrrev_i32_e32 v45, 31, v45
	v_xor_b32_e32 v5, s16, v5
	v_cmp_gt_i32_e64 s16, 0, v165
	v_and_b32_e32 v3, v3, v4
	v_not_b32_e32 v4, v166
	v_ashrrev_i32_e32 v164, 31, v164
	v_xor_b32_e32 v45, vcc_lo, v45
	v_cmp_gt_i32_e32 vcc_lo, 0, v166
	v_and_b32_e32 v3, v3, v5
	v_not_b32_e32 v5, v46
	v_ashrrev_i32_e32 v4, 31, v4
	v_xor_b32_e32 v164, s16, v164
	v_mul_u32_u24_e32 v2, 9, v2
	v_and_b32_e32 v3, v3, v45
	v_cmp_gt_i32_e64 s16, 0, v46
	v_ashrrev_i32_e32 v5, 31, v5
	v_xor_b32_e32 v4, vcc_lo, v4
	v_add_lshl_u32 v45, v2, v122, 2
	v_and_b32_e32 v3, v3, v164
	s_delay_alu instid0(VALU_DEP_4) | instskip(SKIP_3) | instid1(VALU_DEP_2)
	v_xor_b32_e32 v2, s16, v5
	ds_load_b32 v165, v45 offset:1056
	v_and_b32_e32 v3, v3, v4
	v_add_nc_u32_e32 v167, 0x420, v45
	; wave barrier
	v_and_b32_e32 v2, v3, v2
	s_delay_alu instid0(VALU_DEP_1) | instskip(SKIP_1) | instid1(VALU_DEP_2)
	v_mbcnt_lo_u32_b32 v166, v2, 0
	v_cmp_ne_u32_e64 s16, 0, v2
	v_cmp_eq_u32_e32 vcc_lo, 0, v166
	s_delay_alu instid0(VALU_DEP_2) | instskip(NEXT) | instid1(SALU_CYCLE_1)
	s_and_b32 s17, s16, vcc_lo
	s_and_saveexec_b32 s16, s17
	s_cbranch_execz .LBB919_134
; %bb.133:                              ;   in Loop: Header=BB919_98 Depth=2
	s_waitcnt lgkmcnt(0)
	v_bcnt_u32_b32 v2, v2, v165
	ds_store_b32 v167, v2
.LBB919_134:                            ;   in Loop: Header=BB919_98 Depth=2
	s_or_b32 exec_lo, exec_lo, s16
	v_lshrrev_b32_e32 v164, 16, v160
	; wave barrier
	s_delay_alu instid0(VALU_DEP_1) | instskip(NEXT) | instid1(VALU_DEP_1)
	v_lshrrev_b32_e32 v2, s42, v164
	v_and_b32_e32 v2, s43, v2
	s_delay_alu instid0(VALU_DEP_1)
	v_and_b32_e32 v3, 1, v2
	v_lshlrev_b32_e32 v4, 30, v2
	v_lshlrev_b32_e32 v5, 29, v2
	;; [unrolled: 1-line block ×4, first 2 shown]
	v_add_co_u32 v3, s16, v3, -1
	s_delay_alu instid0(VALU_DEP_1)
	v_cndmask_b32_e64 v46, 0, 1, s16
	v_not_b32_e32 v171, v4
	v_cmp_gt_i32_e64 s16, 0, v4
	v_not_b32_e32 v4, v5
	v_lshlrev_b32_e32 v169, 26, v2
	v_cmp_ne_u32_e32 vcc_lo, 0, v46
	v_ashrrev_i32_e32 v171, 31, v171
	v_lshlrev_b32_e32 v170, 25, v2
	v_ashrrev_i32_e32 v4, 31, v4
	v_lshlrev_b32_e32 v46, 24, v2
	v_xor_b32_e32 v3, vcc_lo, v3
	v_cmp_gt_i32_e32 vcc_lo, 0, v5
	v_not_b32_e32 v5, v45
	v_xor_b32_e32 v171, s16, v171
	v_cmp_gt_i32_e64 s16, 0, v45
	v_and_b32_e32 v3, exec_lo, v3
	v_not_b32_e32 v45, v168
	v_ashrrev_i32_e32 v5, 31, v5
	v_xor_b32_e32 v4, vcc_lo, v4
	v_cmp_gt_i32_e32 vcc_lo, 0, v168
	v_and_b32_e32 v3, v3, v171
	v_not_b32_e32 v168, v169
	v_ashrrev_i32_e32 v45, 31, v45
	v_xor_b32_e32 v5, s16, v5
	v_cmp_gt_i32_e64 s16, 0, v169
	v_and_b32_e32 v3, v3, v4
	v_not_b32_e32 v4, v170
	v_ashrrev_i32_e32 v168, 31, v168
	v_xor_b32_e32 v45, vcc_lo, v45
	v_cmp_gt_i32_e32 vcc_lo, 0, v170
	v_and_b32_e32 v3, v3, v5
	v_not_b32_e32 v5, v46
	v_ashrrev_i32_e32 v4, 31, v4
	v_xor_b32_e32 v168, s16, v168
	v_mul_u32_u24_e32 v2, 9, v2
	v_and_b32_e32 v3, v3, v45
	v_cmp_gt_i32_e64 s16, 0, v46
	v_ashrrev_i32_e32 v5, 31, v5
	v_xor_b32_e32 v4, vcc_lo, v4
	v_add_lshl_u32 v45, v2, v122, 2
	v_and_b32_e32 v3, v3, v168
	s_delay_alu instid0(VALU_DEP_4) | instskip(SKIP_3) | instid1(VALU_DEP_2)
	v_xor_b32_e32 v2, s16, v5
	ds_load_b32 v169, v45 offset:1056
	v_and_b32_e32 v3, v3, v4
	v_add_nc_u32_e32 v171, 0x420, v45
	; wave barrier
	v_and_b32_e32 v2, v3, v2
	s_delay_alu instid0(VALU_DEP_1) | instskip(SKIP_1) | instid1(VALU_DEP_2)
	v_mbcnt_lo_u32_b32 v170, v2, 0
	v_cmp_ne_u32_e64 s16, 0, v2
	v_cmp_eq_u32_e32 vcc_lo, 0, v170
	s_delay_alu instid0(VALU_DEP_2) | instskip(NEXT) | instid1(SALU_CYCLE_1)
	s_and_b32 s17, s16, vcc_lo
	s_and_saveexec_b32 s16, s17
	s_cbranch_execz .LBB919_136
; %bb.135:                              ;   in Loop: Header=BB919_98 Depth=2
	s_waitcnt lgkmcnt(0)
	v_bcnt_u32_b32 v2, v2, v169
	ds_store_b32 v171, v2
.LBB919_136:                            ;   in Loop: Header=BB919_98 Depth=2
	s_or_b32 exec_lo, exec_lo, s16
	v_xor_b32_e32 v168, 0x7fff7fff, v6
	; wave barrier
	s_delay_alu instid0(VALU_DEP_1) | instskip(NEXT) | instid1(VALU_DEP_1)
	v_and_b32_e32 v2, 0xffff, v168
	v_lshrrev_b32_e32 v2, s42, v2
	s_delay_alu instid0(VALU_DEP_1) | instskip(NEXT) | instid1(VALU_DEP_1)
	v_and_b32_e32 v2, s43, v2
	v_and_b32_e32 v3, 1, v2
	v_lshlrev_b32_e32 v4, 30, v2
	v_lshlrev_b32_e32 v5, 29, v2
	;; [unrolled: 1-line block ×4, first 2 shown]
	v_add_co_u32 v3, s16, v3, -1
	s_delay_alu instid0(VALU_DEP_1)
	v_cndmask_b32_e64 v45, 0, 1, s16
	v_not_b32_e32 v174, v4
	v_cmp_gt_i32_e64 s16, 0, v4
	v_not_b32_e32 v4, v5
	v_lshlrev_b32_e32 v172, 26, v2
	v_cmp_ne_u32_e32 vcc_lo, 0, v45
	v_ashrrev_i32_e32 v174, 31, v174
	v_lshlrev_b32_e32 v173, 25, v2
	v_ashrrev_i32_e32 v4, 31, v4
	v_lshlrev_b32_e32 v45, 24, v2
	v_xor_b32_e32 v3, vcc_lo, v3
	v_cmp_gt_i32_e32 vcc_lo, 0, v5
	v_not_b32_e32 v5, v6
	v_xor_b32_e32 v174, s16, v174
	v_cmp_gt_i32_e64 s16, 0, v6
	v_and_b32_e32 v3, exec_lo, v3
	v_not_b32_e32 v6, v46
	v_ashrrev_i32_e32 v5, 31, v5
	v_xor_b32_e32 v4, vcc_lo, v4
	v_cmp_gt_i32_e32 vcc_lo, 0, v46
	v_and_b32_e32 v3, v3, v174
	v_not_b32_e32 v46, v172
	v_ashrrev_i32_e32 v6, 31, v6
	v_xor_b32_e32 v5, s16, v5
	v_cmp_gt_i32_e64 s16, 0, v172
	v_and_b32_e32 v3, v3, v4
	v_not_b32_e32 v4, v173
	v_ashrrev_i32_e32 v46, 31, v46
	v_xor_b32_e32 v6, vcc_lo, v6
	v_cmp_gt_i32_e32 vcc_lo, 0, v173
	v_and_b32_e32 v3, v3, v5
	v_not_b32_e32 v5, v45
	v_ashrrev_i32_e32 v4, 31, v4
	v_xor_b32_e32 v46, s16, v46
	v_mul_u32_u24_e32 v2, 9, v2
	v_and_b32_e32 v3, v3, v6
	v_cmp_gt_i32_e64 s16, 0, v45
	v_ashrrev_i32_e32 v5, 31, v5
	v_xor_b32_e32 v4, vcc_lo, v4
	v_add_lshl_u32 v6, v2, v122, 2
	v_and_b32_e32 v3, v3, v46
	s_delay_alu instid0(VALU_DEP_4) | instskip(SKIP_3) | instid1(VALU_DEP_2)
	v_xor_b32_e32 v2, s16, v5
	ds_load_b32 v173, v6 offset:1056
	v_and_b32_e32 v3, v3, v4
	v_add_nc_u32_e32 v175, 0x420, v6
	; wave barrier
	v_and_b32_e32 v2, v3, v2
	s_delay_alu instid0(VALU_DEP_1) | instskip(SKIP_1) | instid1(VALU_DEP_2)
	v_mbcnt_lo_u32_b32 v174, v2, 0
	v_cmp_ne_u32_e64 s16, 0, v2
	v_cmp_eq_u32_e32 vcc_lo, 0, v174
	s_delay_alu instid0(VALU_DEP_2) | instskip(NEXT) | instid1(SALU_CYCLE_1)
	s_and_b32 s17, s16, vcc_lo
	s_and_saveexec_b32 s16, s17
	s_cbranch_execz .LBB919_138
; %bb.137:                              ;   in Loop: Header=BB919_98 Depth=2
	s_waitcnt lgkmcnt(0)
	v_bcnt_u32_b32 v2, v2, v173
	ds_store_b32 v175, v2
.LBB919_138:                            ;   in Loop: Header=BB919_98 Depth=2
	s_or_b32 exec_lo, exec_lo, s16
	v_lshrrev_b32_e32 v172, 16, v168
	; wave barrier
	s_delay_alu instid0(VALU_DEP_1) | instskip(NEXT) | instid1(VALU_DEP_1)
	v_lshrrev_b32_e32 v2, s42, v172
	v_and_b32_e32 v2, s43, v2
	s_delay_alu instid0(VALU_DEP_1)
	v_and_b32_e32 v3, 1, v2
	v_lshlrev_b32_e32 v4, 30, v2
	v_lshlrev_b32_e32 v5, 29, v2
	v_lshlrev_b32_e32 v6, 28, v2
	v_lshlrev_b32_e32 v46, 27, v2
	v_add_co_u32 v3, s16, v3, -1
	s_delay_alu instid0(VALU_DEP_1)
	v_cndmask_b32_e64 v45, 0, 1, s16
	v_not_b32_e32 v178, v4
	v_cmp_gt_i32_e64 s16, 0, v4
	v_not_b32_e32 v4, v5
	v_lshlrev_b32_e32 v176, 26, v2
	v_cmp_ne_u32_e32 vcc_lo, 0, v45
	v_ashrrev_i32_e32 v178, 31, v178
	v_lshlrev_b32_e32 v177, 25, v2
	v_ashrrev_i32_e32 v4, 31, v4
	v_lshlrev_b32_e32 v45, 24, v2
	v_xor_b32_e32 v3, vcc_lo, v3
	v_cmp_gt_i32_e32 vcc_lo, 0, v5
	v_not_b32_e32 v5, v6
	v_xor_b32_e32 v178, s16, v178
	v_cmp_gt_i32_e64 s16, 0, v6
	v_and_b32_e32 v3, exec_lo, v3
	v_not_b32_e32 v6, v46
	v_ashrrev_i32_e32 v5, 31, v5
	v_xor_b32_e32 v4, vcc_lo, v4
	v_cmp_gt_i32_e32 vcc_lo, 0, v46
	v_and_b32_e32 v3, v3, v178
	v_not_b32_e32 v46, v176
	v_ashrrev_i32_e32 v6, 31, v6
	v_xor_b32_e32 v5, s16, v5
	v_cmp_gt_i32_e64 s16, 0, v176
	v_and_b32_e32 v3, v3, v4
	v_not_b32_e32 v4, v177
	v_ashrrev_i32_e32 v46, 31, v46
	v_xor_b32_e32 v6, vcc_lo, v6
	v_cmp_gt_i32_e32 vcc_lo, 0, v177
	v_and_b32_e32 v3, v3, v5
	v_not_b32_e32 v5, v45
	v_ashrrev_i32_e32 v4, 31, v4
	v_xor_b32_e32 v46, s16, v46
	v_mul_u32_u24_e32 v2, 9, v2
	v_and_b32_e32 v3, v3, v6
	v_cmp_gt_i32_e64 s16, 0, v45
	v_ashrrev_i32_e32 v5, 31, v5
	v_xor_b32_e32 v4, vcc_lo, v4
	v_add_lshl_u32 v6, v2, v122, 2
	v_and_b32_e32 v3, v3, v46
	s_delay_alu instid0(VALU_DEP_4) | instskip(SKIP_3) | instid1(VALU_DEP_2)
	v_xor_b32_e32 v2, s16, v5
	ds_load_b32 v177, v6 offset:1056
	v_and_b32_e32 v3, v3, v4
	v_add_nc_u32_e32 v179, 0x420, v6
	; wave barrier
	v_and_b32_e32 v2, v3, v2
	s_delay_alu instid0(VALU_DEP_1) | instskip(SKIP_1) | instid1(VALU_DEP_2)
	v_mbcnt_lo_u32_b32 v178, v2, 0
	v_cmp_ne_u32_e64 s16, 0, v2
	v_cmp_eq_u32_e32 vcc_lo, 0, v178
	s_delay_alu instid0(VALU_DEP_2) | instskip(NEXT) | instid1(SALU_CYCLE_1)
	s_and_b32 s17, s16, vcc_lo
	s_and_saveexec_b32 s16, s17
	s_cbranch_execz .LBB919_140
; %bb.139:                              ;   in Loop: Header=BB919_98 Depth=2
	s_waitcnt lgkmcnt(0)
	v_bcnt_u32_b32 v2, v2, v177
	ds_store_b32 v179, v2
.LBB919_140:                            ;   in Loop: Header=BB919_98 Depth=2
	s_or_b32 exec_lo, exec_lo, s16
	v_xor_b32_e32 v176, 0x7fff7fff, v7
	; wave barrier
	s_delay_alu instid0(VALU_DEP_1) | instskip(NEXT) | instid1(VALU_DEP_1)
	v_and_b32_e32 v2, 0xffff, v176
	v_lshrrev_b32_e32 v2, s42, v2
	s_delay_alu instid0(VALU_DEP_1) | instskip(NEXT) | instid1(VALU_DEP_1)
	v_and_b32_e32 v2, s43, v2
	v_and_b32_e32 v3, 1, v2
	v_lshlrev_b32_e32 v4, 30, v2
	v_lshlrev_b32_e32 v5, 29, v2
	;; [unrolled: 1-line block ×4, first 2 shown]
	v_add_co_u32 v3, s16, v3, -1
	s_delay_alu instid0(VALU_DEP_1)
	v_cndmask_b32_e64 v7, 0, 1, s16
	v_not_b32_e32 v181, v4
	v_cmp_gt_i32_e64 s16, 0, v4
	v_not_b32_e32 v4, v5
	v_lshlrev_b32_e32 v46, 26, v2
	v_cmp_ne_u32_e32 vcc_lo, 0, v7
	v_ashrrev_i32_e32 v181, 31, v181
	v_lshlrev_b32_e32 v180, 25, v2
	v_ashrrev_i32_e32 v4, 31, v4
	v_lshlrev_b32_e32 v7, 24, v2
	v_xor_b32_e32 v3, vcc_lo, v3
	v_cmp_gt_i32_e32 vcc_lo, 0, v5
	v_not_b32_e32 v5, v6
	v_xor_b32_e32 v181, s16, v181
	v_cmp_gt_i32_e64 s16, 0, v6
	v_and_b32_e32 v3, exec_lo, v3
	v_not_b32_e32 v6, v45
	v_ashrrev_i32_e32 v5, 31, v5
	v_xor_b32_e32 v4, vcc_lo, v4
	v_cmp_gt_i32_e32 vcc_lo, 0, v45
	v_and_b32_e32 v3, v3, v181
	v_not_b32_e32 v45, v46
	v_ashrrev_i32_e32 v6, 31, v6
	v_xor_b32_e32 v5, s16, v5
	v_cmp_gt_i32_e64 s16, 0, v46
	v_and_b32_e32 v3, v3, v4
	v_not_b32_e32 v4, v180
	v_ashrrev_i32_e32 v45, 31, v45
	v_xor_b32_e32 v6, vcc_lo, v6
	v_cmp_gt_i32_e32 vcc_lo, 0, v180
	v_and_b32_e32 v3, v3, v5
	v_not_b32_e32 v5, v7
	v_ashrrev_i32_e32 v4, 31, v4
	v_xor_b32_e32 v45, s16, v45
	v_mul_u32_u24_e32 v2, 9, v2
	v_and_b32_e32 v3, v3, v6
	v_cmp_gt_i32_e64 s16, 0, v7
	v_ashrrev_i32_e32 v5, 31, v5
	v_xor_b32_e32 v4, vcc_lo, v4
	v_add_lshl_u32 v6, v2, v122, 2
	v_and_b32_e32 v3, v3, v45
	s_delay_alu instid0(VALU_DEP_4) | instskip(SKIP_3) | instid1(VALU_DEP_2)
	v_xor_b32_e32 v2, s16, v5
	ds_load_b32 v181, v6 offset:1056
	v_and_b32_e32 v3, v3, v4
	v_add_nc_u32_e32 v183, 0x420, v6
	; wave barrier
	v_and_b32_e32 v2, v3, v2
	s_delay_alu instid0(VALU_DEP_1) | instskip(SKIP_1) | instid1(VALU_DEP_2)
	v_mbcnt_lo_u32_b32 v182, v2, 0
	v_cmp_ne_u32_e64 s16, 0, v2
	v_cmp_eq_u32_e32 vcc_lo, 0, v182
	s_delay_alu instid0(VALU_DEP_2) | instskip(NEXT) | instid1(SALU_CYCLE_1)
	s_and_b32 s17, s16, vcc_lo
	s_and_saveexec_b32 s16, s17
	s_cbranch_execz .LBB919_142
; %bb.141:                              ;   in Loop: Header=BB919_98 Depth=2
	s_waitcnt lgkmcnt(0)
	v_bcnt_u32_b32 v2, v2, v181
	ds_store_b32 v183, v2
.LBB919_142:                            ;   in Loop: Header=BB919_98 Depth=2
	s_or_b32 exec_lo, exec_lo, s16
	v_lshrrev_b32_e32 v180, 16, v176
	; wave barrier
	s_delay_alu instid0(VALU_DEP_1) | instskip(NEXT) | instid1(VALU_DEP_1)
	v_lshrrev_b32_e32 v2, s42, v180
	v_and_b32_e32 v2, s43, v2
	s_delay_alu instid0(VALU_DEP_1)
	v_and_b32_e32 v3, 1, v2
	v_lshlrev_b32_e32 v4, 30, v2
	v_lshlrev_b32_e32 v5, 29, v2
	;; [unrolled: 1-line block ×4, first 2 shown]
	v_add_co_u32 v3, s16, v3, -1
	s_delay_alu instid0(VALU_DEP_1)
	v_cndmask_b32_e64 v7, 0, 1, s16
	v_not_b32_e32 v185, v4
	v_cmp_gt_i32_e64 s16, 0, v4
	v_not_b32_e32 v4, v5
	v_lshlrev_b32_e32 v46, 26, v2
	v_cmp_ne_u32_e32 vcc_lo, 0, v7
	v_ashrrev_i32_e32 v185, 31, v185
	v_lshlrev_b32_e32 v184, 25, v2
	v_ashrrev_i32_e32 v4, 31, v4
	v_lshlrev_b32_e32 v7, 24, v2
	v_xor_b32_e32 v3, vcc_lo, v3
	v_cmp_gt_i32_e32 vcc_lo, 0, v5
	v_not_b32_e32 v5, v6
	v_xor_b32_e32 v185, s16, v185
	v_cmp_gt_i32_e64 s16, 0, v6
	v_and_b32_e32 v3, exec_lo, v3
	v_not_b32_e32 v6, v45
	v_ashrrev_i32_e32 v5, 31, v5
	v_xor_b32_e32 v4, vcc_lo, v4
	v_cmp_gt_i32_e32 vcc_lo, 0, v45
	v_and_b32_e32 v3, v3, v185
	v_not_b32_e32 v45, v46
	v_ashrrev_i32_e32 v6, 31, v6
	v_xor_b32_e32 v5, s16, v5
	v_cmp_gt_i32_e64 s16, 0, v46
	v_and_b32_e32 v3, v3, v4
	v_not_b32_e32 v4, v184
	v_ashrrev_i32_e32 v45, 31, v45
	v_xor_b32_e32 v6, vcc_lo, v6
	v_cmp_gt_i32_e32 vcc_lo, 0, v184
	v_and_b32_e32 v3, v3, v5
	v_not_b32_e32 v5, v7
	v_ashrrev_i32_e32 v4, 31, v4
	v_xor_b32_e32 v45, s16, v45
	v_mul_u32_u24_e32 v2, 9, v2
	v_and_b32_e32 v3, v3, v6
	v_cmp_gt_i32_e64 s16, 0, v7
	v_ashrrev_i32_e32 v5, 31, v5
	v_xor_b32_e32 v4, vcc_lo, v4
	v_add_lshl_u32 v6, v2, v122, 2
	v_and_b32_e32 v3, v3, v45
	s_delay_alu instid0(VALU_DEP_4) | instskip(SKIP_3) | instid1(VALU_DEP_2)
	v_xor_b32_e32 v2, s16, v5
	ds_load_b32 v185, v6 offset:1056
	v_and_b32_e32 v3, v3, v4
	v_add_nc_u32_e32 v187, 0x420, v6
	; wave barrier
	v_and_b32_e32 v2, v3, v2
	s_delay_alu instid0(VALU_DEP_1) | instskip(SKIP_1) | instid1(VALU_DEP_2)
	v_mbcnt_lo_u32_b32 v186, v2, 0
	v_cmp_ne_u32_e64 s16, 0, v2
	v_cmp_eq_u32_e32 vcc_lo, 0, v186
	s_delay_alu instid0(VALU_DEP_2) | instskip(NEXT) | instid1(SALU_CYCLE_1)
	s_and_b32 s17, s16, vcc_lo
	s_and_saveexec_b32 s16, s17
	s_cbranch_execz .LBB919_144
; %bb.143:                              ;   in Loop: Header=BB919_98 Depth=2
	s_waitcnt lgkmcnt(0)
	v_bcnt_u32_b32 v2, v2, v185
	ds_store_b32 v187, v2
.LBB919_144:                            ;   in Loop: Header=BB919_98 Depth=2
	s_or_b32 exec_lo, exec_lo, s16
	v_xor_b32_e32 v184, 0x7fff7fff, v8
	; wave barrier
	s_delay_alu instid0(VALU_DEP_1) | instskip(NEXT) | instid1(VALU_DEP_1)
	v_and_b32_e32 v2, 0xffff, v184
	v_lshrrev_b32_e32 v2, s42, v2
	s_delay_alu instid0(VALU_DEP_1) | instskip(NEXT) | instid1(VALU_DEP_1)
	v_and_b32_e32 v2, s43, v2
	v_and_b32_e32 v3, 1, v2
	v_lshlrev_b32_e32 v4, 30, v2
	v_lshlrev_b32_e32 v5, 29, v2
	;; [unrolled: 1-line block ×4, first 2 shown]
	v_add_co_u32 v3, s16, v3, -1
	s_delay_alu instid0(VALU_DEP_1)
	v_cndmask_b32_e64 v7, 0, 1, s16
	v_not_b32_e32 v188, v4
	v_cmp_gt_i32_e64 s16, 0, v4
	v_not_b32_e32 v4, v5
	v_lshlrev_b32_e32 v45, 26, v2
	v_cmp_ne_u32_e32 vcc_lo, 0, v7
	v_ashrrev_i32_e32 v188, 31, v188
	v_lshlrev_b32_e32 v46, 25, v2
	v_ashrrev_i32_e32 v4, 31, v4
	v_lshlrev_b32_e32 v7, 24, v2
	v_xor_b32_e32 v3, vcc_lo, v3
	v_cmp_gt_i32_e32 vcc_lo, 0, v5
	v_not_b32_e32 v5, v6
	v_xor_b32_e32 v188, s16, v188
	v_cmp_gt_i32_e64 s16, 0, v6
	v_and_b32_e32 v3, exec_lo, v3
	v_not_b32_e32 v6, v8
	v_ashrrev_i32_e32 v5, 31, v5
	v_xor_b32_e32 v4, vcc_lo, v4
	v_cmp_gt_i32_e32 vcc_lo, 0, v8
	v_and_b32_e32 v3, v3, v188
	v_not_b32_e32 v8, v45
	v_ashrrev_i32_e32 v6, 31, v6
	v_xor_b32_e32 v5, s16, v5
	v_cmp_gt_i32_e64 s16, 0, v45
	v_and_b32_e32 v3, v3, v4
	v_not_b32_e32 v4, v46
	v_ashrrev_i32_e32 v8, 31, v8
	v_xor_b32_e32 v6, vcc_lo, v6
	v_cmp_gt_i32_e32 vcc_lo, 0, v46
	v_and_b32_e32 v3, v3, v5
	v_not_b32_e32 v5, v7
	v_ashrrev_i32_e32 v4, 31, v4
	v_xor_b32_e32 v8, s16, v8
	v_mul_u32_u24_e32 v2, 9, v2
	v_and_b32_e32 v3, v3, v6
	v_cmp_gt_i32_e64 s16, 0, v7
	v_ashrrev_i32_e32 v5, 31, v5
	v_xor_b32_e32 v4, vcc_lo, v4
	v_add_lshl_u32 v6, v2, v122, 2
	v_and_b32_e32 v3, v3, v8
	s_delay_alu instid0(VALU_DEP_4) | instskip(SKIP_3) | instid1(VALU_DEP_2)
	v_xor_b32_e32 v2, s16, v5
	ds_load_b32 v8, v6 offset:1056
	v_and_b32_e32 v3, v3, v4
	v_add_nc_u32_e32 v190, 0x420, v6
	; wave barrier
	v_and_b32_e32 v2, v3, v2
	s_delay_alu instid0(VALU_DEP_1) | instskip(SKIP_1) | instid1(VALU_DEP_2)
	v_mbcnt_lo_u32_b32 v189, v2, 0
	v_cmp_ne_u32_e64 s16, 0, v2
	v_cmp_eq_u32_e32 vcc_lo, 0, v189
	s_delay_alu instid0(VALU_DEP_2) | instskip(NEXT) | instid1(SALU_CYCLE_1)
	s_and_b32 s17, s16, vcc_lo
	s_and_saveexec_b32 s16, s17
	s_cbranch_execz .LBB919_146
; %bb.145:                              ;   in Loop: Header=BB919_98 Depth=2
	s_waitcnt lgkmcnt(0)
	v_bcnt_u32_b32 v2, v2, v8
	ds_store_b32 v190, v2
.LBB919_146:                            ;   in Loop: Header=BB919_98 Depth=2
	s_or_b32 exec_lo, exec_lo, s16
	v_lshrrev_b32_e32 v188, 16, v184
	; wave barrier
	s_delay_alu instid0(VALU_DEP_1) | instskip(NEXT) | instid1(VALU_DEP_1)
	v_lshrrev_b32_e32 v2, s42, v188
	v_and_b32_e32 v2, s43, v2
	s_delay_alu instid0(VALU_DEP_1)
	v_and_b32_e32 v3, 1, v2
	v_lshlrev_b32_e32 v4, 30, v2
	v_lshlrev_b32_e32 v5, 29, v2
	;; [unrolled: 1-line block ×4, first 2 shown]
	v_add_co_u32 v3, s16, v3, -1
	s_delay_alu instid0(VALU_DEP_1)
	v_cndmask_b32_e64 v7, 0, 1, s16
	v_not_b32_e32 v192, v4
	v_cmp_gt_i32_e64 s16, 0, v4
	v_not_b32_e32 v4, v5
	v_lshlrev_b32_e32 v46, 26, v2
	v_cmp_ne_u32_e32 vcc_lo, 0, v7
	v_ashrrev_i32_e32 v192, 31, v192
	v_lshlrev_b32_e32 v191, 25, v2
	v_ashrrev_i32_e32 v4, 31, v4
	v_lshlrev_b32_e32 v7, 24, v2
	v_xor_b32_e32 v3, vcc_lo, v3
	v_cmp_gt_i32_e32 vcc_lo, 0, v5
	v_not_b32_e32 v5, v6
	v_xor_b32_e32 v192, s16, v192
	v_cmp_gt_i32_e64 s16, 0, v6
	v_and_b32_e32 v3, exec_lo, v3
	v_not_b32_e32 v6, v45
	v_ashrrev_i32_e32 v5, 31, v5
	v_xor_b32_e32 v4, vcc_lo, v4
	v_cmp_gt_i32_e32 vcc_lo, 0, v45
	v_and_b32_e32 v3, v3, v192
	v_not_b32_e32 v45, v46
	v_ashrrev_i32_e32 v6, 31, v6
	v_xor_b32_e32 v5, s16, v5
	v_cmp_gt_i32_e64 s16, 0, v46
	v_and_b32_e32 v3, v3, v4
	v_not_b32_e32 v4, v191
	v_ashrrev_i32_e32 v45, 31, v45
	v_xor_b32_e32 v6, vcc_lo, v6
	v_cmp_gt_i32_e32 vcc_lo, 0, v191
	v_and_b32_e32 v3, v3, v5
	v_not_b32_e32 v5, v7
	v_ashrrev_i32_e32 v4, 31, v4
	v_xor_b32_e32 v45, s16, v45
	v_mul_u32_u24_e32 v2, 9, v2
	v_and_b32_e32 v3, v3, v6
	v_cmp_gt_i32_e64 s16, 0, v7
	v_ashrrev_i32_e32 v5, 31, v5
	v_xor_b32_e32 v4, vcc_lo, v4
	v_add_lshl_u32 v6, v2, v122, 2
	v_and_b32_e32 v3, v3, v45
	s_delay_alu instid0(VALU_DEP_4) | instskip(SKIP_3) | instid1(VALU_DEP_2)
	v_xor_b32_e32 v2, s16, v5
	ds_load_b32 v191, v6 offset:1056
	v_and_b32_e32 v3, v3, v4
	v_add_nc_u32_e32 v193, 0x420, v6
	; wave barrier
	v_and_b32_e32 v2, v3, v2
	s_delay_alu instid0(VALU_DEP_1) | instskip(SKIP_1) | instid1(VALU_DEP_2)
	v_mbcnt_lo_u32_b32 v192, v2, 0
	v_cmp_ne_u32_e64 s16, 0, v2
	v_cmp_eq_u32_e32 vcc_lo, 0, v192
	s_delay_alu instid0(VALU_DEP_2) | instskip(NEXT) | instid1(SALU_CYCLE_1)
	s_and_b32 s17, s16, vcc_lo
	s_and_saveexec_b32 s16, s17
	s_cbranch_execz .LBB919_148
; %bb.147:                              ;   in Loop: Header=BB919_98 Depth=2
	s_waitcnt lgkmcnt(0)
	v_bcnt_u32_b32 v2, v2, v191
	ds_store_b32 v193, v2
.LBB919_148:                            ;   in Loop: Header=BB919_98 Depth=2
	s_or_b32 exec_lo, exec_lo, s16
	v_xor_b32_e32 v9, 0x7fff7fff, v9
	; wave barrier
	s_delay_alu instid0(VALU_DEP_1) | instskip(NEXT) | instid1(VALU_DEP_1)
	v_and_b32_e32 v2, 0xffff, v9
	v_lshrrev_b32_e32 v2, s42, v2
	s_delay_alu instid0(VALU_DEP_1) | instskip(NEXT) | instid1(VALU_DEP_1)
	v_and_b32_e32 v2, s43, v2
	v_and_b32_e32 v3, 1, v2
	v_lshlrev_b32_e32 v4, 30, v2
	v_lshlrev_b32_e32 v5, 29, v2
	;; [unrolled: 1-line block ×4, first 2 shown]
	v_add_co_u32 v3, s16, v3, -1
	s_delay_alu instid0(VALU_DEP_1)
	v_cndmask_b32_e64 v7, 0, 1, s16
	v_not_b32_e32 v195, v4
	v_cmp_gt_i32_e64 s16, 0, v4
	v_not_b32_e32 v4, v5
	v_lshlrev_b32_e32 v46, 26, v2
	v_cmp_ne_u32_e32 vcc_lo, 0, v7
	v_ashrrev_i32_e32 v195, 31, v195
	v_lshlrev_b32_e32 v194, 25, v2
	v_ashrrev_i32_e32 v4, 31, v4
	v_lshlrev_b32_e32 v7, 24, v2
	v_xor_b32_e32 v3, vcc_lo, v3
	v_cmp_gt_i32_e32 vcc_lo, 0, v5
	v_not_b32_e32 v5, v6
	v_xor_b32_e32 v195, s16, v195
	v_cmp_gt_i32_e64 s16, 0, v6
	v_and_b32_e32 v3, exec_lo, v3
	v_not_b32_e32 v6, v45
	v_ashrrev_i32_e32 v5, 31, v5
	v_xor_b32_e32 v4, vcc_lo, v4
	v_cmp_gt_i32_e32 vcc_lo, 0, v45
	v_and_b32_e32 v3, v3, v195
	v_not_b32_e32 v45, v46
	v_ashrrev_i32_e32 v6, 31, v6
	v_xor_b32_e32 v5, s16, v5
	v_cmp_gt_i32_e64 s16, 0, v46
	v_and_b32_e32 v3, v3, v4
	v_not_b32_e32 v4, v194
	v_ashrrev_i32_e32 v45, 31, v45
	v_xor_b32_e32 v6, vcc_lo, v6
	v_cmp_gt_i32_e32 vcc_lo, 0, v194
	v_and_b32_e32 v3, v3, v5
	v_not_b32_e32 v5, v7
	v_ashrrev_i32_e32 v4, 31, v4
	v_xor_b32_e32 v45, s16, v45
	v_mul_u32_u24_e32 v2, 9, v2
	v_and_b32_e32 v3, v3, v6
	v_cmp_gt_i32_e64 s16, 0, v7
	v_ashrrev_i32_e32 v5, 31, v5
	v_xor_b32_e32 v4, vcc_lo, v4
	v_add_lshl_u32 v6, v2, v122, 2
	v_and_b32_e32 v3, v3, v45
	s_delay_alu instid0(VALU_DEP_4) | instskip(SKIP_3) | instid1(VALU_DEP_2)
	v_xor_b32_e32 v2, s16, v5
	ds_load_b32 v195, v6 offset:1056
	v_and_b32_e32 v3, v3, v4
	v_add_nc_u32_e32 v197, 0x420, v6
	; wave barrier
	v_and_b32_e32 v2, v3, v2
	s_delay_alu instid0(VALU_DEP_1) | instskip(SKIP_1) | instid1(VALU_DEP_2)
	v_mbcnt_lo_u32_b32 v196, v2, 0
	v_cmp_ne_u32_e64 s16, 0, v2
	v_cmp_eq_u32_e32 vcc_lo, 0, v196
	s_delay_alu instid0(VALU_DEP_2) | instskip(NEXT) | instid1(SALU_CYCLE_1)
	s_and_b32 s17, s16, vcc_lo
	s_and_saveexec_b32 s16, s17
	s_cbranch_execz .LBB919_150
; %bb.149:                              ;   in Loop: Header=BB919_98 Depth=2
	s_waitcnt lgkmcnt(0)
	v_bcnt_u32_b32 v2, v2, v195
	ds_store_b32 v197, v2
.LBB919_150:                            ;   in Loop: Header=BB919_98 Depth=2
	s_or_b32 exec_lo, exec_lo, s16
	v_lshrrev_b32_e32 v194, 16, v9
	; wave barrier
	s_delay_alu instid0(VALU_DEP_1) | instskip(NEXT) | instid1(VALU_DEP_1)
	v_lshrrev_b32_e32 v2, s42, v194
	v_and_b32_e32 v2, s43, v2
	s_delay_alu instid0(VALU_DEP_1)
	v_and_b32_e32 v3, 1, v2
	v_lshlrev_b32_e32 v4, 30, v2
	v_lshlrev_b32_e32 v5, 29, v2
	;; [unrolled: 1-line block ×4, first 2 shown]
	v_add_co_u32 v3, s16, v3, -1
	s_delay_alu instid0(VALU_DEP_1)
	v_cndmask_b32_e64 v7, 0, 1, s16
	v_not_b32_e32 v199, v4
	v_cmp_gt_i32_e64 s16, 0, v4
	v_not_b32_e32 v4, v5
	v_lshlrev_b32_e32 v46, 26, v2
	v_cmp_ne_u32_e32 vcc_lo, 0, v7
	v_ashrrev_i32_e32 v199, 31, v199
	v_lshlrev_b32_e32 v198, 25, v2
	v_ashrrev_i32_e32 v4, 31, v4
	v_lshlrev_b32_e32 v7, 24, v2
	v_xor_b32_e32 v3, vcc_lo, v3
	v_cmp_gt_i32_e32 vcc_lo, 0, v5
	v_not_b32_e32 v5, v6
	v_xor_b32_e32 v199, s16, v199
	v_cmp_gt_i32_e64 s16, 0, v6
	v_and_b32_e32 v3, exec_lo, v3
	v_not_b32_e32 v6, v45
	v_ashrrev_i32_e32 v5, 31, v5
	v_xor_b32_e32 v4, vcc_lo, v4
	v_cmp_gt_i32_e32 vcc_lo, 0, v45
	v_and_b32_e32 v3, v3, v199
	v_not_b32_e32 v45, v46
	v_ashrrev_i32_e32 v6, 31, v6
	v_xor_b32_e32 v5, s16, v5
	v_cmp_gt_i32_e64 s16, 0, v46
	v_and_b32_e32 v3, v3, v4
	v_not_b32_e32 v4, v198
	v_ashrrev_i32_e32 v45, 31, v45
	v_xor_b32_e32 v6, vcc_lo, v6
	v_cmp_gt_i32_e32 vcc_lo, 0, v198
	v_and_b32_e32 v3, v3, v5
	v_not_b32_e32 v5, v7
	v_ashrrev_i32_e32 v4, 31, v4
	v_xor_b32_e32 v45, s16, v45
	v_mul_u32_u24_e32 v2, 9, v2
	v_and_b32_e32 v3, v3, v6
	v_cmp_gt_i32_e64 s16, 0, v7
	v_ashrrev_i32_e32 v5, 31, v5
	v_xor_b32_e32 v4, vcc_lo, v4
	v_add_lshl_u32 v6, v2, v122, 2
	v_and_b32_e32 v3, v3, v45
	s_delay_alu instid0(VALU_DEP_4) | instskip(SKIP_3) | instid1(VALU_DEP_2)
	v_xor_b32_e32 v2, s16, v5
	ds_load_b32 v198, v6 offset:1056
	v_and_b32_e32 v3, v3, v4
	v_add_nc_u32_e32 v200, 0x420, v6
	; wave barrier
	v_and_b32_e32 v2, v3, v2
	s_delay_alu instid0(VALU_DEP_1) | instskip(SKIP_1) | instid1(VALU_DEP_2)
	v_mbcnt_lo_u32_b32 v199, v2, 0
	v_cmp_ne_u32_e64 s16, 0, v2
	v_cmp_eq_u32_e32 vcc_lo, 0, v199
	s_delay_alu instid0(VALU_DEP_2) | instskip(NEXT) | instid1(SALU_CYCLE_1)
	s_and_b32 s17, s16, vcc_lo
	s_and_saveexec_b32 s16, s17
	s_cbranch_execz .LBB919_152
; %bb.151:                              ;   in Loop: Header=BB919_98 Depth=2
	s_waitcnt lgkmcnt(0)
	v_bcnt_u32_b32 v2, v2, v198
	ds_store_b32 v200, v2
.LBB919_152:                            ;   in Loop: Header=BB919_98 Depth=2
	s_or_b32 exec_lo, exec_lo, s16
	; wave barrier
	s_waitcnt lgkmcnt(0)
	s_barrier
	buffer_gl0_inv
	ds_load_b32 v201, v73 offset:1056
	ds_load_2addr_b32 v[45:46], v75 offset0:1 offset1:2
	ds_load_2addr_b32 v[6:7], v75 offset0:3 offset1:4
	;; [unrolled: 1-line block ×4, first 2 shown]
	s_waitcnt lgkmcnt(3)
	v_add3_u32 v202, v45, v201, v46
	s_waitcnt lgkmcnt(2)
	s_delay_alu instid0(VALU_DEP_1) | instskip(SKIP_1) | instid1(VALU_DEP_1)
	v_add3_u32 v202, v202, v6, v7
	s_waitcnt lgkmcnt(1)
	v_add3_u32 v202, v202, v2, v3
	s_waitcnt lgkmcnt(0)
	s_delay_alu instid0(VALU_DEP_1) | instskip(NEXT) | instid1(VALU_DEP_1)
	v_add3_u32 v5, v202, v4, v5
	v_mov_b32_dpp v202, v5 row_shr:1 row_mask:0xf bank_mask:0xf
	s_delay_alu instid0(VALU_DEP_1) | instskip(NEXT) | instid1(VALU_DEP_1)
	v_cndmask_b32_e64 v202, v202, 0, s1
	v_add_nc_u32_e32 v5, v202, v5
	s_delay_alu instid0(VALU_DEP_1) | instskip(NEXT) | instid1(VALU_DEP_1)
	v_mov_b32_dpp v202, v5 row_shr:2 row_mask:0xf bank_mask:0xf
	v_cndmask_b32_e64 v202, 0, v202, s7
	s_delay_alu instid0(VALU_DEP_1) | instskip(NEXT) | instid1(VALU_DEP_1)
	v_add_nc_u32_e32 v5, v5, v202
	v_mov_b32_dpp v202, v5 row_shr:4 row_mask:0xf bank_mask:0xf
	s_delay_alu instid0(VALU_DEP_1) | instskip(NEXT) | instid1(VALU_DEP_1)
	v_cndmask_b32_e64 v202, 0, v202, s8
	v_add_nc_u32_e32 v5, v5, v202
	s_delay_alu instid0(VALU_DEP_1) | instskip(NEXT) | instid1(VALU_DEP_1)
	v_mov_b32_dpp v202, v5 row_shr:8 row_mask:0xf bank_mask:0xf
	v_cndmask_b32_e64 v202, 0, v202, s9
	s_delay_alu instid0(VALU_DEP_1) | instskip(SKIP_3) | instid1(VALU_DEP_1)
	v_add_nc_u32_e32 v5, v5, v202
	ds_swizzle_b32 v202, v5 offset:swizzle(BROADCAST,32,15)
	s_waitcnt lgkmcnt(0)
	v_cndmask_b32_e64 v202, v202, 0, s10
	v_add_nc_u32_e32 v5, v5, v202
	s_and_saveexec_b32 s16, s3
	s_cbranch_execz .LBB919_154
; %bb.153:                              ;   in Loop: Header=BB919_98 Depth=2
	ds_store_b32 v65, v5 offset:1024
.LBB919_154:                            ;   in Loop: Header=BB919_98 Depth=2
	s_or_b32 exec_lo, exec_lo, s16
	s_waitcnt lgkmcnt(0)
	s_barrier
	buffer_gl0_inv
	s_and_saveexec_b32 s16, s4
	s_cbranch_execz .LBB919_156
; %bb.155:                              ;   in Loop: Header=BB919_98 Depth=2
	ds_load_b32 v202, v76 offset:1024
	s_waitcnt lgkmcnt(0)
	v_mov_b32_dpp v203, v202 row_shr:1 row_mask:0xf bank_mask:0xf
	s_delay_alu instid0(VALU_DEP_1) | instskip(NEXT) | instid1(VALU_DEP_1)
	v_cndmask_b32_e64 v203, v203, 0, s12
	v_add_nc_u32_e32 v202, v203, v202
	s_delay_alu instid0(VALU_DEP_1) | instskip(NEXT) | instid1(VALU_DEP_1)
	v_mov_b32_dpp v203, v202 row_shr:2 row_mask:0xf bank_mask:0xf
	v_cndmask_b32_e64 v203, 0, v203, s13
	s_delay_alu instid0(VALU_DEP_1) | instskip(NEXT) | instid1(VALU_DEP_1)
	v_add_nc_u32_e32 v202, v202, v203
	v_mov_b32_dpp v203, v202 row_shr:4 row_mask:0xf bank_mask:0xf
	s_delay_alu instid0(VALU_DEP_1) | instskip(NEXT) | instid1(VALU_DEP_1)
	v_cndmask_b32_e64 v203, 0, v203, s14
	v_add_nc_u32_e32 v202, v202, v203
	ds_store_b32 v76, v202 offset:1024
.LBB919_156:                            ;   in Loop: Header=BB919_98 Depth=2
	s_or_b32 exec_lo, exec_lo, s16
	v_mov_b32_e32 v202, 0
	s_waitcnt lgkmcnt(0)
	s_barrier
	buffer_gl0_inv
	s_and_saveexec_b32 s16, s5
	s_cbranch_execz .LBB919_158
; %bb.157:                              ;   in Loop: Header=BB919_98 Depth=2
	ds_load_b32 v202, v65 offset:1020
.LBB919_158:                            ;   in Loop: Header=BB919_98 Depth=2
	s_or_b32 exec_lo, exec_lo, s16
	s_waitcnt lgkmcnt(0)
	v_add_nc_u32_e32 v5, v202, v5
	ds_bpermute_b32 v5, v101, v5
	s_waitcnt lgkmcnt(0)
	v_cndmask_b32_e64 v5, v5, v202, s11
	s_delay_alu instid0(VALU_DEP_1) | instskip(NEXT) | instid1(VALU_DEP_1)
	v_cndmask_b32_e64 v5, v5, 0, s0
	v_add_nc_u32_e32 v201, v5, v201
	s_delay_alu instid0(VALU_DEP_1) | instskip(NEXT) | instid1(VALU_DEP_1)
	v_add_nc_u32_e32 v45, v201, v45
	v_add_nc_u32_e32 v46, v45, v46
	s_delay_alu instid0(VALU_DEP_1) | instskip(NEXT) | instid1(VALU_DEP_1)
	v_add_nc_u32_e32 v6, v46, v6
	;; [unrolled: 3-line block ×3, first 2 shown]
	v_add_nc_u32_e32 v3, v2, v3
	s_delay_alu instid0(VALU_DEP_1)
	v_add_nc_u32_e32 v4, v3, v4
	ds_store_b32 v73, v5 offset:1056
	ds_store_2addr_b32 v75, v201, v45 offset0:1 offset1:2
	ds_store_2addr_b32 v75, v46, v6 offset0:3 offset1:4
	;; [unrolled: 1-line block ×4, first 2 shown]
	v_mov_b32_e32 v4, 0x1000
	s_waitcnt lgkmcnt(0)
	s_barrier
	buffer_gl0_inv
	ds_load_b32 v5, v147
	ds_load_b32 v6, v151
	;; [unrolled: 1-line block ×16, first 2 shown]
	ds_load_b32 v151, v73 offset:1056
	s_and_saveexec_b32 s16, s6
	s_cbranch_execz .LBB919_160
; %bb.159:                              ;   in Loop: Header=BB919_98 Depth=2
	ds_load_b32 v4, v77 offset:1056
.LBB919_160:                            ;   in Loop: Header=BB919_98 Depth=2
	s_or_b32 exec_lo, exec_lo, s16
	s_waitcnt lgkmcnt(0)
	s_barrier
	buffer_gl0_inv
	s_and_saveexec_b32 s16, s2
	s_cbranch_execz .LBB919_162
; %bb.161:                              ;   in Loop: Header=BB919_98 Depth=2
	ds_load_b32 v155, v47
	s_waitcnt lgkmcnt(0)
	v_sub_nc_u32_e32 v151, v155, v151
	ds_store_b32 v47, v151
.LBB919_162:                            ;   in Loop: Header=BB919_98 Depth=2
	s_or_b32 exec_lo, exec_lo, s16
	v_add_nc_u32_e32 v159, v143, v141
	v_add3_u32 v155, v146, v145, v5
	v_add3_u32 v151, v150, v149, v6
	;; [unrolled: 1-line block ×4, first 2 shown]
	v_lshlrev_b32_e32 v153, 1, v159
	v_add3_u32 v45, v192, v191, v2
	v_lshlrev_b32_e32 v2, 1, v155
	v_add3_u32 v149, v158, v157, v46
	v_add3_u32 v146, v166, v165, v163
	;; [unrolled: 1-line block ×5, first 2 shown]
	ds_store_b16 v153, v19 offset:1024
	v_lshlrev_b32_e32 v3, 1, v151
	ds_store_b16 v2, v142 offset:1024
	v_lshlrev_b32_e32 v2, 1, v147
	v_add3_u32 v143, v174, v173, v171
	v_lshlrev_b32_e32 v19, 1, v150
	v_add3_u32 v141, v178, v177, v175
	;; [unrolled: 2-line block ×3, first 2 shown]
	v_add3_u32 v6, v186, v185, v183
	ds_store_b16 v3, v144 offset:1024
	ds_store_b16 v19, v148 offset:1024
	;; [unrolled: 1-line block ×3, first 2 shown]
	v_lshlrev_b32_e32 v3, 1, v146
	ds_store_b16 v2, v156 offset:1024
	v_lshlrev_b32_e32 v2, 1, v145
	v_lshlrev_b32_e32 v19, 1, v143
	;; [unrolled: 1-line block ×3, first 2 shown]
	v_add3_u32 v7, v199, v198, v7
	ds_store_b16 v3, v160 offset:1024
	v_lshlrev_b32_e32 v3, 1, v46
	ds_store_b16 v2, v164 offset:1024
	ds_store_b16 v19, v168 offset:1024
	;; [unrolled: 1-line block ×3, first 2 shown]
	v_lshlrev_b32_e32 v2, 1, v6
	v_cmp_lt_u32_e32 vcc_lo, v18, v0
	v_lshlrev_b32_e32 v19, 1, v45
	ds_store_b16 v3, v176 offset:1024
	v_lshlrev_b32_e32 v3, 1, v5
	ds_store_b16 v2, v180 offset:1024
	v_lshlrev_b32_e32 v2, 1, v7
	v_lshlrev_b32_e32 v142, 1, v8
	ds_store_b16 v3, v184 offset:1024
	ds_store_b16 v19, v188 offset:1024
	;; [unrolled: 1-line block ×4, first 2 shown]
	s_waitcnt lgkmcnt(0)
	s_barrier
	buffer_gl0_inv
	s_and_saveexec_b32 s17, vcc_lo
	s_cbranch_execz .LBB919_178
; %bb.163:                              ;   in Loop: Header=BB919_98 Depth=2
	v_add_nc_u32_e32 v2, v76, v82
	ds_load_u16 v142, v2 offset:1024
	s_waitcnt lgkmcnt(0)
	v_and_b32_e32 v2, 0xffff, v142
	s_delay_alu instid0(VALU_DEP_1) | instskip(NEXT) | instid1(VALU_DEP_1)
	v_lshrrev_b32_e32 v2, s42, v2
	v_and_b32_e32 v2, s43, v2
	s_delay_alu instid0(VALU_DEP_1) | instskip(SKIP_3) | instid1(VALU_DEP_1)
	v_lshlrev_b32_e32 v2, 2, v2
	ds_load_b32 v2, v2
	s_waitcnt lgkmcnt(0)
	v_add_nc_u32_e32 v19, v2, v18
	v_lshlrev_b64 v[2:3], 1, v[19:20]
	v_xor_b32_e32 v19, 0x7fff, v142
	s_delay_alu instid0(VALU_DEP_2) | instskip(NEXT) | instid1(VALU_DEP_1)
	v_add_co_u32 v2, s16, s38, v2
	v_add_co_ci_u32_e64 v3, s16, s39, v3, s16
	global_store_b16 v[2:3], v19, off
	s_or_b32 exec_lo, exec_lo, s17
	v_cmp_lt_u32_e64 s16, v48, v0
	s_delay_alu instid0(VALU_DEP_1)
	s_and_saveexec_b32 s18, s16
	s_cbranch_execnz .LBB919_179
.LBB919_164:                            ;   in Loop: Header=BB919_98 Depth=2
	s_or_b32 exec_lo, exec_lo, s18
	v_cmp_lt_u32_e64 s17, v49, v0
	s_delay_alu instid0(VALU_DEP_1)
	s_and_saveexec_b32 s19, s17
	s_cbranch_execz .LBB919_180
.LBB919_165:                            ;   in Loop: Header=BB919_98 Depth=2
	ds_load_u16 v142, v83 offset:1024
	s_waitcnt lgkmcnt(0)
	v_and_b32_e32 v2, 0xffff, v142
	s_delay_alu instid0(VALU_DEP_1) | instskip(NEXT) | instid1(VALU_DEP_1)
	v_lshrrev_b32_e32 v2, s42, v2
	v_and_b32_e32 v2, s43, v2
	s_delay_alu instid0(VALU_DEP_1) | instskip(SKIP_3) | instid1(VALU_DEP_1)
	v_lshlrev_b32_e32 v2, 2, v2
	ds_load_b32 v2, v2
	s_waitcnt lgkmcnt(0)
	v_add_nc_u32_e32 v19, v2, v49
	v_lshlrev_b64 v[2:3], 1, v[19:20]
	v_xor_b32_e32 v19, 0x7fff, v142
	s_delay_alu instid0(VALU_DEP_2) | instskip(NEXT) | instid1(VALU_DEP_1)
	v_add_co_u32 v2, s18, s38, v2
	v_add_co_ci_u32_e64 v3, s18, s39, v3, s18
	global_store_b16 v[2:3], v19, off
	s_or_b32 exec_lo, exec_lo, s19
	v_cmp_lt_u32_e64 s18, v50, v0
	s_delay_alu instid0(VALU_DEP_1)
	s_and_saveexec_b32 s20, s18
	s_cbranch_execnz .LBB919_181
.LBB919_166:                            ;   in Loop: Header=BB919_98 Depth=2
	s_or_b32 exec_lo, exec_lo, s20
	v_cmp_lt_u32_e64 s19, v54, v0
	s_delay_alu instid0(VALU_DEP_1)
	s_and_saveexec_b32 s21, s19
	s_cbranch_execz .LBB919_182
.LBB919_167:                            ;   in Loop: Header=BB919_98 Depth=2
	ds_load_u16 v142, v83 offset:2048
	s_waitcnt lgkmcnt(0)
	v_and_b32_e32 v2, 0xffff, v142
	s_delay_alu instid0(VALU_DEP_1) | instskip(NEXT) | instid1(VALU_DEP_1)
	v_lshrrev_b32_e32 v2, s42, v2
	v_and_b32_e32 v2, s43, v2
	s_delay_alu instid0(VALU_DEP_1) | instskip(SKIP_3) | instid1(VALU_DEP_1)
	v_lshlrev_b32_e32 v2, 2, v2
	ds_load_b32 v2, v2
	s_waitcnt lgkmcnt(0)
	v_add_nc_u32_e32 v19, v2, v54
	v_lshlrev_b64 v[2:3], 1, v[19:20]
	v_xor_b32_e32 v19, 0x7fff, v142
	s_delay_alu instid0(VALU_DEP_2) | instskip(NEXT) | instid1(VALU_DEP_1)
	v_add_co_u32 v2, s20, s38, v2
	v_add_co_ci_u32_e64 v3, s20, s39, v3, s20
	global_store_b16 v[2:3], v19, off
	s_or_b32 exec_lo, exec_lo, s21
	v_cmp_lt_u32_e64 s20, v55, v0
	s_delay_alu instid0(VALU_DEP_1)
	s_and_saveexec_b32 s22, s20
	s_cbranch_execnz .LBB919_183
.LBB919_168:                            ;   in Loop: Header=BB919_98 Depth=2
	s_or_b32 exec_lo, exec_lo, s22
	v_cmp_lt_u32_e64 s21, v56, v0
	s_delay_alu instid0(VALU_DEP_1)
	s_and_saveexec_b32 s23, s21
	s_cbranch_execz .LBB919_184
.LBB919_169:                            ;   in Loop: Header=BB919_98 Depth=2
	ds_load_u16 v142, v83 offset:3072
	s_waitcnt lgkmcnt(0)
	v_and_b32_e32 v2, 0xffff, v142
	s_delay_alu instid0(VALU_DEP_1) | instskip(NEXT) | instid1(VALU_DEP_1)
	v_lshrrev_b32_e32 v2, s42, v2
	v_and_b32_e32 v2, s43, v2
	s_delay_alu instid0(VALU_DEP_1) | instskip(SKIP_3) | instid1(VALU_DEP_1)
	v_lshlrev_b32_e32 v2, 2, v2
	ds_load_b32 v2, v2
	s_waitcnt lgkmcnt(0)
	v_add_nc_u32_e32 v19, v2, v56
	v_lshlrev_b64 v[2:3], 1, v[19:20]
	v_xor_b32_e32 v19, 0x7fff, v142
	s_delay_alu instid0(VALU_DEP_2) | instskip(NEXT) | instid1(VALU_DEP_1)
	v_add_co_u32 v2, s22, s38, v2
	v_add_co_ci_u32_e64 v3, s22, s39, v3, s22
	global_store_b16 v[2:3], v19, off
	s_or_b32 exec_lo, exec_lo, s23
	v_cmp_lt_u32_e64 s22, v57, v0
	s_delay_alu instid0(VALU_DEP_1)
	s_and_saveexec_b32 s24, s22
	s_cbranch_execnz .LBB919_185
.LBB919_170:                            ;   in Loop: Header=BB919_98 Depth=2
	s_or_b32 exec_lo, exec_lo, s24
	v_cmp_lt_u32_e64 s23, v58, v0
	s_delay_alu instid0(VALU_DEP_1)
	s_and_saveexec_b32 s25, s23
	s_cbranch_execz .LBB919_186
.LBB919_171:                            ;   in Loop: Header=BB919_98 Depth=2
	ds_load_u16 v142, v83 offset:4096
	s_waitcnt lgkmcnt(0)
	v_and_b32_e32 v2, 0xffff, v142
	s_delay_alu instid0(VALU_DEP_1) | instskip(NEXT) | instid1(VALU_DEP_1)
	v_lshrrev_b32_e32 v2, s42, v2
	v_and_b32_e32 v2, s43, v2
	s_delay_alu instid0(VALU_DEP_1) | instskip(SKIP_3) | instid1(VALU_DEP_1)
	v_lshlrev_b32_e32 v2, 2, v2
	ds_load_b32 v2, v2
	s_waitcnt lgkmcnt(0)
	v_add_nc_u32_e32 v19, v2, v58
	v_lshlrev_b64 v[2:3], 1, v[19:20]
	v_xor_b32_e32 v19, 0x7fff, v142
	s_delay_alu instid0(VALU_DEP_2) | instskip(NEXT) | instid1(VALU_DEP_1)
	v_add_co_u32 v2, s24, s38, v2
	v_add_co_ci_u32_e64 v3, s24, s39, v3, s24
	global_store_b16 v[2:3], v19, off
	s_or_b32 exec_lo, exec_lo, s25
	v_cmp_lt_u32_e64 s24, v59, v0
	s_delay_alu instid0(VALU_DEP_1)
	s_and_saveexec_b32 s27, s24
	s_cbranch_execnz .LBB919_187
.LBB919_172:                            ;   in Loop: Header=BB919_98 Depth=2
	s_or_b32 exec_lo, exec_lo, s27
	v_cmp_lt_u32_e64 s25, v60, v0
	s_delay_alu instid0(VALU_DEP_1)
	s_and_saveexec_b32 s28, s25
	s_cbranch_execz .LBB919_188
.LBB919_173:                            ;   in Loop: Header=BB919_98 Depth=2
	ds_load_u16 v142, v83 offset:5120
	s_waitcnt lgkmcnt(0)
	v_and_b32_e32 v2, 0xffff, v142
	s_delay_alu instid0(VALU_DEP_1) | instskip(NEXT) | instid1(VALU_DEP_1)
	v_lshrrev_b32_e32 v2, s42, v2
	v_and_b32_e32 v2, s43, v2
	s_delay_alu instid0(VALU_DEP_1) | instskip(SKIP_3) | instid1(VALU_DEP_1)
	v_lshlrev_b32_e32 v2, 2, v2
	ds_load_b32 v2, v2
	s_waitcnt lgkmcnt(0)
	v_add_nc_u32_e32 v19, v2, v60
	v_lshlrev_b64 v[2:3], 1, v[19:20]
	v_xor_b32_e32 v19, 0x7fff, v142
	s_delay_alu instid0(VALU_DEP_2) | instskip(NEXT) | instid1(VALU_DEP_1)
	v_add_co_u32 v2, s27, s38, v2
	v_add_co_ci_u32_e64 v3, s27, s39, v3, s27
	global_store_b16 v[2:3], v19, off
	s_or_b32 exec_lo, exec_lo, s28
	v_cmp_lt_u32_e64 s27, v61, v0
	s_delay_alu instid0(VALU_DEP_1)
	s_and_saveexec_b32 s29, s27
	s_cbranch_execnz .LBB919_189
.LBB919_174:                            ;   in Loop: Header=BB919_98 Depth=2
	s_or_b32 exec_lo, exec_lo, s29
	v_cmp_lt_u32_e64 s28, v62, v0
	s_delay_alu instid0(VALU_DEP_1)
	s_and_saveexec_b32 s30, s28
	s_cbranch_execz .LBB919_190
.LBB919_175:                            ;   in Loop: Header=BB919_98 Depth=2
	ds_load_u16 v142, v83 offset:6144
	s_waitcnt lgkmcnt(0)
	v_and_b32_e32 v2, 0xffff, v142
	s_delay_alu instid0(VALU_DEP_1) | instskip(NEXT) | instid1(VALU_DEP_1)
	v_lshrrev_b32_e32 v2, s42, v2
	v_and_b32_e32 v2, s43, v2
	s_delay_alu instid0(VALU_DEP_1) | instskip(SKIP_3) | instid1(VALU_DEP_1)
	v_lshlrev_b32_e32 v2, 2, v2
	ds_load_b32 v2, v2
	s_waitcnt lgkmcnt(0)
	v_add_nc_u32_e32 v19, v2, v62
	v_lshlrev_b64 v[2:3], 1, v[19:20]
	v_xor_b32_e32 v19, 0x7fff, v142
	s_delay_alu instid0(VALU_DEP_2) | instskip(NEXT) | instid1(VALU_DEP_1)
	v_add_co_u32 v2, s29, s38, v2
	v_add_co_ci_u32_e64 v3, s29, s39, v3, s29
	global_store_b16 v[2:3], v19, off
	s_or_b32 exec_lo, exec_lo, s30
	v_cmp_lt_u32_e64 s29, v63, v0
	s_delay_alu instid0(VALU_DEP_1)
	s_and_saveexec_b32 s31, s29
	s_cbranch_execnz .LBB919_191
.LBB919_176:                            ;   in Loop: Header=BB919_98 Depth=2
	s_or_b32 exec_lo, exec_lo, s31
	v_cmp_lt_u32_e64 s30, v64, v0
	s_delay_alu instid0(VALU_DEP_1)
	s_and_saveexec_b32 s33, s30
	s_cbranch_execz .LBB919_192
.LBB919_177:                            ;   in Loop: Header=BB919_98 Depth=2
	ds_load_u16 v142, v83 offset:7168
	s_waitcnt lgkmcnt(0)
	v_and_b32_e32 v2, 0xffff, v142
	s_delay_alu instid0(VALU_DEP_1) | instskip(NEXT) | instid1(VALU_DEP_1)
	v_lshrrev_b32_e32 v2, s42, v2
	v_and_b32_e32 v2, s43, v2
	s_delay_alu instid0(VALU_DEP_1) | instskip(SKIP_3) | instid1(VALU_DEP_1)
	v_lshlrev_b32_e32 v2, 2, v2
	ds_load_b32 v2, v2
	s_waitcnt lgkmcnt(0)
	v_add_nc_u32_e32 v19, v2, v64
	v_lshlrev_b64 v[2:3], 1, v[19:20]
	v_xor_b32_e32 v19, 0x7fff, v142
	s_delay_alu instid0(VALU_DEP_2) | instskip(NEXT) | instid1(VALU_DEP_1)
	v_add_co_u32 v2, s31, s38, v2
	v_add_co_ci_u32_e64 v3, s31, s39, v3, s31
	global_store_b16 v[2:3], v19, off
	s_or_b32 exec_lo, exec_lo, s33
	v_cmp_lt_u32_e64 s31, v66, v0
	s_delay_alu instid0(VALU_DEP_1)
	s_and_saveexec_b32 s45, s31
	s_cbranch_execnz .LBB919_193
	s_branch .LBB919_194
.LBB919_178:                            ;   in Loop: Header=BB919_98 Depth=2
	s_or_b32 exec_lo, exec_lo, s17
	v_cmp_lt_u32_e64 s16, v48, v0
	s_delay_alu instid0(VALU_DEP_1)
	s_and_saveexec_b32 s18, s16
	s_cbranch_execz .LBB919_164
.LBB919_179:                            ;   in Loop: Header=BB919_98 Depth=2
	ds_load_u16 v142, v83 offset:512
	s_waitcnt lgkmcnt(0)
	v_and_b32_e32 v2, 0xffff, v142
	s_delay_alu instid0(VALU_DEP_1) | instskip(NEXT) | instid1(VALU_DEP_1)
	v_lshrrev_b32_e32 v2, s42, v2
	v_and_b32_e32 v2, s43, v2
	s_delay_alu instid0(VALU_DEP_1) | instskip(SKIP_3) | instid1(VALU_DEP_1)
	v_lshlrev_b32_e32 v2, 2, v2
	ds_load_b32 v2, v2
	s_waitcnt lgkmcnt(0)
	v_add_nc_u32_e32 v19, v2, v48
	v_lshlrev_b64 v[2:3], 1, v[19:20]
	v_xor_b32_e32 v19, 0x7fff, v142
	s_delay_alu instid0(VALU_DEP_2) | instskip(NEXT) | instid1(VALU_DEP_1)
	v_add_co_u32 v2, s17, s38, v2
	v_add_co_ci_u32_e64 v3, s17, s39, v3, s17
	global_store_b16 v[2:3], v19, off
	s_or_b32 exec_lo, exec_lo, s18
	v_cmp_lt_u32_e64 s17, v49, v0
	s_delay_alu instid0(VALU_DEP_1)
	s_and_saveexec_b32 s19, s17
	s_cbranch_execnz .LBB919_165
.LBB919_180:                            ;   in Loop: Header=BB919_98 Depth=2
	s_or_b32 exec_lo, exec_lo, s19
	v_cmp_lt_u32_e64 s18, v50, v0
	s_delay_alu instid0(VALU_DEP_1)
	s_and_saveexec_b32 s20, s18
	s_cbranch_execz .LBB919_166
.LBB919_181:                            ;   in Loop: Header=BB919_98 Depth=2
	ds_load_u16 v142, v83 offset:1536
	s_waitcnt lgkmcnt(0)
	v_and_b32_e32 v2, 0xffff, v142
	s_delay_alu instid0(VALU_DEP_1) | instskip(NEXT) | instid1(VALU_DEP_1)
	v_lshrrev_b32_e32 v2, s42, v2
	v_and_b32_e32 v2, s43, v2
	s_delay_alu instid0(VALU_DEP_1) | instskip(SKIP_3) | instid1(VALU_DEP_1)
	v_lshlrev_b32_e32 v2, 2, v2
	ds_load_b32 v2, v2
	s_waitcnt lgkmcnt(0)
	v_add_nc_u32_e32 v19, v2, v50
	v_lshlrev_b64 v[2:3], 1, v[19:20]
	v_xor_b32_e32 v19, 0x7fff, v142
	s_delay_alu instid0(VALU_DEP_2) | instskip(NEXT) | instid1(VALU_DEP_1)
	v_add_co_u32 v2, s19, s38, v2
	v_add_co_ci_u32_e64 v3, s19, s39, v3, s19
	global_store_b16 v[2:3], v19, off
	s_or_b32 exec_lo, exec_lo, s20
	v_cmp_lt_u32_e64 s19, v54, v0
	s_delay_alu instid0(VALU_DEP_1)
	s_and_saveexec_b32 s21, s19
	s_cbranch_execnz .LBB919_167
.LBB919_182:                            ;   in Loop: Header=BB919_98 Depth=2
	s_or_b32 exec_lo, exec_lo, s21
	v_cmp_lt_u32_e64 s20, v55, v0
	s_delay_alu instid0(VALU_DEP_1)
	s_and_saveexec_b32 s22, s20
	s_cbranch_execz .LBB919_168
.LBB919_183:                            ;   in Loop: Header=BB919_98 Depth=2
	ds_load_u16 v142, v83 offset:2560
	s_waitcnt lgkmcnt(0)
	v_and_b32_e32 v2, 0xffff, v142
	s_delay_alu instid0(VALU_DEP_1) | instskip(NEXT) | instid1(VALU_DEP_1)
	v_lshrrev_b32_e32 v2, s42, v2
	v_and_b32_e32 v2, s43, v2
	s_delay_alu instid0(VALU_DEP_1) | instskip(SKIP_3) | instid1(VALU_DEP_1)
	v_lshlrev_b32_e32 v2, 2, v2
	ds_load_b32 v2, v2
	s_waitcnt lgkmcnt(0)
	v_add_nc_u32_e32 v19, v2, v55
	v_lshlrev_b64 v[2:3], 1, v[19:20]
	v_xor_b32_e32 v19, 0x7fff, v142
	s_delay_alu instid0(VALU_DEP_2) | instskip(NEXT) | instid1(VALU_DEP_1)
	v_add_co_u32 v2, s21, s38, v2
	v_add_co_ci_u32_e64 v3, s21, s39, v3, s21
	global_store_b16 v[2:3], v19, off
	s_or_b32 exec_lo, exec_lo, s22
	v_cmp_lt_u32_e64 s21, v56, v0
	s_delay_alu instid0(VALU_DEP_1)
	s_and_saveexec_b32 s23, s21
	s_cbranch_execnz .LBB919_169
.LBB919_184:                            ;   in Loop: Header=BB919_98 Depth=2
	s_or_b32 exec_lo, exec_lo, s23
	v_cmp_lt_u32_e64 s22, v57, v0
	s_delay_alu instid0(VALU_DEP_1)
	s_and_saveexec_b32 s24, s22
	s_cbranch_execz .LBB919_170
.LBB919_185:                            ;   in Loop: Header=BB919_98 Depth=2
	ds_load_u16 v142, v83 offset:3584
	s_waitcnt lgkmcnt(0)
	v_and_b32_e32 v2, 0xffff, v142
	s_delay_alu instid0(VALU_DEP_1) | instskip(NEXT) | instid1(VALU_DEP_1)
	v_lshrrev_b32_e32 v2, s42, v2
	v_and_b32_e32 v2, s43, v2
	s_delay_alu instid0(VALU_DEP_1) | instskip(SKIP_3) | instid1(VALU_DEP_1)
	v_lshlrev_b32_e32 v2, 2, v2
	ds_load_b32 v2, v2
	s_waitcnt lgkmcnt(0)
	v_add_nc_u32_e32 v19, v2, v57
	v_lshlrev_b64 v[2:3], 1, v[19:20]
	v_xor_b32_e32 v19, 0x7fff, v142
	s_delay_alu instid0(VALU_DEP_2) | instskip(NEXT) | instid1(VALU_DEP_1)
	v_add_co_u32 v2, s23, s38, v2
	v_add_co_ci_u32_e64 v3, s23, s39, v3, s23
	global_store_b16 v[2:3], v19, off
	s_or_b32 exec_lo, exec_lo, s24
	v_cmp_lt_u32_e64 s23, v58, v0
	s_delay_alu instid0(VALU_DEP_1)
	s_and_saveexec_b32 s25, s23
	s_cbranch_execnz .LBB919_171
.LBB919_186:                            ;   in Loop: Header=BB919_98 Depth=2
	s_or_b32 exec_lo, exec_lo, s25
	v_cmp_lt_u32_e64 s24, v59, v0
	s_delay_alu instid0(VALU_DEP_1)
	s_and_saveexec_b32 s27, s24
	s_cbranch_execz .LBB919_172
.LBB919_187:                            ;   in Loop: Header=BB919_98 Depth=2
	ds_load_u16 v142, v83 offset:4608
	s_waitcnt lgkmcnt(0)
	v_and_b32_e32 v2, 0xffff, v142
	s_delay_alu instid0(VALU_DEP_1) | instskip(NEXT) | instid1(VALU_DEP_1)
	v_lshrrev_b32_e32 v2, s42, v2
	v_and_b32_e32 v2, s43, v2
	s_delay_alu instid0(VALU_DEP_1) | instskip(SKIP_3) | instid1(VALU_DEP_1)
	v_lshlrev_b32_e32 v2, 2, v2
	ds_load_b32 v2, v2
	s_waitcnt lgkmcnt(0)
	v_add_nc_u32_e32 v19, v2, v59
	v_lshlrev_b64 v[2:3], 1, v[19:20]
	v_xor_b32_e32 v19, 0x7fff, v142
	s_delay_alu instid0(VALU_DEP_2) | instskip(NEXT) | instid1(VALU_DEP_1)
	v_add_co_u32 v2, s25, s38, v2
	v_add_co_ci_u32_e64 v3, s25, s39, v3, s25
	global_store_b16 v[2:3], v19, off
	s_or_b32 exec_lo, exec_lo, s27
	v_cmp_lt_u32_e64 s25, v60, v0
	s_delay_alu instid0(VALU_DEP_1)
	s_and_saveexec_b32 s28, s25
	s_cbranch_execnz .LBB919_173
.LBB919_188:                            ;   in Loop: Header=BB919_98 Depth=2
	s_or_b32 exec_lo, exec_lo, s28
	v_cmp_lt_u32_e64 s27, v61, v0
	s_delay_alu instid0(VALU_DEP_1)
	s_and_saveexec_b32 s29, s27
	s_cbranch_execz .LBB919_174
.LBB919_189:                            ;   in Loop: Header=BB919_98 Depth=2
	ds_load_u16 v142, v83 offset:5632
	s_waitcnt lgkmcnt(0)
	v_and_b32_e32 v2, 0xffff, v142
	s_delay_alu instid0(VALU_DEP_1) | instskip(NEXT) | instid1(VALU_DEP_1)
	v_lshrrev_b32_e32 v2, s42, v2
	v_and_b32_e32 v2, s43, v2
	s_delay_alu instid0(VALU_DEP_1) | instskip(SKIP_3) | instid1(VALU_DEP_1)
	v_lshlrev_b32_e32 v2, 2, v2
	ds_load_b32 v2, v2
	s_waitcnt lgkmcnt(0)
	v_add_nc_u32_e32 v19, v2, v61
	v_lshlrev_b64 v[2:3], 1, v[19:20]
	v_xor_b32_e32 v19, 0x7fff, v142
	s_delay_alu instid0(VALU_DEP_2) | instskip(NEXT) | instid1(VALU_DEP_1)
	v_add_co_u32 v2, s28, s38, v2
	v_add_co_ci_u32_e64 v3, s28, s39, v3, s28
	global_store_b16 v[2:3], v19, off
	s_or_b32 exec_lo, exec_lo, s29
	v_cmp_lt_u32_e64 s28, v62, v0
	s_delay_alu instid0(VALU_DEP_1)
	s_and_saveexec_b32 s30, s28
	s_cbranch_execnz .LBB919_175
.LBB919_190:                            ;   in Loop: Header=BB919_98 Depth=2
	s_or_b32 exec_lo, exec_lo, s30
	v_cmp_lt_u32_e64 s29, v63, v0
	s_delay_alu instid0(VALU_DEP_1)
	s_and_saveexec_b32 s31, s29
	s_cbranch_execz .LBB919_176
.LBB919_191:                            ;   in Loop: Header=BB919_98 Depth=2
	ds_load_u16 v142, v83 offset:6656
	s_waitcnt lgkmcnt(0)
	v_and_b32_e32 v2, 0xffff, v142
	s_delay_alu instid0(VALU_DEP_1) | instskip(NEXT) | instid1(VALU_DEP_1)
	v_lshrrev_b32_e32 v2, s42, v2
	v_and_b32_e32 v2, s43, v2
	s_delay_alu instid0(VALU_DEP_1) | instskip(SKIP_3) | instid1(VALU_DEP_1)
	v_lshlrev_b32_e32 v2, 2, v2
	ds_load_b32 v2, v2
	s_waitcnt lgkmcnt(0)
	v_add_nc_u32_e32 v19, v2, v63
	v_lshlrev_b64 v[2:3], 1, v[19:20]
	v_xor_b32_e32 v19, 0x7fff, v142
	s_delay_alu instid0(VALU_DEP_2) | instskip(NEXT) | instid1(VALU_DEP_1)
	v_add_co_u32 v2, s30, s38, v2
	v_add_co_ci_u32_e64 v3, s30, s39, v3, s30
	global_store_b16 v[2:3], v19, off
	s_or_b32 exec_lo, exec_lo, s31
	v_cmp_lt_u32_e64 s30, v64, v0
	s_delay_alu instid0(VALU_DEP_1)
	s_and_saveexec_b32 s33, s30
	s_cbranch_execnz .LBB919_177
.LBB919_192:                            ;   in Loop: Header=BB919_98 Depth=2
	s_or_b32 exec_lo, exec_lo, s33
	v_cmp_lt_u32_e64 s31, v66, v0
	s_delay_alu instid0(VALU_DEP_1)
	s_and_saveexec_b32 s45, s31
	s_cbranch_execz .LBB919_194
.LBB919_193:                            ;   in Loop: Header=BB919_98 Depth=2
	ds_load_u16 v142, v83 offset:7680
	s_waitcnt lgkmcnt(0)
	v_and_b32_e32 v2, 0xffff, v142
	s_delay_alu instid0(VALU_DEP_1) | instskip(NEXT) | instid1(VALU_DEP_1)
	v_lshrrev_b32_e32 v2, s42, v2
	v_and_b32_e32 v2, s43, v2
	s_delay_alu instid0(VALU_DEP_1) | instskip(SKIP_3) | instid1(VALU_DEP_1)
	v_lshlrev_b32_e32 v2, 2, v2
	ds_load_b32 v2, v2
	s_waitcnt lgkmcnt(0)
	v_add_nc_u32_e32 v19, v2, v66
	v_lshlrev_b64 v[2:3], 1, v[19:20]
	v_xor_b32_e32 v19, 0x7fff, v142
	s_delay_alu instid0(VALU_DEP_2) | instskip(NEXT) | instid1(VALU_DEP_1)
	v_add_co_u32 v2, s33, s38, v2
	v_add_co_ci_u32_e64 v3, s33, s39, v3, s33
	global_store_b16 v[2:3], v19, off
.LBB919_194:                            ;   in Loop: Header=BB919_98 Depth=2
	s_or_b32 exec_lo, exec_lo, s45
	s_lshl_b64 s[46:47], s[34:35], 3
	s_delay_alu instid0(SALU_CYCLE_1) | instskip(NEXT) | instid1(VALU_DEP_1)
	v_add_co_u32 v2, s33, v103, s46
	v_add_co_ci_u32_e64 v3, s33, s47, v104, s33
	v_cmp_lt_u32_e64 s33, v102, v0
	s_delay_alu instid0(VALU_DEP_1) | instskip(NEXT) | instid1(SALU_CYCLE_1)
	s_and_saveexec_b32 s34, s33
	s_xor_b32 s33, exec_lo, s34
	s_cbranch_execz .LBB919_226
; %bb.195:                              ;   in Loop: Header=BB919_98 Depth=2
	global_load_b64 v[43:44], v[2:3], off
	s_or_b32 exec_lo, exec_lo, s33
	s_delay_alu instid0(SALU_CYCLE_1)
	s_mov_b32 s34, exec_lo
	v_cmpx_lt_u32_e64 v105, v0
	s_cbranch_execnz .LBB919_227
.LBB919_196:                            ;   in Loop: Header=BB919_98 Depth=2
	s_or_b32 exec_lo, exec_lo, s34
	s_delay_alu instid0(SALU_CYCLE_1)
	s_mov_b32 s34, exec_lo
	v_cmpx_lt_u32_e64 v106, v0
	s_cbranch_execz .LBB919_228
.LBB919_197:                            ;   in Loop: Header=BB919_98 Depth=2
	global_load_b64 v[39:40], v[2:3], off offset:512
	s_or_b32 exec_lo, exec_lo, s34
	s_delay_alu instid0(SALU_CYCLE_1)
	s_mov_b32 s34, exec_lo
	v_cmpx_lt_u32_e64 v107, v0
	s_cbranch_execnz .LBB919_229
.LBB919_198:                            ;   in Loop: Header=BB919_98 Depth=2
	s_or_b32 exec_lo, exec_lo, s34
	s_delay_alu instid0(SALU_CYCLE_1)
	s_mov_b32 s34, exec_lo
	v_cmpx_lt_u32_e64 v108, v0
	s_cbranch_execz .LBB919_230
.LBB919_199:                            ;   in Loop: Header=BB919_98 Depth=2
	global_load_b64 v[35:36], v[2:3], off offset:1024
	s_or_b32 exec_lo, exec_lo, s34
	s_delay_alu instid0(SALU_CYCLE_1)
	s_mov_b32 s34, exec_lo
	v_cmpx_lt_u32_e64 v109, v0
	s_cbranch_execnz .LBB919_231
.LBB919_200:                            ;   in Loop: Header=BB919_98 Depth=2
	s_or_b32 exec_lo, exec_lo, s34
	s_delay_alu instid0(SALU_CYCLE_1)
	s_mov_b32 s34, exec_lo
	v_cmpx_lt_u32_e64 v110, v0
	s_cbranch_execz .LBB919_232
.LBB919_201:                            ;   in Loop: Header=BB919_98 Depth=2
	global_load_b64 v[31:32], v[2:3], off offset:1536
	s_or_b32 exec_lo, exec_lo, s34
	s_delay_alu instid0(SALU_CYCLE_1)
	s_mov_b32 s34, exec_lo
	v_cmpx_lt_u32_e64 v111, v0
	s_cbranch_execnz .LBB919_233
.LBB919_202:                            ;   in Loop: Header=BB919_98 Depth=2
	s_or_b32 exec_lo, exec_lo, s34
	s_delay_alu instid0(SALU_CYCLE_1)
	s_mov_b32 s34, exec_lo
	v_cmpx_lt_u32_e64 v112, v0
	s_cbranch_execz .LBB919_234
.LBB919_203:                            ;   in Loop: Header=BB919_98 Depth=2
	global_load_b64 v[27:28], v[2:3], off offset:2048
	s_or_b32 exec_lo, exec_lo, s34
	s_delay_alu instid0(SALU_CYCLE_1)
	s_mov_b32 s34, exec_lo
	v_cmpx_lt_u32_e64 v113, v0
	s_cbranch_execnz .LBB919_235
.LBB919_204:                            ;   in Loop: Header=BB919_98 Depth=2
	s_or_b32 exec_lo, exec_lo, s34
	s_delay_alu instid0(SALU_CYCLE_1)
	s_mov_b32 s34, exec_lo
	v_cmpx_lt_u32_e64 v114, v0
	s_cbranch_execz .LBB919_236
.LBB919_205:                            ;   in Loop: Header=BB919_98 Depth=2
	global_load_b64 v[23:24], v[2:3], off offset:2560
	s_or_b32 exec_lo, exec_lo, s34
	s_delay_alu instid0(SALU_CYCLE_1)
	s_mov_b32 s34, exec_lo
	v_cmpx_lt_u32_e64 v115, v0
	s_cbranch_execnz .LBB919_237
.LBB919_206:                            ;   in Loop: Header=BB919_98 Depth=2
	s_or_b32 exec_lo, exec_lo, s34
	s_delay_alu instid0(SALU_CYCLE_1)
	s_mov_b32 s34, exec_lo
	v_cmpx_lt_u32_e64 v116, v0
	s_cbranch_execz .LBB919_238
.LBB919_207:                            ;   in Loop: Header=BB919_98 Depth=2
	global_load_b64 v[16:17], v[2:3], off offset:3072
	s_or_b32 exec_lo, exec_lo, s34
	s_delay_alu instid0(SALU_CYCLE_1)
	s_mov_b32 s34, exec_lo
	v_cmpx_lt_u32_e64 v117, v0
	s_cbranch_execnz .LBB919_239
.LBB919_208:                            ;   in Loop: Header=BB919_98 Depth=2
	s_or_b32 exec_lo, exec_lo, s34
	s_delay_alu instid0(SALU_CYCLE_1)
	s_mov_b32 s34, exec_lo
	v_cmpx_lt_u32_e64 v118, v0
	s_cbranch_execz .LBB919_240
.LBB919_209:                            ;   in Loop: Header=BB919_98 Depth=2
	global_load_b64 v[12:13], v[2:3], off offset:3584
	s_or_b32 exec_lo, exec_lo, s34
	s_delay_alu instid0(SALU_CYCLE_1)
	s_mov_b32 s34, exec_lo
	v_cmpx_lt_u32_e64 v119, v0
	s_cbranch_execnz .LBB919_241
.LBB919_210:                            ;   in Loop: Header=BB919_98 Depth=2
	s_or_b32 exec_lo, exec_lo, s34
	s_and_saveexec_b32 s33, vcc_lo
	s_cbranch_execz .LBB919_242
.LBB919_211:                            ;   in Loop: Header=BB919_98 Depth=2
	v_add_nc_u32_e32 v0, v76, v82
	ds_load_u16 v0, v0 offset:1024
	s_waitcnt lgkmcnt(0)
	v_lshrrev_b32_e32 v0, s42, v0
	s_delay_alu instid0(VALU_DEP_1)
	v_and_b32_e32 v140, s43, v0
	s_or_b32 exec_lo, exec_lo, s33
	s_and_saveexec_b32 s33, s16
	s_cbranch_execnz .LBB919_243
.LBB919_212:                            ;   in Loop: Header=BB919_98 Depth=2
	s_or_b32 exec_lo, exec_lo, s33
	s_and_saveexec_b32 s33, s17
	s_cbranch_execz .LBB919_244
.LBB919_213:                            ;   in Loop: Header=BB919_98 Depth=2
	ds_load_u16 v0, v83 offset:1024
	s_waitcnt lgkmcnt(0)
	v_lshrrev_b32_e32 v0, s42, v0
	s_delay_alu instid0(VALU_DEP_1)
	v_and_b32_e32 v138, s43, v0
	s_or_b32 exec_lo, exec_lo, s33
	s_and_saveexec_b32 s33, s18
	s_cbranch_execnz .LBB919_245
.LBB919_214:                            ;   in Loop: Header=BB919_98 Depth=2
	s_or_b32 exec_lo, exec_lo, s33
	s_and_saveexec_b32 s33, s19
	s_cbranch_execz .LBB919_246
.LBB919_215:                            ;   in Loop: Header=BB919_98 Depth=2
	ds_load_u16 v0, v83 offset:2048
	s_waitcnt lgkmcnt(0)
	v_lshrrev_b32_e32 v0, s42, v0
	s_delay_alu instid0(VALU_DEP_1)
	v_and_b32_e32 v136, s43, v0
	s_or_b32 exec_lo, exec_lo, s33
	s_and_saveexec_b32 s33, s20
	s_cbranch_execnz .LBB919_247
.LBB919_216:                            ;   in Loop: Header=BB919_98 Depth=2
	s_or_b32 exec_lo, exec_lo, s33
	s_and_saveexec_b32 s33, s21
	s_cbranch_execz .LBB919_248
.LBB919_217:                            ;   in Loop: Header=BB919_98 Depth=2
	ds_load_u16 v0, v83 offset:3072
	s_waitcnt lgkmcnt(0)
	v_lshrrev_b32_e32 v0, s42, v0
	s_delay_alu instid0(VALU_DEP_1)
	v_and_b32_e32 v134, s43, v0
	s_or_b32 exec_lo, exec_lo, s33
	s_and_saveexec_b32 s33, s22
	s_cbranch_execnz .LBB919_249
.LBB919_218:                            ;   in Loop: Header=BB919_98 Depth=2
	s_or_b32 exec_lo, exec_lo, s33
	s_and_saveexec_b32 s33, s23
	s_cbranch_execz .LBB919_250
.LBB919_219:                            ;   in Loop: Header=BB919_98 Depth=2
	ds_load_u16 v0, v83 offset:4096
	s_waitcnt lgkmcnt(0)
	v_lshrrev_b32_e32 v0, s42, v0
	s_delay_alu instid0(VALU_DEP_1)
	v_and_b32_e32 v132, s43, v0
	s_or_b32 exec_lo, exec_lo, s33
	s_and_saveexec_b32 s33, s24
	s_cbranch_execnz .LBB919_251
.LBB919_220:                            ;   in Loop: Header=BB919_98 Depth=2
	s_or_b32 exec_lo, exec_lo, s33
	s_and_saveexec_b32 s33, s25
	s_cbranch_execz .LBB919_252
.LBB919_221:                            ;   in Loop: Header=BB919_98 Depth=2
	ds_load_u16 v0, v83 offset:5120
	s_waitcnt lgkmcnt(0)
	v_lshrrev_b32_e32 v0, s42, v0
	s_delay_alu instid0(VALU_DEP_1)
	v_and_b32_e32 v130, s43, v0
	s_or_b32 exec_lo, exec_lo, s33
	s_and_saveexec_b32 s33, s27
	s_cbranch_execnz .LBB919_253
.LBB919_222:                            ;   in Loop: Header=BB919_98 Depth=2
	s_or_b32 exec_lo, exec_lo, s33
	s_and_saveexec_b32 s33, s28
	s_cbranch_execz .LBB919_254
.LBB919_223:                            ;   in Loop: Header=BB919_98 Depth=2
	ds_load_u16 v0, v83 offset:6144
	s_waitcnt lgkmcnt(0)
	v_lshrrev_b32_e32 v0, s42, v0
	s_delay_alu instid0(VALU_DEP_1)
	v_and_b32_e32 v128, s43, v0
	s_or_b32 exec_lo, exec_lo, s33
	s_and_saveexec_b32 s33, s29
	s_cbranch_execnz .LBB919_255
.LBB919_224:                            ;   in Loop: Header=BB919_98 Depth=2
	s_or_b32 exec_lo, exec_lo, s33
	s_and_saveexec_b32 s33, s30
	s_cbranch_execz .LBB919_256
.LBB919_225:                            ;   in Loop: Header=BB919_98 Depth=2
	ds_load_u16 v0, v83 offset:7168
	s_waitcnt lgkmcnt(0)
	v_lshrrev_b32_e32 v0, s42, v0
	s_delay_alu instid0(VALU_DEP_1)
	v_and_b32_e32 v126, s43, v0
	s_or_b32 exec_lo, exec_lo, s33
	s_and_saveexec_b32 s33, s31
	s_cbranch_execnz .LBB919_257
	s_branch .LBB919_258
.LBB919_226:                            ;   in Loop: Header=BB919_98 Depth=2
	s_or_b32 exec_lo, exec_lo, s33
	s_delay_alu instid0(SALU_CYCLE_1)
	s_mov_b32 s34, exec_lo
	v_cmpx_lt_u32_e64 v105, v0
	s_cbranch_execz .LBB919_196
.LBB919_227:                            ;   in Loop: Header=BB919_98 Depth=2
	global_load_b64 v[41:42], v[2:3], off offset:256
	s_or_b32 exec_lo, exec_lo, s34
	s_delay_alu instid0(SALU_CYCLE_1)
	s_mov_b32 s34, exec_lo
	v_cmpx_lt_u32_e64 v106, v0
	s_cbranch_execnz .LBB919_197
.LBB919_228:                            ;   in Loop: Header=BB919_98 Depth=2
	s_or_b32 exec_lo, exec_lo, s34
	s_delay_alu instid0(SALU_CYCLE_1)
	s_mov_b32 s34, exec_lo
	v_cmpx_lt_u32_e64 v107, v0
	s_cbranch_execz .LBB919_198
.LBB919_229:                            ;   in Loop: Header=BB919_98 Depth=2
	global_load_b64 v[37:38], v[2:3], off offset:768
	s_or_b32 exec_lo, exec_lo, s34
	s_delay_alu instid0(SALU_CYCLE_1)
	s_mov_b32 s34, exec_lo
	v_cmpx_lt_u32_e64 v108, v0
	s_cbranch_execnz .LBB919_199
.LBB919_230:                            ;   in Loop: Header=BB919_98 Depth=2
	s_or_b32 exec_lo, exec_lo, s34
	s_delay_alu instid0(SALU_CYCLE_1)
	s_mov_b32 s34, exec_lo
	v_cmpx_lt_u32_e64 v109, v0
	s_cbranch_execz .LBB919_200
.LBB919_231:                            ;   in Loop: Header=BB919_98 Depth=2
	global_load_b64 v[33:34], v[2:3], off offset:1280
	s_or_b32 exec_lo, exec_lo, s34
	s_delay_alu instid0(SALU_CYCLE_1)
	s_mov_b32 s34, exec_lo
	v_cmpx_lt_u32_e64 v110, v0
	s_cbranch_execnz .LBB919_201
.LBB919_232:                            ;   in Loop: Header=BB919_98 Depth=2
	s_or_b32 exec_lo, exec_lo, s34
	s_delay_alu instid0(SALU_CYCLE_1)
	s_mov_b32 s34, exec_lo
	v_cmpx_lt_u32_e64 v111, v0
	s_cbranch_execz .LBB919_202
.LBB919_233:                            ;   in Loop: Header=BB919_98 Depth=2
	global_load_b64 v[29:30], v[2:3], off offset:1792
	s_or_b32 exec_lo, exec_lo, s34
	s_delay_alu instid0(SALU_CYCLE_1)
	s_mov_b32 s34, exec_lo
	v_cmpx_lt_u32_e64 v112, v0
	s_cbranch_execnz .LBB919_203
.LBB919_234:                            ;   in Loop: Header=BB919_98 Depth=2
	s_or_b32 exec_lo, exec_lo, s34
	s_delay_alu instid0(SALU_CYCLE_1)
	s_mov_b32 s34, exec_lo
	v_cmpx_lt_u32_e64 v113, v0
	s_cbranch_execz .LBB919_204
.LBB919_235:                            ;   in Loop: Header=BB919_98 Depth=2
	global_load_b64 v[25:26], v[2:3], off offset:2304
	s_or_b32 exec_lo, exec_lo, s34
	s_delay_alu instid0(SALU_CYCLE_1)
	s_mov_b32 s34, exec_lo
	v_cmpx_lt_u32_e64 v114, v0
	s_cbranch_execnz .LBB919_205
.LBB919_236:                            ;   in Loop: Header=BB919_98 Depth=2
	s_or_b32 exec_lo, exec_lo, s34
	s_delay_alu instid0(SALU_CYCLE_1)
	s_mov_b32 s34, exec_lo
	v_cmpx_lt_u32_e64 v115, v0
	s_cbranch_execz .LBB919_206
.LBB919_237:                            ;   in Loop: Header=BB919_98 Depth=2
	global_load_b64 v[21:22], v[2:3], off offset:2816
	s_or_b32 exec_lo, exec_lo, s34
	s_delay_alu instid0(SALU_CYCLE_1)
	s_mov_b32 s34, exec_lo
	v_cmpx_lt_u32_e64 v116, v0
	s_cbranch_execnz .LBB919_207
.LBB919_238:                            ;   in Loop: Header=BB919_98 Depth=2
	s_or_b32 exec_lo, exec_lo, s34
	s_delay_alu instid0(SALU_CYCLE_1)
	s_mov_b32 s34, exec_lo
	v_cmpx_lt_u32_e64 v117, v0
	s_cbranch_execz .LBB919_208
.LBB919_239:                            ;   in Loop: Header=BB919_98 Depth=2
	global_load_b64 v[14:15], v[2:3], off offset:3328
	s_or_b32 exec_lo, exec_lo, s34
	s_delay_alu instid0(SALU_CYCLE_1)
	s_mov_b32 s34, exec_lo
	v_cmpx_lt_u32_e64 v118, v0
	s_cbranch_execnz .LBB919_209
.LBB919_240:                            ;   in Loop: Header=BB919_98 Depth=2
	s_or_b32 exec_lo, exec_lo, s34
	s_delay_alu instid0(SALU_CYCLE_1)
	s_mov_b32 s34, exec_lo
	v_cmpx_lt_u32_e64 v119, v0
	s_cbranch_execz .LBB919_210
.LBB919_241:                            ;   in Loop: Header=BB919_98 Depth=2
	global_load_b64 v[10:11], v[2:3], off offset:3840
	s_or_b32 exec_lo, exec_lo, s34
	s_and_saveexec_b32 s33, vcc_lo
	s_cbranch_execnz .LBB919_211
.LBB919_242:                            ;   in Loop: Header=BB919_98 Depth=2
	s_or_b32 exec_lo, exec_lo, s33
	s_and_saveexec_b32 s33, s16
	s_cbranch_execz .LBB919_212
.LBB919_243:                            ;   in Loop: Header=BB919_98 Depth=2
	ds_load_u16 v0, v83 offset:512
	s_waitcnt lgkmcnt(0)
	v_lshrrev_b32_e32 v0, s42, v0
	s_delay_alu instid0(VALU_DEP_1)
	v_and_b32_e32 v139, s43, v0
	s_or_b32 exec_lo, exec_lo, s33
	s_and_saveexec_b32 s33, s17
	s_cbranch_execnz .LBB919_213
.LBB919_244:                            ;   in Loop: Header=BB919_98 Depth=2
	s_or_b32 exec_lo, exec_lo, s33
	s_and_saveexec_b32 s33, s18
	s_cbranch_execz .LBB919_214
.LBB919_245:                            ;   in Loop: Header=BB919_98 Depth=2
	ds_load_u16 v0, v83 offset:1536
	s_waitcnt lgkmcnt(0)
	v_lshrrev_b32_e32 v0, s42, v0
	s_delay_alu instid0(VALU_DEP_1)
	v_and_b32_e32 v137, s43, v0
	s_or_b32 exec_lo, exec_lo, s33
	s_and_saveexec_b32 s33, s19
	s_cbranch_execnz .LBB919_215
.LBB919_246:                            ;   in Loop: Header=BB919_98 Depth=2
	s_or_b32 exec_lo, exec_lo, s33
	s_and_saveexec_b32 s33, s20
	s_cbranch_execz .LBB919_216
.LBB919_247:                            ;   in Loop: Header=BB919_98 Depth=2
	ds_load_u16 v0, v83 offset:2560
	s_waitcnt lgkmcnt(0)
	v_lshrrev_b32_e32 v0, s42, v0
	s_delay_alu instid0(VALU_DEP_1)
	v_and_b32_e32 v135, s43, v0
	s_or_b32 exec_lo, exec_lo, s33
	s_and_saveexec_b32 s33, s21
	s_cbranch_execnz .LBB919_217
.LBB919_248:                            ;   in Loop: Header=BB919_98 Depth=2
	s_or_b32 exec_lo, exec_lo, s33
	s_and_saveexec_b32 s33, s22
	s_cbranch_execz .LBB919_218
.LBB919_249:                            ;   in Loop: Header=BB919_98 Depth=2
	ds_load_u16 v0, v83 offset:3584
	s_waitcnt lgkmcnt(0)
	v_lshrrev_b32_e32 v0, s42, v0
	s_delay_alu instid0(VALU_DEP_1)
	v_and_b32_e32 v133, s43, v0
	s_or_b32 exec_lo, exec_lo, s33
	s_and_saveexec_b32 s33, s23
	s_cbranch_execnz .LBB919_219
.LBB919_250:                            ;   in Loop: Header=BB919_98 Depth=2
	s_or_b32 exec_lo, exec_lo, s33
	s_and_saveexec_b32 s33, s24
	s_cbranch_execz .LBB919_220
.LBB919_251:                            ;   in Loop: Header=BB919_98 Depth=2
	ds_load_u16 v0, v83 offset:4608
	s_waitcnt lgkmcnt(0)
	v_lshrrev_b32_e32 v0, s42, v0
	s_delay_alu instid0(VALU_DEP_1)
	v_and_b32_e32 v131, s43, v0
	s_or_b32 exec_lo, exec_lo, s33
	s_and_saveexec_b32 s33, s25
	s_cbranch_execnz .LBB919_221
.LBB919_252:                            ;   in Loop: Header=BB919_98 Depth=2
	s_or_b32 exec_lo, exec_lo, s33
	s_and_saveexec_b32 s33, s27
	s_cbranch_execz .LBB919_222
.LBB919_253:                            ;   in Loop: Header=BB919_98 Depth=2
	ds_load_u16 v0, v83 offset:5632
	s_waitcnt lgkmcnt(0)
	v_lshrrev_b32_e32 v0, s42, v0
	s_delay_alu instid0(VALU_DEP_1)
	v_and_b32_e32 v129, s43, v0
	s_or_b32 exec_lo, exec_lo, s33
	s_and_saveexec_b32 s33, s28
	s_cbranch_execnz .LBB919_223
.LBB919_254:                            ;   in Loop: Header=BB919_98 Depth=2
	s_or_b32 exec_lo, exec_lo, s33
	s_and_saveexec_b32 s33, s29
	s_cbranch_execz .LBB919_224
.LBB919_255:                            ;   in Loop: Header=BB919_98 Depth=2
	ds_load_u16 v0, v83 offset:6656
	s_waitcnt lgkmcnt(0)
	v_lshrrev_b32_e32 v0, s42, v0
	s_delay_alu instid0(VALU_DEP_1)
	v_and_b32_e32 v127, s43, v0
	s_or_b32 exec_lo, exec_lo, s33
	s_and_saveexec_b32 s33, s30
	s_cbranch_execnz .LBB919_225
.LBB919_256:                            ;   in Loop: Header=BB919_98 Depth=2
	s_or_b32 exec_lo, exec_lo, s33
	s_and_saveexec_b32 s33, s31
	s_cbranch_execz .LBB919_258
.LBB919_257:                            ;   in Loop: Header=BB919_98 Depth=2
	ds_load_u16 v0, v83 offset:7680
	s_waitcnt lgkmcnt(0)
	v_lshrrev_b32_e32 v0, s42, v0
	s_delay_alu instid0(VALU_DEP_1)
	v_and_b32_e32 v125, s43, v0
.LBB919_258:                            ;   in Loop: Header=BB919_98 Depth=2
	s_or_b32 exec_lo, exec_lo, s33
	v_lshlrev_b32_e32 v0, 3, v159
	v_lshlrev_b32_e32 v2, 3, v155
	s_waitcnt vmcnt(0)
	s_waitcnt_vscnt null, 0x0
	s_barrier
	buffer_gl0_inv
	ds_store_b64 v0, v[43:44] offset:1024
	v_lshlrev_b32_e32 v0, 3, v151
	v_lshlrev_b32_e32 v3, 3, v150
	;; [unrolled: 1-line block ×4, first 2 shown]
	ds_store_b64 v2, v[41:42] offset:1024
	ds_store_b64 v0, v[39:40] offset:1024
	;; [unrolled: 1-line block ×5, first 2 shown]
	v_lshlrev_b32_e32 v0, 3, v146
	v_lshlrev_b32_e32 v2, 3, v145
	;; [unrolled: 1-line block ×5, first 2 shown]
	ds_store_b64 v0, v[31:32] offset:1024
	ds_store_b64 v2, v[29:30] offset:1024
	;; [unrolled: 1-line block ×5, first 2 shown]
	v_lshlrev_b32_e32 v0, 3, v6
	v_lshlrev_b32_e32 v2, 3, v5
	;; [unrolled: 1-line block ×5, first 2 shown]
	ds_store_b64 v0, v[21:22] offset:1024
	ds_store_b64 v2, v[16:17] offset:1024
	;; [unrolled: 1-line block ×5, first 2 shown]
	s_waitcnt lgkmcnt(0)
	s_barrier
	buffer_gl0_inv
	s_and_saveexec_b32 s33, vcc_lo
	s_cbranch_execz .LBB919_274
; %bb.259:                              ;   in Loop: Header=BB919_98 Depth=2
	v_lshlrev_b32_e32 v0, 2, v140
	ds_load_b32 v0, v0
	ds_load_b64 v[2:3], v84 offset:1024
	s_waitcnt lgkmcnt(1)
	v_add_nc_u32_e32 v19, v0, v18
	s_delay_alu instid0(VALU_DEP_1) | instskip(NEXT) | instid1(VALU_DEP_1)
	v_lshlrev_b64 v[5:6], 3, v[19:20]
	v_add_co_u32 v5, vcc_lo, s52, v5
	s_delay_alu instid0(VALU_DEP_2)
	v_add_co_ci_u32_e32 v6, vcc_lo, s53, v6, vcc_lo
	s_waitcnt lgkmcnt(0)
	global_store_b64 v[5:6], v[2:3], off
	s_or_b32 exec_lo, exec_lo, s33
	s_and_saveexec_b32 s33, s16
	s_cbranch_execnz .LBB919_275
.LBB919_260:                            ;   in Loop: Header=BB919_98 Depth=2
	s_or_b32 exec_lo, exec_lo, s33
	s_and_saveexec_b32 s16, s17
	s_cbranch_execz .LBB919_276
.LBB919_261:                            ;   in Loop: Header=BB919_98 Depth=2
	v_lshlrev_b32_e32 v0, 2, v138
	v_add_nc_u32_e32 v2, v83, v85
	ds_load_b32 v0, v0
	ds_load_b64 v[2:3], v2 offset:4096
	s_waitcnt lgkmcnt(1)
	v_add_nc_u32_e32 v19, v0, v49
	s_delay_alu instid0(VALU_DEP_1) | instskip(NEXT) | instid1(VALU_DEP_1)
	v_lshlrev_b64 v[5:6], 3, v[19:20]
	v_add_co_u32 v5, vcc_lo, s52, v5
	s_delay_alu instid0(VALU_DEP_2)
	v_add_co_ci_u32_e32 v6, vcc_lo, s53, v6, vcc_lo
	s_waitcnt lgkmcnt(0)
	global_store_b64 v[5:6], v[2:3], off
	s_or_b32 exec_lo, exec_lo, s16
	s_and_saveexec_b32 s16, s18
	s_cbranch_execnz .LBB919_277
.LBB919_262:                            ;   in Loop: Header=BB919_98 Depth=2
	s_or_b32 exec_lo, exec_lo, s16
	s_and_saveexec_b32 s16, s19
	s_cbranch_execz .LBB919_278
.LBB919_263:                            ;   in Loop: Header=BB919_98 Depth=2
	v_lshlrev_b32_e32 v0, 2, v136
	v_add_nc_u32_e32 v2, v83, v85
	ds_load_b32 v0, v0
	ds_load_b64 v[2:3], v2 offset:8192
	s_waitcnt lgkmcnt(1)
	v_add_nc_u32_e32 v19, v0, v54
	s_delay_alu instid0(VALU_DEP_1) | instskip(NEXT) | instid1(VALU_DEP_1)
	v_lshlrev_b64 v[5:6], 3, v[19:20]
	v_add_co_u32 v5, vcc_lo, s52, v5
	s_delay_alu instid0(VALU_DEP_2)
	v_add_co_ci_u32_e32 v6, vcc_lo, s53, v6, vcc_lo
	s_waitcnt lgkmcnt(0)
	global_store_b64 v[5:6], v[2:3], off
	s_or_b32 exec_lo, exec_lo, s16
	s_and_saveexec_b32 s16, s20
	s_cbranch_execnz .LBB919_279
.LBB919_264:                            ;   in Loop: Header=BB919_98 Depth=2
	s_or_b32 exec_lo, exec_lo, s16
	s_and_saveexec_b32 s16, s21
	s_cbranch_execz .LBB919_280
.LBB919_265:                            ;   in Loop: Header=BB919_98 Depth=2
	v_lshlrev_b32_e32 v0, 2, v134
	v_add_nc_u32_e32 v2, v83, v85
	ds_load_b32 v0, v0
	ds_load_b64 v[2:3], v2 offset:12288
	s_waitcnt lgkmcnt(1)
	v_add_nc_u32_e32 v19, v0, v56
	s_delay_alu instid0(VALU_DEP_1) | instskip(NEXT) | instid1(VALU_DEP_1)
	v_lshlrev_b64 v[5:6], 3, v[19:20]
	v_add_co_u32 v5, vcc_lo, s52, v5
	s_delay_alu instid0(VALU_DEP_2)
	v_add_co_ci_u32_e32 v6, vcc_lo, s53, v6, vcc_lo
	s_waitcnt lgkmcnt(0)
	global_store_b64 v[5:6], v[2:3], off
	s_or_b32 exec_lo, exec_lo, s16
	s_and_saveexec_b32 s16, s22
	s_cbranch_execnz .LBB919_281
.LBB919_266:                            ;   in Loop: Header=BB919_98 Depth=2
	s_or_b32 exec_lo, exec_lo, s16
	s_and_saveexec_b32 s16, s23
	s_cbranch_execz .LBB919_282
.LBB919_267:                            ;   in Loop: Header=BB919_98 Depth=2
	v_lshlrev_b32_e32 v0, 2, v132
	v_add_nc_u32_e32 v2, v83, v85
	ds_load_b32 v0, v0
	ds_load_b64 v[2:3], v2 offset:16384
	s_waitcnt lgkmcnt(1)
	v_add_nc_u32_e32 v19, v0, v58
	s_delay_alu instid0(VALU_DEP_1) | instskip(NEXT) | instid1(VALU_DEP_1)
	v_lshlrev_b64 v[5:6], 3, v[19:20]
	v_add_co_u32 v5, vcc_lo, s52, v5
	s_delay_alu instid0(VALU_DEP_2)
	v_add_co_ci_u32_e32 v6, vcc_lo, s53, v6, vcc_lo
	s_waitcnt lgkmcnt(0)
	global_store_b64 v[5:6], v[2:3], off
	s_or_b32 exec_lo, exec_lo, s16
	s_and_saveexec_b32 s16, s24
	s_cbranch_execnz .LBB919_283
.LBB919_268:                            ;   in Loop: Header=BB919_98 Depth=2
	s_or_b32 exec_lo, exec_lo, s16
	s_and_saveexec_b32 s16, s25
	s_cbranch_execz .LBB919_284
.LBB919_269:                            ;   in Loop: Header=BB919_98 Depth=2
	v_lshlrev_b32_e32 v0, 2, v130
	v_add_nc_u32_e32 v2, v83, v85
	ds_load_b32 v0, v0
	ds_load_b64 v[2:3], v2 offset:20480
	s_waitcnt lgkmcnt(1)
	v_add_nc_u32_e32 v19, v0, v60
	s_delay_alu instid0(VALU_DEP_1) | instskip(NEXT) | instid1(VALU_DEP_1)
	v_lshlrev_b64 v[5:6], 3, v[19:20]
	v_add_co_u32 v5, vcc_lo, s52, v5
	s_delay_alu instid0(VALU_DEP_2)
	v_add_co_ci_u32_e32 v6, vcc_lo, s53, v6, vcc_lo
	s_waitcnt lgkmcnt(0)
	global_store_b64 v[5:6], v[2:3], off
	s_or_b32 exec_lo, exec_lo, s16
	s_and_saveexec_b32 s16, s27
	s_cbranch_execnz .LBB919_285
.LBB919_270:                            ;   in Loop: Header=BB919_98 Depth=2
	s_or_b32 exec_lo, exec_lo, s16
	s_and_saveexec_b32 s16, s28
	s_cbranch_execz .LBB919_286
.LBB919_271:                            ;   in Loop: Header=BB919_98 Depth=2
	v_lshlrev_b32_e32 v0, 2, v128
	v_add_nc_u32_e32 v2, v83, v85
	ds_load_b32 v0, v0
	ds_load_b64 v[2:3], v2 offset:24576
	s_waitcnt lgkmcnt(1)
	v_add_nc_u32_e32 v19, v0, v62
	s_delay_alu instid0(VALU_DEP_1) | instskip(NEXT) | instid1(VALU_DEP_1)
	v_lshlrev_b64 v[5:6], 3, v[19:20]
	v_add_co_u32 v5, vcc_lo, s52, v5
	s_delay_alu instid0(VALU_DEP_2)
	v_add_co_ci_u32_e32 v6, vcc_lo, s53, v6, vcc_lo
	s_waitcnt lgkmcnt(0)
	global_store_b64 v[5:6], v[2:3], off
	s_or_b32 exec_lo, exec_lo, s16
	s_and_saveexec_b32 s16, s29
	s_cbranch_execnz .LBB919_287
.LBB919_272:                            ;   in Loop: Header=BB919_98 Depth=2
	s_or_b32 exec_lo, exec_lo, s16
	s_and_saveexec_b32 s16, s30
	s_cbranch_execz .LBB919_288
.LBB919_273:                            ;   in Loop: Header=BB919_98 Depth=2
	v_lshlrev_b32_e32 v0, 2, v126
	v_add_nc_u32_e32 v2, v83, v85
	ds_load_b32 v0, v0
	ds_load_b64 v[2:3], v2 offset:28672
	s_waitcnt lgkmcnt(1)
	v_add_nc_u32_e32 v19, v0, v64
	s_delay_alu instid0(VALU_DEP_1) | instskip(NEXT) | instid1(VALU_DEP_1)
	v_lshlrev_b64 v[5:6], 3, v[19:20]
	v_add_co_u32 v5, vcc_lo, s52, v5
	s_delay_alu instid0(VALU_DEP_2)
	v_add_co_ci_u32_e32 v6, vcc_lo, s53, v6, vcc_lo
	s_waitcnt lgkmcnt(0)
	global_store_b64 v[5:6], v[2:3], off
	s_or_b32 exec_lo, exec_lo, s16
	s_and_saveexec_b32 s16, s31
	s_cbranch_execnz .LBB919_289
	s_branch .LBB919_290
.LBB919_274:                            ;   in Loop: Header=BB919_98 Depth=2
	s_or_b32 exec_lo, exec_lo, s33
	s_and_saveexec_b32 s33, s16
	s_cbranch_execz .LBB919_260
.LBB919_275:                            ;   in Loop: Header=BB919_98 Depth=2
	v_lshlrev_b32_e32 v0, 2, v139
	v_add_nc_u32_e32 v2, v83, v85
	ds_load_b32 v0, v0
	ds_load_b64 v[2:3], v2 offset:2048
	s_waitcnt lgkmcnt(1)
	v_add_nc_u32_e32 v19, v0, v48
	s_delay_alu instid0(VALU_DEP_1) | instskip(NEXT) | instid1(VALU_DEP_1)
	v_lshlrev_b64 v[5:6], 3, v[19:20]
	v_add_co_u32 v5, vcc_lo, s52, v5
	s_delay_alu instid0(VALU_DEP_2)
	v_add_co_ci_u32_e32 v6, vcc_lo, s53, v6, vcc_lo
	s_waitcnt lgkmcnt(0)
	global_store_b64 v[5:6], v[2:3], off
	s_or_b32 exec_lo, exec_lo, s33
	s_and_saveexec_b32 s16, s17
	s_cbranch_execnz .LBB919_261
.LBB919_276:                            ;   in Loop: Header=BB919_98 Depth=2
	s_or_b32 exec_lo, exec_lo, s16
	s_and_saveexec_b32 s16, s18
	s_cbranch_execz .LBB919_262
.LBB919_277:                            ;   in Loop: Header=BB919_98 Depth=2
	v_lshlrev_b32_e32 v0, 2, v137
	v_add_nc_u32_e32 v2, v83, v85
	ds_load_b32 v0, v0
	ds_load_b64 v[2:3], v2 offset:6144
	s_waitcnt lgkmcnt(1)
	v_add_nc_u32_e32 v19, v0, v50
	s_delay_alu instid0(VALU_DEP_1) | instskip(NEXT) | instid1(VALU_DEP_1)
	v_lshlrev_b64 v[5:6], 3, v[19:20]
	v_add_co_u32 v5, vcc_lo, s52, v5
	s_delay_alu instid0(VALU_DEP_2)
	v_add_co_ci_u32_e32 v6, vcc_lo, s53, v6, vcc_lo
	s_waitcnt lgkmcnt(0)
	global_store_b64 v[5:6], v[2:3], off
	s_or_b32 exec_lo, exec_lo, s16
	s_and_saveexec_b32 s16, s19
	s_cbranch_execnz .LBB919_263
.LBB919_278:                            ;   in Loop: Header=BB919_98 Depth=2
	s_or_b32 exec_lo, exec_lo, s16
	s_and_saveexec_b32 s16, s20
	s_cbranch_execz .LBB919_264
.LBB919_279:                            ;   in Loop: Header=BB919_98 Depth=2
	v_lshlrev_b32_e32 v0, 2, v135
	v_add_nc_u32_e32 v2, v83, v85
	ds_load_b32 v0, v0
	ds_load_b64 v[2:3], v2 offset:10240
	s_waitcnt lgkmcnt(1)
	v_add_nc_u32_e32 v19, v0, v55
	s_delay_alu instid0(VALU_DEP_1) | instskip(NEXT) | instid1(VALU_DEP_1)
	v_lshlrev_b64 v[5:6], 3, v[19:20]
	v_add_co_u32 v5, vcc_lo, s52, v5
	s_delay_alu instid0(VALU_DEP_2)
	v_add_co_ci_u32_e32 v6, vcc_lo, s53, v6, vcc_lo
	s_waitcnt lgkmcnt(0)
	global_store_b64 v[5:6], v[2:3], off
	s_or_b32 exec_lo, exec_lo, s16
	s_and_saveexec_b32 s16, s21
	s_cbranch_execnz .LBB919_265
.LBB919_280:                            ;   in Loop: Header=BB919_98 Depth=2
	s_or_b32 exec_lo, exec_lo, s16
	s_and_saveexec_b32 s16, s22
	s_cbranch_execz .LBB919_266
.LBB919_281:                            ;   in Loop: Header=BB919_98 Depth=2
	v_lshlrev_b32_e32 v0, 2, v133
	v_add_nc_u32_e32 v2, v83, v85
	ds_load_b32 v0, v0
	ds_load_b64 v[2:3], v2 offset:14336
	s_waitcnt lgkmcnt(1)
	v_add_nc_u32_e32 v19, v0, v57
	s_delay_alu instid0(VALU_DEP_1) | instskip(NEXT) | instid1(VALU_DEP_1)
	v_lshlrev_b64 v[5:6], 3, v[19:20]
	v_add_co_u32 v5, vcc_lo, s52, v5
	s_delay_alu instid0(VALU_DEP_2)
	v_add_co_ci_u32_e32 v6, vcc_lo, s53, v6, vcc_lo
	s_waitcnt lgkmcnt(0)
	global_store_b64 v[5:6], v[2:3], off
	s_or_b32 exec_lo, exec_lo, s16
	s_and_saveexec_b32 s16, s23
	s_cbranch_execnz .LBB919_267
.LBB919_282:                            ;   in Loop: Header=BB919_98 Depth=2
	s_or_b32 exec_lo, exec_lo, s16
	s_and_saveexec_b32 s16, s24
	s_cbranch_execz .LBB919_268
.LBB919_283:                            ;   in Loop: Header=BB919_98 Depth=2
	v_lshlrev_b32_e32 v0, 2, v131
	v_add_nc_u32_e32 v2, v83, v85
	ds_load_b32 v0, v0
	ds_load_b64 v[2:3], v2 offset:18432
	s_waitcnt lgkmcnt(1)
	v_add_nc_u32_e32 v19, v0, v59
	s_delay_alu instid0(VALU_DEP_1) | instskip(NEXT) | instid1(VALU_DEP_1)
	v_lshlrev_b64 v[5:6], 3, v[19:20]
	v_add_co_u32 v5, vcc_lo, s52, v5
	s_delay_alu instid0(VALU_DEP_2)
	v_add_co_ci_u32_e32 v6, vcc_lo, s53, v6, vcc_lo
	s_waitcnt lgkmcnt(0)
	global_store_b64 v[5:6], v[2:3], off
	s_or_b32 exec_lo, exec_lo, s16
	s_and_saveexec_b32 s16, s25
	s_cbranch_execnz .LBB919_269
.LBB919_284:                            ;   in Loop: Header=BB919_98 Depth=2
	s_or_b32 exec_lo, exec_lo, s16
	s_and_saveexec_b32 s16, s27
	s_cbranch_execz .LBB919_270
.LBB919_285:                            ;   in Loop: Header=BB919_98 Depth=2
	v_lshlrev_b32_e32 v0, 2, v129
	v_add_nc_u32_e32 v2, v83, v85
	ds_load_b32 v0, v0
	ds_load_b64 v[2:3], v2 offset:22528
	s_waitcnt lgkmcnt(1)
	v_add_nc_u32_e32 v19, v0, v61
	s_delay_alu instid0(VALU_DEP_1) | instskip(NEXT) | instid1(VALU_DEP_1)
	v_lshlrev_b64 v[5:6], 3, v[19:20]
	v_add_co_u32 v5, vcc_lo, s52, v5
	s_delay_alu instid0(VALU_DEP_2)
	v_add_co_ci_u32_e32 v6, vcc_lo, s53, v6, vcc_lo
	s_waitcnt lgkmcnt(0)
	global_store_b64 v[5:6], v[2:3], off
	s_or_b32 exec_lo, exec_lo, s16
	s_and_saveexec_b32 s16, s28
	s_cbranch_execnz .LBB919_271
.LBB919_286:                            ;   in Loop: Header=BB919_98 Depth=2
	s_or_b32 exec_lo, exec_lo, s16
	s_and_saveexec_b32 s16, s29
	s_cbranch_execz .LBB919_272
.LBB919_287:                            ;   in Loop: Header=BB919_98 Depth=2
	v_lshlrev_b32_e32 v0, 2, v127
	v_add_nc_u32_e32 v2, v83, v85
	ds_load_b32 v0, v0
	ds_load_b64 v[2:3], v2 offset:26624
	s_waitcnt lgkmcnt(1)
	v_add_nc_u32_e32 v19, v0, v63
	s_delay_alu instid0(VALU_DEP_1) | instskip(NEXT) | instid1(VALU_DEP_1)
	v_lshlrev_b64 v[5:6], 3, v[19:20]
	v_add_co_u32 v5, vcc_lo, s52, v5
	s_delay_alu instid0(VALU_DEP_2)
	v_add_co_ci_u32_e32 v6, vcc_lo, s53, v6, vcc_lo
	s_waitcnt lgkmcnt(0)
	global_store_b64 v[5:6], v[2:3], off
	s_or_b32 exec_lo, exec_lo, s16
	s_and_saveexec_b32 s16, s30
	s_cbranch_execnz .LBB919_273
.LBB919_288:                            ;   in Loop: Header=BB919_98 Depth=2
	s_or_b32 exec_lo, exec_lo, s16
	s_and_saveexec_b32 s16, s31
	s_cbranch_execz .LBB919_290
.LBB919_289:                            ;   in Loop: Header=BB919_98 Depth=2
	v_lshlrev_b32_e32 v0, 2, v125
	v_add_nc_u32_e32 v2, v83, v85
	ds_load_b32 v0, v0
	ds_load_b64 v[2:3], v2 offset:30720
	s_waitcnt lgkmcnt(1)
	v_add_nc_u32_e32 v19, v0, v66
	s_delay_alu instid0(VALU_DEP_1) | instskip(NEXT) | instid1(VALU_DEP_1)
	v_lshlrev_b64 v[5:6], 3, v[19:20]
	v_add_co_u32 v5, vcc_lo, s52, v5
	s_delay_alu instid0(VALU_DEP_2)
	v_add_co_ci_u32_e32 v6, vcc_lo, s53, v6, vcc_lo
	s_waitcnt lgkmcnt(0)
	global_store_b64 v[5:6], v[2:3], off
.LBB919_290:                            ;   in Loop: Header=BB919_98 Depth=2
	s_or_b32 exec_lo, exec_lo, s16
	s_waitcnt_vscnt null, 0x0
	s_barrier
	buffer_gl0_inv
	s_and_saveexec_b32 s16, s2
	s_cbranch_execz .LBB919_97
; %bb.291:                              ;   in Loop: Header=BB919_98 Depth=2
	ds_load_b32 v0, v47
	s_waitcnt lgkmcnt(0)
	v_add_nc_u32_e32 v0, v0, v4
	ds_store_b32 v47, v0
	s_branch .LBB919_97
.LBB919_292:                            ;   in Loop: Header=BB919_98 Depth=2
	s_or_b32 exec_lo, exec_lo, s16
	s_delay_alu instid0(SALU_CYCLE_1)
	s_mov_b32 s16, exec_lo
	v_cmpx_gt_u32_e64 s56, v105
	s_cbranch_execz .LBB919_103
.LBB919_293:                            ;   in Loop: Header=BB919_98 Depth=2
	global_load_d16_hi_b16 v2, v[45:46], off offset:64
	s_or_b32 exec_lo, exec_lo, s16
	s_delay_alu instid0(SALU_CYCLE_1)
	s_mov_b32 s16, exec_lo
	v_cmpx_gt_u32_e64 s56, v106
	s_cbranch_execnz .LBB919_104
.LBB919_294:                            ;   in Loop: Header=BB919_98 Depth=2
	s_or_b32 exec_lo, exec_lo, s16
	s_delay_alu instid0(SALU_CYCLE_1)
	s_mov_b32 s16, exec_lo
	v_cmpx_gt_u32_e64 s56, v107
	s_cbranch_execz .LBB919_105
.LBB919_295:                            ;   in Loop: Header=BB919_98 Depth=2
	global_load_d16_hi_b16 v3, v[45:46], off offset:192
	s_or_b32 exec_lo, exec_lo, s16
	s_delay_alu instid0(SALU_CYCLE_1)
	s_mov_b32 s16, exec_lo
	v_cmpx_gt_u32_e64 s56, v108
	s_cbranch_execnz .LBB919_106
.LBB919_296:                            ;   in Loop: Header=BB919_98 Depth=2
	s_or_b32 exec_lo, exec_lo, s16
	s_delay_alu instid0(SALU_CYCLE_1)
	s_mov_b32 s16, exec_lo
	v_cmpx_gt_u32_e64 s56, v109
	s_cbranch_execz .LBB919_107
.LBB919_297:                            ;   in Loop: Header=BB919_98 Depth=2
	global_load_d16_hi_b16 v4, v[45:46], off offset:320
	s_or_b32 exec_lo, exec_lo, s16
	s_delay_alu instid0(SALU_CYCLE_1)
	s_mov_b32 s16, exec_lo
	v_cmpx_gt_u32_e64 s56, v110
	s_cbranch_execnz .LBB919_108
.LBB919_298:                            ;   in Loop: Header=BB919_98 Depth=2
	s_or_b32 exec_lo, exec_lo, s16
	s_delay_alu instid0(SALU_CYCLE_1)
	s_mov_b32 s16, exec_lo
	v_cmpx_gt_u32_e64 s56, v111
	s_cbranch_execz .LBB919_109
.LBB919_299:                            ;   in Loop: Header=BB919_98 Depth=2
	global_load_d16_hi_b16 v5, v[45:46], off offset:448
	s_or_b32 exec_lo, exec_lo, s16
	s_delay_alu instid0(SALU_CYCLE_1)
	s_mov_b32 s16, exec_lo
	v_cmpx_gt_u32_e64 s56, v112
	s_cbranch_execnz .LBB919_110
.LBB919_300:                            ;   in Loop: Header=BB919_98 Depth=2
	s_or_b32 exec_lo, exec_lo, s16
	s_delay_alu instid0(SALU_CYCLE_1)
	s_mov_b32 s16, exec_lo
	v_cmpx_gt_u32_e64 s56, v113
	s_cbranch_execz .LBB919_111
.LBB919_301:                            ;   in Loop: Header=BB919_98 Depth=2
	global_load_d16_hi_b16 v6, v[45:46], off offset:576
	s_or_b32 exec_lo, exec_lo, s16
	s_delay_alu instid0(SALU_CYCLE_1)
	s_mov_b32 s16, exec_lo
	v_cmpx_gt_u32_e64 s56, v114
	s_cbranch_execnz .LBB919_112
.LBB919_302:                            ;   in Loop: Header=BB919_98 Depth=2
	s_or_b32 exec_lo, exec_lo, s16
	s_delay_alu instid0(SALU_CYCLE_1)
	s_mov_b32 s16, exec_lo
	v_cmpx_gt_u32_e64 s56, v115
	s_cbranch_execz .LBB919_113
.LBB919_303:                            ;   in Loop: Header=BB919_98 Depth=2
	global_load_d16_hi_b16 v7, v[45:46], off offset:704
	s_or_b32 exec_lo, exec_lo, s16
	s_delay_alu instid0(SALU_CYCLE_1)
	s_mov_b32 s16, exec_lo
	v_cmpx_gt_u32_e64 s56, v116
	s_cbranch_execnz .LBB919_114
.LBB919_304:                            ;   in Loop: Header=BB919_98 Depth=2
	s_or_b32 exec_lo, exec_lo, s16
	s_delay_alu instid0(SALU_CYCLE_1)
	s_mov_b32 s16, exec_lo
	v_cmpx_gt_u32_e64 s56, v117
	s_cbranch_execz .LBB919_115
.LBB919_305:                            ;   in Loop: Header=BB919_98 Depth=2
	global_load_d16_hi_b16 v8, v[45:46], off offset:832
	s_or_b32 exec_lo, exec_lo, s16
	s_delay_alu instid0(SALU_CYCLE_1)
	s_mov_b32 s16, exec_lo
	v_cmpx_gt_u32_e64 s56, v118
	s_cbranch_execnz .LBB919_116
	s_branch .LBB919_117
.LBB919_306:                            ;   in Loop: Header=BB919_12 Depth=1
	s_waitcnt lgkmcnt(0)
	s_mov_b32 s1, 0
	s_barrier
.LBB919_307:                            ;   in Loop: Header=BB919_12 Depth=1
	s_and_b32 vcc_lo, exec_lo, s1
	s_cbranch_vccz .LBB919_601
; %bb.308:                              ;   in Loop: Header=BB919_12 Depth=1
	s_mov_b32 s1, s64
	s_mov_b32 s34, s62
	s_barrier
	buffer_gl0_inv
                                        ; implicit-def: $vgpr2_vgpr3_vgpr4_vgpr5_vgpr6_vgpr7_vgpr8_vgpr9
	s_branch .LBB919_310
.LBB919_309:                            ;   in Loop: Header=BB919_310 Depth=2
	s_or_b32 exec_lo, exec_lo, s8
	s_addk_i32 s1, 0xf000
	s_cmp_ge_u32 s7, s63
	s_mov_b32 s34, s7
	s_cbranch_scc1 .LBB919_380
.LBB919_310:                            ;   Parent Loop BB919_12 Depth=1
                                        ; =>  This Inner Loop Header: Depth=2
	s_add_i32 s7, s34, 0x1000
	s_delay_alu instid0(SALU_CYCLE_1)
	s_cmp_gt_u32 s7, s63
	s_cbranch_scc1 .LBB919_313
; %bb.311:                              ;   in Loop: Header=BB919_310 Depth=2
	s_mov_b32 s9, 0
	s_mov_b32 s8, s34
	s_waitcnt vmcnt(7)
	v_mov_b32_e32 v17, v9
	s_lshl_b64 s[10:11], s[8:9], 1
	s_delay_alu instid0(SALU_CYCLE_1) | instskip(SKIP_2) | instid1(VALU_DEP_2)
	v_add_co_u32 v21, vcc_lo, v86, s10
	v_add_co_ci_u32_e32 v22, vcc_lo, s11, v87, vcc_lo
	s_movk_i32 s11, 0x1000
	v_add_co_u32 v23, vcc_lo, 0x1000, v21
	s_delay_alu instid0(VALU_DEP_2)
	v_add_co_ci_u32_e32 v24, vcc_lo, 0, v22, vcc_lo
	s_clause 0x6
	global_load_u16 v10, v[21:22], off
	global_load_u16 v11, v[21:22], off offset:1024
	global_load_u16 v12, v[21:22], off offset:2048
	;; [unrolled: 1-line block ×3, first 2 shown]
	global_load_u16 v14, v[23:24], off
	global_load_u16 v15, v[23:24], off offset:1024
	global_load_u16 v16, v[23:24], off offset:2048
	s_mov_b32 s10, -1
	s_clause 0x7
	global_load_d16_b16 v17, v[23:24], off offset:3072
	global_load_d16_hi_b16 v10, v[21:22], off offset:512
	global_load_d16_hi_b16 v11, v[21:22], off offset:1536
	;; [unrolled: 1-line block ×7, first 2 shown]
	v_add_co_u32 v21, vcc_lo, 0x1e00, v21
	v_add_co_ci_u32_e32 v22, vcc_lo, 0, v22, vcc_lo
	s_cbranch_execz .LBB919_314
; %bb.312:                              ;   in Loop: Header=BB919_310 Depth=2
                                        ; implicit-def: $vgpr2_vgpr3_vgpr4_vgpr5_vgpr6_vgpr7_vgpr8_vgpr9
	v_mov_b32_e32 v0, s1
	s_and_saveexec_b32 s8, s10
	s_cbranch_execnz .LBB919_333
	s_branch .LBB919_334
.LBB919_313:                            ;   in Loop: Header=BB919_310 Depth=2
	s_mov_b32 s10, 0
                                        ; implicit-def: $sgpr11
                                        ; implicit-def: $vgpr10_vgpr11_vgpr12_vgpr13_vgpr14_vgpr15_vgpr16_vgpr17
                                        ; implicit-def: $vgpr21_vgpr22
.LBB919_314:                            ;   in Loop: Header=BB919_310 Depth=2
	s_lshl_b64 s[8:9], s[34:35], 1
	s_mov_b32 s11, exec_lo
	s_add_u32 s8, s38, s8
	s_addc_u32 s9, s39, s9
	v_cmpx_gt_u32_e64 s1, v18
	s_cbranch_execz .LBB919_366
; %bb.315:                              ;   in Loop: Header=BB919_310 Depth=2
	global_load_d16_b16 v2, v99, s[8:9]
	s_or_b32 exec_lo, exec_lo, s11
	s_delay_alu instid0(SALU_CYCLE_1)
	s_mov_b32 s11, exec_lo
	v_cmpx_gt_u32_e64 s1, v48
	s_cbranch_execnz .LBB919_367
.LBB919_316:                            ;   in Loop: Header=BB919_310 Depth=2
	s_or_b32 exec_lo, exec_lo, s11
	s_delay_alu instid0(SALU_CYCLE_1)
	s_mov_b32 s11, exec_lo
	v_cmpx_gt_u32_e64 s1, v49
	s_cbranch_execz .LBB919_368
.LBB919_317:                            ;   in Loop: Header=BB919_310 Depth=2
	global_load_d16_b16 v3, v99, s[8:9] offset:1024
	s_or_b32 exec_lo, exec_lo, s11
	s_delay_alu instid0(SALU_CYCLE_1)
	s_mov_b32 s11, exec_lo
	v_cmpx_gt_u32_e64 s1, v50
	s_cbranch_execnz .LBB919_369
.LBB919_318:                            ;   in Loop: Header=BB919_310 Depth=2
	s_or_b32 exec_lo, exec_lo, s11
	s_delay_alu instid0(SALU_CYCLE_1)
	s_mov_b32 s11, exec_lo
	v_cmpx_gt_u32_e64 s1, v54
	s_cbranch_execz .LBB919_370
.LBB919_319:                            ;   in Loop: Header=BB919_310 Depth=2
	global_load_d16_b16 v4, v99, s[8:9] offset:2048
	s_or_b32 exec_lo, exec_lo, s11
	s_delay_alu instid0(SALU_CYCLE_1)
	s_mov_b32 s11, exec_lo
	v_cmpx_gt_u32_e64 s1, v55
	s_cbranch_execnz .LBB919_371
.LBB919_320:                            ;   in Loop: Header=BB919_310 Depth=2
	s_or_b32 exec_lo, exec_lo, s11
	s_delay_alu instid0(SALU_CYCLE_1)
	s_mov_b32 s11, exec_lo
	v_cmpx_gt_u32_e64 s1, v56
	s_cbranch_execz .LBB919_372
.LBB919_321:                            ;   in Loop: Header=BB919_310 Depth=2
	global_load_d16_b16 v5, v99, s[8:9] offset:3072
	s_or_b32 exec_lo, exec_lo, s11
	s_delay_alu instid0(SALU_CYCLE_1)
	s_mov_b32 s11, exec_lo
	v_cmpx_gt_u32_e64 s1, v57
	s_cbranch_execnz .LBB919_373
.LBB919_322:                            ;   in Loop: Header=BB919_310 Depth=2
	s_or_b32 exec_lo, exec_lo, s11
	s_delay_alu instid0(SALU_CYCLE_1)
	s_mov_b32 s11, exec_lo
	v_cmpx_gt_u32_e64 s1, v58
	s_cbranch_execz .LBB919_374
.LBB919_323:                            ;   in Loop: Header=BB919_310 Depth=2
	v_lshlrev_b32_e32 v0, 1, v58
	global_load_d16_b16 v6, v0, s[8:9]
	s_or_b32 exec_lo, exec_lo, s11
	s_delay_alu instid0(SALU_CYCLE_1)
	s_mov_b32 s11, exec_lo
	v_cmpx_gt_u32_e64 s1, v59
	s_cbranch_execnz .LBB919_375
.LBB919_324:                            ;   in Loop: Header=BB919_310 Depth=2
	s_or_b32 exec_lo, exec_lo, s11
	s_delay_alu instid0(SALU_CYCLE_1)
	s_mov_b32 s11, exec_lo
	v_cmpx_gt_u32_e64 s1, v60
	s_cbranch_execz .LBB919_376
.LBB919_325:                            ;   in Loop: Header=BB919_310 Depth=2
	v_lshlrev_b32_e32 v0, 1, v60
	global_load_d16_b16 v7, v0, s[8:9]
	s_or_b32 exec_lo, exec_lo, s11
	s_delay_alu instid0(SALU_CYCLE_1)
	s_mov_b32 s11, exec_lo
	v_cmpx_gt_u32_e64 s1, v61
	s_cbranch_execnz .LBB919_377
.LBB919_326:                            ;   in Loop: Header=BB919_310 Depth=2
	s_or_b32 exec_lo, exec_lo, s11
	s_delay_alu instid0(SALU_CYCLE_1)
	s_mov_b32 s11, exec_lo
	v_cmpx_gt_u32_e64 s1, v62
	s_cbranch_execz .LBB919_378
.LBB919_327:                            ;   in Loop: Header=BB919_310 Depth=2
	v_lshlrev_b32_e32 v0, 1, v62
	global_load_d16_b16 v8, v0, s[8:9]
	s_or_b32 exec_lo, exec_lo, s11
	s_delay_alu instid0(SALU_CYCLE_1)
	s_mov_b32 s11, exec_lo
	v_cmpx_gt_u32_e64 s1, v63
	s_cbranch_execnz .LBB919_379
.LBB919_328:                            ;   in Loop: Header=BB919_310 Depth=2
	s_or_b32 exec_lo, exec_lo, s11
	s_delay_alu instid0(SALU_CYCLE_1)
	s_mov_b32 s11, exec_lo
	v_cmpx_gt_u32_e64 s1, v64
	s_cbranch_execz .LBB919_330
.LBB919_329:                            ;   in Loop: Header=BB919_310 Depth=2
	v_lshlrev_b32_e32 v0, 1, v64
	global_load_d16_b16 v9, v0, s[8:9]
.LBB919_330:                            ;   in Loop: Header=BB919_310 Depth=2
	s_or_b32 exec_lo, exec_lo, s11
	s_delay_alu instid0(SALU_CYCLE_1)
	s_mov_b32 s12, exec_lo
                                        ; implicit-def: $sgpr11
                                        ; implicit-def: $vgpr21_vgpr22
	v_cmpx_gt_u32_e64 s1, v66
; %bb.331:                              ;   in Loop: Header=BB919_310 Depth=2
	v_lshlrev_b32_e32 v0, 1, v66
	s_sub_i32 s11, s63, s34
	s_or_b32 s10, s10, exec_lo
	s_delay_alu instid0(VALU_DEP_1) | instskip(NEXT) | instid1(VALU_DEP_1)
	v_add_co_u32 v21, s8, s8, v0
	v_add_co_ci_u32_e64 v22, null, s9, 0, s8
; %bb.332:                              ;   in Loop: Header=BB919_310 Depth=2
	s_or_b32 exec_lo, exec_lo, s12
	s_waitcnt vmcnt(0)
	v_dual_mov_b32 v17, v9 :: v_dual_mov_b32 v16, v8
	v_dual_mov_b32 v15, v7 :: v_dual_mov_b32 v14, v6
	v_dual_mov_b32 v13, v5 :: v_dual_mov_b32 v12, v4
	v_dual_mov_b32 v11, v3 :: v_dual_mov_b32 v10, v2
	v_mov_b32_e32 v0, s1
	s_and_saveexec_b32 s8, s10
	s_cbranch_execz .LBB919_334
.LBB919_333:                            ;   in Loop: Header=BB919_310 Depth=2
	global_load_d16_hi_b16 v17, v[21:22], off
	s_waitcnt vmcnt(0)
	v_dual_mov_b32 v2, v10 :: v_dual_mov_b32 v5, v13
	v_dual_mov_b32 v0, s11 :: v_dual_mov_b32 v3, v11
	;; [unrolled: 1-line block ×3, first 2 shown]
	v_mov_b32_e32 v6, v14
	v_dual_mov_b32 v8, v16 :: v_dual_mov_b32 v9, v17
.LBB919_334:                            ;   in Loop: Header=BB919_310 Depth=2
	s_or_b32 exec_lo, exec_lo, s8
	s_delay_alu instid0(SALU_CYCLE_1)
	s_mov_b32 s8, exec_lo
	v_cmpx_lt_u32_e64 v18, v0
	s_cbranch_execz .LBB919_350
; %bb.335:                              ;   in Loop: Header=BB919_310 Depth=2
	s_waitcnt vmcnt(6)
	v_xor_b32_e32 v10, 0x7fff, v2
	s_waitcnt vmcnt(5)
	v_lshlrev_b32_e32 v11, 2, v51
	s_delay_alu instid0(VALU_DEP_2) | instskip(NEXT) | instid1(VALU_DEP_1)
	v_and_b32_e32 v10, 0xffff, v10
	v_lshrrev_b32_e32 v10, s42, v10
	s_delay_alu instid0(VALU_DEP_1) | instskip(NEXT) | instid1(VALU_DEP_1)
	v_and_b32_e32 v10, s43, v10
	v_lshl_or_b32 v10, v10, 4, v11
	ds_add_u32 v10, v98
	s_or_b32 exec_lo, exec_lo, s8
	s_delay_alu instid0(SALU_CYCLE_1)
	s_mov_b32 s8, exec_lo
	v_cmpx_lt_u32_e64 v48, v0
	s_cbranch_execnz .LBB919_351
.LBB919_336:                            ;   in Loop: Header=BB919_310 Depth=2
	s_or_b32 exec_lo, exec_lo, s8
	s_delay_alu instid0(SALU_CYCLE_1)
	s_mov_b32 s8, exec_lo
	v_cmpx_lt_u32_e64 v49, v0
	s_cbranch_execz .LBB919_352
.LBB919_337:                            ;   in Loop: Header=BB919_310 Depth=2
	s_waitcnt vmcnt(6)
	v_xor_b32_e32 v10, 0x7fff, v3
	s_waitcnt vmcnt(5)
	v_lshlrev_b32_e32 v11, 2, v51
	s_delay_alu instid0(VALU_DEP_2) | instskip(NEXT) | instid1(VALU_DEP_1)
	v_and_b32_e32 v10, 0xffff, v10
	v_lshrrev_b32_e32 v10, s42, v10
	s_delay_alu instid0(VALU_DEP_1) | instskip(NEXT) | instid1(VALU_DEP_1)
	v_and_b32_e32 v10, s43, v10
	v_lshl_or_b32 v10, v10, 4, v11
	ds_add_u32 v10, v98
	s_or_b32 exec_lo, exec_lo, s8
	s_delay_alu instid0(SALU_CYCLE_1)
	s_mov_b32 s8, exec_lo
	v_cmpx_lt_u32_e64 v50, v0
	s_cbranch_execnz .LBB919_353
.LBB919_338:                            ;   in Loop: Header=BB919_310 Depth=2
	s_or_b32 exec_lo, exec_lo, s8
	s_delay_alu instid0(SALU_CYCLE_1)
	s_mov_b32 s8, exec_lo
	v_cmpx_lt_u32_e64 v54, v0
	s_cbranch_execz .LBB919_354
.LBB919_339:                            ;   in Loop: Header=BB919_310 Depth=2
	s_waitcnt vmcnt(6)
	v_xor_b32_e32 v10, 0x7fff, v4
	s_waitcnt vmcnt(5)
	v_lshlrev_b32_e32 v11, 2, v51
	s_delay_alu instid0(VALU_DEP_2) | instskip(NEXT) | instid1(VALU_DEP_1)
	v_and_b32_e32 v10, 0xffff, v10
	v_lshrrev_b32_e32 v10, s42, v10
	s_delay_alu instid0(VALU_DEP_1) | instskip(NEXT) | instid1(VALU_DEP_1)
	v_and_b32_e32 v10, s43, v10
	v_lshl_or_b32 v10, v10, 4, v11
	ds_add_u32 v10, v98
	s_or_b32 exec_lo, exec_lo, s8
	s_delay_alu instid0(SALU_CYCLE_1)
	s_mov_b32 s8, exec_lo
	v_cmpx_lt_u32_e64 v55, v0
	s_cbranch_execnz .LBB919_355
.LBB919_340:                            ;   in Loop: Header=BB919_310 Depth=2
	s_or_b32 exec_lo, exec_lo, s8
	s_delay_alu instid0(SALU_CYCLE_1)
	s_mov_b32 s8, exec_lo
	v_cmpx_lt_u32_e64 v56, v0
	s_cbranch_execz .LBB919_356
.LBB919_341:                            ;   in Loop: Header=BB919_310 Depth=2
	s_waitcnt vmcnt(6)
	v_xor_b32_e32 v10, 0x7fff, v5
	s_waitcnt vmcnt(5)
	v_lshlrev_b32_e32 v11, 2, v51
	s_delay_alu instid0(VALU_DEP_2) | instskip(NEXT) | instid1(VALU_DEP_1)
	v_and_b32_e32 v10, 0xffff, v10
	v_lshrrev_b32_e32 v10, s42, v10
	s_delay_alu instid0(VALU_DEP_1) | instskip(NEXT) | instid1(VALU_DEP_1)
	v_and_b32_e32 v10, s43, v10
	v_lshl_or_b32 v10, v10, 4, v11
	ds_add_u32 v10, v98
	s_or_b32 exec_lo, exec_lo, s8
	s_delay_alu instid0(SALU_CYCLE_1)
	s_mov_b32 s8, exec_lo
	v_cmpx_lt_u32_e64 v57, v0
	s_cbranch_execnz .LBB919_357
.LBB919_342:                            ;   in Loop: Header=BB919_310 Depth=2
	s_or_b32 exec_lo, exec_lo, s8
	s_delay_alu instid0(SALU_CYCLE_1)
	s_mov_b32 s8, exec_lo
	v_cmpx_lt_u32_e64 v58, v0
	s_cbranch_execz .LBB919_358
.LBB919_343:                            ;   in Loop: Header=BB919_310 Depth=2
	s_waitcnt vmcnt(6)
	v_xor_b32_e32 v10, 0x7fff, v6
	s_waitcnt vmcnt(5)
	v_lshlrev_b32_e32 v11, 2, v51
	s_delay_alu instid0(VALU_DEP_2) | instskip(NEXT) | instid1(VALU_DEP_1)
	v_and_b32_e32 v10, 0xffff, v10
	v_lshrrev_b32_e32 v10, s42, v10
	s_delay_alu instid0(VALU_DEP_1) | instskip(NEXT) | instid1(VALU_DEP_1)
	v_and_b32_e32 v10, s43, v10
	v_lshl_or_b32 v10, v10, 4, v11
	ds_add_u32 v10, v98
	s_or_b32 exec_lo, exec_lo, s8
	s_delay_alu instid0(SALU_CYCLE_1)
	s_mov_b32 s8, exec_lo
	v_cmpx_lt_u32_e64 v59, v0
	s_cbranch_execnz .LBB919_359
.LBB919_344:                            ;   in Loop: Header=BB919_310 Depth=2
	s_or_b32 exec_lo, exec_lo, s8
	s_delay_alu instid0(SALU_CYCLE_1)
	s_mov_b32 s8, exec_lo
	v_cmpx_lt_u32_e64 v60, v0
	s_cbranch_execz .LBB919_360
.LBB919_345:                            ;   in Loop: Header=BB919_310 Depth=2
	s_waitcnt vmcnt(6)
	v_xor_b32_e32 v10, 0x7fff, v7
	s_waitcnt vmcnt(5)
	v_lshlrev_b32_e32 v11, 2, v51
	s_delay_alu instid0(VALU_DEP_2) | instskip(NEXT) | instid1(VALU_DEP_1)
	v_and_b32_e32 v10, 0xffff, v10
	v_lshrrev_b32_e32 v10, s42, v10
	s_delay_alu instid0(VALU_DEP_1) | instskip(NEXT) | instid1(VALU_DEP_1)
	v_and_b32_e32 v10, s43, v10
	v_lshl_or_b32 v10, v10, 4, v11
	ds_add_u32 v10, v98
	s_or_b32 exec_lo, exec_lo, s8
	s_delay_alu instid0(SALU_CYCLE_1)
	s_mov_b32 s8, exec_lo
	v_cmpx_lt_u32_e64 v61, v0
	s_cbranch_execnz .LBB919_361
.LBB919_346:                            ;   in Loop: Header=BB919_310 Depth=2
	s_or_b32 exec_lo, exec_lo, s8
	s_delay_alu instid0(SALU_CYCLE_1)
	s_mov_b32 s8, exec_lo
	v_cmpx_lt_u32_e64 v62, v0
	s_cbranch_execz .LBB919_362
.LBB919_347:                            ;   in Loop: Header=BB919_310 Depth=2
	s_waitcnt vmcnt(6)
	v_xor_b32_e32 v10, 0x7fff, v8
	s_waitcnt vmcnt(5)
	v_lshlrev_b32_e32 v11, 2, v51
	s_delay_alu instid0(VALU_DEP_2) | instskip(NEXT) | instid1(VALU_DEP_1)
	v_and_b32_e32 v10, 0xffff, v10
	v_lshrrev_b32_e32 v10, s42, v10
	s_delay_alu instid0(VALU_DEP_1) | instskip(NEXT) | instid1(VALU_DEP_1)
	v_and_b32_e32 v10, s43, v10
	v_lshl_or_b32 v10, v10, 4, v11
	ds_add_u32 v10, v98
	s_or_b32 exec_lo, exec_lo, s8
	s_delay_alu instid0(SALU_CYCLE_1)
	s_mov_b32 s8, exec_lo
	v_cmpx_lt_u32_e64 v63, v0
	s_cbranch_execnz .LBB919_363
.LBB919_348:                            ;   in Loop: Header=BB919_310 Depth=2
	s_or_b32 exec_lo, exec_lo, s8
	s_delay_alu instid0(SALU_CYCLE_1)
	s_mov_b32 s8, exec_lo
	v_cmpx_lt_u32_e64 v64, v0
	s_cbranch_execz .LBB919_364
.LBB919_349:                            ;   in Loop: Header=BB919_310 Depth=2
	s_waitcnt vmcnt(6)
	v_xor_b32_e32 v10, 0x7fff, v9
	s_waitcnt vmcnt(5)
	v_lshlrev_b32_e32 v11, 2, v51
	s_delay_alu instid0(VALU_DEP_2) | instskip(NEXT) | instid1(VALU_DEP_1)
	v_and_b32_e32 v10, 0xffff, v10
	v_lshrrev_b32_e32 v10, s42, v10
	s_delay_alu instid0(VALU_DEP_1) | instskip(NEXT) | instid1(VALU_DEP_1)
	v_and_b32_e32 v10, s43, v10
	v_lshl_or_b32 v10, v10, 4, v11
	ds_add_u32 v10, v98
	s_or_b32 exec_lo, exec_lo, s8
	s_delay_alu instid0(SALU_CYCLE_1)
	s_mov_b32 s8, exec_lo
	v_cmpx_lt_u32_e64 v66, v0
	s_cbranch_execz .LBB919_309
	s_branch .LBB919_365
.LBB919_350:                            ;   in Loop: Header=BB919_310 Depth=2
	s_or_b32 exec_lo, exec_lo, s8
	s_delay_alu instid0(SALU_CYCLE_1)
	s_mov_b32 s8, exec_lo
	v_cmpx_lt_u32_e64 v48, v0
	s_cbranch_execz .LBB919_336
.LBB919_351:                            ;   in Loop: Header=BB919_310 Depth=2
	s_waitcnt vmcnt(6)
	v_lshrrev_b32_e32 v10, 16, v2
	s_waitcnt vmcnt(5)
	v_lshlrev_b32_e32 v11, 2, v51
	s_delay_alu instid0(VALU_DEP_2) | instskip(NEXT) | instid1(VALU_DEP_1)
	v_xor_b32_e32 v10, 0x7fff, v10
	v_and_b32_e32 v10, 0xffff, v10
	s_delay_alu instid0(VALU_DEP_1) | instskip(NEXT) | instid1(VALU_DEP_1)
	v_lshrrev_b32_e32 v10, s42, v10
	v_and_b32_e32 v10, s43, v10
	s_delay_alu instid0(VALU_DEP_1) | instskip(SKIP_2) | instid1(SALU_CYCLE_1)
	v_lshl_or_b32 v10, v10, 4, v11
	ds_add_u32 v10, v98
	s_or_b32 exec_lo, exec_lo, s8
	s_mov_b32 s8, exec_lo
	v_cmpx_lt_u32_e64 v49, v0
	s_cbranch_execnz .LBB919_337
.LBB919_352:                            ;   in Loop: Header=BB919_310 Depth=2
	s_or_b32 exec_lo, exec_lo, s8
	s_delay_alu instid0(SALU_CYCLE_1)
	s_mov_b32 s8, exec_lo
	v_cmpx_lt_u32_e64 v50, v0
	s_cbranch_execz .LBB919_338
.LBB919_353:                            ;   in Loop: Header=BB919_310 Depth=2
	s_waitcnt vmcnt(6)
	v_lshrrev_b32_e32 v10, 16, v3
	s_waitcnt vmcnt(5)
	v_lshlrev_b32_e32 v11, 2, v51
	s_delay_alu instid0(VALU_DEP_2) | instskip(NEXT) | instid1(VALU_DEP_1)
	v_xor_b32_e32 v10, 0x7fff, v10
	v_and_b32_e32 v10, 0xffff, v10
	s_delay_alu instid0(VALU_DEP_1) | instskip(NEXT) | instid1(VALU_DEP_1)
	v_lshrrev_b32_e32 v10, s42, v10
	v_and_b32_e32 v10, s43, v10
	s_delay_alu instid0(VALU_DEP_1) | instskip(SKIP_2) | instid1(SALU_CYCLE_1)
	v_lshl_or_b32 v10, v10, 4, v11
	ds_add_u32 v10, v98
	s_or_b32 exec_lo, exec_lo, s8
	s_mov_b32 s8, exec_lo
	v_cmpx_lt_u32_e64 v54, v0
	s_cbranch_execnz .LBB919_339
.LBB919_354:                            ;   in Loop: Header=BB919_310 Depth=2
	s_or_b32 exec_lo, exec_lo, s8
	s_delay_alu instid0(SALU_CYCLE_1)
	s_mov_b32 s8, exec_lo
	v_cmpx_lt_u32_e64 v55, v0
	s_cbranch_execz .LBB919_340
.LBB919_355:                            ;   in Loop: Header=BB919_310 Depth=2
	s_waitcnt vmcnt(6)
	v_lshrrev_b32_e32 v10, 16, v4
	s_waitcnt vmcnt(5)
	v_lshlrev_b32_e32 v11, 2, v51
	s_delay_alu instid0(VALU_DEP_2) | instskip(NEXT) | instid1(VALU_DEP_1)
	v_xor_b32_e32 v10, 0x7fff, v10
	v_and_b32_e32 v10, 0xffff, v10
	s_delay_alu instid0(VALU_DEP_1) | instskip(NEXT) | instid1(VALU_DEP_1)
	v_lshrrev_b32_e32 v10, s42, v10
	v_and_b32_e32 v10, s43, v10
	s_delay_alu instid0(VALU_DEP_1) | instskip(SKIP_2) | instid1(SALU_CYCLE_1)
	v_lshl_or_b32 v10, v10, 4, v11
	ds_add_u32 v10, v98
	s_or_b32 exec_lo, exec_lo, s8
	s_mov_b32 s8, exec_lo
	v_cmpx_lt_u32_e64 v56, v0
	s_cbranch_execnz .LBB919_341
.LBB919_356:                            ;   in Loop: Header=BB919_310 Depth=2
	s_or_b32 exec_lo, exec_lo, s8
	s_delay_alu instid0(SALU_CYCLE_1)
	s_mov_b32 s8, exec_lo
	v_cmpx_lt_u32_e64 v57, v0
	s_cbranch_execz .LBB919_342
.LBB919_357:                            ;   in Loop: Header=BB919_310 Depth=2
	s_waitcnt vmcnt(6)
	v_lshrrev_b32_e32 v10, 16, v5
	s_waitcnt vmcnt(5)
	v_lshlrev_b32_e32 v11, 2, v51
	s_delay_alu instid0(VALU_DEP_2) | instskip(NEXT) | instid1(VALU_DEP_1)
	v_xor_b32_e32 v10, 0x7fff, v10
	v_and_b32_e32 v10, 0xffff, v10
	s_delay_alu instid0(VALU_DEP_1) | instskip(NEXT) | instid1(VALU_DEP_1)
	v_lshrrev_b32_e32 v10, s42, v10
	v_and_b32_e32 v10, s43, v10
	s_delay_alu instid0(VALU_DEP_1) | instskip(SKIP_2) | instid1(SALU_CYCLE_1)
	v_lshl_or_b32 v10, v10, 4, v11
	ds_add_u32 v10, v98
	s_or_b32 exec_lo, exec_lo, s8
	s_mov_b32 s8, exec_lo
	v_cmpx_lt_u32_e64 v58, v0
	s_cbranch_execnz .LBB919_343
.LBB919_358:                            ;   in Loop: Header=BB919_310 Depth=2
	s_or_b32 exec_lo, exec_lo, s8
	s_delay_alu instid0(SALU_CYCLE_1)
	s_mov_b32 s8, exec_lo
	v_cmpx_lt_u32_e64 v59, v0
	s_cbranch_execz .LBB919_344
.LBB919_359:                            ;   in Loop: Header=BB919_310 Depth=2
	s_waitcnt vmcnt(6)
	v_lshrrev_b32_e32 v10, 16, v6
	s_waitcnt vmcnt(5)
	v_lshlrev_b32_e32 v11, 2, v51
	s_delay_alu instid0(VALU_DEP_2) | instskip(NEXT) | instid1(VALU_DEP_1)
	v_xor_b32_e32 v10, 0x7fff, v10
	v_and_b32_e32 v10, 0xffff, v10
	s_delay_alu instid0(VALU_DEP_1) | instskip(NEXT) | instid1(VALU_DEP_1)
	v_lshrrev_b32_e32 v10, s42, v10
	v_and_b32_e32 v10, s43, v10
	s_delay_alu instid0(VALU_DEP_1) | instskip(SKIP_2) | instid1(SALU_CYCLE_1)
	v_lshl_or_b32 v10, v10, 4, v11
	ds_add_u32 v10, v98
	s_or_b32 exec_lo, exec_lo, s8
	s_mov_b32 s8, exec_lo
	v_cmpx_lt_u32_e64 v60, v0
	s_cbranch_execnz .LBB919_345
.LBB919_360:                            ;   in Loop: Header=BB919_310 Depth=2
	s_or_b32 exec_lo, exec_lo, s8
	s_delay_alu instid0(SALU_CYCLE_1)
	s_mov_b32 s8, exec_lo
	v_cmpx_lt_u32_e64 v61, v0
	s_cbranch_execz .LBB919_346
.LBB919_361:                            ;   in Loop: Header=BB919_310 Depth=2
	s_waitcnt vmcnt(6)
	v_lshrrev_b32_e32 v10, 16, v7
	s_waitcnt vmcnt(5)
	v_lshlrev_b32_e32 v11, 2, v51
	s_delay_alu instid0(VALU_DEP_2) | instskip(NEXT) | instid1(VALU_DEP_1)
	v_xor_b32_e32 v10, 0x7fff, v10
	v_and_b32_e32 v10, 0xffff, v10
	s_delay_alu instid0(VALU_DEP_1) | instskip(NEXT) | instid1(VALU_DEP_1)
	v_lshrrev_b32_e32 v10, s42, v10
	v_and_b32_e32 v10, s43, v10
	s_delay_alu instid0(VALU_DEP_1) | instskip(SKIP_2) | instid1(SALU_CYCLE_1)
	v_lshl_or_b32 v10, v10, 4, v11
	ds_add_u32 v10, v98
	s_or_b32 exec_lo, exec_lo, s8
	s_mov_b32 s8, exec_lo
	v_cmpx_lt_u32_e64 v62, v0
	s_cbranch_execnz .LBB919_347
.LBB919_362:                            ;   in Loop: Header=BB919_310 Depth=2
	s_or_b32 exec_lo, exec_lo, s8
	s_delay_alu instid0(SALU_CYCLE_1)
	s_mov_b32 s8, exec_lo
	v_cmpx_lt_u32_e64 v63, v0
	s_cbranch_execz .LBB919_348
.LBB919_363:                            ;   in Loop: Header=BB919_310 Depth=2
	s_waitcnt vmcnt(6)
	v_lshrrev_b32_e32 v10, 16, v8
	s_waitcnt vmcnt(5)
	v_lshlrev_b32_e32 v11, 2, v51
	s_delay_alu instid0(VALU_DEP_2) | instskip(NEXT) | instid1(VALU_DEP_1)
	v_xor_b32_e32 v10, 0x7fff, v10
	v_and_b32_e32 v10, 0xffff, v10
	s_delay_alu instid0(VALU_DEP_1) | instskip(NEXT) | instid1(VALU_DEP_1)
	v_lshrrev_b32_e32 v10, s42, v10
	v_and_b32_e32 v10, s43, v10
	s_delay_alu instid0(VALU_DEP_1) | instskip(SKIP_2) | instid1(SALU_CYCLE_1)
	v_lshl_or_b32 v10, v10, 4, v11
	ds_add_u32 v10, v98
	s_or_b32 exec_lo, exec_lo, s8
	s_mov_b32 s8, exec_lo
	v_cmpx_lt_u32_e64 v64, v0
	s_cbranch_execnz .LBB919_349
.LBB919_364:                            ;   in Loop: Header=BB919_310 Depth=2
	s_or_b32 exec_lo, exec_lo, s8
	s_delay_alu instid0(SALU_CYCLE_1)
	s_mov_b32 s8, exec_lo
	v_cmpx_lt_u32_e64 v66, v0
	s_cbranch_execz .LBB919_309
.LBB919_365:                            ;   in Loop: Header=BB919_310 Depth=2
	v_lshrrev_b32_e32 v0, 16, v9
	s_waitcnt vmcnt(6)
	v_lshlrev_b32_e32 v10, 2, v51
	s_delay_alu instid0(VALU_DEP_2) | instskip(NEXT) | instid1(VALU_DEP_1)
	v_xor_b32_e32 v0, 0x7fff, v0
	v_and_b32_e32 v0, 0xffff, v0
	s_delay_alu instid0(VALU_DEP_1) | instskip(NEXT) | instid1(VALU_DEP_1)
	v_lshrrev_b32_e32 v0, s42, v0
	v_and_b32_e32 v0, s43, v0
	s_delay_alu instid0(VALU_DEP_1)
	v_lshl_or_b32 v0, v0, 4, v10
	ds_add_u32 v0, v98
	s_branch .LBB919_309
.LBB919_366:                            ;   in Loop: Header=BB919_310 Depth=2
	s_or_b32 exec_lo, exec_lo, s11
	s_delay_alu instid0(SALU_CYCLE_1)
	s_mov_b32 s11, exec_lo
	v_cmpx_gt_u32_e64 s1, v48
	s_cbranch_execz .LBB919_316
.LBB919_367:                            ;   in Loop: Header=BB919_310 Depth=2
	global_load_d16_hi_b16 v2, v99, s[8:9] offset:512
	s_or_b32 exec_lo, exec_lo, s11
	s_delay_alu instid0(SALU_CYCLE_1)
	s_mov_b32 s11, exec_lo
	v_cmpx_gt_u32_e64 s1, v49
	s_cbranch_execnz .LBB919_317
.LBB919_368:                            ;   in Loop: Header=BB919_310 Depth=2
	s_or_b32 exec_lo, exec_lo, s11
	s_delay_alu instid0(SALU_CYCLE_1)
	s_mov_b32 s11, exec_lo
	v_cmpx_gt_u32_e64 s1, v50
	s_cbranch_execz .LBB919_318
.LBB919_369:                            ;   in Loop: Header=BB919_310 Depth=2
	global_load_d16_hi_b16 v3, v99, s[8:9] offset:1536
	s_or_b32 exec_lo, exec_lo, s11
	s_delay_alu instid0(SALU_CYCLE_1)
	s_mov_b32 s11, exec_lo
	v_cmpx_gt_u32_e64 s1, v54
	s_cbranch_execnz .LBB919_319
.LBB919_370:                            ;   in Loop: Header=BB919_310 Depth=2
	s_or_b32 exec_lo, exec_lo, s11
	s_delay_alu instid0(SALU_CYCLE_1)
	s_mov_b32 s11, exec_lo
	v_cmpx_gt_u32_e64 s1, v55
	s_cbranch_execz .LBB919_320
.LBB919_371:                            ;   in Loop: Header=BB919_310 Depth=2
	global_load_d16_hi_b16 v4, v99, s[8:9] offset:2560
	s_or_b32 exec_lo, exec_lo, s11
	s_delay_alu instid0(SALU_CYCLE_1)
	s_mov_b32 s11, exec_lo
	v_cmpx_gt_u32_e64 s1, v56
	s_cbranch_execnz .LBB919_321
.LBB919_372:                            ;   in Loop: Header=BB919_310 Depth=2
	s_or_b32 exec_lo, exec_lo, s11
	s_delay_alu instid0(SALU_CYCLE_1)
	s_mov_b32 s11, exec_lo
	v_cmpx_gt_u32_e64 s1, v57
	s_cbranch_execz .LBB919_322
.LBB919_373:                            ;   in Loop: Header=BB919_310 Depth=2
	global_load_d16_hi_b16 v5, v99, s[8:9] offset:3584
	s_or_b32 exec_lo, exec_lo, s11
	s_delay_alu instid0(SALU_CYCLE_1)
	s_mov_b32 s11, exec_lo
	v_cmpx_gt_u32_e64 s1, v58
	s_cbranch_execnz .LBB919_323
.LBB919_374:                            ;   in Loop: Header=BB919_310 Depth=2
	s_or_b32 exec_lo, exec_lo, s11
	s_delay_alu instid0(SALU_CYCLE_1)
	s_mov_b32 s11, exec_lo
	v_cmpx_gt_u32_e64 s1, v59
	s_cbranch_execz .LBB919_324
.LBB919_375:                            ;   in Loop: Header=BB919_310 Depth=2
	v_lshlrev_b32_e32 v0, 1, v59
	global_load_d16_hi_b16 v6, v0, s[8:9]
	s_or_b32 exec_lo, exec_lo, s11
	s_delay_alu instid0(SALU_CYCLE_1)
	s_mov_b32 s11, exec_lo
	v_cmpx_gt_u32_e64 s1, v60
	s_cbranch_execnz .LBB919_325
.LBB919_376:                            ;   in Loop: Header=BB919_310 Depth=2
	s_or_b32 exec_lo, exec_lo, s11
	s_delay_alu instid0(SALU_CYCLE_1)
	s_mov_b32 s11, exec_lo
	v_cmpx_gt_u32_e64 s1, v61
	s_cbranch_execz .LBB919_326
.LBB919_377:                            ;   in Loop: Header=BB919_310 Depth=2
	v_lshlrev_b32_e32 v0, 1, v61
	global_load_d16_hi_b16 v7, v0, s[8:9]
	s_or_b32 exec_lo, exec_lo, s11
	s_delay_alu instid0(SALU_CYCLE_1)
	s_mov_b32 s11, exec_lo
	v_cmpx_gt_u32_e64 s1, v62
	s_cbranch_execnz .LBB919_327
.LBB919_378:                            ;   in Loop: Header=BB919_310 Depth=2
	s_or_b32 exec_lo, exec_lo, s11
	s_delay_alu instid0(SALU_CYCLE_1)
	s_mov_b32 s11, exec_lo
	v_cmpx_gt_u32_e64 s1, v63
	s_cbranch_execz .LBB919_328
.LBB919_379:                            ;   in Loop: Header=BB919_310 Depth=2
	v_lshlrev_b32_e32 v0, 1, v63
	global_load_d16_hi_b16 v8, v0, s[8:9]
	s_or_b32 exec_lo, exec_lo, s11
	s_delay_alu instid0(SALU_CYCLE_1)
	s_mov_b32 s11, exec_lo
	v_cmpx_gt_u32_e64 s1, v64
	s_cbranch_execz .LBB919_330
	s_branch .LBB919_329
.LBB919_380:                            ;   in Loop: Header=BB919_12 Depth=1
	v_mov_b32_e32 v0, 0
	s_waitcnt vmcnt(0) lgkmcnt(0)
	s_barrier
	buffer_gl0_inv
	s_and_saveexec_b32 s1, s2
	s_cbranch_execz .LBB919_382
; %bb.381:                              ;   in Loop: Header=BB919_12 Depth=1
	ds_load_2addr_b64 v[2:5], v67 offset1:1
	s_waitcnt lgkmcnt(0)
	v_add_nc_u32_e32 v0, v3, v2
	s_delay_alu instid0(VALU_DEP_1)
	v_add3_u32 v0, v0, v4, v5
.LBB919_382:                            ;   in Loop: Header=BB919_12 Depth=1
	s_or_b32 exec_lo, exec_lo, s1
	v_and_b32_e32 v2, 15, v100
	s_delay_alu instid0(VALU_DEP_2) | instskip(SKIP_1) | instid1(VALU_DEP_3)
	v_mov_b32_dpp v3, v0 row_shr:1 row_mask:0xf bank_mask:0xf
	v_and_b32_e32 v4, 16, v100
	v_cmp_eq_u32_e64 s1, 0, v2
	v_cmp_lt_u32_e64 s7, 1, v2
	v_cmp_lt_u32_e64 s8, 3, v2
	;; [unrolled: 1-line block ×3, first 2 shown]
	v_cmp_eq_u32_e64 s10, 0, v4
	v_cndmask_b32_e64 v3, v3, 0, s1
	s_delay_alu instid0(VALU_DEP_1) | instskip(NEXT) | instid1(VALU_DEP_1)
	v_add_nc_u32_e32 v0, v3, v0
	v_mov_b32_dpp v3, v0 row_shr:2 row_mask:0xf bank_mask:0xf
	s_delay_alu instid0(VALU_DEP_1) | instskip(NEXT) | instid1(VALU_DEP_1)
	v_cndmask_b32_e64 v3, 0, v3, s7
	v_add_nc_u32_e32 v0, v0, v3
	s_delay_alu instid0(VALU_DEP_1) | instskip(NEXT) | instid1(VALU_DEP_1)
	v_mov_b32_dpp v3, v0 row_shr:4 row_mask:0xf bank_mask:0xf
	v_cndmask_b32_e64 v3, 0, v3, s8
	s_delay_alu instid0(VALU_DEP_1) | instskip(NEXT) | instid1(VALU_DEP_1)
	v_add_nc_u32_e32 v0, v0, v3
	v_mov_b32_dpp v3, v0 row_shr:8 row_mask:0xf bank_mask:0xf
	s_delay_alu instid0(VALU_DEP_1) | instskip(SKIP_1) | instid1(VALU_DEP_2)
	v_cndmask_b32_e64 v2, 0, v3, s9
	v_bfe_i32 v3, v100, 4, 1
	v_add_nc_u32_e32 v0, v0, v2
	ds_swizzle_b32 v2, v0 offset:swizzle(BROADCAST,32,15)
	s_waitcnt lgkmcnt(0)
	v_and_b32_e32 v2, v3, v2
	s_delay_alu instid0(VALU_DEP_1)
	v_add_nc_u32_e32 v2, v0, v2
	s_and_saveexec_b32 s11, s3
	s_cbranch_execz .LBB919_384
; %bb.383:                              ;   in Loop: Header=BB919_12 Depth=1
	ds_store_b32 v68, v2
.LBB919_384:                            ;   in Loop: Header=BB919_12 Depth=1
	s_or_b32 exec_lo, exec_lo, s11
	v_and_b32_e32 v0, 7, v100
	s_waitcnt lgkmcnt(0)
	s_barrier
	buffer_gl0_inv
	s_and_saveexec_b32 s11, s4
	s_cbranch_execz .LBB919_386
; %bb.385:                              ;   in Loop: Header=BB919_12 Depth=1
	ds_load_b32 v3, v69
	v_cmp_ne_u32_e32 vcc_lo, 0, v0
	s_waitcnt lgkmcnt(0)
	v_mov_b32_dpp v4, v3 row_shr:1 row_mask:0xf bank_mask:0xf
	s_delay_alu instid0(VALU_DEP_1) | instskip(SKIP_1) | instid1(VALU_DEP_2)
	v_cndmask_b32_e32 v4, 0, v4, vcc_lo
	v_cmp_lt_u32_e32 vcc_lo, 1, v0
	v_add_nc_u32_e32 v3, v4, v3
	s_delay_alu instid0(VALU_DEP_1) | instskip(NEXT) | instid1(VALU_DEP_1)
	v_mov_b32_dpp v4, v3 row_shr:2 row_mask:0xf bank_mask:0xf
	v_cndmask_b32_e32 v4, 0, v4, vcc_lo
	v_cmp_lt_u32_e32 vcc_lo, 3, v0
	s_delay_alu instid0(VALU_DEP_2) | instskip(NEXT) | instid1(VALU_DEP_1)
	v_add_nc_u32_e32 v3, v3, v4
	v_mov_b32_dpp v4, v3 row_shr:4 row_mask:0xf bank_mask:0xf
	s_delay_alu instid0(VALU_DEP_1) | instskip(NEXT) | instid1(VALU_DEP_1)
	v_cndmask_b32_e32 v4, 0, v4, vcc_lo
	v_add_nc_u32_e32 v3, v3, v4
	ds_store_b32 v69, v3
.LBB919_386:                            ;   in Loop: Header=BB919_12 Depth=1
	s_or_b32 exec_lo, exec_lo, s11
	v_mov_b32_e32 v3, 0
	s_waitcnt lgkmcnt(0)
	s_barrier
	buffer_gl0_inv
	s_and_saveexec_b32 s11, s5
	s_cbranch_execz .LBB919_388
; %bb.387:                              ;   in Loop: Header=BB919_12 Depth=1
	ds_load_b32 v3, v70
.LBB919_388:                            ;   in Loop: Header=BB919_12 Depth=1
	s_or_b32 exec_lo, exec_lo, s11
	v_add_nc_u32_e32 v4, -1, v100
	s_waitcnt lgkmcnt(0)
	v_add_nc_u32_e32 v2, v3, v2
	v_cmp_eq_u32_e64 s11, 0, v100
	s_barrier
	v_cmp_gt_i32_e32 vcc_lo, 0, v4
	buffer_gl0_inv
	v_cndmask_b32_e32 v4, v4, v100, vcc_lo
	s_delay_alu instid0(VALU_DEP_1)
	v_lshlrev_b32_e32 v101, 2, v4
	ds_bpermute_b32 v2, v101, v2
	s_and_saveexec_b32 s12, s2
	s_cbranch_execz .LBB919_390
; %bb.389:                              ;   in Loop: Header=BB919_12 Depth=1
	s_waitcnt lgkmcnt(0)
	v_cndmask_b32_e64 v2, v2, v3, s11
	s_delay_alu instid0(VALU_DEP_1)
	v_add_nc_u32_e32 v2, s62, v2
	ds_store_b32 v47, v2
.LBB919_390:                            ;   in Loop: Header=BB919_12 Depth=1
	s_or_b32 exec_lo, exec_lo, s12
	s_load_b64 s[12:13], s[60:61], 0x0
	v_lshlrev_b32_e32 v3, 3, v100
	v_cmp_lt_u32_e64 s14, 3, v0
	v_or_b32_e32 v102, v100, v71
	s_mov_b32 s56, s64
	s_mov_b32 s34, s62
	v_add_co_u32 v103, vcc_lo, v88, v3
	v_add_co_ci_u32_e32 v104, vcc_lo, 0, v89, vcc_lo
	v_or_b32_e32 v105, 32, v102
	v_or_b32_e32 v106, 64, v102
	;; [unrolled: 1-line block ×10, first 2 shown]
	s_waitcnt lgkmcnt(0)
	s_cmp_lt_u32 s15, s13
	v_or_b32_e32 v115, 0x160, v102
	s_cselect_b32 s13, 14, 20
	v_or_b32_e32 v116, 0x180, v102
	s_add_u32 s16, s60, s13
	s_addc_u32 s17, s61, 0
	s_cmp_lt_u32 s26, s12
	global_load_u16 v2, v20, s[16:17]
	s_cselect_b32 s12, 12, 18
	v_or_b32_e32 v117, 0x1a0, v102
	s_add_u32 s12, s60, s12
	s_addc_u32 s13, s61, 0
	v_or_b32_e32 v118, 0x1c0, v102
	global_load_u16 v4, v20, s[12:13]
	v_cmp_eq_u32_e64 s12, 0, v0
	v_cmp_lt_u32_e64 s13, 1, v0
	v_lshlrev_b32_e32 v0, 1, v100
	v_or_b32_e32 v119, 0x1e0, v102
                                        ; implicit-def: $vgpr10_vgpr11
                                        ; implicit-def: $vgpr12_vgpr13
                                        ; implicit-def: $vgpr14_vgpr15
                                        ; implicit-def: $vgpr16_vgpr17
                                        ; implicit-def: $vgpr21_vgpr22
                                        ; implicit-def: $vgpr23_vgpr24
                                        ; implicit-def: $vgpr25_vgpr26
                                        ; implicit-def: $vgpr27_vgpr28
                                        ; implicit-def: $vgpr29_vgpr30
                                        ; implicit-def: $vgpr31_vgpr32
                                        ; implicit-def: $vgpr33_vgpr34
                                        ; implicit-def: $vgpr35_vgpr36
                                        ; implicit-def: $vgpr37_vgpr38
                                        ; implicit-def: $vgpr39_vgpr40
                                        ; implicit-def: $vgpr41_vgpr42
                                        ; implicit-def: $vgpr43_vgpr44
                                        ; implicit-def: $vgpr125
                                        ; implicit-def: $vgpr126
                                        ; implicit-def: $vgpr127
                                        ; implicit-def: $vgpr128
                                        ; implicit-def: $vgpr129
                                        ; implicit-def: $vgpr130
                                        ; implicit-def: $vgpr131
                                        ; implicit-def: $vgpr132
                                        ; implicit-def: $vgpr133
                                        ; implicit-def: $vgpr134
                                        ; implicit-def: $vgpr135
                                        ; implicit-def: $vgpr136
                                        ; implicit-def: $vgpr137
                                        ; implicit-def: $vgpr138
                                        ; implicit-def: $vgpr139
                                        ; implicit-def: $vgpr140
                                        ; implicit-def: $vgpr9
	s_delay_alu instid0(VALU_DEP_2) | instskip(SKIP_1) | instid1(VALU_DEP_2)
	v_add_co_u32 v120, vcc_lo, v90, v0
	v_add_co_ci_u32_e32 v121, vcc_lo, 0, v91, vcc_lo
	v_add_co_u32 v123, vcc_lo, 0x3c0, v120
	s_delay_alu instid0(VALU_DEP_2) | instskip(SKIP_3) | instid1(VALU_DEP_1)
	v_add_co_ci_u32_e32 v124, vcc_lo, 0, v121, vcc_lo
	s_waitcnt vmcnt(1)
	v_mad_u32_u24 v5, v72, v2, v74
	s_waitcnt vmcnt(0)
	v_mad_u64_u32 v[2:3], null, v5, v4, v[18:19]
	s_delay_alu instid0(VALU_DEP_1)
	v_lshrrev_b32_e32 v122, 5, v2
	s_branch .LBB919_392
.LBB919_391:                            ;   in Loop: Header=BB919_392 Depth=2
	s_or_b32 exec_lo, exec_lo, s16
	s_addk_i32 s56, 0xf000
	s_cmp_lt_u32 s65, s63
	s_mov_b32 s34, s65
	s_cbranch_scc0 .LBB919_600
.LBB919_392:                            ;   Parent Loop BB919_12 Depth=1
                                        ; =>  This Inner Loop Header: Depth=2
	s_add_i32 s65, s34, 0x1000
	s_delay_alu instid0(SALU_CYCLE_1)
	s_cmp_gt_u32 s65, s63
	s_cbranch_scc1 .LBB919_394
; %bb.393:                              ;   in Loop: Header=BB919_392 Depth=2
	s_mov_b32 s17, 0
	s_mov_b32 s16, s34
	s_delay_alu instid0(SALU_CYCLE_1) | instskip(NEXT) | instid1(SALU_CYCLE_1)
	s_lshl_b64 s[18:19], s[16:17], 1
	v_add_co_u32 v45, vcc_lo, v120, s18
	v_add_co_ci_u32_e32 v46, vcc_lo, s19, v121, vcc_lo
	s_mov_b32 s19, -1
	s_movk_i32 s18, 0x1000
	s_clause 0xe
	global_load_u16 v2, v[45:46], off
	global_load_u16 v3, v[45:46], off offset:128
	global_load_u16 v4, v[45:46], off offset:256
	;; [unrolled: 1-line block ×6, first 2 shown]
	global_load_d16_b16 v9, v[45:46], off offset:896
	global_load_d16_hi_b16 v2, v[45:46], off offset:64
	global_load_d16_hi_b16 v3, v[45:46], off offset:192
	;; [unrolled: 1-line block ×7, first 2 shown]
	s_cbranch_execz .LBB919_395
	s_branch .LBB919_412
.LBB919_394:                            ;   in Loop: Header=BB919_392 Depth=2
	s_mov_b32 s17, -1
	s_mov_b32 s19, 0
                                        ; implicit-def: $sgpr18
                                        ; implicit-def: $vgpr2_vgpr3_vgpr4_vgpr5_vgpr6_vgpr7_vgpr8_vgpr9
.LBB919_395:                            ;   in Loop: Header=BB919_392 Depth=2
	s_lshl_b64 s[16:17], s[34:35], 1
	s_mov_b32 s45, s44
	v_add_co_u32 v45, vcc_lo, v120, s16
	s_mov_b32 s46, s44
	s_mov_b32 s47, s44
	;; [unrolled: 1-line block ×6, first 2 shown]
	s_waitcnt vmcnt(0)
	v_dual_mov_b32 v2, s44 :: v_dual_mov_b32 v3, s45
	v_add_co_ci_u32_e32 v46, vcc_lo, s17, v121, vcc_lo
	v_dual_mov_b32 v4, s46 :: v_dual_mov_b32 v5, s47
	v_dual_mov_b32 v6, s48 :: v_dual_mov_b32 v7, s49
	;; [unrolled: 1-line block ×3, first 2 shown]
	s_mov_b32 s16, exec_lo
	v_cmpx_gt_u32_e64 s56, v102
	s_cbranch_execz .LBB919_586
; %bb.396:                              ;   in Loop: Header=BB919_392 Depth=2
	v_bfrev_b32_e32 v0, 1
	v_mov_b32_e32 v7, v1
	v_mov_b32_e32 v2, v1
	;; [unrolled: 1-line block ×4, first 2 shown]
	global_load_d16_b16 v0, v[45:46], off
	v_mov_b32_e32 v5, v1
	v_mov_b32_e32 v6, v1
	s_waitcnt vmcnt(0)
	v_mov_b32_e32 v9, v7
	s_delay_alu instid0(VALU_DEP_2)
	v_dual_mov_b32 v8, v6 :: v_dual_mov_b32 v7, v5
	v_mov_b32_e32 v6, v4
	v_mov_b32_e32 v5, v3
	;; [unrolled: 1-line block ×5, first 2 shown]
	s_or_b32 exec_lo, exec_lo, s16
	s_delay_alu instid0(SALU_CYCLE_1)
	s_mov_b32 s16, exec_lo
	v_cmpx_gt_u32_e64 s56, v105
	s_cbranch_execnz .LBB919_587
.LBB919_397:                            ;   in Loop: Header=BB919_392 Depth=2
	s_or_b32 exec_lo, exec_lo, s16
	s_delay_alu instid0(SALU_CYCLE_1)
	s_mov_b32 s16, exec_lo
	v_cmpx_gt_u32_e64 s56, v106
	s_cbranch_execz .LBB919_588
.LBB919_398:                            ;   in Loop: Header=BB919_392 Depth=2
	global_load_d16_b16 v3, v[45:46], off offset:128
	s_or_b32 exec_lo, exec_lo, s16
	s_delay_alu instid0(SALU_CYCLE_1)
	s_mov_b32 s16, exec_lo
	v_cmpx_gt_u32_e64 s56, v107
	s_cbranch_execnz .LBB919_589
.LBB919_399:                            ;   in Loop: Header=BB919_392 Depth=2
	s_or_b32 exec_lo, exec_lo, s16
	s_delay_alu instid0(SALU_CYCLE_1)
	s_mov_b32 s16, exec_lo
	v_cmpx_gt_u32_e64 s56, v108
	s_cbranch_execz .LBB919_590
.LBB919_400:                            ;   in Loop: Header=BB919_392 Depth=2
	global_load_d16_b16 v4, v[45:46], off offset:256
	s_or_b32 exec_lo, exec_lo, s16
	s_delay_alu instid0(SALU_CYCLE_1)
	s_mov_b32 s16, exec_lo
	v_cmpx_gt_u32_e64 s56, v109
	s_cbranch_execnz .LBB919_591
.LBB919_401:                            ;   in Loop: Header=BB919_392 Depth=2
	s_or_b32 exec_lo, exec_lo, s16
	s_delay_alu instid0(SALU_CYCLE_1)
	s_mov_b32 s16, exec_lo
	v_cmpx_gt_u32_e64 s56, v110
	s_cbranch_execz .LBB919_592
.LBB919_402:                            ;   in Loop: Header=BB919_392 Depth=2
	global_load_d16_b16 v5, v[45:46], off offset:384
	s_or_b32 exec_lo, exec_lo, s16
	s_delay_alu instid0(SALU_CYCLE_1)
	s_mov_b32 s16, exec_lo
	v_cmpx_gt_u32_e64 s56, v111
	s_cbranch_execnz .LBB919_593
.LBB919_403:                            ;   in Loop: Header=BB919_392 Depth=2
	s_or_b32 exec_lo, exec_lo, s16
	s_delay_alu instid0(SALU_CYCLE_1)
	s_mov_b32 s16, exec_lo
	v_cmpx_gt_u32_e64 s56, v112
	s_cbranch_execz .LBB919_594
.LBB919_404:                            ;   in Loop: Header=BB919_392 Depth=2
	global_load_d16_b16 v6, v[45:46], off offset:512
	s_or_b32 exec_lo, exec_lo, s16
	s_delay_alu instid0(SALU_CYCLE_1)
	s_mov_b32 s16, exec_lo
	v_cmpx_gt_u32_e64 s56, v113
	s_cbranch_execnz .LBB919_595
.LBB919_405:                            ;   in Loop: Header=BB919_392 Depth=2
	s_or_b32 exec_lo, exec_lo, s16
	s_delay_alu instid0(SALU_CYCLE_1)
	s_mov_b32 s16, exec_lo
	v_cmpx_gt_u32_e64 s56, v114
	s_cbranch_execz .LBB919_596
.LBB919_406:                            ;   in Loop: Header=BB919_392 Depth=2
	global_load_d16_b16 v7, v[45:46], off offset:640
	s_or_b32 exec_lo, exec_lo, s16
	s_delay_alu instid0(SALU_CYCLE_1)
	s_mov_b32 s16, exec_lo
	v_cmpx_gt_u32_e64 s56, v115
	s_cbranch_execnz .LBB919_597
.LBB919_407:                            ;   in Loop: Header=BB919_392 Depth=2
	s_or_b32 exec_lo, exec_lo, s16
	s_delay_alu instid0(SALU_CYCLE_1)
	s_mov_b32 s16, exec_lo
	v_cmpx_gt_u32_e64 s56, v116
	s_cbranch_execz .LBB919_598
.LBB919_408:                            ;   in Loop: Header=BB919_392 Depth=2
	global_load_d16_b16 v8, v[45:46], off offset:768
	s_or_b32 exec_lo, exec_lo, s16
	s_delay_alu instid0(SALU_CYCLE_1)
	s_mov_b32 s16, exec_lo
	v_cmpx_gt_u32_e64 s56, v117
	s_cbranch_execnz .LBB919_599
.LBB919_409:                            ;   in Loop: Header=BB919_392 Depth=2
	s_or_b32 exec_lo, exec_lo, s16
	s_delay_alu instid0(SALU_CYCLE_1)
	s_mov_b32 s16, exec_lo
	v_cmpx_gt_u32_e64 s56, v118
	s_cbranch_execz .LBB919_411
.LBB919_410:                            ;   in Loop: Header=BB919_392 Depth=2
	global_load_d16_b16 v9, v[45:46], off offset:896
.LBB919_411:                            ;   in Loop: Header=BB919_392 Depth=2
	s_or_b32 exec_lo, exec_lo, s16
	v_cmp_gt_u32_e64 s19, s56, v119
	s_sub_i32 s18, s63, s34
	s_mov_b64 s[16:17], s[34:35]
.LBB919_412:                            ;   in Loop: Header=BB919_392 Depth=2
	v_mov_b32_e32 v0, s56
	s_delay_alu instid0(VALU_DEP_2)
	s_and_saveexec_b32 s20, s19
	s_cbranch_execz .LBB919_414
; %bb.413:                              ;   in Loop: Header=BB919_392 Depth=2
	s_lshl_b64 s[16:17], s[16:17], 1
	v_mov_b32_e32 v0, s18
	v_add_co_u32 v45, vcc_lo, v123, s16
	v_add_co_ci_u32_e32 v46, vcc_lo, s17, v124, vcc_lo
	global_load_d16_hi_b16 v9, v[45:46], off
.LBB919_414:                            ;   in Loop: Header=BB919_392 Depth=2
	s_or_b32 exec_lo, exec_lo, s20
	s_waitcnt vmcnt(0)
	v_xor_b32_e32 v19, 0x7fff7fff, v2
	ds_store_b32 v73, v20 offset:1056
	ds_store_2addr_b32 v75, v20, v20 offset0:1 offset1:2
	ds_store_2addr_b32 v75, v20, v20 offset0:3 offset1:4
	ds_store_2addr_b32 v75, v20, v20 offset0:5 offset1:6
	ds_store_2addr_b32 v75, v20, v20 offset0:7 offset1:8
	s_waitcnt lgkmcnt(0)
	s_barrier
	v_and_b32_e32 v2, 0xffff, v19
	buffer_gl0_inv
	; wave barrier
	v_lshrrev_b32_e32 v2, s42, v2
	s_delay_alu instid0(VALU_DEP_1) | instskip(NEXT) | instid1(VALU_DEP_1)
	v_and_b32_e32 v45, s43, v2
	v_and_b32_e32 v2, 1, v45
	v_lshlrev_b32_e32 v46, 30, v45
	v_lshlrev_b32_e32 v141, 29, v45
	;; [unrolled: 1-line block ×4, first 2 shown]
	v_add_co_u32 v2, s16, v2, -1
	s_delay_alu instid0(VALU_DEP_1)
	v_cndmask_b32_e64 v143, 0, 1, s16
	v_not_b32_e32 v147, v46
	v_cmp_gt_i32_e64 s16, 0, v46
	v_not_b32_e32 v46, v141
	v_lshlrev_b32_e32 v145, 26, v45
	v_cmp_ne_u32_e32 vcc_lo, 0, v143
	v_ashrrev_i32_e32 v147, 31, v147
	v_lshlrev_b32_e32 v146, 25, v45
	v_ashrrev_i32_e32 v46, 31, v46
	v_lshlrev_b32_e32 v143, 24, v45
	v_xor_b32_e32 v2, vcc_lo, v2
	v_cmp_gt_i32_e32 vcc_lo, 0, v141
	v_not_b32_e32 v141, v142
	v_xor_b32_e32 v147, s16, v147
	v_cmp_gt_i32_e64 s16, 0, v142
	v_and_b32_e32 v2, exec_lo, v2
	v_not_b32_e32 v142, v144
	v_ashrrev_i32_e32 v141, 31, v141
	v_xor_b32_e32 v46, vcc_lo, v46
	v_cmp_gt_i32_e32 vcc_lo, 0, v144
	v_and_b32_e32 v2, v2, v147
	v_not_b32_e32 v144, v145
	v_ashrrev_i32_e32 v142, 31, v142
	v_xor_b32_e32 v141, s16, v141
	v_cmp_gt_i32_e64 s16, 0, v145
	v_and_b32_e32 v2, v2, v46
	v_not_b32_e32 v46, v146
	v_ashrrev_i32_e32 v144, 31, v144
	v_xor_b32_e32 v142, vcc_lo, v142
	v_cmp_gt_i32_e32 vcc_lo, 0, v146
	v_and_b32_e32 v2, v2, v141
	v_not_b32_e32 v141, v143
	v_ashrrev_i32_e32 v46, 31, v46
	v_xor_b32_e32 v144, s16, v144
	v_cmp_gt_i32_e64 s16, 0, v143
	v_and_b32_e32 v2, v2, v142
	v_ashrrev_i32_e32 v141, 31, v141
	v_xor_b32_e32 v46, vcc_lo, v46
	v_mad_u32_u24 v45, v45, 9, v122
	s_delay_alu instid0(VALU_DEP_4) | instskip(NEXT) | instid1(VALU_DEP_4)
	v_and_b32_e32 v2, v2, v144
	v_xor_b32_e32 v141, s16, v141
	s_delay_alu instid0(VALU_DEP_3) | instskip(NEXT) | instid1(VALU_DEP_3)
	v_lshl_add_u32 v143, v45, 2, 0x420
	v_and_b32_e32 v2, v2, v46
	s_delay_alu instid0(VALU_DEP_1) | instskip(NEXT) | instid1(VALU_DEP_1)
	v_and_b32_e32 v2, v2, v141
	v_mbcnt_lo_u32_b32 v141, v2, 0
	v_cmp_ne_u32_e64 s16, 0, v2
	s_delay_alu instid0(VALU_DEP_2) | instskip(NEXT) | instid1(VALU_DEP_2)
	v_cmp_eq_u32_e32 vcc_lo, 0, v141
	s_and_b32 s17, s16, vcc_lo
	s_delay_alu instid0(SALU_CYCLE_1)
	s_and_saveexec_b32 s16, s17
	s_cbranch_execz .LBB919_416
; %bb.415:                              ;   in Loop: Header=BB919_392 Depth=2
	v_bcnt_u32_b32 v2, v2, 0
	ds_store_b32 v143, v2
.LBB919_416:                            ;   in Loop: Header=BB919_392 Depth=2
	s_or_b32 exec_lo, exec_lo, s16
	v_lshrrev_b32_e32 v142, 16, v19
	; wave barrier
	s_delay_alu instid0(VALU_DEP_1) | instskip(NEXT) | instid1(VALU_DEP_1)
	v_lshrrev_b32_e32 v2, s42, v142
	v_and_b32_e32 v2, s43, v2
	s_delay_alu instid0(VALU_DEP_1)
	v_and_b32_e32 v45, 1, v2
	v_lshlrev_b32_e32 v46, 30, v2
	v_lshlrev_b32_e32 v144, 29, v2
	;; [unrolled: 1-line block ×4, first 2 shown]
	v_add_co_u32 v45, s16, v45, -1
	s_delay_alu instid0(VALU_DEP_1)
	v_cndmask_b32_e64 v146, 0, 1, s16
	v_not_b32_e32 v150, v46
	v_cmp_gt_i32_e64 s16, 0, v46
	v_not_b32_e32 v46, v144
	v_lshlrev_b32_e32 v148, 26, v2
	v_cmp_ne_u32_e32 vcc_lo, 0, v146
	v_ashrrev_i32_e32 v150, 31, v150
	v_lshlrev_b32_e32 v149, 25, v2
	v_ashrrev_i32_e32 v46, 31, v46
	v_lshlrev_b32_e32 v146, 24, v2
	v_xor_b32_e32 v45, vcc_lo, v45
	v_cmp_gt_i32_e32 vcc_lo, 0, v144
	v_not_b32_e32 v144, v145
	v_xor_b32_e32 v150, s16, v150
	v_cmp_gt_i32_e64 s16, 0, v145
	v_and_b32_e32 v45, exec_lo, v45
	v_not_b32_e32 v145, v147
	v_ashrrev_i32_e32 v144, 31, v144
	v_xor_b32_e32 v46, vcc_lo, v46
	v_cmp_gt_i32_e32 vcc_lo, 0, v147
	v_and_b32_e32 v45, v45, v150
	v_not_b32_e32 v147, v148
	v_ashrrev_i32_e32 v145, 31, v145
	v_xor_b32_e32 v144, s16, v144
	v_cmp_gt_i32_e64 s16, 0, v148
	v_and_b32_e32 v45, v45, v46
	v_not_b32_e32 v46, v149
	v_ashrrev_i32_e32 v147, 31, v147
	v_xor_b32_e32 v145, vcc_lo, v145
	v_cmp_gt_i32_e32 vcc_lo, 0, v149
	v_and_b32_e32 v45, v45, v144
	v_not_b32_e32 v144, v146
	v_ashrrev_i32_e32 v46, 31, v46
	v_xor_b32_e32 v147, s16, v147
	v_mul_u32_u24_e32 v2, 9, v2
	v_and_b32_e32 v45, v45, v145
	v_cmp_gt_i32_e64 s16, 0, v146
	v_ashrrev_i32_e32 v144, 31, v144
	v_xor_b32_e32 v46, vcc_lo, v46
	s_delay_alu instid0(VALU_DEP_4) | instskip(SKIP_1) | instid1(VALU_DEP_4)
	v_and_b32_e32 v45, v45, v147
	v_add_lshl_u32 v147, v2, v122, 2
	v_xor_b32_e32 v2, s16, v144
	s_delay_alu instid0(VALU_DEP_3) | instskip(SKIP_3) | instid1(VALU_DEP_1)
	v_and_b32_e32 v45, v45, v46
	ds_load_b32 v145, v147 offset:1056
	v_add_nc_u32_e32 v147, 0x420, v147
	; wave barrier
	v_and_b32_e32 v2, v45, v2
	v_mbcnt_lo_u32_b32 v146, v2, 0
	v_cmp_ne_u32_e64 s16, 0, v2
	s_delay_alu instid0(VALU_DEP_2) | instskip(NEXT) | instid1(VALU_DEP_2)
	v_cmp_eq_u32_e32 vcc_lo, 0, v146
	s_and_b32 s17, s16, vcc_lo
	s_delay_alu instid0(SALU_CYCLE_1)
	s_and_saveexec_b32 s16, s17
	s_cbranch_execz .LBB919_418
; %bb.417:                              ;   in Loop: Header=BB919_392 Depth=2
	s_waitcnt lgkmcnt(0)
	v_bcnt_u32_b32 v2, v2, v145
	ds_store_b32 v147, v2
.LBB919_418:                            ;   in Loop: Header=BB919_392 Depth=2
	s_or_b32 exec_lo, exec_lo, s16
	v_xor_b32_e32 v144, 0x7fff7fff, v3
	; wave barrier
	s_delay_alu instid0(VALU_DEP_1) | instskip(NEXT) | instid1(VALU_DEP_1)
	v_and_b32_e32 v2, 0xffff, v144
	v_lshrrev_b32_e32 v2, s42, v2
	s_delay_alu instid0(VALU_DEP_1) | instskip(NEXT) | instid1(VALU_DEP_1)
	v_and_b32_e32 v2, s43, v2
	v_and_b32_e32 v3, 1, v2
	v_lshlrev_b32_e32 v45, 30, v2
	v_lshlrev_b32_e32 v46, 29, v2
	;; [unrolled: 1-line block ×4, first 2 shown]
	v_add_co_u32 v3, s16, v3, -1
	s_delay_alu instid0(VALU_DEP_1)
	v_cndmask_b32_e64 v149, 0, 1, s16
	v_not_b32_e32 v153, v45
	v_cmp_gt_i32_e64 s16, 0, v45
	v_not_b32_e32 v45, v46
	v_lshlrev_b32_e32 v151, 26, v2
	v_cmp_ne_u32_e32 vcc_lo, 0, v149
	v_ashrrev_i32_e32 v153, 31, v153
	v_lshlrev_b32_e32 v152, 25, v2
	v_ashrrev_i32_e32 v45, 31, v45
	v_lshlrev_b32_e32 v149, 24, v2
	v_xor_b32_e32 v3, vcc_lo, v3
	v_cmp_gt_i32_e32 vcc_lo, 0, v46
	v_not_b32_e32 v46, v148
	v_xor_b32_e32 v153, s16, v153
	v_cmp_gt_i32_e64 s16, 0, v148
	v_and_b32_e32 v3, exec_lo, v3
	v_not_b32_e32 v148, v150
	v_ashrrev_i32_e32 v46, 31, v46
	v_xor_b32_e32 v45, vcc_lo, v45
	v_cmp_gt_i32_e32 vcc_lo, 0, v150
	v_and_b32_e32 v3, v3, v153
	v_not_b32_e32 v150, v151
	v_ashrrev_i32_e32 v148, 31, v148
	v_xor_b32_e32 v46, s16, v46
	v_cmp_gt_i32_e64 s16, 0, v151
	v_and_b32_e32 v3, v3, v45
	v_not_b32_e32 v45, v152
	v_ashrrev_i32_e32 v150, 31, v150
	v_xor_b32_e32 v148, vcc_lo, v148
	v_cmp_gt_i32_e32 vcc_lo, 0, v152
	v_and_b32_e32 v3, v3, v46
	v_not_b32_e32 v46, v149
	v_ashrrev_i32_e32 v45, 31, v45
	v_xor_b32_e32 v150, s16, v150
	v_mul_u32_u24_e32 v2, 9, v2
	v_and_b32_e32 v3, v3, v148
	v_cmp_gt_i32_e64 s16, 0, v149
	v_ashrrev_i32_e32 v46, 31, v46
	v_xor_b32_e32 v45, vcc_lo, v45
	v_add_lshl_u32 v148, v2, v122, 2
	v_and_b32_e32 v3, v3, v150
	s_delay_alu instid0(VALU_DEP_4) | instskip(SKIP_3) | instid1(VALU_DEP_2)
	v_xor_b32_e32 v2, s16, v46
	ds_load_b32 v149, v148 offset:1056
	v_and_b32_e32 v3, v3, v45
	v_add_nc_u32_e32 v151, 0x420, v148
	; wave barrier
	v_and_b32_e32 v2, v3, v2
	s_delay_alu instid0(VALU_DEP_1) | instskip(SKIP_1) | instid1(VALU_DEP_2)
	v_mbcnt_lo_u32_b32 v150, v2, 0
	v_cmp_ne_u32_e64 s16, 0, v2
	v_cmp_eq_u32_e32 vcc_lo, 0, v150
	s_delay_alu instid0(VALU_DEP_2) | instskip(NEXT) | instid1(SALU_CYCLE_1)
	s_and_b32 s17, s16, vcc_lo
	s_and_saveexec_b32 s16, s17
	s_cbranch_execz .LBB919_420
; %bb.419:                              ;   in Loop: Header=BB919_392 Depth=2
	s_waitcnt lgkmcnt(0)
	v_bcnt_u32_b32 v2, v2, v149
	ds_store_b32 v151, v2
.LBB919_420:                            ;   in Loop: Header=BB919_392 Depth=2
	s_or_b32 exec_lo, exec_lo, s16
	v_lshrrev_b32_e32 v148, 16, v144
	; wave barrier
	s_delay_alu instid0(VALU_DEP_1) | instskip(NEXT) | instid1(VALU_DEP_1)
	v_lshrrev_b32_e32 v2, s42, v148
	v_and_b32_e32 v2, s43, v2
	s_delay_alu instid0(VALU_DEP_1)
	v_and_b32_e32 v3, 1, v2
	v_lshlrev_b32_e32 v45, 30, v2
	v_lshlrev_b32_e32 v46, 29, v2
	;; [unrolled: 1-line block ×4, first 2 shown]
	v_add_co_u32 v3, s16, v3, -1
	s_delay_alu instid0(VALU_DEP_1)
	v_cndmask_b32_e64 v153, 0, 1, s16
	v_not_b32_e32 v157, v45
	v_cmp_gt_i32_e64 s16, 0, v45
	v_not_b32_e32 v45, v46
	v_lshlrev_b32_e32 v155, 26, v2
	v_cmp_ne_u32_e32 vcc_lo, 0, v153
	v_ashrrev_i32_e32 v157, 31, v157
	v_lshlrev_b32_e32 v156, 25, v2
	v_ashrrev_i32_e32 v45, 31, v45
	v_lshlrev_b32_e32 v153, 24, v2
	v_xor_b32_e32 v3, vcc_lo, v3
	v_cmp_gt_i32_e32 vcc_lo, 0, v46
	v_not_b32_e32 v46, v152
	v_xor_b32_e32 v157, s16, v157
	v_cmp_gt_i32_e64 s16, 0, v152
	v_and_b32_e32 v3, exec_lo, v3
	v_not_b32_e32 v152, v154
	v_ashrrev_i32_e32 v46, 31, v46
	v_xor_b32_e32 v45, vcc_lo, v45
	v_cmp_gt_i32_e32 vcc_lo, 0, v154
	v_and_b32_e32 v3, v3, v157
	v_not_b32_e32 v154, v155
	v_ashrrev_i32_e32 v152, 31, v152
	v_xor_b32_e32 v46, s16, v46
	v_cmp_gt_i32_e64 s16, 0, v155
	v_and_b32_e32 v3, v3, v45
	v_not_b32_e32 v45, v156
	v_ashrrev_i32_e32 v154, 31, v154
	v_xor_b32_e32 v152, vcc_lo, v152
	v_cmp_gt_i32_e32 vcc_lo, 0, v156
	v_and_b32_e32 v3, v3, v46
	v_not_b32_e32 v46, v153
	v_ashrrev_i32_e32 v45, 31, v45
	v_xor_b32_e32 v154, s16, v154
	v_mul_u32_u24_e32 v2, 9, v2
	v_and_b32_e32 v3, v3, v152
	v_cmp_gt_i32_e64 s16, 0, v153
	v_ashrrev_i32_e32 v46, 31, v46
	v_xor_b32_e32 v45, vcc_lo, v45
	v_add_lshl_u32 v152, v2, v122, 2
	v_and_b32_e32 v3, v3, v154
	s_delay_alu instid0(VALU_DEP_4) | instskip(SKIP_3) | instid1(VALU_DEP_2)
	v_xor_b32_e32 v2, s16, v46
	ds_load_b32 v153, v152 offset:1056
	v_and_b32_e32 v3, v3, v45
	v_add_nc_u32_e32 v155, 0x420, v152
	; wave barrier
	v_and_b32_e32 v2, v3, v2
	s_delay_alu instid0(VALU_DEP_1) | instskip(SKIP_1) | instid1(VALU_DEP_2)
	v_mbcnt_lo_u32_b32 v154, v2, 0
	v_cmp_ne_u32_e64 s16, 0, v2
	v_cmp_eq_u32_e32 vcc_lo, 0, v154
	s_delay_alu instid0(VALU_DEP_2) | instskip(NEXT) | instid1(SALU_CYCLE_1)
	s_and_b32 s17, s16, vcc_lo
	s_and_saveexec_b32 s16, s17
	s_cbranch_execz .LBB919_422
; %bb.421:                              ;   in Loop: Header=BB919_392 Depth=2
	s_waitcnt lgkmcnt(0)
	v_bcnt_u32_b32 v2, v2, v153
	ds_store_b32 v155, v2
.LBB919_422:                            ;   in Loop: Header=BB919_392 Depth=2
	s_or_b32 exec_lo, exec_lo, s16
	v_xor_b32_e32 v152, 0x7fff7fff, v4
	; wave barrier
	s_delay_alu instid0(VALU_DEP_1) | instskip(NEXT) | instid1(VALU_DEP_1)
	v_and_b32_e32 v2, 0xffff, v152
	v_lshrrev_b32_e32 v2, s42, v2
	s_delay_alu instid0(VALU_DEP_1) | instskip(NEXT) | instid1(VALU_DEP_1)
	v_and_b32_e32 v2, s43, v2
	v_and_b32_e32 v3, 1, v2
	v_lshlrev_b32_e32 v4, 30, v2
	v_lshlrev_b32_e32 v45, 29, v2
	;; [unrolled: 1-line block ×4, first 2 shown]
	v_add_co_u32 v3, s16, v3, -1
	s_delay_alu instid0(VALU_DEP_1)
	v_cndmask_b32_e64 v156, 0, 1, s16
	v_not_b32_e32 v160, v4
	v_cmp_gt_i32_e64 s16, 0, v4
	v_not_b32_e32 v4, v45
	v_lshlrev_b32_e32 v158, 26, v2
	v_cmp_ne_u32_e32 vcc_lo, 0, v156
	v_ashrrev_i32_e32 v160, 31, v160
	v_lshlrev_b32_e32 v159, 25, v2
	v_ashrrev_i32_e32 v4, 31, v4
	v_lshlrev_b32_e32 v156, 24, v2
	v_xor_b32_e32 v3, vcc_lo, v3
	v_cmp_gt_i32_e32 vcc_lo, 0, v45
	v_not_b32_e32 v45, v46
	v_xor_b32_e32 v160, s16, v160
	v_cmp_gt_i32_e64 s16, 0, v46
	v_and_b32_e32 v3, exec_lo, v3
	v_not_b32_e32 v46, v157
	v_ashrrev_i32_e32 v45, 31, v45
	v_xor_b32_e32 v4, vcc_lo, v4
	v_cmp_gt_i32_e32 vcc_lo, 0, v157
	v_and_b32_e32 v3, v3, v160
	v_not_b32_e32 v157, v158
	v_ashrrev_i32_e32 v46, 31, v46
	v_xor_b32_e32 v45, s16, v45
	v_cmp_gt_i32_e64 s16, 0, v158
	v_and_b32_e32 v3, v3, v4
	v_not_b32_e32 v4, v159
	v_ashrrev_i32_e32 v157, 31, v157
	v_xor_b32_e32 v46, vcc_lo, v46
	v_cmp_gt_i32_e32 vcc_lo, 0, v159
	v_and_b32_e32 v3, v3, v45
	v_not_b32_e32 v45, v156
	v_ashrrev_i32_e32 v4, 31, v4
	v_xor_b32_e32 v157, s16, v157
	v_mul_u32_u24_e32 v2, 9, v2
	v_and_b32_e32 v3, v3, v46
	v_cmp_gt_i32_e64 s16, 0, v156
	v_ashrrev_i32_e32 v45, 31, v45
	v_xor_b32_e32 v4, vcc_lo, v4
	v_add_lshl_u32 v46, v2, v122, 2
	v_and_b32_e32 v3, v3, v157
	s_delay_alu instid0(VALU_DEP_4) | instskip(SKIP_3) | instid1(VALU_DEP_2)
	v_xor_b32_e32 v2, s16, v45
	ds_load_b32 v157, v46 offset:1056
	v_and_b32_e32 v3, v3, v4
	v_add_nc_u32_e32 v159, 0x420, v46
	; wave barrier
	v_and_b32_e32 v2, v3, v2
	s_delay_alu instid0(VALU_DEP_1) | instskip(SKIP_1) | instid1(VALU_DEP_2)
	v_mbcnt_lo_u32_b32 v158, v2, 0
	v_cmp_ne_u32_e64 s16, 0, v2
	v_cmp_eq_u32_e32 vcc_lo, 0, v158
	s_delay_alu instid0(VALU_DEP_2) | instskip(NEXT) | instid1(SALU_CYCLE_1)
	s_and_b32 s17, s16, vcc_lo
	s_and_saveexec_b32 s16, s17
	s_cbranch_execz .LBB919_424
; %bb.423:                              ;   in Loop: Header=BB919_392 Depth=2
	s_waitcnt lgkmcnt(0)
	v_bcnt_u32_b32 v2, v2, v157
	ds_store_b32 v159, v2
.LBB919_424:                            ;   in Loop: Header=BB919_392 Depth=2
	s_or_b32 exec_lo, exec_lo, s16
	v_lshrrev_b32_e32 v156, 16, v152
	; wave barrier
	s_delay_alu instid0(VALU_DEP_1) | instskip(NEXT) | instid1(VALU_DEP_1)
	v_lshrrev_b32_e32 v2, s42, v156
	v_and_b32_e32 v2, s43, v2
	s_delay_alu instid0(VALU_DEP_1)
	v_and_b32_e32 v3, 1, v2
	v_lshlrev_b32_e32 v4, 30, v2
	v_lshlrev_b32_e32 v45, 29, v2
	;; [unrolled: 1-line block ×4, first 2 shown]
	v_add_co_u32 v3, s16, v3, -1
	s_delay_alu instid0(VALU_DEP_1)
	v_cndmask_b32_e64 v160, 0, 1, s16
	v_not_b32_e32 v164, v4
	v_cmp_gt_i32_e64 s16, 0, v4
	v_not_b32_e32 v4, v45
	v_lshlrev_b32_e32 v162, 26, v2
	v_cmp_ne_u32_e32 vcc_lo, 0, v160
	v_ashrrev_i32_e32 v164, 31, v164
	v_lshlrev_b32_e32 v163, 25, v2
	v_ashrrev_i32_e32 v4, 31, v4
	v_lshlrev_b32_e32 v160, 24, v2
	v_xor_b32_e32 v3, vcc_lo, v3
	v_cmp_gt_i32_e32 vcc_lo, 0, v45
	v_not_b32_e32 v45, v46
	v_xor_b32_e32 v164, s16, v164
	v_cmp_gt_i32_e64 s16, 0, v46
	v_and_b32_e32 v3, exec_lo, v3
	v_not_b32_e32 v46, v161
	v_ashrrev_i32_e32 v45, 31, v45
	v_xor_b32_e32 v4, vcc_lo, v4
	v_cmp_gt_i32_e32 vcc_lo, 0, v161
	v_and_b32_e32 v3, v3, v164
	v_not_b32_e32 v161, v162
	v_ashrrev_i32_e32 v46, 31, v46
	v_xor_b32_e32 v45, s16, v45
	v_cmp_gt_i32_e64 s16, 0, v162
	v_and_b32_e32 v3, v3, v4
	v_not_b32_e32 v4, v163
	v_ashrrev_i32_e32 v161, 31, v161
	v_xor_b32_e32 v46, vcc_lo, v46
	v_cmp_gt_i32_e32 vcc_lo, 0, v163
	v_and_b32_e32 v3, v3, v45
	v_not_b32_e32 v45, v160
	v_ashrrev_i32_e32 v4, 31, v4
	v_xor_b32_e32 v161, s16, v161
	v_mul_u32_u24_e32 v2, 9, v2
	v_and_b32_e32 v3, v3, v46
	v_cmp_gt_i32_e64 s16, 0, v160
	v_ashrrev_i32_e32 v45, 31, v45
	v_xor_b32_e32 v4, vcc_lo, v4
	v_add_lshl_u32 v46, v2, v122, 2
	v_and_b32_e32 v3, v3, v161
	s_delay_alu instid0(VALU_DEP_4) | instskip(SKIP_3) | instid1(VALU_DEP_2)
	v_xor_b32_e32 v2, s16, v45
	ds_load_b32 v161, v46 offset:1056
	v_and_b32_e32 v3, v3, v4
	v_add_nc_u32_e32 v163, 0x420, v46
	; wave barrier
	v_and_b32_e32 v2, v3, v2
	s_delay_alu instid0(VALU_DEP_1) | instskip(SKIP_1) | instid1(VALU_DEP_2)
	v_mbcnt_lo_u32_b32 v162, v2, 0
	v_cmp_ne_u32_e64 s16, 0, v2
	v_cmp_eq_u32_e32 vcc_lo, 0, v162
	s_delay_alu instid0(VALU_DEP_2) | instskip(NEXT) | instid1(SALU_CYCLE_1)
	s_and_b32 s17, s16, vcc_lo
	s_and_saveexec_b32 s16, s17
	s_cbranch_execz .LBB919_426
; %bb.425:                              ;   in Loop: Header=BB919_392 Depth=2
	s_waitcnt lgkmcnt(0)
	v_bcnt_u32_b32 v2, v2, v161
	ds_store_b32 v163, v2
.LBB919_426:                            ;   in Loop: Header=BB919_392 Depth=2
	s_or_b32 exec_lo, exec_lo, s16
	v_xor_b32_e32 v160, 0x7fff7fff, v5
	; wave barrier
	s_delay_alu instid0(VALU_DEP_1) | instskip(NEXT) | instid1(VALU_DEP_1)
	v_and_b32_e32 v2, 0xffff, v160
	v_lshrrev_b32_e32 v2, s42, v2
	s_delay_alu instid0(VALU_DEP_1) | instskip(NEXT) | instid1(VALU_DEP_1)
	v_and_b32_e32 v2, s43, v2
	v_and_b32_e32 v3, 1, v2
	v_lshlrev_b32_e32 v4, 30, v2
	v_lshlrev_b32_e32 v5, 29, v2
	;; [unrolled: 1-line block ×4, first 2 shown]
	v_add_co_u32 v3, s16, v3, -1
	s_delay_alu instid0(VALU_DEP_1)
	v_cndmask_b32_e64 v46, 0, 1, s16
	v_not_b32_e32 v167, v4
	v_cmp_gt_i32_e64 s16, 0, v4
	v_not_b32_e32 v4, v5
	v_lshlrev_b32_e32 v165, 26, v2
	v_cmp_ne_u32_e32 vcc_lo, 0, v46
	v_ashrrev_i32_e32 v167, 31, v167
	v_lshlrev_b32_e32 v166, 25, v2
	v_ashrrev_i32_e32 v4, 31, v4
	v_lshlrev_b32_e32 v46, 24, v2
	v_xor_b32_e32 v3, vcc_lo, v3
	v_cmp_gt_i32_e32 vcc_lo, 0, v5
	v_not_b32_e32 v5, v45
	v_xor_b32_e32 v167, s16, v167
	v_cmp_gt_i32_e64 s16, 0, v45
	v_and_b32_e32 v3, exec_lo, v3
	v_not_b32_e32 v45, v164
	v_ashrrev_i32_e32 v5, 31, v5
	v_xor_b32_e32 v4, vcc_lo, v4
	v_cmp_gt_i32_e32 vcc_lo, 0, v164
	v_and_b32_e32 v3, v3, v167
	v_not_b32_e32 v164, v165
	v_ashrrev_i32_e32 v45, 31, v45
	v_xor_b32_e32 v5, s16, v5
	v_cmp_gt_i32_e64 s16, 0, v165
	v_and_b32_e32 v3, v3, v4
	v_not_b32_e32 v4, v166
	v_ashrrev_i32_e32 v164, 31, v164
	v_xor_b32_e32 v45, vcc_lo, v45
	v_cmp_gt_i32_e32 vcc_lo, 0, v166
	v_and_b32_e32 v3, v3, v5
	v_not_b32_e32 v5, v46
	v_ashrrev_i32_e32 v4, 31, v4
	v_xor_b32_e32 v164, s16, v164
	v_mul_u32_u24_e32 v2, 9, v2
	v_and_b32_e32 v3, v3, v45
	v_cmp_gt_i32_e64 s16, 0, v46
	v_ashrrev_i32_e32 v5, 31, v5
	v_xor_b32_e32 v4, vcc_lo, v4
	v_add_lshl_u32 v45, v2, v122, 2
	v_and_b32_e32 v3, v3, v164
	s_delay_alu instid0(VALU_DEP_4) | instskip(SKIP_3) | instid1(VALU_DEP_2)
	v_xor_b32_e32 v2, s16, v5
	ds_load_b32 v165, v45 offset:1056
	v_and_b32_e32 v3, v3, v4
	v_add_nc_u32_e32 v167, 0x420, v45
	; wave barrier
	v_and_b32_e32 v2, v3, v2
	s_delay_alu instid0(VALU_DEP_1) | instskip(SKIP_1) | instid1(VALU_DEP_2)
	v_mbcnt_lo_u32_b32 v166, v2, 0
	v_cmp_ne_u32_e64 s16, 0, v2
	v_cmp_eq_u32_e32 vcc_lo, 0, v166
	s_delay_alu instid0(VALU_DEP_2) | instskip(NEXT) | instid1(SALU_CYCLE_1)
	s_and_b32 s17, s16, vcc_lo
	s_and_saveexec_b32 s16, s17
	s_cbranch_execz .LBB919_428
; %bb.427:                              ;   in Loop: Header=BB919_392 Depth=2
	s_waitcnt lgkmcnt(0)
	v_bcnt_u32_b32 v2, v2, v165
	ds_store_b32 v167, v2
.LBB919_428:                            ;   in Loop: Header=BB919_392 Depth=2
	s_or_b32 exec_lo, exec_lo, s16
	v_lshrrev_b32_e32 v164, 16, v160
	; wave barrier
	s_delay_alu instid0(VALU_DEP_1) | instskip(NEXT) | instid1(VALU_DEP_1)
	v_lshrrev_b32_e32 v2, s42, v164
	v_and_b32_e32 v2, s43, v2
	s_delay_alu instid0(VALU_DEP_1)
	v_and_b32_e32 v3, 1, v2
	v_lshlrev_b32_e32 v4, 30, v2
	v_lshlrev_b32_e32 v5, 29, v2
	;; [unrolled: 1-line block ×4, first 2 shown]
	v_add_co_u32 v3, s16, v3, -1
	s_delay_alu instid0(VALU_DEP_1)
	v_cndmask_b32_e64 v46, 0, 1, s16
	v_not_b32_e32 v171, v4
	v_cmp_gt_i32_e64 s16, 0, v4
	v_not_b32_e32 v4, v5
	v_lshlrev_b32_e32 v169, 26, v2
	v_cmp_ne_u32_e32 vcc_lo, 0, v46
	v_ashrrev_i32_e32 v171, 31, v171
	v_lshlrev_b32_e32 v170, 25, v2
	v_ashrrev_i32_e32 v4, 31, v4
	v_lshlrev_b32_e32 v46, 24, v2
	v_xor_b32_e32 v3, vcc_lo, v3
	v_cmp_gt_i32_e32 vcc_lo, 0, v5
	v_not_b32_e32 v5, v45
	v_xor_b32_e32 v171, s16, v171
	v_cmp_gt_i32_e64 s16, 0, v45
	v_and_b32_e32 v3, exec_lo, v3
	v_not_b32_e32 v45, v168
	v_ashrrev_i32_e32 v5, 31, v5
	v_xor_b32_e32 v4, vcc_lo, v4
	v_cmp_gt_i32_e32 vcc_lo, 0, v168
	v_and_b32_e32 v3, v3, v171
	v_not_b32_e32 v168, v169
	v_ashrrev_i32_e32 v45, 31, v45
	v_xor_b32_e32 v5, s16, v5
	v_cmp_gt_i32_e64 s16, 0, v169
	v_and_b32_e32 v3, v3, v4
	v_not_b32_e32 v4, v170
	v_ashrrev_i32_e32 v168, 31, v168
	v_xor_b32_e32 v45, vcc_lo, v45
	v_cmp_gt_i32_e32 vcc_lo, 0, v170
	v_and_b32_e32 v3, v3, v5
	v_not_b32_e32 v5, v46
	v_ashrrev_i32_e32 v4, 31, v4
	v_xor_b32_e32 v168, s16, v168
	v_mul_u32_u24_e32 v2, 9, v2
	v_and_b32_e32 v3, v3, v45
	v_cmp_gt_i32_e64 s16, 0, v46
	v_ashrrev_i32_e32 v5, 31, v5
	v_xor_b32_e32 v4, vcc_lo, v4
	v_add_lshl_u32 v45, v2, v122, 2
	v_and_b32_e32 v3, v3, v168
	s_delay_alu instid0(VALU_DEP_4) | instskip(SKIP_3) | instid1(VALU_DEP_2)
	v_xor_b32_e32 v2, s16, v5
	ds_load_b32 v169, v45 offset:1056
	v_and_b32_e32 v3, v3, v4
	v_add_nc_u32_e32 v171, 0x420, v45
	; wave barrier
	v_and_b32_e32 v2, v3, v2
	s_delay_alu instid0(VALU_DEP_1) | instskip(SKIP_1) | instid1(VALU_DEP_2)
	v_mbcnt_lo_u32_b32 v170, v2, 0
	v_cmp_ne_u32_e64 s16, 0, v2
	v_cmp_eq_u32_e32 vcc_lo, 0, v170
	s_delay_alu instid0(VALU_DEP_2) | instskip(NEXT) | instid1(SALU_CYCLE_1)
	s_and_b32 s17, s16, vcc_lo
	s_and_saveexec_b32 s16, s17
	s_cbranch_execz .LBB919_430
; %bb.429:                              ;   in Loop: Header=BB919_392 Depth=2
	s_waitcnt lgkmcnt(0)
	v_bcnt_u32_b32 v2, v2, v169
	ds_store_b32 v171, v2
.LBB919_430:                            ;   in Loop: Header=BB919_392 Depth=2
	s_or_b32 exec_lo, exec_lo, s16
	v_xor_b32_e32 v168, 0x7fff7fff, v6
	; wave barrier
	s_delay_alu instid0(VALU_DEP_1) | instskip(NEXT) | instid1(VALU_DEP_1)
	v_and_b32_e32 v2, 0xffff, v168
	v_lshrrev_b32_e32 v2, s42, v2
	s_delay_alu instid0(VALU_DEP_1) | instskip(NEXT) | instid1(VALU_DEP_1)
	v_and_b32_e32 v2, s43, v2
	v_and_b32_e32 v3, 1, v2
	v_lshlrev_b32_e32 v4, 30, v2
	v_lshlrev_b32_e32 v5, 29, v2
	;; [unrolled: 1-line block ×4, first 2 shown]
	v_add_co_u32 v3, s16, v3, -1
	s_delay_alu instid0(VALU_DEP_1)
	v_cndmask_b32_e64 v45, 0, 1, s16
	v_not_b32_e32 v174, v4
	v_cmp_gt_i32_e64 s16, 0, v4
	v_not_b32_e32 v4, v5
	v_lshlrev_b32_e32 v172, 26, v2
	v_cmp_ne_u32_e32 vcc_lo, 0, v45
	v_ashrrev_i32_e32 v174, 31, v174
	v_lshlrev_b32_e32 v173, 25, v2
	v_ashrrev_i32_e32 v4, 31, v4
	v_lshlrev_b32_e32 v45, 24, v2
	v_xor_b32_e32 v3, vcc_lo, v3
	v_cmp_gt_i32_e32 vcc_lo, 0, v5
	v_not_b32_e32 v5, v6
	v_xor_b32_e32 v174, s16, v174
	v_cmp_gt_i32_e64 s16, 0, v6
	v_and_b32_e32 v3, exec_lo, v3
	v_not_b32_e32 v6, v46
	v_ashrrev_i32_e32 v5, 31, v5
	v_xor_b32_e32 v4, vcc_lo, v4
	v_cmp_gt_i32_e32 vcc_lo, 0, v46
	v_and_b32_e32 v3, v3, v174
	v_not_b32_e32 v46, v172
	v_ashrrev_i32_e32 v6, 31, v6
	v_xor_b32_e32 v5, s16, v5
	v_cmp_gt_i32_e64 s16, 0, v172
	v_and_b32_e32 v3, v3, v4
	v_not_b32_e32 v4, v173
	v_ashrrev_i32_e32 v46, 31, v46
	v_xor_b32_e32 v6, vcc_lo, v6
	v_cmp_gt_i32_e32 vcc_lo, 0, v173
	v_and_b32_e32 v3, v3, v5
	v_not_b32_e32 v5, v45
	v_ashrrev_i32_e32 v4, 31, v4
	v_xor_b32_e32 v46, s16, v46
	v_mul_u32_u24_e32 v2, 9, v2
	v_and_b32_e32 v3, v3, v6
	v_cmp_gt_i32_e64 s16, 0, v45
	v_ashrrev_i32_e32 v5, 31, v5
	v_xor_b32_e32 v4, vcc_lo, v4
	v_add_lshl_u32 v6, v2, v122, 2
	v_and_b32_e32 v3, v3, v46
	s_delay_alu instid0(VALU_DEP_4) | instskip(SKIP_3) | instid1(VALU_DEP_2)
	v_xor_b32_e32 v2, s16, v5
	ds_load_b32 v173, v6 offset:1056
	v_and_b32_e32 v3, v3, v4
	v_add_nc_u32_e32 v175, 0x420, v6
	; wave barrier
	v_and_b32_e32 v2, v3, v2
	s_delay_alu instid0(VALU_DEP_1) | instskip(SKIP_1) | instid1(VALU_DEP_2)
	v_mbcnt_lo_u32_b32 v174, v2, 0
	v_cmp_ne_u32_e64 s16, 0, v2
	v_cmp_eq_u32_e32 vcc_lo, 0, v174
	s_delay_alu instid0(VALU_DEP_2) | instskip(NEXT) | instid1(SALU_CYCLE_1)
	s_and_b32 s17, s16, vcc_lo
	s_and_saveexec_b32 s16, s17
	s_cbranch_execz .LBB919_432
; %bb.431:                              ;   in Loop: Header=BB919_392 Depth=2
	s_waitcnt lgkmcnt(0)
	v_bcnt_u32_b32 v2, v2, v173
	ds_store_b32 v175, v2
.LBB919_432:                            ;   in Loop: Header=BB919_392 Depth=2
	s_or_b32 exec_lo, exec_lo, s16
	v_lshrrev_b32_e32 v172, 16, v168
	; wave barrier
	s_delay_alu instid0(VALU_DEP_1) | instskip(NEXT) | instid1(VALU_DEP_1)
	v_lshrrev_b32_e32 v2, s42, v172
	v_and_b32_e32 v2, s43, v2
	s_delay_alu instid0(VALU_DEP_1)
	v_and_b32_e32 v3, 1, v2
	v_lshlrev_b32_e32 v4, 30, v2
	v_lshlrev_b32_e32 v5, 29, v2
	;; [unrolled: 1-line block ×4, first 2 shown]
	v_add_co_u32 v3, s16, v3, -1
	s_delay_alu instid0(VALU_DEP_1)
	v_cndmask_b32_e64 v45, 0, 1, s16
	v_not_b32_e32 v178, v4
	v_cmp_gt_i32_e64 s16, 0, v4
	v_not_b32_e32 v4, v5
	v_lshlrev_b32_e32 v176, 26, v2
	v_cmp_ne_u32_e32 vcc_lo, 0, v45
	v_ashrrev_i32_e32 v178, 31, v178
	v_lshlrev_b32_e32 v177, 25, v2
	v_ashrrev_i32_e32 v4, 31, v4
	v_lshlrev_b32_e32 v45, 24, v2
	v_xor_b32_e32 v3, vcc_lo, v3
	v_cmp_gt_i32_e32 vcc_lo, 0, v5
	v_not_b32_e32 v5, v6
	v_xor_b32_e32 v178, s16, v178
	v_cmp_gt_i32_e64 s16, 0, v6
	v_and_b32_e32 v3, exec_lo, v3
	v_not_b32_e32 v6, v46
	v_ashrrev_i32_e32 v5, 31, v5
	v_xor_b32_e32 v4, vcc_lo, v4
	v_cmp_gt_i32_e32 vcc_lo, 0, v46
	v_and_b32_e32 v3, v3, v178
	v_not_b32_e32 v46, v176
	v_ashrrev_i32_e32 v6, 31, v6
	v_xor_b32_e32 v5, s16, v5
	v_cmp_gt_i32_e64 s16, 0, v176
	v_and_b32_e32 v3, v3, v4
	v_not_b32_e32 v4, v177
	v_ashrrev_i32_e32 v46, 31, v46
	v_xor_b32_e32 v6, vcc_lo, v6
	v_cmp_gt_i32_e32 vcc_lo, 0, v177
	v_and_b32_e32 v3, v3, v5
	v_not_b32_e32 v5, v45
	v_ashrrev_i32_e32 v4, 31, v4
	v_xor_b32_e32 v46, s16, v46
	v_mul_u32_u24_e32 v2, 9, v2
	v_and_b32_e32 v3, v3, v6
	v_cmp_gt_i32_e64 s16, 0, v45
	v_ashrrev_i32_e32 v5, 31, v5
	v_xor_b32_e32 v4, vcc_lo, v4
	v_add_lshl_u32 v6, v2, v122, 2
	v_and_b32_e32 v3, v3, v46
	s_delay_alu instid0(VALU_DEP_4) | instskip(SKIP_3) | instid1(VALU_DEP_2)
	v_xor_b32_e32 v2, s16, v5
	ds_load_b32 v177, v6 offset:1056
	v_and_b32_e32 v3, v3, v4
	v_add_nc_u32_e32 v179, 0x420, v6
	; wave barrier
	v_and_b32_e32 v2, v3, v2
	s_delay_alu instid0(VALU_DEP_1) | instskip(SKIP_1) | instid1(VALU_DEP_2)
	v_mbcnt_lo_u32_b32 v178, v2, 0
	v_cmp_ne_u32_e64 s16, 0, v2
	v_cmp_eq_u32_e32 vcc_lo, 0, v178
	s_delay_alu instid0(VALU_DEP_2) | instskip(NEXT) | instid1(SALU_CYCLE_1)
	s_and_b32 s17, s16, vcc_lo
	s_and_saveexec_b32 s16, s17
	s_cbranch_execz .LBB919_434
; %bb.433:                              ;   in Loop: Header=BB919_392 Depth=2
	s_waitcnt lgkmcnt(0)
	v_bcnt_u32_b32 v2, v2, v177
	ds_store_b32 v179, v2
.LBB919_434:                            ;   in Loop: Header=BB919_392 Depth=2
	s_or_b32 exec_lo, exec_lo, s16
	v_xor_b32_e32 v176, 0x7fff7fff, v7
	; wave barrier
	s_delay_alu instid0(VALU_DEP_1) | instskip(NEXT) | instid1(VALU_DEP_1)
	v_and_b32_e32 v2, 0xffff, v176
	v_lshrrev_b32_e32 v2, s42, v2
	s_delay_alu instid0(VALU_DEP_1) | instskip(NEXT) | instid1(VALU_DEP_1)
	v_and_b32_e32 v2, s43, v2
	v_and_b32_e32 v3, 1, v2
	v_lshlrev_b32_e32 v4, 30, v2
	v_lshlrev_b32_e32 v5, 29, v2
	;; [unrolled: 1-line block ×4, first 2 shown]
	v_add_co_u32 v3, s16, v3, -1
	s_delay_alu instid0(VALU_DEP_1)
	v_cndmask_b32_e64 v7, 0, 1, s16
	v_not_b32_e32 v181, v4
	v_cmp_gt_i32_e64 s16, 0, v4
	v_not_b32_e32 v4, v5
	v_lshlrev_b32_e32 v46, 26, v2
	v_cmp_ne_u32_e32 vcc_lo, 0, v7
	v_ashrrev_i32_e32 v181, 31, v181
	v_lshlrev_b32_e32 v180, 25, v2
	v_ashrrev_i32_e32 v4, 31, v4
	v_lshlrev_b32_e32 v7, 24, v2
	v_xor_b32_e32 v3, vcc_lo, v3
	v_cmp_gt_i32_e32 vcc_lo, 0, v5
	v_not_b32_e32 v5, v6
	v_xor_b32_e32 v181, s16, v181
	v_cmp_gt_i32_e64 s16, 0, v6
	v_and_b32_e32 v3, exec_lo, v3
	v_not_b32_e32 v6, v45
	v_ashrrev_i32_e32 v5, 31, v5
	v_xor_b32_e32 v4, vcc_lo, v4
	v_cmp_gt_i32_e32 vcc_lo, 0, v45
	v_and_b32_e32 v3, v3, v181
	v_not_b32_e32 v45, v46
	v_ashrrev_i32_e32 v6, 31, v6
	v_xor_b32_e32 v5, s16, v5
	v_cmp_gt_i32_e64 s16, 0, v46
	v_and_b32_e32 v3, v3, v4
	v_not_b32_e32 v4, v180
	v_ashrrev_i32_e32 v45, 31, v45
	v_xor_b32_e32 v6, vcc_lo, v6
	v_cmp_gt_i32_e32 vcc_lo, 0, v180
	v_and_b32_e32 v3, v3, v5
	v_not_b32_e32 v5, v7
	v_ashrrev_i32_e32 v4, 31, v4
	v_xor_b32_e32 v45, s16, v45
	v_mul_u32_u24_e32 v2, 9, v2
	v_and_b32_e32 v3, v3, v6
	v_cmp_gt_i32_e64 s16, 0, v7
	v_ashrrev_i32_e32 v5, 31, v5
	v_xor_b32_e32 v4, vcc_lo, v4
	v_add_lshl_u32 v6, v2, v122, 2
	v_and_b32_e32 v3, v3, v45
	s_delay_alu instid0(VALU_DEP_4) | instskip(SKIP_3) | instid1(VALU_DEP_2)
	v_xor_b32_e32 v2, s16, v5
	ds_load_b32 v181, v6 offset:1056
	v_and_b32_e32 v3, v3, v4
	v_add_nc_u32_e32 v183, 0x420, v6
	; wave barrier
	v_and_b32_e32 v2, v3, v2
	s_delay_alu instid0(VALU_DEP_1) | instskip(SKIP_1) | instid1(VALU_DEP_2)
	v_mbcnt_lo_u32_b32 v182, v2, 0
	v_cmp_ne_u32_e64 s16, 0, v2
	v_cmp_eq_u32_e32 vcc_lo, 0, v182
	s_delay_alu instid0(VALU_DEP_2) | instskip(NEXT) | instid1(SALU_CYCLE_1)
	s_and_b32 s17, s16, vcc_lo
	s_and_saveexec_b32 s16, s17
	s_cbranch_execz .LBB919_436
; %bb.435:                              ;   in Loop: Header=BB919_392 Depth=2
	s_waitcnt lgkmcnt(0)
	v_bcnt_u32_b32 v2, v2, v181
	ds_store_b32 v183, v2
.LBB919_436:                            ;   in Loop: Header=BB919_392 Depth=2
	s_or_b32 exec_lo, exec_lo, s16
	v_lshrrev_b32_e32 v180, 16, v176
	; wave barrier
	s_delay_alu instid0(VALU_DEP_1) | instskip(NEXT) | instid1(VALU_DEP_1)
	v_lshrrev_b32_e32 v2, s42, v180
	v_and_b32_e32 v2, s43, v2
	s_delay_alu instid0(VALU_DEP_1)
	v_and_b32_e32 v3, 1, v2
	v_lshlrev_b32_e32 v4, 30, v2
	v_lshlrev_b32_e32 v5, 29, v2
	;; [unrolled: 1-line block ×4, first 2 shown]
	v_add_co_u32 v3, s16, v3, -1
	s_delay_alu instid0(VALU_DEP_1)
	v_cndmask_b32_e64 v7, 0, 1, s16
	v_not_b32_e32 v185, v4
	v_cmp_gt_i32_e64 s16, 0, v4
	v_not_b32_e32 v4, v5
	v_lshlrev_b32_e32 v46, 26, v2
	v_cmp_ne_u32_e32 vcc_lo, 0, v7
	v_ashrrev_i32_e32 v185, 31, v185
	v_lshlrev_b32_e32 v184, 25, v2
	v_ashrrev_i32_e32 v4, 31, v4
	v_lshlrev_b32_e32 v7, 24, v2
	v_xor_b32_e32 v3, vcc_lo, v3
	v_cmp_gt_i32_e32 vcc_lo, 0, v5
	v_not_b32_e32 v5, v6
	v_xor_b32_e32 v185, s16, v185
	v_cmp_gt_i32_e64 s16, 0, v6
	v_and_b32_e32 v3, exec_lo, v3
	v_not_b32_e32 v6, v45
	v_ashrrev_i32_e32 v5, 31, v5
	v_xor_b32_e32 v4, vcc_lo, v4
	v_cmp_gt_i32_e32 vcc_lo, 0, v45
	v_and_b32_e32 v3, v3, v185
	v_not_b32_e32 v45, v46
	v_ashrrev_i32_e32 v6, 31, v6
	v_xor_b32_e32 v5, s16, v5
	v_cmp_gt_i32_e64 s16, 0, v46
	v_and_b32_e32 v3, v3, v4
	v_not_b32_e32 v4, v184
	v_ashrrev_i32_e32 v45, 31, v45
	v_xor_b32_e32 v6, vcc_lo, v6
	v_cmp_gt_i32_e32 vcc_lo, 0, v184
	v_and_b32_e32 v3, v3, v5
	v_not_b32_e32 v5, v7
	v_ashrrev_i32_e32 v4, 31, v4
	v_xor_b32_e32 v45, s16, v45
	v_mul_u32_u24_e32 v2, 9, v2
	v_and_b32_e32 v3, v3, v6
	v_cmp_gt_i32_e64 s16, 0, v7
	v_ashrrev_i32_e32 v5, 31, v5
	v_xor_b32_e32 v4, vcc_lo, v4
	v_add_lshl_u32 v6, v2, v122, 2
	v_and_b32_e32 v3, v3, v45
	s_delay_alu instid0(VALU_DEP_4) | instskip(SKIP_3) | instid1(VALU_DEP_2)
	v_xor_b32_e32 v2, s16, v5
	ds_load_b32 v185, v6 offset:1056
	v_and_b32_e32 v3, v3, v4
	v_add_nc_u32_e32 v187, 0x420, v6
	; wave barrier
	v_and_b32_e32 v2, v3, v2
	s_delay_alu instid0(VALU_DEP_1) | instskip(SKIP_1) | instid1(VALU_DEP_2)
	v_mbcnt_lo_u32_b32 v186, v2, 0
	v_cmp_ne_u32_e64 s16, 0, v2
	v_cmp_eq_u32_e32 vcc_lo, 0, v186
	s_delay_alu instid0(VALU_DEP_2) | instskip(NEXT) | instid1(SALU_CYCLE_1)
	s_and_b32 s17, s16, vcc_lo
	s_and_saveexec_b32 s16, s17
	s_cbranch_execz .LBB919_438
; %bb.437:                              ;   in Loop: Header=BB919_392 Depth=2
	s_waitcnt lgkmcnt(0)
	v_bcnt_u32_b32 v2, v2, v185
	ds_store_b32 v187, v2
.LBB919_438:                            ;   in Loop: Header=BB919_392 Depth=2
	s_or_b32 exec_lo, exec_lo, s16
	v_xor_b32_e32 v184, 0x7fff7fff, v8
	; wave barrier
	s_delay_alu instid0(VALU_DEP_1) | instskip(NEXT) | instid1(VALU_DEP_1)
	v_and_b32_e32 v2, 0xffff, v184
	v_lshrrev_b32_e32 v2, s42, v2
	s_delay_alu instid0(VALU_DEP_1) | instskip(NEXT) | instid1(VALU_DEP_1)
	v_and_b32_e32 v2, s43, v2
	v_and_b32_e32 v3, 1, v2
	v_lshlrev_b32_e32 v4, 30, v2
	v_lshlrev_b32_e32 v5, 29, v2
	;; [unrolled: 1-line block ×4, first 2 shown]
	v_add_co_u32 v3, s16, v3, -1
	s_delay_alu instid0(VALU_DEP_1)
	v_cndmask_b32_e64 v7, 0, 1, s16
	v_not_b32_e32 v188, v4
	v_cmp_gt_i32_e64 s16, 0, v4
	v_not_b32_e32 v4, v5
	v_lshlrev_b32_e32 v45, 26, v2
	v_cmp_ne_u32_e32 vcc_lo, 0, v7
	v_ashrrev_i32_e32 v188, 31, v188
	v_lshlrev_b32_e32 v46, 25, v2
	v_ashrrev_i32_e32 v4, 31, v4
	v_lshlrev_b32_e32 v7, 24, v2
	v_xor_b32_e32 v3, vcc_lo, v3
	v_cmp_gt_i32_e32 vcc_lo, 0, v5
	v_not_b32_e32 v5, v6
	v_xor_b32_e32 v188, s16, v188
	v_cmp_gt_i32_e64 s16, 0, v6
	v_and_b32_e32 v3, exec_lo, v3
	v_not_b32_e32 v6, v8
	v_ashrrev_i32_e32 v5, 31, v5
	v_xor_b32_e32 v4, vcc_lo, v4
	v_cmp_gt_i32_e32 vcc_lo, 0, v8
	v_and_b32_e32 v3, v3, v188
	v_not_b32_e32 v8, v45
	v_ashrrev_i32_e32 v6, 31, v6
	v_xor_b32_e32 v5, s16, v5
	v_cmp_gt_i32_e64 s16, 0, v45
	v_and_b32_e32 v3, v3, v4
	v_not_b32_e32 v4, v46
	v_ashrrev_i32_e32 v8, 31, v8
	v_xor_b32_e32 v6, vcc_lo, v6
	v_cmp_gt_i32_e32 vcc_lo, 0, v46
	v_and_b32_e32 v3, v3, v5
	v_not_b32_e32 v5, v7
	v_ashrrev_i32_e32 v4, 31, v4
	v_xor_b32_e32 v8, s16, v8
	v_mul_u32_u24_e32 v2, 9, v2
	v_and_b32_e32 v3, v3, v6
	v_cmp_gt_i32_e64 s16, 0, v7
	v_ashrrev_i32_e32 v5, 31, v5
	v_xor_b32_e32 v4, vcc_lo, v4
	v_add_lshl_u32 v6, v2, v122, 2
	v_and_b32_e32 v3, v3, v8
	s_delay_alu instid0(VALU_DEP_4) | instskip(SKIP_3) | instid1(VALU_DEP_2)
	v_xor_b32_e32 v2, s16, v5
	ds_load_b32 v8, v6 offset:1056
	v_and_b32_e32 v3, v3, v4
	v_add_nc_u32_e32 v190, 0x420, v6
	; wave barrier
	v_and_b32_e32 v2, v3, v2
	s_delay_alu instid0(VALU_DEP_1) | instskip(SKIP_1) | instid1(VALU_DEP_2)
	v_mbcnt_lo_u32_b32 v189, v2, 0
	v_cmp_ne_u32_e64 s16, 0, v2
	v_cmp_eq_u32_e32 vcc_lo, 0, v189
	s_delay_alu instid0(VALU_DEP_2) | instskip(NEXT) | instid1(SALU_CYCLE_1)
	s_and_b32 s17, s16, vcc_lo
	s_and_saveexec_b32 s16, s17
	s_cbranch_execz .LBB919_440
; %bb.439:                              ;   in Loop: Header=BB919_392 Depth=2
	s_waitcnt lgkmcnt(0)
	v_bcnt_u32_b32 v2, v2, v8
	ds_store_b32 v190, v2
.LBB919_440:                            ;   in Loop: Header=BB919_392 Depth=2
	s_or_b32 exec_lo, exec_lo, s16
	v_lshrrev_b32_e32 v188, 16, v184
	; wave barrier
	s_delay_alu instid0(VALU_DEP_1) | instskip(NEXT) | instid1(VALU_DEP_1)
	v_lshrrev_b32_e32 v2, s42, v188
	v_and_b32_e32 v2, s43, v2
	s_delay_alu instid0(VALU_DEP_1)
	v_and_b32_e32 v3, 1, v2
	v_lshlrev_b32_e32 v4, 30, v2
	v_lshlrev_b32_e32 v5, 29, v2
	;; [unrolled: 1-line block ×4, first 2 shown]
	v_add_co_u32 v3, s16, v3, -1
	s_delay_alu instid0(VALU_DEP_1)
	v_cndmask_b32_e64 v7, 0, 1, s16
	v_not_b32_e32 v192, v4
	v_cmp_gt_i32_e64 s16, 0, v4
	v_not_b32_e32 v4, v5
	v_lshlrev_b32_e32 v46, 26, v2
	v_cmp_ne_u32_e32 vcc_lo, 0, v7
	v_ashrrev_i32_e32 v192, 31, v192
	v_lshlrev_b32_e32 v191, 25, v2
	v_ashrrev_i32_e32 v4, 31, v4
	v_lshlrev_b32_e32 v7, 24, v2
	v_xor_b32_e32 v3, vcc_lo, v3
	v_cmp_gt_i32_e32 vcc_lo, 0, v5
	v_not_b32_e32 v5, v6
	v_xor_b32_e32 v192, s16, v192
	v_cmp_gt_i32_e64 s16, 0, v6
	v_and_b32_e32 v3, exec_lo, v3
	v_not_b32_e32 v6, v45
	v_ashrrev_i32_e32 v5, 31, v5
	v_xor_b32_e32 v4, vcc_lo, v4
	v_cmp_gt_i32_e32 vcc_lo, 0, v45
	v_and_b32_e32 v3, v3, v192
	v_not_b32_e32 v45, v46
	v_ashrrev_i32_e32 v6, 31, v6
	v_xor_b32_e32 v5, s16, v5
	v_cmp_gt_i32_e64 s16, 0, v46
	v_and_b32_e32 v3, v3, v4
	v_not_b32_e32 v4, v191
	v_ashrrev_i32_e32 v45, 31, v45
	v_xor_b32_e32 v6, vcc_lo, v6
	v_cmp_gt_i32_e32 vcc_lo, 0, v191
	v_and_b32_e32 v3, v3, v5
	v_not_b32_e32 v5, v7
	v_ashrrev_i32_e32 v4, 31, v4
	v_xor_b32_e32 v45, s16, v45
	v_mul_u32_u24_e32 v2, 9, v2
	v_and_b32_e32 v3, v3, v6
	v_cmp_gt_i32_e64 s16, 0, v7
	v_ashrrev_i32_e32 v5, 31, v5
	v_xor_b32_e32 v4, vcc_lo, v4
	v_add_lshl_u32 v6, v2, v122, 2
	v_and_b32_e32 v3, v3, v45
	s_delay_alu instid0(VALU_DEP_4) | instskip(SKIP_3) | instid1(VALU_DEP_2)
	v_xor_b32_e32 v2, s16, v5
	ds_load_b32 v191, v6 offset:1056
	v_and_b32_e32 v3, v3, v4
	v_add_nc_u32_e32 v193, 0x420, v6
	; wave barrier
	v_and_b32_e32 v2, v3, v2
	s_delay_alu instid0(VALU_DEP_1) | instskip(SKIP_1) | instid1(VALU_DEP_2)
	v_mbcnt_lo_u32_b32 v192, v2, 0
	v_cmp_ne_u32_e64 s16, 0, v2
	v_cmp_eq_u32_e32 vcc_lo, 0, v192
	s_delay_alu instid0(VALU_DEP_2) | instskip(NEXT) | instid1(SALU_CYCLE_1)
	s_and_b32 s17, s16, vcc_lo
	s_and_saveexec_b32 s16, s17
	s_cbranch_execz .LBB919_442
; %bb.441:                              ;   in Loop: Header=BB919_392 Depth=2
	s_waitcnt lgkmcnt(0)
	v_bcnt_u32_b32 v2, v2, v191
	ds_store_b32 v193, v2
.LBB919_442:                            ;   in Loop: Header=BB919_392 Depth=2
	s_or_b32 exec_lo, exec_lo, s16
	v_xor_b32_e32 v9, 0x7fff7fff, v9
	; wave barrier
	s_delay_alu instid0(VALU_DEP_1) | instskip(NEXT) | instid1(VALU_DEP_1)
	v_and_b32_e32 v2, 0xffff, v9
	v_lshrrev_b32_e32 v2, s42, v2
	s_delay_alu instid0(VALU_DEP_1) | instskip(NEXT) | instid1(VALU_DEP_1)
	v_and_b32_e32 v2, s43, v2
	v_and_b32_e32 v3, 1, v2
	v_lshlrev_b32_e32 v4, 30, v2
	v_lshlrev_b32_e32 v5, 29, v2
	;; [unrolled: 1-line block ×4, first 2 shown]
	v_add_co_u32 v3, s16, v3, -1
	s_delay_alu instid0(VALU_DEP_1)
	v_cndmask_b32_e64 v7, 0, 1, s16
	v_not_b32_e32 v195, v4
	v_cmp_gt_i32_e64 s16, 0, v4
	v_not_b32_e32 v4, v5
	v_lshlrev_b32_e32 v46, 26, v2
	v_cmp_ne_u32_e32 vcc_lo, 0, v7
	v_ashrrev_i32_e32 v195, 31, v195
	v_lshlrev_b32_e32 v194, 25, v2
	v_ashrrev_i32_e32 v4, 31, v4
	v_lshlrev_b32_e32 v7, 24, v2
	v_xor_b32_e32 v3, vcc_lo, v3
	v_cmp_gt_i32_e32 vcc_lo, 0, v5
	v_not_b32_e32 v5, v6
	v_xor_b32_e32 v195, s16, v195
	v_cmp_gt_i32_e64 s16, 0, v6
	v_and_b32_e32 v3, exec_lo, v3
	v_not_b32_e32 v6, v45
	v_ashrrev_i32_e32 v5, 31, v5
	v_xor_b32_e32 v4, vcc_lo, v4
	v_cmp_gt_i32_e32 vcc_lo, 0, v45
	v_and_b32_e32 v3, v3, v195
	v_not_b32_e32 v45, v46
	v_ashrrev_i32_e32 v6, 31, v6
	v_xor_b32_e32 v5, s16, v5
	v_cmp_gt_i32_e64 s16, 0, v46
	v_and_b32_e32 v3, v3, v4
	v_not_b32_e32 v4, v194
	v_ashrrev_i32_e32 v45, 31, v45
	v_xor_b32_e32 v6, vcc_lo, v6
	v_cmp_gt_i32_e32 vcc_lo, 0, v194
	v_and_b32_e32 v3, v3, v5
	v_not_b32_e32 v5, v7
	v_ashrrev_i32_e32 v4, 31, v4
	v_xor_b32_e32 v45, s16, v45
	v_mul_u32_u24_e32 v2, 9, v2
	v_and_b32_e32 v3, v3, v6
	v_cmp_gt_i32_e64 s16, 0, v7
	v_ashrrev_i32_e32 v5, 31, v5
	v_xor_b32_e32 v4, vcc_lo, v4
	v_add_lshl_u32 v6, v2, v122, 2
	v_and_b32_e32 v3, v3, v45
	s_delay_alu instid0(VALU_DEP_4) | instskip(SKIP_3) | instid1(VALU_DEP_2)
	v_xor_b32_e32 v2, s16, v5
	ds_load_b32 v195, v6 offset:1056
	v_and_b32_e32 v3, v3, v4
	v_add_nc_u32_e32 v197, 0x420, v6
	; wave barrier
	v_and_b32_e32 v2, v3, v2
	s_delay_alu instid0(VALU_DEP_1) | instskip(SKIP_1) | instid1(VALU_DEP_2)
	v_mbcnt_lo_u32_b32 v196, v2, 0
	v_cmp_ne_u32_e64 s16, 0, v2
	v_cmp_eq_u32_e32 vcc_lo, 0, v196
	s_delay_alu instid0(VALU_DEP_2) | instskip(NEXT) | instid1(SALU_CYCLE_1)
	s_and_b32 s17, s16, vcc_lo
	s_and_saveexec_b32 s16, s17
	s_cbranch_execz .LBB919_444
; %bb.443:                              ;   in Loop: Header=BB919_392 Depth=2
	s_waitcnt lgkmcnt(0)
	v_bcnt_u32_b32 v2, v2, v195
	ds_store_b32 v197, v2
.LBB919_444:                            ;   in Loop: Header=BB919_392 Depth=2
	s_or_b32 exec_lo, exec_lo, s16
	v_lshrrev_b32_e32 v194, 16, v9
	; wave barrier
	s_delay_alu instid0(VALU_DEP_1) | instskip(NEXT) | instid1(VALU_DEP_1)
	v_lshrrev_b32_e32 v2, s42, v194
	v_and_b32_e32 v2, s43, v2
	s_delay_alu instid0(VALU_DEP_1)
	v_and_b32_e32 v3, 1, v2
	v_lshlrev_b32_e32 v4, 30, v2
	v_lshlrev_b32_e32 v5, 29, v2
	;; [unrolled: 1-line block ×4, first 2 shown]
	v_add_co_u32 v3, s16, v3, -1
	s_delay_alu instid0(VALU_DEP_1)
	v_cndmask_b32_e64 v7, 0, 1, s16
	v_not_b32_e32 v199, v4
	v_cmp_gt_i32_e64 s16, 0, v4
	v_not_b32_e32 v4, v5
	v_lshlrev_b32_e32 v46, 26, v2
	v_cmp_ne_u32_e32 vcc_lo, 0, v7
	v_ashrrev_i32_e32 v199, 31, v199
	v_lshlrev_b32_e32 v198, 25, v2
	v_ashrrev_i32_e32 v4, 31, v4
	v_lshlrev_b32_e32 v7, 24, v2
	v_xor_b32_e32 v3, vcc_lo, v3
	v_cmp_gt_i32_e32 vcc_lo, 0, v5
	v_not_b32_e32 v5, v6
	v_xor_b32_e32 v199, s16, v199
	v_cmp_gt_i32_e64 s16, 0, v6
	v_and_b32_e32 v3, exec_lo, v3
	v_not_b32_e32 v6, v45
	v_ashrrev_i32_e32 v5, 31, v5
	v_xor_b32_e32 v4, vcc_lo, v4
	v_cmp_gt_i32_e32 vcc_lo, 0, v45
	v_and_b32_e32 v3, v3, v199
	v_not_b32_e32 v45, v46
	v_ashrrev_i32_e32 v6, 31, v6
	v_xor_b32_e32 v5, s16, v5
	v_cmp_gt_i32_e64 s16, 0, v46
	v_and_b32_e32 v3, v3, v4
	v_not_b32_e32 v4, v198
	v_ashrrev_i32_e32 v45, 31, v45
	v_xor_b32_e32 v6, vcc_lo, v6
	v_cmp_gt_i32_e32 vcc_lo, 0, v198
	v_and_b32_e32 v3, v3, v5
	v_not_b32_e32 v5, v7
	v_ashrrev_i32_e32 v4, 31, v4
	v_xor_b32_e32 v45, s16, v45
	v_mul_u32_u24_e32 v2, 9, v2
	v_and_b32_e32 v3, v3, v6
	v_cmp_gt_i32_e64 s16, 0, v7
	v_ashrrev_i32_e32 v5, 31, v5
	v_xor_b32_e32 v4, vcc_lo, v4
	v_add_lshl_u32 v6, v2, v122, 2
	v_and_b32_e32 v3, v3, v45
	s_delay_alu instid0(VALU_DEP_4) | instskip(SKIP_3) | instid1(VALU_DEP_2)
	v_xor_b32_e32 v2, s16, v5
	ds_load_b32 v198, v6 offset:1056
	v_and_b32_e32 v3, v3, v4
	v_add_nc_u32_e32 v200, 0x420, v6
	; wave barrier
	v_and_b32_e32 v2, v3, v2
	s_delay_alu instid0(VALU_DEP_1) | instskip(SKIP_1) | instid1(VALU_DEP_2)
	v_mbcnt_lo_u32_b32 v199, v2, 0
	v_cmp_ne_u32_e64 s16, 0, v2
	v_cmp_eq_u32_e32 vcc_lo, 0, v199
	s_delay_alu instid0(VALU_DEP_2) | instskip(NEXT) | instid1(SALU_CYCLE_1)
	s_and_b32 s17, s16, vcc_lo
	s_and_saveexec_b32 s16, s17
	s_cbranch_execz .LBB919_446
; %bb.445:                              ;   in Loop: Header=BB919_392 Depth=2
	s_waitcnt lgkmcnt(0)
	v_bcnt_u32_b32 v2, v2, v198
	ds_store_b32 v200, v2
.LBB919_446:                            ;   in Loop: Header=BB919_392 Depth=2
	s_or_b32 exec_lo, exec_lo, s16
	; wave barrier
	s_waitcnt lgkmcnt(0)
	s_barrier
	buffer_gl0_inv
	ds_load_b32 v201, v73 offset:1056
	ds_load_2addr_b32 v[45:46], v75 offset0:1 offset1:2
	ds_load_2addr_b32 v[6:7], v75 offset0:3 offset1:4
	ds_load_2addr_b32 v[2:3], v75 offset0:5 offset1:6
	ds_load_2addr_b32 v[4:5], v75 offset0:7 offset1:8
	s_waitcnt lgkmcnt(3)
	v_add3_u32 v202, v45, v201, v46
	s_waitcnt lgkmcnt(2)
	s_delay_alu instid0(VALU_DEP_1) | instskip(SKIP_1) | instid1(VALU_DEP_1)
	v_add3_u32 v202, v202, v6, v7
	s_waitcnt lgkmcnt(1)
	v_add3_u32 v202, v202, v2, v3
	s_waitcnt lgkmcnt(0)
	s_delay_alu instid0(VALU_DEP_1) | instskip(NEXT) | instid1(VALU_DEP_1)
	v_add3_u32 v5, v202, v4, v5
	v_mov_b32_dpp v202, v5 row_shr:1 row_mask:0xf bank_mask:0xf
	s_delay_alu instid0(VALU_DEP_1) | instskip(NEXT) | instid1(VALU_DEP_1)
	v_cndmask_b32_e64 v202, v202, 0, s1
	v_add_nc_u32_e32 v5, v202, v5
	s_delay_alu instid0(VALU_DEP_1) | instskip(NEXT) | instid1(VALU_DEP_1)
	v_mov_b32_dpp v202, v5 row_shr:2 row_mask:0xf bank_mask:0xf
	v_cndmask_b32_e64 v202, 0, v202, s7
	s_delay_alu instid0(VALU_DEP_1) | instskip(NEXT) | instid1(VALU_DEP_1)
	v_add_nc_u32_e32 v5, v5, v202
	v_mov_b32_dpp v202, v5 row_shr:4 row_mask:0xf bank_mask:0xf
	s_delay_alu instid0(VALU_DEP_1) | instskip(NEXT) | instid1(VALU_DEP_1)
	v_cndmask_b32_e64 v202, 0, v202, s8
	v_add_nc_u32_e32 v5, v5, v202
	s_delay_alu instid0(VALU_DEP_1) | instskip(NEXT) | instid1(VALU_DEP_1)
	v_mov_b32_dpp v202, v5 row_shr:8 row_mask:0xf bank_mask:0xf
	v_cndmask_b32_e64 v202, 0, v202, s9
	s_delay_alu instid0(VALU_DEP_1) | instskip(SKIP_3) | instid1(VALU_DEP_1)
	v_add_nc_u32_e32 v5, v5, v202
	ds_swizzle_b32 v202, v5 offset:swizzle(BROADCAST,32,15)
	s_waitcnt lgkmcnt(0)
	v_cndmask_b32_e64 v202, v202, 0, s10
	v_add_nc_u32_e32 v5, v5, v202
	s_and_saveexec_b32 s16, s3
	s_cbranch_execz .LBB919_448
; %bb.447:                              ;   in Loop: Header=BB919_392 Depth=2
	ds_store_b32 v65, v5 offset:1024
.LBB919_448:                            ;   in Loop: Header=BB919_392 Depth=2
	s_or_b32 exec_lo, exec_lo, s16
	s_waitcnt lgkmcnt(0)
	s_barrier
	buffer_gl0_inv
	s_and_saveexec_b32 s16, s4
	s_cbranch_execz .LBB919_450
; %bb.449:                              ;   in Loop: Header=BB919_392 Depth=2
	ds_load_b32 v202, v76 offset:1024
	s_waitcnt lgkmcnt(0)
	v_mov_b32_dpp v203, v202 row_shr:1 row_mask:0xf bank_mask:0xf
	s_delay_alu instid0(VALU_DEP_1) | instskip(NEXT) | instid1(VALU_DEP_1)
	v_cndmask_b32_e64 v203, v203, 0, s12
	v_add_nc_u32_e32 v202, v203, v202
	s_delay_alu instid0(VALU_DEP_1) | instskip(NEXT) | instid1(VALU_DEP_1)
	v_mov_b32_dpp v203, v202 row_shr:2 row_mask:0xf bank_mask:0xf
	v_cndmask_b32_e64 v203, 0, v203, s13
	s_delay_alu instid0(VALU_DEP_1) | instskip(NEXT) | instid1(VALU_DEP_1)
	v_add_nc_u32_e32 v202, v202, v203
	v_mov_b32_dpp v203, v202 row_shr:4 row_mask:0xf bank_mask:0xf
	s_delay_alu instid0(VALU_DEP_1) | instskip(NEXT) | instid1(VALU_DEP_1)
	v_cndmask_b32_e64 v203, 0, v203, s14
	v_add_nc_u32_e32 v202, v202, v203
	ds_store_b32 v76, v202 offset:1024
.LBB919_450:                            ;   in Loop: Header=BB919_392 Depth=2
	s_or_b32 exec_lo, exec_lo, s16
	v_mov_b32_e32 v202, 0
	s_waitcnt lgkmcnt(0)
	s_barrier
	buffer_gl0_inv
	s_and_saveexec_b32 s16, s5
	s_cbranch_execz .LBB919_452
; %bb.451:                              ;   in Loop: Header=BB919_392 Depth=2
	ds_load_b32 v202, v65 offset:1020
.LBB919_452:                            ;   in Loop: Header=BB919_392 Depth=2
	s_or_b32 exec_lo, exec_lo, s16
	s_waitcnt lgkmcnt(0)
	v_add_nc_u32_e32 v5, v202, v5
	ds_bpermute_b32 v5, v101, v5
	s_waitcnt lgkmcnt(0)
	v_cndmask_b32_e64 v5, v5, v202, s11
	s_delay_alu instid0(VALU_DEP_1) | instskip(NEXT) | instid1(VALU_DEP_1)
	v_cndmask_b32_e64 v5, v5, 0, s0
	v_add_nc_u32_e32 v201, v5, v201
	s_delay_alu instid0(VALU_DEP_1) | instskip(NEXT) | instid1(VALU_DEP_1)
	v_add_nc_u32_e32 v45, v201, v45
	v_add_nc_u32_e32 v46, v45, v46
	s_delay_alu instid0(VALU_DEP_1) | instskip(NEXT) | instid1(VALU_DEP_1)
	v_add_nc_u32_e32 v6, v46, v6
	;; [unrolled: 3-line block ×3, first 2 shown]
	v_add_nc_u32_e32 v3, v2, v3
	s_delay_alu instid0(VALU_DEP_1)
	v_add_nc_u32_e32 v4, v3, v4
	ds_store_b32 v73, v5 offset:1056
	ds_store_2addr_b32 v75, v201, v45 offset0:1 offset1:2
	ds_store_2addr_b32 v75, v46, v6 offset0:3 offset1:4
	;; [unrolled: 1-line block ×4, first 2 shown]
	v_mov_b32_e32 v4, 0x1000
	s_waitcnt lgkmcnt(0)
	s_barrier
	buffer_gl0_inv
	ds_load_b32 v5, v147
	ds_load_b32 v6, v151
	;; [unrolled: 1-line block ×16, first 2 shown]
	ds_load_b32 v151, v73 offset:1056
	s_and_saveexec_b32 s16, s6
	s_cbranch_execz .LBB919_454
; %bb.453:                              ;   in Loop: Header=BB919_392 Depth=2
	ds_load_b32 v4, v77 offset:1056
.LBB919_454:                            ;   in Loop: Header=BB919_392 Depth=2
	s_or_b32 exec_lo, exec_lo, s16
	s_waitcnt lgkmcnt(0)
	s_barrier
	buffer_gl0_inv
	s_and_saveexec_b32 s16, s2
	s_cbranch_execz .LBB919_456
; %bb.455:                              ;   in Loop: Header=BB919_392 Depth=2
	ds_load_b32 v155, v47
	s_waitcnt lgkmcnt(0)
	v_sub_nc_u32_e32 v151, v155, v151
	ds_store_b32 v47, v151
.LBB919_456:                            ;   in Loop: Header=BB919_392 Depth=2
	s_or_b32 exec_lo, exec_lo, s16
	v_add_nc_u32_e32 v159, v143, v141
	v_add3_u32 v155, v146, v145, v5
	v_add3_u32 v151, v150, v149, v6
	;; [unrolled: 1-line block ×4, first 2 shown]
	v_lshlrev_b32_e32 v153, 1, v159
	v_add3_u32 v45, v192, v191, v2
	v_lshlrev_b32_e32 v2, 1, v155
	v_add3_u32 v149, v158, v157, v46
	v_add3_u32 v146, v166, v165, v163
	;; [unrolled: 1-line block ×5, first 2 shown]
	ds_store_b16 v153, v19 offset:1024
	v_lshlrev_b32_e32 v3, 1, v151
	ds_store_b16 v2, v142 offset:1024
	v_lshlrev_b32_e32 v2, 1, v147
	v_add3_u32 v143, v174, v173, v171
	v_lshlrev_b32_e32 v19, 1, v150
	v_add3_u32 v141, v178, v177, v175
	;; [unrolled: 2-line block ×3, first 2 shown]
	v_add3_u32 v6, v186, v185, v183
	ds_store_b16 v3, v144 offset:1024
	ds_store_b16 v19, v148 offset:1024
	;; [unrolled: 1-line block ×3, first 2 shown]
	v_lshlrev_b32_e32 v3, 1, v146
	ds_store_b16 v2, v156 offset:1024
	v_lshlrev_b32_e32 v2, 1, v145
	v_lshlrev_b32_e32 v19, 1, v143
	;; [unrolled: 1-line block ×3, first 2 shown]
	v_add3_u32 v7, v199, v198, v7
	ds_store_b16 v3, v160 offset:1024
	v_lshlrev_b32_e32 v3, 1, v46
	ds_store_b16 v2, v164 offset:1024
	ds_store_b16 v19, v168 offset:1024
	;; [unrolled: 1-line block ×3, first 2 shown]
	v_lshlrev_b32_e32 v2, 1, v6
	v_cmp_lt_u32_e32 vcc_lo, v18, v0
	v_lshlrev_b32_e32 v19, 1, v45
	ds_store_b16 v3, v176 offset:1024
	v_lshlrev_b32_e32 v3, 1, v5
	ds_store_b16 v2, v180 offset:1024
	v_lshlrev_b32_e32 v2, 1, v7
	v_lshlrev_b32_e32 v142, 1, v8
	ds_store_b16 v3, v184 offset:1024
	ds_store_b16 v19, v188 offset:1024
	;; [unrolled: 1-line block ×4, first 2 shown]
	s_waitcnt lgkmcnt(0)
	s_barrier
	buffer_gl0_inv
	s_and_saveexec_b32 s17, vcc_lo
	s_cbranch_execz .LBB919_472
; %bb.457:                              ;   in Loop: Header=BB919_392 Depth=2
	v_add_nc_u32_e32 v2, v76, v82
	ds_load_u16 v142, v2 offset:1024
	s_waitcnt lgkmcnt(0)
	v_and_b32_e32 v2, 0xffff, v142
	s_delay_alu instid0(VALU_DEP_1) | instskip(NEXT) | instid1(VALU_DEP_1)
	v_lshrrev_b32_e32 v2, s42, v2
	v_and_b32_e32 v2, s43, v2
	s_delay_alu instid0(VALU_DEP_1) | instskip(SKIP_3) | instid1(VALU_DEP_1)
	v_lshlrev_b32_e32 v2, 2, v2
	ds_load_b32 v2, v2
	s_waitcnt lgkmcnt(0)
	v_add_nc_u32_e32 v19, v2, v18
	v_lshlrev_b64 v[2:3], 1, v[19:20]
	v_xor_b32_e32 v19, 0x7fff, v142
	s_delay_alu instid0(VALU_DEP_2) | instskip(NEXT) | instid1(VALU_DEP_1)
	v_add_co_u32 v2, s16, s40, v2
	v_add_co_ci_u32_e64 v3, s16, s41, v3, s16
	global_store_b16 v[2:3], v19, off
	s_or_b32 exec_lo, exec_lo, s17
	v_cmp_lt_u32_e64 s16, v48, v0
	s_delay_alu instid0(VALU_DEP_1)
	s_and_saveexec_b32 s18, s16
	s_cbranch_execnz .LBB919_473
.LBB919_458:                            ;   in Loop: Header=BB919_392 Depth=2
	s_or_b32 exec_lo, exec_lo, s18
	v_cmp_lt_u32_e64 s17, v49, v0
	s_delay_alu instid0(VALU_DEP_1)
	s_and_saveexec_b32 s19, s17
	s_cbranch_execz .LBB919_474
.LBB919_459:                            ;   in Loop: Header=BB919_392 Depth=2
	ds_load_u16 v142, v83 offset:1024
	s_waitcnt lgkmcnt(0)
	v_and_b32_e32 v2, 0xffff, v142
	s_delay_alu instid0(VALU_DEP_1) | instskip(NEXT) | instid1(VALU_DEP_1)
	v_lshrrev_b32_e32 v2, s42, v2
	v_and_b32_e32 v2, s43, v2
	s_delay_alu instid0(VALU_DEP_1) | instskip(SKIP_3) | instid1(VALU_DEP_1)
	v_lshlrev_b32_e32 v2, 2, v2
	ds_load_b32 v2, v2
	s_waitcnt lgkmcnt(0)
	v_add_nc_u32_e32 v19, v2, v49
	v_lshlrev_b64 v[2:3], 1, v[19:20]
	v_xor_b32_e32 v19, 0x7fff, v142
	s_delay_alu instid0(VALU_DEP_2) | instskip(NEXT) | instid1(VALU_DEP_1)
	v_add_co_u32 v2, s18, s40, v2
	v_add_co_ci_u32_e64 v3, s18, s41, v3, s18
	global_store_b16 v[2:3], v19, off
	s_or_b32 exec_lo, exec_lo, s19
	v_cmp_lt_u32_e64 s18, v50, v0
	s_delay_alu instid0(VALU_DEP_1)
	s_and_saveexec_b32 s20, s18
	s_cbranch_execnz .LBB919_475
.LBB919_460:                            ;   in Loop: Header=BB919_392 Depth=2
	s_or_b32 exec_lo, exec_lo, s20
	v_cmp_lt_u32_e64 s19, v54, v0
	s_delay_alu instid0(VALU_DEP_1)
	s_and_saveexec_b32 s21, s19
	s_cbranch_execz .LBB919_476
.LBB919_461:                            ;   in Loop: Header=BB919_392 Depth=2
	ds_load_u16 v142, v83 offset:2048
	s_waitcnt lgkmcnt(0)
	v_and_b32_e32 v2, 0xffff, v142
	s_delay_alu instid0(VALU_DEP_1) | instskip(NEXT) | instid1(VALU_DEP_1)
	v_lshrrev_b32_e32 v2, s42, v2
	v_and_b32_e32 v2, s43, v2
	s_delay_alu instid0(VALU_DEP_1) | instskip(SKIP_3) | instid1(VALU_DEP_1)
	v_lshlrev_b32_e32 v2, 2, v2
	ds_load_b32 v2, v2
	s_waitcnt lgkmcnt(0)
	v_add_nc_u32_e32 v19, v2, v54
	v_lshlrev_b64 v[2:3], 1, v[19:20]
	v_xor_b32_e32 v19, 0x7fff, v142
	s_delay_alu instid0(VALU_DEP_2) | instskip(NEXT) | instid1(VALU_DEP_1)
	v_add_co_u32 v2, s20, s40, v2
	v_add_co_ci_u32_e64 v3, s20, s41, v3, s20
	global_store_b16 v[2:3], v19, off
	s_or_b32 exec_lo, exec_lo, s21
	v_cmp_lt_u32_e64 s20, v55, v0
	s_delay_alu instid0(VALU_DEP_1)
	s_and_saveexec_b32 s22, s20
	s_cbranch_execnz .LBB919_477
.LBB919_462:                            ;   in Loop: Header=BB919_392 Depth=2
	s_or_b32 exec_lo, exec_lo, s22
	v_cmp_lt_u32_e64 s21, v56, v0
	s_delay_alu instid0(VALU_DEP_1)
	s_and_saveexec_b32 s23, s21
	s_cbranch_execz .LBB919_478
.LBB919_463:                            ;   in Loop: Header=BB919_392 Depth=2
	ds_load_u16 v142, v83 offset:3072
	s_waitcnt lgkmcnt(0)
	v_and_b32_e32 v2, 0xffff, v142
	s_delay_alu instid0(VALU_DEP_1) | instskip(NEXT) | instid1(VALU_DEP_1)
	v_lshrrev_b32_e32 v2, s42, v2
	v_and_b32_e32 v2, s43, v2
	s_delay_alu instid0(VALU_DEP_1) | instskip(SKIP_3) | instid1(VALU_DEP_1)
	v_lshlrev_b32_e32 v2, 2, v2
	ds_load_b32 v2, v2
	s_waitcnt lgkmcnt(0)
	v_add_nc_u32_e32 v19, v2, v56
	v_lshlrev_b64 v[2:3], 1, v[19:20]
	v_xor_b32_e32 v19, 0x7fff, v142
	s_delay_alu instid0(VALU_DEP_2) | instskip(NEXT) | instid1(VALU_DEP_1)
	v_add_co_u32 v2, s22, s40, v2
	v_add_co_ci_u32_e64 v3, s22, s41, v3, s22
	global_store_b16 v[2:3], v19, off
	s_or_b32 exec_lo, exec_lo, s23
	v_cmp_lt_u32_e64 s22, v57, v0
	s_delay_alu instid0(VALU_DEP_1)
	s_and_saveexec_b32 s24, s22
	s_cbranch_execnz .LBB919_479
.LBB919_464:                            ;   in Loop: Header=BB919_392 Depth=2
	s_or_b32 exec_lo, exec_lo, s24
	v_cmp_lt_u32_e64 s23, v58, v0
	s_delay_alu instid0(VALU_DEP_1)
	s_and_saveexec_b32 s25, s23
	s_cbranch_execz .LBB919_480
.LBB919_465:                            ;   in Loop: Header=BB919_392 Depth=2
	ds_load_u16 v142, v83 offset:4096
	s_waitcnt lgkmcnt(0)
	v_and_b32_e32 v2, 0xffff, v142
	s_delay_alu instid0(VALU_DEP_1) | instskip(NEXT) | instid1(VALU_DEP_1)
	v_lshrrev_b32_e32 v2, s42, v2
	v_and_b32_e32 v2, s43, v2
	s_delay_alu instid0(VALU_DEP_1) | instskip(SKIP_3) | instid1(VALU_DEP_1)
	v_lshlrev_b32_e32 v2, 2, v2
	ds_load_b32 v2, v2
	s_waitcnt lgkmcnt(0)
	v_add_nc_u32_e32 v19, v2, v58
	v_lshlrev_b64 v[2:3], 1, v[19:20]
	v_xor_b32_e32 v19, 0x7fff, v142
	s_delay_alu instid0(VALU_DEP_2) | instskip(NEXT) | instid1(VALU_DEP_1)
	v_add_co_u32 v2, s24, s40, v2
	v_add_co_ci_u32_e64 v3, s24, s41, v3, s24
	global_store_b16 v[2:3], v19, off
	s_or_b32 exec_lo, exec_lo, s25
	v_cmp_lt_u32_e64 s24, v59, v0
	s_delay_alu instid0(VALU_DEP_1)
	s_and_saveexec_b32 s27, s24
	s_cbranch_execnz .LBB919_481
.LBB919_466:                            ;   in Loop: Header=BB919_392 Depth=2
	s_or_b32 exec_lo, exec_lo, s27
	v_cmp_lt_u32_e64 s25, v60, v0
	s_delay_alu instid0(VALU_DEP_1)
	s_and_saveexec_b32 s28, s25
	s_cbranch_execz .LBB919_482
.LBB919_467:                            ;   in Loop: Header=BB919_392 Depth=2
	ds_load_u16 v142, v83 offset:5120
	s_waitcnt lgkmcnt(0)
	v_and_b32_e32 v2, 0xffff, v142
	s_delay_alu instid0(VALU_DEP_1) | instskip(NEXT) | instid1(VALU_DEP_1)
	v_lshrrev_b32_e32 v2, s42, v2
	v_and_b32_e32 v2, s43, v2
	s_delay_alu instid0(VALU_DEP_1) | instskip(SKIP_3) | instid1(VALU_DEP_1)
	v_lshlrev_b32_e32 v2, 2, v2
	ds_load_b32 v2, v2
	s_waitcnt lgkmcnt(0)
	v_add_nc_u32_e32 v19, v2, v60
	v_lshlrev_b64 v[2:3], 1, v[19:20]
	v_xor_b32_e32 v19, 0x7fff, v142
	s_delay_alu instid0(VALU_DEP_2) | instskip(NEXT) | instid1(VALU_DEP_1)
	v_add_co_u32 v2, s27, s40, v2
	v_add_co_ci_u32_e64 v3, s27, s41, v3, s27
	global_store_b16 v[2:3], v19, off
	s_or_b32 exec_lo, exec_lo, s28
	v_cmp_lt_u32_e64 s27, v61, v0
	s_delay_alu instid0(VALU_DEP_1)
	s_and_saveexec_b32 s29, s27
	s_cbranch_execnz .LBB919_483
.LBB919_468:                            ;   in Loop: Header=BB919_392 Depth=2
	s_or_b32 exec_lo, exec_lo, s29
	v_cmp_lt_u32_e64 s28, v62, v0
	s_delay_alu instid0(VALU_DEP_1)
	s_and_saveexec_b32 s30, s28
	s_cbranch_execz .LBB919_484
.LBB919_469:                            ;   in Loop: Header=BB919_392 Depth=2
	ds_load_u16 v142, v83 offset:6144
	s_waitcnt lgkmcnt(0)
	v_and_b32_e32 v2, 0xffff, v142
	s_delay_alu instid0(VALU_DEP_1) | instskip(NEXT) | instid1(VALU_DEP_1)
	v_lshrrev_b32_e32 v2, s42, v2
	v_and_b32_e32 v2, s43, v2
	s_delay_alu instid0(VALU_DEP_1) | instskip(SKIP_3) | instid1(VALU_DEP_1)
	v_lshlrev_b32_e32 v2, 2, v2
	ds_load_b32 v2, v2
	s_waitcnt lgkmcnt(0)
	v_add_nc_u32_e32 v19, v2, v62
	v_lshlrev_b64 v[2:3], 1, v[19:20]
	v_xor_b32_e32 v19, 0x7fff, v142
	s_delay_alu instid0(VALU_DEP_2) | instskip(NEXT) | instid1(VALU_DEP_1)
	v_add_co_u32 v2, s29, s40, v2
	v_add_co_ci_u32_e64 v3, s29, s41, v3, s29
	global_store_b16 v[2:3], v19, off
	s_or_b32 exec_lo, exec_lo, s30
	v_cmp_lt_u32_e64 s29, v63, v0
	s_delay_alu instid0(VALU_DEP_1)
	s_and_saveexec_b32 s31, s29
	s_cbranch_execnz .LBB919_485
.LBB919_470:                            ;   in Loop: Header=BB919_392 Depth=2
	s_or_b32 exec_lo, exec_lo, s31
	v_cmp_lt_u32_e64 s30, v64, v0
	s_delay_alu instid0(VALU_DEP_1)
	s_and_saveexec_b32 s33, s30
	s_cbranch_execz .LBB919_486
.LBB919_471:                            ;   in Loop: Header=BB919_392 Depth=2
	ds_load_u16 v142, v83 offset:7168
	s_waitcnt lgkmcnt(0)
	v_and_b32_e32 v2, 0xffff, v142
	s_delay_alu instid0(VALU_DEP_1) | instskip(NEXT) | instid1(VALU_DEP_1)
	v_lshrrev_b32_e32 v2, s42, v2
	v_and_b32_e32 v2, s43, v2
	s_delay_alu instid0(VALU_DEP_1) | instskip(SKIP_3) | instid1(VALU_DEP_1)
	v_lshlrev_b32_e32 v2, 2, v2
	ds_load_b32 v2, v2
	s_waitcnt lgkmcnt(0)
	v_add_nc_u32_e32 v19, v2, v64
	v_lshlrev_b64 v[2:3], 1, v[19:20]
	v_xor_b32_e32 v19, 0x7fff, v142
	s_delay_alu instid0(VALU_DEP_2) | instskip(NEXT) | instid1(VALU_DEP_1)
	v_add_co_u32 v2, s31, s40, v2
	v_add_co_ci_u32_e64 v3, s31, s41, v3, s31
	global_store_b16 v[2:3], v19, off
	s_or_b32 exec_lo, exec_lo, s33
	v_cmp_lt_u32_e64 s31, v66, v0
	s_delay_alu instid0(VALU_DEP_1)
	s_and_saveexec_b32 s45, s31
	s_cbranch_execnz .LBB919_487
	s_branch .LBB919_488
.LBB919_472:                            ;   in Loop: Header=BB919_392 Depth=2
	s_or_b32 exec_lo, exec_lo, s17
	v_cmp_lt_u32_e64 s16, v48, v0
	s_delay_alu instid0(VALU_DEP_1)
	s_and_saveexec_b32 s18, s16
	s_cbranch_execz .LBB919_458
.LBB919_473:                            ;   in Loop: Header=BB919_392 Depth=2
	ds_load_u16 v142, v83 offset:512
	s_waitcnt lgkmcnt(0)
	v_and_b32_e32 v2, 0xffff, v142
	s_delay_alu instid0(VALU_DEP_1) | instskip(NEXT) | instid1(VALU_DEP_1)
	v_lshrrev_b32_e32 v2, s42, v2
	v_and_b32_e32 v2, s43, v2
	s_delay_alu instid0(VALU_DEP_1) | instskip(SKIP_3) | instid1(VALU_DEP_1)
	v_lshlrev_b32_e32 v2, 2, v2
	ds_load_b32 v2, v2
	s_waitcnt lgkmcnt(0)
	v_add_nc_u32_e32 v19, v2, v48
	v_lshlrev_b64 v[2:3], 1, v[19:20]
	v_xor_b32_e32 v19, 0x7fff, v142
	s_delay_alu instid0(VALU_DEP_2) | instskip(NEXT) | instid1(VALU_DEP_1)
	v_add_co_u32 v2, s17, s40, v2
	v_add_co_ci_u32_e64 v3, s17, s41, v3, s17
	global_store_b16 v[2:3], v19, off
	s_or_b32 exec_lo, exec_lo, s18
	v_cmp_lt_u32_e64 s17, v49, v0
	s_delay_alu instid0(VALU_DEP_1)
	s_and_saveexec_b32 s19, s17
	s_cbranch_execnz .LBB919_459
.LBB919_474:                            ;   in Loop: Header=BB919_392 Depth=2
	s_or_b32 exec_lo, exec_lo, s19
	v_cmp_lt_u32_e64 s18, v50, v0
	s_delay_alu instid0(VALU_DEP_1)
	s_and_saveexec_b32 s20, s18
	s_cbranch_execz .LBB919_460
.LBB919_475:                            ;   in Loop: Header=BB919_392 Depth=2
	ds_load_u16 v142, v83 offset:1536
	s_waitcnt lgkmcnt(0)
	v_and_b32_e32 v2, 0xffff, v142
	s_delay_alu instid0(VALU_DEP_1) | instskip(NEXT) | instid1(VALU_DEP_1)
	v_lshrrev_b32_e32 v2, s42, v2
	v_and_b32_e32 v2, s43, v2
	s_delay_alu instid0(VALU_DEP_1) | instskip(SKIP_3) | instid1(VALU_DEP_1)
	v_lshlrev_b32_e32 v2, 2, v2
	ds_load_b32 v2, v2
	s_waitcnt lgkmcnt(0)
	v_add_nc_u32_e32 v19, v2, v50
	v_lshlrev_b64 v[2:3], 1, v[19:20]
	v_xor_b32_e32 v19, 0x7fff, v142
	s_delay_alu instid0(VALU_DEP_2) | instskip(NEXT) | instid1(VALU_DEP_1)
	v_add_co_u32 v2, s19, s40, v2
	v_add_co_ci_u32_e64 v3, s19, s41, v3, s19
	global_store_b16 v[2:3], v19, off
	s_or_b32 exec_lo, exec_lo, s20
	v_cmp_lt_u32_e64 s19, v54, v0
	s_delay_alu instid0(VALU_DEP_1)
	s_and_saveexec_b32 s21, s19
	s_cbranch_execnz .LBB919_461
.LBB919_476:                            ;   in Loop: Header=BB919_392 Depth=2
	s_or_b32 exec_lo, exec_lo, s21
	v_cmp_lt_u32_e64 s20, v55, v0
	s_delay_alu instid0(VALU_DEP_1)
	s_and_saveexec_b32 s22, s20
	s_cbranch_execz .LBB919_462
.LBB919_477:                            ;   in Loop: Header=BB919_392 Depth=2
	ds_load_u16 v142, v83 offset:2560
	s_waitcnt lgkmcnt(0)
	v_and_b32_e32 v2, 0xffff, v142
	s_delay_alu instid0(VALU_DEP_1) | instskip(NEXT) | instid1(VALU_DEP_1)
	v_lshrrev_b32_e32 v2, s42, v2
	v_and_b32_e32 v2, s43, v2
	s_delay_alu instid0(VALU_DEP_1) | instskip(SKIP_3) | instid1(VALU_DEP_1)
	v_lshlrev_b32_e32 v2, 2, v2
	ds_load_b32 v2, v2
	s_waitcnt lgkmcnt(0)
	v_add_nc_u32_e32 v19, v2, v55
	v_lshlrev_b64 v[2:3], 1, v[19:20]
	v_xor_b32_e32 v19, 0x7fff, v142
	s_delay_alu instid0(VALU_DEP_2) | instskip(NEXT) | instid1(VALU_DEP_1)
	v_add_co_u32 v2, s21, s40, v2
	v_add_co_ci_u32_e64 v3, s21, s41, v3, s21
	global_store_b16 v[2:3], v19, off
	s_or_b32 exec_lo, exec_lo, s22
	v_cmp_lt_u32_e64 s21, v56, v0
	s_delay_alu instid0(VALU_DEP_1)
	s_and_saveexec_b32 s23, s21
	s_cbranch_execnz .LBB919_463
.LBB919_478:                            ;   in Loop: Header=BB919_392 Depth=2
	s_or_b32 exec_lo, exec_lo, s23
	v_cmp_lt_u32_e64 s22, v57, v0
	s_delay_alu instid0(VALU_DEP_1)
	s_and_saveexec_b32 s24, s22
	s_cbranch_execz .LBB919_464
.LBB919_479:                            ;   in Loop: Header=BB919_392 Depth=2
	ds_load_u16 v142, v83 offset:3584
	s_waitcnt lgkmcnt(0)
	v_and_b32_e32 v2, 0xffff, v142
	s_delay_alu instid0(VALU_DEP_1) | instskip(NEXT) | instid1(VALU_DEP_1)
	v_lshrrev_b32_e32 v2, s42, v2
	v_and_b32_e32 v2, s43, v2
	s_delay_alu instid0(VALU_DEP_1) | instskip(SKIP_3) | instid1(VALU_DEP_1)
	v_lshlrev_b32_e32 v2, 2, v2
	ds_load_b32 v2, v2
	s_waitcnt lgkmcnt(0)
	v_add_nc_u32_e32 v19, v2, v57
	v_lshlrev_b64 v[2:3], 1, v[19:20]
	v_xor_b32_e32 v19, 0x7fff, v142
	s_delay_alu instid0(VALU_DEP_2) | instskip(NEXT) | instid1(VALU_DEP_1)
	v_add_co_u32 v2, s23, s40, v2
	v_add_co_ci_u32_e64 v3, s23, s41, v3, s23
	global_store_b16 v[2:3], v19, off
	s_or_b32 exec_lo, exec_lo, s24
	v_cmp_lt_u32_e64 s23, v58, v0
	s_delay_alu instid0(VALU_DEP_1)
	s_and_saveexec_b32 s25, s23
	s_cbranch_execnz .LBB919_465
.LBB919_480:                            ;   in Loop: Header=BB919_392 Depth=2
	s_or_b32 exec_lo, exec_lo, s25
	v_cmp_lt_u32_e64 s24, v59, v0
	s_delay_alu instid0(VALU_DEP_1)
	s_and_saveexec_b32 s27, s24
	s_cbranch_execz .LBB919_466
.LBB919_481:                            ;   in Loop: Header=BB919_392 Depth=2
	ds_load_u16 v142, v83 offset:4608
	s_waitcnt lgkmcnt(0)
	v_and_b32_e32 v2, 0xffff, v142
	s_delay_alu instid0(VALU_DEP_1) | instskip(NEXT) | instid1(VALU_DEP_1)
	v_lshrrev_b32_e32 v2, s42, v2
	v_and_b32_e32 v2, s43, v2
	s_delay_alu instid0(VALU_DEP_1) | instskip(SKIP_3) | instid1(VALU_DEP_1)
	v_lshlrev_b32_e32 v2, 2, v2
	ds_load_b32 v2, v2
	s_waitcnt lgkmcnt(0)
	v_add_nc_u32_e32 v19, v2, v59
	v_lshlrev_b64 v[2:3], 1, v[19:20]
	v_xor_b32_e32 v19, 0x7fff, v142
	s_delay_alu instid0(VALU_DEP_2) | instskip(NEXT) | instid1(VALU_DEP_1)
	v_add_co_u32 v2, s25, s40, v2
	v_add_co_ci_u32_e64 v3, s25, s41, v3, s25
	global_store_b16 v[2:3], v19, off
	s_or_b32 exec_lo, exec_lo, s27
	v_cmp_lt_u32_e64 s25, v60, v0
	s_delay_alu instid0(VALU_DEP_1)
	s_and_saveexec_b32 s28, s25
	s_cbranch_execnz .LBB919_467
.LBB919_482:                            ;   in Loop: Header=BB919_392 Depth=2
	s_or_b32 exec_lo, exec_lo, s28
	v_cmp_lt_u32_e64 s27, v61, v0
	s_delay_alu instid0(VALU_DEP_1)
	s_and_saveexec_b32 s29, s27
	s_cbranch_execz .LBB919_468
.LBB919_483:                            ;   in Loop: Header=BB919_392 Depth=2
	ds_load_u16 v142, v83 offset:5632
	s_waitcnt lgkmcnt(0)
	v_and_b32_e32 v2, 0xffff, v142
	s_delay_alu instid0(VALU_DEP_1) | instskip(NEXT) | instid1(VALU_DEP_1)
	v_lshrrev_b32_e32 v2, s42, v2
	v_and_b32_e32 v2, s43, v2
	s_delay_alu instid0(VALU_DEP_1) | instskip(SKIP_3) | instid1(VALU_DEP_1)
	v_lshlrev_b32_e32 v2, 2, v2
	ds_load_b32 v2, v2
	s_waitcnt lgkmcnt(0)
	v_add_nc_u32_e32 v19, v2, v61
	v_lshlrev_b64 v[2:3], 1, v[19:20]
	v_xor_b32_e32 v19, 0x7fff, v142
	s_delay_alu instid0(VALU_DEP_2) | instskip(NEXT) | instid1(VALU_DEP_1)
	v_add_co_u32 v2, s28, s40, v2
	v_add_co_ci_u32_e64 v3, s28, s41, v3, s28
	global_store_b16 v[2:3], v19, off
	s_or_b32 exec_lo, exec_lo, s29
	v_cmp_lt_u32_e64 s28, v62, v0
	s_delay_alu instid0(VALU_DEP_1)
	s_and_saveexec_b32 s30, s28
	s_cbranch_execnz .LBB919_469
.LBB919_484:                            ;   in Loop: Header=BB919_392 Depth=2
	s_or_b32 exec_lo, exec_lo, s30
	v_cmp_lt_u32_e64 s29, v63, v0
	s_delay_alu instid0(VALU_DEP_1)
	s_and_saveexec_b32 s31, s29
	s_cbranch_execz .LBB919_470
.LBB919_485:                            ;   in Loop: Header=BB919_392 Depth=2
	ds_load_u16 v142, v83 offset:6656
	s_waitcnt lgkmcnt(0)
	v_and_b32_e32 v2, 0xffff, v142
	s_delay_alu instid0(VALU_DEP_1) | instskip(NEXT) | instid1(VALU_DEP_1)
	v_lshrrev_b32_e32 v2, s42, v2
	v_and_b32_e32 v2, s43, v2
	s_delay_alu instid0(VALU_DEP_1) | instskip(SKIP_3) | instid1(VALU_DEP_1)
	v_lshlrev_b32_e32 v2, 2, v2
	ds_load_b32 v2, v2
	s_waitcnt lgkmcnt(0)
	v_add_nc_u32_e32 v19, v2, v63
	v_lshlrev_b64 v[2:3], 1, v[19:20]
	v_xor_b32_e32 v19, 0x7fff, v142
	s_delay_alu instid0(VALU_DEP_2) | instskip(NEXT) | instid1(VALU_DEP_1)
	v_add_co_u32 v2, s30, s40, v2
	v_add_co_ci_u32_e64 v3, s30, s41, v3, s30
	global_store_b16 v[2:3], v19, off
	s_or_b32 exec_lo, exec_lo, s31
	v_cmp_lt_u32_e64 s30, v64, v0
	s_delay_alu instid0(VALU_DEP_1)
	s_and_saveexec_b32 s33, s30
	s_cbranch_execnz .LBB919_471
.LBB919_486:                            ;   in Loop: Header=BB919_392 Depth=2
	s_or_b32 exec_lo, exec_lo, s33
	v_cmp_lt_u32_e64 s31, v66, v0
	s_delay_alu instid0(VALU_DEP_1)
	s_and_saveexec_b32 s45, s31
	s_cbranch_execz .LBB919_488
.LBB919_487:                            ;   in Loop: Header=BB919_392 Depth=2
	ds_load_u16 v142, v83 offset:7680
	s_waitcnt lgkmcnt(0)
	v_and_b32_e32 v2, 0xffff, v142
	s_delay_alu instid0(VALU_DEP_1) | instskip(NEXT) | instid1(VALU_DEP_1)
	v_lshrrev_b32_e32 v2, s42, v2
	v_and_b32_e32 v2, s43, v2
	s_delay_alu instid0(VALU_DEP_1) | instskip(SKIP_3) | instid1(VALU_DEP_1)
	v_lshlrev_b32_e32 v2, 2, v2
	ds_load_b32 v2, v2
	s_waitcnt lgkmcnt(0)
	v_add_nc_u32_e32 v19, v2, v66
	v_lshlrev_b64 v[2:3], 1, v[19:20]
	v_xor_b32_e32 v19, 0x7fff, v142
	s_delay_alu instid0(VALU_DEP_2) | instskip(NEXT) | instid1(VALU_DEP_1)
	v_add_co_u32 v2, s33, s40, v2
	v_add_co_ci_u32_e64 v3, s33, s41, v3, s33
	global_store_b16 v[2:3], v19, off
.LBB919_488:                            ;   in Loop: Header=BB919_392 Depth=2
	s_or_b32 exec_lo, exec_lo, s45
	s_lshl_b64 s[46:47], s[34:35], 3
	s_delay_alu instid0(SALU_CYCLE_1) | instskip(NEXT) | instid1(VALU_DEP_1)
	v_add_co_u32 v2, s33, v103, s46
	v_add_co_ci_u32_e64 v3, s33, s47, v104, s33
	v_cmp_lt_u32_e64 s33, v102, v0
	s_delay_alu instid0(VALU_DEP_1) | instskip(NEXT) | instid1(SALU_CYCLE_1)
	s_and_saveexec_b32 s34, s33
	s_xor_b32 s33, exec_lo, s34
	s_cbranch_execz .LBB919_520
; %bb.489:                              ;   in Loop: Header=BB919_392 Depth=2
	global_load_b64 v[43:44], v[2:3], off
	s_or_b32 exec_lo, exec_lo, s33
	s_delay_alu instid0(SALU_CYCLE_1)
	s_mov_b32 s34, exec_lo
	v_cmpx_lt_u32_e64 v105, v0
	s_cbranch_execnz .LBB919_521
.LBB919_490:                            ;   in Loop: Header=BB919_392 Depth=2
	s_or_b32 exec_lo, exec_lo, s34
	s_delay_alu instid0(SALU_CYCLE_1)
	s_mov_b32 s34, exec_lo
	v_cmpx_lt_u32_e64 v106, v0
	s_cbranch_execz .LBB919_522
.LBB919_491:                            ;   in Loop: Header=BB919_392 Depth=2
	global_load_b64 v[39:40], v[2:3], off offset:512
	s_or_b32 exec_lo, exec_lo, s34
	s_delay_alu instid0(SALU_CYCLE_1)
	s_mov_b32 s34, exec_lo
	v_cmpx_lt_u32_e64 v107, v0
	s_cbranch_execnz .LBB919_523
.LBB919_492:                            ;   in Loop: Header=BB919_392 Depth=2
	s_or_b32 exec_lo, exec_lo, s34
	s_delay_alu instid0(SALU_CYCLE_1)
	s_mov_b32 s34, exec_lo
	v_cmpx_lt_u32_e64 v108, v0
	s_cbranch_execz .LBB919_524
.LBB919_493:                            ;   in Loop: Header=BB919_392 Depth=2
	global_load_b64 v[35:36], v[2:3], off offset:1024
	s_or_b32 exec_lo, exec_lo, s34
	s_delay_alu instid0(SALU_CYCLE_1)
	s_mov_b32 s34, exec_lo
	v_cmpx_lt_u32_e64 v109, v0
	s_cbranch_execnz .LBB919_525
.LBB919_494:                            ;   in Loop: Header=BB919_392 Depth=2
	s_or_b32 exec_lo, exec_lo, s34
	s_delay_alu instid0(SALU_CYCLE_1)
	s_mov_b32 s34, exec_lo
	v_cmpx_lt_u32_e64 v110, v0
	s_cbranch_execz .LBB919_526
.LBB919_495:                            ;   in Loop: Header=BB919_392 Depth=2
	global_load_b64 v[31:32], v[2:3], off offset:1536
	s_or_b32 exec_lo, exec_lo, s34
	s_delay_alu instid0(SALU_CYCLE_1)
	s_mov_b32 s34, exec_lo
	v_cmpx_lt_u32_e64 v111, v0
	s_cbranch_execnz .LBB919_527
.LBB919_496:                            ;   in Loop: Header=BB919_392 Depth=2
	s_or_b32 exec_lo, exec_lo, s34
	s_delay_alu instid0(SALU_CYCLE_1)
	s_mov_b32 s34, exec_lo
	v_cmpx_lt_u32_e64 v112, v0
	s_cbranch_execz .LBB919_528
.LBB919_497:                            ;   in Loop: Header=BB919_392 Depth=2
	global_load_b64 v[27:28], v[2:3], off offset:2048
	s_or_b32 exec_lo, exec_lo, s34
	s_delay_alu instid0(SALU_CYCLE_1)
	s_mov_b32 s34, exec_lo
	v_cmpx_lt_u32_e64 v113, v0
	s_cbranch_execnz .LBB919_529
.LBB919_498:                            ;   in Loop: Header=BB919_392 Depth=2
	s_or_b32 exec_lo, exec_lo, s34
	s_delay_alu instid0(SALU_CYCLE_1)
	s_mov_b32 s34, exec_lo
	v_cmpx_lt_u32_e64 v114, v0
	s_cbranch_execz .LBB919_530
.LBB919_499:                            ;   in Loop: Header=BB919_392 Depth=2
	global_load_b64 v[23:24], v[2:3], off offset:2560
	s_or_b32 exec_lo, exec_lo, s34
	s_delay_alu instid0(SALU_CYCLE_1)
	s_mov_b32 s34, exec_lo
	v_cmpx_lt_u32_e64 v115, v0
	s_cbranch_execnz .LBB919_531
.LBB919_500:                            ;   in Loop: Header=BB919_392 Depth=2
	s_or_b32 exec_lo, exec_lo, s34
	s_delay_alu instid0(SALU_CYCLE_1)
	s_mov_b32 s34, exec_lo
	v_cmpx_lt_u32_e64 v116, v0
	s_cbranch_execz .LBB919_532
.LBB919_501:                            ;   in Loop: Header=BB919_392 Depth=2
	global_load_b64 v[16:17], v[2:3], off offset:3072
	s_or_b32 exec_lo, exec_lo, s34
	s_delay_alu instid0(SALU_CYCLE_1)
	s_mov_b32 s34, exec_lo
	v_cmpx_lt_u32_e64 v117, v0
	s_cbranch_execnz .LBB919_533
.LBB919_502:                            ;   in Loop: Header=BB919_392 Depth=2
	s_or_b32 exec_lo, exec_lo, s34
	s_delay_alu instid0(SALU_CYCLE_1)
	s_mov_b32 s34, exec_lo
	v_cmpx_lt_u32_e64 v118, v0
	s_cbranch_execz .LBB919_534
.LBB919_503:                            ;   in Loop: Header=BB919_392 Depth=2
	global_load_b64 v[12:13], v[2:3], off offset:3584
	s_or_b32 exec_lo, exec_lo, s34
	s_delay_alu instid0(SALU_CYCLE_1)
	s_mov_b32 s34, exec_lo
	v_cmpx_lt_u32_e64 v119, v0
	s_cbranch_execnz .LBB919_535
.LBB919_504:                            ;   in Loop: Header=BB919_392 Depth=2
	s_or_b32 exec_lo, exec_lo, s34
	s_and_saveexec_b32 s33, vcc_lo
	s_cbranch_execz .LBB919_536
.LBB919_505:                            ;   in Loop: Header=BB919_392 Depth=2
	v_add_nc_u32_e32 v0, v76, v82
	ds_load_u16 v0, v0 offset:1024
	s_waitcnt lgkmcnt(0)
	v_lshrrev_b32_e32 v0, s42, v0
	s_delay_alu instid0(VALU_DEP_1)
	v_and_b32_e32 v140, s43, v0
	s_or_b32 exec_lo, exec_lo, s33
	s_and_saveexec_b32 s33, s16
	s_cbranch_execnz .LBB919_537
.LBB919_506:                            ;   in Loop: Header=BB919_392 Depth=2
	s_or_b32 exec_lo, exec_lo, s33
	s_and_saveexec_b32 s33, s17
	s_cbranch_execz .LBB919_538
.LBB919_507:                            ;   in Loop: Header=BB919_392 Depth=2
	ds_load_u16 v0, v83 offset:1024
	s_waitcnt lgkmcnt(0)
	v_lshrrev_b32_e32 v0, s42, v0
	s_delay_alu instid0(VALU_DEP_1)
	v_and_b32_e32 v138, s43, v0
	s_or_b32 exec_lo, exec_lo, s33
	s_and_saveexec_b32 s33, s18
	s_cbranch_execnz .LBB919_539
.LBB919_508:                            ;   in Loop: Header=BB919_392 Depth=2
	s_or_b32 exec_lo, exec_lo, s33
	s_and_saveexec_b32 s33, s19
	s_cbranch_execz .LBB919_540
.LBB919_509:                            ;   in Loop: Header=BB919_392 Depth=2
	ds_load_u16 v0, v83 offset:2048
	s_waitcnt lgkmcnt(0)
	v_lshrrev_b32_e32 v0, s42, v0
	s_delay_alu instid0(VALU_DEP_1)
	v_and_b32_e32 v136, s43, v0
	s_or_b32 exec_lo, exec_lo, s33
	s_and_saveexec_b32 s33, s20
	s_cbranch_execnz .LBB919_541
.LBB919_510:                            ;   in Loop: Header=BB919_392 Depth=2
	s_or_b32 exec_lo, exec_lo, s33
	s_and_saveexec_b32 s33, s21
	s_cbranch_execz .LBB919_542
.LBB919_511:                            ;   in Loop: Header=BB919_392 Depth=2
	ds_load_u16 v0, v83 offset:3072
	s_waitcnt lgkmcnt(0)
	v_lshrrev_b32_e32 v0, s42, v0
	s_delay_alu instid0(VALU_DEP_1)
	v_and_b32_e32 v134, s43, v0
	s_or_b32 exec_lo, exec_lo, s33
	s_and_saveexec_b32 s33, s22
	s_cbranch_execnz .LBB919_543
.LBB919_512:                            ;   in Loop: Header=BB919_392 Depth=2
	s_or_b32 exec_lo, exec_lo, s33
	s_and_saveexec_b32 s33, s23
	s_cbranch_execz .LBB919_544
.LBB919_513:                            ;   in Loop: Header=BB919_392 Depth=2
	ds_load_u16 v0, v83 offset:4096
	s_waitcnt lgkmcnt(0)
	v_lshrrev_b32_e32 v0, s42, v0
	s_delay_alu instid0(VALU_DEP_1)
	v_and_b32_e32 v132, s43, v0
	s_or_b32 exec_lo, exec_lo, s33
	s_and_saveexec_b32 s33, s24
	s_cbranch_execnz .LBB919_545
.LBB919_514:                            ;   in Loop: Header=BB919_392 Depth=2
	s_or_b32 exec_lo, exec_lo, s33
	s_and_saveexec_b32 s33, s25
	s_cbranch_execz .LBB919_546
.LBB919_515:                            ;   in Loop: Header=BB919_392 Depth=2
	ds_load_u16 v0, v83 offset:5120
	s_waitcnt lgkmcnt(0)
	v_lshrrev_b32_e32 v0, s42, v0
	s_delay_alu instid0(VALU_DEP_1)
	v_and_b32_e32 v130, s43, v0
	s_or_b32 exec_lo, exec_lo, s33
	s_and_saveexec_b32 s33, s27
	s_cbranch_execnz .LBB919_547
.LBB919_516:                            ;   in Loop: Header=BB919_392 Depth=2
	s_or_b32 exec_lo, exec_lo, s33
	s_and_saveexec_b32 s33, s28
	s_cbranch_execz .LBB919_548
.LBB919_517:                            ;   in Loop: Header=BB919_392 Depth=2
	ds_load_u16 v0, v83 offset:6144
	s_waitcnt lgkmcnt(0)
	v_lshrrev_b32_e32 v0, s42, v0
	s_delay_alu instid0(VALU_DEP_1)
	v_and_b32_e32 v128, s43, v0
	s_or_b32 exec_lo, exec_lo, s33
	s_and_saveexec_b32 s33, s29
	s_cbranch_execnz .LBB919_549
.LBB919_518:                            ;   in Loop: Header=BB919_392 Depth=2
	s_or_b32 exec_lo, exec_lo, s33
	s_and_saveexec_b32 s33, s30
	s_cbranch_execz .LBB919_550
.LBB919_519:                            ;   in Loop: Header=BB919_392 Depth=2
	ds_load_u16 v0, v83 offset:7168
	s_waitcnt lgkmcnt(0)
	v_lshrrev_b32_e32 v0, s42, v0
	s_delay_alu instid0(VALU_DEP_1)
	v_and_b32_e32 v126, s43, v0
	s_or_b32 exec_lo, exec_lo, s33
	s_and_saveexec_b32 s33, s31
	s_cbranch_execnz .LBB919_551
	s_branch .LBB919_552
.LBB919_520:                            ;   in Loop: Header=BB919_392 Depth=2
	s_or_b32 exec_lo, exec_lo, s33
	s_delay_alu instid0(SALU_CYCLE_1)
	s_mov_b32 s34, exec_lo
	v_cmpx_lt_u32_e64 v105, v0
	s_cbranch_execz .LBB919_490
.LBB919_521:                            ;   in Loop: Header=BB919_392 Depth=2
	global_load_b64 v[41:42], v[2:3], off offset:256
	s_or_b32 exec_lo, exec_lo, s34
	s_delay_alu instid0(SALU_CYCLE_1)
	s_mov_b32 s34, exec_lo
	v_cmpx_lt_u32_e64 v106, v0
	s_cbranch_execnz .LBB919_491
.LBB919_522:                            ;   in Loop: Header=BB919_392 Depth=2
	s_or_b32 exec_lo, exec_lo, s34
	s_delay_alu instid0(SALU_CYCLE_1)
	s_mov_b32 s34, exec_lo
	v_cmpx_lt_u32_e64 v107, v0
	s_cbranch_execz .LBB919_492
.LBB919_523:                            ;   in Loop: Header=BB919_392 Depth=2
	global_load_b64 v[37:38], v[2:3], off offset:768
	s_or_b32 exec_lo, exec_lo, s34
	s_delay_alu instid0(SALU_CYCLE_1)
	s_mov_b32 s34, exec_lo
	v_cmpx_lt_u32_e64 v108, v0
	s_cbranch_execnz .LBB919_493
.LBB919_524:                            ;   in Loop: Header=BB919_392 Depth=2
	s_or_b32 exec_lo, exec_lo, s34
	s_delay_alu instid0(SALU_CYCLE_1)
	s_mov_b32 s34, exec_lo
	v_cmpx_lt_u32_e64 v109, v0
	s_cbranch_execz .LBB919_494
.LBB919_525:                            ;   in Loop: Header=BB919_392 Depth=2
	global_load_b64 v[33:34], v[2:3], off offset:1280
	s_or_b32 exec_lo, exec_lo, s34
	s_delay_alu instid0(SALU_CYCLE_1)
	s_mov_b32 s34, exec_lo
	v_cmpx_lt_u32_e64 v110, v0
	s_cbranch_execnz .LBB919_495
.LBB919_526:                            ;   in Loop: Header=BB919_392 Depth=2
	s_or_b32 exec_lo, exec_lo, s34
	s_delay_alu instid0(SALU_CYCLE_1)
	s_mov_b32 s34, exec_lo
	v_cmpx_lt_u32_e64 v111, v0
	s_cbranch_execz .LBB919_496
.LBB919_527:                            ;   in Loop: Header=BB919_392 Depth=2
	global_load_b64 v[29:30], v[2:3], off offset:1792
	s_or_b32 exec_lo, exec_lo, s34
	s_delay_alu instid0(SALU_CYCLE_1)
	s_mov_b32 s34, exec_lo
	v_cmpx_lt_u32_e64 v112, v0
	s_cbranch_execnz .LBB919_497
.LBB919_528:                            ;   in Loop: Header=BB919_392 Depth=2
	s_or_b32 exec_lo, exec_lo, s34
	s_delay_alu instid0(SALU_CYCLE_1)
	s_mov_b32 s34, exec_lo
	v_cmpx_lt_u32_e64 v113, v0
	s_cbranch_execz .LBB919_498
.LBB919_529:                            ;   in Loop: Header=BB919_392 Depth=2
	global_load_b64 v[25:26], v[2:3], off offset:2304
	s_or_b32 exec_lo, exec_lo, s34
	s_delay_alu instid0(SALU_CYCLE_1)
	s_mov_b32 s34, exec_lo
	v_cmpx_lt_u32_e64 v114, v0
	s_cbranch_execnz .LBB919_499
.LBB919_530:                            ;   in Loop: Header=BB919_392 Depth=2
	s_or_b32 exec_lo, exec_lo, s34
	s_delay_alu instid0(SALU_CYCLE_1)
	s_mov_b32 s34, exec_lo
	v_cmpx_lt_u32_e64 v115, v0
	s_cbranch_execz .LBB919_500
.LBB919_531:                            ;   in Loop: Header=BB919_392 Depth=2
	global_load_b64 v[21:22], v[2:3], off offset:2816
	s_or_b32 exec_lo, exec_lo, s34
	s_delay_alu instid0(SALU_CYCLE_1)
	s_mov_b32 s34, exec_lo
	v_cmpx_lt_u32_e64 v116, v0
	s_cbranch_execnz .LBB919_501
.LBB919_532:                            ;   in Loop: Header=BB919_392 Depth=2
	s_or_b32 exec_lo, exec_lo, s34
	s_delay_alu instid0(SALU_CYCLE_1)
	s_mov_b32 s34, exec_lo
	v_cmpx_lt_u32_e64 v117, v0
	s_cbranch_execz .LBB919_502
.LBB919_533:                            ;   in Loop: Header=BB919_392 Depth=2
	global_load_b64 v[14:15], v[2:3], off offset:3328
	s_or_b32 exec_lo, exec_lo, s34
	s_delay_alu instid0(SALU_CYCLE_1)
	s_mov_b32 s34, exec_lo
	v_cmpx_lt_u32_e64 v118, v0
	s_cbranch_execnz .LBB919_503
.LBB919_534:                            ;   in Loop: Header=BB919_392 Depth=2
	s_or_b32 exec_lo, exec_lo, s34
	s_delay_alu instid0(SALU_CYCLE_1)
	s_mov_b32 s34, exec_lo
	v_cmpx_lt_u32_e64 v119, v0
	s_cbranch_execz .LBB919_504
.LBB919_535:                            ;   in Loop: Header=BB919_392 Depth=2
	global_load_b64 v[10:11], v[2:3], off offset:3840
	s_or_b32 exec_lo, exec_lo, s34
	s_and_saveexec_b32 s33, vcc_lo
	s_cbranch_execnz .LBB919_505
.LBB919_536:                            ;   in Loop: Header=BB919_392 Depth=2
	s_or_b32 exec_lo, exec_lo, s33
	s_and_saveexec_b32 s33, s16
	s_cbranch_execz .LBB919_506
.LBB919_537:                            ;   in Loop: Header=BB919_392 Depth=2
	ds_load_u16 v0, v83 offset:512
	s_waitcnt lgkmcnt(0)
	v_lshrrev_b32_e32 v0, s42, v0
	s_delay_alu instid0(VALU_DEP_1)
	v_and_b32_e32 v139, s43, v0
	s_or_b32 exec_lo, exec_lo, s33
	s_and_saveexec_b32 s33, s17
	s_cbranch_execnz .LBB919_507
.LBB919_538:                            ;   in Loop: Header=BB919_392 Depth=2
	s_or_b32 exec_lo, exec_lo, s33
	s_and_saveexec_b32 s33, s18
	s_cbranch_execz .LBB919_508
.LBB919_539:                            ;   in Loop: Header=BB919_392 Depth=2
	ds_load_u16 v0, v83 offset:1536
	s_waitcnt lgkmcnt(0)
	v_lshrrev_b32_e32 v0, s42, v0
	s_delay_alu instid0(VALU_DEP_1)
	v_and_b32_e32 v137, s43, v0
	s_or_b32 exec_lo, exec_lo, s33
	s_and_saveexec_b32 s33, s19
	s_cbranch_execnz .LBB919_509
.LBB919_540:                            ;   in Loop: Header=BB919_392 Depth=2
	s_or_b32 exec_lo, exec_lo, s33
	s_and_saveexec_b32 s33, s20
	s_cbranch_execz .LBB919_510
.LBB919_541:                            ;   in Loop: Header=BB919_392 Depth=2
	ds_load_u16 v0, v83 offset:2560
	s_waitcnt lgkmcnt(0)
	v_lshrrev_b32_e32 v0, s42, v0
	s_delay_alu instid0(VALU_DEP_1)
	v_and_b32_e32 v135, s43, v0
	s_or_b32 exec_lo, exec_lo, s33
	s_and_saveexec_b32 s33, s21
	s_cbranch_execnz .LBB919_511
.LBB919_542:                            ;   in Loop: Header=BB919_392 Depth=2
	s_or_b32 exec_lo, exec_lo, s33
	s_and_saveexec_b32 s33, s22
	s_cbranch_execz .LBB919_512
.LBB919_543:                            ;   in Loop: Header=BB919_392 Depth=2
	ds_load_u16 v0, v83 offset:3584
	s_waitcnt lgkmcnt(0)
	v_lshrrev_b32_e32 v0, s42, v0
	s_delay_alu instid0(VALU_DEP_1)
	v_and_b32_e32 v133, s43, v0
	s_or_b32 exec_lo, exec_lo, s33
	s_and_saveexec_b32 s33, s23
	s_cbranch_execnz .LBB919_513
.LBB919_544:                            ;   in Loop: Header=BB919_392 Depth=2
	s_or_b32 exec_lo, exec_lo, s33
	s_and_saveexec_b32 s33, s24
	s_cbranch_execz .LBB919_514
.LBB919_545:                            ;   in Loop: Header=BB919_392 Depth=2
	ds_load_u16 v0, v83 offset:4608
	s_waitcnt lgkmcnt(0)
	v_lshrrev_b32_e32 v0, s42, v0
	s_delay_alu instid0(VALU_DEP_1)
	v_and_b32_e32 v131, s43, v0
	s_or_b32 exec_lo, exec_lo, s33
	s_and_saveexec_b32 s33, s25
	s_cbranch_execnz .LBB919_515
.LBB919_546:                            ;   in Loop: Header=BB919_392 Depth=2
	s_or_b32 exec_lo, exec_lo, s33
	s_and_saveexec_b32 s33, s27
	s_cbranch_execz .LBB919_516
.LBB919_547:                            ;   in Loop: Header=BB919_392 Depth=2
	ds_load_u16 v0, v83 offset:5632
	s_waitcnt lgkmcnt(0)
	v_lshrrev_b32_e32 v0, s42, v0
	s_delay_alu instid0(VALU_DEP_1)
	v_and_b32_e32 v129, s43, v0
	s_or_b32 exec_lo, exec_lo, s33
	s_and_saveexec_b32 s33, s28
	s_cbranch_execnz .LBB919_517
.LBB919_548:                            ;   in Loop: Header=BB919_392 Depth=2
	s_or_b32 exec_lo, exec_lo, s33
	s_and_saveexec_b32 s33, s29
	s_cbranch_execz .LBB919_518
.LBB919_549:                            ;   in Loop: Header=BB919_392 Depth=2
	ds_load_u16 v0, v83 offset:6656
	s_waitcnt lgkmcnt(0)
	v_lshrrev_b32_e32 v0, s42, v0
	s_delay_alu instid0(VALU_DEP_1)
	v_and_b32_e32 v127, s43, v0
	s_or_b32 exec_lo, exec_lo, s33
	s_and_saveexec_b32 s33, s30
	s_cbranch_execnz .LBB919_519
.LBB919_550:                            ;   in Loop: Header=BB919_392 Depth=2
	s_or_b32 exec_lo, exec_lo, s33
	s_and_saveexec_b32 s33, s31
	s_cbranch_execz .LBB919_552
.LBB919_551:                            ;   in Loop: Header=BB919_392 Depth=2
	ds_load_u16 v0, v83 offset:7680
	s_waitcnt lgkmcnt(0)
	v_lshrrev_b32_e32 v0, s42, v0
	s_delay_alu instid0(VALU_DEP_1)
	v_and_b32_e32 v125, s43, v0
.LBB919_552:                            ;   in Loop: Header=BB919_392 Depth=2
	s_or_b32 exec_lo, exec_lo, s33
	v_lshlrev_b32_e32 v0, 3, v159
	v_lshlrev_b32_e32 v2, 3, v155
	s_waitcnt vmcnt(0)
	s_waitcnt_vscnt null, 0x0
	s_barrier
	buffer_gl0_inv
	ds_store_b64 v0, v[43:44] offset:1024
	v_lshlrev_b32_e32 v0, 3, v151
	v_lshlrev_b32_e32 v3, 3, v150
	;; [unrolled: 1-line block ×4, first 2 shown]
	ds_store_b64 v2, v[41:42] offset:1024
	ds_store_b64 v0, v[39:40] offset:1024
	;; [unrolled: 1-line block ×5, first 2 shown]
	v_lshlrev_b32_e32 v0, 3, v146
	v_lshlrev_b32_e32 v2, 3, v145
	;; [unrolled: 1-line block ×5, first 2 shown]
	ds_store_b64 v0, v[31:32] offset:1024
	ds_store_b64 v2, v[29:30] offset:1024
	;; [unrolled: 1-line block ×5, first 2 shown]
	v_lshlrev_b32_e32 v0, 3, v6
	v_lshlrev_b32_e32 v2, 3, v5
	;; [unrolled: 1-line block ×5, first 2 shown]
	ds_store_b64 v0, v[21:22] offset:1024
	ds_store_b64 v2, v[16:17] offset:1024
	;; [unrolled: 1-line block ×5, first 2 shown]
	s_waitcnt lgkmcnt(0)
	s_barrier
	buffer_gl0_inv
	s_and_saveexec_b32 s33, vcc_lo
	s_cbranch_execz .LBB919_568
; %bb.553:                              ;   in Loop: Header=BB919_392 Depth=2
	v_lshlrev_b32_e32 v0, 2, v140
	ds_load_b32 v0, v0
	ds_load_b64 v[2:3], v84 offset:1024
	s_waitcnt lgkmcnt(1)
	v_add_nc_u32_e32 v19, v0, v18
	s_delay_alu instid0(VALU_DEP_1) | instskip(NEXT) | instid1(VALU_DEP_1)
	v_lshlrev_b64 v[5:6], 3, v[19:20]
	v_add_co_u32 v5, vcc_lo, s54, v5
	s_delay_alu instid0(VALU_DEP_2)
	v_add_co_ci_u32_e32 v6, vcc_lo, s55, v6, vcc_lo
	s_waitcnt lgkmcnt(0)
	global_store_b64 v[5:6], v[2:3], off
	s_or_b32 exec_lo, exec_lo, s33
	s_and_saveexec_b32 s33, s16
	s_cbranch_execnz .LBB919_569
.LBB919_554:                            ;   in Loop: Header=BB919_392 Depth=2
	s_or_b32 exec_lo, exec_lo, s33
	s_and_saveexec_b32 s16, s17
	s_cbranch_execz .LBB919_570
.LBB919_555:                            ;   in Loop: Header=BB919_392 Depth=2
	v_lshlrev_b32_e32 v0, 2, v138
	v_add_nc_u32_e32 v2, v83, v85
	ds_load_b32 v0, v0
	ds_load_b64 v[2:3], v2 offset:4096
	s_waitcnt lgkmcnt(1)
	v_add_nc_u32_e32 v19, v0, v49
	s_delay_alu instid0(VALU_DEP_1) | instskip(NEXT) | instid1(VALU_DEP_1)
	v_lshlrev_b64 v[5:6], 3, v[19:20]
	v_add_co_u32 v5, vcc_lo, s54, v5
	s_delay_alu instid0(VALU_DEP_2)
	v_add_co_ci_u32_e32 v6, vcc_lo, s55, v6, vcc_lo
	s_waitcnt lgkmcnt(0)
	global_store_b64 v[5:6], v[2:3], off
	s_or_b32 exec_lo, exec_lo, s16
	s_and_saveexec_b32 s16, s18
	s_cbranch_execnz .LBB919_571
.LBB919_556:                            ;   in Loop: Header=BB919_392 Depth=2
	s_or_b32 exec_lo, exec_lo, s16
	s_and_saveexec_b32 s16, s19
	s_cbranch_execz .LBB919_572
.LBB919_557:                            ;   in Loop: Header=BB919_392 Depth=2
	v_lshlrev_b32_e32 v0, 2, v136
	v_add_nc_u32_e32 v2, v83, v85
	ds_load_b32 v0, v0
	ds_load_b64 v[2:3], v2 offset:8192
	s_waitcnt lgkmcnt(1)
	v_add_nc_u32_e32 v19, v0, v54
	s_delay_alu instid0(VALU_DEP_1) | instskip(NEXT) | instid1(VALU_DEP_1)
	v_lshlrev_b64 v[5:6], 3, v[19:20]
	v_add_co_u32 v5, vcc_lo, s54, v5
	s_delay_alu instid0(VALU_DEP_2)
	v_add_co_ci_u32_e32 v6, vcc_lo, s55, v6, vcc_lo
	s_waitcnt lgkmcnt(0)
	global_store_b64 v[5:6], v[2:3], off
	s_or_b32 exec_lo, exec_lo, s16
	s_and_saveexec_b32 s16, s20
	s_cbranch_execnz .LBB919_573
.LBB919_558:                            ;   in Loop: Header=BB919_392 Depth=2
	s_or_b32 exec_lo, exec_lo, s16
	s_and_saveexec_b32 s16, s21
	s_cbranch_execz .LBB919_574
.LBB919_559:                            ;   in Loop: Header=BB919_392 Depth=2
	v_lshlrev_b32_e32 v0, 2, v134
	v_add_nc_u32_e32 v2, v83, v85
	ds_load_b32 v0, v0
	ds_load_b64 v[2:3], v2 offset:12288
	s_waitcnt lgkmcnt(1)
	v_add_nc_u32_e32 v19, v0, v56
	s_delay_alu instid0(VALU_DEP_1) | instskip(NEXT) | instid1(VALU_DEP_1)
	v_lshlrev_b64 v[5:6], 3, v[19:20]
	v_add_co_u32 v5, vcc_lo, s54, v5
	s_delay_alu instid0(VALU_DEP_2)
	v_add_co_ci_u32_e32 v6, vcc_lo, s55, v6, vcc_lo
	s_waitcnt lgkmcnt(0)
	global_store_b64 v[5:6], v[2:3], off
	s_or_b32 exec_lo, exec_lo, s16
	s_and_saveexec_b32 s16, s22
	s_cbranch_execnz .LBB919_575
.LBB919_560:                            ;   in Loop: Header=BB919_392 Depth=2
	s_or_b32 exec_lo, exec_lo, s16
	s_and_saveexec_b32 s16, s23
	s_cbranch_execz .LBB919_576
.LBB919_561:                            ;   in Loop: Header=BB919_392 Depth=2
	v_lshlrev_b32_e32 v0, 2, v132
	v_add_nc_u32_e32 v2, v83, v85
	ds_load_b32 v0, v0
	ds_load_b64 v[2:3], v2 offset:16384
	s_waitcnt lgkmcnt(1)
	v_add_nc_u32_e32 v19, v0, v58
	s_delay_alu instid0(VALU_DEP_1) | instskip(NEXT) | instid1(VALU_DEP_1)
	v_lshlrev_b64 v[5:6], 3, v[19:20]
	v_add_co_u32 v5, vcc_lo, s54, v5
	s_delay_alu instid0(VALU_DEP_2)
	v_add_co_ci_u32_e32 v6, vcc_lo, s55, v6, vcc_lo
	s_waitcnt lgkmcnt(0)
	global_store_b64 v[5:6], v[2:3], off
	s_or_b32 exec_lo, exec_lo, s16
	s_and_saveexec_b32 s16, s24
	s_cbranch_execnz .LBB919_577
.LBB919_562:                            ;   in Loop: Header=BB919_392 Depth=2
	s_or_b32 exec_lo, exec_lo, s16
	s_and_saveexec_b32 s16, s25
	s_cbranch_execz .LBB919_578
.LBB919_563:                            ;   in Loop: Header=BB919_392 Depth=2
	v_lshlrev_b32_e32 v0, 2, v130
	v_add_nc_u32_e32 v2, v83, v85
	ds_load_b32 v0, v0
	ds_load_b64 v[2:3], v2 offset:20480
	s_waitcnt lgkmcnt(1)
	v_add_nc_u32_e32 v19, v0, v60
	s_delay_alu instid0(VALU_DEP_1) | instskip(NEXT) | instid1(VALU_DEP_1)
	v_lshlrev_b64 v[5:6], 3, v[19:20]
	v_add_co_u32 v5, vcc_lo, s54, v5
	s_delay_alu instid0(VALU_DEP_2)
	v_add_co_ci_u32_e32 v6, vcc_lo, s55, v6, vcc_lo
	s_waitcnt lgkmcnt(0)
	global_store_b64 v[5:6], v[2:3], off
	s_or_b32 exec_lo, exec_lo, s16
	s_and_saveexec_b32 s16, s27
	s_cbranch_execnz .LBB919_579
.LBB919_564:                            ;   in Loop: Header=BB919_392 Depth=2
	s_or_b32 exec_lo, exec_lo, s16
	s_and_saveexec_b32 s16, s28
	s_cbranch_execz .LBB919_580
.LBB919_565:                            ;   in Loop: Header=BB919_392 Depth=2
	v_lshlrev_b32_e32 v0, 2, v128
	v_add_nc_u32_e32 v2, v83, v85
	ds_load_b32 v0, v0
	ds_load_b64 v[2:3], v2 offset:24576
	s_waitcnt lgkmcnt(1)
	v_add_nc_u32_e32 v19, v0, v62
	s_delay_alu instid0(VALU_DEP_1) | instskip(NEXT) | instid1(VALU_DEP_1)
	v_lshlrev_b64 v[5:6], 3, v[19:20]
	v_add_co_u32 v5, vcc_lo, s54, v5
	s_delay_alu instid0(VALU_DEP_2)
	v_add_co_ci_u32_e32 v6, vcc_lo, s55, v6, vcc_lo
	s_waitcnt lgkmcnt(0)
	global_store_b64 v[5:6], v[2:3], off
	s_or_b32 exec_lo, exec_lo, s16
	s_and_saveexec_b32 s16, s29
	s_cbranch_execnz .LBB919_581
.LBB919_566:                            ;   in Loop: Header=BB919_392 Depth=2
	s_or_b32 exec_lo, exec_lo, s16
	s_and_saveexec_b32 s16, s30
	s_cbranch_execz .LBB919_582
.LBB919_567:                            ;   in Loop: Header=BB919_392 Depth=2
	v_lshlrev_b32_e32 v0, 2, v126
	v_add_nc_u32_e32 v2, v83, v85
	ds_load_b32 v0, v0
	ds_load_b64 v[2:3], v2 offset:28672
	s_waitcnt lgkmcnt(1)
	v_add_nc_u32_e32 v19, v0, v64
	s_delay_alu instid0(VALU_DEP_1) | instskip(NEXT) | instid1(VALU_DEP_1)
	v_lshlrev_b64 v[5:6], 3, v[19:20]
	v_add_co_u32 v5, vcc_lo, s54, v5
	s_delay_alu instid0(VALU_DEP_2)
	v_add_co_ci_u32_e32 v6, vcc_lo, s55, v6, vcc_lo
	s_waitcnt lgkmcnt(0)
	global_store_b64 v[5:6], v[2:3], off
	s_or_b32 exec_lo, exec_lo, s16
	s_and_saveexec_b32 s16, s31
	s_cbranch_execnz .LBB919_583
	s_branch .LBB919_584
.LBB919_568:                            ;   in Loop: Header=BB919_392 Depth=2
	s_or_b32 exec_lo, exec_lo, s33
	s_and_saveexec_b32 s33, s16
	s_cbranch_execz .LBB919_554
.LBB919_569:                            ;   in Loop: Header=BB919_392 Depth=2
	v_lshlrev_b32_e32 v0, 2, v139
	v_add_nc_u32_e32 v2, v83, v85
	ds_load_b32 v0, v0
	ds_load_b64 v[2:3], v2 offset:2048
	s_waitcnt lgkmcnt(1)
	v_add_nc_u32_e32 v19, v0, v48
	s_delay_alu instid0(VALU_DEP_1) | instskip(NEXT) | instid1(VALU_DEP_1)
	v_lshlrev_b64 v[5:6], 3, v[19:20]
	v_add_co_u32 v5, vcc_lo, s54, v5
	s_delay_alu instid0(VALU_DEP_2)
	v_add_co_ci_u32_e32 v6, vcc_lo, s55, v6, vcc_lo
	s_waitcnt lgkmcnt(0)
	global_store_b64 v[5:6], v[2:3], off
	s_or_b32 exec_lo, exec_lo, s33
	s_and_saveexec_b32 s16, s17
	s_cbranch_execnz .LBB919_555
.LBB919_570:                            ;   in Loop: Header=BB919_392 Depth=2
	s_or_b32 exec_lo, exec_lo, s16
	s_and_saveexec_b32 s16, s18
	s_cbranch_execz .LBB919_556
.LBB919_571:                            ;   in Loop: Header=BB919_392 Depth=2
	v_lshlrev_b32_e32 v0, 2, v137
	v_add_nc_u32_e32 v2, v83, v85
	ds_load_b32 v0, v0
	ds_load_b64 v[2:3], v2 offset:6144
	s_waitcnt lgkmcnt(1)
	v_add_nc_u32_e32 v19, v0, v50
	s_delay_alu instid0(VALU_DEP_1) | instskip(NEXT) | instid1(VALU_DEP_1)
	v_lshlrev_b64 v[5:6], 3, v[19:20]
	v_add_co_u32 v5, vcc_lo, s54, v5
	s_delay_alu instid0(VALU_DEP_2)
	v_add_co_ci_u32_e32 v6, vcc_lo, s55, v6, vcc_lo
	s_waitcnt lgkmcnt(0)
	global_store_b64 v[5:6], v[2:3], off
	s_or_b32 exec_lo, exec_lo, s16
	s_and_saveexec_b32 s16, s19
	s_cbranch_execnz .LBB919_557
.LBB919_572:                            ;   in Loop: Header=BB919_392 Depth=2
	s_or_b32 exec_lo, exec_lo, s16
	s_and_saveexec_b32 s16, s20
	s_cbranch_execz .LBB919_558
.LBB919_573:                            ;   in Loop: Header=BB919_392 Depth=2
	v_lshlrev_b32_e32 v0, 2, v135
	v_add_nc_u32_e32 v2, v83, v85
	ds_load_b32 v0, v0
	ds_load_b64 v[2:3], v2 offset:10240
	s_waitcnt lgkmcnt(1)
	v_add_nc_u32_e32 v19, v0, v55
	s_delay_alu instid0(VALU_DEP_1) | instskip(NEXT) | instid1(VALU_DEP_1)
	v_lshlrev_b64 v[5:6], 3, v[19:20]
	v_add_co_u32 v5, vcc_lo, s54, v5
	s_delay_alu instid0(VALU_DEP_2)
	v_add_co_ci_u32_e32 v6, vcc_lo, s55, v6, vcc_lo
	s_waitcnt lgkmcnt(0)
	global_store_b64 v[5:6], v[2:3], off
	s_or_b32 exec_lo, exec_lo, s16
	s_and_saveexec_b32 s16, s21
	s_cbranch_execnz .LBB919_559
.LBB919_574:                            ;   in Loop: Header=BB919_392 Depth=2
	s_or_b32 exec_lo, exec_lo, s16
	s_and_saveexec_b32 s16, s22
	s_cbranch_execz .LBB919_560
.LBB919_575:                            ;   in Loop: Header=BB919_392 Depth=2
	v_lshlrev_b32_e32 v0, 2, v133
	v_add_nc_u32_e32 v2, v83, v85
	ds_load_b32 v0, v0
	ds_load_b64 v[2:3], v2 offset:14336
	s_waitcnt lgkmcnt(1)
	v_add_nc_u32_e32 v19, v0, v57
	s_delay_alu instid0(VALU_DEP_1) | instskip(NEXT) | instid1(VALU_DEP_1)
	v_lshlrev_b64 v[5:6], 3, v[19:20]
	v_add_co_u32 v5, vcc_lo, s54, v5
	s_delay_alu instid0(VALU_DEP_2)
	v_add_co_ci_u32_e32 v6, vcc_lo, s55, v6, vcc_lo
	s_waitcnt lgkmcnt(0)
	global_store_b64 v[5:6], v[2:3], off
	s_or_b32 exec_lo, exec_lo, s16
	s_and_saveexec_b32 s16, s23
	s_cbranch_execnz .LBB919_561
.LBB919_576:                            ;   in Loop: Header=BB919_392 Depth=2
	s_or_b32 exec_lo, exec_lo, s16
	s_and_saveexec_b32 s16, s24
	s_cbranch_execz .LBB919_562
.LBB919_577:                            ;   in Loop: Header=BB919_392 Depth=2
	v_lshlrev_b32_e32 v0, 2, v131
	v_add_nc_u32_e32 v2, v83, v85
	ds_load_b32 v0, v0
	ds_load_b64 v[2:3], v2 offset:18432
	s_waitcnt lgkmcnt(1)
	v_add_nc_u32_e32 v19, v0, v59
	s_delay_alu instid0(VALU_DEP_1) | instskip(NEXT) | instid1(VALU_DEP_1)
	v_lshlrev_b64 v[5:6], 3, v[19:20]
	v_add_co_u32 v5, vcc_lo, s54, v5
	s_delay_alu instid0(VALU_DEP_2)
	v_add_co_ci_u32_e32 v6, vcc_lo, s55, v6, vcc_lo
	s_waitcnt lgkmcnt(0)
	global_store_b64 v[5:6], v[2:3], off
	s_or_b32 exec_lo, exec_lo, s16
	s_and_saveexec_b32 s16, s25
	s_cbranch_execnz .LBB919_563
.LBB919_578:                            ;   in Loop: Header=BB919_392 Depth=2
	s_or_b32 exec_lo, exec_lo, s16
	s_and_saveexec_b32 s16, s27
	s_cbranch_execz .LBB919_564
.LBB919_579:                            ;   in Loop: Header=BB919_392 Depth=2
	v_lshlrev_b32_e32 v0, 2, v129
	v_add_nc_u32_e32 v2, v83, v85
	ds_load_b32 v0, v0
	ds_load_b64 v[2:3], v2 offset:22528
	s_waitcnt lgkmcnt(1)
	v_add_nc_u32_e32 v19, v0, v61
	s_delay_alu instid0(VALU_DEP_1) | instskip(NEXT) | instid1(VALU_DEP_1)
	v_lshlrev_b64 v[5:6], 3, v[19:20]
	v_add_co_u32 v5, vcc_lo, s54, v5
	s_delay_alu instid0(VALU_DEP_2)
	v_add_co_ci_u32_e32 v6, vcc_lo, s55, v6, vcc_lo
	s_waitcnt lgkmcnt(0)
	global_store_b64 v[5:6], v[2:3], off
	s_or_b32 exec_lo, exec_lo, s16
	s_and_saveexec_b32 s16, s28
	s_cbranch_execnz .LBB919_565
.LBB919_580:                            ;   in Loop: Header=BB919_392 Depth=2
	s_or_b32 exec_lo, exec_lo, s16
	s_and_saveexec_b32 s16, s29
	s_cbranch_execz .LBB919_566
.LBB919_581:                            ;   in Loop: Header=BB919_392 Depth=2
	v_lshlrev_b32_e32 v0, 2, v127
	v_add_nc_u32_e32 v2, v83, v85
	ds_load_b32 v0, v0
	ds_load_b64 v[2:3], v2 offset:26624
	s_waitcnt lgkmcnt(1)
	v_add_nc_u32_e32 v19, v0, v63
	s_delay_alu instid0(VALU_DEP_1) | instskip(NEXT) | instid1(VALU_DEP_1)
	v_lshlrev_b64 v[5:6], 3, v[19:20]
	v_add_co_u32 v5, vcc_lo, s54, v5
	s_delay_alu instid0(VALU_DEP_2)
	v_add_co_ci_u32_e32 v6, vcc_lo, s55, v6, vcc_lo
	s_waitcnt lgkmcnt(0)
	global_store_b64 v[5:6], v[2:3], off
	s_or_b32 exec_lo, exec_lo, s16
	s_and_saveexec_b32 s16, s30
	s_cbranch_execnz .LBB919_567
.LBB919_582:                            ;   in Loop: Header=BB919_392 Depth=2
	s_or_b32 exec_lo, exec_lo, s16
	s_and_saveexec_b32 s16, s31
	s_cbranch_execz .LBB919_584
.LBB919_583:                            ;   in Loop: Header=BB919_392 Depth=2
	v_lshlrev_b32_e32 v0, 2, v125
	v_add_nc_u32_e32 v2, v83, v85
	ds_load_b32 v0, v0
	ds_load_b64 v[2:3], v2 offset:30720
	s_waitcnt lgkmcnt(1)
	v_add_nc_u32_e32 v19, v0, v66
	s_delay_alu instid0(VALU_DEP_1) | instskip(NEXT) | instid1(VALU_DEP_1)
	v_lshlrev_b64 v[5:6], 3, v[19:20]
	v_add_co_u32 v5, vcc_lo, s54, v5
	s_delay_alu instid0(VALU_DEP_2)
	v_add_co_ci_u32_e32 v6, vcc_lo, s55, v6, vcc_lo
	s_waitcnt lgkmcnt(0)
	global_store_b64 v[5:6], v[2:3], off
.LBB919_584:                            ;   in Loop: Header=BB919_392 Depth=2
	s_or_b32 exec_lo, exec_lo, s16
	s_waitcnt_vscnt null, 0x0
	s_barrier
	buffer_gl0_inv
	s_and_saveexec_b32 s16, s2
	s_cbranch_execz .LBB919_391
; %bb.585:                              ;   in Loop: Header=BB919_392 Depth=2
	ds_load_b32 v0, v47
	s_waitcnt lgkmcnt(0)
	v_add_nc_u32_e32 v0, v0, v4
	ds_store_b32 v47, v0
	s_branch .LBB919_391
.LBB919_586:                            ;   in Loop: Header=BB919_392 Depth=2
	s_or_b32 exec_lo, exec_lo, s16
	s_delay_alu instid0(SALU_CYCLE_1)
	s_mov_b32 s16, exec_lo
	v_cmpx_gt_u32_e64 s56, v105
	s_cbranch_execz .LBB919_397
.LBB919_587:                            ;   in Loop: Header=BB919_392 Depth=2
	global_load_d16_hi_b16 v2, v[45:46], off offset:64
	s_or_b32 exec_lo, exec_lo, s16
	s_delay_alu instid0(SALU_CYCLE_1)
	s_mov_b32 s16, exec_lo
	v_cmpx_gt_u32_e64 s56, v106
	s_cbranch_execnz .LBB919_398
.LBB919_588:                            ;   in Loop: Header=BB919_392 Depth=2
	s_or_b32 exec_lo, exec_lo, s16
	s_delay_alu instid0(SALU_CYCLE_1)
	s_mov_b32 s16, exec_lo
	v_cmpx_gt_u32_e64 s56, v107
	s_cbranch_execz .LBB919_399
.LBB919_589:                            ;   in Loop: Header=BB919_392 Depth=2
	global_load_d16_hi_b16 v3, v[45:46], off offset:192
	s_or_b32 exec_lo, exec_lo, s16
	s_delay_alu instid0(SALU_CYCLE_1)
	s_mov_b32 s16, exec_lo
	v_cmpx_gt_u32_e64 s56, v108
	s_cbranch_execnz .LBB919_400
.LBB919_590:                            ;   in Loop: Header=BB919_392 Depth=2
	s_or_b32 exec_lo, exec_lo, s16
	s_delay_alu instid0(SALU_CYCLE_1)
	s_mov_b32 s16, exec_lo
	v_cmpx_gt_u32_e64 s56, v109
	s_cbranch_execz .LBB919_401
.LBB919_591:                            ;   in Loop: Header=BB919_392 Depth=2
	global_load_d16_hi_b16 v4, v[45:46], off offset:320
	s_or_b32 exec_lo, exec_lo, s16
	s_delay_alu instid0(SALU_CYCLE_1)
	s_mov_b32 s16, exec_lo
	v_cmpx_gt_u32_e64 s56, v110
	s_cbranch_execnz .LBB919_402
.LBB919_592:                            ;   in Loop: Header=BB919_392 Depth=2
	s_or_b32 exec_lo, exec_lo, s16
	s_delay_alu instid0(SALU_CYCLE_1)
	s_mov_b32 s16, exec_lo
	v_cmpx_gt_u32_e64 s56, v111
	s_cbranch_execz .LBB919_403
.LBB919_593:                            ;   in Loop: Header=BB919_392 Depth=2
	global_load_d16_hi_b16 v5, v[45:46], off offset:448
	s_or_b32 exec_lo, exec_lo, s16
	s_delay_alu instid0(SALU_CYCLE_1)
	s_mov_b32 s16, exec_lo
	v_cmpx_gt_u32_e64 s56, v112
	s_cbranch_execnz .LBB919_404
.LBB919_594:                            ;   in Loop: Header=BB919_392 Depth=2
	s_or_b32 exec_lo, exec_lo, s16
	s_delay_alu instid0(SALU_CYCLE_1)
	s_mov_b32 s16, exec_lo
	v_cmpx_gt_u32_e64 s56, v113
	s_cbranch_execz .LBB919_405
.LBB919_595:                            ;   in Loop: Header=BB919_392 Depth=2
	global_load_d16_hi_b16 v6, v[45:46], off offset:576
	s_or_b32 exec_lo, exec_lo, s16
	s_delay_alu instid0(SALU_CYCLE_1)
	s_mov_b32 s16, exec_lo
	v_cmpx_gt_u32_e64 s56, v114
	s_cbranch_execnz .LBB919_406
.LBB919_596:                            ;   in Loop: Header=BB919_392 Depth=2
	s_or_b32 exec_lo, exec_lo, s16
	s_delay_alu instid0(SALU_CYCLE_1)
	s_mov_b32 s16, exec_lo
	v_cmpx_gt_u32_e64 s56, v115
	s_cbranch_execz .LBB919_407
.LBB919_597:                            ;   in Loop: Header=BB919_392 Depth=2
	global_load_d16_hi_b16 v7, v[45:46], off offset:704
	s_or_b32 exec_lo, exec_lo, s16
	s_delay_alu instid0(SALU_CYCLE_1)
	s_mov_b32 s16, exec_lo
	v_cmpx_gt_u32_e64 s56, v116
	s_cbranch_execnz .LBB919_408
.LBB919_598:                            ;   in Loop: Header=BB919_392 Depth=2
	s_or_b32 exec_lo, exec_lo, s16
	s_delay_alu instid0(SALU_CYCLE_1)
	s_mov_b32 s16, exec_lo
	v_cmpx_gt_u32_e64 s56, v117
	s_cbranch_execz .LBB919_409
.LBB919_599:                            ;   in Loop: Header=BB919_392 Depth=2
	global_load_d16_hi_b16 v8, v[45:46], off offset:832
	s_or_b32 exec_lo, exec_lo, s16
	s_delay_alu instid0(SALU_CYCLE_1)
	s_mov_b32 s16, exec_lo
	v_cmpx_gt_u32_e64 s56, v118
	s_cbranch_execnz .LBB919_410
	s_branch .LBB919_411
.LBB919_600:                            ;   in Loop: Header=BB919_12 Depth=1
	s_waitcnt lgkmcnt(0)
	s_barrier
.LBB919_601:                            ;   in Loop: Header=BB919_12 Depth=1
	s_mov_b32 s1, 0
.LBB919_602:                            ;   in Loop: Header=BB919_12 Depth=1
	s_delay_alu instid0(SALU_CYCLE_1)
	s_and_not1_b32 vcc_lo, exec_lo, s1
	s_cbranch_vccnz .LBB919_11
; %bb.603:                              ;   in Loop: Header=BB919_12 Depth=1
	s_and_b32 vcc_lo, exec_lo, s59
	s_mov_b32 s1, -1
	s_cbranch_vccz .LBB919_897
; %bb.604:                              ;   in Loop: Header=BB919_12 Depth=1
	s_mov_b32 s1, s64
	s_mov_b32 s34, s62
	s_barrier
	buffer_gl0_inv
                                        ; implicit-def: $vgpr2_vgpr3_vgpr4_vgpr5_vgpr6_vgpr7_vgpr8_vgpr9
	s_branch .LBB919_606
.LBB919_605:                            ;   in Loop: Header=BB919_606 Depth=2
	s_or_b32 exec_lo, exec_lo, s8
	s_addk_i32 s1, 0xf000
	s_cmp_ge_u32 s7, s63
	s_mov_b32 s34, s7
	s_cbranch_scc1 .LBB919_676
.LBB919_606:                            ;   Parent Loop BB919_12 Depth=1
                                        ; =>  This Inner Loop Header: Depth=2
	s_add_i32 s7, s34, 0x1000
	s_delay_alu instid0(SALU_CYCLE_1)
	s_cmp_gt_u32 s7, s63
	s_cbranch_scc1 .LBB919_609
; %bb.607:                              ;   in Loop: Header=BB919_606 Depth=2
	s_mov_b32 s9, 0
	s_mov_b32 s8, s34
	s_waitcnt vmcnt(7)
	v_mov_b32_e32 v17, v9
	s_lshl_b64 s[10:11], s[8:9], 1
	s_delay_alu instid0(SALU_CYCLE_1) | instskip(SKIP_2) | instid1(VALU_DEP_2)
	v_add_co_u32 v21, vcc_lo, v92, s10
	v_add_co_ci_u32_e32 v22, vcc_lo, s11, v93, vcc_lo
	s_movk_i32 s11, 0x1000
	v_add_co_u32 v23, vcc_lo, 0x1000, v21
	s_delay_alu instid0(VALU_DEP_2)
	v_add_co_ci_u32_e32 v24, vcc_lo, 0, v22, vcc_lo
	s_clause 0x6
	global_load_u16 v10, v[21:22], off
	global_load_u16 v11, v[21:22], off offset:1024
	global_load_u16 v12, v[21:22], off offset:2048
	;; [unrolled: 1-line block ×3, first 2 shown]
	global_load_u16 v14, v[23:24], off
	global_load_u16 v15, v[23:24], off offset:1024
	global_load_u16 v16, v[23:24], off offset:2048
	s_mov_b32 s10, -1
	s_clause 0x7
	global_load_d16_b16 v17, v[23:24], off offset:3072
	global_load_d16_hi_b16 v10, v[21:22], off offset:512
	global_load_d16_hi_b16 v11, v[21:22], off offset:1536
	global_load_d16_hi_b16 v12, v[21:22], off offset:2560
	global_load_d16_hi_b16 v13, v[21:22], off offset:3584
	global_load_d16_hi_b16 v14, v[23:24], off offset:512
	global_load_d16_hi_b16 v15, v[23:24], off offset:1536
	global_load_d16_hi_b16 v16, v[23:24], off offset:2560
	v_add_co_u32 v21, vcc_lo, 0x1e00, v21
	v_add_co_ci_u32_e32 v22, vcc_lo, 0, v22, vcc_lo
	s_cbranch_execz .LBB919_610
; %bb.608:                              ;   in Loop: Header=BB919_606 Depth=2
                                        ; implicit-def: $vgpr2_vgpr3_vgpr4_vgpr5_vgpr6_vgpr7_vgpr8_vgpr9
	v_mov_b32_e32 v0, s1
	s_and_saveexec_b32 s8, s10
	s_cbranch_execnz .LBB919_629
	s_branch .LBB919_630
.LBB919_609:                            ;   in Loop: Header=BB919_606 Depth=2
	s_mov_b32 s10, 0
                                        ; implicit-def: $sgpr11
                                        ; implicit-def: $vgpr10_vgpr11_vgpr12_vgpr13_vgpr14_vgpr15_vgpr16_vgpr17
                                        ; implicit-def: $vgpr21_vgpr22
.LBB919_610:                            ;   in Loop: Header=BB919_606 Depth=2
	s_lshl_b64 s[8:9], s[34:35], 1
	s_mov_b32 s11, exec_lo
	s_add_u32 s8, s36, s8
	s_addc_u32 s9, s37, s9
	v_cmpx_gt_u32_e64 s1, v18
	s_cbranch_execz .LBB919_662
; %bb.611:                              ;   in Loop: Header=BB919_606 Depth=2
	global_load_d16_b16 v2, v99, s[8:9]
	s_or_b32 exec_lo, exec_lo, s11
	s_delay_alu instid0(SALU_CYCLE_1)
	s_mov_b32 s11, exec_lo
	v_cmpx_gt_u32_e64 s1, v48
	s_cbranch_execnz .LBB919_663
.LBB919_612:                            ;   in Loop: Header=BB919_606 Depth=2
	s_or_b32 exec_lo, exec_lo, s11
	s_delay_alu instid0(SALU_CYCLE_1)
	s_mov_b32 s11, exec_lo
	v_cmpx_gt_u32_e64 s1, v49
	s_cbranch_execz .LBB919_664
.LBB919_613:                            ;   in Loop: Header=BB919_606 Depth=2
	global_load_d16_b16 v3, v99, s[8:9] offset:1024
	s_or_b32 exec_lo, exec_lo, s11
	s_delay_alu instid0(SALU_CYCLE_1)
	s_mov_b32 s11, exec_lo
	v_cmpx_gt_u32_e64 s1, v50
	s_cbranch_execnz .LBB919_665
.LBB919_614:                            ;   in Loop: Header=BB919_606 Depth=2
	s_or_b32 exec_lo, exec_lo, s11
	s_delay_alu instid0(SALU_CYCLE_1)
	s_mov_b32 s11, exec_lo
	v_cmpx_gt_u32_e64 s1, v54
	s_cbranch_execz .LBB919_666
.LBB919_615:                            ;   in Loop: Header=BB919_606 Depth=2
	global_load_d16_b16 v4, v99, s[8:9] offset:2048
	s_or_b32 exec_lo, exec_lo, s11
	s_delay_alu instid0(SALU_CYCLE_1)
	s_mov_b32 s11, exec_lo
	v_cmpx_gt_u32_e64 s1, v55
	s_cbranch_execnz .LBB919_667
.LBB919_616:                            ;   in Loop: Header=BB919_606 Depth=2
	s_or_b32 exec_lo, exec_lo, s11
	s_delay_alu instid0(SALU_CYCLE_1)
	s_mov_b32 s11, exec_lo
	v_cmpx_gt_u32_e64 s1, v56
	s_cbranch_execz .LBB919_668
.LBB919_617:                            ;   in Loop: Header=BB919_606 Depth=2
	global_load_d16_b16 v5, v99, s[8:9] offset:3072
	s_or_b32 exec_lo, exec_lo, s11
	s_delay_alu instid0(SALU_CYCLE_1)
	s_mov_b32 s11, exec_lo
	v_cmpx_gt_u32_e64 s1, v57
	s_cbranch_execnz .LBB919_669
.LBB919_618:                            ;   in Loop: Header=BB919_606 Depth=2
	s_or_b32 exec_lo, exec_lo, s11
	s_delay_alu instid0(SALU_CYCLE_1)
	s_mov_b32 s11, exec_lo
	v_cmpx_gt_u32_e64 s1, v58
	s_cbranch_execz .LBB919_670
.LBB919_619:                            ;   in Loop: Header=BB919_606 Depth=2
	v_lshlrev_b32_e32 v0, 1, v58
	global_load_d16_b16 v6, v0, s[8:9]
	s_or_b32 exec_lo, exec_lo, s11
	s_delay_alu instid0(SALU_CYCLE_1)
	s_mov_b32 s11, exec_lo
	v_cmpx_gt_u32_e64 s1, v59
	s_cbranch_execnz .LBB919_671
.LBB919_620:                            ;   in Loop: Header=BB919_606 Depth=2
	s_or_b32 exec_lo, exec_lo, s11
	s_delay_alu instid0(SALU_CYCLE_1)
	s_mov_b32 s11, exec_lo
	v_cmpx_gt_u32_e64 s1, v60
	s_cbranch_execz .LBB919_672
.LBB919_621:                            ;   in Loop: Header=BB919_606 Depth=2
	v_lshlrev_b32_e32 v0, 1, v60
	global_load_d16_b16 v7, v0, s[8:9]
	s_or_b32 exec_lo, exec_lo, s11
	s_delay_alu instid0(SALU_CYCLE_1)
	s_mov_b32 s11, exec_lo
	v_cmpx_gt_u32_e64 s1, v61
	s_cbranch_execnz .LBB919_673
.LBB919_622:                            ;   in Loop: Header=BB919_606 Depth=2
	s_or_b32 exec_lo, exec_lo, s11
	s_delay_alu instid0(SALU_CYCLE_1)
	s_mov_b32 s11, exec_lo
	v_cmpx_gt_u32_e64 s1, v62
	s_cbranch_execz .LBB919_674
.LBB919_623:                            ;   in Loop: Header=BB919_606 Depth=2
	v_lshlrev_b32_e32 v0, 1, v62
	global_load_d16_b16 v8, v0, s[8:9]
	s_or_b32 exec_lo, exec_lo, s11
	s_delay_alu instid0(SALU_CYCLE_1)
	s_mov_b32 s11, exec_lo
	v_cmpx_gt_u32_e64 s1, v63
	s_cbranch_execnz .LBB919_675
.LBB919_624:                            ;   in Loop: Header=BB919_606 Depth=2
	s_or_b32 exec_lo, exec_lo, s11
	s_delay_alu instid0(SALU_CYCLE_1)
	s_mov_b32 s11, exec_lo
	v_cmpx_gt_u32_e64 s1, v64
	s_cbranch_execz .LBB919_626
.LBB919_625:                            ;   in Loop: Header=BB919_606 Depth=2
	v_lshlrev_b32_e32 v0, 1, v64
	global_load_d16_b16 v9, v0, s[8:9]
.LBB919_626:                            ;   in Loop: Header=BB919_606 Depth=2
	s_or_b32 exec_lo, exec_lo, s11
	s_delay_alu instid0(SALU_CYCLE_1)
	s_mov_b32 s12, exec_lo
                                        ; implicit-def: $sgpr11
                                        ; implicit-def: $vgpr21_vgpr22
	v_cmpx_gt_u32_e64 s1, v66
; %bb.627:                              ;   in Loop: Header=BB919_606 Depth=2
	v_lshlrev_b32_e32 v0, 1, v66
	s_sub_i32 s11, s63, s34
	s_or_b32 s10, s10, exec_lo
	s_delay_alu instid0(VALU_DEP_1) | instskip(NEXT) | instid1(VALU_DEP_1)
	v_add_co_u32 v21, s8, s8, v0
	v_add_co_ci_u32_e64 v22, null, s9, 0, s8
; %bb.628:                              ;   in Loop: Header=BB919_606 Depth=2
	s_or_b32 exec_lo, exec_lo, s12
	s_waitcnt vmcnt(0)
	v_dual_mov_b32 v17, v9 :: v_dual_mov_b32 v16, v8
	v_dual_mov_b32 v15, v7 :: v_dual_mov_b32 v14, v6
	;; [unrolled: 1-line block ×4, first 2 shown]
	v_mov_b32_e32 v0, s1
	s_and_saveexec_b32 s8, s10
	s_cbranch_execz .LBB919_630
.LBB919_629:                            ;   in Loop: Header=BB919_606 Depth=2
	global_load_d16_hi_b16 v17, v[21:22], off
	s_waitcnt vmcnt(0)
	v_dual_mov_b32 v2, v10 :: v_dual_mov_b32 v5, v13
	v_dual_mov_b32 v0, s11 :: v_dual_mov_b32 v3, v11
	;; [unrolled: 1-line block ×3, first 2 shown]
	v_mov_b32_e32 v6, v14
	v_dual_mov_b32 v8, v16 :: v_dual_mov_b32 v9, v17
.LBB919_630:                            ;   in Loop: Header=BB919_606 Depth=2
	s_or_b32 exec_lo, exec_lo, s8
	s_delay_alu instid0(SALU_CYCLE_1)
	s_mov_b32 s8, exec_lo
	v_cmpx_lt_u32_e64 v18, v0
	s_cbranch_execz .LBB919_646
; %bb.631:                              ;   in Loop: Header=BB919_606 Depth=2
	s_waitcnt vmcnt(6)
	v_xor_b32_e32 v10, 0x7fff, v2
	s_waitcnt vmcnt(5)
	v_lshlrev_b32_e32 v11, 2, v51
	s_delay_alu instid0(VALU_DEP_2) | instskip(NEXT) | instid1(VALU_DEP_1)
	v_and_b32_e32 v10, 0xffff, v10
	v_lshrrev_b32_e32 v10, s57, v10
	s_delay_alu instid0(VALU_DEP_1) | instskip(NEXT) | instid1(VALU_DEP_1)
	v_and_b32_e32 v10, s43, v10
	v_lshl_or_b32 v10, v10, 4, v11
	ds_add_u32 v10, v98
	s_or_b32 exec_lo, exec_lo, s8
	s_delay_alu instid0(SALU_CYCLE_1)
	s_mov_b32 s8, exec_lo
	v_cmpx_lt_u32_e64 v48, v0
	s_cbranch_execnz .LBB919_647
.LBB919_632:                            ;   in Loop: Header=BB919_606 Depth=2
	s_or_b32 exec_lo, exec_lo, s8
	s_delay_alu instid0(SALU_CYCLE_1)
	s_mov_b32 s8, exec_lo
	v_cmpx_lt_u32_e64 v49, v0
	s_cbranch_execz .LBB919_648
.LBB919_633:                            ;   in Loop: Header=BB919_606 Depth=2
	s_waitcnt vmcnt(6)
	v_xor_b32_e32 v10, 0x7fff, v3
	s_waitcnt vmcnt(5)
	v_lshlrev_b32_e32 v11, 2, v51
	s_delay_alu instid0(VALU_DEP_2) | instskip(NEXT) | instid1(VALU_DEP_1)
	v_and_b32_e32 v10, 0xffff, v10
	v_lshrrev_b32_e32 v10, s57, v10
	s_delay_alu instid0(VALU_DEP_1) | instskip(NEXT) | instid1(VALU_DEP_1)
	v_and_b32_e32 v10, s43, v10
	v_lshl_or_b32 v10, v10, 4, v11
	ds_add_u32 v10, v98
	s_or_b32 exec_lo, exec_lo, s8
	s_delay_alu instid0(SALU_CYCLE_1)
	s_mov_b32 s8, exec_lo
	v_cmpx_lt_u32_e64 v50, v0
	s_cbranch_execnz .LBB919_649
.LBB919_634:                            ;   in Loop: Header=BB919_606 Depth=2
	s_or_b32 exec_lo, exec_lo, s8
	s_delay_alu instid0(SALU_CYCLE_1)
	s_mov_b32 s8, exec_lo
	v_cmpx_lt_u32_e64 v54, v0
	s_cbranch_execz .LBB919_650
.LBB919_635:                            ;   in Loop: Header=BB919_606 Depth=2
	s_waitcnt vmcnt(6)
	v_xor_b32_e32 v10, 0x7fff, v4
	s_waitcnt vmcnt(5)
	v_lshlrev_b32_e32 v11, 2, v51
	s_delay_alu instid0(VALU_DEP_2) | instskip(NEXT) | instid1(VALU_DEP_1)
	v_and_b32_e32 v10, 0xffff, v10
	v_lshrrev_b32_e32 v10, s57, v10
	s_delay_alu instid0(VALU_DEP_1) | instskip(NEXT) | instid1(VALU_DEP_1)
	v_and_b32_e32 v10, s43, v10
	v_lshl_or_b32 v10, v10, 4, v11
	ds_add_u32 v10, v98
	s_or_b32 exec_lo, exec_lo, s8
	s_delay_alu instid0(SALU_CYCLE_1)
	s_mov_b32 s8, exec_lo
	v_cmpx_lt_u32_e64 v55, v0
	s_cbranch_execnz .LBB919_651
.LBB919_636:                            ;   in Loop: Header=BB919_606 Depth=2
	s_or_b32 exec_lo, exec_lo, s8
	s_delay_alu instid0(SALU_CYCLE_1)
	s_mov_b32 s8, exec_lo
	v_cmpx_lt_u32_e64 v56, v0
	s_cbranch_execz .LBB919_652
.LBB919_637:                            ;   in Loop: Header=BB919_606 Depth=2
	s_waitcnt vmcnt(6)
	v_xor_b32_e32 v10, 0x7fff, v5
	s_waitcnt vmcnt(5)
	v_lshlrev_b32_e32 v11, 2, v51
	s_delay_alu instid0(VALU_DEP_2) | instskip(NEXT) | instid1(VALU_DEP_1)
	v_and_b32_e32 v10, 0xffff, v10
	v_lshrrev_b32_e32 v10, s57, v10
	s_delay_alu instid0(VALU_DEP_1) | instskip(NEXT) | instid1(VALU_DEP_1)
	v_and_b32_e32 v10, s43, v10
	v_lshl_or_b32 v10, v10, 4, v11
	ds_add_u32 v10, v98
	s_or_b32 exec_lo, exec_lo, s8
	s_delay_alu instid0(SALU_CYCLE_1)
	s_mov_b32 s8, exec_lo
	v_cmpx_lt_u32_e64 v57, v0
	s_cbranch_execnz .LBB919_653
.LBB919_638:                            ;   in Loop: Header=BB919_606 Depth=2
	s_or_b32 exec_lo, exec_lo, s8
	s_delay_alu instid0(SALU_CYCLE_1)
	s_mov_b32 s8, exec_lo
	v_cmpx_lt_u32_e64 v58, v0
	s_cbranch_execz .LBB919_654
.LBB919_639:                            ;   in Loop: Header=BB919_606 Depth=2
	s_waitcnt vmcnt(6)
	v_xor_b32_e32 v10, 0x7fff, v6
	s_waitcnt vmcnt(5)
	v_lshlrev_b32_e32 v11, 2, v51
	s_delay_alu instid0(VALU_DEP_2) | instskip(NEXT) | instid1(VALU_DEP_1)
	v_and_b32_e32 v10, 0xffff, v10
	v_lshrrev_b32_e32 v10, s57, v10
	s_delay_alu instid0(VALU_DEP_1) | instskip(NEXT) | instid1(VALU_DEP_1)
	v_and_b32_e32 v10, s43, v10
	v_lshl_or_b32 v10, v10, 4, v11
	ds_add_u32 v10, v98
	s_or_b32 exec_lo, exec_lo, s8
	s_delay_alu instid0(SALU_CYCLE_1)
	s_mov_b32 s8, exec_lo
	v_cmpx_lt_u32_e64 v59, v0
	s_cbranch_execnz .LBB919_655
.LBB919_640:                            ;   in Loop: Header=BB919_606 Depth=2
	s_or_b32 exec_lo, exec_lo, s8
	s_delay_alu instid0(SALU_CYCLE_1)
	s_mov_b32 s8, exec_lo
	v_cmpx_lt_u32_e64 v60, v0
	s_cbranch_execz .LBB919_656
.LBB919_641:                            ;   in Loop: Header=BB919_606 Depth=2
	s_waitcnt vmcnt(6)
	v_xor_b32_e32 v10, 0x7fff, v7
	s_waitcnt vmcnt(5)
	v_lshlrev_b32_e32 v11, 2, v51
	s_delay_alu instid0(VALU_DEP_2) | instskip(NEXT) | instid1(VALU_DEP_1)
	v_and_b32_e32 v10, 0xffff, v10
	v_lshrrev_b32_e32 v10, s57, v10
	s_delay_alu instid0(VALU_DEP_1) | instskip(NEXT) | instid1(VALU_DEP_1)
	v_and_b32_e32 v10, s43, v10
	v_lshl_or_b32 v10, v10, 4, v11
	ds_add_u32 v10, v98
	s_or_b32 exec_lo, exec_lo, s8
	s_delay_alu instid0(SALU_CYCLE_1)
	s_mov_b32 s8, exec_lo
	v_cmpx_lt_u32_e64 v61, v0
	s_cbranch_execnz .LBB919_657
.LBB919_642:                            ;   in Loop: Header=BB919_606 Depth=2
	s_or_b32 exec_lo, exec_lo, s8
	s_delay_alu instid0(SALU_CYCLE_1)
	s_mov_b32 s8, exec_lo
	v_cmpx_lt_u32_e64 v62, v0
	s_cbranch_execz .LBB919_658
.LBB919_643:                            ;   in Loop: Header=BB919_606 Depth=2
	s_waitcnt vmcnt(6)
	v_xor_b32_e32 v10, 0x7fff, v8
	s_waitcnt vmcnt(5)
	v_lshlrev_b32_e32 v11, 2, v51
	s_delay_alu instid0(VALU_DEP_2) | instskip(NEXT) | instid1(VALU_DEP_1)
	v_and_b32_e32 v10, 0xffff, v10
	v_lshrrev_b32_e32 v10, s57, v10
	s_delay_alu instid0(VALU_DEP_1) | instskip(NEXT) | instid1(VALU_DEP_1)
	v_and_b32_e32 v10, s43, v10
	v_lshl_or_b32 v10, v10, 4, v11
	ds_add_u32 v10, v98
	s_or_b32 exec_lo, exec_lo, s8
	s_delay_alu instid0(SALU_CYCLE_1)
	s_mov_b32 s8, exec_lo
	v_cmpx_lt_u32_e64 v63, v0
	s_cbranch_execnz .LBB919_659
.LBB919_644:                            ;   in Loop: Header=BB919_606 Depth=2
	s_or_b32 exec_lo, exec_lo, s8
	s_delay_alu instid0(SALU_CYCLE_1)
	s_mov_b32 s8, exec_lo
	v_cmpx_lt_u32_e64 v64, v0
	s_cbranch_execz .LBB919_660
.LBB919_645:                            ;   in Loop: Header=BB919_606 Depth=2
	s_waitcnt vmcnt(6)
	v_xor_b32_e32 v10, 0x7fff, v9
	s_waitcnt vmcnt(5)
	v_lshlrev_b32_e32 v11, 2, v51
	s_delay_alu instid0(VALU_DEP_2) | instskip(NEXT) | instid1(VALU_DEP_1)
	v_and_b32_e32 v10, 0xffff, v10
	v_lshrrev_b32_e32 v10, s57, v10
	s_delay_alu instid0(VALU_DEP_1) | instskip(NEXT) | instid1(VALU_DEP_1)
	v_and_b32_e32 v10, s43, v10
	v_lshl_or_b32 v10, v10, 4, v11
	ds_add_u32 v10, v98
	s_or_b32 exec_lo, exec_lo, s8
	s_delay_alu instid0(SALU_CYCLE_1)
	s_mov_b32 s8, exec_lo
	v_cmpx_lt_u32_e64 v66, v0
	s_cbranch_execz .LBB919_605
	s_branch .LBB919_661
.LBB919_646:                            ;   in Loop: Header=BB919_606 Depth=2
	s_or_b32 exec_lo, exec_lo, s8
	s_delay_alu instid0(SALU_CYCLE_1)
	s_mov_b32 s8, exec_lo
	v_cmpx_lt_u32_e64 v48, v0
	s_cbranch_execz .LBB919_632
.LBB919_647:                            ;   in Loop: Header=BB919_606 Depth=2
	s_waitcnt vmcnt(6)
	v_lshrrev_b32_e32 v10, 16, v2
	s_waitcnt vmcnt(5)
	v_lshlrev_b32_e32 v11, 2, v51
	s_delay_alu instid0(VALU_DEP_2) | instskip(NEXT) | instid1(VALU_DEP_1)
	v_xor_b32_e32 v10, 0x7fff, v10
	v_and_b32_e32 v10, 0xffff, v10
	s_delay_alu instid0(VALU_DEP_1) | instskip(NEXT) | instid1(VALU_DEP_1)
	v_lshrrev_b32_e32 v10, s57, v10
	v_and_b32_e32 v10, s43, v10
	s_delay_alu instid0(VALU_DEP_1) | instskip(SKIP_2) | instid1(SALU_CYCLE_1)
	v_lshl_or_b32 v10, v10, 4, v11
	ds_add_u32 v10, v98
	s_or_b32 exec_lo, exec_lo, s8
	s_mov_b32 s8, exec_lo
	v_cmpx_lt_u32_e64 v49, v0
	s_cbranch_execnz .LBB919_633
.LBB919_648:                            ;   in Loop: Header=BB919_606 Depth=2
	s_or_b32 exec_lo, exec_lo, s8
	s_delay_alu instid0(SALU_CYCLE_1)
	s_mov_b32 s8, exec_lo
	v_cmpx_lt_u32_e64 v50, v0
	s_cbranch_execz .LBB919_634
.LBB919_649:                            ;   in Loop: Header=BB919_606 Depth=2
	s_waitcnt vmcnt(6)
	v_lshrrev_b32_e32 v10, 16, v3
	s_waitcnt vmcnt(5)
	v_lshlrev_b32_e32 v11, 2, v51
	s_delay_alu instid0(VALU_DEP_2) | instskip(NEXT) | instid1(VALU_DEP_1)
	v_xor_b32_e32 v10, 0x7fff, v10
	v_and_b32_e32 v10, 0xffff, v10
	s_delay_alu instid0(VALU_DEP_1) | instskip(NEXT) | instid1(VALU_DEP_1)
	v_lshrrev_b32_e32 v10, s57, v10
	v_and_b32_e32 v10, s43, v10
	s_delay_alu instid0(VALU_DEP_1) | instskip(SKIP_2) | instid1(SALU_CYCLE_1)
	v_lshl_or_b32 v10, v10, 4, v11
	ds_add_u32 v10, v98
	s_or_b32 exec_lo, exec_lo, s8
	s_mov_b32 s8, exec_lo
	v_cmpx_lt_u32_e64 v54, v0
	s_cbranch_execnz .LBB919_635
.LBB919_650:                            ;   in Loop: Header=BB919_606 Depth=2
	s_or_b32 exec_lo, exec_lo, s8
	s_delay_alu instid0(SALU_CYCLE_1)
	s_mov_b32 s8, exec_lo
	v_cmpx_lt_u32_e64 v55, v0
	s_cbranch_execz .LBB919_636
.LBB919_651:                            ;   in Loop: Header=BB919_606 Depth=2
	s_waitcnt vmcnt(6)
	v_lshrrev_b32_e32 v10, 16, v4
	s_waitcnt vmcnt(5)
	v_lshlrev_b32_e32 v11, 2, v51
	s_delay_alu instid0(VALU_DEP_2) | instskip(NEXT) | instid1(VALU_DEP_1)
	v_xor_b32_e32 v10, 0x7fff, v10
	v_and_b32_e32 v10, 0xffff, v10
	s_delay_alu instid0(VALU_DEP_1) | instskip(NEXT) | instid1(VALU_DEP_1)
	v_lshrrev_b32_e32 v10, s57, v10
	v_and_b32_e32 v10, s43, v10
	s_delay_alu instid0(VALU_DEP_1) | instskip(SKIP_2) | instid1(SALU_CYCLE_1)
	v_lshl_or_b32 v10, v10, 4, v11
	ds_add_u32 v10, v98
	s_or_b32 exec_lo, exec_lo, s8
	s_mov_b32 s8, exec_lo
	v_cmpx_lt_u32_e64 v56, v0
	s_cbranch_execnz .LBB919_637
.LBB919_652:                            ;   in Loop: Header=BB919_606 Depth=2
	s_or_b32 exec_lo, exec_lo, s8
	s_delay_alu instid0(SALU_CYCLE_1)
	s_mov_b32 s8, exec_lo
	v_cmpx_lt_u32_e64 v57, v0
	s_cbranch_execz .LBB919_638
.LBB919_653:                            ;   in Loop: Header=BB919_606 Depth=2
	s_waitcnt vmcnt(6)
	v_lshrrev_b32_e32 v10, 16, v5
	s_waitcnt vmcnt(5)
	v_lshlrev_b32_e32 v11, 2, v51
	s_delay_alu instid0(VALU_DEP_2) | instskip(NEXT) | instid1(VALU_DEP_1)
	v_xor_b32_e32 v10, 0x7fff, v10
	v_and_b32_e32 v10, 0xffff, v10
	s_delay_alu instid0(VALU_DEP_1) | instskip(NEXT) | instid1(VALU_DEP_1)
	v_lshrrev_b32_e32 v10, s57, v10
	v_and_b32_e32 v10, s43, v10
	s_delay_alu instid0(VALU_DEP_1) | instskip(SKIP_2) | instid1(SALU_CYCLE_1)
	v_lshl_or_b32 v10, v10, 4, v11
	ds_add_u32 v10, v98
	s_or_b32 exec_lo, exec_lo, s8
	s_mov_b32 s8, exec_lo
	v_cmpx_lt_u32_e64 v58, v0
	s_cbranch_execnz .LBB919_639
.LBB919_654:                            ;   in Loop: Header=BB919_606 Depth=2
	s_or_b32 exec_lo, exec_lo, s8
	s_delay_alu instid0(SALU_CYCLE_1)
	s_mov_b32 s8, exec_lo
	v_cmpx_lt_u32_e64 v59, v0
	s_cbranch_execz .LBB919_640
.LBB919_655:                            ;   in Loop: Header=BB919_606 Depth=2
	s_waitcnt vmcnt(6)
	v_lshrrev_b32_e32 v10, 16, v6
	s_waitcnt vmcnt(5)
	v_lshlrev_b32_e32 v11, 2, v51
	s_delay_alu instid0(VALU_DEP_2) | instskip(NEXT) | instid1(VALU_DEP_1)
	v_xor_b32_e32 v10, 0x7fff, v10
	v_and_b32_e32 v10, 0xffff, v10
	s_delay_alu instid0(VALU_DEP_1) | instskip(NEXT) | instid1(VALU_DEP_1)
	v_lshrrev_b32_e32 v10, s57, v10
	v_and_b32_e32 v10, s43, v10
	s_delay_alu instid0(VALU_DEP_1) | instskip(SKIP_2) | instid1(SALU_CYCLE_1)
	v_lshl_or_b32 v10, v10, 4, v11
	ds_add_u32 v10, v98
	s_or_b32 exec_lo, exec_lo, s8
	s_mov_b32 s8, exec_lo
	v_cmpx_lt_u32_e64 v60, v0
	s_cbranch_execnz .LBB919_641
.LBB919_656:                            ;   in Loop: Header=BB919_606 Depth=2
	s_or_b32 exec_lo, exec_lo, s8
	s_delay_alu instid0(SALU_CYCLE_1)
	s_mov_b32 s8, exec_lo
	v_cmpx_lt_u32_e64 v61, v0
	s_cbranch_execz .LBB919_642
.LBB919_657:                            ;   in Loop: Header=BB919_606 Depth=2
	s_waitcnt vmcnt(6)
	v_lshrrev_b32_e32 v10, 16, v7
	s_waitcnt vmcnt(5)
	v_lshlrev_b32_e32 v11, 2, v51
	s_delay_alu instid0(VALU_DEP_2) | instskip(NEXT) | instid1(VALU_DEP_1)
	v_xor_b32_e32 v10, 0x7fff, v10
	v_and_b32_e32 v10, 0xffff, v10
	s_delay_alu instid0(VALU_DEP_1) | instskip(NEXT) | instid1(VALU_DEP_1)
	v_lshrrev_b32_e32 v10, s57, v10
	v_and_b32_e32 v10, s43, v10
	s_delay_alu instid0(VALU_DEP_1) | instskip(SKIP_2) | instid1(SALU_CYCLE_1)
	v_lshl_or_b32 v10, v10, 4, v11
	ds_add_u32 v10, v98
	s_or_b32 exec_lo, exec_lo, s8
	s_mov_b32 s8, exec_lo
	v_cmpx_lt_u32_e64 v62, v0
	s_cbranch_execnz .LBB919_643
.LBB919_658:                            ;   in Loop: Header=BB919_606 Depth=2
	s_or_b32 exec_lo, exec_lo, s8
	s_delay_alu instid0(SALU_CYCLE_1)
	s_mov_b32 s8, exec_lo
	v_cmpx_lt_u32_e64 v63, v0
	s_cbranch_execz .LBB919_644
.LBB919_659:                            ;   in Loop: Header=BB919_606 Depth=2
	s_waitcnt vmcnt(6)
	v_lshrrev_b32_e32 v10, 16, v8
	s_waitcnt vmcnt(5)
	v_lshlrev_b32_e32 v11, 2, v51
	s_delay_alu instid0(VALU_DEP_2) | instskip(NEXT) | instid1(VALU_DEP_1)
	v_xor_b32_e32 v10, 0x7fff, v10
	v_and_b32_e32 v10, 0xffff, v10
	s_delay_alu instid0(VALU_DEP_1) | instskip(NEXT) | instid1(VALU_DEP_1)
	v_lshrrev_b32_e32 v10, s57, v10
	v_and_b32_e32 v10, s43, v10
	s_delay_alu instid0(VALU_DEP_1) | instskip(SKIP_2) | instid1(SALU_CYCLE_1)
	v_lshl_or_b32 v10, v10, 4, v11
	ds_add_u32 v10, v98
	s_or_b32 exec_lo, exec_lo, s8
	s_mov_b32 s8, exec_lo
	v_cmpx_lt_u32_e64 v64, v0
	s_cbranch_execnz .LBB919_645
.LBB919_660:                            ;   in Loop: Header=BB919_606 Depth=2
	s_or_b32 exec_lo, exec_lo, s8
	s_delay_alu instid0(SALU_CYCLE_1)
	s_mov_b32 s8, exec_lo
	v_cmpx_lt_u32_e64 v66, v0
	s_cbranch_execz .LBB919_605
.LBB919_661:                            ;   in Loop: Header=BB919_606 Depth=2
	v_lshrrev_b32_e32 v0, 16, v9
	s_waitcnt vmcnt(6)
	v_lshlrev_b32_e32 v10, 2, v51
	s_delay_alu instid0(VALU_DEP_2) | instskip(NEXT) | instid1(VALU_DEP_1)
	v_xor_b32_e32 v0, 0x7fff, v0
	v_and_b32_e32 v0, 0xffff, v0
	s_delay_alu instid0(VALU_DEP_1) | instskip(NEXT) | instid1(VALU_DEP_1)
	v_lshrrev_b32_e32 v0, s57, v0
	v_and_b32_e32 v0, s43, v0
	s_delay_alu instid0(VALU_DEP_1)
	v_lshl_or_b32 v0, v0, 4, v10
	ds_add_u32 v0, v98
	s_branch .LBB919_605
.LBB919_662:                            ;   in Loop: Header=BB919_606 Depth=2
	s_or_b32 exec_lo, exec_lo, s11
	s_delay_alu instid0(SALU_CYCLE_1)
	s_mov_b32 s11, exec_lo
	v_cmpx_gt_u32_e64 s1, v48
	s_cbranch_execz .LBB919_612
.LBB919_663:                            ;   in Loop: Header=BB919_606 Depth=2
	global_load_d16_hi_b16 v2, v99, s[8:9] offset:512
	s_or_b32 exec_lo, exec_lo, s11
	s_delay_alu instid0(SALU_CYCLE_1)
	s_mov_b32 s11, exec_lo
	v_cmpx_gt_u32_e64 s1, v49
	s_cbranch_execnz .LBB919_613
.LBB919_664:                            ;   in Loop: Header=BB919_606 Depth=2
	s_or_b32 exec_lo, exec_lo, s11
	s_delay_alu instid0(SALU_CYCLE_1)
	s_mov_b32 s11, exec_lo
	v_cmpx_gt_u32_e64 s1, v50
	s_cbranch_execz .LBB919_614
.LBB919_665:                            ;   in Loop: Header=BB919_606 Depth=2
	global_load_d16_hi_b16 v3, v99, s[8:9] offset:1536
	s_or_b32 exec_lo, exec_lo, s11
	s_delay_alu instid0(SALU_CYCLE_1)
	s_mov_b32 s11, exec_lo
	v_cmpx_gt_u32_e64 s1, v54
	s_cbranch_execnz .LBB919_615
.LBB919_666:                            ;   in Loop: Header=BB919_606 Depth=2
	s_or_b32 exec_lo, exec_lo, s11
	s_delay_alu instid0(SALU_CYCLE_1)
	s_mov_b32 s11, exec_lo
	v_cmpx_gt_u32_e64 s1, v55
	s_cbranch_execz .LBB919_616
.LBB919_667:                            ;   in Loop: Header=BB919_606 Depth=2
	global_load_d16_hi_b16 v4, v99, s[8:9] offset:2560
	s_or_b32 exec_lo, exec_lo, s11
	s_delay_alu instid0(SALU_CYCLE_1)
	s_mov_b32 s11, exec_lo
	v_cmpx_gt_u32_e64 s1, v56
	s_cbranch_execnz .LBB919_617
.LBB919_668:                            ;   in Loop: Header=BB919_606 Depth=2
	s_or_b32 exec_lo, exec_lo, s11
	s_delay_alu instid0(SALU_CYCLE_1)
	s_mov_b32 s11, exec_lo
	v_cmpx_gt_u32_e64 s1, v57
	s_cbranch_execz .LBB919_618
.LBB919_669:                            ;   in Loop: Header=BB919_606 Depth=2
	global_load_d16_hi_b16 v5, v99, s[8:9] offset:3584
	s_or_b32 exec_lo, exec_lo, s11
	s_delay_alu instid0(SALU_CYCLE_1)
	s_mov_b32 s11, exec_lo
	v_cmpx_gt_u32_e64 s1, v58
	s_cbranch_execnz .LBB919_619
.LBB919_670:                            ;   in Loop: Header=BB919_606 Depth=2
	s_or_b32 exec_lo, exec_lo, s11
	s_delay_alu instid0(SALU_CYCLE_1)
	s_mov_b32 s11, exec_lo
	v_cmpx_gt_u32_e64 s1, v59
	s_cbranch_execz .LBB919_620
.LBB919_671:                            ;   in Loop: Header=BB919_606 Depth=2
	v_lshlrev_b32_e32 v0, 1, v59
	global_load_d16_hi_b16 v6, v0, s[8:9]
	s_or_b32 exec_lo, exec_lo, s11
	s_delay_alu instid0(SALU_CYCLE_1)
	s_mov_b32 s11, exec_lo
	v_cmpx_gt_u32_e64 s1, v60
	s_cbranch_execnz .LBB919_621
.LBB919_672:                            ;   in Loop: Header=BB919_606 Depth=2
	s_or_b32 exec_lo, exec_lo, s11
	s_delay_alu instid0(SALU_CYCLE_1)
	s_mov_b32 s11, exec_lo
	v_cmpx_gt_u32_e64 s1, v61
	s_cbranch_execz .LBB919_622
.LBB919_673:                            ;   in Loop: Header=BB919_606 Depth=2
	v_lshlrev_b32_e32 v0, 1, v61
	global_load_d16_hi_b16 v7, v0, s[8:9]
	s_or_b32 exec_lo, exec_lo, s11
	s_delay_alu instid0(SALU_CYCLE_1)
	s_mov_b32 s11, exec_lo
	v_cmpx_gt_u32_e64 s1, v62
	s_cbranch_execnz .LBB919_623
.LBB919_674:                            ;   in Loop: Header=BB919_606 Depth=2
	s_or_b32 exec_lo, exec_lo, s11
	s_delay_alu instid0(SALU_CYCLE_1)
	s_mov_b32 s11, exec_lo
	v_cmpx_gt_u32_e64 s1, v63
	s_cbranch_execz .LBB919_624
.LBB919_675:                            ;   in Loop: Header=BB919_606 Depth=2
	v_lshlrev_b32_e32 v0, 1, v63
	global_load_d16_hi_b16 v8, v0, s[8:9]
	s_or_b32 exec_lo, exec_lo, s11
	s_delay_alu instid0(SALU_CYCLE_1)
	s_mov_b32 s11, exec_lo
	v_cmpx_gt_u32_e64 s1, v64
	s_cbranch_execz .LBB919_626
	s_branch .LBB919_625
.LBB919_676:                            ;   in Loop: Header=BB919_12 Depth=1
	v_mov_b32_e32 v0, 0
	s_waitcnt vmcnt(0) lgkmcnt(0)
	s_barrier
	buffer_gl0_inv
	s_and_saveexec_b32 s1, s2
	s_cbranch_execz .LBB919_678
; %bb.677:                              ;   in Loop: Header=BB919_12 Depth=1
	ds_load_2addr_b64 v[2:5], v67 offset1:1
	s_waitcnt lgkmcnt(0)
	v_add_nc_u32_e32 v0, v3, v2
	s_delay_alu instid0(VALU_DEP_1)
	v_add3_u32 v0, v0, v4, v5
.LBB919_678:                            ;   in Loop: Header=BB919_12 Depth=1
	s_or_b32 exec_lo, exec_lo, s1
	v_and_b32_e32 v2, 15, v100
	s_delay_alu instid0(VALU_DEP_2) | instskip(SKIP_1) | instid1(VALU_DEP_3)
	v_mov_b32_dpp v3, v0 row_shr:1 row_mask:0xf bank_mask:0xf
	v_and_b32_e32 v4, 16, v100
	v_cmp_eq_u32_e64 s1, 0, v2
	v_cmp_lt_u32_e64 s7, 1, v2
	v_cmp_lt_u32_e64 s8, 3, v2
	;; [unrolled: 1-line block ×3, first 2 shown]
	v_cmp_eq_u32_e64 s10, 0, v4
	v_cndmask_b32_e64 v3, v3, 0, s1
	s_delay_alu instid0(VALU_DEP_1) | instskip(NEXT) | instid1(VALU_DEP_1)
	v_add_nc_u32_e32 v0, v3, v0
	v_mov_b32_dpp v3, v0 row_shr:2 row_mask:0xf bank_mask:0xf
	s_delay_alu instid0(VALU_DEP_1) | instskip(NEXT) | instid1(VALU_DEP_1)
	v_cndmask_b32_e64 v3, 0, v3, s7
	v_add_nc_u32_e32 v0, v0, v3
	s_delay_alu instid0(VALU_DEP_1) | instskip(NEXT) | instid1(VALU_DEP_1)
	v_mov_b32_dpp v3, v0 row_shr:4 row_mask:0xf bank_mask:0xf
	v_cndmask_b32_e64 v3, 0, v3, s8
	s_delay_alu instid0(VALU_DEP_1) | instskip(NEXT) | instid1(VALU_DEP_1)
	v_add_nc_u32_e32 v0, v0, v3
	v_mov_b32_dpp v3, v0 row_shr:8 row_mask:0xf bank_mask:0xf
	s_delay_alu instid0(VALU_DEP_1) | instskip(SKIP_1) | instid1(VALU_DEP_2)
	v_cndmask_b32_e64 v2, 0, v3, s9
	v_bfe_i32 v3, v100, 4, 1
	v_add_nc_u32_e32 v0, v0, v2
	ds_swizzle_b32 v2, v0 offset:swizzle(BROADCAST,32,15)
	s_waitcnt lgkmcnt(0)
	v_and_b32_e32 v2, v3, v2
	s_delay_alu instid0(VALU_DEP_1)
	v_add_nc_u32_e32 v2, v0, v2
	s_and_saveexec_b32 s11, s3
	s_cbranch_execz .LBB919_680
; %bb.679:                              ;   in Loop: Header=BB919_12 Depth=1
	ds_store_b32 v68, v2
.LBB919_680:                            ;   in Loop: Header=BB919_12 Depth=1
	s_or_b32 exec_lo, exec_lo, s11
	v_and_b32_e32 v0, 7, v100
	s_waitcnt lgkmcnt(0)
	s_barrier
	buffer_gl0_inv
	s_and_saveexec_b32 s11, s4
	s_cbranch_execz .LBB919_682
; %bb.681:                              ;   in Loop: Header=BB919_12 Depth=1
	ds_load_b32 v3, v69
	v_cmp_ne_u32_e32 vcc_lo, 0, v0
	s_waitcnt lgkmcnt(0)
	v_mov_b32_dpp v4, v3 row_shr:1 row_mask:0xf bank_mask:0xf
	s_delay_alu instid0(VALU_DEP_1) | instskip(SKIP_1) | instid1(VALU_DEP_2)
	v_cndmask_b32_e32 v4, 0, v4, vcc_lo
	v_cmp_lt_u32_e32 vcc_lo, 1, v0
	v_add_nc_u32_e32 v3, v4, v3
	s_delay_alu instid0(VALU_DEP_1) | instskip(NEXT) | instid1(VALU_DEP_1)
	v_mov_b32_dpp v4, v3 row_shr:2 row_mask:0xf bank_mask:0xf
	v_cndmask_b32_e32 v4, 0, v4, vcc_lo
	v_cmp_lt_u32_e32 vcc_lo, 3, v0
	s_delay_alu instid0(VALU_DEP_2) | instskip(NEXT) | instid1(VALU_DEP_1)
	v_add_nc_u32_e32 v3, v3, v4
	v_mov_b32_dpp v4, v3 row_shr:4 row_mask:0xf bank_mask:0xf
	s_delay_alu instid0(VALU_DEP_1) | instskip(NEXT) | instid1(VALU_DEP_1)
	v_cndmask_b32_e32 v4, 0, v4, vcc_lo
	v_add_nc_u32_e32 v3, v3, v4
	ds_store_b32 v69, v3
.LBB919_682:                            ;   in Loop: Header=BB919_12 Depth=1
	s_or_b32 exec_lo, exec_lo, s11
	v_mov_b32_e32 v3, 0
	s_waitcnt lgkmcnt(0)
	s_barrier
	buffer_gl0_inv
	s_and_saveexec_b32 s11, s5
	s_cbranch_execz .LBB919_684
; %bb.683:                              ;   in Loop: Header=BB919_12 Depth=1
	ds_load_b32 v3, v70
.LBB919_684:                            ;   in Loop: Header=BB919_12 Depth=1
	s_or_b32 exec_lo, exec_lo, s11
	v_add_nc_u32_e32 v4, -1, v100
	s_waitcnt lgkmcnt(0)
	v_add_nc_u32_e32 v2, v3, v2
	v_cmp_eq_u32_e64 s11, 0, v100
	s_barrier
	v_cmp_gt_i32_e32 vcc_lo, 0, v4
	buffer_gl0_inv
	v_cndmask_b32_e32 v4, v4, v100, vcc_lo
	s_delay_alu instid0(VALU_DEP_1)
	v_lshlrev_b32_e32 v101, 2, v4
	ds_bpermute_b32 v2, v101, v2
	s_and_saveexec_b32 s12, s2
	s_cbranch_execz .LBB919_686
; %bb.685:                              ;   in Loop: Header=BB919_12 Depth=1
	s_waitcnt lgkmcnt(0)
	v_cndmask_b32_e64 v2, v2, v3, s11
	s_delay_alu instid0(VALU_DEP_1)
	v_add_nc_u32_e32 v2, s62, v2
	ds_store_b32 v47, v2
.LBB919_686:                            ;   in Loop: Header=BB919_12 Depth=1
	s_or_b32 exec_lo, exec_lo, s12
	s_load_b64 s[12:13], s[60:61], 0x0
	v_lshlrev_b32_e32 v3, 3, v100
	v_cmp_lt_u32_e64 s14, 3, v0
	v_or_b32_e32 v102, v100, v71
	s_mov_b32 s56, s64
	s_mov_b32 s34, s62
	v_add_co_u32 v103, vcc_lo, v94, v3
	v_add_co_ci_u32_e32 v104, vcc_lo, 0, v95, vcc_lo
	v_or_b32_e32 v105, 32, v102
	v_or_b32_e32 v106, 64, v102
	;; [unrolled: 1-line block ×10, first 2 shown]
	s_waitcnt lgkmcnt(0)
	s_cmp_lt_u32 s15, s13
	v_or_b32_e32 v115, 0x160, v102
	s_cselect_b32 s13, 14, 20
	v_or_b32_e32 v116, 0x180, v102
	s_add_u32 s16, s60, s13
	s_addc_u32 s17, s61, 0
	s_cmp_lt_u32 s26, s12
	global_load_u16 v2, v20, s[16:17]
	s_cselect_b32 s12, 12, 18
	v_or_b32_e32 v117, 0x1a0, v102
	s_add_u32 s12, s60, s12
	s_addc_u32 s13, s61, 0
	v_or_b32_e32 v118, 0x1c0, v102
	global_load_u16 v4, v20, s[12:13]
	v_cmp_eq_u32_e64 s12, 0, v0
	v_cmp_lt_u32_e64 s13, 1, v0
	v_lshlrev_b32_e32 v0, 1, v100
	v_or_b32_e32 v119, 0x1e0, v102
                                        ; implicit-def: $vgpr10_vgpr11
                                        ; implicit-def: $vgpr12_vgpr13
                                        ; implicit-def: $vgpr14_vgpr15
                                        ; implicit-def: $vgpr16_vgpr17
                                        ; implicit-def: $vgpr21_vgpr22
                                        ; implicit-def: $vgpr23_vgpr24
                                        ; implicit-def: $vgpr25_vgpr26
                                        ; implicit-def: $vgpr27_vgpr28
                                        ; implicit-def: $vgpr29_vgpr30
                                        ; implicit-def: $vgpr31_vgpr32
                                        ; implicit-def: $vgpr33_vgpr34
                                        ; implicit-def: $vgpr35_vgpr36
                                        ; implicit-def: $vgpr37_vgpr38
                                        ; implicit-def: $vgpr39_vgpr40
                                        ; implicit-def: $vgpr41_vgpr42
                                        ; implicit-def: $vgpr43_vgpr44
                                        ; implicit-def: $vgpr125
                                        ; implicit-def: $vgpr126
                                        ; implicit-def: $vgpr127
                                        ; implicit-def: $vgpr128
                                        ; implicit-def: $vgpr129
                                        ; implicit-def: $vgpr130
                                        ; implicit-def: $vgpr131
                                        ; implicit-def: $vgpr132
                                        ; implicit-def: $vgpr133
                                        ; implicit-def: $vgpr134
                                        ; implicit-def: $vgpr135
                                        ; implicit-def: $vgpr136
                                        ; implicit-def: $vgpr137
                                        ; implicit-def: $vgpr138
                                        ; implicit-def: $vgpr139
                                        ; implicit-def: $vgpr140
                                        ; implicit-def: $vgpr9
	s_delay_alu instid0(VALU_DEP_2) | instskip(SKIP_1) | instid1(VALU_DEP_2)
	v_add_co_u32 v120, vcc_lo, v96, v0
	v_add_co_ci_u32_e32 v121, vcc_lo, 0, v97, vcc_lo
	v_add_co_u32 v123, vcc_lo, 0x3c0, v120
	s_delay_alu instid0(VALU_DEP_2) | instskip(SKIP_3) | instid1(VALU_DEP_1)
	v_add_co_ci_u32_e32 v124, vcc_lo, 0, v121, vcc_lo
	s_waitcnt vmcnt(1)
	v_mad_u32_u24 v5, v72, v2, v74
	s_waitcnt vmcnt(0)
	v_mad_u64_u32 v[2:3], null, v5, v4, v[18:19]
	s_delay_alu instid0(VALU_DEP_1)
	v_lshrrev_b32_e32 v122, 5, v2
	s_branch .LBB919_688
.LBB919_687:                            ;   in Loop: Header=BB919_688 Depth=2
	s_or_b32 exec_lo, exec_lo, s16
	s_addk_i32 s56, 0xf000
	s_cmp_lt_u32 s65, s63
	s_mov_b32 s34, s65
	s_cbranch_scc0 .LBB919_896
.LBB919_688:                            ;   Parent Loop BB919_12 Depth=1
                                        ; =>  This Inner Loop Header: Depth=2
	s_add_i32 s65, s34, 0x1000
	s_delay_alu instid0(SALU_CYCLE_1)
	s_cmp_gt_u32 s65, s63
	s_cbranch_scc1 .LBB919_690
; %bb.689:                              ;   in Loop: Header=BB919_688 Depth=2
	s_mov_b32 s17, 0
	s_mov_b32 s16, s34
	s_delay_alu instid0(SALU_CYCLE_1) | instskip(NEXT) | instid1(SALU_CYCLE_1)
	s_lshl_b64 s[18:19], s[16:17], 1
	v_add_co_u32 v45, vcc_lo, v120, s18
	v_add_co_ci_u32_e32 v46, vcc_lo, s19, v121, vcc_lo
	s_mov_b32 s19, -1
	s_movk_i32 s18, 0x1000
	s_clause 0xe
	global_load_u16 v2, v[45:46], off
	global_load_u16 v3, v[45:46], off offset:128
	global_load_u16 v4, v[45:46], off offset:256
	;; [unrolled: 1-line block ×6, first 2 shown]
	global_load_d16_b16 v9, v[45:46], off offset:896
	global_load_d16_hi_b16 v2, v[45:46], off offset:64
	global_load_d16_hi_b16 v3, v[45:46], off offset:192
	;; [unrolled: 1-line block ×7, first 2 shown]
	s_cbranch_execz .LBB919_691
	s_branch .LBB919_708
.LBB919_690:                            ;   in Loop: Header=BB919_688 Depth=2
	s_mov_b32 s17, -1
	s_mov_b32 s19, 0
                                        ; implicit-def: $sgpr18
                                        ; implicit-def: $vgpr2_vgpr3_vgpr4_vgpr5_vgpr6_vgpr7_vgpr8_vgpr9
.LBB919_691:                            ;   in Loop: Header=BB919_688 Depth=2
	s_lshl_b64 s[16:17], s[34:35], 1
	s_mov_b32 s45, s44
	v_add_co_u32 v45, vcc_lo, v120, s16
	s_mov_b32 s46, s44
	s_mov_b32 s47, s44
	;; [unrolled: 1-line block ×6, first 2 shown]
	s_waitcnt vmcnt(0)
	v_dual_mov_b32 v2, s44 :: v_dual_mov_b32 v3, s45
	v_add_co_ci_u32_e32 v46, vcc_lo, s17, v121, vcc_lo
	v_dual_mov_b32 v4, s46 :: v_dual_mov_b32 v5, s47
	v_dual_mov_b32 v6, s48 :: v_dual_mov_b32 v7, s49
	;; [unrolled: 1-line block ×3, first 2 shown]
	s_mov_b32 s16, exec_lo
	v_cmpx_gt_u32_e64 s56, v102
	s_cbranch_execz .LBB919_882
; %bb.692:                              ;   in Loop: Header=BB919_688 Depth=2
	v_bfrev_b32_e32 v0, 1
	v_mov_b32_e32 v7, v1
	v_mov_b32_e32 v2, v1
	;; [unrolled: 1-line block ×4, first 2 shown]
	global_load_d16_b16 v0, v[45:46], off
	v_mov_b32_e32 v5, v1
	v_mov_b32_e32 v6, v1
	s_waitcnt vmcnt(0)
	v_mov_b32_e32 v9, v7
	s_delay_alu instid0(VALU_DEP_2)
	v_dual_mov_b32 v8, v6 :: v_dual_mov_b32 v7, v5
	v_mov_b32_e32 v6, v4
	v_mov_b32_e32 v5, v3
	;; [unrolled: 1-line block ×5, first 2 shown]
	s_or_b32 exec_lo, exec_lo, s16
	s_delay_alu instid0(SALU_CYCLE_1)
	s_mov_b32 s16, exec_lo
	v_cmpx_gt_u32_e64 s56, v105
	s_cbranch_execnz .LBB919_883
.LBB919_693:                            ;   in Loop: Header=BB919_688 Depth=2
	s_or_b32 exec_lo, exec_lo, s16
	s_delay_alu instid0(SALU_CYCLE_1)
	s_mov_b32 s16, exec_lo
	v_cmpx_gt_u32_e64 s56, v106
	s_cbranch_execz .LBB919_884
.LBB919_694:                            ;   in Loop: Header=BB919_688 Depth=2
	global_load_d16_b16 v3, v[45:46], off offset:128
	s_or_b32 exec_lo, exec_lo, s16
	s_delay_alu instid0(SALU_CYCLE_1)
	s_mov_b32 s16, exec_lo
	v_cmpx_gt_u32_e64 s56, v107
	s_cbranch_execnz .LBB919_885
.LBB919_695:                            ;   in Loop: Header=BB919_688 Depth=2
	s_or_b32 exec_lo, exec_lo, s16
	s_delay_alu instid0(SALU_CYCLE_1)
	s_mov_b32 s16, exec_lo
	v_cmpx_gt_u32_e64 s56, v108
	s_cbranch_execz .LBB919_886
.LBB919_696:                            ;   in Loop: Header=BB919_688 Depth=2
	global_load_d16_b16 v4, v[45:46], off offset:256
	s_or_b32 exec_lo, exec_lo, s16
	s_delay_alu instid0(SALU_CYCLE_1)
	s_mov_b32 s16, exec_lo
	v_cmpx_gt_u32_e64 s56, v109
	s_cbranch_execnz .LBB919_887
.LBB919_697:                            ;   in Loop: Header=BB919_688 Depth=2
	s_or_b32 exec_lo, exec_lo, s16
	s_delay_alu instid0(SALU_CYCLE_1)
	s_mov_b32 s16, exec_lo
	v_cmpx_gt_u32_e64 s56, v110
	s_cbranch_execz .LBB919_888
.LBB919_698:                            ;   in Loop: Header=BB919_688 Depth=2
	global_load_d16_b16 v5, v[45:46], off offset:384
	s_or_b32 exec_lo, exec_lo, s16
	s_delay_alu instid0(SALU_CYCLE_1)
	s_mov_b32 s16, exec_lo
	v_cmpx_gt_u32_e64 s56, v111
	s_cbranch_execnz .LBB919_889
.LBB919_699:                            ;   in Loop: Header=BB919_688 Depth=2
	s_or_b32 exec_lo, exec_lo, s16
	s_delay_alu instid0(SALU_CYCLE_1)
	s_mov_b32 s16, exec_lo
	v_cmpx_gt_u32_e64 s56, v112
	s_cbranch_execz .LBB919_890
.LBB919_700:                            ;   in Loop: Header=BB919_688 Depth=2
	global_load_d16_b16 v6, v[45:46], off offset:512
	s_or_b32 exec_lo, exec_lo, s16
	s_delay_alu instid0(SALU_CYCLE_1)
	s_mov_b32 s16, exec_lo
	v_cmpx_gt_u32_e64 s56, v113
	s_cbranch_execnz .LBB919_891
.LBB919_701:                            ;   in Loop: Header=BB919_688 Depth=2
	s_or_b32 exec_lo, exec_lo, s16
	s_delay_alu instid0(SALU_CYCLE_1)
	s_mov_b32 s16, exec_lo
	v_cmpx_gt_u32_e64 s56, v114
	s_cbranch_execz .LBB919_892
.LBB919_702:                            ;   in Loop: Header=BB919_688 Depth=2
	global_load_d16_b16 v7, v[45:46], off offset:640
	s_or_b32 exec_lo, exec_lo, s16
	s_delay_alu instid0(SALU_CYCLE_1)
	s_mov_b32 s16, exec_lo
	v_cmpx_gt_u32_e64 s56, v115
	s_cbranch_execnz .LBB919_893
.LBB919_703:                            ;   in Loop: Header=BB919_688 Depth=2
	s_or_b32 exec_lo, exec_lo, s16
	s_delay_alu instid0(SALU_CYCLE_1)
	s_mov_b32 s16, exec_lo
	v_cmpx_gt_u32_e64 s56, v116
	s_cbranch_execz .LBB919_894
.LBB919_704:                            ;   in Loop: Header=BB919_688 Depth=2
	global_load_d16_b16 v8, v[45:46], off offset:768
	s_or_b32 exec_lo, exec_lo, s16
	s_delay_alu instid0(SALU_CYCLE_1)
	s_mov_b32 s16, exec_lo
	v_cmpx_gt_u32_e64 s56, v117
	s_cbranch_execnz .LBB919_895
.LBB919_705:                            ;   in Loop: Header=BB919_688 Depth=2
	s_or_b32 exec_lo, exec_lo, s16
	s_delay_alu instid0(SALU_CYCLE_1)
	s_mov_b32 s16, exec_lo
	v_cmpx_gt_u32_e64 s56, v118
	s_cbranch_execz .LBB919_707
.LBB919_706:                            ;   in Loop: Header=BB919_688 Depth=2
	global_load_d16_b16 v9, v[45:46], off offset:896
.LBB919_707:                            ;   in Loop: Header=BB919_688 Depth=2
	s_or_b32 exec_lo, exec_lo, s16
	v_cmp_gt_u32_e64 s19, s56, v119
	s_sub_i32 s18, s63, s34
	s_mov_b64 s[16:17], s[34:35]
.LBB919_708:                            ;   in Loop: Header=BB919_688 Depth=2
	v_mov_b32_e32 v0, s56
	s_delay_alu instid0(VALU_DEP_2)
	s_and_saveexec_b32 s20, s19
	s_cbranch_execz .LBB919_710
; %bb.709:                              ;   in Loop: Header=BB919_688 Depth=2
	s_lshl_b64 s[16:17], s[16:17], 1
	v_mov_b32_e32 v0, s18
	v_add_co_u32 v45, vcc_lo, v123, s16
	v_add_co_ci_u32_e32 v46, vcc_lo, s17, v124, vcc_lo
	global_load_d16_hi_b16 v9, v[45:46], off
.LBB919_710:                            ;   in Loop: Header=BB919_688 Depth=2
	s_or_b32 exec_lo, exec_lo, s20
	s_waitcnt vmcnt(0)
	v_xor_b32_e32 v19, 0x7fff7fff, v2
	ds_store_b32 v73, v20 offset:1056
	ds_store_2addr_b32 v75, v20, v20 offset0:1 offset1:2
	ds_store_2addr_b32 v75, v20, v20 offset0:3 offset1:4
	;; [unrolled: 1-line block ×4, first 2 shown]
	s_waitcnt lgkmcnt(0)
	s_barrier
	v_and_b32_e32 v2, 0xffff, v19
	buffer_gl0_inv
	; wave barrier
	v_lshrrev_b32_e32 v2, s57, v2
	s_delay_alu instid0(VALU_DEP_1) | instskip(NEXT) | instid1(VALU_DEP_1)
	v_and_b32_e32 v45, s43, v2
	v_and_b32_e32 v2, 1, v45
	v_lshlrev_b32_e32 v46, 30, v45
	v_lshlrev_b32_e32 v141, 29, v45
	;; [unrolled: 1-line block ×4, first 2 shown]
	v_add_co_u32 v2, s16, v2, -1
	s_delay_alu instid0(VALU_DEP_1)
	v_cndmask_b32_e64 v143, 0, 1, s16
	v_not_b32_e32 v147, v46
	v_cmp_gt_i32_e64 s16, 0, v46
	v_not_b32_e32 v46, v141
	v_lshlrev_b32_e32 v145, 26, v45
	v_cmp_ne_u32_e32 vcc_lo, 0, v143
	v_ashrrev_i32_e32 v147, 31, v147
	v_lshlrev_b32_e32 v146, 25, v45
	v_ashrrev_i32_e32 v46, 31, v46
	v_lshlrev_b32_e32 v143, 24, v45
	v_xor_b32_e32 v2, vcc_lo, v2
	v_cmp_gt_i32_e32 vcc_lo, 0, v141
	v_not_b32_e32 v141, v142
	v_xor_b32_e32 v147, s16, v147
	v_cmp_gt_i32_e64 s16, 0, v142
	v_and_b32_e32 v2, exec_lo, v2
	v_not_b32_e32 v142, v144
	v_ashrrev_i32_e32 v141, 31, v141
	v_xor_b32_e32 v46, vcc_lo, v46
	v_cmp_gt_i32_e32 vcc_lo, 0, v144
	v_and_b32_e32 v2, v2, v147
	v_not_b32_e32 v144, v145
	v_ashrrev_i32_e32 v142, 31, v142
	v_xor_b32_e32 v141, s16, v141
	v_cmp_gt_i32_e64 s16, 0, v145
	v_and_b32_e32 v2, v2, v46
	v_not_b32_e32 v46, v146
	v_ashrrev_i32_e32 v144, 31, v144
	v_xor_b32_e32 v142, vcc_lo, v142
	v_cmp_gt_i32_e32 vcc_lo, 0, v146
	v_and_b32_e32 v2, v2, v141
	v_not_b32_e32 v141, v143
	v_ashrrev_i32_e32 v46, 31, v46
	v_xor_b32_e32 v144, s16, v144
	v_cmp_gt_i32_e64 s16, 0, v143
	v_and_b32_e32 v2, v2, v142
	v_ashrrev_i32_e32 v141, 31, v141
	v_xor_b32_e32 v46, vcc_lo, v46
	v_mad_u32_u24 v45, v45, 9, v122
	s_delay_alu instid0(VALU_DEP_4) | instskip(NEXT) | instid1(VALU_DEP_4)
	v_and_b32_e32 v2, v2, v144
	v_xor_b32_e32 v141, s16, v141
	s_delay_alu instid0(VALU_DEP_3) | instskip(NEXT) | instid1(VALU_DEP_3)
	v_lshl_add_u32 v143, v45, 2, 0x420
	v_and_b32_e32 v2, v2, v46
	s_delay_alu instid0(VALU_DEP_1) | instskip(NEXT) | instid1(VALU_DEP_1)
	v_and_b32_e32 v2, v2, v141
	v_mbcnt_lo_u32_b32 v141, v2, 0
	v_cmp_ne_u32_e64 s16, 0, v2
	s_delay_alu instid0(VALU_DEP_2) | instskip(NEXT) | instid1(VALU_DEP_2)
	v_cmp_eq_u32_e32 vcc_lo, 0, v141
	s_and_b32 s17, s16, vcc_lo
	s_delay_alu instid0(SALU_CYCLE_1)
	s_and_saveexec_b32 s16, s17
	s_cbranch_execz .LBB919_712
; %bb.711:                              ;   in Loop: Header=BB919_688 Depth=2
	v_bcnt_u32_b32 v2, v2, 0
	ds_store_b32 v143, v2
.LBB919_712:                            ;   in Loop: Header=BB919_688 Depth=2
	s_or_b32 exec_lo, exec_lo, s16
	v_lshrrev_b32_e32 v142, 16, v19
	; wave barrier
	s_delay_alu instid0(VALU_DEP_1) | instskip(NEXT) | instid1(VALU_DEP_1)
	v_lshrrev_b32_e32 v2, s57, v142
	v_and_b32_e32 v2, s43, v2
	s_delay_alu instid0(VALU_DEP_1)
	v_and_b32_e32 v45, 1, v2
	v_lshlrev_b32_e32 v46, 30, v2
	v_lshlrev_b32_e32 v144, 29, v2
	;; [unrolled: 1-line block ×4, first 2 shown]
	v_add_co_u32 v45, s16, v45, -1
	s_delay_alu instid0(VALU_DEP_1)
	v_cndmask_b32_e64 v146, 0, 1, s16
	v_not_b32_e32 v150, v46
	v_cmp_gt_i32_e64 s16, 0, v46
	v_not_b32_e32 v46, v144
	v_lshlrev_b32_e32 v148, 26, v2
	v_cmp_ne_u32_e32 vcc_lo, 0, v146
	v_ashrrev_i32_e32 v150, 31, v150
	v_lshlrev_b32_e32 v149, 25, v2
	v_ashrrev_i32_e32 v46, 31, v46
	v_lshlrev_b32_e32 v146, 24, v2
	v_xor_b32_e32 v45, vcc_lo, v45
	v_cmp_gt_i32_e32 vcc_lo, 0, v144
	v_not_b32_e32 v144, v145
	v_xor_b32_e32 v150, s16, v150
	v_cmp_gt_i32_e64 s16, 0, v145
	v_and_b32_e32 v45, exec_lo, v45
	v_not_b32_e32 v145, v147
	v_ashrrev_i32_e32 v144, 31, v144
	v_xor_b32_e32 v46, vcc_lo, v46
	v_cmp_gt_i32_e32 vcc_lo, 0, v147
	v_and_b32_e32 v45, v45, v150
	v_not_b32_e32 v147, v148
	v_ashrrev_i32_e32 v145, 31, v145
	v_xor_b32_e32 v144, s16, v144
	v_cmp_gt_i32_e64 s16, 0, v148
	v_and_b32_e32 v45, v45, v46
	v_not_b32_e32 v46, v149
	v_ashrrev_i32_e32 v147, 31, v147
	v_xor_b32_e32 v145, vcc_lo, v145
	v_cmp_gt_i32_e32 vcc_lo, 0, v149
	v_and_b32_e32 v45, v45, v144
	v_not_b32_e32 v144, v146
	v_ashrrev_i32_e32 v46, 31, v46
	v_xor_b32_e32 v147, s16, v147
	v_mul_u32_u24_e32 v2, 9, v2
	v_and_b32_e32 v45, v45, v145
	v_cmp_gt_i32_e64 s16, 0, v146
	v_ashrrev_i32_e32 v144, 31, v144
	v_xor_b32_e32 v46, vcc_lo, v46
	s_delay_alu instid0(VALU_DEP_4) | instskip(SKIP_1) | instid1(VALU_DEP_4)
	v_and_b32_e32 v45, v45, v147
	v_add_lshl_u32 v147, v2, v122, 2
	v_xor_b32_e32 v2, s16, v144
	s_delay_alu instid0(VALU_DEP_3) | instskip(SKIP_3) | instid1(VALU_DEP_1)
	v_and_b32_e32 v45, v45, v46
	ds_load_b32 v145, v147 offset:1056
	v_add_nc_u32_e32 v147, 0x420, v147
	; wave barrier
	v_and_b32_e32 v2, v45, v2
	v_mbcnt_lo_u32_b32 v146, v2, 0
	v_cmp_ne_u32_e64 s16, 0, v2
	s_delay_alu instid0(VALU_DEP_2) | instskip(NEXT) | instid1(VALU_DEP_2)
	v_cmp_eq_u32_e32 vcc_lo, 0, v146
	s_and_b32 s17, s16, vcc_lo
	s_delay_alu instid0(SALU_CYCLE_1)
	s_and_saveexec_b32 s16, s17
	s_cbranch_execz .LBB919_714
; %bb.713:                              ;   in Loop: Header=BB919_688 Depth=2
	s_waitcnt lgkmcnt(0)
	v_bcnt_u32_b32 v2, v2, v145
	ds_store_b32 v147, v2
.LBB919_714:                            ;   in Loop: Header=BB919_688 Depth=2
	s_or_b32 exec_lo, exec_lo, s16
	v_xor_b32_e32 v144, 0x7fff7fff, v3
	; wave barrier
	s_delay_alu instid0(VALU_DEP_1) | instskip(NEXT) | instid1(VALU_DEP_1)
	v_and_b32_e32 v2, 0xffff, v144
	v_lshrrev_b32_e32 v2, s57, v2
	s_delay_alu instid0(VALU_DEP_1) | instskip(NEXT) | instid1(VALU_DEP_1)
	v_and_b32_e32 v2, s43, v2
	v_and_b32_e32 v3, 1, v2
	v_lshlrev_b32_e32 v45, 30, v2
	v_lshlrev_b32_e32 v46, 29, v2
	;; [unrolled: 1-line block ×4, first 2 shown]
	v_add_co_u32 v3, s16, v3, -1
	s_delay_alu instid0(VALU_DEP_1)
	v_cndmask_b32_e64 v149, 0, 1, s16
	v_not_b32_e32 v153, v45
	v_cmp_gt_i32_e64 s16, 0, v45
	v_not_b32_e32 v45, v46
	v_lshlrev_b32_e32 v151, 26, v2
	v_cmp_ne_u32_e32 vcc_lo, 0, v149
	v_ashrrev_i32_e32 v153, 31, v153
	v_lshlrev_b32_e32 v152, 25, v2
	v_ashrrev_i32_e32 v45, 31, v45
	v_lshlrev_b32_e32 v149, 24, v2
	v_xor_b32_e32 v3, vcc_lo, v3
	v_cmp_gt_i32_e32 vcc_lo, 0, v46
	v_not_b32_e32 v46, v148
	v_xor_b32_e32 v153, s16, v153
	v_cmp_gt_i32_e64 s16, 0, v148
	v_and_b32_e32 v3, exec_lo, v3
	v_not_b32_e32 v148, v150
	v_ashrrev_i32_e32 v46, 31, v46
	v_xor_b32_e32 v45, vcc_lo, v45
	v_cmp_gt_i32_e32 vcc_lo, 0, v150
	v_and_b32_e32 v3, v3, v153
	v_not_b32_e32 v150, v151
	v_ashrrev_i32_e32 v148, 31, v148
	v_xor_b32_e32 v46, s16, v46
	v_cmp_gt_i32_e64 s16, 0, v151
	v_and_b32_e32 v3, v3, v45
	v_not_b32_e32 v45, v152
	v_ashrrev_i32_e32 v150, 31, v150
	v_xor_b32_e32 v148, vcc_lo, v148
	v_cmp_gt_i32_e32 vcc_lo, 0, v152
	v_and_b32_e32 v3, v3, v46
	v_not_b32_e32 v46, v149
	v_ashrrev_i32_e32 v45, 31, v45
	v_xor_b32_e32 v150, s16, v150
	v_mul_u32_u24_e32 v2, 9, v2
	v_and_b32_e32 v3, v3, v148
	v_cmp_gt_i32_e64 s16, 0, v149
	v_ashrrev_i32_e32 v46, 31, v46
	v_xor_b32_e32 v45, vcc_lo, v45
	v_add_lshl_u32 v148, v2, v122, 2
	v_and_b32_e32 v3, v3, v150
	s_delay_alu instid0(VALU_DEP_4) | instskip(SKIP_3) | instid1(VALU_DEP_2)
	v_xor_b32_e32 v2, s16, v46
	ds_load_b32 v149, v148 offset:1056
	v_and_b32_e32 v3, v3, v45
	v_add_nc_u32_e32 v151, 0x420, v148
	; wave barrier
	v_and_b32_e32 v2, v3, v2
	s_delay_alu instid0(VALU_DEP_1) | instskip(SKIP_1) | instid1(VALU_DEP_2)
	v_mbcnt_lo_u32_b32 v150, v2, 0
	v_cmp_ne_u32_e64 s16, 0, v2
	v_cmp_eq_u32_e32 vcc_lo, 0, v150
	s_delay_alu instid0(VALU_DEP_2) | instskip(NEXT) | instid1(SALU_CYCLE_1)
	s_and_b32 s17, s16, vcc_lo
	s_and_saveexec_b32 s16, s17
	s_cbranch_execz .LBB919_716
; %bb.715:                              ;   in Loop: Header=BB919_688 Depth=2
	s_waitcnt lgkmcnt(0)
	v_bcnt_u32_b32 v2, v2, v149
	ds_store_b32 v151, v2
.LBB919_716:                            ;   in Loop: Header=BB919_688 Depth=2
	s_or_b32 exec_lo, exec_lo, s16
	v_lshrrev_b32_e32 v148, 16, v144
	; wave barrier
	s_delay_alu instid0(VALU_DEP_1) | instskip(NEXT) | instid1(VALU_DEP_1)
	v_lshrrev_b32_e32 v2, s57, v148
	v_and_b32_e32 v2, s43, v2
	s_delay_alu instid0(VALU_DEP_1)
	v_and_b32_e32 v3, 1, v2
	v_lshlrev_b32_e32 v45, 30, v2
	v_lshlrev_b32_e32 v46, 29, v2
	;; [unrolled: 1-line block ×4, first 2 shown]
	v_add_co_u32 v3, s16, v3, -1
	s_delay_alu instid0(VALU_DEP_1)
	v_cndmask_b32_e64 v153, 0, 1, s16
	v_not_b32_e32 v157, v45
	v_cmp_gt_i32_e64 s16, 0, v45
	v_not_b32_e32 v45, v46
	v_lshlrev_b32_e32 v155, 26, v2
	v_cmp_ne_u32_e32 vcc_lo, 0, v153
	v_ashrrev_i32_e32 v157, 31, v157
	v_lshlrev_b32_e32 v156, 25, v2
	v_ashrrev_i32_e32 v45, 31, v45
	v_lshlrev_b32_e32 v153, 24, v2
	v_xor_b32_e32 v3, vcc_lo, v3
	v_cmp_gt_i32_e32 vcc_lo, 0, v46
	v_not_b32_e32 v46, v152
	v_xor_b32_e32 v157, s16, v157
	v_cmp_gt_i32_e64 s16, 0, v152
	v_and_b32_e32 v3, exec_lo, v3
	v_not_b32_e32 v152, v154
	v_ashrrev_i32_e32 v46, 31, v46
	v_xor_b32_e32 v45, vcc_lo, v45
	v_cmp_gt_i32_e32 vcc_lo, 0, v154
	v_and_b32_e32 v3, v3, v157
	v_not_b32_e32 v154, v155
	v_ashrrev_i32_e32 v152, 31, v152
	v_xor_b32_e32 v46, s16, v46
	v_cmp_gt_i32_e64 s16, 0, v155
	v_and_b32_e32 v3, v3, v45
	v_not_b32_e32 v45, v156
	v_ashrrev_i32_e32 v154, 31, v154
	v_xor_b32_e32 v152, vcc_lo, v152
	v_cmp_gt_i32_e32 vcc_lo, 0, v156
	v_and_b32_e32 v3, v3, v46
	v_not_b32_e32 v46, v153
	v_ashrrev_i32_e32 v45, 31, v45
	v_xor_b32_e32 v154, s16, v154
	v_mul_u32_u24_e32 v2, 9, v2
	v_and_b32_e32 v3, v3, v152
	v_cmp_gt_i32_e64 s16, 0, v153
	v_ashrrev_i32_e32 v46, 31, v46
	v_xor_b32_e32 v45, vcc_lo, v45
	v_add_lshl_u32 v152, v2, v122, 2
	v_and_b32_e32 v3, v3, v154
	s_delay_alu instid0(VALU_DEP_4) | instskip(SKIP_3) | instid1(VALU_DEP_2)
	v_xor_b32_e32 v2, s16, v46
	ds_load_b32 v153, v152 offset:1056
	v_and_b32_e32 v3, v3, v45
	v_add_nc_u32_e32 v155, 0x420, v152
	; wave barrier
	v_and_b32_e32 v2, v3, v2
	s_delay_alu instid0(VALU_DEP_1) | instskip(SKIP_1) | instid1(VALU_DEP_2)
	v_mbcnt_lo_u32_b32 v154, v2, 0
	v_cmp_ne_u32_e64 s16, 0, v2
	v_cmp_eq_u32_e32 vcc_lo, 0, v154
	s_delay_alu instid0(VALU_DEP_2) | instskip(NEXT) | instid1(SALU_CYCLE_1)
	s_and_b32 s17, s16, vcc_lo
	s_and_saveexec_b32 s16, s17
	s_cbranch_execz .LBB919_718
; %bb.717:                              ;   in Loop: Header=BB919_688 Depth=2
	s_waitcnt lgkmcnt(0)
	v_bcnt_u32_b32 v2, v2, v153
	ds_store_b32 v155, v2
.LBB919_718:                            ;   in Loop: Header=BB919_688 Depth=2
	s_or_b32 exec_lo, exec_lo, s16
	v_xor_b32_e32 v152, 0x7fff7fff, v4
	; wave barrier
	s_delay_alu instid0(VALU_DEP_1) | instskip(NEXT) | instid1(VALU_DEP_1)
	v_and_b32_e32 v2, 0xffff, v152
	v_lshrrev_b32_e32 v2, s57, v2
	s_delay_alu instid0(VALU_DEP_1) | instskip(NEXT) | instid1(VALU_DEP_1)
	v_and_b32_e32 v2, s43, v2
	v_and_b32_e32 v3, 1, v2
	v_lshlrev_b32_e32 v4, 30, v2
	v_lshlrev_b32_e32 v45, 29, v2
	;; [unrolled: 1-line block ×4, first 2 shown]
	v_add_co_u32 v3, s16, v3, -1
	s_delay_alu instid0(VALU_DEP_1)
	v_cndmask_b32_e64 v156, 0, 1, s16
	v_not_b32_e32 v160, v4
	v_cmp_gt_i32_e64 s16, 0, v4
	v_not_b32_e32 v4, v45
	v_lshlrev_b32_e32 v158, 26, v2
	v_cmp_ne_u32_e32 vcc_lo, 0, v156
	v_ashrrev_i32_e32 v160, 31, v160
	v_lshlrev_b32_e32 v159, 25, v2
	v_ashrrev_i32_e32 v4, 31, v4
	v_lshlrev_b32_e32 v156, 24, v2
	v_xor_b32_e32 v3, vcc_lo, v3
	v_cmp_gt_i32_e32 vcc_lo, 0, v45
	v_not_b32_e32 v45, v46
	v_xor_b32_e32 v160, s16, v160
	v_cmp_gt_i32_e64 s16, 0, v46
	v_and_b32_e32 v3, exec_lo, v3
	v_not_b32_e32 v46, v157
	v_ashrrev_i32_e32 v45, 31, v45
	v_xor_b32_e32 v4, vcc_lo, v4
	v_cmp_gt_i32_e32 vcc_lo, 0, v157
	v_and_b32_e32 v3, v3, v160
	v_not_b32_e32 v157, v158
	v_ashrrev_i32_e32 v46, 31, v46
	v_xor_b32_e32 v45, s16, v45
	v_cmp_gt_i32_e64 s16, 0, v158
	v_and_b32_e32 v3, v3, v4
	v_not_b32_e32 v4, v159
	v_ashrrev_i32_e32 v157, 31, v157
	v_xor_b32_e32 v46, vcc_lo, v46
	v_cmp_gt_i32_e32 vcc_lo, 0, v159
	v_and_b32_e32 v3, v3, v45
	v_not_b32_e32 v45, v156
	v_ashrrev_i32_e32 v4, 31, v4
	v_xor_b32_e32 v157, s16, v157
	v_mul_u32_u24_e32 v2, 9, v2
	v_and_b32_e32 v3, v3, v46
	v_cmp_gt_i32_e64 s16, 0, v156
	v_ashrrev_i32_e32 v45, 31, v45
	v_xor_b32_e32 v4, vcc_lo, v4
	v_add_lshl_u32 v46, v2, v122, 2
	v_and_b32_e32 v3, v3, v157
	s_delay_alu instid0(VALU_DEP_4) | instskip(SKIP_3) | instid1(VALU_DEP_2)
	v_xor_b32_e32 v2, s16, v45
	ds_load_b32 v157, v46 offset:1056
	v_and_b32_e32 v3, v3, v4
	v_add_nc_u32_e32 v159, 0x420, v46
	; wave barrier
	v_and_b32_e32 v2, v3, v2
	s_delay_alu instid0(VALU_DEP_1) | instskip(SKIP_1) | instid1(VALU_DEP_2)
	v_mbcnt_lo_u32_b32 v158, v2, 0
	v_cmp_ne_u32_e64 s16, 0, v2
	v_cmp_eq_u32_e32 vcc_lo, 0, v158
	s_delay_alu instid0(VALU_DEP_2) | instskip(NEXT) | instid1(SALU_CYCLE_1)
	s_and_b32 s17, s16, vcc_lo
	s_and_saveexec_b32 s16, s17
	s_cbranch_execz .LBB919_720
; %bb.719:                              ;   in Loop: Header=BB919_688 Depth=2
	s_waitcnt lgkmcnt(0)
	v_bcnt_u32_b32 v2, v2, v157
	ds_store_b32 v159, v2
.LBB919_720:                            ;   in Loop: Header=BB919_688 Depth=2
	s_or_b32 exec_lo, exec_lo, s16
	v_lshrrev_b32_e32 v156, 16, v152
	; wave barrier
	s_delay_alu instid0(VALU_DEP_1) | instskip(NEXT) | instid1(VALU_DEP_1)
	v_lshrrev_b32_e32 v2, s57, v156
	v_and_b32_e32 v2, s43, v2
	s_delay_alu instid0(VALU_DEP_1)
	v_and_b32_e32 v3, 1, v2
	v_lshlrev_b32_e32 v4, 30, v2
	v_lshlrev_b32_e32 v45, 29, v2
	;; [unrolled: 1-line block ×4, first 2 shown]
	v_add_co_u32 v3, s16, v3, -1
	s_delay_alu instid0(VALU_DEP_1)
	v_cndmask_b32_e64 v160, 0, 1, s16
	v_not_b32_e32 v164, v4
	v_cmp_gt_i32_e64 s16, 0, v4
	v_not_b32_e32 v4, v45
	v_lshlrev_b32_e32 v162, 26, v2
	v_cmp_ne_u32_e32 vcc_lo, 0, v160
	v_ashrrev_i32_e32 v164, 31, v164
	v_lshlrev_b32_e32 v163, 25, v2
	v_ashrrev_i32_e32 v4, 31, v4
	v_lshlrev_b32_e32 v160, 24, v2
	v_xor_b32_e32 v3, vcc_lo, v3
	v_cmp_gt_i32_e32 vcc_lo, 0, v45
	v_not_b32_e32 v45, v46
	v_xor_b32_e32 v164, s16, v164
	v_cmp_gt_i32_e64 s16, 0, v46
	v_and_b32_e32 v3, exec_lo, v3
	v_not_b32_e32 v46, v161
	v_ashrrev_i32_e32 v45, 31, v45
	v_xor_b32_e32 v4, vcc_lo, v4
	v_cmp_gt_i32_e32 vcc_lo, 0, v161
	v_and_b32_e32 v3, v3, v164
	v_not_b32_e32 v161, v162
	v_ashrrev_i32_e32 v46, 31, v46
	v_xor_b32_e32 v45, s16, v45
	v_cmp_gt_i32_e64 s16, 0, v162
	v_and_b32_e32 v3, v3, v4
	v_not_b32_e32 v4, v163
	v_ashrrev_i32_e32 v161, 31, v161
	v_xor_b32_e32 v46, vcc_lo, v46
	v_cmp_gt_i32_e32 vcc_lo, 0, v163
	v_and_b32_e32 v3, v3, v45
	v_not_b32_e32 v45, v160
	v_ashrrev_i32_e32 v4, 31, v4
	v_xor_b32_e32 v161, s16, v161
	v_mul_u32_u24_e32 v2, 9, v2
	v_and_b32_e32 v3, v3, v46
	v_cmp_gt_i32_e64 s16, 0, v160
	v_ashrrev_i32_e32 v45, 31, v45
	v_xor_b32_e32 v4, vcc_lo, v4
	v_add_lshl_u32 v46, v2, v122, 2
	v_and_b32_e32 v3, v3, v161
	s_delay_alu instid0(VALU_DEP_4) | instskip(SKIP_3) | instid1(VALU_DEP_2)
	v_xor_b32_e32 v2, s16, v45
	ds_load_b32 v161, v46 offset:1056
	v_and_b32_e32 v3, v3, v4
	v_add_nc_u32_e32 v163, 0x420, v46
	; wave barrier
	v_and_b32_e32 v2, v3, v2
	s_delay_alu instid0(VALU_DEP_1) | instskip(SKIP_1) | instid1(VALU_DEP_2)
	v_mbcnt_lo_u32_b32 v162, v2, 0
	v_cmp_ne_u32_e64 s16, 0, v2
	v_cmp_eq_u32_e32 vcc_lo, 0, v162
	s_delay_alu instid0(VALU_DEP_2) | instskip(NEXT) | instid1(SALU_CYCLE_1)
	s_and_b32 s17, s16, vcc_lo
	s_and_saveexec_b32 s16, s17
	s_cbranch_execz .LBB919_722
; %bb.721:                              ;   in Loop: Header=BB919_688 Depth=2
	s_waitcnt lgkmcnt(0)
	v_bcnt_u32_b32 v2, v2, v161
	ds_store_b32 v163, v2
.LBB919_722:                            ;   in Loop: Header=BB919_688 Depth=2
	s_or_b32 exec_lo, exec_lo, s16
	v_xor_b32_e32 v160, 0x7fff7fff, v5
	; wave barrier
	s_delay_alu instid0(VALU_DEP_1) | instskip(NEXT) | instid1(VALU_DEP_1)
	v_and_b32_e32 v2, 0xffff, v160
	v_lshrrev_b32_e32 v2, s57, v2
	s_delay_alu instid0(VALU_DEP_1) | instskip(NEXT) | instid1(VALU_DEP_1)
	v_and_b32_e32 v2, s43, v2
	v_and_b32_e32 v3, 1, v2
	v_lshlrev_b32_e32 v4, 30, v2
	v_lshlrev_b32_e32 v5, 29, v2
	;; [unrolled: 1-line block ×4, first 2 shown]
	v_add_co_u32 v3, s16, v3, -1
	s_delay_alu instid0(VALU_DEP_1)
	v_cndmask_b32_e64 v46, 0, 1, s16
	v_not_b32_e32 v167, v4
	v_cmp_gt_i32_e64 s16, 0, v4
	v_not_b32_e32 v4, v5
	v_lshlrev_b32_e32 v165, 26, v2
	v_cmp_ne_u32_e32 vcc_lo, 0, v46
	v_ashrrev_i32_e32 v167, 31, v167
	v_lshlrev_b32_e32 v166, 25, v2
	v_ashrrev_i32_e32 v4, 31, v4
	v_lshlrev_b32_e32 v46, 24, v2
	v_xor_b32_e32 v3, vcc_lo, v3
	v_cmp_gt_i32_e32 vcc_lo, 0, v5
	v_not_b32_e32 v5, v45
	v_xor_b32_e32 v167, s16, v167
	v_cmp_gt_i32_e64 s16, 0, v45
	v_and_b32_e32 v3, exec_lo, v3
	v_not_b32_e32 v45, v164
	v_ashrrev_i32_e32 v5, 31, v5
	v_xor_b32_e32 v4, vcc_lo, v4
	v_cmp_gt_i32_e32 vcc_lo, 0, v164
	v_and_b32_e32 v3, v3, v167
	v_not_b32_e32 v164, v165
	v_ashrrev_i32_e32 v45, 31, v45
	v_xor_b32_e32 v5, s16, v5
	v_cmp_gt_i32_e64 s16, 0, v165
	v_and_b32_e32 v3, v3, v4
	v_not_b32_e32 v4, v166
	v_ashrrev_i32_e32 v164, 31, v164
	v_xor_b32_e32 v45, vcc_lo, v45
	v_cmp_gt_i32_e32 vcc_lo, 0, v166
	v_and_b32_e32 v3, v3, v5
	v_not_b32_e32 v5, v46
	v_ashrrev_i32_e32 v4, 31, v4
	v_xor_b32_e32 v164, s16, v164
	v_mul_u32_u24_e32 v2, 9, v2
	v_and_b32_e32 v3, v3, v45
	v_cmp_gt_i32_e64 s16, 0, v46
	v_ashrrev_i32_e32 v5, 31, v5
	v_xor_b32_e32 v4, vcc_lo, v4
	v_add_lshl_u32 v45, v2, v122, 2
	v_and_b32_e32 v3, v3, v164
	s_delay_alu instid0(VALU_DEP_4) | instskip(SKIP_3) | instid1(VALU_DEP_2)
	v_xor_b32_e32 v2, s16, v5
	ds_load_b32 v165, v45 offset:1056
	v_and_b32_e32 v3, v3, v4
	v_add_nc_u32_e32 v167, 0x420, v45
	; wave barrier
	v_and_b32_e32 v2, v3, v2
	s_delay_alu instid0(VALU_DEP_1) | instskip(SKIP_1) | instid1(VALU_DEP_2)
	v_mbcnt_lo_u32_b32 v166, v2, 0
	v_cmp_ne_u32_e64 s16, 0, v2
	v_cmp_eq_u32_e32 vcc_lo, 0, v166
	s_delay_alu instid0(VALU_DEP_2) | instskip(NEXT) | instid1(SALU_CYCLE_1)
	s_and_b32 s17, s16, vcc_lo
	s_and_saveexec_b32 s16, s17
	s_cbranch_execz .LBB919_724
; %bb.723:                              ;   in Loop: Header=BB919_688 Depth=2
	s_waitcnt lgkmcnt(0)
	v_bcnt_u32_b32 v2, v2, v165
	ds_store_b32 v167, v2
.LBB919_724:                            ;   in Loop: Header=BB919_688 Depth=2
	s_or_b32 exec_lo, exec_lo, s16
	v_lshrrev_b32_e32 v164, 16, v160
	; wave barrier
	s_delay_alu instid0(VALU_DEP_1) | instskip(NEXT) | instid1(VALU_DEP_1)
	v_lshrrev_b32_e32 v2, s57, v164
	v_and_b32_e32 v2, s43, v2
	s_delay_alu instid0(VALU_DEP_1)
	v_and_b32_e32 v3, 1, v2
	v_lshlrev_b32_e32 v4, 30, v2
	v_lshlrev_b32_e32 v5, 29, v2
	;; [unrolled: 1-line block ×4, first 2 shown]
	v_add_co_u32 v3, s16, v3, -1
	s_delay_alu instid0(VALU_DEP_1)
	v_cndmask_b32_e64 v46, 0, 1, s16
	v_not_b32_e32 v171, v4
	v_cmp_gt_i32_e64 s16, 0, v4
	v_not_b32_e32 v4, v5
	v_lshlrev_b32_e32 v169, 26, v2
	v_cmp_ne_u32_e32 vcc_lo, 0, v46
	v_ashrrev_i32_e32 v171, 31, v171
	v_lshlrev_b32_e32 v170, 25, v2
	v_ashrrev_i32_e32 v4, 31, v4
	v_lshlrev_b32_e32 v46, 24, v2
	v_xor_b32_e32 v3, vcc_lo, v3
	v_cmp_gt_i32_e32 vcc_lo, 0, v5
	v_not_b32_e32 v5, v45
	v_xor_b32_e32 v171, s16, v171
	v_cmp_gt_i32_e64 s16, 0, v45
	v_and_b32_e32 v3, exec_lo, v3
	v_not_b32_e32 v45, v168
	v_ashrrev_i32_e32 v5, 31, v5
	v_xor_b32_e32 v4, vcc_lo, v4
	v_cmp_gt_i32_e32 vcc_lo, 0, v168
	v_and_b32_e32 v3, v3, v171
	v_not_b32_e32 v168, v169
	v_ashrrev_i32_e32 v45, 31, v45
	v_xor_b32_e32 v5, s16, v5
	v_cmp_gt_i32_e64 s16, 0, v169
	v_and_b32_e32 v3, v3, v4
	v_not_b32_e32 v4, v170
	v_ashrrev_i32_e32 v168, 31, v168
	v_xor_b32_e32 v45, vcc_lo, v45
	v_cmp_gt_i32_e32 vcc_lo, 0, v170
	v_and_b32_e32 v3, v3, v5
	v_not_b32_e32 v5, v46
	v_ashrrev_i32_e32 v4, 31, v4
	v_xor_b32_e32 v168, s16, v168
	v_mul_u32_u24_e32 v2, 9, v2
	v_and_b32_e32 v3, v3, v45
	v_cmp_gt_i32_e64 s16, 0, v46
	v_ashrrev_i32_e32 v5, 31, v5
	v_xor_b32_e32 v4, vcc_lo, v4
	v_add_lshl_u32 v45, v2, v122, 2
	v_and_b32_e32 v3, v3, v168
	s_delay_alu instid0(VALU_DEP_4) | instskip(SKIP_3) | instid1(VALU_DEP_2)
	v_xor_b32_e32 v2, s16, v5
	ds_load_b32 v169, v45 offset:1056
	v_and_b32_e32 v3, v3, v4
	v_add_nc_u32_e32 v171, 0x420, v45
	; wave barrier
	v_and_b32_e32 v2, v3, v2
	s_delay_alu instid0(VALU_DEP_1) | instskip(SKIP_1) | instid1(VALU_DEP_2)
	v_mbcnt_lo_u32_b32 v170, v2, 0
	v_cmp_ne_u32_e64 s16, 0, v2
	v_cmp_eq_u32_e32 vcc_lo, 0, v170
	s_delay_alu instid0(VALU_DEP_2) | instskip(NEXT) | instid1(SALU_CYCLE_1)
	s_and_b32 s17, s16, vcc_lo
	s_and_saveexec_b32 s16, s17
	s_cbranch_execz .LBB919_726
; %bb.725:                              ;   in Loop: Header=BB919_688 Depth=2
	s_waitcnt lgkmcnt(0)
	v_bcnt_u32_b32 v2, v2, v169
	ds_store_b32 v171, v2
.LBB919_726:                            ;   in Loop: Header=BB919_688 Depth=2
	s_or_b32 exec_lo, exec_lo, s16
	v_xor_b32_e32 v168, 0x7fff7fff, v6
	; wave barrier
	s_delay_alu instid0(VALU_DEP_1) | instskip(NEXT) | instid1(VALU_DEP_1)
	v_and_b32_e32 v2, 0xffff, v168
	v_lshrrev_b32_e32 v2, s57, v2
	s_delay_alu instid0(VALU_DEP_1) | instskip(NEXT) | instid1(VALU_DEP_1)
	v_and_b32_e32 v2, s43, v2
	v_and_b32_e32 v3, 1, v2
	v_lshlrev_b32_e32 v4, 30, v2
	v_lshlrev_b32_e32 v5, 29, v2
	;; [unrolled: 1-line block ×4, first 2 shown]
	v_add_co_u32 v3, s16, v3, -1
	s_delay_alu instid0(VALU_DEP_1)
	v_cndmask_b32_e64 v45, 0, 1, s16
	v_not_b32_e32 v174, v4
	v_cmp_gt_i32_e64 s16, 0, v4
	v_not_b32_e32 v4, v5
	v_lshlrev_b32_e32 v172, 26, v2
	v_cmp_ne_u32_e32 vcc_lo, 0, v45
	v_ashrrev_i32_e32 v174, 31, v174
	v_lshlrev_b32_e32 v173, 25, v2
	v_ashrrev_i32_e32 v4, 31, v4
	v_lshlrev_b32_e32 v45, 24, v2
	v_xor_b32_e32 v3, vcc_lo, v3
	v_cmp_gt_i32_e32 vcc_lo, 0, v5
	v_not_b32_e32 v5, v6
	v_xor_b32_e32 v174, s16, v174
	v_cmp_gt_i32_e64 s16, 0, v6
	v_and_b32_e32 v3, exec_lo, v3
	v_not_b32_e32 v6, v46
	v_ashrrev_i32_e32 v5, 31, v5
	v_xor_b32_e32 v4, vcc_lo, v4
	v_cmp_gt_i32_e32 vcc_lo, 0, v46
	v_and_b32_e32 v3, v3, v174
	v_not_b32_e32 v46, v172
	v_ashrrev_i32_e32 v6, 31, v6
	v_xor_b32_e32 v5, s16, v5
	v_cmp_gt_i32_e64 s16, 0, v172
	v_and_b32_e32 v3, v3, v4
	v_not_b32_e32 v4, v173
	v_ashrrev_i32_e32 v46, 31, v46
	v_xor_b32_e32 v6, vcc_lo, v6
	v_cmp_gt_i32_e32 vcc_lo, 0, v173
	v_and_b32_e32 v3, v3, v5
	v_not_b32_e32 v5, v45
	v_ashrrev_i32_e32 v4, 31, v4
	v_xor_b32_e32 v46, s16, v46
	v_mul_u32_u24_e32 v2, 9, v2
	v_and_b32_e32 v3, v3, v6
	v_cmp_gt_i32_e64 s16, 0, v45
	v_ashrrev_i32_e32 v5, 31, v5
	v_xor_b32_e32 v4, vcc_lo, v4
	v_add_lshl_u32 v6, v2, v122, 2
	v_and_b32_e32 v3, v3, v46
	s_delay_alu instid0(VALU_DEP_4) | instskip(SKIP_3) | instid1(VALU_DEP_2)
	v_xor_b32_e32 v2, s16, v5
	ds_load_b32 v173, v6 offset:1056
	v_and_b32_e32 v3, v3, v4
	v_add_nc_u32_e32 v175, 0x420, v6
	; wave barrier
	v_and_b32_e32 v2, v3, v2
	s_delay_alu instid0(VALU_DEP_1) | instskip(SKIP_1) | instid1(VALU_DEP_2)
	v_mbcnt_lo_u32_b32 v174, v2, 0
	v_cmp_ne_u32_e64 s16, 0, v2
	v_cmp_eq_u32_e32 vcc_lo, 0, v174
	s_delay_alu instid0(VALU_DEP_2) | instskip(NEXT) | instid1(SALU_CYCLE_1)
	s_and_b32 s17, s16, vcc_lo
	s_and_saveexec_b32 s16, s17
	s_cbranch_execz .LBB919_728
; %bb.727:                              ;   in Loop: Header=BB919_688 Depth=2
	s_waitcnt lgkmcnt(0)
	v_bcnt_u32_b32 v2, v2, v173
	ds_store_b32 v175, v2
.LBB919_728:                            ;   in Loop: Header=BB919_688 Depth=2
	s_or_b32 exec_lo, exec_lo, s16
	v_lshrrev_b32_e32 v172, 16, v168
	; wave barrier
	s_delay_alu instid0(VALU_DEP_1) | instskip(NEXT) | instid1(VALU_DEP_1)
	v_lshrrev_b32_e32 v2, s57, v172
	v_and_b32_e32 v2, s43, v2
	s_delay_alu instid0(VALU_DEP_1)
	v_and_b32_e32 v3, 1, v2
	v_lshlrev_b32_e32 v4, 30, v2
	v_lshlrev_b32_e32 v5, 29, v2
	;; [unrolled: 1-line block ×4, first 2 shown]
	v_add_co_u32 v3, s16, v3, -1
	s_delay_alu instid0(VALU_DEP_1)
	v_cndmask_b32_e64 v45, 0, 1, s16
	v_not_b32_e32 v178, v4
	v_cmp_gt_i32_e64 s16, 0, v4
	v_not_b32_e32 v4, v5
	v_lshlrev_b32_e32 v176, 26, v2
	v_cmp_ne_u32_e32 vcc_lo, 0, v45
	v_ashrrev_i32_e32 v178, 31, v178
	v_lshlrev_b32_e32 v177, 25, v2
	v_ashrrev_i32_e32 v4, 31, v4
	v_lshlrev_b32_e32 v45, 24, v2
	v_xor_b32_e32 v3, vcc_lo, v3
	v_cmp_gt_i32_e32 vcc_lo, 0, v5
	v_not_b32_e32 v5, v6
	v_xor_b32_e32 v178, s16, v178
	v_cmp_gt_i32_e64 s16, 0, v6
	v_and_b32_e32 v3, exec_lo, v3
	v_not_b32_e32 v6, v46
	v_ashrrev_i32_e32 v5, 31, v5
	v_xor_b32_e32 v4, vcc_lo, v4
	v_cmp_gt_i32_e32 vcc_lo, 0, v46
	v_and_b32_e32 v3, v3, v178
	v_not_b32_e32 v46, v176
	v_ashrrev_i32_e32 v6, 31, v6
	v_xor_b32_e32 v5, s16, v5
	v_cmp_gt_i32_e64 s16, 0, v176
	v_and_b32_e32 v3, v3, v4
	v_not_b32_e32 v4, v177
	v_ashrrev_i32_e32 v46, 31, v46
	v_xor_b32_e32 v6, vcc_lo, v6
	v_cmp_gt_i32_e32 vcc_lo, 0, v177
	v_and_b32_e32 v3, v3, v5
	v_not_b32_e32 v5, v45
	v_ashrrev_i32_e32 v4, 31, v4
	v_xor_b32_e32 v46, s16, v46
	v_mul_u32_u24_e32 v2, 9, v2
	v_and_b32_e32 v3, v3, v6
	v_cmp_gt_i32_e64 s16, 0, v45
	v_ashrrev_i32_e32 v5, 31, v5
	v_xor_b32_e32 v4, vcc_lo, v4
	v_add_lshl_u32 v6, v2, v122, 2
	v_and_b32_e32 v3, v3, v46
	s_delay_alu instid0(VALU_DEP_4) | instskip(SKIP_3) | instid1(VALU_DEP_2)
	v_xor_b32_e32 v2, s16, v5
	ds_load_b32 v177, v6 offset:1056
	v_and_b32_e32 v3, v3, v4
	v_add_nc_u32_e32 v179, 0x420, v6
	; wave barrier
	v_and_b32_e32 v2, v3, v2
	s_delay_alu instid0(VALU_DEP_1) | instskip(SKIP_1) | instid1(VALU_DEP_2)
	v_mbcnt_lo_u32_b32 v178, v2, 0
	v_cmp_ne_u32_e64 s16, 0, v2
	v_cmp_eq_u32_e32 vcc_lo, 0, v178
	s_delay_alu instid0(VALU_DEP_2) | instskip(NEXT) | instid1(SALU_CYCLE_1)
	s_and_b32 s17, s16, vcc_lo
	s_and_saveexec_b32 s16, s17
	s_cbranch_execz .LBB919_730
; %bb.729:                              ;   in Loop: Header=BB919_688 Depth=2
	s_waitcnt lgkmcnt(0)
	v_bcnt_u32_b32 v2, v2, v177
	ds_store_b32 v179, v2
.LBB919_730:                            ;   in Loop: Header=BB919_688 Depth=2
	s_or_b32 exec_lo, exec_lo, s16
	v_xor_b32_e32 v176, 0x7fff7fff, v7
	; wave barrier
	s_delay_alu instid0(VALU_DEP_1) | instskip(NEXT) | instid1(VALU_DEP_1)
	v_and_b32_e32 v2, 0xffff, v176
	v_lshrrev_b32_e32 v2, s57, v2
	s_delay_alu instid0(VALU_DEP_1) | instskip(NEXT) | instid1(VALU_DEP_1)
	v_and_b32_e32 v2, s43, v2
	v_and_b32_e32 v3, 1, v2
	v_lshlrev_b32_e32 v4, 30, v2
	v_lshlrev_b32_e32 v5, 29, v2
	;; [unrolled: 1-line block ×4, first 2 shown]
	v_add_co_u32 v3, s16, v3, -1
	s_delay_alu instid0(VALU_DEP_1)
	v_cndmask_b32_e64 v7, 0, 1, s16
	v_not_b32_e32 v181, v4
	v_cmp_gt_i32_e64 s16, 0, v4
	v_not_b32_e32 v4, v5
	v_lshlrev_b32_e32 v46, 26, v2
	v_cmp_ne_u32_e32 vcc_lo, 0, v7
	v_ashrrev_i32_e32 v181, 31, v181
	v_lshlrev_b32_e32 v180, 25, v2
	v_ashrrev_i32_e32 v4, 31, v4
	v_lshlrev_b32_e32 v7, 24, v2
	v_xor_b32_e32 v3, vcc_lo, v3
	v_cmp_gt_i32_e32 vcc_lo, 0, v5
	v_not_b32_e32 v5, v6
	v_xor_b32_e32 v181, s16, v181
	v_cmp_gt_i32_e64 s16, 0, v6
	v_and_b32_e32 v3, exec_lo, v3
	v_not_b32_e32 v6, v45
	v_ashrrev_i32_e32 v5, 31, v5
	v_xor_b32_e32 v4, vcc_lo, v4
	v_cmp_gt_i32_e32 vcc_lo, 0, v45
	v_and_b32_e32 v3, v3, v181
	v_not_b32_e32 v45, v46
	v_ashrrev_i32_e32 v6, 31, v6
	v_xor_b32_e32 v5, s16, v5
	v_cmp_gt_i32_e64 s16, 0, v46
	v_and_b32_e32 v3, v3, v4
	v_not_b32_e32 v4, v180
	v_ashrrev_i32_e32 v45, 31, v45
	v_xor_b32_e32 v6, vcc_lo, v6
	v_cmp_gt_i32_e32 vcc_lo, 0, v180
	v_and_b32_e32 v3, v3, v5
	v_not_b32_e32 v5, v7
	v_ashrrev_i32_e32 v4, 31, v4
	v_xor_b32_e32 v45, s16, v45
	v_mul_u32_u24_e32 v2, 9, v2
	v_and_b32_e32 v3, v3, v6
	v_cmp_gt_i32_e64 s16, 0, v7
	v_ashrrev_i32_e32 v5, 31, v5
	v_xor_b32_e32 v4, vcc_lo, v4
	v_add_lshl_u32 v6, v2, v122, 2
	v_and_b32_e32 v3, v3, v45
	s_delay_alu instid0(VALU_DEP_4) | instskip(SKIP_3) | instid1(VALU_DEP_2)
	v_xor_b32_e32 v2, s16, v5
	ds_load_b32 v181, v6 offset:1056
	v_and_b32_e32 v3, v3, v4
	v_add_nc_u32_e32 v183, 0x420, v6
	; wave barrier
	v_and_b32_e32 v2, v3, v2
	s_delay_alu instid0(VALU_DEP_1) | instskip(SKIP_1) | instid1(VALU_DEP_2)
	v_mbcnt_lo_u32_b32 v182, v2, 0
	v_cmp_ne_u32_e64 s16, 0, v2
	v_cmp_eq_u32_e32 vcc_lo, 0, v182
	s_delay_alu instid0(VALU_DEP_2) | instskip(NEXT) | instid1(SALU_CYCLE_1)
	s_and_b32 s17, s16, vcc_lo
	s_and_saveexec_b32 s16, s17
	s_cbranch_execz .LBB919_732
; %bb.731:                              ;   in Loop: Header=BB919_688 Depth=2
	s_waitcnt lgkmcnt(0)
	v_bcnt_u32_b32 v2, v2, v181
	ds_store_b32 v183, v2
.LBB919_732:                            ;   in Loop: Header=BB919_688 Depth=2
	s_or_b32 exec_lo, exec_lo, s16
	v_lshrrev_b32_e32 v180, 16, v176
	; wave barrier
	s_delay_alu instid0(VALU_DEP_1) | instskip(NEXT) | instid1(VALU_DEP_1)
	v_lshrrev_b32_e32 v2, s57, v180
	v_and_b32_e32 v2, s43, v2
	s_delay_alu instid0(VALU_DEP_1)
	v_and_b32_e32 v3, 1, v2
	v_lshlrev_b32_e32 v4, 30, v2
	v_lshlrev_b32_e32 v5, 29, v2
	;; [unrolled: 1-line block ×4, first 2 shown]
	v_add_co_u32 v3, s16, v3, -1
	s_delay_alu instid0(VALU_DEP_1)
	v_cndmask_b32_e64 v7, 0, 1, s16
	v_not_b32_e32 v185, v4
	v_cmp_gt_i32_e64 s16, 0, v4
	v_not_b32_e32 v4, v5
	v_lshlrev_b32_e32 v46, 26, v2
	v_cmp_ne_u32_e32 vcc_lo, 0, v7
	v_ashrrev_i32_e32 v185, 31, v185
	v_lshlrev_b32_e32 v184, 25, v2
	v_ashrrev_i32_e32 v4, 31, v4
	v_lshlrev_b32_e32 v7, 24, v2
	v_xor_b32_e32 v3, vcc_lo, v3
	v_cmp_gt_i32_e32 vcc_lo, 0, v5
	v_not_b32_e32 v5, v6
	v_xor_b32_e32 v185, s16, v185
	v_cmp_gt_i32_e64 s16, 0, v6
	v_and_b32_e32 v3, exec_lo, v3
	v_not_b32_e32 v6, v45
	v_ashrrev_i32_e32 v5, 31, v5
	v_xor_b32_e32 v4, vcc_lo, v4
	v_cmp_gt_i32_e32 vcc_lo, 0, v45
	v_and_b32_e32 v3, v3, v185
	v_not_b32_e32 v45, v46
	v_ashrrev_i32_e32 v6, 31, v6
	v_xor_b32_e32 v5, s16, v5
	v_cmp_gt_i32_e64 s16, 0, v46
	v_and_b32_e32 v3, v3, v4
	v_not_b32_e32 v4, v184
	v_ashrrev_i32_e32 v45, 31, v45
	v_xor_b32_e32 v6, vcc_lo, v6
	v_cmp_gt_i32_e32 vcc_lo, 0, v184
	v_and_b32_e32 v3, v3, v5
	v_not_b32_e32 v5, v7
	v_ashrrev_i32_e32 v4, 31, v4
	v_xor_b32_e32 v45, s16, v45
	v_mul_u32_u24_e32 v2, 9, v2
	v_and_b32_e32 v3, v3, v6
	v_cmp_gt_i32_e64 s16, 0, v7
	v_ashrrev_i32_e32 v5, 31, v5
	v_xor_b32_e32 v4, vcc_lo, v4
	v_add_lshl_u32 v6, v2, v122, 2
	v_and_b32_e32 v3, v3, v45
	s_delay_alu instid0(VALU_DEP_4) | instskip(SKIP_3) | instid1(VALU_DEP_2)
	v_xor_b32_e32 v2, s16, v5
	ds_load_b32 v185, v6 offset:1056
	v_and_b32_e32 v3, v3, v4
	v_add_nc_u32_e32 v187, 0x420, v6
	; wave barrier
	v_and_b32_e32 v2, v3, v2
	s_delay_alu instid0(VALU_DEP_1) | instskip(SKIP_1) | instid1(VALU_DEP_2)
	v_mbcnt_lo_u32_b32 v186, v2, 0
	v_cmp_ne_u32_e64 s16, 0, v2
	v_cmp_eq_u32_e32 vcc_lo, 0, v186
	s_delay_alu instid0(VALU_DEP_2) | instskip(NEXT) | instid1(SALU_CYCLE_1)
	s_and_b32 s17, s16, vcc_lo
	s_and_saveexec_b32 s16, s17
	s_cbranch_execz .LBB919_734
; %bb.733:                              ;   in Loop: Header=BB919_688 Depth=2
	s_waitcnt lgkmcnt(0)
	v_bcnt_u32_b32 v2, v2, v185
	ds_store_b32 v187, v2
.LBB919_734:                            ;   in Loop: Header=BB919_688 Depth=2
	s_or_b32 exec_lo, exec_lo, s16
	v_xor_b32_e32 v184, 0x7fff7fff, v8
	; wave barrier
	s_delay_alu instid0(VALU_DEP_1) | instskip(NEXT) | instid1(VALU_DEP_1)
	v_and_b32_e32 v2, 0xffff, v184
	v_lshrrev_b32_e32 v2, s57, v2
	s_delay_alu instid0(VALU_DEP_1) | instskip(NEXT) | instid1(VALU_DEP_1)
	v_and_b32_e32 v2, s43, v2
	v_and_b32_e32 v3, 1, v2
	v_lshlrev_b32_e32 v4, 30, v2
	v_lshlrev_b32_e32 v5, 29, v2
	;; [unrolled: 1-line block ×4, first 2 shown]
	v_add_co_u32 v3, s16, v3, -1
	s_delay_alu instid0(VALU_DEP_1)
	v_cndmask_b32_e64 v7, 0, 1, s16
	v_not_b32_e32 v188, v4
	v_cmp_gt_i32_e64 s16, 0, v4
	v_not_b32_e32 v4, v5
	v_lshlrev_b32_e32 v45, 26, v2
	v_cmp_ne_u32_e32 vcc_lo, 0, v7
	v_ashrrev_i32_e32 v188, 31, v188
	v_lshlrev_b32_e32 v46, 25, v2
	v_ashrrev_i32_e32 v4, 31, v4
	v_lshlrev_b32_e32 v7, 24, v2
	v_xor_b32_e32 v3, vcc_lo, v3
	v_cmp_gt_i32_e32 vcc_lo, 0, v5
	v_not_b32_e32 v5, v6
	v_xor_b32_e32 v188, s16, v188
	v_cmp_gt_i32_e64 s16, 0, v6
	v_and_b32_e32 v3, exec_lo, v3
	v_not_b32_e32 v6, v8
	v_ashrrev_i32_e32 v5, 31, v5
	v_xor_b32_e32 v4, vcc_lo, v4
	v_cmp_gt_i32_e32 vcc_lo, 0, v8
	v_and_b32_e32 v3, v3, v188
	v_not_b32_e32 v8, v45
	v_ashrrev_i32_e32 v6, 31, v6
	v_xor_b32_e32 v5, s16, v5
	v_cmp_gt_i32_e64 s16, 0, v45
	v_and_b32_e32 v3, v3, v4
	v_not_b32_e32 v4, v46
	v_ashrrev_i32_e32 v8, 31, v8
	v_xor_b32_e32 v6, vcc_lo, v6
	v_cmp_gt_i32_e32 vcc_lo, 0, v46
	v_and_b32_e32 v3, v3, v5
	v_not_b32_e32 v5, v7
	v_ashrrev_i32_e32 v4, 31, v4
	v_xor_b32_e32 v8, s16, v8
	v_mul_u32_u24_e32 v2, 9, v2
	v_and_b32_e32 v3, v3, v6
	v_cmp_gt_i32_e64 s16, 0, v7
	v_ashrrev_i32_e32 v5, 31, v5
	v_xor_b32_e32 v4, vcc_lo, v4
	v_add_lshl_u32 v6, v2, v122, 2
	v_and_b32_e32 v3, v3, v8
	s_delay_alu instid0(VALU_DEP_4) | instskip(SKIP_3) | instid1(VALU_DEP_2)
	v_xor_b32_e32 v2, s16, v5
	ds_load_b32 v8, v6 offset:1056
	v_and_b32_e32 v3, v3, v4
	v_add_nc_u32_e32 v190, 0x420, v6
	; wave barrier
	v_and_b32_e32 v2, v3, v2
	s_delay_alu instid0(VALU_DEP_1) | instskip(SKIP_1) | instid1(VALU_DEP_2)
	v_mbcnt_lo_u32_b32 v189, v2, 0
	v_cmp_ne_u32_e64 s16, 0, v2
	v_cmp_eq_u32_e32 vcc_lo, 0, v189
	s_delay_alu instid0(VALU_DEP_2) | instskip(NEXT) | instid1(SALU_CYCLE_1)
	s_and_b32 s17, s16, vcc_lo
	s_and_saveexec_b32 s16, s17
	s_cbranch_execz .LBB919_736
; %bb.735:                              ;   in Loop: Header=BB919_688 Depth=2
	s_waitcnt lgkmcnt(0)
	v_bcnt_u32_b32 v2, v2, v8
	ds_store_b32 v190, v2
.LBB919_736:                            ;   in Loop: Header=BB919_688 Depth=2
	s_or_b32 exec_lo, exec_lo, s16
	v_lshrrev_b32_e32 v188, 16, v184
	; wave barrier
	s_delay_alu instid0(VALU_DEP_1) | instskip(NEXT) | instid1(VALU_DEP_1)
	v_lshrrev_b32_e32 v2, s57, v188
	v_and_b32_e32 v2, s43, v2
	s_delay_alu instid0(VALU_DEP_1)
	v_and_b32_e32 v3, 1, v2
	v_lshlrev_b32_e32 v4, 30, v2
	v_lshlrev_b32_e32 v5, 29, v2
	;; [unrolled: 1-line block ×4, first 2 shown]
	v_add_co_u32 v3, s16, v3, -1
	s_delay_alu instid0(VALU_DEP_1)
	v_cndmask_b32_e64 v7, 0, 1, s16
	v_not_b32_e32 v192, v4
	v_cmp_gt_i32_e64 s16, 0, v4
	v_not_b32_e32 v4, v5
	v_lshlrev_b32_e32 v46, 26, v2
	v_cmp_ne_u32_e32 vcc_lo, 0, v7
	v_ashrrev_i32_e32 v192, 31, v192
	v_lshlrev_b32_e32 v191, 25, v2
	v_ashrrev_i32_e32 v4, 31, v4
	v_lshlrev_b32_e32 v7, 24, v2
	v_xor_b32_e32 v3, vcc_lo, v3
	v_cmp_gt_i32_e32 vcc_lo, 0, v5
	v_not_b32_e32 v5, v6
	v_xor_b32_e32 v192, s16, v192
	v_cmp_gt_i32_e64 s16, 0, v6
	v_and_b32_e32 v3, exec_lo, v3
	v_not_b32_e32 v6, v45
	v_ashrrev_i32_e32 v5, 31, v5
	v_xor_b32_e32 v4, vcc_lo, v4
	v_cmp_gt_i32_e32 vcc_lo, 0, v45
	v_and_b32_e32 v3, v3, v192
	v_not_b32_e32 v45, v46
	v_ashrrev_i32_e32 v6, 31, v6
	v_xor_b32_e32 v5, s16, v5
	v_cmp_gt_i32_e64 s16, 0, v46
	v_and_b32_e32 v3, v3, v4
	v_not_b32_e32 v4, v191
	v_ashrrev_i32_e32 v45, 31, v45
	v_xor_b32_e32 v6, vcc_lo, v6
	v_cmp_gt_i32_e32 vcc_lo, 0, v191
	v_and_b32_e32 v3, v3, v5
	v_not_b32_e32 v5, v7
	v_ashrrev_i32_e32 v4, 31, v4
	v_xor_b32_e32 v45, s16, v45
	v_mul_u32_u24_e32 v2, 9, v2
	v_and_b32_e32 v3, v3, v6
	v_cmp_gt_i32_e64 s16, 0, v7
	v_ashrrev_i32_e32 v5, 31, v5
	v_xor_b32_e32 v4, vcc_lo, v4
	v_add_lshl_u32 v6, v2, v122, 2
	v_and_b32_e32 v3, v3, v45
	s_delay_alu instid0(VALU_DEP_4) | instskip(SKIP_3) | instid1(VALU_DEP_2)
	v_xor_b32_e32 v2, s16, v5
	ds_load_b32 v191, v6 offset:1056
	v_and_b32_e32 v3, v3, v4
	v_add_nc_u32_e32 v193, 0x420, v6
	; wave barrier
	v_and_b32_e32 v2, v3, v2
	s_delay_alu instid0(VALU_DEP_1) | instskip(SKIP_1) | instid1(VALU_DEP_2)
	v_mbcnt_lo_u32_b32 v192, v2, 0
	v_cmp_ne_u32_e64 s16, 0, v2
	v_cmp_eq_u32_e32 vcc_lo, 0, v192
	s_delay_alu instid0(VALU_DEP_2) | instskip(NEXT) | instid1(SALU_CYCLE_1)
	s_and_b32 s17, s16, vcc_lo
	s_and_saveexec_b32 s16, s17
	s_cbranch_execz .LBB919_738
; %bb.737:                              ;   in Loop: Header=BB919_688 Depth=2
	s_waitcnt lgkmcnt(0)
	v_bcnt_u32_b32 v2, v2, v191
	ds_store_b32 v193, v2
.LBB919_738:                            ;   in Loop: Header=BB919_688 Depth=2
	s_or_b32 exec_lo, exec_lo, s16
	v_xor_b32_e32 v9, 0x7fff7fff, v9
	; wave barrier
	s_delay_alu instid0(VALU_DEP_1) | instskip(NEXT) | instid1(VALU_DEP_1)
	v_and_b32_e32 v2, 0xffff, v9
	v_lshrrev_b32_e32 v2, s57, v2
	s_delay_alu instid0(VALU_DEP_1) | instskip(NEXT) | instid1(VALU_DEP_1)
	v_and_b32_e32 v2, s43, v2
	v_and_b32_e32 v3, 1, v2
	v_lshlrev_b32_e32 v4, 30, v2
	v_lshlrev_b32_e32 v5, 29, v2
	;; [unrolled: 1-line block ×4, first 2 shown]
	v_add_co_u32 v3, s16, v3, -1
	s_delay_alu instid0(VALU_DEP_1)
	v_cndmask_b32_e64 v7, 0, 1, s16
	v_not_b32_e32 v195, v4
	v_cmp_gt_i32_e64 s16, 0, v4
	v_not_b32_e32 v4, v5
	v_lshlrev_b32_e32 v46, 26, v2
	v_cmp_ne_u32_e32 vcc_lo, 0, v7
	v_ashrrev_i32_e32 v195, 31, v195
	v_lshlrev_b32_e32 v194, 25, v2
	v_ashrrev_i32_e32 v4, 31, v4
	v_lshlrev_b32_e32 v7, 24, v2
	v_xor_b32_e32 v3, vcc_lo, v3
	v_cmp_gt_i32_e32 vcc_lo, 0, v5
	v_not_b32_e32 v5, v6
	v_xor_b32_e32 v195, s16, v195
	v_cmp_gt_i32_e64 s16, 0, v6
	v_and_b32_e32 v3, exec_lo, v3
	v_not_b32_e32 v6, v45
	v_ashrrev_i32_e32 v5, 31, v5
	v_xor_b32_e32 v4, vcc_lo, v4
	v_cmp_gt_i32_e32 vcc_lo, 0, v45
	v_and_b32_e32 v3, v3, v195
	v_not_b32_e32 v45, v46
	v_ashrrev_i32_e32 v6, 31, v6
	v_xor_b32_e32 v5, s16, v5
	v_cmp_gt_i32_e64 s16, 0, v46
	v_and_b32_e32 v3, v3, v4
	v_not_b32_e32 v4, v194
	v_ashrrev_i32_e32 v45, 31, v45
	v_xor_b32_e32 v6, vcc_lo, v6
	v_cmp_gt_i32_e32 vcc_lo, 0, v194
	v_and_b32_e32 v3, v3, v5
	v_not_b32_e32 v5, v7
	v_ashrrev_i32_e32 v4, 31, v4
	v_xor_b32_e32 v45, s16, v45
	v_mul_u32_u24_e32 v2, 9, v2
	v_and_b32_e32 v3, v3, v6
	v_cmp_gt_i32_e64 s16, 0, v7
	v_ashrrev_i32_e32 v5, 31, v5
	v_xor_b32_e32 v4, vcc_lo, v4
	v_add_lshl_u32 v6, v2, v122, 2
	v_and_b32_e32 v3, v3, v45
	s_delay_alu instid0(VALU_DEP_4) | instskip(SKIP_3) | instid1(VALU_DEP_2)
	v_xor_b32_e32 v2, s16, v5
	ds_load_b32 v195, v6 offset:1056
	v_and_b32_e32 v3, v3, v4
	v_add_nc_u32_e32 v197, 0x420, v6
	; wave barrier
	v_and_b32_e32 v2, v3, v2
	s_delay_alu instid0(VALU_DEP_1) | instskip(SKIP_1) | instid1(VALU_DEP_2)
	v_mbcnt_lo_u32_b32 v196, v2, 0
	v_cmp_ne_u32_e64 s16, 0, v2
	v_cmp_eq_u32_e32 vcc_lo, 0, v196
	s_delay_alu instid0(VALU_DEP_2) | instskip(NEXT) | instid1(SALU_CYCLE_1)
	s_and_b32 s17, s16, vcc_lo
	s_and_saveexec_b32 s16, s17
	s_cbranch_execz .LBB919_740
; %bb.739:                              ;   in Loop: Header=BB919_688 Depth=2
	s_waitcnt lgkmcnt(0)
	v_bcnt_u32_b32 v2, v2, v195
	ds_store_b32 v197, v2
.LBB919_740:                            ;   in Loop: Header=BB919_688 Depth=2
	s_or_b32 exec_lo, exec_lo, s16
	v_lshrrev_b32_e32 v194, 16, v9
	; wave barrier
	s_delay_alu instid0(VALU_DEP_1) | instskip(NEXT) | instid1(VALU_DEP_1)
	v_lshrrev_b32_e32 v2, s57, v194
	v_and_b32_e32 v2, s43, v2
	s_delay_alu instid0(VALU_DEP_1)
	v_and_b32_e32 v3, 1, v2
	v_lshlrev_b32_e32 v4, 30, v2
	v_lshlrev_b32_e32 v5, 29, v2
	;; [unrolled: 1-line block ×4, first 2 shown]
	v_add_co_u32 v3, s16, v3, -1
	s_delay_alu instid0(VALU_DEP_1)
	v_cndmask_b32_e64 v7, 0, 1, s16
	v_not_b32_e32 v199, v4
	v_cmp_gt_i32_e64 s16, 0, v4
	v_not_b32_e32 v4, v5
	v_lshlrev_b32_e32 v46, 26, v2
	v_cmp_ne_u32_e32 vcc_lo, 0, v7
	v_ashrrev_i32_e32 v199, 31, v199
	v_lshlrev_b32_e32 v198, 25, v2
	v_ashrrev_i32_e32 v4, 31, v4
	v_lshlrev_b32_e32 v7, 24, v2
	v_xor_b32_e32 v3, vcc_lo, v3
	v_cmp_gt_i32_e32 vcc_lo, 0, v5
	v_not_b32_e32 v5, v6
	v_xor_b32_e32 v199, s16, v199
	v_cmp_gt_i32_e64 s16, 0, v6
	v_and_b32_e32 v3, exec_lo, v3
	v_not_b32_e32 v6, v45
	v_ashrrev_i32_e32 v5, 31, v5
	v_xor_b32_e32 v4, vcc_lo, v4
	v_cmp_gt_i32_e32 vcc_lo, 0, v45
	v_and_b32_e32 v3, v3, v199
	v_not_b32_e32 v45, v46
	v_ashrrev_i32_e32 v6, 31, v6
	v_xor_b32_e32 v5, s16, v5
	v_cmp_gt_i32_e64 s16, 0, v46
	v_and_b32_e32 v3, v3, v4
	v_not_b32_e32 v4, v198
	v_ashrrev_i32_e32 v45, 31, v45
	v_xor_b32_e32 v6, vcc_lo, v6
	v_cmp_gt_i32_e32 vcc_lo, 0, v198
	v_and_b32_e32 v3, v3, v5
	v_not_b32_e32 v5, v7
	v_ashrrev_i32_e32 v4, 31, v4
	v_xor_b32_e32 v45, s16, v45
	v_mul_u32_u24_e32 v2, 9, v2
	v_and_b32_e32 v3, v3, v6
	v_cmp_gt_i32_e64 s16, 0, v7
	v_ashrrev_i32_e32 v5, 31, v5
	v_xor_b32_e32 v4, vcc_lo, v4
	v_add_lshl_u32 v6, v2, v122, 2
	v_and_b32_e32 v3, v3, v45
	s_delay_alu instid0(VALU_DEP_4) | instskip(SKIP_3) | instid1(VALU_DEP_2)
	v_xor_b32_e32 v2, s16, v5
	ds_load_b32 v198, v6 offset:1056
	v_and_b32_e32 v3, v3, v4
	v_add_nc_u32_e32 v200, 0x420, v6
	; wave barrier
	v_and_b32_e32 v2, v3, v2
	s_delay_alu instid0(VALU_DEP_1) | instskip(SKIP_1) | instid1(VALU_DEP_2)
	v_mbcnt_lo_u32_b32 v199, v2, 0
	v_cmp_ne_u32_e64 s16, 0, v2
	v_cmp_eq_u32_e32 vcc_lo, 0, v199
	s_delay_alu instid0(VALU_DEP_2) | instskip(NEXT) | instid1(SALU_CYCLE_1)
	s_and_b32 s17, s16, vcc_lo
	s_and_saveexec_b32 s16, s17
	s_cbranch_execz .LBB919_742
; %bb.741:                              ;   in Loop: Header=BB919_688 Depth=2
	s_waitcnt lgkmcnt(0)
	v_bcnt_u32_b32 v2, v2, v198
	ds_store_b32 v200, v2
.LBB919_742:                            ;   in Loop: Header=BB919_688 Depth=2
	s_or_b32 exec_lo, exec_lo, s16
	; wave barrier
	s_waitcnt lgkmcnt(0)
	s_barrier
	buffer_gl0_inv
	ds_load_b32 v201, v73 offset:1056
	ds_load_2addr_b32 v[45:46], v75 offset0:1 offset1:2
	ds_load_2addr_b32 v[6:7], v75 offset0:3 offset1:4
	;; [unrolled: 1-line block ×4, first 2 shown]
	s_waitcnt lgkmcnt(3)
	v_add3_u32 v202, v45, v201, v46
	s_waitcnt lgkmcnt(2)
	s_delay_alu instid0(VALU_DEP_1) | instskip(SKIP_1) | instid1(VALU_DEP_1)
	v_add3_u32 v202, v202, v6, v7
	s_waitcnt lgkmcnt(1)
	v_add3_u32 v202, v202, v2, v3
	s_waitcnt lgkmcnt(0)
	s_delay_alu instid0(VALU_DEP_1) | instskip(NEXT) | instid1(VALU_DEP_1)
	v_add3_u32 v5, v202, v4, v5
	v_mov_b32_dpp v202, v5 row_shr:1 row_mask:0xf bank_mask:0xf
	s_delay_alu instid0(VALU_DEP_1) | instskip(NEXT) | instid1(VALU_DEP_1)
	v_cndmask_b32_e64 v202, v202, 0, s1
	v_add_nc_u32_e32 v5, v202, v5
	s_delay_alu instid0(VALU_DEP_1) | instskip(NEXT) | instid1(VALU_DEP_1)
	v_mov_b32_dpp v202, v5 row_shr:2 row_mask:0xf bank_mask:0xf
	v_cndmask_b32_e64 v202, 0, v202, s7
	s_delay_alu instid0(VALU_DEP_1) | instskip(NEXT) | instid1(VALU_DEP_1)
	v_add_nc_u32_e32 v5, v5, v202
	v_mov_b32_dpp v202, v5 row_shr:4 row_mask:0xf bank_mask:0xf
	s_delay_alu instid0(VALU_DEP_1) | instskip(NEXT) | instid1(VALU_DEP_1)
	v_cndmask_b32_e64 v202, 0, v202, s8
	v_add_nc_u32_e32 v5, v5, v202
	s_delay_alu instid0(VALU_DEP_1) | instskip(NEXT) | instid1(VALU_DEP_1)
	v_mov_b32_dpp v202, v5 row_shr:8 row_mask:0xf bank_mask:0xf
	v_cndmask_b32_e64 v202, 0, v202, s9
	s_delay_alu instid0(VALU_DEP_1) | instskip(SKIP_3) | instid1(VALU_DEP_1)
	v_add_nc_u32_e32 v5, v5, v202
	ds_swizzle_b32 v202, v5 offset:swizzle(BROADCAST,32,15)
	s_waitcnt lgkmcnt(0)
	v_cndmask_b32_e64 v202, v202, 0, s10
	v_add_nc_u32_e32 v5, v5, v202
	s_and_saveexec_b32 s16, s3
	s_cbranch_execz .LBB919_744
; %bb.743:                              ;   in Loop: Header=BB919_688 Depth=2
	ds_store_b32 v65, v5 offset:1024
.LBB919_744:                            ;   in Loop: Header=BB919_688 Depth=2
	s_or_b32 exec_lo, exec_lo, s16
	s_waitcnt lgkmcnt(0)
	s_barrier
	buffer_gl0_inv
	s_and_saveexec_b32 s16, s4
	s_cbranch_execz .LBB919_746
; %bb.745:                              ;   in Loop: Header=BB919_688 Depth=2
	ds_load_b32 v202, v76 offset:1024
	s_waitcnt lgkmcnt(0)
	v_mov_b32_dpp v203, v202 row_shr:1 row_mask:0xf bank_mask:0xf
	s_delay_alu instid0(VALU_DEP_1) | instskip(NEXT) | instid1(VALU_DEP_1)
	v_cndmask_b32_e64 v203, v203, 0, s12
	v_add_nc_u32_e32 v202, v203, v202
	s_delay_alu instid0(VALU_DEP_1) | instskip(NEXT) | instid1(VALU_DEP_1)
	v_mov_b32_dpp v203, v202 row_shr:2 row_mask:0xf bank_mask:0xf
	v_cndmask_b32_e64 v203, 0, v203, s13
	s_delay_alu instid0(VALU_DEP_1) | instskip(NEXT) | instid1(VALU_DEP_1)
	v_add_nc_u32_e32 v202, v202, v203
	v_mov_b32_dpp v203, v202 row_shr:4 row_mask:0xf bank_mask:0xf
	s_delay_alu instid0(VALU_DEP_1) | instskip(NEXT) | instid1(VALU_DEP_1)
	v_cndmask_b32_e64 v203, 0, v203, s14
	v_add_nc_u32_e32 v202, v202, v203
	ds_store_b32 v76, v202 offset:1024
.LBB919_746:                            ;   in Loop: Header=BB919_688 Depth=2
	s_or_b32 exec_lo, exec_lo, s16
	v_mov_b32_e32 v202, 0
	s_waitcnt lgkmcnt(0)
	s_barrier
	buffer_gl0_inv
	s_and_saveexec_b32 s16, s5
	s_cbranch_execz .LBB919_748
; %bb.747:                              ;   in Loop: Header=BB919_688 Depth=2
	ds_load_b32 v202, v65 offset:1020
.LBB919_748:                            ;   in Loop: Header=BB919_688 Depth=2
	s_or_b32 exec_lo, exec_lo, s16
	s_waitcnt lgkmcnt(0)
	v_add_nc_u32_e32 v5, v202, v5
	ds_bpermute_b32 v5, v101, v5
	s_waitcnt lgkmcnt(0)
	v_cndmask_b32_e64 v5, v5, v202, s11
	s_delay_alu instid0(VALU_DEP_1) | instskip(NEXT) | instid1(VALU_DEP_1)
	v_cndmask_b32_e64 v5, v5, 0, s0
	v_add_nc_u32_e32 v201, v5, v201
	s_delay_alu instid0(VALU_DEP_1) | instskip(NEXT) | instid1(VALU_DEP_1)
	v_add_nc_u32_e32 v45, v201, v45
	v_add_nc_u32_e32 v46, v45, v46
	s_delay_alu instid0(VALU_DEP_1) | instskip(NEXT) | instid1(VALU_DEP_1)
	v_add_nc_u32_e32 v6, v46, v6
	;; [unrolled: 3-line block ×3, first 2 shown]
	v_add_nc_u32_e32 v3, v2, v3
	s_delay_alu instid0(VALU_DEP_1)
	v_add_nc_u32_e32 v4, v3, v4
	ds_store_b32 v73, v5 offset:1056
	ds_store_2addr_b32 v75, v201, v45 offset0:1 offset1:2
	ds_store_2addr_b32 v75, v46, v6 offset0:3 offset1:4
	;; [unrolled: 1-line block ×4, first 2 shown]
	v_mov_b32_e32 v4, 0x1000
	s_waitcnt lgkmcnt(0)
	s_barrier
	buffer_gl0_inv
	ds_load_b32 v5, v147
	ds_load_b32 v6, v151
	;; [unrolled: 1-line block ×16, first 2 shown]
	ds_load_b32 v151, v73 offset:1056
	s_and_saveexec_b32 s16, s6
	s_cbranch_execz .LBB919_750
; %bb.749:                              ;   in Loop: Header=BB919_688 Depth=2
	ds_load_b32 v4, v77 offset:1056
.LBB919_750:                            ;   in Loop: Header=BB919_688 Depth=2
	s_or_b32 exec_lo, exec_lo, s16
	s_waitcnt lgkmcnt(0)
	s_barrier
	buffer_gl0_inv
	s_and_saveexec_b32 s16, s2
	s_cbranch_execz .LBB919_752
; %bb.751:                              ;   in Loop: Header=BB919_688 Depth=2
	ds_load_b32 v155, v47
	s_waitcnt lgkmcnt(0)
	v_sub_nc_u32_e32 v151, v155, v151
	ds_store_b32 v47, v151
.LBB919_752:                            ;   in Loop: Header=BB919_688 Depth=2
	s_or_b32 exec_lo, exec_lo, s16
	v_add_nc_u32_e32 v159, v143, v141
	v_add3_u32 v155, v146, v145, v5
	v_add3_u32 v151, v150, v149, v6
	;; [unrolled: 1-line block ×4, first 2 shown]
	v_lshlrev_b32_e32 v153, 1, v159
	v_add3_u32 v45, v192, v191, v2
	v_lshlrev_b32_e32 v2, 1, v155
	v_add3_u32 v149, v158, v157, v46
	v_add3_u32 v146, v166, v165, v163
	;; [unrolled: 1-line block ×5, first 2 shown]
	ds_store_b16 v153, v19 offset:1024
	v_lshlrev_b32_e32 v3, 1, v151
	ds_store_b16 v2, v142 offset:1024
	v_lshlrev_b32_e32 v2, 1, v147
	v_add3_u32 v143, v174, v173, v171
	v_lshlrev_b32_e32 v19, 1, v150
	v_add3_u32 v141, v178, v177, v175
	;; [unrolled: 2-line block ×3, first 2 shown]
	v_add3_u32 v6, v186, v185, v183
	ds_store_b16 v3, v144 offset:1024
	ds_store_b16 v19, v148 offset:1024
	;; [unrolled: 1-line block ×3, first 2 shown]
	v_lshlrev_b32_e32 v3, 1, v146
	ds_store_b16 v2, v156 offset:1024
	v_lshlrev_b32_e32 v2, 1, v145
	v_lshlrev_b32_e32 v19, 1, v143
	;; [unrolled: 1-line block ×3, first 2 shown]
	v_add3_u32 v7, v199, v198, v7
	ds_store_b16 v3, v160 offset:1024
	v_lshlrev_b32_e32 v3, 1, v46
	ds_store_b16 v2, v164 offset:1024
	ds_store_b16 v19, v168 offset:1024
	;; [unrolled: 1-line block ×3, first 2 shown]
	v_lshlrev_b32_e32 v2, 1, v6
	v_cmp_lt_u32_e32 vcc_lo, v18, v0
	v_lshlrev_b32_e32 v19, 1, v45
	ds_store_b16 v3, v176 offset:1024
	v_lshlrev_b32_e32 v3, 1, v5
	ds_store_b16 v2, v180 offset:1024
	v_lshlrev_b32_e32 v2, 1, v7
	v_lshlrev_b32_e32 v142, 1, v8
	ds_store_b16 v3, v184 offset:1024
	ds_store_b16 v19, v188 offset:1024
	;; [unrolled: 1-line block ×4, first 2 shown]
	s_waitcnt lgkmcnt(0)
	s_barrier
	buffer_gl0_inv
	s_and_saveexec_b32 s17, vcc_lo
	s_cbranch_execz .LBB919_768
; %bb.753:                              ;   in Loop: Header=BB919_688 Depth=2
	v_add_nc_u32_e32 v2, v76, v82
	ds_load_u16 v142, v2 offset:1024
	s_waitcnt lgkmcnt(0)
	v_and_b32_e32 v2, 0xffff, v142
	s_delay_alu instid0(VALU_DEP_1) | instskip(NEXT) | instid1(VALU_DEP_1)
	v_lshrrev_b32_e32 v2, s57, v2
	v_and_b32_e32 v2, s43, v2
	s_delay_alu instid0(VALU_DEP_1) | instskip(SKIP_3) | instid1(VALU_DEP_1)
	v_lshlrev_b32_e32 v2, 2, v2
	ds_load_b32 v2, v2
	s_waitcnt lgkmcnt(0)
	v_add_nc_u32_e32 v19, v2, v18
	v_lshlrev_b64 v[2:3], 1, v[19:20]
	v_xor_b32_e32 v19, 0x7fff, v142
	s_delay_alu instid0(VALU_DEP_2) | instskip(NEXT) | instid1(VALU_DEP_1)
	v_add_co_u32 v2, s16, s38, v2
	v_add_co_ci_u32_e64 v3, s16, s39, v3, s16
	global_store_b16 v[2:3], v19, off
	s_or_b32 exec_lo, exec_lo, s17
	v_cmp_lt_u32_e64 s16, v48, v0
	s_delay_alu instid0(VALU_DEP_1)
	s_and_saveexec_b32 s18, s16
	s_cbranch_execnz .LBB919_769
.LBB919_754:                            ;   in Loop: Header=BB919_688 Depth=2
	s_or_b32 exec_lo, exec_lo, s18
	v_cmp_lt_u32_e64 s17, v49, v0
	s_delay_alu instid0(VALU_DEP_1)
	s_and_saveexec_b32 s19, s17
	s_cbranch_execz .LBB919_770
.LBB919_755:                            ;   in Loop: Header=BB919_688 Depth=2
	ds_load_u16 v142, v83 offset:1024
	s_waitcnt lgkmcnt(0)
	v_and_b32_e32 v2, 0xffff, v142
	s_delay_alu instid0(VALU_DEP_1) | instskip(NEXT) | instid1(VALU_DEP_1)
	v_lshrrev_b32_e32 v2, s57, v2
	v_and_b32_e32 v2, s43, v2
	s_delay_alu instid0(VALU_DEP_1) | instskip(SKIP_3) | instid1(VALU_DEP_1)
	v_lshlrev_b32_e32 v2, 2, v2
	ds_load_b32 v2, v2
	s_waitcnt lgkmcnt(0)
	v_add_nc_u32_e32 v19, v2, v49
	v_lshlrev_b64 v[2:3], 1, v[19:20]
	v_xor_b32_e32 v19, 0x7fff, v142
	s_delay_alu instid0(VALU_DEP_2) | instskip(NEXT) | instid1(VALU_DEP_1)
	v_add_co_u32 v2, s18, s38, v2
	v_add_co_ci_u32_e64 v3, s18, s39, v3, s18
	global_store_b16 v[2:3], v19, off
	s_or_b32 exec_lo, exec_lo, s19
	v_cmp_lt_u32_e64 s18, v50, v0
	s_delay_alu instid0(VALU_DEP_1)
	s_and_saveexec_b32 s20, s18
	s_cbranch_execnz .LBB919_771
.LBB919_756:                            ;   in Loop: Header=BB919_688 Depth=2
	s_or_b32 exec_lo, exec_lo, s20
	v_cmp_lt_u32_e64 s19, v54, v0
	s_delay_alu instid0(VALU_DEP_1)
	s_and_saveexec_b32 s21, s19
	s_cbranch_execz .LBB919_772
.LBB919_757:                            ;   in Loop: Header=BB919_688 Depth=2
	ds_load_u16 v142, v83 offset:2048
	s_waitcnt lgkmcnt(0)
	v_and_b32_e32 v2, 0xffff, v142
	s_delay_alu instid0(VALU_DEP_1) | instskip(NEXT) | instid1(VALU_DEP_1)
	v_lshrrev_b32_e32 v2, s57, v2
	v_and_b32_e32 v2, s43, v2
	s_delay_alu instid0(VALU_DEP_1) | instskip(SKIP_3) | instid1(VALU_DEP_1)
	v_lshlrev_b32_e32 v2, 2, v2
	ds_load_b32 v2, v2
	s_waitcnt lgkmcnt(0)
	v_add_nc_u32_e32 v19, v2, v54
	v_lshlrev_b64 v[2:3], 1, v[19:20]
	v_xor_b32_e32 v19, 0x7fff, v142
	s_delay_alu instid0(VALU_DEP_2) | instskip(NEXT) | instid1(VALU_DEP_1)
	v_add_co_u32 v2, s20, s38, v2
	v_add_co_ci_u32_e64 v3, s20, s39, v3, s20
	global_store_b16 v[2:3], v19, off
	s_or_b32 exec_lo, exec_lo, s21
	v_cmp_lt_u32_e64 s20, v55, v0
	s_delay_alu instid0(VALU_DEP_1)
	s_and_saveexec_b32 s22, s20
	s_cbranch_execnz .LBB919_773
.LBB919_758:                            ;   in Loop: Header=BB919_688 Depth=2
	s_or_b32 exec_lo, exec_lo, s22
	v_cmp_lt_u32_e64 s21, v56, v0
	s_delay_alu instid0(VALU_DEP_1)
	s_and_saveexec_b32 s23, s21
	s_cbranch_execz .LBB919_774
.LBB919_759:                            ;   in Loop: Header=BB919_688 Depth=2
	ds_load_u16 v142, v83 offset:3072
	s_waitcnt lgkmcnt(0)
	v_and_b32_e32 v2, 0xffff, v142
	s_delay_alu instid0(VALU_DEP_1) | instskip(NEXT) | instid1(VALU_DEP_1)
	v_lshrrev_b32_e32 v2, s57, v2
	v_and_b32_e32 v2, s43, v2
	s_delay_alu instid0(VALU_DEP_1) | instskip(SKIP_3) | instid1(VALU_DEP_1)
	v_lshlrev_b32_e32 v2, 2, v2
	ds_load_b32 v2, v2
	s_waitcnt lgkmcnt(0)
	v_add_nc_u32_e32 v19, v2, v56
	v_lshlrev_b64 v[2:3], 1, v[19:20]
	v_xor_b32_e32 v19, 0x7fff, v142
	s_delay_alu instid0(VALU_DEP_2) | instskip(NEXT) | instid1(VALU_DEP_1)
	v_add_co_u32 v2, s22, s38, v2
	v_add_co_ci_u32_e64 v3, s22, s39, v3, s22
	global_store_b16 v[2:3], v19, off
	s_or_b32 exec_lo, exec_lo, s23
	v_cmp_lt_u32_e64 s22, v57, v0
	s_delay_alu instid0(VALU_DEP_1)
	s_and_saveexec_b32 s24, s22
	s_cbranch_execnz .LBB919_775
.LBB919_760:                            ;   in Loop: Header=BB919_688 Depth=2
	s_or_b32 exec_lo, exec_lo, s24
	v_cmp_lt_u32_e64 s23, v58, v0
	s_delay_alu instid0(VALU_DEP_1)
	s_and_saveexec_b32 s25, s23
	s_cbranch_execz .LBB919_776
.LBB919_761:                            ;   in Loop: Header=BB919_688 Depth=2
	ds_load_u16 v142, v83 offset:4096
	s_waitcnt lgkmcnt(0)
	v_and_b32_e32 v2, 0xffff, v142
	s_delay_alu instid0(VALU_DEP_1) | instskip(NEXT) | instid1(VALU_DEP_1)
	v_lshrrev_b32_e32 v2, s57, v2
	v_and_b32_e32 v2, s43, v2
	s_delay_alu instid0(VALU_DEP_1) | instskip(SKIP_3) | instid1(VALU_DEP_1)
	v_lshlrev_b32_e32 v2, 2, v2
	ds_load_b32 v2, v2
	s_waitcnt lgkmcnt(0)
	v_add_nc_u32_e32 v19, v2, v58
	v_lshlrev_b64 v[2:3], 1, v[19:20]
	v_xor_b32_e32 v19, 0x7fff, v142
	s_delay_alu instid0(VALU_DEP_2) | instskip(NEXT) | instid1(VALU_DEP_1)
	v_add_co_u32 v2, s24, s38, v2
	v_add_co_ci_u32_e64 v3, s24, s39, v3, s24
	global_store_b16 v[2:3], v19, off
	s_or_b32 exec_lo, exec_lo, s25
	v_cmp_lt_u32_e64 s24, v59, v0
	s_delay_alu instid0(VALU_DEP_1)
	s_and_saveexec_b32 s27, s24
	s_cbranch_execnz .LBB919_777
.LBB919_762:                            ;   in Loop: Header=BB919_688 Depth=2
	s_or_b32 exec_lo, exec_lo, s27
	v_cmp_lt_u32_e64 s25, v60, v0
	s_delay_alu instid0(VALU_DEP_1)
	s_and_saveexec_b32 s28, s25
	s_cbranch_execz .LBB919_778
.LBB919_763:                            ;   in Loop: Header=BB919_688 Depth=2
	ds_load_u16 v142, v83 offset:5120
	s_waitcnt lgkmcnt(0)
	v_and_b32_e32 v2, 0xffff, v142
	s_delay_alu instid0(VALU_DEP_1) | instskip(NEXT) | instid1(VALU_DEP_1)
	v_lshrrev_b32_e32 v2, s57, v2
	v_and_b32_e32 v2, s43, v2
	s_delay_alu instid0(VALU_DEP_1) | instskip(SKIP_3) | instid1(VALU_DEP_1)
	v_lshlrev_b32_e32 v2, 2, v2
	ds_load_b32 v2, v2
	s_waitcnt lgkmcnt(0)
	v_add_nc_u32_e32 v19, v2, v60
	v_lshlrev_b64 v[2:3], 1, v[19:20]
	v_xor_b32_e32 v19, 0x7fff, v142
	s_delay_alu instid0(VALU_DEP_2) | instskip(NEXT) | instid1(VALU_DEP_1)
	v_add_co_u32 v2, s27, s38, v2
	v_add_co_ci_u32_e64 v3, s27, s39, v3, s27
	global_store_b16 v[2:3], v19, off
	s_or_b32 exec_lo, exec_lo, s28
	v_cmp_lt_u32_e64 s27, v61, v0
	s_delay_alu instid0(VALU_DEP_1)
	s_and_saveexec_b32 s29, s27
	s_cbranch_execnz .LBB919_779
.LBB919_764:                            ;   in Loop: Header=BB919_688 Depth=2
	s_or_b32 exec_lo, exec_lo, s29
	v_cmp_lt_u32_e64 s28, v62, v0
	s_delay_alu instid0(VALU_DEP_1)
	s_and_saveexec_b32 s30, s28
	s_cbranch_execz .LBB919_780
.LBB919_765:                            ;   in Loop: Header=BB919_688 Depth=2
	ds_load_u16 v142, v83 offset:6144
	s_waitcnt lgkmcnt(0)
	v_and_b32_e32 v2, 0xffff, v142
	s_delay_alu instid0(VALU_DEP_1) | instskip(NEXT) | instid1(VALU_DEP_1)
	v_lshrrev_b32_e32 v2, s57, v2
	v_and_b32_e32 v2, s43, v2
	s_delay_alu instid0(VALU_DEP_1) | instskip(SKIP_3) | instid1(VALU_DEP_1)
	v_lshlrev_b32_e32 v2, 2, v2
	ds_load_b32 v2, v2
	s_waitcnt lgkmcnt(0)
	v_add_nc_u32_e32 v19, v2, v62
	v_lshlrev_b64 v[2:3], 1, v[19:20]
	v_xor_b32_e32 v19, 0x7fff, v142
	s_delay_alu instid0(VALU_DEP_2) | instskip(NEXT) | instid1(VALU_DEP_1)
	v_add_co_u32 v2, s29, s38, v2
	v_add_co_ci_u32_e64 v3, s29, s39, v3, s29
	global_store_b16 v[2:3], v19, off
	s_or_b32 exec_lo, exec_lo, s30
	v_cmp_lt_u32_e64 s29, v63, v0
	s_delay_alu instid0(VALU_DEP_1)
	s_and_saveexec_b32 s31, s29
	s_cbranch_execnz .LBB919_781
.LBB919_766:                            ;   in Loop: Header=BB919_688 Depth=2
	s_or_b32 exec_lo, exec_lo, s31
	v_cmp_lt_u32_e64 s30, v64, v0
	s_delay_alu instid0(VALU_DEP_1)
	s_and_saveexec_b32 s33, s30
	s_cbranch_execz .LBB919_782
.LBB919_767:                            ;   in Loop: Header=BB919_688 Depth=2
	ds_load_u16 v142, v83 offset:7168
	s_waitcnt lgkmcnt(0)
	v_and_b32_e32 v2, 0xffff, v142
	s_delay_alu instid0(VALU_DEP_1) | instskip(NEXT) | instid1(VALU_DEP_1)
	v_lshrrev_b32_e32 v2, s57, v2
	v_and_b32_e32 v2, s43, v2
	s_delay_alu instid0(VALU_DEP_1) | instskip(SKIP_3) | instid1(VALU_DEP_1)
	v_lshlrev_b32_e32 v2, 2, v2
	ds_load_b32 v2, v2
	s_waitcnt lgkmcnt(0)
	v_add_nc_u32_e32 v19, v2, v64
	v_lshlrev_b64 v[2:3], 1, v[19:20]
	v_xor_b32_e32 v19, 0x7fff, v142
	s_delay_alu instid0(VALU_DEP_2) | instskip(NEXT) | instid1(VALU_DEP_1)
	v_add_co_u32 v2, s31, s38, v2
	v_add_co_ci_u32_e64 v3, s31, s39, v3, s31
	global_store_b16 v[2:3], v19, off
	s_or_b32 exec_lo, exec_lo, s33
	v_cmp_lt_u32_e64 s31, v66, v0
	s_delay_alu instid0(VALU_DEP_1)
	s_and_saveexec_b32 s45, s31
	s_cbranch_execnz .LBB919_783
	s_branch .LBB919_784
.LBB919_768:                            ;   in Loop: Header=BB919_688 Depth=2
	s_or_b32 exec_lo, exec_lo, s17
	v_cmp_lt_u32_e64 s16, v48, v0
	s_delay_alu instid0(VALU_DEP_1)
	s_and_saveexec_b32 s18, s16
	s_cbranch_execz .LBB919_754
.LBB919_769:                            ;   in Loop: Header=BB919_688 Depth=2
	ds_load_u16 v142, v83 offset:512
	s_waitcnt lgkmcnt(0)
	v_and_b32_e32 v2, 0xffff, v142
	s_delay_alu instid0(VALU_DEP_1) | instskip(NEXT) | instid1(VALU_DEP_1)
	v_lshrrev_b32_e32 v2, s57, v2
	v_and_b32_e32 v2, s43, v2
	s_delay_alu instid0(VALU_DEP_1) | instskip(SKIP_3) | instid1(VALU_DEP_1)
	v_lshlrev_b32_e32 v2, 2, v2
	ds_load_b32 v2, v2
	s_waitcnt lgkmcnt(0)
	v_add_nc_u32_e32 v19, v2, v48
	v_lshlrev_b64 v[2:3], 1, v[19:20]
	v_xor_b32_e32 v19, 0x7fff, v142
	s_delay_alu instid0(VALU_DEP_2) | instskip(NEXT) | instid1(VALU_DEP_1)
	v_add_co_u32 v2, s17, s38, v2
	v_add_co_ci_u32_e64 v3, s17, s39, v3, s17
	global_store_b16 v[2:3], v19, off
	s_or_b32 exec_lo, exec_lo, s18
	v_cmp_lt_u32_e64 s17, v49, v0
	s_delay_alu instid0(VALU_DEP_1)
	s_and_saveexec_b32 s19, s17
	s_cbranch_execnz .LBB919_755
.LBB919_770:                            ;   in Loop: Header=BB919_688 Depth=2
	s_or_b32 exec_lo, exec_lo, s19
	v_cmp_lt_u32_e64 s18, v50, v0
	s_delay_alu instid0(VALU_DEP_1)
	s_and_saveexec_b32 s20, s18
	s_cbranch_execz .LBB919_756
.LBB919_771:                            ;   in Loop: Header=BB919_688 Depth=2
	ds_load_u16 v142, v83 offset:1536
	s_waitcnt lgkmcnt(0)
	v_and_b32_e32 v2, 0xffff, v142
	s_delay_alu instid0(VALU_DEP_1) | instskip(NEXT) | instid1(VALU_DEP_1)
	v_lshrrev_b32_e32 v2, s57, v2
	v_and_b32_e32 v2, s43, v2
	s_delay_alu instid0(VALU_DEP_1) | instskip(SKIP_3) | instid1(VALU_DEP_1)
	v_lshlrev_b32_e32 v2, 2, v2
	ds_load_b32 v2, v2
	s_waitcnt lgkmcnt(0)
	v_add_nc_u32_e32 v19, v2, v50
	v_lshlrev_b64 v[2:3], 1, v[19:20]
	v_xor_b32_e32 v19, 0x7fff, v142
	s_delay_alu instid0(VALU_DEP_2) | instskip(NEXT) | instid1(VALU_DEP_1)
	v_add_co_u32 v2, s19, s38, v2
	v_add_co_ci_u32_e64 v3, s19, s39, v3, s19
	global_store_b16 v[2:3], v19, off
	s_or_b32 exec_lo, exec_lo, s20
	v_cmp_lt_u32_e64 s19, v54, v0
	s_delay_alu instid0(VALU_DEP_1)
	s_and_saveexec_b32 s21, s19
	s_cbranch_execnz .LBB919_757
.LBB919_772:                            ;   in Loop: Header=BB919_688 Depth=2
	s_or_b32 exec_lo, exec_lo, s21
	v_cmp_lt_u32_e64 s20, v55, v0
	s_delay_alu instid0(VALU_DEP_1)
	s_and_saveexec_b32 s22, s20
	s_cbranch_execz .LBB919_758
.LBB919_773:                            ;   in Loop: Header=BB919_688 Depth=2
	ds_load_u16 v142, v83 offset:2560
	s_waitcnt lgkmcnt(0)
	v_and_b32_e32 v2, 0xffff, v142
	s_delay_alu instid0(VALU_DEP_1) | instskip(NEXT) | instid1(VALU_DEP_1)
	v_lshrrev_b32_e32 v2, s57, v2
	v_and_b32_e32 v2, s43, v2
	s_delay_alu instid0(VALU_DEP_1) | instskip(SKIP_3) | instid1(VALU_DEP_1)
	v_lshlrev_b32_e32 v2, 2, v2
	ds_load_b32 v2, v2
	s_waitcnt lgkmcnt(0)
	v_add_nc_u32_e32 v19, v2, v55
	v_lshlrev_b64 v[2:3], 1, v[19:20]
	v_xor_b32_e32 v19, 0x7fff, v142
	s_delay_alu instid0(VALU_DEP_2) | instskip(NEXT) | instid1(VALU_DEP_1)
	v_add_co_u32 v2, s21, s38, v2
	v_add_co_ci_u32_e64 v3, s21, s39, v3, s21
	global_store_b16 v[2:3], v19, off
	s_or_b32 exec_lo, exec_lo, s22
	v_cmp_lt_u32_e64 s21, v56, v0
	s_delay_alu instid0(VALU_DEP_1)
	s_and_saveexec_b32 s23, s21
	s_cbranch_execnz .LBB919_759
.LBB919_774:                            ;   in Loop: Header=BB919_688 Depth=2
	s_or_b32 exec_lo, exec_lo, s23
	v_cmp_lt_u32_e64 s22, v57, v0
	s_delay_alu instid0(VALU_DEP_1)
	s_and_saveexec_b32 s24, s22
	s_cbranch_execz .LBB919_760
.LBB919_775:                            ;   in Loop: Header=BB919_688 Depth=2
	ds_load_u16 v142, v83 offset:3584
	s_waitcnt lgkmcnt(0)
	v_and_b32_e32 v2, 0xffff, v142
	s_delay_alu instid0(VALU_DEP_1) | instskip(NEXT) | instid1(VALU_DEP_1)
	v_lshrrev_b32_e32 v2, s57, v2
	v_and_b32_e32 v2, s43, v2
	s_delay_alu instid0(VALU_DEP_1) | instskip(SKIP_3) | instid1(VALU_DEP_1)
	v_lshlrev_b32_e32 v2, 2, v2
	ds_load_b32 v2, v2
	s_waitcnt lgkmcnt(0)
	v_add_nc_u32_e32 v19, v2, v57
	v_lshlrev_b64 v[2:3], 1, v[19:20]
	v_xor_b32_e32 v19, 0x7fff, v142
	s_delay_alu instid0(VALU_DEP_2) | instskip(NEXT) | instid1(VALU_DEP_1)
	v_add_co_u32 v2, s23, s38, v2
	v_add_co_ci_u32_e64 v3, s23, s39, v3, s23
	global_store_b16 v[2:3], v19, off
	s_or_b32 exec_lo, exec_lo, s24
	v_cmp_lt_u32_e64 s23, v58, v0
	s_delay_alu instid0(VALU_DEP_1)
	s_and_saveexec_b32 s25, s23
	s_cbranch_execnz .LBB919_761
.LBB919_776:                            ;   in Loop: Header=BB919_688 Depth=2
	s_or_b32 exec_lo, exec_lo, s25
	v_cmp_lt_u32_e64 s24, v59, v0
	s_delay_alu instid0(VALU_DEP_1)
	s_and_saveexec_b32 s27, s24
	s_cbranch_execz .LBB919_762
.LBB919_777:                            ;   in Loop: Header=BB919_688 Depth=2
	ds_load_u16 v142, v83 offset:4608
	s_waitcnt lgkmcnt(0)
	v_and_b32_e32 v2, 0xffff, v142
	s_delay_alu instid0(VALU_DEP_1) | instskip(NEXT) | instid1(VALU_DEP_1)
	v_lshrrev_b32_e32 v2, s57, v2
	v_and_b32_e32 v2, s43, v2
	s_delay_alu instid0(VALU_DEP_1) | instskip(SKIP_3) | instid1(VALU_DEP_1)
	v_lshlrev_b32_e32 v2, 2, v2
	ds_load_b32 v2, v2
	s_waitcnt lgkmcnt(0)
	v_add_nc_u32_e32 v19, v2, v59
	v_lshlrev_b64 v[2:3], 1, v[19:20]
	v_xor_b32_e32 v19, 0x7fff, v142
	s_delay_alu instid0(VALU_DEP_2) | instskip(NEXT) | instid1(VALU_DEP_1)
	v_add_co_u32 v2, s25, s38, v2
	v_add_co_ci_u32_e64 v3, s25, s39, v3, s25
	global_store_b16 v[2:3], v19, off
	s_or_b32 exec_lo, exec_lo, s27
	v_cmp_lt_u32_e64 s25, v60, v0
	s_delay_alu instid0(VALU_DEP_1)
	s_and_saveexec_b32 s28, s25
	s_cbranch_execnz .LBB919_763
.LBB919_778:                            ;   in Loop: Header=BB919_688 Depth=2
	s_or_b32 exec_lo, exec_lo, s28
	v_cmp_lt_u32_e64 s27, v61, v0
	s_delay_alu instid0(VALU_DEP_1)
	s_and_saveexec_b32 s29, s27
	s_cbranch_execz .LBB919_764
.LBB919_779:                            ;   in Loop: Header=BB919_688 Depth=2
	ds_load_u16 v142, v83 offset:5632
	s_waitcnt lgkmcnt(0)
	v_and_b32_e32 v2, 0xffff, v142
	s_delay_alu instid0(VALU_DEP_1) | instskip(NEXT) | instid1(VALU_DEP_1)
	v_lshrrev_b32_e32 v2, s57, v2
	v_and_b32_e32 v2, s43, v2
	s_delay_alu instid0(VALU_DEP_1) | instskip(SKIP_3) | instid1(VALU_DEP_1)
	v_lshlrev_b32_e32 v2, 2, v2
	ds_load_b32 v2, v2
	s_waitcnt lgkmcnt(0)
	v_add_nc_u32_e32 v19, v2, v61
	v_lshlrev_b64 v[2:3], 1, v[19:20]
	v_xor_b32_e32 v19, 0x7fff, v142
	s_delay_alu instid0(VALU_DEP_2) | instskip(NEXT) | instid1(VALU_DEP_1)
	v_add_co_u32 v2, s28, s38, v2
	v_add_co_ci_u32_e64 v3, s28, s39, v3, s28
	global_store_b16 v[2:3], v19, off
	s_or_b32 exec_lo, exec_lo, s29
	v_cmp_lt_u32_e64 s28, v62, v0
	s_delay_alu instid0(VALU_DEP_1)
	s_and_saveexec_b32 s30, s28
	s_cbranch_execnz .LBB919_765
.LBB919_780:                            ;   in Loop: Header=BB919_688 Depth=2
	s_or_b32 exec_lo, exec_lo, s30
	v_cmp_lt_u32_e64 s29, v63, v0
	s_delay_alu instid0(VALU_DEP_1)
	s_and_saveexec_b32 s31, s29
	s_cbranch_execz .LBB919_766
.LBB919_781:                            ;   in Loop: Header=BB919_688 Depth=2
	ds_load_u16 v142, v83 offset:6656
	s_waitcnt lgkmcnt(0)
	v_and_b32_e32 v2, 0xffff, v142
	s_delay_alu instid0(VALU_DEP_1) | instskip(NEXT) | instid1(VALU_DEP_1)
	v_lshrrev_b32_e32 v2, s57, v2
	v_and_b32_e32 v2, s43, v2
	s_delay_alu instid0(VALU_DEP_1) | instskip(SKIP_3) | instid1(VALU_DEP_1)
	v_lshlrev_b32_e32 v2, 2, v2
	ds_load_b32 v2, v2
	s_waitcnt lgkmcnt(0)
	v_add_nc_u32_e32 v19, v2, v63
	v_lshlrev_b64 v[2:3], 1, v[19:20]
	v_xor_b32_e32 v19, 0x7fff, v142
	s_delay_alu instid0(VALU_DEP_2) | instskip(NEXT) | instid1(VALU_DEP_1)
	v_add_co_u32 v2, s30, s38, v2
	v_add_co_ci_u32_e64 v3, s30, s39, v3, s30
	global_store_b16 v[2:3], v19, off
	s_or_b32 exec_lo, exec_lo, s31
	v_cmp_lt_u32_e64 s30, v64, v0
	s_delay_alu instid0(VALU_DEP_1)
	s_and_saveexec_b32 s33, s30
	s_cbranch_execnz .LBB919_767
.LBB919_782:                            ;   in Loop: Header=BB919_688 Depth=2
	s_or_b32 exec_lo, exec_lo, s33
	v_cmp_lt_u32_e64 s31, v66, v0
	s_delay_alu instid0(VALU_DEP_1)
	s_and_saveexec_b32 s45, s31
	s_cbranch_execz .LBB919_784
.LBB919_783:                            ;   in Loop: Header=BB919_688 Depth=2
	ds_load_u16 v142, v83 offset:7680
	s_waitcnt lgkmcnt(0)
	v_and_b32_e32 v2, 0xffff, v142
	s_delay_alu instid0(VALU_DEP_1) | instskip(NEXT) | instid1(VALU_DEP_1)
	v_lshrrev_b32_e32 v2, s57, v2
	v_and_b32_e32 v2, s43, v2
	s_delay_alu instid0(VALU_DEP_1) | instskip(SKIP_3) | instid1(VALU_DEP_1)
	v_lshlrev_b32_e32 v2, 2, v2
	ds_load_b32 v2, v2
	s_waitcnt lgkmcnt(0)
	v_add_nc_u32_e32 v19, v2, v66
	v_lshlrev_b64 v[2:3], 1, v[19:20]
	v_xor_b32_e32 v19, 0x7fff, v142
	s_delay_alu instid0(VALU_DEP_2) | instskip(NEXT) | instid1(VALU_DEP_1)
	v_add_co_u32 v2, s33, s38, v2
	v_add_co_ci_u32_e64 v3, s33, s39, v3, s33
	global_store_b16 v[2:3], v19, off
.LBB919_784:                            ;   in Loop: Header=BB919_688 Depth=2
	s_or_b32 exec_lo, exec_lo, s45
	s_lshl_b64 s[46:47], s[34:35], 3
	s_delay_alu instid0(SALU_CYCLE_1) | instskip(NEXT) | instid1(VALU_DEP_1)
	v_add_co_u32 v2, s33, v103, s46
	v_add_co_ci_u32_e64 v3, s33, s47, v104, s33
	v_cmp_lt_u32_e64 s33, v102, v0
	s_delay_alu instid0(VALU_DEP_1) | instskip(NEXT) | instid1(SALU_CYCLE_1)
	s_and_saveexec_b32 s34, s33
	s_xor_b32 s33, exec_lo, s34
	s_cbranch_execz .LBB919_816
; %bb.785:                              ;   in Loop: Header=BB919_688 Depth=2
	global_load_b64 v[43:44], v[2:3], off
	s_or_b32 exec_lo, exec_lo, s33
	s_delay_alu instid0(SALU_CYCLE_1)
	s_mov_b32 s34, exec_lo
	v_cmpx_lt_u32_e64 v105, v0
	s_cbranch_execnz .LBB919_817
.LBB919_786:                            ;   in Loop: Header=BB919_688 Depth=2
	s_or_b32 exec_lo, exec_lo, s34
	s_delay_alu instid0(SALU_CYCLE_1)
	s_mov_b32 s34, exec_lo
	v_cmpx_lt_u32_e64 v106, v0
	s_cbranch_execz .LBB919_818
.LBB919_787:                            ;   in Loop: Header=BB919_688 Depth=2
	global_load_b64 v[39:40], v[2:3], off offset:512
	s_or_b32 exec_lo, exec_lo, s34
	s_delay_alu instid0(SALU_CYCLE_1)
	s_mov_b32 s34, exec_lo
	v_cmpx_lt_u32_e64 v107, v0
	s_cbranch_execnz .LBB919_819
.LBB919_788:                            ;   in Loop: Header=BB919_688 Depth=2
	s_or_b32 exec_lo, exec_lo, s34
	s_delay_alu instid0(SALU_CYCLE_1)
	s_mov_b32 s34, exec_lo
	v_cmpx_lt_u32_e64 v108, v0
	s_cbranch_execz .LBB919_820
.LBB919_789:                            ;   in Loop: Header=BB919_688 Depth=2
	global_load_b64 v[35:36], v[2:3], off offset:1024
	s_or_b32 exec_lo, exec_lo, s34
	s_delay_alu instid0(SALU_CYCLE_1)
	s_mov_b32 s34, exec_lo
	v_cmpx_lt_u32_e64 v109, v0
	s_cbranch_execnz .LBB919_821
.LBB919_790:                            ;   in Loop: Header=BB919_688 Depth=2
	s_or_b32 exec_lo, exec_lo, s34
	s_delay_alu instid0(SALU_CYCLE_1)
	s_mov_b32 s34, exec_lo
	v_cmpx_lt_u32_e64 v110, v0
	s_cbranch_execz .LBB919_822
.LBB919_791:                            ;   in Loop: Header=BB919_688 Depth=2
	global_load_b64 v[31:32], v[2:3], off offset:1536
	s_or_b32 exec_lo, exec_lo, s34
	s_delay_alu instid0(SALU_CYCLE_1)
	s_mov_b32 s34, exec_lo
	v_cmpx_lt_u32_e64 v111, v0
	s_cbranch_execnz .LBB919_823
.LBB919_792:                            ;   in Loop: Header=BB919_688 Depth=2
	s_or_b32 exec_lo, exec_lo, s34
	s_delay_alu instid0(SALU_CYCLE_1)
	s_mov_b32 s34, exec_lo
	v_cmpx_lt_u32_e64 v112, v0
	s_cbranch_execz .LBB919_824
.LBB919_793:                            ;   in Loop: Header=BB919_688 Depth=2
	global_load_b64 v[27:28], v[2:3], off offset:2048
	s_or_b32 exec_lo, exec_lo, s34
	s_delay_alu instid0(SALU_CYCLE_1)
	s_mov_b32 s34, exec_lo
	v_cmpx_lt_u32_e64 v113, v0
	s_cbranch_execnz .LBB919_825
.LBB919_794:                            ;   in Loop: Header=BB919_688 Depth=2
	s_or_b32 exec_lo, exec_lo, s34
	s_delay_alu instid0(SALU_CYCLE_1)
	s_mov_b32 s34, exec_lo
	v_cmpx_lt_u32_e64 v114, v0
	s_cbranch_execz .LBB919_826
.LBB919_795:                            ;   in Loop: Header=BB919_688 Depth=2
	global_load_b64 v[23:24], v[2:3], off offset:2560
	s_or_b32 exec_lo, exec_lo, s34
	s_delay_alu instid0(SALU_CYCLE_1)
	s_mov_b32 s34, exec_lo
	v_cmpx_lt_u32_e64 v115, v0
	s_cbranch_execnz .LBB919_827
.LBB919_796:                            ;   in Loop: Header=BB919_688 Depth=2
	s_or_b32 exec_lo, exec_lo, s34
	s_delay_alu instid0(SALU_CYCLE_1)
	s_mov_b32 s34, exec_lo
	v_cmpx_lt_u32_e64 v116, v0
	s_cbranch_execz .LBB919_828
.LBB919_797:                            ;   in Loop: Header=BB919_688 Depth=2
	global_load_b64 v[16:17], v[2:3], off offset:3072
	s_or_b32 exec_lo, exec_lo, s34
	s_delay_alu instid0(SALU_CYCLE_1)
	s_mov_b32 s34, exec_lo
	v_cmpx_lt_u32_e64 v117, v0
	s_cbranch_execnz .LBB919_829
.LBB919_798:                            ;   in Loop: Header=BB919_688 Depth=2
	s_or_b32 exec_lo, exec_lo, s34
	s_delay_alu instid0(SALU_CYCLE_1)
	s_mov_b32 s34, exec_lo
	v_cmpx_lt_u32_e64 v118, v0
	s_cbranch_execz .LBB919_830
.LBB919_799:                            ;   in Loop: Header=BB919_688 Depth=2
	global_load_b64 v[12:13], v[2:3], off offset:3584
	s_or_b32 exec_lo, exec_lo, s34
	s_delay_alu instid0(SALU_CYCLE_1)
	s_mov_b32 s34, exec_lo
	v_cmpx_lt_u32_e64 v119, v0
	s_cbranch_execnz .LBB919_831
.LBB919_800:                            ;   in Loop: Header=BB919_688 Depth=2
	s_or_b32 exec_lo, exec_lo, s34
	s_and_saveexec_b32 s33, vcc_lo
	s_cbranch_execz .LBB919_832
.LBB919_801:                            ;   in Loop: Header=BB919_688 Depth=2
	v_add_nc_u32_e32 v0, v76, v82
	ds_load_u16 v0, v0 offset:1024
	s_waitcnt lgkmcnt(0)
	v_lshrrev_b32_e32 v0, s57, v0
	s_delay_alu instid0(VALU_DEP_1)
	v_and_b32_e32 v140, s43, v0
	s_or_b32 exec_lo, exec_lo, s33
	s_and_saveexec_b32 s33, s16
	s_cbranch_execnz .LBB919_833
.LBB919_802:                            ;   in Loop: Header=BB919_688 Depth=2
	s_or_b32 exec_lo, exec_lo, s33
	s_and_saveexec_b32 s33, s17
	s_cbranch_execz .LBB919_834
.LBB919_803:                            ;   in Loop: Header=BB919_688 Depth=2
	ds_load_u16 v0, v83 offset:1024
	s_waitcnt lgkmcnt(0)
	v_lshrrev_b32_e32 v0, s57, v0
	s_delay_alu instid0(VALU_DEP_1)
	v_and_b32_e32 v138, s43, v0
	s_or_b32 exec_lo, exec_lo, s33
	s_and_saveexec_b32 s33, s18
	s_cbranch_execnz .LBB919_835
.LBB919_804:                            ;   in Loop: Header=BB919_688 Depth=2
	s_or_b32 exec_lo, exec_lo, s33
	s_and_saveexec_b32 s33, s19
	s_cbranch_execz .LBB919_836
.LBB919_805:                            ;   in Loop: Header=BB919_688 Depth=2
	ds_load_u16 v0, v83 offset:2048
	s_waitcnt lgkmcnt(0)
	v_lshrrev_b32_e32 v0, s57, v0
	s_delay_alu instid0(VALU_DEP_1)
	v_and_b32_e32 v136, s43, v0
	s_or_b32 exec_lo, exec_lo, s33
	s_and_saveexec_b32 s33, s20
	s_cbranch_execnz .LBB919_837
.LBB919_806:                            ;   in Loop: Header=BB919_688 Depth=2
	s_or_b32 exec_lo, exec_lo, s33
	s_and_saveexec_b32 s33, s21
	s_cbranch_execz .LBB919_838
.LBB919_807:                            ;   in Loop: Header=BB919_688 Depth=2
	ds_load_u16 v0, v83 offset:3072
	s_waitcnt lgkmcnt(0)
	v_lshrrev_b32_e32 v0, s57, v0
	s_delay_alu instid0(VALU_DEP_1)
	v_and_b32_e32 v134, s43, v0
	s_or_b32 exec_lo, exec_lo, s33
	s_and_saveexec_b32 s33, s22
	s_cbranch_execnz .LBB919_839
.LBB919_808:                            ;   in Loop: Header=BB919_688 Depth=2
	s_or_b32 exec_lo, exec_lo, s33
	s_and_saveexec_b32 s33, s23
	s_cbranch_execz .LBB919_840
.LBB919_809:                            ;   in Loop: Header=BB919_688 Depth=2
	ds_load_u16 v0, v83 offset:4096
	s_waitcnt lgkmcnt(0)
	v_lshrrev_b32_e32 v0, s57, v0
	s_delay_alu instid0(VALU_DEP_1)
	v_and_b32_e32 v132, s43, v0
	s_or_b32 exec_lo, exec_lo, s33
	s_and_saveexec_b32 s33, s24
	s_cbranch_execnz .LBB919_841
.LBB919_810:                            ;   in Loop: Header=BB919_688 Depth=2
	s_or_b32 exec_lo, exec_lo, s33
	s_and_saveexec_b32 s33, s25
	s_cbranch_execz .LBB919_842
.LBB919_811:                            ;   in Loop: Header=BB919_688 Depth=2
	ds_load_u16 v0, v83 offset:5120
	s_waitcnt lgkmcnt(0)
	v_lshrrev_b32_e32 v0, s57, v0
	s_delay_alu instid0(VALU_DEP_1)
	v_and_b32_e32 v130, s43, v0
	s_or_b32 exec_lo, exec_lo, s33
	s_and_saveexec_b32 s33, s27
	s_cbranch_execnz .LBB919_843
.LBB919_812:                            ;   in Loop: Header=BB919_688 Depth=2
	s_or_b32 exec_lo, exec_lo, s33
	s_and_saveexec_b32 s33, s28
	s_cbranch_execz .LBB919_844
.LBB919_813:                            ;   in Loop: Header=BB919_688 Depth=2
	ds_load_u16 v0, v83 offset:6144
	s_waitcnt lgkmcnt(0)
	v_lshrrev_b32_e32 v0, s57, v0
	s_delay_alu instid0(VALU_DEP_1)
	v_and_b32_e32 v128, s43, v0
	s_or_b32 exec_lo, exec_lo, s33
	s_and_saveexec_b32 s33, s29
	s_cbranch_execnz .LBB919_845
.LBB919_814:                            ;   in Loop: Header=BB919_688 Depth=2
	s_or_b32 exec_lo, exec_lo, s33
	s_and_saveexec_b32 s33, s30
	s_cbranch_execz .LBB919_846
.LBB919_815:                            ;   in Loop: Header=BB919_688 Depth=2
	ds_load_u16 v0, v83 offset:7168
	s_waitcnt lgkmcnt(0)
	v_lshrrev_b32_e32 v0, s57, v0
	s_delay_alu instid0(VALU_DEP_1)
	v_and_b32_e32 v126, s43, v0
	s_or_b32 exec_lo, exec_lo, s33
	s_and_saveexec_b32 s33, s31
	s_cbranch_execnz .LBB919_847
	s_branch .LBB919_848
.LBB919_816:                            ;   in Loop: Header=BB919_688 Depth=2
	s_or_b32 exec_lo, exec_lo, s33
	s_delay_alu instid0(SALU_CYCLE_1)
	s_mov_b32 s34, exec_lo
	v_cmpx_lt_u32_e64 v105, v0
	s_cbranch_execz .LBB919_786
.LBB919_817:                            ;   in Loop: Header=BB919_688 Depth=2
	global_load_b64 v[41:42], v[2:3], off offset:256
	s_or_b32 exec_lo, exec_lo, s34
	s_delay_alu instid0(SALU_CYCLE_1)
	s_mov_b32 s34, exec_lo
	v_cmpx_lt_u32_e64 v106, v0
	s_cbranch_execnz .LBB919_787
.LBB919_818:                            ;   in Loop: Header=BB919_688 Depth=2
	s_or_b32 exec_lo, exec_lo, s34
	s_delay_alu instid0(SALU_CYCLE_1)
	s_mov_b32 s34, exec_lo
	v_cmpx_lt_u32_e64 v107, v0
	s_cbranch_execz .LBB919_788
.LBB919_819:                            ;   in Loop: Header=BB919_688 Depth=2
	global_load_b64 v[37:38], v[2:3], off offset:768
	s_or_b32 exec_lo, exec_lo, s34
	s_delay_alu instid0(SALU_CYCLE_1)
	s_mov_b32 s34, exec_lo
	v_cmpx_lt_u32_e64 v108, v0
	s_cbranch_execnz .LBB919_789
.LBB919_820:                            ;   in Loop: Header=BB919_688 Depth=2
	s_or_b32 exec_lo, exec_lo, s34
	s_delay_alu instid0(SALU_CYCLE_1)
	s_mov_b32 s34, exec_lo
	v_cmpx_lt_u32_e64 v109, v0
	s_cbranch_execz .LBB919_790
.LBB919_821:                            ;   in Loop: Header=BB919_688 Depth=2
	global_load_b64 v[33:34], v[2:3], off offset:1280
	s_or_b32 exec_lo, exec_lo, s34
	s_delay_alu instid0(SALU_CYCLE_1)
	s_mov_b32 s34, exec_lo
	v_cmpx_lt_u32_e64 v110, v0
	s_cbranch_execnz .LBB919_791
.LBB919_822:                            ;   in Loop: Header=BB919_688 Depth=2
	s_or_b32 exec_lo, exec_lo, s34
	s_delay_alu instid0(SALU_CYCLE_1)
	s_mov_b32 s34, exec_lo
	v_cmpx_lt_u32_e64 v111, v0
	s_cbranch_execz .LBB919_792
.LBB919_823:                            ;   in Loop: Header=BB919_688 Depth=2
	global_load_b64 v[29:30], v[2:3], off offset:1792
	s_or_b32 exec_lo, exec_lo, s34
	s_delay_alu instid0(SALU_CYCLE_1)
	s_mov_b32 s34, exec_lo
	v_cmpx_lt_u32_e64 v112, v0
	s_cbranch_execnz .LBB919_793
.LBB919_824:                            ;   in Loop: Header=BB919_688 Depth=2
	s_or_b32 exec_lo, exec_lo, s34
	s_delay_alu instid0(SALU_CYCLE_1)
	s_mov_b32 s34, exec_lo
	v_cmpx_lt_u32_e64 v113, v0
	s_cbranch_execz .LBB919_794
.LBB919_825:                            ;   in Loop: Header=BB919_688 Depth=2
	global_load_b64 v[25:26], v[2:3], off offset:2304
	s_or_b32 exec_lo, exec_lo, s34
	s_delay_alu instid0(SALU_CYCLE_1)
	s_mov_b32 s34, exec_lo
	v_cmpx_lt_u32_e64 v114, v0
	s_cbranch_execnz .LBB919_795
.LBB919_826:                            ;   in Loop: Header=BB919_688 Depth=2
	s_or_b32 exec_lo, exec_lo, s34
	s_delay_alu instid0(SALU_CYCLE_1)
	s_mov_b32 s34, exec_lo
	v_cmpx_lt_u32_e64 v115, v0
	s_cbranch_execz .LBB919_796
.LBB919_827:                            ;   in Loop: Header=BB919_688 Depth=2
	global_load_b64 v[21:22], v[2:3], off offset:2816
	s_or_b32 exec_lo, exec_lo, s34
	s_delay_alu instid0(SALU_CYCLE_1)
	s_mov_b32 s34, exec_lo
	v_cmpx_lt_u32_e64 v116, v0
	s_cbranch_execnz .LBB919_797
.LBB919_828:                            ;   in Loop: Header=BB919_688 Depth=2
	s_or_b32 exec_lo, exec_lo, s34
	s_delay_alu instid0(SALU_CYCLE_1)
	s_mov_b32 s34, exec_lo
	v_cmpx_lt_u32_e64 v117, v0
	s_cbranch_execz .LBB919_798
.LBB919_829:                            ;   in Loop: Header=BB919_688 Depth=2
	global_load_b64 v[14:15], v[2:3], off offset:3328
	s_or_b32 exec_lo, exec_lo, s34
	s_delay_alu instid0(SALU_CYCLE_1)
	s_mov_b32 s34, exec_lo
	v_cmpx_lt_u32_e64 v118, v0
	s_cbranch_execnz .LBB919_799
.LBB919_830:                            ;   in Loop: Header=BB919_688 Depth=2
	s_or_b32 exec_lo, exec_lo, s34
	s_delay_alu instid0(SALU_CYCLE_1)
	s_mov_b32 s34, exec_lo
	v_cmpx_lt_u32_e64 v119, v0
	s_cbranch_execz .LBB919_800
.LBB919_831:                            ;   in Loop: Header=BB919_688 Depth=2
	global_load_b64 v[10:11], v[2:3], off offset:3840
	s_or_b32 exec_lo, exec_lo, s34
	s_and_saveexec_b32 s33, vcc_lo
	s_cbranch_execnz .LBB919_801
.LBB919_832:                            ;   in Loop: Header=BB919_688 Depth=2
	s_or_b32 exec_lo, exec_lo, s33
	s_and_saveexec_b32 s33, s16
	s_cbranch_execz .LBB919_802
.LBB919_833:                            ;   in Loop: Header=BB919_688 Depth=2
	ds_load_u16 v0, v83 offset:512
	s_waitcnt lgkmcnt(0)
	v_lshrrev_b32_e32 v0, s57, v0
	s_delay_alu instid0(VALU_DEP_1)
	v_and_b32_e32 v139, s43, v0
	s_or_b32 exec_lo, exec_lo, s33
	s_and_saveexec_b32 s33, s17
	s_cbranch_execnz .LBB919_803
.LBB919_834:                            ;   in Loop: Header=BB919_688 Depth=2
	s_or_b32 exec_lo, exec_lo, s33
	s_and_saveexec_b32 s33, s18
	s_cbranch_execz .LBB919_804
.LBB919_835:                            ;   in Loop: Header=BB919_688 Depth=2
	ds_load_u16 v0, v83 offset:1536
	s_waitcnt lgkmcnt(0)
	v_lshrrev_b32_e32 v0, s57, v0
	s_delay_alu instid0(VALU_DEP_1)
	v_and_b32_e32 v137, s43, v0
	s_or_b32 exec_lo, exec_lo, s33
	s_and_saveexec_b32 s33, s19
	s_cbranch_execnz .LBB919_805
.LBB919_836:                            ;   in Loop: Header=BB919_688 Depth=2
	s_or_b32 exec_lo, exec_lo, s33
	s_and_saveexec_b32 s33, s20
	s_cbranch_execz .LBB919_806
.LBB919_837:                            ;   in Loop: Header=BB919_688 Depth=2
	ds_load_u16 v0, v83 offset:2560
	s_waitcnt lgkmcnt(0)
	v_lshrrev_b32_e32 v0, s57, v0
	s_delay_alu instid0(VALU_DEP_1)
	v_and_b32_e32 v135, s43, v0
	s_or_b32 exec_lo, exec_lo, s33
	s_and_saveexec_b32 s33, s21
	s_cbranch_execnz .LBB919_807
.LBB919_838:                            ;   in Loop: Header=BB919_688 Depth=2
	s_or_b32 exec_lo, exec_lo, s33
	s_and_saveexec_b32 s33, s22
	s_cbranch_execz .LBB919_808
.LBB919_839:                            ;   in Loop: Header=BB919_688 Depth=2
	ds_load_u16 v0, v83 offset:3584
	s_waitcnt lgkmcnt(0)
	v_lshrrev_b32_e32 v0, s57, v0
	s_delay_alu instid0(VALU_DEP_1)
	v_and_b32_e32 v133, s43, v0
	s_or_b32 exec_lo, exec_lo, s33
	s_and_saveexec_b32 s33, s23
	s_cbranch_execnz .LBB919_809
.LBB919_840:                            ;   in Loop: Header=BB919_688 Depth=2
	s_or_b32 exec_lo, exec_lo, s33
	s_and_saveexec_b32 s33, s24
	s_cbranch_execz .LBB919_810
.LBB919_841:                            ;   in Loop: Header=BB919_688 Depth=2
	ds_load_u16 v0, v83 offset:4608
	s_waitcnt lgkmcnt(0)
	v_lshrrev_b32_e32 v0, s57, v0
	s_delay_alu instid0(VALU_DEP_1)
	v_and_b32_e32 v131, s43, v0
	s_or_b32 exec_lo, exec_lo, s33
	s_and_saveexec_b32 s33, s25
	s_cbranch_execnz .LBB919_811
.LBB919_842:                            ;   in Loop: Header=BB919_688 Depth=2
	s_or_b32 exec_lo, exec_lo, s33
	s_and_saveexec_b32 s33, s27
	s_cbranch_execz .LBB919_812
.LBB919_843:                            ;   in Loop: Header=BB919_688 Depth=2
	ds_load_u16 v0, v83 offset:5632
	s_waitcnt lgkmcnt(0)
	v_lshrrev_b32_e32 v0, s57, v0
	s_delay_alu instid0(VALU_DEP_1)
	v_and_b32_e32 v129, s43, v0
	s_or_b32 exec_lo, exec_lo, s33
	s_and_saveexec_b32 s33, s28
	s_cbranch_execnz .LBB919_813
.LBB919_844:                            ;   in Loop: Header=BB919_688 Depth=2
	s_or_b32 exec_lo, exec_lo, s33
	s_and_saveexec_b32 s33, s29
	s_cbranch_execz .LBB919_814
.LBB919_845:                            ;   in Loop: Header=BB919_688 Depth=2
	ds_load_u16 v0, v83 offset:6656
	s_waitcnt lgkmcnt(0)
	v_lshrrev_b32_e32 v0, s57, v0
	s_delay_alu instid0(VALU_DEP_1)
	v_and_b32_e32 v127, s43, v0
	s_or_b32 exec_lo, exec_lo, s33
	s_and_saveexec_b32 s33, s30
	s_cbranch_execnz .LBB919_815
.LBB919_846:                            ;   in Loop: Header=BB919_688 Depth=2
	s_or_b32 exec_lo, exec_lo, s33
	s_and_saveexec_b32 s33, s31
	s_cbranch_execz .LBB919_848
.LBB919_847:                            ;   in Loop: Header=BB919_688 Depth=2
	ds_load_u16 v0, v83 offset:7680
	s_waitcnt lgkmcnt(0)
	v_lshrrev_b32_e32 v0, s57, v0
	s_delay_alu instid0(VALU_DEP_1)
	v_and_b32_e32 v125, s43, v0
.LBB919_848:                            ;   in Loop: Header=BB919_688 Depth=2
	s_or_b32 exec_lo, exec_lo, s33
	v_lshlrev_b32_e32 v0, 3, v159
	v_lshlrev_b32_e32 v2, 3, v155
	s_waitcnt vmcnt(0)
	s_waitcnt_vscnt null, 0x0
	s_barrier
	buffer_gl0_inv
	ds_store_b64 v0, v[43:44] offset:1024
	v_lshlrev_b32_e32 v0, 3, v151
	v_lshlrev_b32_e32 v3, 3, v150
	;; [unrolled: 1-line block ×4, first 2 shown]
	ds_store_b64 v2, v[41:42] offset:1024
	ds_store_b64 v0, v[39:40] offset:1024
	;; [unrolled: 1-line block ×5, first 2 shown]
	v_lshlrev_b32_e32 v0, 3, v146
	v_lshlrev_b32_e32 v2, 3, v145
	;; [unrolled: 1-line block ×5, first 2 shown]
	ds_store_b64 v0, v[31:32] offset:1024
	ds_store_b64 v2, v[29:30] offset:1024
	;; [unrolled: 1-line block ×5, first 2 shown]
	v_lshlrev_b32_e32 v0, 3, v6
	v_lshlrev_b32_e32 v2, 3, v5
	;; [unrolled: 1-line block ×5, first 2 shown]
	ds_store_b64 v0, v[21:22] offset:1024
	ds_store_b64 v2, v[16:17] offset:1024
	ds_store_b64 v3, v[14:15] offset:1024
	ds_store_b64 v5, v[12:13] offset:1024
	ds_store_b64 v6, v[10:11] offset:1024
	s_waitcnt lgkmcnt(0)
	s_barrier
	buffer_gl0_inv
	s_and_saveexec_b32 s33, vcc_lo
	s_cbranch_execz .LBB919_864
; %bb.849:                              ;   in Loop: Header=BB919_688 Depth=2
	v_lshlrev_b32_e32 v0, 2, v140
	ds_load_b32 v0, v0
	ds_load_b64 v[2:3], v84 offset:1024
	s_waitcnt lgkmcnt(1)
	v_add_nc_u32_e32 v19, v0, v18
	s_delay_alu instid0(VALU_DEP_1) | instskip(NEXT) | instid1(VALU_DEP_1)
	v_lshlrev_b64 v[5:6], 3, v[19:20]
	v_add_co_u32 v5, vcc_lo, s52, v5
	s_delay_alu instid0(VALU_DEP_2)
	v_add_co_ci_u32_e32 v6, vcc_lo, s53, v6, vcc_lo
	s_waitcnt lgkmcnt(0)
	global_store_b64 v[5:6], v[2:3], off
	s_or_b32 exec_lo, exec_lo, s33
	s_and_saveexec_b32 s33, s16
	s_cbranch_execnz .LBB919_865
.LBB919_850:                            ;   in Loop: Header=BB919_688 Depth=2
	s_or_b32 exec_lo, exec_lo, s33
	s_and_saveexec_b32 s16, s17
	s_cbranch_execz .LBB919_866
.LBB919_851:                            ;   in Loop: Header=BB919_688 Depth=2
	v_lshlrev_b32_e32 v0, 2, v138
	v_add_nc_u32_e32 v2, v83, v85
	ds_load_b32 v0, v0
	ds_load_b64 v[2:3], v2 offset:4096
	s_waitcnt lgkmcnt(1)
	v_add_nc_u32_e32 v19, v0, v49
	s_delay_alu instid0(VALU_DEP_1) | instskip(NEXT) | instid1(VALU_DEP_1)
	v_lshlrev_b64 v[5:6], 3, v[19:20]
	v_add_co_u32 v5, vcc_lo, s52, v5
	s_delay_alu instid0(VALU_DEP_2)
	v_add_co_ci_u32_e32 v6, vcc_lo, s53, v6, vcc_lo
	s_waitcnt lgkmcnt(0)
	global_store_b64 v[5:6], v[2:3], off
	s_or_b32 exec_lo, exec_lo, s16
	s_and_saveexec_b32 s16, s18
	s_cbranch_execnz .LBB919_867
.LBB919_852:                            ;   in Loop: Header=BB919_688 Depth=2
	s_or_b32 exec_lo, exec_lo, s16
	s_and_saveexec_b32 s16, s19
	s_cbranch_execz .LBB919_868
.LBB919_853:                            ;   in Loop: Header=BB919_688 Depth=2
	v_lshlrev_b32_e32 v0, 2, v136
	v_add_nc_u32_e32 v2, v83, v85
	ds_load_b32 v0, v0
	ds_load_b64 v[2:3], v2 offset:8192
	s_waitcnt lgkmcnt(1)
	v_add_nc_u32_e32 v19, v0, v54
	s_delay_alu instid0(VALU_DEP_1) | instskip(NEXT) | instid1(VALU_DEP_1)
	v_lshlrev_b64 v[5:6], 3, v[19:20]
	v_add_co_u32 v5, vcc_lo, s52, v5
	s_delay_alu instid0(VALU_DEP_2)
	v_add_co_ci_u32_e32 v6, vcc_lo, s53, v6, vcc_lo
	s_waitcnt lgkmcnt(0)
	global_store_b64 v[5:6], v[2:3], off
	s_or_b32 exec_lo, exec_lo, s16
	s_and_saveexec_b32 s16, s20
	s_cbranch_execnz .LBB919_869
.LBB919_854:                            ;   in Loop: Header=BB919_688 Depth=2
	s_or_b32 exec_lo, exec_lo, s16
	s_and_saveexec_b32 s16, s21
	s_cbranch_execz .LBB919_870
.LBB919_855:                            ;   in Loop: Header=BB919_688 Depth=2
	v_lshlrev_b32_e32 v0, 2, v134
	v_add_nc_u32_e32 v2, v83, v85
	ds_load_b32 v0, v0
	ds_load_b64 v[2:3], v2 offset:12288
	s_waitcnt lgkmcnt(1)
	v_add_nc_u32_e32 v19, v0, v56
	s_delay_alu instid0(VALU_DEP_1) | instskip(NEXT) | instid1(VALU_DEP_1)
	v_lshlrev_b64 v[5:6], 3, v[19:20]
	v_add_co_u32 v5, vcc_lo, s52, v5
	s_delay_alu instid0(VALU_DEP_2)
	v_add_co_ci_u32_e32 v6, vcc_lo, s53, v6, vcc_lo
	s_waitcnt lgkmcnt(0)
	global_store_b64 v[5:6], v[2:3], off
	s_or_b32 exec_lo, exec_lo, s16
	s_and_saveexec_b32 s16, s22
	s_cbranch_execnz .LBB919_871
.LBB919_856:                            ;   in Loop: Header=BB919_688 Depth=2
	s_or_b32 exec_lo, exec_lo, s16
	s_and_saveexec_b32 s16, s23
	s_cbranch_execz .LBB919_872
.LBB919_857:                            ;   in Loop: Header=BB919_688 Depth=2
	v_lshlrev_b32_e32 v0, 2, v132
	v_add_nc_u32_e32 v2, v83, v85
	ds_load_b32 v0, v0
	ds_load_b64 v[2:3], v2 offset:16384
	s_waitcnt lgkmcnt(1)
	v_add_nc_u32_e32 v19, v0, v58
	s_delay_alu instid0(VALU_DEP_1) | instskip(NEXT) | instid1(VALU_DEP_1)
	v_lshlrev_b64 v[5:6], 3, v[19:20]
	v_add_co_u32 v5, vcc_lo, s52, v5
	s_delay_alu instid0(VALU_DEP_2)
	v_add_co_ci_u32_e32 v6, vcc_lo, s53, v6, vcc_lo
	s_waitcnt lgkmcnt(0)
	global_store_b64 v[5:6], v[2:3], off
	s_or_b32 exec_lo, exec_lo, s16
	s_and_saveexec_b32 s16, s24
	s_cbranch_execnz .LBB919_873
.LBB919_858:                            ;   in Loop: Header=BB919_688 Depth=2
	s_or_b32 exec_lo, exec_lo, s16
	s_and_saveexec_b32 s16, s25
	s_cbranch_execz .LBB919_874
.LBB919_859:                            ;   in Loop: Header=BB919_688 Depth=2
	v_lshlrev_b32_e32 v0, 2, v130
	v_add_nc_u32_e32 v2, v83, v85
	ds_load_b32 v0, v0
	ds_load_b64 v[2:3], v2 offset:20480
	s_waitcnt lgkmcnt(1)
	v_add_nc_u32_e32 v19, v0, v60
	s_delay_alu instid0(VALU_DEP_1) | instskip(NEXT) | instid1(VALU_DEP_1)
	v_lshlrev_b64 v[5:6], 3, v[19:20]
	v_add_co_u32 v5, vcc_lo, s52, v5
	s_delay_alu instid0(VALU_DEP_2)
	v_add_co_ci_u32_e32 v6, vcc_lo, s53, v6, vcc_lo
	s_waitcnt lgkmcnt(0)
	global_store_b64 v[5:6], v[2:3], off
	s_or_b32 exec_lo, exec_lo, s16
	s_and_saveexec_b32 s16, s27
	s_cbranch_execnz .LBB919_875
.LBB919_860:                            ;   in Loop: Header=BB919_688 Depth=2
	s_or_b32 exec_lo, exec_lo, s16
	s_and_saveexec_b32 s16, s28
	s_cbranch_execz .LBB919_876
.LBB919_861:                            ;   in Loop: Header=BB919_688 Depth=2
	v_lshlrev_b32_e32 v0, 2, v128
	v_add_nc_u32_e32 v2, v83, v85
	ds_load_b32 v0, v0
	ds_load_b64 v[2:3], v2 offset:24576
	s_waitcnt lgkmcnt(1)
	v_add_nc_u32_e32 v19, v0, v62
	s_delay_alu instid0(VALU_DEP_1) | instskip(NEXT) | instid1(VALU_DEP_1)
	v_lshlrev_b64 v[5:6], 3, v[19:20]
	v_add_co_u32 v5, vcc_lo, s52, v5
	s_delay_alu instid0(VALU_DEP_2)
	v_add_co_ci_u32_e32 v6, vcc_lo, s53, v6, vcc_lo
	s_waitcnt lgkmcnt(0)
	global_store_b64 v[5:6], v[2:3], off
	s_or_b32 exec_lo, exec_lo, s16
	s_and_saveexec_b32 s16, s29
	s_cbranch_execnz .LBB919_877
.LBB919_862:                            ;   in Loop: Header=BB919_688 Depth=2
	s_or_b32 exec_lo, exec_lo, s16
	s_and_saveexec_b32 s16, s30
	s_cbranch_execz .LBB919_878
.LBB919_863:                            ;   in Loop: Header=BB919_688 Depth=2
	v_lshlrev_b32_e32 v0, 2, v126
	v_add_nc_u32_e32 v2, v83, v85
	ds_load_b32 v0, v0
	ds_load_b64 v[2:3], v2 offset:28672
	s_waitcnt lgkmcnt(1)
	v_add_nc_u32_e32 v19, v0, v64
	s_delay_alu instid0(VALU_DEP_1) | instskip(NEXT) | instid1(VALU_DEP_1)
	v_lshlrev_b64 v[5:6], 3, v[19:20]
	v_add_co_u32 v5, vcc_lo, s52, v5
	s_delay_alu instid0(VALU_DEP_2)
	v_add_co_ci_u32_e32 v6, vcc_lo, s53, v6, vcc_lo
	s_waitcnt lgkmcnt(0)
	global_store_b64 v[5:6], v[2:3], off
	s_or_b32 exec_lo, exec_lo, s16
	s_and_saveexec_b32 s16, s31
	s_cbranch_execnz .LBB919_879
	s_branch .LBB919_880
.LBB919_864:                            ;   in Loop: Header=BB919_688 Depth=2
	s_or_b32 exec_lo, exec_lo, s33
	s_and_saveexec_b32 s33, s16
	s_cbranch_execz .LBB919_850
.LBB919_865:                            ;   in Loop: Header=BB919_688 Depth=2
	v_lshlrev_b32_e32 v0, 2, v139
	v_add_nc_u32_e32 v2, v83, v85
	ds_load_b32 v0, v0
	ds_load_b64 v[2:3], v2 offset:2048
	s_waitcnt lgkmcnt(1)
	v_add_nc_u32_e32 v19, v0, v48
	s_delay_alu instid0(VALU_DEP_1) | instskip(NEXT) | instid1(VALU_DEP_1)
	v_lshlrev_b64 v[5:6], 3, v[19:20]
	v_add_co_u32 v5, vcc_lo, s52, v5
	s_delay_alu instid0(VALU_DEP_2)
	v_add_co_ci_u32_e32 v6, vcc_lo, s53, v6, vcc_lo
	s_waitcnt lgkmcnt(0)
	global_store_b64 v[5:6], v[2:3], off
	s_or_b32 exec_lo, exec_lo, s33
	s_and_saveexec_b32 s16, s17
	s_cbranch_execnz .LBB919_851
.LBB919_866:                            ;   in Loop: Header=BB919_688 Depth=2
	s_or_b32 exec_lo, exec_lo, s16
	s_and_saveexec_b32 s16, s18
	s_cbranch_execz .LBB919_852
.LBB919_867:                            ;   in Loop: Header=BB919_688 Depth=2
	v_lshlrev_b32_e32 v0, 2, v137
	v_add_nc_u32_e32 v2, v83, v85
	ds_load_b32 v0, v0
	ds_load_b64 v[2:3], v2 offset:6144
	s_waitcnt lgkmcnt(1)
	v_add_nc_u32_e32 v19, v0, v50
	s_delay_alu instid0(VALU_DEP_1) | instskip(NEXT) | instid1(VALU_DEP_1)
	v_lshlrev_b64 v[5:6], 3, v[19:20]
	v_add_co_u32 v5, vcc_lo, s52, v5
	s_delay_alu instid0(VALU_DEP_2)
	v_add_co_ci_u32_e32 v6, vcc_lo, s53, v6, vcc_lo
	s_waitcnt lgkmcnt(0)
	global_store_b64 v[5:6], v[2:3], off
	s_or_b32 exec_lo, exec_lo, s16
	s_and_saveexec_b32 s16, s19
	s_cbranch_execnz .LBB919_853
.LBB919_868:                            ;   in Loop: Header=BB919_688 Depth=2
	s_or_b32 exec_lo, exec_lo, s16
	s_and_saveexec_b32 s16, s20
	s_cbranch_execz .LBB919_854
.LBB919_869:                            ;   in Loop: Header=BB919_688 Depth=2
	v_lshlrev_b32_e32 v0, 2, v135
	v_add_nc_u32_e32 v2, v83, v85
	ds_load_b32 v0, v0
	ds_load_b64 v[2:3], v2 offset:10240
	s_waitcnt lgkmcnt(1)
	v_add_nc_u32_e32 v19, v0, v55
	s_delay_alu instid0(VALU_DEP_1) | instskip(NEXT) | instid1(VALU_DEP_1)
	v_lshlrev_b64 v[5:6], 3, v[19:20]
	v_add_co_u32 v5, vcc_lo, s52, v5
	s_delay_alu instid0(VALU_DEP_2)
	v_add_co_ci_u32_e32 v6, vcc_lo, s53, v6, vcc_lo
	s_waitcnt lgkmcnt(0)
	global_store_b64 v[5:6], v[2:3], off
	s_or_b32 exec_lo, exec_lo, s16
	s_and_saveexec_b32 s16, s21
	s_cbranch_execnz .LBB919_855
.LBB919_870:                            ;   in Loop: Header=BB919_688 Depth=2
	s_or_b32 exec_lo, exec_lo, s16
	s_and_saveexec_b32 s16, s22
	s_cbranch_execz .LBB919_856
.LBB919_871:                            ;   in Loop: Header=BB919_688 Depth=2
	v_lshlrev_b32_e32 v0, 2, v133
	v_add_nc_u32_e32 v2, v83, v85
	ds_load_b32 v0, v0
	ds_load_b64 v[2:3], v2 offset:14336
	s_waitcnt lgkmcnt(1)
	v_add_nc_u32_e32 v19, v0, v57
	s_delay_alu instid0(VALU_DEP_1) | instskip(NEXT) | instid1(VALU_DEP_1)
	v_lshlrev_b64 v[5:6], 3, v[19:20]
	v_add_co_u32 v5, vcc_lo, s52, v5
	s_delay_alu instid0(VALU_DEP_2)
	v_add_co_ci_u32_e32 v6, vcc_lo, s53, v6, vcc_lo
	s_waitcnt lgkmcnt(0)
	global_store_b64 v[5:6], v[2:3], off
	s_or_b32 exec_lo, exec_lo, s16
	s_and_saveexec_b32 s16, s23
	s_cbranch_execnz .LBB919_857
.LBB919_872:                            ;   in Loop: Header=BB919_688 Depth=2
	s_or_b32 exec_lo, exec_lo, s16
	s_and_saveexec_b32 s16, s24
	s_cbranch_execz .LBB919_858
.LBB919_873:                            ;   in Loop: Header=BB919_688 Depth=2
	v_lshlrev_b32_e32 v0, 2, v131
	v_add_nc_u32_e32 v2, v83, v85
	ds_load_b32 v0, v0
	ds_load_b64 v[2:3], v2 offset:18432
	s_waitcnt lgkmcnt(1)
	v_add_nc_u32_e32 v19, v0, v59
	s_delay_alu instid0(VALU_DEP_1) | instskip(NEXT) | instid1(VALU_DEP_1)
	v_lshlrev_b64 v[5:6], 3, v[19:20]
	v_add_co_u32 v5, vcc_lo, s52, v5
	s_delay_alu instid0(VALU_DEP_2)
	v_add_co_ci_u32_e32 v6, vcc_lo, s53, v6, vcc_lo
	s_waitcnt lgkmcnt(0)
	global_store_b64 v[5:6], v[2:3], off
	s_or_b32 exec_lo, exec_lo, s16
	s_and_saveexec_b32 s16, s25
	s_cbranch_execnz .LBB919_859
.LBB919_874:                            ;   in Loop: Header=BB919_688 Depth=2
	s_or_b32 exec_lo, exec_lo, s16
	s_and_saveexec_b32 s16, s27
	s_cbranch_execz .LBB919_860
.LBB919_875:                            ;   in Loop: Header=BB919_688 Depth=2
	v_lshlrev_b32_e32 v0, 2, v129
	v_add_nc_u32_e32 v2, v83, v85
	ds_load_b32 v0, v0
	ds_load_b64 v[2:3], v2 offset:22528
	s_waitcnt lgkmcnt(1)
	v_add_nc_u32_e32 v19, v0, v61
	s_delay_alu instid0(VALU_DEP_1) | instskip(NEXT) | instid1(VALU_DEP_1)
	v_lshlrev_b64 v[5:6], 3, v[19:20]
	v_add_co_u32 v5, vcc_lo, s52, v5
	s_delay_alu instid0(VALU_DEP_2)
	v_add_co_ci_u32_e32 v6, vcc_lo, s53, v6, vcc_lo
	s_waitcnt lgkmcnt(0)
	global_store_b64 v[5:6], v[2:3], off
	s_or_b32 exec_lo, exec_lo, s16
	s_and_saveexec_b32 s16, s28
	s_cbranch_execnz .LBB919_861
.LBB919_876:                            ;   in Loop: Header=BB919_688 Depth=2
	s_or_b32 exec_lo, exec_lo, s16
	s_and_saveexec_b32 s16, s29
	s_cbranch_execz .LBB919_862
.LBB919_877:                            ;   in Loop: Header=BB919_688 Depth=2
	v_lshlrev_b32_e32 v0, 2, v127
	v_add_nc_u32_e32 v2, v83, v85
	ds_load_b32 v0, v0
	ds_load_b64 v[2:3], v2 offset:26624
	s_waitcnt lgkmcnt(1)
	v_add_nc_u32_e32 v19, v0, v63
	s_delay_alu instid0(VALU_DEP_1) | instskip(NEXT) | instid1(VALU_DEP_1)
	v_lshlrev_b64 v[5:6], 3, v[19:20]
	v_add_co_u32 v5, vcc_lo, s52, v5
	s_delay_alu instid0(VALU_DEP_2)
	v_add_co_ci_u32_e32 v6, vcc_lo, s53, v6, vcc_lo
	s_waitcnt lgkmcnt(0)
	global_store_b64 v[5:6], v[2:3], off
	s_or_b32 exec_lo, exec_lo, s16
	s_and_saveexec_b32 s16, s30
	s_cbranch_execnz .LBB919_863
.LBB919_878:                            ;   in Loop: Header=BB919_688 Depth=2
	s_or_b32 exec_lo, exec_lo, s16
	s_and_saveexec_b32 s16, s31
	s_cbranch_execz .LBB919_880
.LBB919_879:                            ;   in Loop: Header=BB919_688 Depth=2
	v_lshlrev_b32_e32 v0, 2, v125
	v_add_nc_u32_e32 v2, v83, v85
	ds_load_b32 v0, v0
	ds_load_b64 v[2:3], v2 offset:30720
	s_waitcnt lgkmcnt(1)
	v_add_nc_u32_e32 v19, v0, v66
	s_delay_alu instid0(VALU_DEP_1) | instskip(NEXT) | instid1(VALU_DEP_1)
	v_lshlrev_b64 v[5:6], 3, v[19:20]
	v_add_co_u32 v5, vcc_lo, s52, v5
	s_delay_alu instid0(VALU_DEP_2)
	v_add_co_ci_u32_e32 v6, vcc_lo, s53, v6, vcc_lo
	s_waitcnt lgkmcnt(0)
	global_store_b64 v[5:6], v[2:3], off
.LBB919_880:                            ;   in Loop: Header=BB919_688 Depth=2
	s_or_b32 exec_lo, exec_lo, s16
	s_waitcnt_vscnt null, 0x0
	s_barrier
	buffer_gl0_inv
	s_and_saveexec_b32 s16, s2
	s_cbranch_execz .LBB919_687
; %bb.881:                              ;   in Loop: Header=BB919_688 Depth=2
	ds_load_b32 v0, v47
	s_waitcnt lgkmcnt(0)
	v_add_nc_u32_e32 v0, v0, v4
	ds_store_b32 v47, v0
	s_branch .LBB919_687
.LBB919_882:                            ;   in Loop: Header=BB919_688 Depth=2
	s_or_b32 exec_lo, exec_lo, s16
	s_delay_alu instid0(SALU_CYCLE_1)
	s_mov_b32 s16, exec_lo
	v_cmpx_gt_u32_e64 s56, v105
	s_cbranch_execz .LBB919_693
.LBB919_883:                            ;   in Loop: Header=BB919_688 Depth=2
	global_load_d16_hi_b16 v2, v[45:46], off offset:64
	s_or_b32 exec_lo, exec_lo, s16
	s_delay_alu instid0(SALU_CYCLE_1)
	s_mov_b32 s16, exec_lo
	v_cmpx_gt_u32_e64 s56, v106
	s_cbranch_execnz .LBB919_694
.LBB919_884:                            ;   in Loop: Header=BB919_688 Depth=2
	s_or_b32 exec_lo, exec_lo, s16
	s_delay_alu instid0(SALU_CYCLE_1)
	s_mov_b32 s16, exec_lo
	v_cmpx_gt_u32_e64 s56, v107
	s_cbranch_execz .LBB919_695
.LBB919_885:                            ;   in Loop: Header=BB919_688 Depth=2
	global_load_d16_hi_b16 v3, v[45:46], off offset:192
	s_or_b32 exec_lo, exec_lo, s16
	s_delay_alu instid0(SALU_CYCLE_1)
	s_mov_b32 s16, exec_lo
	v_cmpx_gt_u32_e64 s56, v108
	s_cbranch_execnz .LBB919_696
.LBB919_886:                            ;   in Loop: Header=BB919_688 Depth=2
	s_or_b32 exec_lo, exec_lo, s16
	s_delay_alu instid0(SALU_CYCLE_1)
	s_mov_b32 s16, exec_lo
	v_cmpx_gt_u32_e64 s56, v109
	s_cbranch_execz .LBB919_697
.LBB919_887:                            ;   in Loop: Header=BB919_688 Depth=2
	global_load_d16_hi_b16 v4, v[45:46], off offset:320
	s_or_b32 exec_lo, exec_lo, s16
	s_delay_alu instid0(SALU_CYCLE_1)
	s_mov_b32 s16, exec_lo
	v_cmpx_gt_u32_e64 s56, v110
	s_cbranch_execnz .LBB919_698
.LBB919_888:                            ;   in Loop: Header=BB919_688 Depth=2
	s_or_b32 exec_lo, exec_lo, s16
	s_delay_alu instid0(SALU_CYCLE_1)
	s_mov_b32 s16, exec_lo
	v_cmpx_gt_u32_e64 s56, v111
	s_cbranch_execz .LBB919_699
.LBB919_889:                            ;   in Loop: Header=BB919_688 Depth=2
	global_load_d16_hi_b16 v5, v[45:46], off offset:448
	s_or_b32 exec_lo, exec_lo, s16
	s_delay_alu instid0(SALU_CYCLE_1)
	s_mov_b32 s16, exec_lo
	v_cmpx_gt_u32_e64 s56, v112
	s_cbranch_execnz .LBB919_700
.LBB919_890:                            ;   in Loop: Header=BB919_688 Depth=2
	s_or_b32 exec_lo, exec_lo, s16
	s_delay_alu instid0(SALU_CYCLE_1)
	s_mov_b32 s16, exec_lo
	v_cmpx_gt_u32_e64 s56, v113
	s_cbranch_execz .LBB919_701
.LBB919_891:                            ;   in Loop: Header=BB919_688 Depth=2
	global_load_d16_hi_b16 v6, v[45:46], off offset:576
	s_or_b32 exec_lo, exec_lo, s16
	s_delay_alu instid0(SALU_CYCLE_1)
	s_mov_b32 s16, exec_lo
	v_cmpx_gt_u32_e64 s56, v114
	s_cbranch_execnz .LBB919_702
.LBB919_892:                            ;   in Loop: Header=BB919_688 Depth=2
	s_or_b32 exec_lo, exec_lo, s16
	s_delay_alu instid0(SALU_CYCLE_1)
	s_mov_b32 s16, exec_lo
	v_cmpx_gt_u32_e64 s56, v115
	s_cbranch_execz .LBB919_703
.LBB919_893:                            ;   in Loop: Header=BB919_688 Depth=2
	global_load_d16_hi_b16 v7, v[45:46], off offset:704
	s_or_b32 exec_lo, exec_lo, s16
	s_delay_alu instid0(SALU_CYCLE_1)
	s_mov_b32 s16, exec_lo
	v_cmpx_gt_u32_e64 s56, v116
	s_cbranch_execnz .LBB919_704
.LBB919_894:                            ;   in Loop: Header=BB919_688 Depth=2
	s_or_b32 exec_lo, exec_lo, s16
	s_delay_alu instid0(SALU_CYCLE_1)
	s_mov_b32 s16, exec_lo
	v_cmpx_gt_u32_e64 s56, v117
	s_cbranch_execz .LBB919_705
.LBB919_895:                            ;   in Loop: Header=BB919_688 Depth=2
	global_load_d16_hi_b16 v8, v[45:46], off offset:832
	s_or_b32 exec_lo, exec_lo, s16
	s_delay_alu instid0(SALU_CYCLE_1)
	s_mov_b32 s16, exec_lo
	v_cmpx_gt_u32_e64 s56, v118
	s_cbranch_execnz .LBB919_706
	s_branch .LBB919_707
.LBB919_896:                            ;   in Loop: Header=BB919_12 Depth=1
	s_waitcnt lgkmcnt(0)
	s_mov_b32 s1, 0
	s_barrier
.LBB919_897:                            ;   in Loop: Header=BB919_12 Depth=1
	s_and_b32 vcc_lo, exec_lo, s1
	s_cbranch_vccz .LBB919_11
; %bb.898:                              ;   in Loop: Header=BB919_12 Depth=1
	s_mov_b32 s1, s64
	s_mov_b32 s34, s62
	s_barrier
	buffer_gl0_inv
                                        ; implicit-def: $vgpr2_vgpr3_vgpr4_vgpr5_vgpr6_vgpr7_vgpr8_vgpr9
	s_branch .LBB919_900
.LBB919_899:                            ;   in Loop: Header=BB919_900 Depth=2
	s_or_b32 exec_lo, exec_lo, s8
	s_addk_i32 s1, 0xf000
	s_cmp_ge_u32 s7, s63
	s_mov_b32 s34, s7
	s_cbranch_scc1 .LBB919_970
.LBB919_900:                            ;   Parent Loop BB919_12 Depth=1
                                        ; =>  This Inner Loop Header: Depth=2
	s_add_i32 s7, s34, 0x1000
	s_delay_alu instid0(SALU_CYCLE_1)
	s_cmp_gt_u32 s7, s63
	s_cbranch_scc1 .LBB919_903
; %bb.901:                              ;   in Loop: Header=BB919_900 Depth=2
	s_mov_b32 s9, 0
	s_mov_b32 s8, s34
	v_mov_b32_e32 v17, v9
	s_lshl_b64 s[10:11], s[8:9], 1
	s_delay_alu instid0(SALU_CYCLE_1) | instskip(SKIP_2) | instid1(VALU_DEP_2)
	v_add_co_u32 v21, vcc_lo, v92, s10
	v_add_co_ci_u32_e32 v22, vcc_lo, s11, v93, vcc_lo
	s_movk_i32 s11, 0x1000
	v_add_co_u32 v23, vcc_lo, 0x1000, v21
	s_delay_alu instid0(VALU_DEP_2)
	v_add_co_ci_u32_e32 v24, vcc_lo, 0, v22, vcc_lo
	s_clause 0x6
	global_load_u16 v10, v[21:22], off
	global_load_u16 v11, v[21:22], off offset:1024
	global_load_u16 v12, v[21:22], off offset:2048
	;; [unrolled: 1-line block ×3, first 2 shown]
	global_load_u16 v14, v[23:24], off
	global_load_u16 v15, v[23:24], off offset:1024
	global_load_u16 v16, v[23:24], off offset:2048
	s_mov_b32 s10, -1
	s_clause 0x7
	global_load_d16_b16 v17, v[23:24], off offset:3072
	global_load_d16_hi_b16 v10, v[21:22], off offset:512
	global_load_d16_hi_b16 v11, v[21:22], off offset:1536
	;; [unrolled: 1-line block ×7, first 2 shown]
	v_add_co_u32 v21, vcc_lo, 0x1e00, v21
	v_add_co_ci_u32_e32 v22, vcc_lo, 0, v22, vcc_lo
	s_cbranch_execz .LBB919_904
; %bb.902:                              ;   in Loop: Header=BB919_900 Depth=2
                                        ; implicit-def: $vgpr2_vgpr3_vgpr4_vgpr5_vgpr6_vgpr7_vgpr8_vgpr9
	v_mov_b32_e32 v0, s1
	s_and_saveexec_b32 s8, s10
	s_cbranch_execnz .LBB919_923
	s_branch .LBB919_924
.LBB919_903:                            ;   in Loop: Header=BB919_900 Depth=2
	s_mov_b32 s10, 0
                                        ; implicit-def: $sgpr11
                                        ; implicit-def: $vgpr10_vgpr11_vgpr12_vgpr13_vgpr14_vgpr15_vgpr16_vgpr17
                                        ; implicit-def: $vgpr21_vgpr22
.LBB919_904:                            ;   in Loop: Header=BB919_900 Depth=2
	s_lshl_b64 s[8:9], s[34:35], 1
	s_mov_b32 s11, exec_lo
	s_add_u32 s8, s36, s8
	s_addc_u32 s9, s37, s9
	v_cmpx_gt_u32_e64 s1, v18
	s_cbranch_execz .LBB919_956
; %bb.905:                              ;   in Loop: Header=BB919_900 Depth=2
	global_load_d16_b16 v2, v99, s[8:9]
	s_or_b32 exec_lo, exec_lo, s11
	s_delay_alu instid0(SALU_CYCLE_1)
	s_mov_b32 s11, exec_lo
	v_cmpx_gt_u32_e64 s1, v48
	s_cbranch_execnz .LBB919_957
.LBB919_906:                            ;   in Loop: Header=BB919_900 Depth=2
	s_or_b32 exec_lo, exec_lo, s11
	s_delay_alu instid0(SALU_CYCLE_1)
	s_mov_b32 s11, exec_lo
	v_cmpx_gt_u32_e64 s1, v49
	s_cbranch_execz .LBB919_958
.LBB919_907:                            ;   in Loop: Header=BB919_900 Depth=2
	global_load_d16_b16 v3, v99, s[8:9] offset:1024
	s_or_b32 exec_lo, exec_lo, s11
	s_delay_alu instid0(SALU_CYCLE_1)
	s_mov_b32 s11, exec_lo
	v_cmpx_gt_u32_e64 s1, v50
	s_cbranch_execnz .LBB919_959
.LBB919_908:                            ;   in Loop: Header=BB919_900 Depth=2
	s_or_b32 exec_lo, exec_lo, s11
	s_delay_alu instid0(SALU_CYCLE_1)
	s_mov_b32 s11, exec_lo
	v_cmpx_gt_u32_e64 s1, v54
	s_cbranch_execz .LBB919_960
.LBB919_909:                            ;   in Loop: Header=BB919_900 Depth=2
	global_load_d16_b16 v4, v99, s[8:9] offset:2048
	s_or_b32 exec_lo, exec_lo, s11
	s_delay_alu instid0(SALU_CYCLE_1)
	s_mov_b32 s11, exec_lo
	v_cmpx_gt_u32_e64 s1, v55
	s_cbranch_execnz .LBB919_961
.LBB919_910:                            ;   in Loop: Header=BB919_900 Depth=2
	s_or_b32 exec_lo, exec_lo, s11
	s_delay_alu instid0(SALU_CYCLE_1)
	s_mov_b32 s11, exec_lo
	v_cmpx_gt_u32_e64 s1, v56
	s_cbranch_execz .LBB919_962
.LBB919_911:                            ;   in Loop: Header=BB919_900 Depth=2
	global_load_d16_b16 v5, v99, s[8:9] offset:3072
	s_or_b32 exec_lo, exec_lo, s11
	s_delay_alu instid0(SALU_CYCLE_1)
	s_mov_b32 s11, exec_lo
	v_cmpx_gt_u32_e64 s1, v57
	s_cbranch_execnz .LBB919_963
.LBB919_912:                            ;   in Loop: Header=BB919_900 Depth=2
	s_or_b32 exec_lo, exec_lo, s11
	s_delay_alu instid0(SALU_CYCLE_1)
	s_mov_b32 s11, exec_lo
	v_cmpx_gt_u32_e64 s1, v58
	s_cbranch_execz .LBB919_964
.LBB919_913:                            ;   in Loop: Header=BB919_900 Depth=2
	v_lshlrev_b32_e32 v0, 1, v58
	global_load_d16_b16 v6, v0, s[8:9]
	s_or_b32 exec_lo, exec_lo, s11
	s_delay_alu instid0(SALU_CYCLE_1)
	s_mov_b32 s11, exec_lo
	v_cmpx_gt_u32_e64 s1, v59
	s_cbranch_execnz .LBB919_965
.LBB919_914:                            ;   in Loop: Header=BB919_900 Depth=2
	s_or_b32 exec_lo, exec_lo, s11
	s_delay_alu instid0(SALU_CYCLE_1)
	s_mov_b32 s11, exec_lo
	v_cmpx_gt_u32_e64 s1, v60
	s_cbranch_execz .LBB919_966
.LBB919_915:                            ;   in Loop: Header=BB919_900 Depth=2
	v_lshlrev_b32_e32 v0, 1, v60
	global_load_d16_b16 v7, v0, s[8:9]
	s_or_b32 exec_lo, exec_lo, s11
	s_delay_alu instid0(SALU_CYCLE_1)
	s_mov_b32 s11, exec_lo
	v_cmpx_gt_u32_e64 s1, v61
	s_cbranch_execnz .LBB919_967
.LBB919_916:                            ;   in Loop: Header=BB919_900 Depth=2
	s_or_b32 exec_lo, exec_lo, s11
	s_delay_alu instid0(SALU_CYCLE_1)
	s_mov_b32 s11, exec_lo
	v_cmpx_gt_u32_e64 s1, v62
	s_cbranch_execz .LBB919_968
.LBB919_917:                            ;   in Loop: Header=BB919_900 Depth=2
	v_lshlrev_b32_e32 v0, 1, v62
	global_load_d16_b16 v8, v0, s[8:9]
	s_or_b32 exec_lo, exec_lo, s11
	s_delay_alu instid0(SALU_CYCLE_1)
	s_mov_b32 s11, exec_lo
	v_cmpx_gt_u32_e64 s1, v63
	s_cbranch_execnz .LBB919_969
.LBB919_918:                            ;   in Loop: Header=BB919_900 Depth=2
	s_or_b32 exec_lo, exec_lo, s11
	s_delay_alu instid0(SALU_CYCLE_1)
	s_mov_b32 s11, exec_lo
	v_cmpx_gt_u32_e64 s1, v64
	s_cbranch_execz .LBB919_920
.LBB919_919:                            ;   in Loop: Header=BB919_900 Depth=2
	v_lshlrev_b32_e32 v0, 1, v64
	global_load_d16_b16 v9, v0, s[8:9]
.LBB919_920:                            ;   in Loop: Header=BB919_900 Depth=2
	s_or_b32 exec_lo, exec_lo, s11
	s_delay_alu instid0(SALU_CYCLE_1)
	s_mov_b32 s12, exec_lo
                                        ; implicit-def: $sgpr11
                                        ; implicit-def: $vgpr21_vgpr22
	v_cmpx_gt_u32_e64 s1, v66
; %bb.921:                              ;   in Loop: Header=BB919_900 Depth=2
	v_lshlrev_b32_e32 v0, 1, v66
	s_sub_i32 s11, s63, s34
	s_or_b32 s10, s10, exec_lo
	s_delay_alu instid0(VALU_DEP_1) | instskip(NEXT) | instid1(VALU_DEP_1)
	v_add_co_u32 v21, s8, s8, v0
	v_add_co_ci_u32_e64 v22, null, s9, 0, s8
; %bb.922:                              ;   in Loop: Header=BB919_900 Depth=2
	s_or_b32 exec_lo, exec_lo, s12
	s_waitcnt vmcnt(0)
	v_dual_mov_b32 v17, v9 :: v_dual_mov_b32 v16, v8
	v_dual_mov_b32 v15, v7 :: v_dual_mov_b32 v14, v6
	;; [unrolled: 1-line block ×4, first 2 shown]
	v_mov_b32_e32 v0, s1
	s_and_saveexec_b32 s8, s10
	s_cbranch_execz .LBB919_924
.LBB919_923:                            ;   in Loop: Header=BB919_900 Depth=2
	global_load_d16_hi_b16 v17, v[21:22], off
	s_waitcnt vmcnt(0)
	v_dual_mov_b32 v2, v10 :: v_dual_mov_b32 v5, v13
	v_dual_mov_b32 v0, s11 :: v_dual_mov_b32 v3, v11
	;; [unrolled: 1-line block ×3, first 2 shown]
	v_mov_b32_e32 v6, v14
	v_dual_mov_b32 v8, v16 :: v_dual_mov_b32 v9, v17
.LBB919_924:                            ;   in Loop: Header=BB919_900 Depth=2
	s_or_b32 exec_lo, exec_lo, s8
	s_waitcnt vmcnt(6)
	v_lshlrev_b32_e32 v10, 2, v51
	s_mov_b32 s8, exec_lo
	v_cmpx_lt_u32_e64 v18, v0
	s_cbranch_execz .LBB919_940
; %bb.925:                              ;   in Loop: Header=BB919_900 Depth=2
	s_waitcnt vmcnt(5)
	v_xor_b32_e32 v11, 0x7fff, v2
	s_delay_alu instid0(VALU_DEP_1) | instskip(NEXT) | instid1(VALU_DEP_1)
	v_and_b32_e32 v11, 0xffff, v11
	v_lshrrev_b32_e32 v11, s57, v11
	s_delay_alu instid0(VALU_DEP_1) | instskip(NEXT) | instid1(VALU_DEP_1)
	v_and_b32_e32 v11, s43, v11
	v_lshl_or_b32 v11, v11, 4, v10
	ds_add_u32 v11, v98
	s_or_b32 exec_lo, exec_lo, s8
	s_delay_alu instid0(SALU_CYCLE_1)
	s_mov_b32 s8, exec_lo
	v_cmpx_lt_u32_e64 v48, v0
	s_cbranch_execnz .LBB919_941
.LBB919_926:                            ;   in Loop: Header=BB919_900 Depth=2
	s_or_b32 exec_lo, exec_lo, s8
	s_delay_alu instid0(SALU_CYCLE_1)
	s_mov_b32 s8, exec_lo
	v_cmpx_lt_u32_e64 v49, v0
	s_cbranch_execz .LBB919_942
.LBB919_927:                            ;   in Loop: Header=BB919_900 Depth=2
	s_waitcnt vmcnt(5)
	v_xor_b32_e32 v11, 0x7fff, v3
	s_delay_alu instid0(VALU_DEP_1) | instskip(NEXT) | instid1(VALU_DEP_1)
	v_and_b32_e32 v11, 0xffff, v11
	v_lshrrev_b32_e32 v11, s57, v11
	s_delay_alu instid0(VALU_DEP_1) | instskip(NEXT) | instid1(VALU_DEP_1)
	v_and_b32_e32 v11, s43, v11
	v_lshl_or_b32 v11, v11, 4, v10
	ds_add_u32 v11, v98
	s_or_b32 exec_lo, exec_lo, s8
	s_delay_alu instid0(SALU_CYCLE_1)
	s_mov_b32 s8, exec_lo
	v_cmpx_lt_u32_e64 v50, v0
	s_cbranch_execnz .LBB919_943
.LBB919_928:                            ;   in Loop: Header=BB919_900 Depth=2
	s_or_b32 exec_lo, exec_lo, s8
	s_delay_alu instid0(SALU_CYCLE_1)
	s_mov_b32 s8, exec_lo
	v_cmpx_lt_u32_e64 v54, v0
	s_cbranch_execz .LBB919_944
.LBB919_929:                            ;   in Loop: Header=BB919_900 Depth=2
	s_waitcnt vmcnt(5)
	v_xor_b32_e32 v11, 0x7fff, v4
	s_delay_alu instid0(VALU_DEP_1) | instskip(NEXT) | instid1(VALU_DEP_1)
	v_and_b32_e32 v11, 0xffff, v11
	v_lshrrev_b32_e32 v11, s57, v11
	s_delay_alu instid0(VALU_DEP_1) | instskip(NEXT) | instid1(VALU_DEP_1)
	v_and_b32_e32 v11, s43, v11
	v_lshl_or_b32 v11, v11, 4, v10
	ds_add_u32 v11, v98
	s_or_b32 exec_lo, exec_lo, s8
	s_delay_alu instid0(SALU_CYCLE_1)
	s_mov_b32 s8, exec_lo
	v_cmpx_lt_u32_e64 v55, v0
	s_cbranch_execnz .LBB919_945
.LBB919_930:                            ;   in Loop: Header=BB919_900 Depth=2
	s_or_b32 exec_lo, exec_lo, s8
	s_delay_alu instid0(SALU_CYCLE_1)
	s_mov_b32 s8, exec_lo
	v_cmpx_lt_u32_e64 v56, v0
	s_cbranch_execz .LBB919_946
.LBB919_931:                            ;   in Loop: Header=BB919_900 Depth=2
	s_waitcnt vmcnt(5)
	v_xor_b32_e32 v11, 0x7fff, v5
	s_delay_alu instid0(VALU_DEP_1) | instskip(NEXT) | instid1(VALU_DEP_1)
	v_and_b32_e32 v11, 0xffff, v11
	v_lshrrev_b32_e32 v11, s57, v11
	s_delay_alu instid0(VALU_DEP_1) | instskip(NEXT) | instid1(VALU_DEP_1)
	v_and_b32_e32 v11, s43, v11
	v_lshl_or_b32 v11, v11, 4, v10
	ds_add_u32 v11, v98
	s_or_b32 exec_lo, exec_lo, s8
	s_delay_alu instid0(SALU_CYCLE_1)
	s_mov_b32 s8, exec_lo
	v_cmpx_lt_u32_e64 v57, v0
	s_cbranch_execnz .LBB919_947
.LBB919_932:                            ;   in Loop: Header=BB919_900 Depth=2
	s_or_b32 exec_lo, exec_lo, s8
	s_delay_alu instid0(SALU_CYCLE_1)
	s_mov_b32 s8, exec_lo
	v_cmpx_lt_u32_e64 v58, v0
	s_cbranch_execz .LBB919_948
.LBB919_933:                            ;   in Loop: Header=BB919_900 Depth=2
	s_waitcnt vmcnt(5)
	v_xor_b32_e32 v11, 0x7fff, v6
	s_delay_alu instid0(VALU_DEP_1) | instskip(NEXT) | instid1(VALU_DEP_1)
	v_and_b32_e32 v11, 0xffff, v11
	v_lshrrev_b32_e32 v11, s57, v11
	s_delay_alu instid0(VALU_DEP_1) | instskip(NEXT) | instid1(VALU_DEP_1)
	v_and_b32_e32 v11, s43, v11
	v_lshl_or_b32 v11, v11, 4, v10
	ds_add_u32 v11, v98
	s_or_b32 exec_lo, exec_lo, s8
	s_delay_alu instid0(SALU_CYCLE_1)
	s_mov_b32 s8, exec_lo
	v_cmpx_lt_u32_e64 v59, v0
	s_cbranch_execnz .LBB919_949
.LBB919_934:                            ;   in Loop: Header=BB919_900 Depth=2
	s_or_b32 exec_lo, exec_lo, s8
	s_delay_alu instid0(SALU_CYCLE_1)
	s_mov_b32 s8, exec_lo
	v_cmpx_lt_u32_e64 v60, v0
	s_cbranch_execz .LBB919_950
.LBB919_935:                            ;   in Loop: Header=BB919_900 Depth=2
	s_waitcnt vmcnt(5)
	v_xor_b32_e32 v11, 0x7fff, v7
	s_delay_alu instid0(VALU_DEP_1) | instskip(NEXT) | instid1(VALU_DEP_1)
	v_and_b32_e32 v11, 0xffff, v11
	v_lshrrev_b32_e32 v11, s57, v11
	s_delay_alu instid0(VALU_DEP_1) | instskip(NEXT) | instid1(VALU_DEP_1)
	v_and_b32_e32 v11, s43, v11
	v_lshl_or_b32 v11, v11, 4, v10
	ds_add_u32 v11, v98
	s_or_b32 exec_lo, exec_lo, s8
	s_delay_alu instid0(SALU_CYCLE_1)
	s_mov_b32 s8, exec_lo
	v_cmpx_lt_u32_e64 v61, v0
	s_cbranch_execnz .LBB919_951
.LBB919_936:                            ;   in Loop: Header=BB919_900 Depth=2
	s_or_b32 exec_lo, exec_lo, s8
	s_delay_alu instid0(SALU_CYCLE_1)
	s_mov_b32 s8, exec_lo
	v_cmpx_lt_u32_e64 v62, v0
	s_cbranch_execz .LBB919_952
.LBB919_937:                            ;   in Loop: Header=BB919_900 Depth=2
	s_waitcnt vmcnt(5)
	v_xor_b32_e32 v11, 0x7fff, v8
	s_delay_alu instid0(VALU_DEP_1) | instskip(NEXT) | instid1(VALU_DEP_1)
	v_and_b32_e32 v11, 0xffff, v11
	v_lshrrev_b32_e32 v11, s57, v11
	s_delay_alu instid0(VALU_DEP_1) | instskip(NEXT) | instid1(VALU_DEP_1)
	v_and_b32_e32 v11, s43, v11
	v_lshl_or_b32 v11, v11, 4, v10
	ds_add_u32 v11, v98
	s_or_b32 exec_lo, exec_lo, s8
	s_delay_alu instid0(SALU_CYCLE_1)
	s_mov_b32 s8, exec_lo
	v_cmpx_lt_u32_e64 v63, v0
	s_cbranch_execnz .LBB919_953
.LBB919_938:                            ;   in Loop: Header=BB919_900 Depth=2
	s_or_b32 exec_lo, exec_lo, s8
	s_delay_alu instid0(SALU_CYCLE_1)
	s_mov_b32 s8, exec_lo
	v_cmpx_lt_u32_e64 v64, v0
	s_cbranch_execz .LBB919_954
.LBB919_939:                            ;   in Loop: Header=BB919_900 Depth=2
	s_waitcnt vmcnt(5)
	v_xor_b32_e32 v11, 0x7fff, v9
	s_delay_alu instid0(VALU_DEP_1) | instskip(NEXT) | instid1(VALU_DEP_1)
	v_and_b32_e32 v11, 0xffff, v11
	v_lshrrev_b32_e32 v11, s57, v11
	s_delay_alu instid0(VALU_DEP_1) | instskip(NEXT) | instid1(VALU_DEP_1)
	v_and_b32_e32 v11, s43, v11
	v_lshl_or_b32 v11, v11, 4, v10
	ds_add_u32 v11, v98
	s_or_b32 exec_lo, exec_lo, s8
	s_delay_alu instid0(SALU_CYCLE_1)
	s_mov_b32 s8, exec_lo
	v_cmpx_lt_u32_e64 v66, v0
	s_cbranch_execz .LBB919_899
	s_branch .LBB919_955
.LBB919_940:                            ;   in Loop: Header=BB919_900 Depth=2
	s_or_b32 exec_lo, exec_lo, s8
	s_delay_alu instid0(SALU_CYCLE_1)
	s_mov_b32 s8, exec_lo
	v_cmpx_lt_u32_e64 v48, v0
	s_cbranch_execz .LBB919_926
.LBB919_941:                            ;   in Loop: Header=BB919_900 Depth=2
	s_waitcnt vmcnt(5)
	v_lshrrev_b32_e32 v11, 16, v2
	s_delay_alu instid0(VALU_DEP_1) | instskip(NEXT) | instid1(VALU_DEP_1)
	v_xor_b32_e32 v11, 0x7fff, v11
	v_and_b32_e32 v11, 0xffff, v11
	s_delay_alu instid0(VALU_DEP_1) | instskip(NEXT) | instid1(VALU_DEP_1)
	v_lshrrev_b32_e32 v11, s57, v11
	v_and_b32_e32 v11, s43, v11
	s_delay_alu instid0(VALU_DEP_1) | instskip(SKIP_2) | instid1(SALU_CYCLE_1)
	v_lshl_or_b32 v11, v11, 4, v10
	ds_add_u32 v11, v98
	s_or_b32 exec_lo, exec_lo, s8
	s_mov_b32 s8, exec_lo
	v_cmpx_lt_u32_e64 v49, v0
	s_cbranch_execnz .LBB919_927
.LBB919_942:                            ;   in Loop: Header=BB919_900 Depth=2
	s_or_b32 exec_lo, exec_lo, s8
	s_delay_alu instid0(SALU_CYCLE_1)
	s_mov_b32 s8, exec_lo
	v_cmpx_lt_u32_e64 v50, v0
	s_cbranch_execz .LBB919_928
.LBB919_943:                            ;   in Loop: Header=BB919_900 Depth=2
	s_waitcnt vmcnt(5)
	v_lshrrev_b32_e32 v11, 16, v3
	s_delay_alu instid0(VALU_DEP_1) | instskip(NEXT) | instid1(VALU_DEP_1)
	v_xor_b32_e32 v11, 0x7fff, v11
	v_and_b32_e32 v11, 0xffff, v11
	s_delay_alu instid0(VALU_DEP_1) | instskip(NEXT) | instid1(VALU_DEP_1)
	v_lshrrev_b32_e32 v11, s57, v11
	v_and_b32_e32 v11, s43, v11
	s_delay_alu instid0(VALU_DEP_1) | instskip(SKIP_2) | instid1(SALU_CYCLE_1)
	v_lshl_or_b32 v11, v11, 4, v10
	ds_add_u32 v11, v98
	s_or_b32 exec_lo, exec_lo, s8
	s_mov_b32 s8, exec_lo
	v_cmpx_lt_u32_e64 v54, v0
	s_cbranch_execnz .LBB919_929
.LBB919_944:                            ;   in Loop: Header=BB919_900 Depth=2
	s_or_b32 exec_lo, exec_lo, s8
	s_delay_alu instid0(SALU_CYCLE_1)
	s_mov_b32 s8, exec_lo
	v_cmpx_lt_u32_e64 v55, v0
	s_cbranch_execz .LBB919_930
.LBB919_945:                            ;   in Loop: Header=BB919_900 Depth=2
	s_waitcnt vmcnt(5)
	v_lshrrev_b32_e32 v11, 16, v4
	s_delay_alu instid0(VALU_DEP_1) | instskip(NEXT) | instid1(VALU_DEP_1)
	v_xor_b32_e32 v11, 0x7fff, v11
	v_and_b32_e32 v11, 0xffff, v11
	s_delay_alu instid0(VALU_DEP_1) | instskip(NEXT) | instid1(VALU_DEP_1)
	v_lshrrev_b32_e32 v11, s57, v11
	v_and_b32_e32 v11, s43, v11
	s_delay_alu instid0(VALU_DEP_1) | instskip(SKIP_2) | instid1(SALU_CYCLE_1)
	v_lshl_or_b32 v11, v11, 4, v10
	ds_add_u32 v11, v98
	s_or_b32 exec_lo, exec_lo, s8
	s_mov_b32 s8, exec_lo
	v_cmpx_lt_u32_e64 v56, v0
	s_cbranch_execnz .LBB919_931
.LBB919_946:                            ;   in Loop: Header=BB919_900 Depth=2
	s_or_b32 exec_lo, exec_lo, s8
	s_delay_alu instid0(SALU_CYCLE_1)
	s_mov_b32 s8, exec_lo
	v_cmpx_lt_u32_e64 v57, v0
	s_cbranch_execz .LBB919_932
.LBB919_947:                            ;   in Loop: Header=BB919_900 Depth=2
	s_waitcnt vmcnt(5)
	v_lshrrev_b32_e32 v11, 16, v5
	s_delay_alu instid0(VALU_DEP_1) | instskip(NEXT) | instid1(VALU_DEP_1)
	v_xor_b32_e32 v11, 0x7fff, v11
	v_and_b32_e32 v11, 0xffff, v11
	s_delay_alu instid0(VALU_DEP_1) | instskip(NEXT) | instid1(VALU_DEP_1)
	v_lshrrev_b32_e32 v11, s57, v11
	v_and_b32_e32 v11, s43, v11
	s_delay_alu instid0(VALU_DEP_1) | instskip(SKIP_2) | instid1(SALU_CYCLE_1)
	v_lshl_or_b32 v11, v11, 4, v10
	ds_add_u32 v11, v98
	s_or_b32 exec_lo, exec_lo, s8
	s_mov_b32 s8, exec_lo
	v_cmpx_lt_u32_e64 v58, v0
	s_cbranch_execnz .LBB919_933
.LBB919_948:                            ;   in Loop: Header=BB919_900 Depth=2
	s_or_b32 exec_lo, exec_lo, s8
	s_delay_alu instid0(SALU_CYCLE_1)
	s_mov_b32 s8, exec_lo
	v_cmpx_lt_u32_e64 v59, v0
	s_cbranch_execz .LBB919_934
.LBB919_949:                            ;   in Loop: Header=BB919_900 Depth=2
	s_waitcnt vmcnt(5)
	v_lshrrev_b32_e32 v11, 16, v6
	s_delay_alu instid0(VALU_DEP_1) | instskip(NEXT) | instid1(VALU_DEP_1)
	v_xor_b32_e32 v11, 0x7fff, v11
	v_and_b32_e32 v11, 0xffff, v11
	s_delay_alu instid0(VALU_DEP_1) | instskip(NEXT) | instid1(VALU_DEP_1)
	v_lshrrev_b32_e32 v11, s57, v11
	v_and_b32_e32 v11, s43, v11
	s_delay_alu instid0(VALU_DEP_1) | instskip(SKIP_2) | instid1(SALU_CYCLE_1)
	v_lshl_or_b32 v11, v11, 4, v10
	ds_add_u32 v11, v98
	s_or_b32 exec_lo, exec_lo, s8
	s_mov_b32 s8, exec_lo
	v_cmpx_lt_u32_e64 v60, v0
	s_cbranch_execnz .LBB919_935
.LBB919_950:                            ;   in Loop: Header=BB919_900 Depth=2
	s_or_b32 exec_lo, exec_lo, s8
	s_delay_alu instid0(SALU_CYCLE_1)
	s_mov_b32 s8, exec_lo
	v_cmpx_lt_u32_e64 v61, v0
	s_cbranch_execz .LBB919_936
.LBB919_951:                            ;   in Loop: Header=BB919_900 Depth=2
	s_waitcnt vmcnt(5)
	v_lshrrev_b32_e32 v11, 16, v7
	s_delay_alu instid0(VALU_DEP_1) | instskip(NEXT) | instid1(VALU_DEP_1)
	v_xor_b32_e32 v11, 0x7fff, v11
	v_and_b32_e32 v11, 0xffff, v11
	s_delay_alu instid0(VALU_DEP_1) | instskip(NEXT) | instid1(VALU_DEP_1)
	v_lshrrev_b32_e32 v11, s57, v11
	v_and_b32_e32 v11, s43, v11
	s_delay_alu instid0(VALU_DEP_1) | instskip(SKIP_2) | instid1(SALU_CYCLE_1)
	v_lshl_or_b32 v11, v11, 4, v10
	ds_add_u32 v11, v98
	s_or_b32 exec_lo, exec_lo, s8
	s_mov_b32 s8, exec_lo
	v_cmpx_lt_u32_e64 v62, v0
	s_cbranch_execnz .LBB919_937
.LBB919_952:                            ;   in Loop: Header=BB919_900 Depth=2
	s_or_b32 exec_lo, exec_lo, s8
	s_delay_alu instid0(SALU_CYCLE_1)
	s_mov_b32 s8, exec_lo
	v_cmpx_lt_u32_e64 v63, v0
	s_cbranch_execz .LBB919_938
.LBB919_953:                            ;   in Loop: Header=BB919_900 Depth=2
	s_waitcnt vmcnt(5)
	v_lshrrev_b32_e32 v11, 16, v8
	s_delay_alu instid0(VALU_DEP_1) | instskip(NEXT) | instid1(VALU_DEP_1)
	v_xor_b32_e32 v11, 0x7fff, v11
	v_and_b32_e32 v11, 0xffff, v11
	s_delay_alu instid0(VALU_DEP_1) | instskip(NEXT) | instid1(VALU_DEP_1)
	v_lshrrev_b32_e32 v11, s57, v11
	v_and_b32_e32 v11, s43, v11
	s_delay_alu instid0(VALU_DEP_1) | instskip(SKIP_2) | instid1(SALU_CYCLE_1)
	v_lshl_or_b32 v11, v11, 4, v10
	ds_add_u32 v11, v98
	s_or_b32 exec_lo, exec_lo, s8
	s_mov_b32 s8, exec_lo
	v_cmpx_lt_u32_e64 v64, v0
	s_cbranch_execnz .LBB919_939
.LBB919_954:                            ;   in Loop: Header=BB919_900 Depth=2
	s_or_b32 exec_lo, exec_lo, s8
	s_delay_alu instid0(SALU_CYCLE_1)
	s_mov_b32 s8, exec_lo
	v_cmpx_lt_u32_e64 v66, v0
	s_cbranch_execz .LBB919_899
.LBB919_955:                            ;   in Loop: Header=BB919_900 Depth=2
	v_lshrrev_b32_e32 v0, 16, v9
	s_delay_alu instid0(VALU_DEP_1) | instskip(NEXT) | instid1(VALU_DEP_1)
	v_xor_b32_e32 v0, 0x7fff, v0
	v_and_b32_e32 v0, 0xffff, v0
	s_delay_alu instid0(VALU_DEP_1) | instskip(NEXT) | instid1(VALU_DEP_1)
	v_lshrrev_b32_e32 v0, s57, v0
	v_and_b32_e32 v0, s43, v0
	s_delay_alu instid0(VALU_DEP_1)
	v_lshl_or_b32 v0, v0, 4, v10
	ds_add_u32 v0, v98
	s_branch .LBB919_899
.LBB919_956:                            ;   in Loop: Header=BB919_900 Depth=2
	s_or_b32 exec_lo, exec_lo, s11
	s_delay_alu instid0(SALU_CYCLE_1)
	s_mov_b32 s11, exec_lo
	v_cmpx_gt_u32_e64 s1, v48
	s_cbranch_execz .LBB919_906
.LBB919_957:                            ;   in Loop: Header=BB919_900 Depth=2
	global_load_d16_hi_b16 v2, v99, s[8:9] offset:512
	s_or_b32 exec_lo, exec_lo, s11
	s_delay_alu instid0(SALU_CYCLE_1)
	s_mov_b32 s11, exec_lo
	v_cmpx_gt_u32_e64 s1, v49
	s_cbranch_execnz .LBB919_907
.LBB919_958:                            ;   in Loop: Header=BB919_900 Depth=2
	s_or_b32 exec_lo, exec_lo, s11
	s_delay_alu instid0(SALU_CYCLE_1)
	s_mov_b32 s11, exec_lo
	v_cmpx_gt_u32_e64 s1, v50
	s_cbranch_execz .LBB919_908
.LBB919_959:                            ;   in Loop: Header=BB919_900 Depth=2
	global_load_d16_hi_b16 v3, v99, s[8:9] offset:1536
	s_or_b32 exec_lo, exec_lo, s11
	s_delay_alu instid0(SALU_CYCLE_1)
	s_mov_b32 s11, exec_lo
	v_cmpx_gt_u32_e64 s1, v54
	s_cbranch_execnz .LBB919_909
.LBB919_960:                            ;   in Loop: Header=BB919_900 Depth=2
	s_or_b32 exec_lo, exec_lo, s11
	s_delay_alu instid0(SALU_CYCLE_1)
	s_mov_b32 s11, exec_lo
	v_cmpx_gt_u32_e64 s1, v55
	s_cbranch_execz .LBB919_910
.LBB919_961:                            ;   in Loop: Header=BB919_900 Depth=2
	global_load_d16_hi_b16 v4, v99, s[8:9] offset:2560
	s_or_b32 exec_lo, exec_lo, s11
	s_delay_alu instid0(SALU_CYCLE_1)
	s_mov_b32 s11, exec_lo
	v_cmpx_gt_u32_e64 s1, v56
	s_cbranch_execnz .LBB919_911
.LBB919_962:                            ;   in Loop: Header=BB919_900 Depth=2
	s_or_b32 exec_lo, exec_lo, s11
	s_delay_alu instid0(SALU_CYCLE_1)
	s_mov_b32 s11, exec_lo
	v_cmpx_gt_u32_e64 s1, v57
	s_cbranch_execz .LBB919_912
.LBB919_963:                            ;   in Loop: Header=BB919_900 Depth=2
	global_load_d16_hi_b16 v5, v99, s[8:9] offset:3584
	s_or_b32 exec_lo, exec_lo, s11
	s_delay_alu instid0(SALU_CYCLE_1)
	s_mov_b32 s11, exec_lo
	v_cmpx_gt_u32_e64 s1, v58
	s_cbranch_execnz .LBB919_913
.LBB919_964:                            ;   in Loop: Header=BB919_900 Depth=2
	s_or_b32 exec_lo, exec_lo, s11
	s_delay_alu instid0(SALU_CYCLE_1)
	s_mov_b32 s11, exec_lo
	v_cmpx_gt_u32_e64 s1, v59
	s_cbranch_execz .LBB919_914
.LBB919_965:                            ;   in Loop: Header=BB919_900 Depth=2
	v_lshlrev_b32_e32 v0, 1, v59
	global_load_d16_hi_b16 v6, v0, s[8:9]
	s_or_b32 exec_lo, exec_lo, s11
	s_delay_alu instid0(SALU_CYCLE_1)
	s_mov_b32 s11, exec_lo
	v_cmpx_gt_u32_e64 s1, v60
	s_cbranch_execnz .LBB919_915
.LBB919_966:                            ;   in Loop: Header=BB919_900 Depth=2
	s_or_b32 exec_lo, exec_lo, s11
	s_delay_alu instid0(SALU_CYCLE_1)
	s_mov_b32 s11, exec_lo
	v_cmpx_gt_u32_e64 s1, v61
	s_cbranch_execz .LBB919_916
.LBB919_967:                            ;   in Loop: Header=BB919_900 Depth=2
	v_lshlrev_b32_e32 v0, 1, v61
	global_load_d16_hi_b16 v7, v0, s[8:9]
	s_or_b32 exec_lo, exec_lo, s11
	s_delay_alu instid0(SALU_CYCLE_1)
	s_mov_b32 s11, exec_lo
	v_cmpx_gt_u32_e64 s1, v62
	s_cbranch_execnz .LBB919_917
.LBB919_968:                            ;   in Loop: Header=BB919_900 Depth=2
	s_or_b32 exec_lo, exec_lo, s11
	s_delay_alu instid0(SALU_CYCLE_1)
	s_mov_b32 s11, exec_lo
	v_cmpx_gt_u32_e64 s1, v63
	s_cbranch_execz .LBB919_918
.LBB919_969:                            ;   in Loop: Header=BB919_900 Depth=2
	v_lshlrev_b32_e32 v0, 1, v63
	global_load_d16_hi_b16 v8, v0, s[8:9]
	s_or_b32 exec_lo, exec_lo, s11
	s_delay_alu instid0(SALU_CYCLE_1)
	s_mov_b32 s11, exec_lo
	v_cmpx_gt_u32_e64 s1, v64
	s_cbranch_execz .LBB919_920
	s_branch .LBB919_919
.LBB919_970:                            ;   in Loop: Header=BB919_12 Depth=1
	v_mov_b32_e32 v0, 0
	s_waitcnt vmcnt(0) lgkmcnt(0)
	s_barrier
	buffer_gl0_inv
	s_and_saveexec_b32 s1, s2
	s_cbranch_execz .LBB919_972
; %bb.971:                              ;   in Loop: Header=BB919_12 Depth=1
	ds_load_2addr_b64 v[2:5], v67 offset1:1
	s_waitcnt lgkmcnt(0)
	v_add_nc_u32_e32 v0, v3, v2
	s_delay_alu instid0(VALU_DEP_1)
	v_add3_u32 v0, v0, v4, v5
.LBB919_972:                            ;   in Loop: Header=BB919_12 Depth=1
	s_or_b32 exec_lo, exec_lo, s1
	v_and_b32_e32 v2, 15, v100
	s_delay_alu instid0(VALU_DEP_2) | instskip(SKIP_1) | instid1(VALU_DEP_3)
	v_mov_b32_dpp v3, v0 row_shr:1 row_mask:0xf bank_mask:0xf
	v_and_b32_e32 v4, 16, v100
	v_cmp_eq_u32_e64 s1, 0, v2
	v_cmp_lt_u32_e64 s7, 1, v2
	v_cmp_lt_u32_e64 s8, 3, v2
	;; [unrolled: 1-line block ×3, first 2 shown]
	v_cmp_eq_u32_e64 s10, 0, v4
	v_cndmask_b32_e64 v3, v3, 0, s1
	s_delay_alu instid0(VALU_DEP_1) | instskip(NEXT) | instid1(VALU_DEP_1)
	v_add_nc_u32_e32 v0, v3, v0
	v_mov_b32_dpp v3, v0 row_shr:2 row_mask:0xf bank_mask:0xf
	s_delay_alu instid0(VALU_DEP_1) | instskip(NEXT) | instid1(VALU_DEP_1)
	v_cndmask_b32_e64 v3, 0, v3, s7
	v_add_nc_u32_e32 v0, v0, v3
	s_delay_alu instid0(VALU_DEP_1) | instskip(NEXT) | instid1(VALU_DEP_1)
	v_mov_b32_dpp v3, v0 row_shr:4 row_mask:0xf bank_mask:0xf
	v_cndmask_b32_e64 v3, 0, v3, s8
	s_delay_alu instid0(VALU_DEP_1) | instskip(NEXT) | instid1(VALU_DEP_1)
	v_add_nc_u32_e32 v0, v0, v3
	v_mov_b32_dpp v3, v0 row_shr:8 row_mask:0xf bank_mask:0xf
	s_delay_alu instid0(VALU_DEP_1) | instskip(SKIP_1) | instid1(VALU_DEP_2)
	v_cndmask_b32_e64 v2, 0, v3, s9
	v_bfe_i32 v3, v100, 4, 1
	v_add_nc_u32_e32 v0, v0, v2
	ds_swizzle_b32 v2, v0 offset:swizzle(BROADCAST,32,15)
	s_waitcnt lgkmcnt(0)
	v_and_b32_e32 v2, v3, v2
	s_delay_alu instid0(VALU_DEP_1)
	v_add_nc_u32_e32 v2, v0, v2
	s_and_saveexec_b32 s11, s3
	s_cbranch_execz .LBB919_974
; %bb.973:                              ;   in Loop: Header=BB919_12 Depth=1
	ds_store_b32 v68, v2
.LBB919_974:                            ;   in Loop: Header=BB919_12 Depth=1
	s_or_b32 exec_lo, exec_lo, s11
	v_and_b32_e32 v0, 7, v100
	s_waitcnt lgkmcnt(0)
	s_barrier
	buffer_gl0_inv
	s_and_saveexec_b32 s11, s4
	s_cbranch_execz .LBB919_976
; %bb.975:                              ;   in Loop: Header=BB919_12 Depth=1
	ds_load_b32 v3, v69
	v_cmp_ne_u32_e32 vcc_lo, 0, v0
	s_waitcnt lgkmcnt(0)
	v_mov_b32_dpp v4, v3 row_shr:1 row_mask:0xf bank_mask:0xf
	s_delay_alu instid0(VALU_DEP_1) | instskip(SKIP_1) | instid1(VALU_DEP_2)
	v_cndmask_b32_e32 v4, 0, v4, vcc_lo
	v_cmp_lt_u32_e32 vcc_lo, 1, v0
	v_add_nc_u32_e32 v3, v4, v3
	s_delay_alu instid0(VALU_DEP_1) | instskip(NEXT) | instid1(VALU_DEP_1)
	v_mov_b32_dpp v4, v3 row_shr:2 row_mask:0xf bank_mask:0xf
	v_cndmask_b32_e32 v4, 0, v4, vcc_lo
	v_cmp_lt_u32_e32 vcc_lo, 3, v0
	s_delay_alu instid0(VALU_DEP_2) | instskip(NEXT) | instid1(VALU_DEP_1)
	v_add_nc_u32_e32 v3, v3, v4
	v_mov_b32_dpp v4, v3 row_shr:4 row_mask:0xf bank_mask:0xf
	s_delay_alu instid0(VALU_DEP_1) | instskip(NEXT) | instid1(VALU_DEP_1)
	v_cndmask_b32_e32 v4, 0, v4, vcc_lo
	v_add_nc_u32_e32 v3, v3, v4
	ds_store_b32 v69, v3
.LBB919_976:                            ;   in Loop: Header=BB919_12 Depth=1
	s_or_b32 exec_lo, exec_lo, s11
	v_mov_b32_e32 v3, 0
	s_waitcnt lgkmcnt(0)
	s_barrier
	buffer_gl0_inv
	s_and_saveexec_b32 s11, s5
	s_cbranch_execz .LBB919_978
; %bb.977:                              ;   in Loop: Header=BB919_12 Depth=1
	ds_load_b32 v3, v70
.LBB919_978:                            ;   in Loop: Header=BB919_12 Depth=1
	s_or_b32 exec_lo, exec_lo, s11
	v_add_nc_u32_e32 v4, -1, v100
	s_waitcnt lgkmcnt(0)
	v_add_nc_u32_e32 v2, v3, v2
	v_cmp_eq_u32_e64 s11, 0, v100
	s_barrier
	v_cmp_gt_i32_e32 vcc_lo, 0, v4
	buffer_gl0_inv
	v_cndmask_b32_e32 v4, v4, v100, vcc_lo
	s_delay_alu instid0(VALU_DEP_1)
	v_lshlrev_b32_e32 v101, 2, v4
	ds_bpermute_b32 v2, v101, v2
	s_and_saveexec_b32 s12, s2
	s_cbranch_execz .LBB919_980
; %bb.979:                              ;   in Loop: Header=BB919_12 Depth=1
	s_waitcnt lgkmcnt(0)
	v_cndmask_b32_e64 v2, v2, v3, s11
	s_delay_alu instid0(VALU_DEP_1)
	v_add_nc_u32_e32 v2, s62, v2
	ds_store_b32 v47, v2
.LBB919_980:                            ;   in Loop: Header=BB919_12 Depth=1
	s_or_b32 exec_lo, exec_lo, s12
	s_load_b64 s[12:13], s[60:61], 0x0
	v_lshlrev_b32_e32 v3, 3, v100
	v_cmp_lt_u32_e64 s14, 3, v0
	v_or_b32_e32 v102, v100, v71
	s_mov_b32 s56, s64
	s_mov_b32 s34, s62
	v_add_co_u32 v103, vcc_lo, v94, v3
	v_add_co_ci_u32_e32 v104, vcc_lo, 0, v95, vcc_lo
	v_or_b32_e32 v105, 32, v102
	v_or_b32_e32 v106, 64, v102
	;; [unrolled: 1-line block ×10, first 2 shown]
	s_waitcnt lgkmcnt(0)
	s_cmp_lt_u32 s15, s13
	v_or_b32_e32 v115, 0x160, v102
	s_cselect_b32 s13, 14, 20
	v_or_b32_e32 v116, 0x180, v102
	s_add_u32 s16, s60, s13
	s_addc_u32 s17, s61, 0
	s_cmp_lt_u32 s26, s12
	global_load_u16 v2, v20, s[16:17]
	s_cselect_b32 s12, 12, 18
	v_or_b32_e32 v117, 0x1a0, v102
	s_add_u32 s12, s60, s12
	s_addc_u32 s13, s61, 0
	v_or_b32_e32 v118, 0x1c0, v102
	global_load_u16 v4, v20, s[12:13]
	v_cmp_eq_u32_e64 s12, 0, v0
	v_cmp_lt_u32_e64 s13, 1, v0
	v_lshlrev_b32_e32 v0, 1, v100
	v_or_b32_e32 v119, 0x1e0, v102
                                        ; implicit-def: $vgpr10_vgpr11
                                        ; implicit-def: $vgpr12_vgpr13
                                        ; implicit-def: $vgpr14_vgpr15
                                        ; implicit-def: $vgpr16_vgpr17
                                        ; implicit-def: $vgpr21_vgpr22
                                        ; implicit-def: $vgpr23_vgpr24
                                        ; implicit-def: $vgpr25_vgpr26
                                        ; implicit-def: $vgpr27_vgpr28
                                        ; implicit-def: $vgpr29_vgpr30
                                        ; implicit-def: $vgpr31_vgpr32
                                        ; implicit-def: $vgpr33_vgpr34
                                        ; implicit-def: $vgpr35_vgpr36
                                        ; implicit-def: $vgpr37_vgpr38
                                        ; implicit-def: $vgpr39_vgpr40
                                        ; implicit-def: $vgpr41_vgpr42
                                        ; implicit-def: $vgpr43_vgpr44
                                        ; implicit-def: $vgpr125
                                        ; implicit-def: $vgpr126
                                        ; implicit-def: $vgpr127
                                        ; implicit-def: $vgpr128
                                        ; implicit-def: $vgpr129
                                        ; implicit-def: $vgpr130
                                        ; implicit-def: $vgpr131
                                        ; implicit-def: $vgpr132
                                        ; implicit-def: $vgpr133
                                        ; implicit-def: $vgpr134
                                        ; implicit-def: $vgpr135
                                        ; implicit-def: $vgpr136
                                        ; implicit-def: $vgpr137
                                        ; implicit-def: $vgpr138
                                        ; implicit-def: $vgpr139
                                        ; implicit-def: $vgpr140
                                        ; implicit-def: $vgpr9
	s_delay_alu instid0(VALU_DEP_2) | instskip(SKIP_1) | instid1(VALU_DEP_2)
	v_add_co_u32 v120, vcc_lo, v96, v0
	v_add_co_ci_u32_e32 v121, vcc_lo, 0, v97, vcc_lo
	v_add_co_u32 v123, vcc_lo, 0x3c0, v120
	s_delay_alu instid0(VALU_DEP_2) | instskip(SKIP_3) | instid1(VALU_DEP_1)
	v_add_co_ci_u32_e32 v124, vcc_lo, 0, v121, vcc_lo
	s_waitcnt vmcnt(1)
	v_mad_u32_u24 v5, v72, v2, v74
	s_waitcnt vmcnt(0)
	v_mad_u64_u32 v[2:3], null, v5, v4, v[18:19]
	s_delay_alu instid0(VALU_DEP_1)
	v_lshrrev_b32_e32 v122, 5, v2
	s_branch .LBB919_982
.LBB919_981:                            ;   in Loop: Header=BB919_982 Depth=2
	s_or_b32 exec_lo, exec_lo, s16
	s_addk_i32 s56, 0xf000
	s_cmp_lt_u32 s65, s63
	s_mov_b32 s34, s65
	s_cbranch_scc0 .LBB919_10
.LBB919_982:                            ;   Parent Loop BB919_12 Depth=1
                                        ; =>  This Inner Loop Header: Depth=2
	s_add_i32 s65, s34, 0x1000
	s_delay_alu instid0(SALU_CYCLE_1)
	s_cmp_gt_u32 s65, s63
	s_cbranch_scc1 .LBB919_984
; %bb.983:                              ;   in Loop: Header=BB919_982 Depth=2
	s_mov_b32 s17, 0
	s_mov_b32 s16, s34
	s_delay_alu instid0(SALU_CYCLE_1) | instskip(NEXT) | instid1(SALU_CYCLE_1)
	s_lshl_b64 s[18:19], s[16:17], 1
	v_add_co_u32 v45, vcc_lo, v120, s18
	v_add_co_ci_u32_e32 v46, vcc_lo, s19, v121, vcc_lo
	s_mov_b32 s19, -1
	s_movk_i32 s18, 0x1000
	s_clause 0xe
	global_load_u16 v2, v[45:46], off
	global_load_u16 v3, v[45:46], off offset:128
	global_load_u16 v4, v[45:46], off offset:256
	;; [unrolled: 1-line block ×6, first 2 shown]
	global_load_d16_b16 v9, v[45:46], off offset:896
	global_load_d16_hi_b16 v2, v[45:46], off offset:64
	global_load_d16_hi_b16 v3, v[45:46], off offset:192
	;; [unrolled: 1-line block ×7, first 2 shown]
	s_cbranch_execz .LBB919_985
	s_branch .LBB919_1002
.LBB919_984:                            ;   in Loop: Header=BB919_982 Depth=2
	s_mov_b32 s17, -1
	s_mov_b32 s19, 0
                                        ; implicit-def: $sgpr18
                                        ; implicit-def: $vgpr2_vgpr3_vgpr4_vgpr5_vgpr6_vgpr7_vgpr8_vgpr9
.LBB919_985:                            ;   in Loop: Header=BB919_982 Depth=2
	s_lshl_b64 s[16:17], s[34:35], 1
	s_mov_b32 s45, s44
	v_add_co_u32 v45, vcc_lo, v120, s16
	s_mov_b32 s46, s44
	s_mov_b32 s47, s44
	;; [unrolled: 1-line block ×6, first 2 shown]
	s_waitcnt vmcnt(0)
	v_dual_mov_b32 v2, s44 :: v_dual_mov_b32 v3, s45
	v_add_co_ci_u32_e32 v46, vcc_lo, s17, v121, vcc_lo
	v_dual_mov_b32 v4, s46 :: v_dual_mov_b32 v5, s47
	v_dual_mov_b32 v6, s48 :: v_dual_mov_b32 v7, s49
	;; [unrolled: 1-line block ×3, first 2 shown]
	s_mov_b32 s16, exec_lo
	v_cmpx_gt_u32_e64 s56, v102
	s_cbranch_execz .LBB919_1176
; %bb.986:                              ;   in Loop: Header=BB919_982 Depth=2
	v_bfrev_b32_e32 v0, 1
	v_mov_b32_e32 v7, v1
	v_mov_b32_e32 v2, v1
	;; [unrolled: 1-line block ×4, first 2 shown]
	global_load_d16_b16 v0, v[45:46], off
	v_mov_b32_e32 v5, v1
	v_mov_b32_e32 v6, v1
	s_waitcnt vmcnt(0)
	v_mov_b32_e32 v9, v7
	s_delay_alu instid0(VALU_DEP_2)
	v_dual_mov_b32 v8, v6 :: v_dual_mov_b32 v7, v5
	v_mov_b32_e32 v6, v4
	v_mov_b32_e32 v5, v3
	;; [unrolled: 1-line block ×5, first 2 shown]
	s_or_b32 exec_lo, exec_lo, s16
	s_delay_alu instid0(SALU_CYCLE_1)
	s_mov_b32 s16, exec_lo
	v_cmpx_gt_u32_e64 s56, v105
	s_cbranch_execnz .LBB919_1177
.LBB919_987:                            ;   in Loop: Header=BB919_982 Depth=2
	s_or_b32 exec_lo, exec_lo, s16
	s_delay_alu instid0(SALU_CYCLE_1)
	s_mov_b32 s16, exec_lo
	v_cmpx_gt_u32_e64 s56, v106
	s_cbranch_execz .LBB919_1178
.LBB919_988:                            ;   in Loop: Header=BB919_982 Depth=2
	global_load_d16_b16 v3, v[45:46], off offset:128
	s_or_b32 exec_lo, exec_lo, s16
	s_delay_alu instid0(SALU_CYCLE_1)
	s_mov_b32 s16, exec_lo
	v_cmpx_gt_u32_e64 s56, v107
	s_cbranch_execnz .LBB919_1179
.LBB919_989:                            ;   in Loop: Header=BB919_982 Depth=2
	s_or_b32 exec_lo, exec_lo, s16
	s_delay_alu instid0(SALU_CYCLE_1)
	s_mov_b32 s16, exec_lo
	v_cmpx_gt_u32_e64 s56, v108
	s_cbranch_execz .LBB919_1180
.LBB919_990:                            ;   in Loop: Header=BB919_982 Depth=2
	global_load_d16_b16 v4, v[45:46], off offset:256
	s_or_b32 exec_lo, exec_lo, s16
	s_delay_alu instid0(SALU_CYCLE_1)
	s_mov_b32 s16, exec_lo
	v_cmpx_gt_u32_e64 s56, v109
	s_cbranch_execnz .LBB919_1181
.LBB919_991:                            ;   in Loop: Header=BB919_982 Depth=2
	s_or_b32 exec_lo, exec_lo, s16
	s_delay_alu instid0(SALU_CYCLE_1)
	s_mov_b32 s16, exec_lo
	v_cmpx_gt_u32_e64 s56, v110
	s_cbranch_execz .LBB919_1182
.LBB919_992:                            ;   in Loop: Header=BB919_982 Depth=2
	global_load_d16_b16 v5, v[45:46], off offset:384
	s_or_b32 exec_lo, exec_lo, s16
	s_delay_alu instid0(SALU_CYCLE_1)
	s_mov_b32 s16, exec_lo
	v_cmpx_gt_u32_e64 s56, v111
	s_cbranch_execnz .LBB919_1183
.LBB919_993:                            ;   in Loop: Header=BB919_982 Depth=2
	s_or_b32 exec_lo, exec_lo, s16
	s_delay_alu instid0(SALU_CYCLE_1)
	s_mov_b32 s16, exec_lo
	v_cmpx_gt_u32_e64 s56, v112
	s_cbranch_execz .LBB919_1184
.LBB919_994:                            ;   in Loop: Header=BB919_982 Depth=2
	global_load_d16_b16 v6, v[45:46], off offset:512
	s_or_b32 exec_lo, exec_lo, s16
	s_delay_alu instid0(SALU_CYCLE_1)
	s_mov_b32 s16, exec_lo
	v_cmpx_gt_u32_e64 s56, v113
	s_cbranch_execnz .LBB919_1185
.LBB919_995:                            ;   in Loop: Header=BB919_982 Depth=2
	s_or_b32 exec_lo, exec_lo, s16
	s_delay_alu instid0(SALU_CYCLE_1)
	s_mov_b32 s16, exec_lo
	v_cmpx_gt_u32_e64 s56, v114
	s_cbranch_execz .LBB919_1186
.LBB919_996:                            ;   in Loop: Header=BB919_982 Depth=2
	global_load_d16_b16 v7, v[45:46], off offset:640
	s_or_b32 exec_lo, exec_lo, s16
	s_delay_alu instid0(SALU_CYCLE_1)
	s_mov_b32 s16, exec_lo
	v_cmpx_gt_u32_e64 s56, v115
	s_cbranch_execnz .LBB919_1187
.LBB919_997:                            ;   in Loop: Header=BB919_982 Depth=2
	s_or_b32 exec_lo, exec_lo, s16
	s_delay_alu instid0(SALU_CYCLE_1)
	s_mov_b32 s16, exec_lo
	v_cmpx_gt_u32_e64 s56, v116
	s_cbranch_execz .LBB919_1188
.LBB919_998:                            ;   in Loop: Header=BB919_982 Depth=2
	global_load_d16_b16 v8, v[45:46], off offset:768
	s_or_b32 exec_lo, exec_lo, s16
	s_delay_alu instid0(SALU_CYCLE_1)
	s_mov_b32 s16, exec_lo
	v_cmpx_gt_u32_e64 s56, v117
	s_cbranch_execnz .LBB919_1189
.LBB919_999:                            ;   in Loop: Header=BB919_982 Depth=2
	s_or_b32 exec_lo, exec_lo, s16
	s_delay_alu instid0(SALU_CYCLE_1)
	s_mov_b32 s16, exec_lo
	v_cmpx_gt_u32_e64 s56, v118
	s_cbranch_execz .LBB919_1001
.LBB919_1000:                           ;   in Loop: Header=BB919_982 Depth=2
	global_load_d16_b16 v9, v[45:46], off offset:896
.LBB919_1001:                           ;   in Loop: Header=BB919_982 Depth=2
	s_or_b32 exec_lo, exec_lo, s16
	v_cmp_gt_u32_e64 s19, s56, v119
	s_sub_i32 s18, s63, s34
	s_mov_b64 s[16:17], s[34:35]
.LBB919_1002:                           ;   in Loop: Header=BB919_982 Depth=2
	v_mov_b32_e32 v0, s56
	s_delay_alu instid0(VALU_DEP_2)
	s_and_saveexec_b32 s20, s19
	s_cbranch_execz .LBB919_1004
; %bb.1003:                             ;   in Loop: Header=BB919_982 Depth=2
	s_lshl_b64 s[16:17], s[16:17], 1
	v_mov_b32_e32 v0, s18
	v_add_co_u32 v45, vcc_lo, v123, s16
	v_add_co_ci_u32_e32 v46, vcc_lo, s17, v124, vcc_lo
	global_load_d16_hi_b16 v9, v[45:46], off
.LBB919_1004:                           ;   in Loop: Header=BB919_982 Depth=2
	s_or_b32 exec_lo, exec_lo, s20
	s_waitcnt vmcnt(0)
	v_xor_b32_e32 v19, 0x7fff7fff, v2
	ds_store_b32 v73, v20 offset:1056
	ds_store_2addr_b32 v75, v20, v20 offset0:1 offset1:2
	ds_store_2addr_b32 v75, v20, v20 offset0:3 offset1:4
	;; [unrolled: 1-line block ×4, first 2 shown]
	s_waitcnt lgkmcnt(0)
	s_barrier
	v_and_b32_e32 v2, 0xffff, v19
	buffer_gl0_inv
	; wave barrier
	v_lshrrev_b32_e32 v2, s57, v2
	s_delay_alu instid0(VALU_DEP_1) | instskip(NEXT) | instid1(VALU_DEP_1)
	v_and_b32_e32 v45, s43, v2
	v_and_b32_e32 v2, 1, v45
	v_lshlrev_b32_e32 v46, 30, v45
	v_lshlrev_b32_e32 v141, 29, v45
	;; [unrolled: 1-line block ×4, first 2 shown]
	v_add_co_u32 v2, s16, v2, -1
	s_delay_alu instid0(VALU_DEP_1)
	v_cndmask_b32_e64 v143, 0, 1, s16
	v_not_b32_e32 v147, v46
	v_cmp_gt_i32_e64 s16, 0, v46
	v_not_b32_e32 v46, v141
	v_lshlrev_b32_e32 v145, 26, v45
	v_cmp_ne_u32_e32 vcc_lo, 0, v143
	v_ashrrev_i32_e32 v147, 31, v147
	v_lshlrev_b32_e32 v146, 25, v45
	v_ashrrev_i32_e32 v46, 31, v46
	v_lshlrev_b32_e32 v143, 24, v45
	v_xor_b32_e32 v2, vcc_lo, v2
	v_cmp_gt_i32_e32 vcc_lo, 0, v141
	v_not_b32_e32 v141, v142
	v_xor_b32_e32 v147, s16, v147
	v_cmp_gt_i32_e64 s16, 0, v142
	v_and_b32_e32 v2, exec_lo, v2
	v_not_b32_e32 v142, v144
	v_ashrrev_i32_e32 v141, 31, v141
	v_xor_b32_e32 v46, vcc_lo, v46
	v_cmp_gt_i32_e32 vcc_lo, 0, v144
	v_and_b32_e32 v2, v2, v147
	v_not_b32_e32 v144, v145
	v_ashrrev_i32_e32 v142, 31, v142
	v_xor_b32_e32 v141, s16, v141
	v_cmp_gt_i32_e64 s16, 0, v145
	v_and_b32_e32 v2, v2, v46
	v_not_b32_e32 v46, v146
	v_ashrrev_i32_e32 v144, 31, v144
	v_xor_b32_e32 v142, vcc_lo, v142
	v_cmp_gt_i32_e32 vcc_lo, 0, v146
	v_and_b32_e32 v2, v2, v141
	v_not_b32_e32 v141, v143
	v_ashrrev_i32_e32 v46, 31, v46
	v_xor_b32_e32 v144, s16, v144
	v_cmp_gt_i32_e64 s16, 0, v143
	v_and_b32_e32 v2, v2, v142
	v_ashrrev_i32_e32 v141, 31, v141
	v_xor_b32_e32 v46, vcc_lo, v46
	v_mad_u32_u24 v45, v45, 9, v122
	s_delay_alu instid0(VALU_DEP_4) | instskip(NEXT) | instid1(VALU_DEP_4)
	v_and_b32_e32 v2, v2, v144
	v_xor_b32_e32 v141, s16, v141
	s_delay_alu instid0(VALU_DEP_3) | instskip(NEXT) | instid1(VALU_DEP_3)
	v_lshl_add_u32 v143, v45, 2, 0x420
	v_and_b32_e32 v2, v2, v46
	s_delay_alu instid0(VALU_DEP_1) | instskip(NEXT) | instid1(VALU_DEP_1)
	v_and_b32_e32 v2, v2, v141
	v_mbcnt_lo_u32_b32 v141, v2, 0
	v_cmp_ne_u32_e64 s16, 0, v2
	s_delay_alu instid0(VALU_DEP_2) | instskip(NEXT) | instid1(VALU_DEP_2)
	v_cmp_eq_u32_e32 vcc_lo, 0, v141
	s_and_b32 s17, s16, vcc_lo
	s_delay_alu instid0(SALU_CYCLE_1)
	s_and_saveexec_b32 s16, s17
	s_cbranch_execz .LBB919_1006
; %bb.1005:                             ;   in Loop: Header=BB919_982 Depth=2
	v_bcnt_u32_b32 v2, v2, 0
	ds_store_b32 v143, v2
.LBB919_1006:                           ;   in Loop: Header=BB919_982 Depth=2
	s_or_b32 exec_lo, exec_lo, s16
	v_lshrrev_b32_e32 v142, 16, v19
	; wave barrier
	s_delay_alu instid0(VALU_DEP_1) | instskip(NEXT) | instid1(VALU_DEP_1)
	v_lshrrev_b32_e32 v2, s57, v142
	v_and_b32_e32 v2, s43, v2
	s_delay_alu instid0(VALU_DEP_1)
	v_and_b32_e32 v45, 1, v2
	v_lshlrev_b32_e32 v46, 30, v2
	v_lshlrev_b32_e32 v144, 29, v2
	;; [unrolled: 1-line block ×4, first 2 shown]
	v_add_co_u32 v45, s16, v45, -1
	s_delay_alu instid0(VALU_DEP_1)
	v_cndmask_b32_e64 v146, 0, 1, s16
	v_not_b32_e32 v150, v46
	v_cmp_gt_i32_e64 s16, 0, v46
	v_not_b32_e32 v46, v144
	v_lshlrev_b32_e32 v148, 26, v2
	v_cmp_ne_u32_e32 vcc_lo, 0, v146
	v_ashrrev_i32_e32 v150, 31, v150
	v_lshlrev_b32_e32 v149, 25, v2
	v_ashrrev_i32_e32 v46, 31, v46
	v_lshlrev_b32_e32 v146, 24, v2
	v_xor_b32_e32 v45, vcc_lo, v45
	v_cmp_gt_i32_e32 vcc_lo, 0, v144
	v_not_b32_e32 v144, v145
	v_xor_b32_e32 v150, s16, v150
	v_cmp_gt_i32_e64 s16, 0, v145
	v_and_b32_e32 v45, exec_lo, v45
	v_not_b32_e32 v145, v147
	v_ashrrev_i32_e32 v144, 31, v144
	v_xor_b32_e32 v46, vcc_lo, v46
	v_cmp_gt_i32_e32 vcc_lo, 0, v147
	v_and_b32_e32 v45, v45, v150
	v_not_b32_e32 v147, v148
	v_ashrrev_i32_e32 v145, 31, v145
	v_xor_b32_e32 v144, s16, v144
	v_cmp_gt_i32_e64 s16, 0, v148
	v_and_b32_e32 v45, v45, v46
	v_not_b32_e32 v46, v149
	v_ashrrev_i32_e32 v147, 31, v147
	v_xor_b32_e32 v145, vcc_lo, v145
	v_cmp_gt_i32_e32 vcc_lo, 0, v149
	v_and_b32_e32 v45, v45, v144
	v_not_b32_e32 v144, v146
	v_ashrrev_i32_e32 v46, 31, v46
	v_xor_b32_e32 v147, s16, v147
	v_mul_u32_u24_e32 v2, 9, v2
	v_and_b32_e32 v45, v45, v145
	v_cmp_gt_i32_e64 s16, 0, v146
	v_ashrrev_i32_e32 v144, 31, v144
	v_xor_b32_e32 v46, vcc_lo, v46
	s_delay_alu instid0(VALU_DEP_4) | instskip(SKIP_1) | instid1(VALU_DEP_4)
	v_and_b32_e32 v45, v45, v147
	v_add_lshl_u32 v147, v2, v122, 2
	v_xor_b32_e32 v2, s16, v144
	s_delay_alu instid0(VALU_DEP_3) | instskip(SKIP_3) | instid1(VALU_DEP_1)
	v_and_b32_e32 v45, v45, v46
	ds_load_b32 v145, v147 offset:1056
	v_add_nc_u32_e32 v147, 0x420, v147
	; wave barrier
	v_and_b32_e32 v2, v45, v2
	v_mbcnt_lo_u32_b32 v146, v2, 0
	v_cmp_ne_u32_e64 s16, 0, v2
	s_delay_alu instid0(VALU_DEP_2) | instskip(NEXT) | instid1(VALU_DEP_2)
	v_cmp_eq_u32_e32 vcc_lo, 0, v146
	s_and_b32 s17, s16, vcc_lo
	s_delay_alu instid0(SALU_CYCLE_1)
	s_and_saveexec_b32 s16, s17
	s_cbranch_execz .LBB919_1008
; %bb.1007:                             ;   in Loop: Header=BB919_982 Depth=2
	s_waitcnt lgkmcnt(0)
	v_bcnt_u32_b32 v2, v2, v145
	ds_store_b32 v147, v2
.LBB919_1008:                           ;   in Loop: Header=BB919_982 Depth=2
	s_or_b32 exec_lo, exec_lo, s16
	v_xor_b32_e32 v144, 0x7fff7fff, v3
	; wave barrier
	s_delay_alu instid0(VALU_DEP_1) | instskip(NEXT) | instid1(VALU_DEP_1)
	v_and_b32_e32 v2, 0xffff, v144
	v_lshrrev_b32_e32 v2, s57, v2
	s_delay_alu instid0(VALU_DEP_1) | instskip(NEXT) | instid1(VALU_DEP_1)
	v_and_b32_e32 v2, s43, v2
	v_and_b32_e32 v3, 1, v2
	v_lshlrev_b32_e32 v45, 30, v2
	v_lshlrev_b32_e32 v46, 29, v2
	;; [unrolled: 1-line block ×4, first 2 shown]
	v_add_co_u32 v3, s16, v3, -1
	s_delay_alu instid0(VALU_DEP_1)
	v_cndmask_b32_e64 v149, 0, 1, s16
	v_not_b32_e32 v153, v45
	v_cmp_gt_i32_e64 s16, 0, v45
	v_not_b32_e32 v45, v46
	v_lshlrev_b32_e32 v151, 26, v2
	v_cmp_ne_u32_e32 vcc_lo, 0, v149
	v_ashrrev_i32_e32 v153, 31, v153
	v_lshlrev_b32_e32 v152, 25, v2
	v_ashrrev_i32_e32 v45, 31, v45
	v_lshlrev_b32_e32 v149, 24, v2
	v_xor_b32_e32 v3, vcc_lo, v3
	v_cmp_gt_i32_e32 vcc_lo, 0, v46
	v_not_b32_e32 v46, v148
	v_xor_b32_e32 v153, s16, v153
	v_cmp_gt_i32_e64 s16, 0, v148
	v_and_b32_e32 v3, exec_lo, v3
	v_not_b32_e32 v148, v150
	v_ashrrev_i32_e32 v46, 31, v46
	v_xor_b32_e32 v45, vcc_lo, v45
	v_cmp_gt_i32_e32 vcc_lo, 0, v150
	v_and_b32_e32 v3, v3, v153
	v_not_b32_e32 v150, v151
	v_ashrrev_i32_e32 v148, 31, v148
	v_xor_b32_e32 v46, s16, v46
	v_cmp_gt_i32_e64 s16, 0, v151
	v_and_b32_e32 v3, v3, v45
	v_not_b32_e32 v45, v152
	v_ashrrev_i32_e32 v150, 31, v150
	v_xor_b32_e32 v148, vcc_lo, v148
	v_cmp_gt_i32_e32 vcc_lo, 0, v152
	v_and_b32_e32 v3, v3, v46
	v_not_b32_e32 v46, v149
	v_ashrrev_i32_e32 v45, 31, v45
	v_xor_b32_e32 v150, s16, v150
	v_mul_u32_u24_e32 v2, 9, v2
	v_and_b32_e32 v3, v3, v148
	v_cmp_gt_i32_e64 s16, 0, v149
	v_ashrrev_i32_e32 v46, 31, v46
	v_xor_b32_e32 v45, vcc_lo, v45
	v_add_lshl_u32 v148, v2, v122, 2
	v_and_b32_e32 v3, v3, v150
	s_delay_alu instid0(VALU_DEP_4) | instskip(SKIP_3) | instid1(VALU_DEP_2)
	v_xor_b32_e32 v2, s16, v46
	ds_load_b32 v149, v148 offset:1056
	v_and_b32_e32 v3, v3, v45
	v_add_nc_u32_e32 v151, 0x420, v148
	; wave barrier
	v_and_b32_e32 v2, v3, v2
	s_delay_alu instid0(VALU_DEP_1) | instskip(SKIP_1) | instid1(VALU_DEP_2)
	v_mbcnt_lo_u32_b32 v150, v2, 0
	v_cmp_ne_u32_e64 s16, 0, v2
	v_cmp_eq_u32_e32 vcc_lo, 0, v150
	s_delay_alu instid0(VALU_DEP_2) | instskip(NEXT) | instid1(SALU_CYCLE_1)
	s_and_b32 s17, s16, vcc_lo
	s_and_saveexec_b32 s16, s17
	s_cbranch_execz .LBB919_1010
; %bb.1009:                             ;   in Loop: Header=BB919_982 Depth=2
	s_waitcnt lgkmcnt(0)
	v_bcnt_u32_b32 v2, v2, v149
	ds_store_b32 v151, v2
.LBB919_1010:                           ;   in Loop: Header=BB919_982 Depth=2
	s_or_b32 exec_lo, exec_lo, s16
	v_lshrrev_b32_e32 v148, 16, v144
	; wave barrier
	s_delay_alu instid0(VALU_DEP_1) | instskip(NEXT) | instid1(VALU_DEP_1)
	v_lshrrev_b32_e32 v2, s57, v148
	v_and_b32_e32 v2, s43, v2
	s_delay_alu instid0(VALU_DEP_1)
	v_and_b32_e32 v3, 1, v2
	v_lshlrev_b32_e32 v45, 30, v2
	v_lshlrev_b32_e32 v46, 29, v2
	;; [unrolled: 1-line block ×4, first 2 shown]
	v_add_co_u32 v3, s16, v3, -1
	s_delay_alu instid0(VALU_DEP_1)
	v_cndmask_b32_e64 v153, 0, 1, s16
	v_not_b32_e32 v157, v45
	v_cmp_gt_i32_e64 s16, 0, v45
	v_not_b32_e32 v45, v46
	v_lshlrev_b32_e32 v155, 26, v2
	v_cmp_ne_u32_e32 vcc_lo, 0, v153
	v_ashrrev_i32_e32 v157, 31, v157
	v_lshlrev_b32_e32 v156, 25, v2
	v_ashrrev_i32_e32 v45, 31, v45
	v_lshlrev_b32_e32 v153, 24, v2
	v_xor_b32_e32 v3, vcc_lo, v3
	v_cmp_gt_i32_e32 vcc_lo, 0, v46
	v_not_b32_e32 v46, v152
	v_xor_b32_e32 v157, s16, v157
	v_cmp_gt_i32_e64 s16, 0, v152
	v_and_b32_e32 v3, exec_lo, v3
	v_not_b32_e32 v152, v154
	v_ashrrev_i32_e32 v46, 31, v46
	v_xor_b32_e32 v45, vcc_lo, v45
	v_cmp_gt_i32_e32 vcc_lo, 0, v154
	v_and_b32_e32 v3, v3, v157
	v_not_b32_e32 v154, v155
	v_ashrrev_i32_e32 v152, 31, v152
	v_xor_b32_e32 v46, s16, v46
	v_cmp_gt_i32_e64 s16, 0, v155
	v_and_b32_e32 v3, v3, v45
	v_not_b32_e32 v45, v156
	v_ashrrev_i32_e32 v154, 31, v154
	v_xor_b32_e32 v152, vcc_lo, v152
	v_cmp_gt_i32_e32 vcc_lo, 0, v156
	v_and_b32_e32 v3, v3, v46
	v_not_b32_e32 v46, v153
	v_ashrrev_i32_e32 v45, 31, v45
	v_xor_b32_e32 v154, s16, v154
	v_mul_u32_u24_e32 v2, 9, v2
	v_and_b32_e32 v3, v3, v152
	v_cmp_gt_i32_e64 s16, 0, v153
	v_ashrrev_i32_e32 v46, 31, v46
	v_xor_b32_e32 v45, vcc_lo, v45
	v_add_lshl_u32 v152, v2, v122, 2
	v_and_b32_e32 v3, v3, v154
	s_delay_alu instid0(VALU_DEP_4) | instskip(SKIP_3) | instid1(VALU_DEP_2)
	v_xor_b32_e32 v2, s16, v46
	ds_load_b32 v153, v152 offset:1056
	v_and_b32_e32 v3, v3, v45
	v_add_nc_u32_e32 v155, 0x420, v152
	; wave barrier
	v_and_b32_e32 v2, v3, v2
	s_delay_alu instid0(VALU_DEP_1) | instskip(SKIP_1) | instid1(VALU_DEP_2)
	v_mbcnt_lo_u32_b32 v154, v2, 0
	v_cmp_ne_u32_e64 s16, 0, v2
	v_cmp_eq_u32_e32 vcc_lo, 0, v154
	s_delay_alu instid0(VALU_DEP_2) | instskip(NEXT) | instid1(SALU_CYCLE_1)
	s_and_b32 s17, s16, vcc_lo
	s_and_saveexec_b32 s16, s17
	s_cbranch_execz .LBB919_1012
; %bb.1011:                             ;   in Loop: Header=BB919_982 Depth=2
	s_waitcnt lgkmcnt(0)
	v_bcnt_u32_b32 v2, v2, v153
	ds_store_b32 v155, v2
.LBB919_1012:                           ;   in Loop: Header=BB919_982 Depth=2
	s_or_b32 exec_lo, exec_lo, s16
	v_xor_b32_e32 v152, 0x7fff7fff, v4
	; wave barrier
	s_delay_alu instid0(VALU_DEP_1) | instskip(NEXT) | instid1(VALU_DEP_1)
	v_and_b32_e32 v2, 0xffff, v152
	v_lshrrev_b32_e32 v2, s57, v2
	s_delay_alu instid0(VALU_DEP_1) | instskip(NEXT) | instid1(VALU_DEP_1)
	v_and_b32_e32 v2, s43, v2
	v_and_b32_e32 v3, 1, v2
	v_lshlrev_b32_e32 v4, 30, v2
	v_lshlrev_b32_e32 v45, 29, v2
	;; [unrolled: 1-line block ×4, first 2 shown]
	v_add_co_u32 v3, s16, v3, -1
	s_delay_alu instid0(VALU_DEP_1)
	v_cndmask_b32_e64 v156, 0, 1, s16
	v_not_b32_e32 v160, v4
	v_cmp_gt_i32_e64 s16, 0, v4
	v_not_b32_e32 v4, v45
	v_lshlrev_b32_e32 v158, 26, v2
	v_cmp_ne_u32_e32 vcc_lo, 0, v156
	v_ashrrev_i32_e32 v160, 31, v160
	v_lshlrev_b32_e32 v159, 25, v2
	v_ashrrev_i32_e32 v4, 31, v4
	v_lshlrev_b32_e32 v156, 24, v2
	v_xor_b32_e32 v3, vcc_lo, v3
	v_cmp_gt_i32_e32 vcc_lo, 0, v45
	v_not_b32_e32 v45, v46
	v_xor_b32_e32 v160, s16, v160
	v_cmp_gt_i32_e64 s16, 0, v46
	v_and_b32_e32 v3, exec_lo, v3
	v_not_b32_e32 v46, v157
	v_ashrrev_i32_e32 v45, 31, v45
	v_xor_b32_e32 v4, vcc_lo, v4
	v_cmp_gt_i32_e32 vcc_lo, 0, v157
	v_and_b32_e32 v3, v3, v160
	v_not_b32_e32 v157, v158
	v_ashrrev_i32_e32 v46, 31, v46
	v_xor_b32_e32 v45, s16, v45
	v_cmp_gt_i32_e64 s16, 0, v158
	v_and_b32_e32 v3, v3, v4
	v_not_b32_e32 v4, v159
	v_ashrrev_i32_e32 v157, 31, v157
	v_xor_b32_e32 v46, vcc_lo, v46
	v_cmp_gt_i32_e32 vcc_lo, 0, v159
	v_and_b32_e32 v3, v3, v45
	v_not_b32_e32 v45, v156
	v_ashrrev_i32_e32 v4, 31, v4
	v_xor_b32_e32 v157, s16, v157
	v_mul_u32_u24_e32 v2, 9, v2
	v_and_b32_e32 v3, v3, v46
	v_cmp_gt_i32_e64 s16, 0, v156
	v_ashrrev_i32_e32 v45, 31, v45
	v_xor_b32_e32 v4, vcc_lo, v4
	v_add_lshl_u32 v46, v2, v122, 2
	v_and_b32_e32 v3, v3, v157
	s_delay_alu instid0(VALU_DEP_4) | instskip(SKIP_3) | instid1(VALU_DEP_2)
	v_xor_b32_e32 v2, s16, v45
	ds_load_b32 v157, v46 offset:1056
	v_and_b32_e32 v3, v3, v4
	v_add_nc_u32_e32 v159, 0x420, v46
	; wave barrier
	v_and_b32_e32 v2, v3, v2
	s_delay_alu instid0(VALU_DEP_1) | instskip(SKIP_1) | instid1(VALU_DEP_2)
	v_mbcnt_lo_u32_b32 v158, v2, 0
	v_cmp_ne_u32_e64 s16, 0, v2
	v_cmp_eq_u32_e32 vcc_lo, 0, v158
	s_delay_alu instid0(VALU_DEP_2) | instskip(NEXT) | instid1(SALU_CYCLE_1)
	s_and_b32 s17, s16, vcc_lo
	s_and_saveexec_b32 s16, s17
	s_cbranch_execz .LBB919_1014
; %bb.1013:                             ;   in Loop: Header=BB919_982 Depth=2
	s_waitcnt lgkmcnt(0)
	v_bcnt_u32_b32 v2, v2, v157
	ds_store_b32 v159, v2
.LBB919_1014:                           ;   in Loop: Header=BB919_982 Depth=2
	s_or_b32 exec_lo, exec_lo, s16
	v_lshrrev_b32_e32 v156, 16, v152
	; wave barrier
	s_delay_alu instid0(VALU_DEP_1) | instskip(NEXT) | instid1(VALU_DEP_1)
	v_lshrrev_b32_e32 v2, s57, v156
	v_and_b32_e32 v2, s43, v2
	s_delay_alu instid0(VALU_DEP_1)
	v_and_b32_e32 v3, 1, v2
	v_lshlrev_b32_e32 v4, 30, v2
	v_lshlrev_b32_e32 v45, 29, v2
	;; [unrolled: 1-line block ×4, first 2 shown]
	v_add_co_u32 v3, s16, v3, -1
	s_delay_alu instid0(VALU_DEP_1)
	v_cndmask_b32_e64 v160, 0, 1, s16
	v_not_b32_e32 v164, v4
	v_cmp_gt_i32_e64 s16, 0, v4
	v_not_b32_e32 v4, v45
	v_lshlrev_b32_e32 v162, 26, v2
	v_cmp_ne_u32_e32 vcc_lo, 0, v160
	v_ashrrev_i32_e32 v164, 31, v164
	v_lshlrev_b32_e32 v163, 25, v2
	v_ashrrev_i32_e32 v4, 31, v4
	v_lshlrev_b32_e32 v160, 24, v2
	v_xor_b32_e32 v3, vcc_lo, v3
	v_cmp_gt_i32_e32 vcc_lo, 0, v45
	v_not_b32_e32 v45, v46
	v_xor_b32_e32 v164, s16, v164
	v_cmp_gt_i32_e64 s16, 0, v46
	v_and_b32_e32 v3, exec_lo, v3
	v_not_b32_e32 v46, v161
	v_ashrrev_i32_e32 v45, 31, v45
	v_xor_b32_e32 v4, vcc_lo, v4
	v_cmp_gt_i32_e32 vcc_lo, 0, v161
	v_and_b32_e32 v3, v3, v164
	v_not_b32_e32 v161, v162
	v_ashrrev_i32_e32 v46, 31, v46
	v_xor_b32_e32 v45, s16, v45
	v_cmp_gt_i32_e64 s16, 0, v162
	v_and_b32_e32 v3, v3, v4
	v_not_b32_e32 v4, v163
	v_ashrrev_i32_e32 v161, 31, v161
	v_xor_b32_e32 v46, vcc_lo, v46
	v_cmp_gt_i32_e32 vcc_lo, 0, v163
	v_and_b32_e32 v3, v3, v45
	v_not_b32_e32 v45, v160
	v_ashrrev_i32_e32 v4, 31, v4
	v_xor_b32_e32 v161, s16, v161
	v_mul_u32_u24_e32 v2, 9, v2
	v_and_b32_e32 v3, v3, v46
	v_cmp_gt_i32_e64 s16, 0, v160
	v_ashrrev_i32_e32 v45, 31, v45
	v_xor_b32_e32 v4, vcc_lo, v4
	v_add_lshl_u32 v46, v2, v122, 2
	v_and_b32_e32 v3, v3, v161
	s_delay_alu instid0(VALU_DEP_4) | instskip(SKIP_3) | instid1(VALU_DEP_2)
	v_xor_b32_e32 v2, s16, v45
	ds_load_b32 v161, v46 offset:1056
	v_and_b32_e32 v3, v3, v4
	v_add_nc_u32_e32 v163, 0x420, v46
	; wave barrier
	v_and_b32_e32 v2, v3, v2
	s_delay_alu instid0(VALU_DEP_1) | instskip(SKIP_1) | instid1(VALU_DEP_2)
	v_mbcnt_lo_u32_b32 v162, v2, 0
	v_cmp_ne_u32_e64 s16, 0, v2
	v_cmp_eq_u32_e32 vcc_lo, 0, v162
	s_delay_alu instid0(VALU_DEP_2) | instskip(NEXT) | instid1(SALU_CYCLE_1)
	s_and_b32 s17, s16, vcc_lo
	s_and_saveexec_b32 s16, s17
	s_cbranch_execz .LBB919_1016
; %bb.1015:                             ;   in Loop: Header=BB919_982 Depth=2
	s_waitcnt lgkmcnt(0)
	v_bcnt_u32_b32 v2, v2, v161
	ds_store_b32 v163, v2
.LBB919_1016:                           ;   in Loop: Header=BB919_982 Depth=2
	s_or_b32 exec_lo, exec_lo, s16
	v_xor_b32_e32 v160, 0x7fff7fff, v5
	; wave barrier
	s_delay_alu instid0(VALU_DEP_1) | instskip(NEXT) | instid1(VALU_DEP_1)
	v_and_b32_e32 v2, 0xffff, v160
	v_lshrrev_b32_e32 v2, s57, v2
	s_delay_alu instid0(VALU_DEP_1) | instskip(NEXT) | instid1(VALU_DEP_1)
	v_and_b32_e32 v2, s43, v2
	v_and_b32_e32 v3, 1, v2
	v_lshlrev_b32_e32 v4, 30, v2
	v_lshlrev_b32_e32 v5, 29, v2
	;; [unrolled: 1-line block ×4, first 2 shown]
	v_add_co_u32 v3, s16, v3, -1
	s_delay_alu instid0(VALU_DEP_1)
	v_cndmask_b32_e64 v46, 0, 1, s16
	v_not_b32_e32 v167, v4
	v_cmp_gt_i32_e64 s16, 0, v4
	v_not_b32_e32 v4, v5
	v_lshlrev_b32_e32 v165, 26, v2
	v_cmp_ne_u32_e32 vcc_lo, 0, v46
	v_ashrrev_i32_e32 v167, 31, v167
	v_lshlrev_b32_e32 v166, 25, v2
	v_ashrrev_i32_e32 v4, 31, v4
	v_lshlrev_b32_e32 v46, 24, v2
	v_xor_b32_e32 v3, vcc_lo, v3
	v_cmp_gt_i32_e32 vcc_lo, 0, v5
	v_not_b32_e32 v5, v45
	v_xor_b32_e32 v167, s16, v167
	v_cmp_gt_i32_e64 s16, 0, v45
	v_and_b32_e32 v3, exec_lo, v3
	v_not_b32_e32 v45, v164
	v_ashrrev_i32_e32 v5, 31, v5
	v_xor_b32_e32 v4, vcc_lo, v4
	v_cmp_gt_i32_e32 vcc_lo, 0, v164
	v_and_b32_e32 v3, v3, v167
	v_not_b32_e32 v164, v165
	v_ashrrev_i32_e32 v45, 31, v45
	v_xor_b32_e32 v5, s16, v5
	v_cmp_gt_i32_e64 s16, 0, v165
	v_and_b32_e32 v3, v3, v4
	v_not_b32_e32 v4, v166
	v_ashrrev_i32_e32 v164, 31, v164
	v_xor_b32_e32 v45, vcc_lo, v45
	v_cmp_gt_i32_e32 vcc_lo, 0, v166
	v_and_b32_e32 v3, v3, v5
	v_not_b32_e32 v5, v46
	v_ashrrev_i32_e32 v4, 31, v4
	v_xor_b32_e32 v164, s16, v164
	v_mul_u32_u24_e32 v2, 9, v2
	v_and_b32_e32 v3, v3, v45
	v_cmp_gt_i32_e64 s16, 0, v46
	v_ashrrev_i32_e32 v5, 31, v5
	v_xor_b32_e32 v4, vcc_lo, v4
	v_add_lshl_u32 v45, v2, v122, 2
	v_and_b32_e32 v3, v3, v164
	s_delay_alu instid0(VALU_DEP_4) | instskip(SKIP_3) | instid1(VALU_DEP_2)
	v_xor_b32_e32 v2, s16, v5
	ds_load_b32 v165, v45 offset:1056
	v_and_b32_e32 v3, v3, v4
	v_add_nc_u32_e32 v167, 0x420, v45
	; wave barrier
	v_and_b32_e32 v2, v3, v2
	s_delay_alu instid0(VALU_DEP_1) | instskip(SKIP_1) | instid1(VALU_DEP_2)
	v_mbcnt_lo_u32_b32 v166, v2, 0
	v_cmp_ne_u32_e64 s16, 0, v2
	v_cmp_eq_u32_e32 vcc_lo, 0, v166
	s_delay_alu instid0(VALU_DEP_2) | instskip(NEXT) | instid1(SALU_CYCLE_1)
	s_and_b32 s17, s16, vcc_lo
	s_and_saveexec_b32 s16, s17
	s_cbranch_execz .LBB919_1018
; %bb.1017:                             ;   in Loop: Header=BB919_982 Depth=2
	s_waitcnt lgkmcnt(0)
	v_bcnt_u32_b32 v2, v2, v165
	ds_store_b32 v167, v2
.LBB919_1018:                           ;   in Loop: Header=BB919_982 Depth=2
	s_or_b32 exec_lo, exec_lo, s16
	v_lshrrev_b32_e32 v164, 16, v160
	; wave barrier
	s_delay_alu instid0(VALU_DEP_1) | instskip(NEXT) | instid1(VALU_DEP_1)
	v_lshrrev_b32_e32 v2, s57, v164
	v_and_b32_e32 v2, s43, v2
	s_delay_alu instid0(VALU_DEP_1)
	v_and_b32_e32 v3, 1, v2
	v_lshlrev_b32_e32 v4, 30, v2
	v_lshlrev_b32_e32 v5, 29, v2
	;; [unrolled: 1-line block ×4, first 2 shown]
	v_add_co_u32 v3, s16, v3, -1
	s_delay_alu instid0(VALU_DEP_1)
	v_cndmask_b32_e64 v46, 0, 1, s16
	v_not_b32_e32 v171, v4
	v_cmp_gt_i32_e64 s16, 0, v4
	v_not_b32_e32 v4, v5
	v_lshlrev_b32_e32 v169, 26, v2
	v_cmp_ne_u32_e32 vcc_lo, 0, v46
	v_ashrrev_i32_e32 v171, 31, v171
	v_lshlrev_b32_e32 v170, 25, v2
	v_ashrrev_i32_e32 v4, 31, v4
	v_lshlrev_b32_e32 v46, 24, v2
	v_xor_b32_e32 v3, vcc_lo, v3
	v_cmp_gt_i32_e32 vcc_lo, 0, v5
	v_not_b32_e32 v5, v45
	v_xor_b32_e32 v171, s16, v171
	v_cmp_gt_i32_e64 s16, 0, v45
	v_and_b32_e32 v3, exec_lo, v3
	v_not_b32_e32 v45, v168
	v_ashrrev_i32_e32 v5, 31, v5
	v_xor_b32_e32 v4, vcc_lo, v4
	v_cmp_gt_i32_e32 vcc_lo, 0, v168
	v_and_b32_e32 v3, v3, v171
	v_not_b32_e32 v168, v169
	v_ashrrev_i32_e32 v45, 31, v45
	v_xor_b32_e32 v5, s16, v5
	v_cmp_gt_i32_e64 s16, 0, v169
	v_and_b32_e32 v3, v3, v4
	v_not_b32_e32 v4, v170
	v_ashrrev_i32_e32 v168, 31, v168
	v_xor_b32_e32 v45, vcc_lo, v45
	v_cmp_gt_i32_e32 vcc_lo, 0, v170
	v_and_b32_e32 v3, v3, v5
	v_not_b32_e32 v5, v46
	v_ashrrev_i32_e32 v4, 31, v4
	v_xor_b32_e32 v168, s16, v168
	v_mul_u32_u24_e32 v2, 9, v2
	v_and_b32_e32 v3, v3, v45
	v_cmp_gt_i32_e64 s16, 0, v46
	v_ashrrev_i32_e32 v5, 31, v5
	v_xor_b32_e32 v4, vcc_lo, v4
	v_add_lshl_u32 v45, v2, v122, 2
	v_and_b32_e32 v3, v3, v168
	s_delay_alu instid0(VALU_DEP_4) | instskip(SKIP_3) | instid1(VALU_DEP_2)
	v_xor_b32_e32 v2, s16, v5
	ds_load_b32 v169, v45 offset:1056
	v_and_b32_e32 v3, v3, v4
	v_add_nc_u32_e32 v171, 0x420, v45
	; wave barrier
	v_and_b32_e32 v2, v3, v2
	s_delay_alu instid0(VALU_DEP_1) | instskip(SKIP_1) | instid1(VALU_DEP_2)
	v_mbcnt_lo_u32_b32 v170, v2, 0
	v_cmp_ne_u32_e64 s16, 0, v2
	v_cmp_eq_u32_e32 vcc_lo, 0, v170
	s_delay_alu instid0(VALU_DEP_2) | instskip(NEXT) | instid1(SALU_CYCLE_1)
	s_and_b32 s17, s16, vcc_lo
	s_and_saveexec_b32 s16, s17
	s_cbranch_execz .LBB919_1020
; %bb.1019:                             ;   in Loop: Header=BB919_982 Depth=2
	s_waitcnt lgkmcnt(0)
	v_bcnt_u32_b32 v2, v2, v169
	ds_store_b32 v171, v2
.LBB919_1020:                           ;   in Loop: Header=BB919_982 Depth=2
	s_or_b32 exec_lo, exec_lo, s16
	v_xor_b32_e32 v168, 0x7fff7fff, v6
	; wave barrier
	s_delay_alu instid0(VALU_DEP_1) | instskip(NEXT) | instid1(VALU_DEP_1)
	v_and_b32_e32 v2, 0xffff, v168
	v_lshrrev_b32_e32 v2, s57, v2
	s_delay_alu instid0(VALU_DEP_1) | instskip(NEXT) | instid1(VALU_DEP_1)
	v_and_b32_e32 v2, s43, v2
	v_and_b32_e32 v3, 1, v2
	v_lshlrev_b32_e32 v4, 30, v2
	v_lshlrev_b32_e32 v5, 29, v2
	;; [unrolled: 1-line block ×4, first 2 shown]
	v_add_co_u32 v3, s16, v3, -1
	s_delay_alu instid0(VALU_DEP_1)
	v_cndmask_b32_e64 v45, 0, 1, s16
	v_not_b32_e32 v174, v4
	v_cmp_gt_i32_e64 s16, 0, v4
	v_not_b32_e32 v4, v5
	v_lshlrev_b32_e32 v172, 26, v2
	v_cmp_ne_u32_e32 vcc_lo, 0, v45
	v_ashrrev_i32_e32 v174, 31, v174
	v_lshlrev_b32_e32 v173, 25, v2
	v_ashrrev_i32_e32 v4, 31, v4
	v_lshlrev_b32_e32 v45, 24, v2
	v_xor_b32_e32 v3, vcc_lo, v3
	v_cmp_gt_i32_e32 vcc_lo, 0, v5
	v_not_b32_e32 v5, v6
	v_xor_b32_e32 v174, s16, v174
	v_cmp_gt_i32_e64 s16, 0, v6
	v_and_b32_e32 v3, exec_lo, v3
	v_not_b32_e32 v6, v46
	v_ashrrev_i32_e32 v5, 31, v5
	v_xor_b32_e32 v4, vcc_lo, v4
	v_cmp_gt_i32_e32 vcc_lo, 0, v46
	v_and_b32_e32 v3, v3, v174
	v_not_b32_e32 v46, v172
	v_ashrrev_i32_e32 v6, 31, v6
	v_xor_b32_e32 v5, s16, v5
	v_cmp_gt_i32_e64 s16, 0, v172
	v_and_b32_e32 v3, v3, v4
	v_not_b32_e32 v4, v173
	v_ashrrev_i32_e32 v46, 31, v46
	v_xor_b32_e32 v6, vcc_lo, v6
	v_cmp_gt_i32_e32 vcc_lo, 0, v173
	v_and_b32_e32 v3, v3, v5
	v_not_b32_e32 v5, v45
	v_ashrrev_i32_e32 v4, 31, v4
	v_xor_b32_e32 v46, s16, v46
	v_mul_u32_u24_e32 v2, 9, v2
	v_and_b32_e32 v3, v3, v6
	v_cmp_gt_i32_e64 s16, 0, v45
	v_ashrrev_i32_e32 v5, 31, v5
	v_xor_b32_e32 v4, vcc_lo, v4
	v_add_lshl_u32 v6, v2, v122, 2
	v_and_b32_e32 v3, v3, v46
	s_delay_alu instid0(VALU_DEP_4) | instskip(SKIP_3) | instid1(VALU_DEP_2)
	v_xor_b32_e32 v2, s16, v5
	ds_load_b32 v173, v6 offset:1056
	v_and_b32_e32 v3, v3, v4
	v_add_nc_u32_e32 v175, 0x420, v6
	; wave barrier
	v_and_b32_e32 v2, v3, v2
	s_delay_alu instid0(VALU_DEP_1) | instskip(SKIP_1) | instid1(VALU_DEP_2)
	v_mbcnt_lo_u32_b32 v174, v2, 0
	v_cmp_ne_u32_e64 s16, 0, v2
	v_cmp_eq_u32_e32 vcc_lo, 0, v174
	s_delay_alu instid0(VALU_DEP_2) | instskip(NEXT) | instid1(SALU_CYCLE_1)
	s_and_b32 s17, s16, vcc_lo
	s_and_saveexec_b32 s16, s17
	s_cbranch_execz .LBB919_1022
; %bb.1021:                             ;   in Loop: Header=BB919_982 Depth=2
	s_waitcnt lgkmcnt(0)
	v_bcnt_u32_b32 v2, v2, v173
	ds_store_b32 v175, v2
.LBB919_1022:                           ;   in Loop: Header=BB919_982 Depth=2
	s_or_b32 exec_lo, exec_lo, s16
	v_lshrrev_b32_e32 v172, 16, v168
	; wave barrier
	s_delay_alu instid0(VALU_DEP_1) | instskip(NEXT) | instid1(VALU_DEP_1)
	v_lshrrev_b32_e32 v2, s57, v172
	v_and_b32_e32 v2, s43, v2
	s_delay_alu instid0(VALU_DEP_1)
	v_and_b32_e32 v3, 1, v2
	v_lshlrev_b32_e32 v4, 30, v2
	v_lshlrev_b32_e32 v5, 29, v2
	;; [unrolled: 1-line block ×4, first 2 shown]
	v_add_co_u32 v3, s16, v3, -1
	s_delay_alu instid0(VALU_DEP_1)
	v_cndmask_b32_e64 v45, 0, 1, s16
	v_not_b32_e32 v178, v4
	v_cmp_gt_i32_e64 s16, 0, v4
	v_not_b32_e32 v4, v5
	v_lshlrev_b32_e32 v176, 26, v2
	v_cmp_ne_u32_e32 vcc_lo, 0, v45
	v_ashrrev_i32_e32 v178, 31, v178
	v_lshlrev_b32_e32 v177, 25, v2
	v_ashrrev_i32_e32 v4, 31, v4
	v_lshlrev_b32_e32 v45, 24, v2
	v_xor_b32_e32 v3, vcc_lo, v3
	v_cmp_gt_i32_e32 vcc_lo, 0, v5
	v_not_b32_e32 v5, v6
	v_xor_b32_e32 v178, s16, v178
	v_cmp_gt_i32_e64 s16, 0, v6
	v_and_b32_e32 v3, exec_lo, v3
	v_not_b32_e32 v6, v46
	v_ashrrev_i32_e32 v5, 31, v5
	v_xor_b32_e32 v4, vcc_lo, v4
	v_cmp_gt_i32_e32 vcc_lo, 0, v46
	v_and_b32_e32 v3, v3, v178
	v_not_b32_e32 v46, v176
	v_ashrrev_i32_e32 v6, 31, v6
	v_xor_b32_e32 v5, s16, v5
	v_cmp_gt_i32_e64 s16, 0, v176
	v_and_b32_e32 v3, v3, v4
	v_not_b32_e32 v4, v177
	v_ashrrev_i32_e32 v46, 31, v46
	v_xor_b32_e32 v6, vcc_lo, v6
	v_cmp_gt_i32_e32 vcc_lo, 0, v177
	v_and_b32_e32 v3, v3, v5
	v_not_b32_e32 v5, v45
	v_ashrrev_i32_e32 v4, 31, v4
	v_xor_b32_e32 v46, s16, v46
	v_mul_u32_u24_e32 v2, 9, v2
	v_and_b32_e32 v3, v3, v6
	v_cmp_gt_i32_e64 s16, 0, v45
	v_ashrrev_i32_e32 v5, 31, v5
	v_xor_b32_e32 v4, vcc_lo, v4
	v_add_lshl_u32 v6, v2, v122, 2
	v_and_b32_e32 v3, v3, v46
	s_delay_alu instid0(VALU_DEP_4) | instskip(SKIP_3) | instid1(VALU_DEP_2)
	v_xor_b32_e32 v2, s16, v5
	ds_load_b32 v177, v6 offset:1056
	v_and_b32_e32 v3, v3, v4
	v_add_nc_u32_e32 v179, 0x420, v6
	; wave barrier
	v_and_b32_e32 v2, v3, v2
	s_delay_alu instid0(VALU_DEP_1) | instskip(SKIP_1) | instid1(VALU_DEP_2)
	v_mbcnt_lo_u32_b32 v178, v2, 0
	v_cmp_ne_u32_e64 s16, 0, v2
	v_cmp_eq_u32_e32 vcc_lo, 0, v178
	s_delay_alu instid0(VALU_DEP_2) | instskip(NEXT) | instid1(SALU_CYCLE_1)
	s_and_b32 s17, s16, vcc_lo
	s_and_saveexec_b32 s16, s17
	s_cbranch_execz .LBB919_1024
; %bb.1023:                             ;   in Loop: Header=BB919_982 Depth=2
	s_waitcnt lgkmcnt(0)
	v_bcnt_u32_b32 v2, v2, v177
	ds_store_b32 v179, v2
.LBB919_1024:                           ;   in Loop: Header=BB919_982 Depth=2
	s_or_b32 exec_lo, exec_lo, s16
	v_xor_b32_e32 v176, 0x7fff7fff, v7
	; wave barrier
	s_delay_alu instid0(VALU_DEP_1) | instskip(NEXT) | instid1(VALU_DEP_1)
	v_and_b32_e32 v2, 0xffff, v176
	v_lshrrev_b32_e32 v2, s57, v2
	s_delay_alu instid0(VALU_DEP_1) | instskip(NEXT) | instid1(VALU_DEP_1)
	v_and_b32_e32 v2, s43, v2
	v_and_b32_e32 v3, 1, v2
	v_lshlrev_b32_e32 v4, 30, v2
	v_lshlrev_b32_e32 v5, 29, v2
	;; [unrolled: 1-line block ×4, first 2 shown]
	v_add_co_u32 v3, s16, v3, -1
	s_delay_alu instid0(VALU_DEP_1)
	v_cndmask_b32_e64 v7, 0, 1, s16
	v_not_b32_e32 v181, v4
	v_cmp_gt_i32_e64 s16, 0, v4
	v_not_b32_e32 v4, v5
	v_lshlrev_b32_e32 v46, 26, v2
	v_cmp_ne_u32_e32 vcc_lo, 0, v7
	v_ashrrev_i32_e32 v181, 31, v181
	v_lshlrev_b32_e32 v180, 25, v2
	v_ashrrev_i32_e32 v4, 31, v4
	v_lshlrev_b32_e32 v7, 24, v2
	v_xor_b32_e32 v3, vcc_lo, v3
	v_cmp_gt_i32_e32 vcc_lo, 0, v5
	v_not_b32_e32 v5, v6
	v_xor_b32_e32 v181, s16, v181
	v_cmp_gt_i32_e64 s16, 0, v6
	v_and_b32_e32 v3, exec_lo, v3
	v_not_b32_e32 v6, v45
	v_ashrrev_i32_e32 v5, 31, v5
	v_xor_b32_e32 v4, vcc_lo, v4
	v_cmp_gt_i32_e32 vcc_lo, 0, v45
	v_and_b32_e32 v3, v3, v181
	v_not_b32_e32 v45, v46
	v_ashrrev_i32_e32 v6, 31, v6
	v_xor_b32_e32 v5, s16, v5
	v_cmp_gt_i32_e64 s16, 0, v46
	v_and_b32_e32 v3, v3, v4
	v_not_b32_e32 v4, v180
	v_ashrrev_i32_e32 v45, 31, v45
	v_xor_b32_e32 v6, vcc_lo, v6
	v_cmp_gt_i32_e32 vcc_lo, 0, v180
	v_and_b32_e32 v3, v3, v5
	v_not_b32_e32 v5, v7
	v_ashrrev_i32_e32 v4, 31, v4
	v_xor_b32_e32 v45, s16, v45
	v_mul_u32_u24_e32 v2, 9, v2
	v_and_b32_e32 v3, v3, v6
	v_cmp_gt_i32_e64 s16, 0, v7
	v_ashrrev_i32_e32 v5, 31, v5
	v_xor_b32_e32 v4, vcc_lo, v4
	v_add_lshl_u32 v6, v2, v122, 2
	v_and_b32_e32 v3, v3, v45
	s_delay_alu instid0(VALU_DEP_4) | instskip(SKIP_3) | instid1(VALU_DEP_2)
	v_xor_b32_e32 v2, s16, v5
	ds_load_b32 v181, v6 offset:1056
	v_and_b32_e32 v3, v3, v4
	v_add_nc_u32_e32 v183, 0x420, v6
	; wave barrier
	v_and_b32_e32 v2, v3, v2
	s_delay_alu instid0(VALU_DEP_1) | instskip(SKIP_1) | instid1(VALU_DEP_2)
	v_mbcnt_lo_u32_b32 v182, v2, 0
	v_cmp_ne_u32_e64 s16, 0, v2
	v_cmp_eq_u32_e32 vcc_lo, 0, v182
	s_delay_alu instid0(VALU_DEP_2) | instskip(NEXT) | instid1(SALU_CYCLE_1)
	s_and_b32 s17, s16, vcc_lo
	s_and_saveexec_b32 s16, s17
	s_cbranch_execz .LBB919_1026
; %bb.1025:                             ;   in Loop: Header=BB919_982 Depth=2
	s_waitcnt lgkmcnt(0)
	v_bcnt_u32_b32 v2, v2, v181
	ds_store_b32 v183, v2
.LBB919_1026:                           ;   in Loop: Header=BB919_982 Depth=2
	s_or_b32 exec_lo, exec_lo, s16
	v_lshrrev_b32_e32 v180, 16, v176
	; wave barrier
	s_delay_alu instid0(VALU_DEP_1) | instskip(NEXT) | instid1(VALU_DEP_1)
	v_lshrrev_b32_e32 v2, s57, v180
	v_and_b32_e32 v2, s43, v2
	s_delay_alu instid0(VALU_DEP_1)
	v_and_b32_e32 v3, 1, v2
	v_lshlrev_b32_e32 v4, 30, v2
	v_lshlrev_b32_e32 v5, 29, v2
	;; [unrolled: 1-line block ×4, first 2 shown]
	v_add_co_u32 v3, s16, v3, -1
	s_delay_alu instid0(VALU_DEP_1)
	v_cndmask_b32_e64 v7, 0, 1, s16
	v_not_b32_e32 v185, v4
	v_cmp_gt_i32_e64 s16, 0, v4
	v_not_b32_e32 v4, v5
	v_lshlrev_b32_e32 v46, 26, v2
	v_cmp_ne_u32_e32 vcc_lo, 0, v7
	v_ashrrev_i32_e32 v185, 31, v185
	v_lshlrev_b32_e32 v184, 25, v2
	v_ashrrev_i32_e32 v4, 31, v4
	v_lshlrev_b32_e32 v7, 24, v2
	v_xor_b32_e32 v3, vcc_lo, v3
	v_cmp_gt_i32_e32 vcc_lo, 0, v5
	v_not_b32_e32 v5, v6
	v_xor_b32_e32 v185, s16, v185
	v_cmp_gt_i32_e64 s16, 0, v6
	v_and_b32_e32 v3, exec_lo, v3
	v_not_b32_e32 v6, v45
	v_ashrrev_i32_e32 v5, 31, v5
	v_xor_b32_e32 v4, vcc_lo, v4
	v_cmp_gt_i32_e32 vcc_lo, 0, v45
	v_and_b32_e32 v3, v3, v185
	v_not_b32_e32 v45, v46
	v_ashrrev_i32_e32 v6, 31, v6
	v_xor_b32_e32 v5, s16, v5
	v_cmp_gt_i32_e64 s16, 0, v46
	v_and_b32_e32 v3, v3, v4
	v_not_b32_e32 v4, v184
	v_ashrrev_i32_e32 v45, 31, v45
	v_xor_b32_e32 v6, vcc_lo, v6
	v_cmp_gt_i32_e32 vcc_lo, 0, v184
	v_and_b32_e32 v3, v3, v5
	v_not_b32_e32 v5, v7
	v_ashrrev_i32_e32 v4, 31, v4
	v_xor_b32_e32 v45, s16, v45
	v_mul_u32_u24_e32 v2, 9, v2
	v_and_b32_e32 v3, v3, v6
	v_cmp_gt_i32_e64 s16, 0, v7
	v_ashrrev_i32_e32 v5, 31, v5
	v_xor_b32_e32 v4, vcc_lo, v4
	v_add_lshl_u32 v6, v2, v122, 2
	v_and_b32_e32 v3, v3, v45
	s_delay_alu instid0(VALU_DEP_4) | instskip(SKIP_3) | instid1(VALU_DEP_2)
	v_xor_b32_e32 v2, s16, v5
	ds_load_b32 v185, v6 offset:1056
	v_and_b32_e32 v3, v3, v4
	v_add_nc_u32_e32 v187, 0x420, v6
	; wave barrier
	v_and_b32_e32 v2, v3, v2
	s_delay_alu instid0(VALU_DEP_1) | instskip(SKIP_1) | instid1(VALU_DEP_2)
	v_mbcnt_lo_u32_b32 v186, v2, 0
	v_cmp_ne_u32_e64 s16, 0, v2
	v_cmp_eq_u32_e32 vcc_lo, 0, v186
	s_delay_alu instid0(VALU_DEP_2) | instskip(NEXT) | instid1(SALU_CYCLE_1)
	s_and_b32 s17, s16, vcc_lo
	s_and_saveexec_b32 s16, s17
	s_cbranch_execz .LBB919_1028
; %bb.1027:                             ;   in Loop: Header=BB919_982 Depth=2
	s_waitcnt lgkmcnt(0)
	v_bcnt_u32_b32 v2, v2, v185
	ds_store_b32 v187, v2
.LBB919_1028:                           ;   in Loop: Header=BB919_982 Depth=2
	s_or_b32 exec_lo, exec_lo, s16
	v_xor_b32_e32 v184, 0x7fff7fff, v8
	; wave barrier
	s_delay_alu instid0(VALU_DEP_1) | instskip(NEXT) | instid1(VALU_DEP_1)
	v_and_b32_e32 v2, 0xffff, v184
	v_lshrrev_b32_e32 v2, s57, v2
	s_delay_alu instid0(VALU_DEP_1) | instskip(NEXT) | instid1(VALU_DEP_1)
	v_and_b32_e32 v2, s43, v2
	v_and_b32_e32 v3, 1, v2
	v_lshlrev_b32_e32 v4, 30, v2
	v_lshlrev_b32_e32 v5, 29, v2
	;; [unrolled: 1-line block ×4, first 2 shown]
	v_add_co_u32 v3, s16, v3, -1
	s_delay_alu instid0(VALU_DEP_1)
	v_cndmask_b32_e64 v7, 0, 1, s16
	v_not_b32_e32 v188, v4
	v_cmp_gt_i32_e64 s16, 0, v4
	v_not_b32_e32 v4, v5
	v_lshlrev_b32_e32 v45, 26, v2
	v_cmp_ne_u32_e32 vcc_lo, 0, v7
	v_ashrrev_i32_e32 v188, 31, v188
	v_lshlrev_b32_e32 v46, 25, v2
	v_ashrrev_i32_e32 v4, 31, v4
	v_lshlrev_b32_e32 v7, 24, v2
	v_xor_b32_e32 v3, vcc_lo, v3
	v_cmp_gt_i32_e32 vcc_lo, 0, v5
	v_not_b32_e32 v5, v6
	v_xor_b32_e32 v188, s16, v188
	v_cmp_gt_i32_e64 s16, 0, v6
	v_and_b32_e32 v3, exec_lo, v3
	v_not_b32_e32 v6, v8
	v_ashrrev_i32_e32 v5, 31, v5
	v_xor_b32_e32 v4, vcc_lo, v4
	v_cmp_gt_i32_e32 vcc_lo, 0, v8
	v_and_b32_e32 v3, v3, v188
	v_not_b32_e32 v8, v45
	v_ashrrev_i32_e32 v6, 31, v6
	v_xor_b32_e32 v5, s16, v5
	v_cmp_gt_i32_e64 s16, 0, v45
	v_and_b32_e32 v3, v3, v4
	v_not_b32_e32 v4, v46
	v_ashrrev_i32_e32 v8, 31, v8
	v_xor_b32_e32 v6, vcc_lo, v6
	v_cmp_gt_i32_e32 vcc_lo, 0, v46
	v_and_b32_e32 v3, v3, v5
	v_not_b32_e32 v5, v7
	v_ashrrev_i32_e32 v4, 31, v4
	v_xor_b32_e32 v8, s16, v8
	v_mul_u32_u24_e32 v2, 9, v2
	v_and_b32_e32 v3, v3, v6
	v_cmp_gt_i32_e64 s16, 0, v7
	v_ashrrev_i32_e32 v5, 31, v5
	v_xor_b32_e32 v4, vcc_lo, v4
	v_add_lshl_u32 v6, v2, v122, 2
	v_and_b32_e32 v3, v3, v8
	s_delay_alu instid0(VALU_DEP_4) | instskip(SKIP_3) | instid1(VALU_DEP_2)
	v_xor_b32_e32 v2, s16, v5
	ds_load_b32 v189, v6 offset:1056
	v_and_b32_e32 v3, v3, v4
	v_add_nc_u32_e32 v8, 0x420, v6
	; wave barrier
	v_and_b32_e32 v2, v3, v2
	s_delay_alu instid0(VALU_DEP_1) | instskip(SKIP_1) | instid1(VALU_DEP_2)
	v_mbcnt_lo_u32_b32 v190, v2, 0
	v_cmp_ne_u32_e64 s16, 0, v2
	v_cmp_eq_u32_e32 vcc_lo, 0, v190
	s_delay_alu instid0(VALU_DEP_2) | instskip(NEXT) | instid1(SALU_CYCLE_1)
	s_and_b32 s17, s16, vcc_lo
	s_and_saveexec_b32 s16, s17
	s_cbranch_execz .LBB919_1030
; %bb.1029:                             ;   in Loop: Header=BB919_982 Depth=2
	s_waitcnt lgkmcnt(0)
	v_bcnt_u32_b32 v2, v2, v189
	ds_store_b32 v8, v2
.LBB919_1030:                           ;   in Loop: Header=BB919_982 Depth=2
	s_or_b32 exec_lo, exec_lo, s16
	v_lshrrev_b32_e32 v188, 16, v184
	; wave barrier
	s_delay_alu instid0(VALU_DEP_1) | instskip(NEXT) | instid1(VALU_DEP_1)
	v_lshrrev_b32_e32 v2, s57, v188
	v_and_b32_e32 v2, s43, v2
	s_delay_alu instid0(VALU_DEP_1)
	v_and_b32_e32 v3, 1, v2
	v_lshlrev_b32_e32 v4, 30, v2
	v_lshlrev_b32_e32 v5, 29, v2
	;; [unrolled: 1-line block ×4, first 2 shown]
	v_add_co_u32 v3, s16, v3, -1
	s_delay_alu instid0(VALU_DEP_1)
	v_cndmask_b32_e64 v7, 0, 1, s16
	v_not_b32_e32 v192, v4
	v_cmp_gt_i32_e64 s16, 0, v4
	v_not_b32_e32 v4, v5
	v_lshlrev_b32_e32 v46, 26, v2
	v_cmp_ne_u32_e32 vcc_lo, 0, v7
	v_ashrrev_i32_e32 v192, 31, v192
	v_lshlrev_b32_e32 v191, 25, v2
	v_ashrrev_i32_e32 v4, 31, v4
	v_lshlrev_b32_e32 v7, 24, v2
	v_xor_b32_e32 v3, vcc_lo, v3
	v_cmp_gt_i32_e32 vcc_lo, 0, v5
	v_not_b32_e32 v5, v6
	v_xor_b32_e32 v192, s16, v192
	v_cmp_gt_i32_e64 s16, 0, v6
	v_and_b32_e32 v3, exec_lo, v3
	v_not_b32_e32 v6, v45
	v_ashrrev_i32_e32 v5, 31, v5
	v_xor_b32_e32 v4, vcc_lo, v4
	v_cmp_gt_i32_e32 vcc_lo, 0, v45
	v_and_b32_e32 v3, v3, v192
	v_not_b32_e32 v45, v46
	v_ashrrev_i32_e32 v6, 31, v6
	v_xor_b32_e32 v5, s16, v5
	v_cmp_gt_i32_e64 s16, 0, v46
	v_and_b32_e32 v3, v3, v4
	v_not_b32_e32 v4, v191
	v_ashrrev_i32_e32 v45, 31, v45
	v_xor_b32_e32 v6, vcc_lo, v6
	v_cmp_gt_i32_e32 vcc_lo, 0, v191
	v_and_b32_e32 v3, v3, v5
	v_not_b32_e32 v5, v7
	v_ashrrev_i32_e32 v4, 31, v4
	v_xor_b32_e32 v45, s16, v45
	v_mul_u32_u24_e32 v2, 9, v2
	v_and_b32_e32 v3, v3, v6
	v_cmp_gt_i32_e64 s16, 0, v7
	v_ashrrev_i32_e32 v5, 31, v5
	v_xor_b32_e32 v4, vcc_lo, v4
	v_add_lshl_u32 v6, v2, v122, 2
	v_and_b32_e32 v3, v3, v45
	s_delay_alu instid0(VALU_DEP_4) | instskip(SKIP_3) | instid1(VALU_DEP_2)
	v_xor_b32_e32 v2, s16, v5
	ds_load_b32 v191, v6 offset:1056
	v_and_b32_e32 v3, v3, v4
	v_add_nc_u32_e32 v193, 0x420, v6
	; wave barrier
	v_and_b32_e32 v2, v3, v2
	s_delay_alu instid0(VALU_DEP_1) | instskip(SKIP_1) | instid1(VALU_DEP_2)
	v_mbcnt_lo_u32_b32 v192, v2, 0
	v_cmp_ne_u32_e64 s16, 0, v2
	v_cmp_eq_u32_e32 vcc_lo, 0, v192
	s_delay_alu instid0(VALU_DEP_2) | instskip(NEXT) | instid1(SALU_CYCLE_1)
	s_and_b32 s17, s16, vcc_lo
	s_and_saveexec_b32 s16, s17
	s_cbranch_execz .LBB919_1032
; %bb.1031:                             ;   in Loop: Header=BB919_982 Depth=2
	s_waitcnt lgkmcnt(0)
	v_bcnt_u32_b32 v2, v2, v191
	ds_store_b32 v193, v2
.LBB919_1032:                           ;   in Loop: Header=BB919_982 Depth=2
	s_or_b32 exec_lo, exec_lo, s16
	v_xor_b32_e32 v9, 0x7fff7fff, v9
	; wave barrier
	s_delay_alu instid0(VALU_DEP_1) | instskip(NEXT) | instid1(VALU_DEP_1)
	v_and_b32_e32 v2, 0xffff, v9
	v_lshrrev_b32_e32 v2, s57, v2
	s_delay_alu instid0(VALU_DEP_1) | instskip(NEXT) | instid1(VALU_DEP_1)
	v_and_b32_e32 v2, s43, v2
	v_and_b32_e32 v3, 1, v2
	v_lshlrev_b32_e32 v4, 30, v2
	v_lshlrev_b32_e32 v5, 29, v2
	;; [unrolled: 1-line block ×4, first 2 shown]
	v_add_co_u32 v3, s16, v3, -1
	s_delay_alu instid0(VALU_DEP_1)
	v_cndmask_b32_e64 v7, 0, 1, s16
	v_not_b32_e32 v195, v4
	v_cmp_gt_i32_e64 s16, 0, v4
	v_not_b32_e32 v4, v5
	v_lshlrev_b32_e32 v46, 26, v2
	v_cmp_ne_u32_e32 vcc_lo, 0, v7
	v_ashrrev_i32_e32 v195, 31, v195
	v_lshlrev_b32_e32 v194, 25, v2
	v_ashrrev_i32_e32 v4, 31, v4
	v_lshlrev_b32_e32 v7, 24, v2
	v_xor_b32_e32 v3, vcc_lo, v3
	v_cmp_gt_i32_e32 vcc_lo, 0, v5
	v_not_b32_e32 v5, v6
	v_xor_b32_e32 v195, s16, v195
	v_cmp_gt_i32_e64 s16, 0, v6
	v_and_b32_e32 v3, exec_lo, v3
	v_not_b32_e32 v6, v45
	v_ashrrev_i32_e32 v5, 31, v5
	v_xor_b32_e32 v4, vcc_lo, v4
	v_cmp_gt_i32_e32 vcc_lo, 0, v45
	v_and_b32_e32 v3, v3, v195
	v_not_b32_e32 v45, v46
	v_ashrrev_i32_e32 v6, 31, v6
	v_xor_b32_e32 v5, s16, v5
	v_cmp_gt_i32_e64 s16, 0, v46
	v_and_b32_e32 v3, v3, v4
	v_not_b32_e32 v4, v194
	v_ashrrev_i32_e32 v45, 31, v45
	v_xor_b32_e32 v6, vcc_lo, v6
	v_cmp_gt_i32_e32 vcc_lo, 0, v194
	v_and_b32_e32 v3, v3, v5
	v_not_b32_e32 v5, v7
	v_ashrrev_i32_e32 v4, 31, v4
	v_xor_b32_e32 v45, s16, v45
	v_mul_u32_u24_e32 v2, 9, v2
	v_and_b32_e32 v3, v3, v6
	v_cmp_gt_i32_e64 s16, 0, v7
	v_ashrrev_i32_e32 v5, 31, v5
	v_xor_b32_e32 v4, vcc_lo, v4
	v_add_lshl_u32 v6, v2, v122, 2
	v_and_b32_e32 v3, v3, v45
	s_delay_alu instid0(VALU_DEP_4) | instskip(SKIP_3) | instid1(VALU_DEP_2)
	v_xor_b32_e32 v2, s16, v5
	ds_load_b32 v195, v6 offset:1056
	v_and_b32_e32 v3, v3, v4
	v_add_nc_u32_e32 v197, 0x420, v6
	; wave barrier
	v_and_b32_e32 v2, v3, v2
	s_delay_alu instid0(VALU_DEP_1) | instskip(SKIP_1) | instid1(VALU_DEP_2)
	v_mbcnt_lo_u32_b32 v196, v2, 0
	v_cmp_ne_u32_e64 s16, 0, v2
	v_cmp_eq_u32_e32 vcc_lo, 0, v196
	s_delay_alu instid0(VALU_DEP_2) | instskip(NEXT) | instid1(SALU_CYCLE_1)
	s_and_b32 s17, s16, vcc_lo
	s_and_saveexec_b32 s16, s17
	s_cbranch_execz .LBB919_1034
; %bb.1033:                             ;   in Loop: Header=BB919_982 Depth=2
	s_waitcnt lgkmcnt(0)
	v_bcnt_u32_b32 v2, v2, v195
	ds_store_b32 v197, v2
.LBB919_1034:                           ;   in Loop: Header=BB919_982 Depth=2
	s_or_b32 exec_lo, exec_lo, s16
	v_lshrrev_b32_e32 v194, 16, v9
	; wave barrier
	s_delay_alu instid0(VALU_DEP_1) | instskip(NEXT) | instid1(VALU_DEP_1)
	v_lshrrev_b32_e32 v2, s57, v194
	v_and_b32_e32 v2, s43, v2
	s_delay_alu instid0(VALU_DEP_1)
	v_and_b32_e32 v3, 1, v2
	v_lshlrev_b32_e32 v4, 30, v2
	v_lshlrev_b32_e32 v5, 29, v2
	;; [unrolled: 1-line block ×4, first 2 shown]
	v_add_co_u32 v3, s16, v3, -1
	s_delay_alu instid0(VALU_DEP_1)
	v_cndmask_b32_e64 v7, 0, 1, s16
	v_not_b32_e32 v199, v4
	v_cmp_gt_i32_e64 s16, 0, v4
	v_not_b32_e32 v4, v5
	v_lshlrev_b32_e32 v46, 26, v2
	v_cmp_ne_u32_e32 vcc_lo, 0, v7
	v_ashrrev_i32_e32 v199, 31, v199
	v_lshlrev_b32_e32 v198, 25, v2
	v_ashrrev_i32_e32 v4, 31, v4
	v_lshlrev_b32_e32 v7, 24, v2
	v_xor_b32_e32 v3, vcc_lo, v3
	v_cmp_gt_i32_e32 vcc_lo, 0, v5
	v_not_b32_e32 v5, v6
	v_xor_b32_e32 v199, s16, v199
	v_cmp_gt_i32_e64 s16, 0, v6
	v_and_b32_e32 v3, exec_lo, v3
	v_not_b32_e32 v6, v45
	v_ashrrev_i32_e32 v5, 31, v5
	v_xor_b32_e32 v4, vcc_lo, v4
	v_cmp_gt_i32_e32 vcc_lo, 0, v45
	v_and_b32_e32 v3, v3, v199
	v_not_b32_e32 v45, v46
	v_ashrrev_i32_e32 v6, 31, v6
	v_xor_b32_e32 v5, s16, v5
	v_cmp_gt_i32_e64 s16, 0, v46
	v_and_b32_e32 v3, v3, v4
	v_not_b32_e32 v4, v198
	v_ashrrev_i32_e32 v45, 31, v45
	v_xor_b32_e32 v6, vcc_lo, v6
	v_cmp_gt_i32_e32 vcc_lo, 0, v198
	v_and_b32_e32 v3, v3, v5
	v_not_b32_e32 v5, v7
	v_ashrrev_i32_e32 v4, 31, v4
	v_xor_b32_e32 v45, s16, v45
	v_mul_u32_u24_e32 v2, 9, v2
	v_and_b32_e32 v3, v3, v6
	v_cmp_gt_i32_e64 s16, 0, v7
	v_ashrrev_i32_e32 v5, 31, v5
	v_xor_b32_e32 v4, vcc_lo, v4
	v_add_lshl_u32 v6, v2, v122, 2
	v_and_b32_e32 v3, v3, v45
	s_delay_alu instid0(VALU_DEP_4) | instskip(SKIP_3) | instid1(VALU_DEP_2)
	v_xor_b32_e32 v2, s16, v5
	ds_load_b32 v198, v6 offset:1056
	v_and_b32_e32 v3, v3, v4
	v_add_nc_u32_e32 v200, 0x420, v6
	; wave barrier
	v_and_b32_e32 v2, v3, v2
	s_delay_alu instid0(VALU_DEP_1) | instskip(SKIP_1) | instid1(VALU_DEP_2)
	v_mbcnt_lo_u32_b32 v199, v2, 0
	v_cmp_ne_u32_e64 s16, 0, v2
	v_cmp_eq_u32_e32 vcc_lo, 0, v199
	s_delay_alu instid0(VALU_DEP_2) | instskip(NEXT) | instid1(SALU_CYCLE_1)
	s_and_b32 s17, s16, vcc_lo
	s_and_saveexec_b32 s16, s17
	s_cbranch_execz .LBB919_1036
; %bb.1035:                             ;   in Loop: Header=BB919_982 Depth=2
	s_waitcnt lgkmcnt(0)
	v_bcnt_u32_b32 v2, v2, v198
	ds_store_b32 v200, v2
.LBB919_1036:                           ;   in Loop: Header=BB919_982 Depth=2
	s_or_b32 exec_lo, exec_lo, s16
	; wave barrier
	s_waitcnt lgkmcnt(0)
	s_barrier
	buffer_gl0_inv
	ds_load_b32 v201, v73 offset:1056
	ds_load_2addr_b32 v[45:46], v75 offset0:1 offset1:2
	ds_load_2addr_b32 v[6:7], v75 offset0:3 offset1:4
	;; [unrolled: 1-line block ×4, first 2 shown]
	s_waitcnt lgkmcnt(3)
	v_add3_u32 v202, v45, v201, v46
	s_waitcnt lgkmcnt(2)
	s_delay_alu instid0(VALU_DEP_1) | instskip(SKIP_1) | instid1(VALU_DEP_1)
	v_add3_u32 v202, v202, v6, v7
	s_waitcnt lgkmcnt(1)
	v_add3_u32 v202, v202, v2, v3
	s_waitcnt lgkmcnt(0)
	s_delay_alu instid0(VALU_DEP_1) | instskip(NEXT) | instid1(VALU_DEP_1)
	v_add3_u32 v5, v202, v4, v5
	v_mov_b32_dpp v202, v5 row_shr:1 row_mask:0xf bank_mask:0xf
	s_delay_alu instid0(VALU_DEP_1) | instskip(NEXT) | instid1(VALU_DEP_1)
	v_cndmask_b32_e64 v202, v202, 0, s1
	v_add_nc_u32_e32 v5, v202, v5
	s_delay_alu instid0(VALU_DEP_1) | instskip(NEXT) | instid1(VALU_DEP_1)
	v_mov_b32_dpp v202, v5 row_shr:2 row_mask:0xf bank_mask:0xf
	v_cndmask_b32_e64 v202, 0, v202, s7
	s_delay_alu instid0(VALU_DEP_1) | instskip(NEXT) | instid1(VALU_DEP_1)
	v_add_nc_u32_e32 v5, v5, v202
	v_mov_b32_dpp v202, v5 row_shr:4 row_mask:0xf bank_mask:0xf
	s_delay_alu instid0(VALU_DEP_1) | instskip(NEXT) | instid1(VALU_DEP_1)
	v_cndmask_b32_e64 v202, 0, v202, s8
	v_add_nc_u32_e32 v5, v5, v202
	s_delay_alu instid0(VALU_DEP_1) | instskip(NEXT) | instid1(VALU_DEP_1)
	v_mov_b32_dpp v202, v5 row_shr:8 row_mask:0xf bank_mask:0xf
	v_cndmask_b32_e64 v202, 0, v202, s9
	s_delay_alu instid0(VALU_DEP_1) | instskip(SKIP_3) | instid1(VALU_DEP_1)
	v_add_nc_u32_e32 v5, v5, v202
	ds_swizzle_b32 v202, v5 offset:swizzle(BROADCAST,32,15)
	s_waitcnt lgkmcnt(0)
	v_cndmask_b32_e64 v202, v202, 0, s10
	v_add_nc_u32_e32 v5, v5, v202
	s_and_saveexec_b32 s16, s3
	s_cbranch_execz .LBB919_1038
; %bb.1037:                             ;   in Loop: Header=BB919_982 Depth=2
	ds_store_b32 v65, v5 offset:1024
.LBB919_1038:                           ;   in Loop: Header=BB919_982 Depth=2
	s_or_b32 exec_lo, exec_lo, s16
	s_waitcnt lgkmcnt(0)
	s_barrier
	buffer_gl0_inv
	s_and_saveexec_b32 s16, s4
	s_cbranch_execz .LBB919_1040
; %bb.1039:                             ;   in Loop: Header=BB919_982 Depth=2
	ds_load_b32 v202, v76 offset:1024
	s_waitcnt lgkmcnt(0)
	v_mov_b32_dpp v203, v202 row_shr:1 row_mask:0xf bank_mask:0xf
	s_delay_alu instid0(VALU_DEP_1) | instskip(NEXT) | instid1(VALU_DEP_1)
	v_cndmask_b32_e64 v203, v203, 0, s12
	v_add_nc_u32_e32 v202, v203, v202
	s_delay_alu instid0(VALU_DEP_1) | instskip(NEXT) | instid1(VALU_DEP_1)
	v_mov_b32_dpp v203, v202 row_shr:2 row_mask:0xf bank_mask:0xf
	v_cndmask_b32_e64 v203, 0, v203, s13
	s_delay_alu instid0(VALU_DEP_1) | instskip(NEXT) | instid1(VALU_DEP_1)
	v_add_nc_u32_e32 v202, v202, v203
	v_mov_b32_dpp v203, v202 row_shr:4 row_mask:0xf bank_mask:0xf
	s_delay_alu instid0(VALU_DEP_1) | instskip(NEXT) | instid1(VALU_DEP_1)
	v_cndmask_b32_e64 v203, 0, v203, s14
	v_add_nc_u32_e32 v202, v202, v203
	ds_store_b32 v76, v202 offset:1024
.LBB919_1040:                           ;   in Loop: Header=BB919_982 Depth=2
	s_or_b32 exec_lo, exec_lo, s16
	v_mov_b32_e32 v202, 0
	s_waitcnt lgkmcnt(0)
	s_barrier
	buffer_gl0_inv
	s_and_saveexec_b32 s16, s5
	s_cbranch_execz .LBB919_1042
; %bb.1041:                             ;   in Loop: Header=BB919_982 Depth=2
	ds_load_b32 v202, v65 offset:1020
.LBB919_1042:                           ;   in Loop: Header=BB919_982 Depth=2
	s_or_b32 exec_lo, exec_lo, s16
	s_waitcnt lgkmcnt(0)
	v_add_nc_u32_e32 v5, v202, v5
	ds_bpermute_b32 v5, v101, v5
	s_waitcnt lgkmcnt(0)
	v_cndmask_b32_e64 v5, v5, v202, s11
	s_delay_alu instid0(VALU_DEP_1) | instskip(NEXT) | instid1(VALU_DEP_1)
	v_cndmask_b32_e64 v5, v5, 0, s0
	v_add_nc_u32_e32 v201, v5, v201
	s_delay_alu instid0(VALU_DEP_1) | instskip(NEXT) | instid1(VALU_DEP_1)
	v_add_nc_u32_e32 v45, v201, v45
	v_add_nc_u32_e32 v46, v45, v46
	s_delay_alu instid0(VALU_DEP_1) | instskip(NEXT) | instid1(VALU_DEP_1)
	v_add_nc_u32_e32 v6, v46, v6
	;; [unrolled: 3-line block ×3, first 2 shown]
	v_add_nc_u32_e32 v3, v2, v3
	s_delay_alu instid0(VALU_DEP_1)
	v_add_nc_u32_e32 v4, v3, v4
	ds_store_b32 v73, v5 offset:1056
	ds_store_2addr_b32 v75, v201, v45 offset0:1 offset1:2
	ds_store_2addr_b32 v75, v46, v6 offset0:3 offset1:4
	;; [unrolled: 1-line block ×4, first 2 shown]
	v_mov_b32_e32 v4, 0x1000
	s_waitcnt lgkmcnt(0)
	s_barrier
	buffer_gl0_inv
	ds_load_b32 v5, v147
	ds_load_b32 v6, v151
	;; [unrolled: 1-line block ×16, first 2 shown]
	ds_load_b32 v143, v73 offset:1056
	s_and_saveexec_b32 s16, s6
	s_cbranch_execz .LBB919_1044
; %bb.1043:                             ;   in Loop: Header=BB919_982 Depth=2
	ds_load_b32 v4, v77 offset:1056
.LBB919_1044:                           ;   in Loop: Header=BB919_982 Depth=2
	s_or_b32 exec_lo, exec_lo, s16
	s_waitcnt lgkmcnt(0)
	s_barrier
	buffer_gl0_inv
	s_and_saveexec_b32 s16, s2
	s_cbranch_execz .LBB919_1046
; %bb.1045:                             ;   in Loop: Header=BB919_982 Depth=2
	ds_load_b32 v147, v47
	s_waitcnt lgkmcnt(0)
	v_sub_nc_u32_e32 v143, v147, v143
	ds_store_b32 v47, v143
.LBB919_1046:                           ;   in Loop: Header=BB919_982 Depth=2
	s_or_b32 exec_lo, exec_lo, s16
	v_add_nc_u32_e32 v159, v8, v141
	v_add3_u32 v155, v146, v145, v5
	v_add3_u32 v151, v150, v149, v6
	;; [unrolled: 1-line block ×4, first 2 shown]
	v_lshlrev_b32_e32 v153, 1, v159
	v_add3_u32 v147, v162, v161, v46
	v_add3_u32 v146, v166, v165, v163
	;; [unrolled: 1-line block ×3, first 2 shown]
	v_lshlrev_b32_e32 v2, 1, v155
	v_add3_u32 v145, v170, v169, v167
	v_add3_u32 v7, v199, v198, v3
	v_lshlrev_b32_e32 v3, 1, v151
	ds_store_b16 v153, v19 offset:1024
	v_lshlrev_b32_e32 v19, 1, v150
	v_lshlrev_b32_e32 v153, 1, v149
	v_add3_u32 v143, v174, v173, v171
	v_add3_u32 v46, v182, v181, v179
	ds_store_b16 v2, v142 offset:1024
	ds_store_b16 v3, v144 offset:1024
	v_lshlrev_b32_e32 v2, 1, v147
	v_lshlrev_b32_e32 v3, 1, v146
	v_add3_u32 v141, v178, v177, v175
	ds_store_b16 v19, v148 offset:1024
	ds_store_b16 v153, v152 offset:1024
	v_lshlrev_b32_e32 v19, 1, v145
	v_add3_u32 v8, v186, v185, v183
	v_add3_u32 v5, v192, v191, v193
	ds_store_b16 v2, v156 offset:1024
	v_lshlrev_b32_e32 v2, 1, v143
	ds_store_b16 v3, v160 offset:1024
	ds_store_b16 v19, v164 offset:1024
	v_lshlrev_b32_e32 v3, 1, v46
	v_add3_u32 v6, v190, v189, v187
	v_lshlrev_b32_e32 v142, 1, v141
	ds_store_b16 v2, v168 offset:1024
	ds_store_b16 v142, v172 offset:1024
	v_lshlrev_b32_e32 v2, 1, v8
	ds_store_b16 v3, v176 offset:1024
	v_lshlrev_b32_e32 v3, 1, v5
	v_lshlrev_b32_e32 v19, 1, v6
	;; [unrolled: 1-line block ×3, first 2 shown]
	ds_store_b16 v2, v180 offset:1024
	ds_store_b16 v19, v184 offset:1024
	v_lshlrev_b32_e32 v2, 1, v7
	ds_store_b16 v3, v188 offset:1024
	ds_store_b16 v142, v9 offset:1024
	v_cmp_lt_u32_e32 vcc_lo, v18, v0
	v_add_nc_u32_e32 v142, v76, v82
	ds_store_b16 v2, v194 offset:1024
	s_waitcnt lgkmcnt(0)
	s_barrier
	buffer_gl0_inv
	s_and_saveexec_b32 s17, vcc_lo
	s_cbranch_execz .LBB919_1062
; %bb.1047:                             ;   in Loop: Header=BB919_982 Depth=2
	ds_load_u16 v144, v142 offset:1024
	s_waitcnt lgkmcnt(0)
	v_and_b32_e32 v2, 0xffff, v144
	s_delay_alu instid0(VALU_DEP_1) | instskip(NEXT) | instid1(VALU_DEP_1)
	v_lshrrev_b32_e32 v2, s57, v2
	v_and_b32_e32 v2, s43, v2
	s_delay_alu instid0(VALU_DEP_1) | instskip(SKIP_3) | instid1(VALU_DEP_1)
	v_lshlrev_b32_e32 v2, 2, v2
	ds_load_b32 v2, v2
	s_waitcnt lgkmcnt(0)
	v_add_nc_u32_e32 v19, v2, v18
	v_lshlrev_b64 v[2:3], 1, v[19:20]
	v_xor_b32_e32 v19, 0x7fff, v144
	s_delay_alu instid0(VALU_DEP_2) | instskip(NEXT) | instid1(VALU_DEP_1)
	v_add_co_u32 v2, s16, s40, v2
	v_add_co_ci_u32_e64 v3, s16, s41, v3, s16
	global_store_b16 v[2:3], v19, off
	s_or_b32 exec_lo, exec_lo, s17
	v_cmp_lt_u32_e64 s16, v48, v0
	s_delay_alu instid0(VALU_DEP_1)
	s_and_saveexec_b32 s18, s16
	s_cbranch_execnz .LBB919_1063
.LBB919_1048:                           ;   in Loop: Header=BB919_982 Depth=2
	s_or_b32 exec_lo, exec_lo, s18
	v_cmp_lt_u32_e64 s17, v49, v0
	s_delay_alu instid0(VALU_DEP_1)
	s_and_saveexec_b32 s19, s17
	s_cbranch_execz .LBB919_1064
.LBB919_1049:                           ;   in Loop: Header=BB919_982 Depth=2
	ds_load_u16 v144, v83 offset:1024
	s_waitcnt lgkmcnt(0)
	v_and_b32_e32 v2, 0xffff, v144
	s_delay_alu instid0(VALU_DEP_1) | instskip(NEXT) | instid1(VALU_DEP_1)
	v_lshrrev_b32_e32 v2, s57, v2
	v_and_b32_e32 v2, s43, v2
	s_delay_alu instid0(VALU_DEP_1) | instskip(SKIP_3) | instid1(VALU_DEP_1)
	v_lshlrev_b32_e32 v2, 2, v2
	ds_load_b32 v2, v2
	s_waitcnt lgkmcnt(0)
	v_add_nc_u32_e32 v19, v2, v49
	v_lshlrev_b64 v[2:3], 1, v[19:20]
	v_xor_b32_e32 v19, 0x7fff, v144
	s_delay_alu instid0(VALU_DEP_2) | instskip(NEXT) | instid1(VALU_DEP_1)
	v_add_co_u32 v2, s18, s40, v2
	v_add_co_ci_u32_e64 v3, s18, s41, v3, s18
	global_store_b16 v[2:3], v19, off
	s_or_b32 exec_lo, exec_lo, s19
	v_cmp_lt_u32_e64 s18, v50, v0
	s_delay_alu instid0(VALU_DEP_1)
	s_and_saveexec_b32 s20, s18
	s_cbranch_execnz .LBB919_1065
.LBB919_1050:                           ;   in Loop: Header=BB919_982 Depth=2
	s_or_b32 exec_lo, exec_lo, s20
	v_cmp_lt_u32_e64 s19, v54, v0
	s_delay_alu instid0(VALU_DEP_1)
	s_and_saveexec_b32 s21, s19
	s_cbranch_execz .LBB919_1066
.LBB919_1051:                           ;   in Loop: Header=BB919_982 Depth=2
	ds_load_u16 v144, v83 offset:2048
	s_waitcnt lgkmcnt(0)
	v_and_b32_e32 v2, 0xffff, v144
	s_delay_alu instid0(VALU_DEP_1) | instskip(NEXT) | instid1(VALU_DEP_1)
	v_lshrrev_b32_e32 v2, s57, v2
	v_and_b32_e32 v2, s43, v2
	s_delay_alu instid0(VALU_DEP_1) | instskip(SKIP_3) | instid1(VALU_DEP_1)
	v_lshlrev_b32_e32 v2, 2, v2
	ds_load_b32 v2, v2
	s_waitcnt lgkmcnt(0)
	v_add_nc_u32_e32 v19, v2, v54
	v_lshlrev_b64 v[2:3], 1, v[19:20]
	v_xor_b32_e32 v19, 0x7fff, v144
	s_delay_alu instid0(VALU_DEP_2) | instskip(NEXT) | instid1(VALU_DEP_1)
	v_add_co_u32 v2, s20, s40, v2
	v_add_co_ci_u32_e64 v3, s20, s41, v3, s20
	global_store_b16 v[2:3], v19, off
	s_or_b32 exec_lo, exec_lo, s21
	v_cmp_lt_u32_e64 s20, v55, v0
	s_delay_alu instid0(VALU_DEP_1)
	s_and_saveexec_b32 s22, s20
	s_cbranch_execnz .LBB919_1067
.LBB919_1052:                           ;   in Loop: Header=BB919_982 Depth=2
	s_or_b32 exec_lo, exec_lo, s22
	v_cmp_lt_u32_e64 s21, v56, v0
	s_delay_alu instid0(VALU_DEP_1)
	s_and_saveexec_b32 s23, s21
	s_cbranch_execz .LBB919_1068
.LBB919_1053:                           ;   in Loop: Header=BB919_982 Depth=2
	ds_load_u16 v144, v83 offset:3072
	s_waitcnt lgkmcnt(0)
	v_and_b32_e32 v2, 0xffff, v144
	s_delay_alu instid0(VALU_DEP_1) | instskip(NEXT) | instid1(VALU_DEP_1)
	v_lshrrev_b32_e32 v2, s57, v2
	v_and_b32_e32 v2, s43, v2
	s_delay_alu instid0(VALU_DEP_1) | instskip(SKIP_3) | instid1(VALU_DEP_1)
	v_lshlrev_b32_e32 v2, 2, v2
	ds_load_b32 v2, v2
	s_waitcnt lgkmcnt(0)
	v_add_nc_u32_e32 v19, v2, v56
	v_lshlrev_b64 v[2:3], 1, v[19:20]
	v_xor_b32_e32 v19, 0x7fff, v144
	s_delay_alu instid0(VALU_DEP_2) | instskip(NEXT) | instid1(VALU_DEP_1)
	v_add_co_u32 v2, s22, s40, v2
	v_add_co_ci_u32_e64 v3, s22, s41, v3, s22
	global_store_b16 v[2:3], v19, off
	s_or_b32 exec_lo, exec_lo, s23
	v_cmp_lt_u32_e64 s22, v57, v0
	s_delay_alu instid0(VALU_DEP_1)
	s_and_saveexec_b32 s24, s22
	s_cbranch_execnz .LBB919_1069
.LBB919_1054:                           ;   in Loop: Header=BB919_982 Depth=2
	s_or_b32 exec_lo, exec_lo, s24
	v_cmp_lt_u32_e64 s23, v58, v0
	s_delay_alu instid0(VALU_DEP_1)
	s_and_saveexec_b32 s25, s23
	s_cbranch_execz .LBB919_1070
.LBB919_1055:                           ;   in Loop: Header=BB919_982 Depth=2
	ds_load_u16 v144, v83 offset:4096
	s_waitcnt lgkmcnt(0)
	v_and_b32_e32 v2, 0xffff, v144
	s_delay_alu instid0(VALU_DEP_1) | instskip(NEXT) | instid1(VALU_DEP_1)
	v_lshrrev_b32_e32 v2, s57, v2
	v_and_b32_e32 v2, s43, v2
	s_delay_alu instid0(VALU_DEP_1) | instskip(SKIP_3) | instid1(VALU_DEP_1)
	v_lshlrev_b32_e32 v2, 2, v2
	ds_load_b32 v2, v2
	s_waitcnt lgkmcnt(0)
	v_add_nc_u32_e32 v19, v2, v58
	v_lshlrev_b64 v[2:3], 1, v[19:20]
	v_xor_b32_e32 v19, 0x7fff, v144
	s_delay_alu instid0(VALU_DEP_2) | instskip(NEXT) | instid1(VALU_DEP_1)
	v_add_co_u32 v2, s24, s40, v2
	v_add_co_ci_u32_e64 v3, s24, s41, v3, s24
	global_store_b16 v[2:3], v19, off
	s_or_b32 exec_lo, exec_lo, s25
	v_cmp_lt_u32_e64 s24, v59, v0
	s_delay_alu instid0(VALU_DEP_1)
	s_and_saveexec_b32 s27, s24
	s_cbranch_execnz .LBB919_1071
.LBB919_1056:                           ;   in Loop: Header=BB919_982 Depth=2
	s_or_b32 exec_lo, exec_lo, s27
	v_cmp_lt_u32_e64 s25, v60, v0
	s_delay_alu instid0(VALU_DEP_1)
	s_and_saveexec_b32 s28, s25
	s_cbranch_execz .LBB919_1072
.LBB919_1057:                           ;   in Loop: Header=BB919_982 Depth=2
	ds_load_u16 v144, v83 offset:5120
	s_waitcnt lgkmcnt(0)
	v_and_b32_e32 v2, 0xffff, v144
	s_delay_alu instid0(VALU_DEP_1) | instskip(NEXT) | instid1(VALU_DEP_1)
	v_lshrrev_b32_e32 v2, s57, v2
	v_and_b32_e32 v2, s43, v2
	s_delay_alu instid0(VALU_DEP_1) | instskip(SKIP_3) | instid1(VALU_DEP_1)
	v_lshlrev_b32_e32 v2, 2, v2
	ds_load_b32 v2, v2
	s_waitcnt lgkmcnt(0)
	v_add_nc_u32_e32 v19, v2, v60
	v_lshlrev_b64 v[2:3], 1, v[19:20]
	v_xor_b32_e32 v19, 0x7fff, v144
	s_delay_alu instid0(VALU_DEP_2) | instskip(NEXT) | instid1(VALU_DEP_1)
	v_add_co_u32 v2, s27, s40, v2
	v_add_co_ci_u32_e64 v3, s27, s41, v3, s27
	global_store_b16 v[2:3], v19, off
	s_or_b32 exec_lo, exec_lo, s28
	v_cmp_lt_u32_e64 s27, v61, v0
	s_delay_alu instid0(VALU_DEP_1)
	s_and_saveexec_b32 s29, s27
	s_cbranch_execnz .LBB919_1073
.LBB919_1058:                           ;   in Loop: Header=BB919_982 Depth=2
	s_or_b32 exec_lo, exec_lo, s29
	v_cmp_lt_u32_e64 s28, v62, v0
	s_delay_alu instid0(VALU_DEP_1)
	s_and_saveexec_b32 s30, s28
	s_cbranch_execz .LBB919_1074
.LBB919_1059:                           ;   in Loop: Header=BB919_982 Depth=2
	ds_load_u16 v144, v83 offset:6144
	s_waitcnt lgkmcnt(0)
	v_and_b32_e32 v2, 0xffff, v144
	s_delay_alu instid0(VALU_DEP_1) | instskip(NEXT) | instid1(VALU_DEP_1)
	v_lshrrev_b32_e32 v2, s57, v2
	v_and_b32_e32 v2, s43, v2
	s_delay_alu instid0(VALU_DEP_1) | instskip(SKIP_3) | instid1(VALU_DEP_1)
	v_lshlrev_b32_e32 v2, 2, v2
	ds_load_b32 v2, v2
	s_waitcnt lgkmcnt(0)
	v_add_nc_u32_e32 v19, v2, v62
	v_lshlrev_b64 v[2:3], 1, v[19:20]
	v_xor_b32_e32 v19, 0x7fff, v144
	s_delay_alu instid0(VALU_DEP_2) | instskip(NEXT) | instid1(VALU_DEP_1)
	v_add_co_u32 v2, s29, s40, v2
	v_add_co_ci_u32_e64 v3, s29, s41, v3, s29
	global_store_b16 v[2:3], v19, off
	s_or_b32 exec_lo, exec_lo, s30
	v_cmp_lt_u32_e64 s29, v63, v0
	s_delay_alu instid0(VALU_DEP_1)
	s_and_saveexec_b32 s31, s29
	s_cbranch_execnz .LBB919_1075
.LBB919_1060:                           ;   in Loop: Header=BB919_982 Depth=2
	s_or_b32 exec_lo, exec_lo, s31
	v_cmp_lt_u32_e64 s30, v64, v0
	s_delay_alu instid0(VALU_DEP_1)
	s_and_saveexec_b32 s33, s30
	s_cbranch_execz .LBB919_1076
.LBB919_1061:                           ;   in Loop: Header=BB919_982 Depth=2
	ds_load_u16 v144, v83 offset:7168
	s_waitcnt lgkmcnt(0)
	v_and_b32_e32 v2, 0xffff, v144
	s_delay_alu instid0(VALU_DEP_1) | instskip(NEXT) | instid1(VALU_DEP_1)
	v_lshrrev_b32_e32 v2, s57, v2
	v_and_b32_e32 v2, s43, v2
	s_delay_alu instid0(VALU_DEP_1) | instskip(SKIP_3) | instid1(VALU_DEP_1)
	v_lshlrev_b32_e32 v2, 2, v2
	ds_load_b32 v2, v2
	s_waitcnt lgkmcnt(0)
	v_add_nc_u32_e32 v19, v2, v64
	v_lshlrev_b64 v[2:3], 1, v[19:20]
	v_xor_b32_e32 v19, 0x7fff, v144
	s_delay_alu instid0(VALU_DEP_2) | instskip(NEXT) | instid1(VALU_DEP_1)
	v_add_co_u32 v2, s31, s40, v2
	v_add_co_ci_u32_e64 v3, s31, s41, v3, s31
	global_store_b16 v[2:3], v19, off
	s_or_b32 exec_lo, exec_lo, s33
	v_cmp_lt_u32_e64 s31, v66, v0
	s_delay_alu instid0(VALU_DEP_1)
	s_and_saveexec_b32 s45, s31
	s_cbranch_execnz .LBB919_1077
	s_branch .LBB919_1078
.LBB919_1062:                           ;   in Loop: Header=BB919_982 Depth=2
	s_or_b32 exec_lo, exec_lo, s17
	v_cmp_lt_u32_e64 s16, v48, v0
	s_delay_alu instid0(VALU_DEP_1)
	s_and_saveexec_b32 s18, s16
	s_cbranch_execz .LBB919_1048
.LBB919_1063:                           ;   in Loop: Header=BB919_982 Depth=2
	ds_load_u16 v144, v83 offset:512
	s_waitcnt lgkmcnt(0)
	v_and_b32_e32 v2, 0xffff, v144
	s_delay_alu instid0(VALU_DEP_1) | instskip(NEXT) | instid1(VALU_DEP_1)
	v_lshrrev_b32_e32 v2, s57, v2
	v_and_b32_e32 v2, s43, v2
	s_delay_alu instid0(VALU_DEP_1) | instskip(SKIP_3) | instid1(VALU_DEP_1)
	v_lshlrev_b32_e32 v2, 2, v2
	ds_load_b32 v2, v2
	s_waitcnt lgkmcnt(0)
	v_add_nc_u32_e32 v19, v2, v48
	v_lshlrev_b64 v[2:3], 1, v[19:20]
	v_xor_b32_e32 v19, 0x7fff, v144
	s_delay_alu instid0(VALU_DEP_2) | instskip(NEXT) | instid1(VALU_DEP_1)
	v_add_co_u32 v2, s17, s40, v2
	v_add_co_ci_u32_e64 v3, s17, s41, v3, s17
	global_store_b16 v[2:3], v19, off
	s_or_b32 exec_lo, exec_lo, s18
	v_cmp_lt_u32_e64 s17, v49, v0
	s_delay_alu instid0(VALU_DEP_1)
	s_and_saveexec_b32 s19, s17
	s_cbranch_execnz .LBB919_1049
.LBB919_1064:                           ;   in Loop: Header=BB919_982 Depth=2
	s_or_b32 exec_lo, exec_lo, s19
	v_cmp_lt_u32_e64 s18, v50, v0
	s_delay_alu instid0(VALU_DEP_1)
	s_and_saveexec_b32 s20, s18
	s_cbranch_execz .LBB919_1050
.LBB919_1065:                           ;   in Loop: Header=BB919_982 Depth=2
	ds_load_u16 v144, v83 offset:1536
	s_waitcnt lgkmcnt(0)
	v_and_b32_e32 v2, 0xffff, v144
	s_delay_alu instid0(VALU_DEP_1) | instskip(NEXT) | instid1(VALU_DEP_1)
	v_lshrrev_b32_e32 v2, s57, v2
	v_and_b32_e32 v2, s43, v2
	s_delay_alu instid0(VALU_DEP_1) | instskip(SKIP_3) | instid1(VALU_DEP_1)
	v_lshlrev_b32_e32 v2, 2, v2
	ds_load_b32 v2, v2
	s_waitcnt lgkmcnt(0)
	v_add_nc_u32_e32 v19, v2, v50
	v_lshlrev_b64 v[2:3], 1, v[19:20]
	v_xor_b32_e32 v19, 0x7fff, v144
	s_delay_alu instid0(VALU_DEP_2) | instskip(NEXT) | instid1(VALU_DEP_1)
	v_add_co_u32 v2, s19, s40, v2
	v_add_co_ci_u32_e64 v3, s19, s41, v3, s19
	global_store_b16 v[2:3], v19, off
	s_or_b32 exec_lo, exec_lo, s20
	v_cmp_lt_u32_e64 s19, v54, v0
	s_delay_alu instid0(VALU_DEP_1)
	s_and_saveexec_b32 s21, s19
	s_cbranch_execnz .LBB919_1051
.LBB919_1066:                           ;   in Loop: Header=BB919_982 Depth=2
	s_or_b32 exec_lo, exec_lo, s21
	v_cmp_lt_u32_e64 s20, v55, v0
	s_delay_alu instid0(VALU_DEP_1)
	s_and_saveexec_b32 s22, s20
	s_cbranch_execz .LBB919_1052
.LBB919_1067:                           ;   in Loop: Header=BB919_982 Depth=2
	ds_load_u16 v144, v83 offset:2560
	s_waitcnt lgkmcnt(0)
	v_and_b32_e32 v2, 0xffff, v144
	s_delay_alu instid0(VALU_DEP_1) | instskip(NEXT) | instid1(VALU_DEP_1)
	v_lshrrev_b32_e32 v2, s57, v2
	v_and_b32_e32 v2, s43, v2
	s_delay_alu instid0(VALU_DEP_1) | instskip(SKIP_3) | instid1(VALU_DEP_1)
	v_lshlrev_b32_e32 v2, 2, v2
	ds_load_b32 v2, v2
	s_waitcnt lgkmcnt(0)
	v_add_nc_u32_e32 v19, v2, v55
	v_lshlrev_b64 v[2:3], 1, v[19:20]
	v_xor_b32_e32 v19, 0x7fff, v144
	s_delay_alu instid0(VALU_DEP_2) | instskip(NEXT) | instid1(VALU_DEP_1)
	v_add_co_u32 v2, s21, s40, v2
	v_add_co_ci_u32_e64 v3, s21, s41, v3, s21
	global_store_b16 v[2:3], v19, off
	s_or_b32 exec_lo, exec_lo, s22
	v_cmp_lt_u32_e64 s21, v56, v0
	s_delay_alu instid0(VALU_DEP_1)
	s_and_saveexec_b32 s23, s21
	s_cbranch_execnz .LBB919_1053
.LBB919_1068:                           ;   in Loop: Header=BB919_982 Depth=2
	s_or_b32 exec_lo, exec_lo, s23
	v_cmp_lt_u32_e64 s22, v57, v0
	s_delay_alu instid0(VALU_DEP_1)
	s_and_saveexec_b32 s24, s22
	s_cbranch_execz .LBB919_1054
.LBB919_1069:                           ;   in Loop: Header=BB919_982 Depth=2
	ds_load_u16 v144, v83 offset:3584
	s_waitcnt lgkmcnt(0)
	v_and_b32_e32 v2, 0xffff, v144
	s_delay_alu instid0(VALU_DEP_1) | instskip(NEXT) | instid1(VALU_DEP_1)
	v_lshrrev_b32_e32 v2, s57, v2
	v_and_b32_e32 v2, s43, v2
	s_delay_alu instid0(VALU_DEP_1) | instskip(SKIP_3) | instid1(VALU_DEP_1)
	v_lshlrev_b32_e32 v2, 2, v2
	ds_load_b32 v2, v2
	s_waitcnt lgkmcnt(0)
	v_add_nc_u32_e32 v19, v2, v57
	v_lshlrev_b64 v[2:3], 1, v[19:20]
	v_xor_b32_e32 v19, 0x7fff, v144
	s_delay_alu instid0(VALU_DEP_2) | instskip(NEXT) | instid1(VALU_DEP_1)
	v_add_co_u32 v2, s23, s40, v2
	v_add_co_ci_u32_e64 v3, s23, s41, v3, s23
	global_store_b16 v[2:3], v19, off
	s_or_b32 exec_lo, exec_lo, s24
	v_cmp_lt_u32_e64 s23, v58, v0
	s_delay_alu instid0(VALU_DEP_1)
	s_and_saveexec_b32 s25, s23
	s_cbranch_execnz .LBB919_1055
.LBB919_1070:                           ;   in Loop: Header=BB919_982 Depth=2
	s_or_b32 exec_lo, exec_lo, s25
	v_cmp_lt_u32_e64 s24, v59, v0
	s_delay_alu instid0(VALU_DEP_1)
	s_and_saveexec_b32 s27, s24
	s_cbranch_execz .LBB919_1056
.LBB919_1071:                           ;   in Loop: Header=BB919_982 Depth=2
	ds_load_u16 v144, v83 offset:4608
	s_waitcnt lgkmcnt(0)
	v_and_b32_e32 v2, 0xffff, v144
	s_delay_alu instid0(VALU_DEP_1) | instskip(NEXT) | instid1(VALU_DEP_1)
	v_lshrrev_b32_e32 v2, s57, v2
	v_and_b32_e32 v2, s43, v2
	s_delay_alu instid0(VALU_DEP_1) | instskip(SKIP_3) | instid1(VALU_DEP_1)
	v_lshlrev_b32_e32 v2, 2, v2
	ds_load_b32 v2, v2
	s_waitcnt lgkmcnt(0)
	v_add_nc_u32_e32 v19, v2, v59
	v_lshlrev_b64 v[2:3], 1, v[19:20]
	v_xor_b32_e32 v19, 0x7fff, v144
	s_delay_alu instid0(VALU_DEP_2) | instskip(NEXT) | instid1(VALU_DEP_1)
	v_add_co_u32 v2, s25, s40, v2
	v_add_co_ci_u32_e64 v3, s25, s41, v3, s25
	global_store_b16 v[2:3], v19, off
	s_or_b32 exec_lo, exec_lo, s27
	v_cmp_lt_u32_e64 s25, v60, v0
	s_delay_alu instid0(VALU_DEP_1)
	s_and_saveexec_b32 s28, s25
	s_cbranch_execnz .LBB919_1057
.LBB919_1072:                           ;   in Loop: Header=BB919_982 Depth=2
	s_or_b32 exec_lo, exec_lo, s28
	v_cmp_lt_u32_e64 s27, v61, v0
	s_delay_alu instid0(VALU_DEP_1)
	s_and_saveexec_b32 s29, s27
	s_cbranch_execz .LBB919_1058
.LBB919_1073:                           ;   in Loop: Header=BB919_982 Depth=2
	ds_load_u16 v144, v83 offset:5632
	s_waitcnt lgkmcnt(0)
	v_and_b32_e32 v2, 0xffff, v144
	s_delay_alu instid0(VALU_DEP_1) | instskip(NEXT) | instid1(VALU_DEP_1)
	v_lshrrev_b32_e32 v2, s57, v2
	v_and_b32_e32 v2, s43, v2
	s_delay_alu instid0(VALU_DEP_1) | instskip(SKIP_3) | instid1(VALU_DEP_1)
	v_lshlrev_b32_e32 v2, 2, v2
	ds_load_b32 v2, v2
	s_waitcnt lgkmcnt(0)
	v_add_nc_u32_e32 v19, v2, v61
	v_lshlrev_b64 v[2:3], 1, v[19:20]
	v_xor_b32_e32 v19, 0x7fff, v144
	s_delay_alu instid0(VALU_DEP_2) | instskip(NEXT) | instid1(VALU_DEP_1)
	v_add_co_u32 v2, s28, s40, v2
	v_add_co_ci_u32_e64 v3, s28, s41, v3, s28
	global_store_b16 v[2:3], v19, off
	s_or_b32 exec_lo, exec_lo, s29
	v_cmp_lt_u32_e64 s28, v62, v0
	s_delay_alu instid0(VALU_DEP_1)
	s_and_saveexec_b32 s30, s28
	s_cbranch_execnz .LBB919_1059
.LBB919_1074:                           ;   in Loop: Header=BB919_982 Depth=2
	s_or_b32 exec_lo, exec_lo, s30
	v_cmp_lt_u32_e64 s29, v63, v0
	s_delay_alu instid0(VALU_DEP_1)
	s_and_saveexec_b32 s31, s29
	s_cbranch_execz .LBB919_1060
.LBB919_1075:                           ;   in Loop: Header=BB919_982 Depth=2
	ds_load_u16 v144, v83 offset:6656
	s_waitcnt lgkmcnt(0)
	v_and_b32_e32 v2, 0xffff, v144
	s_delay_alu instid0(VALU_DEP_1) | instskip(NEXT) | instid1(VALU_DEP_1)
	v_lshrrev_b32_e32 v2, s57, v2
	v_and_b32_e32 v2, s43, v2
	s_delay_alu instid0(VALU_DEP_1) | instskip(SKIP_3) | instid1(VALU_DEP_1)
	v_lshlrev_b32_e32 v2, 2, v2
	ds_load_b32 v2, v2
	s_waitcnt lgkmcnt(0)
	v_add_nc_u32_e32 v19, v2, v63
	v_lshlrev_b64 v[2:3], 1, v[19:20]
	v_xor_b32_e32 v19, 0x7fff, v144
	s_delay_alu instid0(VALU_DEP_2) | instskip(NEXT) | instid1(VALU_DEP_1)
	v_add_co_u32 v2, s30, s40, v2
	v_add_co_ci_u32_e64 v3, s30, s41, v3, s30
	global_store_b16 v[2:3], v19, off
	s_or_b32 exec_lo, exec_lo, s31
	v_cmp_lt_u32_e64 s30, v64, v0
	s_delay_alu instid0(VALU_DEP_1)
	s_and_saveexec_b32 s33, s30
	s_cbranch_execnz .LBB919_1061
.LBB919_1076:                           ;   in Loop: Header=BB919_982 Depth=2
	s_or_b32 exec_lo, exec_lo, s33
	v_cmp_lt_u32_e64 s31, v66, v0
	s_delay_alu instid0(VALU_DEP_1)
	s_and_saveexec_b32 s45, s31
	s_cbranch_execz .LBB919_1078
.LBB919_1077:                           ;   in Loop: Header=BB919_982 Depth=2
	ds_load_u16 v144, v83 offset:7680
	s_waitcnt lgkmcnt(0)
	v_and_b32_e32 v2, 0xffff, v144
	s_delay_alu instid0(VALU_DEP_1) | instskip(NEXT) | instid1(VALU_DEP_1)
	v_lshrrev_b32_e32 v2, s57, v2
	v_and_b32_e32 v2, s43, v2
	s_delay_alu instid0(VALU_DEP_1) | instskip(SKIP_3) | instid1(VALU_DEP_1)
	v_lshlrev_b32_e32 v2, 2, v2
	ds_load_b32 v2, v2
	s_waitcnt lgkmcnt(0)
	v_add_nc_u32_e32 v19, v2, v66
	v_lshlrev_b64 v[2:3], 1, v[19:20]
	v_xor_b32_e32 v19, 0x7fff, v144
	s_delay_alu instid0(VALU_DEP_2) | instskip(NEXT) | instid1(VALU_DEP_1)
	v_add_co_u32 v2, s33, s40, v2
	v_add_co_ci_u32_e64 v3, s33, s41, v3, s33
	global_store_b16 v[2:3], v19, off
.LBB919_1078:                           ;   in Loop: Header=BB919_982 Depth=2
	s_or_b32 exec_lo, exec_lo, s45
	s_lshl_b64 s[46:47], s[34:35], 3
	s_delay_alu instid0(SALU_CYCLE_1) | instskip(NEXT) | instid1(VALU_DEP_1)
	v_add_co_u32 v2, s33, v103, s46
	v_add_co_ci_u32_e64 v3, s33, s47, v104, s33
	v_cmp_lt_u32_e64 s33, v102, v0
	s_delay_alu instid0(VALU_DEP_1) | instskip(NEXT) | instid1(SALU_CYCLE_1)
	s_and_saveexec_b32 s34, s33
	s_xor_b32 s33, exec_lo, s34
	s_cbranch_execz .LBB919_1110
; %bb.1079:                             ;   in Loop: Header=BB919_982 Depth=2
	global_load_b64 v[43:44], v[2:3], off
	s_or_b32 exec_lo, exec_lo, s33
	s_delay_alu instid0(SALU_CYCLE_1)
	s_mov_b32 s34, exec_lo
	v_cmpx_lt_u32_e64 v105, v0
	s_cbranch_execnz .LBB919_1111
.LBB919_1080:                           ;   in Loop: Header=BB919_982 Depth=2
	s_or_b32 exec_lo, exec_lo, s34
	s_delay_alu instid0(SALU_CYCLE_1)
	s_mov_b32 s34, exec_lo
	v_cmpx_lt_u32_e64 v106, v0
	s_cbranch_execz .LBB919_1112
.LBB919_1081:                           ;   in Loop: Header=BB919_982 Depth=2
	global_load_b64 v[39:40], v[2:3], off offset:512
	s_or_b32 exec_lo, exec_lo, s34
	s_delay_alu instid0(SALU_CYCLE_1)
	s_mov_b32 s34, exec_lo
	v_cmpx_lt_u32_e64 v107, v0
	s_cbranch_execnz .LBB919_1113
.LBB919_1082:                           ;   in Loop: Header=BB919_982 Depth=2
	s_or_b32 exec_lo, exec_lo, s34
	s_delay_alu instid0(SALU_CYCLE_1)
	s_mov_b32 s34, exec_lo
	v_cmpx_lt_u32_e64 v108, v0
	s_cbranch_execz .LBB919_1114
.LBB919_1083:                           ;   in Loop: Header=BB919_982 Depth=2
	global_load_b64 v[35:36], v[2:3], off offset:1024
	s_or_b32 exec_lo, exec_lo, s34
	s_delay_alu instid0(SALU_CYCLE_1)
	s_mov_b32 s34, exec_lo
	v_cmpx_lt_u32_e64 v109, v0
	s_cbranch_execnz .LBB919_1115
.LBB919_1084:                           ;   in Loop: Header=BB919_982 Depth=2
	s_or_b32 exec_lo, exec_lo, s34
	s_delay_alu instid0(SALU_CYCLE_1)
	s_mov_b32 s34, exec_lo
	v_cmpx_lt_u32_e64 v110, v0
	s_cbranch_execz .LBB919_1116
.LBB919_1085:                           ;   in Loop: Header=BB919_982 Depth=2
	global_load_b64 v[31:32], v[2:3], off offset:1536
	s_or_b32 exec_lo, exec_lo, s34
	s_delay_alu instid0(SALU_CYCLE_1)
	s_mov_b32 s34, exec_lo
	v_cmpx_lt_u32_e64 v111, v0
	s_cbranch_execnz .LBB919_1117
.LBB919_1086:                           ;   in Loop: Header=BB919_982 Depth=2
	s_or_b32 exec_lo, exec_lo, s34
	s_delay_alu instid0(SALU_CYCLE_1)
	s_mov_b32 s34, exec_lo
	v_cmpx_lt_u32_e64 v112, v0
	s_cbranch_execz .LBB919_1118
.LBB919_1087:                           ;   in Loop: Header=BB919_982 Depth=2
	global_load_b64 v[27:28], v[2:3], off offset:2048
	s_or_b32 exec_lo, exec_lo, s34
	s_delay_alu instid0(SALU_CYCLE_1)
	s_mov_b32 s34, exec_lo
	v_cmpx_lt_u32_e64 v113, v0
	s_cbranch_execnz .LBB919_1119
.LBB919_1088:                           ;   in Loop: Header=BB919_982 Depth=2
	s_or_b32 exec_lo, exec_lo, s34
	s_delay_alu instid0(SALU_CYCLE_1)
	s_mov_b32 s34, exec_lo
	v_cmpx_lt_u32_e64 v114, v0
	s_cbranch_execz .LBB919_1120
.LBB919_1089:                           ;   in Loop: Header=BB919_982 Depth=2
	global_load_b64 v[23:24], v[2:3], off offset:2560
	s_or_b32 exec_lo, exec_lo, s34
	s_delay_alu instid0(SALU_CYCLE_1)
	s_mov_b32 s34, exec_lo
	v_cmpx_lt_u32_e64 v115, v0
	s_cbranch_execnz .LBB919_1121
.LBB919_1090:                           ;   in Loop: Header=BB919_982 Depth=2
	s_or_b32 exec_lo, exec_lo, s34
	s_delay_alu instid0(SALU_CYCLE_1)
	s_mov_b32 s34, exec_lo
	v_cmpx_lt_u32_e64 v116, v0
	s_cbranch_execz .LBB919_1122
.LBB919_1091:                           ;   in Loop: Header=BB919_982 Depth=2
	global_load_b64 v[16:17], v[2:3], off offset:3072
	s_or_b32 exec_lo, exec_lo, s34
	s_delay_alu instid0(SALU_CYCLE_1)
	s_mov_b32 s34, exec_lo
	v_cmpx_lt_u32_e64 v117, v0
	s_cbranch_execnz .LBB919_1123
.LBB919_1092:                           ;   in Loop: Header=BB919_982 Depth=2
	s_or_b32 exec_lo, exec_lo, s34
	s_delay_alu instid0(SALU_CYCLE_1)
	s_mov_b32 s34, exec_lo
	v_cmpx_lt_u32_e64 v118, v0
	s_cbranch_execz .LBB919_1124
.LBB919_1093:                           ;   in Loop: Header=BB919_982 Depth=2
	global_load_b64 v[12:13], v[2:3], off offset:3584
	s_or_b32 exec_lo, exec_lo, s34
	s_delay_alu instid0(SALU_CYCLE_1)
	s_mov_b32 s34, exec_lo
	v_cmpx_lt_u32_e64 v119, v0
	s_cbranch_execnz .LBB919_1125
.LBB919_1094:                           ;   in Loop: Header=BB919_982 Depth=2
	s_or_b32 exec_lo, exec_lo, s34
	s_and_saveexec_b32 s33, vcc_lo
	s_cbranch_execz .LBB919_1126
.LBB919_1095:                           ;   in Loop: Header=BB919_982 Depth=2
	ds_load_u16 v0, v142 offset:1024
	s_waitcnt lgkmcnt(0)
	v_lshrrev_b32_e32 v0, s57, v0
	s_delay_alu instid0(VALU_DEP_1)
	v_and_b32_e32 v140, s43, v0
	s_or_b32 exec_lo, exec_lo, s33
	s_and_saveexec_b32 s33, s16
	s_cbranch_execnz .LBB919_1127
.LBB919_1096:                           ;   in Loop: Header=BB919_982 Depth=2
	s_or_b32 exec_lo, exec_lo, s33
	s_and_saveexec_b32 s33, s17
	s_cbranch_execz .LBB919_1128
.LBB919_1097:                           ;   in Loop: Header=BB919_982 Depth=2
	ds_load_u16 v0, v83 offset:1024
	s_waitcnt lgkmcnt(0)
	v_lshrrev_b32_e32 v0, s57, v0
	s_delay_alu instid0(VALU_DEP_1)
	v_and_b32_e32 v138, s43, v0
	s_or_b32 exec_lo, exec_lo, s33
	s_and_saveexec_b32 s33, s18
	s_cbranch_execnz .LBB919_1129
.LBB919_1098:                           ;   in Loop: Header=BB919_982 Depth=2
	s_or_b32 exec_lo, exec_lo, s33
	s_and_saveexec_b32 s33, s19
	s_cbranch_execz .LBB919_1130
.LBB919_1099:                           ;   in Loop: Header=BB919_982 Depth=2
	ds_load_u16 v0, v83 offset:2048
	s_waitcnt lgkmcnt(0)
	v_lshrrev_b32_e32 v0, s57, v0
	s_delay_alu instid0(VALU_DEP_1)
	v_and_b32_e32 v136, s43, v0
	s_or_b32 exec_lo, exec_lo, s33
	s_and_saveexec_b32 s33, s20
	s_cbranch_execnz .LBB919_1131
.LBB919_1100:                           ;   in Loop: Header=BB919_982 Depth=2
	s_or_b32 exec_lo, exec_lo, s33
	s_and_saveexec_b32 s33, s21
	s_cbranch_execz .LBB919_1132
.LBB919_1101:                           ;   in Loop: Header=BB919_982 Depth=2
	ds_load_u16 v0, v83 offset:3072
	s_waitcnt lgkmcnt(0)
	v_lshrrev_b32_e32 v0, s57, v0
	s_delay_alu instid0(VALU_DEP_1)
	v_and_b32_e32 v134, s43, v0
	s_or_b32 exec_lo, exec_lo, s33
	s_and_saveexec_b32 s33, s22
	s_cbranch_execnz .LBB919_1133
.LBB919_1102:                           ;   in Loop: Header=BB919_982 Depth=2
	s_or_b32 exec_lo, exec_lo, s33
	s_and_saveexec_b32 s33, s23
	s_cbranch_execz .LBB919_1134
.LBB919_1103:                           ;   in Loop: Header=BB919_982 Depth=2
	ds_load_u16 v0, v83 offset:4096
	s_waitcnt lgkmcnt(0)
	v_lshrrev_b32_e32 v0, s57, v0
	s_delay_alu instid0(VALU_DEP_1)
	v_and_b32_e32 v132, s43, v0
	s_or_b32 exec_lo, exec_lo, s33
	s_and_saveexec_b32 s33, s24
	s_cbranch_execnz .LBB919_1135
.LBB919_1104:                           ;   in Loop: Header=BB919_982 Depth=2
	s_or_b32 exec_lo, exec_lo, s33
	s_and_saveexec_b32 s33, s25
	s_cbranch_execz .LBB919_1136
.LBB919_1105:                           ;   in Loop: Header=BB919_982 Depth=2
	ds_load_u16 v0, v83 offset:5120
	s_waitcnt lgkmcnt(0)
	v_lshrrev_b32_e32 v0, s57, v0
	s_delay_alu instid0(VALU_DEP_1)
	v_and_b32_e32 v130, s43, v0
	s_or_b32 exec_lo, exec_lo, s33
	s_and_saveexec_b32 s33, s27
	s_cbranch_execnz .LBB919_1137
.LBB919_1106:                           ;   in Loop: Header=BB919_982 Depth=2
	s_or_b32 exec_lo, exec_lo, s33
	s_and_saveexec_b32 s33, s28
	s_cbranch_execz .LBB919_1138
.LBB919_1107:                           ;   in Loop: Header=BB919_982 Depth=2
	ds_load_u16 v0, v83 offset:6144
	s_waitcnt lgkmcnt(0)
	v_lshrrev_b32_e32 v0, s57, v0
	s_delay_alu instid0(VALU_DEP_1)
	v_and_b32_e32 v128, s43, v0
	s_or_b32 exec_lo, exec_lo, s33
	s_and_saveexec_b32 s33, s29
	s_cbranch_execnz .LBB919_1139
.LBB919_1108:                           ;   in Loop: Header=BB919_982 Depth=2
	s_or_b32 exec_lo, exec_lo, s33
	s_and_saveexec_b32 s33, s30
	s_cbranch_execz .LBB919_1140
.LBB919_1109:                           ;   in Loop: Header=BB919_982 Depth=2
	ds_load_u16 v0, v83 offset:7168
	s_waitcnt lgkmcnt(0)
	v_lshrrev_b32_e32 v0, s57, v0
	s_delay_alu instid0(VALU_DEP_1)
	v_and_b32_e32 v126, s43, v0
	s_or_b32 exec_lo, exec_lo, s33
	s_and_saveexec_b32 s33, s31
	s_cbranch_execnz .LBB919_1141
	s_branch .LBB919_1142
.LBB919_1110:                           ;   in Loop: Header=BB919_982 Depth=2
	s_or_b32 exec_lo, exec_lo, s33
	s_delay_alu instid0(SALU_CYCLE_1)
	s_mov_b32 s34, exec_lo
	v_cmpx_lt_u32_e64 v105, v0
	s_cbranch_execz .LBB919_1080
.LBB919_1111:                           ;   in Loop: Header=BB919_982 Depth=2
	global_load_b64 v[41:42], v[2:3], off offset:256
	s_or_b32 exec_lo, exec_lo, s34
	s_delay_alu instid0(SALU_CYCLE_1)
	s_mov_b32 s34, exec_lo
	v_cmpx_lt_u32_e64 v106, v0
	s_cbranch_execnz .LBB919_1081
.LBB919_1112:                           ;   in Loop: Header=BB919_982 Depth=2
	s_or_b32 exec_lo, exec_lo, s34
	s_delay_alu instid0(SALU_CYCLE_1)
	s_mov_b32 s34, exec_lo
	v_cmpx_lt_u32_e64 v107, v0
	s_cbranch_execz .LBB919_1082
.LBB919_1113:                           ;   in Loop: Header=BB919_982 Depth=2
	global_load_b64 v[37:38], v[2:3], off offset:768
	s_or_b32 exec_lo, exec_lo, s34
	s_delay_alu instid0(SALU_CYCLE_1)
	s_mov_b32 s34, exec_lo
	v_cmpx_lt_u32_e64 v108, v0
	s_cbranch_execnz .LBB919_1083
.LBB919_1114:                           ;   in Loop: Header=BB919_982 Depth=2
	s_or_b32 exec_lo, exec_lo, s34
	s_delay_alu instid0(SALU_CYCLE_1)
	s_mov_b32 s34, exec_lo
	v_cmpx_lt_u32_e64 v109, v0
	s_cbranch_execz .LBB919_1084
.LBB919_1115:                           ;   in Loop: Header=BB919_982 Depth=2
	global_load_b64 v[33:34], v[2:3], off offset:1280
	s_or_b32 exec_lo, exec_lo, s34
	s_delay_alu instid0(SALU_CYCLE_1)
	s_mov_b32 s34, exec_lo
	v_cmpx_lt_u32_e64 v110, v0
	s_cbranch_execnz .LBB919_1085
.LBB919_1116:                           ;   in Loop: Header=BB919_982 Depth=2
	s_or_b32 exec_lo, exec_lo, s34
	s_delay_alu instid0(SALU_CYCLE_1)
	s_mov_b32 s34, exec_lo
	v_cmpx_lt_u32_e64 v111, v0
	s_cbranch_execz .LBB919_1086
.LBB919_1117:                           ;   in Loop: Header=BB919_982 Depth=2
	global_load_b64 v[29:30], v[2:3], off offset:1792
	s_or_b32 exec_lo, exec_lo, s34
	s_delay_alu instid0(SALU_CYCLE_1)
	s_mov_b32 s34, exec_lo
	v_cmpx_lt_u32_e64 v112, v0
	s_cbranch_execnz .LBB919_1087
.LBB919_1118:                           ;   in Loop: Header=BB919_982 Depth=2
	s_or_b32 exec_lo, exec_lo, s34
	s_delay_alu instid0(SALU_CYCLE_1)
	s_mov_b32 s34, exec_lo
	v_cmpx_lt_u32_e64 v113, v0
	s_cbranch_execz .LBB919_1088
.LBB919_1119:                           ;   in Loop: Header=BB919_982 Depth=2
	global_load_b64 v[25:26], v[2:3], off offset:2304
	s_or_b32 exec_lo, exec_lo, s34
	s_delay_alu instid0(SALU_CYCLE_1)
	s_mov_b32 s34, exec_lo
	v_cmpx_lt_u32_e64 v114, v0
	s_cbranch_execnz .LBB919_1089
.LBB919_1120:                           ;   in Loop: Header=BB919_982 Depth=2
	s_or_b32 exec_lo, exec_lo, s34
	s_delay_alu instid0(SALU_CYCLE_1)
	s_mov_b32 s34, exec_lo
	v_cmpx_lt_u32_e64 v115, v0
	s_cbranch_execz .LBB919_1090
.LBB919_1121:                           ;   in Loop: Header=BB919_982 Depth=2
	global_load_b64 v[21:22], v[2:3], off offset:2816
	s_or_b32 exec_lo, exec_lo, s34
	s_delay_alu instid0(SALU_CYCLE_1)
	s_mov_b32 s34, exec_lo
	v_cmpx_lt_u32_e64 v116, v0
	s_cbranch_execnz .LBB919_1091
.LBB919_1122:                           ;   in Loop: Header=BB919_982 Depth=2
	s_or_b32 exec_lo, exec_lo, s34
	s_delay_alu instid0(SALU_CYCLE_1)
	s_mov_b32 s34, exec_lo
	v_cmpx_lt_u32_e64 v117, v0
	s_cbranch_execz .LBB919_1092
.LBB919_1123:                           ;   in Loop: Header=BB919_982 Depth=2
	global_load_b64 v[14:15], v[2:3], off offset:3328
	s_or_b32 exec_lo, exec_lo, s34
	s_delay_alu instid0(SALU_CYCLE_1)
	s_mov_b32 s34, exec_lo
	v_cmpx_lt_u32_e64 v118, v0
	s_cbranch_execnz .LBB919_1093
.LBB919_1124:                           ;   in Loop: Header=BB919_982 Depth=2
	s_or_b32 exec_lo, exec_lo, s34
	s_delay_alu instid0(SALU_CYCLE_1)
	s_mov_b32 s34, exec_lo
	v_cmpx_lt_u32_e64 v119, v0
	s_cbranch_execz .LBB919_1094
.LBB919_1125:                           ;   in Loop: Header=BB919_982 Depth=2
	global_load_b64 v[10:11], v[2:3], off offset:3840
	s_or_b32 exec_lo, exec_lo, s34
	s_and_saveexec_b32 s33, vcc_lo
	s_cbranch_execnz .LBB919_1095
.LBB919_1126:                           ;   in Loop: Header=BB919_982 Depth=2
	s_or_b32 exec_lo, exec_lo, s33
	s_and_saveexec_b32 s33, s16
	s_cbranch_execz .LBB919_1096
.LBB919_1127:                           ;   in Loop: Header=BB919_982 Depth=2
	ds_load_u16 v0, v83 offset:512
	s_waitcnt lgkmcnt(0)
	v_lshrrev_b32_e32 v0, s57, v0
	s_delay_alu instid0(VALU_DEP_1)
	v_and_b32_e32 v139, s43, v0
	s_or_b32 exec_lo, exec_lo, s33
	s_and_saveexec_b32 s33, s17
	s_cbranch_execnz .LBB919_1097
.LBB919_1128:                           ;   in Loop: Header=BB919_982 Depth=2
	s_or_b32 exec_lo, exec_lo, s33
	s_and_saveexec_b32 s33, s18
	s_cbranch_execz .LBB919_1098
.LBB919_1129:                           ;   in Loop: Header=BB919_982 Depth=2
	ds_load_u16 v0, v83 offset:1536
	s_waitcnt lgkmcnt(0)
	v_lshrrev_b32_e32 v0, s57, v0
	s_delay_alu instid0(VALU_DEP_1)
	v_and_b32_e32 v137, s43, v0
	s_or_b32 exec_lo, exec_lo, s33
	s_and_saveexec_b32 s33, s19
	s_cbranch_execnz .LBB919_1099
.LBB919_1130:                           ;   in Loop: Header=BB919_982 Depth=2
	s_or_b32 exec_lo, exec_lo, s33
	s_and_saveexec_b32 s33, s20
	s_cbranch_execz .LBB919_1100
.LBB919_1131:                           ;   in Loop: Header=BB919_982 Depth=2
	ds_load_u16 v0, v83 offset:2560
	s_waitcnt lgkmcnt(0)
	v_lshrrev_b32_e32 v0, s57, v0
	s_delay_alu instid0(VALU_DEP_1)
	v_and_b32_e32 v135, s43, v0
	s_or_b32 exec_lo, exec_lo, s33
	s_and_saveexec_b32 s33, s21
	s_cbranch_execnz .LBB919_1101
.LBB919_1132:                           ;   in Loop: Header=BB919_982 Depth=2
	s_or_b32 exec_lo, exec_lo, s33
	s_and_saveexec_b32 s33, s22
	s_cbranch_execz .LBB919_1102
.LBB919_1133:                           ;   in Loop: Header=BB919_982 Depth=2
	ds_load_u16 v0, v83 offset:3584
	s_waitcnt lgkmcnt(0)
	v_lshrrev_b32_e32 v0, s57, v0
	s_delay_alu instid0(VALU_DEP_1)
	v_and_b32_e32 v133, s43, v0
	s_or_b32 exec_lo, exec_lo, s33
	s_and_saveexec_b32 s33, s23
	s_cbranch_execnz .LBB919_1103
.LBB919_1134:                           ;   in Loop: Header=BB919_982 Depth=2
	s_or_b32 exec_lo, exec_lo, s33
	s_and_saveexec_b32 s33, s24
	s_cbranch_execz .LBB919_1104
.LBB919_1135:                           ;   in Loop: Header=BB919_982 Depth=2
	ds_load_u16 v0, v83 offset:4608
	s_waitcnt lgkmcnt(0)
	v_lshrrev_b32_e32 v0, s57, v0
	s_delay_alu instid0(VALU_DEP_1)
	v_and_b32_e32 v131, s43, v0
	s_or_b32 exec_lo, exec_lo, s33
	s_and_saveexec_b32 s33, s25
	s_cbranch_execnz .LBB919_1105
.LBB919_1136:                           ;   in Loop: Header=BB919_982 Depth=2
	s_or_b32 exec_lo, exec_lo, s33
	s_and_saveexec_b32 s33, s27
	s_cbranch_execz .LBB919_1106
.LBB919_1137:                           ;   in Loop: Header=BB919_982 Depth=2
	ds_load_u16 v0, v83 offset:5632
	s_waitcnt lgkmcnt(0)
	v_lshrrev_b32_e32 v0, s57, v0
	s_delay_alu instid0(VALU_DEP_1)
	v_and_b32_e32 v129, s43, v0
	s_or_b32 exec_lo, exec_lo, s33
	s_and_saveexec_b32 s33, s28
	s_cbranch_execnz .LBB919_1107
.LBB919_1138:                           ;   in Loop: Header=BB919_982 Depth=2
	s_or_b32 exec_lo, exec_lo, s33
	s_and_saveexec_b32 s33, s29
	s_cbranch_execz .LBB919_1108
.LBB919_1139:                           ;   in Loop: Header=BB919_982 Depth=2
	ds_load_u16 v0, v83 offset:6656
	s_waitcnt lgkmcnt(0)
	v_lshrrev_b32_e32 v0, s57, v0
	s_delay_alu instid0(VALU_DEP_1)
	v_and_b32_e32 v127, s43, v0
	s_or_b32 exec_lo, exec_lo, s33
	s_and_saveexec_b32 s33, s30
	s_cbranch_execnz .LBB919_1109
.LBB919_1140:                           ;   in Loop: Header=BB919_982 Depth=2
	s_or_b32 exec_lo, exec_lo, s33
	s_and_saveexec_b32 s33, s31
	s_cbranch_execz .LBB919_1142
.LBB919_1141:                           ;   in Loop: Header=BB919_982 Depth=2
	ds_load_u16 v0, v83 offset:7680
	s_waitcnt lgkmcnt(0)
	v_lshrrev_b32_e32 v0, s57, v0
	s_delay_alu instid0(VALU_DEP_1)
	v_and_b32_e32 v125, s43, v0
.LBB919_1142:                           ;   in Loop: Header=BB919_982 Depth=2
	s_or_b32 exec_lo, exec_lo, s33
	v_lshlrev_b32_e32 v0, 3, v159
	v_lshlrev_b32_e32 v2, 3, v155
	s_waitcnt vmcnt(0)
	s_waitcnt_vscnt null, 0x0
	s_barrier
	buffer_gl0_inv
	ds_store_b64 v0, v[43:44] offset:1024
	v_lshlrev_b32_e32 v0, 3, v151
	v_lshlrev_b32_e32 v3, 3, v150
	v_lshlrev_b32_e32 v19, 3, v149
	v_lshlrev_b32_e32 v142, 3, v147
	ds_store_b64 v2, v[41:42] offset:1024
	ds_store_b64 v0, v[39:40] offset:1024
	;; [unrolled: 1-line block ×5, first 2 shown]
	v_lshlrev_b32_e32 v0, 3, v146
	v_lshlrev_b32_e32 v2, 3, v145
	;; [unrolled: 1-line block ×5, first 2 shown]
	ds_store_b64 v0, v[31:32] offset:1024
	ds_store_b64 v2, v[29:30] offset:1024
	;; [unrolled: 1-line block ×5, first 2 shown]
	v_lshlrev_b32_e32 v0, 3, v8
	v_lshlrev_b32_e32 v2, 3, v6
	;; [unrolled: 1-line block ×5, first 2 shown]
	ds_store_b64 v0, v[21:22] offset:1024
	ds_store_b64 v2, v[16:17] offset:1024
	;; [unrolled: 1-line block ×5, first 2 shown]
	s_waitcnt lgkmcnt(0)
	s_barrier
	buffer_gl0_inv
	s_and_saveexec_b32 s33, vcc_lo
	s_cbranch_execz .LBB919_1158
; %bb.1143:                             ;   in Loop: Header=BB919_982 Depth=2
	v_lshlrev_b32_e32 v0, 2, v140
	ds_load_b32 v0, v0
	ds_load_b64 v[2:3], v84 offset:1024
	s_waitcnt lgkmcnt(1)
	v_add_nc_u32_e32 v19, v0, v18
	s_delay_alu instid0(VALU_DEP_1) | instskip(NEXT) | instid1(VALU_DEP_1)
	v_lshlrev_b64 v[5:6], 3, v[19:20]
	v_add_co_u32 v5, vcc_lo, s54, v5
	s_delay_alu instid0(VALU_DEP_2)
	v_add_co_ci_u32_e32 v6, vcc_lo, s55, v6, vcc_lo
	s_waitcnt lgkmcnt(0)
	global_store_b64 v[5:6], v[2:3], off
	s_or_b32 exec_lo, exec_lo, s33
	v_add_nc_u32_e32 v0, v83, v85
	s_and_saveexec_b32 s33, s16
	s_cbranch_execnz .LBB919_1159
.LBB919_1144:                           ;   in Loop: Header=BB919_982 Depth=2
	s_or_b32 exec_lo, exec_lo, s33
	s_and_saveexec_b32 s16, s17
	s_cbranch_execz .LBB919_1160
.LBB919_1145:                           ;   in Loop: Header=BB919_982 Depth=2
	v_lshlrev_b32_e32 v2, 2, v138
	ds_load_b32 v5, v2
	ds_load_b64 v[2:3], v0 offset:4096
	s_waitcnt lgkmcnt(1)
	v_add_nc_u32_e32 v19, v5, v49
	s_delay_alu instid0(VALU_DEP_1) | instskip(NEXT) | instid1(VALU_DEP_1)
	v_lshlrev_b64 v[5:6], 3, v[19:20]
	v_add_co_u32 v5, vcc_lo, s54, v5
	s_delay_alu instid0(VALU_DEP_2)
	v_add_co_ci_u32_e32 v6, vcc_lo, s55, v6, vcc_lo
	s_waitcnt lgkmcnt(0)
	global_store_b64 v[5:6], v[2:3], off
	s_or_b32 exec_lo, exec_lo, s16
	s_and_saveexec_b32 s16, s18
	s_cbranch_execnz .LBB919_1161
.LBB919_1146:                           ;   in Loop: Header=BB919_982 Depth=2
	s_or_b32 exec_lo, exec_lo, s16
	s_and_saveexec_b32 s16, s19
	s_cbranch_execz .LBB919_1162
.LBB919_1147:                           ;   in Loop: Header=BB919_982 Depth=2
	v_lshlrev_b32_e32 v2, 2, v136
	ds_load_b32 v5, v2
	ds_load_b64 v[2:3], v0 offset:8192
	s_waitcnt lgkmcnt(1)
	v_add_nc_u32_e32 v19, v5, v54
	s_delay_alu instid0(VALU_DEP_1) | instskip(NEXT) | instid1(VALU_DEP_1)
	v_lshlrev_b64 v[5:6], 3, v[19:20]
	v_add_co_u32 v5, vcc_lo, s54, v5
	s_delay_alu instid0(VALU_DEP_2)
	v_add_co_ci_u32_e32 v6, vcc_lo, s55, v6, vcc_lo
	s_waitcnt lgkmcnt(0)
	global_store_b64 v[5:6], v[2:3], off
	s_or_b32 exec_lo, exec_lo, s16
	s_and_saveexec_b32 s16, s20
	s_cbranch_execnz .LBB919_1163
.LBB919_1148:                           ;   in Loop: Header=BB919_982 Depth=2
	s_or_b32 exec_lo, exec_lo, s16
	s_and_saveexec_b32 s16, s21
	s_cbranch_execz .LBB919_1164
.LBB919_1149:                           ;   in Loop: Header=BB919_982 Depth=2
	v_lshlrev_b32_e32 v2, 2, v134
	ds_load_b32 v5, v2
	ds_load_b64 v[2:3], v0 offset:12288
	s_waitcnt lgkmcnt(1)
	v_add_nc_u32_e32 v19, v5, v56
	s_delay_alu instid0(VALU_DEP_1) | instskip(NEXT) | instid1(VALU_DEP_1)
	v_lshlrev_b64 v[5:6], 3, v[19:20]
	v_add_co_u32 v5, vcc_lo, s54, v5
	s_delay_alu instid0(VALU_DEP_2)
	v_add_co_ci_u32_e32 v6, vcc_lo, s55, v6, vcc_lo
	s_waitcnt lgkmcnt(0)
	global_store_b64 v[5:6], v[2:3], off
	s_or_b32 exec_lo, exec_lo, s16
	s_and_saveexec_b32 s16, s22
	s_cbranch_execnz .LBB919_1165
.LBB919_1150:                           ;   in Loop: Header=BB919_982 Depth=2
	s_or_b32 exec_lo, exec_lo, s16
	s_and_saveexec_b32 s16, s23
	s_cbranch_execz .LBB919_1166
.LBB919_1151:                           ;   in Loop: Header=BB919_982 Depth=2
	v_lshlrev_b32_e32 v2, 2, v132
	ds_load_b32 v5, v2
	ds_load_b64 v[2:3], v0 offset:16384
	s_waitcnt lgkmcnt(1)
	v_add_nc_u32_e32 v19, v5, v58
	s_delay_alu instid0(VALU_DEP_1) | instskip(NEXT) | instid1(VALU_DEP_1)
	v_lshlrev_b64 v[5:6], 3, v[19:20]
	v_add_co_u32 v5, vcc_lo, s54, v5
	s_delay_alu instid0(VALU_DEP_2)
	v_add_co_ci_u32_e32 v6, vcc_lo, s55, v6, vcc_lo
	s_waitcnt lgkmcnt(0)
	global_store_b64 v[5:6], v[2:3], off
	s_or_b32 exec_lo, exec_lo, s16
	s_and_saveexec_b32 s16, s24
	s_cbranch_execnz .LBB919_1167
.LBB919_1152:                           ;   in Loop: Header=BB919_982 Depth=2
	s_or_b32 exec_lo, exec_lo, s16
	s_and_saveexec_b32 s16, s25
	s_cbranch_execz .LBB919_1168
.LBB919_1153:                           ;   in Loop: Header=BB919_982 Depth=2
	v_lshlrev_b32_e32 v2, 2, v130
	ds_load_b32 v5, v2
	ds_load_b64 v[2:3], v0 offset:20480
	s_waitcnt lgkmcnt(1)
	v_add_nc_u32_e32 v19, v5, v60
	s_delay_alu instid0(VALU_DEP_1) | instskip(NEXT) | instid1(VALU_DEP_1)
	v_lshlrev_b64 v[5:6], 3, v[19:20]
	v_add_co_u32 v5, vcc_lo, s54, v5
	s_delay_alu instid0(VALU_DEP_2)
	v_add_co_ci_u32_e32 v6, vcc_lo, s55, v6, vcc_lo
	s_waitcnt lgkmcnt(0)
	global_store_b64 v[5:6], v[2:3], off
	s_or_b32 exec_lo, exec_lo, s16
	s_and_saveexec_b32 s16, s27
	s_cbranch_execnz .LBB919_1169
.LBB919_1154:                           ;   in Loop: Header=BB919_982 Depth=2
	s_or_b32 exec_lo, exec_lo, s16
	s_and_saveexec_b32 s16, s28
	s_cbranch_execz .LBB919_1170
.LBB919_1155:                           ;   in Loop: Header=BB919_982 Depth=2
	v_lshlrev_b32_e32 v2, 2, v128
	ds_load_b32 v5, v2
	ds_load_b64 v[2:3], v0 offset:24576
	s_waitcnt lgkmcnt(1)
	v_add_nc_u32_e32 v19, v5, v62
	s_delay_alu instid0(VALU_DEP_1) | instskip(NEXT) | instid1(VALU_DEP_1)
	v_lshlrev_b64 v[5:6], 3, v[19:20]
	v_add_co_u32 v5, vcc_lo, s54, v5
	s_delay_alu instid0(VALU_DEP_2)
	v_add_co_ci_u32_e32 v6, vcc_lo, s55, v6, vcc_lo
	s_waitcnt lgkmcnt(0)
	global_store_b64 v[5:6], v[2:3], off
	s_or_b32 exec_lo, exec_lo, s16
	s_and_saveexec_b32 s16, s29
	s_cbranch_execnz .LBB919_1171
.LBB919_1156:                           ;   in Loop: Header=BB919_982 Depth=2
	s_or_b32 exec_lo, exec_lo, s16
	s_and_saveexec_b32 s16, s30
	s_cbranch_execz .LBB919_1172
.LBB919_1157:                           ;   in Loop: Header=BB919_982 Depth=2
	v_lshlrev_b32_e32 v2, 2, v126
	ds_load_b32 v5, v2
	ds_load_b64 v[2:3], v0 offset:28672
	s_waitcnt lgkmcnt(1)
	v_add_nc_u32_e32 v19, v5, v64
	s_delay_alu instid0(VALU_DEP_1) | instskip(NEXT) | instid1(VALU_DEP_1)
	v_lshlrev_b64 v[5:6], 3, v[19:20]
	v_add_co_u32 v5, vcc_lo, s54, v5
	s_delay_alu instid0(VALU_DEP_2)
	v_add_co_ci_u32_e32 v6, vcc_lo, s55, v6, vcc_lo
	s_waitcnt lgkmcnt(0)
	global_store_b64 v[5:6], v[2:3], off
	s_or_b32 exec_lo, exec_lo, s16
	s_and_saveexec_b32 s16, s31
	s_cbranch_execnz .LBB919_1173
	s_branch .LBB919_1174
.LBB919_1158:                           ;   in Loop: Header=BB919_982 Depth=2
	s_or_b32 exec_lo, exec_lo, s33
	v_add_nc_u32_e32 v0, v83, v85
	s_and_saveexec_b32 s33, s16
	s_cbranch_execz .LBB919_1144
.LBB919_1159:                           ;   in Loop: Header=BB919_982 Depth=2
	v_lshlrev_b32_e32 v2, 2, v139
	ds_load_b32 v5, v2
	ds_load_b64 v[2:3], v0 offset:2048
	s_waitcnt lgkmcnt(1)
	v_add_nc_u32_e32 v19, v5, v48
	s_delay_alu instid0(VALU_DEP_1) | instskip(NEXT) | instid1(VALU_DEP_1)
	v_lshlrev_b64 v[5:6], 3, v[19:20]
	v_add_co_u32 v5, vcc_lo, s54, v5
	s_delay_alu instid0(VALU_DEP_2)
	v_add_co_ci_u32_e32 v6, vcc_lo, s55, v6, vcc_lo
	s_waitcnt lgkmcnt(0)
	global_store_b64 v[5:6], v[2:3], off
	s_or_b32 exec_lo, exec_lo, s33
	s_and_saveexec_b32 s16, s17
	s_cbranch_execnz .LBB919_1145
.LBB919_1160:                           ;   in Loop: Header=BB919_982 Depth=2
	s_or_b32 exec_lo, exec_lo, s16
	s_and_saveexec_b32 s16, s18
	s_cbranch_execz .LBB919_1146
.LBB919_1161:                           ;   in Loop: Header=BB919_982 Depth=2
	v_lshlrev_b32_e32 v2, 2, v137
	ds_load_b32 v5, v2
	ds_load_b64 v[2:3], v0 offset:6144
	s_waitcnt lgkmcnt(1)
	v_add_nc_u32_e32 v19, v5, v50
	s_delay_alu instid0(VALU_DEP_1) | instskip(NEXT) | instid1(VALU_DEP_1)
	v_lshlrev_b64 v[5:6], 3, v[19:20]
	v_add_co_u32 v5, vcc_lo, s54, v5
	s_delay_alu instid0(VALU_DEP_2)
	v_add_co_ci_u32_e32 v6, vcc_lo, s55, v6, vcc_lo
	s_waitcnt lgkmcnt(0)
	global_store_b64 v[5:6], v[2:3], off
	s_or_b32 exec_lo, exec_lo, s16
	s_and_saveexec_b32 s16, s19
	s_cbranch_execnz .LBB919_1147
.LBB919_1162:                           ;   in Loop: Header=BB919_982 Depth=2
	s_or_b32 exec_lo, exec_lo, s16
	s_and_saveexec_b32 s16, s20
	s_cbranch_execz .LBB919_1148
.LBB919_1163:                           ;   in Loop: Header=BB919_982 Depth=2
	v_lshlrev_b32_e32 v2, 2, v135
	ds_load_b32 v5, v2
	ds_load_b64 v[2:3], v0 offset:10240
	s_waitcnt lgkmcnt(1)
	v_add_nc_u32_e32 v19, v5, v55
	s_delay_alu instid0(VALU_DEP_1) | instskip(NEXT) | instid1(VALU_DEP_1)
	v_lshlrev_b64 v[5:6], 3, v[19:20]
	v_add_co_u32 v5, vcc_lo, s54, v5
	s_delay_alu instid0(VALU_DEP_2)
	v_add_co_ci_u32_e32 v6, vcc_lo, s55, v6, vcc_lo
	s_waitcnt lgkmcnt(0)
	global_store_b64 v[5:6], v[2:3], off
	s_or_b32 exec_lo, exec_lo, s16
	s_and_saveexec_b32 s16, s21
	s_cbranch_execnz .LBB919_1149
.LBB919_1164:                           ;   in Loop: Header=BB919_982 Depth=2
	s_or_b32 exec_lo, exec_lo, s16
	s_and_saveexec_b32 s16, s22
	s_cbranch_execz .LBB919_1150
.LBB919_1165:                           ;   in Loop: Header=BB919_982 Depth=2
	v_lshlrev_b32_e32 v2, 2, v133
	ds_load_b32 v5, v2
	ds_load_b64 v[2:3], v0 offset:14336
	s_waitcnt lgkmcnt(1)
	v_add_nc_u32_e32 v19, v5, v57
	s_delay_alu instid0(VALU_DEP_1) | instskip(NEXT) | instid1(VALU_DEP_1)
	v_lshlrev_b64 v[5:6], 3, v[19:20]
	v_add_co_u32 v5, vcc_lo, s54, v5
	s_delay_alu instid0(VALU_DEP_2)
	v_add_co_ci_u32_e32 v6, vcc_lo, s55, v6, vcc_lo
	s_waitcnt lgkmcnt(0)
	global_store_b64 v[5:6], v[2:3], off
	s_or_b32 exec_lo, exec_lo, s16
	s_and_saveexec_b32 s16, s23
	s_cbranch_execnz .LBB919_1151
.LBB919_1166:                           ;   in Loop: Header=BB919_982 Depth=2
	s_or_b32 exec_lo, exec_lo, s16
	s_and_saveexec_b32 s16, s24
	s_cbranch_execz .LBB919_1152
.LBB919_1167:                           ;   in Loop: Header=BB919_982 Depth=2
	v_lshlrev_b32_e32 v2, 2, v131
	ds_load_b32 v5, v2
	ds_load_b64 v[2:3], v0 offset:18432
	s_waitcnt lgkmcnt(1)
	v_add_nc_u32_e32 v19, v5, v59
	s_delay_alu instid0(VALU_DEP_1) | instskip(NEXT) | instid1(VALU_DEP_1)
	v_lshlrev_b64 v[5:6], 3, v[19:20]
	v_add_co_u32 v5, vcc_lo, s54, v5
	s_delay_alu instid0(VALU_DEP_2)
	v_add_co_ci_u32_e32 v6, vcc_lo, s55, v6, vcc_lo
	s_waitcnt lgkmcnt(0)
	global_store_b64 v[5:6], v[2:3], off
	s_or_b32 exec_lo, exec_lo, s16
	s_and_saveexec_b32 s16, s25
	s_cbranch_execnz .LBB919_1153
.LBB919_1168:                           ;   in Loop: Header=BB919_982 Depth=2
	s_or_b32 exec_lo, exec_lo, s16
	s_and_saveexec_b32 s16, s27
	s_cbranch_execz .LBB919_1154
.LBB919_1169:                           ;   in Loop: Header=BB919_982 Depth=2
	v_lshlrev_b32_e32 v2, 2, v129
	ds_load_b32 v5, v2
	ds_load_b64 v[2:3], v0 offset:22528
	s_waitcnt lgkmcnt(1)
	v_add_nc_u32_e32 v19, v5, v61
	s_delay_alu instid0(VALU_DEP_1) | instskip(NEXT) | instid1(VALU_DEP_1)
	v_lshlrev_b64 v[5:6], 3, v[19:20]
	v_add_co_u32 v5, vcc_lo, s54, v5
	s_delay_alu instid0(VALU_DEP_2)
	v_add_co_ci_u32_e32 v6, vcc_lo, s55, v6, vcc_lo
	s_waitcnt lgkmcnt(0)
	global_store_b64 v[5:6], v[2:3], off
	s_or_b32 exec_lo, exec_lo, s16
	s_and_saveexec_b32 s16, s28
	s_cbranch_execnz .LBB919_1155
.LBB919_1170:                           ;   in Loop: Header=BB919_982 Depth=2
	s_or_b32 exec_lo, exec_lo, s16
	s_and_saveexec_b32 s16, s29
	s_cbranch_execz .LBB919_1156
.LBB919_1171:                           ;   in Loop: Header=BB919_982 Depth=2
	v_lshlrev_b32_e32 v2, 2, v127
	ds_load_b32 v5, v2
	ds_load_b64 v[2:3], v0 offset:26624
	s_waitcnt lgkmcnt(1)
	v_add_nc_u32_e32 v19, v5, v63
	s_delay_alu instid0(VALU_DEP_1) | instskip(NEXT) | instid1(VALU_DEP_1)
	v_lshlrev_b64 v[5:6], 3, v[19:20]
	v_add_co_u32 v5, vcc_lo, s54, v5
	s_delay_alu instid0(VALU_DEP_2)
	v_add_co_ci_u32_e32 v6, vcc_lo, s55, v6, vcc_lo
	s_waitcnt lgkmcnt(0)
	global_store_b64 v[5:6], v[2:3], off
	s_or_b32 exec_lo, exec_lo, s16
	s_and_saveexec_b32 s16, s30
	s_cbranch_execnz .LBB919_1157
.LBB919_1172:                           ;   in Loop: Header=BB919_982 Depth=2
	s_or_b32 exec_lo, exec_lo, s16
	s_and_saveexec_b32 s16, s31
	s_cbranch_execz .LBB919_1174
.LBB919_1173:                           ;   in Loop: Header=BB919_982 Depth=2
	v_lshlrev_b32_e32 v2, 2, v125
	ds_load_b32 v5, v2
	ds_load_b64 v[2:3], v0 offset:30720
	s_waitcnt lgkmcnt(1)
	v_add_nc_u32_e32 v19, v5, v66
	s_delay_alu instid0(VALU_DEP_1) | instskip(NEXT) | instid1(VALU_DEP_1)
	v_lshlrev_b64 v[5:6], 3, v[19:20]
	v_add_co_u32 v5, vcc_lo, s54, v5
	s_delay_alu instid0(VALU_DEP_2)
	v_add_co_ci_u32_e32 v6, vcc_lo, s55, v6, vcc_lo
	s_waitcnt lgkmcnt(0)
	global_store_b64 v[5:6], v[2:3], off
.LBB919_1174:                           ;   in Loop: Header=BB919_982 Depth=2
	s_or_b32 exec_lo, exec_lo, s16
	s_waitcnt_vscnt null, 0x0
	s_barrier
	buffer_gl0_inv
	s_and_saveexec_b32 s16, s2
	s_cbranch_execz .LBB919_981
; %bb.1175:                             ;   in Loop: Header=BB919_982 Depth=2
	ds_load_b32 v0, v47
	s_waitcnt lgkmcnt(0)
	v_add_nc_u32_e32 v0, v0, v4
	ds_store_b32 v47, v0
	s_branch .LBB919_981
.LBB919_1176:                           ;   in Loop: Header=BB919_982 Depth=2
	s_or_b32 exec_lo, exec_lo, s16
	s_delay_alu instid0(SALU_CYCLE_1)
	s_mov_b32 s16, exec_lo
	v_cmpx_gt_u32_e64 s56, v105
	s_cbranch_execz .LBB919_987
.LBB919_1177:                           ;   in Loop: Header=BB919_982 Depth=2
	global_load_d16_hi_b16 v2, v[45:46], off offset:64
	s_or_b32 exec_lo, exec_lo, s16
	s_delay_alu instid0(SALU_CYCLE_1)
	s_mov_b32 s16, exec_lo
	v_cmpx_gt_u32_e64 s56, v106
	s_cbranch_execnz .LBB919_988
.LBB919_1178:                           ;   in Loop: Header=BB919_982 Depth=2
	s_or_b32 exec_lo, exec_lo, s16
	s_delay_alu instid0(SALU_CYCLE_1)
	s_mov_b32 s16, exec_lo
	v_cmpx_gt_u32_e64 s56, v107
	s_cbranch_execz .LBB919_989
.LBB919_1179:                           ;   in Loop: Header=BB919_982 Depth=2
	global_load_d16_hi_b16 v3, v[45:46], off offset:192
	s_or_b32 exec_lo, exec_lo, s16
	s_delay_alu instid0(SALU_CYCLE_1)
	s_mov_b32 s16, exec_lo
	v_cmpx_gt_u32_e64 s56, v108
	s_cbranch_execnz .LBB919_990
.LBB919_1180:                           ;   in Loop: Header=BB919_982 Depth=2
	s_or_b32 exec_lo, exec_lo, s16
	s_delay_alu instid0(SALU_CYCLE_1)
	s_mov_b32 s16, exec_lo
	v_cmpx_gt_u32_e64 s56, v109
	s_cbranch_execz .LBB919_991
.LBB919_1181:                           ;   in Loop: Header=BB919_982 Depth=2
	global_load_d16_hi_b16 v4, v[45:46], off offset:320
	s_or_b32 exec_lo, exec_lo, s16
	s_delay_alu instid0(SALU_CYCLE_1)
	s_mov_b32 s16, exec_lo
	v_cmpx_gt_u32_e64 s56, v110
	s_cbranch_execnz .LBB919_992
.LBB919_1182:                           ;   in Loop: Header=BB919_982 Depth=2
	s_or_b32 exec_lo, exec_lo, s16
	s_delay_alu instid0(SALU_CYCLE_1)
	s_mov_b32 s16, exec_lo
	v_cmpx_gt_u32_e64 s56, v111
	s_cbranch_execz .LBB919_993
.LBB919_1183:                           ;   in Loop: Header=BB919_982 Depth=2
	global_load_d16_hi_b16 v5, v[45:46], off offset:448
	s_or_b32 exec_lo, exec_lo, s16
	s_delay_alu instid0(SALU_CYCLE_1)
	s_mov_b32 s16, exec_lo
	v_cmpx_gt_u32_e64 s56, v112
	s_cbranch_execnz .LBB919_994
.LBB919_1184:                           ;   in Loop: Header=BB919_982 Depth=2
	s_or_b32 exec_lo, exec_lo, s16
	s_delay_alu instid0(SALU_CYCLE_1)
	s_mov_b32 s16, exec_lo
	v_cmpx_gt_u32_e64 s56, v113
	s_cbranch_execz .LBB919_995
.LBB919_1185:                           ;   in Loop: Header=BB919_982 Depth=2
	global_load_d16_hi_b16 v6, v[45:46], off offset:576
	s_or_b32 exec_lo, exec_lo, s16
	s_delay_alu instid0(SALU_CYCLE_1)
	s_mov_b32 s16, exec_lo
	v_cmpx_gt_u32_e64 s56, v114
	s_cbranch_execnz .LBB919_996
.LBB919_1186:                           ;   in Loop: Header=BB919_982 Depth=2
	s_or_b32 exec_lo, exec_lo, s16
	s_delay_alu instid0(SALU_CYCLE_1)
	s_mov_b32 s16, exec_lo
	v_cmpx_gt_u32_e64 s56, v115
	s_cbranch_execz .LBB919_997
.LBB919_1187:                           ;   in Loop: Header=BB919_982 Depth=2
	global_load_d16_hi_b16 v7, v[45:46], off offset:704
	s_or_b32 exec_lo, exec_lo, s16
	s_delay_alu instid0(SALU_CYCLE_1)
	s_mov_b32 s16, exec_lo
	v_cmpx_gt_u32_e64 s56, v116
	s_cbranch_execnz .LBB919_998
.LBB919_1188:                           ;   in Loop: Header=BB919_982 Depth=2
	s_or_b32 exec_lo, exec_lo, s16
	s_delay_alu instid0(SALU_CYCLE_1)
	s_mov_b32 s16, exec_lo
	v_cmpx_gt_u32_e64 s56, v117
	s_cbranch_execz .LBB919_999
.LBB919_1189:                           ;   in Loop: Header=BB919_982 Depth=2
	global_load_d16_hi_b16 v8, v[45:46], off offset:832
	s_or_b32 exec_lo, exec_lo, s16
	s_delay_alu instid0(SALU_CYCLE_1)
	s_mov_b32 s16, exec_lo
	v_cmpx_gt_u32_e64 s56, v118
	s_cbranch_execnz .LBB919_1000
	s_branch .LBB919_1001
.LBB919_1190:
	s_endpgm
	.section	.rodata,"a",@progbits
	.p2align	6, 0x0
	.amdhsa_kernel _ZN7rocprim17ROCPRIM_400000_NS6detail17trampoline_kernelINS0_14default_configENS1_36segmented_radix_sort_config_selectorIslEEZNS1_25segmented_radix_sort_implIS3_Lb1EPKsPsPKlPlN2at6native12_GLOBAL__N_18offset_tEEE10hipError_tPvRmT1_PNSt15iterator_traitsISK_E10value_typeET2_T3_PNSL_ISQ_E10value_typeET4_jRbjT5_SW_jjP12ihipStream_tbEUlT_E_NS1_11comp_targetILNS1_3genE9ELNS1_11target_archE1100ELNS1_3gpuE3ELNS1_3repE0EEENS1_30default_config_static_selectorELNS0_4arch9wavefront6targetE0EEEvSK_
		.amdhsa_group_segment_fixed_size 33824
		.amdhsa_private_segment_fixed_size 188
		.amdhsa_kernarg_size 352
		.amdhsa_user_sgpr_count 14
		.amdhsa_user_sgpr_dispatch_ptr 0
		.amdhsa_user_sgpr_queue_ptr 0
		.amdhsa_user_sgpr_kernarg_segment_ptr 1
		.amdhsa_user_sgpr_dispatch_id 0
		.amdhsa_user_sgpr_private_segment_size 0
		.amdhsa_wavefront_size32 1
		.amdhsa_uses_dynamic_stack 0
		.amdhsa_enable_private_segment 1
		.amdhsa_system_sgpr_workgroup_id_x 1
		.amdhsa_system_sgpr_workgroup_id_y 1
		.amdhsa_system_sgpr_workgroup_id_z 0
		.amdhsa_system_sgpr_workgroup_info 0
		.amdhsa_system_vgpr_workitem_id 2
		.amdhsa_next_free_vgpr 248
		.amdhsa_next_free_sgpr 66
		.amdhsa_reserve_vcc 1
		.amdhsa_float_round_mode_32 0
		.amdhsa_float_round_mode_16_64 0
		.amdhsa_float_denorm_mode_32 3
		.amdhsa_float_denorm_mode_16_64 3
		.amdhsa_dx10_clamp 1
		.amdhsa_ieee_mode 1
		.amdhsa_fp16_overflow 0
		.amdhsa_workgroup_processor_mode 1
		.amdhsa_memory_ordered 1
		.amdhsa_forward_progress 0
		.amdhsa_shared_vgpr_count 0
		.amdhsa_exception_fp_ieee_invalid_op 0
		.amdhsa_exception_fp_denorm_src 0
		.amdhsa_exception_fp_ieee_div_zero 0
		.amdhsa_exception_fp_ieee_overflow 0
		.amdhsa_exception_fp_ieee_underflow 0
		.amdhsa_exception_fp_ieee_inexact 0
		.amdhsa_exception_int_div_zero 0
	.end_amdhsa_kernel
	.section	.text._ZN7rocprim17ROCPRIM_400000_NS6detail17trampoline_kernelINS0_14default_configENS1_36segmented_radix_sort_config_selectorIslEEZNS1_25segmented_radix_sort_implIS3_Lb1EPKsPsPKlPlN2at6native12_GLOBAL__N_18offset_tEEE10hipError_tPvRmT1_PNSt15iterator_traitsISK_E10value_typeET2_T3_PNSL_ISQ_E10value_typeET4_jRbjT5_SW_jjP12ihipStream_tbEUlT_E_NS1_11comp_targetILNS1_3genE9ELNS1_11target_archE1100ELNS1_3gpuE3ELNS1_3repE0EEENS1_30default_config_static_selectorELNS0_4arch9wavefront6targetE0EEEvSK_,"axG",@progbits,_ZN7rocprim17ROCPRIM_400000_NS6detail17trampoline_kernelINS0_14default_configENS1_36segmented_radix_sort_config_selectorIslEEZNS1_25segmented_radix_sort_implIS3_Lb1EPKsPsPKlPlN2at6native12_GLOBAL__N_18offset_tEEE10hipError_tPvRmT1_PNSt15iterator_traitsISK_E10value_typeET2_T3_PNSL_ISQ_E10value_typeET4_jRbjT5_SW_jjP12ihipStream_tbEUlT_E_NS1_11comp_targetILNS1_3genE9ELNS1_11target_archE1100ELNS1_3gpuE3ELNS1_3repE0EEENS1_30default_config_static_selectorELNS0_4arch9wavefront6targetE0EEEvSK_,comdat
.Lfunc_end919:
	.size	_ZN7rocprim17ROCPRIM_400000_NS6detail17trampoline_kernelINS0_14default_configENS1_36segmented_radix_sort_config_selectorIslEEZNS1_25segmented_radix_sort_implIS3_Lb1EPKsPsPKlPlN2at6native12_GLOBAL__N_18offset_tEEE10hipError_tPvRmT1_PNSt15iterator_traitsISK_E10value_typeET2_T3_PNSL_ISQ_E10value_typeET4_jRbjT5_SW_jjP12ihipStream_tbEUlT_E_NS1_11comp_targetILNS1_3genE9ELNS1_11target_archE1100ELNS1_3gpuE3ELNS1_3repE0EEENS1_30default_config_static_selectorELNS0_4arch9wavefront6targetE0EEEvSK_, .Lfunc_end919-_ZN7rocprim17ROCPRIM_400000_NS6detail17trampoline_kernelINS0_14default_configENS1_36segmented_radix_sort_config_selectorIslEEZNS1_25segmented_radix_sort_implIS3_Lb1EPKsPsPKlPlN2at6native12_GLOBAL__N_18offset_tEEE10hipError_tPvRmT1_PNSt15iterator_traitsISK_E10value_typeET2_T3_PNSL_ISQ_E10value_typeET4_jRbjT5_SW_jjP12ihipStream_tbEUlT_E_NS1_11comp_targetILNS1_3genE9ELNS1_11target_archE1100ELNS1_3gpuE3ELNS1_3repE0EEENS1_30default_config_static_selectorELNS0_4arch9wavefront6targetE0EEEvSK_
                                        ; -- End function
	.section	.AMDGPU.csdata,"",@progbits
; Kernel info:
; codeLenInByte = 71368
; NumSgprs: 68
; NumVgprs: 248
; ScratchSize: 188
; MemoryBound: 0
; FloatMode: 240
; IeeeMode: 1
; LDSByteSize: 33824 bytes/workgroup (compile time only)
; SGPRBlocks: 8
; VGPRBlocks: 30
; NumSGPRsForWavesPerEU: 68
; NumVGPRsForWavesPerEU: 248
; Occupancy: 5
; WaveLimiterHint : 1
; COMPUTE_PGM_RSRC2:SCRATCH_EN: 1
; COMPUTE_PGM_RSRC2:USER_SGPR: 14
; COMPUTE_PGM_RSRC2:TRAP_HANDLER: 0
; COMPUTE_PGM_RSRC2:TGID_X_EN: 1
; COMPUTE_PGM_RSRC2:TGID_Y_EN: 1
; COMPUTE_PGM_RSRC2:TGID_Z_EN: 0
; COMPUTE_PGM_RSRC2:TIDIG_COMP_CNT: 2
	.section	.text._ZN7rocprim17ROCPRIM_400000_NS6detail17trampoline_kernelINS0_14default_configENS1_36segmented_radix_sort_config_selectorIslEEZNS1_25segmented_radix_sort_implIS3_Lb1EPKsPsPKlPlN2at6native12_GLOBAL__N_18offset_tEEE10hipError_tPvRmT1_PNSt15iterator_traitsISK_E10value_typeET2_T3_PNSL_ISQ_E10value_typeET4_jRbjT5_SW_jjP12ihipStream_tbEUlT_E_NS1_11comp_targetILNS1_3genE8ELNS1_11target_archE1030ELNS1_3gpuE2ELNS1_3repE0EEENS1_30default_config_static_selectorELNS0_4arch9wavefront6targetE0EEEvSK_,"axG",@progbits,_ZN7rocprim17ROCPRIM_400000_NS6detail17trampoline_kernelINS0_14default_configENS1_36segmented_radix_sort_config_selectorIslEEZNS1_25segmented_radix_sort_implIS3_Lb1EPKsPsPKlPlN2at6native12_GLOBAL__N_18offset_tEEE10hipError_tPvRmT1_PNSt15iterator_traitsISK_E10value_typeET2_T3_PNSL_ISQ_E10value_typeET4_jRbjT5_SW_jjP12ihipStream_tbEUlT_E_NS1_11comp_targetILNS1_3genE8ELNS1_11target_archE1030ELNS1_3gpuE2ELNS1_3repE0EEENS1_30default_config_static_selectorELNS0_4arch9wavefront6targetE0EEEvSK_,comdat
	.globl	_ZN7rocprim17ROCPRIM_400000_NS6detail17trampoline_kernelINS0_14default_configENS1_36segmented_radix_sort_config_selectorIslEEZNS1_25segmented_radix_sort_implIS3_Lb1EPKsPsPKlPlN2at6native12_GLOBAL__N_18offset_tEEE10hipError_tPvRmT1_PNSt15iterator_traitsISK_E10value_typeET2_T3_PNSL_ISQ_E10value_typeET4_jRbjT5_SW_jjP12ihipStream_tbEUlT_E_NS1_11comp_targetILNS1_3genE8ELNS1_11target_archE1030ELNS1_3gpuE2ELNS1_3repE0EEENS1_30default_config_static_selectorELNS0_4arch9wavefront6targetE0EEEvSK_ ; -- Begin function _ZN7rocprim17ROCPRIM_400000_NS6detail17trampoline_kernelINS0_14default_configENS1_36segmented_radix_sort_config_selectorIslEEZNS1_25segmented_radix_sort_implIS3_Lb1EPKsPsPKlPlN2at6native12_GLOBAL__N_18offset_tEEE10hipError_tPvRmT1_PNSt15iterator_traitsISK_E10value_typeET2_T3_PNSL_ISQ_E10value_typeET4_jRbjT5_SW_jjP12ihipStream_tbEUlT_E_NS1_11comp_targetILNS1_3genE8ELNS1_11target_archE1030ELNS1_3gpuE2ELNS1_3repE0EEENS1_30default_config_static_selectorELNS0_4arch9wavefront6targetE0EEEvSK_
	.p2align	8
	.type	_ZN7rocprim17ROCPRIM_400000_NS6detail17trampoline_kernelINS0_14default_configENS1_36segmented_radix_sort_config_selectorIslEEZNS1_25segmented_radix_sort_implIS3_Lb1EPKsPsPKlPlN2at6native12_GLOBAL__N_18offset_tEEE10hipError_tPvRmT1_PNSt15iterator_traitsISK_E10value_typeET2_T3_PNSL_ISQ_E10value_typeET4_jRbjT5_SW_jjP12ihipStream_tbEUlT_E_NS1_11comp_targetILNS1_3genE8ELNS1_11target_archE1030ELNS1_3gpuE2ELNS1_3repE0EEENS1_30default_config_static_selectorELNS0_4arch9wavefront6targetE0EEEvSK_,@function
_ZN7rocprim17ROCPRIM_400000_NS6detail17trampoline_kernelINS0_14default_configENS1_36segmented_radix_sort_config_selectorIslEEZNS1_25segmented_radix_sort_implIS3_Lb1EPKsPsPKlPlN2at6native12_GLOBAL__N_18offset_tEEE10hipError_tPvRmT1_PNSt15iterator_traitsISK_E10value_typeET2_T3_PNSL_ISQ_E10value_typeET4_jRbjT5_SW_jjP12ihipStream_tbEUlT_E_NS1_11comp_targetILNS1_3genE8ELNS1_11target_archE1030ELNS1_3gpuE2ELNS1_3repE0EEENS1_30default_config_static_selectorELNS0_4arch9wavefront6targetE0EEEvSK_: ; @_ZN7rocprim17ROCPRIM_400000_NS6detail17trampoline_kernelINS0_14default_configENS1_36segmented_radix_sort_config_selectorIslEEZNS1_25segmented_radix_sort_implIS3_Lb1EPKsPsPKlPlN2at6native12_GLOBAL__N_18offset_tEEE10hipError_tPvRmT1_PNSt15iterator_traitsISK_E10value_typeET2_T3_PNSL_ISQ_E10value_typeET4_jRbjT5_SW_jjP12ihipStream_tbEUlT_E_NS1_11comp_targetILNS1_3genE8ELNS1_11target_archE1030ELNS1_3gpuE2ELNS1_3repE0EEENS1_30default_config_static_selectorELNS0_4arch9wavefront6targetE0EEEvSK_
; %bb.0:
	.section	.rodata,"a",@progbits
	.p2align	6, 0x0
	.amdhsa_kernel _ZN7rocprim17ROCPRIM_400000_NS6detail17trampoline_kernelINS0_14default_configENS1_36segmented_radix_sort_config_selectorIslEEZNS1_25segmented_radix_sort_implIS3_Lb1EPKsPsPKlPlN2at6native12_GLOBAL__N_18offset_tEEE10hipError_tPvRmT1_PNSt15iterator_traitsISK_E10value_typeET2_T3_PNSL_ISQ_E10value_typeET4_jRbjT5_SW_jjP12ihipStream_tbEUlT_E_NS1_11comp_targetILNS1_3genE8ELNS1_11target_archE1030ELNS1_3gpuE2ELNS1_3repE0EEENS1_30default_config_static_selectorELNS0_4arch9wavefront6targetE0EEEvSK_
		.amdhsa_group_segment_fixed_size 0
		.amdhsa_private_segment_fixed_size 0
		.amdhsa_kernarg_size 96
		.amdhsa_user_sgpr_count 15
		.amdhsa_user_sgpr_dispatch_ptr 0
		.amdhsa_user_sgpr_queue_ptr 0
		.amdhsa_user_sgpr_kernarg_segment_ptr 1
		.amdhsa_user_sgpr_dispatch_id 0
		.amdhsa_user_sgpr_private_segment_size 0
		.amdhsa_wavefront_size32 1
		.amdhsa_uses_dynamic_stack 0
		.amdhsa_enable_private_segment 0
		.amdhsa_system_sgpr_workgroup_id_x 1
		.amdhsa_system_sgpr_workgroup_id_y 0
		.amdhsa_system_sgpr_workgroup_id_z 0
		.amdhsa_system_sgpr_workgroup_info 0
		.amdhsa_system_vgpr_workitem_id 0
		.amdhsa_next_free_vgpr 1
		.amdhsa_next_free_sgpr 1
		.amdhsa_reserve_vcc 0
		.amdhsa_float_round_mode_32 0
		.amdhsa_float_round_mode_16_64 0
		.amdhsa_float_denorm_mode_32 3
		.amdhsa_float_denorm_mode_16_64 3
		.amdhsa_dx10_clamp 1
		.amdhsa_ieee_mode 1
		.amdhsa_fp16_overflow 0
		.amdhsa_workgroup_processor_mode 1
		.amdhsa_memory_ordered 1
		.amdhsa_forward_progress 0
		.amdhsa_shared_vgpr_count 0
		.amdhsa_exception_fp_ieee_invalid_op 0
		.amdhsa_exception_fp_denorm_src 0
		.amdhsa_exception_fp_ieee_div_zero 0
		.amdhsa_exception_fp_ieee_overflow 0
		.amdhsa_exception_fp_ieee_underflow 0
		.amdhsa_exception_fp_ieee_inexact 0
		.amdhsa_exception_int_div_zero 0
	.end_amdhsa_kernel
	.section	.text._ZN7rocprim17ROCPRIM_400000_NS6detail17trampoline_kernelINS0_14default_configENS1_36segmented_radix_sort_config_selectorIslEEZNS1_25segmented_radix_sort_implIS3_Lb1EPKsPsPKlPlN2at6native12_GLOBAL__N_18offset_tEEE10hipError_tPvRmT1_PNSt15iterator_traitsISK_E10value_typeET2_T3_PNSL_ISQ_E10value_typeET4_jRbjT5_SW_jjP12ihipStream_tbEUlT_E_NS1_11comp_targetILNS1_3genE8ELNS1_11target_archE1030ELNS1_3gpuE2ELNS1_3repE0EEENS1_30default_config_static_selectorELNS0_4arch9wavefront6targetE0EEEvSK_,"axG",@progbits,_ZN7rocprim17ROCPRIM_400000_NS6detail17trampoline_kernelINS0_14default_configENS1_36segmented_radix_sort_config_selectorIslEEZNS1_25segmented_radix_sort_implIS3_Lb1EPKsPsPKlPlN2at6native12_GLOBAL__N_18offset_tEEE10hipError_tPvRmT1_PNSt15iterator_traitsISK_E10value_typeET2_T3_PNSL_ISQ_E10value_typeET4_jRbjT5_SW_jjP12ihipStream_tbEUlT_E_NS1_11comp_targetILNS1_3genE8ELNS1_11target_archE1030ELNS1_3gpuE2ELNS1_3repE0EEENS1_30default_config_static_selectorELNS0_4arch9wavefront6targetE0EEEvSK_,comdat
.Lfunc_end920:
	.size	_ZN7rocprim17ROCPRIM_400000_NS6detail17trampoline_kernelINS0_14default_configENS1_36segmented_radix_sort_config_selectorIslEEZNS1_25segmented_radix_sort_implIS3_Lb1EPKsPsPKlPlN2at6native12_GLOBAL__N_18offset_tEEE10hipError_tPvRmT1_PNSt15iterator_traitsISK_E10value_typeET2_T3_PNSL_ISQ_E10value_typeET4_jRbjT5_SW_jjP12ihipStream_tbEUlT_E_NS1_11comp_targetILNS1_3genE8ELNS1_11target_archE1030ELNS1_3gpuE2ELNS1_3repE0EEENS1_30default_config_static_selectorELNS0_4arch9wavefront6targetE0EEEvSK_, .Lfunc_end920-_ZN7rocprim17ROCPRIM_400000_NS6detail17trampoline_kernelINS0_14default_configENS1_36segmented_radix_sort_config_selectorIslEEZNS1_25segmented_radix_sort_implIS3_Lb1EPKsPsPKlPlN2at6native12_GLOBAL__N_18offset_tEEE10hipError_tPvRmT1_PNSt15iterator_traitsISK_E10value_typeET2_T3_PNSL_ISQ_E10value_typeET4_jRbjT5_SW_jjP12ihipStream_tbEUlT_E_NS1_11comp_targetILNS1_3genE8ELNS1_11target_archE1030ELNS1_3gpuE2ELNS1_3repE0EEENS1_30default_config_static_selectorELNS0_4arch9wavefront6targetE0EEEvSK_
                                        ; -- End function
	.section	.AMDGPU.csdata,"",@progbits
; Kernel info:
; codeLenInByte = 0
; NumSgprs: 0
; NumVgprs: 0
; ScratchSize: 0
; MemoryBound: 0
; FloatMode: 240
; IeeeMode: 1
; LDSByteSize: 0 bytes/workgroup (compile time only)
; SGPRBlocks: 0
; VGPRBlocks: 0
; NumSGPRsForWavesPerEU: 1
; NumVGPRsForWavesPerEU: 1
; Occupancy: 16
; WaveLimiterHint : 0
; COMPUTE_PGM_RSRC2:SCRATCH_EN: 0
; COMPUTE_PGM_RSRC2:USER_SGPR: 15
; COMPUTE_PGM_RSRC2:TRAP_HANDLER: 0
; COMPUTE_PGM_RSRC2:TGID_X_EN: 1
; COMPUTE_PGM_RSRC2:TGID_Y_EN: 0
; COMPUTE_PGM_RSRC2:TGID_Z_EN: 0
; COMPUTE_PGM_RSRC2:TIDIG_COMP_CNT: 0
	.section	.text._ZN7rocprim17ROCPRIM_400000_NS6detail17trampoline_kernelINS0_14default_configENS1_36segmented_radix_sort_config_selectorIslEEZNS1_25segmented_radix_sort_implIS3_Lb1EPKsPsPKlPlN2at6native12_GLOBAL__N_18offset_tEEE10hipError_tPvRmT1_PNSt15iterator_traitsISK_E10value_typeET2_T3_PNSL_ISQ_E10value_typeET4_jRbjT5_SW_jjP12ihipStream_tbEUlT_E0_NS1_11comp_targetILNS1_3genE0ELNS1_11target_archE4294967295ELNS1_3gpuE0ELNS1_3repE0EEENS1_60segmented_radix_sort_warp_sort_medium_config_static_selectorELNS0_4arch9wavefront6targetE0EEEvSK_,"axG",@progbits,_ZN7rocprim17ROCPRIM_400000_NS6detail17trampoline_kernelINS0_14default_configENS1_36segmented_radix_sort_config_selectorIslEEZNS1_25segmented_radix_sort_implIS3_Lb1EPKsPsPKlPlN2at6native12_GLOBAL__N_18offset_tEEE10hipError_tPvRmT1_PNSt15iterator_traitsISK_E10value_typeET2_T3_PNSL_ISQ_E10value_typeET4_jRbjT5_SW_jjP12ihipStream_tbEUlT_E0_NS1_11comp_targetILNS1_3genE0ELNS1_11target_archE4294967295ELNS1_3gpuE0ELNS1_3repE0EEENS1_60segmented_radix_sort_warp_sort_medium_config_static_selectorELNS0_4arch9wavefront6targetE0EEEvSK_,comdat
	.globl	_ZN7rocprim17ROCPRIM_400000_NS6detail17trampoline_kernelINS0_14default_configENS1_36segmented_radix_sort_config_selectorIslEEZNS1_25segmented_radix_sort_implIS3_Lb1EPKsPsPKlPlN2at6native12_GLOBAL__N_18offset_tEEE10hipError_tPvRmT1_PNSt15iterator_traitsISK_E10value_typeET2_T3_PNSL_ISQ_E10value_typeET4_jRbjT5_SW_jjP12ihipStream_tbEUlT_E0_NS1_11comp_targetILNS1_3genE0ELNS1_11target_archE4294967295ELNS1_3gpuE0ELNS1_3repE0EEENS1_60segmented_radix_sort_warp_sort_medium_config_static_selectorELNS0_4arch9wavefront6targetE0EEEvSK_ ; -- Begin function _ZN7rocprim17ROCPRIM_400000_NS6detail17trampoline_kernelINS0_14default_configENS1_36segmented_radix_sort_config_selectorIslEEZNS1_25segmented_radix_sort_implIS3_Lb1EPKsPsPKlPlN2at6native12_GLOBAL__N_18offset_tEEE10hipError_tPvRmT1_PNSt15iterator_traitsISK_E10value_typeET2_T3_PNSL_ISQ_E10value_typeET4_jRbjT5_SW_jjP12ihipStream_tbEUlT_E0_NS1_11comp_targetILNS1_3genE0ELNS1_11target_archE4294967295ELNS1_3gpuE0ELNS1_3repE0EEENS1_60segmented_radix_sort_warp_sort_medium_config_static_selectorELNS0_4arch9wavefront6targetE0EEEvSK_
	.p2align	8
	.type	_ZN7rocprim17ROCPRIM_400000_NS6detail17trampoline_kernelINS0_14default_configENS1_36segmented_radix_sort_config_selectorIslEEZNS1_25segmented_radix_sort_implIS3_Lb1EPKsPsPKlPlN2at6native12_GLOBAL__N_18offset_tEEE10hipError_tPvRmT1_PNSt15iterator_traitsISK_E10value_typeET2_T3_PNSL_ISQ_E10value_typeET4_jRbjT5_SW_jjP12ihipStream_tbEUlT_E0_NS1_11comp_targetILNS1_3genE0ELNS1_11target_archE4294967295ELNS1_3gpuE0ELNS1_3repE0EEENS1_60segmented_radix_sort_warp_sort_medium_config_static_selectorELNS0_4arch9wavefront6targetE0EEEvSK_,@function
_ZN7rocprim17ROCPRIM_400000_NS6detail17trampoline_kernelINS0_14default_configENS1_36segmented_radix_sort_config_selectorIslEEZNS1_25segmented_radix_sort_implIS3_Lb1EPKsPsPKlPlN2at6native12_GLOBAL__N_18offset_tEEE10hipError_tPvRmT1_PNSt15iterator_traitsISK_E10value_typeET2_T3_PNSL_ISQ_E10value_typeET4_jRbjT5_SW_jjP12ihipStream_tbEUlT_E0_NS1_11comp_targetILNS1_3genE0ELNS1_11target_archE4294967295ELNS1_3gpuE0ELNS1_3repE0EEENS1_60segmented_radix_sort_warp_sort_medium_config_static_selectorELNS0_4arch9wavefront6targetE0EEEvSK_: ; @_ZN7rocprim17ROCPRIM_400000_NS6detail17trampoline_kernelINS0_14default_configENS1_36segmented_radix_sort_config_selectorIslEEZNS1_25segmented_radix_sort_implIS3_Lb1EPKsPsPKlPlN2at6native12_GLOBAL__N_18offset_tEEE10hipError_tPvRmT1_PNSt15iterator_traitsISK_E10value_typeET2_T3_PNSL_ISQ_E10value_typeET4_jRbjT5_SW_jjP12ihipStream_tbEUlT_E0_NS1_11comp_targetILNS1_3genE0ELNS1_11target_archE4294967295ELNS1_3gpuE0ELNS1_3repE0EEENS1_60segmented_radix_sort_warp_sort_medium_config_static_selectorELNS0_4arch9wavefront6targetE0EEEvSK_
; %bb.0:
	.section	.rodata,"a",@progbits
	.p2align	6, 0x0
	.amdhsa_kernel _ZN7rocprim17ROCPRIM_400000_NS6detail17trampoline_kernelINS0_14default_configENS1_36segmented_radix_sort_config_selectorIslEEZNS1_25segmented_radix_sort_implIS3_Lb1EPKsPsPKlPlN2at6native12_GLOBAL__N_18offset_tEEE10hipError_tPvRmT1_PNSt15iterator_traitsISK_E10value_typeET2_T3_PNSL_ISQ_E10value_typeET4_jRbjT5_SW_jjP12ihipStream_tbEUlT_E0_NS1_11comp_targetILNS1_3genE0ELNS1_11target_archE4294967295ELNS1_3gpuE0ELNS1_3repE0EEENS1_60segmented_radix_sort_warp_sort_medium_config_static_selectorELNS0_4arch9wavefront6targetE0EEEvSK_
		.amdhsa_group_segment_fixed_size 0
		.amdhsa_private_segment_fixed_size 0
		.amdhsa_kernarg_size 88
		.amdhsa_user_sgpr_count 15
		.amdhsa_user_sgpr_dispatch_ptr 0
		.amdhsa_user_sgpr_queue_ptr 0
		.amdhsa_user_sgpr_kernarg_segment_ptr 1
		.amdhsa_user_sgpr_dispatch_id 0
		.amdhsa_user_sgpr_private_segment_size 0
		.amdhsa_wavefront_size32 1
		.amdhsa_uses_dynamic_stack 0
		.amdhsa_enable_private_segment 0
		.amdhsa_system_sgpr_workgroup_id_x 1
		.amdhsa_system_sgpr_workgroup_id_y 0
		.amdhsa_system_sgpr_workgroup_id_z 0
		.amdhsa_system_sgpr_workgroup_info 0
		.amdhsa_system_vgpr_workitem_id 0
		.amdhsa_next_free_vgpr 1
		.amdhsa_next_free_sgpr 1
		.amdhsa_reserve_vcc 0
		.amdhsa_float_round_mode_32 0
		.amdhsa_float_round_mode_16_64 0
		.amdhsa_float_denorm_mode_32 3
		.amdhsa_float_denorm_mode_16_64 3
		.amdhsa_dx10_clamp 1
		.amdhsa_ieee_mode 1
		.amdhsa_fp16_overflow 0
		.amdhsa_workgroup_processor_mode 1
		.amdhsa_memory_ordered 1
		.amdhsa_forward_progress 0
		.amdhsa_shared_vgpr_count 0
		.amdhsa_exception_fp_ieee_invalid_op 0
		.amdhsa_exception_fp_denorm_src 0
		.amdhsa_exception_fp_ieee_div_zero 0
		.amdhsa_exception_fp_ieee_overflow 0
		.amdhsa_exception_fp_ieee_underflow 0
		.amdhsa_exception_fp_ieee_inexact 0
		.amdhsa_exception_int_div_zero 0
	.end_amdhsa_kernel
	.section	.text._ZN7rocprim17ROCPRIM_400000_NS6detail17trampoline_kernelINS0_14default_configENS1_36segmented_radix_sort_config_selectorIslEEZNS1_25segmented_radix_sort_implIS3_Lb1EPKsPsPKlPlN2at6native12_GLOBAL__N_18offset_tEEE10hipError_tPvRmT1_PNSt15iterator_traitsISK_E10value_typeET2_T3_PNSL_ISQ_E10value_typeET4_jRbjT5_SW_jjP12ihipStream_tbEUlT_E0_NS1_11comp_targetILNS1_3genE0ELNS1_11target_archE4294967295ELNS1_3gpuE0ELNS1_3repE0EEENS1_60segmented_radix_sort_warp_sort_medium_config_static_selectorELNS0_4arch9wavefront6targetE0EEEvSK_,"axG",@progbits,_ZN7rocprim17ROCPRIM_400000_NS6detail17trampoline_kernelINS0_14default_configENS1_36segmented_radix_sort_config_selectorIslEEZNS1_25segmented_radix_sort_implIS3_Lb1EPKsPsPKlPlN2at6native12_GLOBAL__N_18offset_tEEE10hipError_tPvRmT1_PNSt15iterator_traitsISK_E10value_typeET2_T3_PNSL_ISQ_E10value_typeET4_jRbjT5_SW_jjP12ihipStream_tbEUlT_E0_NS1_11comp_targetILNS1_3genE0ELNS1_11target_archE4294967295ELNS1_3gpuE0ELNS1_3repE0EEENS1_60segmented_radix_sort_warp_sort_medium_config_static_selectorELNS0_4arch9wavefront6targetE0EEEvSK_,comdat
.Lfunc_end921:
	.size	_ZN7rocprim17ROCPRIM_400000_NS6detail17trampoline_kernelINS0_14default_configENS1_36segmented_radix_sort_config_selectorIslEEZNS1_25segmented_radix_sort_implIS3_Lb1EPKsPsPKlPlN2at6native12_GLOBAL__N_18offset_tEEE10hipError_tPvRmT1_PNSt15iterator_traitsISK_E10value_typeET2_T3_PNSL_ISQ_E10value_typeET4_jRbjT5_SW_jjP12ihipStream_tbEUlT_E0_NS1_11comp_targetILNS1_3genE0ELNS1_11target_archE4294967295ELNS1_3gpuE0ELNS1_3repE0EEENS1_60segmented_radix_sort_warp_sort_medium_config_static_selectorELNS0_4arch9wavefront6targetE0EEEvSK_, .Lfunc_end921-_ZN7rocprim17ROCPRIM_400000_NS6detail17trampoline_kernelINS0_14default_configENS1_36segmented_radix_sort_config_selectorIslEEZNS1_25segmented_radix_sort_implIS3_Lb1EPKsPsPKlPlN2at6native12_GLOBAL__N_18offset_tEEE10hipError_tPvRmT1_PNSt15iterator_traitsISK_E10value_typeET2_T3_PNSL_ISQ_E10value_typeET4_jRbjT5_SW_jjP12ihipStream_tbEUlT_E0_NS1_11comp_targetILNS1_3genE0ELNS1_11target_archE4294967295ELNS1_3gpuE0ELNS1_3repE0EEENS1_60segmented_radix_sort_warp_sort_medium_config_static_selectorELNS0_4arch9wavefront6targetE0EEEvSK_
                                        ; -- End function
	.section	.AMDGPU.csdata,"",@progbits
; Kernel info:
; codeLenInByte = 0
; NumSgprs: 0
; NumVgprs: 0
; ScratchSize: 0
; MemoryBound: 0
; FloatMode: 240
; IeeeMode: 1
; LDSByteSize: 0 bytes/workgroup (compile time only)
; SGPRBlocks: 0
; VGPRBlocks: 0
; NumSGPRsForWavesPerEU: 1
; NumVGPRsForWavesPerEU: 1
; Occupancy: 16
; WaveLimiterHint : 0
; COMPUTE_PGM_RSRC2:SCRATCH_EN: 0
; COMPUTE_PGM_RSRC2:USER_SGPR: 15
; COMPUTE_PGM_RSRC2:TRAP_HANDLER: 0
; COMPUTE_PGM_RSRC2:TGID_X_EN: 1
; COMPUTE_PGM_RSRC2:TGID_Y_EN: 0
; COMPUTE_PGM_RSRC2:TGID_Z_EN: 0
; COMPUTE_PGM_RSRC2:TIDIG_COMP_CNT: 0
	.section	.text._ZN7rocprim17ROCPRIM_400000_NS6detail17trampoline_kernelINS0_14default_configENS1_36segmented_radix_sort_config_selectorIslEEZNS1_25segmented_radix_sort_implIS3_Lb1EPKsPsPKlPlN2at6native12_GLOBAL__N_18offset_tEEE10hipError_tPvRmT1_PNSt15iterator_traitsISK_E10value_typeET2_T3_PNSL_ISQ_E10value_typeET4_jRbjT5_SW_jjP12ihipStream_tbEUlT_E0_NS1_11comp_targetILNS1_3genE5ELNS1_11target_archE942ELNS1_3gpuE9ELNS1_3repE0EEENS1_60segmented_radix_sort_warp_sort_medium_config_static_selectorELNS0_4arch9wavefront6targetE0EEEvSK_,"axG",@progbits,_ZN7rocprim17ROCPRIM_400000_NS6detail17trampoline_kernelINS0_14default_configENS1_36segmented_radix_sort_config_selectorIslEEZNS1_25segmented_radix_sort_implIS3_Lb1EPKsPsPKlPlN2at6native12_GLOBAL__N_18offset_tEEE10hipError_tPvRmT1_PNSt15iterator_traitsISK_E10value_typeET2_T3_PNSL_ISQ_E10value_typeET4_jRbjT5_SW_jjP12ihipStream_tbEUlT_E0_NS1_11comp_targetILNS1_3genE5ELNS1_11target_archE942ELNS1_3gpuE9ELNS1_3repE0EEENS1_60segmented_radix_sort_warp_sort_medium_config_static_selectorELNS0_4arch9wavefront6targetE0EEEvSK_,comdat
	.globl	_ZN7rocprim17ROCPRIM_400000_NS6detail17trampoline_kernelINS0_14default_configENS1_36segmented_radix_sort_config_selectorIslEEZNS1_25segmented_radix_sort_implIS3_Lb1EPKsPsPKlPlN2at6native12_GLOBAL__N_18offset_tEEE10hipError_tPvRmT1_PNSt15iterator_traitsISK_E10value_typeET2_T3_PNSL_ISQ_E10value_typeET4_jRbjT5_SW_jjP12ihipStream_tbEUlT_E0_NS1_11comp_targetILNS1_3genE5ELNS1_11target_archE942ELNS1_3gpuE9ELNS1_3repE0EEENS1_60segmented_radix_sort_warp_sort_medium_config_static_selectorELNS0_4arch9wavefront6targetE0EEEvSK_ ; -- Begin function _ZN7rocprim17ROCPRIM_400000_NS6detail17trampoline_kernelINS0_14default_configENS1_36segmented_radix_sort_config_selectorIslEEZNS1_25segmented_radix_sort_implIS3_Lb1EPKsPsPKlPlN2at6native12_GLOBAL__N_18offset_tEEE10hipError_tPvRmT1_PNSt15iterator_traitsISK_E10value_typeET2_T3_PNSL_ISQ_E10value_typeET4_jRbjT5_SW_jjP12ihipStream_tbEUlT_E0_NS1_11comp_targetILNS1_3genE5ELNS1_11target_archE942ELNS1_3gpuE9ELNS1_3repE0EEENS1_60segmented_radix_sort_warp_sort_medium_config_static_selectorELNS0_4arch9wavefront6targetE0EEEvSK_
	.p2align	8
	.type	_ZN7rocprim17ROCPRIM_400000_NS6detail17trampoline_kernelINS0_14default_configENS1_36segmented_radix_sort_config_selectorIslEEZNS1_25segmented_radix_sort_implIS3_Lb1EPKsPsPKlPlN2at6native12_GLOBAL__N_18offset_tEEE10hipError_tPvRmT1_PNSt15iterator_traitsISK_E10value_typeET2_T3_PNSL_ISQ_E10value_typeET4_jRbjT5_SW_jjP12ihipStream_tbEUlT_E0_NS1_11comp_targetILNS1_3genE5ELNS1_11target_archE942ELNS1_3gpuE9ELNS1_3repE0EEENS1_60segmented_radix_sort_warp_sort_medium_config_static_selectorELNS0_4arch9wavefront6targetE0EEEvSK_,@function
_ZN7rocprim17ROCPRIM_400000_NS6detail17trampoline_kernelINS0_14default_configENS1_36segmented_radix_sort_config_selectorIslEEZNS1_25segmented_radix_sort_implIS3_Lb1EPKsPsPKlPlN2at6native12_GLOBAL__N_18offset_tEEE10hipError_tPvRmT1_PNSt15iterator_traitsISK_E10value_typeET2_T3_PNSL_ISQ_E10value_typeET4_jRbjT5_SW_jjP12ihipStream_tbEUlT_E0_NS1_11comp_targetILNS1_3genE5ELNS1_11target_archE942ELNS1_3gpuE9ELNS1_3repE0EEENS1_60segmented_radix_sort_warp_sort_medium_config_static_selectorELNS0_4arch9wavefront6targetE0EEEvSK_: ; @_ZN7rocprim17ROCPRIM_400000_NS6detail17trampoline_kernelINS0_14default_configENS1_36segmented_radix_sort_config_selectorIslEEZNS1_25segmented_radix_sort_implIS3_Lb1EPKsPsPKlPlN2at6native12_GLOBAL__N_18offset_tEEE10hipError_tPvRmT1_PNSt15iterator_traitsISK_E10value_typeET2_T3_PNSL_ISQ_E10value_typeET4_jRbjT5_SW_jjP12ihipStream_tbEUlT_E0_NS1_11comp_targetILNS1_3genE5ELNS1_11target_archE942ELNS1_3gpuE9ELNS1_3repE0EEENS1_60segmented_radix_sort_warp_sort_medium_config_static_selectorELNS0_4arch9wavefront6targetE0EEEvSK_
; %bb.0:
	.section	.rodata,"a",@progbits
	.p2align	6, 0x0
	.amdhsa_kernel _ZN7rocprim17ROCPRIM_400000_NS6detail17trampoline_kernelINS0_14default_configENS1_36segmented_radix_sort_config_selectorIslEEZNS1_25segmented_radix_sort_implIS3_Lb1EPKsPsPKlPlN2at6native12_GLOBAL__N_18offset_tEEE10hipError_tPvRmT1_PNSt15iterator_traitsISK_E10value_typeET2_T3_PNSL_ISQ_E10value_typeET4_jRbjT5_SW_jjP12ihipStream_tbEUlT_E0_NS1_11comp_targetILNS1_3genE5ELNS1_11target_archE942ELNS1_3gpuE9ELNS1_3repE0EEENS1_60segmented_radix_sort_warp_sort_medium_config_static_selectorELNS0_4arch9wavefront6targetE0EEEvSK_
		.amdhsa_group_segment_fixed_size 0
		.amdhsa_private_segment_fixed_size 0
		.amdhsa_kernarg_size 88
		.amdhsa_user_sgpr_count 15
		.amdhsa_user_sgpr_dispatch_ptr 0
		.amdhsa_user_sgpr_queue_ptr 0
		.amdhsa_user_sgpr_kernarg_segment_ptr 1
		.amdhsa_user_sgpr_dispatch_id 0
		.amdhsa_user_sgpr_private_segment_size 0
		.amdhsa_wavefront_size32 1
		.amdhsa_uses_dynamic_stack 0
		.amdhsa_enable_private_segment 0
		.amdhsa_system_sgpr_workgroup_id_x 1
		.amdhsa_system_sgpr_workgroup_id_y 0
		.amdhsa_system_sgpr_workgroup_id_z 0
		.amdhsa_system_sgpr_workgroup_info 0
		.amdhsa_system_vgpr_workitem_id 0
		.amdhsa_next_free_vgpr 1
		.amdhsa_next_free_sgpr 1
		.amdhsa_reserve_vcc 0
		.amdhsa_float_round_mode_32 0
		.amdhsa_float_round_mode_16_64 0
		.amdhsa_float_denorm_mode_32 3
		.amdhsa_float_denorm_mode_16_64 3
		.amdhsa_dx10_clamp 1
		.amdhsa_ieee_mode 1
		.amdhsa_fp16_overflow 0
		.amdhsa_workgroup_processor_mode 1
		.amdhsa_memory_ordered 1
		.amdhsa_forward_progress 0
		.amdhsa_shared_vgpr_count 0
		.amdhsa_exception_fp_ieee_invalid_op 0
		.amdhsa_exception_fp_denorm_src 0
		.amdhsa_exception_fp_ieee_div_zero 0
		.amdhsa_exception_fp_ieee_overflow 0
		.amdhsa_exception_fp_ieee_underflow 0
		.amdhsa_exception_fp_ieee_inexact 0
		.amdhsa_exception_int_div_zero 0
	.end_amdhsa_kernel
	.section	.text._ZN7rocprim17ROCPRIM_400000_NS6detail17trampoline_kernelINS0_14default_configENS1_36segmented_radix_sort_config_selectorIslEEZNS1_25segmented_radix_sort_implIS3_Lb1EPKsPsPKlPlN2at6native12_GLOBAL__N_18offset_tEEE10hipError_tPvRmT1_PNSt15iterator_traitsISK_E10value_typeET2_T3_PNSL_ISQ_E10value_typeET4_jRbjT5_SW_jjP12ihipStream_tbEUlT_E0_NS1_11comp_targetILNS1_3genE5ELNS1_11target_archE942ELNS1_3gpuE9ELNS1_3repE0EEENS1_60segmented_radix_sort_warp_sort_medium_config_static_selectorELNS0_4arch9wavefront6targetE0EEEvSK_,"axG",@progbits,_ZN7rocprim17ROCPRIM_400000_NS6detail17trampoline_kernelINS0_14default_configENS1_36segmented_radix_sort_config_selectorIslEEZNS1_25segmented_radix_sort_implIS3_Lb1EPKsPsPKlPlN2at6native12_GLOBAL__N_18offset_tEEE10hipError_tPvRmT1_PNSt15iterator_traitsISK_E10value_typeET2_T3_PNSL_ISQ_E10value_typeET4_jRbjT5_SW_jjP12ihipStream_tbEUlT_E0_NS1_11comp_targetILNS1_3genE5ELNS1_11target_archE942ELNS1_3gpuE9ELNS1_3repE0EEENS1_60segmented_radix_sort_warp_sort_medium_config_static_selectorELNS0_4arch9wavefront6targetE0EEEvSK_,comdat
.Lfunc_end922:
	.size	_ZN7rocprim17ROCPRIM_400000_NS6detail17trampoline_kernelINS0_14default_configENS1_36segmented_radix_sort_config_selectorIslEEZNS1_25segmented_radix_sort_implIS3_Lb1EPKsPsPKlPlN2at6native12_GLOBAL__N_18offset_tEEE10hipError_tPvRmT1_PNSt15iterator_traitsISK_E10value_typeET2_T3_PNSL_ISQ_E10value_typeET4_jRbjT5_SW_jjP12ihipStream_tbEUlT_E0_NS1_11comp_targetILNS1_3genE5ELNS1_11target_archE942ELNS1_3gpuE9ELNS1_3repE0EEENS1_60segmented_radix_sort_warp_sort_medium_config_static_selectorELNS0_4arch9wavefront6targetE0EEEvSK_, .Lfunc_end922-_ZN7rocprim17ROCPRIM_400000_NS6detail17trampoline_kernelINS0_14default_configENS1_36segmented_radix_sort_config_selectorIslEEZNS1_25segmented_radix_sort_implIS3_Lb1EPKsPsPKlPlN2at6native12_GLOBAL__N_18offset_tEEE10hipError_tPvRmT1_PNSt15iterator_traitsISK_E10value_typeET2_T3_PNSL_ISQ_E10value_typeET4_jRbjT5_SW_jjP12ihipStream_tbEUlT_E0_NS1_11comp_targetILNS1_3genE5ELNS1_11target_archE942ELNS1_3gpuE9ELNS1_3repE0EEENS1_60segmented_radix_sort_warp_sort_medium_config_static_selectorELNS0_4arch9wavefront6targetE0EEEvSK_
                                        ; -- End function
	.section	.AMDGPU.csdata,"",@progbits
; Kernel info:
; codeLenInByte = 0
; NumSgprs: 0
; NumVgprs: 0
; ScratchSize: 0
; MemoryBound: 0
; FloatMode: 240
; IeeeMode: 1
; LDSByteSize: 0 bytes/workgroup (compile time only)
; SGPRBlocks: 0
; VGPRBlocks: 0
; NumSGPRsForWavesPerEU: 1
; NumVGPRsForWavesPerEU: 1
; Occupancy: 16
; WaveLimiterHint : 0
; COMPUTE_PGM_RSRC2:SCRATCH_EN: 0
; COMPUTE_PGM_RSRC2:USER_SGPR: 15
; COMPUTE_PGM_RSRC2:TRAP_HANDLER: 0
; COMPUTE_PGM_RSRC2:TGID_X_EN: 1
; COMPUTE_PGM_RSRC2:TGID_Y_EN: 0
; COMPUTE_PGM_RSRC2:TGID_Z_EN: 0
; COMPUTE_PGM_RSRC2:TIDIG_COMP_CNT: 0
	.section	.text._ZN7rocprim17ROCPRIM_400000_NS6detail17trampoline_kernelINS0_14default_configENS1_36segmented_radix_sort_config_selectorIslEEZNS1_25segmented_radix_sort_implIS3_Lb1EPKsPsPKlPlN2at6native12_GLOBAL__N_18offset_tEEE10hipError_tPvRmT1_PNSt15iterator_traitsISK_E10value_typeET2_T3_PNSL_ISQ_E10value_typeET4_jRbjT5_SW_jjP12ihipStream_tbEUlT_E0_NS1_11comp_targetILNS1_3genE4ELNS1_11target_archE910ELNS1_3gpuE8ELNS1_3repE0EEENS1_60segmented_radix_sort_warp_sort_medium_config_static_selectorELNS0_4arch9wavefront6targetE0EEEvSK_,"axG",@progbits,_ZN7rocprim17ROCPRIM_400000_NS6detail17trampoline_kernelINS0_14default_configENS1_36segmented_radix_sort_config_selectorIslEEZNS1_25segmented_radix_sort_implIS3_Lb1EPKsPsPKlPlN2at6native12_GLOBAL__N_18offset_tEEE10hipError_tPvRmT1_PNSt15iterator_traitsISK_E10value_typeET2_T3_PNSL_ISQ_E10value_typeET4_jRbjT5_SW_jjP12ihipStream_tbEUlT_E0_NS1_11comp_targetILNS1_3genE4ELNS1_11target_archE910ELNS1_3gpuE8ELNS1_3repE0EEENS1_60segmented_radix_sort_warp_sort_medium_config_static_selectorELNS0_4arch9wavefront6targetE0EEEvSK_,comdat
	.globl	_ZN7rocprim17ROCPRIM_400000_NS6detail17trampoline_kernelINS0_14default_configENS1_36segmented_radix_sort_config_selectorIslEEZNS1_25segmented_radix_sort_implIS3_Lb1EPKsPsPKlPlN2at6native12_GLOBAL__N_18offset_tEEE10hipError_tPvRmT1_PNSt15iterator_traitsISK_E10value_typeET2_T3_PNSL_ISQ_E10value_typeET4_jRbjT5_SW_jjP12ihipStream_tbEUlT_E0_NS1_11comp_targetILNS1_3genE4ELNS1_11target_archE910ELNS1_3gpuE8ELNS1_3repE0EEENS1_60segmented_radix_sort_warp_sort_medium_config_static_selectorELNS0_4arch9wavefront6targetE0EEEvSK_ ; -- Begin function _ZN7rocprim17ROCPRIM_400000_NS6detail17trampoline_kernelINS0_14default_configENS1_36segmented_radix_sort_config_selectorIslEEZNS1_25segmented_radix_sort_implIS3_Lb1EPKsPsPKlPlN2at6native12_GLOBAL__N_18offset_tEEE10hipError_tPvRmT1_PNSt15iterator_traitsISK_E10value_typeET2_T3_PNSL_ISQ_E10value_typeET4_jRbjT5_SW_jjP12ihipStream_tbEUlT_E0_NS1_11comp_targetILNS1_3genE4ELNS1_11target_archE910ELNS1_3gpuE8ELNS1_3repE0EEENS1_60segmented_radix_sort_warp_sort_medium_config_static_selectorELNS0_4arch9wavefront6targetE0EEEvSK_
	.p2align	8
	.type	_ZN7rocprim17ROCPRIM_400000_NS6detail17trampoline_kernelINS0_14default_configENS1_36segmented_radix_sort_config_selectorIslEEZNS1_25segmented_radix_sort_implIS3_Lb1EPKsPsPKlPlN2at6native12_GLOBAL__N_18offset_tEEE10hipError_tPvRmT1_PNSt15iterator_traitsISK_E10value_typeET2_T3_PNSL_ISQ_E10value_typeET4_jRbjT5_SW_jjP12ihipStream_tbEUlT_E0_NS1_11comp_targetILNS1_3genE4ELNS1_11target_archE910ELNS1_3gpuE8ELNS1_3repE0EEENS1_60segmented_radix_sort_warp_sort_medium_config_static_selectorELNS0_4arch9wavefront6targetE0EEEvSK_,@function
_ZN7rocprim17ROCPRIM_400000_NS6detail17trampoline_kernelINS0_14default_configENS1_36segmented_radix_sort_config_selectorIslEEZNS1_25segmented_radix_sort_implIS3_Lb1EPKsPsPKlPlN2at6native12_GLOBAL__N_18offset_tEEE10hipError_tPvRmT1_PNSt15iterator_traitsISK_E10value_typeET2_T3_PNSL_ISQ_E10value_typeET4_jRbjT5_SW_jjP12ihipStream_tbEUlT_E0_NS1_11comp_targetILNS1_3genE4ELNS1_11target_archE910ELNS1_3gpuE8ELNS1_3repE0EEENS1_60segmented_radix_sort_warp_sort_medium_config_static_selectorELNS0_4arch9wavefront6targetE0EEEvSK_: ; @_ZN7rocprim17ROCPRIM_400000_NS6detail17trampoline_kernelINS0_14default_configENS1_36segmented_radix_sort_config_selectorIslEEZNS1_25segmented_radix_sort_implIS3_Lb1EPKsPsPKlPlN2at6native12_GLOBAL__N_18offset_tEEE10hipError_tPvRmT1_PNSt15iterator_traitsISK_E10value_typeET2_T3_PNSL_ISQ_E10value_typeET4_jRbjT5_SW_jjP12ihipStream_tbEUlT_E0_NS1_11comp_targetILNS1_3genE4ELNS1_11target_archE910ELNS1_3gpuE8ELNS1_3repE0EEENS1_60segmented_radix_sort_warp_sort_medium_config_static_selectorELNS0_4arch9wavefront6targetE0EEEvSK_
; %bb.0:
	.section	.rodata,"a",@progbits
	.p2align	6, 0x0
	.amdhsa_kernel _ZN7rocprim17ROCPRIM_400000_NS6detail17trampoline_kernelINS0_14default_configENS1_36segmented_radix_sort_config_selectorIslEEZNS1_25segmented_radix_sort_implIS3_Lb1EPKsPsPKlPlN2at6native12_GLOBAL__N_18offset_tEEE10hipError_tPvRmT1_PNSt15iterator_traitsISK_E10value_typeET2_T3_PNSL_ISQ_E10value_typeET4_jRbjT5_SW_jjP12ihipStream_tbEUlT_E0_NS1_11comp_targetILNS1_3genE4ELNS1_11target_archE910ELNS1_3gpuE8ELNS1_3repE0EEENS1_60segmented_radix_sort_warp_sort_medium_config_static_selectorELNS0_4arch9wavefront6targetE0EEEvSK_
		.amdhsa_group_segment_fixed_size 0
		.amdhsa_private_segment_fixed_size 0
		.amdhsa_kernarg_size 88
		.amdhsa_user_sgpr_count 15
		.amdhsa_user_sgpr_dispatch_ptr 0
		.amdhsa_user_sgpr_queue_ptr 0
		.amdhsa_user_sgpr_kernarg_segment_ptr 1
		.amdhsa_user_sgpr_dispatch_id 0
		.amdhsa_user_sgpr_private_segment_size 0
		.amdhsa_wavefront_size32 1
		.amdhsa_uses_dynamic_stack 0
		.amdhsa_enable_private_segment 0
		.amdhsa_system_sgpr_workgroup_id_x 1
		.amdhsa_system_sgpr_workgroup_id_y 0
		.amdhsa_system_sgpr_workgroup_id_z 0
		.amdhsa_system_sgpr_workgroup_info 0
		.amdhsa_system_vgpr_workitem_id 0
		.amdhsa_next_free_vgpr 1
		.amdhsa_next_free_sgpr 1
		.amdhsa_reserve_vcc 0
		.amdhsa_float_round_mode_32 0
		.amdhsa_float_round_mode_16_64 0
		.amdhsa_float_denorm_mode_32 3
		.amdhsa_float_denorm_mode_16_64 3
		.amdhsa_dx10_clamp 1
		.amdhsa_ieee_mode 1
		.amdhsa_fp16_overflow 0
		.amdhsa_workgroup_processor_mode 1
		.amdhsa_memory_ordered 1
		.amdhsa_forward_progress 0
		.amdhsa_shared_vgpr_count 0
		.amdhsa_exception_fp_ieee_invalid_op 0
		.amdhsa_exception_fp_denorm_src 0
		.amdhsa_exception_fp_ieee_div_zero 0
		.amdhsa_exception_fp_ieee_overflow 0
		.amdhsa_exception_fp_ieee_underflow 0
		.amdhsa_exception_fp_ieee_inexact 0
		.amdhsa_exception_int_div_zero 0
	.end_amdhsa_kernel
	.section	.text._ZN7rocprim17ROCPRIM_400000_NS6detail17trampoline_kernelINS0_14default_configENS1_36segmented_radix_sort_config_selectorIslEEZNS1_25segmented_radix_sort_implIS3_Lb1EPKsPsPKlPlN2at6native12_GLOBAL__N_18offset_tEEE10hipError_tPvRmT1_PNSt15iterator_traitsISK_E10value_typeET2_T3_PNSL_ISQ_E10value_typeET4_jRbjT5_SW_jjP12ihipStream_tbEUlT_E0_NS1_11comp_targetILNS1_3genE4ELNS1_11target_archE910ELNS1_3gpuE8ELNS1_3repE0EEENS1_60segmented_radix_sort_warp_sort_medium_config_static_selectorELNS0_4arch9wavefront6targetE0EEEvSK_,"axG",@progbits,_ZN7rocprim17ROCPRIM_400000_NS6detail17trampoline_kernelINS0_14default_configENS1_36segmented_radix_sort_config_selectorIslEEZNS1_25segmented_radix_sort_implIS3_Lb1EPKsPsPKlPlN2at6native12_GLOBAL__N_18offset_tEEE10hipError_tPvRmT1_PNSt15iterator_traitsISK_E10value_typeET2_T3_PNSL_ISQ_E10value_typeET4_jRbjT5_SW_jjP12ihipStream_tbEUlT_E0_NS1_11comp_targetILNS1_3genE4ELNS1_11target_archE910ELNS1_3gpuE8ELNS1_3repE0EEENS1_60segmented_radix_sort_warp_sort_medium_config_static_selectorELNS0_4arch9wavefront6targetE0EEEvSK_,comdat
.Lfunc_end923:
	.size	_ZN7rocprim17ROCPRIM_400000_NS6detail17trampoline_kernelINS0_14default_configENS1_36segmented_radix_sort_config_selectorIslEEZNS1_25segmented_radix_sort_implIS3_Lb1EPKsPsPKlPlN2at6native12_GLOBAL__N_18offset_tEEE10hipError_tPvRmT1_PNSt15iterator_traitsISK_E10value_typeET2_T3_PNSL_ISQ_E10value_typeET4_jRbjT5_SW_jjP12ihipStream_tbEUlT_E0_NS1_11comp_targetILNS1_3genE4ELNS1_11target_archE910ELNS1_3gpuE8ELNS1_3repE0EEENS1_60segmented_radix_sort_warp_sort_medium_config_static_selectorELNS0_4arch9wavefront6targetE0EEEvSK_, .Lfunc_end923-_ZN7rocprim17ROCPRIM_400000_NS6detail17trampoline_kernelINS0_14default_configENS1_36segmented_radix_sort_config_selectorIslEEZNS1_25segmented_radix_sort_implIS3_Lb1EPKsPsPKlPlN2at6native12_GLOBAL__N_18offset_tEEE10hipError_tPvRmT1_PNSt15iterator_traitsISK_E10value_typeET2_T3_PNSL_ISQ_E10value_typeET4_jRbjT5_SW_jjP12ihipStream_tbEUlT_E0_NS1_11comp_targetILNS1_3genE4ELNS1_11target_archE910ELNS1_3gpuE8ELNS1_3repE0EEENS1_60segmented_radix_sort_warp_sort_medium_config_static_selectorELNS0_4arch9wavefront6targetE0EEEvSK_
                                        ; -- End function
	.section	.AMDGPU.csdata,"",@progbits
; Kernel info:
; codeLenInByte = 0
; NumSgprs: 0
; NumVgprs: 0
; ScratchSize: 0
; MemoryBound: 0
; FloatMode: 240
; IeeeMode: 1
; LDSByteSize: 0 bytes/workgroup (compile time only)
; SGPRBlocks: 0
; VGPRBlocks: 0
; NumSGPRsForWavesPerEU: 1
; NumVGPRsForWavesPerEU: 1
; Occupancy: 16
; WaveLimiterHint : 0
; COMPUTE_PGM_RSRC2:SCRATCH_EN: 0
; COMPUTE_PGM_RSRC2:USER_SGPR: 15
; COMPUTE_PGM_RSRC2:TRAP_HANDLER: 0
; COMPUTE_PGM_RSRC2:TGID_X_EN: 1
; COMPUTE_PGM_RSRC2:TGID_Y_EN: 0
; COMPUTE_PGM_RSRC2:TGID_Z_EN: 0
; COMPUTE_PGM_RSRC2:TIDIG_COMP_CNT: 0
	.section	.text._ZN7rocprim17ROCPRIM_400000_NS6detail17trampoline_kernelINS0_14default_configENS1_36segmented_radix_sort_config_selectorIslEEZNS1_25segmented_radix_sort_implIS3_Lb1EPKsPsPKlPlN2at6native12_GLOBAL__N_18offset_tEEE10hipError_tPvRmT1_PNSt15iterator_traitsISK_E10value_typeET2_T3_PNSL_ISQ_E10value_typeET4_jRbjT5_SW_jjP12ihipStream_tbEUlT_E0_NS1_11comp_targetILNS1_3genE3ELNS1_11target_archE908ELNS1_3gpuE7ELNS1_3repE0EEENS1_60segmented_radix_sort_warp_sort_medium_config_static_selectorELNS0_4arch9wavefront6targetE0EEEvSK_,"axG",@progbits,_ZN7rocprim17ROCPRIM_400000_NS6detail17trampoline_kernelINS0_14default_configENS1_36segmented_radix_sort_config_selectorIslEEZNS1_25segmented_radix_sort_implIS3_Lb1EPKsPsPKlPlN2at6native12_GLOBAL__N_18offset_tEEE10hipError_tPvRmT1_PNSt15iterator_traitsISK_E10value_typeET2_T3_PNSL_ISQ_E10value_typeET4_jRbjT5_SW_jjP12ihipStream_tbEUlT_E0_NS1_11comp_targetILNS1_3genE3ELNS1_11target_archE908ELNS1_3gpuE7ELNS1_3repE0EEENS1_60segmented_radix_sort_warp_sort_medium_config_static_selectorELNS0_4arch9wavefront6targetE0EEEvSK_,comdat
	.globl	_ZN7rocprim17ROCPRIM_400000_NS6detail17trampoline_kernelINS0_14default_configENS1_36segmented_radix_sort_config_selectorIslEEZNS1_25segmented_radix_sort_implIS3_Lb1EPKsPsPKlPlN2at6native12_GLOBAL__N_18offset_tEEE10hipError_tPvRmT1_PNSt15iterator_traitsISK_E10value_typeET2_T3_PNSL_ISQ_E10value_typeET4_jRbjT5_SW_jjP12ihipStream_tbEUlT_E0_NS1_11comp_targetILNS1_3genE3ELNS1_11target_archE908ELNS1_3gpuE7ELNS1_3repE0EEENS1_60segmented_radix_sort_warp_sort_medium_config_static_selectorELNS0_4arch9wavefront6targetE0EEEvSK_ ; -- Begin function _ZN7rocprim17ROCPRIM_400000_NS6detail17trampoline_kernelINS0_14default_configENS1_36segmented_radix_sort_config_selectorIslEEZNS1_25segmented_radix_sort_implIS3_Lb1EPKsPsPKlPlN2at6native12_GLOBAL__N_18offset_tEEE10hipError_tPvRmT1_PNSt15iterator_traitsISK_E10value_typeET2_T3_PNSL_ISQ_E10value_typeET4_jRbjT5_SW_jjP12ihipStream_tbEUlT_E0_NS1_11comp_targetILNS1_3genE3ELNS1_11target_archE908ELNS1_3gpuE7ELNS1_3repE0EEENS1_60segmented_radix_sort_warp_sort_medium_config_static_selectorELNS0_4arch9wavefront6targetE0EEEvSK_
	.p2align	8
	.type	_ZN7rocprim17ROCPRIM_400000_NS6detail17trampoline_kernelINS0_14default_configENS1_36segmented_radix_sort_config_selectorIslEEZNS1_25segmented_radix_sort_implIS3_Lb1EPKsPsPKlPlN2at6native12_GLOBAL__N_18offset_tEEE10hipError_tPvRmT1_PNSt15iterator_traitsISK_E10value_typeET2_T3_PNSL_ISQ_E10value_typeET4_jRbjT5_SW_jjP12ihipStream_tbEUlT_E0_NS1_11comp_targetILNS1_3genE3ELNS1_11target_archE908ELNS1_3gpuE7ELNS1_3repE0EEENS1_60segmented_radix_sort_warp_sort_medium_config_static_selectorELNS0_4arch9wavefront6targetE0EEEvSK_,@function
_ZN7rocprim17ROCPRIM_400000_NS6detail17trampoline_kernelINS0_14default_configENS1_36segmented_radix_sort_config_selectorIslEEZNS1_25segmented_radix_sort_implIS3_Lb1EPKsPsPKlPlN2at6native12_GLOBAL__N_18offset_tEEE10hipError_tPvRmT1_PNSt15iterator_traitsISK_E10value_typeET2_T3_PNSL_ISQ_E10value_typeET4_jRbjT5_SW_jjP12ihipStream_tbEUlT_E0_NS1_11comp_targetILNS1_3genE3ELNS1_11target_archE908ELNS1_3gpuE7ELNS1_3repE0EEENS1_60segmented_radix_sort_warp_sort_medium_config_static_selectorELNS0_4arch9wavefront6targetE0EEEvSK_: ; @_ZN7rocprim17ROCPRIM_400000_NS6detail17trampoline_kernelINS0_14default_configENS1_36segmented_radix_sort_config_selectorIslEEZNS1_25segmented_radix_sort_implIS3_Lb1EPKsPsPKlPlN2at6native12_GLOBAL__N_18offset_tEEE10hipError_tPvRmT1_PNSt15iterator_traitsISK_E10value_typeET2_T3_PNSL_ISQ_E10value_typeET4_jRbjT5_SW_jjP12ihipStream_tbEUlT_E0_NS1_11comp_targetILNS1_3genE3ELNS1_11target_archE908ELNS1_3gpuE7ELNS1_3repE0EEENS1_60segmented_radix_sort_warp_sort_medium_config_static_selectorELNS0_4arch9wavefront6targetE0EEEvSK_
; %bb.0:
	.section	.rodata,"a",@progbits
	.p2align	6, 0x0
	.amdhsa_kernel _ZN7rocprim17ROCPRIM_400000_NS6detail17trampoline_kernelINS0_14default_configENS1_36segmented_radix_sort_config_selectorIslEEZNS1_25segmented_radix_sort_implIS3_Lb1EPKsPsPKlPlN2at6native12_GLOBAL__N_18offset_tEEE10hipError_tPvRmT1_PNSt15iterator_traitsISK_E10value_typeET2_T3_PNSL_ISQ_E10value_typeET4_jRbjT5_SW_jjP12ihipStream_tbEUlT_E0_NS1_11comp_targetILNS1_3genE3ELNS1_11target_archE908ELNS1_3gpuE7ELNS1_3repE0EEENS1_60segmented_radix_sort_warp_sort_medium_config_static_selectorELNS0_4arch9wavefront6targetE0EEEvSK_
		.amdhsa_group_segment_fixed_size 0
		.amdhsa_private_segment_fixed_size 0
		.amdhsa_kernarg_size 88
		.amdhsa_user_sgpr_count 15
		.amdhsa_user_sgpr_dispatch_ptr 0
		.amdhsa_user_sgpr_queue_ptr 0
		.amdhsa_user_sgpr_kernarg_segment_ptr 1
		.amdhsa_user_sgpr_dispatch_id 0
		.amdhsa_user_sgpr_private_segment_size 0
		.amdhsa_wavefront_size32 1
		.amdhsa_uses_dynamic_stack 0
		.amdhsa_enable_private_segment 0
		.amdhsa_system_sgpr_workgroup_id_x 1
		.amdhsa_system_sgpr_workgroup_id_y 0
		.amdhsa_system_sgpr_workgroup_id_z 0
		.amdhsa_system_sgpr_workgroup_info 0
		.amdhsa_system_vgpr_workitem_id 0
		.amdhsa_next_free_vgpr 1
		.amdhsa_next_free_sgpr 1
		.amdhsa_reserve_vcc 0
		.amdhsa_float_round_mode_32 0
		.amdhsa_float_round_mode_16_64 0
		.amdhsa_float_denorm_mode_32 3
		.amdhsa_float_denorm_mode_16_64 3
		.amdhsa_dx10_clamp 1
		.amdhsa_ieee_mode 1
		.amdhsa_fp16_overflow 0
		.amdhsa_workgroup_processor_mode 1
		.amdhsa_memory_ordered 1
		.amdhsa_forward_progress 0
		.amdhsa_shared_vgpr_count 0
		.amdhsa_exception_fp_ieee_invalid_op 0
		.amdhsa_exception_fp_denorm_src 0
		.amdhsa_exception_fp_ieee_div_zero 0
		.amdhsa_exception_fp_ieee_overflow 0
		.amdhsa_exception_fp_ieee_underflow 0
		.amdhsa_exception_fp_ieee_inexact 0
		.amdhsa_exception_int_div_zero 0
	.end_amdhsa_kernel
	.section	.text._ZN7rocprim17ROCPRIM_400000_NS6detail17trampoline_kernelINS0_14default_configENS1_36segmented_radix_sort_config_selectorIslEEZNS1_25segmented_radix_sort_implIS3_Lb1EPKsPsPKlPlN2at6native12_GLOBAL__N_18offset_tEEE10hipError_tPvRmT1_PNSt15iterator_traitsISK_E10value_typeET2_T3_PNSL_ISQ_E10value_typeET4_jRbjT5_SW_jjP12ihipStream_tbEUlT_E0_NS1_11comp_targetILNS1_3genE3ELNS1_11target_archE908ELNS1_3gpuE7ELNS1_3repE0EEENS1_60segmented_radix_sort_warp_sort_medium_config_static_selectorELNS0_4arch9wavefront6targetE0EEEvSK_,"axG",@progbits,_ZN7rocprim17ROCPRIM_400000_NS6detail17trampoline_kernelINS0_14default_configENS1_36segmented_radix_sort_config_selectorIslEEZNS1_25segmented_radix_sort_implIS3_Lb1EPKsPsPKlPlN2at6native12_GLOBAL__N_18offset_tEEE10hipError_tPvRmT1_PNSt15iterator_traitsISK_E10value_typeET2_T3_PNSL_ISQ_E10value_typeET4_jRbjT5_SW_jjP12ihipStream_tbEUlT_E0_NS1_11comp_targetILNS1_3genE3ELNS1_11target_archE908ELNS1_3gpuE7ELNS1_3repE0EEENS1_60segmented_radix_sort_warp_sort_medium_config_static_selectorELNS0_4arch9wavefront6targetE0EEEvSK_,comdat
.Lfunc_end924:
	.size	_ZN7rocprim17ROCPRIM_400000_NS6detail17trampoline_kernelINS0_14default_configENS1_36segmented_radix_sort_config_selectorIslEEZNS1_25segmented_radix_sort_implIS3_Lb1EPKsPsPKlPlN2at6native12_GLOBAL__N_18offset_tEEE10hipError_tPvRmT1_PNSt15iterator_traitsISK_E10value_typeET2_T3_PNSL_ISQ_E10value_typeET4_jRbjT5_SW_jjP12ihipStream_tbEUlT_E0_NS1_11comp_targetILNS1_3genE3ELNS1_11target_archE908ELNS1_3gpuE7ELNS1_3repE0EEENS1_60segmented_radix_sort_warp_sort_medium_config_static_selectorELNS0_4arch9wavefront6targetE0EEEvSK_, .Lfunc_end924-_ZN7rocprim17ROCPRIM_400000_NS6detail17trampoline_kernelINS0_14default_configENS1_36segmented_radix_sort_config_selectorIslEEZNS1_25segmented_radix_sort_implIS3_Lb1EPKsPsPKlPlN2at6native12_GLOBAL__N_18offset_tEEE10hipError_tPvRmT1_PNSt15iterator_traitsISK_E10value_typeET2_T3_PNSL_ISQ_E10value_typeET4_jRbjT5_SW_jjP12ihipStream_tbEUlT_E0_NS1_11comp_targetILNS1_3genE3ELNS1_11target_archE908ELNS1_3gpuE7ELNS1_3repE0EEENS1_60segmented_radix_sort_warp_sort_medium_config_static_selectorELNS0_4arch9wavefront6targetE0EEEvSK_
                                        ; -- End function
	.section	.AMDGPU.csdata,"",@progbits
; Kernel info:
; codeLenInByte = 0
; NumSgprs: 0
; NumVgprs: 0
; ScratchSize: 0
; MemoryBound: 0
; FloatMode: 240
; IeeeMode: 1
; LDSByteSize: 0 bytes/workgroup (compile time only)
; SGPRBlocks: 0
; VGPRBlocks: 0
; NumSGPRsForWavesPerEU: 1
; NumVGPRsForWavesPerEU: 1
; Occupancy: 16
; WaveLimiterHint : 0
; COMPUTE_PGM_RSRC2:SCRATCH_EN: 0
; COMPUTE_PGM_RSRC2:USER_SGPR: 15
; COMPUTE_PGM_RSRC2:TRAP_HANDLER: 0
; COMPUTE_PGM_RSRC2:TGID_X_EN: 1
; COMPUTE_PGM_RSRC2:TGID_Y_EN: 0
; COMPUTE_PGM_RSRC2:TGID_Z_EN: 0
; COMPUTE_PGM_RSRC2:TIDIG_COMP_CNT: 0
	.section	.text._ZN7rocprim17ROCPRIM_400000_NS6detail17trampoline_kernelINS0_14default_configENS1_36segmented_radix_sort_config_selectorIslEEZNS1_25segmented_radix_sort_implIS3_Lb1EPKsPsPKlPlN2at6native12_GLOBAL__N_18offset_tEEE10hipError_tPvRmT1_PNSt15iterator_traitsISK_E10value_typeET2_T3_PNSL_ISQ_E10value_typeET4_jRbjT5_SW_jjP12ihipStream_tbEUlT_E0_NS1_11comp_targetILNS1_3genE2ELNS1_11target_archE906ELNS1_3gpuE6ELNS1_3repE0EEENS1_60segmented_radix_sort_warp_sort_medium_config_static_selectorELNS0_4arch9wavefront6targetE0EEEvSK_,"axG",@progbits,_ZN7rocprim17ROCPRIM_400000_NS6detail17trampoline_kernelINS0_14default_configENS1_36segmented_radix_sort_config_selectorIslEEZNS1_25segmented_radix_sort_implIS3_Lb1EPKsPsPKlPlN2at6native12_GLOBAL__N_18offset_tEEE10hipError_tPvRmT1_PNSt15iterator_traitsISK_E10value_typeET2_T3_PNSL_ISQ_E10value_typeET4_jRbjT5_SW_jjP12ihipStream_tbEUlT_E0_NS1_11comp_targetILNS1_3genE2ELNS1_11target_archE906ELNS1_3gpuE6ELNS1_3repE0EEENS1_60segmented_radix_sort_warp_sort_medium_config_static_selectorELNS0_4arch9wavefront6targetE0EEEvSK_,comdat
	.globl	_ZN7rocprim17ROCPRIM_400000_NS6detail17trampoline_kernelINS0_14default_configENS1_36segmented_radix_sort_config_selectorIslEEZNS1_25segmented_radix_sort_implIS3_Lb1EPKsPsPKlPlN2at6native12_GLOBAL__N_18offset_tEEE10hipError_tPvRmT1_PNSt15iterator_traitsISK_E10value_typeET2_T3_PNSL_ISQ_E10value_typeET4_jRbjT5_SW_jjP12ihipStream_tbEUlT_E0_NS1_11comp_targetILNS1_3genE2ELNS1_11target_archE906ELNS1_3gpuE6ELNS1_3repE0EEENS1_60segmented_radix_sort_warp_sort_medium_config_static_selectorELNS0_4arch9wavefront6targetE0EEEvSK_ ; -- Begin function _ZN7rocprim17ROCPRIM_400000_NS6detail17trampoline_kernelINS0_14default_configENS1_36segmented_radix_sort_config_selectorIslEEZNS1_25segmented_radix_sort_implIS3_Lb1EPKsPsPKlPlN2at6native12_GLOBAL__N_18offset_tEEE10hipError_tPvRmT1_PNSt15iterator_traitsISK_E10value_typeET2_T3_PNSL_ISQ_E10value_typeET4_jRbjT5_SW_jjP12ihipStream_tbEUlT_E0_NS1_11comp_targetILNS1_3genE2ELNS1_11target_archE906ELNS1_3gpuE6ELNS1_3repE0EEENS1_60segmented_radix_sort_warp_sort_medium_config_static_selectorELNS0_4arch9wavefront6targetE0EEEvSK_
	.p2align	8
	.type	_ZN7rocprim17ROCPRIM_400000_NS6detail17trampoline_kernelINS0_14default_configENS1_36segmented_radix_sort_config_selectorIslEEZNS1_25segmented_radix_sort_implIS3_Lb1EPKsPsPKlPlN2at6native12_GLOBAL__N_18offset_tEEE10hipError_tPvRmT1_PNSt15iterator_traitsISK_E10value_typeET2_T3_PNSL_ISQ_E10value_typeET4_jRbjT5_SW_jjP12ihipStream_tbEUlT_E0_NS1_11comp_targetILNS1_3genE2ELNS1_11target_archE906ELNS1_3gpuE6ELNS1_3repE0EEENS1_60segmented_radix_sort_warp_sort_medium_config_static_selectorELNS0_4arch9wavefront6targetE0EEEvSK_,@function
_ZN7rocprim17ROCPRIM_400000_NS6detail17trampoline_kernelINS0_14default_configENS1_36segmented_radix_sort_config_selectorIslEEZNS1_25segmented_radix_sort_implIS3_Lb1EPKsPsPKlPlN2at6native12_GLOBAL__N_18offset_tEEE10hipError_tPvRmT1_PNSt15iterator_traitsISK_E10value_typeET2_T3_PNSL_ISQ_E10value_typeET4_jRbjT5_SW_jjP12ihipStream_tbEUlT_E0_NS1_11comp_targetILNS1_3genE2ELNS1_11target_archE906ELNS1_3gpuE6ELNS1_3repE0EEENS1_60segmented_radix_sort_warp_sort_medium_config_static_selectorELNS0_4arch9wavefront6targetE0EEEvSK_: ; @_ZN7rocprim17ROCPRIM_400000_NS6detail17trampoline_kernelINS0_14default_configENS1_36segmented_radix_sort_config_selectorIslEEZNS1_25segmented_radix_sort_implIS3_Lb1EPKsPsPKlPlN2at6native12_GLOBAL__N_18offset_tEEE10hipError_tPvRmT1_PNSt15iterator_traitsISK_E10value_typeET2_T3_PNSL_ISQ_E10value_typeET4_jRbjT5_SW_jjP12ihipStream_tbEUlT_E0_NS1_11comp_targetILNS1_3genE2ELNS1_11target_archE906ELNS1_3gpuE6ELNS1_3repE0EEENS1_60segmented_radix_sort_warp_sort_medium_config_static_selectorELNS0_4arch9wavefront6targetE0EEEvSK_
; %bb.0:
	.section	.rodata,"a",@progbits
	.p2align	6, 0x0
	.amdhsa_kernel _ZN7rocprim17ROCPRIM_400000_NS6detail17trampoline_kernelINS0_14default_configENS1_36segmented_radix_sort_config_selectorIslEEZNS1_25segmented_radix_sort_implIS3_Lb1EPKsPsPKlPlN2at6native12_GLOBAL__N_18offset_tEEE10hipError_tPvRmT1_PNSt15iterator_traitsISK_E10value_typeET2_T3_PNSL_ISQ_E10value_typeET4_jRbjT5_SW_jjP12ihipStream_tbEUlT_E0_NS1_11comp_targetILNS1_3genE2ELNS1_11target_archE906ELNS1_3gpuE6ELNS1_3repE0EEENS1_60segmented_radix_sort_warp_sort_medium_config_static_selectorELNS0_4arch9wavefront6targetE0EEEvSK_
		.amdhsa_group_segment_fixed_size 0
		.amdhsa_private_segment_fixed_size 0
		.amdhsa_kernarg_size 88
		.amdhsa_user_sgpr_count 15
		.amdhsa_user_sgpr_dispatch_ptr 0
		.amdhsa_user_sgpr_queue_ptr 0
		.amdhsa_user_sgpr_kernarg_segment_ptr 1
		.amdhsa_user_sgpr_dispatch_id 0
		.amdhsa_user_sgpr_private_segment_size 0
		.amdhsa_wavefront_size32 1
		.amdhsa_uses_dynamic_stack 0
		.amdhsa_enable_private_segment 0
		.amdhsa_system_sgpr_workgroup_id_x 1
		.amdhsa_system_sgpr_workgroup_id_y 0
		.amdhsa_system_sgpr_workgroup_id_z 0
		.amdhsa_system_sgpr_workgroup_info 0
		.amdhsa_system_vgpr_workitem_id 0
		.amdhsa_next_free_vgpr 1
		.amdhsa_next_free_sgpr 1
		.amdhsa_reserve_vcc 0
		.amdhsa_float_round_mode_32 0
		.amdhsa_float_round_mode_16_64 0
		.amdhsa_float_denorm_mode_32 3
		.amdhsa_float_denorm_mode_16_64 3
		.amdhsa_dx10_clamp 1
		.amdhsa_ieee_mode 1
		.amdhsa_fp16_overflow 0
		.amdhsa_workgroup_processor_mode 1
		.amdhsa_memory_ordered 1
		.amdhsa_forward_progress 0
		.amdhsa_shared_vgpr_count 0
		.amdhsa_exception_fp_ieee_invalid_op 0
		.amdhsa_exception_fp_denorm_src 0
		.amdhsa_exception_fp_ieee_div_zero 0
		.amdhsa_exception_fp_ieee_overflow 0
		.amdhsa_exception_fp_ieee_underflow 0
		.amdhsa_exception_fp_ieee_inexact 0
		.amdhsa_exception_int_div_zero 0
	.end_amdhsa_kernel
	.section	.text._ZN7rocprim17ROCPRIM_400000_NS6detail17trampoline_kernelINS0_14default_configENS1_36segmented_radix_sort_config_selectorIslEEZNS1_25segmented_radix_sort_implIS3_Lb1EPKsPsPKlPlN2at6native12_GLOBAL__N_18offset_tEEE10hipError_tPvRmT1_PNSt15iterator_traitsISK_E10value_typeET2_T3_PNSL_ISQ_E10value_typeET4_jRbjT5_SW_jjP12ihipStream_tbEUlT_E0_NS1_11comp_targetILNS1_3genE2ELNS1_11target_archE906ELNS1_3gpuE6ELNS1_3repE0EEENS1_60segmented_radix_sort_warp_sort_medium_config_static_selectorELNS0_4arch9wavefront6targetE0EEEvSK_,"axG",@progbits,_ZN7rocprim17ROCPRIM_400000_NS6detail17trampoline_kernelINS0_14default_configENS1_36segmented_radix_sort_config_selectorIslEEZNS1_25segmented_radix_sort_implIS3_Lb1EPKsPsPKlPlN2at6native12_GLOBAL__N_18offset_tEEE10hipError_tPvRmT1_PNSt15iterator_traitsISK_E10value_typeET2_T3_PNSL_ISQ_E10value_typeET4_jRbjT5_SW_jjP12ihipStream_tbEUlT_E0_NS1_11comp_targetILNS1_3genE2ELNS1_11target_archE906ELNS1_3gpuE6ELNS1_3repE0EEENS1_60segmented_radix_sort_warp_sort_medium_config_static_selectorELNS0_4arch9wavefront6targetE0EEEvSK_,comdat
.Lfunc_end925:
	.size	_ZN7rocprim17ROCPRIM_400000_NS6detail17trampoline_kernelINS0_14default_configENS1_36segmented_radix_sort_config_selectorIslEEZNS1_25segmented_radix_sort_implIS3_Lb1EPKsPsPKlPlN2at6native12_GLOBAL__N_18offset_tEEE10hipError_tPvRmT1_PNSt15iterator_traitsISK_E10value_typeET2_T3_PNSL_ISQ_E10value_typeET4_jRbjT5_SW_jjP12ihipStream_tbEUlT_E0_NS1_11comp_targetILNS1_3genE2ELNS1_11target_archE906ELNS1_3gpuE6ELNS1_3repE0EEENS1_60segmented_radix_sort_warp_sort_medium_config_static_selectorELNS0_4arch9wavefront6targetE0EEEvSK_, .Lfunc_end925-_ZN7rocprim17ROCPRIM_400000_NS6detail17trampoline_kernelINS0_14default_configENS1_36segmented_radix_sort_config_selectorIslEEZNS1_25segmented_radix_sort_implIS3_Lb1EPKsPsPKlPlN2at6native12_GLOBAL__N_18offset_tEEE10hipError_tPvRmT1_PNSt15iterator_traitsISK_E10value_typeET2_T3_PNSL_ISQ_E10value_typeET4_jRbjT5_SW_jjP12ihipStream_tbEUlT_E0_NS1_11comp_targetILNS1_3genE2ELNS1_11target_archE906ELNS1_3gpuE6ELNS1_3repE0EEENS1_60segmented_radix_sort_warp_sort_medium_config_static_selectorELNS0_4arch9wavefront6targetE0EEEvSK_
                                        ; -- End function
	.section	.AMDGPU.csdata,"",@progbits
; Kernel info:
; codeLenInByte = 0
; NumSgprs: 0
; NumVgprs: 0
; ScratchSize: 0
; MemoryBound: 0
; FloatMode: 240
; IeeeMode: 1
; LDSByteSize: 0 bytes/workgroup (compile time only)
; SGPRBlocks: 0
; VGPRBlocks: 0
; NumSGPRsForWavesPerEU: 1
; NumVGPRsForWavesPerEU: 1
; Occupancy: 16
; WaveLimiterHint : 0
; COMPUTE_PGM_RSRC2:SCRATCH_EN: 0
; COMPUTE_PGM_RSRC2:USER_SGPR: 15
; COMPUTE_PGM_RSRC2:TRAP_HANDLER: 0
; COMPUTE_PGM_RSRC2:TGID_X_EN: 1
; COMPUTE_PGM_RSRC2:TGID_Y_EN: 0
; COMPUTE_PGM_RSRC2:TGID_Z_EN: 0
; COMPUTE_PGM_RSRC2:TIDIG_COMP_CNT: 0
	.section	.text._ZN7rocprim17ROCPRIM_400000_NS6detail17trampoline_kernelINS0_14default_configENS1_36segmented_radix_sort_config_selectorIslEEZNS1_25segmented_radix_sort_implIS3_Lb1EPKsPsPKlPlN2at6native12_GLOBAL__N_18offset_tEEE10hipError_tPvRmT1_PNSt15iterator_traitsISK_E10value_typeET2_T3_PNSL_ISQ_E10value_typeET4_jRbjT5_SW_jjP12ihipStream_tbEUlT_E0_NS1_11comp_targetILNS1_3genE10ELNS1_11target_archE1201ELNS1_3gpuE5ELNS1_3repE0EEENS1_60segmented_radix_sort_warp_sort_medium_config_static_selectorELNS0_4arch9wavefront6targetE0EEEvSK_,"axG",@progbits,_ZN7rocprim17ROCPRIM_400000_NS6detail17trampoline_kernelINS0_14default_configENS1_36segmented_radix_sort_config_selectorIslEEZNS1_25segmented_radix_sort_implIS3_Lb1EPKsPsPKlPlN2at6native12_GLOBAL__N_18offset_tEEE10hipError_tPvRmT1_PNSt15iterator_traitsISK_E10value_typeET2_T3_PNSL_ISQ_E10value_typeET4_jRbjT5_SW_jjP12ihipStream_tbEUlT_E0_NS1_11comp_targetILNS1_3genE10ELNS1_11target_archE1201ELNS1_3gpuE5ELNS1_3repE0EEENS1_60segmented_radix_sort_warp_sort_medium_config_static_selectorELNS0_4arch9wavefront6targetE0EEEvSK_,comdat
	.globl	_ZN7rocprim17ROCPRIM_400000_NS6detail17trampoline_kernelINS0_14default_configENS1_36segmented_radix_sort_config_selectorIslEEZNS1_25segmented_radix_sort_implIS3_Lb1EPKsPsPKlPlN2at6native12_GLOBAL__N_18offset_tEEE10hipError_tPvRmT1_PNSt15iterator_traitsISK_E10value_typeET2_T3_PNSL_ISQ_E10value_typeET4_jRbjT5_SW_jjP12ihipStream_tbEUlT_E0_NS1_11comp_targetILNS1_3genE10ELNS1_11target_archE1201ELNS1_3gpuE5ELNS1_3repE0EEENS1_60segmented_radix_sort_warp_sort_medium_config_static_selectorELNS0_4arch9wavefront6targetE0EEEvSK_ ; -- Begin function _ZN7rocprim17ROCPRIM_400000_NS6detail17trampoline_kernelINS0_14default_configENS1_36segmented_radix_sort_config_selectorIslEEZNS1_25segmented_radix_sort_implIS3_Lb1EPKsPsPKlPlN2at6native12_GLOBAL__N_18offset_tEEE10hipError_tPvRmT1_PNSt15iterator_traitsISK_E10value_typeET2_T3_PNSL_ISQ_E10value_typeET4_jRbjT5_SW_jjP12ihipStream_tbEUlT_E0_NS1_11comp_targetILNS1_3genE10ELNS1_11target_archE1201ELNS1_3gpuE5ELNS1_3repE0EEENS1_60segmented_radix_sort_warp_sort_medium_config_static_selectorELNS0_4arch9wavefront6targetE0EEEvSK_
	.p2align	8
	.type	_ZN7rocprim17ROCPRIM_400000_NS6detail17trampoline_kernelINS0_14default_configENS1_36segmented_radix_sort_config_selectorIslEEZNS1_25segmented_radix_sort_implIS3_Lb1EPKsPsPKlPlN2at6native12_GLOBAL__N_18offset_tEEE10hipError_tPvRmT1_PNSt15iterator_traitsISK_E10value_typeET2_T3_PNSL_ISQ_E10value_typeET4_jRbjT5_SW_jjP12ihipStream_tbEUlT_E0_NS1_11comp_targetILNS1_3genE10ELNS1_11target_archE1201ELNS1_3gpuE5ELNS1_3repE0EEENS1_60segmented_radix_sort_warp_sort_medium_config_static_selectorELNS0_4arch9wavefront6targetE0EEEvSK_,@function
_ZN7rocprim17ROCPRIM_400000_NS6detail17trampoline_kernelINS0_14default_configENS1_36segmented_radix_sort_config_selectorIslEEZNS1_25segmented_radix_sort_implIS3_Lb1EPKsPsPKlPlN2at6native12_GLOBAL__N_18offset_tEEE10hipError_tPvRmT1_PNSt15iterator_traitsISK_E10value_typeET2_T3_PNSL_ISQ_E10value_typeET4_jRbjT5_SW_jjP12ihipStream_tbEUlT_E0_NS1_11comp_targetILNS1_3genE10ELNS1_11target_archE1201ELNS1_3gpuE5ELNS1_3repE0EEENS1_60segmented_radix_sort_warp_sort_medium_config_static_selectorELNS0_4arch9wavefront6targetE0EEEvSK_: ; @_ZN7rocprim17ROCPRIM_400000_NS6detail17trampoline_kernelINS0_14default_configENS1_36segmented_radix_sort_config_selectorIslEEZNS1_25segmented_radix_sort_implIS3_Lb1EPKsPsPKlPlN2at6native12_GLOBAL__N_18offset_tEEE10hipError_tPvRmT1_PNSt15iterator_traitsISK_E10value_typeET2_T3_PNSL_ISQ_E10value_typeET4_jRbjT5_SW_jjP12ihipStream_tbEUlT_E0_NS1_11comp_targetILNS1_3genE10ELNS1_11target_archE1201ELNS1_3gpuE5ELNS1_3repE0EEENS1_60segmented_radix_sort_warp_sort_medium_config_static_selectorELNS0_4arch9wavefront6targetE0EEEvSK_
; %bb.0:
	.section	.rodata,"a",@progbits
	.p2align	6, 0x0
	.amdhsa_kernel _ZN7rocprim17ROCPRIM_400000_NS6detail17trampoline_kernelINS0_14default_configENS1_36segmented_radix_sort_config_selectorIslEEZNS1_25segmented_radix_sort_implIS3_Lb1EPKsPsPKlPlN2at6native12_GLOBAL__N_18offset_tEEE10hipError_tPvRmT1_PNSt15iterator_traitsISK_E10value_typeET2_T3_PNSL_ISQ_E10value_typeET4_jRbjT5_SW_jjP12ihipStream_tbEUlT_E0_NS1_11comp_targetILNS1_3genE10ELNS1_11target_archE1201ELNS1_3gpuE5ELNS1_3repE0EEENS1_60segmented_radix_sort_warp_sort_medium_config_static_selectorELNS0_4arch9wavefront6targetE0EEEvSK_
		.amdhsa_group_segment_fixed_size 0
		.amdhsa_private_segment_fixed_size 0
		.amdhsa_kernarg_size 88
		.amdhsa_user_sgpr_count 15
		.amdhsa_user_sgpr_dispatch_ptr 0
		.amdhsa_user_sgpr_queue_ptr 0
		.amdhsa_user_sgpr_kernarg_segment_ptr 1
		.amdhsa_user_sgpr_dispatch_id 0
		.amdhsa_user_sgpr_private_segment_size 0
		.amdhsa_wavefront_size32 1
		.amdhsa_uses_dynamic_stack 0
		.amdhsa_enable_private_segment 0
		.amdhsa_system_sgpr_workgroup_id_x 1
		.amdhsa_system_sgpr_workgroup_id_y 0
		.amdhsa_system_sgpr_workgroup_id_z 0
		.amdhsa_system_sgpr_workgroup_info 0
		.amdhsa_system_vgpr_workitem_id 0
		.amdhsa_next_free_vgpr 1
		.amdhsa_next_free_sgpr 1
		.amdhsa_reserve_vcc 0
		.amdhsa_float_round_mode_32 0
		.amdhsa_float_round_mode_16_64 0
		.amdhsa_float_denorm_mode_32 3
		.amdhsa_float_denorm_mode_16_64 3
		.amdhsa_dx10_clamp 1
		.amdhsa_ieee_mode 1
		.amdhsa_fp16_overflow 0
		.amdhsa_workgroup_processor_mode 1
		.amdhsa_memory_ordered 1
		.amdhsa_forward_progress 0
		.amdhsa_shared_vgpr_count 0
		.amdhsa_exception_fp_ieee_invalid_op 0
		.amdhsa_exception_fp_denorm_src 0
		.amdhsa_exception_fp_ieee_div_zero 0
		.amdhsa_exception_fp_ieee_overflow 0
		.amdhsa_exception_fp_ieee_underflow 0
		.amdhsa_exception_fp_ieee_inexact 0
		.amdhsa_exception_int_div_zero 0
	.end_amdhsa_kernel
	.section	.text._ZN7rocprim17ROCPRIM_400000_NS6detail17trampoline_kernelINS0_14default_configENS1_36segmented_radix_sort_config_selectorIslEEZNS1_25segmented_radix_sort_implIS3_Lb1EPKsPsPKlPlN2at6native12_GLOBAL__N_18offset_tEEE10hipError_tPvRmT1_PNSt15iterator_traitsISK_E10value_typeET2_T3_PNSL_ISQ_E10value_typeET4_jRbjT5_SW_jjP12ihipStream_tbEUlT_E0_NS1_11comp_targetILNS1_3genE10ELNS1_11target_archE1201ELNS1_3gpuE5ELNS1_3repE0EEENS1_60segmented_radix_sort_warp_sort_medium_config_static_selectorELNS0_4arch9wavefront6targetE0EEEvSK_,"axG",@progbits,_ZN7rocprim17ROCPRIM_400000_NS6detail17trampoline_kernelINS0_14default_configENS1_36segmented_radix_sort_config_selectorIslEEZNS1_25segmented_radix_sort_implIS3_Lb1EPKsPsPKlPlN2at6native12_GLOBAL__N_18offset_tEEE10hipError_tPvRmT1_PNSt15iterator_traitsISK_E10value_typeET2_T3_PNSL_ISQ_E10value_typeET4_jRbjT5_SW_jjP12ihipStream_tbEUlT_E0_NS1_11comp_targetILNS1_3genE10ELNS1_11target_archE1201ELNS1_3gpuE5ELNS1_3repE0EEENS1_60segmented_radix_sort_warp_sort_medium_config_static_selectorELNS0_4arch9wavefront6targetE0EEEvSK_,comdat
.Lfunc_end926:
	.size	_ZN7rocprim17ROCPRIM_400000_NS6detail17trampoline_kernelINS0_14default_configENS1_36segmented_radix_sort_config_selectorIslEEZNS1_25segmented_radix_sort_implIS3_Lb1EPKsPsPKlPlN2at6native12_GLOBAL__N_18offset_tEEE10hipError_tPvRmT1_PNSt15iterator_traitsISK_E10value_typeET2_T3_PNSL_ISQ_E10value_typeET4_jRbjT5_SW_jjP12ihipStream_tbEUlT_E0_NS1_11comp_targetILNS1_3genE10ELNS1_11target_archE1201ELNS1_3gpuE5ELNS1_3repE0EEENS1_60segmented_radix_sort_warp_sort_medium_config_static_selectorELNS0_4arch9wavefront6targetE0EEEvSK_, .Lfunc_end926-_ZN7rocprim17ROCPRIM_400000_NS6detail17trampoline_kernelINS0_14default_configENS1_36segmented_radix_sort_config_selectorIslEEZNS1_25segmented_radix_sort_implIS3_Lb1EPKsPsPKlPlN2at6native12_GLOBAL__N_18offset_tEEE10hipError_tPvRmT1_PNSt15iterator_traitsISK_E10value_typeET2_T3_PNSL_ISQ_E10value_typeET4_jRbjT5_SW_jjP12ihipStream_tbEUlT_E0_NS1_11comp_targetILNS1_3genE10ELNS1_11target_archE1201ELNS1_3gpuE5ELNS1_3repE0EEENS1_60segmented_radix_sort_warp_sort_medium_config_static_selectorELNS0_4arch9wavefront6targetE0EEEvSK_
                                        ; -- End function
	.section	.AMDGPU.csdata,"",@progbits
; Kernel info:
; codeLenInByte = 0
; NumSgprs: 0
; NumVgprs: 0
; ScratchSize: 0
; MemoryBound: 0
; FloatMode: 240
; IeeeMode: 1
; LDSByteSize: 0 bytes/workgroup (compile time only)
; SGPRBlocks: 0
; VGPRBlocks: 0
; NumSGPRsForWavesPerEU: 1
; NumVGPRsForWavesPerEU: 1
; Occupancy: 16
; WaveLimiterHint : 0
; COMPUTE_PGM_RSRC2:SCRATCH_EN: 0
; COMPUTE_PGM_RSRC2:USER_SGPR: 15
; COMPUTE_PGM_RSRC2:TRAP_HANDLER: 0
; COMPUTE_PGM_RSRC2:TGID_X_EN: 1
; COMPUTE_PGM_RSRC2:TGID_Y_EN: 0
; COMPUTE_PGM_RSRC2:TGID_Z_EN: 0
; COMPUTE_PGM_RSRC2:TIDIG_COMP_CNT: 0
	.section	.text._ZN7rocprim17ROCPRIM_400000_NS6detail17trampoline_kernelINS0_14default_configENS1_36segmented_radix_sort_config_selectorIslEEZNS1_25segmented_radix_sort_implIS3_Lb1EPKsPsPKlPlN2at6native12_GLOBAL__N_18offset_tEEE10hipError_tPvRmT1_PNSt15iterator_traitsISK_E10value_typeET2_T3_PNSL_ISQ_E10value_typeET4_jRbjT5_SW_jjP12ihipStream_tbEUlT_E0_NS1_11comp_targetILNS1_3genE10ELNS1_11target_archE1200ELNS1_3gpuE4ELNS1_3repE0EEENS1_60segmented_radix_sort_warp_sort_medium_config_static_selectorELNS0_4arch9wavefront6targetE0EEEvSK_,"axG",@progbits,_ZN7rocprim17ROCPRIM_400000_NS6detail17trampoline_kernelINS0_14default_configENS1_36segmented_radix_sort_config_selectorIslEEZNS1_25segmented_radix_sort_implIS3_Lb1EPKsPsPKlPlN2at6native12_GLOBAL__N_18offset_tEEE10hipError_tPvRmT1_PNSt15iterator_traitsISK_E10value_typeET2_T3_PNSL_ISQ_E10value_typeET4_jRbjT5_SW_jjP12ihipStream_tbEUlT_E0_NS1_11comp_targetILNS1_3genE10ELNS1_11target_archE1200ELNS1_3gpuE4ELNS1_3repE0EEENS1_60segmented_radix_sort_warp_sort_medium_config_static_selectorELNS0_4arch9wavefront6targetE0EEEvSK_,comdat
	.globl	_ZN7rocprim17ROCPRIM_400000_NS6detail17trampoline_kernelINS0_14default_configENS1_36segmented_radix_sort_config_selectorIslEEZNS1_25segmented_radix_sort_implIS3_Lb1EPKsPsPKlPlN2at6native12_GLOBAL__N_18offset_tEEE10hipError_tPvRmT1_PNSt15iterator_traitsISK_E10value_typeET2_T3_PNSL_ISQ_E10value_typeET4_jRbjT5_SW_jjP12ihipStream_tbEUlT_E0_NS1_11comp_targetILNS1_3genE10ELNS1_11target_archE1200ELNS1_3gpuE4ELNS1_3repE0EEENS1_60segmented_radix_sort_warp_sort_medium_config_static_selectorELNS0_4arch9wavefront6targetE0EEEvSK_ ; -- Begin function _ZN7rocprim17ROCPRIM_400000_NS6detail17trampoline_kernelINS0_14default_configENS1_36segmented_radix_sort_config_selectorIslEEZNS1_25segmented_radix_sort_implIS3_Lb1EPKsPsPKlPlN2at6native12_GLOBAL__N_18offset_tEEE10hipError_tPvRmT1_PNSt15iterator_traitsISK_E10value_typeET2_T3_PNSL_ISQ_E10value_typeET4_jRbjT5_SW_jjP12ihipStream_tbEUlT_E0_NS1_11comp_targetILNS1_3genE10ELNS1_11target_archE1200ELNS1_3gpuE4ELNS1_3repE0EEENS1_60segmented_radix_sort_warp_sort_medium_config_static_selectorELNS0_4arch9wavefront6targetE0EEEvSK_
	.p2align	8
	.type	_ZN7rocprim17ROCPRIM_400000_NS6detail17trampoline_kernelINS0_14default_configENS1_36segmented_radix_sort_config_selectorIslEEZNS1_25segmented_radix_sort_implIS3_Lb1EPKsPsPKlPlN2at6native12_GLOBAL__N_18offset_tEEE10hipError_tPvRmT1_PNSt15iterator_traitsISK_E10value_typeET2_T3_PNSL_ISQ_E10value_typeET4_jRbjT5_SW_jjP12ihipStream_tbEUlT_E0_NS1_11comp_targetILNS1_3genE10ELNS1_11target_archE1200ELNS1_3gpuE4ELNS1_3repE0EEENS1_60segmented_radix_sort_warp_sort_medium_config_static_selectorELNS0_4arch9wavefront6targetE0EEEvSK_,@function
_ZN7rocprim17ROCPRIM_400000_NS6detail17trampoline_kernelINS0_14default_configENS1_36segmented_radix_sort_config_selectorIslEEZNS1_25segmented_radix_sort_implIS3_Lb1EPKsPsPKlPlN2at6native12_GLOBAL__N_18offset_tEEE10hipError_tPvRmT1_PNSt15iterator_traitsISK_E10value_typeET2_T3_PNSL_ISQ_E10value_typeET4_jRbjT5_SW_jjP12ihipStream_tbEUlT_E0_NS1_11comp_targetILNS1_3genE10ELNS1_11target_archE1200ELNS1_3gpuE4ELNS1_3repE0EEENS1_60segmented_radix_sort_warp_sort_medium_config_static_selectorELNS0_4arch9wavefront6targetE0EEEvSK_: ; @_ZN7rocprim17ROCPRIM_400000_NS6detail17trampoline_kernelINS0_14default_configENS1_36segmented_radix_sort_config_selectorIslEEZNS1_25segmented_radix_sort_implIS3_Lb1EPKsPsPKlPlN2at6native12_GLOBAL__N_18offset_tEEE10hipError_tPvRmT1_PNSt15iterator_traitsISK_E10value_typeET2_T3_PNSL_ISQ_E10value_typeET4_jRbjT5_SW_jjP12ihipStream_tbEUlT_E0_NS1_11comp_targetILNS1_3genE10ELNS1_11target_archE1200ELNS1_3gpuE4ELNS1_3repE0EEENS1_60segmented_radix_sort_warp_sort_medium_config_static_selectorELNS0_4arch9wavefront6targetE0EEEvSK_
; %bb.0:
	.section	.rodata,"a",@progbits
	.p2align	6, 0x0
	.amdhsa_kernel _ZN7rocprim17ROCPRIM_400000_NS6detail17trampoline_kernelINS0_14default_configENS1_36segmented_radix_sort_config_selectorIslEEZNS1_25segmented_radix_sort_implIS3_Lb1EPKsPsPKlPlN2at6native12_GLOBAL__N_18offset_tEEE10hipError_tPvRmT1_PNSt15iterator_traitsISK_E10value_typeET2_T3_PNSL_ISQ_E10value_typeET4_jRbjT5_SW_jjP12ihipStream_tbEUlT_E0_NS1_11comp_targetILNS1_3genE10ELNS1_11target_archE1200ELNS1_3gpuE4ELNS1_3repE0EEENS1_60segmented_radix_sort_warp_sort_medium_config_static_selectorELNS0_4arch9wavefront6targetE0EEEvSK_
		.amdhsa_group_segment_fixed_size 0
		.amdhsa_private_segment_fixed_size 0
		.amdhsa_kernarg_size 88
		.amdhsa_user_sgpr_count 15
		.amdhsa_user_sgpr_dispatch_ptr 0
		.amdhsa_user_sgpr_queue_ptr 0
		.amdhsa_user_sgpr_kernarg_segment_ptr 1
		.amdhsa_user_sgpr_dispatch_id 0
		.amdhsa_user_sgpr_private_segment_size 0
		.amdhsa_wavefront_size32 1
		.amdhsa_uses_dynamic_stack 0
		.amdhsa_enable_private_segment 0
		.amdhsa_system_sgpr_workgroup_id_x 1
		.amdhsa_system_sgpr_workgroup_id_y 0
		.amdhsa_system_sgpr_workgroup_id_z 0
		.amdhsa_system_sgpr_workgroup_info 0
		.amdhsa_system_vgpr_workitem_id 0
		.amdhsa_next_free_vgpr 1
		.amdhsa_next_free_sgpr 1
		.amdhsa_reserve_vcc 0
		.amdhsa_float_round_mode_32 0
		.amdhsa_float_round_mode_16_64 0
		.amdhsa_float_denorm_mode_32 3
		.amdhsa_float_denorm_mode_16_64 3
		.amdhsa_dx10_clamp 1
		.amdhsa_ieee_mode 1
		.amdhsa_fp16_overflow 0
		.amdhsa_workgroup_processor_mode 1
		.amdhsa_memory_ordered 1
		.amdhsa_forward_progress 0
		.amdhsa_shared_vgpr_count 0
		.amdhsa_exception_fp_ieee_invalid_op 0
		.amdhsa_exception_fp_denorm_src 0
		.amdhsa_exception_fp_ieee_div_zero 0
		.amdhsa_exception_fp_ieee_overflow 0
		.amdhsa_exception_fp_ieee_underflow 0
		.amdhsa_exception_fp_ieee_inexact 0
		.amdhsa_exception_int_div_zero 0
	.end_amdhsa_kernel
	.section	.text._ZN7rocprim17ROCPRIM_400000_NS6detail17trampoline_kernelINS0_14default_configENS1_36segmented_radix_sort_config_selectorIslEEZNS1_25segmented_radix_sort_implIS3_Lb1EPKsPsPKlPlN2at6native12_GLOBAL__N_18offset_tEEE10hipError_tPvRmT1_PNSt15iterator_traitsISK_E10value_typeET2_T3_PNSL_ISQ_E10value_typeET4_jRbjT5_SW_jjP12ihipStream_tbEUlT_E0_NS1_11comp_targetILNS1_3genE10ELNS1_11target_archE1200ELNS1_3gpuE4ELNS1_3repE0EEENS1_60segmented_radix_sort_warp_sort_medium_config_static_selectorELNS0_4arch9wavefront6targetE0EEEvSK_,"axG",@progbits,_ZN7rocprim17ROCPRIM_400000_NS6detail17trampoline_kernelINS0_14default_configENS1_36segmented_radix_sort_config_selectorIslEEZNS1_25segmented_radix_sort_implIS3_Lb1EPKsPsPKlPlN2at6native12_GLOBAL__N_18offset_tEEE10hipError_tPvRmT1_PNSt15iterator_traitsISK_E10value_typeET2_T3_PNSL_ISQ_E10value_typeET4_jRbjT5_SW_jjP12ihipStream_tbEUlT_E0_NS1_11comp_targetILNS1_3genE10ELNS1_11target_archE1200ELNS1_3gpuE4ELNS1_3repE0EEENS1_60segmented_radix_sort_warp_sort_medium_config_static_selectorELNS0_4arch9wavefront6targetE0EEEvSK_,comdat
.Lfunc_end927:
	.size	_ZN7rocprim17ROCPRIM_400000_NS6detail17trampoline_kernelINS0_14default_configENS1_36segmented_radix_sort_config_selectorIslEEZNS1_25segmented_radix_sort_implIS3_Lb1EPKsPsPKlPlN2at6native12_GLOBAL__N_18offset_tEEE10hipError_tPvRmT1_PNSt15iterator_traitsISK_E10value_typeET2_T3_PNSL_ISQ_E10value_typeET4_jRbjT5_SW_jjP12ihipStream_tbEUlT_E0_NS1_11comp_targetILNS1_3genE10ELNS1_11target_archE1200ELNS1_3gpuE4ELNS1_3repE0EEENS1_60segmented_radix_sort_warp_sort_medium_config_static_selectorELNS0_4arch9wavefront6targetE0EEEvSK_, .Lfunc_end927-_ZN7rocprim17ROCPRIM_400000_NS6detail17trampoline_kernelINS0_14default_configENS1_36segmented_radix_sort_config_selectorIslEEZNS1_25segmented_radix_sort_implIS3_Lb1EPKsPsPKlPlN2at6native12_GLOBAL__N_18offset_tEEE10hipError_tPvRmT1_PNSt15iterator_traitsISK_E10value_typeET2_T3_PNSL_ISQ_E10value_typeET4_jRbjT5_SW_jjP12ihipStream_tbEUlT_E0_NS1_11comp_targetILNS1_3genE10ELNS1_11target_archE1200ELNS1_3gpuE4ELNS1_3repE0EEENS1_60segmented_radix_sort_warp_sort_medium_config_static_selectorELNS0_4arch9wavefront6targetE0EEEvSK_
                                        ; -- End function
	.section	.AMDGPU.csdata,"",@progbits
; Kernel info:
; codeLenInByte = 0
; NumSgprs: 0
; NumVgprs: 0
; ScratchSize: 0
; MemoryBound: 0
; FloatMode: 240
; IeeeMode: 1
; LDSByteSize: 0 bytes/workgroup (compile time only)
; SGPRBlocks: 0
; VGPRBlocks: 0
; NumSGPRsForWavesPerEU: 1
; NumVGPRsForWavesPerEU: 1
; Occupancy: 16
; WaveLimiterHint : 0
; COMPUTE_PGM_RSRC2:SCRATCH_EN: 0
; COMPUTE_PGM_RSRC2:USER_SGPR: 15
; COMPUTE_PGM_RSRC2:TRAP_HANDLER: 0
; COMPUTE_PGM_RSRC2:TGID_X_EN: 1
; COMPUTE_PGM_RSRC2:TGID_Y_EN: 0
; COMPUTE_PGM_RSRC2:TGID_Z_EN: 0
; COMPUTE_PGM_RSRC2:TIDIG_COMP_CNT: 0
	.text
	.p2align	2                               ; -- Begin function _ZN7rocprim17ROCPRIM_400000_NS6detail26segmented_warp_sort_helperINS1_20WarpSortHelperConfigILj16ELj8ELj256EEEslLi256ELb1EvE4sortIPKsPsPKlPlEEvT_T0_T1_T2_jjjjRNS5_12storage_typeE
	.type	_ZN7rocprim17ROCPRIM_400000_NS6detail26segmented_warp_sort_helperINS1_20WarpSortHelperConfigILj16ELj8ELj256EEEslLi256ELb1EvE4sortIPKsPsPKlPlEEvT_T0_T1_T2_jjjjRNS5_12storage_typeE,@function
_ZN7rocprim17ROCPRIM_400000_NS6detail26segmented_warp_sort_helperINS1_20WarpSortHelperConfigILj16ELj8ELj256EEEslLi256ELb1EvE4sortIPKsPsPKlPlEEvT_T0_T1_T2_jjjjRNS5_12storage_typeE: ; @_ZN7rocprim17ROCPRIM_400000_NS6detail26segmented_warp_sort_helperINS1_20WarpSortHelperConfigILj16ELj8ELj256EEEslLi256ELb1EvE4sortIPKsPsPKlPlEEvT_T0_T1_T2_jjjjRNS5_12storage_typeE
; %bb.0:
	s_waitcnt vmcnt(0) expcnt(0) lgkmcnt(0)
	v_mov_b32_e32 v12, v9
	v_mbcnt_lo_u32_b32 v9, -1, 0
	s_mov_b32 s0, 0x80008000
	s_delay_alu instid0(SALU_CYCLE_1) | instskip(SKIP_1) | instid1(VALU_DEP_1)
	s_mov_b32 s1, s0
	s_mov_b32 s2, s0
	v_lshlrev_b32_e32 v53, 3, v9
	v_mov_b32_e32 v9, 0
	s_mov_b32 s3, s0
	v_sub_nc_u32_e32 v12, v12, v8
	s_delay_alu instid0(VALU_DEP_3) | instskip(NEXT) | instid1(VALU_DEP_3)
	v_dual_mov_b32 v35, s3 :: v_dual_and_b32 v52, 0x78, v53
	v_lshlrev_b64 v[28:29], 1, v[8:9]
	v_dual_mov_b32 v34, s2 :: v_dual_mov_b32 v33, s1
	v_mov_b32_e32 v32, s0
	s_delay_alu instid0(VALU_DEP_4) | instskip(NEXT) | instid1(VALU_DEP_4)
	v_lshlrev_b32_e32 v50, 1, v52
	v_add_co_u32 v0, vcc_lo, v0, v28
	v_add_co_ci_u32_e32 v1, vcc_lo, v1, v29, vcc_lo
	s_delay_alu instid0(VALU_DEP_2) | instskip(NEXT) | instid1(VALU_DEP_2)
	v_add_co_u32 v0, vcc_lo, v0, v50
	v_add_co_ci_u32_e32 v1, vcc_lo, 0, v1, vcc_lo
	v_cmp_lt_u32_e32 vcc_lo, v52, v12
	s_and_saveexec_b32 s0, vcc_lo
	s_cbranch_execz .LBB928_2
; %bb.1:
	v_bfrev_b32_e32 v32, 1
	v_mov_b32_e32 v33, 0x80008000
	flat_load_d16_b16 v32, v[0:1]
	v_mov_b32_e32 v34, v33
	v_mov_b32_e32 v35, v33
.LBB928_2:
	s_or_b32 exec_lo, exec_lo, s0
	v_or_b32_e32 v13, 1, v52
	s_delay_alu instid0(VALU_DEP_1) | instskip(NEXT) | instid1(VALU_DEP_1)
	v_cmp_lt_u32_e64 s0, v13, v12
	s_and_saveexec_b32 s1, s0
	s_cbranch_execz .LBB928_4
; %bb.3:
	s_waitcnt vmcnt(0) lgkmcnt(0)
	flat_load_d16_hi_b16 v32, v[0:1] offset:2
.LBB928_4:
	s_or_b32 exec_lo, exec_lo, s1
	v_or_b32_e32 v13, 2, v52
	s_delay_alu instid0(VALU_DEP_1) | instskip(NEXT) | instid1(VALU_DEP_1)
	v_cmp_lt_u32_e64 s1, v13, v12
	s_and_saveexec_b32 s2, s1
	s_cbranch_execz .LBB928_6
; %bb.5:
	flat_load_d16_b16 v33, v[0:1] offset:4
.LBB928_6:
	s_or_b32 exec_lo, exec_lo, s2
	v_or_b32_e32 v13, 3, v52
	s_delay_alu instid0(VALU_DEP_1) | instskip(NEXT) | instid1(VALU_DEP_1)
	v_cmp_lt_u32_e64 s2, v13, v12
	s_and_saveexec_b32 s3, s2
	s_cbranch_execz .LBB928_8
; %bb.7:
	s_waitcnt vmcnt(0) lgkmcnt(0)
	flat_load_d16_hi_b16 v33, v[0:1] offset:6
.LBB928_8:
	s_or_b32 exec_lo, exec_lo, s3
	v_or_b32_e32 v13, 4, v52
	s_delay_alu instid0(VALU_DEP_1) | instskip(NEXT) | instid1(VALU_DEP_1)
	v_cmp_lt_u32_e64 s3, v13, v12
	s_and_saveexec_b32 s4, s3
	s_cbranch_execz .LBB928_10
; %bb.9:
	flat_load_d16_b16 v34, v[0:1] offset:8
.LBB928_10:
	;; [unrolled: 19-line block ×3, first 2 shown]
	s_or_b32 exec_lo, exec_lo, s6
	v_or_b32_e32 v13, 7, v52
	s_delay_alu instid0(VALU_DEP_1) | instskip(NEXT) | instid1(VALU_DEP_1)
	v_cmp_lt_u32_e64 s6, v13, v12
	s_and_saveexec_b32 s7, s6
	s_cbranch_execz .LBB928_16
; %bb.15:
	s_waitcnt vmcnt(0) lgkmcnt(0)
	flat_load_d16_hi_b16 v35, v[0:1] offset:14
.LBB928_16:
	s_or_b32 exec_lo, exec_lo, s7
	v_lshlrev_b64 v[0:1], 3, v[8:9]
	v_lshlrev_b32_e32 v51, 3, v52
	; wave barrier
	s_delay_alu instid0(VALU_DEP_2) | instskip(NEXT) | instid1(VALU_DEP_1)
	v_add_co_u32 v4, s7, v4, v0
	v_add_co_ci_u32_e64 v5, s7, v5, v1, s7
	s_delay_alu instid0(VALU_DEP_2) | instskip(NEXT) | instid1(VALU_DEP_1)
	v_add_co_u32 v8, s7, v4, v51
	v_add_co_ci_u32_e64 v9, s7, 0, v5, s7
                                        ; implicit-def: $vgpr4_vgpr5
	s_and_saveexec_b32 s7, vcc_lo
	s_cbranch_execnz .LBB928_235
; %bb.17:
	s_or_b32 exec_lo, exec_lo, s7
	s_and_saveexec_b32 s7, s0
                                        ; implicit-def: $vgpr20_vgpr21_vgpr22_vgpr23
	s_cbranch_execnz .LBB928_236
.LBB928_18:
	s_or_b32 exec_lo, exec_lo, s7
                                        ; implicit-def: $vgpr36_vgpr37
	s_and_saveexec_b32 s7, s1
	s_cbranch_execnz .LBB928_237
.LBB928_19:
	s_or_b32 exec_lo, exec_lo, s7
	s_and_saveexec_b32 s7, s2
                                        ; implicit-def: $vgpr24_vgpr25_vgpr26_vgpr27
	s_cbranch_execnz .LBB928_238
.LBB928_20:
	s_or_b32 exec_lo, exec_lo, s7
                                        ; implicit-def: $vgpr48_vgpr49
	s_and_saveexec_b32 s7, s3
	s_cbranch_execnz .LBB928_239
.LBB928_21:
	s_or_b32 exec_lo, exec_lo, s7
	s_and_saveexec_b32 s7, s4
                                        ; implicit-def: $vgpr18_vgpr19_vgpr20_vgpr21
	s_cbranch_execnz .LBB928_240
.LBB928_22:
	s_or_b32 exec_lo, exec_lo, s7
                                        ; implicit-def: $vgpr38_vgpr39
	s_and_saveexec_b32 s7, s5
	s_cbranch_execnz .LBB928_241
.LBB928_23:
	s_or_b32 exec_lo, exec_lo, s7
	s_and_saveexec_b32 s7, s6
                                        ; implicit-def: $vgpr12_vgpr13_vgpr14_vgpr15
	s_cbranch_execz .LBB928_25
.LBB928_24:
	flat_load_b64 v[14:15], v[8:9] offset:56
.LBB928_25:
	s_or_b32 exec_lo, exec_lo, s7
	v_cmp_ne_u32_e64 s7, 0, v10
	v_cmp_ne_u32_e64 s10, 16, v11
	v_bfe_u32 v9, v31, 10, 10
	v_bfe_u32 v12, v31, 20, 10
	v_and_b32_e32 v8, 0x3ff, v31
	s_delay_alu instid0(VALU_DEP_4) | instskip(NEXT) | instid1(SALU_CYCLE_1)
	s_or_b32 s7, s7, s10
	; wave barrier
                                        ; implicit-def: $vgpr16_vgpr17_vgpr18_vgpr19
	s_and_saveexec_b32 s10, s7
	s_delay_alu instid0(SALU_CYCLE_1)
	s_xor_b32 s21, exec_lo, s10
	s_cbranch_execz .LBB928_121
; %bb.26:
	s_load_b64 s[10:11], s[8:9], 0x0
	v_mov_b32_e32 v13, 0
	v_lshlrev_b32_e64 v11, v11, -1
	v_lshlrev_b32_e64 v10, v10, -1
	s_delay_alu instid0(VALU_DEP_1) | instskip(SKIP_3) | instid1(SALU_CYCLE_1)
	v_xor_b32_e32 v54, v11, v10
	s_waitcnt lgkmcnt(0)
	s_cmp_lt_u32 s13, s11
	s_cselect_b32 s7, 14, 20
	s_add_u32 s14, s8, s7
	s_addc_u32 s15, s9, 0
	s_cmp_lt_u32 s12, s10
	global_load_u16 v16, v13, s[14:15]
	s_cselect_b32 s7, 12, 18
	s_delay_alu instid0(SALU_CYCLE_1)
	s_add_u32 s10, s8, s7
	s_addc_u32 s11, s9, 0
	s_waitcnt vmcnt(0)
	v_mad_u32_u24 v9, v12, v16, v9
	v_mov_b32_e32 v16, v32
	global_load_u16 v13, v13, s[10:11]
	v_dual_mov_b32 v17, v33 :: v_dual_mov_b32 v18, v34
	v_mov_b32_e32 v19, v35
	s_mov_b32 s11, exec_lo
	s_waitcnt vmcnt(0)
	v_mul_lo_u32 v9, v9, v13
	s_delay_alu instid0(VALU_DEP_1) | instskip(NEXT) | instid1(VALU_DEP_1)
	v_add_lshl_u32 v55, v9, v8, 3
	v_cmpx_gt_u32_e32 0x800, v55
	s_cbranch_execz .LBB928_80
; %bb.27:
	v_lshrrev_b32_e32 v64, 16, v32
	v_dual_mov_b32 v31, v23 :: v_dual_and_b32 v12, v32, v54
	v_dual_mov_b32 v8, v32 :: v_dual_mov_b32 v9, v33
	s_delay_alu instid0(VALU_DEP_3) | instskip(SKIP_3) | instid1(VALU_DEP_3)
	v_dual_mov_b32 v30, v22 :: v_dual_and_b32 v13, v64, v54
	v_dual_mov_b32 v10, v34 :: v_dual_mov_b32 v11, v35
	v_mov_b32_e32 v65, v32
	s_mov_b32 s10, exec_lo
	v_cmpx_gt_i16_e64 v13, v12
; %bb.28:
	v_mov_b32_e32 v31, v5
	v_dual_mov_b32 v11, v35 :: v_dual_mov_b32 v30, v4
	v_mov_b32_e32 v4, v22
	v_alignbit_b32 v8, v32, v32, 16
	v_dual_mov_b32 v9, v33 :: v_dual_mov_b32 v10, v34
	v_mov_b32_e32 v5, v23
	v_mov_b32_e32 v65, v64
	;; [unrolled: 1-line block ×3, first 2 shown]
; %bb.29:
	s_or_b32 exec_lo, exec_lo, s10
	v_lshrrev_b32_e32 v12, 16, v9
	v_dual_mov_b32 v25, v11 :: v_dual_mov_b32 v24, v10
	v_and_b32_e32 v13, v9, v54
	v_dual_mov_b32 v23, v9 :: v_dual_mov_b32 v22, v8
	s_delay_alu instid0(VALU_DEP_4) | instskip(SKIP_3) | instid1(VALU_DEP_3)
	v_dual_mov_b32 v33, v27 :: v_dual_and_b32 v16, v12, v54
	v_mov_b32_e32 v32, v26
	v_mov_b32_e32 v66, v12
	s_mov_b32 s10, exec_lo
	v_cmpx_gt_i16_e64 v16, v13
; %bb.30:
	v_mov_b32_e32 v32, v36
	v_dual_mov_b32 v24, v10 :: v_dual_mov_b32 v33, v37
	v_mov_b32_e32 v37, v27
	v_alignbit_b32 v23, v9, v9, 16
	v_dual_mov_b32 v22, v8 :: v_dual_mov_b32 v25, v11
	v_mov_b32_e32 v36, v26
	v_dual_mov_b32 v66, v9 :: v_dual_mov_b32 v9, v12
; %bb.31:
	s_or_b32 exec_lo, exec_lo, s10
	v_lshrrev_b32_e32 v8, 16, v24
	v_mov_b32_e32 v26, v48
	v_dual_mov_b32 v27, v49 :: v_dual_and_b32 v16, v24, v54
	s_mov_b32 s10, exec_lo
	s_delay_alu instid0(VALU_DEP_3) | instskip(SKIP_3) | instid1(VALU_DEP_4)
	v_dual_mov_b32 v10, v22 :: v_dual_and_b32 v17, v8, v54
	v_dual_mov_b32 v11, v23 :: v_dual_mov_b32 v12, v24
	v_mov_b32_e32 v13, v25
	v_mov_b32_e32 v67, v8
	v_cmpx_gt_i16_e64 v17, v16
; %bb.32:
	v_mov_b32_e32 v27, v21
	v_dual_mov_b32 v13, v25 :: v_dual_mov_b32 v26, v20
	v_mov_b32_e32 v20, v48
	v_alignbit_b32 v12, v24, v24, 16
	v_dual_mov_b32 v10, v22 :: v_dual_mov_b32 v11, v23
	v_mov_b32_e32 v21, v49
	v_mov_b32_e32 v67, v24
	;; [unrolled: 1-line block ×3, first 2 shown]
; %bb.33:
	s_or_b32 exec_lo, exec_lo, s10
	v_lshrrev_b32_e32 v8, 16, v13
	v_dual_mov_b32 v22, v38 :: v_dual_and_b32 v25, v13, v54
	v_dual_mov_b32 v19, v13 :: v_dual_mov_b32 v18, v12
	s_delay_alu instid0(VALU_DEP_3) | instskip(SKIP_3) | instid1(VALU_DEP_3)
	v_dual_mov_b32 v23, v39 :: v_dual_and_b32 v34, v8, v54
	v_dual_mov_b32 v17, v11 :: v_dual_mov_b32 v16, v10
	v_mov_b32_e32 v48, v8
	s_mov_b32 s10, exec_lo
	v_cmpx_gt_i16_e64 v34, v25
; %bb.34:
	v_dual_mov_b32 v18, v12 :: v_dual_mov_b32 v23, v15
	v_mov_b32_e32 v22, v14
	v_mov_b32_e32 v14, v38
	v_alignbit_b32 v19, v13, v13, 16
	v_dual_mov_b32 v16, v10 :: v_dual_mov_b32 v17, v11
	v_dual_mov_b32 v15, v39 :: v_dual_mov_b32 v48, v13
	v_mov_b32_e32 v13, v8
; %bb.35:
	s_or_b32 exec_lo, exec_lo, s10
	v_and_b32_e32 v8, v9, v54
	v_and_b32_e32 v12, v64, v54
	v_dual_mov_b32 v10, v36 :: v_dual_mov_b32 v11, v37
	v_mov_b32_e32 v38, v9
	s_delay_alu instid0(VALU_DEP_3) | instskip(NEXT) | instid1(VALU_DEP_1)
	v_cmp_gt_i16_e64 s7, v8, v12
	s_and_saveexec_b32 s10, s7
	s_delay_alu instid0(SALU_CYCLE_1)
	s_xor_b32 s7, exec_lo, s10
; %bb.36:
	v_perm_b32 v16, v9, v16, 0x5040100
	v_bfi_b32 v17, 0xffff, v64, v17
	v_dual_mov_b32 v10, v30 :: v_dual_mov_b32 v11, v31
	v_dual_mov_b32 v30, v36 :: v_dual_mov_b32 v31, v37
	v_mov_b32_e32 v38, v64
	v_mov_b32_e32 v64, v9
; %bb.37:
	s_or_b32 exec_lo, exec_lo, s7
	v_dual_mov_b32 v35, v33 :: v_dual_and_b32 v8, v24, v54
	v_dual_mov_b32 v34, v32 :: v_dual_and_b32 v9, v66, v54
	v_mov_b32_e32 v36, v24
	s_mov_b32 s10, exec_lo
	s_delay_alu instid0(VALU_DEP_2)
	v_cmpx_gt_i16_e64 v8, v9
; %bb.38:
	v_perm_b32 v17, v24, v17, 0x5040100
	v_bfi_b32 v18, 0xffff, v66, v18
	v_dual_mov_b32 v35, v27 :: v_dual_mov_b32 v34, v26
	v_dual_mov_b32 v26, v32 :: v_dual_mov_b32 v27, v33
	v_mov_b32_e32 v36, v66
	v_mov_b32_e32 v66, v24
; %bb.39:
	s_or_b32 exec_lo, exec_lo, s10
	v_dual_mov_b32 v8, v20 :: v_dual_mov_b32 v37, v13
	v_and_b32_e32 v12, v13, v54
	v_dual_mov_b32 v9, v21 :: v_dual_and_b32 v24, v67, v54
	s_mov_b32 s10, exec_lo
	s_delay_alu instid0(VALU_DEP_1)
	v_cmpx_gt_i16_e64 v12, v24
; %bb.40:
	v_perm_b32 v18, v13, v18, 0x5040100
	v_bfi_b32 v19, 0xffff, v67, v19
	v_dual_mov_b32 v8, v22 :: v_dual_mov_b32 v9, v23
	v_dual_mov_b32 v23, v21 :: v_dual_mov_b32 v22, v20
	v_mov_b32_e32 v37, v67
	v_mov_b32_e32 v67, v13
; %bb.41:
	s_or_b32 exec_lo, exec_lo, s10
	v_dual_mov_b32 v12, v30 :: v_dual_and_b32 v21, v65, v54
	v_dual_mov_b32 v13, v31 :: v_dual_and_b32 v20, v64, v54
	v_mov_b32_e32 v32, v65
	s_mov_b32 s10, exec_lo
	s_delay_alu instid0(VALU_DEP_2)
	v_cmpx_gt_i16_e64 v20, v21
; %bb.42:
	v_perm_b32 v16, v65, v64, 0x5040100
	v_dual_mov_b32 v13, v5 :: v_dual_mov_b32 v12, v4
	v_dual_mov_b32 v4, v30 :: v_dual_mov_b32 v5, v31
	v_mov_b32_e32 v32, v64
	v_mov_b32_e32 v64, v65
; %bb.43:
	s_or_b32 exec_lo, exec_lo, s10
	v_mov_b32_e32 v30, v34
	v_dual_mov_b32 v31, v35 :: v_dual_and_b32 v20, v66, v54
	v_and_b32_e32 v21, v38, v54
	v_mov_b32_e32 v39, v66
	s_mov_b32 s10, exec_lo
	s_delay_alu instid0(VALU_DEP_2)
	v_cmpx_gt_i16_e64 v20, v21
; %bb.44:
	v_perm_b32 v17, v38, v66, 0x5040100
	v_dual_mov_b32 v31, v11 :: v_dual_mov_b32 v30, v10
	v_dual_mov_b32 v10, v34 :: v_dual_mov_b32 v11, v35
	v_mov_b32_e32 v39, v38
	v_mov_b32_e32 v38, v66
; %bb.45:
	s_or_b32 exec_lo, exec_lo, s10
	v_dual_mov_b32 v20, v26 :: v_dual_and_b32 v25, v36, v54
	v_and_b32_e32 v24, v67, v54
	v_mov_b32_e32 v21, v27
	v_mov_b32_e32 v35, v67
	s_mov_b32 s10, exec_lo
	s_delay_alu instid0(VALU_DEP_3)
	v_cmpx_gt_i16_e64 v24, v25
; %bb.46:
	v_perm_b32 v18, v36, v67, 0x5040100
	v_dual_mov_b32 v21, v9 :: v_dual_mov_b32 v20, v8
	v_dual_mov_b32 v8, v26 :: v_dual_mov_b32 v9, v27
	v_dual_mov_b32 v35, v36 :: v_dual_mov_b32 v36, v67
; %bb.47:
	s_or_b32 exec_lo, exec_lo, s10
	v_dual_mov_b32 v25, v23 :: v_dual_and_b32 v26, v48, v54
	v_dual_mov_b32 v24, v22 :: v_dual_and_b32 v27, v37, v54
	v_mov_b32_e32 v33, v48
	s_mov_b32 s10, exec_lo
	s_delay_alu instid0(VALU_DEP_2)
	v_cmpx_gt_i16_e64 v26, v27
; %bb.48:
	v_perm_b32 v19, v37, v48, 0x5040100
	v_dual_mov_b32 v25, v15 :: v_dual_mov_b32 v24, v14
	v_dual_mov_b32 v14, v22 :: v_dual_mov_b32 v15, v23
	v_mov_b32_e32 v33, v37
	v_mov_b32_e32 v37, v48
; %bb.49:
	s_or_b32 exec_lo, exec_lo, s10
	v_dual_mov_b32 v23, v11 :: v_dual_and_b32 v26, v38, v54
	v_dual_mov_b32 v22, v10 :: v_dual_and_b32 v27, v64, v54
	v_mov_b32_e32 v48, v38
	s_mov_b32 s10, exec_lo
	s_delay_alu instid0(VALU_DEP_2)
	v_cmpx_gt_i16_e64 v26, v27
; %bb.50:
	v_perm_b32 v16, v38, v16, 0x5040100
	v_bfi_b32 v17, 0xffff, v64, v17
	v_dual_mov_b32 v23, v13 :: v_dual_mov_b32 v22, v12
	v_dual_mov_b32 v13, v11 :: v_dual_mov_b32 v12, v10
	v_mov_b32_e32 v48, v64
	v_mov_b32_e32 v64, v38
; %bb.51:
	s_or_b32 exec_lo, exec_lo, s10
	v_dual_mov_b32 v26, v30 :: v_dual_and_b32 v11, v39, v54
	v_dual_mov_b32 v27, v31 :: v_dual_and_b32 v10, v36, v54
	v_mov_b32_e32 v38, v36
	s_mov_b32 s10, exec_lo
	s_delay_alu instid0(VALU_DEP_2)
	v_cmpx_gt_i16_e64 v10, v11
; %bb.52:
	v_perm_b32 v17, v36, v17, 0x5040100
	v_bfi_b32 v18, 0xffff, v39, v18
	v_dual_mov_b32 v27, v21 :: v_dual_mov_b32 v26, v20
	v_dual_mov_b32 v20, v30 :: v_dual_mov_b32 v21, v31
	;; [unrolled: 1-line block ×3, first 2 shown]
; %bb.53:
	s_or_b32 exec_lo, exec_lo, s10
	v_mov_b32_e32 v11, v9
	v_and_b32_e32 v30, v37, v54
	v_dual_mov_b32 v10, v8 :: v_dual_and_b32 v31, v35, v54
	v_mov_b32_e32 v36, v37
	s_mov_b32 s10, exec_lo
	s_delay_alu instid0(VALU_DEP_2)
	v_cmpx_gt_i16_e64 v30, v31
; %bb.54:
	v_perm_b32 v18, v37, v18, 0x5040100
	v_bfi_b32 v19, 0xffff, v35, v19
	v_dual_mov_b32 v10, v24 :: v_dual_mov_b32 v11, v25
	v_dual_mov_b32 v25, v9 :: v_dual_mov_b32 v24, v8
	;; [unrolled: 1-line block ×3, first 2 shown]
; %bb.55:
	s_or_b32 exec_lo, exec_lo, s10
	v_mov_b32_e32 v8, v12
	v_dual_mov_b32 v9, v13 :: v_dual_and_b32 v30, v64, v54
	v_and_b32_e32 v31, v32, v54
	v_mov_b32_e32 v34, v32
	s_mov_b32 s10, exec_lo
	s_delay_alu instid0(VALU_DEP_2)
	v_cmpx_gt_i16_e64 v30, v31
; %bb.56:
	v_perm_b32 v16, v32, v64, 0x5040100
	v_dual_mov_b32 v9, v5 :: v_dual_mov_b32 v8, v4
	v_dual_mov_b32 v4, v12 :: v_dual_mov_b32 v5, v13
	v_mov_b32_e32 v34, v64
	v_mov_b32_e32 v64, v32
; %bb.57:
	s_or_b32 exec_lo, exec_lo, s10
	v_mov_b32_e32 v31, v27
	v_and_b32_e32 v12, v39, v54
	v_dual_mov_b32 v30, v26 :: v_dual_and_b32 v13, v48, v54
	v_mov_b32_e32 v37, v39
	s_mov_b32 s10, exec_lo
	s_delay_alu instid0(VALU_DEP_2)
	v_cmpx_gt_i16_e64 v12, v13
; %bb.58:
	v_perm_b32 v17, v48, v39, 0x5040100
	v_dual_mov_b32 v31, v23 :: v_dual_mov_b32 v30, v22
	v_dual_mov_b32 v22, v26 :: v_dual_mov_b32 v23, v27
	;; [unrolled: 1-line block ×3, first 2 shown]
; %bb.59:
	s_or_b32 exec_lo, exec_lo, s10
	v_dual_mov_b32 v12, v20 :: v_dual_and_b32 v27, v38, v54
	v_dual_mov_b32 v13, v21 :: v_dual_and_b32 v26, v35, v54
	v_mov_b32_e32 v39, v35
	s_mov_b32 s10, exec_lo
	s_delay_alu instid0(VALU_DEP_2)
	v_cmpx_gt_i16_e64 v26, v27
; %bb.60:
	v_perm_b32 v18, v38, v35, 0x5040100
	v_dual_mov_b32 v13, v11 :: v_dual_mov_b32 v12, v10
	v_dual_mov_b32 v10, v20 :: v_dual_mov_b32 v11, v21
	;; [unrolled: 1-line block ×3, first 2 shown]
; %bb.61:
	s_or_b32 exec_lo, exec_lo, s10
	v_and_b32_e32 v20, v33, v54
	v_and_b32_e32 v21, v36, v54
	v_dual_mov_b32 v27, v25 :: v_dual_mov_b32 v26, v24
	v_mov_b32_e32 v35, v33
	s_mov_b32 s10, exec_lo
	s_delay_alu instid0(VALU_DEP_3)
	v_cmpx_gt_i16_e64 v20, v21
; %bb.62:
	v_perm_b32 v19, v36, v33, 0x5040100
	v_dual_mov_b32 v27, v15 :: v_dual_mov_b32 v26, v14
	v_dual_mov_b32 v14, v24 :: v_dual_mov_b32 v15, v25
	;; [unrolled: 1-line block ×3, first 2 shown]
; %bb.63:
	s_or_b32 exec_lo, exec_lo, s10
	v_dual_mov_b32 v25, v23 :: v_dual_and_b32 v20, v48, v54
	v_dual_mov_b32 v24, v22 :: v_dual_and_b32 v21, v64, v54
	v_mov_b32_e32 v33, v48
	s_mov_b32 s10, exec_lo
	s_delay_alu instid0(VALU_DEP_2)
	v_cmpx_gt_i16_e64 v20, v21
; %bb.64:
	v_perm_b32 v16, v48, v16, 0x5040100
	v_bfi_b32 v17, 0xffff, v64, v17
	v_dual_mov_b32 v25, v9 :: v_dual_mov_b32 v24, v8
	v_dual_mov_b32 v8, v22 :: v_dual_mov_b32 v9, v23
	v_mov_b32_e32 v33, v64
	v_mov_b32_e32 v64, v48
; %bb.65:
	s_or_b32 exec_lo, exec_lo, s10
	v_dual_mov_b32 v22, v30 :: v_dual_and_b32 v21, v37, v54
	v_dual_mov_b32 v23, v31 :: v_dual_and_b32 v20, v38, v54
	v_mov_b32_e32 v48, v38
	s_mov_b32 s10, exec_lo
	s_delay_alu instid0(VALU_DEP_2)
	v_cmpx_gt_i16_e64 v20, v21
; %bb.66:
	v_perm_b32 v17, v38, v17, 0x5040100
	v_bfi_b32 v18, 0xffff, v37, v18
	v_dual_mov_b32 v23, v13 :: v_dual_mov_b32 v22, v12
	v_dual_mov_b32 v12, v30 :: v_dual_mov_b32 v13, v31
	;; [unrolled: 1-line block ×3, first 2 shown]
; %bb.67:
	s_or_b32 exec_lo, exec_lo, s10
	v_dual_mov_b32 v21, v11 :: v_dual_and_b32 v30, v36, v54
	v_dual_mov_b32 v20, v10 :: v_dual_and_b32 v31, v39, v54
	v_mov_b32_e32 v65, v36
	s_mov_b32 s10, exec_lo
	s_delay_alu instid0(VALU_DEP_2)
	v_cmpx_gt_i16_e64 v30, v31
; %bb.68:
	v_perm_b32 v18, v36, v18, 0x5040100
	v_bfi_b32 v19, 0xffff, v39, v19
	v_dual_mov_b32 v20, v26 :: v_dual_mov_b32 v21, v27
	v_dual_mov_b32 v27, v11 :: v_dual_mov_b32 v26, v10
	v_mov_b32_e32 v65, v39
	v_mov_b32_e32 v39, v36
; %bb.69:
	s_or_b32 exec_lo, exec_lo, s10
	v_dual_mov_b32 v11, v9 :: v_dual_and_b32 v30, v64, v54
	v_dual_mov_b32 v10, v8 :: v_dual_and_b32 v31, v34, v54
	v_mov_b32_e32 v32, v34
	s_mov_b32 s10, exec_lo
	s_delay_alu instid0(VALU_DEP_2)
	v_cmpx_gt_i16_e64 v30, v31
; %bb.70:
	v_perm_b32 v16, v34, v64, 0x5040100
	v_dual_mov_b32 v11, v5 :: v_dual_mov_b32 v10, v4
	v_dual_mov_b32 v4, v8 :: v_dual_mov_b32 v5, v9
	v_mov_b32_e32 v32, v64
	v_mov_b32_e32 v64, v34
; %bb.71:
	s_or_b32 exec_lo, exec_lo, s10
	v_dual_mov_b32 v8, v22 :: v_dual_and_b32 v31, v33, v54
	v_dual_mov_b32 v9, v23 :: v_dual_and_b32 v30, v37, v54
	v_mov_b32_e32 v36, v37
	s_mov_b32 s10, exec_lo
	s_delay_alu instid0(VALU_DEP_2)
	v_cmpx_gt_i16_e64 v30, v31
; %bb.72:
	v_perm_b32 v17, v33, v37, 0x5040100
	;; [unrolled: 14-line block ×3, first 2 shown]
	v_dual_mov_b32 v31, v21 :: v_dual_mov_b32 v30, v20
	v_dual_mov_b32 v21, v13 :: v_dual_mov_b32 v20, v12
	v_mov_b32_e32 v34, v48
	v_mov_b32_e32 v48, v39
; %bb.75:
	s_or_b32 exec_lo, exec_lo, s10
	v_mov_b32_e32 v12, v26
	v_and_b32_e32 v22, v35, v54
	v_dual_mov_b32 v13, v27 :: v_dual_and_b32 v38, v65, v54
	s_mov_b32 s10, exec_lo
	s_delay_alu instid0(VALU_DEP_1)
	v_cmpx_gt_i16_e64 v22, v38
; %bb.76:
	v_mov_b32_e32 v12, v14
	v_dual_mov_b32 v38, v22 :: v_dual_mov_b32 v13, v15
	v_mov_b32_e32 v14, v26
	v_perm_b32 v19, v65, v35, 0x5040100
	v_mov_b32_e32 v65, v35
	v_mov_b32_e32 v15, v27
; %bb.77:
	s_or_b32 exec_lo, exec_lo, s10
	v_and_b32_e32 v22, v33, v54
	v_and_b32_e32 v23, v64, v54
	v_bfi_b32 v27, 0xffff, v64, v17
	v_perm_b32 v26, v33, v16, 0x5040100
	v_and_b32_e32 v33, v36, v54
	v_bfi_b32 v35, 0xffff, v36, v18
	v_cmp_gt_i16_e64 s7, v22, v23
	v_and_b32_e32 v22, v48, v54
	s_delay_alu instid0(VALU_DEP_2)
	v_cndmask_b32_e64 v17, v17, v27, s7
	v_cndmask_b32_e64 v37, v25, v11, s7
	;; [unrolled: 1-line block ×3, first 2 shown]
	v_and_b32_e32 v11, v34, v54
	v_cndmask_b32_e64 v36, v24, v10, s7
	v_cmp_gt_i16_e64 s10, v22, v33
	v_cndmask_b32_e64 v22, v10, v24, s7
	v_perm_b32 v10, v48, v17, 0x5040100
	v_cndmask_b32_e64 v16, v16, v26, s7
	v_cmp_gt_i16_e64 s7, v38, v11
	v_dual_mov_b32 v39, v13 :: v_dual_mov_b32 v38, v12
	v_cndmask_b32_e64 v27, v9, v31, s10
	v_cndmask_b32_e64 v26, v8, v30, s10
	v_cndmask_b32_e64 v49, v31, v9, s10
	v_cndmask_b32_e64 v48, v30, v8, s10
	v_cndmask_b32_e64 v17, v17, v10, s10
	v_cndmask_b32_e64 v18, v18, v35, s10
	s_and_saveexec_b32 s10, s7
; %bb.78:
	s_delay_alu instid0(VALU_DEP_1)
	v_perm_b32 v18, v65, v18, 0x5040100
	v_bfi_b32 v19, 0xffff, v34, v19
	v_dual_mov_b32 v39, v21 :: v_dual_mov_b32 v38, v20
	v_dual_mov_b32 v21, v13 :: v_dual_mov_b32 v20, v12
; %bb.79:
	s_or_b32 exec_lo, exec_lo, s10
.LBB928_80:
	s_delay_alu instid0(SALU_CYCLE_1) | instskip(SKIP_4) | instid1(VALU_DEP_4)
	s_or_b32 exec_lo, exec_lo, s11
	v_dual_mov_b32 v31, v17 :: v_dual_and_b32 v12, 0xffffff00, v55
	v_or_b32_e32 v8, 8, v53
	v_bfi_b32 v30, 0xffff, v32, v16
	v_and_b32_e32 v24, 0xf0, v53
	v_sub_nc_u32_e64 v11, 0x800, v12 clamp
	v_dual_mov_b32 v33, v19 :: v_dual_lshlrev_b32 v10, 1, v12
	s_mov_b32 s10, exec_lo
	v_mov_b32_e32 v32, v18
	s_delay_alu instid0(VALU_DEP_3) | instskip(NEXT) | instid1(VALU_DEP_3)
	v_min_u32_e32 v34, v11, v8
	v_mad_u64_u32 v[8:9], null, v12, 6, v[10:11]
	v_and_b32_e32 v12, 8, v53
	v_lshl_or_b32 v55, v24, 1, v10
	s_delay_alu instid0(VALU_DEP_4) | instskip(NEXT) | instid1(VALU_DEP_3)
	v_add_nc_u32_e32 v9, 8, v34
	v_min_u32_e32 v25, v11, v12
	v_sub_nc_u32_e32 v12, v34, v24
	s_delay_alu instid0(VALU_DEP_3) | instskip(SKIP_2) | instid1(VALU_DEP_4)
	v_min_u32_e32 v35, v11, v9
	v_lshl_add_u32 v65, v53, 3, v8
	v_lshl_or_b32 v9, v53, 1, v10
	v_min_u32_e32 v13, v25, v12
	s_delay_alu instid0(VALU_DEP_4) | instskip(NEXT) | instid1(VALU_DEP_4)
	v_sub_nc_u32_e32 v64, v35, v34
	v_add_nc_u32_e32 v66, 0x1010, v65
	v_add_nc_u32_e32 v12, 0x1000, v65
	;; [unrolled: 1-line block ×4, first 2 shown]
	v_sub_nc_u32_e64 v64, v25, v64 clamp
	ds_store_2addr_b64 v66, v[36:37], v[26:27] offset1:1
	ds_store_2addr_b64 v67, v[48:49], v[20:21] offset1:1
	ds_store_2addr_b64 v12, v[4:5], v[22:23] offset1:1
	ds_store_2addr_b64 v9, v[30:31], v[32:33] offset1:1
	ds_store_2addr_b64 v65, v[38:39], v[14:15] offset1:1
	; wave barrier
	v_cmpx_lt_u32_e64 v64, v13
	s_cbranch_execz .LBB928_84
; %bb.81:
	v_lshlrev_b32_e32 v30, 1, v34
	v_lshlrev_b32_e32 v31, 1, v25
	s_mov_b32 s11, 0
	s_delay_alu instid0(VALU_DEP_1)
	v_add3_u32 v30, v10, v30, v31
	.p2align	6
.LBB928_82:                             ; =>This Inner Loop Header: Depth=1
	v_add_nc_u32_e32 v31, v13, v64
	s_delay_alu instid0(VALU_DEP_1) | instskip(SKIP_1) | instid1(VALU_DEP_2)
	v_lshrrev_b32_e32 v32, 1, v31
	v_and_b32_e32 v31, -2, v31
	v_not_b32_e32 v33, v32
	s_delay_alu instid0(VALU_DEP_2) | instskip(SKIP_1) | instid1(VALU_DEP_3)
	v_add_nc_u32_e32 v31, v55, v31
	v_add_nc_u32_e32 v65, 1, v32
	v_lshl_add_u32 v33, v33, 1, v30
	ds_load_u16 v31, v31
	ds_load_u16 v33, v33
	s_waitcnt lgkmcnt(1)
	v_and_b32_e32 v31, v31, v54
	s_waitcnt lgkmcnt(0)
	v_and_b32_e32 v33, v33, v54
	s_delay_alu instid0(VALU_DEP_1) | instskip(NEXT) | instid1(VALU_DEP_1)
	v_cmp_gt_i16_e64 s7, v33, v31
	v_cndmask_b32_e64 v13, v13, v32, s7
	v_cndmask_b32_e64 v64, v65, v64, s7
	s_delay_alu instid0(VALU_DEP_1) | instskip(NEXT) | instid1(VALU_DEP_1)
	v_cmp_ge_u32_e64 s7, v64, v13
	s_or_b32 s11, s7, s11
	s_delay_alu instid0(SALU_CYCLE_1)
	s_and_not1_b32 exec_lo, exec_lo, s11
	s_cbranch_execnz .LBB928_82
; %bb.83:
	s_or_b32 exec_lo, exec_lo, s11
.LBB928_84:
	s_delay_alu instid0(SALU_CYCLE_1) | instskip(SKIP_4) | instid1(VALU_DEP_4)
	s_or_b32 exec_lo, exec_lo, s10
	v_add_nc_u32_e32 v25, v34, v25
	v_dual_mov_b32 v31, v17 :: v_dual_add_nc_u32 v66, v64, v24
	v_lshrrev_b32_e32 v13, 16, v16
	v_lshrrev_b32_e32 v30, 16, v17
	v_sub_nc_u32_e32 v65, v25, v64
	s_delay_alu instid0(VALU_DEP_4) | instskip(SKIP_4) | instid1(VALU_DEP_1)
	v_cmp_le_u32_e64 s7, v66, v34
	v_lshrrev_b32_e32 v25, 16, v18
	v_lshrrev_b32_e32 v24, 16, v19
	v_dual_mov_b32 v32, v18 :: v_dual_mov_b32 v33, v19
	v_cmp_le_u32_e64 s10, v65, v35
	s_or_b32 s7, s7, s10
	s_delay_alu instid0(SALU_CYCLE_1)
	s_and_saveexec_b32 s22, s7
	s_cbranch_execz .LBB928_90
; %bb.85:
	v_cmp_lt_u32_e64 s7, v66, v34
                                        ; implicit-def: $vgpr13
	s_delay_alu instid0(VALU_DEP_1)
	s_and_saveexec_b32 s10, s7
	s_cbranch_execz .LBB928_87
; %bb.86:
	v_lshl_add_u32 v4, v64, 1, v55
	ds_load_u16 v13, v4
.LBB928_87:
	s_or_b32 exec_lo, exec_lo, s10
	v_cmp_ge_u32_e64 s10, v65, v35
	s_mov_b32 s14, exec_lo
                                        ; implicit-def: $vgpr16
	v_cmpx_lt_u32_e64 v65, v35
	s_cbranch_execz .LBB928_89
; %bb.88:
	v_lshl_add_u32 v4, v65, 1, v10
	ds_load_u16 v16, v4
.LBB928_89:
	s_or_b32 exec_lo, exec_lo, s14
	s_waitcnt lgkmcnt(0)
	v_and_b32_e32 v4, v16, v54
	v_and_b32_e32 v5, v13, v54
	s_delay_alu instid0(VALU_DEP_1) | instskip(NEXT) | instid1(VALU_DEP_1)
	v_cmp_le_i16_e64 s11, v4, v5
	s_and_b32 s7, s7, s11
	s_delay_alu instid0(SALU_CYCLE_1) | instskip(NEXT) | instid1(SALU_CYCLE_1)
	s_or_b32 s7, s10, s7
	v_cndmask_b32_e64 v4, v65, v66, s7
	v_cndmask_b32_e64 v5, v35, v34, s7
	s_delay_alu instid0(VALU_DEP_2) | instskip(NEXT) | instid1(VALU_DEP_2)
	v_add_nc_u32_e32 v14, 1, v4
	v_add_nc_u32_e32 v5, -1, v5
	v_lshl_add_u32 v4, v4, 3, v8
	s_delay_alu instid0(VALU_DEP_2) | instskip(NEXT) | instid1(VALU_DEP_1)
	v_min_u32_e32 v5, v14, v5
	v_lshl_add_u32 v5, v5, 1, v10
	ds_load_u16 v5, v5
	s_waitcnt lgkmcnt(0)
	v_cndmask_b32_e64 v17, v5, v16, s7
	v_cndmask_b32_e64 v18, v13, v5, s7
	v_cndmask_b32_e64 v5, v66, v14, s7
	v_cndmask_b32_e64 v14, v14, v65, s7
	v_cndmask_b32_e64 v16, v16, v13, s7
	v_and_b32_e32 v15, v17, v54
	v_and_b32_e32 v19, v18, v54
	v_cmp_lt_u32_e64 s10, v5, v34
	v_cmp_ge_u32_e64 s14, v14, v35
	s_delay_alu instid0(VALU_DEP_3) | instskip(NEXT) | instid1(VALU_DEP_1)
	v_cmp_le_i16_e64 s11, v15, v19
	s_and_b32 s10, s10, s11
	s_delay_alu instid0(VALU_DEP_2) | instid1(SALU_CYCLE_1)
	s_or_b32 s10, s14, s10
	s_delay_alu instid0(SALU_CYCLE_1) | instskip(SKIP_2) | instid1(VALU_DEP_3)
	v_cndmask_b32_e64 v15, v14, v5, s10
	v_cndmask_b32_e64 v19, v35, v34, s10
	;; [unrolled: 1-line block ×3, first 2 shown]
	v_add_nc_u32_e32 v20, 1, v15
	s_delay_alu instid0(VALU_DEP_3) | instskip(SKIP_1) | instid1(VALU_DEP_4)
	v_add_nc_u32_e32 v19, -1, v19
	v_lshl_add_u32 v15, v15, 3, v8
	v_perm_b32 v16, v13, v16, 0x5040100
	s_delay_alu instid0(VALU_DEP_4) | instskip(NEXT) | instid1(VALU_DEP_4)
	v_cndmask_b32_e64 v5, v5, v20, s10
	v_min_u32_e32 v19, v20, v19
	v_cndmask_b32_e64 v14, v20, v14, s10
	s_delay_alu instid0(VALU_DEP_3) | instskip(NEXT) | instid1(VALU_DEP_3)
	v_cmp_lt_u32_e64 s11, v5, v34
	v_lshl_add_u32 v19, v19, 1, v10
	s_delay_alu instid0(VALU_DEP_3) | instskip(SKIP_4) | instid1(VALU_DEP_2)
	v_cmp_ge_u32_e64 s15, v14, v35
	ds_load_u16 v19, v19
	s_waitcnt lgkmcnt(0)
	v_cndmask_b32_e64 v24, v19, v17, s10
	v_cndmask_b32_e64 v19, v18, v19, s10
	v_and_b32_e32 v21, v24, v54
	s_delay_alu instid0(VALU_DEP_2) | instskip(NEXT) | instid1(VALU_DEP_1)
	v_and_b32_e32 v22, v19, v54
	v_cmp_le_i16_e64 s14, v21, v22
	s_delay_alu instid0(VALU_DEP_1) | instskip(NEXT) | instid1(SALU_CYCLE_1)
	s_and_b32 s11, s11, s14
	s_or_b32 s11, s15, s11
	s_delay_alu instid0(SALU_CYCLE_1) | instskip(SKIP_1) | instid1(VALU_DEP_2)
	v_cndmask_b32_e64 v20, v14, v5, s11
	v_cndmask_b32_e64 v21, v35, v34, s11
	v_add_nc_u32_e32 v22, 1, v20
	s_delay_alu instid0(VALU_DEP_2) | instskip(SKIP_1) | instid1(VALU_DEP_3)
	v_add_nc_u32_e32 v21, -1, v21
	v_lshl_add_u32 v20, v20, 3, v8
	v_cndmask_b32_e64 v5, v5, v22, s11
	s_delay_alu instid0(VALU_DEP_3) | instskip(SKIP_1) | instid1(VALU_DEP_3)
	v_min_u32_e32 v21, v22, v21
	v_cndmask_b32_e64 v14, v22, v14, s11
	v_cmp_lt_u32_e64 s14, v5, v34
	s_delay_alu instid0(VALU_DEP_3) | instskip(NEXT) | instid1(VALU_DEP_3)
	v_lshl_add_u32 v21, v21, 1, v10
	v_cmp_ge_u32_e64 s16, v14, v35
	ds_load_u16 v21, v21
	s_waitcnt lgkmcnt(0)
	v_cndmask_b32_e64 v30, v21, v24, s11
	v_cndmask_b32_e64 v55, v19, v21, s11
	s_delay_alu instid0(VALU_DEP_2) | instskip(NEXT) | instid1(VALU_DEP_2)
	v_and_b32_e32 v21, v30, v54
	v_and_b32_e32 v23, v55, v54
	s_delay_alu instid0(VALU_DEP_1) | instskip(NEXT) | instid1(VALU_DEP_1)
	v_cmp_le_i16_e64 s15, v21, v23
	s_and_b32 s14, s14, s15
	s_delay_alu instid0(SALU_CYCLE_1) | instskip(NEXT) | instid1(SALU_CYCLE_1)
	s_or_b32 s14, s16, s14
	v_cndmask_b32_e64 v21, v14, v5, s14
	v_cndmask_b32_e64 v22, v35, v34, s14
	s_delay_alu instid0(VALU_DEP_2) | instskip(NEXT) | instid1(VALU_DEP_2)
	v_add_nc_u32_e32 v23, 1, v21
	v_add_nc_u32_e32 v22, -1, v22
	s_delay_alu instid0(VALU_DEP_2) | instskip(NEXT) | instid1(VALU_DEP_2)
	v_cndmask_b32_e64 v5, v5, v23, s14
	v_min_u32_e32 v22, v23, v22
	v_cndmask_b32_e64 v14, v23, v14, s14
	s_delay_alu instid0(VALU_DEP_3) | instskip(NEXT) | instid1(VALU_DEP_3)
	v_cmp_lt_u32_e64 s15, v5, v34
	v_lshl_add_u32 v22, v22, 1, v10
	s_delay_alu instid0(VALU_DEP_3)
	v_cmp_ge_u32_e64 s17, v14, v35
	ds_load_u16 v22, v22
	s_waitcnt lgkmcnt(0)
	v_cndmask_b32_e64 v25, v22, v30, s14
	v_cndmask_b32_e64 v32, v55, v22, s14
	;; [unrolled: 1-line block ×3, first 2 shown]
	s_delay_alu instid0(VALU_DEP_3) | instskip(NEXT) | instid1(VALU_DEP_3)
	v_and_b32_e32 v22, v25, v54
	v_and_b32_e32 v26, v32, v54
	s_delay_alu instid0(VALU_DEP_1) | instskip(NEXT) | instid1(VALU_DEP_1)
	v_cmp_le_i16_e64 s16, v22, v26
	s_and_b32 s15, s15, s16
	s_delay_alu instid0(SALU_CYCLE_1) | instskip(NEXT) | instid1(SALU_CYCLE_1)
	s_or_b32 s15, s17, s15
	v_cndmask_b32_e64 v26, v14, v5, s15
	v_cndmask_b32_e64 v22, v35, v34, s15
	s_delay_alu instid0(VALU_DEP_2) | instskip(NEXT) | instid1(VALU_DEP_2)
	v_add_nc_u32_e32 v23, 1, v26
	v_add_nc_u32_e32 v22, -1, v22
	s_delay_alu instid0(VALU_DEP_2) | instskip(NEXT) | instid1(VALU_DEP_2)
	v_cndmask_b32_e64 v5, v5, v23, s15
	v_min_u32_e32 v22, v23, v22
	v_cndmask_b32_e64 v14, v23, v14, s15
	s_delay_alu instid0(VALU_DEP_3) | instskip(NEXT) | instid1(VALU_DEP_3)
	v_cmp_lt_u32_e64 s16, v5, v34
	v_lshl_add_u32 v22, v22, 1, v10
	s_delay_alu instid0(VALU_DEP_3)
	v_cmp_ge_u32_e64 s18, v14, v35
	ds_load_u16 v22, v22
	s_waitcnt lgkmcnt(0)
	v_cndmask_b32_e64 v64, v22, v25, s15
	v_cndmask_b32_e64 v65, v32, v22, s15
	;; [unrolled: 1-line block ×3, first 2 shown]
	s_delay_alu instid0(VALU_DEP_3) | instskip(NEXT) | instid1(VALU_DEP_3)
	v_and_b32_e32 v22, v64, v54
	v_and_b32_e32 v27, v65, v54
	s_delay_alu instid0(VALU_DEP_1) | instskip(NEXT) | instid1(VALU_DEP_1)
	v_cmp_le_i16_e64 s17, v22, v27
	s_and_b32 s16, s16, s17
	s_delay_alu instid0(SALU_CYCLE_1) | instskip(NEXT) | instid1(SALU_CYCLE_1)
	s_or_b32 s16, s18, s16
	v_cndmask_b32_e64 v27, v14, v5, s16
	v_cndmask_b32_e64 v22, v35, v34, s16
	;; [unrolled: 1-line block ×3, first 2 shown]
	s_delay_alu instid0(VALU_DEP_3) | instskip(NEXT) | instid1(VALU_DEP_3)
	v_add_nc_u32_e32 v23, 1, v27
	v_add_nc_u32_e32 v22, -1, v22
	s_delay_alu instid0(VALU_DEP_3) | instskip(NEXT) | instid1(VALU_DEP_3)
	v_perm_b32 v18, v25, v32, 0x5040100
	v_cndmask_b32_e64 v5, v5, v23, s16
	s_delay_alu instid0(VALU_DEP_3) | instskip(SKIP_1) | instid1(VALU_DEP_3)
	v_min_u32_e32 v22, v23, v22
	v_cndmask_b32_e64 v14, v23, v14, s16
	v_cmp_lt_u32_e64 s17, v5, v34
	s_delay_alu instid0(VALU_DEP_3) | instskip(NEXT) | instid1(VALU_DEP_3)
	v_lshl_add_u32 v22, v22, 1, v10
	v_cmp_ge_u32_e64 s19, v14, v35
	ds_load_u16 v22, v22
	s_waitcnt lgkmcnt(0)
	v_cndmask_b32_e64 v33, v22, v64, s16
	v_cndmask_b32_e64 v66, v65, v22, s16
	s_delay_alu instid0(VALU_DEP_2) | instskip(NEXT) | instid1(VALU_DEP_2)
	v_and_b32_e32 v22, v33, v54
	v_and_b32_e32 v31, v66, v54
	s_delay_alu instid0(VALU_DEP_1) | instskip(NEXT) | instid1(VALU_DEP_1)
	v_cmp_le_i16_e64 s18, v22, v31
	s_and_b32 s17, s17, s18
	s_delay_alu instid0(SALU_CYCLE_1) | instskip(NEXT) | instid1(SALU_CYCLE_1)
	s_or_b32 s17, s19, s17
	v_cndmask_b32_e64 v31, v14, v5, s17
	v_cndmask_b32_e64 v22, v35, v34, s17
	s_delay_alu instid0(VALU_DEP_2) | instskip(NEXT) | instid1(VALU_DEP_2)
	v_add_nc_u32_e32 v23, 1, v31
	v_add_nc_u32_e32 v22, -1, v22
	v_lshl_add_u32 v31, v31, 3, v8
	s_delay_alu instid0(VALU_DEP_3) | instskip(NEXT) | instid1(VALU_DEP_3)
	v_cndmask_b32_e64 v38, v5, v23, s17
	v_min_u32_e32 v22, v23, v22
	v_cndmask_b32_e64 v14, v23, v14, s17
	s_delay_alu instid0(VALU_DEP_3) | instskip(NEXT) | instid1(VALU_DEP_3)
	v_cmp_lt_u32_e64 s18, v38, v34
	v_lshl_add_u32 v22, v22, 1, v10
	s_delay_alu instid0(VALU_DEP_3)
	v_cmp_ge_u32_e64 s20, v14, v35
	ds_load_u16 v22, v22
	s_waitcnt lgkmcnt(0)
	v_cndmask_b32_e64 v67, v22, v33, s17
	v_cndmask_b32_e64 v68, v66, v22, s17
	;; [unrolled: 1-line block ×3, first 2 shown]
	s_delay_alu instid0(VALU_DEP_3) | instskip(NEXT) | instid1(VALU_DEP_3)
	v_and_b32_e32 v5, v67, v54
	v_and_b32_e32 v22, v68, v54
	s_delay_alu instid0(VALU_DEP_1)
	v_cmp_le_i16_e64 s19, v5, v22
	ds_load_b64 v[4:5], v4 offset:4096
	ds_load_b64 v[22:23], v15 offset:4096
	v_lshl_add_u32 v15, v21, 3, v8
	ds_load_b64 v[36:37], v20 offset:4096
	v_lshl_add_u32 v20, v26, 3, v8
	s_and_b32 s18, s18, s19
	v_lshl_add_u32 v21, v27, 3, v8
	s_or_b32 s18, s20, s18
	s_delay_alu instid0(SALU_CYCLE_1) | instskip(NEXT) | instid1(VALU_DEP_1)
	v_cndmask_b32_e64 v14, v14, v38, s18
	v_lshl_add_u32 v14, v14, 3, v8
	ds_load_b64 v[26:27], v15 offset:4096
	ds_load_b64 v[48:49], v20 offset:4096
	;; [unrolled: 1-line block ×5, first 2 shown]
	v_cndmask_b32_e64 v31, v24, v19, s11
	v_cndmask_b32_e64 v24, v67, v68, s18
	s_delay_alu instid0(VALU_DEP_2) | instskip(NEXT) | instid1(VALU_DEP_2)
	v_perm_b32 v17, v30, v31, 0x5040100
	v_perm_b32 v19, v24, v33, 0x5040100
.LBB928_90:
	s_or_b32 exec_lo, exec_lo, s22
	v_and_b32_e32 v34, 0xe0, v53
	v_and_b32_e32 v64, 24, v53
	v_perm_b32 v69, v24, v33, 0x5040100
	v_perm_b32 v68, v25, v32, 0x5040100
	;; [unrolled: 1-line block ×3, first 2 shown]
	v_or_b32_e32 v35, 16, v34
	v_min_u32_e32 v66, v11, v64
	v_perm_b32 v70, v13, v16, 0x5040100
	s_mov_b32 s10, exec_lo
	s_delay_alu instid0(VALU_DEP_3)
	v_min_u32_e32 v35, v11, v35
	; wave barrier
	s_waitcnt lgkmcnt(4)
	ds_store_2addr_b64 v12, v[36:37], v[26:27] offset0:2 offset1:3
	s_waitcnt lgkmcnt(3)
	ds_store_2addr_b64 v12, v[48:49], v[20:21] offset0:4 offset1:5
	ds_store_2addr_b64 v12, v[4:5], v[22:23] offset1:1
	ds_store_2addr_b64 v9, v[70:71], v[68:69] offset1:1
	s_waitcnt lgkmcnt(4)
	ds_store_2addr_b64 v12, v[38:39], v[14:15] offset0:6 offset1:7
	v_add_nc_u32_e32 v55, 16, v35
	v_sub_nc_u32_e32 v64, v35, v34
	; wave barrier
	s_delay_alu instid0(VALU_DEP_2) | instskip(NEXT) | instid1(VALU_DEP_2)
	v_min_u32_e32 v55, v11, v55
	v_min_u32_e32 v67, v66, v64
	s_delay_alu instid0(VALU_DEP_2) | instskip(NEXT) | instid1(VALU_DEP_1)
	v_sub_nc_u32_e32 v65, v55, v35
	v_sub_nc_u32_e64 v64, v66, v65 clamp
	v_lshl_add_u32 v65, v34, 1, v10
	s_delay_alu instid0(VALU_DEP_2)
	v_cmpx_lt_u32_e64 v64, v67
	s_cbranch_execz .LBB928_94
; %bb.91:
	v_lshlrev_b32_e32 v68, 1, v35
	v_lshlrev_b32_e32 v69, 1, v66
	s_mov_b32 s11, 0
	s_delay_alu instid0(VALU_DEP_1)
	v_add3_u32 v68, v10, v68, v69
	.p2align	6
.LBB928_92:                             ; =>This Inner Loop Header: Depth=1
	v_add_nc_u32_e32 v69, v67, v64
	s_delay_alu instid0(VALU_DEP_1) | instskip(SKIP_1) | instid1(VALU_DEP_2)
	v_lshrrev_b32_e32 v70, 1, v69
	v_and_b32_e32 v69, -2, v69
	v_not_b32_e32 v71, v70
	s_delay_alu instid0(VALU_DEP_2) | instskip(SKIP_1) | instid1(VALU_DEP_3)
	v_add_nc_u32_e32 v69, v65, v69
	v_add_nc_u32_e32 v80, 1, v70
	v_lshl_add_u32 v71, v71, 1, v68
	ds_load_u16 v69, v69
	ds_load_u16 v71, v71
	s_waitcnt lgkmcnt(1)
	v_and_b32_e32 v69, v69, v54
	s_waitcnt lgkmcnt(0)
	v_and_b32_e32 v71, v71, v54
	s_delay_alu instid0(VALU_DEP_1) | instskip(NEXT) | instid1(VALU_DEP_1)
	v_cmp_gt_i16_e64 s7, v71, v69
	v_cndmask_b32_e64 v67, v67, v70, s7
	v_cndmask_b32_e64 v64, v80, v64, s7
	s_delay_alu instid0(VALU_DEP_1) | instskip(NEXT) | instid1(VALU_DEP_1)
	v_cmp_ge_u32_e64 s7, v64, v67
	s_or_b32 s11, s7, s11
	s_delay_alu instid0(SALU_CYCLE_1)
	s_and_not1_b32 exec_lo, exec_lo, s11
	s_cbranch_execnz .LBB928_92
; %bb.93:
	s_or_b32 exec_lo, exec_lo, s11
.LBB928_94:
	s_delay_alu instid0(SALU_CYCLE_1) | instskip(SKIP_3) | instid1(VALU_DEP_3)
	s_or_b32 exec_lo, exec_lo, s10
	v_add_nc_u32_e32 v66, v35, v66
	v_add_nc_u32_e32 v67, v64, v34
	v_mov_b32_e32 v34, v16
	v_sub_nc_u32_e32 v66, v66, v64
	s_delay_alu instid0(VALU_DEP_3) | instskip(NEXT) | instid1(VALU_DEP_2)
	v_cmp_le_u32_e64 s7, v67, v35
	v_cmp_le_u32_e64 s10, v66, v55
	s_delay_alu instid0(VALU_DEP_1) | instskip(NEXT) | instid1(SALU_CYCLE_1)
	s_or_b32 s7, s7, s10
	s_and_saveexec_b32 s22, s7
	s_cbranch_execz .LBB928_100
; %bb.95:
	v_cmp_lt_u32_e64 s7, v67, v35
                                        ; implicit-def: $vgpr13
	s_delay_alu instid0(VALU_DEP_1)
	s_and_saveexec_b32 s10, s7
	s_cbranch_execz .LBB928_97
; %bb.96:
	v_lshl_add_u32 v4, v64, 1, v65
	ds_load_u16 v13, v4
.LBB928_97:
	s_or_b32 exec_lo, exec_lo, s10
	v_cmp_ge_u32_e64 s10, v66, v55
	s_mov_b32 s14, exec_lo
                                        ; implicit-def: $vgpr16
	v_cmpx_lt_u32_e64 v66, v55
	s_cbranch_execz .LBB928_99
; %bb.98:
	v_lshl_add_u32 v4, v66, 1, v10
	ds_load_u16 v16, v4
.LBB928_99:
	s_or_b32 exec_lo, exec_lo, s14
	s_waitcnt lgkmcnt(0)
	v_and_b32_e32 v4, v16, v54
	v_and_b32_e32 v5, v13, v54
	s_delay_alu instid0(VALU_DEP_1) | instskip(NEXT) | instid1(VALU_DEP_1)
	v_cmp_le_i16_e64 s11, v4, v5
	s_and_b32 s7, s7, s11
	s_delay_alu instid0(SALU_CYCLE_1) | instskip(NEXT) | instid1(SALU_CYCLE_1)
	s_or_b32 s7, s10, s7
	v_cndmask_b32_e64 v4, v66, v67, s7
	v_cndmask_b32_e64 v5, v55, v35, s7
	s_delay_alu instid0(VALU_DEP_2) | instskip(NEXT) | instid1(VALU_DEP_2)
	v_add_nc_u32_e32 v14, 1, v4
	v_add_nc_u32_e32 v5, -1, v5
	v_lshl_add_u32 v4, v4, 3, v8
	s_delay_alu instid0(VALU_DEP_2) | instskip(NEXT) | instid1(VALU_DEP_1)
	v_min_u32_e32 v5, v14, v5
	v_lshl_add_u32 v5, v5, 1, v10
	ds_load_u16 v5, v5
	s_waitcnt lgkmcnt(0)
	v_cndmask_b32_e64 v17, v5, v16, s7
	v_cndmask_b32_e64 v18, v13, v5, s7
	;; [unrolled: 1-line block ×4, first 2 shown]
	s_delay_alu instid0(VALU_DEP_4) | instskip(NEXT) | instid1(VALU_DEP_4)
	v_and_b32_e32 v15, v17, v54
	v_and_b32_e32 v19, v18, v54
	s_delay_alu instid0(VALU_DEP_4) | instskip(NEXT) | instid1(VALU_DEP_4)
	v_cmp_lt_u32_e64 s10, v5, v35
	v_cmp_ge_u32_e64 s14, v14, v55
	s_delay_alu instid0(VALU_DEP_3) | instskip(NEXT) | instid1(VALU_DEP_1)
	v_cmp_le_i16_e64 s11, v15, v19
	s_and_b32 s10, s10, s11
	s_delay_alu instid0(VALU_DEP_2) | instid1(SALU_CYCLE_1)
	s_or_b32 s10, s14, s10
	s_delay_alu instid0(SALU_CYCLE_1) | instskip(SKIP_1) | instid1(VALU_DEP_2)
	v_cndmask_b32_e64 v15, v14, v5, s10
	v_cndmask_b32_e64 v19, v55, v35, s10
	v_add_nc_u32_e32 v20, 1, v15
	s_delay_alu instid0(VALU_DEP_2) | instskip(SKIP_1) | instid1(VALU_DEP_3)
	v_add_nc_u32_e32 v19, -1, v19
	v_lshl_add_u32 v15, v15, 3, v8
	v_cndmask_b32_e64 v5, v5, v20, s10
	s_delay_alu instid0(VALU_DEP_3) | instskip(SKIP_1) | instid1(VALU_DEP_3)
	v_min_u32_e32 v19, v20, v19
	v_cndmask_b32_e64 v14, v20, v14, s10
	v_cmp_lt_u32_e64 s11, v5, v35
	s_delay_alu instid0(VALU_DEP_3) | instskip(NEXT) | instid1(VALU_DEP_3)
	v_lshl_add_u32 v19, v19, 1, v10
	v_cmp_ge_u32_e64 s15, v14, v55
	ds_load_u16 v19, v19
	s_waitcnt lgkmcnt(0)
	v_cndmask_b32_e64 v24, v19, v17, s10
	v_cndmask_b32_e64 v19, v18, v19, s10
	s_delay_alu instid0(VALU_DEP_2) | instskip(NEXT) | instid1(VALU_DEP_2)
	v_and_b32_e32 v21, v24, v54
	v_and_b32_e32 v22, v19, v54
	s_delay_alu instid0(VALU_DEP_1) | instskip(NEXT) | instid1(VALU_DEP_1)
	v_cmp_le_i16_e64 s14, v21, v22
	s_and_b32 s11, s11, s14
	s_delay_alu instid0(SALU_CYCLE_1) | instskip(NEXT) | instid1(SALU_CYCLE_1)
	s_or_b32 s11, s15, s11
	v_cndmask_b32_e64 v20, v14, v5, s11
	v_cndmask_b32_e64 v21, v55, v35, s11
	s_delay_alu instid0(VALU_DEP_2) | instskip(NEXT) | instid1(VALU_DEP_2)
	v_add_nc_u32_e32 v22, 1, v20
	v_add_nc_u32_e32 v21, -1, v21
	v_lshl_add_u32 v20, v20, 3, v8
	s_delay_alu instid0(VALU_DEP_3) | instskip(NEXT) | instid1(VALU_DEP_3)
	v_cndmask_b32_e64 v5, v5, v22, s11
	v_min_u32_e32 v21, v22, v21
	v_cndmask_b32_e64 v14, v22, v14, s11
	s_delay_alu instid0(VALU_DEP_3) | instskip(NEXT) | instid1(VALU_DEP_3)
	v_cmp_lt_u32_e64 s14, v5, v35
	v_lshl_add_u32 v21, v21, 1, v10
	s_delay_alu instid0(VALU_DEP_3) | instskip(SKIP_4) | instid1(VALU_DEP_2)
	v_cmp_ge_u32_e64 s16, v14, v55
	ds_load_u16 v21, v21
	s_waitcnt lgkmcnt(0)
	v_cndmask_b32_e64 v30, v21, v24, s11
	v_cndmask_b32_e64 v64, v19, v21, s11
	v_and_b32_e32 v21, v30, v54
	s_delay_alu instid0(VALU_DEP_2) | instskip(NEXT) | instid1(VALU_DEP_1)
	v_and_b32_e32 v23, v64, v54
	v_cmp_le_i16_e64 s15, v21, v23
	s_delay_alu instid0(VALU_DEP_1) | instskip(NEXT) | instid1(SALU_CYCLE_1)
	s_and_b32 s14, s14, s15
	s_or_b32 s14, s16, s14
	s_delay_alu instid0(SALU_CYCLE_1) | instskip(SKIP_1) | instid1(VALU_DEP_2)
	v_cndmask_b32_e64 v21, v14, v5, s14
	v_cndmask_b32_e64 v22, v55, v35, s14
	v_add_nc_u32_e32 v23, 1, v21
	s_delay_alu instid0(VALU_DEP_2) | instskip(NEXT) | instid1(VALU_DEP_2)
	v_add_nc_u32_e32 v22, -1, v22
	v_cndmask_b32_e64 v5, v5, v23, s14
	s_delay_alu instid0(VALU_DEP_2) | instskip(SKIP_1) | instid1(VALU_DEP_3)
	v_min_u32_e32 v22, v23, v22
	v_cndmask_b32_e64 v14, v23, v14, s14
	v_cmp_lt_u32_e64 s15, v5, v35
	s_delay_alu instid0(VALU_DEP_3) | instskip(NEXT) | instid1(VALU_DEP_3)
	v_lshl_add_u32 v22, v22, 1, v10
	v_cmp_ge_u32_e64 s17, v14, v55
	ds_load_u16 v22, v22
	s_waitcnt lgkmcnt(0)
	v_cndmask_b32_e64 v25, v22, v30, s14
	v_cndmask_b32_e64 v32, v64, v22, s14
	;; [unrolled: 1-line block ×3, first 2 shown]
	s_delay_alu instid0(VALU_DEP_3) | instskip(NEXT) | instid1(VALU_DEP_3)
	v_and_b32_e32 v22, v25, v54
	v_and_b32_e32 v26, v32, v54
	s_delay_alu instid0(VALU_DEP_1) | instskip(NEXT) | instid1(VALU_DEP_1)
	v_cmp_le_i16_e64 s16, v22, v26
	s_and_b32 s15, s15, s16
	s_delay_alu instid0(SALU_CYCLE_1) | instskip(NEXT) | instid1(SALU_CYCLE_1)
	s_or_b32 s15, s17, s15
	v_cndmask_b32_e64 v26, v14, v5, s15
	v_cndmask_b32_e64 v22, v55, v35, s15
	s_delay_alu instid0(VALU_DEP_2) | instskip(NEXT) | instid1(VALU_DEP_2)
	v_add_nc_u32_e32 v23, 1, v26
	v_add_nc_u32_e32 v22, -1, v22
	s_delay_alu instid0(VALU_DEP_2) | instskip(NEXT) | instid1(VALU_DEP_2)
	v_cndmask_b32_e64 v5, v5, v23, s15
	v_min_u32_e32 v22, v23, v22
	v_cndmask_b32_e64 v14, v23, v14, s15
	s_delay_alu instid0(VALU_DEP_3) | instskip(NEXT) | instid1(VALU_DEP_3)
	v_cmp_lt_u32_e64 s16, v5, v35
	v_lshl_add_u32 v22, v22, 1, v10
	s_delay_alu instid0(VALU_DEP_3)
	v_cmp_ge_u32_e64 s18, v14, v55
	ds_load_u16 v22, v22
	s_waitcnt lgkmcnt(0)
	v_cndmask_b32_e64 v65, v22, v25, s15
	v_cndmask_b32_e64 v66, v32, v22, s15
	;; [unrolled: 1-line block ×3, first 2 shown]
	s_delay_alu instid0(VALU_DEP_3) | instskip(NEXT) | instid1(VALU_DEP_3)
	v_and_b32_e32 v22, v65, v54
	v_and_b32_e32 v27, v66, v54
	s_delay_alu instid0(VALU_DEP_1) | instskip(NEXT) | instid1(VALU_DEP_1)
	v_cmp_le_i16_e64 s17, v22, v27
	s_and_b32 s16, s16, s17
	s_delay_alu instid0(SALU_CYCLE_1) | instskip(NEXT) | instid1(SALU_CYCLE_1)
	s_or_b32 s16, s18, s16
	v_cndmask_b32_e64 v27, v14, v5, s16
	v_cndmask_b32_e64 v22, v55, v35, s16
	;; [unrolled: 1-line block ×3, first 2 shown]
	s_delay_alu instid0(VALU_DEP_3) | instskip(NEXT) | instid1(VALU_DEP_3)
	v_add_nc_u32_e32 v23, 1, v27
	v_add_nc_u32_e32 v22, -1, v22
	s_delay_alu instid0(VALU_DEP_2) | instskip(NEXT) | instid1(VALU_DEP_2)
	v_cndmask_b32_e64 v5, v5, v23, s16
	v_min_u32_e32 v22, v23, v22
	v_cndmask_b32_e64 v14, v23, v14, s16
	s_delay_alu instid0(VALU_DEP_3) | instskip(NEXT) | instid1(VALU_DEP_3)
	v_cmp_lt_u32_e64 s17, v5, v35
	v_lshl_add_u32 v22, v22, 1, v10
	s_delay_alu instid0(VALU_DEP_3) | instskip(SKIP_4) | instid1(VALU_DEP_2)
	v_cmp_ge_u32_e64 s19, v14, v55
	ds_load_u16 v22, v22
	s_waitcnt lgkmcnt(0)
	v_cndmask_b32_e64 v33, v22, v65, s16
	v_cndmask_b32_e64 v67, v66, v22, s16
	v_and_b32_e32 v22, v33, v54
	s_delay_alu instid0(VALU_DEP_2) | instskip(NEXT) | instid1(VALU_DEP_1)
	v_and_b32_e32 v31, v67, v54
	v_cmp_le_i16_e64 s18, v22, v31
	s_delay_alu instid0(VALU_DEP_1) | instskip(NEXT) | instid1(SALU_CYCLE_1)
	s_and_b32 s17, s17, s18
	s_or_b32 s17, s19, s17
	s_delay_alu instid0(SALU_CYCLE_1) | instskip(SKIP_1) | instid1(VALU_DEP_2)
	v_cndmask_b32_e64 v31, v14, v5, s17
	v_cndmask_b32_e64 v22, v55, v35, s17
	v_add_nc_u32_e32 v23, 1, v31
	s_delay_alu instid0(VALU_DEP_2) | instskip(SKIP_1) | instid1(VALU_DEP_3)
	v_add_nc_u32_e32 v22, -1, v22
	v_lshl_add_u32 v31, v31, 3, v8
	v_cndmask_b32_e64 v34, v5, v23, s17
	s_delay_alu instid0(VALU_DEP_3) | instskip(SKIP_1) | instid1(VALU_DEP_3)
	v_min_u32_e32 v22, v23, v22
	v_cndmask_b32_e64 v14, v23, v14, s17
	v_cmp_lt_u32_e64 s18, v34, v35
	s_delay_alu instid0(VALU_DEP_3) | instskip(NEXT) | instid1(VALU_DEP_3)
	v_lshl_add_u32 v22, v22, 1, v10
	v_cmp_ge_u32_e64 s20, v14, v55
	ds_load_u16 v22, v22
	s_waitcnt lgkmcnt(0)
	v_cndmask_b32_e64 v68, v22, v33, s17
	v_cndmask_b32_e64 v69, v67, v22, s17
	;; [unrolled: 1-line block ×3, first 2 shown]
	s_delay_alu instid0(VALU_DEP_3) | instskip(NEXT) | instid1(VALU_DEP_3)
	v_and_b32_e32 v5, v68, v54
	v_and_b32_e32 v22, v69, v54
	s_delay_alu instid0(VALU_DEP_1)
	v_cmp_le_i16_e64 s19, v5, v22
	ds_load_b64 v[4:5], v4 offset:4096
	ds_load_b64 v[22:23], v15 offset:4096
	v_lshl_add_u32 v15, v21, 3, v8
	ds_load_b64 v[36:37], v20 offset:4096
	v_lshl_add_u32 v20, v26, 3, v8
	s_and_b32 s18, s18, s19
	v_lshl_add_u32 v21, v27, 3, v8
	s_or_b32 s18, s20, s18
	s_delay_alu instid0(SALU_CYCLE_1) | instskip(SKIP_3) | instid1(VALU_DEP_4)
	v_cndmask_b32_e64 v14, v14, v34, s18
	v_cndmask_b32_e64 v34, v16, v13, s7
	;; [unrolled: 1-line block ×3, first 2 shown]
	v_perm_b32 v18, v25, v32, 0x5040100
	v_lshl_add_u32 v14, v14, 3, v8
	ds_load_b64 v[26:27], v15 offset:4096
	ds_load_b64 v[48:49], v20 offset:4096
	;; [unrolled: 1-line block ×5, first 2 shown]
	v_cndmask_b32_e64 v31, v24, v19, s11
	v_cndmask_b32_e64 v24, v68, v69, s18
	v_perm_b32 v16, v13, v34, 0x5040100
	s_delay_alu instid0(VALU_DEP_3) | instskip(NEXT) | instid1(VALU_DEP_3)
	v_perm_b32 v17, v30, v31, 0x5040100
	v_perm_b32 v19, v24, v33, 0x5040100
.LBB928_100:
	s_or_b32 exec_lo, exec_lo, s22
	v_and_b32_e32 v66, 0xc0, v53
	v_and_b32_e32 v64, 56, v53
	v_perm_b32 v70, v24, v33, 0x5040100
	v_perm_b32 v69, v25, v32, 0x5040100
	;; [unrolled: 1-line block ×3, first 2 shown]
	v_or_b32_e32 v35, 32, v66
	v_min_u32_e32 v67, v11, v64
	v_perm_b32 v80, v13, v34, 0x5040100
	s_mov_b32 s10, exec_lo
	s_delay_alu instid0(VALU_DEP_3)
	v_min_u32_e32 v35, v11, v35
	; wave barrier
	s_waitcnt lgkmcnt(4)
	ds_store_2addr_b64 v12, v[36:37], v[26:27] offset0:2 offset1:3
	s_waitcnt lgkmcnt(3)
	ds_store_2addr_b64 v12, v[48:49], v[20:21] offset0:4 offset1:5
	ds_store_2addr_b64 v12, v[4:5], v[22:23] offset1:1
	ds_store_2addr_b64 v9, v[80:81], v[69:70] offset1:1
	s_waitcnt lgkmcnt(4)
	ds_store_2addr_b64 v12, v[38:39], v[14:15] offset0:6 offset1:7
	v_add_nc_u32_e32 v55, 32, v35
	v_sub_nc_u32_e32 v64, v35, v66
	; wave barrier
	s_delay_alu instid0(VALU_DEP_2) | instskip(NEXT) | instid1(VALU_DEP_2)
	v_min_u32_e32 v55, v11, v55
	v_min_u32_e32 v68, v67, v64
	s_delay_alu instid0(VALU_DEP_2) | instskip(NEXT) | instid1(VALU_DEP_1)
	v_sub_nc_u32_e32 v65, v55, v35
	v_sub_nc_u32_e64 v64, v67, v65 clamp
	v_lshl_add_u32 v65, v66, 1, v10
	s_delay_alu instid0(VALU_DEP_2)
	v_cmpx_lt_u32_e64 v64, v68
	s_cbranch_execz .LBB928_104
; %bb.101:
	v_lshlrev_b32_e32 v69, 1, v35
	v_lshlrev_b32_e32 v70, 1, v67
	s_mov_b32 s11, 0
	s_delay_alu instid0(VALU_DEP_1)
	v_add3_u32 v69, v10, v69, v70
	.p2align	6
.LBB928_102:                            ; =>This Inner Loop Header: Depth=1
	v_add_nc_u32_e32 v70, v68, v64
	s_delay_alu instid0(VALU_DEP_1) | instskip(SKIP_1) | instid1(VALU_DEP_2)
	v_lshrrev_b32_e32 v71, 1, v70
	v_and_b32_e32 v70, -2, v70
	v_not_b32_e32 v80, v71
	s_delay_alu instid0(VALU_DEP_2) | instskip(SKIP_1) | instid1(VALU_DEP_3)
	v_add_nc_u32_e32 v70, v65, v70
	v_add_nc_u32_e32 v81, 1, v71
	v_lshl_add_u32 v80, v80, 1, v69
	ds_load_u16 v70, v70
	ds_load_u16 v80, v80
	s_waitcnt lgkmcnt(1)
	v_and_b32_e32 v70, v70, v54
	s_waitcnt lgkmcnt(0)
	v_and_b32_e32 v80, v80, v54
	s_delay_alu instid0(VALU_DEP_1) | instskip(NEXT) | instid1(VALU_DEP_1)
	v_cmp_gt_i16_e64 s7, v80, v70
	v_cndmask_b32_e64 v68, v68, v71, s7
	v_cndmask_b32_e64 v64, v81, v64, s7
	s_delay_alu instid0(VALU_DEP_1) | instskip(NEXT) | instid1(VALU_DEP_1)
	v_cmp_ge_u32_e64 s7, v64, v68
	s_or_b32 s11, s7, s11
	s_delay_alu instid0(SALU_CYCLE_1)
	s_and_not1_b32 exec_lo, exec_lo, s11
	s_cbranch_execnz .LBB928_102
; %bb.103:
	s_or_b32 exec_lo, exec_lo, s11
.LBB928_104:
	s_delay_alu instid0(SALU_CYCLE_1) | instskip(SKIP_2) | instid1(VALU_DEP_2)
	s_or_b32 exec_lo, exec_lo, s10
	v_add_nc_u32_e32 v68, v35, v67
	v_add_nc_u32_e32 v67, v64, v66
	v_sub_nc_u32_e32 v66, v68, v64
	s_delay_alu instid0(VALU_DEP_2) | instskip(NEXT) | instid1(VALU_DEP_2)
	v_cmp_le_u32_e64 s7, v67, v35
	v_cmp_le_u32_e64 s10, v66, v55
	s_delay_alu instid0(VALU_DEP_1) | instskip(NEXT) | instid1(SALU_CYCLE_1)
	s_or_b32 s7, s7, s10
	s_and_saveexec_b32 s22, s7
	s_cbranch_execz .LBB928_110
; %bb.105:
	v_cmp_lt_u32_e64 s7, v67, v35
                                        ; implicit-def: $vgpr13
	s_delay_alu instid0(VALU_DEP_1)
	s_and_saveexec_b32 s10, s7
	s_cbranch_execz .LBB928_107
; %bb.106:
	v_lshl_add_u32 v4, v64, 1, v65
	ds_load_u16 v13, v4
.LBB928_107:
	s_or_b32 exec_lo, exec_lo, s10
	v_cmp_ge_u32_e64 s10, v66, v55
	s_mov_b32 s14, exec_lo
                                        ; implicit-def: $vgpr16
	v_cmpx_lt_u32_e64 v66, v55
	s_cbranch_execz .LBB928_109
; %bb.108:
	v_lshl_add_u32 v4, v66, 1, v10
	ds_load_u16 v16, v4
.LBB928_109:
	s_or_b32 exec_lo, exec_lo, s14
	s_waitcnt lgkmcnt(0)
	v_and_b32_e32 v4, v16, v54
	v_and_b32_e32 v5, v13, v54
	s_delay_alu instid0(VALU_DEP_1) | instskip(NEXT) | instid1(VALU_DEP_1)
	v_cmp_le_i16_e64 s11, v4, v5
	s_and_b32 s7, s7, s11
	s_delay_alu instid0(SALU_CYCLE_1) | instskip(NEXT) | instid1(SALU_CYCLE_1)
	s_or_b32 s7, s10, s7
	v_cndmask_b32_e64 v4, v66, v67, s7
	v_cndmask_b32_e64 v5, v55, v35, s7
	s_delay_alu instid0(VALU_DEP_2) | instskip(NEXT) | instid1(VALU_DEP_2)
	v_add_nc_u32_e32 v14, 1, v4
	v_add_nc_u32_e32 v5, -1, v5
	v_lshl_add_u32 v4, v4, 3, v8
	s_delay_alu instid0(VALU_DEP_2) | instskip(NEXT) | instid1(VALU_DEP_1)
	v_min_u32_e32 v5, v14, v5
	v_lshl_add_u32 v5, v5, 1, v10
	ds_load_u16 v5, v5
	s_waitcnt lgkmcnt(0)
	v_cndmask_b32_e64 v17, v5, v16, s7
	v_cndmask_b32_e64 v18, v13, v5, s7
	;; [unrolled: 1-line block ×4, first 2 shown]
	s_delay_alu instid0(VALU_DEP_4) | instskip(NEXT) | instid1(VALU_DEP_4)
	v_and_b32_e32 v15, v17, v54
	v_and_b32_e32 v19, v18, v54
	s_delay_alu instid0(VALU_DEP_4) | instskip(NEXT) | instid1(VALU_DEP_4)
	v_cmp_lt_u32_e64 s10, v5, v35
	v_cmp_ge_u32_e64 s14, v14, v55
	s_delay_alu instid0(VALU_DEP_3) | instskip(NEXT) | instid1(VALU_DEP_1)
	v_cmp_le_i16_e64 s11, v15, v19
	s_and_b32 s10, s10, s11
	s_delay_alu instid0(VALU_DEP_2) | instid1(SALU_CYCLE_1)
	s_or_b32 s10, s14, s10
	s_delay_alu instid0(SALU_CYCLE_1) | instskip(SKIP_1) | instid1(VALU_DEP_2)
	v_cndmask_b32_e64 v15, v14, v5, s10
	v_cndmask_b32_e64 v19, v55, v35, s10
	v_add_nc_u32_e32 v20, 1, v15
	s_delay_alu instid0(VALU_DEP_2) | instskip(SKIP_1) | instid1(VALU_DEP_3)
	v_add_nc_u32_e32 v19, -1, v19
	v_lshl_add_u32 v15, v15, 3, v8
	v_cndmask_b32_e64 v5, v5, v20, s10
	s_delay_alu instid0(VALU_DEP_3) | instskip(SKIP_1) | instid1(VALU_DEP_3)
	v_min_u32_e32 v19, v20, v19
	v_cndmask_b32_e64 v14, v20, v14, s10
	v_cmp_lt_u32_e64 s11, v5, v35
	s_delay_alu instid0(VALU_DEP_3) | instskip(NEXT) | instid1(VALU_DEP_3)
	v_lshl_add_u32 v19, v19, 1, v10
	v_cmp_ge_u32_e64 s15, v14, v55
	ds_load_u16 v19, v19
	s_waitcnt lgkmcnt(0)
	v_cndmask_b32_e64 v24, v19, v17, s10
	v_cndmask_b32_e64 v19, v18, v19, s10
	s_delay_alu instid0(VALU_DEP_2) | instskip(NEXT) | instid1(VALU_DEP_2)
	v_and_b32_e32 v21, v24, v54
	v_and_b32_e32 v22, v19, v54
	s_delay_alu instid0(VALU_DEP_1) | instskip(NEXT) | instid1(VALU_DEP_1)
	v_cmp_le_i16_e64 s14, v21, v22
	s_and_b32 s11, s11, s14
	s_delay_alu instid0(SALU_CYCLE_1) | instskip(NEXT) | instid1(SALU_CYCLE_1)
	s_or_b32 s11, s15, s11
	v_cndmask_b32_e64 v20, v14, v5, s11
	v_cndmask_b32_e64 v21, v55, v35, s11
	s_delay_alu instid0(VALU_DEP_2) | instskip(NEXT) | instid1(VALU_DEP_2)
	v_add_nc_u32_e32 v22, 1, v20
	v_add_nc_u32_e32 v21, -1, v21
	v_lshl_add_u32 v20, v20, 3, v8
	s_delay_alu instid0(VALU_DEP_3) | instskip(NEXT) | instid1(VALU_DEP_3)
	v_cndmask_b32_e64 v5, v5, v22, s11
	v_min_u32_e32 v21, v22, v21
	v_cndmask_b32_e64 v14, v22, v14, s11
	s_delay_alu instid0(VALU_DEP_3) | instskip(NEXT) | instid1(VALU_DEP_3)
	v_cmp_lt_u32_e64 s14, v5, v35
	v_lshl_add_u32 v21, v21, 1, v10
	s_delay_alu instid0(VALU_DEP_3) | instskip(SKIP_4) | instid1(VALU_DEP_2)
	v_cmp_ge_u32_e64 s16, v14, v55
	ds_load_u16 v21, v21
	s_waitcnt lgkmcnt(0)
	v_cndmask_b32_e64 v30, v21, v24, s11
	v_cndmask_b32_e64 v64, v19, v21, s11
	v_and_b32_e32 v21, v30, v54
	s_delay_alu instid0(VALU_DEP_2) | instskip(NEXT) | instid1(VALU_DEP_1)
	v_and_b32_e32 v23, v64, v54
	v_cmp_le_i16_e64 s15, v21, v23
	s_delay_alu instid0(VALU_DEP_1) | instskip(NEXT) | instid1(SALU_CYCLE_1)
	s_and_b32 s14, s14, s15
	s_or_b32 s14, s16, s14
	s_delay_alu instid0(SALU_CYCLE_1) | instskip(SKIP_1) | instid1(VALU_DEP_2)
	v_cndmask_b32_e64 v21, v14, v5, s14
	v_cndmask_b32_e64 v22, v55, v35, s14
	v_add_nc_u32_e32 v23, 1, v21
	s_delay_alu instid0(VALU_DEP_2) | instskip(NEXT) | instid1(VALU_DEP_2)
	v_add_nc_u32_e32 v22, -1, v22
	v_cndmask_b32_e64 v5, v5, v23, s14
	s_delay_alu instid0(VALU_DEP_2) | instskip(SKIP_1) | instid1(VALU_DEP_3)
	v_min_u32_e32 v22, v23, v22
	v_cndmask_b32_e64 v14, v23, v14, s14
	v_cmp_lt_u32_e64 s15, v5, v35
	s_delay_alu instid0(VALU_DEP_3) | instskip(NEXT) | instid1(VALU_DEP_3)
	v_lshl_add_u32 v22, v22, 1, v10
	v_cmp_ge_u32_e64 s17, v14, v55
	ds_load_u16 v22, v22
	s_waitcnt lgkmcnt(0)
	v_cndmask_b32_e64 v25, v22, v30, s14
	v_cndmask_b32_e64 v32, v64, v22, s14
	;; [unrolled: 1-line block ×3, first 2 shown]
	s_delay_alu instid0(VALU_DEP_3) | instskip(NEXT) | instid1(VALU_DEP_3)
	v_and_b32_e32 v22, v25, v54
	v_and_b32_e32 v26, v32, v54
	s_delay_alu instid0(VALU_DEP_1) | instskip(NEXT) | instid1(VALU_DEP_1)
	v_cmp_le_i16_e64 s16, v22, v26
	s_and_b32 s15, s15, s16
	s_delay_alu instid0(SALU_CYCLE_1) | instskip(NEXT) | instid1(SALU_CYCLE_1)
	s_or_b32 s15, s17, s15
	v_cndmask_b32_e64 v26, v14, v5, s15
	v_cndmask_b32_e64 v22, v55, v35, s15
	s_delay_alu instid0(VALU_DEP_2) | instskip(NEXT) | instid1(VALU_DEP_2)
	v_add_nc_u32_e32 v23, 1, v26
	v_add_nc_u32_e32 v22, -1, v22
	s_delay_alu instid0(VALU_DEP_2) | instskip(NEXT) | instid1(VALU_DEP_2)
	v_cndmask_b32_e64 v5, v5, v23, s15
	v_min_u32_e32 v22, v23, v22
	v_cndmask_b32_e64 v14, v23, v14, s15
	s_delay_alu instid0(VALU_DEP_3) | instskip(NEXT) | instid1(VALU_DEP_3)
	v_cmp_lt_u32_e64 s16, v5, v35
	v_lshl_add_u32 v22, v22, 1, v10
	s_delay_alu instid0(VALU_DEP_3)
	v_cmp_ge_u32_e64 s18, v14, v55
	ds_load_u16 v22, v22
	s_waitcnt lgkmcnt(0)
	v_cndmask_b32_e64 v65, v22, v25, s15
	v_cndmask_b32_e64 v66, v32, v22, s15
	;; [unrolled: 1-line block ×3, first 2 shown]
	s_delay_alu instid0(VALU_DEP_3) | instskip(NEXT) | instid1(VALU_DEP_3)
	v_and_b32_e32 v22, v65, v54
	v_and_b32_e32 v27, v66, v54
	s_delay_alu instid0(VALU_DEP_1) | instskip(NEXT) | instid1(VALU_DEP_1)
	v_cmp_le_i16_e64 s17, v22, v27
	s_and_b32 s16, s16, s17
	s_delay_alu instid0(SALU_CYCLE_1) | instskip(NEXT) | instid1(SALU_CYCLE_1)
	s_or_b32 s16, s18, s16
	v_cndmask_b32_e64 v27, v14, v5, s16
	v_cndmask_b32_e64 v22, v55, v35, s16
	;; [unrolled: 1-line block ×3, first 2 shown]
	s_delay_alu instid0(VALU_DEP_3) | instskip(NEXT) | instid1(VALU_DEP_3)
	v_add_nc_u32_e32 v23, 1, v27
	v_add_nc_u32_e32 v22, -1, v22
	s_delay_alu instid0(VALU_DEP_2) | instskip(NEXT) | instid1(VALU_DEP_2)
	v_cndmask_b32_e64 v5, v5, v23, s16
	v_min_u32_e32 v22, v23, v22
	v_cndmask_b32_e64 v14, v23, v14, s16
	s_delay_alu instid0(VALU_DEP_3) | instskip(NEXT) | instid1(VALU_DEP_3)
	v_cmp_lt_u32_e64 s17, v5, v35
	v_lshl_add_u32 v22, v22, 1, v10
	s_delay_alu instid0(VALU_DEP_3) | instskip(SKIP_4) | instid1(VALU_DEP_2)
	v_cmp_ge_u32_e64 s19, v14, v55
	ds_load_u16 v22, v22
	s_waitcnt lgkmcnt(0)
	v_cndmask_b32_e64 v33, v22, v65, s16
	v_cndmask_b32_e64 v67, v66, v22, s16
	v_and_b32_e32 v22, v33, v54
	s_delay_alu instid0(VALU_DEP_2) | instskip(NEXT) | instid1(VALU_DEP_1)
	v_and_b32_e32 v31, v67, v54
	v_cmp_le_i16_e64 s18, v22, v31
	s_delay_alu instid0(VALU_DEP_1) | instskip(NEXT) | instid1(SALU_CYCLE_1)
	s_and_b32 s17, s17, s18
	s_or_b32 s17, s19, s17
	s_delay_alu instid0(SALU_CYCLE_1) | instskip(SKIP_1) | instid1(VALU_DEP_2)
	v_cndmask_b32_e64 v31, v14, v5, s17
	v_cndmask_b32_e64 v22, v55, v35, s17
	v_add_nc_u32_e32 v23, 1, v31
	s_delay_alu instid0(VALU_DEP_2) | instskip(SKIP_1) | instid1(VALU_DEP_3)
	v_add_nc_u32_e32 v22, -1, v22
	v_lshl_add_u32 v31, v31, 3, v8
	v_cndmask_b32_e64 v34, v5, v23, s17
	s_delay_alu instid0(VALU_DEP_3) | instskip(SKIP_1) | instid1(VALU_DEP_3)
	v_min_u32_e32 v22, v23, v22
	v_cndmask_b32_e64 v14, v23, v14, s17
	v_cmp_lt_u32_e64 s18, v34, v35
	s_delay_alu instid0(VALU_DEP_3) | instskip(NEXT) | instid1(VALU_DEP_3)
	v_lshl_add_u32 v22, v22, 1, v10
	v_cmp_ge_u32_e64 s20, v14, v55
	ds_load_u16 v22, v22
	s_waitcnt lgkmcnt(0)
	v_cndmask_b32_e64 v68, v22, v33, s17
	v_cndmask_b32_e64 v69, v67, v22, s17
	;; [unrolled: 1-line block ×3, first 2 shown]
	s_delay_alu instid0(VALU_DEP_3) | instskip(NEXT) | instid1(VALU_DEP_3)
	v_and_b32_e32 v5, v68, v54
	v_and_b32_e32 v22, v69, v54
	s_delay_alu instid0(VALU_DEP_1)
	v_cmp_le_i16_e64 s19, v5, v22
	ds_load_b64 v[4:5], v4 offset:4096
	ds_load_b64 v[22:23], v15 offset:4096
	v_lshl_add_u32 v15, v21, 3, v8
	ds_load_b64 v[36:37], v20 offset:4096
	v_lshl_add_u32 v20, v26, 3, v8
	s_and_b32 s18, s18, s19
	v_lshl_add_u32 v21, v27, 3, v8
	s_or_b32 s18, s20, s18
	s_delay_alu instid0(SALU_CYCLE_1) | instskip(SKIP_3) | instid1(VALU_DEP_4)
	v_cndmask_b32_e64 v14, v14, v34, s18
	v_cndmask_b32_e64 v34, v16, v13, s7
	;; [unrolled: 1-line block ×3, first 2 shown]
	v_perm_b32 v18, v25, v32, 0x5040100
	v_lshl_add_u32 v14, v14, 3, v8
	ds_load_b64 v[26:27], v15 offset:4096
	ds_load_b64 v[48:49], v20 offset:4096
	;; [unrolled: 1-line block ×5, first 2 shown]
	v_cndmask_b32_e64 v31, v24, v19, s11
	v_cndmask_b32_e64 v24, v68, v69, s18
	v_perm_b32 v16, v13, v34, 0x5040100
	s_delay_alu instid0(VALU_DEP_3) | instskip(NEXT) | instid1(VALU_DEP_3)
	v_perm_b32 v17, v30, v31, 0x5040100
	v_perm_b32 v19, v24, v33, 0x5040100
.LBB928_110:
	s_or_b32 exec_lo, exec_lo, s22
	v_and_b32_e32 v55, 0x80, v53
	v_min_u32_e32 v52, v11, v52
	v_perm_b32 v33, v24, v33, 0x5040100
	v_perm_b32 v31, v30, v31, 0x5040100
	;; [unrolled: 1-line block ×3, first 2 shown]
	v_or_b32_e32 v35, 64, v55
	v_lshl_add_u32 v13, v55, 1, v10
	v_perm_b32 v32, v25, v32, 0x5040100
	s_mov_b32 s10, exec_lo
	s_delay_alu instid0(VALU_DEP_3)
	v_min_u32_e32 v53, v11, v35
	; wave barrier
	s_waitcnt lgkmcnt(4)
	ds_store_2addr_b64 v12, v[36:37], v[26:27] offset0:2 offset1:3
	s_waitcnt lgkmcnt(3)
	ds_store_2addr_b64 v12, v[48:49], v[20:21] offset0:4 offset1:5
	ds_store_2addr_b64 v12, v[4:5], v[22:23] offset1:1
	ds_store_2addr_b64 v9, v[30:31], v[32:33] offset1:1
	s_waitcnt lgkmcnt(4)
	ds_store_2addr_b64 v12, v[38:39], v[14:15] offset0:6 offset1:7
	v_add_nc_u32_e32 v35, 64, v53
	; wave barrier
	s_delay_alu instid0(VALU_DEP_1) | instskip(SKIP_1) | instid1(VALU_DEP_2)
	v_min_u32_e32 v35, v11, v35
	v_sub_nc_u32_e32 v11, v53, v55
	v_sub_nc_u32_e32 v64, v35, v53
	s_delay_alu instid0(VALU_DEP_2) | instskip(NEXT) | instid1(VALU_DEP_2)
	v_min_u32_e32 v24, v52, v11
	v_sub_nc_u32_e64 v11, v52, v64 clamp
	s_delay_alu instid0(VALU_DEP_1)
	v_cmpx_lt_u32_e64 v11, v24
	s_cbranch_execz .LBB928_114
; %bb.111:
	v_lshlrev_b32_e32 v9, 1, v53
	v_lshlrev_b32_e32 v12, 1, v52
	s_mov_b32 s11, 0
	s_delay_alu instid0(VALU_DEP_1)
	v_add3_u32 v9, v10, v9, v12
	.p2align	6
.LBB928_112:                            ; =>This Inner Loop Header: Depth=1
	v_add_nc_u32_e32 v12, v24, v11
	s_delay_alu instid0(VALU_DEP_1) | instskip(SKIP_1) | instid1(VALU_DEP_2)
	v_lshrrev_b32_e32 v25, 1, v12
	v_and_b32_e32 v12, -2, v12
	v_not_b32_e32 v30, v25
	s_delay_alu instid0(VALU_DEP_2) | instskip(SKIP_1) | instid1(VALU_DEP_3)
	v_add_nc_u32_e32 v12, v13, v12
	v_add_nc_u32_e32 v31, 1, v25
	v_lshl_add_u32 v30, v30, 1, v9
	ds_load_u16 v12, v12
	ds_load_u16 v30, v30
	s_waitcnt lgkmcnt(1)
	v_and_b32_e32 v12, v12, v54
	s_waitcnt lgkmcnt(0)
	v_and_b32_e32 v30, v30, v54
	s_delay_alu instid0(VALU_DEP_1) | instskip(NEXT) | instid1(VALU_DEP_1)
	v_cmp_gt_i16_e64 s7, v30, v12
	v_cndmask_b32_e64 v24, v24, v25, s7
	v_cndmask_b32_e64 v11, v31, v11, s7
	s_delay_alu instid0(VALU_DEP_1) | instskip(NEXT) | instid1(VALU_DEP_1)
	v_cmp_ge_u32_e64 s7, v11, v24
	s_or_b32 s11, s7, s11
	s_delay_alu instid0(SALU_CYCLE_1)
	s_and_not1_b32 exec_lo, exec_lo, s11
	s_cbranch_execnz .LBB928_112
; %bb.113:
	s_or_b32 exec_lo, exec_lo, s11
.LBB928_114:
	s_delay_alu instid0(SALU_CYCLE_1) | instskip(SKIP_2) | instid1(VALU_DEP_2)
	s_or_b32 exec_lo, exec_lo, s10
	v_add_nc_u32_e32 v9, v53, v52
	v_add_nc_u32_e32 v24, v11, v55
	v_sub_nc_u32_e32 v12, v9, v11
	s_delay_alu instid0(VALU_DEP_2) | instskip(NEXT) | instid1(VALU_DEP_2)
	v_cmp_le_u32_e64 s7, v24, v53
	v_cmp_le_u32_e64 s10, v12, v35
	s_delay_alu instid0(VALU_DEP_1) | instskip(NEXT) | instid1(SALU_CYCLE_1)
	s_or_b32 s7, s7, s10
	s_and_saveexec_b32 s22, s7
	s_cbranch_execz .LBB928_120
; %bb.115:
	v_cmp_lt_u32_e64 s7, v24, v53
                                        ; implicit-def: $vgpr9
	s_delay_alu instid0(VALU_DEP_1)
	s_and_saveexec_b32 s10, s7
	s_cbranch_execz .LBB928_117
; %bb.116:
	v_lshl_add_u32 v4, v11, 1, v13
	ds_load_u16 v9, v4
.LBB928_117:
	s_or_b32 exec_lo, exec_lo, s10
	v_cmp_ge_u32_e64 s10, v12, v35
	s_mov_b32 s14, exec_lo
                                        ; implicit-def: $vgpr11
	v_cmpx_lt_u32_e64 v12, v35
	s_cbranch_execz .LBB928_119
; %bb.118:
	v_lshl_add_u32 v4, v12, 1, v10
	ds_load_u16 v11, v4
.LBB928_119:
	s_or_b32 exec_lo, exec_lo, s14
	s_waitcnt lgkmcnt(0)
	v_and_b32_e32 v4, v11, v54
	v_and_b32_e32 v5, v9, v54
	s_delay_alu instid0(VALU_DEP_1) | instskip(NEXT) | instid1(VALU_DEP_1)
	v_cmp_le_i16_e64 s11, v4, v5
	s_and_b32 s7, s7, s11
	s_delay_alu instid0(SALU_CYCLE_1) | instskip(NEXT) | instid1(SALU_CYCLE_1)
	s_or_b32 s7, s10, s7
	v_cndmask_b32_e64 v4, v12, v24, s7
	v_cndmask_b32_e64 v5, v35, v53, s7
	s_delay_alu instid0(VALU_DEP_2) | instskip(NEXT) | instid1(VALU_DEP_2)
	v_add_nc_u32_e32 v13, 1, v4
	v_add_nc_u32_e32 v5, -1, v5
	v_lshl_add_u32 v4, v4, 3, v8
	s_delay_alu instid0(VALU_DEP_3) | instskip(NEXT) | instid1(VALU_DEP_3)
	v_cndmask_b32_e64 v12, v13, v12, s7
	v_min_u32_e32 v5, v13, v5
	s_delay_alu instid0(VALU_DEP_2) | instskip(NEXT) | instid1(VALU_DEP_2)
	v_cmp_ge_u32_e64 s14, v12, v35
	v_lshl_add_u32 v5, v5, 1, v10
	ds_load_u16 v5, v5
	s_waitcnt lgkmcnt(0)
	v_cndmask_b32_e64 v16, v5, v11, s7
	v_cndmask_b32_e64 v17, v9, v5, s7
	;; [unrolled: 1-line block ×3, first 2 shown]
	s_delay_alu instid0(VALU_DEP_3) | instskip(NEXT) | instid1(VALU_DEP_3)
	v_and_b32_e32 v14, v16, v54
	v_and_b32_e32 v15, v17, v54
	s_delay_alu instid0(VALU_DEP_3) | instskip(NEXT) | instid1(VALU_DEP_2)
	v_cmp_lt_u32_e64 s10, v5, v53
	v_cmp_le_i16_e64 s11, v14, v15
	s_delay_alu instid0(VALU_DEP_1) | instskip(NEXT) | instid1(SALU_CYCLE_1)
	s_and_b32 s10, s10, s11
	s_or_b32 s10, s14, s10
	s_delay_alu instid0(SALU_CYCLE_1) | instskip(SKIP_1) | instid1(VALU_DEP_2)
	v_cndmask_b32_e64 v13, v12, v5, s10
	v_cndmask_b32_e64 v14, v35, v53, s10
	v_add_nc_u32_e32 v15, 1, v13
	s_delay_alu instid0(VALU_DEP_2) | instskip(SKIP_1) | instid1(VALU_DEP_3)
	v_add_nc_u32_e32 v14, -1, v14
	v_lshl_add_u32 v13, v13, 3, v8
	v_cndmask_b32_e64 v5, v5, v15, s10
	s_delay_alu instid0(VALU_DEP_3) | instskip(SKIP_1) | instid1(VALU_DEP_3)
	v_min_u32_e32 v14, v15, v14
	v_cndmask_b32_e64 v12, v15, v12, s10
	v_cmp_lt_u32_e64 s11, v5, v53
	s_delay_alu instid0(VALU_DEP_3) | instskip(NEXT) | instid1(VALU_DEP_3)
	v_lshl_add_u32 v14, v14, 1, v10
	v_cmp_ge_u32_e64 s15, v12, v35
	ds_load_u16 v14, v14
	s_waitcnt lgkmcnt(0)
	v_cndmask_b32_e64 v18, v14, v16, s10
	v_cndmask_b32_e64 v19, v17, v14, s10
	;; [unrolled: 1-line block ×3, first 2 shown]
	s_delay_alu instid0(VALU_DEP_3) | instskip(NEXT) | instid1(VALU_DEP_3)
	v_and_b32_e32 v14, v18, v54
	v_and_b32_e32 v20, v19, v54
	s_delay_alu instid0(VALU_DEP_1) | instskip(NEXT) | instid1(VALU_DEP_1)
	v_cmp_le_i16_e64 s14, v14, v20
	s_and_b32 s11, s11, s14
	s_delay_alu instid0(SALU_CYCLE_1) | instskip(NEXT) | instid1(SALU_CYCLE_1)
	s_or_b32 s11, s15, s11
	v_cndmask_b32_e64 v14, v12, v5, s11
	v_cndmask_b32_e64 v15, v35, v53, s11
	s_delay_alu instid0(VALU_DEP_2) | instskip(NEXT) | instid1(VALU_DEP_2)
	v_add_nc_u32_e32 v20, 1, v14
	v_add_nc_u32_e32 v15, -1, v15
	v_lshl_add_u32 v14, v14, 3, v8
	s_delay_alu instid0(VALU_DEP_3) | instskip(NEXT) | instid1(VALU_DEP_3)
	v_cndmask_b32_e64 v5, v5, v20, s11
	v_min_u32_e32 v15, v20, v15
	v_cndmask_b32_e64 v12, v20, v12, s11
	s_delay_alu instid0(VALU_DEP_3) | instskip(NEXT) | instid1(VALU_DEP_3)
	v_cmp_lt_u32_e64 s14, v5, v53
	v_lshl_add_u32 v15, v15, 1, v10
	s_delay_alu instid0(VALU_DEP_3) | instskip(SKIP_4) | instid1(VALU_DEP_2)
	v_cmp_ge_u32_e64 s16, v12, v35
	ds_load_u16 v15, v15
	s_waitcnt lgkmcnt(0)
	v_cndmask_b32_e64 v24, v15, v18, s11
	v_cndmask_b32_e64 v25, v19, v15, s11
	v_and_b32_e32 v15, v24, v54
	s_delay_alu instid0(VALU_DEP_2) | instskip(NEXT) | instid1(VALU_DEP_1)
	v_and_b32_e32 v21, v25, v54
	v_cmp_le_i16_e64 s15, v15, v21
	s_delay_alu instid0(VALU_DEP_1) | instskip(NEXT) | instid1(SALU_CYCLE_1)
	s_and_b32 s14, s14, s15
	s_or_b32 s14, s16, s14
	s_delay_alu instid0(SALU_CYCLE_1) | instskip(SKIP_1) | instid1(VALU_DEP_2)
	v_cndmask_b32_e64 v15, v12, v5, s14
	v_cndmask_b32_e64 v20, v35, v53, s14
	v_add_nc_u32_e32 v21, 1, v15
	s_delay_alu instid0(VALU_DEP_2) | instskip(NEXT) | instid1(VALU_DEP_2)
	v_add_nc_u32_e32 v20, -1, v20
	v_cndmask_b32_e64 v5, v5, v21, s14
	s_delay_alu instid0(VALU_DEP_2) | instskip(SKIP_1) | instid1(VALU_DEP_3)
	v_min_u32_e32 v20, v21, v20
	v_cndmask_b32_e64 v12, v21, v12, s14
	v_cmp_lt_u32_e64 s15, v5, v53
	s_delay_alu instid0(VALU_DEP_3) | instskip(NEXT) | instid1(VALU_DEP_3)
	v_lshl_add_u32 v20, v20, 1, v10
	v_cmp_ge_u32_e64 s17, v12, v35
	ds_load_u16 v20, v20
	s_waitcnt lgkmcnt(0)
	v_cndmask_b32_e64 v30, v20, v24, s14
	v_cndmask_b32_e64 v31, v25, v20, s14
	;; [unrolled: 1-line block ×3, first 2 shown]
	s_delay_alu instid0(VALU_DEP_3) | instskip(NEXT) | instid1(VALU_DEP_3)
	v_and_b32_e32 v20, v30, v54
	v_and_b32_e32 v22, v31, v54
	s_delay_alu instid0(VALU_DEP_1) | instskip(NEXT) | instid1(VALU_DEP_1)
	v_cmp_le_i16_e64 s16, v20, v22
	s_and_b32 s15, s15, s16
	s_delay_alu instid0(SALU_CYCLE_1) | instskip(NEXT) | instid1(SALU_CYCLE_1)
	s_or_b32 s15, s17, s15
	v_cndmask_b32_e64 v20, v12, v5, s15
	v_cndmask_b32_e64 v21, v35, v53, s15
	s_delay_alu instid0(VALU_DEP_2) | instskip(NEXT) | instid1(VALU_DEP_2)
	v_add_nc_u32_e32 v22, 1, v20
	v_add_nc_u32_e32 v21, -1, v21
	s_delay_alu instid0(VALU_DEP_2) | instskip(NEXT) | instid1(VALU_DEP_2)
	v_cndmask_b32_e64 v5, v5, v22, s15
	v_min_u32_e32 v21, v22, v21
	v_cndmask_b32_e64 v12, v22, v12, s15
	s_delay_alu instid0(VALU_DEP_3) | instskip(NEXT) | instid1(VALU_DEP_3)
	v_cmp_lt_u32_e64 s16, v5, v53
	v_lshl_add_u32 v21, v21, 1, v10
	s_delay_alu instid0(VALU_DEP_3) | instskip(SKIP_4) | instid1(VALU_DEP_2)
	v_cmp_ge_u32_e64 s18, v12, v35
	ds_load_u16 v21, v21
	s_waitcnt lgkmcnt(0)
	v_cndmask_b32_e64 v32, v21, v30, s15
	v_cndmask_b32_e64 v33, v31, v21, s15
	v_and_b32_e32 v21, v32, v54
	s_delay_alu instid0(VALU_DEP_2) | instskip(NEXT) | instid1(VALU_DEP_1)
	v_and_b32_e32 v23, v33, v54
	v_cmp_le_i16_e64 s17, v21, v23
	s_delay_alu instid0(VALU_DEP_1) | instskip(NEXT) | instid1(SALU_CYCLE_1)
	s_and_b32 s16, s16, s17
	s_or_b32 s16, s18, s16
	s_delay_alu instid0(SALU_CYCLE_1) | instskip(SKIP_1) | instid1(VALU_DEP_2)
	v_cndmask_b32_e64 v21, v12, v5, s16
	v_cndmask_b32_e64 v22, v35, v53, s16
	v_add_nc_u32_e32 v23, 1, v21
	s_delay_alu instid0(VALU_DEP_2) | instskip(NEXT) | instid1(VALU_DEP_2)
	v_add_nc_u32_e32 v22, -1, v22
	v_cndmask_b32_e64 v5, v5, v23, s16
	s_delay_alu instid0(VALU_DEP_2) | instskip(SKIP_1) | instid1(VALU_DEP_3)
	v_min_u32_e32 v22, v23, v22
	v_cndmask_b32_e64 v12, v23, v12, s16
	v_cmp_lt_u32_e64 s17, v5, v53
	s_delay_alu instid0(VALU_DEP_3) | instskip(NEXT) | instid1(VALU_DEP_3)
	v_lshl_add_u32 v22, v22, 1, v10
	v_cmp_ge_u32_e64 s19, v12, v35
	ds_load_u16 v22, v22
	s_waitcnt lgkmcnt(0)
	v_cndmask_b32_e64 v34, v22, v32, s16
	v_cndmask_b32_e64 v52, v33, v22, s16
	s_delay_alu instid0(VALU_DEP_2) | instskip(NEXT) | instid1(VALU_DEP_2)
	v_and_b32_e32 v22, v34, v54
	v_and_b32_e32 v26, v52, v54
	s_delay_alu instid0(VALU_DEP_1) | instskip(NEXT) | instid1(VALU_DEP_1)
	v_cmp_le_i16_e64 s18, v22, v26
	s_and_b32 s17, s17, s18
	s_delay_alu instid0(SALU_CYCLE_1) | instskip(NEXT) | instid1(SALU_CYCLE_1)
	s_or_b32 s17, s19, s17
	v_cndmask_b32_e64 v26, v12, v5, s17
	v_cndmask_b32_e64 v22, v35, v53, s17
	s_delay_alu instid0(VALU_DEP_2) | instskip(NEXT) | instid1(VALU_DEP_2)
	v_add_nc_u32_e32 v23, 1, v26
	v_add_nc_u32_e32 v22, -1, v22
	s_delay_alu instid0(VALU_DEP_2) | instskip(NEXT) | instid1(VALU_DEP_2)
	v_cndmask_b32_e64 v27, v5, v23, s17
	v_min_u32_e32 v22, v23, v22
	v_cndmask_b32_e64 v12, v23, v12, s17
	s_delay_alu instid0(VALU_DEP_3) | instskip(NEXT) | instid1(VALU_DEP_3)
	v_cmp_lt_u32_e64 s18, v27, v53
	v_lshl_add_u32 v10, v22, 1, v10
	s_delay_alu instid0(VALU_DEP_3)
	v_cmp_ge_u32_e64 s20, v12, v35
	v_lshl_add_u32 v35, v26, 3, v8
	ds_load_u16 v10, v10
	s_waitcnt lgkmcnt(0)
	v_cndmask_b32_e64 v55, v10, v34, s17
	v_cndmask_b32_e64 v10, v52, v10, s17
	s_delay_alu instid0(VALU_DEP_2) | instskip(NEXT) | instid1(VALU_DEP_2)
	v_and_b32_e32 v5, v55, v54
	v_and_b32_e32 v22, v10, v54
	s_delay_alu instid0(VALU_DEP_1)
	v_cmp_le_i16_e64 s19, v5, v22
	ds_load_b64 v[4:5], v4 offset:4096
	ds_load_b64 v[22:23], v13 offset:4096
	v_lshl_add_u32 v13, v15, 3, v8
	ds_load_b64 v[36:37], v14 offset:4096
	v_lshl_add_u32 v14, v20, 3, v8
	s_and_b32 s18, s18, s19
	v_lshl_add_u32 v15, v21, 3, v8
	s_or_b32 s18, s20, s18
	s_delay_alu instid0(SALU_CYCLE_1) | instskip(SKIP_1) | instid1(VALU_DEP_2)
	v_cndmask_b32_e64 v12, v12, v27, s18
	v_cndmask_b32_e64 v10, v55, v10, s18
	v_lshl_add_u32 v8, v12, 3, v8
	ds_load_b64 v[26:27], v13 offset:4096
	ds_load_b64 v[48:49], v14 offset:4096
	;; [unrolled: 1-line block ×5, first 2 shown]
	v_cndmask_b32_e64 v8, v11, v9, s7
	v_cndmask_b32_e64 v9, v18, v19, s11
	;; [unrolled: 1-line block ×5, first 2 shown]
	v_perm_b32 v16, v16, v8, 0x5040100
	v_perm_b32 v17, v24, v9, 0x5040100
	s_delay_alu instid0(VALU_DEP_4) | instskip(NEXT) | instid1(VALU_DEP_4)
	v_perm_b32 v19, v10, v12, 0x5040100
	v_perm_b32 v18, v13, v11, 0x5040100
.LBB928_120:
	s_or_b32 exec_lo, exec_lo, s22
	; wave barrier
	s_waitcnt lgkmcnt(0)
	s_waitcnt_vscnt null, 0x0
	s_barrier
                                        ; implicit-def: $vgpr53
                                        ; implicit-def: $vgpr32_vgpr33_vgpr34_vgpr35
                                        ; implicit-def: $vgpr52
                                        ; implicit-def: $vgpr9
                                        ; implicit-def: $vgpr12
                                        ; implicit-def: $vgpr8
.LBB928_121:
	s_and_not1_saveexec_b32 s17, s21
	s_cbranch_execz .LBB928_217
; %bb.122:
	s_load_b64 s[10:11], s[8:9], 0x0
	v_mov_b32_e32 v10, 0
	s_waitcnt vmcnt(0) lgkmcnt(0)
	v_dual_mov_b32 v16, v32 :: v_dual_mov_b32 v19, v35
	v_dual_mov_b32 v17, v33 :: v_dual_mov_b32 v18, v34
	s_cmp_lt_u32 s13, s11
	s_cselect_b32 s7, 14, 20
	s_delay_alu instid0(SALU_CYCLE_1) | instskip(SKIP_4) | instid1(SALU_CYCLE_1)
	s_add_u32 s14, s8, s7
	s_addc_u32 s15, s9, 0
	s_cmp_lt_u32 s12, s10
	global_load_u16 v11, v10, s[14:15]
	s_cselect_b32 s7, 12, 18
	s_add_u32 s8, s8, s7
	s_addc_u32 s9, s9, 0
	global_load_u16 v10, v10, s[8:9]
	s_mov_b32 s9, exec_lo
	s_waitcnt vmcnt(1)
	v_mad_u32_u24 v9, v12, v11, v9
	s_waitcnt vmcnt(0)
	s_delay_alu instid0(VALU_DEP_1) | instskip(NEXT) | instid1(VALU_DEP_1)
	v_mul_lo_u32 v9, v9, v10
	v_add_lshl_u32 v54, v9, v8, 3
	s_delay_alu instid0(VALU_DEP_1)
	v_cmpx_gt_u32_e32 0x800, v54
	s_cbranch_execz .LBB928_176
; %bb.123:
	v_dual_mov_b32 v8, v32 :: v_dual_mov_b32 v9, v33
	v_lshrrev_b32_e32 v55, 16, v32
	v_dual_mov_b32 v31, v23 :: v_dual_mov_b32 v30, v22
	v_dual_mov_b32 v10, v34 :: v_dual_mov_b32 v11, v35
	v_mov_b32_e32 v64, v32
	s_mov_b32 s8, exec_lo
	v_cmpx_gt_i16_e64 v55, v32
; %bb.124:
	v_mov_b32_e32 v31, v5
	v_dual_mov_b32 v11, v35 :: v_dual_mov_b32 v30, v4
	v_mov_b32_e32 v4, v22
	v_alignbit_b32 v8, v32, v32, 16
	v_dual_mov_b32 v9, v33 :: v_dual_mov_b32 v10, v34
	v_mov_b32_e32 v5, v23
	v_dual_mov_b32 v64, v55 :: v_dual_mov_b32 v55, v32
; %bb.125:
	s_or_b32 exec_lo, exec_lo, s8
	s_delay_alu instid0(VALU_DEP_3) | instskip(SKIP_3) | instid1(VALU_DEP_4)
	v_lshrrev_b32_e32 v12, 16, v9
	v_dual_mov_b32 v25, v11 :: v_dual_mov_b32 v24, v10
	v_dual_mov_b32 v33, v27 :: v_dual_mov_b32 v32, v26
	;; [unrolled: 1-line block ×3, first 2 shown]
	v_mov_b32_e32 v65, v12
	s_mov_b32 s8, exec_lo
	v_cmpx_gt_i16_e64 v12, v9
; %bb.126:
	v_mov_b32_e32 v32, v36
	v_dual_mov_b32 v24, v10 :: v_dual_mov_b32 v33, v37
	v_mov_b32_e32 v37, v27
	v_alignbit_b32 v23, v9, v9, 16
	v_dual_mov_b32 v22, v8 :: v_dual_mov_b32 v25, v11
	v_dual_mov_b32 v36, v26 :: v_dual_mov_b32 v65, v9
	v_mov_b32_e32 v9, v12
; %bb.127:
	s_or_b32 exec_lo, exec_lo, s8
	v_lshrrev_b32_e32 v8, 16, v24
	v_dual_mov_b32 v10, v22 :: v_dual_mov_b32 v11, v23
	v_dual_mov_b32 v26, v48 :: v_dual_mov_b32 v27, v49
	;; [unrolled: 1-line block ×3, first 2 shown]
	s_delay_alu instid0(VALU_DEP_4)
	v_mov_b32_e32 v66, v8
	s_mov_b32 s8, exec_lo
	v_cmpx_gt_i16_e64 v8, v24
; %bb.128:
	v_mov_b32_e32 v27, v21
	v_dual_mov_b32 v13, v25 :: v_dual_mov_b32 v26, v20
	v_mov_b32_e32 v20, v48
	v_alignbit_b32 v12, v24, v24, 16
	v_dual_mov_b32 v10, v22 :: v_dual_mov_b32 v11, v23
	v_dual_mov_b32 v21, v49 :: v_dual_mov_b32 v66, v24
	v_mov_b32_e32 v24, v8
; %bb.129:
	s_or_b32 exec_lo, exec_lo, s8
	v_lshrrev_b32_e32 v8, 16, v13
	v_dual_mov_b32 v19, v13 :: v_dual_mov_b32 v18, v12
	v_dual_mov_b32 v22, v38 :: v_dual_mov_b32 v23, v39
	;; [unrolled: 1-line block ×3, first 2 shown]
	s_delay_alu instid0(VALU_DEP_4)
	v_mov_b32_e32 v48, v8
	s_mov_b32 s8, exec_lo
	v_cmpx_gt_i16_e64 v8, v13
; %bb.130:
	v_dual_mov_b32 v18, v12 :: v_dual_mov_b32 v23, v15
	v_mov_b32_e32 v22, v14
	v_mov_b32_e32 v14, v38
	v_alignbit_b32 v19, v13, v13, 16
	v_dual_mov_b32 v16, v10 :: v_dual_mov_b32 v17, v11
	v_dual_mov_b32 v15, v39 :: v_dual_mov_b32 v48, v13
	v_mov_b32_e32 v13, v8
; %bb.131:
	s_or_b32 exec_lo, exec_lo, s8
	v_cmp_gt_i16_e64 s7, v9, v55
	v_dual_mov_b32 v10, v36 :: v_dual_mov_b32 v11, v37
	v_mov_b32_e32 v38, v9
	s_delay_alu instid0(VALU_DEP_3) | instskip(NEXT) | instid1(SALU_CYCLE_1)
	s_and_saveexec_b32 s8, s7
	s_xor_b32 s7, exec_lo, s8
; %bb.132:
	v_perm_b32 v16, v9, v16, 0x5040100
	v_bfi_b32 v17, 0xffff, v55, v17
	v_dual_mov_b32 v10, v30 :: v_dual_mov_b32 v11, v31
	v_dual_mov_b32 v30, v36 :: v_dual_mov_b32 v31, v37
	v_dual_mov_b32 v38, v55 :: v_dual_mov_b32 v55, v9
; %bb.133:
	s_or_b32 exec_lo, exec_lo, s7
	v_dual_mov_b32 v35, v33 :: v_dual_mov_b32 v34, v32
	v_mov_b32_e32 v36, v24
	s_mov_b32 s8, exec_lo
	v_cmpx_gt_i16_e64 v24, v65
; %bb.134:
	v_perm_b32 v17, v24, v17, 0x5040100
	v_bfi_b32 v18, 0xffff, v65, v18
	v_dual_mov_b32 v35, v27 :: v_dual_mov_b32 v34, v26
	v_dual_mov_b32 v26, v32 :: v_dual_mov_b32 v27, v33
	v_dual_mov_b32 v36, v65 :: v_dual_mov_b32 v65, v24
; %bb.135:
	s_or_b32 exec_lo, exec_lo, s8
	v_dual_mov_b32 v8, v20 :: v_dual_mov_b32 v9, v21
	v_mov_b32_e32 v37, v13
	s_mov_b32 s8, exec_lo
	v_cmpx_gt_i16_e64 v13, v66
; %bb.136:
	v_perm_b32 v18, v13, v18, 0x5040100
	v_bfi_b32 v19, 0xffff, v66, v19
	v_dual_mov_b32 v8, v22 :: v_dual_mov_b32 v9, v23
	v_dual_mov_b32 v23, v21 :: v_dual_mov_b32 v22, v20
	v_dual_mov_b32 v37, v66 :: v_dual_mov_b32 v66, v13
; %bb.137:
	s_or_b32 exec_lo, exec_lo, s8
	v_dual_mov_b32 v12, v30 :: v_dual_mov_b32 v13, v31
	v_mov_b32_e32 v32, v64
	s_mov_b32 s8, exec_lo
	v_cmpx_gt_i16_e64 v55, v64
; %bb.138:
	v_perm_b32 v16, v64, v55, 0x5040100
	v_dual_mov_b32 v13, v5 :: v_dual_mov_b32 v12, v4
	v_dual_mov_b32 v4, v30 :: v_dual_mov_b32 v5, v31
	v_dual_mov_b32 v32, v55 :: v_dual_mov_b32 v55, v64
; %bb.139:
	s_or_b32 exec_lo, exec_lo, s8
	v_dual_mov_b32 v30, v34 :: v_dual_mov_b32 v31, v35
	v_mov_b32_e32 v39, v65
	s_mov_b32 s8, exec_lo
	v_cmpx_gt_i16_e64 v65, v38
; %bb.140:
	v_perm_b32 v17, v38, v65, 0x5040100
	v_dual_mov_b32 v31, v11 :: v_dual_mov_b32 v30, v10
	v_dual_mov_b32 v10, v34 :: v_dual_mov_b32 v11, v35
	v_dual_mov_b32 v39, v38 :: v_dual_mov_b32 v38, v65
; %bb.141:
	s_or_b32 exec_lo, exec_lo, s8
	v_dual_mov_b32 v20, v26 :: v_dual_mov_b32 v21, v27
	v_mov_b32_e32 v35, v66
	s_mov_b32 s8, exec_lo
	v_cmpx_gt_i16_e64 v66, v36
	;; [unrolled: 11-line block ×3, first 2 shown]
; %bb.144:
	v_perm_b32 v19, v37, v48, 0x5040100
	v_dual_mov_b32 v25, v15 :: v_dual_mov_b32 v24, v14
	v_dual_mov_b32 v14, v22 :: v_dual_mov_b32 v15, v23
	v_mov_b32_e32 v33, v37
	v_mov_b32_e32 v37, v48
; %bb.145:
	s_or_b32 exec_lo, exec_lo, s8
	v_dual_mov_b32 v23, v11 :: v_dual_mov_b32 v22, v10
	v_mov_b32_e32 v48, v38
	s_mov_b32 s8, exec_lo
	v_cmpx_gt_i16_e64 v38, v55
; %bb.146:
	v_perm_b32 v16, v38, v16, 0x5040100
	v_bfi_b32 v17, 0xffff, v55, v17
	v_dual_mov_b32 v23, v13 :: v_dual_mov_b32 v22, v12
	v_dual_mov_b32 v13, v11 :: v_dual_mov_b32 v12, v10
	v_dual_mov_b32 v48, v55 :: v_dual_mov_b32 v55, v38
; %bb.147:
	s_or_b32 exec_lo, exec_lo, s8
	v_dual_mov_b32 v26, v30 :: v_dual_mov_b32 v27, v31
	v_mov_b32_e32 v38, v36
	s_mov_b32 s8, exec_lo
	v_cmpx_gt_i16_e64 v36, v39
; %bb.148:
	v_perm_b32 v17, v36, v17, 0x5040100
	v_bfi_b32 v18, 0xffff, v39, v18
	v_dual_mov_b32 v27, v21 :: v_dual_mov_b32 v26, v20
	v_dual_mov_b32 v20, v30 :: v_dual_mov_b32 v21, v31
	v_dual_mov_b32 v38, v39 :: v_dual_mov_b32 v39, v36
	;; [unrolled: 12-line block ×3, first 2 shown]
; %bb.151:
	s_or_b32 exec_lo, exec_lo, s8
	v_dual_mov_b32 v8, v12 :: v_dual_mov_b32 v9, v13
	v_mov_b32_e32 v34, v32
	s_mov_b32 s8, exec_lo
	v_cmpx_gt_i16_e64 v55, v32
; %bb.152:
	v_perm_b32 v16, v32, v55, 0x5040100
	v_dual_mov_b32 v9, v5 :: v_dual_mov_b32 v8, v4
	v_dual_mov_b32 v4, v12 :: v_dual_mov_b32 v5, v13
	v_dual_mov_b32 v34, v55 :: v_dual_mov_b32 v55, v32
; %bb.153:
	s_or_b32 exec_lo, exec_lo, s8
	v_dual_mov_b32 v31, v27 :: v_dual_mov_b32 v30, v26
	v_mov_b32_e32 v37, v39
	s_mov_b32 s8, exec_lo
	v_cmpx_gt_i16_e64 v39, v48
; %bb.154:
	v_perm_b32 v17, v48, v39, 0x5040100
	v_dual_mov_b32 v31, v23 :: v_dual_mov_b32 v30, v22
	v_dual_mov_b32 v22, v26 :: v_dual_mov_b32 v23, v27
	v_dual_mov_b32 v37, v48 :: v_dual_mov_b32 v48, v39
	;; [unrolled: 11-line block ×4, first 2 shown]
; %bb.159:
	s_or_b32 exec_lo, exec_lo, s8
	v_dual_mov_b32 v25, v23 :: v_dual_mov_b32 v24, v22
	v_mov_b32_e32 v33, v48
	s_mov_b32 s8, exec_lo
	v_cmpx_gt_i16_e64 v48, v55
; %bb.160:
	v_perm_b32 v16, v48, v16, 0x5040100
	v_bfi_b32 v17, 0xffff, v55, v17
	v_dual_mov_b32 v25, v9 :: v_dual_mov_b32 v24, v8
	v_dual_mov_b32 v8, v22 :: v_dual_mov_b32 v9, v23
	v_mov_b32_e32 v33, v55
	v_mov_b32_e32 v55, v48
; %bb.161:
	s_or_b32 exec_lo, exec_lo, s8
	v_dual_mov_b32 v22, v30 :: v_dual_mov_b32 v23, v31
	v_mov_b32_e32 v48, v38
	s_mov_b32 s8, exec_lo
	v_cmpx_gt_i16_e64 v38, v37
; %bb.162:
	v_perm_b32 v17, v38, v17, 0x5040100
	v_bfi_b32 v18, 0xffff, v37, v18
	v_dual_mov_b32 v23, v13 :: v_dual_mov_b32 v22, v12
	v_dual_mov_b32 v12, v30 :: v_dual_mov_b32 v13, v31
	;; [unrolled: 1-line block ×3, first 2 shown]
; %bb.163:
	s_or_b32 exec_lo, exec_lo, s8
	v_dual_mov_b32 v21, v11 :: v_dual_mov_b32 v20, v10
	v_mov_b32_e32 v64, v36
	s_mov_b32 s8, exec_lo
	v_cmpx_gt_i16_e64 v36, v39
; %bb.164:
	v_perm_b32 v18, v36, v18, 0x5040100
	v_bfi_b32 v19, 0xffff, v39, v19
	v_dual_mov_b32 v20, v26 :: v_dual_mov_b32 v21, v27
	v_dual_mov_b32 v27, v11 :: v_dual_mov_b32 v26, v10
	;; [unrolled: 1-line block ×3, first 2 shown]
; %bb.165:
	s_or_b32 exec_lo, exec_lo, s8
	v_dual_mov_b32 v11, v9 :: v_dual_mov_b32 v10, v8
	v_mov_b32_e32 v32, v34
	s_mov_b32 s8, exec_lo
	v_cmpx_gt_i16_e64 v55, v34
; %bb.166:
	v_perm_b32 v16, v34, v55, 0x5040100
	v_dual_mov_b32 v11, v5 :: v_dual_mov_b32 v10, v4
	v_dual_mov_b32 v4, v8 :: v_dual_mov_b32 v5, v9
	;; [unrolled: 1-line block ×3, first 2 shown]
; %bb.167:
	s_or_b32 exec_lo, exec_lo, s8
	v_dual_mov_b32 v8, v22 :: v_dual_mov_b32 v9, v23
	v_mov_b32_e32 v34, v37
	s_mov_b32 s8, exec_lo
	v_cmpx_gt_i16_e64 v37, v33
; %bb.168:
	v_perm_b32 v17, v33, v37, 0x5040100
	v_dual_mov_b32 v8, v24 :: v_dual_mov_b32 v9, v25
	v_dual_mov_b32 v25, v23 :: v_dual_mov_b32 v24, v22
	v_mov_b32_e32 v34, v33
	v_mov_b32_e32 v33, v37
; %bb.169:
	s_or_b32 exec_lo, exec_lo, s8
	v_dual_mov_b32 v31, v13 :: v_dual_mov_b32 v30, v12
	v_mov_b32_e32 v65, v39
	s_mov_b32 s8, exec_lo
	v_cmpx_gt_i16_e64 v39, v48
; %bb.170:
	v_perm_b32 v18, v48, v39, 0x5040100
	v_dual_mov_b32 v31, v21 :: v_dual_mov_b32 v30, v20
	v_dual_mov_b32 v21, v13 :: v_dual_mov_b32 v20, v12
	;; [unrolled: 1-line block ×3, first 2 shown]
; %bb.171:
	s_or_b32 exec_lo, exec_lo, s8
	v_dual_mov_b32 v12, v26 :: v_dual_mov_b32 v13, v27
	s_mov_b32 s8, exec_lo
	v_cmpx_gt_i16_e64 v35, v64
; %bb.172:
	v_perm_b32 v19, v64, v35, 0x5040100
	v_dual_mov_b32 v12, v14 :: v_dual_mov_b32 v13, v15
	v_dual_mov_b32 v14, v26 :: v_dual_mov_b32 v15, v27
	v_mov_b32_e32 v64, v35
; %bb.173:
	s_or_b32 exec_lo, exec_lo, s8
	v_cmp_gt_i16_e64 s7, v33, v55
	v_bfi_b32 v22, 0xffff, v55, v17
	v_perm_b32 v26, v33, v16, 0x5040100
	v_cmp_gt_i16_e64 s8, v48, v34
	v_dual_mov_b32 v39, v13 :: v_dual_mov_b32 v38, v12
	s_delay_alu instid0(VALU_DEP_4)
	v_cndmask_b32_e64 v17, v17, v22, s7
	v_cndmask_b32_e64 v37, v25, v11, s7
	;; [unrolled: 1-line block ×5, first 2 shown]
	v_perm_b32 v10, v48, v17, 0x5040100
	v_bfi_b32 v11, 0xffff, v34, v18
	v_cndmask_b32_e64 v16, v16, v26, s7
	v_cndmask_b32_e64 v27, v9, v31, s8
	;; [unrolled: 1-line block ×7, first 2 shown]
	s_mov_b32 s8, exec_lo
	v_cmpx_gt_i16_e64 v64, v65
; %bb.174:
	s_delay_alu instid0(VALU_DEP_2)
	v_perm_b32 v18, v64, v18, 0x5040100
	v_bfi_b32 v19, 0xffff, v65, v19
	v_dual_mov_b32 v39, v21 :: v_dual_mov_b32 v38, v20
	v_dual_mov_b32 v21, v13 :: v_dual_mov_b32 v20, v12
; %bb.175:
	s_or_b32 exec_lo, exec_lo, s8
.LBB928_176:
	s_delay_alu instid0(SALU_CYCLE_1) | instskip(SKIP_4) | instid1(VALU_DEP_4)
	s_or_b32 exec_lo, exec_lo, s9
	v_dual_mov_b32 v31, v17 :: v_dual_and_b32 v12, 0xffffff00, v54
	v_or_b32_e32 v8, 8, v53
	v_bfi_b32 v30, 0xffff, v32, v16
	v_and_b32_e32 v24, 0xf0, v53
	v_sub_nc_u32_e64 v11, 0x800, v12 clamp
	v_dual_mov_b32 v33, v19 :: v_dual_lshlrev_b32 v10, 1, v12
	s_mov_b32 s8, exec_lo
	v_mov_b32_e32 v32, v18
	s_delay_alu instid0(VALU_DEP_3) | instskip(NEXT) | instid1(VALU_DEP_3)
	v_min_u32_e32 v34, v11, v8
	v_mad_u64_u32 v[8:9], null, v12, 6, v[10:11]
	v_and_b32_e32 v12, 8, v53
	v_lshl_or_b32 v54, v24, 1, v10
	s_delay_alu instid0(VALU_DEP_4) | instskip(NEXT) | instid1(VALU_DEP_3)
	v_add_nc_u32_e32 v9, 8, v34
	v_min_u32_e32 v25, v11, v12
	v_sub_nc_u32_e32 v12, v34, v24
	s_delay_alu instid0(VALU_DEP_3) | instskip(SKIP_2) | instid1(VALU_DEP_4)
	v_min_u32_e32 v35, v11, v9
	v_lshl_add_u32 v64, v53, 3, v8
	v_lshl_or_b32 v9, v53, 1, v10
	v_min_u32_e32 v13, v25, v12
	s_delay_alu instid0(VALU_DEP_4) | instskip(NEXT) | instid1(VALU_DEP_4)
	v_sub_nc_u32_e32 v55, v35, v34
	v_add_nc_u32_e32 v65, 0x1010, v64
	v_add_nc_u32_e32 v12, 0x1000, v64
	;; [unrolled: 1-line block ×4, first 2 shown]
	v_sub_nc_u32_e64 v55, v25, v55 clamp
	ds_store_2addr_b64 v65, v[36:37], v[26:27] offset1:1
	ds_store_2addr_b64 v66, v[48:49], v[20:21] offset1:1
	;; [unrolled: 1-line block ×5, first 2 shown]
	; wave barrier
	v_cmpx_lt_u32_e64 v55, v13
	s_cbranch_execz .LBB928_180
; %bb.177:
	v_lshlrev_b32_e32 v30, 1, v34
	v_lshlrev_b32_e32 v31, 1, v25
	s_mov_b32 s9, 0
	s_delay_alu instid0(VALU_DEP_1)
	v_add3_u32 v30, v10, v30, v31
	.p2align	6
.LBB928_178:                            ; =>This Inner Loop Header: Depth=1
	v_add_nc_u32_e32 v31, v13, v55
	s_delay_alu instid0(VALU_DEP_1) | instskip(SKIP_1) | instid1(VALU_DEP_2)
	v_lshrrev_b32_e32 v32, 1, v31
	v_and_b32_e32 v31, -2, v31
	v_not_b32_e32 v33, v32
	s_delay_alu instid0(VALU_DEP_2) | instskip(SKIP_1) | instid1(VALU_DEP_3)
	v_add_nc_u32_e32 v31, v54, v31
	v_add_nc_u32_e32 v64, 1, v32
	v_lshl_add_u32 v33, v33, 1, v30
	ds_load_u16 v31, v31
	ds_load_u16 v33, v33
	s_waitcnt lgkmcnt(0)
	v_cmp_gt_i16_e64 s7, v33, v31
	s_delay_alu instid0(VALU_DEP_1) | instskip(SKIP_1) | instid1(VALU_DEP_1)
	v_cndmask_b32_e64 v13, v13, v32, s7
	v_cndmask_b32_e64 v55, v64, v55, s7
	v_cmp_ge_u32_e64 s7, v55, v13
	s_delay_alu instid0(VALU_DEP_1) | instskip(NEXT) | instid1(SALU_CYCLE_1)
	s_or_b32 s9, s7, s9
	s_and_not1_b32 exec_lo, exec_lo, s9
	s_cbranch_execnz .LBB928_178
; %bb.179:
	s_or_b32 exec_lo, exec_lo, s9
.LBB928_180:
	s_delay_alu instid0(SALU_CYCLE_1) | instskip(SKIP_4) | instid1(VALU_DEP_4)
	s_or_b32 exec_lo, exec_lo, s8
	v_add_nc_u32_e32 v25, v34, v25
	v_dual_mov_b32 v32, v18 :: v_dual_add_nc_u32 v65, v55, v24
	v_lshrrev_b32_e32 v13, 16, v16
	v_lshrrev_b32_e32 v30, 16, v17
	v_sub_nc_u32_e32 v64, v25, v55
	s_delay_alu instid0(VALU_DEP_4)
	v_cmp_le_u32_e64 s7, v65, v34
	v_lshrrev_b32_e32 v25, 16, v18
	v_lshrrev_b32_e32 v24, 16, v19
	v_mov_b32_e32 v31, v17
	v_cmp_le_u32_e64 s8, v64, v35
	v_mov_b32_e32 v33, v19
	s_delay_alu instid0(VALU_DEP_2) | instskip(NEXT) | instid1(SALU_CYCLE_1)
	s_or_b32 s7, s7, s8
	s_and_saveexec_b32 s18, s7
	s_cbranch_execz .LBB928_186
; %bb.181:
	v_cmp_lt_u32_e64 s7, v65, v34
                                        ; implicit-def: $vgpr13
	s_delay_alu instid0(VALU_DEP_1)
	s_and_saveexec_b32 s8, s7
	s_cbranch_execz .LBB928_183
; %bb.182:
	v_lshl_add_u32 v4, v55, 1, v54
	ds_load_u16 v13, v4
.LBB928_183:
	s_or_b32 exec_lo, exec_lo, s8
	v_cmp_ge_u32_e64 s8, v64, v35
	s_mov_b32 s10, exec_lo
                                        ; implicit-def: $vgpr16
	v_cmpx_lt_u32_e64 v64, v35
	s_cbranch_execz .LBB928_185
; %bb.184:
	v_lshl_add_u32 v4, v64, 1, v10
	ds_load_u16 v16, v4
.LBB928_185:
	s_or_b32 exec_lo, exec_lo, s10
	s_waitcnt lgkmcnt(0)
	v_cmp_le_i16_e64 s9, v16, v13
	s_delay_alu instid0(VALU_DEP_1) | instskip(NEXT) | instid1(SALU_CYCLE_1)
	s_and_b32 s7, s7, s9
	s_or_b32 s7, s8, s7
	s_delay_alu instid0(SALU_CYCLE_1) | instskip(SKIP_1) | instid1(VALU_DEP_2)
	v_cndmask_b32_e64 v4, v64, v65, s7
	v_cndmask_b32_e64 v5, v35, v34, s7
	v_add_nc_u32_e32 v14, 1, v4
	s_delay_alu instid0(VALU_DEP_2) | instskip(SKIP_1) | instid1(VALU_DEP_3)
	v_add_nc_u32_e32 v5, -1, v5
	v_lshl_add_u32 v4, v4, 3, v8
	v_cndmask_b32_e64 v15, v65, v14, s7
	s_delay_alu instid0(VALU_DEP_3) | instskip(NEXT) | instid1(VALU_DEP_2)
	v_min_u32_e32 v5, v14, v5
	v_cmp_lt_u32_e64 s8, v15, v34
	s_delay_alu instid0(VALU_DEP_2)
	v_lshl_add_u32 v5, v5, 1, v10
	ds_load_u16 v5, v5
	s_waitcnt lgkmcnt(0)
	v_cndmask_b32_e64 v17, v5, v16, s7
	v_cndmask_b32_e64 v18, v13, v5, s7
	;; [unrolled: 1-line block ×4, first 2 shown]
	s_delay_alu instid0(VALU_DEP_3) | instskip(NEXT) | instid1(VALU_DEP_3)
	v_cmp_le_i16_e64 s9, v17, v18
	v_cmp_ge_u32_e64 s10, v5, v35
	s_delay_alu instid0(VALU_DEP_2)
	s_and_b32 s8, s8, s9
	s_delay_alu instid0(VALU_DEP_1) | instid1(SALU_CYCLE_1)
	s_or_b32 s8, s10, s8
	s_delay_alu instid0(SALU_CYCLE_1) | instskip(SKIP_2) | instid1(VALU_DEP_3)
	v_cndmask_b32_e64 v14, v5, v15, s8
	v_cndmask_b32_e64 v19, v35, v34, s8
	;; [unrolled: 1-line block ×3, first 2 shown]
	v_add_nc_u32_e32 v20, 1, v14
	s_delay_alu instid0(VALU_DEP_3) | instskip(SKIP_1) | instid1(VALU_DEP_4)
	v_add_nc_u32_e32 v19, -1, v19
	v_lshl_add_u32 v14, v14, 3, v8
	v_perm_b32 v16, v13, v16, 0x5040100
	s_delay_alu instid0(VALU_DEP_4) | instskip(NEXT) | instid1(VALU_DEP_4)
	v_cndmask_b32_e64 v15, v15, v20, s8
	v_min_u32_e32 v19, v20, v19
	v_cndmask_b32_e64 v5, v20, v5, s8
	s_delay_alu instid0(VALU_DEP_3) | instskip(NEXT) | instid1(VALU_DEP_3)
	v_cmp_lt_u32_e64 s9, v15, v34
	v_lshl_add_u32 v19, v19, 1, v10
	s_delay_alu instid0(VALU_DEP_3) | instskip(SKIP_4) | instid1(VALU_DEP_1)
	v_cmp_ge_u32_e64 s11, v5, v35
	ds_load_u16 v19, v19
	s_waitcnt lgkmcnt(0)
	v_cndmask_b32_e64 v24, v19, v17, s8
	v_cndmask_b32_e64 v19, v18, v19, s8
	v_cmp_le_i16_e64 s10, v24, v19
	s_delay_alu instid0(VALU_DEP_1) | instskip(NEXT) | instid1(SALU_CYCLE_1)
	s_and_b32 s9, s9, s10
	s_or_b32 s9, s11, s9
	s_delay_alu instid0(SALU_CYCLE_1) | instskip(SKIP_1) | instid1(VALU_DEP_2)
	v_cndmask_b32_e64 v20, v5, v15, s9
	v_cndmask_b32_e64 v21, v35, v34, s9
	v_add_nc_u32_e32 v22, 1, v20
	s_delay_alu instid0(VALU_DEP_2) | instskip(SKIP_1) | instid1(VALU_DEP_3)
	v_add_nc_u32_e32 v21, -1, v21
	v_lshl_add_u32 v20, v20, 3, v8
	v_cndmask_b32_e64 v15, v15, v22, s9
	s_delay_alu instid0(VALU_DEP_3) | instskip(SKIP_1) | instid1(VALU_DEP_3)
	v_min_u32_e32 v21, v22, v21
	v_cndmask_b32_e64 v5, v22, v5, s9
	v_cmp_lt_u32_e64 s10, v15, v34
	s_delay_alu instid0(VALU_DEP_3) | instskip(NEXT) | instid1(VALU_DEP_3)
	v_lshl_add_u32 v21, v21, 1, v10
	v_cmp_ge_u32_e64 s12, v5, v35
	ds_load_u16 v21, v21
	s_waitcnt lgkmcnt(0)
	v_cndmask_b32_e64 v30, v21, v24, s9
	v_cndmask_b32_e64 v54, v19, v21, s9
	s_delay_alu instid0(VALU_DEP_1) | instskip(NEXT) | instid1(VALU_DEP_1)
	v_cmp_le_i16_e64 s11, v30, v54
	s_and_b32 s10, s10, s11
	s_delay_alu instid0(SALU_CYCLE_1) | instskip(NEXT) | instid1(SALU_CYCLE_1)
	s_or_b32 s10, s12, s10
	v_cndmask_b32_e64 v21, v5, v15, s10
	v_cndmask_b32_e64 v22, v35, v34, s10
	s_delay_alu instid0(VALU_DEP_2) | instskip(NEXT) | instid1(VALU_DEP_2)
	v_add_nc_u32_e32 v23, 1, v21
	v_add_nc_u32_e32 v22, -1, v22
	s_delay_alu instid0(VALU_DEP_2) | instskip(NEXT) | instid1(VALU_DEP_2)
	v_cndmask_b32_e64 v15, v15, v23, s10
	v_min_u32_e32 v22, v23, v22
	v_cndmask_b32_e64 v5, v23, v5, s10
	s_delay_alu instid0(VALU_DEP_3) | instskip(NEXT) | instid1(VALU_DEP_3)
	v_cmp_lt_u32_e64 s11, v15, v34
	v_lshl_add_u32 v22, v22, 1, v10
	s_delay_alu instid0(VALU_DEP_3)
	v_cmp_ge_u32_e64 s13, v5, v35
	ds_load_u16 v22, v22
	s_waitcnt lgkmcnt(0)
	v_cndmask_b32_e64 v25, v22, v30, s10
	v_cndmask_b32_e64 v32, v54, v22, s10
	v_cndmask_b32_e64 v30, v30, v54, s10
	s_delay_alu instid0(VALU_DEP_2) | instskip(NEXT) | instid1(VALU_DEP_1)
	v_cmp_le_i16_e64 s12, v25, v32
	s_and_b32 s11, s11, s12
	s_delay_alu instid0(SALU_CYCLE_1) | instskip(NEXT) | instid1(SALU_CYCLE_1)
	s_or_b32 s11, s13, s11
	v_cndmask_b32_e64 v26, v5, v15, s11
	v_cndmask_b32_e64 v22, v35, v34, s11
	s_delay_alu instid0(VALU_DEP_2) | instskip(NEXT) | instid1(VALU_DEP_2)
	v_add_nc_u32_e32 v23, 1, v26
	v_add_nc_u32_e32 v22, -1, v22
	s_delay_alu instid0(VALU_DEP_2) | instskip(NEXT) | instid1(VALU_DEP_2)
	v_cndmask_b32_e64 v15, v15, v23, s11
	v_min_u32_e32 v22, v23, v22
	v_cndmask_b32_e64 v5, v23, v5, s11
	s_delay_alu instid0(VALU_DEP_3) | instskip(NEXT) | instid1(VALU_DEP_3)
	v_cmp_lt_u32_e64 s12, v15, v34
	v_lshl_add_u32 v22, v22, 1, v10
	s_delay_alu instid0(VALU_DEP_3)
	v_cmp_ge_u32_e64 s14, v5, v35
	ds_load_u16 v22, v22
	s_waitcnt lgkmcnt(0)
	v_cndmask_b32_e64 v55, v22, v25, s11
	v_cndmask_b32_e64 v64, v32, v22, s11
	;; [unrolled: 1-line block ×3, first 2 shown]
	s_delay_alu instid0(VALU_DEP_2) | instskip(NEXT) | instid1(VALU_DEP_1)
	v_cmp_le_i16_e64 s13, v55, v64
	s_and_b32 s12, s12, s13
	s_delay_alu instid0(SALU_CYCLE_1) | instskip(NEXT) | instid1(SALU_CYCLE_1)
	s_or_b32 s12, s14, s12
	v_cndmask_b32_e64 v27, v5, v15, s12
	v_cndmask_b32_e64 v22, v35, v34, s12
	;; [unrolled: 1-line block ×3, first 2 shown]
	s_delay_alu instid0(VALU_DEP_3) | instskip(NEXT) | instid1(VALU_DEP_3)
	v_add_nc_u32_e32 v23, 1, v27
	v_add_nc_u32_e32 v22, -1, v22
	s_delay_alu instid0(VALU_DEP_3) | instskip(NEXT) | instid1(VALU_DEP_3)
	v_perm_b32 v18, v25, v32, 0x5040100
	v_cndmask_b32_e64 v15, v15, v23, s12
	s_delay_alu instid0(VALU_DEP_3) | instskip(SKIP_1) | instid1(VALU_DEP_3)
	v_min_u32_e32 v22, v23, v22
	v_cndmask_b32_e64 v5, v23, v5, s12
	v_cmp_lt_u32_e64 s13, v15, v34
	s_delay_alu instid0(VALU_DEP_3) | instskip(NEXT) | instid1(VALU_DEP_3)
	v_lshl_add_u32 v22, v22, 1, v10
	v_cmp_ge_u32_e64 s15, v5, v35
	ds_load_u16 v22, v22
	s_waitcnt lgkmcnt(0)
	v_cndmask_b32_e64 v33, v22, v55, s12
	v_cndmask_b32_e64 v65, v64, v22, s12
	s_delay_alu instid0(VALU_DEP_1) | instskip(NEXT) | instid1(VALU_DEP_1)
	v_cmp_le_i16_e64 s14, v33, v65
	s_and_b32 s13, s13, s14
	s_delay_alu instid0(SALU_CYCLE_1) | instskip(NEXT) | instid1(SALU_CYCLE_1)
	s_or_b32 s13, s15, s13
	v_cndmask_b32_e64 v31, v5, v15, s13
	v_cndmask_b32_e64 v22, v35, v34, s13
	s_delay_alu instid0(VALU_DEP_2) | instskip(NEXT) | instid1(VALU_DEP_2)
	v_add_nc_u32_e32 v23, 1, v31
	v_add_nc_u32_e32 v22, -1, v22
	v_lshl_add_u32 v31, v31, 3, v8
	s_delay_alu instid0(VALU_DEP_3) | instskip(NEXT) | instid1(VALU_DEP_3)
	v_cndmask_b32_e64 v15, v15, v23, s13
	v_min_u32_e32 v22, v23, v22
	v_cndmask_b32_e64 v38, v23, v5, s13
	s_delay_alu instid0(VALU_DEP_3) | instskip(NEXT) | instid1(VALU_DEP_3)
	v_cmp_lt_u32_e64 s14, v15, v34
	v_lshl_add_u32 v22, v22, 1, v10
	s_delay_alu instid0(VALU_DEP_3)
	v_cmp_ge_u32_e64 s16, v38, v35
	ds_load_u16 v22, v22
	s_waitcnt lgkmcnt(0)
	v_cndmask_b32_e64 v66, v22, v33, s13
	v_cndmask_b32_e64 v67, v65, v22, s13
	ds_load_b64 v[4:5], v4 offset:4096
	ds_load_b64 v[22:23], v14 offset:4096
	;; [unrolled: 1-line block ×3, first 2 shown]
	v_lshl_add_u32 v20, v26, 3, v8
	v_cndmask_b32_e64 v33, v33, v65, s13
	v_cmp_le_i16_e64 s15, v66, v67
	s_delay_alu instid0(VALU_DEP_1) | instskip(NEXT) | instid1(SALU_CYCLE_1)
	s_and_b32 s14, s14, s15
	s_or_b32 s14, s16, s14
	s_delay_alu instid0(SALU_CYCLE_1) | instskip(SKIP_2) | instid1(VALU_DEP_3)
	v_cndmask_b32_e64 v14, v38, v15, s14
	v_lshl_add_u32 v15, v21, 3, v8
	v_lshl_add_u32 v21, v27, 3, v8
	;; [unrolled: 1-line block ×3, first 2 shown]
	ds_load_b64 v[26:27], v15 offset:4096
	ds_load_b64 v[48:49], v20 offset:4096
	;; [unrolled: 1-line block ×5, first 2 shown]
	v_cndmask_b32_e64 v31, v24, v19, s9
	v_cndmask_b32_e64 v24, v66, v67, s14
	s_delay_alu instid0(VALU_DEP_2) | instskip(NEXT) | instid1(VALU_DEP_2)
	v_perm_b32 v17, v30, v31, 0x5040100
	v_perm_b32 v19, v24, v33, 0x5040100
.LBB928_186:
	s_or_b32 exec_lo, exec_lo, s18
	v_and_b32_e32 v34, 0xe0, v53
	v_and_b32_e32 v55, 24, v53
	v_perm_b32 v68, v24, v33, 0x5040100
	v_perm_b32 v67, v25, v32, 0x5040100
	;; [unrolled: 1-line block ×3, first 2 shown]
	v_or_b32_e32 v35, 16, v34
	v_min_u32_e32 v65, v11, v55
	v_perm_b32 v69, v13, v16, 0x5040100
	s_mov_b32 s8, exec_lo
	s_delay_alu instid0(VALU_DEP_3)
	v_min_u32_e32 v35, v11, v35
	; wave barrier
	s_waitcnt lgkmcnt(4)
	ds_store_2addr_b64 v12, v[36:37], v[26:27] offset0:2 offset1:3
	s_waitcnt lgkmcnt(3)
	ds_store_2addr_b64 v12, v[48:49], v[20:21] offset0:4 offset1:5
	ds_store_2addr_b64 v12, v[4:5], v[22:23] offset1:1
	ds_store_2addr_b64 v9, v[69:70], v[67:68] offset1:1
	s_waitcnt lgkmcnt(4)
	ds_store_2addr_b64 v12, v[38:39], v[14:15] offset0:6 offset1:7
	v_add_nc_u32_e32 v54, 16, v35
	v_sub_nc_u32_e32 v55, v35, v34
	; wave barrier
	s_delay_alu instid0(VALU_DEP_2) | instskip(NEXT) | instid1(VALU_DEP_2)
	v_min_u32_e32 v54, v11, v54
	v_min_u32_e32 v66, v65, v55
	s_delay_alu instid0(VALU_DEP_2) | instskip(NEXT) | instid1(VALU_DEP_1)
	v_sub_nc_u32_e32 v64, v54, v35
	v_sub_nc_u32_e64 v55, v65, v64 clamp
	v_lshl_add_u32 v64, v34, 1, v10
	s_delay_alu instid0(VALU_DEP_2)
	v_cmpx_lt_u32_e64 v55, v66
	s_cbranch_execz .LBB928_190
; %bb.187:
	v_lshlrev_b32_e32 v67, 1, v35
	v_lshlrev_b32_e32 v68, 1, v65
	s_mov_b32 s9, 0
	s_delay_alu instid0(VALU_DEP_1)
	v_add3_u32 v67, v10, v67, v68
	.p2align	6
.LBB928_188:                            ; =>This Inner Loop Header: Depth=1
	v_add_nc_u32_e32 v68, v66, v55
	s_delay_alu instid0(VALU_DEP_1) | instskip(SKIP_1) | instid1(VALU_DEP_2)
	v_lshrrev_b32_e32 v69, 1, v68
	v_and_b32_e32 v68, -2, v68
	v_not_b32_e32 v70, v69
	s_delay_alu instid0(VALU_DEP_2) | instskip(SKIP_1) | instid1(VALU_DEP_3)
	v_add_nc_u32_e32 v68, v64, v68
	v_add_nc_u32_e32 v71, 1, v69
	v_lshl_add_u32 v70, v70, 1, v67
	ds_load_u16 v68, v68
	ds_load_u16 v70, v70
	s_waitcnt lgkmcnt(0)
	v_cmp_gt_i16_e64 s7, v70, v68
	s_delay_alu instid0(VALU_DEP_1) | instskip(SKIP_1) | instid1(VALU_DEP_1)
	v_cndmask_b32_e64 v66, v66, v69, s7
	v_cndmask_b32_e64 v55, v71, v55, s7
	v_cmp_ge_u32_e64 s7, v55, v66
	s_delay_alu instid0(VALU_DEP_1) | instskip(NEXT) | instid1(SALU_CYCLE_1)
	s_or_b32 s9, s7, s9
	s_and_not1_b32 exec_lo, exec_lo, s9
	s_cbranch_execnz .LBB928_188
; %bb.189:
	s_or_b32 exec_lo, exec_lo, s9
.LBB928_190:
	s_delay_alu instid0(SALU_CYCLE_1) | instskip(SKIP_3) | instid1(VALU_DEP_3)
	s_or_b32 exec_lo, exec_lo, s8
	v_add_nc_u32_e32 v65, v35, v65
	v_add_nc_u32_e32 v66, v55, v34
	v_mov_b32_e32 v34, v16
	v_sub_nc_u32_e32 v65, v65, v55
	s_delay_alu instid0(VALU_DEP_3) | instskip(NEXT) | instid1(VALU_DEP_2)
	v_cmp_le_u32_e64 s7, v66, v35
	v_cmp_le_u32_e64 s8, v65, v54
	s_delay_alu instid0(VALU_DEP_1) | instskip(NEXT) | instid1(SALU_CYCLE_1)
	s_or_b32 s7, s7, s8
	s_and_saveexec_b32 s18, s7
	s_cbranch_execz .LBB928_196
; %bb.191:
	v_cmp_lt_u32_e64 s7, v66, v35
                                        ; implicit-def: $vgpr13
	s_delay_alu instid0(VALU_DEP_1)
	s_and_saveexec_b32 s8, s7
	s_cbranch_execz .LBB928_193
; %bb.192:
	v_lshl_add_u32 v4, v55, 1, v64
	ds_load_u16 v13, v4
.LBB928_193:
	s_or_b32 exec_lo, exec_lo, s8
	v_cmp_ge_u32_e64 s8, v65, v54
	s_mov_b32 s10, exec_lo
                                        ; implicit-def: $vgpr16
	v_cmpx_lt_u32_e64 v65, v54
	s_cbranch_execz .LBB928_195
; %bb.194:
	v_lshl_add_u32 v4, v65, 1, v10
	ds_load_u16 v16, v4
.LBB928_195:
	s_or_b32 exec_lo, exec_lo, s10
	s_waitcnt lgkmcnt(0)
	v_cmp_le_i16_e64 s9, v16, v13
	s_delay_alu instid0(VALU_DEP_1) | instskip(NEXT) | instid1(SALU_CYCLE_1)
	s_and_b32 s7, s7, s9
	s_or_b32 s7, s8, s7
	s_delay_alu instid0(SALU_CYCLE_1) | instskip(SKIP_1) | instid1(VALU_DEP_2)
	v_cndmask_b32_e64 v4, v65, v66, s7
	v_cndmask_b32_e64 v5, v54, v35, s7
	v_add_nc_u32_e32 v14, 1, v4
	s_delay_alu instid0(VALU_DEP_2) | instskip(SKIP_1) | instid1(VALU_DEP_3)
	v_add_nc_u32_e32 v5, -1, v5
	v_lshl_add_u32 v4, v4, 3, v8
	v_cndmask_b32_e64 v15, v66, v14, s7
	s_delay_alu instid0(VALU_DEP_3) | instskip(NEXT) | instid1(VALU_DEP_2)
	v_min_u32_e32 v5, v14, v5
	v_cmp_lt_u32_e64 s8, v15, v35
	s_delay_alu instid0(VALU_DEP_2)
	v_lshl_add_u32 v5, v5, 1, v10
	ds_load_u16 v5, v5
	s_waitcnt lgkmcnt(0)
	v_cndmask_b32_e64 v17, v5, v16, s7
	v_cndmask_b32_e64 v18, v13, v5, s7
	;; [unrolled: 1-line block ×3, first 2 shown]
	s_delay_alu instid0(VALU_DEP_2) | instskip(NEXT) | instid1(VALU_DEP_2)
	v_cmp_le_i16_e64 s9, v17, v18
	v_cmp_ge_u32_e64 s10, v5, v54
	s_delay_alu instid0(VALU_DEP_2)
	s_and_b32 s8, s8, s9
	s_delay_alu instid0(VALU_DEP_1) | instid1(SALU_CYCLE_1)
	s_or_b32 s8, s10, s8
	s_delay_alu instid0(SALU_CYCLE_1) | instskip(SKIP_1) | instid1(VALU_DEP_2)
	v_cndmask_b32_e64 v14, v5, v15, s8
	v_cndmask_b32_e64 v19, v54, v35, s8
	v_add_nc_u32_e32 v20, 1, v14
	s_delay_alu instid0(VALU_DEP_2) | instskip(SKIP_1) | instid1(VALU_DEP_3)
	v_add_nc_u32_e32 v19, -1, v19
	v_lshl_add_u32 v14, v14, 3, v8
	v_cndmask_b32_e64 v15, v15, v20, s8
	s_delay_alu instid0(VALU_DEP_3) | instskip(SKIP_1) | instid1(VALU_DEP_3)
	v_min_u32_e32 v19, v20, v19
	v_cndmask_b32_e64 v5, v20, v5, s8
	v_cmp_lt_u32_e64 s9, v15, v35
	s_delay_alu instid0(VALU_DEP_3) | instskip(NEXT) | instid1(VALU_DEP_3)
	v_lshl_add_u32 v19, v19, 1, v10
	v_cmp_ge_u32_e64 s11, v5, v54
	ds_load_u16 v19, v19
	s_waitcnt lgkmcnt(0)
	v_cndmask_b32_e64 v24, v19, v17, s8
	v_cndmask_b32_e64 v19, v18, v19, s8
	s_delay_alu instid0(VALU_DEP_1) | instskip(NEXT) | instid1(VALU_DEP_1)
	v_cmp_le_i16_e64 s10, v24, v19
	s_and_b32 s9, s9, s10
	s_delay_alu instid0(SALU_CYCLE_1) | instskip(NEXT) | instid1(SALU_CYCLE_1)
	s_or_b32 s9, s11, s9
	v_cndmask_b32_e64 v20, v5, v15, s9
	v_cndmask_b32_e64 v21, v54, v35, s9
	s_delay_alu instid0(VALU_DEP_2) | instskip(NEXT) | instid1(VALU_DEP_2)
	v_add_nc_u32_e32 v22, 1, v20
	v_add_nc_u32_e32 v21, -1, v21
	v_lshl_add_u32 v20, v20, 3, v8
	s_delay_alu instid0(VALU_DEP_3) | instskip(NEXT) | instid1(VALU_DEP_3)
	v_cndmask_b32_e64 v15, v15, v22, s9
	v_min_u32_e32 v21, v22, v21
	v_cndmask_b32_e64 v5, v22, v5, s9
	s_delay_alu instid0(VALU_DEP_3) | instskip(NEXT) | instid1(VALU_DEP_3)
	v_cmp_lt_u32_e64 s10, v15, v35
	v_lshl_add_u32 v21, v21, 1, v10
	s_delay_alu instid0(VALU_DEP_3) | instskip(SKIP_4) | instid1(VALU_DEP_1)
	v_cmp_ge_u32_e64 s12, v5, v54
	ds_load_u16 v21, v21
	s_waitcnt lgkmcnt(0)
	v_cndmask_b32_e64 v30, v21, v24, s9
	v_cndmask_b32_e64 v55, v19, v21, s9
	v_cmp_le_i16_e64 s11, v30, v55
	s_delay_alu instid0(VALU_DEP_1) | instskip(NEXT) | instid1(SALU_CYCLE_1)
	s_and_b32 s10, s10, s11
	s_or_b32 s10, s12, s10
	s_delay_alu instid0(SALU_CYCLE_1) | instskip(SKIP_1) | instid1(VALU_DEP_2)
	v_cndmask_b32_e64 v21, v5, v15, s10
	v_cndmask_b32_e64 v22, v54, v35, s10
	v_add_nc_u32_e32 v23, 1, v21
	s_delay_alu instid0(VALU_DEP_2) | instskip(NEXT) | instid1(VALU_DEP_2)
	v_add_nc_u32_e32 v22, -1, v22
	v_cndmask_b32_e64 v15, v15, v23, s10
	s_delay_alu instid0(VALU_DEP_2) | instskip(SKIP_1) | instid1(VALU_DEP_3)
	v_min_u32_e32 v22, v23, v22
	v_cndmask_b32_e64 v5, v23, v5, s10
	v_cmp_lt_u32_e64 s11, v15, v35
	s_delay_alu instid0(VALU_DEP_3) | instskip(NEXT) | instid1(VALU_DEP_3)
	v_lshl_add_u32 v22, v22, 1, v10
	v_cmp_ge_u32_e64 s13, v5, v54
	ds_load_u16 v22, v22
	s_waitcnt lgkmcnt(0)
	v_cndmask_b32_e64 v25, v22, v30, s10
	v_cndmask_b32_e64 v32, v55, v22, s10
	v_cndmask_b32_e64 v30, v30, v55, s10
	s_delay_alu instid0(VALU_DEP_2) | instskip(NEXT) | instid1(VALU_DEP_1)
	v_cmp_le_i16_e64 s12, v25, v32
	s_and_b32 s11, s11, s12
	s_delay_alu instid0(SALU_CYCLE_1) | instskip(NEXT) | instid1(SALU_CYCLE_1)
	s_or_b32 s11, s13, s11
	v_cndmask_b32_e64 v26, v5, v15, s11
	v_cndmask_b32_e64 v22, v54, v35, s11
	s_delay_alu instid0(VALU_DEP_2) | instskip(NEXT) | instid1(VALU_DEP_2)
	v_add_nc_u32_e32 v23, 1, v26
	v_add_nc_u32_e32 v22, -1, v22
	s_delay_alu instid0(VALU_DEP_2) | instskip(NEXT) | instid1(VALU_DEP_2)
	v_cndmask_b32_e64 v15, v15, v23, s11
	v_min_u32_e32 v22, v23, v22
	v_cndmask_b32_e64 v5, v23, v5, s11
	s_delay_alu instid0(VALU_DEP_3) | instskip(NEXT) | instid1(VALU_DEP_3)
	v_cmp_lt_u32_e64 s12, v15, v35
	v_lshl_add_u32 v22, v22, 1, v10
	s_delay_alu instid0(VALU_DEP_3)
	v_cmp_ge_u32_e64 s14, v5, v54
	ds_load_u16 v22, v22
	s_waitcnt lgkmcnt(0)
	v_cndmask_b32_e64 v64, v22, v25, s11
	v_cndmask_b32_e64 v65, v32, v22, s11
	;; [unrolled: 1-line block ×3, first 2 shown]
	s_delay_alu instid0(VALU_DEP_2) | instskip(NEXT) | instid1(VALU_DEP_1)
	v_cmp_le_i16_e64 s13, v64, v65
	s_and_b32 s12, s12, s13
	s_delay_alu instid0(SALU_CYCLE_1) | instskip(NEXT) | instid1(SALU_CYCLE_1)
	s_or_b32 s12, s14, s12
	v_cndmask_b32_e64 v27, v5, v15, s12
	v_cndmask_b32_e64 v22, v54, v35, s12
	;; [unrolled: 1-line block ×3, first 2 shown]
	s_delay_alu instid0(VALU_DEP_3) | instskip(NEXT) | instid1(VALU_DEP_3)
	v_add_nc_u32_e32 v23, 1, v27
	v_add_nc_u32_e32 v22, -1, v22
	s_delay_alu instid0(VALU_DEP_2) | instskip(NEXT) | instid1(VALU_DEP_2)
	v_cndmask_b32_e64 v15, v15, v23, s12
	v_min_u32_e32 v22, v23, v22
	v_cndmask_b32_e64 v5, v23, v5, s12
	s_delay_alu instid0(VALU_DEP_3) | instskip(NEXT) | instid1(VALU_DEP_3)
	v_cmp_lt_u32_e64 s13, v15, v35
	v_lshl_add_u32 v22, v22, 1, v10
	s_delay_alu instid0(VALU_DEP_3) | instskip(SKIP_4) | instid1(VALU_DEP_1)
	v_cmp_ge_u32_e64 s15, v5, v54
	ds_load_u16 v22, v22
	s_waitcnt lgkmcnt(0)
	v_cndmask_b32_e64 v33, v22, v64, s12
	v_cndmask_b32_e64 v66, v65, v22, s12
	v_cmp_le_i16_e64 s14, v33, v66
	s_delay_alu instid0(VALU_DEP_1) | instskip(NEXT) | instid1(SALU_CYCLE_1)
	s_and_b32 s13, s13, s14
	s_or_b32 s13, s15, s13
	s_delay_alu instid0(SALU_CYCLE_1) | instskip(SKIP_1) | instid1(VALU_DEP_2)
	v_cndmask_b32_e64 v31, v5, v15, s13
	v_cndmask_b32_e64 v22, v54, v35, s13
	v_add_nc_u32_e32 v23, 1, v31
	s_delay_alu instid0(VALU_DEP_2) | instskip(SKIP_1) | instid1(VALU_DEP_3)
	v_add_nc_u32_e32 v22, -1, v22
	v_lshl_add_u32 v31, v31, 3, v8
	v_cndmask_b32_e64 v15, v15, v23, s13
	s_delay_alu instid0(VALU_DEP_3) | instskip(SKIP_1) | instid1(VALU_DEP_3)
	v_min_u32_e32 v22, v23, v22
	v_cndmask_b32_e64 v34, v23, v5, s13
	v_cmp_lt_u32_e64 s14, v15, v35
	s_delay_alu instid0(VALU_DEP_3) | instskip(NEXT) | instid1(VALU_DEP_3)
	v_lshl_add_u32 v22, v22, 1, v10
	v_cmp_ge_u32_e64 s16, v34, v54
	ds_load_u16 v22, v22
	s_waitcnt lgkmcnt(0)
	v_cndmask_b32_e64 v67, v22, v33, s13
	v_cndmask_b32_e64 v68, v66, v22, s13
	ds_load_b64 v[4:5], v4 offset:4096
	ds_load_b64 v[22:23], v14 offset:4096
	ds_load_b64 v[36:37], v20 offset:4096
	v_lshl_add_u32 v20, v26, 3, v8
	v_cndmask_b32_e64 v33, v33, v66, s13
	v_cmp_le_i16_e64 s15, v67, v68
	s_delay_alu instid0(VALU_DEP_1) | instskip(NEXT) | instid1(SALU_CYCLE_1)
	s_and_b32 s14, s14, s15
	s_or_b32 s14, s16, s14
	s_delay_alu instid0(SALU_CYCLE_1)
	v_cndmask_b32_e64 v14, v34, v15, s14
	v_lshl_add_u32 v15, v21, 3, v8
	v_lshl_add_u32 v21, v27, 3, v8
	v_cndmask_b32_e64 v34, v16, v13, s7
	v_cndmask_b32_e64 v13, v17, v18, s8
	v_lshl_add_u32 v14, v14, 3, v8
	ds_load_b64 v[26:27], v15 offset:4096
	ds_load_b64 v[48:49], v20 offset:4096
	;; [unrolled: 1-line block ×5, first 2 shown]
	v_cndmask_b32_e64 v31, v24, v19, s9
	v_cndmask_b32_e64 v24, v67, v68, s14
	v_perm_b32 v18, v25, v32, 0x5040100
	v_perm_b32 v16, v13, v34, 0x5040100
	s_delay_alu instid0(VALU_DEP_4) | instskip(NEXT) | instid1(VALU_DEP_4)
	v_perm_b32 v17, v30, v31, 0x5040100
	v_perm_b32 v19, v24, v33, 0x5040100
.LBB928_196:
	s_or_b32 exec_lo, exec_lo, s18
	v_and_b32_e32 v65, 0xc0, v53
	v_and_b32_e32 v55, 56, v53
	v_perm_b32 v69, v24, v33, 0x5040100
	v_perm_b32 v68, v25, v32, 0x5040100
	;; [unrolled: 1-line block ×3, first 2 shown]
	v_or_b32_e32 v35, 32, v65
	v_min_u32_e32 v66, v11, v55
	v_perm_b32 v70, v13, v34, 0x5040100
	s_mov_b32 s8, exec_lo
	s_delay_alu instid0(VALU_DEP_3)
	v_min_u32_e32 v35, v11, v35
	; wave barrier
	s_waitcnt lgkmcnt(4)
	ds_store_2addr_b64 v12, v[36:37], v[26:27] offset0:2 offset1:3
	s_waitcnt lgkmcnt(3)
	ds_store_2addr_b64 v12, v[48:49], v[20:21] offset0:4 offset1:5
	ds_store_2addr_b64 v12, v[4:5], v[22:23] offset1:1
	ds_store_2addr_b64 v9, v[70:71], v[68:69] offset1:1
	s_waitcnt lgkmcnt(4)
	ds_store_2addr_b64 v12, v[38:39], v[14:15] offset0:6 offset1:7
	v_add_nc_u32_e32 v54, 32, v35
	v_sub_nc_u32_e32 v55, v35, v65
	; wave barrier
	s_delay_alu instid0(VALU_DEP_2) | instskip(NEXT) | instid1(VALU_DEP_2)
	v_min_u32_e32 v54, v11, v54
	v_min_u32_e32 v67, v66, v55
	s_delay_alu instid0(VALU_DEP_2) | instskip(NEXT) | instid1(VALU_DEP_1)
	v_sub_nc_u32_e32 v64, v54, v35
	v_sub_nc_u32_e64 v55, v66, v64 clamp
	v_lshl_add_u32 v64, v65, 1, v10
	s_delay_alu instid0(VALU_DEP_2)
	v_cmpx_lt_u32_e64 v55, v67
	s_cbranch_execz .LBB928_200
; %bb.197:
	v_lshlrev_b32_e32 v68, 1, v35
	v_lshlrev_b32_e32 v69, 1, v66
	s_mov_b32 s9, 0
	s_delay_alu instid0(VALU_DEP_1)
	v_add3_u32 v68, v10, v68, v69
	.p2align	6
.LBB928_198:                            ; =>This Inner Loop Header: Depth=1
	v_add_nc_u32_e32 v69, v67, v55
	s_delay_alu instid0(VALU_DEP_1) | instskip(SKIP_1) | instid1(VALU_DEP_2)
	v_lshrrev_b32_e32 v70, 1, v69
	v_and_b32_e32 v69, -2, v69
	v_not_b32_e32 v71, v70
	s_delay_alu instid0(VALU_DEP_2) | instskip(SKIP_1) | instid1(VALU_DEP_3)
	v_add_nc_u32_e32 v69, v64, v69
	v_add_nc_u32_e32 v80, 1, v70
	v_lshl_add_u32 v71, v71, 1, v68
	ds_load_u16 v69, v69
	ds_load_u16 v71, v71
	s_waitcnt lgkmcnt(0)
	v_cmp_gt_i16_e64 s7, v71, v69
	s_delay_alu instid0(VALU_DEP_1) | instskip(SKIP_1) | instid1(VALU_DEP_1)
	v_cndmask_b32_e64 v67, v67, v70, s7
	v_cndmask_b32_e64 v55, v80, v55, s7
	v_cmp_ge_u32_e64 s7, v55, v67
	s_delay_alu instid0(VALU_DEP_1) | instskip(NEXT) | instid1(SALU_CYCLE_1)
	s_or_b32 s9, s7, s9
	s_and_not1_b32 exec_lo, exec_lo, s9
	s_cbranch_execnz .LBB928_198
; %bb.199:
	s_or_b32 exec_lo, exec_lo, s9
.LBB928_200:
	s_delay_alu instid0(SALU_CYCLE_1) | instskip(SKIP_2) | instid1(VALU_DEP_2)
	s_or_b32 exec_lo, exec_lo, s8
	v_add_nc_u32_e32 v67, v35, v66
	v_add_nc_u32_e32 v66, v55, v65
	v_sub_nc_u32_e32 v65, v67, v55
	s_delay_alu instid0(VALU_DEP_2) | instskip(NEXT) | instid1(VALU_DEP_2)
	v_cmp_le_u32_e64 s7, v66, v35
	v_cmp_le_u32_e64 s8, v65, v54
	s_delay_alu instid0(VALU_DEP_1) | instskip(NEXT) | instid1(SALU_CYCLE_1)
	s_or_b32 s7, s7, s8
	s_and_saveexec_b32 s18, s7
	s_cbranch_execz .LBB928_206
; %bb.201:
	v_cmp_lt_u32_e64 s7, v66, v35
                                        ; implicit-def: $vgpr13
	s_delay_alu instid0(VALU_DEP_1)
	s_and_saveexec_b32 s8, s7
	s_cbranch_execz .LBB928_203
; %bb.202:
	v_lshl_add_u32 v4, v55, 1, v64
	ds_load_u16 v13, v4
.LBB928_203:
	s_or_b32 exec_lo, exec_lo, s8
	v_cmp_ge_u32_e64 s8, v65, v54
	s_mov_b32 s10, exec_lo
                                        ; implicit-def: $vgpr16
	v_cmpx_lt_u32_e64 v65, v54
	s_cbranch_execz .LBB928_205
; %bb.204:
	v_lshl_add_u32 v4, v65, 1, v10
	ds_load_u16 v16, v4
.LBB928_205:
	s_or_b32 exec_lo, exec_lo, s10
	s_waitcnt lgkmcnt(0)
	v_cmp_le_i16_e64 s9, v16, v13
	s_delay_alu instid0(VALU_DEP_1) | instskip(NEXT) | instid1(SALU_CYCLE_1)
	s_and_b32 s7, s7, s9
	s_or_b32 s7, s8, s7
	s_delay_alu instid0(SALU_CYCLE_1) | instskip(SKIP_1) | instid1(VALU_DEP_2)
	v_cndmask_b32_e64 v4, v65, v66, s7
	v_cndmask_b32_e64 v5, v54, v35, s7
	v_add_nc_u32_e32 v14, 1, v4
	s_delay_alu instid0(VALU_DEP_2) | instskip(SKIP_1) | instid1(VALU_DEP_3)
	v_add_nc_u32_e32 v5, -1, v5
	v_lshl_add_u32 v4, v4, 3, v8
	v_cndmask_b32_e64 v15, v66, v14, s7
	s_delay_alu instid0(VALU_DEP_3) | instskip(NEXT) | instid1(VALU_DEP_2)
	v_min_u32_e32 v5, v14, v5
	v_cmp_lt_u32_e64 s8, v15, v35
	s_delay_alu instid0(VALU_DEP_2)
	v_lshl_add_u32 v5, v5, 1, v10
	ds_load_u16 v5, v5
	s_waitcnt lgkmcnt(0)
	v_cndmask_b32_e64 v17, v5, v16, s7
	v_cndmask_b32_e64 v18, v13, v5, s7
	;; [unrolled: 1-line block ×3, first 2 shown]
	s_delay_alu instid0(VALU_DEP_2) | instskip(NEXT) | instid1(VALU_DEP_2)
	v_cmp_le_i16_e64 s9, v17, v18
	v_cmp_ge_u32_e64 s10, v5, v54
	s_delay_alu instid0(VALU_DEP_2)
	s_and_b32 s8, s8, s9
	s_delay_alu instid0(VALU_DEP_1) | instid1(SALU_CYCLE_1)
	s_or_b32 s8, s10, s8
	s_delay_alu instid0(SALU_CYCLE_1) | instskip(SKIP_1) | instid1(VALU_DEP_2)
	v_cndmask_b32_e64 v14, v5, v15, s8
	v_cndmask_b32_e64 v19, v54, v35, s8
	v_add_nc_u32_e32 v20, 1, v14
	s_delay_alu instid0(VALU_DEP_2) | instskip(SKIP_1) | instid1(VALU_DEP_3)
	v_add_nc_u32_e32 v19, -1, v19
	v_lshl_add_u32 v14, v14, 3, v8
	v_cndmask_b32_e64 v15, v15, v20, s8
	s_delay_alu instid0(VALU_DEP_3) | instskip(SKIP_1) | instid1(VALU_DEP_3)
	v_min_u32_e32 v19, v20, v19
	v_cndmask_b32_e64 v5, v20, v5, s8
	v_cmp_lt_u32_e64 s9, v15, v35
	s_delay_alu instid0(VALU_DEP_3) | instskip(NEXT) | instid1(VALU_DEP_3)
	v_lshl_add_u32 v19, v19, 1, v10
	v_cmp_ge_u32_e64 s11, v5, v54
	ds_load_u16 v19, v19
	s_waitcnt lgkmcnt(0)
	v_cndmask_b32_e64 v24, v19, v17, s8
	v_cndmask_b32_e64 v19, v18, v19, s8
	s_delay_alu instid0(VALU_DEP_1) | instskip(NEXT) | instid1(VALU_DEP_1)
	v_cmp_le_i16_e64 s10, v24, v19
	s_and_b32 s9, s9, s10
	s_delay_alu instid0(SALU_CYCLE_1) | instskip(NEXT) | instid1(SALU_CYCLE_1)
	s_or_b32 s9, s11, s9
	v_cndmask_b32_e64 v20, v5, v15, s9
	v_cndmask_b32_e64 v21, v54, v35, s9
	s_delay_alu instid0(VALU_DEP_2) | instskip(NEXT) | instid1(VALU_DEP_2)
	v_add_nc_u32_e32 v22, 1, v20
	v_add_nc_u32_e32 v21, -1, v21
	v_lshl_add_u32 v20, v20, 3, v8
	s_delay_alu instid0(VALU_DEP_3) | instskip(NEXT) | instid1(VALU_DEP_3)
	v_cndmask_b32_e64 v15, v15, v22, s9
	v_min_u32_e32 v21, v22, v21
	v_cndmask_b32_e64 v5, v22, v5, s9
	s_delay_alu instid0(VALU_DEP_3) | instskip(NEXT) | instid1(VALU_DEP_3)
	v_cmp_lt_u32_e64 s10, v15, v35
	v_lshl_add_u32 v21, v21, 1, v10
	s_delay_alu instid0(VALU_DEP_3) | instskip(SKIP_4) | instid1(VALU_DEP_1)
	v_cmp_ge_u32_e64 s12, v5, v54
	ds_load_u16 v21, v21
	s_waitcnt lgkmcnt(0)
	v_cndmask_b32_e64 v30, v21, v24, s9
	v_cndmask_b32_e64 v55, v19, v21, s9
	v_cmp_le_i16_e64 s11, v30, v55
	s_delay_alu instid0(VALU_DEP_1) | instskip(NEXT) | instid1(SALU_CYCLE_1)
	s_and_b32 s10, s10, s11
	s_or_b32 s10, s12, s10
	s_delay_alu instid0(SALU_CYCLE_1) | instskip(SKIP_1) | instid1(VALU_DEP_2)
	v_cndmask_b32_e64 v21, v5, v15, s10
	v_cndmask_b32_e64 v22, v54, v35, s10
	v_add_nc_u32_e32 v23, 1, v21
	s_delay_alu instid0(VALU_DEP_2) | instskip(NEXT) | instid1(VALU_DEP_2)
	v_add_nc_u32_e32 v22, -1, v22
	v_cndmask_b32_e64 v15, v15, v23, s10
	s_delay_alu instid0(VALU_DEP_2) | instskip(SKIP_1) | instid1(VALU_DEP_3)
	v_min_u32_e32 v22, v23, v22
	v_cndmask_b32_e64 v5, v23, v5, s10
	v_cmp_lt_u32_e64 s11, v15, v35
	s_delay_alu instid0(VALU_DEP_3) | instskip(NEXT) | instid1(VALU_DEP_3)
	v_lshl_add_u32 v22, v22, 1, v10
	v_cmp_ge_u32_e64 s13, v5, v54
	ds_load_u16 v22, v22
	s_waitcnt lgkmcnt(0)
	v_cndmask_b32_e64 v25, v22, v30, s10
	v_cndmask_b32_e64 v32, v55, v22, s10
	;; [unrolled: 1-line block ×3, first 2 shown]
	s_delay_alu instid0(VALU_DEP_2) | instskip(NEXT) | instid1(VALU_DEP_1)
	v_cmp_le_i16_e64 s12, v25, v32
	s_and_b32 s11, s11, s12
	s_delay_alu instid0(SALU_CYCLE_1) | instskip(NEXT) | instid1(SALU_CYCLE_1)
	s_or_b32 s11, s13, s11
	v_cndmask_b32_e64 v26, v5, v15, s11
	v_cndmask_b32_e64 v22, v54, v35, s11
	s_delay_alu instid0(VALU_DEP_2) | instskip(NEXT) | instid1(VALU_DEP_2)
	v_add_nc_u32_e32 v23, 1, v26
	v_add_nc_u32_e32 v22, -1, v22
	s_delay_alu instid0(VALU_DEP_2) | instskip(NEXT) | instid1(VALU_DEP_2)
	v_cndmask_b32_e64 v15, v15, v23, s11
	v_min_u32_e32 v22, v23, v22
	v_cndmask_b32_e64 v5, v23, v5, s11
	s_delay_alu instid0(VALU_DEP_3) | instskip(NEXT) | instid1(VALU_DEP_3)
	v_cmp_lt_u32_e64 s12, v15, v35
	v_lshl_add_u32 v22, v22, 1, v10
	s_delay_alu instid0(VALU_DEP_3)
	v_cmp_ge_u32_e64 s14, v5, v54
	ds_load_u16 v22, v22
	s_waitcnt lgkmcnt(0)
	v_cndmask_b32_e64 v64, v22, v25, s11
	v_cndmask_b32_e64 v65, v32, v22, s11
	;; [unrolled: 1-line block ×3, first 2 shown]
	s_delay_alu instid0(VALU_DEP_2) | instskip(NEXT) | instid1(VALU_DEP_1)
	v_cmp_le_i16_e64 s13, v64, v65
	s_and_b32 s12, s12, s13
	s_delay_alu instid0(SALU_CYCLE_1) | instskip(NEXT) | instid1(SALU_CYCLE_1)
	s_or_b32 s12, s14, s12
	v_cndmask_b32_e64 v27, v5, v15, s12
	v_cndmask_b32_e64 v22, v54, v35, s12
	;; [unrolled: 1-line block ×3, first 2 shown]
	s_delay_alu instid0(VALU_DEP_3) | instskip(NEXT) | instid1(VALU_DEP_3)
	v_add_nc_u32_e32 v23, 1, v27
	v_add_nc_u32_e32 v22, -1, v22
	s_delay_alu instid0(VALU_DEP_2) | instskip(NEXT) | instid1(VALU_DEP_2)
	v_cndmask_b32_e64 v15, v15, v23, s12
	v_min_u32_e32 v22, v23, v22
	v_cndmask_b32_e64 v5, v23, v5, s12
	s_delay_alu instid0(VALU_DEP_3) | instskip(NEXT) | instid1(VALU_DEP_3)
	v_cmp_lt_u32_e64 s13, v15, v35
	v_lshl_add_u32 v22, v22, 1, v10
	s_delay_alu instid0(VALU_DEP_3) | instskip(SKIP_4) | instid1(VALU_DEP_1)
	v_cmp_ge_u32_e64 s15, v5, v54
	ds_load_u16 v22, v22
	s_waitcnt lgkmcnt(0)
	v_cndmask_b32_e64 v33, v22, v64, s12
	v_cndmask_b32_e64 v66, v65, v22, s12
	v_cmp_le_i16_e64 s14, v33, v66
	s_delay_alu instid0(VALU_DEP_1) | instskip(NEXT) | instid1(SALU_CYCLE_1)
	s_and_b32 s13, s13, s14
	s_or_b32 s13, s15, s13
	s_delay_alu instid0(SALU_CYCLE_1) | instskip(SKIP_1) | instid1(VALU_DEP_2)
	v_cndmask_b32_e64 v31, v5, v15, s13
	v_cndmask_b32_e64 v22, v54, v35, s13
	v_add_nc_u32_e32 v23, 1, v31
	s_delay_alu instid0(VALU_DEP_2) | instskip(SKIP_1) | instid1(VALU_DEP_3)
	v_add_nc_u32_e32 v22, -1, v22
	v_lshl_add_u32 v31, v31, 3, v8
	v_cndmask_b32_e64 v15, v15, v23, s13
	s_delay_alu instid0(VALU_DEP_3) | instskip(SKIP_1) | instid1(VALU_DEP_3)
	v_min_u32_e32 v22, v23, v22
	v_cndmask_b32_e64 v34, v23, v5, s13
	v_cmp_lt_u32_e64 s14, v15, v35
	s_delay_alu instid0(VALU_DEP_3) | instskip(NEXT) | instid1(VALU_DEP_3)
	v_lshl_add_u32 v22, v22, 1, v10
	v_cmp_ge_u32_e64 s16, v34, v54
	ds_load_u16 v22, v22
	s_waitcnt lgkmcnt(0)
	v_cndmask_b32_e64 v67, v22, v33, s13
	v_cndmask_b32_e64 v68, v66, v22, s13
	ds_load_b64 v[4:5], v4 offset:4096
	ds_load_b64 v[22:23], v14 offset:4096
	;; [unrolled: 1-line block ×3, first 2 shown]
	v_lshl_add_u32 v20, v26, 3, v8
	v_cndmask_b32_e64 v33, v33, v66, s13
	v_cmp_le_i16_e64 s15, v67, v68
	s_delay_alu instid0(VALU_DEP_1) | instskip(NEXT) | instid1(SALU_CYCLE_1)
	s_and_b32 s14, s14, s15
	s_or_b32 s14, s16, s14
	s_delay_alu instid0(SALU_CYCLE_1)
	v_cndmask_b32_e64 v14, v34, v15, s14
	v_lshl_add_u32 v15, v21, 3, v8
	v_lshl_add_u32 v21, v27, 3, v8
	v_cndmask_b32_e64 v34, v16, v13, s7
	v_cndmask_b32_e64 v13, v17, v18, s8
	v_lshl_add_u32 v14, v14, 3, v8
	ds_load_b64 v[26:27], v15 offset:4096
	ds_load_b64 v[48:49], v20 offset:4096
	;; [unrolled: 1-line block ×5, first 2 shown]
	v_cndmask_b32_e64 v31, v24, v19, s9
	v_cndmask_b32_e64 v24, v67, v68, s14
	v_perm_b32 v18, v25, v32, 0x5040100
	v_perm_b32 v16, v13, v34, 0x5040100
	s_delay_alu instid0(VALU_DEP_4) | instskip(NEXT) | instid1(VALU_DEP_4)
	v_perm_b32 v17, v30, v31, 0x5040100
	v_perm_b32 v19, v24, v33, 0x5040100
.LBB928_206:
	s_or_b32 exec_lo, exec_lo, s18
	v_and_b32_e32 v54, 0x80, v53
	v_min_u32_e32 v52, v11, v52
	v_perm_b32 v33, v24, v33, 0x5040100
	v_perm_b32 v31, v30, v31, 0x5040100
	;; [unrolled: 1-line block ×3, first 2 shown]
	v_or_b32_e32 v35, 64, v54
	v_lshl_add_u32 v13, v54, 1, v10
	v_perm_b32 v32, v25, v32, 0x5040100
	s_mov_b32 s8, exec_lo
	s_delay_alu instid0(VALU_DEP_3)
	v_min_u32_e32 v53, v11, v35
	; wave barrier
	s_waitcnt lgkmcnt(4)
	ds_store_2addr_b64 v12, v[36:37], v[26:27] offset0:2 offset1:3
	s_waitcnt lgkmcnt(3)
	ds_store_2addr_b64 v12, v[48:49], v[20:21] offset0:4 offset1:5
	ds_store_2addr_b64 v12, v[4:5], v[22:23] offset1:1
	ds_store_2addr_b64 v9, v[30:31], v[32:33] offset1:1
	s_waitcnt lgkmcnt(4)
	ds_store_2addr_b64 v12, v[38:39], v[14:15] offset0:6 offset1:7
	v_add_nc_u32_e32 v35, 64, v53
	; wave barrier
	s_delay_alu instid0(VALU_DEP_1) | instskip(SKIP_1) | instid1(VALU_DEP_2)
	v_min_u32_e32 v35, v11, v35
	v_sub_nc_u32_e32 v11, v53, v54
	v_sub_nc_u32_e32 v55, v35, v53
	s_delay_alu instid0(VALU_DEP_2) | instskip(NEXT) | instid1(VALU_DEP_2)
	v_min_u32_e32 v24, v52, v11
	v_sub_nc_u32_e64 v11, v52, v55 clamp
	s_delay_alu instid0(VALU_DEP_1)
	v_cmpx_lt_u32_e64 v11, v24
	s_cbranch_execz .LBB928_210
; %bb.207:
	v_lshlrev_b32_e32 v9, 1, v53
	v_lshlrev_b32_e32 v12, 1, v52
	s_mov_b32 s9, 0
	s_delay_alu instid0(VALU_DEP_1)
	v_add3_u32 v9, v10, v9, v12
	.p2align	6
.LBB928_208:                            ; =>This Inner Loop Header: Depth=1
	v_add_nc_u32_e32 v12, v24, v11
	s_delay_alu instid0(VALU_DEP_1) | instskip(SKIP_1) | instid1(VALU_DEP_2)
	v_lshrrev_b32_e32 v25, 1, v12
	v_and_b32_e32 v12, -2, v12
	v_not_b32_e32 v30, v25
	s_delay_alu instid0(VALU_DEP_2) | instskip(SKIP_1) | instid1(VALU_DEP_3)
	v_add_nc_u32_e32 v12, v13, v12
	v_add_nc_u32_e32 v31, 1, v25
	v_lshl_add_u32 v30, v30, 1, v9
	ds_load_u16 v12, v12
	ds_load_u16 v30, v30
	s_waitcnt lgkmcnt(0)
	v_cmp_gt_i16_e64 s7, v30, v12
	s_delay_alu instid0(VALU_DEP_1) | instskip(SKIP_1) | instid1(VALU_DEP_1)
	v_cndmask_b32_e64 v24, v24, v25, s7
	v_cndmask_b32_e64 v11, v31, v11, s7
	v_cmp_ge_u32_e64 s7, v11, v24
	s_delay_alu instid0(VALU_DEP_1) | instskip(NEXT) | instid1(SALU_CYCLE_1)
	s_or_b32 s9, s7, s9
	s_and_not1_b32 exec_lo, exec_lo, s9
	s_cbranch_execnz .LBB928_208
; %bb.209:
	s_or_b32 exec_lo, exec_lo, s9
.LBB928_210:
	s_delay_alu instid0(SALU_CYCLE_1) | instskip(SKIP_2) | instid1(VALU_DEP_2)
	s_or_b32 exec_lo, exec_lo, s8
	v_add_nc_u32_e32 v9, v53, v52
	v_add_nc_u32_e32 v24, v11, v54
	v_sub_nc_u32_e32 v12, v9, v11
	s_delay_alu instid0(VALU_DEP_2) | instskip(NEXT) | instid1(VALU_DEP_2)
	v_cmp_le_u32_e64 s7, v24, v53
	v_cmp_le_u32_e64 s8, v12, v35
	s_delay_alu instid0(VALU_DEP_1) | instskip(NEXT) | instid1(SALU_CYCLE_1)
	s_or_b32 s7, s7, s8
	s_and_saveexec_b32 s18, s7
	s_cbranch_execz .LBB928_216
; %bb.211:
	v_cmp_lt_u32_e64 s7, v24, v53
                                        ; implicit-def: $vgpr9
	s_delay_alu instid0(VALU_DEP_1)
	s_and_saveexec_b32 s8, s7
	s_cbranch_execz .LBB928_213
; %bb.212:
	v_lshl_add_u32 v4, v11, 1, v13
	ds_load_u16 v9, v4
.LBB928_213:
	s_or_b32 exec_lo, exec_lo, s8
	v_cmp_ge_u32_e64 s8, v12, v35
	s_mov_b32 s10, exec_lo
                                        ; implicit-def: $vgpr11
	v_cmpx_lt_u32_e64 v12, v35
	s_cbranch_execz .LBB928_215
; %bb.214:
	v_lshl_add_u32 v4, v12, 1, v10
	ds_load_u16 v11, v4
.LBB928_215:
	s_or_b32 exec_lo, exec_lo, s10
	s_waitcnt lgkmcnt(0)
	v_cmp_le_i16_e64 s9, v11, v9
	s_delay_alu instid0(VALU_DEP_1) | instskip(NEXT) | instid1(SALU_CYCLE_1)
	s_and_b32 s7, s7, s9
	s_or_b32 s7, s8, s7
	s_delay_alu instid0(SALU_CYCLE_1) | instskip(SKIP_1) | instid1(VALU_DEP_2)
	v_cndmask_b32_e64 v4, v12, v24, s7
	v_cndmask_b32_e64 v5, v35, v53, s7
	v_add_nc_u32_e32 v13, 1, v4
	s_delay_alu instid0(VALU_DEP_2) | instskip(SKIP_1) | instid1(VALU_DEP_3)
	v_add_nc_u32_e32 v5, -1, v5
	v_lshl_add_u32 v4, v4, 3, v8
	v_cndmask_b32_e64 v14, v24, v13, s7
	s_delay_alu instid0(VALU_DEP_3) | instskip(NEXT) | instid1(VALU_DEP_2)
	v_min_u32_e32 v5, v13, v5
	v_cmp_lt_u32_e64 s8, v14, v53
	s_delay_alu instid0(VALU_DEP_2)
	v_lshl_add_u32 v5, v5, 1, v10
	ds_load_u16 v5, v5
	s_waitcnt lgkmcnt(0)
	v_cndmask_b32_e64 v16, v5, v11, s7
	v_cndmask_b32_e64 v17, v9, v5, s7
	;; [unrolled: 1-line block ×3, first 2 shown]
	s_delay_alu instid0(VALU_DEP_2) | instskip(NEXT) | instid1(VALU_DEP_2)
	v_cmp_le_i16_e64 s9, v16, v17
	v_cmp_ge_u32_e64 s10, v5, v35
	s_delay_alu instid0(VALU_DEP_2)
	s_and_b32 s8, s8, s9
	s_delay_alu instid0(VALU_DEP_1) | instid1(SALU_CYCLE_1)
	s_or_b32 s8, s10, s8
	s_delay_alu instid0(SALU_CYCLE_1) | instskip(SKIP_1) | instid1(VALU_DEP_2)
	v_cndmask_b32_e64 v12, v5, v14, s8
	v_cndmask_b32_e64 v13, v35, v53, s8
	v_add_nc_u32_e32 v15, 1, v12
	s_delay_alu instid0(VALU_DEP_2) | instskip(SKIP_1) | instid1(VALU_DEP_3)
	v_add_nc_u32_e32 v13, -1, v13
	v_lshl_add_u32 v12, v12, 3, v8
	v_cndmask_b32_e64 v14, v14, v15, s8
	s_delay_alu instid0(VALU_DEP_3) | instskip(SKIP_1) | instid1(VALU_DEP_3)
	v_min_u32_e32 v13, v15, v13
	v_cndmask_b32_e64 v5, v15, v5, s8
	v_cmp_lt_u32_e64 s9, v14, v53
	s_delay_alu instid0(VALU_DEP_3) | instskip(NEXT) | instid1(VALU_DEP_3)
	v_lshl_add_u32 v13, v13, 1, v10
	v_cmp_ge_u32_e64 s11, v5, v35
	ds_load_u16 v13, v13
	s_waitcnt lgkmcnt(0)
	v_cndmask_b32_e64 v18, v13, v16, s8
	v_cndmask_b32_e64 v13, v17, v13, s8
	v_cndmask_b32_e64 v16, v16, v17, s8
	s_delay_alu instid0(VALU_DEP_2) | instskip(NEXT) | instid1(VALU_DEP_1)
	v_cmp_le_i16_e64 s10, v18, v13
	s_and_b32 s9, s9, s10
	s_delay_alu instid0(SALU_CYCLE_1) | instskip(NEXT) | instid1(SALU_CYCLE_1)
	s_or_b32 s9, s11, s9
	v_cndmask_b32_e64 v15, v5, v14, s9
	v_cndmask_b32_e64 v19, v35, v53, s9
	s_delay_alu instid0(VALU_DEP_2) | instskip(NEXT) | instid1(VALU_DEP_2)
	v_add_nc_u32_e32 v20, 1, v15
	v_add_nc_u32_e32 v19, -1, v19
	v_lshl_add_u32 v15, v15, 3, v8
	s_delay_alu instid0(VALU_DEP_3) | instskip(NEXT) | instid1(VALU_DEP_3)
	v_cndmask_b32_e64 v14, v14, v20, s9
	v_min_u32_e32 v19, v20, v19
	v_cndmask_b32_e64 v5, v20, v5, s9
	s_delay_alu instid0(VALU_DEP_3) | instskip(NEXT) | instid1(VALU_DEP_3)
	v_cmp_lt_u32_e64 s10, v14, v53
	v_lshl_add_u32 v19, v19, 1, v10
	s_delay_alu instid0(VALU_DEP_3) | instskip(SKIP_4) | instid1(VALU_DEP_1)
	v_cmp_ge_u32_e64 s12, v5, v35
	ds_load_u16 v19, v19
	s_waitcnt lgkmcnt(0)
	v_cndmask_b32_e64 v24, v19, v18, s9
	v_cndmask_b32_e64 v19, v13, v19, s9
	v_cmp_le_i16_e64 s11, v24, v19
	s_delay_alu instid0(VALU_DEP_1) | instskip(NEXT) | instid1(SALU_CYCLE_1)
	s_and_b32 s10, s10, s11
	s_or_b32 s10, s12, s10
	s_delay_alu instid0(SALU_CYCLE_1) | instskip(SKIP_1) | instid1(VALU_DEP_2)
	v_cndmask_b32_e64 v20, v5, v14, s10
	v_cndmask_b32_e64 v21, v35, v53, s10
	v_add_nc_u32_e32 v22, 1, v20
	s_delay_alu instid0(VALU_DEP_2) | instskip(NEXT) | instid1(VALU_DEP_2)
	v_add_nc_u32_e32 v21, -1, v21
	v_cndmask_b32_e64 v14, v14, v22, s10
	s_delay_alu instid0(VALU_DEP_2) | instskip(SKIP_1) | instid1(VALU_DEP_3)
	v_min_u32_e32 v21, v22, v21
	v_cndmask_b32_e64 v5, v22, v5, s10
	v_cmp_lt_u32_e64 s11, v14, v53
	s_delay_alu instid0(VALU_DEP_3) | instskip(NEXT) | instid1(VALU_DEP_3)
	v_lshl_add_u32 v21, v21, 1, v10
	v_cmp_ge_u32_e64 s13, v5, v35
	ds_load_u16 v21, v21
	s_waitcnt lgkmcnt(0)
	v_cndmask_b32_e64 v25, v21, v24, s10
	v_cndmask_b32_e64 v30, v19, v21, s10
	;; [unrolled: 1-line block ×3, first 2 shown]
	s_delay_alu instid0(VALU_DEP_2) | instskip(NEXT) | instid1(VALU_DEP_1)
	v_cmp_le_i16_e64 s12, v25, v30
	s_and_b32 s11, s11, s12
	s_delay_alu instid0(SALU_CYCLE_1) | instskip(NEXT) | instid1(SALU_CYCLE_1)
	s_or_b32 s11, s13, s11
	v_cndmask_b32_e64 v21, v5, v14, s11
	v_cndmask_b32_e64 v22, v35, v53, s11
	s_delay_alu instid0(VALU_DEP_2) | instskip(NEXT) | instid1(VALU_DEP_2)
	v_add_nc_u32_e32 v23, 1, v21
	v_add_nc_u32_e32 v22, -1, v22
	s_delay_alu instid0(VALU_DEP_2) | instskip(NEXT) | instid1(VALU_DEP_2)
	v_cndmask_b32_e64 v14, v14, v23, s11
	v_min_u32_e32 v22, v23, v22
	v_cndmask_b32_e64 v5, v23, v5, s11
	s_delay_alu instid0(VALU_DEP_3) | instskip(NEXT) | instid1(VALU_DEP_3)
	v_cmp_lt_u32_e64 s12, v14, v53
	v_lshl_add_u32 v22, v22, 1, v10
	s_delay_alu instid0(VALU_DEP_3) | instskip(SKIP_4) | instid1(VALU_DEP_1)
	v_cmp_ge_u32_e64 s14, v5, v35
	ds_load_u16 v22, v22
	s_waitcnt lgkmcnt(0)
	v_cndmask_b32_e64 v31, v22, v25, s11
	v_cndmask_b32_e64 v32, v30, v22, s11
	v_cmp_le_i16_e64 s13, v31, v32
	s_delay_alu instid0(VALU_DEP_1) | instskip(NEXT) | instid1(SALU_CYCLE_1)
	s_and_b32 s12, s12, s13
	s_or_b32 s12, s14, s12
	s_delay_alu instid0(SALU_CYCLE_1) | instskip(SKIP_1) | instid1(VALU_DEP_2)
	v_cndmask_b32_e64 v26, v5, v14, s12
	v_cndmask_b32_e64 v22, v35, v53, s12
	v_add_nc_u32_e32 v23, 1, v26
	s_delay_alu instid0(VALU_DEP_2) | instskip(NEXT) | instid1(VALU_DEP_2)
	v_add_nc_u32_e32 v22, -1, v22
	v_cndmask_b32_e64 v14, v14, v23, s12
	s_delay_alu instid0(VALU_DEP_2) | instskip(SKIP_1) | instid1(VALU_DEP_3)
	v_min_u32_e32 v22, v23, v22
	v_cndmask_b32_e64 v5, v23, v5, s12
	v_cmp_lt_u32_e64 s13, v14, v53
	s_delay_alu instid0(VALU_DEP_3) | instskip(NEXT) | instid1(VALU_DEP_3)
	v_lshl_add_u32 v22, v22, 1, v10
	v_cmp_ge_u32_e64 s15, v5, v35
	ds_load_u16 v22, v22
	s_waitcnt lgkmcnt(0)
	v_cndmask_b32_e64 v33, v22, v31, s12
	v_cndmask_b32_e64 v34, v32, v22, s12
	s_delay_alu instid0(VALU_DEP_1) | instskip(NEXT) | instid1(VALU_DEP_1)
	v_cmp_le_i16_e64 s14, v33, v34
	s_and_b32 s13, s13, s14
	s_delay_alu instid0(SALU_CYCLE_1) | instskip(NEXT) | instid1(SALU_CYCLE_1)
	s_or_b32 s13, s15, s13
	v_cndmask_b32_e64 v27, v5, v14, s13
	v_cndmask_b32_e64 v22, v35, v53, s13
	s_delay_alu instid0(VALU_DEP_2) | instskip(NEXT) | instid1(VALU_DEP_2)
	v_add_nc_u32_e32 v23, 1, v27
	v_add_nc_u32_e32 v22, -1, v22
	s_delay_alu instid0(VALU_DEP_2) | instskip(NEXT) | instid1(VALU_DEP_2)
	v_cndmask_b32_e64 v14, v14, v23, s13
	v_min_u32_e32 v22, v23, v22
	v_cndmask_b32_e64 v38, v23, v5, s13
	s_delay_alu instid0(VALU_DEP_3) | instskip(NEXT) | instid1(VALU_DEP_3)
	v_cmp_lt_u32_e64 s14, v14, v53
	v_lshl_add_u32 v10, v22, 1, v10
	s_delay_alu instid0(VALU_DEP_3)
	v_cmp_ge_u32_e64 s16, v38, v35
	v_lshl_add_u32 v35, v27, 3, v8
	ds_load_u16 v10, v10
	ds_load_b64 v[4:5], v4 offset:4096
	ds_load_b64 v[22:23], v12 offset:4096
	ds_load_b64 v[36:37], v15 offset:4096
	v_lshl_add_u32 v15, v21, 3, v8
	s_waitcnt lgkmcnt(3)
	v_cndmask_b32_e64 v52, v10, v33, s13
	v_cndmask_b32_e64 v10, v34, v10, s13
	s_delay_alu instid0(VALU_DEP_1) | instskip(NEXT) | instid1(VALU_DEP_1)
	v_cmp_le_i16_e64 s15, v52, v10
	s_and_b32 s14, s14, s15
	s_delay_alu instid0(SALU_CYCLE_1) | instskip(NEXT) | instid1(SALU_CYCLE_1)
	s_or_b32 s14, s16, s14
	v_cndmask_b32_e64 v12, v38, v14, s14
	v_lshl_add_u32 v14, v20, 3, v8
	v_lshl_add_u32 v20, v26, 3, v8
	v_cndmask_b32_e64 v10, v52, v10, s14
	s_delay_alu instid0(VALU_DEP_4)
	v_lshl_add_u32 v8, v12, 3, v8
	ds_load_b64 v[26:27], v14 offset:4096
	ds_load_b64 v[48:49], v15 offset:4096
	;; [unrolled: 1-line block ×5, first 2 shown]
	v_cndmask_b32_e64 v8, v11, v9, s7
	v_cndmask_b32_e64 v9, v18, v13, s9
	;; [unrolled: 1-line block ×5, first 2 shown]
	v_perm_b32 v16, v16, v8, 0x5040100
	v_perm_b32 v17, v24, v9, 0x5040100
	s_delay_alu instid0(VALU_DEP_4) | instskip(NEXT) | instid1(VALU_DEP_4)
	v_perm_b32 v19, v10, v12, 0x5040100
	v_perm_b32 v18, v13, v11, 0x5040100
.LBB928_216:
	s_or_b32 exec_lo, exec_lo, s18
	; wave barrier
	s_waitcnt lgkmcnt(0)
	s_waitcnt_vscnt null, 0x0
	s_barrier
.LBB928_217:
	s_or_b32 exec_lo, exec_lo, s17
	v_add_co_u32 v2, s7, v2, v28
	s_delay_alu instid0(VALU_DEP_1) | instskip(SKIP_4) | instid1(VALU_DEP_1)
	v_add_co_ci_u32_e64 v3, s7, v3, v29, s7
	s_waitcnt vmcnt(0) lgkmcnt(0)
	s_waitcnt_vscnt null, 0x0
	buffer_gl0_inv
	v_add_co_u32 v2, s7, v2, v50
	v_add_co_ci_u32_e64 v3, s7, 0, v3, s7
	; wave barrier
	s_and_saveexec_b32 s7, vcc_lo
	s_cbranch_execnz .LBB928_242
; %bb.218:
	s_or_b32 exec_lo, exec_lo, s7
	s_and_saveexec_b32 s7, s0
	s_cbranch_execnz .LBB928_243
.LBB928_219:
	s_or_b32 exec_lo, exec_lo, s7
	s_and_saveexec_b32 s7, s1
	s_cbranch_execnz .LBB928_244
.LBB928_220:
	s_or_b32 exec_lo, exec_lo, s7
	s_and_saveexec_b32 s7, s2
	s_cbranch_execnz .LBB928_245
.LBB928_221:
	s_or_b32 exec_lo, exec_lo, s7
	s_and_saveexec_b32 s7, s3
	s_cbranch_execnz .LBB928_246
.LBB928_222:
	s_or_b32 exec_lo, exec_lo, s7
	s_and_saveexec_b32 s7, s4
	s_cbranch_execnz .LBB928_247
.LBB928_223:
	s_or_b32 exec_lo, exec_lo, s7
	s_and_saveexec_b32 s7, s5
	s_cbranch_execnz .LBB928_248
.LBB928_224:
	s_or_b32 exec_lo, exec_lo, s7
	s_and_saveexec_b32 s7, s6
	s_cbranch_execz .LBB928_226
.LBB928_225:
	flat_store_d16_hi_b16 v[2:3], v19 offset:14
.LBB928_226:
	s_or_b32 exec_lo, exec_lo, s7
	v_add_co_u32 v0, s7, v6, v0
	s_delay_alu instid0(VALU_DEP_1) | instskip(NEXT) | instid1(VALU_DEP_2)
	v_add_co_ci_u32_e64 v1, s7, v7, v1, s7
	v_add_co_u32 v0, s7, v0, v51
	s_delay_alu instid0(VALU_DEP_1)
	v_add_co_ci_u32_e64 v1, s7, 0, v1, s7
	; wave barrier
	s_and_saveexec_b32 s7, vcc_lo
	s_cbranch_execnz .LBB928_249
; %bb.227:
	s_or_b32 exec_lo, exec_lo, s7
	s_and_saveexec_b32 s7, s0
	s_cbranch_execnz .LBB928_250
.LBB928_228:
	s_or_b32 exec_lo, exec_lo, s7
	s_and_saveexec_b32 s0, s1
	s_cbranch_execnz .LBB928_251
.LBB928_229:
	s_or_b32 exec_lo, exec_lo, s0
	s_and_saveexec_b32 s0, s2
	s_cbranch_execnz .LBB928_252
.LBB928_230:
	s_or_b32 exec_lo, exec_lo, s0
	s_and_saveexec_b32 s0, s3
	s_cbranch_execnz .LBB928_253
.LBB928_231:
	s_or_b32 exec_lo, exec_lo, s0
	s_and_saveexec_b32 s0, s4
	s_cbranch_execnz .LBB928_254
.LBB928_232:
	s_or_b32 exec_lo, exec_lo, s0
	s_and_saveexec_b32 s0, s5
	s_cbranch_execnz .LBB928_255
.LBB928_233:
	s_or_b32 exec_lo, exec_lo, s0
	s_and_saveexec_b32 s0, s6
	s_cbranch_execnz .LBB928_256
.LBB928_234:
	s_or_b32 exec_lo, exec_lo, s0
	s_waitcnt lgkmcnt(0)
	s_setpc_b64 s[30:31]
.LBB928_235:
	flat_load_b64 v[4:5], v[8:9]
	s_or_b32 exec_lo, exec_lo, s7
	s_and_saveexec_b32 s7, s0
                                        ; implicit-def: $vgpr20_vgpr21_vgpr22_vgpr23
	s_cbranch_execz .LBB928_18
.LBB928_236:
	flat_load_b64 v[22:23], v[8:9] offset:8
	s_or_b32 exec_lo, exec_lo, s7
                                        ; implicit-def: $vgpr36_vgpr37
	s_and_saveexec_b32 s7, s1
	s_cbranch_execz .LBB928_19
.LBB928_237:
	flat_load_b64 v[36:37], v[8:9] offset:16
	s_or_b32 exec_lo, exec_lo, s7
	s_and_saveexec_b32 s7, s2
                                        ; implicit-def: $vgpr24_vgpr25_vgpr26_vgpr27
	s_cbranch_execz .LBB928_20
.LBB928_238:
	flat_load_b64 v[26:27], v[8:9] offset:24
	s_or_b32 exec_lo, exec_lo, s7
                                        ; implicit-def: $vgpr48_vgpr49
	s_and_saveexec_b32 s7, s3
	s_cbranch_execz .LBB928_21
.LBB928_239:
	flat_load_b64 v[48:49], v[8:9] offset:32
	s_or_b32 exec_lo, exec_lo, s7
	s_and_saveexec_b32 s7, s4
                                        ; implicit-def: $vgpr18_vgpr19_vgpr20_vgpr21
	s_cbranch_execz .LBB928_22
.LBB928_240:
	flat_load_b64 v[20:21], v[8:9] offset:40
	s_or_b32 exec_lo, exec_lo, s7
                                        ; implicit-def: $vgpr38_vgpr39
	s_and_saveexec_b32 s7, s5
	s_cbranch_execz .LBB928_23
.LBB928_241:
	flat_load_b64 v[38:39], v[8:9] offset:48
	s_or_b32 exec_lo, exec_lo, s7
	s_and_saveexec_b32 s7, s6
                                        ; implicit-def: $vgpr12_vgpr13_vgpr14_vgpr15
	s_cbranch_execnz .LBB928_24
	s_branch .LBB928_25
.LBB928_242:
	flat_store_b16 v[2:3], v16
	s_or_b32 exec_lo, exec_lo, s7
	s_and_saveexec_b32 s7, s0
	s_cbranch_execz .LBB928_219
.LBB928_243:
	flat_store_d16_hi_b16 v[2:3], v16 offset:2
	s_or_b32 exec_lo, exec_lo, s7
	s_and_saveexec_b32 s7, s1
	s_cbranch_execz .LBB928_220
.LBB928_244:
	flat_store_b16 v[2:3], v17 offset:4
	s_or_b32 exec_lo, exec_lo, s7
	s_and_saveexec_b32 s7, s2
	s_cbranch_execz .LBB928_221
.LBB928_245:
	flat_store_d16_hi_b16 v[2:3], v17 offset:6
	s_or_b32 exec_lo, exec_lo, s7
	s_and_saveexec_b32 s7, s3
	s_cbranch_execz .LBB928_222
.LBB928_246:
	flat_store_b16 v[2:3], v18 offset:8
	s_or_b32 exec_lo, exec_lo, s7
	s_and_saveexec_b32 s7, s4
	s_cbranch_execz .LBB928_223
.LBB928_247:
	flat_store_d16_hi_b16 v[2:3], v18 offset:10
	s_or_b32 exec_lo, exec_lo, s7
	s_and_saveexec_b32 s7, s5
	s_cbranch_execz .LBB928_224
.LBB928_248:
	flat_store_b16 v[2:3], v19 offset:12
	s_or_b32 exec_lo, exec_lo, s7
	s_and_saveexec_b32 s7, s6
	s_cbranch_execnz .LBB928_225
	s_branch .LBB928_226
.LBB928_249:
	flat_store_b64 v[0:1], v[4:5]
	s_or_b32 exec_lo, exec_lo, s7
	s_and_saveexec_b32 s7, s0
	s_cbranch_execz .LBB928_228
.LBB928_250:
	flat_store_b64 v[0:1], v[22:23] offset:8
	s_or_b32 exec_lo, exec_lo, s7
	s_and_saveexec_b32 s0, s1
	s_cbranch_execz .LBB928_229
.LBB928_251:
	flat_store_b64 v[0:1], v[36:37] offset:16
	s_or_b32 exec_lo, exec_lo, s0
	s_and_saveexec_b32 s0, s2
	s_cbranch_execz .LBB928_230
.LBB928_252:
	flat_store_b64 v[0:1], v[26:27] offset:24
	s_or_b32 exec_lo, exec_lo, s0
	s_and_saveexec_b32 s0, s3
	s_cbranch_execz .LBB928_231
.LBB928_253:
	flat_store_b64 v[0:1], v[48:49] offset:32
	s_or_b32 exec_lo, exec_lo, s0
	s_and_saveexec_b32 s0, s4
	s_cbranch_execz .LBB928_232
.LBB928_254:
	flat_store_b64 v[0:1], v[20:21] offset:40
	s_or_b32 exec_lo, exec_lo, s0
	s_and_saveexec_b32 s0, s5
	s_cbranch_execz .LBB928_233
.LBB928_255:
	flat_store_b64 v[0:1], v[38:39] offset:48
	s_or_b32 exec_lo, exec_lo, s0
	s_and_saveexec_b32 s0, s6
	s_cbranch_execz .LBB928_234
.LBB928_256:
	flat_store_b64 v[0:1], v[14:15] offset:56
	s_or_b32 exec_lo, exec_lo, s0
	s_waitcnt lgkmcnt(0)
	s_setpc_b64 s[30:31]
.Lfunc_end928:
	.size	_ZN7rocprim17ROCPRIM_400000_NS6detail26segmented_warp_sort_helperINS1_20WarpSortHelperConfigILj16ELj8ELj256EEEslLi256ELb1EvE4sortIPKsPsPKlPlEEvT_T0_T1_T2_jjjjRNS5_12storage_typeE, .Lfunc_end928-_ZN7rocprim17ROCPRIM_400000_NS6detail26segmented_warp_sort_helperINS1_20WarpSortHelperConfigILj16ELj8ELj256EEEslLi256ELb1EvE4sortIPKsPsPKlPlEEvT_T0_T1_T2_jjjjRNS5_12storage_typeE
                                        ; -- End function
	.section	.AMDGPU.csdata,"",@progbits
; Function info:
; codeLenInByte = 20368
; NumSgprs: 34
; NumVgprs: 82
; ScratchSize: 0
; MemoryBound: 0
	.section	.text._ZN7rocprim17ROCPRIM_400000_NS6detail17trampoline_kernelINS0_14default_configENS1_36segmented_radix_sort_config_selectorIslEEZNS1_25segmented_radix_sort_implIS3_Lb1EPKsPsPKlPlN2at6native12_GLOBAL__N_18offset_tEEE10hipError_tPvRmT1_PNSt15iterator_traitsISK_E10value_typeET2_T3_PNSL_ISQ_E10value_typeET4_jRbjT5_SW_jjP12ihipStream_tbEUlT_E0_NS1_11comp_targetILNS1_3genE9ELNS1_11target_archE1100ELNS1_3gpuE3ELNS1_3repE0EEENS1_60segmented_radix_sort_warp_sort_medium_config_static_selectorELNS0_4arch9wavefront6targetE0EEEvSK_,"axG",@progbits,_ZN7rocprim17ROCPRIM_400000_NS6detail17trampoline_kernelINS0_14default_configENS1_36segmented_radix_sort_config_selectorIslEEZNS1_25segmented_radix_sort_implIS3_Lb1EPKsPsPKlPlN2at6native12_GLOBAL__N_18offset_tEEE10hipError_tPvRmT1_PNSt15iterator_traitsISK_E10value_typeET2_T3_PNSL_ISQ_E10value_typeET4_jRbjT5_SW_jjP12ihipStream_tbEUlT_E0_NS1_11comp_targetILNS1_3genE9ELNS1_11target_archE1100ELNS1_3gpuE3ELNS1_3repE0EEENS1_60segmented_radix_sort_warp_sort_medium_config_static_selectorELNS0_4arch9wavefront6targetE0EEEvSK_,comdat
	.globl	_ZN7rocprim17ROCPRIM_400000_NS6detail17trampoline_kernelINS0_14default_configENS1_36segmented_radix_sort_config_selectorIslEEZNS1_25segmented_radix_sort_implIS3_Lb1EPKsPsPKlPlN2at6native12_GLOBAL__N_18offset_tEEE10hipError_tPvRmT1_PNSt15iterator_traitsISK_E10value_typeET2_T3_PNSL_ISQ_E10value_typeET4_jRbjT5_SW_jjP12ihipStream_tbEUlT_E0_NS1_11comp_targetILNS1_3genE9ELNS1_11target_archE1100ELNS1_3gpuE3ELNS1_3repE0EEENS1_60segmented_radix_sort_warp_sort_medium_config_static_selectorELNS0_4arch9wavefront6targetE0EEEvSK_ ; -- Begin function _ZN7rocprim17ROCPRIM_400000_NS6detail17trampoline_kernelINS0_14default_configENS1_36segmented_radix_sort_config_selectorIslEEZNS1_25segmented_radix_sort_implIS3_Lb1EPKsPsPKlPlN2at6native12_GLOBAL__N_18offset_tEEE10hipError_tPvRmT1_PNSt15iterator_traitsISK_E10value_typeET2_T3_PNSL_ISQ_E10value_typeET4_jRbjT5_SW_jjP12ihipStream_tbEUlT_E0_NS1_11comp_targetILNS1_3genE9ELNS1_11target_archE1100ELNS1_3gpuE3ELNS1_3repE0EEENS1_60segmented_radix_sort_warp_sort_medium_config_static_selectorELNS0_4arch9wavefront6targetE0EEEvSK_
	.p2align	8
	.type	_ZN7rocprim17ROCPRIM_400000_NS6detail17trampoline_kernelINS0_14default_configENS1_36segmented_radix_sort_config_selectorIslEEZNS1_25segmented_radix_sort_implIS3_Lb1EPKsPsPKlPlN2at6native12_GLOBAL__N_18offset_tEEE10hipError_tPvRmT1_PNSt15iterator_traitsISK_E10value_typeET2_T3_PNSL_ISQ_E10value_typeET4_jRbjT5_SW_jjP12ihipStream_tbEUlT_E0_NS1_11comp_targetILNS1_3genE9ELNS1_11target_archE1100ELNS1_3gpuE3ELNS1_3repE0EEENS1_60segmented_radix_sort_warp_sort_medium_config_static_selectorELNS0_4arch9wavefront6targetE0EEEvSK_,@function
_ZN7rocprim17ROCPRIM_400000_NS6detail17trampoline_kernelINS0_14default_configENS1_36segmented_radix_sort_config_selectorIslEEZNS1_25segmented_radix_sort_implIS3_Lb1EPKsPsPKlPlN2at6native12_GLOBAL__N_18offset_tEEE10hipError_tPvRmT1_PNSt15iterator_traitsISK_E10value_typeET2_T3_PNSL_ISQ_E10value_typeET4_jRbjT5_SW_jjP12ihipStream_tbEUlT_E0_NS1_11comp_targetILNS1_3genE9ELNS1_11target_archE1100ELNS1_3gpuE3ELNS1_3repE0EEENS1_60segmented_radix_sort_warp_sort_medium_config_static_selectorELNS0_4arch9wavefront6targetE0EEEvSK_: ; @_ZN7rocprim17ROCPRIM_400000_NS6detail17trampoline_kernelINS0_14default_configENS1_36segmented_radix_sort_config_selectorIslEEZNS1_25segmented_radix_sort_implIS3_Lb1EPKsPsPKlPlN2at6native12_GLOBAL__N_18offset_tEEE10hipError_tPvRmT1_PNSt15iterator_traitsISK_E10value_typeET2_T3_PNSL_ISQ_E10value_typeET4_jRbjT5_SW_jjP12ihipStream_tbEUlT_E0_NS1_11comp_targetILNS1_3genE9ELNS1_11target_archE1100ELNS1_3gpuE3ELNS1_3repE0EEENS1_60segmented_radix_sort_warp_sort_medium_config_static_selectorELNS0_4arch9wavefront6targetE0EEEvSK_
; %bb.0:
	s_load_b32 s2, s[0:1], 0x64
	v_bfe_u32 v1, v0, 10, 10
	v_bfe_u32 v2, v0, 20, 10
	s_mov_b32 s32, 0
	s_waitcnt lgkmcnt(0)
	s_lshr_b32 s3, s2, 16
	s_and_b32 s2, s2, 0xffff
	v_mad_u32_u24 v4, v2, s3, v1
	v_and_b32_e32 v1, 0x3ff, v0
	s_load_b32 s3, s[0:1], 0x34
	s_delay_alu instid0(VALU_DEP_1) | instskip(SKIP_1) | instid1(VALU_DEP_1)
	v_mad_u64_u32 v[2:3], null, v4, s2, v[1:2]
	s_mov_b32 s2, exec_lo
	v_lshrrev_b32_e32 v1, 4, v2
	s_delay_alu instid0(VALU_DEP_1) | instskip(SKIP_1) | instid1(VALU_DEP_1)
	v_lshl_add_u32 v1, s14, 4, v1
	s_waitcnt lgkmcnt(0)
	v_cmpx_gt_u32_e64 s3, v1
	s_cbranch_execz .LBB929_6
; %bb.1:
	s_clause 0x1
	s_load_b64 s[2:3], s[0:1], 0x38
	s_load_b128 s[4:7], s[0:1], 0x40
	v_mov_b32_e32 v2, 0
	s_delay_alu instid0(VALU_DEP_1) | instskip(SKIP_1) | instid1(VALU_DEP_1)
	v_lshlrev_b64 v[1:2], 2, v[1:2]
	s_waitcnt lgkmcnt(0)
	v_add_co_u32 v1, vcc_lo, s2, v1
	s_delay_alu instid0(VALU_DEP_2) | instskip(SKIP_4) | instid1(VALU_DEP_2)
	v_add_co_ci_u32_e32 v2, vcc_lo, s3, v2, vcc_lo
	global_load_b32 v1, v[1:2], off
	s_waitcnt vmcnt(0)
	v_add_nc_u32_e32 v2, s5, v1
	v_add_nc_u32_e32 v1, s7, v1
	v_mul_lo_u32 v40, v2, s4
	s_delay_alu instid0(VALU_DEP_2) | instskip(NEXT) | instid1(VALU_DEP_1)
	v_mul_lo_u32 v41, v1, s6
	v_cmp_gt_u32_e32 vcc_lo, v41, v40
	s_and_b32 exec_lo, exec_lo, vcc_lo
	s_cbranch_execz .LBB929_6
; %bb.2:
	s_clause 0x3
	s_load_b32 s2, s[0:1], 0x30
	s_load_b128 s[24:27], s[0:1], 0x20
	s_load_b256 s[36:43], s[0:1], 0x0
	s_load_b64 s[28:29], s[0:1], 0x50
	s_waitcnt lgkmcnt(0)
	s_bitcmp0_b32 s2, 0
	s_mov_b32 s2, -1
	s_cbranch_scc0 .LBB929_4
; %bb.3:
	v_mov_b32_e32 v31, v0
	v_dual_mov_b32 v42, v0 :: v_dual_mov_b32 v1, s37
	v_mov_b32_e32 v0, s36
	v_dual_mov_b32 v2, s38 :: v_dual_mov_b32 v3, s39
	v_dual_mov_b32 v4, s42 :: v_dual_mov_b32 v5, s43
	v_dual_mov_b32 v6, s24 :: v_dual_mov_b32 v7, s25
	v_dual_mov_b32 v8, v40 :: v_dual_mov_b32 v9, v41
	v_dual_mov_b32 v10, s28 :: v_dual_mov_b32 v11, s29
	s_add_u32 s8, s0, 0x58
	s_addc_u32 s9, s1, 0
	s_mov_b32 s12, s14
	s_mov_b32 s13, s15
	s_getpc_b64 s[2:3]
	s_add_u32 s2, s2, _ZN7rocprim17ROCPRIM_400000_NS6detail26segmented_warp_sort_helperINS1_20WarpSortHelperConfigILj16ELj8ELj256EEEslLi256ELb1EvE4sortIPKsPsPKlPlEEvT_T0_T1_T2_jjjjRNS5_12storage_typeE@rel32@lo+4
	s_addc_u32 s3, s3, _ZN7rocprim17ROCPRIM_400000_NS6detail26segmented_warp_sort_helperINS1_20WarpSortHelperConfigILj16ELj8ELj256EEEslLi256ELb1EvE4sortIPKsPsPKlPlEEvT_T0_T1_T2_jjjjRNS5_12storage_typeE@rel32@hi+12
	s_mov_b64 s[24:25], s[0:1]
	s_mov_b32 s23, s15
	s_mov_b32 s33, s14
	s_swappc_b64 s[30:31], s[2:3]
	v_mov_b32_e32 v0, v42
	s_mov_b32 s14, s33
	s_mov_b32 s15, s23
	s_mov_b64 s[0:1], s[24:25]
	s_mov_b32 s2, 0
.LBB929_4:
	s_delay_alu instid0(SALU_CYCLE_1)
	s_and_not1_b32 vcc_lo, exec_lo, s2
	s_cbranch_vccnz .LBB929_6
; %bb.5:
	v_dual_mov_b32 v31, v0 :: v_dual_mov_b32 v0, s36
	v_dual_mov_b32 v1, s37 :: v_dual_mov_b32 v2, s40
	;; [unrolled: 1-line block ×6, first 2 shown]
	v_mov_b32_e32 v11, s29
	s_add_u32 s8, s0, 0x58
	s_addc_u32 s9, s1, 0
	s_mov_b32 s12, s14
	s_mov_b32 s13, s15
	s_getpc_b64 s[0:1]
	s_add_u32 s0, s0, _ZN7rocprim17ROCPRIM_400000_NS6detail26segmented_warp_sort_helperINS1_20WarpSortHelperConfigILj16ELj8ELj256EEEslLi256ELb1EvE4sortIPKsPsPKlPlEEvT_T0_T1_T2_jjjjRNS5_12storage_typeE@rel32@lo+4
	s_addc_u32 s1, s1, _ZN7rocprim17ROCPRIM_400000_NS6detail26segmented_warp_sort_helperINS1_20WarpSortHelperConfigILj16ELj8ELj256EEEslLi256ELb1EvE4sortIPKsPsPKlPlEEvT_T0_T1_T2_jjjjRNS5_12storage_typeE@rel32@hi+12
	s_delay_alu instid0(SALU_CYCLE_1)
	s_swappc_b64 s[30:31], s[0:1]
.LBB929_6:
	s_endpgm
	.section	.rodata,"a",@progbits
	.p2align	6, 0x0
	.amdhsa_kernel _ZN7rocprim17ROCPRIM_400000_NS6detail17trampoline_kernelINS0_14default_configENS1_36segmented_radix_sort_config_selectorIslEEZNS1_25segmented_radix_sort_implIS3_Lb1EPKsPsPKlPlN2at6native12_GLOBAL__N_18offset_tEEE10hipError_tPvRmT1_PNSt15iterator_traitsISK_E10value_typeET2_T3_PNSL_ISQ_E10value_typeET4_jRbjT5_SW_jjP12ihipStream_tbEUlT_E0_NS1_11comp_targetILNS1_3genE9ELNS1_11target_archE1100ELNS1_3gpuE3ELNS1_3repE0EEENS1_60segmented_radix_sort_warp_sort_medium_config_static_selectorELNS0_4arch9wavefront6targetE0EEEvSK_
		.amdhsa_group_segment_fixed_size 20480
		.amdhsa_private_segment_fixed_size 0
		.amdhsa_kernarg_size 344
		.amdhsa_user_sgpr_count 14
		.amdhsa_user_sgpr_dispatch_ptr 0
		.amdhsa_user_sgpr_queue_ptr 0
		.amdhsa_user_sgpr_kernarg_segment_ptr 1
		.amdhsa_user_sgpr_dispatch_id 0
		.amdhsa_user_sgpr_private_segment_size 0
		.amdhsa_wavefront_size32 1
		.amdhsa_uses_dynamic_stack 0
		.amdhsa_enable_private_segment 0
		.amdhsa_system_sgpr_workgroup_id_x 1
		.amdhsa_system_sgpr_workgroup_id_y 1
		.amdhsa_system_sgpr_workgroup_id_z 0
		.amdhsa_system_sgpr_workgroup_info 0
		.amdhsa_system_vgpr_workitem_id 2
		.amdhsa_next_free_vgpr 82
		.amdhsa_next_free_sgpr 44
		.amdhsa_reserve_vcc 1
		.amdhsa_float_round_mode_32 0
		.amdhsa_float_round_mode_16_64 0
		.amdhsa_float_denorm_mode_32 3
		.amdhsa_float_denorm_mode_16_64 3
		.amdhsa_dx10_clamp 1
		.amdhsa_ieee_mode 1
		.amdhsa_fp16_overflow 0
		.amdhsa_workgroup_processor_mode 1
		.amdhsa_memory_ordered 1
		.amdhsa_forward_progress 0
		.amdhsa_shared_vgpr_count 0
		.amdhsa_exception_fp_ieee_invalid_op 0
		.amdhsa_exception_fp_denorm_src 0
		.amdhsa_exception_fp_ieee_div_zero 0
		.amdhsa_exception_fp_ieee_overflow 0
		.amdhsa_exception_fp_ieee_underflow 0
		.amdhsa_exception_fp_ieee_inexact 0
		.amdhsa_exception_int_div_zero 0
	.end_amdhsa_kernel
	.section	.text._ZN7rocprim17ROCPRIM_400000_NS6detail17trampoline_kernelINS0_14default_configENS1_36segmented_radix_sort_config_selectorIslEEZNS1_25segmented_radix_sort_implIS3_Lb1EPKsPsPKlPlN2at6native12_GLOBAL__N_18offset_tEEE10hipError_tPvRmT1_PNSt15iterator_traitsISK_E10value_typeET2_T3_PNSL_ISQ_E10value_typeET4_jRbjT5_SW_jjP12ihipStream_tbEUlT_E0_NS1_11comp_targetILNS1_3genE9ELNS1_11target_archE1100ELNS1_3gpuE3ELNS1_3repE0EEENS1_60segmented_radix_sort_warp_sort_medium_config_static_selectorELNS0_4arch9wavefront6targetE0EEEvSK_,"axG",@progbits,_ZN7rocprim17ROCPRIM_400000_NS6detail17trampoline_kernelINS0_14default_configENS1_36segmented_radix_sort_config_selectorIslEEZNS1_25segmented_radix_sort_implIS3_Lb1EPKsPsPKlPlN2at6native12_GLOBAL__N_18offset_tEEE10hipError_tPvRmT1_PNSt15iterator_traitsISK_E10value_typeET2_T3_PNSL_ISQ_E10value_typeET4_jRbjT5_SW_jjP12ihipStream_tbEUlT_E0_NS1_11comp_targetILNS1_3genE9ELNS1_11target_archE1100ELNS1_3gpuE3ELNS1_3repE0EEENS1_60segmented_radix_sort_warp_sort_medium_config_static_selectorELNS0_4arch9wavefront6targetE0EEEvSK_,comdat
.Lfunc_end929:
	.size	_ZN7rocprim17ROCPRIM_400000_NS6detail17trampoline_kernelINS0_14default_configENS1_36segmented_radix_sort_config_selectorIslEEZNS1_25segmented_radix_sort_implIS3_Lb1EPKsPsPKlPlN2at6native12_GLOBAL__N_18offset_tEEE10hipError_tPvRmT1_PNSt15iterator_traitsISK_E10value_typeET2_T3_PNSL_ISQ_E10value_typeET4_jRbjT5_SW_jjP12ihipStream_tbEUlT_E0_NS1_11comp_targetILNS1_3genE9ELNS1_11target_archE1100ELNS1_3gpuE3ELNS1_3repE0EEENS1_60segmented_radix_sort_warp_sort_medium_config_static_selectorELNS0_4arch9wavefront6targetE0EEEvSK_, .Lfunc_end929-_ZN7rocprim17ROCPRIM_400000_NS6detail17trampoline_kernelINS0_14default_configENS1_36segmented_radix_sort_config_selectorIslEEZNS1_25segmented_radix_sort_implIS3_Lb1EPKsPsPKlPlN2at6native12_GLOBAL__N_18offset_tEEE10hipError_tPvRmT1_PNSt15iterator_traitsISK_E10value_typeET2_T3_PNSL_ISQ_E10value_typeET4_jRbjT5_SW_jjP12ihipStream_tbEUlT_E0_NS1_11comp_targetILNS1_3genE9ELNS1_11target_archE1100ELNS1_3gpuE3ELNS1_3repE0EEENS1_60segmented_radix_sort_warp_sort_medium_config_static_selectorELNS0_4arch9wavefront6targetE0EEEvSK_
                                        ; -- End function
	.section	.AMDGPU.csdata,"",@progbits
; Kernel info:
; codeLenInByte = 524
; NumSgprs: 46
; NumVgprs: 82
; ScratchSize: 0
; MemoryBound: 0
; FloatMode: 240
; IeeeMode: 1
; LDSByteSize: 20480 bytes/workgroup (compile time only)
; SGPRBlocks: 5
; VGPRBlocks: 10
; NumSGPRsForWavesPerEU: 46
; NumVGPRsForWavesPerEU: 82
; Occupancy: 12
; WaveLimiterHint : 0
; COMPUTE_PGM_RSRC2:SCRATCH_EN: 0
; COMPUTE_PGM_RSRC2:USER_SGPR: 14
; COMPUTE_PGM_RSRC2:TRAP_HANDLER: 0
; COMPUTE_PGM_RSRC2:TGID_X_EN: 1
; COMPUTE_PGM_RSRC2:TGID_Y_EN: 1
; COMPUTE_PGM_RSRC2:TGID_Z_EN: 0
; COMPUTE_PGM_RSRC2:TIDIG_COMP_CNT: 2
	.section	.text._ZN7rocprim17ROCPRIM_400000_NS6detail17trampoline_kernelINS0_14default_configENS1_36segmented_radix_sort_config_selectorIslEEZNS1_25segmented_radix_sort_implIS3_Lb1EPKsPsPKlPlN2at6native12_GLOBAL__N_18offset_tEEE10hipError_tPvRmT1_PNSt15iterator_traitsISK_E10value_typeET2_T3_PNSL_ISQ_E10value_typeET4_jRbjT5_SW_jjP12ihipStream_tbEUlT_E0_NS1_11comp_targetILNS1_3genE8ELNS1_11target_archE1030ELNS1_3gpuE2ELNS1_3repE0EEENS1_60segmented_radix_sort_warp_sort_medium_config_static_selectorELNS0_4arch9wavefront6targetE0EEEvSK_,"axG",@progbits,_ZN7rocprim17ROCPRIM_400000_NS6detail17trampoline_kernelINS0_14default_configENS1_36segmented_radix_sort_config_selectorIslEEZNS1_25segmented_radix_sort_implIS3_Lb1EPKsPsPKlPlN2at6native12_GLOBAL__N_18offset_tEEE10hipError_tPvRmT1_PNSt15iterator_traitsISK_E10value_typeET2_T3_PNSL_ISQ_E10value_typeET4_jRbjT5_SW_jjP12ihipStream_tbEUlT_E0_NS1_11comp_targetILNS1_3genE8ELNS1_11target_archE1030ELNS1_3gpuE2ELNS1_3repE0EEENS1_60segmented_radix_sort_warp_sort_medium_config_static_selectorELNS0_4arch9wavefront6targetE0EEEvSK_,comdat
	.globl	_ZN7rocprim17ROCPRIM_400000_NS6detail17trampoline_kernelINS0_14default_configENS1_36segmented_radix_sort_config_selectorIslEEZNS1_25segmented_radix_sort_implIS3_Lb1EPKsPsPKlPlN2at6native12_GLOBAL__N_18offset_tEEE10hipError_tPvRmT1_PNSt15iterator_traitsISK_E10value_typeET2_T3_PNSL_ISQ_E10value_typeET4_jRbjT5_SW_jjP12ihipStream_tbEUlT_E0_NS1_11comp_targetILNS1_3genE8ELNS1_11target_archE1030ELNS1_3gpuE2ELNS1_3repE0EEENS1_60segmented_radix_sort_warp_sort_medium_config_static_selectorELNS0_4arch9wavefront6targetE0EEEvSK_ ; -- Begin function _ZN7rocprim17ROCPRIM_400000_NS6detail17trampoline_kernelINS0_14default_configENS1_36segmented_radix_sort_config_selectorIslEEZNS1_25segmented_radix_sort_implIS3_Lb1EPKsPsPKlPlN2at6native12_GLOBAL__N_18offset_tEEE10hipError_tPvRmT1_PNSt15iterator_traitsISK_E10value_typeET2_T3_PNSL_ISQ_E10value_typeET4_jRbjT5_SW_jjP12ihipStream_tbEUlT_E0_NS1_11comp_targetILNS1_3genE8ELNS1_11target_archE1030ELNS1_3gpuE2ELNS1_3repE0EEENS1_60segmented_radix_sort_warp_sort_medium_config_static_selectorELNS0_4arch9wavefront6targetE0EEEvSK_
	.p2align	8
	.type	_ZN7rocprim17ROCPRIM_400000_NS6detail17trampoline_kernelINS0_14default_configENS1_36segmented_radix_sort_config_selectorIslEEZNS1_25segmented_radix_sort_implIS3_Lb1EPKsPsPKlPlN2at6native12_GLOBAL__N_18offset_tEEE10hipError_tPvRmT1_PNSt15iterator_traitsISK_E10value_typeET2_T3_PNSL_ISQ_E10value_typeET4_jRbjT5_SW_jjP12ihipStream_tbEUlT_E0_NS1_11comp_targetILNS1_3genE8ELNS1_11target_archE1030ELNS1_3gpuE2ELNS1_3repE0EEENS1_60segmented_radix_sort_warp_sort_medium_config_static_selectorELNS0_4arch9wavefront6targetE0EEEvSK_,@function
_ZN7rocprim17ROCPRIM_400000_NS6detail17trampoline_kernelINS0_14default_configENS1_36segmented_radix_sort_config_selectorIslEEZNS1_25segmented_radix_sort_implIS3_Lb1EPKsPsPKlPlN2at6native12_GLOBAL__N_18offset_tEEE10hipError_tPvRmT1_PNSt15iterator_traitsISK_E10value_typeET2_T3_PNSL_ISQ_E10value_typeET4_jRbjT5_SW_jjP12ihipStream_tbEUlT_E0_NS1_11comp_targetILNS1_3genE8ELNS1_11target_archE1030ELNS1_3gpuE2ELNS1_3repE0EEENS1_60segmented_radix_sort_warp_sort_medium_config_static_selectorELNS0_4arch9wavefront6targetE0EEEvSK_: ; @_ZN7rocprim17ROCPRIM_400000_NS6detail17trampoline_kernelINS0_14default_configENS1_36segmented_radix_sort_config_selectorIslEEZNS1_25segmented_radix_sort_implIS3_Lb1EPKsPsPKlPlN2at6native12_GLOBAL__N_18offset_tEEE10hipError_tPvRmT1_PNSt15iterator_traitsISK_E10value_typeET2_T3_PNSL_ISQ_E10value_typeET4_jRbjT5_SW_jjP12ihipStream_tbEUlT_E0_NS1_11comp_targetILNS1_3genE8ELNS1_11target_archE1030ELNS1_3gpuE2ELNS1_3repE0EEENS1_60segmented_radix_sort_warp_sort_medium_config_static_selectorELNS0_4arch9wavefront6targetE0EEEvSK_
; %bb.0:
	.section	.rodata,"a",@progbits
	.p2align	6, 0x0
	.amdhsa_kernel _ZN7rocprim17ROCPRIM_400000_NS6detail17trampoline_kernelINS0_14default_configENS1_36segmented_radix_sort_config_selectorIslEEZNS1_25segmented_radix_sort_implIS3_Lb1EPKsPsPKlPlN2at6native12_GLOBAL__N_18offset_tEEE10hipError_tPvRmT1_PNSt15iterator_traitsISK_E10value_typeET2_T3_PNSL_ISQ_E10value_typeET4_jRbjT5_SW_jjP12ihipStream_tbEUlT_E0_NS1_11comp_targetILNS1_3genE8ELNS1_11target_archE1030ELNS1_3gpuE2ELNS1_3repE0EEENS1_60segmented_radix_sort_warp_sort_medium_config_static_selectorELNS0_4arch9wavefront6targetE0EEEvSK_
		.amdhsa_group_segment_fixed_size 0
		.amdhsa_private_segment_fixed_size 0
		.amdhsa_kernarg_size 88
		.amdhsa_user_sgpr_count 15
		.amdhsa_user_sgpr_dispatch_ptr 0
		.amdhsa_user_sgpr_queue_ptr 0
		.amdhsa_user_sgpr_kernarg_segment_ptr 1
		.amdhsa_user_sgpr_dispatch_id 0
		.amdhsa_user_sgpr_private_segment_size 0
		.amdhsa_wavefront_size32 1
		.amdhsa_uses_dynamic_stack 0
		.amdhsa_enable_private_segment 0
		.amdhsa_system_sgpr_workgroup_id_x 1
		.amdhsa_system_sgpr_workgroup_id_y 0
		.amdhsa_system_sgpr_workgroup_id_z 0
		.amdhsa_system_sgpr_workgroup_info 0
		.amdhsa_system_vgpr_workitem_id 0
		.amdhsa_next_free_vgpr 1
		.amdhsa_next_free_sgpr 1
		.amdhsa_reserve_vcc 0
		.amdhsa_float_round_mode_32 0
		.amdhsa_float_round_mode_16_64 0
		.amdhsa_float_denorm_mode_32 3
		.amdhsa_float_denorm_mode_16_64 3
		.amdhsa_dx10_clamp 1
		.amdhsa_ieee_mode 1
		.amdhsa_fp16_overflow 0
		.amdhsa_workgroup_processor_mode 1
		.amdhsa_memory_ordered 1
		.amdhsa_forward_progress 0
		.amdhsa_shared_vgpr_count 0
		.amdhsa_exception_fp_ieee_invalid_op 0
		.amdhsa_exception_fp_denorm_src 0
		.amdhsa_exception_fp_ieee_div_zero 0
		.amdhsa_exception_fp_ieee_overflow 0
		.amdhsa_exception_fp_ieee_underflow 0
		.amdhsa_exception_fp_ieee_inexact 0
		.amdhsa_exception_int_div_zero 0
	.end_amdhsa_kernel
	.section	.text._ZN7rocprim17ROCPRIM_400000_NS6detail17trampoline_kernelINS0_14default_configENS1_36segmented_radix_sort_config_selectorIslEEZNS1_25segmented_radix_sort_implIS3_Lb1EPKsPsPKlPlN2at6native12_GLOBAL__N_18offset_tEEE10hipError_tPvRmT1_PNSt15iterator_traitsISK_E10value_typeET2_T3_PNSL_ISQ_E10value_typeET4_jRbjT5_SW_jjP12ihipStream_tbEUlT_E0_NS1_11comp_targetILNS1_3genE8ELNS1_11target_archE1030ELNS1_3gpuE2ELNS1_3repE0EEENS1_60segmented_radix_sort_warp_sort_medium_config_static_selectorELNS0_4arch9wavefront6targetE0EEEvSK_,"axG",@progbits,_ZN7rocprim17ROCPRIM_400000_NS6detail17trampoline_kernelINS0_14default_configENS1_36segmented_radix_sort_config_selectorIslEEZNS1_25segmented_radix_sort_implIS3_Lb1EPKsPsPKlPlN2at6native12_GLOBAL__N_18offset_tEEE10hipError_tPvRmT1_PNSt15iterator_traitsISK_E10value_typeET2_T3_PNSL_ISQ_E10value_typeET4_jRbjT5_SW_jjP12ihipStream_tbEUlT_E0_NS1_11comp_targetILNS1_3genE8ELNS1_11target_archE1030ELNS1_3gpuE2ELNS1_3repE0EEENS1_60segmented_radix_sort_warp_sort_medium_config_static_selectorELNS0_4arch9wavefront6targetE0EEEvSK_,comdat
.Lfunc_end930:
	.size	_ZN7rocprim17ROCPRIM_400000_NS6detail17trampoline_kernelINS0_14default_configENS1_36segmented_radix_sort_config_selectorIslEEZNS1_25segmented_radix_sort_implIS3_Lb1EPKsPsPKlPlN2at6native12_GLOBAL__N_18offset_tEEE10hipError_tPvRmT1_PNSt15iterator_traitsISK_E10value_typeET2_T3_PNSL_ISQ_E10value_typeET4_jRbjT5_SW_jjP12ihipStream_tbEUlT_E0_NS1_11comp_targetILNS1_3genE8ELNS1_11target_archE1030ELNS1_3gpuE2ELNS1_3repE0EEENS1_60segmented_radix_sort_warp_sort_medium_config_static_selectorELNS0_4arch9wavefront6targetE0EEEvSK_, .Lfunc_end930-_ZN7rocprim17ROCPRIM_400000_NS6detail17trampoline_kernelINS0_14default_configENS1_36segmented_radix_sort_config_selectorIslEEZNS1_25segmented_radix_sort_implIS3_Lb1EPKsPsPKlPlN2at6native12_GLOBAL__N_18offset_tEEE10hipError_tPvRmT1_PNSt15iterator_traitsISK_E10value_typeET2_T3_PNSL_ISQ_E10value_typeET4_jRbjT5_SW_jjP12ihipStream_tbEUlT_E0_NS1_11comp_targetILNS1_3genE8ELNS1_11target_archE1030ELNS1_3gpuE2ELNS1_3repE0EEENS1_60segmented_radix_sort_warp_sort_medium_config_static_selectorELNS0_4arch9wavefront6targetE0EEEvSK_
                                        ; -- End function
	.section	.AMDGPU.csdata,"",@progbits
; Kernel info:
; codeLenInByte = 0
; NumSgprs: 0
; NumVgprs: 0
; ScratchSize: 0
; MemoryBound: 0
; FloatMode: 240
; IeeeMode: 1
; LDSByteSize: 0 bytes/workgroup (compile time only)
; SGPRBlocks: 0
; VGPRBlocks: 0
; NumSGPRsForWavesPerEU: 1
; NumVGPRsForWavesPerEU: 1
; Occupancy: 16
; WaveLimiterHint : 0
; COMPUTE_PGM_RSRC2:SCRATCH_EN: 0
; COMPUTE_PGM_RSRC2:USER_SGPR: 15
; COMPUTE_PGM_RSRC2:TRAP_HANDLER: 0
; COMPUTE_PGM_RSRC2:TGID_X_EN: 1
; COMPUTE_PGM_RSRC2:TGID_Y_EN: 0
; COMPUTE_PGM_RSRC2:TGID_Z_EN: 0
; COMPUTE_PGM_RSRC2:TIDIG_COMP_CNT: 0
	.section	.text._ZN7rocprim17ROCPRIM_400000_NS6detail17trampoline_kernelINS0_14default_configENS1_36segmented_radix_sort_config_selectorIslEEZNS1_25segmented_radix_sort_implIS3_Lb1EPKsPsPKlPlN2at6native12_GLOBAL__N_18offset_tEEE10hipError_tPvRmT1_PNSt15iterator_traitsISK_E10value_typeET2_T3_PNSL_ISQ_E10value_typeET4_jRbjT5_SW_jjP12ihipStream_tbEUlT_E1_NS1_11comp_targetILNS1_3genE0ELNS1_11target_archE4294967295ELNS1_3gpuE0ELNS1_3repE0EEENS1_59segmented_radix_sort_warp_sort_small_config_static_selectorELNS0_4arch9wavefront6targetE0EEEvSK_,"axG",@progbits,_ZN7rocprim17ROCPRIM_400000_NS6detail17trampoline_kernelINS0_14default_configENS1_36segmented_radix_sort_config_selectorIslEEZNS1_25segmented_radix_sort_implIS3_Lb1EPKsPsPKlPlN2at6native12_GLOBAL__N_18offset_tEEE10hipError_tPvRmT1_PNSt15iterator_traitsISK_E10value_typeET2_T3_PNSL_ISQ_E10value_typeET4_jRbjT5_SW_jjP12ihipStream_tbEUlT_E1_NS1_11comp_targetILNS1_3genE0ELNS1_11target_archE4294967295ELNS1_3gpuE0ELNS1_3repE0EEENS1_59segmented_radix_sort_warp_sort_small_config_static_selectorELNS0_4arch9wavefront6targetE0EEEvSK_,comdat
	.globl	_ZN7rocprim17ROCPRIM_400000_NS6detail17trampoline_kernelINS0_14default_configENS1_36segmented_radix_sort_config_selectorIslEEZNS1_25segmented_radix_sort_implIS3_Lb1EPKsPsPKlPlN2at6native12_GLOBAL__N_18offset_tEEE10hipError_tPvRmT1_PNSt15iterator_traitsISK_E10value_typeET2_T3_PNSL_ISQ_E10value_typeET4_jRbjT5_SW_jjP12ihipStream_tbEUlT_E1_NS1_11comp_targetILNS1_3genE0ELNS1_11target_archE4294967295ELNS1_3gpuE0ELNS1_3repE0EEENS1_59segmented_radix_sort_warp_sort_small_config_static_selectorELNS0_4arch9wavefront6targetE0EEEvSK_ ; -- Begin function _ZN7rocprim17ROCPRIM_400000_NS6detail17trampoline_kernelINS0_14default_configENS1_36segmented_radix_sort_config_selectorIslEEZNS1_25segmented_radix_sort_implIS3_Lb1EPKsPsPKlPlN2at6native12_GLOBAL__N_18offset_tEEE10hipError_tPvRmT1_PNSt15iterator_traitsISK_E10value_typeET2_T3_PNSL_ISQ_E10value_typeET4_jRbjT5_SW_jjP12ihipStream_tbEUlT_E1_NS1_11comp_targetILNS1_3genE0ELNS1_11target_archE4294967295ELNS1_3gpuE0ELNS1_3repE0EEENS1_59segmented_radix_sort_warp_sort_small_config_static_selectorELNS0_4arch9wavefront6targetE0EEEvSK_
	.p2align	8
	.type	_ZN7rocprim17ROCPRIM_400000_NS6detail17trampoline_kernelINS0_14default_configENS1_36segmented_radix_sort_config_selectorIslEEZNS1_25segmented_radix_sort_implIS3_Lb1EPKsPsPKlPlN2at6native12_GLOBAL__N_18offset_tEEE10hipError_tPvRmT1_PNSt15iterator_traitsISK_E10value_typeET2_T3_PNSL_ISQ_E10value_typeET4_jRbjT5_SW_jjP12ihipStream_tbEUlT_E1_NS1_11comp_targetILNS1_3genE0ELNS1_11target_archE4294967295ELNS1_3gpuE0ELNS1_3repE0EEENS1_59segmented_radix_sort_warp_sort_small_config_static_selectorELNS0_4arch9wavefront6targetE0EEEvSK_,@function
_ZN7rocprim17ROCPRIM_400000_NS6detail17trampoline_kernelINS0_14default_configENS1_36segmented_radix_sort_config_selectorIslEEZNS1_25segmented_radix_sort_implIS3_Lb1EPKsPsPKlPlN2at6native12_GLOBAL__N_18offset_tEEE10hipError_tPvRmT1_PNSt15iterator_traitsISK_E10value_typeET2_T3_PNSL_ISQ_E10value_typeET4_jRbjT5_SW_jjP12ihipStream_tbEUlT_E1_NS1_11comp_targetILNS1_3genE0ELNS1_11target_archE4294967295ELNS1_3gpuE0ELNS1_3repE0EEENS1_59segmented_radix_sort_warp_sort_small_config_static_selectorELNS0_4arch9wavefront6targetE0EEEvSK_: ; @_ZN7rocprim17ROCPRIM_400000_NS6detail17trampoline_kernelINS0_14default_configENS1_36segmented_radix_sort_config_selectorIslEEZNS1_25segmented_radix_sort_implIS3_Lb1EPKsPsPKlPlN2at6native12_GLOBAL__N_18offset_tEEE10hipError_tPvRmT1_PNSt15iterator_traitsISK_E10value_typeET2_T3_PNSL_ISQ_E10value_typeET4_jRbjT5_SW_jjP12ihipStream_tbEUlT_E1_NS1_11comp_targetILNS1_3genE0ELNS1_11target_archE4294967295ELNS1_3gpuE0ELNS1_3repE0EEENS1_59segmented_radix_sort_warp_sort_small_config_static_selectorELNS0_4arch9wavefront6targetE0EEEvSK_
; %bb.0:
	.section	.rodata,"a",@progbits
	.p2align	6, 0x0
	.amdhsa_kernel _ZN7rocprim17ROCPRIM_400000_NS6detail17trampoline_kernelINS0_14default_configENS1_36segmented_radix_sort_config_selectorIslEEZNS1_25segmented_radix_sort_implIS3_Lb1EPKsPsPKlPlN2at6native12_GLOBAL__N_18offset_tEEE10hipError_tPvRmT1_PNSt15iterator_traitsISK_E10value_typeET2_T3_PNSL_ISQ_E10value_typeET4_jRbjT5_SW_jjP12ihipStream_tbEUlT_E1_NS1_11comp_targetILNS1_3genE0ELNS1_11target_archE4294967295ELNS1_3gpuE0ELNS1_3repE0EEENS1_59segmented_radix_sort_warp_sort_small_config_static_selectorELNS0_4arch9wavefront6targetE0EEEvSK_
		.amdhsa_group_segment_fixed_size 0
		.amdhsa_private_segment_fixed_size 0
		.amdhsa_kernarg_size 88
		.amdhsa_user_sgpr_count 15
		.amdhsa_user_sgpr_dispatch_ptr 0
		.amdhsa_user_sgpr_queue_ptr 0
		.amdhsa_user_sgpr_kernarg_segment_ptr 1
		.amdhsa_user_sgpr_dispatch_id 0
		.amdhsa_user_sgpr_private_segment_size 0
		.amdhsa_wavefront_size32 1
		.amdhsa_uses_dynamic_stack 0
		.amdhsa_enable_private_segment 0
		.amdhsa_system_sgpr_workgroup_id_x 1
		.amdhsa_system_sgpr_workgroup_id_y 0
		.amdhsa_system_sgpr_workgroup_id_z 0
		.amdhsa_system_sgpr_workgroup_info 0
		.amdhsa_system_vgpr_workitem_id 0
		.amdhsa_next_free_vgpr 1
		.amdhsa_next_free_sgpr 1
		.amdhsa_reserve_vcc 0
		.amdhsa_float_round_mode_32 0
		.amdhsa_float_round_mode_16_64 0
		.amdhsa_float_denorm_mode_32 3
		.amdhsa_float_denorm_mode_16_64 3
		.amdhsa_dx10_clamp 1
		.amdhsa_ieee_mode 1
		.amdhsa_fp16_overflow 0
		.amdhsa_workgroup_processor_mode 1
		.amdhsa_memory_ordered 1
		.amdhsa_forward_progress 0
		.amdhsa_shared_vgpr_count 0
		.amdhsa_exception_fp_ieee_invalid_op 0
		.amdhsa_exception_fp_denorm_src 0
		.amdhsa_exception_fp_ieee_div_zero 0
		.amdhsa_exception_fp_ieee_overflow 0
		.amdhsa_exception_fp_ieee_underflow 0
		.amdhsa_exception_fp_ieee_inexact 0
		.amdhsa_exception_int_div_zero 0
	.end_amdhsa_kernel
	.section	.text._ZN7rocprim17ROCPRIM_400000_NS6detail17trampoline_kernelINS0_14default_configENS1_36segmented_radix_sort_config_selectorIslEEZNS1_25segmented_radix_sort_implIS3_Lb1EPKsPsPKlPlN2at6native12_GLOBAL__N_18offset_tEEE10hipError_tPvRmT1_PNSt15iterator_traitsISK_E10value_typeET2_T3_PNSL_ISQ_E10value_typeET4_jRbjT5_SW_jjP12ihipStream_tbEUlT_E1_NS1_11comp_targetILNS1_3genE0ELNS1_11target_archE4294967295ELNS1_3gpuE0ELNS1_3repE0EEENS1_59segmented_radix_sort_warp_sort_small_config_static_selectorELNS0_4arch9wavefront6targetE0EEEvSK_,"axG",@progbits,_ZN7rocprim17ROCPRIM_400000_NS6detail17trampoline_kernelINS0_14default_configENS1_36segmented_radix_sort_config_selectorIslEEZNS1_25segmented_radix_sort_implIS3_Lb1EPKsPsPKlPlN2at6native12_GLOBAL__N_18offset_tEEE10hipError_tPvRmT1_PNSt15iterator_traitsISK_E10value_typeET2_T3_PNSL_ISQ_E10value_typeET4_jRbjT5_SW_jjP12ihipStream_tbEUlT_E1_NS1_11comp_targetILNS1_3genE0ELNS1_11target_archE4294967295ELNS1_3gpuE0ELNS1_3repE0EEENS1_59segmented_radix_sort_warp_sort_small_config_static_selectorELNS0_4arch9wavefront6targetE0EEEvSK_,comdat
.Lfunc_end931:
	.size	_ZN7rocprim17ROCPRIM_400000_NS6detail17trampoline_kernelINS0_14default_configENS1_36segmented_radix_sort_config_selectorIslEEZNS1_25segmented_radix_sort_implIS3_Lb1EPKsPsPKlPlN2at6native12_GLOBAL__N_18offset_tEEE10hipError_tPvRmT1_PNSt15iterator_traitsISK_E10value_typeET2_T3_PNSL_ISQ_E10value_typeET4_jRbjT5_SW_jjP12ihipStream_tbEUlT_E1_NS1_11comp_targetILNS1_3genE0ELNS1_11target_archE4294967295ELNS1_3gpuE0ELNS1_3repE0EEENS1_59segmented_radix_sort_warp_sort_small_config_static_selectorELNS0_4arch9wavefront6targetE0EEEvSK_, .Lfunc_end931-_ZN7rocprim17ROCPRIM_400000_NS6detail17trampoline_kernelINS0_14default_configENS1_36segmented_radix_sort_config_selectorIslEEZNS1_25segmented_radix_sort_implIS3_Lb1EPKsPsPKlPlN2at6native12_GLOBAL__N_18offset_tEEE10hipError_tPvRmT1_PNSt15iterator_traitsISK_E10value_typeET2_T3_PNSL_ISQ_E10value_typeET4_jRbjT5_SW_jjP12ihipStream_tbEUlT_E1_NS1_11comp_targetILNS1_3genE0ELNS1_11target_archE4294967295ELNS1_3gpuE0ELNS1_3repE0EEENS1_59segmented_radix_sort_warp_sort_small_config_static_selectorELNS0_4arch9wavefront6targetE0EEEvSK_
                                        ; -- End function
	.section	.AMDGPU.csdata,"",@progbits
; Kernel info:
; codeLenInByte = 0
; NumSgprs: 0
; NumVgprs: 0
; ScratchSize: 0
; MemoryBound: 0
; FloatMode: 240
; IeeeMode: 1
; LDSByteSize: 0 bytes/workgroup (compile time only)
; SGPRBlocks: 0
; VGPRBlocks: 0
; NumSGPRsForWavesPerEU: 1
; NumVGPRsForWavesPerEU: 1
; Occupancy: 16
; WaveLimiterHint : 0
; COMPUTE_PGM_RSRC2:SCRATCH_EN: 0
; COMPUTE_PGM_RSRC2:USER_SGPR: 15
; COMPUTE_PGM_RSRC2:TRAP_HANDLER: 0
; COMPUTE_PGM_RSRC2:TGID_X_EN: 1
; COMPUTE_PGM_RSRC2:TGID_Y_EN: 0
; COMPUTE_PGM_RSRC2:TGID_Z_EN: 0
; COMPUTE_PGM_RSRC2:TIDIG_COMP_CNT: 0
	.section	.text._ZN7rocprim17ROCPRIM_400000_NS6detail17trampoline_kernelINS0_14default_configENS1_36segmented_radix_sort_config_selectorIslEEZNS1_25segmented_radix_sort_implIS3_Lb1EPKsPsPKlPlN2at6native12_GLOBAL__N_18offset_tEEE10hipError_tPvRmT1_PNSt15iterator_traitsISK_E10value_typeET2_T3_PNSL_ISQ_E10value_typeET4_jRbjT5_SW_jjP12ihipStream_tbEUlT_E1_NS1_11comp_targetILNS1_3genE5ELNS1_11target_archE942ELNS1_3gpuE9ELNS1_3repE0EEENS1_59segmented_radix_sort_warp_sort_small_config_static_selectorELNS0_4arch9wavefront6targetE0EEEvSK_,"axG",@progbits,_ZN7rocprim17ROCPRIM_400000_NS6detail17trampoline_kernelINS0_14default_configENS1_36segmented_radix_sort_config_selectorIslEEZNS1_25segmented_radix_sort_implIS3_Lb1EPKsPsPKlPlN2at6native12_GLOBAL__N_18offset_tEEE10hipError_tPvRmT1_PNSt15iterator_traitsISK_E10value_typeET2_T3_PNSL_ISQ_E10value_typeET4_jRbjT5_SW_jjP12ihipStream_tbEUlT_E1_NS1_11comp_targetILNS1_3genE5ELNS1_11target_archE942ELNS1_3gpuE9ELNS1_3repE0EEENS1_59segmented_radix_sort_warp_sort_small_config_static_selectorELNS0_4arch9wavefront6targetE0EEEvSK_,comdat
	.globl	_ZN7rocprim17ROCPRIM_400000_NS6detail17trampoline_kernelINS0_14default_configENS1_36segmented_radix_sort_config_selectorIslEEZNS1_25segmented_radix_sort_implIS3_Lb1EPKsPsPKlPlN2at6native12_GLOBAL__N_18offset_tEEE10hipError_tPvRmT1_PNSt15iterator_traitsISK_E10value_typeET2_T3_PNSL_ISQ_E10value_typeET4_jRbjT5_SW_jjP12ihipStream_tbEUlT_E1_NS1_11comp_targetILNS1_3genE5ELNS1_11target_archE942ELNS1_3gpuE9ELNS1_3repE0EEENS1_59segmented_radix_sort_warp_sort_small_config_static_selectorELNS0_4arch9wavefront6targetE0EEEvSK_ ; -- Begin function _ZN7rocprim17ROCPRIM_400000_NS6detail17trampoline_kernelINS0_14default_configENS1_36segmented_radix_sort_config_selectorIslEEZNS1_25segmented_radix_sort_implIS3_Lb1EPKsPsPKlPlN2at6native12_GLOBAL__N_18offset_tEEE10hipError_tPvRmT1_PNSt15iterator_traitsISK_E10value_typeET2_T3_PNSL_ISQ_E10value_typeET4_jRbjT5_SW_jjP12ihipStream_tbEUlT_E1_NS1_11comp_targetILNS1_3genE5ELNS1_11target_archE942ELNS1_3gpuE9ELNS1_3repE0EEENS1_59segmented_radix_sort_warp_sort_small_config_static_selectorELNS0_4arch9wavefront6targetE0EEEvSK_
	.p2align	8
	.type	_ZN7rocprim17ROCPRIM_400000_NS6detail17trampoline_kernelINS0_14default_configENS1_36segmented_radix_sort_config_selectorIslEEZNS1_25segmented_radix_sort_implIS3_Lb1EPKsPsPKlPlN2at6native12_GLOBAL__N_18offset_tEEE10hipError_tPvRmT1_PNSt15iterator_traitsISK_E10value_typeET2_T3_PNSL_ISQ_E10value_typeET4_jRbjT5_SW_jjP12ihipStream_tbEUlT_E1_NS1_11comp_targetILNS1_3genE5ELNS1_11target_archE942ELNS1_3gpuE9ELNS1_3repE0EEENS1_59segmented_radix_sort_warp_sort_small_config_static_selectorELNS0_4arch9wavefront6targetE0EEEvSK_,@function
_ZN7rocprim17ROCPRIM_400000_NS6detail17trampoline_kernelINS0_14default_configENS1_36segmented_radix_sort_config_selectorIslEEZNS1_25segmented_radix_sort_implIS3_Lb1EPKsPsPKlPlN2at6native12_GLOBAL__N_18offset_tEEE10hipError_tPvRmT1_PNSt15iterator_traitsISK_E10value_typeET2_T3_PNSL_ISQ_E10value_typeET4_jRbjT5_SW_jjP12ihipStream_tbEUlT_E1_NS1_11comp_targetILNS1_3genE5ELNS1_11target_archE942ELNS1_3gpuE9ELNS1_3repE0EEENS1_59segmented_radix_sort_warp_sort_small_config_static_selectorELNS0_4arch9wavefront6targetE0EEEvSK_: ; @_ZN7rocprim17ROCPRIM_400000_NS6detail17trampoline_kernelINS0_14default_configENS1_36segmented_radix_sort_config_selectorIslEEZNS1_25segmented_radix_sort_implIS3_Lb1EPKsPsPKlPlN2at6native12_GLOBAL__N_18offset_tEEE10hipError_tPvRmT1_PNSt15iterator_traitsISK_E10value_typeET2_T3_PNSL_ISQ_E10value_typeET4_jRbjT5_SW_jjP12ihipStream_tbEUlT_E1_NS1_11comp_targetILNS1_3genE5ELNS1_11target_archE942ELNS1_3gpuE9ELNS1_3repE0EEENS1_59segmented_radix_sort_warp_sort_small_config_static_selectorELNS0_4arch9wavefront6targetE0EEEvSK_
; %bb.0:
	.section	.rodata,"a",@progbits
	.p2align	6, 0x0
	.amdhsa_kernel _ZN7rocprim17ROCPRIM_400000_NS6detail17trampoline_kernelINS0_14default_configENS1_36segmented_radix_sort_config_selectorIslEEZNS1_25segmented_radix_sort_implIS3_Lb1EPKsPsPKlPlN2at6native12_GLOBAL__N_18offset_tEEE10hipError_tPvRmT1_PNSt15iterator_traitsISK_E10value_typeET2_T3_PNSL_ISQ_E10value_typeET4_jRbjT5_SW_jjP12ihipStream_tbEUlT_E1_NS1_11comp_targetILNS1_3genE5ELNS1_11target_archE942ELNS1_3gpuE9ELNS1_3repE0EEENS1_59segmented_radix_sort_warp_sort_small_config_static_selectorELNS0_4arch9wavefront6targetE0EEEvSK_
		.amdhsa_group_segment_fixed_size 0
		.amdhsa_private_segment_fixed_size 0
		.amdhsa_kernarg_size 88
		.amdhsa_user_sgpr_count 15
		.amdhsa_user_sgpr_dispatch_ptr 0
		.amdhsa_user_sgpr_queue_ptr 0
		.amdhsa_user_sgpr_kernarg_segment_ptr 1
		.amdhsa_user_sgpr_dispatch_id 0
		.amdhsa_user_sgpr_private_segment_size 0
		.amdhsa_wavefront_size32 1
		.amdhsa_uses_dynamic_stack 0
		.amdhsa_enable_private_segment 0
		.amdhsa_system_sgpr_workgroup_id_x 1
		.amdhsa_system_sgpr_workgroup_id_y 0
		.amdhsa_system_sgpr_workgroup_id_z 0
		.amdhsa_system_sgpr_workgroup_info 0
		.amdhsa_system_vgpr_workitem_id 0
		.amdhsa_next_free_vgpr 1
		.amdhsa_next_free_sgpr 1
		.amdhsa_reserve_vcc 0
		.amdhsa_float_round_mode_32 0
		.amdhsa_float_round_mode_16_64 0
		.amdhsa_float_denorm_mode_32 3
		.amdhsa_float_denorm_mode_16_64 3
		.amdhsa_dx10_clamp 1
		.amdhsa_ieee_mode 1
		.amdhsa_fp16_overflow 0
		.amdhsa_workgroup_processor_mode 1
		.amdhsa_memory_ordered 1
		.amdhsa_forward_progress 0
		.amdhsa_shared_vgpr_count 0
		.amdhsa_exception_fp_ieee_invalid_op 0
		.amdhsa_exception_fp_denorm_src 0
		.amdhsa_exception_fp_ieee_div_zero 0
		.amdhsa_exception_fp_ieee_overflow 0
		.amdhsa_exception_fp_ieee_underflow 0
		.amdhsa_exception_fp_ieee_inexact 0
		.amdhsa_exception_int_div_zero 0
	.end_amdhsa_kernel
	.section	.text._ZN7rocprim17ROCPRIM_400000_NS6detail17trampoline_kernelINS0_14default_configENS1_36segmented_radix_sort_config_selectorIslEEZNS1_25segmented_radix_sort_implIS3_Lb1EPKsPsPKlPlN2at6native12_GLOBAL__N_18offset_tEEE10hipError_tPvRmT1_PNSt15iterator_traitsISK_E10value_typeET2_T3_PNSL_ISQ_E10value_typeET4_jRbjT5_SW_jjP12ihipStream_tbEUlT_E1_NS1_11comp_targetILNS1_3genE5ELNS1_11target_archE942ELNS1_3gpuE9ELNS1_3repE0EEENS1_59segmented_radix_sort_warp_sort_small_config_static_selectorELNS0_4arch9wavefront6targetE0EEEvSK_,"axG",@progbits,_ZN7rocprim17ROCPRIM_400000_NS6detail17trampoline_kernelINS0_14default_configENS1_36segmented_radix_sort_config_selectorIslEEZNS1_25segmented_radix_sort_implIS3_Lb1EPKsPsPKlPlN2at6native12_GLOBAL__N_18offset_tEEE10hipError_tPvRmT1_PNSt15iterator_traitsISK_E10value_typeET2_T3_PNSL_ISQ_E10value_typeET4_jRbjT5_SW_jjP12ihipStream_tbEUlT_E1_NS1_11comp_targetILNS1_3genE5ELNS1_11target_archE942ELNS1_3gpuE9ELNS1_3repE0EEENS1_59segmented_radix_sort_warp_sort_small_config_static_selectorELNS0_4arch9wavefront6targetE0EEEvSK_,comdat
.Lfunc_end932:
	.size	_ZN7rocprim17ROCPRIM_400000_NS6detail17trampoline_kernelINS0_14default_configENS1_36segmented_radix_sort_config_selectorIslEEZNS1_25segmented_radix_sort_implIS3_Lb1EPKsPsPKlPlN2at6native12_GLOBAL__N_18offset_tEEE10hipError_tPvRmT1_PNSt15iterator_traitsISK_E10value_typeET2_T3_PNSL_ISQ_E10value_typeET4_jRbjT5_SW_jjP12ihipStream_tbEUlT_E1_NS1_11comp_targetILNS1_3genE5ELNS1_11target_archE942ELNS1_3gpuE9ELNS1_3repE0EEENS1_59segmented_radix_sort_warp_sort_small_config_static_selectorELNS0_4arch9wavefront6targetE0EEEvSK_, .Lfunc_end932-_ZN7rocprim17ROCPRIM_400000_NS6detail17trampoline_kernelINS0_14default_configENS1_36segmented_radix_sort_config_selectorIslEEZNS1_25segmented_radix_sort_implIS3_Lb1EPKsPsPKlPlN2at6native12_GLOBAL__N_18offset_tEEE10hipError_tPvRmT1_PNSt15iterator_traitsISK_E10value_typeET2_T3_PNSL_ISQ_E10value_typeET4_jRbjT5_SW_jjP12ihipStream_tbEUlT_E1_NS1_11comp_targetILNS1_3genE5ELNS1_11target_archE942ELNS1_3gpuE9ELNS1_3repE0EEENS1_59segmented_radix_sort_warp_sort_small_config_static_selectorELNS0_4arch9wavefront6targetE0EEEvSK_
                                        ; -- End function
	.section	.AMDGPU.csdata,"",@progbits
; Kernel info:
; codeLenInByte = 0
; NumSgprs: 0
; NumVgprs: 0
; ScratchSize: 0
; MemoryBound: 0
; FloatMode: 240
; IeeeMode: 1
; LDSByteSize: 0 bytes/workgroup (compile time only)
; SGPRBlocks: 0
; VGPRBlocks: 0
; NumSGPRsForWavesPerEU: 1
; NumVGPRsForWavesPerEU: 1
; Occupancy: 16
; WaveLimiterHint : 0
; COMPUTE_PGM_RSRC2:SCRATCH_EN: 0
; COMPUTE_PGM_RSRC2:USER_SGPR: 15
; COMPUTE_PGM_RSRC2:TRAP_HANDLER: 0
; COMPUTE_PGM_RSRC2:TGID_X_EN: 1
; COMPUTE_PGM_RSRC2:TGID_Y_EN: 0
; COMPUTE_PGM_RSRC2:TGID_Z_EN: 0
; COMPUTE_PGM_RSRC2:TIDIG_COMP_CNT: 0
	.section	.text._ZN7rocprim17ROCPRIM_400000_NS6detail17trampoline_kernelINS0_14default_configENS1_36segmented_radix_sort_config_selectorIslEEZNS1_25segmented_radix_sort_implIS3_Lb1EPKsPsPKlPlN2at6native12_GLOBAL__N_18offset_tEEE10hipError_tPvRmT1_PNSt15iterator_traitsISK_E10value_typeET2_T3_PNSL_ISQ_E10value_typeET4_jRbjT5_SW_jjP12ihipStream_tbEUlT_E1_NS1_11comp_targetILNS1_3genE4ELNS1_11target_archE910ELNS1_3gpuE8ELNS1_3repE0EEENS1_59segmented_radix_sort_warp_sort_small_config_static_selectorELNS0_4arch9wavefront6targetE0EEEvSK_,"axG",@progbits,_ZN7rocprim17ROCPRIM_400000_NS6detail17trampoline_kernelINS0_14default_configENS1_36segmented_radix_sort_config_selectorIslEEZNS1_25segmented_radix_sort_implIS3_Lb1EPKsPsPKlPlN2at6native12_GLOBAL__N_18offset_tEEE10hipError_tPvRmT1_PNSt15iterator_traitsISK_E10value_typeET2_T3_PNSL_ISQ_E10value_typeET4_jRbjT5_SW_jjP12ihipStream_tbEUlT_E1_NS1_11comp_targetILNS1_3genE4ELNS1_11target_archE910ELNS1_3gpuE8ELNS1_3repE0EEENS1_59segmented_radix_sort_warp_sort_small_config_static_selectorELNS0_4arch9wavefront6targetE0EEEvSK_,comdat
	.globl	_ZN7rocprim17ROCPRIM_400000_NS6detail17trampoline_kernelINS0_14default_configENS1_36segmented_radix_sort_config_selectorIslEEZNS1_25segmented_radix_sort_implIS3_Lb1EPKsPsPKlPlN2at6native12_GLOBAL__N_18offset_tEEE10hipError_tPvRmT1_PNSt15iterator_traitsISK_E10value_typeET2_T3_PNSL_ISQ_E10value_typeET4_jRbjT5_SW_jjP12ihipStream_tbEUlT_E1_NS1_11comp_targetILNS1_3genE4ELNS1_11target_archE910ELNS1_3gpuE8ELNS1_3repE0EEENS1_59segmented_radix_sort_warp_sort_small_config_static_selectorELNS0_4arch9wavefront6targetE0EEEvSK_ ; -- Begin function _ZN7rocprim17ROCPRIM_400000_NS6detail17trampoline_kernelINS0_14default_configENS1_36segmented_radix_sort_config_selectorIslEEZNS1_25segmented_radix_sort_implIS3_Lb1EPKsPsPKlPlN2at6native12_GLOBAL__N_18offset_tEEE10hipError_tPvRmT1_PNSt15iterator_traitsISK_E10value_typeET2_T3_PNSL_ISQ_E10value_typeET4_jRbjT5_SW_jjP12ihipStream_tbEUlT_E1_NS1_11comp_targetILNS1_3genE4ELNS1_11target_archE910ELNS1_3gpuE8ELNS1_3repE0EEENS1_59segmented_radix_sort_warp_sort_small_config_static_selectorELNS0_4arch9wavefront6targetE0EEEvSK_
	.p2align	8
	.type	_ZN7rocprim17ROCPRIM_400000_NS6detail17trampoline_kernelINS0_14default_configENS1_36segmented_radix_sort_config_selectorIslEEZNS1_25segmented_radix_sort_implIS3_Lb1EPKsPsPKlPlN2at6native12_GLOBAL__N_18offset_tEEE10hipError_tPvRmT1_PNSt15iterator_traitsISK_E10value_typeET2_T3_PNSL_ISQ_E10value_typeET4_jRbjT5_SW_jjP12ihipStream_tbEUlT_E1_NS1_11comp_targetILNS1_3genE4ELNS1_11target_archE910ELNS1_3gpuE8ELNS1_3repE0EEENS1_59segmented_radix_sort_warp_sort_small_config_static_selectorELNS0_4arch9wavefront6targetE0EEEvSK_,@function
_ZN7rocprim17ROCPRIM_400000_NS6detail17trampoline_kernelINS0_14default_configENS1_36segmented_radix_sort_config_selectorIslEEZNS1_25segmented_radix_sort_implIS3_Lb1EPKsPsPKlPlN2at6native12_GLOBAL__N_18offset_tEEE10hipError_tPvRmT1_PNSt15iterator_traitsISK_E10value_typeET2_T3_PNSL_ISQ_E10value_typeET4_jRbjT5_SW_jjP12ihipStream_tbEUlT_E1_NS1_11comp_targetILNS1_3genE4ELNS1_11target_archE910ELNS1_3gpuE8ELNS1_3repE0EEENS1_59segmented_radix_sort_warp_sort_small_config_static_selectorELNS0_4arch9wavefront6targetE0EEEvSK_: ; @_ZN7rocprim17ROCPRIM_400000_NS6detail17trampoline_kernelINS0_14default_configENS1_36segmented_radix_sort_config_selectorIslEEZNS1_25segmented_radix_sort_implIS3_Lb1EPKsPsPKlPlN2at6native12_GLOBAL__N_18offset_tEEE10hipError_tPvRmT1_PNSt15iterator_traitsISK_E10value_typeET2_T3_PNSL_ISQ_E10value_typeET4_jRbjT5_SW_jjP12ihipStream_tbEUlT_E1_NS1_11comp_targetILNS1_3genE4ELNS1_11target_archE910ELNS1_3gpuE8ELNS1_3repE0EEENS1_59segmented_radix_sort_warp_sort_small_config_static_selectorELNS0_4arch9wavefront6targetE0EEEvSK_
; %bb.0:
	.section	.rodata,"a",@progbits
	.p2align	6, 0x0
	.amdhsa_kernel _ZN7rocprim17ROCPRIM_400000_NS6detail17trampoline_kernelINS0_14default_configENS1_36segmented_radix_sort_config_selectorIslEEZNS1_25segmented_radix_sort_implIS3_Lb1EPKsPsPKlPlN2at6native12_GLOBAL__N_18offset_tEEE10hipError_tPvRmT1_PNSt15iterator_traitsISK_E10value_typeET2_T3_PNSL_ISQ_E10value_typeET4_jRbjT5_SW_jjP12ihipStream_tbEUlT_E1_NS1_11comp_targetILNS1_3genE4ELNS1_11target_archE910ELNS1_3gpuE8ELNS1_3repE0EEENS1_59segmented_radix_sort_warp_sort_small_config_static_selectorELNS0_4arch9wavefront6targetE0EEEvSK_
		.amdhsa_group_segment_fixed_size 0
		.amdhsa_private_segment_fixed_size 0
		.amdhsa_kernarg_size 88
		.amdhsa_user_sgpr_count 15
		.amdhsa_user_sgpr_dispatch_ptr 0
		.amdhsa_user_sgpr_queue_ptr 0
		.amdhsa_user_sgpr_kernarg_segment_ptr 1
		.amdhsa_user_sgpr_dispatch_id 0
		.amdhsa_user_sgpr_private_segment_size 0
		.amdhsa_wavefront_size32 1
		.amdhsa_uses_dynamic_stack 0
		.amdhsa_enable_private_segment 0
		.amdhsa_system_sgpr_workgroup_id_x 1
		.amdhsa_system_sgpr_workgroup_id_y 0
		.amdhsa_system_sgpr_workgroup_id_z 0
		.amdhsa_system_sgpr_workgroup_info 0
		.amdhsa_system_vgpr_workitem_id 0
		.amdhsa_next_free_vgpr 1
		.amdhsa_next_free_sgpr 1
		.amdhsa_reserve_vcc 0
		.amdhsa_float_round_mode_32 0
		.amdhsa_float_round_mode_16_64 0
		.amdhsa_float_denorm_mode_32 3
		.amdhsa_float_denorm_mode_16_64 3
		.amdhsa_dx10_clamp 1
		.amdhsa_ieee_mode 1
		.amdhsa_fp16_overflow 0
		.amdhsa_workgroup_processor_mode 1
		.amdhsa_memory_ordered 1
		.amdhsa_forward_progress 0
		.amdhsa_shared_vgpr_count 0
		.amdhsa_exception_fp_ieee_invalid_op 0
		.amdhsa_exception_fp_denorm_src 0
		.amdhsa_exception_fp_ieee_div_zero 0
		.amdhsa_exception_fp_ieee_overflow 0
		.amdhsa_exception_fp_ieee_underflow 0
		.amdhsa_exception_fp_ieee_inexact 0
		.amdhsa_exception_int_div_zero 0
	.end_amdhsa_kernel
	.section	.text._ZN7rocprim17ROCPRIM_400000_NS6detail17trampoline_kernelINS0_14default_configENS1_36segmented_radix_sort_config_selectorIslEEZNS1_25segmented_radix_sort_implIS3_Lb1EPKsPsPKlPlN2at6native12_GLOBAL__N_18offset_tEEE10hipError_tPvRmT1_PNSt15iterator_traitsISK_E10value_typeET2_T3_PNSL_ISQ_E10value_typeET4_jRbjT5_SW_jjP12ihipStream_tbEUlT_E1_NS1_11comp_targetILNS1_3genE4ELNS1_11target_archE910ELNS1_3gpuE8ELNS1_3repE0EEENS1_59segmented_radix_sort_warp_sort_small_config_static_selectorELNS0_4arch9wavefront6targetE0EEEvSK_,"axG",@progbits,_ZN7rocprim17ROCPRIM_400000_NS6detail17trampoline_kernelINS0_14default_configENS1_36segmented_radix_sort_config_selectorIslEEZNS1_25segmented_radix_sort_implIS3_Lb1EPKsPsPKlPlN2at6native12_GLOBAL__N_18offset_tEEE10hipError_tPvRmT1_PNSt15iterator_traitsISK_E10value_typeET2_T3_PNSL_ISQ_E10value_typeET4_jRbjT5_SW_jjP12ihipStream_tbEUlT_E1_NS1_11comp_targetILNS1_3genE4ELNS1_11target_archE910ELNS1_3gpuE8ELNS1_3repE0EEENS1_59segmented_radix_sort_warp_sort_small_config_static_selectorELNS0_4arch9wavefront6targetE0EEEvSK_,comdat
.Lfunc_end933:
	.size	_ZN7rocprim17ROCPRIM_400000_NS6detail17trampoline_kernelINS0_14default_configENS1_36segmented_radix_sort_config_selectorIslEEZNS1_25segmented_radix_sort_implIS3_Lb1EPKsPsPKlPlN2at6native12_GLOBAL__N_18offset_tEEE10hipError_tPvRmT1_PNSt15iterator_traitsISK_E10value_typeET2_T3_PNSL_ISQ_E10value_typeET4_jRbjT5_SW_jjP12ihipStream_tbEUlT_E1_NS1_11comp_targetILNS1_3genE4ELNS1_11target_archE910ELNS1_3gpuE8ELNS1_3repE0EEENS1_59segmented_radix_sort_warp_sort_small_config_static_selectorELNS0_4arch9wavefront6targetE0EEEvSK_, .Lfunc_end933-_ZN7rocprim17ROCPRIM_400000_NS6detail17trampoline_kernelINS0_14default_configENS1_36segmented_radix_sort_config_selectorIslEEZNS1_25segmented_radix_sort_implIS3_Lb1EPKsPsPKlPlN2at6native12_GLOBAL__N_18offset_tEEE10hipError_tPvRmT1_PNSt15iterator_traitsISK_E10value_typeET2_T3_PNSL_ISQ_E10value_typeET4_jRbjT5_SW_jjP12ihipStream_tbEUlT_E1_NS1_11comp_targetILNS1_3genE4ELNS1_11target_archE910ELNS1_3gpuE8ELNS1_3repE0EEENS1_59segmented_radix_sort_warp_sort_small_config_static_selectorELNS0_4arch9wavefront6targetE0EEEvSK_
                                        ; -- End function
	.section	.AMDGPU.csdata,"",@progbits
; Kernel info:
; codeLenInByte = 0
; NumSgprs: 0
; NumVgprs: 0
; ScratchSize: 0
; MemoryBound: 0
; FloatMode: 240
; IeeeMode: 1
; LDSByteSize: 0 bytes/workgroup (compile time only)
; SGPRBlocks: 0
; VGPRBlocks: 0
; NumSGPRsForWavesPerEU: 1
; NumVGPRsForWavesPerEU: 1
; Occupancy: 16
; WaveLimiterHint : 0
; COMPUTE_PGM_RSRC2:SCRATCH_EN: 0
; COMPUTE_PGM_RSRC2:USER_SGPR: 15
; COMPUTE_PGM_RSRC2:TRAP_HANDLER: 0
; COMPUTE_PGM_RSRC2:TGID_X_EN: 1
; COMPUTE_PGM_RSRC2:TGID_Y_EN: 0
; COMPUTE_PGM_RSRC2:TGID_Z_EN: 0
; COMPUTE_PGM_RSRC2:TIDIG_COMP_CNT: 0
	.section	.text._ZN7rocprim17ROCPRIM_400000_NS6detail17trampoline_kernelINS0_14default_configENS1_36segmented_radix_sort_config_selectorIslEEZNS1_25segmented_radix_sort_implIS3_Lb1EPKsPsPKlPlN2at6native12_GLOBAL__N_18offset_tEEE10hipError_tPvRmT1_PNSt15iterator_traitsISK_E10value_typeET2_T3_PNSL_ISQ_E10value_typeET4_jRbjT5_SW_jjP12ihipStream_tbEUlT_E1_NS1_11comp_targetILNS1_3genE3ELNS1_11target_archE908ELNS1_3gpuE7ELNS1_3repE0EEENS1_59segmented_radix_sort_warp_sort_small_config_static_selectorELNS0_4arch9wavefront6targetE0EEEvSK_,"axG",@progbits,_ZN7rocprim17ROCPRIM_400000_NS6detail17trampoline_kernelINS0_14default_configENS1_36segmented_radix_sort_config_selectorIslEEZNS1_25segmented_radix_sort_implIS3_Lb1EPKsPsPKlPlN2at6native12_GLOBAL__N_18offset_tEEE10hipError_tPvRmT1_PNSt15iterator_traitsISK_E10value_typeET2_T3_PNSL_ISQ_E10value_typeET4_jRbjT5_SW_jjP12ihipStream_tbEUlT_E1_NS1_11comp_targetILNS1_3genE3ELNS1_11target_archE908ELNS1_3gpuE7ELNS1_3repE0EEENS1_59segmented_radix_sort_warp_sort_small_config_static_selectorELNS0_4arch9wavefront6targetE0EEEvSK_,comdat
	.globl	_ZN7rocprim17ROCPRIM_400000_NS6detail17trampoline_kernelINS0_14default_configENS1_36segmented_radix_sort_config_selectorIslEEZNS1_25segmented_radix_sort_implIS3_Lb1EPKsPsPKlPlN2at6native12_GLOBAL__N_18offset_tEEE10hipError_tPvRmT1_PNSt15iterator_traitsISK_E10value_typeET2_T3_PNSL_ISQ_E10value_typeET4_jRbjT5_SW_jjP12ihipStream_tbEUlT_E1_NS1_11comp_targetILNS1_3genE3ELNS1_11target_archE908ELNS1_3gpuE7ELNS1_3repE0EEENS1_59segmented_radix_sort_warp_sort_small_config_static_selectorELNS0_4arch9wavefront6targetE0EEEvSK_ ; -- Begin function _ZN7rocprim17ROCPRIM_400000_NS6detail17trampoline_kernelINS0_14default_configENS1_36segmented_radix_sort_config_selectorIslEEZNS1_25segmented_radix_sort_implIS3_Lb1EPKsPsPKlPlN2at6native12_GLOBAL__N_18offset_tEEE10hipError_tPvRmT1_PNSt15iterator_traitsISK_E10value_typeET2_T3_PNSL_ISQ_E10value_typeET4_jRbjT5_SW_jjP12ihipStream_tbEUlT_E1_NS1_11comp_targetILNS1_3genE3ELNS1_11target_archE908ELNS1_3gpuE7ELNS1_3repE0EEENS1_59segmented_radix_sort_warp_sort_small_config_static_selectorELNS0_4arch9wavefront6targetE0EEEvSK_
	.p2align	8
	.type	_ZN7rocprim17ROCPRIM_400000_NS6detail17trampoline_kernelINS0_14default_configENS1_36segmented_radix_sort_config_selectorIslEEZNS1_25segmented_radix_sort_implIS3_Lb1EPKsPsPKlPlN2at6native12_GLOBAL__N_18offset_tEEE10hipError_tPvRmT1_PNSt15iterator_traitsISK_E10value_typeET2_T3_PNSL_ISQ_E10value_typeET4_jRbjT5_SW_jjP12ihipStream_tbEUlT_E1_NS1_11comp_targetILNS1_3genE3ELNS1_11target_archE908ELNS1_3gpuE7ELNS1_3repE0EEENS1_59segmented_radix_sort_warp_sort_small_config_static_selectorELNS0_4arch9wavefront6targetE0EEEvSK_,@function
_ZN7rocprim17ROCPRIM_400000_NS6detail17trampoline_kernelINS0_14default_configENS1_36segmented_radix_sort_config_selectorIslEEZNS1_25segmented_radix_sort_implIS3_Lb1EPKsPsPKlPlN2at6native12_GLOBAL__N_18offset_tEEE10hipError_tPvRmT1_PNSt15iterator_traitsISK_E10value_typeET2_T3_PNSL_ISQ_E10value_typeET4_jRbjT5_SW_jjP12ihipStream_tbEUlT_E1_NS1_11comp_targetILNS1_3genE3ELNS1_11target_archE908ELNS1_3gpuE7ELNS1_3repE0EEENS1_59segmented_radix_sort_warp_sort_small_config_static_selectorELNS0_4arch9wavefront6targetE0EEEvSK_: ; @_ZN7rocprim17ROCPRIM_400000_NS6detail17trampoline_kernelINS0_14default_configENS1_36segmented_radix_sort_config_selectorIslEEZNS1_25segmented_radix_sort_implIS3_Lb1EPKsPsPKlPlN2at6native12_GLOBAL__N_18offset_tEEE10hipError_tPvRmT1_PNSt15iterator_traitsISK_E10value_typeET2_T3_PNSL_ISQ_E10value_typeET4_jRbjT5_SW_jjP12ihipStream_tbEUlT_E1_NS1_11comp_targetILNS1_3genE3ELNS1_11target_archE908ELNS1_3gpuE7ELNS1_3repE0EEENS1_59segmented_radix_sort_warp_sort_small_config_static_selectorELNS0_4arch9wavefront6targetE0EEEvSK_
; %bb.0:
	.section	.rodata,"a",@progbits
	.p2align	6, 0x0
	.amdhsa_kernel _ZN7rocprim17ROCPRIM_400000_NS6detail17trampoline_kernelINS0_14default_configENS1_36segmented_radix_sort_config_selectorIslEEZNS1_25segmented_radix_sort_implIS3_Lb1EPKsPsPKlPlN2at6native12_GLOBAL__N_18offset_tEEE10hipError_tPvRmT1_PNSt15iterator_traitsISK_E10value_typeET2_T3_PNSL_ISQ_E10value_typeET4_jRbjT5_SW_jjP12ihipStream_tbEUlT_E1_NS1_11comp_targetILNS1_3genE3ELNS1_11target_archE908ELNS1_3gpuE7ELNS1_3repE0EEENS1_59segmented_radix_sort_warp_sort_small_config_static_selectorELNS0_4arch9wavefront6targetE0EEEvSK_
		.amdhsa_group_segment_fixed_size 0
		.amdhsa_private_segment_fixed_size 0
		.amdhsa_kernarg_size 88
		.amdhsa_user_sgpr_count 15
		.amdhsa_user_sgpr_dispatch_ptr 0
		.amdhsa_user_sgpr_queue_ptr 0
		.amdhsa_user_sgpr_kernarg_segment_ptr 1
		.amdhsa_user_sgpr_dispatch_id 0
		.amdhsa_user_sgpr_private_segment_size 0
		.amdhsa_wavefront_size32 1
		.amdhsa_uses_dynamic_stack 0
		.amdhsa_enable_private_segment 0
		.amdhsa_system_sgpr_workgroup_id_x 1
		.amdhsa_system_sgpr_workgroup_id_y 0
		.amdhsa_system_sgpr_workgroup_id_z 0
		.amdhsa_system_sgpr_workgroup_info 0
		.amdhsa_system_vgpr_workitem_id 0
		.amdhsa_next_free_vgpr 1
		.amdhsa_next_free_sgpr 1
		.amdhsa_reserve_vcc 0
		.amdhsa_float_round_mode_32 0
		.amdhsa_float_round_mode_16_64 0
		.amdhsa_float_denorm_mode_32 3
		.amdhsa_float_denorm_mode_16_64 3
		.amdhsa_dx10_clamp 1
		.amdhsa_ieee_mode 1
		.amdhsa_fp16_overflow 0
		.amdhsa_workgroup_processor_mode 1
		.amdhsa_memory_ordered 1
		.amdhsa_forward_progress 0
		.amdhsa_shared_vgpr_count 0
		.amdhsa_exception_fp_ieee_invalid_op 0
		.amdhsa_exception_fp_denorm_src 0
		.amdhsa_exception_fp_ieee_div_zero 0
		.amdhsa_exception_fp_ieee_overflow 0
		.amdhsa_exception_fp_ieee_underflow 0
		.amdhsa_exception_fp_ieee_inexact 0
		.amdhsa_exception_int_div_zero 0
	.end_amdhsa_kernel
	.section	.text._ZN7rocprim17ROCPRIM_400000_NS6detail17trampoline_kernelINS0_14default_configENS1_36segmented_radix_sort_config_selectorIslEEZNS1_25segmented_radix_sort_implIS3_Lb1EPKsPsPKlPlN2at6native12_GLOBAL__N_18offset_tEEE10hipError_tPvRmT1_PNSt15iterator_traitsISK_E10value_typeET2_T3_PNSL_ISQ_E10value_typeET4_jRbjT5_SW_jjP12ihipStream_tbEUlT_E1_NS1_11comp_targetILNS1_3genE3ELNS1_11target_archE908ELNS1_3gpuE7ELNS1_3repE0EEENS1_59segmented_radix_sort_warp_sort_small_config_static_selectorELNS0_4arch9wavefront6targetE0EEEvSK_,"axG",@progbits,_ZN7rocprim17ROCPRIM_400000_NS6detail17trampoline_kernelINS0_14default_configENS1_36segmented_radix_sort_config_selectorIslEEZNS1_25segmented_radix_sort_implIS3_Lb1EPKsPsPKlPlN2at6native12_GLOBAL__N_18offset_tEEE10hipError_tPvRmT1_PNSt15iterator_traitsISK_E10value_typeET2_T3_PNSL_ISQ_E10value_typeET4_jRbjT5_SW_jjP12ihipStream_tbEUlT_E1_NS1_11comp_targetILNS1_3genE3ELNS1_11target_archE908ELNS1_3gpuE7ELNS1_3repE0EEENS1_59segmented_radix_sort_warp_sort_small_config_static_selectorELNS0_4arch9wavefront6targetE0EEEvSK_,comdat
.Lfunc_end934:
	.size	_ZN7rocprim17ROCPRIM_400000_NS6detail17trampoline_kernelINS0_14default_configENS1_36segmented_radix_sort_config_selectorIslEEZNS1_25segmented_radix_sort_implIS3_Lb1EPKsPsPKlPlN2at6native12_GLOBAL__N_18offset_tEEE10hipError_tPvRmT1_PNSt15iterator_traitsISK_E10value_typeET2_T3_PNSL_ISQ_E10value_typeET4_jRbjT5_SW_jjP12ihipStream_tbEUlT_E1_NS1_11comp_targetILNS1_3genE3ELNS1_11target_archE908ELNS1_3gpuE7ELNS1_3repE0EEENS1_59segmented_radix_sort_warp_sort_small_config_static_selectorELNS0_4arch9wavefront6targetE0EEEvSK_, .Lfunc_end934-_ZN7rocprim17ROCPRIM_400000_NS6detail17trampoline_kernelINS0_14default_configENS1_36segmented_radix_sort_config_selectorIslEEZNS1_25segmented_radix_sort_implIS3_Lb1EPKsPsPKlPlN2at6native12_GLOBAL__N_18offset_tEEE10hipError_tPvRmT1_PNSt15iterator_traitsISK_E10value_typeET2_T3_PNSL_ISQ_E10value_typeET4_jRbjT5_SW_jjP12ihipStream_tbEUlT_E1_NS1_11comp_targetILNS1_3genE3ELNS1_11target_archE908ELNS1_3gpuE7ELNS1_3repE0EEENS1_59segmented_radix_sort_warp_sort_small_config_static_selectorELNS0_4arch9wavefront6targetE0EEEvSK_
                                        ; -- End function
	.section	.AMDGPU.csdata,"",@progbits
; Kernel info:
; codeLenInByte = 0
; NumSgprs: 0
; NumVgprs: 0
; ScratchSize: 0
; MemoryBound: 0
; FloatMode: 240
; IeeeMode: 1
; LDSByteSize: 0 bytes/workgroup (compile time only)
; SGPRBlocks: 0
; VGPRBlocks: 0
; NumSGPRsForWavesPerEU: 1
; NumVGPRsForWavesPerEU: 1
; Occupancy: 16
; WaveLimiterHint : 0
; COMPUTE_PGM_RSRC2:SCRATCH_EN: 0
; COMPUTE_PGM_RSRC2:USER_SGPR: 15
; COMPUTE_PGM_RSRC2:TRAP_HANDLER: 0
; COMPUTE_PGM_RSRC2:TGID_X_EN: 1
; COMPUTE_PGM_RSRC2:TGID_Y_EN: 0
; COMPUTE_PGM_RSRC2:TGID_Z_EN: 0
; COMPUTE_PGM_RSRC2:TIDIG_COMP_CNT: 0
	.section	.text._ZN7rocprim17ROCPRIM_400000_NS6detail17trampoline_kernelINS0_14default_configENS1_36segmented_radix_sort_config_selectorIslEEZNS1_25segmented_radix_sort_implIS3_Lb1EPKsPsPKlPlN2at6native12_GLOBAL__N_18offset_tEEE10hipError_tPvRmT1_PNSt15iterator_traitsISK_E10value_typeET2_T3_PNSL_ISQ_E10value_typeET4_jRbjT5_SW_jjP12ihipStream_tbEUlT_E1_NS1_11comp_targetILNS1_3genE2ELNS1_11target_archE906ELNS1_3gpuE6ELNS1_3repE0EEENS1_59segmented_radix_sort_warp_sort_small_config_static_selectorELNS0_4arch9wavefront6targetE0EEEvSK_,"axG",@progbits,_ZN7rocprim17ROCPRIM_400000_NS6detail17trampoline_kernelINS0_14default_configENS1_36segmented_radix_sort_config_selectorIslEEZNS1_25segmented_radix_sort_implIS3_Lb1EPKsPsPKlPlN2at6native12_GLOBAL__N_18offset_tEEE10hipError_tPvRmT1_PNSt15iterator_traitsISK_E10value_typeET2_T3_PNSL_ISQ_E10value_typeET4_jRbjT5_SW_jjP12ihipStream_tbEUlT_E1_NS1_11comp_targetILNS1_3genE2ELNS1_11target_archE906ELNS1_3gpuE6ELNS1_3repE0EEENS1_59segmented_radix_sort_warp_sort_small_config_static_selectorELNS0_4arch9wavefront6targetE0EEEvSK_,comdat
	.globl	_ZN7rocprim17ROCPRIM_400000_NS6detail17trampoline_kernelINS0_14default_configENS1_36segmented_radix_sort_config_selectorIslEEZNS1_25segmented_radix_sort_implIS3_Lb1EPKsPsPKlPlN2at6native12_GLOBAL__N_18offset_tEEE10hipError_tPvRmT1_PNSt15iterator_traitsISK_E10value_typeET2_T3_PNSL_ISQ_E10value_typeET4_jRbjT5_SW_jjP12ihipStream_tbEUlT_E1_NS1_11comp_targetILNS1_3genE2ELNS1_11target_archE906ELNS1_3gpuE6ELNS1_3repE0EEENS1_59segmented_radix_sort_warp_sort_small_config_static_selectorELNS0_4arch9wavefront6targetE0EEEvSK_ ; -- Begin function _ZN7rocprim17ROCPRIM_400000_NS6detail17trampoline_kernelINS0_14default_configENS1_36segmented_radix_sort_config_selectorIslEEZNS1_25segmented_radix_sort_implIS3_Lb1EPKsPsPKlPlN2at6native12_GLOBAL__N_18offset_tEEE10hipError_tPvRmT1_PNSt15iterator_traitsISK_E10value_typeET2_T3_PNSL_ISQ_E10value_typeET4_jRbjT5_SW_jjP12ihipStream_tbEUlT_E1_NS1_11comp_targetILNS1_3genE2ELNS1_11target_archE906ELNS1_3gpuE6ELNS1_3repE0EEENS1_59segmented_radix_sort_warp_sort_small_config_static_selectorELNS0_4arch9wavefront6targetE0EEEvSK_
	.p2align	8
	.type	_ZN7rocprim17ROCPRIM_400000_NS6detail17trampoline_kernelINS0_14default_configENS1_36segmented_radix_sort_config_selectorIslEEZNS1_25segmented_radix_sort_implIS3_Lb1EPKsPsPKlPlN2at6native12_GLOBAL__N_18offset_tEEE10hipError_tPvRmT1_PNSt15iterator_traitsISK_E10value_typeET2_T3_PNSL_ISQ_E10value_typeET4_jRbjT5_SW_jjP12ihipStream_tbEUlT_E1_NS1_11comp_targetILNS1_3genE2ELNS1_11target_archE906ELNS1_3gpuE6ELNS1_3repE0EEENS1_59segmented_radix_sort_warp_sort_small_config_static_selectorELNS0_4arch9wavefront6targetE0EEEvSK_,@function
_ZN7rocprim17ROCPRIM_400000_NS6detail17trampoline_kernelINS0_14default_configENS1_36segmented_radix_sort_config_selectorIslEEZNS1_25segmented_radix_sort_implIS3_Lb1EPKsPsPKlPlN2at6native12_GLOBAL__N_18offset_tEEE10hipError_tPvRmT1_PNSt15iterator_traitsISK_E10value_typeET2_T3_PNSL_ISQ_E10value_typeET4_jRbjT5_SW_jjP12ihipStream_tbEUlT_E1_NS1_11comp_targetILNS1_3genE2ELNS1_11target_archE906ELNS1_3gpuE6ELNS1_3repE0EEENS1_59segmented_radix_sort_warp_sort_small_config_static_selectorELNS0_4arch9wavefront6targetE0EEEvSK_: ; @_ZN7rocprim17ROCPRIM_400000_NS6detail17trampoline_kernelINS0_14default_configENS1_36segmented_radix_sort_config_selectorIslEEZNS1_25segmented_radix_sort_implIS3_Lb1EPKsPsPKlPlN2at6native12_GLOBAL__N_18offset_tEEE10hipError_tPvRmT1_PNSt15iterator_traitsISK_E10value_typeET2_T3_PNSL_ISQ_E10value_typeET4_jRbjT5_SW_jjP12ihipStream_tbEUlT_E1_NS1_11comp_targetILNS1_3genE2ELNS1_11target_archE906ELNS1_3gpuE6ELNS1_3repE0EEENS1_59segmented_radix_sort_warp_sort_small_config_static_selectorELNS0_4arch9wavefront6targetE0EEEvSK_
; %bb.0:
	.section	.rodata,"a",@progbits
	.p2align	6, 0x0
	.amdhsa_kernel _ZN7rocprim17ROCPRIM_400000_NS6detail17trampoline_kernelINS0_14default_configENS1_36segmented_radix_sort_config_selectorIslEEZNS1_25segmented_radix_sort_implIS3_Lb1EPKsPsPKlPlN2at6native12_GLOBAL__N_18offset_tEEE10hipError_tPvRmT1_PNSt15iterator_traitsISK_E10value_typeET2_T3_PNSL_ISQ_E10value_typeET4_jRbjT5_SW_jjP12ihipStream_tbEUlT_E1_NS1_11comp_targetILNS1_3genE2ELNS1_11target_archE906ELNS1_3gpuE6ELNS1_3repE0EEENS1_59segmented_radix_sort_warp_sort_small_config_static_selectorELNS0_4arch9wavefront6targetE0EEEvSK_
		.amdhsa_group_segment_fixed_size 0
		.amdhsa_private_segment_fixed_size 0
		.amdhsa_kernarg_size 88
		.amdhsa_user_sgpr_count 15
		.amdhsa_user_sgpr_dispatch_ptr 0
		.amdhsa_user_sgpr_queue_ptr 0
		.amdhsa_user_sgpr_kernarg_segment_ptr 1
		.amdhsa_user_sgpr_dispatch_id 0
		.amdhsa_user_sgpr_private_segment_size 0
		.amdhsa_wavefront_size32 1
		.amdhsa_uses_dynamic_stack 0
		.amdhsa_enable_private_segment 0
		.amdhsa_system_sgpr_workgroup_id_x 1
		.amdhsa_system_sgpr_workgroup_id_y 0
		.amdhsa_system_sgpr_workgroup_id_z 0
		.amdhsa_system_sgpr_workgroup_info 0
		.amdhsa_system_vgpr_workitem_id 0
		.amdhsa_next_free_vgpr 1
		.amdhsa_next_free_sgpr 1
		.amdhsa_reserve_vcc 0
		.amdhsa_float_round_mode_32 0
		.amdhsa_float_round_mode_16_64 0
		.amdhsa_float_denorm_mode_32 3
		.amdhsa_float_denorm_mode_16_64 3
		.amdhsa_dx10_clamp 1
		.amdhsa_ieee_mode 1
		.amdhsa_fp16_overflow 0
		.amdhsa_workgroup_processor_mode 1
		.amdhsa_memory_ordered 1
		.amdhsa_forward_progress 0
		.amdhsa_shared_vgpr_count 0
		.amdhsa_exception_fp_ieee_invalid_op 0
		.amdhsa_exception_fp_denorm_src 0
		.amdhsa_exception_fp_ieee_div_zero 0
		.amdhsa_exception_fp_ieee_overflow 0
		.amdhsa_exception_fp_ieee_underflow 0
		.amdhsa_exception_fp_ieee_inexact 0
		.amdhsa_exception_int_div_zero 0
	.end_amdhsa_kernel
	.section	.text._ZN7rocprim17ROCPRIM_400000_NS6detail17trampoline_kernelINS0_14default_configENS1_36segmented_radix_sort_config_selectorIslEEZNS1_25segmented_radix_sort_implIS3_Lb1EPKsPsPKlPlN2at6native12_GLOBAL__N_18offset_tEEE10hipError_tPvRmT1_PNSt15iterator_traitsISK_E10value_typeET2_T3_PNSL_ISQ_E10value_typeET4_jRbjT5_SW_jjP12ihipStream_tbEUlT_E1_NS1_11comp_targetILNS1_3genE2ELNS1_11target_archE906ELNS1_3gpuE6ELNS1_3repE0EEENS1_59segmented_radix_sort_warp_sort_small_config_static_selectorELNS0_4arch9wavefront6targetE0EEEvSK_,"axG",@progbits,_ZN7rocprim17ROCPRIM_400000_NS6detail17trampoline_kernelINS0_14default_configENS1_36segmented_radix_sort_config_selectorIslEEZNS1_25segmented_radix_sort_implIS3_Lb1EPKsPsPKlPlN2at6native12_GLOBAL__N_18offset_tEEE10hipError_tPvRmT1_PNSt15iterator_traitsISK_E10value_typeET2_T3_PNSL_ISQ_E10value_typeET4_jRbjT5_SW_jjP12ihipStream_tbEUlT_E1_NS1_11comp_targetILNS1_3genE2ELNS1_11target_archE906ELNS1_3gpuE6ELNS1_3repE0EEENS1_59segmented_radix_sort_warp_sort_small_config_static_selectorELNS0_4arch9wavefront6targetE0EEEvSK_,comdat
.Lfunc_end935:
	.size	_ZN7rocprim17ROCPRIM_400000_NS6detail17trampoline_kernelINS0_14default_configENS1_36segmented_radix_sort_config_selectorIslEEZNS1_25segmented_radix_sort_implIS3_Lb1EPKsPsPKlPlN2at6native12_GLOBAL__N_18offset_tEEE10hipError_tPvRmT1_PNSt15iterator_traitsISK_E10value_typeET2_T3_PNSL_ISQ_E10value_typeET4_jRbjT5_SW_jjP12ihipStream_tbEUlT_E1_NS1_11comp_targetILNS1_3genE2ELNS1_11target_archE906ELNS1_3gpuE6ELNS1_3repE0EEENS1_59segmented_radix_sort_warp_sort_small_config_static_selectorELNS0_4arch9wavefront6targetE0EEEvSK_, .Lfunc_end935-_ZN7rocprim17ROCPRIM_400000_NS6detail17trampoline_kernelINS0_14default_configENS1_36segmented_radix_sort_config_selectorIslEEZNS1_25segmented_radix_sort_implIS3_Lb1EPKsPsPKlPlN2at6native12_GLOBAL__N_18offset_tEEE10hipError_tPvRmT1_PNSt15iterator_traitsISK_E10value_typeET2_T3_PNSL_ISQ_E10value_typeET4_jRbjT5_SW_jjP12ihipStream_tbEUlT_E1_NS1_11comp_targetILNS1_3genE2ELNS1_11target_archE906ELNS1_3gpuE6ELNS1_3repE0EEENS1_59segmented_radix_sort_warp_sort_small_config_static_selectorELNS0_4arch9wavefront6targetE0EEEvSK_
                                        ; -- End function
	.section	.AMDGPU.csdata,"",@progbits
; Kernel info:
; codeLenInByte = 0
; NumSgprs: 0
; NumVgprs: 0
; ScratchSize: 0
; MemoryBound: 0
; FloatMode: 240
; IeeeMode: 1
; LDSByteSize: 0 bytes/workgroup (compile time only)
; SGPRBlocks: 0
; VGPRBlocks: 0
; NumSGPRsForWavesPerEU: 1
; NumVGPRsForWavesPerEU: 1
; Occupancy: 16
; WaveLimiterHint : 0
; COMPUTE_PGM_RSRC2:SCRATCH_EN: 0
; COMPUTE_PGM_RSRC2:USER_SGPR: 15
; COMPUTE_PGM_RSRC2:TRAP_HANDLER: 0
; COMPUTE_PGM_RSRC2:TGID_X_EN: 1
; COMPUTE_PGM_RSRC2:TGID_Y_EN: 0
; COMPUTE_PGM_RSRC2:TGID_Z_EN: 0
; COMPUTE_PGM_RSRC2:TIDIG_COMP_CNT: 0
	.section	.text._ZN7rocprim17ROCPRIM_400000_NS6detail17trampoline_kernelINS0_14default_configENS1_36segmented_radix_sort_config_selectorIslEEZNS1_25segmented_radix_sort_implIS3_Lb1EPKsPsPKlPlN2at6native12_GLOBAL__N_18offset_tEEE10hipError_tPvRmT1_PNSt15iterator_traitsISK_E10value_typeET2_T3_PNSL_ISQ_E10value_typeET4_jRbjT5_SW_jjP12ihipStream_tbEUlT_E1_NS1_11comp_targetILNS1_3genE10ELNS1_11target_archE1201ELNS1_3gpuE5ELNS1_3repE0EEENS1_59segmented_radix_sort_warp_sort_small_config_static_selectorELNS0_4arch9wavefront6targetE0EEEvSK_,"axG",@progbits,_ZN7rocprim17ROCPRIM_400000_NS6detail17trampoline_kernelINS0_14default_configENS1_36segmented_radix_sort_config_selectorIslEEZNS1_25segmented_radix_sort_implIS3_Lb1EPKsPsPKlPlN2at6native12_GLOBAL__N_18offset_tEEE10hipError_tPvRmT1_PNSt15iterator_traitsISK_E10value_typeET2_T3_PNSL_ISQ_E10value_typeET4_jRbjT5_SW_jjP12ihipStream_tbEUlT_E1_NS1_11comp_targetILNS1_3genE10ELNS1_11target_archE1201ELNS1_3gpuE5ELNS1_3repE0EEENS1_59segmented_radix_sort_warp_sort_small_config_static_selectorELNS0_4arch9wavefront6targetE0EEEvSK_,comdat
	.globl	_ZN7rocprim17ROCPRIM_400000_NS6detail17trampoline_kernelINS0_14default_configENS1_36segmented_radix_sort_config_selectorIslEEZNS1_25segmented_radix_sort_implIS3_Lb1EPKsPsPKlPlN2at6native12_GLOBAL__N_18offset_tEEE10hipError_tPvRmT1_PNSt15iterator_traitsISK_E10value_typeET2_T3_PNSL_ISQ_E10value_typeET4_jRbjT5_SW_jjP12ihipStream_tbEUlT_E1_NS1_11comp_targetILNS1_3genE10ELNS1_11target_archE1201ELNS1_3gpuE5ELNS1_3repE0EEENS1_59segmented_radix_sort_warp_sort_small_config_static_selectorELNS0_4arch9wavefront6targetE0EEEvSK_ ; -- Begin function _ZN7rocprim17ROCPRIM_400000_NS6detail17trampoline_kernelINS0_14default_configENS1_36segmented_radix_sort_config_selectorIslEEZNS1_25segmented_radix_sort_implIS3_Lb1EPKsPsPKlPlN2at6native12_GLOBAL__N_18offset_tEEE10hipError_tPvRmT1_PNSt15iterator_traitsISK_E10value_typeET2_T3_PNSL_ISQ_E10value_typeET4_jRbjT5_SW_jjP12ihipStream_tbEUlT_E1_NS1_11comp_targetILNS1_3genE10ELNS1_11target_archE1201ELNS1_3gpuE5ELNS1_3repE0EEENS1_59segmented_radix_sort_warp_sort_small_config_static_selectorELNS0_4arch9wavefront6targetE0EEEvSK_
	.p2align	8
	.type	_ZN7rocprim17ROCPRIM_400000_NS6detail17trampoline_kernelINS0_14default_configENS1_36segmented_radix_sort_config_selectorIslEEZNS1_25segmented_radix_sort_implIS3_Lb1EPKsPsPKlPlN2at6native12_GLOBAL__N_18offset_tEEE10hipError_tPvRmT1_PNSt15iterator_traitsISK_E10value_typeET2_T3_PNSL_ISQ_E10value_typeET4_jRbjT5_SW_jjP12ihipStream_tbEUlT_E1_NS1_11comp_targetILNS1_3genE10ELNS1_11target_archE1201ELNS1_3gpuE5ELNS1_3repE0EEENS1_59segmented_radix_sort_warp_sort_small_config_static_selectorELNS0_4arch9wavefront6targetE0EEEvSK_,@function
_ZN7rocprim17ROCPRIM_400000_NS6detail17trampoline_kernelINS0_14default_configENS1_36segmented_radix_sort_config_selectorIslEEZNS1_25segmented_radix_sort_implIS3_Lb1EPKsPsPKlPlN2at6native12_GLOBAL__N_18offset_tEEE10hipError_tPvRmT1_PNSt15iterator_traitsISK_E10value_typeET2_T3_PNSL_ISQ_E10value_typeET4_jRbjT5_SW_jjP12ihipStream_tbEUlT_E1_NS1_11comp_targetILNS1_3genE10ELNS1_11target_archE1201ELNS1_3gpuE5ELNS1_3repE0EEENS1_59segmented_radix_sort_warp_sort_small_config_static_selectorELNS0_4arch9wavefront6targetE0EEEvSK_: ; @_ZN7rocprim17ROCPRIM_400000_NS6detail17trampoline_kernelINS0_14default_configENS1_36segmented_radix_sort_config_selectorIslEEZNS1_25segmented_radix_sort_implIS3_Lb1EPKsPsPKlPlN2at6native12_GLOBAL__N_18offset_tEEE10hipError_tPvRmT1_PNSt15iterator_traitsISK_E10value_typeET2_T3_PNSL_ISQ_E10value_typeET4_jRbjT5_SW_jjP12ihipStream_tbEUlT_E1_NS1_11comp_targetILNS1_3genE10ELNS1_11target_archE1201ELNS1_3gpuE5ELNS1_3repE0EEENS1_59segmented_radix_sort_warp_sort_small_config_static_selectorELNS0_4arch9wavefront6targetE0EEEvSK_
; %bb.0:
	.section	.rodata,"a",@progbits
	.p2align	6, 0x0
	.amdhsa_kernel _ZN7rocprim17ROCPRIM_400000_NS6detail17trampoline_kernelINS0_14default_configENS1_36segmented_radix_sort_config_selectorIslEEZNS1_25segmented_radix_sort_implIS3_Lb1EPKsPsPKlPlN2at6native12_GLOBAL__N_18offset_tEEE10hipError_tPvRmT1_PNSt15iterator_traitsISK_E10value_typeET2_T3_PNSL_ISQ_E10value_typeET4_jRbjT5_SW_jjP12ihipStream_tbEUlT_E1_NS1_11comp_targetILNS1_3genE10ELNS1_11target_archE1201ELNS1_3gpuE5ELNS1_3repE0EEENS1_59segmented_radix_sort_warp_sort_small_config_static_selectorELNS0_4arch9wavefront6targetE0EEEvSK_
		.amdhsa_group_segment_fixed_size 0
		.amdhsa_private_segment_fixed_size 0
		.amdhsa_kernarg_size 88
		.amdhsa_user_sgpr_count 15
		.amdhsa_user_sgpr_dispatch_ptr 0
		.amdhsa_user_sgpr_queue_ptr 0
		.amdhsa_user_sgpr_kernarg_segment_ptr 1
		.amdhsa_user_sgpr_dispatch_id 0
		.amdhsa_user_sgpr_private_segment_size 0
		.amdhsa_wavefront_size32 1
		.amdhsa_uses_dynamic_stack 0
		.amdhsa_enable_private_segment 0
		.amdhsa_system_sgpr_workgroup_id_x 1
		.amdhsa_system_sgpr_workgroup_id_y 0
		.amdhsa_system_sgpr_workgroup_id_z 0
		.amdhsa_system_sgpr_workgroup_info 0
		.amdhsa_system_vgpr_workitem_id 0
		.amdhsa_next_free_vgpr 1
		.amdhsa_next_free_sgpr 1
		.amdhsa_reserve_vcc 0
		.amdhsa_float_round_mode_32 0
		.amdhsa_float_round_mode_16_64 0
		.amdhsa_float_denorm_mode_32 3
		.amdhsa_float_denorm_mode_16_64 3
		.amdhsa_dx10_clamp 1
		.amdhsa_ieee_mode 1
		.amdhsa_fp16_overflow 0
		.amdhsa_workgroup_processor_mode 1
		.amdhsa_memory_ordered 1
		.amdhsa_forward_progress 0
		.amdhsa_shared_vgpr_count 0
		.amdhsa_exception_fp_ieee_invalid_op 0
		.amdhsa_exception_fp_denorm_src 0
		.amdhsa_exception_fp_ieee_div_zero 0
		.amdhsa_exception_fp_ieee_overflow 0
		.amdhsa_exception_fp_ieee_underflow 0
		.amdhsa_exception_fp_ieee_inexact 0
		.amdhsa_exception_int_div_zero 0
	.end_amdhsa_kernel
	.section	.text._ZN7rocprim17ROCPRIM_400000_NS6detail17trampoline_kernelINS0_14default_configENS1_36segmented_radix_sort_config_selectorIslEEZNS1_25segmented_radix_sort_implIS3_Lb1EPKsPsPKlPlN2at6native12_GLOBAL__N_18offset_tEEE10hipError_tPvRmT1_PNSt15iterator_traitsISK_E10value_typeET2_T3_PNSL_ISQ_E10value_typeET4_jRbjT5_SW_jjP12ihipStream_tbEUlT_E1_NS1_11comp_targetILNS1_3genE10ELNS1_11target_archE1201ELNS1_3gpuE5ELNS1_3repE0EEENS1_59segmented_radix_sort_warp_sort_small_config_static_selectorELNS0_4arch9wavefront6targetE0EEEvSK_,"axG",@progbits,_ZN7rocprim17ROCPRIM_400000_NS6detail17trampoline_kernelINS0_14default_configENS1_36segmented_radix_sort_config_selectorIslEEZNS1_25segmented_radix_sort_implIS3_Lb1EPKsPsPKlPlN2at6native12_GLOBAL__N_18offset_tEEE10hipError_tPvRmT1_PNSt15iterator_traitsISK_E10value_typeET2_T3_PNSL_ISQ_E10value_typeET4_jRbjT5_SW_jjP12ihipStream_tbEUlT_E1_NS1_11comp_targetILNS1_3genE10ELNS1_11target_archE1201ELNS1_3gpuE5ELNS1_3repE0EEENS1_59segmented_radix_sort_warp_sort_small_config_static_selectorELNS0_4arch9wavefront6targetE0EEEvSK_,comdat
.Lfunc_end936:
	.size	_ZN7rocprim17ROCPRIM_400000_NS6detail17trampoline_kernelINS0_14default_configENS1_36segmented_radix_sort_config_selectorIslEEZNS1_25segmented_radix_sort_implIS3_Lb1EPKsPsPKlPlN2at6native12_GLOBAL__N_18offset_tEEE10hipError_tPvRmT1_PNSt15iterator_traitsISK_E10value_typeET2_T3_PNSL_ISQ_E10value_typeET4_jRbjT5_SW_jjP12ihipStream_tbEUlT_E1_NS1_11comp_targetILNS1_3genE10ELNS1_11target_archE1201ELNS1_3gpuE5ELNS1_3repE0EEENS1_59segmented_radix_sort_warp_sort_small_config_static_selectorELNS0_4arch9wavefront6targetE0EEEvSK_, .Lfunc_end936-_ZN7rocprim17ROCPRIM_400000_NS6detail17trampoline_kernelINS0_14default_configENS1_36segmented_radix_sort_config_selectorIslEEZNS1_25segmented_radix_sort_implIS3_Lb1EPKsPsPKlPlN2at6native12_GLOBAL__N_18offset_tEEE10hipError_tPvRmT1_PNSt15iterator_traitsISK_E10value_typeET2_T3_PNSL_ISQ_E10value_typeET4_jRbjT5_SW_jjP12ihipStream_tbEUlT_E1_NS1_11comp_targetILNS1_3genE10ELNS1_11target_archE1201ELNS1_3gpuE5ELNS1_3repE0EEENS1_59segmented_radix_sort_warp_sort_small_config_static_selectorELNS0_4arch9wavefront6targetE0EEEvSK_
                                        ; -- End function
	.section	.AMDGPU.csdata,"",@progbits
; Kernel info:
; codeLenInByte = 0
; NumSgprs: 0
; NumVgprs: 0
; ScratchSize: 0
; MemoryBound: 0
; FloatMode: 240
; IeeeMode: 1
; LDSByteSize: 0 bytes/workgroup (compile time only)
; SGPRBlocks: 0
; VGPRBlocks: 0
; NumSGPRsForWavesPerEU: 1
; NumVGPRsForWavesPerEU: 1
; Occupancy: 16
; WaveLimiterHint : 0
; COMPUTE_PGM_RSRC2:SCRATCH_EN: 0
; COMPUTE_PGM_RSRC2:USER_SGPR: 15
; COMPUTE_PGM_RSRC2:TRAP_HANDLER: 0
; COMPUTE_PGM_RSRC2:TGID_X_EN: 1
; COMPUTE_PGM_RSRC2:TGID_Y_EN: 0
; COMPUTE_PGM_RSRC2:TGID_Z_EN: 0
; COMPUTE_PGM_RSRC2:TIDIG_COMP_CNT: 0
	.section	.text._ZN7rocprim17ROCPRIM_400000_NS6detail17trampoline_kernelINS0_14default_configENS1_36segmented_radix_sort_config_selectorIslEEZNS1_25segmented_radix_sort_implIS3_Lb1EPKsPsPKlPlN2at6native12_GLOBAL__N_18offset_tEEE10hipError_tPvRmT1_PNSt15iterator_traitsISK_E10value_typeET2_T3_PNSL_ISQ_E10value_typeET4_jRbjT5_SW_jjP12ihipStream_tbEUlT_E1_NS1_11comp_targetILNS1_3genE10ELNS1_11target_archE1200ELNS1_3gpuE4ELNS1_3repE0EEENS1_59segmented_radix_sort_warp_sort_small_config_static_selectorELNS0_4arch9wavefront6targetE0EEEvSK_,"axG",@progbits,_ZN7rocprim17ROCPRIM_400000_NS6detail17trampoline_kernelINS0_14default_configENS1_36segmented_radix_sort_config_selectorIslEEZNS1_25segmented_radix_sort_implIS3_Lb1EPKsPsPKlPlN2at6native12_GLOBAL__N_18offset_tEEE10hipError_tPvRmT1_PNSt15iterator_traitsISK_E10value_typeET2_T3_PNSL_ISQ_E10value_typeET4_jRbjT5_SW_jjP12ihipStream_tbEUlT_E1_NS1_11comp_targetILNS1_3genE10ELNS1_11target_archE1200ELNS1_3gpuE4ELNS1_3repE0EEENS1_59segmented_radix_sort_warp_sort_small_config_static_selectorELNS0_4arch9wavefront6targetE0EEEvSK_,comdat
	.globl	_ZN7rocprim17ROCPRIM_400000_NS6detail17trampoline_kernelINS0_14default_configENS1_36segmented_radix_sort_config_selectorIslEEZNS1_25segmented_radix_sort_implIS3_Lb1EPKsPsPKlPlN2at6native12_GLOBAL__N_18offset_tEEE10hipError_tPvRmT1_PNSt15iterator_traitsISK_E10value_typeET2_T3_PNSL_ISQ_E10value_typeET4_jRbjT5_SW_jjP12ihipStream_tbEUlT_E1_NS1_11comp_targetILNS1_3genE10ELNS1_11target_archE1200ELNS1_3gpuE4ELNS1_3repE0EEENS1_59segmented_radix_sort_warp_sort_small_config_static_selectorELNS0_4arch9wavefront6targetE0EEEvSK_ ; -- Begin function _ZN7rocprim17ROCPRIM_400000_NS6detail17trampoline_kernelINS0_14default_configENS1_36segmented_radix_sort_config_selectorIslEEZNS1_25segmented_radix_sort_implIS3_Lb1EPKsPsPKlPlN2at6native12_GLOBAL__N_18offset_tEEE10hipError_tPvRmT1_PNSt15iterator_traitsISK_E10value_typeET2_T3_PNSL_ISQ_E10value_typeET4_jRbjT5_SW_jjP12ihipStream_tbEUlT_E1_NS1_11comp_targetILNS1_3genE10ELNS1_11target_archE1200ELNS1_3gpuE4ELNS1_3repE0EEENS1_59segmented_radix_sort_warp_sort_small_config_static_selectorELNS0_4arch9wavefront6targetE0EEEvSK_
	.p2align	8
	.type	_ZN7rocprim17ROCPRIM_400000_NS6detail17trampoline_kernelINS0_14default_configENS1_36segmented_radix_sort_config_selectorIslEEZNS1_25segmented_radix_sort_implIS3_Lb1EPKsPsPKlPlN2at6native12_GLOBAL__N_18offset_tEEE10hipError_tPvRmT1_PNSt15iterator_traitsISK_E10value_typeET2_T3_PNSL_ISQ_E10value_typeET4_jRbjT5_SW_jjP12ihipStream_tbEUlT_E1_NS1_11comp_targetILNS1_3genE10ELNS1_11target_archE1200ELNS1_3gpuE4ELNS1_3repE0EEENS1_59segmented_radix_sort_warp_sort_small_config_static_selectorELNS0_4arch9wavefront6targetE0EEEvSK_,@function
_ZN7rocprim17ROCPRIM_400000_NS6detail17trampoline_kernelINS0_14default_configENS1_36segmented_radix_sort_config_selectorIslEEZNS1_25segmented_radix_sort_implIS3_Lb1EPKsPsPKlPlN2at6native12_GLOBAL__N_18offset_tEEE10hipError_tPvRmT1_PNSt15iterator_traitsISK_E10value_typeET2_T3_PNSL_ISQ_E10value_typeET4_jRbjT5_SW_jjP12ihipStream_tbEUlT_E1_NS1_11comp_targetILNS1_3genE10ELNS1_11target_archE1200ELNS1_3gpuE4ELNS1_3repE0EEENS1_59segmented_radix_sort_warp_sort_small_config_static_selectorELNS0_4arch9wavefront6targetE0EEEvSK_: ; @_ZN7rocprim17ROCPRIM_400000_NS6detail17trampoline_kernelINS0_14default_configENS1_36segmented_radix_sort_config_selectorIslEEZNS1_25segmented_radix_sort_implIS3_Lb1EPKsPsPKlPlN2at6native12_GLOBAL__N_18offset_tEEE10hipError_tPvRmT1_PNSt15iterator_traitsISK_E10value_typeET2_T3_PNSL_ISQ_E10value_typeET4_jRbjT5_SW_jjP12ihipStream_tbEUlT_E1_NS1_11comp_targetILNS1_3genE10ELNS1_11target_archE1200ELNS1_3gpuE4ELNS1_3repE0EEENS1_59segmented_radix_sort_warp_sort_small_config_static_selectorELNS0_4arch9wavefront6targetE0EEEvSK_
; %bb.0:
	.section	.rodata,"a",@progbits
	.p2align	6, 0x0
	.amdhsa_kernel _ZN7rocprim17ROCPRIM_400000_NS6detail17trampoline_kernelINS0_14default_configENS1_36segmented_radix_sort_config_selectorIslEEZNS1_25segmented_radix_sort_implIS3_Lb1EPKsPsPKlPlN2at6native12_GLOBAL__N_18offset_tEEE10hipError_tPvRmT1_PNSt15iterator_traitsISK_E10value_typeET2_T3_PNSL_ISQ_E10value_typeET4_jRbjT5_SW_jjP12ihipStream_tbEUlT_E1_NS1_11comp_targetILNS1_3genE10ELNS1_11target_archE1200ELNS1_3gpuE4ELNS1_3repE0EEENS1_59segmented_radix_sort_warp_sort_small_config_static_selectorELNS0_4arch9wavefront6targetE0EEEvSK_
		.amdhsa_group_segment_fixed_size 0
		.amdhsa_private_segment_fixed_size 0
		.amdhsa_kernarg_size 88
		.amdhsa_user_sgpr_count 15
		.amdhsa_user_sgpr_dispatch_ptr 0
		.amdhsa_user_sgpr_queue_ptr 0
		.amdhsa_user_sgpr_kernarg_segment_ptr 1
		.amdhsa_user_sgpr_dispatch_id 0
		.amdhsa_user_sgpr_private_segment_size 0
		.amdhsa_wavefront_size32 1
		.amdhsa_uses_dynamic_stack 0
		.amdhsa_enable_private_segment 0
		.amdhsa_system_sgpr_workgroup_id_x 1
		.amdhsa_system_sgpr_workgroup_id_y 0
		.amdhsa_system_sgpr_workgroup_id_z 0
		.amdhsa_system_sgpr_workgroup_info 0
		.amdhsa_system_vgpr_workitem_id 0
		.amdhsa_next_free_vgpr 1
		.amdhsa_next_free_sgpr 1
		.amdhsa_reserve_vcc 0
		.amdhsa_float_round_mode_32 0
		.amdhsa_float_round_mode_16_64 0
		.amdhsa_float_denorm_mode_32 3
		.amdhsa_float_denorm_mode_16_64 3
		.amdhsa_dx10_clamp 1
		.amdhsa_ieee_mode 1
		.amdhsa_fp16_overflow 0
		.amdhsa_workgroup_processor_mode 1
		.amdhsa_memory_ordered 1
		.amdhsa_forward_progress 0
		.amdhsa_shared_vgpr_count 0
		.amdhsa_exception_fp_ieee_invalid_op 0
		.amdhsa_exception_fp_denorm_src 0
		.amdhsa_exception_fp_ieee_div_zero 0
		.amdhsa_exception_fp_ieee_overflow 0
		.amdhsa_exception_fp_ieee_underflow 0
		.amdhsa_exception_fp_ieee_inexact 0
		.amdhsa_exception_int_div_zero 0
	.end_amdhsa_kernel
	.section	.text._ZN7rocprim17ROCPRIM_400000_NS6detail17trampoline_kernelINS0_14default_configENS1_36segmented_radix_sort_config_selectorIslEEZNS1_25segmented_radix_sort_implIS3_Lb1EPKsPsPKlPlN2at6native12_GLOBAL__N_18offset_tEEE10hipError_tPvRmT1_PNSt15iterator_traitsISK_E10value_typeET2_T3_PNSL_ISQ_E10value_typeET4_jRbjT5_SW_jjP12ihipStream_tbEUlT_E1_NS1_11comp_targetILNS1_3genE10ELNS1_11target_archE1200ELNS1_3gpuE4ELNS1_3repE0EEENS1_59segmented_radix_sort_warp_sort_small_config_static_selectorELNS0_4arch9wavefront6targetE0EEEvSK_,"axG",@progbits,_ZN7rocprim17ROCPRIM_400000_NS6detail17trampoline_kernelINS0_14default_configENS1_36segmented_radix_sort_config_selectorIslEEZNS1_25segmented_radix_sort_implIS3_Lb1EPKsPsPKlPlN2at6native12_GLOBAL__N_18offset_tEEE10hipError_tPvRmT1_PNSt15iterator_traitsISK_E10value_typeET2_T3_PNSL_ISQ_E10value_typeET4_jRbjT5_SW_jjP12ihipStream_tbEUlT_E1_NS1_11comp_targetILNS1_3genE10ELNS1_11target_archE1200ELNS1_3gpuE4ELNS1_3repE0EEENS1_59segmented_radix_sort_warp_sort_small_config_static_selectorELNS0_4arch9wavefront6targetE0EEEvSK_,comdat
.Lfunc_end937:
	.size	_ZN7rocprim17ROCPRIM_400000_NS6detail17trampoline_kernelINS0_14default_configENS1_36segmented_radix_sort_config_selectorIslEEZNS1_25segmented_radix_sort_implIS3_Lb1EPKsPsPKlPlN2at6native12_GLOBAL__N_18offset_tEEE10hipError_tPvRmT1_PNSt15iterator_traitsISK_E10value_typeET2_T3_PNSL_ISQ_E10value_typeET4_jRbjT5_SW_jjP12ihipStream_tbEUlT_E1_NS1_11comp_targetILNS1_3genE10ELNS1_11target_archE1200ELNS1_3gpuE4ELNS1_3repE0EEENS1_59segmented_radix_sort_warp_sort_small_config_static_selectorELNS0_4arch9wavefront6targetE0EEEvSK_, .Lfunc_end937-_ZN7rocprim17ROCPRIM_400000_NS6detail17trampoline_kernelINS0_14default_configENS1_36segmented_radix_sort_config_selectorIslEEZNS1_25segmented_radix_sort_implIS3_Lb1EPKsPsPKlPlN2at6native12_GLOBAL__N_18offset_tEEE10hipError_tPvRmT1_PNSt15iterator_traitsISK_E10value_typeET2_T3_PNSL_ISQ_E10value_typeET4_jRbjT5_SW_jjP12ihipStream_tbEUlT_E1_NS1_11comp_targetILNS1_3genE10ELNS1_11target_archE1200ELNS1_3gpuE4ELNS1_3repE0EEENS1_59segmented_radix_sort_warp_sort_small_config_static_selectorELNS0_4arch9wavefront6targetE0EEEvSK_
                                        ; -- End function
	.section	.AMDGPU.csdata,"",@progbits
; Kernel info:
; codeLenInByte = 0
; NumSgprs: 0
; NumVgprs: 0
; ScratchSize: 0
; MemoryBound: 0
; FloatMode: 240
; IeeeMode: 1
; LDSByteSize: 0 bytes/workgroup (compile time only)
; SGPRBlocks: 0
; VGPRBlocks: 0
; NumSGPRsForWavesPerEU: 1
; NumVGPRsForWavesPerEU: 1
; Occupancy: 16
; WaveLimiterHint : 0
; COMPUTE_PGM_RSRC2:SCRATCH_EN: 0
; COMPUTE_PGM_RSRC2:USER_SGPR: 15
; COMPUTE_PGM_RSRC2:TRAP_HANDLER: 0
; COMPUTE_PGM_RSRC2:TGID_X_EN: 1
; COMPUTE_PGM_RSRC2:TGID_Y_EN: 0
; COMPUTE_PGM_RSRC2:TGID_Z_EN: 0
; COMPUTE_PGM_RSRC2:TIDIG_COMP_CNT: 0
	.text
	.p2align	2                               ; -- Begin function _ZN7rocprim17ROCPRIM_400000_NS6detail26segmented_warp_sort_helperINS1_20WarpSortHelperConfigILj8ELj4ELj256EEEslLi256ELb1EvE4sortIPKsPsPKlPlEEvT_T0_T1_T2_jjjjRNS5_12storage_typeE
	.type	_ZN7rocprim17ROCPRIM_400000_NS6detail26segmented_warp_sort_helperINS1_20WarpSortHelperConfigILj8ELj4ELj256EEEslLi256ELb1EvE4sortIPKsPsPKlPlEEvT_T0_T1_T2_jjjjRNS5_12storage_typeE,@function
_ZN7rocprim17ROCPRIM_400000_NS6detail26segmented_warp_sort_helperINS1_20WarpSortHelperConfigILj8ELj4ELj256EEEslLi256ELb1EvE4sortIPKsPsPKlPlEEvT_T0_T1_T2_jjjjRNS5_12storage_typeE: ; @_ZN7rocprim17ROCPRIM_400000_NS6detail26segmented_warp_sort_helperINS1_20WarpSortHelperConfigILj8ELj4ELj256EEEslLi256ELb1EvE4sortIPKsPsPKlPlEEvT_T0_T1_T2_jjjjRNS5_12storage_typeE
; %bb.0:
	s_waitcnt vmcnt(0) expcnt(0) lgkmcnt(0)
	v_mov_b32_e32 v14, v9
	v_mbcnt_lo_u32_b32 v9, -1, 0
	v_dual_mov_b32 v86, 0xffff8000 :: v_dual_mov_b32 v87, 0xffff8000
	s_delay_alu instid0(VALU_DEP_2) | instskip(SKIP_2) | instid1(VALU_DEP_3)
	v_lshlrev_b32_e32 v83, 2, v9
	v_mov_b32_e32 v9, 0
	v_sub_nc_u32_e32 v14, v14, v8
	v_and_b32_e32 v84, 28, v83
	s_delay_alu instid0(VALU_DEP_3) | instskip(NEXT) | instid1(VALU_DEP_2)
	v_lshlrev_b64 v[80:81], 1, v[8:9]
	v_lshlrev_b32_e32 v30, 1, v84
	s_delay_alu instid0(VALU_DEP_2) | instskip(NEXT) | instid1(VALU_DEP_3)
	v_add_co_u32 v0, vcc_lo, v0, v80
	v_add_co_ci_u32_e32 v1, vcc_lo, v1, v81, vcc_lo
	s_delay_alu instid0(VALU_DEP_2) | instskip(NEXT) | instid1(VALU_DEP_2)
	v_add_co_u32 v0, vcc_lo, v0, v30
	v_add_co_ci_u32_e32 v1, vcc_lo, 0, v1, vcc_lo
	v_cmp_lt_u32_e32 vcc_lo, v84, v14
	s_and_saveexec_b32 s0, vcc_lo
	s_cbranch_execz .LBB938_2
; %bb.1:
	flat_load_u16 v87, v[0:1]
.LBB938_2:
	s_or_b32 exec_lo, exec_lo, s0
	v_or_b32_e32 v15, 1, v84
	s_delay_alu instid0(VALU_DEP_1) | instskip(NEXT) | instid1(VALU_DEP_1)
	v_cmp_lt_u32_e64 s0, v15, v14
	s_and_saveexec_b32 s1, s0
	s_cbranch_execz .LBB938_4
; %bb.3:
	flat_load_u16 v86, v[0:1] offset:2
.LBB938_4:
	s_or_b32 exec_lo, exec_lo, s1
	v_or_b32_e32 v15, 2, v84
	v_dual_mov_b32 v85, 0xffff8000 :: v_dual_mov_b32 v48, 0xffff8000
	s_delay_alu instid0(VALU_DEP_2) | instskip(NEXT) | instid1(VALU_DEP_1)
	v_cmp_lt_u32_e64 s1, v15, v14
	s_and_saveexec_b32 s2, s1
	s_cbranch_execz .LBB938_6
; %bb.5:
	flat_load_u16 v48, v[0:1] offset:4
.LBB938_6:
	s_or_b32 exec_lo, exec_lo, s2
	v_or_b32_e32 v15, 3, v84
	s_delay_alu instid0(VALU_DEP_1) | instskip(NEXT) | instid1(VALU_DEP_1)
	v_cmp_lt_u32_e64 s2, v15, v14
	s_and_saveexec_b32 s3, s2
	s_cbranch_execz .LBB938_8
; %bb.7:
	flat_load_u16 v85, v[0:1] offset:6
.LBB938_8:
	s_or_b32 exec_lo, exec_lo, s3
	v_lshlrev_b64 v[0:1], 3, v[8:9]
	v_lshlrev_b32_e32 v82, 3, v84
	; wave barrier
                                        ; implicit-def: $vgpr14_vgpr15
	s_delay_alu instid0(VALU_DEP_2) | instskip(NEXT) | instid1(VALU_DEP_1)
	v_add_co_u32 v4, s3, v4, v0
	v_add_co_ci_u32_e64 v5, s3, v5, v1, s3
	s_delay_alu instid0(VALU_DEP_2) | instskip(NEXT) | instid1(VALU_DEP_1)
	v_add_co_u32 v4, s3, v4, v82
	v_add_co_ci_u32_e64 v5, s3, 0, v5, s3
	s_and_saveexec_b32 s3, vcc_lo
	s_cbranch_execz .LBB938_10
; %bb.9:
	flat_load_b64 v[14:15], v[4:5]
.LBB938_10:
	s_or_b32 exec_lo, exec_lo, s3
	s_and_saveexec_b32 s3, s0
                                        ; implicit-def: $vgpr32_vgpr33_vgpr34_vgpr35_vgpr36_vgpr37_vgpr38_vgpr39
                                        ; implicit-def: $vgpr22_vgpr23_vgpr24_vgpr25_vgpr26_vgpr27_vgpr28_vgpr29
	s_cbranch_execz .LBB938_98
; %bb.11:
	flat_load_b64 v[16:17], v[4:5] offset:8
                                        ; implicit-def: $vgpr32_vgpr33_vgpr34_vgpr35_vgpr36_vgpr37_vgpr38_vgpr39
                                        ; implicit-def: $vgpr22_vgpr23_vgpr24_vgpr25_vgpr26_vgpr27_vgpr28_vgpr29
	s_or_b32 exec_lo, exec_lo, s3
                                        ; implicit-def: $vgpr18_vgpr19
	s_and_saveexec_b32 s3, s1
	s_cbranch_execnz .LBB938_99
.LBB938_12:
	s_or_b32 exec_lo, exec_lo, s3
	s_and_saveexec_b32 s3, s2
	s_cbranch_execz .LBB938_14
.LBB938_13:
	flat_load_b64 v[28:29], v[4:5] offset:24
	s_waitcnt vmcnt(0) lgkmcnt(0)
	v_dual_mov_b32 v20, v28 :: v_dual_mov_b32 v21, v29
.LBB938_14:
	s_or_b32 exec_lo, exec_lo, s3
	v_cmp_ne_u32_e64 s3, 0, v10
	v_cmp_ne_u32_e64 s4, 16, v11
	v_bfe_u32 v5, v31, 10, 10
	v_bfe_u32 v8, v31, 20, 10
	v_and_b32_e32 v4, 0x3ff, v31
	s_delay_alu instid0(VALU_DEP_4) | instskip(NEXT) | instid1(SALU_CYCLE_1)
	s_or_b32 s3, s3, s4
	; wave barrier
	s_and_saveexec_b32 s4, s3
	s_delay_alu instid0(SALU_CYCLE_1)
	s_xor_b32 s11, exec_lo, s4
	s_cbranch_execz .LBB938_58
; %bb.15:
	s_load_b64 s[4:5], s[8:9], 0x0
	v_mov_b32_e32 v9, 0
	s_waitcnt lgkmcnt(0)
	s_cmp_lt_u32 s13, s5
	s_cselect_b32 s3, 14, 20
	s_delay_alu instid0(SALU_CYCLE_1) | instskip(SKIP_4) | instid1(SALU_CYCLE_1)
	s_add_u32 s6, s8, s3
	s_addc_u32 s7, s9, 0
	s_cmp_lt_u32 s12, s4
	global_load_u16 v22, v9, s[6:7]
	s_cselect_b32 s3, 12, 18
	s_add_u32 s4, s8, s3
	s_addc_u32 s5, s9, 0
	global_load_u16 v9, v9, s[4:5]
	s_mov_b32 s5, exec_lo
	s_waitcnt vmcnt(1)
	v_mad_u32_u24 v5, v8, v22, v5
	v_lshlrev_b32_e64 v8, v11, -1
	s_waitcnt vmcnt(0)
	s_delay_alu instid0(VALU_DEP_2) | instskip(SKIP_1) | instid1(VALU_DEP_1)
	v_mul_lo_u32 v5, v5, v9
	v_lshlrev_b32_e64 v9, v10, -1
	v_xor_b32_e32 v31, v8, v9
	s_delay_alu instid0(VALU_DEP_3) | instskip(NEXT) | instid1(VALU_DEP_1)
	v_add_lshl_u32 v10, v5, v4, 2
	v_cmpx_gt_u32_e32 0x400, v10
	s_cbranch_execz .LBB938_27
; %bb.16:
	s_delay_alu instid0(VALU_DEP_3) | instskip(SKIP_4) | instid1(VALU_DEP_3)
	v_and_b32_e32 v4, v86, v31
	v_dual_mov_b32 v8, v48 :: v_dual_and_b32 v5, v87, v31
	v_and_b32_e32 v18, v85, v31
	v_and_b32_e32 v34, v48, v31
	s_mov_b32 s6, exec_lo
	v_cmp_gt_i16_e64 s3, v4, v5
	s_delay_alu instid0(VALU_DEP_1)
	v_cndmask_b32_e64 v5, v17, v15, s3
	v_cndmask_b32_e64 v4, v16, v14, s3
	;; [unrolled: 1-line block ×4, first 2 shown]
	v_cmpx_gt_i16_e64 v18, v34
; %bb.17:
	v_dual_mov_b32 v14, v36 :: v_dual_mov_b32 v15, v37
	v_dual_mov_b32 v34, v18 :: v_dual_mov_b32 v37, v29
	v_mov_b32_e32 v36, v28
	v_dual_mov_b32 v8, v85 :: v_dual_mov_b32 v85, v48
	s_delay_alu instid0(VALU_DEP_4)
	v_dual_mov_b32 v29, v15 :: v_dual_mov_b32 v28, v14
; %bb.18:
	s_or_b32 exec_lo, exec_lo, s6
	v_cndmask_b32_e64 v35, v86, v87, s3
                                        ; implicit-def: $vgpr33
	s_delay_alu instid0(VALU_DEP_1) | instskip(NEXT) | instid1(VALU_DEP_1)
	v_and_b32_e32 v32, v35, v31
	v_cmp_le_i16_e64 s4, v34, v32
	s_delay_alu instid0(VALU_DEP_1) | instskip(NEXT) | instid1(SALU_CYCLE_1)
	s_and_saveexec_b32 s6, s4
	s_xor_b32 s4, exec_lo, s6
                                        ; implicit-def: $vgpr48_vgpr49_vgpr50_vgpr51_vgpr52_vgpr53_vgpr54_vgpr55
                                        ; implicit-def: $vgpr64_vgpr65_vgpr66_vgpr67_vgpr68_vgpr69_vgpr70_vgpr71
                                        ; implicit-def: $vgpr14_vgpr15_vgpr16_vgpr17_vgpr18_vgpr19_vgpr20_vgpr21
; %bb.19:
	v_dual_mov_b32 v50, v4 :: v_dual_mov_b32 v67, v5
	v_dual_mov_b32 v4, v36 :: v_dual_mov_b32 v5, v37
	;; [unrolled: 1-line block ×3, first 2 shown]
	v_and_b32_e32 v33, v8, v31
                                        ; implicit-def: $vgpr36_vgpr37
                                        ; implicit-def: $vgpr34
                                        ; implicit-def: $vgpr22_vgpr23_vgpr24_vgpr25_vgpr26_vgpr27_vgpr28_vgpr29
; %bb.20:
	s_or_saveexec_b32 s4, s4
	v_mov_b32_e32 v18, v35
	s_xor_b32 exec_lo, exec_lo, s4
; %bb.21:
	v_dual_mov_b32 v50, v36 :: v_dual_mov_b32 v67, v37
	v_dual_mov_b32 v20, v28 :: v_dual_mov_b32 v21, v29
	v_mov_b32_e32 v33, v32
	v_mov_b32_e32 v18, v8
	;; [unrolled: 1-line block ×4, first 2 shown]
; %bb.22:
	s_or_b32 exec_lo, exec_lo, s4
	v_cndmask_b32_e64 v19, v87, v86, s3
	v_and_b32_e32 v22, v85, v31
	s_mov_b32 s6, exec_lo
	s_delay_alu instid0(VALU_DEP_2) | instskip(NEXT) | instid1(VALU_DEP_1)
	v_and_b32_e32 v14, v19, v31
	v_cmp_gt_i16_e64 s3, v32, v14
	s_delay_alu instid0(VALU_DEP_1)
	v_cndmask_b32_e64 v17, v67, v11, s3
	v_cndmask_b32_e64 v16, v50, v9, s3
	;; [unrolled: 1-line block ×3, first 2 shown]
	v_mov_b32_e32 v11, v8
	v_cndmask_b32_e64 v14, v9, v50, s3
	v_cmpx_gt_i16_e64 v22, v33
; %bb.23:
	v_dual_mov_b32 v24, v5 :: v_dual_mov_b32 v23, v4
	v_dual_mov_b32 v11, v85 :: v_dual_mov_b32 v4, v20
	v_mov_b32_e32 v85, v8
	s_delay_alu instid0(VALU_DEP_3)
	v_dual_mov_b32 v5, v21 :: v_dual_mov_b32 v20, v23
	v_mov_b32_e32 v33, v22
	v_mov_b32_e32 v21, v24
; %bb.24:
	s_or_b32 exec_lo, exec_lo, s6
	v_cndmask_b32_e64 v86, v18, v19, s3
	v_mov_b32_e32 v48, v11
	s_mov_b32 s6, exec_lo
	v_dual_mov_b32 v9, v5 :: v_dual_mov_b32 v8, v4
	s_delay_alu instid0(VALU_DEP_3) | instskip(NEXT) | instid1(VALU_DEP_1)
	v_and_b32_e32 v22, v86, v31
	v_cmpx_gt_i16_e64 v33, v22
; %bb.25:
	v_dual_mov_b32 v8, v16 :: v_dual_mov_b32 v9, v17
	v_dual_mov_b32 v17, v5 :: v_dual_mov_b32 v16, v4
	v_mov_b32_e32 v48, v86
	v_mov_b32_e32 v86, v11
; %bb.26:
	s_or_b32 exec_lo, exec_lo, s6
	v_cndmask_b32_e64 v87, v19, v18, s3
	v_dual_mov_b32 v19, v9 :: v_dual_mov_b32 v18, v8
.LBB938_27:
	s_or_b32 exec_lo, exec_lo, s5
	v_dual_mov_b32 v25, 0 :: v_dual_and_b32 v24, 0xffffff80, v10
	v_or_b32_e32 v8, 4, v83
	v_lshlrev_b32_e32 v10, 1, v83
	v_and_b32_e32 v11, 4, v83
	s_delay_alu instid0(VALU_DEP_4)
	v_sub_nc_u32_e64 v28, 0x400, v24 clamp
	v_lshlrev_b64 v[4:5], 1, v[24:25]
	v_lshlrev_b32_e32 v22, 3, v83
	v_and_b32_e32 v26, 0x78, v83
	v_perm_b32 v36, v85, v48, 0x5040100
	v_min_u32_e32 v29, v28, v8
	v_min_u32_e32 v27, v28, v11
	v_add_co_u32 v8, s3, v12, v4
	s_delay_alu instid0(VALU_DEP_1) | instskip(NEXT) | instid1(VALU_DEP_4)
	v_add_co_ci_u32_e64 v9, s3, v13, v5, s3
	v_add_nc_u32_e32 v12, 4, v29
	s_delay_alu instid0(VALU_DEP_3) | instskip(NEXT) | instid1(VALU_DEP_3)
	v_add_co_u32 v10, s3, v8, v10
	v_mad_u64_u32 v[4:5], null, v24, 6, v[8:9]
	s_delay_alu instid0(VALU_DEP_3) | instskip(SKIP_3) | instid1(VALU_DEP_4)
	v_min_u32_e32 v32, v28, v12
	v_add_co_ci_u32_e64 v11, s3, 0, v9, s3
	v_sub_nc_u32_e32 v23, v29, v26
	v_perm_b32 v35, v86, v87, 0x5040100
	v_sub_nc_u32_e32 v24, v32, v29
	v_add_co_u32 v12, s3, v4, v22
	s_delay_alu instid0(VALU_DEP_1) | instskip(NEXT) | instid1(VALU_DEP_3)
	v_add_co_ci_u32_e64 v13, s3, 0, v5, s3
	v_sub_nc_u32_e64 v33, v27, v24 clamp
	s_delay_alu instid0(VALU_DEP_3) | instskip(SKIP_1) | instid1(VALU_DEP_4)
	v_add_co_u32 v22, s3, 0x800, v12
	v_min_u32_e32 v34, v27, v23
	v_add_co_ci_u32_e64 v23, s3, 0, v13, s3
	s_mov_b32 s4, exec_lo
	s_clause 0x2
	flat_store_b128 v[12:13], v[14:17] offset:2048
	flat_store_b64 v[10:11], v[35:36]
	flat_store_b128 v[12:13], v[18:21] offset:2064
	; wave barrier
	v_cmpx_lt_u32_e64 v33, v34
	s_cbranch_execz .LBB938_31
; %bb.28:
	v_lshlrev_b32_e32 v24, 1, v26
	v_lshlrev_b32_e32 v37, 1, v29
	s_mov_b32 s5, 0
	s_delay_alu instid0(VALU_DEP_2) | instskip(NEXT) | instid1(VALU_DEP_1)
	v_add_co_u32 v35, s3, v8, v24
	v_add_co_ci_u32_e64 v36, s3, 0, v9, s3
	s_delay_alu instid0(VALU_DEP_3) | instskip(NEXT) | instid1(VALU_DEP_1)
	v_add_co_u32 v37, s3, v8, v37
	v_add_co_ci_u32_e64 v38, s3, 0, v9, s3
	s_set_inst_prefetch_distance 0x1
	.p2align	6
.LBB938_29:                             ; =>This Inner Loop Header: Depth=1
	v_add_nc_u32_e32 v24, v34, v33
	s_delay_alu instid0(VALU_DEP_1) | instskip(SKIP_1) | instid1(VALU_DEP_2)
	v_lshrrev_b32_e32 v39, 1, v24
	v_and_b32_e32 v49, -2, v24
	v_xad_u32 v24, v39, -1, v27
	s_delay_alu instid0(VALU_DEP_2) | instskip(NEXT) | instid1(VALU_DEP_1)
	v_add_co_u32 v49, s3, v35, v49
	v_add_co_ci_u32_e64 v50, s3, 0, v36, s3
	s_delay_alu instid0(VALU_DEP_3) | instskip(NEXT) | instid1(VALU_DEP_1)
	v_lshlrev_b64 v[51:52], 1, v[24:25]
	v_add_co_u32 v51, s3, v37, v51
	s_delay_alu instid0(VALU_DEP_1)
	v_add_co_ci_u32_e64 v52, s3, v38, v52, s3
	s_clause 0x1
	flat_load_u16 v24, v[49:50]
	flat_load_u16 v49, v[51:52]
	v_add_nc_u32_e32 v50, 1, v39
	s_waitcnt vmcnt(1) lgkmcnt(1)
	v_and_b32_e32 v24, v24, v31
	s_waitcnt vmcnt(0) lgkmcnt(0)
	v_and_b32_e32 v49, v49, v31
	s_delay_alu instid0(VALU_DEP_1) | instskip(NEXT) | instid1(VALU_DEP_1)
	v_cmp_gt_i16_e64 s3, v49, v24
	v_cndmask_b32_e64 v34, v34, v39, s3
	v_cndmask_b32_e64 v33, v50, v33, s3
	s_delay_alu instid0(VALU_DEP_1) | instskip(NEXT) | instid1(VALU_DEP_1)
	v_cmp_ge_u32_e64 s3, v33, v34
	s_or_b32 s5, s3, s5
	s_delay_alu instid0(SALU_CYCLE_1)
	s_and_not1_b32 exec_lo, exec_lo, s5
	s_cbranch_execnz .LBB938_29
; %bb.30:
	s_set_inst_prefetch_distance 0x2
	s_or_b32 exec_lo, exec_lo, s5
.LBB938_31:
	s_delay_alu instid0(SALU_CYCLE_1) | instskip(SKIP_2) | instid1(VALU_DEP_2)
	s_or_b32 exec_lo, exec_lo, s4
	v_add_nc_u32_e32 v24, v29, v27
	v_add_nc_u32_e32 v26, v33, v26
	v_sub_nc_u32_e32 v24, v24, v33
	s_delay_alu instid0(VALU_DEP_2) | instskip(NEXT) | instid1(VALU_DEP_2)
	v_cmp_le_u32_e64 s3, v26, v29
	v_cmp_le_u32_e64 s4, v24, v32
	s_delay_alu instid0(VALU_DEP_1) | instskip(NEXT) | instid1(SALU_CYCLE_1)
	s_or_b32 s3, s3, s4
	s_and_saveexec_b32 s14, s3
	s_cbranch_execz .LBB938_37
; %bb.32:
	v_cmp_lt_u32_e64 s3, v26, v29
                                        ; implicit-def: $vgpr27
	s_delay_alu instid0(VALU_DEP_1)
	s_and_saveexec_b32 s5, s3
	s_cbranch_execz .LBB938_34
; %bb.33:
	v_mov_b32_e32 v27, 0
	s_delay_alu instid0(VALU_DEP_1) | instskip(NEXT) | instid1(VALU_DEP_1)
	v_lshlrev_b64 v[14:15], 1, v[26:27]
	v_add_co_u32 v14, s4, v8, v14
	s_delay_alu instid0(VALU_DEP_1)
	v_add_co_ci_u32_e64 v15, s4, v9, v15, s4
	flat_load_u16 v27, v[14:15]
.LBB938_34:
	s_or_b32 exec_lo, exec_lo, s5
	v_cmp_ge_u32_e64 s4, v24, v32
	s_mov_b32 s6, exec_lo
                                        ; implicit-def: $vgpr25
	v_cmpx_lt_u32_e64 v24, v32
	s_cbranch_execz .LBB938_36
; %bb.35:
	v_mov_b32_e32 v25, 0
	s_delay_alu instid0(VALU_DEP_1) | instskip(NEXT) | instid1(VALU_DEP_1)
	v_lshlrev_b64 v[14:15], 1, v[24:25]
	v_add_co_u32 v14, s5, v8, v14
	s_delay_alu instid0(VALU_DEP_1)
	v_add_co_ci_u32_e64 v15, s5, v9, v15, s5
	flat_load_u16 v25, v[14:15]
.LBB938_36:
	s_or_b32 exec_lo, exec_lo, s6
	s_waitcnt vmcnt(0) lgkmcnt(0)
	v_and_b32_e32 v14, v25, v31
	v_and_b32_e32 v15, v27, v31
	s_delay_alu instid0(VALU_DEP_1) | instskip(SKIP_1) | instid1(VALU_DEP_2)
	v_cmp_le_i16_e64 s5, v14, v15
	v_mov_b32_e32 v15, 0
	s_and_b32 s3, s3, s5
	s_delay_alu instid0(SALU_CYCLE_1) | instskip(NEXT) | instid1(SALU_CYCLE_1)
	s_or_b32 s3, s4, s3
	v_cndmask_b32_e64 v14, v24, v26, s3
	v_cndmask_b32_e64 v16, v32, v29, s3
	v_cndmask_b32_e64 v87, v25, v27, s3
	s_delay_alu instid0(VALU_DEP_3) | instskip(NEXT) | instid1(VALU_DEP_3)
	v_add_nc_u32_e32 v20, 1, v14
	v_add_nc_u32_e32 v18, -1, v16
	v_lshlrev_b64 v[16:17], 3, v[14:15]
	s_delay_alu instid0(VALU_DEP_3) | instskip(NEXT) | instid1(VALU_DEP_3)
	v_cndmask_b32_e64 v26, v26, v20, s3
	v_min_u32_e32 v14, v20, v18
	v_cndmask_b32_e64 v24, v20, v24, s3
	s_delay_alu instid0(VALU_DEP_2) | instskip(NEXT) | instid1(VALU_DEP_2)
	v_lshlrev_b64 v[18:19], 1, v[14:15]
	v_cmp_ge_u32_e64 s6, v24, v32
	s_delay_alu instid0(VALU_DEP_2) | instskip(NEXT) | instid1(VALU_DEP_1)
	v_add_co_u32 v18, s4, v8, v18
	v_add_co_ci_u32_e64 v19, s4, v9, v19, s4
	v_cmp_lt_u32_e64 s4, v26, v29
	flat_load_u16 v14, v[18:19]
	s_waitcnt vmcnt(0) lgkmcnt(0)
	v_cndmask_b32_e64 v35, v14, v25, s3
	v_cndmask_b32_e64 v36, v27, v14, s3
	s_delay_alu instid0(VALU_DEP_2) | instskip(NEXT) | instid1(VALU_DEP_2)
	v_and_b32_e32 v14, v35, v31
	v_and_b32_e32 v18, v36, v31
	s_delay_alu instid0(VALU_DEP_1) | instskip(NEXT) | instid1(VALU_DEP_1)
	v_cmp_le_i16_e64 s5, v14, v18
	s_and_b32 s4, s4, s5
	s_delay_alu instid0(SALU_CYCLE_1) | instskip(NEXT) | instid1(SALU_CYCLE_1)
	s_or_b32 s4, s6, s4
	v_cndmask_b32_e64 v14, v24, v26, s4
	v_cndmask_b32_e64 v18, v32, v29, s4
	;; [unrolled: 1-line block ×3, first 2 shown]
	s_delay_alu instid0(VALU_DEP_3) | instskip(NEXT) | instid1(VALU_DEP_3)
	v_add_nc_u32_e32 v33, 1, v14
	v_add_nc_u32_e32 v20, -1, v18
	v_lshlrev_b64 v[18:19], 3, v[14:15]
	s_delay_alu instid0(VALU_DEP_3) | instskip(NEXT) | instid1(VALU_DEP_3)
	v_cndmask_b32_e64 v26, v26, v33, s4
	v_min_u32_e32 v14, v33, v20
	v_cndmask_b32_e64 v24, v33, v24, s4
	s_delay_alu instid0(VALU_DEP_2) | instskip(NEXT) | instid1(VALU_DEP_2)
	v_lshlrev_b64 v[20:21], 1, v[14:15]
	v_cmp_ge_u32_e64 s7, v24, v32
	s_delay_alu instid0(VALU_DEP_2) | instskip(NEXT) | instid1(VALU_DEP_1)
	v_add_co_u32 v20, s5, v8, v20
	v_add_co_ci_u32_e64 v21, s5, v9, v21, s5
	v_cmp_lt_u32_e64 s5, v26, v29
	flat_load_u16 v14, v[20:21]
	s_waitcnt vmcnt(0) lgkmcnt(0)
	v_cndmask_b32_e64 v37, v14, v35, s4
	v_cndmask_b32_e64 v38, v36, v14, s4
	s_delay_alu instid0(VALU_DEP_2) | instskip(NEXT) | instid1(VALU_DEP_2)
	v_and_b32_e32 v14, v37, v31
	v_and_b32_e32 v20, v38, v31
	s_delay_alu instid0(VALU_DEP_1) | instskip(NEXT) | instid1(VALU_DEP_1)
	v_cmp_le_i16_e64 s6, v14, v20
	s_and_b32 s5, s5, s6
	s_delay_alu instid0(SALU_CYCLE_1) | instskip(NEXT) | instid1(SALU_CYCLE_1)
	s_or_b32 s5, s7, s5
	v_cndmask_b32_e64 v14, v24, v26, s5
	v_cndmask_b32_e64 v20, v32, v29, s5
	;; [unrolled: 1-line block ×3, first 2 shown]
	s_delay_alu instid0(VALU_DEP_3) | instskip(NEXT) | instid1(VALU_DEP_3)
	v_add_nc_u32_e32 v39, 1, v14
	v_add_nc_u32_e32 v33, -1, v20
	v_lshlrev_b64 v[20:21], 3, v[14:15]
	s_delay_alu instid0(VALU_DEP_3) | instskip(NEXT) | instid1(VALU_DEP_3)
	v_cndmask_b32_e64 v24, v39, v24, s5
	v_min_u32_e32 v14, v39, v33
	s_delay_alu instid0(VALU_DEP_2) | instskip(NEXT) | instid1(VALU_DEP_2)
	v_cmp_ge_u32_e64 s10, v24, v32
	v_lshlrev_b64 v[33:34], 1, v[14:15]
	s_delay_alu instid0(VALU_DEP_1) | instskip(NEXT) | instid1(VALU_DEP_1)
	v_add_co_u32 v33, s6, v8, v33
	v_add_co_ci_u32_e64 v34, s6, v9, v34, s6
	flat_load_u16 v14, v[33:34]
	s_waitcnt vmcnt(0) lgkmcnt(0)
	v_cndmask_b32_e64 v34, v14, v37, s5
	v_cndmask_b32_e64 v49, v38, v14, s5
	;; [unrolled: 1-line block ×3, first 2 shown]
	s_delay_alu instid0(VALU_DEP_3) | instskip(NEXT) | instid1(VALU_DEP_3)
	v_and_b32_e32 v26, v34, v31
	v_and_b32_e32 v33, v49, v31
	s_delay_alu instid0(VALU_DEP_3) | instskip(NEXT) | instid1(VALU_DEP_2)
	v_cmp_lt_u32_e64 s6, v14, v29
	v_cmp_le_i16_e64 s7, v26, v33
	s_delay_alu instid0(VALU_DEP_1) | instskip(SKIP_1) | instid1(VALU_DEP_1)
	s_and_b32 s7, s6, s7
	v_add_co_u32 v16, s6, v4, v16
	v_add_co_ci_u32_e64 v17, s6, v5, v17, s6
	s_or_b32 s6, s10, s7
	v_add_co_u32 v18, s7, v4, v18
	v_cndmask_b32_e64 v14, v24, v14, s6
	v_add_co_ci_u32_e64 v19, s7, v5, v19, s7
	v_add_co_u32 v20, s7, v4, v20
	s_delay_alu instid0(VALU_DEP_3) | instskip(SKIP_2) | instid1(VALU_DEP_3)
	v_lshlrev_b64 v[14:15], 3, v[14:15]
	v_add_co_ci_u32_e64 v21, s7, v5, v21, s7
	v_cndmask_b32_e64 v85, v34, v49, s6
	v_add_co_u32 v32, s7, v4, v14
	s_delay_alu instid0(VALU_DEP_1)
	v_add_co_ci_u32_e64 v33, s7, v5, v15, s7
	s_clause 0x3
	flat_load_b64 v[14:15], v[16:17] offset:2048
	flat_load_b64 v[16:17], v[18:19] offset:2048
	;; [unrolled: 1-line block ×4, first 2 shown]
.LBB938_37:
	s_or_b32 exec_lo, exec_lo, s14
	v_and_b32_e32 v26, 0x70, v83
	v_and_b32_e32 v25, 12, v83
	s_mov_b32 s4, exec_lo
	; wave barrier
	s_delay_alu instid0(VALU_DEP_2) | instskip(NEXT) | instid1(VALU_DEP_2)
	v_or_b32_e32 v24, 8, v26
	v_min_u32_e32 v27, v28, v25
	s_delay_alu instid0(VALU_DEP_2) | instskip(NEXT) | instid1(VALU_DEP_1)
	v_min_u32_e32 v29, v28, v24
	v_add_nc_u32_e32 v24, 8, v29
	s_delay_alu instid0(VALU_DEP_1) | instskip(SKIP_1) | instid1(VALU_DEP_2)
	v_min_u32_e32 v32, v28, v24
	v_sub_nc_u32_e32 v24, v29, v26
	v_sub_nc_u32_e32 v25, v32, v29
	s_delay_alu instid0(VALU_DEP_2) | instskip(SKIP_1) | instid1(VALU_DEP_3)
	v_min_u32_e32 v34, v27, v24
	v_perm_b32 v24, v86, v87, 0x5040100
	v_sub_nc_u32_e64 v33, v27, v25 clamp
	v_perm_b32 v25, v85, v48, 0x5040100
	s_waitcnt vmcnt(2) lgkmcnt(2)
	s_clause 0x1
	flat_store_b128 v[12:13], v[14:17] offset:2048
	flat_store_b64 v[10:11], v[24:25]
	s_waitcnt vmcnt(0) lgkmcnt(2)
	flat_store_b128 v[22:23], v[18:21] offset:16
	; wave barrier
	v_cmpx_lt_u32_e64 v33, v34
	s_cbranch_execz .LBB938_41
; %bb.38:
	v_lshlrev_b32_e32 v24, 1, v26
	v_lshlrev_b32_e32 v25, 1, v29
	s_mov_b32 s5, 0
	s_delay_alu instid0(VALU_DEP_2) | instskip(NEXT) | instid1(VALU_DEP_1)
	v_add_co_u32 v35, s3, v8, v24
	v_add_co_ci_u32_e64 v36, s3, 0, v9, s3
	s_delay_alu instid0(VALU_DEP_3)
	v_add_co_u32 v37, s3, v8, v25
	v_mov_b32_e32 v25, 0
	v_add_co_ci_u32_e64 v38, s3, 0, v9, s3
	s_set_inst_prefetch_distance 0x1
	.p2align	6
.LBB938_39:                             ; =>This Inner Loop Header: Depth=1
	v_add_nc_u32_e32 v24, v34, v33
	s_delay_alu instid0(VALU_DEP_1) | instskip(SKIP_1) | instid1(VALU_DEP_2)
	v_lshrrev_b32_e32 v39, 1, v24
	v_and_b32_e32 v49, -2, v24
	v_xad_u32 v24, v39, -1, v27
	s_delay_alu instid0(VALU_DEP_2) | instskip(NEXT) | instid1(VALU_DEP_1)
	v_add_co_u32 v49, s3, v35, v49
	v_add_co_ci_u32_e64 v50, s3, 0, v36, s3
	s_delay_alu instid0(VALU_DEP_3) | instskip(NEXT) | instid1(VALU_DEP_1)
	v_lshlrev_b64 v[51:52], 1, v[24:25]
	v_add_co_u32 v51, s3, v37, v51
	s_delay_alu instid0(VALU_DEP_1)
	v_add_co_ci_u32_e64 v52, s3, v38, v52, s3
	s_clause 0x1
	flat_load_u16 v24, v[49:50]
	flat_load_u16 v49, v[51:52]
	v_add_nc_u32_e32 v50, 1, v39
	s_waitcnt vmcnt(1) lgkmcnt(1)
	v_and_b32_e32 v24, v24, v31
	s_waitcnt vmcnt(0) lgkmcnt(0)
	v_and_b32_e32 v49, v49, v31
	s_delay_alu instid0(VALU_DEP_1) | instskip(NEXT) | instid1(VALU_DEP_1)
	v_cmp_gt_i16_e64 s3, v49, v24
	v_cndmask_b32_e64 v34, v34, v39, s3
	v_cndmask_b32_e64 v33, v50, v33, s3
	s_delay_alu instid0(VALU_DEP_1) | instskip(NEXT) | instid1(VALU_DEP_1)
	v_cmp_ge_u32_e64 s3, v33, v34
	s_or_b32 s5, s3, s5
	s_delay_alu instid0(SALU_CYCLE_1)
	s_and_not1_b32 exec_lo, exec_lo, s5
	s_cbranch_execnz .LBB938_39
; %bb.40:
	s_set_inst_prefetch_distance 0x2
	s_or_b32 exec_lo, exec_lo, s5
.LBB938_41:
	s_delay_alu instid0(SALU_CYCLE_1) | instskip(SKIP_2) | instid1(VALU_DEP_2)
	s_or_b32 exec_lo, exec_lo, s4
	v_add_nc_u32_e32 v24, v29, v27
	v_add_nc_u32_e32 v26, v33, v26
	v_sub_nc_u32_e32 v24, v24, v33
	s_delay_alu instid0(VALU_DEP_2) | instskip(NEXT) | instid1(VALU_DEP_2)
	v_cmp_le_u32_e64 s3, v26, v29
	v_cmp_le_u32_e64 s4, v24, v32
	s_delay_alu instid0(VALU_DEP_1) | instskip(NEXT) | instid1(SALU_CYCLE_1)
	s_or_b32 s3, s3, s4
	s_and_saveexec_b32 s14, s3
	s_cbranch_execz .LBB938_47
; %bb.42:
	v_cmp_lt_u32_e64 s3, v26, v29
                                        ; implicit-def: $vgpr27
	s_delay_alu instid0(VALU_DEP_1)
	s_and_saveexec_b32 s5, s3
	s_cbranch_execz .LBB938_44
; %bb.43:
	v_mov_b32_e32 v27, 0
	s_delay_alu instid0(VALU_DEP_1) | instskip(NEXT) | instid1(VALU_DEP_1)
	v_lshlrev_b64 v[14:15], 1, v[26:27]
	v_add_co_u32 v14, s4, v8, v14
	s_delay_alu instid0(VALU_DEP_1)
	v_add_co_ci_u32_e64 v15, s4, v9, v15, s4
	flat_load_u16 v27, v[14:15]
.LBB938_44:
	s_or_b32 exec_lo, exec_lo, s5
	v_cmp_ge_u32_e64 s4, v24, v32
	s_mov_b32 s6, exec_lo
                                        ; implicit-def: $vgpr25
	v_cmpx_lt_u32_e64 v24, v32
	s_cbranch_execz .LBB938_46
; %bb.45:
	v_mov_b32_e32 v25, 0
	s_delay_alu instid0(VALU_DEP_1) | instskip(NEXT) | instid1(VALU_DEP_1)
	v_lshlrev_b64 v[14:15], 1, v[24:25]
	v_add_co_u32 v14, s5, v8, v14
	s_delay_alu instid0(VALU_DEP_1)
	v_add_co_ci_u32_e64 v15, s5, v9, v15, s5
	flat_load_u16 v25, v[14:15]
.LBB938_46:
	s_or_b32 exec_lo, exec_lo, s6
	s_waitcnt vmcnt(0) lgkmcnt(0)
	v_and_b32_e32 v14, v25, v31
	v_and_b32_e32 v15, v27, v31
	s_delay_alu instid0(VALU_DEP_1) | instskip(SKIP_1) | instid1(VALU_DEP_2)
	v_cmp_le_i16_e64 s5, v14, v15
	v_mov_b32_e32 v15, 0
	s_and_b32 s3, s3, s5
	s_delay_alu instid0(SALU_CYCLE_1) | instskip(NEXT) | instid1(SALU_CYCLE_1)
	s_or_b32 s3, s4, s3
	v_cndmask_b32_e64 v14, v24, v26, s3
	v_cndmask_b32_e64 v16, v32, v29, s3
	;; [unrolled: 1-line block ×3, first 2 shown]
	s_delay_alu instid0(VALU_DEP_3) | instskip(NEXT) | instid1(VALU_DEP_3)
	v_add_nc_u32_e32 v20, 1, v14
	v_add_nc_u32_e32 v18, -1, v16
	v_lshlrev_b64 v[16:17], 3, v[14:15]
	s_delay_alu instid0(VALU_DEP_3) | instskip(NEXT) | instid1(VALU_DEP_3)
	v_cndmask_b32_e64 v26, v26, v20, s3
	v_min_u32_e32 v14, v20, v18
	v_cndmask_b32_e64 v24, v20, v24, s3
	s_delay_alu instid0(VALU_DEP_2) | instskip(NEXT) | instid1(VALU_DEP_2)
	v_lshlrev_b64 v[18:19], 1, v[14:15]
	v_cmp_ge_u32_e64 s6, v24, v32
	s_delay_alu instid0(VALU_DEP_2) | instskip(NEXT) | instid1(VALU_DEP_1)
	v_add_co_u32 v18, s4, v8, v18
	v_add_co_ci_u32_e64 v19, s4, v9, v19, s4
	v_cmp_lt_u32_e64 s4, v26, v29
	flat_load_u16 v14, v[18:19]
	s_waitcnt vmcnt(0) lgkmcnt(0)
	v_cndmask_b32_e64 v35, v14, v25, s3
	v_cndmask_b32_e64 v36, v27, v14, s3
	s_delay_alu instid0(VALU_DEP_2) | instskip(NEXT) | instid1(VALU_DEP_2)
	v_and_b32_e32 v14, v35, v31
	v_and_b32_e32 v18, v36, v31
	s_delay_alu instid0(VALU_DEP_1) | instskip(NEXT) | instid1(VALU_DEP_1)
	v_cmp_le_i16_e64 s5, v14, v18
	s_and_b32 s4, s4, s5
	s_delay_alu instid0(SALU_CYCLE_1) | instskip(NEXT) | instid1(SALU_CYCLE_1)
	s_or_b32 s4, s6, s4
	v_cndmask_b32_e64 v14, v24, v26, s4
	v_cndmask_b32_e64 v18, v32, v29, s4
	;; [unrolled: 1-line block ×3, first 2 shown]
	s_delay_alu instid0(VALU_DEP_3) | instskip(NEXT) | instid1(VALU_DEP_3)
	v_add_nc_u32_e32 v33, 1, v14
	v_add_nc_u32_e32 v20, -1, v18
	v_lshlrev_b64 v[18:19], 3, v[14:15]
	s_delay_alu instid0(VALU_DEP_3) | instskip(NEXT) | instid1(VALU_DEP_3)
	v_cndmask_b32_e64 v26, v26, v33, s4
	v_min_u32_e32 v14, v33, v20
	v_cndmask_b32_e64 v24, v33, v24, s4
	s_delay_alu instid0(VALU_DEP_2) | instskip(NEXT) | instid1(VALU_DEP_2)
	v_lshlrev_b64 v[20:21], 1, v[14:15]
	v_cmp_ge_u32_e64 s7, v24, v32
	s_delay_alu instid0(VALU_DEP_2) | instskip(NEXT) | instid1(VALU_DEP_1)
	v_add_co_u32 v20, s5, v8, v20
	v_add_co_ci_u32_e64 v21, s5, v9, v21, s5
	v_cmp_lt_u32_e64 s5, v26, v29
	flat_load_u16 v14, v[20:21]
	s_waitcnt vmcnt(0) lgkmcnt(0)
	v_cndmask_b32_e64 v37, v14, v35, s4
	v_cndmask_b32_e64 v38, v36, v14, s4
	s_delay_alu instid0(VALU_DEP_2) | instskip(NEXT) | instid1(VALU_DEP_2)
	v_and_b32_e32 v14, v37, v31
	v_and_b32_e32 v20, v38, v31
	s_delay_alu instid0(VALU_DEP_1) | instskip(NEXT) | instid1(VALU_DEP_1)
	v_cmp_le_i16_e64 s6, v14, v20
	s_and_b32 s5, s5, s6
	s_delay_alu instid0(SALU_CYCLE_1) | instskip(NEXT) | instid1(SALU_CYCLE_1)
	s_or_b32 s5, s7, s5
	v_cndmask_b32_e64 v14, v24, v26, s5
	v_cndmask_b32_e64 v20, v32, v29, s5
	;; [unrolled: 1-line block ×3, first 2 shown]
	s_delay_alu instid0(VALU_DEP_3) | instskip(NEXT) | instid1(VALU_DEP_3)
	v_add_nc_u32_e32 v39, 1, v14
	v_add_nc_u32_e32 v33, -1, v20
	v_lshlrev_b64 v[20:21], 3, v[14:15]
	s_delay_alu instid0(VALU_DEP_3) | instskip(NEXT) | instid1(VALU_DEP_3)
	v_cndmask_b32_e64 v24, v39, v24, s5
	v_min_u32_e32 v14, v39, v33
	s_delay_alu instid0(VALU_DEP_2) | instskip(NEXT) | instid1(VALU_DEP_2)
	v_cmp_ge_u32_e64 s10, v24, v32
	v_lshlrev_b64 v[33:34], 1, v[14:15]
	s_delay_alu instid0(VALU_DEP_1) | instskip(NEXT) | instid1(VALU_DEP_1)
	v_add_co_u32 v33, s6, v8, v33
	v_add_co_ci_u32_e64 v34, s6, v9, v34, s6
	flat_load_u16 v14, v[33:34]
	s_waitcnt vmcnt(0) lgkmcnt(0)
	v_cndmask_b32_e64 v34, v14, v37, s5
	v_cndmask_b32_e64 v49, v38, v14, s5
	v_cndmask_b32_e64 v14, v26, v39, s5
	s_delay_alu instid0(VALU_DEP_3) | instskip(NEXT) | instid1(VALU_DEP_3)
	v_and_b32_e32 v26, v34, v31
	v_and_b32_e32 v33, v49, v31
	s_delay_alu instid0(VALU_DEP_3) | instskip(NEXT) | instid1(VALU_DEP_2)
	v_cmp_lt_u32_e64 s6, v14, v29
	v_cmp_le_i16_e64 s7, v26, v33
	s_delay_alu instid0(VALU_DEP_1) | instskip(SKIP_1) | instid1(VALU_DEP_1)
	s_and_b32 s7, s6, s7
	v_add_co_u32 v16, s6, v4, v16
	v_add_co_ci_u32_e64 v17, s6, v5, v17, s6
	s_or_b32 s6, s10, s7
	v_add_co_u32 v18, s7, v4, v18
	v_cndmask_b32_e64 v14, v24, v14, s6
	v_add_co_ci_u32_e64 v19, s7, v5, v19, s7
	v_add_co_u32 v20, s7, v4, v20
	s_delay_alu instid0(VALU_DEP_3) | instskip(SKIP_2) | instid1(VALU_DEP_3)
	v_lshlrev_b64 v[14:15], 3, v[14:15]
	v_add_co_ci_u32_e64 v21, s7, v5, v21, s7
	v_cndmask_b32_e64 v85, v34, v49, s6
	v_add_co_u32 v32, s7, v4, v14
	s_delay_alu instid0(VALU_DEP_1)
	v_add_co_ci_u32_e64 v33, s7, v5, v15, s7
	s_clause 0x3
	flat_load_b64 v[14:15], v[16:17] offset:2048
	flat_load_b64 v[16:17], v[18:19] offset:2048
	;; [unrolled: 1-line block ×4, first 2 shown]
.LBB938_47:
	s_or_b32 exec_lo, exec_lo, s14
	v_and_b32_e32 v26, 0x60, v83
	v_min_u32_e32 v27, v28, v84
	v_perm_b32 v33, v85, v48, 0x5040100
	s_mov_b32 s4, exec_lo
	s_delay_alu instid0(VALU_DEP_3) | instskip(NEXT) | instid1(VALU_DEP_1)
	v_or_b32_e32 v24, 16, v26
	; wave barrier
	v_min_u32_e32 v24, v28, v24
	s_delay_alu instid0(VALU_DEP_1) | instskip(NEXT) | instid1(VALU_DEP_1)
	v_add_nc_u32_e32 v25, 16, v24
	v_min_u32_e32 v25, v28, v25
	v_sub_nc_u32_e32 v28, v24, v26
	s_delay_alu instid0(VALU_DEP_2) | instskip(NEXT) | instid1(VALU_DEP_2)
	v_sub_nc_u32_e32 v32, v25, v24
	v_min_u32_e32 v29, v27, v28
	s_delay_alu instid0(VALU_DEP_2)
	v_sub_nc_u32_e64 v28, v27, v32 clamp
	v_perm_b32 v32, v86, v87, 0x5040100
	s_waitcnt vmcnt(2) lgkmcnt(2)
	s_clause 0x1
	flat_store_b128 v[12:13], v[14:17] offset:2048
	flat_store_b64 v[10:11], v[32:33]
	s_waitcnt vmcnt(0) lgkmcnt(2)
	flat_store_b128 v[22:23], v[18:21] offset:16
	; wave barrier
	v_cmpx_lt_u32_e64 v28, v29
	s_cbranch_execz .LBB938_51
; %bb.48:
	v_lshlrev_b32_e32 v10, 1, v26
	v_lshlrev_b32_e32 v11, 1, v24
	s_mov_b32 s5, 0
	s_delay_alu instid0(VALU_DEP_2) | instskip(NEXT) | instid1(VALU_DEP_1)
	v_add_co_u32 v12, s3, v8, v10
	v_add_co_ci_u32_e64 v13, s3, 0, v9, s3
	s_delay_alu instid0(VALU_DEP_3)
	v_add_co_u32 v22, s3, v8, v11
	v_mov_b32_e32 v11, 0
	v_add_co_ci_u32_e64 v23, s3, 0, v9, s3
	s_set_inst_prefetch_distance 0x1
	.p2align	6
.LBB938_49:                             ; =>This Inner Loop Header: Depth=1
	v_add_nc_u32_e32 v10, v29, v28
	s_delay_alu instid0(VALU_DEP_1) | instskip(SKIP_1) | instid1(VALU_DEP_2)
	v_lshrrev_b32_e32 v36, 1, v10
	v_and_b32_e32 v32, -2, v10
	v_xad_u32 v10, v36, -1, v27
	s_delay_alu instid0(VALU_DEP_2) | instskip(NEXT) | instid1(VALU_DEP_1)
	v_add_co_u32 v32, s3, v12, v32
	v_add_co_ci_u32_e64 v33, s3, 0, v13, s3
	s_delay_alu instid0(VALU_DEP_3) | instskip(NEXT) | instid1(VALU_DEP_1)
	v_lshlrev_b64 v[34:35], 1, v[10:11]
	v_add_co_u32 v34, s3, v22, v34
	s_delay_alu instid0(VALU_DEP_1)
	v_add_co_ci_u32_e64 v35, s3, v23, v35, s3
	s_clause 0x1
	flat_load_u16 v10, v[32:33]
	flat_load_u16 v32, v[34:35]
	v_add_nc_u32_e32 v33, 1, v36
	s_waitcnt vmcnt(1) lgkmcnt(1)
	v_and_b32_e32 v10, v10, v31
	s_waitcnt vmcnt(0) lgkmcnt(0)
	v_and_b32_e32 v32, v32, v31
	s_delay_alu instid0(VALU_DEP_1) | instskip(NEXT) | instid1(VALU_DEP_1)
	v_cmp_gt_i16_e64 s3, v32, v10
	v_cndmask_b32_e64 v29, v29, v36, s3
	v_cndmask_b32_e64 v28, v33, v28, s3
	s_delay_alu instid0(VALU_DEP_1) | instskip(NEXT) | instid1(VALU_DEP_1)
	v_cmp_ge_u32_e64 s3, v28, v29
	s_or_b32 s5, s3, s5
	s_delay_alu instid0(SALU_CYCLE_1)
	s_and_not1_b32 exec_lo, exec_lo, s5
	s_cbranch_execnz .LBB938_49
; %bb.50:
	s_set_inst_prefetch_distance 0x2
	s_or_b32 exec_lo, exec_lo, s5
.LBB938_51:
	s_delay_alu instid0(SALU_CYCLE_1) | instskip(SKIP_2) | instid1(VALU_DEP_2)
	s_or_b32 exec_lo, exec_lo, s4
	v_add_nc_u32_e32 v10, v24, v27
	v_add_nc_u32_e32 v12, v28, v26
	v_sub_nc_u32_e32 v10, v10, v28
	s_delay_alu instid0(VALU_DEP_2) | instskip(NEXT) | instid1(VALU_DEP_2)
	v_cmp_le_u32_e64 s3, v12, v24
	v_cmp_le_u32_e64 s4, v10, v25
	s_delay_alu instid0(VALU_DEP_1) | instskip(NEXT) | instid1(SALU_CYCLE_1)
	s_or_b32 s3, s3, s4
	s_and_saveexec_b32 s14, s3
	s_cbranch_execz .LBB938_57
; %bb.52:
	v_cmp_lt_u32_e64 s3, v12, v24
                                        ; implicit-def: $vgpr13
	s_delay_alu instid0(VALU_DEP_1)
	s_and_saveexec_b32 s5, s3
	s_cbranch_execz .LBB938_54
; %bb.53:
	v_mov_b32_e32 v13, 0
	s_delay_alu instid0(VALU_DEP_1) | instskip(NEXT) | instid1(VALU_DEP_1)
	v_lshlrev_b64 v[13:14], 1, v[12:13]
	v_add_co_u32 v13, s4, v8, v13
	s_delay_alu instid0(VALU_DEP_1)
	v_add_co_ci_u32_e64 v14, s4, v9, v14, s4
	flat_load_u16 v13, v[13:14]
.LBB938_54:
	s_or_b32 exec_lo, exec_lo, s5
	v_cmp_ge_u32_e64 s4, v10, v25
	s_mov_b32 s6, exec_lo
                                        ; implicit-def: $vgpr11
	v_cmpx_lt_u32_e64 v10, v25
	s_cbranch_execz .LBB938_56
; %bb.55:
	v_mov_b32_e32 v11, 0
	s_delay_alu instid0(VALU_DEP_1) | instskip(NEXT) | instid1(VALU_DEP_1)
	v_lshlrev_b64 v[14:15], 1, v[10:11]
	v_add_co_u32 v14, s5, v8, v14
	s_delay_alu instid0(VALU_DEP_1)
	v_add_co_ci_u32_e64 v15, s5, v9, v15, s5
	flat_load_u16 v11, v[14:15]
.LBB938_56:
	s_or_b32 exec_lo, exec_lo, s6
	s_waitcnt vmcnt(0) lgkmcnt(0)
	v_and_b32_e32 v14, v11, v31
	v_and_b32_e32 v15, v13, v31
	s_delay_alu instid0(VALU_DEP_1) | instskip(SKIP_1) | instid1(VALU_DEP_2)
	v_cmp_le_i16_e64 s5, v14, v15
	v_mov_b32_e32 v15, 0
	s_and_b32 s3, s3, s5
	s_delay_alu instid0(SALU_CYCLE_1) | instskip(NEXT) | instid1(SALU_CYCLE_1)
	s_or_b32 s3, s4, s3
	v_cndmask_b32_e64 v14, v10, v12, s3
	v_cndmask_b32_e64 v16, v25, v24, s3
	v_cndmask_b32_e64 v87, v11, v13, s3
	s_delay_alu instid0(VALU_DEP_3) | instskip(NEXT) | instid1(VALU_DEP_3)
	v_add_nc_u32_e32 v20, 1, v14
	v_add_nc_u32_e32 v18, -1, v16
	v_lshlrev_b64 v[16:17], 3, v[14:15]
	s_delay_alu instid0(VALU_DEP_3) | instskip(NEXT) | instid1(VALU_DEP_3)
	v_cndmask_b32_e64 v12, v12, v20, s3
	v_min_u32_e32 v14, v20, v18
	v_cndmask_b32_e64 v10, v20, v10, s3
	s_delay_alu instid0(VALU_DEP_2) | instskip(NEXT) | instid1(VALU_DEP_2)
	v_lshlrev_b64 v[18:19], 1, v[14:15]
	v_cmp_ge_u32_e64 s6, v10, v25
	s_delay_alu instid0(VALU_DEP_2) | instskip(NEXT) | instid1(VALU_DEP_1)
	v_add_co_u32 v18, s4, v8, v18
	v_add_co_ci_u32_e64 v19, s4, v9, v19, s4
	v_cmp_lt_u32_e64 s4, v12, v24
	flat_load_u16 v14, v[18:19]
	s_waitcnt vmcnt(0) lgkmcnt(0)
	v_cndmask_b32_e64 v26, v14, v11, s3
	v_cndmask_b32_e64 v27, v13, v14, s3
	s_delay_alu instid0(VALU_DEP_2) | instskip(NEXT) | instid1(VALU_DEP_2)
	v_and_b32_e32 v14, v26, v31
	v_and_b32_e32 v18, v27, v31
	s_delay_alu instid0(VALU_DEP_1) | instskip(NEXT) | instid1(VALU_DEP_1)
	v_cmp_le_i16_e64 s5, v14, v18
	s_and_b32 s4, s4, s5
	s_delay_alu instid0(SALU_CYCLE_1) | instskip(NEXT) | instid1(SALU_CYCLE_1)
	s_or_b32 s4, s6, s4
	v_cndmask_b32_e64 v14, v10, v12, s4
	v_cndmask_b32_e64 v18, v25, v24, s4
	v_cndmask_b32_e64 v86, v26, v27, s4
	s_delay_alu instid0(VALU_DEP_3) | instskip(NEXT) | instid1(VALU_DEP_3)
	v_add_nc_u32_e32 v22, 1, v14
	v_add_nc_u32_e32 v20, -1, v18
	v_lshlrev_b64 v[18:19], 3, v[14:15]
	s_delay_alu instid0(VALU_DEP_3) | instskip(NEXT) | instid1(VALU_DEP_3)
	v_cndmask_b32_e64 v12, v12, v22, s4
	v_min_u32_e32 v14, v22, v20
	v_cndmask_b32_e64 v10, v22, v10, s4
	s_delay_alu instid0(VALU_DEP_2) | instskip(NEXT) | instid1(VALU_DEP_2)
	v_lshlrev_b64 v[20:21], 1, v[14:15]
	v_cmp_ge_u32_e64 s7, v10, v25
	s_delay_alu instid0(VALU_DEP_2) | instskip(NEXT) | instid1(VALU_DEP_1)
	v_add_co_u32 v20, s5, v8, v20
	v_add_co_ci_u32_e64 v21, s5, v9, v21, s5
	v_cmp_lt_u32_e64 s5, v12, v24
	flat_load_u16 v14, v[20:21]
	s_waitcnt vmcnt(0) lgkmcnt(0)
	v_cndmask_b32_e64 v28, v14, v26, s4
	v_cndmask_b32_e64 v29, v27, v14, s4
	s_delay_alu instid0(VALU_DEP_2) | instskip(NEXT) | instid1(VALU_DEP_2)
	v_and_b32_e32 v14, v28, v31
	v_and_b32_e32 v20, v29, v31
	s_delay_alu instid0(VALU_DEP_1) | instskip(NEXT) | instid1(VALU_DEP_1)
	v_cmp_le_i16_e64 s6, v14, v20
	;; [unrolled: 30-line block ×3, first 2 shown]
	s_and_b32 s7, s6, s7
	v_add_co_u32 v8, s6, v4, v16
	s_delay_alu instid0(VALU_DEP_1)
	v_add_co_ci_u32_e64 v9, s6, v5, v17, s6
	s_or_b32 s6, s10, s7
	v_add_co_u32 v16, s7, v4, v18
	v_cndmask_b32_e64 v14, v10, v12, s6
	v_add_co_ci_u32_e64 v17, s7, v5, v19, s7
	v_add_co_u32 v18, s7, v4, v20
	s_delay_alu instid0(VALU_DEP_3) | instskip(SKIP_2) | instid1(VALU_DEP_3)
	v_lshlrev_b64 v[14:15], 3, v[14:15]
	v_add_co_ci_u32_e64 v19, s7, v5, v21, s7
	v_cndmask_b32_e64 v85, v22, v23, s6
	v_add_co_u32 v4, s7, v4, v14
	s_delay_alu instid0(VALU_DEP_1)
	v_add_co_ci_u32_e64 v5, s7, v5, v15, s7
	s_clause 0x3
	flat_load_b64 v[14:15], v[8:9] offset:2048
	flat_load_b64 v[16:17], v[16:17] offset:2048
	flat_load_b64 v[18:19], v[18:19] offset:2048
	flat_load_b64 v[20:21], v[4:5] offset:2048
.LBB938_57:
	s_or_b32 exec_lo, exec_lo, s14
	; wave barrier
	s_waitcnt vmcnt(0) lgkmcnt(0)
	s_waitcnt_vscnt null, 0x0
	s_barrier
                                        ; implicit-def: $vgpr83
                                        ; implicit-def: $vgpr12
                                        ; implicit-def: $vgpr13
                                        ; implicit-def: $vgpr84
                                        ; implicit-def: $vgpr5
                                        ; implicit-def: $vgpr8
                                        ; implicit-def: $vgpr4
                                        ; implicit-def: $vgpr32_vgpr33_vgpr34_vgpr35_vgpr36_vgpr37_vgpr38_vgpr39
                                        ; implicit-def: $vgpr22_vgpr23_vgpr24_vgpr25_vgpr26_vgpr27_vgpr28_vgpr29
.LBB938_58:
	s_and_not1_saveexec_b32 s10, s11
	s_cbranch_execz .LBB938_94
; %bb.59:
	s_load_b64 s[4:5], s[8:9], 0x0
	v_mov_b32_e32 v11, 0
	s_waitcnt lgkmcnt(0)
	s_cmp_lt_u32 s13, s5
	s_cselect_b32 s3, 14, 20
	s_delay_alu instid0(SALU_CYCLE_1) | instskip(SKIP_4) | instid1(SALU_CYCLE_1)
	s_add_u32 s6, s8, s3
	s_addc_u32 s7, s9, 0
	s_cmp_lt_u32 s12, s4
	global_load_u16 v9, v11, s[6:7]
	s_cselect_b32 s3, 12, 18
	s_add_u32 s4, s8, s3
	s_addc_u32 s5, s9, 0
	global_load_u16 v10, v11, s[4:5]
	s_mov_b32 s6, exec_lo
	s_waitcnt vmcnt(1)
	v_mad_u32_u24 v5, v8, v9, v5
	s_waitcnt vmcnt(0)
	s_delay_alu instid0(VALU_DEP_1) | instskip(NEXT) | instid1(VALU_DEP_1)
	v_mul_lo_u32 v5, v5, v10
	v_add_lshl_u32 v4, v5, v4, 2
	s_delay_alu instid0(VALU_DEP_1)
	v_cmpx_gt_u32_e32 0x400, v4
	s_cbranch_execz .LBB938_63
; %bb.60:
	v_cmp_gt_i16_e64 s3, v86, v87
	v_min_i16 v18, v86, v87
	v_cmp_gt_i16_e64 s4, v85, v48
	v_max_i16 v10, v85, v48
	v_max_i16 v5, v86, v87
	v_cndmask_b32_e64 v19, v14, v16, s3
	v_cndmask_b32_e64 v20, v15, v17, s3
	;; [unrolled: 1-line block ×5, first 2 shown]
	v_cmp_gt_i16_e64 s5, v10, v18
	v_min_i16 v8, v85, v48
	v_cndmask_b32_e64 v23, v28, v36, s4
	v_cndmask_b32_e64 v16, v37, v29, s4
	;; [unrolled: 1-line block ×3, first 2 shown]
	v_max_i16 v9, v10, v18
	v_cmp_gt_i16_e64 s3, v10, v5
	v_min_i16 v10, v10, v18
	v_cndmask_b32_e64 v22, v14, v17, s5
	v_cmp_lt_i16_e64 s4, v18, v8
	v_cndmask_b32_e64 v25, v17, v14, s5
	v_cndmask_b32_e64 v21, v15, v16, s5
	v_cndmask_b32_e64 v26, v16, v15, s5
	v_cndmask_b32_e64 v14, v19, v22, s3
	v_cndmask_b32_e64 v16, v22, v19, s3
	v_cndmask_b32_e64 v22, v10, v8, s4
	v_cndmask_b32_e64 v86, v9, v5, s3
	v_cndmask_b32_e64 v15, v20, v21, s3
	v_cndmask_b32_e64 v17, v21, v20, s3
	v_cndmask_b32_e64 v21, v24, v26, s4
	v_cndmask_b32_e64 v20, v23, v25, s4
	v_cndmask_b32_e64 v19, v26, v24, s4
	v_cndmask_b32_e64 v18, v25, v23, s4
	v_mov_b32_e32 v48, v22
	s_mov_b32 s7, exec_lo
	v_cmpx_gt_i16_e64 v22, v86
; %bb.61:
	s_delay_alu instid0(VALU_DEP_3) | instskip(SKIP_3) | instid1(VALU_DEP_4)
	v_dual_mov_b32 v24, v19 :: v_dual_mov_b32 v23, v18
	v_dual_mov_b32 v19, v17 :: v_dual_mov_b32 v18, v16
	v_mov_b32_e32 v48, v86
	v_mov_b32_e32 v86, v22
	v_dual_mov_b32 v16, v23 :: v_dual_mov_b32 v17, v24
; %bb.62:
	s_or_b32 exec_lo, exec_lo, s7
	v_cndmask_b32_e64 v87, v5, v9, s3
	v_cndmask_b32_e64 v85, v8, v10, s4
.LBB938_63:
	s_or_b32 exec_lo, exec_lo, s6
	v_and_b32_e32 v10, 0xffffff80, v4
	v_or_b32_e32 v8, 4, v83
	v_lshlrev_b32_e32 v22, 1, v83
	v_lshlrev_b32_e32 v23, 3, v83
	v_and_b32_e32 v26, 0x78, v83
	v_lshlrev_b64 v[4:5], 1, v[10:11]
	v_sub_nc_u32_e64 v28, 0x400, v10 clamp
	v_and_b32_e32 v11, 4, v83
	v_perm_b32 v25, v85, v48, 0x5040100
	v_perm_b32 v24, v86, v87, 0x5040100
	s_mov_b32 s4, exec_lo
	v_min_u32_e32 v29, v28, v8
	v_add_co_u32 v8, s3, v12, v4
	s_delay_alu instid0(VALU_DEP_1) | instskip(NEXT) | instid1(VALU_DEP_3)
	v_add_co_ci_u32_e64 v9, s3, v13, v5, s3
	v_add_nc_u32_e32 v12, 4, v29
	v_min_u32_e32 v27, v28, v11
	v_sub_nc_u32_e32 v33, v29, v26
	s_delay_alu instid0(VALU_DEP_4) | instskip(NEXT) | instid1(VALU_DEP_4)
	v_mad_u64_u32 v[4:5], null, v10, 6, v[8:9]
	v_min_u32_e32 v31, v28, v12
	v_add_co_u32 v10, s3, v8, v22
	s_delay_alu instid0(VALU_DEP_1) | instskip(NEXT) | instid1(VALU_DEP_3)
	v_add_co_ci_u32_e64 v11, s3, 0, v9, s3
	v_sub_nc_u32_e32 v22, v31, v29
	v_add_co_u32 v12, s3, v4, v23
	s_delay_alu instid0(VALU_DEP_1) | instskip(NEXT) | instid1(VALU_DEP_3)
	v_add_co_ci_u32_e64 v13, s3, 0, v5, s3
	v_sub_nc_u32_e64 v32, v27, v22 clamp
	s_delay_alu instid0(VALU_DEP_3) | instskip(SKIP_1) | instid1(VALU_DEP_4)
	v_add_co_u32 v22, s3, 0x800, v12
	v_min_u32_e32 v33, v27, v33
	v_add_co_ci_u32_e64 v23, s3, 0, v13, s3
	s_clause 0x2
	flat_store_b128 v[12:13], v[14:17] offset:2048
	flat_store_b64 v[10:11], v[24:25]
	flat_store_b128 v[12:13], v[18:21] offset:2064
	; wave barrier
	v_cmpx_lt_u32_e64 v32, v33
	s_cbranch_execz .LBB938_67
; %bb.64:
	v_lshlrev_b32_e32 v24, 1, v26
	v_lshlrev_b32_e32 v25, 1, v29
	s_mov_b32 s5, 0
	s_delay_alu instid0(VALU_DEP_2) | instskip(NEXT) | instid1(VALU_DEP_1)
	v_add_co_u32 v34, s3, v8, v24
	v_add_co_ci_u32_e64 v35, s3, 0, v9, s3
	s_delay_alu instid0(VALU_DEP_3)
	v_add_co_u32 v36, s3, v8, v25
	v_mov_b32_e32 v25, 0
	v_add_co_ci_u32_e64 v37, s3, 0, v9, s3
	.p2align	6
.LBB938_65:                             ; =>This Inner Loop Header: Depth=1
	v_add_nc_u32_e32 v24, v33, v32
	s_delay_alu instid0(VALU_DEP_1) | instskip(SKIP_1) | instid1(VALU_DEP_2)
	v_lshrrev_b32_e32 v51, 1, v24
	v_and_b32_e32 v38, -2, v24
	v_xad_u32 v24, v51, -1, v27
	s_delay_alu instid0(VALU_DEP_2) | instskip(NEXT) | instid1(VALU_DEP_1)
	v_add_co_u32 v38, s3, v34, v38
	v_add_co_ci_u32_e64 v39, s3, 0, v35, s3
	s_delay_alu instid0(VALU_DEP_3) | instskip(NEXT) | instid1(VALU_DEP_1)
	v_lshlrev_b64 v[49:50], 1, v[24:25]
	v_add_co_u32 v49, s3, v36, v49
	s_delay_alu instid0(VALU_DEP_1)
	v_add_co_ci_u32_e64 v50, s3, v37, v50, s3
	s_clause 0x1
	flat_load_u16 v24, v[38:39]
	flat_load_u16 v38, v[49:50]
	v_add_nc_u32_e32 v39, 1, v51
	s_waitcnt vmcnt(0) lgkmcnt(0)
	v_cmp_gt_i16_e64 s3, v38, v24
	s_delay_alu instid0(VALU_DEP_1) | instskip(NEXT) | instid1(VALU_DEP_3)
	v_cndmask_b32_e64 v33, v33, v51, s3
	v_cndmask_b32_e64 v32, v39, v32, s3
	s_delay_alu instid0(VALU_DEP_1) | instskip(NEXT) | instid1(VALU_DEP_1)
	v_cmp_ge_u32_e64 s3, v32, v33
	s_or_b32 s5, s3, s5
	s_delay_alu instid0(SALU_CYCLE_1)
	s_and_not1_b32 exec_lo, exec_lo, s5
	s_cbranch_execnz .LBB938_65
; %bb.66:
	s_or_b32 exec_lo, exec_lo, s5
.LBB938_67:
	s_delay_alu instid0(SALU_CYCLE_1) | instskip(SKIP_2) | instid1(VALU_DEP_2)
	s_or_b32 exec_lo, exec_lo, s4
	v_add_nc_u32_e32 v24, v29, v27
	v_add_nc_u32_e32 v26, v32, v26
	v_sub_nc_u32_e32 v24, v24, v32
	s_delay_alu instid0(VALU_DEP_2) | instskip(NEXT) | instid1(VALU_DEP_2)
	v_cmp_le_u32_e64 s3, v26, v29
	v_cmp_le_u32_e64 s4, v24, v31
	s_delay_alu instid0(VALU_DEP_1) | instskip(NEXT) | instid1(SALU_CYCLE_1)
	s_or_b32 s3, s3, s4
	s_and_saveexec_b32 s9, s3
	s_cbranch_execz .LBB938_73
; %bb.68:
	v_cmp_lt_u32_e64 s3, v26, v29
                                        ; implicit-def: $vgpr27
	s_delay_alu instid0(VALU_DEP_1)
	s_and_saveexec_b32 s5, s3
	s_cbranch_execz .LBB938_70
; %bb.69:
	v_mov_b32_e32 v27, 0
	s_delay_alu instid0(VALU_DEP_1) | instskip(NEXT) | instid1(VALU_DEP_1)
	v_lshlrev_b64 v[14:15], 1, v[26:27]
	v_add_co_u32 v14, s4, v8, v14
	s_delay_alu instid0(VALU_DEP_1)
	v_add_co_ci_u32_e64 v15, s4, v9, v15, s4
	flat_load_u16 v27, v[14:15]
.LBB938_70:
	s_or_b32 exec_lo, exec_lo, s5
	v_cmp_ge_u32_e64 s4, v24, v31
	s_mov_b32 s6, exec_lo
                                        ; implicit-def: $vgpr25
	v_cmpx_lt_u32_e64 v24, v31
	s_cbranch_execz .LBB938_72
; %bb.71:
	v_mov_b32_e32 v25, 0
	s_delay_alu instid0(VALU_DEP_1) | instskip(NEXT) | instid1(VALU_DEP_1)
	v_lshlrev_b64 v[14:15], 1, v[24:25]
	v_add_co_u32 v14, s5, v8, v14
	s_delay_alu instid0(VALU_DEP_1)
	v_add_co_ci_u32_e64 v15, s5, v9, v15, s5
	flat_load_u16 v25, v[14:15]
.LBB938_72:
	s_or_b32 exec_lo, exec_lo, s6
	s_waitcnt vmcnt(0) lgkmcnt(0)
	v_cmp_le_i16_e64 s5, v25, v27
	s_delay_alu instid0(VALU_DEP_1) | instskip(NEXT) | instid1(SALU_CYCLE_1)
	s_and_b32 s3, s3, s5
	s_or_b32 s3, s4, s3
	s_delay_alu instid0(SALU_CYCLE_1) | instskip(SKIP_3) | instid1(VALU_DEP_4)
	v_cndmask_b32_e64 v14, v24, v26, s3
	v_cndmask_b32_e64 v16, v31, v29, s3
	v_mov_b32_e32 v15, 0
	v_cndmask_b32_e64 v87, v25, v27, s3
	v_add_nc_u32_e32 v20, 1, v14
	s_delay_alu instid0(VALU_DEP_4) | instskip(NEXT) | instid1(VALU_DEP_4)
	v_add_nc_u32_e32 v18, -1, v16
	v_lshlrev_b64 v[16:17], 3, v[14:15]
	s_delay_alu instid0(VALU_DEP_3) | instskip(NEXT) | instid1(VALU_DEP_3)
	v_cndmask_b32_e64 v26, v26, v20, s3
	v_min_u32_e32 v14, v20, v18
	v_cndmask_b32_e64 v24, v20, v24, s3
	s_delay_alu instid0(VALU_DEP_2) | instskip(NEXT) | instid1(VALU_DEP_2)
	v_lshlrev_b64 v[18:19], 1, v[14:15]
	v_cmp_ge_u32_e64 s6, v24, v31
	s_delay_alu instid0(VALU_DEP_2) | instskip(NEXT) | instid1(VALU_DEP_1)
	v_add_co_u32 v18, s4, v8, v18
	v_add_co_ci_u32_e64 v19, s4, v9, v19, s4
	v_cmp_lt_u32_e64 s4, v26, v29
	flat_load_u16 v14, v[18:19]
	s_waitcnt vmcnt(0) lgkmcnt(0)
	v_cndmask_b32_e64 v34, v14, v25, s3
	v_cndmask_b32_e64 v35, v27, v14, s3
	s_delay_alu instid0(VALU_DEP_1) | instskip(NEXT) | instid1(VALU_DEP_1)
	v_cmp_le_i16_e64 s5, v34, v35
	s_and_b32 s4, s4, s5
	s_delay_alu instid0(SALU_CYCLE_1) | instskip(NEXT) | instid1(SALU_CYCLE_1)
	s_or_b32 s4, s6, s4
	v_cndmask_b32_e64 v14, v24, v26, s4
	v_cndmask_b32_e64 v18, v31, v29, s4
	;; [unrolled: 1-line block ×3, first 2 shown]
	s_delay_alu instid0(VALU_DEP_3) | instskip(NEXT) | instid1(VALU_DEP_3)
	v_add_nc_u32_e32 v32, 1, v14
	v_add_nc_u32_e32 v20, -1, v18
	v_lshlrev_b64 v[18:19], 3, v[14:15]
	s_delay_alu instid0(VALU_DEP_3) | instskip(NEXT) | instid1(VALU_DEP_3)
	v_cndmask_b32_e64 v26, v26, v32, s4
	v_min_u32_e32 v14, v32, v20
	v_cndmask_b32_e64 v24, v32, v24, s4
	s_delay_alu instid0(VALU_DEP_2) | instskip(NEXT) | instid1(VALU_DEP_2)
	v_lshlrev_b64 v[20:21], 1, v[14:15]
	v_cmp_ge_u32_e64 s7, v24, v31
	s_delay_alu instid0(VALU_DEP_2) | instskip(NEXT) | instid1(VALU_DEP_1)
	v_add_co_u32 v20, s5, v8, v20
	v_add_co_ci_u32_e64 v21, s5, v9, v21, s5
	v_cmp_lt_u32_e64 s5, v26, v29
	flat_load_u16 v14, v[20:21]
	s_waitcnt vmcnt(0) lgkmcnt(0)
	v_cndmask_b32_e64 v36, v14, v34, s4
	v_cndmask_b32_e64 v37, v35, v14, s4
	s_delay_alu instid0(VALU_DEP_1) | instskip(NEXT) | instid1(VALU_DEP_1)
	v_cmp_le_i16_e64 s6, v36, v37
	s_and_b32 s5, s5, s6
	s_delay_alu instid0(SALU_CYCLE_1) | instskip(NEXT) | instid1(SALU_CYCLE_1)
	s_or_b32 s5, s7, s5
	v_cndmask_b32_e64 v14, v24, v26, s5
	v_cndmask_b32_e64 v20, v31, v29, s5
	;; [unrolled: 1-line block ×3, first 2 shown]
	s_delay_alu instid0(VALU_DEP_3) | instskip(NEXT) | instid1(VALU_DEP_3)
	v_add_nc_u32_e32 v38, 1, v14
	v_add_nc_u32_e32 v32, -1, v20
	v_lshlrev_b64 v[20:21], 3, v[14:15]
	s_delay_alu instid0(VALU_DEP_3) | instskip(NEXT) | instid1(VALU_DEP_3)
	v_cndmask_b32_e64 v26, v26, v38, s5
	v_min_u32_e32 v14, v38, v32
	s_delay_alu instid0(VALU_DEP_1) | instskip(NEXT) | instid1(VALU_DEP_1)
	v_lshlrev_b64 v[32:33], 1, v[14:15]
	v_add_co_u32 v32, s6, v8, v32
	s_delay_alu instid0(VALU_DEP_1)
	v_add_co_ci_u32_e64 v33, s6, v9, v33, s6
	v_cmp_lt_u32_e64 s6, v26, v29
	flat_load_u16 v14, v[32:33]
	s_waitcnt vmcnt(0) lgkmcnt(0)
	v_cndmask_b32_e64 v33, v14, v36, s5
	v_cndmask_b32_e64 v39, v37, v14, s5
	;; [unrolled: 1-line block ×3, first 2 shown]
	s_delay_alu instid0(VALU_DEP_2) | instskip(NEXT) | instid1(VALU_DEP_2)
	v_cmp_le_i16_e64 s7, v33, v39
	v_cmp_ge_u32_e64 s8, v14, v31
	s_delay_alu instid0(VALU_DEP_2) | instskip(SKIP_1) | instid1(VALU_DEP_1)
	s_and_b32 s7, s6, s7
	v_add_co_u32 v16, s6, v4, v16
	v_add_co_ci_u32_e64 v17, s6, v5, v17, s6
	s_delay_alu instid0(VALU_DEP_3) | instskip(SKIP_4) | instid1(VALU_DEP_3)
	s_or_b32 s6, s8, s7
	v_add_co_u32 v18, s7, v4, v18
	v_cndmask_b32_e64 v14, v14, v26, s6
	v_add_co_ci_u32_e64 v19, s7, v5, v19, s7
	v_add_co_u32 v20, s7, v4, v20
	v_lshlrev_b64 v[14:15], 3, v[14:15]
	v_add_co_ci_u32_e64 v21, s7, v5, v21, s7
	v_cndmask_b32_e64 v85, v33, v39, s6
	s_delay_alu instid0(VALU_DEP_3) | instskip(NEXT) | instid1(VALU_DEP_1)
	v_add_co_u32 v31, s7, v4, v14
	v_add_co_ci_u32_e64 v32, s7, v5, v15, s7
	s_clause 0x3
	flat_load_b64 v[14:15], v[16:17] offset:2048
	flat_load_b64 v[16:17], v[18:19] offset:2048
	;; [unrolled: 1-line block ×4, first 2 shown]
.LBB938_73:
	s_or_b32 exec_lo, exec_lo, s9
	v_and_b32_e32 v26, 0x70, v83
	v_and_b32_e32 v25, 12, v83
	s_mov_b32 s4, exec_lo
	; wave barrier
	s_delay_alu instid0(VALU_DEP_2) | instskip(NEXT) | instid1(VALU_DEP_2)
	v_or_b32_e32 v24, 8, v26
	v_min_u32_e32 v27, v28, v25
	s_delay_alu instid0(VALU_DEP_2) | instskip(NEXT) | instid1(VALU_DEP_1)
	v_min_u32_e32 v29, v28, v24
	v_add_nc_u32_e32 v24, 8, v29
	s_delay_alu instid0(VALU_DEP_1) | instskip(SKIP_1) | instid1(VALU_DEP_2)
	v_min_u32_e32 v31, v28, v24
	v_sub_nc_u32_e32 v24, v29, v26
	v_sub_nc_u32_e32 v25, v31, v29
	s_delay_alu instid0(VALU_DEP_2) | instskip(SKIP_1) | instid1(VALU_DEP_3)
	v_min_u32_e32 v33, v27, v24
	v_perm_b32 v24, v86, v87, 0x5040100
	v_sub_nc_u32_e64 v32, v27, v25 clamp
	v_perm_b32 v25, v85, v48, 0x5040100
	s_waitcnt vmcnt(2) lgkmcnt(2)
	s_clause 0x1
	flat_store_b128 v[12:13], v[14:17] offset:2048
	flat_store_b64 v[10:11], v[24:25]
	s_waitcnt vmcnt(0) lgkmcnt(2)
	flat_store_b128 v[22:23], v[18:21] offset:16
	; wave barrier
	v_cmpx_lt_u32_e64 v32, v33
	s_cbranch_execz .LBB938_77
; %bb.74:
	v_lshlrev_b32_e32 v24, 1, v26
	v_lshlrev_b32_e32 v25, 1, v29
	s_mov_b32 s5, 0
	s_delay_alu instid0(VALU_DEP_2) | instskip(NEXT) | instid1(VALU_DEP_1)
	v_add_co_u32 v34, s3, v8, v24
	v_add_co_ci_u32_e64 v35, s3, 0, v9, s3
	s_delay_alu instid0(VALU_DEP_3)
	v_add_co_u32 v36, s3, v8, v25
	v_mov_b32_e32 v25, 0
	v_add_co_ci_u32_e64 v37, s3, 0, v9, s3
	.p2align	6
.LBB938_75:                             ; =>This Inner Loop Header: Depth=1
	v_add_nc_u32_e32 v24, v33, v32
	s_delay_alu instid0(VALU_DEP_1) | instskip(SKIP_1) | instid1(VALU_DEP_2)
	v_lshrrev_b32_e32 v51, 1, v24
	v_and_b32_e32 v38, -2, v24
	v_xad_u32 v24, v51, -1, v27
	s_delay_alu instid0(VALU_DEP_2) | instskip(NEXT) | instid1(VALU_DEP_1)
	v_add_co_u32 v38, s3, v34, v38
	v_add_co_ci_u32_e64 v39, s3, 0, v35, s3
	s_delay_alu instid0(VALU_DEP_3) | instskip(NEXT) | instid1(VALU_DEP_1)
	v_lshlrev_b64 v[49:50], 1, v[24:25]
	v_add_co_u32 v49, s3, v36, v49
	s_delay_alu instid0(VALU_DEP_1)
	v_add_co_ci_u32_e64 v50, s3, v37, v50, s3
	s_clause 0x1
	flat_load_u16 v24, v[38:39]
	flat_load_u16 v38, v[49:50]
	v_add_nc_u32_e32 v39, 1, v51
	s_waitcnt vmcnt(0) lgkmcnt(0)
	v_cmp_gt_i16_e64 s3, v38, v24
	s_delay_alu instid0(VALU_DEP_1) | instskip(NEXT) | instid1(VALU_DEP_3)
	v_cndmask_b32_e64 v33, v33, v51, s3
	v_cndmask_b32_e64 v32, v39, v32, s3
	s_delay_alu instid0(VALU_DEP_1) | instskip(NEXT) | instid1(VALU_DEP_1)
	v_cmp_ge_u32_e64 s3, v32, v33
	s_or_b32 s5, s3, s5
	s_delay_alu instid0(SALU_CYCLE_1)
	s_and_not1_b32 exec_lo, exec_lo, s5
	s_cbranch_execnz .LBB938_75
; %bb.76:
	s_or_b32 exec_lo, exec_lo, s5
.LBB938_77:
	s_delay_alu instid0(SALU_CYCLE_1) | instskip(SKIP_2) | instid1(VALU_DEP_2)
	s_or_b32 exec_lo, exec_lo, s4
	v_add_nc_u32_e32 v24, v29, v27
	v_add_nc_u32_e32 v26, v32, v26
	v_sub_nc_u32_e32 v24, v24, v32
	s_delay_alu instid0(VALU_DEP_2) | instskip(NEXT) | instid1(VALU_DEP_2)
	v_cmp_le_u32_e64 s3, v26, v29
	v_cmp_le_u32_e64 s4, v24, v31
	s_delay_alu instid0(VALU_DEP_1) | instskip(NEXT) | instid1(SALU_CYCLE_1)
	s_or_b32 s3, s3, s4
	s_and_saveexec_b32 s9, s3
	s_cbranch_execz .LBB938_83
; %bb.78:
	v_cmp_lt_u32_e64 s3, v26, v29
                                        ; implicit-def: $vgpr27
	s_delay_alu instid0(VALU_DEP_1)
	s_and_saveexec_b32 s5, s3
	s_cbranch_execz .LBB938_80
; %bb.79:
	v_mov_b32_e32 v27, 0
	s_delay_alu instid0(VALU_DEP_1) | instskip(NEXT) | instid1(VALU_DEP_1)
	v_lshlrev_b64 v[14:15], 1, v[26:27]
	v_add_co_u32 v14, s4, v8, v14
	s_delay_alu instid0(VALU_DEP_1)
	v_add_co_ci_u32_e64 v15, s4, v9, v15, s4
	flat_load_u16 v27, v[14:15]
.LBB938_80:
	s_or_b32 exec_lo, exec_lo, s5
	v_cmp_ge_u32_e64 s4, v24, v31
	s_mov_b32 s6, exec_lo
                                        ; implicit-def: $vgpr25
	v_cmpx_lt_u32_e64 v24, v31
	s_cbranch_execz .LBB938_82
; %bb.81:
	v_mov_b32_e32 v25, 0
	s_delay_alu instid0(VALU_DEP_1) | instskip(NEXT) | instid1(VALU_DEP_1)
	v_lshlrev_b64 v[14:15], 1, v[24:25]
	v_add_co_u32 v14, s5, v8, v14
	s_delay_alu instid0(VALU_DEP_1)
	v_add_co_ci_u32_e64 v15, s5, v9, v15, s5
	flat_load_u16 v25, v[14:15]
.LBB938_82:
	s_or_b32 exec_lo, exec_lo, s6
	s_waitcnt vmcnt(0) lgkmcnt(0)
	v_cmp_le_i16_e64 s5, v25, v27
	s_delay_alu instid0(VALU_DEP_1) | instskip(NEXT) | instid1(SALU_CYCLE_1)
	s_and_b32 s3, s3, s5
	s_or_b32 s3, s4, s3
	s_delay_alu instid0(SALU_CYCLE_1) | instskip(SKIP_3) | instid1(VALU_DEP_4)
	v_cndmask_b32_e64 v14, v24, v26, s3
	v_cndmask_b32_e64 v16, v31, v29, s3
	v_mov_b32_e32 v15, 0
	v_cndmask_b32_e64 v87, v25, v27, s3
	v_add_nc_u32_e32 v20, 1, v14
	s_delay_alu instid0(VALU_DEP_4) | instskip(NEXT) | instid1(VALU_DEP_4)
	v_add_nc_u32_e32 v18, -1, v16
	v_lshlrev_b64 v[16:17], 3, v[14:15]
	s_delay_alu instid0(VALU_DEP_3) | instskip(NEXT) | instid1(VALU_DEP_3)
	v_cndmask_b32_e64 v26, v26, v20, s3
	v_min_u32_e32 v14, v20, v18
	v_cndmask_b32_e64 v24, v20, v24, s3
	s_delay_alu instid0(VALU_DEP_2) | instskip(NEXT) | instid1(VALU_DEP_2)
	v_lshlrev_b64 v[18:19], 1, v[14:15]
	v_cmp_ge_u32_e64 s6, v24, v31
	s_delay_alu instid0(VALU_DEP_2) | instskip(NEXT) | instid1(VALU_DEP_1)
	v_add_co_u32 v18, s4, v8, v18
	v_add_co_ci_u32_e64 v19, s4, v9, v19, s4
	v_cmp_lt_u32_e64 s4, v26, v29
	flat_load_u16 v14, v[18:19]
	s_waitcnt vmcnt(0) lgkmcnt(0)
	v_cndmask_b32_e64 v34, v14, v25, s3
	v_cndmask_b32_e64 v35, v27, v14, s3
	s_delay_alu instid0(VALU_DEP_1) | instskip(NEXT) | instid1(VALU_DEP_1)
	v_cmp_le_i16_e64 s5, v34, v35
	s_and_b32 s4, s4, s5
	s_delay_alu instid0(SALU_CYCLE_1) | instskip(NEXT) | instid1(SALU_CYCLE_1)
	s_or_b32 s4, s6, s4
	v_cndmask_b32_e64 v14, v24, v26, s4
	v_cndmask_b32_e64 v18, v31, v29, s4
	;; [unrolled: 1-line block ×3, first 2 shown]
	s_delay_alu instid0(VALU_DEP_3) | instskip(NEXT) | instid1(VALU_DEP_3)
	v_add_nc_u32_e32 v32, 1, v14
	v_add_nc_u32_e32 v20, -1, v18
	v_lshlrev_b64 v[18:19], 3, v[14:15]
	s_delay_alu instid0(VALU_DEP_3) | instskip(NEXT) | instid1(VALU_DEP_3)
	v_cndmask_b32_e64 v26, v26, v32, s4
	v_min_u32_e32 v14, v32, v20
	v_cndmask_b32_e64 v24, v32, v24, s4
	s_delay_alu instid0(VALU_DEP_2) | instskip(NEXT) | instid1(VALU_DEP_2)
	v_lshlrev_b64 v[20:21], 1, v[14:15]
	v_cmp_ge_u32_e64 s7, v24, v31
	s_delay_alu instid0(VALU_DEP_2) | instskip(NEXT) | instid1(VALU_DEP_1)
	v_add_co_u32 v20, s5, v8, v20
	v_add_co_ci_u32_e64 v21, s5, v9, v21, s5
	v_cmp_lt_u32_e64 s5, v26, v29
	flat_load_u16 v14, v[20:21]
	s_waitcnt vmcnt(0) lgkmcnt(0)
	v_cndmask_b32_e64 v36, v14, v34, s4
	v_cndmask_b32_e64 v37, v35, v14, s4
	s_delay_alu instid0(VALU_DEP_1) | instskip(NEXT) | instid1(VALU_DEP_1)
	v_cmp_le_i16_e64 s6, v36, v37
	s_and_b32 s5, s5, s6
	s_delay_alu instid0(SALU_CYCLE_1) | instskip(NEXT) | instid1(SALU_CYCLE_1)
	s_or_b32 s5, s7, s5
	v_cndmask_b32_e64 v14, v24, v26, s5
	v_cndmask_b32_e64 v20, v31, v29, s5
	;; [unrolled: 1-line block ×3, first 2 shown]
	s_delay_alu instid0(VALU_DEP_3) | instskip(NEXT) | instid1(VALU_DEP_3)
	v_add_nc_u32_e32 v38, 1, v14
	v_add_nc_u32_e32 v32, -1, v20
	v_lshlrev_b64 v[20:21], 3, v[14:15]
	s_delay_alu instid0(VALU_DEP_3) | instskip(NEXT) | instid1(VALU_DEP_3)
	v_cndmask_b32_e64 v26, v26, v38, s5
	v_min_u32_e32 v14, v38, v32
	s_delay_alu instid0(VALU_DEP_1) | instskip(NEXT) | instid1(VALU_DEP_1)
	v_lshlrev_b64 v[32:33], 1, v[14:15]
	v_add_co_u32 v32, s6, v8, v32
	s_delay_alu instid0(VALU_DEP_1)
	v_add_co_ci_u32_e64 v33, s6, v9, v33, s6
	v_cmp_lt_u32_e64 s6, v26, v29
	flat_load_u16 v14, v[32:33]
	s_waitcnt vmcnt(0) lgkmcnt(0)
	v_cndmask_b32_e64 v33, v14, v36, s5
	v_cndmask_b32_e64 v39, v37, v14, s5
	;; [unrolled: 1-line block ×3, first 2 shown]
	s_delay_alu instid0(VALU_DEP_2) | instskip(NEXT) | instid1(VALU_DEP_2)
	v_cmp_le_i16_e64 s7, v33, v39
	v_cmp_ge_u32_e64 s8, v14, v31
	s_delay_alu instid0(VALU_DEP_2) | instskip(SKIP_1) | instid1(VALU_DEP_1)
	s_and_b32 s7, s6, s7
	v_add_co_u32 v16, s6, v4, v16
	v_add_co_ci_u32_e64 v17, s6, v5, v17, s6
	s_delay_alu instid0(VALU_DEP_3) | instskip(SKIP_4) | instid1(VALU_DEP_3)
	s_or_b32 s6, s8, s7
	v_add_co_u32 v18, s7, v4, v18
	v_cndmask_b32_e64 v14, v14, v26, s6
	v_add_co_ci_u32_e64 v19, s7, v5, v19, s7
	v_add_co_u32 v20, s7, v4, v20
	v_lshlrev_b64 v[14:15], 3, v[14:15]
	v_add_co_ci_u32_e64 v21, s7, v5, v21, s7
	v_cndmask_b32_e64 v85, v33, v39, s6
	s_delay_alu instid0(VALU_DEP_3) | instskip(NEXT) | instid1(VALU_DEP_1)
	v_add_co_u32 v31, s7, v4, v14
	v_add_co_ci_u32_e64 v32, s7, v5, v15, s7
	s_clause 0x3
	flat_load_b64 v[14:15], v[16:17] offset:2048
	flat_load_b64 v[16:17], v[18:19] offset:2048
	;; [unrolled: 1-line block ×4, first 2 shown]
.LBB938_83:
	s_or_b32 exec_lo, exec_lo, s9
	v_and_b32_e32 v26, 0x60, v83
	v_min_u32_e32 v27, v28, v84
	v_perm_b32 v32, v85, v48, 0x5040100
	s_mov_b32 s4, exec_lo
	s_delay_alu instid0(VALU_DEP_3) | instskip(NEXT) | instid1(VALU_DEP_1)
	v_or_b32_e32 v24, 16, v26
	; wave barrier
	v_min_u32_e32 v24, v28, v24
	s_delay_alu instid0(VALU_DEP_1) | instskip(NEXT) | instid1(VALU_DEP_1)
	v_add_nc_u32_e32 v25, 16, v24
	v_min_u32_e32 v25, v28, v25
	v_sub_nc_u32_e32 v28, v24, v26
	s_delay_alu instid0(VALU_DEP_2) | instskip(NEXT) | instid1(VALU_DEP_2)
	v_sub_nc_u32_e32 v31, v25, v24
	v_min_u32_e32 v29, v27, v28
	s_delay_alu instid0(VALU_DEP_2)
	v_sub_nc_u32_e64 v28, v27, v31 clamp
	v_perm_b32 v31, v86, v87, 0x5040100
	s_waitcnt vmcnt(2) lgkmcnt(2)
	s_clause 0x1
	flat_store_b128 v[12:13], v[14:17] offset:2048
	flat_store_b64 v[10:11], v[31:32]
	s_waitcnt vmcnt(0) lgkmcnt(2)
	flat_store_b128 v[22:23], v[18:21] offset:16
	; wave barrier
	v_cmpx_lt_u32_e64 v28, v29
	s_cbranch_execz .LBB938_87
; %bb.84:
	v_lshlrev_b32_e32 v10, 1, v26
	v_lshlrev_b32_e32 v11, 1, v24
	s_mov_b32 s5, 0
	s_delay_alu instid0(VALU_DEP_2) | instskip(NEXT) | instid1(VALU_DEP_1)
	v_add_co_u32 v12, s3, v8, v10
	v_add_co_ci_u32_e64 v13, s3, 0, v9, s3
	s_delay_alu instid0(VALU_DEP_3)
	v_add_co_u32 v22, s3, v8, v11
	v_mov_b32_e32 v11, 0
	v_add_co_ci_u32_e64 v23, s3, 0, v9, s3
	.p2align	6
.LBB938_85:                             ; =>This Inner Loop Header: Depth=1
	v_add_nc_u32_e32 v10, v29, v28
	s_delay_alu instid0(VALU_DEP_1) | instskip(SKIP_1) | instid1(VALU_DEP_2)
	v_lshrrev_b32_e32 v35, 1, v10
	v_and_b32_e32 v31, -2, v10
	v_xad_u32 v10, v35, -1, v27
	s_delay_alu instid0(VALU_DEP_2) | instskip(NEXT) | instid1(VALU_DEP_1)
	v_add_co_u32 v31, s3, v12, v31
	v_add_co_ci_u32_e64 v32, s3, 0, v13, s3
	s_delay_alu instid0(VALU_DEP_3) | instskip(NEXT) | instid1(VALU_DEP_1)
	v_lshlrev_b64 v[33:34], 1, v[10:11]
	v_add_co_u32 v33, s3, v22, v33
	s_delay_alu instid0(VALU_DEP_1)
	v_add_co_ci_u32_e64 v34, s3, v23, v34, s3
	s_clause 0x1
	flat_load_u16 v10, v[31:32]
	flat_load_u16 v31, v[33:34]
	v_add_nc_u32_e32 v32, 1, v35
	s_waitcnt vmcnt(0) lgkmcnt(0)
	v_cmp_gt_i16_e64 s3, v31, v10
	s_delay_alu instid0(VALU_DEP_1) | instskip(NEXT) | instid1(VALU_DEP_3)
	v_cndmask_b32_e64 v29, v29, v35, s3
	v_cndmask_b32_e64 v28, v32, v28, s3
	s_delay_alu instid0(VALU_DEP_1) | instskip(NEXT) | instid1(VALU_DEP_1)
	v_cmp_ge_u32_e64 s3, v28, v29
	s_or_b32 s5, s3, s5
	s_delay_alu instid0(SALU_CYCLE_1)
	s_and_not1_b32 exec_lo, exec_lo, s5
	s_cbranch_execnz .LBB938_85
; %bb.86:
	s_or_b32 exec_lo, exec_lo, s5
.LBB938_87:
	s_delay_alu instid0(SALU_CYCLE_1) | instskip(SKIP_2) | instid1(VALU_DEP_2)
	s_or_b32 exec_lo, exec_lo, s4
	v_add_nc_u32_e32 v10, v24, v27
	v_add_nc_u32_e32 v12, v28, v26
	v_sub_nc_u32_e32 v10, v10, v28
	s_delay_alu instid0(VALU_DEP_2) | instskip(NEXT) | instid1(VALU_DEP_2)
	v_cmp_le_u32_e64 s3, v12, v24
	v_cmp_le_u32_e64 s4, v10, v25
	s_delay_alu instid0(VALU_DEP_1) | instskip(NEXT) | instid1(SALU_CYCLE_1)
	s_or_b32 s3, s3, s4
	s_and_saveexec_b32 s9, s3
	s_cbranch_execz .LBB938_93
; %bb.88:
	v_cmp_lt_u32_e64 s3, v12, v24
                                        ; implicit-def: $vgpr13
	s_delay_alu instid0(VALU_DEP_1)
	s_and_saveexec_b32 s5, s3
	s_cbranch_execz .LBB938_90
; %bb.89:
	v_mov_b32_e32 v13, 0
	s_delay_alu instid0(VALU_DEP_1) | instskip(NEXT) | instid1(VALU_DEP_1)
	v_lshlrev_b64 v[13:14], 1, v[12:13]
	v_add_co_u32 v13, s4, v8, v13
	s_delay_alu instid0(VALU_DEP_1)
	v_add_co_ci_u32_e64 v14, s4, v9, v14, s4
	flat_load_u16 v13, v[13:14]
.LBB938_90:
	s_or_b32 exec_lo, exec_lo, s5
	v_cmp_ge_u32_e64 s4, v10, v25
	s_mov_b32 s6, exec_lo
                                        ; implicit-def: $vgpr11
	v_cmpx_lt_u32_e64 v10, v25
	s_cbranch_execz .LBB938_92
; %bb.91:
	v_mov_b32_e32 v11, 0
	s_delay_alu instid0(VALU_DEP_1) | instskip(NEXT) | instid1(VALU_DEP_1)
	v_lshlrev_b64 v[14:15], 1, v[10:11]
	v_add_co_u32 v14, s5, v8, v14
	s_delay_alu instid0(VALU_DEP_1)
	v_add_co_ci_u32_e64 v15, s5, v9, v15, s5
	flat_load_u16 v11, v[14:15]
.LBB938_92:
	s_or_b32 exec_lo, exec_lo, s6
	s_waitcnt vmcnt(0) lgkmcnt(0)
	v_cmp_le_i16_e64 s5, v11, v13
	s_delay_alu instid0(VALU_DEP_1) | instskip(NEXT) | instid1(SALU_CYCLE_1)
	s_and_b32 s3, s3, s5
	s_or_b32 s3, s4, s3
	s_delay_alu instid0(SALU_CYCLE_1) | instskip(SKIP_3) | instid1(VALU_DEP_4)
	v_cndmask_b32_e64 v14, v10, v12, s3
	v_cndmask_b32_e64 v16, v25, v24, s3
	v_mov_b32_e32 v15, 0
	v_cndmask_b32_e64 v87, v11, v13, s3
	v_add_nc_u32_e32 v20, 1, v14
	s_delay_alu instid0(VALU_DEP_4) | instskip(NEXT) | instid1(VALU_DEP_4)
	v_add_nc_u32_e32 v18, -1, v16
	v_lshlrev_b64 v[16:17], 3, v[14:15]
	s_delay_alu instid0(VALU_DEP_3) | instskip(NEXT) | instid1(VALU_DEP_3)
	v_cndmask_b32_e64 v12, v12, v20, s3
	v_min_u32_e32 v14, v20, v18
	v_cndmask_b32_e64 v10, v20, v10, s3
	s_delay_alu instid0(VALU_DEP_2) | instskip(NEXT) | instid1(VALU_DEP_2)
	v_lshlrev_b64 v[18:19], 1, v[14:15]
	v_cmp_ge_u32_e64 s6, v10, v25
	s_delay_alu instid0(VALU_DEP_2) | instskip(NEXT) | instid1(VALU_DEP_1)
	v_add_co_u32 v18, s4, v8, v18
	v_add_co_ci_u32_e64 v19, s4, v9, v19, s4
	v_cmp_lt_u32_e64 s4, v12, v24
	flat_load_u16 v14, v[18:19]
	s_waitcnt vmcnt(0) lgkmcnt(0)
	v_cndmask_b32_e64 v26, v14, v11, s3
	v_cndmask_b32_e64 v27, v13, v14, s3
	s_delay_alu instid0(VALU_DEP_1) | instskip(NEXT) | instid1(VALU_DEP_1)
	v_cmp_le_i16_e64 s5, v26, v27
	s_and_b32 s4, s4, s5
	s_delay_alu instid0(SALU_CYCLE_1) | instskip(NEXT) | instid1(SALU_CYCLE_1)
	s_or_b32 s4, s6, s4
	v_cndmask_b32_e64 v14, v10, v12, s4
	v_cndmask_b32_e64 v18, v25, v24, s4
	;; [unrolled: 1-line block ×3, first 2 shown]
	s_delay_alu instid0(VALU_DEP_3) | instskip(NEXT) | instid1(VALU_DEP_3)
	v_add_nc_u32_e32 v22, 1, v14
	v_add_nc_u32_e32 v20, -1, v18
	v_lshlrev_b64 v[18:19], 3, v[14:15]
	s_delay_alu instid0(VALU_DEP_3) | instskip(NEXT) | instid1(VALU_DEP_3)
	v_cndmask_b32_e64 v12, v12, v22, s4
	v_min_u32_e32 v14, v22, v20
	v_cndmask_b32_e64 v10, v22, v10, s4
	s_delay_alu instid0(VALU_DEP_2) | instskip(NEXT) | instid1(VALU_DEP_2)
	v_lshlrev_b64 v[20:21], 1, v[14:15]
	v_cmp_ge_u32_e64 s7, v10, v25
	s_delay_alu instid0(VALU_DEP_2) | instskip(NEXT) | instid1(VALU_DEP_1)
	v_add_co_u32 v20, s5, v8, v20
	v_add_co_ci_u32_e64 v21, s5, v9, v21, s5
	v_cmp_lt_u32_e64 s5, v12, v24
	flat_load_u16 v14, v[20:21]
	s_waitcnt vmcnt(0) lgkmcnt(0)
	v_cndmask_b32_e64 v28, v14, v26, s4
	v_cndmask_b32_e64 v29, v27, v14, s4
	s_delay_alu instid0(VALU_DEP_1) | instskip(NEXT) | instid1(VALU_DEP_1)
	v_cmp_le_i16_e64 s6, v28, v29
	s_and_b32 s5, s5, s6
	s_delay_alu instid0(SALU_CYCLE_1) | instskip(NEXT) | instid1(SALU_CYCLE_1)
	s_or_b32 s5, s7, s5
	v_cndmask_b32_e64 v14, v10, v12, s5
	v_cndmask_b32_e64 v20, v25, v24, s5
	;; [unrolled: 1-line block ×3, first 2 shown]
	s_delay_alu instid0(VALU_DEP_3) | instskip(NEXT) | instid1(VALU_DEP_3)
	v_add_nc_u32_e32 v31, 1, v14
	v_add_nc_u32_e32 v22, -1, v20
	v_lshlrev_b64 v[20:21], 3, v[14:15]
	s_delay_alu instid0(VALU_DEP_3) | instskip(NEXT) | instid1(VALU_DEP_3)
	v_cndmask_b32_e64 v12, v12, v31, s5
	v_min_u32_e32 v14, v31, v22
	v_cndmask_b32_e64 v10, v31, v10, s5
	s_delay_alu instid0(VALU_DEP_2) | instskip(NEXT) | instid1(VALU_DEP_2)
	v_lshlrev_b64 v[22:23], 1, v[14:15]
	v_cmp_ge_u32_e64 s8, v10, v25
	s_delay_alu instid0(VALU_DEP_2) | instskip(NEXT) | instid1(VALU_DEP_1)
	v_add_co_u32 v8, s6, v8, v22
	v_add_co_ci_u32_e64 v9, s6, v9, v23, s6
	v_cmp_lt_u32_e64 s6, v12, v24
	flat_load_u16 v8, v[8:9]
	s_waitcnt vmcnt(0) lgkmcnt(0)
	v_cndmask_b32_e64 v22, v8, v28, s5
	v_cndmask_b32_e64 v23, v29, v8, s5
	s_delay_alu instid0(VALU_DEP_1) | instskip(NEXT) | instid1(VALU_DEP_1)
	v_cmp_le_i16_e64 s7, v22, v23
	s_and_b32 s7, s6, s7
	v_add_co_u32 v8, s6, v4, v16
	s_delay_alu instid0(VALU_DEP_1)
	v_add_co_ci_u32_e64 v9, s6, v5, v17, s6
	s_or_b32 s6, s8, s7
	v_add_co_u32 v16, s7, v4, v18
	v_cndmask_b32_e64 v14, v10, v12, s6
	v_add_co_ci_u32_e64 v17, s7, v5, v19, s7
	v_add_co_u32 v18, s7, v4, v20
	s_delay_alu instid0(VALU_DEP_3) | instskip(SKIP_2) | instid1(VALU_DEP_3)
	v_lshlrev_b64 v[14:15], 3, v[14:15]
	v_add_co_ci_u32_e64 v19, s7, v5, v21, s7
	v_cndmask_b32_e64 v85, v22, v23, s6
	v_add_co_u32 v4, s7, v4, v14
	s_delay_alu instid0(VALU_DEP_1)
	v_add_co_ci_u32_e64 v5, s7, v5, v15, s7
	s_clause 0x3
	flat_load_b64 v[14:15], v[8:9] offset:2048
	flat_load_b64 v[16:17], v[16:17] offset:2048
	;; [unrolled: 1-line block ×4, first 2 shown]
.LBB938_93:
	s_or_b32 exec_lo, exec_lo, s9
	; wave barrier
	s_waitcnt vmcnt(0) lgkmcnt(0)
	s_waitcnt_vscnt null, 0x0
	s_barrier
.LBB938_94:
	s_or_b32 exec_lo, exec_lo, s10
	v_add_co_u32 v2, s3, v2, v80
	s_delay_alu instid0(VALU_DEP_1) | instskip(SKIP_4) | instid1(VALU_DEP_1)
	v_add_co_ci_u32_e64 v3, s3, v3, v81, s3
	s_waitcnt vmcnt(0) lgkmcnt(0)
	s_waitcnt_vscnt null, 0x0
	buffer_gl0_inv
	v_add_co_u32 v2, s3, v2, v30
	v_add_co_ci_u32_e64 v3, s3, 0, v3, s3
	; wave barrier
	s_and_saveexec_b32 s3, vcc_lo
	s_cbranch_execz .LBB938_100
; %bb.95:
	flat_store_b16 v[2:3], v87
	s_or_b32 exec_lo, exec_lo, s3
	s_and_saveexec_b32 s3, s0
	s_cbranch_execnz .LBB938_101
.LBB938_96:
	s_or_b32 exec_lo, exec_lo, s3
	s_and_saveexec_b32 s3, s1
	s_cbranch_execz .LBB938_102
.LBB938_97:
	flat_store_b16 v[2:3], v48 offset:4
	s_or_b32 exec_lo, exec_lo, s3
	s_and_saveexec_b32 s3, s2
	s_cbranch_execnz .LBB938_103
	s_branch .LBB938_104
.LBB938_98:
	s_or_b32 exec_lo, exec_lo, s3
                                        ; implicit-def: $vgpr18_vgpr19
	s_and_saveexec_b32 s3, s1
	s_cbranch_execz .LBB938_12
.LBB938_99:
	flat_load_b64 v[36:37], v[4:5] offset:16
	s_waitcnt vmcnt(0) lgkmcnt(0)
	v_dual_mov_b32 v18, v36 :: v_dual_mov_b32 v19, v37
	s_or_b32 exec_lo, exec_lo, s3
	s_and_saveexec_b32 s3, s2
	s_cbranch_execnz .LBB938_13
	s_branch .LBB938_14
.LBB938_100:
	s_or_b32 exec_lo, exec_lo, s3
	s_and_saveexec_b32 s3, s0
	s_cbranch_execz .LBB938_96
.LBB938_101:
	flat_store_b16 v[2:3], v86 offset:2
	s_or_b32 exec_lo, exec_lo, s3
	s_and_saveexec_b32 s3, s1
	s_cbranch_execnz .LBB938_97
.LBB938_102:
	s_or_b32 exec_lo, exec_lo, s3
	s_and_saveexec_b32 s3, s2
	s_cbranch_execz .LBB938_104
.LBB938_103:
	flat_store_b16 v[2:3], v85 offset:6
.LBB938_104:
	s_or_b32 exec_lo, exec_lo, s3
	v_add_co_u32 v0, s3, v6, v0
	s_delay_alu instid0(VALU_DEP_1) | instskip(NEXT) | instid1(VALU_DEP_2)
	v_add_co_ci_u32_e64 v1, s3, v7, v1, s3
	v_add_co_u32 v0, s3, v0, v82
	s_delay_alu instid0(VALU_DEP_1)
	v_add_co_ci_u32_e64 v1, s3, 0, v1, s3
	; wave barrier
	s_and_saveexec_b32 s3, vcc_lo
	s_cbranch_execz .LBB938_109
; %bb.105:
	flat_store_b64 v[0:1], v[14:15]
	s_or_b32 exec_lo, exec_lo, s3
	s_and_saveexec_b32 s3, s0
	s_cbranch_execnz .LBB938_110
.LBB938_106:
	s_or_b32 exec_lo, exec_lo, s3
	s_and_saveexec_b32 s0, s1
	s_cbranch_execz .LBB938_111
.LBB938_107:
	flat_store_b64 v[0:1], v[18:19] offset:16
	s_or_b32 exec_lo, exec_lo, s0
	s_and_saveexec_b32 s0, s2
	s_cbranch_execnz .LBB938_112
.LBB938_108:
	s_or_b32 exec_lo, exec_lo, s0
	s_waitcnt lgkmcnt(0)
	s_setpc_b64 s[30:31]
.LBB938_109:
	s_or_b32 exec_lo, exec_lo, s3
	s_and_saveexec_b32 s3, s0
	s_cbranch_execz .LBB938_106
.LBB938_110:
	flat_store_b64 v[0:1], v[16:17] offset:8
	s_or_b32 exec_lo, exec_lo, s3
	s_and_saveexec_b32 s0, s1
	s_cbranch_execnz .LBB938_107
.LBB938_111:
	s_or_b32 exec_lo, exec_lo, s0
	s_and_saveexec_b32 s0, s2
	s_cbranch_execz .LBB938_108
.LBB938_112:
	flat_store_b64 v[0:1], v[20:21] offset:24
	s_or_b32 exec_lo, exec_lo, s0
	s_waitcnt lgkmcnt(0)
	s_setpc_b64 s[30:31]
.Lfunc_end938:
	.size	_ZN7rocprim17ROCPRIM_400000_NS6detail26segmented_warp_sort_helperINS1_20WarpSortHelperConfigILj8ELj4ELj256EEEslLi256ELb1EvE4sortIPKsPsPKlPlEEvT_T0_T1_T2_jjjjRNS5_12storage_typeE, .Lfunc_end938-_ZN7rocprim17ROCPRIM_400000_NS6detail26segmented_warp_sort_helperINS1_20WarpSortHelperConfigILj8ELj4ELj256EEEslLi256ELb1EvE4sortIPKsPsPKlPlEEvT_T0_T1_T2_jjjjRNS5_12storage_typeE
                                        ; -- End function
	.section	.AMDGPU.csdata,"",@progbits
; Function info:
; codeLenInByte = 9724
; NumSgprs: 34
; NumVgprs: 88
; ScratchSize: 0
; MemoryBound: 1
	.section	.text._ZN7rocprim17ROCPRIM_400000_NS6detail17trampoline_kernelINS0_14default_configENS1_36segmented_radix_sort_config_selectorIslEEZNS1_25segmented_radix_sort_implIS3_Lb1EPKsPsPKlPlN2at6native12_GLOBAL__N_18offset_tEEE10hipError_tPvRmT1_PNSt15iterator_traitsISK_E10value_typeET2_T3_PNSL_ISQ_E10value_typeET4_jRbjT5_SW_jjP12ihipStream_tbEUlT_E1_NS1_11comp_targetILNS1_3genE9ELNS1_11target_archE1100ELNS1_3gpuE3ELNS1_3repE0EEENS1_59segmented_radix_sort_warp_sort_small_config_static_selectorELNS0_4arch9wavefront6targetE0EEEvSK_,"axG",@progbits,_ZN7rocprim17ROCPRIM_400000_NS6detail17trampoline_kernelINS0_14default_configENS1_36segmented_radix_sort_config_selectorIslEEZNS1_25segmented_radix_sort_implIS3_Lb1EPKsPsPKlPlN2at6native12_GLOBAL__N_18offset_tEEE10hipError_tPvRmT1_PNSt15iterator_traitsISK_E10value_typeET2_T3_PNSL_ISQ_E10value_typeET4_jRbjT5_SW_jjP12ihipStream_tbEUlT_E1_NS1_11comp_targetILNS1_3genE9ELNS1_11target_archE1100ELNS1_3gpuE3ELNS1_3repE0EEENS1_59segmented_radix_sort_warp_sort_small_config_static_selectorELNS0_4arch9wavefront6targetE0EEEvSK_,comdat
	.globl	_ZN7rocprim17ROCPRIM_400000_NS6detail17trampoline_kernelINS0_14default_configENS1_36segmented_radix_sort_config_selectorIslEEZNS1_25segmented_radix_sort_implIS3_Lb1EPKsPsPKlPlN2at6native12_GLOBAL__N_18offset_tEEE10hipError_tPvRmT1_PNSt15iterator_traitsISK_E10value_typeET2_T3_PNSL_ISQ_E10value_typeET4_jRbjT5_SW_jjP12ihipStream_tbEUlT_E1_NS1_11comp_targetILNS1_3genE9ELNS1_11target_archE1100ELNS1_3gpuE3ELNS1_3repE0EEENS1_59segmented_radix_sort_warp_sort_small_config_static_selectorELNS0_4arch9wavefront6targetE0EEEvSK_ ; -- Begin function _ZN7rocprim17ROCPRIM_400000_NS6detail17trampoline_kernelINS0_14default_configENS1_36segmented_radix_sort_config_selectorIslEEZNS1_25segmented_radix_sort_implIS3_Lb1EPKsPsPKlPlN2at6native12_GLOBAL__N_18offset_tEEE10hipError_tPvRmT1_PNSt15iterator_traitsISK_E10value_typeET2_T3_PNSL_ISQ_E10value_typeET4_jRbjT5_SW_jjP12ihipStream_tbEUlT_E1_NS1_11comp_targetILNS1_3genE9ELNS1_11target_archE1100ELNS1_3gpuE3ELNS1_3repE0EEENS1_59segmented_radix_sort_warp_sort_small_config_static_selectorELNS0_4arch9wavefront6targetE0EEEvSK_
	.p2align	8
	.type	_ZN7rocprim17ROCPRIM_400000_NS6detail17trampoline_kernelINS0_14default_configENS1_36segmented_radix_sort_config_selectorIslEEZNS1_25segmented_radix_sort_implIS3_Lb1EPKsPsPKlPlN2at6native12_GLOBAL__N_18offset_tEEE10hipError_tPvRmT1_PNSt15iterator_traitsISK_E10value_typeET2_T3_PNSL_ISQ_E10value_typeET4_jRbjT5_SW_jjP12ihipStream_tbEUlT_E1_NS1_11comp_targetILNS1_3genE9ELNS1_11target_archE1100ELNS1_3gpuE3ELNS1_3repE0EEENS1_59segmented_radix_sort_warp_sort_small_config_static_selectorELNS0_4arch9wavefront6targetE0EEEvSK_,@function
_ZN7rocprim17ROCPRIM_400000_NS6detail17trampoline_kernelINS0_14default_configENS1_36segmented_radix_sort_config_selectorIslEEZNS1_25segmented_radix_sort_implIS3_Lb1EPKsPsPKlPlN2at6native12_GLOBAL__N_18offset_tEEE10hipError_tPvRmT1_PNSt15iterator_traitsISK_E10value_typeET2_T3_PNSL_ISQ_E10value_typeET4_jRbjT5_SW_jjP12ihipStream_tbEUlT_E1_NS1_11comp_targetILNS1_3genE9ELNS1_11target_archE1100ELNS1_3gpuE3ELNS1_3repE0EEENS1_59segmented_radix_sort_warp_sort_small_config_static_selectorELNS0_4arch9wavefront6targetE0EEEvSK_: ; @_ZN7rocprim17ROCPRIM_400000_NS6detail17trampoline_kernelINS0_14default_configENS1_36segmented_radix_sort_config_selectorIslEEZNS1_25segmented_radix_sort_implIS3_Lb1EPKsPsPKlPlN2at6native12_GLOBAL__N_18offset_tEEE10hipError_tPvRmT1_PNSt15iterator_traitsISK_E10value_typeET2_T3_PNSL_ISQ_E10value_typeET4_jRbjT5_SW_jjP12ihipStream_tbEUlT_E1_NS1_11comp_targetILNS1_3genE9ELNS1_11target_archE1100ELNS1_3gpuE3ELNS1_3repE0EEENS1_59segmented_radix_sort_warp_sort_small_config_static_selectorELNS0_4arch9wavefront6targetE0EEEvSK_
; %bb.0:
	s_load_b32 s2, s[0:1], 0x64
	v_bfe_u32 v1, v0, 10, 10
	v_bfe_u32 v2, v0, 20, 10
	s_mov_b32 s12, s14
	s_mov_b32 s32, 0
	s_waitcnt lgkmcnt(0)
	s_lshr_b32 s3, s2, 16
	s_and_b32 s2, s2, 0xffff
	v_mad_u32_u24 v4, v2, s3, v1
	v_and_b32_e32 v1, 0x3ff, v0
	s_load_b32 s3, s[0:1], 0x34
	s_delay_alu instid0(VALU_DEP_1) | instskip(SKIP_1) | instid1(VALU_DEP_1)
	v_mad_u64_u32 v[2:3], null, v4, s2, v[1:2]
	s_mov_b32 s2, exec_lo
	v_lshrrev_b32_e32 v1, 3, v2
	s_delay_alu instid0(VALU_DEP_1) | instskip(SKIP_1) | instid1(VALU_DEP_1)
	v_lshl_add_u32 v1, s12, 5, v1
	s_waitcnt lgkmcnt(0)
	v_cmpx_gt_u32_e64 s3, v1
	s_cbranch_execz .LBB939_6
; %bb.1:
	s_clause 0x1
	s_load_b64 s[2:3], s[0:1], 0x38
	s_load_b128 s[4:7], s[0:1], 0x40
	v_mov_b32_e32 v2, 0
	s_delay_alu instid0(VALU_DEP_1) | instskip(SKIP_1) | instid1(VALU_DEP_1)
	v_lshlrev_b64 v[1:2], 2, v[1:2]
	s_waitcnt lgkmcnt(0)
	v_sub_co_u32 v1, vcc_lo, s2, v1
	s_delay_alu instid0(VALU_DEP_2) | instskip(SKIP_4) | instid1(VALU_DEP_2)
	v_sub_co_ci_u32_e32 v2, vcc_lo, s3, v2, vcc_lo
	global_load_b32 v1, v[1:2], off offset:-4
	s_waitcnt vmcnt(0)
	v_add_nc_u32_e32 v2, s5, v1
	v_add_nc_u32_e32 v1, s7, v1
	v_mul_lo_u32 v40, v2, s4
	s_delay_alu instid0(VALU_DEP_2) | instskip(NEXT) | instid1(VALU_DEP_1)
	v_mul_lo_u32 v41, v1, s6
	v_cmp_gt_u32_e32 vcc_lo, v41, v40
	s_and_b32 exec_lo, exec_lo, vcc_lo
	s_cbranch_execz .LBB939_6
; %bb.2:
	s_clause 0x3
	s_load_b32 s2, s[0:1], 0x30
	s_load_b128 s[24:27], s[0:1], 0x20
	s_load_b256 s[16:23], s[0:1], 0x0
	s_load_b64 s[28:29], s[0:1], 0x50
	s_waitcnt lgkmcnt(0)
	s_bitcmp0_b32 s2, 0
	s_mov_b32 s2, -1
	s_cbranch_scc0 .LBB939_4
; %bb.3:
	s_mov_b64 s[2:3], src_shared_base
	v_mov_b32_e32 v31, v0
	v_dual_mov_b32 v42, v0 :: v_dual_mov_b32 v1, s17
	v_mov_b32_e32 v0, s16
	v_dual_mov_b32 v2, s18 :: v_dual_mov_b32 v3, s19
	v_dual_mov_b32 v4, s22 :: v_dual_mov_b32 v5, s23
	;; [unrolled: 1-line block ×6, first 2 shown]
	s_add_u32 s8, s0, 0x58
	s_addc_u32 s9, s1, 0
	s_mov_b32 s13, s15
	s_getpc_b64 s[4:5]
	s_add_u32 s4, s4, _ZN7rocprim17ROCPRIM_400000_NS6detail26segmented_warp_sort_helperINS1_20WarpSortHelperConfigILj8ELj4ELj256EEEslLi256ELb1EvE4sortIPKsPsPKlPlEEvT_T0_T1_T2_jjjjRNS5_12storage_typeE@rel32@lo+4
	s_addc_u32 s5, s5, _ZN7rocprim17ROCPRIM_400000_NS6detail26segmented_warp_sort_helperINS1_20WarpSortHelperConfigILj8ELj4ELj256EEEslLi256ELb1EvE4sortIPKsPsPKlPlEEvT_T0_T1_T2_jjjjRNS5_12storage_typeE@rel32@hi+12
	s_mov_b64 s[18:19], s[0:1]
	s_swappc_b64 s[30:31], s[4:5]
	v_mov_b32_e32 v0, v42
	s_mov_b64 s[0:1], s[18:19]
	s_mov_b32 s2, 0
.LBB939_4:
	s_delay_alu instid0(SALU_CYCLE_1)
	s_and_not1_b32 vcc_lo, exec_lo, s2
	s_cbranch_vccnz .LBB939_6
; %bb.5:
	s_add_u32 s8, s0, 0x58
	s_addc_u32 s9, s1, 0
	s_mov_b64 s[0:1], src_shared_base
	v_dual_mov_b32 v31, v0 :: v_dual_mov_b32 v0, s16
	v_dual_mov_b32 v1, s17 :: v_dual_mov_b32 v2, s20
	v_dual_mov_b32 v3, s21 :: v_dual_mov_b32 v4, s22
	v_dual_mov_b32 v5, s23 :: v_dual_mov_b32 v6, s26
	v_dual_mov_b32 v7, s27 :: v_dual_mov_b32 v8, v40
	v_dual_mov_b32 v9, v41 :: v_dual_mov_b32 v10, s28
	v_dual_mov_b32 v11, s29 :: v_dual_mov_b32 v12, 0
	v_mov_b32_e32 v13, s1
	s_mov_b32 s13, s15
	s_getpc_b64 s[2:3]
	s_add_u32 s2, s2, _ZN7rocprim17ROCPRIM_400000_NS6detail26segmented_warp_sort_helperINS1_20WarpSortHelperConfigILj8ELj4ELj256EEEslLi256ELb1EvE4sortIPKsPsPKlPlEEvT_T0_T1_T2_jjjjRNS5_12storage_typeE@rel32@lo+4
	s_addc_u32 s3, s3, _ZN7rocprim17ROCPRIM_400000_NS6detail26segmented_warp_sort_helperINS1_20WarpSortHelperConfigILj8ELj4ELj256EEEslLi256ELb1EvE4sortIPKsPsPKlPlEEvT_T0_T1_T2_jjjjRNS5_12storage_typeE@rel32@hi+12
	s_delay_alu instid0(SALU_CYCLE_1)
	s_swappc_b64 s[30:31], s[2:3]
.LBB939_6:
	s_endpgm
	.section	.rodata,"a",@progbits
	.p2align	6, 0x0
	.amdhsa_kernel _ZN7rocprim17ROCPRIM_400000_NS6detail17trampoline_kernelINS0_14default_configENS1_36segmented_radix_sort_config_selectorIslEEZNS1_25segmented_radix_sort_implIS3_Lb1EPKsPsPKlPlN2at6native12_GLOBAL__N_18offset_tEEE10hipError_tPvRmT1_PNSt15iterator_traitsISK_E10value_typeET2_T3_PNSL_ISQ_E10value_typeET4_jRbjT5_SW_jjP12ihipStream_tbEUlT_E1_NS1_11comp_targetILNS1_3genE9ELNS1_11target_archE1100ELNS1_3gpuE3ELNS1_3repE0EEENS1_59segmented_radix_sort_warp_sort_small_config_static_selectorELNS0_4arch9wavefront6targetE0EEEvSK_
		.amdhsa_group_segment_fixed_size 10240
		.amdhsa_private_segment_fixed_size 0
		.amdhsa_kernarg_size 344
		.amdhsa_user_sgpr_count 14
		.amdhsa_user_sgpr_dispatch_ptr 0
		.amdhsa_user_sgpr_queue_ptr 0
		.amdhsa_user_sgpr_kernarg_segment_ptr 1
		.amdhsa_user_sgpr_dispatch_id 0
		.amdhsa_user_sgpr_private_segment_size 0
		.amdhsa_wavefront_size32 1
		.amdhsa_uses_dynamic_stack 0
		.amdhsa_enable_private_segment 0
		.amdhsa_system_sgpr_workgroup_id_x 1
		.amdhsa_system_sgpr_workgroup_id_y 1
		.amdhsa_system_sgpr_workgroup_id_z 0
		.amdhsa_system_sgpr_workgroup_info 0
		.amdhsa_system_vgpr_workitem_id 2
		.amdhsa_next_free_vgpr 88
		.amdhsa_next_free_sgpr 33
		.amdhsa_reserve_vcc 1
		.amdhsa_float_round_mode_32 0
		.amdhsa_float_round_mode_16_64 0
		.amdhsa_float_denorm_mode_32 3
		.amdhsa_float_denorm_mode_16_64 3
		.amdhsa_dx10_clamp 1
		.amdhsa_ieee_mode 1
		.amdhsa_fp16_overflow 0
		.amdhsa_workgroup_processor_mode 1
		.amdhsa_memory_ordered 1
		.amdhsa_forward_progress 0
		.amdhsa_shared_vgpr_count 0
		.amdhsa_exception_fp_ieee_invalid_op 0
		.amdhsa_exception_fp_denorm_src 0
		.amdhsa_exception_fp_ieee_div_zero 0
		.amdhsa_exception_fp_ieee_overflow 0
		.amdhsa_exception_fp_ieee_underflow 0
		.amdhsa_exception_fp_ieee_inexact 0
		.amdhsa_exception_int_div_zero 0
	.end_amdhsa_kernel
	.section	.text._ZN7rocprim17ROCPRIM_400000_NS6detail17trampoline_kernelINS0_14default_configENS1_36segmented_radix_sort_config_selectorIslEEZNS1_25segmented_radix_sort_implIS3_Lb1EPKsPsPKlPlN2at6native12_GLOBAL__N_18offset_tEEE10hipError_tPvRmT1_PNSt15iterator_traitsISK_E10value_typeET2_T3_PNSL_ISQ_E10value_typeET4_jRbjT5_SW_jjP12ihipStream_tbEUlT_E1_NS1_11comp_targetILNS1_3genE9ELNS1_11target_archE1100ELNS1_3gpuE3ELNS1_3repE0EEENS1_59segmented_radix_sort_warp_sort_small_config_static_selectorELNS0_4arch9wavefront6targetE0EEEvSK_,"axG",@progbits,_ZN7rocprim17ROCPRIM_400000_NS6detail17trampoline_kernelINS0_14default_configENS1_36segmented_radix_sort_config_selectorIslEEZNS1_25segmented_radix_sort_implIS3_Lb1EPKsPsPKlPlN2at6native12_GLOBAL__N_18offset_tEEE10hipError_tPvRmT1_PNSt15iterator_traitsISK_E10value_typeET2_T3_PNSL_ISQ_E10value_typeET4_jRbjT5_SW_jjP12ihipStream_tbEUlT_E1_NS1_11comp_targetILNS1_3genE9ELNS1_11target_archE1100ELNS1_3gpuE3ELNS1_3repE0EEENS1_59segmented_radix_sort_warp_sort_small_config_static_selectorELNS0_4arch9wavefront6targetE0EEEvSK_,comdat
.Lfunc_end939:
	.size	_ZN7rocprim17ROCPRIM_400000_NS6detail17trampoline_kernelINS0_14default_configENS1_36segmented_radix_sort_config_selectorIslEEZNS1_25segmented_radix_sort_implIS3_Lb1EPKsPsPKlPlN2at6native12_GLOBAL__N_18offset_tEEE10hipError_tPvRmT1_PNSt15iterator_traitsISK_E10value_typeET2_T3_PNSL_ISQ_E10value_typeET4_jRbjT5_SW_jjP12ihipStream_tbEUlT_E1_NS1_11comp_targetILNS1_3genE9ELNS1_11target_archE1100ELNS1_3gpuE3ELNS1_3repE0EEENS1_59segmented_radix_sort_warp_sort_small_config_static_selectorELNS0_4arch9wavefront6targetE0EEEvSK_, .Lfunc_end939-_ZN7rocprim17ROCPRIM_400000_NS6detail17trampoline_kernelINS0_14default_configENS1_36segmented_radix_sort_config_selectorIslEEZNS1_25segmented_radix_sort_implIS3_Lb1EPKsPsPKlPlN2at6native12_GLOBAL__N_18offset_tEEE10hipError_tPvRmT1_PNSt15iterator_traitsISK_E10value_typeET2_T3_PNSL_ISQ_E10value_typeET4_jRbjT5_SW_jjP12ihipStream_tbEUlT_E1_NS1_11comp_targetILNS1_3genE9ELNS1_11target_archE1100ELNS1_3gpuE3ELNS1_3repE0EEENS1_59segmented_radix_sort_warp_sort_small_config_static_selectorELNS0_4arch9wavefront6targetE0EEEvSK_
                                        ; -- End function
	.section	.AMDGPU.csdata,"",@progbits
; Kernel info:
; codeLenInByte = 528
; NumSgprs: 35
; NumVgprs: 88
; ScratchSize: 0
; MemoryBound: 0
; FloatMode: 240
; IeeeMode: 1
; LDSByteSize: 10240 bytes/workgroup (compile time only)
; SGPRBlocks: 4
; VGPRBlocks: 10
; NumSGPRsForWavesPerEU: 35
; NumVGPRsForWavesPerEU: 88
; Occupancy: 16
; WaveLimiterHint : 0
; COMPUTE_PGM_RSRC2:SCRATCH_EN: 0
; COMPUTE_PGM_RSRC2:USER_SGPR: 14
; COMPUTE_PGM_RSRC2:TRAP_HANDLER: 0
; COMPUTE_PGM_RSRC2:TGID_X_EN: 1
; COMPUTE_PGM_RSRC2:TGID_Y_EN: 1
; COMPUTE_PGM_RSRC2:TGID_Z_EN: 0
; COMPUTE_PGM_RSRC2:TIDIG_COMP_CNT: 2
	.section	.text._ZN7rocprim17ROCPRIM_400000_NS6detail17trampoline_kernelINS0_14default_configENS1_36segmented_radix_sort_config_selectorIslEEZNS1_25segmented_radix_sort_implIS3_Lb1EPKsPsPKlPlN2at6native12_GLOBAL__N_18offset_tEEE10hipError_tPvRmT1_PNSt15iterator_traitsISK_E10value_typeET2_T3_PNSL_ISQ_E10value_typeET4_jRbjT5_SW_jjP12ihipStream_tbEUlT_E1_NS1_11comp_targetILNS1_3genE8ELNS1_11target_archE1030ELNS1_3gpuE2ELNS1_3repE0EEENS1_59segmented_radix_sort_warp_sort_small_config_static_selectorELNS0_4arch9wavefront6targetE0EEEvSK_,"axG",@progbits,_ZN7rocprim17ROCPRIM_400000_NS6detail17trampoline_kernelINS0_14default_configENS1_36segmented_radix_sort_config_selectorIslEEZNS1_25segmented_radix_sort_implIS3_Lb1EPKsPsPKlPlN2at6native12_GLOBAL__N_18offset_tEEE10hipError_tPvRmT1_PNSt15iterator_traitsISK_E10value_typeET2_T3_PNSL_ISQ_E10value_typeET4_jRbjT5_SW_jjP12ihipStream_tbEUlT_E1_NS1_11comp_targetILNS1_3genE8ELNS1_11target_archE1030ELNS1_3gpuE2ELNS1_3repE0EEENS1_59segmented_radix_sort_warp_sort_small_config_static_selectorELNS0_4arch9wavefront6targetE0EEEvSK_,comdat
	.globl	_ZN7rocprim17ROCPRIM_400000_NS6detail17trampoline_kernelINS0_14default_configENS1_36segmented_radix_sort_config_selectorIslEEZNS1_25segmented_radix_sort_implIS3_Lb1EPKsPsPKlPlN2at6native12_GLOBAL__N_18offset_tEEE10hipError_tPvRmT1_PNSt15iterator_traitsISK_E10value_typeET2_T3_PNSL_ISQ_E10value_typeET4_jRbjT5_SW_jjP12ihipStream_tbEUlT_E1_NS1_11comp_targetILNS1_3genE8ELNS1_11target_archE1030ELNS1_3gpuE2ELNS1_3repE0EEENS1_59segmented_radix_sort_warp_sort_small_config_static_selectorELNS0_4arch9wavefront6targetE0EEEvSK_ ; -- Begin function _ZN7rocprim17ROCPRIM_400000_NS6detail17trampoline_kernelINS0_14default_configENS1_36segmented_radix_sort_config_selectorIslEEZNS1_25segmented_radix_sort_implIS3_Lb1EPKsPsPKlPlN2at6native12_GLOBAL__N_18offset_tEEE10hipError_tPvRmT1_PNSt15iterator_traitsISK_E10value_typeET2_T3_PNSL_ISQ_E10value_typeET4_jRbjT5_SW_jjP12ihipStream_tbEUlT_E1_NS1_11comp_targetILNS1_3genE8ELNS1_11target_archE1030ELNS1_3gpuE2ELNS1_3repE0EEENS1_59segmented_radix_sort_warp_sort_small_config_static_selectorELNS0_4arch9wavefront6targetE0EEEvSK_
	.p2align	8
	.type	_ZN7rocprim17ROCPRIM_400000_NS6detail17trampoline_kernelINS0_14default_configENS1_36segmented_radix_sort_config_selectorIslEEZNS1_25segmented_radix_sort_implIS3_Lb1EPKsPsPKlPlN2at6native12_GLOBAL__N_18offset_tEEE10hipError_tPvRmT1_PNSt15iterator_traitsISK_E10value_typeET2_T3_PNSL_ISQ_E10value_typeET4_jRbjT5_SW_jjP12ihipStream_tbEUlT_E1_NS1_11comp_targetILNS1_3genE8ELNS1_11target_archE1030ELNS1_3gpuE2ELNS1_3repE0EEENS1_59segmented_radix_sort_warp_sort_small_config_static_selectorELNS0_4arch9wavefront6targetE0EEEvSK_,@function
_ZN7rocprim17ROCPRIM_400000_NS6detail17trampoline_kernelINS0_14default_configENS1_36segmented_radix_sort_config_selectorIslEEZNS1_25segmented_radix_sort_implIS3_Lb1EPKsPsPKlPlN2at6native12_GLOBAL__N_18offset_tEEE10hipError_tPvRmT1_PNSt15iterator_traitsISK_E10value_typeET2_T3_PNSL_ISQ_E10value_typeET4_jRbjT5_SW_jjP12ihipStream_tbEUlT_E1_NS1_11comp_targetILNS1_3genE8ELNS1_11target_archE1030ELNS1_3gpuE2ELNS1_3repE0EEENS1_59segmented_radix_sort_warp_sort_small_config_static_selectorELNS0_4arch9wavefront6targetE0EEEvSK_: ; @_ZN7rocprim17ROCPRIM_400000_NS6detail17trampoline_kernelINS0_14default_configENS1_36segmented_radix_sort_config_selectorIslEEZNS1_25segmented_radix_sort_implIS3_Lb1EPKsPsPKlPlN2at6native12_GLOBAL__N_18offset_tEEE10hipError_tPvRmT1_PNSt15iterator_traitsISK_E10value_typeET2_T3_PNSL_ISQ_E10value_typeET4_jRbjT5_SW_jjP12ihipStream_tbEUlT_E1_NS1_11comp_targetILNS1_3genE8ELNS1_11target_archE1030ELNS1_3gpuE2ELNS1_3repE0EEENS1_59segmented_radix_sort_warp_sort_small_config_static_selectorELNS0_4arch9wavefront6targetE0EEEvSK_
; %bb.0:
	.section	.rodata,"a",@progbits
	.p2align	6, 0x0
	.amdhsa_kernel _ZN7rocprim17ROCPRIM_400000_NS6detail17trampoline_kernelINS0_14default_configENS1_36segmented_radix_sort_config_selectorIslEEZNS1_25segmented_radix_sort_implIS3_Lb1EPKsPsPKlPlN2at6native12_GLOBAL__N_18offset_tEEE10hipError_tPvRmT1_PNSt15iterator_traitsISK_E10value_typeET2_T3_PNSL_ISQ_E10value_typeET4_jRbjT5_SW_jjP12ihipStream_tbEUlT_E1_NS1_11comp_targetILNS1_3genE8ELNS1_11target_archE1030ELNS1_3gpuE2ELNS1_3repE0EEENS1_59segmented_radix_sort_warp_sort_small_config_static_selectorELNS0_4arch9wavefront6targetE0EEEvSK_
		.amdhsa_group_segment_fixed_size 0
		.amdhsa_private_segment_fixed_size 0
		.amdhsa_kernarg_size 88
		.amdhsa_user_sgpr_count 15
		.amdhsa_user_sgpr_dispatch_ptr 0
		.amdhsa_user_sgpr_queue_ptr 0
		.amdhsa_user_sgpr_kernarg_segment_ptr 1
		.amdhsa_user_sgpr_dispatch_id 0
		.amdhsa_user_sgpr_private_segment_size 0
		.amdhsa_wavefront_size32 1
		.amdhsa_uses_dynamic_stack 0
		.amdhsa_enable_private_segment 0
		.amdhsa_system_sgpr_workgroup_id_x 1
		.amdhsa_system_sgpr_workgroup_id_y 0
		.amdhsa_system_sgpr_workgroup_id_z 0
		.amdhsa_system_sgpr_workgroup_info 0
		.amdhsa_system_vgpr_workitem_id 0
		.amdhsa_next_free_vgpr 1
		.amdhsa_next_free_sgpr 1
		.amdhsa_reserve_vcc 0
		.amdhsa_float_round_mode_32 0
		.amdhsa_float_round_mode_16_64 0
		.amdhsa_float_denorm_mode_32 3
		.amdhsa_float_denorm_mode_16_64 3
		.amdhsa_dx10_clamp 1
		.amdhsa_ieee_mode 1
		.amdhsa_fp16_overflow 0
		.amdhsa_workgroup_processor_mode 1
		.amdhsa_memory_ordered 1
		.amdhsa_forward_progress 0
		.amdhsa_shared_vgpr_count 0
		.amdhsa_exception_fp_ieee_invalid_op 0
		.amdhsa_exception_fp_denorm_src 0
		.amdhsa_exception_fp_ieee_div_zero 0
		.amdhsa_exception_fp_ieee_overflow 0
		.amdhsa_exception_fp_ieee_underflow 0
		.amdhsa_exception_fp_ieee_inexact 0
		.amdhsa_exception_int_div_zero 0
	.end_amdhsa_kernel
	.section	.text._ZN7rocprim17ROCPRIM_400000_NS6detail17trampoline_kernelINS0_14default_configENS1_36segmented_radix_sort_config_selectorIslEEZNS1_25segmented_radix_sort_implIS3_Lb1EPKsPsPKlPlN2at6native12_GLOBAL__N_18offset_tEEE10hipError_tPvRmT1_PNSt15iterator_traitsISK_E10value_typeET2_T3_PNSL_ISQ_E10value_typeET4_jRbjT5_SW_jjP12ihipStream_tbEUlT_E1_NS1_11comp_targetILNS1_3genE8ELNS1_11target_archE1030ELNS1_3gpuE2ELNS1_3repE0EEENS1_59segmented_radix_sort_warp_sort_small_config_static_selectorELNS0_4arch9wavefront6targetE0EEEvSK_,"axG",@progbits,_ZN7rocprim17ROCPRIM_400000_NS6detail17trampoline_kernelINS0_14default_configENS1_36segmented_radix_sort_config_selectorIslEEZNS1_25segmented_radix_sort_implIS3_Lb1EPKsPsPKlPlN2at6native12_GLOBAL__N_18offset_tEEE10hipError_tPvRmT1_PNSt15iterator_traitsISK_E10value_typeET2_T3_PNSL_ISQ_E10value_typeET4_jRbjT5_SW_jjP12ihipStream_tbEUlT_E1_NS1_11comp_targetILNS1_3genE8ELNS1_11target_archE1030ELNS1_3gpuE2ELNS1_3repE0EEENS1_59segmented_radix_sort_warp_sort_small_config_static_selectorELNS0_4arch9wavefront6targetE0EEEvSK_,comdat
.Lfunc_end940:
	.size	_ZN7rocprim17ROCPRIM_400000_NS6detail17trampoline_kernelINS0_14default_configENS1_36segmented_radix_sort_config_selectorIslEEZNS1_25segmented_radix_sort_implIS3_Lb1EPKsPsPKlPlN2at6native12_GLOBAL__N_18offset_tEEE10hipError_tPvRmT1_PNSt15iterator_traitsISK_E10value_typeET2_T3_PNSL_ISQ_E10value_typeET4_jRbjT5_SW_jjP12ihipStream_tbEUlT_E1_NS1_11comp_targetILNS1_3genE8ELNS1_11target_archE1030ELNS1_3gpuE2ELNS1_3repE0EEENS1_59segmented_radix_sort_warp_sort_small_config_static_selectorELNS0_4arch9wavefront6targetE0EEEvSK_, .Lfunc_end940-_ZN7rocprim17ROCPRIM_400000_NS6detail17trampoline_kernelINS0_14default_configENS1_36segmented_radix_sort_config_selectorIslEEZNS1_25segmented_radix_sort_implIS3_Lb1EPKsPsPKlPlN2at6native12_GLOBAL__N_18offset_tEEE10hipError_tPvRmT1_PNSt15iterator_traitsISK_E10value_typeET2_T3_PNSL_ISQ_E10value_typeET4_jRbjT5_SW_jjP12ihipStream_tbEUlT_E1_NS1_11comp_targetILNS1_3genE8ELNS1_11target_archE1030ELNS1_3gpuE2ELNS1_3repE0EEENS1_59segmented_radix_sort_warp_sort_small_config_static_selectorELNS0_4arch9wavefront6targetE0EEEvSK_
                                        ; -- End function
	.section	.AMDGPU.csdata,"",@progbits
; Kernel info:
; codeLenInByte = 0
; NumSgprs: 0
; NumVgprs: 0
; ScratchSize: 0
; MemoryBound: 0
; FloatMode: 240
; IeeeMode: 1
; LDSByteSize: 0 bytes/workgroup (compile time only)
; SGPRBlocks: 0
; VGPRBlocks: 0
; NumSGPRsForWavesPerEU: 1
; NumVGPRsForWavesPerEU: 1
; Occupancy: 16
; WaveLimiterHint : 0
; COMPUTE_PGM_RSRC2:SCRATCH_EN: 0
; COMPUTE_PGM_RSRC2:USER_SGPR: 15
; COMPUTE_PGM_RSRC2:TRAP_HANDLER: 0
; COMPUTE_PGM_RSRC2:TGID_X_EN: 1
; COMPUTE_PGM_RSRC2:TGID_Y_EN: 0
; COMPUTE_PGM_RSRC2:TGID_Z_EN: 0
; COMPUTE_PGM_RSRC2:TIDIG_COMP_CNT: 0
	.section	.text._ZN7rocprim17ROCPRIM_400000_NS6detail17trampoline_kernelINS0_14default_configENS1_36segmented_radix_sort_config_selectorIslEEZNS1_25segmented_radix_sort_implIS3_Lb1EPKsPsPKlPlN2at6native12_GLOBAL__N_18offset_tEEE10hipError_tPvRmT1_PNSt15iterator_traitsISK_E10value_typeET2_T3_PNSL_ISQ_E10value_typeET4_jRbjT5_SW_jjP12ihipStream_tbEUlT_E2_NS1_11comp_targetILNS1_3genE0ELNS1_11target_archE4294967295ELNS1_3gpuE0ELNS1_3repE0EEENS1_30default_config_static_selectorELNS0_4arch9wavefront6targetE0EEEvSK_,"axG",@progbits,_ZN7rocprim17ROCPRIM_400000_NS6detail17trampoline_kernelINS0_14default_configENS1_36segmented_radix_sort_config_selectorIslEEZNS1_25segmented_radix_sort_implIS3_Lb1EPKsPsPKlPlN2at6native12_GLOBAL__N_18offset_tEEE10hipError_tPvRmT1_PNSt15iterator_traitsISK_E10value_typeET2_T3_PNSL_ISQ_E10value_typeET4_jRbjT5_SW_jjP12ihipStream_tbEUlT_E2_NS1_11comp_targetILNS1_3genE0ELNS1_11target_archE4294967295ELNS1_3gpuE0ELNS1_3repE0EEENS1_30default_config_static_selectorELNS0_4arch9wavefront6targetE0EEEvSK_,comdat
	.globl	_ZN7rocprim17ROCPRIM_400000_NS6detail17trampoline_kernelINS0_14default_configENS1_36segmented_radix_sort_config_selectorIslEEZNS1_25segmented_radix_sort_implIS3_Lb1EPKsPsPKlPlN2at6native12_GLOBAL__N_18offset_tEEE10hipError_tPvRmT1_PNSt15iterator_traitsISK_E10value_typeET2_T3_PNSL_ISQ_E10value_typeET4_jRbjT5_SW_jjP12ihipStream_tbEUlT_E2_NS1_11comp_targetILNS1_3genE0ELNS1_11target_archE4294967295ELNS1_3gpuE0ELNS1_3repE0EEENS1_30default_config_static_selectorELNS0_4arch9wavefront6targetE0EEEvSK_ ; -- Begin function _ZN7rocprim17ROCPRIM_400000_NS6detail17trampoline_kernelINS0_14default_configENS1_36segmented_radix_sort_config_selectorIslEEZNS1_25segmented_radix_sort_implIS3_Lb1EPKsPsPKlPlN2at6native12_GLOBAL__N_18offset_tEEE10hipError_tPvRmT1_PNSt15iterator_traitsISK_E10value_typeET2_T3_PNSL_ISQ_E10value_typeET4_jRbjT5_SW_jjP12ihipStream_tbEUlT_E2_NS1_11comp_targetILNS1_3genE0ELNS1_11target_archE4294967295ELNS1_3gpuE0ELNS1_3repE0EEENS1_30default_config_static_selectorELNS0_4arch9wavefront6targetE0EEEvSK_
	.p2align	8
	.type	_ZN7rocprim17ROCPRIM_400000_NS6detail17trampoline_kernelINS0_14default_configENS1_36segmented_radix_sort_config_selectorIslEEZNS1_25segmented_radix_sort_implIS3_Lb1EPKsPsPKlPlN2at6native12_GLOBAL__N_18offset_tEEE10hipError_tPvRmT1_PNSt15iterator_traitsISK_E10value_typeET2_T3_PNSL_ISQ_E10value_typeET4_jRbjT5_SW_jjP12ihipStream_tbEUlT_E2_NS1_11comp_targetILNS1_3genE0ELNS1_11target_archE4294967295ELNS1_3gpuE0ELNS1_3repE0EEENS1_30default_config_static_selectorELNS0_4arch9wavefront6targetE0EEEvSK_,@function
_ZN7rocprim17ROCPRIM_400000_NS6detail17trampoline_kernelINS0_14default_configENS1_36segmented_radix_sort_config_selectorIslEEZNS1_25segmented_radix_sort_implIS3_Lb1EPKsPsPKlPlN2at6native12_GLOBAL__N_18offset_tEEE10hipError_tPvRmT1_PNSt15iterator_traitsISK_E10value_typeET2_T3_PNSL_ISQ_E10value_typeET4_jRbjT5_SW_jjP12ihipStream_tbEUlT_E2_NS1_11comp_targetILNS1_3genE0ELNS1_11target_archE4294967295ELNS1_3gpuE0ELNS1_3repE0EEENS1_30default_config_static_selectorELNS0_4arch9wavefront6targetE0EEEvSK_: ; @_ZN7rocprim17ROCPRIM_400000_NS6detail17trampoline_kernelINS0_14default_configENS1_36segmented_radix_sort_config_selectorIslEEZNS1_25segmented_radix_sort_implIS3_Lb1EPKsPsPKlPlN2at6native12_GLOBAL__N_18offset_tEEE10hipError_tPvRmT1_PNSt15iterator_traitsISK_E10value_typeET2_T3_PNSL_ISQ_E10value_typeET4_jRbjT5_SW_jjP12ihipStream_tbEUlT_E2_NS1_11comp_targetILNS1_3genE0ELNS1_11target_archE4294967295ELNS1_3gpuE0ELNS1_3repE0EEENS1_30default_config_static_selectorELNS0_4arch9wavefront6targetE0EEEvSK_
; %bb.0:
	.section	.rodata,"a",@progbits
	.p2align	6, 0x0
	.amdhsa_kernel _ZN7rocprim17ROCPRIM_400000_NS6detail17trampoline_kernelINS0_14default_configENS1_36segmented_radix_sort_config_selectorIslEEZNS1_25segmented_radix_sort_implIS3_Lb1EPKsPsPKlPlN2at6native12_GLOBAL__N_18offset_tEEE10hipError_tPvRmT1_PNSt15iterator_traitsISK_E10value_typeET2_T3_PNSL_ISQ_E10value_typeET4_jRbjT5_SW_jjP12ihipStream_tbEUlT_E2_NS1_11comp_targetILNS1_3genE0ELNS1_11target_archE4294967295ELNS1_3gpuE0ELNS1_3repE0EEENS1_30default_config_static_selectorELNS0_4arch9wavefront6targetE0EEEvSK_
		.amdhsa_group_segment_fixed_size 0
		.amdhsa_private_segment_fixed_size 0
		.amdhsa_kernarg_size 80
		.amdhsa_user_sgpr_count 15
		.amdhsa_user_sgpr_dispatch_ptr 0
		.amdhsa_user_sgpr_queue_ptr 0
		.amdhsa_user_sgpr_kernarg_segment_ptr 1
		.amdhsa_user_sgpr_dispatch_id 0
		.amdhsa_user_sgpr_private_segment_size 0
		.amdhsa_wavefront_size32 1
		.amdhsa_uses_dynamic_stack 0
		.amdhsa_enable_private_segment 0
		.amdhsa_system_sgpr_workgroup_id_x 1
		.amdhsa_system_sgpr_workgroup_id_y 0
		.amdhsa_system_sgpr_workgroup_id_z 0
		.amdhsa_system_sgpr_workgroup_info 0
		.amdhsa_system_vgpr_workitem_id 0
		.amdhsa_next_free_vgpr 1
		.amdhsa_next_free_sgpr 1
		.amdhsa_reserve_vcc 0
		.amdhsa_float_round_mode_32 0
		.amdhsa_float_round_mode_16_64 0
		.amdhsa_float_denorm_mode_32 3
		.amdhsa_float_denorm_mode_16_64 3
		.amdhsa_dx10_clamp 1
		.amdhsa_ieee_mode 1
		.amdhsa_fp16_overflow 0
		.amdhsa_workgroup_processor_mode 1
		.amdhsa_memory_ordered 1
		.amdhsa_forward_progress 0
		.amdhsa_shared_vgpr_count 0
		.amdhsa_exception_fp_ieee_invalid_op 0
		.amdhsa_exception_fp_denorm_src 0
		.amdhsa_exception_fp_ieee_div_zero 0
		.amdhsa_exception_fp_ieee_overflow 0
		.amdhsa_exception_fp_ieee_underflow 0
		.amdhsa_exception_fp_ieee_inexact 0
		.amdhsa_exception_int_div_zero 0
	.end_amdhsa_kernel
	.section	.text._ZN7rocprim17ROCPRIM_400000_NS6detail17trampoline_kernelINS0_14default_configENS1_36segmented_radix_sort_config_selectorIslEEZNS1_25segmented_radix_sort_implIS3_Lb1EPKsPsPKlPlN2at6native12_GLOBAL__N_18offset_tEEE10hipError_tPvRmT1_PNSt15iterator_traitsISK_E10value_typeET2_T3_PNSL_ISQ_E10value_typeET4_jRbjT5_SW_jjP12ihipStream_tbEUlT_E2_NS1_11comp_targetILNS1_3genE0ELNS1_11target_archE4294967295ELNS1_3gpuE0ELNS1_3repE0EEENS1_30default_config_static_selectorELNS0_4arch9wavefront6targetE0EEEvSK_,"axG",@progbits,_ZN7rocprim17ROCPRIM_400000_NS6detail17trampoline_kernelINS0_14default_configENS1_36segmented_radix_sort_config_selectorIslEEZNS1_25segmented_radix_sort_implIS3_Lb1EPKsPsPKlPlN2at6native12_GLOBAL__N_18offset_tEEE10hipError_tPvRmT1_PNSt15iterator_traitsISK_E10value_typeET2_T3_PNSL_ISQ_E10value_typeET4_jRbjT5_SW_jjP12ihipStream_tbEUlT_E2_NS1_11comp_targetILNS1_3genE0ELNS1_11target_archE4294967295ELNS1_3gpuE0ELNS1_3repE0EEENS1_30default_config_static_selectorELNS0_4arch9wavefront6targetE0EEEvSK_,comdat
.Lfunc_end941:
	.size	_ZN7rocprim17ROCPRIM_400000_NS6detail17trampoline_kernelINS0_14default_configENS1_36segmented_radix_sort_config_selectorIslEEZNS1_25segmented_radix_sort_implIS3_Lb1EPKsPsPKlPlN2at6native12_GLOBAL__N_18offset_tEEE10hipError_tPvRmT1_PNSt15iterator_traitsISK_E10value_typeET2_T3_PNSL_ISQ_E10value_typeET4_jRbjT5_SW_jjP12ihipStream_tbEUlT_E2_NS1_11comp_targetILNS1_3genE0ELNS1_11target_archE4294967295ELNS1_3gpuE0ELNS1_3repE0EEENS1_30default_config_static_selectorELNS0_4arch9wavefront6targetE0EEEvSK_, .Lfunc_end941-_ZN7rocprim17ROCPRIM_400000_NS6detail17trampoline_kernelINS0_14default_configENS1_36segmented_radix_sort_config_selectorIslEEZNS1_25segmented_radix_sort_implIS3_Lb1EPKsPsPKlPlN2at6native12_GLOBAL__N_18offset_tEEE10hipError_tPvRmT1_PNSt15iterator_traitsISK_E10value_typeET2_T3_PNSL_ISQ_E10value_typeET4_jRbjT5_SW_jjP12ihipStream_tbEUlT_E2_NS1_11comp_targetILNS1_3genE0ELNS1_11target_archE4294967295ELNS1_3gpuE0ELNS1_3repE0EEENS1_30default_config_static_selectorELNS0_4arch9wavefront6targetE0EEEvSK_
                                        ; -- End function
	.section	.AMDGPU.csdata,"",@progbits
; Kernel info:
; codeLenInByte = 0
; NumSgprs: 0
; NumVgprs: 0
; ScratchSize: 0
; MemoryBound: 0
; FloatMode: 240
; IeeeMode: 1
; LDSByteSize: 0 bytes/workgroup (compile time only)
; SGPRBlocks: 0
; VGPRBlocks: 0
; NumSGPRsForWavesPerEU: 1
; NumVGPRsForWavesPerEU: 1
; Occupancy: 16
; WaveLimiterHint : 0
; COMPUTE_PGM_RSRC2:SCRATCH_EN: 0
; COMPUTE_PGM_RSRC2:USER_SGPR: 15
; COMPUTE_PGM_RSRC2:TRAP_HANDLER: 0
; COMPUTE_PGM_RSRC2:TGID_X_EN: 1
; COMPUTE_PGM_RSRC2:TGID_Y_EN: 0
; COMPUTE_PGM_RSRC2:TGID_Z_EN: 0
; COMPUTE_PGM_RSRC2:TIDIG_COMP_CNT: 0
	.section	.text._ZN7rocprim17ROCPRIM_400000_NS6detail17trampoline_kernelINS0_14default_configENS1_36segmented_radix_sort_config_selectorIslEEZNS1_25segmented_radix_sort_implIS3_Lb1EPKsPsPKlPlN2at6native12_GLOBAL__N_18offset_tEEE10hipError_tPvRmT1_PNSt15iterator_traitsISK_E10value_typeET2_T3_PNSL_ISQ_E10value_typeET4_jRbjT5_SW_jjP12ihipStream_tbEUlT_E2_NS1_11comp_targetILNS1_3genE5ELNS1_11target_archE942ELNS1_3gpuE9ELNS1_3repE0EEENS1_30default_config_static_selectorELNS0_4arch9wavefront6targetE0EEEvSK_,"axG",@progbits,_ZN7rocprim17ROCPRIM_400000_NS6detail17trampoline_kernelINS0_14default_configENS1_36segmented_radix_sort_config_selectorIslEEZNS1_25segmented_radix_sort_implIS3_Lb1EPKsPsPKlPlN2at6native12_GLOBAL__N_18offset_tEEE10hipError_tPvRmT1_PNSt15iterator_traitsISK_E10value_typeET2_T3_PNSL_ISQ_E10value_typeET4_jRbjT5_SW_jjP12ihipStream_tbEUlT_E2_NS1_11comp_targetILNS1_3genE5ELNS1_11target_archE942ELNS1_3gpuE9ELNS1_3repE0EEENS1_30default_config_static_selectorELNS0_4arch9wavefront6targetE0EEEvSK_,comdat
	.globl	_ZN7rocprim17ROCPRIM_400000_NS6detail17trampoline_kernelINS0_14default_configENS1_36segmented_radix_sort_config_selectorIslEEZNS1_25segmented_radix_sort_implIS3_Lb1EPKsPsPKlPlN2at6native12_GLOBAL__N_18offset_tEEE10hipError_tPvRmT1_PNSt15iterator_traitsISK_E10value_typeET2_T3_PNSL_ISQ_E10value_typeET4_jRbjT5_SW_jjP12ihipStream_tbEUlT_E2_NS1_11comp_targetILNS1_3genE5ELNS1_11target_archE942ELNS1_3gpuE9ELNS1_3repE0EEENS1_30default_config_static_selectorELNS0_4arch9wavefront6targetE0EEEvSK_ ; -- Begin function _ZN7rocprim17ROCPRIM_400000_NS6detail17trampoline_kernelINS0_14default_configENS1_36segmented_radix_sort_config_selectorIslEEZNS1_25segmented_radix_sort_implIS3_Lb1EPKsPsPKlPlN2at6native12_GLOBAL__N_18offset_tEEE10hipError_tPvRmT1_PNSt15iterator_traitsISK_E10value_typeET2_T3_PNSL_ISQ_E10value_typeET4_jRbjT5_SW_jjP12ihipStream_tbEUlT_E2_NS1_11comp_targetILNS1_3genE5ELNS1_11target_archE942ELNS1_3gpuE9ELNS1_3repE0EEENS1_30default_config_static_selectorELNS0_4arch9wavefront6targetE0EEEvSK_
	.p2align	8
	.type	_ZN7rocprim17ROCPRIM_400000_NS6detail17trampoline_kernelINS0_14default_configENS1_36segmented_radix_sort_config_selectorIslEEZNS1_25segmented_radix_sort_implIS3_Lb1EPKsPsPKlPlN2at6native12_GLOBAL__N_18offset_tEEE10hipError_tPvRmT1_PNSt15iterator_traitsISK_E10value_typeET2_T3_PNSL_ISQ_E10value_typeET4_jRbjT5_SW_jjP12ihipStream_tbEUlT_E2_NS1_11comp_targetILNS1_3genE5ELNS1_11target_archE942ELNS1_3gpuE9ELNS1_3repE0EEENS1_30default_config_static_selectorELNS0_4arch9wavefront6targetE0EEEvSK_,@function
_ZN7rocprim17ROCPRIM_400000_NS6detail17trampoline_kernelINS0_14default_configENS1_36segmented_radix_sort_config_selectorIslEEZNS1_25segmented_radix_sort_implIS3_Lb1EPKsPsPKlPlN2at6native12_GLOBAL__N_18offset_tEEE10hipError_tPvRmT1_PNSt15iterator_traitsISK_E10value_typeET2_T3_PNSL_ISQ_E10value_typeET4_jRbjT5_SW_jjP12ihipStream_tbEUlT_E2_NS1_11comp_targetILNS1_3genE5ELNS1_11target_archE942ELNS1_3gpuE9ELNS1_3repE0EEENS1_30default_config_static_selectorELNS0_4arch9wavefront6targetE0EEEvSK_: ; @_ZN7rocprim17ROCPRIM_400000_NS6detail17trampoline_kernelINS0_14default_configENS1_36segmented_radix_sort_config_selectorIslEEZNS1_25segmented_radix_sort_implIS3_Lb1EPKsPsPKlPlN2at6native12_GLOBAL__N_18offset_tEEE10hipError_tPvRmT1_PNSt15iterator_traitsISK_E10value_typeET2_T3_PNSL_ISQ_E10value_typeET4_jRbjT5_SW_jjP12ihipStream_tbEUlT_E2_NS1_11comp_targetILNS1_3genE5ELNS1_11target_archE942ELNS1_3gpuE9ELNS1_3repE0EEENS1_30default_config_static_selectorELNS0_4arch9wavefront6targetE0EEEvSK_
; %bb.0:
	.section	.rodata,"a",@progbits
	.p2align	6, 0x0
	.amdhsa_kernel _ZN7rocprim17ROCPRIM_400000_NS6detail17trampoline_kernelINS0_14default_configENS1_36segmented_radix_sort_config_selectorIslEEZNS1_25segmented_radix_sort_implIS3_Lb1EPKsPsPKlPlN2at6native12_GLOBAL__N_18offset_tEEE10hipError_tPvRmT1_PNSt15iterator_traitsISK_E10value_typeET2_T3_PNSL_ISQ_E10value_typeET4_jRbjT5_SW_jjP12ihipStream_tbEUlT_E2_NS1_11comp_targetILNS1_3genE5ELNS1_11target_archE942ELNS1_3gpuE9ELNS1_3repE0EEENS1_30default_config_static_selectorELNS0_4arch9wavefront6targetE0EEEvSK_
		.amdhsa_group_segment_fixed_size 0
		.amdhsa_private_segment_fixed_size 0
		.amdhsa_kernarg_size 80
		.amdhsa_user_sgpr_count 15
		.amdhsa_user_sgpr_dispatch_ptr 0
		.amdhsa_user_sgpr_queue_ptr 0
		.amdhsa_user_sgpr_kernarg_segment_ptr 1
		.amdhsa_user_sgpr_dispatch_id 0
		.amdhsa_user_sgpr_private_segment_size 0
		.amdhsa_wavefront_size32 1
		.amdhsa_uses_dynamic_stack 0
		.amdhsa_enable_private_segment 0
		.amdhsa_system_sgpr_workgroup_id_x 1
		.amdhsa_system_sgpr_workgroup_id_y 0
		.amdhsa_system_sgpr_workgroup_id_z 0
		.amdhsa_system_sgpr_workgroup_info 0
		.amdhsa_system_vgpr_workitem_id 0
		.amdhsa_next_free_vgpr 1
		.amdhsa_next_free_sgpr 1
		.amdhsa_reserve_vcc 0
		.amdhsa_float_round_mode_32 0
		.amdhsa_float_round_mode_16_64 0
		.amdhsa_float_denorm_mode_32 3
		.amdhsa_float_denorm_mode_16_64 3
		.amdhsa_dx10_clamp 1
		.amdhsa_ieee_mode 1
		.amdhsa_fp16_overflow 0
		.amdhsa_workgroup_processor_mode 1
		.amdhsa_memory_ordered 1
		.amdhsa_forward_progress 0
		.amdhsa_shared_vgpr_count 0
		.amdhsa_exception_fp_ieee_invalid_op 0
		.amdhsa_exception_fp_denorm_src 0
		.amdhsa_exception_fp_ieee_div_zero 0
		.amdhsa_exception_fp_ieee_overflow 0
		.amdhsa_exception_fp_ieee_underflow 0
		.amdhsa_exception_fp_ieee_inexact 0
		.amdhsa_exception_int_div_zero 0
	.end_amdhsa_kernel
	.section	.text._ZN7rocprim17ROCPRIM_400000_NS6detail17trampoline_kernelINS0_14default_configENS1_36segmented_radix_sort_config_selectorIslEEZNS1_25segmented_radix_sort_implIS3_Lb1EPKsPsPKlPlN2at6native12_GLOBAL__N_18offset_tEEE10hipError_tPvRmT1_PNSt15iterator_traitsISK_E10value_typeET2_T3_PNSL_ISQ_E10value_typeET4_jRbjT5_SW_jjP12ihipStream_tbEUlT_E2_NS1_11comp_targetILNS1_3genE5ELNS1_11target_archE942ELNS1_3gpuE9ELNS1_3repE0EEENS1_30default_config_static_selectorELNS0_4arch9wavefront6targetE0EEEvSK_,"axG",@progbits,_ZN7rocprim17ROCPRIM_400000_NS6detail17trampoline_kernelINS0_14default_configENS1_36segmented_radix_sort_config_selectorIslEEZNS1_25segmented_radix_sort_implIS3_Lb1EPKsPsPKlPlN2at6native12_GLOBAL__N_18offset_tEEE10hipError_tPvRmT1_PNSt15iterator_traitsISK_E10value_typeET2_T3_PNSL_ISQ_E10value_typeET4_jRbjT5_SW_jjP12ihipStream_tbEUlT_E2_NS1_11comp_targetILNS1_3genE5ELNS1_11target_archE942ELNS1_3gpuE9ELNS1_3repE0EEENS1_30default_config_static_selectorELNS0_4arch9wavefront6targetE0EEEvSK_,comdat
.Lfunc_end942:
	.size	_ZN7rocprim17ROCPRIM_400000_NS6detail17trampoline_kernelINS0_14default_configENS1_36segmented_radix_sort_config_selectorIslEEZNS1_25segmented_radix_sort_implIS3_Lb1EPKsPsPKlPlN2at6native12_GLOBAL__N_18offset_tEEE10hipError_tPvRmT1_PNSt15iterator_traitsISK_E10value_typeET2_T3_PNSL_ISQ_E10value_typeET4_jRbjT5_SW_jjP12ihipStream_tbEUlT_E2_NS1_11comp_targetILNS1_3genE5ELNS1_11target_archE942ELNS1_3gpuE9ELNS1_3repE0EEENS1_30default_config_static_selectorELNS0_4arch9wavefront6targetE0EEEvSK_, .Lfunc_end942-_ZN7rocprim17ROCPRIM_400000_NS6detail17trampoline_kernelINS0_14default_configENS1_36segmented_radix_sort_config_selectorIslEEZNS1_25segmented_radix_sort_implIS3_Lb1EPKsPsPKlPlN2at6native12_GLOBAL__N_18offset_tEEE10hipError_tPvRmT1_PNSt15iterator_traitsISK_E10value_typeET2_T3_PNSL_ISQ_E10value_typeET4_jRbjT5_SW_jjP12ihipStream_tbEUlT_E2_NS1_11comp_targetILNS1_3genE5ELNS1_11target_archE942ELNS1_3gpuE9ELNS1_3repE0EEENS1_30default_config_static_selectorELNS0_4arch9wavefront6targetE0EEEvSK_
                                        ; -- End function
	.section	.AMDGPU.csdata,"",@progbits
; Kernel info:
; codeLenInByte = 0
; NumSgprs: 0
; NumVgprs: 0
; ScratchSize: 0
; MemoryBound: 0
; FloatMode: 240
; IeeeMode: 1
; LDSByteSize: 0 bytes/workgroup (compile time only)
; SGPRBlocks: 0
; VGPRBlocks: 0
; NumSGPRsForWavesPerEU: 1
; NumVGPRsForWavesPerEU: 1
; Occupancy: 16
; WaveLimiterHint : 0
; COMPUTE_PGM_RSRC2:SCRATCH_EN: 0
; COMPUTE_PGM_RSRC2:USER_SGPR: 15
; COMPUTE_PGM_RSRC2:TRAP_HANDLER: 0
; COMPUTE_PGM_RSRC2:TGID_X_EN: 1
; COMPUTE_PGM_RSRC2:TGID_Y_EN: 0
; COMPUTE_PGM_RSRC2:TGID_Z_EN: 0
; COMPUTE_PGM_RSRC2:TIDIG_COMP_CNT: 0
	.section	.text._ZN7rocprim17ROCPRIM_400000_NS6detail17trampoline_kernelINS0_14default_configENS1_36segmented_radix_sort_config_selectorIslEEZNS1_25segmented_radix_sort_implIS3_Lb1EPKsPsPKlPlN2at6native12_GLOBAL__N_18offset_tEEE10hipError_tPvRmT1_PNSt15iterator_traitsISK_E10value_typeET2_T3_PNSL_ISQ_E10value_typeET4_jRbjT5_SW_jjP12ihipStream_tbEUlT_E2_NS1_11comp_targetILNS1_3genE4ELNS1_11target_archE910ELNS1_3gpuE8ELNS1_3repE0EEENS1_30default_config_static_selectorELNS0_4arch9wavefront6targetE0EEEvSK_,"axG",@progbits,_ZN7rocprim17ROCPRIM_400000_NS6detail17trampoline_kernelINS0_14default_configENS1_36segmented_radix_sort_config_selectorIslEEZNS1_25segmented_radix_sort_implIS3_Lb1EPKsPsPKlPlN2at6native12_GLOBAL__N_18offset_tEEE10hipError_tPvRmT1_PNSt15iterator_traitsISK_E10value_typeET2_T3_PNSL_ISQ_E10value_typeET4_jRbjT5_SW_jjP12ihipStream_tbEUlT_E2_NS1_11comp_targetILNS1_3genE4ELNS1_11target_archE910ELNS1_3gpuE8ELNS1_3repE0EEENS1_30default_config_static_selectorELNS0_4arch9wavefront6targetE0EEEvSK_,comdat
	.globl	_ZN7rocprim17ROCPRIM_400000_NS6detail17trampoline_kernelINS0_14default_configENS1_36segmented_radix_sort_config_selectorIslEEZNS1_25segmented_radix_sort_implIS3_Lb1EPKsPsPKlPlN2at6native12_GLOBAL__N_18offset_tEEE10hipError_tPvRmT1_PNSt15iterator_traitsISK_E10value_typeET2_T3_PNSL_ISQ_E10value_typeET4_jRbjT5_SW_jjP12ihipStream_tbEUlT_E2_NS1_11comp_targetILNS1_3genE4ELNS1_11target_archE910ELNS1_3gpuE8ELNS1_3repE0EEENS1_30default_config_static_selectorELNS0_4arch9wavefront6targetE0EEEvSK_ ; -- Begin function _ZN7rocprim17ROCPRIM_400000_NS6detail17trampoline_kernelINS0_14default_configENS1_36segmented_radix_sort_config_selectorIslEEZNS1_25segmented_radix_sort_implIS3_Lb1EPKsPsPKlPlN2at6native12_GLOBAL__N_18offset_tEEE10hipError_tPvRmT1_PNSt15iterator_traitsISK_E10value_typeET2_T3_PNSL_ISQ_E10value_typeET4_jRbjT5_SW_jjP12ihipStream_tbEUlT_E2_NS1_11comp_targetILNS1_3genE4ELNS1_11target_archE910ELNS1_3gpuE8ELNS1_3repE0EEENS1_30default_config_static_selectorELNS0_4arch9wavefront6targetE0EEEvSK_
	.p2align	8
	.type	_ZN7rocprim17ROCPRIM_400000_NS6detail17trampoline_kernelINS0_14default_configENS1_36segmented_radix_sort_config_selectorIslEEZNS1_25segmented_radix_sort_implIS3_Lb1EPKsPsPKlPlN2at6native12_GLOBAL__N_18offset_tEEE10hipError_tPvRmT1_PNSt15iterator_traitsISK_E10value_typeET2_T3_PNSL_ISQ_E10value_typeET4_jRbjT5_SW_jjP12ihipStream_tbEUlT_E2_NS1_11comp_targetILNS1_3genE4ELNS1_11target_archE910ELNS1_3gpuE8ELNS1_3repE0EEENS1_30default_config_static_selectorELNS0_4arch9wavefront6targetE0EEEvSK_,@function
_ZN7rocprim17ROCPRIM_400000_NS6detail17trampoline_kernelINS0_14default_configENS1_36segmented_radix_sort_config_selectorIslEEZNS1_25segmented_radix_sort_implIS3_Lb1EPKsPsPKlPlN2at6native12_GLOBAL__N_18offset_tEEE10hipError_tPvRmT1_PNSt15iterator_traitsISK_E10value_typeET2_T3_PNSL_ISQ_E10value_typeET4_jRbjT5_SW_jjP12ihipStream_tbEUlT_E2_NS1_11comp_targetILNS1_3genE4ELNS1_11target_archE910ELNS1_3gpuE8ELNS1_3repE0EEENS1_30default_config_static_selectorELNS0_4arch9wavefront6targetE0EEEvSK_: ; @_ZN7rocprim17ROCPRIM_400000_NS6detail17trampoline_kernelINS0_14default_configENS1_36segmented_radix_sort_config_selectorIslEEZNS1_25segmented_radix_sort_implIS3_Lb1EPKsPsPKlPlN2at6native12_GLOBAL__N_18offset_tEEE10hipError_tPvRmT1_PNSt15iterator_traitsISK_E10value_typeET2_T3_PNSL_ISQ_E10value_typeET4_jRbjT5_SW_jjP12ihipStream_tbEUlT_E2_NS1_11comp_targetILNS1_3genE4ELNS1_11target_archE910ELNS1_3gpuE8ELNS1_3repE0EEENS1_30default_config_static_selectorELNS0_4arch9wavefront6targetE0EEEvSK_
; %bb.0:
	.section	.rodata,"a",@progbits
	.p2align	6, 0x0
	.amdhsa_kernel _ZN7rocprim17ROCPRIM_400000_NS6detail17trampoline_kernelINS0_14default_configENS1_36segmented_radix_sort_config_selectorIslEEZNS1_25segmented_radix_sort_implIS3_Lb1EPKsPsPKlPlN2at6native12_GLOBAL__N_18offset_tEEE10hipError_tPvRmT1_PNSt15iterator_traitsISK_E10value_typeET2_T3_PNSL_ISQ_E10value_typeET4_jRbjT5_SW_jjP12ihipStream_tbEUlT_E2_NS1_11comp_targetILNS1_3genE4ELNS1_11target_archE910ELNS1_3gpuE8ELNS1_3repE0EEENS1_30default_config_static_selectorELNS0_4arch9wavefront6targetE0EEEvSK_
		.amdhsa_group_segment_fixed_size 0
		.amdhsa_private_segment_fixed_size 0
		.amdhsa_kernarg_size 80
		.amdhsa_user_sgpr_count 15
		.amdhsa_user_sgpr_dispatch_ptr 0
		.amdhsa_user_sgpr_queue_ptr 0
		.amdhsa_user_sgpr_kernarg_segment_ptr 1
		.amdhsa_user_sgpr_dispatch_id 0
		.amdhsa_user_sgpr_private_segment_size 0
		.amdhsa_wavefront_size32 1
		.amdhsa_uses_dynamic_stack 0
		.amdhsa_enable_private_segment 0
		.amdhsa_system_sgpr_workgroup_id_x 1
		.amdhsa_system_sgpr_workgroup_id_y 0
		.amdhsa_system_sgpr_workgroup_id_z 0
		.amdhsa_system_sgpr_workgroup_info 0
		.amdhsa_system_vgpr_workitem_id 0
		.amdhsa_next_free_vgpr 1
		.amdhsa_next_free_sgpr 1
		.amdhsa_reserve_vcc 0
		.amdhsa_float_round_mode_32 0
		.amdhsa_float_round_mode_16_64 0
		.amdhsa_float_denorm_mode_32 3
		.amdhsa_float_denorm_mode_16_64 3
		.amdhsa_dx10_clamp 1
		.amdhsa_ieee_mode 1
		.amdhsa_fp16_overflow 0
		.amdhsa_workgroup_processor_mode 1
		.amdhsa_memory_ordered 1
		.amdhsa_forward_progress 0
		.amdhsa_shared_vgpr_count 0
		.amdhsa_exception_fp_ieee_invalid_op 0
		.amdhsa_exception_fp_denorm_src 0
		.amdhsa_exception_fp_ieee_div_zero 0
		.amdhsa_exception_fp_ieee_overflow 0
		.amdhsa_exception_fp_ieee_underflow 0
		.amdhsa_exception_fp_ieee_inexact 0
		.amdhsa_exception_int_div_zero 0
	.end_amdhsa_kernel
	.section	.text._ZN7rocprim17ROCPRIM_400000_NS6detail17trampoline_kernelINS0_14default_configENS1_36segmented_radix_sort_config_selectorIslEEZNS1_25segmented_radix_sort_implIS3_Lb1EPKsPsPKlPlN2at6native12_GLOBAL__N_18offset_tEEE10hipError_tPvRmT1_PNSt15iterator_traitsISK_E10value_typeET2_T3_PNSL_ISQ_E10value_typeET4_jRbjT5_SW_jjP12ihipStream_tbEUlT_E2_NS1_11comp_targetILNS1_3genE4ELNS1_11target_archE910ELNS1_3gpuE8ELNS1_3repE0EEENS1_30default_config_static_selectorELNS0_4arch9wavefront6targetE0EEEvSK_,"axG",@progbits,_ZN7rocprim17ROCPRIM_400000_NS6detail17trampoline_kernelINS0_14default_configENS1_36segmented_radix_sort_config_selectorIslEEZNS1_25segmented_radix_sort_implIS3_Lb1EPKsPsPKlPlN2at6native12_GLOBAL__N_18offset_tEEE10hipError_tPvRmT1_PNSt15iterator_traitsISK_E10value_typeET2_T3_PNSL_ISQ_E10value_typeET4_jRbjT5_SW_jjP12ihipStream_tbEUlT_E2_NS1_11comp_targetILNS1_3genE4ELNS1_11target_archE910ELNS1_3gpuE8ELNS1_3repE0EEENS1_30default_config_static_selectorELNS0_4arch9wavefront6targetE0EEEvSK_,comdat
.Lfunc_end943:
	.size	_ZN7rocprim17ROCPRIM_400000_NS6detail17trampoline_kernelINS0_14default_configENS1_36segmented_radix_sort_config_selectorIslEEZNS1_25segmented_radix_sort_implIS3_Lb1EPKsPsPKlPlN2at6native12_GLOBAL__N_18offset_tEEE10hipError_tPvRmT1_PNSt15iterator_traitsISK_E10value_typeET2_T3_PNSL_ISQ_E10value_typeET4_jRbjT5_SW_jjP12ihipStream_tbEUlT_E2_NS1_11comp_targetILNS1_3genE4ELNS1_11target_archE910ELNS1_3gpuE8ELNS1_3repE0EEENS1_30default_config_static_selectorELNS0_4arch9wavefront6targetE0EEEvSK_, .Lfunc_end943-_ZN7rocprim17ROCPRIM_400000_NS6detail17trampoline_kernelINS0_14default_configENS1_36segmented_radix_sort_config_selectorIslEEZNS1_25segmented_radix_sort_implIS3_Lb1EPKsPsPKlPlN2at6native12_GLOBAL__N_18offset_tEEE10hipError_tPvRmT1_PNSt15iterator_traitsISK_E10value_typeET2_T3_PNSL_ISQ_E10value_typeET4_jRbjT5_SW_jjP12ihipStream_tbEUlT_E2_NS1_11comp_targetILNS1_3genE4ELNS1_11target_archE910ELNS1_3gpuE8ELNS1_3repE0EEENS1_30default_config_static_selectorELNS0_4arch9wavefront6targetE0EEEvSK_
                                        ; -- End function
	.section	.AMDGPU.csdata,"",@progbits
; Kernel info:
; codeLenInByte = 0
; NumSgprs: 0
; NumVgprs: 0
; ScratchSize: 0
; MemoryBound: 0
; FloatMode: 240
; IeeeMode: 1
; LDSByteSize: 0 bytes/workgroup (compile time only)
; SGPRBlocks: 0
; VGPRBlocks: 0
; NumSGPRsForWavesPerEU: 1
; NumVGPRsForWavesPerEU: 1
; Occupancy: 16
; WaveLimiterHint : 0
; COMPUTE_PGM_RSRC2:SCRATCH_EN: 0
; COMPUTE_PGM_RSRC2:USER_SGPR: 15
; COMPUTE_PGM_RSRC2:TRAP_HANDLER: 0
; COMPUTE_PGM_RSRC2:TGID_X_EN: 1
; COMPUTE_PGM_RSRC2:TGID_Y_EN: 0
; COMPUTE_PGM_RSRC2:TGID_Z_EN: 0
; COMPUTE_PGM_RSRC2:TIDIG_COMP_CNT: 0
	.section	.text._ZN7rocprim17ROCPRIM_400000_NS6detail17trampoline_kernelINS0_14default_configENS1_36segmented_radix_sort_config_selectorIslEEZNS1_25segmented_radix_sort_implIS3_Lb1EPKsPsPKlPlN2at6native12_GLOBAL__N_18offset_tEEE10hipError_tPvRmT1_PNSt15iterator_traitsISK_E10value_typeET2_T3_PNSL_ISQ_E10value_typeET4_jRbjT5_SW_jjP12ihipStream_tbEUlT_E2_NS1_11comp_targetILNS1_3genE3ELNS1_11target_archE908ELNS1_3gpuE7ELNS1_3repE0EEENS1_30default_config_static_selectorELNS0_4arch9wavefront6targetE0EEEvSK_,"axG",@progbits,_ZN7rocprim17ROCPRIM_400000_NS6detail17trampoline_kernelINS0_14default_configENS1_36segmented_radix_sort_config_selectorIslEEZNS1_25segmented_radix_sort_implIS3_Lb1EPKsPsPKlPlN2at6native12_GLOBAL__N_18offset_tEEE10hipError_tPvRmT1_PNSt15iterator_traitsISK_E10value_typeET2_T3_PNSL_ISQ_E10value_typeET4_jRbjT5_SW_jjP12ihipStream_tbEUlT_E2_NS1_11comp_targetILNS1_3genE3ELNS1_11target_archE908ELNS1_3gpuE7ELNS1_3repE0EEENS1_30default_config_static_selectorELNS0_4arch9wavefront6targetE0EEEvSK_,comdat
	.globl	_ZN7rocprim17ROCPRIM_400000_NS6detail17trampoline_kernelINS0_14default_configENS1_36segmented_radix_sort_config_selectorIslEEZNS1_25segmented_radix_sort_implIS3_Lb1EPKsPsPKlPlN2at6native12_GLOBAL__N_18offset_tEEE10hipError_tPvRmT1_PNSt15iterator_traitsISK_E10value_typeET2_T3_PNSL_ISQ_E10value_typeET4_jRbjT5_SW_jjP12ihipStream_tbEUlT_E2_NS1_11comp_targetILNS1_3genE3ELNS1_11target_archE908ELNS1_3gpuE7ELNS1_3repE0EEENS1_30default_config_static_selectorELNS0_4arch9wavefront6targetE0EEEvSK_ ; -- Begin function _ZN7rocprim17ROCPRIM_400000_NS6detail17trampoline_kernelINS0_14default_configENS1_36segmented_radix_sort_config_selectorIslEEZNS1_25segmented_radix_sort_implIS3_Lb1EPKsPsPKlPlN2at6native12_GLOBAL__N_18offset_tEEE10hipError_tPvRmT1_PNSt15iterator_traitsISK_E10value_typeET2_T3_PNSL_ISQ_E10value_typeET4_jRbjT5_SW_jjP12ihipStream_tbEUlT_E2_NS1_11comp_targetILNS1_3genE3ELNS1_11target_archE908ELNS1_3gpuE7ELNS1_3repE0EEENS1_30default_config_static_selectorELNS0_4arch9wavefront6targetE0EEEvSK_
	.p2align	8
	.type	_ZN7rocprim17ROCPRIM_400000_NS6detail17trampoline_kernelINS0_14default_configENS1_36segmented_radix_sort_config_selectorIslEEZNS1_25segmented_radix_sort_implIS3_Lb1EPKsPsPKlPlN2at6native12_GLOBAL__N_18offset_tEEE10hipError_tPvRmT1_PNSt15iterator_traitsISK_E10value_typeET2_T3_PNSL_ISQ_E10value_typeET4_jRbjT5_SW_jjP12ihipStream_tbEUlT_E2_NS1_11comp_targetILNS1_3genE3ELNS1_11target_archE908ELNS1_3gpuE7ELNS1_3repE0EEENS1_30default_config_static_selectorELNS0_4arch9wavefront6targetE0EEEvSK_,@function
_ZN7rocprim17ROCPRIM_400000_NS6detail17trampoline_kernelINS0_14default_configENS1_36segmented_radix_sort_config_selectorIslEEZNS1_25segmented_radix_sort_implIS3_Lb1EPKsPsPKlPlN2at6native12_GLOBAL__N_18offset_tEEE10hipError_tPvRmT1_PNSt15iterator_traitsISK_E10value_typeET2_T3_PNSL_ISQ_E10value_typeET4_jRbjT5_SW_jjP12ihipStream_tbEUlT_E2_NS1_11comp_targetILNS1_3genE3ELNS1_11target_archE908ELNS1_3gpuE7ELNS1_3repE0EEENS1_30default_config_static_selectorELNS0_4arch9wavefront6targetE0EEEvSK_: ; @_ZN7rocprim17ROCPRIM_400000_NS6detail17trampoline_kernelINS0_14default_configENS1_36segmented_radix_sort_config_selectorIslEEZNS1_25segmented_radix_sort_implIS3_Lb1EPKsPsPKlPlN2at6native12_GLOBAL__N_18offset_tEEE10hipError_tPvRmT1_PNSt15iterator_traitsISK_E10value_typeET2_T3_PNSL_ISQ_E10value_typeET4_jRbjT5_SW_jjP12ihipStream_tbEUlT_E2_NS1_11comp_targetILNS1_3genE3ELNS1_11target_archE908ELNS1_3gpuE7ELNS1_3repE0EEENS1_30default_config_static_selectorELNS0_4arch9wavefront6targetE0EEEvSK_
; %bb.0:
	.section	.rodata,"a",@progbits
	.p2align	6, 0x0
	.amdhsa_kernel _ZN7rocprim17ROCPRIM_400000_NS6detail17trampoline_kernelINS0_14default_configENS1_36segmented_radix_sort_config_selectorIslEEZNS1_25segmented_radix_sort_implIS3_Lb1EPKsPsPKlPlN2at6native12_GLOBAL__N_18offset_tEEE10hipError_tPvRmT1_PNSt15iterator_traitsISK_E10value_typeET2_T3_PNSL_ISQ_E10value_typeET4_jRbjT5_SW_jjP12ihipStream_tbEUlT_E2_NS1_11comp_targetILNS1_3genE3ELNS1_11target_archE908ELNS1_3gpuE7ELNS1_3repE0EEENS1_30default_config_static_selectorELNS0_4arch9wavefront6targetE0EEEvSK_
		.amdhsa_group_segment_fixed_size 0
		.amdhsa_private_segment_fixed_size 0
		.amdhsa_kernarg_size 80
		.amdhsa_user_sgpr_count 15
		.amdhsa_user_sgpr_dispatch_ptr 0
		.amdhsa_user_sgpr_queue_ptr 0
		.amdhsa_user_sgpr_kernarg_segment_ptr 1
		.amdhsa_user_sgpr_dispatch_id 0
		.amdhsa_user_sgpr_private_segment_size 0
		.amdhsa_wavefront_size32 1
		.amdhsa_uses_dynamic_stack 0
		.amdhsa_enable_private_segment 0
		.amdhsa_system_sgpr_workgroup_id_x 1
		.amdhsa_system_sgpr_workgroup_id_y 0
		.amdhsa_system_sgpr_workgroup_id_z 0
		.amdhsa_system_sgpr_workgroup_info 0
		.amdhsa_system_vgpr_workitem_id 0
		.amdhsa_next_free_vgpr 1
		.amdhsa_next_free_sgpr 1
		.amdhsa_reserve_vcc 0
		.amdhsa_float_round_mode_32 0
		.amdhsa_float_round_mode_16_64 0
		.amdhsa_float_denorm_mode_32 3
		.amdhsa_float_denorm_mode_16_64 3
		.amdhsa_dx10_clamp 1
		.amdhsa_ieee_mode 1
		.amdhsa_fp16_overflow 0
		.amdhsa_workgroup_processor_mode 1
		.amdhsa_memory_ordered 1
		.amdhsa_forward_progress 0
		.amdhsa_shared_vgpr_count 0
		.amdhsa_exception_fp_ieee_invalid_op 0
		.amdhsa_exception_fp_denorm_src 0
		.amdhsa_exception_fp_ieee_div_zero 0
		.amdhsa_exception_fp_ieee_overflow 0
		.amdhsa_exception_fp_ieee_underflow 0
		.amdhsa_exception_fp_ieee_inexact 0
		.amdhsa_exception_int_div_zero 0
	.end_amdhsa_kernel
	.section	.text._ZN7rocprim17ROCPRIM_400000_NS6detail17trampoline_kernelINS0_14default_configENS1_36segmented_radix_sort_config_selectorIslEEZNS1_25segmented_radix_sort_implIS3_Lb1EPKsPsPKlPlN2at6native12_GLOBAL__N_18offset_tEEE10hipError_tPvRmT1_PNSt15iterator_traitsISK_E10value_typeET2_T3_PNSL_ISQ_E10value_typeET4_jRbjT5_SW_jjP12ihipStream_tbEUlT_E2_NS1_11comp_targetILNS1_3genE3ELNS1_11target_archE908ELNS1_3gpuE7ELNS1_3repE0EEENS1_30default_config_static_selectorELNS0_4arch9wavefront6targetE0EEEvSK_,"axG",@progbits,_ZN7rocprim17ROCPRIM_400000_NS6detail17trampoline_kernelINS0_14default_configENS1_36segmented_radix_sort_config_selectorIslEEZNS1_25segmented_radix_sort_implIS3_Lb1EPKsPsPKlPlN2at6native12_GLOBAL__N_18offset_tEEE10hipError_tPvRmT1_PNSt15iterator_traitsISK_E10value_typeET2_T3_PNSL_ISQ_E10value_typeET4_jRbjT5_SW_jjP12ihipStream_tbEUlT_E2_NS1_11comp_targetILNS1_3genE3ELNS1_11target_archE908ELNS1_3gpuE7ELNS1_3repE0EEENS1_30default_config_static_selectorELNS0_4arch9wavefront6targetE0EEEvSK_,comdat
.Lfunc_end944:
	.size	_ZN7rocprim17ROCPRIM_400000_NS6detail17trampoline_kernelINS0_14default_configENS1_36segmented_radix_sort_config_selectorIslEEZNS1_25segmented_radix_sort_implIS3_Lb1EPKsPsPKlPlN2at6native12_GLOBAL__N_18offset_tEEE10hipError_tPvRmT1_PNSt15iterator_traitsISK_E10value_typeET2_T3_PNSL_ISQ_E10value_typeET4_jRbjT5_SW_jjP12ihipStream_tbEUlT_E2_NS1_11comp_targetILNS1_3genE3ELNS1_11target_archE908ELNS1_3gpuE7ELNS1_3repE0EEENS1_30default_config_static_selectorELNS0_4arch9wavefront6targetE0EEEvSK_, .Lfunc_end944-_ZN7rocprim17ROCPRIM_400000_NS6detail17trampoline_kernelINS0_14default_configENS1_36segmented_radix_sort_config_selectorIslEEZNS1_25segmented_radix_sort_implIS3_Lb1EPKsPsPKlPlN2at6native12_GLOBAL__N_18offset_tEEE10hipError_tPvRmT1_PNSt15iterator_traitsISK_E10value_typeET2_T3_PNSL_ISQ_E10value_typeET4_jRbjT5_SW_jjP12ihipStream_tbEUlT_E2_NS1_11comp_targetILNS1_3genE3ELNS1_11target_archE908ELNS1_3gpuE7ELNS1_3repE0EEENS1_30default_config_static_selectorELNS0_4arch9wavefront6targetE0EEEvSK_
                                        ; -- End function
	.section	.AMDGPU.csdata,"",@progbits
; Kernel info:
; codeLenInByte = 0
; NumSgprs: 0
; NumVgprs: 0
; ScratchSize: 0
; MemoryBound: 0
; FloatMode: 240
; IeeeMode: 1
; LDSByteSize: 0 bytes/workgroup (compile time only)
; SGPRBlocks: 0
; VGPRBlocks: 0
; NumSGPRsForWavesPerEU: 1
; NumVGPRsForWavesPerEU: 1
; Occupancy: 16
; WaveLimiterHint : 0
; COMPUTE_PGM_RSRC2:SCRATCH_EN: 0
; COMPUTE_PGM_RSRC2:USER_SGPR: 15
; COMPUTE_PGM_RSRC2:TRAP_HANDLER: 0
; COMPUTE_PGM_RSRC2:TGID_X_EN: 1
; COMPUTE_PGM_RSRC2:TGID_Y_EN: 0
; COMPUTE_PGM_RSRC2:TGID_Z_EN: 0
; COMPUTE_PGM_RSRC2:TIDIG_COMP_CNT: 0
	.section	.text._ZN7rocprim17ROCPRIM_400000_NS6detail17trampoline_kernelINS0_14default_configENS1_36segmented_radix_sort_config_selectorIslEEZNS1_25segmented_radix_sort_implIS3_Lb1EPKsPsPKlPlN2at6native12_GLOBAL__N_18offset_tEEE10hipError_tPvRmT1_PNSt15iterator_traitsISK_E10value_typeET2_T3_PNSL_ISQ_E10value_typeET4_jRbjT5_SW_jjP12ihipStream_tbEUlT_E2_NS1_11comp_targetILNS1_3genE2ELNS1_11target_archE906ELNS1_3gpuE6ELNS1_3repE0EEENS1_30default_config_static_selectorELNS0_4arch9wavefront6targetE0EEEvSK_,"axG",@progbits,_ZN7rocprim17ROCPRIM_400000_NS6detail17trampoline_kernelINS0_14default_configENS1_36segmented_radix_sort_config_selectorIslEEZNS1_25segmented_radix_sort_implIS3_Lb1EPKsPsPKlPlN2at6native12_GLOBAL__N_18offset_tEEE10hipError_tPvRmT1_PNSt15iterator_traitsISK_E10value_typeET2_T3_PNSL_ISQ_E10value_typeET4_jRbjT5_SW_jjP12ihipStream_tbEUlT_E2_NS1_11comp_targetILNS1_3genE2ELNS1_11target_archE906ELNS1_3gpuE6ELNS1_3repE0EEENS1_30default_config_static_selectorELNS0_4arch9wavefront6targetE0EEEvSK_,comdat
	.globl	_ZN7rocprim17ROCPRIM_400000_NS6detail17trampoline_kernelINS0_14default_configENS1_36segmented_radix_sort_config_selectorIslEEZNS1_25segmented_radix_sort_implIS3_Lb1EPKsPsPKlPlN2at6native12_GLOBAL__N_18offset_tEEE10hipError_tPvRmT1_PNSt15iterator_traitsISK_E10value_typeET2_T3_PNSL_ISQ_E10value_typeET4_jRbjT5_SW_jjP12ihipStream_tbEUlT_E2_NS1_11comp_targetILNS1_3genE2ELNS1_11target_archE906ELNS1_3gpuE6ELNS1_3repE0EEENS1_30default_config_static_selectorELNS0_4arch9wavefront6targetE0EEEvSK_ ; -- Begin function _ZN7rocprim17ROCPRIM_400000_NS6detail17trampoline_kernelINS0_14default_configENS1_36segmented_radix_sort_config_selectorIslEEZNS1_25segmented_radix_sort_implIS3_Lb1EPKsPsPKlPlN2at6native12_GLOBAL__N_18offset_tEEE10hipError_tPvRmT1_PNSt15iterator_traitsISK_E10value_typeET2_T3_PNSL_ISQ_E10value_typeET4_jRbjT5_SW_jjP12ihipStream_tbEUlT_E2_NS1_11comp_targetILNS1_3genE2ELNS1_11target_archE906ELNS1_3gpuE6ELNS1_3repE0EEENS1_30default_config_static_selectorELNS0_4arch9wavefront6targetE0EEEvSK_
	.p2align	8
	.type	_ZN7rocprim17ROCPRIM_400000_NS6detail17trampoline_kernelINS0_14default_configENS1_36segmented_radix_sort_config_selectorIslEEZNS1_25segmented_radix_sort_implIS3_Lb1EPKsPsPKlPlN2at6native12_GLOBAL__N_18offset_tEEE10hipError_tPvRmT1_PNSt15iterator_traitsISK_E10value_typeET2_T3_PNSL_ISQ_E10value_typeET4_jRbjT5_SW_jjP12ihipStream_tbEUlT_E2_NS1_11comp_targetILNS1_3genE2ELNS1_11target_archE906ELNS1_3gpuE6ELNS1_3repE0EEENS1_30default_config_static_selectorELNS0_4arch9wavefront6targetE0EEEvSK_,@function
_ZN7rocprim17ROCPRIM_400000_NS6detail17trampoline_kernelINS0_14default_configENS1_36segmented_radix_sort_config_selectorIslEEZNS1_25segmented_radix_sort_implIS3_Lb1EPKsPsPKlPlN2at6native12_GLOBAL__N_18offset_tEEE10hipError_tPvRmT1_PNSt15iterator_traitsISK_E10value_typeET2_T3_PNSL_ISQ_E10value_typeET4_jRbjT5_SW_jjP12ihipStream_tbEUlT_E2_NS1_11comp_targetILNS1_3genE2ELNS1_11target_archE906ELNS1_3gpuE6ELNS1_3repE0EEENS1_30default_config_static_selectorELNS0_4arch9wavefront6targetE0EEEvSK_: ; @_ZN7rocprim17ROCPRIM_400000_NS6detail17trampoline_kernelINS0_14default_configENS1_36segmented_radix_sort_config_selectorIslEEZNS1_25segmented_radix_sort_implIS3_Lb1EPKsPsPKlPlN2at6native12_GLOBAL__N_18offset_tEEE10hipError_tPvRmT1_PNSt15iterator_traitsISK_E10value_typeET2_T3_PNSL_ISQ_E10value_typeET4_jRbjT5_SW_jjP12ihipStream_tbEUlT_E2_NS1_11comp_targetILNS1_3genE2ELNS1_11target_archE906ELNS1_3gpuE6ELNS1_3repE0EEENS1_30default_config_static_selectorELNS0_4arch9wavefront6targetE0EEEvSK_
; %bb.0:
	.section	.rodata,"a",@progbits
	.p2align	6, 0x0
	.amdhsa_kernel _ZN7rocprim17ROCPRIM_400000_NS6detail17trampoline_kernelINS0_14default_configENS1_36segmented_radix_sort_config_selectorIslEEZNS1_25segmented_radix_sort_implIS3_Lb1EPKsPsPKlPlN2at6native12_GLOBAL__N_18offset_tEEE10hipError_tPvRmT1_PNSt15iterator_traitsISK_E10value_typeET2_T3_PNSL_ISQ_E10value_typeET4_jRbjT5_SW_jjP12ihipStream_tbEUlT_E2_NS1_11comp_targetILNS1_3genE2ELNS1_11target_archE906ELNS1_3gpuE6ELNS1_3repE0EEENS1_30default_config_static_selectorELNS0_4arch9wavefront6targetE0EEEvSK_
		.amdhsa_group_segment_fixed_size 0
		.amdhsa_private_segment_fixed_size 0
		.amdhsa_kernarg_size 80
		.amdhsa_user_sgpr_count 15
		.amdhsa_user_sgpr_dispatch_ptr 0
		.amdhsa_user_sgpr_queue_ptr 0
		.amdhsa_user_sgpr_kernarg_segment_ptr 1
		.amdhsa_user_sgpr_dispatch_id 0
		.amdhsa_user_sgpr_private_segment_size 0
		.amdhsa_wavefront_size32 1
		.amdhsa_uses_dynamic_stack 0
		.amdhsa_enable_private_segment 0
		.amdhsa_system_sgpr_workgroup_id_x 1
		.amdhsa_system_sgpr_workgroup_id_y 0
		.amdhsa_system_sgpr_workgroup_id_z 0
		.amdhsa_system_sgpr_workgroup_info 0
		.amdhsa_system_vgpr_workitem_id 0
		.amdhsa_next_free_vgpr 1
		.amdhsa_next_free_sgpr 1
		.amdhsa_reserve_vcc 0
		.amdhsa_float_round_mode_32 0
		.amdhsa_float_round_mode_16_64 0
		.amdhsa_float_denorm_mode_32 3
		.amdhsa_float_denorm_mode_16_64 3
		.amdhsa_dx10_clamp 1
		.amdhsa_ieee_mode 1
		.amdhsa_fp16_overflow 0
		.amdhsa_workgroup_processor_mode 1
		.amdhsa_memory_ordered 1
		.amdhsa_forward_progress 0
		.amdhsa_shared_vgpr_count 0
		.amdhsa_exception_fp_ieee_invalid_op 0
		.amdhsa_exception_fp_denorm_src 0
		.amdhsa_exception_fp_ieee_div_zero 0
		.amdhsa_exception_fp_ieee_overflow 0
		.amdhsa_exception_fp_ieee_underflow 0
		.amdhsa_exception_fp_ieee_inexact 0
		.amdhsa_exception_int_div_zero 0
	.end_amdhsa_kernel
	.section	.text._ZN7rocprim17ROCPRIM_400000_NS6detail17trampoline_kernelINS0_14default_configENS1_36segmented_radix_sort_config_selectorIslEEZNS1_25segmented_radix_sort_implIS3_Lb1EPKsPsPKlPlN2at6native12_GLOBAL__N_18offset_tEEE10hipError_tPvRmT1_PNSt15iterator_traitsISK_E10value_typeET2_T3_PNSL_ISQ_E10value_typeET4_jRbjT5_SW_jjP12ihipStream_tbEUlT_E2_NS1_11comp_targetILNS1_3genE2ELNS1_11target_archE906ELNS1_3gpuE6ELNS1_3repE0EEENS1_30default_config_static_selectorELNS0_4arch9wavefront6targetE0EEEvSK_,"axG",@progbits,_ZN7rocprim17ROCPRIM_400000_NS6detail17trampoline_kernelINS0_14default_configENS1_36segmented_radix_sort_config_selectorIslEEZNS1_25segmented_radix_sort_implIS3_Lb1EPKsPsPKlPlN2at6native12_GLOBAL__N_18offset_tEEE10hipError_tPvRmT1_PNSt15iterator_traitsISK_E10value_typeET2_T3_PNSL_ISQ_E10value_typeET4_jRbjT5_SW_jjP12ihipStream_tbEUlT_E2_NS1_11comp_targetILNS1_3genE2ELNS1_11target_archE906ELNS1_3gpuE6ELNS1_3repE0EEENS1_30default_config_static_selectorELNS0_4arch9wavefront6targetE0EEEvSK_,comdat
.Lfunc_end945:
	.size	_ZN7rocprim17ROCPRIM_400000_NS6detail17trampoline_kernelINS0_14default_configENS1_36segmented_radix_sort_config_selectorIslEEZNS1_25segmented_radix_sort_implIS3_Lb1EPKsPsPKlPlN2at6native12_GLOBAL__N_18offset_tEEE10hipError_tPvRmT1_PNSt15iterator_traitsISK_E10value_typeET2_T3_PNSL_ISQ_E10value_typeET4_jRbjT5_SW_jjP12ihipStream_tbEUlT_E2_NS1_11comp_targetILNS1_3genE2ELNS1_11target_archE906ELNS1_3gpuE6ELNS1_3repE0EEENS1_30default_config_static_selectorELNS0_4arch9wavefront6targetE0EEEvSK_, .Lfunc_end945-_ZN7rocprim17ROCPRIM_400000_NS6detail17trampoline_kernelINS0_14default_configENS1_36segmented_radix_sort_config_selectorIslEEZNS1_25segmented_radix_sort_implIS3_Lb1EPKsPsPKlPlN2at6native12_GLOBAL__N_18offset_tEEE10hipError_tPvRmT1_PNSt15iterator_traitsISK_E10value_typeET2_T3_PNSL_ISQ_E10value_typeET4_jRbjT5_SW_jjP12ihipStream_tbEUlT_E2_NS1_11comp_targetILNS1_3genE2ELNS1_11target_archE906ELNS1_3gpuE6ELNS1_3repE0EEENS1_30default_config_static_selectorELNS0_4arch9wavefront6targetE0EEEvSK_
                                        ; -- End function
	.section	.AMDGPU.csdata,"",@progbits
; Kernel info:
; codeLenInByte = 0
; NumSgprs: 0
; NumVgprs: 0
; ScratchSize: 0
; MemoryBound: 0
; FloatMode: 240
; IeeeMode: 1
; LDSByteSize: 0 bytes/workgroup (compile time only)
; SGPRBlocks: 0
; VGPRBlocks: 0
; NumSGPRsForWavesPerEU: 1
; NumVGPRsForWavesPerEU: 1
; Occupancy: 16
; WaveLimiterHint : 0
; COMPUTE_PGM_RSRC2:SCRATCH_EN: 0
; COMPUTE_PGM_RSRC2:USER_SGPR: 15
; COMPUTE_PGM_RSRC2:TRAP_HANDLER: 0
; COMPUTE_PGM_RSRC2:TGID_X_EN: 1
; COMPUTE_PGM_RSRC2:TGID_Y_EN: 0
; COMPUTE_PGM_RSRC2:TGID_Z_EN: 0
; COMPUTE_PGM_RSRC2:TIDIG_COMP_CNT: 0
	.section	.text._ZN7rocprim17ROCPRIM_400000_NS6detail17trampoline_kernelINS0_14default_configENS1_36segmented_radix_sort_config_selectorIslEEZNS1_25segmented_radix_sort_implIS3_Lb1EPKsPsPKlPlN2at6native12_GLOBAL__N_18offset_tEEE10hipError_tPvRmT1_PNSt15iterator_traitsISK_E10value_typeET2_T3_PNSL_ISQ_E10value_typeET4_jRbjT5_SW_jjP12ihipStream_tbEUlT_E2_NS1_11comp_targetILNS1_3genE10ELNS1_11target_archE1201ELNS1_3gpuE5ELNS1_3repE0EEENS1_30default_config_static_selectorELNS0_4arch9wavefront6targetE0EEEvSK_,"axG",@progbits,_ZN7rocprim17ROCPRIM_400000_NS6detail17trampoline_kernelINS0_14default_configENS1_36segmented_radix_sort_config_selectorIslEEZNS1_25segmented_radix_sort_implIS3_Lb1EPKsPsPKlPlN2at6native12_GLOBAL__N_18offset_tEEE10hipError_tPvRmT1_PNSt15iterator_traitsISK_E10value_typeET2_T3_PNSL_ISQ_E10value_typeET4_jRbjT5_SW_jjP12ihipStream_tbEUlT_E2_NS1_11comp_targetILNS1_3genE10ELNS1_11target_archE1201ELNS1_3gpuE5ELNS1_3repE0EEENS1_30default_config_static_selectorELNS0_4arch9wavefront6targetE0EEEvSK_,comdat
	.globl	_ZN7rocprim17ROCPRIM_400000_NS6detail17trampoline_kernelINS0_14default_configENS1_36segmented_radix_sort_config_selectorIslEEZNS1_25segmented_radix_sort_implIS3_Lb1EPKsPsPKlPlN2at6native12_GLOBAL__N_18offset_tEEE10hipError_tPvRmT1_PNSt15iterator_traitsISK_E10value_typeET2_T3_PNSL_ISQ_E10value_typeET4_jRbjT5_SW_jjP12ihipStream_tbEUlT_E2_NS1_11comp_targetILNS1_3genE10ELNS1_11target_archE1201ELNS1_3gpuE5ELNS1_3repE0EEENS1_30default_config_static_selectorELNS0_4arch9wavefront6targetE0EEEvSK_ ; -- Begin function _ZN7rocprim17ROCPRIM_400000_NS6detail17trampoline_kernelINS0_14default_configENS1_36segmented_radix_sort_config_selectorIslEEZNS1_25segmented_radix_sort_implIS3_Lb1EPKsPsPKlPlN2at6native12_GLOBAL__N_18offset_tEEE10hipError_tPvRmT1_PNSt15iterator_traitsISK_E10value_typeET2_T3_PNSL_ISQ_E10value_typeET4_jRbjT5_SW_jjP12ihipStream_tbEUlT_E2_NS1_11comp_targetILNS1_3genE10ELNS1_11target_archE1201ELNS1_3gpuE5ELNS1_3repE0EEENS1_30default_config_static_selectorELNS0_4arch9wavefront6targetE0EEEvSK_
	.p2align	8
	.type	_ZN7rocprim17ROCPRIM_400000_NS6detail17trampoline_kernelINS0_14default_configENS1_36segmented_radix_sort_config_selectorIslEEZNS1_25segmented_radix_sort_implIS3_Lb1EPKsPsPKlPlN2at6native12_GLOBAL__N_18offset_tEEE10hipError_tPvRmT1_PNSt15iterator_traitsISK_E10value_typeET2_T3_PNSL_ISQ_E10value_typeET4_jRbjT5_SW_jjP12ihipStream_tbEUlT_E2_NS1_11comp_targetILNS1_3genE10ELNS1_11target_archE1201ELNS1_3gpuE5ELNS1_3repE0EEENS1_30default_config_static_selectorELNS0_4arch9wavefront6targetE0EEEvSK_,@function
_ZN7rocprim17ROCPRIM_400000_NS6detail17trampoline_kernelINS0_14default_configENS1_36segmented_radix_sort_config_selectorIslEEZNS1_25segmented_radix_sort_implIS3_Lb1EPKsPsPKlPlN2at6native12_GLOBAL__N_18offset_tEEE10hipError_tPvRmT1_PNSt15iterator_traitsISK_E10value_typeET2_T3_PNSL_ISQ_E10value_typeET4_jRbjT5_SW_jjP12ihipStream_tbEUlT_E2_NS1_11comp_targetILNS1_3genE10ELNS1_11target_archE1201ELNS1_3gpuE5ELNS1_3repE0EEENS1_30default_config_static_selectorELNS0_4arch9wavefront6targetE0EEEvSK_: ; @_ZN7rocprim17ROCPRIM_400000_NS6detail17trampoline_kernelINS0_14default_configENS1_36segmented_radix_sort_config_selectorIslEEZNS1_25segmented_radix_sort_implIS3_Lb1EPKsPsPKlPlN2at6native12_GLOBAL__N_18offset_tEEE10hipError_tPvRmT1_PNSt15iterator_traitsISK_E10value_typeET2_T3_PNSL_ISQ_E10value_typeET4_jRbjT5_SW_jjP12ihipStream_tbEUlT_E2_NS1_11comp_targetILNS1_3genE10ELNS1_11target_archE1201ELNS1_3gpuE5ELNS1_3repE0EEENS1_30default_config_static_selectorELNS0_4arch9wavefront6targetE0EEEvSK_
; %bb.0:
	.section	.rodata,"a",@progbits
	.p2align	6, 0x0
	.amdhsa_kernel _ZN7rocprim17ROCPRIM_400000_NS6detail17trampoline_kernelINS0_14default_configENS1_36segmented_radix_sort_config_selectorIslEEZNS1_25segmented_radix_sort_implIS3_Lb1EPKsPsPKlPlN2at6native12_GLOBAL__N_18offset_tEEE10hipError_tPvRmT1_PNSt15iterator_traitsISK_E10value_typeET2_T3_PNSL_ISQ_E10value_typeET4_jRbjT5_SW_jjP12ihipStream_tbEUlT_E2_NS1_11comp_targetILNS1_3genE10ELNS1_11target_archE1201ELNS1_3gpuE5ELNS1_3repE0EEENS1_30default_config_static_selectorELNS0_4arch9wavefront6targetE0EEEvSK_
		.amdhsa_group_segment_fixed_size 0
		.amdhsa_private_segment_fixed_size 0
		.amdhsa_kernarg_size 80
		.amdhsa_user_sgpr_count 15
		.amdhsa_user_sgpr_dispatch_ptr 0
		.amdhsa_user_sgpr_queue_ptr 0
		.amdhsa_user_sgpr_kernarg_segment_ptr 1
		.amdhsa_user_sgpr_dispatch_id 0
		.amdhsa_user_sgpr_private_segment_size 0
		.amdhsa_wavefront_size32 1
		.amdhsa_uses_dynamic_stack 0
		.amdhsa_enable_private_segment 0
		.amdhsa_system_sgpr_workgroup_id_x 1
		.amdhsa_system_sgpr_workgroup_id_y 0
		.amdhsa_system_sgpr_workgroup_id_z 0
		.amdhsa_system_sgpr_workgroup_info 0
		.amdhsa_system_vgpr_workitem_id 0
		.amdhsa_next_free_vgpr 1
		.amdhsa_next_free_sgpr 1
		.amdhsa_reserve_vcc 0
		.amdhsa_float_round_mode_32 0
		.amdhsa_float_round_mode_16_64 0
		.amdhsa_float_denorm_mode_32 3
		.amdhsa_float_denorm_mode_16_64 3
		.amdhsa_dx10_clamp 1
		.amdhsa_ieee_mode 1
		.amdhsa_fp16_overflow 0
		.amdhsa_workgroup_processor_mode 1
		.amdhsa_memory_ordered 1
		.amdhsa_forward_progress 0
		.amdhsa_shared_vgpr_count 0
		.amdhsa_exception_fp_ieee_invalid_op 0
		.amdhsa_exception_fp_denorm_src 0
		.amdhsa_exception_fp_ieee_div_zero 0
		.amdhsa_exception_fp_ieee_overflow 0
		.amdhsa_exception_fp_ieee_underflow 0
		.amdhsa_exception_fp_ieee_inexact 0
		.amdhsa_exception_int_div_zero 0
	.end_amdhsa_kernel
	.section	.text._ZN7rocprim17ROCPRIM_400000_NS6detail17trampoline_kernelINS0_14default_configENS1_36segmented_radix_sort_config_selectorIslEEZNS1_25segmented_radix_sort_implIS3_Lb1EPKsPsPKlPlN2at6native12_GLOBAL__N_18offset_tEEE10hipError_tPvRmT1_PNSt15iterator_traitsISK_E10value_typeET2_T3_PNSL_ISQ_E10value_typeET4_jRbjT5_SW_jjP12ihipStream_tbEUlT_E2_NS1_11comp_targetILNS1_3genE10ELNS1_11target_archE1201ELNS1_3gpuE5ELNS1_3repE0EEENS1_30default_config_static_selectorELNS0_4arch9wavefront6targetE0EEEvSK_,"axG",@progbits,_ZN7rocprim17ROCPRIM_400000_NS6detail17trampoline_kernelINS0_14default_configENS1_36segmented_radix_sort_config_selectorIslEEZNS1_25segmented_radix_sort_implIS3_Lb1EPKsPsPKlPlN2at6native12_GLOBAL__N_18offset_tEEE10hipError_tPvRmT1_PNSt15iterator_traitsISK_E10value_typeET2_T3_PNSL_ISQ_E10value_typeET4_jRbjT5_SW_jjP12ihipStream_tbEUlT_E2_NS1_11comp_targetILNS1_3genE10ELNS1_11target_archE1201ELNS1_3gpuE5ELNS1_3repE0EEENS1_30default_config_static_selectorELNS0_4arch9wavefront6targetE0EEEvSK_,comdat
.Lfunc_end946:
	.size	_ZN7rocprim17ROCPRIM_400000_NS6detail17trampoline_kernelINS0_14default_configENS1_36segmented_radix_sort_config_selectorIslEEZNS1_25segmented_radix_sort_implIS3_Lb1EPKsPsPKlPlN2at6native12_GLOBAL__N_18offset_tEEE10hipError_tPvRmT1_PNSt15iterator_traitsISK_E10value_typeET2_T3_PNSL_ISQ_E10value_typeET4_jRbjT5_SW_jjP12ihipStream_tbEUlT_E2_NS1_11comp_targetILNS1_3genE10ELNS1_11target_archE1201ELNS1_3gpuE5ELNS1_3repE0EEENS1_30default_config_static_selectorELNS0_4arch9wavefront6targetE0EEEvSK_, .Lfunc_end946-_ZN7rocprim17ROCPRIM_400000_NS6detail17trampoline_kernelINS0_14default_configENS1_36segmented_radix_sort_config_selectorIslEEZNS1_25segmented_radix_sort_implIS3_Lb1EPKsPsPKlPlN2at6native12_GLOBAL__N_18offset_tEEE10hipError_tPvRmT1_PNSt15iterator_traitsISK_E10value_typeET2_T3_PNSL_ISQ_E10value_typeET4_jRbjT5_SW_jjP12ihipStream_tbEUlT_E2_NS1_11comp_targetILNS1_3genE10ELNS1_11target_archE1201ELNS1_3gpuE5ELNS1_3repE0EEENS1_30default_config_static_selectorELNS0_4arch9wavefront6targetE0EEEvSK_
                                        ; -- End function
	.section	.AMDGPU.csdata,"",@progbits
; Kernel info:
; codeLenInByte = 0
; NumSgprs: 0
; NumVgprs: 0
; ScratchSize: 0
; MemoryBound: 0
; FloatMode: 240
; IeeeMode: 1
; LDSByteSize: 0 bytes/workgroup (compile time only)
; SGPRBlocks: 0
; VGPRBlocks: 0
; NumSGPRsForWavesPerEU: 1
; NumVGPRsForWavesPerEU: 1
; Occupancy: 16
; WaveLimiterHint : 0
; COMPUTE_PGM_RSRC2:SCRATCH_EN: 0
; COMPUTE_PGM_RSRC2:USER_SGPR: 15
; COMPUTE_PGM_RSRC2:TRAP_HANDLER: 0
; COMPUTE_PGM_RSRC2:TGID_X_EN: 1
; COMPUTE_PGM_RSRC2:TGID_Y_EN: 0
; COMPUTE_PGM_RSRC2:TGID_Z_EN: 0
; COMPUTE_PGM_RSRC2:TIDIG_COMP_CNT: 0
	.section	.text._ZN7rocprim17ROCPRIM_400000_NS6detail17trampoline_kernelINS0_14default_configENS1_36segmented_radix_sort_config_selectorIslEEZNS1_25segmented_radix_sort_implIS3_Lb1EPKsPsPKlPlN2at6native12_GLOBAL__N_18offset_tEEE10hipError_tPvRmT1_PNSt15iterator_traitsISK_E10value_typeET2_T3_PNSL_ISQ_E10value_typeET4_jRbjT5_SW_jjP12ihipStream_tbEUlT_E2_NS1_11comp_targetILNS1_3genE10ELNS1_11target_archE1200ELNS1_3gpuE4ELNS1_3repE0EEENS1_30default_config_static_selectorELNS0_4arch9wavefront6targetE0EEEvSK_,"axG",@progbits,_ZN7rocprim17ROCPRIM_400000_NS6detail17trampoline_kernelINS0_14default_configENS1_36segmented_radix_sort_config_selectorIslEEZNS1_25segmented_radix_sort_implIS3_Lb1EPKsPsPKlPlN2at6native12_GLOBAL__N_18offset_tEEE10hipError_tPvRmT1_PNSt15iterator_traitsISK_E10value_typeET2_T3_PNSL_ISQ_E10value_typeET4_jRbjT5_SW_jjP12ihipStream_tbEUlT_E2_NS1_11comp_targetILNS1_3genE10ELNS1_11target_archE1200ELNS1_3gpuE4ELNS1_3repE0EEENS1_30default_config_static_selectorELNS0_4arch9wavefront6targetE0EEEvSK_,comdat
	.globl	_ZN7rocprim17ROCPRIM_400000_NS6detail17trampoline_kernelINS0_14default_configENS1_36segmented_radix_sort_config_selectorIslEEZNS1_25segmented_radix_sort_implIS3_Lb1EPKsPsPKlPlN2at6native12_GLOBAL__N_18offset_tEEE10hipError_tPvRmT1_PNSt15iterator_traitsISK_E10value_typeET2_T3_PNSL_ISQ_E10value_typeET4_jRbjT5_SW_jjP12ihipStream_tbEUlT_E2_NS1_11comp_targetILNS1_3genE10ELNS1_11target_archE1200ELNS1_3gpuE4ELNS1_3repE0EEENS1_30default_config_static_selectorELNS0_4arch9wavefront6targetE0EEEvSK_ ; -- Begin function _ZN7rocprim17ROCPRIM_400000_NS6detail17trampoline_kernelINS0_14default_configENS1_36segmented_radix_sort_config_selectorIslEEZNS1_25segmented_radix_sort_implIS3_Lb1EPKsPsPKlPlN2at6native12_GLOBAL__N_18offset_tEEE10hipError_tPvRmT1_PNSt15iterator_traitsISK_E10value_typeET2_T3_PNSL_ISQ_E10value_typeET4_jRbjT5_SW_jjP12ihipStream_tbEUlT_E2_NS1_11comp_targetILNS1_3genE10ELNS1_11target_archE1200ELNS1_3gpuE4ELNS1_3repE0EEENS1_30default_config_static_selectorELNS0_4arch9wavefront6targetE0EEEvSK_
	.p2align	8
	.type	_ZN7rocprim17ROCPRIM_400000_NS6detail17trampoline_kernelINS0_14default_configENS1_36segmented_radix_sort_config_selectorIslEEZNS1_25segmented_radix_sort_implIS3_Lb1EPKsPsPKlPlN2at6native12_GLOBAL__N_18offset_tEEE10hipError_tPvRmT1_PNSt15iterator_traitsISK_E10value_typeET2_T3_PNSL_ISQ_E10value_typeET4_jRbjT5_SW_jjP12ihipStream_tbEUlT_E2_NS1_11comp_targetILNS1_3genE10ELNS1_11target_archE1200ELNS1_3gpuE4ELNS1_3repE0EEENS1_30default_config_static_selectorELNS0_4arch9wavefront6targetE0EEEvSK_,@function
_ZN7rocprim17ROCPRIM_400000_NS6detail17trampoline_kernelINS0_14default_configENS1_36segmented_radix_sort_config_selectorIslEEZNS1_25segmented_radix_sort_implIS3_Lb1EPKsPsPKlPlN2at6native12_GLOBAL__N_18offset_tEEE10hipError_tPvRmT1_PNSt15iterator_traitsISK_E10value_typeET2_T3_PNSL_ISQ_E10value_typeET4_jRbjT5_SW_jjP12ihipStream_tbEUlT_E2_NS1_11comp_targetILNS1_3genE10ELNS1_11target_archE1200ELNS1_3gpuE4ELNS1_3repE0EEENS1_30default_config_static_selectorELNS0_4arch9wavefront6targetE0EEEvSK_: ; @_ZN7rocprim17ROCPRIM_400000_NS6detail17trampoline_kernelINS0_14default_configENS1_36segmented_radix_sort_config_selectorIslEEZNS1_25segmented_radix_sort_implIS3_Lb1EPKsPsPKlPlN2at6native12_GLOBAL__N_18offset_tEEE10hipError_tPvRmT1_PNSt15iterator_traitsISK_E10value_typeET2_T3_PNSL_ISQ_E10value_typeET4_jRbjT5_SW_jjP12ihipStream_tbEUlT_E2_NS1_11comp_targetILNS1_3genE10ELNS1_11target_archE1200ELNS1_3gpuE4ELNS1_3repE0EEENS1_30default_config_static_selectorELNS0_4arch9wavefront6targetE0EEEvSK_
; %bb.0:
	.section	.rodata,"a",@progbits
	.p2align	6, 0x0
	.amdhsa_kernel _ZN7rocprim17ROCPRIM_400000_NS6detail17trampoline_kernelINS0_14default_configENS1_36segmented_radix_sort_config_selectorIslEEZNS1_25segmented_radix_sort_implIS3_Lb1EPKsPsPKlPlN2at6native12_GLOBAL__N_18offset_tEEE10hipError_tPvRmT1_PNSt15iterator_traitsISK_E10value_typeET2_T3_PNSL_ISQ_E10value_typeET4_jRbjT5_SW_jjP12ihipStream_tbEUlT_E2_NS1_11comp_targetILNS1_3genE10ELNS1_11target_archE1200ELNS1_3gpuE4ELNS1_3repE0EEENS1_30default_config_static_selectorELNS0_4arch9wavefront6targetE0EEEvSK_
		.amdhsa_group_segment_fixed_size 0
		.amdhsa_private_segment_fixed_size 0
		.amdhsa_kernarg_size 80
		.amdhsa_user_sgpr_count 15
		.amdhsa_user_sgpr_dispatch_ptr 0
		.amdhsa_user_sgpr_queue_ptr 0
		.amdhsa_user_sgpr_kernarg_segment_ptr 1
		.amdhsa_user_sgpr_dispatch_id 0
		.amdhsa_user_sgpr_private_segment_size 0
		.amdhsa_wavefront_size32 1
		.amdhsa_uses_dynamic_stack 0
		.amdhsa_enable_private_segment 0
		.amdhsa_system_sgpr_workgroup_id_x 1
		.amdhsa_system_sgpr_workgroup_id_y 0
		.amdhsa_system_sgpr_workgroup_id_z 0
		.amdhsa_system_sgpr_workgroup_info 0
		.amdhsa_system_vgpr_workitem_id 0
		.amdhsa_next_free_vgpr 1
		.amdhsa_next_free_sgpr 1
		.amdhsa_reserve_vcc 0
		.amdhsa_float_round_mode_32 0
		.amdhsa_float_round_mode_16_64 0
		.amdhsa_float_denorm_mode_32 3
		.amdhsa_float_denorm_mode_16_64 3
		.amdhsa_dx10_clamp 1
		.amdhsa_ieee_mode 1
		.amdhsa_fp16_overflow 0
		.amdhsa_workgroup_processor_mode 1
		.amdhsa_memory_ordered 1
		.amdhsa_forward_progress 0
		.amdhsa_shared_vgpr_count 0
		.amdhsa_exception_fp_ieee_invalid_op 0
		.amdhsa_exception_fp_denorm_src 0
		.amdhsa_exception_fp_ieee_div_zero 0
		.amdhsa_exception_fp_ieee_overflow 0
		.amdhsa_exception_fp_ieee_underflow 0
		.amdhsa_exception_fp_ieee_inexact 0
		.amdhsa_exception_int_div_zero 0
	.end_amdhsa_kernel
	.section	.text._ZN7rocprim17ROCPRIM_400000_NS6detail17trampoline_kernelINS0_14default_configENS1_36segmented_radix_sort_config_selectorIslEEZNS1_25segmented_radix_sort_implIS3_Lb1EPKsPsPKlPlN2at6native12_GLOBAL__N_18offset_tEEE10hipError_tPvRmT1_PNSt15iterator_traitsISK_E10value_typeET2_T3_PNSL_ISQ_E10value_typeET4_jRbjT5_SW_jjP12ihipStream_tbEUlT_E2_NS1_11comp_targetILNS1_3genE10ELNS1_11target_archE1200ELNS1_3gpuE4ELNS1_3repE0EEENS1_30default_config_static_selectorELNS0_4arch9wavefront6targetE0EEEvSK_,"axG",@progbits,_ZN7rocprim17ROCPRIM_400000_NS6detail17trampoline_kernelINS0_14default_configENS1_36segmented_radix_sort_config_selectorIslEEZNS1_25segmented_radix_sort_implIS3_Lb1EPKsPsPKlPlN2at6native12_GLOBAL__N_18offset_tEEE10hipError_tPvRmT1_PNSt15iterator_traitsISK_E10value_typeET2_T3_PNSL_ISQ_E10value_typeET4_jRbjT5_SW_jjP12ihipStream_tbEUlT_E2_NS1_11comp_targetILNS1_3genE10ELNS1_11target_archE1200ELNS1_3gpuE4ELNS1_3repE0EEENS1_30default_config_static_selectorELNS0_4arch9wavefront6targetE0EEEvSK_,comdat
.Lfunc_end947:
	.size	_ZN7rocprim17ROCPRIM_400000_NS6detail17trampoline_kernelINS0_14default_configENS1_36segmented_radix_sort_config_selectorIslEEZNS1_25segmented_radix_sort_implIS3_Lb1EPKsPsPKlPlN2at6native12_GLOBAL__N_18offset_tEEE10hipError_tPvRmT1_PNSt15iterator_traitsISK_E10value_typeET2_T3_PNSL_ISQ_E10value_typeET4_jRbjT5_SW_jjP12ihipStream_tbEUlT_E2_NS1_11comp_targetILNS1_3genE10ELNS1_11target_archE1200ELNS1_3gpuE4ELNS1_3repE0EEENS1_30default_config_static_selectorELNS0_4arch9wavefront6targetE0EEEvSK_, .Lfunc_end947-_ZN7rocprim17ROCPRIM_400000_NS6detail17trampoline_kernelINS0_14default_configENS1_36segmented_radix_sort_config_selectorIslEEZNS1_25segmented_radix_sort_implIS3_Lb1EPKsPsPKlPlN2at6native12_GLOBAL__N_18offset_tEEE10hipError_tPvRmT1_PNSt15iterator_traitsISK_E10value_typeET2_T3_PNSL_ISQ_E10value_typeET4_jRbjT5_SW_jjP12ihipStream_tbEUlT_E2_NS1_11comp_targetILNS1_3genE10ELNS1_11target_archE1200ELNS1_3gpuE4ELNS1_3repE0EEENS1_30default_config_static_selectorELNS0_4arch9wavefront6targetE0EEEvSK_
                                        ; -- End function
	.section	.AMDGPU.csdata,"",@progbits
; Kernel info:
; codeLenInByte = 0
; NumSgprs: 0
; NumVgprs: 0
; ScratchSize: 0
; MemoryBound: 0
; FloatMode: 240
; IeeeMode: 1
; LDSByteSize: 0 bytes/workgroup (compile time only)
; SGPRBlocks: 0
; VGPRBlocks: 0
; NumSGPRsForWavesPerEU: 1
; NumVGPRsForWavesPerEU: 1
; Occupancy: 16
; WaveLimiterHint : 0
; COMPUTE_PGM_RSRC2:SCRATCH_EN: 0
; COMPUTE_PGM_RSRC2:USER_SGPR: 15
; COMPUTE_PGM_RSRC2:TRAP_HANDLER: 0
; COMPUTE_PGM_RSRC2:TGID_X_EN: 1
; COMPUTE_PGM_RSRC2:TGID_Y_EN: 0
; COMPUTE_PGM_RSRC2:TGID_Z_EN: 0
; COMPUTE_PGM_RSRC2:TIDIG_COMP_CNT: 0
	.section	.text._ZN7rocprim17ROCPRIM_400000_NS6detail17trampoline_kernelINS0_14default_configENS1_36segmented_radix_sort_config_selectorIslEEZNS1_25segmented_radix_sort_implIS3_Lb1EPKsPsPKlPlN2at6native12_GLOBAL__N_18offset_tEEE10hipError_tPvRmT1_PNSt15iterator_traitsISK_E10value_typeET2_T3_PNSL_ISQ_E10value_typeET4_jRbjT5_SW_jjP12ihipStream_tbEUlT_E2_NS1_11comp_targetILNS1_3genE9ELNS1_11target_archE1100ELNS1_3gpuE3ELNS1_3repE0EEENS1_30default_config_static_selectorELNS0_4arch9wavefront6targetE0EEEvSK_,"axG",@progbits,_ZN7rocprim17ROCPRIM_400000_NS6detail17trampoline_kernelINS0_14default_configENS1_36segmented_radix_sort_config_selectorIslEEZNS1_25segmented_radix_sort_implIS3_Lb1EPKsPsPKlPlN2at6native12_GLOBAL__N_18offset_tEEE10hipError_tPvRmT1_PNSt15iterator_traitsISK_E10value_typeET2_T3_PNSL_ISQ_E10value_typeET4_jRbjT5_SW_jjP12ihipStream_tbEUlT_E2_NS1_11comp_targetILNS1_3genE9ELNS1_11target_archE1100ELNS1_3gpuE3ELNS1_3repE0EEENS1_30default_config_static_selectorELNS0_4arch9wavefront6targetE0EEEvSK_,comdat
	.globl	_ZN7rocprim17ROCPRIM_400000_NS6detail17trampoline_kernelINS0_14default_configENS1_36segmented_radix_sort_config_selectorIslEEZNS1_25segmented_radix_sort_implIS3_Lb1EPKsPsPKlPlN2at6native12_GLOBAL__N_18offset_tEEE10hipError_tPvRmT1_PNSt15iterator_traitsISK_E10value_typeET2_T3_PNSL_ISQ_E10value_typeET4_jRbjT5_SW_jjP12ihipStream_tbEUlT_E2_NS1_11comp_targetILNS1_3genE9ELNS1_11target_archE1100ELNS1_3gpuE3ELNS1_3repE0EEENS1_30default_config_static_selectorELNS0_4arch9wavefront6targetE0EEEvSK_ ; -- Begin function _ZN7rocprim17ROCPRIM_400000_NS6detail17trampoline_kernelINS0_14default_configENS1_36segmented_radix_sort_config_selectorIslEEZNS1_25segmented_radix_sort_implIS3_Lb1EPKsPsPKlPlN2at6native12_GLOBAL__N_18offset_tEEE10hipError_tPvRmT1_PNSt15iterator_traitsISK_E10value_typeET2_T3_PNSL_ISQ_E10value_typeET4_jRbjT5_SW_jjP12ihipStream_tbEUlT_E2_NS1_11comp_targetILNS1_3genE9ELNS1_11target_archE1100ELNS1_3gpuE3ELNS1_3repE0EEENS1_30default_config_static_selectorELNS0_4arch9wavefront6targetE0EEEvSK_
	.p2align	8
	.type	_ZN7rocprim17ROCPRIM_400000_NS6detail17trampoline_kernelINS0_14default_configENS1_36segmented_radix_sort_config_selectorIslEEZNS1_25segmented_radix_sort_implIS3_Lb1EPKsPsPKlPlN2at6native12_GLOBAL__N_18offset_tEEE10hipError_tPvRmT1_PNSt15iterator_traitsISK_E10value_typeET2_T3_PNSL_ISQ_E10value_typeET4_jRbjT5_SW_jjP12ihipStream_tbEUlT_E2_NS1_11comp_targetILNS1_3genE9ELNS1_11target_archE1100ELNS1_3gpuE3ELNS1_3repE0EEENS1_30default_config_static_selectorELNS0_4arch9wavefront6targetE0EEEvSK_,@function
_ZN7rocprim17ROCPRIM_400000_NS6detail17trampoline_kernelINS0_14default_configENS1_36segmented_radix_sort_config_selectorIslEEZNS1_25segmented_radix_sort_implIS3_Lb1EPKsPsPKlPlN2at6native12_GLOBAL__N_18offset_tEEE10hipError_tPvRmT1_PNSt15iterator_traitsISK_E10value_typeET2_T3_PNSL_ISQ_E10value_typeET4_jRbjT5_SW_jjP12ihipStream_tbEUlT_E2_NS1_11comp_targetILNS1_3genE9ELNS1_11target_archE1100ELNS1_3gpuE3ELNS1_3repE0EEENS1_30default_config_static_selectorELNS0_4arch9wavefront6targetE0EEEvSK_: ; @_ZN7rocprim17ROCPRIM_400000_NS6detail17trampoline_kernelINS0_14default_configENS1_36segmented_radix_sort_config_selectorIslEEZNS1_25segmented_radix_sort_implIS3_Lb1EPKsPsPKlPlN2at6native12_GLOBAL__N_18offset_tEEE10hipError_tPvRmT1_PNSt15iterator_traitsISK_E10value_typeET2_T3_PNSL_ISQ_E10value_typeET4_jRbjT5_SW_jjP12ihipStream_tbEUlT_E2_NS1_11comp_targetILNS1_3genE9ELNS1_11target_archE1100ELNS1_3gpuE3ELNS1_3repE0EEENS1_30default_config_static_selectorELNS0_4arch9wavefront6targetE0EEEvSK_
; %bb.0:
	s_load_b128 s[4:7], s[0:1], 0x34
	s_mov_b32 s32, 0
	s_waitcnt lgkmcnt(0)
	s_add_i32 s62, s5, s14
	s_add_i32 s63, s7, s14
	s_mul_i32 s62, s62, s4
	s_mul_i32 s63, s63, s6
	s_delay_alu instid0(SALU_CYCLE_1)
	s_cmp_le_u32 s63, s62
	s_cbranch_scc1 .LBB948_1198
; %bb.1:
	s_clause 0x3
	s_load_b32 s2, s[0:1], 0x30
	s_load_b128 s[52:55], s[0:1], 0x20
	s_load_b128 s[56:59], s[0:1], 0x44
	s_load_b256 s[36:43], s[0:1], 0x0
	s_waitcnt lgkmcnt(0)
	s_bitcmp1_b32 s2, 0
	s_mov_b32 s2, -1
	s_cselect_b32 s59, -1, 0
	s_sub_i32 s64, s63, s62
	s_delay_alu instid0(SALU_CYCLE_1)
	s_cmpk_lt_u32 s64, 0x1001
	s_cbranch_scc0 .LBB948_15
; %bb.2:
	s_cmp_lt_u32 s64, 33
	s_cbranch_scc0 .LBB948_9
; %bb.3:
	s_load_b32 s2, s[0:1], 0x5c
	v_bfe_u32 v1, v0, 10, 10
	v_bfe_u32 v2, v0, 20, 10
	s_mov_b32 s18, exec_lo
	s_waitcnt lgkmcnt(0)
	s_lshr_b32 s3, s2, 16
	s_and_b32 s2, s2, 0xffff
	v_mad_u32_u24 v4, v2, s3, v1
	v_and_b32_e32 v1, 0x3ff, v0
	s_delay_alu instid0(VALU_DEP_1) | instskip(NEXT) | instid1(VALU_DEP_1)
	v_mad_u64_u32 v[2:3], null, v4, s2, v[1:2]
	v_cmpx_gt_u32_e32 8, v2
	s_cbranch_execz .LBB948_8
; %bb.4:
	v_cndmask_b32_e64 v1, 0, 1, s59
	s_and_b32 s2, s56, 1
	s_delay_alu instid0(VALU_DEP_1) | instid1(SALU_CYCLE_1)
	v_cmp_ne_u32_e32 vcc_lo, s2, v1
	s_mov_b32 s2, -1
	s_cbranch_vccnz .LBB948_6
; %bb.5:
	s_mov_b64 s[2:3], src_shared_base
	v_mov_b32_e32 v31, v0
	v_dual_mov_b32 v40, v0 :: v_dual_mov_b32 v1, s37
	v_mov_b32_e32 v0, s36
	v_dual_mov_b32 v2, s40 :: v_dual_mov_b32 v3, s41
	v_dual_mov_b32 v4, s42 :: v_dual_mov_b32 v5, s43
	;; [unrolled: 1-line block ×6, first 2 shown]
	s_add_u32 s8, s0, 0x50
	s_addc_u32 s9, s1, 0
	s_mov_b32 s12, s14
	s_mov_b32 s13, s15
	s_getpc_b64 s[4:5]
	s_add_u32 s4, s4, _ZN7rocprim17ROCPRIM_400000_NS6detail26segmented_warp_sort_helperINS1_20WarpSortHelperConfigILj8ELj4ELj256EEEslLi256ELb1EvE4sortIPKsPsPKlPlEEvT_T0_T1_T2_jjjjRNS5_12storage_typeE@rel32@lo+4
	s_addc_u32 s5, s5, _ZN7rocprim17ROCPRIM_400000_NS6detail26segmented_warp_sort_helperINS1_20WarpSortHelperConfigILj8ELj4ELj256EEEslLi256ELb1EvE4sortIPKsPsPKlPlEEvT_T0_T1_T2_jjjjRNS5_12storage_typeE@rel32@hi+12
	s_mov_b64 s[16:17], s[0:1]
	s_mov_b32 s19, s14
	s_swappc_b64 s[30:31], s[4:5]
	v_mov_b32_e32 v0, v40
	s_mov_b32 s14, s19
	s_mov_b64 s[0:1], s[16:17]
	s_mov_b32 s2, 0
.LBB948_6:
	s_delay_alu instid0(SALU_CYCLE_1)
	s_and_not1_b32 vcc_lo, exec_lo, s2
	s_cbranch_vccnz .LBB948_8
; %bb.7:
	s_mov_b64 s[2:3], src_shared_base
	v_mov_b32_e32 v31, v0
	v_dual_mov_b32 v40, v0 :: v_dual_mov_b32 v1, s37
	v_mov_b32_e32 v0, s36
	v_dual_mov_b32 v2, s38 :: v_dual_mov_b32 v3, s39
	v_dual_mov_b32 v4, s42 :: v_dual_mov_b32 v5, s43
	;; [unrolled: 1-line block ×6, first 2 shown]
	s_add_u32 s8, s0, 0x50
	s_addc_u32 s9, s1, 0
	s_mov_b32 s12, s14
	s_mov_b32 s13, s15
	s_getpc_b64 s[4:5]
	s_add_u32 s4, s4, _ZN7rocprim17ROCPRIM_400000_NS6detail26segmented_warp_sort_helperINS1_20WarpSortHelperConfigILj8ELj4ELj256EEEslLi256ELb1EvE4sortIPKsPsPKlPlEEvT_T0_T1_T2_jjjjRNS5_12storage_typeE@rel32@lo+4
	s_addc_u32 s5, s5, _ZN7rocprim17ROCPRIM_400000_NS6detail26segmented_warp_sort_helperINS1_20WarpSortHelperConfigILj8ELj4ELj256EEEslLi256ELb1EvE4sortIPKsPsPKlPlEEvT_T0_T1_T2_jjjjRNS5_12storage_typeE@rel32@hi+12
	s_mov_b64 s[16:17], s[0:1]
	s_mov_b32 s19, s14
	s_swappc_b64 s[30:31], s[4:5]
	v_mov_b32_e32 v0, v40
	s_mov_b32 s14, s19
	s_mov_b64 s[0:1], s[16:17]
.LBB948_8:
	s_or_b32 exec_lo, exec_lo, s18
	s_mov_b32 s2, 0
.LBB948_9:
	s_delay_alu instid0(SALU_CYCLE_1)
	s_and_not1_b32 vcc_lo, exec_lo, s2
	s_cbranch_vccnz .LBB948_14
; %bb.10:
	v_cndmask_b32_e64 v1, 0, 1, s59
	s_and_b32 s2, s56, 1
	s_delay_alu instid0(VALU_DEP_1) | instid1(SALU_CYCLE_1)
	v_cmp_ne_u32_e32 vcc_lo, s2, v1
	s_mov_b32 s2, -1
	s_cbranch_vccnz .LBB948_12
; %bb.11:
	s_mov_b64 s[2:3], src_shared_base
	v_mov_b32_e32 v31, v0
	v_dual_mov_b32 v40, v0 :: v_dual_mov_b32 v1, s37
	v_mov_b32_e32 v0, s36
	v_dual_mov_b32 v2, s40 :: v_dual_mov_b32 v3, s41
	v_dual_mov_b32 v4, s42 :: v_dual_mov_b32 v5, s43
	;; [unrolled: 1-line block ×6, first 2 shown]
	s_add_u32 s8, s0, 0x50
	s_addc_u32 s9, s1, 0
	s_mov_b32 s12, s14
	s_mov_b32 s13, s15
	s_getpc_b64 s[4:5]
	s_add_u32 s4, s4, _ZN7rocprim17ROCPRIM_400000_NS6detail40segmented_radix_sort_single_block_helperIslLj256ELj16ELb1EE4sortIPKsPsPKlPlEEbT_T0_T1_T2_jjjjRNS3_12storage_typeE@rel32@lo+4
	s_addc_u32 s5, s5, _ZN7rocprim17ROCPRIM_400000_NS6detail40segmented_radix_sort_single_block_helperIslLj256ELj16ELb1EE4sortIPKsPsPKlPlEEbT_T0_T1_T2_jjjjRNS3_12storage_typeE@rel32@hi+12
	s_mov_b64 s[26:27], s[0:1]
	s_mov_b32 s28, s15
	s_mov_b32 s29, s14
	s_swappc_b64 s[30:31], s[4:5]
	v_mov_b32_e32 v0, v40
	s_mov_b32 s14, s29
	s_mov_b32 s15, s28
	s_mov_b64 s[0:1], s[26:27]
	s_mov_b32 s2, 0
.LBB948_12:
	s_delay_alu instid0(SALU_CYCLE_1)
	s_and_not1_b32 vcc_lo, exec_lo, s2
	s_cbranch_vccnz .LBB948_14
; %bb.13:
	s_mov_b64 s[2:3], src_shared_base
	v_mov_b32_e32 v31, v0
	v_dual_mov_b32 v40, v0 :: v_dual_mov_b32 v1, s37
	v_mov_b32_e32 v0, s36
	v_dual_mov_b32 v2, s38 :: v_dual_mov_b32 v3, s39
	v_dual_mov_b32 v4, s42 :: v_dual_mov_b32 v5, s43
	;; [unrolled: 1-line block ×6, first 2 shown]
	s_add_u32 s8, s0, 0x50
	s_addc_u32 s9, s1, 0
	s_mov_b32 s12, s14
	s_mov_b32 s13, s15
	s_getpc_b64 s[4:5]
	s_add_u32 s4, s4, _ZN7rocprim17ROCPRIM_400000_NS6detail40segmented_radix_sort_single_block_helperIslLj256ELj16ELb1EE4sortIPKsPsPKlPlEEbT_T0_T1_T2_jjjjRNS3_12storage_typeE@rel32@lo+4
	s_addc_u32 s5, s5, _ZN7rocprim17ROCPRIM_400000_NS6detail40segmented_radix_sort_single_block_helperIslLj256ELj16ELb1EE4sortIPKsPsPKlPlEEbT_T0_T1_T2_jjjjRNS3_12storage_typeE@rel32@hi+12
	s_mov_b64 s[26:27], s[0:1]
	s_mov_b32 s29, s15
	s_mov_b32 s28, s14
	s_swappc_b64 s[30:31], s[4:5]
	v_mov_b32_e32 v0, v40
	s_mov_b32 s14, s28
	s_mov_b32 s15, s29
	s_mov_b64 s[0:1], s[26:27]
.LBB948_14:
	s_mov_b32 s2, 0
.LBB948_15:
	s_delay_alu instid0(SALU_CYCLE_1)
	s_and_not1_b32 vcc_lo, exec_lo, s2
	s_cbranch_vccnz .LBB948_1198
; %bb.16:
	s_cmp_ge_u32 s57, s58
	s_cbranch_scc1 .LBB948_1198
; %bb.17:
	v_and_b32_e32 v18, 0x3ff, v0
	v_bfe_u32 v72, v0, 20, 10
	v_bfe_u32 v74, v0, 10, 10
	v_mov_b32_e32 v20, 0
	s_add_u32 s60, s0, 0x50
	v_lshlrev_b32_e32 v47, 2, v18
	v_lshrrev_b32_e32 v2, 3, v18
	v_or_b32_e32 v3, 31, v18
	v_dual_mov_b32 v98, 1 :: v_dual_lshlrev_b32 v1, 1, v18
	s_delay_alu instid0(VALU_DEP_4) | instskip(NEXT) | instid1(VALU_DEP_4)
	v_mad_u32_u24 v67, v18, 12, v47
	v_and_b32_e32 v65, 28, v2
	v_lshlrev_b32_e32 v2, 4, v18
	v_cmp_eq_u32_e64 s3, v3, v18
	v_add_nc_u32_e32 v3, 1, v18
	v_mad_u32_u24 v73, v18, 20, v67
	v_lshlrev_b32_e32 v4, 5, v18
	v_and_b32_e32 v71, 0xe00, v2
	v_mul_u32_u24_e32 v2, 9, v18
	v_mul_u32_u24_e32 v0, 9, v3
	v_add_co_u32 v52, s2, s40, v1
	v_or_b32_e32 v48, 0x100, v18
	s_delay_alu instid0(VALU_DEP_4)
	v_lshl_add_u32 v75, v2, 2, 0x420
	v_lshlrev_b32_e32 v2, 3, v71
	v_lshlrev_b32_e32 v77, 2, v0
	;; [unrolled: 1-line block ×3, first 2 shown]
	v_or_b32_e32 v49, 0x200, v18
	v_or_b32_e32 v50, 0x300, v18
	v_add_co_u32 v78, s7, s54, v2
	s_delay_alu instid0(VALU_DEP_1) | instskip(SKIP_1) | instid1(VALU_DEP_1)
	v_add_co_ci_u32_e64 v79, null, s55, 0, s7
	v_add_co_u32 v80, s7, s40, v0
	v_add_co_ci_u32_e64 v81, null, s41, 0, s7
	v_add_co_u32 v86, s7, s38, v1
	s_delay_alu instid0(VALU_DEP_1) | instskip(SKIP_1) | instid1(VALU_DEP_1)
	v_add_co_ci_u32_e64 v87, null, s39, 0, s7
	v_add_co_u32 v88, s7, s52, v2
	v_add_co_ci_u32_e64 v89, null, s53, 0, s7
	;; [unrolled: 5-line block ×3, first 2 shown]
	v_add_co_u32 v94, s7, s42, v2
	s_delay_alu instid0(VALU_DEP_1)
	v_add_co_ci_u32_e64 v95, null, s43, 0, s7
	v_add_co_u32 v96, s7, s36, v0
	v_and_b32_e32 v51, 3, v18
	v_add_co_ci_u32_e64 v53, null, s41, 0, s2
	v_or_b32_e32 v54, 0x400, v18
	v_or_b32_e32 v55, 0x500, v18
	;; [unrolled: 1-line block ×12, first 2 shown]
	v_cmp_gt_u32_e64 s2, 0x100, v18
	v_or_b32_e32 v68, 0x8400, v65
	v_cmp_gt_u32_e64 s4, 8, v18
	v_add_nc_u32_e32 v69, 0x8400, v47
	v_cmp_lt_u32_e64 s5, 31, v18
	v_add_nc_u32_e32 v70, 0x83fc, v65
	v_sub_nc_u32_e32 v76, v73, v4
	v_cmp_eq_u32_e64 s0, 0, v18
	v_cmp_ne_u32_e64 s6, 0x100, v3
	v_sub_nc_u32_e32 v82, 0, v1
	v_add_nc_u32_e32 v83, 0x400, v1
	v_dual_mov_b32 v1, 0x80008000 :: v_dual_lshlrev_b32 v84, 3, v18
	v_mul_u32_u24_e32 v85, 6, v18
	v_add_co_ci_u32_e64 v97, null, s37, 0, s7
	v_lshlrev_b32_e32 v99, 1, v18
	v_mbcnt_lo_u32_b32 v100, -1, 0
	s_mov_b32 s35, 0
	s_addc_u32 s61, s1, 0
	s_mov_b32 s44, 0x80008000
	s_mov_b32 s42, s57
	s_branch .LBB948_20
.LBB948_18:                             ;   in Loop: Header=BB948_20 Depth=1
	s_waitcnt lgkmcnt(0)
	s_barrier
.LBB948_19:                             ;   in Loop: Header=BB948_20 Depth=1
	s_add_i32 s42, s42, 8
	buffer_gl0_inv
	s_cmp_ge_u32 s42, s58
	s_cbranch_scc1 .LBB948_1198
.LBB948_20:                             ; =>This Loop Header: Depth=1
                                        ;     Child Loop BB948_24 Depth 2
                                        ;     Child Loop BB948_106 Depth 2
	;; [unrolled: 1-line block ×8, first 2 shown]
	s_sub_i32 s1, s58, s42
	s_xor_b32 s59, s59, -1
	s_min_u32 s1, s1, 8
	ds_store_2addr_stride64_b32 v47, v20, v20 offset1:4
	s_lshl_b32 s1, -1, s1
	ds_store_2addr_stride64_b32 v47, v20, v20 offset0:8 offset1:12
	s_not_b32 s43, s1
	s_cmp_lg_u32 s42, s57
	s_mov_b32 s1, -1
	s_waitcnt lgkmcnt(0)
	s_waitcnt_vscnt null, 0x0
	s_cbranch_scc0 .LBB948_610
; %bb.21:                               ;   in Loop: Header=BB948_20 Depth=1
	s_and_b32 vcc_lo, exec_lo, s59
	s_cbranch_vccz .LBB948_315
; %bb.22:                               ;   in Loop: Header=BB948_20 Depth=1
	s_mov_b32 s1, s64
	s_mov_b32 s34, s62
	s_barrier
	buffer_gl0_inv
                                        ; implicit-def: $vgpr2_vgpr3_vgpr4_vgpr5_vgpr6_vgpr7_vgpr8_vgpr9
	s_branch .LBB948_24
.LBB948_23:                             ;   in Loop: Header=BB948_24 Depth=2
	s_or_b32 exec_lo, exec_lo, s8
	s_addk_i32 s1, 0xf000
	s_cmp_ge_u32 s7, s63
	s_mov_b32 s34, s7
	s_cbranch_scc1 .LBB948_94
.LBB948_24:                             ;   Parent Loop BB948_20 Depth=1
                                        ; =>  This Inner Loop Header: Depth=2
	s_add_i32 s7, s34, 0x1000
	s_delay_alu instid0(SALU_CYCLE_1)
	s_cmp_gt_u32 s7, s63
	s_cbranch_scc1 .LBB948_27
; %bb.25:                               ;   in Loop: Header=BB948_24 Depth=2
	s_mov_b32 s9, 0
	s_mov_b32 s8, s34
	s_waitcnt vmcnt(7)
	v_mov_b32_e32 v17, v9
	s_lshl_b64 s[10:11], s[8:9], 1
	s_delay_alu instid0(SALU_CYCLE_1) | instskip(SKIP_2) | instid1(VALU_DEP_2)
	v_add_co_u32 v21, vcc_lo, v52, s10
	v_add_co_ci_u32_e32 v22, vcc_lo, s11, v53, vcc_lo
	s_movk_i32 s11, 0x1000
	v_add_co_u32 v23, vcc_lo, 0x1000, v21
	s_delay_alu instid0(VALU_DEP_2)
	v_add_co_ci_u32_e32 v24, vcc_lo, 0, v22, vcc_lo
	s_clause 0x6
	global_load_u16 v10, v[21:22], off
	global_load_u16 v11, v[21:22], off offset:1024
	global_load_u16 v12, v[21:22], off offset:2048
	;; [unrolled: 1-line block ×3, first 2 shown]
	global_load_u16 v14, v[23:24], off
	global_load_u16 v15, v[23:24], off offset:1024
	global_load_u16 v16, v[23:24], off offset:2048
	s_mov_b32 s10, -1
	s_clause 0x7
	global_load_d16_b16 v17, v[23:24], off offset:3072
	global_load_d16_hi_b16 v10, v[21:22], off offset:512
	global_load_d16_hi_b16 v11, v[21:22], off offset:1536
	;; [unrolled: 1-line block ×7, first 2 shown]
	v_add_co_u32 v21, vcc_lo, 0x1e00, v21
	v_add_co_ci_u32_e32 v22, vcc_lo, 0, v22, vcc_lo
	s_cbranch_execz .LBB948_28
; %bb.26:                               ;   in Loop: Header=BB948_24 Depth=2
                                        ; implicit-def: $vgpr2_vgpr3_vgpr4_vgpr5_vgpr6_vgpr7_vgpr8_vgpr9
	v_mov_b32_e32 v0, s1
	s_and_saveexec_b32 s8, s10
	s_cbranch_execnz .LBB948_47
	s_branch .LBB948_48
.LBB948_27:                             ;   in Loop: Header=BB948_24 Depth=2
	s_mov_b32 s10, 0
                                        ; implicit-def: $sgpr11
                                        ; implicit-def: $vgpr10_vgpr11_vgpr12_vgpr13_vgpr14_vgpr15_vgpr16_vgpr17
                                        ; implicit-def: $vgpr21_vgpr22
.LBB948_28:                             ;   in Loop: Header=BB948_24 Depth=2
	s_lshl_b64 s[8:9], s[34:35], 1
	s_mov_b32 s11, exec_lo
	s_add_u32 s8, s40, s8
	s_addc_u32 s9, s41, s9
	v_cmpx_gt_u32_e64 s1, v18
	s_cbranch_execz .LBB948_80
; %bb.29:                               ;   in Loop: Header=BB948_24 Depth=2
	global_load_d16_b16 v2, v99, s[8:9]
	s_or_b32 exec_lo, exec_lo, s11
	s_delay_alu instid0(SALU_CYCLE_1)
	s_mov_b32 s11, exec_lo
	v_cmpx_gt_u32_e64 s1, v48
	s_cbranch_execnz .LBB948_81
.LBB948_30:                             ;   in Loop: Header=BB948_24 Depth=2
	s_or_b32 exec_lo, exec_lo, s11
	s_delay_alu instid0(SALU_CYCLE_1)
	s_mov_b32 s11, exec_lo
	v_cmpx_gt_u32_e64 s1, v49
	s_cbranch_execz .LBB948_82
.LBB948_31:                             ;   in Loop: Header=BB948_24 Depth=2
	global_load_d16_b16 v3, v99, s[8:9] offset:1024
	s_or_b32 exec_lo, exec_lo, s11
	s_delay_alu instid0(SALU_CYCLE_1)
	s_mov_b32 s11, exec_lo
	v_cmpx_gt_u32_e64 s1, v50
	s_cbranch_execnz .LBB948_83
.LBB948_32:                             ;   in Loop: Header=BB948_24 Depth=2
	s_or_b32 exec_lo, exec_lo, s11
	s_delay_alu instid0(SALU_CYCLE_1)
	s_mov_b32 s11, exec_lo
	v_cmpx_gt_u32_e64 s1, v54
	s_cbranch_execz .LBB948_84
.LBB948_33:                             ;   in Loop: Header=BB948_24 Depth=2
	global_load_d16_b16 v4, v99, s[8:9] offset:2048
	s_or_b32 exec_lo, exec_lo, s11
	s_delay_alu instid0(SALU_CYCLE_1)
	s_mov_b32 s11, exec_lo
	v_cmpx_gt_u32_e64 s1, v55
	s_cbranch_execnz .LBB948_85
.LBB948_34:                             ;   in Loop: Header=BB948_24 Depth=2
	s_or_b32 exec_lo, exec_lo, s11
	s_delay_alu instid0(SALU_CYCLE_1)
	s_mov_b32 s11, exec_lo
	v_cmpx_gt_u32_e64 s1, v56
	s_cbranch_execz .LBB948_86
.LBB948_35:                             ;   in Loop: Header=BB948_24 Depth=2
	global_load_d16_b16 v5, v99, s[8:9] offset:3072
	s_or_b32 exec_lo, exec_lo, s11
	s_delay_alu instid0(SALU_CYCLE_1)
	s_mov_b32 s11, exec_lo
	v_cmpx_gt_u32_e64 s1, v57
	s_cbranch_execnz .LBB948_87
.LBB948_36:                             ;   in Loop: Header=BB948_24 Depth=2
	s_or_b32 exec_lo, exec_lo, s11
	s_delay_alu instid0(SALU_CYCLE_1)
	s_mov_b32 s11, exec_lo
	v_cmpx_gt_u32_e64 s1, v58
	s_cbranch_execz .LBB948_88
.LBB948_37:                             ;   in Loop: Header=BB948_24 Depth=2
	v_lshlrev_b32_e32 v0, 1, v58
	global_load_d16_b16 v6, v0, s[8:9]
	s_or_b32 exec_lo, exec_lo, s11
	s_delay_alu instid0(SALU_CYCLE_1)
	s_mov_b32 s11, exec_lo
	v_cmpx_gt_u32_e64 s1, v59
	s_cbranch_execnz .LBB948_89
.LBB948_38:                             ;   in Loop: Header=BB948_24 Depth=2
	s_or_b32 exec_lo, exec_lo, s11
	s_delay_alu instid0(SALU_CYCLE_1)
	s_mov_b32 s11, exec_lo
	v_cmpx_gt_u32_e64 s1, v60
	s_cbranch_execz .LBB948_90
.LBB948_39:                             ;   in Loop: Header=BB948_24 Depth=2
	v_lshlrev_b32_e32 v0, 1, v60
	global_load_d16_b16 v7, v0, s[8:9]
	s_or_b32 exec_lo, exec_lo, s11
	s_delay_alu instid0(SALU_CYCLE_1)
	s_mov_b32 s11, exec_lo
	v_cmpx_gt_u32_e64 s1, v61
	s_cbranch_execnz .LBB948_91
.LBB948_40:                             ;   in Loop: Header=BB948_24 Depth=2
	s_or_b32 exec_lo, exec_lo, s11
	s_delay_alu instid0(SALU_CYCLE_1)
	s_mov_b32 s11, exec_lo
	v_cmpx_gt_u32_e64 s1, v62
	s_cbranch_execz .LBB948_92
.LBB948_41:                             ;   in Loop: Header=BB948_24 Depth=2
	v_lshlrev_b32_e32 v0, 1, v62
	global_load_d16_b16 v8, v0, s[8:9]
	s_or_b32 exec_lo, exec_lo, s11
	s_delay_alu instid0(SALU_CYCLE_1)
	s_mov_b32 s11, exec_lo
	v_cmpx_gt_u32_e64 s1, v63
	s_cbranch_execnz .LBB948_93
.LBB948_42:                             ;   in Loop: Header=BB948_24 Depth=2
	s_or_b32 exec_lo, exec_lo, s11
	s_delay_alu instid0(SALU_CYCLE_1)
	s_mov_b32 s11, exec_lo
	v_cmpx_gt_u32_e64 s1, v64
	s_cbranch_execz .LBB948_44
.LBB948_43:                             ;   in Loop: Header=BB948_24 Depth=2
	v_lshlrev_b32_e32 v0, 1, v64
	global_load_d16_b16 v9, v0, s[8:9]
.LBB948_44:                             ;   in Loop: Header=BB948_24 Depth=2
	s_or_b32 exec_lo, exec_lo, s11
	s_delay_alu instid0(SALU_CYCLE_1)
	s_mov_b32 s12, exec_lo
                                        ; implicit-def: $sgpr11
                                        ; implicit-def: $vgpr21_vgpr22
	v_cmpx_gt_u32_e64 s1, v66
; %bb.45:                               ;   in Loop: Header=BB948_24 Depth=2
	v_lshlrev_b32_e32 v0, 1, v66
	s_sub_i32 s11, s63, s34
	s_or_b32 s10, s10, exec_lo
	s_delay_alu instid0(VALU_DEP_1) | instskip(NEXT) | instid1(VALU_DEP_1)
	v_add_co_u32 v21, s8, s8, v0
	v_add_co_ci_u32_e64 v22, null, s9, 0, s8
; %bb.46:                               ;   in Loop: Header=BB948_24 Depth=2
	s_or_b32 exec_lo, exec_lo, s12
	s_waitcnt vmcnt(0)
	v_dual_mov_b32 v17, v9 :: v_dual_mov_b32 v16, v8
	v_dual_mov_b32 v15, v7 :: v_dual_mov_b32 v14, v6
	;; [unrolled: 1-line block ×4, first 2 shown]
	v_mov_b32_e32 v0, s1
	s_and_saveexec_b32 s8, s10
	s_cbranch_execz .LBB948_48
.LBB948_47:                             ;   in Loop: Header=BB948_24 Depth=2
	global_load_d16_hi_b16 v17, v[21:22], off
	s_waitcnt vmcnt(0)
	v_dual_mov_b32 v2, v10 :: v_dual_mov_b32 v5, v13
	v_dual_mov_b32 v0, s11 :: v_dual_mov_b32 v3, v11
	;; [unrolled: 1-line block ×3, first 2 shown]
	v_mov_b32_e32 v6, v14
	v_dual_mov_b32 v8, v16 :: v_dual_mov_b32 v9, v17
.LBB948_48:                             ;   in Loop: Header=BB948_24 Depth=2
	s_or_b32 exec_lo, exec_lo, s8
	s_delay_alu instid0(SALU_CYCLE_1)
	s_mov_b32 s8, exec_lo
	v_cmpx_lt_u32_e64 v18, v0
	s_cbranch_execz .LBB948_64
; %bb.49:                               ;   in Loop: Header=BB948_24 Depth=2
	s_waitcnt vmcnt(6)
	v_xor_b32_e32 v10, 0x7fff, v2
	s_waitcnt vmcnt(5)
	v_lshlrev_b32_e32 v11, 2, v51
	s_delay_alu instid0(VALU_DEP_2) | instskip(NEXT) | instid1(VALU_DEP_1)
	v_and_b32_e32 v10, 0xffff, v10
	v_lshrrev_b32_e32 v10, s42, v10
	s_delay_alu instid0(VALU_DEP_1) | instskip(NEXT) | instid1(VALU_DEP_1)
	v_and_b32_e32 v10, s43, v10
	v_lshl_or_b32 v10, v10, 4, v11
	ds_add_u32 v10, v98
	s_or_b32 exec_lo, exec_lo, s8
	s_delay_alu instid0(SALU_CYCLE_1)
	s_mov_b32 s8, exec_lo
	v_cmpx_lt_u32_e64 v48, v0
	s_cbranch_execnz .LBB948_65
.LBB948_50:                             ;   in Loop: Header=BB948_24 Depth=2
	s_or_b32 exec_lo, exec_lo, s8
	s_delay_alu instid0(SALU_CYCLE_1)
	s_mov_b32 s8, exec_lo
	v_cmpx_lt_u32_e64 v49, v0
	s_cbranch_execz .LBB948_66
.LBB948_51:                             ;   in Loop: Header=BB948_24 Depth=2
	s_waitcnt vmcnt(6)
	v_xor_b32_e32 v10, 0x7fff, v3
	s_waitcnt vmcnt(5)
	v_lshlrev_b32_e32 v11, 2, v51
	s_delay_alu instid0(VALU_DEP_2) | instskip(NEXT) | instid1(VALU_DEP_1)
	v_and_b32_e32 v10, 0xffff, v10
	v_lshrrev_b32_e32 v10, s42, v10
	s_delay_alu instid0(VALU_DEP_1) | instskip(NEXT) | instid1(VALU_DEP_1)
	v_and_b32_e32 v10, s43, v10
	v_lshl_or_b32 v10, v10, 4, v11
	ds_add_u32 v10, v98
	s_or_b32 exec_lo, exec_lo, s8
	s_delay_alu instid0(SALU_CYCLE_1)
	s_mov_b32 s8, exec_lo
	v_cmpx_lt_u32_e64 v50, v0
	s_cbranch_execnz .LBB948_67
.LBB948_52:                             ;   in Loop: Header=BB948_24 Depth=2
	s_or_b32 exec_lo, exec_lo, s8
	s_delay_alu instid0(SALU_CYCLE_1)
	s_mov_b32 s8, exec_lo
	v_cmpx_lt_u32_e64 v54, v0
	s_cbranch_execz .LBB948_68
.LBB948_53:                             ;   in Loop: Header=BB948_24 Depth=2
	s_waitcnt vmcnt(6)
	v_xor_b32_e32 v10, 0x7fff, v4
	s_waitcnt vmcnt(5)
	v_lshlrev_b32_e32 v11, 2, v51
	s_delay_alu instid0(VALU_DEP_2) | instskip(NEXT) | instid1(VALU_DEP_1)
	v_and_b32_e32 v10, 0xffff, v10
	v_lshrrev_b32_e32 v10, s42, v10
	s_delay_alu instid0(VALU_DEP_1) | instskip(NEXT) | instid1(VALU_DEP_1)
	v_and_b32_e32 v10, s43, v10
	v_lshl_or_b32 v10, v10, 4, v11
	ds_add_u32 v10, v98
	s_or_b32 exec_lo, exec_lo, s8
	s_delay_alu instid0(SALU_CYCLE_1)
	s_mov_b32 s8, exec_lo
	v_cmpx_lt_u32_e64 v55, v0
	s_cbranch_execnz .LBB948_69
.LBB948_54:                             ;   in Loop: Header=BB948_24 Depth=2
	s_or_b32 exec_lo, exec_lo, s8
	s_delay_alu instid0(SALU_CYCLE_1)
	s_mov_b32 s8, exec_lo
	v_cmpx_lt_u32_e64 v56, v0
	s_cbranch_execz .LBB948_70
.LBB948_55:                             ;   in Loop: Header=BB948_24 Depth=2
	s_waitcnt vmcnt(6)
	v_xor_b32_e32 v10, 0x7fff, v5
	s_waitcnt vmcnt(5)
	v_lshlrev_b32_e32 v11, 2, v51
	s_delay_alu instid0(VALU_DEP_2) | instskip(NEXT) | instid1(VALU_DEP_1)
	v_and_b32_e32 v10, 0xffff, v10
	v_lshrrev_b32_e32 v10, s42, v10
	s_delay_alu instid0(VALU_DEP_1) | instskip(NEXT) | instid1(VALU_DEP_1)
	v_and_b32_e32 v10, s43, v10
	v_lshl_or_b32 v10, v10, 4, v11
	ds_add_u32 v10, v98
	s_or_b32 exec_lo, exec_lo, s8
	s_delay_alu instid0(SALU_CYCLE_1)
	s_mov_b32 s8, exec_lo
	v_cmpx_lt_u32_e64 v57, v0
	s_cbranch_execnz .LBB948_71
.LBB948_56:                             ;   in Loop: Header=BB948_24 Depth=2
	s_or_b32 exec_lo, exec_lo, s8
	s_delay_alu instid0(SALU_CYCLE_1)
	s_mov_b32 s8, exec_lo
	v_cmpx_lt_u32_e64 v58, v0
	s_cbranch_execz .LBB948_72
.LBB948_57:                             ;   in Loop: Header=BB948_24 Depth=2
	s_waitcnt vmcnt(6)
	v_xor_b32_e32 v10, 0x7fff, v6
	s_waitcnt vmcnt(5)
	v_lshlrev_b32_e32 v11, 2, v51
	s_delay_alu instid0(VALU_DEP_2) | instskip(NEXT) | instid1(VALU_DEP_1)
	v_and_b32_e32 v10, 0xffff, v10
	v_lshrrev_b32_e32 v10, s42, v10
	s_delay_alu instid0(VALU_DEP_1) | instskip(NEXT) | instid1(VALU_DEP_1)
	v_and_b32_e32 v10, s43, v10
	v_lshl_or_b32 v10, v10, 4, v11
	ds_add_u32 v10, v98
	s_or_b32 exec_lo, exec_lo, s8
	s_delay_alu instid0(SALU_CYCLE_1)
	s_mov_b32 s8, exec_lo
	v_cmpx_lt_u32_e64 v59, v0
	s_cbranch_execnz .LBB948_73
.LBB948_58:                             ;   in Loop: Header=BB948_24 Depth=2
	s_or_b32 exec_lo, exec_lo, s8
	s_delay_alu instid0(SALU_CYCLE_1)
	s_mov_b32 s8, exec_lo
	v_cmpx_lt_u32_e64 v60, v0
	s_cbranch_execz .LBB948_74
.LBB948_59:                             ;   in Loop: Header=BB948_24 Depth=2
	s_waitcnt vmcnt(6)
	v_xor_b32_e32 v10, 0x7fff, v7
	s_waitcnt vmcnt(5)
	v_lshlrev_b32_e32 v11, 2, v51
	s_delay_alu instid0(VALU_DEP_2) | instskip(NEXT) | instid1(VALU_DEP_1)
	v_and_b32_e32 v10, 0xffff, v10
	v_lshrrev_b32_e32 v10, s42, v10
	s_delay_alu instid0(VALU_DEP_1) | instskip(NEXT) | instid1(VALU_DEP_1)
	v_and_b32_e32 v10, s43, v10
	v_lshl_or_b32 v10, v10, 4, v11
	ds_add_u32 v10, v98
	s_or_b32 exec_lo, exec_lo, s8
	s_delay_alu instid0(SALU_CYCLE_1)
	s_mov_b32 s8, exec_lo
	v_cmpx_lt_u32_e64 v61, v0
	s_cbranch_execnz .LBB948_75
.LBB948_60:                             ;   in Loop: Header=BB948_24 Depth=2
	s_or_b32 exec_lo, exec_lo, s8
	s_delay_alu instid0(SALU_CYCLE_1)
	s_mov_b32 s8, exec_lo
	v_cmpx_lt_u32_e64 v62, v0
	s_cbranch_execz .LBB948_76
.LBB948_61:                             ;   in Loop: Header=BB948_24 Depth=2
	s_waitcnt vmcnt(6)
	v_xor_b32_e32 v10, 0x7fff, v8
	s_waitcnt vmcnt(5)
	v_lshlrev_b32_e32 v11, 2, v51
	s_delay_alu instid0(VALU_DEP_2) | instskip(NEXT) | instid1(VALU_DEP_1)
	v_and_b32_e32 v10, 0xffff, v10
	v_lshrrev_b32_e32 v10, s42, v10
	s_delay_alu instid0(VALU_DEP_1) | instskip(NEXT) | instid1(VALU_DEP_1)
	v_and_b32_e32 v10, s43, v10
	v_lshl_or_b32 v10, v10, 4, v11
	ds_add_u32 v10, v98
	s_or_b32 exec_lo, exec_lo, s8
	s_delay_alu instid0(SALU_CYCLE_1)
	s_mov_b32 s8, exec_lo
	v_cmpx_lt_u32_e64 v63, v0
	s_cbranch_execnz .LBB948_77
.LBB948_62:                             ;   in Loop: Header=BB948_24 Depth=2
	s_or_b32 exec_lo, exec_lo, s8
	s_delay_alu instid0(SALU_CYCLE_1)
	s_mov_b32 s8, exec_lo
	v_cmpx_lt_u32_e64 v64, v0
	s_cbranch_execz .LBB948_78
.LBB948_63:                             ;   in Loop: Header=BB948_24 Depth=2
	s_waitcnt vmcnt(6)
	v_xor_b32_e32 v10, 0x7fff, v9
	s_waitcnt vmcnt(5)
	v_lshlrev_b32_e32 v11, 2, v51
	s_delay_alu instid0(VALU_DEP_2) | instskip(NEXT) | instid1(VALU_DEP_1)
	v_and_b32_e32 v10, 0xffff, v10
	v_lshrrev_b32_e32 v10, s42, v10
	s_delay_alu instid0(VALU_DEP_1) | instskip(NEXT) | instid1(VALU_DEP_1)
	v_and_b32_e32 v10, s43, v10
	v_lshl_or_b32 v10, v10, 4, v11
	ds_add_u32 v10, v98
	s_or_b32 exec_lo, exec_lo, s8
	s_delay_alu instid0(SALU_CYCLE_1)
	s_mov_b32 s8, exec_lo
	v_cmpx_lt_u32_e64 v66, v0
	s_cbranch_execz .LBB948_23
	s_branch .LBB948_79
.LBB948_64:                             ;   in Loop: Header=BB948_24 Depth=2
	s_or_b32 exec_lo, exec_lo, s8
	s_delay_alu instid0(SALU_CYCLE_1)
	s_mov_b32 s8, exec_lo
	v_cmpx_lt_u32_e64 v48, v0
	s_cbranch_execz .LBB948_50
.LBB948_65:                             ;   in Loop: Header=BB948_24 Depth=2
	s_waitcnt vmcnt(6)
	v_lshrrev_b32_e32 v10, 16, v2
	s_waitcnt vmcnt(5)
	v_lshlrev_b32_e32 v11, 2, v51
	s_delay_alu instid0(VALU_DEP_2) | instskip(NEXT) | instid1(VALU_DEP_1)
	v_xor_b32_e32 v10, 0x7fff, v10
	v_and_b32_e32 v10, 0xffff, v10
	s_delay_alu instid0(VALU_DEP_1) | instskip(NEXT) | instid1(VALU_DEP_1)
	v_lshrrev_b32_e32 v10, s42, v10
	v_and_b32_e32 v10, s43, v10
	s_delay_alu instid0(VALU_DEP_1) | instskip(SKIP_2) | instid1(SALU_CYCLE_1)
	v_lshl_or_b32 v10, v10, 4, v11
	ds_add_u32 v10, v98
	s_or_b32 exec_lo, exec_lo, s8
	s_mov_b32 s8, exec_lo
	v_cmpx_lt_u32_e64 v49, v0
	s_cbranch_execnz .LBB948_51
.LBB948_66:                             ;   in Loop: Header=BB948_24 Depth=2
	s_or_b32 exec_lo, exec_lo, s8
	s_delay_alu instid0(SALU_CYCLE_1)
	s_mov_b32 s8, exec_lo
	v_cmpx_lt_u32_e64 v50, v0
	s_cbranch_execz .LBB948_52
.LBB948_67:                             ;   in Loop: Header=BB948_24 Depth=2
	s_waitcnt vmcnt(6)
	v_lshrrev_b32_e32 v10, 16, v3
	s_waitcnt vmcnt(5)
	v_lshlrev_b32_e32 v11, 2, v51
	s_delay_alu instid0(VALU_DEP_2) | instskip(NEXT) | instid1(VALU_DEP_1)
	v_xor_b32_e32 v10, 0x7fff, v10
	v_and_b32_e32 v10, 0xffff, v10
	s_delay_alu instid0(VALU_DEP_1) | instskip(NEXT) | instid1(VALU_DEP_1)
	v_lshrrev_b32_e32 v10, s42, v10
	v_and_b32_e32 v10, s43, v10
	s_delay_alu instid0(VALU_DEP_1) | instskip(SKIP_2) | instid1(SALU_CYCLE_1)
	v_lshl_or_b32 v10, v10, 4, v11
	ds_add_u32 v10, v98
	s_or_b32 exec_lo, exec_lo, s8
	s_mov_b32 s8, exec_lo
	v_cmpx_lt_u32_e64 v54, v0
	s_cbranch_execnz .LBB948_53
.LBB948_68:                             ;   in Loop: Header=BB948_24 Depth=2
	s_or_b32 exec_lo, exec_lo, s8
	s_delay_alu instid0(SALU_CYCLE_1)
	s_mov_b32 s8, exec_lo
	v_cmpx_lt_u32_e64 v55, v0
	s_cbranch_execz .LBB948_54
.LBB948_69:                             ;   in Loop: Header=BB948_24 Depth=2
	s_waitcnt vmcnt(6)
	v_lshrrev_b32_e32 v10, 16, v4
	s_waitcnt vmcnt(5)
	v_lshlrev_b32_e32 v11, 2, v51
	s_delay_alu instid0(VALU_DEP_2) | instskip(NEXT) | instid1(VALU_DEP_1)
	v_xor_b32_e32 v10, 0x7fff, v10
	v_and_b32_e32 v10, 0xffff, v10
	s_delay_alu instid0(VALU_DEP_1) | instskip(NEXT) | instid1(VALU_DEP_1)
	v_lshrrev_b32_e32 v10, s42, v10
	v_and_b32_e32 v10, s43, v10
	s_delay_alu instid0(VALU_DEP_1) | instskip(SKIP_2) | instid1(SALU_CYCLE_1)
	v_lshl_or_b32 v10, v10, 4, v11
	ds_add_u32 v10, v98
	s_or_b32 exec_lo, exec_lo, s8
	s_mov_b32 s8, exec_lo
	v_cmpx_lt_u32_e64 v56, v0
	s_cbranch_execnz .LBB948_55
.LBB948_70:                             ;   in Loop: Header=BB948_24 Depth=2
	s_or_b32 exec_lo, exec_lo, s8
	s_delay_alu instid0(SALU_CYCLE_1)
	s_mov_b32 s8, exec_lo
	v_cmpx_lt_u32_e64 v57, v0
	s_cbranch_execz .LBB948_56
.LBB948_71:                             ;   in Loop: Header=BB948_24 Depth=2
	s_waitcnt vmcnt(6)
	v_lshrrev_b32_e32 v10, 16, v5
	s_waitcnt vmcnt(5)
	v_lshlrev_b32_e32 v11, 2, v51
	s_delay_alu instid0(VALU_DEP_2) | instskip(NEXT) | instid1(VALU_DEP_1)
	v_xor_b32_e32 v10, 0x7fff, v10
	v_and_b32_e32 v10, 0xffff, v10
	s_delay_alu instid0(VALU_DEP_1) | instskip(NEXT) | instid1(VALU_DEP_1)
	v_lshrrev_b32_e32 v10, s42, v10
	v_and_b32_e32 v10, s43, v10
	s_delay_alu instid0(VALU_DEP_1) | instskip(SKIP_2) | instid1(SALU_CYCLE_1)
	v_lshl_or_b32 v10, v10, 4, v11
	ds_add_u32 v10, v98
	s_or_b32 exec_lo, exec_lo, s8
	s_mov_b32 s8, exec_lo
	v_cmpx_lt_u32_e64 v58, v0
	s_cbranch_execnz .LBB948_57
.LBB948_72:                             ;   in Loop: Header=BB948_24 Depth=2
	s_or_b32 exec_lo, exec_lo, s8
	s_delay_alu instid0(SALU_CYCLE_1)
	s_mov_b32 s8, exec_lo
	v_cmpx_lt_u32_e64 v59, v0
	s_cbranch_execz .LBB948_58
.LBB948_73:                             ;   in Loop: Header=BB948_24 Depth=2
	s_waitcnt vmcnt(6)
	v_lshrrev_b32_e32 v10, 16, v6
	s_waitcnt vmcnt(5)
	v_lshlrev_b32_e32 v11, 2, v51
	s_delay_alu instid0(VALU_DEP_2) | instskip(NEXT) | instid1(VALU_DEP_1)
	v_xor_b32_e32 v10, 0x7fff, v10
	v_and_b32_e32 v10, 0xffff, v10
	s_delay_alu instid0(VALU_DEP_1) | instskip(NEXT) | instid1(VALU_DEP_1)
	v_lshrrev_b32_e32 v10, s42, v10
	v_and_b32_e32 v10, s43, v10
	s_delay_alu instid0(VALU_DEP_1) | instskip(SKIP_2) | instid1(SALU_CYCLE_1)
	v_lshl_or_b32 v10, v10, 4, v11
	ds_add_u32 v10, v98
	s_or_b32 exec_lo, exec_lo, s8
	s_mov_b32 s8, exec_lo
	v_cmpx_lt_u32_e64 v60, v0
	s_cbranch_execnz .LBB948_59
.LBB948_74:                             ;   in Loop: Header=BB948_24 Depth=2
	s_or_b32 exec_lo, exec_lo, s8
	s_delay_alu instid0(SALU_CYCLE_1)
	s_mov_b32 s8, exec_lo
	v_cmpx_lt_u32_e64 v61, v0
	s_cbranch_execz .LBB948_60
.LBB948_75:                             ;   in Loop: Header=BB948_24 Depth=2
	s_waitcnt vmcnt(6)
	v_lshrrev_b32_e32 v10, 16, v7
	s_waitcnt vmcnt(5)
	v_lshlrev_b32_e32 v11, 2, v51
	s_delay_alu instid0(VALU_DEP_2) | instskip(NEXT) | instid1(VALU_DEP_1)
	v_xor_b32_e32 v10, 0x7fff, v10
	v_and_b32_e32 v10, 0xffff, v10
	s_delay_alu instid0(VALU_DEP_1) | instskip(NEXT) | instid1(VALU_DEP_1)
	v_lshrrev_b32_e32 v10, s42, v10
	v_and_b32_e32 v10, s43, v10
	s_delay_alu instid0(VALU_DEP_1) | instskip(SKIP_2) | instid1(SALU_CYCLE_1)
	v_lshl_or_b32 v10, v10, 4, v11
	ds_add_u32 v10, v98
	s_or_b32 exec_lo, exec_lo, s8
	s_mov_b32 s8, exec_lo
	v_cmpx_lt_u32_e64 v62, v0
	s_cbranch_execnz .LBB948_61
.LBB948_76:                             ;   in Loop: Header=BB948_24 Depth=2
	s_or_b32 exec_lo, exec_lo, s8
	s_delay_alu instid0(SALU_CYCLE_1)
	s_mov_b32 s8, exec_lo
	v_cmpx_lt_u32_e64 v63, v0
	s_cbranch_execz .LBB948_62
.LBB948_77:                             ;   in Loop: Header=BB948_24 Depth=2
	s_waitcnt vmcnt(6)
	v_lshrrev_b32_e32 v10, 16, v8
	s_waitcnt vmcnt(5)
	v_lshlrev_b32_e32 v11, 2, v51
	s_delay_alu instid0(VALU_DEP_2) | instskip(NEXT) | instid1(VALU_DEP_1)
	v_xor_b32_e32 v10, 0x7fff, v10
	v_and_b32_e32 v10, 0xffff, v10
	s_delay_alu instid0(VALU_DEP_1) | instskip(NEXT) | instid1(VALU_DEP_1)
	v_lshrrev_b32_e32 v10, s42, v10
	v_and_b32_e32 v10, s43, v10
	s_delay_alu instid0(VALU_DEP_1) | instskip(SKIP_2) | instid1(SALU_CYCLE_1)
	v_lshl_or_b32 v10, v10, 4, v11
	ds_add_u32 v10, v98
	s_or_b32 exec_lo, exec_lo, s8
	s_mov_b32 s8, exec_lo
	v_cmpx_lt_u32_e64 v64, v0
	s_cbranch_execnz .LBB948_63
.LBB948_78:                             ;   in Loop: Header=BB948_24 Depth=2
	s_or_b32 exec_lo, exec_lo, s8
	s_delay_alu instid0(SALU_CYCLE_1)
	s_mov_b32 s8, exec_lo
	v_cmpx_lt_u32_e64 v66, v0
	s_cbranch_execz .LBB948_23
.LBB948_79:                             ;   in Loop: Header=BB948_24 Depth=2
	v_lshrrev_b32_e32 v0, 16, v9
	s_waitcnt vmcnt(6)
	v_lshlrev_b32_e32 v10, 2, v51
	s_delay_alu instid0(VALU_DEP_2) | instskip(NEXT) | instid1(VALU_DEP_1)
	v_xor_b32_e32 v0, 0x7fff, v0
	v_and_b32_e32 v0, 0xffff, v0
	s_delay_alu instid0(VALU_DEP_1) | instskip(NEXT) | instid1(VALU_DEP_1)
	v_lshrrev_b32_e32 v0, s42, v0
	v_and_b32_e32 v0, s43, v0
	s_delay_alu instid0(VALU_DEP_1)
	v_lshl_or_b32 v0, v0, 4, v10
	ds_add_u32 v0, v98
	s_branch .LBB948_23
.LBB948_80:                             ;   in Loop: Header=BB948_24 Depth=2
	s_or_b32 exec_lo, exec_lo, s11
	s_delay_alu instid0(SALU_CYCLE_1)
	s_mov_b32 s11, exec_lo
	v_cmpx_gt_u32_e64 s1, v48
	s_cbranch_execz .LBB948_30
.LBB948_81:                             ;   in Loop: Header=BB948_24 Depth=2
	global_load_d16_hi_b16 v2, v99, s[8:9] offset:512
	s_or_b32 exec_lo, exec_lo, s11
	s_delay_alu instid0(SALU_CYCLE_1)
	s_mov_b32 s11, exec_lo
	v_cmpx_gt_u32_e64 s1, v49
	s_cbranch_execnz .LBB948_31
.LBB948_82:                             ;   in Loop: Header=BB948_24 Depth=2
	s_or_b32 exec_lo, exec_lo, s11
	s_delay_alu instid0(SALU_CYCLE_1)
	s_mov_b32 s11, exec_lo
	v_cmpx_gt_u32_e64 s1, v50
	s_cbranch_execz .LBB948_32
.LBB948_83:                             ;   in Loop: Header=BB948_24 Depth=2
	global_load_d16_hi_b16 v3, v99, s[8:9] offset:1536
	s_or_b32 exec_lo, exec_lo, s11
	s_delay_alu instid0(SALU_CYCLE_1)
	s_mov_b32 s11, exec_lo
	v_cmpx_gt_u32_e64 s1, v54
	s_cbranch_execnz .LBB948_33
.LBB948_84:                             ;   in Loop: Header=BB948_24 Depth=2
	s_or_b32 exec_lo, exec_lo, s11
	s_delay_alu instid0(SALU_CYCLE_1)
	s_mov_b32 s11, exec_lo
	v_cmpx_gt_u32_e64 s1, v55
	s_cbranch_execz .LBB948_34
.LBB948_85:                             ;   in Loop: Header=BB948_24 Depth=2
	global_load_d16_hi_b16 v4, v99, s[8:9] offset:2560
	s_or_b32 exec_lo, exec_lo, s11
	s_delay_alu instid0(SALU_CYCLE_1)
	s_mov_b32 s11, exec_lo
	v_cmpx_gt_u32_e64 s1, v56
	s_cbranch_execnz .LBB948_35
.LBB948_86:                             ;   in Loop: Header=BB948_24 Depth=2
	s_or_b32 exec_lo, exec_lo, s11
	s_delay_alu instid0(SALU_CYCLE_1)
	s_mov_b32 s11, exec_lo
	v_cmpx_gt_u32_e64 s1, v57
	s_cbranch_execz .LBB948_36
.LBB948_87:                             ;   in Loop: Header=BB948_24 Depth=2
	global_load_d16_hi_b16 v5, v99, s[8:9] offset:3584
	s_or_b32 exec_lo, exec_lo, s11
	s_delay_alu instid0(SALU_CYCLE_1)
	s_mov_b32 s11, exec_lo
	v_cmpx_gt_u32_e64 s1, v58
	s_cbranch_execnz .LBB948_37
.LBB948_88:                             ;   in Loop: Header=BB948_24 Depth=2
	s_or_b32 exec_lo, exec_lo, s11
	s_delay_alu instid0(SALU_CYCLE_1)
	s_mov_b32 s11, exec_lo
	v_cmpx_gt_u32_e64 s1, v59
	s_cbranch_execz .LBB948_38
.LBB948_89:                             ;   in Loop: Header=BB948_24 Depth=2
	v_lshlrev_b32_e32 v0, 1, v59
	global_load_d16_hi_b16 v6, v0, s[8:9]
	s_or_b32 exec_lo, exec_lo, s11
	s_delay_alu instid0(SALU_CYCLE_1)
	s_mov_b32 s11, exec_lo
	v_cmpx_gt_u32_e64 s1, v60
	s_cbranch_execnz .LBB948_39
.LBB948_90:                             ;   in Loop: Header=BB948_24 Depth=2
	s_or_b32 exec_lo, exec_lo, s11
	s_delay_alu instid0(SALU_CYCLE_1)
	s_mov_b32 s11, exec_lo
	v_cmpx_gt_u32_e64 s1, v61
	s_cbranch_execz .LBB948_40
.LBB948_91:                             ;   in Loop: Header=BB948_24 Depth=2
	v_lshlrev_b32_e32 v0, 1, v61
	global_load_d16_hi_b16 v7, v0, s[8:9]
	s_or_b32 exec_lo, exec_lo, s11
	s_delay_alu instid0(SALU_CYCLE_1)
	s_mov_b32 s11, exec_lo
	v_cmpx_gt_u32_e64 s1, v62
	s_cbranch_execnz .LBB948_41
.LBB948_92:                             ;   in Loop: Header=BB948_24 Depth=2
	s_or_b32 exec_lo, exec_lo, s11
	s_delay_alu instid0(SALU_CYCLE_1)
	s_mov_b32 s11, exec_lo
	v_cmpx_gt_u32_e64 s1, v63
	s_cbranch_execz .LBB948_42
.LBB948_93:                             ;   in Loop: Header=BB948_24 Depth=2
	v_lshlrev_b32_e32 v0, 1, v63
	global_load_d16_hi_b16 v8, v0, s[8:9]
	s_or_b32 exec_lo, exec_lo, s11
	s_delay_alu instid0(SALU_CYCLE_1)
	s_mov_b32 s11, exec_lo
	v_cmpx_gt_u32_e64 s1, v64
	s_cbranch_execz .LBB948_44
	s_branch .LBB948_43
.LBB948_94:                             ;   in Loop: Header=BB948_20 Depth=1
	v_mov_b32_e32 v0, 0
	s_waitcnt vmcnt(0) lgkmcnt(0)
	s_barrier
	buffer_gl0_inv
	s_and_saveexec_b32 s1, s2
	s_cbranch_execz .LBB948_96
; %bb.95:                               ;   in Loop: Header=BB948_20 Depth=1
	ds_load_2addr_b64 v[2:5], v67 offset1:1
	s_waitcnt lgkmcnt(0)
	v_add_nc_u32_e32 v0, v3, v2
	s_delay_alu instid0(VALU_DEP_1)
	v_add3_u32 v0, v0, v4, v5
.LBB948_96:                             ;   in Loop: Header=BB948_20 Depth=1
	s_or_b32 exec_lo, exec_lo, s1
	v_and_b32_e32 v2, 15, v100
	s_delay_alu instid0(VALU_DEP_2) | instskip(SKIP_1) | instid1(VALU_DEP_3)
	v_mov_b32_dpp v3, v0 row_shr:1 row_mask:0xf bank_mask:0xf
	v_and_b32_e32 v4, 16, v100
	v_cmp_eq_u32_e64 s1, 0, v2
	v_cmp_lt_u32_e64 s7, 1, v2
	v_cmp_lt_u32_e64 s8, 3, v2
	;; [unrolled: 1-line block ×3, first 2 shown]
	v_cmp_eq_u32_e64 s10, 0, v4
	v_cndmask_b32_e64 v3, v3, 0, s1
	s_delay_alu instid0(VALU_DEP_1) | instskip(NEXT) | instid1(VALU_DEP_1)
	v_add_nc_u32_e32 v0, v3, v0
	v_mov_b32_dpp v3, v0 row_shr:2 row_mask:0xf bank_mask:0xf
	s_delay_alu instid0(VALU_DEP_1) | instskip(NEXT) | instid1(VALU_DEP_1)
	v_cndmask_b32_e64 v3, 0, v3, s7
	v_add_nc_u32_e32 v0, v0, v3
	s_delay_alu instid0(VALU_DEP_1) | instskip(NEXT) | instid1(VALU_DEP_1)
	v_mov_b32_dpp v3, v0 row_shr:4 row_mask:0xf bank_mask:0xf
	v_cndmask_b32_e64 v3, 0, v3, s8
	s_delay_alu instid0(VALU_DEP_1) | instskip(NEXT) | instid1(VALU_DEP_1)
	v_add_nc_u32_e32 v0, v0, v3
	v_mov_b32_dpp v3, v0 row_shr:8 row_mask:0xf bank_mask:0xf
	s_delay_alu instid0(VALU_DEP_1) | instskip(SKIP_1) | instid1(VALU_DEP_2)
	v_cndmask_b32_e64 v2, 0, v3, s9
	v_bfe_i32 v3, v100, 4, 1
	v_add_nc_u32_e32 v0, v0, v2
	ds_swizzle_b32 v2, v0 offset:swizzle(BROADCAST,32,15)
	s_waitcnt lgkmcnt(0)
	v_and_b32_e32 v2, v3, v2
	s_delay_alu instid0(VALU_DEP_1)
	v_add_nc_u32_e32 v2, v0, v2
	s_and_saveexec_b32 s11, s3
	s_cbranch_execz .LBB948_98
; %bb.97:                               ;   in Loop: Header=BB948_20 Depth=1
	ds_store_b32 v68, v2
.LBB948_98:                             ;   in Loop: Header=BB948_20 Depth=1
	s_or_b32 exec_lo, exec_lo, s11
	v_and_b32_e32 v0, 7, v100
	s_waitcnt lgkmcnt(0)
	s_barrier
	buffer_gl0_inv
	s_and_saveexec_b32 s11, s4
	s_cbranch_execz .LBB948_100
; %bb.99:                               ;   in Loop: Header=BB948_20 Depth=1
	ds_load_b32 v3, v69
	v_cmp_ne_u32_e32 vcc_lo, 0, v0
	s_waitcnt lgkmcnt(0)
	v_mov_b32_dpp v4, v3 row_shr:1 row_mask:0xf bank_mask:0xf
	s_delay_alu instid0(VALU_DEP_1) | instskip(SKIP_1) | instid1(VALU_DEP_2)
	v_cndmask_b32_e32 v4, 0, v4, vcc_lo
	v_cmp_lt_u32_e32 vcc_lo, 1, v0
	v_add_nc_u32_e32 v3, v4, v3
	s_delay_alu instid0(VALU_DEP_1) | instskip(NEXT) | instid1(VALU_DEP_1)
	v_mov_b32_dpp v4, v3 row_shr:2 row_mask:0xf bank_mask:0xf
	v_cndmask_b32_e32 v4, 0, v4, vcc_lo
	v_cmp_lt_u32_e32 vcc_lo, 3, v0
	s_delay_alu instid0(VALU_DEP_2) | instskip(NEXT) | instid1(VALU_DEP_1)
	v_add_nc_u32_e32 v3, v3, v4
	v_mov_b32_dpp v4, v3 row_shr:4 row_mask:0xf bank_mask:0xf
	s_delay_alu instid0(VALU_DEP_1) | instskip(NEXT) | instid1(VALU_DEP_1)
	v_cndmask_b32_e32 v4, 0, v4, vcc_lo
	v_add_nc_u32_e32 v3, v3, v4
	ds_store_b32 v69, v3
.LBB948_100:                            ;   in Loop: Header=BB948_20 Depth=1
	s_or_b32 exec_lo, exec_lo, s11
	v_mov_b32_e32 v3, 0
	s_waitcnt lgkmcnt(0)
	s_barrier
	buffer_gl0_inv
	s_and_saveexec_b32 s11, s5
	s_cbranch_execz .LBB948_102
; %bb.101:                              ;   in Loop: Header=BB948_20 Depth=1
	ds_load_b32 v3, v70
.LBB948_102:                            ;   in Loop: Header=BB948_20 Depth=1
	s_or_b32 exec_lo, exec_lo, s11
	v_add_nc_u32_e32 v4, -1, v100
	s_waitcnt lgkmcnt(0)
	v_add_nc_u32_e32 v2, v3, v2
	v_cmp_eq_u32_e64 s11, 0, v100
	s_barrier
	v_cmp_gt_i32_e32 vcc_lo, 0, v4
	buffer_gl0_inv
	v_cndmask_b32_e32 v4, v4, v100, vcc_lo
	s_delay_alu instid0(VALU_DEP_1)
	v_lshlrev_b32_e32 v101, 2, v4
	ds_bpermute_b32 v2, v101, v2
	s_and_saveexec_b32 s12, s2
	s_cbranch_execz .LBB948_104
; %bb.103:                              ;   in Loop: Header=BB948_20 Depth=1
	s_waitcnt lgkmcnt(0)
	v_cndmask_b32_e64 v2, v2, v3, s11
	s_delay_alu instid0(VALU_DEP_1)
	v_add_nc_u32_e32 v2, s62, v2
	ds_store_b32 v47, v2
.LBB948_104:                            ;   in Loop: Header=BB948_20 Depth=1
	s_or_b32 exec_lo, exec_lo, s12
	s_clause 0x1
	s_load_b32 s12, s[60:61], 0x4
	s_load_b32 s17, s[60:61], 0xc
	v_lshlrev_b32_e32 v3, 3, v100
	v_cmp_lt_u32_e64 s16, 3, v0
	v_or_b32_e32 v102, v100, v71
	s_mov_b32 s56, s64
	s_mov_b32 s34, s62
	v_add_co_u32 v103, vcc_lo, v78, v3
	v_add_co_ci_u32_e32 v104, vcc_lo, 0, v79, vcc_lo
	v_or_b32_e32 v105, 32, v102
	v_or_b32_e32 v106, 64, v102
	;; [unrolled: 1-line block ×9, first 2 shown]
	s_waitcnt lgkmcnt(0)
	s_cmp_lt_u32 s15, s12
	v_or_b32_e32 v114, 0x140, v102
	s_cselect_b32 s12, 14, 20
	v_or_b32_e32 v115, 0x160, v102
	s_add_u32 s12, s60, s12
	s_addc_u32 s13, s61, 0
	s_and_b32 s17, s17, 0xffff
	global_load_u16 v2, v20, s[12:13]
	v_cmp_eq_u32_e64 s12, 0, v0
	v_cmp_lt_u32_e64 s13, 1, v0
	v_lshlrev_b32_e32 v0, 1, v100
	v_or_b32_e32 v116, 0x180, v102
	v_or_b32_e32 v117, 0x1a0, v102
	;; [unrolled: 1-line block ×4, first 2 shown]
	v_add_co_u32 v120, vcc_lo, v80, v0
	v_add_co_ci_u32_e32 v121, vcc_lo, 0, v81, vcc_lo
                                        ; implicit-def: $vgpr10_vgpr11
                                        ; implicit-def: $vgpr12_vgpr13
                                        ; implicit-def: $vgpr14_vgpr15
                                        ; implicit-def: $vgpr16_vgpr17
                                        ; implicit-def: $vgpr21_vgpr22
                                        ; implicit-def: $vgpr23_vgpr24
                                        ; implicit-def: $vgpr25_vgpr26
                                        ; implicit-def: $vgpr27_vgpr28
                                        ; implicit-def: $vgpr29_vgpr30
                                        ; implicit-def: $vgpr31_vgpr32
                                        ; implicit-def: $vgpr33_vgpr34
                                        ; implicit-def: $vgpr35_vgpr36
                                        ; implicit-def: $vgpr37_vgpr38
                                        ; implicit-def: $vgpr39_vgpr40
                                        ; implicit-def: $vgpr41_vgpr42
                                        ; implicit-def: $vgpr43_vgpr44
                                        ; implicit-def: $vgpr125
                                        ; implicit-def: $vgpr126
                                        ; implicit-def: $vgpr127
                                        ; implicit-def: $vgpr128
                                        ; implicit-def: $vgpr129
                                        ; implicit-def: $vgpr130
                                        ; implicit-def: $vgpr131
                                        ; implicit-def: $vgpr132
                                        ; implicit-def: $vgpr133
                                        ; implicit-def: $vgpr134
                                        ; implicit-def: $vgpr135
                                        ; implicit-def: $vgpr136
                                        ; implicit-def: $vgpr137
                                        ; implicit-def: $vgpr138
                                        ; implicit-def: $vgpr139
                                        ; implicit-def: $vgpr140
                                        ; implicit-def: $vgpr9
	s_delay_alu instid0(VALU_DEP_2) | instskip(NEXT) | instid1(VALU_DEP_2)
	v_add_co_u32 v123, vcc_lo, 0x3c0, v120
	v_add_co_ci_u32_e32 v124, vcc_lo, 0, v121, vcc_lo
	s_waitcnt vmcnt(0)
	v_mad_u32_u24 v4, v72, v2, v74
	s_delay_alu instid0(VALU_DEP_1) | instskip(NEXT) | instid1(VALU_DEP_1)
	v_mad_u64_u32 v[2:3], null, v4, s17, v[18:19]
	v_lshrrev_b32_e32 v122, 5, v2
	s_branch .LBB948_106
.LBB948_105:                            ;   in Loop: Header=BB948_106 Depth=2
	s_or_b32 exec_lo, exec_lo, s17
	s_addk_i32 s56, 0xf000
	s_cmp_lt_u32 s65, s63
	s_mov_b32 s34, s65
	s_cbranch_scc0 .LBB948_314
.LBB948_106:                            ;   Parent Loop BB948_20 Depth=1
                                        ; =>  This Inner Loop Header: Depth=2
	s_add_i32 s65, s34, 0x1000
	s_delay_alu instid0(SALU_CYCLE_1)
	s_cmp_gt_u32 s65, s63
	s_cbranch_scc1 .LBB948_108
; %bb.107:                              ;   in Loop: Header=BB948_106 Depth=2
	s_mov_b32 s19, 0
	s_mov_b32 s18, s34
	s_movk_i32 s17, 0x1000
	s_lshl_b64 s[20:21], s[18:19], 1
	s_delay_alu instid0(SALU_CYCLE_1)
	v_add_co_u32 v45, vcc_lo, v120, s20
	v_add_co_ci_u32_e32 v46, vcc_lo, s21, v121, vcc_lo
	s_mov_b32 s20, -1
	s_clause 0xe
	global_load_u16 v2, v[45:46], off
	global_load_u16 v3, v[45:46], off offset:128
	global_load_u16 v4, v[45:46], off offset:256
	;; [unrolled: 1-line block ×6, first 2 shown]
	global_load_d16_b16 v9, v[45:46], off offset:896
	global_load_d16_hi_b16 v2, v[45:46], off offset:64
	global_load_d16_hi_b16 v3, v[45:46], off offset:192
	global_load_d16_hi_b16 v4, v[45:46], off offset:320
	global_load_d16_hi_b16 v5, v[45:46], off offset:448
	global_load_d16_hi_b16 v6, v[45:46], off offset:576
	global_load_d16_hi_b16 v7, v[45:46], off offset:704
	global_load_d16_hi_b16 v8, v[45:46], off offset:832
	s_cbranch_execz .LBB948_109
	s_branch .LBB948_126
.LBB948_108:                            ;   in Loop: Header=BB948_106 Depth=2
	s_mov_b32 s19, -1
	s_mov_b32 s20, 0
                                        ; implicit-def: $sgpr17
                                        ; implicit-def: $vgpr2_vgpr3_vgpr4_vgpr5_vgpr6_vgpr7_vgpr8_vgpr9
.LBB948_109:                            ;   in Loop: Header=BB948_106 Depth=2
	s_lshl_b64 s[18:19], s[34:35], 1
	s_mov_b32 s45, s44
	v_add_co_u32 v45, vcc_lo, v120, s18
	s_mov_b32 s46, s44
	s_mov_b32 s47, s44
	;; [unrolled: 1-line block ×6, first 2 shown]
	s_waitcnt vmcnt(0)
	v_dual_mov_b32 v2, s44 :: v_dual_mov_b32 v3, s45
	v_add_co_ci_u32_e32 v46, vcc_lo, s19, v121, vcc_lo
	v_dual_mov_b32 v4, s46 :: v_dual_mov_b32 v5, s47
	v_dual_mov_b32 v6, s48 :: v_dual_mov_b32 v7, s49
	;; [unrolled: 1-line block ×3, first 2 shown]
	s_mov_b32 s17, exec_lo
	v_cmpx_gt_u32_e64 s56, v102
	s_cbranch_execz .LBB948_300
; %bb.110:                              ;   in Loop: Header=BB948_106 Depth=2
	v_bfrev_b32_e32 v0, 1
	v_mov_b32_e32 v7, v1
	v_mov_b32_e32 v2, v1
	;; [unrolled: 1-line block ×4, first 2 shown]
	global_load_d16_b16 v0, v[45:46], off
	v_mov_b32_e32 v5, v1
	v_mov_b32_e32 v6, v1
	s_waitcnt vmcnt(0)
	v_mov_b32_e32 v9, v7
	s_delay_alu instid0(VALU_DEP_2)
	v_dual_mov_b32 v8, v6 :: v_dual_mov_b32 v7, v5
	v_mov_b32_e32 v6, v4
	v_mov_b32_e32 v5, v3
	;; [unrolled: 1-line block ×5, first 2 shown]
	s_or_b32 exec_lo, exec_lo, s17
	s_delay_alu instid0(SALU_CYCLE_1)
	s_mov_b32 s17, exec_lo
	v_cmpx_gt_u32_e64 s56, v105
	s_cbranch_execnz .LBB948_301
.LBB948_111:                            ;   in Loop: Header=BB948_106 Depth=2
	s_or_b32 exec_lo, exec_lo, s17
	s_delay_alu instid0(SALU_CYCLE_1)
	s_mov_b32 s17, exec_lo
	v_cmpx_gt_u32_e64 s56, v106
	s_cbranch_execz .LBB948_302
.LBB948_112:                            ;   in Loop: Header=BB948_106 Depth=2
	global_load_d16_b16 v3, v[45:46], off offset:128
	s_or_b32 exec_lo, exec_lo, s17
	s_delay_alu instid0(SALU_CYCLE_1)
	s_mov_b32 s17, exec_lo
	v_cmpx_gt_u32_e64 s56, v107
	s_cbranch_execnz .LBB948_303
.LBB948_113:                            ;   in Loop: Header=BB948_106 Depth=2
	s_or_b32 exec_lo, exec_lo, s17
	s_delay_alu instid0(SALU_CYCLE_1)
	s_mov_b32 s17, exec_lo
	v_cmpx_gt_u32_e64 s56, v108
	s_cbranch_execz .LBB948_304
.LBB948_114:                            ;   in Loop: Header=BB948_106 Depth=2
	global_load_d16_b16 v4, v[45:46], off offset:256
	s_or_b32 exec_lo, exec_lo, s17
	s_delay_alu instid0(SALU_CYCLE_1)
	s_mov_b32 s17, exec_lo
	v_cmpx_gt_u32_e64 s56, v109
	s_cbranch_execnz .LBB948_305
.LBB948_115:                            ;   in Loop: Header=BB948_106 Depth=2
	s_or_b32 exec_lo, exec_lo, s17
	s_delay_alu instid0(SALU_CYCLE_1)
	s_mov_b32 s17, exec_lo
	v_cmpx_gt_u32_e64 s56, v110
	s_cbranch_execz .LBB948_306
.LBB948_116:                            ;   in Loop: Header=BB948_106 Depth=2
	global_load_d16_b16 v5, v[45:46], off offset:384
	s_or_b32 exec_lo, exec_lo, s17
	s_delay_alu instid0(SALU_CYCLE_1)
	s_mov_b32 s17, exec_lo
	v_cmpx_gt_u32_e64 s56, v111
	s_cbranch_execnz .LBB948_307
.LBB948_117:                            ;   in Loop: Header=BB948_106 Depth=2
	s_or_b32 exec_lo, exec_lo, s17
	s_delay_alu instid0(SALU_CYCLE_1)
	s_mov_b32 s17, exec_lo
	v_cmpx_gt_u32_e64 s56, v112
	s_cbranch_execz .LBB948_308
.LBB948_118:                            ;   in Loop: Header=BB948_106 Depth=2
	global_load_d16_b16 v6, v[45:46], off offset:512
	s_or_b32 exec_lo, exec_lo, s17
	s_delay_alu instid0(SALU_CYCLE_1)
	s_mov_b32 s17, exec_lo
	v_cmpx_gt_u32_e64 s56, v113
	s_cbranch_execnz .LBB948_309
.LBB948_119:                            ;   in Loop: Header=BB948_106 Depth=2
	s_or_b32 exec_lo, exec_lo, s17
	s_delay_alu instid0(SALU_CYCLE_1)
	s_mov_b32 s17, exec_lo
	v_cmpx_gt_u32_e64 s56, v114
	s_cbranch_execz .LBB948_310
.LBB948_120:                            ;   in Loop: Header=BB948_106 Depth=2
	global_load_d16_b16 v7, v[45:46], off offset:640
	s_or_b32 exec_lo, exec_lo, s17
	s_delay_alu instid0(SALU_CYCLE_1)
	s_mov_b32 s17, exec_lo
	v_cmpx_gt_u32_e64 s56, v115
	s_cbranch_execnz .LBB948_311
.LBB948_121:                            ;   in Loop: Header=BB948_106 Depth=2
	s_or_b32 exec_lo, exec_lo, s17
	s_delay_alu instid0(SALU_CYCLE_1)
	s_mov_b32 s17, exec_lo
	v_cmpx_gt_u32_e64 s56, v116
	s_cbranch_execz .LBB948_312
.LBB948_122:                            ;   in Loop: Header=BB948_106 Depth=2
	global_load_d16_b16 v8, v[45:46], off offset:768
	s_or_b32 exec_lo, exec_lo, s17
	s_delay_alu instid0(SALU_CYCLE_1)
	s_mov_b32 s17, exec_lo
	v_cmpx_gt_u32_e64 s56, v117
	s_cbranch_execnz .LBB948_313
.LBB948_123:                            ;   in Loop: Header=BB948_106 Depth=2
	s_or_b32 exec_lo, exec_lo, s17
	s_delay_alu instid0(SALU_CYCLE_1)
	s_mov_b32 s17, exec_lo
	v_cmpx_gt_u32_e64 s56, v118
	s_cbranch_execz .LBB948_125
.LBB948_124:                            ;   in Loop: Header=BB948_106 Depth=2
	global_load_d16_b16 v9, v[45:46], off offset:896
.LBB948_125:                            ;   in Loop: Header=BB948_106 Depth=2
	s_or_b32 exec_lo, exec_lo, s17
	v_cmp_gt_u32_e64 s20, s56, v119
	s_sub_i32 s17, s63, s34
	s_mov_b64 s[18:19], s[34:35]
.LBB948_126:                            ;   in Loop: Header=BB948_106 Depth=2
	v_mov_b32_e32 v0, s56
	s_delay_alu instid0(VALU_DEP_2)
	s_and_saveexec_b32 s21, s20
	s_cbranch_execz .LBB948_128
; %bb.127:                              ;   in Loop: Header=BB948_106 Depth=2
	s_lshl_b64 s[18:19], s[18:19], 1
	v_mov_b32_e32 v0, s17
	v_add_co_u32 v45, vcc_lo, v123, s18
	v_add_co_ci_u32_e32 v46, vcc_lo, s19, v124, vcc_lo
	global_load_d16_hi_b16 v9, v[45:46], off
.LBB948_128:                            ;   in Loop: Header=BB948_106 Depth=2
	s_or_b32 exec_lo, exec_lo, s21
	s_waitcnt vmcnt(0)
	v_xor_b32_e32 v19, 0x7fff7fff, v2
	ds_store_b32 v73, v20 offset:1056
	ds_store_2addr_b32 v75, v20, v20 offset0:1 offset1:2
	ds_store_2addr_b32 v75, v20, v20 offset0:3 offset1:4
	;; [unrolled: 1-line block ×4, first 2 shown]
	s_waitcnt lgkmcnt(0)
	s_barrier
	v_and_b32_e32 v2, 0xffff, v19
	buffer_gl0_inv
	; wave barrier
	v_lshrrev_b32_e32 v2, s42, v2
	s_delay_alu instid0(VALU_DEP_1) | instskip(NEXT) | instid1(VALU_DEP_1)
	v_and_b32_e32 v45, s43, v2
	v_and_b32_e32 v2, 1, v45
	v_lshlrev_b32_e32 v46, 30, v45
	v_lshlrev_b32_e32 v141, 29, v45
	;; [unrolled: 1-line block ×4, first 2 shown]
	v_add_co_u32 v2, s17, v2, -1
	s_delay_alu instid0(VALU_DEP_1)
	v_cndmask_b32_e64 v143, 0, 1, s17
	v_not_b32_e32 v147, v46
	v_cmp_gt_i32_e64 s17, 0, v46
	v_not_b32_e32 v46, v141
	v_lshlrev_b32_e32 v145, 26, v45
	v_cmp_ne_u32_e32 vcc_lo, 0, v143
	v_ashrrev_i32_e32 v147, 31, v147
	v_lshlrev_b32_e32 v146, 25, v45
	v_ashrrev_i32_e32 v46, 31, v46
	v_lshlrev_b32_e32 v143, 24, v45
	v_xor_b32_e32 v2, vcc_lo, v2
	v_cmp_gt_i32_e32 vcc_lo, 0, v141
	v_not_b32_e32 v141, v142
	v_xor_b32_e32 v147, s17, v147
	v_cmp_gt_i32_e64 s17, 0, v142
	v_and_b32_e32 v2, exec_lo, v2
	v_not_b32_e32 v142, v144
	v_ashrrev_i32_e32 v141, 31, v141
	v_xor_b32_e32 v46, vcc_lo, v46
	v_cmp_gt_i32_e32 vcc_lo, 0, v144
	v_and_b32_e32 v2, v2, v147
	v_not_b32_e32 v144, v145
	v_ashrrev_i32_e32 v142, 31, v142
	v_xor_b32_e32 v141, s17, v141
	v_cmp_gt_i32_e64 s17, 0, v145
	v_and_b32_e32 v2, v2, v46
	v_not_b32_e32 v46, v146
	v_ashrrev_i32_e32 v144, 31, v144
	v_xor_b32_e32 v142, vcc_lo, v142
	v_cmp_gt_i32_e32 vcc_lo, 0, v146
	v_and_b32_e32 v2, v2, v141
	v_not_b32_e32 v141, v143
	v_ashrrev_i32_e32 v46, 31, v46
	v_xor_b32_e32 v144, s17, v144
	v_cmp_gt_i32_e64 s17, 0, v143
	v_and_b32_e32 v2, v2, v142
	v_ashrrev_i32_e32 v141, 31, v141
	v_xor_b32_e32 v46, vcc_lo, v46
	v_mad_u32_u24 v45, v45, 9, v122
	s_delay_alu instid0(VALU_DEP_4) | instskip(NEXT) | instid1(VALU_DEP_4)
	v_and_b32_e32 v2, v2, v144
	v_xor_b32_e32 v141, s17, v141
	s_delay_alu instid0(VALU_DEP_3) | instskip(NEXT) | instid1(VALU_DEP_3)
	v_lshl_add_u32 v143, v45, 2, 0x420
	v_and_b32_e32 v2, v2, v46
	s_delay_alu instid0(VALU_DEP_1) | instskip(NEXT) | instid1(VALU_DEP_1)
	v_and_b32_e32 v2, v2, v141
	v_mbcnt_lo_u32_b32 v141, v2, 0
	v_cmp_ne_u32_e64 s17, 0, v2
	s_delay_alu instid0(VALU_DEP_2) | instskip(NEXT) | instid1(VALU_DEP_2)
	v_cmp_eq_u32_e32 vcc_lo, 0, v141
	s_and_b32 s18, s17, vcc_lo
	s_delay_alu instid0(SALU_CYCLE_1)
	s_and_saveexec_b32 s17, s18
	s_cbranch_execz .LBB948_130
; %bb.129:                              ;   in Loop: Header=BB948_106 Depth=2
	v_bcnt_u32_b32 v2, v2, 0
	ds_store_b32 v143, v2
.LBB948_130:                            ;   in Loop: Header=BB948_106 Depth=2
	s_or_b32 exec_lo, exec_lo, s17
	v_lshrrev_b32_e32 v142, 16, v19
	; wave barrier
	s_delay_alu instid0(VALU_DEP_1) | instskip(NEXT) | instid1(VALU_DEP_1)
	v_lshrrev_b32_e32 v2, s42, v142
	v_and_b32_e32 v2, s43, v2
	s_delay_alu instid0(VALU_DEP_1)
	v_and_b32_e32 v45, 1, v2
	v_lshlrev_b32_e32 v46, 30, v2
	v_lshlrev_b32_e32 v144, 29, v2
	;; [unrolled: 1-line block ×4, first 2 shown]
	v_add_co_u32 v45, s17, v45, -1
	s_delay_alu instid0(VALU_DEP_1)
	v_cndmask_b32_e64 v146, 0, 1, s17
	v_not_b32_e32 v150, v46
	v_cmp_gt_i32_e64 s17, 0, v46
	v_not_b32_e32 v46, v144
	v_lshlrev_b32_e32 v148, 26, v2
	v_cmp_ne_u32_e32 vcc_lo, 0, v146
	v_ashrrev_i32_e32 v150, 31, v150
	v_lshlrev_b32_e32 v149, 25, v2
	v_ashrrev_i32_e32 v46, 31, v46
	v_lshlrev_b32_e32 v146, 24, v2
	v_xor_b32_e32 v45, vcc_lo, v45
	v_cmp_gt_i32_e32 vcc_lo, 0, v144
	v_not_b32_e32 v144, v145
	v_xor_b32_e32 v150, s17, v150
	v_cmp_gt_i32_e64 s17, 0, v145
	v_and_b32_e32 v45, exec_lo, v45
	v_not_b32_e32 v145, v147
	v_ashrrev_i32_e32 v144, 31, v144
	v_xor_b32_e32 v46, vcc_lo, v46
	v_cmp_gt_i32_e32 vcc_lo, 0, v147
	v_and_b32_e32 v45, v45, v150
	v_not_b32_e32 v147, v148
	v_ashrrev_i32_e32 v145, 31, v145
	v_xor_b32_e32 v144, s17, v144
	v_cmp_gt_i32_e64 s17, 0, v148
	v_and_b32_e32 v45, v45, v46
	v_not_b32_e32 v46, v149
	v_ashrrev_i32_e32 v147, 31, v147
	v_xor_b32_e32 v145, vcc_lo, v145
	v_cmp_gt_i32_e32 vcc_lo, 0, v149
	v_and_b32_e32 v45, v45, v144
	v_not_b32_e32 v144, v146
	v_ashrrev_i32_e32 v46, 31, v46
	v_xor_b32_e32 v147, s17, v147
	v_mul_u32_u24_e32 v2, 9, v2
	v_and_b32_e32 v45, v45, v145
	v_cmp_gt_i32_e64 s17, 0, v146
	v_ashrrev_i32_e32 v144, 31, v144
	v_xor_b32_e32 v46, vcc_lo, v46
	s_delay_alu instid0(VALU_DEP_4) | instskip(SKIP_1) | instid1(VALU_DEP_4)
	v_and_b32_e32 v45, v45, v147
	v_add_lshl_u32 v147, v2, v122, 2
	v_xor_b32_e32 v2, s17, v144
	s_delay_alu instid0(VALU_DEP_3) | instskip(SKIP_3) | instid1(VALU_DEP_1)
	v_and_b32_e32 v45, v45, v46
	ds_load_b32 v145, v147 offset:1056
	v_add_nc_u32_e32 v147, 0x420, v147
	; wave barrier
	v_and_b32_e32 v2, v45, v2
	v_mbcnt_lo_u32_b32 v146, v2, 0
	v_cmp_ne_u32_e64 s17, 0, v2
	s_delay_alu instid0(VALU_DEP_2) | instskip(NEXT) | instid1(VALU_DEP_2)
	v_cmp_eq_u32_e32 vcc_lo, 0, v146
	s_and_b32 s18, s17, vcc_lo
	s_delay_alu instid0(SALU_CYCLE_1)
	s_and_saveexec_b32 s17, s18
	s_cbranch_execz .LBB948_132
; %bb.131:                              ;   in Loop: Header=BB948_106 Depth=2
	s_waitcnt lgkmcnt(0)
	v_bcnt_u32_b32 v2, v2, v145
	ds_store_b32 v147, v2
.LBB948_132:                            ;   in Loop: Header=BB948_106 Depth=2
	s_or_b32 exec_lo, exec_lo, s17
	v_xor_b32_e32 v144, 0x7fff7fff, v3
	; wave barrier
	s_delay_alu instid0(VALU_DEP_1) | instskip(NEXT) | instid1(VALU_DEP_1)
	v_and_b32_e32 v2, 0xffff, v144
	v_lshrrev_b32_e32 v2, s42, v2
	s_delay_alu instid0(VALU_DEP_1) | instskip(NEXT) | instid1(VALU_DEP_1)
	v_and_b32_e32 v2, s43, v2
	v_and_b32_e32 v3, 1, v2
	v_lshlrev_b32_e32 v45, 30, v2
	v_lshlrev_b32_e32 v46, 29, v2
	;; [unrolled: 1-line block ×4, first 2 shown]
	v_add_co_u32 v3, s17, v3, -1
	s_delay_alu instid0(VALU_DEP_1)
	v_cndmask_b32_e64 v149, 0, 1, s17
	v_not_b32_e32 v153, v45
	v_cmp_gt_i32_e64 s17, 0, v45
	v_not_b32_e32 v45, v46
	v_lshlrev_b32_e32 v151, 26, v2
	v_cmp_ne_u32_e32 vcc_lo, 0, v149
	v_ashrrev_i32_e32 v153, 31, v153
	v_lshlrev_b32_e32 v152, 25, v2
	v_ashrrev_i32_e32 v45, 31, v45
	v_lshlrev_b32_e32 v149, 24, v2
	v_xor_b32_e32 v3, vcc_lo, v3
	v_cmp_gt_i32_e32 vcc_lo, 0, v46
	v_not_b32_e32 v46, v148
	v_xor_b32_e32 v153, s17, v153
	v_cmp_gt_i32_e64 s17, 0, v148
	v_and_b32_e32 v3, exec_lo, v3
	v_not_b32_e32 v148, v150
	v_ashrrev_i32_e32 v46, 31, v46
	v_xor_b32_e32 v45, vcc_lo, v45
	v_cmp_gt_i32_e32 vcc_lo, 0, v150
	v_and_b32_e32 v3, v3, v153
	v_not_b32_e32 v150, v151
	v_ashrrev_i32_e32 v148, 31, v148
	v_xor_b32_e32 v46, s17, v46
	v_cmp_gt_i32_e64 s17, 0, v151
	v_and_b32_e32 v3, v3, v45
	v_not_b32_e32 v45, v152
	v_ashrrev_i32_e32 v150, 31, v150
	v_xor_b32_e32 v148, vcc_lo, v148
	v_cmp_gt_i32_e32 vcc_lo, 0, v152
	v_and_b32_e32 v3, v3, v46
	v_not_b32_e32 v46, v149
	v_ashrrev_i32_e32 v45, 31, v45
	v_xor_b32_e32 v150, s17, v150
	v_mul_u32_u24_e32 v2, 9, v2
	v_and_b32_e32 v3, v3, v148
	v_cmp_gt_i32_e64 s17, 0, v149
	v_ashrrev_i32_e32 v46, 31, v46
	v_xor_b32_e32 v45, vcc_lo, v45
	v_add_lshl_u32 v148, v2, v122, 2
	v_and_b32_e32 v3, v3, v150
	s_delay_alu instid0(VALU_DEP_4) | instskip(SKIP_3) | instid1(VALU_DEP_2)
	v_xor_b32_e32 v2, s17, v46
	ds_load_b32 v149, v148 offset:1056
	v_and_b32_e32 v3, v3, v45
	v_add_nc_u32_e32 v151, 0x420, v148
	; wave barrier
	v_and_b32_e32 v2, v3, v2
	s_delay_alu instid0(VALU_DEP_1) | instskip(SKIP_1) | instid1(VALU_DEP_2)
	v_mbcnt_lo_u32_b32 v150, v2, 0
	v_cmp_ne_u32_e64 s17, 0, v2
	v_cmp_eq_u32_e32 vcc_lo, 0, v150
	s_delay_alu instid0(VALU_DEP_2) | instskip(NEXT) | instid1(SALU_CYCLE_1)
	s_and_b32 s18, s17, vcc_lo
	s_and_saveexec_b32 s17, s18
	s_cbranch_execz .LBB948_134
; %bb.133:                              ;   in Loop: Header=BB948_106 Depth=2
	s_waitcnt lgkmcnt(0)
	v_bcnt_u32_b32 v2, v2, v149
	ds_store_b32 v151, v2
.LBB948_134:                            ;   in Loop: Header=BB948_106 Depth=2
	s_or_b32 exec_lo, exec_lo, s17
	v_lshrrev_b32_e32 v148, 16, v144
	; wave barrier
	s_delay_alu instid0(VALU_DEP_1) | instskip(NEXT) | instid1(VALU_DEP_1)
	v_lshrrev_b32_e32 v2, s42, v148
	v_and_b32_e32 v2, s43, v2
	s_delay_alu instid0(VALU_DEP_1)
	v_and_b32_e32 v3, 1, v2
	v_lshlrev_b32_e32 v45, 30, v2
	v_lshlrev_b32_e32 v46, 29, v2
	;; [unrolled: 1-line block ×4, first 2 shown]
	v_add_co_u32 v3, s17, v3, -1
	s_delay_alu instid0(VALU_DEP_1)
	v_cndmask_b32_e64 v153, 0, 1, s17
	v_not_b32_e32 v157, v45
	v_cmp_gt_i32_e64 s17, 0, v45
	v_not_b32_e32 v45, v46
	v_lshlrev_b32_e32 v155, 26, v2
	v_cmp_ne_u32_e32 vcc_lo, 0, v153
	v_ashrrev_i32_e32 v157, 31, v157
	v_lshlrev_b32_e32 v156, 25, v2
	v_ashrrev_i32_e32 v45, 31, v45
	v_lshlrev_b32_e32 v153, 24, v2
	v_xor_b32_e32 v3, vcc_lo, v3
	v_cmp_gt_i32_e32 vcc_lo, 0, v46
	v_not_b32_e32 v46, v152
	v_xor_b32_e32 v157, s17, v157
	v_cmp_gt_i32_e64 s17, 0, v152
	v_and_b32_e32 v3, exec_lo, v3
	v_not_b32_e32 v152, v154
	v_ashrrev_i32_e32 v46, 31, v46
	v_xor_b32_e32 v45, vcc_lo, v45
	v_cmp_gt_i32_e32 vcc_lo, 0, v154
	v_and_b32_e32 v3, v3, v157
	v_not_b32_e32 v154, v155
	v_ashrrev_i32_e32 v152, 31, v152
	v_xor_b32_e32 v46, s17, v46
	v_cmp_gt_i32_e64 s17, 0, v155
	v_and_b32_e32 v3, v3, v45
	v_not_b32_e32 v45, v156
	v_ashrrev_i32_e32 v154, 31, v154
	v_xor_b32_e32 v152, vcc_lo, v152
	v_cmp_gt_i32_e32 vcc_lo, 0, v156
	v_and_b32_e32 v3, v3, v46
	v_not_b32_e32 v46, v153
	v_ashrrev_i32_e32 v45, 31, v45
	v_xor_b32_e32 v154, s17, v154
	v_mul_u32_u24_e32 v2, 9, v2
	v_and_b32_e32 v3, v3, v152
	v_cmp_gt_i32_e64 s17, 0, v153
	v_ashrrev_i32_e32 v46, 31, v46
	v_xor_b32_e32 v45, vcc_lo, v45
	v_add_lshl_u32 v152, v2, v122, 2
	v_and_b32_e32 v3, v3, v154
	s_delay_alu instid0(VALU_DEP_4) | instskip(SKIP_3) | instid1(VALU_DEP_2)
	v_xor_b32_e32 v2, s17, v46
	ds_load_b32 v153, v152 offset:1056
	v_and_b32_e32 v3, v3, v45
	v_add_nc_u32_e32 v155, 0x420, v152
	; wave barrier
	v_and_b32_e32 v2, v3, v2
	s_delay_alu instid0(VALU_DEP_1) | instskip(SKIP_1) | instid1(VALU_DEP_2)
	v_mbcnt_lo_u32_b32 v154, v2, 0
	v_cmp_ne_u32_e64 s17, 0, v2
	v_cmp_eq_u32_e32 vcc_lo, 0, v154
	s_delay_alu instid0(VALU_DEP_2) | instskip(NEXT) | instid1(SALU_CYCLE_1)
	s_and_b32 s18, s17, vcc_lo
	s_and_saveexec_b32 s17, s18
	s_cbranch_execz .LBB948_136
; %bb.135:                              ;   in Loop: Header=BB948_106 Depth=2
	s_waitcnt lgkmcnt(0)
	v_bcnt_u32_b32 v2, v2, v153
	ds_store_b32 v155, v2
.LBB948_136:                            ;   in Loop: Header=BB948_106 Depth=2
	s_or_b32 exec_lo, exec_lo, s17
	v_xor_b32_e32 v152, 0x7fff7fff, v4
	; wave barrier
	s_delay_alu instid0(VALU_DEP_1) | instskip(NEXT) | instid1(VALU_DEP_1)
	v_and_b32_e32 v2, 0xffff, v152
	v_lshrrev_b32_e32 v2, s42, v2
	s_delay_alu instid0(VALU_DEP_1) | instskip(NEXT) | instid1(VALU_DEP_1)
	v_and_b32_e32 v2, s43, v2
	v_and_b32_e32 v3, 1, v2
	v_lshlrev_b32_e32 v4, 30, v2
	v_lshlrev_b32_e32 v45, 29, v2
	;; [unrolled: 1-line block ×4, first 2 shown]
	v_add_co_u32 v3, s17, v3, -1
	s_delay_alu instid0(VALU_DEP_1)
	v_cndmask_b32_e64 v156, 0, 1, s17
	v_not_b32_e32 v160, v4
	v_cmp_gt_i32_e64 s17, 0, v4
	v_not_b32_e32 v4, v45
	v_lshlrev_b32_e32 v158, 26, v2
	v_cmp_ne_u32_e32 vcc_lo, 0, v156
	v_ashrrev_i32_e32 v160, 31, v160
	v_lshlrev_b32_e32 v159, 25, v2
	v_ashrrev_i32_e32 v4, 31, v4
	v_lshlrev_b32_e32 v156, 24, v2
	v_xor_b32_e32 v3, vcc_lo, v3
	v_cmp_gt_i32_e32 vcc_lo, 0, v45
	v_not_b32_e32 v45, v46
	v_xor_b32_e32 v160, s17, v160
	v_cmp_gt_i32_e64 s17, 0, v46
	v_and_b32_e32 v3, exec_lo, v3
	v_not_b32_e32 v46, v157
	v_ashrrev_i32_e32 v45, 31, v45
	v_xor_b32_e32 v4, vcc_lo, v4
	v_cmp_gt_i32_e32 vcc_lo, 0, v157
	v_and_b32_e32 v3, v3, v160
	v_not_b32_e32 v157, v158
	v_ashrrev_i32_e32 v46, 31, v46
	v_xor_b32_e32 v45, s17, v45
	v_cmp_gt_i32_e64 s17, 0, v158
	v_and_b32_e32 v3, v3, v4
	v_not_b32_e32 v4, v159
	v_ashrrev_i32_e32 v157, 31, v157
	v_xor_b32_e32 v46, vcc_lo, v46
	v_cmp_gt_i32_e32 vcc_lo, 0, v159
	v_and_b32_e32 v3, v3, v45
	v_not_b32_e32 v45, v156
	v_ashrrev_i32_e32 v4, 31, v4
	v_xor_b32_e32 v157, s17, v157
	v_mul_u32_u24_e32 v2, 9, v2
	v_and_b32_e32 v3, v3, v46
	v_cmp_gt_i32_e64 s17, 0, v156
	v_ashrrev_i32_e32 v45, 31, v45
	v_xor_b32_e32 v4, vcc_lo, v4
	v_add_lshl_u32 v46, v2, v122, 2
	v_and_b32_e32 v3, v3, v157
	s_delay_alu instid0(VALU_DEP_4) | instskip(SKIP_3) | instid1(VALU_DEP_2)
	v_xor_b32_e32 v2, s17, v45
	ds_load_b32 v157, v46 offset:1056
	v_and_b32_e32 v3, v3, v4
	v_add_nc_u32_e32 v159, 0x420, v46
	; wave barrier
	v_and_b32_e32 v2, v3, v2
	s_delay_alu instid0(VALU_DEP_1) | instskip(SKIP_1) | instid1(VALU_DEP_2)
	v_mbcnt_lo_u32_b32 v158, v2, 0
	v_cmp_ne_u32_e64 s17, 0, v2
	v_cmp_eq_u32_e32 vcc_lo, 0, v158
	s_delay_alu instid0(VALU_DEP_2) | instskip(NEXT) | instid1(SALU_CYCLE_1)
	s_and_b32 s18, s17, vcc_lo
	s_and_saveexec_b32 s17, s18
	s_cbranch_execz .LBB948_138
; %bb.137:                              ;   in Loop: Header=BB948_106 Depth=2
	s_waitcnt lgkmcnt(0)
	v_bcnt_u32_b32 v2, v2, v157
	ds_store_b32 v159, v2
.LBB948_138:                            ;   in Loop: Header=BB948_106 Depth=2
	s_or_b32 exec_lo, exec_lo, s17
	v_lshrrev_b32_e32 v156, 16, v152
	; wave barrier
	s_delay_alu instid0(VALU_DEP_1) | instskip(NEXT) | instid1(VALU_DEP_1)
	v_lshrrev_b32_e32 v2, s42, v156
	v_and_b32_e32 v2, s43, v2
	s_delay_alu instid0(VALU_DEP_1)
	v_and_b32_e32 v3, 1, v2
	v_lshlrev_b32_e32 v4, 30, v2
	v_lshlrev_b32_e32 v45, 29, v2
	v_lshlrev_b32_e32 v46, 28, v2
	v_lshlrev_b32_e32 v161, 27, v2
	v_add_co_u32 v3, s17, v3, -1
	s_delay_alu instid0(VALU_DEP_1)
	v_cndmask_b32_e64 v160, 0, 1, s17
	v_not_b32_e32 v164, v4
	v_cmp_gt_i32_e64 s17, 0, v4
	v_not_b32_e32 v4, v45
	v_lshlrev_b32_e32 v162, 26, v2
	v_cmp_ne_u32_e32 vcc_lo, 0, v160
	v_ashrrev_i32_e32 v164, 31, v164
	v_lshlrev_b32_e32 v163, 25, v2
	v_ashrrev_i32_e32 v4, 31, v4
	v_lshlrev_b32_e32 v160, 24, v2
	v_xor_b32_e32 v3, vcc_lo, v3
	v_cmp_gt_i32_e32 vcc_lo, 0, v45
	v_not_b32_e32 v45, v46
	v_xor_b32_e32 v164, s17, v164
	v_cmp_gt_i32_e64 s17, 0, v46
	v_and_b32_e32 v3, exec_lo, v3
	v_not_b32_e32 v46, v161
	v_ashrrev_i32_e32 v45, 31, v45
	v_xor_b32_e32 v4, vcc_lo, v4
	v_cmp_gt_i32_e32 vcc_lo, 0, v161
	v_and_b32_e32 v3, v3, v164
	v_not_b32_e32 v161, v162
	v_ashrrev_i32_e32 v46, 31, v46
	v_xor_b32_e32 v45, s17, v45
	v_cmp_gt_i32_e64 s17, 0, v162
	v_and_b32_e32 v3, v3, v4
	v_not_b32_e32 v4, v163
	v_ashrrev_i32_e32 v161, 31, v161
	v_xor_b32_e32 v46, vcc_lo, v46
	v_cmp_gt_i32_e32 vcc_lo, 0, v163
	v_and_b32_e32 v3, v3, v45
	v_not_b32_e32 v45, v160
	v_ashrrev_i32_e32 v4, 31, v4
	v_xor_b32_e32 v161, s17, v161
	v_mul_u32_u24_e32 v2, 9, v2
	v_and_b32_e32 v3, v3, v46
	v_cmp_gt_i32_e64 s17, 0, v160
	v_ashrrev_i32_e32 v45, 31, v45
	v_xor_b32_e32 v4, vcc_lo, v4
	v_add_lshl_u32 v46, v2, v122, 2
	v_and_b32_e32 v3, v3, v161
	s_delay_alu instid0(VALU_DEP_4) | instskip(SKIP_3) | instid1(VALU_DEP_2)
	v_xor_b32_e32 v2, s17, v45
	ds_load_b32 v161, v46 offset:1056
	v_and_b32_e32 v3, v3, v4
	v_add_nc_u32_e32 v163, 0x420, v46
	; wave barrier
	v_and_b32_e32 v2, v3, v2
	s_delay_alu instid0(VALU_DEP_1) | instskip(SKIP_1) | instid1(VALU_DEP_2)
	v_mbcnt_lo_u32_b32 v162, v2, 0
	v_cmp_ne_u32_e64 s17, 0, v2
	v_cmp_eq_u32_e32 vcc_lo, 0, v162
	s_delay_alu instid0(VALU_DEP_2) | instskip(NEXT) | instid1(SALU_CYCLE_1)
	s_and_b32 s18, s17, vcc_lo
	s_and_saveexec_b32 s17, s18
	s_cbranch_execz .LBB948_140
; %bb.139:                              ;   in Loop: Header=BB948_106 Depth=2
	s_waitcnt lgkmcnt(0)
	v_bcnt_u32_b32 v2, v2, v161
	ds_store_b32 v163, v2
.LBB948_140:                            ;   in Loop: Header=BB948_106 Depth=2
	s_or_b32 exec_lo, exec_lo, s17
	v_xor_b32_e32 v160, 0x7fff7fff, v5
	; wave barrier
	s_delay_alu instid0(VALU_DEP_1) | instskip(NEXT) | instid1(VALU_DEP_1)
	v_and_b32_e32 v2, 0xffff, v160
	v_lshrrev_b32_e32 v2, s42, v2
	s_delay_alu instid0(VALU_DEP_1) | instskip(NEXT) | instid1(VALU_DEP_1)
	v_and_b32_e32 v2, s43, v2
	v_and_b32_e32 v3, 1, v2
	v_lshlrev_b32_e32 v4, 30, v2
	v_lshlrev_b32_e32 v5, 29, v2
	;; [unrolled: 1-line block ×4, first 2 shown]
	v_add_co_u32 v3, s17, v3, -1
	s_delay_alu instid0(VALU_DEP_1)
	v_cndmask_b32_e64 v46, 0, 1, s17
	v_not_b32_e32 v167, v4
	v_cmp_gt_i32_e64 s17, 0, v4
	v_not_b32_e32 v4, v5
	v_lshlrev_b32_e32 v165, 26, v2
	v_cmp_ne_u32_e32 vcc_lo, 0, v46
	v_ashrrev_i32_e32 v167, 31, v167
	v_lshlrev_b32_e32 v166, 25, v2
	v_ashrrev_i32_e32 v4, 31, v4
	v_lshlrev_b32_e32 v46, 24, v2
	v_xor_b32_e32 v3, vcc_lo, v3
	v_cmp_gt_i32_e32 vcc_lo, 0, v5
	v_not_b32_e32 v5, v45
	v_xor_b32_e32 v167, s17, v167
	v_cmp_gt_i32_e64 s17, 0, v45
	v_and_b32_e32 v3, exec_lo, v3
	v_not_b32_e32 v45, v164
	v_ashrrev_i32_e32 v5, 31, v5
	v_xor_b32_e32 v4, vcc_lo, v4
	v_cmp_gt_i32_e32 vcc_lo, 0, v164
	v_and_b32_e32 v3, v3, v167
	v_not_b32_e32 v164, v165
	v_ashrrev_i32_e32 v45, 31, v45
	v_xor_b32_e32 v5, s17, v5
	v_cmp_gt_i32_e64 s17, 0, v165
	v_and_b32_e32 v3, v3, v4
	v_not_b32_e32 v4, v166
	v_ashrrev_i32_e32 v164, 31, v164
	v_xor_b32_e32 v45, vcc_lo, v45
	v_cmp_gt_i32_e32 vcc_lo, 0, v166
	v_and_b32_e32 v3, v3, v5
	v_not_b32_e32 v5, v46
	v_ashrrev_i32_e32 v4, 31, v4
	v_xor_b32_e32 v164, s17, v164
	v_mul_u32_u24_e32 v2, 9, v2
	v_and_b32_e32 v3, v3, v45
	v_cmp_gt_i32_e64 s17, 0, v46
	v_ashrrev_i32_e32 v5, 31, v5
	v_xor_b32_e32 v4, vcc_lo, v4
	v_add_lshl_u32 v45, v2, v122, 2
	v_and_b32_e32 v3, v3, v164
	s_delay_alu instid0(VALU_DEP_4) | instskip(SKIP_3) | instid1(VALU_DEP_2)
	v_xor_b32_e32 v2, s17, v5
	ds_load_b32 v165, v45 offset:1056
	v_and_b32_e32 v3, v3, v4
	v_add_nc_u32_e32 v167, 0x420, v45
	; wave barrier
	v_and_b32_e32 v2, v3, v2
	s_delay_alu instid0(VALU_DEP_1) | instskip(SKIP_1) | instid1(VALU_DEP_2)
	v_mbcnt_lo_u32_b32 v166, v2, 0
	v_cmp_ne_u32_e64 s17, 0, v2
	v_cmp_eq_u32_e32 vcc_lo, 0, v166
	s_delay_alu instid0(VALU_DEP_2) | instskip(NEXT) | instid1(SALU_CYCLE_1)
	s_and_b32 s18, s17, vcc_lo
	s_and_saveexec_b32 s17, s18
	s_cbranch_execz .LBB948_142
; %bb.141:                              ;   in Loop: Header=BB948_106 Depth=2
	s_waitcnt lgkmcnt(0)
	v_bcnt_u32_b32 v2, v2, v165
	ds_store_b32 v167, v2
.LBB948_142:                            ;   in Loop: Header=BB948_106 Depth=2
	s_or_b32 exec_lo, exec_lo, s17
	v_lshrrev_b32_e32 v164, 16, v160
	; wave barrier
	s_delay_alu instid0(VALU_DEP_1) | instskip(NEXT) | instid1(VALU_DEP_1)
	v_lshrrev_b32_e32 v2, s42, v164
	v_and_b32_e32 v2, s43, v2
	s_delay_alu instid0(VALU_DEP_1)
	v_and_b32_e32 v3, 1, v2
	v_lshlrev_b32_e32 v4, 30, v2
	v_lshlrev_b32_e32 v5, 29, v2
	;; [unrolled: 1-line block ×4, first 2 shown]
	v_add_co_u32 v3, s17, v3, -1
	s_delay_alu instid0(VALU_DEP_1)
	v_cndmask_b32_e64 v46, 0, 1, s17
	v_not_b32_e32 v171, v4
	v_cmp_gt_i32_e64 s17, 0, v4
	v_not_b32_e32 v4, v5
	v_lshlrev_b32_e32 v169, 26, v2
	v_cmp_ne_u32_e32 vcc_lo, 0, v46
	v_ashrrev_i32_e32 v171, 31, v171
	v_lshlrev_b32_e32 v170, 25, v2
	v_ashrrev_i32_e32 v4, 31, v4
	v_lshlrev_b32_e32 v46, 24, v2
	v_xor_b32_e32 v3, vcc_lo, v3
	v_cmp_gt_i32_e32 vcc_lo, 0, v5
	v_not_b32_e32 v5, v45
	v_xor_b32_e32 v171, s17, v171
	v_cmp_gt_i32_e64 s17, 0, v45
	v_and_b32_e32 v3, exec_lo, v3
	v_not_b32_e32 v45, v168
	v_ashrrev_i32_e32 v5, 31, v5
	v_xor_b32_e32 v4, vcc_lo, v4
	v_cmp_gt_i32_e32 vcc_lo, 0, v168
	v_and_b32_e32 v3, v3, v171
	v_not_b32_e32 v168, v169
	v_ashrrev_i32_e32 v45, 31, v45
	v_xor_b32_e32 v5, s17, v5
	v_cmp_gt_i32_e64 s17, 0, v169
	v_and_b32_e32 v3, v3, v4
	v_not_b32_e32 v4, v170
	v_ashrrev_i32_e32 v168, 31, v168
	v_xor_b32_e32 v45, vcc_lo, v45
	v_cmp_gt_i32_e32 vcc_lo, 0, v170
	v_and_b32_e32 v3, v3, v5
	v_not_b32_e32 v5, v46
	v_ashrrev_i32_e32 v4, 31, v4
	v_xor_b32_e32 v168, s17, v168
	v_mul_u32_u24_e32 v2, 9, v2
	v_and_b32_e32 v3, v3, v45
	v_cmp_gt_i32_e64 s17, 0, v46
	v_ashrrev_i32_e32 v5, 31, v5
	v_xor_b32_e32 v4, vcc_lo, v4
	v_add_lshl_u32 v45, v2, v122, 2
	v_and_b32_e32 v3, v3, v168
	s_delay_alu instid0(VALU_DEP_4) | instskip(SKIP_3) | instid1(VALU_DEP_2)
	v_xor_b32_e32 v2, s17, v5
	ds_load_b32 v169, v45 offset:1056
	v_and_b32_e32 v3, v3, v4
	v_add_nc_u32_e32 v171, 0x420, v45
	; wave barrier
	v_and_b32_e32 v2, v3, v2
	s_delay_alu instid0(VALU_DEP_1) | instskip(SKIP_1) | instid1(VALU_DEP_2)
	v_mbcnt_lo_u32_b32 v170, v2, 0
	v_cmp_ne_u32_e64 s17, 0, v2
	v_cmp_eq_u32_e32 vcc_lo, 0, v170
	s_delay_alu instid0(VALU_DEP_2) | instskip(NEXT) | instid1(SALU_CYCLE_1)
	s_and_b32 s18, s17, vcc_lo
	s_and_saveexec_b32 s17, s18
	s_cbranch_execz .LBB948_144
; %bb.143:                              ;   in Loop: Header=BB948_106 Depth=2
	s_waitcnt lgkmcnt(0)
	v_bcnt_u32_b32 v2, v2, v169
	ds_store_b32 v171, v2
.LBB948_144:                            ;   in Loop: Header=BB948_106 Depth=2
	s_or_b32 exec_lo, exec_lo, s17
	v_xor_b32_e32 v168, 0x7fff7fff, v6
	; wave barrier
	s_delay_alu instid0(VALU_DEP_1) | instskip(NEXT) | instid1(VALU_DEP_1)
	v_and_b32_e32 v2, 0xffff, v168
	v_lshrrev_b32_e32 v2, s42, v2
	s_delay_alu instid0(VALU_DEP_1) | instskip(NEXT) | instid1(VALU_DEP_1)
	v_and_b32_e32 v2, s43, v2
	v_and_b32_e32 v3, 1, v2
	v_lshlrev_b32_e32 v4, 30, v2
	v_lshlrev_b32_e32 v5, 29, v2
	;; [unrolled: 1-line block ×4, first 2 shown]
	v_add_co_u32 v3, s17, v3, -1
	s_delay_alu instid0(VALU_DEP_1)
	v_cndmask_b32_e64 v45, 0, 1, s17
	v_not_b32_e32 v174, v4
	v_cmp_gt_i32_e64 s17, 0, v4
	v_not_b32_e32 v4, v5
	v_lshlrev_b32_e32 v172, 26, v2
	v_cmp_ne_u32_e32 vcc_lo, 0, v45
	v_ashrrev_i32_e32 v174, 31, v174
	v_lshlrev_b32_e32 v173, 25, v2
	v_ashrrev_i32_e32 v4, 31, v4
	v_lshlrev_b32_e32 v45, 24, v2
	v_xor_b32_e32 v3, vcc_lo, v3
	v_cmp_gt_i32_e32 vcc_lo, 0, v5
	v_not_b32_e32 v5, v6
	v_xor_b32_e32 v174, s17, v174
	v_cmp_gt_i32_e64 s17, 0, v6
	v_and_b32_e32 v3, exec_lo, v3
	v_not_b32_e32 v6, v46
	v_ashrrev_i32_e32 v5, 31, v5
	v_xor_b32_e32 v4, vcc_lo, v4
	v_cmp_gt_i32_e32 vcc_lo, 0, v46
	v_and_b32_e32 v3, v3, v174
	v_not_b32_e32 v46, v172
	v_ashrrev_i32_e32 v6, 31, v6
	v_xor_b32_e32 v5, s17, v5
	v_cmp_gt_i32_e64 s17, 0, v172
	v_and_b32_e32 v3, v3, v4
	v_not_b32_e32 v4, v173
	v_ashrrev_i32_e32 v46, 31, v46
	v_xor_b32_e32 v6, vcc_lo, v6
	v_cmp_gt_i32_e32 vcc_lo, 0, v173
	v_and_b32_e32 v3, v3, v5
	v_not_b32_e32 v5, v45
	v_ashrrev_i32_e32 v4, 31, v4
	v_xor_b32_e32 v46, s17, v46
	v_mul_u32_u24_e32 v2, 9, v2
	v_and_b32_e32 v3, v3, v6
	v_cmp_gt_i32_e64 s17, 0, v45
	v_ashrrev_i32_e32 v5, 31, v5
	v_xor_b32_e32 v4, vcc_lo, v4
	v_add_lshl_u32 v6, v2, v122, 2
	v_and_b32_e32 v3, v3, v46
	s_delay_alu instid0(VALU_DEP_4) | instskip(SKIP_3) | instid1(VALU_DEP_2)
	v_xor_b32_e32 v2, s17, v5
	ds_load_b32 v173, v6 offset:1056
	v_and_b32_e32 v3, v3, v4
	v_add_nc_u32_e32 v175, 0x420, v6
	; wave barrier
	v_and_b32_e32 v2, v3, v2
	s_delay_alu instid0(VALU_DEP_1) | instskip(SKIP_1) | instid1(VALU_DEP_2)
	v_mbcnt_lo_u32_b32 v174, v2, 0
	v_cmp_ne_u32_e64 s17, 0, v2
	v_cmp_eq_u32_e32 vcc_lo, 0, v174
	s_delay_alu instid0(VALU_DEP_2) | instskip(NEXT) | instid1(SALU_CYCLE_1)
	s_and_b32 s18, s17, vcc_lo
	s_and_saveexec_b32 s17, s18
	s_cbranch_execz .LBB948_146
; %bb.145:                              ;   in Loop: Header=BB948_106 Depth=2
	s_waitcnt lgkmcnt(0)
	v_bcnt_u32_b32 v2, v2, v173
	ds_store_b32 v175, v2
.LBB948_146:                            ;   in Loop: Header=BB948_106 Depth=2
	s_or_b32 exec_lo, exec_lo, s17
	v_lshrrev_b32_e32 v172, 16, v168
	; wave barrier
	s_delay_alu instid0(VALU_DEP_1) | instskip(NEXT) | instid1(VALU_DEP_1)
	v_lshrrev_b32_e32 v2, s42, v172
	v_and_b32_e32 v2, s43, v2
	s_delay_alu instid0(VALU_DEP_1)
	v_and_b32_e32 v3, 1, v2
	v_lshlrev_b32_e32 v4, 30, v2
	v_lshlrev_b32_e32 v5, 29, v2
	;; [unrolled: 1-line block ×4, first 2 shown]
	v_add_co_u32 v3, s17, v3, -1
	s_delay_alu instid0(VALU_DEP_1)
	v_cndmask_b32_e64 v45, 0, 1, s17
	v_not_b32_e32 v178, v4
	v_cmp_gt_i32_e64 s17, 0, v4
	v_not_b32_e32 v4, v5
	v_lshlrev_b32_e32 v176, 26, v2
	v_cmp_ne_u32_e32 vcc_lo, 0, v45
	v_ashrrev_i32_e32 v178, 31, v178
	v_lshlrev_b32_e32 v177, 25, v2
	v_ashrrev_i32_e32 v4, 31, v4
	v_lshlrev_b32_e32 v45, 24, v2
	v_xor_b32_e32 v3, vcc_lo, v3
	v_cmp_gt_i32_e32 vcc_lo, 0, v5
	v_not_b32_e32 v5, v6
	v_xor_b32_e32 v178, s17, v178
	v_cmp_gt_i32_e64 s17, 0, v6
	v_and_b32_e32 v3, exec_lo, v3
	v_not_b32_e32 v6, v46
	v_ashrrev_i32_e32 v5, 31, v5
	v_xor_b32_e32 v4, vcc_lo, v4
	v_cmp_gt_i32_e32 vcc_lo, 0, v46
	v_and_b32_e32 v3, v3, v178
	v_not_b32_e32 v46, v176
	v_ashrrev_i32_e32 v6, 31, v6
	v_xor_b32_e32 v5, s17, v5
	v_cmp_gt_i32_e64 s17, 0, v176
	v_and_b32_e32 v3, v3, v4
	v_not_b32_e32 v4, v177
	v_ashrrev_i32_e32 v46, 31, v46
	v_xor_b32_e32 v6, vcc_lo, v6
	v_cmp_gt_i32_e32 vcc_lo, 0, v177
	v_and_b32_e32 v3, v3, v5
	v_not_b32_e32 v5, v45
	v_ashrrev_i32_e32 v4, 31, v4
	v_xor_b32_e32 v46, s17, v46
	v_mul_u32_u24_e32 v2, 9, v2
	v_and_b32_e32 v3, v3, v6
	v_cmp_gt_i32_e64 s17, 0, v45
	v_ashrrev_i32_e32 v5, 31, v5
	v_xor_b32_e32 v4, vcc_lo, v4
	v_add_lshl_u32 v6, v2, v122, 2
	v_and_b32_e32 v3, v3, v46
	s_delay_alu instid0(VALU_DEP_4) | instskip(SKIP_3) | instid1(VALU_DEP_2)
	v_xor_b32_e32 v2, s17, v5
	ds_load_b32 v177, v6 offset:1056
	v_and_b32_e32 v3, v3, v4
	v_add_nc_u32_e32 v179, 0x420, v6
	; wave barrier
	v_and_b32_e32 v2, v3, v2
	s_delay_alu instid0(VALU_DEP_1) | instskip(SKIP_1) | instid1(VALU_DEP_2)
	v_mbcnt_lo_u32_b32 v178, v2, 0
	v_cmp_ne_u32_e64 s17, 0, v2
	v_cmp_eq_u32_e32 vcc_lo, 0, v178
	s_delay_alu instid0(VALU_DEP_2) | instskip(NEXT) | instid1(SALU_CYCLE_1)
	s_and_b32 s18, s17, vcc_lo
	s_and_saveexec_b32 s17, s18
	s_cbranch_execz .LBB948_148
; %bb.147:                              ;   in Loop: Header=BB948_106 Depth=2
	s_waitcnt lgkmcnt(0)
	v_bcnt_u32_b32 v2, v2, v177
	ds_store_b32 v179, v2
.LBB948_148:                            ;   in Loop: Header=BB948_106 Depth=2
	s_or_b32 exec_lo, exec_lo, s17
	v_xor_b32_e32 v176, 0x7fff7fff, v7
	; wave barrier
	s_delay_alu instid0(VALU_DEP_1) | instskip(NEXT) | instid1(VALU_DEP_1)
	v_and_b32_e32 v2, 0xffff, v176
	v_lshrrev_b32_e32 v2, s42, v2
	s_delay_alu instid0(VALU_DEP_1) | instskip(NEXT) | instid1(VALU_DEP_1)
	v_and_b32_e32 v2, s43, v2
	v_and_b32_e32 v3, 1, v2
	v_lshlrev_b32_e32 v4, 30, v2
	v_lshlrev_b32_e32 v5, 29, v2
	;; [unrolled: 1-line block ×4, first 2 shown]
	v_add_co_u32 v3, s17, v3, -1
	s_delay_alu instid0(VALU_DEP_1)
	v_cndmask_b32_e64 v7, 0, 1, s17
	v_not_b32_e32 v181, v4
	v_cmp_gt_i32_e64 s17, 0, v4
	v_not_b32_e32 v4, v5
	v_lshlrev_b32_e32 v46, 26, v2
	v_cmp_ne_u32_e32 vcc_lo, 0, v7
	v_ashrrev_i32_e32 v181, 31, v181
	v_lshlrev_b32_e32 v180, 25, v2
	v_ashrrev_i32_e32 v4, 31, v4
	v_lshlrev_b32_e32 v7, 24, v2
	v_xor_b32_e32 v3, vcc_lo, v3
	v_cmp_gt_i32_e32 vcc_lo, 0, v5
	v_not_b32_e32 v5, v6
	v_xor_b32_e32 v181, s17, v181
	v_cmp_gt_i32_e64 s17, 0, v6
	v_and_b32_e32 v3, exec_lo, v3
	v_not_b32_e32 v6, v45
	v_ashrrev_i32_e32 v5, 31, v5
	v_xor_b32_e32 v4, vcc_lo, v4
	v_cmp_gt_i32_e32 vcc_lo, 0, v45
	v_and_b32_e32 v3, v3, v181
	v_not_b32_e32 v45, v46
	v_ashrrev_i32_e32 v6, 31, v6
	v_xor_b32_e32 v5, s17, v5
	v_cmp_gt_i32_e64 s17, 0, v46
	v_and_b32_e32 v3, v3, v4
	v_not_b32_e32 v4, v180
	v_ashrrev_i32_e32 v45, 31, v45
	v_xor_b32_e32 v6, vcc_lo, v6
	v_cmp_gt_i32_e32 vcc_lo, 0, v180
	v_and_b32_e32 v3, v3, v5
	v_not_b32_e32 v5, v7
	v_ashrrev_i32_e32 v4, 31, v4
	v_xor_b32_e32 v45, s17, v45
	v_mul_u32_u24_e32 v2, 9, v2
	v_and_b32_e32 v3, v3, v6
	v_cmp_gt_i32_e64 s17, 0, v7
	v_ashrrev_i32_e32 v5, 31, v5
	v_xor_b32_e32 v4, vcc_lo, v4
	v_add_lshl_u32 v6, v2, v122, 2
	v_and_b32_e32 v3, v3, v45
	s_delay_alu instid0(VALU_DEP_4) | instskip(SKIP_3) | instid1(VALU_DEP_2)
	v_xor_b32_e32 v2, s17, v5
	ds_load_b32 v181, v6 offset:1056
	v_and_b32_e32 v3, v3, v4
	v_add_nc_u32_e32 v183, 0x420, v6
	; wave barrier
	v_and_b32_e32 v2, v3, v2
	s_delay_alu instid0(VALU_DEP_1) | instskip(SKIP_1) | instid1(VALU_DEP_2)
	v_mbcnt_lo_u32_b32 v182, v2, 0
	v_cmp_ne_u32_e64 s17, 0, v2
	v_cmp_eq_u32_e32 vcc_lo, 0, v182
	s_delay_alu instid0(VALU_DEP_2) | instskip(NEXT) | instid1(SALU_CYCLE_1)
	s_and_b32 s18, s17, vcc_lo
	s_and_saveexec_b32 s17, s18
	s_cbranch_execz .LBB948_150
; %bb.149:                              ;   in Loop: Header=BB948_106 Depth=2
	s_waitcnt lgkmcnt(0)
	v_bcnt_u32_b32 v2, v2, v181
	ds_store_b32 v183, v2
.LBB948_150:                            ;   in Loop: Header=BB948_106 Depth=2
	s_or_b32 exec_lo, exec_lo, s17
	v_lshrrev_b32_e32 v180, 16, v176
	; wave barrier
	s_delay_alu instid0(VALU_DEP_1) | instskip(NEXT) | instid1(VALU_DEP_1)
	v_lshrrev_b32_e32 v2, s42, v180
	v_and_b32_e32 v2, s43, v2
	s_delay_alu instid0(VALU_DEP_1)
	v_and_b32_e32 v3, 1, v2
	v_lshlrev_b32_e32 v4, 30, v2
	v_lshlrev_b32_e32 v5, 29, v2
	;; [unrolled: 1-line block ×4, first 2 shown]
	v_add_co_u32 v3, s17, v3, -1
	s_delay_alu instid0(VALU_DEP_1)
	v_cndmask_b32_e64 v7, 0, 1, s17
	v_not_b32_e32 v185, v4
	v_cmp_gt_i32_e64 s17, 0, v4
	v_not_b32_e32 v4, v5
	v_lshlrev_b32_e32 v46, 26, v2
	v_cmp_ne_u32_e32 vcc_lo, 0, v7
	v_ashrrev_i32_e32 v185, 31, v185
	v_lshlrev_b32_e32 v184, 25, v2
	v_ashrrev_i32_e32 v4, 31, v4
	v_lshlrev_b32_e32 v7, 24, v2
	v_xor_b32_e32 v3, vcc_lo, v3
	v_cmp_gt_i32_e32 vcc_lo, 0, v5
	v_not_b32_e32 v5, v6
	v_xor_b32_e32 v185, s17, v185
	v_cmp_gt_i32_e64 s17, 0, v6
	v_and_b32_e32 v3, exec_lo, v3
	v_not_b32_e32 v6, v45
	v_ashrrev_i32_e32 v5, 31, v5
	v_xor_b32_e32 v4, vcc_lo, v4
	v_cmp_gt_i32_e32 vcc_lo, 0, v45
	v_and_b32_e32 v3, v3, v185
	v_not_b32_e32 v45, v46
	v_ashrrev_i32_e32 v6, 31, v6
	v_xor_b32_e32 v5, s17, v5
	v_cmp_gt_i32_e64 s17, 0, v46
	v_and_b32_e32 v3, v3, v4
	v_not_b32_e32 v4, v184
	v_ashrrev_i32_e32 v45, 31, v45
	v_xor_b32_e32 v6, vcc_lo, v6
	v_cmp_gt_i32_e32 vcc_lo, 0, v184
	v_and_b32_e32 v3, v3, v5
	v_not_b32_e32 v5, v7
	v_ashrrev_i32_e32 v4, 31, v4
	v_xor_b32_e32 v45, s17, v45
	v_mul_u32_u24_e32 v2, 9, v2
	v_and_b32_e32 v3, v3, v6
	v_cmp_gt_i32_e64 s17, 0, v7
	v_ashrrev_i32_e32 v5, 31, v5
	v_xor_b32_e32 v4, vcc_lo, v4
	v_add_lshl_u32 v6, v2, v122, 2
	v_and_b32_e32 v3, v3, v45
	s_delay_alu instid0(VALU_DEP_4) | instskip(SKIP_3) | instid1(VALU_DEP_2)
	v_xor_b32_e32 v2, s17, v5
	ds_load_b32 v185, v6 offset:1056
	v_and_b32_e32 v3, v3, v4
	v_add_nc_u32_e32 v187, 0x420, v6
	; wave barrier
	v_and_b32_e32 v2, v3, v2
	s_delay_alu instid0(VALU_DEP_1) | instskip(SKIP_1) | instid1(VALU_DEP_2)
	v_mbcnt_lo_u32_b32 v186, v2, 0
	v_cmp_ne_u32_e64 s17, 0, v2
	v_cmp_eq_u32_e32 vcc_lo, 0, v186
	s_delay_alu instid0(VALU_DEP_2) | instskip(NEXT) | instid1(SALU_CYCLE_1)
	s_and_b32 s18, s17, vcc_lo
	s_and_saveexec_b32 s17, s18
	s_cbranch_execz .LBB948_152
; %bb.151:                              ;   in Loop: Header=BB948_106 Depth=2
	s_waitcnt lgkmcnt(0)
	v_bcnt_u32_b32 v2, v2, v185
	ds_store_b32 v187, v2
.LBB948_152:                            ;   in Loop: Header=BB948_106 Depth=2
	s_or_b32 exec_lo, exec_lo, s17
	v_xor_b32_e32 v184, 0x7fff7fff, v8
	; wave barrier
	s_delay_alu instid0(VALU_DEP_1) | instskip(NEXT) | instid1(VALU_DEP_1)
	v_and_b32_e32 v2, 0xffff, v184
	v_lshrrev_b32_e32 v2, s42, v2
	s_delay_alu instid0(VALU_DEP_1) | instskip(NEXT) | instid1(VALU_DEP_1)
	v_and_b32_e32 v2, s43, v2
	v_and_b32_e32 v3, 1, v2
	v_lshlrev_b32_e32 v4, 30, v2
	v_lshlrev_b32_e32 v5, 29, v2
	;; [unrolled: 1-line block ×4, first 2 shown]
	v_add_co_u32 v3, s17, v3, -1
	s_delay_alu instid0(VALU_DEP_1)
	v_cndmask_b32_e64 v7, 0, 1, s17
	v_not_b32_e32 v188, v4
	v_cmp_gt_i32_e64 s17, 0, v4
	v_not_b32_e32 v4, v5
	v_lshlrev_b32_e32 v45, 26, v2
	v_cmp_ne_u32_e32 vcc_lo, 0, v7
	v_ashrrev_i32_e32 v188, 31, v188
	v_lshlrev_b32_e32 v46, 25, v2
	v_ashrrev_i32_e32 v4, 31, v4
	v_lshlrev_b32_e32 v7, 24, v2
	v_xor_b32_e32 v3, vcc_lo, v3
	v_cmp_gt_i32_e32 vcc_lo, 0, v5
	v_not_b32_e32 v5, v6
	v_xor_b32_e32 v188, s17, v188
	v_cmp_gt_i32_e64 s17, 0, v6
	v_and_b32_e32 v3, exec_lo, v3
	v_not_b32_e32 v6, v8
	v_ashrrev_i32_e32 v5, 31, v5
	v_xor_b32_e32 v4, vcc_lo, v4
	v_cmp_gt_i32_e32 vcc_lo, 0, v8
	v_and_b32_e32 v3, v3, v188
	v_not_b32_e32 v8, v45
	v_ashrrev_i32_e32 v6, 31, v6
	v_xor_b32_e32 v5, s17, v5
	v_cmp_gt_i32_e64 s17, 0, v45
	v_and_b32_e32 v3, v3, v4
	v_not_b32_e32 v4, v46
	v_ashrrev_i32_e32 v8, 31, v8
	v_xor_b32_e32 v6, vcc_lo, v6
	v_cmp_gt_i32_e32 vcc_lo, 0, v46
	v_and_b32_e32 v3, v3, v5
	v_not_b32_e32 v5, v7
	v_ashrrev_i32_e32 v4, 31, v4
	v_xor_b32_e32 v8, s17, v8
	v_mul_u32_u24_e32 v2, 9, v2
	v_and_b32_e32 v3, v3, v6
	v_cmp_gt_i32_e64 s17, 0, v7
	v_ashrrev_i32_e32 v5, 31, v5
	v_xor_b32_e32 v4, vcc_lo, v4
	v_add_lshl_u32 v6, v2, v122, 2
	v_and_b32_e32 v3, v3, v8
	s_delay_alu instid0(VALU_DEP_4) | instskip(SKIP_3) | instid1(VALU_DEP_2)
	v_xor_b32_e32 v2, s17, v5
	ds_load_b32 v8, v6 offset:1056
	v_and_b32_e32 v3, v3, v4
	v_add_nc_u32_e32 v190, 0x420, v6
	; wave barrier
	v_and_b32_e32 v2, v3, v2
	s_delay_alu instid0(VALU_DEP_1) | instskip(SKIP_1) | instid1(VALU_DEP_2)
	v_mbcnt_lo_u32_b32 v189, v2, 0
	v_cmp_ne_u32_e64 s17, 0, v2
	v_cmp_eq_u32_e32 vcc_lo, 0, v189
	s_delay_alu instid0(VALU_DEP_2) | instskip(NEXT) | instid1(SALU_CYCLE_1)
	s_and_b32 s18, s17, vcc_lo
	s_and_saveexec_b32 s17, s18
	s_cbranch_execz .LBB948_154
; %bb.153:                              ;   in Loop: Header=BB948_106 Depth=2
	s_waitcnt lgkmcnt(0)
	v_bcnt_u32_b32 v2, v2, v8
	ds_store_b32 v190, v2
.LBB948_154:                            ;   in Loop: Header=BB948_106 Depth=2
	s_or_b32 exec_lo, exec_lo, s17
	v_lshrrev_b32_e32 v188, 16, v184
	; wave barrier
	s_delay_alu instid0(VALU_DEP_1) | instskip(NEXT) | instid1(VALU_DEP_1)
	v_lshrrev_b32_e32 v2, s42, v188
	v_and_b32_e32 v2, s43, v2
	s_delay_alu instid0(VALU_DEP_1)
	v_and_b32_e32 v3, 1, v2
	v_lshlrev_b32_e32 v4, 30, v2
	v_lshlrev_b32_e32 v5, 29, v2
	v_lshlrev_b32_e32 v6, 28, v2
	v_lshlrev_b32_e32 v45, 27, v2
	v_add_co_u32 v3, s17, v3, -1
	s_delay_alu instid0(VALU_DEP_1)
	v_cndmask_b32_e64 v7, 0, 1, s17
	v_not_b32_e32 v192, v4
	v_cmp_gt_i32_e64 s17, 0, v4
	v_not_b32_e32 v4, v5
	v_lshlrev_b32_e32 v46, 26, v2
	v_cmp_ne_u32_e32 vcc_lo, 0, v7
	v_ashrrev_i32_e32 v192, 31, v192
	v_lshlrev_b32_e32 v191, 25, v2
	v_ashrrev_i32_e32 v4, 31, v4
	v_lshlrev_b32_e32 v7, 24, v2
	v_xor_b32_e32 v3, vcc_lo, v3
	v_cmp_gt_i32_e32 vcc_lo, 0, v5
	v_not_b32_e32 v5, v6
	v_xor_b32_e32 v192, s17, v192
	v_cmp_gt_i32_e64 s17, 0, v6
	v_and_b32_e32 v3, exec_lo, v3
	v_not_b32_e32 v6, v45
	v_ashrrev_i32_e32 v5, 31, v5
	v_xor_b32_e32 v4, vcc_lo, v4
	v_cmp_gt_i32_e32 vcc_lo, 0, v45
	v_and_b32_e32 v3, v3, v192
	v_not_b32_e32 v45, v46
	v_ashrrev_i32_e32 v6, 31, v6
	v_xor_b32_e32 v5, s17, v5
	v_cmp_gt_i32_e64 s17, 0, v46
	v_and_b32_e32 v3, v3, v4
	v_not_b32_e32 v4, v191
	v_ashrrev_i32_e32 v45, 31, v45
	v_xor_b32_e32 v6, vcc_lo, v6
	v_cmp_gt_i32_e32 vcc_lo, 0, v191
	v_and_b32_e32 v3, v3, v5
	v_not_b32_e32 v5, v7
	v_ashrrev_i32_e32 v4, 31, v4
	v_xor_b32_e32 v45, s17, v45
	v_mul_u32_u24_e32 v2, 9, v2
	v_and_b32_e32 v3, v3, v6
	v_cmp_gt_i32_e64 s17, 0, v7
	v_ashrrev_i32_e32 v5, 31, v5
	v_xor_b32_e32 v4, vcc_lo, v4
	v_add_lshl_u32 v6, v2, v122, 2
	v_and_b32_e32 v3, v3, v45
	s_delay_alu instid0(VALU_DEP_4) | instskip(SKIP_3) | instid1(VALU_DEP_2)
	v_xor_b32_e32 v2, s17, v5
	ds_load_b32 v191, v6 offset:1056
	v_and_b32_e32 v3, v3, v4
	v_add_nc_u32_e32 v193, 0x420, v6
	; wave barrier
	v_and_b32_e32 v2, v3, v2
	s_delay_alu instid0(VALU_DEP_1) | instskip(SKIP_1) | instid1(VALU_DEP_2)
	v_mbcnt_lo_u32_b32 v192, v2, 0
	v_cmp_ne_u32_e64 s17, 0, v2
	v_cmp_eq_u32_e32 vcc_lo, 0, v192
	s_delay_alu instid0(VALU_DEP_2) | instskip(NEXT) | instid1(SALU_CYCLE_1)
	s_and_b32 s18, s17, vcc_lo
	s_and_saveexec_b32 s17, s18
	s_cbranch_execz .LBB948_156
; %bb.155:                              ;   in Loop: Header=BB948_106 Depth=2
	s_waitcnt lgkmcnt(0)
	v_bcnt_u32_b32 v2, v2, v191
	ds_store_b32 v193, v2
.LBB948_156:                            ;   in Loop: Header=BB948_106 Depth=2
	s_or_b32 exec_lo, exec_lo, s17
	v_xor_b32_e32 v9, 0x7fff7fff, v9
	; wave barrier
	s_delay_alu instid0(VALU_DEP_1) | instskip(NEXT) | instid1(VALU_DEP_1)
	v_and_b32_e32 v2, 0xffff, v9
	v_lshrrev_b32_e32 v2, s42, v2
	s_delay_alu instid0(VALU_DEP_1) | instskip(NEXT) | instid1(VALU_DEP_1)
	v_and_b32_e32 v2, s43, v2
	v_and_b32_e32 v3, 1, v2
	v_lshlrev_b32_e32 v4, 30, v2
	v_lshlrev_b32_e32 v5, 29, v2
	;; [unrolled: 1-line block ×4, first 2 shown]
	v_add_co_u32 v3, s17, v3, -1
	s_delay_alu instid0(VALU_DEP_1)
	v_cndmask_b32_e64 v7, 0, 1, s17
	v_not_b32_e32 v195, v4
	v_cmp_gt_i32_e64 s17, 0, v4
	v_not_b32_e32 v4, v5
	v_lshlrev_b32_e32 v46, 26, v2
	v_cmp_ne_u32_e32 vcc_lo, 0, v7
	v_ashrrev_i32_e32 v195, 31, v195
	v_lshlrev_b32_e32 v194, 25, v2
	v_ashrrev_i32_e32 v4, 31, v4
	v_lshlrev_b32_e32 v7, 24, v2
	v_xor_b32_e32 v3, vcc_lo, v3
	v_cmp_gt_i32_e32 vcc_lo, 0, v5
	v_not_b32_e32 v5, v6
	v_xor_b32_e32 v195, s17, v195
	v_cmp_gt_i32_e64 s17, 0, v6
	v_and_b32_e32 v3, exec_lo, v3
	v_not_b32_e32 v6, v45
	v_ashrrev_i32_e32 v5, 31, v5
	v_xor_b32_e32 v4, vcc_lo, v4
	v_cmp_gt_i32_e32 vcc_lo, 0, v45
	v_and_b32_e32 v3, v3, v195
	v_not_b32_e32 v45, v46
	v_ashrrev_i32_e32 v6, 31, v6
	v_xor_b32_e32 v5, s17, v5
	v_cmp_gt_i32_e64 s17, 0, v46
	v_and_b32_e32 v3, v3, v4
	v_not_b32_e32 v4, v194
	v_ashrrev_i32_e32 v45, 31, v45
	v_xor_b32_e32 v6, vcc_lo, v6
	v_cmp_gt_i32_e32 vcc_lo, 0, v194
	v_and_b32_e32 v3, v3, v5
	v_not_b32_e32 v5, v7
	v_ashrrev_i32_e32 v4, 31, v4
	v_xor_b32_e32 v45, s17, v45
	v_mul_u32_u24_e32 v2, 9, v2
	v_and_b32_e32 v3, v3, v6
	v_cmp_gt_i32_e64 s17, 0, v7
	v_ashrrev_i32_e32 v5, 31, v5
	v_xor_b32_e32 v4, vcc_lo, v4
	v_add_lshl_u32 v6, v2, v122, 2
	v_and_b32_e32 v3, v3, v45
	s_delay_alu instid0(VALU_DEP_4) | instskip(SKIP_3) | instid1(VALU_DEP_2)
	v_xor_b32_e32 v2, s17, v5
	ds_load_b32 v195, v6 offset:1056
	v_and_b32_e32 v3, v3, v4
	v_add_nc_u32_e32 v197, 0x420, v6
	; wave barrier
	v_and_b32_e32 v2, v3, v2
	s_delay_alu instid0(VALU_DEP_1) | instskip(SKIP_1) | instid1(VALU_DEP_2)
	v_mbcnt_lo_u32_b32 v196, v2, 0
	v_cmp_ne_u32_e64 s17, 0, v2
	v_cmp_eq_u32_e32 vcc_lo, 0, v196
	s_delay_alu instid0(VALU_DEP_2) | instskip(NEXT) | instid1(SALU_CYCLE_1)
	s_and_b32 s18, s17, vcc_lo
	s_and_saveexec_b32 s17, s18
	s_cbranch_execz .LBB948_158
; %bb.157:                              ;   in Loop: Header=BB948_106 Depth=2
	s_waitcnt lgkmcnt(0)
	v_bcnt_u32_b32 v2, v2, v195
	ds_store_b32 v197, v2
.LBB948_158:                            ;   in Loop: Header=BB948_106 Depth=2
	s_or_b32 exec_lo, exec_lo, s17
	v_lshrrev_b32_e32 v194, 16, v9
	; wave barrier
	s_delay_alu instid0(VALU_DEP_1) | instskip(NEXT) | instid1(VALU_DEP_1)
	v_lshrrev_b32_e32 v2, s42, v194
	v_and_b32_e32 v2, s43, v2
	s_delay_alu instid0(VALU_DEP_1)
	v_and_b32_e32 v3, 1, v2
	v_lshlrev_b32_e32 v4, 30, v2
	v_lshlrev_b32_e32 v5, 29, v2
	;; [unrolled: 1-line block ×4, first 2 shown]
	v_add_co_u32 v3, s17, v3, -1
	s_delay_alu instid0(VALU_DEP_1)
	v_cndmask_b32_e64 v7, 0, 1, s17
	v_not_b32_e32 v199, v4
	v_cmp_gt_i32_e64 s17, 0, v4
	v_not_b32_e32 v4, v5
	v_lshlrev_b32_e32 v46, 26, v2
	v_cmp_ne_u32_e32 vcc_lo, 0, v7
	v_ashrrev_i32_e32 v199, 31, v199
	v_lshlrev_b32_e32 v198, 25, v2
	v_ashrrev_i32_e32 v4, 31, v4
	v_lshlrev_b32_e32 v7, 24, v2
	v_xor_b32_e32 v3, vcc_lo, v3
	v_cmp_gt_i32_e32 vcc_lo, 0, v5
	v_not_b32_e32 v5, v6
	v_xor_b32_e32 v199, s17, v199
	v_cmp_gt_i32_e64 s17, 0, v6
	v_and_b32_e32 v3, exec_lo, v3
	v_not_b32_e32 v6, v45
	v_ashrrev_i32_e32 v5, 31, v5
	v_xor_b32_e32 v4, vcc_lo, v4
	v_cmp_gt_i32_e32 vcc_lo, 0, v45
	v_and_b32_e32 v3, v3, v199
	v_not_b32_e32 v45, v46
	v_ashrrev_i32_e32 v6, 31, v6
	v_xor_b32_e32 v5, s17, v5
	v_cmp_gt_i32_e64 s17, 0, v46
	v_and_b32_e32 v3, v3, v4
	v_not_b32_e32 v4, v198
	v_ashrrev_i32_e32 v45, 31, v45
	v_xor_b32_e32 v6, vcc_lo, v6
	v_cmp_gt_i32_e32 vcc_lo, 0, v198
	v_and_b32_e32 v3, v3, v5
	v_not_b32_e32 v5, v7
	v_ashrrev_i32_e32 v4, 31, v4
	v_xor_b32_e32 v45, s17, v45
	v_mul_u32_u24_e32 v2, 9, v2
	v_and_b32_e32 v3, v3, v6
	v_cmp_gt_i32_e64 s17, 0, v7
	v_ashrrev_i32_e32 v5, 31, v5
	v_xor_b32_e32 v4, vcc_lo, v4
	v_add_lshl_u32 v6, v2, v122, 2
	v_and_b32_e32 v3, v3, v45
	s_delay_alu instid0(VALU_DEP_4) | instskip(SKIP_3) | instid1(VALU_DEP_2)
	v_xor_b32_e32 v2, s17, v5
	ds_load_b32 v198, v6 offset:1056
	v_and_b32_e32 v3, v3, v4
	v_add_nc_u32_e32 v200, 0x420, v6
	; wave barrier
	v_and_b32_e32 v2, v3, v2
	s_delay_alu instid0(VALU_DEP_1) | instskip(SKIP_1) | instid1(VALU_DEP_2)
	v_mbcnt_lo_u32_b32 v199, v2, 0
	v_cmp_ne_u32_e64 s17, 0, v2
	v_cmp_eq_u32_e32 vcc_lo, 0, v199
	s_delay_alu instid0(VALU_DEP_2) | instskip(NEXT) | instid1(SALU_CYCLE_1)
	s_and_b32 s18, s17, vcc_lo
	s_and_saveexec_b32 s17, s18
	s_cbranch_execz .LBB948_160
; %bb.159:                              ;   in Loop: Header=BB948_106 Depth=2
	s_waitcnt lgkmcnt(0)
	v_bcnt_u32_b32 v2, v2, v198
	ds_store_b32 v200, v2
.LBB948_160:                            ;   in Loop: Header=BB948_106 Depth=2
	s_or_b32 exec_lo, exec_lo, s17
	; wave barrier
	s_waitcnt lgkmcnt(0)
	s_barrier
	buffer_gl0_inv
	ds_load_b32 v201, v73 offset:1056
	ds_load_2addr_b32 v[45:46], v75 offset0:1 offset1:2
	ds_load_2addr_b32 v[6:7], v75 offset0:3 offset1:4
	;; [unrolled: 1-line block ×4, first 2 shown]
	s_waitcnt lgkmcnt(3)
	v_add3_u32 v202, v45, v201, v46
	s_waitcnt lgkmcnt(2)
	s_delay_alu instid0(VALU_DEP_1) | instskip(SKIP_1) | instid1(VALU_DEP_1)
	v_add3_u32 v202, v202, v6, v7
	s_waitcnt lgkmcnt(1)
	v_add3_u32 v202, v202, v2, v3
	s_waitcnt lgkmcnt(0)
	s_delay_alu instid0(VALU_DEP_1) | instskip(NEXT) | instid1(VALU_DEP_1)
	v_add3_u32 v5, v202, v4, v5
	v_mov_b32_dpp v202, v5 row_shr:1 row_mask:0xf bank_mask:0xf
	s_delay_alu instid0(VALU_DEP_1) | instskip(NEXT) | instid1(VALU_DEP_1)
	v_cndmask_b32_e64 v202, v202, 0, s1
	v_add_nc_u32_e32 v5, v202, v5
	s_delay_alu instid0(VALU_DEP_1) | instskip(NEXT) | instid1(VALU_DEP_1)
	v_mov_b32_dpp v202, v5 row_shr:2 row_mask:0xf bank_mask:0xf
	v_cndmask_b32_e64 v202, 0, v202, s7
	s_delay_alu instid0(VALU_DEP_1) | instskip(NEXT) | instid1(VALU_DEP_1)
	v_add_nc_u32_e32 v5, v5, v202
	v_mov_b32_dpp v202, v5 row_shr:4 row_mask:0xf bank_mask:0xf
	s_delay_alu instid0(VALU_DEP_1) | instskip(NEXT) | instid1(VALU_DEP_1)
	v_cndmask_b32_e64 v202, 0, v202, s8
	v_add_nc_u32_e32 v5, v5, v202
	s_delay_alu instid0(VALU_DEP_1) | instskip(NEXT) | instid1(VALU_DEP_1)
	v_mov_b32_dpp v202, v5 row_shr:8 row_mask:0xf bank_mask:0xf
	v_cndmask_b32_e64 v202, 0, v202, s9
	s_delay_alu instid0(VALU_DEP_1) | instskip(SKIP_3) | instid1(VALU_DEP_1)
	v_add_nc_u32_e32 v5, v5, v202
	ds_swizzle_b32 v202, v5 offset:swizzle(BROADCAST,32,15)
	s_waitcnt lgkmcnt(0)
	v_cndmask_b32_e64 v202, v202, 0, s10
	v_add_nc_u32_e32 v5, v5, v202
	s_and_saveexec_b32 s17, s3
	s_cbranch_execz .LBB948_162
; %bb.161:                              ;   in Loop: Header=BB948_106 Depth=2
	ds_store_b32 v65, v5 offset:1024
.LBB948_162:                            ;   in Loop: Header=BB948_106 Depth=2
	s_or_b32 exec_lo, exec_lo, s17
	s_waitcnt lgkmcnt(0)
	s_barrier
	buffer_gl0_inv
	s_and_saveexec_b32 s17, s4
	s_cbranch_execz .LBB948_164
; %bb.163:                              ;   in Loop: Header=BB948_106 Depth=2
	ds_load_b32 v202, v76 offset:1024
	s_waitcnt lgkmcnt(0)
	v_mov_b32_dpp v203, v202 row_shr:1 row_mask:0xf bank_mask:0xf
	s_delay_alu instid0(VALU_DEP_1) | instskip(NEXT) | instid1(VALU_DEP_1)
	v_cndmask_b32_e64 v203, v203, 0, s12
	v_add_nc_u32_e32 v202, v203, v202
	s_delay_alu instid0(VALU_DEP_1) | instskip(NEXT) | instid1(VALU_DEP_1)
	v_mov_b32_dpp v203, v202 row_shr:2 row_mask:0xf bank_mask:0xf
	v_cndmask_b32_e64 v203, 0, v203, s13
	s_delay_alu instid0(VALU_DEP_1) | instskip(NEXT) | instid1(VALU_DEP_1)
	v_add_nc_u32_e32 v202, v202, v203
	v_mov_b32_dpp v203, v202 row_shr:4 row_mask:0xf bank_mask:0xf
	s_delay_alu instid0(VALU_DEP_1) | instskip(NEXT) | instid1(VALU_DEP_1)
	v_cndmask_b32_e64 v203, 0, v203, s16
	v_add_nc_u32_e32 v202, v202, v203
	ds_store_b32 v76, v202 offset:1024
.LBB948_164:                            ;   in Loop: Header=BB948_106 Depth=2
	s_or_b32 exec_lo, exec_lo, s17
	v_mov_b32_e32 v202, 0
	s_waitcnt lgkmcnt(0)
	s_barrier
	buffer_gl0_inv
	s_and_saveexec_b32 s17, s5
	s_cbranch_execz .LBB948_166
; %bb.165:                              ;   in Loop: Header=BB948_106 Depth=2
	ds_load_b32 v202, v65 offset:1020
.LBB948_166:                            ;   in Loop: Header=BB948_106 Depth=2
	s_or_b32 exec_lo, exec_lo, s17
	s_waitcnt lgkmcnt(0)
	v_add_nc_u32_e32 v5, v202, v5
	ds_bpermute_b32 v5, v101, v5
	s_waitcnt lgkmcnt(0)
	v_cndmask_b32_e64 v5, v5, v202, s11
	s_delay_alu instid0(VALU_DEP_1) | instskip(NEXT) | instid1(VALU_DEP_1)
	v_cndmask_b32_e64 v5, v5, 0, s0
	v_add_nc_u32_e32 v201, v5, v201
	s_delay_alu instid0(VALU_DEP_1) | instskip(NEXT) | instid1(VALU_DEP_1)
	v_add_nc_u32_e32 v45, v201, v45
	v_add_nc_u32_e32 v46, v45, v46
	s_delay_alu instid0(VALU_DEP_1) | instskip(NEXT) | instid1(VALU_DEP_1)
	v_add_nc_u32_e32 v6, v46, v6
	;; [unrolled: 3-line block ×3, first 2 shown]
	v_add_nc_u32_e32 v3, v2, v3
	s_delay_alu instid0(VALU_DEP_1)
	v_add_nc_u32_e32 v4, v3, v4
	ds_store_b32 v73, v5 offset:1056
	ds_store_2addr_b32 v75, v201, v45 offset0:1 offset1:2
	ds_store_2addr_b32 v75, v46, v6 offset0:3 offset1:4
	ds_store_2addr_b32 v75, v7, v2 offset0:5 offset1:6
	ds_store_2addr_b32 v75, v3, v4 offset0:7 offset1:8
	v_mov_b32_e32 v4, 0x1000
	s_waitcnt lgkmcnt(0)
	s_barrier
	buffer_gl0_inv
	ds_load_b32 v5, v147
	ds_load_b32 v6, v151
	;; [unrolled: 1-line block ×16, first 2 shown]
	ds_load_b32 v151, v73 offset:1056
	s_and_saveexec_b32 s17, s6
	s_cbranch_execz .LBB948_168
; %bb.167:                              ;   in Loop: Header=BB948_106 Depth=2
	ds_load_b32 v4, v77 offset:1056
.LBB948_168:                            ;   in Loop: Header=BB948_106 Depth=2
	s_or_b32 exec_lo, exec_lo, s17
	s_waitcnt lgkmcnt(0)
	s_barrier
	buffer_gl0_inv
	s_and_saveexec_b32 s17, s2
	s_cbranch_execz .LBB948_170
; %bb.169:                              ;   in Loop: Header=BB948_106 Depth=2
	ds_load_b32 v155, v47
	s_waitcnt lgkmcnt(0)
	v_sub_nc_u32_e32 v151, v155, v151
	ds_store_b32 v47, v151
.LBB948_170:                            ;   in Loop: Header=BB948_106 Depth=2
	s_or_b32 exec_lo, exec_lo, s17
	v_add_nc_u32_e32 v159, v143, v141
	v_add3_u32 v155, v146, v145, v5
	v_add3_u32 v151, v150, v149, v6
	;; [unrolled: 1-line block ×4, first 2 shown]
	v_lshlrev_b32_e32 v153, 1, v159
	v_add3_u32 v45, v192, v191, v2
	v_lshlrev_b32_e32 v2, 1, v155
	v_add3_u32 v149, v158, v157, v46
	v_add3_u32 v146, v166, v165, v163
	;; [unrolled: 1-line block ×5, first 2 shown]
	ds_store_b16 v153, v19 offset:1024
	v_lshlrev_b32_e32 v3, 1, v151
	ds_store_b16 v2, v142 offset:1024
	v_lshlrev_b32_e32 v2, 1, v147
	v_add3_u32 v143, v174, v173, v171
	v_lshlrev_b32_e32 v19, 1, v150
	v_add3_u32 v141, v178, v177, v175
	;; [unrolled: 2-line block ×3, first 2 shown]
	v_add3_u32 v6, v186, v185, v183
	ds_store_b16 v3, v144 offset:1024
	ds_store_b16 v19, v148 offset:1024
	;; [unrolled: 1-line block ×3, first 2 shown]
	v_lshlrev_b32_e32 v3, 1, v146
	ds_store_b16 v2, v156 offset:1024
	v_lshlrev_b32_e32 v2, 1, v145
	v_lshlrev_b32_e32 v19, 1, v143
	;; [unrolled: 1-line block ×3, first 2 shown]
	v_add3_u32 v7, v199, v198, v7
	ds_store_b16 v3, v160 offset:1024
	v_lshlrev_b32_e32 v3, 1, v46
	ds_store_b16 v2, v164 offset:1024
	ds_store_b16 v19, v168 offset:1024
	;; [unrolled: 1-line block ×3, first 2 shown]
	v_lshlrev_b32_e32 v2, 1, v6
	v_cmp_lt_u32_e32 vcc_lo, v18, v0
	v_lshlrev_b32_e32 v19, 1, v45
	ds_store_b16 v3, v176 offset:1024
	v_lshlrev_b32_e32 v3, 1, v5
	ds_store_b16 v2, v180 offset:1024
	v_lshlrev_b32_e32 v2, 1, v7
	v_lshlrev_b32_e32 v142, 1, v8
	ds_store_b16 v3, v184 offset:1024
	ds_store_b16 v19, v188 offset:1024
	;; [unrolled: 1-line block ×4, first 2 shown]
	s_waitcnt lgkmcnt(0)
	s_barrier
	buffer_gl0_inv
	s_and_saveexec_b32 s18, vcc_lo
	s_cbranch_execz .LBB948_186
; %bb.171:                              ;   in Loop: Header=BB948_106 Depth=2
	v_add_nc_u32_e32 v2, v76, v82
	ds_load_u16 v142, v2 offset:1024
	s_waitcnt lgkmcnt(0)
	v_and_b32_e32 v2, 0xffff, v142
	s_delay_alu instid0(VALU_DEP_1) | instskip(NEXT) | instid1(VALU_DEP_1)
	v_lshrrev_b32_e32 v2, s42, v2
	v_and_b32_e32 v2, s43, v2
	s_delay_alu instid0(VALU_DEP_1) | instskip(SKIP_3) | instid1(VALU_DEP_1)
	v_lshlrev_b32_e32 v2, 2, v2
	ds_load_b32 v2, v2
	s_waitcnt lgkmcnt(0)
	v_add_nc_u32_e32 v19, v2, v18
	v_lshlrev_b64 v[2:3], 1, v[19:20]
	v_xor_b32_e32 v19, 0x7fff, v142
	s_delay_alu instid0(VALU_DEP_2) | instskip(NEXT) | instid1(VALU_DEP_1)
	v_add_co_u32 v2, s17, s38, v2
	v_add_co_ci_u32_e64 v3, s17, s39, v3, s17
	global_store_b16 v[2:3], v19, off
	s_or_b32 exec_lo, exec_lo, s18
	v_cmp_lt_u32_e64 s17, v48, v0
	s_delay_alu instid0(VALU_DEP_1)
	s_and_saveexec_b32 s19, s17
	s_cbranch_execnz .LBB948_187
.LBB948_172:                            ;   in Loop: Header=BB948_106 Depth=2
	s_or_b32 exec_lo, exec_lo, s19
	v_cmp_lt_u32_e64 s18, v49, v0
	s_delay_alu instid0(VALU_DEP_1)
	s_and_saveexec_b32 s20, s18
	s_cbranch_execz .LBB948_188
.LBB948_173:                            ;   in Loop: Header=BB948_106 Depth=2
	ds_load_u16 v142, v83 offset:1024
	s_waitcnt lgkmcnt(0)
	v_and_b32_e32 v2, 0xffff, v142
	s_delay_alu instid0(VALU_DEP_1) | instskip(NEXT) | instid1(VALU_DEP_1)
	v_lshrrev_b32_e32 v2, s42, v2
	v_and_b32_e32 v2, s43, v2
	s_delay_alu instid0(VALU_DEP_1) | instskip(SKIP_3) | instid1(VALU_DEP_1)
	v_lshlrev_b32_e32 v2, 2, v2
	ds_load_b32 v2, v2
	s_waitcnt lgkmcnt(0)
	v_add_nc_u32_e32 v19, v2, v49
	v_lshlrev_b64 v[2:3], 1, v[19:20]
	v_xor_b32_e32 v19, 0x7fff, v142
	s_delay_alu instid0(VALU_DEP_2) | instskip(NEXT) | instid1(VALU_DEP_1)
	v_add_co_u32 v2, s19, s38, v2
	v_add_co_ci_u32_e64 v3, s19, s39, v3, s19
	global_store_b16 v[2:3], v19, off
	s_or_b32 exec_lo, exec_lo, s20
	v_cmp_lt_u32_e64 s19, v50, v0
	s_delay_alu instid0(VALU_DEP_1)
	s_and_saveexec_b32 s21, s19
	s_cbranch_execnz .LBB948_189
.LBB948_174:                            ;   in Loop: Header=BB948_106 Depth=2
	s_or_b32 exec_lo, exec_lo, s21
	v_cmp_lt_u32_e64 s20, v54, v0
	s_delay_alu instid0(VALU_DEP_1)
	s_and_saveexec_b32 s22, s20
	s_cbranch_execz .LBB948_190
.LBB948_175:                            ;   in Loop: Header=BB948_106 Depth=2
	ds_load_u16 v142, v83 offset:2048
	s_waitcnt lgkmcnt(0)
	v_and_b32_e32 v2, 0xffff, v142
	s_delay_alu instid0(VALU_DEP_1) | instskip(NEXT) | instid1(VALU_DEP_1)
	v_lshrrev_b32_e32 v2, s42, v2
	v_and_b32_e32 v2, s43, v2
	s_delay_alu instid0(VALU_DEP_1) | instskip(SKIP_3) | instid1(VALU_DEP_1)
	v_lshlrev_b32_e32 v2, 2, v2
	ds_load_b32 v2, v2
	s_waitcnt lgkmcnt(0)
	v_add_nc_u32_e32 v19, v2, v54
	v_lshlrev_b64 v[2:3], 1, v[19:20]
	v_xor_b32_e32 v19, 0x7fff, v142
	s_delay_alu instid0(VALU_DEP_2) | instskip(NEXT) | instid1(VALU_DEP_1)
	v_add_co_u32 v2, s21, s38, v2
	v_add_co_ci_u32_e64 v3, s21, s39, v3, s21
	global_store_b16 v[2:3], v19, off
	s_or_b32 exec_lo, exec_lo, s22
	v_cmp_lt_u32_e64 s21, v55, v0
	s_delay_alu instid0(VALU_DEP_1)
	s_and_saveexec_b32 s23, s21
	s_cbranch_execnz .LBB948_191
.LBB948_176:                            ;   in Loop: Header=BB948_106 Depth=2
	s_or_b32 exec_lo, exec_lo, s23
	v_cmp_lt_u32_e64 s22, v56, v0
	s_delay_alu instid0(VALU_DEP_1)
	s_and_saveexec_b32 s24, s22
	s_cbranch_execz .LBB948_192
.LBB948_177:                            ;   in Loop: Header=BB948_106 Depth=2
	ds_load_u16 v142, v83 offset:3072
	s_waitcnt lgkmcnt(0)
	v_and_b32_e32 v2, 0xffff, v142
	s_delay_alu instid0(VALU_DEP_1) | instskip(NEXT) | instid1(VALU_DEP_1)
	v_lshrrev_b32_e32 v2, s42, v2
	v_and_b32_e32 v2, s43, v2
	s_delay_alu instid0(VALU_DEP_1) | instskip(SKIP_3) | instid1(VALU_DEP_1)
	v_lshlrev_b32_e32 v2, 2, v2
	ds_load_b32 v2, v2
	s_waitcnt lgkmcnt(0)
	v_add_nc_u32_e32 v19, v2, v56
	v_lshlrev_b64 v[2:3], 1, v[19:20]
	v_xor_b32_e32 v19, 0x7fff, v142
	s_delay_alu instid0(VALU_DEP_2) | instskip(NEXT) | instid1(VALU_DEP_1)
	v_add_co_u32 v2, s23, s38, v2
	v_add_co_ci_u32_e64 v3, s23, s39, v3, s23
	global_store_b16 v[2:3], v19, off
	s_or_b32 exec_lo, exec_lo, s24
	v_cmp_lt_u32_e64 s23, v57, v0
	s_delay_alu instid0(VALU_DEP_1)
	s_and_saveexec_b32 s25, s23
	s_cbranch_execnz .LBB948_193
.LBB948_178:                            ;   in Loop: Header=BB948_106 Depth=2
	s_or_b32 exec_lo, exec_lo, s25
	v_cmp_lt_u32_e64 s24, v58, v0
	s_delay_alu instid0(VALU_DEP_1)
	s_and_saveexec_b32 s26, s24
	s_cbranch_execz .LBB948_194
.LBB948_179:                            ;   in Loop: Header=BB948_106 Depth=2
	ds_load_u16 v142, v83 offset:4096
	s_waitcnt lgkmcnt(0)
	v_and_b32_e32 v2, 0xffff, v142
	s_delay_alu instid0(VALU_DEP_1) | instskip(NEXT) | instid1(VALU_DEP_1)
	v_lshrrev_b32_e32 v2, s42, v2
	v_and_b32_e32 v2, s43, v2
	s_delay_alu instid0(VALU_DEP_1) | instskip(SKIP_3) | instid1(VALU_DEP_1)
	v_lshlrev_b32_e32 v2, 2, v2
	ds_load_b32 v2, v2
	s_waitcnt lgkmcnt(0)
	v_add_nc_u32_e32 v19, v2, v58
	v_lshlrev_b64 v[2:3], 1, v[19:20]
	v_xor_b32_e32 v19, 0x7fff, v142
	s_delay_alu instid0(VALU_DEP_2) | instskip(NEXT) | instid1(VALU_DEP_1)
	v_add_co_u32 v2, s25, s38, v2
	v_add_co_ci_u32_e64 v3, s25, s39, v3, s25
	global_store_b16 v[2:3], v19, off
	s_or_b32 exec_lo, exec_lo, s26
	v_cmp_lt_u32_e64 s25, v59, v0
	s_delay_alu instid0(VALU_DEP_1)
	s_and_saveexec_b32 s27, s25
	s_cbranch_execnz .LBB948_195
.LBB948_180:                            ;   in Loop: Header=BB948_106 Depth=2
	s_or_b32 exec_lo, exec_lo, s27
	v_cmp_lt_u32_e64 s26, v60, v0
	s_delay_alu instid0(VALU_DEP_1)
	s_and_saveexec_b32 s28, s26
	s_cbranch_execz .LBB948_196
.LBB948_181:                            ;   in Loop: Header=BB948_106 Depth=2
	ds_load_u16 v142, v83 offset:5120
	s_waitcnt lgkmcnt(0)
	v_and_b32_e32 v2, 0xffff, v142
	s_delay_alu instid0(VALU_DEP_1) | instskip(NEXT) | instid1(VALU_DEP_1)
	v_lshrrev_b32_e32 v2, s42, v2
	v_and_b32_e32 v2, s43, v2
	s_delay_alu instid0(VALU_DEP_1) | instskip(SKIP_3) | instid1(VALU_DEP_1)
	v_lshlrev_b32_e32 v2, 2, v2
	ds_load_b32 v2, v2
	s_waitcnt lgkmcnt(0)
	v_add_nc_u32_e32 v19, v2, v60
	v_lshlrev_b64 v[2:3], 1, v[19:20]
	v_xor_b32_e32 v19, 0x7fff, v142
	s_delay_alu instid0(VALU_DEP_2) | instskip(NEXT) | instid1(VALU_DEP_1)
	v_add_co_u32 v2, s27, s38, v2
	v_add_co_ci_u32_e64 v3, s27, s39, v3, s27
	global_store_b16 v[2:3], v19, off
	s_or_b32 exec_lo, exec_lo, s28
	v_cmp_lt_u32_e64 s27, v61, v0
	s_delay_alu instid0(VALU_DEP_1)
	s_and_saveexec_b32 s29, s27
	s_cbranch_execnz .LBB948_197
.LBB948_182:                            ;   in Loop: Header=BB948_106 Depth=2
	s_or_b32 exec_lo, exec_lo, s29
	v_cmp_lt_u32_e64 s28, v62, v0
	s_delay_alu instid0(VALU_DEP_1)
	s_and_saveexec_b32 s30, s28
	s_cbranch_execz .LBB948_198
.LBB948_183:                            ;   in Loop: Header=BB948_106 Depth=2
	ds_load_u16 v142, v83 offset:6144
	s_waitcnt lgkmcnt(0)
	v_and_b32_e32 v2, 0xffff, v142
	s_delay_alu instid0(VALU_DEP_1) | instskip(NEXT) | instid1(VALU_DEP_1)
	v_lshrrev_b32_e32 v2, s42, v2
	v_and_b32_e32 v2, s43, v2
	s_delay_alu instid0(VALU_DEP_1) | instskip(SKIP_3) | instid1(VALU_DEP_1)
	v_lshlrev_b32_e32 v2, 2, v2
	ds_load_b32 v2, v2
	s_waitcnt lgkmcnt(0)
	v_add_nc_u32_e32 v19, v2, v62
	v_lshlrev_b64 v[2:3], 1, v[19:20]
	v_xor_b32_e32 v19, 0x7fff, v142
	s_delay_alu instid0(VALU_DEP_2) | instskip(NEXT) | instid1(VALU_DEP_1)
	v_add_co_u32 v2, s29, s38, v2
	v_add_co_ci_u32_e64 v3, s29, s39, v3, s29
	global_store_b16 v[2:3], v19, off
	s_or_b32 exec_lo, exec_lo, s30
	v_cmp_lt_u32_e64 s29, v63, v0
	s_delay_alu instid0(VALU_DEP_1)
	s_and_saveexec_b32 s31, s29
	s_cbranch_execnz .LBB948_199
.LBB948_184:                            ;   in Loop: Header=BB948_106 Depth=2
	s_or_b32 exec_lo, exec_lo, s31
	v_cmp_lt_u32_e64 s30, v64, v0
	s_delay_alu instid0(VALU_DEP_1)
	s_and_saveexec_b32 s33, s30
	s_cbranch_execz .LBB948_200
.LBB948_185:                            ;   in Loop: Header=BB948_106 Depth=2
	ds_load_u16 v142, v83 offset:7168
	s_waitcnt lgkmcnt(0)
	v_and_b32_e32 v2, 0xffff, v142
	s_delay_alu instid0(VALU_DEP_1) | instskip(NEXT) | instid1(VALU_DEP_1)
	v_lshrrev_b32_e32 v2, s42, v2
	v_and_b32_e32 v2, s43, v2
	s_delay_alu instid0(VALU_DEP_1) | instskip(SKIP_3) | instid1(VALU_DEP_1)
	v_lshlrev_b32_e32 v2, 2, v2
	ds_load_b32 v2, v2
	s_waitcnt lgkmcnt(0)
	v_add_nc_u32_e32 v19, v2, v64
	v_lshlrev_b64 v[2:3], 1, v[19:20]
	v_xor_b32_e32 v19, 0x7fff, v142
	s_delay_alu instid0(VALU_DEP_2) | instskip(NEXT) | instid1(VALU_DEP_1)
	v_add_co_u32 v2, s31, s38, v2
	v_add_co_ci_u32_e64 v3, s31, s39, v3, s31
	global_store_b16 v[2:3], v19, off
	s_or_b32 exec_lo, exec_lo, s33
	v_cmp_lt_u32_e64 s31, v66, v0
	s_delay_alu instid0(VALU_DEP_1)
	s_and_saveexec_b32 s45, s31
	s_cbranch_execnz .LBB948_201
	s_branch .LBB948_202
.LBB948_186:                            ;   in Loop: Header=BB948_106 Depth=2
	s_or_b32 exec_lo, exec_lo, s18
	v_cmp_lt_u32_e64 s17, v48, v0
	s_delay_alu instid0(VALU_DEP_1)
	s_and_saveexec_b32 s19, s17
	s_cbranch_execz .LBB948_172
.LBB948_187:                            ;   in Loop: Header=BB948_106 Depth=2
	ds_load_u16 v142, v83 offset:512
	s_waitcnt lgkmcnt(0)
	v_and_b32_e32 v2, 0xffff, v142
	s_delay_alu instid0(VALU_DEP_1) | instskip(NEXT) | instid1(VALU_DEP_1)
	v_lshrrev_b32_e32 v2, s42, v2
	v_and_b32_e32 v2, s43, v2
	s_delay_alu instid0(VALU_DEP_1) | instskip(SKIP_3) | instid1(VALU_DEP_1)
	v_lshlrev_b32_e32 v2, 2, v2
	ds_load_b32 v2, v2
	s_waitcnt lgkmcnt(0)
	v_add_nc_u32_e32 v19, v2, v48
	v_lshlrev_b64 v[2:3], 1, v[19:20]
	v_xor_b32_e32 v19, 0x7fff, v142
	s_delay_alu instid0(VALU_DEP_2) | instskip(NEXT) | instid1(VALU_DEP_1)
	v_add_co_u32 v2, s18, s38, v2
	v_add_co_ci_u32_e64 v3, s18, s39, v3, s18
	global_store_b16 v[2:3], v19, off
	s_or_b32 exec_lo, exec_lo, s19
	v_cmp_lt_u32_e64 s18, v49, v0
	s_delay_alu instid0(VALU_DEP_1)
	s_and_saveexec_b32 s20, s18
	s_cbranch_execnz .LBB948_173
.LBB948_188:                            ;   in Loop: Header=BB948_106 Depth=2
	s_or_b32 exec_lo, exec_lo, s20
	v_cmp_lt_u32_e64 s19, v50, v0
	s_delay_alu instid0(VALU_DEP_1)
	s_and_saveexec_b32 s21, s19
	s_cbranch_execz .LBB948_174
.LBB948_189:                            ;   in Loop: Header=BB948_106 Depth=2
	ds_load_u16 v142, v83 offset:1536
	s_waitcnt lgkmcnt(0)
	v_and_b32_e32 v2, 0xffff, v142
	s_delay_alu instid0(VALU_DEP_1) | instskip(NEXT) | instid1(VALU_DEP_1)
	v_lshrrev_b32_e32 v2, s42, v2
	v_and_b32_e32 v2, s43, v2
	s_delay_alu instid0(VALU_DEP_1) | instskip(SKIP_3) | instid1(VALU_DEP_1)
	v_lshlrev_b32_e32 v2, 2, v2
	ds_load_b32 v2, v2
	s_waitcnt lgkmcnt(0)
	v_add_nc_u32_e32 v19, v2, v50
	v_lshlrev_b64 v[2:3], 1, v[19:20]
	v_xor_b32_e32 v19, 0x7fff, v142
	s_delay_alu instid0(VALU_DEP_2) | instskip(NEXT) | instid1(VALU_DEP_1)
	v_add_co_u32 v2, s20, s38, v2
	v_add_co_ci_u32_e64 v3, s20, s39, v3, s20
	global_store_b16 v[2:3], v19, off
	s_or_b32 exec_lo, exec_lo, s21
	v_cmp_lt_u32_e64 s20, v54, v0
	s_delay_alu instid0(VALU_DEP_1)
	s_and_saveexec_b32 s22, s20
	s_cbranch_execnz .LBB948_175
.LBB948_190:                            ;   in Loop: Header=BB948_106 Depth=2
	s_or_b32 exec_lo, exec_lo, s22
	v_cmp_lt_u32_e64 s21, v55, v0
	s_delay_alu instid0(VALU_DEP_1)
	s_and_saveexec_b32 s23, s21
	s_cbranch_execz .LBB948_176
.LBB948_191:                            ;   in Loop: Header=BB948_106 Depth=2
	ds_load_u16 v142, v83 offset:2560
	s_waitcnt lgkmcnt(0)
	v_and_b32_e32 v2, 0xffff, v142
	s_delay_alu instid0(VALU_DEP_1) | instskip(NEXT) | instid1(VALU_DEP_1)
	v_lshrrev_b32_e32 v2, s42, v2
	v_and_b32_e32 v2, s43, v2
	s_delay_alu instid0(VALU_DEP_1) | instskip(SKIP_3) | instid1(VALU_DEP_1)
	v_lshlrev_b32_e32 v2, 2, v2
	ds_load_b32 v2, v2
	s_waitcnt lgkmcnt(0)
	v_add_nc_u32_e32 v19, v2, v55
	v_lshlrev_b64 v[2:3], 1, v[19:20]
	v_xor_b32_e32 v19, 0x7fff, v142
	s_delay_alu instid0(VALU_DEP_2) | instskip(NEXT) | instid1(VALU_DEP_1)
	v_add_co_u32 v2, s22, s38, v2
	v_add_co_ci_u32_e64 v3, s22, s39, v3, s22
	global_store_b16 v[2:3], v19, off
	s_or_b32 exec_lo, exec_lo, s23
	v_cmp_lt_u32_e64 s22, v56, v0
	s_delay_alu instid0(VALU_DEP_1)
	s_and_saveexec_b32 s24, s22
	s_cbranch_execnz .LBB948_177
.LBB948_192:                            ;   in Loop: Header=BB948_106 Depth=2
	s_or_b32 exec_lo, exec_lo, s24
	v_cmp_lt_u32_e64 s23, v57, v0
	s_delay_alu instid0(VALU_DEP_1)
	s_and_saveexec_b32 s25, s23
	s_cbranch_execz .LBB948_178
.LBB948_193:                            ;   in Loop: Header=BB948_106 Depth=2
	ds_load_u16 v142, v83 offset:3584
	s_waitcnt lgkmcnt(0)
	v_and_b32_e32 v2, 0xffff, v142
	s_delay_alu instid0(VALU_DEP_1) | instskip(NEXT) | instid1(VALU_DEP_1)
	v_lshrrev_b32_e32 v2, s42, v2
	v_and_b32_e32 v2, s43, v2
	s_delay_alu instid0(VALU_DEP_1) | instskip(SKIP_3) | instid1(VALU_DEP_1)
	v_lshlrev_b32_e32 v2, 2, v2
	ds_load_b32 v2, v2
	s_waitcnt lgkmcnt(0)
	v_add_nc_u32_e32 v19, v2, v57
	v_lshlrev_b64 v[2:3], 1, v[19:20]
	v_xor_b32_e32 v19, 0x7fff, v142
	s_delay_alu instid0(VALU_DEP_2) | instskip(NEXT) | instid1(VALU_DEP_1)
	v_add_co_u32 v2, s24, s38, v2
	v_add_co_ci_u32_e64 v3, s24, s39, v3, s24
	global_store_b16 v[2:3], v19, off
	s_or_b32 exec_lo, exec_lo, s25
	v_cmp_lt_u32_e64 s24, v58, v0
	s_delay_alu instid0(VALU_DEP_1)
	s_and_saveexec_b32 s26, s24
	s_cbranch_execnz .LBB948_179
.LBB948_194:                            ;   in Loop: Header=BB948_106 Depth=2
	s_or_b32 exec_lo, exec_lo, s26
	v_cmp_lt_u32_e64 s25, v59, v0
	s_delay_alu instid0(VALU_DEP_1)
	s_and_saveexec_b32 s27, s25
	s_cbranch_execz .LBB948_180
.LBB948_195:                            ;   in Loop: Header=BB948_106 Depth=2
	ds_load_u16 v142, v83 offset:4608
	s_waitcnt lgkmcnt(0)
	v_and_b32_e32 v2, 0xffff, v142
	s_delay_alu instid0(VALU_DEP_1) | instskip(NEXT) | instid1(VALU_DEP_1)
	v_lshrrev_b32_e32 v2, s42, v2
	v_and_b32_e32 v2, s43, v2
	s_delay_alu instid0(VALU_DEP_1) | instskip(SKIP_3) | instid1(VALU_DEP_1)
	v_lshlrev_b32_e32 v2, 2, v2
	ds_load_b32 v2, v2
	s_waitcnt lgkmcnt(0)
	v_add_nc_u32_e32 v19, v2, v59
	v_lshlrev_b64 v[2:3], 1, v[19:20]
	v_xor_b32_e32 v19, 0x7fff, v142
	s_delay_alu instid0(VALU_DEP_2) | instskip(NEXT) | instid1(VALU_DEP_1)
	v_add_co_u32 v2, s26, s38, v2
	v_add_co_ci_u32_e64 v3, s26, s39, v3, s26
	global_store_b16 v[2:3], v19, off
	s_or_b32 exec_lo, exec_lo, s27
	v_cmp_lt_u32_e64 s26, v60, v0
	s_delay_alu instid0(VALU_DEP_1)
	s_and_saveexec_b32 s28, s26
	s_cbranch_execnz .LBB948_181
.LBB948_196:                            ;   in Loop: Header=BB948_106 Depth=2
	s_or_b32 exec_lo, exec_lo, s28
	v_cmp_lt_u32_e64 s27, v61, v0
	s_delay_alu instid0(VALU_DEP_1)
	s_and_saveexec_b32 s29, s27
	s_cbranch_execz .LBB948_182
.LBB948_197:                            ;   in Loop: Header=BB948_106 Depth=2
	ds_load_u16 v142, v83 offset:5632
	s_waitcnt lgkmcnt(0)
	v_and_b32_e32 v2, 0xffff, v142
	s_delay_alu instid0(VALU_DEP_1) | instskip(NEXT) | instid1(VALU_DEP_1)
	v_lshrrev_b32_e32 v2, s42, v2
	v_and_b32_e32 v2, s43, v2
	s_delay_alu instid0(VALU_DEP_1) | instskip(SKIP_3) | instid1(VALU_DEP_1)
	v_lshlrev_b32_e32 v2, 2, v2
	ds_load_b32 v2, v2
	s_waitcnt lgkmcnt(0)
	v_add_nc_u32_e32 v19, v2, v61
	v_lshlrev_b64 v[2:3], 1, v[19:20]
	v_xor_b32_e32 v19, 0x7fff, v142
	s_delay_alu instid0(VALU_DEP_2) | instskip(NEXT) | instid1(VALU_DEP_1)
	v_add_co_u32 v2, s28, s38, v2
	v_add_co_ci_u32_e64 v3, s28, s39, v3, s28
	global_store_b16 v[2:3], v19, off
	s_or_b32 exec_lo, exec_lo, s29
	v_cmp_lt_u32_e64 s28, v62, v0
	s_delay_alu instid0(VALU_DEP_1)
	s_and_saveexec_b32 s30, s28
	s_cbranch_execnz .LBB948_183
.LBB948_198:                            ;   in Loop: Header=BB948_106 Depth=2
	s_or_b32 exec_lo, exec_lo, s30
	v_cmp_lt_u32_e64 s29, v63, v0
	s_delay_alu instid0(VALU_DEP_1)
	s_and_saveexec_b32 s31, s29
	s_cbranch_execz .LBB948_184
.LBB948_199:                            ;   in Loop: Header=BB948_106 Depth=2
	ds_load_u16 v142, v83 offset:6656
	s_waitcnt lgkmcnt(0)
	v_and_b32_e32 v2, 0xffff, v142
	s_delay_alu instid0(VALU_DEP_1) | instskip(NEXT) | instid1(VALU_DEP_1)
	v_lshrrev_b32_e32 v2, s42, v2
	v_and_b32_e32 v2, s43, v2
	s_delay_alu instid0(VALU_DEP_1) | instskip(SKIP_3) | instid1(VALU_DEP_1)
	v_lshlrev_b32_e32 v2, 2, v2
	ds_load_b32 v2, v2
	s_waitcnt lgkmcnt(0)
	v_add_nc_u32_e32 v19, v2, v63
	v_lshlrev_b64 v[2:3], 1, v[19:20]
	v_xor_b32_e32 v19, 0x7fff, v142
	s_delay_alu instid0(VALU_DEP_2) | instskip(NEXT) | instid1(VALU_DEP_1)
	v_add_co_u32 v2, s30, s38, v2
	v_add_co_ci_u32_e64 v3, s30, s39, v3, s30
	global_store_b16 v[2:3], v19, off
	s_or_b32 exec_lo, exec_lo, s31
	v_cmp_lt_u32_e64 s30, v64, v0
	s_delay_alu instid0(VALU_DEP_1)
	s_and_saveexec_b32 s33, s30
	s_cbranch_execnz .LBB948_185
.LBB948_200:                            ;   in Loop: Header=BB948_106 Depth=2
	s_or_b32 exec_lo, exec_lo, s33
	v_cmp_lt_u32_e64 s31, v66, v0
	s_delay_alu instid0(VALU_DEP_1)
	s_and_saveexec_b32 s45, s31
	s_cbranch_execz .LBB948_202
.LBB948_201:                            ;   in Loop: Header=BB948_106 Depth=2
	ds_load_u16 v142, v83 offset:7680
	s_waitcnt lgkmcnt(0)
	v_and_b32_e32 v2, 0xffff, v142
	s_delay_alu instid0(VALU_DEP_1) | instskip(NEXT) | instid1(VALU_DEP_1)
	v_lshrrev_b32_e32 v2, s42, v2
	v_and_b32_e32 v2, s43, v2
	s_delay_alu instid0(VALU_DEP_1) | instskip(SKIP_3) | instid1(VALU_DEP_1)
	v_lshlrev_b32_e32 v2, 2, v2
	ds_load_b32 v2, v2
	s_waitcnt lgkmcnt(0)
	v_add_nc_u32_e32 v19, v2, v66
	v_lshlrev_b64 v[2:3], 1, v[19:20]
	v_xor_b32_e32 v19, 0x7fff, v142
	s_delay_alu instid0(VALU_DEP_2) | instskip(NEXT) | instid1(VALU_DEP_1)
	v_add_co_u32 v2, s33, s38, v2
	v_add_co_ci_u32_e64 v3, s33, s39, v3, s33
	global_store_b16 v[2:3], v19, off
.LBB948_202:                            ;   in Loop: Header=BB948_106 Depth=2
	s_or_b32 exec_lo, exec_lo, s45
	s_lshl_b64 s[46:47], s[34:35], 3
	s_delay_alu instid0(SALU_CYCLE_1) | instskip(NEXT) | instid1(VALU_DEP_1)
	v_add_co_u32 v2, s33, v103, s46
	v_add_co_ci_u32_e64 v3, s33, s47, v104, s33
	v_cmp_lt_u32_e64 s33, v102, v0
	s_delay_alu instid0(VALU_DEP_1) | instskip(NEXT) | instid1(SALU_CYCLE_1)
	s_and_saveexec_b32 s34, s33
	s_xor_b32 s33, exec_lo, s34
	s_cbranch_execz .LBB948_234
; %bb.203:                              ;   in Loop: Header=BB948_106 Depth=2
	global_load_b64 v[43:44], v[2:3], off
	s_or_b32 exec_lo, exec_lo, s33
	s_delay_alu instid0(SALU_CYCLE_1)
	s_mov_b32 s34, exec_lo
	v_cmpx_lt_u32_e64 v105, v0
	s_cbranch_execnz .LBB948_235
.LBB948_204:                            ;   in Loop: Header=BB948_106 Depth=2
	s_or_b32 exec_lo, exec_lo, s34
	s_delay_alu instid0(SALU_CYCLE_1)
	s_mov_b32 s34, exec_lo
	v_cmpx_lt_u32_e64 v106, v0
	s_cbranch_execz .LBB948_236
.LBB948_205:                            ;   in Loop: Header=BB948_106 Depth=2
	global_load_b64 v[39:40], v[2:3], off offset:512
	s_or_b32 exec_lo, exec_lo, s34
	s_delay_alu instid0(SALU_CYCLE_1)
	s_mov_b32 s34, exec_lo
	v_cmpx_lt_u32_e64 v107, v0
	s_cbranch_execnz .LBB948_237
.LBB948_206:                            ;   in Loop: Header=BB948_106 Depth=2
	s_or_b32 exec_lo, exec_lo, s34
	s_delay_alu instid0(SALU_CYCLE_1)
	s_mov_b32 s34, exec_lo
	v_cmpx_lt_u32_e64 v108, v0
	s_cbranch_execz .LBB948_238
.LBB948_207:                            ;   in Loop: Header=BB948_106 Depth=2
	global_load_b64 v[35:36], v[2:3], off offset:1024
	s_or_b32 exec_lo, exec_lo, s34
	s_delay_alu instid0(SALU_CYCLE_1)
	s_mov_b32 s34, exec_lo
	v_cmpx_lt_u32_e64 v109, v0
	s_cbranch_execnz .LBB948_239
.LBB948_208:                            ;   in Loop: Header=BB948_106 Depth=2
	s_or_b32 exec_lo, exec_lo, s34
	s_delay_alu instid0(SALU_CYCLE_1)
	s_mov_b32 s34, exec_lo
	v_cmpx_lt_u32_e64 v110, v0
	s_cbranch_execz .LBB948_240
.LBB948_209:                            ;   in Loop: Header=BB948_106 Depth=2
	global_load_b64 v[31:32], v[2:3], off offset:1536
	s_or_b32 exec_lo, exec_lo, s34
	s_delay_alu instid0(SALU_CYCLE_1)
	s_mov_b32 s34, exec_lo
	v_cmpx_lt_u32_e64 v111, v0
	s_cbranch_execnz .LBB948_241
.LBB948_210:                            ;   in Loop: Header=BB948_106 Depth=2
	s_or_b32 exec_lo, exec_lo, s34
	s_delay_alu instid0(SALU_CYCLE_1)
	s_mov_b32 s34, exec_lo
	v_cmpx_lt_u32_e64 v112, v0
	s_cbranch_execz .LBB948_242
.LBB948_211:                            ;   in Loop: Header=BB948_106 Depth=2
	global_load_b64 v[27:28], v[2:3], off offset:2048
	s_or_b32 exec_lo, exec_lo, s34
	s_delay_alu instid0(SALU_CYCLE_1)
	s_mov_b32 s34, exec_lo
	v_cmpx_lt_u32_e64 v113, v0
	s_cbranch_execnz .LBB948_243
.LBB948_212:                            ;   in Loop: Header=BB948_106 Depth=2
	s_or_b32 exec_lo, exec_lo, s34
	s_delay_alu instid0(SALU_CYCLE_1)
	s_mov_b32 s34, exec_lo
	v_cmpx_lt_u32_e64 v114, v0
	s_cbranch_execz .LBB948_244
.LBB948_213:                            ;   in Loop: Header=BB948_106 Depth=2
	global_load_b64 v[23:24], v[2:3], off offset:2560
	s_or_b32 exec_lo, exec_lo, s34
	s_delay_alu instid0(SALU_CYCLE_1)
	s_mov_b32 s34, exec_lo
	v_cmpx_lt_u32_e64 v115, v0
	s_cbranch_execnz .LBB948_245
.LBB948_214:                            ;   in Loop: Header=BB948_106 Depth=2
	s_or_b32 exec_lo, exec_lo, s34
	s_delay_alu instid0(SALU_CYCLE_1)
	s_mov_b32 s34, exec_lo
	v_cmpx_lt_u32_e64 v116, v0
	s_cbranch_execz .LBB948_246
.LBB948_215:                            ;   in Loop: Header=BB948_106 Depth=2
	global_load_b64 v[16:17], v[2:3], off offset:3072
	s_or_b32 exec_lo, exec_lo, s34
	s_delay_alu instid0(SALU_CYCLE_1)
	s_mov_b32 s34, exec_lo
	v_cmpx_lt_u32_e64 v117, v0
	s_cbranch_execnz .LBB948_247
.LBB948_216:                            ;   in Loop: Header=BB948_106 Depth=2
	s_or_b32 exec_lo, exec_lo, s34
	s_delay_alu instid0(SALU_CYCLE_1)
	s_mov_b32 s34, exec_lo
	v_cmpx_lt_u32_e64 v118, v0
	s_cbranch_execz .LBB948_248
.LBB948_217:                            ;   in Loop: Header=BB948_106 Depth=2
	global_load_b64 v[12:13], v[2:3], off offset:3584
	s_or_b32 exec_lo, exec_lo, s34
	s_delay_alu instid0(SALU_CYCLE_1)
	s_mov_b32 s34, exec_lo
	v_cmpx_lt_u32_e64 v119, v0
	s_cbranch_execnz .LBB948_249
.LBB948_218:                            ;   in Loop: Header=BB948_106 Depth=2
	s_or_b32 exec_lo, exec_lo, s34
	s_and_saveexec_b32 s33, vcc_lo
	s_cbranch_execz .LBB948_250
.LBB948_219:                            ;   in Loop: Header=BB948_106 Depth=2
	v_add_nc_u32_e32 v0, v76, v82
	ds_load_u16 v0, v0 offset:1024
	s_waitcnt lgkmcnt(0)
	v_lshrrev_b32_e32 v0, s42, v0
	s_delay_alu instid0(VALU_DEP_1)
	v_and_b32_e32 v140, s43, v0
	s_or_b32 exec_lo, exec_lo, s33
	s_and_saveexec_b32 s33, s17
	s_cbranch_execnz .LBB948_251
.LBB948_220:                            ;   in Loop: Header=BB948_106 Depth=2
	s_or_b32 exec_lo, exec_lo, s33
	s_and_saveexec_b32 s33, s18
	s_cbranch_execz .LBB948_252
.LBB948_221:                            ;   in Loop: Header=BB948_106 Depth=2
	ds_load_u16 v0, v83 offset:1024
	s_waitcnt lgkmcnt(0)
	v_lshrrev_b32_e32 v0, s42, v0
	s_delay_alu instid0(VALU_DEP_1)
	v_and_b32_e32 v138, s43, v0
	s_or_b32 exec_lo, exec_lo, s33
	s_and_saveexec_b32 s33, s19
	s_cbranch_execnz .LBB948_253
.LBB948_222:                            ;   in Loop: Header=BB948_106 Depth=2
	s_or_b32 exec_lo, exec_lo, s33
	s_and_saveexec_b32 s33, s20
	s_cbranch_execz .LBB948_254
.LBB948_223:                            ;   in Loop: Header=BB948_106 Depth=2
	ds_load_u16 v0, v83 offset:2048
	s_waitcnt lgkmcnt(0)
	v_lshrrev_b32_e32 v0, s42, v0
	s_delay_alu instid0(VALU_DEP_1)
	v_and_b32_e32 v136, s43, v0
	s_or_b32 exec_lo, exec_lo, s33
	s_and_saveexec_b32 s33, s21
	s_cbranch_execnz .LBB948_255
.LBB948_224:                            ;   in Loop: Header=BB948_106 Depth=2
	s_or_b32 exec_lo, exec_lo, s33
	s_and_saveexec_b32 s33, s22
	s_cbranch_execz .LBB948_256
.LBB948_225:                            ;   in Loop: Header=BB948_106 Depth=2
	ds_load_u16 v0, v83 offset:3072
	s_waitcnt lgkmcnt(0)
	v_lshrrev_b32_e32 v0, s42, v0
	s_delay_alu instid0(VALU_DEP_1)
	v_and_b32_e32 v134, s43, v0
	s_or_b32 exec_lo, exec_lo, s33
	s_and_saveexec_b32 s33, s23
	s_cbranch_execnz .LBB948_257
.LBB948_226:                            ;   in Loop: Header=BB948_106 Depth=2
	s_or_b32 exec_lo, exec_lo, s33
	s_and_saveexec_b32 s33, s24
	s_cbranch_execz .LBB948_258
.LBB948_227:                            ;   in Loop: Header=BB948_106 Depth=2
	ds_load_u16 v0, v83 offset:4096
	s_waitcnt lgkmcnt(0)
	v_lshrrev_b32_e32 v0, s42, v0
	s_delay_alu instid0(VALU_DEP_1)
	v_and_b32_e32 v132, s43, v0
	s_or_b32 exec_lo, exec_lo, s33
	s_and_saveexec_b32 s33, s25
	s_cbranch_execnz .LBB948_259
.LBB948_228:                            ;   in Loop: Header=BB948_106 Depth=2
	s_or_b32 exec_lo, exec_lo, s33
	s_and_saveexec_b32 s33, s26
	s_cbranch_execz .LBB948_260
.LBB948_229:                            ;   in Loop: Header=BB948_106 Depth=2
	ds_load_u16 v0, v83 offset:5120
	s_waitcnt lgkmcnt(0)
	v_lshrrev_b32_e32 v0, s42, v0
	s_delay_alu instid0(VALU_DEP_1)
	v_and_b32_e32 v130, s43, v0
	s_or_b32 exec_lo, exec_lo, s33
	s_and_saveexec_b32 s33, s27
	s_cbranch_execnz .LBB948_261
.LBB948_230:                            ;   in Loop: Header=BB948_106 Depth=2
	s_or_b32 exec_lo, exec_lo, s33
	s_and_saveexec_b32 s33, s28
	s_cbranch_execz .LBB948_262
.LBB948_231:                            ;   in Loop: Header=BB948_106 Depth=2
	ds_load_u16 v0, v83 offset:6144
	s_waitcnt lgkmcnt(0)
	v_lshrrev_b32_e32 v0, s42, v0
	s_delay_alu instid0(VALU_DEP_1)
	v_and_b32_e32 v128, s43, v0
	s_or_b32 exec_lo, exec_lo, s33
	s_and_saveexec_b32 s33, s29
	s_cbranch_execnz .LBB948_263
.LBB948_232:                            ;   in Loop: Header=BB948_106 Depth=2
	s_or_b32 exec_lo, exec_lo, s33
	s_and_saveexec_b32 s33, s30
	s_cbranch_execz .LBB948_264
.LBB948_233:                            ;   in Loop: Header=BB948_106 Depth=2
	ds_load_u16 v0, v83 offset:7168
	s_waitcnt lgkmcnt(0)
	v_lshrrev_b32_e32 v0, s42, v0
	s_delay_alu instid0(VALU_DEP_1)
	v_and_b32_e32 v126, s43, v0
	s_or_b32 exec_lo, exec_lo, s33
	s_and_saveexec_b32 s33, s31
	s_cbranch_execnz .LBB948_265
	s_branch .LBB948_266
.LBB948_234:                            ;   in Loop: Header=BB948_106 Depth=2
	s_or_b32 exec_lo, exec_lo, s33
	s_delay_alu instid0(SALU_CYCLE_1)
	s_mov_b32 s34, exec_lo
	v_cmpx_lt_u32_e64 v105, v0
	s_cbranch_execz .LBB948_204
.LBB948_235:                            ;   in Loop: Header=BB948_106 Depth=2
	global_load_b64 v[41:42], v[2:3], off offset:256
	s_or_b32 exec_lo, exec_lo, s34
	s_delay_alu instid0(SALU_CYCLE_1)
	s_mov_b32 s34, exec_lo
	v_cmpx_lt_u32_e64 v106, v0
	s_cbranch_execnz .LBB948_205
.LBB948_236:                            ;   in Loop: Header=BB948_106 Depth=2
	s_or_b32 exec_lo, exec_lo, s34
	s_delay_alu instid0(SALU_CYCLE_1)
	s_mov_b32 s34, exec_lo
	v_cmpx_lt_u32_e64 v107, v0
	s_cbranch_execz .LBB948_206
.LBB948_237:                            ;   in Loop: Header=BB948_106 Depth=2
	global_load_b64 v[37:38], v[2:3], off offset:768
	s_or_b32 exec_lo, exec_lo, s34
	s_delay_alu instid0(SALU_CYCLE_1)
	s_mov_b32 s34, exec_lo
	v_cmpx_lt_u32_e64 v108, v0
	s_cbranch_execnz .LBB948_207
.LBB948_238:                            ;   in Loop: Header=BB948_106 Depth=2
	s_or_b32 exec_lo, exec_lo, s34
	s_delay_alu instid0(SALU_CYCLE_1)
	s_mov_b32 s34, exec_lo
	v_cmpx_lt_u32_e64 v109, v0
	s_cbranch_execz .LBB948_208
.LBB948_239:                            ;   in Loop: Header=BB948_106 Depth=2
	global_load_b64 v[33:34], v[2:3], off offset:1280
	s_or_b32 exec_lo, exec_lo, s34
	s_delay_alu instid0(SALU_CYCLE_1)
	s_mov_b32 s34, exec_lo
	v_cmpx_lt_u32_e64 v110, v0
	s_cbranch_execnz .LBB948_209
.LBB948_240:                            ;   in Loop: Header=BB948_106 Depth=2
	s_or_b32 exec_lo, exec_lo, s34
	s_delay_alu instid0(SALU_CYCLE_1)
	s_mov_b32 s34, exec_lo
	v_cmpx_lt_u32_e64 v111, v0
	s_cbranch_execz .LBB948_210
.LBB948_241:                            ;   in Loop: Header=BB948_106 Depth=2
	global_load_b64 v[29:30], v[2:3], off offset:1792
	s_or_b32 exec_lo, exec_lo, s34
	s_delay_alu instid0(SALU_CYCLE_1)
	s_mov_b32 s34, exec_lo
	v_cmpx_lt_u32_e64 v112, v0
	s_cbranch_execnz .LBB948_211
.LBB948_242:                            ;   in Loop: Header=BB948_106 Depth=2
	s_or_b32 exec_lo, exec_lo, s34
	s_delay_alu instid0(SALU_CYCLE_1)
	s_mov_b32 s34, exec_lo
	v_cmpx_lt_u32_e64 v113, v0
	s_cbranch_execz .LBB948_212
.LBB948_243:                            ;   in Loop: Header=BB948_106 Depth=2
	global_load_b64 v[25:26], v[2:3], off offset:2304
	s_or_b32 exec_lo, exec_lo, s34
	s_delay_alu instid0(SALU_CYCLE_1)
	s_mov_b32 s34, exec_lo
	v_cmpx_lt_u32_e64 v114, v0
	s_cbranch_execnz .LBB948_213
.LBB948_244:                            ;   in Loop: Header=BB948_106 Depth=2
	s_or_b32 exec_lo, exec_lo, s34
	s_delay_alu instid0(SALU_CYCLE_1)
	s_mov_b32 s34, exec_lo
	v_cmpx_lt_u32_e64 v115, v0
	s_cbranch_execz .LBB948_214
.LBB948_245:                            ;   in Loop: Header=BB948_106 Depth=2
	global_load_b64 v[21:22], v[2:3], off offset:2816
	s_or_b32 exec_lo, exec_lo, s34
	s_delay_alu instid0(SALU_CYCLE_1)
	s_mov_b32 s34, exec_lo
	v_cmpx_lt_u32_e64 v116, v0
	s_cbranch_execnz .LBB948_215
.LBB948_246:                            ;   in Loop: Header=BB948_106 Depth=2
	s_or_b32 exec_lo, exec_lo, s34
	s_delay_alu instid0(SALU_CYCLE_1)
	s_mov_b32 s34, exec_lo
	v_cmpx_lt_u32_e64 v117, v0
	s_cbranch_execz .LBB948_216
.LBB948_247:                            ;   in Loop: Header=BB948_106 Depth=2
	global_load_b64 v[14:15], v[2:3], off offset:3328
	s_or_b32 exec_lo, exec_lo, s34
	s_delay_alu instid0(SALU_CYCLE_1)
	s_mov_b32 s34, exec_lo
	v_cmpx_lt_u32_e64 v118, v0
	s_cbranch_execnz .LBB948_217
.LBB948_248:                            ;   in Loop: Header=BB948_106 Depth=2
	s_or_b32 exec_lo, exec_lo, s34
	s_delay_alu instid0(SALU_CYCLE_1)
	s_mov_b32 s34, exec_lo
	v_cmpx_lt_u32_e64 v119, v0
	s_cbranch_execz .LBB948_218
.LBB948_249:                            ;   in Loop: Header=BB948_106 Depth=2
	global_load_b64 v[10:11], v[2:3], off offset:3840
	s_or_b32 exec_lo, exec_lo, s34
	s_and_saveexec_b32 s33, vcc_lo
	s_cbranch_execnz .LBB948_219
.LBB948_250:                            ;   in Loop: Header=BB948_106 Depth=2
	s_or_b32 exec_lo, exec_lo, s33
	s_and_saveexec_b32 s33, s17
	s_cbranch_execz .LBB948_220
.LBB948_251:                            ;   in Loop: Header=BB948_106 Depth=2
	ds_load_u16 v0, v83 offset:512
	s_waitcnt lgkmcnt(0)
	v_lshrrev_b32_e32 v0, s42, v0
	s_delay_alu instid0(VALU_DEP_1)
	v_and_b32_e32 v139, s43, v0
	s_or_b32 exec_lo, exec_lo, s33
	s_and_saveexec_b32 s33, s18
	s_cbranch_execnz .LBB948_221
.LBB948_252:                            ;   in Loop: Header=BB948_106 Depth=2
	s_or_b32 exec_lo, exec_lo, s33
	s_and_saveexec_b32 s33, s19
	s_cbranch_execz .LBB948_222
.LBB948_253:                            ;   in Loop: Header=BB948_106 Depth=2
	ds_load_u16 v0, v83 offset:1536
	s_waitcnt lgkmcnt(0)
	v_lshrrev_b32_e32 v0, s42, v0
	s_delay_alu instid0(VALU_DEP_1)
	v_and_b32_e32 v137, s43, v0
	s_or_b32 exec_lo, exec_lo, s33
	s_and_saveexec_b32 s33, s20
	s_cbranch_execnz .LBB948_223
.LBB948_254:                            ;   in Loop: Header=BB948_106 Depth=2
	s_or_b32 exec_lo, exec_lo, s33
	s_and_saveexec_b32 s33, s21
	s_cbranch_execz .LBB948_224
.LBB948_255:                            ;   in Loop: Header=BB948_106 Depth=2
	ds_load_u16 v0, v83 offset:2560
	s_waitcnt lgkmcnt(0)
	v_lshrrev_b32_e32 v0, s42, v0
	s_delay_alu instid0(VALU_DEP_1)
	v_and_b32_e32 v135, s43, v0
	s_or_b32 exec_lo, exec_lo, s33
	s_and_saveexec_b32 s33, s22
	s_cbranch_execnz .LBB948_225
.LBB948_256:                            ;   in Loop: Header=BB948_106 Depth=2
	s_or_b32 exec_lo, exec_lo, s33
	s_and_saveexec_b32 s33, s23
	s_cbranch_execz .LBB948_226
.LBB948_257:                            ;   in Loop: Header=BB948_106 Depth=2
	ds_load_u16 v0, v83 offset:3584
	s_waitcnt lgkmcnt(0)
	v_lshrrev_b32_e32 v0, s42, v0
	s_delay_alu instid0(VALU_DEP_1)
	v_and_b32_e32 v133, s43, v0
	s_or_b32 exec_lo, exec_lo, s33
	s_and_saveexec_b32 s33, s24
	s_cbranch_execnz .LBB948_227
.LBB948_258:                            ;   in Loop: Header=BB948_106 Depth=2
	s_or_b32 exec_lo, exec_lo, s33
	s_and_saveexec_b32 s33, s25
	s_cbranch_execz .LBB948_228
.LBB948_259:                            ;   in Loop: Header=BB948_106 Depth=2
	ds_load_u16 v0, v83 offset:4608
	s_waitcnt lgkmcnt(0)
	v_lshrrev_b32_e32 v0, s42, v0
	s_delay_alu instid0(VALU_DEP_1)
	v_and_b32_e32 v131, s43, v0
	s_or_b32 exec_lo, exec_lo, s33
	s_and_saveexec_b32 s33, s26
	s_cbranch_execnz .LBB948_229
.LBB948_260:                            ;   in Loop: Header=BB948_106 Depth=2
	s_or_b32 exec_lo, exec_lo, s33
	s_and_saveexec_b32 s33, s27
	s_cbranch_execz .LBB948_230
.LBB948_261:                            ;   in Loop: Header=BB948_106 Depth=2
	ds_load_u16 v0, v83 offset:5632
	s_waitcnt lgkmcnt(0)
	v_lshrrev_b32_e32 v0, s42, v0
	s_delay_alu instid0(VALU_DEP_1)
	v_and_b32_e32 v129, s43, v0
	s_or_b32 exec_lo, exec_lo, s33
	s_and_saveexec_b32 s33, s28
	s_cbranch_execnz .LBB948_231
.LBB948_262:                            ;   in Loop: Header=BB948_106 Depth=2
	s_or_b32 exec_lo, exec_lo, s33
	s_and_saveexec_b32 s33, s29
	s_cbranch_execz .LBB948_232
.LBB948_263:                            ;   in Loop: Header=BB948_106 Depth=2
	ds_load_u16 v0, v83 offset:6656
	s_waitcnt lgkmcnt(0)
	v_lshrrev_b32_e32 v0, s42, v0
	s_delay_alu instid0(VALU_DEP_1)
	v_and_b32_e32 v127, s43, v0
	s_or_b32 exec_lo, exec_lo, s33
	s_and_saveexec_b32 s33, s30
	s_cbranch_execnz .LBB948_233
.LBB948_264:                            ;   in Loop: Header=BB948_106 Depth=2
	s_or_b32 exec_lo, exec_lo, s33
	s_and_saveexec_b32 s33, s31
	s_cbranch_execz .LBB948_266
.LBB948_265:                            ;   in Loop: Header=BB948_106 Depth=2
	ds_load_u16 v0, v83 offset:7680
	s_waitcnt lgkmcnt(0)
	v_lshrrev_b32_e32 v0, s42, v0
	s_delay_alu instid0(VALU_DEP_1)
	v_and_b32_e32 v125, s43, v0
.LBB948_266:                            ;   in Loop: Header=BB948_106 Depth=2
	s_or_b32 exec_lo, exec_lo, s33
	v_lshlrev_b32_e32 v0, 3, v159
	v_lshlrev_b32_e32 v2, 3, v155
	s_waitcnt vmcnt(0)
	s_waitcnt_vscnt null, 0x0
	s_barrier
	buffer_gl0_inv
	ds_store_b64 v0, v[43:44] offset:1024
	v_lshlrev_b32_e32 v0, 3, v151
	v_lshlrev_b32_e32 v3, 3, v150
	;; [unrolled: 1-line block ×4, first 2 shown]
	ds_store_b64 v2, v[41:42] offset:1024
	ds_store_b64 v0, v[39:40] offset:1024
	;; [unrolled: 1-line block ×5, first 2 shown]
	v_lshlrev_b32_e32 v0, 3, v146
	v_lshlrev_b32_e32 v2, 3, v145
	;; [unrolled: 1-line block ×5, first 2 shown]
	ds_store_b64 v0, v[31:32] offset:1024
	ds_store_b64 v2, v[29:30] offset:1024
	;; [unrolled: 1-line block ×5, first 2 shown]
	v_lshlrev_b32_e32 v0, 3, v6
	v_lshlrev_b32_e32 v2, 3, v5
	;; [unrolled: 1-line block ×5, first 2 shown]
	ds_store_b64 v0, v[21:22] offset:1024
	ds_store_b64 v2, v[16:17] offset:1024
	;; [unrolled: 1-line block ×5, first 2 shown]
	s_waitcnt lgkmcnt(0)
	s_barrier
	buffer_gl0_inv
	s_and_saveexec_b32 s33, vcc_lo
	s_cbranch_execz .LBB948_282
; %bb.267:                              ;   in Loop: Header=BB948_106 Depth=2
	v_lshlrev_b32_e32 v0, 2, v140
	ds_load_b32 v0, v0
	ds_load_b64 v[2:3], v84 offset:1024
	s_waitcnt lgkmcnt(1)
	v_add_nc_u32_e32 v19, v0, v18
	s_delay_alu instid0(VALU_DEP_1) | instskip(NEXT) | instid1(VALU_DEP_1)
	v_lshlrev_b64 v[5:6], 3, v[19:20]
	v_add_co_u32 v5, vcc_lo, s52, v5
	s_delay_alu instid0(VALU_DEP_2)
	v_add_co_ci_u32_e32 v6, vcc_lo, s53, v6, vcc_lo
	s_waitcnt lgkmcnt(0)
	global_store_b64 v[5:6], v[2:3], off
	s_or_b32 exec_lo, exec_lo, s33
	s_and_saveexec_b32 s33, s17
	s_cbranch_execnz .LBB948_283
.LBB948_268:                            ;   in Loop: Header=BB948_106 Depth=2
	s_or_b32 exec_lo, exec_lo, s33
	s_and_saveexec_b32 s17, s18
	s_cbranch_execz .LBB948_284
.LBB948_269:                            ;   in Loop: Header=BB948_106 Depth=2
	v_lshlrev_b32_e32 v0, 2, v138
	v_add_nc_u32_e32 v2, v83, v85
	ds_load_b32 v0, v0
	ds_load_b64 v[2:3], v2 offset:4096
	s_waitcnt lgkmcnt(1)
	v_add_nc_u32_e32 v19, v0, v49
	s_delay_alu instid0(VALU_DEP_1) | instskip(NEXT) | instid1(VALU_DEP_1)
	v_lshlrev_b64 v[5:6], 3, v[19:20]
	v_add_co_u32 v5, vcc_lo, s52, v5
	s_delay_alu instid0(VALU_DEP_2)
	v_add_co_ci_u32_e32 v6, vcc_lo, s53, v6, vcc_lo
	s_waitcnt lgkmcnt(0)
	global_store_b64 v[5:6], v[2:3], off
	s_or_b32 exec_lo, exec_lo, s17
	s_and_saveexec_b32 s17, s19
	s_cbranch_execnz .LBB948_285
.LBB948_270:                            ;   in Loop: Header=BB948_106 Depth=2
	s_or_b32 exec_lo, exec_lo, s17
	s_and_saveexec_b32 s17, s20
	s_cbranch_execz .LBB948_286
.LBB948_271:                            ;   in Loop: Header=BB948_106 Depth=2
	v_lshlrev_b32_e32 v0, 2, v136
	v_add_nc_u32_e32 v2, v83, v85
	ds_load_b32 v0, v0
	ds_load_b64 v[2:3], v2 offset:8192
	s_waitcnt lgkmcnt(1)
	v_add_nc_u32_e32 v19, v0, v54
	s_delay_alu instid0(VALU_DEP_1) | instskip(NEXT) | instid1(VALU_DEP_1)
	v_lshlrev_b64 v[5:6], 3, v[19:20]
	v_add_co_u32 v5, vcc_lo, s52, v5
	s_delay_alu instid0(VALU_DEP_2)
	v_add_co_ci_u32_e32 v6, vcc_lo, s53, v6, vcc_lo
	s_waitcnt lgkmcnt(0)
	global_store_b64 v[5:6], v[2:3], off
	s_or_b32 exec_lo, exec_lo, s17
	s_and_saveexec_b32 s17, s21
	s_cbranch_execnz .LBB948_287
.LBB948_272:                            ;   in Loop: Header=BB948_106 Depth=2
	s_or_b32 exec_lo, exec_lo, s17
	s_and_saveexec_b32 s17, s22
	s_cbranch_execz .LBB948_288
.LBB948_273:                            ;   in Loop: Header=BB948_106 Depth=2
	v_lshlrev_b32_e32 v0, 2, v134
	v_add_nc_u32_e32 v2, v83, v85
	ds_load_b32 v0, v0
	ds_load_b64 v[2:3], v2 offset:12288
	s_waitcnt lgkmcnt(1)
	v_add_nc_u32_e32 v19, v0, v56
	s_delay_alu instid0(VALU_DEP_1) | instskip(NEXT) | instid1(VALU_DEP_1)
	v_lshlrev_b64 v[5:6], 3, v[19:20]
	v_add_co_u32 v5, vcc_lo, s52, v5
	s_delay_alu instid0(VALU_DEP_2)
	v_add_co_ci_u32_e32 v6, vcc_lo, s53, v6, vcc_lo
	s_waitcnt lgkmcnt(0)
	global_store_b64 v[5:6], v[2:3], off
	s_or_b32 exec_lo, exec_lo, s17
	s_and_saveexec_b32 s17, s23
	s_cbranch_execnz .LBB948_289
.LBB948_274:                            ;   in Loop: Header=BB948_106 Depth=2
	s_or_b32 exec_lo, exec_lo, s17
	s_and_saveexec_b32 s17, s24
	s_cbranch_execz .LBB948_290
.LBB948_275:                            ;   in Loop: Header=BB948_106 Depth=2
	v_lshlrev_b32_e32 v0, 2, v132
	v_add_nc_u32_e32 v2, v83, v85
	ds_load_b32 v0, v0
	ds_load_b64 v[2:3], v2 offset:16384
	s_waitcnt lgkmcnt(1)
	v_add_nc_u32_e32 v19, v0, v58
	s_delay_alu instid0(VALU_DEP_1) | instskip(NEXT) | instid1(VALU_DEP_1)
	v_lshlrev_b64 v[5:6], 3, v[19:20]
	v_add_co_u32 v5, vcc_lo, s52, v5
	s_delay_alu instid0(VALU_DEP_2)
	v_add_co_ci_u32_e32 v6, vcc_lo, s53, v6, vcc_lo
	s_waitcnt lgkmcnt(0)
	global_store_b64 v[5:6], v[2:3], off
	s_or_b32 exec_lo, exec_lo, s17
	s_and_saveexec_b32 s17, s25
	s_cbranch_execnz .LBB948_291
.LBB948_276:                            ;   in Loop: Header=BB948_106 Depth=2
	s_or_b32 exec_lo, exec_lo, s17
	s_and_saveexec_b32 s17, s26
	s_cbranch_execz .LBB948_292
.LBB948_277:                            ;   in Loop: Header=BB948_106 Depth=2
	v_lshlrev_b32_e32 v0, 2, v130
	v_add_nc_u32_e32 v2, v83, v85
	ds_load_b32 v0, v0
	ds_load_b64 v[2:3], v2 offset:20480
	s_waitcnt lgkmcnt(1)
	v_add_nc_u32_e32 v19, v0, v60
	s_delay_alu instid0(VALU_DEP_1) | instskip(NEXT) | instid1(VALU_DEP_1)
	v_lshlrev_b64 v[5:6], 3, v[19:20]
	v_add_co_u32 v5, vcc_lo, s52, v5
	s_delay_alu instid0(VALU_DEP_2)
	v_add_co_ci_u32_e32 v6, vcc_lo, s53, v6, vcc_lo
	s_waitcnt lgkmcnt(0)
	global_store_b64 v[5:6], v[2:3], off
	s_or_b32 exec_lo, exec_lo, s17
	s_and_saveexec_b32 s17, s27
	s_cbranch_execnz .LBB948_293
.LBB948_278:                            ;   in Loop: Header=BB948_106 Depth=2
	s_or_b32 exec_lo, exec_lo, s17
	s_and_saveexec_b32 s17, s28
	s_cbranch_execz .LBB948_294
.LBB948_279:                            ;   in Loop: Header=BB948_106 Depth=2
	v_lshlrev_b32_e32 v0, 2, v128
	v_add_nc_u32_e32 v2, v83, v85
	ds_load_b32 v0, v0
	ds_load_b64 v[2:3], v2 offset:24576
	s_waitcnt lgkmcnt(1)
	v_add_nc_u32_e32 v19, v0, v62
	s_delay_alu instid0(VALU_DEP_1) | instskip(NEXT) | instid1(VALU_DEP_1)
	v_lshlrev_b64 v[5:6], 3, v[19:20]
	v_add_co_u32 v5, vcc_lo, s52, v5
	s_delay_alu instid0(VALU_DEP_2)
	v_add_co_ci_u32_e32 v6, vcc_lo, s53, v6, vcc_lo
	s_waitcnt lgkmcnt(0)
	global_store_b64 v[5:6], v[2:3], off
	s_or_b32 exec_lo, exec_lo, s17
	s_and_saveexec_b32 s17, s29
	s_cbranch_execnz .LBB948_295
.LBB948_280:                            ;   in Loop: Header=BB948_106 Depth=2
	s_or_b32 exec_lo, exec_lo, s17
	s_and_saveexec_b32 s17, s30
	s_cbranch_execz .LBB948_296
.LBB948_281:                            ;   in Loop: Header=BB948_106 Depth=2
	v_lshlrev_b32_e32 v0, 2, v126
	v_add_nc_u32_e32 v2, v83, v85
	ds_load_b32 v0, v0
	ds_load_b64 v[2:3], v2 offset:28672
	s_waitcnt lgkmcnt(1)
	v_add_nc_u32_e32 v19, v0, v64
	s_delay_alu instid0(VALU_DEP_1) | instskip(NEXT) | instid1(VALU_DEP_1)
	v_lshlrev_b64 v[5:6], 3, v[19:20]
	v_add_co_u32 v5, vcc_lo, s52, v5
	s_delay_alu instid0(VALU_DEP_2)
	v_add_co_ci_u32_e32 v6, vcc_lo, s53, v6, vcc_lo
	s_waitcnt lgkmcnt(0)
	global_store_b64 v[5:6], v[2:3], off
	s_or_b32 exec_lo, exec_lo, s17
	s_and_saveexec_b32 s17, s31
	s_cbranch_execnz .LBB948_297
	s_branch .LBB948_298
.LBB948_282:                            ;   in Loop: Header=BB948_106 Depth=2
	s_or_b32 exec_lo, exec_lo, s33
	s_and_saveexec_b32 s33, s17
	s_cbranch_execz .LBB948_268
.LBB948_283:                            ;   in Loop: Header=BB948_106 Depth=2
	v_lshlrev_b32_e32 v0, 2, v139
	v_add_nc_u32_e32 v2, v83, v85
	ds_load_b32 v0, v0
	ds_load_b64 v[2:3], v2 offset:2048
	s_waitcnt lgkmcnt(1)
	v_add_nc_u32_e32 v19, v0, v48
	s_delay_alu instid0(VALU_DEP_1) | instskip(NEXT) | instid1(VALU_DEP_1)
	v_lshlrev_b64 v[5:6], 3, v[19:20]
	v_add_co_u32 v5, vcc_lo, s52, v5
	s_delay_alu instid0(VALU_DEP_2)
	v_add_co_ci_u32_e32 v6, vcc_lo, s53, v6, vcc_lo
	s_waitcnt lgkmcnt(0)
	global_store_b64 v[5:6], v[2:3], off
	s_or_b32 exec_lo, exec_lo, s33
	s_and_saveexec_b32 s17, s18
	s_cbranch_execnz .LBB948_269
.LBB948_284:                            ;   in Loop: Header=BB948_106 Depth=2
	s_or_b32 exec_lo, exec_lo, s17
	s_and_saveexec_b32 s17, s19
	s_cbranch_execz .LBB948_270
.LBB948_285:                            ;   in Loop: Header=BB948_106 Depth=2
	v_lshlrev_b32_e32 v0, 2, v137
	v_add_nc_u32_e32 v2, v83, v85
	ds_load_b32 v0, v0
	ds_load_b64 v[2:3], v2 offset:6144
	s_waitcnt lgkmcnt(1)
	v_add_nc_u32_e32 v19, v0, v50
	s_delay_alu instid0(VALU_DEP_1) | instskip(NEXT) | instid1(VALU_DEP_1)
	v_lshlrev_b64 v[5:6], 3, v[19:20]
	v_add_co_u32 v5, vcc_lo, s52, v5
	s_delay_alu instid0(VALU_DEP_2)
	v_add_co_ci_u32_e32 v6, vcc_lo, s53, v6, vcc_lo
	s_waitcnt lgkmcnt(0)
	global_store_b64 v[5:6], v[2:3], off
	s_or_b32 exec_lo, exec_lo, s17
	s_and_saveexec_b32 s17, s20
	s_cbranch_execnz .LBB948_271
.LBB948_286:                            ;   in Loop: Header=BB948_106 Depth=2
	s_or_b32 exec_lo, exec_lo, s17
	s_and_saveexec_b32 s17, s21
	s_cbranch_execz .LBB948_272
.LBB948_287:                            ;   in Loop: Header=BB948_106 Depth=2
	v_lshlrev_b32_e32 v0, 2, v135
	v_add_nc_u32_e32 v2, v83, v85
	ds_load_b32 v0, v0
	ds_load_b64 v[2:3], v2 offset:10240
	s_waitcnt lgkmcnt(1)
	v_add_nc_u32_e32 v19, v0, v55
	s_delay_alu instid0(VALU_DEP_1) | instskip(NEXT) | instid1(VALU_DEP_1)
	v_lshlrev_b64 v[5:6], 3, v[19:20]
	v_add_co_u32 v5, vcc_lo, s52, v5
	s_delay_alu instid0(VALU_DEP_2)
	v_add_co_ci_u32_e32 v6, vcc_lo, s53, v6, vcc_lo
	s_waitcnt lgkmcnt(0)
	global_store_b64 v[5:6], v[2:3], off
	s_or_b32 exec_lo, exec_lo, s17
	s_and_saveexec_b32 s17, s22
	s_cbranch_execnz .LBB948_273
.LBB948_288:                            ;   in Loop: Header=BB948_106 Depth=2
	s_or_b32 exec_lo, exec_lo, s17
	s_and_saveexec_b32 s17, s23
	s_cbranch_execz .LBB948_274
.LBB948_289:                            ;   in Loop: Header=BB948_106 Depth=2
	v_lshlrev_b32_e32 v0, 2, v133
	v_add_nc_u32_e32 v2, v83, v85
	ds_load_b32 v0, v0
	ds_load_b64 v[2:3], v2 offset:14336
	s_waitcnt lgkmcnt(1)
	v_add_nc_u32_e32 v19, v0, v57
	s_delay_alu instid0(VALU_DEP_1) | instskip(NEXT) | instid1(VALU_DEP_1)
	v_lshlrev_b64 v[5:6], 3, v[19:20]
	v_add_co_u32 v5, vcc_lo, s52, v5
	s_delay_alu instid0(VALU_DEP_2)
	v_add_co_ci_u32_e32 v6, vcc_lo, s53, v6, vcc_lo
	s_waitcnt lgkmcnt(0)
	global_store_b64 v[5:6], v[2:3], off
	s_or_b32 exec_lo, exec_lo, s17
	s_and_saveexec_b32 s17, s24
	s_cbranch_execnz .LBB948_275
.LBB948_290:                            ;   in Loop: Header=BB948_106 Depth=2
	s_or_b32 exec_lo, exec_lo, s17
	s_and_saveexec_b32 s17, s25
	s_cbranch_execz .LBB948_276
.LBB948_291:                            ;   in Loop: Header=BB948_106 Depth=2
	v_lshlrev_b32_e32 v0, 2, v131
	v_add_nc_u32_e32 v2, v83, v85
	ds_load_b32 v0, v0
	ds_load_b64 v[2:3], v2 offset:18432
	s_waitcnt lgkmcnt(1)
	v_add_nc_u32_e32 v19, v0, v59
	s_delay_alu instid0(VALU_DEP_1) | instskip(NEXT) | instid1(VALU_DEP_1)
	v_lshlrev_b64 v[5:6], 3, v[19:20]
	v_add_co_u32 v5, vcc_lo, s52, v5
	s_delay_alu instid0(VALU_DEP_2)
	v_add_co_ci_u32_e32 v6, vcc_lo, s53, v6, vcc_lo
	s_waitcnt lgkmcnt(0)
	global_store_b64 v[5:6], v[2:3], off
	s_or_b32 exec_lo, exec_lo, s17
	s_and_saveexec_b32 s17, s26
	s_cbranch_execnz .LBB948_277
.LBB948_292:                            ;   in Loop: Header=BB948_106 Depth=2
	s_or_b32 exec_lo, exec_lo, s17
	s_and_saveexec_b32 s17, s27
	s_cbranch_execz .LBB948_278
.LBB948_293:                            ;   in Loop: Header=BB948_106 Depth=2
	v_lshlrev_b32_e32 v0, 2, v129
	v_add_nc_u32_e32 v2, v83, v85
	ds_load_b32 v0, v0
	ds_load_b64 v[2:3], v2 offset:22528
	s_waitcnt lgkmcnt(1)
	v_add_nc_u32_e32 v19, v0, v61
	s_delay_alu instid0(VALU_DEP_1) | instskip(NEXT) | instid1(VALU_DEP_1)
	v_lshlrev_b64 v[5:6], 3, v[19:20]
	v_add_co_u32 v5, vcc_lo, s52, v5
	s_delay_alu instid0(VALU_DEP_2)
	v_add_co_ci_u32_e32 v6, vcc_lo, s53, v6, vcc_lo
	s_waitcnt lgkmcnt(0)
	global_store_b64 v[5:6], v[2:3], off
	s_or_b32 exec_lo, exec_lo, s17
	s_and_saveexec_b32 s17, s28
	s_cbranch_execnz .LBB948_279
.LBB948_294:                            ;   in Loop: Header=BB948_106 Depth=2
	s_or_b32 exec_lo, exec_lo, s17
	s_and_saveexec_b32 s17, s29
	s_cbranch_execz .LBB948_280
.LBB948_295:                            ;   in Loop: Header=BB948_106 Depth=2
	v_lshlrev_b32_e32 v0, 2, v127
	v_add_nc_u32_e32 v2, v83, v85
	ds_load_b32 v0, v0
	ds_load_b64 v[2:3], v2 offset:26624
	s_waitcnt lgkmcnt(1)
	v_add_nc_u32_e32 v19, v0, v63
	s_delay_alu instid0(VALU_DEP_1) | instskip(NEXT) | instid1(VALU_DEP_1)
	v_lshlrev_b64 v[5:6], 3, v[19:20]
	v_add_co_u32 v5, vcc_lo, s52, v5
	s_delay_alu instid0(VALU_DEP_2)
	v_add_co_ci_u32_e32 v6, vcc_lo, s53, v6, vcc_lo
	s_waitcnt lgkmcnt(0)
	global_store_b64 v[5:6], v[2:3], off
	s_or_b32 exec_lo, exec_lo, s17
	s_and_saveexec_b32 s17, s30
	s_cbranch_execnz .LBB948_281
.LBB948_296:                            ;   in Loop: Header=BB948_106 Depth=2
	s_or_b32 exec_lo, exec_lo, s17
	s_and_saveexec_b32 s17, s31
	s_cbranch_execz .LBB948_298
.LBB948_297:                            ;   in Loop: Header=BB948_106 Depth=2
	v_lshlrev_b32_e32 v0, 2, v125
	v_add_nc_u32_e32 v2, v83, v85
	ds_load_b32 v0, v0
	ds_load_b64 v[2:3], v2 offset:30720
	s_waitcnt lgkmcnt(1)
	v_add_nc_u32_e32 v19, v0, v66
	s_delay_alu instid0(VALU_DEP_1) | instskip(NEXT) | instid1(VALU_DEP_1)
	v_lshlrev_b64 v[5:6], 3, v[19:20]
	v_add_co_u32 v5, vcc_lo, s52, v5
	s_delay_alu instid0(VALU_DEP_2)
	v_add_co_ci_u32_e32 v6, vcc_lo, s53, v6, vcc_lo
	s_waitcnt lgkmcnt(0)
	global_store_b64 v[5:6], v[2:3], off
.LBB948_298:                            ;   in Loop: Header=BB948_106 Depth=2
	s_or_b32 exec_lo, exec_lo, s17
	s_waitcnt_vscnt null, 0x0
	s_barrier
	buffer_gl0_inv
	s_and_saveexec_b32 s17, s2
	s_cbranch_execz .LBB948_105
; %bb.299:                              ;   in Loop: Header=BB948_106 Depth=2
	ds_load_b32 v0, v47
	s_waitcnt lgkmcnt(0)
	v_add_nc_u32_e32 v0, v0, v4
	ds_store_b32 v47, v0
	s_branch .LBB948_105
.LBB948_300:                            ;   in Loop: Header=BB948_106 Depth=2
	s_or_b32 exec_lo, exec_lo, s17
	s_delay_alu instid0(SALU_CYCLE_1)
	s_mov_b32 s17, exec_lo
	v_cmpx_gt_u32_e64 s56, v105
	s_cbranch_execz .LBB948_111
.LBB948_301:                            ;   in Loop: Header=BB948_106 Depth=2
	global_load_d16_hi_b16 v2, v[45:46], off offset:64
	s_or_b32 exec_lo, exec_lo, s17
	s_delay_alu instid0(SALU_CYCLE_1)
	s_mov_b32 s17, exec_lo
	v_cmpx_gt_u32_e64 s56, v106
	s_cbranch_execnz .LBB948_112
.LBB948_302:                            ;   in Loop: Header=BB948_106 Depth=2
	s_or_b32 exec_lo, exec_lo, s17
	s_delay_alu instid0(SALU_CYCLE_1)
	s_mov_b32 s17, exec_lo
	v_cmpx_gt_u32_e64 s56, v107
	s_cbranch_execz .LBB948_113
.LBB948_303:                            ;   in Loop: Header=BB948_106 Depth=2
	global_load_d16_hi_b16 v3, v[45:46], off offset:192
	s_or_b32 exec_lo, exec_lo, s17
	s_delay_alu instid0(SALU_CYCLE_1)
	s_mov_b32 s17, exec_lo
	v_cmpx_gt_u32_e64 s56, v108
	s_cbranch_execnz .LBB948_114
.LBB948_304:                            ;   in Loop: Header=BB948_106 Depth=2
	s_or_b32 exec_lo, exec_lo, s17
	s_delay_alu instid0(SALU_CYCLE_1)
	s_mov_b32 s17, exec_lo
	v_cmpx_gt_u32_e64 s56, v109
	s_cbranch_execz .LBB948_115
.LBB948_305:                            ;   in Loop: Header=BB948_106 Depth=2
	global_load_d16_hi_b16 v4, v[45:46], off offset:320
	s_or_b32 exec_lo, exec_lo, s17
	s_delay_alu instid0(SALU_CYCLE_1)
	s_mov_b32 s17, exec_lo
	v_cmpx_gt_u32_e64 s56, v110
	s_cbranch_execnz .LBB948_116
.LBB948_306:                            ;   in Loop: Header=BB948_106 Depth=2
	s_or_b32 exec_lo, exec_lo, s17
	s_delay_alu instid0(SALU_CYCLE_1)
	s_mov_b32 s17, exec_lo
	v_cmpx_gt_u32_e64 s56, v111
	s_cbranch_execz .LBB948_117
.LBB948_307:                            ;   in Loop: Header=BB948_106 Depth=2
	global_load_d16_hi_b16 v5, v[45:46], off offset:448
	s_or_b32 exec_lo, exec_lo, s17
	s_delay_alu instid0(SALU_CYCLE_1)
	s_mov_b32 s17, exec_lo
	v_cmpx_gt_u32_e64 s56, v112
	s_cbranch_execnz .LBB948_118
.LBB948_308:                            ;   in Loop: Header=BB948_106 Depth=2
	s_or_b32 exec_lo, exec_lo, s17
	s_delay_alu instid0(SALU_CYCLE_1)
	s_mov_b32 s17, exec_lo
	v_cmpx_gt_u32_e64 s56, v113
	s_cbranch_execz .LBB948_119
.LBB948_309:                            ;   in Loop: Header=BB948_106 Depth=2
	global_load_d16_hi_b16 v6, v[45:46], off offset:576
	s_or_b32 exec_lo, exec_lo, s17
	s_delay_alu instid0(SALU_CYCLE_1)
	s_mov_b32 s17, exec_lo
	v_cmpx_gt_u32_e64 s56, v114
	s_cbranch_execnz .LBB948_120
.LBB948_310:                            ;   in Loop: Header=BB948_106 Depth=2
	s_or_b32 exec_lo, exec_lo, s17
	s_delay_alu instid0(SALU_CYCLE_1)
	s_mov_b32 s17, exec_lo
	v_cmpx_gt_u32_e64 s56, v115
	s_cbranch_execz .LBB948_121
.LBB948_311:                            ;   in Loop: Header=BB948_106 Depth=2
	global_load_d16_hi_b16 v7, v[45:46], off offset:704
	s_or_b32 exec_lo, exec_lo, s17
	s_delay_alu instid0(SALU_CYCLE_1)
	s_mov_b32 s17, exec_lo
	v_cmpx_gt_u32_e64 s56, v116
	s_cbranch_execnz .LBB948_122
.LBB948_312:                            ;   in Loop: Header=BB948_106 Depth=2
	s_or_b32 exec_lo, exec_lo, s17
	s_delay_alu instid0(SALU_CYCLE_1)
	s_mov_b32 s17, exec_lo
	v_cmpx_gt_u32_e64 s56, v117
	s_cbranch_execz .LBB948_123
.LBB948_313:                            ;   in Loop: Header=BB948_106 Depth=2
	global_load_d16_hi_b16 v8, v[45:46], off offset:832
	s_or_b32 exec_lo, exec_lo, s17
	s_delay_alu instid0(SALU_CYCLE_1)
	s_mov_b32 s17, exec_lo
	v_cmpx_gt_u32_e64 s56, v118
	s_cbranch_execnz .LBB948_124
	s_branch .LBB948_125
.LBB948_314:                            ;   in Loop: Header=BB948_20 Depth=1
	s_waitcnt lgkmcnt(0)
	s_mov_b32 s1, 0
	s_barrier
.LBB948_315:                            ;   in Loop: Header=BB948_20 Depth=1
	s_and_b32 vcc_lo, exec_lo, s1
	s_cbranch_vccz .LBB948_609
; %bb.316:                              ;   in Loop: Header=BB948_20 Depth=1
	s_mov_b32 s1, s64
	s_mov_b32 s34, s62
	s_barrier
	buffer_gl0_inv
                                        ; implicit-def: $vgpr2_vgpr3_vgpr4_vgpr5_vgpr6_vgpr7_vgpr8_vgpr9
	s_branch .LBB948_318
.LBB948_317:                            ;   in Loop: Header=BB948_318 Depth=2
	s_or_b32 exec_lo, exec_lo, s8
	s_addk_i32 s1, 0xf000
	s_cmp_ge_u32 s7, s63
	s_mov_b32 s34, s7
	s_cbranch_scc1 .LBB948_388
.LBB948_318:                            ;   Parent Loop BB948_20 Depth=1
                                        ; =>  This Inner Loop Header: Depth=2
	s_add_i32 s7, s34, 0x1000
	s_delay_alu instid0(SALU_CYCLE_1)
	s_cmp_gt_u32 s7, s63
	s_cbranch_scc1 .LBB948_321
; %bb.319:                              ;   in Loop: Header=BB948_318 Depth=2
	s_mov_b32 s9, 0
	s_mov_b32 s8, s34
	s_waitcnt vmcnt(7)
	v_mov_b32_e32 v17, v9
	s_lshl_b64 s[10:11], s[8:9], 1
	s_delay_alu instid0(SALU_CYCLE_1) | instskip(SKIP_2) | instid1(VALU_DEP_2)
	v_add_co_u32 v21, vcc_lo, v86, s10
	v_add_co_ci_u32_e32 v22, vcc_lo, s11, v87, vcc_lo
	s_movk_i32 s11, 0x1000
	v_add_co_u32 v23, vcc_lo, 0x1000, v21
	s_delay_alu instid0(VALU_DEP_2)
	v_add_co_ci_u32_e32 v24, vcc_lo, 0, v22, vcc_lo
	s_clause 0x6
	global_load_u16 v10, v[21:22], off
	global_load_u16 v11, v[21:22], off offset:1024
	global_load_u16 v12, v[21:22], off offset:2048
	;; [unrolled: 1-line block ×3, first 2 shown]
	global_load_u16 v14, v[23:24], off
	global_load_u16 v15, v[23:24], off offset:1024
	global_load_u16 v16, v[23:24], off offset:2048
	s_mov_b32 s10, -1
	s_clause 0x7
	global_load_d16_b16 v17, v[23:24], off offset:3072
	global_load_d16_hi_b16 v10, v[21:22], off offset:512
	global_load_d16_hi_b16 v11, v[21:22], off offset:1536
	global_load_d16_hi_b16 v12, v[21:22], off offset:2560
	global_load_d16_hi_b16 v13, v[21:22], off offset:3584
	global_load_d16_hi_b16 v14, v[23:24], off offset:512
	global_load_d16_hi_b16 v15, v[23:24], off offset:1536
	global_load_d16_hi_b16 v16, v[23:24], off offset:2560
	v_add_co_u32 v21, vcc_lo, 0x1e00, v21
	v_add_co_ci_u32_e32 v22, vcc_lo, 0, v22, vcc_lo
	s_cbranch_execz .LBB948_322
; %bb.320:                              ;   in Loop: Header=BB948_318 Depth=2
                                        ; implicit-def: $vgpr2_vgpr3_vgpr4_vgpr5_vgpr6_vgpr7_vgpr8_vgpr9
	v_mov_b32_e32 v0, s1
	s_and_saveexec_b32 s8, s10
	s_cbranch_execnz .LBB948_341
	s_branch .LBB948_342
.LBB948_321:                            ;   in Loop: Header=BB948_318 Depth=2
	s_mov_b32 s10, 0
                                        ; implicit-def: $sgpr11
                                        ; implicit-def: $vgpr10_vgpr11_vgpr12_vgpr13_vgpr14_vgpr15_vgpr16_vgpr17
                                        ; implicit-def: $vgpr21_vgpr22
.LBB948_322:                            ;   in Loop: Header=BB948_318 Depth=2
	s_lshl_b64 s[8:9], s[34:35], 1
	s_mov_b32 s11, exec_lo
	s_add_u32 s8, s38, s8
	s_addc_u32 s9, s39, s9
	v_cmpx_gt_u32_e64 s1, v18
	s_cbranch_execz .LBB948_374
; %bb.323:                              ;   in Loop: Header=BB948_318 Depth=2
	global_load_d16_b16 v2, v99, s[8:9]
	s_or_b32 exec_lo, exec_lo, s11
	s_delay_alu instid0(SALU_CYCLE_1)
	s_mov_b32 s11, exec_lo
	v_cmpx_gt_u32_e64 s1, v48
	s_cbranch_execnz .LBB948_375
.LBB948_324:                            ;   in Loop: Header=BB948_318 Depth=2
	s_or_b32 exec_lo, exec_lo, s11
	s_delay_alu instid0(SALU_CYCLE_1)
	s_mov_b32 s11, exec_lo
	v_cmpx_gt_u32_e64 s1, v49
	s_cbranch_execz .LBB948_376
.LBB948_325:                            ;   in Loop: Header=BB948_318 Depth=2
	global_load_d16_b16 v3, v99, s[8:9] offset:1024
	s_or_b32 exec_lo, exec_lo, s11
	s_delay_alu instid0(SALU_CYCLE_1)
	s_mov_b32 s11, exec_lo
	v_cmpx_gt_u32_e64 s1, v50
	s_cbranch_execnz .LBB948_377
.LBB948_326:                            ;   in Loop: Header=BB948_318 Depth=2
	s_or_b32 exec_lo, exec_lo, s11
	s_delay_alu instid0(SALU_CYCLE_1)
	s_mov_b32 s11, exec_lo
	v_cmpx_gt_u32_e64 s1, v54
	s_cbranch_execz .LBB948_378
.LBB948_327:                            ;   in Loop: Header=BB948_318 Depth=2
	global_load_d16_b16 v4, v99, s[8:9] offset:2048
	s_or_b32 exec_lo, exec_lo, s11
	s_delay_alu instid0(SALU_CYCLE_1)
	s_mov_b32 s11, exec_lo
	v_cmpx_gt_u32_e64 s1, v55
	s_cbranch_execnz .LBB948_379
.LBB948_328:                            ;   in Loop: Header=BB948_318 Depth=2
	s_or_b32 exec_lo, exec_lo, s11
	s_delay_alu instid0(SALU_CYCLE_1)
	s_mov_b32 s11, exec_lo
	v_cmpx_gt_u32_e64 s1, v56
	s_cbranch_execz .LBB948_380
.LBB948_329:                            ;   in Loop: Header=BB948_318 Depth=2
	global_load_d16_b16 v5, v99, s[8:9] offset:3072
	s_or_b32 exec_lo, exec_lo, s11
	s_delay_alu instid0(SALU_CYCLE_1)
	s_mov_b32 s11, exec_lo
	v_cmpx_gt_u32_e64 s1, v57
	s_cbranch_execnz .LBB948_381
.LBB948_330:                            ;   in Loop: Header=BB948_318 Depth=2
	s_or_b32 exec_lo, exec_lo, s11
	s_delay_alu instid0(SALU_CYCLE_1)
	s_mov_b32 s11, exec_lo
	v_cmpx_gt_u32_e64 s1, v58
	s_cbranch_execz .LBB948_382
.LBB948_331:                            ;   in Loop: Header=BB948_318 Depth=2
	v_lshlrev_b32_e32 v0, 1, v58
	global_load_d16_b16 v6, v0, s[8:9]
	s_or_b32 exec_lo, exec_lo, s11
	s_delay_alu instid0(SALU_CYCLE_1)
	s_mov_b32 s11, exec_lo
	v_cmpx_gt_u32_e64 s1, v59
	s_cbranch_execnz .LBB948_383
.LBB948_332:                            ;   in Loop: Header=BB948_318 Depth=2
	s_or_b32 exec_lo, exec_lo, s11
	s_delay_alu instid0(SALU_CYCLE_1)
	s_mov_b32 s11, exec_lo
	v_cmpx_gt_u32_e64 s1, v60
	s_cbranch_execz .LBB948_384
.LBB948_333:                            ;   in Loop: Header=BB948_318 Depth=2
	v_lshlrev_b32_e32 v0, 1, v60
	global_load_d16_b16 v7, v0, s[8:9]
	s_or_b32 exec_lo, exec_lo, s11
	s_delay_alu instid0(SALU_CYCLE_1)
	s_mov_b32 s11, exec_lo
	v_cmpx_gt_u32_e64 s1, v61
	s_cbranch_execnz .LBB948_385
.LBB948_334:                            ;   in Loop: Header=BB948_318 Depth=2
	s_or_b32 exec_lo, exec_lo, s11
	s_delay_alu instid0(SALU_CYCLE_1)
	s_mov_b32 s11, exec_lo
	v_cmpx_gt_u32_e64 s1, v62
	s_cbranch_execz .LBB948_386
.LBB948_335:                            ;   in Loop: Header=BB948_318 Depth=2
	v_lshlrev_b32_e32 v0, 1, v62
	global_load_d16_b16 v8, v0, s[8:9]
	s_or_b32 exec_lo, exec_lo, s11
	s_delay_alu instid0(SALU_CYCLE_1)
	s_mov_b32 s11, exec_lo
	v_cmpx_gt_u32_e64 s1, v63
	s_cbranch_execnz .LBB948_387
.LBB948_336:                            ;   in Loop: Header=BB948_318 Depth=2
	s_or_b32 exec_lo, exec_lo, s11
	s_delay_alu instid0(SALU_CYCLE_1)
	s_mov_b32 s11, exec_lo
	v_cmpx_gt_u32_e64 s1, v64
	s_cbranch_execz .LBB948_338
.LBB948_337:                            ;   in Loop: Header=BB948_318 Depth=2
	v_lshlrev_b32_e32 v0, 1, v64
	global_load_d16_b16 v9, v0, s[8:9]
.LBB948_338:                            ;   in Loop: Header=BB948_318 Depth=2
	s_or_b32 exec_lo, exec_lo, s11
	s_delay_alu instid0(SALU_CYCLE_1)
	s_mov_b32 s12, exec_lo
                                        ; implicit-def: $sgpr11
                                        ; implicit-def: $vgpr21_vgpr22
	v_cmpx_gt_u32_e64 s1, v66
; %bb.339:                              ;   in Loop: Header=BB948_318 Depth=2
	v_lshlrev_b32_e32 v0, 1, v66
	s_sub_i32 s11, s63, s34
	s_or_b32 s10, s10, exec_lo
	s_delay_alu instid0(VALU_DEP_1) | instskip(NEXT) | instid1(VALU_DEP_1)
	v_add_co_u32 v21, s8, s8, v0
	v_add_co_ci_u32_e64 v22, null, s9, 0, s8
; %bb.340:                              ;   in Loop: Header=BB948_318 Depth=2
	s_or_b32 exec_lo, exec_lo, s12
	s_waitcnt vmcnt(0)
	v_dual_mov_b32 v17, v9 :: v_dual_mov_b32 v16, v8
	v_dual_mov_b32 v15, v7 :: v_dual_mov_b32 v14, v6
	v_dual_mov_b32 v13, v5 :: v_dual_mov_b32 v12, v4
	v_dual_mov_b32 v11, v3 :: v_dual_mov_b32 v10, v2
	v_mov_b32_e32 v0, s1
	s_and_saveexec_b32 s8, s10
	s_cbranch_execz .LBB948_342
.LBB948_341:                            ;   in Loop: Header=BB948_318 Depth=2
	global_load_d16_hi_b16 v17, v[21:22], off
	s_waitcnt vmcnt(0)
	v_dual_mov_b32 v2, v10 :: v_dual_mov_b32 v5, v13
	v_dual_mov_b32 v0, s11 :: v_dual_mov_b32 v3, v11
	;; [unrolled: 1-line block ×3, first 2 shown]
	v_mov_b32_e32 v6, v14
	v_dual_mov_b32 v8, v16 :: v_dual_mov_b32 v9, v17
.LBB948_342:                            ;   in Loop: Header=BB948_318 Depth=2
	s_or_b32 exec_lo, exec_lo, s8
	s_delay_alu instid0(SALU_CYCLE_1)
	s_mov_b32 s8, exec_lo
	v_cmpx_lt_u32_e64 v18, v0
	s_cbranch_execz .LBB948_358
; %bb.343:                              ;   in Loop: Header=BB948_318 Depth=2
	s_waitcnt vmcnt(6)
	v_xor_b32_e32 v10, 0x7fff, v2
	s_waitcnt vmcnt(5)
	v_lshlrev_b32_e32 v11, 2, v51
	s_delay_alu instid0(VALU_DEP_2) | instskip(NEXT) | instid1(VALU_DEP_1)
	v_and_b32_e32 v10, 0xffff, v10
	v_lshrrev_b32_e32 v10, s42, v10
	s_delay_alu instid0(VALU_DEP_1) | instskip(NEXT) | instid1(VALU_DEP_1)
	v_and_b32_e32 v10, s43, v10
	v_lshl_or_b32 v10, v10, 4, v11
	ds_add_u32 v10, v98
	s_or_b32 exec_lo, exec_lo, s8
	s_delay_alu instid0(SALU_CYCLE_1)
	s_mov_b32 s8, exec_lo
	v_cmpx_lt_u32_e64 v48, v0
	s_cbranch_execnz .LBB948_359
.LBB948_344:                            ;   in Loop: Header=BB948_318 Depth=2
	s_or_b32 exec_lo, exec_lo, s8
	s_delay_alu instid0(SALU_CYCLE_1)
	s_mov_b32 s8, exec_lo
	v_cmpx_lt_u32_e64 v49, v0
	s_cbranch_execz .LBB948_360
.LBB948_345:                            ;   in Loop: Header=BB948_318 Depth=2
	s_waitcnt vmcnt(6)
	v_xor_b32_e32 v10, 0x7fff, v3
	s_waitcnt vmcnt(5)
	v_lshlrev_b32_e32 v11, 2, v51
	s_delay_alu instid0(VALU_DEP_2) | instskip(NEXT) | instid1(VALU_DEP_1)
	v_and_b32_e32 v10, 0xffff, v10
	v_lshrrev_b32_e32 v10, s42, v10
	s_delay_alu instid0(VALU_DEP_1) | instskip(NEXT) | instid1(VALU_DEP_1)
	v_and_b32_e32 v10, s43, v10
	v_lshl_or_b32 v10, v10, 4, v11
	ds_add_u32 v10, v98
	s_or_b32 exec_lo, exec_lo, s8
	s_delay_alu instid0(SALU_CYCLE_1)
	s_mov_b32 s8, exec_lo
	v_cmpx_lt_u32_e64 v50, v0
	s_cbranch_execnz .LBB948_361
.LBB948_346:                            ;   in Loop: Header=BB948_318 Depth=2
	s_or_b32 exec_lo, exec_lo, s8
	s_delay_alu instid0(SALU_CYCLE_1)
	s_mov_b32 s8, exec_lo
	v_cmpx_lt_u32_e64 v54, v0
	s_cbranch_execz .LBB948_362
.LBB948_347:                            ;   in Loop: Header=BB948_318 Depth=2
	s_waitcnt vmcnt(6)
	v_xor_b32_e32 v10, 0x7fff, v4
	s_waitcnt vmcnt(5)
	v_lshlrev_b32_e32 v11, 2, v51
	s_delay_alu instid0(VALU_DEP_2) | instskip(NEXT) | instid1(VALU_DEP_1)
	v_and_b32_e32 v10, 0xffff, v10
	v_lshrrev_b32_e32 v10, s42, v10
	s_delay_alu instid0(VALU_DEP_1) | instskip(NEXT) | instid1(VALU_DEP_1)
	v_and_b32_e32 v10, s43, v10
	v_lshl_or_b32 v10, v10, 4, v11
	ds_add_u32 v10, v98
	s_or_b32 exec_lo, exec_lo, s8
	s_delay_alu instid0(SALU_CYCLE_1)
	s_mov_b32 s8, exec_lo
	v_cmpx_lt_u32_e64 v55, v0
	s_cbranch_execnz .LBB948_363
.LBB948_348:                            ;   in Loop: Header=BB948_318 Depth=2
	s_or_b32 exec_lo, exec_lo, s8
	s_delay_alu instid0(SALU_CYCLE_1)
	s_mov_b32 s8, exec_lo
	v_cmpx_lt_u32_e64 v56, v0
	s_cbranch_execz .LBB948_364
.LBB948_349:                            ;   in Loop: Header=BB948_318 Depth=2
	s_waitcnt vmcnt(6)
	v_xor_b32_e32 v10, 0x7fff, v5
	s_waitcnt vmcnt(5)
	v_lshlrev_b32_e32 v11, 2, v51
	s_delay_alu instid0(VALU_DEP_2) | instskip(NEXT) | instid1(VALU_DEP_1)
	v_and_b32_e32 v10, 0xffff, v10
	v_lshrrev_b32_e32 v10, s42, v10
	s_delay_alu instid0(VALU_DEP_1) | instskip(NEXT) | instid1(VALU_DEP_1)
	v_and_b32_e32 v10, s43, v10
	v_lshl_or_b32 v10, v10, 4, v11
	ds_add_u32 v10, v98
	s_or_b32 exec_lo, exec_lo, s8
	s_delay_alu instid0(SALU_CYCLE_1)
	s_mov_b32 s8, exec_lo
	v_cmpx_lt_u32_e64 v57, v0
	s_cbranch_execnz .LBB948_365
.LBB948_350:                            ;   in Loop: Header=BB948_318 Depth=2
	s_or_b32 exec_lo, exec_lo, s8
	s_delay_alu instid0(SALU_CYCLE_1)
	s_mov_b32 s8, exec_lo
	v_cmpx_lt_u32_e64 v58, v0
	s_cbranch_execz .LBB948_366
.LBB948_351:                            ;   in Loop: Header=BB948_318 Depth=2
	s_waitcnt vmcnt(6)
	v_xor_b32_e32 v10, 0x7fff, v6
	s_waitcnt vmcnt(5)
	v_lshlrev_b32_e32 v11, 2, v51
	s_delay_alu instid0(VALU_DEP_2) | instskip(NEXT) | instid1(VALU_DEP_1)
	v_and_b32_e32 v10, 0xffff, v10
	v_lshrrev_b32_e32 v10, s42, v10
	s_delay_alu instid0(VALU_DEP_1) | instskip(NEXT) | instid1(VALU_DEP_1)
	v_and_b32_e32 v10, s43, v10
	v_lshl_or_b32 v10, v10, 4, v11
	ds_add_u32 v10, v98
	s_or_b32 exec_lo, exec_lo, s8
	s_delay_alu instid0(SALU_CYCLE_1)
	s_mov_b32 s8, exec_lo
	v_cmpx_lt_u32_e64 v59, v0
	s_cbranch_execnz .LBB948_367
.LBB948_352:                            ;   in Loop: Header=BB948_318 Depth=2
	s_or_b32 exec_lo, exec_lo, s8
	s_delay_alu instid0(SALU_CYCLE_1)
	s_mov_b32 s8, exec_lo
	v_cmpx_lt_u32_e64 v60, v0
	s_cbranch_execz .LBB948_368
.LBB948_353:                            ;   in Loop: Header=BB948_318 Depth=2
	s_waitcnt vmcnt(6)
	v_xor_b32_e32 v10, 0x7fff, v7
	s_waitcnt vmcnt(5)
	v_lshlrev_b32_e32 v11, 2, v51
	s_delay_alu instid0(VALU_DEP_2) | instskip(NEXT) | instid1(VALU_DEP_1)
	v_and_b32_e32 v10, 0xffff, v10
	v_lshrrev_b32_e32 v10, s42, v10
	s_delay_alu instid0(VALU_DEP_1) | instskip(NEXT) | instid1(VALU_DEP_1)
	v_and_b32_e32 v10, s43, v10
	v_lshl_or_b32 v10, v10, 4, v11
	ds_add_u32 v10, v98
	s_or_b32 exec_lo, exec_lo, s8
	s_delay_alu instid0(SALU_CYCLE_1)
	s_mov_b32 s8, exec_lo
	v_cmpx_lt_u32_e64 v61, v0
	s_cbranch_execnz .LBB948_369
.LBB948_354:                            ;   in Loop: Header=BB948_318 Depth=2
	s_or_b32 exec_lo, exec_lo, s8
	s_delay_alu instid0(SALU_CYCLE_1)
	s_mov_b32 s8, exec_lo
	v_cmpx_lt_u32_e64 v62, v0
	s_cbranch_execz .LBB948_370
.LBB948_355:                            ;   in Loop: Header=BB948_318 Depth=2
	s_waitcnt vmcnt(6)
	v_xor_b32_e32 v10, 0x7fff, v8
	s_waitcnt vmcnt(5)
	v_lshlrev_b32_e32 v11, 2, v51
	s_delay_alu instid0(VALU_DEP_2) | instskip(NEXT) | instid1(VALU_DEP_1)
	v_and_b32_e32 v10, 0xffff, v10
	v_lshrrev_b32_e32 v10, s42, v10
	s_delay_alu instid0(VALU_DEP_1) | instskip(NEXT) | instid1(VALU_DEP_1)
	v_and_b32_e32 v10, s43, v10
	v_lshl_or_b32 v10, v10, 4, v11
	ds_add_u32 v10, v98
	s_or_b32 exec_lo, exec_lo, s8
	s_delay_alu instid0(SALU_CYCLE_1)
	s_mov_b32 s8, exec_lo
	v_cmpx_lt_u32_e64 v63, v0
	s_cbranch_execnz .LBB948_371
.LBB948_356:                            ;   in Loop: Header=BB948_318 Depth=2
	s_or_b32 exec_lo, exec_lo, s8
	s_delay_alu instid0(SALU_CYCLE_1)
	s_mov_b32 s8, exec_lo
	v_cmpx_lt_u32_e64 v64, v0
	s_cbranch_execz .LBB948_372
.LBB948_357:                            ;   in Loop: Header=BB948_318 Depth=2
	s_waitcnt vmcnt(6)
	v_xor_b32_e32 v10, 0x7fff, v9
	s_waitcnt vmcnt(5)
	v_lshlrev_b32_e32 v11, 2, v51
	s_delay_alu instid0(VALU_DEP_2) | instskip(NEXT) | instid1(VALU_DEP_1)
	v_and_b32_e32 v10, 0xffff, v10
	v_lshrrev_b32_e32 v10, s42, v10
	s_delay_alu instid0(VALU_DEP_1) | instskip(NEXT) | instid1(VALU_DEP_1)
	v_and_b32_e32 v10, s43, v10
	v_lshl_or_b32 v10, v10, 4, v11
	ds_add_u32 v10, v98
	s_or_b32 exec_lo, exec_lo, s8
	s_delay_alu instid0(SALU_CYCLE_1)
	s_mov_b32 s8, exec_lo
	v_cmpx_lt_u32_e64 v66, v0
	s_cbranch_execz .LBB948_317
	s_branch .LBB948_373
.LBB948_358:                            ;   in Loop: Header=BB948_318 Depth=2
	s_or_b32 exec_lo, exec_lo, s8
	s_delay_alu instid0(SALU_CYCLE_1)
	s_mov_b32 s8, exec_lo
	v_cmpx_lt_u32_e64 v48, v0
	s_cbranch_execz .LBB948_344
.LBB948_359:                            ;   in Loop: Header=BB948_318 Depth=2
	s_waitcnt vmcnt(6)
	v_lshrrev_b32_e32 v10, 16, v2
	s_waitcnt vmcnt(5)
	v_lshlrev_b32_e32 v11, 2, v51
	s_delay_alu instid0(VALU_DEP_2) | instskip(NEXT) | instid1(VALU_DEP_1)
	v_xor_b32_e32 v10, 0x7fff, v10
	v_and_b32_e32 v10, 0xffff, v10
	s_delay_alu instid0(VALU_DEP_1) | instskip(NEXT) | instid1(VALU_DEP_1)
	v_lshrrev_b32_e32 v10, s42, v10
	v_and_b32_e32 v10, s43, v10
	s_delay_alu instid0(VALU_DEP_1) | instskip(SKIP_2) | instid1(SALU_CYCLE_1)
	v_lshl_or_b32 v10, v10, 4, v11
	ds_add_u32 v10, v98
	s_or_b32 exec_lo, exec_lo, s8
	s_mov_b32 s8, exec_lo
	v_cmpx_lt_u32_e64 v49, v0
	s_cbranch_execnz .LBB948_345
.LBB948_360:                            ;   in Loop: Header=BB948_318 Depth=2
	s_or_b32 exec_lo, exec_lo, s8
	s_delay_alu instid0(SALU_CYCLE_1)
	s_mov_b32 s8, exec_lo
	v_cmpx_lt_u32_e64 v50, v0
	s_cbranch_execz .LBB948_346
.LBB948_361:                            ;   in Loop: Header=BB948_318 Depth=2
	s_waitcnt vmcnt(6)
	v_lshrrev_b32_e32 v10, 16, v3
	s_waitcnt vmcnt(5)
	v_lshlrev_b32_e32 v11, 2, v51
	s_delay_alu instid0(VALU_DEP_2) | instskip(NEXT) | instid1(VALU_DEP_1)
	v_xor_b32_e32 v10, 0x7fff, v10
	v_and_b32_e32 v10, 0xffff, v10
	s_delay_alu instid0(VALU_DEP_1) | instskip(NEXT) | instid1(VALU_DEP_1)
	v_lshrrev_b32_e32 v10, s42, v10
	v_and_b32_e32 v10, s43, v10
	s_delay_alu instid0(VALU_DEP_1) | instskip(SKIP_2) | instid1(SALU_CYCLE_1)
	v_lshl_or_b32 v10, v10, 4, v11
	ds_add_u32 v10, v98
	s_or_b32 exec_lo, exec_lo, s8
	s_mov_b32 s8, exec_lo
	v_cmpx_lt_u32_e64 v54, v0
	s_cbranch_execnz .LBB948_347
.LBB948_362:                            ;   in Loop: Header=BB948_318 Depth=2
	s_or_b32 exec_lo, exec_lo, s8
	s_delay_alu instid0(SALU_CYCLE_1)
	s_mov_b32 s8, exec_lo
	v_cmpx_lt_u32_e64 v55, v0
	s_cbranch_execz .LBB948_348
.LBB948_363:                            ;   in Loop: Header=BB948_318 Depth=2
	s_waitcnt vmcnt(6)
	v_lshrrev_b32_e32 v10, 16, v4
	s_waitcnt vmcnt(5)
	v_lshlrev_b32_e32 v11, 2, v51
	s_delay_alu instid0(VALU_DEP_2) | instskip(NEXT) | instid1(VALU_DEP_1)
	v_xor_b32_e32 v10, 0x7fff, v10
	v_and_b32_e32 v10, 0xffff, v10
	s_delay_alu instid0(VALU_DEP_1) | instskip(NEXT) | instid1(VALU_DEP_1)
	v_lshrrev_b32_e32 v10, s42, v10
	v_and_b32_e32 v10, s43, v10
	s_delay_alu instid0(VALU_DEP_1) | instskip(SKIP_2) | instid1(SALU_CYCLE_1)
	v_lshl_or_b32 v10, v10, 4, v11
	ds_add_u32 v10, v98
	s_or_b32 exec_lo, exec_lo, s8
	s_mov_b32 s8, exec_lo
	v_cmpx_lt_u32_e64 v56, v0
	s_cbranch_execnz .LBB948_349
.LBB948_364:                            ;   in Loop: Header=BB948_318 Depth=2
	s_or_b32 exec_lo, exec_lo, s8
	s_delay_alu instid0(SALU_CYCLE_1)
	s_mov_b32 s8, exec_lo
	v_cmpx_lt_u32_e64 v57, v0
	s_cbranch_execz .LBB948_350
.LBB948_365:                            ;   in Loop: Header=BB948_318 Depth=2
	s_waitcnt vmcnt(6)
	v_lshrrev_b32_e32 v10, 16, v5
	s_waitcnt vmcnt(5)
	v_lshlrev_b32_e32 v11, 2, v51
	s_delay_alu instid0(VALU_DEP_2) | instskip(NEXT) | instid1(VALU_DEP_1)
	v_xor_b32_e32 v10, 0x7fff, v10
	v_and_b32_e32 v10, 0xffff, v10
	s_delay_alu instid0(VALU_DEP_1) | instskip(NEXT) | instid1(VALU_DEP_1)
	v_lshrrev_b32_e32 v10, s42, v10
	v_and_b32_e32 v10, s43, v10
	s_delay_alu instid0(VALU_DEP_1) | instskip(SKIP_2) | instid1(SALU_CYCLE_1)
	v_lshl_or_b32 v10, v10, 4, v11
	ds_add_u32 v10, v98
	s_or_b32 exec_lo, exec_lo, s8
	s_mov_b32 s8, exec_lo
	v_cmpx_lt_u32_e64 v58, v0
	s_cbranch_execnz .LBB948_351
.LBB948_366:                            ;   in Loop: Header=BB948_318 Depth=2
	s_or_b32 exec_lo, exec_lo, s8
	s_delay_alu instid0(SALU_CYCLE_1)
	s_mov_b32 s8, exec_lo
	v_cmpx_lt_u32_e64 v59, v0
	s_cbranch_execz .LBB948_352
.LBB948_367:                            ;   in Loop: Header=BB948_318 Depth=2
	s_waitcnt vmcnt(6)
	v_lshrrev_b32_e32 v10, 16, v6
	s_waitcnt vmcnt(5)
	v_lshlrev_b32_e32 v11, 2, v51
	s_delay_alu instid0(VALU_DEP_2) | instskip(NEXT) | instid1(VALU_DEP_1)
	v_xor_b32_e32 v10, 0x7fff, v10
	v_and_b32_e32 v10, 0xffff, v10
	s_delay_alu instid0(VALU_DEP_1) | instskip(NEXT) | instid1(VALU_DEP_1)
	v_lshrrev_b32_e32 v10, s42, v10
	v_and_b32_e32 v10, s43, v10
	s_delay_alu instid0(VALU_DEP_1) | instskip(SKIP_2) | instid1(SALU_CYCLE_1)
	v_lshl_or_b32 v10, v10, 4, v11
	ds_add_u32 v10, v98
	s_or_b32 exec_lo, exec_lo, s8
	s_mov_b32 s8, exec_lo
	v_cmpx_lt_u32_e64 v60, v0
	s_cbranch_execnz .LBB948_353
.LBB948_368:                            ;   in Loop: Header=BB948_318 Depth=2
	s_or_b32 exec_lo, exec_lo, s8
	s_delay_alu instid0(SALU_CYCLE_1)
	s_mov_b32 s8, exec_lo
	v_cmpx_lt_u32_e64 v61, v0
	s_cbranch_execz .LBB948_354
.LBB948_369:                            ;   in Loop: Header=BB948_318 Depth=2
	s_waitcnt vmcnt(6)
	v_lshrrev_b32_e32 v10, 16, v7
	s_waitcnt vmcnt(5)
	v_lshlrev_b32_e32 v11, 2, v51
	s_delay_alu instid0(VALU_DEP_2) | instskip(NEXT) | instid1(VALU_DEP_1)
	v_xor_b32_e32 v10, 0x7fff, v10
	v_and_b32_e32 v10, 0xffff, v10
	s_delay_alu instid0(VALU_DEP_1) | instskip(NEXT) | instid1(VALU_DEP_1)
	v_lshrrev_b32_e32 v10, s42, v10
	v_and_b32_e32 v10, s43, v10
	s_delay_alu instid0(VALU_DEP_1) | instskip(SKIP_2) | instid1(SALU_CYCLE_1)
	v_lshl_or_b32 v10, v10, 4, v11
	ds_add_u32 v10, v98
	s_or_b32 exec_lo, exec_lo, s8
	s_mov_b32 s8, exec_lo
	v_cmpx_lt_u32_e64 v62, v0
	s_cbranch_execnz .LBB948_355
.LBB948_370:                            ;   in Loop: Header=BB948_318 Depth=2
	s_or_b32 exec_lo, exec_lo, s8
	s_delay_alu instid0(SALU_CYCLE_1)
	s_mov_b32 s8, exec_lo
	v_cmpx_lt_u32_e64 v63, v0
	s_cbranch_execz .LBB948_356
.LBB948_371:                            ;   in Loop: Header=BB948_318 Depth=2
	s_waitcnt vmcnt(6)
	v_lshrrev_b32_e32 v10, 16, v8
	s_waitcnt vmcnt(5)
	v_lshlrev_b32_e32 v11, 2, v51
	s_delay_alu instid0(VALU_DEP_2) | instskip(NEXT) | instid1(VALU_DEP_1)
	v_xor_b32_e32 v10, 0x7fff, v10
	v_and_b32_e32 v10, 0xffff, v10
	s_delay_alu instid0(VALU_DEP_1) | instskip(NEXT) | instid1(VALU_DEP_1)
	v_lshrrev_b32_e32 v10, s42, v10
	v_and_b32_e32 v10, s43, v10
	s_delay_alu instid0(VALU_DEP_1) | instskip(SKIP_2) | instid1(SALU_CYCLE_1)
	v_lshl_or_b32 v10, v10, 4, v11
	ds_add_u32 v10, v98
	s_or_b32 exec_lo, exec_lo, s8
	s_mov_b32 s8, exec_lo
	v_cmpx_lt_u32_e64 v64, v0
	s_cbranch_execnz .LBB948_357
.LBB948_372:                            ;   in Loop: Header=BB948_318 Depth=2
	s_or_b32 exec_lo, exec_lo, s8
	s_delay_alu instid0(SALU_CYCLE_1)
	s_mov_b32 s8, exec_lo
	v_cmpx_lt_u32_e64 v66, v0
	s_cbranch_execz .LBB948_317
.LBB948_373:                            ;   in Loop: Header=BB948_318 Depth=2
	v_lshrrev_b32_e32 v0, 16, v9
	s_waitcnt vmcnt(6)
	v_lshlrev_b32_e32 v10, 2, v51
	s_delay_alu instid0(VALU_DEP_2) | instskip(NEXT) | instid1(VALU_DEP_1)
	v_xor_b32_e32 v0, 0x7fff, v0
	v_and_b32_e32 v0, 0xffff, v0
	s_delay_alu instid0(VALU_DEP_1) | instskip(NEXT) | instid1(VALU_DEP_1)
	v_lshrrev_b32_e32 v0, s42, v0
	v_and_b32_e32 v0, s43, v0
	s_delay_alu instid0(VALU_DEP_1)
	v_lshl_or_b32 v0, v0, 4, v10
	ds_add_u32 v0, v98
	s_branch .LBB948_317
.LBB948_374:                            ;   in Loop: Header=BB948_318 Depth=2
	s_or_b32 exec_lo, exec_lo, s11
	s_delay_alu instid0(SALU_CYCLE_1)
	s_mov_b32 s11, exec_lo
	v_cmpx_gt_u32_e64 s1, v48
	s_cbranch_execz .LBB948_324
.LBB948_375:                            ;   in Loop: Header=BB948_318 Depth=2
	global_load_d16_hi_b16 v2, v99, s[8:9] offset:512
	s_or_b32 exec_lo, exec_lo, s11
	s_delay_alu instid0(SALU_CYCLE_1)
	s_mov_b32 s11, exec_lo
	v_cmpx_gt_u32_e64 s1, v49
	s_cbranch_execnz .LBB948_325
.LBB948_376:                            ;   in Loop: Header=BB948_318 Depth=2
	s_or_b32 exec_lo, exec_lo, s11
	s_delay_alu instid0(SALU_CYCLE_1)
	s_mov_b32 s11, exec_lo
	v_cmpx_gt_u32_e64 s1, v50
	s_cbranch_execz .LBB948_326
.LBB948_377:                            ;   in Loop: Header=BB948_318 Depth=2
	global_load_d16_hi_b16 v3, v99, s[8:9] offset:1536
	s_or_b32 exec_lo, exec_lo, s11
	s_delay_alu instid0(SALU_CYCLE_1)
	s_mov_b32 s11, exec_lo
	v_cmpx_gt_u32_e64 s1, v54
	s_cbranch_execnz .LBB948_327
.LBB948_378:                            ;   in Loop: Header=BB948_318 Depth=2
	s_or_b32 exec_lo, exec_lo, s11
	s_delay_alu instid0(SALU_CYCLE_1)
	s_mov_b32 s11, exec_lo
	v_cmpx_gt_u32_e64 s1, v55
	s_cbranch_execz .LBB948_328
.LBB948_379:                            ;   in Loop: Header=BB948_318 Depth=2
	global_load_d16_hi_b16 v4, v99, s[8:9] offset:2560
	s_or_b32 exec_lo, exec_lo, s11
	s_delay_alu instid0(SALU_CYCLE_1)
	s_mov_b32 s11, exec_lo
	v_cmpx_gt_u32_e64 s1, v56
	s_cbranch_execnz .LBB948_329
.LBB948_380:                            ;   in Loop: Header=BB948_318 Depth=2
	s_or_b32 exec_lo, exec_lo, s11
	s_delay_alu instid0(SALU_CYCLE_1)
	s_mov_b32 s11, exec_lo
	v_cmpx_gt_u32_e64 s1, v57
	s_cbranch_execz .LBB948_330
.LBB948_381:                            ;   in Loop: Header=BB948_318 Depth=2
	global_load_d16_hi_b16 v5, v99, s[8:9] offset:3584
	s_or_b32 exec_lo, exec_lo, s11
	s_delay_alu instid0(SALU_CYCLE_1)
	s_mov_b32 s11, exec_lo
	v_cmpx_gt_u32_e64 s1, v58
	s_cbranch_execnz .LBB948_331
.LBB948_382:                            ;   in Loop: Header=BB948_318 Depth=2
	s_or_b32 exec_lo, exec_lo, s11
	s_delay_alu instid0(SALU_CYCLE_1)
	s_mov_b32 s11, exec_lo
	v_cmpx_gt_u32_e64 s1, v59
	s_cbranch_execz .LBB948_332
.LBB948_383:                            ;   in Loop: Header=BB948_318 Depth=2
	v_lshlrev_b32_e32 v0, 1, v59
	global_load_d16_hi_b16 v6, v0, s[8:9]
	s_or_b32 exec_lo, exec_lo, s11
	s_delay_alu instid0(SALU_CYCLE_1)
	s_mov_b32 s11, exec_lo
	v_cmpx_gt_u32_e64 s1, v60
	s_cbranch_execnz .LBB948_333
.LBB948_384:                            ;   in Loop: Header=BB948_318 Depth=2
	s_or_b32 exec_lo, exec_lo, s11
	s_delay_alu instid0(SALU_CYCLE_1)
	s_mov_b32 s11, exec_lo
	v_cmpx_gt_u32_e64 s1, v61
	s_cbranch_execz .LBB948_334
.LBB948_385:                            ;   in Loop: Header=BB948_318 Depth=2
	v_lshlrev_b32_e32 v0, 1, v61
	global_load_d16_hi_b16 v7, v0, s[8:9]
	s_or_b32 exec_lo, exec_lo, s11
	s_delay_alu instid0(SALU_CYCLE_1)
	s_mov_b32 s11, exec_lo
	v_cmpx_gt_u32_e64 s1, v62
	s_cbranch_execnz .LBB948_335
.LBB948_386:                            ;   in Loop: Header=BB948_318 Depth=2
	s_or_b32 exec_lo, exec_lo, s11
	s_delay_alu instid0(SALU_CYCLE_1)
	s_mov_b32 s11, exec_lo
	v_cmpx_gt_u32_e64 s1, v63
	s_cbranch_execz .LBB948_336
.LBB948_387:                            ;   in Loop: Header=BB948_318 Depth=2
	v_lshlrev_b32_e32 v0, 1, v63
	global_load_d16_hi_b16 v8, v0, s[8:9]
	s_or_b32 exec_lo, exec_lo, s11
	s_delay_alu instid0(SALU_CYCLE_1)
	s_mov_b32 s11, exec_lo
	v_cmpx_gt_u32_e64 s1, v64
	s_cbranch_execz .LBB948_338
	s_branch .LBB948_337
.LBB948_388:                            ;   in Loop: Header=BB948_20 Depth=1
	v_mov_b32_e32 v0, 0
	s_waitcnt vmcnt(0) lgkmcnt(0)
	s_barrier
	buffer_gl0_inv
	s_and_saveexec_b32 s1, s2
	s_cbranch_execz .LBB948_390
; %bb.389:                              ;   in Loop: Header=BB948_20 Depth=1
	ds_load_2addr_b64 v[2:5], v67 offset1:1
	s_waitcnt lgkmcnt(0)
	v_add_nc_u32_e32 v0, v3, v2
	s_delay_alu instid0(VALU_DEP_1)
	v_add3_u32 v0, v0, v4, v5
.LBB948_390:                            ;   in Loop: Header=BB948_20 Depth=1
	s_or_b32 exec_lo, exec_lo, s1
	v_and_b32_e32 v2, 15, v100
	s_delay_alu instid0(VALU_DEP_2) | instskip(SKIP_1) | instid1(VALU_DEP_3)
	v_mov_b32_dpp v3, v0 row_shr:1 row_mask:0xf bank_mask:0xf
	v_and_b32_e32 v4, 16, v100
	v_cmp_eq_u32_e64 s1, 0, v2
	v_cmp_lt_u32_e64 s7, 1, v2
	v_cmp_lt_u32_e64 s8, 3, v2
	;; [unrolled: 1-line block ×3, first 2 shown]
	v_cmp_eq_u32_e64 s10, 0, v4
	v_cndmask_b32_e64 v3, v3, 0, s1
	s_delay_alu instid0(VALU_DEP_1) | instskip(NEXT) | instid1(VALU_DEP_1)
	v_add_nc_u32_e32 v0, v3, v0
	v_mov_b32_dpp v3, v0 row_shr:2 row_mask:0xf bank_mask:0xf
	s_delay_alu instid0(VALU_DEP_1) | instskip(NEXT) | instid1(VALU_DEP_1)
	v_cndmask_b32_e64 v3, 0, v3, s7
	v_add_nc_u32_e32 v0, v0, v3
	s_delay_alu instid0(VALU_DEP_1) | instskip(NEXT) | instid1(VALU_DEP_1)
	v_mov_b32_dpp v3, v0 row_shr:4 row_mask:0xf bank_mask:0xf
	v_cndmask_b32_e64 v3, 0, v3, s8
	s_delay_alu instid0(VALU_DEP_1) | instskip(NEXT) | instid1(VALU_DEP_1)
	v_add_nc_u32_e32 v0, v0, v3
	v_mov_b32_dpp v3, v0 row_shr:8 row_mask:0xf bank_mask:0xf
	s_delay_alu instid0(VALU_DEP_1) | instskip(SKIP_1) | instid1(VALU_DEP_2)
	v_cndmask_b32_e64 v2, 0, v3, s9
	v_bfe_i32 v3, v100, 4, 1
	v_add_nc_u32_e32 v0, v0, v2
	ds_swizzle_b32 v2, v0 offset:swizzle(BROADCAST,32,15)
	s_waitcnt lgkmcnt(0)
	v_and_b32_e32 v2, v3, v2
	s_delay_alu instid0(VALU_DEP_1)
	v_add_nc_u32_e32 v2, v0, v2
	s_and_saveexec_b32 s11, s3
	s_cbranch_execz .LBB948_392
; %bb.391:                              ;   in Loop: Header=BB948_20 Depth=1
	ds_store_b32 v68, v2
.LBB948_392:                            ;   in Loop: Header=BB948_20 Depth=1
	s_or_b32 exec_lo, exec_lo, s11
	v_and_b32_e32 v0, 7, v100
	s_waitcnt lgkmcnt(0)
	s_barrier
	buffer_gl0_inv
	s_and_saveexec_b32 s11, s4
	s_cbranch_execz .LBB948_394
; %bb.393:                              ;   in Loop: Header=BB948_20 Depth=1
	ds_load_b32 v3, v69
	v_cmp_ne_u32_e32 vcc_lo, 0, v0
	s_waitcnt lgkmcnt(0)
	v_mov_b32_dpp v4, v3 row_shr:1 row_mask:0xf bank_mask:0xf
	s_delay_alu instid0(VALU_DEP_1) | instskip(SKIP_1) | instid1(VALU_DEP_2)
	v_cndmask_b32_e32 v4, 0, v4, vcc_lo
	v_cmp_lt_u32_e32 vcc_lo, 1, v0
	v_add_nc_u32_e32 v3, v4, v3
	s_delay_alu instid0(VALU_DEP_1) | instskip(NEXT) | instid1(VALU_DEP_1)
	v_mov_b32_dpp v4, v3 row_shr:2 row_mask:0xf bank_mask:0xf
	v_cndmask_b32_e32 v4, 0, v4, vcc_lo
	v_cmp_lt_u32_e32 vcc_lo, 3, v0
	s_delay_alu instid0(VALU_DEP_2) | instskip(NEXT) | instid1(VALU_DEP_1)
	v_add_nc_u32_e32 v3, v3, v4
	v_mov_b32_dpp v4, v3 row_shr:4 row_mask:0xf bank_mask:0xf
	s_delay_alu instid0(VALU_DEP_1) | instskip(NEXT) | instid1(VALU_DEP_1)
	v_cndmask_b32_e32 v4, 0, v4, vcc_lo
	v_add_nc_u32_e32 v3, v3, v4
	ds_store_b32 v69, v3
.LBB948_394:                            ;   in Loop: Header=BB948_20 Depth=1
	s_or_b32 exec_lo, exec_lo, s11
	v_mov_b32_e32 v3, 0
	s_waitcnt lgkmcnt(0)
	s_barrier
	buffer_gl0_inv
	s_and_saveexec_b32 s11, s5
	s_cbranch_execz .LBB948_396
; %bb.395:                              ;   in Loop: Header=BB948_20 Depth=1
	ds_load_b32 v3, v70
.LBB948_396:                            ;   in Loop: Header=BB948_20 Depth=1
	s_or_b32 exec_lo, exec_lo, s11
	v_add_nc_u32_e32 v4, -1, v100
	s_waitcnt lgkmcnt(0)
	v_add_nc_u32_e32 v2, v3, v2
	v_cmp_eq_u32_e64 s11, 0, v100
	s_barrier
	v_cmp_gt_i32_e32 vcc_lo, 0, v4
	buffer_gl0_inv
	v_cndmask_b32_e32 v4, v4, v100, vcc_lo
	s_delay_alu instid0(VALU_DEP_1)
	v_lshlrev_b32_e32 v101, 2, v4
	ds_bpermute_b32 v2, v101, v2
	s_and_saveexec_b32 s12, s2
	s_cbranch_execz .LBB948_398
; %bb.397:                              ;   in Loop: Header=BB948_20 Depth=1
	s_waitcnt lgkmcnt(0)
	v_cndmask_b32_e64 v2, v2, v3, s11
	s_delay_alu instid0(VALU_DEP_1)
	v_add_nc_u32_e32 v2, s62, v2
	ds_store_b32 v47, v2
.LBB948_398:                            ;   in Loop: Header=BB948_20 Depth=1
	s_or_b32 exec_lo, exec_lo, s12
	s_load_b64 s[12:13], s[60:61], 0x0
	v_lshlrev_b32_e32 v3, 3, v100
	v_or_b32_e32 v102, v100, v71
	s_mov_b32 s56, s64
	s_mov_b32 s34, s62
                                        ; implicit-def: $vgpr10_vgpr11
                                        ; implicit-def: $vgpr12_vgpr13
                                        ; implicit-def: $vgpr14_vgpr15
                                        ; implicit-def: $vgpr16_vgpr17
                                        ; implicit-def: $vgpr21_vgpr22
                                        ; implicit-def: $vgpr23_vgpr24
                                        ; implicit-def: $vgpr25_vgpr26
                                        ; implicit-def: $vgpr27_vgpr28
                                        ; implicit-def: $vgpr29_vgpr30
                                        ; implicit-def: $vgpr31_vgpr32
                                        ; implicit-def: $vgpr33_vgpr34
                                        ; implicit-def: $vgpr35_vgpr36
                                        ; implicit-def: $vgpr37_vgpr38
                                        ; implicit-def: $vgpr39_vgpr40
                                        ; implicit-def: $vgpr41_vgpr42
                                        ; implicit-def: $vgpr43_vgpr44
                                        ; implicit-def: $vgpr125
                                        ; implicit-def: $vgpr126
                                        ; implicit-def: $vgpr127
                                        ; implicit-def: $vgpr128
                                        ; implicit-def: $vgpr129
                                        ; implicit-def: $vgpr130
                                        ; implicit-def: $vgpr131
                                        ; implicit-def: $vgpr132
                                        ; implicit-def: $vgpr133
                                        ; implicit-def: $vgpr134
                                        ; implicit-def: $vgpr135
                                        ; implicit-def: $vgpr136
                                        ; implicit-def: $vgpr137
                                        ; implicit-def: $vgpr138
                                        ; implicit-def: $vgpr139
                                        ; implicit-def: $vgpr140
                                        ; implicit-def: $vgpr9
	s_delay_alu instid0(VALU_DEP_2)
	v_add_co_u32 v103, vcc_lo, v88, v3
	v_add_co_ci_u32_e32 v104, vcc_lo, 0, v89, vcc_lo
	v_or_b32_e32 v105, 32, v102
	v_or_b32_e32 v106, 64, v102
	;; [unrolled: 1-line block ×10, first 2 shown]
	s_waitcnt lgkmcnt(0)
	s_cmp_lt_u32 s15, s13
	v_or_b32_e32 v115, 0x160, v102
	s_cselect_b32 s13, 14, 20
	v_or_b32_e32 v116, 0x180, v102
	s_add_u32 s16, s60, s13
	s_addc_u32 s17, s61, 0
	s_cmp_lt_u32 s14, s12
	global_load_u16 v2, v20, s[16:17]
	s_cselect_b32 s12, 12, 18
	v_or_b32_e32 v117, 0x1a0, v102
	s_add_u32 s12, s60, s12
	s_addc_u32 s13, s61, 0
	v_or_b32_e32 v118, 0x1c0, v102
	global_load_u16 v4, v20, s[12:13]
	v_cmp_eq_u32_e64 s12, 0, v0
	v_cmp_lt_u32_e64 s13, 1, v0
	v_cmp_lt_u32_e64 s16, 3, v0
	v_lshlrev_b32_e32 v0, 1, v100
	v_or_b32_e32 v119, 0x1e0, v102
	s_delay_alu instid0(VALU_DEP_2) | instskip(SKIP_1) | instid1(VALU_DEP_2)
	v_add_co_u32 v120, vcc_lo, v90, v0
	v_add_co_ci_u32_e32 v121, vcc_lo, 0, v91, vcc_lo
	v_add_co_u32 v123, vcc_lo, 0x3c0, v120
	s_delay_alu instid0(VALU_DEP_2) | instskip(SKIP_3) | instid1(VALU_DEP_1)
	v_add_co_ci_u32_e32 v124, vcc_lo, 0, v121, vcc_lo
	s_waitcnt vmcnt(1)
	v_mad_u32_u24 v5, v72, v2, v74
	s_waitcnt vmcnt(0)
	v_mad_u64_u32 v[2:3], null, v5, v4, v[18:19]
	s_delay_alu instid0(VALU_DEP_1)
	v_lshrrev_b32_e32 v122, 5, v2
	s_branch .LBB948_400
.LBB948_399:                            ;   in Loop: Header=BB948_400 Depth=2
	s_or_b32 exec_lo, exec_lo, s17
	s_addk_i32 s56, 0xf000
	s_cmp_lt_u32 s65, s63
	s_mov_b32 s34, s65
	s_cbranch_scc0 .LBB948_608
.LBB948_400:                            ;   Parent Loop BB948_20 Depth=1
                                        ; =>  This Inner Loop Header: Depth=2
	s_add_i32 s65, s34, 0x1000
	s_delay_alu instid0(SALU_CYCLE_1)
	s_cmp_gt_u32 s65, s63
	s_cbranch_scc1 .LBB948_402
; %bb.401:                              ;   in Loop: Header=BB948_400 Depth=2
	s_mov_b32 s19, 0
	s_mov_b32 s18, s34
	s_movk_i32 s17, 0x1000
	s_lshl_b64 s[20:21], s[18:19], 1
	s_delay_alu instid0(SALU_CYCLE_1)
	v_add_co_u32 v45, vcc_lo, v120, s20
	v_add_co_ci_u32_e32 v46, vcc_lo, s21, v121, vcc_lo
	s_mov_b32 s20, -1
	s_clause 0xe
	global_load_u16 v2, v[45:46], off
	global_load_u16 v3, v[45:46], off offset:128
	global_load_u16 v4, v[45:46], off offset:256
	;; [unrolled: 1-line block ×6, first 2 shown]
	global_load_d16_b16 v9, v[45:46], off offset:896
	global_load_d16_hi_b16 v2, v[45:46], off offset:64
	global_load_d16_hi_b16 v3, v[45:46], off offset:192
	;; [unrolled: 1-line block ×7, first 2 shown]
	s_cbranch_execz .LBB948_403
	s_branch .LBB948_420
.LBB948_402:                            ;   in Loop: Header=BB948_400 Depth=2
	s_mov_b32 s19, -1
	s_mov_b32 s20, 0
                                        ; implicit-def: $sgpr17
                                        ; implicit-def: $vgpr2_vgpr3_vgpr4_vgpr5_vgpr6_vgpr7_vgpr8_vgpr9
.LBB948_403:                            ;   in Loop: Header=BB948_400 Depth=2
	s_lshl_b64 s[18:19], s[34:35], 1
	s_mov_b32 s45, s44
	v_add_co_u32 v45, vcc_lo, v120, s18
	s_mov_b32 s46, s44
	s_mov_b32 s47, s44
	;; [unrolled: 1-line block ×6, first 2 shown]
	s_waitcnt vmcnt(0)
	v_dual_mov_b32 v2, s44 :: v_dual_mov_b32 v3, s45
	v_add_co_ci_u32_e32 v46, vcc_lo, s19, v121, vcc_lo
	v_dual_mov_b32 v4, s46 :: v_dual_mov_b32 v5, s47
	v_dual_mov_b32 v6, s48 :: v_dual_mov_b32 v7, s49
	v_dual_mov_b32 v8, s50 :: v_dual_mov_b32 v9, s51
	s_mov_b32 s17, exec_lo
	v_cmpx_gt_u32_e64 s56, v102
	s_cbranch_execz .LBB948_594
; %bb.404:                              ;   in Loop: Header=BB948_400 Depth=2
	v_bfrev_b32_e32 v0, 1
	v_mov_b32_e32 v7, v1
	v_mov_b32_e32 v2, v1
	v_mov_b32_e32 v3, v1
	v_mov_b32_e32 v4, v1
	global_load_d16_b16 v0, v[45:46], off
	v_mov_b32_e32 v5, v1
	v_mov_b32_e32 v6, v1
	s_waitcnt vmcnt(0)
	v_mov_b32_e32 v9, v7
	s_delay_alu instid0(VALU_DEP_2)
	v_dual_mov_b32 v8, v6 :: v_dual_mov_b32 v7, v5
	v_mov_b32_e32 v6, v4
	v_mov_b32_e32 v5, v3
	;; [unrolled: 1-line block ×5, first 2 shown]
	s_or_b32 exec_lo, exec_lo, s17
	s_delay_alu instid0(SALU_CYCLE_1)
	s_mov_b32 s17, exec_lo
	v_cmpx_gt_u32_e64 s56, v105
	s_cbranch_execnz .LBB948_595
.LBB948_405:                            ;   in Loop: Header=BB948_400 Depth=2
	s_or_b32 exec_lo, exec_lo, s17
	s_delay_alu instid0(SALU_CYCLE_1)
	s_mov_b32 s17, exec_lo
	v_cmpx_gt_u32_e64 s56, v106
	s_cbranch_execz .LBB948_596
.LBB948_406:                            ;   in Loop: Header=BB948_400 Depth=2
	global_load_d16_b16 v3, v[45:46], off offset:128
	s_or_b32 exec_lo, exec_lo, s17
	s_delay_alu instid0(SALU_CYCLE_1)
	s_mov_b32 s17, exec_lo
	v_cmpx_gt_u32_e64 s56, v107
	s_cbranch_execnz .LBB948_597
.LBB948_407:                            ;   in Loop: Header=BB948_400 Depth=2
	s_or_b32 exec_lo, exec_lo, s17
	s_delay_alu instid0(SALU_CYCLE_1)
	s_mov_b32 s17, exec_lo
	v_cmpx_gt_u32_e64 s56, v108
	s_cbranch_execz .LBB948_598
.LBB948_408:                            ;   in Loop: Header=BB948_400 Depth=2
	global_load_d16_b16 v4, v[45:46], off offset:256
	s_or_b32 exec_lo, exec_lo, s17
	s_delay_alu instid0(SALU_CYCLE_1)
	s_mov_b32 s17, exec_lo
	v_cmpx_gt_u32_e64 s56, v109
	s_cbranch_execnz .LBB948_599
.LBB948_409:                            ;   in Loop: Header=BB948_400 Depth=2
	s_or_b32 exec_lo, exec_lo, s17
	s_delay_alu instid0(SALU_CYCLE_1)
	s_mov_b32 s17, exec_lo
	v_cmpx_gt_u32_e64 s56, v110
	s_cbranch_execz .LBB948_600
.LBB948_410:                            ;   in Loop: Header=BB948_400 Depth=2
	global_load_d16_b16 v5, v[45:46], off offset:384
	s_or_b32 exec_lo, exec_lo, s17
	s_delay_alu instid0(SALU_CYCLE_1)
	s_mov_b32 s17, exec_lo
	v_cmpx_gt_u32_e64 s56, v111
	s_cbranch_execnz .LBB948_601
.LBB948_411:                            ;   in Loop: Header=BB948_400 Depth=2
	s_or_b32 exec_lo, exec_lo, s17
	s_delay_alu instid0(SALU_CYCLE_1)
	s_mov_b32 s17, exec_lo
	v_cmpx_gt_u32_e64 s56, v112
	s_cbranch_execz .LBB948_602
.LBB948_412:                            ;   in Loop: Header=BB948_400 Depth=2
	global_load_d16_b16 v6, v[45:46], off offset:512
	s_or_b32 exec_lo, exec_lo, s17
	s_delay_alu instid0(SALU_CYCLE_1)
	s_mov_b32 s17, exec_lo
	v_cmpx_gt_u32_e64 s56, v113
	s_cbranch_execnz .LBB948_603
.LBB948_413:                            ;   in Loop: Header=BB948_400 Depth=2
	s_or_b32 exec_lo, exec_lo, s17
	s_delay_alu instid0(SALU_CYCLE_1)
	s_mov_b32 s17, exec_lo
	v_cmpx_gt_u32_e64 s56, v114
	s_cbranch_execz .LBB948_604
.LBB948_414:                            ;   in Loop: Header=BB948_400 Depth=2
	global_load_d16_b16 v7, v[45:46], off offset:640
	s_or_b32 exec_lo, exec_lo, s17
	s_delay_alu instid0(SALU_CYCLE_1)
	s_mov_b32 s17, exec_lo
	v_cmpx_gt_u32_e64 s56, v115
	s_cbranch_execnz .LBB948_605
.LBB948_415:                            ;   in Loop: Header=BB948_400 Depth=2
	s_or_b32 exec_lo, exec_lo, s17
	s_delay_alu instid0(SALU_CYCLE_1)
	s_mov_b32 s17, exec_lo
	v_cmpx_gt_u32_e64 s56, v116
	s_cbranch_execz .LBB948_606
.LBB948_416:                            ;   in Loop: Header=BB948_400 Depth=2
	global_load_d16_b16 v8, v[45:46], off offset:768
	s_or_b32 exec_lo, exec_lo, s17
	s_delay_alu instid0(SALU_CYCLE_1)
	s_mov_b32 s17, exec_lo
	v_cmpx_gt_u32_e64 s56, v117
	s_cbranch_execnz .LBB948_607
.LBB948_417:                            ;   in Loop: Header=BB948_400 Depth=2
	s_or_b32 exec_lo, exec_lo, s17
	s_delay_alu instid0(SALU_CYCLE_1)
	s_mov_b32 s17, exec_lo
	v_cmpx_gt_u32_e64 s56, v118
	s_cbranch_execz .LBB948_419
.LBB948_418:                            ;   in Loop: Header=BB948_400 Depth=2
	global_load_d16_b16 v9, v[45:46], off offset:896
.LBB948_419:                            ;   in Loop: Header=BB948_400 Depth=2
	s_or_b32 exec_lo, exec_lo, s17
	v_cmp_gt_u32_e64 s20, s56, v119
	s_sub_i32 s17, s63, s34
	s_mov_b64 s[18:19], s[34:35]
.LBB948_420:                            ;   in Loop: Header=BB948_400 Depth=2
	v_mov_b32_e32 v0, s56
	s_delay_alu instid0(VALU_DEP_2)
	s_and_saveexec_b32 s21, s20
	s_cbranch_execz .LBB948_422
; %bb.421:                              ;   in Loop: Header=BB948_400 Depth=2
	s_lshl_b64 s[18:19], s[18:19], 1
	v_mov_b32_e32 v0, s17
	v_add_co_u32 v45, vcc_lo, v123, s18
	v_add_co_ci_u32_e32 v46, vcc_lo, s19, v124, vcc_lo
	global_load_d16_hi_b16 v9, v[45:46], off
.LBB948_422:                            ;   in Loop: Header=BB948_400 Depth=2
	s_or_b32 exec_lo, exec_lo, s21
	s_waitcnt vmcnt(0)
	v_xor_b32_e32 v19, 0x7fff7fff, v2
	ds_store_b32 v73, v20 offset:1056
	ds_store_2addr_b32 v75, v20, v20 offset0:1 offset1:2
	ds_store_2addr_b32 v75, v20, v20 offset0:3 offset1:4
	;; [unrolled: 1-line block ×4, first 2 shown]
	s_waitcnt lgkmcnt(0)
	s_barrier
	v_and_b32_e32 v2, 0xffff, v19
	buffer_gl0_inv
	; wave barrier
	v_lshrrev_b32_e32 v2, s42, v2
	s_delay_alu instid0(VALU_DEP_1) | instskip(NEXT) | instid1(VALU_DEP_1)
	v_and_b32_e32 v45, s43, v2
	v_and_b32_e32 v2, 1, v45
	v_lshlrev_b32_e32 v46, 30, v45
	v_lshlrev_b32_e32 v141, 29, v45
	;; [unrolled: 1-line block ×4, first 2 shown]
	v_add_co_u32 v2, s17, v2, -1
	s_delay_alu instid0(VALU_DEP_1)
	v_cndmask_b32_e64 v143, 0, 1, s17
	v_not_b32_e32 v147, v46
	v_cmp_gt_i32_e64 s17, 0, v46
	v_not_b32_e32 v46, v141
	v_lshlrev_b32_e32 v145, 26, v45
	v_cmp_ne_u32_e32 vcc_lo, 0, v143
	v_ashrrev_i32_e32 v147, 31, v147
	v_lshlrev_b32_e32 v146, 25, v45
	v_ashrrev_i32_e32 v46, 31, v46
	v_lshlrev_b32_e32 v143, 24, v45
	v_xor_b32_e32 v2, vcc_lo, v2
	v_cmp_gt_i32_e32 vcc_lo, 0, v141
	v_not_b32_e32 v141, v142
	v_xor_b32_e32 v147, s17, v147
	v_cmp_gt_i32_e64 s17, 0, v142
	v_and_b32_e32 v2, exec_lo, v2
	v_not_b32_e32 v142, v144
	v_ashrrev_i32_e32 v141, 31, v141
	v_xor_b32_e32 v46, vcc_lo, v46
	v_cmp_gt_i32_e32 vcc_lo, 0, v144
	v_and_b32_e32 v2, v2, v147
	v_not_b32_e32 v144, v145
	v_ashrrev_i32_e32 v142, 31, v142
	v_xor_b32_e32 v141, s17, v141
	v_cmp_gt_i32_e64 s17, 0, v145
	v_and_b32_e32 v2, v2, v46
	v_not_b32_e32 v46, v146
	v_ashrrev_i32_e32 v144, 31, v144
	v_xor_b32_e32 v142, vcc_lo, v142
	v_cmp_gt_i32_e32 vcc_lo, 0, v146
	v_and_b32_e32 v2, v2, v141
	v_not_b32_e32 v141, v143
	v_ashrrev_i32_e32 v46, 31, v46
	v_xor_b32_e32 v144, s17, v144
	v_cmp_gt_i32_e64 s17, 0, v143
	v_and_b32_e32 v2, v2, v142
	v_ashrrev_i32_e32 v141, 31, v141
	v_xor_b32_e32 v46, vcc_lo, v46
	v_mad_u32_u24 v45, v45, 9, v122
	s_delay_alu instid0(VALU_DEP_4) | instskip(NEXT) | instid1(VALU_DEP_4)
	v_and_b32_e32 v2, v2, v144
	v_xor_b32_e32 v141, s17, v141
	s_delay_alu instid0(VALU_DEP_3) | instskip(NEXT) | instid1(VALU_DEP_3)
	v_lshl_add_u32 v143, v45, 2, 0x420
	v_and_b32_e32 v2, v2, v46
	s_delay_alu instid0(VALU_DEP_1) | instskip(NEXT) | instid1(VALU_DEP_1)
	v_and_b32_e32 v2, v2, v141
	v_mbcnt_lo_u32_b32 v141, v2, 0
	v_cmp_ne_u32_e64 s17, 0, v2
	s_delay_alu instid0(VALU_DEP_2) | instskip(NEXT) | instid1(VALU_DEP_2)
	v_cmp_eq_u32_e32 vcc_lo, 0, v141
	s_and_b32 s18, s17, vcc_lo
	s_delay_alu instid0(SALU_CYCLE_1)
	s_and_saveexec_b32 s17, s18
	s_cbranch_execz .LBB948_424
; %bb.423:                              ;   in Loop: Header=BB948_400 Depth=2
	v_bcnt_u32_b32 v2, v2, 0
	ds_store_b32 v143, v2
.LBB948_424:                            ;   in Loop: Header=BB948_400 Depth=2
	s_or_b32 exec_lo, exec_lo, s17
	v_lshrrev_b32_e32 v142, 16, v19
	; wave barrier
	s_delay_alu instid0(VALU_DEP_1) | instskip(NEXT) | instid1(VALU_DEP_1)
	v_lshrrev_b32_e32 v2, s42, v142
	v_and_b32_e32 v2, s43, v2
	s_delay_alu instid0(VALU_DEP_1)
	v_and_b32_e32 v45, 1, v2
	v_lshlrev_b32_e32 v46, 30, v2
	v_lshlrev_b32_e32 v144, 29, v2
	;; [unrolled: 1-line block ×4, first 2 shown]
	v_add_co_u32 v45, s17, v45, -1
	s_delay_alu instid0(VALU_DEP_1)
	v_cndmask_b32_e64 v146, 0, 1, s17
	v_not_b32_e32 v150, v46
	v_cmp_gt_i32_e64 s17, 0, v46
	v_not_b32_e32 v46, v144
	v_lshlrev_b32_e32 v148, 26, v2
	v_cmp_ne_u32_e32 vcc_lo, 0, v146
	v_ashrrev_i32_e32 v150, 31, v150
	v_lshlrev_b32_e32 v149, 25, v2
	v_ashrrev_i32_e32 v46, 31, v46
	v_lshlrev_b32_e32 v146, 24, v2
	v_xor_b32_e32 v45, vcc_lo, v45
	v_cmp_gt_i32_e32 vcc_lo, 0, v144
	v_not_b32_e32 v144, v145
	v_xor_b32_e32 v150, s17, v150
	v_cmp_gt_i32_e64 s17, 0, v145
	v_and_b32_e32 v45, exec_lo, v45
	v_not_b32_e32 v145, v147
	v_ashrrev_i32_e32 v144, 31, v144
	v_xor_b32_e32 v46, vcc_lo, v46
	v_cmp_gt_i32_e32 vcc_lo, 0, v147
	v_and_b32_e32 v45, v45, v150
	v_not_b32_e32 v147, v148
	v_ashrrev_i32_e32 v145, 31, v145
	v_xor_b32_e32 v144, s17, v144
	v_cmp_gt_i32_e64 s17, 0, v148
	v_and_b32_e32 v45, v45, v46
	v_not_b32_e32 v46, v149
	v_ashrrev_i32_e32 v147, 31, v147
	v_xor_b32_e32 v145, vcc_lo, v145
	v_cmp_gt_i32_e32 vcc_lo, 0, v149
	v_and_b32_e32 v45, v45, v144
	v_not_b32_e32 v144, v146
	v_ashrrev_i32_e32 v46, 31, v46
	v_xor_b32_e32 v147, s17, v147
	v_mul_u32_u24_e32 v2, 9, v2
	v_and_b32_e32 v45, v45, v145
	v_cmp_gt_i32_e64 s17, 0, v146
	v_ashrrev_i32_e32 v144, 31, v144
	v_xor_b32_e32 v46, vcc_lo, v46
	s_delay_alu instid0(VALU_DEP_4) | instskip(SKIP_1) | instid1(VALU_DEP_4)
	v_and_b32_e32 v45, v45, v147
	v_add_lshl_u32 v147, v2, v122, 2
	v_xor_b32_e32 v2, s17, v144
	s_delay_alu instid0(VALU_DEP_3) | instskip(SKIP_3) | instid1(VALU_DEP_1)
	v_and_b32_e32 v45, v45, v46
	ds_load_b32 v145, v147 offset:1056
	v_add_nc_u32_e32 v147, 0x420, v147
	; wave barrier
	v_and_b32_e32 v2, v45, v2
	v_mbcnt_lo_u32_b32 v146, v2, 0
	v_cmp_ne_u32_e64 s17, 0, v2
	s_delay_alu instid0(VALU_DEP_2) | instskip(NEXT) | instid1(VALU_DEP_2)
	v_cmp_eq_u32_e32 vcc_lo, 0, v146
	s_and_b32 s18, s17, vcc_lo
	s_delay_alu instid0(SALU_CYCLE_1)
	s_and_saveexec_b32 s17, s18
	s_cbranch_execz .LBB948_426
; %bb.425:                              ;   in Loop: Header=BB948_400 Depth=2
	s_waitcnt lgkmcnt(0)
	v_bcnt_u32_b32 v2, v2, v145
	ds_store_b32 v147, v2
.LBB948_426:                            ;   in Loop: Header=BB948_400 Depth=2
	s_or_b32 exec_lo, exec_lo, s17
	v_xor_b32_e32 v144, 0x7fff7fff, v3
	; wave barrier
	s_delay_alu instid0(VALU_DEP_1) | instskip(NEXT) | instid1(VALU_DEP_1)
	v_and_b32_e32 v2, 0xffff, v144
	v_lshrrev_b32_e32 v2, s42, v2
	s_delay_alu instid0(VALU_DEP_1) | instskip(NEXT) | instid1(VALU_DEP_1)
	v_and_b32_e32 v2, s43, v2
	v_and_b32_e32 v3, 1, v2
	v_lshlrev_b32_e32 v45, 30, v2
	v_lshlrev_b32_e32 v46, 29, v2
	v_lshlrev_b32_e32 v148, 28, v2
	v_lshlrev_b32_e32 v150, 27, v2
	v_add_co_u32 v3, s17, v3, -1
	s_delay_alu instid0(VALU_DEP_1)
	v_cndmask_b32_e64 v149, 0, 1, s17
	v_not_b32_e32 v153, v45
	v_cmp_gt_i32_e64 s17, 0, v45
	v_not_b32_e32 v45, v46
	v_lshlrev_b32_e32 v151, 26, v2
	v_cmp_ne_u32_e32 vcc_lo, 0, v149
	v_ashrrev_i32_e32 v153, 31, v153
	v_lshlrev_b32_e32 v152, 25, v2
	v_ashrrev_i32_e32 v45, 31, v45
	v_lshlrev_b32_e32 v149, 24, v2
	v_xor_b32_e32 v3, vcc_lo, v3
	v_cmp_gt_i32_e32 vcc_lo, 0, v46
	v_not_b32_e32 v46, v148
	v_xor_b32_e32 v153, s17, v153
	v_cmp_gt_i32_e64 s17, 0, v148
	v_and_b32_e32 v3, exec_lo, v3
	v_not_b32_e32 v148, v150
	v_ashrrev_i32_e32 v46, 31, v46
	v_xor_b32_e32 v45, vcc_lo, v45
	v_cmp_gt_i32_e32 vcc_lo, 0, v150
	v_and_b32_e32 v3, v3, v153
	v_not_b32_e32 v150, v151
	v_ashrrev_i32_e32 v148, 31, v148
	v_xor_b32_e32 v46, s17, v46
	v_cmp_gt_i32_e64 s17, 0, v151
	v_and_b32_e32 v3, v3, v45
	v_not_b32_e32 v45, v152
	v_ashrrev_i32_e32 v150, 31, v150
	v_xor_b32_e32 v148, vcc_lo, v148
	v_cmp_gt_i32_e32 vcc_lo, 0, v152
	v_and_b32_e32 v3, v3, v46
	v_not_b32_e32 v46, v149
	v_ashrrev_i32_e32 v45, 31, v45
	v_xor_b32_e32 v150, s17, v150
	v_mul_u32_u24_e32 v2, 9, v2
	v_and_b32_e32 v3, v3, v148
	v_cmp_gt_i32_e64 s17, 0, v149
	v_ashrrev_i32_e32 v46, 31, v46
	v_xor_b32_e32 v45, vcc_lo, v45
	v_add_lshl_u32 v148, v2, v122, 2
	v_and_b32_e32 v3, v3, v150
	s_delay_alu instid0(VALU_DEP_4) | instskip(SKIP_3) | instid1(VALU_DEP_2)
	v_xor_b32_e32 v2, s17, v46
	ds_load_b32 v149, v148 offset:1056
	v_and_b32_e32 v3, v3, v45
	v_add_nc_u32_e32 v151, 0x420, v148
	; wave barrier
	v_and_b32_e32 v2, v3, v2
	s_delay_alu instid0(VALU_DEP_1) | instskip(SKIP_1) | instid1(VALU_DEP_2)
	v_mbcnt_lo_u32_b32 v150, v2, 0
	v_cmp_ne_u32_e64 s17, 0, v2
	v_cmp_eq_u32_e32 vcc_lo, 0, v150
	s_delay_alu instid0(VALU_DEP_2) | instskip(NEXT) | instid1(SALU_CYCLE_1)
	s_and_b32 s18, s17, vcc_lo
	s_and_saveexec_b32 s17, s18
	s_cbranch_execz .LBB948_428
; %bb.427:                              ;   in Loop: Header=BB948_400 Depth=2
	s_waitcnt lgkmcnt(0)
	v_bcnt_u32_b32 v2, v2, v149
	ds_store_b32 v151, v2
.LBB948_428:                            ;   in Loop: Header=BB948_400 Depth=2
	s_or_b32 exec_lo, exec_lo, s17
	v_lshrrev_b32_e32 v148, 16, v144
	; wave barrier
	s_delay_alu instid0(VALU_DEP_1) | instskip(NEXT) | instid1(VALU_DEP_1)
	v_lshrrev_b32_e32 v2, s42, v148
	v_and_b32_e32 v2, s43, v2
	s_delay_alu instid0(VALU_DEP_1)
	v_and_b32_e32 v3, 1, v2
	v_lshlrev_b32_e32 v45, 30, v2
	v_lshlrev_b32_e32 v46, 29, v2
	;; [unrolled: 1-line block ×4, first 2 shown]
	v_add_co_u32 v3, s17, v3, -1
	s_delay_alu instid0(VALU_DEP_1)
	v_cndmask_b32_e64 v153, 0, 1, s17
	v_not_b32_e32 v157, v45
	v_cmp_gt_i32_e64 s17, 0, v45
	v_not_b32_e32 v45, v46
	v_lshlrev_b32_e32 v155, 26, v2
	v_cmp_ne_u32_e32 vcc_lo, 0, v153
	v_ashrrev_i32_e32 v157, 31, v157
	v_lshlrev_b32_e32 v156, 25, v2
	v_ashrrev_i32_e32 v45, 31, v45
	v_lshlrev_b32_e32 v153, 24, v2
	v_xor_b32_e32 v3, vcc_lo, v3
	v_cmp_gt_i32_e32 vcc_lo, 0, v46
	v_not_b32_e32 v46, v152
	v_xor_b32_e32 v157, s17, v157
	v_cmp_gt_i32_e64 s17, 0, v152
	v_and_b32_e32 v3, exec_lo, v3
	v_not_b32_e32 v152, v154
	v_ashrrev_i32_e32 v46, 31, v46
	v_xor_b32_e32 v45, vcc_lo, v45
	v_cmp_gt_i32_e32 vcc_lo, 0, v154
	v_and_b32_e32 v3, v3, v157
	v_not_b32_e32 v154, v155
	v_ashrrev_i32_e32 v152, 31, v152
	v_xor_b32_e32 v46, s17, v46
	v_cmp_gt_i32_e64 s17, 0, v155
	v_and_b32_e32 v3, v3, v45
	v_not_b32_e32 v45, v156
	v_ashrrev_i32_e32 v154, 31, v154
	v_xor_b32_e32 v152, vcc_lo, v152
	v_cmp_gt_i32_e32 vcc_lo, 0, v156
	v_and_b32_e32 v3, v3, v46
	v_not_b32_e32 v46, v153
	v_ashrrev_i32_e32 v45, 31, v45
	v_xor_b32_e32 v154, s17, v154
	v_mul_u32_u24_e32 v2, 9, v2
	v_and_b32_e32 v3, v3, v152
	v_cmp_gt_i32_e64 s17, 0, v153
	v_ashrrev_i32_e32 v46, 31, v46
	v_xor_b32_e32 v45, vcc_lo, v45
	v_add_lshl_u32 v152, v2, v122, 2
	v_and_b32_e32 v3, v3, v154
	s_delay_alu instid0(VALU_DEP_4) | instskip(SKIP_3) | instid1(VALU_DEP_2)
	v_xor_b32_e32 v2, s17, v46
	ds_load_b32 v153, v152 offset:1056
	v_and_b32_e32 v3, v3, v45
	v_add_nc_u32_e32 v155, 0x420, v152
	; wave barrier
	v_and_b32_e32 v2, v3, v2
	s_delay_alu instid0(VALU_DEP_1) | instskip(SKIP_1) | instid1(VALU_DEP_2)
	v_mbcnt_lo_u32_b32 v154, v2, 0
	v_cmp_ne_u32_e64 s17, 0, v2
	v_cmp_eq_u32_e32 vcc_lo, 0, v154
	s_delay_alu instid0(VALU_DEP_2) | instskip(NEXT) | instid1(SALU_CYCLE_1)
	s_and_b32 s18, s17, vcc_lo
	s_and_saveexec_b32 s17, s18
	s_cbranch_execz .LBB948_430
; %bb.429:                              ;   in Loop: Header=BB948_400 Depth=2
	s_waitcnt lgkmcnt(0)
	v_bcnt_u32_b32 v2, v2, v153
	ds_store_b32 v155, v2
.LBB948_430:                            ;   in Loop: Header=BB948_400 Depth=2
	s_or_b32 exec_lo, exec_lo, s17
	v_xor_b32_e32 v152, 0x7fff7fff, v4
	; wave barrier
	s_delay_alu instid0(VALU_DEP_1) | instskip(NEXT) | instid1(VALU_DEP_1)
	v_and_b32_e32 v2, 0xffff, v152
	v_lshrrev_b32_e32 v2, s42, v2
	s_delay_alu instid0(VALU_DEP_1) | instskip(NEXT) | instid1(VALU_DEP_1)
	v_and_b32_e32 v2, s43, v2
	v_and_b32_e32 v3, 1, v2
	v_lshlrev_b32_e32 v4, 30, v2
	v_lshlrev_b32_e32 v45, 29, v2
	;; [unrolled: 1-line block ×4, first 2 shown]
	v_add_co_u32 v3, s17, v3, -1
	s_delay_alu instid0(VALU_DEP_1)
	v_cndmask_b32_e64 v156, 0, 1, s17
	v_not_b32_e32 v160, v4
	v_cmp_gt_i32_e64 s17, 0, v4
	v_not_b32_e32 v4, v45
	v_lshlrev_b32_e32 v158, 26, v2
	v_cmp_ne_u32_e32 vcc_lo, 0, v156
	v_ashrrev_i32_e32 v160, 31, v160
	v_lshlrev_b32_e32 v159, 25, v2
	v_ashrrev_i32_e32 v4, 31, v4
	v_lshlrev_b32_e32 v156, 24, v2
	v_xor_b32_e32 v3, vcc_lo, v3
	v_cmp_gt_i32_e32 vcc_lo, 0, v45
	v_not_b32_e32 v45, v46
	v_xor_b32_e32 v160, s17, v160
	v_cmp_gt_i32_e64 s17, 0, v46
	v_and_b32_e32 v3, exec_lo, v3
	v_not_b32_e32 v46, v157
	v_ashrrev_i32_e32 v45, 31, v45
	v_xor_b32_e32 v4, vcc_lo, v4
	v_cmp_gt_i32_e32 vcc_lo, 0, v157
	v_and_b32_e32 v3, v3, v160
	v_not_b32_e32 v157, v158
	v_ashrrev_i32_e32 v46, 31, v46
	v_xor_b32_e32 v45, s17, v45
	v_cmp_gt_i32_e64 s17, 0, v158
	v_and_b32_e32 v3, v3, v4
	v_not_b32_e32 v4, v159
	v_ashrrev_i32_e32 v157, 31, v157
	v_xor_b32_e32 v46, vcc_lo, v46
	v_cmp_gt_i32_e32 vcc_lo, 0, v159
	v_and_b32_e32 v3, v3, v45
	v_not_b32_e32 v45, v156
	v_ashrrev_i32_e32 v4, 31, v4
	v_xor_b32_e32 v157, s17, v157
	v_mul_u32_u24_e32 v2, 9, v2
	v_and_b32_e32 v3, v3, v46
	v_cmp_gt_i32_e64 s17, 0, v156
	v_ashrrev_i32_e32 v45, 31, v45
	v_xor_b32_e32 v4, vcc_lo, v4
	v_add_lshl_u32 v46, v2, v122, 2
	v_and_b32_e32 v3, v3, v157
	s_delay_alu instid0(VALU_DEP_4) | instskip(SKIP_3) | instid1(VALU_DEP_2)
	v_xor_b32_e32 v2, s17, v45
	ds_load_b32 v157, v46 offset:1056
	v_and_b32_e32 v3, v3, v4
	v_add_nc_u32_e32 v159, 0x420, v46
	; wave barrier
	v_and_b32_e32 v2, v3, v2
	s_delay_alu instid0(VALU_DEP_1) | instskip(SKIP_1) | instid1(VALU_DEP_2)
	v_mbcnt_lo_u32_b32 v158, v2, 0
	v_cmp_ne_u32_e64 s17, 0, v2
	v_cmp_eq_u32_e32 vcc_lo, 0, v158
	s_delay_alu instid0(VALU_DEP_2) | instskip(NEXT) | instid1(SALU_CYCLE_1)
	s_and_b32 s18, s17, vcc_lo
	s_and_saveexec_b32 s17, s18
	s_cbranch_execz .LBB948_432
; %bb.431:                              ;   in Loop: Header=BB948_400 Depth=2
	s_waitcnt lgkmcnt(0)
	v_bcnt_u32_b32 v2, v2, v157
	ds_store_b32 v159, v2
.LBB948_432:                            ;   in Loop: Header=BB948_400 Depth=2
	s_or_b32 exec_lo, exec_lo, s17
	v_lshrrev_b32_e32 v156, 16, v152
	; wave barrier
	s_delay_alu instid0(VALU_DEP_1) | instskip(NEXT) | instid1(VALU_DEP_1)
	v_lshrrev_b32_e32 v2, s42, v156
	v_and_b32_e32 v2, s43, v2
	s_delay_alu instid0(VALU_DEP_1)
	v_and_b32_e32 v3, 1, v2
	v_lshlrev_b32_e32 v4, 30, v2
	v_lshlrev_b32_e32 v45, 29, v2
	;; [unrolled: 1-line block ×4, first 2 shown]
	v_add_co_u32 v3, s17, v3, -1
	s_delay_alu instid0(VALU_DEP_1)
	v_cndmask_b32_e64 v160, 0, 1, s17
	v_not_b32_e32 v164, v4
	v_cmp_gt_i32_e64 s17, 0, v4
	v_not_b32_e32 v4, v45
	v_lshlrev_b32_e32 v162, 26, v2
	v_cmp_ne_u32_e32 vcc_lo, 0, v160
	v_ashrrev_i32_e32 v164, 31, v164
	v_lshlrev_b32_e32 v163, 25, v2
	v_ashrrev_i32_e32 v4, 31, v4
	v_lshlrev_b32_e32 v160, 24, v2
	v_xor_b32_e32 v3, vcc_lo, v3
	v_cmp_gt_i32_e32 vcc_lo, 0, v45
	v_not_b32_e32 v45, v46
	v_xor_b32_e32 v164, s17, v164
	v_cmp_gt_i32_e64 s17, 0, v46
	v_and_b32_e32 v3, exec_lo, v3
	v_not_b32_e32 v46, v161
	v_ashrrev_i32_e32 v45, 31, v45
	v_xor_b32_e32 v4, vcc_lo, v4
	v_cmp_gt_i32_e32 vcc_lo, 0, v161
	v_and_b32_e32 v3, v3, v164
	v_not_b32_e32 v161, v162
	v_ashrrev_i32_e32 v46, 31, v46
	v_xor_b32_e32 v45, s17, v45
	v_cmp_gt_i32_e64 s17, 0, v162
	v_and_b32_e32 v3, v3, v4
	v_not_b32_e32 v4, v163
	v_ashrrev_i32_e32 v161, 31, v161
	v_xor_b32_e32 v46, vcc_lo, v46
	v_cmp_gt_i32_e32 vcc_lo, 0, v163
	v_and_b32_e32 v3, v3, v45
	v_not_b32_e32 v45, v160
	v_ashrrev_i32_e32 v4, 31, v4
	v_xor_b32_e32 v161, s17, v161
	v_mul_u32_u24_e32 v2, 9, v2
	v_and_b32_e32 v3, v3, v46
	v_cmp_gt_i32_e64 s17, 0, v160
	v_ashrrev_i32_e32 v45, 31, v45
	v_xor_b32_e32 v4, vcc_lo, v4
	v_add_lshl_u32 v46, v2, v122, 2
	v_and_b32_e32 v3, v3, v161
	s_delay_alu instid0(VALU_DEP_4) | instskip(SKIP_3) | instid1(VALU_DEP_2)
	v_xor_b32_e32 v2, s17, v45
	ds_load_b32 v161, v46 offset:1056
	v_and_b32_e32 v3, v3, v4
	v_add_nc_u32_e32 v163, 0x420, v46
	; wave barrier
	v_and_b32_e32 v2, v3, v2
	s_delay_alu instid0(VALU_DEP_1) | instskip(SKIP_1) | instid1(VALU_DEP_2)
	v_mbcnt_lo_u32_b32 v162, v2, 0
	v_cmp_ne_u32_e64 s17, 0, v2
	v_cmp_eq_u32_e32 vcc_lo, 0, v162
	s_delay_alu instid0(VALU_DEP_2) | instskip(NEXT) | instid1(SALU_CYCLE_1)
	s_and_b32 s18, s17, vcc_lo
	s_and_saveexec_b32 s17, s18
	s_cbranch_execz .LBB948_434
; %bb.433:                              ;   in Loop: Header=BB948_400 Depth=2
	s_waitcnt lgkmcnt(0)
	v_bcnt_u32_b32 v2, v2, v161
	ds_store_b32 v163, v2
.LBB948_434:                            ;   in Loop: Header=BB948_400 Depth=2
	s_or_b32 exec_lo, exec_lo, s17
	v_xor_b32_e32 v160, 0x7fff7fff, v5
	; wave barrier
	s_delay_alu instid0(VALU_DEP_1) | instskip(NEXT) | instid1(VALU_DEP_1)
	v_and_b32_e32 v2, 0xffff, v160
	v_lshrrev_b32_e32 v2, s42, v2
	s_delay_alu instid0(VALU_DEP_1) | instskip(NEXT) | instid1(VALU_DEP_1)
	v_and_b32_e32 v2, s43, v2
	v_and_b32_e32 v3, 1, v2
	v_lshlrev_b32_e32 v4, 30, v2
	v_lshlrev_b32_e32 v5, 29, v2
	v_lshlrev_b32_e32 v45, 28, v2
	v_lshlrev_b32_e32 v164, 27, v2
	v_add_co_u32 v3, s17, v3, -1
	s_delay_alu instid0(VALU_DEP_1)
	v_cndmask_b32_e64 v46, 0, 1, s17
	v_not_b32_e32 v167, v4
	v_cmp_gt_i32_e64 s17, 0, v4
	v_not_b32_e32 v4, v5
	v_lshlrev_b32_e32 v165, 26, v2
	v_cmp_ne_u32_e32 vcc_lo, 0, v46
	v_ashrrev_i32_e32 v167, 31, v167
	v_lshlrev_b32_e32 v166, 25, v2
	v_ashrrev_i32_e32 v4, 31, v4
	v_lshlrev_b32_e32 v46, 24, v2
	v_xor_b32_e32 v3, vcc_lo, v3
	v_cmp_gt_i32_e32 vcc_lo, 0, v5
	v_not_b32_e32 v5, v45
	v_xor_b32_e32 v167, s17, v167
	v_cmp_gt_i32_e64 s17, 0, v45
	v_and_b32_e32 v3, exec_lo, v3
	v_not_b32_e32 v45, v164
	v_ashrrev_i32_e32 v5, 31, v5
	v_xor_b32_e32 v4, vcc_lo, v4
	v_cmp_gt_i32_e32 vcc_lo, 0, v164
	v_and_b32_e32 v3, v3, v167
	v_not_b32_e32 v164, v165
	v_ashrrev_i32_e32 v45, 31, v45
	v_xor_b32_e32 v5, s17, v5
	v_cmp_gt_i32_e64 s17, 0, v165
	v_and_b32_e32 v3, v3, v4
	v_not_b32_e32 v4, v166
	v_ashrrev_i32_e32 v164, 31, v164
	v_xor_b32_e32 v45, vcc_lo, v45
	v_cmp_gt_i32_e32 vcc_lo, 0, v166
	v_and_b32_e32 v3, v3, v5
	v_not_b32_e32 v5, v46
	v_ashrrev_i32_e32 v4, 31, v4
	v_xor_b32_e32 v164, s17, v164
	v_mul_u32_u24_e32 v2, 9, v2
	v_and_b32_e32 v3, v3, v45
	v_cmp_gt_i32_e64 s17, 0, v46
	v_ashrrev_i32_e32 v5, 31, v5
	v_xor_b32_e32 v4, vcc_lo, v4
	v_add_lshl_u32 v45, v2, v122, 2
	v_and_b32_e32 v3, v3, v164
	s_delay_alu instid0(VALU_DEP_4) | instskip(SKIP_3) | instid1(VALU_DEP_2)
	v_xor_b32_e32 v2, s17, v5
	ds_load_b32 v165, v45 offset:1056
	v_and_b32_e32 v3, v3, v4
	v_add_nc_u32_e32 v167, 0x420, v45
	; wave barrier
	v_and_b32_e32 v2, v3, v2
	s_delay_alu instid0(VALU_DEP_1) | instskip(SKIP_1) | instid1(VALU_DEP_2)
	v_mbcnt_lo_u32_b32 v166, v2, 0
	v_cmp_ne_u32_e64 s17, 0, v2
	v_cmp_eq_u32_e32 vcc_lo, 0, v166
	s_delay_alu instid0(VALU_DEP_2) | instskip(NEXT) | instid1(SALU_CYCLE_1)
	s_and_b32 s18, s17, vcc_lo
	s_and_saveexec_b32 s17, s18
	s_cbranch_execz .LBB948_436
; %bb.435:                              ;   in Loop: Header=BB948_400 Depth=2
	s_waitcnt lgkmcnt(0)
	v_bcnt_u32_b32 v2, v2, v165
	ds_store_b32 v167, v2
.LBB948_436:                            ;   in Loop: Header=BB948_400 Depth=2
	s_or_b32 exec_lo, exec_lo, s17
	v_lshrrev_b32_e32 v164, 16, v160
	; wave barrier
	s_delay_alu instid0(VALU_DEP_1) | instskip(NEXT) | instid1(VALU_DEP_1)
	v_lshrrev_b32_e32 v2, s42, v164
	v_and_b32_e32 v2, s43, v2
	s_delay_alu instid0(VALU_DEP_1)
	v_and_b32_e32 v3, 1, v2
	v_lshlrev_b32_e32 v4, 30, v2
	v_lshlrev_b32_e32 v5, 29, v2
	;; [unrolled: 1-line block ×4, first 2 shown]
	v_add_co_u32 v3, s17, v3, -1
	s_delay_alu instid0(VALU_DEP_1)
	v_cndmask_b32_e64 v46, 0, 1, s17
	v_not_b32_e32 v171, v4
	v_cmp_gt_i32_e64 s17, 0, v4
	v_not_b32_e32 v4, v5
	v_lshlrev_b32_e32 v169, 26, v2
	v_cmp_ne_u32_e32 vcc_lo, 0, v46
	v_ashrrev_i32_e32 v171, 31, v171
	v_lshlrev_b32_e32 v170, 25, v2
	v_ashrrev_i32_e32 v4, 31, v4
	v_lshlrev_b32_e32 v46, 24, v2
	v_xor_b32_e32 v3, vcc_lo, v3
	v_cmp_gt_i32_e32 vcc_lo, 0, v5
	v_not_b32_e32 v5, v45
	v_xor_b32_e32 v171, s17, v171
	v_cmp_gt_i32_e64 s17, 0, v45
	v_and_b32_e32 v3, exec_lo, v3
	v_not_b32_e32 v45, v168
	v_ashrrev_i32_e32 v5, 31, v5
	v_xor_b32_e32 v4, vcc_lo, v4
	v_cmp_gt_i32_e32 vcc_lo, 0, v168
	v_and_b32_e32 v3, v3, v171
	v_not_b32_e32 v168, v169
	v_ashrrev_i32_e32 v45, 31, v45
	v_xor_b32_e32 v5, s17, v5
	v_cmp_gt_i32_e64 s17, 0, v169
	v_and_b32_e32 v3, v3, v4
	v_not_b32_e32 v4, v170
	v_ashrrev_i32_e32 v168, 31, v168
	v_xor_b32_e32 v45, vcc_lo, v45
	v_cmp_gt_i32_e32 vcc_lo, 0, v170
	v_and_b32_e32 v3, v3, v5
	v_not_b32_e32 v5, v46
	v_ashrrev_i32_e32 v4, 31, v4
	v_xor_b32_e32 v168, s17, v168
	v_mul_u32_u24_e32 v2, 9, v2
	v_and_b32_e32 v3, v3, v45
	v_cmp_gt_i32_e64 s17, 0, v46
	v_ashrrev_i32_e32 v5, 31, v5
	v_xor_b32_e32 v4, vcc_lo, v4
	v_add_lshl_u32 v45, v2, v122, 2
	v_and_b32_e32 v3, v3, v168
	s_delay_alu instid0(VALU_DEP_4) | instskip(SKIP_3) | instid1(VALU_DEP_2)
	v_xor_b32_e32 v2, s17, v5
	ds_load_b32 v169, v45 offset:1056
	v_and_b32_e32 v3, v3, v4
	v_add_nc_u32_e32 v171, 0x420, v45
	; wave barrier
	v_and_b32_e32 v2, v3, v2
	s_delay_alu instid0(VALU_DEP_1) | instskip(SKIP_1) | instid1(VALU_DEP_2)
	v_mbcnt_lo_u32_b32 v170, v2, 0
	v_cmp_ne_u32_e64 s17, 0, v2
	v_cmp_eq_u32_e32 vcc_lo, 0, v170
	s_delay_alu instid0(VALU_DEP_2) | instskip(NEXT) | instid1(SALU_CYCLE_1)
	s_and_b32 s18, s17, vcc_lo
	s_and_saveexec_b32 s17, s18
	s_cbranch_execz .LBB948_438
; %bb.437:                              ;   in Loop: Header=BB948_400 Depth=2
	s_waitcnt lgkmcnt(0)
	v_bcnt_u32_b32 v2, v2, v169
	ds_store_b32 v171, v2
.LBB948_438:                            ;   in Loop: Header=BB948_400 Depth=2
	s_or_b32 exec_lo, exec_lo, s17
	v_xor_b32_e32 v168, 0x7fff7fff, v6
	; wave barrier
	s_delay_alu instid0(VALU_DEP_1) | instskip(NEXT) | instid1(VALU_DEP_1)
	v_and_b32_e32 v2, 0xffff, v168
	v_lshrrev_b32_e32 v2, s42, v2
	s_delay_alu instid0(VALU_DEP_1) | instskip(NEXT) | instid1(VALU_DEP_1)
	v_and_b32_e32 v2, s43, v2
	v_and_b32_e32 v3, 1, v2
	v_lshlrev_b32_e32 v4, 30, v2
	v_lshlrev_b32_e32 v5, 29, v2
	;; [unrolled: 1-line block ×4, first 2 shown]
	v_add_co_u32 v3, s17, v3, -1
	s_delay_alu instid0(VALU_DEP_1)
	v_cndmask_b32_e64 v45, 0, 1, s17
	v_not_b32_e32 v174, v4
	v_cmp_gt_i32_e64 s17, 0, v4
	v_not_b32_e32 v4, v5
	v_lshlrev_b32_e32 v172, 26, v2
	v_cmp_ne_u32_e32 vcc_lo, 0, v45
	v_ashrrev_i32_e32 v174, 31, v174
	v_lshlrev_b32_e32 v173, 25, v2
	v_ashrrev_i32_e32 v4, 31, v4
	v_lshlrev_b32_e32 v45, 24, v2
	v_xor_b32_e32 v3, vcc_lo, v3
	v_cmp_gt_i32_e32 vcc_lo, 0, v5
	v_not_b32_e32 v5, v6
	v_xor_b32_e32 v174, s17, v174
	v_cmp_gt_i32_e64 s17, 0, v6
	v_and_b32_e32 v3, exec_lo, v3
	v_not_b32_e32 v6, v46
	v_ashrrev_i32_e32 v5, 31, v5
	v_xor_b32_e32 v4, vcc_lo, v4
	v_cmp_gt_i32_e32 vcc_lo, 0, v46
	v_and_b32_e32 v3, v3, v174
	v_not_b32_e32 v46, v172
	v_ashrrev_i32_e32 v6, 31, v6
	v_xor_b32_e32 v5, s17, v5
	v_cmp_gt_i32_e64 s17, 0, v172
	v_and_b32_e32 v3, v3, v4
	v_not_b32_e32 v4, v173
	v_ashrrev_i32_e32 v46, 31, v46
	v_xor_b32_e32 v6, vcc_lo, v6
	v_cmp_gt_i32_e32 vcc_lo, 0, v173
	v_and_b32_e32 v3, v3, v5
	v_not_b32_e32 v5, v45
	v_ashrrev_i32_e32 v4, 31, v4
	v_xor_b32_e32 v46, s17, v46
	v_mul_u32_u24_e32 v2, 9, v2
	v_and_b32_e32 v3, v3, v6
	v_cmp_gt_i32_e64 s17, 0, v45
	v_ashrrev_i32_e32 v5, 31, v5
	v_xor_b32_e32 v4, vcc_lo, v4
	v_add_lshl_u32 v6, v2, v122, 2
	v_and_b32_e32 v3, v3, v46
	s_delay_alu instid0(VALU_DEP_4) | instskip(SKIP_3) | instid1(VALU_DEP_2)
	v_xor_b32_e32 v2, s17, v5
	ds_load_b32 v173, v6 offset:1056
	v_and_b32_e32 v3, v3, v4
	v_add_nc_u32_e32 v175, 0x420, v6
	; wave barrier
	v_and_b32_e32 v2, v3, v2
	s_delay_alu instid0(VALU_DEP_1) | instskip(SKIP_1) | instid1(VALU_DEP_2)
	v_mbcnt_lo_u32_b32 v174, v2, 0
	v_cmp_ne_u32_e64 s17, 0, v2
	v_cmp_eq_u32_e32 vcc_lo, 0, v174
	s_delay_alu instid0(VALU_DEP_2) | instskip(NEXT) | instid1(SALU_CYCLE_1)
	s_and_b32 s18, s17, vcc_lo
	s_and_saveexec_b32 s17, s18
	s_cbranch_execz .LBB948_440
; %bb.439:                              ;   in Loop: Header=BB948_400 Depth=2
	s_waitcnt lgkmcnt(0)
	v_bcnt_u32_b32 v2, v2, v173
	ds_store_b32 v175, v2
.LBB948_440:                            ;   in Loop: Header=BB948_400 Depth=2
	s_or_b32 exec_lo, exec_lo, s17
	v_lshrrev_b32_e32 v172, 16, v168
	; wave barrier
	s_delay_alu instid0(VALU_DEP_1) | instskip(NEXT) | instid1(VALU_DEP_1)
	v_lshrrev_b32_e32 v2, s42, v172
	v_and_b32_e32 v2, s43, v2
	s_delay_alu instid0(VALU_DEP_1)
	v_and_b32_e32 v3, 1, v2
	v_lshlrev_b32_e32 v4, 30, v2
	v_lshlrev_b32_e32 v5, 29, v2
	;; [unrolled: 1-line block ×4, first 2 shown]
	v_add_co_u32 v3, s17, v3, -1
	s_delay_alu instid0(VALU_DEP_1)
	v_cndmask_b32_e64 v45, 0, 1, s17
	v_not_b32_e32 v178, v4
	v_cmp_gt_i32_e64 s17, 0, v4
	v_not_b32_e32 v4, v5
	v_lshlrev_b32_e32 v176, 26, v2
	v_cmp_ne_u32_e32 vcc_lo, 0, v45
	v_ashrrev_i32_e32 v178, 31, v178
	v_lshlrev_b32_e32 v177, 25, v2
	v_ashrrev_i32_e32 v4, 31, v4
	v_lshlrev_b32_e32 v45, 24, v2
	v_xor_b32_e32 v3, vcc_lo, v3
	v_cmp_gt_i32_e32 vcc_lo, 0, v5
	v_not_b32_e32 v5, v6
	v_xor_b32_e32 v178, s17, v178
	v_cmp_gt_i32_e64 s17, 0, v6
	v_and_b32_e32 v3, exec_lo, v3
	v_not_b32_e32 v6, v46
	v_ashrrev_i32_e32 v5, 31, v5
	v_xor_b32_e32 v4, vcc_lo, v4
	v_cmp_gt_i32_e32 vcc_lo, 0, v46
	v_and_b32_e32 v3, v3, v178
	v_not_b32_e32 v46, v176
	v_ashrrev_i32_e32 v6, 31, v6
	v_xor_b32_e32 v5, s17, v5
	v_cmp_gt_i32_e64 s17, 0, v176
	v_and_b32_e32 v3, v3, v4
	v_not_b32_e32 v4, v177
	v_ashrrev_i32_e32 v46, 31, v46
	v_xor_b32_e32 v6, vcc_lo, v6
	v_cmp_gt_i32_e32 vcc_lo, 0, v177
	v_and_b32_e32 v3, v3, v5
	v_not_b32_e32 v5, v45
	v_ashrrev_i32_e32 v4, 31, v4
	v_xor_b32_e32 v46, s17, v46
	v_mul_u32_u24_e32 v2, 9, v2
	v_and_b32_e32 v3, v3, v6
	v_cmp_gt_i32_e64 s17, 0, v45
	v_ashrrev_i32_e32 v5, 31, v5
	v_xor_b32_e32 v4, vcc_lo, v4
	v_add_lshl_u32 v6, v2, v122, 2
	v_and_b32_e32 v3, v3, v46
	s_delay_alu instid0(VALU_DEP_4) | instskip(SKIP_3) | instid1(VALU_DEP_2)
	v_xor_b32_e32 v2, s17, v5
	ds_load_b32 v177, v6 offset:1056
	v_and_b32_e32 v3, v3, v4
	v_add_nc_u32_e32 v179, 0x420, v6
	; wave barrier
	v_and_b32_e32 v2, v3, v2
	s_delay_alu instid0(VALU_DEP_1) | instskip(SKIP_1) | instid1(VALU_DEP_2)
	v_mbcnt_lo_u32_b32 v178, v2, 0
	v_cmp_ne_u32_e64 s17, 0, v2
	v_cmp_eq_u32_e32 vcc_lo, 0, v178
	s_delay_alu instid0(VALU_DEP_2) | instskip(NEXT) | instid1(SALU_CYCLE_1)
	s_and_b32 s18, s17, vcc_lo
	s_and_saveexec_b32 s17, s18
	s_cbranch_execz .LBB948_442
; %bb.441:                              ;   in Loop: Header=BB948_400 Depth=2
	s_waitcnt lgkmcnt(0)
	v_bcnt_u32_b32 v2, v2, v177
	ds_store_b32 v179, v2
.LBB948_442:                            ;   in Loop: Header=BB948_400 Depth=2
	s_or_b32 exec_lo, exec_lo, s17
	v_xor_b32_e32 v176, 0x7fff7fff, v7
	; wave barrier
	s_delay_alu instid0(VALU_DEP_1) | instskip(NEXT) | instid1(VALU_DEP_1)
	v_and_b32_e32 v2, 0xffff, v176
	v_lshrrev_b32_e32 v2, s42, v2
	s_delay_alu instid0(VALU_DEP_1) | instskip(NEXT) | instid1(VALU_DEP_1)
	v_and_b32_e32 v2, s43, v2
	v_and_b32_e32 v3, 1, v2
	v_lshlrev_b32_e32 v4, 30, v2
	v_lshlrev_b32_e32 v5, 29, v2
	;; [unrolled: 1-line block ×4, first 2 shown]
	v_add_co_u32 v3, s17, v3, -1
	s_delay_alu instid0(VALU_DEP_1)
	v_cndmask_b32_e64 v7, 0, 1, s17
	v_not_b32_e32 v181, v4
	v_cmp_gt_i32_e64 s17, 0, v4
	v_not_b32_e32 v4, v5
	v_lshlrev_b32_e32 v46, 26, v2
	v_cmp_ne_u32_e32 vcc_lo, 0, v7
	v_ashrrev_i32_e32 v181, 31, v181
	v_lshlrev_b32_e32 v180, 25, v2
	v_ashrrev_i32_e32 v4, 31, v4
	v_lshlrev_b32_e32 v7, 24, v2
	v_xor_b32_e32 v3, vcc_lo, v3
	v_cmp_gt_i32_e32 vcc_lo, 0, v5
	v_not_b32_e32 v5, v6
	v_xor_b32_e32 v181, s17, v181
	v_cmp_gt_i32_e64 s17, 0, v6
	v_and_b32_e32 v3, exec_lo, v3
	v_not_b32_e32 v6, v45
	v_ashrrev_i32_e32 v5, 31, v5
	v_xor_b32_e32 v4, vcc_lo, v4
	v_cmp_gt_i32_e32 vcc_lo, 0, v45
	v_and_b32_e32 v3, v3, v181
	v_not_b32_e32 v45, v46
	v_ashrrev_i32_e32 v6, 31, v6
	v_xor_b32_e32 v5, s17, v5
	v_cmp_gt_i32_e64 s17, 0, v46
	v_and_b32_e32 v3, v3, v4
	v_not_b32_e32 v4, v180
	v_ashrrev_i32_e32 v45, 31, v45
	v_xor_b32_e32 v6, vcc_lo, v6
	v_cmp_gt_i32_e32 vcc_lo, 0, v180
	v_and_b32_e32 v3, v3, v5
	v_not_b32_e32 v5, v7
	v_ashrrev_i32_e32 v4, 31, v4
	v_xor_b32_e32 v45, s17, v45
	v_mul_u32_u24_e32 v2, 9, v2
	v_and_b32_e32 v3, v3, v6
	v_cmp_gt_i32_e64 s17, 0, v7
	v_ashrrev_i32_e32 v5, 31, v5
	v_xor_b32_e32 v4, vcc_lo, v4
	v_add_lshl_u32 v6, v2, v122, 2
	v_and_b32_e32 v3, v3, v45
	s_delay_alu instid0(VALU_DEP_4) | instskip(SKIP_3) | instid1(VALU_DEP_2)
	v_xor_b32_e32 v2, s17, v5
	ds_load_b32 v181, v6 offset:1056
	v_and_b32_e32 v3, v3, v4
	v_add_nc_u32_e32 v183, 0x420, v6
	; wave barrier
	v_and_b32_e32 v2, v3, v2
	s_delay_alu instid0(VALU_DEP_1) | instskip(SKIP_1) | instid1(VALU_DEP_2)
	v_mbcnt_lo_u32_b32 v182, v2, 0
	v_cmp_ne_u32_e64 s17, 0, v2
	v_cmp_eq_u32_e32 vcc_lo, 0, v182
	s_delay_alu instid0(VALU_DEP_2) | instskip(NEXT) | instid1(SALU_CYCLE_1)
	s_and_b32 s18, s17, vcc_lo
	s_and_saveexec_b32 s17, s18
	s_cbranch_execz .LBB948_444
; %bb.443:                              ;   in Loop: Header=BB948_400 Depth=2
	s_waitcnt lgkmcnt(0)
	v_bcnt_u32_b32 v2, v2, v181
	ds_store_b32 v183, v2
.LBB948_444:                            ;   in Loop: Header=BB948_400 Depth=2
	s_or_b32 exec_lo, exec_lo, s17
	v_lshrrev_b32_e32 v180, 16, v176
	; wave barrier
	s_delay_alu instid0(VALU_DEP_1) | instskip(NEXT) | instid1(VALU_DEP_1)
	v_lshrrev_b32_e32 v2, s42, v180
	v_and_b32_e32 v2, s43, v2
	s_delay_alu instid0(VALU_DEP_1)
	v_and_b32_e32 v3, 1, v2
	v_lshlrev_b32_e32 v4, 30, v2
	v_lshlrev_b32_e32 v5, 29, v2
	;; [unrolled: 1-line block ×4, first 2 shown]
	v_add_co_u32 v3, s17, v3, -1
	s_delay_alu instid0(VALU_DEP_1)
	v_cndmask_b32_e64 v7, 0, 1, s17
	v_not_b32_e32 v185, v4
	v_cmp_gt_i32_e64 s17, 0, v4
	v_not_b32_e32 v4, v5
	v_lshlrev_b32_e32 v46, 26, v2
	v_cmp_ne_u32_e32 vcc_lo, 0, v7
	v_ashrrev_i32_e32 v185, 31, v185
	v_lshlrev_b32_e32 v184, 25, v2
	v_ashrrev_i32_e32 v4, 31, v4
	v_lshlrev_b32_e32 v7, 24, v2
	v_xor_b32_e32 v3, vcc_lo, v3
	v_cmp_gt_i32_e32 vcc_lo, 0, v5
	v_not_b32_e32 v5, v6
	v_xor_b32_e32 v185, s17, v185
	v_cmp_gt_i32_e64 s17, 0, v6
	v_and_b32_e32 v3, exec_lo, v3
	v_not_b32_e32 v6, v45
	v_ashrrev_i32_e32 v5, 31, v5
	v_xor_b32_e32 v4, vcc_lo, v4
	v_cmp_gt_i32_e32 vcc_lo, 0, v45
	v_and_b32_e32 v3, v3, v185
	v_not_b32_e32 v45, v46
	v_ashrrev_i32_e32 v6, 31, v6
	v_xor_b32_e32 v5, s17, v5
	v_cmp_gt_i32_e64 s17, 0, v46
	v_and_b32_e32 v3, v3, v4
	v_not_b32_e32 v4, v184
	v_ashrrev_i32_e32 v45, 31, v45
	v_xor_b32_e32 v6, vcc_lo, v6
	v_cmp_gt_i32_e32 vcc_lo, 0, v184
	v_and_b32_e32 v3, v3, v5
	v_not_b32_e32 v5, v7
	v_ashrrev_i32_e32 v4, 31, v4
	v_xor_b32_e32 v45, s17, v45
	v_mul_u32_u24_e32 v2, 9, v2
	v_and_b32_e32 v3, v3, v6
	v_cmp_gt_i32_e64 s17, 0, v7
	v_ashrrev_i32_e32 v5, 31, v5
	v_xor_b32_e32 v4, vcc_lo, v4
	v_add_lshl_u32 v6, v2, v122, 2
	v_and_b32_e32 v3, v3, v45
	s_delay_alu instid0(VALU_DEP_4) | instskip(SKIP_3) | instid1(VALU_DEP_2)
	v_xor_b32_e32 v2, s17, v5
	ds_load_b32 v185, v6 offset:1056
	v_and_b32_e32 v3, v3, v4
	v_add_nc_u32_e32 v187, 0x420, v6
	; wave barrier
	v_and_b32_e32 v2, v3, v2
	s_delay_alu instid0(VALU_DEP_1) | instskip(SKIP_1) | instid1(VALU_DEP_2)
	v_mbcnt_lo_u32_b32 v186, v2, 0
	v_cmp_ne_u32_e64 s17, 0, v2
	v_cmp_eq_u32_e32 vcc_lo, 0, v186
	s_delay_alu instid0(VALU_DEP_2) | instskip(NEXT) | instid1(SALU_CYCLE_1)
	s_and_b32 s18, s17, vcc_lo
	s_and_saveexec_b32 s17, s18
	s_cbranch_execz .LBB948_446
; %bb.445:                              ;   in Loop: Header=BB948_400 Depth=2
	s_waitcnt lgkmcnt(0)
	v_bcnt_u32_b32 v2, v2, v185
	ds_store_b32 v187, v2
.LBB948_446:                            ;   in Loop: Header=BB948_400 Depth=2
	s_or_b32 exec_lo, exec_lo, s17
	v_xor_b32_e32 v184, 0x7fff7fff, v8
	; wave barrier
	s_delay_alu instid0(VALU_DEP_1) | instskip(NEXT) | instid1(VALU_DEP_1)
	v_and_b32_e32 v2, 0xffff, v184
	v_lshrrev_b32_e32 v2, s42, v2
	s_delay_alu instid0(VALU_DEP_1) | instskip(NEXT) | instid1(VALU_DEP_1)
	v_and_b32_e32 v2, s43, v2
	v_and_b32_e32 v3, 1, v2
	v_lshlrev_b32_e32 v4, 30, v2
	v_lshlrev_b32_e32 v5, 29, v2
	;; [unrolled: 1-line block ×4, first 2 shown]
	v_add_co_u32 v3, s17, v3, -1
	s_delay_alu instid0(VALU_DEP_1)
	v_cndmask_b32_e64 v7, 0, 1, s17
	v_not_b32_e32 v188, v4
	v_cmp_gt_i32_e64 s17, 0, v4
	v_not_b32_e32 v4, v5
	v_lshlrev_b32_e32 v45, 26, v2
	v_cmp_ne_u32_e32 vcc_lo, 0, v7
	v_ashrrev_i32_e32 v188, 31, v188
	v_lshlrev_b32_e32 v46, 25, v2
	v_ashrrev_i32_e32 v4, 31, v4
	v_lshlrev_b32_e32 v7, 24, v2
	v_xor_b32_e32 v3, vcc_lo, v3
	v_cmp_gt_i32_e32 vcc_lo, 0, v5
	v_not_b32_e32 v5, v6
	v_xor_b32_e32 v188, s17, v188
	v_cmp_gt_i32_e64 s17, 0, v6
	v_and_b32_e32 v3, exec_lo, v3
	v_not_b32_e32 v6, v8
	v_ashrrev_i32_e32 v5, 31, v5
	v_xor_b32_e32 v4, vcc_lo, v4
	v_cmp_gt_i32_e32 vcc_lo, 0, v8
	v_and_b32_e32 v3, v3, v188
	v_not_b32_e32 v8, v45
	v_ashrrev_i32_e32 v6, 31, v6
	v_xor_b32_e32 v5, s17, v5
	v_cmp_gt_i32_e64 s17, 0, v45
	v_and_b32_e32 v3, v3, v4
	v_not_b32_e32 v4, v46
	v_ashrrev_i32_e32 v8, 31, v8
	v_xor_b32_e32 v6, vcc_lo, v6
	v_cmp_gt_i32_e32 vcc_lo, 0, v46
	v_and_b32_e32 v3, v3, v5
	v_not_b32_e32 v5, v7
	v_ashrrev_i32_e32 v4, 31, v4
	v_xor_b32_e32 v8, s17, v8
	v_mul_u32_u24_e32 v2, 9, v2
	v_and_b32_e32 v3, v3, v6
	v_cmp_gt_i32_e64 s17, 0, v7
	v_ashrrev_i32_e32 v5, 31, v5
	v_xor_b32_e32 v4, vcc_lo, v4
	v_add_lshl_u32 v6, v2, v122, 2
	v_and_b32_e32 v3, v3, v8
	s_delay_alu instid0(VALU_DEP_4) | instskip(SKIP_3) | instid1(VALU_DEP_2)
	v_xor_b32_e32 v2, s17, v5
	ds_load_b32 v8, v6 offset:1056
	v_and_b32_e32 v3, v3, v4
	v_add_nc_u32_e32 v190, 0x420, v6
	; wave barrier
	v_and_b32_e32 v2, v3, v2
	s_delay_alu instid0(VALU_DEP_1) | instskip(SKIP_1) | instid1(VALU_DEP_2)
	v_mbcnt_lo_u32_b32 v189, v2, 0
	v_cmp_ne_u32_e64 s17, 0, v2
	v_cmp_eq_u32_e32 vcc_lo, 0, v189
	s_delay_alu instid0(VALU_DEP_2) | instskip(NEXT) | instid1(SALU_CYCLE_1)
	s_and_b32 s18, s17, vcc_lo
	s_and_saveexec_b32 s17, s18
	s_cbranch_execz .LBB948_448
; %bb.447:                              ;   in Loop: Header=BB948_400 Depth=2
	s_waitcnt lgkmcnt(0)
	v_bcnt_u32_b32 v2, v2, v8
	ds_store_b32 v190, v2
.LBB948_448:                            ;   in Loop: Header=BB948_400 Depth=2
	s_or_b32 exec_lo, exec_lo, s17
	v_lshrrev_b32_e32 v188, 16, v184
	; wave barrier
	s_delay_alu instid0(VALU_DEP_1) | instskip(NEXT) | instid1(VALU_DEP_1)
	v_lshrrev_b32_e32 v2, s42, v188
	v_and_b32_e32 v2, s43, v2
	s_delay_alu instid0(VALU_DEP_1)
	v_and_b32_e32 v3, 1, v2
	v_lshlrev_b32_e32 v4, 30, v2
	v_lshlrev_b32_e32 v5, 29, v2
	;; [unrolled: 1-line block ×4, first 2 shown]
	v_add_co_u32 v3, s17, v3, -1
	s_delay_alu instid0(VALU_DEP_1)
	v_cndmask_b32_e64 v7, 0, 1, s17
	v_not_b32_e32 v192, v4
	v_cmp_gt_i32_e64 s17, 0, v4
	v_not_b32_e32 v4, v5
	v_lshlrev_b32_e32 v46, 26, v2
	v_cmp_ne_u32_e32 vcc_lo, 0, v7
	v_ashrrev_i32_e32 v192, 31, v192
	v_lshlrev_b32_e32 v191, 25, v2
	v_ashrrev_i32_e32 v4, 31, v4
	v_lshlrev_b32_e32 v7, 24, v2
	v_xor_b32_e32 v3, vcc_lo, v3
	v_cmp_gt_i32_e32 vcc_lo, 0, v5
	v_not_b32_e32 v5, v6
	v_xor_b32_e32 v192, s17, v192
	v_cmp_gt_i32_e64 s17, 0, v6
	v_and_b32_e32 v3, exec_lo, v3
	v_not_b32_e32 v6, v45
	v_ashrrev_i32_e32 v5, 31, v5
	v_xor_b32_e32 v4, vcc_lo, v4
	v_cmp_gt_i32_e32 vcc_lo, 0, v45
	v_and_b32_e32 v3, v3, v192
	v_not_b32_e32 v45, v46
	v_ashrrev_i32_e32 v6, 31, v6
	v_xor_b32_e32 v5, s17, v5
	v_cmp_gt_i32_e64 s17, 0, v46
	v_and_b32_e32 v3, v3, v4
	v_not_b32_e32 v4, v191
	v_ashrrev_i32_e32 v45, 31, v45
	v_xor_b32_e32 v6, vcc_lo, v6
	v_cmp_gt_i32_e32 vcc_lo, 0, v191
	v_and_b32_e32 v3, v3, v5
	v_not_b32_e32 v5, v7
	v_ashrrev_i32_e32 v4, 31, v4
	v_xor_b32_e32 v45, s17, v45
	v_mul_u32_u24_e32 v2, 9, v2
	v_and_b32_e32 v3, v3, v6
	v_cmp_gt_i32_e64 s17, 0, v7
	v_ashrrev_i32_e32 v5, 31, v5
	v_xor_b32_e32 v4, vcc_lo, v4
	v_add_lshl_u32 v6, v2, v122, 2
	v_and_b32_e32 v3, v3, v45
	s_delay_alu instid0(VALU_DEP_4) | instskip(SKIP_3) | instid1(VALU_DEP_2)
	v_xor_b32_e32 v2, s17, v5
	ds_load_b32 v191, v6 offset:1056
	v_and_b32_e32 v3, v3, v4
	v_add_nc_u32_e32 v193, 0x420, v6
	; wave barrier
	v_and_b32_e32 v2, v3, v2
	s_delay_alu instid0(VALU_DEP_1) | instskip(SKIP_1) | instid1(VALU_DEP_2)
	v_mbcnt_lo_u32_b32 v192, v2, 0
	v_cmp_ne_u32_e64 s17, 0, v2
	v_cmp_eq_u32_e32 vcc_lo, 0, v192
	s_delay_alu instid0(VALU_DEP_2) | instskip(NEXT) | instid1(SALU_CYCLE_1)
	s_and_b32 s18, s17, vcc_lo
	s_and_saveexec_b32 s17, s18
	s_cbranch_execz .LBB948_450
; %bb.449:                              ;   in Loop: Header=BB948_400 Depth=2
	s_waitcnt lgkmcnt(0)
	v_bcnt_u32_b32 v2, v2, v191
	ds_store_b32 v193, v2
.LBB948_450:                            ;   in Loop: Header=BB948_400 Depth=2
	s_or_b32 exec_lo, exec_lo, s17
	v_xor_b32_e32 v9, 0x7fff7fff, v9
	; wave barrier
	s_delay_alu instid0(VALU_DEP_1) | instskip(NEXT) | instid1(VALU_DEP_1)
	v_and_b32_e32 v2, 0xffff, v9
	v_lshrrev_b32_e32 v2, s42, v2
	s_delay_alu instid0(VALU_DEP_1) | instskip(NEXT) | instid1(VALU_DEP_1)
	v_and_b32_e32 v2, s43, v2
	v_and_b32_e32 v3, 1, v2
	v_lshlrev_b32_e32 v4, 30, v2
	v_lshlrev_b32_e32 v5, 29, v2
	;; [unrolled: 1-line block ×4, first 2 shown]
	v_add_co_u32 v3, s17, v3, -1
	s_delay_alu instid0(VALU_DEP_1)
	v_cndmask_b32_e64 v7, 0, 1, s17
	v_not_b32_e32 v195, v4
	v_cmp_gt_i32_e64 s17, 0, v4
	v_not_b32_e32 v4, v5
	v_lshlrev_b32_e32 v46, 26, v2
	v_cmp_ne_u32_e32 vcc_lo, 0, v7
	v_ashrrev_i32_e32 v195, 31, v195
	v_lshlrev_b32_e32 v194, 25, v2
	v_ashrrev_i32_e32 v4, 31, v4
	v_lshlrev_b32_e32 v7, 24, v2
	v_xor_b32_e32 v3, vcc_lo, v3
	v_cmp_gt_i32_e32 vcc_lo, 0, v5
	v_not_b32_e32 v5, v6
	v_xor_b32_e32 v195, s17, v195
	v_cmp_gt_i32_e64 s17, 0, v6
	v_and_b32_e32 v3, exec_lo, v3
	v_not_b32_e32 v6, v45
	v_ashrrev_i32_e32 v5, 31, v5
	v_xor_b32_e32 v4, vcc_lo, v4
	v_cmp_gt_i32_e32 vcc_lo, 0, v45
	v_and_b32_e32 v3, v3, v195
	v_not_b32_e32 v45, v46
	v_ashrrev_i32_e32 v6, 31, v6
	v_xor_b32_e32 v5, s17, v5
	v_cmp_gt_i32_e64 s17, 0, v46
	v_and_b32_e32 v3, v3, v4
	v_not_b32_e32 v4, v194
	v_ashrrev_i32_e32 v45, 31, v45
	v_xor_b32_e32 v6, vcc_lo, v6
	v_cmp_gt_i32_e32 vcc_lo, 0, v194
	v_and_b32_e32 v3, v3, v5
	v_not_b32_e32 v5, v7
	v_ashrrev_i32_e32 v4, 31, v4
	v_xor_b32_e32 v45, s17, v45
	v_mul_u32_u24_e32 v2, 9, v2
	v_and_b32_e32 v3, v3, v6
	v_cmp_gt_i32_e64 s17, 0, v7
	v_ashrrev_i32_e32 v5, 31, v5
	v_xor_b32_e32 v4, vcc_lo, v4
	v_add_lshl_u32 v6, v2, v122, 2
	v_and_b32_e32 v3, v3, v45
	s_delay_alu instid0(VALU_DEP_4) | instskip(SKIP_3) | instid1(VALU_DEP_2)
	v_xor_b32_e32 v2, s17, v5
	ds_load_b32 v195, v6 offset:1056
	v_and_b32_e32 v3, v3, v4
	v_add_nc_u32_e32 v197, 0x420, v6
	; wave barrier
	v_and_b32_e32 v2, v3, v2
	s_delay_alu instid0(VALU_DEP_1) | instskip(SKIP_1) | instid1(VALU_DEP_2)
	v_mbcnt_lo_u32_b32 v196, v2, 0
	v_cmp_ne_u32_e64 s17, 0, v2
	v_cmp_eq_u32_e32 vcc_lo, 0, v196
	s_delay_alu instid0(VALU_DEP_2) | instskip(NEXT) | instid1(SALU_CYCLE_1)
	s_and_b32 s18, s17, vcc_lo
	s_and_saveexec_b32 s17, s18
	s_cbranch_execz .LBB948_452
; %bb.451:                              ;   in Loop: Header=BB948_400 Depth=2
	s_waitcnt lgkmcnt(0)
	v_bcnt_u32_b32 v2, v2, v195
	ds_store_b32 v197, v2
.LBB948_452:                            ;   in Loop: Header=BB948_400 Depth=2
	s_or_b32 exec_lo, exec_lo, s17
	v_lshrrev_b32_e32 v194, 16, v9
	; wave barrier
	s_delay_alu instid0(VALU_DEP_1) | instskip(NEXT) | instid1(VALU_DEP_1)
	v_lshrrev_b32_e32 v2, s42, v194
	v_and_b32_e32 v2, s43, v2
	s_delay_alu instid0(VALU_DEP_1)
	v_and_b32_e32 v3, 1, v2
	v_lshlrev_b32_e32 v4, 30, v2
	v_lshlrev_b32_e32 v5, 29, v2
	;; [unrolled: 1-line block ×4, first 2 shown]
	v_add_co_u32 v3, s17, v3, -1
	s_delay_alu instid0(VALU_DEP_1)
	v_cndmask_b32_e64 v7, 0, 1, s17
	v_not_b32_e32 v199, v4
	v_cmp_gt_i32_e64 s17, 0, v4
	v_not_b32_e32 v4, v5
	v_lshlrev_b32_e32 v46, 26, v2
	v_cmp_ne_u32_e32 vcc_lo, 0, v7
	v_ashrrev_i32_e32 v199, 31, v199
	v_lshlrev_b32_e32 v198, 25, v2
	v_ashrrev_i32_e32 v4, 31, v4
	v_lshlrev_b32_e32 v7, 24, v2
	v_xor_b32_e32 v3, vcc_lo, v3
	v_cmp_gt_i32_e32 vcc_lo, 0, v5
	v_not_b32_e32 v5, v6
	v_xor_b32_e32 v199, s17, v199
	v_cmp_gt_i32_e64 s17, 0, v6
	v_and_b32_e32 v3, exec_lo, v3
	v_not_b32_e32 v6, v45
	v_ashrrev_i32_e32 v5, 31, v5
	v_xor_b32_e32 v4, vcc_lo, v4
	v_cmp_gt_i32_e32 vcc_lo, 0, v45
	v_and_b32_e32 v3, v3, v199
	v_not_b32_e32 v45, v46
	v_ashrrev_i32_e32 v6, 31, v6
	v_xor_b32_e32 v5, s17, v5
	v_cmp_gt_i32_e64 s17, 0, v46
	v_and_b32_e32 v3, v3, v4
	v_not_b32_e32 v4, v198
	v_ashrrev_i32_e32 v45, 31, v45
	v_xor_b32_e32 v6, vcc_lo, v6
	v_cmp_gt_i32_e32 vcc_lo, 0, v198
	v_and_b32_e32 v3, v3, v5
	v_not_b32_e32 v5, v7
	v_ashrrev_i32_e32 v4, 31, v4
	v_xor_b32_e32 v45, s17, v45
	v_mul_u32_u24_e32 v2, 9, v2
	v_and_b32_e32 v3, v3, v6
	v_cmp_gt_i32_e64 s17, 0, v7
	v_ashrrev_i32_e32 v5, 31, v5
	v_xor_b32_e32 v4, vcc_lo, v4
	v_add_lshl_u32 v6, v2, v122, 2
	v_and_b32_e32 v3, v3, v45
	s_delay_alu instid0(VALU_DEP_4) | instskip(SKIP_3) | instid1(VALU_DEP_2)
	v_xor_b32_e32 v2, s17, v5
	ds_load_b32 v198, v6 offset:1056
	v_and_b32_e32 v3, v3, v4
	v_add_nc_u32_e32 v200, 0x420, v6
	; wave barrier
	v_and_b32_e32 v2, v3, v2
	s_delay_alu instid0(VALU_DEP_1) | instskip(SKIP_1) | instid1(VALU_DEP_2)
	v_mbcnt_lo_u32_b32 v199, v2, 0
	v_cmp_ne_u32_e64 s17, 0, v2
	v_cmp_eq_u32_e32 vcc_lo, 0, v199
	s_delay_alu instid0(VALU_DEP_2) | instskip(NEXT) | instid1(SALU_CYCLE_1)
	s_and_b32 s18, s17, vcc_lo
	s_and_saveexec_b32 s17, s18
	s_cbranch_execz .LBB948_454
; %bb.453:                              ;   in Loop: Header=BB948_400 Depth=2
	s_waitcnt lgkmcnt(0)
	v_bcnt_u32_b32 v2, v2, v198
	ds_store_b32 v200, v2
.LBB948_454:                            ;   in Loop: Header=BB948_400 Depth=2
	s_or_b32 exec_lo, exec_lo, s17
	; wave barrier
	s_waitcnt lgkmcnt(0)
	s_barrier
	buffer_gl0_inv
	ds_load_b32 v201, v73 offset:1056
	ds_load_2addr_b32 v[45:46], v75 offset0:1 offset1:2
	ds_load_2addr_b32 v[6:7], v75 offset0:3 offset1:4
	;; [unrolled: 1-line block ×4, first 2 shown]
	s_waitcnt lgkmcnt(3)
	v_add3_u32 v202, v45, v201, v46
	s_waitcnt lgkmcnt(2)
	s_delay_alu instid0(VALU_DEP_1) | instskip(SKIP_1) | instid1(VALU_DEP_1)
	v_add3_u32 v202, v202, v6, v7
	s_waitcnt lgkmcnt(1)
	v_add3_u32 v202, v202, v2, v3
	s_waitcnt lgkmcnt(0)
	s_delay_alu instid0(VALU_DEP_1) | instskip(NEXT) | instid1(VALU_DEP_1)
	v_add3_u32 v5, v202, v4, v5
	v_mov_b32_dpp v202, v5 row_shr:1 row_mask:0xf bank_mask:0xf
	s_delay_alu instid0(VALU_DEP_1) | instskip(NEXT) | instid1(VALU_DEP_1)
	v_cndmask_b32_e64 v202, v202, 0, s1
	v_add_nc_u32_e32 v5, v202, v5
	s_delay_alu instid0(VALU_DEP_1) | instskip(NEXT) | instid1(VALU_DEP_1)
	v_mov_b32_dpp v202, v5 row_shr:2 row_mask:0xf bank_mask:0xf
	v_cndmask_b32_e64 v202, 0, v202, s7
	s_delay_alu instid0(VALU_DEP_1) | instskip(NEXT) | instid1(VALU_DEP_1)
	v_add_nc_u32_e32 v5, v5, v202
	v_mov_b32_dpp v202, v5 row_shr:4 row_mask:0xf bank_mask:0xf
	s_delay_alu instid0(VALU_DEP_1) | instskip(NEXT) | instid1(VALU_DEP_1)
	v_cndmask_b32_e64 v202, 0, v202, s8
	v_add_nc_u32_e32 v5, v5, v202
	s_delay_alu instid0(VALU_DEP_1) | instskip(NEXT) | instid1(VALU_DEP_1)
	v_mov_b32_dpp v202, v5 row_shr:8 row_mask:0xf bank_mask:0xf
	v_cndmask_b32_e64 v202, 0, v202, s9
	s_delay_alu instid0(VALU_DEP_1) | instskip(SKIP_3) | instid1(VALU_DEP_1)
	v_add_nc_u32_e32 v5, v5, v202
	ds_swizzle_b32 v202, v5 offset:swizzle(BROADCAST,32,15)
	s_waitcnt lgkmcnt(0)
	v_cndmask_b32_e64 v202, v202, 0, s10
	v_add_nc_u32_e32 v5, v5, v202
	s_and_saveexec_b32 s17, s3
	s_cbranch_execz .LBB948_456
; %bb.455:                              ;   in Loop: Header=BB948_400 Depth=2
	ds_store_b32 v65, v5 offset:1024
.LBB948_456:                            ;   in Loop: Header=BB948_400 Depth=2
	s_or_b32 exec_lo, exec_lo, s17
	s_waitcnt lgkmcnt(0)
	s_barrier
	buffer_gl0_inv
	s_and_saveexec_b32 s17, s4
	s_cbranch_execz .LBB948_458
; %bb.457:                              ;   in Loop: Header=BB948_400 Depth=2
	ds_load_b32 v202, v76 offset:1024
	s_waitcnt lgkmcnt(0)
	v_mov_b32_dpp v203, v202 row_shr:1 row_mask:0xf bank_mask:0xf
	s_delay_alu instid0(VALU_DEP_1) | instskip(NEXT) | instid1(VALU_DEP_1)
	v_cndmask_b32_e64 v203, v203, 0, s12
	v_add_nc_u32_e32 v202, v203, v202
	s_delay_alu instid0(VALU_DEP_1) | instskip(NEXT) | instid1(VALU_DEP_1)
	v_mov_b32_dpp v203, v202 row_shr:2 row_mask:0xf bank_mask:0xf
	v_cndmask_b32_e64 v203, 0, v203, s13
	s_delay_alu instid0(VALU_DEP_1) | instskip(NEXT) | instid1(VALU_DEP_1)
	v_add_nc_u32_e32 v202, v202, v203
	v_mov_b32_dpp v203, v202 row_shr:4 row_mask:0xf bank_mask:0xf
	s_delay_alu instid0(VALU_DEP_1) | instskip(NEXT) | instid1(VALU_DEP_1)
	v_cndmask_b32_e64 v203, 0, v203, s16
	v_add_nc_u32_e32 v202, v202, v203
	ds_store_b32 v76, v202 offset:1024
.LBB948_458:                            ;   in Loop: Header=BB948_400 Depth=2
	s_or_b32 exec_lo, exec_lo, s17
	v_mov_b32_e32 v202, 0
	s_waitcnt lgkmcnt(0)
	s_barrier
	buffer_gl0_inv
	s_and_saveexec_b32 s17, s5
	s_cbranch_execz .LBB948_460
; %bb.459:                              ;   in Loop: Header=BB948_400 Depth=2
	ds_load_b32 v202, v65 offset:1020
.LBB948_460:                            ;   in Loop: Header=BB948_400 Depth=2
	s_or_b32 exec_lo, exec_lo, s17
	s_waitcnt lgkmcnt(0)
	v_add_nc_u32_e32 v5, v202, v5
	ds_bpermute_b32 v5, v101, v5
	s_waitcnt lgkmcnt(0)
	v_cndmask_b32_e64 v5, v5, v202, s11
	s_delay_alu instid0(VALU_DEP_1) | instskip(NEXT) | instid1(VALU_DEP_1)
	v_cndmask_b32_e64 v5, v5, 0, s0
	v_add_nc_u32_e32 v201, v5, v201
	s_delay_alu instid0(VALU_DEP_1) | instskip(NEXT) | instid1(VALU_DEP_1)
	v_add_nc_u32_e32 v45, v201, v45
	v_add_nc_u32_e32 v46, v45, v46
	s_delay_alu instid0(VALU_DEP_1) | instskip(NEXT) | instid1(VALU_DEP_1)
	v_add_nc_u32_e32 v6, v46, v6
	;; [unrolled: 3-line block ×3, first 2 shown]
	v_add_nc_u32_e32 v3, v2, v3
	s_delay_alu instid0(VALU_DEP_1)
	v_add_nc_u32_e32 v4, v3, v4
	ds_store_b32 v73, v5 offset:1056
	ds_store_2addr_b32 v75, v201, v45 offset0:1 offset1:2
	ds_store_2addr_b32 v75, v46, v6 offset0:3 offset1:4
	;; [unrolled: 1-line block ×4, first 2 shown]
	v_mov_b32_e32 v4, 0x1000
	s_waitcnt lgkmcnt(0)
	s_barrier
	buffer_gl0_inv
	ds_load_b32 v5, v147
	ds_load_b32 v6, v151
	;; [unrolled: 1-line block ×16, first 2 shown]
	ds_load_b32 v151, v73 offset:1056
	s_and_saveexec_b32 s17, s6
	s_cbranch_execz .LBB948_462
; %bb.461:                              ;   in Loop: Header=BB948_400 Depth=2
	ds_load_b32 v4, v77 offset:1056
.LBB948_462:                            ;   in Loop: Header=BB948_400 Depth=2
	s_or_b32 exec_lo, exec_lo, s17
	s_waitcnt lgkmcnt(0)
	s_barrier
	buffer_gl0_inv
	s_and_saveexec_b32 s17, s2
	s_cbranch_execz .LBB948_464
; %bb.463:                              ;   in Loop: Header=BB948_400 Depth=2
	ds_load_b32 v155, v47
	s_waitcnt lgkmcnt(0)
	v_sub_nc_u32_e32 v151, v155, v151
	ds_store_b32 v47, v151
.LBB948_464:                            ;   in Loop: Header=BB948_400 Depth=2
	s_or_b32 exec_lo, exec_lo, s17
	v_add_nc_u32_e32 v159, v143, v141
	v_add3_u32 v155, v146, v145, v5
	v_add3_u32 v151, v150, v149, v6
	;; [unrolled: 1-line block ×4, first 2 shown]
	v_lshlrev_b32_e32 v153, 1, v159
	v_add3_u32 v45, v192, v191, v2
	v_lshlrev_b32_e32 v2, 1, v155
	v_add3_u32 v149, v158, v157, v46
	v_add3_u32 v146, v166, v165, v163
	;; [unrolled: 1-line block ×5, first 2 shown]
	ds_store_b16 v153, v19 offset:1024
	v_lshlrev_b32_e32 v3, 1, v151
	ds_store_b16 v2, v142 offset:1024
	v_lshlrev_b32_e32 v2, 1, v147
	v_add3_u32 v143, v174, v173, v171
	v_lshlrev_b32_e32 v19, 1, v150
	v_add3_u32 v141, v178, v177, v175
	v_lshlrev_b32_e32 v153, 1, v149
	v_add3_u32 v46, v182, v181, v179
	v_add3_u32 v6, v186, v185, v183
	ds_store_b16 v3, v144 offset:1024
	ds_store_b16 v19, v148 offset:1024
	;; [unrolled: 1-line block ×3, first 2 shown]
	v_lshlrev_b32_e32 v3, 1, v146
	ds_store_b16 v2, v156 offset:1024
	v_lshlrev_b32_e32 v2, 1, v145
	v_lshlrev_b32_e32 v19, 1, v143
	;; [unrolled: 1-line block ×3, first 2 shown]
	v_add3_u32 v7, v199, v198, v7
	ds_store_b16 v3, v160 offset:1024
	v_lshlrev_b32_e32 v3, 1, v46
	ds_store_b16 v2, v164 offset:1024
	ds_store_b16 v19, v168 offset:1024
	;; [unrolled: 1-line block ×3, first 2 shown]
	v_lshlrev_b32_e32 v2, 1, v6
	v_cmp_lt_u32_e32 vcc_lo, v18, v0
	v_lshlrev_b32_e32 v19, 1, v45
	ds_store_b16 v3, v176 offset:1024
	v_lshlrev_b32_e32 v3, 1, v5
	ds_store_b16 v2, v180 offset:1024
	v_lshlrev_b32_e32 v2, 1, v7
	v_lshlrev_b32_e32 v142, 1, v8
	ds_store_b16 v3, v184 offset:1024
	ds_store_b16 v19, v188 offset:1024
	;; [unrolled: 1-line block ×4, first 2 shown]
	s_waitcnt lgkmcnt(0)
	s_barrier
	buffer_gl0_inv
	s_and_saveexec_b32 s18, vcc_lo
	s_cbranch_execz .LBB948_480
; %bb.465:                              ;   in Loop: Header=BB948_400 Depth=2
	v_add_nc_u32_e32 v2, v76, v82
	ds_load_u16 v142, v2 offset:1024
	s_waitcnt lgkmcnt(0)
	v_and_b32_e32 v2, 0xffff, v142
	s_delay_alu instid0(VALU_DEP_1) | instskip(NEXT) | instid1(VALU_DEP_1)
	v_lshrrev_b32_e32 v2, s42, v2
	v_and_b32_e32 v2, s43, v2
	s_delay_alu instid0(VALU_DEP_1) | instskip(SKIP_3) | instid1(VALU_DEP_1)
	v_lshlrev_b32_e32 v2, 2, v2
	ds_load_b32 v2, v2
	s_waitcnt lgkmcnt(0)
	v_add_nc_u32_e32 v19, v2, v18
	v_lshlrev_b64 v[2:3], 1, v[19:20]
	v_xor_b32_e32 v19, 0x7fff, v142
	s_delay_alu instid0(VALU_DEP_2) | instskip(NEXT) | instid1(VALU_DEP_1)
	v_add_co_u32 v2, s17, s40, v2
	v_add_co_ci_u32_e64 v3, s17, s41, v3, s17
	global_store_b16 v[2:3], v19, off
	s_or_b32 exec_lo, exec_lo, s18
	v_cmp_lt_u32_e64 s17, v48, v0
	s_delay_alu instid0(VALU_DEP_1)
	s_and_saveexec_b32 s19, s17
	s_cbranch_execnz .LBB948_481
.LBB948_466:                            ;   in Loop: Header=BB948_400 Depth=2
	s_or_b32 exec_lo, exec_lo, s19
	v_cmp_lt_u32_e64 s18, v49, v0
	s_delay_alu instid0(VALU_DEP_1)
	s_and_saveexec_b32 s20, s18
	s_cbranch_execz .LBB948_482
.LBB948_467:                            ;   in Loop: Header=BB948_400 Depth=2
	ds_load_u16 v142, v83 offset:1024
	s_waitcnt lgkmcnt(0)
	v_and_b32_e32 v2, 0xffff, v142
	s_delay_alu instid0(VALU_DEP_1) | instskip(NEXT) | instid1(VALU_DEP_1)
	v_lshrrev_b32_e32 v2, s42, v2
	v_and_b32_e32 v2, s43, v2
	s_delay_alu instid0(VALU_DEP_1) | instskip(SKIP_3) | instid1(VALU_DEP_1)
	v_lshlrev_b32_e32 v2, 2, v2
	ds_load_b32 v2, v2
	s_waitcnt lgkmcnt(0)
	v_add_nc_u32_e32 v19, v2, v49
	v_lshlrev_b64 v[2:3], 1, v[19:20]
	v_xor_b32_e32 v19, 0x7fff, v142
	s_delay_alu instid0(VALU_DEP_2) | instskip(NEXT) | instid1(VALU_DEP_1)
	v_add_co_u32 v2, s19, s40, v2
	v_add_co_ci_u32_e64 v3, s19, s41, v3, s19
	global_store_b16 v[2:3], v19, off
	s_or_b32 exec_lo, exec_lo, s20
	v_cmp_lt_u32_e64 s19, v50, v0
	s_delay_alu instid0(VALU_DEP_1)
	s_and_saveexec_b32 s21, s19
	s_cbranch_execnz .LBB948_483
.LBB948_468:                            ;   in Loop: Header=BB948_400 Depth=2
	s_or_b32 exec_lo, exec_lo, s21
	v_cmp_lt_u32_e64 s20, v54, v0
	s_delay_alu instid0(VALU_DEP_1)
	s_and_saveexec_b32 s22, s20
	s_cbranch_execz .LBB948_484
.LBB948_469:                            ;   in Loop: Header=BB948_400 Depth=2
	ds_load_u16 v142, v83 offset:2048
	s_waitcnt lgkmcnt(0)
	v_and_b32_e32 v2, 0xffff, v142
	s_delay_alu instid0(VALU_DEP_1) | instskip(NEXT) | instid1(VALU_DEP_1)
	v_lshrrev_b32_e32 v2, s42, v2
	v_and_b32_e32 v2, s43, v2
	s_delay_alu instid0(VALU_DEP_1) | instskip(SKIP_3) | instid1(VALU_DEP_1)
	v_lshlrev_b32_e32 v2, 2, v2
	ds_load_b32 v2, v2
	s_waitcnt lgkmcnt(0)
	v_add_nc_u32_e32 v19, v2, v54
	v_lshlrev_b64 v[2:3], 1, v[19:20]
	v_xor_b32_e32 v19, 0x7fff, v142
	s_delay_alu instid0(VALU_DEP_2) | instskip(NEXT) | instid1(VALU_DEP_1)
	v_add_co_u32 v2, s21, s40, v2
	v_add_co_ci_u32_e64 v3, s21, s41, v3, s21
	global_store_b16 v[2:3], v19, off
	s_or_b32 exec_lo, exec_lo, s22
	v_cmp_lt_u32_e64 s21, v55, v0
	s_delay_alu instid0(VALU_DEP_1)
	s_and_saveexec_b32 s23, s21
	s_cbranch_execnz .LBB948_485
.LBB948_470:                            ;   in Loop: Header=BB948_400 Depth=2
	s_or_b32 exec_lo, exec_lo, s23
	v_cmp_lt_u32_e64 s22, v56, v0
	s_delay_alu instid0(VALU_DEP_1)
	s_and_saveexec_b32 s24, s22
	s_cbranch_execz .LBB948_486
.LBB948_471:                            ;   in Loop: Header=BB948_400 Depth=2
	ds_load_u16 v142, v83 offset:3072
	s_waitcnt lgkmcnt(0)
	v_and_b32_e32 v2, 0xffff, v142
	s_delay_alu instid0(VALU_DEP_1) | instskip(NEXT) | instid1(VALU_DEP_1)
	v_lshrrev_b32_e32 v2, s42, v2
	v_and_b32_e32 v2, s43, v2
	s_delay_alu instid0(VALU_DEP_1) | instskip(SKIP_3) | instid1(VALU_DEP_1)
	v_lshlrev_b32_e32 v2, 2, v2
	ds_load_b32 v2, v2
	s_waitcnt lgkmcnt(0)
	v_add_nc_u32_e32 v19, v2, v56
	v_lshlrev_b64 v[2:3], 1, v[19:20]
	v_xor_b32_e32 v19, 0x7fff, v142
	s_delay_alu instid0(VALU_DEP_2) | instskip(NEXT) | instid1(VALU_DEP_1)
	v_add_co_u32 v2, s23, s40, v2
	v_add_co_ci_u32_e64 v3, s23, s41, v3, s23
	global_store_b16 v[2:3], v19, off
	s_or_b32 exec_lo, exec_lo, s24
	v_cmp_lt_u32_e64 s23, v57, v0
	s_delay_alu instid0(VALU_DEP_1)
	s_and_saveexec_b32 s25, s23
	s_cbranch_execnz .LBB948_487
.LBB948_472:                            ;   in Loop: Header=BB948_400 Depth=2
	s_or_b32 exec_lo, exec_lo, s25
	v_cmp_lt_u32_e64 s24, v58, v0
	s_delay_alu instid0(VALU_DEP_1)
	s_and_saveexec_b32 s26, s24
	s_cbranch_execz .LBB948_488
.LBB948_473:                            ;   in Loop: Header=BB948_400 Depth=2
	ds_load_u16 v142, v83 offset:4096
	s_waitcnt lgkmcnt(0)
	v_and_b32_e32 v2, 0xffff, v142
	s_delay_alu instid0(VALU_DEP_1) | instskip(NEXT) | instid1(VALU_DEP_1)
	v_lshrrev_b32_e32 v2, s42, v2
	v_and_b32_e32 v2, s43, v2
	s_delay_alu instid0(VALU_DEP_1) | instskip(SKIP_3) | instid1(VALU_DEP_1)
	v_lshlrev_b32_e32 v2, 2, v2
	ds_load_b32 v2, v2
	s_waitcnt lgkmcnt(0)
	v_add_nc_u32_e32 v19, v2, v58
	v_lshlrev_b64 v[2:3], 1, v[19:20]
	v_xor_b32_e32 v19, 0x7fff, v142
	s_delay_alu instid0(VALU_DEP_2) | instskip(NEXT) | instid1(VALU_DEP_1)
	v_add_co_u32 v2, s25, s40, v2
	v_add_co_ci_u32_e64 v3, s25, s41, v3, s25
	global_store_b16 v[2:3], v19, off
	s_or_b32 exec_lo, exec_lo, s26
	v_cmp_lt_u32_e64 s25, v59, v0
	s_delay_alu instid0(VALU_DEP_1)
	s_and_saveexec_b32 s27, s25
	s_cbranch_execnz .LBB948_489
.LBB948_474:                            ;   in Loop: Header=BB948_400 Depth=2
	s_or_b32 exec_lo, exec_lo, s27
	v_cmp_lt_u32_e64 s26, v60, v0
	s_delay_alu instid0(VALU_DEP_1)
	s_and_saveexec_b32 s28, s26
	s_cbranch_execz .LBB948_490
.LBB948_475:                            ;   in Loop: Header=BB948_400 Depth=2
	ds_load_u16 v142, v83 offset:5120
	s_waitcnt lgkmcnt(0)
	v_and_b32_e32 v2, 0xffff, v142
	s_delay_alu instid0(VALU_DEP_1) | instskip(NEXT) | instid1(VALU_DEP_1)
	v_lshrrev_b32_e32 v2, s42, v2
	v_and_b32_e32 v2, s43, v2
	s_delay_alu instid0(VALU_DEP_1) | instskip(SKIP_3) | instid1(VALU_DEP_1)
	v_lshlrev_b32_e32 v2, 2, v2
	ds_load_b32 v2, v2
	s_waitcnt lgkmcnt(0)
	v_add_nc_u32_e32 v19, v2, v60
	v_lshlrev_b64 v[2:3], 1, v[19:20]
	v_xor_b32_e32 v19, 0x7fff, v142
	s_delay_alu instid0(VALU_DEP_2) | instskip(NEXT) | instid1(VALU_DEP_1)
	v_add_co_u32 v2, s27, s40, v2
	v_add_co_ci_u32_e64 v3, s27, s41, v3, s27
	global_store_b16 v[2:3], v19, off
	s_or_b32 exec_lo, exec_lo, s28
	v_cmp_lt_u32_e64 s27, v61, v0
	s_delay_alu instid0(VALU_DEP_1)
	s_and_saveexec_b32 s29, s27
	s_cbranch_execnz .LBB948_491
.LBB948_476:                            ;   in Loop: Header=BB948_400 Depth=2
	s_or_b32 exec_lo, exec_lo, s29
	v_cmp_lt_u32_e64 s28, v62, v0
	s_delay_alu instid0(VALU_DEP_1)
	s_and_saveexec_b32 s30, s28
	s_cbranch_execz .LBB948_492
.LBB948_477:                            ;   in Loop: Header=BB948_400 Depth=2
	ds_load_u16 v142, v83 offset:6144
	s_waitcnt lgkmcnt(0)
	v_and_b32_e32 v2, 0xffff, v142
	s_delay_alu instid0(VALU_DEP_1) | instskip(NEXT) | instid1(VALU_DEP_1)
	v_lshrrev_b32_e32 v2, s42, v2
	v_and_b32_e32 v2, s43, v2
	s_delay_alu instid0(VALU_DEP_1) | instskip(SKIP_3) | instid1(VALU_DEP_1)
	v_lshlrev_b32_e32 v2, 2, v2
	ds_load_b32 v2, v2
	s_waitcnt lgkmcnt(0)
	v_add_nc_u32_e32 v19, v2, v62
	v_lshlrev_b64 v[2:3], 1, v[19:20]
	v_xor_b32_e32 v19, 0x7fff, v142
	s_delay_alu instid0(VALU_DEP_2) | instskip(NEXT) | instid1(VALU_DEP_1)
	v_add_co_u32 v2, s29, s40, v2
	v_add_co_ci_u32_e64 v3, s29, s41, v3, s29
	global_store_b16 v[2:3], v19, off
	s_or_b32 exec_lo, exec_lo, s30
	v_cmp_lt_u32_e64 s29, v63, v0
	s_delay_alu instid0(VALU_DEP_1)
	s_and_saveexec_b32 s31, s29
	s_cbranch_execnz .LBB948_493
.LBB948_478:                            ;   in Loop: Header=BB948_400 Depth=2
	s_or_b32 exec_lo, exec_lo, s31
	v_cmp_lt_u32_e64 s30, v64, v0
	s_delay_alu instid0(VALU_DEP_1)
	s_and_saveexec_b32 s33, s30
	s_cbranch_execz .LBB948_494
.LBB948_479:                            ;   in Loop: Header=BB948_400 Depth=2
	ds_load_u16 v142, v83 offset:7168
	s_waitcnt lgkmcnt(0)
	v_and_b32_e32 v2, 0xffff, v142
	s_delay_alu instid0(VALU_DEP_1) | instskip(NEXT) | instid1(VALU_DEP_1)
	v_lshrrev_b32_e32 v2, s42, v2
	v_and_b32_e32 v2, s43, v2
	s_delay_alu instid0(VALU_DEP_1) | instskip(SKIP_3) | instid1(VALU_DEP_1)
	v_lshlrev_b32_e32 v2, 2, v2
	ds_load_b32 v2, v2
	s_waitcnt lgkmcnt(0)
	v_add_nc_u32_e32 v19, v2, v64
	v_lshlrev_b64 v[2:3], 1, v[19:20]
	v_xor_b32_e32 v19, 0x7fff, v142
	s_delay_alu instid0(VALU_DEP_2) | instskip(NEXT) | instid1(VALU_DEP_1)
	v_add_co_u32 v2, s31, s40, v2
	v_add_co_ci_u32_e64 v3, s31, s41, v3, s31
	global_store_b16 v[2:3], v19, off
	s_or_b32 exec_lo, exec_lo, s33
	v_cmp_lt_u32_e64 s31, v66, v0
	s_delay_alu instid0(VALU_DEP_1)
	s_and_saveexec_b32 s45, s31
	s_cbranch_execnz .LBB948_495
	s_branch .LBB948_496
.LBB948_480:                            ;   in Loop: Header=BB948_400 Depth=2
	s_or_b32 exec_lo, exec_lo, s18
	v_cmp_lt_u32_e64 s17, v48, v0
	s_delay_alu instid0(VALU_DEP_1)
	s_and_saveexec_b32 s19, s17
	s_cbranch_execz .LBB948_466
.LBB948_481:                            ;   in Loop: Header=BB948_400 Depth=2
	ds_load_u16 v142, v83 offset:512
	s_waitcnt lgkmcnt(0)
	v_and_b32_e32 v2, 0xffff, v142
	s_delay_alu instid0(VALU_DEP_1) | instskip(NEXT) | instid1(VALU_DEP_1)
	v_lshrrev_b32_e32 v2, s42, v2
	v_and_b32_e32 v2, s43, v2
	s_delay_alu instid0(VALU_DEP_1) | instskip(SKIP_3) | instid1(VALU_DEP_1)
	v_lshlrev_b32_e32 v2, 2, v2
	ds_load_b32 v2, v2
	s_waitcnt lgkmcnt(0)
	v_add_nc_u32_e32 v19, v2, v48
	v_lshlrev_b64 v[2:3], 1, v[19:20]
	v_xor_b32_e32 v19, 0x7fff, v142
	s_delay_alu instid0(VALU_DEP_2) | instskip(NEXT) | instid1(VALU_DEP_1)
	v_add_co_u32 v2, s18, s40, v2
	v_add_co_ci_u32_e64 v3, s18, s41, v3, s18
	global_store_b16 v[2:3], v19, off
	s_or_b32 exec_lo, exec_lo, s19
	v_cmp_lt_u32_e64 s18, v49, v0
	s_delay_alu instid0(VALU_DEP_1)
	s_and_saveexec_b32 s20, s18
	s_cbranch_execnz .LBB948_467
.LBB948_482:                            ;   in Loop: Header=BB948_400 Depth=2
	s_or_b32 exec_lo, exec_lo, s20
	v_cmp_lt_u32_e64 s19, v50, v0
	s_delay_alu instid0(VALU_DEP_1)
	s_and_saveexec_b32 s21, s19
	s_cbranch_execz .LBB948_468
.LBB948_483:                            ;   in Loop: Header=BB948_400 Depth=2
	ds_load_u16 v142, v83 offset:1536
	s_waitcnt lgkmcnt(0)
	v_and_b32_e32 v2, 0xffff, v142
	s_delay_alu instid0(VALU_DEP_1) | instskip(NEXT) | instid1(VALU_DEP_1)
	v_lshrrev_b32_e32 v2, s42, v2
	v_and_b32_e32 v2, s43, v2
	s_delay_alu instid0(VALU_DEP_1) | instskip(SKIP_3) | instid1(VALU_DEP_1)
	v_lshlrev_b32_e32 v2, 2, v2
	ds_load_b32 v2, v2
	s_waitcnt lgkmcnt(0)
	v_add_nc_u32_e32 v19, v2, v50
	v_lshlrev_b64 v[2:3], 1, v[19:20]
	v_xor_b32_e32 v19, 0x7fff, v142
	s_delay_alu instid0(VALU_DEP_2) | instskip(NEXT) | instid1(VALU_DEP_1)
	v_add_co_u32 v2, s20, s40, v2
	v_add_co_ci_u32_e64 v3, s20, s41, v3, s20
	global_store_b16 v[2:3], v19, off
	s_or_b32 exec_lo, exec_lo, s21
	v_cmp_lt_u32_e64 s20, v54, v0
	s_delay_alu instid0(VALU_DEP_1)
	s_and_saveexec_b32 s22, s20
	s_cbranch_execnz .LBB948_469
.LBB948_484:                            ;   in Loop: Header=BB948_400 Depth=2
	s_or_b32 exec_lo, exec_lo, s22
	v_cmp_lt_u32_e64 s21, v55, v0
	s_delay_alu instid0(VALU_DEP_1)
	s_and_saveexec_b32 s23, s21
	s_cbranch_execz .LBB948_470
.LBB948_485:                            ;   in Loop: Header=BB948_400 Depth=2
	ds_load_u16 v142, v83 offset:2560
	s_waitcnt lgkmcnt(0)
	v_and_b32_e32 v2, 0xffff, v142
	s_delay_alu instid0(VALU_DEP_1) | instskip(NEXT) | instid1(VALU_DEP_1)
	v_lshrrev_b32_e32 v2, s42, v2
	v_and_b32_e32 v2, s43, v2
	s_delay_alu instid0(VALU_DEP_1) | instskip(SKIP_3) | instid1(VALU_DEP_1)
	v_lshlrev_b32_e32 v2, 2, v2
	ds_load_b32 v2, v2
	s_waitcnt lgkmcnt(0)
	v_add_nc_u32_e32 v19, v2, v55
	v_lshlrev_b64 v[2:3], 1, v[19:20]
	v_xor_b32_e32 v19, 0x7fff, v142
	s_delay_alu instid0(VALU_DEP_2) | instskip(NEXT) | instid1(VALU_DEP_1)
	v_add_co_u32 v2, s22, s40, v2
	v_add_co_ci_u32_e64 v3, s22, s41, v3, s22
	global_store_b16 v[2:3], v19, off
	s_or_b32 exec_lo, exec_lo, s23
	v_cmp_lt_u32_e64 s22, v56, v0
	s_delay_alu instid0(VALU_DEP_1)
	s_and_saveexec_b32 s24, s22
	s_cbranch_execnz .LBB948_471
.LBB948_486:                            ;   in Loop: Header=BB948_400 Depth=2
	s_or_b32 exec_lo, exec_lo, s24
	v_cmp_lt_u32_e64 s23, v57, v0
	s_delay_alu instid0(VALU_DEP_1)
	s_and_saveexec_b32 s25, s23
	s_cbranch_execz .LBB948_472
.LBB948_487:                            ;   in Loop: Header=BB948_400 Depth=2
	ds_load_u16 v142, v83 offset:3584
	s_waitcnt lgkmcnt(0)
	v_and_b32_e32 v2, 0xffff, v142
	s_delay_alu instid0(VALU_DEP_1) | instskip(NEXT) | instid1(VALU_DEP_1)
	v_lshrrev_b32_e32 v2, s42, v2
	v_and_b32_e32 v2, s43, v2
	s_delay_alu instid0(VALU_DEP_1) | instskip(SKIP_3) | instid1(VALU_DEP_1)
	v_lshlrev_b32_e32 v2, 2, v2
	ds_load_b32 v2, v2
	s_waitcnt lgkmcnt(0)
	v_add_nc_u32_e32 v19, v2, v57
	v_lshlrev_b64 v[2:3], 1, v[19:20]
	v_xor_b32_e32 v19, 0x7fff, v142
	s_delay_alu instid0(VALU_DEP_2) | instskip(NEXT) | instid1(VALU_DEP_1)
	v_add_co_u32 v2, s24, s40, v2
	v_add_co_ci_u32_e64 v3, s24, s41, v3, s24
	global_store_b16 v[2:3], v19, off
	s_or_b32 exec_lo, exec_lo, s25
	v_cmp_lt_u32_e64 s24, v58, v0
	s_delay_alu instid0(VALU_DEP_1)
	s_and_saveexec_b32 s26, s24
	s_cbranch_execnz .LBB948_473
.LBB948_488:                            ;   in Loop: Header=BB948_400 Depth=2
	s_or_b32 exec_lo, exec_lo, s26
	v_cmp_lt_u32_e64 s25, v59, v0
	s_delay_alu instid0(VALU_DEP_1)
	s_and_saveexec_b32 s27, s25
	s_cbranch_execz .LBB948_474
.LBB948_489:                            ;   in Loop: Header=BB948_400 Depth=2
	ds_load_u16 v142, v83 offset:4608
	s_waitcnt lgkmcnt(0)
	v_and_b32_e32 v2, 0xffff, v142
	s_delay_alu instid0(VALU_DEP_1) | instskip(NEXT) | instid1(VALU_DEP_1)
	v_lshrrev_b32_e32 v2, s42, v2
	v_and_b32_e32 v2, s43, v2
	s_delay_alu instid0(VALU_DEP_1) | instskip(SKIP_3) | instid1(VALU_DEP_1)
	v_lshlrev_b32_e32 v2, 2, v2
	ds_load_b32 v2, v2
	s_waitcnt lgkmcnt(0)
	v_add_nc_u32_e32 v19, v2, v59
	v_lshlrev_b64 v[2:3], 1, v[19:20]
	v_xor_b32_e32 v19, 0x7fff, v142
	s_delay_alu instid0(VALU_DEP_2) | instskip(NEXT) | instid1(VALU_DEP_1)
	v_add_co_u32 v2, s26, s40, v2
	v_add_co_ci_u32_e64 v3, s26, s41, v3, s26
	global_store_b16 v[2:3], v19, off
	s_or_b32 exec_lo, exec_lo, s27
	v_cmp_lt_u32_e64 s26, v60, v0
	s_delay_alu instid0(VALU_DEP_1)
	s_and_saveexec_b32 s28, s26
	s_cbranch_execnz .LBB948_475
.LBB948_490:                            ;   in Loop: Header=BB948_400 Depth=2
	s_or_b32 exec_lo, exec_lo, s28
	v_cmp_lt_u32_e64 s27, v61, v0
	s_delay_alu instid0(VALU_DEP_1)
	s_and_saveexec_b32 s29, s27
	s_cbranch_execz .LBB948_476
.LBB948_491:                            ;   in Loop: Header=BB948_400 Depth=2
	ds_load_u16 v142, v83 offset:5632
	s_waitcnt lgkmcnt(0)
	v_and_b32_e32 v2, 0xffff, v142
	s_delay_alu instid0(VALU_DEP_1) | instskip(NEXT) | instid1(VALU_DEP_1)
	v_lshrrev_b32_e32 v2, s42, v2
	v_and_b32_e32 v2, s43, v2
	s_delay_alu instid0(VALU_DEP_1) | instskip(SKIP_3) | instid1(VALU_DEP_1)
	v_lshlrev_b32_e32 v2, 2, v2
	ds_load_b32 v2, v2
	s_waitcnt lgkmcnt(0)
	v_add_nc_u32_e32 v19, v2, v61
	v_lshlrev_b64 v[2:3], 1, v[19:20]
	v_xor_b32_e32 v19, 0x7fff, v142
	s_delay_alu instid0(VALU_DEP_2) | instskip(NEXT) | instid1(VALU_DEP_1)
	v_add_co_u32 v2, s28, s40, v2
	v_add_co_ci_u32_e64 v3, s28, s41, v3, s28
	global_store_b16 v[2:3], v19, off
	s_or_b32 exec_lo, exec_lo, s29
	v_cmp_lt_u32_e64 s28, v62, v0
	s_delay_alu instid0(VALU_DEP_1)
	s_and_saveexec_b32 s30, s28
	s_cbranch_execnz .LBB948_477
.LBB948_492:                            ;   in Loop: Header=BB948_400 Depth=2
	s_or_b32 exec_lo, exec_lo, s30
	v_cmp_lt_u32_e64 s29, v63, v0
	s_delay_alu instid0(VALU_DEP_1)
	s_and_saveexec_b32 s31, s29
	s_cbranch_execz .LBB948_478
.LBB948_493:                            ;   in Loop: Header=BB948_400 Depth=2
	ds_load_u16 v142, v83 offset:6656
	s_waitcnt lgkmcnt(0)
	v_and_b32_e32 v2, 0xffff, v142
	s_delay_alu instid0(VALU_DEP_1) | instskip(NEXT) | instid1(VALU_DEP_1)
	v_lshrrev_b32_e32 v2, s42, v2
	v_and_b32_e32 v2, s43, v2
	s_delay_alu instid0(VALU_DEP_1) | instskip(SKIP_3) | instid1(VALU_DEP_1)
	v_lshlrev_b32_e32 v2, 2, v2
	ds_load_b32 v2, v2
	s_waitcnt lgkmcnt(0)
	v_add_nc_u32_e32 v19, v2, v63
	v_lshlrev_b64 v[2:3], 1, v[19:20]
	v_xor_b32_e32 v19, 0x7fff, v142
	s_delay_alu instid0(VALU_DEP_2) | instskip(NEXT) | instid1(VALU_DEP_1)
	v_add_co_u32 v2, s30, s40, v2
	v_add_co_ci_u32_e64 v3, s30, s41, v3, s30
	global_store_b16 v[2:3], v19, off
	s_or_b32 exec_lo, exec_lo, s31
	v_cmp_lt_u32_e64 s30, v64, v0
	s_delay_alu instid0(VALU_DEP_1)
	s_and_saveexec_b32 s33, s30
	s_cbranch_execnz .LBB948_479
.LBB948_494:                            ;   in Loop: Header=BB948_400 Depth=2
	s_or_b32 exec_lo, exec_lo, s33
	v_cmp_lt_u32_e64 s31, v66, v0
	s_delay_alu instid0(VALU_DEP_1)
	s_and_saveexec_b32 s45, s31
	s_cbranch_execz .LBB948_496
.LBB948_495:                            ;   in Loop: Header=BB948_400 Depth=2
	ds_load_u16 v142, v83 offset:7680
	s_waitcnt lgkmcnt(0)
	v_and_b32_e32 v2, 0xffff, v142
	s_delay_alu instid0(VALU_DEP_1) | instskip(NEXT) | instid1(VALU_DEP_1)
	v_lshrrev_b32_e32 v2, s42, v2
	v_and_b32_e32 v2, s43, v2
	s_delay_alu instid0(VALU_DEP_1) | instskip(SKIP_3) | instid1(VALU_DEP_1)
	v_lshlrev_b32_e32 v2, 2, v2
	ds_load_b32 v2, v2
	s_waitcnt lgkmcnt(0)
	v_add_nc_u32_e32 v19, v2, v66
	v_lshlrev_b64 v[2:3], 1, v[19:20]
	v_xor_b32_e32 v19, 0x7fff, v142
	s_delay_alu instid0(VALU_DEP_2) | instskip(NEXT) | instid1(VALU_DEP_1)
	v_add_co_u32 v2, s33, s40, v2
	v_add_co_ci_u32_e64 v3, s33, s41, v3, s33
	global_store_b16 v[2:3], v19, off
.LBB948_496:                            ;   in Loop: Header=BB948_400 Depth=2
	s_or_b32 exec_lo, exec_lo, s45
	s_lshl_b64 s[46:47], s[34:35], 3
	s_delay_alu instid0(SALU_CYCLE_1) | instskip(NEXT) | instid1(VALU_DEP_1)
	v_add_co_u32 v2, s33, v103, s46
	v_add_co_ci_u32_e64 v3, s33, s47, v104, s33
	v_cmp_lt_u32_e64 s33, v102, v0
	s_delay_alu instid0(VALU_DEP_1) | instskip(NEXT) | instid1(SALU_CYCLE_1)
	s_and_saveexec_b32 s34, s33
	s_xor_b32 s33, exec_lo, s34
	s_cbranch_execz .LBB948_528
; %bb.497:                              ;   in Loop: Header=BB948_400 Depth=2
	global_load_b64 v[43:44], v[2:3], off
	s_or_b32 exec_lo, exec_lo, s33
	s_delay_alu instid0(SALU_CYCLE_1)
	s_mov_b32 s34, exec_lo
	v_cmpx_lt_u32_e64 v105, v0
	s_cbranch_execnz .LBB948_529
.LBB948_498:                            ;   in Loop: Header=BB948_400 Depth=2
	s_or_b32 exec_lo, exec_lo, s34
	s_delay_alu instid0(SALU_CYCLE_1)
	s_mov_b32 s34, exec_lo
	v_cmpx_lt_u32_e64 v106, v0
	s_cbranch_execz .LBB948_530
.LBB948_499:                            ;   in Loop: Header=BB948_400 Depth=2
	global_load_b64 v[39:40], v[2:3], off offset:512
	s_or_b32 exec_lo, exec_lo, s34
	s_delay_alu instid0(SALU_CYCLE_1)
	s_mov_b32 s34, exec_lo
	v_cmpx_lt_u32_e64 v107, v0
	s_cbranch_execnz .LBB948_531
.LBB948_500:                            ;   in Loop: Header=BB948_400 Depth=2
	s_or_b32 exec_lo, exec_lo, s34
	s_delay_alu instid0(SALU_CYCLE_1)
	s_mov_b32 s34, exec_lo
	v_cmpx_lt_u32_e64 v108, v0
	s_cbranch_execz .LBB948_532
.LBB948_501:                            ;   in Loop: Header=BB948_400 Depth=2
	global_load_b64 v[35:36], v[2:3], off offset:1024
	s_or_b32 exec_lo, exec_lo, s34
	s_delay_alu instid0(SALU_CYCLE_1)
	s_mov_b32 s34, exec_lo
	v_cmpx_lt_u32_e64 v109, v0
	s_cbranch_execnz .LBB948_533
.LBB948_502:                            ;   in Loop: Header=BB948_400 Depth=2
	s_or_b32 exec_lo, exec_lo, s34
	s_delay_alu instid0(SALU_CYCLE_1)
	s_mov_b32 s34, exec_lo
	v_cmpx_lt_u32_e64 v110, v0
	s_cbranch_execz .LBB948_534
.LBB948_503:                            ;   in Loop: Header=BB948_400 Depth=2
	global_load_b64 v[31:32], v[2:3], off offset:1536
	s_or_b32 exec_lo, exec_lo, s34
	s_delay_alu instid0(SALU_CYCLE_1)
	s_mov_b32 s34, exec_lo
	v_cmpx_lt_u32_e64 v111, v0
	s_cbranch_execnz .LBB948_535
.LBB948_504:                            ;   in Loop: Header=BB948_400 Depth=2
	s_or_b32 exec_lo, exec_lo, s34
	s_delay_alu instid0(SALU_CYCLE_1)
	s_mov_b32 s34, exec_lo
	v_cmpx_lt_u32_e64 v112, v0
	s_cbranch_execz .LBB948_536
.LBB948_505:                            ;   in Loop: Header=BB948_400 Depth=2
	global_load_b64 v[27:28], v[2:3], off offset:2048
	s_or_b32 exec_lo, exec_lo, s34
	s_delay_alu instid0(SALU_CYCLE_1)
	s_mov_b32 s34, exec_lo
	v_cmpx_lt_u32_e64 v113, v0
	s_cbranch_execnz .LBB948_537
.LBB948_506:                            ;   in Loop: Header=BB948_400 Depth=2
	s_or_b32 exec_lo, exec_lo, s34
	s_delay_alu instid0(SALU_CYCLE_1)
	s_mov_b32 s34, exec_lo
	v_cmpx_lt_u32_e64 v114, v0
	s_cbranch_execz .LBB948_538
.LBB948_507:                            ;   in Loop: Header=BB948_400 Depth=2
	global_load_b64 v[23:24], v[2:3], off offset:2560
	s_or_b32 exec_lo, exec_lo, s34
	s_delay_alu instid0(SALU_CYCLE_1)
	s_mov_b32 s34, exec_lo
	v_cmpx_lt_u32_e64 v115, v0
	s_cbranch_execnz .LBB948_539
.LBB948_508:                            ;   in Loop: Header=BB948_400 Depth=2
	s_or_b32 exec_lo, exec_lo, s34
	s_delay_alu instid0(SALU_CYCLE_1)
	s_mov_b32 s34, exec_lo
	v_cmpx_lt_u32_e64 v116, v0
	s_cbranch_execz .LBB948_540
.LBB948_509:                            ;   in Loop: Header=BB948_400 Depth=2
	global_load_b64 v[16:17], v[2:3], off offset:3072
	s_or_b32 exec_lo, exec_lo, s34
	s_delay_alu instid0(SALU_CYCLE_1)
	s_mov_b32 s34, exec_lo
	v_cmpx_lt_u32_e64 v117, v0
	s_cbranch_execnz .LBB948_541
.LBB948_510:                            ;   in Loop: Header=BB948_400 Depth=2
	s_or_b32 exec_lo, exec_lo, s34
	s_delay_alu instid0(SALU_CYCLE_1)
	s_mov_b32 s34, exec_lo
	v_cmpx_lt_u32_e64 v118, v0
	s_cbranch_execz .LBB948_542
.LBB948_511:                            ;   in Loop: Header=BB948_400 Depth=2
	global_load_b64 v[12:13], v[2:3], off offset:3584
	s_or_b32 exec_lo, exec_lo, s34
	s_delay_alu instid0(SALU_CYCLE_1)
	s_mov_b32 s34, exec_lo
	v_cmpx_lt_u32_e64 v119, v0
	s_cbranch_execnz .LBB948_543
.LBB948_512:                            ;   in Loop: Header=BB948_400 Depth=2
	s_or_b32 exec_lo, exec_lo, s34
	s_and_saveexec_b32 s33, vcc_lo
	s_cbranch_execz .LBB948_544
.LBB948_513:                            ;   in Loop: Header=BB948_400 Depth=2
	v_add_nc_u32_e32 v0, v76, v82
	ds_load_u16 v0, v0 offset:1024
	s_waitcnt lgkmcnt(0)
	v_lshrrev_b32_e32 v0, s42, v0
	s_delay_alu instid0(VALU_DEP_1)
	v_and_b32_e32 v140, s43, v0
	s_or_b32 exec_lo, exec_lo, s33
	s_and_saveexec_b32 s33, s17
	s_cbranch_execnz .LBB948_545
.LBB948_514:                            ;   in Loop: Header=BB948_400 Depth=2
	s_or_b32 exec_lo, exec_lo, s33
	s_and_saveexec_b32 s33, s18
	s_cbranch_execz .LBB948_546
.LBB948_515:                            ;   in Loop: Header=BB948_400 Depth=2
	ds_load_u16 v0, v83 offset:1024
	s_waitcnt lgkmcnt(0)
	v_lshrrev_b32_e32 v0, s42, v0
	s_delay_alu instid0(VALU_DEP_1)
	v_and_b32_e32 v138, s43, v0
	s_or_b32 exec_lo, exec_lo, s33
	s_and_saveexec_b32 s33, s19
	s_cbranch_execnz .LBB948_547
.LBB948_516:                            ;   in Loop: Header=BB948_400 Depth=2
	s_or_b32 exec_lo, exec_lo, s33
	s_and_saveexec_b32 s33, s20
	s_cbranch_execz .LBB948_548
.LBB948_517:                            ;   in Loop: Header=BB948_400 Depth=2
	ds_load_u16 v0, v83 offset:2048
	s_waitcnt lgkmcnt(0)
	v_lshrrev_b32_e32 v0, s42, v0
	s_delay_alu instid0(VALU_DEP_1)
	v_and_b32_e32 v136, s43, v0
	s_or_b32 exec_lo, exec_lo, s33
	s_and_saveexec_b32 s33, s21
	s_cbranch_execnz .LBB948_549
.LBB948_518:                            ;   in Loop: Header=BB948_400 Depth=2
	s_or_b32 exec_lo, exec_lo, s33
	s_and_saveexec_b32 s33, s22
	s_cbranch_execz .LBB948_550
.LBB948_519:                            ;   in Loop: Header=BB948_400 Depth=2
	ds_load_u16 v0, v83 offset:3072
	s_waitcnt lgkmcnt(0)
	v_lshrrev_b32_e32 v0, s42, v0
	s_delay_alu instid0(VALU_DEP_1)
	v_and_b32_e32 v134, s43, v0
	s_or_b32 exec_lo, exec_lo, s33
	s_and_saveexec_b32 s33, s23
	s_cbranch_execnz .LBB948_551
.LBB948_520:                            ;   in Loop: Header=BB948_400 Depth=2
	s_or_b32 exec_lo, exec_lo, s33
	s_and_saveexec_b32 s33, s24
	s_cbranch_execz .LBB948_552
.LBB948_521:                            ;   in Loop: Header=BB948_400 Depth=2
	ds_load_u16 v0, v83 offset:4096
	s_waitcnt lgkmcnt(0)
	v_lshrrev_b32_e32 v0, s42, v0
	s_delay_alu instid0(VALU_DEP_1)
	v_and_b32_e32 v132, s43, v0
	s_or_b32 exec_lo, exec_lo, s33
	s_and_saveexec_b32 s33, s25
	s_cbranch_execnz .LBB948_553
.LBB948_522:                            ;   in Loop: Header=BB948_400 Depth=2
	s_or_b32 exec_lo, exec_lo, s33
	s_and_saveexec_b32 s33, s26
	s_cbranch_execz .LBB948_554
.LBB948_523:                            ;   in Loop: Header=BB948_400 Depth=2
	ds_load_u16 v0, v83 offset:5120
	s_waitcnt lgkmcnt(0)
	v_lshrrev_b32_e32 v0, s42, v0
	s_delay_alu instid0(VALU_DEP_1)
	v_and_b32_e32 v130, s43, v0
	s_or_b32 exec_lo, exec_lo, s33
	s_and_saveexec_b32 s33, s27
	s_cbranch_execnz .LBB948_555
.LBB948_524:                            ;   in Loop: Header=BB948_400 Depth=2
	s_or_b32 exec_lo, exec_lo, s33
	s_and_saveexec_b32 s33, s28
	s_cbranch_execz .LBB948_556
.LBB948_525:                            ;   in Loop: Header=BB948_400 Depth=2
	ds_load_u16 v0, v83 offset:6144
	s_waitcnt lgkmcnt(0)
	v_lshrrev_b32_e32 v0, s42, v0
	s_delay_alu instid0(VALU_DEP_1)
	v_and_b32_e32 v128, s43, v0
	s_or_b32 exec_lo, exec_lo, s33
	s_and_saveexec_b32 s33, s29
	s_cbranch_execnz .LBB948_557
.LBB948_526:                            ;   in Loop: Header=BB948_400 Depth=2
	s_or_b32 exec_lo, exec_lo, s33
	s_and_saveexec_b32 s33, s30
	s_cbranch_execz .LBB948_558
.LBB948_527:                            ;   in Loop: Header=BB948_400 Depth=2
	ds_load_u16 v0, v83 offset:7168
	s_waitcnt lgkmcnt(0)
	v_lshrrev_b32_e32 v0, s42, v0
	s_delay_alu instid0(VALU_DEP_1)
	v_and_b32_e32 v126, s43, v0
	s_or_b32 exec_lo, exec_lo, s33
	s_and_saveexec_b32 s33, s31
	s_cbranch_execnz .LBB948_559
	s_branch .LBB948_560
.LBB948_528:                            ;   in Loop: Header=BB948_400 Depth=2
	s_or_b32 exec_lo, exec_lo, s33
	s_delay_alu instid0(SALU_CYCLE_1)
	s_mov_b32 s34, exec_lo
	v_cmpx_lt_u32_e64 v105, v0
	s_cbranch_execz .LBB948_498
.LBB948_529:                            ;   in Loop: Header=BB948_400 Depth=2
	global_load_b64 v[41:42], v[2:3], off offset:256
	s_or_b32 exec_lo, exec_lo, s34
	s_delay_alu instid0(SALU_CYCLE_1)
	s_mov_b32 s34, exec_lo
	v_cmpx_lt_u32_e64 v106, v0
	s_cbranch_execnz .LBB948_499
.LBB948_530:                            ;   in Loop: Header=BB948_400 Depth=2
	s_or_b32 exec_lo, exec_lo, s34
	s_delay_alu instid0(SALU_CYCLE_1)
	s_mov_b32 s34, exec_lo
	v_cmpx_lt_u32_e64 v107, v0
	s_cbranch_execz .LBB948_500
.LBB948_531:                            ;   in Loop: Header=BB948_400 Depth=2
	global_load_b64 v[37:38], v[2:3], off offset:768
	s_or_b32 exec_lo, exec_lo, s34
	s_delay_alu instid0(SALU_CYCLE_1)
	s_mov_b32 s34, exec_lo
	v_cmpx_lt_u32_e64 v108, v0
	s_cbranch_execnz .LBB948_501
.LBB948_532:                            ;   in Loop: Header=BB948_400 Depth=2
	s_or_b32 exec_lo, exec_lo, s34
	s_delay_alu instid0(SALU_CYCLE_1)
	s_mov_b32 s34, exec_lo
	v_cmpx_lt_u32_e64 v109, v0
	s_cbranch_execz .LBB948_502
.LBB948_533:                            ;   in Loop: Header=BB948_400 Depth=2
	global_load_b64 v[33:34], v[2:3], off offset:1280
	s_or_b32 exec_lo, exec_lo, s34
	s_delay_alu instid0(SALU_CYCLE_1)
	s_mov_b32 s34, exec_lo
	v_cmpx_lt_u32_e64 v110, v0
	s_cbranch_execnz .LBB948_503
.LBB948_534:                            ;   in Loop: Header=BB948_400 Depth=2
	s_or_b32 exec_lo, exec_lo, s34
	s_delay_alu instid0(SALU_CYCLE_1)
	s_mov_b32 s34, exec_lo
	v_cmpx_lt_u32_e64 v111, v0
	s_cbranch_execz .LBB948_504
.LBB948_535:                            ;   in Loop: Header=BB948_400 Depth=2
	global_load_b64 v[29:30], v[2:3], off offset:1792
	s_or_b32 exec_lo, exec_lo, s34
	s_delay_alu instid0(SALU_CYCLE_1)
	s_mov_b32 s34, exec_lo
	v_cmpx_lt_u32_e64 v112, v0
	s_cbranch_execnz .LBB948_505
.LBB948_536:                            ;   in Loop: Header=BB948_400 Depth=2
	s_or_b32 exec_lo, exec_lo, s34
	s_delay_alu instid0(SALU_CYCLE_1)
	s_mov_b32 s34, exec_lo
	v_cmpx_lt_u32_e64 v113, v0
	s_cbranch_execz .LBB948_506
.LBB948_537:                            ;   in Loop: Header=BB948_400 Depth=2
	global_load_b64 v[25:26], v[2:3], off offset:2304
	s_or_b32 exec_lo, exec_lo, s34
	s_delay_alu instid0(SALU_CYCLE_1)
	s_mov_b32 s34, exec_lo
	v_cmpx_lt_u32_e64 v114, v0
	s_cbranch_execnz .LBB948_507
.LBB948_538:                            ;   in Loop: Header=BB948_400 Depth=2
	s_or_b32 exec_lo, exec_lo, s34
	s_delay_alu instid0(SALU_CYCLE_1)
	s_mov_b32 s34, exec_lo
	v_cmpx_lt_u32_e64 v115, v0
	s_cbranch_execz .LBB948_508
.LBB948_539:                            ;   in Loop: Header=BB948_400 Depth=2
	global_load_b64 v[21:22], v[2:3], off offset:2816
	s_or_b32 exec_lo, exec_lo, s34
	s_delay_alu instid0(SALU_CYCLE_1)
	s_mov_b32 s34, exec_lo
	v_cmpx_lt_u32_e64 v116, v0
	s_cbranch_execnz .LBB948_509
.LBB948_540:                            ;   in Loop: Header=BB948_400 Depth=2
	s_or_b32 exec_lo, exec_lo, s34
	s_delay_alu instid0(SALU_CYCLE_1)
	s_mov_b32 s34, exec_lo
	v_cmpx_lt_u32_e64 v117, v0
	s_cbranch_execz .LBB948_510
.LBB948_541:                            ;   in Loop: Header=BB948_400 Depth=2
	global_load_b64 v[14:15], v[2:3], off offset:3328
	s_or_b32 exec_lo, exec_lo, s34
	s_delay_alu instid0(SALU_CYCLE_1)
	s_mov_b32 s34, exec_lo
	v_cmpx_lt_u32_e64 v118, v0
	s_cbranch_execnz .LBB948_511
.LBB948_542:                            ;   in Loop: Header=BB948_400 Depth=2
	s_or_b32 exec_lo, exec_lo, s34
	s_delay_alu instid0(SALU_CYCLE_1)
	s_mov_b32 s34, exec_lo
	v_cmpx_lt_u32_e64 v119, v0
	s_cbranch_execz .LBB948_512
.LBB948_543:                            ;   in Loop: Header=BB948_400 Depth=2
	global_load_b64 v[10:11], v[2:3], off offset:3840
	s_or_b32 exec_lo, exec_lo, s34
	s_and_saveexec_b32 s33, vcc_lo
	s_cbranch_execnz .LBB948_513
.LBB948_544:                            ;   in Loop: Header=BB948_400 Depth=2
	s_or_b32 exec_lo, exec_lo, s33
	s_and_saveexec_b32 s33, s17
	s_cbranch_execz .LBB948_514
.LBB948_545:                            ;   in Loop: Header=BB948_400 Depth=2
	ds_load_u16 v0, v83 offset:512
	s_waitcnt lgkmcnt(0)
	v_lshrrev_b32_e32 v0, s42, v0
	s_delay_alu instid0(VALU_DEP_1)
	v_and_b32_e32 v139, s43, v0
	s_or_b32 exec_lo, exec_lo, s33
	s_and_saveexec_b32 s33, s18
	s_cbranch_execnz .LBB948_515
.LBB948_546:                            ;   in Loop: Header=BB948_400 Depth=2
	s_or_b32 exec_lo, exec_lo, s33
	s_and_saveexec_b32 s33, s19
	s_cbranch_execz .LBB948_516
.LBB948_547:                            ;   in Loop: Header=BB948_400 Depth=2
	ds_load_u16 v0, v83 offset:1536
	s_waitcnt lgkmcnt(0)
	v_lshrrev_b32_e32 v0, s42, v0
	s_delay_alu instid0(VALU_DEP_1)
	v_and_b32_e32 v137, s43, v0
	s_or_b32 exec_lo, exec_lo, s33
	s_and_saveexec_b32 s33, s20
	s_cbranch_execnz .LBB948_517
.LBB948_548:                            ;   in Loop: Header=BB948_400 Depth=2
	s_or_b32 exec_lo, exec_lo, s33
	s_and_saveexec_b32 s33, s21
	s_cbranch_execz .LBB948_518
.LBB948_549:                            ;   in Loop: Header=BB948_400 Depth=2
	ds_load_u16 v0, v83 offset:2560
	s_waitcnt lgkmcnt(0)
	v_lshrrev_b32_e32 v0, s42, v0
	s_delay_alu instid0(VALU_DEP_1)
	v_and_b32_e32 v135, s43, v0
	s_or_b32 exec_lo, exec_lo, s33
	s_and_saveexec_b32 s33, s22
	s_cbranch_execnz .LBB948_519
.LBB948_550:                            ;   in Loop: Header=BB948_400 Depth=2
	s_or_b32 exec_lo, exec_lo, s33
	s_and_saveexec_b32 s33, s23
	s_cbranch_execz .LBB948_520
.LBB948_551:                            ;   in Loop: Header=BB948_400 Depth=2
	ds_load_u16 v0, v83 offset:3584
	s_waitcnt lgkmcnt(0)
	v_lshrrev_b32_e32 v0, s42, v0
	s_delay_alu instid0(VALU_DEP_1)
	v_and_b32_e32 v133, s43, v0
	s_or_b32 exec_lo, exec_lo, s33
	s_and_saveexec_b32 s33, s24
	s_cbranch_execnz .LBB948_521
.LBB948_552:                            ;   in Loop: Header=BB948_400 Depth=2
	s_or_b32 exec_lo, exec_lo, s33
	s_and_saveexec_b32 s33, s25
	s_cbranch_execz .LBB948_522
.LBB948_553:                            ;   in Loop: Header=BB948_400 Depth=2
	ds_load_u16 v0, v83 offset:4608
	s_waitcnt lgkmcnt(0)
	v_lshrrev_b32_e32 v0, s42, v0
	s_delay_alu instid0(VALU_DEP_1)
	v_and_b32_e32 v131, s43, v0
	s_or_b32 exec_lo, exec_lo, s33
	s_and_saveexec_b32 s33, s26
	s_cbranch_execnz .LBB948_523
.LBB948_554:                            ;   in Loop: Header=BB948_400 Depth=2
	s_or_b32 exec_lo, exec_lo, s33
	s_and_saveexec_b32 s33, s27
	s_cbranch_execz .LBB948_524
.LBB948_555:                            ;   in Loop: Header=BB948_400 Depth=2
	ds_load_u16 v0, v83 offset:5632
	s_waitcnt lgkmcnt(0)
	v_lshrrev_b32_e32 v0, s42, v0
	s_delay_alu instid0(VALU_DEP_1)
	v_and_b32_e32 v129, s43, v0
	s_or_b32 exec_lo, exec_lo, s33
	s_and_saveexec_b32 s33, s28
	s_cbranch_execnz .LBB948_525
.LBB948_556:                            ;   in Loop: Header=BB948_400 Depth=2
	s_or_b32 exec_lo, exec_lo, s33
	s_and_saveexec_b32 s33, s29
	s_cbranch_execz .LBB948_526
.LBB948_557:                            ;   in Loop: Header=BB948_400 Depth=2
	ds_load_u16 v0, v83 offset:6656
	s_waitcnt lgkmcnt(0)
	v_lshrrev_b32_e32 v0, s42, v0
	s_delay_alu instid0(VALU_DEP_1)
	v_and_b32_e32 v127, s43, v0
	s_or_b32 exec_lo, exec_lo, s33
	s_and_saveexec_b32 s33, s30
	s_cbranch_execnz .LBB948_527
.LBB948_558:                            ;   in Loop: Header=BB948_400 Depth=2
	s_or_b32 exec_lo, exec_lo, s33
	s_and_saveexec_b32 s33, s31
	s_cbranch_execz .LBB948_560
.LBB948_559:                            ;   in Loop: Header=BB948_400 Depth=2
	ds_load_u16 v0, v83 offset:7680
	s_waitcnt lgkmcnt(0)
	v_lshrrev_b32_e32 v0, s42, v0
	s_delay_alu instid0(VALU_DEP_1)
	v_and_b32_e32 v125, s43, v0
.LBB948_560:                            ;   in Loop: Header=BB948_400 Depth=2
	s_or_b32 exec_lo, exec_lo, s33
	v_lshlrev_b32_e32 v0, 3, v159
	v_lshlrev_b32_e32 v2, 3, v155
	s_waitcnt vmcnt(0)
	s_waitcnt_vscnt null, 0x0
	s_barrier
	buffer_gl0_inv
	ds_store_b64 v0, v[43:44] offset:1024
	v_lshlrev_b32_e32 v0, 3, v151
	v_lshlrev_b32_e32 v3, 3, v150
	;; [unrolled: 1-line block ×4, first 2 shown]
	ds_store_b64 v2, v[41:42] offset:1024
	ds_store_b64 v0, v[39:40] offset:1024
	;; [unrolled: 1-line block ×5, first 2 shown]
	v_lshlrev_b32_e32 v0, 3, v146
	v_lshlrev_b32_e32 v2, 3, v145
	;; [unrolled: 1-line block ×5, first 2 shown]
	ds_store_b64 v0, v[31:32] offset:1024
	ds_store_b64 v2, v[29:30] offset:1024
	ds_store_b64 v3, v[27:28] offset:1024
	ds_store_b64 v19, v[25:26] offset:1024
	ds_store_b64 v46, v[23:24] offset:1024
	v_lshlrev_b32_e32 v0, 3, v6
	v_lshlrev_b32_e32 v2, 3, v5
	;; [unrolled: 1-line block ×5, first 2 shown]
	ds_store_b64 v0, v[21:22] offset:1024
	ds_store_b64 v2, v[16:17] offset:1024
	;; [unrolled: 1-line block ×5, first 2 shown]
	s_waitcnt lgkmcnt(0)
	s_barrier
	buffer_gl0_inv
	s_and_saveexec_b32 s33, vcc_lo
	s_cbranch_execz .LBB948_576
; %bb.561:                              ;   in Loop: Header=BB948_400 Depth=2
	v_lshlrev_b32_e32 v0, 2, v140
	ds_load_b32 v0, v0
	ds_load_b64 v[2:3], v84 offset:1024
	s_waitcnt lgkmcnt(1)
	v_add_nc_u32_e32 v19, v0, v18
	s_delay_alu instid0(VALU_DEP_1) | instskip(NEXT) | instid1(VALU_DEP_1)
	v_lshlrev_b64 v[5:6], 3, v[19:20]
	v_add_co_u32 v5, vcc_lo, s54, v5
	s_delay_alu instid0(VALU_DEP_2)
	v_add_co_ci_u32_e32 v6, vcc_lo, s55, v6, vcc_lo
	s_waitcnt lgkmcnt(0)
	global_store_b64 v[5:6], v[2:3], off
	s_or_b32 exec_lo, exec_lo, s33
	s_and_saveexec_b32 s33, s17
	s_cbranch_execnz .LBB948_577
.LBB948_562:                            ;   in Loop: Header=BB948_400 Depth=2
	s_or_b32 exec_lo, exec_lo, s33
	s_and_saveexec_b32 s17, s18
	s_cbranch_execz .LBB948_578
.LBB948_563:                            ;   in Loop: Header=BB948_400 Depth=2
	v_lshlrev_b32_e32 v0, 2, v138
	v_add_nc_u32_e32 v2, v83, v85
	ds_load_b32 v0, v0
	ds_load_b64 v[2:3], v2 offset:4096
	s_waitcnt lgkmcnt(1)
	v_add_nc_u32_e32 v19, v0, v49
	s_delay_alu instid0(VALU_DEP_1) | instskip(NEXT) | instid1(VALU_DEP_1)
	v_lshlrev_b64 v[5:6], 3, v[19:20]
	v_add_co_u32 v5, vcc_lo, s54, v5
	s_delay_alu instid0(VALU_DEP_2)
	v_add_co_ci_u32_e32 v6, vcc_lo, s55, v6, vcc_lo
	s_waitcnt lgkmcnt(0)
	global_store_b64 v[5:6], v[2:3], off
	s_or_b32 exec_lo, exec_lo, s17
	s_and_saveexec_b32 s17, s19
	s_cbranch_execnz .LBB948_579
.LBB948_564:                            ;   in Loop: Header=BB948_400 Depth=2
	s_or_b32 exec_lo, exec_lo, s17
	s_and_saveexec_b32 s17, s20
	s_cbranch_execz .LBB948_580
.LBB948_565:                            ;   in Loop: Header=BB948_400 Depth=2
	v_lshlrev_b32_e32 v0, 2, v136
	v_add_nc_u32_e32 v2, v83, v85
	ds_load_b32 v0, v0
	ds_load_b64 v[2:3], v2 offset:8192
	s_waitcnt lgkmcnt(1)
	v_add_nc_u32_e32 v19, v0, v54
	s_delay_alu instid0(VALU_DEP_1) | instskip(NEXT) | instid1(VALU_DEP_1)
	v_lshlrev_b64 v[5:6], 3, v[19:20]
	v_add_co_u32 v5, vcc_lo, s54, v5
	s_delay_alu instid0(VALU_DEP_2)
	v_add_co_ci_u32_e32 v6, vcc_lo, s55, v6, vcc_lo
	s_waitcnt lgkmcnt(0)
	global_store_b64 v[5:6], v[2:3], off
	s_or_b32 exec_lo, exec_lo, s17
	s_and_saveexec_b32 s17, s21
	s_cbranch_execnz .LBB948_581
.LBB948_566:                            ;   in Loop: Header=BB948_400 Depth=2
	s_or_b32 exec_lo, exec_lo, s17
	s_and_saveexec_b32 s17, s22
	s_cbranch_execz .LBB948_582
.LBB948_567:                            ;   in Loop: Header=BB948_400 Depth=2
	v_lshlrev_b32_e32 v0, 2, v134
	v_add_nc_u32_e32 v2, v83, v85
	ds_load_b32 v0, v0
	ds_load_b64 v[2:3], v2 offset:12288
	s_waitcnt lgkmcnt(1)
	v_add_nc_u32_e32 v19, v0, v56
	s_delay_alu instid0(VALU_DEP_1) | instskip(NEXT) | instid1(VALU_DEP_1)
	v_lshlrev_b64 v[5:6], 3, v[19:20]
	v_add_co_u32 v5, vcc_lo, s54, v5
	s_delay_alu instid0(VALU_DEP_2)
	v_add_co_ci_u32_e32 v6, vcc_lo, s55, v6, vcc_lo
	s_waitcnt lgkmcnt(0)
	global_store_b64 v[5:6], v[2:3], off
	s_or_b32 exec_lo, exec_lo, s17
	s_and_saveexec_b32 s17, s23
	s_cbranch_execnz .LBB948_583
.LBB948_568:                            ;   in Loop: Header=BB948_400 Depth=2
	s_or_b32 exec_lo, exec_lo, s17
	s_and_saveexec_b32 s17, s24
	s_cbranch_execz .LBB948_584
.LBB948_569:                            ;   in Loop: Header=BB948_400 Depth=2
	v_lshlrev_b32_e32 v0, 2, v132
	v_add_nc_u32_e32 v2, v83, v85
	ds_load_b32 v0, v0
	ds_load_b64 v[2:3], v2 offset:16384
	s_waitcnt lgkmcnt(1)
	v_add_nc_u32_e32 v19, v0, v58
	s_delay_alu instid0(VALU_DEP_1) | instskip(NEXT) | instid1(VALU_DEP_1)
	v_lshlrev_b64 v[5:6], 3, v[19:20]
	v_add_co_u32 v5, vcc_lo, s54, v5
	s_delay_alu instid0(VALU_DEP_2)
	v_add_co_ci_u32_e32 v6, vcc_lo, s55, v6, vcc_lo
	s_waitcnt lgkmcnt(0)
	global_store_b64 v[5:6], v[2:3], off
	s_or_b32 exec_lo, exec_lo, s17
	s_and_saveexec_b32 s17, s25
	s_cbranch_execnz .LBB948_585
.LBB948_570:                            ;   in Loop: Header=BB948_400 Depth=2
	s_or_b32 exec_lo, exec_lo, s17
	s_and_saveexec_b32 s17, s26
	s_cbranch_execz .LBB948_586
.LBB948_571:                            ;   in Loop: Header=BB948_400 Depth=2
	v_lshlrev_b32_e32 v0, 2, v130
	v_add_nc_u32_e32 v2, v83, v85
	ds_load_b32 v0, v0
	ds_load_b64 v[2:3], v2 offset:20480
	s_waitcnt lgkmcnt(1)
	v_add_nc_u32_e32 v19, v0, v60
	s_delay_alu instid0(VALU_DEP_1) | instskip(NEXT) | instid1(VALU_DEP_1)
	v_lshlrev_b64 v[5:6], 3, v[19:20]
	v_add_co_u32 v5, vcc_lo, s54, v5
	s_delay_alu instid0(VALU_DEP_2)
	v_add_co_ci_u32_e32 v6, vcc_lo, s55, v6, vcc_lo
	s_waitcnt lgkmcnt(0)
	global_store_b64 v[5:6], v[2:3], off
	s_or_b32 exec_lo, exec_lo, s17
	s_and_saveexec_b32 s17, s27
	s_cbranch_execnz .LBB948_587
.LBB948_572:                            ;   in Loop: Header=BB948_400 Depth=2
	s_or_b32 exec_lo, exec_lo, s17
	s_and_saveexec_b32 s17, s28
	s_cbranch_execz .LBB948_588
.LBB948_573:                            ;   in Loop: Header=BB948_400 Depth=2
	v_lshlrev_b32_e32 v0, 2, v128
	v_add_nc_u32_e32 v2, v83, v85
	ds_load_b32 v0, v0
	ds_load_b64 v[2:3], v2 offset:24576
	s_waitcnt lgkmcnt(1)
	v_add_nc_u32_e32 v19, v0, v62
	s_delay_alu instid0(VALU_DEP_1) | instskip(NEXT) | instid1(VALU_DEP_1)
	v_lshlrev_b64 v[5:6], 3, v[19:20]
	v_add_co_u32 v5, vcc_lo, s54, v5
	s_delay_alu instid0(VALU_DEP_2)
	v_add_co_ci_u32_e32 v6, vcc_lo, s55, v6, vcc_lo
	s_waitcnt lgkmcnt(0)
	global_store_b64 v[5:6], v[2:3], off
	s_or_b32 exec_lo, exec_lo, s17
	s_and_saveexec_b32 s17, s29
	s_cbranch_execnz .LBB948_589
.LBB948_574:                            ;   in Loop: Header=BB948_400 Depth=2
	s_or_b32 exec_lo, exec_lo, s17
	s_and_saveexec_b32 s17, s30
	s_cbranch_execz .LBB948_590
.LBB948_575:                            ;   in Loop: Header=BB948_400 Depth=2
	v_lshlrev_b32_e32 v0, 2, v126
	v_add_nc_u32_e32 v2, v83, v85
	ds_load_b32 v0, v0
	ds_load_b64 v[2:3], v2 offset:28672
	s_waitcnt lgkmcnt(1)
	v_add_nc_u32_e32 v19, v0, v64
	s_delay_alu instid0(VALU_DEP_1) | instskip(NEXT) | instid1(VALU_DEP_1)
	v_lshlrev_b64 v[5:6], 3, v[19:20]
	v_add_co_u32 v5, vcc_lo, s54, v5
	s_delay_alu instid0(VALU_DEP_2)
	v_add_co_ci_u32_e32 v6, vcc_lo, s55, v6, vcc_lo
	s_waitcnt lgkmcnt(0)
	global_store_b64 v[5:6], v[2:3], off
	s_or_b32 exec_lo, exec_lo, s17
	s_and_saveexec_b32 s17, s31
	s_cbranch_execnz .LBB948_591
	s_branch .LBB948_592
.LBB948_576:                            ;   in Loop: Header=BB948_400 Depth=2
	s_or_b32 exec_lo, exec_lo, s33
	s_and_saveexec_b32 s33, s17
	s_cbranch_execz .LBB948_562
.LBB948_577:                            ;   in Loop: Header=BB948_400 Depth=2
	v_lshlrev_b32_e32 v0, 2, v139
	v_add_nc_u32_e32 v2, v83, v85
	ds_load_b32 v0, v0
	ds_load_b64 v[2:3], v2 offset:2048
	s_waitcnt lgkmcnt(1)
	v_add_nc_u32_e32 v19, v0, v48
	s_delay_alu instid0(VALU_DEP_1) | instskip(NEXT) | instid1(VALU_DEP_1)
	v_lshlrev_b64 v[5:6], 3, v[19:20]
	v_add_co_u32 v5, vcc_lo, s54, v5
	s_delay_alu instid0(VALU_DEP_2)
	v_add_co_ci_u32_e32 v6, vcc_lo, s55, v6, vcc_lo
	s_waitcnt lgkmcnt(0)
	global_store_b64 v[5:6], v[2:3], off
	s_or_b32 exec_lo, exec_lo, s33
	s_and_saveexec_b32 s17, s18
	s_cbranch_execnz .LBB948_563
.LBB948_578:                            ;   in Loop: Header=BB948_400 Depth=2
	s_or_b32 exec_lo, exec_lo, s17
	s_and_saveexec_b32 s17, s19
	s_cbranch_execz .LBB948_564
.LBB948_579:                            ;   in Loop: Header=BB948_400 Depth=2
	v_lshlrev_b32_e32 v0, 2, v137
	v_add_nc_u32_e32 v2, v83, v85
	ds_load_b32 v0, v0
	ds_load_b64 v[2:3], v2 offset:6144
	s_waitcnt lgkmcnt(1)
	v_add_nc_u32_e32 v19, v0, v50
	s_delay_alu instid0(VALU_DEP_1) | instskip(NEXT) | instid1(VALU_DEP_1)
	v_lshlrev_b64 v[5:6], 3, v[19:20]
	v_add_co_u32 v5, vcc_lo, s54, v5
	s_delay_alu instid0(VALU_DEP_2)
	v_add_co_ci_u32_e32 v6, vcc_lo, s55, v6, vcc_lo
	s_waitcnt lgkmcnt(0)
	global_store_b64 v[5:6], v[2:3], off
	s_or_b32 exec_lo, exec_lo, s17
	s_and_saveexec_b32 s17, s20
	s_cbranch_execnz .LBB948_565
.LBB948_580:                            ;   in Loop: Header=BB948_400 Depth=2
	s_or_b32 exec_lo, exec_lo, s17
	s_and_saveexec_b32 s17, s21
	s_cbranch_execz .LBB948_566
.LBB948_581:                            ;   in Loop: Header=BB948_400 Depth=2
	v_lshlrev_b32_e32 v0, 2, v135
	v_add_nc_u32_e32 v2, v83, v85
	ds_load_b32 v0, v0
	ds_load_b64 v[2:3], v2 offset:10240
	s_waitcnt lgkmcnt(1)
	v_add_nc_u32_e32 v19, v0, v55
	s_delay_alu instid0(VALU_DEP_1) | instskip(NEXT) | instid1(VALU_DEP_1)
	v_lshlrev_b64 v[5:6], 3, v[19:20]
	v_add_co_u32 v5, vcc_lo, s54, v5
	s_delay_alu instid0(VALU_DEP_2)
	v_add_co_ci_u32_e32 v6, vcc_lo, s55, v6, vcc_lo
	s_waitcnt lgkmcnt(0)
	global_store_b64 v[5:6], v[2:3], off
	s_or_b32 exec_lo, exec_lo, s17
	s_and_saveexec_b32 s17, s22
	s_cbranch_execnz .LBB948_567
.LBB948_582:                            ;   in Loop: Header=BB948_400 Depth=2
	s_or_b32 exec_lo, exec_lo, s17
	s_and_saveexec_b32 s17, s23
	s_cbranch_execz .LBB948_568
.LBB948_583:                            ;   in Loop: Header=BB948_400 Depth=2
	v_lshlrev_b32_e32 v0, 2, v133
	v_add_nc_u32_e32 v2, v83, v85
	ds_load_b32 v0, v0
	ds_load_b64 v[2:3], v2 offset:14336
	s_waitcnt lgkmcnt(1)
	v_add_nc_u32_e32 v19, v0, v57
	s_delay_alu instid0(VALU_DEP_1) | instskip(NEXT) | instid1(VALU_DEP_1)
	v_lshlrev_b64 v[5:6], 3, v[19:20]
	v_add_co_u32 v5, vcc_lo, s54, v5
	s_delay_alu instid0(VALU_DEP_2)
	v_add_co_ci_u32_e32 v6, vcc_lo, s55, v6, vcc_lo
	s_waitcnt lgkmcnt(0)
	global_store_b64 v[5:6], v[2:3], off
	s_or_b32 exec_lo, exec_lo, s17
	s_and_saveexec_b32 s17, s24
	s_cbranch_execnz .LBB948_569
.LBB948_584:                            ;   in Loop: Header=BB948_400 Depth=2
	s_or_b32 exec_lo, exec_lo, s17
	s_and_saveexec_b32 s17, s25
	s_cbranch_execz .LBB948_570
.LBB948_585:                            ;   in Loop: Header=BB948_400 Depth=2
	v_lshlrev_b32_e32 v0, 2, v131
	v_add_nc_u32_e32 v2, v83, v85
	ds_load_b32 v0, v0
	ds_load_b64 v[2:3], v2 offset:18432
	s_waitcnt lgkmcnt(1)
	v_add_nc_u32_e32 v19, v0, v59
	s_delay_alu instid0(VALU_DEP_1) | instskip(NEXT) | instid1(VALU_DEP_1)
	v_lshlrev_b64 v[5:6], 3, v[19:20]
	v_add_co_u32 v5, vcc_lo, s54, v5
	s_delay_alu instid0(VALU_DEP_2)
	v_add_co_ci_u32_e32 v6, vcc_lo, s55, v6, vcc_lo
	s_waitcnt lgkmcnt(0)
	global_store_b64 v[5:6], v[2:3], off
	s_or_b32 exec_lo, exec_lo, s17
	s_and_saveexec_b32 s17, s26
	s_cbranch_execnz .LBB948_571
.LBB948_586:                            ;   in Loop: Header=BB948_400 Depth=2
	s_or_b32 exec_lo, exec_lo, s17
	s_and_saveexec_b32 s17, s27
	s_cbranch_execz .LBB948_572
.LBB948_587:                            ;   in Loop: Header=BB948_400 Depth=2
	v_lshlrev_b32_e32 v0, 2, v129
	v_add_nc_u32_e32 v2, v83, v85
	ds_load_b32 v0, v0
	ds_load_b64 v[2:3], v2 offset:22528
	s_waitcnt lgkmcnt(1)
	v_add_nc_u32_e32 v19, v0, v61
	s_delay_alu instid0(VALU_DEP_1) | instskip(NEXT) | instid1(VALU_DEP_1)
	v_lshlrev_b64 v[5:6], 3, v[19:20]
	v_add_co_u32 v5, vcc_lo, s54, v5
	s_delay_alu instid0(VALU_DEP_2)
	v_add_co_ci_u32_e32 v6, vcc_lo, s55, v6, vcc_lo
	s_waitcnt lgkmcnt(0)
	global_store_b64 v[5:6], v[2:3], off
	s_or_b32 exec_lo, exec_lo, s17
	s_and_saveexec_b32 s17, s28
	s_cbranch_execnz .LBB948_573
.LBB948_588:                            ;   in Loop: Header=BB948_400 Depth=2
	s_or_b32 exec_lo, exec_lo, s17
	s_and_saveexec_b32 s17, s29
	s_cbranch_execz .LBB948_574
.LBB948_589:                            ;   in Loop: Header=BB948_400 Depth=2
	v_lshlrev_b32_e32 v0, 2, v127
	v_add_nc_u32_e32 v2, v83, v85
	ds_load_b32 v0, v0
	ds_load_b64 v[2:3], v2 offset:26624
	s_waitcnt lgkmcnt(1)
	v_add_nc_u32_e32 v19, v0, v63
	s_delay_alu instid0(VALU_DEP_1) | instskip(NEXT) | instid1(VALU_DEP_1)
	v_lshlrev_b64 v[5:6], 3, v[19:20]
	v_add_co_u32 v5, vcc_lo, s54, v5
	s_delay_alu instid0(VALU_DEP_2)
	v_add_co_ci_u32_e32 v6, vcc_lo, s55, v6, vcc_lo
	s_waitcnt lgkmcnt(0)
	global_store_b64 v[5:6], v[2:3], off
	s_or_b32 exec_lo, exec_lo, s17
	s_and_saveexec_b32 s17, s30
	s_cbranch_execnz .LBB948_575
.LBB948_590:                            ;   in Loop: Header=BB948_400 Depth=2
	s_or_b32 exec_lo, exec_lo, s17
	s_and_saveexec_b32 s17, s31
	s_cbranch_execz .LBB948_592
.LBB948_591:                            ;   in Loop: Header=BB948_400 Depth=2
	v_lshlrev_b32_e32 v0, 2, v125
	v_add_nc_u32_e32 v2, v83, v85
	ds_load_b32 v0, v0
	ds_load_b64 v[2:3], v2 offset:30720
	s_waitcnt lgkmcnt(1)
	v_add_nc_u32_e32 v19, v0, v66
	s_delay_alu instid0(VALU_DEP_1) | instskip(NEXT) | instid1(VALU_DEP_1)
	v_lshlrev_b64 v[5:6], 3, v[19:20]
	v_add_co_u32 v5, vcc_lo, s54, v5
	s_delay_alu instid0(VALU_DEP_2)
	v_add_co_ci_u32_e32 v6, vcc_lo, s55, v6, vcc_lo
	s_waitcnt lgkmcnt(0)
	global_store_b64 v[5:6], v[2:3], off
.LBB948_592:                            ;   in Loop: Header=BB948_400 Depth=2
	s_or_b32 exec_lo, exec_lo, s17
	s_waitcnt_vscnt null, 0x0
	s_barrier
	buffer_gl0_inv
	s_and_saveexec_b32 s17, s2
	s_cbranch_execz .LBB948_399
; %bb.593:                              ;   in Loop: Header=BB948_400 Depth=2
	ds_load_b32 v0, v47
	s_waitcnt lgkmcnt(0)
	v_add_nc_u32_e32 v0, v0, v4
	ds_store_b32 v47, v0
	s_branch .LBB948_399
.LBB948_594:                            ;   in Loop: Header=BB948_400 Depth=2
	s_or_b32 exec_lo, exec_lo, s17
	s_delay_alu instid0(SALU_CYCLE_1)
	s_mov_b32 s17, exec_lo
	v_cmpx_gt_u32_e64 s56, v105
	s_cbranch_execz .LBB948_405
.LBB948_595:                            ;   in Loop: Header=BB948_400 Depth=2
	global_load_d16_hi_b16 v2, v[45:46], off offset:64
	s_or_b32 exec_lo, exec_lo, s17
	s_delay_alu instid0(SALU_CYCLE_1)
	s_mov_b32 s17, exec_lo
	v_cmpx_gt_u32_e64 s56, v106
	s_cbranch_execnz .LBB948_406
.LBB948_596:                            ;   in Loop: Header=BB948_400 Depth=2
	s_or_b32 exec_lo, exec_lo, s17
	s_delay_alu instid0(SALU_CYCLE_1)
	s_mov_b32 s17, exec_lo
	v_cmpx_gt_u32_e64 s56, v107
	s_cbranch_execz .LBB948_407
.LBB948_597:                            ;   in Loop: Header=BB948_400 Depth=2
	global_load_d16_hi_b16 v3, v[45:46], off offset:192
	s_or_b32 exec_lo, exec_lo, s17
	s_delay_alu instid0(SALU_CYCLE_1)
	s_mov_b32 s17, exec_lo
	v_cmpx_gt_u32_e64 s56, v108
	s_cbranch_execnz .LBB948_408
.LBB948_598:                            ;   in Loop: Header=BB948_400 Depth=2
	s_or_b32 exec_lo, exec_lo, s17
	s_delay_alu instid0(SALU_CYCLE_1)
	s_mov_b32 s17, exec_lo
	v_cmpx_gt_u32_e64 s56, v109
	s_cbranch_execz .LBB948_409
.LBB948_599:                            ;   in Loop: Header=BB948_400 Depth=2
	global_load_d16_hi_b16 v4, v[45:46], off offset:320
	s_or_b32 exec_lo, exec_lo, s17
	s_delay_alu instid0(SALU_CYCLE_1)
	s_mov_b32 s17, exec_lo
	v_cmpx_gt_u32_e64 s56, v110
	s_cbranch_execnz .LBB948_410
.LBB948_600:                            ;   in Loop: Header=BB948_400 Depth=2
	s_or_b32 exec_lo, exec_lo, s17
	s_delay_alu instid0(SALU_CYCLE_1)
	s_mov_b32 s17, exec_lo
	v_cmpx_gt_u32_e64 s56, v111
	s_cbranch_execz .LBB948_411
.LBB948_601:                            ;   in Loop: Header=BB948_400 Depth=2
	global_load_d16_hi_b16 v5, v[45:46], off offset:448
	s_or_b32 exec_lo, exec_lo, s17
	s_delay_alu instid0(SALU_CYCLE_1)
	s_mov_b32 s17, exec_lo
	v_cmpx_gt_u32_e64 s56, v112
	s_cbranch_execnz .LBB948_412
.LBB948_602:                            ;   in Loop: Header=BB948_400 Depth=2
	s_or_b32 exec_lo, exec_lo, s17
	s_delay_alu instid0(SALU_CYCLE_1)
	s_mov_b32 s17, exec_lo
	v_cmpx_gt_u32_e64 s56, v113
	s_cbranch_execz .LBB948_413
.LBB948_603:                            ;   in Loop: Header=BB948_400 Depth=2
	global_load_d16_hi_b16 v6, v[45:46], off offset:576
	s_or_b32 exec_lo, exec_lo, s17
	s_delay_alu instid0(SALU_CYCLE_1)
	s_mov_b32 s17, exec_lo
	v_cmpx_gt_u32_e64 s56, v114
	s_cbranch_execnz .LBB948_414
.LBB948_604:                            ;   in Loop: Header=BB948_400 Depth=2
	s_or_b32 exec_lo, exec_lo, s17
	s_delay_alu instid0(SALU_CYCLE_1)
	s_mov_b32 s17, exec_lo
	v_cmpx_gt_u32_e64 s56, v115
	s_cbranch_execz .LBB948_415
.LBB948_605:                            ;   in Loop: Header=BB948_400 Depth=2
	global_load_d16_hi_b16 v7, v[45:46], off offset:704
	s_or_b32 exec_lo, exec_lo, s17
	s_delay_alu instid0(SALU_CYCLE_1)
	s_mov_b32 s17, exec_lo
	v_cmpx_gt_u32_e64 s56, v116
	s_cbranch_execnz .LBB948_416
.LBB948_606:                            ;   in Loop: Header=BB948_400 Depth=2
	s_or_b32 exec_lo, exec_lo, s17
	s_delay_alu instid0(SALU_CYCLE_1)
	s_mov_b32 s17, exec_lo
	v_cmpx_gt_u32_e64 s56, v117
	s_cbranch_execz .LBB948_417
.LBB948_607:                            ;   in Loop: Header=BB948_400 Depth=2
	global_load_d16_hi_b16 v8, v[45:46], off offset:832
	s_or_b32 exec_lo, exec_lo, s17
	s_delay_alu instid0(SALU_CYCLE_1)
	s_mov_b32 s17, exec_lo
	v_cmpx_gt_u32_e64 s56, v118
	s_cbranch_execnz .LBB948_418
	s_branch .LBB948_419
.LBB948_608:                            ;   in Loop: Header=BB948_20 Depth=1
	s_waitcnt lgkmcnt(0)
	s_barrier
.LBB948_609:                            ;   in Loop: Header=BB948_20 Depth=1
	s_mov_b32 s1, 0
.LBB948_610:                            ;   in Loop: Header=BB948_20 Depth=1
	s_delay_alu instid0(SALU_CYCLE_1)
	s_and_not1_b32 vcc_lo, exec_lo, s1
	s_cbranch_vccnz .LBB948_19
; %bb.611:                              ;   in Loop: Header=BB948_20 Depth=1
	s_and_b32 vcc_lo, exec_lo, s59
	s_mov_b32 s1, -1
	s_cbranch_vccz .LBB948_905
; %bb.612:                              ;   in Loop: Header=BB948_20 Depth=1
	s_mov_b32 s1, s64
	s_mov_b32 s34, s62
	s_barrier
	buffer_gl0_inv
                                        ; implicit-def: $vgpr2_vgpr3_vgpr4_vgpr5_vgpr6_vgpr7_vgpr8_vgpr9
	s_branch .LBB948_614
.LBB948_613:                            ;   in Loop: Header=BB948_614 Depth=2
	s_or_b32 exec_lo, exec_lo, s8
	s_addk_i32 s1, 0xf000
	s_cmp_ge_u32 s7, s63
	s_mov_b32 s34, s7
	s_cbranch_scc1 .LBB948_684
.LBB948_614:                            ;   Parent Loop BB948_20 Depth=1
                                        ; =>  This Inner Loop Header: Depth=2
	s_add_i32 s7, s34, 0x1000
	s_delay_alu instid0(SALU_CYCLE_1)
	s_cmp_gt_u32 s7, s63
	s_cbranch_scc1 .LBB948_617
; %bb.615:                              ;   in Loop: Header=BB948_614 Depth=2
	s_mov_b32 s9, 0
	s_mov_b32 s8, s34
	s_waitcnt vmcnt(7)
	v_mov_b32_e32 v17, v9
	s_lshl_b64 s[10:11], s[8:9], 1
	s_delay_alu instid0(SALU_CYCLE_1) | instskip(SKIP_2) | instid1(VALU_DEP_2)
	v_add_co_u32 v21, vcc_lo, v92, s10
	v_add_co_ci_u32_e32 v22, vcc_lo, s11, v93, vcc_lo
	s_movk_i32 s11, 0x1000
	v_add_co_u32 v23, vcc_lo, 0x1000, v21
	s_delay_alu instid0(VALU_DEP_2)
	v_add_co_ci_u32_e32 v24, vcc_lo, 0, v22, vcc_lo
	s_clause 0x6
	global_load_u16 v10, v[21:22], off
	global_load_u16 v11, v[21:22], off offset:1024
	global_load_u16 v12, v[21:22], off offset:2048
	;; [unrolled: 1-line block ×3, first 2 shown]
	global_load_u16 v14, v[23:24], off
	global_load_u16 v15, v[23:24], off offset:1024
	global_load_u16 v16, v[23:24], off offset:2048
	s_mov_b32 s10, -1
	s_clause 0x7
	global_load_d16_b16 v17, v[23:24], off offset:3072
	global_load_d16_hi_b16 v10, v[21:22], off offset:512
	global_load_d16_hi_b16 v11, v[21:22], off offset:1536
	;; [unrolled: 1-line block ×7, first 2 shown]
	v_add_co_u32 v21, vcc_lo, 0x1e00, v21
	v_add_co_ci_u32_e32 v22, vcc_lo, 0, v22, vcc_lo
	s_cbranch_execz .LBB948_618
; %bb.616:                              ;   in Loop: Header=BB948_614 Depth=2
                                        ; implicit-def: $vgpr2_vgpr3_vgpr4_vgpr5_vgpr6_vgpr7_vgpr8_vgpr9
	v_mov_b32_e32 v0, s1
	s_and_saveexec_b32 s8, s10
	s_cbranch_execnz .LBB948_637
	s_branch .LBB948_638
.LBB948_617:                            ;   in Loop: Header=BB948_614 Depth=2
	s_mov_b32 s10, 0
                                        ; implicit-def: $sgpr11
                                        ; implicit-def: $vgpr10_vgpr11_vgpr12_vgpr13_vgpr14_vgpr15_vgpr16_vgpr17
                                        ; implicit-def: $vgpr21_vgpr22
.LBB948_618:                            ;   in Loop: Header=BB948_614 Depth=2
	s_lshl_b64 s[8:9], s[34:35], 1
	s_mov_b32 s11, exec_lo
	s_add_u32 s8, s36, s8
	s_addc_u32 s9, s37, s9
	v_cmpx_gt_u32_e64 s1, v18
	s_cbranch_execz .LBB948_670
; %bb.619:                              ;   in Loop: Header=BB948_614 Depth=2
	global_load_d16_b16 v2, v99, s[8:9]
	s_or_b32 exec_lo, exec_lo, s11
	s_delay_alu instid0(SALU_CYCLE_1)
	s_mov_b32 s11, exec_lo
	v_cmpx_gt_u32_e64 s1, v48
	s_cbranch_execnz .LBB948_671
.LBB948_620:                            ;   in Loop: Header=BB948_614 Depth=2
	s_or_b32 exec_lo, exec_lo, s11
	s_delay_alu instid0(SALU_CYCLE_1)
	s_mov_b32 s11, exec_lo
	v_cmpx_gt_u32_e64 s1, v49
	s_cbranch_execz .LBB948_672
.LBB948_621:                            ;   in Loop: Header=BB948_614 Depth=2
	global_load_d16_b16 v3, v99, s[8:9] offset:1024
	s_or_b32 exec_lo, exec_lo, s11
	s_delay_alu instid0(SALU_CYCLE_1)
	s_mov_b32 s11, exec_lo
	v_cmpx_gt_u32_e64 s1, v50
	s_cbranch_execnz .LBB948_673
.LBB948_622:                            ;   in Loop: Header=BB948_614 Depth=2
	s_or_b32 exec_lo, exec_lo, s11
	s_delay_alu instid0(SALU_CYCLE_1)
	s_mov_b32 s11, exec_lo
	v_cmpx_gt_u32_e64 s1, v54
	s_cbranch_execz .LBB948_674
.LBB948_623:                            ;   in Loop: Header=BB948_614 Depth=2
	global_load_d16_b16 v4, v99, s[8:9] offset:2048
	s_or_b32 exec_lo, exec_lo, s11
	s_delay_alu instid0(SALU_CYCLE_1)
	s_mov_b32 s11, exec_lo
	v_cmpx_gt_u32_e64 s1, v55
	s_cbranch_execnz .LBB948_675
.LBB948_624:                            ;   in Loop: Header=BB948_614 Depth=2
	s_or_b32 exec_lo, exec_lo, s11
	s_delay_alu instid0(SALU_CYCLE_1)
	s_mov_b32 s11, exec_lo
	v_cmpx_gt_u32_e64 s1, v56
	s_cbranch_execz .LBB948_676
.LBB948_625:                            ;   in Loop: Header=BB948_614 Depth=2
	global_load_d16_b16 v5, v99, s[8:9] offset:3072
	s_or_b32 exec_lo, exec_lo, s11
	s_delay_alu instid0(SALU_CYCLE_1)
	s_mov_b32 s11, exec_lo
	v_cmpx_gt_u32_e64 s1, v57
	s_cbranch_execnz .LBB948_677
.LBB948_626:                            ;   in Loop: Header=BB948_614 Depth=2
	s_or_b32 exec_lo, exec_lo, s11
	s_delay_alu instid0(SALU_CYCLE_1)
	s_mov_b32 s11, exec_lo
	v_cmpx_gt_u32_e64 s1, v58
	s_cbranch_execz .LBB948_678
.LBB948_627:                            ;   in Loop: Header=BB948_614 Depth=2
	v_lshlrev_b32_e32 v0, 1, v58
	global_load_d16_b16 v6, v0, s[8:9]
	s_or_b32 exec_lo, exec_lo, s11
	s_delay_alu instid0(SALU_CYCLE_1)
	s_mov_b32 s11, exec_lo
	v_cmpx_gt_u32_e64 s1, v59
	s_cbranch_execnz .LBB948_679
.LBB948_628:                            ;   in Loop: Header=BB948_614 Depth=2
	s_or_b32 exec_lo, exec_lo, s11
	s_delay_alu instid0(SALU_CYCLE_1)
	s_mov_b32 s11, exec_lo
	v_cmpx_gt_u32_e64 s1, v60
	s_cbranch_execz .LBB948_680
.LBB948_629:                            ;   in Loop: Header=BB948_614 Depth=2
	v_lshlrev_b32_e32 v0, 1, v60
	global_load_d16_b16 v7, v0, s[8:9]
	s_or_b32 exec_lo, exec_lo, s11
	s_delay_alu instid0(SALU_CYCLE_1)
	s_mov_b32 s11, exec_lo
	v_cmpx_gt_u32_e64 s1, v61
	s_cbranch_execnz .LBB948_681
.LBB948_630:                            ;   in Loop: Header=BB948_614 Depth=2
	s_or_b32 exec_lo, exec_lo, s11
	s_delay_alu instid0(SALU_CYCLE_1)
	s_mov_b32 s11, exec_lo
	v_cmpx_gt_u32_e64 s1, v62
	s_cbranch_execz .LBB948_682
.LBB948_631:                            ;   in Loop: Header=BB948_614 Depth=2
	v_lshlrev_b32_e32 v0, 1, v62
	global_load_d16_b16 v8, v0, s[8:9]
	s_or_b32 exec_lo, exec_lo, s11
	s_delay_alu instid0(SALU_CYCLE_1)
	s_mov_b32 s11, exec_lo
	v_cmpx_gt_u32_e64 s1, v63
	s_cbranch_execnz .LBB948_683
.LBB948_632:                            ;   in Loop: Header=BB948_614 Depth=2
	s_or_b32 exec_lo, exec_lo, s11
	s_delay_alu instid0(SALU_CYCLE_1)
	s_mov_b32 s11, exec_lo
	v_cmpx_gt_u32_e64 s1, v64
	s_cbranch_execz .LBB948_634
.LBB948_633:                            ;   in Loop: Header=BB948_614 Depth=2
	v_lshlrev_b32_e32 v0, 1, v64
	global_load_d16_b16 v9, v0, s[8:9]
.LBB948_634:                            ;   in Loop: Header=BB948_614 Depth=2
	s_or_b32 exec_lo, exec_lo, s11
	s_delay_alu instid0(SALU_CYCLE_1)
	s_mov_b32 s12, exec_lo
                                        ; implicit-def: $sgpr11
                                        ; implicit-def: $vgpr21_vgpr22
	v_cmpx_gt_u32_e64 s1, v66
; %bb.635:                              ;   in Loop: Header=BB948_614 Depth=2
	v_lshlrev_b32_e32 v0, 1, v66
	s_sub_i32 s11, s63, s34
	s_or_b32 s10, s10, exec_lo
	s_delay_alu instid0(VALU_DEP_1) | instskip(NEXT) | instid1(VALU_DEP_1)
	v_add_co_u32 v21, s8, s8, v0
	v_add_co_ci_u32_e64 v22, null, s9, 0, s8
; %bb.636:                              ;   in Loop: Header=BB948_614 Depth=2
	s_or_b32 exec_lo, exec_lo, s12
	s_waitcnt vmcnt(0)
	v_dual_mov_b32 v17, v9 :: v_dual_mov_b32 v16, v8
	v_dual_mov_b32 v15, v7 :: v_dual_mov_b32 v14, v6
	;; [unrolled: 1-line block ×4, first 2 shown]
	v_mov_b32_e32 v0, s1
	s_and_saveexec_b32 s8, s10
	s_cbranch_execz .LBB948_638
.LBB948_637:                            ;   in Loop: Header=BB948_614 Depth=2
	global_load_d16_hi_b16 v17, v[21:22], off
	s_waitcnt vmcnt(0)
	v_dual_mov_b32 v2, v10 :: v_dual_mov_b32 v5, v13
	v_dual_mov_b32 v0, s11 :: v_dual_mov_b32 v3, v11
	;; [unrolled: 1-line block ×3, first 2 shown]
	v_mov_b32_e32 v6, v14
	v_dual_mov_b32 v8, v16 :: v_dual_mov_b32 v9, v17
.LBB948_638:                            ;   in Loop: Header=BB948_614 Depth=2
	s_or_b32 exec_lo, exec_lo, s8
	s_delay_alu instid0(SALU_CYCLE_1)
	s_mov_b32 s8, exec_lo
	v_cmpx_lt_u32_e64 v18, v0
	s_cbranch_execz .LBB948_654
; %bb.639:                              ;   in Loop: Header=BB948_614 Depth=2
	s_waitcnt vmcnt(6)
	v_xor_b32_e32 v10, 0x7fff, v2
	s_waitcnt vmcnt(5)
	v_lshlrev_b32_e32 v11, 2, v51
	s_delay_alu instid0(VALU_DEP_2) | instskip(NEXT) | instid1(VALU_DEP_1)
	v_and_b32_e32 v10, 0xffff, v10
	v_lshrrev_b32_e32 v10, s57, v10
	s_delay_alu instid0(VALU_DEP_1) | instskip(NEXT) | instid1(VALU_DEP_1)
	v_and_b32_e32 v10, s43, v10
	v_lshl_or_b32 v10, v10, 4, v11
	ds_add_u32 v10, v98
	s_or_b32 exec_lo, exec_lo, s8
	s_delay_alu instid0(SALU_CYCLE_1)
	s_mov_b32 s8, exec_lo
	v_cmpx_lt_u32_e64 v48, v0
	s_cbranch_execnz .LBB948_655
.LBB948_640:                            ;   in Loop: Header=BB948_614 Depth=2
	s_or_b32 exec_lo, exec_lo, s8
	s_delay_alu instid0(SALU_CYCLE_1)
	s_mov_b32 s8, exec_lo
	v_cmpx_lt_u32_e64 v49, v0
	s_cbranch_execz .LBB948_656
.LBB948_641:                            ;   in Loop: Header=BB948_614 Depth=2
	s_waitcnt vmcnt(6)
	v_xor_b32_e32 v10, 0x7fff, v3
	s_waitcnt vmcnt(5)
	v_lshlrev_b32_e32 v11, 2, v51
	s_delay_alu instid0(VALU_DEP_2) | instskip(NEXT) | instid1(VALU_DEP_1)
	v_and_b32_e32 v10, 0xffff, v10
	v_lshrrev_b32_e32 v10, s57, v10
	s_delay_alu instid0(VALU_DEP_1) | instskip(NEXT) | instid1(VALU_DEP_1)
	v_and_b32_e32 v10, s43, v10
	v_lshl_or_b32 v10, v10, 4, v11
	ds_add_u32 v10, v98
	s_or_b32 exec_lo, exec_lo, s8
	s_delay_alu instid0(SALU_CYCLE_1)
	s_mov_b32 s8, exec_lo
	v_cmpx_lt_u32_e64 v50, v0
	s_cbranch_execnz .LBB948_657
.LBB948_642:                            ;   in Loop: Header=BB948_614 Depth=2
	s_or_b32 exec_lo, exec_lo, s8
	s_delay_alu instid0(SALU_CYCLE_1)
	s_mov_b32 s8, exec_lo
	v_cmpx_lt_u32_e64 v54, v0
	s_cbranch_execz .LBB948_658
.LBB948_643:                            ;   in Loop: Header=BB948_614 Depth=2
	s_waitcnt vmcnt(6)
	v_xor_b32_e32 v10, 0x7fff, v4
	s_waitcnt vmcnt(5)
	v_lshlrev_b32_e32 v11, 2, v51
	s_delay_alu instid0(VALU_DEP_2) | instskip(NEXT) | instid1(VALU_DEP_1)
	v_and_b32_e32 v10, 0xffff, v10
	v_lshrrev_b32_e32 v10, s57, v10
	s_delay_alu instid0(VALU_DEP_1) | instskip(NEXT) | instid1(VALU_DEP_1)
	v_and_b32_e32 v10, s43, v10
	v_lshl_or_b32 v10, v10, 4, v11
	ds_add_u32 v10, v98
	s_or_b32 exec_lo, exec_lo, s8
	s_delay_alu instid0(SALU_CYCLE_1)
	s_mov_b32 s8, exec_lo
	v_cmpx_lt_u32_e64 v55, v0
	s_cbranch_execnz .LBB948_659
.LBB948_644:                            ;   in Loop: Header=BB948_614 Depth=2
	s_or_b32 exec_lo, exec_lo, s8
	s_delay_alu instid0(SALU_CYCLE_1)
	s_mov_b32 s8, exec_lo
	v_cmpx_lt_u32_e64 v56, v0
	s_cbranch_execz .LBB948_660
.LBB948_645:                            ;   in Loop: Header=BB948_614 Depth=2
	s_waitcnt vmcnt(6)
	v_xor_b32_e32 v10, 0x7fff, v5
	s_waitcnt vmcnt(5)
	v_lshlrev_b32_e32 v11, 2, v51
	s_delay_alu instid0(VALU_DEP_2) | instskip(NEXT) | instid1(VALU_DEP_1)
	v_and_b32_e32 v10, 0xffff, v10
	v_lshrrev_b32_e32 v10, s57, v10
	s_delay_alu instid0(VALU_DEP_1) | instskip(NEXT) | instid1(VALU_DEP_1)
	v_and_b32_e32 v10, s43, v10
	v_lshl_or_b32 v10, v10, 4, v11
	ds_add_u32 v10, v98
	s_or_b32 exec_lo, exec_lo, s8
	s_delay_alu instid0(SALU_CYCLE_1)
	s_mov_b32 s8, exec_lo
	v_cmpx_lt_u32_e64 v57, v0
	s_cbranch_execnz .LBB948_661
.LBB948_646:                            ;   in Loop: Header=BB948_614 Depth=2
	s_or_b32 exec_lo, exec_lo, s8
	s_delay_alu instid0(SALU_CYCLE_1)
	s_mov_b32 s8, exec_lo
	v_cmpx_lt_u32_e64 v58, v0
	s_cbranch_execz .LBB948_662
.LBB948_647:                            ;   in Loop: Header=BB948_614 Depth=2
	s_waitcnt vmcnt(6)
	v_xor_b32_e32 v10, 0x7fff, v6
	s_waitcnt vmcnt(5)
	v_lshlrev_b32_e32 v11, 2, v51
	s_delay_alu instid0(VALU_DEP_2) | instskip(NEXT) | instid1(VALU_DEP_1)
	v_and_b32_e32 v10, 0xffff, v10
	v_lshrrev_b32_e32 v10, s57, v10
	s_delay_alu instid0(VALU_DEP_1) | instskip(NEXT) | instid1(VALU_DEP_1)
	v_and_b32_e32 v10, s43, v10
	v_lshl_or_b32 v10, v10, 4, v11
	ds_add_u32 v10, v98
	s_or_b32 exec_lo, exec_lo, s8
	s_delay_alu instid0(SALU_CYCLE_1)
	s_mov_b32 s8, exec_lo
	v_cmpx_lt_u32_e64 v59, v0
	s_cbranch_execnz .LBB948_663
.LBB948_648:                            ;   in Loop: Header=BB948_614 Depth=2
	s_or_b32 exec_lo, exec_lo, s8
	s_delay_alu instid0(SALU_CYCLE_1)
	s_mov_b32 s8, exec_lo
	v_cmpx_lt_u32_e64 v60, v0
	s_cbranch_execz .LBB948_664
.LBB948_649:                            ;   in Loop: Header=BB948_614 Depth=2
	s_waitcnt vmcnt(6)
	v_xor_b32_e32 v10, 0x7fff, v7
	s_waitcnt vmcnt(5)
	v_lshlrev_b32_e32 v11, 2, v51
	s_delay_alu instid0(VALU_DEP_2) | instskip(NEXT) | instid1(VALU_DEP_1)
	v_and_b32_e32 v10, 0xffff, v10
	v_lshrrev_b32_e32 v10, s57, v10
	s_delay_alu instid0(VALU_DEP_1) | instskip(NEXT) | instid1(VALU_DEP_1)
	v_and_b32_e32 v10, s43, v10
	v_lshl_or_b32 v10, v10, 4, v11
	ds_add_u32 v10, v98
	s_or_b32 exec_lo, exec_lo, s8
	s_delay_alu instid0(SALU_CYCLE_1)
	s_mov_b32 s8, exec_lo
	v_cmpx_lt_u32_e64 v61, v0
	s_cbranch_execnz .LBB948_665
.LBB948_650:                            ;   in Loop: Header=BB948_614 Depth=2
	s_or_b32 exec_lo, exec_lo, s8
	s_delay_alu instid0(SALU_CYCLE_1)
	s_mov_b32 s8, exec_lo
	v_cmpx_lt_u32_e64 v62, v0
	s_cbranch_execz .LBB948_666
.LBB948_651:                            ;   in Loop: Header=BB948_614 Depth=2
	s_waitcnt vmcnt(6)
	v_xor_b32_e32 v10, 0x7fff, v8
	s_waitcnt vmcnt(5)
	v_lshlrev_b32_e32 v11, 2, v51
	s_delay_alu instid0(VALU_DEP_2) | instskip(NEXT) | instid1(VALU_DEP_1)
	v_and_b32_e32 v10, 0xffff, v10
	v_lshrrev_b32_e32 v10, s57, v10
	s_delay_alu instid0(VALU_DEP_1) | instskip(NEXT) | instid1(VALU_DEP_1)
	v_and_b32_e32 v10, s43, v10
	v_lshl_or_b32 v10, v10, 4, v11
	ds_add_u32 v10, v98
	s_or_b32 exec_lo, exec_lo, s8
	s_delay_alu instid0(SALU_CYCLE_1)
	s_mov_b32 s8, exec_lo
	v_cmpx_lt_u32_e64 v63, v0
	s_cbranch_execnz .LBB948_667
.LBB948_652:                            ;   in Loop: Header=BB948_614 Depth=2
	s_or_b32 exec_lo, exec_lo, s8
	s_delay_alu instid0(SALU_CYCLE_1)
	s_mov_b32 s8, exec_lo
	v_cmpx_lt_u32_e64 v64, v0
	s_cbranch_execz .LBB948_668
.LBB948_653:                            ;   in Loop: Header=BB948_614 Depth=2
	s_waitcnt vmcnt(6)
	v_xor_b32_e32 v10, 0x7fff, v9
	s_waitcnt vmcnt(5)
	v_lshlrev_b32_e32 v11, 2, v51
	s_delay_alu instid0(VALU_DEP_2) | instskip(NEXT) | instid1(VALU_DEP_1)
	v_and_b32_e32 v10, 0xffff, v10
	v_lshrrev_b32_e32 v10, s57, v10
	s_delay_alu instid0(VALU_DEP_1) | instskip(NEXT) | instid1(VALU_DEP_1)
	v_and_b32_e32 v10, s43, v10
	v_lshl_or_b32 v10, v10, 4, v11
	ds_add_u32 v10, v98
	s_or_b32 exec_lo, exec_lo, s8
	s_delay_alu instid0(SALU_CYCLE_1)
	s_mov_b32 s8, exec_lo
	v_cmpx_lt_u32_e64 v66, v0
	s_cbranch_execz .LBB948_613
	s_branch .LBB948_669
.LBB948_654:                            ;   in Loop: Header=BB948_614 Depth=2
	s_or_b32 exec_lo, exec_lo, s8
	s_delay_alu instid0(SALU_CYCLE_1)
	s_mov_b32 s8, exec_lo
	v_cmpx_lt_u32_e64 v48, v0
	s_cbranch_execz .LBB948_640
.LBB948_655:                            ;   in Loop: Header=BB948_614 Depth=2
	s_waitcnt vmcnt(6)
	v_lshrrev_b32_e32 v10, 16, v2
	s_waitcnt vmcnt(5)
	v_lshlrev_b32_e32 v11, 2, v51
	s_delay_alu instid0(VALU_DEP_2) | instskip(NEXT) | instid1(VALU_DEP_1)
	v_xor_b32_e32 v10, 0x7fff, v10
	v_and_b32_e32 v10, 0xffff, v10
	s_delay_alu instid0(VALU_DEP_1) | instskip(NEXT) | instid1(VALU_DEP_1)
	v_lshrrev_b32_e32 v10, s57, v10
	v_and_b32_e32 v10, s43, v10
	s_delay_alu instid0(VALU_DEP_1) | instskip(SKIP_2) | instid1(SALU_CYCLE_1)
	v_lshl_or_b32 v10, v10, 4, v11
	ds_add_u32 v10, v98
	s_or_b32 exec_lo, exec_lo, s8
	s_mov_b32 s8, exec_lo
	v_cmpx_lt_u32_e64 v49, v0
	s_cbranch_execnz .LBB948_641
.LBB948_656:                            ;   in Loop: Header=BB948_614 Depth=2
	s_or_b32 exec_lo, exec_lo, s8
	s_delay_alu instid0(SALU_CYCLE_1)
	s_mov_b32 s8, exec_lo
	v_cmpx_lt_u32_e64 v50, v0
	s_cbranch_execz .LBB948_642
.LBB948_657:                            ;   in Loop: Header=BB948_614 Depth=2
	s_waitcnt vmcnt(6)
	v_lshrrev_b32_e32 v10, 16, v3
	s_waitcnt vmcnt(5)
	v_lshlrev_b32_e32 v11, 2, v51
	s_delay_alu instid0(VALU_DEP_2) | instskip(NEXT) | instid1(VALU_DEP_1)
	v_xor_b32_e32 v10, 0x7fff, v10
	v_and_b32_e32 v10, 0xffff, v10
	s_delay_alu instid0(VALU_DEP_1) | instskip(NEXT) | instid1(VALU_DEP_1)
	v_lshrrev_b32_e32 v10, s57, v10
	v_and_b32_e32 v10, s43, v10
	s_delay_alu instid0(VALU_DEP_1) | instskip(SKIP_2) | instid1(SALU_CYCLE_1)
	v_lshl_or_b32 v10, v10, 4, v11
	ds_add_u32 v10, v98
	s_or_b32 exec_lo, exec_lo, s8
	s_mov_b32 s8, exec_lo
	v_cmpx_lt_u32_e64 v54, v0
	s_cbranch_execnz .LBB948_643
.LBB948_658:                            ;   in Loop: Header=BB948_614 Depth=2
	s_or_b32 exec_lo, exec_lo, s8
	s_delay_alu instid0(SALU_CYCLE_1)
	s_mov_b32 s8, exec_lo
	v_cmpx_lt_u32_e64 v55, v0
	s_cbranch_execz .LBB948_644
.LBB948_659:                            ;   in Loop: Header=BB948_614 Depth=2
	s_waitcnt vmcnt(6)
	v_lshrrev_b32_e32 v10, 16, v4
	s_waitcnt vmcnt(5)
	v_lshlrev_b32_e32 v11, 2, v51
	s_delay_alu instid0(VALU_DEP_2) | instskip(NEXT) | instid1(VALU_DEP_1)
	v_xor_b32_e32 v10, 0x7fff, v10
	v_and_b32_e32 v10, 0xffff, v10
	s_delay_alu instid0(VALU_DEP_1) | instskip(NEXT) | instid1(VALU_DEP_1)
	v_lshrrev_b32_e32 v10, s57, v10
	v_and_b32_e32 v10, s43, v10
	s_delay_alu instid0(VALU_DEP_1) | instskip(SKIP_2) | instid1(SALU_CYCLE_1)
	v_lshl_or_b32 v10, v10, 4, v11
	ds_add_u32 v10, v98
	s_or_b32 exec_lo, exec_lo, s8
	s_mov_b32 s8, exec_lo
	v_cmpx_lt_u32_e64 v56, v0
	s_cbranch_execnz .LBB948_645
.LBB948_660:                            ;   in Loop: Header=BB948_614 Depth=2
	s_or_b32 exec_lo, exec_lo, s8
	s_delay_alu instid0(SALU_CYCLE_1)
	s_mov_b32 s8, exec_lo
	v_cmpx_lt_u32_e64 v57, v0
	s_cbranch_execz .LBB948_646
.LBB948_661:                            ;   in Loop: Header=BB948_614 Depth=2
	s_waitcnt vmcnt(6)
	v_lshrrev_b32_e32 v10, 16, v5
	s_waitcnt vmcnt(5)
	v_lshlrev_b32_e32 v11, 2, v51
	s_delay_alu instid0(VALU_DEP_2) | instskip(NEXT) | instid1(VALU_DEP_1)
	v_xor_b32_e32 v10, 0x7fff, v10
	v_and_b32_e32 v10, 0xffff, v10
	s_delay_alu instid0(VALU_DEP_1) | instskip(NEXT) | instid1(VALU_DEP_1)
	v_lshrrev_b32_e32 v10, s57, v10
	v_and_b32_e32 v10, s43, v10
	s_delay_alu instid0(VALU_DEP_1) | instskip(SKIP_2) | instid1(SALU_CYCLE_1)
	v_lshl_or_b32 v10, v10, 4, v11
	ds_add_u32 v10, v98
	s_or_b32 exec_lo, exec_lo, s8
	s_mov_b32 s8, exec_lo
	v_cmpx_lt_u32_e64 v58, v0
	s_cbranch_execnz .LBB948_647
.LBB948_662:                            ;   in Loop: Header=BB948_614 Depth=2
	s_or_b32 exec_lo, exec_lo, s8
	s_delay_alu instid0(SALU_CYCLE_1)
	s_mov_b32 s8, exec_lo
	v_cmpx_lt_u32_e64 v59, v0
	s_cbranch_execz .LBB948_648
.LBB948_663:                            ;   in Loop: Header=BB948_614 Depth=2
	s_waitcnt vmcnt(6)
	v_lshrrev_b32_e32 v10, 16, v6
	s_waitcnt vmcnt(5)
	v_lshlrev_b32_e32 v11, 2, v51
	s_delay_alu instid0(VALU_DEP_2) | instskip(NEXT) | instid1(VALU_DEP_1)
	v_xor_b32_e32 v10, 0x7fff, v10
	v_and_b32_e32 v10, 0xffff, v10
	s_delay_alu instid0(VALU_DEP_1) | instskip(NEXT) | instid1(VALU_DEP_1)
	v_lshrrev_b32_e32 v10, s57, v10
	v_and_b32_e32 v10, s43, v10
	s_delay_alu instid0(VALU_DEP_1) | instskip(SKIP_2) | instid1(SALU_CYCLE_1)
	v_lshl_or_b32 v10, v10, 4, v11
	ds_add_u32 v10, v98
	s_or_b32 exec_lo, exec_lo, s8
	s_mov_b32 s8, exec_lo
	v_cmpx_lt_u32_e64 v60, v0
	s_cbranch_execnz .LBB948_649
.LBB948_664:                            ;   in Loop: Header=BB948_614 Depth=2
	s_or_b32 exec_lo, exec_lo, s8
	s_delay_alu instid0(SALU_CYCLE_1)
	s_mov_b32 s8, exec_lo
	v_cmpx_lt_u32_e64 v61, v0
	s_cbranch_execz .LBB948_650
.LBB948_665:                            ;   in Loop: Header=BB948_614 Depth=2
	s_waitcnt vmcnt(6)
	v_lshrrev_b32_e32 v10, 16, v7
	s_waitcnt vmcnt(5)
	v_lshlrev_b32_e32 v11, 2, v51
	s_delay_alu instid0(VALU_DEP_2) | instskip(NEXT) | instid1(VALU_DEP_1)
	v_xor_b32_e32 v10, 0x7fff, v10
	v_and_b32_e32 v10, 0xffff, v10
	s_delay_alu instid0(VALU_DEP_1) | instskip(NEXT) | instid1(VALU_DEP_1)
	v_lshrrev_b32_e32 v10, s57, v10
	v_and_b32_e32 v10, s43, v10
	s_delay_alu instid0(VALU_DEP_1) | instskip(SKIP_2) | instid1(SALU_CYCLE_1)
	v_lshl_or_b32 v10, v10, 4, v11
	ds_add_u32 v10, v98
	s_or_b32 exec_lo, exec_lo, s8
	s_mov_b32 s8, exec_lo
	v_cmpx_lt_u32_e64 v62, v0
	s_cbranch_execnz .LBB948_651
.LBB948_666:                            ;   in Loop: Header=BB948_614 Depth=2
	s_or_b32 exec_lo, exec_lo, s8
	s_delay_alu instid0(SALU_CYCLE_1)
	s_mov_b32 s8, exec_lo
	v_cmpx_lt_u32_e64 v63, v0
	s_cbranch_execz .LBB948_652
.LBB948_667:                            ;   in Loop: Header=BB948_614 Depth=2
	s_waitcnt vmcnt(6)
	v_lshrrev_b32_e32 v10, 16, v8
	s_waitcnt vmcnt(5)
	v_lshlrev_b32_e32 v11, 2, v51
	s_delay_alu instid0(VALU_DEP_2) | instskip(NEXT) | instid1(VALU_DEP_1)
	v_xor_b32_e32 v10, 0x7fff, v10
	v_and_b32_e32 v10, 0xffff, v10
	s_delay_alu instid0(VALU_DEP_1) | instskip(NEXT) | instid1(VALU_DEP_1)
	v_lshrrev_b32_e32 v10, s57, v10
	v_and_b32_e32 v10, s43, v10
	s_delay_alu instid0(VALU_DEP_1) | instskip(SKIP_2) | instid1(SALU_CYCLE_1)
	v_lshl_or_b32 v10, v10, 4, v11
	ds_add_u32 v10, v98
	s_or_b32 exec_lo, exec_lo, s8
	s_mov_b32 s8, exec_lo
	v_cmpx_lt_u32_e64 v64, v0
	s_cbranch_execnz .LBB948_653
.LBB948_668:                            ;   in Loop: Header=BB948_614 Depth=2
	s_or_b32 exec_lo, exec_lo, s8
	s_delay_alu instid0(SALU_CYCLE_1)
	s_mov_b32 s8, exec_lo
	v_cmpx_lt_u32_e64 v66, v0
	s_cbranch_execz .LBB948_613
.LBB948_669:                            ;   in Loop: Header=BB948_614 Depth=2
	v_lshrrev_b32_e32 v0, 16, v9
	s_waitcnt vmcnt(6)
	v_lshlrev_b32_e32 v10, 2, v51
	s_delay_alu instid0(VALU_DEP_2) | instskip(NEXT) | instid1(VALU_DEP_1)
	v_xor_b32_e32 v0, 0x7fff, v0
	v_and_b32_e32 v0, 0xffff, v0
	s_delay_alu instid0(VALU_DEP_1) | instskip(NEXT) | instid1(VALU_DEP_1)
	v_lshrrev_b32_e32 v0, s57, v0
	v_and_b32_e32 v0, s43, v0
	s_delay_alu instid0(VALU_DEP_1)
	v_lshl_or_b32 v0, v0, 4, v10
	ds_add_u32 v0, v98
	s_branch .LBB948_613
.LBB948_670:                            ;   in Loop: Header=BB948_614 Depth=2
	s_or_b32 exec_lo, exec_lo, s11
	s_delay_alu instid0(SALU_CYCLE_1)
	s_mov_b32 s11, exec_lo
	v_cmpx_gt_u32_e64 s1, v48
	s_cbranch_execz .LBB948_620
.LBB948_671:                            ;   in Loop: Header=BB948_614 Depth=2
	global_load_d16_hi_b16 v2, v99, s[8:9] offset:512
	s_or_b32 exec_lo, exec_lo, s11
	s_delay_alu instid0(SALU_CYCLE_1)
	s_mov_b32 s11, exec_lo
	v_cmpx_gt_u32_e64 s1, v49
	s_cbranch_execnz .LBB948_621
.LBB948_672:                            ;   in Loop: Header=BB948_614 Depth=2
	s_or_b32 exec_lo, exec_lo, s11
	s_delay_alu instid0(SALU_CYCLE_1)
	s_mov_b32 s11, exec_lo
	v_cmpx_gt_u32_e64 s1, v50
	s_cbranch_execz .LBB948_622
.LBB948_673:                            ;   in Loop: Header=BB948_614 Depth=2
	global_load_d16_hi_b16 v3, v99, s[8:9] offset:1536
	s_or_b32 exec_lo, exec_lo, s11
	s_delay_alu instid0(SALU_CYCLE_1)
	s_mov_b32 s11, exec_lo
	v_cmpx_gt_u32_e64 s1, v54
	s_cbranch_execnz .LBB948_623
.LBB948_674:                            ;   in Loop: Header=BB948_614 Depth=2
	s_or_b32 exec_lo, exec_lo, s11
	s_delay_alu instid0(SALU_CYCLE_1)
	s_mov_b32 s11, exec_lo
	v_cmpx_gt_u32_e64 s1, v55
	s_cbranch_execz .LBB948_624
.LBB948_675:                            ;   in Loop: Header=BB948_614 Depth=2
	global_load_d16_hi_b16 v4, v99, s[8:9] offset:2560
	s_or_b32 exec_lo, exec_lo, s11
	s_delay_alu instid0(SALU_CYCLE_1)
	s_mov_b32 s11, exec_lo
	v_cmpx_gt_u32_e64 s1, v56
	s_cbranch_execnz .LBB948_625
.LBB948_676:                            ;   in Loop: Header=BB948_614 Depth=2
	s_or_b32 exec_lo, exec_lo, s11
	s_delay_alu instid0(SALU_CYCLE_1)
	s_mov_b32 s11, exec_lo
	v_cmpx_gt_u32_e64 s1, v57
	s_cbranch_execz .LBB948_626
.LBB948_677:                            ;   in Loop: Header=BB948_614 Depth=2
	global_load_d16_hi_b16 v5, v99, s[8:9] offset:3584
	s_or_b32 exec_lo, exec_lo, s11
	s_delay_alu instid0(SALU_CYCLE_1)
	s_mov_b32 s11, exec_lo
	v_cmpx_gt_u32_e64 s1, v58
	s_cbranch_execnz .LBB948_627
.LBB948_678:                            ;   in Loop: Header=BB948_614 Depth=2
	s_or_b32 exec_lo, exec_lo, s11
	s_delay_alu instid0(SALU_CYCLE_1)
	s_mov_b32 s11, exec_lo
	v_cmpx_gt_u32_e64 s1, v59
	s_cbranch_execz .LBB948_628
.LBB948_679:                            ;   in Loop: Header=BB948_614 Depth=2
	v_lshlrev_b32_e32 v0, 1, v59
	global_load_d16_hi_b16 v6, v0, s[8:9]
	s_or_b32 exec_lo, exec_lo, s11
	s_delay_alu instid0(SALU_CYCLE_1)
	s_mov_b32 s11, exec_lo
	v_cmpx_gt_u32_e64 s1, v60
	s_cbranch_execnz .LBB948_629
.LBB948_680:                            ;   in Loop: Header=BB948_614 Depth=2
	s_or_b32 exec_lo, exec_lo, s11
	s_delay_alu instid0(SALU_CYCLE_1)
	s_mov_b32 s11, exec_lo
	v_cmpx_gt_u32_e64 s1, v61
	s_cbranch_execz .LBB948_630
.LBB948_681:                            ;   in Loop: Header=BB948_614 Depth=2
	v_lshlrev_b32_e32 v0, 1, v61
	global_load_d16_hi_b16 v7, v0, s[8:9]
	s_or_b32 exec_lo, exec_lo, s11
	s_delay_alu instid0(SALU_CYCLE_1)
	s_mov_b32 s11, exec_lo
	v_cmpx_gt_u32_e64 s1, v62
	s_cbranch_execnz .LBB948_631
.LBB948_682:                            ;   in Loop: Header=BB948_614 Depth=2
	s_or_b32 exec_lo, exec_lo, s11
	s_delay_alu instid0(SALU_CYCLE_1)
	s_mov_b32 s11, exec_lo
	v_cmpx_gt_u32_e64 s1, v63
	s_cbranch_execz .LBB948_632
.LBB948_683:                            ;   in Loop: Header=BB948_614 Depth=2
	v_lshlrev_b32_e32 v0, 1, v63
	global_load_d16_hi_b16 v8, v0, s[8:9]
	s_or_b32 exec_lo, exec_lo, s11
	s_delay_alu instid0(SALU_CYCLE_1)
	s_mov_b32 s11, exec_lo
	v_cmpx_gt_u32_e64 s1, v64
	s_cbranch_execz .LBB948_634
	s_branch .LBB948_633
.LBB948_684:                            ;   in Loop: Header=BB948_20 Depth=1
	v_mov_b32_e32 v0, 0
	s_waitcnt vmcnt(0) lgkmcnt(0)
	s_barrier
	buffer_gl0_inv
	s_and_saveexec_b32 s1, s2
	s_cbranch_execz .LBB948_686
; %bb.685:                              ;   in Loop: Header=BB948_20 Depth=1
	ds_load_2addr_b64 v[2:5], v67 offset1:1
	s_waitcnt lgkmcnt(0)
	v_add_nc_u32_e32 v0, v3, v2
	s_delay_alu instid0(VALU_DEP_1)
	v_add3_u32 v0, v0, v4, v5
.LBB948_686:                            ;   in Loop: Header=BB948_20 Depth=1
	s_or_b32 exec_lo, exec_lo, s1
	v_and_b32_e32 v2, 15, v100
	s_delay_alu instid0(VALU_DEP_2) | instskip(SKIP_1) | instid1(VALU_DEP_3)
	v_mov_b32_dpp v3, v0 row_shr:1 row_mask:0xf bank_mask:0xf
	v_and_b32_e32 v4, 16, v100
	v_cmp_eq_u32_e64 s1, 0, v2
	v_cmp_lt_u32_e64 s7, 1, v2
	v_cmp_lt_u32_e64 s8, 3, v2
	;; [unrolled: 1-line block ×3, first 2 shown]
	v_cmp_eq_u32_e64 s10, 0, v4
	v_cndmask_b32_e64 v3, v3, 0, s1
	s_delay_alu instid0(VALU_DEP_1) | instskip(NEXT) | instid1(VALU_DEP_1)
	v_add_nc_u32_e32 v0, v3, v0
	v_mov_b32_dpp v3, v0 row_shr:2 row_mask:0xf bank_mask:0xf
	s_delay_alu instid0(VALU_DEP_1) | instskip(NEXT) | instid1(VALU_DEP_1)
	v_cndmask_b32_e64 v3, 0, v3, s7
	v_add_nc_u32_e32 v0, v0, v3
	s_delay_alu instid0(VALU_DEP_1) | instskip(NEXT) | instid1(VALU_DEP_1)
	v_mov_b32_dpp v3, v0 row_shr:4 row_mask:0xf bank_mask:0xf
	v_cndmask_b32_e64 v3, 0, v3, s8
	s_delay_alu instid0(VALU_DEP_1) | instskip(NEXT) | instid1(VALU_DEP_1)
	v_add_nc_u32_e32 v0, v0, v3
	v_mov_b32_dpp v3, v0 row_shr:8 row_mask:0xf bank_mask:0xf
	s_delay_alu instid0(VALU_DEP_1) | instskip(SKIP_1) | instid1(VALU_DEP_2)
	v_cndmask_b32_e64 v2, 0, v3, s9
	v_bfe_i32 v3, v100, 4, 1
	v_add_nc_u32_e32 v0, v0, v2
	ds_swizzle_b32 v2, v0 offset:swizzle(BROADCAST,32,15)
	s_waitcnt lgkmcnt(0)
	v_and_b32_e32 v2, v3, v2
	s_delay_alu instid0(VALU_DEP_1)
	v_add_nc_u32_e32 v2, v0, v2
	s_and_saveexec_b32 s11, s3
	s_cbranch_execz .LBB948_688
; %bb.687:                              ;   in Loop: Header=BB948_20 Depth=1
	ds_store_b32 v68, v2
.LBB948_688:                            ;   in Loop: Header=BB948_20 Depth=1
	s_or_b32 exec_lo, exec_lo, s11
	v_and_b32_e32 v0, 7, v100
	s_waitcnt lgkmcnt(0)
	s_barrier
	buffer_gl0_inv
	s_and_saveexec_b32 s11, s4
	s_cbranch_execz .LBB948_690
; %bb.689:                              ;   in Loop: Header=BB948_20 Depth=1
	ds_load_b32 v3, v69
	v_cmp_ne_u32_e32 vcc_lo, 0, v0
	s_waitcnt lgkmcnt(0)
	v_mov_b32_dpp v4, v3 row_shr:1 row_mask:0xf bank_mask:0xf
	s_delay_alu instid0(VALU_DEP_1) | instskip(SKIP_1) | instid1(VALU_DEP_2)
	v_cndmask_b32_e32 v4, 0, v4, vcc_lo
	v_cmp_lt_u32_e32 vcc_lo, 1, v0
	v_add_nc_u32_e32 v3, v4, v3
	s_delay_alu instid0(VALU_DEP_1) | instskip(NEXT) | instid1(VALU_DEP_1)
	v_mov_b32_dpp v4, v3 row_shr:2 row_mask:0xf bank_mask:0xf
	v_cndmask_b32_e32 v4, 0, v4, vcc_lo
	v_cmp_lt_u32_e32 vcc_lo, 3, v0
	s_delay_alu instid0(VALU_DEP_2) | instskip(NEXT) | instid1(VALU_DEP_1)
	v_add_nc_u32_e32 v3, v3, v4
	v_mov_b32_dpp v4, v3 row_shr:4 row_mask:0xf bank_mask:0xf
	s_delay_alu instid0(VALU_DEP_1) | instskip(NEXT) | instid1(VALU_DEP_1)
	v_cndmask_b32_e32 v4, 0, v4, vcc_lo
	v_add_nc_u32_e32 v3, v3, v4
	ds_store_b32 v69, v3
.LBB948_690:                            ;   in Loop: Header=BB948_20 Depth=1
	s_or_b32 exec_lo, exec_lo, s11
	v_mov_b32_e32 v3, 0
	s_waitcnt lgkmcnt(0)
	s_barrier
	buffer_gl0_inv
	s_and_saveexec_b32 s11, s5
	s_cbranch_execz .LBB948_692
; %bb.691:                              ;   in Loop: Header=BB948_20 Depth=1
	ds_load_b32 v3, v70
.LBB948_692:                            ;   in Loop: Header=BB948_20 Depth=1
	s_or_b32 exec_lo, exec_lo, s11
	v_add_nc_u32_e32 v4, -1, v100
	s_waitcnt lgkmcnt(0)
	v_add_nc_u32_e32 v2, v3, v2
	v_cmp_eq_u32_e64 s11, 0, v100
	s_barrier
	v_cmp_gt_i32_e32 vcc_lo, 0, v4
	buffer_gl0_inv
	v_cndmask_b32_e32 v4, v4, v100, vcc_lo
	s_delay_alu instid0(VALU_DEP_1)
	v_lshlrev_b32_e32 v101, 2, v4
	ds_bpermute_b32 v2, v101, v2
	s_and_saveexec_b32 s12, s2
	s_cbranch_execz .LBB948_694
; %bb.693:                              ;   in Loop: Header=BB948_20 Depth=1
	s_waitcnt lgkmcnt(0)
	v_cndmask_b32_e64 v2, v2, v3, s11
	s_delay_alu instid0(VALU_DEP_1)
	v_add_nc_u32_e32 v2, s62, v2
	ds_store_b32 v47, v2
.LBB948_694:                            ;   in Loop: Header=BB948_20 Depth=1
	s_or_b32 exec_lo, exec_lo, s12
	s_load_b64 s[12:13], s[60:61], 0x0
	v_lshlrev_b32_e32 v3, 3, v100
	v_or_b32_e32 v102, v100, v71
	s_mov_b32 s56, s64
	s_mov_b32 s34, s62
                                        ; implicit-def: $vgpr10_vgpr11
                                        ; implicit-def: $vgpr12_vgpr13
                                        ; implicit-def: $vgpr14_vgpr15
                                        ; implicit-def: $vgpr16_vgpr17
                                        ; implicit-def: $vgpr21_vgpr22
                                        ; implicit-def: $vgpr23_vgpr24
                                        ; implicit-def: $vgpr25_vgpr26
                                        ; implicit-def: $vgpr27_vgpr28
                                        ; implicit-def: $vgpr29_vgpr30
                                        ; implicit-def: $vgpr31_vgpr32
                                        ; implicit-def: $vgpr33_vgpr34
                                        ; implicit-def: $vgpr35_vgpr36
                                        ; implicit-def: $vgpr37_vgpr38
                                        ; implicit-def: $vgpr39_vgpr40
                                        ; implicit-def: $vgpr41_vgpr42
                                        ; implicit-def: $vgpr43_vgpr44
                                        ; implicit-def: $vgpr125
                                        ; implicit-def: $vgpr126
                                        ; implicit-def: $vgpr127
                                        ; implicit-def: $vgpr128
                                        ; implicit-def: $vgpr129
                                        ; implicit-def: $vgpr130
                                        ; implicit-def: $vgpr131
                                        ; implicit-def: $vgpr132
                                        ; implicit-def: $vgpr133
                                        ; implicit-def: $vgpr134
                                        ; implicit-def: $vgpr135
                                        ; implicit-def: $vgpr136
                                        ; implicit-def: $vgpr137
                                        ; implicit-def: $vgpr138
                                        ; implicit-def: $vgpr139
                                        ; implicit-def: $vgpr140
                                        ; implicit-def: $vgpr9
	s_delay_alu instid0(VALU_DEP_2)
	v_add_co_u32 v103, vcc_lo, v94, v3
	v_add_co_ci_u32_e32 v104, vcc_lo, 0, v95, vcc_lo
	v_or_b32_e32 v105, 32, v102
	v_or_b32_e32 v106, 64, v102
	;; [unrolled: 1-line block ×10, first 2 shown]
	s_waitcnt lgkmcnt(0)
	s_cmp_lt_u32 s15, s13
	v_or_b32_e32 v115, 0x160, v102
	s_cselect_b32 s13, 14, 20
	v_or_b32_e32 v116, 0x180, v102
	s_add_u32 s16, s60, s13
	s_addc_u32 s17, s61, 0
	s_cmp_lt_u32 s14, s12
	global_load_u16 v2, v20, s[16:17]
	s_cselect_b32 s12, 12, 18
	v_or_b32_e32 v117, 0x1a0, v102
	s_add_u32 s12, s60, s12
	s_addc_u32 s13, s61, 0
	v_or_b32_e32 v118, 0x1c0, v102
	global_load_u16 v4, v20, s[12:13]
	v_cmp_eq_u32_e64 s12, 0, v0
	v_cmp_lt_u32_e64 s13, 1, v0
	v_cmp_lt_u32_e64 s16, 3, v0
	v_lshlrev_b32_e32 v0, 1, v100
	v_or_b32_e32 v119, 0x1e0, v102
	s_delay_alu instid0(VALU_DEP_2) | instskip(SKIP_1) | instid1(VALU_DEP_2)
	v_add_co_u32 v120, vcc_lo, v96, v0
	v_add_co_ci_u32_e32 v121, vcc_lo, 0, v97, vcc_lo
	v_add_co_u32 v123, vcc_lo, 0x3c0, v120
	s_delay_alu instid0(VALU_DEP_2) | instskip(SKIP_3) | instid1(VALU_DEP_1)
	v_add_co_ci_u32_e32 v124, vcc_lo, 0, v121, vcc_lo
	s_waitcnt vmcnt(1)
	v_mad_u32_u24 v5, v72, v2, v74
	s_waitcnt vmcnt(0)
	v_mad_u64_u32 v[2:3], null, v5, v4, v[18:19]
	s_delay_alu instid0(VALU_DEP_1)
	v_lshrrev_b32_e32 v122, 5, v2
	s_branch .LBB948_696
.LBB948_695:                            ;   in Loop: Header=BB948_696 Depth=2
	s_or_b32 exec_lo, exec_lo, s17
	s_addk_i32 s56, 0xf000
	s_cmp_lt_u32 s65, s63
	s_mov_b32 s34, s65
	s_cbranch_scc0 .LBB948_904
.LBB948_696:                            ;   Parent Loop BB948_20 Depth=1
                                        ; =>  This Inner Loop Header: Depth=2
	s_add_i32 s65, s34, 0x1000
	s_delay_alu instid0(SALU_CYCLE_1)
	s_cmp_gt_u32 s65, s63
	s_cbranch_scc1 .LBB948_698
; %bb.697:                              ;   in Loop: Header=BB948_696 Depth=2
	s_mov_b32 s19, 0
	s_mov_b32 s18, s34
	s_movk_i32 s17, 0x1000
	s_lshl_b64 s[20:21], s[18:19], 1
	s_delay_alu instid0(SALU_CYCLE_1)
	v_add_co_u32 v45, vcc_lo, v120, s20
	v_add_co_ci_u32_e32 v46, vcc_lo, s21, v121, vcc_lo
	s_mov_b32 s20, -1
	s_clause 0xe
	global_load_u16 v2, v[45:46], off
	global_load_u16 v3, v[45:46], off offset:128
	global_load_u16 v4, v[45:46], off offset:256
	;; [unrolled: 1-line block ×6, first 2 shown]
	global_load_d16_b16 v9, v[45:46], off offset:896
	global_load_d16_hi_b16 v2, v[45:46], off offset:64
	global_load_d16_hi_b16 v3, v[45:46], off offset:192
	;; [unrolled: 1-line block ×7, first 2 shown]
	s_cbranch_execz .LBB948_699
	s_branch .LBB948_716
.LBB948_698:                            ;   in Loop: Header=BB948_696 Depth=2
	s_mov_b32 s19, -1
	s_mov_b32 s20, 0
                                        ; implicit-def: $sgpr17
                                        ; implicit-def: $vgpr2_vgpr3_vgpr4_vgpr5_vgpr6_vgpr7_vgpr8_vgpr9
.LBB948_699:                            ;   in Loop: Header=BB948_696 Depth=2
	s_lshl_b64 s[18:19], s[34:35], 1
	s_mov_b32 s45, s44
	v_add_co_u32 v45, vcc_lo, v120, s18
	s_mov_b32 s46, s44
	s_mov_b32 s47, s44
	s_mov_b32 s48, s44
	s_mov_b32 s49, s44
	s_mov_b32 s50, s44
	s_mov_b32 s51, s44
	s_waitcnt vmcnt(0)
	v_dual_mov_b32 v2, s44 :: v_dual_mov_b32 v3, s45
	v_add_co_ci_u32_e32 v46, vcc_lo, s19, v121, vcc_lo
	v_dual_mov_b32 v4, s46 :: v_dual_mov_b32 v5, s47
	v_dual_mov_b32 v6, s48 :: v_dual_mov_b32 v7, s49
	;; [unrolled: 1-line block ×3, first 2 shown]
	s_mov_b32 s17, exec_lo
	v_cmpx_gt_u32_e64 s56, v102
	s_cbranch_execz .LBB948_890
; %bb.700:                              ;   in Loop: Header=BB948_696 Depth=2
	v_bfrev_b32_e32 v0, 1
	v_mov_b32_e32 v7, v1
	v_mov_b32_e32 v2, v1
	;; [unrolled: 1-line block ×4, first 2 shown]
	global_load_d16_b16 v0, v[45:46], off
	v_mov_b32_e32 v5, v1
	v_mov_b32_e32 v6, v1
	s_waitcnt vmcnt(0)
	v_mov_b32_e32 v9, v7
	s_delay_alu instid0(VALU_DEP_2)
	v_dual_mov_b32 v8, v6 :: v_dual_mov_b32 v7, v5
	v_mov_b32_e32 v6, v4
	v_mov_b32_e32 v5, v3
	;; [unrolled: 1-line block ×5, first 2 shown]
	s_or_b32 exec_lo, exec_lo, s17
	s_delay_alu instid0(SALU_CYCLE_1)
	s_mov_b32 s17, exec_lo
	v_cmpx_gt_u32_e64 s56, v105
	s_cbranch_execnz .LBB948_891
.LBB948_701:                            ;   in Loop: Header=BB948_696 Depth=2
	s_or_b32 exec_lo, exec_lo, s17
	s_delay_alu instid0(SALU_CYCLE_1)
	s_mov_b32 s17, exec_lo
	v_cmpx_gt_u32_e64 s56, v106
	s_cbranch_execz .LBB948_892
.LBB948_702:                            ;   in Loop: Header=BB948_696 Depth=2
	global_load_d16_b16 v3, v[45:46], off offset:128
	s_or_b32 exec_lo, exec_lo, s17
	s_delay_alu instid0(SALU_CYCLE_1)
	s_mov_b32 s17, exec_lo
	v_cmpx_gt_u32_e64 s56, v107
	s_cbranch_execnz .LBB948_893
.LBB948_703:                            ;   in Loop: Header=BB948_696 Depth=2
	s_or_b32 exec_lo, exec_lo, s17
	s_delay_alu instid0(SALU_CYCLE_1)
	s_mov_b32 s17, exec_lo
	v_cmpx_gt_u32_e64 s56, v108
	s_cbranch_execz .LBB948_894
.LBB948_704:                            ;   in Loop: Header=BB948_696 Depth=2
	global_load_d16_b16 v4, v[45:46], off offset:256
	s_or_b32 exec_lo, exec_lo, s17
	s_delay_alu instid0(SALU_CYCLE_1)
	s_mov_b32 s17, exec_lo
	v_cmpx_gt_u32_e64 s56, v109
	s_cbranch_execnz .LBB948_895
.LBB948_705:                            ;   in Loop: Header=BB948_696 Depth=2
	s_or_b32 exec_lo, exec_lo, s17
	s_delay_alu instid0(SALU_CYCLE_1)
	s_mov_b32 s17, exec_lo
	v_cmpx_gt_u32_e64 s56, v110
	s_cbranch_execz .LBB948_896
.LBB948_706:                            ;   in Loop: Header=BB948_696 Depth=2
	global_load_d16_b16 v5, v[45:46], off offset:384
	s_or_b32 exec_lo, exec_lo, s17
	s_delay_alu instid0(SALU_CYCLE_1)
	s_mov_b32 s17, exec_lo
	v_cmpx_gt_u32_e64 s56, v111
	s_cbranch_execnz .LBB948_897
.LBB948_707:                            ;   in Loop: Header=BB948_696 Depth=2
	s_or_b32 exec_lo, exec_lo, s17
	s_delay_alu instid0(SALU_CYCLE_1)
	s_mov_b32 s17, exec_lo
	v_cmpx_gt_u32_e64 s56, v112
	s_cbranch_execz .LBB948_898
.LBB948_708:                            ;   in Loop: Header=BB948_696 Depth=2
	global_load_d16_b16 v6, v[45:46], off offset:512
	s_or_b32 exec_lo, exec_lo, s17
	s_delay_alu instid0(SALU_CYCLE_1)
	s_mov_b32 s17, exec_lo
	v_cmpx_gt_u32_e64 s56, v113
	s_cbranch_execnz .LBB948_899
.LBB948_709:                            ;   in Loop: Header=BB948_696 Depth=2
	s_or_b32 exec_lo, exec_lo, s17
	s_delay_alu instid0(SALU_CYCLE_1)
	s_mov_b32 s17, exec_lo
	v_cmpx_gt_u32_e64 s56, v114
	s_cbranch_execz .LBB948_900
.LBB948_710:                            ;   in Loop: Header=BB948_696 Depth=2
	global_load_d16_b16 v7, v[45:46], off offset:640
	s_or_b32 exec_lo, exec_lo, s17
	s_delay_alu instid0(SALU_CYCLE_1)
	s_mov_b32 s17, exec_lo
	v_cmpx_gt_u32_e64 s56, v115
	s_cbranch_execnz .LBB948_901
.LBB948_711:                            ;   in Loop: Header=BB948_696 Depth=2
	s_or_b32 exec_lo, exec_lo, s17
	s_delay_alu instid0(SALU_CYCLE_1)
	s_mov_b32 s17, exec_lo
	v_cmpx_gt_u32_e64 s56, v116
	s_cbranch_execz .LBB948_902
.LBB948_712:                            ;   in Loop: Header=BB948_696 Depth=2
	global_load_d16_b16 v8, v[45:46], off offset:768
	s_or_b32 exec_lo, exec_lo, s17
	s_delay_alu instid0(SALU_CYCLE_1)
	s_mov_b32 s17, exec_lo
	v_cmpx_gt_u32_e64 s56, v117
	s_cbranch_execnz .LBB948_903
.LBB948_713:                            ;   in Loop: Header=BB948_696 Depth=2
	s_or_b32 exec_lo, exec_lo, s17
	s_delay_alu instid0(SALU_CYCLE_1)
	s_mov_b32 s17, exec_lo
	v_cmpx_gt_u32_e64 s56, v118
	s_cbranch_execz .LBB948_715
.LBB948_714:                            ;   in Loop: Header=BB948_696 Depth=2
	global_load_d16_b16 v9, v[45:46], off offset:896
.LBB948_715:                            ;   in Loop: Header=BB948_696 Depth=2
	s_or_b32 exec_lo, exec_lo, s17
	v_cmp_gt_u32_e64 s20, s56, v119
	s_sub_i32 s17, s63, s34
	s_mov_b64 s[18:19], s[34:35]
.LBB948_716:                            ;   in Loop: Header=BB948_696 Depth=2
	v_mov_b32_e32 v0, s56
	s_delay_alu instid0(VALU_DEP_2)
	s_and_saveexec_b32 s21, s20
	s_cbranch_execz .LBB948_718
; %bb.717:                              ;   in Loop: Header=BB948_696 Depth=2
	s_lshl_b64 s[18:19], s[18:19], 1
	v_mov_b32_e32 v0, s17
	v_add_co_u32 v45, vcc_lo, v123, s18
	v_add_co_ci_u32_e32 v46, vcc_lo, s19, v124, vcc_lo
	global_load_d16_hi_b16 v9, v[45:46], off
.LBB948_718:                            ;   in Loop: Header=BB948_696 Depth=2
	s_or_b32 exec_lo, exec_lo, s21
	s_waitcnt vmcnt(0)
	v_xor_b32_e32 v19, 0x7fff7fff, v2
	ds_store_b32 v73, v20 offset:1056
	ds_store_2addr_b32 v75, v20, v20 offset0:1 offset1:2
	ds_store_2addr_b32 v75, v20, v20 offset0:3 offset1:4
	ds_store_2addr_b32 v75, v20, v20 offset0:5 offset1:6
	ds_store_2addr_b32 v75, v20, v20 offset0:7 offset1:8
	s_waitcnt lgkmcnt(0)
	s_barrier
	v_and_b32_e32 v2, 0xffff, v19
	buffer_gl0_inv
	; wave barrier
	v_lshrrev_b32_e32 v2, s57, v2
	s_delay_alu instid0(VALU_DEP_1) | instskip(NEXT) | instid1(VALU_DEP_1)
	v_and_b32_e32 v45, s43, v2
	v_and_b32_e32 v2, 1, v45
	v_lshlrev_b32_e32 v46, 30, v45
	v_lshlrev_b32_e32 v141, 29, v45
	;; [unrolled: 1-line block ×4, first 2 shown]
	v_add_co_u32 v2, s17, v2, -1
	s_delay_alu instid0(VALU_DEP_1)
	v_cndmask_b32_e64 v143, 0, 1, s17
	v_not_b32_e32 v147, v46
	v_cmp_gt_i32_e64 s17, 0, v46
	v_not_b32_e32 v46, v141
	v_lshlrev_b32_e32 v145, 26, v45
	v_cmp_ne_u32_e32 vcc_lo, 0, v143
	v_ashrrev_i32_e32 v147, 31, v147
	v_lshlrev_b32_e32 v146, 25, v45
	v_ashrrev_i32_e32 v46, 31, v46
	v_lshlrev_b32_e32 v143, 24, v45
	v_xor_b32_e32 v2, vcc_lo, v2
	v_cmp_gt_i32_e32 vcc_lo, 0, v141
	v_not_b32_e32 v141, v142
	v_xor_b32_e32 v147, s17, v147
	v_cmp_gt_i32_e64 s17, 0, v142
	v_and_b32_e32 v2, exec_lo, v2
	v_not_b32_e32 v142, v144
	v_ashrrev_i32_e32 v141, 31, v141
	v_xor_b32_e32 v46, vcc_lo, v46
	v_cmp_gt_i32_e32 vcc_lo, 0, v144
	v_and_b32_e32 v2, v2, v147
	v_not_b32_e32 v144, v145
	v_ashrrev_i32_e32 v142, 31, v142
	v_xor_b32_e32 v141, s17, v141
	v_cmp_gt_i32_e64 s17, 0, v145
	v_and_b32_e32 v2, v2, v46
	v_not_b32_e32 v46, v146
	v_ashrrev_i32_e32 v144, 31, v144
	v_xor_b32_e32 v142, vcc_lo, v142
	v_cmp_gt_i32_e32 vcc_lo, 0, v146
	v_and_b32_e32 v2, v2, v141
	v_not_b32_e32 v141, v143
	v_ashrrev_i32_e32 v46, 31, v46
	v_xor_b32_e32 v144, s17, v144
	v_cmp_gt_i32_e64 s17, 0, v143
	v_and_b32_e32 v2, v2, v142
	v_ashrrev_i32_e32 v141, 31, v141
	v_xor_b32_e32 v46, vcc_lo, v46
	v_mad_u32_u24 v45, v45, 9, v122
	s_delay_alu instid0(VALU_DEP_4) | instskip(NEXT) | instid1(VALU_DEP_4)
	v_and_b32_e32 v2, v2, v144
	v_xor_b32_e32 v141, s17, v141
	s_delay_alu instid0(VALU_DEP_3) | instskip(NEXT) | instid1(VALU_DEP_3)
	v_lshl_add_u32 v143, v45, 2, 0x420
	v_and_b32_e32 v2, v2, v46
	s_delay_alu instid0(VALU_DEP_1) | instskip(NEXT) | instid1(VALU_DEP_1)
	v_and_b32_e32 v2, v2, v141
	v_mbcnt_lo_u32_b32 v141, v2, 0
	v_cmp_ne_u32_e64 s17, 0, v2
	s_delay_alu instid0(VALU_DEP_2) | instskip(NEXT) | instid1(VALU_DEP_2)
	v_cmp_eq_u32_e32 vcc_lo, 0, v141
	s_and_b32 s18, s17, vcc_lo
	s_delay_alu instid0(SALU_CYCLE_1)
	s_and_saveexec_b32 s17, s18
	s_cbranch_execz .LBB948_720
; %bb.719:                              ;   in Loop: Header=BB948_696 Depth=2
	v_bcnt_u32_b32 v2, v2, 0
	ds_store_b32 v143, v2
.LBB948_720:                            ;   in Loop: Header=BB948_696 Depth=2
	s_or_b32 exec_lo, exec_lo, s17
	v_lshrrev_b32_e32 v142, 16, v19
	; wave barrier
	s_delay_alu instid0(VALU_DEP_1) | instskip(NEXT) | instid1(VALU_DEP_1)
	v_lshrrev_b32_e32 v2, s57, v142
	v_and_b32_e32 v2, s43, v2
	s_delay_alu instid0(VALU_DEP_1)
	v_and_b32_e32 v45, 1, v2
	v_lshlrev_b32_e32 v46, 30, v2
	v_lshlrev_b32_e32 v144, 29, v2
	;; [unrolled: 1-line block ×4, first 2 shown]
	v_add_co_u32 v45, s17, v45, -1
	s_delay_alu instid0(VALU_DEP_1)
	v_cndmask_b32_e64 v146, 0, 1, s17
	v_not_b32_e32 v150, v46
	v_cmp_gt_i32_e64 s17, 0, v46
	v_not_b32_e32 v46, v144
	v_lshlrev_b32_e32 v148, 26, v2
	v_cmp_ne_u32_e32 vcc_lo, 0, v146
	v_ashrrev_i32_e32 v150, 31, v150
	v_lshlrev_b32_e32 v149, 25, v2
	v_ashrrev_i32_e32 v46, 31, v46
	v_lshlrev_b32_e32 v146, 24, v2
	v_xor_b32_e32 v45, vcc_lo, v45
	v_cmp_gt_i32_e32 vcc_lo, 0, v144
	v_not_b32_e32 v144, v145
	v_xor_b32_e32 v150, s17, v150
	v_cmp_gt_i32_e64 s17, 0, v145
	v_and_b32_e32 v45, exec_lo, v45
	v_not_b32_e32 v145, v147
	v_ashrrev_i32_e32 v144, 31, v144
	v_xor_b32_e32 v46, vcc_lo, v46
	v_cmp_gt_i32_e32 vcc_lo, 0, v147
	v_and_b32_e32 v45, v45, v150
	v_not_b32_e32 v147, v148
	v_ashrrev_i32_e32 v145, 31, v145
	v_xor_b32_e32 v144, s17, v144
	v_cmp_gt_i32_e64 s17, 0, v148
	v_and_b32_e32 v45, v45, v46
	v_not_b32_e32 v46, v149
	v_ashrrev_i32_e32 v147, 31, v147
	v_xor_b32_e32 v145, vcc_lo, v145
	v_cmp_gt_i32_e32 vcc_lo, 0, v149
	v_and_b32_e32 v45, v45, v144
	v_not_b32_e32 v144, v146
	v_ashrrev_i32_e32 v46, 31, v46
	v_xor_b32_e32 v147, s17, v147
	v_mul_u32_u24_e32 v2, 9, v2
	v_and_b32_e32 v45, v45, v145
	v_cmp_gt_i32_e64 s17, 0, v146
	v_ashrrev_i32_e32 v144, 31, v144
	v_xor_b32_e32 v46, vcc_lo, v46
	s_delay_alu instid0(VALU_DEP_4) | instskip(SKIP_1) | instid1(VALU_DEP_4)
	v_and_b32_e32 v45, v45, v147
	v_add_lshl_u32 v147, v2, v122, 2
	v_xor_b32_e32 v2, s17, v144
	s_delay_alu instid0(VALU_DEP_3) | instskip(SKIP_3) | instid1(VALU_DEP_1)
	v_and_b32_e32 v45, v45, v46
	ds_load_b32 v145, v147 offset:1056
	v_add_nc_u32_e32 v147, 0x420, v147
	; wave barrier
	v_and_b32_e32 v2, v45, v2
	v_mbcnt_lo_u32_b32 v146, v2, 0
	v_cmp_ne_u32_e64 s17, 0, v2
	s_delay_alu instid0(VALU_DEP_2) | instskip(NEXT) | instid1(VALU_DEP_2)
	v_cmp_eq_u32_e32 vcc_lo, 0, v146
	s_and_b32 s18, s17, vcc_lo
	s_delay_alu instid0(SALU_CYCLE_1)
	s_and_saveexec_b32 s17, s18
	s_cbranch_execz .LBB948_722
; %bb.721:                              ;   in Loop: Header=BB948_696 Depth=2
	s_waitcnt lgkmcnt(0)
	v_bcnt_u32_b32 v2, v2, v145
	ds_store_b32 v147, v2
.LBB948_722:                            ;   in Loop: Header=BB948_696 Depth=2
	s_or_b32 exec_lo, exec_lo, s17
	v_xor_b32_e32 v144, 0x7fff7fff, v3
	; wave barrier
	s_delay_alu instid0(VALU_DEP_1) | instskip(NEXT) | instid1(VALU_DEP_1)
	v_and_b32_e32 v2, 0xffff, v144
	v_lshrrev_b32_e32 v2, s57, v2
	s_delay_alu instid0(VALU_DEP_1) | instskip(NEXT) | instid1(VALU_DEP_1)
	v_and_b32_e32 v2, s43, v2
	v_and_b32_e32 v3, 1, v2
	v_lshlrev_b32_e32 v45, 30, v2
	v_lshlrev_b32_e32 v46, 29, v2
	;; [unrolled: 1-line block ×4, first 2 shown]
	v_add_co_u32 v3, s17, v3, -1
	s_delay_alu instid0(VALU_DEP_1)
	v_cndmask_b32_e64 v149, 0, 1, s17
	v_not_b32_e32 v153, v45
	v_cmp_gt_i32_e64 s17, 0, v45
	v_not_b32_e32 v45, v46
	v_lshlrev_b32_e32 v151, 26, v2
	v_cmp_ne_u32_e32 vcc_lo, 0, v149
	v_ashrrev_i32_e32 v153, 31, v153
	v_lshlrev_b32_e32 v152, 25, v2
	v_ashrrev_i32_e32 v45, 31, v45
	v_lshlrev_b32_e32 v149, 24, v2
	v_xor_b32_e32 v3, vcc_lo, v3
	v_cmp_gt_i32_e32 vcc_lo, 0, v46
	v_not_b32_e32 v46, v148
	v_xor_b32_e32 v153, s17, v153
	v_cmp_gt_i32_e64 s17, 0, v148
	v_and_b32_e32 v3, exec_lo, v3
	v_not_b32_e32 v148, v150
	v_ashrrev_i32_e32 v46, 31, v46
	v_xor_b32_e32 v45, vcc_lo, v45
	v_cmp_gt_i32_e32 vcc_lo, 0, v150
	v_and_b32_e32 v3, v3, v153
	v_not_b32_e32 v150, v151
	v_ashrrev_i32_e32 v148, 31, v148
	v_xor_b32_e32 v46, s17, v46
	v_cmp_gt_i32_e64 s17, 0, v151
	v_and_b32_e32 v3, v3, v45
	v_not_b32_e32 v45, v152
	v_ashrrev_i32_e32 v150, 31, v150
	v_xor_b32_e32 v148, vcc_lo, v148
	v_cmp_gt_i32_e32 vcc_lo, 0, v152
	v_and_b32_e32 v3, v3, v46
	v_not_b32_e32 v46, v149
	v_ashrrev_i32_e32 v45, 31, v45
	v_xor_b32_e32 v150, s17, v150
	v_mul_u32_u24_e32 v2, 9, v2
	v_and_b32_e32 v3, v3, v148
	v_cmp_gt_i32_e64 s17, 0, v149
	v_ashrrev_i32_e32 v46, 31, v46
	v_xor_b32_e32 v45, vcc_lo, v45
	v_add_lshl_u32 v148, v2, v122, 2
	v_and_b32_e32 v3, v3, v150
	s_delay_alu instid0(VALU_DEP_4) | instskip(SKIP_3) | instid1(VALU_DEP_2)
	v_xor_b32_e32 v2, s17, v46
	ds_load_b32 v149, v148 offset:1056
	v_and_b32_e32 v3, v3, v45
	v_add_nc_u32_e32 v151, 0x420, v148
	; wave barrier
	v_and_b32_e32 v2, v3, v2
	s_delay_alu instid0(VALU_DEP_1) | instskip(SKIP_1) | instid1(VALU_DEP_2)
	v_mbcnt_lo_u32_b32 v150, v2, 0
	v_cmp_ne_u32_e64 s17, 0, v2
	v_cmp_eq_u32_e32 vcc_lo, 0, v150
	s_delay_alu instid0(VALU_DEP_2) | instskip(NEXT) | instid1(SALU_CYCLE_1)
	s_and_b32 s18, s17, vcc_lo
	s_and_saveexec_b32 s17, s18
	s_cbranch_execz .LBB948_724
; %bb.723:                              ;   in Loop: Header=BB948_696 Depth=2
	s_waitcnt lgkmcnt(0)
	v_bcnt_u32_b32 v2, v2, v149
	ds_store_b32 v151, v2
.LBB948_724:                            ;   in Loop: Header=BB948_696 Depth=2
	s_or_b32 exec_lo, exec_lo, s17
	v_lshrrev_b32_e32 v148, 16, v144
	; wave barrier
	s_delay_alu instid0(VALU_DEP_1) | instskip(NEXT) | instid1(VALU_DEP_1)
	v_lshrrev_b32_e32 v2, s57, v148
	v_and_b32_e32 v2, s43, v2
	s_delay_alu instid0(VALU_DEP_1)
	v_and_b32_e32 v3, 1, v2
	v_lshlrev_b32_e32 v45, 30, v2
	v_lshlrev_b32_e32 v46, 29, v2
	;; [unrolled: 1-line block ×4, first 2 shown]
	v_add_co_u32 v3, s17, v3, -1
	s_delay_alu instid0(VALU_DEP_1)
	v_cndmask_b32_e64 v153, 0, 1, s17
	v_not_b32_e32 v157, v45
	v_cmp_gt_i32_e64 s17, 0, v45
	v_not_b32_e32 v45, v46
	v_lshlrev_b32_e32 v155, 26, v2
	v_cmp_ne_u32_e32 vcc_lo, 0, v153
	v_ashrrev_i32_e32 v157, 31, v157
	v_lshlrev_b32_e32 v156, 25, v2
	v_ashrrev_i32_e32 v45, 31, v45
	v_lshlrev_b32_e32 v153, 24, v2
	v_xor_b32_e32 v3, vcc_lo, v3
	v_cmp_gt_i32_e32 vcc_lo, 0, v46
	v_not_b32_e32 v46, v152
	v_xor_b32_e32 v157, s17, v157
	v_cmp_gt_i32_e64 s17, 0, v152
	v_and_b32_e32 v3, exec_lo, v3
	v_not_b32_e32 v152, v154
	v_ashrrev_i32_e32 v46, 31, v46
	v_xor_b32_e32 v45, vcc_lo, v45
	v_cmp_gt_i32_e32 vcc_lo, 0, v154
	v_and_b32_e32 v3, v3, v157
	v_not_b32_e32 v154, v155
	v_ashrrev_i32_e32 v152, 31, v152
	v_xor_b32_e32 v46, s17, v46
	v_cmp_gt_i32_e64 s17, 0, v155
	v_and_b32_e32 v3, v3, v45
	v_not_b32_e32 v45, v156
	v_ashrrev_i32_e32 v154, 31, v154
	v_xor_b32_e32 v152, vcc_lo, v152
	v_cmp_gt_i32_e32 vcc_lo, 0, v156
	v_and_b32_e32 v3, v3, v46
	v_not_b32_e32 v46, v153
	v_ashrrev_i32_e32 v45, 31, v45
	v_xor_b32_e32 v154, s17, v154
	v_mul_u32_u24_e32 v2, 9, v2
	v_and_b32_e32 v3, v3, v152
	v_cmp_gt_i32_e64 s17, 0, v153
	v_ashrrev_i32_e32 v46, 31, v46
	v_xor_b32_e32 v45, vcc_lo, v45
	v_add_lshl_u32 v152, v2, v122, 2
	v_and_b32_e32 v3, v3, v154
	s_delay_alu instid0(VALU_DEP_4) | instskip(SKIP_3) | instid1(VALU_DEP_2)
	v_xor_b32_e32 v2, s17, v46
	ds_load_b32 v153, v152 offset:1056
	v_and_b32_e32 v3, v3, v45
	v_add_nc_u32_e32 v155, 0x420, v152
	; wave barrier
	v_and_b32_e32 v2, v3, v2
	s_delay_alu instid0(VALU_DEP_1) | instskip(SKIP_1) | instid1(VALU_DEP_2)
	v_mbcnt_lo_u32_b32 v154, v2, 0
	v_cmp_ne_u32_e64 s17, 0, v2
	v_cmp_eq_u32_e32 vcc_lo, 0, v154
	s_delay_alu instid0(VALU_DEP_2) | instskip(NEXT) | instid1(SALU_CYCLE_1)
	s_and_b32 s18, s17, vcc_lo
	s_and_saveexec_b32 s17, s18
	s_cbranch_execz .LBB948_726
; %bb.725:                              ;   in Loop: Header=BB948_696 Depth=2
	s_waitcnt lgkmcnt(0)
	v_bcnt_u32_b32 v2, v2, v153
	ds_store_b32 v155, v2
.LBB948_726:                            ;   in Loop: Header=BB948_696 Depth=2
	s_or_b32 exec_lo, exec_lo, s17
	v_xor_b32_e32 v152, 0x7fff7fff, v4
	; wave barrier
	s_delay_alu instid0(VALU_DEP_1) | instskip(NEXT) | instid1(VALU_DEP_1)
	v_and_b32_e32 v2, 0xffff, v152
	v_lshrrev_b32_e32 v2, s57, v2
	s_delay_alu instid0(VALU_DEP_1) | instskip(NEXT) | instid1(VALU_DEP_1)
	v_and_b32_e32 v2, s43, v2
	v_and_b32_e32 v3, 1, v2
	v_lshlrev_b32_e32 v4, 30, v2
	v_lshlrev_b32_e32 v45, 29, v2
	;; [unrolled: 1-line block ×4, first 2 shown]
	v_add_co_u32 v3, s17, v3, -1
	s_delay_alu instid0(VALU_DEP_1)
	v_cndmask_b32_e64 v156, 0, 1, s17
	v_not_b32_e32 v160, v4
	v_cmp_gt_i32_e64 s17, 0, v4
	v_not_b32_e32 v4, v45
	v_lshlrev_b32_e32 v158, 26, v2
	v_cmp_ne_u32_e32 vcc_lo, 0, v156
	v_ashrrev_i32_e32 v160, 31, v160
	v_lshlrev_b32_e32 v159, 25, v2
	v_ashrrev_i32_e32 v4, 31, v4
	v_lshlrev_b32_e32 v156, 24, v2
	v_xor_b32_e32 v3, vcc_lo, v3
	v_cmp_gt_i32_e32 vcc_lo, 0, v45
	v_not_b32_e32 v45, v46
	v_xor_b32_e32 v160, s17, v160
	v_cmp_gt_i32_e64 s17, 0, v46
	v_and_b32_e32 v3, exec_lo, v3
	v_not_b32_e32 v46, v157
	v_ashrrev_i32_e32 v45, 31, v45
	v_xor_b32_e32 v4, vcc_lo, v4
	v_cmp_gt_i32_e32 vcc_lo, 0, v157
	v_and_b32_e32 v3, v3, v160
	v_not_b32_e32 v157, v158
	v_ashrrev_i32_e32 v46, 31, v46
	v_xor_b32_e32 v45, s17, v45
	v_cmp_gt_i32_e64 s17, 0, v158
	v_and_b32_e32 v3, v3, v4
	v_not_b32_e32 v4, v159
	v_ashrrev_i32_e32 v157, 31, v157
	v_xor_b32_e32 v46, vcc_lo, v46
	v_cmp_gt_i32_e32 vcc_lo, 0, v159
	v_and_b32_e32 v3, v3, v45
	v_not_b32_e32 v45, v156
	v_ashrrev_i32_e32 v4, 31, v4
	v_xor_b32_e32 v157, s17, v157
	v_mul_u32_u24_e32 v2, 9, v2
	v_and_b32_e32 v3, v3, v46
	v_cmp_gt_i32_e64 s17, 0, v156
	v_ashrrev_i32_e32 v45, 31, v45
	v_xor_b32_e32 v4, vcc_lo, v4
	v_add_lshl_u32 v46, v2, v122, 2
	v_and_b32_e32 v3, v3, v157
	s_delay_alu instid0(VALU_DEP_4) | instskip(SKIP_3) | instid1(VALU_DEP_2)
	v_xor_b32_e32 v2, s17, v45
	ds_load_b32 v157, v46 offset:1056
	v_and_b32_e32 v3, v3, v4
	v_add_nc_u32_e32 v159, 0x420, v46
	; wave barrier
	v_and_b32_e32 v2, v3, v2
	s_delay_alu instid0(VALU_DEP_1) | instskip(SKIP_1) | instid1(VALU_DEP_2)
	v_mbcnt_lo_u32_b32 v158, v2, 0
	v_cmp_ne_u32_e64 s17, 0, v2
	v_cmp_eq_u32_e32 vcc_lo, 0, v158
	s_delay_alu instid0(VALU_DEP_2) | instskip(NEXT) | instid1(SALU_CYCLE_1)
	s_and_b32 s18, s17, vcc_lo
	s_and_saveexec_b32 s17, s18
	s_cbranch_execz .LBB948_728
; %bb.727:                              ;   in Loop: Header=BB948_696 Depth=2
	s_waitcnt lgkmcnt(0)
	v_bcnt_u32_b32 v2, v2, v157
	ds_store_b32 v159, v2
.LBB948_728:                            ;   in Loop: Header=BB948_696 Depth=2
	s_or_b32 exec_lo, exec_lo, s17
	v_lshrrev_b32_e32 v156, 16, v152
	; wave barrier
	s_delay_alu instid0(VALU_DEP_1) | instskip(NEXT) | instid1(VALU_DEP_1)
	v_lshrrev_b32_e32 v2, s57, v156
	v_and_b32_e32 v2, s43, v2
	s_delay_alu instid0(VALU_DEP_1)
	v_and_b32_e32 v3, 1, v2
	v_lshlrev_b32_e32 v4, 30, v2
	v_lshlrev_b32_e32 v45, 29, v2
	;; [unrolled: 1-line block ×4, first 2 shown]
	v_add_co_u32 v3, s17, v3, -1
	s_delay_alu instid0(VALU_DEP_1)
	v_cndmask_b32_e64 v160, 0, 1, s17
	v_not_b32_e32 v164, v4
	v_cmp_gt_i32_e64 s17, 0, v4
	v_not_b32_e32 v4, v45
	v_lshlrev_b32_e32 v162, 26, v2
	v_cmp_ne_u32_e32 vcc_lo, 0, v160
	v_ashrrev_i32_e32 v164, 31, v164
	v_lshlrev_b32_e32 v163, 25, v2
	v_ashrrev_i32_e32 v4, 31, v4
	v_lshlrev_b32_e32 v160, 24, v2
	v_xor_b32_e32 v3, vcc_lo, v3
	v_cmp_gt_i32_e32 vcc_lo, 0, v45
	v_not_b32_e32 v45, v46
	v_xor_b32_e32 v164, s17, v164
	v_cmp_gt_i32_e64 s17, 0, v46
	v_and_b32_e32 v3, exec_lo, v3
	v_not_b32_e32 v46, v161
	v_ashrrev_i32_e32 v45, 31, v45
	v_xor_b32_e32 v4, vcc_lo, v4
	v_cmp_gt_i32_e32 vcc_lo, 0, v161
	v_and_b32_e32 v3, v3, v164
	v_not_b32_e32 v161, v162
	v_ashrrev_i32_e32 v46, 31, v46
	v_xor_b32_e32 v45, s17, v45
	v_cmp_gt_i32_e64 s17, 0, v162
	v_and_b32_e32 v3, v3, v4
	v_not_b32_e32 v4, v163
	v_ashrrev_i32_e32 v161, 31, v161
	v_xor_b32_e32 v46, vcc_lo, v46
	v_cmp_gt_i32_e32 vcc_lo, 0, v163
	v_and_b32_e32 v3, v3, v45
	v_not_b32_e32 v45, v160
	v_ashrrev_i32_e32 v4, 31, v4
	v_xor_b32_e32 v161, s17, v161
	v_mul_u32_u24_e32 v2, 9, v2
	v_and_b32_e32 v3, v3, v46
	v_cmp_gt_i32_e64 s17, 0, v160
	v_ashrrev_i32_e32 v45, 31, v45
	v_xor_b32_e32 v4, vcc_lo, v4
	v_add_lshl_u32 v46, v2, v122, 2
	v_and_b32_e32 v3, v3, v161
	s_delay_alu instid0(VALU_DEP_4) | instskip(SKIP_3) | instid1(VALU_DEP_2)
	v_xor_b32_e32 v2, s17, v45
	ds_load_b32 v161, v46 offset:1056
	v_and_b32_e32 v3, v3, v4
	v_add_nc_u32_e32 v163, 0x420, v46
	; wave barrier
	v_and_b32_e32 v2, v3, v2
	s_delay_alu instid0(VALU_DEP_1) | instskip(SKIP_1) | instid1(VALU_DEP_2)
	v_mbcnt_lo_u32_b32 v162, v2, 0
	v_cmp_ne_u32_e64 s17, 0, v2
	v_cmp_eq_u32_e32 vcc_lo, 0, v162
	s_delay_alu instid0(VALU_DEP_2) | instskip(NEXT) | instid1(SALU_CYCLE_1)
	s_and_b32 s18, s17, vcc_lo
	s_and_saveexec_b32 s17, s18
	s_cbranch_execz .LBB948_730
; %bb.729:                              ;   in Loop: Header=BB948_696 Depth=2
	s_waitcnt lgkmcnt(0)
	v_bcnt_u32_b32 v2, v2, v161
	ds_store_b32 v163, v2
.LBB948_730:                            ;   in Loop: Header=BB948_696 Depth=2
	s_or_b32 exec_lo, exec_lo, s17
	v_xor_b32_e32 v160, 0x7fff7fff, v5
	; wave barrier
	s_delay_alu instid0(VALU_DEP_1) | instskip(NEXT) | instid1(VALU_DEP_1)
	v_and_b32_e32 v2, 0xffff, v160
	v_lshrrev_b32_e32 v2, s57, v2
	s_delay_alu instid0(VALU_DEP_1) | instskip(NEXT) | instid1(VALU_DEP_1)
	v_and_b32_e32 v2, s43, v2
	v_and_b32_e32 v3, 1, v2
	v_lshlrev_b32_e32 v4, 30, v2
	v_lshlrev_b32_e32 v5, 29, v2
	;; [unrolled: 1-line block ×4, first 2 shown]
	v_add_co_u32 v3, s17, v3, -1
	s_delay_alu instid0(VALU_DEP_1)
	v_cndmask_b32_e64 v46, 0, 1, s17
	v_not_b32_e32 v167, v4
	v_cmp_gt_i32_e64 s17, 0, v4
	v_not_b32_e32 v4, v5
	v_lshlrev_b32_e32 v165, 26, v2
	v_cmp_ne_u32_e32 vcc_lo, 0, v46
	v_ashrrev_i32_e32 v167, 31, v167
	v_lshlrev_b32_e32 v166, 25, v2
	v_ashrrev_i32_e32 v4, 31, v4
	v_lshlrev_b32_e32 v46, 24, v2
	v_xor_b32_e32 v3, vcc_lo, v3
	v_cmp_gt_i32_e32 vcc_lo, 0, v5
	v_not_b32_e32 v5, v45
	v_xor_b32_e32 v167, s17, v167
	v_cmp_gt_i32_e64 s17, 0, v45
	v_and_b32_e32 v3, exec_lo, v3
	v_not_b32_e32 v45, v164
	v_ashrrev_i32_e32 v5, 31, v5
	v_xor_b32_e32 v4, vcc_lo, v4
	v_cmp_gt_i32_e32 vcc_lo, 0, v164
	v_and_b32_e32 v3, v3, v167
	v_not_b32_e32 v164, v165
	v_ashrrev_i32_e32 v45, 31, v45
	v_xor_b32_e32 v5, s17, v5
	v_cmp_gt_i32_e64 s17, 0, v165
	v_and_b32_e32 v3, v3, v4
	v_not_b32_e32 v4, v166
	v_ashrrev_i32_e32 v164, 31, v164
	v_xor_b32_e32 v45, vcc_lo, v45
	v_cmp_gt_i32_e32 vcc_lo, 0, v166
	v_and_b32_e32 v3, v3, v5
	v_not_b32_e32 v5, v46
	v_ashrrev_i32_e32 v4, 31, v4
	v_xor_b32_e32 v164, s17, v164
	v_mul_u32_u24_e32 v2, 9, v2
	v_and_b32_e32 v3, v3, v45
	v_cmp_gt_i32_e64 s17, 0, v46
	v_ashrrev_i32_e32 v5, 31, v5
	v_xor_b32_e32 v4, vcc_lo, v4
	v_add_lshl_u32 v45, v2, v122, 2
	v_and_b32_e32 v3, v3, v164
	s_delay_alu instid0(VALU_DEP_4) | instskip(SKIP_3) | instid1(VALU_DEP_2)
	v_xor_b32_e32 v2, s17, v5
	ds_load_b32 v165, v45 offset:1056
	v_and_b32_e32 v3, v3, v4
	v_add_nc_u32_e32 v167, 0x420, v45
	; wave barrier
	v_and_b32_e32 v2, v3, v2
	s_delay_alu instid0(VALU_DEP_1) | instskip(SKIP_1) | instid1(VALU_DEP_2)
	v_mbcnt_lo_u32_b32 v166, v2, 0
	v_cmp_ne_u32_e64 s17, 0, v2
	v_cmp_eq_u32_e32 vcc_lo, 0, v166
	s_delay_alu instid0(VALU_DEP_2) | instskip(NEXT) | instid1(SALU_CYCLE_1)
	s_and_b32 s18, s17, vcc_lo
	s_and_saveexec_b32 s17, s18
	s_cbranch_execz .LBB948_732
; %bb.731:                              ;   in Loop: Header=BB948_696 Depth=2
	s_waitcnt lgkmcnt(0)
	v_bcnt_u32_b32 v2, v2, v165
	ds_store_b32 v167, v2
.LBB948_732:                            ;   in Loop: Header=BB948_696 Depth=2
	s_or_b32 exec_lo, exec_lo, s17
	v_lshrrev_b32_e32 v164, 16, v160
	; wave barrier
	s_delay_alu instid0(VALU_DEP_1) | instskip(NEXT) | instid1(VALU_DEP_1)
	v_lshrrev_b32_e32 v2, s57, v164
	v_and_b32_e32 v2, s43, v2
	s_delay_alu instid0(VALU_DEP_1)
	v_and_b32_e32 v3, 1, v2
	v_lshlrev_b32_e32 v4, 30, v2
	v_lshlrev_b32_e32 v5, 29, v2
	v_lshlrev_b32_e32 v45, 28, v2
	v_lshlrev_b32_e32 v168, 27, v2
	v_add_co_u32 v3, s17, v3, -1
	s_delay_alu instid0(VALU_DEP_1)
	v_cndmask_b32_e64 v46, 0, 1, s17
	v_not_b32_e32 v171, v4
	v_cmp_gt_i32_e64 s17, 0, v4
	v_not_b32_e32 v4, v5
	v_lshlrev_b32_e32 v169, 26, v2
	v_cmp_ne_u32_e32 vcc_lo, 0, v46
	v_ashrrev_i32_e32 v171, 31, v171
	v_lshlrev_b32_e32 v170, 25, v2
	v_ashrrev_i32_e32 v4, 31, v4
	v_lshlrev_b32_e32 v46, 24, v2
	v_xor_b32_e32 v3, vcc_lo, v3
	v_cmp_gt_i32_e32 vcc_lo, 0, v5
	v_not_b32_e32 v5, v45
	v_xor_b32_e32 v171, s17, v171
	v_cmp_gt_i32_e64 s17, 0, v45
	v_and_b32_e32 v3, exec_lo, v3
	v_not_b32_e32 v45, v168
	v_ashrrev_i32_e32 v5, 31, v5
	v_xor_b32_e32 v4, vcc_lo, v4
	v_cmp_gt_i32_e32 vcc_lo, 0, v168
	v_and_b32_e32 v3, v3, v171
	v_not_b32_e32 v168, v169
	v_ashrrev_i32_e32 v45, 31, v45
	v_xor_b32_e32 v5, s17, v5
	v_cmp_gt_i32_e64 s17, 0, v169
	v_and_b32_e32 v3, v3, v4
	v_not_b32_e32 v4, v170
	v_ashrrev_i32_e32 v168, 31, v168
	v_xor_b32_e32 v45, vcc_lo, v45
	v_cmp_gt_i32_e32 vcc_lo, 0, v170
	v_and_b32_e32 v3, v3, v5
	v_not_b32_e32 v5, v46
	v_ashrrev_i32_e32 v4, 31, v4
	v_xor_b32_e32 v168, s17, v168
	v_mul_u32_u24_e32 v2, 9, v2
	v_and_b32_e32 v3, v3, v45
	v_cmp_gt_i32_e64 s17, 0, v46
	v_ashrrev_i32_e32 v5, 31, v5
	v_xor_b32_e32 v4, vcc_lo, v4
	v_add_lshl_u32 v45, v2, v122, 2
	v_and_b32_e32 v3, v3, v168
	s_delay_alu instid0(VALU_DEP_4) | instskip(SKIP_3) | instid1(VALU_DEP_2)
	v_xor_b32_e32 v2, s17, v5
	ds_load_b32 v169, v45 offset:1056
	v_and_b32_e32 v3, v3, v4
	v_add_nc_u32_e32 v171, 0x420, v45
	; wave barrier
	v_and_b32_e32 v2, v3, v2
	s_delay_alu instid0(VALU_DEP_1) | instskip(SKIP_1) | instid1(VALU_DEP_2)
	v_mbcnt_lo_u32_b32 v170, v2, 0
	v_cmp_ne_u32_e64 s17, 0, v2
	v_cmp_eq_u32_e32 vcc_lo, 0, v170
	s_delay_alu instid0(VALU_DEP_2) | instskip(NEXT) | instid1(SALU_CYCLE_1)
	s_and_b32 s18, s17, vcc_lo
	s_and_saveexec_b32 s17, s18
	s_cbranch_execz .LBB948_734
; %bb.733:                              ;   in Loop: Header=BB948_696 Depth=2
	s_waitcnt lgkmcnt(0)
	v_bcnt_u32_b32 v2, v2, v169
	ds_store_b32 v171, v2
.LBB948_734:                            ;   in Loop: Header=BB948_696 Depth=2
	s_or_b32 exec_lo, exec_lo, s17
	v_xor_b32_e32 v168, 0x7fff7fff, v6
	; wave barrier
	s_delay_alu instid0(VALU_DEP_1) | instskip(NEXT) | instid1(VALU_DEP_1)
	v_and_b32_e32 v2, 0xffff, v168
	v_lshrrev_b32_e32 v2, s57, v2
	s_delay_alu instid0(VALU_DEP_1) | instskip(NEXT) | instid1(VALU_DEP_1)
	v_and_b32_e32 v2, s43, v2
	v_and_b32_e32 v3, 1, v2
	v_lshlrev_b32_e32 v4, 30, v2
	v_lshlrev_b32_e32 v5, 29, v2
	;; [unrolled: 1-line block ×4, first 2 shown]
	v_add_co_u32 v3, s17, v3, -1
	s_delay_alu instid0(VALU_DEP_1)
	v_cndmask_b32_e64 v45, 0, 1, s17
	v_not_b32_e32 v174, v4
	v_cmp_gt_i32_e64 s17, 0, v4
	v_not_b32_e32 v4, v5
	v_lshlrev_b32_e32 v172, 26, v2
	v_cmp_ne_u32_e32 vcc_lo, 0, v45
	v_ashrrev_i32_e32 v174, 31, v174
	v_lshlrev_b32_e32 v173, 25, v2
	v_ashrrev_i32_e32 v4, 31, v4
	v_lshlrev_b32_e32 v45, 24, v2
	v_xor_b32_e32 v3, vcc_lo, v3
	v_cmp_gt_i32_e32 vcc_lo, 0, v5
	v_not_b32_e32 v5, v6
	v_xor_b32_e32 v174, s17, v174
	v_cmp_gt_i32_e64 s17, 0, v6
	v_and_b32_e32 v3, exec_lo, v3
	v_not_b32_e32 v6, v46
	v_ashrrev_i32_e32 v5, 31, v5
	v_xor_b32_e32 v4, vcc_lo, v4
	v_cmp_gt_i32_e32 vcc_lo, 0, v46
	v_and_b32_e32 v3, v3, v174
	v_not_b32_e32 v46, v172
	v_ashrrev_i32_e32 v6, 31, v6
	v_xor_b32_e32 v5, s17, v5
	v_cmp_gt_i32_e64 s17, 0, v172
	v_and_b32_e32 v3, v3, v4
	v_not_b32_e32 v4, v173
	v_ashrrev_i32_e32 v46, 31, v46
	v_xor_b32_e32 v6, vcc_lo, v6
	v_cmp_gt_i32_e32 vcc_lo, 0, v173
	v_and_b32_e32 v3, v3, v5
	v_not_b32_e32 v5, v45
	v_ashrrev_i32_e32 v4, 31, v4
	v_xor_b32_e32 v46, s17, v46
	v_mul_u32_u24_e32 v2, 9, v2
	v_and_b32_e32 v3, v3, v6
	v_cmp_gt_i32_e64 s17, 0, v45
	v_ashrrev_i32_e32 v5, 31, v5
	v_xor_b32_e32 v4, vcc_lo, v4
	v_add_lshl_u32 v6, v2, v122, 2
	v_and_b32_e32 v3, v3, v46
	s_delay_alu instid0(VALU_DEP_4) | instskip(SKIP_3) | instid1(VALU_DEP_2)
	v_xor_b32_e32 v2, s17, v5
	ds_load_b32 v173, v6 offset:1056
	v_and_b32_e32 v3, v3, v4
	v_add_nc_u32_e32 v175, 0x420, v6
	; wave barrier
	v_and_b32_e32 v2, v3, v2
	s_delay_alu instid0(VALU_DEP_1) | instskip(SKIP_1) | instid1(VALU_DEP_2)
	v_mbcnt_lo_u32_b32 v174, v2, 0
	v_cmp_ne_u32_e64 s17, 0, v2
	v_cmp_eq_u32_e32 vcc_lo, 0, v174
	s_delay_alu instid0(VALU_DEP_2) | instskip(NEXT) | instid1(SALU_CYCLE_1)
	s_and_b32 s18, s17, vcc_lo
	s_and_saveexec_b32 s17, s18
	s_cbranch_execz .LBB948_736
; %bb.735:                              ;   in Loop: Header=BB948_696 Depth=2
	s_waitcnt lgkmcnt(0)
	v_bcnt_u32_b32 v2, v2, v173
	ds_store_b32 v175, v2
.LBB948_736:                            ;   in Loop: Header=BB948_696 Depth=2
	s_or_b32 exec_lo, exec_lo, s17
	v_lshrrev_b32_e32 v172, 16, v168
	; wave barrier
	s_delay_alu instid0(VALU_DEP_1) | instskip(NEXT) | instid1(VALU_DEP_1)
	v_lshrrev_b32_e32 v2, s57, v172
	v_and_b32_e32 v2, s43, v2
	s_delay_alu instid0(VALU_DEP_1)
	v_and_b32_e32 v3, 1, v2
	v_lshlrev_b32_e32 v4, 30, v2
	v_lshlrev_b32_e32 v5, 29, v2
	;; [unrolled: 1-line block ×4, first 2 shown]
	v_add_co_u32 v3, s17, v3, -1
	s_delay_alu instid0(VALU_DEP_1)
	v_cndmask_b32_e64 v45, 0, 1, s17
	v_not_b32_e32 v178, v4
	v_cmp_gt_i32_e64 s17, 0, v4
	v_not_b32_e32 v4, v5
	v_lshlrev_b32_e32 v176, 26, v2
	v_cmp_ne_u32_e32 vcc_lo, 0, v45
	v_ashrrev_i32_e32 v178, 31, v178
	v_lshlrev_b32_e32 v177, 25, v2
	v_ashrrev_i32_e32 v4, 31, v4
	v_lshlrev_b32_e32 v45, 24, v2
	v_xor_b32_e32 v3, vcc_lo, v3
	v_cmp_gt_i32_e32 vcc_lo, 0, v5
	v_not_b32_e32 v5, v6
	v_xor_b32_e32 v178, s17, v178
	v_cmp_gt_i32_e64 s17, 0, v6
	v_and_b32_e32 v3, exec_lo, v3
	v_not_b32_e32 v6, v46
	v_ashrrev_i32_e32 v5, 31, v5
	v_xor_b32_e32 v4, vcc_lo, v4
	v_cmp_gt_i32_e32 vcc_lo, 0, v46
	v_and_b32_e32 v3, v3, v178
	v_not_b32_e32 v46, v176
	v_ashrrev_i32_e32 v6, 31, v6
	v_xor_b32_e32 v5, s17, v5
	v_cmp_gt_i32_e64 s17, 0, v176
	v_and_b32_e32 v3, v3, v4
	v_not_b32_e32 v4, v177
	v_ashrrev_i32_e32 v46, 31, v46
	v_xor_b32_e32 v6, vcc_lo, v6
	v_cmp_gt_i32_e32 vcc_lo, 0, v177
	v_and_b32_e32 v3, v3, v5
	v_not_b32_e32 v5, v45
	v_ashrrev_i32_e32 v4, 31, v4
	v_xor_b32_e32 v46, s17, v46
	v_mul_u32_u24_e32 v2, 9, v2
	v_and_b32_e32 v3, v3, v6
	v_cmp_gt_i32_e64 s17, 0, v45
	v_ashrrev_i32_e32 v5, 31, v5
	v_xor_b32_e32 v4, vcc_lo, v4
	v_add_lshl_u32 v6, v2, v122, 2
	v_and_b32_e32 v3, v3, v46
	s_delay_alu instid0(VALU_DEP_4) | instskip(SKIP_3) | instid1(VALU_DEP_2)
	v_xor_b32_e32 v2, s17, v5
	ds_load_b32 v177, v6 offset:1056
	v_and_b32_e32 v3, v3, v4
	v_add_nc_u32_e32 v179, 0x420, v6
	; wave barrier
	v_and_b32_e32 v2, v3, v2
	s_delay_alu instid0(VALU_DEP_1) | instskip(SKIP_1) | instid1(VALU_DEP_2)
	v_mbcnt_lo_u32_b32 v178, v2, 0
	v_cmp_ne_u32_e64 s17, 0, v2
	v_cmp_eq_u32_e32 vcc_lo, 0, v178
	s_delay_alu instid0(VALU_DEP_2) | instskip(NEXT) | instid1(SALU_CYCLE_1)
	s_and_b32 s18, s17, vcc_lo
	s_and_saveexec_b32 s17, s18
	s_cbranch_execz .LBB948_738
; %bb.737:                              ;   in Loop: Header=BB948_696 Depth=2
	s_waitcnt lgkmcnt(0)
	v_bcnt_u32_b32 v2, v2, v177
	ds_store_b32 v179, v2
.LBB948_738:                            ;   in Loop: Header=BB948_696 Depth=2
	s_or_b32 exec_lo, exec_lo, s17
	v_xor_b32_e32 v176, 0x7fff7fff, v7
	; wave barrier
	s_delay_alu instid0(VALU_DEP_1) | instskip(NEXT) | instid1(VALU_DEP_1)
	v_and_b32_e32 v2, 0xffff, v176
	v_lshrrev_b32_e32 v2, s57, v2
	s_delay_alu instid0(VALU_DEP_1) | instskip(NEXT) | instid1(VALU_DEP_1)
	v_and_b32_e32 v2, s43, v2
	v_and_b32_e32 v3, 1, v2
	v_lshlrev_b32_e32 v4, 30, v2
	v_lshlrev_b32_e32 v5, 29, v2
	;; [unrolled: 1-line block ×4, first 2 shown]
	v_add_co_u32 v3, s17, v3, -1
	s_delay_alu instid0(VALU_DEP_1)
	v_cndmask_b32_e64 v7, 0, 1, s17
	v_not_b32_e32 v181, v4
	v_cmp_gt_i32_e64 s17, 0, v4
	v_not_b32_e32 v4, v5
	v_lshlrev_b32_e32 v46, 26, v2
	v_cmp_ne_u32_e32 vcc_lo, 0, v7
	v_ashrrev_i32_e32 v181, 31, v181
	v_lshlrev_b32_e32 v180, 25, v2
	v_ashrrev_i32_e32 v4, 31, v4
	v_lshlrev_b32_e32 v7, 24, v2
	v_xor_b32_e32 v3, vcc_lo, v3
	v_cmp_gt_i32_e32 vcc_lo, 0, v5
	v_not_b32_e32 v5, v6
	v_xor_b32_e32 v181, s17, v181
	v_cmp_gt_i32_e64 s17, 0, v6
	v_and_b32_e32 v3, exec_lo, v3
	v_not_b32_e32 v6, v45
	v_ashrrev_i32_e32 v5, 31, v5
	v_xor_b32_e32 v4, vcc_lo, v4
	v_cmp_gt_i32_e32 vcc_lo, 0, v45
	v_and_b32_e32 v3, v3, v181
	v_not_b32_e32 v45, v46
	v_ashrrev_i32_e32 v6, 31, v6
	v_xor_b32_e32 v5, s17, v5
	v_cmp_gt_i32_e64 s17, 0, v46
	v_and_b32_e32 v3, v3, v4
	v_not_b32_e32 v4, v180
	v_ashrrev_i32_e32 v45, 31, v45
	v_xor_b32_e32 v6, vcc_lo, v6
	v_cmp_gt_i32_e32 vcc_lo, 0, v180
	v_and_b32_e32 v3, v3, v5
	v_not_b32_e32 v5, v7
	v_ashrrev_i32_e32 v4, 31, v4
	v_xor_b32_e32 v45, s17, v45
	v_mul_u32_u24_e32 v2, 9, v2
	v_and_b32_e32 v3, v3, v6
	v_cmp_gt_i32_e64 s17, 0, v7
	v_ashrrev_i32_e32 v5, 31, v5
	v_xor_b32_e32 v4, vcc_lo, v4
	v_add_lshl_u32 v6, v2, v122, 2
	v_and_b32_e32 v3, v3, v45
	s_delay_alu instid0(VALU_DEP_4) | instskip(SKIP_3) | instid1(VALU_DEP_2)
	v_xor_b32_e32 v2, s17, v5
	ds_load_b32 v181, v6 offset:1056
	v_and_b32_e32 v3, v3, v4
	v_add_nc_u32_e32 v183, 0x420, v6
	; wave barrier
	v_and_b32_e32 v2, v3, v2
	s_delay_alu instid0(VALU_DEP_1) | instskip(SKIP_1) | instid1(VALU_DEP_2)
	v_mbcnt_lo_u32_b32 v182, v2, 0
	v_cmp_ne_u32_e64 s17, 0, v2
	v_cmp_eq_u32_e32 vcc_lo, 0, v182
	s_delay_alu instid0(VALU_DEP_2) | instskip(NEXT) | instid1(SALU_CYCLE_1)
	s_and_b32 s18, s17, vcc_lo
	s_and_saveexec_b32 s17, s18
	s_cbranch_execz .LBB948_740
; %bb.739:                              ;   in Loop: Header=BB948_696 Depth=2
	s_waitcnt lgkmcnt(0)
	v_bcnt_u32_b32 v2, v2, v181
	ds_store_b32 v183, v2
.LBB948_740:                            ;   in Loop: Header=BB948_696 Depth=2
	s_or_b32 exec_lo, exec_lo, s17
	v_lshrrev_b32_e32 v180, 16, v176
	; wave barrier
	s_delay_alu instid0(VALU_DEP_1) | instskip(NEXT) | instid1(VALU_DEP_1)
	v_lshrrev_b32_e32 v2, s57, v180
	v_and_b32_e32 v2, s43, v2
	s_delay_alu instid0(VALU_DEP_1)
	v_and_b32_e32 v3, 1, v2
	v_lshlrev_b32_e32 v4, 30, v2
	v_lshlrev_b32_e32 v5, 29, v2
	;; [unrolled: 1-line block ×4, first 2 shown]
	v_add_co_u32 v3, s17, v3, -1
	s_delay_alu instid0(VALU_DEP_1)
	v_cndmask_b32_e64 v7, 0, 1, s17
	v_not_b32_e32 v185, v4
	v_cmp_gt_i32_e64 s17, 0, v4
	v_not_b32_e32 v4, v5
	v_lshlrev_b32_e32 v46, 26, v2
	v_cmp_ne_u32_e32 vcc_lo, 0, v7
	v_ashrrev_i32_e32 v185, 31, v185
	v_lshlrev_b32_e32 v184, 25, v2
	v_ashrrev_i32_e32 v4, 31, v4
	v_lshlrev_b32_e32 v7, 24, v2
	v_xor_b32_e32 v3, vcc_lo, v3
	v_cmp_gt_i32_e32 vcc_lo, 0, v5
	v_not_b32_e32 v5, v6
	v_xor_b32_e32 v185, s17, v185
	v_cmp_gt_i32_e64 s17, 0, v6
	v_and_b32_e32 v3, exec_lo, v3
	v_not_b32_e32 v6, v45
	v_ashrrev_i32_e32 v5, 31, v5
	v_xor_b32_e32 v4, vcc_lo, v4
	v_cmp_gt_i32_e32 vcc_lo, 0, v45
	v_and_b32_e32 v3, v3, v185
	v_not_b32_e32 v45, v46
	v_ashrrev_i32_e32 v6, 31, v6
	v_xor_b32_e32 v5, s17, v5
	v_cmp_gt_i32_e64 s17, 0, v46
	v_and_b32_e32 v3, v3, v4
	v_not_b32_e32 v4, v184
	v_ashrrev_i32_e32 v45, 31, v45
	v_xor_b32_e32 v6, vcc_lo, v6
	v_cmp_gt_i32_e32 vcc_lo, 0, v184
	v_and_b32_e32 v3, v3, v5
	v_not_b32_e32 v5, v7
	v_ashrrev_i32_e32 v4, 31, v4
	v_xor_b32_e32 v45, s17, v45
	v_mul_u32_u24_e32 v2, 9, v2
	v_and_b32_e32 v3, v3, v6
	v_cmp_gt_i32_e64 s17, 0, v7
	v_ashrrev_i32_e32 v5, 31, v5
	v_xor_b32_e32 v4, vcc_lo, v4
	v_add_lshl_u32 v6, v2, v122, 2
	v_and_b32_e32 v3, v3, v45
	s_delay_alu instid0(VALU_DEP_4) | instskip(SKIP_3) | instid1(VALU_DEP_2)
	v_xor_b32_e32 v2, s17, v5
	ds_load_b32 v185, v6 offset:1056
	v_and_b32_e32 v3, v3, v4
	v_add_nc_u32_e32 v187, 0x420, v6
	; wave barrier
	v_and_b32_e32 v2, v3, v2
	s_delay_alu instid0(VALU_DEP_1) | instskip(SKIP_1) | instid1(VALU_DEP_2)
	v_mbcnt_lo_u32_b32 v186, v2, 0
	v_cmp_ne_u32_e64 s17, 0, v2
	v_cmp_eq_u32_e32 vcc_lo, 0, v186
	s_delay_alu instid0(VALU_DEP_2) | instskip(NEXT) | instid1(SALU_CYCLE_1)
	s_and_b32 s18, s17, vcc_lo
	s_and_saveexec_b32 s17, s18
	s_cbranch_execz .LBB948_742
; %bb.741:                              ;   in Loop: Header=BB948_696 Depth=2
	s_waitcnt lgkmcnt(0)
	v_bcnt_u32_b32 v2, v2, v185
	ds_store_b32 v187, v2
.LBB948_742:                            ;   in Loop: Header=BB948_696 Depth=2
	s_or_b32 exec_lo, exec_lo, s17
	v_xor_b32_e32 v184, 0x7fff7fff, v8
	; wave barrier
	s_delay_alu instid0(VALU_DEP_1) | instskip(NEXT) | instid1(VALU_DEP_1)
	v_and_b32_e32 v2, 0xffff, v184
	v_lshrrev_b32_e32 v2, s57, v2
	s_delay_alu instid0(VALU_DEP_1) | instskip(NEXT) | instid1(VALU_DEP_1)
	v_and_b32_e32 v2, s43, v2
	v_and_b32_e32 v3, 1, v2
	v_lshlrev_b32_e32 v4, 30, v2
	v_lshlrev_b32_e32 v5, 29, v2
	;; [unrolled: 1-line block ×4, first 2 shown]
	v_add_co_u32 v3, s17, v3, -1
	s_delay_alu instid0(VALU_DEP_1)
	v_cndmask_b32_e64 v7, 0, 1, s17
	v_not_b32_e32 v188, v4
	v_cmp_gt_i32_e64 s17, 0, v4
	v_not_b32_e32 v4, v5
	v_lshlrev_b32_e32 v45, 26, v2
	v_cmp_ne_u32_e32 vcc_lo, 0, v7
	v_ashrrev_i32_e32 v188, 31, v188
	v_lshlrev_b32_e32 v46, 25, v2
	v_ashrrev_i32_e32 v4, 31, v4
	v_lshlrev_b32_e32 v7, 24, v2
	v_xor_b32_e32 v3, vcc_lo, v3
	v_cmp_gt_i32_e32 vcc_lo, 0, v5
	v_not_b32_e32 v5, v6
	v_xor_b32_e32 v188, s17, v188
	v_cmp_gt_i32_e64 s17, 0, v6
	v_and_b32_e32 v3, exec_lo, v3
	v_not_b32_e32 v6, v8
	v_ashrrev_i32_e32 v5, 31, v5
	v_xor_b32_e32 v4, vcc_lo, v4
	v_cmp_gt_i32_e32 vcc_lo, 0, v8
	v_and_b32_e32 v3, v3, v188
	v_not_b32_e32 v8, v45
	v_ashrrev_i32_e32 v6, 31, v6
	v_xor_b32_e32 v5, s17, v5
	v_cmp_gt_i32_e64 s17, 0, v45
	v_and_b32_e32 v3, v3, v4
	v_not_b32_e32 v4, v46
	v_ashrrev_i32_e32 v8, 31, v8
	v_xor_b32_e32 v6, vcc_lo, v6
	v_cmp_gt_i32_e32 vcc_lo, 0, v46
	v_and_b32_e32 v3, v3, v5
	v_not_b32_e32 v5, v7
	v_ashrrev_i32_e32 v4, 31, v4
	v_xor_b32_e32 v8, s17, v8
	v_mul_u32_u24_e32 v2, 9, v2
	v_and_b32_e32 v3, v3, v6
	v_cmp_gt_i32_e64 s17, 0, v7
	v_ashrrev_i32_e32 v5, 31, v5
	v_xor_b32_e32 v4, vcc_lo, v4
	v_add_lshl_u32 v6, v2, v122, 2
	v_and_b32_e32 v3, v3, v8
	s_delay_alu instid0(VALU_DEP_4) | instskip(SKIP_3) | instid1(VALU_DEP_2)
	v_xor_b32_e32 v2, s17, v5
	ds_load_b32 v8, v6 offset:1056
	v_and_b32_e32 v3, v3, v4
	v_add_nc_u32_e32 v190, 0x420, v6
	; wave barrier
	v_and_b32_e32 v2, v3, v2
	s_delay_alu instid0(VALU_DEP_1) | instskip(SKIP_1) | instid1(VALU_DEP_2)
	v_mbcnt_lo_u32_b32 v189, v2, 0
	v_cmp_ne_u32_e64 s17, 0, v2
	v_cmp_eq_u32_e32 vcc_lo, 0, v189
	s_delay_alu instid0(VALU_DEP_2) | instskip(NEXT) | instid1(SALU_CYCLE_1)
	s_and_b32 s18, s17, vcc_lo
	s_and_saveexec_b32 s17, s18
	s_cbranch_execz .LBB948_744
; %bb.743:                              ;   in Loop: Header=BB948_696 Depth=2
	s_waitcnt lgkmcnt(0)
	v_bcnt_u32_b32 v2, v2, v8
	ds_store_b32 v190, v2
.LBB948_744:                            ;   in Loop: Header=BB948_696 Depth=2
	s_or_b32 exec_lo, exec_lo, s17
	v_lshrrev_b32_e32 v188, 16, v184
	; wave barrier
	s_delay_alu instid0(VALU_DEP_1) | instskip(NEXT) | instid1(VALU_DEP_1)
	v_lshrrev_b32_e32 v2, s57, v188
	v_and_b32_e32 v2, s43, v2
	s_delay_alu instid0(VALU_DEP_1)
	v_and_b32_e32 v3, 1, v2
	v_lshlrev_b32_e32 v4, 30, v2
	v_lshlrev_b32_e32 v5, 29, v2
	;; [unrolled: 1-line block ×4, first 2 shown]
	v_add_co_u32 v3, s17, v3, -1
	s_delay_alu instid0(VALU_DEP_1)
	v_cndmask_b32_e64 v7, 0, 1, s17
	v_not_b32_e32 v192, v4
	v_cmp_gt_i32_e64 s17, 0, v4
	v_not_b32_e32 v4, v5
	v_lshlrev_b32_e32 v46, 26, v2
	v_cmp_ne_u32_e32 vcc_lo, 0, v7
	v_ashrrev_i32_e32 v192, 31, v192
	v_lshlrev_b32_e32 v191, 25, v2
	v_ashrrev_i32_e32 v4, 31, v4
	v_lshlrev_b32_e32 v7, 24, v2
	v_xor_b32_e32 v3, vcc_lo, v3
	v_cmp_gt_i32_e32 vcc_lo, 0, v5
	v_not_b32_e32 v5, v6
	v_xor_b32_e32 v192, s17, v192
	v_cmp_gt_i32_e64 s17, 0, v6
	v_and_b32_e32 v3, exec_lo, v3
	v_not_b32_e32 v6, v45
	v_ashrrev_i32_e32 v5, 31, v5
	v_xor_b32_e32 v4, vcc_lo, v4
	v_cmp_gt_i32_e32 vcc_lo, 0, v45
	v_and_b32_e32 v3, v3, v192
	v_not_b32_e32 v45, v46
	v_ashrrev_i32_e32 v6, 31, v6
	v_xor_b32_e32 v5, s17, v5
	v_cmp_gt_i32_e64 s17, 0, v46
	v_and_b32_e32 v3, v3, v4
	v_not_b32_e32 v4, v191
	v_ashrrev_i32_e32 v45, 31, v45
	v_xor_b32_e32 v6, vcc_lo, v6
	v_cmp_gt_i32_e32 vcc_lo, 0, v191
	v_and_b32_e32 v3, v3, v5
	v_not_b32_e32 v5, v7
	v_ashrrev_i32_e32 v4, 31, v4
	v_xor_b32_e32 v45, s17, v45
	v_mul_u32_u24_e32 v2, 9, v2
	v_and_b32_e32 v3, v3, v6
	v_cmp_gt_i32_e64 s17, 0, v7
	v_ashrrev_i32_e32 v5, 31, v5
	v_xor_b32_e32 v4, vcc_lo, v4
	v_add_lshl_u32 v6, v2, v122, 2
	v_and_b32_e32 v3, v3, v45
	s_delay_alu instid0(VALU_DEP_4) | instskip(SKIP_3) | instid1(VALU_DEP_2)
	v_xor_b32_e32 v2, s17, v5
	ds_load_b32 v191, v6 offset:1056
	v_and_b32_e32 v3, v3, v4
	v_add_nc_u32_e32 v193, 0x420, v6
	; wave barrier
	v_and_b32_e32 v2, v3, v2
	s_delay_alu instid0(VALU_DEP_1) | instskip(SKIP_1) | instid1(VALU_DEP_2)
	v_mbcnt_lo_u32_b32 v192, v2, 0
	v_cmp_ne_u32_e64 s17, 0, v2
	v_cmp_eq_u32_e32 vcc_lo, 0, v192
	s_delay_alu instid0(VALU_DEP_2) | instskip(NEXT) | instid1(SALU_CYCLE_1)
	s_and_b32 s18, s17, vcc_lo
	s_and_saveexec_b32 s17, s18
	s_cbranch_execz .LBB948_746
; %bb.745:                              ;   in Loop: Header=BB948_696 Depth=2
	s_waitcnt lgkmcnt(0)
	v_bcnt_u32_b32 v2, v2, v191
	ds_store_b32 v193, v2
.LBB948_746:                            ;   in Loop: Header=BB948_696 Depth=2
	s_or_b32 exec_lo, exec_lo, s17
	v_xor_b32_e32 v9, 0x7fff7fff, v9
	; wave barrier
	s_delay_alu instid0(VALU_DEP_1) | instskip(NEXT) | instid1(VALU_DEP_1)
	v_and_b32_e32 v2, 0xffff, v9
	v_lshrrev_b32_e32 v2, s57, v2
	s_delay_alu instid0(VALU_DEP_1) | instskip(NEXT) | instid1(VALU_DEP_1)
	v_and_b32_e32 v2, s43, v2
	v_and_b32_e32 v3, 1, v2
	v_lshlrev_b32_e32 v4, 30, v2
	v_lshlrev_b32_e32 v5, 29, v2
	;; [unrolled: 1-line block ×4, first 2 shown]
	v_add_co_u32 v3, s17, v3, -1
	s_delay_alu instid0(VALU_DEP_1)
	v_cndmask_b32_e64 v7, 0, 1, s17
	v_not_b32_e32 v195, v4
	v_cmp_gt_i32_e64 s17, 0, v4
	v_not_b32_e32 v4, v5
	v_lshlrev_b32_e32 v46, 26, v2
	v_cmp_ne_u32_e32 vcc_lo, 0, v7
	v_ashrrev_i32_e32 v195, 31, v195
	v_lshlrev_b32_e32 v194, 25, v2
	v_ashrrev_i32_e32 v4, 31, v4
	v_lshlrev_b32_e32 v7, 24, v2
	v_xor_b32_e32 v3, vcc_lo, v3
	v_cmp_gt_i32_e32 vcc_lo, 0, v5
	v_not_b32_e32 v5, v6
	v_xor_b32_e32 v195, s17, v195
	v_cmp_gt_i32_e64 s17, 0, v6
	v_and_b32_e32 v3, exec_lo, v3
	v_not_b32_e32 v6, v45
	v_ashrrev_i32_e32 v5, 31, v5
	v_xor_b32_e32 v4, vcc_lo, v4
	v_cmp_gt_i32_e32 vcc_lo, 0, v45
	v_and_b32_e32 v3, v3, v195
	v_not_b32_e32 v45, v46
	v_ashrrev_i32_e32 v6, 31, v6
	v_xor_b32_e32 v5, s17, v5
	v_cmp_gt_i32_e64 s17, 0, v46
	v_and_b32_e32 v3, v3, v4
	v_not_b32_e32 v4, v194
	v_ashrrev_i32_e32 v45, 31, v45
	v_xor_b32_e32 v6, vcc_lo, v6
	v_cmp_gt_i32_e32 vcc_lo, 0, v194
	v_and_b32_e32 v3, v3, v5
	v_not_b32_e32 v5, v7
	v_ashrrev_i32_e32 v4, 31, v4
	v_xor_b32_e32 v45, s17, v45
	v_mul_u32_u24_e32 v2, 9, v2
	v_and_b32_e32 v3, v3, v6
	v_cmp_gt_i32_e64 s17, 0, v7
	v_ashrrev_i32_e32 v5, 31, v5
	v_xor_b32_e32 v4, vcc_lo, v4
	v_add_lshl_u32 v6, v2, v122, 2
	v_and_b32_e32 v3, v3, v45
	s_delay_alu instid0(VALU_DEP_4) | instskip(SKIP_3) | instid1(VALU_DEP_2)
	v_xor_b32_e32 v2, s17, v5
	ds_load_b32 v195, v6 offset:1056
	v_and_b32_e32 v3, v3, v4
	v_add_nc_u32_e32 v197, 0x420, v6
	; wave barrier
	v_and_b32_e32 v2, v3, v2
	s_delay_alu instid0(VALU_DEP_1) | instskip(SKIP_1) | instid1(VALU_DEP_2)
	v_mbcnt_lo_u32_b32 v196, v2, 0
	v_cmp_ne_u32_e64 s17, 0, v2
	v_cmp_eq_u32_e32 vcc_lo, 0, v196
	s_delay_alu instid0(VALU_DEP_2) | instskip(NEXT) | instid1(SALU_CYCLE_1)
	s_and_b32 s18, s17, vcc_lo
	s_and_saveexec_b32 s17, s18
	s_cbranch_execz .LBB948_748
; %bb.747:                              ;   in Loop: Header=BB948_696 Depth=2
	s_waitcnt lgkmcnt(0)
	v_bcnt_u32_b32 v2, v2, v195
	ds_store_b32 v197, v2
.LBB948_748:                            ;   in Loop: Header=BB948_696 Depth=2
	s_or_b32 exec_lo, exec_lo, s17
	v_lshrrev_b32_e32 v194, 16, v9
	; wave barrier
	s_delay_alu instid0(VALU_DEP_1) | instskip(NEXT) | instid1(VALU_DEP_1)
	v_lshrrev_b32_e32 v2, s57, v194
	v_and_b32_e32 v2, s43, v2
	s_delay_alu instid0(VALU_DEP_1)
	v_and_b32_e32 v3, 1, v2
	v_lshlrev_b32_e32 v4, 30, v2
	v_lshlrev_b32_e32 v5, 29, v2
	;; [unrolled: 1-line block ×4, first 2 shown]
	v_add_co_u32 v3, s17, v3, -1
	s_delay_alu instid0(VALU_DEP_1)
	v_cndmask_b32_e64 v7, 0, 1, s17
	v_not_b32_e32 v199, v4
	v_cmp_gt_i32_e64 s17, 0, v4
	v_not_b32_e32 v4, v5
	v_lshlrev_b32_e32 v46, 26, v2
	v_cmp_ne_u32_e32 vcc_lo, 0, v7
	v_ashrrev_i32_e32 v199, 31, v199
	v_lshlrev_b32_e32 v198, 25, v2
	v_ashrrev_i32_e32 v4, 31, v4
	v_lshlrev_b32_e32 v7, 24, v2
	v_xor_b32_e32 v3, vcc_lo, v3
	v_cmp_gt_i32_e32 vcc_lo, 0, v5
	v_not_b32_e32 v5, v6
	v_xor_b32_e32 v199, s17, v199
	v_cmp_gt_i32_e64 s17, 0, v6
	v_and_b32_e32 v3, exec_lo, v3
	v_not_b32_e32 v6, v45
	v_ashrrev_i32_e32 v5, 31, v5
	v_xor_b32_e32 v4, vcc_lo, v4
	v_cmp_gt_i32_e32 vcc_lo, 0, v45
	v_and_b32_e32 v3, v3, v199
	v_not_b32_e32 v45, v46
	v_ashrrev_i32_e32 v6, 31, v6
	v_xor_b32_e32 v5, s17, v5
	v_cmp_gt_i32_e64 s17, 0, v46
	v_and_b32_e32 v3, v3, v4
	v_not_b32_e32 v4, v198
	v_ashrrev_i32_e32 v45, 31, v45
	v_xor_b32_e32 v6, vcc_lo, v6
	v_cmp_gt_i32_e32 vcc_lo, 0, v198
	v_and_b32_e32 v3, v3, v5
	v_not_b32_e32 v5, v7
	v_ashrrev_i32_e32 v4, 31, v4
	v_xor_b32_e32 v45, s17, v45
	v_mul_u32_u24_e32 v2, 9, v2
	v_and_b32_e32 v3, v3, v6
	v_cmp_gt_i32_e64 s17, 0, v7
	v_ashrrev_i32_e32 v5, 31, v5
	v_xor_b32_e32 v4, vcc_lo, v4
	v_add_lshl_u32 v6, v2, v122, 2
	v_and_b32_e32 v3, v3, v45
	s_delay_alu instid0(VALU_DEP_4) | instskip(SKIP_3) | instid1(VALU_DEP_2)
	v_xor_b32_e32 v2, s17, v5
	ds_load_b32 v198, v6 offset:1056
	v_and_b32_e32 v3, v3, v4
	v_add_nc_u32_e32 v200, 0x420, v6
	; wave barrier
	v_and_b32_e32 v2, v3, v2
	s_delay_alu instid0(VALU_DEP_1) | instskip(SKIP_1) | instid1(VALU_DEP_2)
	v_mbcnt_lo_u32_b32 v199, v2, 0
	v_cmp_ne_u32_e64 s17, 0, v2
	v_cmp_eq_u32_e32 vcc_lo, 0, v199
	s_delay_alu instid0(VALU_DEP_2) | instskip(NEXT) | instid1(SALU_CYCLE_1)
	s_and_b32 s18, s17, vcc_lo
	s_and_saveexec_b32 s17, s18
	s_cbranch_execz .LBB948_750
; %bb.749:                              ;   in Loop: Header=BB948_696 Depth=2
	s_waitcnt lgkmcnt(0)
	v_bcnt_u32_b32 v2, v2, v198
	ds_store_b32 v200, v2
.LBB948_750:                            ;   in Loop: Header=BB948_696 Depth=2
	s_or_b32 exec_lo, exec_lo, s17
	; wave barrier
	s_waitcnt lgkmcnt(0)
	s_barrier
	buffer_gl0_inv
	ds_load_b32 v201, v73 offset:1056
	ds_load_2addr_b32 v[45:46], v75 offset0:1 offset1:2
	ds_load_2addr_b32 v[6:7], v75 offset0:3 offset1:4
	;; [unrolled: 1-line block ×4, first 2 shown]
	s_waitcnt lgkmcnt(3)
	v_add3_u32 v202, v45, v201, v46
	s_waitcnt lgkmcnt(2)
	s_delay_alu instid0(VALU_DEP_1) | instskip(SKIP_1) | instid1(VALU_DEP_1)
	v_add3_u32 v202, v202, v6, v7
	s_waitcnt lgkmcnt(1)
	v_add3_u32 v202, v202, v2, v3
	s_waitcnt lgkmcnt(0)
	s_delay_alu instid0(VALU_DEP_1) | instskip(NEXT) | instid1(VALU_DEP_1)
	v_add3_u32 v5, v202, v4, v5
	v_mov_b32_dpp v202, v5 row_shr:1 row_mask:0xf bank_mask:0xf
	s_delay_alu instid0(VALU_DEP_1) | instskip(NEXT) | instid1(VALU_DEP_1)
	v_cndmask_b32_e64 v202, v202, 0, s1
	v_add_nc_u32_e32 v5, v202, v5
	s_delay_alu instid0(VALU_DEP_1) | instskip(NEXT) | instid1(VALU_DEP_1)
	v_mov_b32_dpp v202, v5 row_shr:2 row_mask:0xf bank_mask:0xf
	v_cndmask_b32_e64 v202, 0, v202, s7
	s_delay_alu instid0(VALU_DEP_1) | instskip(NEXT) | instid1(VALU_DEP_1)
	v_add_nc_u32_e32 v5, v5, v202
	v_mov_b32_dpp v202, v5 row_shr:4 row_mask:0xf bank_mask:0xf
	s_delay_alu instid0(VALU_DEP_1) | instskip(NEXT) | instid1(VALU_DEP_1)
	v_cndmask_b32_e64 v202, 0, v202, s8
	v_add_nc_u32_e32 v5, v5, v202
	s_delay_alu instid0(VALU_DEP_1) | instskip(NEXT) | instid1(VALU_DEP_1)
	v_mov_b32_dpp v202, v5 row_shr:8 row_mask:0xf bank_mask:0xf
	v_cndmask_b32_e64 v202, 0, v202, s9
	s_delay_alu instid0(VALU_DEP_1) | instskip(SKIP_3) | instid1(VALU_DEP_1)
	v_add_nc_u32_e32 v5, v5, v202
	ds_swizzle_b32 v202, v5 offset:swizzle(BROADCAST,32,15)
	s_waitcnt lgkmcnt(0)
	v_cndmask_b32_e64 v202, v202, 0, s10
	v_add_nc_u32_e32 v5, v5, v202
	s_and_saveexec_b32 s17, s3
	s_cbranch_execz .LBB948_752
; %bb.751:                              ;   in Loop: Header=BB948_696 Depth=2
	ds_store_b32 v65, v5 offset:1024
.LBB948_752:                            ;   in Loop: Header=BB948_696 Depth=2
	s_or_b32 exec_lo, exec_lo, s17
	s_waitcnt lgkmcnt(0)
	s_barrier
	buffer_gl0_inv
	s_and_saveexec_b32 s17, s4
	s_cbranch_execz .LBB948_754
; %bb.753:                              ;   in Loop: Header=BB948_696 Depth=2
	ds_load_b32 v202, v76 offset:1024
	s_waitcnt lgkmcnt(0)
	v_mov_b32_dpp v203, v202 row_shr:1 row_mask:0xf bank_mask:0xf
	s_delay_alu instid0(VALU_DEP_1) | instskip(NEXT) | instid1(VALU_DEP_1)
	v_cndmask_b32_e64 v203, v203, 0, s12
	v_add_nc_u32_e32 v202, v203, v202
	s_delay_alu instid0(VALU_DEP_1) | instskip(NEXT) | instid1(VALU_DEP_1)
	v_mov_b32_dpp v203, v202 row_shr:2 row_mask:0xf bank_mask:0xf
	v_cndmask_b32_e64 v203, 0, v203, s13
	s_delay_alu instid0(VALU_DEP_1) | instskip(NEXT) | instid1(VALU_DEP_1)
	v_add_nc_u32_e32 v202, v202, v203
	v_mov_b32_dpp v203, v202 row_shr:4 row_mask:0xf bank_mask:0xf
	s_delay_alu instid0(VALU_DEP_1) | instskip(NEXT) | instid1(VALU_DEP_1)
	v_cndmask_b32_e64 v203, 0, v203, s16
	v_add_nc_u32_e32 v202, v202, v203
	ds_store_b32 v76, v202 offset:1024
.LBB948_754:                            ;   in Loop: Header=BB948_696 Depth=2
	s_or_b32 exec_lo, exec_lo, s17
	v_mov_b32_e32 v202, 0
	s_waitcnt lgkmcnt(0)
	s_barrier
	buffer_gl0_inv
	s_and_saveexec_b32 s17, s5
	s_cbranch_execz .LBB948_756
; %bb.755:                              ;   in Loop: Header=BB948_696 Depth=2
	ds_load_b32 v202, v65 offset:1020
.LBB948_756:                            ;   in Loop: Header=BB948_696 Depth=2
	s_or_b32 exec_lo, exec_lo, s17
	s_waitcnt lgkmcnt(0)
	v_add_nc_u32_e32 v5, v202, v5
	ds_bpermute_b32 v5, v101, v5
	s_waitcnt lgkmcnt(0)
	v_cndmask_b32_e64 v5, v5, v202, s11
	s_delay_alu instid0(VALU_DEP_1) | instskip(NEXT) | instid1(VALU_DEP_1)
	v_cndmask_b32_e64 v5, v5, 0, s0
	v_add_nc_u32_e32 v201, v5, v201
	s_delay_alu instid0(VALU_DEP_1) | instskip(NEXT) | instid1(VALU_DEP_1)
	v_add_nc_u32_e32 v45, v201, v45
	v_add_nc_u32_e32 v46, v45, v46
	s_delay_alu instid0(VALU_DEP_1) | instskip(NEXT) | instid1(VALU_DEP_1)
	v_add_nc_u32_e32 v6, v46, v6
	;; [unrolled: 3-line block ×3, first 2 shown]
	v_add_nc_u32_e32 v3, v2, v3
	s_delay_alu instid0(VALU_DEP_1)
	v_add_nc_u32_e32 v4, v3, v4
	ds_store_b32 v73, v5 offset:1056
	ds_store_2addr_b32 v75, v201, v45 offset0:1 offset1:2
	ds_store_2addr_b32 v75, v46, v6 offset0:3 offset1:4
	;; [unrolled: 1-line block ×4, first 2 shown]
	v_mov_b32_e32 v4, 0x1000
	s_waitcnt lgkmcnt(0)
	s_barrier
	buffer_gl0_inv
	ds_load_b32 v5, v147
	ds_load_b32 v6, v151
	;; [unrolled: 1-line block ×16, first 2 shown]
	ds_load_b32 v151, v73 offset:1056
	s_and_saveexec_b32 s17, s6
	s_cbranch_execz .LBB948_758
; %bb.757:                              ;   in Loop: Header=BB948_696 Depth=2
	ds_load_b32 v4, v77 offset:1056
.LBB948_758:                            ;   in Loop: Header=BB948_696 Depth=2
	s_or_b32 exec_lo, exec_lo, s17
	s_waitcnt lgkmcnt(0)
	s_barrier
	buffer_gl0_inv
	s_and_saveexec_b32 s17, s2
	s_cbranch_execz .LBB948_760
; %bb.759:                              ;   in Loop: Header=BB948_696 Depth=2
	ds_load_b32 v155, v47
	s_waitcnt lgkmcnt(0)
	v_sub_nc_u32_e32 v151, v155, v151
	ds_store_b32 v47, v151
.LBB948_760:                            ;   in Loop: Header=BB948_696 Depth=2
	s_or_b32 exec_lo, exec_lo, s17
	v_add_nc_u32_e32 v159, v143, v141
	v_add3_u32 v155, v146, v145, v5
	v_add3_u32 v151, v150, v149, v6
	;; [unrolled: 1-line block ×4, first 2 shown]
	v_lshlrev_b32_e32 v153, 1, v159
	v_add3_u32 v45, v192, v191, v2
	v_lshlrev_b32_e32 v2, 1, v155
	v_add3_u32 v149, v158, v157, v46
	v_add3_u32 v146, v166, v165, v163
	;; [unrolled: 1-line block ×5, first 2 shown]
	ds_store_b16 v153, v19 offset:1024
	v_lshlrev_b32_e32 v3, 1, v151
	ds_store_b16 v2, v142 offset:1024
	v_lshlrev_b32_e32 v2, 1, v147
	v_add3_u32 v143, v174, v173, v171
	v_lshlrev_b32_e32 v19, 1, v150
	v_add3_u32 v141, v178, v177, v175
	;; [unrolled: 2-line block ×3, first 2 shown]
	v_add3_u32 v6, v186, v185, v183
	ds_store_b16 v3, v144 offset:1024
	ds_store_b16 v19, v148 offset:1024
	;; [unrolled: 1-line block ×3, first 2 shown]
	v_lshlrev_b32_e32 v3, 1, v146
	ds_store_b16 v2, v156 offset:1024
	v_lshlrev_b32_e32 v2, 1, v145
	v_lshlrev_b32_e32 v19, 1, v143
	;; [unrolled: 1-line block ×3, first 2 shown]
	v_add3_u32 v7, v199, v198, v7
	ds_store_b16 v3, v160 offset:1024
	v_lshlrev_b32_e32 v3, 1, v46
	ds_store_b16 v2, v164 offset:1024
	ds_store_b16 v19, v168 offset:1024
	;; [unrolled: 1-line block ×3, first 2 shown]
	v_lshlrev_b32_e32 v2, 1, v6
	v_cmp_lt_u32_e32 vcc_lo, v18, v0
	v_lshlrev_b32_e32 v19, 1, v45
	ds_store_b16 v3, v176 offset:1024
	v_lshlrev_b32_e32 v3, 1, v5
	ds_store_b16 v2, v180 offset:1024
	v_lshlrev_b32_e32 v2, 1, v7
	v_lshlrev_b32_e32 v142, 1, v8
	ds_store_b16 v3, v184 offset:1024
	ds_store_b16 v19, v188 offset:1024
	;; [unrolled: 1-line block ×4, first 2 shown]
	s_waitcnt lgkmcnt(0)
	s_barrier
	buffer_gl0_inv
	s_and_saveexec_b32 s18, vcc_lo
	s_cbranch_execz .LBB948_776
; %bb.761:                              ;   in Loop: Header=BB948_696 Depth=2
	v_add_nc_u32_e32 v2, v76, v82
	ds_load_u16 v142, v2 offset:1024
	s_waitcnt lgkmcnt(0)
	v_and_b32_e32 v2, 0xffff, v142
	s_delay_alu instid0(VALU_DEP_1) | instskip(NEXT) | instid1(VALU_DEP_1)
	v_lshrrev_b32_e32 v2, s57, v2
	v_and_b32_e32 v2, s43, v2
	s_delay_alu instid0(VALU_DEP_1) | instskip(SKIP_3) | instid1(VALU_DEP_1)
	v_lshlrev_b32_e32 v2, 2, v2
	ds_load_b32 v2, v2
	s_waitcnt lgkmcnt(0)
	v_add_nc_u32_e32 v19, v2, v18
	v_lshlrev_b64 v[2:3], 1, v[19:20]
	v_xor_b32_e32 v19, 0x7fff, v142
	s_delay_alu instid0(VALU_DEP_2) | instskip(NEXT) | instid1(VALU_DEP_1)
	v_add_co_u32 v2, s17, s38, v2
	v_add_co_ci_u32_e64 v3, s17, s39, v3, s17
	global_store_b16 v[2:3], v19, off
	s_or_b32 exec_lo, exec_lo, s18
	v_cmp_lt_u32_e64 s17, v48, v0
	s_delay_alu instid0(VALU_DEP_1)
	s_and_saveexec_b32 s19, s17
	s_cbranch_execnz .LBB948_777
.LBB948_762:                            ;   in Loop: Header=BB948_696 Depth=2
	s_or_b32 exec_lo, exec_lo, s19
	v_cmp_lt_u32_e64 s18, v49, v0
	s_delay_alu instid0(VALU_DEP_1)
	s_and_saveexec_b32 s20, s18
	s_cbranch_execz .LBB948_778
.LBB948_763:                            ;   in Loop: Header=BB948_696 Depth=2
	ds_load_u16 v142, v83 offset:1024
	s_waitcnt lgkmcnt(0)
	v_and_b32_e32 v2, 0xffff, v142
	s_delay_alu instid0(VALU_DEP_1) | instskip(NEXT) | instid1(VALU_DEP_1)
	v_lshrrev_b32_e32 v2, s57, v2
	v_and_b32_e32 v2, s43, v2
	s_delay_alu instid0(VALU_DEP_1) | instskip(SKIP_3) | instid1(VALU_DEP_1)
	v_lshlrev_b32_e32 v2, 2, v2
	ds_load_b32 v2, v2
	s_waitcnt lgkmcnt(0)
	v_add_nc_u32_e32 v19, v2, v49
	v_lshlrev_b64 v[2:3], 1, v[19:20]
	v_xor_b32_e32 v19, 0x7fff, v142
	s_delay_alu instid0(VALU_DEP_2) | instskip(NEXT) | instid1(VALU_DEP_1)
	v_add_co_u32 v2, s19, s38, v2
	v_add_co_ci_u32_e64 v3, s19, s39, v3, s19
	global_store_b16 v[2:3], v19, off
	s_or_b32 exec_lo, exec_lo, s20
	v_cmp_lt_u32_e64 s19, v50, v0
	s_delay_alu instid0(VALU_DEP_1)
	s_and_saveexec_b32 s21, s19
	s_cbranch_execnz .LBB948_779
.LBB948_764:                            ;   in Loop: Header=BB948_696 Depth=2
	s_or_b32 exec_lo, exec_lo, s21
	v_cmp_lt_u32_e64 s20, v54, v0
	s_delay_alu instid0(VALU_DEP_1)
	s_and_saveexec_b32 s22, s20
	s_cbranch_execz .LBB948_780
.LBB948_765:                            ;   in Loop: Header=BB948_696 Depth=2
	ds_load_u16 v142, v83 offset:2048
	s_waitcnt lgkmcnt(0)
	v_and_b32_e32 v2, 0xffff, v142
	s_delay_alu instid0(VALU_DEP_1) | instskip(NEXT) | instid1(VALU_DEP_1)
	v_lshrrev_b32_e32 v2, s57, v2
	v_and_b32_e32 v2, s43, v2
	s_delay_alu instid0(VALU_DEP_1) | instskip(SKIP_3) | instid1(VALU_DEP_1)
	v_lshlrev_b32_e32 v2, 2, v2
	ds_load_b32 v2, v2
	s_waitcnt lgkmcnt(0)
	v_add_nc_u32_e32 v19, v2, v54
	v_lshlrev_b64 v[2:3], 1, v[19:20]
	v_xor_b32_e32 v19, 0x7fff, v142
	s_delay_alu instid0(VALU_DEP_2) | instskip(NEXT) | instid1(VALU_DEP_1)
	v_add_co_u32 v2, s21, s38, v2
	v_add_co_ci_u32_e64 v3, s21, s39, v3, s21
	global_store_b16 v[2:3], v19, off
	s_or_b32 exec_lo, exec_lo, s22
	v_cmp_lt_u32_e64 s21, v55, v0
	s_delay_alu instid0(VALU_DEP_1)
	s_and_saveexec_b32 s23, s21
	s_cbranch_execnz .LBB948_781
.LBB948_766:                            ;   in Loop: Header=BB948_696 Depth=2
	s_or_b32 exec_lo, exec_lo, s23
	v_cmp_lt_u32_e64 s22, v56, v0
	s_delay_alu instid0(VALU_DEP_1)
	s_and_saveexec_b32 s24, s22
	s_cbranch_execz .LBB948_782
.LBB948_767:                            ;   in Loop: Header=BB948_696 Depth=2
	ds_load_u16 v142, v83 offset:3072
	s_waitcnt lgkmcnt(0)
	v_and_b32_e32 v2, 0xffff, v142
	s_delay_alu instid0(VALU_DEP_1) | instskip(NEXT) | instid1(VALU_DEP_1)
	v_lshrrev_b32_e32 v2, s57, v2
	v_and_b32_e32 v2, s43, v2
	s_delay_alu instid0(VALU_DEP_1) | instskip(SKIP_3) | instid1(VALU_DEP_1)
	v_lshlrev_b32_e32 v2, 2, v2
	ds_load_b32 v2, v2
	s_waitcnt lgkmcnt(0)
	v_add_nc_u32_e32 v19, v2, v56
	v_lshlrev_b64 v[2:3], 1, v[19:20]
	v_xor_b32_e32 v19, 0x7fff, v142
	s_delay_alu instid0(VALU_DEP_2) | instskip(NEXT) | instid1(VALU_DEP_1)
	v_add_co_u32 v2, s23, s38, v2
	v_add_co_ci_u32_e64 v3, s23, s39, v3, s23
	global_store_b16 v[2:3], v19, off
	s_or_b32 exec_lo, exec_lo, s24
	v_cmp_lt_u32_e64 s23, v57, v0
	s_delay_alu instid0(VALU_DEP_1)
	s_and_saveexec_b32 s25, s23
	s_cbranch_execnz .LBB948_783
.LBB948_768:                            ;   in Loop: Header=BB948_696 Depth=2
	s_or_b32 exec_lo, exec_lo, s25
	v_cmp_lt_u32_e64 s24, v58, v0
	s_delay_alu instid0(VALU_DEP_1)
	s_and_saveexec_b32 s26, s24
	s_cbranch_execz .LBB948_784
.LBB948_769:                            ;   in Loop: Header=BB948_696 Depth=2
	ds_load_u16 v142, v83 offset:4096
	s_waitcnt lgkmcnt(0)
	v_and_b32_e32 v2, 0xffff, v142
	s_delay_alu instid0(VALU_DEP_1) | instskip(NEXT) | instid1(VALU_DEP_1)
	v_lshrrev_b32_e32 v2, s57, v2
	v_and_b32_e32 v2, s43, v2
	s_delay_alu instid0(VALU_DEP_1) | instskip(SKIP_3) | instid1(VALU_DEP_1)
	v_lshlrev_b32_e32 v2, 2, v2
	ds_load_b32 v2, v2
	s_waitcnt lgkmcnt(0)
	v_add_nc_u32_e32 v19, v2, v58
	v_lshlrev_b64 v[2:3], 1, v[19:20]
	v_xor_b32_e32 v19, 0x7fff, v142
	s_delay_alu instid0(VALU_DEP_2) | instskip(NEXT) | instid1(VALU_DEP_1)
	v_add_co_u32 v2, s25, s38, v2
	v_add_co_ci_u32_e64 v3, s25, s39, v3, s25
	global_store_b16 v[2:3], v19, off
	s_or_b32 exec_lo, exec_lo, s26
	v_cmp_lt_u32_e64 s25, v59, v0
	s_delay_alu instid0(VALU_DEP_1)
	s_and_saveexec_b32 s27, s25
	s_cbranch_execnz .LBB948_785
.LBB948_770:                            ;   in Loop: Header=BB948_696 Depth=2
	s_or_b32 exec_lo, exec_lo, s27
	v_cmp_lt_u32_e64 s26, v60, v0
	s_delay_alu instid0(VALU_DEP_1)
	s_and_saveexec_b32 s28, s26
	s_cbranch_execz .LBB948_786
.LBB948_771:                            ;   in Loop: Header=BB948_696 Depth=2
	ds_load_u16 v142, v83 offset:5120
	s_waitcnt lgkmcnt(0)
	v_and_b32_e32 v2, 0xffff, v142
	s_delay_alu instid0(VALU_DEP_1) | instskip(NEXT) | instid1(VALU_DEP_1)
	v_lshrrev_b32_e32 v2, s57, v2
	v_and_b32_e32 v2, s43, v2
	s_delay_alu instid0(VALU_DEP_1) | instskip(SKIP_3) | instid1(VALU_DEP_1)
	v_lshlrev_b32_e32 v2, 2, v2
	ds_load_b32 v2, v2
	s_waitcnt lgkmcnt(0)
	v_add_nc_u32_e32 v19, v2, v60
	v_lshlrev_b64 v[2:3], 1, v[19:20]
	v_xor_b32_e32 v19, 0x7fff, v142
	s_delay_alu instid0(VALU_DEP_2) | instskip(NEXT) | instid1(VALU_DEP_1)
	v_add_co_u32 v2, s27, s38, v2
	v_add_co_ci_u32_e64 v3, s27, s39, v3, s27
	global_store_b16 v[2:3], v19, off
	s_or_b32 exec_lo, exec_lo, s28
	v_cmp_lt_u32_e64 s27, v61, v0
	s_delay_alu instid0(VALU_DEP_1)
	s_and_saveexec_b32 s29, s27
	s_cbranch_execnz .LBB948_787
.LBB948_772:                            ;   in Loop: Header=BB948_696 Depth=2
	s_or_b32 exec_lo, exec_lo, s29
	v_cmp_lt_u32_e64 s28, v62, v0
	s_delay_alu instid0(VALU_DEP_1)
	s_and_saveexec_b32 s30, s28
	s_cbranch_execz .LBB948_788
.LBB948_773:                            ;   in Loop: Header=BB948_696 Depth=2
	ds_load_u16 v142, v83 offset:6144
	s_waitcnt lgkmcnt(0)
	v_and_b32_e32 v2, 0xffff, v142
	s_delay_alu instid0(VALU_DEP_1) | instskip(NEXT) | instid1(VALU_DEP_1)
	v_lshrrev_b32_e32 v2, s57, v2
	v_and_b32_e32 v2, s43, v2
	s_delay_alu instid0(VALU_DEP_1) | instskip(SKIP_3) | instid1(VALU_DEP_1)
	v_lshlrev_b32_e32 v2, 2, v2
	ds_load_b32 v2, v2
	s_waitcnt lgkmcnt(0)
	v_add_nc_u32_e32 v19, v2, v62
	v_lshlrev_b64 v[2:3], 1, v[19:20]
	v_xor_b32_e32 v19, 0x7fff, v142
	s_delay_alu instid0(VALU_DEP_2) | instskip(NEXT) | instid1(VALU_DEP_1)
	v_add_co_u32 v2, s29, s38, v2
	v_add_co_ci_u32_e64 v3, s29, s39, v3, s29
	global_store_b16 v[2:3], v19, off
	s_or_b32 exec_lo, exec_lo, s30
	v_cmp_lt_u32_e64 s29, v63, v0
	s_delay_alu instid0(VALU_DEP_1)
	s_and_saveexec_b32 s31, s29
	s_cbranch_execnz .LBB948_789
.LBB948_774:                            ;   in Loop: Header=BB948_696 Depth=2
	s_or_b32 exec_lo, exec_lo, s31
	v_cmp_lt_u32_e64 s30, v64, v0
	s_delay_alu instid0(VALU_DEP_1)
	s_and_saveexec_b32 s33, s30
	s_cbranch_execz .LBB948_790
.LBB948_775:                            ;   in Loop: Header=BB948_696 Depth=2
	ds_load_u16 v142, v83 offset:7168
	s_waitcnt lgkmcnt(0)
	v_and_b32_e32 v2, 0xffff, v142
	s_delay_alu instid0(VALU_DEP_1) | instskip(NEXT) | instid1(VALU_DEP_1)
	v_lshrrev_b32_e32 v2, s57, v2
	v_and_b32_e32 v2, s43, v2
	s_delay_alu instid0(VALU_DEP_1) | instskip(SKIP_3) | instid1(VALU_DEP_1)
	v_lshlrev_b32_e32 v2, 2, v2
	ds_load_b32 v2, v2
	s_waitcnt lgkmcnt(0)
	v_add_nc_u32_e32 v19, v2, v64
	v_lshlrev_b64 v[2:3], 1, v[19:20]
	v_xor_b32_e32 v19, 0x7fff, v142
	s_delay_alu instid0(VALU_DEP_2) | instskip(NEXT) | instid1(VALU_DEP_1)
	v_add_co_u32 v2, s31, s38, v2
	v_add_co_ci_u32_e64 v3, s31, s39, v3, s31
	global_store_b16 v[2:3], v19, off
	s_or_b32 exec_lo, exec_lo, s33
	v_cmp_lt_u32_e64 s31, v66, v0
	s_delay_alu instid0(VALU_DEP_1)
	s_and_saveexec_b32 s45, s31
	s_cbranch_execnz .LBB948_791
	s_branch .LBB948_792
.LBB948_776:                            ;   in Loop: Header=BB948_696 Depth=2
	s_or_b32 exec_lo, exec_lo, s18
	v_cmp_lt_u32_e64 s17, v48, v0
	s_delay_alu instid0(VALU_DEP_1)
	s_and_saveexec_b32 s19, s17
	s_cbranch_execz .LBB948_762
.LBB948_777:                            ;   in Loop: Header=BB948_696 Depth=2
	ds_load_u16 v142, v83 offset:512
	s_waitcnt lgkmcnt(0)
	v_and_b32_e32 v2, 0xffff, v142
	s_delay_alu instid0(VALU_DEP_1) | instskip(NEXT) | instid1(VALU_DEP_1)
	v_lshrrev_b32_e32 v2, s57, v2
	v_and_b32_e32 v2, s43, v2
	s_delay_alu instid0(VALU_DEP_1) | instskip(SKIP_3) | instid1(VALU_DEP_1)
	v_lshlrev_b32_e32 v2, 2, v2
	ds_load_b32 v2, v2
	s_waitcnt lgkmcnt(0)
	v_add_nc_u32_e32 v19, v2, v48
	v_lshlrev_b64 v[2:3], 1, v[19:20]
	v_xor_b32_e32 v19, 0x7fff, v142
	s_delay_alu instid0(VALU_DEP_2) | instskip(NEXT) | instid1(VALU_DEP_1)
	v_add_co_u32 v2, s18, s38, v2
	v_add_co_ci_u32_e64 v3, s18, s39, v3, s18
	global_store_b16 v[2:3], v19, off
	s_or_b32 exec_lo, exec_lo, s19
	v_cmp_lt_u32_e64 s18, v49, v0
	s_delay_alu instid0(VALU_DEP_1)
	s_and_saveexec_b32 s20, s18
	s_cbranch_execnz .LBB948_763
.LBB948_778:                            ;   in Loop: Header=BB948_696 Depth=2
	s_or_b32 exec_lo, exec_lo, s20
	v_cmp_lt_u32_e64 s19, v50, v0
	s_delay_alu instid0(VALU_DEP_1)
	s_and_saveexec_b32 s21, s19
	s_cbranch_execz .LBB948_764
.LBB948_779:                            ;   in Loop: Header=BB948_696 Depth=2
	ds_load_u16 v142, v83 offset:1536
	s_waitcnt lgkmcnt(0)
	v_and_b32_e32 v2, 0xffff, v142
	s_delay_alu instid0(VALU_DEP_1) | instskip(NEXT) | instid1(VALU_DEP_1)
	v_lshrrev_b32_e32 v2, s57, v2
	v_and_b32_e32 v2, s43, v2
	s_delay_alu instid0(VALU_DEP_1) | instskip(SKIP_3) | instid1(VALU_DEP_1)
	v_lshlrev_b32_e32 v2, 2, v2
	ds_load_b32 v2, v2
	s_waitcnt lgkmcnt(0)
	v_add_nc_u32_e32 v19, v2, v50
	v_lshlrev_b64 v[2:3], 1, v[19:20]
	v_xor_b32_e32 v19, 0x7fff, v142
	s_delay_alu instid0(VALU_DEP_2) | instskip(NEXT) | instid1(VALU_DEP_1)
	v_add_co_u32 v2, s20, s38, v2
	v_add_co_ci_u32_e64 v3, s20, s39, v3, s20
	global_store_b16 v[2:3], v19, off
	s_or_b32 exec_lo, exec_lo, s21
	v_cmp_lt_u32_e64 s20, v54, v0
	s_delay_alu instid0(VALU_DEP_1)
	s_and_saveexec_b32 s22, s20
	s_cbranch_execnz .LBB948_765
.LBB948_780:                            ;   in Loop: Header=BB948_696 Depth=2
	s_or_b32 exec_lo, exec_lo, s22
	v_cmp_lt_u32_e64 s21, v55, v0
	s_delay_alu instid0(VALU_DEP_1)
	s_and_saveexec_b32 s23, s21
	s_cbranch_execz .LBB948_766
.LBB948_781:                            ;   in Loop: Header=BB948_696 Depth=2
	ds_load_u16 v142, v83 offset:2560
	s_waitcnt lgkmcnt(0)
	v_and_b32_e32 v2, 0xffff, v142
	s_delay_alu instid0(VALU_DEP_1) | instskip(NEXT) | instid1(VALU_DEP_1)
	v_lshrrev_b32_e32 v2, s57, v2
	v_and_b32_e32 v2, s43, v2
	s_delay_alu instid0(VALU_DEP_1) | instskip(SKIP_3) | instid1(VALU_DEP_1)
	v_lshlrev_b32_e32 v2, 2, v2
	ds_load_b32 v2, v2
	s_waitcnt lgkmcnt(0)
	v_add_nc_u32_e32 v19, v2, v55
	v_lshlrev_b64 v[2:3], 1, v[19:20]
	v_xor_b32_e32 v19, 0x7fff, v142
	s_delay_alu instid0(VALU_DEP_2) | instskip(NEXT) | instid1(VALU_DEP_1)
	v_add_co_u32 v2, s22, s38, v2
	v_add_co_ci_u32_e64 v3, s22, s39, v3, s22
	global_store_b16 v[2:3], v19, off
	s_or_b32 exec_lo, exec_lo, s23
	v_cmp_lt_u32_e64 s22, v56, v0
	s_delay_alu instid0(VALU_DEP_1)
	s_and_saveexec_b32 s24, s22
	s_cbranch_execnz .LBB948_767
.LBB948_782:                            ;   in Loop: Header=BB948_696 Depth=2
	s_or_b32 exec_lo, exec_lo, s24
	v_cmp_lt_u32_e64 s23, v57, v0
	s_delay_alu instid0(VALU_DEP_1)
	s_and_saveexec_b32 s25, s23
	s_cbranch_execz .LBB948_768
.LBB948_783:                            ;   in Loop: Header=BB948_696 Depth=2
	ds_load_u16 v142, v83 offset:3584
	s_waitcnt lgkmcnt(0)
	v_and_b32_e32 v2, 0xffff, v142
	s_delay_alu instid0(VALU_DEP_1) | instskip(NEXT) | instid1(VALU_DEP_1)
	v_lshrrev_b32_e32 v2, s57, v2
	v_and_b32_e32 v2, s43, v2
	s_delay_alu instid0(VALU_DEP_1) | instskip(SKIP_3) | instid1(VALU_DEP_1)
	v_lshlrev_b32_e32 v2, 2, v2
	ds_load_b32 v2, v2
	s_waitcnt lgkmcnt(0)
	v_add_nc_u32_e32 v19, v2, v57
	v_lshlrev_b64 v[2:3], 1, v[19:20]
	v_xor_b32_e32 v19, 0x7fff, v142
	s_delay_alu instid0(VALU_DEP_2) | instskip(NEXT) | instid1(VALU_DEP_1)
	v_add_co_u32 v2, s24, s38, v2
	v_add_co_ci_u32_e64 v3, s24, s39, v3, s24
	global_store_b16 v[2:3], v19, off
	s_or_b32 exec_lo, exec_lo, s25
	v_cmp_lt_u32_e64 s24, v58, v0
	s_delay_alu instid0(VALU_DEP_1)
	s_and_saveexec_b32 s26, s24
	s_cbranch_execnz .LBB948_769
.LBB948_784:                            ;   in Loop: Header=BB948_696 Depth=2
	s_or_b32 exec_lo, exec_lo, s26
	v_cmp_lt_u32_e64 s25, v59, v0
	s_delay_alu instid0(VALU_DEP_1)
	s_and_saveexec_b32 s27, s25
	s_cbranch_execz .LBB948_770
.LBB948_785:                            ;   in Loop: Header=BB948_696 Depth=2
	ds_load_u16 v142, v83 offset:4608
	s_waitcnt lgkmcnt(0)
	v_and_b32_e32 v2, 0xffff, v142
	s_delay_alu instid0(VALU_DEP_1) | instskip(NEXT) | instid1(VALU_DEP_1)
	v_lshrrev_b32_e32 v2, s57, v2
	v_and_b32_e32 v2, s43, v2
	s_delay_alu instid0(VALU_DEP_1) | instskip(SKIP_3) | instid1(VALU_DEP_1)
	v_lshlrev_b32_e32 v2, 2, v2
	ds_load_b32 v2, v2
	s_waitcnt lgkmcnt(0)
	v_add_nc_u32_e32 v19, v2, v59
	v_lshlrev_b64 v[2:3], 1, v[19:20]
	v_xor_b32_e32 v19, 0x7fff, v142
	s_delay_alu instid0(VALU_DEP_2) | instskip(NEXT) | instid1(VALU_DEP_1)
	v_add_co_u32 v2, s26, s38, v2
	v_add_co_ci_u32_e64 v3, s26, s39, v3, s26
	global_store_b16 v[2:3], v19, off
	s_or_b32 exec_lo, exec_lo, s27
	v_cmp_lt_u32_e64 s26, v60, v0
	s_delay_alu instid0(VALU_DEP_1)
	s_and_saveexec_b32 s28, s26
	s_cbranch_execnz .LBB948_771
.LBB948_786:                            ;   in Loop: Header=BB948_696 Depth=2
	s_or_b32 exec_lo, exec_lo, s28
	v_cmp_lt_u32_e64 s27, v61, v0
	s_delay_alu instid0(VALU_DEP_1)
	s_and_saveexec_b32 s29, s27
	s_cbranch_execz .LBB948_772
.LBB948_787:                            ;   in Loop: Header=BB948_696 Depth=2
	ds_load_u16 v142, v83 offset:5632
	s_waitcnt lgkmcnt(0)
	v_and_b32_e32 v2, 0xffff, v142
	s_delay_alu instid0(VALU_DEP_1) | instskip(NEXT) | instid1(VALU_DEP_1)
	v_lshrrev_b32_e32 v2, s57, v2
	v_and_b32_e32 v2, s43, v2
	s_delay_alu instid0(VALU_DEP_1) | instskip(SKIP_3) | instid1(VALU_DEP_1)
	v_lshlrev_b32_e32 v2, 2, v2
	ds_load_b32 v2, v2
	s_waitcnt lgkmcnt(0)
	v_add_nc_u32_e32 v19, v2, v61
	v_lshlrev_b64 v[2:3], 1, v[19:20]
	v_xor_b32_e32 v19, 0x7fff, v142
	s_delay_alu instid0(VALU_DEP_2) | instskip(NEXT) | instid1(VALU_DEP_1)
	v_add_co_u32 v2, s28, s38, v2
	v_add_co_ci_u32_e64 v3, s28, s39, v3, s28
	global_store_b16 v[2:3], v19, off
	s_or_b32 exec_lo, exec_lo, s29
	v_cmp_lt_u32_e64 s28, v62, v0
	s_delay_alu instid0(VALU_DEP_1)
	s_and_saveexec_b32 s30, s28
	s_cbranch_execnz .LBB948_773
.LBB948_788:                            ;   in Loop: Header=BB948_696 Depth=2
	s_or_b32 exec_lo, exec_lo, s30
	v_cmp_lt_u32_e64 s29, v63, v0
	s_delay_alu instid0(VALU_DEP_1)
	s_and_saveexec_b32 s31, s29
	s_cbranch_execz .LBB948_774
.LBB948_789:                            ;   in Loop: Header=BB948_696 Depth=2
	ds_load_u16 v142, v83 offset:6656
	s_waitcnt lgkmcnt(0)
	v_and_b32_e32 v2, 0xffff, v142
	s_delay_alu instid0(VALU_DEP_1) | instskip(NEXT) | instid1(VALU_DEP_1)
	v_lshrrev_b32_e32 v2, s57, v2
	v_and_b32_e32 v2, s43, v2
	s_delay_alu instid0(VALU_DEP_1) | instskip(SKIP_3) | instid1(VALU_DEP_1)
	v_lshlrev_b32_e32 v2, 2, v2
	ds_load_b32 v2, v2
	s_waitcnt lgkmcnt(0)
	v_add_nc_u32_e32 v19, v2, v63
	v_lshlrev_b64 v[2:3], 1, v[19:20]
	v_xor_b32_e32 v19, 0x7fff, v142
	s_delay_alu instid0(VALU_DEP_2) | instskip(NEXT) | instid1(VALU_DEP_1)
	v_add_co_u32 v2, s30, s38, v2
	v_add_co_ci_u32_e64 v3, s30, s39, v3, s30
	global_store_b16 v[2:3], v19, off
	s_or_b32 exec_lo, exec_lo, s31
	v_cmp_lt_u32_e64 s30, v64, v0
	s_delay_alu instid0(VALU_DEP_1)
	s_and_saveexec_b32 s33, s30
	s_cbranch_execnz .LBB948_775
.LBB948_790:                            ;   in Loop: Header=BB948_696 Depth=2
	s_or_b32 exec_lo, exec_lo, s33
	v_cmp_lt_u32_e64 s31, v66, v0
	s_delay_alu instid0(VALU_DEP_1)
	s_and_saveexec_b32 s45, s31
	s_cbranch_execz .LBB948_792
.LBB948_791:                            ;   in Loop: Header=BB948_696 Depth=2
	ds_load_u16 v142, v83 offset:7680
	s_waitcnt lgkmcnt(0)
	v_and_b32_e32 v2, 0xffff, v142
	s_delay_alu instid0(VALU_DEP_1) | instskip(NEXT) | instid1(VALU_DEP_1)
	v_lshrrev_b32_e32 v2, s57, v2
	v_and_b32_e32 v2, s43, v2
	s_delay_alu instid0(VALU_DEP_1) | instskip(SKIP_3) | instid1(VALU_DEP_1)
	v_lshlrev_b32_e32 v2, 2, v2
	ds_load_b32 v2, v2
	s_waitcnt lgkmcnt(0)
	v_add_nc_u32_e32 v19, v2, v66
	v_lshlrev_b64 v[2:3], 1, v[19:20]
	v_xor_b32_e32 v19, 0x7fff, v142
	s_delay_alu instid0(VALU_DEP_2) | instskip(NEXT) | instid1(VALU_DEP_1)
	v_add_co_u32 v2, s33, s38, v2
	v_add_co_ci_u32_e64 v3, s33, s39, v3, s33
	global_store_b16 v[2:3], v19, off
.LBB948_792:                            ;   in Loop: Header=BB948_696 Depth=2
	s_or_b32 exec_lo, exec_lo, s45
	s_lshl_b64 s[46:47], s[34:35], 3
	s_delay_alu instid0(SALU_CYCLE_1) | instskip(NEXT) | instid1(VALU_DEP_1)
	v_add_co_u32 v2, s33, v103, s46
	v_add_co_ci_u32_e64 v3, s33, s47, v104, s33
	v_cmp_lt_u32_e64 s33, v102, v0
	s_delay_alu instid0(VALU_DEP_1) | instskip(NEXT) | instid1(SALU_CYCLE_1)
	s_and_saveexec_b32 s34, s33
	s_xor_b32 s33, exec_lo, s34
	s_cbranch_execz .LBB948_824
; %bb.793:                              ;   in Loop: Header=BB948_696 Depth=2
	global_load_b64 v[43:44], v[2:3], off
	s_or_b32 exec_lo, exec_lo, s33
	s_delay_alu instid0(SALU_CYCLE_1)
	s_mov_b32 s34, exec_lo
	v_cmpx_lt_u32_e64 v105, v0
	s_cbranch_execnz .LBB948_825
.LBB948_794:                            ;   in Loop: Header=BB948_696 Depth=2
	s_or_b32 exec_lo, exec_lo, s34
	s_delay_alu instid0(SALU_CYCLE_1)
	s_mov_b32 s34, exec_lo
	v_cmpx_lt_u32_e64 v106, v0
	s_cbranch_execz .LBB948_826
.LBB948_795:                            ;   in Loop: Header=BB948_696 Depth=2
	global_load_b64 v[39:40], v[2:3], off offset:512
	s_or_b32 exec_lo, exec_lo, s34
	s_delay_alu instid0(SALU_CYCLE_1)
	s_mov_b32 s34, exec_lo
	v_cmpx_lt_u32_e64 v107, v0
	s_cbranch_execnz .LBB948_827
.LBB948_796:                            ;   in Loop: Header=BB948_696 Depth=2
	s_or_b32 exec_lo, exec_lo, s34
	s_delay_alu instid0(SALU_CYCLE_1)
	s_mov_b32 s34, exec_lo
	v_cmpx_lt_u32_e64 v108, v0
	s_cbranch_execz .LBB948_828
.LBB948_797:                            ;   in Loop: Header=BB948_696 Depth=2
	global_load_b64 v[35:36], v[2:3], off offset:1024
	s_or_b32 exec_lo, exec_lo, s34
	s_delay_alu instid0(SALU_CYCLE_1)
	s_mov_b32 s34, exec_lo
	v_cmpx_lt_u32_e64 v109, v0
	s_cbranch_execnz .LBB948_829
.LBB948_798:                            ;   in Loop: Header=BB948_696 Depth=2
	s_or_b32 exec_lo, exec_lo, s34
	s_delay_alu instid0(SALU_CYCLE_1)
	s_mov_b32 s34, exec_lo
	v_cmpx_lt_u32_e64 v110, v0
	s_cbranch_execz .LBB948_830
.LBB948_799:                            ;   in Loop: Header=BB948_696 Depth=2
	global_load_b64 v[31:32], v[2:3], off offset:1536
	s_or_b32 exec_lo, exec_lo, s34
	s_delay_alu instid0(SALU_CYCLE_1)
	s_mov_b32 s34, exec_lo
	v_cmpx_lt_u32_e64 v111, v0
	s_cbranch_execnz .LBB948_831
.LBB948_800:                            ;   in Loop: Header=BB948_696 Depth=2
	s_or_b32 exec_lo, exec_lo, s34
	s_delay_alu instid0(SALU_CYCLE_1)
	s_mov_b32 s34, exec_lo
	v_cmpx_lt_u32_e64 v112, v0
	s_cbranch_execz .LBB948_832
.LBB948_801:                            ;   in Loop: Header=BB948_696 Depth=2
	global_load_b64 v[27:28], v[2:3], off offset:2048
	s_or_b32 exec_lo, exec_lo, s34
	s_delay_alu instid0(SALU_CYCLE_1)
	s_mov_b32 s34, exec_lo
	v_cmpx_lt_u32_e64 v113, v0
	s_cbranch_execnz .LBB948_833
.LBB948_802:                            ;   in Loop: Header=BB948_696 Depth=2
	s_or_b32 exec_lo, exec_lo, s34
	s_delay_alu instid0(SALU_CYCLE_1)
	s_mov_b32 s34, exec_lo
	v_cmpx_lt_u32_e64 v114, v0
	s_cbranch_execz .LBB948_834
.LBB948_803:                            ;   in Loop: Header=BB948_696 Depth=2
	global_load_b64 v[23:24], v[2:3], off offset:2560
	s_or_b32 exec_lo, exec_lo, s34
	s_delay_alu instid0(SALU_CYCLE_1)
	s_mov_b32 s34, exec_lo
	v_cmpx_lt_u32_e64 v115, v0
	s_cbranch_execnz .LBB948_835
.LBB948_804:                            ;   in Loop: Header=BB948_696 Depth=2
	s_or_b32 exec_lo, exec_lo, s34
	s_delay_alu instid0(SALU_CYCLE_1)
	s_mov_b32 s34, exec_lo
	v_cmpx_lt_u32_e64 v116, v0
	s_cbranch_execz .LBB948_836
.LBB948_805:                            ;   in Loop: Header=BB948_696 Depth=2
	global_load_b64 v[16:17], v[2:3], off offset:3072
	s_or_b32 exec_lo, exec_lo, s34
	s_delay_alu instid0(SALU_CYCLE_1)
	s_mov_b32 s34, exec_lo
	v_cmpx_lt_u32_e64 v117, v0
	s_cbranch_execnz .LBB948_837
.LBB948_806:                            ;   in Loop: Header=BB948_696 Depth=2
	s_or_b32 exec_lo, exec_lo, s34
	s_delay_alu instid0(SALU_CYCLE_1)
	s_mov_b32 s34, exec_lo
	v_cmpx_lt_u32_e64 v118, v0
	s_cbranch_execz .LBB948_838
.LBB948_807:                            ;   in Loop: Header=BB948_696 Depth=2
	global_load_b64 v[12:13], v[2:3], off offset:3584
	s_or_b32 exec_lo, exec_lo, s34
	s_delay_alu instid0(SALU_CYCLE_1)
	s_mov_b32 s34, exec_lo
	v_cmpx_lt_u32_e64 v119, v0
	s_cbranch_execnz .LBB948_839
.LBB948_808:                            ;   in Loop: Header=BB948_696 Depth=2
	s_or_b32 exec_lo, exec_lo, s34
	s_and_saveexec_b32 s33, vcc_lo
	s_cbranch_execz .LBB948_840
.LBB948_809:                            ;   in Loop: Header=BB948_696 Depth=2
	v_add_nc_u32_e32 v0, v76, v82
	ds_load_u16 v0, v0 offset:1024
	s_waitcnt lgkmcnt(0)
	v_lshrrev_b32_e32 v0, s57, v0
	s_delay_alu instid0(VALU_DEP_1)
	v_and_b32_e32 v140, s43, v0
	s_or_b32 exec_lo, exec_lo, s33
	s_and_saveexec_b32 s33, s17
	s_cbranch_execnz .LBB948_841
.LBB948_810:                            ;   in Loop: Header=BB948_696 Depth=2
	s_or_b32 exec_lo, exec_lo, s33
	s_and_saveexec_b32 s33, s18
	s_cbranch_execz .LBB948_842
.LBB948_811:                            ;   in Loop: Header=BB948_696 Depth=2
	ds_load_u16 v0, v83 offset:1024
	s_waitcnt lgkmcnt(0)
	v_lshrrev_b32_e32 v0, s57, v0
	s_delay_alu instid0(VALU_DEP_1)
	v_and_b32_e32 v138, s43, v0
	s_or_b32 exec_lo, exec_lo, s33
	s_and_saveexec_b32 s33, s19
	s_cbranch_execnz .LBB948_843
.LBB948_812:                            ;   in Loop: Header=BB948_696 Depth=2
	s_or_b32 exec_lo, exec_lo, s33
	s_and_saveexec_b32 s33, s20
	s_cbranch_execz .LBB948_844
.LBB948_813:                            ;   in Loop: Header=BB948_696 Depth=2
	ds_load_u16 v0, v83 offset:2048
	s_waitcnt lgkmcnt(0)
	v_lshrrev_b32_e32 v0, s57, v0
	s_delay_alu instid0(VALU_DEP_1)
	v_and_b32_e32 v136, s43, v0
	s_or_b32 exec_lo, exec_lo, s33
	s_and_saveexec_b32 s33, s21
	s_cbranch_execnz .LBB948_845
.LBB948_814:                            ;   in Loop: Header=BB948_696 Depth=2
	s_or_b32 exec_lo, exec_lo, s33
	s_and_saveexec_b32 s33, s22
	s_cbranch_execz .LBB948_846
.LBB948_815:                            ;   in Loop: Header=BB948_696 Depth=2
	ds_load_u16 v0, v83 offset:3072
	s_waitcnt lgkmcnt(0)
	v_lshrrev_b32_e32 v0, s57, v0
	s_delay_alu instid0(VALU_DEP_1)
	v_and_b32_e32 v134, s43, v0
	s_or_b32 exec_lo, exec_lo, s33
	s_and_saveexec_b32 s33, s23
	s_cbranch_execnz .LBB948_847
.LBB948_816:                            ;   in Loop: Header=BB948_696 Depth=2
	s_or_b32 exec_lo, exec_lo, s33
	s_and_saveexec_b32 s33, s24
	s_cbranch_execz .LBB948_848
.LBB948_817:                            ;   in Loop: Header=BB948_696 Depth=2
	ds_load_u16 v0, v83 offset:4096
	s_waitcnt lgkmcnt(0)
	v_lshrrev_b32_e32 v0, s57, v0
	s_delay_alu instid0(VALU_DEP_1)
	v_and_b32_e32 v132, s43, v0
	s_or_b32 exec_lo, exec_lo, s33
	s_and_saveexec_b32 s33, s25
	s_cbranch_execnz .LBB948_849
.LBB948_818:                            ;   in Loop: Header=BB948_696 Depth=2
	s_or_b32 exec_lo, exec_lo, s33
	s_and_saveexec_b32 s33, s26
	s_cbranch_execz .LBB948_850
.LBB948_819:                            ;   in Loop: Header=BB948_696 Depth=2
	ds_load_u16 v0, v83 offset:5120
	s_waitcnt lgkmcnt(0)
	v_lshrrev_b32_e32 v0, s57, v0
	s_delay_alu instid0(VALU_DEP_1)
	v_and_b32_e32 v130, s43, v0
	s_or_b32 exec_lo, exec_lo, s33
	s_and_saveexec_b32 s33, s27
	s_cbranch_execnz .LBB948_851
.LBB948_820:                            ;   in Loop: Header=BB948_696 Depth=2
	s_or_b32 exec_lo, exec_lo, s33
	s_and_saveexec_b32 s33, s28
	s_cbranch_execz .LBB948_852
.LBB948_821:                            ;   in Loop: Header=BB948_696 Depth=2
	ds_load_u16 v0, v83 offset:6144
	s_waitcnt lgkmcnt(0)
	v_lshrrev_b32_e32 v0, s57, v0
	s_delay_alu instid0(VALU_DEP_1)
	v_and_b32_e32 v128, s43, v0
	s_or_b32 exec_lo, exec_lo, s33
	s_and_saveexec_b32 s33, s29
	s_cbranch_execnz .LBB948_853
.LBB948_822:                            ;   in Loop: Header=BB948_696 Depth=2
	s_or_b32 exec_lo, exec_lo, s33
	s_and_saveexec_b32 s33, s30
	s_cbranch_execz .LBB948_854
.LBB948_823:                            ;   in Loop: Header=BB948_696 Depth=2
	ds_load_u16 v0, v83 offset:7168
	s_waitcnt lgkmcnt(0)
	v_lshrrev_b32_e32 v0, s57, v0
	s_delay_alu instid0(VALU_DEP_1)
	v_and_b32_e32 v126, s43, v0
	s_or_b32 exec_lo, exec_lo, s33
	s_and_saveexec_b32 s33, s31
	s_cbranch_execnz .LBB948_855
	s_branch .LBB948_856
.LBB948_824:                            ;   in Loop: Header=BB948_696 Depth=2
	s_or_b32 exec_lo, exec_lo, s33
	s_delay_alu instid0(SALU_CYCLE_1)
	s_mov_b32 s34, exec_lo
	v_cmpx_lt_u32_e64 v105, v0
	s_cbranch_execz .LBB948_794
.LBB948_825:                            ;   in Loop: Header=BB948_696 Depth=2
	global_load_b64 v[41:42], v[2:3], off offset:256
	s_or_b32 exec_lo, exec_lo, s34
	s_delay_alu instid0(SALU_CYCLE_1)
	s_mov_b32 s34, exec_lo
	v_cmpx_lt_u32_e64 v106, v0
	s_cbranch_execnz .LBB948_795
.LBB948_826:                            ;   in Loop: Header=BB948_696 Depth=2
	s_or_b32 exec_lo, exec_lo, s34
	s_delay_alu instid0(SALU_CYCLE_1)
	s_mov_b32 s34, exec_lo
	v_cmpx_lt_u32_e64 v107, v0
	s_cbranch_execz .LBB948_796
.LBB948_827:                            ;   in Loop: Header=BB948_696 Depth=2
	global_load_b64 v[37:38], v[2:3], off offset:768
	s_or_b32 exec_lo, exec_lo, s34
	s_delay_alu instid0(SALU_CYCLE_1)
	s_mov_b32 s34, exec_lo
	v_cmpx_lt_u32_e64 v108, v0
	s_cbranch_execnz .LBB948_797
.LBB948_828:                            ;   in Loop: Header=BB948_696 Depth=2
	s_or_b32 exec_lo, exec_lo, s34
	s_delay_alu instid0(SALU_CYCLE_1)
	s_mov_b32 s34, exec_lo
	v_cmpx_lt_u32_e64 v109, v0
	s_cbranch_execz .LBB948_798
.LBB948_829:                            ;   in Loop: Header=BB948_696 Depth=2
	global_load_b64 v[33:34], v[2:3], off offset:1280
	s_or_b32 exec_lo, exec_lo, s34
	s_delay_alu instid0(SALU_CYCLE_1)
	s_mov_b32 s34, exec_lo
	v_cmpx_lt_u32_e64 v110, v0
	s_cbranch_execnz .LBB948_799
.LBB948_830:                            ;   in Loop: Header=BB948_696 Depth=2
	s_or_b32 exec_lo, exec_lo, s34
	s_delay_alu instid0(SALU_CYCLE_1)
	s_mov_b32 s34, exec_lo
	v_cmpx_lt_u32_e64 v111, v0
	s_cbranch_execz .LBB948_800
.LBB948_831:                            ;   in Loop: Header=BB948_696 Depth=2
	global_load_b64 v[29:30], v[2:3], off offset:1792
	s_or_b32 exec_lo, exec_lo, s34
	s_delay_alu instid0(SALU_CYCLE_1)
	s_mov_b32 s34, exec_lo
	v_cmpx_lt_u32_e64 v112, v0
	s_cbranch_execnz .LBB948_801
.LBB948_832:                            ;   in Loop: Header=BB948_696 Depth=2
	s_or_b32 exec_lo, exec_lo, s34
	s_delay_alu instid0(SALU_CYCLE_1)
	s_mov_b32 s34, exec_lo
	v_cmpx_lt_u32_e64 v113, v0
	s_cbranch_execz .LBB948_802
.LBB948_833:                            ;   in Loop: Header=BB948_696 Depth=2
	global_load_b64 v[25:26], v[2:3], off offset:2304
	s_or_b32 exec_lo, exec_lo, s34
	s_delay_alu instid0(SALU_CYCLE_1)
	s_mov_b32 s34, exec_lo
	v_cmpx_lt_u32_e64 v114, v0
	s_cbranch_execnz .LBB948_803
.LBB948_834:                            ;   in Loop: Header=BB948_696 Depth=2
	s_or_b32 exec_lo, exec_lo, s34
	s_delay_alu instid0(SALU_CYCLE_1)
	s_mov_b32 s34, exec_lo
	v_cmpx_lt_u32_e64 v115, v0
	s_cbranch_execz .LBB948_804
.LBB948_835:                            ;   in Loop: Header=BB948_696 Depth=2
	global_load_b64 v[21:22], v[2:3], off offset:2816
	s_or_b32 exec_lo, exec_lo, s34
	s_delay_alu instid0(SALU_CYCLE_1)
	s_mov_b32 s34, exec_lo
	v_cmpx_lt_u32_e64 v116, v0
	s_cbranch_execnz .LBB948_805
.LBB948_836:                            ;   in Loop: Header=BB948_696 Depth=2
	s_or_b32 exec_lo, exec_lo, s34
	s_delay_alu instid0(SALU_CYCLE_1)
	s_mov_b32 s34, exec_lo
	v_cmpx_lt_u32_e64 v117, v0
	s_cbranch_execz .LBB948_806
.LBB948_837:                            ;   in Loop: Header=BB948_696 Depth=2
	global_load_b64 v[14:15], v[2:3], off offset:3328
	s_or_b32 exec_lo, exec_lo, s34
	s_delay_alu instid0(SALU_CYCLE_1)
	s_mov_b32 s34, exec_lo
	v_cmpx_lt_u32_e64 v118, v0
	s_cbranch_execnz .LBB948_807
.LBB948_838:                            ;   in Loop: Header=BB948_696 Depth=2
	s_or_b32 exec_lo, exec_lo, s34
	s_delay_alu instid0(SALU_CYCLE_1)
	s_mov_b32 s34, exec_lo
	v_cmpx_lt_u32_e64 v119, v0
	s_cbranch_execz .LBB948_808
.LBB948_839:                            ;   in Loop: Header=BB948_696 Depth=2
	global_load_b64 v[10:11], v[2:3], off offset:3840
	s_or_b32 exec_lo, exec_lo, s34
	s_and_saveexec_b32 s33, vcc_lo
	s_cbranch_execnz .LBB948_809
.LBB948_840:                            ;   in Loop: Header=BB948_696 Depth=2
	s_or_b32 exec_lo, exec_lo, s33
	s_and_saveexec_b32 s33, s17
	s_cbranch_execz .LBB948_810
.LBB948_841:                            ;   in Loop: Header=BB948_696 Depth=2
	ds_load_u16 v0, v83 offset:512
	s_waitcnt lgkmcnt(0)
	v_lshrrev_b32_e32 v0, s57, v0
	s_delay_alu instid0(VALU_DEP_1)
	v_and_b32_e32 v139, s43, v0
	s_or_b32 exec_lo, exec_lo, s33
	s_and_saveexec_b32 s33, s18
	s_cbranch_execnz .LBB948_811
.LBB948_842:                            ;   in Loop: Header=BB948_696 Depth=2
	s_or_b32 exec_lo, exec_lo, s33
	s_and_saveexec_b32 s33, s19
	s_cbranch_execz .LBB948_812
.LBB948_843:                            ;   in Loop: Header=BB948_696 Depth=2
	ds_load_u16 v0, v83 offset:1536
	s_waitcnt lgkmcnt(0)
	v_lshrrev_b32_e32 v0, s57, v0
	s_delay_alu instid0(VALU_DEP_1)
	v_and_b32_e32 v137, s43, v0
	s_or_b32 exec_lo, exec_lo, s33
	s_and_saveexec_b32 s33, s20
	s_cbranch_execnz .LBB948_813
.LBB948_844:                            ;   in Loop: Header=BB948_696 Depth=2
	s_or_b32 exec_lo, exec_lo, s33
	s_and_saveexec_b32 s33, s21
	s_cbranch_execz .LBB948_814
.LBB948_845:                            ;   in Loop: Header=BB948_696 Depth=2
	ds_load_u16 v0, v83 offset:2560
	s_waitcnt lgkmcnt(0)
	v_lshrrev_b32_e32 v0, s57, v0
	s_delay_alu instid0(VALU_DEP_1)
	v_and_b32_e32 v135, s43, v0
	s_or_b32 exec_lo, exec_lo, s33
	s_and_saveexec_b32 s33, s22
	s_cbranch_execnz .LBB948_815
.LBB948_846:                            ;   in Loop: Header=BB948_696 Depth=2
	s_or_b32 exec_lo, exec_lo, s33
	s_and_saveexec_b32 s33, s23
	s_cbranch_execz .LBB948_816
.LBB948_847:                            ;   in Loop: Header=BB948_696 Depth=2
	ds_load_u16 v0, v83 offset:3584
	s_waitcnt lgkmcnt(0)
	v_lshrrev_b32_e32 v0, s57, v0
	s_delay_alu instid0(VALU_DEP_1)
	v_and_b32_e32 v133, s43, v0
	s_or_b32 exec_lo, exec_lo, s33
	s_and_saveexec_b32 s33, s24
	s_cbranch_execnz .LBB948_817
.LBB948_848:                            ;   in Loop: Header=BB948_696 Depth=2
	s_or_b32 exec_lo, exec_lo, s33
	s_and_saveexec_b32 s33, s25
	s_cbranch_execz .LBB948_818
.LBB948_849:                            ;   in Loop: Header=BB948_696 Depth=2
	ds_load_u16 v0, v83 offset:4608
	s_waitcnt lgkmcnt(0)
	v_lshrrev_b32_e32 v0, s57, v0
	s_delay_alu instid0(VALU_DEP_1)
	v_and_b32_e32 v131, s43, v0
	s_or_b32 exec_lo, exec_lo, s33
	s_and_saveexec_b32 s33, s26
	s_cbranch_execnz .LBB948_819
.LBB948_850:                            ;   in Loop: Header=BB948_696 Depth=2
	s_or_b32 exec_lo, exec_lo, s33
	s_and_saveexec_b32 s33, s27
	s_cbranch_execz .LBB948_820
.LBB948_851:                            ;   in Loop: Header=BB948_696 Depth=2
	ds_load_u16 v0, v83 offset:5632
	s_waitcnt lgkmcnt(0)
	v_lshrrev_b32_e32 v0, s57, v0
	s_delay_alu instid0(VALU_DEP_1)
	v_and_b32_e32 v129, s43, v0
	s_or_b32 exec_lo, exec_lo, s33
	s_and_saveexec_b32 s33, s28
	s_cbranch_execnz .LBB948_821
.LBB948_852:                            ;   in Loop: Header=BB948_696 Depth=2
	s_or_b32 exec_lo, exec_lo, s33
	s_and_saveexec_b32 s33, s29
	s_cbranch_execz .LBB948_822
.LBB948_853:                            ;   in Loop: Header=BB948_696 Depth=2
	ds_load_u16 v0, v83 offset:6656
	s_waitcnt lgkmcnt(0)
	v_lshrrev_b32_e32 v0, s57, v0
	s_delay_alu instid0(VALU_DEP_1)
	v_and_b32_e32 v127, s43, v0
	s_or_b32 exec_lo, exec_lo, s33
	s_and_saveexec_b32 s33, s30
	s_cbranch_execnz .LBB948_823
.LBB948_854:                            ;   in Loop: Header=BB948_696 Depth=2
	s_or_b32 exec_lo, exec_lo, s33
	s_and_saveexec_b32 s33, s31
	s_cbranch_execz .LBB948_856
.LBB948_855:                            ;   in Loop: Header=BB948_696 Depth=2
	ds_load_u16 v0, v83 offset:7680
	s_waitcnt lgkmcnt(0)
	v_lshrrev_b32_e32 v0, s57, v0
	s_delay_alu instid0(VALU_DEP_1)
	v_and_b32_e32 v125, s43, v0
.LBB948_856:                            ;   in Loop: Header=BB948_696 Depth=2
	s_or_b32 exec_lo, exec_lo, s33
	v_lshlrev_b32_e32 v0, 3, v159
	v_lshlrev_b32_e32 v2, 3, v155
	s_waitcnt vmcnt(0)
	s_waitcnt_vscnt null, 0x0
	s_barrier
	buffer_gl0_inv
	ds_store_b64 v0, v[43:44] offset:1024
	v_lshlrev_b32_e32 v0, 3, v151
	v_lshlrev_b32_e32 v3, 3, v150
	;; [unrolled: 1-line block ×4, first 2 shown]
	ds_store_b64 v2, v[41:42] offset:1024
	ds_store_b64 v0, v[39:40] offset:1024
	;; [unrolled: 1-line block ×5, first 2 shown]
	v_lshlrev_b32_e32 v0, 3, v146
	v_lshlrev_b32_e32 v2, 3, v145
	;; [unrolled: 1-line block ×5, first 2 shown]
	ds_store_b64 v0, v[31:32] offset:1024
	ds_store_b64 v2, v[29:30] offset:1024
	;; [unrolled: 1-line block ×5, first 2 shown]
	v_lshlrev_b32_e32 v0, 3, v6
	v_lshlrev_b32_e32 v2, 3, v5
	;; [unrolled: 1-line block ×5, first 2 shown]
	ds_store_b64 v0, v[21:22] offset:1024
	ds_store_b64 v2, v[16:17] offset:1024
	;; [unrolled: 1-line block ×5, first 2 shown]
	s_waitcnt lgkmcnt(0)
	s_barrier
	buffer_gl0_inv
	s_and_saveexec_b32 s33, vcc_lo
	s_cbranch_execz .LBB948_872
; %bb.857:                              ;   in Loop: Header=BB948_696 Depth=2
	v_lshlrev_b32_e32 v0, 2, v140
	ds_load_b32 v0, v0
	ds_load_b64 v[2:3], v84 offset:1024
	s_waitcnt lgkmcnt(1)
	v_add_nc_u32_e32 v19, v0, v18
	s_delay_alu instid0(VALU_DEP_1) | instskip(NEXT) | instid1(VALU_DEP_1)
	v_lshlrev_b64 v[5:6], 3, v[19:20]
	v_add_co_u32 v5, vcc_lo, s52, v5
	s_delay_alu instid0(VALU_DEP_2)
	v_add_co_ci_u32_e32 v6, vcc_lo, s53, v6, vcc_lo
	s_waitcnt lgkmcnt(0)
	global_store_b64 v[5:6], v[2:3], off
	s_or_b32 exec_lo, exec_lo, s33
	s_and_saveexec_b32 s33, s17
	s_cbranch_execnz .LBB948_873
.LBB948_858:                            ;   in Loop: Header=BB948_696 Depth=2
	s_or_b32 exec_lo, exec_lo, s33
	s_and_saveexec_b32 s17, s18
	s_cbranch_execz .LBB948_874
.LBB948_859:                            ;   in Loop: Header=BB948_696 Depth=2
	v_lshlrev_b32_e32 v0, 2, v138
	v_add_nc_u32_e32 v2, v83, v85
	ds_load_b32 v0, v0
	ds_load_b64 v[2:3], v2 offset:4096
	s_waitcnt lgkmcnt(1)
	v_add_nc_u32_e32 v19, v0, v49
	s_delay_alu instid0(VALU_DEP_1) | instskip(NEXT) | instid1(VALU_DEP_1)
	v_lshlrev_b64 v[5:6], 3, v[19:20]
	v_add_co_u32 v5, vcc_lo, s52, v5
	s_delay_alu instid0(VALU_DEP_2)
	v_add_co_ci_u32_e32 v6, vcc_lo, s53, v6, vcc_lo
	s_waitcnt lgkmcnt(0)
	global_store_b64 v[5:6], v[2:3], off
	s_or_b32 exec_lo, exec_lo, s17
	s_and_saveexec_b32 s17, s19
	s_cbranch_execnz .LBB948_875
.LBB948_860:                            ;   in Loop: Header=BB948_696 Depth=2
	s_or_b32 exec_lo, exec_lo, s17
	s_and_saveexec_b32 s17, s20
	s_cbranch_execz .LBB948_876
.LBB948_861:                            ;   in Loop: Header=BB948_696 Depth=2
	v_lshlrev_b32_e32 v0, 2, v136
	v_add_nc_u32_e32 v2, v83, v85
	ds_load_b32 v0, v0
	ds_load_b64 v[2:3], v2 offset:8192
	s_waitcnt lgkmcnt(1)
	v_add_nc_u32_e32 v19, v0, v54
	s_delay_alu instid0(VALU_DEP_1) | instskip(NEXT) | instid1(VALU_DEP_1)
	v_lshlrev_b64 v[5:6], 3, v[19:20]
	v_add_co_u32 v5, vcc_lo, s52, v5
	s_delay_alu instid0(VALU_DEP_2)
	v_add_co_ci_u32_e32 v6, vcc_lo, s53, v6, vcc_lo
	s_waitcnt lgkmcnt(0)
	global_store_b64 v[5:6], v[2:3], off
	s_or_b32 exec_lo, exec_lo, s17
	s_and_saveexec_b32 s17, s21
	s_cbranch_execnz .LBB948_877
.LBB948_862:                            ;   in Loop: Header=BB948_696 Depth=2
	s_or_b32 exec_lo, exec_lo, s17
	s_and_saveexec_b32 s17, s22
	s_cbranch_execz .LBB948_878
.LBB948_863:                            ;   in Loop: Header=BB948_696 Depth=2
	v_lshlrev_b32_e32 v0, 2, v134
	v_add_nc_u32_e32 v2, v83, v85
	ds_load_b32 v0, v0
	ds_load_b64 v[2:3], v2 offset:12288
	s_waitcnt lgkmcnt(1)
	v_add_nc_u32_e32 v19, v0, v56
	s_delay_alu instid0(VALU_DEP_1) | instskip(NEXT) | instid1(VALU_DEP_1)
	v_lshlrev_b64 v[5:6], 3, v[19:20]
	v_add_co_u32 v5, vcc_lo, s52, v5
	s_delay_alu instid0(VALU_DEP_2)
	v_add_co_ci_u32_e32 v6, vcc_lo, s53, v6, vcc_lo
	s_waitcnt lgkmcnt(0)
	global_store_b64 v[5:6], v[2:3], off
	s_or_b32 exec_lo, exec_lo, s17
	s_and_saveexec_b32 s17, s23
	s_cbranch_execnz .LBB948_879
.LBB948_864:                            ;   in Loop: Header=BB948_696 Depth=2
	s_or_b32 exec_lo, exec_lo, s17
	s_and_saveexec_b32 s17, s24
	s_cbranch_execz .LBB948_880
.LBB948_865:                            ;   in Loop: Header=BB948_696 Depth=2
	v_lshlrev_b32_e32 v0, 2, v132
	v_add_nc_u32_e32 v2, v83, v85
	ds_load_b32 v0, v0
	ds_load_b64 v[2:3], v2 offset:16384
	s_waitcnt lgkmcnt(1)
	v_add_nc_u32_e32 v19, v0, v58
	s_delay_alu instid0(VALU_DEP_1) | instskip(NEXT) | instid1(VALU_DEP_1)
	v_lshlrev_b64 v[5:6], 3, v[19:20]
	v_add_co_u32 v5, vcc_lo, s52, v5
	s_delay_alu instid0(VALU_DEP_2)
	v_add_co_ci_u32_e32 v6, vcc_lo, s53, v6, vcc_lo
	s_waitcnt lgkmcnt(0)
	global_store_b64 v[5:6], v[2:3], off
	s_or_b32 exec_lo, exec_lo, s17
	s_and_saveexec_b32 s17, s25
	s_cbranch_execnz .LBB948_881
.LBB948_866:                            ;   in Loop: Header=BB948_696 Depth=2
	s_or_b32 exec_lo, exec_lo, s17
	s_and_saveexec_b32 s17, s26
	s_cbranch_execz .LBB948_882
.LBB948_867:                            ;   in Loop: Header=BB948_696 Depth=2
	v_lshlrev_b32_e32 v0, 2, v130
	v_add_nc_u32_e32 v2, v83, v85
	ds_load_b32 v0, v0
	ds_load_b64 v[2:3], v2 offset:20480
	s_waitcnt lgkmcnt(1)
	v_add_nc_u32_e32 v19, v0, v60
	s_delay_alu instid0(VALU_DEP_1) | instskip(NEXT) | instid1(VALU_DEP_1)
	v_lshlrev_b64 v[5:6], 3, v[19:20]
	v_add_co_u32 v5, vcc_lo, s52, v5
	s_delay_alu instid0(VALU_DEP_2)
	v_add_co_ci_u32_e32 v6, vcc_lo, s53, v6, vcc_lo
	s_waitcnt lgkmcnt(0)
	global_store_b64 v[5:6], v[2:3], off
	s_or_b32 exec_lo, exec_lo, s17
	s_and_saveexec_b32 s17, s27
	s_cbranch_execnz .LBB948_883
.LBB948_868:                            ;   in Loop: Header=BB948_696 Depth=2
	s_or_b32 exec_lo, exec_lo, s17
	s_and_saveexec_b32 s17, s28
	s_cbranch_execz .LBB948_884
.LBB948_869:                            ;   in Loop: Header=BB948_696 Depth=2
	v_lshlrev_b32_e32 v0, 2, v128
	v_add_nc_u32_e32 v2, v83, v85
	ds_load_b32 v0, v0
	ds_load_b64 v[2:3], v2 offset:24576
	s_waitcnt lgkmcnt(1)
	v_add_nc_u32_e32 v19, v0, v62
	s_delay_alu instid0(VALU_DEP_1) | instskip(NEXT) | instid1(VALU_DEP_1)
	v_lshlrev_b64 v[5:6], 3, v[19:20]
	v_add_co_u32 v5, vcc_lo, s52, v5
	s_delay_alu instid0(VALU_DEP_2)
	v_add_co_ci_u32_e32 v6, vcc_lo, s53, v6, vcc_lo
	s_waitcnt lgkmcnt(0)
	global_store_b64 v[5:6], v[2:3], off
	s_or_b32 exec_lo, exec_lo, s17
	s_and_saveexec_b32 s17, s29
	s_cbranch_execnz .LBB948_885
.LBB948_870:                            ;   in Loop: Header=BB948_696 Depth=2
	s_or_b32 exec_lo, exec_lo, s17
	s_and_saveexec_b32 s17, s30
	s_cbranch_execz .LBB948_886
.LBB948_871:                            ;   in Loop: Header=BB948_696 Depth=2
	v_lshlrev_b32_e32 v0, 2, v126
	v_add_nc_u32_e32 v2, v83, v85
	ds_load_b32 v0, v0
	ds_load_b64 v[2:3], v2 offset:28672
	s_waitcnt lgkmcnt(1)
	v_add_nc_u32_e32 v19, v0, v64
	s_delay_alu instid0(VALU_DEP_1) | instskip(NEXT) | instid1(VALU_DEP_1)
	v_lshlrev_b64 v[5:6], 3, v[19:20]
	v_add_co_u32 v5, vcc_lo, s52, v5
	s_delay_alu instid0(VALU_DEP_2)
	v_add_co_ci_u32_e32 v6, vcc_lo, s53, v6, vcc_lo
	s_waitcnt lgkmcnt(0)
	global_store_b64 v[5:6], v[2:3], off
	s_or_b32 exec_lo, exec_lo, s17
	s_and_saveexec_b32 s17, s31
	s_cbranch_execnz .LBB948_887
	s_branch .LBB948_888
.LBB948_872:                            ;   in Loop: Header=BB948_696 Depth=2
	s_or_b32 exec_lo, exec_lo, s33
	s_and_saveexec_b32 s33, s17
	s_cbranch_execz .LBB948_858
.LBB948_873:                            ;   in Loop: Header=BB948_696 Depth=2
	v_lshlrev_b32_e32 v0, 2, v139
	v_add_nc_u32_e32 v2, v83, v85
	ds_load_b32 v0, v0
	ds_load_b64 v[2:3], v2 offset:2048
	s_waitcnt lgkmcnt(1)
	v_add_nc_u32_e32 v19, v0, v48
	s_delay_alu instid0(VALU_DEP_1) | instskip(NEXT) | instid1(VALU_DEP_1)
	v_lshlrev_b64 v[5:6], 3, v[19:20]
	v_add_co_u32 v5, vcc_lo, s52, v5
	s_delay_alu instid0(VALU_DEP_2)
	v_add_co_ci_u32_e32 v6, vcc_lo, s53, v6, vcc_lo
	s_waitcnt lgkmcnt(0)
	global_store_b64 v[5:6], v[2:3], off
	s_or_b32 exec_lo, exec_lo, s33
	s_and_saveexec_b32 s17, s18
	s_cbranch_execnz .LBB948_859
.LBB948_874:                            ;   in Loop: Header=BB948_696 Depth=2
	s_or_b32 exec_lo, exec_lo, s17
	s_and_saveexec_b32 s17, s19
	s_cbranch_execz .LBB948_860
.LBB948_875:                            ;   in Loop: Header=BB948_696 Depth=2
	v_lshlrev_b32_e32 v0, 2, v137
	v_add_nc_u32_e32 v2, v83, v85
	ds_load_b32 v0, v0
	ds_load_b64 v[2:3], v2 offset:6144
	s_waitcnt lgkmcnt(1)
	v_add_nc_u32_e32 v19, v0, v50
	s_delay_alu instid0(VALU_DEP_1) | instskip(NEXT) | instid1(VALU_DEP_1)
	v_lshlrev_b64 v[5:6], 3, v[19:20]
	v_add_co_u32 v5, vcc_lo, s52, v5
	s_delay_alu instid0(VALU_DEP_2)
	v_add_co_ci_u32_e32 v6, vcc_lo, s53, v6, vcc_lo
	s_waitcnt lgkmcnt(0)
	global_store_b64 v[5:6], v[2:3], off
	s_or_b32 exec_lo, exec_lo, s17
	s_and_saveexec_b32 s17, s20
	s_cbranch_execnz .LBB948_861
.LBB948_876:                            ;   in Loop: Header=BB948_696 Depth=2
	s_or_b32 exec_lo, exec_lo, s17
	s_and_saveexec_b32 s17, s21
	s_cbranch_execz .LBB948_862
.LBB948_877:                            ;   in Loop: Header=BB948_696 Depth=2
	v_lshlrev_b32_e32 v0, 2, v135
	v_add_nc_u32_e32 v2, v83, v85
	ds_load_b32 v0, v0
	ds_load_b64 v[2:3], v2 offset:10240
	s_waitcnt lgkmcnt(1)
	v_add_nc_u32_e32 v19, v0, v55
	s_delay_alu instid0(VALU_DEP_1) | instskip(NEXT) | instid1(VALU_DEP_1)
	v_lshlrev_b64 v[5:6], 3, v[19:20]
	v_add_co_u32 v5, vcc_lo, s52, v5
	s_delay_alu instid0(VALU_DEP_2)
	v_add_co_ci_u32_e32 v6, vcc_lo, s53, v6, vcc_lo
	s_waitcnt lgkmcnt(0)
	global_store_b64 v[5:6], v[2:3], off
	s_or_b32 exec_lo, exec_lo, s17
	s_and_saveexec_b32 s17, s22
	s_cbranch_execnz .LBB948_863
.LBB948_878:                            ;   in Loop: Header=BB948_696 Depth=2
	s_or_b32 exec_lo, exec_lo, s17
	s_and_saveexec_b32 s17, s23
	s_cbranch_execz .LBB948_864
.LBB948_879:                            ;   in Loop: Header=BB948_696 Depth=2
	v_lshlrev_b32_e32 v0, 2, v133
	v_add_nc_u32_e32 v2, v83, v85
	ds_load_b32 v0, v0
	ds_load_b64 v[2:3], v2 offset:14336
	s_waitcnt lgkmcnt(1)
	v_add_nc_u32_e32 v19, v0, v57
	s_delay_alu instid0(VALU_DEP_1) | instskip(NEXT) | instid1(VALU_DEP_1)
	v_lshlrev_b64 v[5:6], 3, v[19:20]
	v_add_co_u32 v5, vcc_lo, s52, v5
	s_delay_alu instid0(VALU_DEP_2)
	v_add_co_ci_u32_e32 v6, vcc_lo, s53, v6, vcc_lo
	s_waitcnt lgkmcnt(0)
	global_store_b64 v[5:6], v[2:3], off
	s_or_b32 exec_lo, exec_lo, s17
	s_and_saveexec_b32 s17, s24
	s_cbranch_execnz .LBB948_865
.LBB948_880:                            ;   in Loop: Header=BB948_696 Depth=2
	s_or_b32 exec_lo, exec_lo, s17
	s_and_saveexec_b32 s17, s25
	s_cbranch_execz .LBB948_866
.LBB948_881:                            ;   in Loop: Header=BB948_696 Depth=2
	v_lshlrev_b32_e32 v0, 2, v131
	v_add_nc_u32_e32 v2, v83, v85
	ds_load_b32 v0, v0
	ds_load_b64 v[2:3], v2 offset:18432
	s_waitcnt lgkmcnt(1)
	v_add_nc_u32_e32 v19, v0, v59
	s_delay_alu instid0(VALU_DEP_1) | instskip(NEXT) | instid1(VALU_DEP_1)
	v_lshlrev_b64 v[5:6], 3, v[19:20]
	v_add_co_u32 v5, vcc_lo, s52, v5
	s_delay_alu instid0(VALU_DEP_2)
	v_add_co_ci_u32_e32 v6, vcc_lo, s53, v6, vcc_lo
	s_waitcnt lgkmcnt(0)
	global_store_b64 v[5:6], v[2:3], off
	s_or_b32 exec_lo, exec_lo, s17
	s_and_saveexec_b32 s17, s26
	s_cbranch_execnz .LBB948_867
.LBB948_882:                            ;   in Loop: Header=BB948_696 Depth=2
	s_or_b32 exec_lo, exec_lo, s17
	s_and_saveexec_b32 s17, s27
	s_cbranch_execz .LBB948_868
.LBB948_883:                            ;   in Loop: Header=BB948_696 Depth=2
	v_lshlrev_b32_e32 v0, 2, v129
	v_add_nc_u32_e32 v2, v83, v85
	ds_load_b32 v0, v0
	ds_load_b64 v[2:3], v2 offset:22528
	s_waitcnt lgkmcnt(1)
	v_add_nc_u32_e32 v19, v0, v61
	s_delay_alu instid0(VALU_DEP_1) | instskip(NEXT) | instid1(VALU_DEP_1)
	v_lshlrev_b64 v[5:6], 3, v[19:20]
	v_add_co_u32 v5, vcc_lo, s52, v5
	s_delay_alu instid0(VALU_DEP_2)
	v_add_co_ci_u32_e32 v6, vcc_lo, s53, v6, vcc_lo
	s_waitcnt lgkmcnt(0)
	global_store_b64 v[5:6], v[2:3], off
	s_or_b32 exec_lo, exec_lo, s17
	s_and_saveexec_b32 s17, s28
	s_cbranch_execnz .LBB948_869
.LBB948_884:                            ;   in Loop: Header=BB948_696 Depth=2
	s_or_b32 exec_lo, exec_lo, s17
	s_and_saveexec_b32 s17, s29
	s_cbranch_execz .LBB948_870
.LBB948_885:                            ;   in Loop: Header=BB948_696 Depth=2
	v_lshlrev_b32_e32 v0, 2, v127
	v_add_nc_u32_e32 v2, v83, v85
	ds_load_b32 v0, v0
	ds_load_b64 v[2:3], v2 offset:26624
	s_waitcnt lgkmcnt(1)
	v_add_nc_u32_e32 v19, v0, v63
	s_delay_alu instid0(VALU_DEP_1) | instskip(NEXT) | instid1(VALU_DEP_1)
	v_lshlrev_b64 v[5:6], 3, v[19:20]
	v_add_co_u32 v5, vcc_lo, s52, v5
	s_delay_alu instid0(VALU_DEP_2)
	v_add_co_ci_u32_e32 v6, vcc_lo, s53, v6, vcc_lo
	s_waitcnt lgkmcnt(0)
	global_store_b64 v[5:6], v[2:3], off
	s_or_b32 exec_lo, exec_lo, s17
	s_and_saveexec_b32 s17, s30
	s_cbranch_execnz .LBB948_871
.LBB948_886:                            ;   in Loop: Header=BB948_696 Depth=2
	s_or_b32 exec_lo, exec_lo, s17
	s_and_saveexec_b32 s17, s31
	s_cbranch_execz .LBB948_888
.LBB948_887:                            ;   in Loop: Header=BB948_696 Depth=2
	v_lshlrev_b32_e32 v0, 2, v125
	v_add_nc_u32_e32 v2, v83, v85
	ds_load_b32 v0, v0
	ds_load_b64 v[2:3], v2 offset:30720
	s_waitcnt lgkmcnt(1)
	v_add_nc_u32_e32 v19, v0, v66
	s_delay_alu instid0(VALU_DEP_1) | instskip(NEXT) | instid1(VALU_DEP_1)
	v_lshlrev_b64 v[5:6], 3, v[19:20]
	v_add_co_u32 v5, vcc_lo, s52, v5
	s_delay_alu instid0(VALU_DEP_2)
	v_add_co_ci_u32_e32 v6, vcc_lo, s53, v6, vcc_lo
	s_waitcnt lgkmcnt(0)
	global_store_b64 v[5:6], v[2:3], off
.LBB948_888:                            ;   in Loop: Header=BB948_696 Depth=2
	s_or_b32 exec_lo, exec_lo, s17
	s_waitcnt_vscnt null, 0x0
	s_barrier
	buffer_gl0_inv
	s_and_saveexec_b32 s17, s2
	s_cbranch_execz .LBB948_695
; %bb.889:                              ;   in Loop: Header=BB948_696 Depth=2
	ds_load_b32 v0, v47
	s_waitcnt lgkmcnt(0)
	v_add_nc_u32_e32 v0, v0, v4
	ds_store_b32 v47, v0
	s_branch .LBB948_695
.LBB948_890:                            ;   in Loop: Header=BB948_696 Depth=2
	s_or_b32 exec_lo, exec_lo, s17
	s_delay_alu instid0(SALU_CYCLE_1)
	s_mov_b32 s17, exec_lo
	v_cmpx_gt_u32_e64 s56, v105
	s_cbranch_execz .LBB948_701
.LBB948_891:                            ;   in Loop: Header=BB948_696 Depth=2
	global_load_d16_hi_b16 v2, v[45:46], off offset:64
	s_or_b32 exec_lo, exec_lo, s17
	s_delay_alu instid0(SALU_CYCLE_1)
	s_mov_b32 s17, exec_lo
	v_cmpx_gt_u32_e64 s56, v106
	s_cbranch_execnz .LBB948_702
.LBB948_892:                            ;   in Loop: Header=BB948_696 Depth=2
	s_or_b32 exec_lo, exec_lo, s17
	s_delay_alu instid0(SALU_CYCLE_1)
	s_mov_b32 s17, exec_lo
	v_cmpx_gt_u32_e64 s56, v107
	s_cbranch_execz .LBB948_703
.LBB948_893:                            ;   in Loop: Header=BB948_696 Depth=2
	global_load_d16_hi_b16 v3, v[45:46], off offset:192
	s_or_b32 exec_lo, exec_lo, s17
	s_delay_alu instid0(SALU_CYCLE_1)
	s_mov_b32 s17, exec_lo
	v_cmpx_gt_u32_e64 s56, v108
	s_cbranch_execnz .LBB948_704
.LBB948_894:                            ;   in Loop: Header=BB948_696 Depth=2
	s_or_b32 exec_lo, exec_lo, s17
	s_delay_alu instid0(SALU_CYCLE_1)
	s_mov_b32 s17, exec_lo
	v_cmpx_gt_u32_e64 s56, v109
	s_cbranch_execz .LBB948_705
.LBB948_895:                            ;   in Loop: Header=BB948_696 Depth=2
	global_load_d16_hi_b16 v4, v[45:46], off offset:320
	s_or_b32 exec_lo, exec_lo, s17
	s_delay_alu instid0(SALU_CYCLE_1)
	s_mov_b32 s17, exec_lo
	v_cmpx_gt_u32_e64 s56, v110
	s_cbranch_execnz .LBB948_706
.LBB948_896:                            ;   in Loop: Header=BB948_696 Depth=2
	s_or_b32 exec_lo, exec_lo, s17
	s_delay_alu instid0(SALU_CYCLE_1)
	s_mov_b32 s17, exec_lo
	v_cmpx_gt_u32_e64 s56, v111
	s_cbranch_execz .LBB948_707
.LBB948_897:                            ;   in Loop: Header=BB948_696 Depth=2
	global_load_d16_hi_b16 v5, v[45:46], off offset:448
	s_or_b32 exec_lo, exec_lo, s17
	s_delay_alu instid0(SALU_CYCLE_1)
	s_mov_b32 s17, exec_lo
	v_cmpx_gt_u32_e64 s56, v112
	s_cbranch_execnz .LBB948_708
.LBB948_898:                            ;   in Loop: Header=BB948_696 Depth=2
	s_or_b32 exec_lo, exec_lo, s17
	s_delay_alu instid0(SALU_CYCLE_1)
	s_mov_b32 s17, exec_lo
	v_cmpx_gt_u32_e64 s56, v113
	s_cbranch_execz .LBB948_709
.LBB948_899:                            ;   in Loop: Header=BB948_696 Depth=2
	global_load_d16_hi_b16 v6, v[45:46], off offset:576
	s_or_b32 exec_lo, exec_lo, s17
	s_delay_alu instid0(SALU_CYCLE_1)
	s_mov_b32 s17, exec_lo
	v_cmpx_gt_u32_e64 s56, v114
	s_cbranch_execnz .LBB948_710
.LBB948_900:                            ;   in Loop: Header=BB948_696 Depth=2
	s_or_b32 exec_lo, exec_lo, s17
	s_delay_alu instid0(SALU_CYCLE_1)
	s_mov_b32 s17, exec_lo
	v_cmpx_gt_u32_e64 s56, v115
	s_cbranch_execz .LBB948_711
.LBB948_901:                            ;   in Loop: Header=BB948_696 Depth=2
	global_load_d16_hi_b16 v7, v[45:46], off offset:704
	s_or_b32 exec_lo, exec_lo, s17
	s_delay_alu instid0(SALU_CYCLE_1)
	s_mov_b32 s17, exec_lo
	v_cmpx_gt_u32_e64 s56, v116
	s_cbranch_execnz .LBB948_712
.LBB948_902:                            ;   in Loop: Header=BB948_696 Depth=2
	s_or_b32 exec_lo, exec_lo, s17
	s_delay_alu instid0(SALU_CYCLE_1)
	s_mov_b32 s17, exec_lo
	v_cmpx_gt_u32_e64 s56, v117
	s_cbranch_execz .LBB948_713
.LBB948_903:                            ;   in Loop: Header=BB948_696 Depth=2
	global_load_d16_hi_b16 v8, v[45:46], off offset:832
	s_or_b32 exec_lo, exec_lo, s17
	s_delay_alu instid0(SALU_CYCLE_1)
	s_mov_b32 s17, exec_lo
	v_cmpx_gt_u32_e64 s56, v118
	s_cbranch_execnz .LBB948_714
	s_branch .LBB948_715
.LBB948_904:                            ;   in Loop: Header=BB948_20 Depth=1
	s_waitcnt lgkmcnt(0)
	s_mov_b32 s1, 0
	s_barrier
.LBB948_905:                            ;   in Loop: Header=BB948_20 Depth=1
	s_and_b32 vcc_lo, exec_lo, s1
	s_cbranch_vccz .LBB948_19
; %bb.906:                              ;   in Loop: Header=BB948_20 Depth=1
	s_mov_b32 s1, s64
	s_mov_b32 s34, s62
	s_barrier
	buffer_gl0_inv
                                        ; implicit-def: $vgpr2_vgpr3_vgpr4_vgpr5_vgpr6_vgpr7_vgpr8_vgpr9
	s_branch .LBB948_908
.LBB948_907:                            ;   in Loop: Header=BB948_908 Depth=2
	s_or_b32 exec_lo, exec_lo, s8
	s_addk_i32 s1, 0xf000
	s_cmp_ge_u32 s7, s63
	s_mov_b32 s34, s7
	s_cbranch_scc1 .LBB948_978
.LBB948_908:                            ;   Parent Loop BB948_20 Depth=1
                                        ; =>  This Inner Loop Header: Depth=2
	s_add_i32 s7, s34, 0x1000
	s_delay_alu instid0(SALU_CYCLE_1)
	s_cmp_gt_u32 s7, s63
	s_cbranch_scc1 .LBB948_911
; %bb.909:                              ;   in Loop: Header=BB948_908 Depth=2
	s_mov_b32 s9, 0
	s_mov_b32 s8, s34
	v_mov_b32_e32 v17, v9
	s_lshl_b64 s[10:11], s[8:9], 1
	s_delay_alu instid0(SALU_CYCLE_1) | instskip(SKIP_2) | instid1(VALU_DEP_2)
	v_add_co_u32 v21, vcc_lo, v92, s10
	v_add_co_ci_u32_e32 v22, vcc_lo, s11, v93, vcc_lo
	s_movk_i32 s11, 0x1000
	v_add_co_u32 v23, vcc_lo, 0x1000, v21
	s_delay_alu instid0(VALU_DEP_2)
	v_add_co_ci_u32_e32 v24, vcc_lo, 0, v22, vcc_lo
	s_clause 0x6
	global_load_u16 v10, v[21:22], off
	global_load_u16 v11, v[21:22], off offset:1024
	global_load_u16 v12, v[21:22], off offset:2048
	;; [unrolled: 1-line block ×3, first 2 shown]
	global_load_u16 v14, v[23:24], off
	global_load_u16 v15, v[23:24], off offset:1024
	global_load_u16 v16, v[23:24], off offset:2048
	s_mov_b32 s10, -1
	s_clause 0x7
	global_load_d16_b16 v17, v[23:24], off offset:3072
	global_load_d16_hi_b16 v10, v[21:22], off offset:512
	global_load_d16_hi_b16 v11, v[21:22], off offset:1536
	;; [unrolled: 1-line block ×7, first 2 shown]
	v_add_co_u32 v21, vcc_lo, 0x1e00, v21
	v_add_co_ci_u32_e32 v22, vcc_lo, 0, v22, vcc_lo
	s_cbranch_execz .LBB948_912
; %bb.910:                              ;   in Loop: Header=BB948_908 Depth=2
                                        ; implicit-def: $vgpr2_vgpr3_vgpr4_vgpr5_vgpr6_vgpr7_vgpr8_vgpr9
	v_mov_b32_e32 v0, s1
	s_and_saveexec_b32 s8, s10
	s_cbranch_execnz .LBB948_931
	s_branch .LBB948_932
.LBB948_911:                            ;   in Loop: Header=BB948_908 Depth=2
	s_mov_b32 s10, 0
                                        ; implicit-def: $sgpr11
                                        ; implicit-def: $vgpr10_vgpr11_vgpr12_vgpr13_vgpr14_vgpr15_vgpr16_vgpr17
                                        ; implicit-def: $vgpr21_vgpr22
.LBB948_912:                            ;   in Loop: Header=BB948_908 Depth=2
	s_lshl_b64 s[8:9], s[34:35], 1
	s_mov_b32 s11, exec_lo
	s_add_u32 s8, s36, s8
	s_addc_u32 s9, s37, s9
	v_cmpx_gt_u32_e64 s1, v18
	s_cbranch_execz .LBB948_964
; %bb.913:                              ;   in Loop: Header=BB948_908 Depth=2
	global_load_d16_b16 v2, v99, s[8:9]
	s_or_b32 exec_lo, exec_lo, s11
	s_delay_alu instid0(SALU_CYCLE_1)
	s_mov_b32 s11, exec_lo
	v_cmpx_gt_u32_e64 s1, v48
	s_cbranch_execnz .LBB948_965
.LBB948_914:                            ;   in Loop: Header=BB948_908 Depth=2
	s_or_b32 exec_lo, exec_lo, s11
	s_delay_alu instid0(SALU_CYCLE_1)
	s_mov_b32 s11, exec_lo
	v_cmpx_gt_u32_e64 s1, v49
	s_cbranch_execz .LBB948_966
.LBB948_915:                            ;   in Loop: Header=BB948_908 Depth=2
	global_load_d16_b16 v3, v99, s[8:9] offset:1024
	s_or_b32 exec_lo, exec_lo, s11
	s_delay_alu instid0(SALU_CYCLE_1)
	s_mov_b32 s11, exec_lo
	v_cmpx_gt_u32_e64 s1, v50
	s_cbranch_execnz .LBB948_967
.LBB948_916:                            ;   in Loop: Header=BB948_908 Depth=2
	s_or_b32 exec_lo, exec_lo, s11
	s_delay_alu instid0(SALU_CYCLE_1)
	s_mov_b32 s11, exec_lo
	v_cmpx_gt_u32_e64 s1, v54
	s_cbranch_execz .LBB948_968
.LBB948_917:                            ;   in Loop: Header=BB948_908 Depth=2
	global_load_d16_b16 v4, v99, s[8:9] offset:2048
	s_or_b32 exec_lo, exec_lo, s11
	s_delay_alu instid0(SALU_CYCLE_1)
	s_mov_b32 s11, exec_lo
	v_cmpx_gt_u32_e64 s1, v55
	s_cbranch_execnz .LBB948_969
.LBB948_918:                            ;   in Loop: Header=BB948_908 Depth=2
	s_or_b32 exec_lo, exec_lo, s11
	s_delay_alu instid0(SALU_CYCLE_1)
	s_mov_b32 s11, exec_lo
	v_cmpx_gt_u32_e64 s1, v56
	s_cbranch_execz .LBB948_970
.LBB948_919:                            ;   in Loop: Header=BB948_908 Depth=2
	global_load_d16_b16 v5, v99, s[8:9] offset:3072
	s_or_b32 exec_lo, exec_lo, s11
	s_delay_alu instid0(SALU_CYCLE_1)
	s_mov_b32 s11, exec_lo
	v_cmpx_gt_u32_e64 s1, v57
	s_cbranch_execnz .LBB948_971
.LBB948_920:                            ;   in Loop: Header=BB948_908 Depth=2
	s_or_b32 exec_lo, exec_lo, s11
	s_delay_alu instid0(SALU_CYCLE_1)
	s_mov_b32 s11, exec_lo
	v_cmpx_gt_u32_e64 s1, v58
	s_cbranch_execz .LBB948_972
.LBB948_921:                            ;   in Loop: Header=BB948_908 Depth=2
	v_lshlrev_b32_e32 v0, 1, v58
	global_load_d16_b16 v6, v0, s[8:9]
	s_or_b32 exec_lo, exec_lo, s11
	s_delay_alu instid0(SALU_CYCLE_1)
	s_mov_b32 s11, exec_lo
	v_cmpx_gt_u32_e64 s1, v59
	s_cbranch_execnz .LBB948_973
.LBB948_922:                            ;   in Loop: Header=BB948_908 Depth=2
	s_or_b32 exec_lo, exec_lo, s11
	s_delay_alu instid0(SALU_CYCLE_1)
	s_mov_b32 s11, exec_lo
	v_cmpx_gt_u32_e64 s1, v60
	s_cbranch_execz .LBB948_974
.LBB948_923:                            ;   in Loop: Header=BB948_908 Depth=2
	v_lshlrev_b32_e32 v0, 1, v60
	global_load_d16_b16 v7, v0, s[8:9]
	s_or_b32 exec_lo, exec_lo, s11
	s_delay_alu instid0(SALU_CYCLE_1)
	s_mov_b32 s11, exec_lo
	v_cmpx_gt_u32_e64 s1, v61
	s_cbranch_execnz .LBB948_975
.LBB948_924:                            ;   in Loop: Header=BB948_908 Depth=2
	s_or_b32 exec_lo, exec_lo, s11
	s_delay_alu instid0(SALU_CYCLE_1)
	s_mov_b32 s11, exec_lo
	v_cmpx_gt_u32_e64 s1, v62
	s_cbranch_execz .LBB948_976
.LBB948_925:                            ;   in Loop: Header=BB948_908 Depth=2
	v_lshlrev_b32_e32 v0, 1, v62
	global_load_d16_b16 v8, v0, s[8:9]
	s_or_b32 exec_lo, exec_lo, s11
	s_delay_alu instid0(SALU_CYCLE_1)
	s_mov_b32 s11, exec_lo
	v_cmpx_gt_u32_e64 s1, v63
	s_cbranch_execnz .LBB948_977
.LBB948_926:                            ;   in Loop: Header=BB948_908 Depth=2
	s_or_b32 exec_lo, exec_lo, s11
	s_delay_alu instid0(SALU_CYCLE_1)
	s_mov_b32 s11, exec_lo
	v_cmpx_gt_u32_e64 s1, v64
	s_cbranch_execz .LBB948_928
.LBB948_927:                            ;   in Loop: Header=BB948_908 Depth=2
	v_lshlrev_b32_e32 v0, 1, v64
	global_load_d16_b16 v9, v0, s[8:9]
.LBB948_928:                            ;   in Loop: Header=BB948_908 Depth=2
	s_or_b32 exec_lo, exec_lo, s11
	s_delay_alu instid0(SALU_CYCLE_1)
	s_mov_b32 s12, exec_lo
                                        ; implicit-def: $sgpr11
                                        ; implicit-def: $vgpr21_vgpr22
	v_cmpx_gt_u32_e64 s1, v66
; %bb.929:                              ;   in Loop: Header=BB948_908 Depth=2
	v_lshlrev_b32_e32 v0, 1, v66
	s_sub_i32 s11, s63, s34
	s_or_b32 s10, s10, exec_lo
	s_delay_alu instid0(VALU_DEP_1) | instskip(NEXT) | instid1(VALU_DEP_1)
	v_add_co_u32 v21, s8, s8, v0
	v_add_co_ci_u32_e64 v22, null, s9, 0, s8
; %bb.930:                              ;   in Loop: Header=BB948_908 Depth=2
	s_or_b32 exec_lo, exec_lo, s12
	s_waitcnt vmcnt(0)
	v_dual_mov_b32 v17, v9 :: v_dual_mov_b32 v16, v8
	v_dual_mov_b32 v15, v7 :: v_dual_mov_b32 v14, v6
	;; [unrolled: 1-line block ×4, first 2 shown]
	v_mov_b32_e32 v0, s1
	s_and_saveexec_b32 s8, s10
	s_cbranch_execz .LBB948_932
.LBB948_931:                            ;   in Loop: Header=BB948_908 Depth=2
	global_load_d16_hi_b16 v17, v[21:22], off
	s_waitcnt vmcnt(0)
	v_dual_mov_b32 v2, v10 :: v_dual_mov_b32 v5, v13
	v_dual_mov_b32 v0, s11 :: v_dual_mov_b32 v3, v11
	;; [unrolled: 1-line block ×3, first 2 shown]
	v_mov_b32_e32 v6, v14
	v_dual_mov_b32 v8, v16 :: v_dual_mov_b32 v9, v17
.LBB948_932:                            ;   in Loop: Header=BB948_908 Depth=2
	s_or_b32 exec_lo, exec_lo, s8
	s_waitcnt vmcnt(6)
	v_lshlrev_b32_e32 v10, 2, v51
	s_mov_b32 s8, exec_lo
	v_cmpx_lt_u32_e64 v18, v0
	s_cbranch_execz .LBB948_948
; %bb.933:                              ;   in Loop: Header=BB948_908 Depth=2
	s_waitcnt vmcnt(5)
	v_xor_b32_e32 v11, 0x7fff, v2
	s_delay_alu instid0(VALU_DEP_1) | instskip(NEXT) | instid1(VALU_DEP_1)
	v_and_b32_e32 v11, 0xffff, v11
	v_lshrrev_b32_e32 v11, s57, v11
	s_delay_alu instid0(VALU_DEP_1) | instskip(NEXT) | instid1(VALU_DEP_1)
	v_and_b32_e32 v11, s43, v11
	v_lshl_or_b32 v11, v11, 4, v10
	ds_add_u32 v11, v98
	s_or_b32 exec_lo, exec_lo, s8
	s_delay_alu instid0(SALU_CYCLE_1)
	s_mov_b32 s8, exec_lo
	v_cmpx_lt_u32_e64 v48, v0
	s_cbranch_execnz .LBB948_949
.LBB948_934:                            ;   in Loop: Header=BB948_908 Depth=2
	s_or_b32 exec_lo, exec_lo, s8
	s_delay_alu instid0(SALU_CYCLE_1)
	s_mov_b32 s8, exec_lo
	v_cmpx_lt_u32_e64 v49, v0
	s_cbranch_execz .LBB948_950
.LBB948_935:                            ;   in Loop: Header=BB948_908 Depth=2
	s_waitcnt vmcnt(5)
	v_xor_b32_e32 v11, 0x7fff, v3
	s_delay_alu instid0(VALU_DEP_1) | instskip(NEXT) | instid1(VALU_DEP_1)
	v_and_b32_e32 v11, 0xffff, v11
	v_lshrrev_b32_e32 v11, s57, v11
	s_delay_alu instid0(VALU_DEP_1) | instskip(NEXT) | instid1(VALU_DEP_1)
	v_and_b32_e32 v11, s43, v11
	v_lshl_or_b32 v11, v11, 4, v10
	ds_add_u32 v11, v98
	s_or_b32 exec_lo, exec_lo, s8
	s_delay_alu instid0(SALU_CYCLE_1)
	s_mov_b32 s8, exec_lo
	v_cmpx_lt_u32_e64 v50, v0
	s_cbranch_execnz .LBB948_951
.LBB948_936:                            ;   in Loop: Header=BB948_908 Depth=2
	s_or_b32 exec_lo, exec_lo, s8
	s_delay_alu instid0(SALU_CYCLE_1)
	s_mov_b32 s8, exec_lo
	v_cmpx_lt_u32_e64 v54, v0
	s_cbranch_execz .LBB948_952
.LBB948_937:                            ;   in Loop: Header=BB948_908 Depth=2
	s_waitcnt vmcnt(5)
	v_xor_b32_e32 v11, 0x7fff, v4
	s_delay_alu instid0(VALU_DEP_1) | instskip(NEXT) | instid1(VALU_DEP_1)
	v_and_b32_e32 v11, 0xffff, v11
	v_lshrrev_b32_e32 v11, s57, v11
	s_delay_alu instid0(VALU_DEP_1) | instskip(NEXT) | instid1(VALU_DEP_1)
	v_and_b32_e32 v11, s43, v11
	v_lshl_or_b32 v11, v11, 4, v10
	ds_add_u32 v11, v98
	s_or_b32 exec_lo, exec_lo, s8
	s_delay_alu instid0(SALU_CYCLE_1)
	s_mov_b32 s8, exec_lo
	v_cmpx_lt_u32_e64 v55, v0
	s_cbranch_execnz .LBB948_953
.LBB948_938:                            ;   in Loop: Header=BB948_908 Depth=2
	s_or_b32 exec_lo, exec_lo, s8
	s_delay_alu instid0(SALU_CYCLE_1)
	s_mov_b32 s8, exec_lo
	v_cmpx_lt_u32_e64 v56, v0
	s_cbranch_execz .LBB948_954
.LBB948_939:                            ;   in Loop: Header=BB948_908 Depth=2
	s_waitcnt vmcnt(5)
	v_xor_b32_e32 v11, 0x7fff, v5
	s_delay_alu instid0(VALU_DEP_1) | instskip(NEXT) | instid1(VALU_DEP_1)
	v_and_b32_e32 v11, 0xffff, v11
	v_lshrrev_b32_e32 v11, s57, v11
	s_delay_alu instid0(VALU_DEP_1) | instskip(NEXT) | instid1(VALU_DEP_1)
	v_and_b32_e32 v11, s43, v11
	v_lshl_or_b32 v11, v11, 4, v10
	ds_add_u32 v11, v98
	s_or_b32 exec_lo, exec_lo, s8
	s_delay_alu instid0(SALU_CYCLE_1)
	s_mov_b32 s8, exec_lo
	v_cmpx_lt_u32_e64 v57, v0
	s_cbranch_execnz .LBB948_955
.LBB948_940:                            ;   in Loop: Header=BB948_908 Depth=2
	s_or_b32 exec_lo, exec_lo, s8
	s_delay_alu instid0(SALU_CYCLE_1)
	s_mov_b32 s8, exec_lo
	v_cmpx_lt_u32_e64 v58, v0
	s_cbranch_execz .LBB948_956
.LBB948_941:                            ;   in Loop: Header=BB948_908 Depth=2
	s_waitcnt vmcnt(5)
	v_xor_b32_e32 v11, 0x7fff, v6
	s_delay_alu instid0(VALU_DEP_1) | instskip(NEXT) | instid1(VALU_DEP_1)
	v_and_b32_e32 v11, 0xffff, v11
	v_lshrrev_b32_e32 v11, s57, v11
	s_delay_alu instid0(VALU_DEP_1) | instskip(NEXT) | instid1(VALU_DEP_1)
	v_and_b32_e32 v11, s43, v11
	v_lshl_or_b32 v11, v11, 4, v10
	ds_add_u32 v11, v98
	s_or_b32 exec_lo, exec_lo, s8
	s_delay_alu instid0(SALU_CYCLE_1)
	s_mov_b32 s8, exec_lo
	v_cmpx_lt_u32_e64 v59, v0
	s_cbranch_execnz .LBB948_957
.LBB948_942:                            ;   in Loop: Header=BB948_908 Depth=2
	s_or_b32 exec_lo, exec_lo, s8
	s_delay_alu instid0(SALU_CYCLE_1)
	s_mov_b32 s8, exec_lo
	v_cmpx_lt_u32_e64 v60, v0
	s_cbranch_execz .LBB948_958
.LBB948_943:                            ;   in Loop: Header=BB948_908 Depth=2
	s_waitcnt vmcnt(5)
	v_xor_b32_e32 v11, 0x7fff, v7
	s_delay_alu instid0(VALU_DEP_1) | instskip(NEXT) | instid1(VALU_DEP_1)
	v_and_b32_e32 v11, 0xffff, v11
	v_lshrrev_b32_e32 v11, s57, v11
	s_delay_alu instid0(VALU_DEP_1) | instskip(NEXT) | instid1(VALU_DEP_1)
	v_and_b32_e32 v11, s43, v11
	v_lshl_or_b32 v11, v11, 4, v10
	ds_add_u32 v11, v98
	s_or_b32 exec_lo, exec_lo, s8
	s_delay_alu instid0(SALU_CYCLE_1)
	s_mov_b32 s8, exec_lo
	v_cmpx_lt_u32_e64 v61, v0
	s_cbranch_execnz .LBB948_959
.LBB948_944:                            ;   in Loop: Header=BB948_908 Depth=2
	s_or_b32 exec_lo, exec_lo, s8
	s_delay_alu instid0(SALU_CYCLE_1)
	s_mov_b32 s8, exec_lo
	v_cmpx_lt_u32_e64 v62, v0
	s_cbranch_execz .LBB948_960
.LBB948_945:                            ;   in Loop: Header=BB948_908 Depth=2
	s_waitcnt vmcnt(5)
	v_xor_b32_e32 v11, 0x7fff, v8
	s_delay_alu instid0(VALU_DEP_1) | instskip(NEXT) | instid1(VALU_DEP_1)
	v_and_b32_e32 v11, 0xffff, v11
	v_lshrrev_b32_e32 v11, s57, v11
	s_delay_alu instid0(VALU_DEP_1) | instskip(NEXT) | instid1(VALU_DEP_1)
	v_and_b32_e32 v11, s43, v11
	v_lshl_or_b32 v11, v11, 4, v10
	ds_add_u32 v11, v98
	s_or_b32 exec_lo, exec_lo, s8
	s_delay_alu instid0(SALU_CYCLE_1)
	s_mov_b32 s8, exec_lo
	v_cmpx_lt_u32_e64 v63, v0
	s_cbranch_execnz .LBB948_961
.LBB948_946:                            ;   in Loop: Header=BB948_908 Depth=2
	s_or_b32 exec_lo, exec_lo, s8
	s_delay_alu instid0(SALU_CYCLE_1)
	s_mov_b32 s8, exec_lo
	v_cmpx_lt_u32_e64 v64, v0
	s_cbranch_execz .LBB948_962
.LBB948_947:                            ;   in Loop: Header=BB948_908 Depth=2
	s_waitcnt vmcnt(5)
	v_xor_b32_e32 v11, 0x7fff, v9
	s_delay_alu instid0(VALU_DEP_1) | instskip(NEXT) | instid1(VALU_DEP_1)
	v_and_b32_e32 v11, 0xffff, v11
	v_lshrrev_b32_e32 v11, s57, v11
	s_delay_alu instid0(VALU_DEP_1) | instskip(NEXT) | instid1(VALU_DEP_1)
	v_and_b32_e32 v11, s43, v11
	v_lshl_or_b32 v11, v11, 4, v10
	ds_add_u32 v11, v98
	s_or_b32 exec_lo, exec_lo, s8
	s_delay_alu instid0(SALU_CYCLE_1)
	s_mov_b32 s8, exec_lo
	v_cmpx_lt_u32_e64 v66, v0
	s_cbranch_execz .LBB948_907
	s_branch .LBB948_963
.LBB948_948:                            ;   in Loop: Header=BB948_908 Depth=2
	s_or_b32 exec_lo, exec_lo, s8
	s_delay_alu instid0(SALU_CYCLE_1)
	s_mov_b32 s8, exec_lo
	v_cmpx_lt_u32_e64 v48, v0
	s_cbranch_execz .LBB948_934
.LBB948_949:                            ;   in Loop: Header=BB948_908 Depth=2
	s_waitcnt vmcnt(5)
	v_lshrrev_b32_e32 v11, 16, v2
	s_delay_alu instid0(VALU_DEP_1) | instskip(NEXT) | instid1(VALU_DEP_1)
	v_xor_b32_e32 v11, 0x7fff, v11
	v_and_b32_e32 v11, 0xffff, v11
	s_delay_alu instid0(VALU_DEP_1) | instskip(NEXT) | instid1(VALU_DEP_1)
	v_lshrrev_b32_e32 v11, s57, v11
	v_and_b32_e32 v11, s43, v11
	s_delay_alu instid0(VALU_DEP_1) | instskip(SKIP_2) | instid1(SALU_CYCLE_1)
	v_lshl_or_b32 v11, v11, 4, v10
	ds_add_u32 v11, v98
	s_or_b32 exec_lo, exec_lo, s8
	s_mov_b32 s8, exec_lo
	v_cmpx_lt_u32_e64 v49, v0
	s_cbranch_execnz .LBB948_935
.LBB948_950:                            ;   in Loop: Header=BB948_908 Depth=2
	s_or_b32 exec_lo, exec_lo, s8
	s_delay_alu instid0(SALU_CYCLE_1)
	s_mov_b32 s8, exec_lo
	v_cmpx_lt_u32_e64 v50, v0
	s_cbranch_execz .LBB948_936
.LBB948_951:                            ;   in Loop: Header=BB948_908 Depth=2
	s_waitcnt vmcnt(5)
	v_lshrrev_b32_e32 v11, 16, v3
	s_delay_alu instid0(VALU_DEP_1) | instskip(NEXT) | instid1(VALU_DEP_1)
	v_xor_b32_e32 v11, 0x7fff, v11
	v_and_b32_e32 v11, 0xffff, v11
	s_delay_alu instid0(VALU_DEP_1) | instskip(NEXT) | instid1(VALU_DEP_1)
	v_lshrrev_b32_e32 v11, s57, v11
	v_and_b32_e32 v11, s43, v11
	s_delay_alu instid0(VALU_DEP_1) | instskip(SKIP_2) | instid1(SALU_CYCLE_1)
	v_lshl_or_b32 v11, v11, 4, v10
	ds_add_u32 v11, v98
	s_or_b32 exec_lo, exec_lo, s8
	s_mov_b32 s8, exec_lo
	v_cmpx_lt_u32_e64 v54, v0
	s_cbranch_execnz .LBB948_937
.LBB948_952:                            ;   in Loop: Header=BB948_908 Depth=2
	s_or_b32 exec_lo, exec_lo, s8
	s_delay_alu instid0(SALU_CYCLE_1)
	s_mov_b32 s8, exec_lo
	v_cmpx_lt_u32_e64 v55, v0
	s_cbranch_execz .LBB948_938
.LBB948_953:                            ;   in Loop: Header=BB948_908 Depth=2
	s_waitcnt vmcnt(5)
	v_lshrrev_b32_e32 v11, 16, v4
	s_delay_alu instid0(VALU_DEP_1) | instskip(NEXT) | instid1(VALU_DEP_1)
	v_xor_b32_e32 v11, 0x7fff, v11
	v_and_b32_e32 v11, 0xffff, v11
	s_delay_alu instid0(VALU_DEP_1) | instskip(NEXT) | instid1(VALU_DEP_1)
	v_lshrrev_b32_e32 v11, s57, v11
	v_and_b32_e32 v11, s43, v11
	s_delay_alu instid0(VALU_DEP_1) | instskip(SKIP_2) | instid1(SALU_CYCLE_1)
	v_lshl_or_b32 v11, v11, 4, v10
	ds_add_u32 v11, v98
	s_or_b32 exec_lo, exec_lo, s8
	s_mov_b32 s8, exec_lo
	v_cmpx_lt_u32_e64 v56, v0
	s_cbranch_execnz .LBB948_939
.LBB948_954:                            ;   in Loop: Header=BB948_908 Depth=2
	s_or_b32 exec_lo, exec_lo, s8
	s_delay_alu instid0(SALU_CYCLE_1)
	s_mov_b32 s8, exec_lo
	v_cmpx_lt_u32_e64 v57, v0
	s_cbranch_execz .LBB948_940
.LBB948_955:                            ;   in Loop: Header=BB948_908 Depth=2
	s_waitcnt vmcnt(5)
	v_lshrrev_b32_e32 v11, 16, v5
	s_delay_alu instid0(VALU_DEP_1) | instskip(NEXT) | instid1(VALU_DEP_1)
	v_xor_b32_e32 v11, 0x7fff, v11
	v_and_b32_e32 v11, 0xffff, v11
	s_delay_alu instid0(VALU_DEP_1) | instskip(NEXT) | instid1(VALU_DEP_1)
	v_lshrrev_b32_e32 v11, s57, v11
	v_and_b32_e32 v11, s43, v11
	s_delay_alu instid0(VALU_DEP_1) | instskip(SKIP_2) | instid1(SALU_CYCLE_1)
	v_lshl_or_b32 v11, v11, 4, v10
	ds_add_u32 v11, v98
	s_or_b32 exec_lo, exec_lo, s8
	s_mov_b32 s8, exec_lo
	v_cmpx_lt_u32_e64 v58, v0
	s_cbranch_execnz .LBB948_941
.LBB948_956:                            ;   in Loop: Header=BB948_908 Depth=2
	s_or_b32 exec_lo, exec_lo, s8
	s_delay_alu instid0(SALU_CYCLE_1)
	s_mov_b32 s8, exec_lo
	v_cmpx_lt_u32_e64 v59, v0
	s_cbranch_execz .LBB948_942
.LBB948_957:                            ;   in Loop: Header=BB948_908 Depth=2
	s_waitcnt vmcnt(5)
	v_lshrrev_b32_e32 v11, 16, v6
	s_delay_alu instid0(VALU_DEP_1) | instskip(NEXT) | instid1(VALU_DEP_1)
	v_xor_b32_e32 v11, 0x7fff, v11
	v_and_b32_e32 v11, 0xffff, v11
	s_delay_alu instid0(VALU_DEP_1) | instskip(NEXT) | instid1(VALU_DEP_1)
	v_lshrrev_b32_e32 v11, s57, v11
	v_and_b32_e32 v11, s43, v11
	s_delay_alu instid0(VALU_DEP_1) | instskip(SKIP_2) | instid1(SALU_CYCLE_1)
	v_lshl_or_b32 v11, v11, 4, v10
	ds_add_u32 v11, v98
	s_or_b32 exec_lo, exec_lo, s8
	s_mov_b32 s8, exec_lo
	v_cmpx_lt_u32_e64 v60, v0
	s_cbranch_execnz .LBB948_943
.LBB948_958:                            ;   in Loop: Header=BB948_908 Depth=2
	s_or_b32 exec_lo, exec_lo, s8
	s_delay_alu instid0(SALU_CYCLE_1)
	s_mov_b32 s8, exec_lo
	v_cmpx_lt_u32_e64 v61, v0
	s_cbranch_execz .LBB948_944
.LBB948_959:                            ;   in Loop: Header=BB948_908 Depth=2
	s_waitcnt vmcnt(5)
	v_lshrrev_b32_e32 v11, 16, v7
	s_delay_alu instid0(VALU_DEP_1) | instskip(NEXT) | instid1(VALU_DEP_1)
	v_xor_b32_e32 v11, 0x7fff, v11
	v_and_b32_e32 v11, 0xffff, v11
	s_delay_alu instid0(VALU_DEP_1) | instskip(NEXT) | instid1(VALU_DEP_1)
	v_lshrrev_b32_e32 v11, s57, v11
	v_and_b32_e32 v11, s43, v11
	s_delay_alu instid0(VALU_DEP_1) | instskip(SKIP_2) | instid1(SALU_CYCLE_1)
	v_lshl_or_b32 v11, v11, 4, v10
	ds_add_u32 v11, v98
	s_or_b32 exec_lo, exec_lo, s8
	s_mov_b32 s8, exec_lo
	v_cmpx_lt_u32_e64 v62, v0
	s_cbranch_execnz .LBB948_945
.LBB948_960:                            ;   in Loop: Header=BB948_908 Depth=2
	s_or_b32 exec_lo, exec_lo, s8
	s_delay_alu instid0(SALU_CYCLE_1)
	s_mov_b32 s8, exec_lo
	v_cmpx_lt_u32_e64 v63, v0
	s_cbranch_execz .LBB948_946
.LBB948_961:                            ;   in Loop: Header=BB948_908 Depth=2
	s_waitcnt vmcnt(5)
	v_lshrrev_b32_e32 v11, 16, v8
	s_delay_alu instid0(VALU_DEP_1) | instskip(NEXT) | instid1(VALU_DEP_1)
	v_xor_b32_e32 v11, 0x7fff, v11
	v_and_b32_e32 v11, 0xffff, v11
	s_delay_alu instid0(VALU_DEP_1) | instskip(NEXT) | instid1(VALU_DEP_1)
	v_lshrrev_b32_e32 v11, s57, v11
	v_and_b32_e32 v11, s43, v11
	s_delay_alu instid0(VALU_DEP_1) | instskip(SKIP_2) | instid1(SALU_CYCLE_1)
	v_lshl_or_b32 v11, v11, 4, v10
	ds_add_u32 v11, v98
	s_or_b32 exec_lo, exec_lo, s8
	s_mov_b32 s8, exec_lo
	v_cmpx_lt_u32_e64 v64, v0
	s_cbranch_execnz .LBB948_947
.LBB948_962:                            ;   in Loop: Header=BB948_908 Depth=2
	s_or_b32 exec_lo, exec_lo, s8
	s_delay_alu instid0(SALU_CYCLE_1)
	s_mov_b32 s8, exec_lo
	v_cmpx_lt_u32_e64 v66, v0
	s_cbranch_execz .LBB948_907
.LBB948_963:                            ;   in Loop: Header=BB948_908 Depth=2
	v_lshrrev_b32_e32 v0, 16, v9
	s_delay_alu instid0(VALU_DEP_1) | instskip(NEXT) | instid1(VALU_DEP_1)
	v_xor_b32_e32 v0, 0x7fff, v0
	v_and_b32_e32 v0, 0xffff, v0
	s_delay_alu instid0(VALU_DEP_1) | instskip(NEXT) | instid1(VALU_DEP_1)
	v_lshrrev_b32_e32 v0, s57, v0
	v_and_b32_e32 v0, s43, v0
	s_delay_alu instid0(VALU_DEP_1)
	v_lshl_or_b32 v0, v0, 4, v10
	ds_add_u32 v0, v98
	s_branch .LBB948_907
.LBB948_964:                            ;   in Loop: Header=BB948_908 Depth=2
	s_or_b32 exec_lo, exec_lo, s11
	s_delay_alu instid0(SALU_CYCLE_1)
	s_mov_b32 s11, exec_lo
	v_cmpx_gt_u32_e64 s1, v48
	s_cbranch_execz .LBB948_914
.LBB948_965:                            ;   in Loop: Header=BB948_908 Depth=2
	global_load_d16_hi_b16 v2, v99, s[8:9] offset:512
	s_or_b32 exec_lo, exec_lo, s11
	s_delay_alu instid0(SALU_CYCLE_1)
	s_mov_b32 s11, exec_lo
	v_cmpx_gt_u32_e64 s1, v49
	s_cbranch_execnz .LBB948_915
.LBB948_966:                            ;   in Loop: Header=BB948_908 Depth=2
	s_or_b32 exec_lo, exec_lo, s11
	s_delay_alu instid0(SALU_CYCLE_1)
	s_mov_b32 s11, exec_lo
	v_cmpx_gt_u32_e64 s1, v50
	s_cbranch_execz .LBB948_916
.LBB948_967:                            ;   in Loop: Header=BB948_908 Depth=2
	global_load_d16_hi_b16 v3, v99, s[8:9] offset:1536
	s_or_b32 exec_lo, exec_lo, s11
	s_delay_alu instid0(SALU_CYCLE_1)
	s_mov_b32 s11, exec_lo
	v_cmpx_gt_u32_e64 s1, v54
	s_cbranch_execnz .LBB948_917
.LBB948_968:                            ;   in Loop: Header=BB948_908 Depth=2
	s_or_b32 exec_lo, exec_lo, s11
	s_delay_alu instid0(SALU_CYCLE_1)
	s_mov_b32 s11, exec_lo
	v_cmpx_gt_u32_e64 s1, v55
	s_cbranch_execz .LBB948_918
.LBB948_969:                            ;   in Loop: Header=BB948_908 Depth=2
	global_load_d16_hi_b16 v4, v99, s[8:9] offset:2560
	s_or_b32 exec_lo, exec_lo, s11
	s_delay_alu instid0(SALU_CYCLE_1)
	s_mov_b32 s11, exec_lo
	v_cmpx_gt_u32_e64 s1, v56
	s_cbranch_execnz .LBB948_919
.LBB948_970:                            ;   in Loop: Header=BB948_908 Depth=2
	s_or_b32 exec_lo, exec_lo, s11
	s_delay_alu instid0(SALU_CYCLE_1)
	s_mov_b32 s11, exec_lo
	v_cmpx_gt_u32_e64 s1, v57
	s_cbranch_execz .LBB948_920
.LBB948_971:                            ;   in Loop: Header=BB948_908 Depth=2
	global_load_d16_hi_b16 v5, v99, s[8:9] offset:3584
	s_or_b32 exec_lo, exec_lo, s11
	s_delay_alu instid0(SALU_CYCLE_1)
	s_mov_b32 s11, exec_lo
	v_cmpx_gt_u32_e64 s1, v58
	s_cbranch_execnz .LBB948_921
.LBB948_972:                            ;   in Loop: Header=BB948_908 Depth=2
	s_or_b32 exec_lo, exec_lo, s11
	s_delay_alu instid0(SALU_CYCLE_1)
	s_mov_b32 s11, exec_lo
	v_cmpx_gt_u32_e64 s1, v59
	s_cbranch_execz .LBB948_922
.LBB948_973:                            ;   in Loop: Header=BB948_908 Depth=2
	v_lshlrev_b32_e32 v0, 1, v59
	global_load_d16_hi_b16 v6, v0, s[8:9]
	s_or_b32 exec_lo, exec_lo, s11
	s_delay_alu instid0(SALU_CYCLE_1)
	s_mov_b32 s11, exec_lo
	v_cmpx_gt_u32_e64 s1, v60
	s_cbranch_execnz .LBB948_923
.LBB948_974:                            ;   in Loop: Header=BB948_908 Depth=2
	s_or_b32 exec_lo, exec_lo, s11
	s_delay_alu instid0(SALU_CYCLE_1)
	s_mov_b32 s11, exec_lo
	v_cmpx_gt_u32_e64 s1, v61
	s_cbranch_execz .LBB948_924
.LBB948_975:                            ;   in Loop: Header=BB948_908 Depth=2
	v_lshlrev_b32_e32 v0, 1, v61
	global_load_d16_hi_b16 v7, v0, s[8:9]
	s_or_b32 exec_lo, exec_lo, s11
	s_delay_alu instid0(SALU_CYCLE_1)
	s_mov_b32 s11, exec_lo
	v_cmpx_gt_u32_e64 s1, v62
	s_cbranch_execnz .LBB948_925
.LBB948_976:                            ;   in Loop: Header=BB948_908 Depth=2
	s_or_b32 exec_lo, exec_lo, s11
	s_delay_alu instid0(SALU_CYCLE_1)
	s_mov_b32 s11, exec_lo
	v_cmpx_gt_u32_e64 s1, v63
	s_cbranch_execz .LBB948_926
.LBB948_977:                            ;   in Loop: Header=BB948_908 Depth=2
	v_lshlrev_b32_e32 v0, 1, v63
	global_load_d16_hi_b16 v8, v0, s[8:9]
	s_or_b32 exec_lo, exec_lo, s11
	s_delay_alu instid0(SALU_CYCLE_1)
	s_mov_b32 s11, exec_lo
	v_cmpx_gt_u32_e64 s1, v64
	s_cbranch_execz .LBB948_928
	s_branch .LBB948_927
.LBB948_978:                            ;   in Loop: Header=BB948_20 Depth=1
	v_mov_b32_e32 v0, 0
	s_waitcnt vmcnt(0) lgkmcnt(0)
	s_barrier
	buffer_gl0_inv
	s_and_saveexec_b32 s1, s2
	s_cbranch_execz .LBB948_980
; %bb.979:                              ;   in Loop: Header=BB948_20 Depth=1
	ds_load_2addr_b64 v[2:5], v67 offset1:1
	s_waitcnt lgkmcnt(0)
	v_add_nc_u32_e32 v0, v3, v2
	s_delay_alu instid0(VALU_DEP_1)
	v_add3_u32 v0, v0, v4, v5
.LBB948_980:                            ;   in Loop: Header=BB948_20 Depth=1
	s_or_b32 exec_lo, exec_lo, s1
	v_and_b32_e32 v2, 15, v100
	s_delay_alu instid0(VALU_DEP_2) | instskip(SKIP_1) | instid1(VALU_DEP_3)
	v_mov_b32_dpp v3, v0 row_shr:1 row_mask:0xf bank_mask:0xf
	v_and_b32_e32 v4, 16, v100
	v_cmp_eq_u32_e64 s1, 0, v2
	v_cmp_lt_u32_e64 s7, 1, v2
	v_cmp_lt_u32_e64 s8, 3, v2
	;; [unrolled: 1-line block ×3, first 2 shown]
	v_cmp_eq_u32_e64 s10, 0, v4
	v_cndmask_b32_e64 v3, v3, 0, s1
	s_delay_alu instid0(VALU_DEP_1) | instskip(NEXT) | instid1(VALU_DEP_1)
	v_add_nc_u32_e32 v0, v3, v0
	v_mov_b32_dpp v3, v0 row_shr:2 row_mask:0xf bank_mask:0xf
	s_delay_alu instid0(VALU_DEP_1) | instskip(NEXT) | instid1(VALU_DEP_1)
	v_cndmask_b32_e64 v3, 0, v3, s7
	v_add_nc_u32_e32 v0, v0, v3
	s_delay_alu instid0(VALU_DEP_1) | instskip(NEXT) | instid1(VALU_DEP_1)
	v_mov_b32_dpp v3, v0 row_shr:4 row_mask:0xf bank_mask:0xf
	v_cndmask_b32_e64 v3, 0, v3, s8
	s_delay_alu instid0(VALU_DEP_1) | instskip(NEXT) | instid1(VALU_DEP_1)
	v_add_nc_u32_e32 v0, v0, v3
	v_mov_b32_dpp v3, v0 row_shr:8 row_mask:0xf bank_mask:0xf
	s_delay_alu instid0(VALU_DEP_1) | instskip(SKIP_1) | instid1(VALU_DEP_2)
	v_cndmask_b32_e64 v2, 0, v3, s9
	v_bfe_i32 v3, v100, 4, 1
	v_add_nc_u32_e32 v0, v0, v2
	ds_swizzle_b32 v2, v0 offset:swizzle(BROADCAST,32,15)
	s_waitcnt lgkmcnt(0)
	v_and_b32_e32 v2, v3, v2
	s_delay_alu instid0(VALU_DEP_1)
	v_add_nc_u32_e32 v2, v0, v2
	s_and_saveexec_b32 s11, s3
	s_cbranch_execz .LBB948_982
; %bb.981:                              ;   in Loop: Header=BB948_20 Depth=1
	ds_store_b32 v68, v2
.LBB948_982:                            ;   in Loop: Header=BB948_20 Depth=1
	s_or_b32 exec_lo, exec_lo, s11
	v_and_b32_e32 v0, 7, v100
	s_waitcnt lgkmcnt(0)
	s_barrier
	buffer_gl0_inv
	s_and_saveexec_b32 s11, s4
	s_cbranch_execz .LBB948_984
; %bb.983:                              ;   in Loop: Header=BB948_20 Depth=1
	ds_load_b32 v3, v69
	v_cmp_ne_u32_e32 vcc_lo, 0, v0
	s_waitcnt lgkmcnt(0)
	v_mov_b32_dpp v4, v3 row_shr:1 row_mask:0xf bank_mask:0xf
	s_delay_alu instid0(VALU_DEP_1) | instskip(SKIP_1) | instid1(VALU_DEP_2)
	v_cndmask_b32_e32 v4, 0, v4, vcc_lo
	v_cmp_lt_u32_e32 vcc_lo, 1, v0
	v_add_nc_u32_e32 v3, v4, v3
	s_delay_alu instid0(VALU_DEP_1) | instskip(NEXT) | instid1(VALU_DEP_1)
	v_mov_b32_dpp v4, v3 row_shr:2 row_mask:0xf bank_mask:0xf
	v_cndmask_b32_e32 v4, 0, v4, vcc_lo
	v_cmp_lt_u32_e32 vcc_lo, 3, v0
	s_delay_alu instid0(VALU_DEP_2) | instskip(NEXT) | instid1(VALU_DEP_1)
	v_add_nc_u32_e32 v3, v3, v4
	v_mov_b32_dpp v4, v3 row_shr:4 row_mask:0xf bank_mask:0xf
	s_delay_alu instid0(VALU_DEP_1) | instskip(NEXT) | instid1(VALU_DEP_1)
	v_cndmask_b32_e32 v4, 0, v4, vcc_lo
	v_add_nc_u32_e32 v3, v3, v4
	ds_store_b32 v69, v3
.LBB948_984:                            ;   in Loop: Header=BB948_20 Depth=1
	s_or_b32 exec_lo, exec_lo, s11
	v_mov_b32_e32 v3, 0
	s_waitcnt lgkmcnt(0)
	s_barrier
	buffer_gl0_inv
	s_and_saveexec_b32 s11, s5
	s_cbranch_execz .LBB948_986
; %bb.985:                              ;   in Loop: Header=BB948_20 Depth=1
	ds_load_b32 v3, v70
.LBB948_986:                            ;   in Loop: Header=BB948_20 Depth=1
	s_or_b32 exec_lo, exec_lo, s11
	v_add_nc_u32_e32 v4, -1, v100
	s_waitcnt lgkmcnt(0)
	v_add_nc_u32_e32 v2, v3, v2
	v_cmp_eq_u32_e64 s11, 0, v100
	s_barrier
	v_cmp_gt_i32_e32 vcc_lo, 0, v4
	buffer_gl0_inv
	v_cndmask_b32_e32 v4, v4, v100, vcc_lo
	s_delay_alu instid0(VALU_DEP_1)
	v_lshlrev_b32_e32 v101, 2, v4
	ds_bpermute_b32 v2, v101, v2
	s_and_saveexec_b32 s12, s2
	s_cbranch_execz .LBB948_988
; %bb.987:                              ;   in Loop: Header=BB948_20 Depth=1
	s_waitcnt lgkmcnt(0)
	v_cndmask_b32_e64 v2, v2, v3, s11
	s_delay_alu instid0(VALU_DEP_1)
	v_add_nc_u32_e32 v2, s62, v2
	ds_store_b32 v47, v2
.LBB948_988:                            ;   in Loop: Header=BB948_20 Depth=1
	s_or_b32 exec_lo, exec_lo, s12
	s_load_b64 s[12:13], s[60:61], 0x0
	v_lshlrev_b32_e32 v3, 3, v100
	v_or_b32_e32 v102, v100, v71
	s_mov_b32 s56, s64
	s_mov_b32 s34, s62
                                        ; implicit-def: $vgpr10_vgpr11
                                        ; implicit-def: $vgpr12_vgpr13
                                        ; implicit-def: $vgpr14_vgpr15
                                        ; implicit-def: $vgpr16_vgpr17
                                        ; implicit-def: $vgpr21_vgpr22
                                        ; implicit-def: $vgpr23_vgpr24
                                        ; implicit-def: $vgpr25_vgpr26
                                        ; implicit-def: $vgpr27_vgpr28
                                        ; implicit-def: $vgpr29_vgpr30
                                        ; implicit-def: $vgpr31_vgpr32
                                        ; implicit-def: $vgpr33_vgpr34
                                        ; implicit-def: $vgpr35_vgpr36
                                        ; implicit-def: $vgpr37_vgpr38
                                        ; implicit-def: $vgpr39_vgpr40
                                        ; implicit-def: $vgpr41_vgpr42
                                        ; implicit-def: $vgpr43_vgpr44
                                        ; implicit-def: $vgpr125
                                        ; implicit-def: $vgpr126
                                        ; implicit-def: $vgpr127
                                        ; implicit-def: $vgpr128
                                        ; implicit-def: $vgpr129
                                        ; implicit-def: $vgpr130
                                        ; implicit-def: $vgpr131
                                        ; implicit-def: $vgpr132
                                        ; implicit-def: $vgpr133
                                        ; implicit-def: $vgpr134
                                        ; implicit-def: $vgpr135
                                        ; implicit-def: $vgpr136
                                        ; implicit-def: $vgpr137
                                        ; implicit-def: $vgpr138
                                        ; implicit-def: $vgpr139
                                        ; implicit-def: $vgpr140
                                        ; implicit-def: $vgpr9
	s_delay_alu instid0(VALU_DEP_2)
	v_add_co_u32 v103, vcc_lo, v94, v3
	v_add_co_ci_u32_e32 v104, vcc_lo, 0, v95, vcc_lo
	v_or_b32_e32 v105, 32, v102
	v_or_b32_e32 v106, 64, v102
	;; [unrolled: 1-line block ×10, first 2 shown]
	s_waitcnt lgkmcnt(0)
	s_cmp_lt_u32 s15, s13
	v_or_b32_e32 v115, 0x160, v102
	s_cselect_b32 s13, 14, 20
	v_or_b32_e32 v116, 0x180, v102
	s_add_u32 s16, s60, s13
	s_addc_u32 s17, s61, 0
	s_cmp_lt_u32 s14, s12
	global_load_u16 v2, v20, s[16:17]
	s_cselect_b32 s12, 12, 18
	v_or_b32_e32 v117, 0x1a0, v102
	s_add_u32 s12, s60, s12
	s_addc_u32 s13, s61, 0
	v_or_b32_e32 v118, 0x1c0, v102
	global_load_u16 v4, v20, s[12:13]
	v_cmp_eq_u32_e64 s12, 0, v0
	v_cmp_lt_u32_e64 s13, 1, v0
	v_cmp_lt_u32_e64 s16, 3, v0
	v_lshlrev_b32_e32 v0, 1, v100
	v_or_b32_e32 v119, 0x1e0, v102
	s_delay_alu instid0(VALU_DEP_2) | instskip(SKIP_1) | instid1(VALU_DEP_2)
	v_add_co_u32 v120, vcc_lo, v96, v0
	v_add_co_ci_u32_e32 v121, vcc_lo, 0, v97, vcc_lo
	v_add_co_u32 v123, vcc_lo, 0x3c0, v120
	s_delay_alu instid0(VALU_DEP_2) | instskip(SKIP_3) | instid1(VALU_DEP_1)
	v_add_co_ci_u32_e32 v124, vcc_lo, 0, v121, vcc_lo
	s_waitcnt vmcnt(1)
	v_mad_u32_u24 v5, v72, v2, v74
	s_waitcnt vmcnt(0)
	v_mad_u64_u32 v[2:3], null, v5, v4, v[18:19]
	s_delay_alu instid0(VALU_DEP_1)
	v_lshrrev_b32_e32 v122, 5, v2
	s_branch .LBB948_990
.LBB948_989:                            ;   in Loop: Header=BB948_990 Depth=2
	s_or_b32 exec_lo, exec_lo, s17
	s_addk_i32 s56, 0xf000
	s_cmp_lt_u32 s65, s63
	s_mov_b32 s34, s65
	s_cbranch_scc0 .LBB948_18
.LBB948_990:                            ;   Parent Loop BB948_20 Depth=1
                                        ; =>  This Inner Loop Header: Depth=2
	s_add_i32 s65, s34, 0x1000
	s_delay_alu instid0(SALU_CYCLE_1)
	s_cmp_gt_u32 s65, s63
	s_cbranch_scc1 .LBB948_992
; %bb.991:                              ;   in Loop: Header=BB948_990 Depth=2
	s_mov_b32 s19, 0
	s_mov_b32 s18, s34
	s_movk_i32 s17, 0x1000
	s_lshl_b64 s[20:21], s[18:19], 1
	s_delay_alu instid0(SALU_CYCLE_1)
	v_add_co_u32 v45, vcc_lo, v120, s20
	v_add_co_ci_u32_e32 v46, vcc_lo, s21, v121, vcc_lo
	s_mov_b32 s20, -1
	s_clause 0xe
	global_load_u16 v2, v[45:46], off
	global_load_u16 v3, v[45:46], off offset:128
	global_load_u16 v4, v[45:46], off offset:256
	;; [unrolled: 1-line block ×6, first 2 shown]
	global_load_d16_b16 v9, v[45:46], off offset:896
	global_load_d16_hi_b16 v2, v[45:46], off offset:64
	global_load_d16_hi_b16 v3, v[45:46], off offset:192
	;; [unrolled: 1-line block ×7, first 2 shown]
	s_cbranch_execz .LBB948_993
	s_branch .LBB948_1010
.LBB948_992:                            ;   in Loop: Header=BB948_990 Depth=2
	s_mov_b32 s19, -1
	s_mov_b32 s20, 0
                                        ; implicit-def: $sgpr17
                                        ; implicit-def: $vgpr2_vgpr3_vgpr4_vgpr5_vgpr6_vgpr7_vgpr8_vgpr9
.LBB948_993:                            ;   in Loop: Header=BB948_990 Depth=2
	s_lshl_b64 s[18:19], s[34:35], 1
	s_mov_b32 s45, s44
	v_add_co_u32 v45, vcc_lo, v120, s18
	s_mov_b32 s46, s44
	s_mov_b32 s47, s44
	;; [unrolled: 1-line block ×6, first 2 shown]
	s_waitcnt vmcnt(0)
	v_dual_mov_b32 v2, s44 :: v_dual_mov_b32 v3, s45
	v_add_co_ci_u32_e32 v46, vcc_lo, s19, v121, vcc_lo
	v_dual_mov_b32 v4, s46 :: v_dual_mov_b32 v5, s47
	v_dual_mov_b32 v6, s48 :: v_dual_mov_b32 v7, s49
	;; [unrolled: 1-line block ×3, first 2 shown]
	s_mov_b32 s17, exec_lo
	v_cmpx_gt_u32_e64 s56, v102
	s_cbranch_execz .LBB948_1184
; %bb.994:                              ;   in Loop: Header=BB948_990 Depth=2
	v_bfrev_b32_e32 v0, 1
	v_mov_b32_e32 v7, v1
	v_mov_b32_e32 v2, v1
	;; [unrolled: 1-line block ×4, first 2 shown]
	global_load_d16_b16 v0, v[45:46], off
	v_mov_b32_e32 v5, v1
	v_mov_b32_e32 v6, v1
	s_waitcnt vmcnt(0)
	v_mov_b32_e32 v9, v7
	s_delay_alu instid0(VALU_DEP_2)
	v_dual_mov_b32 v8, v6 :: v_dual_mov_b32 v7, v5
	v_mov_b32_e32 v6, v4
	v_mov_b32_e32 v5, v3
	;; [unrolled: 1-line block ×5, first 2 shown]
	s_or_b32 exec_lo, exec_lo, s17
	s_delay_alu instid0(SALU_CYCLE_1)
	s_mov_b32 s17, exec_lo
	v_cmpx_gt_u32_e64 s56, v105
	s_cbranch_execnz .LBB948_1185
.LBB948_995:                            ;   in Loop: Header=BB948_990 Depth=2
	s_or_b32 exec_lo, exec_lo, s17
	s_delay_alu instid0(SALU_CYCLE_1)
	s_mov_b32 s17, exec_lo
	v_cmpx_gt_u32_e64 s56, v106
	s_cbranch_execz .LBB948_1186
.LBB948_996:                            ;   in Loop: Header=BB948_990 Depth=2
	global_load_d16_b16 v3, v[45:46], off offset:128
	s_or_b32 exec_lo, exec_lo, s17
	s_delay_alu instid0(SALU_CYCLE_1)
	s_mov_b32 s17, exec_lo
	v_cmpx_gt_u32_e64 s56, v107
	s_cbranch_execnz .LBB948_1187
.LBB948_997:                            ;   in Loop: Header=BB948_990 Depth=2
	s_or_b32 exec_lo, exec_lo, s17
	s_delay_alu instid0(SALU_CYCLE_1)
	s_mov_b32 s17, exec_lo
	v_cmpx_gt_u32_e64 s56, v108
	s_cbranch_execz .LBB948_1188
.LBB948_998:                            ;   in Loop: Header=BB948_990 Depth=2
	global_load_d16_b16 v4, v[45:46], off offset:256
	s_or_b32 exec_lo, exec_lo, s17
	s_delay_alu instid0(SALU_CYCLE_1)
	s_mov_b32 s17, exec_lo
	v_cmpx_gt_u32_e64 s56, v109
	s_cbranch_execnz .LBB948_1189
.LBB948_999:                            ;   in Loop: Header=BB948_990 Depth=2
	s_or_b32 exec_lo, exec_lo, s17
	s_delay_alu instid0(SALU_CYCLE_1)
	s_mov_b32 s17, exec_lo
	v_cmpx_gt_u32_e64 s56, v110
	s_cbranch_execz .LBB948_1190
.LBB948_1000:                           ;   in Loop: Header=BB948_990 Depth=2
	global_load_d16_b16 v5, v[45:46], off offset:384
	s_or_b32 exec_lo, exec_lo, s17
	s_delay_alu instid0(SALU_CYCLE_1)
	s_mov_b32 s17, exec_lo
	v_cmpx_gt_u32_e64 s56, v111
	s_cbranch_execnz .LBB948_1191
.LBB948_1001:                           ;   in Loop: Header=BB948_990 Depth=2
	s_or_b32 exec_lo, exec_lo, s17
	s_delay_alu instid0(SALU_CYCLE_1)
	s_mov_b32 s17, exec_lo
	v_cmpx_gt_u32_e64 s56, v112
	s_cbranch_execz .LBB948_1192
.LBB948_1002:                           ;   in Loop: Header=BB948_990 Depth=2
	global_load_d16_b16 v6, v[45:46], off offset:512
	s_or_b32 exec_lo, exec_lo, s17
	s_delay_alu instid0(SALU_CYCLE_1)
	s_mov_b32 s17, exec_lo
	v_cmpx_gt_u32_e64 s56, v113
	s_cbranch_execnz .LBB948_1193
.LBB948_1003:                           ;   in Loop: Header=BB948_990 Depth=2
	s_or_b32 exec_lo, exec_lo, s17
	s_delay_alu instid0(SALU_CYCLE_1)
	s_mov_b32 s17, exec_lo
	v_cmpx_gt_u32_e64 s56, v114
	s_cbranch_execz .LBB948_1194
.LBB948_1004:                           ;   in Loop: Header=BB948_990 Depth=2
	global_load_d16_b16 v7, v[45:46], off offset:640
	s_or_b32 exec_lo, exec_lo, s17
	s_delay_alu instid0(SALU_CYCLE_1)
	s_mov_b32 s17, exec_lo
	v_cmpx_gt_u32_e64 s56, v115
	s_cbranch_execnz .LBB948_1195
.LBB948_1005:                           ;   in Loop: Header=BB948_990 Depth=2
	s_or_b32 exec_lo, exec_lo, s17
	s_delay_alu instid0(SALU_CYCLE_1)
	s_mov_b32 s17, exec_lo
	v_cmpx_gt_u32_e64 s56, v116
	s_cbranch_execz .LBB948_1196
.LBB948_1006:                           ;   in Loop: Header=BB948_990 Depth=2
	global_load_d16_b16 v8, v[45:46], off offset:768
	s_or_b32 exec_lo, exec_lo, s17
	s_delay_alu instid0(SALU_CYCLE_1)
	s_mov_b32 s17, exec_lo
	v_cmpx_gt_u32_e64 s56, v117
	s_cbranch_execnz .LBB948_1197
.LBB948_1007:                           ;   in Loop: Header=BB948_990 Depth=2
	s_or_b32 exec_lo, exec_lo, s17
	s_delay_alu instid0(SALU_CYCLE_1)
	s_mov_b32 s17, exec_lo
	v_cmpx_gt_u32_e64 s56, v118
	s_cbranch_execz .LBB948_1009
.LBB948_1008:                           ;   in Loop: Header=BB948_990 Depth=2
	global_load_d16_b16 v9, v[45:46], off offset:896
.LBB948_1009:                           ;   in Loop: Header=BB948_990 Depth=2
	s_or_b32 exec_lo, exec_lo, s17
	v_cmp_gt_u32_e64 s20, s56, v119
	s_sub_i32 s17, s63, s34
	s_mov_b64 s[18:19], s[34:35]
.LBB948_1010:                           ;   in Loop: Header=BB948_990 Depth=2
	v_mov_b32_e32 v0, s56
	s_delay_alu instid0(VALU_DEP_2)
	s_and_saveexec_b32 s21, s20
	s_cbranch_execz .LBB948_1012
; %bb.1011:                             ;   in Loop: Header=BB948_990 Depth=2
	s_lshl_b64 s[18:19], s[18:19], 1
	v_mov_b32_e32 v0, s17
	v_add_co_u32 v45, vcc_lo, v123, s18
	v_add_co_ci_u32_e32 v46, vcc_lo, s19, v124, vcc_lo
	global_load_d16_hi_b16 v9, v[45:46], off
.LBB948_1012:                           ;   in Loop: Header=BB948_990 Depth=2
	s_or_b32 exec_lo, exec_lo, s21
	s_waitcnt vmcnt(0)
	v_xor_b32_e32 v19, 0x7fff7fff, v2
	ds_store_b32 v73, v20 offset:1056
	ds_store_2addr_b32 v75, v20, v20 offset0:1 offset1:2
	ds_store_2addr_b32 v75, v20, v20 offset0:3 offset1:4
	ds_store_2addr_b32 v75, v20, v20 offset0:5 offset1:6
	ds_store_2addr_b32 v75, v20, v20 offset0:7 offset1:8
	s_waitcnt lgkmcnt(0)
	s_barrier
	v_and_b32_e32 v2, 0xffff, v19
	buffer_gl0_inv
	; wave barrier
	v_lshrrev_b32_e32 v2, s57, v2
	s_delay_alu instid0(VALU_DEP_1) | instskip(NEXT) | instid1(VALU_DEP_1)
	v_and_b32_e32 v45, s43, v2
	v_and_b32_e32 v2, 1, v45
	v_lshlrev_b32_e32 v46, 30, v45
	v_lshlrev_b32_e32 v141, 29, v45
	;; [unrolled: 1-line block ×4, first 2 shown]
	v_add_co_u32 v2, s17, v2, -1
	s_delay_alu instid0(VALU_DEP_1)
	v_cndmask_b32_e64 v143, 0, 1, s17
	v_not_b32_e32 v147, v46
	v_cmp_gt_i32_e64 s17, 0, v46
	v_not_b32_e32 v46, v141
	v_lshlrev_b32_e32 v145, 26, v45
	v_cmp_ne_u32_e32 vcc_lo, 0, v143
	v_ashrrev_i32_e32 v147, 31, v147
	v_lshlrev_b32_e32 v146, 25, v45
	v_ashrrev_i32_e32 v46, 31, v46
	v_lshlrev_b32_e32 v143, 24, v45
	v_xor_b32_e32 v2, vcc_lo, v2
	v_cmp_gt_i32_e32 vcc_lo, 0, v141
	v_not_b32_e32 v141, v142
	v_xor_b32_e32 v147, s17, v147
	v_cmp_gt_i32_e64 s17, 0, v142
	v_and_b32_e32 v2, exec_lo, v2
	v_not_b32_e32 v142, v144
	v_ashrrev_i32_e32 v141, 31, v141
	v_xor_b32_e32 v46, vcc_lo, v46
	v_cmp_gt_i32_e32 vcc_lo, 0, v144
	v_and_b32_e32 v2, v2, v147
	v_not_b32_e32 v144, v145
	v_ashrrev_i32_e32 v142, 31, v142
	v_xor_b32_e32 v141, s17, v141
	v_cmp_gt_i32_e64 s17, 0, v145
	v_and_b32_e32 v2, v2, v46
	v_not_b32_e32 v46, v146
	v_ashrrev_i32_e32 v144, 31, v144
	v_xor_b32_e32 v142, vcc_lo, v142
	v_cmp_gt_i32_e32 vcc_lo, 0, v146
	v_and_b32_e32 v2, v2, v141
	v_not_b32_e32 v141, v143
	v_ashrrev_i32_e32 v46, 31, v46
	v_xor_b32_e32 v144, s17, v144
	v_cmp_gt_i32_e64 s17, 0, v143
	v_and_b32_e32 v2, v2, v142
	v_ashrrev_i32_e32 v141, 31, v141
	v_xor_b32_e32 v46, vcc_lo, v46
	v_mad_u32_u24 v45, v45, 9, v122
	s_delay_alu instid0(VALU_DEP_4) | instskip(NEXT) | instid1(VALU_DEP_4)
	v_and_b32_e32 v2, v2, v144
	v_xor_b32_e32 v141, s17, v141
	s_delay_alu instid0(VALU_DEP_3) | instskip(NEXT) | instid1(VALU_DEP_3)
	v_lshl_add_u32 v143, v45, 2, 0x420
	v_and_b32_e32 v2, v2, v46
	s_delay_alu instid0(VALU_DEP_1) | instskip(NEXT) | instid1(VALU_DEP_1)
	v_and_b32_e32 v2, v2, v141
	v_mbcnt_lo_u32_b32 v141, v2, 0
	v_cmp_ne_u32_e64 s17, 0, v2
	s_delay_alu instid0(VALU_DEP_2) | instskip(NEXT) | instid1(VALU_DEP_2)
	v_cmp_eq_u32_e32 vcc_lo, 0, v141
	s_and_b32 s18, s17, vcc_lo
	s_delay_alu instid0(SALU_CYCLE_1)
	s_and_saveexec_b32 s17, s18
	s_cbranch_execz .LBB948_1014
; %bb.1013:                             ;   in Loop: Header=BB948_990 Depth=2
	v_bcnt_u32_b32 v2, v2, 0
	ds_store_b32 v143, v2
.LBB948_1014:                           ;   in Loop: Header=BB948_990 Depth=2
	s_or_b32 exec_lo, exec_lo, s17
	v_lshrrev_b32_e32 v142, 16, v19
	; wave barrier
	s_delay_alu instid0(VALU_DEP_1) | instskip(NEXT) | instid1(VALU_DEP_1)
	v_lshrrev_b32_e32 v2, s57, v142
	v_and_b32_e32 v2, s43, v2
	s_delay_alu instid0(VALU_DEP_1)
	v_and_b32_e32 v45, 1, v2
	v_lshlrev_b32_e32 v46, 30, v2
	v_lshlrev_b32_e32 v144, 29, v2
	;; [unrolled: 1-line block ×4, first 2 shown]
	v_add_co_u32 v45, s17, v45, -1
	s_delay_alu instid0(VALU_DEP_1)
	v_cndmask_b32_e64 v146, 0, 1, s17
	v_not_b32_e32 v150, v46
	v_cmp_gt_i32_e64 s17, 0, v46
	v_not_b32_e32 v46, v144
	v_lshlrev_b32_e32 v148, 26, v2
	v_cmp_ne_u32_e32 vcc_lo, 0, v146
	v_ashrrev_i32_e32 v150, 31, v150
	v_lshlrev_b32_e32 v149, 25, v2
	v_ashrrev_i32_e32 v46, 31, v46
	v_lshlrev_b32_e32 v146, 24, v2
	v_xor_b32_e32 v45, vcc_lo, v45
	v_cmp_gt_i32_e32 vcc_lo, 0, v144
	v_not_b32_e32 v144, v145
	v_xor_b32_e32 v150, s17, v150
	v_cmp_gt_i32_e64 s17, 0, v145
	v_and_b32_e32 v45, exec_lo, v45
	v_not_b32_e32 v145, v147
	v_ashrrev_i32_e32 v144, 31, v144
	v_xor_b32_e32 v46, vcc_lo, v46
	v_cmp_gt_i32_e32 vcc_lo, 0, v147
	v_and_b32_e32 v45, v45, v150
	v_not_b32_e32 v147, v148
	v_ashrrev_i32_e32 v145, 31, v145
	v_xor_b32_e32 v144, s17, v144
	v_cmp_gt_i32_e64 s17, 0, v148
	v_and_b32_e32 v45, v45, v46
	v_not_b32_e32 v46, v149
	v_ashrrev_i32_e32 v147, 31, v147
	v_xor_b32_e32 v145, vcc_lo, v145
	v_cmp_gt_i32_e32 vcc_lo, 0, v149
	v_and_b32_e32 v45, v45, v144
	v_not_b32_e32 v144, v146
	v_ashrrev_i32_e32 v46, 31, v46
	v_xor_b32_e32 v147, s17, v147
	v_mul_u32_u24_e32 v2, 9, v2
	v_and_b32_e32 v45, v45, v145
	v_cmp_gt_i32_e64 s17, 0, v146
	v_ashrrev_i32_e32 v144, 31, v144
	v_xor_b32_e32 v46, vcc_lo, v46
	s_delay_alu instid0(VALU_DEP_4) | instskip(SKIP_1) | instid1(VALU_DEP_4)
	v_and_b32_e32 v45, v45, v147
	v_add_lshl_u32 v147, v2, v122, 2
	v_xor_b32_e32 v2, s17, v144
	s_delay_alu instid0(VALU_DEP_3) | instskip(SKIP_3) | instid1(VALU_DEP_1)
	v_and_b32_e32 v45, v45, v46
	ds_load_b32 v145, v147 offset:1056
	v_add_nc_u32_e32 v147, 0x420, v147
	; wave barrier
	v_and_b32_e32 v2, v45, v2
	v_mbcnt_lo_u32_b32 v146, v2, 0
	v_cmp_ne_u32_e64 s17, 0, v2
	s_delay_alu instid0(VALU_DEP_2) | instskip(NEXT) | instid1(VALU_DEP_2)
	v_cmp_eq_u32_e32 vcc_lo, 0, v146
	s_and_b32 s18, s17, vcc_lo
	s_delay_alu instid0(SALU_CYCLE_1)
	s_and_saveexec_b32 s17, s18
	s_cbranch_execz .LBB948_1016
; %bb.1015:                             ;   in Loop: Header=BB948_990 Depth=2
	s_waitcnt lgkmcnt(0)
	v_bcnt_u32_b32 v2, v2, v145
	ds_store_b32 v147, v2
.LBB948_1016:                           ;   in Loop: Header=BB948_990 Depth=2
	s_or_b32 exec_lo, exec_lo, s17
	v_xor_b32_e32 v144, 0x7fff7fff, v3
	; wave barrier
	s_delay_alu instid0(VALU_DEP_1) | instskip(NEXT) | instid1(VALU_DEP_1)
	v_and_b32_e32 v2, 0xffff, v144
	v_lshrrev_b32_e32 v2, s57, v2
	s_delay_alu instid0(VALU_DEP_1) | instskip(NEXT) | instid1(VALU_DEP_1)
	v_and_b32_e32 v2, s43, v2
	v_and_b32_e32 v3, 1, v2
	v_lshlrev_b32_e32 v45, 30, v2
	v_lshlrev_b32_e32 v46, 29, v2
	;; [unrolled: 1-line block ×4, first 2 shown]
	v_add_co_u32 v3, s17, v3, -1
	s_delay_alu instid0(VALU_DEP_1)
	v_cndmask_b32_e64 v149, 0, 1, s17
	v_not_b32_e32 v153, v45
	v_cmp_gt_i32_e64 s17, 0, v45
	v_not_b32_e32 v45, v46
	v_lshlrev_b32_e32 v151, 26, v2
	v_cmp_ne_u32_e32 vcc_lo, 0, v149
	v_ashrrev_i32_e32 v153, 31, v153
	v_lshlrev_b32_e32 v152, 25, v2
	v_ashrrev_i32_e32 v45, 31, v45
	v_lshlrev_b32_e32 v149, 24, v2
	v_xor_b32_e32 v3, vcc_lo, v3
	v_cmp_gt_i32_e32 vcc_lo, 0, v46
	v_not_b32_e32 v46, v148
	v_xor_b32_e32 v153, s17, v153
	v_cmp_gt_i32_e64 s17, 0, v148
	v_and_b32_e32 v3, exec_lo, v3
	v_not_b32_e32 v148, v150
	v_ashrrev_i32_e32 v46, 31, v46
	v_xor_b32_e32 v45, vcc_lo, v45
	v_cmp_gt_i32_e32 vcc_lo, 0, v150
	v_and_b32_e32 v3, v3, v153
	v_not_b32_e32 v150, v151
	v_ashrrev_i32_e32 v148, 31, v148
	v_xor_b32_e32 v46, s17, v46
	v_cmp_gt_i32_e64 s17, 0, v151
	v_and_b32_e32 v3, v3, v45
	v_not_b32_e32 v45, v152
	v_ashrrev_i32_e32 v150, 31, v150
	v_xor_b32_e32 v148, vcc_lo, v148
	v_cmp_gt_i32_e32 vcc_lo, 0, v152
	v_and_b32_e32 v3, v3, v46
	v_not_b32_e32 v46, v149
	v_ashrrev_i32_e32 v45, 31, v45
	v_xor_b32_e32 v150, s17, v150
	v_mul_u32_u24_e32 v2, 9, v2
	v_and_b32_e32 v3, v3, v148
	v_cmp_gt_i32_e64 s17, 0, v149
	v_ashrrev_i32_e32 v46, 31, v46
	v_xor_b32_e32 v45, vcc_lo, v45
	v_add_lshl_u32 v148, v2, v122, 2
	v_and_b32_e32 v3, v3, v150
	s_delay_alu instid0(VALU_DEP_4) | instskip(SKIP_3) | instid1(VALU_DEP_2)
	v_xor_b32_e32 v2, s17, v46
	ds_load_b32 v149, v148 offset:1056
	v_and_b32_e32 v3, v3, v45
	v_add_nc_u32_e32 v151, 0x420, v148
	; wave barrier
	v_and_b32_e32 v2, v3, v2
	s_delay_alu instid0(VALU_DEP_1) | instskip(SKIP_1) | instid1(VALU_DEP_2)
	v_mbcnt_lo_u32_b32 v150, v2, 0
	v_cmp_ne_u32_e64 s17, 0, v2
	v_cmp_eq_u32_e32 vcc_lo, 0, v150
	s_delay_alu instid0(VALU_DEP_2) | instskip(NEXT) | instid1(SALU_CYCLE_1)
	s_and_b32 s18, s17, vcc_lo
	s_and_saveexec_b32 s17, s18
	s_cbranch_execz .LBB948_1018
; %bb.1017:                             ;   in Loop: Header=BB948_990 Depth=2
	s_waitcnt lgkmcnt(0)
	v_bcnt_u32_b32 v2, v2, v149
	ds_store_b32 v151, v2
.LBB948_1018:                           ;   in Loop: Header=BB948_990 Depth=2
	s_or_b32 exec_lo, exec_lo, s17
	v_lshrrev_b32_e32 v148, 16, v144
	; wave barrier
	s_delay_alu instid0(VALU_DEP_1) | instskip(NEXT) | instid1(VALU_DEP_1)
	v_lshrrev_b32_e32 v2, s57, v148
	v_and_b32_e32 v2, s43, v2
	s_delay_alu instid0(VALU_DEP_1)
	v_and_b32_e32 v3, 1, v2
	v_lshlrev_b32_e32 v45, 30, v2
	v_lshlrev_b32_e32 v46, 29, v2
	;; [unrolled: 1-line block ×4, first 2 shown]
	v_add_co_u32 v3, s17, v3, -1
	s_delay_alu instid0(VALU_DEP_1)
	v_cndmask_b32_e64 v153, 0, 1, s17
	v_not_b32_e32 v157, v45
	v_cmp_gt_i32_e64 s17, 0, v45
	v_not_b32_e32 v45, v46
	v_lshlrev_b32_e32 v155, 26, v2
	v_cmp_ne_u32_e32 vcc_lo, 0, v153
	v_ashrrev_i32_e32 v157, 31, v157
	v_lshlrev_b32_e32 v156, 25, v2
	v_ashrrev_i32_e32 v45, 31, v45
	v_lshlrev_b32_e32 v153, 24, v2
	v_xor_b32_e32 v3, vcc_lo, v3
	v_cmp_gt_i32_e32 vcc_lo, 0, v46
	v_not_b32_e32 v46, v152
	v_xor_b32_e32 v157, s17, v157
	v_cmp_gt_i32_e64 s17, 0, v152
	v_and_b32_e32 v3, exec_lo, v3
	v_not_b32_e32 v152, v154
	v_ashrrev_i32_e32 v46, 31, v46
	v_xor_b32_e32 v45, vcc_lo, v45
	v_cmp_gt_i32_e32 vcc_lo, 0, v154
	v_and_b32_e32 v3, v3, v157
	v_not_b32_e32 v154, v155
	v_ashrrev_i32_e32 v152, 31, v152
	v_xor_b32_e32 v46, s17, v46
	v_cmp_gt_i32_e64 s17, 0, v155
	v_and_b32_e32 v3, v3, v45
	v_not_b32_e32 v45, v156
	v_ashrrev_i32_e32 v154, 31, v154
	v_xor_b32_e32 v152, vcc_lo, v152
	v_cmp_gt_i32_e32 vcc_lo, 0, v156
	v_and_b32_e32 v3, v3, v46
	v_not_b32_e32 v46, v153
	v_ashrrev_i32_e32 v45, 31, v45
	v_xor_b32_e32 v154, s17, v154
	v_mul_u32_u24_e32 v2, 9, v2
	v_and_b32_e32 v3, v3, v152
	v_cmp_gt_i32_e64 s17, 0, v153
	v_ashrrev_i32_e32 v46, 31, v46
	v_xor_b32_e32 v45, vcc_lo, v45
	v_add_lshl_u32 v152, v2, v122, 2
	v_and_b32_e32 v3, v3, v154
	s_delay_alu instid0(VALU_DEP_4) | instskip(SKIP_3) | instid1(VALU_DEP_2)
	v_xor_b32_e32 v2, s17, v46
	ds_load_b32 v153, v152 offset:1056
	v_and_b32_e32 v3, v3, v45
	v_add_nc_u32_e32 v155, 0x420, v152
	; wave barrier
	v_and_b32_e32 v2, v3, v2
	s_delay_alu instid0(VALU_DEP_1) | instskip(SKIP_1) | instid1(VALU_DEP_2)
	v_mbcnt_lo_u32_b32 v154, v2, 0
	v_cmp_ne_u32_e64 s17, 0, v2
	v_cmp_eq_u32_e32 vcc_lo, 0, v154
	s_delay_alu instid0(VALU_DEP_2) | instskip(NEXT) | instid1(SALU_CYCLE_1)
	s_and_b32 s18, s17, vcc_lo
	s_and_saveexec_b32 s17, s18
	s_cbranch_execz .LBB948_1020
; %bb.1019:                             ;   in Loop: Header=BB948_990 Depth=2
	s_waitcnt lgkmcnt(0)
	v_bcnt_u32_b32 v2, v2, v153
	ds_store_b32 v155, v2
.LBB948_1020:                           ;   in Loop: Header=BB948_990 Depth=2
	s_or_b32 exec_lo, exec_lo, s17
	v_xor_b32_e32 v152, 0x7fff7fff, v4
	; wave barrier
	s_delay_alu instid0(VALU_DEP_1) | instskip(NEXT) | instid1(VALU_DEP_1)
	v_and_b32_e32 v2, 0xffff, v152
	v_lshrrev_b32_e32 v2, s57, v2
	s_delay_alu instid0(VALU_DEP_1) | instskip(NEXT) | instid1(VALU_DEP_1)
	v_and_b32_e32 v2, s43, v2
	v_and_b32_e32 v3, 1, v2
	v_lshlrev_b32_e32 v4, 30, v2
	v_lshlrev_b32_e32 v45, 29, v2
	;; [unrolled: 1-line block ×4, first 2 shown]
	v_add_co_u32 v3, s17, v3, -1
	s_delay_alu instid0(VALU_DEP_1)
	v_cndmask_b32_e64 v156, 0, 1, s17
	v_not_b32_e32 v160, v4
	v_cmp_gt_i32_e64 s17, 0, v4
	v_not_b32_e32 v4, v45
	v_lshlrev_b32_e32 v158, 26, v2
	v_cmp_ne_u32_e32 vcc_lo, 0, v156
	v_ashrrev_i32_e32 v160, 31, v160
	v_lshlrev_b32_e32 v159, 25, v2
	v_ashrrev_i32_e32 v4, 31, v4
	v_lshlrev_b32_e32 v156, 24, v2
	v_xor_b32_e32 v3, vcc_lo, v3
	v_cmp_gt_i32_e32 vcc_lo, 0, v45
	v_not_b32_e32 v45, v46
	v_xor_b32_e32 v160, s17, v160
	v_cmp_gt_i32_e64 s17, 0, v46
	v_and_b32_e32 v3, exec_lo, v3
	v_not_b32_e32 v46, v157
	v_ashrrev_i32_e32 v45, 31, v45
	v_xor_b32_e32 v4, vcc_lo, v4
	v_cmp_gt_i32_e32 vcc_lo, 0, v157
	v_and_b32_e32 v3, v3, v160
	v_not_b32_e32 v157, v158
	v_ashrrev_i32_e32 v46, 31, v46
	v_xor_b32_e32 v45, s17, v45
	v_cmp_gt_i32_e64 s17, 0, v158
	v_and_b32_e32 v3, v3, v4
	v_not_b32_e32 v4, v159
	v_ashrrev_i32_e32 v157, 31, v157
	v_xor_b32_e32 v46, vcc_lo, v46
	v_cmp_gt_i32_e32 vcc_lo, 0, v159
	v_and_b32_e32 v3, v3, v45
	v_not_b32_e32 v45, v156
	v_ashrrev_i32_e32 v4, 31, v4
	v_xor_b32_e32 v157, s17, v157
	v_mul_u32_u24_e32 v2, 9, v2
	v_and_b32_e32 v3, v3, v46
	v_cmp_gt_i32_e64 s17, 0, v156
	v_ashrrev_i32_e32 v45, 31, v45
	v_xor_b32_e32 v4, vcc_lo, v4
	v_add_lshl_u32 v46, v2, v122, 2
	v_and_b32_e32 v3, v3, v157
	s_delay_alu instid0(VALU_DEP_4) | instskip(SKIP_3) | instid1(VALU_DEP_2)
	v_xor_b32_e32 v2, s17, v45
	ds_load_b32 v157, v46 offset:1056
	v_and_b32_e32 v3, v3, v4
	v_add_nc_u32_e32 v159, 0x420, v46
	; wave barrier
	v_and_b32_e32 v2, v3, v2
	s_delay_alu instid0(VALU_DEP_1) | instskip(SKIP_1) | instid1(VALU_DEP_2)
	v_mbcnt_lo_u32_b32 v158, v2, 0
	v_cmp_ne_u32_e64 s17, 0, v2
	v_cmp_eq_u32_e32 vcc_lo, 0, v158
	s_delay_alu instid0(VALU_DEP_2) | instskip(NEXT) | instid1(SALU_CYCLE_1)
	s_and_b32 s18, s17, vcc_lo
	s_and_saveexec_b32 s17, s18
	s_cbranch_execz .LBB948_1022
; %bb.1021:                             ;   in Loop: Header=BB948_990 Depth=2
	s_waitcnt lgkmcnt(0)
	v_bcnt_u32_b32 v2, v2, v157
	ds_store_b32 v159, v2
.LBB948_1022:                           ;   in Loop: Header=BB948_990 Depth=2
	s_or_b32 exec_lo, exec_lo, s17
	v_lshrrev_b32_e32 v156, 16, v152
	; wave barrier
	s_delay_alu instid0(VALU_DEP_1) | instskip(NEXT) | instid1(VALU_DEP_1)
	v_lshrrev_b32_e32 v2, s57, v156
	v_and_b32_e32 v2, s43, v2
	s_delay_alu instid0(VALU_DEP_1)
	v_and_b32_e32 v3, 1, v2
	v_lshlrev_b32_e32 v4, 30, v2
	v_lshlrev_b32_e32 v45, 29, v2
	;; [unrolled: 1-line block ×4, first 2 shown]
	v_add_co_u32 v3, s17, v3, -1
	s_delay_alu instid0(VALU_DEP_1)
	v_cndmask_b32_e64 v160, 0, 1, s17
	v_not_b32_e32 v164, v4
	v_cmp_gt_i32_e64 s17, 0, v4
	v_not_b32_e32 v4, v45
	v_lshlrev_b32_e32 v162, 26, v2
	v_cmp_ne_u32_e32 vcc_lo, 0, v160
	v_ashrrev_i32_e32 v164, 31, v164
	v_lshlrev_b32_e32 v163, 25, v2
	v_ashrrev_i32_e32 v4, 31, v4
	v_lshlrev_b32_e32 v160, 24, v2
	v_xor_b32_e32 v3, vcc_lo, v3
	v_cmp_gt_i32_e32 vcc_lo, 0, v45
	v_not_b32_e32 v45, v46
	v_xor_b32_e32 v164, s17, v164
	v_cmp_gt_i32_e64 s17, 0, v46
	v_and_b32_e32 v3, exec_lo, v3
	v_not_b32_e32 v46, v161
	v_ashrrev_i32_e32 v45, 31, v45
	v_xor_b32_e32 v4, vcc_lo, v4
	v_cmp_gt_i32_e32 vcc_lo, 0, v161
	v_and_b32_e32 v3, v3, v164
	v_not_b32_e32 v161, v162
	v_ashrrev_i32_e32 v46, 31, v46
	v_xor_b32_e32 v45, s17, v45
	v_cmp_gt_i32_e64 s17, 0, v162
	v_and_b32_e32 v3, v3, v4
	v_not_b32_e32 v4, v163
	v_ashrrev_i32_e32 v161, 31, v161
	v_xor_b32_e32 v46, vcc_lo, v46
	v_cmp_gt_i32_e32 vcc_lo, 0, v163
	v_and_b32_e32 v3, v3, v45
	v_not_b32_e32 v45, v160
	v_ashrrev_i32_e32 v4, 31, v4
	v_xor_b32_e32 v161, s17, v161
	v_mul_u32_u24_e32 v2, 9, v2
	v_and_b32_e32 v3, v3, v46
	v_cmp_gt_i32_e64 s17, 0, v160
	v_ashrrev_i32_e32 v45, 31, v45
	v_xor_b32_e32 v4, vcc_lo, v4
	v_add_lshl_u32 v46, v2, v122, 2
	v_and_b32_e32 v3, v3, v161
	s_delay_alu instid0(VALU_DEP_4) | instskip(SKIP_3) | instid1(VALU_DEP_2)
	v_xor_b32_e32 v2, s17, v45
	ds_load_b32 v161, v46 offset:1056
	v_and_b32_e32 v3, v3, v4
	v_add_nc_u32_e32 v163, 0x420, v46
	; wave barrier
	v_and_b32_e32 v2, v3, v2
	s_delay_alu instid0(VALU_DEP_1) | instskip(SKIP_1) | instid1(VALU_DEP_2)
	v_mbcnt_lo_u32_b32 v162, v2, 0
	v_cmp_ne_u32_e64 s17, 0, v2
	v_cmp_eq_u32_e32 vcc_lo, 0, v162
	s_delay_alu instid0(VALU_DEP_2) | instskip(NEXT) | instid1(SALU_CYCLE_1)
	s_and_b32 s18, s17, vcc_lo
	s_and_saveexec_b32 s17, s18
	s_cbranch_execz .LBB948_1024
; %bb.1023:                             ;   in Loop: Header=BB948_990 Depth=2
	s_waitcnt lgkmcnt(0)
	v_bcnt_u32_b32 v2, v2, v161
	ds_store_b32 v163, v2
.LBB948_1024:                           ;   in Loop: Header=BB948_990 Depth=2
	s_or_b32 exec_lo, exec_lo, s17
	v_xor_b32_e32 v160, 0x7fff7fff, v5
	; wave barrier
	s_delay_alu instid0(VALU_DEP_1) | instskip(NEXT) | instid1(VALU_DEP_1)
	v_and_b32_e32 v2, 0xffff, v160
	v_lshrrev_b32_e32 v2, s57, v2
	s_delay_alu instid0(VALU_DEP_1) | instskip(NEXT) | instid1(VALU_DEP_1)
	v_and_b32_e32 v2, s43, v2
	v_and_b32_e32 v3, 1, v2
	v_lshlrev_b32_e32 v4, 30, v2
	v_lshlrev_b32_e32 v5, 29, v2
	;; [unrolled: 1-line block ×4, first 2 shown]
	v_add_co_u32 v3, s17, v3, -1
	s_delay_alu instid0(VALU_DEP_1)
	v_cndmask_b32_e64 v46, 0, 1, s17
	v_not_b32_e32 v167, v4
	v_cmp_gt_i32_e64 s17, 0, v4
	v_not_b32_e32 v4, v5
	v_lshlrev_b32_e32 v165, 26, v2
	v_cmp_ne_u32_e32 vcc_lo, 0, v46
	v_ashrrev_i32_e32 v167, 31, v167
	v_lshlrev_b32_e32 v166, 25, v2
	v_ashrrev_i32_e32 v4, 31, v4
	v_lshlrev_b32_e32 v46, 24, v2
	v_xor_b32_e32 v3, vcc_lo, v3
	v_cmp_gt_i32_e32 vcc_lo, 0, v5
	v_not_b32_e32 v5, v45
	v_xor_b32_e32 v167, s17, v167
	v_cmp_gt_i32_e64 s17, 0, v45
	v_and_b32_e32 v3, exec_lo, v3
	v_not_b32_e32 v45, v164
	v_ashrrev_i32_e32 v5, 31, v5
	v_xor_b32_e32 v4, vcc_lo, v4
	v_cmp_gt_i32_e32 vcc_lo, 0, v164
	v_and_b32_e32 v3, v3, v167
	v_not_b32_e32 v164, v165
	v_ashrrev_i32_e32 v45, 31, v45
	v_xor_b32_e32 v5, s17, v5
	v_cmp_gt_i32_e64 s17, 0, v165
	v_and_b32_e32 v3, v3, v4
	v_not_b32_e32 v4, v166
	v_ashrrev_i32_e32 v164, 31, v164
	v_xor_b32_e32 v45, vcc_lo, v45
	v_cmp_gt_i32_e32 vcc_lo, 0, v166
	v_and_b32_e32 v3, v3, v5
	v_not_b32_e32 v5, v46
	v_ashrrev_i32_e32 v4, 31, v4
	v_xor_b32_e32 v164, s17, v164
	v_mul_u32_u24_e32 v2, 9, v2
	v_and_b32_e32 v3, v3, v45
	v_cmp_gt_i32_e64 s17, 0, v46
	v_ashrrev_i32_e32 v5, 31, v5
	v_xor_b32_e32 v4, vcc_lo, v4
	v_add_lshl_u32 v45, v2, v122, 2
	v_and_b32_e32 v3, v3, v164
	s_delay_alu instid0(VALU_DEP_4) | instskip(SKIP_3) | instid1(VALU_DEP_2)
	v_xor_b32_e32 v2, s17, v5
	ds_load_b32 v165, v45 offset:1056
	v_and_b32_e32 v3, v3, v4
	v_add_nc_u32_e32 v167, 0x420, v45
	; wave barrier
	v_and_b32_e32 v2, v3, v2
	s_delay_alu instid0(VALU_DEP_1) | instskip(SKIP_1) | instid1(VALU_DEP_2)
	v_mbcnt_lo_u32_b32 v166, v2, 0
	v_cmp_ne_u32_e64 s17, 0, v2
	v_cmp_eq_u32_e32 vcc_lo, 0, v166
	s_delay_alu instid0(VALU_DEP_2) | instskip(NEXT) | instid1(SALU_CYCLE_1)
	s_and_b32 s18, s17, vcc_lo
	s_and_saveexec_b32 s17, s18
	s_cbranch_execz .LBB948_1026
; %bb.1025:                             ;   in Loop: Header=BB948_990 Depth=2
	s_waitcnt lgkmcnt(0)
	v_bcnt_u32_b32 v2, v2, v165
	ds_store_b32 v167, v2
.LBB948_1026:                           ;   in Loop: Header=BB948_990 Depth=2
	s_or_b32 exec_lo, exec_lo, s17
	v_lshrrev_b32_e32 v164, 16, v160
	; wave barrier
	s_delay_alu instid0(VALU_DEP_1) | instskip(NEXT) | instid1(VALU_DEP_1)
	v_lshrrev_b32_e32 v2, s57, v164
	v_and_b32_e32 v2, s43, v2
	s_delay_alu instid0(VALU_DEP_1)
	v_and_b32_e32 v3, 1, v2
	v_lshlrev_b32_e32 v4, 30, v2
	v_lshlrev_b32_e32 v5, 29, v2
	;; [unrolled: 1-line block ×4, first 2 shown]
	v_add_co_u32 v3, s17, v3, -1
	s_delay_alu instid0(VALU_DEP_1)
	v_cndmask_b32_e64 v46, 0, 1, s17
	v_not_b32_e32 v171, v4
	v_cmp_gt_i32_e64 s17, 0, v4
	v_not_b32_e32 v4, v5
	v_lshlrev_b32_e32 v169, 26, v2
	v_cmp_ne_u32_e32 vcc_lo, 0, v46
	v_ashrrev_i32_e32 v171, 31, v171
	v_lshlrev_b32_e32 v170, 25, v2
	v_ashrrev_i32_e32 v4, 31, v4
	v_lshlrev_b32_e32 v46, 24, v2
	v_xor_b32_e32 v3, vcc_lo, v3
	v_cmp_gt_i32_e32 vcc_lo, 0, v5
	v_not_b32_e32 v5, v45
	v_xor_b32_e32 v171, s17, v171
	v_cmp_gt_i32_e64 s17, 0, v45
	v_and_b32_e32 v3, exec_lo, v3
	v_not_b32_e32 v45, v168
	v_ashrrev_i32_e32 v5, 31, v5
	v_xor_b32_e32 v4, vcc_lo, v4
	v_cmp_gt_i32_e32 vcc_lo, 0, v168
	v_and_b32_e32 v3, v3, v171
	v_not_b32_e32 v168, v169
	v_ashrrev_i32_e32 v45, 31, v45
	v_xor_b32_e32 v5, s17, v5
	v_cmp_gt_i32_e64 s17, 0, v169
	v_and_b32_e32 v3, v3, v4
	v_not_b32_e32 v4, v170
	v_ashrrev_i32_e32 v168, 31, v168
	v_xor_b32_e32 v45, vcc_lo, v45
	v_cmp_gt_i32_e32 vcc_lo, 0, v170
	v_and_b32_e32 v3, v3, v5
	v_not_b32_e32 v5, v46
	v_ashrrev_i32_e32 v4, 31, v4
	v_xor_b32_e32 v168, s17, v168
	v_mul_u32_u24_e32 v2, 9, v2
	v_and_b32_e32 v3, v3, v45
	v_cmp_gt_i32_e64 s17, 0, v46
	v_ashrrev_i32_e32 v5, 31, v5
	v_xor_b32_e32 v4, vcc_lo, v4
	v_add_lshl_u32 v45, v2, v122, 2
	v_and_b32_e32 v3, v3, v168
	s_delay_alu instid0(VALU_DEP_4) | instskip(SKIP_3) | instid1(VALU_DEP_2)
	v_xor_b32_e32 v2, s17, v5
	ds_load_b32 v169, v45 offset:1056
	v_and_b32_e32 v3, v3, v4
	v_add_nc_u32_e32 v171, 0x420, v45
	; wave barrier
	v_and_b32_e32 v2, v3, v2
	s_delay_alu instid0(VALU_DEP_1) | instskip(SKIP_1) | instid1(VALU_DEP_2)
	v_mbcnt_lo_u32_b32 v170, v2, 0
	v_cmp_ne_u32_e64 s17, 0, v2
	v_cmp_eq_u32_e32 vcc_lo, 0, v170
	s_delay_alu instid0(VALU_DEP_2) | instskip(NEXT) | instid1(SALU_CYCLE_1)
	s_and_b32 s18, s17, vcc_lo
	s_and_saveexec_b32 s17, s18
	s_cbranch_execz .LBB948_1028
; %bb.1027:                             ;   in Loop: Header=BB948_990 Depth=2
	s_waitcnt lgkmcnt(0)
	v_bcnt_u32_b32 v2, v2, v169
	ds_store_b32 v171, v2
.LBB948_1028:                           ;   in Loop: Header=BB948_990 Depth=2
	s_or_b32 exec_lo, exec_lo, s17
	v_xor_b32_e32 v168, 0x7fff7fff, v6
	; wave barrier
	s_delay_alu instid0(VALU_DEP_1) | instskip(NEXT) | instid1(VALU_DEP_1)
	v_and_b32_e32 v2, 0xffff, v168
	v_lshrrev_b32_e32 v2, s57, v2
	s_delay_alu instid0(VALU_DEP_1) | instskip(NEXT) | instid1(VALU_DEP_1)
	v_and_b32_e32 v2, s43, v2
	v_and_b32_e32 v3, 1, v2
	v_lshlrev_b32_e32 v4, 30, v2
	v_lshlrev_b32_e32 v5, 29, v2
	;; [unrolled: 1-line block ×4, first 2 shown]
	v_add_co_u32 v3, s17, v3, -1
	s_delay_alu instid0(VALU_DEP_1)
	v_cndmask_b32_e64 v45, 0, 1, s17
	v_not_b32_e32 v174, v4
	v_cmp_gt_i32_e64 s17, 0, v4
	v_not_b32_e32 v4, v5
	v_lshlrev_b32_e32 v172, 26, v2
	v_cmp_ne_u32_e32 vcc_lo, 0, v45
	v_ashrrev_i32_e32 v174, 31, v174
	v_lshlrev_b32_e32 v173, 25, v2
	v_ashrrev_i32_e32 v4, 31, v4
	v_lshlrev_b32_e32 v45, 24, v2
	v_xor_b32_e32 v3, vcc_lo, v3
	v_cmp_gt_i32_e32 vcc_lo, 0, v5
	v_not_b32_e32 v5, v6
	v_xor_b32_e32 v174, s17, v174
	v_cmp_gt_i32_e64 s17, 0, v6
	v_and_b32_e32 v3, exec_lo, v3
	v_not_b32_e32 v6, v46
	v_ashrrev_i32_e32 v5, 31, v5
	v_xor_b32_e32 v4, vcc_lo, v4
	v_cmp_gt_i32_e32 vcc_lo, 0, v46
	v_and_b32_e32 v3, v3, v174
	v_not_b32_e32 v46, v172
	v_ashrrev_i32_e32 v6, 31, v6
	v_xor_b32_e32 v5, s17, v5
	v_cmp_gt_i32_e64 s17, 0, v172
	v_and_b32_e32 v3, v3, v4
	v_not_b32_e32 v4, v173
	v_ashrrev_i32_e32 v46, 31, v46
	v_xor_b32_e32 v6, vcc_lo, v6
	v_cmp_gt_i32_e32 vcc_lo, 0, v173
	v_and_b32_e32 v3, v3, v5
	v_not_b32_e32 v5, v45
	v_ashrrev_i32_e32 v4, 31, v4
	v_xor_b32_e32 v46, s17, v46
	v_mul_u32_u24_e32 v2, 9, v2
	v_and_b32_e32 v3, v3, v6
	v_cmp_gt_i32_e64 s17, 0, v45
	v_ashrrev_i32_e32 v5, 31, v5
	v_xor_b32_e32 v4, vcc_lo, v4
	v_add_lshl_u32 v6, v2, v122, 2
	v_and_b32_e32 v3, v3, v46
	s_delay_alu instid0(VALU_DEP_4) | instskip(SKIP_3) | instid1(VALU_DEP_2)
	v_xor_b32_e32 v2, s17, v5
	ds_load_b32 v173, v6 offset:1056
	v_and_b32_e32 v3, v3, v4
	v_add_nc_u32_e32 v175, 0x420, v6
	; wave barrier
	v_and_b32_e32 v2, v3, v2
	s_delay_alu instid0(VALU_DEP_1) | instskip(SKIP_1) | instid1(VALU_DEP_2)
	v_mbcnt_lo_u32_b32 v174, v2, 0
	v_cmp_ne_u32_e64 s17, 0, v2
	v_cmp_eq_u32_e32 vcc_lo, 0, v174
	s_delay_alu instid0(VALU_DEP_2) | instskip(NEXT) | instid1(SALU_CYCLE_1)
	s_and_b32 s18, s17, vcc_lo
	s_and_saveexec_b32 s17, s18
	s_cbranch_execz .LBB948_1030
; %bb.1029:                             ;   in Loop: Header=BB948_990 Depth=2
	s_waitcnt lgkmcnt(0)
	v_bcnt_u32_b32 v2, v2, v173
	ds_store_b32 v175, v2
.LBB948_1030:                           ;   in Loop: Header=BB948_990 Depth=2
	s_or_b32 exec_lo, exec_lo, s17
	v_lshrrev_b32_e32 v172, 16, v168
	; wave barrier
	s_delay_alu instid0(VALU_DEP_1) | instskip(NEXT) | instid1(VALU_DEP_1)
	v_lshrrev_b32_e32 v2, s57, v172
	v_and_b32_e32 v2, s43, v2
	s_delay_alu instid0(VALU_DEP_1)
	v_and_b32_e32 v3, 1, v2
	v_lshlrev_b32_e32 v4, 30, v2
	v_lshlrev_b32_e32 v5, 29, v2
	;; [unrolled: 1-line block ×4, first 2 shown]
	v_add_co_u32 v3, s17, v3, -1
	s_delay_alu instid0(VALU_DEP_1)
	v_cndmask_b32_e64 v45, 0, 1, s17
	v_not_b32_e32 v178, v4
	v_cmp_gt_i32_e64 s17, 0, v4
	v_not_b32_e32 v4, v5
	v_lshlrev_b32_e32 v176, 26, v2
	v_cmp_ne_u32_e32 vcc_lo, 0, v45
	v_ashrrev_i32_e32 v178, 31, v178
	v_lshlrev_b32_e32 v177, 25, v2
	v_ashrrev_i32_e32 v4, 31, v4
	v_lshlrev_b32_e32 v45, 24, v2
	v_xor_b32_e32 v3, vcc_lo, v3
	v_cmp_gt_i32_e32 vcc_lo, 0, v5
	v_not_b32_e32 v5, v6
	v_xor_b32_e32 v178, s17, v178
	v_cmp_gt_i32_e64 s17, 0, v6
	v_and_b32_e32 v3, exec_lo, v3
	v_not_b32_e32 v6, v46
	v_ashrrev_i32_e32 v5, 31, v5
	v_xor_b32_e32 v4, vcc_lo, v4
	v_cmp_gt_i32_e32 vcc_lo, 0, v46
	v_and_b32_e32 v3, v3, v178
	v_not_b32_e32 v46, v176
	v_ashrrev_i32_e32 v6, 31, v6
	v_xor_b32_e32 v5, s17, v5
	v_cmp_gt_i32_e64 s17, 0, v176
	v_and_b32_e32 v3, v3, v4
	v_not_b32_e32 v4, v177
	v_ashrrev_i32_e32 v46, 31, v46
	v_xor_b32_e32 v6, vcc_lo, v6
	v_cmp_gt_i32_e32 vcc_lo, 0, v177
	v_and_b32_e32 v3, v3, v5
	v_not_b32_e32 v5, v45
	v_ashrrev_i32_e32 v4, 31, v4
	v_xor_b32_e32 v46, s17, v46
	v_mul_u32_u24_e32 v2, 9, v2
	v_and_b32_e32 v3, v3, v6
	v_cmp_gt_i32_e64 s17, 0, v45
	v_ashrrev_i32_e32 v5, 31, v5
	v_xor_b32_e32 v4, vcc_lo, v4
	v_add_lshl_u32 v6, v2, v122, 2
	v_and_b32_e32 v3, v3, v46
	s_delay_alu instid0(VALU_DEP_4) | instskip(SKIP_3) | instid1(VALU_DEP_2)
	v_xor_b32_e32 v2, s17, v5
	ds_load_b32 v177, v6 offset:1056
	v_and_b32_e32 v3, v3, v4
	v_add_nc_u32_e32 v179, 0x420, v6
	; wave barrier
	v_and_b32_e32 v2, v3, v2
	s_delay_alu instid0(VALU_DEP_1) | instskip(SKIP_1) | instid1(VALU_DEP_2)
	v_mbcnt_lo_u32_b32 v178, v2, 0
	v_cmp_ne_u32_e64 s17, 0, v2
	v_cmp_eq_u32_e32 vcc_lo, 0, v178
	s_delay_alu instid0(VALU_DEP_2) | instskip(NEXT) | instid1(SALU_CYCLE_1)
	s_and_b32 s18, s17, vcc_lo
	s_and_saveexec_b32 s17, s18
	s_cbranch_execz .LBB948_1032
; %bb.1031:                             ;   in Loop: Header=BB948_990 Depth=2
	s_waitcnt lgkmcnt(0)
	v_bcnt_u32_b32 v2, v2, v177
	ds_store_b32 v179, v2
.LBB948_1032:                           ;   in Loop: Header=BB948_990 Depth=2
	s_or_b32 exec_lo, exec_lo, s17
	v_xor_b32_e32 v176, 0x7fff7fff, v7
	; wave barrier
	s_delay_alu instid0(VALU_DEP_1) | instskip(NEXT) | instid1(VALU_DEP_1)
	v_and_b32_e32 v2, 0xffff, v176
	v_lshrrev_b32_e32 v2, s57, v2
	s_delay_alu instid0(VALU_DEP_1) | instskip(NEXT) | instid1(VALU_DEP_1)
	v_and_b32_e32 v2, s43, v2
	v_and_b32_e32 v3, 1, v2
	v_lshlrev_b32_e32 v4, 30, v2
	v_lshlrev_b32_e32 v5, 29, v2
	;; [unrolled: 1-line block ×4, first 2 shown]
	v_add_co_u32 v3, s17, v3, -1
	s_delay_alu instid0(VALU_DEP_1)
	v_cndmask_b32_e64 v7, 0, 1, s17
	v_not_b32_e32 v181, v4
	v_cmp_gt_i32_e64 s17, 0, v4
	v_not_b32_e32 v4, v5
	v_lshlrev_b32_e32 v46, 26, v2
	v_cmp_ne_u32_e32 vcc_lo, 0, v7
	v_ashrrev_i32_e32 v181, 31, v181
	v_lshlrev_b32_e32 v180, 25, v2
	v_ashrrev_i32_e32 v4, 31, v4
	v_lshlrev_b32_e32 v7, 24, v2
	v_xor_b32_e32 v3, vcc_lo, v3
	v_cmp_gt_i32_e32 vcc_lo, 0, v5
	v_not_b32_e32 v5, v6
	v_xor_b32_e32 v181, s17, v181
	v_cmp_gt_i32_e64 s17, 0, v6
	v_and_b32_e32 v3, exec_lo, v3
	v_not_b32_e32 v6, v45
	v_ashrrev_i32_e32 v5, 31, v5
	v_xor_b32_e32 v4, vcc_lo, v4
	v_cmp_gt_i32_e32 vcc_lo, 0, v45
	v_and_b32_e32 v3, v3, v181
	v_not_b32_e32 v45, v46
	v_ashrrev_i32_e32 v6, 31, v6
	v_xor_b32_e32 v5, s17, v5
	v_cmp_gt_i32_e64 s17, 0, v46
	v_and_b32_e32 v3, v3, v4
	v_not_b32_e32 v4, v180
	v_ashrrev_i32_e32 v45, 31, v45
	v_xor_b32_e32 v6, vcc_lo, v6
	v_cmp_gt_i32_e32 vcc_lo, 0, v180
	v_and_b32_e32 v3, v3, v5
	v_not_b32_e32 v5, v7
	v_ashrrev_i32_e32 v4, 31, v4
	v_xor_b32_e32 v45, s17, v45
	v_mul_u32_u24_e32 v2, 9, v2
	v_and_b32_e32 v3, v3, v6
	v_cmp_gt_i32_e64 s17, 0, v7
	v_ashrrev_i32_e32 v5, 31, v5
	v_xor_b32_e32 v4, vcc_lo, v4
	v_add_lshl_u32 v6, v2, v122, 2
	v_and_b32_e32 v3, v3, v45
	s_delay_alu instid0(VALU_DEP_4) | instskip(SKIP_3) | instid1(VALU_DEP_2)
	v_xor_b32_e32 v2, s17, v5
	ds_load_b32 v181, v6 offset:1056
	v_and_b32_e32 v3, v3, v4
	v_add_nc_u32_e32 v183, 0x420, v6
	; wave barrier
	v_and_b32_e32 v2, v3, v2
	s_delay_alu instid0(VALU_DEP_1) | instskip(SKIP_1) | instid1(VALU_DEP_2)
	v_mbcnt_lo_u32_b32 v182, v2, 0
	v_cmp_ne_u32_e64 s17, 0, v2
	v_cmp_eq_u32_e32 vcc_lo, 0, v182
	s_delay_alu instid0(VALU_DEP_2) | instskip(NEXT) | instid1(SALU_CYCLE_1)
	s_and_b32 s18, s17, vcc_lo
	s_and_saveexec_b32 s17, s18
	s_cbranch_execz .LBB948_1034
; %bb.1033:                             ;   in Loop: Header=BB948_990 Depth=2
	s_waitcnt lgkmcnt(0)
	v_bcnt_u32_b32 v2, v2, v181
	ds_store_b32 v183, v2
.LBB948_1034:                           ;   in Loop: Header=BB948_990 Depth=2
	s_or_b32 exec_lo, exec_lo, s17
	v_lshrrev_b32_e32 v180, 16, v176
	; wave barrier
	s_delay_alu instid0(VALU_DEP_1) | instskip(NEXT) | instid1(VALU_DEP_1)
	v_lshrrev_b32_e32 v2, s57, v180
	v_and_b32_e32 v2, s43, v2
	s_delay_alu instid0(VALU_DEP_1)
	v_and_b32_e32 v3, 1, v2
	v_lshlrev_b32_e32 v4, 30, v2
	v_lshlrev_b32_e32 v5, 29, v2
	;; [unrolled: 1-line block ×4, first 2 shown]
	v_add_co_u32 v3, s17, v3, -1
	s_delay_alu instid0(VALU_DEP_1)
	v_cndmask_b32_e64 v7, 0, 1, s17
	v_not_b32_e32 v185, v4
	v_cmp_gt_i32_e64 s17, 0, v4
	v_not_b32_e32 v4, v5
	v_lshlrev_b32_e32 v46, 26, v2
	v_cmp_ne_u32_e32 vcc_lo, 0, v7
	v_ashrrev_i32_e32 v185, 31, v185
	v_lshlrev_b32_e32 v184, 25, v2
	v_ashrrev_i32_e32 v4, 31, v4
	v_lshlrev_b32_e32 v7, 24, v2
	v_xor_b32_e32 v3, vcc_lo, v3
	v_cmp_gt_i32_e32 vcc_lo, 0, v5
	v_not_b32_e32 v5, v6
	v_xor_b32_e32 v185, s17, v185
	v_cmp_gt_i32_e64 s17, 0, v6
	v_and_b32_e32 v3, exec_lo, v3
	v_not_b32_e32 v6, v45
	v_ashrrev_i32_e32 v5, 31, v5
	v_xor_b32_e32 v4, vcc_lo, v4
	v_cmp_gt_i32_e32 vcc_lo, 0, v45
	v_and_b32_e32 v3, v3, v185
	v_not_b32_e32 v45, v46
	v_ashrrev_i32_e32 v6, 31, v6
	v_xor_b32_e32 v5, s17, v5
	v_cmp_gt_i32_e64 s17, 0, v46
	v_and_b32_e32 v3, v3, v4
	v_not_b32_e32 v4, v184
	v_ashrrev_i32_e32 v45, 31, v45
	v_xor_b32_e32 v6, vcc_lo, v6
	v_cmp_gt_i32_e32 vcc_lo, 0, v184
	v_and_b32_e32 v3, v3, v5
	v_not_b32_e32 v5, v7
	v_ashrrev_i32_e32 v4, 31, v4
	v_xor_b32_e32 v45, s17, v45
	v_mul_u32_u24_e32 v2, 9, v2
	v_and_b32_e32 v3, v3, v6
	v_cmp_gt_i32_e64 s17, 0, v7
	v_ashrrev_i32_e32 v5, 31, v5
	v_xor_b32_e32 v4, vcc_lo, v4
	v_add_lshl_u32 v6, v2, v122, 2
	v_and_b32_e32 v3, v3, v45
	s_delay_alu instid0(VALU_DEP_4) | instskip(SKIP_3) | instid1(VALU_DEP_2)
	v_xor_b32_e32 v2, s17, v5
	ds_load_b32 v185, v6 offset:1056
	v_and_b32_e32 v3, v3, v4
	v_add_nc_u32_e32 v187, 0x420, v6
	; wave barrier
	v_and_b32_e32 v2, v3, v2
	s_delay_alu instid0(VALU_DEP_1) | instskip(SKIP_1) | instid1(VALU_DEP_2)
	v_mbcnt_lo_u32_b32 v186, v2, 0
	v_cmp_ne_u32_e64 s17, 0, v2
	v_cmp_eq_u32_e32 vcc_lo, 0, v186
	s_delay_alu instid0(VALU_DEP_2) | instskip(NEXT) | instid1(SALU_CYCLE_1)
	s_and_b32 s18, s17, vcc_lo
	s_and_saveexec_b32 s17, s18
	s_cbranch_execz .LBB948_1036
; %bb.1035:                             ;   in Loop: Header=BB948_990 Depth=2
	s_waitcnt lgkmcnt(0)
	v_bcnt_u32_b32 v2, v2, v185
	ds_store_b32 v187, v2
.LBB948_1036:                           ;   in Loop: Header=BB948_990 Depth=2
	s_or_b32 exec_lo, exec_lo, s17
	v_xor_b32_e32 v184, 0x7fff7fff, v8
	; wave barrier
	s_delay_alu instid0(VALU_DEP_1) | instskip(NEXT) | instid1(VALU_DEP_1)
	v_and_b32_e32 v2, 0xffff, v184
	v_lshrrev_b32_e32 v2, s57, v2
	s_delay_alu instid0(VALU_DEP_1) | instskip(NEXT) | instid1(VALU_DEP_1)
	v_and_b32_e32 v2, s43, v2
	v_and_b32_e32 v3, 1, v2
	v_lshlrev_b32_e32 v4, 30, v2
	v_lshlrev_b32_e32 v5, 29, v2
	v_lshlrev_b32_e32 v6, 28, v2
	v_lshlrev_b32_e32 v8, 27, v2
	v_add_co_u32 v3, s17, v3, -1
	s_delay_alu instid0(VALU_DEP_1)
	v_cndmask_b32_e64 v7, 0, 1, s17
	v_not_b32_e32 v188, v4
	v_cmp_gt_i32_e64 s17, 0, v4
	v_not_b32_e32 v4, v5
	v_lshlrev_b32_e32 v45, 26, v2
	v_cmp_ne_u32_e32 vcc_lo, 0, v7
	v_ashrrev_i32_e32 v188, 31, v188
	v_lshlrev_b32_e32 v46, 25, v2
	v_ashrrev_i32_e32 v4, 31, v4
	v_lshlrev_b32_e32 v7, 24, v2
	v_xor_b32_e32 v3, vcc_lo, v3
	v_cmp_gt_i32_e32 vcc_lo, 0, v5
	v_not_b32_e32 v5, v6
	v_xor_b32_e32 v188, s17, v188
	v_cmp_gt_i32_e64 s17, 0, v6
	v_and_b32_e32 v3, exec_lo, v3
	v_not_b32_e32 v6, v8
	v_ashrrev_i32_e32 v5, 31, v5
	v_xor_b32_e32 v4, vcc_lo, v4
	v_cmp_gt_i32_e32 vcc_lo, 0, v8
	v_and_b32_e32 v3, v3, v188
	v_not_b32_e32 v8, v45
	v_ashrrev_i32_e32 v6, 31, v6
	v_xor_b32_e32 v5, s17, v5
	v_cmp_gt_i32_e64 s17, 0, v45
	v_and_b32_e32 v3, v3, v4
	v_not_b32_e32 v4, v46
	v_ashrrev_i32_e32 v8, 31, v8
	v_xor_b32_e32 v6, vcc_lo, v6
	v_cmp_gt_i32_e32 vcc_lo, 0, v46
	v_and_b32_e32 v3, v3, v5
	v_not_b32_e32 v5, v7
	v_ashrrev_i32_e32 v4, 31, v4
	v_xor_b32_e32 v8, s17, v8
	v_mul_u32_u24_e32 v2, 9, v2
	v_and_b32_e32 v3, v3, v6
	v_cmp_gt_i32_e64 s17, 0, v7
	v_ashrrev_i32_e32 v5, 31, v5
	v_xor_b32_e32 v4, vcc_lo, v4
	v_add_lshl_u32 v6, v2, v122, 2
	v_and_b32_e32 v3, v3, v8
	s_delay_alu instid0(VALU_DEP_4) | instskip(SKIP_3) | instid1(VALU_DEP_2)
	v_xor_b32_e32 v2, s17, v5
	ds_load_b32 v189, v6 offset:1056
	v_and_b32_e32 v3, v3, v4
	v_add_nc_u32_e32 v8, 0x420, v6
	; wave barrier
	v_and_b32_e32 v2, v3, v2
	s_delay_alu instid0(VALU_DEP_1) | instskip(SKIP_1) | instid1(VALU_DEP_2)
	v_mbcnt_lo_u32_b32 v190, v2, 0
	v_cmp_ne_u32_e64 s17, 0, v2
	v_cmp_eq_u32_e32 vcc_lo, 0, v190
	s_delay_alu instid0(VALU_DEP_2) | instskip(NEXT) | instid1(SALU_CYCLE_1)
	s_and_b32 s18, s17, vcc_lo
	s_and_saveexec_b32 s17, s18
	s_cbranch_execz .LBB948_1038
; %bb.1037:                             ;   in Loop: Header=BB948_990 Depth=2
	s_waitcnt lgkmcnt(0)
	v_bcnt_u32_b32 v2, v2, v189
	ds_store_b32 v8, v2
.LBB948_1038:                           ;   in Loop: Header=BB948_990 Depth=2
	s_or_b32 exec_lo, exec_lo, s17
	v_lshrrev_b32_e32 v188, 16, v184
	; wave barrier
	s_delay_alu instid0(VALU_DEP_1) | instskip(NEXT) | instid1(VALU_DEP_1)
	v_lshrrev_b32_e32 v2, s57, v188
	v_and_b32_e32 v2, s43, v2
	s_delay_alu instid0(VALU_DEP_1)
	v_and_b32_e32 v3, 1, v2
	v_lshlrev_b32_e32 v4, 30, v2
	v_lshlrev_b32_e32 v5, 29, v2
	;; [unrolled: 1-line block ×4, first 2 shown]
	v_add_co_u32 v3, s17, v3, -1
	s_delay_alu instid0(VALU_DEP_1)
	v_cndmask_b32_e64 v7, 0, 1, s17
	v_not_b32_e32 v192, v4
	v_cmp_gt_i32_e64 s17, 0, v4
	v_not_b32_e32 v4, v5
	v_lshlrev_b32_e32 v46, 26, v2
	v_cmp_ne_u32_e32 vcc_lo, 0, v7
	v_ashrrev_i32_e32 v192, 31, v192
	v_lshlrev_b32_e32 v191, 25, v2
	v_ashrrev_i32_e32 v4, 31, v4
	v_lshlrev_b32_e32 v7, 24, v2
	v_xor_b32_e32 v3, vcc_lo, v3
	v_cmp_gt_i32_e32 vcc_lo, 0, v5
	v_not_b32_e32 v5, v6
	v_xor_b32_e32 v192, s17, v192
	v_cmp_gt_i32_e64 s17, 0, v6
	v_and_b32_e32 v3, exec_lo, v3
	v_not_b32_e32 v6, v45
	v_ashrrev_i32_e32 v5, 31, v5
	v_xor_b32_e32 v4, vcc_lo, v4
	v_cmp_gt_i32_e32 vcc_lo, 0, v45
	v_and_b32_e32 v3, v3, v192
	v_not_b32_e32 v45, v46
	v_ashrrev_i32_e32 v6, 31, v6
	v_xor_b32_e32 v5, s17, v5
	v_cmp_gt_i32_e64 s17, 0, v46
	v_and_b32_e32 v3, v3, v4
	v_not_b32_e32 v4, v191
	v_ashrrev_i32_e32 v45, 31, v45
	v_xor_b32_e32 v6, vcc_lo, v6
	v_cmp_gt_i32_e32 vcc_lo, 0, v191
	v_and_b32_e32 v3, v3, v5
	v_not_b32_e32 v5, v7
	v_ashrrev_i32_e32 v4, 31, v4
	v_xor_b32_e32 v45, s17, v45
	v_mul_u32_u24_e32 v2, 9, v2
	v_and_b32_e32 v3, v3, v6
	v_cmp_gt_i32_e64 s17, 0, v7
	v_ashrrev_i32_e32 v5, 31, v5
	v_xor_b32_e32 v4, vcc_lo, v4
	v_add_lshl_u32 v6, v2, v122, 2
	v_and_b32_e32 v3, v3, v45
	s_delay_alu instid0(VALU_DEP_4) | instskip(SKIP_3) | instid1(VALU_DEP_2)
	v_xor_b32_e32 v2, s17, v5
	ds_load_b32 v191, v6 offset:1056
	v_and_b32_e32 v3, v3, v4
	v_add_nc_u32_e32 v193, 0x420, v6
	; wave barrier
	v_and_b32_e32 v2, v3, v2
	s_delay_alu instid0(VALU_DEP_1) | instskip(SKIP_1) | instid1(VALU_DEP_2)
	v_mbcnt_lo_u32_b32 v192, v2, 0
	v_cmp_ne_u32_e64 s17, 0, v2
	v_cmp_eq_u32_e32 vcc_lo, 0, v192
	s_delay_alu instid0(VALU_DEP_2) | instskip(NEXT) | instid1(SALU_CYCLE_1)
	s_and_b32 s18, s17, vcc_lo
	s_and_saveexec_b32 s17, s18
	s_cbranch_execz .LBB948_1040
; %bb.1039:                             ;   in Loop: Header=BB948_990 Depth=2
	s_waitcnt lgkmcnt(0)
	v_bcnt_u32_b32 v2, v2, v191
	ds_store_b32 v193, v2
.LBB948_1040:                           ;   in Loop: Header=BB948_990 Depth=2
	s_or_b32 exec_lo, exec_lo, s17
	v_xor_b32_e32 v9, 0x7fff7fff, v9
	; wave barrier
	s_delay_alu instid0(VALU_DEP_1) | instskip(NEXT) | instid1(VALU_DEP_1)
	v_and_b32_e32 v2, 0xffff, v9
	v_lshrrev_b32_e32 v2, s57, v2
	s_delay_alu instid0(VALU_DEP_1) | instskip(NEXT) | instid1(VALU_DEP_1)
	v_and_b32_e32 v2, s43, v2
	v_and_b32_e32 v3, 1, v2
	v_lshlrev_b32_e32 v4, 30, v2
	v_lshlrev_b32_e32 v5, 29, v2
	;; [unrolled: 1-line block ×4, first 2 shown]
	v_add_co_u32 v3, s17, v3, -1
	s_delay_alu instid0(VALU_DEP_1)
	v_cndmask_b32_e64 v7, 0, 1, s17
	v_not_b32_e32 v195, v4
	v_cmp_gt_i32_e64 s17, 0, v4
	v_not_b32_e32 v4, v5
	v_lshlrev_b32_e32 v46, 26, v2
	v_cmp_ne_u32_e32 vcc_lo, 0, v7
	v_ashrrev_i32_e32 v195, 31, v195
	v_lshlrev_b32_e32 v194, 25, v2
	v_ashrrev_i32_e32 v4, 31, v4
	v_lshlrev_b32_e32 v7, 24, v2
	v_xor_b32_e32 v3, vcc_lo, v3
	v_cmp_gt_i32_e32 vcc_lo, 0, v5
	v_not_b32_e32 v5, v6
	v_xor_b32_e32 v195, s17, v195
	v_cmp_gt_i32_e64 s17, 0, v6
	v_and_b32_e32 v3, exec_lo, v3
	v_not_b32_e32 v6, v45
	v_ashrrev_i32_e32 v5, 31, v5
	v_xor_b32_e32 v4, vcc_lo, v4
	v_cmp_gt_i32_e32 vcc_lo, 0, v45
	v_and_b32_e32 v3, v3, v195
	v_not_b32_e32 v45, v46
	v_ashrrev_i32_e32 v6, 31, v6
	v_xor_b32_e32 v5, s17, v5
	v_cmp_gt_i32_e64 s17, 0, v46
	v_and_b32_e32 v3, v3, v4
	v_not_b32_e32 v4, v194
	v_ashrrev_i32_e32 v45, 31, v45
	v_xor_b32_e32 v6, vcc_lo, v6
	v_cmp_gt_i32_e32 vcc_lo, 0, v194
	v_and_b32_e32 v3, v3, v5
	v_not_b32_e32 v5, v7
	v_ashrrev_i32_e32 v4, 31, v4
	v_xor_b32_e32 v45, s17, v45
	v_mul_u32_u24_e32 v2, 9, v2
	v_and_b32_e32 v3, v3, v6
	v_cmp_gt_i32_e64 s17, 0, v7
	v_ashrrev_i32_e32 v5, 31, v5
	v_xor_b32_e32 v4, vcc_lo, v4
	v_add_lshl_u32 v6, v2, v122, 2
	v_and_b32_e32 v3, v3, v45
	s_delay_alu instid0(VALU_DEP_4) | instskip(SKIP_3) | instid1(VALU_DEP_2)
	v_xor_b32_e32 v2, s17, v5
	ds_load_b32 v195, v6 offset:1056
	v_and_b32_e32 v3, v3, v4
	v_add_nc_u32_e32 v197, 0x420, v6
	; wave barrier
	v_and_b32_e32 v2, v3, v2
	s_delay_alu instid0(VALU_DEP_1) | instskip(SKIP_1) | instid1(VALU_DEP_2)
	v_mbcnt_lo_u32_b32 v196, v2, 0
	v_cmp_ne_u32_e64 s17, 0, v2
	v_cmp_eq_u32_e32 vcc_lo, 0, v196
	s_delay_alu instid0(VALU_DEP_2) | instskip(NEXT) | instid1(SALU_CYCLE_1)
	s_and_b32 s18, s17, vcc_lo
	s_and_saveexec_b32 s17, s18
	s_cbranch_execz .LBB948_1042
; %bb.1041:                             ;   in Loop: Header=BB948_990 Depth=2
	s_waitcnt lgkmcnt(0)
	v_bcnt_u32_b32 v2, v2, v195
	ds_store_b32 v197, v2
.LBB948_1042:                           ;   in Loop: Header=BB948_990 Depth=2
	s_or_b32 exec_lo, exec_lo, s17
	v_lshrrev_b32_e32 v194, 16, v9
	; wave barrier
	s_delay_alu instid0(VALU_DEP_1) | instskip(NEXT) | instid1(VALU_DEP_1)
	v_lshrrev_b32_e32 v2, s57, v194
	v_and_b32_e32 v2, s43, v2
	s_delay_alu instid0(VALU_DEP_1)
	v_and_b32_e32 v3, 1, v2
	v_lshlrev_b32_e32 v4, 30, v2
	v_lshlrev_b32_e32 v5, 29, v2
	;; [unrolled: 1-line block ×4, first 2 shown]
	v_add_co_u32 v3, s17, v3, -1
	s_delay_alu instid0(VALU_DEP_1)
	v_cndmask_b32_e64 v7, 0, 1, s17
	v_not_b32_e32 v199, v4
	v_cmp_gt_i32_e64 s17, 0, v4
	v_not_b32_e32 v4, v5
	v_lshlrev_b32_e32 v46, 26, v2
	v_cmp_ne_u32_e32 vcc_lo, 0, v7
	v_ashrrev_i32_e32 v199, 31, v199
	v_lshlrev_b32_e32 v198, 25, v2
	v_ashrrev_i32_e32 v4, 31, v4
	v_lshlrev_b32_e32 v7, 24, v2
	v_xor_b32_e32 v3, vcc_lo, v3
	v_cmp_gt_i32_e32 vcc_lo, 0, v5
	v_not_b32_e32 v5, v6
	v_xor_b32_e32 v199, s17, v199
	v_cmp_gt_i32_e64 s17, 0, v6
	v_and_b32_e32 v3, exec_lo, v3
	v_not_b32_e32 v6, v45
	v_ashrrev_i32_e32 v5, 31, v5
	v_xor_b32_e32 v4, vcc_lo, v4
	v_cmp_gt_i32_e32 vcc_lo, 0, v45
	v_and_b32_e32 v3, v3, v199
	v_not_b32_e32 v45, v46
	v_ashrrev_i32_e32 v6, 31, v6
	v_xor_b32_e32 v5, s17, v5
	v_cmp_gt_i32_e64 s17, 0, v46
	v_and_b32_e32 v3, v3, v4
	v_not_b32_e32 v4, v198
	v_ashrrev_i32_e32 v45, 31, v45
	v_xor_b32_e32 v6, vcc_lo, v6
	v_cmp_gt_i32_e32 vcc_lo, 0, v198
	v_and_b32_e32 v3, v3, v5
	v_not_b32_e32 v5, v7
	v_ashrrev_i32_e32 v4, 31, v4
	v_xor_b32_e32 v45, s17, v45
	v_mul_u32_u24_e32 v2, 9, v2
	v_and_b32_e32 v3, v3, v6
	v_cmp_gt_i32_e64 s17, 0, v7
	v_ashrrev_i32_e32 v5, 31, v5
	v_xor_b32_e32 v4, vcc_lo, v4
	v_add_lshl_u32 v6, v2, v122, 2
	v_and_b32_e32 v3, v3, v45
	s_delay_alu instid0(VALU_DEP_4) | instskip(SKIP_3) | instid1(VALU_DEP_2)
	v_xor_b32_e32 v2, s17, v5
	ds_load_b32 v198, v6 offset:1056
	v_and_b32_e32 v3, v3, v4
	v_add_nc_u32_e32 v200, 0x420, v6
	; wave barrier
	v_and_b32_e32 v2, v3, v2
	s_delay_alu instid0(VALU_DEP_1) | instskip(SKIP_1) | instid1(VALU_DEP_2)
	v_mbcnt_lo_u32_b32 v199, v2, 0
	v_cmp_ne_u32_e64 s17, 0, v2
	v_cmp_eq_u32_e32 vcc_lo, 0, v199
	s_delay_alu instid0(VALU_DEP_2) | instskip(NEXT) | instid1(SALU_CYCLE_1)
	s_and_b32 s18, s17, vcc_lo
	s_and_saveexec_b32 s17, s18
	s_cbranch_execz .LBB948_1044
; %bb.1043:                             ;   in Loop: Header=BB948_990 Depth=2
	s_waitcnt lgkmcnt(0)
	v_bcnt_u32_b32 v2, v2, v198
	ds_store_b32 v200, v2
.LBB948_1044:                           ;   in Loop: Header=BB948_990 Depth=2
	s_or_b32 exec_lo, exec_lo, s17
	; wave barrier
	s_waitcnt lgkmcnt(0)
	s_barrier
	buffer_gl0_inv
	ds_load_b32 v201, v73 offset:1056
	ds_load_2addr_b32 v[45:46], v75 offset0:1 offset1:2
	ds_load_2addr_b32 v[6:7], v75 offset0:3 offset1:4
	;; [unrolled: 1-line block ×4, first 2 shown]
	s_waitcnt lgkmcnt(3)
	v_add3_u32 v202, v45, v201, v46
	s_waitcnt lgkmcnt(2)
	s_delay_alu instid0(VALU_DEP_1) | instskip(SKIP_1) | instid1(VALU_DEP_1)
	v_add3_u32 v202, v202, v6, v7
	s_waitcnt lgkmcnt(1)
	v_add3_u32 v202, v202, v2, v3
	s_waitcnt lgkmcnt(0)
	s_delay_alu instid0(VALU_DEP_1) | instskip(NEXT) | instid1(VALU_DEP_1)
	v_add3_u32 v5, v202, v4, v5
	v_mov_b32_dpp v202, v5 row_shr:1 row_mask:0xf bank_mask:0xf
	s_delay_alu instid0(VALU_DEP_1) | instskip(NEXT) | instid1(VALU_DEP_1)
	v_cndmask_b32_e64 v202, v202, 0, s1
	v_add_nc_u32_e32 v5, v202, v5
	s_delay_alu instid0(VALU_DEP_1) | instskip(NEXT) | instid1(VALU_DEP_1)
	v_mov_b32_dpp v202, v5 row_shr:2 row_mask:0xf bank_mask:0xf
	v_cndmask_b32_e64 v202, 0, v202, s7
	s_delay_alu instid0(VALU_DEP_1) | instskip(NEXT) | instid1(VALU_DEP_1)
	v_add_nc_u32_e32 v5, v5, v202
	v_mov_b32_dpp v202, v5 row_shr:4 row_mask:0xf bank_mask:0xf
	s_delay_alu instid0(VALU_DEP_1) | instskip(NEXT) | instid1(VALU_DEP_1)
	v_cndmask_b32_e64 v202, 0, v202, s8
	v_add_nc_u32_e32 v5, v5, v202
	s_delay_alu instid0(VALU_DEP_1) | instskip(NEXT) | instid1(VALU_DEP_1)
	v_mov_b32_dpp v202, v5 row_shr:8 row_mask:0xf bank_mask:0xf
	v_cndmask_b32_e64 v202, 0, v202, s9
	s_delay_alu instid0(VALU_DEP_1) | instskip(SKIP_3) | instid1(VALU_DEP_1)
	v_add_nc_u32_e32 v5, v5, v202
	ds_swizzle_b32 v202, v5 offset:swizzle(BROADCAST,32,15)
	s_waitcnt lgkmcnt(0)
	v_cndmask_b32_e64 v202, v202, 0, s10
	v_add_nc_u32_e32 v5, v5, v202
	s_and_saveexec_b32 s17, s3
	s_cbranch_execz .LBB948_1046
; %bb.1045:                             ;   in Loop: Header=BB948_990 Depth=2
	ds_store_b32 v65, v5 offset:1024
.LBB948_1046:                           ;   in Loop: Header=BB948_990 Depth=2
	s_or_b32 exec_lo, exec_lo, s17
	s_waitcnt lgkmcnt(0)
	s_barrier
	buffer_gl0_inv
	s_and_saveexec_b32 s17, s4
	s_cbranch_execz .LBB948_1048
; %bb.1047:                             ;   in Loop: Header=BB948_990 Depth=2
	ds_load_b32 v202, v76 offset:1024
	s_waitcnt lgkmcnt(0)
	v_mov_b32_dpp v203, v202 row_shr:1 row_mask:0xf bank_mask:0xf
	s_delay_alu instid0(VALU_DEP_1) | instskip(NEXT) | instid1(VALU_DEP_1)
	v_cndmask_b32_e64 v203, v203, 0, s12
	v_add_nc_u32_e32 v202, v203, v202
	s_delay_alu instid0(VALU_DEP_1) | instskip(NEXT) | instid1(VALU_DEP_1)
	v_mov_b32_dpp v203, v202 row_shr:2 row_mask:0xf bank_mask:0xf
	v_cndmask_b32_e64 v203, 0, v203, s13
	s_delay_alu instid0(VALU_DEP_1) | instskip(NEXT) | instid1(VALU_DEP_1)
	v_add_nc_u32_e32 v202, v202, v203
	v_mov_b32_dpp v203, v202 row_shr:4 row_mask:0xf bank_mask:0xf
	s_delay_alu instid0(VALU_DEP_1) | instskip(NEXT) | instid1(VALU_DEP_1)
	v_cndmask_b32_e64 v203, 0, v203, s16
	v_add_nc_u32_e32 v202, v202, v203
	ds_store_b32 v76, v202 offset:1024
.LBB948_1048:                           ;   in Loop: Header=BB948_990 Depth=2
	s_or_b32 exec_lo, exec_lo, s17
	v_mov_b32_e32 v202, 0
	s_waitcnt lgkmcnt(0)
	s_barrier
	buffer_gl0_inv
	s_and_saveexec_b32 s17, s5
	s_cbranch_execz .LBB948_1050
; %bb.1049:                             ;   in Loop: Header=BB948_990 Depth=2
	ds_load_b32 v202, v65 offset:1020
.LBB948_1050:                           ;   in Loop: Header=BB948_990 Depth=2
	s_or_b32 exec_lo, exec_lo, s17
	s_waitcnt lgkmcnt(0)
	v_add_nc_u32_e32 v5, v202, v5
	ds_bpermute_b32 v5, v101, v5
	s_waitcnt lgkmcnt(0)
	v_cndmask_b32_e64 v5, v5, v202, s11
	s_delay_alu instid0(VALU_DEP_1) | instskip(NEXT) | instid1(VALU_DEP_1)
	v_cndmask_b32_e64 v5, v5, 0, s0
	v_add_nc_u32_e32 v201, v5, v201
	s_delay_alu instid0(VALU_DEP_1) | instskip(NEXT) | instid1(VALU_DEP_1)
	v_add_nc_u32_e32 v45, v201, v45
	v_add_nc_u32_e32 v46, v45, v46
	s_delay_alu instid0(VALU_DEP_1) | instskip(NEXT) | instid1(VALU_DEP_1)
	v_add_nc_u32_e32 v6, v46, v6
	v_add_nc_u32_e32 v7, v6, v7
	s_delay_alu instid0(VALU_DEP_1) | instskip(NEXT) | instid1(VALU_DEP_1)
	v_add_nc_u32_e32 v2, v7, v2
	v_add_nc_u32_e32 v3, v2, v3
	s_delay_alu instid0(VALU_DEP_1)
	v_add_nc_u32_e32 v4, v3, v4
	ds_store_b32 v73, v5 offset:1056
	ds_store_2addr_b32 v75, v201, v45 offset0:1 offset1:2
	ds_store_2addr_b32 v75, v46, v6 offset0:3 offset1:4
	;; [unrolled: 1-line block ×4, first 2 shown]
	v_mov_b32_e32 v4, 0x1000
	s_waitcnt lgkmcnt(0)
	s_barrier
	buffer_gl0_inv
	ds_load_b32 v5, v147
	ds_load_b32 v6, v151
	;; [unrolled: 1-line block ×16, first 2 shown]
	ds_load_b32 v143, v73 offset:1056
	s_and_saveexec_b32 s17, s6
	s_cbranch_execz .LBB948_1052
; %bb.1051:                             ;   in Loop: Header=BB948_990 Depth=2
	ds_load_b32 v4, v77 offset:1056
.LBB948_1052:                           ;   in Loop: Header=BB948_990 Depth=2
	s_or_b32 exec_lo, exec_lo, s17
	s_waitcnt lgkmcnt(0)
	s_barrier
	buffer_gl0_inv
	s_and_saveexec_b32 s17, s2
	s_cbranch_execz .LBB948_1054
; %bb.1053:                             ;   in Loop: Header=BB948_990 Depth=2
	ds_load_b32 v147, v47
	s_waitcnt lgkmcnt(0)
	v_sub_nc_u32_e32 v143, v147, v143
	ds_store_b32 v47, v143
.LBB948_1054:                           ;   in Loop: Header=BB948_990 Depth=2
	s_or_b32 exec_lo, exec_lo, s17
	v_add_nc_u32_e32 v159, v8, v141
	v_add3_u32 v155, v146, v145, v5
	v_add3_u32 v151, v150, v149, v6
	;; [unrolled: 1-line block ×4, first 2 shown]
	v_lshlrev_b32_e32 v153, 1, v159
	v_add3_u32 v147, v162, v161, v46
	v_add3_u32 v146, v166, v165, v163
	;; [unrolled: 1-line block ×3, first 2 shown]
	v_lshlrev_b32_e32 v2, 1, v155
	v_add3_u32 v145, v170, v169, v167
	v_add3_u32 v7, v199, v198, v3
	v_lshlrev_b32_e32 v3, 1, v151
	ds_store_b16 v153, v19 offset:1024
	v_lshlrev_b32_e32 v19, 1, v150
	v_lshlrev_b32_e32 v153, 1, v149
	v_add3_u32 v143, v174, v173, v171
	v_add3_u32 v46, v182, v181, v179
	ds_store_b16 v2, v142 offset:1024
	ds_store_b16 v3, v144 offset:1024
	v_lshlrev_b32_e32 v2, 1, v147
	v_lshlrev_b32_e32 v3, 1, v146
	v_add3_u32 v141, v178, v177, v175
	ds_store_b16 v19, v148 offset:1024
	ds_store_b16 v153, v152 offset:1024
	v_lshlrev_b32_e32 v19, 1, v145
	v_add3_u32 v8, v186, v185, v183
	v_add3_u32 v5, v192, v191, v193
	ds_store_b16 v2, v156 offset:1024
	v_lshlrev_b32_e32 v2, 1, v143
	ds_store_b16 v3, v160 offset:1024
	ds_store_b16 v19, v164 offset:1024
	v_lshlrev_b32_e32 v3, 1, v46
	v_add3_u32 v6, v190, v189, v187
	v_lshlrev_b32_e32 v142, 1, v141
	ds_store_b16 v2, v168 offset:1024
	ds_store_b16 v142, v172 offset:1024
	v_lshlrev_b32_e32 v2, 1, v8
	ds_store_b16 v3, v176 offset:1024
	v_lshlrev_b32_e32 v3, 1, v5
	v_lshlrev_b32_e32 v19, 1, v6
	;; [unrolled: 1-line block ×3, first 2 shown]
	ds_store_b16 v2, v180 offset:1024
	ds_store_b16 v19, v184 offset:1024
	v_lshlrev_b32_e32 v2, 1, v7
	ds_store_b16 v3, v188 offset:1024
	ds_store_b16 v142, v9 offset:1024
	v_cmp_lt_u32_e32 vcc_lo, v18, v0
	v_add_nc_u32_e32 v142, v76, v82
	ds_store_b16 v2, v194 offset:1024
	s_waitcnt lgkmcnt(0)
	s_barrier
	buffer_gl0_inv
	s_and_saveexec_b32 s18, vcc_lo
	s_cbranch_execz .LBB948_1070
; %bb.1055:                             ;   in Loop: Header=BB948_990 Depth=2
	ds_load_u16 v144, v142 offset:1024
	s_waitcnt lgkmcnt(0)
	v_and_b32_e32 v2, 0xffff, v144
	s_delay_alu instid0(VALU_DEP_1) | instskip(NEXT) | instid1(VALU_DEP_1)
	v_lshrrev_b32_e32 v2, s57, v2
	v_and_b32_e32 v2, s43, v2
	s_delay_alu instid0(VALU_DEP_1) | instskip(SKIP_3) | instid1(VALU_DEP_1)
	v_lshlrev_b32_e32 v2, 2, v2
	ds_load_b32 v2, v2
	s_waitcnt lgkmcnt(0)
	v_add_nc_u32_e32 v19, v2, v18
	v_lshlrev_b64 v[2:3], 1, v[19:20]
	v_xor_b32_e32 v19, 0x7fff, v144
	s_delay_alu instid0(VALU_DEP_2) | instskip(NEXT) | instid1(VALU_DEP_1)
	v_add_co_u32 v2, s17, s40, v2
	v_add_co_ci_u32_e64 v3, s17, s41, v3, s17
	global_store_b16 v[2:3], v19, off
	s_or_b32 exec_lo, exec_lo, s18
	v_cmp_lt_u32_e64 s17, v48, v0
	s_delay_alu instid0(VALU_DEP_1)
	s_and_saveexec_b32 s19, s17
	s_cbranch_execnz .LBB948_1071
.LBB948_1056:                           ;   in Loop: Header=BB948_990 Depth=2
	s_or_b32 exec_lo, exec_lo, s19
	v_cmp_lt_u32_e64 s18, v49, v0
	s_delay_alu instid0(VALU_DEP_1)
	s_and_saveexec_b32 s20, s18
	s_cbranch_execz .LBB948_1072
.LBB948_1057:                           ;   in Loop: Header=BB948_990 Depth=2
	ds_load_u16 v144, v83 offset:1024
	s_waitcnt lgkmcnt(0)
	v_and_b32_e32 v2, 0xffff, v144
	s_delay_alu instid0(VALU_DEP_1) | instskip(NEXT) | instid1(VALU_DEP_1)
	v_lshrrev_b32_e32 v2, s57, v2
	v_and_b32_e32 v2, s43, v2
	s_delay_alu instid0(VALU_DEP_1) | instskip(SKIP_3) | instid1(VALU_DEP_1)
	v_lshlrev_b32_e32 v2, 2, v2
	ds_load_b32 v2, v2
	s_waitcnt lgkmcnt(0)
	v_add_nc_u32_e32 v19, v2, v49
	v_lshlrev_b64 v[2:3], 1, v[19:20]
	v_xor_b32_e32 v19, 0x7fff, v144
	s_delay_alu instid0(VALU_DEP_2) | instskip(NEXT) | instid1(VALU_DEP_1)
	v_add_co_u32 v2, s19, s40, v2
	v_add_co_ci_u32_e64 v3, s19, s41, v3, s19
	global_store_b16 v[2:3], v19, off
	s_or_b32 exec_lo, exec_lo, s20
	v_cmp_lt_u32_e64 s19, v50, v0
	s_delay_alu instid0(VALU_DEP_1)
	s_and_saveexec_b32 s21, s19
	s_cbranch_execnz .LBB948_1073
.LBB948_1058:                           ;   in Loop: Header=BB948_990 Depth=2
	s_or_b32 exec_lo, exec_lo, s21
	v_cmp_lt_u32_e64 s20, v54, v0
	s_delay_alu instid0(VALU_DEP_1)
	s_and_saveexec_b32 s22, s20
	s_cbranch_execz .LBB948_1074
.LBB948_1059:                           ;   in Loop: Header=BB948_990 Depth=2
	ds_load_u16 v144, v83 offset:2048
	s_waitcnt lgkmcnt(0)
	v_and_b32_e32 v2, 0xffff, v144
	s_delay_alu instid0(VALU_DEP_1) | instskip(NEXT) | instid1(VALU_DEP_1)
	v_lshrrev_b32_e32 v2, s57, v2
	v_and_b32_e32 v2, s43, v2
	s_delay_alu instid0(VALU_DEP_1) | instskip(SKIP_3) | instid1(VALU_DEP_1)
	v_lshlrev_b32_e32 v2, 2, v2
	ds_load_b32 v2, v2
	s_waitcnt lgkmcnt(0)
	v_add_nc_u32_e32 v19, v2, v54
	v_lshlrev_b64 v[2:3], 1, v[19:20]
	v_xor_b32_e32 v19, 0x7fff, v144
	s_delay_alu instid0(VALU_DEP_2) | instskip(NEXT) | instid1(VALU_DEP_1)
	v_add_co_u32 v2, s21, s40, v2
	v_add_co_ci_u32_e64 v3, s21, s41, v3, s21
	global_store_b16 v[2:3], v19, off
	s_or_b32 exec_lo, exec_lo, s22
	v_cmp_lt_u32_e64 s21, v55, v0
	s_delay_alu instid0(VALU_DEP_1)
	s_and_saveexec_b32 s23, s21
	s_cbranch_execnz .LBB948_1075
.LBB948_1060:                           ;   in Loop: Header=BB948_990 Depth=2
	s_or_b32 exec_lo, exec_lo, s23
	v_cmp_lt_u32_e64 s22, v56, v0
	s_delay_alu instid0(VALU_DEP_1)
	s_and_saveexec_b32 s24, s22
	s_cbranch_execz .LBB948_1076
.LBB948_1061:                           ;   in Loop: Header=BB948_990 Depth=2
	ds_load_u16 v144, v83 offset:3072
	s_waitcnt lgkmcnt(0)
	v_and_b32_e32 v2, 0xffff, v144
	s_delay_alu instid0(VALU_DEP_1) | instskip(NEXT) | instid1(VALU_DEP_1)
	v_lshrrev_b32_e32 v2, s57, v2
	v_and_b32_e32 v2, s43, v2
	s_delay_alu instid0(VALU_DEP_1) | instskip(SKIP_3) | instid1(VALU_DEP_1)
	v_lshlrev_b32_e32 v2, 2, v2
	ds_load_b32 v2, v2
	s_waitcnt lgkmcnt(0)
	v_add_nc_u32_e32 v19, v2, v56
	v_lshlrev_b64 v[2:3], 1, v[19:20]
	v_xor_b32_e32 v19, 0x7fff, v144
	s_delay_alu instid0(VALU_DEP_2) | instskip(NEXT) | instid1(VALU_DEP_1)
	v_add_co_u32 v2, s23, s40, v2
	v_add_co_ci_u32_e64 v3, s23, s41, v3, s23
	global_store_b16 v[2:3], v19, off
	s_or_b32 exec_lo, exec_lo, s24
	v_cmp_lt_u32_e64 s23, v57, v0
	s_delay_alu instid0(VALU_DEP_1)
	s_and_saveexec_b32 s25, s23
	s_cbranch_execnz .LBB948_1077
.LBB948_1062:                           ;   in Loop: Header=BB948_990 Depth=2
	s_or_b32 exec_lo, exec_lo, s25
	v_cmp_lt_u32_e64 s24, v58, v0
	s_delay_alu instid0(VALU_DEP_1)
	s_and_saveexec_b32 s26, s24
	s_cbranch_execz .LBB948_1078
.LBB948_1063:                           ;   in Loop: Header=BB948_990 Depth=2
	ds_load_u16 v144, v83 offset:4096
	s_waitcnt lgkmcnt(0)
	v_and_b32_e32 v2, 0xffff, v144
	s_delay_alu instid0(VALU_DEP_1) | instskip(NEXT) | instid1(VALU_DEP_1)
	v_lshrrev_b32_e32 v2, s57, v2
	v_and_b32_e32 v2, s43, v2
	s_delay_alu instid0(VALU_DEP_1) | instskip(SKIP_3) | instid1(VALU_DEP_1)
	v_lshlrev_b32_e32 v2, 2, v2
	ds_load_b32 v2, v2
	s_waitcnt lgkmcnt(0)
	v_add_nc_u32_e32 v19, v2, v58
	v_lshlrev_b64 v[2:3], 1, v[19:20]
	v_xor_b32_e32 v19, 0x7fff, v144
	s_delay_alu instid0(VALU_DEP_2) | instskip(NEXT) | instid1(VALU_DEP_1)
	v_add_co_u32 v2, s25, s40, v2
	v_add_co_ci_u32_e64 v3, s25, s41, v3, s25
	global_store_b16 v[2:3], v19, off
	s_or_b32 exec_lo, exec_lo, s26
	v_cmp_lt_u32_e64 s25, v59, v0
	s_delay_alu instid0(VALU_DEP_1)
	s_and_saveexec_b32 s27, s25
	s_cbranch_execnz .LBB948_1079
.LBB948_1064:                           ;   in Loop: Header=BB948_990 Depth=2
	s_or_b32 exec_lo, exec_lo, s27
	v_cmp_lt_u32_e64 s26, v60, v0
	s_delay_alu instid0(VALU_DEP_1)
	s_and_saveexec_b32 s28, s26
	s_cbranch_execz .LBB948_1080
.LBB948_1065:                           ;   in Loop: Header=BB948_990 Depth=2
	ds_load_u16 v144, v83 offset:5120
	s_waitcnt lgkmcnt(0)
	v_and_b32_e32 v2, 0xffff, v144
	s_delay_alu instid0(VALU_DEP_1) | instskip(NEXT) | instid1(VALU_DEP_1)
	v_lshrrev_b32_e32 v2, s57, v2
	v_and_b32_e32 v2, s43, v2
	s_delay_alu instid0(VALU_DEP_1) | instskip(SKIP_3) | instid1(VALU_DEP_1)
	v_lshlrev_b32_e32 v2, 2, v2
	ds_load_b32 v2, v2
	s_waitcnt lgkmcnt(0)
	v_add_nc_u32_e32 v19, v2, v60
	v_lshlrev_b64 v[2:3], 1, v[19:20]
	v_xor_b32_e32 v19, 0x7fff, v144
	s_delay_alu instid0(VALU_DEP_2) | instskip(NEXT) | instid1(VALU_DEP_1)
	v_add_co_u32 v2, s27, s40, v2
	v_add_co_ci_u32_e64 v3, s27, s41, v3, s27
	global_store_b16 v[2:3], v19, off
	s_or_b32 exec_lo, exec_lo, s28
	v_cmp_lt_u32_e64 s27, v61, v0
	s_delay_alu instid0(VALU_DEP_1)
	s_and_saveexec_b32 s29, s27
	s_cbranch_execnz .LBB948_1081
.LBB948_1066:                           ;   in Loop: Header=BB948_990 Depth=2
	s_or_b32 exec_lo, exec_lo, s29
	v_cmp_lt_u32_e64 s28, v62, v0
	s_delay_alu instid0(VALU_DEP_1)
	s_and_saveexec_b32 s30, s28
	s_cbranch_execz .LBB948_1082
.LBB948_1067:                           ;   in Loop: Header=BB948_990 Depth=2
	ds_load_u16 v144, v83 offset:6144
	s_waitcnt lgkmcnt(0)
	v_and_b32_e32 v2, 0xffff, v144
	s_delay_alu instid0(VALU_DEP_1) | instskip(NEXT) | instid1(VALU_DEP_1)
	v_lshrrev_b32_e32 v2, s57, v2
	v_and_b32_e32 v2, s43, v2
	s_delay_alu instid0(VALU_DEP_1) | instskip(SKIP_3) | instid1(VALU_DEP_1)
	v_lshlrev_b32_e32 v2, 2, v2
	ds_load_b32 v2, v2
	s_waitcnt lgkmcnt(0)
	v_add_nc_u32_e32 v19, v2, v62
	v_lshlrev_b64 v[2:3], 1, v[19:20]
	v_xor_b32_e32 v19, 0x7fff, v144
	s_delay_alu instid0(VALU_DEP_2) | instskip(NEXT) | instid1(VALU_DEP_1)
	v_add_co_u32 v2, s29, s40, v2
	v_add_co_ci_u32_e64 v3, s29, s41, v3, s29
	global_store_b16 v[2:3], v19, off
	s_or_b32 exec_lo, exec_lo, s30
	v_cmp_lt_u32_e64 s29, v63, v0
	s_delay_alu instid0(VALU_DEP_1)
	s_and_saveexec_b32 s31, s29
	s_cbranch_execnz .LBB948_1083
.LBB948_1068:                           ;   in Loop: Header=BB948_990 Depth=2
	s_or_b32 exec_lo, exec_lo, s31
	v_cmp_lt_u32_e64 s30, v64, v0
	s_delay_alu instid0(VALU_DEP_1)
	s_and_saveexec_b32 s33, s30
	s_cbranch_execz .LBB948_1084
.LBB948_1069:                           ;   in Loop: Header=BB948_990 Depth=2
	ds_load_u16 v144, v83 offset:7168
	s_waitcnt lgkmcnt(0)
	v_and_b32_e32 v2, 0xffff, v144
	s_delay_alu instid0(VALU_DEP_1) | instskip(NEXT) | instid1(VALU_DEP_1)
	v_lshrrev_b32_e32 v2, s57, v2
	v_and_b32_e32 v2, s43, v2
	s_delay_alu instid0(VALU_DEP_1) | instskip(SKIP_3) | instid1(VALU_DEP_1)
	v_lshlrev_b32_e32 v2, 2, v2
	ds_load_b32 v2, v2
	s_waitcnt lgkmcnt(0)
	v_add_nc_u32_e32 v19, v2, v64
	v_lshlrev_b64 v[2:3], 1, v[19:20]
	v_xor_b32_e32 v19, 0x7fff, v144
	s_delay_alu instid0(VALU_DEP_2) | instskip(NEXT) | instid1(VALU_DEP_1)
	v_add_co_u32 v2, s31, s40, v2
	v_add_co_ci_u32_e64 v3, s31, s41, v3, s31
	global_store_b16 v[2:3], v19, off
	s_or_b32 exec_lo, exec_lo, s33
	v_cmp_lt_u32_e64 s31, v66, v0
	s_delay_alu instid0(VALU_DEP_1)
	s_and_saveexec_b32 s45, s31
	s_cbranch_execnz .LBB948_1085
	s_branch .LBB948_1086
.LBB948_1070:                           ;   in Loop: Header=BB948_990 Depth=2
	s_or_b32 exec_lo, exec_lo, s18
	v_cmp_lt_u32_e64 s17, v48, v0
	s_delay_alu instid0(VALU_DEP_1)
	s_and_saveexec_b32 s19, s17
	s_cbranch_execz .LBB948_1056
.LBB948_1071:                           ;   in Loop: Header=BB948_990 Depth=2
	ds_load_u16 v144, v83 offset:512
	s_waitcnt lgkmcnt(0)
	v_and_b32_e32 v2, 0xffff, v144
	s_delay_alu instid0(VALU_DEP_1) | instskip(NEXT) | instid1(VALU_DEP_1)
	v_lshrrev_b32_e32 v2, s57, v2
	v_and_b32_e32 v2, s43, v2
	s_delay_alu instid0(VALU_DEP_1) | instskip(SKIP_3) | instid1(VALU_DEP_1)
	v_lshlrev_b32_e32 v2, 2, v2
	ds_load_b32 v2, v2
	s_waitcnt lgkmcnt(0)
	v_add_nc_u32_e32 v19, v2, v48
	v_lshlrev_b64 v[2:3], 1, v[19:20]
	v_xor_b32_e32 v19, 0x7fff, v144
	s_delay_alu instid0(VALU_DEP_2) | instskip(NEXT) | instid1(VALU_DEP_1)
	v_add_co_u32 v2, s18, s40, v2
	v_add_co_ci_u32_e64 v3, s18, s41, v3, s18
	global_store_b16 v[2:3], v19, off
	s_or_b32 exec_lo, exec_lo, s19
	v_cmp_lt_u32_e64 s18, v49, v0
	s_delay_alu instid0(VALU_DEP_1)
	s_and_saveexec_b32 s20, s18
	s_cbranch_execnz .LBB948_1057
.LBB948_1072:                           ;   in Loop: Header=BB948_990 Depth=2
	s_or_b32 exec_lo, exec_lo, s20
	v_cmp_lt_u32_e64 s19, v50, v0
	s_delay_alu instid0(VALU_DEP_1)
	s_and_saveexec_b32 s21, s19
	s_cbranch_execz .LBB948_1058
.LBB948_1073:                           ;   in Loop: Header=BB948_990 Depth=2
	ds_load_u16 v144, v83 offset:1536
	s_waitcnt lgkmcnt(0)
	v_and_b32_e32 v2, 0xffff, v144
	s_delay_alu instid0(VALU_DEP_1) | instskip(NEXT) | instid1(VALU_DEP_1)
	v_lshrrev_b32_e32 v2, s57, v2
	v_and_b32_e32 v2, s43, v2
	s_delay_alu instid0(VALU_DEP_1) | instskip(SKIP_3) | instid1(VALU_DEP_1)
	v_lshlrev_b32_e32 v2, 2, v2
	ds_load_b32 v2, v2
	s_waitcnt lgkmcnt(0)
	v_add_nc_u32_e32 v19, v2, v50
	v_lshlrev_b64 v[2:3], 1, v[19:20]
	v_xor_b32_e32 v19, 0x7fff, v144
	s_delay_alu instid0(VALU_DEP_2) | instskip(NEXT) | instid1(VALU_DEP_1)
	v_add_co_u32 v2, s20, s40, v2
	v_add_co_ci_u32_e64 v3, s20, s41, v3, s20
	global_store_b16 v[2:3], v19, off
	s_or_b32 exec_lo, exec_lo, s21
	v_cmp_lt_u32_e64 s20, v54, v0
	s_delay_alu instid0(VALU_DEP_1)
	s_and_saveexec_b32 s22, s20
	s_cbranch_execnz .LBB948_1059
.LBB948_1074:                           ;   in Loop: Header=BB948_990 Depth=2
	s_or_b32 exec_lo, exec_lo, s22
	v_cmp_lt_u32_e64 s21, v55, v0
	s_delay_alu instid0(VALU_DEP_1)
	s_and_saveexec_b32 s23, s21
	s_cbranch_execz .LBB948_1060
.LBB948_1075:                           ;   in Loop: Header=BB948_990 Depth=2
	ds_load_u16 v144, v83 offset:2560
	s_waitcnt lgkmcnt(0)
	v_and_b32_e32 v2, 0xffff, v144
	s_delay_alu instid0(VALU_DEP_1) | instskip(NEXT) | instid1(VALU_DEP_1)
	v_lshrrev_b32_e32 v2, s57, v2
	v_and_b32_e32 v2, s43, v2
	s_delay_alu instid0(VALU_DEP_1) | instskip(SKIP_3) | instid1(VALU_DEP_1)
	v_lshlrev_b32_e32 v2, 2, v2
	ds_load_b32 v2, v2
	s_waitcnt lgkmcnt(0)
	v_add_nc_u32_e32 v19, v2, v55
	v_lshlrev_b64 v[2:3], 1, v[19:20]
	v_xor_b32_e32 v19, 0x7fff, v144
	s_delay_alu instid0(VALU_DEP_2) | instskip(NEXT) | instid1(VALU_DEP_1)
	v_add_co_u32 v2, s22, s40, v2
	v_add_co_ci_u32_e64 v3, s22, s41, v3, s22
	global_store_b16 v[2:3], v19, off
	s_or_b32 exec_lo, exec_lo, s23
	v_cmp_lt_u32_e64 s22, v56, v0
	s_delay_alu instid0(VALU_DEP_1)
	s_and_saveexec_b32 s24, s22
	s_cbranch_execnz .LBB948_1061
.LBB948_1076:                           ;   in Loop: Header=BB948_990 Depth=2
	s_or_b32 exec_lo, exec_lo, s24
	v_cmp_lt_u32_e64 s23, v57, v0
	s_delay_alu instid0(VALU_DEP_1)
	s_and_saveexec_b32 s25, s23
	s_cbranch_execz .LBB948_1062
.LBB948_1077:                           ;   in Loop: Header=BB948_990 Depth=2
	ds_load_u16 v144, v83 offset:3584
	s_waitcnt lgkmcnt(0)
	v_and_b32_e32 v2, 0xffff, v144
	s_delay_alu instid0(VALU_DEP_1) | instskip(NEXT) | instid1(VALU_DEP_1)
	v_lshrrev_b32_e32 v2, s57, v2
	v_and_b32_e32 v2, s43, v2
	s_delay_alu instid0(VALU_DEP_1) | instskip(SKIP_3) | instid1(VALU_DEP_1)
	v_lshlrev_b32_e32 v2, 2, v2
	ds_load_b32 v2, v2
	s_waitcnt lgkmcnt(0)
	v_add_nc_u32_e32 v19, v2, v57
	v_lshlrev_b64 v[2:3], 1, v[19:20]
	v_xor_b32_e32 v19, 0x7fff, v144
	s_delay_alu instid0(VALU_DEP_2) | instskip(NEXT) | instid1(VALU_DEP_1)
	v_add_co_u32 v2, s24, s40, v2
	v_add_co_ci_u32_e64 v3, s24, s41, v3, s24
	global_store_b16 v[2:3], v19, off
	s_or_b32 exec_lo, exec_lo, s25
	v_cmp_lt_u32_e64 s24, v58, v0
	s_delay_alu instid0(VALU_DEP_1)
	s_and_saveexec_b32 s26, s24
	s_cbranch_execnz .LBB948_1063
.LBB948_1078:                           ;   in Loop: Header=BB948_990 Depth=2
	s_or_b32 exec_lo, exec_lo, s26
	v_cmp_lt_u32_e64 s25, v59, v0
	s_delay_alu instid0(VALU_DEP_1)
	s_and_saveexec_b32 s27, s25
	s_cbranch_execz .LBB948_1064
.LBB948_1079:                           ;   in Loop: Header=BB948_990 Depth=2
	ds_load_u16 v144, v83 offset:4608
	s_waitcnt lgkmcnt(0)
	v_and_b32_e32 v2, 0xffff, v144
	s_delay_alu instid0(VALU_DEP_1) | instskip(NEXT) | instid1(VALU_DEP_1)
	v_lshrrev_b32_e32 v2, s57, v2
	v_and_b32_e32 v2, s43, v2
	s_delay_alu instid0(VALU_DEP_1) | instskip(SKIP_3) | instid1(VALU_DEP_1)
	v_lshlrev_b32_e32 v2, 2, v2
	ds_load_b32 v2, v2
	s_waitcnt lgkmcnt(0)
	v_add_nc_u32_e32 v19, v2, v59
	v_lshlrev_b64 v[2:3], 1, v[19:20]
	v_xor_b32_e32 v19, 0x7fff, v144
	s_delay_alu instid0(VALU_DEP_2) | instskip(NEXT) | instid1(VALU_DEP_1)
	v_add_co_u32 v2, s26, s40, v2
	v_add_co_ci_u32_e64 v3, s26, s41, v3, s26
	global_store_b16 v[2:3], v19, off
	s_or_b32 exec_lo, exec_lo, s27
	v_cmp_lt_u32_e64 s26, v60, v0
	s_delay_alu instid0(VALU_DEP_1)
	s_and_saveexec_b32 s28, s26
	s_cbranch_execnz .LBB948_1065
.LBB948_1080:                           ;   in Loop: Header=BB948_990 Depth=2
	s_or_b32 exec_lo, exec_lo, s28
	v_cmp_lt_u32_e64 s27, v61, v0
	s_delay_alu instid0(VALU_DEP_1)
	s_and_saveexec_b32 s29, s27
	s_cbranch_execz .LBB948_1066
.LBB948_1081:                           ;   in Loop: Header=BB948_990 Depth=2
	ds_load_u16 v144, v83 offset:5632
	s_waitcnt lgkmcnt(0)
	v_and_b32_e32 v2, 0xffff, v144
	s_delay_alu instid0(VALU_DEP_1) | instskip(NEXT) | instid1(VALU_DEP_1)
	v_lshrrev_b32_e32 v2, s57, v2
	v_and_b32_e32 v2, s43, v2
	s_delay_alu instid0(VALU_DEP_1) | instskip(SKIP_3) | instid1(VALU_DEP_1)
	v_lshlrev_b32_e32 v2, 2, v2
	ds_load_b32 v2, v2
	s_waitcnt lgkmcnt(0)
	v_add_nc_u32_e32 v19, v2, v61
	v_lshlrev_b64 v[2:3], 1, v[19:20]
	v_xor_b32_e32 v19, 0x7fff, v144
	s_delay_alu instid0(VALU_DEP_2) | instskip(NEXT) | instid1(VALU_DEP_1)
	v_add_co_u32 v2, s28, s40, v2
	v_add_co_ci_u32_e64 v3, s28, s41, v3, s28
	global_store_b16 v[2:3], v19, off
	s_or_b32 exec_lo, exec_lo, s29
	v_cmp_lt_u32_e64 s28, v62, v0
	s_delay_alu instid0(VALU_DEP_1)
	s_and_saveexec_b32 s30, s28
	s_cbranch_execnz .LBB948_1067
.LBB948_1082:                           ;   in Loop: Header=BB948_990 Depth=2
	s_or_b32 exec_lo, exec_lo, s30
	v_cmp_lt_u32_e64 s29, v63, v0
	s_delay_alu instid0(VALU_DEP_1)
	s_and_saveexec_b32 s31, s29
	s_cbranch_execz .LBB948_1068
.LBB948_1083:                           ;   in Loop: Header=BB948_990 Depth=2
	ds_load_u16 v144, v83 offset:6656
	s_waitcnt lgkmcnt(0)
	v_and_b32_e32 v2, 0xffff, v144
	s_delay_alu instid0(VALU_DEP_1) | instskip(NEXT) | instid1(VALU_DEP_1)
	v_lshrrev_b32_e32 v2, s57, v2
	v_and_b32_e32 v2, s43, v2
	s_delay_alu instid0(VALU_DEP_1) | instskip(SKIP_3) | instid1(VALU_DEP_1)
	v_lshlrev_b32_e32 v2, 2, v2
	ds_load_b32 v2, v2
	s_waitcnt lgkmcnt(0)
	v_add_nc_u32_e32 v19, v2, v63
	v_lshlrev_b64 v[2:3], 1, v[19:20]
	v_xor_b32_e32 v19, 0x7fff, v144
	s_delay_alu instid0(VALU_DEP_2) | instskip(NEXT) | instid1(VALU_DEP_1)
	v_add_co_u32 v2, s30, s40, v2
	v_add_co_ci_u32_e64 v3, s30, s41, v3, s30
	global_store_b16 v[2:3], v19, off
	s_or_b32 exec_lo, exec_lo, s31
	v_cmp_lt_u32_e64 s30, v64, v0
	s_delay_alu instid0(VALU_DEP_1)
	s_and_saveexec_b32 s33, s30
	s_cbranch_execnz .LBB948_1069
.LBB948_1084:                           ;   in Loop: Header=BB948_990 Depth=2
	s_or_b32 exec_lo, exec_lo, s33
	v_cmp_lt_u32_e64 s31, v66, v0
	s_delay_alu instid0(VALU_DEP_1)
	s_and_saveexec_b32 s45, s31
	s_cbranch_execz .LBB948_1086
.LBB948_1085:                           ;   in Loop: Header=BB948_990 Depth=2
	ds_load_u16 v144, v83 offset:7680
	s_waitcnt lgkmcnt(0)
	v_and_b32_e32 v2, 0xffff, v144
	s_delay_alu instid0(VALU_DEP_1) | instskip(NEXT) | instid1(VALU_DEP_1)
	v_lshrrev_b32_e32 v2, s57, v2
	v_and_b32_e32 v2, s43, v2
	s_delay_alu instid0(VALU_DEP_1) | instskip(SKIP_3) | instid1(VALU_DEP_1)
	v_lshlrev_b32_e32 v2, 2, v2
	ds_load_b32 v2, v2
	s_waitcnt lgkmcnt(0)
	v_add_nc_u32_e32 v19, v2, v66
	v_lshlrev_b64 v[2:3], 1, v[19:20]
	v_xor_b32_e32 v19, 0x7fff, v144
	s_delay_alu instid0(VALU_DEP_2) | instskip(NEXT) | instid1(VALU_DEP_1)
	v_add_co_u32 v2, s33, s40, v2
	v_add_co_ci_u32_e64 v3, s33, s41, v3, s33
	global_store_b16 v[2:3], v19, off
.LBB948_1086:                           ;   in Loop: Header=BB948_990 Depth=2
	s_or_b32 exec_lo, exec_lo, s45
	s_lshl_b64 s[46:47], s[34:35], 3
	s_delay_alu instid0(SALU_CYCLE_1) | instskip(NEXT) | instid1(VALU_DEP_1)
	v_add_co_u32 v2, s33, v103, s46
	v_add_co_ci_u32_e64 v3, s33, s47, v104, s33
	v_cmp_lt_u32_e64 s33, v102, v0
	s_delay_alu instid0(VALU_DEP_1) | instskip(NEXT) | instid1(SALU_CYCLE_1)
	s_and_saveexec_b32 s34, s33
	s_xor_b32 s33, exec_lo, s34
	s_cbranch_execz .LBB948_1118
; %bb.1087:                             ;   in Loop: Header=BB948_990 Depth=2
	global_load_b64 v[43:44], v[2:3], off
	s_or_b32 exec_lo, exec_lo, s33
	s_delay_alu instid0(SALU_CYCLE_1)
	s_mov_b32 s34, exec_lo
	v_cmpx_lt_u32_e64 v105, v0
	s_cbranch_execnz .LBB948_1119
.LBB948_1088:                           ;   in Loop: Header=BB948_990 Depth=2
	s_or_b32 exec_lo, exec_lo, s34
	s_delay_alu instid0(SALU_CYCLE_1)
	s_mov_b32 s34, exec_lo
	v_cmpx_lt_u32_e64 v106, v0
	s_cbranch_execz .LBB948_1120
.LBB948_1089:                           ;   in Loop: Header=BB948_990 Depth=2
	global_load_b64 v[39:40], v[2:3], off offset:512
	s_or_b32 exec_lo, exec_lo, s34
	s_delay_alu instid0(SALU_CYCLE_1)
	s_mov_b32 s34, exec_lo
	v_cmpx_lt_u32_e64 v107, v0
	s_cbranch_execnz .LBB948_1121
.LBB948_1090:                           ;   in Loop: Header=BB948_990 Depth=2
	s_or_b32 exec_lo, exec_lo, s34
	s_delay_alu instid0(SALU_CYCLE_1)
	s_mov_b32 s34, exec_lo
	v_cmpx_lt_u32_e64 v108, v0
	s_cbranch_execz .LBB948_1122
.LBB948_1091:                           ;   in Loop: Header=BB948_990 Depth=2
	global_load_b64 v[35:36], v[2:3], off offset:1024
	s_or_b32 exec_lo, exec_lo, s34
	s_delay_alu instid0(SALU_CYCLE_1)
	s_mov_b32 s34, exec_lo
	v_cmpx_lt_u32_e64 v109, v0
	s_cbranch_execnz .LBB948_1123
.LBB948_1092:                           ;   in Loop: Header=BB948_990 Depth=2
	s_or_b32 exec_lo, exec_lo, s34
	s_delay_alu instid0(SALU_CYCLE_1)
	s_mov_b32 s34, exec_lo
	v_cmpx_lt_u32_e64 v110, v0
	s_cbranch_execz .LBB948_1124
.LBB948_1093:                           ;   in Loop: Header=BB948_990 Depth=2
	global_load_b64 v[31:32], v[2:3], off offset:1536
	s_or_b32 exec_lo, exec_lo, s34
	s_delay_alu instid0(SALU_CYCLE_1)
	s_mov_b32 s34, exec_lo
	v_cmpx_lt_u32_e64 v111, v0
	s_cbranch_execnz .LBB948_1125
.LBB948_1094:                           ;   in Loop: Header=BB948_990 Depth=2
	s_or_b32 exec_lo, exec_lo, s34
	s_delay_alu instid0(SALU_CYCLE_1)
	s_mov_b32 s34, exec_lo
	v_cmpx_lt_u32_e64 v112, v0
	s_cbranch_execz .LBB948_1126
.LBB948_1095:                           ;   in Loop: Header=BB948_990 Depth=2
	global_load_b64 v[27:28], v[2:3], off offset:2048
	s_or_b32 exec_lo, exec_lo, s34
	s_delay_alu instid0(SALU_CYCLE_1)
	s_mov_b32 s34, exec_lo
	v_cmpx_lt_u32_e64 v113, v0
	s_cbranch_execnz .LBB948_1127
.LBB948_1096:                           ;   in Loop: Header=BB948_990 Depth=2
	s_or_b32 exec_lo, exec_lo, s34
	s_delay_alu instid0(SALU_CYCLE_1)
	s_mov_b32 s34, exec_lo
	v_cmpx_lt_u32_e64 v114, v0
	s_cbranch_execz .LBB948_1128
.LBB948_1097:                           ;   in Loop: Header=BB948_990 Depth=2
	global_load_b64 v[23:24], v[2:3], off offset:2560
	s_or_b32 exec_lo, exec_lo, s34
	s_delay_alu instid0(SALU_CYCLE_1)
	s_mov_b32 s34, exec_lo
	v_cmpx_lt_u32_e64 v115, v0
	s_cbranch_execnz .LBB948_1129
.LBB948_1098:                           ;   in Loop: Header=BB948_990 Depth=2
	s_or_b32 exec_lo, exec_lo, s34
	s_delay_alu instid0(SALU_CYCLE_1)
	s_mov_b32 s34, exec_lo
	v_cmpx_lt_u32_e64 v116, v0
	s_cbranch_execz .LBB948_1130
.LBB948_1099:                           ;   in Loop: Header=BB948_990 Depth=2
	global_load_b64 v[16:17], v[2:3], off offset:3072
	s_or_b32 exec_lo, exec_lo, s34
	s_delay_alu instid0(SALU_CYCLE_1)
	s_mov_b32 s34, exec_lo
	v_cmpx_lt_u32_e64 v117, v0
	s_cbranch_execnz .LBB948_1131
.LBB948_1100:                           ;   in Loop: Header=BB948_990 Depth=2
	s_or_b32 exec_lo, exec_lo, s34
	s_delay_alu instid0(SALU_CYCLE_1)
	s_mov_b32 s34, exec_lo
	v_cmpx_lt_u32_e64 v118, v0
	s_cbranch_execz .LBB948_1132
.LBB948_1101:                           ;   in Loop: Header=BB948_990 Depth=2
	global_load_b64 v[12:13], v[2:3], off offset:3584
	s_or_b32 exec_lo, exec_lo, s34
	s_delay_alu instid0(SALU_CYCLE_1)
	s_mov_b32 s34, exec_lo
	v_cmpx_lt_u32_e64 v119, v0
	s_cbranch_execnz .LBB948_1133
.LBB948_1102:                           ;   in Loop: Header=BB948_990 Depth=2
	s_or_b32 exec_lo, exec_lo, s34
	s_and_saveexec_b32 s33, vcc_lo
	s_cbranch_execz .LBB948_1134
.LBB948_1103:                           ;   in Loop: Header=BB948_990 Depth=2
	ds_load_u16 v0, v142 offset:1024
	s_waitcnt lgkmcnt(0)
	v_lshrrev_b32_e32 v0, s57, v0
	s_delay_alu instid0(VALU_DEP_1)
	v_and_b32_e32 v140, s43, v0
	s_or_b32 exec_lo, exec_lo, s33
	s_and_saveexec_b32 s33, s17
	s_cbranch_execnz .LBB948_1135
.LBB948_1104:                           ;   in Loop: Header=BB948_990 Depth=2
	s_or_b32 exec_lo, exec_lo, s33
	s_and_saveexec_b32 s33, s18
	s_cbranch_execz .LBB948_1136
.LBB948_1105:                           ;   in Loop: Header=BB948_990 Depth=2
	ds_load_u16 v0, v83 offset:1024
	s_waitcnt lgkmcnt(0)
	v_lshrrev_b32_e32 v0, s57, v0
	s_delay_alu instid0(VALU_DEP_1)
	v_and_b32_e32 v138, s43, v0
	s_or_b32 exec_lo, exec_lo, s33
	s_and_saveexec_b32 s33, s19
	s_cbranch_execnz .LBB948_1137
.LBB948_1106:                           ;   in Loop: Header=BB948_990 Depth=2
	s_or_b32 exec_lo, exec_lo, s33
	s_and_saveexec_b32 s33, s20
	s_cbranch_execz .LBB948_1138
.LBB948_1107:                           ;   in Loop: Header=BB948_990 Depth=2
	ds_load_u16 v0, v83 offset:2048
	s_waitcnt lgkmcnt(0)
	v_lshrrev_b32_e32 v0, s57, v0
	s_delay_alu instid0(VALU_DEP_1)
	v_and_b32_e32 v136, s43, v0
	s_or_b32 exec_lo, exec_lo, s33
	s_and_saveexec_b32 s33, s21
	s_cbranch_execnz .LBB948_1139
.LBB948_1108:                           ;   in Loop: Header=BB948_990 Depth=2
	s_or_b32 exec_lo, exec_lo, s33
	s_and_saveexec_b32 s33, s22
	s_cbranch_execz .LBB948_1140
.LBB948_1109:                           ;   in Loop: Header=BB948_990 Depth=2
	ds_load_u16 v0, v83 offset:3072
	s_waitcnt lgkmcnt(0)
	v_lshrrev_b32_e32 v0, s57, v0
	s_delay_alu instid0(VALU_DEP_1)
	v_and_b32_e32 v134, s43, v0
	s_or_b32 exec_lo, exec_lo, s33
	s_and_saveexec_b32 s33, s23
	s_cbranch_execnz .LBB948_1141
.LBB948_1110:                           ;   in Loop: Header=BB948_990 Depth=2
	s_or_b32 exec_lo, exec_lo, s33
	s_and_saveexec_b32 s33, s24
	s_cbranch_execz .LBB948_1142
.LBB948_1111:                           ;   in Loop: Header=BB948_990 Depth=2
	ds_load_u16 v0, v83 offset:4096
	s_waitcnt lgkmcnt(0)
	v_lshrrev_b32_e32 v0, s57, v0
	s_delay_alu instid0(VALU_DEP_1)
	v_and_b32_e32 v132, s43, v0
	s_or_b32 exec_lo, exec_lo, s33
	s_and_saveexec_b32 s33, s25
	s_cbranch_execnz .LBB948_1143
.LBB948_1112:                           ;   in Loop: Header=BB948_990 Depth=2
	s_or_b32 exec_lo, exec_lo, s33
	s_and_saveexec_b32 s33, s26
	s_cbranch_execz .LBB948_1144
.LBB948_1113:                           ;   in Loop: Header=BB948_990 Depth=2
	ds_load_u16 v0, v83 offset:5120
	s_waitcnt lgkmcnt(0)
	v_lshrrev_b32_e32 v0, s57, v0
	s_delay_alu instid0(VALU_DEP_1)
	v_and_b32_e32 v130, s43, v0
	s_or_b32 exec_lo, exec_lo, s33
	s_and_saveexec_b32 s33, s27
	s_cbranch_execnz .LBB948_1145
.LBB948_1114:                           ;   in Loop: Header=BB948_990 Depth=2
	s_or_b32 exec_lo, exec_lo, s33
	s_and_saveexec_b32 s33, s28
	s_cbranch_execz .LBB948_1146
.LBB948_1115:                           ;   in Loop: Header=BB948_990 Depth=2
	ds_load_u16 v0, v83 offset:6144
	s_waitcnt lgkmcnt(0)
	v_lshrrev_b32_e32 v0, s57, v0
	s_delay_alu instid0(VALU_DEP_1)
	v_and_b32_e32 v128, s43, v0
	s_or_b32 exec_lo, exec_lo, s33
	s_and_saveexec_b32 s33, s29
	s_cbranch_execnz .LBB948_1147
.LBB948_1116:                           ;   in Loop: Header=BB948_990 Depth=2
	s_or_b32 exec_lo, exec_lo, s33
	s_and_saveexec_b32 s33, s30
	s_cbranch_execz .LBB948_1148
.LBB948_1117:                           ;   in Loop: Header=BB948_990 Depth=2
	ds_load_u16 v0, v83 offset:7168
	s_waitcnt lgkmcnt(0)
	v_lshrrev_b32_e32 v0, s57, v0
	s_delay_alu instid0(VALU_DEP_1)
	v_and_b32_e32 v126, s43, v0
	s_or_b32 exec_lo, exec_lo, s33
	s_and_saveexec_b32 s33, s31
	s_cbranch_execnz .LBB948_1149
	s_branch .LBB948_1150
.LBB948_1118:                           ;   in Loop: Header=BB948_990 Depth=2
	s_or_b32 exec_lo, exec_lo, s33
	s_delay_alu instid0(SALU_CYCLE_1)
	s_mov_b32 s34, exec_lo
	v_cmpx_lt_u32_e64 v105, v0
	s_cbranch_execz .LBB948_1088
.LBB948_1119:                           ;   in Loop: Header=BB948_990 Depth=2
	global_load_b64 v[41:42], v[2:3], off offset:256
	s_or_b32 exec_lo, exec_lo, s34
	s_delay_alu instid0(SALU_CYCLE_1)
	s_mov_b32 s34, exec_lo
	v_cmpx_lt_u32_e64 v106, v0
	s_cbranch_execnz .LBB948_1089
.LBB948_1120:                           ;   in Loop: Header=BB948_990 Depth=2
	s_or_b32 exec_lo, exec_lo, s34
	s_delay_alu instid0(SALU_CYCLE_1)
	s_mov_b32 s34, exec_lo
	v_cmpx_lt_u32_e64 v107, v0
	s_cbranch_execz .LBB948_1090
.LBB948_1121:                           ;   in Loop: Header=BB948_990 Depth=2
	global_load_b64 v[37:38], v[2:3], off offset:768
	s_or_b32 exec_lo, exec_lo, s34
	s_delay_alu instid0(SALU_CYCLE_1)
	s_mov_b32 s34, exec_lo
	v_cmpx_lt_u32_e64 v108, v0
	s_cbranch_execnz .LBB948_1091
.LBB948_1122:                           ;   in Loop: Header=BB948_990 Depth=2
	s_or_b32 exec_lo, exec_lo, s34
	s_delay_alu instid0(SALU_CYCLE_1)
	s_mov_b32 s34, exec_lo
	v_cmpx_lt_u32_e64 v109, v0
	s_cbranch_execz .LBB948_1092
.LBB948_1123:                           ;   in Loop: Header=BB948_990 Depth=2
	global_load_b64 v[33:34], v[2:3], off offset:1280
	s_or_b32 exec_lo, exec_lo, s34
	s_delay_alu instid0(SALU_CYCLE_1)
	s_mov_b32 s34, exec_lo
	v_cmpx_lt_u32_e64 v110, v0
	s_cbranch_execnz .LBB948_1093
.LBB948_1124:                           ;   in Loop: Header=BB948_990 Depth=2
	s_or_b32 exec_lo, exec_lo, s34
	s_delay_alu instid0(SALU_CYCLE_1)
	s_mov_b32 s34, exec_lo
	v_cmpx_lt_u32_e64 v111, v0
	s_cbranch_execz .LBB948_1094
.LBB948_1125:                           ;   in Loop: Header=BB948_990 Depth=2
	global_load_b64 v[29:30], v[2:3], off offset:1792
	s_or_b32 exec_lo, exec_lo, s34
	s_delay_alu instid0(SALU_CYCLE_1)
	s_mov_b32 s34, exec_lo
	v_cmpx_lt_u32_e64 v112, v0
	s_cbranch_execnz .LBB948_1095
.LBB948_1126:                           ;   in Loop: Header=BB948_990 Depth=2
	s_or_b32 exec_lo, exec_lo, s34
	s_delay_alu instid0(SALU_CYCLE_1)
	s_mov_b32 s34, exec_lo
	v_cmpx_lt_u32_e64 v113, v0
	s_cbranch_execz .LBB948_1096
.LBB948_1127:                           ;   in Loop: Header=BB948_990 Depth=2
	global_load_b64 v[25:26], v[2:3], off offset:2304
	s_or_b32 exec_lo, exec_lo, s34
	s_delay_alu instid0(SALU_CYCLE_1)
	s_mov_b32 s34, exec_lo
	v_cmpx_lt_u32_e64 v114, v0
	s_cbranch_execnz .LBB948_1097
.LBB948_1128:                           ;   in Loop: Header=BB948_990 Depth=2
	s_or_b32 exec_lo, exec_lo, s34
	s_delay_alu instid0(SALU_CYCLE_1)
	s_mov_b32 s34, exec_lo
	v_cmpx_lt_u32_e64 v115, v0
	s_cbranch_execz .LBB948_1098
.LBB948_1129:                           ;   in Loop: Header=BB948_990 Depth=2
	global_load_b64 v[21:22], v[2:3], off offset:2816
	s_or_b32 exec_lo, exec_lo, s34
	s_delay_alu instid0(SALU_CYCLE_1)
	s_mov_b32 s34, exec_lo
	v_cmpx_lt_u32_e64 v116, v0
	s_cbranch_execnz .LBB948_1099
.LBB948_1130:                           ;   in Loop: Header=BB948_990 Depth=2
	s_or_b32 exec_lo, exec_lo, s34
	s_delay_alu instid0(SALU_CYCLE_1)
	s_mov_b32 s34, exec_lo
	v_cmpx_lt_u32_e64 v117, v0
	s_cbranch_execz .LBB948_1100
.LBB948_1131:                           ;   in Loop: Header=BB948_990 Depth=2
	global_load_b64 v[14:15], v[2:3], off offset:3328
	s_or_b32 exec_lo, exec_lo, s34
	s_delay_alu instid0(SALU_CYCLE_1)
	s_mov_b32 s34, exec_lo
	v_cmpx_lt_u32_e64 v118, v0
	s_cbranch_execnz .LBB948_1101
.LBB948_1132:                           ;   in Loop: Header=BB948_990 Depth=2
	s_or_b32 exec_lo, exec_lo, s34
	s_delay_alu instid0(SALU_CYCLE_1)
	s_mov_b32 s34, exec_lo
	v_cmpx_lt_u32_e64 v119, v0
	s_cbranch_execz .LBB948_1102
.LBB948_1133:                           ;   in Loop: Header=BB948_990 Depth=2
	global_load_b64 v[10:11], v[2:3], off offset:3840
	s_or_b32 exec_lo, exec_lo, s34
	s_and_saveexec_b32 s33, vcc_lo
	s_cbranch_execnz .LBB948_1103
.LBB948_1134:                           ;   in Loop: Header=BB948_990 Depth=2
	s_or_b32 exec_lo, exec_lo, s33
	s_and_saveexec_b32 s33, s17
	s_cbranch_execz .LBB948_1104
.LBB948_1135:                           ;   in Loop: Header=BB948_990 Depth=2
	ds_load_u16 v0, v83 offset:512
	s_waitcnt lgkmcnt(0)
	v_lshrrev_b32_e32 v0, s57, v0
	s_delay_alu instid0(VALU_DEP_1)
	v_and_b32_e32 v139, s43, v0
	s_or_b32 exec_lo, exec_lo, s33
	s_and_saveexec_b32 s33, s18
	s_cbranch_execnz .LBB948_1105
.LBB948_1136:                           ;   in Loop: Header=BB948_990 Depth=2
	s_or_b32 exec_lo, exec_lo, s33
	s_and_saveexec_b32 s33, s19
	s_cbranch_execz .LBB948_1106
.LBB948_1137:                           ;   in Loop: Header=BB948_990 Depth=2
	ds_load_u16 v0, v83 offset:1536
	s_waitcnt lgkmcnt(0)
	v_lshrrev_b32_e32 v0, s57, v0
	s_delay_alu instid0(VALU_DEP_1)
	v_and_b32_e32 v137, s43, v0
	s_or_b32 exec_lo, exec_lo, s33
	s_and_saveexec_b32 s33, s20
	s_cbranch_execnz .LBB948_1107
.LBB948_1138:                           ;   in Loop: Header=BB948_990 Depth=2
	s_or_b32 exec_lo, exec_lo, s33
	s_and_saveexec_b32 s33, s21
	s_cbranch_execz .LBB948_1108
.LBB948_1139:                           ;   in Loop: Header=BB948_990 Depth=2
	ds_load_u16 v0, v83 offset:2560
	s_waitcnt lgkmcnt(0)
	v_lshrrev_b32_e32 v0, s57, v0
	s_delay_alu instid0(VALU_DEP_1)
	v_and_b32_e32 v135, s43, v0
	s_or_b32 exec_lo, exec_lo, s33
	s_and_saveexec_b32 s33, s22
	s_cbranch_execnz .LBB948_1109
.LBB948_1140:                           ;   in Loop: Header=BB948_990 Depth=2
	s_or_b32 exec_lo, exec_lo, s33
	s_and_saveexec_b32 s33, s23
	s_cbranch_execz .LBB948_1110
.LBB948_1141:                           ;   in Loop: Header=BB948_990 Depth=2
	ds_load_u16 v0, v83 offset:3584
	s_waitcnt lgkmcnt(0)
	v_lshrrev_b32_e32 v0, s57, v0
	s_delay_alu instid0(VALU_DEP_1)
	v_and_b32_e32 v133, s43, v0
	s_or_b32 exec_lo, exec_lo, s33
	s_and_saveexec_b32 s33, s24
	s_cbranch_execnz .LBB948_1111
.LBB948_1142:                           ;   in Loop: Header=BB948_990 Depth=2
	s_or_b32 exec_lo, exec_lo, s33
	s_and_saveexec_b32 s33, s25
	s_cbranch_execz .LBB948_1112
.LBB948_1143:                           ;   in Loop: Header=BB948_990 Depth=2
	ds_load_u16 v0, v83 offset:4608
	s_waitcnt lgkmcnt(0)
	v_lshrrev_b32_e32 v0, s57, v0
	s_delay_alu instid0(VALU_DEP_1)
	v_and_b32_e32 v131, s43, v0
	s_or_b32 exec_lo, exec_lo, s33
	s_and_saveexec_b32 s33, s26
	s_cbranch_execnz .LBB948_1113
.LBB948_1144:                           ;   in Loop: Header=BB948_990 Depth=2
	s_or_b32 exec_lo, exec_lo, s33
	s_and_saveexec_b32 s33, s27
	s_cbranch_execz .LBB948_1114
.LBB948_1145:                           ;   in Loop: Header=BB948_990 Depth=2
	ds_load_u16 v0, v83 offset:5632
	s_waitcnt lgkmcnt(0)
	v_lshrrev_b32_e32 v0, s57, v0
	s_delay_alu instid0(VALU_DEP_1)
	v_and_b32_e32 v129, s43, v0
	s_or_b32 exec_lo, exec_lo, s33
	s_and_saveexec_b32 s33, s28
	s_cbranch_execnz .LBB948_1115
.LBB948_1146:                           ;   in Loop: Header=BB948_990 Depth=2
	s_or_b32 exec_lo, exec_lo, s33
	s_and_saveexec_b32 s33, s29
	s_cbranch_execz .LBB948_1116
.LBB948_1147:                           ;   in Loop: Header=BB948_990 Depth=2
	ds_load_u16 v0, v83 offset:6656
	s_waitcnt lgkmcnt(0)
	v_lshrrev_b32_e32 v0, s57, v0
	s_delay_alu instid0(VALU_DEP_1)
	v_and_b32_e32 v127, s43, v0
	s_or_b32 exec_lo, exec_lo, s33
	s_and_saveexec_b32 s33, s30
	s_cbranch_execnz .LBB948_1117
.LBB948_1148:                           ;   in Loop: Header=BB948_990 Depth=2
	s_or_b32 exec_lo, exec_lo, s33
	s_and_saveexec_b32 s33, s31
	s_cbranch_execz .LBB948_1150
.LBB948_1149:                           ;   in Loop: Header=BB948_990 Depth=2
	ds_load_u16 v0, v83 offset:7680
	s_waitcnt lgkmcnt(0)
	v_lshrrev_b32_e32 v0, s57, v0
	s_delay_alu instid0(VALU_DEP_1)
	v_and_b32_e32 v125, s43, v0
.LBB948_1150:                           ;   in Loop: Header=BB948_990 Depth=2
	s_or_b32 exec_lo, exec_lo, s33
	v_lshlrev_b32_e32 v0, 3, v159
	v_lshlrev_b32_e32 v2, 3, v155
	s_waitcnt vmcnt(0)
	s_waitcnt_vscnt null, 0x0
	s_barrier
	buffer_gl0_inv
	ds_store_b64 v0, v[43:44] offset:1024
	v_lshlrev_b32_e32 v0, 3, v151
	v_lshlrev_b32_e32 v3, 3, v150
	;; [unrolled: 1-line block ×4, first 2 shown]
	ds_store_b64 v2, v[41:42] offset:1024
	ds_store_b64 v0, v[39:40] offset:1024
	;; [unrolled: 1-line block ×5, first 2 shown]
	v_lshlrev_b32_e32 v0, 3, v146
	v_lshlrev_b32_e32 v2, 3, v145
	;; [unrolled: 1-line block ×5, first 2 shown]
	ds_store_b64 v0, v[31:32] offset:1024
	ds_store_b64 v2, v[29:30] offset:1024
	;; [unrolled: 1-line block ×5, first 2 shown]
	v_lshlrev_b32_e32 v0, 3, v8
	v_lshlrev_b32_e32 v2, 3, v6
	;; [unrolled: 1-line block ×5, first 2 shown]
	ds_store_b64 v0, v[21:22] offset:1024
	ds_store_b64 v2, v[16:17] offset:1024
	;; [unrolled: 1-line block ×5, first 2 shown]
	s_waitcnt lgkmcnt(0)
	s_barrier
	buffer_gl0_inv
	s_and_saveexec_b32 s33, vcc_lo
	s_cbranch_execz .LBB948_1166
; %bb.1151:                             ;   in Loop: Header=BB948_990 Depth=2
	v_lshlrev_b32_e32 v0, 2, v140
	ds_load_b32 v0, v0
	ds_load_b64 v[2:3], v84 offset:1024
	s_waitcnt lgkmcnt(1)
	v_add_nc_u32_e32 v19, v0, v18
	s_delay_alu instid0(VALU_DEP_1) | instskip(NEXT) | instid1(VALU_DEP_1)
	v_lshlrev_b64 v[5:6], 3, v[19:20]
	v_add_co_u32 v5, vcc_lo, s54, v5
	s_delay_alu instid0(VALU_DEP_2)
	v_add_co_ci_u32_e32 v6, vcc_lo, s55, v6, vcc_lo
	s_waitcnt lgkmcnt(0)
	global_store_b64 v[5:6], v[2:3], off
	s_or_b32 exec_lo, exec_lo, s33
	v_add_nc_u32_e32 v0, v83, v85
	s_and_saveexec_b32 s33, s17
	s_cbranch_execnz .LBB948_1167
.LBB948_1152:                           ;   in Loop: Header=BB948_990 Depth=2
	s_or_b32 exec_lo, exec_lo, s33
	s_and_saveexec_b32 s17, s18
	s_cbranch_execz .LBB948_1168
.LBB948_1153:                           ;   in Loop: Header=BB948_990 Depth=2
	v_lshlrev_b32_e32 v2, 2, v138
	ds_load_b32 v5, v2
	ds_load_b64 v[2:3], v0 offset:4096
	s_waitcnt lgkmcnt(1)
	v_add_nc_u32_e32 v19, v5, v49
	s_delay_alu instid0(VALU_DEP_1) | instskip(NEXT) | instid1(VALU_DEP_1)
	v_lshlrev_b64 v[5:6], 3, v[19:20]
	v_add_co_u32 v5, vcc_lo, s54, v5
	s_delay_alu instid0(VALU_DEP_2)
	v_add_co_ci_u32_e32 v6, vcc_lo, s55, v6, vcc_lo
	s_waitcnt lgkmcnt(0)
	global_store_b64 v[5:6], v[2:3], off
	s_or_b32 exec_lo, exec_lo, s17
	s_and_saveexec_b32 s17, s19
	s_cbranch_execnz .LBB948_1169
.LBB948_1154:                           ;   in Loop: Header=BB948_990 Depth=2
	s_or_b32 exec_lo, exec_lo, s17
	s_and_saveexec_b32 s17, s20
	s_cbranch_execz .LBB948_1170
.LBB948_1155:                           ;   in Loop: Header=BB948_990 Depth=2
	v_lshlrev_b32_e32 v2, 2, v136
	ds_load_b32 v5, v2
	ds_load_b64 v[2:3], v0 offset:8192
	s_waitcnt lgkmcnt(1)
	v_add_nc_u32_e32 v19, v5, v54
	s_delay_alu instid0(VALU_DEP_1) | instskip(NEXT) | instid1(VALU_DEP_1)
	v_lshlrev_b64 v[5:6], 3, v[19:20]
	v_add_co_u32 v5, vcc_lo, s54, v5
	s_delay_alu instid0(VALU_DEP_2)
	v_add_co_ci_u32_e32 v6, vcc_lo, s55, v6, vcc_lo
	s_waitcnt lgkmcnt(0)
	global_store_b64 v[5:6], v[2:3], off
	s_or_b32 exec_lo, exec_lo, s17
	s_and_saveexec_b32 s17, s21
	s_cbranch_execnz .LBB948_1171
.LBB948_1156:                           ;   in Loop: Header=BB948_990 Depth=2
	s_or_b32 exec_lo, exec_lo, s17
	s_and_saveexec_b32 s17, s22
	s_cbranch_execz .LBB948_1172
.LBB948_1157:                           ;   in Loop: Header=BB948_990 Depth=2
	v_lshlrev_b32_e32 v2, 2, v134
	ds_load_b32 v5, v2
	ds_load_b64 v[2:3], v0 offset:12288
	s_waitcnt lgkmcnt(1)
	v_add_nc_u32_e32 v19, v5, v56
	s_delay_alu instid0(VALU_DEP_1) | instskip(NEXT) | instid1(VALU_DEP_1)
	v_lshlrev_b64 v[5:6], 3, v[19:20]
	v_add_co_u32 v5, vcc_lo, s54, v5
	s_delay_alu instid0(VALU_DEP_2)
	v_add_co_ci_u32_e32 v6, vcc_lo, s55, v6, vcc_lo
	s_waitcnt lgkmcnt(0)
	global_store_b64 v[5:6], v[2:3], off
	s_or_b32 exec_lo, exec_lo, s17
	s_and_saveexec_b32 s17, s23
	s_cbranch_execnz .LBB948_1173
.LBB948_1158:                           ;   in Loop: Header=BB948_990 Depth=2
	s_or_b32 exec_lo, exec_lo, s17
	s_and_saveexec_b32 s17, s24
	s_cbranch_execz .LBB948_1174
.LBB948_1159:                           ;   in Loop: Header=BB948_990 Depth=2
	v_lshlrev_b32_e32 v2, 2, v132
	ds_load_b32 v5, v2
	ds_load_b64 v[2:3], v0 offset:16384
	s_waitcnt lgkmcnt(1)
	v_add_nc_u32_e32 v19, v5, v58
	s_delay_alu instid0(VALU_DEP_1) | instskip(NEXT) | instid1(VALU_DEP_1)
	v_lshlrev_b64 v[5:6], 3, v[19:20]
	v_add_co_u32 v5, vcc_lo, s54, v5
	s_delay_alu instid0(VALU_DEP_2)
	v_add_co_ci_u32_e32 v6, vcc_lo, s55, v6, vcc_lo
	s_waitcnt lgkmcnt(0)
	global_store_b64 v[5:6], v[2:3], off
	s_or_b32 exec_lo, exec_lo, s17
	s_and_saveexec_b32 s17, s25
	s_cbranch_execnz .LBB948_1175
.LBB948_1160:                           ;   in Loop: Header=BB948_990 Depth=2
	s_or_b32 exec_lo, exec_lo, s17
	s_and_saveexec_b32 s17, s26
	s_cbranch_execz .LBB948_1176
.LBB948_1161:                           ;   in Loop: Header=BB948_990 Depth=2
	v_lshlrev_b32_e32 v2, 2, v130
	ds_load_b32 v5, v2
	ds_load_b64 v[2:3], v0 offset:20480
	s_waitcnt lgkmcnt(1)
	v_add_nc_u32_e32 v19, v5, v60
	s_delay_alu instid0(VALU_DEP_1) | instskip(NEXT) | instid1(VALU_DEP_1)
	v_lshlrev_b64 v[5:6], 3, v[19:20]
	v_add_co_u32 v5, vcc_lo, s54, v5
	s_delay_alu instid0(VALU_DEP_2)
	v_add_co_ci_u32_e32 v6, vcc_lo, s55, v6, vcc_lo
	s_waitcnt lgkmcnt(0)
	global_store_b64 v[5:6], v[2:3], off
	s_or_b32 exec_lo, exec_lo, s17
	s_and_saveexec_b32 s17, s27
	s_cbranch_execnz .LBB948_1177
.LBB948_1162:                           ;   in Loop: Header=BB948_990 Depth=2
	s_or_b32 exec_lo, exec_lo, s17
	s_and_saveexec_b32 s17, s28
	s_cbranch_execz .LBB948_1178
.LBB948_1163:                           ;   in Loop: Header=BB948_990 Depth=2
	v_lshlrev_b32_e32 v2, 2, v128
	ds_load_b32 v5, v2
	ds_load_b64 v[2:3], v0 offset:24576
	s_waitcnt lgkmcnt(1)
	v_add_nc_u32_e32 v19, v5, v62
	s_delay_alu instid0(VALU_DEP_1) | instskip(NEXT) | instid1(VALU_DEP_1)
	v_lshlrev_b64 v[5:6], 3, v[19:20]
	v_add_co_u32 v5, vcc_lo, s54, v5
	s_delay_alu instid0(VALU_DEP_2)
	v_add_co_ci_u32_e32 v6, vcc_lo, s55, v6, vcc_lo
	s_waitcnt lgkmcnt(0)
	global_store_b64 v[5:6], v[2:3], off
	s_or_b32 exec_lo, exec_lo, s17
	s_and_saveexec_b32 s17, s29
	s_cbranch_execnz .LBB948_1179
.LBB948_1164:                           ;   in Loop: Header=BB948_990 Depth=2
	s_or_b32 exec_lo, exec_lo, s17
	s_and_saveexec_b32 s17, s30
	s_cbranch_execz .LBB948_1180
.LBB948_1165:                           ;   in Loop: Header=BB948_990 Depth=2
	v_lshlrev_b32_e32 v2, 2, v126
	ds_load_b32 v5, v2
	ds_load_b64 v[2:3], v0 offset:28672
	s_waitcnt lgkmcnt(1)
	v_add_nc_u32_e32 v19, v5, v64
	s_delay_alu instid0(VALU_DEP_1) | instskip(NEXT) | instid1(VALU_DEP_1)
	v_lshlrev_b64 v[5:6], 3, v[19:20]
	v_add_co_u32 v5, vcc_lo, s54, v5
	s_delay_alu instid0(VALU_DEP_2)
	v_add_co_ci_u32_e32 v6, vcc_lo, s55, v6, vcc_lo
	s_waitcnt lgkmcnt(0)
	global_store_b64 v[5:6], v[2:3], off
	s_or_b32 exec_lo, exec_lo, s17
	s_and_saveexec_b32 s17, s31
	s_cbranch_execnz .LBB948_1181
	s_branch .LBB948_1182
.LBB948_1166:                           ;   in Loop: Header=BB948_990 Depth=2
	s_or_b32 exec_lo, exec_lo, s33
	v_add_nc_u32_e32 v0, v83, v85
	s_and_saveexec_b32 s33, s17
	s_cbranch_execz .LBB948_1152
.LBB948_1167:                           ;   in Loop: Header=BB948_990 Depth=2
	v_lshlrev_b32_e32 v2, 2, v139
	ds_load_b32 v5, v2
	ds_load_b64 v[2:3], v0 offset:2048
	s_waitcnt lgkmcnt(1)
	v_add_nc_u32_e32 v19, v5, v48
	s_delay_alu instid0(VALU_DEP_1) | instskip(NEXT) | instid1(VALU_DEP_1)
	v_lshlrev_b64 v[5:6], 3, v[19:20]
	v_add_co_u32 v5, vcc_lo, s54, v5
	s_delay_alu instid0(VALU_DEP_2)
	v_add_co_ci_u32_e32 v6, vcc_lo, s55, v6, vcc_lo
	s_waitcnt lgkmcnt(0)
	global_store_b64 v[5:6], v[2:3], off
	s_or_b32 exec_lo, exec_lo, s33
	s_and_saveexec_b32 s17, s18
	s_cbranch_execnz .LBB948_1153
.LBB948_1168:                           ;   in Loop: Header=BB948_990 Depth=2
	s_or_b32 exec_lo, exec_lo, s17
	s_and_saveexec_b32 s17, s19
	s_cbranch_execz .LBB948_1154
.LBB948_1169:                           ;   in Loop: Header=BB948_990 Depth=2
	v_lshlrev_b32_e32 v2, 2, v137
	ds_load_b32 v5, v2
	ds_load_b64 v[2:3], v0 offset:6144
	s_waitcnt lgkmcnt(1)
	v_add_nc_u32_e32 v19, v5, v50
	s_delay_alu instid0(VALU_DEP_1) | instskip(NEXT) | instid1(VALU_DEP_1)
	v_lshlrev_b64 v[5:6], 3, v[19:20]
	v_add_co_u32 v5, vcc_lo, s54, v5
	s_delay_alu instid0(VALU_DEP_2)
	v_add_co_ci_u32_e32 v6, vcc_lo, s55, v6, vcc_lo
	s_waitcnt lgkmcnt(0)
	global_store_b64 v[5:6], v[2:3], off
	s_or_b32 exec_lo, exec_lo, s17
	s_and_saveexec_b32 s17, s20
	s_cbranch_execnz .LBB948_1155
.LBB948_1170:                           ;   in Loop: Header=BB948_990 Depth=2
	s_or_b32 exec_lo, exec_lo, s17
	s_and_saveexec_b32 s17, s21
	s_cbranch_execz .LBB948_1156
.LBB948_1171:                           ;   in Loop: Header=BB948_990 Depth=2
	v_lshlrev_b32_e32 v2, 2, v135
	ds_load_b32 v5, v2
	ds_load_b64 v[2:3], v0 offset:10240
	s_waitcnt lgkmcnt(1)
	v_add_nc_u32_e32 v19, v5, v55
	s_delay_alu instid0(VALU_DEP_1) | instskip(NEXT) | instid1(VALU_DEP_1)
	v_lshlrev_b64 v[5:6], 3, v[19:20]
	v_add_co_u32 v5, vcc_lo, s54, v5
	s_delay_alu instid0(VALU_DEP_2)
	v_add_co_ci_u32_e32 v6, vcc_lo, s55, v6, vcc_lo
	s_waitcnt lgkmcnt(0)
	global_store_b64 v[5:6], v[2:3], off
	s_or_b32 exec_lo, exec_lo, s17
	s_and_saveexec_b32 s17, s22
	s_cbranch_execnz .LBB948_1157
.LBB948_1172:                           ;   in Loop: Header=BB948_990 Depth=2
	s_or_b32 exec_lo, exec_lo, s17
	s_and_saveexec_b32 s17, s23
	s_cbranch_execz .LBB948_1158
.LBB948_1173:                           ;   in Loop: Header=BB948_990 Depth=2
	v_lshlrev_b32_e32 v2, 2, v133
	ds_load_b32 v5, v2
	ds_load_b64 v[2:3], v0 offset:14336
	s_waitcnt lgkmcnt(1)
	v_add_nc_u32_e32 v19, v5, v57
	s_delay_alu instid0(VALU_DEP_1) | instskip(NEXT) | instid1(VALU_DEP_1)
	v_lshlrev_b64 v[5:6], 3, v[19:20]
	v_add_co_u32 v5, vcc_lo, s54, v5
	s_delay_alu instid0(VALU_DEP_2)
	v_add_co_ci_u32_e32 v6, vcc_lo, s55, v6, vcc_lo
	s_waitcnt lgkmcnt(0)
	global_store_b64 v[5:6], v[2:3], off
	s_or_b32 exec_lo, exec_lo, s17
	s_and_saveexec_b32 s17, s24
	s_cbranch_execnz .LBB948_1159
.LBB948_1174:                           ;   in Loop: Header=BB948_990 Depth=2
	s_or_b32 exec_lo, exec_lo, s17
	s_and_saveexec_b32 s17, s25
	s_cbranch_execz .LBB948_1160
.LBB948_1175:                           ;   in Loop: Header=BB948_990 Depth=2
	v_lshlrev_b32_e32 v2, 2, v131
	ds_load_b32 v5, v2
	ds_load_b64 v[2:3], v0 offset:18432
	s_waitcnt lgkmcnt(1)
	v_add_nc_u32_e32 v19, v5, v59
	s_delay_alu instid0(VALU_DEP_1) | instskip(NEXT) | instid1(VALU_DEP_1)
	v_lshlrev_b64 v[5:6], 3, v[19:20]
	v_add_co_u32 v5, vcc_lo, s54, v5
	s_delay_alu instid0(VALU_DEP_2)
	v_add_co_ci_u32_e32 v6, vcc_lo, s55, v6, vcc_lo
	s_waitcnt lgkmcnt(0)
	global_store_b64 v[5:6], v[2:3], off
	s_or_b32 exec_lo, exec_lo, s17
	s_and_saveexec_b32 s17, s26
	s_cbranch_execnz .LBB948_1161
.LBB948_1176:                           ;   in Loop: Header=BB948_990 Depth=2
	s_or_b32 exec_lo, exec_lo, s17
	s_and_saveexec_b32 s17, s27
	s_cbranch_execz .LBB948_1162
.LBB948_1177:                           ;   in Loop: Header=BB948_990 Depth=2
	v_lshlrev_b32_e32 v2, 2, v129
	ds_load_b32 v5, v2
	ds_load_b64 v[2:3], v0 offset:22528
	s_waitcnt lgkmcnt(1)
	v_add_nc_u32_e32 v19, v5, v61
	s_delay_alu instid0(VALU_DEP_1) | instskip(NEXT) | instid1(VALU_DEP_1)
	v_lshlrev_b64 v[5:6], 3, v[19:20]
	v_add_co_u32 v5, vcc_lo, s54, v5
	s_delay_alu instid0(VALU_DEP_2)
	v_add_co_ci_u32_e32 v6, vcc_lo, s55, v6, vcc_lo
	s_waitcnt lgkmcnt(0)
	global_store_b64 v[5:6], v[2:3], off
	s_or_b32 exec_lo, exec_lo, s17
	s_and_saveexec_b32 s17, s28
	s_cbranch_execnz .LBB948_1163
.LBB948_1178:                           ;   in Loop: Header=BB948_990 Depth=2
	s_or_b32 exec_lo, exec_lo, s17
	s_and_saveexec_b32 s17, s29
	s_cbranch_execz .LBB948_1164
.LBB948_1179:                           ;   in Loop: Header=BB948_990 Depth=2
	v_lshlrev_b32_e32 v2, 2, v127
	ds_load_b32 v5, v2
	ds_load_b64 v[2:3], v0 offset:26624
	s_waitcnt lgkmcnt(1)
	v_add_nc_u32_e32 v19, v5, v63
	s_delay_alu instid0(VALU_DEP_1) | instskip(NEXT) | instid1(VALU_DEP_1)
	v_lshlrev_b64 v[5:6], 3, v[19:20]
	v_add_co_u32 v5, vcc_lo, s54, v5
	s_delay_alu instid0(VALU_DEP_2)
	v_add_co_ci_u32_e32 v6, vcc_lo, s55, v6, vcc_lo
	s_waitcnt lgkmcnt(0)
	global_store_b64 v[5:6], v[2:3], off
	s_or_b32 exec_lo, exec_lo, s17
	s_and_saveexec_b32 s17, s30
	s_cbranch_execnz .LBB948_1165
.LBB948_1180:                           ;   in Loop: Header=BB948_990 Depth=2
	s_or_b32 exec_lo, exec_lo, s17
	s_and_saveexec_b32 s17, s31
	s_cbranch_execz .LBB948_1182
.LBB948_1181:                           ;   in Loop: Header=BB948_990 Depth=2
	v_lshlrev_b32_e32 v2, 2, v125
	ds_load_b32 v5, v2
	ds_load_b64 v[2:3], v0 offset:30720
	s_waitcnt lgkmcnt(1)
	v_add_nc_u32_e32 v19, v5, v66
	s_delay_alu instid0(VALU_DEP_1) | instskip(NEXT) | instid1(VALU_DEP_1)
	v_lshlrev_b64 v[5:6], 3, v[19:20]
	v_add_co_u32 v5, vcc_lo, s54, v5
	s_delay_alu instid0(VALU_DEP_2)
	v_add_co_ci_u32_e32 v6, vcc_lo, s55, v6, vcc_lo
	s_waitcnt lgkmcnt(0)
	global_store_b64 v[5:6], v[2:3], off
.LBB948_1182:                           ;   in Loop: Header=BB948_990 Depth=2
	s_or_b32 exec_lo, exec_lo, s17
	s_waitcnt_vscnt null, 0x0
	s_barrier
	buffer_gl0_inv
	s_and_saveexec_b32 s17, s2
	s_cbranch_execz .LBB948_989
; %bb.1183:                             ;   in Loop: Header=BB948_990 Depth=2
	ds_load_b32 v0, v47
	s_waitcnt lgkmcnt(0)
	v_add_nc_u32_e32 v0, v0, v4
	ds_store_b32 v47, v0
	s_branch .LBB948_989
.LBB948_1184:                           ;   in Loop: Header=BB948_990 Depth=2
	s_or_b32 exec_lo, exec_lo, s17
	s_delay_alu instid0(SALU_CYCLE_1)
	s_mov_b32 s17, exec_lo
	v_cmpx_gt_u32_e64 s56, v105
	s_cbranch_execz .LBB948_995
.LBB948_1185:                           ;   in Loop: Header=BB948_990 Depth=2
	global_load_d16_hi_b16 v2, v[45:46], off offset:64
	s_or_b32 exec_lo, exec_lo, s17
	s_delay_alu instid0(SALU_CYCLE_1)
	s_mov_b32 s17, exec_lo
	v_cmpx_gt_u32_e64 s56, v106
	s_cbranch_execnz .LBB948_996
.LBB948_1186:                           ;   in Loop: Header=BB948_990 Depth=2
	s_or_b32 exec_lo, exec_lo, s17
	s_delay_alu instid0(SALU_CYCLE_1)
	s_mov_b32 s17, exec_lo
	v_cmpx_gt_u32_e64 s56, v107
	s_cbranch_execz .LBB948_997
.LBB948_1187:                           ;   in Loop: Header=BB948_990 Depth=2
	global_load_d16_hi_b16 v3, v[45:46], off offset:192
	s_or_b32 exec_lo, exec_lo, s17
	s_delay_alu instid0(SALU_CYCLE_1)
	s_mov_b32 s17, exec_lo
	v_cmpx_gt_u32_e64 s56, v108
	s_cbranch_execnz .LBB948_998
.LBB948_1188:                           ;   in Loop: Header=BB948_990 Depth=2
	s_or_b32 exec_lo, exec_lo, s17
	s_delay_alu instid0(SALU_CYCLE_1)
	s_mov_b32 s17, exec_lo
	v_cmpx_gt_u32_e64 s56, v109
	s_cbranch_execz .LBB948_999
.LBB948_1189:                           ;   in Loop: Header=BB948_990 Depth=2
	global_load_d16_hi_b16 v4, v[45:46], off offset:320
	s_or_b32 exec_lo, exec_lo, s17
	s_delay_alu instid0(SALU_CYCLE_1)
	s_mov_b32 s17, exec_lo
	v_cmpx_gt_u32_e64 s56, v110
	s_cbranch_execnz .LBB948_1000
.LBB948_1190:                           ;   in Loop: Header=BB948_990 Depth=2
	s_or_b32 exec_lo, exec_lo, s17
	s_delay_alu instid0(SALU_CYCLE_1)
	s_mov_b32 s17, exec_lo
	v_cmpx_gt_u32_e64 s56, v111
	s_cbranch_execz .LBB948_1001
.LBB948_1191:                           ;   in Loop: Header=BB948_990 Depth=2
	global_load_d16_hi_b16 v5, v[45:46], off offset:448
	s_or_b32 exec_lo, exec_lo, s17
	s_delay_alu instid0(SALU_CYCLE_1)
	s_mov_b32 s17, exec_lo
	v_cmpx_gt_u32_e64 s56, v112
	s_cbranch_execnz .LBB948_1002
.LBB948_1192:                           ;   in Loop: Header=BB948_990 Depth=2
	s_or_b32 exec_lo, exec_lo, s17
	s_delay_alu instid0(SALU_CYCLE_1)
	s_mov_b32 s17, exec_lo
	v_cmpx_gt_u32_e64 s56, v113
	s_cbranch_execz .LBB948_1003
.LBB948_1193:                           ;   in Loop: Header=BB948_990 Depth=2
	global_load_d16_hi_b16 v6, v[45:46], off offset:576
	s_or_b32 exec_lo, exec_lo, s17
	s_delay_alu instid0(SALU_CYCLE_1)
	s_mov_b32 s17, exec_lo
	v_cmpx_gt_u32_e64 s56, v114
	s_cbranch_execnz .LBB948_1004
.LBB948_1194:                           ;   in Loop: Header=BB948_990 Depth=2
	s_or_b32 exec_lo, exec_lo, s17
	s_delay_alu instid0(SALU_CYCLE_1)
	s_mov_b32 s17, exec_lo
	v_cmpx_gt_u32_e64 s56, v115
	s_cbranch_execz .LBB948_1005
.LBB948_1195:                           ;   in Loop: Header=BB948_990 Depth=2
	global_load_d16_hi_b16 v7, v[45:46], off offset:704
	s_or_b32 exec_lo, exec_lo, s17
	s_delay_alu instid0(SALU_CYCLE_1)
	s_mov_b32 s17, exec_lo
	v_cmpx_gt_u32_e64 s56, v116
	s_cbranch_execnz .LBB948_1006
.LBB948_1196:                           ;   in Loop: Header=BB948_990 Depth=2
	s_or_b32 exec_lo, exec_lo, s17
	s_delay_alu instid0(SALU_CYCLE_1)
	s_mov_b32 s17, exec_lo
	v_cmpx_gt_u32_e64 s56, v117
	s_cbranch_execz .LBB948_1007
.LBB948_1197:                           ;   in Loop: Header=BB948_990 Depth=2
	global_load_d16_hi_b16 v8, v[45:46], off offset:832
	s_or_b32 exec_lo, exec_lo, s17
	s_delay_alu instid0(SALU_CYCLE_1)
	s_mov_b32 s17, exec_lo
	v_cmpx_gt_u32_e64 s56, v118
	s_cbranch_execnz .LBB948_1008
	s_branch .LBB948_1009
.LBB948_1198:
	s_endpgm
	.section	.rodata,"a",@progbits
	.p2align	6, 0x0
	.amdhsa_kernel _ZN7rocprim17ROCPRIM_400000_NS6detail17trampoline_kernelINS0_14default_configENS1_36segmented_radix_sort_config_selectorIslEEZNS1_25segmented_radix_sort_implIS3_Lb1EPKsPsPKlPlN2at6native12_GLOBAL__N_18offset_tEEE10hipError_tPvRmT1_PNSt15iterator_traitsISK_E10value_typeET2_T3_PNSL_ISQ_E10value_typeET4_jRbjT5_SW_jjP12ihipStream_tbEUlT_E2_NS1_11comp_targetILNS1_3genE9ELNS1_11target_archE1100ELNS1_3gpuE3ELNS1_3repE0EEENS1_30default_config_static_selectorELNS0_4arch9wavefront6targetE0EEEvSK_
		.amdhsa_group_segment_fixed_size 33824
		.amdhsa_private_segment_fixed_size 188
		.amdhsa_kernarg_size 336
		.amdhsa_user_sgpr_count 14
		.amdhsa_user_sgpr_dispatch_ptr 0
		.amdhsa_user_sgpr_queue_ptr 0
		.amdhsa_user_sgpr_kernarg_segment_ptr 1
		.amdhsa_user_sgpr_dispatch_id 0
		.amdhsa_user_sgpr_private_segment_size 0
		.amdhsa_wavefront_size32 1
		.amdhsa_uses_dynamic_stack 0
		.amdhsa_enable_private_segment 1
		.amdhsa_system_sgpr_workgroup_id_x 1
		.amdhsa_system_sgpr_workgroup_id_y 1
		.amdhsa_system_sgpr_workgroup_id_z 0
		.amdhsa_system_sgpr_workgroup_info 0
		.amdhsa_system_vgpr_workitem_id 2
		.amdhsa_next_free_vgpr 248
		.amdhsa_next_free_sgpr 66
		.amdhsa_reserve_vcc 1
		.amdhsa_float_round_mode_32 0
		.amdhsa_float_round_mode_16_64 0
		.amdhsa_float_denorm_mode_32 3
		.amdhsa_float_denorm_mode_16_64 3
		.amdhsa_dx10_clamp 1
		.amdhsa_ieee_mode 1
		.amdhsa_fp16_overflow 0
		.amdhsa_workgroup_processor_mode 1
		.amdhsa_memory_ordered 1
		.amdhsa_forward_progress 0
		.amdhsa_shared_vgpr_count 0
		.amdhsa_exception_fp_ieee_invalid_op 0
		.amdhsa_exception_fp_denorm_src 0
		.amdhsa_exception_fp_ieee_div_zero 0
		.amdhsa_exception_fp_ieee_overflow 0
		.amdhsa_exception_fp_ieee_underflow 0
		.amdhsa_exception_fp_ieee_inexact 0
		.amdhsa_exception_int_div_zero 0
	.end_amdhsa_kernel
	.section	.text._ZN7rocprim17ROCPRIM_400000_NS6detail17trampoline_kernelINS0_14default_configENS1_36segmented_radix_sort_config_selectorIslEEZNS1_25segmented_radix_sort_implIS3_Lb1EPKsPsPKlPlN2at6native12_GLOBAL__N_18offset_tEEE10hipError_tPvRmT1_PNSt15iterator_traitsISK_E10value_typeET2_T3_PNSL_ISQ_E10value_typeET4_jRbjT5_SW_jjP12ihipStream_tbEUlT_E2_NS1_11comp_targetILNS1_3genE9ELNS1_11target_archE1100ELNS1_3gpuE3ELNS1_3repE0EEENS1_30default_config_static_selectorELNS0_4arch9wavefront6targetE0EEEvSK_,"axG",@progbits,_ZN7rocprim17ROCPRIM_400000_NS6detail17trampoline_kernelINS0_14default_configENS1_36segmented_radix_sort_config_selectorIslEEZNS1_25segmented_radix_sort_implIS3_Lb1EPKsPsPKlPlN2at6native12_GLOBAL__N_18offset_tEEE10hipError_tPvRmT1_PNSt15iterator_traitsISK_E10value_typeET2_T3_PNSL_ISQ_E10value_typeET4_jRbjT5_SW_jjP12ihipStream_tbEUlT_E2_NS1_11comp_targetILNS1_3genE9ELNS1_11target_archE1100ELNS1_3gpuE3ELNS1_3repE0EEENS1_30default_config_static_selectorELNS0_4arch9wavefront6targetE0EEEvSK_,comdat
.Lfunc_end948:
	.size	_ZN7rocprim17ROCPRIM_400000_NS6detail17trampoline_kernelINS0_14default_configENS1_36segmented_radix_sort_config_selectorIslEEZNS1_25segmented_radix_sort_implIS3_Lb1EPKsPsPKlPlN2at6native12_GLOBAL__N_18offset_tEEE10hipError_tPvRmT1_PNSt15iterator_traitsISK_E10value_typeET2_T3_PNSL_ISQ_E10value_typeET4_jRbjT5_SW_jjP12ihipStream_tbEUlT_E2_NS1_11comp_targetILNS1_3genE9ELNS1_11target_archE1100ELNS1_3gpuE3ELNS1_3repE0EEENS1_30default_config_static_selectorELNS0_4arch9wavefront6targetE0EEEvSK_, .Lfunc_end948-_ZN7rocprim17ROCPRIM_400000_NS6detail17trampoline_kernelINS0_14default_configENS1_36segmented_radix_sort_config_selectorIslEEZNS1_25segmented_radix_sort_implIS3_Lb1EPKsPsPKlPlN2at6native12_GLOBAL__N_18offset_tEEE10hipError_tPvRmT1_PNSt15iterator_traitsISK_E10value_typeET2_T3_PNSL_ISQ_E10value_typeET4_jRbjT5_SW_jjP12ihipStream_tbEUlT_E2_NS1_11comp_targetILNS1_3genE9ELNS1_11target_archE1100ELNS1_3gpuE3ELNS1_3repE0EEENS1_30default_config_static_selectorELNS0_4arch9wavefront6targetE0EEEvSK_
                                        ; -- End function
	.section	.AMDGPU.csdata,"",@progbits
; Kernel info:
; codeLenInByte = 71768
; NumSgprs: 68
; NumVgprs: 248
; ScratchSize: 188
; MemoryBound: 0
; FloatMode: 240
; IeeeMode: 1
; LDSByteSize: 33824 bytes/workgroup (compile time only)
; SGPRBlocks: 8
; VGPRBlocks: 30
; NumSGPRsForWavesPerEU: 68
; NumVGPRsForWavesPerEU: 248
; Occupancy: 5
; WaveLimiterHint : 1
; COMPUTE_PGM_RSRC2:SCRATCH_EN: 1
; COMPUTE_PGM_RSRC2:USER_SGPR: 14
; COMPUTE_PGM_RSRC2:TRAP_HANDLER: 0
; COMPUTE_PGM_RSRC2:TGID_X_EN: 1
; COMPUTE_PGM_RSRC2:TGID_Y_EN: 1
; COMPUTE_PGM_RSRC2:TGID_Z_EN: 0
; COMPUTE_PGM_RSRC2:TIDIG_COMP_CNT: 2
	.section	.text._ZN7rocprim17ROCPRIM_400000_NS6detail17trampoline_kernelINS0_14default_configENS1_36segmented_radix_sort_config_selectorIslEEZNS1_25segmented_radix_sort_implIS3_Lb1EPKsPsPKlPlN2at6native12_GLOBAL__N_18offset_tEEE10hipError_tPvRmT1_PNSt15iterator_traitsISK_E10value_typeET2_T3_PNSL_ISQ_E10value_typeET4_jRbjT5_SW_jjP12ihipStream_tbEUlT_E2_NS1_11comp_targetILNS1_3genE8ELNS1_11target_archE1030ELNS1_3gpuE2ELNS1_3repE0EEENS1_30default_config_static_selectorELNS0_4arch9wavefront6targetE0EEEvSK_,"axG",@progbits,_ZN7rocprim17ROCPRIM_400000_NS6detail17trampoline_kernelINS0_14default_configENS1_36segmented_radix_sort_config_selectorIslEEZNS1_25segmented_radix_sort_implIS3_Lb1EPKsPsPKlPlN2at6native12_GLOBAL__N_18offset_tEEE10hipError_tPvRmT1_PNSt15iterator_traitsISK_E10value_typeET2_T3_PNSL_ISQ_E10value_typeET4_jRbjT5_SW_jjP12ihipStream_tbEUlT_E2_NS1_11comp_targetILNS1_3genE8ELNS1_11target_archE1030ELNS1_3gpuE2ELNS1_3repE0EEENS1_30default_config_static_selectorELNS0_4arch9wavefront6targetE0EEEvSK_,comdat
	.globl	_ZN7rocprim17ROCPRIM_400000_NS6detail17trampoline_kernelINS0_14default_configENS1_36segmented_radix_sort_config_selectorIslEEZNS1_25segmented_radix_sort_implIS3_Lb1EPKsPsPKlPlN2at6native12_GLOBAL__N_18offset_tEEE10hipError_tPvRmT1_PNSt15iterator_traitsISK_E10value_typeET2_T3_PNSL_ISQ_E10value_typeET4_jRbjT5_SW_jjP12ihipStream_tbEUlT_E2_NS1_11comp_targetILNS1_3genE8ELNS1_11target_archE1030ELNS1_3gpuE2ELNS1_3repE0EEENS1_30default_config_static_selectorELNS0_4arch9wavefront6targetE0EEEvSK_ ; -- Begin function _ZN7rocprim17ROCPRIM_400000_NS6detail17trampoline_kernelINS0_14default_configENS1_36segmented_radix_sort_config_selectorIslEEZNS1_25segmented_radix_sort_implIS3_Lb1EPKsPsPKlPlN2at6native12_GLOBAL__N_18offset_tEEE10hipError_tPvRmT1_PNSt15iterator_traitsISK_E10value_typeET2_T3_PNSL_ISQ_E10value_typeET4_jRbjT5_SW_jjP12ihipStream_tbEUlT_E2_NS1_11comp_targetILNS1_3genE8ELNS1_11target_archE1030ELNS1_3gpuE2ELNS1_3repE0EEENS1_30default_config_static_selectorELNS0_4arch9wavefront6targetE0EEEvSK_
	.p2align	8
	.type	_ZN7rocprim17ROCPRIM_400000_NS6detail17trampoline_kernelINS0_14default_configENS1_36segmented_radix_sort_config_selectorIslEEZNS1_25segmented_radix_sort_implIS3_Lb1EPKsPsPKlPlN2at6native12_GLOBAL__N_18offset_tEEE10hipError_tPvRmT1_PNSt15iterator_traitsISK_E10value_typeET2_T3_PNSL_ISQ_E10value_typeET4_jRbjT5_SW_jjP12ihipStream_tbEUlT_E2_NS1_11comp_targetILNS1_3genE8ELNS1_11target_archE1030ELNS1_3gpuE2ELNS1_3repE0EEENS1_30default_config_static_selectorELNS0_4arch9wavefront6targetE0EEEvSK_,@function
_ZN7rocprim17ROCPRIM_400000_NS6detail17trampoline_kernelINS0_14default_configENS1_36segmented_radix_sort_config_selectorIslEEZNS1_25segmented_radix_sort_implIS3_Lb1EPKsPsPKlPlN2at6native12_GLOBAL__N_18offset_tEEE10hipError_tPvRmT1_PNSt15iterator_traitsISK_E10value_typeET2_T3_PNSL_ISQ_E10value_typeET4_jRbjT5_SW_jjP12ihipStream_tbEUlT_E2_NS1_11comp_targetILNS1_3genE8ELNS1_11target_archE1030ELNS1_3gpuE2ELNS1_3repE0EEENS1_30default_config_static_selectorELNS0_4arch9wavefront6targetE0EEEvSK_: ; @_ZN7rocprim17ROCPRIM_400000_NS6detail17trampoline_kernelINS0_14default_configENS1_36segmented_radix_sort_config_selectorIslEEZNS1_25segmented_radix_sort_implIS3_Lb1EPKsPsPKlPlN2at6native12_GLOBAL__N_18offset_tEEE10hipError_tPvRmT1_PNSt15iterator_traitsISK_E10value_typeET2_T3_PNSL_ISQ_E10value_typeET4_jRbjT5_SW_jjP12ihipStream_tbEUlT_E2_NS1_11comp_targetILNS1_3genE8ELNS1_11target_archE1030ELNS1_3gpuE2ELNS1_3repE0EEENS1_30default_config_static_selectorELNS0_4arch9wavefront6targetE0EEEvSK_
; %bb.0:
	.section	.rodata,"a",@progbits
	.p2align	6, 0x0
	.amdhsa_kernel _ZN7rocprim17ROCPRIM_400000_NS6detail17trampoline_kernelINS0_14default_configENS1_36segmented_radix_sort_config_selectorIslEEZNS1_25segmented_radix_sort_implIS3_Lb1EPKsPsPKlPlN2at6native12_GLOBAL__N_18offset_tEEE10hipError_tPvRmT1_PNSt15iterator_traitsISK_E10value_typeET2_T3_PNSL_ISQ_E10value_typeET4_jRbjT5_SW_jjP12ihipStream_tbEUlT_E2_NS1_11comp_targetILNS1_3genE8ELNS1_11target_archE1030ELNS1_3gpuE2ELNS1_3repE0EEENS1_30default_config_static_selectorELNS0_4arch9wavefront6targetE0EEEvSK_
		.amdhsa_group_segment_fixed_size 0
		.amdhsa_private_segment_fixed_size 0
		.amdhsa_kernarg_size 80
		.amdhsa_user_sgpr_count 15
		.amdhsa_user_sgpr_dispatch_ptr 0
		.amdhsa_user_sgpr_queue_ptr 0
		.amdhsa_user_sgpr_kernarg_segment_ptr 1
		.amdhsa_user_sgpr_dispatch_id 0
		.amdhsa_user_sgpr_private_segment_size 0
		.amdhsa_wavefront_size32 1
		.amdhsa_uses_dynamic_stack 0
		.amdhsa_enable_private_segment 0
		.amdhsa_system_sgpr_workgroup_id_x 1
		.amdhsa_system_sgpr_workgroup_id_y 0
		.amdhsa_system_sgpr_workgroup_id_z 0
		.amdhsa_system_sgpr_workgroup_info 0
		.amdhsa_system_vgpr_workitem_id 0
		.amdhsa_next_free_vgpr 1
		.amdhsa_next_free_sgpr 1
		.amdhsa_reserve_vcc 0
		.amdhsa_float_round_mode_32 0
		.amdhsa_float_round_mode_16_64 0
		.amdhsa_float_denorm_mode_32 3
		.amdhsa_float_denorm_mode_16_64 3
		.amdhsa_dx10_clamp 1
		.amdhsa_ieee_mode 1
		.amdhsa_fp16_overflow 0
		.amdhsa_workgroup_processor_mode 1
		.amdhsa_memory_ordered 1
		.amdhsa_forward_progress 0
		.amdhsa_shared_vgpr_count 0
		.amdhsa_exception_fp_ieee_invalid_op 0
		.amdhsa_exception_fp_denorm_src 0
		.amdhsa_exception_fp_ieee_div_zero 0
		.amdhsa_exception_fp_ieee_overflow 0
		.amdhsa_exception_fp_ieee_underflow 0
		.amdhsa_exception_fp_ieee_inexact 0
		.amdhsa_exception_int_div_zero 0
	.end_amdhsa_kernel
	.section	.text._ZN7rocprim17ROCPRIM_400000_NS6detail17trampoline_kernelINS0_14default_configENS1_36segmented_radix_sort_config_selectorIslEEZNS1_25segmented_radix_sort_implIS3_Lb1EPKsPsPKlPlN2at6native12_GLOBAL__N_18offset_tEEE10hipError_tPvRmT1_PNSt15iterator_traitsISK_E10value_typeET2_T3_PNSL_ISQ_E10value_typeET4_jRbjT5_SW_jjP12ihipStream_tbEUlT_E2_NS1_11comp_targetILNS1_3genE8ELNS1_11target_archE1030ELNS1_3gpuE2ELNS1_3repE0EEENS1_30default_config_static_selectorELNS0_4arch9wavefront6targetE0EEEvSK_,"axG",@progbits,_ZN7rocprim17ROCPRIM_400000_NS6detail17trampoline_kernelINS0_14default_configENS1_36segmented_radix_sort_config_selectorIslEEZNS1_25segmented_radix_sort_implIS3_Lb1EPKsPsPKlPlN2at6native12_GLOBAL__N_18offset_tEEE10hipError_tPvRmT1_PNSt15iterator_traitsISK_E10value_typeET2_T3_PNSL_ISQ_E10value_typeET4_jRbjT5_SW_jjP12ihipStream_tbEUlT_E2_NS1_11comp_targetILNS1_3genE8ELNS1_11target_archE1030ELNS1_3gpuE2ELNS1_3repE0EEENS1_30default_config_static_selectorELNS0_4arch9wavefront6targetE0EEEvSK_,comdat
.Lfunc_end949:
	.size	_ZN7rocprim17ROCPRIM_400000_NS6detail17trampoline_kernelINS0_14default_configENS1_36segmented_radix_sort_config_selectorIslEEZNS1_25segmented_radix_sort_implIS3_Lb1EPKsPsPKlPlN2at6native12_GLOBAL__N_18offset_tEEE10hipError_tPvRmT1_PNSt15iterator_traitsISK_E10value_typeET2_T3_PNSL_ISQ_E10value_typeET4_jRbjT5_SW_jjP12ihipStream_tbEUlT_E2_NS1_11comp_targetILNS1_3genE8ELNS1_11target_archE1030ELNS1_3gpuE2ELNS1_3repE0EEENS1_30default_config_static_selectorELNS0_4arch9wavefront6targetE0EEEvSK_, .Lfunc_end949-_ZN7rocprim17ROCPRIM_400000_NS6detail17trampoline_kernelINS0_14default_configENS1_36segmented_radix_sort_config_selectorIslEEZNS1_25segmented_radix_sort_implIS3_Lb1EPKsPsPKlPlN2at6native12_GLOBAL__N_18offset_tEEE10hipError_tPvRmT1_PNSt15iterator_traitsISK_E10value_typeET2_T3_PNSL_ISQ_E10value_typeET4_jRbjT5_SW_jjP12ihipStream_tbEUlT_E2_NS1_11comp_targetILNS1_3genE8ELNS1_11target_archE1030ELNS1_3gpuE2ELNS1_3repE0EEENS1_30default_config_static_selectorELNS0_4arch9wavefront6targetE0EEEvSK_
                                        ; -- End function
	.section	.AMDGPU.csdata,"",@progbits
; Kernel info:
; codeLenInByte = 0
; NumSgprs: 0
; NumVgprs: 0
; ScratchSize: 0
; MemoryBound: 0
; FloatMode: 240
; IeeeMode: 1
; LDSByteSize: 0 bytes/workgroup (compile time only)
; SGPRBlocks: 0
; VGPRBlocks: 0
; NumSGPRsForWavesPerEU: 1
; NumVGPRsForWavesPerEU: 1
; Occupancy: 16
; WaveLimiterHint : 0
; COMPUTE_PGM_RSRC2:SCRATCH_EN: 0
; COMPUTE_PGM_RSRC2:USER_SGPR: 15
; COMPUTE_PGM_RSRC2:TRAP_HANDLER: 0
; COMPUTE_PGM_RSRC2:TGID_X_EN: 1
; COMPUTE_PGM_RSRC2:TGID_Y_EN: 0
; COMPUTE_PGM_RSRC2:TGID_Z_EN: 0
; COMPUTE_PGM_RSRC2:TIDIG_COMP_CNT: 0
	.section	.text._ZN7rocprim17ROCPRIM_400000_NS6detail17trampoline_kernelINS0_13select_configILj256ELj13ELNS0_17block_load_methodE3ELS4_3ELS4_3ELNS0_20block_scan_algorithmE0ELj4294967295EEENS1_25partition_config_selectorILNS1_17partition_subalgoE4EjNS0_10empty_typeEbEEZZNS1_14partition_implILS8_4ELb0ES6_15HIP_vector_typeIjLj2EENS0_17counting_iteratorIjlEEPS9_SG_NS0_5tupleIJPjSI_NS0_16reverse_iteratorISI_EEEEENSH_IJSG_SG_SG_EEES9_SI_JZNS1_25segmented_radix_sort_implINS0_14default_configELb0EPKsPsPKlPlN2at6native12_GLOBAL__N_18offset_tEEE10hipError_tPvRmT1_PNSt15iterator_traitsIS12_E10value_typeET2_T3_PNS13_IS18_E10value_typeET4_jRbjT5_S1E_jjP12ihipStream_tbEUljE_ZNSN_ISO_Lb0ESQ_SR_ST_SU_SY_EESZ_S10_S11_S12_S16_S17_S18_S1B_S1C_jS1D_jS1E_S1E_jjS1G_bEUljE0_EEESZ_S10_S11_S18_S1C_S1E_T6_T7_T9_mT8_S1G_bDpT10_ENKUlT_T0_E_clISt17integral_constantIbLb0EES1U_EEDaS1P_S1Q_EUlS1P_E_NS1_11comp_targetILNS1_3genE0ELNS1_11target_archE4294967295ELNS1_3gpuE0ELNS1_3repE0EEENS1_30default_config_static_selectorELNS0_4arch9wavefront6targetE0EEEvS12_,"axG",@progbits,_ZN7rocprim17ROCPRIM_400000_NS6detail17trampoline_kernelINS0_13select_configILj256ELj13ELNS0_17block_load_methodE3ELS4_3ELS4_3ELNS0_20block_scan_algorithmE0ELj4294967295EEENS1_25partition_config_selectorILNS1_17partition_subalgoE4EjNS0_10empty_typeEbEEZZNS1_14partition_implILS8_4ELb0ES6_15HIP_vector_typeIjLj2EENS0_17counting_iteratorIjlEEPS9_SG_NS0_5tupleIJPjSI_NS0_16reverse_iteratorISI_EEEEENSH_IJSG_SG_SG_EEES9_SI_JZNS1_25segmented_radix_sort_implINS0_14default_configELb0EPKsPsPKlPlN2at6native12_GLOBAL__N_18offset_tEEE10hipError_tPvRmT1_PNSt15iterator_traitsIS12_E10value_typeET2_T3_PNS13_IS18_E10value_typeET4_jRbjT5_S1E_jjP12ihipStream_tbEUljE_ZNSN_ISO_Lb0ESQ_SR_ST_SU_SY_EESZ_S10_S11_S12_S16_S17_S18_S1B_S1C_jS1D_jS1E_S1E_jjS1G_bEUljE0_EEESZ_S10_S11_S18_S1C_S1E_T6_T7_T9_mT8_S1G_bDpT10_ENKUlT_T0_E_clISt17integral_constantIbLb0EES1U_EEDaS1P_S1Q_EUlS1P_E_NS1_11comp_targetILNS1_3genE0ELNS1_11target_archE4294967295ELNS1_3gpuE0ELNS1_3repE0EEENS1_30default_config_static_selectorELNS0_4arch9wavefront6targetE0EEEvS12_,comdat
	.globl	_ZN7rocprim17ROCPRIM_400000_NS6detail17trampoline_kernelINS0_13select_configILj256ELj13ELNS0_17block_load_methodE3ELS4_3ELS4_3ELNS0_20block_scan_algorithmE0ELj4294967295EEENS1_25partition_config_selectorILNS1_17partition_subalgoE4EjNS0_10empty_typeEbEEZZNS1_14partition_implILS8_4ELb0ES6_15HIP_vector_typeIjLj2EENS0_17counting_iteratorIjlEEPS9_SG_NS0_5tupleIJPjSI_NS0_16reverse_iteratorISI_EEEEENSH_IJSG_SG_SG_EEES9_SI_JZNS1_25segmented_radix_sort_implINS0_14default_configELb0EPKsPsPKlPlN2at6native12_GLOBAL__N_18offset_tEEE10hipError_tPvRmT1_PNSt15iterator_traitsIS12_E10value_typeET2_T3_PNS13_IS18_E10value_typeET4_jRbjT5_S1E_jjP12ihipStream_tbEUljE_ZNSN_ISO_Lb0ESQ_SR_ST_SU_SY_EESZ_S10_S11_S12_S16_S17_S18_S1B_S1C_jS1D_jS1E_S1E_jjS1G_bEUljE0_EEESZ_S10_S11_S18_S1C_S1E_T6_T7_T9_mT8_S1G_bDpT10_ENKUlT_T0_E_clISt17integral_constantIbLb0EES1U_EEDaS1P_S1Q_EUlS1P_E_NS1_11comp_targetILNS1_3genE0ELNS1_11target_archE4294967295ELNS1_3gpuE0ELNS1_3repE0EEENS1_30default_config_static_selectorELNS0_4arch9wavefront6targetE0EEEvS12_ ; -- Begin function _ZN7rocprim17ROCPRIM_400000_NS6detail17trampoline_kernelINS0_13select_configILj256ELj13ELNS0_17block_load_methodE3ELS4_3ELS4_3ELNS0_20block_scan_algorithmE0ELj4294967295EEENS1_25partition_config_selectorILNS1_17partition_subalgoE4EjNS0_10empty_typeEbEEZZNS1_14partition_implILS8_4ELb0ES6_15HIP_vector_typeIjLj2EENS0_17counting_iteratorIjlEEPS9_SG_NS0_5tupleIJPjSI_NS0_16reverse_iteratorISI_EEEEENSH_IJSG_SG_SG_EEES9_SI_JZNS1_25segmented_radix_sort_implINS0_14default_configELb0EPKsPsPKlPlN2at6native12_GLOBAL__N_18offset_tEEE10hipError_tPvRmT1_PNSt15iterator_traitsIS12_E10value_typeET2_T3_PNS13_IS18_E10value_typeET4_jRbjT5_S1E_jjP12ihipStream_tbEUljE_ZNSN_ISO_Lb0ESQ_SR_ST_SU_SY_EESZ_S10_S11_S12_S16_S17_S18_S1B_S1C_jS1D_jS1E_S1E_jjS1G_bEUljE0_EEESZ_S10_S11_S18_S1C_S1E_T6_T7_T9_mT8_S1G_bDpT10_ENKUlT_T0_E_clISt17integral_constantIbLb0EES1U_EEDaS1P_S1Q_EUlS1P_E_NS1_11comp_targetILNS1_3genE0ELNS1_11target_archE4294967295ELNS1_3gpuE0ELNS1_3repE0EEENS1_30default_config_static_selectorELNS0_4arch9wavefront6targetE0EEEvS12_
	.p2align	8
	.type	_ZN7rocprim17ROCPRIM_400000_NS6detail17trampoline_kernelINS0_13select_configILj256ELj13ELNS0_17block_load_methodE3ELS4_3ELS4_3ELNS0_20block_scan_algorithmE0ELj4294967295EEENS1_25partition_config_selectorILNS1_17partition_subalgoE4EjNS0_10empty_typeEbEEZZNS1_14partition_implILS8_4ELb0ES6_15HIP_vector_typeIjLj2EENS0_17counting_iteratorIjlEEPS9_SG_NS0_5tupleIJPjSI_NS0_16reverse_iteratorISI_EEEEENSH_IJSG_SG_SG_EEES9_SI_JZNS1_25segmented_radix_sort_implINS0_14default_configELb0EPKsPsPKlPlN2at6native12_GLOBAL__N_18offset_tEEE10hipError_tPvRmT1_PNSt15iterator_traitsIS12_E10value_typeET2_T3_PNS13_IS18_E10value_typeET4_jRbjT5_S1E_jjP12ihipStream_tbEUljE_ZNSN_ISO_Lb0ESQ_SR_ST_SU_SY_EESZ_S10_S11_S12_S16_S17_S18_S1B_S1C_jS1D_jS1E_S1E_jjS1G_bEUljE0_EEESZ_S10_S11_S18_S1C_S1E_T6_T7_T9_mT8_S1G_bDpT10_ENKUlT_T0_E_clISt17integral_constantIbLb0EES1U_EEDaS1P_S1Q_EUlS1P_E_NS1_11comp_targetILNS1_3genE0ELNS1_11target_archE4294967295ELNS1_3gpuE0ELNS1_3repE0EEENS1_30default_config_static_selectorELNS0_4arch9wavefront6targetE0EEEvS12_,@function
_ZN7rocprim17ROCPRIM_400000_NS6detail17trampoline_kernelINS0_13select_configILj256ELj13ELNS0_17block_load_methodE3ELS4_3ELS4_3ELNS0_20block_scan_algorithmE0ELj4294967295EEENS1_25partition_config_selectorILNS1_17partition_subalgoE4EjNS0_10empty_typeEbEEZZNS1_14partition_implILS8_4ELb0ES6_15HIP_vector_typeIjLj2EENS0_17counting_iteratorIjlEEPS9_SG_NS0_5tupleIJPjSI_NS0_16reverse_iteratorISI_EEEEENSH_IJSG_SG_SG_EEES9_SI_JZNS1_25segmented_radix_sort_implINS0_14default_configELb0EPKsPsPKlPlN2at6native12_GLOBAL__N_18offset_tEEE10hipError_tPvRmT1_PNSt15iterator_traitsIS12_E10value_typeET2_T3_PNS13_IS18_E10value_typeET4_jRbjT5_S1E_jjP12ihipStream_tbEUljE_ZNSN_ISO_Lb0ESQ_SR_ST_SU_SY_EESZ_S10_S11_S12_S16_S17_S18_S1B_S1C_jS1D_jS1E_S1E_jjS1G_bEUljE0_EEESZ_S10_S11_S18_S1C_S1E_T6_T7_T9_mT8_S1G_bDpT10_ENKUlT_T0_E_clISt17integral_constantIbLb0EES1U_EEDaS1P_S1Q_EUlS1P_E_NS1_11comp_targetILNS1_3genE0ELNS1_11target_archE4294967295ELNS1_3gpuE0ELNS1_3repE0EEENS1_30default_config_static_selectorELNS0_4arch9wavefront6targetE0EEEvS12_: ; @_ZN7rocprim17ROCPRIM_400000_NS6detail17trampoline_kernelINS0_13select_configILj256ELj13ELNS0_17block_load_methodE3ELS4_3ELS4_3ELNS0_20block_scan_algorithmE0ELj4294967295EEENS1_25partition_config_selectorILNS1_17partition_subalgoE4EjNS0_10empty_typeEbEEZZNS1_14partition_implILS8_4ELb0ES6_15HIP_vector_typeIjLj2EENS0_17counting_iteratorIjlEEPS9_SG_NS0_5tupleIJPjSI_NS0_16reverse_iteratorISI_EEEEENSH_IJSG_SG_SG_EEES9_SI_JZNS1_25segmented_radix_sort_implINS0_14default_configELb0EPKsPsPKlPlN2at6native12_GLOBAL__N_18offset_tEEE10hipError_tPvRmT1_PNSt15iterator_traitsIS12_E10value_typeET2_T3_PNS13_IS18_E10value_typeET4_jRbjT5_S1E_jjP12ihipStream_tbEUljE_ZNSN_ISO_Lb0ESQ_SR_ST_SU_SY_EESZ_S10_S11_S12_S16_S17_S18_S1B_S1C_jS1D_jS1E_S1E_jjS1G_bEUljE0_EEESZ_S10_S11_S18_S1C_S1E_T6_T7_T9_mT8_S1G_bDpT10_ENKUlT_T0_E_clISt17integral_constantIbLb0EES1U_EEDaS1P_S1Q_EUlS1P_E_NS1_11comp_targetILNS1_3genE0ELNS1_11target_archE4294967295ELNS1_3gpuE0ELNS1_3repE0EEENS1_30default_config_static_selectorELNS0_4arch9wavefront6targetE0EEEvS12_
; %bb.0:
	.section	.rodata,"a",@progbits
	.p2align	6, 0x0
	.amdhsa_kernel _ZN7rocprim17ROCPRIM_400000_NS6detail17trampoline_kernelINS0_13select_configILj256ELj13ELNS0_17block_load_methodE3ELS4_3ELS4_3ELNS0_20block_scan_algorithmE0ELj4294967295EEENS1_25partition_config_selectorILNS1_17partition_subalgoE4EjNS0_10empty_typeEbEEZZNS1_14partition_implILS8_4ELb0ES6_15HIP_vector_typeIjLj2EENS0_17counting_iteratorIjlEEPS9_SG_NS0_5tupleIJPjSI_NS0_16reverse_iteratorISI_EEEEENSH_IJSG_SG_SG_EEES9_SI_JZNS1_25segmented_radix_sort_implINS0_14default_configELb0EPKsPsPKlPlN2at6native12_GLOBAL__N_18offset_tEEE10hipError_tPvRmT1_PNSt15iterator_traitsIS12_E10value_typeET2_T3_PNS13_IS18_E10value_typeET4_jRbjT5_S1E_jjP12ihipStream_tbEUljE_ZNSN_ISO_Lb0ESQ_SR_ST_SU_SY_EESZ_S10_S11_S12_S16_S17_S18_S1B_S1C_jS1D_jS1E_S1E_jjS1G_bEUljE0_EEESZ_S10_S11_S18_S1C_S1E_T6_T7_T9_mT8_S1G_bDpT10_ENKUlT_T0_E_clISt17integral_constantIbLb0EES1U_EEDaS1P_S1Q_EUlS1P_E_NS1_11comp_targetILNS1_3genE0ELNS1_11target_archE4294967295ELNS1_3gpuE0ELNS1_3repE0EEENS1_30default_config_static_selectorELNS0_4arch9wavefront6targetE0EEEvS12_
		.amdhsa_group_segment_fixed_size 0
		.amdhsa_private_segment_fixed_size 0
		.amdhsa_kernarg_size 176
		.amdhsa_user_sgpr_count 15
		.amdhsa_user_sgpr_dispatch_ptr 0
		.amdhsa_user_sgpr_queue_ptr 0
		.amdhsa_user_sgpr_kernarg_segment_ptr 1
		.amdhsa_user_sgpr_dispatch_id 0
		.amdhsa_user_sgpr_private_segment_size 0
		.amdhsa_wavefront_size32 1
		.amdhsa_uses_dynamic_stack 0
		.amdhsa_enable_private_segment 0
		.amdhsa_system_sgpr_workgroup_id_x 1
		.amdhsa_system_sgpr_workgroup_id_y 0
		.amdhsa_system_sgpr_workgroup_id_z 0
		.amdhsa_system_sgpr_workgroup_info 0
		.amdhsa_system_vgpr_workitem_id 0
		.amdhsa_next_free_vgpr 1
		.amdhsa_next_free_sgpr 1
		.amdhsa_reserve_vcc 0
		.amdhsa_float_round_mode_32 0
		.amdhsa_float_round_mode_16_64 0
		.amdhsa_float_denorm_mode_32 3
		.amdhsa_float_denorm_mode_16_64 3
		.amdhsa_dx10_clamp 1
		.amdhsa_ieee_mode 1
		.amdhsa_fp16_overflow 0
		.amdhsa_workgroup_processor_mode 1
		.amdhsa_memory_ordered 1
		.amdhsa_forward_progress 0
		.amdhsa_shared_vgpr_count 0
		.amdhsa_exception_fp_ieee_invalid_op 0
		.amdhsa_exception_fp_denorm_src 0
		.amdhsa_exception_fp_ieee_div_zero 0
		.amdhsa_exception_fp_ieee_overflow 0
		.amdhsa_exception_fp_ieee_underflow 0
		.amdhsa_exception_fp_ieee_inexact 0
		.amdhsa_exception_int_div_zero 0
	.end_amdhsa_kernel
	.section	.text._ZN7rocprim17ROCPRIM_400000_NS6detail17trampoline_kernelINS0_13select_configILj256ELj13ELNS0_17block_load_methodE3ELS4_3ELS4_3ELNS0_20block_scan_algorithmE0ELj4294967295EEENS1_25partition_config_selectorILNS1_17partition_subalgoE4EjNS0_10empty_typeEbEEZZNS1_14partition_implILS8_4ELb0ES6_15HIP_vector_typeIjLj2EENS0_17counting_iteratorIjlEEPS9_SG_NS0_5tupleIJPjSI_NS0_16reverse_iteratorISI_EEEEENSH_IJSG_SG_SG_EEES9_SI_JZNS1_25segmented_radix_sort_implINS0_14default_configELb0EPKsPsPKlPlN2at6native12_GLOBAL__N_18offset_tEEE10hipError_tPvRmT1_PNSt15iterator_traitsIS12_E10value_typeET2_T3_PNS13_IS18_E10value_typeET4_jRbjT5_S1E_jjP12ihipStream_tbEUljE_ZNSN_ISO_Lb0ESQ_SR_ST_SU_SY_EESZ_S10_S11_S12_S16_S17_S18_S1B_S1C_jS1D_jS1E_S1E_jjS1G_bEUljE0_EEESZ_S10_S11_S18_S1C_S1E_T6_T7_T9_mT8_S1G_bDpT10_ENKUlT_T0_E_clISt17integral_constantIbLb0EES1U_EEDaS1P_S1Q_EUlS1P_E_NS1_11comp_targetILNS1_3genE0ELNS1_11target_archE4294967295ELNS1_3gpuE0ELNS1_3repE0EEENS1_30default_config_static_selectorELNS0_4arch9wavefront6targetE0EEEvS12_,"axG",@progbits,_ZN7rocprim17ROCPRIM_400000_NS6detail17trampoline_kernelINS0_13select_configILj256ELj13ELNS0_17block_load_methodE3ELS4_3ELS4_3ELNS0_20block_scan_algorithmE0ELj4294967295EEENS1_25partition_config_selectorILNS1_17partition_subalgoE4EjNS0_10empty_typeEbEEZZNS1_14partition_implILS8_4ELb0ES6_15HIP_vector_typeIjLj2EENS0_17counting_iteratorIjlEEPS9_SG_NS0_5tupleIJPjSI_NS0_16reverse_iteratorISI_EEEEENSH_IJSG_SG_SG_EEES9_SI_JZNS1_25segmented_radix_sort_implINS0_14default_configELb0EPKsPsPKlPlN2at6native12_GLOBAL__N_18offset_tEEE10hipError_tPvRmT1_PNSt15iterator_traitsIS12_E10value_typeET2_T3_PNS13_IS18_E10value_typeET4_jRbjT5_S1E_jjP12ihipStream_tbEUljE_ZNSN_ISO_Lb0ESQ_SR_ST_SU_SY_EESZ_S10_S11_S12_S16_S17_S18_S1B_S1C_jS1D_jS1E_S1E_jjS1G_bEUljE0_EEESZ_S10_S11_S18_S1C_S1E_T6_T7_T9_mT8_S1G_bDpT10_ENKUlT_T0_E_clISt17integral_constantIbLb0EES1U_EEDaS1P_S1Q_EUlS1P_E_NS1_11comp_targetILNS1_3genE0ELNS1_11target_archE4294967295ELNS1_3gpuE0ELNS1_3repE0EEENS1_30default_config_static_selectorELNS0_4arch9wavefront6targetE0EEEvS12_,comdat
.Lfunc_end950:
	.size	_ZN7rocprim17ROCPRIM_400000_NS6detail17trampoline_kernelINS0_13select_configILj256ELj13ELNS0_17block_load_methodE3ELS4_3ELS4_3ELNS0_20block_scan_algorithmE0ELj4294967295EEENS1_25partition_config_selectorILNS1_17partition_subalgoE4EjNS0_10empty_typeEbEEZZNS1_14partition_implILS8_4ELb0ES6_15HIP_vector_typeIjLj2EENS0_17counting_iteratorIjlEEPS9_SG_NS0_5tupleIJPjSI_NS0_16reverse_iteratorISI_EEEEENSH_IJSG_SG_SG_EEES9_SI_JZNS1_25segmented_radix_sort_implINS0_14default_configELb0EPKsPsPKlPlN2at6native12_GLOBAL__N_18offset_tEEE10hipError_tPvRmT1_PNSt15iterator_traitsIS12_E10value_typeET2_T3_PNS13_IS18_E10value_typeET4_jRbjT5_S1E_jjP12ihipStream_tbEUljE_ZNSN_ISO_Lb0ESQ_SR_ST_SU_SY_EESZ_S10_S11_S12_S16_S17_S18_S1B_S1C_jS1D_jS1E_S1E_jjS1G_bEUljE0_EEESZ_S10_S11_S18_S1C_S1E_T6_T7_T9_mT8_S1G_bDpT10_ENKUlT_T0_E_clISt17integral_constantIbLb0EES1U_EEDaS1P_S1Q_EUlS1P_E_NS1_11comp_targetILNS1_3genE0ELNS1_11target_archE4294967295ELNS1_3gpuE0ELNS1_3repE0EEENS1_30default_config_static_selectorELNS0_4arch9wavefront6targetE0EEEvS12_, .Lfunc_end950-_ZN7rocprim17ROCPRIM_400000_NS6detail17trampoline_kernelINS0_13select_configILj256ELj13ELNS0_17block_load_methodE3ELS4_3ELS4_3ELNS0_20block_scan_algorithmE0ELj4294967295EEENS1_25partition_config_selectorILNS1_17partition_subalgoE4EjNS0_10empty_typeEbEEZZNS1_14partition_implILS8_4ELb0ES6_15HIP_vector_typeIjLj2EENS0_17counting_iteratorIjlEEPS9_SG_NS0_5tupleIJPjSI_NS0_16reverse_iteratorISI_EEEEENSH_IJSG_SG_SG_EEES9_SI_JZNS1_25segmented_radix_sort_implINS0_14default_configELb0EPKsPsPKlPlN2at6native12_GLOBAL__N_18offset_tEEE10hipError_tPvRmT1_PNSt15iterator_traitsIS12_E10value_typeET2_T3_PNS13_IS18_E10value_typeET4_jRbjT5_S1E_jjP12ihipStream_tbEUljE_ZNSN_ISO_Lb0ESQ_SR_ST_SU_SY_EESZ_S10_S11_S12_S16_S17_S18_S1B_S1C_jS1D_jS1E_S1E_jjS1G_bEUljE0_EEESZ_S10_S11_S18_S1C_S1E_T6_T7_T9_mT8_S1G_bDpT10_ENKUlT_T0_E_clISt17integral_constantIbLb0EES1U_EEDaS1P_S1Q_EUlS1P_E_NS1_11comp_targetILNS1_3genE0ELNS1_11target_archE4294967295ELNS1_3gpuE0ELNS1_3repE0EEENS1_30default_config_static_selectorELNS0_4arch9wavefront6targetE0EEEvS12_
                                        ; -- End function
	.section	.AMDGPU.csdata,"",@progbits
; Kernel info:
; codeLenInByte = 0
; NumSgprs: 0
; NumVgprs: 0
; ScratchSize: 0
; MemoryBound: 0
; FloatMode: 240
; IeeeMode: 1
; LDSByteSize: 0 bytes/workgroup (compile time only)
; SGPRBlocks: 0
; VGPRBlocks: 0
; NumSGPRsForWavesPerEU: 1
; NumVGPRsForWavesPerEU: 1
; Occupancy: 16
; WaveLimiterHint : 0
; COMPUTE_PGM_RSRC2:SCRATCH_EN: 0
; COMPUTE_PGM_RSRC2:USER_SGPR: 15
; COMPUTE_PGM_RSRC2:TRAP_HANDLER: 0
; COMPUTE_PGM_RSRC2:TGID_X_EN: 1
; COMPUTE_PGM_RSRC2:TGID_Y_EN: 0
; COMPUTE_PGM_RSRC2:TGID_Z_EN: 0
; COMPUTE_PGM_RSRC2:TIDIG_COMP_CNT: 0
	.section	.text._ZN7rocprim17ROCPRIM_400000_NS6detail17trampoline_kernelINS0_13select_configILj256ELj13ELNS0_17block_load_methodE3ELS4_3ELS4_3ELNS0_20block_scan_algorithmE0ELj4294967295EEENS1_25partition_config_selectorILNS1_17partition_subalgoE4EjNS0_10empty_typeEbEEZZNS1_14partition_implILS8_4ELb0ES6_15HIP_vector_typeIjLj2EENS0_17counting_iteratorIjlEEPS9_SG_NS0_5tupleIJPjSI_NS0_16reverse_iteratorISI_EEEEENSH_IJSG_SG_SG_EEES9_SI_JZNS1_25segmented_radix_sort_implINS0_14default_configELb0EPKsPsPKlPlN2at6native12_GLOBAL__N_18offset_tEEE10hipError_tPvRmT1_PNSt15iterator_traitsIS12_E10value_typeET2_T3_PNS13_IS18_E10value_typeET4_jRbjT5_S1E_jjP12ihipStream_tbEUljE_ZNSN_ISO_Lb0ESQ_SR_ST_SU_SY_EESZ_S10_S11_S12_S16_S17_S18_S1B_S1C_jS1D_jS1E_S1E_jjS1G_bEUljE0_EEESZ_S10_S11_S18_S1C_S1E_T6_T7_T9_mT8_S1G_bDpT10_ENKUlT_T0_E_clISt17integral_constantIbLb0EES1U_EEDaS1P_S1Q_EUlS1P_E_NS1_11comp_targetILNS1_3genE5ELNS1_11target_archE942ELNS1_3gpuE9ELNS1_3repE0EEENS1_30default_config_static_selectorELNS0_4arch9wavefront6targetE0EEEvS12_,"axG",@progbits,_ZN7rocprim17ROCPRIM_400000_NS6detail17trampoline_kernelINS0_13select_configILj256ELj13ELNS0_17block_load_methodE3ELS4_3ELS4_3ELNS0_20block_scan_algorithmE0ELj4294967295EEENS1_25partition_config_selectorILNS1_17partition_subalgoE4EjNS0_10empty_typeEbEEZZNS1_14partition_implILS8_4ELb0ES6_15HIP_vector_typeIjLj2EENS0_17counting_iteratorIjlEEPS9_SG_NS0_5tupleIJPjSI_NS0_16reverse_iteratorISI_EEEEENSH_IJSG_SG_SG_EEES9_SI_JZNS1_25segmented_radix_sort_implINS0_14default_configELb0EPKsPsPKlPlN2at6native12_GLOBAL__N_18offset_tEEE10hipError_tPvRmT1_PNSt15iterator_traitsIS12_E10value_typeET2_T3_PNS13_IS18_E10value_typeET4_jRbjT5_S1E_jjP12ihipStream_tbEUljE_ZNSN_ISO_Lb0ESQ_SR_ST_SU_SY_EESZ_S10_S11_S12_S16_S17_S18_S1B_S1C_jS1D_jS1E_S1E_jjS1G_bEUljE0_EEESZ_S10_S11_S18_S1C_S1E_T6_T7_T9_mT8_S1G_bDpT10_ENKUlT_T0_E_clISt17integral_constantIbLb0EES1U_EEDaS1P_S1Q_EUlS1P_E_NS1_11comp_targetILNS1_3genE5ELNS1_11target_archE942ELNS1_3gpuE9ELNS1_3repE0EEENS1_30default_config_static_selectorELNS0_4arch9wavefront6targetE0EEEvS12_,comdat
	.globl	_ZN7rocprim17ROCPRIM_400000_NS6detail17trampoline_kernelINS0_13select_configILj256ELj13ELNS0_17block_load_methodE3ELS4_3ELS4_3ELNS0_20block_scan_algorithmE0ELj4294967295EEENS1_25partition_config_selectorILNS1_17partition_subalgoE4EjNS0_10empty_typeEbEEZZNS1_14partition_implILS8_4ELb0ES6_15HIP_vector_typeIjLj2EENS0_17counting_iteratorIjlEEPS9_SG_NS0_5tupleIJPjSI_NS0_16reverse_iteratorISI_EEEEENSH_IJSG_SG_SG_EEES9_SI_JZNS1_25segmented_radix_sort_implINS0_14default_configELb0EPKsPsPKlPlN2at6native12_GLOBAL__N_18offset_tEEE10hipError_tPvRmT1_PNSt15iterator_traitsIS12_E10value_typeET2_T3_PNS13_IS18_E10value_typeET4_jRbjT5_S1E_jjP12ihipStream_tbEUljE_ZNSN_ISO_Lb0ESQ_SR_ST_SU_SY_EESZ_S10_S11_S12_S16_S17_S18_S1B_S1C_jS1D_jS1E_S1E_jjS1G_bEUljE0_EEESZ_S10_S11_S18_S1C_S1E_T6_T7_T9_mT8_S1G_bDpT10_ENKUlT_T0_E_clISt17integral_constantIbLb0EES1U_EEDaS1P_S1Q_EUlS1P_E_NS1_11comp_targetILNS1_3genE5ELNS1_11target_archE942ELNS1_3gpuE9ELNS1_3repE0EEENS1_30default_config_static_selectorELNS0_4arch9wavefront6targetE0EEEvS12_ ; -- Begin function _ZN7rocprim17ROCPRIM_400000_NS6detail17trampoline_kernelINS0_13select_configILj256ELj13ELNS0_17block_load_methodE3ELS4_3ELS4_3ELNS0_20block_scan_algorithmE0ELj4294967295EEENS1_25partition_config_selectorILNS1_17partition_subalgoE4EjNS0_10empty_typeEbEEZZNS1_14partition_implILS8_4ELb0ES6_15HIP_vector_typeIjLj2EENS0_17counting_iteratorIjlEEPS9_SG_NS0_5tupleIJPjSI_NS0_16reverse_iteratorISI_EEEEENSH_IJSG_SG_SG_EEES9_SI_JZNS1_25segmented_radix_sort_implINS0_14default_configELb0EPKsPsPKlPlN2at6native12_GLOBAL__N_18offset_tEEE10hipError_tPvRmT1_PNSt15iterator_traitsIS12_E10value_typeET2_T3_PNS13_IS18_E10value_typeET4_jRbjT5_S1E_jjP12ihipStream_tbEUljE_ZNSN_ISO_Lb0ESQ_SR_ST_SU_SY_EESZ_S10_S11_S12_S16_S17_S18_S1B_S1C_jS1D_jS1E_S1E_jjS1G_bEUljE0_EEESZ_S10_S11_S18_S1C_S1E_T6_T7_T9_mT8_S1G_bDpT10_ENKUlT_T0_E_clISt17integral_constantIbLb0EES1U_EEDaS1P_S1Q_EUlS1P_E_NS1_11comp_targetILNS1_3genE5ELNS1_11target_archE942ELNS1_3gpuE9ELNS1_3repE0EEENS1_30default_config_static_selectorELNS0_4arch9wavefront6targetE0EEEvS12_
	.p2align	8
	.type	_ZN7rocprim17ROCPRIM_400000_NS6detail17trampoline_kernelINS0_13select_configILj256ELj13ELNS0_17block_load_methodE3ELS4_3ELS4_3ELNS0_20block_scan_algorithmE0ELj4294967295EEENS1_25partition_config_selectorILNS1_17partition_subalgoE4EjNS0_10empty_typeEbEEZZNS1_14partition_implILS8_4ELb0ES6_15HIP_vector_typeIjLj2EENS0_17counting_iteratorIjlEEPS9_SG_NS0_5tupleIJPjSI_NS0_16reverse_iteratorISI_EEEEENSH_IJSG_SG_SG_EEES9_SI_JZNS1_25segmented_radix_sort_implINS0_14default_configELb0EPKsPsPKlPlN2at6native12_GLOBAL__N_18offset_tEEE10hipError_tPvRmT1_PNSt15iterator_traitsIS12_E10value_typeET2_T3_PNS13_IS18_E10value_typeET4_jRbjT5_S1E_jjP12ihipStream_tbEUljE_ZNSN_ISO_Lb0ESQ_SR_ST_SU_SY_EESZ_S10_S11_S12_S16_S17_S18_S1B_S1C_jS1D_jS1E_S1E_jjS1G_bEUljE0_EEESZ_S10_S11_S18_S1C_S1E_T6_T7_T9_mT8_S1G_bDpT10_ENKUlT_T0_E_clISt17integral_constantIbLb0EES1U_EEDaS1P_S1Q_EUlS1P_E_NS1_11comp_targetILNS1_3genE5ELNS1_11target_archE942ELNS1_3gpuE9ELNS1_3repE0EEENS1_30default_config_static_selectorELNS0_4arch9wavefront6targetE0EEEvS12_,@function
_ZN7rocprim17ROCPRIM_400000_NS6detail17trampoline_kernelINS0_13select_configILj256ELj13ELNS0_17block_load_methodE3ELS4_3ELS4_3ELNS0_20block_scan_algorithmE0ELj4294967295EEENS1_25partition_config_selectorILNS1_17partition_subalgoE4EjNS0_10empty_typeEbEEZZNS1_14partition_implILS8_4ELb0ES6_15HIP_vector_typeIjLj2EENS0_17counting_iteratorIjlEEPS9_SG_NS0_5tupleIJPjSI_NS0_16reverse_iteratorISI_EEEEENSH_IJSG_SG_SG_EEES9_SI_JZNS1_25segmented_radix_sort_implINS0_14default_configELb0EPKsPsPKlPlN2at6native12_GLOBAL__N_18offset_tEEE10hipError_tPvRmT1_PNSt15iterator_traitsIS12_E10value_typeET2_T3_PNS13_IS18_E10value_typeET4_jRbjT5_S1E_jjP12ihipStream_tbEUljE_ZNSN_ISO_Lb0ESQ_SR_ST_SU_SY_EESZ_S10_S11_S12_S16_S17_S18_S1B_S1C_jS1D_jS1E_S1E_jjS1G_bEUljE0_EEESZ_S10_S11_S18_S1C_S1E_T6_T7_T9_mT8_S1G_bDpT10_ENKUlT_T0_E_clISt17integral_constantIbLb0EES1U_EEDaS1P_S1Q_EUlS1P_E_NS1_11comp_targetILNS1_3genE5ELNS1_11target_archE942ELNS1_3gpuE9ELNS1_3repE0EEENS1_30default_config_static_selectorELNS0_4arch9wavefront6targetE0EEEvS12_: ; @_ZN7rocprim17ROCPRIM_400000_NS6detail17trampoline_kernelINS0_13select_configILj256ELj13ELNS0_17block_load_methodE3ELS4_3ELS4_3ELNS0_20block_scan_algorithmE0ELj4294967295EEENS1_25partition_config_selectorILNS1_17partition_subalgoE4EjNS0_10empty_typeEbEEZZNS1_14partition_implILS8_4ELb0ES6_15HIP_vector_typeIjLj2EENS0_17counting_iteratorIjlEEPS9_SG_NS0_5tupleIJPjSI_NS0_16reverse_iteratorISI_EEEEENSH_IJSG_SG_SG_EEES9_SI_JZNS1_25segmented_radix_sort_implINS0_14default_configELb0EPKsPsPKlPlN2at6native12_GLOBAL__N_18offset_tEEE10hipError_tPvRmT1_PNSt15iterator_traitsIS12_E10value_typeET2_T3_PNS13_IS18_E10value_typeET4_jRbjT5_S1E_jjP12ihipStream_tbEUljE_ZNSN_ISO_Lb0ESQ_SR_ST_SU_SY_EESZ_S10_S11_S12_S16_S17_S18_S1B_S1C_jS1D_jS1E_S1E_jjS1G_bEUljE0_EEESZ_S10_S11_S18_S1C_S1E_T6_T7_T9_mT8_S1G_bDpT10_ENKUlT_T0_E_clISt17integral_constantIbLb0EES1U_EEDaS1P_S1Q_EUlS1P_E_NS1_11comp_targetILNS1_3genE5ELNS1_11target_archE942ELNS1_3gpuE9ELNS1_3repE0EEENS1_30default_config_static_selectorELNS0_4arch9wavefront6targetE0EEEvS12_
; %bb.0:
	.section	.rodata,"a",@progbits
	.p2align	6, 0x0
	.amdhsa_kernel _ZN7rocprim17ROCPRIM_400000_NS6detail17trampoline_kernelINS0_13select_configILj256ELj13ELNS0_17block_load_methodE3ELS4_3ELS4_3ELNS0_20block_scan_algorithmE0ELj4294967295EEENS1_25partition_config_selectorILNS1_17partition_subalgoE4EjNS0_10empty_typeEbEEZZNS1_14partition_implILS8_4ELb0ES6_15HIP_vector_typeIjLj2EENS0_17counting_iteratorIjlEEPS9_SG_NS0_5tupleIJPjSI_NS0_16reverse_iteratorISI_EEEEENSH_IJSG_SG_SG_EEES9_SI_JZNS1_25segmented_radix_sort_implINS0_14default_configELb0EPKsPsPKlPlN2at6native12_GLOBAL__N_18offset_tEEE10hipError_tPvRmT1_PNSt15iterator_traitsIS12_E10value_typeET2_T3_PNS13_IS18_E10value_typeET4_jRbjT5_S1E_jjP12ihipStream_tbEUljE_ZNSN_ISO_Lb0ESQ_SR_ST_SU_SY_EESZ_S10_S11_S12_S16_S17_S18_S1B_S1C_jS1D_jS1E_S1E_jjS1G_bEUljE0_EEESZ_S10_S11_S18_S1C_S1E_T6_T7_T9_mT8_S1G_bDpT10_ENKUlT_T0_E_clISt17integral_constantIbLb0EES1U_EEDaS1P_S1Q_EUlS1P_E_NS1_11comp_targetILNS1_3genE5ELNS1_11target_archE942ELNS1_3gpuE9ELNS1_3repE0EEENS1_30default_config_static_selectorELNS0_4arch9wavefront6targetE0EEEvS12_
		.amdhsa_group_segment_fixed_size 0
		.amdhsa_private_segment_fixed_size 0
		.amdhsa_kernarg_size 176
		.amdhsa_user_sgpr_count 15
		.amdhsa_user_sgpr_dispatch_ptr 0
		.amdhsa_user_sgpr_queue_ptr 0
		.amdhsa_user_sgpr_kernarg_segment_ptr 1
		.amdhsa_user_sgpr_dispatch_id 0
		.amdhsa_user_sgpr_private_segment_size 0
		.amdhsa_wavefront_size32 1
		.amdhsa_uses_dynamic_stack 0
		.amdhsa_enable_private_segment 0
		.amdhsa_system_sgpr_workgroup_id_x 1
		.amdhsa_system_sgpr_workgroup_id_y 0
		.amdhsa_system_sgpr_workgroup_id_z 0
		.amdhsa_system_sgpr_workgroup_info 0
		.amdhsa_system_vgpr_workitem_id 0
		.amdhsa_next_free_vgpr 1
		.amdhsa_next_free_sgpr 1
		.amdhsa_reserve_vcc 0
		.amdhsa_float_round_mode_32 0
		.amdhsa_float_round_mode_16_64 0
		.amdhsa_float_denorm_mode_32 3
		.amdhsa_float_denorm_mode_16_64 3
		.amdhsa_dx10_clamp 1
		.amdhsa_ieee_mode 1
		.amdhsa_fp16_overflow 0
		.amdhsa_workgroup_processor_mode 1
		.amdhsa_memory_ordered 1
		.amdhsa_forward_progress 0
		.amdhsa_shared_vgpr_count 0
		.amdhsa_exception_fp_ieee_invalid_op 0
		.amdhsa_exception_fp_denorm_src 0
		.amdhsa_exception_fp_ieee_div_zero 0
		.amdhsa_exception_fp_ieee_overflow 0
		.amdhsa_exception_fp_ieee_underflow 0
		.amdhsa_exception_fp_ieee_inexact 0
		.amdhsa_exception_int_div_zero 0
	.end_amdhsa_kernel
	.section	.text._ZN7rocprim17ROCPRIM_400000_NS6detail17trampoline_kernelINS0_13select_configILj256ELj13ELNS0_17block_load_methodE3ELS4_3ELS4_3ELNS0_20block_scan_algorithmE0ELj4294967295EEENS1_25partition_config_selectorILNS1_17partition_subalgoE4EjNS0_10empty_typeEbEEZZNS1_14partition_implILS8_4ELb0ES6_15HIP_vector_typeIjLj2EENS0_17counting_iteratorIjlEEPS9_SG_NS0_5tupleIJPjSI_NS0_16reverse_iteratorISI_EEEEENSH_IJSG_SG_SG_EEES9_SI_JZNS1_25segmented_radix_sort_implINS0_14default_configELb0EPKsPsPKlPlN2at6native12_GLOBAL__N_18offset_tEEE10hipError_tPvRmT1_PNSt15iterator_traitsIS12_E10value_typeET2_T3_PNS13_IS18_E10value_typeET4_jRbjT5_S1E_jjP12ihipStream_tbEUljE_ZNSN_ISO_Lb0ESQ_SR_ST_SU_SY_EESZ_S10_S11_S12_S16_S17_S18_S1B_S1C_jS1D_jS1E_S1E_jjS1G_bEUljE0_EEESZ_S10_S11_S18_S1C_S1E_T6_T7_T9_mT8_S1G_bDpT10_ENKUlT_T0_E_clISt17integral_constantIbLb0EES1U_EEDaS1P_S1Q_EUlS1P_E_NS1_11comp_targetILNS1_3genE5ELNS1_11target_archE942ELNS1_3gpuE9ELNS1_3repE0EEENS1_30default_config_static_selectorELNS0_4arch9wavefront6targetE0EEEvS12_,"axG",@progbits,_ZN7rocprim17ROCPRIM_400000_NS6detail17trampoline_kernelINS0_13select_configILj256ELj13ELNS0_17block_load_methodE3ELS4_3ELS4_3ELNS0_20block_scan_algorithmE0ELj4294967295EEENS1_25partition_config_selectorILNS1_17partition_subalgoE4EjNS0_10empty_typeEbEEZZNS1_14partition_implILS8_4ELb0ES6_15HIP_vector_typeIjLj2EENS0_17counting_iteratorIjlEEPS9_SG_NS0_5tupleIJPjSI_NS0_16reverse_iteratorISI_EEEEENSH_IJSG_SG_SG_EEES9_SI_JZNS1_25segmented_radix_sort_implINS0_14default_configELb0EPKsPsPKlPlN2at6native12_GLOBAL__N_18offset_tEEE10hipError_tPvRmT1_PNSt15iterator_traitsIS12_E10value_typeET2_T3_PNS13_IS18_E10value_typeET4_jRbjT5_S1E_jjP12ihipStream_tbEUljE_ZNSN_ISO_Lb0ESQ_SR_ST_SU_SY_EESZ_S10_S11_S12_S16_S17_S18_S1B_S1C_jS1D_jS1E_S1E_jjS1G_bEUljE0_EEESZ_S10_S11_S18_S1C_S1E_T6_T7_T9_mT8_S1G_bDpT10_ENKUlT_T0_E_clISt17integral_constantIbLb0EES1U_EEDaS1P_S1Q_EUlS1P_E_NS1_11comp_targetILNS1_3genE5ELNS1_11target_archE942ELNS1_3gpuE9ELNS1_3repE0EEENS1_30default_config_static_selectorELNS0_4arch9wavefront6targetE0EEEvS12_,comdat
.Lfunc_end951:
	.size	_ZN7rocprim17ROCPRIM_400000_NS6detail17trampoline_kernelINS0_13select_configILj256ELj13ELNS0_17block_load_methodE3ELS4_3ELS4_3ELNS0_20block_scan_algorithmE0ELj4294967295EEENS1_25partition_config_selectorILNS1_17partition_subalgoE4EjNS0_10empty_typeEbEEZZNS1_14partition_implILS8_4ELb0ES6_15HIP_vector_typeIjLj2EENS0_17counting_iteratorIjlEEPS9_SG_NS0_5tupleIJPjSI_NS0_16reverse_iteratorISI_EEEEENSH_IJSG_SG_SG_EEES9_SI_JZNS1_25segmented_radix_sort_implINS0_14default_configELb0EPKsPsPKlPlN2at6native12_GLOBAL__N_18offset_tEEE10hipError_tPvRmT1_PNSt15iterator_traitsIS12_E10value_typeET2_T3_PNS13_IS18_E10value_typeET4_jRbjT5_S1E_jjP12ihipStream_tbEUljE_ZNSN_ISO_Lb0ESQ_SR_ST_SU_SY_EESZ_S10_S11_S12_S16_S17_S18_S1B_S1C_jS1D_jS1E_S1E_jjS1G_bEUljE0_EEESZ_S10_S11_S18_S1C_S1E_T6_T7_T9_mT8_S1G_bDpT10_ENKUlT_T0_E_clISt17integral_constantIbLb0EES1U_EEDaS1P_S1Q_EUlS1P_E_NS1_11comp_targetILNS1_3genE5ELNS1_11target_archE942ELNS1_3gpuE9ELNS1_3repE0EEENS1_30default_config_static_selectorELNS0_4arch9wavefront6targetE0EEEvS12_, .Lfunc_end951-_ZN7rocprim17ROCPRIM_400000_NS6detail17trampoline_kernelINS0_13select_configILj256ELj13ELNS0_17block_load_methodE3ELS4_3ELS4_3ELNS0_20block_scan_algorithmE0ELj4294967295EEENS1_25partition_config_selectorILNS1_17partition_subalgoE4EjNS0_10empty_typeEbEEZZNS1_14partition_implILS8_4ELb0ES6_15HIP_vector_typeIjLj2EENS0_17counting_iteratorIjlEEPS9_SG_NS0_5tupleIJPjSI_NS0_16reverse_iteratorISI_EEEEENSH_IJSG_SG_SG_EEES9_SI_JZNS1_25segmented_radix_sort_implINS0_14default_configELb0EPKsPsPKlPlN2at6native12_GLOBAL__N_18offset_tEEE10hipError_tPvRmT1_PNSt15iterator_traitsIS12_E10value_typeET2_T3_PNS13_IS18_E10value_typeET4_jRbjT5_S1E_jjP12ihipStream_tbEUljE_ZNSN_ISO_Lb0ESQ_SR_ST_SU_SY_EESZ_S10_S11_S12_S16_S17_S18_S1B_S1C_jS1D_jS1E_S1E_jjS1G_bEUljE0_EEESZ_S10_S11_S18_S1C_S1E_T6_T7_T9_mT8_S1G_bDpT10_ENKUlT_T0_E_clISt17integral_constantIbLb0EES1U_EEDaS1P_S1Q_EUlS1P_E_NS1_11comp_targetILNS1_3genE5ELNS1_11target_archE942ELNS1_3gpuE9ELNS1_3repE0EEENS1_30default_config_static_selectorELNS0_4arch9wavefront6targetE0EEEvS12_
                                        ; -- End function
	.section	.AMDGPU.csdata,"",@progbits
; Kernel info:
; codeLenInByte = 0
; NumSgprs: 0
; NumVgprs: 0
; ScratchSize: 0
; MemoryBound: 0
; FloatMode: 240
; IeeeMode: 1
; LDSByteSize: 0 bytes/workgroup (compile time only)
; SGPRBlocks: 0
; VGPRBlocks: 0
; NumSGPRsForWavesPerEU: 1
; NumVGPRsForWavesPerEU: 1
; Occupancy: 16
; WaveLimiterHint : 0
; COMPUTE_PGM_RSRC2:SCRATCH_EN: 0
; COMPUTE_PGM_RSRC2:USER_SGPR: 15
; COMPUTE_PGM_RSRC2:TRAP_HANDLER: 0
; COMPUTE_PGM_RSRC2:TGID_X_EN: 1
; COMPUTE_PGM_RSRC2:TGID_Y_EN: 0
; COMPUTE_PGM_RSRC2:TGID_Z_EN: 0
; COMPUTE_PGM_RSRC2:TIDIG_COMP_CNT: 0
	.section	.text._ZN7rocprim17ROCPRIM_400000_NS6detail17trampoline_kernelINS0_13select_configILj256ELj13ELNS0_17block_load_methodE3ELS4_3ELS4_3ELNS0_20block_scan_algorithmE0ELj4294967295EEENS1_25partition_config_selectorILNS1_17partition_subalgoE4EjNS0_10empty_typeEbEEZZNS1_14partition_implILS8_4ELb0ES6_15HIP_vector_typeIjLj2EENS0_17counting_iteratorIjlEEPS9_SG_NS0_5tupleIJPjSI_NS0_16reverse_iteratorISI_EEEEENSH_IJSG_SG_SG_EEES9_SI_JZNS1_25segmented_radix_sort_implINS0_14default_configELb0EPKsPsPKlPlN2at6native12_GLOBAL__N_18offset_tEEE10hipError_tPvRmT1_PNSt15iterator_traitsIS12_E10value_typeET2_T3_PNS13_IS18_E10value_typeET4_jRbjT5_S1E_jjP12ihipStream_tbEUljE_ZNSN_ISO_Lb0ESQ_SR_ST_SU_SY_EESZ_S10_S11_S12_S16_S17_S18_S1B_S1C_jS1D_jS1E_S1E_jjS1G_bEUljE0_EEESZ_S10_S11_S18_S1C_S1E_T6_T7_T9_mT8_S1G_bDpT10_ENKUlT_T0_E_clISt17integral_constantIbLb0EES1U_EEDaS1P_S1Q_EUlS1P_E_NS1_11comp_targetILNS1_3genE4ELNS1_11target_archE910ELNS1_3gpuE8ELNS1_3repE0EEENS1_30default_config_static_selectorELNS0_4arch9wavefront6targetE0EEEvS12_,"axG",@progbits,_ZN7rocprim17ROCPRIM_400000_NS6detail17trampoline_kernelINS0_13select_configILj256ELj13ELNS0_17block_load_methodE3ELS4_3ELS4_3ELNS0_20block_scan_algorithmE0ELj4294967295EEENS1_25partition_config_selectorILNS1_17partition_subalgoE4EjNS0_10empty_typeEbEEZZNS1_14partition_implILS8_4ELb0ES6_15HIP_vector_typeIjLj2EENS0_17counting_iteratorIjlEEPS9_SG_NS0_5tupleIJPjSI_NS0_16reverse_iteratorISI_EEEEENSH_IJSG_SG_SG_EEES9_SI_JZNS1_25segmented_radix_sort_implINS0_14default_configELb0EPKsPsPKlPlN2at6native12_GLOBAL__N_18offset_tEEE10hipError_tPvRmT1_PNSt15iterator_traitsIS12_E10value_typeET2_T3_PNS13_IS18_E10value_typeET4_jRbjT5_S1E_jjP12ihipStream_tbEUljE_ZNSN_ISO_Lb0ESQ_SR_ST_SU_SY_EESZ_S10_S11_S12_S16_S17_S18_S1B_S1C_jS1D_jS1E_S1E_jjS1G_bEUljE0_EEESZ_S10_S11_S18_S1C_S1E_T6_T7_T9_mT8_S1G_bDpT10_ENKUlT_T0_E_clISt17integral_constantIbLb0EES1U_EEDaS1P_S1Q_EUlS1P_E_NS1_11comp_targetILNS1_3genE4ELNS1_11target_archE910ELNS1_3gpuE8ELNS1_3repE0EEENS1_30default_config_static_selectorELNS0_4arch9wavefront6targetE0EEEvS12_,comdat
	.globl	_ZN7rocprim17ROCPRIM_400000_NS6detail17trampoline_kernelINS0_13select_configILj256ELj13ELNS0_17block_load_methodE3ELS4_3ELS4_3ELNS0_20block_scan_algorithmE0ELj4294967295EEENS1_25partition_config_selectorILNS1_17partition_subalgoE4EjNS0_10empty_typeEbEEZZNS1_14partition_implILS8_4ELb0ES6_15HIP_vector_typeIjLj2EENS0_17counting_iteratorIjlEEPS9_SG_NS0_5tupleIJPjSI_NS0_16reverse_iteratorISI_EEEEENSH_IJSG_SG_SG_EEES9_SI_JZNS1_25segmented_radix_sort_implINS0_14default_configELb0EPKsPsPKlPlN2at6native12_GLOBAL__N_18offset_tEEE10hipError_tPvRmT1_PNSt15iterator_traitsIS12_E10value_typeET2_T3_PNS13_IS18_E10value_typeET4_jRbjT5_S1E_jjP12ihipStream_tbEUljE_ZNSN_ISO_Lb0ESQ_SR_ST_SU_SY_EESZ_S10_S11_S12_S16_S17_S18_S1B_S1C_jS1D_jS1E_S1E_jjS1G_bEUljE0_EEESZ_S10_S11_S18_S1C_S1E_T6_T7_T9_mT8_S1G_bDpT10_ENKUlT_T0_E_clISt17integral_constantIbLb0EES1U_EEDaS1P_S1Q_EUlS1P_E_NS1_11comp_targetILNS1_3genE4ELNS1_11target_archE910ELNS1_3gpuE8ELNS1_3repE0EEENS1_30default_config_static_selectorELNS0_4arch9wavefront6targetE0EEEvS12_ ; -- Begin function _ZN7rocprim17ROCPRIM_400000_NS6detail17trampoline_kernelINS0_13select_configILj256ELj13ELNS0_17block_load_methodE3ELS4_3ELS4_3ELNS0_20block_scan_algorithmE0ELj4294967295EEENS1_25partition_config_selectorILNS1_17partition_subalgoE4EjNS0_10empty_typeEbEEZZNS1_14partition_implILS8_4ELb0ES6_15HIP_vector_typeIjLj2EENS0_17counting_iteratorIjlEEPS9_SG_NS0_5tupleIJPjSI_NS0_16reverse_iteratorISI_EEEEENSH_IJSG_SG_SG_EEES9_SI_JZNS1_25segmented_radix_sort_implINS0_14default_configELb0EPKsPsPKlPlN2at6native12_GLOBAL__N_18offset_tEEE10hipError_tPvRmT1_PNSt15iterator_traitsIS12_E10value_typeET2_T3_PNS13_IS18_E10value_typeET4_jRbjT5_S1E_jjP12ihipStream_tbEUljE_ZNSN_ISO_Lb0ESQ_SR_ST_SU_SY_EESZ_S10_S11_S12_S16_S17_S18_S1B_S1C_jS1D_jS1E_S1E_jjS1G_bEUljE0_EEESZ_S10_S11_S18_S1C_S1E_T6_T7_T9_mT8_S1G_bDpT10_ENKUlT_T0_E_clISt17integral_constantIbLb0EES1U_EEDaS1P_S1Q_EUlS1P_E_NS1_11comp_targetILNS1_3genE4ELNS1_11target_archE910ELNS1_3gpuE8ELNS1_3repE0EEENS1_30default_config_static_selectorELNS0_4arch9wavefront6targetE0EEEvS12_
	.p2align	8
	.type	_ZN7rocprim17ROCPRIM_400000_NS6detail17trampoline_kernelINS0_13select_configILj256ELj13ELNS0_17block_load_methodE3ELS4_3ELS4_3ELNS0_20block_scan_algorithmE0ELj4294967295EEENS1_25partition_config_selectorILNS1_17partition_subalgoE4EjNS0_10empty_typeEbEEZZNS1_14partition_implILS8_4ELb0ES6_15HIP_vector_typeIjLj2EENS0_17counting_iteratorIjlEEPS9_SG_NS0_5tupleIJPjSI_NS0_16reverse_iteratorISI_EEEEENSH_IJSG_SG_SG_EEES9_SI_JZNS1_25segmented_radix_sort_implINS0_14default_configELb0EPKsPsPKlPlN2at6native12_GLOBAL__N_18offset_tEEE10hipError_tPvRmT1_PNSt15iterator_traitsIS12_E10value_typeET2_T3_PNS13_IS18_E10value_typeET4_jRbjT5_S1E_jjP12ihipStream_tbEUljE_ZNSN_ISO_Lb0ESQ_SR_ST_SU_SY_EESZ_S10_S11_S12_S16_S17_S18_S1B_S1C_jS1D_jS1E_S1E_jjS1G_bEUljE0_EEESZ_S10_S11_S18_S1C_S1E_T6_T7_T9_mT8_S1G_bDpT10_ENKUlT_T0_E_clISt17integral_constantIbLb0EES1U_EEDaS1P_S1Q_EUlS1P_E_NS1_11comp_targetILNS1_3genE4ELNS1_11target_archE910ELNS1_3gpuE8ELNS1_3repE0EEENS1_30default_config_static_selectorELNS0_4arch9wavefront6targetE0EEEvS12_,@function
_ZN7rocprim17ROCPRIM_400000_NS6detail17trampoline_kernelINS0_13select_configILj256ELj13ELNS0_17block_load_methodE3ELS4_3ELS4_3ELNS0_20block_scan_algorithmE0ELj4294967295EEENS1_25partition_config_selectorILNS1_17partition_subalgoE4EjNS0_10empty_typeEbEEZZNS1_14partition_implILS8_4ELb0ES6_15HIP_vector_typeIjLj2EENS0_17counting_iteratorIjlEEPS9_SG_NS0_5tupleIJPjSI_NS0_16reverse_iteratorISI_EEEEENSH_IJSG_SG_SG_EEES9_SI_JZNS1_25segmented_radix_sort_implINS0_14default_configELb0EPKsPsPKlPlN2at6native12_GLOBAL__N_18offset_tEEE10hipError_tPvRmT1_PNSt15iterator_traitsIS12_E10value_typeET2_T3_PNS13_IS18_E10value_typeET4_jRbjT5_S1E_jjP12ihipStream_tbEUljE_ZNSN_ISO_Lb0ESQ_SR_ST_SU_SY_EESZ_S10_S11_S12_S16_S17_S18_S1B_S1C_jS1D_jS1E_S1E_jjS1G_bEUljE0_EEESZ_S10_S11_S18_S1C_S1E_T6_T7_T9_mT8_S1G_bDpT10_ENKUlT_T0_E_clISt17integral_constantIbLb0EES1U_EEDaS1P_S1Q_EUlS1P_E_NS1_11comp_targetILNS1_3genE4ELNS1_11target_archE910ELNS1_3gpuE8ELNS1_3repE0EEENS1_30default_config_static_selectorELNS0_4arch9wavefront6targetE0EEEvS12_: ; @_ZN7rocprim17ROCPRIM_400000_NS6detail17trampoline_kernelINS0_13select_configILj256ELj13ELNS0_17block_load_methodE3ELS4_3ELS4_3ELNS0_20block_scan_algorithmE0ELj4294967295EEENS1_25partition_config_selectorILNS1_17partition_subalgoE4EjNS0_10empty_typeEbEEZZNS1_14partition_implILS8_4ELb0ES6_15HIP_vector_typeIjLj2EENS0_17counting_iteratorIjlEEPS9_SG_NS0_5tupleIJPjSI_NS0_16reverse_iteratorISI_EEEEENSH_IJSG_SG_SG_EEES9_SI_JZNS1_25segmented_radix_sort_implINS0_14default_configELb0EPKsPsPKlPlN2at6native12_GLOBAL__N_18offset_tEEE10hipError_tPvRmT1_PNSt15iterator_traitsIS12_E10value_typeET2_T3_PNS13_IS18_E10value_typeET4_jRbjT5_S1E_jjP12ihipStream_tbEUljE_ZNSN_ISO_Lb0ESQ_SR_ST_SU_SY_EESZ_S10_S11_S12_S16_S17_S18_S1B_S1C_jS1D_jS1E_S1E_jjS1G_bEUljE0_EEESZ_S10_S11_S18_S1C_S1E_T6_T7_T9_mT8_S1G_bDpT10_ENKUlT_T0_E_clISt17integral_constantIbLb0EES1U_EEDaS1P_S1Q_EUlS1P_E_NS1_11comp_targetILNS1_3genE4ELNS1_11target_archE910ELNS1_3gpuE8ELNS1_3repE0EEENS1_30default_config_static_selectorELNS0_4arch9wavefront6targetE0EEEvS12_
; %bb.0:
	.section	.rodata,"a",@progbits
	.p2align	6, 0x0
	.amdhsa_kernel _ZN7rocprim17ROCPRIM_400000_NS6detail17trampoline_kernelINS0_13select_configILj256ELj13ELNS0_17block_load_methodE3ELS4_3ELS4_3ELNS0_20block_scan_algorithmE0ELj4294967295EEENS1_25partition_config_selectorILNS1_17partition_subalgoE4EjNS0_10empty_typeEbEEZZNS1_14partition_implILS8_4ELb0ES6_15HIP_vector_typeIjLj2EENS0_17counting_iteratorIjlEEPS9_SG_NS0_5tupleIJPjSI_NS0_16reverse_iteratorISI_EEEEENSH_IJSG_SG_SG_EEES9_SI_JZNS1_25segmented_radix_sort_implINS0_14default_configELb0EPKsPsPKlPlN2at6native12_GLOBAL__N_18offset_tEEE10hipError_tPvRmT1_PNSt15iterator_traitsIS12_E10value_typeET2_T3_PNS13_IS18_E10value_typeET4_jRbjT5_S1E_jjP12ihipStream_tbEUljE_ZNSN_ISO_Lb0ESQ_SR_ST_SU_SY_EESZ_S10_S11_S12_S16_S17_S18_S1B_S1C_jS1D_jS1E_S1E_jjS1G_bEUljE0_EEESZ_S10_S11_S18_S1C_S1E_T6_T7_T9_mT8_S1G_bDpT10_ENKUlT_T0_E_clISt17integral_constantIbLb0EES1U_EEDaS1P_S1Q_EUlS1P_E_NS1_11comp_targetILNS1_3genE4ELNS1_11target_archE910ELNS1_3gpuE8ELNS1_3repE0EEENS1_30default_config_static_selectorELNS0_4arch9wavefront6targetE0EEEvS12_
		.amdhsa_group_segment_fixed_size 0
		.amdhsa_private_segment_fixed_size 0
		.amdhsa_kernarg_size 176
		.amdhsa_user_sgpr_count 15
		.amdhsa_user_sgpr_dispatch_ptr 0
		.amdhsa_user_sgpr_queue_ptr 0
		.amdhsa_user_sgpr_kernarg_segment_ptr 1
		.amdhsa_user_sgpr_dispatch_id 0
		.amdhsa_user_sgpr_private_segment_size 0
		.amdhsa_wavefront_size32 1
		.amdhsa_uses_dynamic_stack 0
		.amdhsa_enable_private_segment 0
		.amdhsa_system_sgpr_workgroup_id_x 1
		.amdhsa_system_sgpr_workgroup_id_y 0
		.amdhsa_system_sgpr_workgroup_id_z 0
		.amdhsa_system_sgpr_workgroup_info 0
		.amdhsa_system_vgpr_workitem_id 0
		.amdhsa_next_free_vgpr 1
		.amdhsa_next_free_sgpr 1
		.amdhsa_reserve_vcc 0
		.amdhsa_float_round_mode_32 0
		.amdhsa_float_round_mode_16_64 0
		.amdhsa_float_denorm_mode_32 3
		.amdhsa_float_denorm_mode_16_64 3
		.amdhsa_dx10_clamp 1
		.amdhsa_ieee_mode 1
		.amdhsa_fp16_overflow 0
		.amdhsa_workgroup_processor_mode 1
		.amdhsa_memory_ordered 1
		.amdhsa_forward_progress 0
		.amdhsa_shared_vgpr_count 0
		.amdhsa_exception_fp_ieee_invalid_op 0
		.amdhsa_exception_fp_denorm_src 0
		.amdhsa_exception_fp_ieee_div_zero 0
		.amdhsa_exception_fp_ieee_overflow 0
		.amdhsa_exception_fp_ieee_underflow 0
		.amdhsa_exception_fp_ieee_inexact 0
		.amdhsa_exception_int_div_zero 0
	.end_amdhsa_kernel
	.section	.text._ZN7rocprim17ROCPRIM_400000_NS6detail17trampoline_kernelINS0_13select_configILj256ELj13ELNS0_17block_load_methodE3ELS4_3ELS4_3ELNS0_20block_scan_algorithmE0ELj4294967295EEENS1_25partition_config_selectorILNS1_17partition_subalgoE4EjNS0_10empty_typeEbEEZZNS1_14partition_implILS8_4ELb0ES6_15HIP_vector_typeIjLj2EENS0_17counting_iteratorIjlEEPS9_SG_NS0_5tupleIJPjSI_NS0_16reverse_iteratorISI_EEEEENSH_IJSG_SG_SG_EEES9_SI_JZNS1_25segmented_radix_sort_implINS0_14default_configELb0EPKsPsPKlPlN2at6native12_GLOBAL__N_18offset_tEEE10hipError_tPvRmT1_PNSt15iterator_traitsIS12_E10value_typeET2_T3_PNS13_IS18_E10value_typeET4_jRbjT5_S1E_jjP12ihipStream_tbEUljE_ZNSN_ISO_Lb0ESQ_SR_ST_SU_SY_EESZ_S10_S11_S12_S16_S17_S18_S1B_S1C_jS1D_jS1E_S1E_jjS1G_bEUljE0_EEESZ_S10_S11_S18_S1C_S1E_T6_T7_T9_mT8_S1G_bDpT10_ENKUlT_T0_E_clISt17integral_constantIbLb0EES1U_EEDaS1P_S1Q_EUlS1P_E_NS1_11comp_targetILNS1_3genE4ELNS1_11target_archE910ELNS1_3gpuE8ELNS1_3repE0EEENS1_30default_config_static_selectorELNS0_4arch9wavefront6targetE0EEEvS12_,"axG",@progbits,_ZN7rocprim17ROCPRIM_400000_NS6detail17trampoline_kernelINS0_13select_configILj256ELj13ELNS0_17block_load_methodE3ELS4_3ELS4_3ELNS0_20block_scan_algorithmE0ELj4294967295EEENS1_25partition_config_selectorILNS1_17partition_subalgoE4EjNS0_10empty_typeEbEEZZNS1_14partition_implILS8_4ELb0ES6_15HIP_vector_typeIjLj2EENS0_17counting_iteratorIjlEEPS9_SG_NS0_5tupleIJPjSI_NS0_16reverse_iteratorISI_EEEEENSH_IJSG_SG_SG_EEES9_SI_JZNS1_25segmented_radix_sort_implINS0_14default_configELb0EPKsPsPKlPlN2at6native12_GLOBAL__N_18offset_tEEE10hipError_tPvRmT1_PNSt15iterator_traitsIS12_E10value_typeET2_T3_PNS13_IS18_E10value_typeET4_jRbjT5_S1E_jjP12ihipStream_tbEUljE_ZNSN_ISO_Lb0ESQ_SR_ST_SU_SY_EESZ_S10_S11_S12_S16_S17_S18_S1B_S1C_jS1D_jS1E_S1E_jjS1G_bEUljE0_EEESZ_S10_S11_S18_S1C_S1E_T6_T7_T9_mT8_S1G_bDpT10_ENKUlT_T0_E_clISt17integral_constantIbLb0EES1U_EEDaS1P_S1Q_EUlS1P_E_NS1_11comp_targetILNS1_3genE4ELNS1_11target_archE910ELNS1_3gpuE8ELNS1_3repE0EEENS1_30default_config_static_selectorELNS0_4arch9wavefront6targetE0EEEvS12_,comdat
.Lfunc_end952:
	.size	_ZN7rocprim17ROCPRIM_400000_NS6detail17trampoline_kernelINS0_13select_configILj256ELj13ELNS0_17block_load_methodE3ELS4_3ELS4_3ELNS0_20block_scan_algorithmE0ELj4294967295EEENS1_25partition_config_selectorILNS1_17partition_subalgoE4EjNS0_10empty_typeEbEEZZNS1_14partition_implILS8_4ELb0ES6_15HIP_vector_typeIjLj2EENS0_17counting_iteratorIjlEEPS9_SG_NS0_5tupleIJPjSI_NS0_16reverse_iteratorISI_EEEEENSH_IJSG_SG_SG_EEES9_SI_JZNS1_25segmented_radix_sort_implINS0_14default_configELb0EPKsPsPKlPlN2at6native12_GLOBAL__N_18offset_tEEE10hipError_tPvRmT1_PNSt15iterator_traitsIS12_E10value_typeET2_T3_PNS13_IS18_E10value_typeET4_jRbjT5_S1E_jjP12ihipStream_tbEUljE_ZNSN_ISO_Lb0ESQ_SR_ST_SU_SY_EESZ_S10_S11_S12_S16_S17_S18_S1B_S1C_jS1D_jS1E_S1E_jjS1G_bEUljE0_EEESZ_S10_S11_S18_S1C_S1E_T6_T7_T9_mT8_S1G_bDpT10_ENKUlT_T0_E_clISt17integral_constantIbLb0EES1U_EEDaS1P_S1Q_EUlS1P_E_NS1_11comp_targetILNS1_3genE4ELNS1_11target_archE910ELNS1_3gpuE8ELNS1_3repE0EEENS1_30default_config_static_selectorELNS0_4arch9wavefront6targetE0EEEvS12_, .Lfunc_end952-_ZN7rocprim17ROCPRIM_400000_NS6detail17trampoline_kernelINS0_13select_configILj256ELj13ELNS0_17block_load_methodE3ELS4_3ELS4_3ELNS0_20block_scan_algorithmE0ELj4294967295EEENS1_25partition_config_selectorILNS1_17partition_subalgoE4EjNS0_10empty_typeEbEEZZNS1_14partition_implILS8_4ELb0ES6_15HIP_vector_typeIjLj2EENS0_17counting_iteratorIjlEEPS9_SG_NS0_5tupleIJPjSI_NS0_16reverse_iteratorISI_EEEEENSH_IJSG_SG_SG_EEES9_SI_JZNS1_25segmented_radix_sort_implINS0_14default_configELb0EPKsPsPKlPlN2at6native12_GLOBAL__N_18offset_tEEE10hipError_tPvRmT1_PNSt15iterator_traitsIS12_E10value_typeET2_T3_PNS13_IS18_E10value_typeET4_jRbjT5_S1E_jjP12ihipStream_tbEUljE_ZNSN_ISO_Lb0ESQ_SR_ST_SU_SY_EESZ_S10_S11_S12_S16_S17_S18_S1B_S1C_jS1D_jS1E_S1E_jjS1G_bEUljE0_EEESZ_S10_S11_S18_S1C_S1E_T6_T7_T9_mT8_S1G_bDpT10_ENKUlT_T0_E_clISt17integral_constantIbLb0EES1U_EEDaS1P_S1Q_EUlS1P_E_NS1_11comp_targetILNS1_3genE4ELNS1_11target_archE910ELNS1_3gpuE8ELNS1_3repE0EEENS1_30default_config_static_selectorELNS0_4arch9wavefront6targetE0EEEvS12_
                                        ; -- End function
	.section	.AMDGPU.csdata,"",@progbits
; Kernel info:
; codeLenInByte = 0
; NumSgprs: 0
; NumVgprs: 0
; ScratchSize: 0
; MemoryBound: 0
; FloatMode: 240
; IeeeMode: 1
; LDSByteSize: 0 bytes/workgroup (compile time only)
; SGPRBlocks: 0
; VGPRBlocks: 0
; NumSGPRsForWavesPerEU: 1
; NumVGPRsForWavesPerEU: 1
; Occupancy: 16
; WaveLimiterHint : 0
; COMPUTE_PGM_RSRC2:SCRATCH_EN: 0
; COMPUTE_PGM_RSRC2:USER_SGPR: 15
; COMPUTE_PGM_RSRC2:TRAP_HANDLER: 0
; COMPUTE_PGM_RSRC2:TGID_X_EN: 1
; COMPUTE_PGM_RSRC2:TGID_Y_EN: 0
; COMPUTE_PGM_RSRC2:TGID_Z_EN: 0
; COMPUTE_PGM_RSRC2:TIDIG_COMP_CNT: 0
	.section	.text._ZN7rocprim17ROCPRIM_400000_NS6detail17trampoline_kernelINS0_13select_configILj256ELj13ELNS0_17block_load_methodE3ELS4_3ELS4_3ELNS0_20block_scan_algorithmE0ELj4294967295EEENS1_25partition_config_selectorILNS1_17partition_subalgoE4EjNS0_10empty_typeEbEEZZNS1_14partition_implILS8_4ELb0ES6_15HIP_vector_typeIjLj2EENS0_17counting_iteratorIjlEEPS9_SG_NS0_5tupleIJPjSI_NS0_16reverse_iteratorISI_EEEEENSH_IJSG_SG_SG_EEES9_SI_JZNS1_25segmented_radix_sort_implINS0_14default_configELb0EPKsPsPKlPlN2at6native12_GLOBAL__N_18offset_tEEE10hipError_tPvRmT1_PNSt15iterator_traitsIS12_E10value_typeET2_T3_PNS13_IS18_E10value_typeET4_jRbjT5_S1E_jjP12ihipStream_tbEUljE_ZNSN_ISO_Lb0ESQ_SR_ST_SU_SY_EESZ_S10_S11_S12_S16_S17_S18_S1B_S1C_jS1D_jS1E_S1E_jjS1G_bEUljE0_EEESZ_S10_S11_S18_S1C_S1E_T6_T7_T9_mT8_S1G_bDpT10_ENKUlT_T0_E_clISt17integral_constantIbLb0EES1U_EEDaS1P_S1Q_EUlS1P_E_NS1_11comp_targetILNS1_3genE3ELNS1_11target_archE908ELNS1_3gpuE7ELNS1_3repE0EEENS1_30default_config_static_selectorELNS0_4arch9wavefront6targetE0EEEvS12_,"axG",@progbits,_ZN7rocprim17ROCPRIM_400000_NS6detail17trampoline_kernelINS0_13select_configILj256ELj13ELNS0_17block_load_methodE3ELS4_3ELS4_3ELNS0_20block_scan_algorithmE0ELj4294967295EEENS1_25partition_config_selectorILNS1_17partition_subalgoE4EjNS0_10empty_typeEbEEZZNS1_14partition_implILS8_4ELb0ES6_15HIP_vector_typeIjLj2EENS0_17counting_iteratorIjlEEPS9_SG_NS0_5tupleIJPjSI_NS0_16reverse_iteratorISI_EEEEENSH_IJSG_SG_SG_EEES9_SI_JZNS1_25segmented_radix_sort_implINS0_14default_configELb0EPKsPsPKlPlN2at6native12_GLOBAL__N_18offset_tEEE10hipError_tPvRmT1_PNSt15iterator_traitsIS12_E10value_typeET2_T3_PNS13_IS18_E10value_typeET4_jRbjT5_S1E_jjP12ihipStream_tbEUljE_ZNSN_ISO_Lb0ESQ_SR_ST_SU_SY_EESZ_S10_S11_S12_S16_S17_S18_S1B_S1C_jS1D_jS1E_S1E_jjS1G_bEUljE0_EEESZ_S10_S11_S18_S1C_S1E_T6_T7_T9_mT8_S1G_bDpT10_ENKUlT_T0_E_clISt17integral_constantIbLb0EES1U_EEDaS1P_S1Q_EUlS1P_E_NS1_11comp_targetILNS1_3genE3ELNS1_11target_archE908ELNS1_3gpuE7ELNS1_3repE0EEENS1_30default_config_static_selectorELNS0_4arch9wavefront6targetE0EEEvS12_,comdat
	.globl	_ZN7rocprim17ROCPRIM_400000_NS6detail17trampoline_kernelINS0_13select_configILj256ELj13ELNS0_17block_load_methodE3ELS4_3ELS4_3ELNS0_20block_scan_algorithmE0ELj4294967295EEENS1_25partition_config_selectorILNS1_17partition_subalgoE4EjNS0_10empty_typeEbEEZZNS1_14partition_implILS8_4ELb0ES6_15HIP_vector_typeIjLj2EENS0_17counting_iteratorIjlEEPS9_SG_NS0_5tupleIJPjSI_NS0_16reverse_iteratorISI_EEEEENSH_IJSG_SG_SG_EEES9_SI_JZNS1_25segmented_radix_sort_implINS0_14default_configELb0EPKsPsPKlPlN2at6native12_GLOBAL__N_18offset_tEEE10hipError_tPvRmT1_PNSt15iterator_traitsIS12_E10value_typeET2_T3_PNS13_IS18_E10value_typeET4_jRbjT5_S1E_jjP12ihipStream_tbEUljE_ZNSN_ISO_Lb0ESQ_SR_ST_SU_SY_EESZ_S10_S11_S12_S16_S17_S18_S1B_S1C_jS1D_jS1E_S1E_jjS1G_bEUljE0_EEESZ_S10_S11_S18_S1C_S1E_T6_T7_T9_mT8_S1G_bDpT10_ENKUlT_T0_E_clISt17integral_constantIbLb0EES1U_EEDaS1P_S1Q_EUlS1P_E_NS1_11comp_targetILNS1_3genE3ELNS1_11target_archE908ELNS1_3gpuE7ELNS1_3repE0EEENS1_30default_config_static_selectorELNS0_4arch9wavefront6targetE0EEEvS12_ ; -- Begin function _ZN7rocprim17ROCPRIM_400000_NS6detail17trampoline_kernelINS0_13select_configILj256ELj13ELNS0_17block_load_methodE3ELS4_3ELS4_3ELNS0_20block_scan_algorithmE0ELj4294967295EEENS1_25partition_config_selectorILNS1_17partition_subalgoE4EjNS0_10empty_typeEbEEZZNS1_14partition_implILS8_4ELb0ES6_15HIP_vector_typeIjLj2EENS0_17counting_iteratorIjlEEPS9_SG_NS0_5tupleIJPjSI_NS0_16reverse_iteratorISI_EEEEENSH_IJSG_SG_SG_EEES9_SI_JZNS1_25segmented_radix_sort_implINS0_14default_configELb0EPKsPsPKlPlN2at6native12_GLOBAL__N_18offset_tEEE10hipError_tPvRmT1_PNSt15iterator_traitsIS12_E10value_typeET2_T3_PNS13_IS18_E10value_typeET4_jRbjT5_S1E_jjP12ihipStream_tbEUljE_ZNSN_ISO_Lb0ESQ_SR_ST_SU_SY_EESZ_S10_S11_S12_S16_S17_S18_S1B_S1C_jS1D_jS1E_S1E_jjS1G_bEUljE0_EEESZ_S10_S11_S18_S1C_S1E_T6_T7_T9_mT8_S1G_bDpT10_ENKUlT_T0_E_clISt17integral_constantIbLb0EES1U_EEDaS1P_S1Q_EUlS1P_E_NS1_11comp_targetILNS1_3genE3ELNS1_11target_archE908ELNS1_3gpuE7ELNS1_3repE0EEENS1_30default_config_static_selectorELNS0_4arch9wavefront6targetE0EEEvS12_
	.p2align	8
	.type	_ZN7rocprim17ROCPRIM_400000_NS6detail17trampoline_kernelINS0_13select_configILj256ELj13ELNS0_17block_load_methodE3ELS4_3ELS4_3ELNS0_20block_scan_algorithmE0ELj4294967295EEENS1_25partition_config_selectorILNS1_17partition_subalgoE4EjNS0_10empty_typeEbEEZZNS1_14partition_implILS8_4ELb0ES6_15HIP_vector_typeIjLj2EENS0_17counting_iteratorIjlEEPS9_SG_NS0_5tupleIJPjSI_NS0_16reverse_iteratorISI_EEEEENSH_IJSG_SG_SG_EEES9_SI_JZNS1_25segmented_radix_sort_implINS0_14default_configELb0EPKsPsPKlPlN2at6native12_GLOBAL__N_18offset_tEEE10hipError_tPvRmT1_PNSt15iterator_traitsIS12_E10value_typeET2_T3_PNS13_IS18_E10value_typeET4_jRbjT5_S1E_jjP12ihipStream_tbEUljE_ZNSN_ISO_Lb0ESQ_SR_ST_SU_SY_EESZ_S10_S11_S12_S16_S17_S18_S1B_S1C_jS1D_jS1E_S1E_jjS1G_bEUljE0_EEESZ_S10_S11_S18_S1C_S1E_T6_T7_T9_mT8_S1G_bDpT10_ENKUlT_T0_E_clISt17integral_constantIbLb0EES1U_EEDaS1P_S1Q_EUlS1P_E_NS1_11comp_targetILNS1_3genE3ELNS1_11target_archE908ELNS1_3gpuE7ELNS1_3repE0EEENS1_30default_config_static_selectorELNS0_4arch9wavefront6targetE0EEEvS12_,@function
_ZN7rocprim17ROCPRIM_400000_NS6detail17trampoline_kernelINS0_13select_configILj256ELj13ELNS0_17block_load_methodE3ELS4_3ELS4_3ELNS0_20block_scan_algorithmE0ELj4294967295EEENS1_25partition_config_selectorILNS1_17partition_subalgoE4EjNS0_10empty_typeEbEEZZNS1_14partition_implILS8_4ELb0ES6_15HIP_vector_typeIjLj2EENS0_17counting_iteratorIjlEEPS9_SG_NS0_5tupleIJPjSI_NS0_16reverse_iteratorISI_EEEEENSH_IJSG_SG_SG_EEES9_SI_JZNS1_25segmented_radix_sort_implINS0_14default_configELb0EPKsPsPKlPlN2at6native12_GLOBAL__N_18offset_tEEE10hipError_tPvRmT1_PNSt15iterator_traitsIS12_E10value_typeET2_T3_PNS13_IS18_E10value_typeET4_jRbjT5_S1E_jjP12ihipStream_tbEUljE_ZNSN_ISO_Lb0ESQ_SR_ST_SU_SY_EESZ_S10_S11_S12_S16_S17_S18_S1B_S1C_jS1D_jS1E_S1E_jjS1G_bEUljE0_EEESZ_S10_S11_S18_S1C_S1E_T6_T7_T9_mT8_S1G_bDpT10_ENKUlT_T0_E_clISt17integral_constantIbLb0EES1U_EEDaS1P_S1Q_EUlS1P_E_NS1_11comp_targetILNS1_3genE3ELNS1_11target_archE908ELNS1_3gpuE7ELNS1_3repE0EEENS1_30default_config_static_selectorELNS0_4arch9wavefront6targetE0EEEvS12_: ; @_ZN7rocprim17ROCPRIM_400000_NS6detail17trampoline_kernelINS0_13select_configILj256ELj13ELNS0_17block_load_methodE3ELS4_3ELS4_3ELNS0_20block_scan_algorithmE0ELj4294967295EEENS1_25partition_config_selectorILNS1_17partition_subalgoE4EjNS0_10empty_typeEbEEZZNS1_14partition_implILS8_4ELb0ES6_15HIP_vector_typeIjLj2EENS0_17counting_iteratorIjlEEPS9_SG_NS0_5tupleIJPjSI_NS0_16reverse_iteratorISI_EEEEENSH_IJSG_SG_SG_EEES9_SI_JZNS1_25segmented_radix_sort_implINS0_14default_configELb0EPKsPsPKlPlN2at6native12_GLOBAL__N_18offset_tEEE10hipError_tPvRmT1_PNSt15iterator_traitsIS12_E10value_typeET2_T3_PNS13_IS18_E10value_typeET4_jRbjT5_S1E_jjP12ihipStream_tbEUljE_ZNSN_ISO_Lb0ESQ_SR_ST_SU_SY_EESZ_S10_S11_S12_S16_S17_S18_S1B_S1C_jS1D_jS1E_S1E_jjS1G_bEUljE0_EEESZ_S10_S11_S18_S1C_S1E_T6_T7_T9_mT8_S1G_bDpT10_ENKUlT_T0_E_clISt17integral_constantIbLb0EES1U_EEDaS1P_S1Q_EUlS1P_E_NS1_11comp_targetILNS1_3genE3ELNS1_11target_archE908ELNS1_3gpuE7ELNS1_3repE0EEENS1_30default_config_static_selectorELNS0_4arch9wavefront6targetE0EEEvS12_
; %bb.0:
	.section	.rodata,"a",@progbits
	.p2align	6, 0x0
	.amdhsa_kernel _ZN7rocprim17ROCPRIM_400000_NS6detail17trampoline_kernelINS0_13select_configILj256ELj13ELNS0_17block_load_methodE3ELS4_3ELS4_3ELNS0_20block_scan_algorithmE0ELj4294967295EEENS1_25partition_config_selectorILNS1_17partition_subalgoE4EjNS0_10empty_typeEbEEZZNS1_14partition_implILS8_4ELb0ES6_15HIP_vector_typeIjLj2EENS0_17counting_iteratorIjlEEPS9_SG_NS0_5tupleIJPjSI_NS0_16reverse_iteratorISI_EEEEENSH_IJSG_SG_SG_EEES9_SI_JZNS1_25segmented_radix_sort_implINS0_14default_configELb0EPKsPsPKlPlN2at6native12_GLOBAL__N_18offset_tEEE10hipError_tPvRmT1_PNSt15iterator_traitsIS12_E10value_typeET2_T3_PNS13_IS18_E10value_typeET4_jRbjT5_S1E_jjP12ihipStream_tbEUljE_ZNSN_ISO_Lb0ESQ_SR_ST_SU_SY_EESZ_S10_S11_S12_S16_S17_S18_S1B_S1C_jS1D_jS1E_S1E_jjS1G_bEUljE0_EEESZ_S10_S11_S18_S1C_S1E_T6_T7_T9_mT8_S1G_bDpT10_ENKUlT_T0_E_clISt17integral_constantIbLb0EES1U_EEDaS1P_S1Q_EUlS1P_E_NS1_11comp_targetILNS1_3genE3ELNS1_11target_archE908ELNS1_3gpuE7ELNS1_3repE0EEENS1_30default_config_static_selectorELNS0_4arch9wavefront6targetE0EEEvS12_
		.amdhsa_group_segment_fixed_size 0
		.amdhsa_private_segment_fixed_size 0
		.amdhsa_kernarg_size 176
		.amdhsa_user_sgpr_count 15
		.amdhsa_user_sgpr_dispatch_ptr 0
		.amdhsa_user_sgpr_queue_ptr 0
		.amdhsa_user_sgpr_kernarg_segment_ptr 1
		.amdhsa_user_sgpr_dispatch_id 0
		.amdhsa_user_sgpr_private_segment_size 0
		.amdhsa_wavefront_size32 1
		.amdhsa_uses_dynamic_stack 0
		.amdhsa_enable_private_segment 0
		.amdhsa_system_sgpr_workgroup_id_x 1
		.amdhsa_system_sgpr_workgroup_id_y 0
		.amdhsa_system_sgpr_workgroup_id_z 0
		.amdhsa_system_sgpr_workgroup_info 0
		.amdhsa_system_vgpr_workitem_id 0
		.amdhsa_next_free_vgpr 1
		.amdhsa_next_free_sgpr 1
		.amdhsa_reserve_vcc 0
		.amdhsa_float_round_mode_32 0
		.amdhsa_float_round_mode_16_64 0
		.amdhsa_float_denorm_mode_32 3
		.amdhsa_float_denorm_mode_16_64 3
		.amdhsa_dx10_clamp 1
		.amdhsa_ieee_mode 1
		.amdhsa_fp16_overflow 0
		.amdhsa_workgroup_processor_mode 1
		.amdhsa_memory_ordered 1
		.amdhsa_forward_progress 0
		.amdhsa_shared_vgpr_count 0
		.amdhsa_exception_fp_ieee_invalid_op 0
		.amdhsa_exception_fp_denorm_src 0
		.amdhsa_exception_fp_ieee_div_zero 0
		.amdhsa_exception_fp_ieee_overflow 0
		.amdhsa_exception_fp_ieee_underflow 0
		.amdhsa_exception_fp_ieee_inexact 0
		.amdhsa_exception_int_div_zero 0
	.end_amdhsa_kernel
	.section	.text._ZN7rocprim17ROCPRIM_400000_NS6detail17trampoline_kernelINS0_13select_configILj256ELj13ELNS0_17block_load_methodE3ELS4_3ELS4_3ELNS0_20block_scan_algorithmE0ELj4294967295EEENS1_25partition_config_selectorILNS1_17partition_subalgoE4EjNS0_10empty_typeEbEEZZNS1_14partition_implILS8_4ELb0ES6_15HIP_vector_typeIjLj2EENS0_17counting_iteratorIjlEEPS9_SG_NS0_5tupleIJPjSI_NS0_16reverse_iteratorISI_EEEEENSH_IJSG_SG_SG_EEES9_SI_JZNS1_25segmented_radix_sort_implINS0_14default_configELb0EPKsPsPKlPlN2at6native12_GLOBAL__N_18offset_tEEE10hipError_tPvRmT1_PNSt15iterator_traitsIS12_E10value_typeET2_T3_PNS13_IS18_E10value_typeET4_jRbjT5_S1E_jjP12ihipStream_tbEUljE_ZNSN_ISO_Lb0ESQ_SR_ST_SU_SY_EESZ_S10_S11_S12_S16_S17_S18_S1B_S1C_jS1D_jS1E_S1E_jjS1G_bEUljE0_EEESZ_S10_S11_S18_S1C_S1E_T6_T7_T9_mT8_S1G_bDpT10_ENKUlT_T0_E_clISt17integral_constantIbLb0EES1U_EEDaS1P_S1Q_EUlS1P_E_NS1_11comp_targetILNS1_3genE3ELNS1_11target_archE908ELNS1_3gpuE7ELNS1_3repE0EEENS1_30default_config_static_selectorELNS0_4arch9wavefront6targetE0EEEvS12_,"axG",@progbits,_ZN7rocprim17ROCPRIM_400000_NS6detail17trampoline_kernelINS0_13select_configILj256ELj13ELNS0_17block_load_methodE3ELS4_3ELS4_3ELNS0_20block_scan_algorithmE0ELj4294967295EEENS1_25partition_config_selectorILNS1_17partition_subalgoE4EjNS0_10empty_typeEbEEZZNS1_14partition_implILS8_4ELb0ES6_15HIP_vector_typeIjLj2EENS0_17counting_iteratorIjlEEPS9_SG_NS0_5tupleIJPjSI_NS0_16reverse_iteratorISI_EEEEENSH_IJSG_SG_SG_EEES9_SI_JZNS1_25segmented_radix_sort_implINS0_14default_configELb0EPKsPsPKlPlN2at6native12_GLOBAL__N_18offset_tEEE10hipError_tPvRmT1_PNSt15iterator_traitsIS12_E10value_typeET2_T3_PNS13_IS18_E10value_typeET4_jRbjT5_S1E_jjP12ihipStream_tbEUljE_ZNSN_ISO_Lb0ESQ_SR_ST_SU_SY_EESZ_S10_S11_S12_S16_S17_S18_S1B_S1C_jS1D_jS1E_S1E_jjS1G_bEUljE0_EEESZ_S10_S11_S18_S1C_S1E_T6_T7_T9_mT8_S1G_bDpT10_ENKUlT_T0_E_clISt17integral_constantIbLb0EES1U_EEDaS1P_S1Q_EUlS1P_E_NS1_11comp_targetILNS1_3genE3ELNS1_11target_archE908ELNS1_3gpuE7ELNS1_3repE0EEENS1_30default_config_static_selectorELNS0_4arch9wavefront6targetE0EEEvS12_,comdat
.Lfunc_end953:
	.size	_ZN7rocprim17ROCPRIM_400000_NS6detail17trampoline_kernelINS0_13select_configILj256ELj13ELNS0_17block_load_methodE3ELS4_3ELS4_3ELNS0_20block_scan_algorithmE0ELj4294967295EEENS1_25partition_config_selectorILNS1_17partition_subalgoE4EjNS0_10empty_typeEbEEZZNS1_14partition_implILS8_4ELb0ES6_15HIP_vector_typeIjLj2EENS0_17counting_iteratorIjlEEPS9_SG_NS0_5tupleIJPjSI_NS0_16reverse_iteratorISI_EEEEENSH_IJSG_SG_SG_EEES9_SI_JZNS1_25segmented_radix_sort_implINS0_14default_configELb0EPKsPsPKlPlN2at6native12_GLOBAL__N_18offset_tEEE10hipError_tPvRmT1_PNSt15iterator_traitsIS12_E10value_typeET2_T3_PNS13_IS18_E10value_typeET4_jRbjT5_S1E_jjP12ihipStream_tbEUljE_ZNSN_ISO_Lb0ESQ_SR_ST_SU_SY_EESZ_S10_S11_S12_S16_S17_S18_S1B_S1C_jS1D_jS1E_S1E_jjS1G_bEUljE0_EEESZ_S10_S11_S18_S1C_S1E_T6_T7_T9_mT8_S1G_bDpT10_ENKUlT_T0_E_clISt17integral_constantIbLb0EES1U_EEDaS1P_S1Q_EUlS1P_E_NS1_11comp_targetILNS1_3genE3ELNS1_11target_archE908ELNS1_3gpuE7ELNS1_3repE0EEENS1_30default_config_static_selectorELNS0_4arch9wavefront6targetE0EEEvS12_, .Lfunc_end953-_ZN7rocprim17ROCPRIM_400000_NS6detail17trampoline_kernelINS0_13select_configILj256ELj13ELNS0_17block_load_methodE3ELS4_3ELS4_3ELNS0_20block_scan_algorithmE0ELj4294967295EEENS1_25partition_config_selectorILNS1_17partition_subalgoE4EjNS0_10empty_typeEbEEZZNS1_14partition_implILS8_4ELb0ES6_15HIP_vector_typeIjLj2EENS0_17counting_iteratorIjlEEPS9_SG_NS0_5tupleIJPjSI_NS0_16reverse_iteratorISI_EEEEENSH_IJSG_SG_SG_EEES9_SI_JZNS1_25segmented_radix_sort_implINS0_14default_configELb0EPKsPsPKlPlN2at6native12_GLOBAL__N_18offset_tEEE10hipError_tPvRmT1_PNSt15iterator_traitsIS12_E10value_typeET2_T3_PNS13_IS18_E10value_typeET4_jRbjT5_S1E_jjP12ihipStream_tbEUljE_ZNSN_ISO_Lb0ESQ_SR_ST_SU_SY_EESZ_S10_S11_S12_S16_S17_S18_S1B_S1C_jS1D_jS1E_S1E_jjS1G_bEUljE0_EEESZ_S10_S11_S18_S1C_S1E_T6_T7_T9_mT8_S1G_bDpT10_ENKUlT_T0_E_clISt17integral_constantIbLb0EES1U_EEDaS1P_S1Q_EUlS1P_E_NS1_11comp_targetILNS1_3genE3ELNS1_11target_archE908ELNS1_3gpuE7ELNS1_3repE0EEENS1_30default_config_static_selectorELNS0_4arch9wavefront6targetE0EEEvS12_
                                        ; -- End function
	.section	.AMDGPU.csdata,"",@progbits
; Kernel info:
; codeLenInByte = 0
; NumSgprs: 0
; NumVgprs: 0
; ScratchSize: 0
; MemoryBound: 0
; FloatMode: 240
; IeeeMode: 1
; LDSByteSize: 0 bytes/workgroup (compile time only)
; SGPRBlocks: 0
; VGPRBlocks: 0
; NumSGPRsForWavesPerEU: 1
; NumVGPRsForWavesPerEU: 1
; Occupancy: 16
; WaveLimiterHint : 0
; COMPUTE_PGM_RSRC2:SCRATCH_EN: 0
; COMPUTE_PGM_RSRC2:USER_SGPR: 15
; COMPUTE_PGM_RSRC2:TRAP_HANDLER: 0
; COMPUTE_PGM_RSRC2:TGID_X_EN: 1
; COMPUTE_PGM_RSRC2:TGID_Y_EN: 0
; COMPUTE_PGM_RSRC2:TGID_Z_EN: 0
; COMPUTE_PGM_RSRC2:TIDIG_COMP_CNT: 0
	.section	.text._ZN7rocprim17ROCPRIM_400000_NS6detail17trampoline_kernelINS0_13select_configILj256ELj13ELNS0_17block_load_methodE3ELS4_3ELS4_3ELNS0_20block_scan_algorithmE0ELj4294967295EEENS1_25partition_config_selectorILNS1_17partition_subalgoE4EjNS0_10empty_typeEbEEZZNS1_14partition_implILS8_4ELb0ES6_15HIP_vector_typeIjLj2EENS0_17counting_iteratorIjlEEPS9_SG_NS0_5tupleIJPjSI_NS0_16reverse_iteratorISI_EEEEENSH_IJSG_SG_SG_EEES9_SI_JZNS1_25segmented_radix_sort_implINS0_14default_configELb0EPKsPsPKlPlN2at6native12_GLOBAL__N_18offset_tEEE10hipError_tPvRmT1_PNSt15iterator_traitsIS12_E10value_typeET2_T3_PNS13_IS18_E10value_typeET4_jRbjT5_S1E_jjP12ihipStream_tbEUljE_ZNSN_ISO_Lb0ESQ_SR_ST_SU_SY_EESZ_S10_S11_S12_S16_S17_S18_S1B_S1C_jS1D_jS1E_S1E_jjS1G_bEUljE0_EEESZ_S10_S11_S18_S1C_S1E_T6_T7_T9_mT8_S1G_bDpT10_ENKUlT_T0_E_clISt17integral_constantIbLb0EES1U_EEDaS1P_S1Q_EUlS1P_E_NS1_11comp_targetILNS1_3genE2ELNS1_11target_archE906ELNS1_3gpuE6ELNS1_3repE0EEENS1_30default_config_static_selectorELNS0_4arch9wavefront6targetE0EEEvS12_,"axG",@progbits,_ZN7rocprim17ROCPRIM_400000_NS6detail17trampoline_kernelINS0_13select_configILj256ELj13ELNS0_17block_load_methodE3ELS4_3ELS4_3ELNS0_20block_scan_algorithmE0ELj4294967295EEENS1_25partition_config_selectorILNS1_17partition_subalgoE4EjNS0_10empty_typeEbEEZZNS1_14partition_implILS8_4ELb0ES6_15HIP_vector_typeIjLj2EENS0_17counting_iteratorIjlEEPS9_SG_NS0_5tupleIJPjSI_NS0_16reverse_iteratorISI_EEEEENSH_IJSG_SG_SG_EEES9_SI_JZNS1_25segmented_radix_sort_implINS0_14default_configELb0EPKsPsPKlPlN2at6native12_GLOBAL__N_18offset_tEEE10hipError_tPvRmT1_PNSt15iterator_traitsIS12_E10value_typeET2_T3_PNS13_IS18_E10value_typeET4_jRbjT5_S1E_jjP12ihipStream_tbEUljE_ZNSN_ISO_Lb0ESQ_SR_ST_SU_SY_EESZ_S10_S11_S12_S16_S17_S18_S1B_S1C_jS1D_jS1E_S1E_jjS1G_bEUljE0_EEESZ_S10_S11_S18_S1C_S1E_T6_T7_T9_mT8_S1G_bDpT10_ENKUlT_T0_E_clISt17integral_constantIbLb0EES1U_EEDaS1P_S1Q_EUlS1P_E_NS1_11comp_targetILNS1_3genE2ELNS1_11target_archE906ELNS1_3gpuE6ELNS1_3repE0EEENS1_30default_config_static_selectorELNS0_4arch9wavefront6targetE0EEEvS12_,comdat
	.globl	_ZN7rocprim17ROCPRIM_400000_NS6detail17trampoline_kernelINS0_13select_configILj256ELj13ELNS0_17block_load_methodE3ELS4_3ELS4_3ELNS0_20block_scan_algorithmE0ELj4294967295EEENS1_25partition_config_selectorILNS1_17partition_subalgoE4EjNS0_10empty_typeEbEEZZNS1_14partition_implILS8_4ELb0ES6_15HIP_vector_typeIjLj2EENS0_17counting_iteratorIjlEEPS9_SG_NS0_5tupleIJPjSI_NS0_16reverse_iteratorISI_EEEEENSH_IJSG_SG_SG_EEES9_SI_JZNS1_25segmented_radix_sort_implINS0_14default_configELb0EPKsPsPKlPlN2at6native12_GLOBAL__N_18offset_tEEE10hipError_tPvRmT1_PNSt15iterator_traitsIS12_E10value_typeET2_T3_PNS13_IS18_E10value_typeET4_jRbjT5_S1E_jjP12ihipStream_tbEUljE_ZNSN_ISO_Lb0ESQ_SR_ST_SU_SY_EESZ_S10_S11_S12_S16_S17_S18_S1B_S1C_jS1D_jS1E_S1E_jjS1G_bEUljE0_EEESZ_S10_S11_S18_S1C_S1E_T6_T7_T9_mT8_S1G_bDpT10_ENKUlT_T0_E_clISt17integral_constantIbLb0EES1U_EEDaS1P_S1Q_EUlS1P_E_NS1_11comp_targetILNS1_3genE2ELNS1_11target_archE906ELNS1_3gpuE6ELNS1_3repE0EEENS1_30default_config_static_selectorELNS0_4arch9wavefront6targetE0EEEvS12_ ; -- Begin function _ZN7rocprim17ROCPRIM_400000_NS6detail17trampoline_kernelINS0_13select_configILj256ELj13ELNS0_17block_load_methodE3ELS4_3ELS4_3ELNS0_20block_scan_algorithmE0ELj4294967295EEENS1_25partition_config_selectorILNS1_17partition_subalgoE4EjNS0_10empty_typeEbEEZZNS1_14partition_implILS8_4ELb0ES6_15HIP_vector_typeIjLj2EENS0_17counting_iteratorIjlEEPS9_SG_NS0_5tupleIJPjSI_NS0_16reverse_iteratorISI_EEEEENSH_IJSG_SG_SG_EEES9_SI_JZNS1_25segmented_radix_sort_implINS0_14default_configELb0EPKsPsPKlPlN2at6native12_GLOBAL__N_18offset_tEEE10hipError_tPvRmT1_PNSt15iterator_traitsIS12_E10value_typeET2_T3_PNS13_IS18_E10value_typeET4_jRbjT5_S1E_jjP12ihipStream_tbEUljE_ZNSN_ISO_Lb0ESQ_SR_ST_SU_SY_EESZ_S10_S11_S12_S16_S17_S18_S1B_S1C_jS1D_jS1E_S1E_jjS1G_bEUljE0_EEESZ_S10_S11_S18_S1C_S1E_T6_T7_T9_mT8_S1G_bDpT10_ENKUlT_T0_E_clISt17integral_constantIbLb0EES1U_EEDaS1P_S1Q_EUlS1P_E_NS1_11comp_targetILNS1_3genE2ELNS1_11target_archE906ELNS1_3gpuE6ELNS1_3repE0EEENS1_30default_config_static_selectorELNS0_4arch9wavefront6targetE0EEEvS12_
	.p2align	8
	.type	_ZN7rocprim17ROCPRIM_400000_NS6detail17trampoline_kernelINS0_13select_configILj256ELj13ELNS0_17block_load_methodE3ELS4_3ELS4_3ELNS0_20block_scan_algorithmE0ELj4294967295EEENS1_25partition_config_selectorILNS1_17partition_subalgoE4EjNS0_10empty_typeEbEEZZNS1_14partition_implILS8_4ELb0ES6_15HIP_vector_typeIjLj2EENS0_17counting_iteratorIjlEEPS9_SG_NS0_5tupleIJPjSI_NS0_16reverse_iteratorISI_EEEEENSH_IJSG_SG_SG_EEES9_SI_JZNS1_25segmented_radix_sort_implINS0_14default_configELb0EPKsPsPKlPlN2at6native12_GLOBAL__N_18offset_tEEE10hipError_tPvRmT1_PNSt15iterator_traitsIS12_E10value_typeET2_T3_PNS13_IS18_E10value_typeET4_jRbjT5_S1E_jjP12ihipStream_tbEUljE_ZNSN_ISO_Lb0ESQ_SR_ST_SU_SY_EESZ_S10_S11_S12_S16_S17_S18_S1B_S1C_jS1D_jS1E_S1E_jjS1G_bEUljE0_EEESZ_S10_S11_S18_S1C_S1E_T6_T7_T9_mT8_S1G_bDpT10_ENKUlT_T0_E_clISt17integral_constantIbLb0EES1U_EEDaS1P_S1Q_EUlS1P_E_NS1_11comp_targetILNS1_3genE2ELNS1_11target_archE906ELNS1_3gpuE6ELNS1_3repE0EEENS1_30default_config_static_selectorELNS0_4arch9wavefront6targetE0EEEvS12_,@function
_ZN7rocprim17ROCPRIM_400000_NS6detail17trampoline_kernelINS0_13select_configILj256ELj13ELNS0_17block_load_methodE3ELS4_3ELS4_3ELNS0_20block_scan_algorithmE0ELj4294967295EEENS1_25partition_config_selectorILNS1_17partition_subalgoE4EjNS0_10empty_typeEbEEZZNS1_14partition_implILS8_4ELb0ES6_15HIP_vector_typeIjLj2EENS0_17counting_iteratorIjlEEPS9_SG_NS0_5tupleIJPjSI_NS0_16reverse_iteratorISI_EEEEENSH_IJSG_SG_SG_EEES9_SI_JZNS1_25segmented_radix_sort_implINS0_14default_configELb0EPKsPsPKlPlN2at6native12_GLOBAL__N_18offset_tEEE10hipError_tPvRmT1_PNSt15iterator_traitsIS12_E10value_typeET2_T3_PNS13_IS18_E10value_typeET4_jRbjT5_S1E_jjP12ihipStream_tbEUljE_ZNSN_ISO_Lb0ESQ_SR_ST_SU_SY_EESZ_S10_S11_S12_S16_S17_S18_S1B_S1C_jS1D_jS1E_S1E_jjS1G_bEUljE0_EEESZ_S10_S11_S18_S1C_S1E_T6_T7_T9_mT8_S1G_bDpT10_ENKUlT_T0_E_clISt17integral_constantIbLb0EES1U_EEDaS1P_S1Q_EUlS1P_E_NS1_11comp_targetILNS1_3genE2ELNS1_11target_archE906ELNS1_3gpuE6ELNS1_3repE0EEENS1_30default_config_static_selectorELNS0_4arch9wavefront6targetE0EEEvS12_: ; @_ZN7rocprim17ROCPRIM_400000_NS6detail17trampoline_kernelINS0_13select_configILj256ELj13ELNS0_17block_load_methodE3ELS4_3ELS4_3ELNS0_20block_scan_algorithmE0ELj4294967295EEENS1_25partition_config_selectorILNS1_17partition_subalgoE4EjNS0_10empty_typeEbEEZZNS1_14partition_implILS8_4ELb0ES6_15HIP_vector_typeIjLj2EENS0_17counting_iteratorIjlEEPS9_SG_NS0_5tupleIJPjSI_NS0_16reverse_iteratorISI_EEEEENSH_IJSG_SG_SG_EEES9_SI_JZNS1_25segmented_radix_sort_implINS0_14default_configELb0EPKsPsPKlPlN2at6native12_GLOBAL__N_18offset_tEEE10hipError_tPvRmT1_PNSt15iterator_traitsIS12_E10value_typeET2_T3_PNS13_IS18_E10value_typeET4_jRbjT5_S1E_jjP12ihipStream_tbEUljE_ZNSN_ISO_Lb0ESQ_SR_ST_SU_SY_EESZ_S10_S11_S12_S16_S17_S18_S1B_S1C_jS1D_jS1E_S1E_jjS1G_bEUljE0_EEESZ_S10_S11_S18_S1C_S1E_T6_T7_T9_mT8_S1G_bDpT10_ENKUlT_T0_E_clISt17integral_constantIbLb0EES1U_EEDaS1P_S1Q_EUlS1P_E_NS1_11comp_targetILNS1_3genE2ELNS1_11target_archE906ELNS1_3gpuE6ELNS1_3repE0EEENS1_30default_config_static_selectorELNS0_4arch9wavefront6targetE0EEEvS12_
; %bb.0:
	.section	.rodata,"a",@progbits
	.p2align	6, 0x0
	.amdhsa_kernel _ZN7rocprim17ROCPRIM_400000_NS6detail17trampoline_kernelINS0_13select_configILj256ELj13ELNS0_17block_load_methodE3ELS4_3ELS4_3ELNS0_20block_scan_algorithmE0ELj4294967295EEENS1_25partition_config_selectorILNS1_17partition_subalgoE4EjNS0_10empty_typeEbEEZZNS1_14partition_implILS8_4ELb0ES6_15HIP_vector_typeIjLj2EENS0_17counting_iteratorIjlEEPS9_SG_NS0_5tupleIJPjSI_NS0_16reverse_iteratorISI_EEEEENSH_IJSG_SG_SG_EEES9_SI_JZNS1_25segmented_radix_sort_implINS0_14default_configELb0EPKsPsPKlPlN2at6native12_GLOBAL__N_18offset_tEEE10hipError_tPvRmT1_PNSt15iterator_traitsIS12_E10value_typeET2_T3_PNS13_IS18_E10value_typeET4_jRbjT5_S1E_jjP12ihipStream_tbEUljE_ZNSN_ISO_Lb0ESQ_SR_ST_SU_SY_EESZ_S10_S11_S12_S16_S17_S18_S1B_S1C_jS1D_jS1E_S1E_jjS1G_bEUljE0_EEESZ_S10_S11_S18_S1C_S1E_T6_T7_T9_mT8_S1G_bDpT10_ENKUlT_T0_E_clISt17integral_constantIbLb0EES1U_EEDaS1P_S1Q_EUlS1P_E_NS1_11comp_targetILNS1_3genE2ELNS1_11target_archE906ELNS1_3gpuE6ELNS1_3repE0EEENS1_30default_config_static_selectorELNS0_4arch9wavefront6targetE0EEEvS12_
		.amdhsa_group_segment_fixed_size 0
		.amdhsa_private_segment_fixed_size 0
		.amdhsa_kernarg_size 176
		.amdhsa_user_sgpr_count 15
		.amdhsa_user_sgpr_dispatch_ptr 0
		.amdhsa_user_sgpr_queue_ptr 0
		.amdhsa_user_sgpr_kernarg_segment_ptr 1
		.amdhsa_user_sgpr_dispatch_id 0
		.amdhsa_user_sgpr_private_segment_size 0
		.amdhsa_wavefront_size32 1
		.amdhsa_uses_dynamic_stack 0
		.amdhsa_enable_private_segment 0
		.amdhsa_system_sgpr_workgroup_id_x 1
		.amdhsa_system_sgpr_workgroup_id_y 0
		.amdhsa_system_sgpr_workgroup_id_z 0
		.amdhsa_system_sgpr_workgroup_info 0
		.amdhsa_system_vgpr_workitem_id 0
		.amdhsa_next_free_vgpr 1
		.amdhsa_next_free_sgpr 1
		.amdhsa_reserve_vcc 0
		.amdhsa_float_round_mode_32 0
		.amdhsa_float_round_mode_16_64 0
		.amdhsa_float_denorm_mode_32 3
		.amdhsa_float_denorm_mode_16_64 3
		.amdhsa_dx10_clamp 1
		.amdhsa_ieee_mode 1
		.amdhsa_fp16_overflow 0
		.amdhsa_workgroup_processor_mode 1
		.amdhsa_memory_ordered 1
		.amdhsa_forward_progress 0
		.amdhsa_shared_vgpr_count 0
		.amdhsa_exception_fp_ieee_invalid_op 0
		.amdhsa_exception_fp_denorm_src 0
		.amdhsa_exception_fp_ieee_div_zero 0
		.amdhsa_exception_fp_ieee_overflow 0
		.amdhsa_exception_fp_ieee_underflow 0
		.amdhsa_exception_fp_ieee_inexact 0
		.amdhsa_exception_int_div_zero 0
	.end_amdhsa_kernel
	.section	.text._ZN7rocprim17ROCPRIM_400000_NS6detail17trampoline_kernelINS0_13select_configILj256ELj13ELNS0_17block_load_methodE3ELS4_3ELS4_3ELNS0_20block_scan_algorithmE0ELj4294967295EEENS1_25partition_config_selectorILNS1_17partition_subalgoE4EjNS0_10empty_typeEbEEZZNS1_14partition_implILS8_4ELb0ES6_15HIP_vector_typeIjLj2EENS0_17counting_iteratorIjlEEPS9_SG_NS0_5tupleIJPjSI_NS0_16reverse_iteratorISI_EEEEENSH_IJSG_SG_SG_EEES9_SI_JZNS1_25segmented_radix_sort_implINS0_14default_configELb0EPKsPsPKlPlN2at6native12_GLOBAL__N_18offset_tEEE10hipError_tPvRmT1_PNSt15iterator_traitsIS12_E10value_typeET2_T3_PNS13_IS18_E10value_typeET4_jRbjT5_S1E_jjP12ihipStream_tbEUljE_ZNSN_ISO_Lb0ESQ_SR_ST_SU_SY_EESZ_S10_S11_S12_S16_S17_S18_S1B_S1C_jS1D_jS1E_S1E_jjS1G_bEUljE0_EEESZ_S10_S11_S18_S1C_S1E_T6_T7_T9_mT8_S1G_bDpT10_ENKUlT_T0_E_clISt17integral_constantIbLb0EES1U_EEDaS1P_S1Q_EUlS1P_E_NS1_11comp_targetILNS1_3genE2ELNS1_11target_archE906ELNS1_3gpuE6ELNS1_3repE0EEENS1_30default_config_static_selectorELNS0_4arch9wavefront6targetE0EEEvS12_,"axG",@progbits,_ZN7rocprim17ROCPRIM_400000_NS6detail17trampoline_kernelINS0_13select_configILj256ELj13ELNS0_17block_load_methodE3ELS4_3ELS4_3ELNS0_20block_scan_algorithmE0ELj4294967295EEENS1_25partition_config_selectorILNS1_17partition_subalgoE4EjNS0_10empty_typeEbEEZZNS1_14partition_implILS8_4ELb0ES6_15HIP_vector_typeIjLj2EENS0_17counting_iteratorIjlEEPS9_SG_NS0_5tupleIJPjSI_NS0_16reverse_iteratorISI_EEEEENSH_IJSG_SG_SG_EEES9_SI_JZNS1_25segmented_radix_sort_implINS0_14default_configELb0EPKsPsPKlPlN2at6native12_GLOBAL__N_18offset_tEEE10hipError_tPvRmT1_PNSt15iterator_traitsIS12_E10value_typeET2_T3_PNS13_IS18_E10value_typeET4_jRbjT5_S1E_jjP12ihipStream_tbEUljE_ZNSN_ISO_Lb0ESQ_SR_ST_SU_SY_EESZ_S10_S11_S12_S16_S17_S18_S1B_S1C_jS1D_jS1E_S1E_jjS1G_bEUljE0_EEESZ_S10_S11_S18_S1C_S1E_T6_T7_T9_mT8_S1G_bDpT10_ENKUlT_T0_E_clISt17integral_constantIbLb0EES1U_EEDaS1P_S1Q_EUlS1P_E_NS1_11comp_targetILNS1_3genE2ELNS1_11target_archE906ELNS1_3gpuE6ELNS1_3repE0EEENS1_30default_config_static_selectorELNS0_4arch9wavefront6targetE0EEEvS12_,comdat
.Lfunc_end954:
	.size	_ZN7rocprim17ROCPRIM_400000_NS6detail17trampoline_kernelINS0_13select_configILj256ELj13ELNS0_17block_load_methodE3ELS4_3ELS4_3ELNS0_20block_scan_algorithmE0ELj4294967295EEENS1_25partition_config_selectorILNS1_17partition_subalgoE4EjNS0_10empty_typeEbEEZZNS1_14partition_implILS8_4ELb0ES6_15HIP_vector_typeIjLj2EENS0_17counting_iteratorIjlEEPS9_SG_NS0_5tupleIJPjSI_NS0_16reverse_iteratorISI_EEEEENSH_IJSG_SG_SG_EEES9_SI_JZNS1_25segmented_radix_sort_implINS0_14default_configELb0EPKsPsPKlPlN2at6native12_GLOBAL__N_18offset_tEEE10hipError_tPvRmT1_PNSt15iterator_traitsIS12_E10value_typeET2_T3_PNS13_IS18_E10value_typeET4_jRbjT5_S1E_jjP12ihipStream_tbEUljE_ZNSN_ISO_Lb0ESQ_SR_ST_SU_SY_EESZ_S10_S11_S12_S16_S17_S18_S1B_S1C_jS1D_jS1E_S1E_jjS1G_bEUljE0_EEESZ_S10_S11_S18_S1C_S1E_T6_T7_T9_mT8_S1G_bDpT10_ENKUlT_T0_E_clISt17integral_constantIbLb0EES1U_EEDaS1P_S1Q_EUlS1P_E_NS1_11comp_targetILNS1_3genE2ELNS1_11target_archE906ELNS1_3gpuE6ELNS1_3repE0EEENS1_30default_config_static_selectorELNS0_4arch9wavefront6targetE0EEEvS12_, .Lfunc_end954-_ZN7rocprim17ROCPRIM_400000_NS6detail17trampoline_kernelINS0_13select_configILj256ELj13ELNS0_17block_load_methodE3ELS4_3ELS4_3ELNS0_20block_scan_algorithmE0ELj4294967295EEENS1_25partition_config_selectorILNS1_17partition_subalgoE4EjNS0_10empty_typeEbEEZZNS1_14partition_implILS8_4ELb0ES6_15HIP_vector_typeIjLj2EENS0_17counting_iteratorIjlEEPS9_SG_NS0_5tupleIJPjSI_NS0_16reverse_iteratorISI_EEEEENSH_IJSG_SG_SG_EEES9_SI_JZNS1_25segmented_radix_sort_implINS0_14default_configELb0EPKsPsPKlPlN2at6native12_GLOBAL__N_18offset_tEEE10hipError_tPvRmT1_PNSt15iterator_traitsIS12_E10value_typeET2_T3_PNS13_IS18_E10value_typeET4_jRbjT5_S1E_jjP12ihipStream_tbEUljE_ZNSN_ISO_Lb0ESQ_SR_ST_SU_SY_EESZ_S10_S11_S12_S16_S17_S18_S1B_S1C_jS1D_jS1E_S1E_jjS1G_bEUljE0_EEESZ_S10_S11_S18_S1C_S1E_T6_T7_T9_mT8_S1G_bDpT10_ENKUlT_T0_E_clISt17integral_constantIbLb0EES1U_EEDaS1P_S1Q_EUlS1P_E_NS1_11comp_targetILNS1_3genE2ELNS1_11target_archE906ELNS1_3gpuE6ELNS1_3repE0EEENS1_30default_config_static_selectorELNS0_4arch9wavefront6targetE0EEEvS12_
                                        ; -- End function
	.section	.AMDGPU.csdata,"",@progbits
; Kernel info:
; codeLenInByte = 0
; NumSgprs: 0
; NumVgprs: 0
; ScratchSize: 0
; MemoryBound: 0
; FloatMode: 240
; IeeeMode: 1
; LDSByteSize: 0 bytes/workgroup (compile time only)
; SGPRBlocks: 0
; VGPRBlocks: 0
; NumSGPRsForWavesPerEU: 1
; NumVGPRsForWavesPerEU: 1
; Occupancy: 16
; WaveLimiterHint : 0
; COMPUTE_PGM_RSRC2:SCRATCH_EN: 0
; COMPUTE_PGM_RSRC2:USER_SGPR: 15
; COMPUTE_PGM_RSRC2:TRAP_HANDLER: 0
; COMPUTE_PGM_RSRC2:TGID_X_EN: 1
; COMPUTE_PGM_RSRC2:TGID_Y_EN: 0
; COMPUTE_PGM_RSRC2:TGID_Z_EN: 0
; COMPUTE_PGM_RSRC2:TIDIG_COMP_CNT: 0
	.section	.text._ZN7rocprim17ROCPRIM_400000_NS6detail17trampoline_kernelINS0_13select_configILj256ELj13ELNS0_17block_load_methodE3ELS4_3ELS4_3ELNS0_20block_scan_algorithmE0ELj4294967295EEENS1_25partition_config_selectorILNS1_17partition_subalgoE4EjNS0_10empty_typeEbEEZZNS1_14partition_implILS8_4ELb0ES6_15HIP_vector_typeIjLj2EENS0_17counting_iteratorIjlEEPS9_SG_NS0_5tupleIJPjSI_NS0_16reverse_iteratorISI_EEEEENSH_IJSG_SG_SG_EEES9_SI_JZNS1_25segmented_radix_sort_implINS0_14default_configELb0EPKsPsPKlPlN2at6native12_GLOBAL__N_18offset_tEEE10hipError_tPvRmT1_PNSt15iterator_traitsIS12_E10value_typeET2_T3_PNS13_IS18_E10value_typeET4_jRbjT5_S1E_jjP12ihipStream_tbEUljE_ZNSN_ISO_Lb0ESQ_SR_ST_SU_SY_EESZ_S10_S11_S12_S16_S17_S18_S1B_S1C_jS1D_jS1E_S1E_jjS1G_bEUljE0_EEESZ_S10_S11_S18_S1C_S1E_T6_T7_T9_mT8_S1G_bDpT10_ENKUlT_T0_E_clISt17integral_constantIbLb0EES1U_EEDaS1P_S1Q_EUlS1P_E_NS1_11comp_targetILNS1_3genE10ELNS1_11target_archE1200ELNS1_3gpuE4ELNS1_3repE0EEENS1_30default_config_static_selectorELNS0_4arch9wavefront6targetE0EEEvS12_,"axG",@progbits,_ZN7rocprim17ROCPRIM_400000_NS6detail17trampoline_kernelINS0_13select_configILj256ELj13ELNS0_17block_load_methodE3ELS4_3ELS4_3ELNS0_20block_scan_algorithmE0ELj4294967295EEENS1_25partition_config_selectorILNS1_17partition_subalgoE4EjNS0_10empty_typeEbEEZZNS1_14partition_implILS8_4ELb0ES6_15HIP_vector_typeIjLj2EENS0_17counting_iteratorIjlEEPS9_SG_NS0_5tupleIJPjSI_NS0_16reverse_iteratorISI_EEEEENSH_IJSG_SG_SG_EEES9_SI_JZNS1_25segmented_radix_sort_implINS0_14default_configELb0EPKsPsPKlPlN2at6native12_GLOBAL__N_18offset_tEEE10hipError_tPvRmT1_PNSt15iterator_traitsIS12_E10value_typeET2_T3_PNS13_IS18_E10value_typeET4_jRbjT5_S1E_jjP12ihipStream_tbEUljE_ZNSN_ISO_Lb0ESQ_SR_ST_SU_SY_EESZ_S10_S11_S12_S16_S17_S18_S1B_S1C_jS1D_jS1E_S1E_jjS1G_bEUljE0_EEESZ_S10_S11_S18_S1C_S1E_T6_T7_T9_mT8_S1G_bDpT10_ENKUlT_T0_E_clISt17integral_constantIbLb0EES1U_EEDaS1P_S1Q_EUlS1P_E_NS1_11comp_targetILNS1_3genE10ELNS1_11target_archE1200ELNS1_3gpuE4ELNS1_3repE0EEENS1_30default_config_static_selectorELNS0_4arch9wavefront6targetE0EEEvS12_,comdat
	.globl	_ZN7rocprim17ROCPRIM_400000_NS6detail17trampoline_kernelINS0_13select_configILj256ELj13ELNS0_17block_load_methodE3ELS4_3ELS4_3ELNS0_20block_scan_algorithmE0ELj4294967295EEENS1_25partition_config_selectorILNS1_17partition_subalgoE4EjNS0_10empty_typeEbEEZZNS1_14partition_implILS8_4ELb0ES6_15HIP_vector_typeIjLj2EENS0_17counting_iteratorIjlEEPS9_SG_NS0_5tupleIJPjSI_NS0_16reverse_iteratorISI_EEEEENSH_IJSG_SG_SG_EEES9_SI_JZNS1_25segmented_radix_sort_implINS0_14default_configELb0EPKsPsPKlPlN2at6native12_GLOBAL__N_18offset_tEEE10hipError_tPvRmT1_PNSt15iterator_traitsIS12_E10value_typeET2_T3_PNS13_IS18_E10value_typeET4_jRbjT5_S1E_jjP12ihipStream_tbEUljE_ZNSN_ISO_Lb0ESQ_SR_ST_SU_SY_EESZ_S10_S11_S12_S16_S17_S18_S1B_S1C_jS1D_jS1E_S1E_jjS1G_bEUljE0_EEESZ_S10_S11_S18_S1C_S1E_T6_T7_T9_mT8_S1G_bDpT10_ENKUlT_T0_E_clISt17integral_constantIbLb0EES1U_EEDaS1P_S1Q_EUlS1P_E_NS1_11comp_targetILNS1_3genE10ELNS1_11target_archE1200ELNS1_3gpuE4ELNS1_3repE0EEENS1_30default_config_static_selectorELNS0_4arch9wavefront6targetE0EEEvS12_ ; -- Begin function _ZN7rocprim17ROCPRIM_400000_NS6detail17trampoline_kernelINS0_13select_configILj256ELj13ELNS0_17block_load_methodE3ELS4_3ELS4_3ELNS0_20block_scan_algorithmE0ELj4294967295EEENS1_25partition_config_selectorILNS1_17partition_subalgoE4EjNS0_10empty_typeEbEEZZNS1_14partition_implILS8_4ELb0ES6_15HIP_vector_typeIjLj2EENS0_17counting_iteratorIjlEEPS9_SG_NS0_5tupleIJPjSI_NS0_16reverse_iteratorISI_EEEEENSH_IJSG_SG_SG_EEES9_SI_JZNS1_25segmented_radix_sort_implINS0_14default_configELb0EPKsPsPKlPlN2at6native12_GLOBAL__N_18offset_tEEE10hipError_tPvRmT1_PNSt15iterator_traitsIS12_E10value_typeET2_T3_PNS13_IS18_E10value_typeET4_jRbjT5_S1E_jjP12ihipStream_tbEUljE_ZNSN_ISO_Lb0ESQ_SR_ST_SU_SY_EESZ_S10_S11_S12_S16_S17_S18_S1B_S1C_jS1D_jS1E_S1E_jjS1G_bEUljE0_EEESZ_S10_S11_S18_S1C_S1E_T6_T7_T9_mT8_S1G_bDpT10_ENKUlT_T0_E_clISt17integral_constantIbLb0EES1U_EEDaS1P_S1Q_EUlS1P_E_NS1_11comp_targetILNS1_3genE10ELNS1_11target_archE1200ELNS1_3gpuE4ELNS1_3repE0EEENS1_30default_config_static_selectorELNS0_4arch9wavefront6targetE0EEEvS12_
	.p2align	8
	.type	_ZN7rocprim17ROCPRIM_400000_NS6detail17trampoline_kernelINS0_13select_configILj256ELj13ELNS0_17block_load_methodE3ELS4_3ELS4_3ELNS0_20block_scan_algorithmE0ELj4294967295EEENS1_25partition_config_selectorILNS1_17partition_subalgoE4EjNS0_10empty_typeEbEEZZNS1_14partition_implILS8_4ELb0ES6_15HIP_vector_typeIjLj2EENS0_17counting_iteratorIjlEEPS9_SG_NS0_5tupleIJPjSI_NS0_16reverse_iteratorISI_EEEEENSH_IJSG_SG_SG_EEES9_SI_JZNS1_25segmented_radix_sort_implINS0_14default_configELb0EPKsPsPKlPlN2at6native12_GLOBAL__N_18offset_tEEE10hipError_tPvRmT1_PNSt15iterator_traitsIS12_E10value_typeET2_T3_PNS13_IS18_E10value_typeET4_jRbjT5_S1E_jjP12ihipStream_tbEUljE_ZNSN_ISO_Lb0ESQ_SR_ST_SU_SY_EESZ_S10_S11_S12_S16_S17_S18_S1B_S1C_jS1D_jS1E_S1E_jjS1G_bEUljE0_EEESZ_S10_S11_S18_S1C_S1E_T6_T7_T9_mT8_S1G_bDpT10_ENKUlT_T0_E_clISt17integral_constantIbLb0EES1U_EEDaS1P_S1Q_EUlS1P_E_NS1_11comp_targetILNS1_3genE10ELNS1_11target_archE1200ELNS1_3gpuE4ELNS1_3repE0EEENS1_30default_config_static_selectorELNS0_4arch9wavefront6targetE0EEEvS12_,@function
_ZN7rocprim17ROCPRIM_400000_NS6detail17trampoline_kernelINS0_13select_configILj256ELj13ELNS0_17block_load_methodE3ELS4_3ELS4_3ELNS0_20block_scan_algorithmE0ELj4294967295EEENS1_25partition_config_selectorILNS1_17partition_subalgoE4EjNS0_10empty_typeEbEEZZNS1_14partition_implILS8_4ELb0ES6_15HIP_vector_typeIjLj2EENS0_17counting_iteratorIjlEEPS9_SG_NS0_5tupleIJPjSI_NS0_16reverse_iteratorISI_EEEEENSH_IJSG_SG_SG_EEES9_SI_JZNS1_25segmented_radix_sort_implINS0_14default_configELb0EPKsPsPKlPlN2at6native12_GLOBAL__N_18offset_tEEE10hipError_tPvRmT1_PNSt15iterator_traitsIS12_E10value_typeET2_T3_PNS13_IS18_E10value_typeET4_jRbjT5_S1E_jjP12ihipStream_tbEUljE_ZNSN_ISO_Lb0ESQ_SR_ST_SU_SY_EESZ_S10_S11_S12_S16_S17_S18_S1B_S1C_jS1D_jS1E_S1E_jjS1G_bEUljE0_EEESZ_S10_S11_S18_S1C_S1E_T6_T7_T9_mT8_S1G_bDpT10_ENKUlT_T0_E_clISt17integral_constantIbLb0EES1U_EEDaS1P_S1Q_EUlS1P_E_NS1_11comp_targetILNS1_3genE10ELNS1_11target_archE1200ELNS1_3gpuE4ELNS1_3repE0EEENS1_30default_config_static_selectorELNS0_4arch9wavefront6targetE0EEEvS12_: ; @_ZN7rocprim17ROCPRIM_400000_NS6detail17trampoline_kernelINS0_13select_configILj256ELj13ELNS0_17block_load_methodE3ELS4_3ELS4_3ELNS0_20block_scan_algorithmE0ELj4294967295EEENS1_25partition_config_selectorILNS1_17partition_subalgoE4EjNS0_10empty_typeEbEEZZNS1_14partition_implILS8_4ELb0ES6_15HIP_vector_typeIjLj2EENS0_17counting_iteratorIjlEEPS9_SG_NS0_5tupleIJPjSI_NS0_16reverse_iteratorISI_EEEEENSH_IJSG_SG_SG_EEES9_SI_JZNS1_25segmented_radix_sort_implINS0_14default_configELb0EPKsPsPKlPlN2at6native12_GLOBAL__N_18offset_tEEE10hipError_tPvRmT1_PNSt15iterator_traitsIS12_E10value_typeET2_T3_PNS13_IS18_E10value_typeET4_jRbjT5_S1E_jjP12ihipStream_tbEUljE_ZNSN_ISO_Lb0ESQ_SR_ST_SU_SY_EESZ_S10_S11_S12_S16_S17_S18_S1B_S1C_jS1D_jS1E_S1E_jjS1G_bEUljE0_EEESZ_S10_S11_S18_S1C_S1E_T6_T7_T9_mT8_S1G_bDpT10_ENKUlT_T0_E_clISt17integral_constantIbLb0EES1U_EEDaS1P_S1Q_EUlS1P_E_NS1_11comp_targetILNS1_3genE10ELNS1_11target_archE1200ELNS1_3gpuE4ELNS1_3repE0EEENS1_30default_config_static_selectorELNS0_4arch9wavefront6targetE0EEEvS12_
; %bb.0:
	.section	.rodata,"a",@progbits
	.p2align	6, 0x0
	.amdhsa_kernel _ZN7rocprim17ROCPRIM_400000_NS6detail17trampoline_kernelINS0_13select_configILj256ELj13ELNS0_17block_load_methodE3ELS4_3ELS4_3ELNS0_20block_scan_algorithmE0ELj4294967295EEENS1_25partition_config_selectorILNS1_17partition_subalgoE4EjNS0_10empty_typeEbEEZZNS1_14partition_implILS8_4ELb0ES6_15HIP_vector_typeIjLj2EENS0_17counting_iteratorIjlEEPS9_SG_NS0_5tupleIJPjSI_NS0_16reverse_iteratorISI_EEEEENSH_IJSG_SG_SG_EEES9_SI_JZNS1_25segmented_radix_sort_implINS0_14default_configELb0EPKsPsPKlPlN2at6native12_GLOBAL__N_18offset_tEEE10hipError_tPvRmT1_PNSt15iterator_traitsIS12_E10value_typeET2_T3_PNS13_IS18_E10value_typeET4_jRbjT5_S1E_jjP12ihipStream_tbEUljE_ZNSN_ISO_Lb0ESQ_SR_ST_SU_SY_EESZ_S10_S11_S12_S16_S17_S18_S1B_S1C_jS1D_jS1E_S1E_jjS1G_bEUljE0_EEESZ_S10_S11_S18_S1C_S1E_T6_T7_T9_mT8_S1G_bDpT10_ENKUlT_T0_E_clISt17integral_constantIbLb0EES1U_EEDaS1P_S1Q_EUlS1P_E_NS1_11comp_targetILNS1_3genE10ELNS1_11target_archE1200ELNS1_3gpuE4ELNS1_3repE0EEENS1_30default_config_static_selectorELNS0_4arch9wavefront6targetE0EEEvS12_
		.amdhsa_group_segment_fixed_size 0
		.amdhsa_private_segment_fixed_size 0
		.amdhsa_kernarg_size 176
		.amdhsa_user_sgpr_count 15
		.amdhsa_user_sgpr_dispatch_ptr 0
		.amdhsa_user_sgpr_queue_ptr 0
		.amdhsa_user_sgpr_kernarg_segment_ptr 1
		.amdhsa_user_sgpr_dispatch_id 0
		.amdhsa_user_sgpr_private_segment_size 0
		.amdhsa_wavefront_size32 1
		.amdhsa_uses_dynamic_stack 0
		.amdhsa_enable_private_segment 0
		.amdhsa_system_sgpr_workgroup_id_x 1
		.amdhsa_system_sgpr_workgroup_id_y 0
		.amdhsa_system_sgpr_workgroup_id_z 0
		.amdhsa_system_sgpr_workgroup_info 0
		.amdhsa_system_vgpr_workitem_id 0
		.amdhsa_next_free_vgpr 1
		.amdhsa_next_free_sgpr 1
		.amdhsa_reserve_vcc 0
		.amdhsa_float_round_mode_32 0
		.amdhsa_float_round_mode_16_64 0
		.amdhsa_float_denorm_mode_32 3
		.amdhsa_float_denorm_mode_16_64 3
		.amdhsa_dx10_clamp 1
		.amdhsa_ieee_mode 1
		.amdhsa_fp16_overflow 0
		.amdhsa_workgroup_processor_mode 1
		.amdhsa_memory_ordered 1
		.amdhsa_forward_progress 0
		.amdhsa_shared_vgpr_count 0
		.amdhsa_exception_fp_ieee_invalid_op 0
		.amdhsa_exception_fp_denorm_src 0
		.amdhsa_exception_fp_ieee_div_zero 0
		.amdhsa_exception_fp_ieee_overflow 0
		.amdhsa_exception_fp_ieee_underflow 0
		.amdhsa_exception_fp_ieee_inexact 0
		.amdhsa_exception_int_div_zero 0
	.end_amdhsa_kernel
	.section	.text._ZN7rocprim17ROCPRIM_400000_NS6detail17trampoline_kernelINS0_13select_configILj256ELj13ELNS0_17block_load_methodE3ELS4_3ELS4_3ELNS0_20block_scan_algorithmE0ELj4294967295EEENS1_25partition_config_selectorILNS1_17partition_subalgoE4EjNS0_10empty_typeEbEEZZNS1_14partition_implILS8_4ELb0ES6_15HIP_vector_typeIjLj2EENS0_17counting_iteratorIjlEEPS9_SG_NS0_5tupleIJPjSI_NS0_16reverse_iteratorISI_EEEEENSH_IJSG_SG_SG_EEES9_SI_JZNS1_25segmented_radix_sort_implINS0_14default_configELb0EPKsPsPKlPlN2at6native12_GLOBAL__N_18offset_tEEE10hipError_tPvRmT1_PNSt15iterator_traitsIS12_E10value_typeET2_T3_PNS13_IS18_E10value_typeET4_jRbjT5_S1E_jjP12ihipStream_tbEUljE_ZNSN_ISO_Lb0ESQ_SR_ST_SU_SY_EESZ_S10_S11_S12_S16_S17_S18_S1B_S1C_jS1D_jS1E_S1E_jjS1G_bEUljE0_EEESZ_S10_S11_S18_S1C_S1E_T6_T7_T9_mT8_S1G_bDpT10_ENKUlT_T0_E_clISt17integral_constantIbLb0EES1U_EEDaS1P_S1Q_EUlS1P_E_NS1_11comp_targetILNS1_3genE10ELNS1_11target_archE1200ELNS1_3gpuE4ELNS1_3repE0EEENS1_30default_config_static_selectorELNS0_4arch9wavefront6targetE0EEEvS12_,"axG",@progbits,_ZN7rocprim17ROCPRIM_400000_NS6detail17trampoline_kernelINS0_13select_configILj256ELj13ELNS0_17block_load_methodE3ELS4_3ELS4_3ELNS0_20block_scan_algorithmE0ELj4294967295EEENS1_25partition_config_selectorILNS1_17partition_subalgoE4EjNS0_10empty_typeEbEEZZNS1_14partition_implILS8_4ELb0ES6_15HIP_vector_typeIjLj2EENS0_17counting_iteratorIjlEEPS9_SG_NS0_5tupleIJPjSI_NS0_16reverse_iteratorISI_EEEEENSH_IJSG_SG_SG_EEES9_SI_JZNS1_25segmented_radix_sort_implINS0_14default_configELb0EPKsPsPKlPlN2at6native12_GLOBAL__N_18offset_tEEE10hipError_tPvRmT1_PNSt15iterator_traitsIS12_E10value_typeET2_T3_PNS13_IS18_E10value_typeET4_jRbjT5_S1E_jjP12ihipStream_tbEUljE_ZNSN_ISO_Lb0ESQ_SR_ST_SU_SY_EESZ_S10_S11_S12_S16_S17_S18_S1B_S1C_jS1D_jS1E_S1E_jjS1G_bEUljE0_EEESZ_S10_S11_S18_S1C_S1E_T6_T7_T9_mT8_S1G_bDpT10_ENKUlT_T0_E_clISt17integral_constantIbLb0EES1U_EEDaS1P_S1Q_EUlS1P_E_NS1_11comp_targetILNS1_3genE10ELNS1_11target_archE1200ELNS1_3gpuE4ELNS1_3repE0EEENS1_30default_config_static_selectorELNS0_4arch9wavefront6targetE0EEEvS12_,comdat
.Lfunc_end955:
	.size	_ZN7rocprim17ROCPRIM_400000_NS6detail17trampoline_kernelINS0_13select_configILj256ELj13ELNS0_17block_load_methodE3ELS4_3ELS4_3ELNS0_20block_scan_algorithmE0ELj4294967295EEENS1_25partition_config_selectorILNS1_17partition_subalgoE4EjNS0_10empty_typeEbEEZZNS1_14partition_implILS8_4ELb0ES6_15HIP_vector_typeIjLj2EENS0_17counting_iteratorIjlEEPS9_SG_NS0_5tupleIJPjSI_NS0_16reverse_iteratorISI_EEEEENSH_IJSG_SG_SG_EEES9_SI_JZNS1_25segmented_radix_sort_implINS0_14default_configELb0EPKsPsPKlPlN2at6native12_GLOBAL__N_18offset_tEEE10hipError_tPvRmT1_PNSt15iterator_traitsIS12_E10value_typeET2_T3_PNS13_IS18_E10value_typeET4_jRbjT5_S1E_jjP12ihipStream_tbEUljE_ZNSN_ISO_Lb0ESQ_SR_ST_SU_SY_EESZ_S10_S11_S12_S16_S17_S18_S1B_S1C_jS1D_jS1E_S1E_jjS1G_bEUljE0_EEESZ_S10_S11_S18_S1C_S1E_T6_T7_T9_mT8_S1G_bDpT10_ENKUlT_T0_E_clISt17integral_constantIbLb0EES1U_EEDaS1P_S1Q_EUlS1P_E_NS1_11comp_targetILNS1_3genE10ELNS1_11target_archE1200ELNS1_3gpuE4ELNS1_3repE0EEENS1_30default_config_static_selectorELNS0_4arch9wavefront6targetE0EEEvS12_, .Lfunc_end955-_ZN7rocprim17ROCPRIM_400000_NS6detail17trampoline_kernelINS0_13select_configILj256ELj13ELNS0_17block_load_methodE3ELS4_3ELS4_3ELNS0_20block_scan_algorithmE0ELj4294967295EEENS1_25partition_config_selectorILNS1_17partition_subalgoE4EjNS0_10empty_typeEbEEZZNS1_14partition_implILS8_4ELb0ES6_15HIP_vector_typeIjLj2EENS0_17counting_iteratorIjlEEPS9_SG_NS0_5tupleIJPjSI_NS0_16reverse_iteratorISI_EEEEENSH_IJSG_SG_SG_EEES9_SI_JZNS1_25segmented_radix_sort_implINS0_14default_configELb0EPKsPsPKlPlN2at6native12_GLOBAL__N_18offset_tEEE10hipError_tPvRmT1_PNSt15iterator_traitsIS12_E10value_typeET2_T3_PNS13_IS18_E10value_typeET4_jRbjT5_S1E_jjP12ihipStream_tbEUljE_ZNSN_ISO_Lb0ESQ_SR_ST_SU_SY_EESZ_S10_S11_S12_S16_S17_S18_S1B_S1C_jS1D_jS1E_S1E_jjS1G_bEUljE0_EEESZ_S10_S11_S18_S1C_S1E_T6_T7_T9_mT8_S1G_bDpT10_ENKUlT_T0_E_clISt17integral_constantIbLb0EES1U_EEDaS1P_S1Q_EUlS1P_E_NS1_11comp_targetILNS1_3genE10ELNS1_11target_archE1200ELNS1_3gpuE4ELNS1_3repE0EEENS1_30default_config_static_selectorELNS0_4arch9wavefront6targetE0EEEvS12_
                                        ; -- End function
	.section	.AMDGPU.csdata,"",@progbits
; Kernel info:
; codeLenInByte = 0
; NumSgprs: 0
; NumVgprs: 0
; ScratchSize: 0
; MemoryBound: 0
; FloatMode: 240
; IeeeMode: 1
; LDSByteSize: 0 bytes/workgroup (compile time only)
; SGPRBlocks: 0
; VGPRBlocks: 0
; NumSGPRsForWavesPerEU: 1
; NumVGPRsForWavesPerEU: 1
; Occupancy: 16
; WaveLimiterHint : 0
; COMPUTE_PGM_RSRC2:SCRATCH_EN: 0
; COMPUTE_PGM_RSRC2:USER_SGPR: 15
; COMPUTE_PGM_RSRC2:TRAP_HANDLER: 0
; COMPUTE_PGM_RSRC2:TGID_X_EN: 1
; COMPUTE_PGM_RSRC2:TGID_Y_EN: 0
; COMPUTE_PGM_RSRC2:TGID_Z_EN: 0
; COMPUTE_PGM_RSRC2:TIDIG_COMP_CNT: 0
	.section	.text._ZN7rocprim17ROCPRIM_400000_NS6detail17trampoline_kernelINS0_13select_configILj256ELj13ELNS0_17block_load_methodE3ELS4_3ELS4_3ELNS0_20block_scan_algorithmE0ELj4294967295EEENS1_25partition_config_selectorILNS1_17partition_subalgoE4EjNS0_10empty_typeEbEEZZNS1_14partition_implILS8_4ELb0ES6_15HIP_vector_typeIjLj2EENS0_17counting_iteratorIjlEEPS9_SG_NS0_5tupleIJPjSI_NS0_16reverse_iteratorISI_EEEEENSH_IJSG_SG_SG_EEES9_SI_JZNS1_25segmented_radix_sort_implINS0_14default_configELb0EPKsPsPKlPlN2at6native12_GLOBAL__N_18offset_tEEE10hipError_tPvRmT1_PNSt15iterator_traitsIS12_E10value_typeET2_T3_PNS13_IS18_E10value_typeET4_jRbjT5_S1E_jjP12ihipStream_tbEUljE_ZNSN_ISO_Lb0ESQ_SR_ST_SU_SY_EESZ_S10_S11_S12_S16_S17_S18_S1B_S1C_jS1D_jS1E_S1E_jjS1G_bEUljE0_EEESZ_S10_S11_S18_S1C_S1E_T6_T7_T9_mT8_S1G_bDpT10_ENKUlT_T0_E_clISt17integral_constantIbLb0EES1U_EEDaS1P_S1Q_EUlS1P_E_NS1_11comp_targetILNS1_3genE9ELNS1_11target_archE1100ELNS1_3gpuE3ELNS1_3repE0EEENS1_30default_config_static_selectorELNS0_4arch9wavefront6targetE0EEEvS12_,"axG",@progbits,_ZN7rocprim17ROCPRIM_400000_NS6detail17trampoline_kernelINS0_13select_configILj256ELj13ELNS0_17block_load_methodE3ELS4_3ELS4_3ELNS0_20block_scan_algorithmE0ELj4294967295EEENS1_25partition_config_selectorILNS1_17partition_subalgoE4EjNS0_10empty_typeEbEEZZNS1_14partition_implILS8_4ELb0ES6_15HIP_vector_typeIjLj2EENS0_17counting_iteratorIjlEEPS9_SG_NS0_5tupleIJPjSI_NS0_16reverse_iteratorISI_EEEEENSH_IJSG_SG_SG_EEES9_SI_JZNS1_25segmented_radix_sort_implINS0_14default_configELb0EPKsPsPKlPlN2at6native12_GLOBAL__N_18offset_tEEE10hipError_tPvRmT1_PNSt15iterator_traitsIS12_E10value_typeET2_T3_PNS13_IS18_E10value_typeET4_jRbjT5_S1E_jjP12ihipStream_tbEUljE_ZNSN_ISO_Lb0ESQ_SR_ST_SU_SY_EESZ_S10_S11_S12_S16_S17_S18_S1B_S1C_jS1D_jS1E_S1E_jjS1G_bEUljE0_EEESZ_S10_S11_S18_S1C_S1E_T6_T7_T9_mT8_S1G_bDpT10_ENKUlT_T0_E_clISt17integral_constantIbLb0EES1U_EEDaS1P_S1Q_EUlS1P_E_NS1_11comp_targetILNS1_3genE9ELNS1_11target_archE1100ELNS1_3gpuE3ELNS1_3repE0EEENS1_30default_config_static_selectorELNS0_4arch9wavefront6targetE0EEEvS12_,comdat
	.globl	_ZN7rocprim17ROCPRIM_400000_NS6detail17trampoline_kernelINS0_13select_configILj256ELj13ELNS0_17block_load_methodE3ELS4_3ELS4_3ELNS0_20block_scan_algorithmE0ELj4294967295EEENS1_25partition_config_selectorILNS1_17partition_subalgoE4EjNS0_10empty_typeEbEEZZNS1_14partition_implILS8_4ELb0ES6_15HIP_vector_typeIjLj2EENS0_17counting_iteratorIjlEEPS9_SG_NS0_5tupleIJPjSI_NS0_16reverse_iteratorISI_EEEEENSH_IJSG_SG_SG_EEES9_SI_JZNS1_25segmented_radix_sort_implINS0_14default_configELb0EPKsPsPKlPlN2at6native12_GLOBAL__N_18offset_tEEE10hipError_tPvRmT1_PNSt15iterator_traitsIS12_E10value_typeET2_T3_PNS13_IS18_E10value_typeET4_jRbjT5_S1E_jjP12ihipStream_tbEUljE_ZNSN_ISO_Lb0ESQ_SR_ST_SU_SY_EESZ_S10_S11_S12_S16_S17_S18_S1B_S1C_jS1D_jS1E_S1E_jjS1G_bEUljE0_EEESZ_S10_S11_S18_S1C_S1E_T6_T7_T9_mT8_S1G_bDpT10_ENKUlT_T0_E_clISt17integral_constantIbLb0EES1U_EEDaS1P_S1Q_EUlS1P_E_NS1_11comp_targetILNS1_3genE9ELNS1_11target_archE1100ELNS1_3gpuE3ELNS1_3repE0EEENS1_30default_config_static_selectorELNS0_4arch9wavefront6targetE0EEEvS12_ ; -- Begin function _ZN7rocprim17ROCPRIM_400000_NS6detail17trampoline_kernelINS0_13select_configILj256ELj13ELNS0_17block_load_methodE3ELS4_3ELS4_3ELNS0_20block_scan_algorithmE0ELj4294967295EEENS1_25partition_config_selectorILNS1_17partition_subalgoE4EjNS0_10empty_typeEbEEZZNS1_14partition_implILS8_4ELb0ES6_15HIP_vector_typeIjLj2EENS0_17counting_iteratorIjlEEPS9_SG_NS0_5tupleIJPjSI_NS0_16reverse_iteratorISI_EEEEENSH_IJSG_SG_SG_EEES9_SI_JZNS1_25segmented_radix_sort_implINS0_14default_configELb0EPKsPsPKlPlN2at6native12_GLOBAL__N_18offset_tEEE10hipError_tPvRmT1_PNSt15iterator_traitsIS12_E10value_typeET2_T3_PNS13_IS18_E10value_typeET4_jRbjT5_S1E_jjP12ihipStream_tbEUljE_ZNSN_ISO_Lb0ESQ_SR_ST_SU_SY_EESZ_S10_S11_S12_S16_S17_S18_S1B_S1C_jS1D_jS1E_S1E_jjS1G_bEUljE0_EEESZ_S10_S11_S18_S1C_S1E_T6_T7_T9_mT8_S1G_bDpT10_ENKUlT_T0_E_clISt17integral_constantIbLb0EES1U_EEDaS1P_S1Q_EUlS1P_E_NS1_11comp_targetILNS1_3genE9ELNS1_11target_archE1100ELNS1_3gpuE3ELNS1_3repE0EEENS1_30default_config_static_selectorELNS0_4arch9wavefront6targetE0EEEvS12_
	.p2align	8
	.type	_ZN7rocprim17ROCPRIM_400000_NS6detail17trampoline_kernelINS0_13select_configILj256ELj13ELNS0_17block_load_methodE3ELS4_3ELS4_3ELNS0_20block_scan_algorithmE0ELj4294967295EEENS1_25partition_config_selectorILNS1_17partition_subalgoE4EjNS0_10empty_typeEbEEZZNS1_14partition_implILS8_4ELb0ES6_15HIP_vector_typeIjLj2EENS0_17counting_iteratorIjlEEPS9_SG_NS0_5tupleIJPjSI_NS0_16reverse_iteratorISI_EEEEENSH_IJSG_SG_SG_EEES9_SI_JZNS1_25segmented_radix_sort_implINS0_14default_configELb0EPKsPsPKlPlN2at6native12_GLOBAL__N_18offset_tEEE10hipError_tPvRmT1_PNSt15iterator_traitsIS12_E10value_typeET2_T3_PNS13_IS18_E10value_typeET4_jRbjT5_S1E_jjP12ihipStream_tbEUljE_ZNSN_ISO_Lb0ESQ_SR_ST_SU_SY_EESZ_S10_S11_S12_S16_S17_S18_S1B_S1C_jS1D_jS1E_S1E_jjS1G_bEUljE0_EEESZ_S10_S11_S18_S1C_S1E_T6_T7_T9_mT8_S1G_bDpT10_ENKUlT_T0_E_clISt17integral_constantIbLb0EES1U_EEDaS1P_S1Q_EUlS1P_E_NS1_11comp_targetILNS1_3genE9ELNS1_11target_archE1100ELNS1_3gpuE3ELNS1_3repE0EEENS1_30default_config_static_selectorELNS0_4arch9wavefront6targetE0EEEvS12_,@function
_ZN7rocprim17ROCPRIM_400000_NS6detail17trampoline_kernelINS0_13select_configILj256ELj13ELNS0_17block_load_methodE3ELS4_3ELS4_3ELNS0_20block_scan_algorithmE0ELj4294967295EEENS1_25partition_config_selectorILNS1_17partition_subalgoE4EjNS0_10empty_typeEbEEZZNS1_14partition_implILS8_4ELb0ES6_15HIP_vector_typeIjLj2EENS0_17counting_iteratorIjlEEPS9_SG_NS0_5tupleIJPjSI_NS0_16reverse_iteratorISI_EEEEENSH_IJSG_SG_SG_EEES9_SI_JZNS1_25segmented_radix_sort_implINS0_14default_configELb0EPKsPsPKlPlN2at6native12_GLOBAL__N_18offset_tEEE10hipError_tPvRmT1_PNSt15iterator_traitsIS12_E10value_typeET2_T3_PNS13_IS18_E10value_typeET4_jRbjT5_S1E_jjP12ihipStream_tbEUljE_ZNSN_ISO_Lb0ESQ_SR_ST_SU_SY_EESZ_S10_S11_S12_S16_S17_S18_S1B_S1C_jS1D_jS1E_S1E_jjS1G_bEUljE0_EEESZ_S10_S11_S18_S1C_S1E_T6_T7_T9_mT8_S1G_bDpT10_ENKUlT_T0_E_clISt17integral_constantIbLb0EES1U_EEDaS1P_S1Q_EUlS1P_E_NS1_11comp_targetILNS1_3genE9ELNS1_11target_archE1100ELNS1_3gpuE3ELNS1_3repE0EEENS1_30default_config_static_selectorELNS0_4arch9wavefront6targetE0EEEvS12_: ; @_ZN7rocprim17ROCPRIM_400000_NS6detail17trampoline_kernelINS0_13select_configILj256ELj13ELNS0_17block_load_methodE3ELS4_3ELS4_3ELNS0_20block_scan_algorithmE0ELj4294967295EEENS1_25partition_config_selectorILNS1_17partition_subalgoE4EjNS0_10empty_typeEbEEZZNS1_14partition_implILS8_4ELb0ES6_15HIP_vector_typeIjLj2EENS0_17counting_iteratorIjlEEPS9_SG_NS0_5tupleIJPjSI_NS0_16reverse_iteratorISI_EEEEENSH_IJSG_SG_SG_EEES9_SI_JZNS1_25segmented_radix_sort_implINS0_14default_configELb0EPKsPsPKlPlN2at6native12_GLOBAL__N_18offset_tEEE10hipError_tPvRmT1_PNSt15iterator_traitsIS12_E10value_typeET2_T3_PNS13_IS18_E10value_typeET4_jRbjT5_S1E_jjP12ihipStream_tbEUljE_ZNSN_ISO_Lb0ESQ_SR_ST_SU_SY_EESZ_S10_S11_S12_S16_S17_S18_S1B_S1C_jS1D_jS1E_S1E_jjS1G_bEUljE0_EEESZ_S10_S11_S18_S1C_S1E_T6_T7_T9_mT8_S1G_bDpT10_ENKUlT_T0_E_clISt17integral_constantIbLb0EES1U_EEDaS1P_S1Q_EUlS1P_E_NS1_11comp_targetILNS1_3genE9ELNS1_11target_archE1100ELNS1_3gpuE3ELNS1_3repE0EEENS1_30default_config_static_selectorELNS0_4arch9wavefront6targetE0EEEvS12_
; %bb.0:
	s_clause 0x6
	s_load_b32 s5, s[0:1], 0x80
	s_load_b64 s[34:35], s[0:1], 0x10
	s_load_b64 s[2:3], s[0:1], 0x68
	s_load_b32 s8, s[0:1], 0x8
	s_load_b128 s[24:27], s[0:1], 0x58
	s_load_b64 s[40:41], s[0:1], 0xa8
	s_load_b256 s[16:23], s[0:1], 0x88
	s_mul_i32 s33, s15, 0xd00
	s_waitcnt lgkmcnt(0)
	s_mul_i32 s4, s5, 0xd00
	s_add_i32 s5, s5, -1
	s_add_u32 s6, s34, s4
	s_addc_u32 s7, s35, 0
	s_load_b128 s[28:31], s[26:27], 0x0
	s_cmp_eq_u32 s15, s5
	v_cmp_lt_u64_e64 s3, s[6:7], s[2:3]
	s_cselect_b32 s14, -1, 0
	s_cmp_lg_u32 s15, s5
	s_cselect_b32 s5, -1, 0
	s_add_i32 s6, s8, s33
	s_delay_alu instid0(VALU_DEP_1) | instskip(SKIP_4) | instid1(VALU_DEP_1)
	s_or_b32 s3, s5, s3
	s_add_i32 s6, s6, s34
	s_and_b32 vcc_lo, exec_lo, s3
	v_add_nc_u32_e32 v1, s6, v0
	s_mov_b32 s5, -1
	v_add_nc_u32_e32 v2, 0x100, v1
	v_add_nc_u32_e32 v3, 0x200, v1
	;; [unrolled: 1-line block ×12, first 2 shown]
	s_cbranch_vccz .LBB956_2
; %bb.1:
	v_lshlrev_b32_e32 v14, 2, v0
	s_mov_b32 s5, 0
	ds_store_2addr_stride64_b32 v14, v1, v2 offset1:4
	ds_store_2addr_stride64_b32 v14, v3, v4 offset0:8 offset1:12
	ds_store_2addr_stride64_b32 v14, v5, v6 offset0:16 offset1:20
	;; [unrolled: 1-line block ×5, first 2 shown]
	ds_store_b32 v14, v13 offset:12288
	s_waitcnt lgkmcnt(0)
	s_barrier
.LBB956_2:
	s_and_not1_b32 vcc_lo, exec_lo, s5
	s_add_i32 s4, s4, s34
	s_cbranch_vccnz .LBB956_4
; %bb.3:
	v_lshlrev_b32_e32 v14, 2, v0
	ds_store_2addr_stride64_b32 v14, v1, v2 offset1:4
	ds_store_2addr_stride64_b32 v14, v3, v4 offset0:8 offset1:12
	ds_store_2addr_stride64_b32 v14, v5, v6 offset0:16 offset1:20
	ds_store_2addr_stride64_b32 v14, v7, v8 offset0:24 offset1:28
	ds_store_2addr_stride64_b32 v14, v9, v10 offset0:32 offset1:36
	ds_store_2addr_stride64_b32 v14, v11, v12 offset0:40 offset1:44
	ds_store_b32 v14, v13 offset:12288
	s_waitcnt lgkmcnt(0)
	s_barrier
.LBB956_4:
	v_mul_u32_u24_e32 v28, 13, v0
	s_clause 0x1
	s_load_b128 s[36:39], s[0:1], 0x28
	s_load_b64 s[26:27], s[0:1], 0x38
	s_waitcnt lgkmcnt(0)
	buffer_gl0_inv
	v_cndmask_b32_e64 v26, 0, 1, s3
	s_sub_i32 s44, s2, s4
	v_lshlrev_b32_e32 v1, 2, v28
	s_and_not1_b32 vcc_lo, exec_lo, s3
	ds_load_2addr_b32 v[16:17], v1 offset1:1
	ds_load_2addr_b32 v[14:15], v1 offset0:2 offset1:3
	ds_load_2addr_b32 v[12:13], v1 offset0:4 offset1:5
	;; [unrolled: 1-line block ×5, first 2 shown]
	ds_load_b32 v27, v1 offset:48
	s_waitcnt lgkmcnt(0)
	s_barrier
	buffer_gl0_inv
	s_cbranch_vccnz .LBB956_32
; %bb.5:
	v_add_nc_u32_e32 v1, s17, v16
	v_add_nc_u32_e32 v2, s19, v16
	s_mov_b32 s46, 0
	s_mov_b32 s45, 0
	s_mov_b32 s3, exec_lo
	v_mul_lo_u32 v1, v1, s16
	v_mul_lo_u32 v2, v2, s18
	s_delay_alu instid0(VALU_DEP_1) | instskip(NEXT) | instid1(VALU_DEP_1)
	v_sub_nc_u32_e32 v1, v1, v2
	v_cmp_lt_u32_e32 vcc_lo, s20, v1
	v_cmpx_ge_u32_e64 s20, v1
; %bb.6:
	v_add_nc_u32_e32 v1, s22, v16
	v_add_nc_u32_e32 v2, s40, v16
	s_delay_alu instid0(VALU_DEP_2) | instskip(NEXT) | instid1(VALU_DEP_2)
	v_mul_lo_u32 v1, v1, s21
	v_mul_lo_u32 v2, v2, s23
	s_delay_alu instid0(VALU_DEP_1) | instskip(NEXT) | instid1(VALU_DEP_1)
	v_sub_nc_u32_e32 v1, v1, v2
	v_cmp_lt_u32_e64 s2, s41, v1
	s_delay_alu instid0(VALU_DEP_1)
	s_and_b32 s45, s2, exec_lo
; %bb.7:
	s_or_b32 exec_lo, exec_lo, s3
	v_add_nc_u32_e32 v1, s17, v17
	v_add_nc_u32_e32 v2, s19, v17
	s_mov_b32 s4, exec_lo
	s_delay_alu instid0(VALU_DEP_2) | instskip(NEXT) | instid1(VALU_DEP_2)
	v_mul_lo_u32 v1, v1, s16
	v_mul_lo_u32 v2, v2, s18
	s_delay_alu instid0(VALU_DEP_1) | instskip(NEXT) | instid1(VALU_DEP_1)
	v_sub_nc_u32_e32 v1, v1, v2
	v_cmp_lt_u32_e64 s2, s20, v1
	v_cmpx_ge_u32_e64 s20, v1
; %bb.8:
	v_add_nc_u32_e32 v1, s22, v17
	v_add_nc_u32_e32 v2, s40, v17
	s_delay_alu instid0(VALU_DEP_2) | instskip(NEXT) | instid1(VALU_DEP_2)
	v_mul_lo_u32 v1, v1, s21
	v_mul_lo_u32 v2, v2, s23
	s_delay_alu instid0(VALU_DEP_1) | instskip(NEXT) | instid1(VALU_DEP_1)
	v_sub_nc_u32_e32 v1, v1, v2
	v_cmp_lt_u32_e64 s3, s41, v1
	s_delay_alu instid0(VALU_DEP_1)
	s_and_b32 s46, s3, exec_lo
; %bb.9:
	s_or_b32 exec_lo, exec_lo, s4
	v_add_nc_u32_e32 v1, s17, v14
	v_add_nc_u32_e32 v2, s19, v14
	s_mov_b32 s48, 0
	s_mov_b32 s47, 0
	s_mov_b32 s5, exec_lo
	v_mul_lo_u32 v1, v1, s16
	v_mul_lo_u32 v2, v2, s18
	s_delay_alu instid0(VALU_DEP_1) | instskip(NEXT) | instid1(VALU_DEP_1)
	v_sub_nc_u32_e32 v1, v1, v2
	v_cmp_lt_u32_e64 s3, s20, v1
	v_cmpx_ge_u32_e64 s20, v1
; %bb.10:
	v_add_nc_u32_e32 v1, s22, v14
	v_add_nc_u32_e32 v2, s40, v14
	s_delay_alu instid0(VALU_DEP_2) | instskip(NEXT) | instid1(VALU_DEP_2)
	v_mul_lo_u32 v1, v1, s21
	v_mul_lo_u32 v2, v2, s23
	s_delay_alu instid0(VALU_DEP_1) | instskip(NEXT) | instid1(VALU_DEP_1)
	v_sub_nc_u32_e32 v1, v1, v2
	v_cmp_lt_u32_e64 s4, s41, v1
	s_delay_alu instid0(VALU_DEP_1)
	s_and_b32 s47, s4, exec_lo
; %bb.11:
	s_or_b32 exec_lo, exec_lo, s5
	v_add_nc_u32_e32 v1, s17, v15
	v_add_nc_u32_e32 v2, s19, v15
	s_mov_b32 s6, exec_lo
	s_delay_alu instid0(VALU_DEP_2) | instskip(NEXT) | instid1(VALU_DEP_2)
	v_mul_lo_u32 v1, v1, s16
	v_mul_lo_u32 v2, v2, s18
	s_delay_alu instid0(VALU_DEP_1) | instskip(NEXT) | instid1(VALU_DEP_1)
	v_sub_nc_u32_e32 v1, v1, v2
	v_cmp_lt_u32_e64 s4, s20, v1
	v_cmpx_ge_u32_e64 s20, v1
; %bb.12:
	v_add_nc_u32_e32 v1, s22, v15
	v_add_nc_u32_e32 v2, s40, v15
	s_delay_alu instid0(VALU_DEP_2) | instskip(NEXT) | instid1(VALU_DEP_2)
	v_mul_lo_u32 v1, v1, s21
	v_mul_lo_u32 v2, v2, s23
	s_delay_alu instid0(VALU_DEP_1) | instskip(NEXT) | instid1(VALU_DEP_1)
	v_sub_nc_u32_e32 v1, v1, v2
	v_cmp_lt_u32_e64 s5, s41, v1
	s_delay_alu instid0(VALU_DEP_1)
	s_and_b32 s48, s5, exec_lo
; %bb.13:
	s_or_b32 exec_lo, exec_lo, s6
	v_add_nc_u32_e32 v1, s17, v12
	v_add_nc_u32_e32 v2, s19, v12
	s_mov_b32 s50, 0
	s_mov_b32 s49, 0
	s_mov_b32 s7, exec_lo
	v_mul_lo_u32 v1, v1, s16
	v_mul_lo_u32 v2, v2, s18
	s_delay_alu instid0(VALU_DEP_1) | instskip(NEXT) | instid1(VALU_DEP_1)
	v_sub_nc_u32_e32 v1, v1, v2
	v_cmp_lt_u32_e64 s5, s20, v1
	;; [unrolled: 47-line block ×5, first 2 shown]
	v_cmpx_ge_u32_e64 s20, v1
; %bb.26:
	v_add_nc_u32_e32 v1, s22, v6
	v_add_nc_u32_e32 v2, s40, v6
	s_delay_alu instid0(VALU_DEP_2) | instskip(NEXT) | instid1(VALU_DEP_2)
	v_mul_lo_u32 v1, v1, s21
	v_mul_lo_u32 v2, v2, s23
	s_delay_alu instid0(VALU_DEP_1) | instskip(NEXT) | instid1(VALU_DEP_1)
	v_sub_nc_u32_e32 v1, v1, v2
	v_cmp_lt_u32_e64 s12, s41, v1
	s_delay_alu instid0(VALU_DEP_1)
	s_and_b32 s57, s12, exec_lo
; %bb.27:
	s_or_b32 exec_lo, exec_lo, s13
	v_add_nc_u32_e32 v1, s17, v7
	v_add_nc_u32_e32 v2, s19, v7
	s_mov_b32 s42, exec_lo
	s_delay_alu instid0(VALU_DEP_2) | instskip(NEXT) | instid1(VALU_DEP_2)
	v_mul_lo_u32 v1, v1, s16
	v_mul_lo_u32 v2, v2, s18
	s_delay_alu instid0(VALU_DEP_1) | instskip(NEXT) | instid1(VALU_DEP_1)
	v_sub_nc_u32_e32 v1, v1, v2
	v_cmp_lt_u32_e64 s12, s20, v1
	v_cmpx_ge_u32_e64 s20, v1
; %bb.28:
	v_add_nc_u32_e32 v1, s22, v7
	v_add_nc_u32_e32 v2, s40, v7
	s_delay_alu instid0(VALU_DEP_2) | instskip(NEXT) | instid1(VALU_DEP_2)
	v_mul_lo_u32 v1, v1, s21
	v_mul_lo_u32 v2, v2, s23
	s_delay_alu instid0(VALU_DEP_1) | instskip(NEXT) | instid1(VALU_DEP_1)
	v_sub_nc_u32_e32 v1, v1, v2
	v_cmp_lt_u32_e64 s13, s41, v1
	s_delay_alu instid0(VALU_DEP_1)
	s_and_b32 s56, s13, exec_lo
; %bb.29:
	s_or_b32 exec_lo, exec_lo, s42
	v_add_nc_u32_e32 v1, s17, v27
	v_add_nc_u32_e32 v2, s19, v27
	s_mov_b32 s42, -1
	s_mov_b32 s53, 0
	s_mov_b32 s43, 0
	v_mul_lo_u32 v1, v1, s16
	v_mul_lo_u32 v2, v2, s18
	s_mov_b32 s58, exec_lo
	s_delay_alu instid0(VALU_DEP_1) | instskip(NEXT) | instid1(VALU_DEP_1)
	v_sub_nc_u32_e32 v1, v1, v2
	v_cmpx_ge_u32_e64 s20, v1
; %bb.30:
	v_add_nc_u32_e32 v1, s22, v27
	v_add_nc_u32_e32 v2, s40, v27
	s_xor_b32 s42, exec_lo, -1
	s_delay_alu instid0(VALU_DEP_2) | instskip(NEXT) | instid1(VALU_DEP_2)
	v_mul_lo_u32 v1, v1, s21
	v_mul_lo_u32 v2, v2, s23
	s_delay_alu instid0(VALU_DEP_1) | instskip(NEXT) | instid1(VALU_DEP_1)
	v_sub_nc_u32_e32 v1, v1, v2
	v_cmp_lt_u32_e64 s13, s41, v1
	s_delay_alu instid0(VALU_DEP_1)
	s_and_b32 s43, s13, exec_lo
; %bb.31:
	s_or_b32 exec_lo, exec_lo, s58
	v_cndmask_b32_e64 v48, 0, 1, s57
	v_cndmask_b32_e64 v51, 0, 1, s12
	;; [unrolled: 1-line block ×22, first 2 shown]
	v_cndmask_b32_e64 v29, 0, 1, vcc_lo
	v_cndmask_b32_e64 v52, 0, 1, s56
	s_load_b64 s[4:5], s[0:1], 0x78
	s_and_b32 vcc_lo, exec_lo, s53
	s_add_i32 s3, s44, 0xd00
	s_cbranch_vccnz .LBB956_33
	s_branch .LBB956_86
.LBB956_32:
                                        ; implicit-def: $sgpr42
                                        ; implicit-def: $sgpr43
                                        ; implicit-def: $vgpr52
                                        ; implicit-def: $vgpr48
                                        ; implicit-def: $vgpr47
                                        ; implicit-def: $vgpr45
                                        ; implicit-def: $vgpr43
                                        ; implicit-def: $vgpr40
                                        ; implicit-def: $vgpr39
                                        ; implicit-def: $vgpr37
                                        ; implicit-def: $vgpr35
                                        ; implicit-def: $vgpr29
                                        ; implicit-def: $vgpr33
                                        ; implicit-def: $vgpr31
                                        ; implicit-def: $vgpr32
                                        ; implicit-def: $vgpr38
                                        ; implicit-def: $vgpr41
                                        ; implicit-def: $vgpr42
                                        ; implicit-def: $vgpr44
                                        ; implicit-def: $vgpr46
                                        ; implicit-def: $vgpr49
                                        ; implicit-def: $vgpr50
                                        ; implicit-def: $vgpr51
                                        ; implicit-def: $vgpr30
                                        ; implicit-def: $vgpr34
                                        ; implicit-def: $vgpr36
	s_load_b64 s[4:5], s[0:1], 0x78
	s_add_i32 s3, s44, 0xd00
	s_cbranch_execz .LBB956_86
.LBB956_33:
	v_dual_mov_b32 v30, 0 :: v_dual_mov_b32 v29, 0
	s_mov_b32 s2, 0
	s_mov_b32 s1, exec_lo
	v_cmpx_gt_u32_e64 s3, v28
	s_cbranch_execz .LBB956_37
; %bb.34:
	v_add_nc_u32_e32 v1, s17, v16
	v_add_nc_u32_e32 v2, s19, v16
	s_mov_b32 s6, exec_lo
	s_delay_alu instid0(VALU_DEP_2) | instskip(NEXT) | instid1(VALU_DEP_2)
	v_mul_lo_u32 v1, v1, s16
	v_mul_lo_u32 v2, v2, s18
	s_delay_alu instid0(VALU_DEP_1) | instskip(NEXT) | instid1(VALU_DEP_1)
	v_sub_nc_u32_e32 v1, v1, v2
	v_cmp_lt_u32_e32 vcc_lo, s20, v1
	v_cmpx_ge_u32_e64 s20, v1
; %bb.35:
	v_add_nc_u32_e32 v1, s22, v16
	v_add_nc_u32_e32 v2, s40, v16
	s_delay_alu instid0(VALU_DEP_2) | instskip(NEXT) | instid1(VALU_DEP_2)
	v_mul_lo_u32 v1, v1, s21
	v_mul_lo_u32 v2, v2, s23
	s_delay_alu instid0(VALU_DEP_1) | instskip(NEXT) | instid1(VALU_DEP_1)
	v_sub_nc_u32_e32 v1, v1, v2
	v_cmp_lt_u32_e64 s0, s41, v1
	s_delay_alu instid0(VALU_DEP_1)
	s_and_b32 s2, s0, exec_lo
; %bb.36:
	s_or_b32 exec_lo, exec_lo, s6
	v_cndmask_b32_e64 v29, 0, 1, vcc_lo
	v_cndmask_b32_e64 v30, 0, 1, s2
.LBB956_37:
	s_or_b32 exec_lo, exec_lo, s1
	v_dual_mov_b32 v34, 0 :: v_dual_add_nc_u32 v1, 1, v28
	v_mov_b32_e32 v33, 0
	s_mov_b32 s2, 0
	s_mov_b32 s1, exec_lo
	s_delay_alu instid0(VALU_DEP_2)
	v_cmpx_gt_u32_e64 s3, v1
	s_cbranch_execz .LBB956_41
; %bb.38:
	v_add_nc_u32_e32 v1, s17, v17
	v_add_nc_u32_e32 v2, s19, v17
	s_mov_b32 s6, exec_lo
	s_delay_alu instid0(VALU_DEP_2) | instskip(NEXT) | instid1(VALU_DEP_2)
	v_mul_lo_u32 v1, v1, s16
	v_mul_lo_u32 v2, v2, s18
	s_delay_alu instid0(VALU_DEP_1) | instskip(NEXT) | instid1(VALU_DEP_1)
	v_sub_nc_u32_e32 v1, v1, v2
	v_cmp_lt_u32_e32 vcc_lo, s20, v1
	v_cmpx_ge_u32_e64 s20, v1
; %bb.39:
	v_add_nc_u32_e32 v1, s22, v17
	v_add_nc_u32_e32 v2, s40, v17
	s_delay_alu instid0(VALU_DEP_2) | instskip(NEXT) | instid1(VALU_DEP_2)
	v_mul_lo_u32 v1, v1, s21
	v_mul_lo_u32 v2, v2, s23
	s_delay_alu instid0(VALU_DEP_1) | instskip(NEXT) | instid1(VALU_DEP_1)
	v_sub_nc_u32_e32 v1, v1, v2
	v_cmp_lt_u32_e64 s0, s41, v1
	s_delay_alu instid0(VALU_DEP_1)
	s_and_b32 s2, s0, exec_lo
; %bb.40:
	s_or_b32 exec_lo, exec_lo, s6
	v_cndmask_b32_e64 v33, 0, 1, vcc_lo
	v_cndmask_b32_e64 v34, 0, 1, s2
.LBB956_41:
	s_or_b32 exec_lo, exec_lo, s1
	v_dual_mov_b32 v36, 0 :: v_dual_add_nc_u32 v1, 2, v28
	v_mov_b32_e32 v31, 0
	s_mov_b32 s2, 0
	s_mov_b32 s1, exec_lo
	s_delay_alu instid0(VALU_DEP_2)
	;; [unrolled: 35-line block ×4, first 2 shown]
	v_cmpx_gt_u32_e64 s3, v1
	s_cbranch_execz .LBB956_53
; %bb.50:
	v_add_nc_u32_e32 v1, s17, v12
	v_add_nc_u32_e32 v2, s19, v12
	s_mov_b32 s6, exec_lo
	s_delay_alu instid0(VALU_DEP_2) | instskip(NEXT) | instid1(VALU_DEP_2)
	v_mul_lo_u32 v1, v1, s16
	v_mul_lo_u32 v2, v2, s18
	s_delay_alu instid0(VALU_DEP_1) | instskip(NEXT) | instid1(VALU_DEP_1)
	v_sub_nc_u32_e32 v1, v1, v2
	v_cmp_lt_u32_e32 vcc_lo, s20, v1
	v_cmpx_ge_u32_e64 s20, v1
; %bb.51:
	v_add_nc_u32_e32 v1, s22, v12
	v_add_nc_u32_e32 v2, s40, v12
	s_delay_alu instid0(VALU_DEP_2) | instskip(NEXT) | instid1(VALU_DEP_2)
	v_mul_lo_u32 v1, v1, s21
	v_mul_lo_u32 v2, v2, s23
	s_delay_alu instid0(VALU_DEP_1) | instskip(NEXT) | instid1(VALU_DEP_1)
	v_sub_nc_u32_e32 v1, v1, v2
	v_cmp_lt_u32_e64 s0, s41, v1
	s_delay_alu instid0(VALU_DEP_1)
	s_and_b32 s2, s0, exec_lo
; %bb.52:
	s_or_b32 exec_lo, exec_lo, s6
	v_cndmask_b32_e64 v38, 0, 1, vcc_lo
	v_cndmask_b32_e64 v37, 0, 1, s2
.LBB956_53:
	s_or_b32 exec_lo, exec_lo, s1
	v_add_nc_u32_e32 v1, 5, v28
	v_mov_b32_e32 v39, 0
	v_mov_b32_e32 v41, 0
	s_mov_b32 s2, 0
	s_mov_b32 s1, exec_lo
	v_cmpx_gt_u32_e64 s3, v1
	s_cbranch_execz .LBB956_57
; %bb.54:
	v_add_nc_u32_e32 v1, s17, v13
	v_add_nc_u32_e32 v2, s19, v13
	s_mov_b32 s6, exec_lo
	s_delay_alu instid0(VALU_DEP_2) | instskip(NEXT) | instid1(VALU_DEP_2)
	v_mul_lo_u32 v1, v1, s16
	v_mul_lo_u32 v2, v2, s18
	s_delay_alu instid0(VALU_DEP_1) | instskip(NEXT) | instid1(VALU_DEP_1)
	v_sub_nc_u32_e32 v1, v1, v2
	v_cmp_lt_u32_e32 vcc_lo, s20, v1
	v_cmpx_ge_u32_e64 s20, v1
; %bb.55:
	v_add_nc_u32_e32 v1, s22, v13
	v_add_nc_u32_e32 v2, s40, v13
	s_delay_alu instid0(VALU_DEP_2) | instskip(NEXT) | instid1(VALU_DEP_2)
	v_mul_lo_u32 v1, v1, s21
	v_mul_lo_u32 v2, v2, s23
	s_delay_alu instid0(VALU_DEP_1) | instskip(NEXT) | instid1(VALU_DEP_1)
	v_sub_nc_u32_e32 v1, v1, v2
	v_cmp_lt_u32_e64 s0, s41, v1
	s_delay_alu instid0(VALU_DEP_1)
	s_and_b32 s2, s0, exec_lo
; %bb.56:
	s_or_b32 exec_lo, exec_lo, s6
	v_cndmask_b32_e64 v41, 0, 1, vcc_lo
	v_cndmask_b32_e64 v39, 0, 1, s2
.LBB956_57:
	s_or_b32 exec_lo, exec_lo, s1
	v_dual_mov_b32 v40, 0 :: v_dual_add_nc_u32 v1, 6, v28
	v_mov_b32_e32 v42, 0
	s_mov_b32 s2, 0
	s_mov_b32 s1, exec_lo
	s_delay_alu instid0(VALU_DEP_2)
	v_cmpx_gt_u32_e64 s3, v1
	s_cbranch_execz .LBB956_61
; %bb.58:
	v_add_nc_u32_e32 v1, s17, v10
	v_add_nc_u32_e32 v2, s19, v10
	s_mov_b32 s6, exec_lo
	s_delay_alu instid0(VALU_DEP_2) | instskip(NEXT) | instid1(VALU_DEP_2)
	v_mul_lo_u32 v1, v1, s16
	v_mul_lo_u32 v2, v2, s18
	s_delay_alu instid0(VALU_DEP_1) | instskip(NEXT) | instid1(VALU_DEP_1)
	v_sub_nc_u32_e32 v1, v1, v2
	v_cmp_lt_u32_e32 vcc_lo, s20, v1
	v_cmpx_ge_u32_e64 s20, v1
; %bb.59:
	v_add_nc_u32_e32 v1, s22, v10
	v_add_nc_u32_e32 v2, s40, v10
	s_delay_alu instid0(VALU_DEP_2) | instskip(NEXT) | instid1(VALU_DEP_2)
	v_mul_lo_u32 v1, v1, s21
	v_mul_lo_u32 v2, v2, s23
	s_delay_alu instid0(VALU_DEP_1) | instskip(NEXT) | instid1(VALU_DEP_1)
	v_sub_nc_u32_e32 v1, v1, v2
	v_cmp_lt_u32_e64 s0, s41, v1
	s_delay_alu instid0(VALU_DEP_1)
	s_and_b32 s2, s0, exec_lo
; %bb.60:
	s_or_b32 exec_lo, exec_lo, s6
	v_cndmask_b32_e64 v42, 0, 1, vcc_lo
	v_cndmask_b32_e64 v40, 0, 1, s2
.LBB956_61:
	s_or_b32 exec_lo, exec_lo, s1
	v_dual_mov_b32 v44, 0 :: v_dual_add_nc_u32 v1, 7, v28
	v_mov_b32_e32 v43, 0
	s_mov_b32 s2, 0
	s_mov_b32 s1, exec_lo
	s_delay_alu instid0(VALU_DEP_2)
	;; [unrolled: 35-line block ×3, first 2 shown]
	v_cmpx_gt_u32_e64 s3, v1
	s_cbranch_execz .LBB956_69
; %bb.66:
	v_add_nc_u32_e32 v1, s17, v8
	v_add_nc_u32_e32 v2, s19, v8
	s_mov_b32 s6, exec_lo
	s_delay_alu instid0(VALU_DEP_2) | instskip(NEXT) | instid1(VALU_DEP_2)
	v_mul_lo_u32 v1, v1, s16
	v_mul_lo_u32 v2, v2, s18
	s_delay_alu instid0(VALU_DEP_1) | instskip(NEXT) | instid1(VALU_DEP_1)
	v_sub_nc_u32_e32 v1, v1, v2
	v_cmp_lt_u32_e32 vcc_lo, s20, v1
	v_cmpx_ge_u32_e64 s20, v1
; %bb.67:
	v_add_nc_u32_e32 v1, s22, v8
	v_add_nc_u32_e32 v2, s40, v8
	s_delay_alu instid0(VALU_DEP_2) | instskip(NEXT) | instid1(VALU_DEP_2)
	v_mul_lo_u32 v1, v1, s21
	v_mul_lo_u32 v2, v2, s23
	s_delay_alu instid0(VALU_DEP_1) | instskip(NEXT) | instid1(VALU_DEP_1)
	v_sub_nc_u32_e32 v1, v1, v2
	v_cmp_lt_u32_e64 s0, s41, v1
	s_delay_alu instid0(VALU_DEP_1)
	s_and_b32 s2, s0, exec_lo
; %bb.68:
	s_or_b32 exec_lo, exec_lo, s6
	v_cndmask_b32_e64 v46, 0, 1, vcc_lo
	v_cndmask_b32_e64 v45, 0, 1, s2
.LBB956_69:
	s_or_b32 exec_lo, exec_lo, s1
	v_add_nc_u32_e32 v1, 9, v28
	v_mov_b32_e32 v47, 0
	v_mov_b32_e32 v49, 0
	s_mov_b32 s2, 0
	s_mov_b32 s1, exec_lo
	v_cmpx_gt_u32_e64 s3, v1
	s_cbranch_execz .LBB956_73
; %bb.70:
	v_add_nc_u32_e32 v1, s17, v9
	v_add_nc_u32_e32 v2, s19, v9
	s_mov_b32 s6, exec_lo
	s_delay_alu instid0(VALU_DEP_2) | instskip(NEXT) | instid1(VALU_DEP_2)
	v_mul_lo_u32 v1, v1, s16
	v_mul_lo_u32 v2, v2, s18
	s_delay_alu instid0(VALU_DEP_1) | instskip(NEXT) | instid1(VALU_DEP_1)
	v_sub_nc_u32_e32 v1, v1, v2
	v_cmp_lt_u32_e32 vcc_lo, s20, v1
	v_cmpx_ge_u32_e64 s20, v1
; %bb.71:
	v_add_nc_u32_e32 v1, s22, v9
	v_add_nc_u32_e32 v2, s40, v9
	s_delay_alu instid0(VALU_DEP_2) | instskip(NEXT) | instid1(VALU_DEP_2)
	v_mul_lo_u32 v1, v1, s21
	v_mul_lo_u32 v2, v2, s23
	s_delay_alu instid0(VALU_DEP_1) | instskip(NEXT) | instid1(VALU_DEP_1)
	v_sub_nc_u32_e32 v1, v1, v2
	v_cmp_lt_u32_e64 s0, s41, v1
	s_delay_alu instid0(VALU_DEP_1)
	s_and_b32 s2, s0, exec_lo
; %bb.72:
	s_or_b32 exec_lo, exec_lo, s6
	v_cndmask_b32_e64 v49, 0, 1, vcc_lo
	v_cndmask_b32_e64 v47, 0, 1, s2
.LBB956_73:
	s_or_b32 exec_lo, exec_lo, s1
	v_dual_mov_b32 v48, 0 :: v_dual_add_nc_u32 v1, 10, v28
	v_mov_b32_e32 v50, 0
	s_mov_b32 s2, 0
	s_mov_b32 s1, exec_lo
	s_delay_alu instid0(VALU_DEP_2)
	v_cmpx_gt_u32_e64 s3, v1
	s_cbranch_execz .LBB956_77
; %bb.74:
	v_add_nc_u32_e32 v1, s17, v6
	v_add_nc_u32_e32 v2, s19, v6
	s_mov_b32 s6, exec_lo
	s_delay_alu instid0(VALU_DEP_2) | instskip(NEXT) | instid1(VALU_DEP_2)
	v_mul_lo_u32 v1, v1, s16
	v_mul_lo_u32 v2, v2, s18
	s_delay_alu instid0(VALU_DEP_1) | instskip(NEXT) | instid1(VALU_DEP_1)
	v_sub_nc_u32_e32 v1, v1, v2
	v_cmp_lt_u32_e32 vcc_lo, s20, v1
	v_cmpx_ge_u32_e64 s20, v1
; %bb.75:
	v_add_nc_u32_e32 v1, s22, v6
	v_add_nc_u32_e32 v2, s40, v6
	s_delay_alu instid0(VALU_DEP_2) | instskip(NEXT) | instid1(VALU_DEP_2)
	v_mul_lo_u32 v1, v1, s21
	v_mul_lo_u32 v2, v2, s23
	s_delay_alu instid0(VALU_DEP_1) | instskip(NEXT) | instid1(VALU_DEP_1)
	v_sub_nc_u32_e32 v1, v1, v2
	v_cmp_lt_u32_e64 s0, s41, v1
	s_delay_alu instid0(VALU_DEP_1)
	s_and_b32 s2, s0, exec_lo
; %bb.76:
	s_or_b32 exec_lo, exec_lo, s6
	v_cndmask_b32_e64 v50, 0, 1, vcc_lo
	v_cndmask_b32_e64 v48, 0, 1, s2
.LBB956_77:
	s_or_b32 exec_lo, exec_lo, s1
	v_dual_mov_b32 v52, 0 :: v_dual_add_nc_u32 v1, 11, v28
	v_mov_b32_e32 v51, 0
	s_mov_b32 s2, 0
	s_mov_b32 s1, exec_lo
	s_delay_alu instid0(VALU_DEP_2)
	v_cmpx_gt_u32_e64 s3, v1
	s_cbranch_execz .LBB956_81
; %bb.78:
	v_add_nc_u32_e32 v1, s17, v7
	v_add_nc_u32_e32 v2, s19, v7
	s_mov_b32 s6, exec_lo
	s_delay_alu instid0(VALU_DEP_2) | instskip(NEXT) | instid1(VALU_DEP_2)
	v_mul_lo_u32 v1, v1, s16
	v_mul_lo_u32 v2, v2, s18
	s_delay_alu instid0(VALU_DEP_1) | instskip(NEXT) | instid1(VALU_DEP_1)
	v_sub_nc_u32_e32 v1, v1, v2
	v_cmp_lt_u32_e32 vcc_lo, s20, v1
	v_cmpx_ge_u32_e64 s20, v1
; %bb.79:
	v_add_nc_u32_e32 v1, s22, v7
	v_add_nc_u32_e32 v2, s40, v7
	s_delay_alu instid0(VALU_DEP_2) | instskip(NEXT) | instid1(VALU_DEP_2)
	v_mul_lo_u32 v1, v1, s21
	v_mul_lo_u32 v2, v2, s23
	s_delay_alu instid0(VALU_DEP_1) | instskip(NEXT) | instid1(VALU_DEP_1)
	v_sub_nc_u32_e32 v1, v1, v2
	v_cmp_lt_u32_e64 s0, s41, v1
	s_delay_alu instid0(VALU_DEP_1)
	s_and_b32 s2, s0, exec_lo
; %bb.80:
	s_or_b32 exec_lo, exec_lo, s6
	v_cndmask_b32_e64 v51, 0, 1, vcc_lo
	v_cndmask_b32_e64 v52, 0, 1, s2
.LBB956_81:
	s_or_b32 exec_lo, exec_lo, s1
	v_add_nc_u32_e32 v1, 12, v28
	s_mov_b32 s42, 0
	s_mov_b32 s43, 0
	s_mov_b32 s0, exec_lo
	s_delay_alu instid0(VALU_DEP_1)
	v_cmpx_gt_u32_e64 s3, v1
	s_cbranch_execz .LBB956_85
; %bb.82:
	v_add_nc_u32_e32 v1, s17, v27
	v_add_nc_u32_e32 v2, s19, v27
	s_mov_b32 s2, -1
	s_mov_b32 s6, 0
	s_mov_b32 s1, exec_lo
	v_mul_lo_u32 v1, v1, s16
	v_mul_lo_u32 v2, v2, s18
	s_delay_alu instid0(VALU_DEP_1) | instskip(NEXT) | instid1(VALU_DEP_1)
	v_sub_nc_u32_e32 v1, v1, v2
	v_cmpx_ge_u32_e64 s20, v1
; %bb.83:
	v_add_nc_u32_e32 v1, s22, v27
	v_add_nc_u32_e32 v2, s40, v27
	s_xor_b32 s2, exec_lo, -1
	s_delay_alu instid0(VALU_DEP_2) | instskip(NEXT) | instid1(VALU_DEP_2)
	v_mul_lo_u32 v1, v1, s21
	v_mul_lo_u32 v2, v2, s23
	s_delay_alu instid0(VALU_DEP_1) | instskip(NEXT) | instid1(VALU_DEP_1)
	v_sub_nc_u32_e32 v1, v1, v2
	v_cmp_lt_u32_e32 vcc_lo, s41, v1
	s_and_b32 s6, vcc_lo, exec_lo
; %bb.84:
	s_or_b32 exec_lo, exec_lo, s1
	s_delay_alu instid0(SALU_CYCLE_1)
	s_and_b32 s43, s6, exec_lo
	s_and_b32 s42, s2, exec_lo
.LBB956_85:
	s_or_b32 exec_lo, exec_lo, s0
.LBB956_86:
	v_and_b32_e32 v75, 0xff, v29
	v_and_b32_e32 v76, 0xff, v30
	;; [unrolled: 1-line block ×10, first 2 shown]
	v_add3_u32 v1, v71, v73, v75
	v_add3_u32 v2, v72, v74, v76
	v_and_b32_e32 v65, 0xff, v41
	v_and_b32_e32 v66, 0xff, v39
	v_and_b32_e32 v61, 0xff, v42
	v_and_b32_e32 v62, 0xff, v40
	v_add3_u32 v1, v1, v69, v67
	v_add3_u32 v2, v2, v70, v68
	v_and_b32_e32 v63, 0xff, v44
	v_and_b32_e32 v64, 0xff, v43
	v_and_b32_e32 v59, 0xff, v46
	v_and_b32_e32 v60, 0xff, v45
	;; [unrolled: 6-line block ×3, first 2 shown]
	v_add3_u32 v1, v1, v63, v59
	v_add3_u32 v2, v2, v64, v60
	v_mbcnt_lo_u32_b32 v77, -1, 0
	v_and_b32_e32 v53, 0xff, v51
	v_and_b32_e32 v54, 0xff, v52
	v_cndmask_b32_e64 v3, 0, 1, s43
	v_add3_u32 v1, v1, v57, v55
	v_cndmask_b32_e64 v4, 0, 1, s42
	v_add3_u32 v2, v2, v58, v56
	v_and_b32_e32 v81, 15, v77
	v_and_b32_e32 v80, 16, v77
	v_lshrrev_b32_e32 v78, 5, v0
	v_add3_u32 v82, v1, v53, v4
	v_add3_u32 v83, v2, v54, v3
	v_cmp_eq_u32_e64 s1, 0, v81
	v_cmp_lt_u32_e64 s0, 1, v81
	v_cmp_lt_u32_e64 s2, 3, v81
	v_cmp_lt_u32_e32 vcc_lo, 7, v81
	v_or_b32_e32 v79, 31, v0
	s_cmp_lg_u32 s15, 0
	s_mov_b32 s6, -1
	s_cbranch_scc0 .LBB956_114
; %bb.87:
	v_mov_b32_dpp v1, v83 row_shr:1 row_mask:0xf bank_mask:0xf
	v_mov_b32_dpp v2, v82 row_shr:1 row_mask:0xf bank_mask:0xf
	s_delay_alu instid0(VALU_DEP_2) | instskip(NEXT) | instid1(VALU_DEP_1)
	v_add_nc_u32_e32 v1, v1, v83
	v_cndmask_b32_e64 v1, v1, v83, s1
	s_delay_alu instid0(VALU_DEP_1) | instskip(NEXT) | instid1(VALU_DEP_1)
	v_mov_b32_dpp v3, v1 row_shr:2 row_mask:0xf bank_mask:0xf
	v_add_nc_u32_e32 v3, v1, v3
	s_delay_alu instid0(VALU_DEP_1) | instskip(NEXT) | instid1(VALU_DEP_1)
	v_cndmask_b32_e64 v1, v1, v3, s0
	v_mov_b32_dpp v3, v1 row_shr:4 row_mask:0xf bank_mask:0xf
	s_delay_alu instid0(VALU_DEP_1) | instskip(NEXT) | instid1(VALU_DEP_1)
	v_add_nc_u32_e32 v3, v1, v3
	v_cndmask_b32_e64 v1, v1, v3, s2
	s_delay_alu instid0(VALU_DEP_1) | instskip(NEXT) | instid1(VALU_DEP_1)
	v_mov_b32_dpp v3, v1 row_shr:8 row_mask:0xf bank_mask:0xf
	v_add_nc_u32_e32 v3, v1, v3
	s_delay_alu instid0(VALU_DEP_1) | instskip(NEXT) | instid1(VALU_DEP_1)
	v_dual_cndmask_b32 v1, v1, v3 :: v_dual_add_nc_u32 v2, v2, v82
	v_cndmask_b32_e64 v2, v2, v82, s1
	s_delay_alu instid0(VALU_DEP_1) | instskip(NEXT) | instid1(VALU_DEP_1)
	v_mov_b32_dpp v4, v2 row_shr:2 row_mask:0xf bank_mask:0xf
	v_add_nc_u32_e32 v4, v2, v4
	s_delay_alu instid0(VALU_DEP_1) | instskip(NEXT) | instid1(VALU_DEP_1)
	v_cndmask_b32_e64 v2, v2, v4, s0
	v_mov_b32_dpp v4, v2 row_shr:4 row_mask:0xf bank_mask:0xf
	s_delay_alu instid0(VALU_DEP_1) | instskip(NEXT) | instid1(VALU_DEP_1)
	v_add_nc_u32_e32 v4, v2, v4
	v_cndmask_b32_e64 v2, v2, v4, s2
	s_mov_b32 s2, exec_lo
	s_delay_alu instid0(VALU_DEP_1) | instskip(NEXT) | instid1(VALU_DEP_1)
	v_mov_b32_dpp v4, v2 row_shr:8 row_mask:0xf bank_mask:0xf
	v_add_nc_u32_e32 v4, v2, v4
	s_delay_alu instid0(VALU_DEP_1)
	v_cndmask_b32_e32 v3, v2, v4, vcc_lo
	ds_swizzle_b32 v2, v1 offset:swizzle(BROADCAST,32,15)
	v_cmp_eq_u32_e32 vcc_lo, 0, v80
	s_waitcnt lgkmcnt(0)
	v_add_nc_u32_e32 v2, v1, v2
	ds_swizzle_b32 v4, v3 offset:swizzle(BROADCAST,32,15)
	v_cndmask_b32_e32 v2, v2, v1, vcc_lo
	s_waitcnt lgkmcnt(0)
	v_add_nc_u32_e32 v4, v3, v4
	s_delay_alu instid0(VALU_DEP_1)
	v_cndmask_b32_e32 v1, v4, v3, vcc_lo
	v_cmpx_eq_u32_e64 v79, v0
	s_cbranch_execz .LBB956_89
; %bb.88:
	v_lshlrev_b32_e32 v3, 3, v78
	ds_store_b64 v3, v[1:2]
.LBB956_89:
	s_or_b32 exec_lo, exec_lo, s2
	s_delay_alu instid0(SALU_CYCLE_1)
	s_mov_b32 s2, exec_lo
	s_waitcnt lgkmcnt(0)
	s_barrier
	buffer_gl0_inv
	v_cmpx_gt_u32_e32 8, v0
	s_cbranch_execz .LBB956_91
; %bb.90:
	v_lshlrev_b32_e32 v5, 3, v0
	ds_load_b64 v[3:4], v5
	s_waitcnt lgkmcnt(0)
	v_mov_b32_dpp v18, v3 row_shr:1 row_mask:0xf bank_mask:0xf
	v_mov_b32_dpp v19, v4 row_shr:1 row_mask:0xf bank_mask:0xf
	s_delay_alu instid0(VALU_DEP_2) | instskip(SKIP_1) | instid1(VALU_DEP_3)
	v_add_nc_u32_e32 v18, v18, v3
	v_and_b32_e32 v20, 7, v77
	v_add_nc_u32_e32 v19, v19, v4
	s_delay_alu instid0(VALU_DEP_2) | instskip(NEXT) | instid1(VALU_DEP_2)
	v_cmp_eq_u32_e32 vcc_lo, 0, v20
	v_dual_cndmask_b32 v4, v19, v4 :: v_dual_cndmask_b32 v3, v18, v3
	v_cmp_lt_u32_e32 vcc_lo, 1, v20
	s_delay_alu instid0(VALU_DEP_2) | instskip(NEXT) | instid1(VALU_DEP_3)
	v_mov_b32_dpp v19, v4 row_shr:2 row_mask:0xf bank_mask:0xf
	v_mov_b32_dpp v18, v3 row_shr:2 row_mask:0xf bank_mask:0xf
	s_delay_alu instid0(VALU_DEP_2) | instskip(NEXT) | instid1(VALU_DEP_2)
	v_add_nc_u32_e32 v19, v4, v19
	v_add_nc_u32_e32 v18, v3, v18
	s_delay_alu instid0(VALU_DEP_1) | instskip(SKIP_1) | instid1(VALU_DEP_2)
	v_dual_cndmask_b32 v4, v4, v19 :: v_dual_cndmask_b32 v3, v3, v18
	v_cmp_lt_u32_e32 vcc_lo, 3, v20
	v_mov_b32_dpp v19, v4 row_shr:4 row_mask:0xf bank_mask:0xf
	s_delay_alu instid0(VALU_DEP_3) | instskip(NEXT) | instid1(VALU_DEP_1)
	v_mov_b32_dpp v18, v3 row_shr:4 row_mask:0xf bank_mask:0xf
	v_dual_cndmask_b32 v19, 0, v19 :: v_dual_cndmask_b32 v18, 0, v18
	s_delay_alu instid0(VALU_DEP_1) | instskip(NEXT) | instid1(VALU_DEP_2)
	v_add_nc_u32_e32 v4, v19, v4
	v_add_nc_u32_e32 v3, v18, v3
	ds_store_b64 v5, v[3:4]
.LBB956_91:
	s_or_b32 exec_lo, exec_lo, s2
	v_cmp_gt_u32_e32 vcc_lo, 32, v0
	v_cmp_lt_u32_e64 s2, 31, v0
	s_waitcnt lgkmcnt(0)
	s_barrier
	buffer_gl0_inv
                                        ; implicit-def: $vgpr19
	s_and_saveexec_b32 s6, s2
	s_delay_alu instid0(SALU_CYCLE_1)
	s_xor_b32 s2, exec_lo, s6
	s_cbranch_execz .LBB956_93
; %bb.92:
	v_lshl_add_u32 v3, v78, 3, -8
	ds_load_b64 v[18:19], v3
	s_waitcnt lgkmcnt(0)
	v_add_nc_u32_e32 v2, v19, v2
	v_add_nc_u32_e32 v1, v18, v1
.LBB956_93:
	s_and_not1_saveexec_b32 s2, s2
; %bb.94:
                                        ; implicit-def: $vgpr18
; %bb.95:
	s_delay_alu instid0(SALU_CYCLE_1) | instskip(SKIP_1) | instid1(VALU_DEP_1)
	s_or_b32 exec_lo, exec_lo, s2
	v_add_nc_u32_e32 v3, -1, v77
	v_cmp_gt_i32_e64 s2, 0, v3
	s_delay_alu instid0(VALU_DEP_1) | instskip(SKIP_1) | instid1(VALU_DEP_2)
	v_cndmask_b32_e64 v3, v3, v77, s2
	v_cmp_eq_u32_e64 s2, 0, v77
	v_lshlrev_b32_e32 v3, 2, v3
	ds_bpermute_b32 v84, v3, v1
	ds_bpermute_b32 v85, v3, v2
	s_and_saveexec_b32 s6, vcc_lo
	s_cbranch_execz .LBB956_113
; %bb.96:
	v_mov_b32_e32 v4, 0
	ds_load_b64 v[1:2], v4 offset:56
	s_waitcnt lgkmcnt(0)
	v_readfirstlane_b32 s7, v2
	s_and_saveexec_b32 s8, s2
	s_cbranch_execz .LBB956_98
; %bb.97:
	s_add_i32 s10, s15, 32
	s_mov_b32 s11, 0
	v_mov_b32_e32 v3, 1
	s_lshl_b64 s[12:13], s[10:11], 4
	s_mov_b32 s16, s11
	s_add_u32 s12, s4, s12
	s_addc_u32 s13, s5, s13
	s_and_b32 s17, s7, 0xff000000
	s_and_b32 s19, s7, 0xff0000
	s_mov_b32 s18, s11
	v_dual_mov_b32 v21, s13 :: v_dual_mov_b32 v20, s12
	s_or_b64 s[16:17], s[18:19], s[16:17]
	s_and_b32 s19, s7, 0xff00
	s_delay_alu instid0(SALU_CYCLE_1) | instskip(SKIP_1) | instid1(SALU_CYCLE_1)
	s_or_b64 s[16:17], s[16:17], s[18:19]
	s_and_b32 s19, s7, 0xff
	s_or_b64 s[10:11], s[16:17], s[18:19]
	s_delay_alu instid0(SALU_CYCLE_1)
	v_mov_b32_e32 v2, s11
	;;#ASMSTART
	global_store_dwordx4 v[20:21], v[1:4] off	
s_waitcnt vmcnt(0)
	;;#ASMEND
.LBB956_98:
	s_or_b32 exec_lo, exec_lo, s8
	v_xad_u32 v20, v77, -1, s15
	s_mov_b32 s9, 0
	s_mov_b32 s8, exec_lo
	s_delay_alu instid0(VALU_DEP_1) | instskip(NEXT) | instid1(VALU_DEP_1)
	v_add_nc_u32_e32 v3, 32, v20
	v_lshlrev_b64 v[2:3], 4, v[3:4]
	s_delay_alu instid0(VALU_DEP_1) | instskip(NEXT) | instid1(VALU_DEP_2)
	v_add_co_u32 v21, vcc_lo, s4, v2
	v_add_co_ci_u32_e32 v22, vcc_lo, s5, v3, vcc_lo
	;;#ASMSTART
	global_load_dwordx4 v[2:5], v[21:22] off glc	
s_waitcnt vmcnt(0)
	;;#ASMEND
	v_and_b32_e32 v5, 0xff, v3
	v_and_b32_e32 v23, 0xff00, v3
	v_or3_b32 v2, v2, 0, 0
	v_and_b32_e32 v24, 0xff000000, v3
	v_and_b32_e32 v3, 0xff0000, v3
	s_delay_alu instid0(VALU_DEP_4) | instskip(SKIP_2) | instid1(VALU_DEP_3)
	v_or3_b32 v5, 0, v5, v23
	v_and_b32_e32 v23, 0xff, v4
	v_or3_b32 v2, v2, 0, 0
	v_or3_b32 v3, v5, v3, v24
	s_delay_alu instid0(VALU_DEP_3)
	v_cmpx_eq_u16_e32 0, v23
	s_cbranch_execz .LBB956_101
.LBB956_99:                             ; =>This Inner Loop Header: Depth=1
	;;#ASMSTART
	global_load_dwordx4 v[2:5], v[21:22] off glc	
s_waitcnt vmcnt(0)
	;;#ASMEND
	v_and_b32_e32 v5, 0xff, v4
	s_delay_alu instid0(VALU_DEP_1) | instskip(SKIP_1) | instid1(SALU_CYCLE_1)
	v_cmp_ne_u16_e32 vcc_lo, 0, v5
	s_or_b32 s9, vcc_lo, s9
	s_and_not1_b32 exec_lo, exec_lo, s9
	s_cbranch_execnz .LBB956_99
; %bb.100:
	s_or_b32 exec_lo, exec_lo, s9
.LBB956_101:
	s_delay_alu instid0(SALU_CYCLE_1)
	s_or_b32 exec_lo, exec_lo, s8
	v_cmp_ne_u32_e32 vcc_lo, 31, v77
	v_lshlrev_b32_e64 v87, v77, -1
	v_add_nc_u32_e32 v91, 4, v77
	v_add_nc_u32_e32 v93, 8, v77
	v_add_nc_u32_e32 v95, 16, v77
	v_add_co_ci_u32_e32 v5, vcc_lo, 0, v77, vcc_lo
	s_delay_alu instid0(VALU_DEP_1)
	v_lshlrev_b32_e32 v86, 2, v5
	ds_bpermute_b32 v21, v86, v3
	ds_bpermute_b32 v5, v86, v2
	s_waitcnt lgkmcnt(1)
	v_add_nc_u32_e32 v21, v21, v3
	v_and_b32_e32 v22, 0xff, v4
	s_waitcnt lgkmcnt(0)
	v_add_nc_u32_e32 v5, v5, v2
	s_delay_alu instid0(VALU_DEP_2) | instskip(SKIP_2) | instid1(VALU_DEP_2)
	v_cmp_eq_u16_e32 vcc_lo, 2, v22
	v_and_or_b32 v22, vcc_lo, v87, 0x80000000
	v_cmp_gt_u32_e32 vcc_lo, 30, v77
	v_ctz_i32_b32_e32 v22, v22
	v_cndmask_b32_e64 v23, 0, 1, vcc_lo
	s_delay_alu instid0(VALU_DEP_2) | instskip(NEXT) | instid1(VALU_DEP_2)
	v_cmp_lt_u32_e32 vcc_lo, v77, v22
	v_dual_cndmask_b32 v2, v2, v5 :: v_dual_lshlrev_b32 v23, 1, v23
	s_delay_alu instid0(VALU_DEP_1)
	v_add_lshl_u32 v88, v23, v77, 2
	v_cndmask_b32_e32 v3, v3, v21, vcc_lo
	v_cmp_gt_u32_e32 vcc_lo, 28, v77
	ds_bpermute_b32 v5, v88, v2
	ds_bpermute_b32 v21, v88, v3
	v_cndmask_b32_e64 v23, 0, 1, vcc_lo
	s_waitcnt lgkmcnt(1)
	v_add_nc_u32_e32 v5, v2, v5
	v_add_nc_u32_e32 v89, 2, v77
	s_waitcnt lgkmcnt(0)
	v_add_nc_u32_e32 v21, v3, v21
	s_delay_alu instid0(VALU_DEP_2) | instskip(SKIP_1) | instid1(VALU_DEP_3)
	v_cmp_gt_u32_e32 vcc_lo, v89, v22
	v_dual_cndmask_b32 v2, v5, v2 :: v_dual_lshlrev_b32 v23, 2, v23
	v_cndmask_b32_e32 v3, v21, v3, vcc_lo
	v_cmp_gt_u32_e32 vcc_lo, 24, v77
	s_delay_alu instid0(VALU_DEP_3)
	v_add_lshl_u32 v90, v23, v77, 2
	v_cndmask_b32_e64 v23, 0, 1, vcc_lo
	v_cmp_gt_u32_e32 vcc_lo, v91, v22
	ds_bpermute_b32 v5, v90, v2
	ds_bpermute_b32 v21, v90, v3
	v_lshlrev_b32_e32 v23, 3, v23
	s_delay_alu instid0(VALU_DEP_1) | instskip(SKIP_3) | instid1(VALU_DEP_1)
	v_add_lshl_u32 v92, v23, v77, 2
	s_waitcnt lgkmcnt(1)
	v_add_nc_u32_e32 v5, v2, v5
	s_waitcnt lgkmcnt(0)
	v_dual_cndmask_b32 v2, v5, v2 :: v_dual_add_nc_u32 v21, v3, v21
	s_delay_alu instid0(VALU_DEP_1)
	v_cndmask_b32_e32 v3, v21, v3, vcc_lo
	v_cmp_gt_u32_e32 vcc_lo, 16, v77
	ds_bpermute_b32 v5, v92, v2
	ds_bpermute_b32 v21, v92, v3
	v_cndmask_b32_e64 v23, 0, 1, vcc_lo
	v_cmp_gt_u32_e32 vcc_lo, v93, v22
	s_delay_alu instid0(VALU_DEP_2) | instskip(NEXT) | instid1(VALU_DEP_1)
	v_lshlrev_b32_e32 v23, 4, v23
	v_add_lshl_u32 v94, v23, v77, 2
	s_waitcnt lgkmcnt(1)
	v_add_nc_u32_e32 v5, v2, v5
	s_waitcnt lgkmcnt(0)
	s_delay_alu instid0(VALU_DEP_1) | instskip(NEXT) | instid1(VALU_DEP_1)
	v_dual_cndmask_b32 v2, v5, v2 :: v_dual_add_nc_u32 v21, v3, v21
	v_cndmask_b32_e32 v3, v21, v3, vcc_lo
	v_cmp_le_u32_e32 vcc_lo, v95, v22
	ds_bpermute_b32 v5, v94, v2
	ds_bpermute_b32 v21, v94, v3
	s_waitcnt lgkmcnt(1)
	v_cndmask_b32_e32 v5, 0, v5, vcc_lo
	s_waitcnt lgkmcnt(0)
	s_delay_alu instid0(VALU_DEP_1) | instskip(NEXT) | instid1(VALU_DEP_1)
	v_dual_cndmask_b32 v21, 0, v21 :: v_dual_add_nc_u32 v2, v5, v2
	v_add_nc_u32_e32 v3, v21, v3
	v_mov_b32_e32 v21, 0
	s_branch .LBB956_103
.LBB956_102:                            ;   in Loop: Header=BB956_103 Depth=1
	s_or_b32 exec_lo, exec_lo, s8
	ds_bpermute_b32 v5, v86, v2
	ds_bpermute_b32 v24, v86, v3
	v_subrev_nc_u32_e32 v20, 32, v20
	s_waitcnt lgkmcnt(1)
	v_add_nc_u32_e32 v5, v5, v2
	v_and_b32_e32 v25, 0xff, v4
	s_waitcnt lgkmcnt(0)
	v_add_nc_u32_e32 v24, v24, v3
	s_delay_alu instid0(VALU_DEP_2) | instskip(SKIP_1) | instid1(VALU_DEP_1)
	v_cmp_eq_u16_e32 vcc_lo, 2, v25
	v_and_or_b32 v25, vcc_lo, v87, 0x80000000
	v_ctz_i32_b32_e32 v25, v25
	s_delay_alu instid0(VALU_DEP_1)
	v_cmp_lt_u32_e32 vcc_lo, v77, v25
	v_cndmask_b32_e32 v2, v2, v5, vcc_lo
	ds_bpermute_b32 v5, v88, v2
	s_waitcnt lgkmcnt(0)
	v_add_nc_u32_e32 v5, v2, v5
	v_cndmask_b32_e32 v3, v3, v24, vcc_lo
	v_cmp_gt_u32_e32 vcc_lo, v89, v25
	s_delay_alu instid0(VALU_DEP_3)
	v_cndmask_b32_e32 v2, v5, v2, vcc_lo
	ds_bpermute_b32 v24, v88, v3
	ds_bpermute_b32 v5, v90, v2
	s_waitcnt lgkmcnt(1)
	v_add_nc_u32_e32 v24, v3, v24
	s_waitcnt lgkmcnt(0)
	v_add_nc_u32_e32 v5, v2, v5
	s_delay_alu instid0(VALU_DEP_2) | instskip(SKIP_1) | instid1(VALU_DEP_3)
	v_cndmask_b32_e32 v3, v24, v3, vcc_lo
	v_cmp_gt_u32_e32 vcc_lo, v91, v25
	v_cndmask_b32_e32 v2, v5, v2, vcc_lo
	ds_bpermute_b32 v24, v90, v3
	ds_bpermute_b32 v5, v92, v2
	s_waitcnt lgkmcnt(1)
	v_add_nc_u32_e32 v24, v3, v24
	s_waitcnt lgkmcnt(0)
	v_add_nc_u32_e32 v5, v2, v5
	s_delay_alu instid0(VALU_DEP_2) | instskip(SKIP_1) | instid1(VALU_DEP_3)
	v_cndmask_b32_e32 v3, v24, v3, vcc_lo
	v_cmp_gt_u32_e32 vcc_lo, v93, v25
	v_cndmask_b32_e32 v2, v5, v2, vcc_lo
	ds_bpermute_b32 v24, v92, v3
	ds_bpermute_b32 v5, v94, v2
	s_waitcnt lgkmcnt(1)
	v_add_nc_u32_e32 v24, v3, v24
	s_delay_alu instid0(VALU_DEP_1) | instskip(SKIP_4) | instid1(VALU_DEP_1)
	v_cndmask_b32_e32 v3, v24, v3, vcc_lo
	v_cmp_le_u32_e32 vcc_lo, v95, v25
	ds_bpermute_b32 v24, v94, v3
	s_waitcnt lgkmcnt(1)
	v_cndmask_b32_e32 v5, 0, v5, vcc_lo
	v_add3_u32 v2, v2, v22, v5
	s_waitcnt lgkmcnt(0)
	v_cndmask_b32_e32 v24, 0, v24, vcc_lo
	s_delay_alu instid0(VALU_DEP_1)
	v_add3_u32 v3, v3, v23, v24
.LBB956_103:                            ; =>This Loop Header: Depth=1
                                        ;     Child Loop BB956_106 Depth 2
	s_delay_alu instid0(VALU_DEP_1) | instskip(SKIP_1) | instid1(VALU_DEP_2)
	v_dual_mov_b32 v23, v3 :: v_dual_and_b32 v4, 0xff, v4
	v_mov_b32_e32 v22, v2
	v_cmp_ne_u16_e32 vcc_lo, 2, v4
	v_cndmask_b32_e64 v4, 0, 1, vcc_lo
	;;#ASMSTART
	;;#ASMEND
	s_delay_alu instid0(VALU_DEP_1)
	v_cmp_ne_u32_e32 vcc_lo, 0, v4
	s_cmp_lg_u32 vcc_lo, exec_lo
	s_cbranch_scc1 .LBB956_108
; %bb.104:                              ;   in Loop: Header=BB956_103 Depth=1
	v_lshlrev_b64 v[2:3], 4, v[20:21]
	s_mov_b32 s8, exec_lo
	s_delay_alu instid0(VALU_DEP_1) | instskip(NEXT) | instid1(VALU_DEP_2)
	v_add_co_u32 v24, vcc_lo, s4, v2
	v_add_co_ci_u32_e32 v25, vcc_lo, s5, v3, vcc_lo
	;;#ASMSTART
	global_load_dwordx4 v[2:5], v[24:25] off glc	
s_waitcnt vmcnt(0)
	;;#ASMEND
	v_and_b32_e32 v5, 0xff, v3
	v_and_b32_e32 v96, 0xff00, v3
	v_or3_b32 v2, v2, 0, 0
	v_and_b32_e32 v97, 0xff000000, v3
	v_and_b32_e32 v3, 0xff0000, v3
	s_delay_alu instid0(VALU_DEP_4) | instskip(SKIP_2) | instid1(VALU_DEP_3)
	v_or3_b32 v5, 0, v5, v96
	v_and_b32_e32 v96, 0xff, v4
	v_or3_b32 v2, v2, 0, 0
	v_or3_b32 v3, v5, v3, v97
	s_delay_alu instid0(VALU_DEP_3)
	v_cmpx_eq_u16_e32 0, v96
	s_cbranch_execz .LBB956_102
; %bb.105:                              ;   in Loop: Header=BB956_103 Depth=1
	s_mov_b32 s9, 0
.LBB956_106:                            ;   Parent Loop BB956_103 Depth=1
                                        ; =>  This Inner Loop Header: Depth=2
	;;#ASMSTART
	global_load_dwordx4 v[2:5], v[24:25] off glc	
s_waitcnt vmcnt(0)
	;;#ASMEND
	v_and_b32_e32 v5, 0xff, v4
	s_delay_alu instid0(VALU_DEP_1) | instskip(SKIP_1) | instid1(SALU_CYCLE_1)
	v_cmp_ne_u16_e32 vcc_lo, 0, v5
	s_or_b32 s9, vcc_lo, s9
	s_and_not1_b32 exec_lo, exec_lo, s9
	s_cbranch_execnz .LBB956_106
; %bb.107:                              ;   in Loop: Header=BB956_103 Depth=1
	s_or_b32 exec_lo, exec_lo, s9
	s_branch .LBB956_102
.LBB956_108:                            ;   in Loop: Header=BB956_103 Depth=1
                                        ; implicit-def: $vgpr4
                                        ; implicit-def: $vgpr2_vgpr3
	s_cbranch_execz .LBB956_103
; %bb.109:
	s_and_saveexec_b32 s8, s2
	s_cbranch_execnz .LBB956_352
; %bb.110:
	s_or_b32 exec_lo, exec_lo, s8
	s_and_saveexec_b32 s8, s2
	s_cbranch_execnz .LBB956_353
.LBB956_111:
	s_or_b32 exec_lo, exec_lo, s8
	v_cmp_eq_u32_e32 vcc_lo, 0, v0
	s_and_b32 exec_lo, exec_lo, vcc_lo
	s_cbranch_execz .LBB956_113
.LBB956_112:
	v_mov_b32_e32 v1, 0
	ds_store_b64 v1, v[22:23] offset:56
.LBB956_113:
	s_or_b32 exec_lo, exec_lo, s6
	v_cmp_eq_u32_e32 vcc_lo, 0, v0
	v_mov_b32_e32 v1, 0
	s_waitcnt lgkmcnt(0)
	s_barrier
	buffer_gl0_inv
	v_add_nc_u32_e64 v3, 0x3400, 0
	ds_load_b64 v[20:21], v1 offset:56
	s_waitcnt lgkmcnt(0)
	s_barrier
	buffer_gl0_inv
	ds_load_2addr_b32 v[1:2], v3 offset1:2
	ds_load_2addr_b32 v[3:4], v3 offset0:4 offset1:6
	v_cndmask_b32_e64 v5, v84, v18, s2
	v_cndmask_b32_e64 v18, v85, v19, s2
	s_delay_alu instid0(VALU_DEP_2) | instskip(NEXT) | instid1(VALU_DEP_1)
	v_add_nc_u32_e32 v19, v20, v5
	v_dual_cndmask_b32 v20, v19, v20 :: v_dual_add_nc_u32 v5, v21, v18
	s_delay_alu instid0(VALU_DEP_1)
	v_cndmask_b32_e32 v5, v5, v21, vcc_lo
	s_branch .LBB956_124
.LBB956_114:
                                        ; implicit-def: $vgpr5
                                        ; implicit-def: $vgpr3
                                        ; implicit-def: $vgpr1
                                        ; implicit-def: $vgpr20_vgpr21
	s_and_b32 vcc_lo, exec_lo, s6
	s_cbranch_vccz .LBB956_124
; %bb.115:
	s_waitcnt lgkmcnt(0)
	v_mov_b32_dpp v2, v83 row_shr:1 row_mask:0xf bank_mask:0xf
	v_cmp_lt_u32_e32 vcc_lo, 3, v81
	v_mov_b32_dpp v1, v82 row_shr:1 row_mask:0xf bank_mask:0xf
	s_delay_alu instid0(VALU_DEP_3) | instskip(NEXT) | instid1(VALU_DEP_1)
	v_add_nc_u32_e32 v2, v2, v83
	v_cndmask_b32_e64 v2, v2, v83, s1
	s_delay_alu instid0(VALU_DEP_1) | instskip(NEXT) | instid1(VALU_DEP_1)
	v_mov_b32_dpp v4, v2 row_shr:2 row_mask:0xf bank_mask:0xf
	v_add_nc_u32_e32 v4, v2, v4
	s_delay_alu instid0(VALU_DEP_1) | instskip(NEXT) | instid1(VALU_DEP_1)
	v_cndmask_b32_e64 v2, v2, v4, s0
	v_mov_b32_dpp v4, v2 row_shr:4 row_mask:0xf bank_mask:0xf
	s_delay_alu instid0(VALU_DEP_1) | instskip(NEXT) | instid1(VALU_DEP_1)
	v_add_nc_u32_e32 v4, v2, v4
	v_dual_cndmask_b32 v2, v2, v4 :: v_dual_add_nc_u32 v1, v1, v82
	s_delay_alu instid0(VALU_DEP_1) | instskip(NEXT) | instid1(VALU_DEP_2)
	v_cndmask_b32_e64 v1, v1, v82, s1
	v_mov_b32_dpp v4, v2 row_shr:8 row_mask:0xf bank_mask:0xf
	s_delay_alu instid0(VALU_DEP_2) | instskip(NEXT) | instid1(VALU_DEP_2)
	v_mov_b32_dpp v3, v1 row_shr:2 row_mask:0xf bank_mask:0xf
	v_add_nc_u32_e32 v4, v2, v4
	s_delay_alu instid0(VALU_DEP_2) | instskip(NEXT) | instid1(VALU_DEP_1)
	v_add_nc_u32_e32 v3, v1, v3
	v_cndmask_b32_e64 v1, v1, v3, s0
	s_mov_b32 s0, exec_lo
	s_delay_alu instid0(VALU_DEP_1) | instskip(NEXT) | instid1(VALU_DEP_1)
	v_mov_b32_dpp v3, v1 row_shr:4 row_mask:0xf bank_mask:0xf
	v_add_nc_u32_e32 v3, v1, v3
	s_delay_alu instid0(VALU_DEP_1) | instskip(SKIP_1) | instid1(VALU_DEP_2)
	v_cndmask_b32_e32 v1, v1, v3, vcc_lo
	v_cmp_lt_u32_e32 vcc_lo, 7, v81
	v_mov_b32_dpp v3, v1 row_shr:8 row_mask:0xf bank_mask:0xf
	s_delay_alu instid0(VALU_DEP_1) | instskip(NEXT) | instid1(VALU_DEP_1)
	v_dual_cndmask_b32 v2, v2, v4 :: v_dual_add_nc_u32 v3, v1, v3
	v_cndmask_b32_e32 v1, v1, v3, vcc_lo
	ds_swizzle_b32 v3, v2 offset:swizzle(BROADCAST,32,15)
	v_cmp_eq_u32_e32 vcc_lo, 0, v80
	ds_swizzle_b32 v4, v1 offset:swizzle(BROADCAST,32,15)
	s_waitcnt lgkmcnt(1)
	v_add_nc_u32_e32 v3, v2, v3
	s_waitcnt lgkmcnt(0)
	v_add_nc_u32_e32 v4, v1, v4
	s_delay_alu instid0(VALU_DEP_1)
	v_dual_cndmask_b32 v2, v3, v2 :: v_dual_cndmask_b32 v1, v4, v1
	v_cmpx_eq_u32_e64 v79, v0
	s_cbranch_execz .LBB956_117
; %bb.116:
	v_lshlrev_b32_e32 v3, 3, v78
	ds_store_b64 v3, v[1:2]
.LBB956_117:
	s_or_b32 exec_lo, exec_lo, s0
	s_delay_alu instid0(SALU_CYCLE_1)
	s_mov_b32 s0, exec_lo
	s_waitcnt lgkmcnt(0)
	s_barrier
	buffer_gl0_inv
	v_cmpx_gt_u32_e32 8, v0
	s_cbranch_execz .LBB956_119
; %bb.118:
	v_lshlrev_b32_e32 v5, 3, v0
	ds_load_b64 v[3:4], v5
	s_waitcnt lgkmcnt(0)
	v_mov_b32_dpp v18, v3 row_shr:1 row_mask:0xf bank_mask:0xf
	v_mov_b32_dpp v19, v4 row_shr:1 row_mask:0xf bank_mask:0xf
	s_delay_alu instid0(VALU_DEP_2) | instskip(SKIP_1) | instid1(VALU_DEP_3)
	v_add_nc_u32_e32 v18, v18, v3
	v_and_b32_e32 v20, 7, v77
	v_add_nc_u32_e32 v19, v19, v4
	s_delay_alu instid0(VALU_DEP_2) | instskip(NEXT) | instid1(VALU_DEP_2)
	v_cmp_eq_u32_e32 vcc_lo, 0, v20
	v_dual_cndmask_b32 v4, v19, v4 :: v_dual_cndmask_b32 v3, v18, v3
	v_cmp_lt_u32_e32 vcc_lo, 1, v20
	s_delay_alu instid0(VALU_DEP_2) | instskip(NEXT) | instid1(VALU_DEP_3)
	v_mov_b32_dpp v19, v4 row_shr:2 row_mask:0xf bank_mask:0xf
	v_mov_b32_dpp v18, v3 row_shr:2 row_mask:0xf bank_mask:0xf
	s_delay_alu instid0(VALU_DEP_2) | instskip(NEXT) | instid1(VALU_DEP_2)
	v_add_nc_u32_e32 v19, v4, v19
	v_add_nc_u32_e32 v18, v3, v18
	s_delay_alu instid0(VALU_DEP_1) | instskip(SKIP_1) | instid1(VALU_DEP_2)
	v_dual_cndmask_b32 v4, v4, v19 :: v_dual_cndmask_b32 v3, v3, v18
	v_cmp_lt_u32_e32 vcc_lo, 3, v20
	v_mov_b32_dpp v19, v4 row_shr:4 row_mask:0xf bank_mask:0xf
	s_delay_alu instid0(VALU_DEP_3) | instskip(NEXT) | instid1(VALU_DEP_1)
	v_mov_b32_dpp v18, v3 row_shr:4 row_mask:0xf bank_mask:0xf
	v_dual_cndmask_b32 v19, 0, v19 :: v_dual_cndmask_b32 v18, 0, v18
	s_delay_alu instid0(VALU_DEP_1) | instskip(NEXT) | instid1(VALU_DEP_2)
	v_add_nc_u32_e32 v4, v19, v4
	v_add_nc_u32_e32 v3, v18, v3
	ds_store_b64 v5, v[3:4]
.LBB956_119:
	s_or_b32 exec_lo, exec_lo, s0
	v_dual_mov_b32 v3, 0 :: v_dual_mov_b32 v18, 0
	v_mov_b32_e32 v19, 0
	s_mov_b32 s0, exec_lo
	s_waitcnt lgkmcnt(0)
	s_barrier
	buffer_gl0_inv
	v_cmpx_lt_u32_e32 31, v0
	s_cbranch_execz .LBB956_121
; %bb.120:
	v_lshl_add_u32 v4, v78, 3, -8
	ds_load_b64 v[18:19], v4
.LBB956_121:
	s_or_b32 exec_lo, exec_lo, s0
	v_add_nc_u32_e32 v4, -1, v77
	s_waitcnt lgkmcnt(0)
	v_add_nc_u32_e32 v20, v19, v2
	v_add_nc_u32_e32 v5, v18, v1
	ds_load_b64 v[1:2], v3 offset:56
	v_cmp_gt_i32_e32 vcc_lo, 0, v4
	v_cndmask_b32_e32 v4, v4, v77, vcc_lo
	v_cmp_eq_u32_e32 vcc_lo, 0, v0
	s_delay_alu instid0(VALU_DEP_2)
	v_lshlrev_b32_e32 v4, 2, v4
	ds_bpermute_b32 v5, v4, v5
	ds_bpermute_b32 v20, v4, v20
	s_waitcnt lgkmcnt(2)
	v_readfirstlane_b32 s1, v2
	s_and_saveexec_b32 s0, vcc_lo
	s_cbranch_execz .LBB956_123
; %bb.122:
	s_mov_b32 s6, 0
	s_add_u32 s4, s4, 0x200
	s_addc_u32 s5, s5, 0
	s_and_b32 s7, s1, 0xff000000
	s_and_b32 s9, s1, 0xff0000
	s_mov_b32 s8, s6
	v_mov_b32_e32 v22, s5
	s_or_b64 s[8:9], s[8:9], s[6:7]
	s_and_b32 s7, s1, 0xff00
	v_dual_mov_b32 v4, 0 :: v_dual_mov_b32 v21, s4
	s_or_b64 s[8:9], s[8:9], s[6:7]
	s_and_b32 s7, s1, 0xff
	v_mov_b32_e32 v3, 2
	s_or_b64 s[6:7], s[8:9], s[6:7]
	s_delay_alu instid0(SALU_CYCLE_1)
	v_mov_b32_e32 v2, s7
	;;#ASMSTART
	global_store_dwordx4 v[21:22], v[1:4] off	
s_waitcnt vmcnt(0)
	;;#ASMEND
.LBB956_123:
	s_or_b32 exec_lo, exec_lo, s0
	v_cmp_eq_u32_e64 s0, 0, v77
	v_dual_mov_b32 v3, 0 :: v_dual_mov_b32 v2, s1
	s_waitcnt lgkmcnt(0)
	s_barrier
	s_delay_alu instid0(VALU_DEP_2)
	v_cndmask_b32_e64 v4, v5, v18, s0
	v_cndmask_b32_e64 v5, v20, v19, s0
	buffer_gl0_inv
	v_cndmask_b32_e64 v20, v4, 0, vcc_lo
	v_cndmask_b32_e64 v5, v5, 0, vcc_lo
	v_mov_b32_e32 v4, 0
.LBB956_124:
	v_and_b32_e32 v30, 1, v30
	v_and_b32_e32 v34, 1, v34
	;; [unrolled: 1-line block ×4, first 2 shown]
	s_waitcnt lgkmcnt(0)
	v_add_co_u32 v18, s0, s28, v3
	v_cmp_eq_u32_e32 vcc_lo, 1, v30
	v_add_nc_u32_e32 v22, v5, v76
	v_sub_nc_u32_e32 v5, v5, v4
	v_add_co_ci_u32_e64 v19, null, s29, 0, s0
	s_mov_b32 s2, -1
	s_delay_alu instid0(VALU_DEP_3) | instskip(SKIP_3) | instid1(VALU_DEP_3)
	v_add_nc_u32_e32 v24, v22, v72
	v_sub_nc_u32_e32 v22, v22, v4
	v_add_nc_u32_e32 v5, v5, v1
	v_sub_co_u32 v72, s0, s30, v1
	v_add_nc_u32_e32 v22, v22, v1
	v_add_nc_u32_e32 v21, v20, v75
	v_sub_nc_u32_e32 v20, v20, v3
	s_delay_alu instid0(VALU_DEP_2)
	v_add_nc_u32_e32 v23, v21, v71
	v_add_nc_u32_e32 v71, v24, v74
	v_lshlrev_b32_e32 v74, 1, v1
	v_sub_nc_u32_e32 v21, v21, v3
	v_add_nc_u32_e32 v75, v20, v5
	v_sub_nc_u32_e32 v24, v24, v4
	s_delay_alu instid0(VALU_DEP_4) | instskip(NEXT) | instid1(VALU_DEP_4)
	v_add3_u32 v28, v74, v2, v28
	v_add_nc_u32_e32 v76, v22, v21
	s_delay_alu instid0(VALU_DEP_3) | instskip(NEXT) | instid1(VALU_DEP_3)
	v_add_nc_u32_e32 v24, v24, v1
	v_sub_nc_u32_e32 v75, v28, v75
	s_delay_alu instid0(VALU_DEP_3) | instskip(NEXT) | instid1(VALU_DEP_1)
	v_sub_nc_u32_e32 v76, v28, v76
	v_dual_cndmask_b32 v5, v75, v5 :: v_dual_add_nc_u32 v30, 1, v76
	v_cmp_eq_u32_e32 vcc_lo, 1, v34
	s_delay_alu instid0(VALU_DEP_2) | instskip(SKIP_1) | instid1(VALU_DEP_4)
	v_cndmask_b32_e32 v22, v30, v22, vcc_lo
	v_cmp_eq_u32_e32 vcc_lo, 1, v29
	v_cndmask_b32_e32 v5, v5, v20, vcc_lo
	v_and_b32_e32 v20, 1, v36
	v_cmp_eq_u32_e32 vcc_lo, 1, v33
	s_delay_alu instid0(VALU_DEP_3) | instskip(SKIP_1) | instid1(VALU_DEP_4)
	v_lshlrev_b32_e32 v5, 2, v5
	v_cndmask_b32_e32 v21, v22, v21, vcc_lo
	v_cmp_eq_u32_e32 vcc_lo, 1, v20
	v_add_nc_u32_e32 v25, v23, v73
	v_sub_nc_u32_e32 v23, v23, v3
	v_and_b32_e32 v22, 1, v31
	v_sub_co_ci_u32_e64 v73, null, s31, 0, s0
	v_and_b32_e32 v31, 1, v32
	s_delay_alu instid0(VALU_DEP_4) | instskip(NEXT) | instid1(VALU_DEP_1)
	v_add_nc_u32_e32 v77, v24, v23
	v_sub_nc_u32_e32 v75, v28, v77
	s_delay_alu instid0(VALU_DEP_1) | instskip(NEXT) | instid1(VALU_DEP_1)
	v_add_nc_u32_e32 v29, 2, v75
	v_cndmask_b32_e32 v20, v29, v24, vcc_lo
	v_sub_nc_u32_e32 v24, v71, v4
	v_cmp_eq_u32_e32 vcc_lo, 1, v22
	v_add_nc_u32_e32 v69, v25, v69
	v_lshlrev_b32_e32 v29, 2, v21
	ds_store_b32 v5, v16
	ds_store_b32 v29, v17
	v_cndmask_b32_e32 v22, v20, v23, vcc_lo
	v_sub_nc_u32_e32 v23, v25, v3
	v_add_nc_u32_e32 v24, v24, v1
	v_add_co_u32 v20, vcc_lo, v72, v4
	s_delay_alu instid0(VALU_DEP_4) | instskip(SKIP_1) | instid1(VALU_DEP_4)
	v_lshlrev_b32_e32 v5, 2, v22
	v_and_b32_e32 v22, 1, v35
	v_add_nc_u32_e32 v25, v23, v24
	v_add_co_ci_u32_e32 v21, vcc_lo, 0, v73, vcc_lo
	ds_store_b32 v5, v14
	v_cmp_eq_u32_e32 vcc_lo, 1, v22
	v_sub_nc_u32_e32 v17, v28, v25
	v_sub_nc_u32_e32 v29, v69, v3
	v_add_nc_u32_e32 v67, v69, v67
	s_delay_alu instid0(VALU_DEP_3) | instskip(NEXT) | instid1(VALU_DEP_2)
	v_add_nc_u32_e32 v17, 3, v17
	v_sub_nc_u32_e32 v30, v67, v3
	s_delay_alu instid0(VALU_DEP_2) | instskip(SKIP_2) | instid1(VALU_DEP_3)
	v_cndmask_b32_e32 v17, v17, v24, vcc_lo
	v_cmp_eq_u32_e32 vcc_lo, 1, v31
	v_and_b32_e32 v24, 1, v39
	v_cndmask_b32_e32 v14, v17, v23, vcc_lo
	v_add_nc_u32_e32 v70, v71, v70
	v_and_b32_e32 v23, 1, v38
	s_delay_alu instid0(VALU_DEP_3) | instskip(NEXT) | instid1(VALU_DEP_3)
	v_lshlrev_b32_e32 v14, 2, v14
	v_add_nc_u32_e32 v68, v70, v68
	v_sub_nc_u32_e32 v16, v70, v4
	ds_store_b32 v14, v15
	v_sub_nc_u32_e32 v25, v68, v4
	v_add_nc_u32_e32 v16, v16, v1
	s_delay_alu instid0(VALU_DEP_2) | instskip(NEXT) | instid1(VALU_DEP_2)
	v_add_nc_u32_e32 v25, v25, v1
	v_add_nc_u32_e32 v32, v29, v16
	s_delay_alu instid0(VALU_DEP_2) | instskip(NEXT) | instid1(VALU_DEP_2)
	v_add_nc_u32_e32 v22, v30, v25
	v_sub_nc_u32_e32 v5, v28, v32
	s_delay_alu instid0(VALU_DEP_2) | instskip(SKIP_1) | instid1(VALU_DEP_3)
	v_sub_nc_u32_e32 v17, v28, v22
	v_and_b32_e32 v22, 1, v37
	v_add_nc_u32_e32 v5, 4, v5
	s_delay_alu instid0(VALU_DEP_3) | instskip(NEXT) | instid1(VALU_DEP_3)
	v_add_nc_u32_e32 v17, 5, v17
	v_cmp_eq_u32_e32 vcc_lo, 1, v22
	s_delay_alu instid0(VALU_DEP_3)
	v_cndmask_b32_e32 v5, v5, v16, vcc_lo
	v_cmp_eq_u32_e32 vcc_lo, 1, v24
	v_and_b32_e32 v16, 1, v41
	v_cndmask_b32_e32 v17, v17, v25, vcc_lo
	v_cmp_eq_u32_e32 vcc_lo, 1, v23
	v_cndmask_b32_e32 v5, v5, v29, vcc_lo
	s_delay_alu instid0(VALU_DEP_4) | instskip(SKIP_1) | instid1(VALU_DEP_3)
	v_cmp_eq_u32_e32 vcc_lo, 1, v16
	v_add_nc_u32_e32 v66, v68, v66
	v_dual_cndmask_b32 v16, v17, v30 :: v_dual_lshlrev_b32 v5, 2, v5
	s_delay_alu instid0(VALU_DEP_2) | instskip(SKIP_1) | instid1(VALU_DEP_3)
	v_sub_nc_u32_e32 v22, v66, v4
	v_add_nc_u32_e32 v62, v66, v62
	v_lshlrev_b32_e32 v16, 2, v16
	ds_store_b32 v5, v12
	ds_store_b32 v16, v13
	v_and_b32_e32 v12, 1, v40
	v_add_nc_u32_e32 v22, v22, v1
	v_add_nc_u32_e32 v64, v62, v64
	v_sub_nc_u32_e32 v17, v62, v4
	v_and_b32_e32 v16, 1, v43
	v_cmp_eq_u32_e32 vcc_lo, 1, v12
	v_add_nc_u32_e32 v65, v67, v65
	v_sub_nc_u32_e32 v15, v64, v4
	v_add_nc_u32_e32 v17, v17, v1
	s_delay_alu instid0(VALU_DEP_3) | instskip(NEXT) | instid1(VALU_DEP_3)
	v_sub_nc_u32_e32 v23, v65, v3
	v_add_nc_u32_e32 v15, v15, v1
	s_delay_alu instid0(VALU_DEP_2) | instskip(NEXT) | instid1(VALU_DEP_1)
	v_add_nc_u32_e32 v24, v23, v22
	v_sub_nc_u32_e32 v14, v28, v24
	v_and_b32_e32 v24, 1, v48
	s_delay_alu instid0(VALU_DEP_2) | instskip(SKIP_1) | instid1(VALU_DEP_2)
	v_add_nc_u32_e32 v13, 6, v14
	v_and_b32_e32 v14, 1, v42
	v_cndmask_b32_e32 v12, v13, v22, vcc_lo
	v_add_nc_u32_e32 v61, v65, v61
	s_delay_alu instid0(VALU_DEP_3) | instskip(SKIP_1) | instid1(VALU_DEP_3)
	v_cmp_eq_u32_e32 vcc_lo, 1, v14
	v_and_b32_e32 v22, 1, v44
	v_sub_nc_u32_e32 v25, v61, v3
	v_add_nc_u32_e32 v63, v61, v63
	v_cndmask_b32_e32 v12, v12, v23, vcc_lo
	v_cmp_eq_u32_e32 vcc_lo, 1, v16
	v_and_b32_e32 v23, 1, v46
	v_add_nc_u32_e32 v5, v25, v17
	v_sub_nc_u32_e32 v13, v63, v3
	v_lshlrev_b32_e32 v12, 2, v12
	v_add_nc_u32_e32 v59, v63, v59
	s_delay_alu instid0(VALU_DEP_4) | instskip(NEXT) | instid1(VALU_DEP_4)
	v_sub_nc_u32_e32 v5, v28, v5
	v_add_nc_u32_e32 v14, v13, v15
	s_delay_alu instid0(VALU_DEP_3) | instskip(NEXT) | instid1(VALU_DEP_3)
	v_add_nc_u32_e32 v57, v59, v57
	v_add_nc_u32_e32 v5, 7, v5
	s_delay_alu instid0(VALU_DEP_3) | instskip(NEXT) | instid1(VALU_DEP_3)
	v_sub_nc_u32_e32 v14, v28, v14
	v_add_nc_u32_e32 v55, v57, v55
	s_delay_alu instid0(VALU_DEP_3)
	v_cndmask_b32_e32 v5, v5, v17, vcc_lo
	v_cmp_eq_u32_e32 vcc_lo, 1, v22
	v_and_b32_e32 v17, 1, v45
	v_add_nc_u32_e32 v14, 8, v14
	v_sub_nc_u32_e32 v22, v59, v3
	v_add_nc_u32_e32 v53, v55, v53
	v_cndmask_b32_e32 v5, v5, v25, vcc_lo
	v_cmp_eq_u32_e32 vcc_lo, 1, v17
	v_sub_nc_u32_e32 v17, v55, v3
	v_and_b32_e32 v25, 1, v52
	s_delay_alu instid0(VALU_DEP_4)
	v_dual_cndmask_b32 v14, v14, v15 :: v_dual_lshlrev_b32 v5, 2, v5
	v_cmp_eq_u32_e32 vcc_lo, 1, v23
	v_add_nc_u32_e32 v60, v64, v60
	ds_store_b32 v12, v10
	ds_store_b32 v5, v11
	v_and_b32_e32 v11, 1, v49
	v_cndmask_b32_e32 v5, v14, v13, vcc_lo
	v_sub_nc_u32_e32 v16, v60, v4
	v_add_nc_u32_e32 v58, v60, v58
	v_and_b32_e32 v13, 1, v47
	s_delay_alu instid0(VALU_DEP_4) | instskip(NEXT) | instid1(VALU_DEP_4)
	v_lshlrev_b32_e32 v5, 2, v5
	v_add_nc_u32_e32 v16, v16, v1
	s_delay_alu instid0(VALU_DEP_4) | instskip(SKIP_2) | instid1(VALU_DEP_4)
	v_add_nc_u32_e32 v56, v58, v56
	v_sub_nc_u32_e32 v12, v58, v4
	v_cmp_eq_u32_e32 vcc_lo, 1, v13
	v_add_nc_u32_e32 v15, v22, v16
	s_delay_alu instid0(VALU_DEP_4) | instskip(NEXT) | instid1(VALU_DEP_4)
	v_sub_nc_u32_e32 v14, v56, v4
	v_add_nc_u32_e32 v12, v12, v1
	v_add_nc_u32_e32 v54, v56, v54
	s_delay_alu instid0(VALU_DEP_4) | instskip(SKIP_2) | instid1(VALU_DEP_4)
	v_sub_nc_u32_e32 v10, v28, v15
	v_sub_nc_u32_e32 v15, v57, v3
	v_add_nc_u32_e32 v14, v14, v1
	v_sub_nc_u32_e32 v23, v54, v4
	v_sub_nc_u32_e32 v3, v53, v3
	v_add_nc_u32_e32 v10, 9, v10
	v_add_nc_u32_e32 v13, v15, v12
	s_delay_alu instid0(VALU_DEP_2) | instskip(SKIP_2) | instid1(VALU_DEP_4)
	v_dual_cndmask_b32 v10, v10, v16 :: v_dual_add_nc_u32 v23, v23, v1
	v_add_nc_u32_e32 v16, v17, v14
	v_cmp_eq_u32_e32 vcc_lo, 1, v11
	v_sub_nc_u32_e32 v11, v28, v13
	v_and_b32_e32 v13, 1, v50
	s_delay_alu instid0(VALU_DEP_4) | instskip(NEXT) | instid1(VALU_DEP_3)
	v_sub_nc_u32_e32 v16, v28, v16
	v_dual_cndmask_b32 v10, v10, v22 :: v_dual_add_nc_u32 v11, 10, v11
	v_cmp_eq_u32_e32 vcc_lo, 1, v24
	v_add_nc_u32_e32 v22, v3, v23
	s_delay_alu instid0(VALU_DEP_4) | instskip(NEXT) | instid1(VALU_DEP_4)
	v_add_nc_u32_e32 v16, 11, v16
	v_dual_cndmask_b32 v11, v11, v12 :: v_dual_lshlrev_b32 v10, 2, v10
	v_cmp_eq_u32_e32 vcc_lo, 1, v25
	s_delay_alu instid0(VALU_DEP_4) | instskip(SKIP_3) | instid1(VALU_DEP_4)
	v_sub_nc_u32_e32 v22, v28, v22
	v_and_b32_e32 v12, 1, v51
	v_cndmask_b32_e32 v14, v16, v14, vcc_lo
	v_cmp_eq_u32_e32 vcc_lo, 1, v13
	v_dual_cndmask_b32 v11, v11, v15 :: v_dual_add_nc_u32 v16, 12, v22
	s_delay_alu instid0(VALU_DEP_4) | instskip(NEXT) | instid1(VALU_DEP_2)
	v_cmp_eq_u32_e32 vcc_lo, 1, v12
	v_cndmask_b32_e64 v13, v16, v23, s43
	s_delay_alu instid0(VALU_DEP_3) | instskip(NEXT) | instid1(VALU_DEP_2)
	v_dual_cndmask_b32 v12, v14, v17 :: v_dual_lshlrev_b32 v11, 2, v11
	v_cndmask_b32_e64 v3, v13, v3, s42
	s_delay_alu instid0(VALU_DEP_2)
	v_lshlrev_b32_e32 v12, 2, v12
	ds_store_b32 v5, v8
	ds_store_b32 v10, v9
	ds_store_b32 v11, v6
	ds_store_b32 v12, v7
	v_lshlrev_b32_e32 v3, 2, v3
	v_add_co_u32 v5, s0, v2, v74
	s_delay_alu instid0(VALU_DEP_1) | instskip(SKIP_4) | instid1(VALU_DEP_2)
	v_add_co_ci_u32_e64 v6, null, 0, 0, s0
	ds_store_b32 v3, v27
	v_add_co_u32 v3, vcc_lo, v5, v20
	v_add_co_ci_u32_e32 v5, vcc_lo, v6, v21, vcc_lo
	s_add_u32 s0, s34, s33
	v_add_co_u32 v3, vcc_lo, v3, v18
	s_delay_alu instid0(VALU_DEP_2) | instskip(SKIP_1) | instid1(VALU_DEP_2)
	v_add_co_ci_u32_e32 v5, vcc_lo, v5, v19, vcc_lo
	s_addc_u32 s1, s35, 0
	v_sub_co_u32 v3, vcc_lo, s0, v3
	s_delay_alu instid0(VALU_DEP_2)
	v_sub_co_ci_u32_e32 v9, vcc_lo, s1, v5, vcc_lo
	v_lshlrev_b64 v[5:6], 2, v[20:21]
	v_lshlrev_b64 v[7:8], 2, v[18:19]
	v_add_nc_u32_e32 v10, v1, v2
	s_add_u32 s1, s26, -4
	s_waitcnt lgkmcnt(0)
	s_barrier
	v_add_co_u32 v5, vcc_lo, s38, v5
	v_add_co_ci_u32_e32 v6, vcc_lo, s39, v6, vcc_lo
	v_cmp_ne_u32_e32 vcc_lo, 1, v26
	v_add_co_u32 v7, s0, s36, v7
	s_delay_alu instid0(VALU_DEP_1)
	v_add_co_ci_u32_e64 v8, s0, s37, v8, s0
	s_addc_u32 s0, s27, -1
	buffer_gl0_inv
	s_cbranch_vccz .LBB956_128
; %bb.125:
	s_and_b32 vcc_lo, exec_lo, s2
	s_cbranch_vccnz .LBB956_233
.LBB956_126:
	v_cmp_eq_u32_e32 vcc_lo, 0, v0
	s_and_b32 s0, vcc_lo, s14
	s_delay_alu instid0(SALU_CYCLE_1)
	s_and_saveexec_b32 s1, s0
	s_cbranch_execnz .LBB956_351
.LBB956_127:
	s_nop 0
	s_sendmsg sendmsg(MSG_DEALLOC_VGPRS)
	s_endpgm
.LBB956_128:
	s_mov_b32 s2, exec_lo
	v_cmpx_le_u32_e64 v1, v0
	s_xor_b32 s2, exec_lo, s2
	s_cbranch_execz .LBB956_134
; %bb.129:
	s_mov_b32 s4, exec_lo
	v_cmpx_le_u32_e64 v10, v0
	s_xor_b32 s4, exec_lo, s4
	s_cbranch_execz .LBB956_131
; %bb.130:
	v_lshlrev_b32_e32 v11, 2, v0
	ds_load_b32 v13, v11
	v_add_co_u32 v11, vcc_lo, v3, v0
	v_add_co_ci_u32_e32 v12, vcc_lo, 0, v9, vcc_lo
	s_delay_alu instid0(VALU_DEP_1) | instskip(NEXT) | instid1(VALU_DEP_1)
	v_lshlrev_b64 v[11:12], 2, v[11:12]
	v_sub_co_u32 v11, vcc_lo, s26, v11
	s_delay_alu instid0(VALU_DEP_2)
	v_sub_co_ci_u32_e32 v12, vcc_lo, s27, v12, vcc_lo
	s_waitcnt lgkmcnt(0)
	global_store_b32 v[11:12], v13, off offset:-4
.LBB956_131:
	s_and_not1_saveexec_b32 s4, s4
	s_cbranch_execz .LBB956_133
; %bb.132:
	v_lshlrev_b32_e32 v11, 2, v0
	v_readfirstlane_b32 s6, v5
	v_readfirstlane_b32 s7, v6
	ds_load_b32 v12, v11
	s_waitcnt lgkmcnt(0)
	global_store_b32 v11, v12, s[6:7]
.LBB956_133:
	s_or_b32 exec_lo, exec_lo, s4
.LBB956_134:
	s_and_not1_saveexec_b32 s2, s2
	s_cbranch_execz .LBB956_136
; %bb.135:
	v_lshlrev_b32_e32 v11, 2, v0
	v_readfirstlane_b32 s4, v7
	v_readfirstlane_b32 s5, v8
	ds_load_b32 v12, v11
	s_waitcnt lgkmcnt(0)
	global_store_b32 v11, v12, s[4:5]
.LBB956_136:
	s_or_b32 exec_lo, exec_lo, s2
	v_or_b32_e32 v11, 0x100, v0
	s_mov_b32 s2, exec_lo
	s_delay_alu instid0(VALU_DEP_1)
	v_cmpx_le_u32_e64 v1, v11
	s_xor_b32 s2, exec_lo, s2
	s_cbranch_execz .LBB956_142
; %bb.137:
	s_mov_b32 s4, exec_lo
	v_cmpx_le_u32_e64 v10, v11
	s_xor_b32 s4, exec_lo, s4
	s_cbranch_execz .LBB956_139
; %bb.138:
	v_lshlrev_b32_e32 v11, 2, v0
	ds_load_b32 v13, v11 offset:1024
	v_add_co_u32 v11, vcc_lo, v3, v0
	v_add_co_ci_u32_e32 v12, vcc_lo, 0, v9, vcc_lo
	s_delay_alu instid0(VALU_DEP_1) | instskip(NEXT) | instid1(VALU_DEP_1)
	v_lshlrev_b64 v[11:12], 2, v[11:12]
	v_sub_co_u32 v11, vcc_lo, s1, v11
	s_delay_alu instid0(VALU_DEP_2)
	v_sub_co_ci_u32_e32 v12, vcc_lo, s0, v12, vcc_lo
	s_waitcnt lgkmcnt(0)
	global_store_b32 v[11:12], v13, off offset:-1024
.LBB956_139:
	s_and_not1_saveexec_b32 s4, s4
	s_cbranch_execz .LBB956_141
; %bb.140:
	v_lshlrev_b32_e32 v11, 2, v0
	v_readfirstlane_b32 s6, v5
	v_readfirstlane_b32 s7, v6
	ds_load_b32 v12, v11 offset:1024
	s_waitcnt lgkmcnt(0)
	global_store_b32 v11, v12, s[6:7] offset:1024
.LBB956_141:
	s_or_b32 exec_lo, exec_lo, s4
.LBB956_142:
	s_and_not1_saveexec_b32 s2, s2
	s_cbranch_execz .LBB956_144
; %bb.143:
	v_lshlrev_b32_e32 v11, 2, v0
	v_readfirstlane_b32 s4, v7
	v_readfirstlane_b32 s5, v8
	ds_load_b32 v12, v11 offset:1024
	s_waitcnt lgkmcnt(0)
	global_store_b32 v11, v12, s[4:5] offset:1024
.LBB956_144:
	s_or_b32 exec_lo, exec_lo, s2
	v_or_b32_e32 v11, 0x200, v0
	s_mov_b32 s2, exec_lo
	s_delay_alu instid0(VALU_DEP_1)
	v_cmpx_le_u32_e64 v1, v11
	s_xor_b32 s2, exec_lo, s2
	s_cbranch_execz .LBB956_150
; %bb.145:
	s_mov_b32 s4, exec_lo
	v_cmpx_le_u32_e64 v10, v11
	s_xor_b32 s4, exec_lo, s4
	s_cbranch_execz .LBB956_147
; %bb.146:
	v_lshlrev_b32_e32 v11, 2, v0
	ds_load_b32 v13, v11 offset:2048
	v_add_co_u32 v11, vcc_lo, v3, v0
	v_add_co_ci_u32_e32 v12, vcc_lo, 0, v9, vcc_lo
	s_delay_alu instid0(VALU_DEP_1) | instskip(NEXT) | instid1(VALU_DEP_1)
	v_lshlrev_b64 v[11:12], 2, v[11:12]
	v_sub_co_u32 v11, vcc_lo, s1, v11
	s_delay_alu instid0(VALU_DEP_2)
	v_sub_co_ci_u32_e32 v12, vcc_lo, s0, v12, vcc_lo
	s_waitcnt lgkmcnt(0)
	global_store_b32 v[11:12], v13, off offset:-2048
.LBB956_147:
	s_and_not1_saveexec_b32 s4, s4
	s_cbranch_execz .LBB956_149
; %bb.148:
	v_lshlrev_b32_e32 v11, 2, v0
	v_readfirstlane_b32 s6, v5
	v_readfirstlane_b32 s7, v6
	ds_load_b32 v12, v11 offset:2048
	s_waitcnt lgkmcnt(0)
	global_store_b32 v11, v12, s[6:7] offset:2048
.LBB956_149:
	s_or_b32 exec_lo, exec_lo, s4
.LBB956_150:
	s_and_not1_saveexec_b32 s2, s2
	s_cbranch_execz .LBB956_152
; %bb.151:
	v_lshlrev_b32_e32 v11, 2, v0
	v_readfirstlane_b32 s4, v7
	v_readfirstlane_b32 s5, v8
	ds_load_b32 v12, v11 offset:2048
	s_waitcnt lgkmcnt(0)
	global_store_b32 v11, v12, s[4:5] offset:2048
.LBB956_152:
	;; [unrolled: 47-line block ×3, first 2 shown]
	s_or_b32 exec_lo, exec_lo, s2
	v_or_b32_e32 v11, 0x400, v0
	s_mov_b32 s2, exec_lo
	s_delay_alu instid0(VALU_DEP_1)
	v_cmpx_le_u32_e64 v1, v11
	s_xor_b32 s2, exec_lo, s2
	s_cbranch_execz .LBB956_166
; %bb.161:
	s_mov_b32 s4, exec_lo
	v_cmpx_le_u32_e64 v10, v11
	s_xor_b32 s4, exec_lo, s4
	s_cbranch_execz .LBB956_163
; %bb.162:
	v_lshlrev_b32_e32 v11, 2, v0
	ds_load_b32 v13, v11 offset:4096
	v_add_co_u32 v11, vcc_lo, v3, v0
	v_add_co_ci_u32_e32 v12, vcc_lo, 0, v9, vcc_lo
	s_delay_alu instid0(VALU_DEP_1) | instskip(NEXT) | instid1(VALU_DEP_1)
	v_lshlrev_b64 v[11:12], 2, v[11:12]
	v_sub_co_u32 v11, vcc_lo, s1, v11
	s_delay_alu instid0(VALU_DEP_2)
	v_sub_co_ci_u32_e32 v12, vcc_lo, s0, v12, vcc_lo
	s_waitcnt lgkmcnt(0)
	global_store_b32 v[11:12], v13, off offset:-4096
                                        ; implicit-def: $vgpr11
.LBB956_163:
	s_and_not1_saveexec_b32 s4, s4
	s_cbranch_execz .LBB956_165
; %bb.164:
	v_lshlrev_b32_e32 v12, 2, v0
	v_lshlrev_b32_e32 v11, 2, v11
	v_readfirstlane_b32 s6, v5
	v_readfirstlane_b32 s7, v6
	ds_load_b32 v12, v12 offset:4096
	s_waitcnt lgkmcnt(0)
	global_store_b32 v11, v12, s[6:7]
.LBB956_165:
	s_or_b32 exec_lo, exec_lo, s4
                                        ; implicit-def: $vgpr11
.LBB956_166:
	s_and_not1_saveexec_b32 s2, s2
	s_cbranch_execz .LBB956_168
; %bb.167:
	v_lshlrev_b32_e32 v12, 2, v0
	v_lshlrev_b32_e32 v11, 2, v11
	v_readfirstlane_b32 s4, v7
	v_readfirstlane_b32 s5, v8
	ds_load_b32 v12, v12 offset:4096
	s_waitcnt lgkmcnt(0)
	global_store_b32 v11, v12, s[4:5]
.LBB956_168:
	s_or_b32 exec_lo, exec_lo, s2
	v_or_b32_e32 v11, 0x500, v0
	s_mov_b32 s2, exec_lo
	s_delay_alu instid0(VALU_DEP_1)
	v_cmpx_le_u32_e64 v1, v11
	s_xor_b32 s2, exec_lo, s2
	s_cbranch_execz .LBB956_174
; %bb.169:
	s_mov_b32 s4, exec_lo
	v_cmpx_le_u32_e64 v10, v11
	s_xor_b32 s4, exec_lo, s4
	s_cbranch_execz .LBB956_171
; %bb.170:
	v_lshlrev_b32_e32 v12, 2, v0
	v_add_co_u32 v11, vcc_lo, v3, v11
	ds_load_b32 v13, v12 offset:5120
	v_add_co_ci_u32_e32 v12, vcc_lo, 0, v9, vcc_lo
	s_delay_alu instid0(VALU_DEP_1) | instskip(NEXT) | instid1(VALU_DEP_1)
	v_lshlrev_b64 v[11:12], 2, v[11:12]
	v_sub_co_u32 v11, vcc_lo, s1, v11
	s_delay_alu instid0(VALU_DEP_2)
	v_sub_co_ci_u32_e32 v12, vcc_lo, s0, v12, vcc_lo
	s_waitcnt lgkmcnt(0)
	global_store_b32 v[11:12], v13, off
                                        ; implicit-def: $vgpr11
.LBB956_171:
	s_and_not1_saveexec_b32 s4, s4
	s_cbranch_execz .LBB956_173
; %bb.172:
	v_lshlrev_b32_e32 v12, 2, v0
	v_lshlrev_b32_e32 v11, 2, v11
	v_readfirstlane_b32 s6, v5
	v_readfirstlane_b32 s7, v6
	ds_load_b32 v12, v12 offset:5120
	s_waitcnt lgkmcnt(0)
	global_store_b32 v11, v12, s[6:7]
.LBB956_173:
	s_or_b32 exec_lo, exec_lo, s4
                                        ; implicit-def: $vgpr11
.LBB956_174:
	s_and_not1_saveexec_b32 s2, s2
	s_cbranch_execz .LBB956_176
; %bb.175:
	v_lshlrev_b32_e32 v12, 2, v0
	v_lshlrev_b32_e32 v11, 2, v11
	v_readfirstlane_b32 s4, v7
	v_readfirstlane_b32 s5, v8
	ds_load_b32 v12, v12 offset:5120
	s_waitcnt lgkmcnt(0)
	global_store_b32 v11, v12, s[4:5]
.LBB956_176:
	s_or_b32 exec_lo, exec_lo, s2
	v_or_b32_e32 v11, 0x600, v0
	s_mov_b32 s2, exec_lo
	s_delay_alu instid0(VALU_DEP_1)
	v_cmpx_le_u32_e64 v1, v11
	s_xor_b32 s2, exec_lo, s2
	s_cbranch_execz .LBB956_182
; %bb.177:
	s_mov_b32 s4, exec_lo
	v_cmpx_le_u32_e64 v10, v11
	s_xor_b32 s4, exec_lo, s4
	s_cbranch_execz .LBB956_179
; %bb.178:
	v_lshlrev_b32_e32 v12, 2, v0
	v_add_co_u32 v11, vcc_lo, v3, v11
	ds_load_b32 v13, v12 offset:6144
	v_add_co_ci_u32_e32 v12, vcc_lo, 0, v9, vcc_lo
	s_delay_alu instid0(VALU_DEP_1) | instskip(NEXT) | instid1(VALU_DEP_1)
	v_lshlrev_b64 v[11:12], 2, v[11:12]
	v_sub_co_u32 v11, vcc_lo, s1, v11
	s_delay_alu instid0(VALU_DEP_2)
	v_sub_co_ci_u32_e32 v12, vcc_lo, s0, v12, vcc_lo
	s_waitcnt lgkmcnt(0)
	global_store_b32 v[11:12], v13, off
                                        ; implicit-def: $vgpr11
.LBB956_179:
	s_and_not1_saveexec_b32 s4, s4
	s_cbranch_execz .LBB956_181
; %bb.180:
	v_lshlrev_b32_e32 v12, 2, v0
	v_lshlrev_b32_e32 v11, 2, v11
	v_readfirstlane_b32 s6, v5
	v_readfirstlane_b32 s7, v6
	ds_load_b32 v12, v12 offset:6144
	s_waitcnt lgkmcnt(0)
	global_store_b32 v11, v12, s[6:7]
.LBB956_181:
	s_or_b32 exec_lo, exec_lo, s4
                                        ; implicit-def: $vgpr11
.LBB956_182:
	;; [unrolled: 51-line block ×8, first 2 shown]
	s_and_not1_saveexec_b32 s2, s2
	s_cbranch_execz .LBB956_232
; %bb.231:
	v_lshlrev_b32_e32 v12, 2, v0
	v_lshlrev_b32_e32 v11, 2, v11
	v_readfirstlane_b32 s4, v7
	v_readfirstlane_b32 s5, v8
	ds_load_b32 v12, v12 offset:12288
	s_waitcnt lgkmcnt(0)
	global_store_b32 v11, v12, s[4:5]
.LBB956_232:
	s_or_b32 exec_lo, exec_lo, s2
	s_branch .LBB956_126
.LBB956_233:
	s_mov_b32 s2, exec_lo
	v_cmpx_gt_u32_e64 s3, v0
	s_cbranch_execz .LBB956_242
; %bb.234:
	s_mov_b32 s4, exec_lo
	v_cmpx_le_u32_e64 v1, v0
	s_xor_b32 s4, exec_lo, s4
	s_cbranch_execz .LBB956_240
; %bb.235:
	s_mov_b32 s5, exec_lo
	v_cmpx_le_u32_e64 v10, v0
	s_xor_b32 s5, exec_lo, s5
	s_cbranch_execz .LBB956_237
; %bb.236:
	v_lshlrev_b32_e32 v11, 2, v0
	ds_load_b32 v13, v11
	v_add_co_u32 v11, vcc_lo, v3, v0
	v_add_co_ci_u32_e32 v12, vcc_lo, 0, v9, vcc_lo
	s_delay_alu instid0(VALU_DEP_1) | instskip(NEXT) | instid1(VALU_DEP_1)
	v_lshlrev_b64 v[11:12], 2, v[11:12]
	v_sub_co_u32 v11, vcc_lo, s26, v11
	s_delay_alu instid0(VALU_DEP_2)
	v_sub_co_ci_u32_e32 v12, vcc_lo, s27, v12, vcc_lo
	s_waitcnt lgkmcnt(0)
	global_store_b32 v[11:12], v13, off offset:-4
.LBB956_237:
	s_and_not1_saveexec_b32 s5, s5
	s_cbranch_execz .LBB956_239
; %bb.238:
	v_lshlrev_b32_e32 v11, 2, v0
	v_readfirstlane_b32 s6, v5
	v_readfirstlane_b32 s7, v6
	ds_load_b32 v12, v11
	s_waitcnt lgkmcnt(0)
	global_store_b32 v11, v12, s[6:7]
.LBB956_239:
	s_or_b32 exec_lo, exec_lo, s5
.LBB956_240:
	s_and_not1_saveexec_b32 s4, s4
	s_cbranch_execz .LBB956_242
; %bb.241:
	v_lshlrev_b32_e32 v11, 2, v0
	v_readfirstlane_b32 s4, v7
	v_readfirstlane_b32 s5, v8
	ds_load_b32 v12, v11
	s_waitcnt lgkmcnt(0)
	global_store_b32 v11, v12, s[4:5]
.LBB956_242:
	s_or_b32 exec_lo, exec_lo, s2
	v_or_b32_e32 v11, 0x100, v0
	s_mov_b32 s2, exec_lo
	s_delay_alu instid0(VALU_DEP_1)
	v_cmpx_gt_u32_e64 s3, v11
	s_cbranch_execz .LBB956_251
; %bb.243:
	s_mov_b32 s4, exec_lo
	v_cmpx_le_u32_e64 v1, v11
	s_xor_b32 s4, exec_lo, s4
	s_cbranch_execz .LBB956_249
; %bb.244:
	s_mov_b32 s5, exec_lo
	v_cmpx_le_u32_e64 v10, v11
	s_xor_b32 s5, exec_lo, s5
	s_cbranch_execz .LBB956_246
; %bb.245:
	v_lshlrev_b32_e32 v11, 2, v0
	ds_load_b32 v13, v11 offset:1024
	v_add_co_u32 v11, vcc_lo, v3, v0
	v_add_co_ci_u32_e32 v12, vcc_lo, 0, v9, vcc_lo
	s_delay_alu instid0(VALU_DEP_1) | instskip(NEXT) | instid1(VALU_DEP_1)
	v_lshlrev_b64 v[11:12], 2, v[11:12]
	v_sub_co_u32 v11, vcc_lo, s1, v11
	s_delay_alu instid0(VALU_DEP_2)
	v_sub_co_ci_u32_e32 v12, vcc_lo, s0, v12, vcc_lo
	s_waitcnt lgkmcnt(0)
	global_store_b32 v[11:12], v13, off offset:-1024
.LBB956_246:
	s_and_not1_saveexec_b32 s5, s5
	s_cbranch_execz .LBB956_248
; %bb.247:
	v_lshlrev_b32_e32 v11, 2, v0
	v_readfirstlane_b32 s6, v5
	v_readfirstlane_b32 s7, v6
	ds_load_b32 v12, v11 offset:1024
	s_waitcnt lgkmcnt(0)
	global_store_b32 v11, v12, s[6:7] offset:1024
.LBB956_248:
	s_or_b32 exec_lo, exec_lo, s5
.LBB956_249:
	s_and_not1_saveexec_b32 s4, s4
	s_cbranch_execz .LBB956_251
; %bb.250:
	v_lshlrev_b32_e32 v11, 2, v0
	v_readfirstlane_b32 s4, v7
	v_readfirstlane_b32 s5, v8
	ds_load_b32 v12, v11 offset:1024
	s_waitcnt lgkmcnt(0)
	global_store_b32 v11, v12, s[4:5] offset:1024
.LBB956_251:
	s_or_b32 exec_lo, exec_lo, s2
	v_or_b32_e32 v11, 0x200, v0
	s_mov_b32 s2, exec_lo
	s_delay_alu instid0(VALU_DEP_1)
	v_cmpx_gt_u32_e64 s3, v11
	s_cbranch_execz .LBB956_260
; %bb.252:
	s_mov_b32 s4, exec_lo
	v_cmpx_le_u32_e64 v1, v11
	s_xor_b32 s4, exec_lo, s4
	s_cbranch_execz .LBB956_258
; %bb.253:
	s_mov_b32 s5, exec_lo
	v_cmpx_le_u32_e64 v10, v11
	s_xor_b32 s5, exec_lo, s5
	s_cbranch_execz .LBB956_255
; %bb.254:
	v_lshlrev_b32_e32 v11, 2, v0
	ds_load_b32 v13, v11 offset:2048
	v_add_co_u32 v11, vcc_lo, v3, v0
	v_add_co_ci_u32_e32 v12, vcc_lo, 0, v9, vcc_lo
	s_delay_alu instid0(VALU_DEP_1) | instskip(NEXT) | instid1(VALU_DEP_1)
	v_lshlrev_b64 v[11:12], 2, v[11:12]
	v_sub_co_u32 v11, vcc_lo, s1, v11
	s_delay_alu instid0(VALU_DEP_2)
	v_sub_co_ci_u32_e32 v12, vcc_lo, s0, v12, vcc_lo
	s_waitcnt lgkmcnt(0)
	global_store_b32 v[11:12], v13, off offset:-2048
.LBB956_255:
	s_and_not1_saveexec_b32 s5, s5
	s_cbranch_execz .LBB956_257
; %bb.256:
	v_lshlrev_b32_e32 v11, 2, v0
	v_readfirstlane_b32 s6, v5
	v_readfirstlane_b32 s7, v6
	ds_load_b32 v12, v11 offset:2048
	s_waitcnt lgkmcnt(0)
	global_store_b32 v11, v12, s[6:7] offset:2048
.LBB956_257:
	s_or_b32 exec_lo, exec_lo, s5
.LBB956_258:
	s_and_not1_saveexec_b32 s4, s4
	s_cbranch_execz .LBB956_260
; %bb.259:
	v_lshlrev_b32_e32 v11, 2, v0
	v_readfirstlane_b32 s4, v7
	v_readfirstlane_b32 s5, v8
	ds_load_b32 v12, v11 offset:2048
	s_waitcnt lgkmcnt(0)
	global_store_b32 v11, v12, s[4:5] offset:2048
.LBB956_260:
	;; [unrolled: 51-line block ×3, first 2 shown]
	s_or_b32 exec_lo, exec_lo, s2
	v_or_b32_e32 v11, 0x400, v0
	s_mov_b32 s2, exec_lo
	s_delay_alu instid0(VALU_DEP_1)
	v_cmpx_gt_u32_e64 s3, v11
	s_cbranch_execz .LBB956_278
; %bb.270:
	s_mov_b32 s4, exec_lo
	v_cmpx_le_u32_e64 v1, v11
	s_xor_b32 s4, exec_lo, s4
	s_cbranch_execz .LBB956_276
; %bb.271:
	s_mov_b32 s5, exec_lo
	v_cmpx_le_u32_e64 v10, v11
	s_xor_b32 s5, exec_lo, s5
	s_cbranch_execz .LBB956_273
; %bb.272:
	v_lshlrev_b32_e32 v11, 2, v0
	ds_load_b32 v13, v11 offset:4096
	v_add_co_u32 v11, vcc_lo, v3, v0
	v_add_co_ci_u32_e32 v12, vcc_lo, 0, v9, vcc_lo
	s_delay_alu instid0(VALU_DEP_1) | instskip(NEXT) | instid1(VALU_DEP_1)
	v_lshlrev_b64 v[11:12], 2, v[11:12]
	v_sub_co_u32 v11, vcc_lo, s1, v11
	s_delay_alu instid0(VALU_DEP_2)
	v_sub_co_ci_u32_e32 v12, vcc_lo, s0, v12, vcc_lo
	s_waitcnt lgkmcnt(0)
	global_store_b32 v[11:12], v13, off offset:-4096
                                        ; implicit-def: $vgpr11
.LBB956_273:
	s_and_not1_saveexec_b32 s5, s5
	s_cbranch_execz .LBB956_275
; %bb.274:
	v_lshlrev_b32_e32 v12, 2, v0
	v_lshlrev_b32_e32 v11, 2, v11
	v_readfirstlane_b32 s6, v5
	v_readfirstlane_b32 s7, v6
	ds_load_b32 v12, v12 offset:4096
	s_waitcnt lgkmcnt(0)
	global_store_b32 v11, v12, s[6:7]
.LBB956_275:
	s_or_b32 exec_lo, exec_lo, s5
                                        ; implicit-def: $vgpr11
.LBB956_276:
	s_and_not1_saveexec_b32 s4, s4
	s_cbranch_execz .LBB956_278
; %bb.277:
	v_lshlrev_b32_e32 v12, 2, v0
	v_lshlrev_b32_e32 v11, 2, v11
	v_readfirstlane_b32 s4, v7
	v_readfirstlane_b32 s5, v8
	ds_load_b32 v12, v12 offset:4096
	s_waitcnt lgkmcnt(0)
	global_store_b32 v11, v12, s[4:5]
.LBB956_278:
	s_or_b32 exec_lo, exec_lo, s2
	v_or_b32_e32 v11, 0x500, v0
	s_mov_b32 s2, exec_lo
	s_delay_alu instid0(VALU_DEP_1)
	v_cmpx_gt_u32_e64 s3, v11
	s_cbranch_execz .LBB956_287
; %bb.279:
	s_mov_b32 s4, exec_lo
	v_cmpx_le_u32_e64 v1, v11
	s_xor_b32 s4, exec_lo, s4
	s_cbranch_execz .LBB956_285
; %bb.280:
	s_mov_b32 s5, exec_lo
	v_cmpx_le_u32_e64 v10, v11
	s_xor_b32 s5, exec_lo, s5
	s_cbranch_execz .LBB956_282
; %bb.281:
	v_lshlrev_b32_e32 v12, 2, v0
	v_add_co_u32 v11, vcc_lo, v3, v11
	ds_load_b32 v13, v12 offset:5120
	v_add_co_ci_u32_e32 v12, vcc_lo, 0, v9, vcc_lo
	s_delay_alu instid0(VALU_DEP_1) | instskip(NEXT) | instid1(VALU_DEP_1)
	v_lshlrev_b64 v[11:12], 2, v[11:12]
	v_sub_co_u32 v11, vcc_lo, s1, v11
	s_delay_alu instid0(VALU_DEP_2)
	v_sub_co_ci_u32_e32 v12, vcc_lo, s0, v12, vcc_lo
	s_waitcnt lgkmcnt(0)
	global_store_b32 v[11:12], v13, off
                                        ; implicit-def: $vgpr11
.LBB956_282:
	s_and_not1_saveexec_b32 s5, s5
	s_cbranch_execz .LBB956_284
; %bb.283:
	v_lshlrev_b32_e32 v12, 2, v0
	v_lshlrev_b32_e32 v11, 2, v11
	v_readfirstlane_b32 s6, v5
	v_readfirstlane_b32 s7, v6
	ds_load_b32 v12, v12 offset:5120
	s_waitcnt lgkmcnt(0)
	global_store_b32 v11, v12, s[6:7]
.LBB956_284:
	s_or_b32 exec_lo, exec_lo, s5
                                        ; implicit-def: $vgpr11
.LBB956_285:
	s_and_not1_saveexec_b32 s4, s4
	s_cbranch_execz .LBB956_287
; %bb.286:
	v_lshlrev_b32_e32 v12, 2, v0
	v_lshlrev_b32_e32 v11, 2, v11
	v_readfirstlane_b32 s4, v7
	v_readfirstlane_b32 s5, v8
	ds_load_b32 v12, v12 offset:5120
	s_waitcnt lgkmcnt(0)
	global_store_b32 v11, v12, s[4:5]
.LBB956_287:
	s_or_b32 exec_lo, exec_lo, s2
	v_or_b32_e32 v11, 0x600, v0
	s_mov_b32 s2, exec_lo
	s_delay_alu instid0(VALU_DEP_1)
	v_cmpx_gt_u32_e64 s3, v11
	s_cbranch_execz .LBB956_296
; %bb.288:
	s_mov_b32 s4, exec_lo
	v_cmpx_le_u32_e64 v1, v11
	s_xor_b32 s4, exec_lo, s4
	s_cbranch_execz .LBB956_294
; %bb.289:
	s_mov_b32 s5, exec_lo
	v_cmpx_le_u32_e64 v10, v11
	s_xor_b32 s5, exec_lo, s5
	s_cbranch_execz .LBB956_291
; %bb.290:
	v_lshlrev_b32_e32 v12, 2, v0
	v_add_co_u32 v11, vcc_lo, v3, v11
	ds_load_b32 v13, v12 offset:6144
	v_add_co_ci_u32_e32 v12, vcc_lo, 0, v9, vcc_lo
	s_delay_alu instid0(VALU_DEP_1) | instskip(NEXT) | instid1(VALU_DEP_1)
	v_lshlrev_b64 v[11:12], 2, v[11:12]
	v_sub_co_u32 v11, vcc_lo, s1, v11
	s_delay_alu instid0(VALU_DEP_2)
	v_sub_co_ci_u32_e32 v12, vcc_lo, s0, v12, vcc_lo
	s_waitcnt lgkmcnt(0)
	global_store_b32 v[11:12], v13, off
                                        ; implicit-def: $vgpr11
.LBB956_291:
	s_and_not1_saveexec_b32 s5, s5
	s_cbranch_execz .LBB956_293
; %bb.292:
	v_lshlrev_b32_e32 v12, 2, v0
	v_lshlrev_b32_e32 v11, 2, v11
	v_readfirstlane_b32 s6, v5
	v_readfirstlane_b32 s7, v6
	ds_load_b32 v12, v12 offset:6144
	s_waitcnt lgkmcnt(0)
	global_store_b32 v11, v12, s[6:7]
.LBB956_293:
	s_or_b32 exec_lo, exec_lo, s5
                                        ; implicit-def: $vgpr11
.LBB956_294:
	s_and_not1_saveexec_b32 s4, s4
	s_cbranch_execz .LBB956_296
; %bb.295:
	v_lshlrev_b32_e32 v12, 2, v0
	v_lshlrev_b32_e32 v11, 2, v11
	v_readfirstlane_b32 s4, v7
	v_readfirstlane_b32 s5, v8
	ds_load_b32 v12, v12 offset:6144
	s_waitcnt lgkmcnt(0)
	global_store_b32 v11, v12, s[4:5]
.LBB956_296:
	;; [unrolled: 55-line block ×7, first 2 shown]
	s_or_b32 exec_lo, exec_lo, s2
	v_or_b32_e32 v11, 0xc00, v0
	s_mov_b32 s2, exec_lo
	s_delay_alu instid0(VALU_DEP_1)
	v_cmpx_gt_u32_e64 s3, v11
	s_cbranch_execz .LBB956_350
; %bb.342:
	s_mov_b32 s3, exec_lo
	v_cmpx_le_u32_e64 v1, v11
	s_xor_b32 s3, exec_lo, s3
	s_cbranch_execz .LBB956_348
; %bb.343:
	s_mov_b32 s4, exec_lo
	v_cmpx_le_u32_e64 v10, v11
	s_xor_b32 s4, exec_lo, s4
	s_cbranch_execz .LBB956_345
; %bb.344:
	v_lshlrev_b32_e32 v5, 2, v0
	ds_load_b32 v7, v5 offset:12288
	v_add_co_u32 v5, vcc_lo, v3, v11
	v_add_co_ci_u32_e32 v6, vcc_lo, 0, v9, vcc_lo
                                        ; implicit-def: $vgpr11
	s_delay_alu instid0(VALU_DEP_1) | instskip(NEXT) | instid1(VALU_DEP_1)
	v_lshlrev_b64 v[5:6], 2, v[5:6]
	v_sub_co_u32 v5, vcc_lo, s1, v5
	s_delay_alu instid0(VALU_DEP_2)
	v_sub_co_ci_u32_e32 v6, vcc_lo, s0, v6, vcc_lo
	s_waitcnt lgkmcnt(0)
	global_store_b32 v[5:6], v7, off
                                        ; implicit-def: $vgpr5_vgpr6
.LBB956_345:
	s_and_not1_saveexec_b32 s0, s4
	s_cbranch_execz .LBB956_347
; %bb.346:
	v_lshlrev_b32_e32 v3, 2, v0
	v_lshlrev_b32_e32 v7, 2, v11
	v_readfirstlane_b32 s4, v5
	v_readfirstlane_b32 s5, v6
	ds_load_b32 v3, v3 offset:12288
	s_waitcnt lgkmcnt(0)
	global_store_b32 v7, v3, s[4:5]
.LBB956_347:
	s_or_b32 exec_lo, exec_lo, s0
                                        ; implicit-def: $vgpr11
                                        ; implicit-def: $vgpr7_vgpr8
.LBB956_348:
	s_and_not1_saveexec_b32 s0, s3
	s_cbranch_execz .LBB956_350
; %bb.349:
	v_lshlrev_b32_e32 v3, 2, v0
	v_lshlrev_b32_e32 v5, 2, v11
	v_readfirstlane_b32 s0, v7
	v_readfirstlane_b32 s1, v8
	ds_load_b32 v3, v3 offset:12288
	s_waitcnt lgkmcnt(0)
	global_store_b32 v5, v3, s[0:1]
.LBB956_350:
	s_or_b32 exec_lo, exec_lo, s2
	v_cmp_eq_u32_e32 vcc_lo, 0, v0
	s_and_b32 s0, vcc_lo, s14
	s_delay_alu instid0(SALU_CYCLE_1)
	s_and_saveexec_b32 s1, s0
	s_cbranch_execz .LBB956_127
.LBB956_351:
	v_add_co_u32 v2, s0, s30, v2
	s_delay_alu instid0(VALU_DEP_1) | instskip(SKIP_2) | instid1(VALU_DEP_4)
	v_add_co_ci_u32_e64 v3, null, s31, 0, s0
	v_add_co_u32 v0, vcc_lo, v18, v1
	v_add_co_ci_u32_e32 v1, vcc_lo, 0, v19, vcc_lo
	v_add_co_u32 v2, vcc_lo, v2, v4
	v_mov_b32_e32 v5, 0
	v_add_co_ci_u32_e32 v3, vcc_lo, 0, v3, vcc_lo
	global_store_b128 v5, v[0:3], s[24:25]
	s_nop 0
	s_sendmsg sendmsg(MSG_DEALLOC_VGPRS)
	s_endpgm
.LBB956_352:
	v_add_nc_u32_e32 v3, s7, v23
	s_add_i32 s10, s15, 32
	s_mov_b32 s11, 0
	v_dual_mov_b32 v5, 0 :: v_dual_add_nc_u32 v2, v22, v1
	s_lshl_b64 s[10:11], s[10:11], 4
	v_and_b32_e32 v20, 0xff0000, v3
	s_add_u32 s10, s4, s10
	s_addc_u32 s11, s5, s11
	v_and_b32_e32 v4, 0xff000000, v3
	s_delay_alu instid0(VALU_DEP_1) | instskip(SKIP_2) | instid1(VALU_DEP_1)
	v_or_b32_e32 v20, v20, v4
	v_dual_mov_b32 v4, 2 :: v_dual_and_b32 v21, 0xff00, v3
	v_and_b32_e32 v3, 0xff, v3
	v_or3_b32 v3, v20, v21, v3
	v_dual_mov_b32 v21, s11 :: v_dual_mov_b32 v20, s10
	;;#ASMSTART
	global_store_dwordx4 v[20:21], v[2:5] off	
s_waitcnt vmcnt(0)
	;;#ASMEND
	s_or_b32 exec_lo, exec_lo, s8
	s_and_saveexec_b32 s8, s2
	s_cbranch_execz .LBB956_111
.LBB956_353:
	v_mov_b32_e32 v2, s7
	v_add_nc_u32_e64 v3, 0x3400, 0
	ds_store_2addr_b32 v3, v1, v2 offset1:2
	ds_store_2addr_b32 v3, v22, v23 offset0:4 offset1:6
	s_or_b32 exec_lo, exec_lo, s8
	v_cmp_eq_u32_e32 vcc_lo, 0, v0
	s_and_b32 exec_lo, exec_lo, vcc_lo
	s_cbranch_execnz .LBB956_112
	s_branch .LBB956_113
	.section	.rodata,"a",@progbits
	.p2align	6, 0x0
	.amdhsa_kernel _ZN7rocprim17ROCPRIM_400000_NS6detail17trampoline_kernelINS0_13select_configILj256ELj13ELNS0_17block_load_methodE3ELS4_3ELS4_3ELNS0_20block_scan_algorithmE0ELj4294967295EEENS1_25partition_config_selectorILNS1_17partition_subalgoE4EjNS0_10empty_typeEbEEZZNS1_14partition_implILS8_4ELb0ES6_15HIP_vector_typeIjLj2EENS0_17counting_iteratorIjlEEPS9_SG_NS0_5tupleIJPjSI_NS0_16reverse_iteratorISI_EEEEENSH_IJSG_SG_SG_EEES9_SI_JZNS1_25segmented_radix_sort_implINS0_14default_configELb0EPKsPsPKlPlN2at6native12_GLOBAL__N_18offset_tEEE10hipError_tPvRmT1_PNSt15iterator_traitsIS12_E10value_typeET2_T3_PNS13_IS18_E10value_typeET4_jRbjT5_S1E_jjP12ihipStream_tbEUljE_ZNSN_ISO_Lb0ESQ_SR_ST_SU_SY_EESZ_S10_S11_S12_S16_S17_S18_S1B_S1C_jS1D_jS1E_S1E_jjS1G_bEUljE0_EEESZ_S10_S11_S18_S1C_S1E_T6_T7_T9_mT8_S1G_bDpT10_ENKUlT_T0_E_clISt17integral_constantIbLb0EES1U_EEDaS1P_S1Q_EUlS1P_E_NS1_11comp_targetILNS1_3genE9ELNS1_11target_archE1100ELNS1_3gpuE3ELNS1_3repE0EEENS1_30default_config_static_selectorELNS0_4arch9wavefront6targetE0EEEvS12_
		.amdhsa_group_segment_fixed_size 13340
		.amdhsa_private_segment_fixed_size 0
		.amdhsa_kernarg_size 176
		.amdhsa_user_sgpr_count 15
		.amdhsa_user_sgpr_dispatch_ptr 0
		.amdhsa_user_sgpr_queue_ptr 0
		.amdhsa_user_sgpr_kernarg_segment_ptr 1
		.amdhsa_user_sgpr_dispatch_id 0
		.amdhsa_user_sgpr_private_segment_size 0
		.amdhsa_wavefront_size32 1
		.amdhsa_uses_dynamic_stack 0
		.amdhsa_enable_private_segment 0
		.amdhsa_system_sgpr_workgroup_id_x 1
		.amdhsa_system_sgpr_workgroup_id_y 0
		.amdhsa_system_sgpr_workgroup_id_z 0
		.amdhsa_system_sgpr_workgroup_info 0
		.amdhsa_system_vgpr_workitem_id 0
		.amdhsa_next_free_vgpr 98
		.amdhsa_next_free_sgpr 59
		.amdhsa_reserve_vcc 1
		.amdhsa_float_round_mode_32 0
		.amdhsa_float_round_mode_16_64 0
		.amdhsa_float_denorm_mode_32 3
		.amdhsa_float_denorm_mode_16_64 3
		.amdhsa_dx10_clamp 1
		.amdhsa_ieee_mode 1
		.amdhsa_fp16_overflow 0
		.amdhsa_workgroup_processor_mode 1
		.amdhsa_memory_ordered 1
		.amdhsa_forward_progress 0
		.amdhsa_shared_vgpr_count 0
		.amdhsa_exception_fp_ieee_invalid_op 0
		.amdhsa_exception_fp_denorm_src 0
		.amdhsa_exception_fp_ieee_div_zero 0
		.amdhsa_exception_fp_ieee_overflow 0
		.amdhsa_exception_fp_ieee_underflow 0
		.amdhsa_exception_fp_ieee_inexact 0
		.amdhsa_exception_int_div_zero 0
	.end_amdhsa_kernel
	.section	.text._ZN7rocprim17ROCPRIM_400000_NS6detail17trampoline_kernelINS0_13select_configILj256ELj13ELNS0_17block_load_methodE3ELS4_3ELS4_3ELNS0_20block_scan_algorithmE0ELj4294967295EEENS1_25partition_config_selectorILNS1_17partition_subalgoE4EjNS0_10empty_typeEbEEZZNS1_14partition_implILS8_4ELb0ES6_15HIP_vector_typeIjLj2EENS0_17counting_iteratorIjlEEPS9_SG_NS0_5tupleIJPjSI_NS0_16reverse_iteratorISI_EEEEENSH_IJSG_SG_SG_EEES9_SI_JZNS1_25segmented_radix_sort_implINS0_14default_configELb0EPKsPsPKlPlN2at6native12_GLOBAL__N_18offset_tEEE10hipError_tPvRmT1_PNSt15iterator_traitsIS12_E10value_typeET2_T3_PNS13_IS18_E10value_typeET4_jRbjT5_S1E_jjP12ihipStream_tbEUljE_ZNSN_ISO_Lb0ESQ_SR_ST_SU_SY_EESZ_S10_S11_S12_S16_S17_S18_S1B_S1C_jS1D_jS1E_S1E_jjS1G_bEUljE0_EEESZ_S10_S11_S18_S1C_S1E_T6_T7_T9_mT8_S1G_bDpT10_ENKUlT_T0_E_clISt17integral_constantIbLb0EES1U_EEDaS1P_S1Q_EUlS1P_E_NS1_11comp_targetILNS1_3genE9ELNS1_11target_archE1100ELNS1_3gpuE3ELNS1_3repE0EEENS1_30default_config_static_selectorELNS0_4arch9wavefront6targetE0EEEvS12_,"axG",@progbits,_ZN7rocprim17ROCPRIM_400000_NS6detail17trampoline_kernelINS0_13select_configILj256ELj13ELNS0_17block_load_methodE3ELS4_3ELS4_3ELNS0_20block_scan_algorithmE0ELj4294967295EEENS1_25partition_config_selectorILNS1_17partition_subalgoE4EjNS0_10empty_typeEbEEZZNS1_14partition_implILS8_4ELb0ES6_15HIP_vector_typeIjLj2EENS0_17counting_iteratorIjlEEPS9_SG_NS0_5tupleIJPjSI_NS0_16reverse_iteratorISI_EEEEENSH_IJSG_SG_SG_EEES9_SI_JZNS1_25segmented_radix_sort_implINS0_14default_configELb0EPKsPsPKlPlN2at6native12_GLOBAL__N_18offset_tEEE10hipError_tPvRmT1_PNSt15iterator_traitsIS12_E10value_typeET2_T3_PNS13_IS18_E10value_typeET4_jRbjT5_S1E_jjP12ihipStream_tbEUljE_ZNSN_ISO_Lb0ESQ_SR_ST_SU_SY_EESZ_S10_S11_S12_S16_S17_S18_S1B_S1C_jS1D_jS1E_S1E_jjS1G_bEUljE0_EEESZ_S10_S11_S18_S1C_S1E_T6_T7_T9_mT8_S1G_bDpT10_ENKUlT_T0_E_clISt17integral_constantIbLb0EES1U_EEDaS1P_S1Q_EUlS1P_E_NS1_11comp_targetILNS1_3genE9ELNS1_11target_archE1100ELNS1_3gpuE3ELNS1_3repE0EEENS1_30default_config_static_selectorELNS0_4arch9wavefront6targetE0EEEvS12_,comdat
.Lfunc_end956:
	.size	_ZN7rocprim17ROCPRIM_400000_NS6detail17trampoline_kernelINS0_13select_configILj256ELj13ELNS0_17block_load_methodE3ELS4_3ELS4_3ELNS0_20block_scan_algorithmE0ELj4294967295EEENS1_25partition_config_selectorILNS1_17partition_subalgoE4EjNS0_10empty_typeEbEEZZNS1_14partition_implILS8_4ELb0ES6_15HIP_vector_typeIjLj2EENS0_17counting_iteratorIjlEEPS9_SG_NS0_5tupleIJPjSI_NS0_16reverse_iteratorISI_EEEEENSH_IJSG_SG_SG_EEES9_SI_JZNS1_25segmented_radix_sort_implINS0_14default_configELb0EPKsPsPKlPlN2at6native12_GLOBAL__N_18offset_tEEE10hipError_tPvRmT1_PNSt15iterator_traitsIS12_E10value_typeET2_T3_PNS13_IS18_E10value_typeET4_jRbjT5_S1E_jjP12ihipStream_tbEUljE_ZNSN_ISO_Lb0ESQ_SR_ST_SU_SY_EESZ_S10_S11_S12_S16_S17_S18_S1B_S1C_jS1D_jS1E_S1E_jjS1G_bEUljE0_EEESZ_S10_S11_S18_S1C_S1E_T6_T7_T9_mT8_S1G_bDpT10_ENKUlT_T0_E_clISt17integral_constantIbLb0EES1U_EEDaS1P_S1Q_EUlS1P_E_NS1_11comp_targetILNS1_3genE9ELNS1_11target_archE1100ELNS1_3gpuE3ELNS1_3repE0EEENS1_30default_config_static_selectorELNS0_4arch9wavefront6targetE0EEEvS12_, .Lfunc_end956-_ZN7rocprim17ROCPRIM_400000_NS6detail17trampoline_kernelINS0_13select_configILj256ELj13ELNS0_17block_load_methodE3ELS4_3ELS4_3ELNS0_20block_scan_algorithmE0ELj4294967295EEENS1_25partition_config_selectorILNS1_17partition_subalgoE4EjNS0_10empty_typeEbEEZZNS1_14partition_implILS8_4ELb0ES6_15HIP_vector_typeIjLj2EENS0_17counting_iteratorIjlEEPS9_SG_NS0_5tupleIJPjSI_NS0_16reverse_iteratorISI_EEEEENSH_IJSG_SG_SG_EEES9_SI_JZNS1_25segmented_radix_sort_implINS0_14default_configELb0EPKsPsPKlPlN2at6native12_GLOBAL__N_18offset_tEEE10hipError_tPvRmT1_PNSt15iterator_traitsIS12_E10value_typeET2_T3_PNS13_IS18_E10value_typeET4_jRbjT5_S1E_jjP12ihipStream_tbEUljE_ZNSN_ISO_Lb0ESQ_SR_ST_SU_SY_EESZ_S10_S11_S12_S16_S17_S18_S1B_S1C_jS1D_jS1E_S1E_jjS1G_bEUljE0_EEESZ_S10_S11_S18_S1C_S1E_T6_T7_T9_mT8_S1G_bDpT10_ENKUlT_T0_E_clISt17integral_constantIbLb0EES1U_EEDaS1P_S1Q_EUlS1P_E_NS1_11comp_targetILNS1_3genE9ELNS1_11target_archE1100ELNS1_3gpuE3ELNS1_3repE0EEENS1_30default_config_static_selectorELNS0_4arch9wavefront6targetE0EEEvS12_
                                        ; -- End function
	.section	.AMDGPU.csdata,"",@progbits
; Kernel info:
; codeLenInByte = 14984
; NumSgprs: 61
; NumVgprs: 98
; ScratchSize: 0
; MemoryBound: 0
; FloatMode: 240
; IeeeMode: 1
; LDSByteSize: 13340 bytes/workgroup (compile time only)
; SGPRBlocks: 7
; VGPRBlocks: 12
; NumSGPRsForWavesPerEU: 61
; NumVGPRsForWavesPerEU: 98
; Occupancy: 12
; WaveLimiterHint : 1
; COMPUTE_PGM_RSRC2:SCRATCH_EN: 0
; COMPUTE_PGM_RSRC2:USER_SGPR: 15
; COMPUTE_PGM_RSRC2:TRAP_HANDLER: 0
; COMPUTE_PGM_RSRC2:TGID_X_EN: 1
; COMPUTE_PGM_RSRC2:TGID_Y_EN: 0
; COMPUTE_PGM_RSRC2:TGID_Z_EN: 0
; COMPUTE_PGM_RSRC2:TIDIG_COMP_CNT: 0
	.section	.text._ZN7rocprim17ROCPRIM_400000_NS6detail17trampoline_kernelINS0_13select_configILj256ELj13ELNS0_17block_load_methodE3ELS4_3ELS4_3ELNS0_20block_scan_algorithmE0ELj4294967295EEENS1_25partition_config_selectorILNS1_17partition_subalgoE4EjNS0_10empty_typeEbEEZZNS1_14partition_implILS8_4ELb0ES6_15HIP_vector_typeIjLj2EENS0_17counting_iteratorIjlEEPS9_SG_NS0_5tupleIJPjSI_NS0_16reverse_iteratorISI_EEEEENSH_IJSG_SG_SG_EEES9_SI_JZNS1_25segmented_radix_sort_implINS0_14default_configELb0EPKsPsPKlPlN2at6native12_GLOBAL__N_18offset_tEEE10hipError_tPvRmT1_PNSt15iterator_traitsIS12_E10value_typeET2_T3_PNS13_IS18_E10value_typeET4_jRbjT5_S1E_jjP12ihipStream_tbEUljE_ZNSN_ISO_Lb0ESQ_SR_ST_SU_SY_EESZ_S10_S11_S12_S16_S17_S18_S1B_S1C_jS1D_jS1E_S1E_jjS1G_bEUljE0_EEESZ_S10_S11_S18_S1C_S1E_T6_T7_T9_mT8_S1G_bDpT10_ENKUlT_T0_E_clISt17integral_constantIbLb0EES1U_EEDaS1P_S1Q_EUlS1P_E_NS1_11comp_targetILNS1_3genE8ELNS1_11target_archE1030ELNS1_3gpuE2ELNS1_3repE0EEENS1_30default_config_static_selectorELNS0_4arch9wavefront6targetE0EEEvS12_,"axG",@progbits,_ZN7rocprim17ROCPRIM_400000_NS6detail17trampoline_kernelINS0_13select_configILj256ELj13ELNS0_17block_load_methodE3ELS4_3ELS4_3ELNS0_20block_scan_algorithmE0ELj4294967295EEENS1_25partition_config_selectorILNS1_17partition_subalgoE4EjNS0_10empty_typeEbEEZZNS1_14partition_implILS8_4ELb0ES6_15HIP_vector_typeIjLj2EENS0_17counting_iteratorIjlEEPS9_SG_NS0_5tupleIJPjSI_NS0_16reverse_iteratorISI_EEEEENSH_IJSG_SG_SG_EEES9_SI_JZNS1_25segmented_radix_sort_implINS0_14default_configELb0EPKsPsPKlPlN2at6native12_GLOBAL__N_18offset_tEEE10hipError_tPvRmT1_PNSt15iterator_traitsIS12_E10value_typeET2_T3_PNS13_IS18_E10value_typeET4_jRbjT5_S1E_jjP12ihipStream_tbEUljE_ZNSN_ISO_Lb0ESQ_SR_ST_SU_SY_EESZ_S10_S11_S12_S16_S17_S18_S1B_S1C_jS1D_jS1E_S1E_jjS1G_bEUljE0_EEESZ_S10_S11_S18_S1C_S1E_T6_T7_T9_mT8_S1G_bDpT10_ENKUlT_T0_E_clISt17integral_constantIbLb0EES1U_EEDaS1P_S1Q_EUlS1P_E_NS1_11comp_targetILNS1_3genE8ELNS1_11target_archE1030ELNS1_3gpuE2ELNS1_3repE0EEENS1_30default_config_static_selectorELNS0_4arch9wavefront6targetE0EEEvS12_,comdat
	.globl	_ZN7rocprim17ROCPRIM_400000_NS6detail17trampoline_kernelINS0_13select_configILj256ELj13ELNS0_17block_load_methodE3ELS4_3ELS4_3ELNS0_20block_scan_algorithmE0ELj4294967295EEENS1_25partition_config_selectorILNS1_17partition_subalgoE4EjNS0_10empty_typeEbEEZZNS1_14partition_implILS8_4ELb0ES6_15HIP_vector_typeIjLj2EENS0_17counting_iteratorIjlEEPS9_SG_NS0_5tupleIJPjSI_NS0_16reverse_iteratorISI_EEEEENSH_IJSG_SG_SG_EEES9_SI_JZNS1_25segmented_radix_sort_implINS0_14default_configELb0EPKsPsPKlPlN2at6native12_GLOBAL__N_18offset_tEEE10hipError_tPvRmT1_PNSt15iterator_traitsIS12_E10value_typeET2_T3_PNS13_IS18_E10value_typeET4_jRbjT5_S1E_jjP12ihipStream_tbEUljE_ZNSN_ISO_Lb0ESQ_SR_ST_SU_SY_EESZ_S10_S11_S12_S16_S17_S18_S1B_S1C_jS1D_jS1E_S1E_jjS1G_bEUljE0_EEESZ_S10_S11_S18_S1C_S1E_T6_T7_T9_mT8_S1G_bDpT10_ENKUlT_T0_E_clISt17integral_constantIbLb0EES1U_EEDaS1P_S1Q_EUlS1P_E_NS1_11comp_targetILNS1_3genE8ELNS1_11target_archE1030ELNS1_3gpuE2ELNS1_3repE0EEENS1_30default_config_static_selectorELNS0_4arch9wavefront6targetE0EEEvS12_ ; -- Begin function _ZN7rocprim17ROCPRIM_400000_NS6detail17trampoline_kernelINS0_13select_configILj256ELj13ELNS0_17block_load_methodE3ELS4_3ELS4_3ELNS0_20block_scan_algorithmE0ELj4294967295EEENS1_25partition_config_selectorILNS1_17partition_subalgoE4EjNS0_10empty_typeEbEEZZNS1_14partition_implILS8_4ELb0ES6_15HIP_vector_typeIjLj2EENS0_17counting_iteratorIjlEEPS9_SG_NS0_5tupleIJPjSI_NS0_16reverse_iteratorISI_EEEEENSH_IJSG_SG_SG_EEES9_SI_JZNS1_25segmented_radix_sort_implINS0_14default_configELb0EPKsPsPKlPlN2at6native12_GLOBAL__N_18offset_tEEE10hipError_tPvRmT1_PNSt15iterator_traitsIS12_E10value_typeET2_T3_PNS13_IS18_E10value_typeET4_jRbjT5_S1E_jjP12ihipStream_tbEUljE_ZNSN_ISO_Lb0ESQ_SR_ST_SU_SY_EESZ_S10_S11_S12_S16_S17_S18_S1B_S1C_jS1D_jS1E_S1E_jjS1G_bEUljE0_EEESZ_S10_S11_S18_S1C_S1E_T6_T7_T9_mT8_S1G_bDpT10_ENKUlT_T0_E_clISt17integral_constantIbLb0EES1U_EEDaS1P_S1Q_EUlS1P_E_NS1_11comp_targetILNS1_3genE8ELNS1_11target_archE1030ELNS1_3gpuE2ELNS1_3repE0EEENS1_30default_config_static_selectorELNS0_4arch9wavefront6targetE0EEEvS12_
	.p2align	8
	.type	_ZN7rocprim17ROCPRIM_400000_NS6detail17trampoline_kernelINS0_13select_configILj256ELj13ELNS0_17block_load_methodE3ELS4_3ELS4_3ELNS0_20block_scan_algorithmE0ELj4294967295EEENS1_25partition_config_selectorILNS1_17partition_subalgoE4EjNS0_10empty_typeEbEEZZNS1_14partition_implILS8_4ELb0ES6_15HIP_vector_typeIjLj2EENS0_17counting_iteratorIjlEEPS9_SG_NS0_5tupleIJPjSI_NS0_16reverse_iteratorISI_EEEEENSH_IJSG_SG_SG_EEES9_SI_JZNS1_25segmented_radix_sort_implINS0_14default_configELb0EPKsPsPKlPlN2at6native12_GLOBAL__N_18offset_tEEE10hipError_tPvRmT1_PNSt15iterator_traitsIS12_E10value_typeET2_T3_PNS13_IS18_E10value_typeET4_jRbjT5_S1E_jjP12ihipStream_tbEUljE_ZNSN_ISO_Lb0ESQ_SR_ST_SU_SY_EESZ_S10_S11_S12_S16_S17_S18_S1B_S1C_jS1D_jS1E_S1E_jjS1G_bEUljE0_EEESZ_S10_S11_S18_S1C_S1E_T6_T7_T9_mT8_S1G_bDpT10_ENKUlT_T0_E_clISt17integral_constantIbLb0EES1U_EEDaS1P_S1Q_EUlS1P_E_NS1_11comp_targetILNS1_3genE8ELNS1_11target_archE1030ELNS1_3gpuE2ELNS1_3repE0EEENS1_30default_config_static_selectorELNS0_4arch9wavefront6targetE0EEEvS12_,@function
_ZN7rocprim17ROCPRIM_400000_NS6detail17trampoline_kernelINS0_13select_configILj256ELj13ELNS0_17block_load_methodE3ELS4_3ELS4_3ELNS0_20block_scan_algorithmE0ELj4294967295EEENS1_25partition_config_selectorILNS1_17partition_subalgoE4EjNS0_10empty_typeEbEEZZNS1_14partition_implILS8_4ELb0ES6_15HIP_vector_typeIjLj2EENS0_17counting_iteratorIjlEEPS9_SG_NS0_5tupleIJPjSI_NS0_16reverse_iteratorISI_EEEEENSH_IJSG_SG_SG_EEES9_SI_JZNS1_25segmented_radix_sort_implINS0_14default_configELb0EPKsPsPKlPlN2at6native12_GLOBAL__N_18offset_tEEE10hipError_tPvRmT1_PNSt15iterator_traitsIS12_E10value_typeET2_T3_PNS13_IS18_E10value_typeET4_jRbjT5_S1E_jjP12ihipStream_tbEUljE_ZNSN_ISO_Lb0ESQ_SR_ST_SU_SY_EESZ_S10_S11_S12_S16_S17_S18_S1B_S1C_jS1D_jS1E_S1E_jjS1G_bEUljE0_EEESZ_S10_S11_S18_S1C_S1E_T6_T7_T9_mT8_S1G_bDpT10_ENKUlT_T0_E_clISt17integral_constantIbLb0EES1U_EEDaS1P_S1Q_EUlS1P_E_NS1_11comp_targetILNS1_3genE8ELNS1_11target_archE1030ELNS1_3gpuE2ELNS1_3repE0EEENS1_30default_config_static_selectorELNS0_4arch9wavefront6targetE0EEEvS12_: ; @_ZN7rocprim17ROCPRIM_400000_NS6detail17trampoline_kernelINS0_13select_configILj256ELj13ELNS0_17block_load_methodE3ELS4_3ELS4_3ELNS0_20block_scan_algorithmE0ELj4294967295EEENS1_25partition_config_selectorILNS1_17partition_subalgoE4EjNS0_10empty_typeEbEEZZNS1_14partition_implILS8_4ELb0ES6_15HIP_vector_typeIjLj2EENS0_17counting_iteratorIjlEEPS9_SG_NS0_5tupleIJPjSI_NS0_16reverse_iteratorISI_EEEEENSH_IJSG_SG_SG_EEES9_SI_JZNS1_25segmented_radix_sort_implINS0_14default_configELb0EPKsPsPKlPlN2at6native12_GLOBAL__N_18offset_tEEE10hipError_tPvRmT1_PNSt15iterator_traitsIS12_E10value_typeET2_T3_PNS13_IS18_E10value_typeET4_jRbjT5_S1E_jjP12ihipStream_tbEUljE_ZNSN_ISO_Lb0ESQ_SR_ST_SU_SY_EESZ_S10_S11_S12_S16_S17_S18_S1B_S1C_jS1D_jS1E_S1E_jjS1G_bEUljE0_EEESZ_S10_S11_S18_S1C_S1E_T6_T7_T9_mT8_S1G_bDpT10_ENKUlT_T0_E_clISt17integral_constantIbLb0EES1U_EEDaS1P_S1Q_EUlS1P_E_NS1_11comp_targetILNS1_3genE8ELNS1_11target_archE1030ELNS1_3gpuE2ELNS1_3repE0EEENS1_30default_config_static_selectorELNS0_4arch9wavefront6targetE0EEEvS12_
; %bb.0:
	.section	.rodata,"a",@progbits
	.p2align	6, 0x0
	.amdhsa_kernel _ZN7rocprim17ROCPRIM_400000_NS6detail17trampoline_kernelINS0_13select_configILj256ELj13ELNS0_17block_load_methodE3ELS4_3ELS4_3ELNS0_20block_scan_algorithmE0ELj4294967295EEENS1_25partition_config_selectorILNS1_17partition_subalgoE4EjNS0_10empty_typeEbEEZZNS1_14partition_implILS8_4ELb0ES6_15HIP_vector_typeIjLj2EENS0_17counting_iteratorIjlEEPS9_SG_NS0_5tupleIJPjSI_NS0_16reverse_iteratorISI_EEEEENSH_IJSG_SG_SG_EEES9_SI_JZNS1_25segmented_radix_sort_implINS0_14default_configELb0EPKsPsPKlPlN2at6native12_GLOBAL__N_18offset_tEEE10hipError_tPvRmT1_PNSt15iterator_traitsIS12_E10value_typeET2_T3_PNS13_IS18_E10value_typeET4_jRbjT5_S1E_jjP12ihipStream_tbEUljE_ZNSN_ISO_Lb0ESQ_SR_ST_SU_SY_EESZ_S10_S11_S12_S16_S17_S18_S1B_S1C_jS1D_jS1E_S1E_jjS1G_bEUljE0_EEESZ_S10_S11_S18_S1C_S1E_T6_T7_T9_mT8_S1G_bDpT10_ENKUlT_T0_E_clISt17integral_constantIbLb0EES1U_EEDaS1P_S1Q_EUlS1P_E_NS1_11comp_targetILNS1_3genE8ELNS1_11target_archE1030ELNS1_3gpuE2ELNS1_3repE0EEENS1_30default_config_static_selectorELNS0_4arch9wavefront6targetE0EEEvS12_
		.amdhsa_group_segment_fixed_size 0
		.amdhsa_private_segment_fixed_size 0
		.amdhsa_kernarg_size 176
		.amdhsa_user_sgpr_count 15
		.amdhsa_user_sgpr_dispatch_ptr 0
		.amdhsa_user_sgpr_queue_ptr 0
		.amdhsa_user_sgpr_kernarg_segment_ptr 1
		.amdhsa_user_sgpr_dispatch_id 0
		.amdhsa_user_sgpr_private_segment_size 0
		.amdhsa_wavefront_size32 1
		.amdhsa_uses_dynamic_stack 0
		.amdhsa_enable_private_segment 0
		.amdhsa_system_sgpr_workgroup_id_x 1
		.amdhsa_system_sgpr_workgroup_id_y 0
		.amdhsa_system_sgpr_workgroup_id_z 0
		.amdhsa_system_sgpr_workgroup_info 0
		.amdhsa_system_vgpr_workitem_id 0
		.amdhsa_next_free_vgpr 1
		.amdhsa_next_free_sgpr 1
		.amdhsa_reserve_vcc 0
		.amdhsa_float_round_mode_32 0
		.amdhsa_float_round_mode_16_64 0
		.amdhsa_float_denorm_mode_32 3
		.amdhsa_float_denorm_mode_16_64 3
		.amdhsa_dx10_clamp 1
		.amdhsa_ieee_mode 1
		.amdhsa_fp16_overflow 0
		.amdhsa_workgroup_processor_mode 1
		.amdhsa_memory_ordered 1
		.amdhsa_forward_progress 0
		.amdhsa_shared_vgpr_count 0
		.amdhsa_exception_fp_ieee_invalid_op 0
		.amdhsa_exception_fp_denorm_src 0
		.amdhsa_exception_fp_ieee_div_zero 0
		.amdhsa_exception_fp_ieee_overflow 0
		.amdhsa_exception_fp_ieee_underflow 0
		.amdhsa_exception_fp_ieee_inexact 0
		.amdhsa_exception_int_div_zero 0
	.end_amdhsa_kernel
	.section	.text._ZN7rocprim17ROCPRIM_400000_NS6detail17trampoline_kernelINS0_13select_configILj256ELj13ELNS0_17block_load_methodE3ELS4_3ELS4_3ELNS0_20block_scan_algorithmE0ELj4294967295EEENS1_25partition_config_selectorILNS1_17partition_subalgoE4EjNS0_10empty_typeEbEEZZNS1_14partition_implILS8_4ELb0ES6_15HIP_vector_typeIjLj2EENS0_17counting_iteratorIjlEEPS9_SG_NS0_5tupleIJPjSI_NS0_16reverse_iteratorISI_EEEEENSH_IJSG_SG_SG_EEES9_SI_JZNS1_25segmented_radix_sort_implINS0_14default_configELb0EPKsPsPKlPlN2at6native12_GLOBAL__N_18offset_tEEE10hipError_tPvRmT1_PNSt15iterator_traitsIS12_E10value_typeET2_T3_PNS13_IS18_E10value_typeET4_jRbjT5_S1E_jjP12ihipStream_tbEUljE_ZNSN_ISO_Lb0ESQ_SR_ST_SU_SY_EESZ_S10_S11_S12_S16_S17_S18_S1B_S1C_jS1D_jS1E_S1E_jjS1G_bEUljE0_EEESZ_S10_S11_S18_S1C_S1E_T6_T7_T9_mT8_S1G_bDpT10_ENKUlT_T0_E_clISt17integral_constantIbLb0EES1U_EEDaS1P_S1Q_EUlS1P_E_NS1_11comp_targetILNS1_3genE8ELNS1_11target_archE1030ELNS1_3gpuE2ELNS1_3repE0EEENS1_30default_config_static_selectorELNS0_4arch9wavefront6targetE0EEEvS12_,"axG",@progbits,_ZN7rocprim17ROCPRIM_400000_NS6detail17trampoline_kernelINS0_13select_configILj256ELj13ELNS0_17block_load_methodE3ELS4_3ELS4_3ELNS0_20block_scan_algorithmE0ELj4294967295EEENS1_25partition_config_selectorILNS1_17partition_subalgoE4EjNS0_10empty_typeEbEEZZNS1_14partition_implILS8_4ELb0ES6_15HIP_vector_typeIjLj2EENS0_17counting_iteratorIjlEEPS9_SG_NS0_5tupleIJPjSI_NS0_16reverse_iteratorISI_EEEEENSH_IJSG_SG_SG_EEES9_SI_JZNS1_25segmented_radix_sort_implINS0_14default_configELb0EPKsPsPKlPlN2at6native12_GLOBAL__N_18offset_tEEE10hipError_tPvRmT1_PNSt15iterator_traitsIS12_E10value_typeET2_T3_PNS13_IS18_E10value_typeET4_jRbjT5_S1E_jjP12ihipStream_tbEUljE_ZNSN_ISO_Lb0ESQ_SR_ST_SU_SY_EESZ_S10_S11_S12_S16_S17_S18_S1B_S1C_jS1D_jS1E_S1E_jjS1G_bEUljE0_EEESZ_S10_S11_S18_S1C_S1E_T6_T7_T9_mT8_S1G_bDpT10_ENKUlT_T0_E_clISt17integral_constantIbLb0EES1U_EEDaS1P_S1Q_EUlS1P_E_NS1_11comp_targetILNS1_3genE8ELNS1_11target_archE1030ELNS1_3gpuE2ELNS1_3repE0EEENS1_30default_config_static_selectorELNS0_4arch9wavefront6targetE0EEEvS12_,comdat
.Lfunc_end957:
	.size	_ZN7rocprim17ROCPRIM_400000_NS6detail17trampoline_kernelINS0_13select_configILj256ELj13ELNS0_17block_load_methodE3ELS4_3ELS4_3ELNS0_20block_scan_algorithmE0ELj4294967295EEENS1_25partition_config_selectorILNS1_17partition_subalgoE4EjNS0_10empty_typeEbEEZZNS1_14partition_implILS8_4ELb0ES6_15HIP_vector_typeIjLj2EENS0_17counting_iteratorIjlEEPS9_SG_NS0_5tupleIJPjSI_NS0_16reverse_iteratorISI_EEEEENSH_IJSG_SG_SG_EEES9_SI_JZNS1_25segmented_radix_sort_implINS0_14default_configELb0EPKsPsPKlPlN2at6native12_GLOBAL__N_18offset_tEEE10hipError_tPvRmT1_PNSt15iterator_traitsIS12_E10value_typeET2_T3_PNS13_IS18_E10value_typeET4_jRbjT5_S1E_jjP12ihipStream_tbEUljE_ZNSN_ISO_Lb0ESQ_SR_ST_SU_SY_EESZ_S10_S11_S12_S16_S17_S18_S1B_S1C_jS1D_jS1E_S1E_jjS1G_bEUljE0_EEESZ_S10_S11_S18_S1C_S1E_T6_T7_T9_mT8_S1G_bDpT10_ENKUlT_T0_E_clISt17integral_constantIbLb0EES1U_EEDaS1P_S1Q_EUlS1P_E_NS1_11comp_targetILNS1_3genE8ELNS1_11target_archE1030ELNS1_3gpuE2ELNS1_3repE0EEENS1_30default_config_static_selectorELNS0_4arch9wavefront6targetE0EEEvS12_, .Lfunc_end957-_ZN7rocprim17ROCPRIM_400000_NS6detail17trampoline_kernelINS0_13select_configILj256ELj13ELNS0_17block_load_methodE3ELS4_3ELS4_3ELNS0_20block_scan_algorithmE0ELj4294967295EEENS1_25partition_config_selectorILNS1_17partition_subalgoE4EjNS0_10empty_typeEbEEZZNS1_14partition_implILS8_4ELb0ES6_15HIP_vector_typeIjLj2EENS0_17counting_iteratorIjlEEPS9_SG_NS0_5tupleIJPjSI_NS0_16reverse_iteratorISI_EEEEENSH_IJSG_SG_SG_EEES9_SI_JZNS1_25segmented_radix_sort_implINS0_14default_configELb0EPKsPsPKlPlN2at6native12_GLOBAL__N_18offset_tEEE10hipError_tPvRmT1_PNSt15iterator_traitsIS12_E10value_typeET2_T3_PNS13_IS18_E10value_typeET4_jRbjT5_S1E_jjP12ihipStream_tbEUljE_ZNSN_ISO_Lb0ESQ_SR_ST_SU_SY_EESZ_S10_S11_S12_S16_S17_S18_S1B_S1C_jS1D_jS1E_S1E_jjS1G_bEUljE0_EEESZ_S10_S11_S18_S1C_S1E_T6_T7_T9_mT8_S1G_bDpT10_ENKUlT_T0_E_clISt17integral_constantIbLb0EES1U_EEDaS1P_S1Q_EUlS1P_E_NS1_11comp_targetILNS1_3genE8ELNS1_11target_archE1030ELNS1_3gpuE2ELNS1_3repE0EEENS1_30default_config_static_selectorELNS0_4arch9wavefront6targetE0EEEvS12_
                                        ; -- End function
	.section	.AMDGPU.csdata,"",@progbits
; Kernel info:
; codeLenInByte = 0
; NumSgprs: 0
; NumVgprs: 0
; ScratchSize: 0
; MemoryBound: 0
; FloatMode: 240
; IeeeMode: 1
; LDSByteSize: 0 bytes/workgroup (compile time only)
; SGPRBlocks: 0
; VGPRBlocks: 0
; NumSGPRsForWavesPerEU: 1
; NumVGPRsForWavesPerEU: 1
; Occupancy: 16
; WaveLimiterHint : 0
; COMPUTE_PGM_RSRC2:SCRATCH_EN: 0
; COMPUTE_PGM_RSRC2:USER_SGPR: 15
; COMPUTE_PGM_RSRC2:TRAP_HANDLER: 0
; COMPUTE_PGM_RSRC2:TGID_X_EN: 1
; COMPUTE_PGM_RSRC2:TGID_Y_EN: 0
; COMPUTE_PGM_RSRC2:TGID_Z_EN: 0
; COMPUTE_PGM_RSRC2:TIDIG_COMP_CNT: 0
	.section	.text._ZN7rocprim17ROCPRIM_400000_NS6detail17trampoline_kernelINS0_13select_configILj256ELj13ELNS0_17block_load_methodE3ELS4_3ELS4_3ELNS0_20block_scan_algorithmE0ELj4294967295EEENS1_25partition_config_selectorILNS1_17partition_subalgoE4EjNS0_10empty_typeEbEEZZNS1_14partition_implILS8_4ELb0ES6_15HIP_vector_typeIjLj2EENS0_17counting_iteratorIjlEEPS9_SG_NS0_5tupleIJPjSI_NS0_16reverse_iteratorISI_EEEEENSH_IJSG_SG_SG_EEES9_SI_JZNS1_25segmented_radix_sort_implINS0_14default_configELb0EPKsPsPKlPlN2at6native12_GLOBAL__N_18offset_tEEE10hipError_tPvRmT1_PNSt15iterator_traitsIS12_E10value_typeET2_T3_PNS13_IS18_E10value_typeET4_jRbjT5_S1E_jjP12ihipStream_tbEUljE_ZNSN_ISO_Lb0ESQ_SR_ST_SU_SY_EESZ_S10_S11_S12_S16_S17_S18_S1B_S1C_jS1D_jS1E_S1E_jjS1G_bEUljE0_EEESZ_S10_S11_S18_S1C_S1E_T6_T7_T9_mT8_S1G_bDpT10_ENKUlT_T0_E_clISt17integral_constantIbLb1EES1U_EEDaS1P_S1Q_EUlS1P_E_NS1_11comp_targetILNS1_3genE0ELNS1_11target_archE4294967295ELNS1_3gpuE0ELNS1_3repE0EEENS1_30default_config_static_selectorELNS0_4arch9wavefront6targetE0EEEvS12_,"axG",@progbits,_ZN7rocprim17ROCPRIM_400000_NS6detail17trampoline_kernelINS0_13select_configILj256ELj13ELNS0_17block_load_methodE3ELS4_3ELS4_3ELNS0_20block_scan_algorithmE0ELj4294967295EEENS1_25partition_config_selectorILNS1_17partition_subalgoE4EjNS0_10empty_typeEbEEZZNS1_14partition_implILS8_4ELb0ES6_15HIP_vector_typeIjLj2EENS0_17counting_iteratorIjlEEPS9_SG_NS0_5tupleIJPjSI_NS0_16reverse_iteratorISI_EEEEENSH_IJSG_SG_SG_EEES9_SI_JZNS1_25segmented_radix_sort_implINS0_14default_configELb0EPKsPsPKlPlN2at6native12_GLOBAL__N_18offset_tEEE10hipError_tPvRmT1_PNSt15iterator_traitsIS12_E10value_typeET2_T3_PNS13_IS18_E10value_typeET4_jRbjT5_S1E_jjP12ihipStream_tbEUljE_ZNSN_ISO_Lb0ESQ_SR_ST_SU_SY_EESZ_S10_S11_S12_S16_S17_S18_S1B_S1C_jS1D_jS1E_S1E_jjS1G_bEUljE0_EEESZ_S10_S11_S18_S1C_S1E_T6_T7_T9_mT8_S1G_bDpT10_ENKUlT_T0_E_clISt17integral_constantIbLb1EES1U_EEDaS1P_S1Q_EUlS1P_E_NS1_11comp_targetILNS1_3genE0ELNS1_11target_archE4294967295ELNS1_3gpuE0ELNS1_3repE0EEENS1_30default_config_static_selectorELNS0_4arch9wavefront6targetE0EEEvS12_,comdat
	.globl	_ZN7rocprim17ROCPRIM_400000_NS6detail17trampoline_kernelINS0_13select_configILj256ELj13ELNS0_17block_load_methodE3ELS4_3ELS4_3ELNS0_20block_scan_algorithmE0ELj4294967295EEENS1_25partition_config_selectorILNS1_17partition_subalgoE4EjNS0_10empty_typeEbEEZZNS1_14partition_implILS8_4ELb0ES6_15HIP_vector_typeIjLj2EENS0_17counting_iteratorIjlEEPS9_SG_NS0_5tupleIJPjSI_NS0_16reverse_iteratorISI_EEEEENSH_IJSG_SG_SG_EEES9_SI_JZNS1_25segmented_radix_sort_implINS0_14default_configELb0EPKsPsPKlPlN2at6native12_GLOBAL__N_18offset_tEEE10hipError_tPvRmT1_PNSt15iterator_traitsIS12_E10value_typeET2_T3_PNS13_IS18_E10value_typeET4_jRbjT5_S1E_jjP12ihipStream_tbEUljE_ZNSN_ISO_Lb0ESQ_SR_ST_SU_SY_EESZ_S10_S11_S12_S16_S17_S18_S1B_S1C_jS1D_jS1E_S1E_jjS1G_bEUljE0_EEESZ_S10_S11_S18_S1C_S1E_T6_T7_T9_mT8_S1G_bDpT10_ENKUlT_T0_E_clISt17integral_constantIbLb1EES1U_EEDaS1P_S1Q_EUlS1P_E_NS1_11comp_targetILNS1_3genE0ELNS1_11target_archE4294967295ELNS1_3gpuE0ELNS1_3repE0EEENS1_30default_config_static_selectorELNS0_4arch9wavefront6targetE0EEEvS12_ ; -- Begin function _ZN7rocprim17ROCPRIM_400000_NS6detail17trampoline_kernelINS0_13select_configILj256ELj13ELNS0_17block_load_methodE3ELS4_3ELS4_3ELNS0_20block_scan_algorithmE0ELj4294967295EEENS1_25partition_config_selectorILNS1_17partition_subalgoE4EjNS0_10empty_typeEbEEZZNS1_14partition_implILS8_4ELb0ES6_15HIP_vector_typeIjLj2EENS0_17counting_iteratorIjlEEPS9_SG_NS0_5tupleIJPjSI_NS0_16reverse_iteratorISI_EEEEENSH_IJSG_SG_SG_EEES9_SI_JZNS1_25segmented_radix_sort_implINS0_14default_configELb0EPKsPsPKlPlN2at6native12_GLOBAL__N_18offset_tEEE10hipError_tPvRmT1_PNSt15iterator_traitsIS12_E10value_typeET2_T3_PNS13_IS18_E10value_typeET4_jRbjT5_S1E_jjP12ihipStream_tbEUljE_ZNSN_ISO_Lb0ESQ_SR_ST_SU_SY_EESZ_S10_S11_S12_S16_S17_S18_S1B_S1C_jS1D_jS1E_S1E_jjS1G_bEUljE0_EEESZ_S10_S11_S18_S1C_S1E_T6_T7_T9_mT8_S1G_bDpT10_ENKUlT_T0_E_clISt17integral_constantIbLb1EES1U_EEDaS1P_S1Q_EUlS1P_E_NS1_11comp_targetILNS1_3genE0ELNS1_11target_archE4294967295ELNS1_3gpuE0ELNS1_3repE0EEENS1_30default_config_static_selectorELNS0_4arch9wavefront6targetE0EEEvS12_
	.p2align	8
	.type	_ZN7rocprim17ROCPRIM_400000_NS6detail17trampoline_kernelINS0_13select_configILj256ELj13ELNS0_17block_load_methodE3ELS4_3ELS4_3ELNS0_20block_scan_algorithmE0ELj4294967295EEENS1_25partition_config_selectorILNS1_17partition_subalgoE4EjNS0_10empty_typeEbEEZZNS1_14partition_implILS8_4ELb0ES6_15HIP_vector_typeIjLj2EENS0_17counting_iteratorIjlEEPS9_SG_NS0_5tupleIJPjSI_NS0_16reverse_iteratorISI_EEEEENSH_IJSG_SG_SG_EEES9_SI_JZNS1_25segmented_radix_sort_implINS0_14default_configELb0EPKsPsPKlPlN2at6native12_GLOBAL__N_18offset_tEEE10hipError_tPvRmT1_PNSt15iterator_traitsIS12_E10value_typeET2_T3_PNS13_IS18_E10value_typeET4_jRbjT5_S1E_jjP12ihipStream_tbEUljE_ZNSN_ISO_Lb0ESQ_SR_ST_SU_SY_EESZ_S10_S11_S12_S16_S17_S18_S1B_S1C_jS1D_jS1E_S1E_jjS1G_bEUljE0_EEESZ_S10_S11_S18_S1C_S1E_T6_T7_T9_mT8_S1G_bDpT10_ENKUlT_T0_E_clISt17integral_constantIbLb1EES1U_EEDaS1P_S1Q_EUlS1P_E_NS1_11comp_targetILNS1_3genE0ELNS1_11target_archE4294967295ELNS1_3gpuE0ELNS1_3repE0EEENS1_30default_config_static_selectorELNS0_4arch9wavefront6targetE0EEEvS12_,@function
_ZN7rocprim17ROCPRIM_400000_NS6detail17trampoline_kernelINS0_13select_configILj256ELj13ELNS0_17block_load_methodE3ELS4_3ELS4_3ELNS0_20block_scan_algorithmE0ELj4294967295EEENS1_25partition_config_selectorILNS1_17partition_subalgoE4EjNS0_10empty_typeEbEEZZNS1_14partition_implILS8_4ELb0ES6_15HIP_vector_typeIjLj2EENS0_17counting_iteratorIjlEEPS9_SG_NS0_5tupleIJPjSI_NS0_16reverse_iteratorISI_EEEEENSH_IJSG_SG_SG_EEES9_SI_JZNS1_25segmented_radix_sort_implINS0_14default_configELb0EPKsPsPKlPlN2at6native12_GLOBAL__N_18offset_tEEE10hipError_tPvRmT1_PNSt15iterator_traitsIS12_E10value_typeET2_T3_PNS13_IS18_E10value_typeET4_jRbjT5_S1E_jjP12ihipStream_tbEUljE_ZNSN_ISO_Lb0ESQ_SR_ST_SU_SY_EESZ_S10_S11_S12_S16_S17_S18_S1B_S1C_jS1D_jS1E_S1E_jjS1G_bEUljE0_EEESZ_S10_S11_S18_S1C_S1E_T6_T7_T9_mT8_S1G_bDpT10_ENKUlT_T0_E_clISt17integral_constantIbLb1EES1U_EEDaS1P_S1Q_EUlS1P_E_NS1_11comp_targetILNS1_3genE0ELNS1_11target_archE4294967295ELNS1_3gpuE0ELNS1_3repE0EEENS1_30default_config_static_selectorELNS0_4arch9wavefront6targetE0EEEvS12_: ; @_ZN7rocprim17ROCPRIM_400000_NS6detail17trampoline_kernelINS0_13select_configILj256ELj13ELNS0_17block_load_methodE3ELS4_3ELS4_3ELNS0_20block_scan_algorithmE0ELj4294967295EEENS1_25partition_config_selectorILNS1_17partition_subalgoE4EjNS0_10empty_typeEbEEZZNS1_14partition_implILS8_4ELb0ES6_15HIP_vector_typeIjLj2EENS0_17counting_iteratorIjlEEPS9_SG_NS0_5tupleIJPjSI_NS0_16reverse_iteratorISI_EEEEENSH_IJSG_SG_SG_EEES9_SI_JZNS1_25segmented_radix_sort_implINS0_14default_configELb0EPKsPsPKlPlN2at6native12_GLOBAL__N_18offset_tEEE10hipError_tPvRmT1_PNSt15iterator_traitsIS12_E10value_typeET2_T3_PNS13_IS18_E10value_typeET4_jRbjT5_S1E_jjP12ihipStream_tbEUljE_ZNSN_ISO_Lb0ESQ_SR_ST_SU_SY_EESZ_S10_S11_S12_S16_S17_S18_S1B_S1C_jS1D_jS1E_S1E_jjS1G_bEUljE0_EEESZ_S10_S11_S18_S1C_S1E_T6_T7_T9_mT8_S1G_bDpT10_ENKUlT_T0_E_clISt17integral_constantIbLb1EES1U_EEDaS1P_S1Q_EUlS1P_E_NS1_11comp_targetILNS1_3genE0ELNS1_11target_archE4294967295ELNS1_3gpuE0ELNS1_3repE0EEENS1_30default_config_static_selectorELNS0_4arch9wavefront6targetE0EEEvS12_
; %bb.0:
	.section	.rodata,"a",@progbits
	.p2align	6, 0x0
	.amdhsa_kernel _ZN7rocprim17ROCPRIM_400000_NS6detail17trampoline_kernelINS0_13select_configILj256ELj13ELNS0_17block_load_methodE3ELS4_3ELS4_3ELNS0_20block_scan_algorithmE0ELj4294967295EEENS1_25partition_config_selectorILNS1_17partition_subalgoE4EjNS0_10empty_typeEbEEZZNS1_14partition_implILS8_4ELb0ES6_15HIP_vector_typeIjLj2EENS0_17counting_iteratorIjlEEPS9_SG_NS0_5tupleIJPjSI_NS0_16reverse_iteratorISI_EEEEENSH_IJSG_SG_SG_EEES9_SI_JZNS1_25segmented_radix_sort_implINS0_14default_configELb0EPKsPsPKlPlN2at6native12_GLOBAL__N_18offset_tEEE10hipError_tPvRmT1_PNSt15iterator_traitsIS12_E10value_typeET2_T3_PNS13_IS18_E10value_typeET4_jRbjT5_S1E_jjP12ihipStream_tbEUljE_ZNSN_ISO_Lb0ESQ_SR_ST_SU_SY_EESZ_S10_S11_S12_S16_S17_S18_S1B_S1C_jS1D_jS1E_S1E_jjS1G_bEUljE0_EEESZ_S10_S11_S18_S1C_S1E_T6_T7_T9_mT8_S1G_bDpT10_ENKUlT_T0_E_clISt17integral_constantIbLb1EES1U_EEDaS1P_S1Q_EUlS1P_E_NS1_11comp_targetILNS1_3genE0ELNS1_11target_archE4294967295ELNS1_3gpuE0ELNS1_3repE0EEENS1_30default_config_static_selectorELNS0_4arch9wavefront6targetE0EEEvS12_
		.amdhsa_group_segment_fixed_size 0
		.amdhsa_private_segment_fixed_size 0
		.amdhsa_kernarg_size 184
		.amdhsa_user_sgpr_count 15
		.amdhsa_user_sgpr_dispatch_ptr 0
		.amdhsa_user_sgpr_queue_ptr 0
		.amdhsa_user_sgpr_kernarg_segment_ptr 1
		.amdhsa_user_sgpr_dispatch_id 0
		.amdhsa_user_sgpr_private_segment_size 0
		.amdhsa_wavefront_size32 1
		.amdhsa_uses_dynamic_stack 0
		.amdhsa_enable_private_segment 0
		.amdhsa_system_sgpr_workgroup_id_x 1
		.amdhsa_system_sgpr_workgroup_id_y 0
		.amdhsa_system_sgpr_workgroup_id_z 0
		.amdhsa_system_sgpr_workgroup_info 0
		.amdhsa_system_vgpr_workitem_id 0
		.amdhsa_next_free_vgpr 1
		.amdhsa_next_free_sgpr 1
		.amdhsa_reserve_vcc 0
		.amdhsa_float_round_mode_32 0
		.amdhsa_float_round_mode_16_64 0
		.amdhsa_float_denorm_mode_32 3
		.amdhsa_float_denorm_mode_16_64 3
		.amdhsa_dx10_clamp 1
		.amdhsa_ieee_mode 1
		.amdhsa_fp16_overflow 0
		.amdhsa_workgroup_processor_mode 1
		.amdhsa_memory_ordered 1
		.amdhsa_forward_progress 0
		.amdhsa_shared_vgpr_count 0
		.amdhsa_exception_fp_ieee_invalid_op 0
		.amdhsa_exception_fp_denorm_src 0
		.amdhsa_exception_fp_ieee_div_zero 0
		.amdhsa_exception_fp_ieee_overflow 0
		.amdhsa_exception_fp_ieee_underflow 0
		.amdhsa_exception_fp_ieee_inexact 0
		.amdhsa_exception_int_div_zero 0
	.end_amdhsa_kernel
	.section	.text._ZN7rocprim17ROCPRIM_400000_NS6detail17trampoline_kernelINS0_13select_configILj256ELj13ELNS0_17block_load_methodE3ELS4_3ELS4_3ELNS0_20block_scan_algorithmE0ELj4294967295EEENS1_25partition_config_selectorILNS1_17partition_subalgoE4EjNS0_10empty_typeEbEEZZNS1_14partition_implILS8_4ELb0ES6_15HIP_vector_typeIjLj2EENS0_17counting_iteratorIjlEEPS9_SG_NS0_5tupleIJPjSI_NS0_16reverse_iteratorISI_EEEEENSH_IJSG_SG_SG_EEES9_SI_JZNS1_25segmented_radix_sort_implINS0_14default_configELb0EPKsPsPKlPlN2at6native12_GLOBAL__N_18offset_tEEE10hipError_tPvRmT1_PNSt15iterator_traitsIS12_E10value_typeET2_T3_PNS13_IS18_E10value_typeET4_jRbjT5_S1E_jjP12ihipStream_tbEUljE_ZNSN_ISO_Lb0ESQ_SR_ST_SU_SY_EESZ_S10_S11_S12_S16_S17_S18_S1B_S1C_jS1D_jS1E_S1E_jjS1G_bEUljE0_EEESZ_S10_S11_S18_S1C_S1E_T6_T7_T9_mT8_S1G_bDpT10_ENKUlT_T0_E_clISt17integral_constantIbLb1EES1U_EEDaS1P_S1Q_EUlS1P_E_NS1_11comp_targetILNS1_3genE0ELNS1_11target_archE4294967295ELNS1_3gpuE0ELNS1_3repE0EEENS1_30default_config_static_selectorELNS0_4arch9wavefront6targetE0EEEvS12_,"axG",@progbits,_ZN7rocprim17ROCPRIM_400000_NS6detail17trampoline_kernelINS0_13select_configILj256ELj13ELNS0_17block_load_methodE3ELS4_3ELS4_3ELNS0_20block_scan_algorithmE0ELj4294967295EEENS1_25partition_config_selectorILNS1_17partition_subalgoE4EjNS0_10empty_typeEbEEZZNS1_14partition_implILS8_4ELb0ES6_15HIP_vector_typeIjLj2EENS0_17counting_iteratorIjlEEPS9_SG_NS0_5tupleIJPjSI_NS0_16reverse_iteratorISI_EEEEENSH_IJSG_SG_SG_EEES9_SI_JZNS1_25segmented_radix_sort_implINS0_14default_configELb0EPKsPsPKlPlN2at6native12_GLOBAL__N_18offset_tEEE10hipError_tPvRmT1_PNSt15iterator_traitsIS12_E10value_typeET2_T3_PNS13_IS18_E10value_typeET4_jRbjT5_S1E_jjP12ihipStream_tbEUljE_ZNSN_ISO_Lb0ESQ_SR_ST_SU_SY_EESZ_S10_S11_S12_S16_S17_S18_S1B_S1C_jS1D_jS1E_S1E_jjS1G_bEUljE0_EEESZ_S10_S11_S18_S1C_S1E_T6_T7_T9_mT8_S1G_bDpT10_ENKUlT_T0_E_clISt17integral_constantIbLb1EES1U_EEDaS1P_S1Q_EUlS1P_E_NS1_11comp_targetILNS1_3genE0ELNS1_11target_archE4294967295ELNS1_3gpuE0ELNS1_3repE0EEENS1_30default_config_static_selectorELNS0_4arch9wavefront6targetE0EEEvS12_,comdat
.Lfunc_end958:
	.size	_ZN7rocprim17ROCPRIM_400000_NS6detail17trampoline_kernelINS0_13select_configILj256ELj13ELNS0_17block_load_methodE3ELS4_3ELS4_3ELNS0_20block_scan_algorithmE0ELj4294967295EEENS1_25partition_config_selectorILNS1_17partition_subalgoE4EjNS0_10empty_typeEbEEZZNS1_14partition_implILS8_4ELb0ES6_15HIP_vector_typeIjLj2EENS0_17counting_iteratorIjlEEPS9_SG_NS0_5tupleIJPjSI_NS0_16reverse_iteratorISI_EEEEENSH_IJSG_SG_SG_EEES9_SI_JZNS1_25segmented_radix_sort_implINS0_14default_configELb0EPKsPsPKlPlN2at6native12_GLOBAL__N_18offset_tEEE10hipError_tPvRmT1_PNSt15iterator_traitsIS12_E10value_typeET2_T3_PNS13_IS18_E10value_typeET4_jRbjT5_S1E_jjP12ihipStream_tbEUljE_ZNSN_ISO_Lb0ESQ_SR_ST_SU_SY_EESZ_S10_S11_S12_S16_S17_S18_S1B_S1C_jS1D_jS1E_S1E_jjS1G_bEUljE0_EEESZ_S10_S11_S18_S1C_S1E_T6_T7_T9_mT8_S1G_bDpT10_ENKUlT_T0_E_clISt17integral_constantIbLb1EES1U_EEDaS1P_S1Q_EUlS1P_E_NS1_11comp_targetILNS1_3genE0ELNS1_11target_archE4294967295ELNS1_3gpuE0ELNS1_3repE0EEENS1_30default_config_static_selectorELNS0_4arch9wavefront6targetE0EEEvS12_, .Lfunc_end958-_ZN7rocprim17ROCPRIM_400000_NS6detail17trampoline_kernelINS0_13select_configILj256ELj13ELNS0_17block_load_methodE3ELS4_3ELS4_3ELNS0_20block_scan_algorithmE0ELj4294967295EEENS1_25partition_config_selectorILNS1_17partition_subalgoE4EjNS0_10empty_typeEbEEZZNS1_14partition_implILS8_4ELb0ES6_15HIP_vector_typeIjLj2EENS0_17counting_iteratorIjlEEPS9_SG_NS0_5tupleIJPjSI_NS0_16reverse_iteratorISI_EEEEENSH_IJSG_SG_SG_EEES9_SI_JZNS1_25segmented_radix_sort_implINS0_14default_configELb0EPKsPsPKlPlN2at6native12_GLOBAL__N_18offset_tEEE10hipError_tPvRmT1_PNSt15iterator_traitsIS12_E10value_typeET2_T3_PNS13_IS18_E10value_typeET4_jRbjT5_S1E_jjP12ihipStream_tbEUljE_ZNSN_ISO_Lb0ESQ_SR_ST_SU_SY_EESZ_S10_S11_S12_S16_S17_S18_S1B_S1C_jS1D_jS1E_S1E_jjS1G_bEUljE0_EEESZ_S10_S11_S18_S1C_S1E_T6_T7_T9_mT8_S1G_bDpT10_ENKUlT_T0_E_clISt17integral_constantIbLb1EES1U_EEDaS1P_S1Q_EUlS1P_E_NS1_11comp_targetILNS1_3genE0ELNS1_11target_archE4294967295ELNS1_3gpuE0ELNS1_3repE0EEENS1_30default_config_static_selectorELNS0_4arch9wavefront6targetE0EEEvS12_
                                        ; -- End function
	.section	.AMDGPU.csdata,"",@progbits
; Kernel info:
; codeLenInByte = 0
; NumSgprs: 0
; NumVgprs: 0
; ScratchSize: 0
; MemoryBound: 0
; FloatMode: 240
; IeeeMode: 1
; LDSByteSize: 0 bytes/workgroup (compile time only)
; SGPRBlocks: 0
; VGPRBlocks: 0
; NumSGPRsForWavesPerEU: 1
; NumVGPRsForWavesPerEU: 1
; Occupancy: 16
; WaveLimiterHint : 0
; COMPUTE_PGM_RSRC2:SCRATCH_EN: 0
; COMPUTE_PGM_RSRC2:USER_SGPR: 15
; COMPUTE_PGM_RSRC2:TRAP_HANDLER: 0
; COMPUTE_PGM_RSRC2:TGID_X_EN: 1
; COMPUTE_PGM_RSRC2:TGID_Y_EN: 0
; COMPUTE_PGM_RSRC2:TGID_Z_EN: 0
; COMPUTE_PGM_RSRC2:TIDIG_COMP_CNT: 0
	.section	.text._ZN7rocprim17ROCPRIM_400000_NS6detail17trampoline_kernelINS0_13select_configILj256ELj13ELNS0_17block_load_methodE3ELS4_3ELS4_3ELNS0_20block_scan_algorithmE0ELj4294967295EEENS1_25partition_config_selectorILNS1_17partition_subalgoE4EjNS0_10empty_typeEbEEZZNS1_14partition_implILS8_4ELb0ES6_15HIP_vector_typeIjLj2EENS0_17counting_iteratorIjlEEPS9_SG_NS0_5tupleIJPjSI_NS0_16reverse_iteratorISI_EEEEENSH_IJSG_SG_SG_EEES9_SI_JZNS1_25segmented_radix_sort_implINS0_14default_configELb0EPKsPsPKlPlN2at6native12_GLOBAL__N_18offset_tEEE10hipError_tPvRmT1_PNSt15iterator_traitsIS12_E10value_typeET2_T3_PNS13_IS18_E10value_typeET4_jRbjT5_S1E_jjP12ihipStream_tbEUljE_ZNSN_ISO_Lb0ESQ_SR_ST_SU_SY_EESZ_S10_S11_S12_S16_S17_S18_S1B_S1C_jS1D_jS1E_S1E_jjS1G_bEUljE0_EEESZ_S10_S11_S18_S1C_S1E_T6_T7_T9_mT8_S1G_bDpT10_ENKUlT_T0_E_clISt17integral_constantIbLb1EES1U_EEDaS1P_S1Q_EUlS1P_E_NS1_11comp_targetILNS1_3genE5ELNS1_11target_archE942ELNS1_3gpuE9ELNS1_3repE0EEENS1_30default_config_static_selectorELNS0_4arch9wavefront6targetE0EEEvS12_,"axG",@progbits,_ZN7rocprim17ROCPRIM_400000_NS6detail17trampoline_kernelINS0_13select_configILj256ELj13ELNS0_17block_load_methodE3ELS4_3ELS4_3ELNS0_20block_scan_algorithmE0ELj4294967295EEENS1_25partition_config_selectorILNS1_17partition_subalgoE4EjNS0_10empty_typeEbEEZZNS1_14partition_implILS8_4ELb0ES6_15HIP_vector_typeIjLj2EENS0_17counting_iteratorIjlEEPS9_SG_NS0_5tupleIJPjSI_NS0_16reverse_iteratorISI_EEEEENSH_IJSG_SG_SG_EEES9_SI_JZNS1_25segmented_radix_sort_implINS0_14default_configELb0EPKsPsPKlPlN2at6native12_GLOBAL__N_18offset_tEEE10hipError_tPvRmT1_PNSt15iterator_traitsIS12_E10value_typeET2_T3_PNS13_IS18_E10value_typeET4_jRbjT5_S1E_jjP12ihipStream_tbEUljE_ZNSN_ISO_Lb0ESQ_SR_ST_SU_SY_EESZ_S10_S11_S12_S16_S17_S18_S1B_S1C_jS1D_jS1E_S1E_jjS1G_bEUljE0_EEESZ_S10_S11_S18_S1C_S1E_T6_T7_T9_mT8_S1G_bDpT10_ENKUlT_T0_E_clISt17integral_constantIbLb1EES1U_EEDaS1P_S1Q_EUlS1P_E_NS1_11comp_targetILNS1_3genE5ELNS1_11target_archE942ELNS1_3gpuE9ELNS1_3repE0EEENS1_30default_config_static_selectorELNS0_4arch9wavefront6targetE0EEEvS12_,comdat
	.globl	_ZN7rocprim17ROCPRIM_400000_NS6detail17trampoline_kernelINS0_13select_configILj256ELj13ELNS0_17block_load_methodE3ELS4_3ELS4_3ELNS0_20block_scan_algorithmE0ELj4294967295EEENS1_25partition_config_selectorILNS1_17partition_subalgoE4EjNS0_10empty_typeEbEEZZNS1_14partition_implILS8_4ELb0ES6_15HIP_vector_typeIjLj2EENS0_17counting_iteratorIjlEEPS9_SG_NS0_5tupleIJPjSI_NS0_16reverse_iteratorISI_EEEEENSH_IJSG_SG_SG_EEES9_SI_JZNS1_25segmented_radix_sort_implINS0_14default_configELb0EPKsPsPKlPlN2at6native12_GLOBAL__N_18offset_tEEE10hipError_tPvRmT1_PNSt15iterator_traitsIS12_E10value_typeET2_T3_PNS13_IS18_E10value_typeET4_jRbjT5_S1E_jjP12ihipStream_tbEUljE_ZNSN_ISO_Lb0ESQ_SR_ST_SU_SY_EESZ_S10_S11_S12_S16_S17_S18_S1B_S1C_jS1D_jS1E_S1E_jjS1G_bEUljE0_EEESZ_S10_S11_S18_S1C_S1E_T6_T7_T9_mT8_S1G_bDpT10_ENKUlT_T0_E_clISt17integral_constantIbLb1EES1U_EEDaS1P_S1Q_EUlS1P_E_NS1_11comp_targetILNS1_3genE5ELNS1_11target_archE942ELNS1_3gpuE9ELNS1_3repE0EEENS1_30default_config_static_selectorELNS0_4arch9wavefront6targetE0EEEvS12_ ; -- Begin function _ZN7rocprim17ROCPRIM_400000_NS6detail17trampoline_kernelINS0_13select_configILj256ELj13ELNS0_17block_load_methodE3ELS4_3ELS4_3ELNS0_20block_scan_algorithmE0ELj4294967295EEENS1_25partition_config_selectorILNS1_17partition_subalgoE4EjNS0_10empty_typeEbEEZZNS1_14partition_implILS8_4ELb0ES6_15HIP_vector_typeIjLj2EENS0_17counting_iteratorIjlEEPS9_SG_NS0_5tupleIJPjSI_NS0_16reverse_iteratorISI_EEEEENSH_IJSG_SG_SG_EEES9_SI_JZNS1_25segmented_radix_sort_implINS0_14default_configELb0EPKsPsPKlPlN2at6native12_GLOBAL__N_18offset_tEEE10hipError_tPvRmT1_PNSt15iterator_traitsIS12_E10value_typeET2_T3_PNS13_IS18_E10value_typeET4_jRbjT5_S1E_jjP12ihipStream_tbEUljE_ZNSN_ISO_Lb0ESQ_SR_ST_SU_SY_EESZ_S10_S11_S12_S16_S17_S18_S1B_S1C_jS1D_jS1E_S1E_jjS1G_bEUljE0_EEESZ_S10_S11_S18_S1C_S1E_T6_T7_T9_mT8_S1G_bDpT10_ENKUlT_T0_E_clISt17integral_constantIbLb1EES1U_EEDaS1P_S1Q_EUlS1P_E_NS1_11comp_targetILNS1_3genE5ELNS1_11target_archE942ELNS1_3gpuE9ELNS1_3repE0EEENS1_30default_config_static_selectorELNS0_4arch9wavefront6targetE0EEEvS12_
	.p2align	8
	.type	_ZN7rocprim17ROCPRIM_400000_NS6detail17trampoline_kernelINS0_13select_configILj256ELj13ELNS0_17block_load_methodE3ELS4_3ELS4_3ELNS0_20block_scan_algorithmE0ELj4294967295EEENS1_25partition_config_selectorILNS1_17partition_subalgoE4EjNS0_10empty_typeEbEEZZNS1_14partition_implILS8_4ELb0ES6_15HIP_vector_typeIjLj2EENS0_17counting_iteratorIjlEEPS9_SG_NS0_5tupleIJPjSI_NS0_16reverse_iteratorISI_EEEEENSH_IJSG_SG_SG_EEES9_SI_JZNS1_25segmented_radix_sort_implINS0_14default_configELb0EPKsPsPKlPlN2at6native12_GLOBAL__N_18offset_tEEE10hipError_tPvRmT1_PNSt15iterator_traitsIS12_E10value_typeET2_T3_PNS13_IS18_E10value_typeET4_jRbjT5_S1E_jjP12ihipStream_tbEUljE_ZNSN_ISO_Lb0ESQ_SR_ST_SU_SY_EESZ_S10_S11_S12_S16_S17_S18_S1B_S1C_jS1D_jS1E_S1E_jjS1G_bEUljE0_EEESZ_S10_S11_S18_S1C_S1E_T6_T7_T9_mT8_S1G_bDpT10_ENKUlT_T0_E_clISt17integral_constantIbLb1EES1U_EEDaS1P_S1Q_EUlS1P_E_NS1_11comp_targetILNS1_3genE5ELNS1_11target_archE942ELNS1_3gpuE9ELNS1_3repE0EEENS1_30default_config_static_selectorELNS0_4arch9wavefront6targetE0EEEvS12_,@function
_ZN7rocprim17ROCPRIM_400000_NS6detail17trampoline_kernelINS0_13select_configILj256ELj13ELNS0_17block_load_methodE3ELS4_3ELS4_3ELNS0_20block_scan_algorithmE0ELj4294967295EEENS1_25partition_config_selectorILNS1_17partition_subalgoE4EjNS0_10empty_typeEbEEZZNS1_14partition_implILS8_4ELb0ES6_15HIP_vector_typeIjLj2EENS0_17counting_iteratorIjlEEPS9_SG_NS0_5tupleIJPjSI_NS0_16reverse_iteratorISI_EEEEENSH_IJSG_SG_SG_EEES9_SI_JZNS1_25segmented_radix_sort_implINS0_14default_configELb0EPKsPsPKlPlN2at6native12_GLOBAL__N_18offset_tEEE10hipError_tPvRmT1_PNSt15iterator_traitsIS12_E10value_typeET2_T3_PNS13_IS18_E10value_typeET4_jRbjT5_S1E_jjP12ihipStream_tbEUljE_ZNSN_ISO_Lb0ESQ_SR_ST_SU_SY_EESZ_S10_S11_S12_S16_S17_S18_S1B_S1C_jS1D_jS1E_S1E_jjS1G_bEUljE0_EEESZ_S10_S11_S18_S1C_S1E_T6_T7_T9_mT8_S1G_bDpT10_ENKUlT_T0_E_clISt17integral_constantIbLb1EES1U_EEDaS1P_S1Q_EUlS1P_E_NS1_11comp_targetILNS1_3genE5ELNS1_11target_archE942ELNS1_3gpuE9ELNS1_3repE0EEENS1_30default_config_static_selectorELNS0_4arch9wavefront6targetE0EEEvS12_: ; @_ZN7rocprim17ROCPRIM_400000_NS6detail17trampoline_kernelINS0_13select_configILj256ELj13ELNS0_17block_load_methodE3ELS4_3ELS4_3ELNS0_20block_scan_algorithmE0ELj4294967295EEENS1_25partition_config_selectorILNS1_17partition_subalgoE4EjNS0_10empty_typeEbEEZZNS1_14partition_implILS8_4ELb0ES6_15HIP_vector_typeIjLj2EENS0_17counting_iteratorIjlEEPS9_SG_NS0_5tupleIJPjSI_NS0_16reverse_iteratorISI_EEEEENSH_IJSG_SG_SG_EEES9_SI_JZNS1_25segmented_radix_sort_implINS0_14default_configELb0EPKsPsPKlPlN2at6native12_GLOBAL__N_18offset_tEEE10hipError_tPvRmT1_PNSt15iterator_traitsIS12_E10value_typeET2_T3_PNS13_IS18_E10value_typeET4_jRbjT5_S1E_jjP12ihipStream_tbEUljE_ZNSN_ISO_Lb0ESQ_SR_ST_SU_SY_EESZ_S10_S11_S12_S16_S17_S18_S1B_S1C_jS1D_jS1E_S1E_jjS1G_bEUljE0_EEESZ_S10_S11_S18_S1C_S1E_T6_T7_T9_mT8_S1G_bDpT10_ENKUlT_T0_E_clISt17integral_constantIbLb1EES1U_EEDaS1P_S1Q_EUlS1P_E_NS1_11comp_targetILNS1_3genE5ELNS1_11target_archE942ELNS1_3gpuE9ELNS1_3repE0EEENS1_30default_config_static_selectorELNS0_4arch9wavefront6targetE0EEEvS12_
; %bb.0:
	.section	.rodata,"a",@progbits
	.p2align	6, 0x0
	.amdhsa_kernel _ZN7rocprim17ROCPRIM_400000_NS6detail17trampoline_kernelINS0_13select_configILj256ELj13ELNS0_17block_load_methodE3ELS4_3ELS4_3ELNS0_20block_scan_algorithmE0ELj4294967295EEENS1_25partition_config_selectorILNS1_17partition_subalgoE4EjNS0_10empty_typeEbEEZZNS1_14partition_implILS8_4ELb0ES6_15HIP_vector_typeIjLj2EENS0_17counting_iteratorIjlEEPS9_SG_NS0_5tupleIJPjSI_NS0_16reverse_iteratorISI_EEEEENSH_IJSG_SG_SG_EEES9_SI_JZNS1_25segmented_radix_sort_implINS0_14default_configELb0EPKsPsPKlPlN2at6native12_GLOBAL__N_18offset_tEEE10hipError_tPvRmT1_PNSt15iterator_traitsIS12_E10value_typeET2_T3_PNS13_IS18_E10value_typeET4_jRbjT5_S1E_jjP12ihipStream_tbEUljE_ZNSN_ISO_Lb0ESQ_SR_ST_SU_SY_EESZ_S10_S11_S12_S16_S17_S18_S1B_S1C_jS1D_jS1E_S1E_jjS1G_bEUljE0_EEESZ_S10_S11_S18_S1C_S1E_T6_T7_T9_mT8_S1G_bDpT10_ENKUlT_T0_E_clISt17integral_constantIbLb1EES1U_EEDaS1P_S1Q_EUlS1P_E_NS1_11comp_targetILNS1_3genE5ELNS1_11target_archE942ELNS1_3gpuE9ELNS1_3repE0EEENS1_30default_config_static_selectorELNS0_4arch9wavefront6targetE0EEEvS12_
		.amdhsa_group_segment_fixed_size 0
		.amdhsa_private_segment_fixed_size 0
		.amdhsa_kernarg_size 184
		.amdhsa_user_sgpr_count 15
		.amdhsa_user_sgpr_dispatch_ptr 0
		.amdhsa_user_sgpr_queue_ptr 0
		.amdhsa_user_sgpr_kernarg_segment_ptr 1
		.amdhsa_user_sgpr_dispatch_id 0
		.amdhsa_user_sgpr_private_segment_size 0
		.amdhsa_wavefront_size32 1
		.amdhsa_uses_dynamic_stack 0
		.amdhsa_enable_private_segment 0
		.amdhsa_system_sgpr_workgroup_id_x 1
		.amdhsa_system_sgpr_workgroup_id_y 0
		.amdhsa_system_sgpr_workgroup_id_z 0
		.amdhsa_system_sgpr_workgroup_info 0
		.amdhsa_system_vgpr_workitem_id 0
		.amdhsa_next_free_vgpr 1
		.amdhsa_next_free_sgpr 1
		.amdhsa_reserve_vcc 0
		.amdhsa_float_round_mode_32 0
		.amdhsa_float_round_mode_16_64 0
		.amdhsa_float_denorm_mode_32 3
		.amdhsa_float_denorm_mode_16_64 3
		.amdhsa_dx10_clamp 1
		.amdhsa_ieee_mode 1
		.amdhsa_fp16_overflow 0
		.amdhsa_workgroup_processor_mode 1
		.amdhsa_memory_ordered 1
		.amdhsa_forward_progress 0
		.amdhsa_shared_vgpr_count 0
		.amdhsa_exception_fp_ieee_invalid_op 0
		.amdhsa_exception_fp_denorm_src 0
		.amdhsa_exception_fp_ieee_div_zero 0
		.amdhsa_exception_fp_ieee_overflow 0
		.amdhsa_exception_fp_ieee_underflow 0
		.amdhsa_exception_fp_ieee_inexact 0
		.amdhsa_exception_int_div_zero 0
	.end_amdhsa_kernel
	.section	.text._ZN7rocprim17ROCPRIM_400000_NS6detail17trampoline_kernelINS0_13select_configILj256ELj13ELNS0_17block_load_methodE3ELS4_3ELS4_3ELNS0_20block_scan_algorithmE0ELj4294967295EEENS1_25partition_config_selectorILNS1_17partition_subalgoE4EjNS0_10empty_typeEbEEZZNS1_14partition_implILS8_4ELb0ES6_15HIP_vector_typeIjLj2EENS0_17counting_iteratorIjlEEPS9_SG_NS0_5tupleIJPjSI_NS0_16reverse_iteratorISI_EEEEENSH_IJSG_SG_SG_EEES9_SI_JZNS1_25segmented_radix_sort_implINS0_14default_configELb0EPKsPsPKlPlN2at6native12_GLOBAL__N_18offset_tEEE10hipError_tPvRmT1_PNSt15iterator_traitsIS12_E10value_typeET2_T3_PNS13_IS18_E10value_typeET4_jRbjT5_S1E_jjP12ihipStream_tbEUljE_ZNSN_ISO_Lb0ESQ_SR_ST_SU_SY_EESZ_S10_S11_S12_S16_S17_S18_S1B_S1C_jS1D_jS1E_S1E_jjS1G_bEUljE0_EEESZ_S10_S11_S18_S1C_S1E_T6_T7_T9_mT8_S1G_bDpT10_ENKUlT_T0_E_clISt17integral_constantIbLb1EES1U_EEDaS1P_S1Q_EUlS1P_E_NS1_11comp_targetILNS1_3genE5ELNS1_11target_archE942ELNS1_3gpuE9ELNS1_3repE0EEENS1_30default_config_static_selectorELNS0_4arch9wavefront6targetE0EEEvS12_,"axG",@progbits,_ZN7rocprim17ROCPRIM_400000_NS6detail17trampoline_kernelINS0_13select_configILj256ELj13ELNS0_17block_load_methodE3ELS4_3ELS4_3ELNS0_20block_scan_algorithmE0ELj4294967295EEENS1_25partition_config_selectorILNS1_17partition_subalgoE4EjNS0_10empty_typeEbEEZZNS1_14partition_implILS8_4ELb0ES6_15HIP_vector_typeIjLj2EENS0_17counting_iteratorIjlEEPS9_SG_NS0_5tupleIJPjSI_NS0_16reverse_iteratorISI_EEEEENSH_IJSG_SG_SG_EEES9_SI_JZNS1_25segmented_radix_sort_implINS0_14default_configELb0EPKsPsPKlPlN2at6native12_GLOBAL__N_18offset_tEEE10hipError_tPvRmT1_PNSt15iterator_traitsIS12_E10value_typeET2_T3_PNS13_IS18_E10value_typeET4_jRbjT5_S1E_jjP12ihipStream_tbEUljE_ZNSN_ISO_Lb0ESQ_SR_ST_SU_SY_EESZ_S10_S11_S12_S16_S17_S18_S1B_S1C_jS1D_jS1E_S1E_jjS1G_bEUljE0_EEESZ_S10_S11_S18_S1C_S1E_T6_T7_T9_mT8_S1G_bDpT10_ENKUlT_T0_E_clISt17integral_constantIbLb1EES1U_EEDaS1P_S1Q_EUlS1P_E_NS1_11comp_targetILNS1_3genE5ELNS1_11target_archE942ELNS1_3gpuE9ELNS1_3repE0EEENS1_30default_config_static_selectorELNS0_4arch9wavefront6targetE0EEEvS12_,comdat
.Lfunc_end959:
	.size	_ZN7rocprim17ROCPRIM_400000_NS6detail17trampoline_kernelINS0_13select_configILj256ELj13ELNS0_17block_load_methodE3ELS4_3ELS4_3ELNS0_20block_scan_algorithmE0ELj4294967295EEENS1_25partition_config_selectorILNS1_17partition_subalgoE4EjNS0_10empty_typeEbEEZZNS1_14partition_implILS8_4ELb0ES6_15HIP_vector_typeIjLj2EENS0_17counting_iteratorIjlEEPS9_SG_NS0_5tupleIJPjSI_NS0_16reverse_iteratorISI_EEEEENSH_IJSG_SG_SG_EEES9_SI_JZNS1_25segmented_radix_sort_implINS0_14default_configELb0EPKsPsPKlPlN2at6native12_GLOBAL__N_18offset_tEEE10hipError_tPvRmT1_PNSt15iterator_traitsIS12_E10value_typeET2_T3_PNS13_IS18_E10value_typeET4_jRbjT5_S1E_jjP12ihipStream_tbEUljE_ZNSN_ISO_Lb0ESQ_SR_ST_SU_SY_EESZ_S10_S11_S12_S16_S17_S18_S1B_S1C_jS1D_jS1E_S1E_jjS1G_bEUljE0_EEESZ_S10_S11_S18_S1C_S1E_T6_T7_T9_mT8_S1G_bDpT10_ENKUlT_T0_E_clISt17integral_constantIbLb1EES1U_EEDaS1P_S1Q_EUlS1P_E_NS1_11comp_targetILNS1_3genE5ELNS1_11target_archE942ELNS1_3gpuE9ELNS1_3repE0EEENS1_30default_config_static_selectorELNS0_4arch9wavefront6targetE0EEEvS12_, .Lfunc_end959-_ZN7rocprim17ROCPRIM_400000_NS6detail17trampoline_kernelINS0_13select_configILj256ELj13ELNS0_17block_load_methodE3ELS4_3ELS4_3ELNS0_20block_scan_algorithmE0ELj4294967295EEENS1_25partition_config_selectorILNS1_17partition_subalgoE4EjNS0_10empty_typeEbEEZZNS1_14partition_implILS8_4ELb0ES6_15HIP_vector_typeIjLj2EENS0_17counting_iteratorIjlEEPS9_SG_NS0_5tupleIJPjSI_NS0_16reverse_iteratorISI_EEEEENSH_IJSG_SG_SG_EEES9_SI_JZNS1_25segmented_radix_sort_implINS0_14default_configELb0EPKsPsPKlPlN2at6native12_GLOBAL__N_18offset_tEEE10hipError_tPvRmT1_PNSt15iterator_traitsIS12_E10value_typeET2_T3_PNS13_IS18_E10value_typeET4_jRbjT5_S1E_jjP12ihipStream_tbEUljE_ZNSN_ISO_Lb0ESQ_SR_ST_SU_SY_EESZ_S10_S11_S12_S16_S17_S18_S1B_S1C_jS1D_jS1E_S1E_jjS1G_bEUljE0_EEESZ_S10_S11_S18_S1C_S1E_T6_T7_T9_mT8_S1G_bDpT10_ENKUlT_T0_E_clISt17integral_constantIbLb1EES1U_EEDaS1P_S1Q_EUlS1P_E_NS1_11comp_targetILNS1_3genE5ELNS1_11target_archE942ELNS1_3gpuE9ELNS1_3repE0EEENS1_30default_config_static_selectorELNS0_4arch9wavefront6targetE0EEEvS12_
                                        ; -- End function
	.section	.AMDGPU.csdata,"",@progbits
; Kernel info:
; codeLenInByte = 0
; NumSgprs: 0
; NumVgprs: 0
; ScratchSize: 0
; MemoryBound: 0
; FloatMode: 240
; IeeeMode: 1
; LDSByteSize: 0 bytes/workgroup (compile time only)
; SGPRBlocks: 0
; VGPRBlocks: 0
; NumSGPRsForWavesPerEU: 1
; NumVGPRsForWavesPerEU: 1
; Occupancy: 16
; WaveLimiterHint : 0
; COMPUTE_PGM_RSRC2:SCRATCH_EN: 0
; COMPUTE_PGM_RSRC2:USER_SGPR: 15
; COMPUTE_PGM_RSRC2:TRAP_HANDLER: 0
; COMPUTE_PGM_RSRC2:TGID_X_EN: 1
; COMPUTE_PGM_RSRC2:TGID_Y_EN: 0
; COMPUTE_PGM_RSRC2:TGID_Z_EN: 0
; COMPUTE_PGM_RSRC2:TIDIG_COMP_CNT: 0
	.section	.text._ZN7rocprim17ROCPRIM_400000_NS6detail17trampoline_kernelINS0_13select_configILj256ELj13ELNS0_17block_load_methodE3ELS4_3ELS4_3ELNS0_20block_scan_algorithmE0ELj4294967295EEENS1_25partition_config_selectorILNS1_17partition_subalgoE4EjNS0_10empty_typeEbEEZZNS1_14partition_implILS8_4ELb0ES6_15HIP_vector_typeIjLj2EENS0_17counting_iteratorIjlEEPS9_SG_NS0_5tupleIJPjSI_NS0_16reverse_iteratorISI_EEEEENSH_IJSG_SG_SG_EEES9_SI_JZNS1_25segmented_radix_sort_implINS0_14default_configELb0EPKsPsPKlPlN2at6native12_GLOBAL__N_18offset_tEEE10hipError_tPvRmT1_PNSt15iterator_traitsIS12_E10value_typeET2_T3_PNS13_IS18_E10value_typeET4_jRbjT5_S1E_jjP12ihipStream_tbEUljE_ZNSN_ISO_Lb0ESQ_SR_ST_SU_SY_EESZ_S10_S11_S12_S16_S17_S18_S1B_S1C_jS1D_jS1E_S1E_jjS1G_bEUljE0_EEESZ_S10_S11_S18_S1C_S1E_T6_T7_T9_mT8_S1G_bDpT10_ENKUlT_T0_E_clISt17integral_constantIbLb1EES1U_EEDaS1P_S1Q_EUlS1P_E_NS1_11comp_targetILNS1_3genE4ELNS1_11target_archE910ELNS1_3gpuE8ELNS1_3repE0EEENS1_30default_config_static_selectorELNS0_4arch9wavefront6targetE0EEEvS12_,"axG",@progbits,_ZN7rocprim17ROCPRIM_400000_NS6detail17trampoline_kernelINS0_13select_configILj256ELj13ELNS0_17block_load_methodE3ELS4_3ELS4_3ELNS0_20block_scan_algorithmE0ELj4294967295EEENS1_25partition_config_selectorILNS1_17partition_subalgoE4EjNS0_10empty_typeEbEEZZNS1_14partition_implILS8_4ELb0ES6_15HIP_vector_typeIjLj2EENS0_17counting_iteratorIjlEEPS9_SG_NS0_5tupleIJPjSI_NS0_16reverse_iteratorISI_EEEEENSH_IJSG_SG_SG_EEES9_SI_JZNS1_25segmented_radix_sort_implINS0_14default_configELb0EPKsPsPKlPlN2at6native12_GLOBAL__N_18offset_tEEE10hipError_tPvRmT1_PNSt15iterator_traitsIS12_E10value_typeET2_T3_PNS13_IS18_E10value_typeET4_jRbjT5_S1E_jjP12ihipStream_tbEUljE_ZNSN_ISO_Lb0ESQ_SR_ST_SU_SY_EESZ_S10_S11_S12_S16_S17_S18_S1B_S1C_jS1D_jS1E_S1E_jjS1G_bEUljE0_EEESZ_S10_S11_S18_S1C_S1E_T6_T7_T9_mT8_S1G_bDpT10_ENKUlT_T0_E_clISt17integral_constantIbLb1EES1U_EEDaS1P_S1Q_EUlS1P_E_NS1_11comp_targetILNS1_3genE4ELNS1_11target_archE910ELNS1_3gpuE8ELNS1_3repE0EEENS1_30default_config_static_selectorELNS0_4arch9wavefront6targetE0EEEvS12_,comdat
	.globl	_ZN7rocprim17ROCPRIM_400000_NS6detail17trampoline_kernelINS0_13select_configILj256ELj13ELNS0_17block_load_methodE3ELS4_3ELS4_3ELNS0_20block_scan_algorithmE0ELj4294967295EEENS1_25partition_config_selectorILNS1_17partition_subalgoE4EjNS0_10empty_typeEbEEZZNS1_14partition_implILS8_4ELb0ES6_15HIP_vector_typeIjLj2EENS0_17counting_iteratorIjlEEPS9_SG_NS0_5tupleIJPjSI_NS0_16reverse_iteratorISI_EEEEENSH_IJSG_SG_SG_EEES9_SI_JZNS1_25segmented_radix_sort_implINS0_14default_configELb0EPKsPsPKlPlN2at6native12_GLOBAL__N_18offset_tEEE10hipError_tPvRmT1_PNSt15iterator_traitsIS12_E10value_typeET2_T3_PNS13_IS18_E10value_typeET4_jRbjT5_S1E_jjP12ihipStream_tbEUljE_ZNSN_ISO_Lb0ESQ_SR_ST_SU_SY_EESZ_S10_S11_S12_S16_S17_S18_S1B_S1C_jS1D_jS1E_S1E_jjS1G_bEUljE0_EEESZ_S10_S11_S18_S1C_S1E_T6_T7_T9_mT8_S1G_bDpT10_ENKUlT_T0_E_clISt17integral_constantIbLb1EES1U_EEDaS1P_S1Q_EUlS1P_E_NS1_11comp_targetILNS1_3genE4ELNS1_11target_archE910ELNS1_3gpuE8ELNS1_3repE0EEENS1_30default_config_static_selectorELNS0_4arch9wavefront6targetE0EEEvS12_ ; -- Begin function _ZN7rocprim17ROCPRIM_400000_NS6detail17trampoline_kernelINS0_13select_configILj256ELj13ELNS0_17block_load_methodE3ELS4_3ELS4_3ELNS0_20block_scan_algorithmE0ELj4294967295EEENS1_25partition_config_selectorILNS1_17partition_subalgoE4EjNS0_10empty_typeEbEEZZNS1_14partition_implILS8_4ELb0ES6_15HIP_vector_typeIjLj2EENS0_17counting_iteratorIjlEEPS9_SG_NS0_5tupleIJPjSI_NS0_16reverse_iteratorISI_EEEEENSH_IJSG_SG_SG_EEES9_SI_JZNS1_25segmented_radix_sort_implINS0_14default_configELb0EPKsPsPKlPlN2at6native12_GLOBAL__N_18offset_tEEE10hipError_tPvRmT1_PNSt15iterator_traitsIS12_E10value_typeET2_T3_PNS13_IS18_E10value_typeET4_jRbjT5_S1E_jjP12ihipStream_tbEUljE_ZNSN_ISO_Lb0ESQ_SR_ST_SU_SY_EESZ_S10_S11_S12_S16_S17_S18_S1B_S1C_jS1D_jS1E_S1E_jjS1G_bEUljE0_EEESZ_S10_S11_S18_S1C_S1E_T6_T7_T9_mT8_S1G_bDpT10_ENKUlT_T0_E_clISt17integral_constantIbLb1EES1U_EEDaS1P_S1Q_EUlS1P_E_NS1_11comp_targetILNS1_3genE4ELNS1_11target_archE910ELNS1_3gpuE8ELNS1_3repE0EEENS1_30default_config_static_selectorELNS0_4arch9wavefront6targetE0EEEvS12_
	.p2align	8
	.type	_ZN7rocprim17ROCPRIM_400000_NS6detail17trampoline_kernelINS0_13select_configILj256ELj13ELNS0_17block_load_methodE3ELS4_3ELS4_3ELNS0_20block_scan_algorithmE0ELj4294967295EEENS1_25partition_config_selectorILNS1_17partition_subalgoE4EjNS0_10empty_typeEbEEZZNS1_14partition_implILS8_4ELb0ES6_15HIP_vector_typeIjLj2EENS0_17counting_iteratorIjlEEPS9_SG_NS0_5tupleIJPjSI_NS0_16reverse_iteratorISI_EEEEENSH_IJSG_SG_SG_EEES9_SI_JZNS1_25segmented_radix_sort_implINS0_14default_configELb0EPKsPsPKlPlN2at6native12_GLOBAL__N_18offset_tEEE10hipError_tPvRmT1_PNSt15iterator_traitsIS12_E10value_typeET2_T3_PNS13_IS18_E10value_typeET4_jRbjT5_S1E_jjP12ihipStream_tbEUljE_ZNSN_ISO_Lb0ESQ_SR_ST_SU_SY_EESZ_S10_S11_S12_S16_S17_S18_S1B_S1C_jS1D_jS1E_S1E_jjS1G_bEUljE0_EEESZ_S10_S11_S18_S1C_S1E_T6_T7_T9_mT8_S1G_bDpT10_ENKUlT_T0_E_clISt17integral_constantIbLb1EES1U_EEDaS1P_S1Q_EUlS1P_E_NS1_11comp_targetILNS1_3genE4ELNS1_11target_archE910ELNS1_3gpuE8ELNS1_3repE0EEENS1_30default_config_static_selectorELNS0_4arch9wavefront6targetE0EEEvS12_,@function
_ZN7rocprim17ROCPRIM_400000_NS6detail17trampoline_kernelINS0_13select_configILj256ELj13ELNS0_17block_load_methodE3ELS4_3ELS4_3ELNS0_20block_scan_algorithmE0ELj4294967295EEENS1_25partition_config_selectorILNS1_17partition_subalgoE4EjNS0_10empty_typeEbEEZZNS1_14partition_implILS8_4ELb0ES6_15HIP_vector_typeIjLj2EENS0_17counting_iteratorIjlEEPS9_SG_NS0_5tupleIJPjSI_NS0_16reverse_iteratorISI_EEEEENSH_IJSG_SG_SG_EEES9_SI_JZNS1_25segmented_radix_sort_implINS0_14default_configELb0EPKsPsPKlPlN2at6native12_GLOBAL__N_18offset_tEEE10hipError_tPvRmT1_PNSt15iterator_traitsIS12_E10value_typeET2_T3_PNS13_IS18_E10value_typeET4_jRbjT5_S1E_jjP12ihipStream_tbEUljE_ZNSN_ISO_Lb0ESQ_SR_ST_SU_SY_EESZ_S10_S11_S12_S16_S17_S18_S1B_S1C_jS1D_jS1E_S1E_jjS1G_bEUljE0_EEESZ_S10_S11_S18_S1C_S1E_T6_T7_T9_mT8_S1G_bDpT10_ENKUlT_T0_E_clISt17integral_constantIbLb1EES1U_EEDaS1P_S1Q_EUlS1P_E_NS1_11comp_targetILNS1_3genE4ELNS1_11target_archE910ELNS1_3gpuE8ELNS1_3repE0EEENS1_30default_config_static_selectorELNS0_4arch9wavefront6targetE0EEEvS12_: ; @_ZN7rocprim17ROCPRIM_400000_NS6detail17trampoline_kernelINS0_13select_configILj256ELj13ELNS0_17block_load_methodE3ELS4_3ELS4_3ELNS0_20block_scan_algorithmE0ELj4294967295EEENS1_25partition_config_selectorILNS1_17partition_subalgoE4EjNS0_10empty_typeEbEEZZNS1_14partition_implILS8_4ELb0ES6_15HIP_vector_typeIjLj2EENS0_17counting_iteratorIjlEEPS9_SG_NS0_5tupleIJPjSI_NS0_16reverse_iteratorISI_EEEEENSH_IJSG_SG_SG_EEES9_SI_JZNS1_25segmented_radix_sort_implINS0_14default_configELb0EPKsPsPKlPlN2at6native12_GLOBAL__N_18offset_tEEE10hipError_tPvRmT1_PNSt15iterator_traitsIS12_E10value_typeET2_T3_PNS13_IS18_E10value_typeET4_jRbjT5_S1E_jjP12ihipStream_tbEUljE_ZNSN_ISO_Lb0ESQ_SR_ST_SU_SY_EESZ_S10_S11_S12_S16_S17_S18_S1B_S1C_jS1D_jS1E_S1E_jjS1G_bEUljE0_EEESZ_S10_S11_S18_S1C_S1E_T6_T7_T9_mT8_S1G_bDpT10_ENKUlT_T0_E_clISt17integral_constantIbLb1EES1U_EEDaS1P_S1Q_EUlS1P_E_NS1_11comp_targetILNS1_3genE4ELNS1_11target_archE910ELNS1_3gpuE8ELNS1_3repE0EEENS1_30default_config_static_selectorELNS0_4arch9wavefront6targetE0EEEvS12_
; %bb.0:
	.section	.rodata,"a",@progbits
	.p2align	6, 0x0
	.amdhsa_kernel _ZN7rocprim17ROCPRIM_400000_NS6detail17trampoline_kernelINS0_13select_configILj256ELj13ELNS0_17block_load_methodE3ELS4_3ELS4_3ELNS0_20block_scan_algorithmE0ELj4294967295EEENS1_25partition_config_selectorILNS1_17partition_subalgoE4EjNS0_10empty_typeEbEEZZNS1_14partition_implILS8_4ELb0ES6_15HIP_vector_typeIjLj2EENS0_17counting_iteratorIjlEEPS9_SG_NS0_5tupleIJPjSI_NS0_16reverse_iteratorISI_EEEEENSH_IJSG_SG_SG_EEES9_SI_JZNS1_25segmented_radix_sort_implINS0_14default_configELb0EPKsPsPKlPlN2at6native12_GLOBAL__N_18offset_tEEE10hipError_tPvRmT1_PNSt15iterator_traitsIS12_E10value_typeET2_T3_PNS13_IS18_E10value_typeET4_jRbjT5_S1E_jjP12ihipStream_tbEUljE_ZNSN_ISO_Lb0ESQ_SR_ST_SU_SY_EESZ_S10_S11_S12_S16_S17_S18_S1B_S1C_jS1D_jS1E_S1E_jjS1G_bEUljE0_EEESZ_S10_S11_S18_S1C_S1E_T6_T7_T9_mT8_S1G_bDpT10_ENKUlT_T0_E_clISt17integral_constantIbLb1EES1U_EEDaS1P_S1Q_EUlS1P_E_NS1_11comp_targetILNS1_3genE4ELNS1_11target_archE910ELNS1_3gpuE8ELNS1_3repE0EEENS1_30default_config_static_selectorELNS0_4arch9wavefront6targetE0EEEvS12_
		.amdhsa_group_segment_fixed_size 0
		.amdhsa_private_segment_fixed_size 0
		.amdhsa_kernarg_size 184
		.amdhsa_user_sgpr_count 15
		.amdhsa_user_sgpr_dispatch_ptr 0
		.amdhsa_user_sgpr_queue_ptr 0
		.amdhsa_user_sgpr_kernarg_segment_ptr 1
		.amdhsa_user_sgpr_dispatch_id 0
		.amdhsa_user_sgpr_private_segment_size 0
		.amdhsa_wavefront_size32 1
		.amdhsa_uses_dynamic_stack 0
		.amdhsa_enable_private_segment 0
		.amdhsa_system_sgpr_workgroup_id_x 1
		.amdhsa_system_sgpr_workgroup_id_y 0
		.amdhsa_system_sgpr_workgroup_id_z 0
		.amdhsa_system_sgpr_workgroup_info 0
		.amdhsa_system_vgpr_workitem_id 0
		.amdhsa_next_free_vgpr 1
		.amdhsa_next_free_sgpr 1
		.amdhsa_reserve_vcc 0
		.amdhsa_float_round_mode_32 0
		.amdhsa_float_round_mode_16_64 0
		.amdhsa_float_denorm_mode_32 3
		.amdhsa_float_denorm_mode_16_64 3
		.amdhsa_dx10_clamp 1
		.amdhsa_ieee_mode 1
		.amdhsa_fp16_overflow 0
		.amdhsa_workgroup_processor_mode 1
		.amdhsa_memory_ordered 1
		.amdhsa_forward_progress 0
		.amdhsa_shared_vgpr_count 0
		.amdhsa_exception_fp_ieee_invalid_op 0
		.amdhsa_exception_fp_denorm_src 0
		.amdhsa_exception_fp_ieee_div_zero 0
		.amdhsa_exception_fp_ieee_overflow 0
		.amdhsa_exception_fp_ieee_underflow 0
		.amdhsa_exception_fp_ieee_inexact 0
		.amdhsa_exception_int_div_zero 0
	.end_amdhsa_kernel
	.section	.text._ZN7rocprim17ROCPRIM_400000_NS6detail17trampoline_kernelINS0_13select_configILj256ELj13ELNS0_17block_load_methodE3ELS4_3ELS4_3ELNS0_20block_scan_algorithmE0ELj4294967295EEENS1_25partition_config_selectorILNS1_17partition_subalgoE4EjNS0_10empty_typeEbEEZZNS1_14partition_implILS8_4ELb0ES6_15HIP_vector_typeIjLj2EENS0_17counting_iteratorIjlEEPS9_SG_NS0_5tupleIJPjSI_NS0_16reverse_iteratorISI_EEEEENSH_IJSG_SG_SG_EEES9_SI_JZNS1_25segmented_radix_sort_implINS0_14default_configELb0EPKsPsPKlPlN2at6native12_GLOBAL__N_18offset_tEEE10hipError_tPvRmT1_PNSt15iterator_traitsIS12_E10value_typeET2_T3_PNS13_IS18_E10value_typeET4_jRbjT5_S1E_jjP12ihipStream_tbEUljE_ZNSN_ISO_Lb0ESQ_SR_ST_SU_SY_EESZ_S10_S11_S12_S16_S17_S18_S1B_S1C_jS1D_jS1E_S1E_jjS1G_bEUljE0_EEESZ_S10_S11_S18_S1C_S1E_T6_T7_T9_mT8_S1G_bDpT10_ENKUlT_T0_E_clISt17integral_constantIbLb1EES1U_EEDaS1P_S1Q_EUlS1P_E_NS1_11comp_targetILNS1_3genE4ELNS1_11target_archE910ELNS1_3gpuE8ELNS1_3repE0EEENS1_30default_config_static_selectorELNS0_4arch9wavefront6targetE0EEEvS12_,"axG",@progbits,_ZN7rocprim17ROCPRIM_400000_NS6detail17trampoline_kernelINS0_13select_configILj256ELj13ELNS0_17block_load_methodE3ELS4_3ELS4_3ELNS0_20block_scan_algorithmE0ELj4294967295EEENS1_25partition_config_selectorILNS1_17partition_subalgoE4EjNS0_10empty_typeEbEEZZNS1_14partition_implILS8_4ELb0ES6_15HIP_vector_typeIjLj2EENS0_17counting_iteratorIjlEEPS9_SG_NS0_5tupleIJPjSI_NS0_16reverse_iteratorISI_EEEEENSH_IJSG_SG_SG_EEES9_SI_JZNS1_25segmented_radix_sort_implINS0_14default_configELb0EPKsPsPKlPlN2at6native12_GLOBAL__N_18offset_tEEE10hipError_tPvRmT1_PNSt15iterator_traitsIS12_E10value_typeET2_T3_PNS13_IS18_E10value_typeET4_jRbjT5_S1E_jjP12ihipStream_tbEUljE_ZNSN_ISO_Lb0ESQ_SR_ST_SU_SY_EESZ_S10_S11_S12_S16_S17_S18_S1B_S1C_jS1D_jS1E_S1E_jjS1G_bEUljE0_EEESZ_S10_S11_S18_S1C_S1E_T6_T7_T9_mT8_S1G_bDpT10_ENKUlT_T0_E_clISt17integral_constantIbLb1EES1U_EEDaS1P_S1Q_EUlS1P_E_NS1_11comp_targetILNS1_3genE4ELNS1_11target_archE910ELNS1_3gpuE8ELNS1_3repE0EEENS1_30default_config_static_selectorELNS0_4arch9wavefront6targetE0EEEvS12_,comdat
.Lfunc_end960:
	.size	_ZN7rocprim17ROCPRIM_400000_NS6detail17trampoline_kernelINS0_13select_configILj256ELj13ELNS0_17block_load_methodE3ELS4_3ELS4_3ELNS0_20block_scan_algorithmE0ELj4294967295EEENS1_25partition_config_selectorILNS1_17partition_subalgoE4EjNS0_10empty_typeEbEEZZNS1_14partition_implILS8_4ELb0ES6_15HIP_vector_typeIjLj2EENS0_17counting_iteratorIjlEEPS9_SG_NS0_5tupleIJPjSI_NS0_16reverse_iteratorISI_EEEEENSH_IJSG_SG_SG_EEES9_SI_JZNS1_25segmented_radix_sort_implINS0_14default_configELb0EPKsPsPKlPlN2at6native12_GLOBAL__N_18offset_tEEE10hipError_tPvRmT1_PNSt15iterator_traitsIS12_E10value_typeET2_T3_PNS13_IS18_E10value_typeET4_jRbjT5_S1E_jjP12ihipStream_tbEUljE_ZNSN_ISO_Lb0ESQ_SR_ST_SU_SY_EESZ_S10_S11_S12_S16_S17_S18_S1B_S1C_jS1D_jS1E_S1E_jjS1G_bEUljE0_EEESZ_S10_S11_S18_S1C_S1E_T6_T7_T9_mT8_S1G_bDpT10_ENKUlT_T0_E_clISt17integral_constantIbLb1EES1U_EEDaS1P_S1Q_EUlS1P_E_NS1_11comp_targetILNS1_3genE4ELNS1_11target_archE910ELNS1_3gpuE8ELNS1_3repE0EEENS1_30default_config_static_selectorELNS0_4arch9wavefront6targetE0EEEvS12_, .Lfunc_end960-_ZN7rocprim17ROCPRIM_400000_NS6detail17trampoline_kernelINS0_13select_configILj256ELj13ELNS0_17block_load_methodE3ELS4_3ELS4_3ELNS0_20block_scan_algorithmE0ELj4294967295EEENS1_25partition_config_selectorILNS1_17partition_subalgoE4EjNS0_10empty_typeEbEEZZNS1_14partition_implILS8_4ELb0ES6_15HIP_vector_typeIjLj2EENS0_17counting_iteratorIjlEEPS9_SG_NS0_5tupleIJPjSI_NS0_16reverse_iteratorISI_EEEEENSH_IJSG_SG_SG_EEES9_SI_JZNS1_25segmented_radix_sort_implINS0_14default_configELb0EPKsPsPKlPlN2at6native12_GLOBAL__N_18offset_tEEE10hipError_tPvRmT1_PNSt15iterator_traitsIS12_E10value_typeET2_T3_PNS13_IS18_E10value_typeET4_jRbjT5_S1E_jjP12ihipStream_tbEUljE_ZNSN_ISO_Lb0ESQ_SR_ST_SU_SY_EESZ_S10_S11_S12_S16_S17_S18_S1B_S1C_jS1D_jS1E_S1E_jjS1G_bEUljE0_EEESZ_S10_S11_S18_S1C_S1E_T6_T7_T9_mT8_S1G_bDpT10_ENKUlT_T0_E_clISt17integral_constantIbLb1EES1U_EEDaS1P_S1Q_EUlS1P_E_NS1_11comp_targetILNS1_3genE4ELNS1_11target_archE910ELNS1_3gpuE8ELNS1_3repE0EEENS1_30default_config_static_selectorELNS0_4arch9wavefront6targetE0EEEvS12_
                                        ; -- End function
	.section	.AMDGPU.csdata,"",@progbits
; Kernel info:
; codeLenInByte = 0
; NumSgprs: 0
; NumVgprs: 0
; ScratchSize: 0
; MemoryBound: 0
; FloatMode: 240
; IeeeMode: 1
; LDSByteSize: 0 bytes/workgroup (compile time only)
; SGPRBlocks: 0
; VGPRBlocks: 0
; NumSGPRsForWavesPerEU: 1
; NumVGPRsForWavesPerEU: 1
; Occupancy: 16
; WaveLimiterHint : 0
; COMPUTE_PGM_RSRC2:SCRATCH_EN: 0
; COMPUTE_PGM_RSRC2:USER_SGPR: 15
; COMPUTE_PGM_RSRC2:TRAP_HANDLER: 0
; COMPUTE_PGM_RSRC2:TGID_X_EN: 1
; COMPUTE_PGM_RSRC2:TGID_Y_EN: 0
; COMPUTE_PGM_RSRC2:TGID_Z_EN: 0
; COMPUTE_PGM_RSRC2:TIDIG_COMP_CNT: 0
	.section	.text._ZN7rocprim17ROCPRIM_400000_NS6detail17trampoline_kernelINS0_13select_configILj256ELj13ELNS0_17block_load_methodE3ELS4_3ELS4_3ELNS0_20block_scan_algorithmE0ELj4294967295EEENS1_25partition_config_selectorILNS1_17partition_subalgoE4EjNS0_10empty_typeEbEEZZNS1_14partition_implILS8_4ELb0ES6_15HIP_vector_typeIjLj2EENS0_17counting_iteratorIjlEEPS9_SG_NS0_5tupleIJPjSI_NS0_16reverse_iteratorISI_EEEEENSH_IJSG_SG_SG_EEES9_SI_JZNS1_25segmented_radix_sort_implINS0_14default_configELb0EPKsPsPKlPlN2at6native12_GLOBAL__N_18offset_tEEE10hipError_tPvRmT1_PNSt15iterator_traitsIS12_E10value_typeET2_T3_PNS13_IS18_E10value_typeET4_jRbjT5_S1E_jjP12ihipStream_tbEUljE_ZNSN_ISO_Lb0ESQ_SR_ST_SU_SY_EESZ_S10_S11_S12_S16_S17_S18_S1B_S1C_jS1D_jS1E_S1E_jjS1G_bEUljE0_EEESZ_S10_S11_S18_S1C_S1E_T6_T7_T9_mT8_S1G_bDpT10_ENKUlT_T0_E_clISt17integral_constantIbLb1EES1U_EEDaS1P_S1Q_EUlS1P_E_NS1_11comp_targetILNS1_3genE3ELNS1_11target_archE908ELNS1_3gpuE7ELNS1_3repE0EEENS1_30default_config_static_selectorELNS0_4arch9wavefront6targetE0EEEvS12_,"axG",@progbits,_ZN7rocprim17ROCPRIM_400000_NS6detail17trampoline_kernelINS0_13select_configILj256ELj13ELNS0_17block_load_methodE3ELS4_3ELS4_3ELNS0_20block_scan_algorithmE0ELj4294967295EEENS1_25partition_config_selectorILNS1_17partition_subalgoE4EjNS0_10empty_typeEbEEZZNS1_14partition_implILS8_4ELb0ES6_15HIP_vector_typeIjLj2EENS0_17counting_iteratorIjlEEPS9_SG_NS0_5tupleIJPjSI_NS0_16reverse_iteratorISI_EEEEENSH_IJSG_SG_SG_EEES9_SI_JZNS1_25segmented_radix_sort_implINS0_14default_configELb0EPKsPsPKlPlN2at6native12_GLOBAL__N_18offset_tEEE10hipError_tPvRmT1_PNSt15iterator_traitsIS12_E10value_typeET2_T3_PNS13_IS18_E10value_typeET4_jRbjT5_S1E_jjP12ihipStream_tbEUljE_ZNSN_ISO_Lb0ESQ_SR_ST_SU_SY_EESZ_S10_S11_S12_S16_S17_S18_S1B_S1C_jS1D_jS1E_S1E_jjS1G_bEUljE0_EEESZ_S10_S11_S18_S1C_S1E_T6_T7_T9_mT8_S1G_bDpT10_ENKUlT_T0_E_clISt17integral_constantIbLb1EES1U_EEDaS1P_S1Q_EUlS1P_E_NS1_11comp_targetILNS1_3genE3ELNS1_11target_archE908ELNS1_3gpuE7ELNS1_3repE0EEENS1_30default_config_static_selectorELNS0_4arch9wavefront6targetE0EEEvS12_,comdat
	.globl	_ZN7rocprim17ROCPRIM_400000_NS6detail17trampoline_kernelINS0_13select_configILj256ELj13ELNS0_17block_load_methodE3ELS4_3ELS4_3ELNS0_20block_scan_algorithmE0ELj4294967295EEENS1_25partition_config_selectorILNS1_17partition_subalgoE4EjNS0_10empty_typeEbEEZZNS1_14partition_implILS8_4ELb0ES6_15HIP_vector_typeIjLj2EENS0_17counting_iteratorIjlEEPS9_SG_NS0_5tupleIJPjSI_NS0_16reverse_iteratorISI_EEEEENSH_IJSG_SG_SG_EEES9_SI_JZNS1_25segmented_radix_sort_implINS0_14default_configELb0EPKsPsPKlPlN2at6native12_GLOBAL__N_18offset_tEEE10hipError_tPvRmT1_PNSt15iterator_traitsIS12_E10value_typeET2_T3_PNS13_IS18_E10value_typeET4_jRbjT5_S1E_jjP12ihipStream_tbEUljE_ZNSN_ISO_Lb0ESQ_SR_ST_SU_SY_EESZ_S10_S11_S12_S16_S17_S18_S1B_S1C_jS1D_jS1E_S1E_jjS1G_bEUljE0_EEESZ_S10_S11_S18_S1C_S1E_T6_T7_T9_mT8_S1G_bDpT10_ENKUlT_T0_E_clISt17integral_constantIbLb1EES1U_EEDaS1P_S1Q_EUlS1P_E_NS1_11comp_targetILNS1_3genE3ELNS1_11target_archE908ELNS1_3gpuE7ELNS1_3repE0EEENS1_30default_config_static_selectorELNS0_4arch9wavefront6targetE0EEEvS12_ ; -- Begin function _ZN7rocprim17ROCPRIM_400000_NS6detail17trampoline_kernelINS0_13select_configILj256ELj13ELNS0_17block_load_methodE3ELS4_3ELS4_3ELNS0_20block_scan_algorithmE0ELj4294967295EEENS1_25partition_config_selectorILNS1_17partition_subalgoE4EjNS0_10empty_typeEbEEZZNS1_14partition_implILS8_4ELb0ES6_15HIP_vector_typeIjLj2EENS0_17counting_iteratorIjlEEPS9_SG_NS0_5tupleIJPjSI_NS0_16reverse_iteratorISI_EEEEENSH_IJSG_SG_SG_EEES9_SI_JZNS1_25segmented_radix_sort_implINS0_14default_configELb0EPKsPsPKlPlN2at6native12_GLOBAL__N_18offset_tEEE10hipError_tPvRmT1_PNSt15iterator_traitsIS12_E10value_typeET2_T3_PNS13_IS18_E10value_typeET4_jRbjT5_S1E_jjP12ihipStream_tbEUljE_ZNSN_ISO_Lb0ESQ_SR_ST_SU_SY_EESZ_S10_S11_S12_S16_S17_S18_S1B_S1C_jS1D_jS1E_S1E_jjS1G_bEUljE0_EEESZ_S10_S11_S18_S1C_S1E_T6_T7_T9_mT8_S1G_bDpT10_ENKUlT_T0_E_clISt17integral_constantIbLb1EES1U_EEDaS1P_S1Q_EUlS1P_E_NS1_11comp_targetILNS1_3genE3ELNS1_11target_archE908ELNS1_3gpuE7ELNS1_3repE0EEENS1_30default_config_static_selectorELNS0_4arch9wavefront6targetE0EEEvS12_
	.p2align	8
	.type	_ZN7rocprim17ROCPRIM_400000_NS6detail17trampoline_kernelINS0_13select_configILj256ELj13ELNS0_17block_load_methodE3ELS4_3ELS4_3ELNS0_20block_scan_algorithmE0ELj4294967295EEENS1_25partition_config_selectorILNS1_17partition_subalgoE4EjNS0_10empty_typeEbEEZZNS1_14partition_implILS8_4ELb0ES6_15HIP_vector_typeIjLj2EENS0_17counting_iteratorIjlEEPS9_SG_NS0_5tupleIJPjSI_NS0_16reverse_iteratorISI_EEEEENSH_IJSG_SG_SG_EEES9_SI_JZNS1_25segmented_radix_sort_implINS0_14default_configELb0EPKsPsPKlPlN2at6native12_GLOBAL__N_18offset_tEEE10hipError_tPvRmT1_PNSt15iterator_traitsIS12_E10value_typeET2_T3_PNS13_IS18_E10value_typeET4_jRbjT5_S1E_jjP12ihipStream_tbEUljE_ZNSN_ISO_Lb0ESQ_SR_ST_SU_SY_EESZ_S10_S11_S12_S16_S17_S18_S1B_S1C_jS1D_jS1E_S1E_jjS1G_bEUljE0_EEESZ_S10_S11_S18_S1C_S1E_T6_T7_T9_mT8_S1G_bDpT10_ENKUlT_T0_E_clISt17integral_constantIbLb1EES1U_EEDaS1P_S1Q_EUlS1P_E_NS1_11comp_targetILNS1_3genE3ELNS1_11target_archE908ELNS1_3gpuE7ELNS1_3repE0EEENS1_30default_config_static_selectorELNS0_4arch9wavefront6targetE0EEEvS12_,@function
_ZN7rocprim17ROCPRIM_400000_NS6detail17trampoline_kernelINS0_13select_configILj256ELj13ELNS0_17block_load_methodE3ELS4_3ELS4_3ELNS0_20block_scan_algorithmE0ELj4294967295EEENS1_25partition_config_selectorILNS1_17partition_subalgoE4EjNS0_10empty_typeEbEEZZNS1_14partition_implILS8_4ELb0ES6_15HIP_vector_typeIjLj2EENS0_17counting_iteratorIjlEEPS9_SG_NS0_5tupleIJPjSI_NS0_16reverse_iteratorISI_EEEEENSH_IJSG_SG_SG_EEES9_SI_JZNS1_25segmented_radix_sort_implINS0_14default_configELb0EPKsPsPKlPlN2at6native12_GLOBAL__N_18offset_tEEE10hipError_tPvRmT1_PNSt15iterator_traitsIS12_E10value_typeET2_T3_PNS13_IS18_E10value_typeET4_jRbjT5_S1E_jjP12ihipStream_tbEUljE_ZNSN_ISO_Lb0ESQ_SR_ST_SU_SY_EESZ_S10_S11_S12_S16_S17_S18_S1B_S1C_jS1D_jS1E_S1E_jjS1G_bEUljE0_EEESZ_S10_S11_S18_S1C_S1E_T6_T7_T9_mT8_S1G_bDpT10_ENKUlT_T0_E_clISt17integral_constantIbLb1EES1U_EEDaS1P_S1Q_EUlS1P_E_NS1_11comp_targetILNS1_3genE3ELNS1_11target_archE908ELNS1_3gpuE7ELNS1_3repE0EEENS1_30default_config_static_selectorELNS0_4arch9wavefront6targetE0EEEvS12_: ; @_ZN7rocprim17ROCPRIM_400000_NS6detail17trampoline_kernelINS0_13select_configILj256ELj13ELNS0_17block_load_methodE3ELS4_3ELS4_3ELNS0_20block_scan_algorithmE0ELj4294967295EEENS1_25partition_config_selectorILNS1_17partition_subalgoE4EjNS0_10empty_typeEbEEZZNS1_14partition_implILS8_4ELb0ES6_15HIP_vector_typeIjLj2EENS0_17counting_iteratorIjlEEPS9_SG_NS0_5tupleIJPjSI_NS0_16reverse_iteratorISI_EEEEENSH_IJSG_SG_SG_EEES9_SI_JZNS1_25segmented_radix_sort_implINS0_14default_configELb0EPKsPsPKlPlN2at6native12_GLOBAL__N_18offset_tEEE10hipError_tPvRmT1_PNSt15iterator_traitsIS12_E10value_typeET2_T3_PNS13_IS18_E10value_typeET4_jRbjT5_S1E_jjP12ihipStream_tbEUljE_ZNSN_ISO_Lb0ESQ_SR_ST_SU_SY_EESZ_S10_S11_S12_S16_S17_S18_S1B_S1C_jS1D_jS1E_S1E_jjS1G_bEUljE0_EEESZ_S10_S11_S18_S1C_S1E_T6_T7_T9_mT8_S1G_bDpT10_ENKUlT_T0_E_clISt17integral_constantIbLb1EES1U_EEDaS1P_S1Q_EUlS1P_E_NS1_11comp_targetILNS1_3genE3ELNS1_11target_archE908ELNS1_3gpuE7ELNS1_3repE0EEENS1_30default_config_static_selectorELNS0_4arch9wavefront6targetE0EEEvS12_
; %bb.0:
	.section	.rodata,"a",@progbits
	.p2align	6, 0x0
	.amdhsa_kernel _ZN7rocprim17ROCPRIM_400000_NS6detail17trampoline_kernelINS0_13select_configILj256ELj13ELNS0_17block_load_methodE3ELS4_3ELS4_3ELNS0_20block_scan_algorithmE0ELj4294967295EEENS1_25partition_config_selectorILNS1_17partition_subalgoE4EjNS0_10empty_typeEbEEZZNS1_14partition_implILS8_4ELb0ES6_15HIP_vector_typeIjLj2EENS0_17counting_iteratorIjlEEPS9_SG_NS0_5tupleIJPjSI_NS0_16reverse_iteratorISI_EEEEENSH_IJSG_SG_SG_EEES9_SI_JZNS1_25segmented_radix_sort_implINS0_14default_configELb0EPKsPsPKlPlN2at6native12_GLOBAL__N_18offset_tEEE10hipError_tPvRmT1_PNSt15iterator_traitsIS12_E10value_typeET2_T3_PNS13_IS18_E10value_typeET4_jRbjT5_S1E_jjP12ihipStream_tbEUljE_ZNSN_ISO_Lb0ESQ_SR_ST_SU_SY_EESZ_S10_S11_S12_S16_S17_S18_S1B_S1C_jS1D_jS1E_S1E_jjS1G_bEUljE0_EEESZ_S10_S11_S18_S1C_S1E_T6_T7_T9_mT8_S1G_bDpT10_ENKUlT_T0_E_clISt17integral_constantIbLb1EES1U_EEDaS1P_S1Q_EUlS1P_E_NS1_11comp_targetILNS1_3genE3ELNS1_11target_archE908ELNS1_3gpuE7ELNS1_3repE0EEENS1_30default_config_static_selectorELNS0_4arch9wavefront6targetE0EEEvS12_
		.amdhsa_group_segment_fixed_size 0
		.amdhsa_private_segment_fixed_size 0
		.amdhsa_kernarg_size 184
		.amdhsa_user_sgpr_count 15
		.amdhsa_user_sgpr_dispatch_ptr 0
		.amdhsa_user_sgpr_queue_ptr 0
		.amdhsa_user_sgpr_kernarg_segment_ptr 1
		.amdhsa_user_sgpr_dispatch_id 0
		.amdhsa_user_sgpr_private_segment_size 0
		.amdhsa_wavefront_size32 1
		.amdhsa_uses_dynamic_stack 0
		.amdhsa_enable_private_segment 0
		.amdhsa_system_sgpr_workgroup_id_x 1
		.amdhsa_system_sgpr_workgroup_id_y 0
		.amdhsa_system_sgpr_workgroup_id_z 0
		.amdhsa_system_sgpr_workgroup_info 0
		.amdhsa_system_vgpr_workitem_id 0
		.amdhsa_next_free_vgpr 1
		.amdhsa_next_free_sgpr 1
		.amdhsa_reserve_vcc 0
		.amdhsa_float_round_mode_32 0
		.amdhsa_float_round_mode_16_64 0
		.amdhsa_float_denorm_mode_32 3
		.amdhsa_float_denorm_mode_16_64 3
		.amdhsa_dx10_clamp 1
		.amdhsa_ieee_mode 1
		.amdhsa_fp16_overflow 0
		.amdhsa_workgroup_processor_mode 1
		.amdhsa_memory_ordered 1
		.amdhsa_forward_progress 0
		.amdhsa_shared_vgpr_count 0
		.amdhsa_exception_fp_ieee_invalid_op 0
		.amdhsa_exception_fp_denorm_src 0
		.amdhsa_exception_fp_ieee_div_zero 0
		.amdhsa_exception_fp_ieee_overflow 0
		.amdhsa_exception_fp_ieee_underflow 0
		.amdhsa_exception_fp_ieee_inexact 0
		.amdhsa_exception_int_div_zero 0
	.end_amdhsa_kernel
	.section	.text._ZN7rocprim17ROCPRIM_400000_NS6detail17trampoline_kernelINS0_13select_configILj256ELj13ELNS0_17block_load_methodE3ELS4_3ELS4_3ELNS0_20block_scan_algorithmE0ELj4294967295EEENS1_25partition_config_selectorILNS1_17partition_subalgoE4EjNS0_10empty_typeEbEEZZNS1_14partition_implILS8_4ELb0ES6_15HIP_vector_typeIjLj2EENS0_17counting_iteratorIjlEEPS9_SG_NS0_5tupleIJPjSI_NS0_16reverse_iteratorISI_EEEEENSH_IJSG_SG_SG_EEES9_SI_JZNS1_25segmented_radix_sort_implINS0_14default_configELb0EPKsPsPKlPlN2at6native12_GLOBAL__N_18offset_tEEE10hipError_tPvRmT1_PNSt15iterator_traitsIS12_E10value_typeET2_T3_PNS13_IS18_E10value_typeET4_jRbjT5_S1E_jjP12ihipStream_tbEUljE_ZNSN_ISO_Lb0ESQ_SR_ST_SU_SY_EESZ_S10_S11_S12_S16_S17_S18_S1B_S1C_jS1D_jS1E_S1E_jjS1G_bEUljE0_EEESZ_S10_S11_S18_S1C_S1E_T6_T7_T9_mT8_S1G_bDpT10_ENKUlT_T0_E_clISt17integral_constantIbLb1EES1U_EEDaS1P_S1Q_EUlS1P_E_NS1_11comp_targetILNS1_3genE3ELNS1_11target_archE908ELNS1_3gpuE7ELNS1_3repE0EEENS1_30default_config_static_selectorELNS0_4arch9wavefront6targetE0EEEvS12_,"axG",@progbits,_ZN7rocprim17ROCPRIM_400000_NS6detail17trampoline_kernelINS0_13select_configILj256ELj13ELNS0_17block_load_methodE3ELS4_3ELS4_3ELNS0_20block_scan_algorithmE0ELj4294967295EEENS1_25partition_config_selectorILNS1_17partition_subalgoE4EjNS0_10empty_typeEbEEZZNS1_14partition_implILS8_4ELb0ES6_15HIP_vector_typeIjLj2EENS0_17counting_iteratorIjlEEPS9_SG_NS0_5tupleIJPjSI_NS0_16reverse_iteratorISI_EEEEENSH_IJSG_SG_SG_EEES9_SI_JZNS1_25segmented_radix_sort_implINS0_14default_configELb0EPKsPsPKlPlN2at6native12_GLOBAL__N_18offset_tEEE10hipError_tPvRmT1_PNSt15iterator_traitsIS12_E10value_typeET2_T3_PNS13_IS18_E10value_typeET4_jRbjT5_S1E_jjP12ihipStream_tbEUljE_ZNSN_ISO_Lb0ESQ_SR_ST_SU_SY_EESZ_S10_S11_S12_S16_S17_S18_S1B_S1C_jS1D_jS1E_S1E_jjS1G_bEUljE0_EEESZ_S10_S11_S18_S1C_S1E_T6_T7_T9_mT8_S1G_bDpT10_ENKUlT_T0_E_clISt17integral_constantIbLb1EES1U_EEDaS1P_S1Q_EUlS1P_E_NS1_11comp_targetILNS1_3genE3ELNS1_11target_archE908ELNS1_3gpuE7ELNS1_3repE0EEENS1_30default_config_static_selectorELNS0_4arch9wavefront6targetE0EEEvS12_,comdat
.Lfunc_end961:
	.size	_ZN7rocprim17ROCPRIM_400000_NS6detail17trampoline_kernelINS0_13select_configILj256ELj13ELNS0_17block_load_methodE3ELS4_3ELS4_3ELNS0_20block_scan_algorithmE0ELj4294967295EEENS1_25partition_config_selectorILNS1_17partition_subalgoE4EjNS0_10empty_typeEbEEZZNS1_14partition_implILS8_4ELb0ES6_15HIP_vector_typeIjLj2EENS0_17counting_iteratorIjlEEPS9_SG_NS0_5tupleIJPjSI_NS0_16reverse_iteratorISI_EEEEENSH_IJSG_SG_SG_EEES9_SI_JZNS1_25segmented_radix_sort_implINS0_14default_configELb0EPKsPsPKlPlN2at6native12_GLOBAL__N_18offset_tEEE10hipError_tPvRmT1_PNSt15iterator_traitsIS12_E10value_typeET2_T3_PNS13_IS18_E10value_typeET4_jRbjT5_S1E_jjP12ihipStream_tbEUljE_ZNSN_ISO_Lb0ESQ_SR_ST_SU_SY_EESZ_S10_S11_S12_S16_S17_S18_S1B_S1C_jS1D_jS1E_S1E_jjS1G_bEUljE0_EEESZ_S10_S11_S18_S1C_S1E_T6_T7_T9_mT8_S1G_bDpT10_ENKUlT_T0_E_clISt17integral_constantIbLb1EES1U_EEDaS1P_S1Q_EUlS1P_E_NS1_11comp_targetILNS1_3genE3ELNS1_11target_archE908ELNS1_3gpuE7ELNS1_3repE0EEENS1_30default_config_static_selectorELNS0_4arch9wavefront6targetE0EEEvS12_, .Lfunc_end961-_ZN7rocprim17ROCPRIM_400000_NS6detail17trampoline_kernelINS0_13select_configILj256ELj13ELNS0_17block_load_methodE3ELS4_3ELS4_3ELNS0_20block_scan_algorithmE0ELj4294967295EEENS1_25partition_config_selectorILNS1_17partition_subalgoE4EjNS0_10empty_typeEbEEZZNS1_14partition_implILS8_4ELb0ES6_15HIP_vector_typeIjLj2EENS0_17counting_iteratorIjlEEPS9_SG_NS0_5tupleIJPjSI_NS0_16reverse_iteratorISI_EEEEENSH_IJSG_SG_SG_EEES9_SI_JZNS1_25segmented_radix_sort_implINS0_14default_configELb0EPKsPsPKlPlN2at6native12_GLOBAL__N_18offset_tEEE10hipError_tPvRmT1_PNSt15iterator_traitsIS12_E10value_typeET2_T3_PNS13_IS18_E10value_typeET4_jRbjT5_S1E_jjP12ihipStream_tbEUljE_ZNSN_ISO_Lb0ESQ_SR_ST_SU_SY_EESZ_S10_S11_S12_S16_S17_S18_S1B_S1C_jS1D_jS1E_S1E_jjS1G_bEUljE0_EEESZ_S10_S11_S18_S1C_S1E_T6_T7_T9_mT8_S1G_bDpT10_ENKUlT_T0_E_clISt17integral_constantIbLb1EES1U_EEDaS1P_S1Q_EUlS1P_E_NS1_11comp_targetILNS1_3genE3ELNS1_11target_archE908ELNS1_3gpuE7ELNS1_3repE0EEENS1_30default_config_static_selectorELNS0_4arch9wavefront6targetE0EEEvS12_
                                        ; -- End function
	.section	.AMDGPU.csdata,"",@progbits
; Kernel info:
; codeLenInByte = 0
; NumSgprs: 0
; NumVgprs: 0
; ScratchSize: 0
; MemoryBound: 0
; FloatMode: 240
; IeeeMode: 1
; LDSByteSize: 0 bytes/workgroup (compile time only)
; SGPRBlocks: 0
; VGPRBlocks: 0
; NumSGPRsForWavesPerEU: 1
; NumVGPRsForWavesPerEU: 1
; Occupancy: 16
; WaveLimiterHint : 0
; COMPUTE_PGM_RSRC2:SCRATCH_EN: 0
; COMPUTE_PGM_RSRC2:USER_SGPR: 15
; COMPUTE_PGM_RSRC2:TRAP_HANDLER: 0
; COMPUTE_PGM_RSRC2:TGID_X_EN: 1
; COMPUTE_PGM_RSRC2:TGID_Y_EN: 0
; COMPUTE_PGM_RSRC2:TGID_Z_EN: 0
; COMPUTE_PGM_RSRC2:TIDIG_COMP_CNT: 0
	.section	.text._ZN7rocprim17ROCPRIM_400000_NS6detail17trampoline_kernelINS0_13select_configILj256ELj13ELNS0_17block_load_methodE3ELS4_3ELS4_3ELNS0_20block_scan_algorithmE0ELj4294967295EEENS1_25partition_config_selectorILNS1_17partition_subalgoE4EjNS0_10empty_typeEbEEZZNS1_14partition_implILS8_4ELb0ES6_15HIP_vector_typeIjLj2EENS0_17counting_iteratorIjlEEPS9_SG_NS0_5tupleIJPjSI_NS0_16reverse_iteratorISI_EEEEENSH_IJSG_SG_SG_EEES9_SI_JZNS1_25segmented_radix_sort_implINS0_14default_configELb0EPKsPsPKlPlN2at6native12_GLOBAL__N_18offset_tEEE10hipError_tPvRmT1_PNSt15iterator_traitsIS12_E10value_typeET2_T3_PNS13_IS18_E10value_typeET4_jRbjT5_S1E_jjP12ihipStream_tbEUljE_ZNSN_ISO_Lb0ESQ_SR_ST_SU_SY_EESZ_S10_S11_S12_S16_S17_S18_S1B_S1C_jS1D_jS1E_S1E_jjS1G_bEUljE0_EEESZ_S10_S11_S18_S1C_S1E_T6_T7_T9_mT8_S1G_bDpT10_ENKUlT_T0_E_clISt17integral_constantIbLb1EES1U_EEDaS1P_S1Q_EUlS1P_E_NS1_11comp_targetILNS1_3genE2ELNS1_11target_archE906ELNS1_3gpuE6ELNS1_3repE0EEENS1_30default_config_static_selectorELNS0_4arch9wavefront6targetE0EEEvS12_,"axG",@progbits,_ZN7rocprim17ROCPRIM_400000_NS6detail17trampoline_kernelINS0_13select_configILj256ELj13ELNS0_17block_load_methodE3ELS4_3ELS4_3ELNS0_20block_scan_algorithmE0ELj4294967295EEENS1_25partition_config_selectorILNS1_17partition_subalgoE4EjNS0_10empty_typeEbEEZZNS1_14partition_implILS8_4ELb0ES6_15HIP_vector_typeIjLj2EENS0_17counting_iteratorIjlEEPS9_SG_NS0_5tupleIJPjSI_NS0_16reverse_iteratorISI_EEEEENSH_IJSG_SG_SG_EEES9_SI_JZNS1_25segmented_radix_sort_implINS0_14default_configELb0EPKsPsPKlPlN2at6native12_GLOBAL__N_18offset_tEEE10hipError_tPvRmT1_PNSt15iterator_traitsIS12_E10value_typeET2_T3_PNS13_IS18_E10value_typeET4_jRbjT5_S1E_jjP12ihipStream_tbEUljE_ZNSN_ISO_Lb0ESQ_SR_ST_SU_SY_EESZ_S10_S11_S12_S16_S17_S18_S1B_S1C_jS1D_jS1E_S1E_jjS1G_bEUljE0_EEESZ_S10_S11_S18_S1C_S1E_T6_T7_T9_mT8_S1G_bDpT10_ENKUlT_T0_E_clISt17integral_constantIbLb1EES1U_EEDaS1P_S1Q_EUlS1P_E_NS1_11comp_targetILNS1_3genE2ELNS1_11target_archE906ELNS1_3gpuE6ELNS1_3repE0EEENS1_30default_config_static_selectorELNS0_4arch9wavefront6targetE0EEEvS12_,comdat
	.globl	_ZN7rocprim17ROCPRIM_400000_NS6detail17trampoline_kernelINS0_13select_configILj256ELj13ELNS0_17block_load_methodE3ELS4_3ELS4_3ELNS0_20block_scan_algorithmE0ELj4294967295EEENS1_25partition_config_selectorILNS1_17partition_subalgoE4EjNS0_10empty_typeEbEEZZNS1_14partition_implILS8_4ELb0ES6_15HIP_vector_typeIjLj2EENS0_17counting_iteratorIjlEEPS9_SG_NS0_5tupleIJPjSI_NS0_16reverse_iteratorISI_EEEEENSH_IJSG_SG_SG_EEES9_SI_JZNS1_25segmented_radix_sort_implINS0_14default_configELb0EPKsPsPKlPlN2at6native12_GLOBAL__N_18offset_tEEE10hipError_tPvRmT1_PNSt15iterator_traitsIS12_E10value_typeET2_T3_PNS13_IS18_E10value_typeET4_jRbjT5_S1E_jjP12ihipStream_tbEUljE_ZNSN_ISO_Lb0ESQ_SR_ST_SU_SY_EESZ_S10_S11_S12_S16_S17_S18_S1B_S1C_jS1D_jS1E_S1E_jjS1G_bEUljE0_EEESZ_S10_S11_S18_S1C_S1E_T6_T7_T9_mT8_S1G_bDpT10_ENKUlT_T0_E_clISt17integral_constantIbLb1EES1U_EEDaS1P_S1Q_EUlS1P_E_NS1_11comp_targetILNS1_3genE2ELNS1_11target_archE906ELNS1_3gpuE6ELNS1_3repE0EEENS1_30default_config_static_selectorELNS0_4arch9wavefront6targetE0EEEvS12_ ; -- Begin function _ZN7rocprim17ROCPRIM_400000_NS6detail17trampoline_kernelINS0_13select_configILj256ELj13ELNS0_17block_load_methodE3ELS4_3ELS4_3ELNS0_20block_scan_algorithmE0ELj4294967295EEENS1_25partition_config_selectorILNS1_17partition_subalgoE4EjNS0_10empty_typeEbEEZZNS1_14partition_implILS8_4ELb0ES6_15HIP_vector_typeIjLj2EENS0_17counting_iteratorIjlEEPS9_SG_NS0_5tupleIJPjSI_NS0_16reverse_iteratorISI_EEEEENSH_IJSG_SG_SG_EEES9_SI_JZNS1_25segmented_radix_sort_implINS0_14default_configELb0EPKsPsPKlPlN2at6native12_GLOBAL__N_18offset_tEEE10hipError_tPvRmT1_PNSt15iterator_traitsIS12_E10value_typeET2_T3_PNS13_IS18_E10value_typeET4_jRbjT5_S1E_jjP12ihipStream_tbEUljE_ZNSN_ISO_Lb0ESQ_SR_ST_SU_SY_EESZ_S10_S11_S12_S16_S17_S18_S1B_S1C_jS1D_jS1E_S1E_jjS1G_bEUljE0_EEESZ_S10_S11_S18_S1C_S1E_T6_T7_T9_mT8_S1G_bDpT10_ENKUlT_T0_E_clISt17integral_constantIbLb1EES1U_EEDaS1P_S1Q_EUlS1P_E_NS1_11comp_targetILNS1_3genE2ELNS1_11target_archE906ELNS1_3gpuE6ELNS1_3repE0EEENS1_30default_config_static_selectorELNS0_4arch9wavefront6targetE0EEEvS12_
	.p2align	8
	.type	_ZN7rocprim17ROCPRIM_400000_NS6detail17trampoline_kernelINS0_13select_configILj256ELj13ELNS0_17block_load_methodE3ELS4_3ELS4_3ELNS0_20block_scan_algorithmE0ELj4294967295EEENS1_25partition_config_selectorILNS1_17partition_subalgoE4EjNS0_10empty_typeEbEEZZNS1_14partition_implILS8_4ELb0ES6_15HIP_vector_typeIjLj2EENS0_17counting_iteratorIjlEEPS9_SG_NS0_5tupleIJPjSI_NS0_16reverse_iteratorISI_EEEEENSH_IJSG_SG_SG_EEES9_SI_JZNS1_25segmented_radix_sort_implINS0_14default_configELb0EPKsPsPKlPlN2at6native12_GLOBAL__N_18offset_tEEE10hipError_tPvRmT1_PNSt15iterator_traitsIS12_E10value_typeET2_T3_PNS13_IS18_E10value_typeET4_jRbjT5_S1E_jjP12ihipStream_tbEUljE_ZNSN_ISO_Lb0ESQ_SR_ST_SU_SY_EESZ_S10_S11_S12_S16_S17_S18_S1B_S1C_jS1D_jS1E_S1E_jjS1G_bEUljE0_EEESZ_S10_S11_S18_S1C_S1E_T6_T7_T9_mT8_S1G_bDpT10_ENKUlT_T0_E_clISt17integral_constantIbLb1EES1U_EEDaS1P_S1Q_EUlS1P_E_NS1_11comp_targetILNS1_3genE2ELNS1_11target_archE906ELNS1_3gpuE6ELNS1_3repE0EEENS1_30default_config_static_selectorELNS0_4arch9wavefront6targetE0EEEvS12_,@function
_ZN7rocprim17ROCPRIM_400000_NS6detail17trampoline_kernelINS0_13select_configILj256ELj13ELNS0_17block_load_methodE3ELS4_3ELS4_3ELNS0_20block_scan_algorithmE0ELj4294967295EEENS1_25partition_config_selectorILNS1_17partition_subalgoE4EjNS0_10empty_typeEbEEZZNS1_14partition_implILS8_4ELb0ES6_15HIP_vector_typeIjLj2EENS0_17counting_iteratorIjlEEPS9_SG_NS0_5tupleIJPjSI_NS0_16reverse_iteratorISI_EEEEENSH_IJSG_SG_SG_EEES9_SI_JZNS1_25segmented_radix_sort_implINS0_14default_configELb0EPKsPsPKlPlN2at6native12_GLOBAL__N_18offset_tEEE10hipError_tPvRmT1_PNSt15iterator_traitsIS12_E10value_typeET2_T3_PNS13_IS18_E10value_typeET4_jRbjT5_S1E_jjP12ihipStream_tbEUljE_ZNSN_ISO_Lb0ESQ_SR_ST_SU_SY_EESZ_S10_S11_S12_S16_S17_S18_S1B_S1C_jS1D_jS1E_S1E_jjS1G_bEUljE0_EEESZ_S10_S11_S18_S1C_S1E_T6_T7_T9_mT8_S1G_bDpT10_ENKUlT_T0_E_clISt17integral_constantIbLb1EES1U_EEDaS1P_S1Q_EUlS1P_E_NS1_11comp_targetILNS1_3genE2ELNS1_11target_archE906ELNS1_3gpuE6ELNS1_3repE0EEENS1_30default_config_static_selectorELNS0_4arch9wavefront6targetE0EEEvS12_: ; @_ZN7rocprim17ROCPRIM_400000_NS6detail17trampoline_kernelINS0_13select_configILj256ELj13ELNS0_17block_load_methodE3ELS4_3ELS4_3ELNS0_20block_scan_algorithmE0ELj4294967295EEENS1_25partition_config_selectorILNS1_17partition_subalgoE4EjNS0_10empty_typeEbEEZZNS1_14partition_implILS8_4ELb0ES6_15HIP_vector_typeIjLj2EENS0_17counting_iteratorIjlEEPS9_SG_NS0_5tupleIJPjSI_NS0_16reverse_iteratorISI_EEEEENSH_IJSG_SG_SG_EEES9_SI_JZNS1_25segmented_radix_sort_implINS0_14default_configELb0EPKsPsPKlPlN2at6native12_GLOBAL__N_18offset_tEEE10hipError_tPvRmT1_PNSt15iterator_traitsIS12_E10value_typeET2_T3_PNS13_IS18_E10value_typeET4_jRbjT5_S1E_jjP12ihipStream_tbEUljE_ZNSN_ISO_Lb0ESQ_SR_ST_SU_SY_EESZ_S10_S11_S12_S16_S17_S18_S1B_S1C_jS1D_jS1E_S1E_jjS1G_bEUljE0_EEESZ_S10_S11_S18_S1C_S1E_T6_T7_T9_mT8_S1G_bDpT10_ENKUlT_T0_E_clISt17integral_constantIbLb1EES1U_EEDaS1P_S1Q_EUlS1P_E_NS1_11comp_targetILNS1_3genE2ELNS1_11target_archE906ELNS1_3gpuE6ELNS1_3repE0EEENS1_30default_config_static_selectorELNS0_4arch9wavefront6targetE0EEEvS12_
; %bb.0:
	.section	.rodata,"a",@progbits
	.p2align	6, 0x0
	.amdhsa_kernel _ZN7rocprim17ROCPRIM_400000_NS6detail17trampoline_kernelINS0_13select_configILj256ELj13ELNS0_17block_load_methodE3ELS4_3ELS4_3ELNS0_20block_scan_algorithmE0ELj4294967295EEENS1_25partition_config_selectorILNS1_17partition_subalgoE4EjNS0_10empty_typeEbEEZZNS1_14partition_implILS8_4ELb0ES6_15HIP_vector_typeIjLj2EENS0_17counting_iteratorIjlEEPS9_SG_NS0_5tupleIJPjSI_NS0_16reverse_iteratorISI_EEEEENSH_IJSG_SG_SG_EEES9_SI_JZNS1_25segmented_radix_sort_implINS0_14default_configELb0EPKsPsPKlPlN2at6native12_GLOBAL__N_18offset_tEEE10hipError_tPvRmT1_PNSt15iterator_traitsIS12_E10value_typeET2_T3_PNS13_IS18_E10value_typeET4_jRbjT5_S1E_jjP12ihipStream_tbEUljE_ZNSN_ISO_Lb0ESQ_SR_ST_SU_SY_EESZ_S10_S11_S12_S16_S17_S18_S1B_S1C_jS1D_jS1E_S1E_jjS1G_bEUljE0_EEESZ_S10_S11_S18_S1C_S1E_T6_T7_T9_mT8_S1G_bDpT10_ENKUlT_T0_E_clISt17integral_constantIbLb1EES1U_EEDaS1P_S1Q_EUlS1P_E_NS1_11comp_targetILNS1_3genE2ELNS1_11target_archE906ELNS1_3gpuE6ELNS1_3repE0EEENS1_30default_config_static_selectorELNS0_4arch9wavefront6targetE0EEEvS12_
		.amdhsa_group_segment_fixed_size 0
		.amdhsa_private_segment_fixed_size 0
		.amdhsa_kernarg_size 184
		.amdhsa_user_sgpr_count 15
		.amdhsa_user_sgpr_dispatch_ptr 0
		.amdhsa_user_sgpr_queue_ptr 0
		.amdhsa_user_sgpr_kernarg_segment_ptr 1
		.amdhsa_user_sgpr_dispatch_id 0
		.amdhsa_user_sgpr_private_segment_size 0
		.amdhsa_wavefront_size32 1
		.amdhsa_uses_dynamic_stack 0
		.amdhsa_enable_private_segment 0
		.amdhsa_system_sgpr_workgroup_id_x 1
		.amdhsa_system_sgpr_workgroup_id_y 0
		.amdhsa_system_sgpr_workgroup_id_z 0
		.amdhsa_system_sgpr_workgroup_info 0
		.amdhsa_system_vgpr_workitem_id 0
		.amdhsa_next_free_vgpr 1
		.amdhsa_next_free_sgpr 1
		.amdhsa_reserve_vcc 0
		.amdhsa_float_round_mode_32 0
		.amdhsa_float_round_mode_16_64 0
		.amdhsa_float_denorm_mode_32 3
		.amdhsa_float_denorm_mode_16_64 3
		.amdhsa_dx10_clamp 1
		.amdhsa_ieee_mode 1
		.amdhsa_fp16_overflow 0
		.amdhsa_workgroup_processor_mode 1
		.amdhsa_memory_ordered 1
		.amdhsa_forward_progress 0
		.amdhsa_shared_vgpr_count 0
		.amdhsa_exception_fp_ieee_invalid_op 0
		.amdhsa_exception_fp_denorm_src 0
		.amdhsa_exception_fp_ieee_div_zero 0
		.amdhsa_exception_fp_ieee_overflow 0
		.amdhsa_exception_fp_ieee_underflow 0
		.amdhsa_exception_fp_ieee_inexact 0
		.amdhsa_exception_int_div_zero 0
	.end_amdhsa_kernel
	.section	.text._ZN7rocprim17ROCPRIM_400000_NS6detail17trampoline_kernelINS0_13select_configILj256ELj13ELNS0_17block_load_methodE3ELS4_3ELS4_3ELNS0_20block_scan_algorithmE0ELj4294967295EEENS1_25partition_config_selectorILNS1_17partition_subalgoE4EjNS0_10empty_typeEbEEZZNS1_14partition_implILS8_4ELb0ES6_15HIP_vector_typeIjLj2EENS0_17counting_iteratorIjlEEPS9_SG_NS0_5tupleIJPjSI_NS0_16reverse_iteratorISI_EEEEENSH_IJSG_SG_SG_EEES9_SI_JZNS1_25segmented_radix_sort_implINS0_14default_configELb0EPKsPsPKlPlN2at6native12_GLOBAL__N_18offset_tEEE10hipError_tPvRmT1_PNSt15iterator_traitsIS12_E10value_typeET2_T3_PNS13_IS18_E10value_typeET4_jRbjT5_S1E_jjP12ihipStream_tbEUljE_ZNSN_ISO_Lb0ESQ_SR_ST_SU_SY_EESZ_S10_S11_S12_S16_S17_S18_S1B_S1C_jS1D_jS1E_S1E_jjS1G_bEUljE0_EEESZ_S10_S11_S18_S1C_S1E_T6_T7_T9_mT8_S1G_bDpT10_ENKUlT_T0_E_clISt17integral_constantIbLb1EES1U_EEDaS1P_S1Q_EUlS1P_E_NS1_11comp_targetILNS1_3genE2ELNS1_11target_archE906ELNS1_3gpuE6ELNS1_3repE0EEENS1_30default_config_static_selectorELNS0_4arch9wavefront6targetE0EEEvS12_,"axG",@progbits,_ZN7rocprim17ROCPRIM_400000_NS6detail17trampoline_kernelINS0_13select_configILj256ELj13ELNS0_17block_load_methodE3ELS4_3ELS4_3ELNS0_20block_scan_algorithmE0ELj4294967295EEENS1_25partition_config_selectorILNS1_17partition_subalgoE4EjNS0_10empty_typeEbEEZZNS1_14partition_implILS8_4ELb0ES6_15HIP_vector_typeIjLj2EENS0_17counting_iteratorIjlEEPS9_SG_NS0_5tupleIJPjSI_NS0_16reverse_iteratorISI_EEEEENSH_IJSG_SG_SG_EEES9_SI_JZNS1_25segmented_radix_sort_implINS0_14default_configELb0EPKsPsPKlPlN2at6native12_GLOBAL__N_18offset_tEEE10hipError_tPvRmT1_PNSt15iterator_traitsIS12_E10value_typeET2_T3_PNS13_IS18_E10value_typeET4_jRbjT5_S1E_jjP12ihipStream_tbEUljE_ZNSN_ISO_Lb0ESQ_SR_ST_SU_SY_EESZ_S10_S11_S12_S16_S17_S18_S1B_S1C_jS1D_jS1E_S1E_jjS1G_bEUljE0_EEESZ_S10_S11_S18_S1C_S1E_T6_T7_T9_mT8_S1G_bDpT10_ENKUlT_T0_E_clISt17integral_constantIbLb1EES1U_EEDaS1P_S1Q_EUlS1P_E_NS1_11comp_targetILNS1_3genE2ELNS1_11target_archE906ELNS1_3gpuE6ELNS1_3repE0EEENS1_30default_config_static_selectorELNS0_4arch9wavefront6targetE0EEEvS12_,comdat
.Lfunc_end962:
	.size	_ZN7rocprim17ROCPRIM_400000_NS6detail17trampoline_kernelINS0_13select_configILj256ELj13ELNS0_17block_load_methodE3ELS4_3ELS4_3ELNS0_20block_scan_algorithmE0ELj4294967295EEENS1_25partition_config_selectorILNS1_17partition_subalgoE4EjNS0_10empty_typeEbEEZZNS1_14partition_implILS8_4ELb0ES6_15HIP_vector_typeIjLj2EENS0_17counting_iteratorIjlEEPS9_SG_NS0_5tupleIJPjSI_NS0_16reverse_iteratorISI_EEEEENSH_IJSG_SG_SG_EEES9_SI_JZNS1_25segmented_radix_sort_implINS0_14default_configELb0EPKsPsPKlPlN2at6native12_GLOBAL__N_18offset_tEEE10hipError_tPvRmT1_PNSt15iterator_traitsIS12_E10value_typeET2_T3_PNS13_IS18_E10value_typeET4_jRbjT5_S1E_jjP12ihipStream_tbEUljE_ZNSN_ISO_Lb0ESQ_SR_ST_SU_SY_EESZ_S10_S11_S12_S16_S17_S18_S1B_S1C_jS1D_jS1E_S1E_jjS1G_bEUljE0_EEESZ_S10_S11_S18_S1C_S1E_T6_T7_T9_mT8_S1G_bDpT10_ENKUlT_T0_E_clISt17integral_constantIbLb1EES1U_EEDaS1P_S1Q_EUlS1P_E_NS1_11comp_targetILNS1_3genE2ELNS1_11target_archE906ELNS1_3gpuE6ELNS1_3repE0EEENS1_30default_config_static_selectorELNS0_4arch9wavefront6targetE0EEEvS12_, .Lfunc_end962-_ZN7rocprim17ROCPRIM_400000_NS6detail17trampoline_kernelINS0_13select_configILj256ELj13ELNS0_17block_load_methodE3ELS4_3ELS4_3ELNS0_20block_scan_algorithmE0ELj4294967295EEENS1_25partition_config_selectorILNS1_17partition_subalgoE4EjNS0_10empty_typeEbEEZZNS1_14partition_implILS8_4ELb0ES6_15HIP_vector_typeIjLj2EENS0_17counting_iteratorIjlEEPS9_SG_NS0_5tupleIJPjSI_NS0_16reverse_iteratorISI_EEEEENSH_IJSG_SG_SG_EEES9_SI_JZNS1_25segmented_radix_sort_implINS0_14default_configELb0EPKsPsPKlPlN2at6native12_GLOBAL__N_18offset_tEEE10hipError_tPvRmT1_PNSt15iterator_traitsIS12_E10value_typeET2_T3_PNS13_IS18_E10value_typeET4_jRbjT5_S1E_jjP12ihipStream_tbEUljE_ZNSN_ISO_Lb0ESQ_SR_ST_SU_SY_EESZ_S10_S11_S12_S16_S17_S18_S1B_S1C_jS1D_jS1E_S1E_jjS1G_bEUljE0_EEESZ_S10_S11_S18_S1C_S1E_T6_T7_T9_mT8_S1G_bDpT10_ENKUlT_T0_E_clISt17integral_constantIbLb1EES1U_EEDaS1P_S1Q_EUlS1P_E_NS1_11comp_targetILNS1_3genE2ELNS1_11target_archE906ELNS1_3gpuE6ELNS1_3repE0EEENS1_30default_config_static_selectorELNS0_4arch9wavefront6targetE0EEEvS12_
                                        ; -- End function
	.section	.AMDGPU.csdata,"",@progbits
; Kernel info:
; codeLenInByte = 0
; NumSgprs: 0
; NumVgprs: 0
; ScratchSize: 0
; MemoryBound: 0
; FloatMode: 240
; IeeeMode: 1
; LDSByteSize: 0 bytes/workgroup (compile time only)
; SGPRBlocks: 0
; VGPRBlocks: 0
; NumSGPRsForWavesPerEU: 1
; NumVGPRsForWavesPerEU: 1
; Occupancy: 16
; WaveLimiterHint : 0
; COMPUTE_PGM_RSRC2:SCRATCH_EN: 0
; COMPUTE_PGM_RSRC2:USER_SGPR: 15
; COMPUTE_PGM_RSRC2:TRAP_HANDLER: 0
; COMPUTE_PGM_RSRC2:TGID_X_EN: 1
; COMPUTE_PGM_RSRC2:TGID_Y_EN: 0
; COMPUTE_PGM_RSRC2:TGID_Z_EN: 0
; COMPUTE_PGM_RSRC2:TIDIG_COMP_CNT: 0
	.section	.text._ZN7rocprim17ROCPRIM_400000_NS6detail17trampoline_kernelINS0_13select_configILj256ELj13ELNS0_17block_load_methodE3ELS4_3ELS4_3ELNS0_20block_scan_algorithmE0ELj4294967295EEENS1_25partition_config_selectorILNS1_17partition_subalgoE4EjNS0_10empty_typeEbEEZZNS1_14partition_implILS8_4ELb0ES6_15HIP_vector_typeIjLj2EENS0_17counting_iteratorIjlEEPS9_SG_NS0_5tupleIJPjSI_NS0_16reverse_iteratorISI_EEEEENSH_IJSG_SG_SG_EEES9_SI_JZNS1_25segmented_radix_sort_implINS0_14default_configELb0EPKsPsPKlPlN2at6native12_GLOBAL__N_18offset_tEEE10hipError_tPvRmT1_PNSt15iterator_traitsIS12_E10value_typeET2_T3_PNS13_IS18_E10value_typeET4_jRbjT5_S1E_jjP12ihipStream_tbEUljE_ZNSN_ISO_Lb0ESQ_SR_ST_SU_SY_EESZ_S10_S11_S12_S16_S17_S18_S1B_S1C_jS1D_jS1E_S1E_jjS1G_bEUljE0_EEESZ_S10_S11_S18_S1C_S1E_T6_T7_T9_mT8_S1G_bDpT10_ENKUlT_T0_E_clISt17integral_constantIbLb1EES1U_EEDaS1P_S1Q_EUlS1P_E_NS1_11comp_targetILNS1_3genE10ELNS1_11target_archE1200ELNS1_3gpuE4ELNS1_3repE0EEENS1_30default_config_static_selectorELNS0_4arch9wavefront6targetE0EEEvS12_,"axG",@progbits,_ZN7rocprim17ROCPRIM_400000_NS6detail17trampoline_kernelINS0_13select_configILj256ELj13ELNS0_17block_load_methodE3ELS4_3ELS4_3ELNS0_20block_scan_algorithmE0ELj4294967295EEENS1_25partition_config_selectorILNS1_17partition_subalgoE4EjNS0_10empty_typeEbEEZZNS1_14partition_implILS8_4ELb0ES6_15HIP_vector_typeIjLj2EENS0_17counting_iteratorIjlEEPS9_SG_NS0_5tupleIJPjSI_NS0_16reverse_iteratorISI_EEEEENSH_IJSG_SG_SG_EEES9_SI_JZNS1_25segmented_radix_sort_implINS0_14default_configELb0EPKsPsPKlPlN2at6native12_GLOBAL__N_18offset_tEEE10hipError_tPvRmT1_PNSt15iterator_traitsIS12_E10value_typeET2_T3_PNS13_IS18_E10value_typeET4_jRbjT5_S1E_jjP12ihipStream_tbEUljE_ZNSN_ISO_Lb0ESQ_SR_ST_SU_SY_EESZ_S10_S11_S12_S16_S17_S18_S1B_S1C_jS1D_jS1E_S1E_jjS1G_bEUljE0_EEESZ_S10_S11_S18_S1C_S1E_T6_T7_T9_mT8_S1G_bDpT10_ENKUlT_T0_E_clISt17integral_constantIbLb1EES1U_EEDaS1P_S1Q_EUlS1P_E_NS1_11comp_targetILNS1_3genE10ELNS1_11target_archE1200ELNS1_3gpuE4ELNS1_3repE0EEENS1_30default_config_static_selectorELNS0_4arch9wavefront6targetE0EEEvS12_,comdat
	.globl	_ZN7rocprim17ROCPRIM_400000_NS6detail17trampoline_kernelINS0_13select_configILj256ELj13ELNS0_17block_load_methodE3ELS4_3ELS4_3ELNS0_20block_scan_algorithmE0ELj4294967295EEENS1_25partition_config_selectorILNS1_17partition_subalgoE4EjNS0_10empty_typeEbEEZZNS1_14partition_implILS8_4ELb0ES6_15HIP_vector_typeIjLj2EENS0_17counting_iteratorIjlEEPS9_SG_NS0_5tupleIJPjSI_NS0_16reverse_iteratorISI_EEEEENSH_IJSG_SG_SG_EEES9_SI_JZNS1_25segmented_radix_sort_implINS0_14default_configELb0EPKsPsPKlPlN2at6native12_GLOBAL__N_18offset_tEEE10hipError_tPvRmT1_PNSt15iterator_traitsIS12_E10value_typeET2_T3_PNS13_IS18_E10value_typeET4_jRbjT5_S1E_jjP12ihipStream_tbEUljE_ZNSN_ISO_Lb0ESQ_SR_ST_SU_SY_EESZ_S10_S11_S12_S16_S17_S18_S1B_S1C_jS1D_jS1E_S1E_jjS1G_bEUljE0_EEESZ_S10_S11_S18_S1C_S1E_T6_T7_T9_mT8_S1G_bDpT10_ENKUlT_T0_E_clISt17integral_constantIbLb1EES1U_EEDaS1P_S1Q_EUlS1P_E_NS1_11comp_targetILNS1_3genE10ELNS1_11target_archE1200ELNS1_3gpuE4ELNS1_3repE0EEENS1_30default_config_static_selectorELNS0_4arch9wavefront6targetE0EEEvS12_ ; -- Begin function _ZN7rocprim17ROCPRIM_400000_NS6detail17trampoline_kernelINS0_13select_configILj256ELj13ELNS0_17block_load_methodE3ELS4_3ELS4_3ELNS0_20block_scan_algorithmE0ELj4294967295EEENS1_25partition_config_selectorILNS1_17partition_subalgoE4EjNS0_10empty_typeEbEEZZNS1_14partition_implILS8_4ELb0ES6_15HIP_vector_typeIjLj2EENS0_17counting_iteratorIjlEEPS9_SG_NS0_5tupleIJPjSI_NS0_16reverse_iteratorISI_EEEEENSH_IJSG_SG_SG_EEES9_SI_JZNS1_25segmented_radix_sort_implINS0_14default_configELb0EPKsPsPKlPlN2at6native12_GLOBAL__N_18offset_tEEE10hipError_tPvRmT1_PNSt15iterator_traitsIS12_E10value_typeET2_T3_PNS13_IS18_E10value_typeET4_jRbjT5_S1E_jjP12ihipStream_tbEUljE_ZNSN_ISO_Lb0ESQ_SR_ST_SU_SY_EESZ_S10_S11_S12_S16_S17_S18_S1B_S1C_jS1D_jS1E_S1E_jjS1G_bEUljE0_EEESZ_S10_S11_S18_S1C_S1E_T6_T7_T9_mT8_S1G_bDpT10_ENKUlT_T0_E_clISt17integral_constantIbLb1EES1U_EEDaS1P_S1Q_EUlS1P_E_NS1_11comp_targetILNS1_3genE10ELNS1_11target_archE1200ELNS1_3gpuE4ELNS1_3repE0EEENS1_30default_config_static_selectorELNS0_4arch9wavefront6targetE0EEEvS12_
	.p2align	8
	.type	_ZN7rocprim17ROCPRIM_400000_NS6detail17trampoline_kernelINS0_13select_configILj256ELj13ELNS0_17block_load_methodE3ELS4_3ELS4_3ELNS0_20block_scan_algorithmE0ELj4294967295EEENS1_25partition_config_selectorILNS1_17partition_subalgoE4EjNS0_10empty_typeEbEEZZNS1_14partition_implILS8_4ELb0ES6_15HIP_vector_typeIjLj2EENS0_17counting_iteratorIjlEEPS9_SG_NS0_5tupleIJPjSI_NS0_16reverse_iteratorISI_EEEEENSH_IJSG_SG_SG_EEES9_SI_JZNS1_25segmented_radix_sort_implINS0_14default_configELb0EPKsPsPKlPlN2at6native12_GLOBAL__N_18offset_tEEE10hipError_tPvRmT1_PNSt15iterator_traitsIS12_E10value_typeET2_T3_PNS13_IS18_E10value_typeET4_jRbjT5_S1E_jjP12ihipStream_tbEUljE_ZNSN_ISO_Lb0ESQ_SR_ST_SU_SY_EESZ_S10_S11_S12_S16_S17_S18_S1B_S1C_jS1D_jS1E_S1E_jjS1G_bEUljE0_EEESZ_S10_S11_S18_S1C_S1E_T6_T7_T9_mT8_S1G_bDpT10_ENKUlT_T0_E_clISt17integral_constantIbLb1EES1U_EEDaS1P_S1Q_EUlS1P_E_NS1_11comp_targetILNS1_3genE10ELNS1_11target_archE1200ELNS1_3gpuE4ELNS1_3repE0EEENS1_30default_config_static_selectorELNS0_4arch9wavefront6targetE0EEEvS12_,@function
_ZN7rocprim17ROCPRIM_400000_NS6detail17trampoline_kernelINS0_13select_configILj256ELj13ELNS0_17block_load_methodE3ELS4_3ELS4_3ELNS0_20block_scan_algorithmE0ELj4294967295EEENS1_25partition_config_selectorILNS1_17partition_subalgoE4EjNS0_10empty_typeEbEEZZNS1_14partition_implILS8_4ELb0ES6_15HIP_vector_typeIjLj2EENS0_17counting_iteratorIjlEEPS9_SG_NS0_5tupleIJPjSI_NS0_16reverse_iteratorISI_EEEEENSH_IJSG_SG_SG_EEES9_SI_JZNS1_25segmented_radix_sort_implINS0_14default_configELb0EPKsPsPKlPlN2at6native12_GLOBAL__N_18offset_tEEE10hipError_tPvRmT1_PNSt15iterator_traitsIS12_E10value_typeET2_T3_PNS13_IS18_E10value_typeET4_jRbjT5_S1E_jjP12ihipStream_tbEUljE_ZNSN_ISO_Lb0ESQ_SR_ST_SU_SY_EESZ_S10_S11_S12_S16_S17_S18_S1B_S1C_jS1D_jS1E_S1E_jjS1G_bEUljE0_EEESZ_S10_S11_S18_S1C_S1E_T6_T7_T9_mT8_S1G_bDpT10_ENKUlT_T0_E_clISt17integral_constantIbLb1EES1U_EEDaS1P_S1Q_EUlS1P_E_NS1_11comp_targetILNS1_3genE10ELNS1_11target_archE1200ELNS1_3gpuE4ELNS1_3repE0EEENS1_30default_config_static_selectorELNS0_4arch9wavefront6targetE0EEEvS12_: ; @_ZN7rocprim17ROCPRIM_400000_NS6detail17trampoline_kernelINS0_13select_configILj256ELj13ELNS0_17block_load_methodE3ELS4_3ELS4_3ELNS0_20block_scan_algorithmE0ELj4294967295EEENS1_25partition_config_selectorILNS1_17partition_subalgoE4EjNS0_10empty_typeEbEEZZNS1_14partition_implILS8_4ELb0ES6_15HIP_vector_typeIjLj2EENS0_17counting_iteratorIjlEEPS9_SG_NS0_5tupleIJPjSI_NS0_16reverse_iteratorISI_EEEEENSH_IJSG_SG_SG_EEES9_SI_JZNS1_25segmented_radix_sort_implINS0_14default_configELb0EPKsPsPKlPlN2at6native12_GLOBAL__N_18offset_tEEE10hipError_tPvRmT1_PNSt15iterator_traitsIS12_E10value_typeET2_T3_PNS13_IS18_E10value_typeET4_jRbjT5_S1E_jjP12ihipStream_tbEUljE_ZNSN_ISO_Lb0ESQ_SR_ST_SU_SY_EESZ_S10_S11_S12_S16_S17_S18_S1B_S1C_jS1D_jS1E_S1E_jjS1G_bEUljE0_EEESZ_S10_S11_S18_S1C_S1E_T6_T7_T9_mT8_S1G_bDpT10_ENKUlT_T0_E_clISt17integral_constantIbLb1EES1U_EEDaS1P_S1Q_EUlS1P_E_NS1_11comp_targetILNS1_3genE10ELNS1_11target_archE1200ELNS1_3gpuE4ELNS1_3repE0EEENS1_30default_config_static_selectorELNS0_4arch9wavefront6targetE0EEEvS12_
; %bb.0:
	.section	.rodata,"a",@progbits
	.p2align	6, 0x0
	.amdhsa_kernel _ZN7rocprim17ROCPRIM_400000_NS6detail17trampoline_kernelINS0_13select_configILj256ELj13ELNS0_17block_load_methodE3ELS4_3ELS4_3ELNS0_20block_scan_algorithmE0ELj4294967295EEENS1_25partition_config_selectorILNS1_17partition_subalgoE4EjNS0_10empty_typeEbEEZZNS1_14partition_implILS8_4ELb0ES6_15HIP_vector_typeIjLj2EENS0_17counting_iteratorIjlEEPS9_SG_NS0_5tupleIJPjSI_NS0_16reverse_iteratorISI_EEEEENSH_IJSG_SG_SG_EEES9_SI_JZNS1_25segmented_radix_sort_implINS0_14default_configELb0EPKsPsPKlPlN2at6native12_GLOBAL__N_18offset_tEEE10hipError_tPvRmT1_PNSt15iterator_traitsIS12_E10value_typeET2_T3_PNS13_IS18_E10value_typeET4_jRbjT5_S1E_jjP12ihipStream_tbEUljE_ZNSN_ISO_Lb0ESQ_SR_ST_SU_SY_EESZ_S10_S11_S12_S16_S17_S18_S1B_S1C_jS1D_jS1E_S1E_jjS1G_bEUljE0_EEESZ_S10_S11_S18_S1C_S1E_T6_T7_T9_mT8_S1G_bDpT10_ENKUlT_T0_E_clISt17integral_constantIbLb1EES1U_EEDaS1P_S1Q_EUlS1P_E_NS1_11comp_targetILNS1_3genE10ELNS1_11target_archE1200ELNS1_3gpuE4ELNS1_3repE0EEENS1_30default_config_static_selectorELNS0_4arch9wavefront6targetE0EEEvS12_
		.amdhsa_group_segment_fixed_size 0
		.amdhsa_private_segment_fixed_size 0
		.amdhsa_kernarg_size 184
		.amdhsa_user_sgpr_count 15
		.amdhsa_user_sgpr_dispatch_ptr 0
		.amdhsa_user_sgpr_queue_ptr 0
		.amdhsa_user_sgpr_kernarg_segment_ptr 1
		.amdhsa_user_sgpr_dispatch_id 0
		.amdhsa_user_sgpr_private_segment_size 0
		.amdhsa_wavefront_size32 1
		.amdhsa_uses_dynamic_stack 0
		.amdhsa_enable_private_segment 0
		.amdhsa_system_sgpr_workgroup_id_x 1
		.amdhsa_system_sgpr_workgroup_id_y 0
		.amdhsa_system_sgpr_workgroup_id_z 0
		.amdhsa_system_sgpr_workgroup_info 0
		.amdhsa_system_vgpr_workitem_id 0
		.amdhsa_next_free_vgpr 1
		.amdhsa_next_free_sgpr 1
		.amdhsa_reserve_vcc 0
		.amdhsa_float_round_mode_32 0
		.amdhsa_float_round_mode_16_64 0
		.amdhsa_float_denorm_mode_32 3
		.amdhsa_float_denorm_mode_16_64 3
		.amdhsa_dx10_clamp 1
		.amdhsa_ieee_mode 1
		.amdhsa_fp16_overflow 0
		.amdhsa_workgroup_processor_mode 1
		.amdhsa_memory_ordered 1
		.amdhsa_forward_progress 0
		.amdhsa_shared_vgpr_count 0
		.amdhsa_exception_fp_ieee_invalid_op 0
		.amdhsa_exception_fp_denorm_src 0
		.amdhsa_exception_fp_ieee_div_zero 0
		.amdhsa_exception_fp_ieee_overflow 0
		.amdhsa_exception_fp_ieee_underflow 0
		.amdhsa_exception_fp_ieee_inexact 0
		.amdhsa_exception_int_div_zero 0
	.end_amdhsa_kernel
	.section	.text._ZN7rocprim17ROCPRIM_400000_NS6detail17trampoline_kernelINS0_13select_configILj256ELj13ELNS0_17block_load_methodE3ELS4_3ELS4_3ELNS0_20block_scan_algorithmE0ELj4294967295EEENS1_25partition_config_selectorILNS1_17partition_subalgoE4EjNS0_10empty_typeEbEEZZNS1_14partition_implILS8_4ELb0ES6_15HIP_vector_typeIjLj2EENS0_17counting_iteratorIjlEEPS9_SG_NS0_5tupleIJPjSI_NS0_16reverse_iteratorISI_EEEEENSH_IJSG_SG_SG_EEES9_SI_JZNS1_25segmented_radix_sort_implINS0_14default_configELb0EPKsPsPKlPlN2at6native12_GLOBAL__N_18offset_tEEE10hipError_tPvRmT1_PNSt15iterator_traitsIS12_E10value_typeET2_T3_PNS13_IS18_E10value_typeET4_jRbjT5_S1E_jjP12ihipStream_tbEUljE_ZNSN_ISO_Lb0ESQ_SR_ST_SU_SY_EESZ_S10_S11_S12_S16_S17_S18_S1B_S1C_jS1D_jS1E_S1E_jjS1G_bEUljE0_EEESZ_S10_S11_S18_S1C_S1E_T6_T7_T9_mT8_S1G_bDpT10_ENKUlT_T0_E_clISt17integral_constantIbLb1EES1U_EEDaS1P_S1Q_EUlS1P_E_NS1_11comp_targetILNS1_3genE10ELNS1_11target_archE1200ELNS1_3gpuE4ELNS1_3repE0EEENS1_30default_config_static_selectorELNS0_4arch9wavefront6targetE0EEEvS12_,"axG",@progbits,_ZN7rocprim17ROCPRIM_400000_NS6detail17trampoline_kernelINS0_13select_configILj256ELj13ELNS0_17block_load_methodE3ELS4_3ELS4_3ELNS0_20block_scan_algorithmE0ELj4294967295EEENS1_25partition_config_selectorILNS1_17partition_subalgoE4EjNS0_10empty_typeEbEEZZNS1_14partition_implILS8_4ELb0ES6_15HIP_vector_typeIjLj2EENS0_17counting_iteratorIjlEEPS9_SG_NS0_5tupleIJPjSI_NS0_16reverse_iteratorISI_EEEEENSH_IJSG_SG_SG_EEES9_SI_JZNS1_25segmented_radix_sort_implINS0_14default_configELb0EPKsPsPKlPlN2at6native12_GLOBAL__N_18offset_tEEE10hipError_tPvRmT1_PNSt15iterator_traitsIS12_E10value_typeET2_T3_PNS13_IS18_E10value_typeET4_jRbjT5_S1E_jjP12ihipStream_tbEUljE_ZNSN_ISO_Lb0ESQ_SR_ST_SU_SY_EESZ_S10_S11_S12_S16_S17_S18_S1B_S1C_jS1D_jS1E_S1E_jjS1G_bEUljE0_EEESZ_S10_S11_S18_S1C_S1E_T6_T7_T9_mT8_S1G_bDpT10_ENKUlT_T0_E_clISt17integral_constantIbLb1EES1U_EEDaS1P_S1Q_EUlS1P_E_NS1_11comp_targetILNS1_3genE10ELNS1_11target_archE1200ELNS1_3gpuE4ELNS1_3repE0EEENS1_30default_config_static_selectorELNS0_4arch9wavefront6targetE0EEEvS12_,comdat
.Lfunc_end963:
	.size	_ZN7rocprim17ROCPRIM_400000_NS6detail17trampoline_kernelINS0_13select_configILj256ELj13ELNS0_17block_load_methodE3ELS4_3ELS4_3ELNS0_20block_scan_algorithmE0ELj4294967295EEENS1_25partition_config_selectorILNS1_17partition_subalgoE4EjNS0_10empty_typeEbEEZZNS1_14partition_implILS8_4ELb0ES6_15HIP_vector_typeIjLj2EENS0_17counting_iteratorIjlEEPS9_SG_NS0_5tupleIJPjSI_NS0_16reverse_iteratorISI_EEEEENSH_IJSG_SG_SG_EEES9_SI_JZNS1_25segmented_radix_sort_implINS0_14default_configELb0EPKsPsPKlPlN2at6native12_GLOBAL__N_18offset_tEEE10hipError_tPvRmT1_PNSt15iterator_traitsIS12_E10value_typeET2_T3_PNS13_IS18_E10value_typeET4_jRbjT5_S1E_jjP12ihipStream_tbEUljE_ZNSN_ISO_Lb0ESQ_SR_ST_SU_SY_EESZ_S10_S11_S12_S16_S17_S18_S1B_S1C_jS1D_jS1E_S1E_jjS1G_bEUljE0_EEESZ_S10_S11_S18_S1C_S1E_T6_T7_T9_mT8_S1G_bDpT10_ENKUlT_T0_E_clISt17integral_constantIbLb1EES1U_EEDaS1P_S1Q_EUlS1P_E_NS1_11comp_targetILNS1_3genE10ELNS1_11target_archE1200ELNS1_3gpuE4ELNS1_3repE0EEENS1_30default_config_static_selectorELNS0_4arch9wavefront6targetE0EEEvS12_, .Lfunc_end963-_ZN7rocprim17ROCPRIM_400000_NS6detail17trampoline_kernelINS0_13select_configILj256ELj13ELNS0_17block_load_methodE3ELS4_3ELS4_3ELNS0_20block_scan_algorithmE0ELj4294967295EEENS1_25partition_config_selectorILNS1_17partition_subalgoE4EjNS0_10empty_typeEbEEZZNS1_14partition_implILS8_4ELb0ES6_15HIP_vector_typeIjLj2EENS0_17counting_iteratorIjlEEPS9_SG_NS0_5tupleIJPjSI_NS0_16reverse_iteratorISI_EEEEENSH_IJSG_SG_SG_EEES9_SI_JZNS1_25segmented_radix_sort_implINS0_14default_configELb0EPKsPsPKlPlN2at6native12_GLOBAL__N_18offset_tEEE10hipError_tPvRmT1_PNSt15iterator_traitsIS12_E10value_typeET2_T3_PNS13_IS18_E10value_typeET4_jRbjT5_S1E_jjP12ihipStream_tbEUljE_ZNSN_ISO_Lb0ESQ_SR_ST_SU_SY_EESZ_S10_S11_S12_S16_S17_S18_S1B_S1C_jS1D_jS1E_S1E_jjS1G_bEUljE0_EEESZ_S10_S11_S18_S1C_S1E_T6_T7_T9_mT8_S1G_bDpT10_ENKUlT_T0_E_clISt17integral_constantIbLb1EES1U_EEDaS1P_S1Q_EUlS1P_E_NS1_11comp_targetILNS1_3genE10ELNS1_11target_archE1200ELNS1_3gpuE4ELNS1_3repE0EEENS1_30default_config_static_selectorELNS0_4arch9wavefront6targetE0EEEvS12_
                                        ; -- End function
	.section	.AMDGPU.csdata,"",@progbits
; Kernel info:
; codeLenInByte = 0
; NumSgprs: 0
; NumVgprs: 0
; ScratchSize: 0
; MemoryBound: 0
; FloatMode: 240
; IeeeMode: 1
; LDSByteSize: 0 bytes/workgroup (compile time only)
; SGPRBlocks: 0
; VGPRBlocks: 0
; NumSGPRsForWavesPerEU: 1
; NumVGPRsForWavesPerEU: 1
; Occupancy: 16
; WaveLimiterHint : 0
; COMPUTE_PGM_RSRC2:SCRATCH_EN: 0
; COMPUTE_PGM_RSRC2:USER_SGPR: 15
; COMPUTE_PGM_RSRC2:TRAP_HANDLER: 0
; COMPUTE_PGM_RSRC2:TGID_X_EN: 1
; COMPUTE_PGM_RSRC2:TGID_Y_EN: 0
; COMPUTE_PGM_RSRC2:TGID_Z_EN: 0
; COMPUTE_PGM_RSRC2:TIDIG_COMP_CNT: 0
	.section	.text._ZN7rocprim17ROCPRIM_400000_NS6detail17trampoline_kernelINS0_13select_configILj256ELj13ELNS0_17block_load_methodE3ELS4_3ELS4_3ELNS0_20block_scan_algorithmE0ELj4294967295EEENS1_25partition_config_selectorILNS1_17partition_subalgoE4EjNS0_10empty_typeEbEEZZNS1_14partition_implILS8_4ELb0ES6_15HIP_vector_typeIjLj2EENS0_17counting_iteratorIjlEEPS9_SG_NS0_5tupleIJPjSI_NS0_16reverse_iteratorISI_EEEEENSH_IJSG_SG_SG_EEES9_SI_JZNS1_25segmented_radix_sort_implINS0_14default_configELb0EPKsPsPKlPlN2at6native12_GLOBAL__N_18offset_tEEE10hipError_tPvRmT1_PNSt15iterator_traitsIS12_E10value_typeET2_T3_PNS13_IS18_E10value_typeET4_jRbjT5_S1E_jjP12ihipStream_tbEUljE_ZNSN_ISO_Lb0ESQ_SR_ST_SU_SY_EESZ_S10_S11_S12_S16_S17_S18_S1B_S1C_jS1D_jS1E_S1E_jjS1G_bEUljE0_EEESZ_S10_S11_S18_S1C_S1E_T6_T7_T9_mT8_S1G_bDpT10_ENKUlT_T0_E_clISt17integral_constantIbLb1EES1U_EEDaS1P_S1Q_EUlS1P_E_NS1_11comp_targetILNS1_3genE9ELNS1_11target_archE1100ELNS1_3gpuE3ELNS1_3repE0EEENS1_30default_config_static_selectorELNS0_4arch9wavefront6targetE0EEEvS12_,"axG",@progbits,_ZN7rocprim17ROCPRIM_400000_NS6detail17trampoline_kernelINS0_13select_configILj256ELj13ELNS0_17block_load_methodE3ELS4_3ELS4_3ELNS0_20block_scan_algorithmE0ELj4294967295EEENS1_25partition_config_selectorILNS1_17partition_subalgoE4EjNS0_10empty_typeEbEEZZNS1_14partition_implILS8_4ELb0ES6_15HIP_vector_typeIjLj2EENS0_17counting_iteratorIjlEEPS9_SG_NS0_5tupleIJPjSI_NS0_16reverse_iteratorISI_EEEEENSH_IJSG_SG_SG_EEES9_SI_JZNS1_25segmented_radix_sort_implINS0_14default_configELb0EPKsPsPKlPlN2at6native12_GLOBAL__N_18offset_tEEE10hipError_tPvRmT1_PNSt15iterator_traitsIS12_E10value_typeET2_T3_PNS13_IS18_E10value_typeET4_jRbjT5_S1E_jjP12ihipStream_tbEUljE_ZNSN_ISO_Lb0ESQ_SR_ST_SU_SY_EESZ_S10_S11_S12_S16_S17_S18_S1B_S1C_jS1D_jS1E_S1E_jjS1G_bEUljE0_EEESZ_S10_S11_S18_S1C_S1E_T6_T7_T9_mT8_S1G_bDpT10_ENKUlT_T0_E_clISt17integral_constantIbLb1EES1U_EEDaS1P_S1Q_EUlS1P_E_NS1_11comp_targetILNS1_3genE9ELNS1_11target_archE1100ELNS1_3gpuE3ELNS1_3repE0EEENS1_30default_config_static_selectorELNS0_4arch9wavefront6targetE0EEEvS12_,comdat
	.globl	_ZN7rocprim17ROCPRIM_400000_NS6detail17trampoline_kernelINS0_13select_configILj256ELj13ELNS0_17block_load_methodE3ELS4_3ELS4_3ELNS0_20block_scan_algorithmE0ELj4294967295EEENS1_25partition_config_selectorILNS1_17partition_subalgoE4EjNS0_10empty_typeEbEEZZNS1_14partition_implILS8_4ELb0ES6_15HIP_vector_typeIjLj2EENS0_17counting_iteratorIjlEEPS9_SG_NS0_5tupleIJPjSI_NS0_16reverse_iteratorISI_EEEEENSH_IJSG_SG_SG_EEES9_SI_JZNS1_25segmented_radix_sort_implINS0_14default_configELb0EPKsPsPKlPlN2at6native12_GLOBAL__N_18offset_tEEE10hipError_tPvRmT1_PNSt15iterator_traitsIS12_E10value_typeET2_T3_PNS13_IS18_E10value_typeET4_jRbjT5_S1E_jjP12ihipStream_tbEUljE_ZNSN_ISO_Lb0ESQ_SR_ST_SU_SY_EESZ_S10_S11_S12_S16_S17_S18_S1B_S1C_jS1D_jS1E_S1E_jjS1G_bEUljE0_EEESZ_S10_S11_S18_S1C_S1E_T6_T7_T9_mT8_S1G_bDpT10_ENKUlT_T0_E_clISt17integral_constantIbLb1EES1U_EEDaS1P_S1Q_EUlS1P_E_NS1_11comp_targetILNS1_3genE9ELNS1_11target_archE1100ELNS1_3gpuE3ELNS1_3repE0EEENS1_30default_config_static_selectorELNS0_4arch9wavefront6targetE0EEEvS12_ ; -- Begin function _ZN7rocprim17ROCPRIM_400000_NS6detail17trampoline_kernelINS0_13select_configILj256ELj13ELNS0_17block_load_methodE3ELS4_3ELS4_3ELNS0_20block_scan_algorithmE0ELj4294967295EEENS1_25partition_config_selectorILNS1_17partition_subalgoE4EjNS0_10empty_typeEbEEZZNS1_14partition_implILS8_4ELb0ES6_15HIP_vector_typeIjLj2EENS0_17counting_iteratorIjlEEPS9_SG_NS0_5tupleIJPjSI_NS0_16reverse_iteratorISI_EEEEENSH_IJSG_SG_SG_EEES9_SI_JZNS1_25segmented_radix_sort_implINS0_14default_configELb0EPKsPsPKlPlN2at6native12_GLOBAL__N_18offset_tEEE10hipError_tPvRmT1_PNSt15iterator_traitsIS12_E10value_typeET2_T3_PNS13_IS18_E10value_typeET4_jRbjT5_S1E_jjP12ihipStream_tbEUljE_ZNSN_ISO_Lb0ESQ_SR_ST_SU_SY_EESZ_S10_S11_S12_S16_S17_S18_S1B_S1C_jS1D_jS1E_S1E_jjS1G_bEUljE0_EEESZ_S10_S11_S18_S1C_S1E_T6_T7_T9_mT8_S1G_bDpT10_ENKUlT_T0_E_clISt17integral_constantIbLb1EES1U_EEDaS1P_S1Q_EUlS1P_E_NS1_11comp_targetILNS1_3genE9ELNS1_11target_archE1100ELNS1_3gpuE3ELNS1_3repE0EEENS1_30default_config_static_selectorELNS0_4arch9wavefront6targetE0EEEvS12_
	.p2align	8
	.type	_ZN7rocprim17ROCPRIM_400000_NS6detail17trampoline_kernelINS0_13select_configILj256ELj13ELNS0_17block_load_methodE3ELS4_3ELS4_3ELNS0_20block_scan_algorithmE0ELj4294967295EEENS1_25partition_config_selectorILNS1_17partition_subalgoE4EjNS0_10empty_typeEbEEZZNS1_14partition_implILS8_4ELb0ES6_15HIP_vector_typeIjLj2EENS0_17counting_iteratorIjlEEPS9_SG_NS0_5tupleIJPjSI_NS0_16reverse_iteratorISI_EEEEENSH_IJSG_SG_SG_EEES9_SI_JZNS1_25segmented_radix_sort_implINS0_14default_configELb0EPKsPsPKlPlN2at6native12_GLOBAL__N_18offset_tEEE10hipError_tPvRmT1_PNSt15iterator_traitsIS12_E10value_typeET2_T3_PNS13_IS18_E10value_typeET4_jRbjT5_S1E_jjP12ihipStream_tbEUljE_ZNSN_ISO_Lb0ESQ_SR_ST_SU_SY_EESZ_S10_S11_S12_S16_S17_S18_S1B_S1C_jS1D_jS1E_S1E_jjS1G_bEUljE0_EEESZ_S10_S11_S18_S1C_S1E_T6_T7_T9_mT8_S1G_bDpT10_ENKUlT_T0_E_clISt17integral_constantIbLb1EES1U_EEDaS1P_S1Q_EUlS1P_E_NS1_11comp_targetILNS1_3genE9ELNS1_11target_archE1100ELNS1_3gpuE3ELNS1_3repE0EEENS1_30default_config_static_selectorELNS0_4arch9wavefront6targetE0EEEvS12_,@function
_ZN7rocprim17ROCPRIM_400000_NS6detail17trampoline_kernelINS0_13select_configILj256ELj13ELNS0_17block_load_methodE3ELS4_3ELS4_3ELNS0_20block_scan_algorithmE0ELj4294967295EEENS1_25partition_config_selectorILNS1_17partition_subalgoE4EjNS0_10empty_typeEbEEZZNS1_14partition_implILS8_4ELb0ES6_15HIP_vector_typeIjLj2EENS0_17counting_iteratorIjlEEPS9_SG_NS0_5tupleIJPjSI_NS0_16reverse_iteratorISI_EEEEENSH_IJSG_SG_SG_EEES9_SI_JZNS1_25segmented_radix_sort_implINS0_14default_configELb0EPKsPsPKlPlN2at6native12_GLOBAL__N_18offset_tEEE10hipError_tPvRmT1_PNSt15iterator_traitsIS12_E10value_typeET2_T3_PNS13_IS18_E10value_typeET4_jRbjT5_S1E_jjP12ihipStream_tbEUljE_ZNSN_ISO_Lb0ESQ_SR_ST_SU_SY_EESZ_S10_S11_S12_S16_S17_S18_S1B_S1C_jS1D_jS1E_S1E_jjS1G_bEUljE0_EEESZ_S10_S11_S18_S1C_S1E_T6_T7_T9_mT8_S1G_bDpT10_ENKUlT_T0_E_clISt17integral_constantIbLb1EES1U_EEDaS1P_S1Q_EUlS1P_E_NS1_11comp_targetILNS1_3genE9ELNS1_11target_archE1100ELNS1_3gpuE3ELNS1_3repE0EEENS1_30default_config_static_selectorELNS0_4arch9wavefront6targetE0EEEvS12_: ; @_ZN7rocprim17ROCPRIM_400000_NS6detail17trampoline_kernelINS0_13select_configILj256ELj13ELNS0_17block_load_methodE3ELS4_3ELS4_3ELNS0_20block_scan_algorithmE0ELj4294967295EEENS1_25partition_config_selectorILNS1_17partition_subalgoE4EjNS0_10empty_typeEbEEZZNS1_14partition_implILS8_4ELb0ES6_15HIP_vector_typeIjLj2EENS0_17counting_iteratorIjlEEPS9_SG_NS0_5tupleIJPjSI_NS0_16reverse_iteratorISI_EEEEENSH_IJSG_SG_SG_EEES9_SI_JZNS1_25segmented_radix_sort_implINS0_14default_configELb0EPKsPsPKlPlN2at6native12_GLOBAL__N_18offset_tEEE10hipError_tPvRmT1_PNSt15iterator_traitsIS12_E10value_typeET2_T3_PNS13_IS18_E10value_typeET4_jRbjT5_S1E_jjP12ihipStream_tbEUljE_ZNSN_ISO_Lb0ESQ_SR_ST_SU_SY_EESZ_S10_S11_S12_S16_S17_S18_S1B_S1C_jS1D_jS1E_S1E_jjS1G_bEUljE0_EEESZ_S10_S11_S18_S1C_S1E_T6_T7_T9_mT8_S1G_bDpT10_ENKUlT_T0_E_clISt17integral_constantIbLb1EES1U_EEDaS1P_S1Q_EUlS1P_E_NS1_11comp_targetILNS1_3genE9ELNS1_11target_archE1100ELNS1_3gpuE3ELNS1_3repE0EEENS1_30default_config_static_selectorELNS0_4arch9wavefront6targetE0EEEvS12_
; %bb.0:
	s_clause 0x7
	s_load_b64 s[34:35], s[0:1], 0x10
	s_load_b128 s[28:31], s[0:1], 0x28
	s_load_b64 s[14:15], s[0:1], 0x38
	s_load_b128 s[24:27], s[0:1], 0x58
	s_load_b64 s[4:5], s[0:1], 0x68
	s_load_b64 s[36:37], s[0:1], 0x78
	s_load_b64 s[38:39], s[0:1], 0xb0
	s_load_b256 s[16:23], s[0:1], 0x90
	v_cmp_eq_u32_e64 s2, 0, v0
	s_delay_alu instid0(VALU_DEP_1)
	s_and_saveexec_b32 s3, s2
	s_cbranch_execz .LBB964_4
; %bb.1:
	s_mov_b32 s7, exec_lo
	s_mov_b32 s6, exec_lo
	v_mbcnt_lo_u32_b32 v1, s7, 0
                                        ; implicit-def: $vgpr2
	s_delay_alu instid0(VALU_DEP_1)
	v_cmpx_eq_u32_e32 0, v1
	s_cbranch_execz .LBB964_3
; %bb.2:
	s_load_b64 s[8:9], s[0:1], 0x88
	s_bcnt1_i32_b32 s7, s7
	s_delay_alu instid0(SALU_CYCLE_1)
	v_dual_mov_b32 v2, 0 :: v_dual_mov_b32 v3, s7
	s_waitcnt lgkmcnt(0)
	global_atomic_add_u32 v2, v2, v3, s[8:9] glc
.LBB964_3:
	s_or_b32 exec_lo, exec_lo, s6
	s_waitcnt vmcnt(0)
	v_readfirstlane_b32 s6, v2
	s_delay_alu instid0(VALU_DEP_1)
	v_dual_mov_b32 v2, 0 :: v_dual_add_nc_u32 v1, s6, v1
	ds_store_b32 v2, v1
.LBB964_4:
	s_or_b32 exec_lo, exec_lo, s3
	v_mov_b32_e32 v1, 0
	s_clause 0x1
	s_load_b32 s3, s[0:1], 0x8
	s_load_b32 s0, s[0:1], 0x80
	s_waitcnt lgkmcnt(0)
	s_barrier
	buffer_gl0_inv
	ds_load_b32 v5, v1
	s_waitcnt lgkmcnt(0)
	s_barrier
	buffer_gl0_inv
	global_load_b128 v[1:4], v1, s[26:27]
	s_add_i32 s3, s3, s34
	s_mul_i32 s1, s0, 0xd00
	s_add_i32 s0, s0, -1
	s_add_u32 s6, s34, s1
	s_addc_u32 s7, s35, 0
	v_mul_lo_u32 v30, 0xd00, v5
	v_readfirstlane_b32 s26, v5
	v_cmp_lt_u64_e64 s5, s[6:7], s[4:5]
	v_cmp_ne_u32_e32 vcc_lo, s0, v5
	s_delay_alu instid0(VALU_DEP_3) | instskip(SKIP_1) | instid1(VALU_DEP_4)
	s_cmp_eq_u32 s26, s0
	s_cselect_b32 s13, -1, 0
	v_add3_u32 v5, v30, s3, v0
	s_delay_alu instid0(VALU_DEP_3) | instskip(SKIP_2) | instid1(VALU_DEP_1)
	s_or_b32 s0, s5, vcc_lo
	s_mov_b32 s3, -1
	s_and_b32 vcc_lo, exec_lo, s0
	v_add_nc_u32_e32 v6, 0x100, v5
	v_add_nc_u32_e32 v7, 0x200, v5
	;; [unrolled: 1-line block ×12, first 2 shown]
	s_cbranch_vccz .LBB964_6
; %bb.5:
	v_lshlrev_b32_e32 v18, 2, v0
	s_mov_b32 s3, 0
	ds_store_2addr_stride64_b32 v18, v5, v6 offset1:4
	ds_store_2addr_stride64_b32 v18, v7, v8 offset0:8 offset1:12
	ds_store_2addr_stride64_b32 v18, v9, v10 offset0:16 offset1:20
	;; [unrolled: 1-line block ×5, first 2 shown]
	ds_store_b32 v18, v17 offset:12288
	s_waitcnt vmcnt(0) lgkmcnt(0)
	s_barrier
.LBB964_6:
	s_and_not1_b32 vcc_lo, exec_lo, s3
	s_add_i32 s1, s1, s34
	s_cbranch_vccnz .LBB964_8
; %bb.7:
	v_lshlrev_b32_e32 v18, 2, v0
	ds_store_2addr_stride64_b32 v18, v5, v6 offset1:4
	ds_store_2addr_stride64_b32 v18, v7, v8 offset0:8 offset1:12
	ds_store_2addr_stride64_b32 v18, v9, v10 offset0:16 offset1:20
	;; [unrolled: 1-line block ×5, first 2 shown]
	ds_store_b32 v18, v17 offset:12288
	s_waitcnt vmcnt(0) lgkmcnt(0)
	s_barrier
.LBB964_8:
	v_mul_u32_u24_e32 v33, 13, v0
	s_waitcnt vmcnt(0)
	buffer_gl0_inv
	v_cndmask_b32_e64 v31, 0, 1, s0
	s_sub_i32 s40, s4, s1
	s_and_not1_b32 vcc_lo, exec_lo, s0
	v_lshlrev_b32_e32 v5, 2, v33
	ds_load_2addr_b32 v[20:21], v5 offset1:1
	ds_load_2addr_b32 v[18:19], v5 offset0:2 offset1:3
	ds_load_2addr_b32 v[16:17], v5 offset0:4 offset1:5
	;; [unrolled: 1-line block ×5, first 2 shown]
	ds_load_b32 v32, v5 offset:48
	s_waitcnt lgkmcnt(0)
	s_barrier
	buffer_gl0_inv
	s_cbranch_vccnz .LBB964_36
; %bb.9:
	v_add_nc_u32_e32 v5, s17, v20
	v_add_nc_u32_e32 v6, s19, v20
	s_mov_b32 s42, 0
	s_mov_b32 s41, 0
	s_mov_b32 s1, exec_lo
	v_mul_lo_u32 v5, v5, s16
	v_mul_lo_u32 v6, v6, s18
	s_delay_alu instid0(VALU_DEP_1) | instskip(NEXT) | instid1(VALU_DEP_1)
	v_sub_nc_u32_e32 v5, v5, v6
	v_cmp_lt_u32_e32 vcc_lo, s20, v5
	v_cmpx_ge_u32_e64 s20, v5
; %bb.10:
	v_add_nc_u32_e32 v5, s22, v20
	v_add_nc_u32_e32 v6, s38, v20
	s_delay_alu instid0(VALU_DEP_2) | instskip(NEXT) | instid1(VALU_DEP_2)
	v_mul_lo_u32 v5, v5, s21
	v_mul_lo_u32 v6, v6, s23
	s_delay_alu instid0(VALU_DEP_1) | instskip(NEXT) | instid1(VALU_DEP_1)
	v_sub_nc_u32_e32 v5, v5, v6
	v_cmp_lt_u32_e64 s0, s39, v5
	s_delay_alu instid0(VALU_DEP_1)
	s_and_b32 s41, s0, exec_lo
; %bb.11:
	s_or_b32 exec_lo, exec_lo, s1
	v_add_nc_u32_e32 v5, s17, v21
	v_add_nc_u32_e32 v6, s19, v21
	s_mov_b32 s3, exec_lo
	s_delay_alu instid0(VALU_DEP_2) | instskip(NEXT) | instid1(VALU_DEP_2)
	v_mul_lo_u32 v5, v5, s16
	v_mul_lo_u32 v6, v6, s18
	s_delay_alu instid0(VALU_DEP_1) | instskip(NEXT) | instid1(VALU_DEP_1)
	v_sub_nc_u32_e32 v5, v5, v6
	v_cmp_lt_u32_e64 s0, s20, v5
	v_cmpx_ge_u32_e64 s20, v5
; %bb.12:
	v_add_nc_u32_e32 v5, s22, v21
	v_add_nc_u32_e32 v6, s38, v21
	s_delay_alu instid0(VALU_DEP_2) | instskip(NEXT) | instid1(VALU_DEP_2)
	v_mul_lo_u32 v5, v5, s21
	v_mul_lo_u32 v6, v6, s23
	s_delay_alu instid0(VALU_DEP_1) | instskip(NEXT) | instid1(VALU_DEP_1)
	v_sub_nc_u32_e32 v5, v5, v6
	v_cmp_lt_u32_e64 s1, s39, v5
	s_delay_alu instid0(VALU_DEP_1)
	s_and_b32 s42, s1, exec_lo
; %bb.13:
	s_or_b32 exec_lo, exec_lo, s3
	v_add_nc_u32_e32 v5, s17, v18
	v_add_nc_u32_e32 v6, s19, v18
	s_mov_b32 s44, 0
	s_mov_b32 s43, 0
	s_mov_b32 s4, exec_lo
	v_mul_lo_u32 v5, v5, s16
	v_mul_lo_u32 v6, v6, s18
	s_delay_alu instid0(VALU_DEP_1) | instskip(NEXT) | instid1(VALU_DEP_1)
	v_sub_nc_u32_e32 v5, v5, v6
	v_cmp_lt_u32_e64 s1, s20, v5
	v_cmpx_ge_u32_e64 s20, v5
; %bb.14:
	v_add_nc_u32_e32 v5, s22, v18
	v_add_nc_u32_e32 v6, s38, v18
	s_delay_alu instid0(VALU_DEP_2) | instskip(NEXT) | instid1(VALU_DEP_2)
	v_mul_lo_u32 v5, v5, s21
	v_mul_lo_u32 v6, v6, s23
	s_delay_alu instid0(VALU_DEP_1) | instskip(NEXT) | instid1(VALU_DEP_1)
	v_sub_nc_u32_e32 v5, v5, v6
	v_cmp_lt_u32_e64 s3, s39, v5
	s_delay_alu instid0(VALU_DEP_1)
	s_and_b32 s43, s3, exec_lo
; %bb.15:
	s_or_b32 exec_lo, exec_lo, s4
	v_add_nc_u32_e32 v5, s17, v19
	v_add_nc_u32_e32 v6, s19, v19
	s_mov_b32 s5, exec_lo
	s_delay_alu instid0(VALU_DEP_2) | instskip(NEXT) | instid1(VALU_DEP_2)
	v_mul_lo_u32 v5, v5, s16
	v_mul_lo_u32 v6, v6, s18
	s_delay_alu instid0(VALU_DEP_1) | instskip(NEXT) | instid1(VALU_DEP_1)
	v_sub_nc_u32_e32 v5, v5, v6
	v_cmp_lt_u32_e64 s3, s20, v5
	v_cmpx_ge_u32_e64 s20, v5
; %bb.16:
	v_add_nc_u32_e32 v5, s22, v19
	v_add_nc_u32_e32 v6, s38, v19
	s_delay_alu instid0(VALU_DEP_2) | instskip(NEXT) | instid1(VALU_DEP_2)
	v_mul_lo_u32 v5, v5, s21
	v_mul_lo_u32 v6, v6, s23
	s_delay_alu instid0(VALU_DEP_1) | instskip(NEXT) | instid1(VALU_DEP_1)
	v_sub_nc_u32_e32 v5, v5, v6
	v_cmp_lt_u32_e64 s4, s39, v5
	s_delay_alu instid0(VALU_DEP_1)
	s_and_b32 s44, s4, exec_lo
; %bb.17:
	s_or_b32 exec_lo, exec_lo, s5
	v_add_nc_u32_e32 v5, s17, v16
	v_add_nc_u32_e32 v6, s19, v16
	s_mov_b32 s46, 0
	s_mov_b32 s45, 0
	s_mov_b32 s6, exec_lo
	v_mul_lo_u32 v5, v5, s16
	v_mul_lo_u32 v6, v6, s18
	s_delay_alu instid0(VALU_DEP_1) | instskip(NEXT) | instid1(VALU_DEP_1)
	v_sub_nc_u32_e32 v5, v5, v6
	v_cmp_lt_u32_e64 s4, s20, v5
	;; [unrolled: 47-line block ×5, first 2 shown]
	v_cmpx_ge_u32_e64 s20, v5
; %bb.30:
	v_add_nc_u32_e32 v5, s22, v10
	v_add_nc_u32_e32 v6, s38, v10
	s_delay_alu instid0(VALU_DEP_2) | instskip(NEXT) | instid1(VALU_DEP_2)
	v_mul_lo_u32 v5, v5, s21
	v_mul_lo_u32 v6, v6, s23
	s_delay_alu instid0(VALU_DEP_1) | instskip(NEXT) | instid1(VALU_DEP_1)
	v_sub_nc_u32_e32 v5, v5, v6
	v_cmp_lt_u32_e64 s11, s39, v5
	s_delay_alu instid0(VALU_DEP_1)
	s_and_b32 s53, s11, exec_lo
; %bb.31:
	s_or_b32 exec_lo, exec_lo, s12
	v_add_nc_u32_e32 v5, s17, v11
	v_add_nc_u32_e32 v6, s19, v11
	s_mov_b32 s27, exec_lo
	s_delay_alu instid0(VALU_DEP_2) | instskip(NEXT) | instid1(VALU_DEP_2)
	v_mul_lo_u32 v5, v5, s16
	v_mul_lo_u32 v6, v6, s18
	s_delay_alu instid0(VALU_DEP_1) | instskip(NEXT) | instid1(VALU_DEP_1)
	v_sub_nc_u32_e32 v5, v5, v6
	v_cmp_lt_u32_e64 s11, s20, v5
	v_cmpx_ge_u32_e64 s20, v5
; %bb.32:
	v_add_nc_u32_e32 v5, s22, v11
	v_add_nc_u32_e32 v6, s38, v11
	s_delay_alu instid0(VALU_DEP_2) | instskip(NEXT) | instid1(VALU_DEP_2)
	v_mul_lo_u32 v5, v5, s21
	v_mul_lo_u32 v6, v6, s23
	s_delay_alu instid0(VALU_DEP_1) | instskip(NEXT) | instid1(VALU_DEP_1)
	v_sub_nc_u32_e32 v5, v5, v6
	v_cmp_lt_u32_e64 s12, s39, v5
	s_delay_alu instid0(VALU_DEP_1)
	s_and_b32 s52, s12, exec_lo
; %bb.33:
	s_or_b32 exec_lo, exec_lo, s27
	v_add_nc_u32_e32 v5, s17, v32
	v_add_nc_u32_e32 v6, s19, v32
	s_mov_b32 s27, -1
	s_mov_b32 s49, 0
	s_mov_b32 s33, 0
	v_mul_lo_u32 v5, v5, s16
	v_mul_lo_u32 v6, v6, s18
	s_mov_b32 s54, exec_lo
	s_delay_alu instid0(VALU_DEP_1) | instskip(NEXT) | instid1(VALU_DEP_1)
	v_sub_nc_u32_e32 v5, v5, v6
	v_cmpx_ge_u32_e64 s20, v5
; %bb.34:
	v_add_nc_u32_e32 v5, s22, v32
	v_add_nc_u32_e32 v6, s38, v32
	s_xor_b32 s27, exec_lo, -1
	s_delay_alu instid0(VALU_DEP_2) | instskip(NEXT) | instid1(VALU_DEP_2)
	v_mul_lo_u32 v5, v5, s21
	v_mul_lo_u32 v6, v6, s23
	s_delay_alu instid0(VALU_DEP_1) | instskip(NEXT) | instid1(VALU_DEP_1)
	v_sub_nc_u32_e32 v5, v5, v6
	v_cmp_lt_u32_e64 s12, s39, v5
	s_delay_alu instid0(VALU_DEP_1)
	s_and_b32 s33, s12, exec_lo
; %bb.35:
	s_or_b32 exec_lo, exec_lo, s54
	v_cndmask_b32_e64 v53, 0, 1, s53
	v_cndmask_b32_e64 v56, 0, 1, s11
	;; [unrolled: 1-line block ×22, first 2 shown]
	v_cndmask_b32_e64 v34, 0, 1, vcc_lo
	v_cndmask_b32_e64 v57, 0, 1, s52
	s_and_b32 vcc_lo, exec_lo, s49
	s_add_i32 s4, s40, 0xd00
	s_cbranch_vccnz .LBB964_37
	s_branch .LBB964_90
.LBB964_36:
                                        ; implicit-def: $sgpr27
                                        ; implicit-def: $sgpr33
                                        ; implicit-def: $vgpr57
                                        ; implicit-def: $vgpr53
                                        ; implicit-def: $vgpr52
                                        ; implicit-def: $vgpr50
                                        ; implicit-def: $vgpr48
                                        ; implicit-def: $vgpr46
                                        ; implicit-def: $vgpr44
                                        ; implicit-def: $vgpr42
                                        ; implicit-def: $vgpr39
                                        ; implicit-def: $vgpr34
                                        ; implicit-def: $vgpr37
                                        ; implicit-def: $vgpr36
                                        ; implicit-def: $vgpr41
                                        ; implicit-def: $vgpr43
                                        ; implicit-def: $vgpr45
                                        ; implicit-def: $vgpr47
                                        ; implicit-def: $vgpr49
                                        ; implicit-def: $vgpr51
                                        ; implicit-def: $vgpr54
                                        ; implicit-def: $vgpr55
                                        ; implicit-def: $vgpr56
                                        ; implicit-def: $vgpr35
                                        ; implicit-def: $vgpr40
                                        ; implicit-def: $vgpr38
	s_add_i32 s4, s40, 0xd00
	s_cbranch_execz .LBB964_90
.LBB964_37:
	v_dual_mov_b32 v35, 0 :: v_dual_mov_b32 v34, 0
	s_mov_b32 s3, 0
	s_mov_b32 s1, exec_lo
	v_cmpx_gt_u32_e64 s4, v33
	s_cbranch_execz .LBB964_41
; %bb.38:
	v_add_nc_u32_e32 v5, s17, v20
	v_add_nc_u32_e32 v6, s19, v20
	s_mov_b32 s5, exec_lo
	s_delay_alu instid0(VALU_DEP_2) | instskip(NEXT) | instid1(VALU_DEP_2)
	v_mul_lo_u32 v5, v5, s16
	v_mul_lo_u32 v6, v6, s18
	s_delay_alu instid0(VALU_DEP_1) | instskip(NEXT) | instid1(VALU_DEP_1)
	v_sub_nc_u32_e32 v5, v5, v6
	v_cmp_lt_u32_e32 vcc_lo, s20, v5
	v_cmpx_ge_u32_e64 s20, v5
; %bb.39:
	v_add_nc_u32_e32 v5, s22, v20
	v_add_nc_u32_e32 v6, s38, v20
	s_delay_alu instid0(VALU_DEP_2) | instskip(NEXT) | instid1(VALU_DEP_2)
	v_mul_lo_u32 v5, v5, s21
	v_mul_lo_u32 v6, v6, s23
	s_delay_alu instid0(VALU_DEP_1) | instskip(NEXT) | instid1(VALU_DEP_1)
	v_sub_nc_u32_e32 v5, v5, v6
	v_cmp_lt_u32_e64 s0, s39, v5
	s_delay_alu instid0(VALU_DEP_1)
	s_and_b32 s3, s0, exec_lo
; %bb.40:
	s_or_b32 exec_lo, exec_lo, s5
	v_cndmask_b32_e64 v34, 0, 1, vcc_lo
	v_cndmask_b32_e64 v35, 0, 1, s3
.LBB964_41:
	s_or_b32 exec_lo, exec_lo, s1
	v_dual_mov_b32 v40, 0 :: v_dual_add_nc_u32 v5, 1, v33
	v_mov_b32_e32 v37, 0
	s_mov_b32 s3, 0
	s_mov_b32 s1, exec_lo
	s_delay_alu instid0(VALU_DEP_2)
	v_cmpx_gt_u32_e64 s4, v5
	s_cbranch_execz .LBB964_45
; %bb.42:
	v_add_nc_u32_e32 v5, s17, v21
	v_add_nc_u32_e32 v6, s19, v21
	s_mov_b32 s5, exec_lo
	s_delay_alu instid0(VALU_DEP_2) | instskip(NEXT) | instid1(VALU_DEP_2)
	v_mul_lo_u32 v5, v5, s16
	v_mul_lo_u32 v6, v6, s18
	s_delay_alu instid0(VALU_DEP_1) | instskip(NEXT) | instid1(VALU_DEP_1)
	v_sub_nc_u32_e32 v5, v5, v6
	v_cmp_lt_u32_e32 vcc_lo, s20, v5
	v_cmpx_ge_u32_e64 s20, v5
; %bb.43:
	v_add_nc_u32_e32 v5, s22, v21
	v_add_nc_u32_e32 v6, s38, v21
	s_delay_alu instid0(VALU_DEP_2) | instskip(NEXT) | instid1(VALU_DEP_2)
	v_mul_lo_u32 v5, v5, s21
	v_mul_lo_u32 v6, v6, s23
	s_delay_alu instid0(VALU_DEP_1) | instskip(NEXT) | instid1(VALU_DEP_1)
	v_sub_nc_u32_e32 v5, v5, v6
	v_cmp_lt_u32_e64 s0, s39, v5
	s_delay_alu instid0(VALU_DEP_1)
	s_and_b32 s3, s0, exec_lo
; %bb.44:
	s_or_b32 exec_lo, exec_lo, s5
	v_cndmask_b32_e64 v37, 0, 1, vcc_lo
	v_cndmask_b32_e64 v40, 0, 1, s3
.LBB964_45:
	s_or_b32 exec_lo, exec_lo, s1
	v_dual_mov_b32 v36, 0 :: v_dual_add_nc_u32 v5, 2, v33
	v_mov_b32_e32 v38, 0
	s_mov_b32 s3, 0
	s_mov_b32 s1, exec_lo
	s_delay_alu instid0(VALU_DEP_2)
	v_cmpx_gt_u32_e64 s4, v5
	s_cbranch_execz .LBB964_49
; %bb.46:
	v_add_nc_u32_e32 v5, s17, v18
	v_add_nc_u32_e32 v6, s19, v18
	s_mov_b32 s5, exec_lo
	s_delay_alu instid0(VALU_DEP_2) | instskip(NEXT) | instid1(VALU_DEP_2)
	v_mul_lo_u32 v5, v5, s16
	v_mul_lo_u32 v6, v6, s18
	s_delay_alu instid0(VALU_DEP_1) | instskip(NEXT) | instid1(VALU_DEP_1)
	v_sub_nc_u32_e32 v5, v5, v6
	v_cmp_lt_u32_e32 vcc_lo, s20, v5
	v_cmpx_ge_u32_e64 s20, v5
; %bb.47:
	v_add_nc_u32_e32 v5, s22, v18
	v_add_nc_u32_e32 v6, s38, v18
	s_delay_alu instid0(VALU_DEP_2) | instskip(NEXT) | instid1(VALU_DEP_2)
	v_mul_lo_u32 v5, v5, s21
	v_mul_lo_u32 v6, v6, s23
	s_delay_alu instid0(VALU_DEP_1) | instskip(NEXT) | instid1(VALU_DEP_1)
	v_sub_nc_u32_e32 v5, v5, v6
	v_cmp_lt_u32_e64 s0, s39, v5
	s_delay_alu instid0(VALU_DEP_1)
	s_and_b32 s3, s0, exec_lo
; %bb.48:
	s_or_b32 exec_lo, exec_lo, s5
	v_cndmask_b32_e64 v36, 0, 1, vcc_lo
	v_cndmask_b32_e64 v38, 0, 1, s3
.LBB964_49:
	s_or_b32 exec_lo, exec_lo, s1
	v_add_nc_u32_e32 v5, 3, v33
	v_mov_b32_e32 v39, 0
	v_mov_b32_e32 v41, 0
	s_mov_b32 s3, 0
	s_mov_b32 s1, exec_lo
	v_cmpx_gt_u32_e64 s4, v5
	s_cbranch_execz .LBB964_53
; %bb.50:
	v_add_nc_u32_e32 v5, s17, v19
	v_add_nc_u32_e32 v6, s19, v19
	s_mov_b32 s5, exec_lo
	s_delay_alu instid0(VALU_DEP_2) | instskip(NEXT) | instid1(VALU_DEP_2)
	v_mul_lo_u32 v5, v5, s16
	v_mul_lo_u32 v6, v6, s18
	s_delay_alu instid0(VALU_DEP_1) | instskip(NEXT) | instid1(VALU_DEP_1)
	v_sub_nc_u32_e32 v5, v5, v6
	v_cmp_lt_u32_e32 vcc_lo, s20, v5
	v_cmpx_ge_u32_e64 s20, v5
; %bb.51:
	v_add_nc_u32_e32 v5, s22, v19
	v_add_nc_u32_e32 v6, s38, v19
	s_delay_alu instid0(VALU_DEP_2) | instskip(NEXT) | instid1(VALU_DEP_2)
	v_mul_lo_u32 v5, v5, s21
	v_mul_lo_u32 v6, v6, s23
	s_delay_alu instid0(VALU_DEP_1) | instskip(NEXT) | instid1(VALU_DEP_1)
	v_sub_nc_u32_e32 v5, v5, v6
	v_cmp_lt_u32_e64 s0, s39, v5
	s_delay_alu instid0(VALU_DEP_1)
	s_and_b32 s3, s0, exec_lo
; %bb.52:
	s_or_b32 exec_lo, exec_lo, s5
	v_cndmask_b32_e64 v41, 0, 1, vcc_lo
	v_cndmask_b32_e64 v39, 0, 1, s3
.LBB964_53:
	s_or_b32 exec_lo, exec_lo, s1
	v_dual_mov_b32 v42, 0 :: v_dual_add_nc_u32 v5, 4, v33
	v_mov_b32_e32 v43, 0
	s_mov_b32 s3, 0
	s_mov_b32 s1, exec_lo
	s_delay_alu instid0(VALU_DEP_2)
	v_cmpx_gt_u32_e64 s4, v5
	s_cbranch_execz .LBB964_57
; %bb.54:
	v_add_nc_u32_e32 v5, s17, v16
	v_add_nc_u32_e32 v6, s19, v16
	s_mov_b32 s5, exec_lo
	s_delay_alu instid0(VALU_DEP_2) | instskip(NEXT) | instid1(VALU_DEP_2)
	v_mul_lo_u32 v5, v5, s16
	v_mul_lo_u32 v6, v6, s18
	s_delay_alu instid0(VALU_DEP_1) | instskip(NEXT) | instid1(VALU_DEP_1)
	v_sub_nc_u32_e32 v5, v5, v6
	v_cmp_lt_u32_e32 vcc_lo, s20, v5
	v_cmpx_ge_u32_e64 s20, v5
; %bb.55:
	v_add_nc_u32_e32 v5, s22, v16
	v_add_nc_u32_e32 v6, s38, v16
	s_delay_alu instid0(VALU_DEP_2) | instskip(NEXT) | instid1(VALU_DEP_2)
	v_mul_lo_u32 v5, v5, s21
	v_mul_lo_u32 v6, v6, s23
	s_delay_alu instid0(VALU_DEP_1) | instskip(NEXT) | instid1(VALU_DEP_1)
	v_sub_nc_u32_e32 v5, v5, v6
	v_cmp_lt_u32_e64 s0, s39, v5
	s_delay_alu instid0(VALU_DEP_1)
	s_and_b32 s3, s0, exec_lo
; %bb.56:
	s_or_b32 exec_lo, exec_lo, s5
	v_cndmask_b32_e64 v43, 0, 1, vcc_lo
	v_cndmask_b32_e64 v42, 0, 1, s3
.LBB964_57:
	s_or_b32 exec_lo, exec_lo, s1
	v_dual_mov_b32 v44, 0 :: v_dual_add_nc_u32 v5, 5, v33
	v_mov_b32_e32 v45, 0
	s_mov_b32 s3, 0
	s_mov_b32 s1, exec_lo
	s_delay_alu instid0(VALU_DEP_2)
	;; [unrolled: 35-line block ×6, first 2 shown]
	v_cmpx_gt_u32_e64 s4, v5
	s_cbranch_execz .LBB964_77
; %bb.74:
	v_add_nc_u32_e32 v5, s17, v13
	v_add_nc_u32_e32 v6, s19, v13
	s_mov_b32 s5, exec_lo
	s_delay_alu instid0(VALU_DEP_2) | instskip(NEXT) | instid1(VALU_DEP_2)
	v_mul_lo_u32 v5, v5, s16
	v_mul_lo_u32 v6, v6, s18
	s_delay_alu instid0(VALU_DEP_1) | instskip(NEXT) | instid1(VALU_DEP_1)
	v_sub_nc_u32_e32 v5, v5, v6
	v_cmp_lt_u32_e32 vcc_lo, s20, v5
	v_cmpx_ge_u32_e64 s20, v5
; %bb.75:
	v_add_nc_u32_e32 v5, s22, v13
	v_add_nc_u32_e32 v6, s38, v13
	s_delay_alu instid0(VALU_DEP_2) | instskip(NEXT) | instid1(VALU_DEP_2)
	v_mul_lo_u32 v5, v5, s21
	v_mul_lo_u32 v6, v6, s23
	s_delay_alu instid0(VALU_DEP_1) | instskip(NEXT) | instid1(VALU_DEP_1)
	v_sub_nc_u32_e32 v5, v5, v6
	v_cmp_lt_u32_e64 s0, s39, v5
	s_delay_alu instid0(VALU_DEP_1)
	s_and_b32 s3, s0, exec_lo
; %bb.76:
	s_or_b32 exec_lo, exec_lo, s5
	v_cndmask_b32_e64 v54, 0, 1, vcc_lo
	v_cndmask_b32_e64 v52, 0, 1, s3
.LBB964_77:
	s_or_b32 exec_lo, exec_lo, s1
	v_add_nc_u32_e32 v5, 10, v33
	v_mov_b32_e32 v53, 0
	v_mov_b32_e32 v55, 0
	s_mov_b32 s3, 0
	s_mov_b32 s1, exec_lo
	v_cmpx_gt_u32_e64 s4, v5
	s_cbranch_execz .LBB964_81
; %bb.78:
	v_add_nc_u32_e32 v5, s17, v10
	v_add_nc_u32_e32 v6, s19, v10
	s_mov_b32 s5, exec_lo
	s_delay_alu instid0(VALU_DEP_2) | instskip(NEXT) | instid1(VALU_DEP_2)
	v_mul_lo_u32 v5, v5, s16
	v_mul_lo_u32 v6, v6, s18
	s_delay_alu instid0(VALU_DEP_1) | instskip(NEXT) | instid1(VALU_DEP_1)
	v_sub_nc_u32_e32 v5, v5, v6
	v_cmp_lt_u32_e32 vcc_lo, s20, v5
	v_cmpx_ge_u32_e64 s20, v5
; %bb.79:
	v_add_nc_u32_e32 v5, s22, v10
	v_add_nc_u32_e32 v6, s38, v10
	s_delay_alu instid0(VALU_DEP_2) | instskip(NEXT) | instid1(VALU_DEP_2)
	v_mul_lo_u32 v5, v5, s21
	v_mul_lo_u32 v6, v6, s23
	s_delay_alu instid0(VALU_DEP_1) | instskip(NEXT) | instid1(VALU_DEP_1)
	v_sub_nc_u32_e32 v5, v5, v6
	v_cmp_lt_u32_e64 s0, s39, v5
	s_delay_alu instid0(VALU_DEP_1)
	s_and_b32 s3, s0, exec_lo
; %bb.80:
	s_or_b32 exec_lo, exec_lo, s5
	v_cndmask_b32_e64 v55, 0, 1, vcc_lo
	v_cndmask_b32_e64 v53, 0, 1, s3
.LBB964_81:
	s_or_b32 exec_lo, exec_lo, s1
	v_dual_mov_b32 v56, 0 :: v_dual_add_nc_u32 v5, 11, v33
	v_mov_b32_e32 v57, 0
	s_mov_b32 s3, 0
	s_mov_b32 s1, exec_lo
	s_delay_alu instid0(VALU_DEP_2)
	v_cmpx_gt_u32_e64 s4, v5
	s_cbranch_execz .LBB964_85
; %bb.82:
	v_add_nc_u32_e32 v5, s17, v11
	v_add_nc_u32_e32 v6, s19, v11
	s_mov_b32 s5, exec_lo
	s_delay_alu instid0(VALU_DEP_2) | instskip(NEXT) | instid1(VALU_DEP_2)
	v_mul_lo_u32 v5, v5, s16
	v_mul_lo_u32 v6, v6, s18
	s_delay_alu instid0(VALU_DEP_1) | instskip(NEXT) | instid1(VALU_DEP_1)
	v_sub_nc_u32_e32 v5, v5, v6
	v_cmp_lt_u32_e32 vcc_lo, s20, v5
	v_cmpx_ge_u32_e64 s20, v5
; %bb.83:
	v_add_nc_u32_e32 v5, s22, v11
	v_add_nc_u32_e32 v6, s38, v11
	s_delay_alu instid0(VALU_DEP_2) | instskip(NEXT) | instid1(VALU_DEP_2)
	v_mul_lo_u32 v5, v5, s21
	v_mul_lo_u32 v6, v6, s23
	s_delay_alu instid0(VALU_DEP_1) | instskip(NEXT) | instid1(VALU_DEP_1)
	v_sub_nc_u32_e32 v5, v5, v6
	v_cmp_lt_u32_e64 s0, s39, v5
	s_delay_alu instid0(VALU_DEP_1)
	s_and_b32 s3, s0, exec_lo
; %bb.84:
	s_or_b32 exec_lo, exec_lo, s5
	v_cndmask_b32_e64 v56, 0, 1, vcc_lo
	v_cndmask_b32_e64 v57, 0, 1, s3
.LBB964_85:
	s_or_b32 exec_lo, exec_lo, s1
	v_add_nc_u32_e32 v5, 12, v33
	s_mov_b32 s27, 0
	s_mov_b32 s33, 0
	s_mov_b32 s0, exec_lo
	s_delay_alu instid0(VALU_DEP_1)
	v_cmpx_gt_u32_e64 s4, v5
	s_cbranch_execz .LBB964_89
; %bb.86:
	v_add_nc_u32_e32 v5, s17, v32
	v_add_nc_u32_e32 v6, s19, v32
	s_mov_b32 s3, -1
	s_mov_b32 s5, 0
	s_mov_b32 s1, exec_lo
	v_mul_lo_u32 v5, v5, s16
	v_mul_lo_u32 v6, v6, s18
	s_delay_alu instid0(VALU_DEP_1) | instskip(NEXT) | instid1(VALU_DEP_1)
	v_sub_nc_u32_e32 v5, v5, v6
	v_cmpx_ge_u32_e64 s20, v5
; %bb.87:
	v_add_nc_u32_e32 v5, s22, v32
	v_add_nc_u32_e32 v6, s38, v32
	s_xor_b32 s3, exec_lo, -1
	s_delay_alu instid0(VALU_DEP_2) | instskip(NEXT) | instid1(VALU_DEP_2)
	v_mul_lo_u32 v5, v5, s21
	v_mul_lo_u32 v6, v6, s23
	s_delay_alu instid0(VALU_DEP_1) | instskip(NEXT) | instid1(VALU_DEP_1)
	v_sub_nc_u32_e32 v5, v5, v6
	v_cmp_lt_u32_e32 vcc_lo, s39, v5
	s_and_b32 s5, vcc_lo, exec_lo
; %bb.88:
	s_or_b32 exec_lo, exec_lo, s1
	s_delay_alu instid0(SALU_CYCLE_1)
	s_and_b32 s33, s5, exec_lo
	s_and_b32 s27, s3, exec_lo
.LBB964_89:
	s_or_b32 exec_lo, exec_lo, s0
.LBB964_90:
	v_and_b32_e32 v80, 0xff, v34
	v_and_b32_e32 v81, 0xff, v35
	;; [unrolled: 1-line block ×10, first 2 shown]
	v_add3_u32 v5, v76, v78, v80
	v_add3_u32 v6, v77, v79, v81
	v_and_b32_e32 v70, 0xff, v45
	v_and_b32_e32 v71, 0xff, v44
	v_and_b32_e32 v64, 0xff, v47
	v_and_b32_e32 v65, 0xff, v46
	v_add3_u32 v5, v5, v74, v72
	v_add3_u32 v6, v6, v75, v73
	v_and_b32_e32 v68, 0xff, v49
	v_and_b32_e32 v69, 0xff, v48
	v_and_b32_e32 v66, 0xff, v51
	v_and_b32_e32 v67, 0xff, v50
	;; [unrolled: 6-line block ×3, first 2 shown]
	v_add3_u32 v5, v5, v68, v66
	v_add3_u32 v6, v6, v69, v67
	v_mbcnt_lo_u32_b32 v82, -1, 0
	v_and_b32_e32 v58, 0xff, v56
	v_and_b32_e32 v59, 0xff, v57
	v_cndmask_b32_e64 v7, 0, 1, s33
	v_add3_u32 v5, v5, v61, v60
	v_cndmask_b32_e64 v8, 0, 1, s27
	v_add3_u32 v6, v6, v62, v63
	v_and_b32_e32 v86, 15, v82
	v_and_b32_e32 v85, 16, v82
	v_lshrrev_b32_e32 v83, 5, v0
	v_add3_u32 v87, v5, v58, v8
	v_add3_u32 v88, v6, v59, v7
	v_cmp_eq_u32_e64 s1, 0, v86
	v_cmp_lt_u32_e64 s0, 1, v86
	v_cmp_lt_u32_e64 s3, 3, v86
	v_cmp_lt_u32_e32 vcc_lo, 7, v86
	v_or_b32_e32 v84, 31, v0
	s_cmp_lg_u32 s26, 0
	s_mov_b32 s5, -1
	s_cbranch_scc0 .LBB964_123
; %bb.91:
	v_mov_b32_dpp v5, v88 row_shr:1 row_mask:0xf bank_mask:0xf
	v_mov_b32_dpp v6, v87 row_shr:1 row_mask:0xf bank_mask:0xf
	s_delay_alu instid0(VALU_DEP_2) | instskip(NEXT) | instid1(VALU_DEP_2)
	v_add_nc_u32_e32 v5, v5, v88
	v_add_nc_u32_e32 v6, v6, v87
	s_delay_alu instid0(VALU_DEP_2) | instskip(NEXT) | instid1(VALU_DEP_2)
	v_cndmask_b32_e64 v5, v5, v88, s1
	v_cndmask_b32_e64 v6, v6, v87, s1
	s_delay_alu instid0(VALU_DEP_2) | instskip(NEXT) | instid1(VALU_DEP_2)
	v_mov_b32_dpp v7, v5 row_shr:2 row_mask:0xf bank_mask:0xf
	v_mov_b32_dpp v8, v6 row_shr:2 row_mask:0xf bank_mask:0xf
	s_delay_alu instid0(VALU_DEP_2) | instskip(NEXT) | instid1(VALU_DEP_1)
	v_add_nc_u32_e32 v7, v5, v7
	v_cndmask_b32_e64 v5, v5, v7, s0
	s_delay_alu instid0(VALU_DEP_1) | instskip(NEXT) | instid1(VALU_DEP_1)
	v_mov_b32_dpp v7, v5 row_shr:4 row_mask:0xf bank_mask:0xf
	v_add_nc_u32_e32 v7, v5, v7
	s_delay_alu instid0(VALU_DEP_1) | instskip(NEXT) | instid1(VALU_DEP_1)
	v_cndmask_b32_e64 v5, v5, v7, s3
	v_mov_b32_dpp v7, v5 row_shr:8 row_mask:0xf bank_mask:0xf
	s_delay_alu instid0(VALU_DEP_1) | instskip(NEXT) | instid1(VALU_DEP_1)
	v_add_nc_u32_e32 v7, v5, v7
	v_dual_cndmask_b32 v5, v5, v7 :: v_dual_add_nc_u32 v8, v6, v8
	s_delay_alu instid0(VALU_DEP_1) | instskip(NEXT) | instid1(VALU_DEP_1)
	v_cndmask_b32_e64 v6, v6, v8, s0
	v_mov_b32_dpp v8, v6 row_shr:4 row_mask:0xf bank_mask:0xf
	s_delay_alu instid0(VALU_DEP_1) | instskip(NEXT) | instid1(VALU_DEP_1)
	v_add_nc_u32_e32 v8, v6, v8
	v_cndmask_b32_e64 v6, v6, v8, s3
	s_mov_b32 s3, exec_lo
	s_delay_alu instid0(VALU_DEP_1) | instskip(NEXT) | instid1(VALU_DEP_1)
	v_mov_b32_dpp v8, v6 row_shr:8 row_mask:0xf bank_mask:0xf
	v_add_nc_u32_e32 v8, v6, v8
	s_delay_alu instid0(VALU_DEP_1)
	v_cndmask_b32_e32 v7, v6, v8, vcc_lo
	ds_swizzle_b32 v6, v5 offset:swizzle(BROADCAST,32,15)
	v_cmp_eq_u32_e32 vcc_lo, 0, v85
	s_waitcnt lgkmcnt(0)
	v_add_nc_u32_e32 v6, v5, v6
	ds_swizzle_b32 v8, v7 offset:swizzle(BROADCAST,32,15)
	v_cndmask_b32_e32 v6, v6, v5, vcc_lo
	s_waitcnt lgkmcnt(0)
	v_add_nc_u32_e32 v8, v7, v8
	s_delay_alu instid0(VALU_DEP_1)
	v_cndmask_b32_e32 v5, v8, v7, vcc_lo
	v_cmpx_eq_u32_e64 v84, v0
	s_cbranch_execz .LBB964_93
; %bb.92:
	v_lshlrev_b32_e32 v7, 3, v83
	ds_store_b64 v7, v[5:6]
.LBB964_93:
	s_or_b32 exec_lo, exec_lo, s3
	s_delay_alu instid0(SALU_CYCLE_1)
	s_mov_b32 s3, exec_lo
	s_waitcnt lgkmcnt(0)
	s_barrier
	buffer_gl0_inv
	v_cmpx_gt_u32_e32 8, v0
	s_cbranch_execz .LBB964_95
; %bb.94:
	v_lshlrev_b32_e32 v9, 3, v0
	ds_load_b64 v[7:8], v9
	s_waitcnt lgkmcnt(0)
	v_mov_b32_dpp v22, v7 row_shr:1 row_mask:0xf bank_mask:0xf
	v_mov_b32_dpp v23, v8 row_shr:1 row_mask:0xf bank_mask:0xf
	s_delay_alu instid0(VALU_DEP_2) | instskip(SKIP_1) | instid1(VALU_DEP_3)
	v_add_nc_u32_e32 v22, v22, v7
	v_and_b32_e32 v24, 7, v82
	v_add_nc_u32_e32 v23, v23, v8
	s_delay_alu instid0(VALU_DEP_2) | instskip(NEXT) | instid1(VALU_DEP_2)
	v_cmp_eq_u32_e32 vcc_lo, 0, v24
	v_dual_cndmask_b32 v8, v23, v8 :: v_dual_cndmask_b32 v7, v22, v7
	v_cmp_lt_u32_e32 vcc_lo, 1, v24
	s_delay_alu instid0(VALU_DEP_2) | instskip(NEXT) | instid1(VALU_DEP_3)
	v_mov_b32_dpp v23, v8 row_shr:2 row_mask:0xf bank_mask:0xf
	v_mov_b32_dpp v22, v7 row_shr:2 row_mask:0xf bank_mask:0xf
	s_delay_alu instid0(VALU_DEP_2) | instskip(NEXT) | instid1(VALU_DEP_2)
	v_add_nc_u32_e32 v23, v8, v23
	v_add_nc_u32_e32 v22, v7, v22
	s_delay_alu instid0(VALU_DEP_1) | instskip(SKIP_1) | instid1(VALU_DEP_2)
	v_dual_cndmask_b32 v8, v8, v23 :: v_dual_cndmask_b32 v7, v7, v22
	v_cmp_lt_u32_e32 vcc_lo, 3, v24
	v_mov_b32_dpp v23, v8 row_shr:4 row_mask:0xf bank_mask:0xf
	s_delay_alu instid0(VALU_DEP_3) | instskip(NEXT) | instid1(VALU_DEP_1)
	v_mov_b32_dpp v22, v7 row_shr:4 row_mask:0xf bank_mask:0xf
	v_dual_cndmask_b32 v23, 0, v23 :: v_dual_cndmask_b32 v22, 0, v22
	s_delay_alu instid0(VALU_DEP_1) | instskip(NEXT) | instid1(VALU_DEP_2)
	v_add_nc_u32_e32 v8, v23, v8
	v_add_nc_u32_e32 v7, v22, v7
	ds_store_b64 v9, v[7:8]
.LBB964_95:
	s_or_b32 exec_lo, exec_lo, s3
	v_cmp_gt_u32_e32 vcc_lo, 32, v0
	v_cmp_lt_u32_e64 s3, 31, v0
	s_waitcnt lgkmcnt(0)
	s_barrier
	buffer_gl0_inv
                                        ; implicit-def: $vgpr23
	s_and_saveexec_b32 s5, s3
	s_delay_alu instid0(SALU_CYCLE_1)
	s_xor_b32 s3, exec_lo, s5
	s_cbranch_execz .LBB964_97
; %bb.96:
	v_lshl_add_u32 v7, v83, 3, -8
	ds_load_b64 v[22:23], v7
	s_waitcnt lgkmcnt(0)
	v_add_nc_u32_e32 v6, v23, v6
	v_add_nc_u32_e32 v5, v22, v5
.LBB964_97:
	s_and_not1_saveexec_b32 s3, s3
; %bb.98:
                                        ; implicit-def: $vgpr22
; %bb.99:
	s_delay_alu instid0(SALU_CYCLE_1) | instskip(SKIP_1) | instid1(VALU_DEP_1)
	s_or_b32 exec_lo, exec_lo, s3
	v_add_nc_u32_e32 v7, -1, v82
	v_cmp_gt_i32_e64 s3, 0, v7
	s_delay_alu instid0(VALU_DEP_1) | instskip(SKIP_1) | instid1(VALU_DEP_2)
	v_cndmask_b32_e64 v7, v7, v82, s3
	v_cmp_eq_u32_e64 s3, 0, v82
	v_lshlrev_b32_e32 v7, 2, v7
	ds_bpermute_b32 v89, v7, v5
	ds_bpermute_b32 v90, v7, v6
	s_and_saveexec_b32 s5, vcc_lo
	s_cbranch_execz .LBB964_122
; %bb.100:
	v_mov_b32_e32 v8, 0
	ds_load_b64 v[5:6], v8 offset:56
	s_waitcnt lgkmcnt(0)
	v_readfirstlane_b32 s6, v6
	s_and_saveexec_b32 s7, s3
	s_cbranch_execz .LBB964_102
; %bb.101:
	s_add_i32 s8, s26, 32
	s_mov_b32 s9, 0
	v_mov_b32_e32 v7, 1
	s_lshl_b64 s[10:11], s[8:9], 4
	s_mov_b32 s16, s9
	s_add_u32 s10, s36, s10
	s_addc_u32 s11, s37, s11
	s_and_b32 s17, s6, 0xff000000
	s_and_b32 s19, s6, 0xff0000
	s_mov_b32 s18, s9
	v_dual_mov_b32 v25, s11 :: v_dual_mov_b32 v24, s10
	s_or_b64 s[16:17], s[18:19], s[16:17]
	s_and_b32 s19, s6, 0xff00
	s_delay_alu instid0(SALU_CYCLE_1) | instskip(SKIP_1) | instid1(SALU_CYCLE_1)
	s_or_b64 s[16:17], s[16:17], s[18:19]
	s_and_b32 s19, s6, 0xff
	s_or_b64 s[8:9], s[16:17], s[18:19]
	s_delay_alu instid0(SALU_CYCLE_1)
	v_mov_b32_e32 v6, s9
	;;#ASMSTART
	global_store_dwordx4 v[24:25], v[5:8] off	
s_waitcnt vmcnt(0)
	;;#ASMEND
.LBB964_102:
	s_or_b32 exec_lo, exec_lo, s7
	v_xad_u32 v24, v82, -1, s26
	s_mov_b32 s8, 0
	s_mov_b32 s7, exec_lo
	s_delay_alu instid0(VALU_DEP_1) | instskip(NEXT) | instid1(VALU_DEP_1)
	v_add_nc_u32_e32 v7, 32, v24
	v_lshlrev_b64 v[6:7], 4, v[7:8]
	s_delay_alu instid0(VALU_DEP_1) | instskip(NEXT) | instid1(VALU_DEP_2)
	v_add_co_u32 v25, vcc_lo, s36, v6
	v_add_co_ci_u32_e32 v26, vcc_lo, s37, v7, vcc_lo
	;;#ASMSTART
	global_load_dwordx4 v[6:9], v[25:26] off glc	
s_waitcnt vmcnt(0)
	;;#ASMEND
	v_and_b32_e32 v9, 0xff, v7
	v_and_b32_e32 v27, 0xff00, v7
	v_or3_b32 v6, v6, 0, 0
	v_and_b32_e32 v28, 0xff000000, v7
	v_and_b32_e32 v7, 0xff0000, v7
	s_delay_alu instid0(VALU_DEP_4) | instskip(SKIP_2) | instid1(VALU_DEP_3)
	v_or3_b32 v9, 0, v9, v27
	v_and_b32_e32 v27, 0xff, v8
	v_or3_b32 v6, v6, 0, 0
	v_or3_b32 v7, v9, v7, v28
	s_delay_alu instid0(VALU_DEP_3)
	v_cmpx_eq_u16_e32 0, v27
	s_cbranch_execz .LBB964_108
; %bb.103:
	s_mov_b32 s9, 1
	.p2align	6
.LBB964_104:                            ; =>This Loop Header: Depth=1
                                        ;     Child Loop BB964_105 Depth 2
	s_delay_alu instid0(SALU_CYCLE_1)
	s_max_u32 s10, s9, 1
.LBB964_105:                            ;   Parent Loop BB964_104 Depth=1
                                        ; =>  This Inner Loop Header: Depth=2
	s_delay_alu instid0(SALU_CYCLE_1)
	s_add_i32 s10, s10, -1
	s_sleep 1
	s_cmp_eq_u32 s10, 0
	s_cbranch_scc0 .LBB964_105
; %bb.106:                              ;   in Loop: Header=BB964_104 Depth=1
	;;#ASMSTART
	global_load_dwordx4 v[6:9], v[25:26] off glc	
s_waitcnt vmcnt(0)
	;;#ASMEND
	v_and_b32_e32 v9, 0xff, v8
	s_cmp_lt_u32 s9, 32
	s_cselect_b32 s10, -1, 0
	s_delay_alu instid0(SALU_CYCLE_1) | instskip(NEXT) | instid1(VALU_DEP_1)
	s_cmp_lg_u32 s10, 0
	v_cmp_ne_u16_e32 vcc_lo, 0, v9
	s_addc_u32 s9, s9, 0
	s_or_b32 s8, vcc_lo, s8
	s_delay_alu instid0(SALU_CYCLE_1)
	s_and_not1_b32 exec_lo, exec_lo, s8
	s_cbranch_execnz .LBB964_104
; %bb.107:
	s_or_b32 exec_lo, exec_lo, s8
.LBB964_108:
	s_delay_alu instid0(SALU_CYCLE_1) | instskip(SKIP_3) | instid1(VALU_DEP_1)
	s_or_b32 exec_lo, exec_lo, s7
	v_cmp_ne_u32_e32 vcc_lo, 31, v82
	v_lshlrev_b32_e64 v92, v82, -1
	v_add_co_ci_u32_e32 v9, vcc_lo, 0, v82, vcc_lo
	v_lshlrev_b32_e32 v91, 2, v9
	ds_bpermute_b32 v25, v91, v7
	ds_bpermute_b32 v9, v91, v6
	s_waitcnt lgkmcnt(1)
	v_add_nc_u32_e32 v25, v25, v7
	v_and_b32_e32 v26, 0xff, v8
	s_waitcnt lgkmcnt(0)
	v_add_nc_u32_e32 v9, v9, v6
	s_delay_alu instid0(VALU_DEP_2) | instskip(SKIP_2) | instid1(VALU_DEP_2)
	v_cmp_eq_u16_e32 vcc_lo, 2, v26
	v_and_or_b32 v26, vcc_lo, v92, 0x80000000
	v_cmp_gt_u32_e32 vcc_lo, 30, v82
	v_ctz_i32_b32_e32 v26, v26
	v_cndmask_b32_e64 v27, 0, 1, vcc_lo
	s_delay_alu instid0(VALU_DEP_2) | instskip(NEXT) | instid1(VALU_DEP_2)
	v_cmp_lt_u32_e32 vcc_lo, v82, v26
	v_dual_cndmask_b32 v6, v6, v9 :: v_dual_lshlrev_b32 v27, 1, v27
	s_delay_alu instid0(VALU_DEP_1)
	v_add_lshl_u32 v93, v27, v82, 2
	v_cndmask_b32_e32 v7, v7, v25, vcc_lo
	v_cmp_gt_u32_e32 vcc_lo, 28, v82
	ds_bpermute_b32 v9, v93, v6
	ds_bpermute_b32 v25, v93, v7
	v_cndmask_b32_e64 v27, 0, 1, vcc_lo
	s_waitcnt lgkmcnt(1)
	v_add_nc_u32_e32 v9, v6, v9
	s_waitcnt lgkmcnt(0)
	v_add_nc_u32_e32 v25, v7, v25
	v_add_nc_u32_e32 v94, 2, v82
	s_delay_alu instid0(VALU_DEP_1) | instskip(NEXT) | instid1(VALU_DEP_3)
	v_cmp_gt_u32_e32 vcc_lo, v94, v26
	v_cndmask_b32_e32 v7, v25, v7, vcc_lo
	v_dual_cndmask_b32 v6, v9, v6 :: v_dual_lshlrev_b32 v27, 2, v27
	v_cmp_gt_u32_e32 vcc_lo, 24, v82
	s_delay_alu instid0(VALU_DEP_2) | instskip(SKIP_4) | instid1(VALU_DEP_1)
	v_add_lshl_u32 v95, v27, v82, 2
	v_cndmask_b32_e64 v27, 0, 1, vcc_lo
	ds_bpermute_b32 v25, v95, v7
	ds_bpermute_b32 v9, v95, v6
	v_lshlrev_b32_e32 v27, 3, v27
	v_add_lshl_u32 v97, v27, v82, 2
	s_waitcnt lgkmcnt(1)
	v_add_nc_u32_e32 v25, v7, v25
	v_add_nc_u32_e32 v96, 4, v82
	s_waitcnt lgkmcnt(0)
	v_add_nc_u32_e32 v9, v6, v9
	s_delay_alu instid0(VALU_DEP_2) | instskip(SKIP_1) | instid1(VALU_DEP_3)
	v_cmp_gt_u32_e32 vcc_lo, v96, v26
	v_cndmask_b32_e32 v7, v25, v7, vcc_lo
	v_cndmask_b32_e32 v6, v9, v6, vcc_lo
	v_cmp_gt_u32_e32 vcc_lo, 16, v82
	ds_bpermute_b32 v25, v97, v7
	ds_bpermute_b32 v9, v97, v6
	v_cndmask_b32_e64 v27, 0, 1, vcc_lo
	s_delay_alu instid0(VALU_DEP_1) | instskip(NEXT) | instid1(VALU_DEP_1)
	v_lshlrev_b32_e32 v27, 4, v27
	v_add_lshl_u32 v99, v27, v82, 2
	s_waitcnt lgkmcnt(1)
	v_add_nc_u32_e32 v25, v7, v25
	v_add_nc_u32_e32 v98, 8, v82
	s_waitcnt lgkmcnt(0)
	v_add_nc_u32_e32 v9, v6, v9
	s_delay_alu instid0(VALU_DEP_2) | instskip(SKIP_1) | instid1(VALU_DEP_3)
	v_cmp_gt_u32_e32 vcc_lo, v98, v26
	v_cndmask_b32_e32 v7, v25, v7, vcc_lo
	v_cndmask_b32_e32 v6, v9, v6, vcc_lo
	ds_bpermute_b32 v25, v99, v7
	ds_bpermute_b32 v9, v99, v6
	v_add_nc_u32_e32 v100, 16, v82
	s_delay_alu instid0(VALU_DEP_1) | instskip(SKIP_2) | instid1(VALU_DEP_1)
	v_cmp_le_u32_e32 vcc_lo, v100, v26
	s_waitcnt lgkmcnt(0)
	v_cndmask_b32_e32 v9, 0, v9, vcc_lo
	v_dual_cndmask_b32 v25, 0, v25 :: v_dual_add_nc_u32 v6, v9, v6
	s_delay_alu instid0(VALU_DEP_1)
	v_add_nc_u32_e32 v7, v25, v7
	v_mov_b32_e32 v25, 0
	s_branch .LBB964_110
.LBB964_109:                            ;   in Loop: Header=BB964_110 Depth=1
	s_or_b32 exec_lo, exec_lo, s7
	ds_bpermute_b32 v9, v91, v6
	ds_bpermute_b32 v28, v91, v7
	v_subrev_nc_u32_e32 v24, 32, v24
	s_waitcnt lgkmcnt(1)
	v_add_nc_u32_e32 v9, v9, v6
	v_and_b32_e32 v29, 0xff, v8
	s_waitcnt lgkmcnt(0)
	v_add_nc_u32_e32 v28, v28, v7
	s_delay_alu instid0(VALU_DEP_2) | instskip(SKIP_1) | instid1(VALU_DEP_1)
	v_cmp_eq_u16_e32 vcc_lo, 2, v29
	v_and_or_b32 v29, vcc_lo, v92, 0x80000000
	v_ctz_i32_b32_e32 v29, v29
	s_delay_alu instid0(VALU_DEP_1)
	v_cmp_lt_u32_e32 vcc_lo, v82, v29
	v_cndmask_b32_e32 v6, v6, v9, vcc_lo
	ds_bpermute_b32 v9, v93, v6
	s_waitcnt lgkmcnt(0)
	v_add_nc_u32_e32 v9, v6, v9
	v_cndmask_b32_e32 v7, v7, v28, vcc_lo
	v_cmp_gt_u32_e32 vcc_lo, v94, v29
	s_delay_alu instid0(VALU_DEP_3)
	v_cndmask_b32_e32 v6, v9, v6, vcc_lo
	ds_bpermute_b32 v28, v93, v7
	ds_bpermute_b32 v9, v95, v6
	s_waitcnt lgkmcnt(1)
	v_add_nc_u32_e32 v28, v7, v28
	s_waitcnt lgkmcnt(0)
	v_add_nc_u32_e32 v9, v6, v9
	s_delay_alu instid0(VALU_DEP_2) | instskip(SKIP_1) | instid1(VALU_DEP_3)
	v_cndmask_b32_e32 v7, v28, v7, vcc_lo
	v_cmp_gt_u32_e32 vcc_lo, v96, v29
	v_cndmask_b32_e32 v6, v9, v6, vcc_lo
	ds_bpermute_b32 v28, v95, v7
	ds_bpermute_b32 v9, v97, v6
	s_waitcnt lgkmcnt(1)
	v_add_nc_u32_e32 v28, v7, v28
	s_waitcnt lgkmcnt(0)
	v_add_nc_u32_e32 v9, v6, v9
	s_delay_alu instid0(VALU_DEP_2) | instskip(SKIP_1) | instid1(VALU_DEP_3)
	v_cndmask_b32_e32 v7, v28, v7, vcc_lo
	v_cmp_gt_u32_e32 vcc_lo, v98, v29
	v_cndmask_b32_e32 v6, v9, v6, vcc_lo
	ds_bpermute_b32 v28, v97, v7
	ds_bpermute_b32 v9, v99, v6
	s_waitcnt lgkmcnt(1)
	v_add_nc_u32_e32 v28, v7, v28
	s_delay_alu instid0(VALU_DEP_1) | instskip(SKIP_4) | instid1(VALU_DEP_1)
	v_cndmask_b32_e32 v7, v28, v7, vcc_lo
	v_cmp_le_u32_e32 vcc_lo, v100, v29
	ds_bpermute_b32 v28, v99, v7
	s_waitcnt lgkmcnt(1)
	v_cndmask_b32_e32 v9, 0, v9, vcc_lo
	v_add3_u32 v6, v6, v26, v9
	s_waitcnt lgkmcnt(0)
	v_cndmask_b32_e32 v28, 0, v28, vcc_lo
	s_delay_alu instid0(VALU_DEP_1)
	v_add3_u32 v7, v7, v27, v28
.LBB964_110:                            ; =>This Loop Header: Depth=1
                                        ;     Child Loop BB964_113 Depth 2
                                        ;       Child Loop BB964_114 Depth 3
	s_delay_alu instid0(VALU_DEP_1) | instskip(SKIP_1) | instid1(VALU_DEP_2)
	v_dual_mov_b32 v27, v7 :: v_dual_and_b32 v8, 0xff, v8
	v_mov_b32_e32 v26, v6
	v_cmp_ne_u16_e32 vcc_lo, 2, v8
	v_cndmask_b32_e64 v8, 0, 1, vcc_lo
	;;#ASMSTART
	;;#ASMEND
	s_delay_alu instid0(VALU_DEP_1)
	v_cmp_ne_u32_e32 vcc_lo, 0, v8
	s_cmp_lg_u32 vcc_lo, exec_lo
	s_cbranch_scc1 .LBB964_117
; %bb.111:                              ;   in Loop: Header=BB964_110 Depth=1
	v_lshlrev_b64 v[6:7], 4, v[24:25]
	s_mov_b32 s7, exec_lo
	s_delay_alu instid0(VALU_DEP_1) | instskip(NEXT) | instid1(VALU_DEP_2)
	v_add_co_u32 v28, vcc_lo, s36, v6
	v_add_co_ci_u32_e32 v29, vcc_lo, s37, v7, vcc_lo
	;;#ASMSTART
	global_load_dwordx4 v[6:9], v[28:29] off glc	
s_waitcnt vmcnt(0)
	;;#ASMEND
	v_and_b32_e32 v9, 0xff, v7
	v_and_b32_e32 v101, 0xff00, v7
	v_or3_b32 v6, v6, 0, 0
	v_and_b32_e32 v102, 0xff000000, v7
	v_and_b32_e32 v7, 0xff0000, v7
	s_delay_alu instid0(VALU_DEP_4) | instskip(SKIP_2) | instid1(VALU_DEP_3)
	v_or3_b32 v9, 0, v9, v101
	v_and_b32_e32 v101, 0xff, v8
	v_or3_b32 v6, v6, 0, 0
	v_or3_b32 v7, v9, v7, v102
	s_delay_alu instid0(VALU_DEP_3)
	v_cmpx_eq_u16_e32 0, v101
	s_cbranch_execz .LBB964_109
; %bb.112:                              ;   in Loop: Header=BB964_110 Depth=1
	s_mov_b32 s9, 1
	s_mov_b32 s8, 0
	.p2align	6
.LBB964_113:                            ;   Parent Loop BB964_110 Depth=1
                                        ; =>  This Loop Header: Depth=2
                                        ;       Child Loop BB964_114 Depth 3
	s_max_u32 s10, s9, 1
.LBB964_114:                            ;   Parent Loop BB964_110 Depth=1
                                        ;     Parent Loop BB964_113 Depth=2
                                        ; =>    This Inner Loop Header: Depth=3
	s_delay_alu instid0(SALU_CYCLE_1)
	s_add_i32 s10, s10, -1
	s_sleep 1
	s_cmp_eq_u32 s10, 0
	s_cbranch_scc0 .LBB964_114
; %bb.115:                              ;   in Loop: Header=BB964_113 Depth=2
	;;#ASMSTART
	global_load_dwordx4 v[6:9], v[28:29] off glc	
s_waitcnt vmcnt(0)
	;;#ASMEND
	v_and_b32_e32 v9, 0xff, v8
	s_cmp_lt_u32 s9, 32
	s_cselect_b32 s10, -1, 0
	s_delay_alu instid0(SALU_CYCLE_1) | instskip(NEXT) | instid1(VALU_DEP_1)
	s_cmp_lg_u32 s10, 0
	v_cmp_ne_u16_e32 vcc_lo, 0, v9
	s_addc_u32 s9, s9, 0
	s_or_b32 s8, vcc_lo, s8
	s_delay_alu instid0(SALU_CYCLE_1)
	s_and_not1_b32 exec_lo, exec_lo, s8
	s_cbranch_execnz .LBB964_113
; %bb.116:                              ;   in Loop: Header=BB964_110 Depth=1
	s_or_b32 exec_lo, exec_lo, s8
	s_branch .LBB964_109
.LBB964_117:                            ;   in Loop: Header=BB964_110 Depth=1
                                        ; implicit-def: $vgpr8
                                        ; implicit-def: $vgpr6_vgpr7
	s_cbranch_execz .LBB964_110
; %bb.118:
	s_and_saveexec_b32 s7, s3
	s_cbranch_execnz .LBB964_361
; %bb.119:
	s_or_b32 exec_lo, exec_lo, s7
	s_and_saveexec_b32 s7, s3
	s_cbranch_execnz .LBB964_362
.LBB964_120:
	s_or_b32 exec_lo, exec_lo, s7
	s_delay_alu instid0(SALU_CYCLE_1)
	s_and_b32 exec_lo, exec_lo, s2
	s_cbranch_execz .LBB964_122
.LBB964_121:
	v_mov_b32_e32 v5, 0
	ds_store_b64 v5, v[26:27] offset:56
.LBB964_122:
	s_or_b32 exec_lo, exec_lo, s5
	s_waitcnt lgkmcnt(1)
	v_cndmask_b32_e64 v22, v89, v22, s3
	v_mov_b32_e32 v5, 0
	s_waitcnt lgkmcnt(0)
	s_barrier
	buffer_gl0_inv
	v_add_nc_u32_e64 v7, 0x3400, 0
	ds_load_b64 v[24:25], v5 offset:56
	s_waitcnt lgkmcnt(0)
	s_barrier
	buffer_gl0_inv
	ds_load_2addr_b32 v[5:6], v7 offset1:2
	ds_load_2addr_b32 v[7:8], v7 offset0:4 offset1:6
	v_cndmask_b32_e64 v9, v90, v23, s3
	v_add_nc_u32_e32 v22, v24, v22
	s_delay_alu instid0(VALU_DEP_2) | instskip(NEXT) | instid1(VALU_DEP_2)
	v_add_nc_u32_e32 v9, v25, v9
	v_cndmask_b32_e64 v22, v22, v24, s2
	s_delay_alu instid0(VALU_DEP_2)
	v_cndmask_b32_e64 v9, v9, v25, s2
	s_branch .LBB964_133
.LBB964_123:
                                        ; implicit-def: $vgpr9
                                        ; implicit-def: $vgpr7
                                        ; implicit-def: $vgpr5
                                        ; implicit-def: $vgpr22_vgpr23
	s_and_b32 vcc_lo, exec_lo, s5
	s_cbranch_vccz .LBB964_133
; %bb.124:
	s_waitcnt lgkmcnt(1)
	v_mov_b32_dpp v6, v88 row_shr:1 row_mask:0xf bank_mask:0xf
	v_cmp_lt_u32_e32 vcc_lo, 3, v86
	v_mov_b32_dpp v5, v87 row_shr:1 row_mask:0xf bank_mask:0xf
	s_delay_alu instid0(VALU_DEP_3) | instskip(NEXT) | instid1(VALU_DEP_1)
	v_add_nc_u32_e32 v6, v6, v88
	v_cndmask_b32_e64 v6, v6, v88, s1
	s_waitcnt lgkmcnt(0)
	s_delay_alu instid0(VALU_DEP_1) | instskip(NEXT) | instid1(VALU_DEP_1)
	v_mov_b32_dpp v8, v6 row_shr:2 row_mask:0xf bank_mask:0xf
	v_add_nc_u32_e32 v8, v6, v8
	s_delay_alu instid0(VALU_DEP_1) | instskip(NEXT) | instid1(VALU_DEP_1)
	v_cndmask_b32_e64 v6, v6, v8, s0
	v_mov_b32_dpp v8, v6 row_shr:4 row_mask:0xf bank_mask:0xf
	s_delay_alu instid0(VALU_DEP_1) | instskip(NEXT) | instid1(VALU_DEP_1)
	v_add_nc_u32_e32 v8, v6, v8
	v_dual_cndmask_b32 v6, v6, v8 :: v_dual_add_nc_u32 v5, v5, v87
	s_delay_alu instid0(VALU_DEP_1) | instskip(NEXT) | instid1(VALU_DEP_2)
	v_cndmask_b32_e64 v5, v5, v87, s1
	v_mov_b32_dpp v8, v6 row_shr:8 row_mask:0xf bank_mask:0xf
	s_delay_alu instid0(VALU_DEP_2) | instskip(NEXT) | instid1(VALU_DEP_2)
	v_mov_b32_dpp v7, v5 row_shr:2 row_mask:0xf bank_mask:0xf
	v_add_nc_u32_e32 v8, v6, v8
	s_delay_alu instid0(VALU_DEP_2) | instskip(NEXT) | instid1(VALU_DEP_1)
	v_add_nc_u32_e32 v7, v5, v7
	v_cndmask_b32_e64 v5, v5, v7, s0
	s_mov_b32 s0, exec_lo
	s_delay_alu instid0(VALU_DEP_1) | instskip(NEXT) | instid1(VALU_DEP_1)
	v_mov_b32_dpp v7, v5 row_shr:4 row_mask:0xf bank_mask:0xf
	v_add_nc_u32_e32 v7, v5, v7
	s_delay_alu instid0(VALU_DEP_1) | instskip(SKIP_1) | instid1(VALU_DEP_2)
	v_cndmask_b32_e32 v5, v5, v7, vcc_lo
	v_cmp_lt_u32_e32 vcc_lo, 7, v86
	v_mov_b32_dpp v7, v5 row_shr:8 row_mask:0xf bank_mask:0xf
	s_delay_alu instid0(VALU_DEP_1) | instskip(NEXT) | instid1(VALU_DEP_1)
	v_dual_cndmask_b32 v6, v6, v8 :: v_dual_add_nc_u32 v7, v5, v7
	v_cndmask_b32_e32 v5, v5, v7, vcc_lo
	ds_swizzle_b32 v7, v6 offset:swizzle(BROADCAST,32,15)
	v_cmp_eq_u32_e32 vcc_lo, 0, v85
	ds_swizzle_b32 v8, v5 offset:swizzle(BROADCAST,32,15)
	s_waitcnt lgkmcnt(1)
	v_add_nc_u32_e32 v7, v6, v7
	s_waitcnt lgkmcnt(0)
	v_add_nc_u32_e32 v8, v5, v8
	s_delay_alu instid0(VALU_DEP_1)
	v_dual_cndmask_b32 v6, v7, v6 :: v_dual_cndmask_b32 v5, v8, v5
	v_cmpx_eq_u32_e64 v84, v0
	s_cbranch_execz .LBB964_126
; %bb.125:
	v_lshlrev_b32_e32 v7, 3, v83
	ds_store_b64 v7, v[5:6]
.LBB964_126:
	s_or_b32 exec_lo, exec_lo, s0
	s_delay_alu instid0(SALU_CYCLE_1)
	s_mov_b32 s0, exec_lo
	s_waitcnt lgkmcnt(0)
	s_barrier
	buffer_gl0_inv
	v_cmpx_gt_u32_e32 8, v0
	s_cbranch_execz .LBB964_128
; %bb.127:
	v_lshlrev_b32_e32 v9, 3, v0
	ds_load_b64 v[7:8], v9
	s_waitcnt lgkmcnt(0)
	v_mov_b32_dpp v22, v7 row_shr:1 row_mask:0xf bank_mask:0xf
	v_mov_b32_dpp v23, v8 row_shr:1 row_mask:0xf bank_mask:0xf
	s_delay_alu instid0(VALU_DEP_2) | instskip(SKIP_1) | instid1(VALU_DEP_3)
	v_add_nc_u32_e32 v22, v22, v7
	v_and_b32_e32 v24, 7, v82
	v_add_nc_u32_e32 v23, v23, v8
	s_delay_alu instid0(VALU_DEP_2) | instskip(NEXT) | instid1(VALU_DEP_2)
	v_cmp_eq_u32_e32 vcc_lo, 0, v24
	v_dual_cndmask_b32 v8, v23, v8 :: v_dual_cndmask_b32 v7, v22, v7
	v_cmp_lt_u32_e32 vcc_lo, 1, v24
	s_delay_alu instid0(VALU_DEP_2) | instskip(NEXT) | instid1(VALU_DEP_3)
	v_mov_b32_dpp v23, v8 row_shr:2 row_mask:0xf bank_mask:0xf
	v_mov_b32_dpp v22, v7 row_shr:2 row_mask:0xf bank_mask:0xf
	s_delay_alu instid0(VALU_DEP_2) | instskip(NEXT) | instid1(VALU_DEP_2)
	v_add_nc_u32_e32 v23, v8, v23
	v_add_nc_u32_e32 v22, v7, v22
	s_delay_alu instid0(VALU_DEP_1) | instskip(SKIP_1) | instid1(VALU_DEP_2)
	v_dual_cndmask_b32 v8, v8, v23 :: v_dual_cndmask_b32 v7, v7, v22
	v_cmp_lt_u32_e32 vcc_lo, 3, v24
	v_mov_b32_dpp v23, v8 row_shr:4 row_mask:0xf bank_mask:0xf
	s_delay_alu instid0(VALU_DEP_3) | instskip(NEXT) | instid1(VALU_DEP_1)
	v_mov_b32_dpp v22, v7 row_shr:4 row_mask:0xf bank_mask:0xf
	v_dual_cndmask_b32 v23, 0, v23 :: v_dual_cndmask_b32 v22, 0, v22
	s_delay_alu instid0(VALU_DEP_1) | instskip(NEXT) | instid1(VALU_DEP_2)
	v_add_nc_u32_e32 v8, v23, v8
	v_add_nc_u32_e32 v7, v22, v7
	ds_store_b64 v9, v[7:8]
.LBB964_128:
	s_or_b32 exec_lo, exec_lo, s0
	v_dual_mov_b32 v7, 0 :: v_dual_mov_b32 v22, 0
	v_mov_b32_e32 v23, 0
	s_mov_b32 s0, exec_lo
	s_waitcnt lgkmcnt(0)
	s_barrier
	buffer_gl0_inv
	v_cmpx_lt_u32_e32 31, v0
	s_cbranch_execz .LBB964_130
; %bb.129:
	v_lshl_add_u32 v8, v83, 3, -8
	ds_load_b64 v[22:23], v8
.LBB964_130:
	s_or_b32 exec_lo, exec_lo, s0
	v_add_nc_u32_e32 v8, -1, v82
	s_waitcnt lgkmcnt(0)
	v_add_nc_u32_e32 v24, v23, v6
	v_add_nc_u32_e32 v9, v22, v5
	ds_load_b64 v[5:6], v7 offset:56
	v_cmp_gt_i32_e32 vcc_lo, 0, v8
	v_cndmask_b32_e32 v8, v8, v82, vcc_lo
	s_delay_alu instid0(VALU_DEP_1)
	v_lshlrev_b32_e32 v8, 2, v8
	ds_bpermute_b32 v9, v8, v9
	ds_bpermute_b32 v24, v8, v24
	s_waitcnt lgkmcnt(2)
	v_readfirstlane_b32 s0, v6
	s_and_saveexec_b32 s1, s2
	s_cbranch_execz .LBB964_132
; %bb.131:
	s_mov_b32 s8, 0
	s_add_u32 s6, s36, 0x200
	s_addc_u32 s7, s37, 0
	s_and_b32 s9, s0, 0xff000000
	s_and_b32 s11, s0, 0xff0000
	s_mov_b32 s10, s8
	v_mov_b32_e32 v26, s7
	s_or_b64 s[10:11], s[10:11], s[8:9]
	s_and_b32 s9, s0, 0xff00
	v_dual_mov_b32 v8, 0 :: v_dual_mov_b32 v25, s6
	s_or_b64 s[10:11], s[10:11], s[8:9]
	s_and_b32 s9, s0, 0xff
	v_mov_b32_e32 v7, 2
	s_or_b64 s[8:9], s[10:11], s[8:9]
	s_delay_alu instid0(SALU_CYCLE_1)
	v_mov_b32_e32 v6, s9
	;;#ASMSTART
	global_store_dwordx4 v[25:26], v[5:8] off	
s_waitcnt vmcnt(0)
	;;#ASMEND
.LBB964_132:
	s_or_b32 exec_lo, exec_lo, s1
	v_cmp_eq_u32_e32 vcc_lo, 0, v82
	v_dual_mov_b32 v7, 0 :: v_dual_mov_b32 v6, s0
	s_waitcnt lgkmcnt(0)
	s_barrier
	v_dual_cndmask_b32 v8, v9, v22 :: v_dual_cndmask_b32 v9, v24, v23
	buffer_gl0_inv
	v_cndmask_b32_e64 v22, v8, 0, s2
	v_cndmask_b32_e64 v9, v9, 0, s2
	v_mov_b32_e32 v8, 0
.LBB964_133:
	s_delay_alu instid0(VALU_DEP_1) | instskip(SKIP_1) | instid1(VALU_DEP_2)
	v_add_nc_u32_e32 v24, v9, v81
	s_waitcnt lgkmcnt(0)
	v_sub_nc_u32_e32 v9, v9, v8
	v_add_co_u32 v1, vcc_lo, v1, v7
	v_and_b32_e32 v35, 1, v35
	v_add_nc_u32_e32 v26, v24, v77
	v_sub_nc_u32_e32 v24, v24, v8
	v_lshlrev_b32_e32 v77, 1, v5
	v_add_nc_u32_e32 v9, v9, v5
	v_add_co_ci_u32_e32 v2, vcc_lo, 0, v2, vcc_lo
	v_add_nc_u32_e32 v28, v26, v79
	s_delay_alu instid0(VALU_DEP_4)
	v_add3_u32 v33, v77, v6, v33
	v_and_b32_e32 v40, 1, v40
	v_and_b32_e32 v37, 1, v37
	;; [unrolled: 1-line block ×3, first 2 shown]
	v_add_nc_u32_e32 v29, v28, v75
	v_sub_nc_u32_e32 v28, v28, v8
	v_sub_co_u32 v75, vcc_lo, v3, v5
	s_add_u32 s1, s14, -4
	s_delay_alu instid0(VALU_DEP_3) | instskip(SKIP_4) | instid1(VALU_DEP_3)
	v_add_nc_u32_e32 v73, v29, v73
	v_sub_nc_u32_e32 v29, v29, v8
	v_add_nc_u32_e32 v28, v28, v5
	v_add_nc_u32_e32 v24, v24, v5
	s_mov_b32 s3, -1
	v_add_nc_u32_e32 v29, v29, v5
	v_add_nc_u32_e32 v23, v22, v80
	v_sub_nc_u32_e32 v22, v22, v7
	s_delay_alu instid0(VALU_DEP_2) | instskip(SKIP_3) | instid1(VALU_DEP_3)
	v_add_nc_u32_e32 v25, v23, v76
	v_sub_nc_u32_e32 v23, v23, v7
	v_subrev_co_ci_u32_e32 v76, vcc_lo, 0, v4, vcc_lo
	v_cmp_eq_u32_e32 vcc_lo, 1, v35
	v_add_nc_u32_e32 v79, v24, v23
	s_delay_alu instid0(VALU_DEP_1) | instskip(NEXT) | instid1(VALU_DEP_1)
	v_sub_nc_u32_e32 v79, v33, v79
	v_add_nc_u32_e32 v79, 1, v79
	v_add_nc_u32_e32 v27, v25, v78
	;; [unrolled: 1-line block ×3, first 2 shown]
	s_delay_alu instid0(VALU_DEP_1) | instskip(NEXT) | instid1(VALU_DEP_1)
	v_sub_nc_u32_e32 v78, v33, v78
	v_dual_cndmask_b32 v9, v78, v9 :: v_dual_and_b32 v34, 1, v34
	v_cmp_eq_u32_e32 vcc_lo, 1, v40
	v_cndmask_b32_e32 v24, v79, v24, vcc_lo
	s_delay_alu instid0(VALU_DEP_3) | instskip(NEXT) | instid1(VALU_DEP_4)
	v_cmp_eq_u32_e32 vcc_lo, 1, v34
	v_cndmask_b32_e32 v9, v9, v22, vcc_lo
	v_sub_nc_u32_e32 v26, v26, v8
	v_cmp_eq_u32_e32 vcc_lo, 1, v37
	v_and_b32_e32 v37, 1, v38
	s_delay_alu instid0(VALU_DEP_4) | instskip(NEXT) | instid1(VALU_DEP_4)
	v_lshlrev_b32_e32 v9, 2, v9
	v_add_nc_u32_e32 v26, v26, v5
	v_cndmask_b32_e32 v24, v24, v23, vcc_lo
	v_sub_nc_u32_e32 v25, v25, v7
	v_add_co_u32 v22, vcc_lo, v75, v8
	v_add_co_ci_u32_e32 v23, vcc_lo, 0, v76, vcc_lo
	s_delay_alu instid0(VALU_DEP_3)
	v_add_nc_u32_e32 v34, v26, v25
	v_cmp_eq_u32_e32 vcc_lo, 1, v37
	v_lshlrev_b32_e32 v24, 2, v24
	ds_store_b32 v9, v20
	v_sub_nc_u32_e32 v34, v33, v34
	ds_store_b32 v24, v21
	v_and_b32_e32 v24, 1, v39
	v_add_nc_u32_e32 v34, 2, v34
	s_delay_alu instid0(VALU_DEP_1) | instskip(SKIP_3) | instid1(VALU_DEP_4)
	v_cndmask_b32_e32 v26, v34, v26, vcc_lo
	v_cmp_eq_u32_e32 vcc_lo, 1, v36
	v_add_nc_u32_e32 v74, v27, v74
	v_sub_nc_u32_e32 v27, v27, v7
	v_cndmask_b32_e32 v25, v26, v25, vcc_lo
	s_delay_alu instid0(VALU_DEP_3) | instskip(NEXT) | instid1(VALU_DEP_3)
	v_sub_nc_u32_e32 v37, v74, v7
	v_add_nc_u32_e32 v34, v27, v28
	v_cmp_eq_u32_e32 vcc_lo, 1, v24
	v_sub_nc_u32_e32 v26, v73, v8
	v_lshlrev_b32_e32 v21, 2, v25
	v_and_b32_e32 v25, 1, v41
	v_sub_nc_u32_e32 v9, v33, v34
	v_add_nc_u32_e32 v20, v37, v29
	v_and_b32_e32 v24, 1, v42
	v_add_nc_u32_e32 v26, v26, v5
	ds_store_b32 v21, v18
	v_add_nc_u32_e32 v9, 3, v9
	v_sub_nc_u32_e32 v20, v33, v20
	s_delay_alu instid0(VALU_DEP_2) | instskip(SKIP_2) | instid1(VALU_DEP_4)
	v_cndmask_b32_e32 v9, v9, v28, vcc_lo
	v_cmp_eq_u32_e32 vcc_lo, 1, v25
	v_add_nc_u32_e32 v72, v74, v72
	v_add_nc_u32_e32 v20, 4, v20
	v_and_b32_e32 v25, 1, v43
	v_cndmask_b32_e32 v9, v9, v27, vcc_lo
	s_delay_alu instid0(VALU_DEP_4)
	v_sub_nc_u32_e32 v28, v72, v7
	v_cmp_eq_u32_e32 vcc_lo, 1, v24
	v_and_b32_e32 v24, 1, v44
	v_add_nc_u32_e32 v70, v72, v70
	v_lshlrev_b32_e32 v9, 2, v9
	v_add_nc_u32_e32 v27, v28, v26
	v_cndmask_b32_e32 v20, v20, v29, vcc_lo
	v_cmp_eq_u32_e32 vcc_lo, 1, v25
	v_and_b32_e32 v25, 1, v45
	v_add_nc_u32_e32 v64, v70, v64
	v_sub_nc_u32_e32 v18, v33, v27
	v_sub_nc_u32_e32 v27, v70, v7
	v_cndmask_b32_e32 v20, v20, v37, vcc_lo
	v_cmp_eq_u32_e32 vcc_lo, 1, v24
	ds_store_b32 v9, v19
	v_add_nc_u32_e32 v18, 5, v18
	v_and_b32_e32 v19, 1, v46
	v_lshlrev_b32_e32 v20, 2, v20
	v_add_nc_u32_e32 v68, v64, v68
	s_delay_alu instid0(VALU_DEP_4)
	v_cndmask_b32_e32 v18, v18, v26, vcc_lo
	v_cmp_eq_u32_e32 vcc_lo, 1, v25
	v_sub_nc_u32_e32 v25, v64, v7
	ds_store_b32 v20, v16
	v_and_b32_e32 v20, 1, v49
	v_add_nc_u32_e32 v66, v68, v66
	v_dual_cndmask_b32 v18, v18, v28 :: v_dual_add_nc_u32 v71, v73, v71
	v_cmp_eq_u32_e32 vcc_lo, 1, v19
	v_and_b32_e32 v19, 1, v48
	s_delay_alu instid0(VALU_DEP_4) | instskip(NEXT) | instid1(VALU_DEP_4)
	v_add_nc_u32_e32 v61, v66, v61
	v_lshlrev_b32_e32 v18, 2, v18
	v_add_nc_u32_e32 v65, v71, v65
	v_sub_nc_u32_e32 v21, v71, v8
	s_delay_alu instid0(VALU_DEP_4)
	v_add_nc_u32_e32 v60, v61, v60
	ds_store_b32 v18, v17
	v_sub_nc_u32_e32 v24, v65, v8
	v_add_nc_u32_e32 v21, v21, v5
	v_add_nc_u32_e32 v69, v65, v69
	v_and_b32_e32 v17, 1, v47
	s_delay_alu instid0(VALU_DEP_4) | instskip(NEXT) | instid1(VALU_DEP_4)
	v_add_nc_u32_e32 v24, v24, v5
	v_add_nc_u32_e32 v26, v27, v21
	s_delay_alu instid0(VALU_DEP_4) | instskip(NEXT) | instid1(VALU_DEP_3)
	v_sub_nc_u32_e32 v18, v69, v8
	v_add_nc_u32_e32 v16, v25, v24
	s_delay_alu instid0(VALU_DEP_3) | instskip(NEXT) | instid1(VALU_DEP_3)
	v_sub_nc_u32_e32 v9, v33, v26
	v_add_nc_u32_e32 v18, v18, v5
	v_sub_nc_u32_e32 v26, v60, v7
	s_delay_alu instid0(VALU_DEP_4) | instskip(NEXT) | instid1(VALU_DEP_4)
	v_sub_nc_u32_e32 v16, v33, v16
	v_add_nc_u32_e32 v9, 6, v9
	s_delay_alu instid0(VALU_DEP_1) | instskip(SKIP_2) | instid1(VALU_DEP_3)
	v_dual_cndmask_b32 v9, v9, v21 :: v_dual_add_nc_u32 v16, 7, v16
	v_cmp_eq_u32_e32 vcc_lo, 1, v19
	v_sub_nc_u32_e32 v21, v68, v7
	v_cndmask_b32_e32 v16, v16, v24, vcc_lo
	v_cmp_eq_u32_e32 vcc_lo, 1, v17
	s_delay_alu instid0(VALU_DEP_3) | instskip(SKIP_3) | instid1(VALU_DEP_4)
	v_add_nc_u32_e32 v17, v21, v18
	v_cndmask_b32_e32 v9, v9, v27, vcc_lo
	v_cmp_eq_u32_e32 vcc_lo, 1, v20
	v_add_nc_u32_e32 v67, v69, v67
	v_sub_nc_u32_e32 v17, v33, v17
	v_sub_nc_u32_e32 v20, v66, v7
	v_lshlrev_b32_e32 v9, 2, v9
	v_cndmask_b32_e32 v16, v16, v25, vcc_lo
	v_sub_nc_u32_e32 v19, v67, v8
	v_add_nc_u32_e32 v62, v67, v62
	v_sub_nc_u32_e32 v25, v61, v7
	ds_store_b32 v9, v14
	v_and_b32_e32 v9, 1, v50
	v_add_nc_u32_e32 v19, v19, v5
	v_add_nc_u32_e32 v14, 8, v17
	v_lshlrev_b32_e32 v16, 2, v16
	v_add_nc_u32_e32 v63, v62, v63
	v_cmp_eq_u32_e32 vcc_lo, 1, v9
	v_add_nc_u32_e32 v17, v20, v19
	ds_store_b32 v16, v15
	v_and_b32_e32 v15, 1, v51
	v_cndmask_b32_e32 v9, v14, v18, vcc_lo
	v_sub_nc_u32_e32 v14, v33, v17
	v_and_b32_e32 v18, 1, v52
	v_sub_nc_u32_e32 v17, v62, v8
	v_and_b32_e32 v16, 1, v54
	v_sub_nc_u32_e32 v24, v63, v8
	v_add_nc_u32_e32 v14, 9, v14
	v_cmp_eq_u32_e32 vcc_lo, 1, v18
	v_add_nc_u32_e32 v17, v17, v5
	v_add_nc_u32_e32 v35, v63, v59
	v_add_nc_u32_e32 v24, v24, v5
	v_cndmask_b32_e32 v14, v14, v19, vcc_lo
	v_cmp_eq_u32_e32 vcc_lo, 1, v15
	v_add_nc_u32_e32 v15, v25, v17
	s_delay_alu instid0(VALU_DEP_4)
	v_add_nc_u32_e32 v18, v26, v24
	v_and_b32_e32 v19, 1, v55
	v_cndmask_b32_e32 v9, v9, v21, vcc_lo
	v_cmp_eq_u32_e32 vcc_lo, 1, v16
	v_sub_nc_u32_e32 v15, v33, v15
	v_sub_nc_u32_e32 v18, v33, v18
	v_and_b32_e32 v21, 1, v57
	v_sub_nc_u32_e32 v16, v35, v8
	v_cndmask_b32_e32 v14, v14, v20, vcc_lo
	v_and_b32_e32 v20, 1, v53
	v_add_nc_u32_e32 v15, 10, v15
	v_add_nc_u32_e32 v18, 11, v18
	;; [unrolled: 1-line block ×3, first 2 shown]
	v_lshlrev_b32_e32 v9, 2, v9
	v_cmp_eq_u32_e32 vcc_lo, 1, v20
	v_dual_cndmask_b32 v15, v15, v17 :: v_dual_lshlrev_b32 v14, 2, v14
	v_cmp_eq_u32_e32 vcc_lo, 1, v21
	v_and_b32_e32 v17, 1, v56
	v_cndmask_b32_e32 v18, v18, v24, vcc_lo
	v_cmp_eq_u32_e32 vcc_lo, 1, v19
	v_cndmask_b32_e32 v15, v15, v25, vcc_lo
	s_delay_alu instid0(VALU_DEP_4) | instskip(NEXT) | instid1(VALU_DEP_2)
	v_cmp_eq_u32_e32 vcc_lo, 1, v17
	v_lshlrev_b32_e32 v15, 2, v15
	v_cndmask_b32_e32 v17, v18, v26, vcc_lo
	v_add_nc_u32_e32 v40, v60, v58
	s_delay_alu instid0(VALU_DEP_2) | instskip(NEXT) | instid1(VALU_DEP_2)
	v_lshlrev_b32_e32 v17, 2, v17
	v_sub_nc_u32_e32 v7, v40, v7
	ds_store_b32 v9, v12
	ds_store_b32 v14, v13
	;; [unrolled: 1-line block ×4, first 2 shown]
	v_add_co_u32 v9, s0, v6, v77
	s_delay_alu instid0(VALU_DEP_1) | instskip(SKIP_1) | instid1(VALU_DEP_3)
	v_add_co_ci_u32_e64 v10, null, 0, 0, s0
	v_add_nc_u32_e32 v27, v7, v16
	v_add_co_u32 v9, vcc_lo, v9, v22
	s_delay_alu instid0(VALU_DEP_3) | instskip(NEXT) | instid1(VALU_DEP_3)
	v_add_co_ci_u32_e32 v10, vcc_lo, v10, v23, vcc_lo
	v_sub_nc_u32_e32 v20, v33, v27
	v_add_co_u32 v11, s0, s34, v30
	s_delay_alu instid0(VALU_DEP_4) | instskip(NEXT) | instid1(VALU_DEP_3)
	v_add_co_u32 v9, vcc_lo, v9, v1
	v_add_nc_u32_e32 v18, 12, v20
	v_add_co_ci_u32_e64 v12, null, s35, 0, s0
	v_add_co_ci_u32_e32 v10, vcc_lo, v10, v2, vcc_lo
	s_delay_alu instid0(VALU_DEP_3) | instskip(SKIP_1) | instid1(VALU_DEP_2)
	v_cndmask_b32_e64 v16, v18, v16, s33
	v_add_nc_u32_e32 v14, v5, v6
	v_cndmask_b32_e64 v7, v16, v7, s27
	s_delay_alu instid0(VALU_DEP_1)
	v_lshlrev_b32_e32 v7, 2, v7
	ds_store_b32 v7, v32
	v_sub_co_u32 v7, vcc_lo, v11, v9
	v_sub_co_ci_u32_e32 v13, vcc_lo, v12, v10, vcc_lo
	v_lshlrev_b64 v[9:10], 2, v[22:23]
	v_lshlrev_b64 v[11:12], 2, v[1:2]
	s_waitcnt lgkmcnt(0)
	s_barrier
	buffer_gl0_inv
	v_add_co_u32 v9, vcc_lo, s30, v9
	v_add_co_ci_u32_e32 v10, vcc_lo, s31, v10, vcc_lo
	v_cmp_ne_u32_e32 vcc_lo, 1, v31
	v_add_co_u32 v11, s0, s28, v11
	s_delay_alu instid0(VALU_DEP_1)
	v_add_co_ci_u32_e64 v12, s0, s29, v12, s0
	s_addc_u32 s0, s15, -1
	s_cbranch_vccz .LBB964_137
; %bb.134:
	s_and_b32 vcc_lo, exec_lo, s3
	s_cbranch_vccnz .LBB964_242
.LBB964_135:
	s_and_b32 s0, s2, s13
	s_delay_alu instid0(SALU_CYCLE_1)
	s_and_saveexec_b32 s1, s0
	s_cbranch_execnz .LBB964_360
.LBB964_136:
	s_nop 0
	s_sendmsg sendmsg(MSG_DEALLOC_VGPRS)
	s_endpgm
.LBB964_137:
	s_mov_b32 s3, exec_lo
	v_cmpx_le_u32_e64 v5, v0
	s_xor_b32 s3, exec_lo, s3
	s_cbranch_execz .LBB964_143
; %bb.138:
	s_mov_b32 s5, exec_lo
	v_cmpx_le_u32_e64 v14, v0
	s_xor_b32 s5, exec_lo, s5
	s_cbranch_execz .LBB964_140
; %bb.139:
	v_lshlrev_b32_e32 v15, 2, v0
	ds_load_b32 v17, v15
	v_add_co_u32 v15, vcc_lo, v7, v0
	v_add_co_ci_u32_e32 v16, vcc_lo, 0, v13, vcc_lo
	s_delay_alu instid0(VALU_DEP_1) | instskip(NEXT) | instid1(VALU_DEP_1)
	v_lshlrev_b64 v[15:16], 2, v[15:16]
	v_sub_co_u32 v15, vcc_lo, s14, v15
	s_delay_alu instid0(VALU_DEP_2)
	v_sub_co_ci_u32_e32 v16, vcc_lo, s15, v16, vcc_lo
	s_waitcnt lgkmcnt(0)
	global_store_b32 v[15:16], v17, off offset:-4
.LBB964_140:
	s_and_not1_saveexec_b32 s5, s5
	s_cbranch_execz .LBB964_142
; %bb.141:
	v_lshlrev_b32_e32 v15, 2, v0
	v_readfirstlane_b32 s6, v9
	v_readfirstlane_b32 s7, v10
	ds_load_b32 v16, v15
	s_waitcnt lgkmcnt(0)
	global_store_b32 v15, v16, s[6:7]
.LBB964_142:
	s_or_b32 exec_lo, exec_lo, s5
.LBB964_143:
	s_and_not1_saveexec_b32 s3, s3
	s_cbranch_execz .LBB964_145
; %bb.144:
	v_lshlrev_b32_e32 v15, 2, v0
	v_readfirstlane_b32 s6, v11
	v_readfirstlane_b32 s7, v12
	ds_load_b32 v16, v15
	s_waitcnt lgkmcnt(0)
	global_store_b32 v15, v16, s[6:7]
.LBB964_145:
	s_or_b32 exec_lo, exec_lo, s3
	v_or_b32_e32 v15, 0x100, v0
	s_mov_b32 s3, exec_lo
	s_delay_alu instid0(VALU_DEP_1)
	v_cmpx_le_u32_e64 v5, v15
	s_xor_b32 s3, exec_lo, s3
	s_cbranch_execz .LBB964_151
; %bb.146:
	s_mov_b32 s5, exec_lo
	v_cmpx_le_u32_e64 v14, v15
	s_xor_b32 s5, exec_lo, s5
	s_cbranch_execz .LBB964_148
; %bb.147:
	v_lshlrev_b32_e32 v15, 2, v0
	ds_load_b32 v17, v15 offset:1024
	v_add_co_u32 v15, vcc_lo, v7, v0
	v_add_co_ci_u32_e32 v16, vcc_lo, 0, v13, vcc_lo
	s_delay_alu instid0(VALU_DEP_1) | instskip(NEXT) | instid1(VALU_DEP_1)
	v_lshlrev_b64 v[15:16], 2, v[15:16]
	v_sub_co_u32 v15, vcc_lo, s1, v15
	s_delay_alu instid0(VALU_DEP_2)
	v_sub_co_ci_u32_e32 v16, vcc_lo, s0, v16, vcc_lo
	s_waitcnt lgkmcnt(0)
	global_store_b32 v[15:16], v17, off offset:-1024
.LBB964_148:
	s_and_not1_saveexec_b32 s5, s5
	s_cbranch_execz .LBB964_150
; %bb.149:
	v_lshlrev_b32_e32 v15, 2, v0
	v_readfirstlane_b32 s6, v9
	v_readfirstlane_b32 s7, v10
	ds_load_b32 v16, v15 offset:1024
	s_waitcnt lgkmcnt(0)
	global_store_b32 v15, v16, s[6:7] offset:1024
.LBB964_150:
	s_or_b32 exec_lo, exec_lo, s5
.LBB964_151:
	s_and_not1_saveexec_b32 s3, s3
	s_cbranch_execz .LBB964_153
; %bb.152:
	v_lshlrev_b32_e32 v15, 2, v0
	v_readfirstlane_b32 s6, v11
	v_readfirstlane_b32 s7, v12
	ds_load_b32 v16, v15 offset:1024
	s_waitcnt lgkmcnt(0)
	global_store_b32 v15, v16, s[6:7] offset:1024
.LBB964_153:
	s_or_b32 exec_lo, exec_lo, s3
	v_or_b32_e32 v15, 0x200, v0
	s_mov_b32 s3, exec_lo
	s_delay_alu instid0(VALU_DEP_1)
	v_cmpx_le_u32_e64 v5, v15
	s_xor_b32 s3, exec_lo, s3
	s_cbranch_execz .LBB964_159
; %bb.154:
	s_mov_b32 s5, exec_lo
	v_cmpx_le_u32_e64 v14, v15
	s_xor_b32 s5, exec_lo, s5
	s_cbranch_execz .LBB964_156
; %bb.155:
	v_lshlrev_b32_e32 v15, 2, v0
	ds_load_b32 v17, v15 offset:2048
	v_add_co_u32 v15, vcc_lo, v7, v0
	v_add_co_ci_u32_e32 v16, vcc_lo, 0, v13, vcc_lo
	s_delay_alu instid0(VALU_DEP_1) | instskip(NEXT) | instid1(VALU_DEP_1)
	v_lshlrev_b64 v[15:16], 2, v[15:16]
	v_sub_co_u32 v15, vcc_lo, s1, v15
	s_delay_alu instid0(VALU_DEP_2)
	v_sub_co_ci_u32_e32 v16, vcc_lo, s0, v16, vcc_lo
	s_waitcnt lgkmcnt(0)
	global_store_b32 v[15:16], v17, off offset:-2048
.LBB964_156:
	s_and_not1_saveexec_b32 s5, s5
	s_cbranch_execz .LBB964_158
; %bb.157:
	v_lshlrev_b32_e32 v15, 2, v0
	v_readfirstlane_b32 s6, v9
	v_readfirstlane_b32 s7, v10
	ds_load_b32 v16, v15 offset:2048
	s_waitcnt lgkmcnt(0)
	global_store_b32 v15, v16, s[6:7] offset:2048
.LBB964_158:
	s_or_b32 exec_lo, exec_lo, s5
.LBB964_159:
	s_and_not1_saveexec_b32 s3, s3
	s_cbranch_execz .LBB964_161
; %bb.160:
	v_lshlrev_b32_e32 v15, 2, v0
	v_readfirstlane_b32 s6, v11
	v_readfirstlane_b32 s7, v12
	ds_load_b32 v16, v15 offset:2048
	s_waitcnt lgkmcnt(0)
	global_store_b32 v15, v16, s[6:7] offset:2048
.LBB964_161:
	;; [unrolled: 47-line block ×3, first 2 shown]
	s_or_b32 exec_lo, exec_lo, s3
	v_or_b32_e32 v15, 0x400, v0
	s_mov_b32 s3, exec_lo
	s_delay_alu instid0(VALU_DEP_1)
	v_cmpx_le_u32_e64 v5, v15
	s_xor_b32 s3, exec_lo, s3
	s_cbranch_execz .LBB964_175
; %bb.170:
	s_mov_b32 s5, exec_lo
	v_cmpx_le_u32_e64 v14, v15
	s_xor_b32 s5, exec_lo, s5
	s_cbranch_execz .LBB964_172
; %bb.171:
	v_lshlrev_b32_e32 v15, 2, v0
	ds_load_b32 v17, v15 offset:4096
	v_add_co_u32 v15, vcc_lo, v7, v0
	v_add_co_ci_u32_e32 v16, vcc_lo, 0, v13, vcc_lo
	s_delay_alu instid0(VALU_DEP_1) | instskip(NEXT) | instid1(VALU_DEP_1)
	v_lshlrev_b64 v[15:16], 2, v[15:16]
	v_sub_co_u32 v15, vcc_lo, s1, v15
	s_delay_alu instid0(VALU_DEP_2)
	v_sub_co_ci_u32_e32 v16, vcc_lo, s0, v16, vcc_lo
	s_waitcnt lgkmcnt(0)
	global_store_b32 v[15:16], v17, off offset:-4096
                                        ; implicit-def: $vgpr15
.LBB964_172:
	s_and_not1_saveexec_b32 s5, s5
	s_cbranch_execz .LBB964_174
; %bb.173:
	v_lshlrev_b32_e32 v16, 2, v0
	v_lshlrev_b32_e32 v15, 2, v15
	v_readfirstlane_b32 s6, v9
	v_readfirstlane_b32 s7, v10
	ds_load_b32 v16, v16 offset:4096
	s_waitcnt lgkmcnt(0)
	global_store_b32 v15, v16, s[6:7]
.LBB964_174:
	s_or_b32 exec_lo, exec_lo, s5
                                        ; implicit-def: $vgpr15
.LBB964_175:
	s_and_not1_saveexec_b32 s3, s3
	s_cbranch_execz .LBB964_177
; %bb.176:
	v_lshlrev_b32_e32 v16, 2, v0
	v_lshlrev_b32_e32 v15, 2, v15
	v_readfirstlane_b32 s6, v11
	v_readfirstlane_b32 s7, v12
	ds_load_b32 v16, v16 offset:4096
	s_waitcnt lgkmcnt(0)
	global_store_b32 v15, v16, s[6:7]
.LBB964_177:
	s_or_b32 exec_lo, exec_lo, s3
	v_or_b32_e32 v15, 0x500, v0
	s_mov_b32 s3, exec_lo
	s_delay_alu instid0(VALU_DEP_1)
	v_cmpx_le_u32_e64 v5, v15
	s_xor_b32 s3, exec_lo, s3
	s_cbranch_execz .LBB964_183
; %bb.178:
	s_mov_b32 s5, exec_lo
	v_cmpx_le_u32_e64 v14, v15
	s_xor_b32 s5, exec_lo, s5
	s_cbranch_execz .LBB964_180
; %bb.179:
	v_lshlrev_b32_e32 v16, 2, v0
	v_add_co_u32 v15, vcc_lo, v7, v15
	ds_load_b32 v17, v16 offset:5120
	v_add_co_ci_u32_e32 v16, vcc_lo, 0, v13, vcc_lo
	s_delay_alu instid0(VALU_DEP_1) | instskip(NEXT) | instid1(VALU_DEP_1)
	v_lshlrev_b64 v[15:16], 2, v[15:16]
	v_sub_co_u32 v15, vcc_lo, s1, v15
	s_delay_alu instid0(VALU_DEP_2)
	v_sub_co_ci_u32_e32 v16, vcc_lo, s0, v16, vcc_lo
	s_waitcnt lgkmcnt(0)
	global_store_b32 v[15:16], v17, off
                                        ; implicit-def: $vgpr15
.LBB964_180:
	s_and_not1_saveexec_b32 s5, s5
	s_cbranch_execz .LBB964_182
; %bb.181:
	v_lshlrev_b32_e32 v16, 2, v0
	v_lshlrev_b32_e32 v15, 2, v15
	v_readfirstlane_b32 s6, v9
	v_readfirstlane_b32 s7, v10
	ds_load_b32 v16, v16 offset:5120
	s_waitcnt lgkmcnt(0)
	global_store_b32 v15, v16, s[6:7]
.LBB964_182:
	s_or_b32 exec_lo, exec_lo, s5
                                        ; implicit-def: $vgpr15
.LBB964_183:
	s_and_not1_saveexec_b32 s3, s3
	s_cbranch_execz .LBB964_185
; %bb.184:
	v_lshlrev_b32_e32 v16, 2, v0
	v_lshlrev_b32_e32 v15, 2, v15
	v_readfirstlane_b32 s6, v11
	v_readfirstlane_b32 s7, v12
	ds_load_b32 v16, v16 offset:5120
	s_waitcnt lgkmcnt(0)
	global_store_b32 v15, v16, s[6:7]
.LBB964_185:
	s_or_b32 exec_lo, exec_lo, s3
	v_or_b32_e32 v15, 0x600, v0
	s_mov_b32 s3, exec_lo
	s_delay_alu instid0(VALU_DEP_1)
	v_cmpx_le_u32_e64 v5, v15
	s_xor_b32 s3, exec_lo, s3
	s_cbranch_execz .LBB964_191
; %bb.186:
	s_mov_b32 s5, exec_lo
	v_cmpx_le_u32_e64 v14, v15
	s_xor_b32 s5, exec_lo, s5
	s_cbranch_execz .LBB964_188
; %bb.187:
	v_lshlrev_b32_e32 v16, 2, v0
	v_add_co_u32 v15, vcc_lo, v7, v15
	ds_load_b32 v17, v16 offset:6144
	v_add_co_ci_u32_e32 v16, vcc_lo, 0, v13, vcc_lo
	s_delay_alu instid0(VALU_DEP_1) | instskip(NEXT) | instid1(VALU_DEP_1)
	v_lshlrev_b64 v[15:16], 2, v[15:16]
	v_sub_co_u32 v15, vcc_lo, s1, v15
	s_delay_alu instid0(VALU_DEP_2)
	v_sub_co_ci_u32_e32 v16, vcc_lo, s0, v16, vcc_lo
	s_waitcnt lgkmcnt(0)
	global_store_b32 v[15:16], v17, off
                                        ; implicit-def: $vgpr15
.LBB964_188:
	s_and_not1_saveexec_b32 s5, s5
	s_cbranch_execz .LBB964_190
; %bb.189:
	v_lshlrev_b32_e32 v16, 2, v0
	v_lshlrev_b32_e32 v15, 2, v15
	v_readfirstlane_b32 s6, v9
	v_readfirstlane_b32 s7, v10
	ds_load_b32 v16, v16 offset:6144
	s_waitcnt lgkmcnt(0)
	global_store_b32 v15, v16, s[6:7]
.LBB964_190:
	s_or_b32 exec_lo, exec_lo, s5
                                        ; implicit-def: $vgpr15
.LBB964_191:
	;; [unrolled: 51-line block ×8, first 2 shown]
	s_and_not1_saveexec_b32 s3, s3
	s_cbranch_execz .LBB964_241
; %bb.240:
	v_lshlrev_b32_e32 v16, 2, v0
	v_lshlrev_b32_e32 v15, 2, v15
	v_readfirstlane_b32 s6, v11
	v_readfirstlane_b32 s7, v12
	ds_load_b32 v16, v16 offset:12288
	s_waitcnt lgkmcnt(0)
	global_store_b32 v15, v16, s[6:7]
.LBB964_241:
	s_or_b32 exec_lo, exec_lo, s3
	s_branch .LBB964_135
.LBB964_242:
	s_mov_b32 s3, exec_lo
	v_cmpx_gt_u32_e64 s4, v0
	s_cbranch_execz .LBB964_251
; %bb.243:
	s_mov_b32 s5, exec_lo
	v_cmpx_le_u32_e64 v5, v0
	s_xor_b32 s5, exec_lo, s5
	s_cbranch_execz .LBB964_249
; %bb.244:
	s_mov_b32 s6, exec_lo
	v_cmpx_le_u32_e64 v14, v0
	s_xor_b32 s6, exec_lo, s6
	s_cbranch_execz .LBB964_246
; %bb.245:
	v_lshlrev_b32_e32 v15, 2, v0
	ds_load_b32 v17, v15
	v_add_co_u32 v15, vcc_lo, v7, v0
	v_add_co_ci_u32_e32 v16, vcc_lo, 0, v13, vcc_lo
	s_delay_alu instid0(VALU_DEP_1) | instskip(NEXT) | instid1(VALU_DEP_1)
	v_lshlrev_b64 v[15:16], 2, v[15:16]
	v_sub_co_u32 v15, vcc_lo, s14, v15
	s_delay_alu instid0(VALU_DEP_2)
	v_sub_co_ci_u32_e32 v16, vcc_lo, s15, v16, vcc_lo
	s_waitcnt lgkmcnt(0)
	global_store_b32 v[15:16], v17, off offset:-4
.LBB964_246:
	s_and_not1_saveexec_b32 s6, s6
	s_cbranch_execz .LBB964_248
; %bb.247:
	v_lshlrev_b32_e32 v15, 2, v0
	v_readfirstlane_b32 s8, v9
	v_readfirstlane_b32 s9, v10
	ds_load_b32 v16, v15
	s_waitcnt lgkmcnt(0)
	global_store_b32 v15, v16, s[8:9]
.LBB964_248:
	s_or_b32 exec_lo, exec_lo, s6
.LBB964_249:
	s_and_not1_saveexec_b32 s5, s5
	s_cbranch_execz .LBB964_251
; %bb.250:
	v_lshlrev_b32_e32 v15, 2, v0
	v_readfirstlane_b32 s6, v11
	v_readfirstlane_b32 s7, v12
	ds_load_b32 v16, v15
	s_waitcnt lgkmcnt(0)
	global_store_b32 v15, v16, s[6:7]
.LBB964_251:
	s_or_b32 exec_lo, exec_lo, s3
	v_or_b32_e32 v15, 0x100, v0
	s_mov_b32 s3, exec_lo
	s_delay_alu instid0(VALU_DEP_1)
	v_cmpx_gt_u32_e64 s4, v15
	s_cbranch_execz .LBB964_260
; %bb.252:
	s_mov_b32 s5, exec_lo
	v_cmpx_le_u32_e64 v5, v15
	s_xor_b32 s5, exec_lo, s5
	s_cbranch_execz .LBB964_258
; %bb.253:
	s_mov_b32 s6, exec_lo
	v_cmpx_le_u32_e64 v14, v15
	s_xor_b32 s6, exec_lo, s6
	s_cbranch_execz .LBB964_255
; %bb.254:
	v_lshlrev_b32_e32 v15, 2, v0
	ds_load_b32 v17, v15 offset:1024
	v_add_co_u32 v15, vcc_lo, v7, v0
	v_add_co_ci_u32_e32 v16, vcc_lo, 0, v13, vcc_lo
	s_delay_alu instid0(VALU_DEP_1) | instskip(NEXT) | instid1(VALU_DEP_1)
	v_lshlrev_b64 v[15:16], 2, v[15:16]
	v_sub_co_u32 v15, vcc_lo, s1, v15
	s_delay_alu instid0(VALU_DEP_2)
	v_sub_co_ci_u32_e32 v16, vcc_lo, s0, v16, vcc_lo
	s_waitcnt lgkmcnt(0)
	global_store_b32 v[15:16], v17, off offset:-1024
.LBB964_255:
	s_and_not1_saveexec_b32 s6, s6
	s_cbranch_execz .LBB964_257
; %bb.256:
	v_lshlrev_b32_e32 v15, 2, v0
	v_readfirstlane_b32 s8, v9
	v_readfirstlane_b32 s9, v10
	ds_load_b32 v16, v15 offset:1024
	s_waitcnt lgkmcnt(0)
	global_store_b32 v15, v16, s[8:9] offset:1024
.LBB964_257:
	s_or_b32 exec_lo, exec_lo, s6
.LBB964_258:
	s_and_not1_saveexec_b32 s5, s5
	s_cbranch_execz .LBB964_260
; %bb.259:
	v_lshlrev_b32_e32 v15, 2, v0
	v_readfirstlane_b32 s6, v11
	v_readfirstlane_b32 s7, v12
	ds_load_b32 v16, v15 offset:1024
	s_waitcnt lgkmcnt(0)
	global_store_b32 v15, v16, s[6:7] offset:1024
.LBB964_260:
	s_or_b32 exec_lo, exec_lo, s3
	v_or_b32_e32 v15, 0x200, v0
	s_mov_b32 s3, exec_lo
	s_delay_alu instid0(VALU_DEP_1)
	v_cmpx_gt_u32_e64 s4, v15
	s_cbranch_execz .LBB964_269
; %bb.261:
	s_mov_b32 s5, exec_lo
	v_cmpx_le_u32_e64 v5, v15
	s_xor_b32 s5, exec_lo, s5
	s_cbranch_execz .LBB964_267
; %bb.262:
	s_mov_b32 s6, exec_lo
	v_cmpx_le_u32_e64 v14, v15
	s_xor_b32 s6, exec_lo, s6
	s_cbranch_execz .LBB964_264
; %bb.263:
	v_lshlrev_b32_e32 v15, 2, v0
	ds_load_b32 v17, v15 offset:2048
	v_add_co_u32 v15, vcc_lo, v7, v0
	v_add_co_ci_u32_e32 v16, vcc_lo, 0, v13, vcc_lo
	s_delay_alu instid0(VALU_DEP_1) | instskip(NEXT) | instid1(VALU_DEP_1)
	v_lshlrev_b64 v[15:16], 2, v[15:16]
	v_sub_co_u32 v15, vcc_lo, s1, v15
	s_delay_alu instid0(VALU_DEP_2)
	v_sub_co_ci_u32_e32 v16, vcc_lo, s0, v16, vcc_lo
	s_waitcnt lgkmcnt(0)
	global_store_b32 v[15:16], v17, off offset:-2048
.LBB964_264:
	s_and_not1_saveexec_b32 s6, s6
	s_cbranch_execz .LBB964_266
; %bb.265:
	v_lshlrev_b32_e32 v15, 2, v0
	v_readfirstlane_b32 s8, v9
	v_readfirstlane_b32 s9, v10
	ds_load_b32 v16, v15 offset:2048
	s_waitcnt lgkmcnt(0)
	global_store_b32 v15, v16, s[8:9] offset:2048
.LBB964_266:
	s_or_b32 exec_lo, exec_lo, s6
.LBB964_267:
	s_and_not1_saveexec_b32 s5, s5
	s_cbranch_execz .LBB964_269
; %bb.268:
	v_lshlrev_b32_e32 v15, 2, v0
	v_readfirstlane_b32 s6, v11
	v_readfirstlane_b32 s7, v12
	ds_load_b32 v16, v15 offset:2048
	s_waitcnt lgkmcnt(0)
	global_store_b32 v15, v16, s[6:7] offset:2048
.LBB964_269:
	;; [unrolled: 51-line block ×3, first 2 shown]
	s_or_b32 exec_lo, exec_lo, s3
	v_or_b32_e32 v15, 0x400, v0
	s_mov_b32 s3, exec_lo
	s_delay_alu instid0(VALU_DEP_1)
	v_cmpx_gt_u32_e64 s4, v15
	s_cbranch_execz .LBB964_287
; %bb.279:
	s_mov_b32 s5, exec_lo
	v_cmpx_le_u32_e64 v5, v15
	s_xor_b32 s5, exec_lo, s5
	s_cbranch_execz .LBB964_285
; %bb.280:
	s_mov_b32 s6, exec_lo
	v_cmpx_le_u32_e64 v14, v15
	s_xor_b32 s6, exec_lo, s6
	s_cbranch_execz .LBB964_282
; %bb.281:
	v_lshlrev_b32_e32 v15, 2, v0
	ds_load_b32 v17, v15 offset:4096
	v_add_co_u32 v15, vcc_lo, v7, v0
	v_add_co_ci_u32_e32 v16, vcc_lo, 0, v13, vcc_lo
	s_delay_alu instid0(VALU_DEP_1) | instskip(NEXT) | instid1(VALU_DEP_1)
	v_lshlrev_b64 v[15:16], 2, v[15:16]
	v_sub_co_u32 v15, vcc_lo, s1, v15
	s_delay_alu instid0(VALU_DEP_2)
	v_sub_co_ci_u32_e32 v16, vcc_lo, s0, v16, vcc_lo
	s_waitcnt lgkmcnt(0)
	global_store_b32 v[15:16], v17, off offset:-4096
                                        ; implicit-def: $vgpr15
.LBB964_282:
	s_and_not1_saveexec_b32 s6, s6
	s_cbranch_execz .LBB964_284
; %bb.283:
	v_lshlrev_b32_e32 v16, 2, v0
	v_lshlrev_b32_e32 v15, 2, v15
	v_readfirstlane_b32 s8, v9
	v_readfirstlane_b32 s9, v10
	ds_load_b32 v16, v16 offset:4096
	s_waitcnt lgkmcnt(0)
	global_store_b32 v15, v16, s[8:9]
.LBB964_284:
	s_or_b32 exec_lo, exec_lo, s6
                                        ; implicit-def: $vgpr15
.LBB964_285:
	s_and_not1_saveexec_b32 s5, s5
	s_cbranch_execz .LBB964_287
; %bb.286:
	v_lshlrev_b32_e32 v16, 2, v0
	v_lshlrev_b32_e32 v15, 2, v15
	v_readfirstlane_b32 s6, v11
	v_readfirstlane_b32 s7, v12
	ds_load_b32 v16, v16 offset:4096
	s_waitcnt lgkmcnt(0)
	global_store_b32 v15, v16, s[6:7]
.LBB964_287:
	s_or_b32 exec_lo, exec_lo, s3
	v_or_b32_e32 v15, 0x500, v0
	s_mov_b32 s3, exec_lo
	s_delay_alu instid0(VALU_DEP_1)
	v_cmpx_gt_u32_e64 s4, v15
	s_cbranch_execz .LBB964_296
; %bb.288:
	s_mov_b32 s5, exec_lo
	v_cmpx_le_u32_e64 v5, v15
	s_xor_b32 s5, exec_lo, s5
	s_cbranch_execz .LBB964_294
; %bb.289:
	s_mov_b32 s6, exec_lo
	v_cmpx_le_u32_e64 v14, v15
	s_xor_b32 s6, exec_lo, s6
	s_cbranch_execz .LBB964_291
; %bb.290:
	v_lshlrev_b32_e32 v16, 2, v0
	v_add_co_u32 v15, vcc_lo, v7, v15
	ds_load_b32 v17, v16 offset:5120
	v_add_co_ci_u32_e32 v16, vcc_lo, 0, v13, vcc_lo
	s_delay_alu instid0(VALU_DEP_1) | instskip(NEXT) | instid1(VALU_DEP_1)
	v_lshlrev_b64 v[15:16], 2, v[15:16]
	v_sub_co_u32 v15, vcc_lo, s1, v15
	s_delay_alu instid0(VALU_DEP_2)
	v_sub_co_ci_u32_e32 v16, vcc_lo, s0, v16, vcc_lo
	s_waitcnt lgkmcnt(0)
	global_store_b32 v[15:16], v17, off
                                        ; implicit-def: $vgpr15
.LBB964_291:
	s_and_not1_saveexec_b32 s6, s6
	s_cbranch_execz .LBB964_293
; %bb.292:
	v_lshlrev_b32_e32 v16, 2, v0
	v_lshlrev_b32_e32 v15, 2, v15
	v_readfirstlane_b32 s8, v9
	v_readfirstlane_b32 s9, v10
	ds_load_b32 v16, v16 offset:5120
	s_waitcnt lgkmcnt(0)
	global_store_b32 v15, v16, s[8:9]
.LBB964_293:
	s_or_b32 exec_lo, exec_lo, s6
                                        ; implicit-def: $vgpr15
.LBB964_294:
	s_and_not1_saveexec_b32 s5, s5
	s_cbranch_execz .LBB964_296
; %bb.295:
	v_lshlrev_b32_e32 v16, 2, v0
	v_lshlrev_b32_e32 v15, 2, v15
	v_readfirstlane_b32 s6, v11
	v_readfirstlane_b32 s7, v12
	ds_load_b32 v16, v16 offset:5120
	s_waitcnt lgkmcnt(0)
	global_store_b32 v15, v16, s[6:7]
.LBB964_296:
	s_or_b32 exec_lo, exec_lo, s3
	v_or_b32_e32 v15, 0x600, v0
	s_mov_b32 s3, exec_lo
	s_delay_alu instid0(VALU_DEP_1)
	v_cmpx_gt_u32_e64 s4, v15
	s_cbranch_execz .LBB964_305
; %bb.297:
	s_mov_b32 s5, exec_lo
	v_cmpx_le_u32_e64 v5, v15
	s_xor_b32 s5, exec_lo, s5
	s_cbranch_execz .LBB964_303
; %bb.298:
	s_mov_b32 s6, exec_lo
	v_cmpx_le_u32_e64 v14, v15
	s_xor_b32 s6, exec_lo, s6
	s_cbranch_execz .LBB964_300
; %bb.299:
	v_lshlrev_b32_e32 v16, 2, v0
	v_add_co_u32 v15, vcc_lo, v7, v15
	ds_load_b32 v17, v16 offset:6144
	v_add_co_ci_u32_e32 v16, vcc_lo, 0, v13, vcc_lo
	s_delay_alu instid0(VALU_DEP_1) | instskip(NEXT) | instid1(VALU_DEP_1)
	v_lshlrev_b64 v[15:16], 2, v[15:16]
	v_sub_co_u32 v15, vcc_lo, s1, v15
	s_delay_alu instid0(VALU_DEP_2)
	v_sub_co_ci_u32_e32 v16, vcc_lo, s0, v16, vcc_lo
	s_waitcnt lgkmcnt(0)
	global_store_b32 v[15:16], v17, off
                                        ; implicit-def: $vgpr15
.LBB964_300:
	s_and_not1_saveexec_b32 s6, s6
	s_cbranch_execz .LBB964_302
; %bb.301:
	v_lshlrev_b32_e32 v16, 2, v0
	v_lshlrev_b32_e32 v15, 2, v15
	v_readfirstlane_b32 s8, v9
	v_readfirstlane_b32 s9, v10
	ds_load_b32 v16, v16 offset:6144
	s_waitcnt lgkmcnt(0)
	global_store_b32 v15, v16, s[8:9]
.LBB964_302:
	s_or_b32 exec_lo, exec_lo, s6
                                        ; implicit-def: $vgpr15
.LBB964_303:
	s_and_not1_saveexec_b32 s5, s5
	s_cbranch_execz .LBB964_305
; %bb.304:
	v_lshlrev_b32_e32 v16, 2, v0
	v_lshlrev_b32_e32 v15, 2, v15
	v_readfirstlane_b32 s6, v11
	v_readfirstlane_b32 s7, v12
	ds_load_b32 v16, v16 offset:6144
	s_waitcnt lgkmcnt(0)
	global_store_b32 v15, v16, s[6:7]
.LBB964_305:
	;; [unrolled: 55-line block ×7, first 2 shown]
	s_or_b32 exec_lo, exec_lo, s3
	v_or_b32_e32 v15, 0xc00, v0
	s_mov_b32 s3, exec_lo
	s_delay_alu instid0(VALU_DEP_1)
	v_cmpx_gt_u32_e64 s4, v15
	s_cbranch_execz .LBB964_359
; %bb.351:
	s_mov_b32 s4, exec_lo
	v_cmpx_le_u32_e64 v5, v15
	s_xor_b32 s4, exec_lo, s4
	s_cbranch_execz .LBB964_357
; %bb.352:
	s_mov_b32 s5, exec_lo
	v_cmpx_le_u32_e64 v14, v15
	s_xor_b32 s5, exec_lo, s5
	s_cbranch_execz .LBB964_354
; %bb.353:
	v_lshlrev_b32_e32 v0, 2, v0
	v_add_co_u32 v9, vcc_lo, v7, v15
	v_add_co_ci_u32_e32 v10, vcc_lo, 0, v13, vcc_lo
	ds_load_b32 v0, v0 offset:12288
                                        ; implicit-def: $vgpr15
	v_lshlrev_b64 v[9:10], 2, v[9:10]
	s_delay_alu instid0(VALU_DEP_1) | instskip(NEXT) | instid1(VALU_DEP_2)
	v_sub_co_u32 v9, vcc_lo, s1, v9
	v_sub_co_ci_u32_e32 v10, vcc_lo, s0, v10, vcc_lo
	s_waitcnt lgkmcnt(0)
	global_store_b32 v[9:10], v0, off
                                        ; implicit-def: $vgpr0
                                        ; implicit-def: $vgpr9_vgpr10
.LBB964_354:
	s_and_not1_saveexec_b32 s0, s5
	s_cbranch_execz .LBB964_356
; %bb.355:
	v_lshlrev_b32_e32 v0, 2, v0
	v_lshlrev_b32_e32 v7, 2, v15
	v_readfirstlane_b32 s6, v9
	v_readfirstlane_b32 s7, v10
	ds_load_b32 v0, v0 offset:12288
	s_waitcnt lgkmcnt(0)
	global_store_b32 v7, v0, s[6:7]
.LBB964_356:
	s_or_b32 exec_lo, exec_lo, s0
                                        ; implicit-def: $vgpr0
                                        ; implicit-def: $vgpr15
                                        ; implicit-def: $vgpr11_vgpr12
.LBB964_357:
	s_and_not1_saveexec_b32 s0, s4
	s_cbranch_execz .LBB964_359
; %bb.358:
	v_lshlrev_b32_e32 v0, 2, v0
	v_lshlrev_b32_e32 v7, 2, v15
	v_readfirstlane_b32 s0, v11
	v_readfirstlane_b32 s1, v12
	ds_load_b32 v0, v0 offset:12288
	s_waitcnt lgkmcnt(0)
	global_store_b32 v7, v0, s[0:1]
.LBB964_359:
	s_or_b32 exec_lo, exec_lo, s3
	s_and_b32 s0, s2, s13
	s_delay_alu instid0(SALU_CYCLE_1)
	s_and_saveexec_b32 s1, s0
	s_cbranch_execz .LBB964_136
.LBB964_360:
	v_add_co_u32 v3, vcc_lo, v3, v6
	v_add_co_ci_u32_e32 v4, vcc_lo, 0, v4, vcc_lo
	v_add_co_u32 v0, vcc_lo, v1, v5
	v_add_co_ci_u32_e32 v1, vcc_lo, 0, v2, vcc_lo
	s_delay_alu instid0(VALU_DEP_4)
	v_add_co_u32 v2, vcc_lo, v3, v8
	v_mov_b32_e32 v7, 0
	v_add_co_ci_u32_e32 v3, vcc_lo, 0, v4, vcc_lo
	global_store_b128 v7, v[0:3], s[24:25]
	s_nop 0
	s_sendmsg sendmsg(MSG_DEALLOC_VGPRS)
	s_endpgm
.LBB964_361:
	v_add_nc_u32_e32 v7, s6, v27
	s_add_i32 s8, s26, 32
	s_mov_b32 s9, 0
	v_dual_mov_b32 v9, 0 :: v_dual_add_nc_u32 v6, v26, v5
	s_lshl_b64 s[8:9], s[8:9], 4
	v_and_b32_e32 v24, 0xff0000, v7
	s_add_u32 s8, s36, s8
	s_addc_u32 s9, s37, s9
	v_and_b32_e32 v8, 0xff000000, v7
	s_delay_alu instid0(VALU_DEP_1) | instskip(SKIP_2) | instid1(VALU_DEP_1)
	v_or_b32_e32 v24, v24, v8
	v_dual_mov_b32 v8, 2 :: v_dual_and_b32 v25, 0xff00, v7
	v_and_b32_e32 v7, 0xff, v7
	v_or3_b32 v7, v24, v25, v7
	v_dual_mov_b32 v25, s9 :: v_dual_mov_b32 v24, s8
	;;#ASMSTART
	global_store_dwordx4 v[24:25], v[6:9] off	
s_waitcnt vmcnt(0)
	;;#ASMEND
	s_or_b32 exec_lo, exec_lo, s7
	s_and_saveexec_b32 s7, s3
	s_cbranch_execz .LBB964_120
.LBB964_362:
	v_mov_b32_e32 v6, s6
	v_add_nc_u32_e64 v7, 0x3400, 0
	ds_store_2addr_b32 v7, v5, v6 offset1:2
	ds_store_2addr_b32 v7, v26, v27 offset0:4 offset1:6
	s_or_b32 exec_lo, exec_lo, s7
	s_delay_alu instid0(SALU_CYCLE_1)
	s_and_b32 exec_lo, exec_lo, s2
	s_cbranch_execnz .LBB964_121
	s_branch .LBB964_122
	.section	.rodata,"a",@progbits
	.p2align	6, 0x0
	.amdhsa_kernel _ZN7rocprim17ROCPRIM_400000_NS6detail17trampoline_kernelINS0_13select_configILj256ELj13ELNS0_17block_load_methodE3ELS4_3ELS4_3ELNS0_20block_scan_algorithmE0ELj4294967295EEENS1_25partition_config_selectorILNS1_17partition_subalgoE4EjNS0_10empty_typeEbEEZZNS1_14partition_implILS8_4ELb0ES6_15HIP_vector_typeIjLj2EENS0_17counting_iteratorIjlEEPS9_SG_NS0_5tupleIJPjSI_NS0_16reverse_iteratorISI_EEEEENSH_IJSG_SG_SG_EEES9_SI_JZNS1_25segmented_radix_sort_implINS0_14default_configELb0EPKsPsPKlPlN2at6native12_GLOBAL__N_18offset_tEEE10hipError_tPvRmT1_PNSt15iterator_traitsIS12_E10value_typeET2_T3_PNS13_IS18_E10value_typeET4_jRbjT5_S1E_jjP12ihipStream_tbEUljE_ZNSN_ISO_Lb0ESQ_SR_ST_SU_SY_EESZ_S10_S11_S12_S16_S17_S18_S1B_S1C_jS1D_jS1E_S1E_jjS1G_bEUljE0_EEESZ_S10_S11_S18_S1C_S1E_T6_T7_T9_mT8_S1G_bDpT10_ENKUlT_T0_E_clISt17integral_constantIbLb1EES1U_EEDaS1P_S1Q_EUlS1P_E_NS1_11comp_targetILNS1_3genE9ELNS1_11target_archE1100ELNS1_3gpuE3ELNS1_3repE0EEENS1_30default_config_static_selectorELNS0_4arch9wavefront6targetE0EEEvS12_
		.amdhsa_group_segment_fixed_size 13340
		.amdhsa_private_segment_fixed_size 0
		.amdhsa_kernarg_size 184
		.amdhsa_user_sgpr_count 15
		.amdhsa_user_sgpr_dispatch_ptr 0
		.amdhsa_user_sgpr_queue_ptr 0
		.amdhsa_user_sgpr_kernarg_segment_ptr 1
		.amdhsa_user_sgpr_dispatch_id 0
		.amdhsa_user_sgpr_private_segment_size 0
		.amdhsa_wavefront_size32 1
		.amdhsa_uses_dynamic_stack 0
		.amdhsa_enable_private_segment 0
		.amdhsa_system_sgpr_workgroup_id_x 1
		.amdhsa_system_sgpr_workgroup_id_y 0
		.amdhsa_system_sgpr_workgroup_id_z 0
		.amdhsa_system_sgpr_workgroup_info 0
		.amdhsa_system_vgpr_workitem_id 0
		.amdhsa_next_free_vgpr 103
		.amdhsa_next_free_sgpr 55
		.amdhsa_reserve_vcc 1
		.amdhsa_float_round_mode_32 0
		.amdhsa_float_round_mode_16_64 0
		.amdhsa_float_denorm_mode_32 3
		.amdhsa_float_denorm_mode_16_64 3
		.amdhsa_dx10_clamp 1
		.amdhsa_ieee_mode 1
		.amdhsa_fp16_overflow 0
		.amdhsa_workgroup_processor_mode 1
		.amdhsa_memory_ordered 1
		.amdhsa_forward_progress 0
		.amdhsa_shared_vgpr_count 0
		.amdhsa_exception_fp_ieee_invalid_op 0
		.amdhsa_exception_fp_denorm_src 0
		.amdhsa_exception_fp_ieee_div_zero 0
		.amdhsa_exception_fp_ieee_overflow 0
		.amdhsa_exception_fp_ieee_underflow 0
		.amdhsa_exception_fp_ieee_inexact 0
		.amdhsa_exception_int_div_zero 0
	.end_amdhsa_kernel
	.section	.text._ZN7rocprim17ROCPRIM_400000_NS6detail17trampoline_kernelINS0_13select_configILj256ELj13ELNS0_17block_load_methodE3ELS4_3ELS4_3ELNS0_20block_scan_algorithmE0ELj4294967295EEENS1_25partition_config_selectorILNS1_17partition_subalgoE4EjNS0_10empty_typeEbEEZZNS1_14partition_implILS8_4ELb0ES6_15HIP_vector_typeIjLj2EENS0_17counting_iteratorIjlEEPS9_SG_NS0_5tupleIJPjSI_NS0_16reverse_iteratorISI_EEEEENSH_IJSG_SG_SG_EEES9_SI_JZNS1_25segmented_radix_sort_implINS0_14default_configELb0EPKsPsPKlPlN2at6native12_GLOBAL__N_18offset_tEEE10hipError_tPvRmT1_PNSt15iterator_traitsIS12_E10value_typeET2_T3_PNS13_IS18_E10value_typeET4_jRbjT5_S1E_jjP12ihipStream_tbEUljE_ZNSN_ISO_Lb0ESQ_SR_ST_SU_SY_EESZ_S10_S11_S12_S16_S17_S18_S1B_S1C_jS1D_jS1E_S1E_jjS1G_bEUljE0_EEESZ_S10_S11_S18_S1C_S1E_T6_T7_T9_mT8_S1G_bDpT10_ENKUlT_T0_E_clISt17integral_constantIbLb1EES1U_EEDaS1P_S1Q_EUlS1P_E_NS1_11comp_targetILNS1_3genE9ELNS1_11target_archE1100ELNS1_3gpuE3ELNS1_3repE0EEENS1_30default_config_static_selectorELNS0_4arch9wavefront6targetE0EEEvS12_,"axG",@progbits,_ZN7rocprim17ROCPRIM_400000_NS6detail17trampoline_kernelINS0_13select_configILj256ELj13ELNS0_17block_load_methodE3ELS4_3ELS4_3ELNS0_20block_scan_algorithmE0ELj4294967295EEENS1_25partition_config_selectorILNS1_17partition_subalgoE4EjNS0_10empty_typeEbEEZZNS1_14partition_implILS8_4ELb0ES6_15HIP_vector_typeIjLj2EENS0_17counting_iteratorIjlEEPS9_SG_NS0_5tupleIJPjSI_NS0_16reverse_iteratorISI_EEEEENSH_IJSG_SG_SG_EEES9_SI_JZNS1_25segmented_radix_sort_implINS0_14default_configELb0EPKsPsPKlPlN2at6native12_GLOBAL__N_18offset_tEEE10hipError_tPvRmT1_PNSt15iterator_traitsIS12_E10value_typeET2_T3_PNS13_IS18_E10value_typeET4_jRbjT5_S1E_jjP12ihipStream_tbEUljE_ZNSN_ISO_Lb0ESQ_SR_ST_SU_SY_EESZ_S10_S11_S12_S16_S17_S18_S1B_S1C_jS1D_jS1E_S1E_jjS1G_bEUljE0_EEESZ_S10_S11_S18_S1C_S1E_T6_T7_T9_mT8_S1G_bDpT10_ENKUlT_T0_E_clISt17integral_constantIbLb1EES1U_EEDaS1P_S1Q_EUlS1P_E_NS1_11comp_targetILNS1_3genE9ELNS1_11target_archE1100ELNS1_3gpuE3ELNS1_3repE0EEENS1_30default_config_static_selectorELNS0_4arch9wavefront6targetE0EEEvS12_,comdat
.Lfunc_end964:
	.size	_ZN7rocprim17ROCPRIM_400000_NS6detail17trampoline_kernelINS0_13select_configILj256ELj13ELNS0_17block_load_methodE3ELS4_3ELS4_3ELNS0_20block_scan_algorithmE0ELj4294967295EEENS1_25partition_config_selectorILNS1_17partition_subalgoE4EjNS0_10empty_typeEbEEZZNS1_14partition_implILS8_4ELb0ES6_15HIP_vector_typeIjLj2EENS0_17counting_iteratorIjlEEPS9_SG_NS0_5tupleIJPjSI_NS0_16reverse_iteratorISI_EEEEENSH_IJSG_SG_SG_EEES9_SI_JZNS1_25segmented_radix_sort_implINS0_14default_configELb0EPKsPsPKlPlN2at6native12_GLOBAL__N_18offset_tEEE10hipError_tPvRmT1_PNSt15iterator_traitsIS12_E10value_typeET2_T3_PNS13_IS18_E10value_typeET4_jRbjT5_S1E_jjP12ihipStream_tbEUljE_ZNSN_ISO_Lb0ESQ_SR_ST_SU_SY_EESZ_S10_S11_S12_S16_S17_S18_S1B_S1C_jS1D_jS1E_S1E_jjS1G_bEUljE0_EEESZ_S10_S11_S18_S1C_S1E_T6_T7_T9_mT8_S1G_bDpT10_ENKUlT_T0_E_clISt17integral_constantIbLb1EES1U_EEDaS1P_S1Q_EUlS1P_E_NS1_11comp_targetILNS1_3genE9ELNS1_11target_archE1100ELNS1_3gpuE3ELNS1_3repE0EEENS1_30default_config_static_selectorELNS0_4arch9wavefront6targetE0EEEvS12_, .Lfunc_end964-_ZN7rocprim17ROCPRIM_400000_NS6detail17trampoline_kernelINS0_13select_configILj256ELj13ELNS0_17block_load_methodE3ELS4_3ELS4_3ELNS0_20block_scan_algorithmE0ELj4294967295EEENS1_25partition_config_selectorILNS1_17partition_subalgoE4EjNS0_10empty_typeEbEEZZNS1_14partition_implILS8_4ELb0ES6_15HIP_vector_typeIjLj2EENS0_17counting_iteratorIjlEEPS9_SG_NS0_5tupleIJPjSI_NS0_16reverse_iteratorISI_EEEEENSH_IJSG_SG_SG_EEES9_SI_JZNS1_25segmented_radix_sort_implINS0_14default_configELb0EPKsPsPKlPlN2at6native12_GLOBAL__N_18offset_tEEE10hipError_tPvRmT1_PNSt15iterator_traitsIS12_E10value_typeET2_T3_PNS13_IS18_E10value_typeET4_jRbjT5_S1E_jjP12ihipStream_tbEUljE_ZNSN_ISO_Lb0ESQ_SR_ST_SU_SY_EESZ_S10_S11_S12_S16_S17_S18_S1B_S1C_jS1D_jS1E_S1E_jjS1G_bEUljE0_EEESZ_S10_S11_S18_S1C_S1E_T6_T7_T9_mT8_S1G_bDpT10_ENKUlT_T0_E_clISt17integral_constantIbLb1EES1U_EEDaS1P_S1Q_EUlS1P_E_NS1_11comp_targetILNS1_3genE9ELNS1_11target_archE1100ELNS1_3gpuE3ELNS1_3repE0EEENS1_30default_config_static_selectorELNS0_4arch9wavefront6targetE0EEEvS12_
                                        ; -- End function
	.section	.AMDGPU.csdata,"",@progbits
; Kernel info:
; codeLenInByte = 15160
; NumSgprs: 57
; NumVgprs: 103
; ScratchSize: 0
; MemoryBound: 0
; FloatMode: 240
; IeeeMode: 1
; LDSByteSize: 13340 bytes/workgroup (compile time only)
; SGPRBlocks: 7
; VGPRBlocks: 12
; NumSGPRsForWavesPerEU: 57
; NumVGPRsForWavesPerEU: 103
; Occupancy: 12
; WaveLimiterHint : 1
; COMPUTE_PGM_RSRC2:SCRATCH_EN: 0
; COMPUTE_PGM_RSRC2:USER_SGPR: 15
; COMPUTE_PGM_RSRC2:TRAP_HANDLER: 0
; COMPUTE_PGM_RSRC2:TGID_X_EN: 1
; COMPUTE_PGM_RSRC2:TGID_Y_EN: 0
; COMPUTE_PGM_RSRC2:TGID_Z_EN: 0
; COMPUTE_PGM_RSRC2:TIDIG_COMP_CNT: 0
	.section	.text._ZN7rocprim17ROCPRIM_400000_NS6detail17trampoline_kernelINS0_13select_configILj256ELj13ELNS0_17block_load_methodE3ELS4_3ELS4_3ELNS0_20block_scan_algorithmE0ELj4294967295EEENS1_25partition_config_selectorILNS1_17partition_subalgoE4EjNS0_10empty_typeEbEEZZNS1_14partition_implILS8_4ELb0ES6_15HIP_vector_typeIjLj2EENS0_17counting_iteratorIjlEEPS9_SG_NS0_5tupleIJPjSI_NS0_16reverse_iteratorISI_EEEEENSH_IJSG_SG_SG_EEES9_SI_JZNS1_25segmented_radix_sort_implINS0_14default_configELb0EPKsPsPKlPlN2at6native12_GLOBAL__N_18offset_tEEE10hipError_tPvRmT1_PNSt15iterator_traitsIS12_E10value_typeET2_T3_PNS13_IS18_E10value_typeET4_jRbjT5_S1E_jjP12ihipStream_tbEUljE_ZNSN_ISO_Lb0ESQ_SR_ST_SU_SY_EESZ_S10_S11_S12_S16_S17_S18_S1B_S1C_jS1D_jS1E_S1E_jjS1G_bEUljE0_EEESZ_S10_S11_S18_S1C_S1E_T6_T7_T9_mT8_S1G_bDpT10_ENKUlT_T0_E_clISt17integral_constantIbLb1EES1U_EEDaS1P_S1Q_EUlS1P_E_NS1_11comp_targetILNS1_3genE8ELNS1_11target_archE1030ELNS1_3gpuE2ELNS1_3repE0EEENS1_30default_config_static_selectorELNS0_4arch9wavefront6targetE0EEEvS12_,"axG",@progbits,_ZN7rocprim17ROCPRIM_400000_NS6detail17trampoline_kernelINS0_13select_configILj256ELj13ELNS0_17block_load_methodE3ELS4_3ELS4_3ELNS0_20block_scan_algorithmE0ELj4294967295EEENS1_25partition_config_selectorILNS1_17partition_subalgoE4EjNS0_10empty_typeEbEEZZNS1_14partition_implILS8_4ELb0ES6_15HIP_vector_typeIjLj2EENS0_17counting_iteratorIjlEEPS9_SG_NS0_5tupleIJPjSI_NS0_16reverse_iteratorISI_EEEEENSH_IJSG_SG_SG_EEES9_SI_JZNS1_25segmented_radix_sort_implINS0_14default_configELb0EPKsPsPKlPlN2at6native12_GLOBAL__N_18offset_tEEE10hipError_tPvRmT1_PNSt15iterator_traitsIS12_E10value_typeET2_T3_PNS13_IS18_E10value_typeET4_jRbjT5_S1E_jjP12ihipStream_tbEUljE_ZNSN_ISO_Lb0ESQ_SR_ST_SU_SY_EESZ_S10_S11_S12_S16_S17_S18_S1B_S1C_jS1D_jS1E_S1E_jjS1G_bEUljE0_EEESZ_S10_S11_S18_S1C_S1E_T6_T7_T9_mT8_S1G_bDpT10_ENKUlT_T0_E_clISt17integral_constantIbLb1EES1U_EEDaS1P_S1Q_EUlS1P_E_NS1_11comp_targetILNS1_3genE8ELNS1_11target_archE1030ELNS1_3gpuE2ELNS1_3repE0EEENS1_30default_config_static_selectorELNS0_4arch9wavefront6targetE0EEEvS12_,comdat
	.globl	_ZN7rocprim17ROCPRIM_400000_NS6detail17trampoline_kernelINS0_13select_configILj256ELj13ELNS0_17block_load_methodE3ELS4_3ELS4_3ELNS0_20block_scan_algorithmE0ELj4294967295EEENS1_25partition_config_selectorILNS1_17partition_subalgoE4EjNS0_10empty_typeEbEEZZNS1_14partition_implILS8_4ELb0ES6_15HIP_vector_typeIjLj2EENS0_17counting_iteratorIjlEEPS9_SG_NS0_5tupleIJPjSI_NS0_16reverse_iteratorISI_EEEEENSH_IJSG_SG_SG_EEES9_SI_JZNS1_25segmented_radix_sort_implINS0_14default_configELb0EPKsPsPKlPlN2at6native12_GLOBAL__N_18offset_tEEE10hipError_tPvRmT1_PNSt15iterator_traitsIS12_E10value_typeET2_T3_PNS13_IS18_E10value_typeET4_jRbjT5_S1E_jjP12ihipStream_tbEUljE_ZNSN_ISO_Lb0ESQ_SR_ST_SU_SY_EESZ_S10_S11_S12_S16_S17_S18_S1B_S1C_jS1D_jS1E_S1E_jjS1G_bEUljE0_EEESZ_S10_S11_S18_S1C_S1E_T6_T7_T9_mT8_S1G_bDpT10_ENKUlT_T0_E_clISt17integral_constantIbLb1EES1U_EEDaS1P_S1Q_EUlS1P_E_NS1_11comp_targetILNS1_3genE8ELNS1_11target_archE1030ELNS1_3gpuE2ELNS1_3repE0EEENS1_30default_config_static_selectorELNS0_4arch9wavefront6targetE0EEEvS12_ ; -- Begin function _ZN7rocprim17ROCPRIM_400000_NS6detail17trampoline_kernelINS0_13select_configILj256ELj13ELNS0_17block_load_methodE3ELS4_3ELS4_3ELNS0_20block_scan_algorithmE0ELj4294967295EEENS1_25partition_config_selectorILNS1_17partition_subalgoE4EjNS0_10empty_typeEbEEZZNS1_14partition_implILS8_4ELb0ES6_15HIP_vector_typeIjLj2EENS0_17counting_iteratorIjlEEPS9_SG_NS0_5tupleIJPjSI_NS0_16reverse_iteratorISI_EEEEENSH_IJSG_SG_SG_EEES9_SI_JZNS1_25segmented_radix_sort_implINS0_14default_configELb0EPKsPsPKlPlN2at6native12_GLOBAL__N_18offset_tEEE10hipError_tPvRmT1_PNSt15iterator_traitsIS12_E10value_typeET2_T3_PNS13_IS18_E10value_typeET4_jRbjT5_S1E_jjP12ihipStream_tbEUljE_ZNSN_ISO_Lb0ESQ_SR_ST_SU_SY_EESZ_S10_S11_S12_S16_S17_S18_S1B_S1C_jS1D_jS1E_S1E_jjS1G_bEUljE0_EEESZ_S10_S11_S18_S1C_S1E_T6_T7_T9_mT8_S1G_bDpT10_ENKUlT_T0_E_clISt17integral_constantIbLb1EES1U_EEDaS1P_S1Q_EUlS1P_E_NS1_11comp_targetILNS1_3genE8ELNS1_11target_archE1030ELNS1_3gpuE2ELNS1_3repE0EEENS1_30default_config_static_selectorELNS0_4arch9wavefront6targetE0EEEvS12_
	.p2align	8
	.type	_ZN7rocprim17ROCPRIM_400000_NS6detail17trampoline_kernelINS0_13select_configILj256ELj13ELNS0_17block_load_methodE3ELS4_3ELS4_3ELNS0_20block_scan_algorithmE0ELj4294967295EEENS1_25partition_config_selectorILNS1_17partition_subalgoE4EjNS0_10empty_typeEbEEZZNS1_14partition_implILS8_4ELb0ES6_15HIP_vector_typeIjLj2EENS0_17counting_iteratorIjlEEPS9_SG_NS0_5tupleIJPjSI_NS0_16reverse_iteratorISI_EEEEENSH_IJSG_SG_SG_EEES9_SI_JZNS1_25segmented_radix_sort_implINS0_14default_configELb0EPKsPsPKlPlN2at6native12_GLOBAL__N_18offset_tEEE10hipError_tPvRmT1_PNSt15iterator_traitsIS12_E10value_typeET2_T3_PNS13_IS18_E10value_typeET4_jRbjT5_S1E_jjP12ihipStream_tbEUljE_ZNSN_ISO_Lb0ESQ_SR_ST_SU_SY_EESZ_S10_S11_S12_S16_S17_S18_S1B_S1C_jS1D_jS1E_S1E_jjS1G_bEUljE0_EEESZ_S10_S11_S18_S1C_S1E_T6_T7_T9_mT8_S1G_bDpT10_ENKUlT_T0_E_clISt17integral_constantIbLb1EES1U_EEDaS1P_S1Q_EUlS1P_E_NS1_11comp_targetILNS1_3genE8ELNS1_11target_archE1030ELNS1_3gpuE2ELNS1_3repE0EEENS1_30default_config_static_selectorELNS0_4arch9wavefront6targetE0EEEvS12_,@function
_ZN7rocprim17ROCPRIM_400000_NS6detail17trampoline_kernelINS0_13select_configILj256ELj13ELNS0_17block_load_methodE3ELS4_3ELS4_3ELNS0_20block_scan_algorithmE0ELj4294967295EEENS1_25partition_config_selectorILNS1_17partition_subalgoE4EjNS0_10empty_typeEbEEZZNS1_14partition_implILS8_4ELb0ES6_15HIP_vector_typeIjLj2EENS0_17counting_iteratorIjlEEPS9_SG_NS0_5tupleIJPjSI_NS0_16reverse_iteratorISI_EEEEENSH_IJSG_SG_SG_EEES9_SI_JZNS1_25segmented_radix_sort_implINS0_14default_configELb0EPKsPsPKlPlN2at6native12_GLOBAL__N_18offset_tEEE10hipError_tPvRmT1_PNSt15iterator_traitsIS12_E10value_typeET2_T3_PNS13_IS18_E10value_typeET4_jRbjT5_S1E_jjP12ihipStream_tbEUljE_ZNSN_ISO_Lb0ESQ_SR_ST_SU_SY_EESZ_S10_S11_S12_S16_S17_S18_S1B_S1C_jS1D_jS1E_S1E_jjS1G_bEUljE0_EEESZ_S10_S11_S18_S1C_S1E_T6_T7_T9_mT8_S1G_bDpT10_ENKUlT_T0_E_clISt17integral_constantIbLb1EES1U_EEDaS1P_S1Q_EUlS1P_E_NS1_11comp_targetILNS1_3genE8ELNS1_11target_archE1030ELNS1_3gpuE2ELNS1_3repE0EEENS1_30default_config_static_selectorELNS0_4arch9wavefront6targetE0EEEvS12_: ; @_ZN7rocprim17ROCPRIM_400000_NS6detail17trampoline_kernelINS0_13select_configILj256ELj13ELNS0_17block_load_methodE3ELS4_3ELS4_3ELNS0_20block_scan_algorithmE0ELj4294967295EEENS1_25partition_config_selectorILNS1_17partition_subalgoE4EjNS0_10empty_typeEbEEZZNS1_14partition_implILS8_4ELb0ES6_15HIP_vector_typeIjLj2EENS0_17counting_iteratorIjlEEPS9_SG_NS0_5tupleIJPjSI_NS0_16reverse_iteratorISI_EEEEENSH_IJSG_SG_SG_EEES9_SI_JZNS1_25segmented_radix_sort_implINS0_14default_configELb0EPKsPsPKlPlN2at6native12_GLOBAL__N_18offset_tEEE10hipError_tPvRmT1_PNSt15iterator_traitsIS12_E10value_typeET2_T3_PNS13_IS18_E10value_typeET4_jRbjT5_S1E_jjP12ihipStream_tbEUljE_ZNSN_ISO_Lb0ESQ_SR_ST_SU_SY_EESZ_S10_S11_S12_S16_S17_S18_S1B_S1C_jS1D_jS1E_S1E_jjS1G_bEUljE0_EEESZ_S10_S11_S18_S1C_S1E_T6_T7_T9_mT8_S1G_bDpT10_ENKUlT_T0_E_clISt17integral_constantIbLb1EES1U_EEDaS1P_S1Q_EUlS1P_E_NS1_11comp_targetILNS1_3genE8ELNS1_11target_archE1030ELNS1_3gpuE2ELNS1_3repE0EEENS1_30default_config_static_selectorELNS0_4arch9wavefront6targetE0EEEvS12_
; %bb.0:
	.section	.rodata,"a",@progbits
	.p2align	6, 0x0
	.amdhsa_kernel _ZN7rocprim17ROCPRIM_400000_NS6detail17trampoline_kernelINS0_13select_configILj256ELj13ELNS0_17block_load_methodE3ELS4_3ELS4_3ELNS0_20block_scan_algorithmE0ELj4294967295EEENS1_25partition_config_selectorILNS1_17partition_subalgoE4EjNS0_10empty_typeEbEEZZNS1_14partition_implILS8_4ELb0ES6_15HIP_vector_typeIjLj2EENS0_17counting_iteratorIjlEEPS9_SG_NS0_5tupleIJPjSI_NS0_16reverse_iteratorISI_EEEEENSH_IJSG_SG_SG_EEES9_SI_JZNS1_25segmented_radix_sort_implINS0_14default_configELb0EPKsPsPKlPlN2at6native12_GLOBAL__N_18offset_tEEE10hipError_tPvRmT1_PNSt15iterator_traitsIS12_E10value_typeET2_T3_PNS13_IS18_E10value_typeET4_jRbjT5_S1E_jjP12ihipStream_tbEUljE_ZNSN_ISO_Lb0ESQ_SR_ST_SU_SY_EESZ_S10_S11_S12_S16_S17_S18_S1B_S1C_jS1D_jS1E_S1E_jjS1G_bEUljE0_EEESZ_S10_S11_S18_S1C_S1E_T6_T7_T9_mT8_S1G_bDpT10_ENKUlT_T0_E_clISt17integral_constantIbLb1EES1U_EEDaS1P_S1Q_EUlS1P_E_NS1_11comp_targetILNS1_3genE8ELNS1_11target_archE1030ELNS1_3gpuE2ELNS1_3repE0EEENS1_30default_config_static_selectorELNS0_4arch9wavefront6targetE0EEEvS12_
		.amdhsa_group_segment_fixed_size 0
		.amdhsa_private_segment_fixed_size 0
		.amdhsa_kernarg_size 184
		.amdhsa_user_sgpr_count 15
		.amdhsa_user_sgpr_dispatch_ptr 0
		.amdhsa_user_sgpr_queue_ptr 0
		.amdhsa_user_sgpr_kernarg_segment_ptr 1
		.amdhsa_user_sgpr_dispatch_id 0
		.amdhsa_user_sgpr_private_segment_size 0
		.amdhsa_wavefront_size32 1
		.amdhsa_uses_dynamic_stack 0
		.amdhsa_enable_private_segment 0
		.amdhsa_system_sgpr_workgroup_id_x 1
		.amdhsa_system_sgpr_workgroup_id_y 0
		.amdhsa_system_sgpr_workgroup_id_z 0
		.amdhsa_system_sgpr_workgroup_info 0
		.amdhsa_system_vgpr_workitem_id 0
		.amdhsa_next_free_vgpr 1
		.amdhsa_next_free_sgpr 1
		.amdhsa_reserve_vcc 0
		.amdhsa_float_round_mode_32 0
		.amdhsa_float_round_mode_16_64 0
		.amdhsa_float_denorm_mode_32 3
		.amdhsa_float_denorm_mode_16_64 3
		.amdhsa_dx10_clamp 1
		.amdhsa_ieee_mode 1
		.amdhsa_fp16_overflow 0
		.amdhsa_workgroup_processor_mode 1
		.amdhsa_memory_ordered 1
		.amdhsa_forward_progress 0
		.amdhsa_shared_vgpr_count 0
		.amdhsa_exception_fp_ieee_invalid_op 0
		.amdhsa_exception_fp_denorm_src 0
		.amdhsa_exception_fp_ieee_div_zero 0
		.amdhsa_exception_fp_ieee_overflow 0
		.amdhsa_exception_fp_ieee_underflow 0
		.amdhsa_exception_fp_ieee_inexact 0
		.amdhsa_exception_int_div_zero 0
	.end_amdhsa_kernel
	.section	.text._ZN7rocprim17ROCPRIM_400000_NS6detail17trampoline_kernelINS0_13select_configILj256ELj13ELNS0_17block_load_methodE3ELS4_3ELS4_3ELNS0_20block_scan_algorithmE0ELj4294967295EEENS1_25partition_config_selectorILNS1_17partition_subalgoE4EjNS0_10empty_typeEbEEZZNS1_14partition_implILS8_4ELb0ES6_15HIP_vector_typeIjLj2EENS0_17counting_iteratorIjlEEPS9_SG_NS0_5tupleIJPjSI_NS0_16reverse_iteratorISI_EEEEENSH_IJSG_SG_SG_EEES9_SI_JZNS1_25segmented_radix_sort_implINS0_14default_configELb0EPKsPsPKlPlN2at6native12_GLOBAL__N_18offset_tEEE10hipError_tPvRmT1_PNSt15iterator_traitsIS12_E10value_typeET2_T3_PNS13_IS18_E10value_typeET4_jRbjT5_S1E_jjP12ihipStream_tbEUljE_ZNSN_ISO_Lb0ESQ_SR_ST_SU_SY_EESZ_S10_S11_S12_S16_S17_S18_S1B_S1C_jS1D_jS1E_S1E_jjS1G_bEUljE0_EEESZ_S10_S11_S18_S1C_S1E_T6_T7_T9_mT8_S1G_bDpT10_ENKUlT_T0_E_clISt17integral_constantIbLb1EES1U_EEDaS1P_S1Q_EUlS1P_E_NS1_11comp_targetILNS1_3genE8ELNS1_11target_archE1030ELNS1_3gpuE2ELNS1_3repE0EEENS1_30default_config_static_selectorELNS0_4arch9wavefront6targetE0EEEvS12_,"axG",@progbits,_ZN7rocprim17ROCPRIM_400000_NS6detail17trampoline_kernelINS0_13select_configILj256ELj13ELNS0_17block_load_methodE3ELS4_3ELS4_3ELNS0_20block_scan_algorithmE0ELj4294967295EEENS1_25partition_config_selectorILNS1_17partition_subalgoE4EjNS0_10empty_typeEbEEZZNS1_14partition_implILS8_4ELb0ES6_15HIP_vector_typeIjLj2EENS0_17counting_iteratorIjlEEPS9_SG_NS0_5tupleIJPjSI_NS0_16reverse_iteratorISI_EEEEENSH_IJSG_SG_SG_EEES9_SI_JZNS1_25segmented_radix_sort_implINS0_14default_configELb0EPKsPsPKlPlN2at6native12_GLOBAL__N_18offset_tEEE10hipError_tPvRmT1_PNSt15iterator_traitsIS12_E10value_typeET2_T3_PNS13_IS18_E10value_typeET4_jRbjT5_S1E_jjP12ihipStream_tbEUljE_ZNSN_ISO_Lb0ESQ_SR_ST_SU_SY_EESZ_S10_S11_S12_S16_S17_S18_S1B_S1C_jS1D_jS1E_S1E_jjS1G_bEUljE0_EEESZ_S10_S11_S18_S1C_S1E_T6_T7_T9_mT8_S1G_bDpT10_ENKUlT_T0_E_clISt17integral_constantIbLb1EES1U_EEDaS1P_S1Q_EUlS1P_E_NS1_11comp_targetILNS1_3genE8ELNS1_11target_archE1030ELNS1_3gpuE2ELNS1_3repE0EEENS1_30default_config_static_selectorELNS0_4arch9wavefront6targetE0EEEvS12_,comdat
.Lfunc_end965:
	.size	_ZN7rocprim17ROCPRIM_400000_NS6detail17trampoline_kernelINS0_13select_configILj256ELj13ELNS0_17block_load_methodE3ELS4_3ELS4_3ELNS0_20block_scan_algorithmE0ELj4294967295EEENS1_25partition_config_selectorILNS1_17partition_subalgoE4EjNS0_10empty_typeEbEEZZNS1_14partition_implILS8_4ELb0ES6_15HIP_vector_typeIjLj2EENS0_17counting_iteratorIjlEEPS9_SG_NS0_5tupleIJPjSI_NS0_16reverse_iteratorISI_EEEEENSH_IJSG_SG_SG_EEES9_SI_JZNS1_25segmented_radix_sort_implINS0_14default_configELb0EPKsPsPKlPlN2at6native12_GLOBAL__N_18offset_tEEE10hipError_tPvRmT1_PNSt15iterator_traitsIS12_E10value_typeET2_T3_PNS13_IS18_E10value_typeET4_jRbjT5_S1E_jjP12ihipStream_tbEUljE_ZNSN_ISO_Lb0ESQ_SR_ST_SU_SY_EESZ_S10_S11_S12_S16_S17_S18_S1B_S1C_jS1D_jS1E_S1E_jjS1G_bEUljE0_EEESZ_S10_S11_S18_S1C_S1E_T6_T7_T9_mT8_S1G_bDpT10_ENKUlT_T0_E_clISt17integral_constantIbLb1EES1U_EEDaS1P_S1Q_EUlS1P_E_NS1_11comp_targetILNS1_3genE8ELNS1_11target_archE1030ELNS1_3gpuE2ELNS1_3repE0EEENS1_30default_config_static_selectorELNS0_4arch9wavefront6targetE0EEEvS12_, .Lfunc_end965-_ZN7rocprim17ROCPRIM_400000_NS6detail17trampoline_kernelINS0_13select_configILj256ELj13ELNS0_17block_load_methodE3ELS4_3ELS4_3ELNS0_20block_scan_algorithmE0ELj4294967295EEENS1_25partition_config_selectorILNS1_17partition_subalgoE4EjNS0_10empty_typeEbEEZZNS1_14partition_implILS8_4ELb0ES6_15HIP_vector_typeIjLj2EENS0_17counting_iteratorIjlEEPS9_SG_NS0_5tupleIJPjSI_NS0_16reverse_iteratorISI_EEEEENSH_IJSG_SG_SG_EEES9_SI_JZNS1_25segmented_radix_sort_implINS0_14default_configELb0EPKsPsPKlPlN2at6native12_GLOBAL__N_18offset_tEEE10hipError_tPvRmT1_PNSt15iterator_traitsIS12_E10value_typeET2_T3_PNS13_IS18_E10value_typeET4_jRbjT5_S1E_jjP12ihipStream_tbEUljE_ZNSN_ISO_Lb0ESQ_SR_ST_SU_SY_EESZ_S10_S11_S12_S16_S17_S18_S1B_S1C_jS1D_jS1E_S1E_jjS1G_bEUljE0_EEESZ_S10_S11_S18_S1C_S1E_T6_T7_T9_mT8_S1G_bDpT10_ENKUlT_T0_E_clISt17integral_constantIbLb1EES1U_EEDaS1P_S1Q_EUlS1P_E_NS1_11comp_targetILNS1_3genE8ELNS1_11target_archE1030ELNS1_3gpuE2ELNS1_3repE0EEENS1_30default_config_static_selectorELNS0_4arch9wavefront6targetE0EEEvS12_
                                        ; -- End function
	.section	.AMDGPU.csdata,"",@progbits
; Kernel info:
; codeLenInByte = 0
; NumSgprs: 0
; NumVgprs: 0
; ScratchSize: 0
; MemoryBound: 0
; FloatMode: 240
; IeeeMode: 1
; LDSByteSize: 0 bytes/workgroup (compile time only)
; SGPRBlocks: 0
; VGPRBlocks: 0
; NumSGPRsForWavesPerEU: 1
; NumVGPRsForWavesPerEU: 1
; Occupancy: 16
; WaveLimiterHint : 0
; COMPUTE_PGM_RSRC2:SCRATCH_EN: 0
; COMPUTE_PGM_RSRC2:USER_SGPR: 15
; COMPUTE_PGM_RSRC2:TRAP_HANDLER: 0
; COMPUTE_PGM_RSRC2:TGID_X_EN: 1
; COMPUTE_PGM_RSRC2:TGID_Y_EN: 0
; COMPUTE_PGM_RSRC2:TGID_Z_EN: 0
; COMPUTE_PGM_RSRC2:TIDIG_COMP_CNT: 0
	.section	.text._ZN7rocprim17ROCPRIM_400000_NS6detail17trampoline_kernelINS0_13select_configILj256ELj13ELNS0_17block_load_methodE3ELS4_3ELS4_3ELNS0_20block_scan_algorithmE0ELj4294967295EEENS1_25partition_config_selectorILNS1_17partition_subalgoE4EjNS0_10empty_typeEbEEZZNS1_14partition_implILS8_4ELb0ES6_15HIP_vector_typeIjLj2EENS0_17counting_iteratorIjlEEPS9_SG_NS0_5tupleIJPjSI_NS0_16reverse_iteratorISI_EEEEENSH_IJSG_SG_SG_EEES9_SI_JZNS1_25segmented_radix_sort_implINS0_14default_configELb0EPKsPsPKlPlN2at6native12_GLOBAL__N_18offset_tEEE10hipError_tPvRmT1_PNSt15iterator_traitsIS12_E10value_typeET2_T3_PNS13_IS18_E10value_typeET4_jRbjT5_S1E_jjP12ihipStream_tbEUljE_ZNSN_ISO_Lb0ESQ_SR_ST_SU_SY_EESZ_S10_S11_S12_S16_S17_S18_S1B_S1C_jS1D_jS1E_S1E_jjS1G_bEUljE0_EEESZ_S10_S11_S18_S1C_S1E_T6_T7_T9_mT8_S1G_bDpT10_ENKUlT_T0_E_clISt17integral_constantIbLb1EES1T_IbLb0EEEEDaS1P_S1Q_EUlS1P_E_NS1_11comp_targetILNS1_3genE0ELNS1_11target_archE4294967295ELNS1_3gpuE0ELNS1_3repE0EEENS1_30default_config_static_selectorELNS0_4arch9wavefront6targetE0EEEvS12_,"axG",@progbits,_ZN7rocprim17ROCPRIM_400000_NS6detail17trampoline_kernelINS0_13select_configILj256ELj13ELNS0_17block_load_methodE3ELS4_3ELS4_3ELNS0_20block_scan_algorithmE0ELj4294967295EEENS1_25partition_config_selectorILNS1_17partition_subalgoE4EjNS0_10empty_typeEbEEZZNS1_14partition_implILS8_4ELb0ES6_15HIP_vector_typeIjLj2EENS0_17counting_iteratorIjlEEPS9_SG_NS0_5tupleIJPjSI_NS0_16reverse_iteratorISI_EEEEENSH_IJSG_SG_SG_EEES9_SI_JZNS1_25segmented_radix_sort_implINS0_14default_configELb0EPKsPsPKlPlN2at6native12_GLOBAL__N_18offset_tEEE10hipError_tPvRmT1_PNSt15iterator_traitsIS12_E10value_typeET2_T3_PNS13_IS18_E10value_typeET4_jRbjT5_S1E_jjP12ihipStream_tbEUljE_ZNSN_ISO_Lb0ESQ_SR_ST_SU_SY_EESZ_S10_S11_S12_S16_S17_S18_S1B_S1C_jS1D_jS1E_S1E_jjS1G_bEUljE0_EEESZ_S10_S11_S18_S1C_S1E_T6_T7_T9_mT8_S1G_bDpT10_ENKUlT_T0_E_clISt17integral_constantIbLb1EES1T_IbLb0EEEEDaS1P_S1Q_EUlS1P_E_NS1_11comp_targetILNS1_3genE0ELNS1_11target_archE4294967295ELNS1_3gpuE0ELNS1_3repE0EEENS1_30default_config_static_selectorELNS0_4arch9wavefront6targetE0EEEvS12_,comdat
	.globl	_ZN7rocprim17ROCPRIM_400000_NS6detail17trampoline_kernelINS0_13select_configILj256ELj13ELNS0_17block_load_methodE3ELS4_3ELS4_3ELNS0_20block_scan_algorithmE0ELj4294967295EEENS1_25partition_config_selectorILNS1_17partition_subalgoE4EjNS0_10empty_typeEbEEZZNS1_14partition_implILS8_4ELb0ES6_15HIP_vector_typeIjLj2EENS0_17counting_iteratorIjlEEPS9_SG_NS0_5tupleIJPjSI_NS0_16reverse_iteratorISI_EEEEENSH_IJSG_SG_SG_EEES9_SI_JZNS1_25segmented_radix_sort_implINS0_14default_configELb0EPKsPsPKlPlN2at6native12_GLOBAL__N_18offset_tEEE10hipError_tPvRmT1_PNSt15iterator_traitsIS12_E10value_typeET2_T3_PNS13_IS18_E10value_typeET4_jRbjT5_S1E_jjP12ihipStream_tbEUljE_ZNSN_ISO_Lb0ESQ_SR_ST_SU_SY_EESZ_S10_S11_S12_S16_S17_S18_S1B_S1C_jS1D_jS1E_S1E_jjS1G_bEUljE0_EEESZ_S10_S11_S18_S1C_S1E_T6_T7_T9_mT8_S1G_bDpT10_ENKUlT_T0_E_clISt17integral_constantIbLb1EES1T_IbLb0EEEEDaS1P_S1Q_EUlS1P_E_NS1_11comp_targetILNS1_3genE0ELNS1_11target_archE4294967295ELNS1_3gpuE0ELNS1_3repE0EEENS1_30default_config_static_selectorELNS0_4arch9wavefront6targetE0EEEvS12_ ; -- Begin function _ZN7rocprim17ROCPRIM_400000_NS6detail17trampoline_kernelINS0_13select_configILj256ELj13ELNS0_17block_load_methodE3ELS4_3ELS4_3ELNS0_20block_scan_algorithmE0ELj4294967295EEENS1_25partition_config_selectorILNS1_17partition_subalgoE4EjNS0_10empty_typeEbEEZZNS1_14partition_implILS8_4ELb0ES6_15HIP_vector_typeIjLj2EENS0_17counting_iteratorIjlEEPS9_SG_NS0_5tupleIJPjSI_NS0_16reverse_iteratorISI_EEEEENSH_IJSG_SG_SG_EEES9_SI_JZNS1_25segmented_radix_sort_implINS0_14default_configELb0EPKsPsPKlPlN2at6native12_GLOBAL__N_18offset_tEEE10hipError_tPvRmT1_PNSt15iterator_traitsIS12_E10value_typeET2_T3_PNS13_IS18_E10value_typeET4_jRbjT5_S1E_jjP12ihipStream_tbEUljE_ZNSN_ISO_Lb0ESQ_SR_ST_SU_SY_EESZ_S10_S11_S12_S16_S17_S18_S1B_S1C_jS1D_jS1E_S1E_jjS1G_bEUljE0_EEESZ_S10_S11_S18_S1C_S1E_T6_T7_T9_mT8_S1G_bDpT10_ENKUlT_T0_E_clISt17integral_constantIbLb1EES1T_IbLb0EEEEDaS1P_S1Q_EUlS1P_E_NS1_11comp_targetILNS1_3genE0ELNS1_11target_archE4294967295ELNS1_3gpuE0ELNS1_3repE0EEENS1_30default_config_static_selectorELNS0_4arch9wavefront6targetE0EEEvS12_
	.p2align	8
	.type	_ZN7rocprim17ROCPRIM_400000_NS6detail17trampoline_kernelINS0_13select_configILj256ELj13ELNS0_17block_load_methodE3ELS4_3ELS4_3ELNS0_20block_scan_algorithmE0ELj4294967295EEENS1_25partition_config_selectorILNS1_17partition_subalgoE4EjNS0_10empty_typeEbEEZZNS1_14partition_implILS8_4ELb0ES6_15HIP_vector_typeIjLj2EENS0_17counting_iteratorIjlEEPS9_SG_NS0_5tupleIJPjSI_NS0_16reverse_iteratorISI_EEEEENSH_IJSG_SG_SG_EEES9_SI_JZNS1_25segmented_radix_sort_implINS0_14default_configELb0EPKsPsPKlPlN2at6native12_GLOBAL__N_18offset_tEEE10hipError_tPvRmT1_PNSt15iterator_traitsIS12_E10value_typeET2_T3_PNS13_IS18_E10value_typeET4_jRbjT5_S1E_jjP12ihipStream_tbEUljE_ZNSN_ISO_Lb0ESQ_SR_ST_SU_SY_EESZ_S10_S11_S12_S16_S17_S18_S1B_S1C_jS1D_jS1E_S1E_jjS1G_bEUljE0_EEESZ_S10_S11_S18_S1C_S1E_T6_T7_T9_mT8_S1G_bDpT10_ENKUlT_T0_E_clISt17integral_constantIbLb1EES1T_IbLb0EEEEDaS1P_S1Q_EUlS1P_E_NS1_11comp_targetILNS1_3genE0ELNS1_11target_archE4294967295ELNS1_3gpuE0ELNS1_3repE0EEENS1_30default_config_static_selectorELNS0_4arch9wavefront6targetE0EEEvS12_,@function
_ZN7rocprim17ROCPRIM_400000_NS6detail17trampoline_kernelINS0_13select_configILj256ELj13ELNS0_17block_load_methodE3ELS4_3ELS4_3ELNS0_20block_scan_algorithmE0ELj4294967295EEENS1_25partition_config_selectorILNS1_17partition_subalgoE4EjNS0_10empty_typeEbEEZZNS1_14partition_implILS8_4ELb0ES6_15HIP_vector_typeIjLj2EENS0_17counting_iteratorIjlEEPS9_SG_NS0_5tupleIJPjSI_NS0_16reverse_iteratorISI_EEEEENSH_IJSG_SG_SG_EEES9_SI_JZNS1_25segmented_radix_sort_implINS0_14default_configELb0EPKsPsPKlPlN2at6native12_GLOBAL__N_18offset_tEEE10hipError_tPvRmT1_PNSt15iterator_traitsIS12_E10value_typeET2_T3_PNS13_IS18_E10value_typeET4_jRbjT5_S1E_jjP12ihipStream_tbEUljE_ZNSN_ISO_Lb0ESQ_SR_ST_SU_SY_EESZ_S10_S11_S12_S16_S17_S18_S1B_S1C_jS1D_jS1E_S1E_jjS1G_bEUljE0_EEESZ_S10_S11_S18_S1C_S1E_T6_T7_T9_mT8_S1G_bDpT10_ENKUlT_T0_E_clISt17integral_constantIbLb1EES1T_IbLb0EEEEDaS1P_S1Q_EUlS1P_E_NS1_11comp_targetILNS1_3genE0ELNS1_11target_archE4294967295ELNS1_3gpuE0ELNS1_3repE0EEENS1_30default_config_static_selectorELNS0_4arch9wavefront6targetE0EEEvS12_: ; @_ZN7rocprim17ROCPRIM_400000_NS6detail17trampoline_kernelINS0_13select_configILj256ELj13ELNS0_17block_load_methodE3ELS4_3ELS4_3ELNS0_20block_scan_algorithmE0ELj4294967295EEENS1_25partition_config_selectorILNS1_17partition_subalgoE4EjNS0_10empty_typeEbEEZZNS1_14partition_implILS8_4ELb0ES6_15HIP_vector_typeIjLj2EENS0_17counting_iteratorIjlEEPS9_SG_NS0_5tupleIJPjSI_NS0_16reverse_iteratorISI_EEEEENSH_IJSG_SG_SG_EEES9_SI_JZNS1_25segmented_radix_sort_implINS0_14default_configELb0EPKsPsPKlPlN2at6native12_GLOBAL__N_18offset_tEEE10hipError_tPvRmT1_PNSt15iterator_traitsIS12_E10value_typeET2_T3_PNS13_IS18_E10value_typeET4_jRbjT5_S1E_jjP12ihipStream_tbEUljE_ZNSN_ISO_Lb0ESQ_SR_ST_SU_SY_EESZ_S10_S11_S12_S16_S17_S18_S1B_S1C_jS1D_jS1E_S1E_jjS1G_bEUljE0_EEESZ_S10_S11_S18_S1C_S1E_T6_T7_T9_mT8_S1G_bDpT10_ENKUlT_T0_E_clISt17integral_constantIbLb1EES1T_IbLb0EEEEDaS1P_S1Q_EUlS1P_E_NS1_11comp_targetILNS1_3genE0ELNS1_11target_archE4294967295ELNS1_3gpuE0ELNS1_3repE0EEENS1_30default_config_static_selectorELNS0_4arch9wavefront6targetE0EEEvS12_
; %bb.0:
	.section	.rodata,"a",@progbits
	.p2align	6, 0x0
	.amdhsa_kernel _ZN7rocprim17ROCPRIM_400000_NS6detail17trampoline_kernelINS0_13select_configILj256ELj13ELNS0_17block_load_methodE3ELS4_3ELS4_3ELNS0_20block_scan_algorithmE0ELj4294967295EEENS1_25partition_config_selectorILNS1_17partition_subalgoE4EjNS0_10empty_typeEbEEZZNS1_14partition_implILS8_4ELb0ES6_15HIP_vector_typeIjLj2EENS0_17counting_iteratorIjlEEPS9_SG_NS0_5tupleIJPjSI_NS0_16reverse_iteratorISI_EEEEENSH_IJSG_SG_SG_EEES9_SI_JZNS1_25segmented_radix_sort_implINS0_14default_configELb0EPKsPsPKlPlN2at6native12_GLOBAL__N_18offset_tEEE10hipError_tPvRmT1_PNSt15iterator_traitsIS12_E10value_typeET2_T3_PNS13_IS18_E10value_typeET4_jRbjT5_S1E_jjP12ihipStream_tbEUljE_ZNSN_ISO_Lb0ESQ_SR_ST_SU_SY_EESZ_S10_S11_S12_S16_S17_S18_S1B_S1C_jS1D_jS1E_S1E_jjS1G_bEUljE0_EEESZ_S10_S11_S18_S1C_S1E_T6_T7_T9_mT8_S1G_bDpT10_ENKUlT_T0_E_clISt17integral_constantIbLb1EES1T_IbLb0EEEEDaS1P_S1Q_EUlS1P_E_NS1_11comp_targetILNS1_3genE0ELNS1_11target_archE4294967295ELNS1_3gpuE0ELNS1_3repE0EEENS1_30default_config_static_selectorELNS0_4arch9wavefront6targetE0EEEvS12_
		.amdhsa_group_segment_fixed_size 0
		.amdhsa_private_segment_fixed_size 0
		.amdhsa_kernarg_size 176
		.amdhsa_user_sgpr_count 15
		.amdhsa_user_sgpr_dispatch_ptr 0
		.amdhsa_user_sgpr_queue_ptr 0
		.amdhsa_user_sgpr_kernarg_segment_ptr 1
		.amdhsa_user_sgpr_dispatch_id 0
		.amdhsa_user_sgpr_private_segment_size 0
		.amdhsa_wavefront_size32 1
		.amdhsa_uses_dynamic_stack 0
		.amdhsa_enable_private_segment 0
		.amdhsa_system_sgpr_workgroup_id_x 1
		.amdhsa_system_sgpr_workgroup_id_y 0
		.amdhsa_system_sgpr_workgroup_id_z 0
		.amdhsa_system_sgpr_workgroup_info 0
		.amdhsa_system_vgpr_workitem_id 0
		.amdhsa_next_free_vgpr 1
		.amdhsa_next_free_sgpr 1
		.amdhsa_reserve_vcc 0
		.amdhsa_float_round_mode_32 0
		.amdhsa_float_round_mode_16_64 0
		.amdhsa_float_denorm_mode_32 3
		.amdhsa_float_denorm_mode_16_64 3
		.amdhsa_dx10_clamp 1
		.amdhsa_ieee_mode 1
		.amdhsa_fp16_overflow 0
		.amdhsa_workgroup_processor_mode 1
		.amdhsa_memory_ordered 1
		.amdhsa_forward_progress 0
		.amdhsa_shared_vgpr_count 0
		.amdhsa_exception_fp_ieee_invalid_op 0
		.amdhsa_exception_fp_denorm_src 0
		.amdhsa_exception_fp_ieee_div_zero 0
		.amdhsa_exception_fp_ieee_overflow 0
		.amdhsa_exception_fp_ieee_underflow 0
		.amdhsa_exception_fp_ieee_inexact 0
		.amdhsa_exception_int_div_zero 0
	.end_amdhsa_kernel
	.section	.text._ZN7rocprim17ROCPRIM_400000_NS6detail17trampoline_kernelINS0_13select_configILj256ELj13ELNS0_17block_load_methodE3ELS4_3ELS4_3ELNS0_20block_scan_algorithmE0ELj4294967295EEENS1_25partition_config_selectorILNS1_17partition_subalgoE4EjNS0_10empty_typeEbEEZZNS1_14partition_implILS8_4ELb0ES6_15HIP_vector_typeIjLj2EENS0_17counting_iteratorIjlEEPS9_SG_NS0_5tupleIJPjSI_NS0_16reverse_iteratorISI_EEEEENSH_IJSG_SG_SG_EEES9_SI_JZNS1_25segmented_radix_sort_implINS0_14default_configELb0EPKsPsPKlPlN2at6native12_GLOBAL__N_18offset_tEEE10hipError_tPvRmT1_PNSt15iterator_traitsIS12_E10value_typeET2_T3_PNS13_IS18_E10value_typeET4_jRbjT5_S1E_jjP12ihipStream_tbEUljE_ZNSN_ISO_Lb0ESQ_SR_ST_SU_SY_EESZ_S10_S11_S12_S16_S17_S18_S1B_S1C_jS1D_jS1E_S1E_jjS1G_bEUljE0_EEESZ_S10_S11_S18_S1C_S1E_T6_T7_T9_mT8_S1G_bDpT10_ENKUlT_T0_E_clISt17integral_constantIbLb1EES1T_IbLb0EEEEDaS1P_S1Q_EUlS1P_E_NS1_11comp_targetILNS1_3genE0ELNS1_11target_archE4294967295ELNS1_3gpuE0ELNS1_3repE0EEENS1_30default_config_static_selectorELNS0_4arch9wavefront6targetE0EEEvS12_,"axG",@progbits,_ZN7rocprim17ROCPRIM_400000_NS6detail17trampoline_kernelINS0_13select_configILj256ELj13ELNS0_17block_load_methodE3ELS4_3ELS4_3ELNS0_20block_scan_algorithmE0ELj4294967295EEENS1_25partition_config_selectorILNS1_17partition_subalgoE4EjNS0_10empty_typeEbEEZZNS1_14partition_implILS8_4ELb0ES6_15HIP_vector_typeIjLj2EENS0_17counting_iteratorIjlEEPS9_SG_NS0_5tupleIJPjSI_NS0_16reverse_iteratorISI_EEEEENSH_IJSG_SG_SG_EEES9_SI_JZNS1_25segmented_radix_sort_implINS0_14default_configELb0EPKsPsPKlPlN2at6native12_GLOBAL__N_18offset_tEEE10hipError_tPvRmT1_PNSt15iterator_traitsIS12_E10value_typeET2_T3_PNS13_IS18_E10value_typeET4_jRbjT5_S1E_jjP12ihipStream_tbEUljE_ZNSN_ISO_Lb0ESQ_SR_ST_SU_SY_EESZ_S10_S11_S12_S16_S17_S18_S1B_S1C_jS1D_jS1E_S1E_jjS1G_bEUljE0_EEESZ_S10_S11_S18_S1C_S1E_T6_T7_T9_mT8_S1G_bDpT10_ENKUlT_T0_E_clISt17integral_constantIbLb1EES1T_IbLb0EEEEDaS1P_S1Q_EUlS1P_E_NS1_11comp_targetILNS1_3genE0ELNS1_11target_archE4294967295ELNS1_3gpuE0ELNS1_3repE0EEENS1_30default_config_static_selectorELNS0_4arch9wavefront6targetE0EEEvS12_,comdat
.Lfunc_end966:
	.size	_ZN7rocprim17ROCPRIM_400000_NS6detail17trampoline_kernelINS0_13select_configILj256ELj13ELNS0_17block_load_methodE3ELS4_3ELS4_3ELNS0_20block_scan_algorithmE0ELj4294967295EEENS1_25partition_config_selectorILNS1_17partition_subalgoE4EjNS0_10empty_typeEbEEZZNS1_14partition_implILS8_4ELb0ES6_15HIP_vector_typeIjLj2EENS0_17counting_iteratorIjlEEPS9_SG_NS0_5tupleIJPjSI_NS0_16reverse_iteratorISI_EEEEENSH_IJSG_SG_SG_EEES9_SI_JZNS1_25segmented_radix_sort_implINS0_14default_configELb0EPKsPsPKlPlN2at6native12_GLOBAL__N_18offset_tEEE10hipError_tPvRmT1_PNSt15iterator_traitsIS12_E10value_typeET2_T3_PNS13_IS18_E10value_typeET4_jRbjT5_S1E_jjP12ihipStream_tbEUljE_ZNSN_ISO_Lb0ESQ_SR_ST_SU_SY_EESZ_S10_S11_S12_S16_S17_S18_S1B_S1C_jS1D_jS1E_S1E_jjS1G_bEUljE0_EEESZ_S10_S11_S18_S1C_S1E_T6_T7_T9_mT8_S1G_bDpT10_ENKUlT_T0_E_clISt17integral_constantIbLb1EES1T_IbLb0EEEEDaS1P_S1Q_EUlS1P_E_NS1_11comp_targetILNS1_3genE0ELNS1_11target_archE4294967295ELNS1_3gpuE0ELNS1_3repE0EEENS1_30default_config_static_selectorELNS0_4arch9wavefront6targetE0EEEvS12_, .Lfunc_end966-_ZN7rocprim17ROCPRIM_400000_NS6detail17trampoline_kernelINS0_13select_configILj256ELj13ELNS0_17block_load_methodE3ELS4_3ELS4_3ELNS0_20block_scan_algorithmE0ELj4294967295EEENS1_25partition_config_selectorILNS1_17partition_subalgoE4EjNS0_10empty_typeEbEEZZNS1_14partition_implILS8_4ELb0ES6_15HIP_vector_typeIjLj2EENS0_17counting_iteratorIjlEEPS9_SG_NS0_5tupleIJPjSI_NS0_16reverse_iteratorISI_EEEEENSH_IJSG_SG_SG_EEES9_SI_JZNS1_25segmented_radix_sort_implINS0_14default_configELb0EPKsPsPKlPlN2at6native12_GLOBAL__N_18offset_tEEE10hipError_tPvRmT1_PNSt15iterator_traitsIS12_E10value_typeET2_T3_PNS13_IS18_E10value_typeET4_jRbjT5_S1E_jjP12ihipStream_tbEUljE_ZNSN_ISO_Lb0ESQ_SR_ST_SU_SY_EESZ_S10_S11_S12_S16_S17_S18_S1B_S1C_jS1D_jS1E_S1E_jjS1G_bEUljE0_EEESZ_S10_S11_S18_S1C_S1E_T6_T7_T9_mT8_S1G_bDpT10_ENKUlT_T0_E_clISt17integral_constantIbLb1EES1T_IbLb0EEEEDaS1P_S1Q_EUlS1P_E_NS1_11comp_targetILNS1_3genE0ELNS1_11target_archE4294967295ELNS1_3gpuE0ELNS1_3repE0EEENS1_30default_config_static_selectorELNS0_4arch9wavefront6targetE0EEEvS12_
                                        ; -- End function
	.section	.AMDGPU.csdata,"",@progbits
; Kernel info:
; codeLenInByte = 0
; NumSgprs: 0
; NumVgprs: 0
; ScratchSize: 0
; MemoryBound: 0
; FloatMode: 240
; IeeeMode: 1
; LDSByteSize: 0 bytes/workgroup (compile time only)
; SGPRBlocks: 0
; VGPRBlocks: 0
; NumSGPRsForWavesPerEU: 1
; NumVGPRsForWavesPerEU: 1
; Occupancy: 16
; WaveLimiterHint : 0
; COMPUTE_PGM_RSRC2:SCRATCH_EN: 0
; COMPUTE_PGM_RSRC2:USER_SGPR: 15
; COMPUTE_PGM_RSRC2:TRAP_HANDLER: 0
; COMPUTE_PGM_RSRC2:TGID_X_EN: 1
; COMPUTE_PGM_RSRC2:TGID_Y_EN: 0
; COMPUTE_PGM_RSRC2:TGID_Z_EN: 0
; COMPUTE_PGM_RSRC2:TIDIG_COMP_CNT: 0
	.section	.text._ZN7rocprim17ROCPRIM_400000_NS6detail17trampoline_kernelINS0_13select_configILj256ELj13ELNS0_17block_load_methodE3ELS4_3ELS4_3ELNS0_20block_scan_algorithmE0ELj4294967295EEENS1_25partition_config_selectorILNS1_17partition_subalgoE4EjNS0_10empty_typeEbEEZZNS1_14partition_implILS8_4ELb0ES6_15HIP_vector_typeIjLj2EENS0_17counting_iteratorIjlEEPS9_SG_NS0_5tupleIJPjSI_NS0_16reverse_iteratorISI_EEEEENSH_IJSG_SG_SG_EEES9_SI_JZNS1_25segmented_radix_sort_implINS0_14default_configELb0EPKsPsPKlPlN2at6native12_GLOBAL__N_18offset_tEEE10hipError_tPvRmT1_PNSt15iterator_traitsIS12_E10value_typeET2_T3_PNS13_IS18_E10value_typeET4_jRbjT5_S1E_jjP12ihipStream_tbEUljE_ZNSN_ISO_Lb0ESQ_SR_ST_SU_SY_EESZ_S10_S11_S12_S16_S17_S18_S1B_S1C_jS1D_jS1E_S1E_jjS1G_bEUljE0_EEESZ_S10_S11_S18_S1C_S1E_T6_T7_T9_mT8_S1G_bDpT10_ENKUlT_T0_E_clISt17integral_constantIbLb1EES1T_IbLb0EEEEDaS1P_S1Q_EUlS1P_E_NS1_11comp_targetILNS1_3genE5ELNS1_11target_archE942ELNS1_3gpuE9ELNS1_3repE0EEENS1_30default_config_static_selectorELNS0_4arch9wavefront6targetE0EEEvS12_,"axG",@progbits,_ZN7rocprim17ROCPRIM_400000_NS6detail17trampoline_kernelINS0_13select_configILj256ELj13ELNS0_17block_load_methodE3ELS4_3ELS4_3ELNS0_20block_scan_algorithmE0ELj4294967295EEENS1_25partition_config_selectorILNS1_17partition_subalgoE4EjNS0_10empty_typeEbEEZZNS1_14partition_implILS8_4ELb0ES6_15HIP_vector_typeIjLj2EENS0_17counting_iteratorIjlEEPS9_SG_NS0_5tupleIJPjSI_NS0_16reverse_iteratorISI_EEEEENSH_IJSG_SG_SG_EEES9_SI_JZNS1_25segmented_radix_sort_implINS0_14default_configELb0EPKsPsPKlPlN2at6native12_GLOBAL__N_18offset_tEEE10hipError_tPvRmT1_PNSt15iterator_traitsIS12_E10value_typeET2_T3_PNS13_IS18_E10value_typeET4_jRbjT5_S1E_jjP12ihipStream_tbEUljE_ZNSN_ISO_Lb0ESQ_SR_ST_SU_SY_EESZ_S10_S11_S12_S16_S17_S18_S1B_S1C_jS1D_jS1E_S1E_jjS1G_bEUljE0_EEESZ_S10_S11_S18_S1C_S1E_T6_T7_T9_mT8_S1G_bDpT10_ENKUlT_T0_E_clISt17integral_constantIbLb1EES1T_IbLb0EEEEDaS1P_S1Q_EUlS1P_E_NS1_11comp_targetILNS1_3genE5ELNS1_11target_archE942ELNS1_3gpuE9ELNS1_3repE0EEENS1_30default_config_static_selectorELNS0_4arch9wavefront6targetE0EEEvS12_,comdat
	.globl	_ZN7rocprim17ROCPRIM_400000_NS6detail17trampoline_kernelINS0_13select_configILj256ELj13ELNS0_17block_load_methodE3ELS4_3ELS4_3ELNS0_20block_scan_algorithmE0ELj4294967295EEENS1_25partition_config_selectorILNS1_17partition_subalgoE4EjNS0_10empty_typeEbEEZZNS1_14partition_implILS8_4ELb0ES6_15HIP_vector_typeIjLj2EENS0_17counting_iteratorIjlEEPS9_SG_NS0_5tupleIJPjSI_NS0_16reverse_iteratorISI_EEEEENSH_IJSG_SG_SG_EEES9_SI_JZNS1_25segmented_radix_sort_implINS0_14default_configELb0EPKsPsPKlPlN2at6native12_GLOBAL__N_18offset_tEEE10hipError_tPvRmT1_PNSt15iterator_traitsIS12_E10value_typeET2_T3_PNS13_IS18_E10value_typeET4_jRbjT5_S1E_jjP12ihipStream_tbEUljE_ZNSN_ISO_Lb0ESQ_SR_ST_SU_SY_EESZ_S10_S11_S12_S16_S17_S18_S1B_S1C_jS1D_jS1E_S1E_jjS1G_bEUljE0_EEESZ_S10_S11_S18_S1C_S1E_T6_T7_T9_mT8_S1G_bDpT10_ENKUlT_T0_E_clISt17integral_constantIbLb1EES1T_IbLb0EEEEDaS1P_S1Q_EUlS1P_E_NS1_11comp_targetILNS1_3genE5ELNS1_11target_archE942ELNS1_3gpuE9ELNS1_3repE0EEENS1_30default_config_static_selectorELNS0_4arch9wavefront6targetE0EEEvS12_ ; -- Begin function _ZN7rocprim17ROCPRIM_400000_NS6detail17trampoline_kernelINS0_13select_configILj256ELj13ELNS0_17block_load_methodE3ELS4_3ELS4_3ELNS0_20block_scan_algorithmE0ELj4294967295EEENS1_25partition_config_selectorILNS1_17partition_subalgoE4EjNS0_10empty_typeEbEEZZNS1_14partition_implILS8_4ELb0ES6_15HIP_vector_typeIjLj2EENS0_17counting_iteratorIjlEEPS9_SG_NS0_5tupleIJPjSI_NS0_16reverse_iteratorISI_EEEEENSH_IJSG_SG_SG_EEES9_SI_JZNS1_25segmented_radix_sort_implINS0_14default_configELb0EPKsPsPKlPlN2at6native12_GLOBAL__N_18offset_tEEE10hipError_tPvRmT1_PNSt15iterator_traitsIS12_E10value_typeET2_T3_PNS13_IS18_E10value_typeET4_jRbjT5_S1E_jjP12ihipStream_tbEUljE_ZNSN_ISO_Lb0ESQ_SR_ST_SU_SY_EESZ_S10_S11_S12_S16_S17_S18_S1B_S1C_jS1D_jS1E_S1E_jjS1G_bEUljE0_EEESZ_S10_S11_S18_S1C_S1E_T6_T7_T9_mT8_S1G_bDpT10_ENKUlT_T0_E_clISt17integral_constantIbLb1EES1T_IbLb0EEEEDaS1P_S1Q_EUlS1P_E_NS1_11comp_targetILNS1_3genE5ELNS1_11target_archE942ELNS1_3gpuE9ELNS1_3repE0EEENS1_30default_config_static_selectorELNS0_4arch9wavefront6targetE0EEEvS12_
	.p2align	8
	.type	_ZN7rocprim17ROCPRIM_400000_NS6detail17trampoline_kernelINS0_13select_configILj256ELj13ELNS0_17block_load_methodE3ELS4_3ELS4_3ELNS0_20block_scan_algorithmE0ELj4294967295EEENS1_25partition_config_selectorILNS1_17partition_subalgoE4EjNS0_10empty_typeEbEEZZNS1_14partition_implILS8_4ELb0ES6_15HIP_vector_typeIjLj2EENS0_17counting_iteratorIjlEEPS9_SG_NS0_5tupleIJPjSI_NS0_16reverse_iteratorISI_EEEEENSH_IJSG_SG_SG_EEES9_SI_JZNS1_25segmented_radix_sort_implINS0_14default_configELb0EPKsPsPKlPlN2at6native12_GLOBAL__N_18offset_tEEE10hipError_tPvRmT1_PNSt15iterator_traitsIS12_E10value_typeET2_T3_PNS13_IS18_E10value_typeET4_jRbjT5_S1E_jjP12ihipStream_tbEUljE_ZNSN_ISO_Lb0ESQ_SR_ST_SU_SY_EESZ_S10_S11_S12_S16_S17_S18_S1B_S1C_jS1D_jS1E_S1E_jjS1G_bEUljE0_EEESZ_S10_S11_S18_S1C_S1E_T6_T7_T9_mT8_S1G_bDpT10_ENKUlT_T0_E_clISt17integral_constantIbLb1EES1T_IbLb0EEEEDaS1P_S1Q_EUlS1P_E_NS1_11comp_targetILNS1_3genE5ELNS1_11target_archE942ELNS1_3gpuE9ELNS1_3repE0EEENS1_30default_config_static_selectorELNS0_4arch9wavefront6targetE0EEEvS12_,@function
_ZN7rocprim17ROCPRIM_400000_NS6detail17trampoline_kernelINS0_13select_configILj256ELj13ELNS0_17block_load_methodE3ELS4_3ELS4_3ELNS0_20block_scan_algorithmE0ELj4294967295EEENS1_25partition_config_selectorILNS1_17partition_subalgoE4EjNS0_10empty_typeEbEEZZNS1_14partition_implILS8_4ELb0ES6_15HIP_vector_typeIjLj2EENS0_17counting_iteratorIjlEEPS9_SG_NS0_5tupleIJPjSI_NS0_16reverse_iteratorISI_EEEEENSH_IJSG_SG_SG_EEES9_SI_JZNS1_25segmented_radix_sort_implINS0_14default_configELb0EPKsPsPKlPlN2at6native12_GLOBAL__N_18offset_tEEE10hipError_tPvRmT1_PNSt15iterator_traitsIS12_E10value_typeET2_T3_PNS13_IS18_E10value_typeET4_jRbjT5_S1E_jjP12ihipStream_tbEUljE_ZNSN_ISO_Lb0ESQ_SR_ST_SU_SY_EESZ_S10_S11_S12_S16_S17_S18_S1B_S1C_jS1D_jS1E_S1E_jjS1G_bEUljE0_EEESZ_S10_S11_S18_S1C_S1E_T6_T7_T9_mT8_S1G_bDpT10_ENKUlT_T0_E_clISt17integral_constantIbLb1EES1T_IbLb0EEEEDaS1P_S1Q_EUlS1P_E_NS1_11comp_targetILNS1_3genE5ELNS1_11target_archE942ELNS1_3gpuE9ELNS1_3repE0EEENS1_30default_config_static_selectorELNS0_4arch9wavefront6targetE0EEEvS12_: ; @_ZN7rocprim17ROCPRIM_400000_NS6detail17trampoline_kernelINS0_13select_configILj256ELj13ELNS0_17block_load_methodE3ELS4_3ELS4_3ELNS0_20block_scan_algorithmE0ELj4294967295EEENS1_25partition_config_selectorILNS1_17partition_subalgoE4EjNS0_10empty_typeEbEEZZNS1_14partition_implILS8_4ELb0ES6_15HIP_vector_typeIjLj2EENS0_17counting_iteratorIjlEEPS9_SG_NS0_5tupleIJPjSI_NS0_16reverse_iteratorISI_EEEEENSH_IJSG_SG_SG_EEES9_SI_JZNS1_25segmented_radix_sort_implINS0_14default_configELb0EPKsPsPKlPlN2at6native12_GLOBAL__N_18offset_tEEE10hipError_tPvRmT1_PNSt15iterator_traitsIS12_E10value_typeET2_T3_PNS13_IS18_E10value_typeET4_jRbjT5_S1E_jjP12ihipStream_tbEUljE_ZNSN_ISO_Lb0ESQ_SR_ST_SU_SY_EESZ_S10_S11_S12_S16_S17_S18_S1B_S1C_jS1D_jS1E_S1E_jjS1G_bEUljE0_EEESZ_S10_S11_S18_S1C_S1E_T6_T7_T9_mT8_S1G_bDpT10_ENKUlT_T0_E_clISt17integral_constantIbLb1EES1T_IbLb0EEEEDaS1P_S1Q_EUlS1P_E_NS1_11comp_targetILNS1_3genE5ELNS1_11target_archE942ELNS1_3gpuE9ELNS1_3repE0EEENS1_30default_config_static_selectorELNS0_4arch9wavefront6targetE0EEEvS12_
; %bb.0:
	.section	.rodata,"a",@progbits
	.p2align	6, 0x0
	.amdhsa_kernel _ZN7rocprim17ROCPRIM_400000_NS6detail17trampoline_kernelINS0_13select_configILj256ELj13ELNS0_17block_load_methodE3ELS4_3ELS4_3ELNS0_20block_scan_algorithmE0ELj4294967295EEENS1_25partition_config_selectorILNS1_17partition_subalgoE4EjNS0_10empty_typeEbEEZZNS1_14partition_implILS8_4ELb0ES6_15HIP_vector_typeIjLj2EENS0_17counting_iteratorIjlEEPS9_SG_NS0_5tupleIJPjSI_NS0_16reverse_iteratorISI_EEEEENSH_IJSG_SG_SG_EEES9_SI_JZNS1_25segmented_radix_sort_implINS0_14default_configELb0EPKsPsPKlPlN2at6native12_GLOBAL__N_18offset_tEEE10hipError_tPvRmT1_PNSt15iterator_traitsIS12_E10value_typeET2_T3_PNS13_IS18_E10value_typeET4_jRbjT5_S1E_jjP12ihipStream_tbEUljE_ZNSN_ISO_Lb0ESQ_SR_ST_SU_SY_EESZ_S10_S11_S12_S16_S17_S18_S1B_S1C_jS1D_jS1E_S1E_jjS1G_bEUljE0_EEESZ_S10_S11_S18_S1C_S1E_T6_T7_T9_mT8_S1G_bDpT10_ENKUlT_T0_E_clISt17integral_constantIbLb1EES1T_IbLb0EEEEDaS1P_S1Q_EUlS1P_E_NS1_11comp_targetILNS1_3genE5ELNS1_11target_archE942ELNS1_3gpuE9ELNS1_3repE0EEENS1_30default_config_static_selectorELNS0_4arch9wavefront6targetE0EEEvS12_
		.amdhsa_group_segment_fixed_size 0
		.amdhsa_private_segment_fixed_size 0
		.amdhsa_kernarg_size 176
		.amdhsa_user_sgpr_count 15
		.amdhsa_user_sgpr_dispatch_ptr 0
		.amdhsa_user_sgpr_queue_ptr 0
		.amdhsa_user_sgpr_kernarg_segment_ptr 1
		.amdhsa_user_sgpr_dispatch_id 0
		.amdhsa_user_sgpr_private_segment_size 0
		.amdhsa_wavefront_size32 1
		.amdhsa_uses_dynamic_stack 0
		.amdhsa_enable_private_segment 0
		.amdhsa_system_sgpr_workgroup_id_x 1
		.amdhsa_system_sgpr_workgroup_id_y 0
		.amdhsa_system_sgpr_workgroup_id_z 0
		.amdhsa_system_sgpr_workgroup_info 0
		.amdhsa_system_vgpr_workitem_id 0
		.amdhsa_next_free_vgpr 1
		.amdhsa_next_free_sgpr 1
		.amdhsa_reserve_vcc 0
		.amdhsa_float_round_mode_32 0
		.amdhsa_float_round_mode_16_64 0
		.amdhsa_float_denorm_mode_32 3
		.amdhsa_float_denorm_mode_16_64 3
		.amdhsa_dx10_clamp 1
		.amdhsa_ieee_mode 1
		.amdhsa_fp16_overflow 0
		.amdhsa_workgroup_processor_mode 1
		.amdhsa_memory_ordered 1
		.amdhsa_forward_progress 0
		.amdhsa_shared_vgpr_count 0
		.amdhsa_exception_fp_ieee_invalid_op 0
		.amdhsa_exception_fp_denorm_src 0
		.amdhsa_exception_fp_ieee_div_zero 0
		.amdhsa_exception_fp_ieee_overflow 0
		.amdhsa_exception_fp_ieee_underflow 0
		.amdhsa_exception_fp_ieee_inexact 0
		.amdhsa_exception_int_div_zero 0
	.end_amdhsa_kernel
	.section	.text._ZN7rocprim17ROCPRIM_400000_NS6detail17trampoline_kernelINS0_13select_configILj256ELj13ELNS0_17block_load_methodE3ELS4_3ELS4_3ELNS0_20block_scan_algorithmE0ELj4294967295EEENS1_25partition_config_selectorILNS1_17partition_subalgoE4EjNS0_10empty_typeEbEEZZNS1_14partition_implILS8_4ELb0ES6_15HIP_vector_typeIjLj2EENS0_17counting_iteratorIjlEEPS9_SG_NS0_5tupleIJPjSI_NS0_16reverse_iteratorISI_EEEEENSH_IJSG_SG_SG_EEES9_SI_JZNS1_25segmented_radix_sort_implINS0_14default_configELb0EPKsPsPKlPlN2at6native12_GLOBAL__N_18offset_tEEE10hipError_tPvRmT1_PNSt15iterator_traitsIS12_E10value_typeET2_T3_PNS13_IS18_E10value_typeET4_jRbjT5_S1E_jjP12ihipStream_tbEUljE_ZNSN_ISO_Lb0ESQ_SR_ST_SU_SY_EESZ_S10_S11_S12_S16_S17_S18_S1B_S1C_jS1D_jS1E_S1E_jjS1G_bEUljE0_EEESZ_S10_S11_S18_S1C_S1E_T6_T7_T9_mT8_S1G_bDpT10_ENKUlT_T0_E_clISt17integral_constantIbLb1EES1T_IbLb0EEEEDaS1P_S1Q_EUlS1P_E_NS1_11comp_targetILNS1_3genE5ELNS1_11target_archE942ELNS1_3gpuE9ELNS1_3repE0EEENS1_30default_config_static_selectorELNS0_4arch9wavefront6targetE0EEEvS12_,"axG",@progbits,_ZN7rocprim17ROCPRIM_400000_NS6detail17trampoline_kernelINS0_13select_configILj256ELj13ELNS0_17block_load_methodE3ELS4_3ELS4_3ELNS0_20block_scan_algorithmE0ELj4294967295EEENS1_25partition_config_selectorILNS1_17partition_subalgoE4EjNS0_10empty_typeEbEEZZNS1_14partition_implILS8_4ELb0ES6_15HIP_vector_typeIjLj2EENS0_17counting_iteratorIjlEEPS9_SG_NS0_5tupleIJPjSI_NS0_16reverse_iteratorISI_EEEEENSH_IJSG_SG_SG_EEES9_SI_JZNS1_25segmented_radix_sort_implINS0_14default_configELb0EPKsPsPKlPlN2at6native12_GLOBAL__N_18offset_tEEE10hipError_tPvRmT1_PNSt15iterator_traitsIS12_E10value_typeET2_T3_PNS13_IS18_E10value_typeET4_jRbjT5_S1E_jjP12ihipStream_tbEUljE_ZNSN_ISO_Lb0ESQ_SR_ST_SU_SY_EESZ_S10_S11_S12_S16_S17_S18_S1B_S1C_jS1D_jS1E_S1E_jjS1G_bEUljE0_EEESZ_S10_S11_S18_S1C_S1E_T6_T7_T9_mT8_S1G_bDpT10_ENKUlT_T0_E_clISt17integral_constantIbLb1EES1T_IbLb0EEEEDaS1P_S1Q_EUlS1P_E_NS1_11comp_targetILNS1_3genE5ELNS1_11target_archE942ELNS1_3gpuE9ELNS1_3repE0EEENS1_30default_config_static_selectorELNS0_4arch9wavefront6targetE0EEEvS12_,comdat
.Lfunc_end967:
	.size	_ZN7rocprim17ROCPRIM_400000_NS6detail17trampoline_kernelINS0_13select_configILj256ELj13ELNS0_17block_load_methodE3ELS4_3ELS4_3ELNS0_20block_scan_algorithmE0ELj4294967295EEENS1_25partition_config_selectorILNS1_17partition_subalgoE4EjNS0_10empty_typeEbEEZZNS1_14partition_implILS8_4ELb0ES6_15HIP_vector_typeIjLj2EENS0_17counting_iteratorIjlEEPS9_SG_NS0_5tupleIJPjSI_NS0_16reverse_iteratorISI_EEEEENSH_IJSG_SG_SG_EEES9_SI_JZNS1_25segmented_radix_sort_implINS0_14default_configELb0EPKsPsPKlPlN2at6native12_GLOBAL__N_18offset_tEEE10hipError_tPvRmT1_PNSt15iterator_traitsIS12_E10value_typeET2_T3_PNS13_IS18_E10value_typeET4_jRbjT5_S1E_jjP12ihipStream_tbEUljE_ZNSN_ISO_Lb0ESQ_SR_ST_SU_SY_EESZ_S10_S11_S12_S16_S17_S18_S1B_S1C_jS1D_jS1E_S1E_jjS1G_bEUljE0_EEESZ_S10_S11_S18_S1C_S1E_T6_T7_T9_mT8_S1G_bDpT10_ENKUlT_T0_E_clISt17integral_constantIbLb1EES1T_IbLb0EEEEDaS1P_S1Q_EUlS1P_E_NS1_11comp_targetILNS1_3genE5ELNS1_11target_archE942ELNS1_3gpuE9ELNS1_3repE0EEENS1_30default_config_static_selectorELNS0_4arch9wavefront6targetE0EEEvS12_, .Lfunc_end967-_ZN7rocprim17ROCPRIM_400000_NS6detail17trampoline_kernelINS0_13select_configILj256ELj13ELNS0_17block_load_methodE3ELS4_3ELS4_3ELNS0_20block_scan_algorithmE0ELj4294967295EEENS1_25partition_config_selectorILNS1_17partition_subalgoE4EjNS0_10empty_typeEbEEZZNS1_14partition_implILS8_4ELb0ES6_15HIP_vector_typeIjLj2EENS0_17counting_iteratorIjlEEPS9_SG_NS0_5tupleIJPjSI_NS0_16reverse_iteratorISI_EEEEENSH_IJSG_SG_SG_EEES9_SI_JZNS1_25segmented_radix_sort_implINS0_14default_configELb0EPKsPsPKlPlN2at6native12_GLOBAL__N_18offset_tEEE10hipError_tPvRmT1_PNSt15iterator_traitsIS12_E10value_typeET2_T3_PNS13_IS18_E10value_typeET4_jRbjT5_S1E_jjP12ihipStream_tbEUljE_ZNSN_ISO_Lb0ESQ_SR_ST_SU_SY_EESZ_S10_S11_S12_S16_S17_S18_S1B_S1C_jS1D_jS1E_S1E_jjS1G_bEUljE0_EEESZ_S10_S11_S18_S1C_S1E_T6_T7_T9_mT8_S1G_bDpT10_ENKUlT_T0_E_clISt17integral_constantIbLb1EES1T_IbLb0EEEEDaS1P_S1Q_EUlS1P_E_NS1_11comp_targetILNS1_3genE5ELNS1_11target_archE942ELNS1_3gpuE9ELNS1_3repE0EEENS1_30default_config_static_selectorELNS0_4arch9wavefront6targetE0EEEvS12_
                                        ; -- End function
	.section	.AMDGPU.csdata,"",@progbits
; Kernel info:
; codeLenInByte = 0
; NumSgprs: 0
; NumVgprs: 0
; ScratchSize: 0
; MemoryBound: 0
; FloatMode: 240
; IeeeMode: 1
; LDSByteSize: 0 bytes/workgroup (compile time only)
; SGPRBlocks: 0
; VGPRBlocks: 0
; NumSGPRsForWavesPerEU: 1
; NumVGPRsForWavesPerEU: 1
; Occupancy: 16
; WaveLimiterHint : 0
; COMPUTE_PGM_RSRC2:SCRATCH_EN: 0
; COMPUTE_PGM_RSRC2:USER_SGPR: 15
; COMPUTE_PGM_RSRC2:TRAP_HANDLER: 0
; COMPUTE_PGM_RSRC2:TGID_X_EN: 1
; COMPUTE_PGM_RSRC2:TGID_Y_EN: 0
; COMPUTE_PGM_RSRC2:TGID_Z_EN: 0
; COMPUTE_PGM_RSRC2:TIDIG_COMP_CNT: 0
	.section	.text._ZN7rocprim17ROCPRIM_400000_NS6detail17trampoline_kernelINS0_13select_configILj256ELj13ELNS0_17block_load_methodE3ELS4_3ELS4_3ELNS0_20block_scan_algorithmE0ELj4294967295EEENS1_25partition_config_selectorILNS1_17partition_subalgoE4EjNS0_10empty_typeEbEEZZNS1_14partition_implILS8_4ELb0ES6_15HIP_vector_typeIjLj2EENS0_17counting_iteratorIjlEEPS9_SG_NS0_5tupleIJPjSI_NS0_16reverse_iteratorISI_EEEEENSH_IJSG_SG_SG_EEES9_SI_JZNS1_25segmented_radix_sort_implINS0_14default_configELb0EPKsPsPKlPlN2at6native12_GLOBAL__N_18offset_tEEE10hipError_tPvRmT1_PNSt15iterator_traitsIS12_E10value_typeET2_T3_PNS13_IS18_E10value_typeET4_jRbjT5_S1E_jjP12ihipStream_tbEUljE_ZNSN_ISO_Lb0ESQ_SR_ST_SU_SY_EESZ_S10_S11_S12_S16_S17_S18_S1B_S1C_jS1D_jS1E_S1E_jjS1G_bEUljE0_EEESZ_S10_S11_S18_S1C_S1E_T6_T7_T9_mT8_S1G_bDpT10_ENKUlT_T0_E_clISt17integral_constantIbLb1EES1T_IbLb0EEEEDaS1P_S1Q_EUlS1P_E_NS1_11comp_targetILNS1_3genE4ELNS1_11target_archE910ELNS1_3gpuE8ELNS1_3repE0EEENS1_30default_config_static_selectorELNS0_4arch9wavefront6targetE0EEEvS12_,"axG",@progbits,_ZN7rocprim17ROCPRIM_400000_NS6detail17trampoline_kernelINS0_13select_configILj256ELj13ELNS0_17block_load_methodE3ELS4_3ELS4_3ELNS0_20block_scan_algorithmE0ELj4294967295EEENS1_25partition_config_selectorILNS1_17partition_subalgoE4EjNS0_10empty_typeEbEEZZNS1_14partition_implILS8_4ELb0ES6_15HIP_vector_typeIjLj2EENS0_17counting_iteratorIjlEEPS9_SG_NS0_5tupleIJPjSI_NS0_16reverse_iteratorISI_EEEEENSH_IJSG_SG_SG_EEES9_SI_JZNS1_25segmented_radix_sort_implINS0_14default_configELb0EPKsPsPKlPlN2at6native12_GLOBAL__N_18offset_tEEE10hipError_tPvRmT1_PNSt15iterator_traitsIS12_E10value_typeET2_T3_PNS13_IS18_E10value_typeET4_jRbjT5_S1E_jjP12ihipStream_tbEUljE_ZNSN_ISO_Lb0ESQ_SR_ST_SU_SY_EESZ_S10_S11_S12_S16_S17_S18_S1B_S1C_jS1D_jS1E_S1E_jjS1G_bEUljE0_EEESZ_S10_S11_S18_S1C_S1E_T6_T7_T9_mT8_S1G_bDpT10_ENKUlT_T0_E_clISt17integral_constantIbLb1EES1T_IbLb0EEEEDaS1P_S1Q_EUlS1P_E_NS1_11comp_targetILNS1_3genE4ELNS1_11target_archE910ELNS1_3gpuE8ELNS1_3repE0EEENS1_30default_config_static_selectorELNS0_4arch9wavefront6targetE0EEEvS12_,comdat
	.globl	_ZN7rocprim17ROCPRIM_400000_NS6detail17trampoline_kernelINS0_13select_configILj256ELj13ELNS0_17block_load_methodE3ELS4_3ELS4_3ELNS0_20block_scan_algorithmE0ELj4294967295EEENS1_25partition_config_selectorILNS1_17partition_subalgoE4EjNS0_10empty_typeEbEEZZNS1_14partition_implILS8_4ELb0ES6_15HIP_vector_typeIjLj2EENS0_17counting_iteratorIjlEEPS9_SG_NS0_5tupleIJPjSI_NS0_16reverse_iteratorISI_EEEEENSH_IJSG_SG_SG_EEES9_SI_JZNS1_25segmented_radix_sort_implINS0_14default_configELb0EPKsPsPKlPlN2at6native12_GLOBAL__N_18offset_tEEE10hipError_tPvRmT1_PNSt15iterator_traitsIS12_E10value_typeET2_T3_PNS13_IS18_E10value_typeET4_jRbjT5_S1E_jjP12ihipStream_tbEUljE_ZNSN_ISO_Lb0ESQ_SR_ST_SU_SY_EESZ_S10_S11_S12_S16_S17_S18_S1B_S1C_jS1D_jS1E_S1E_jjS1G_bEUljE0_EEESZ_S10_S11_S18_S1C_S1E_T6_T7_T9_mT8_S1G_bDpT10_ENKUlT_T0_E_clISt17integral_constantIbLb1EES1T_IbLb0EEEEDaS1P_S1Q_EUlS1P_E_NS1_11comp_targetILNS1_3genE4ELNS1_11target_archE910ELNS1_3gpuE8ELNS1_3repE0EEENS1_30default_config_static_selectorELNS0_4arch9wavefront6targetE0EEEvS12_ ; -- Begin function _ZN7rocprim17ROCPRIM_400000_NS6detail17trampoline_kernelINS0_13select_configILj256ELj13ELNS0_17block_load_methodE3ELS4_3ELS4_3ELNS0_20block_scan_algorithmE0ELj4294967295EEENS1_25partition_config_selectorILNS1_17partition_subalgoE4EjNS0_10empty_typeEbEEZZNS1_14partition_implILS8_4ELb0ES6_15HIP_vector_typeIjLj2EENS0_17counting_iteratorIjlEEPS9_SG_NS0_5tupleIJPjSI_NS0_16reverse_iteratorISI_EEEEENSH_IJSG_SG_SG_EEES9_SI_JZNS1_25segmented_radix_sort_implINS0_14default_configELb0EPKsPsPKlPlN2at6native12_GLOBAL__N_18offset_tEEE10hipError_tPvRmT1_PNSt15iterator_traitsIS12_E10value_typeET2_T3_PNS13_IS18_E10value_typeET4_jRbjT5_S1E_jjP12ihipStream_tbEUljE_ZNSN_ISO_Lb0ESQ_SR_ST_SU_SY_EESZ_S10_S11_S12_S16_S17_S18_S1B_S1C_jS1D_jS1E_S1E_jjS1G_bEUljE0_EEESZ_S10_S11_S18_S1C_S1E_T6_T7_T9_mT8_S1G_bDpT10_ENKUlT_T0_E_clISt17integral_constantIbLb1EES1T_IbLb0EEEEDaS1P_S1Q_EUlS1P_E_NS1_11comp_targetILNS1_3genE4ELNS1_11target_archE910ELNS1_3gpuE8ELNS1_3repE0EEENS1_30default_config_static_selectorELNS0_4arch9wavefront6targetE0EEEvS12_
	.p2align	8
	.type	_ZN7rocprim17ROCPRIM_400000_NS6detail17trampoline_kernelINS0_13select_configILj256ELj13ELNS0_17block_load_methodE3ELS4_3ELS4_3ELNS0_20block_scan_algorithmE0ELj4294967295EEENS1_25partition_config_selectorILNS1_17partition_subalgoE4EjNS0_10empty_typeEbEEZZNS1_14partition_implILS8_4ELb0ES6_15HIP_vector_typeIjLj2EENS0_17counting_iteratorIjlEEPS9_SG_NS0_5tupleIJPjSI_NS0_16reverse_iteratorISI_EEEEENSH_IJSG_SG_SG_EEES9_SI_JZNS1_25segmented_radix_sort_implINS0_14default_configELb0EPKsPsPKlPlN2at6native12_GLOBAL__N_18offset_tEEE10hipError_tPvRmT1_PNSt15iterator_traitsIS12_E10value_typeET2_T3_PNS13_IS18_E10value_typeET4_jRbjT5_S1E_jjP12ihipStream_tbEUljE_ZNSN_ISO_Lb0ESQ_SR_ST_SU_SY_EESZ_S10_S11_S12_S16_S17_S18_S1B_S1C_jS1D_jS1E_S1E_jjS1G_bEUljE0_EEESZ_S10_S11_S18_S1C_S1E_T6_T7_T9_mT8_S1G_bDpT10_ENKUlT_T0_E_clISt17integral_constantIbLb1EES1T_IbLb0EEEEDaS1P_S1Q_EUlS1P_E_NS1_11comp_targetILNS1_3genE4ELNS1_11target_archE910ELNS1_3gpuE8ELNS1_3repE0EEENS1_30default_config_static_selectorELNS0_4arch9wavefront6targetE0EEEvS12_,@function
_ZN7rocprim17ROCPRIM_400000_NS6detail17trampoline_kernelINS0_13select_configILj256ELj13ELNS0_17block_load_methodE3ELS4_3ELS4_3ELNS0_20block_scan_algorithmE0ELj4294967295EEENS1_25partition_config_selectorILNS1_17partition_subalgoE4EjNS0_10empty_typeEbEEZZNS1_14partition_implILS8_4ELb0ES6_15HIP_vector_typeIjLj2EENS0_17counting_iteratorIjlEEPS9_SG_NS0_5tupleIJPjSI_NS0_16reverse_iteratorISI_EEEEENSH_IJSG_SG_SG_EEES9_SI_JZNS1_25segmented_radix_sort_implINS0_14default_configELb0EPKsPsPKlPlN2at6native12_GLOBAL__N_18offset_tEEE10hipError_tPvRmT1_PNSt15iterator_traitsIS12_E10value_typeET2_T3_PNS13_IS18_E10value_typeET4_jRbjT5_S1E_jjP12ihipStream_tbEUljE_ZNSN_ISO_Lb0ESQ_SR_ST_SU_SY_EESZ_S10_S11_S12_S16_S17_S18_S1B_S1C_jS1D_jS1E_S1E_jjS1G_bEUljE0_EEESZ_S10_S11_S18_S1C_S1E_T6_T7_T9_mT8_S1G_bDpT10_ENKUlT_T0_E_clISt17integral_constantIbLb1EES1T_IbLb0EEEEDaS1P_S1Q_EUlS1P_E_NS1_11comp_targetILNS1_3genE4ELNS1_11target_archE910ELNS1_3gpuE8ELNS1_3repE0EEENS1_30default_config_static_selectorELNS0_4arch9wavefront6targetE0EEEvS12_: ; @_ZN7rocprim17ROCPRIM_400000_NS6detail17trampoline_kernelINS0_13select_configILj256ELj13ELNS0_17block_load_methodE3ELS4_3ELS4_3ELNS0_20block_scan_algorithmE0ELj4294967295EEENS1_25partition_config_selectorILNS1_17partition_subalgoE4EjNS0_10empty_typeEbEEZZNS1_14partition_implILS8_4ELb0ES6_15HIP_vector_typeIjLj2EENS0_17counting_iteratorIjlEEPS9_SG_NS0_5tupleIJPjSI_NS0_16reverse_iteratorISI_EEEEENSH_IJSG_SG_SG_EEES9_SI_JZNS1_25segmented_radix_sort_implINS0_14default_configELb0EPKsPsPKlPlN2at6native12_GLOBAL__N_18offset_tEEE10hipError_tPvRmT1_PNSt15iterator_traitsIS12_E10value_typeET2_T3_PNS13_IS18_E10value_typeET4_jRbjT5_S1E_jjP12ihipStream_tbEUljE_ZNSN_ISO_Lb0ESQ_SR_ST_SU_SY_EESZ_S10_S11_S12_S16_S17_S18_S1B_S1C_jS1D_jS1E_S1E_jjS1G_bEUljE0_EEESZ_S10_S11_S18_S1C_S1E_T6_T7_T9_mT8_S1G_bDpT10_ENKUlT_T0_E_clISt17integral_constantIbLb1EES1T_IbLb0EEEEDaS1P_S1Q_EUlS1P_E_NS1_11comp_targetILNS1_3genE4ELNS1_11target_archE910ELNS1_3gpuE8ELNS1_3repE0EEENS1_30default_config_static_selectorELNS0_4arch9wavefront6targetE0EEEvS12_
; %bb.0:
	.section	.rodata,"a",@progbits
	.p2align	6, 0x0
	.amdhsa_kernel _ZN7rocprim17ROCPRIM_400000_NS6detail17trampoline_kernelINS0_13select_configILj256ELj13ELNS0_17block_load_methodE3ELS4_3ELS4_3ELNS0_20block_scan_algorithmE0ELj4294967295EEENS1_25partition_config_selectorILNS1_17partition_subalgoE4EjNS0_10empty_typeEbEEZZNS1_14partition_implILS8_4ELb0ES6_15HIP_vector_typeIjLj2EENS0_17counting_iteratorIjlEEPS9_SG_NS0_5tupleIJPjSI_NS0_16reverse_iteratorISI_EEEEENSH_IJSG_SG_SG_EEES9_SI_JZNS1_25segmented_radix_sort_implINS0_14default_configELb0EPKsPsPKlPlN2at6native12_GLOBAL__N_18offset_tEEE10hipError_tPvRmT1_PNSt15iterator_traitsIS12_E10value_typeET2_T3_PNS13_IS18_E10value_typeET4_jRbjT5_S1E_jjP12ihipStream_tbEUljE_ZNSN_ISO_Lb0ESQ_SR_ST_SU_SY_EESZ_S10_S11_S12_S16_S17_S18_S1B_S1C_jS1D_jS1E_S1E_jjS1G_bEUljE0_EEESZ_S10_S11_S18_S1C_S1E_T6_T7_T9_mT8_S1G_bDpT10_ENKUlT_T0_E_clISt17integral_constantIbLb1EES1T_IbLb0EEEEDaS1P_S1Q_EUlS1P_E_NS1_11comp_targetILNS1_3genE4ELNS1_11target_archE910ELNS1_3gpuE8ELNS1_3repE0EEENS1_30default_config_static_selectorELNS0_4arch9wavefront6targetE0EEEvS12_
		.amdhsa_group_segment_fixed_size 0
		.amdhsa_private_segment_fixed_size 0
		.amdhsa_kernarg_size 176
		.amdhsa_user_sgpr_count 15
		.amdhsa_user_sgpr_dispatch_ptr 0
		.amdhsa_user_sgpr_queue_ptr 0
		.amdhsa_user_sgpr_kernarg_segment_ptr 1
		.amdhsa_user_sgpr_dispatch_id 0
		.amdhsa_user_sgpr_private_segment_size 0
		.amdhsa_wavefront_size32 1
		.amdhsa_uses_dynamic_stack 0
		.amdhsa_enable_private_segment 0
		.amdhsa_system_sgpr_workgroup_id_x 1
		.amdhsa_system_sgpr_workgroup_id_y 0
		.amdhsa_system_sgpr_workgroup_id_z 0
		.amdhsa_system_sgpr_workgroup_info 0
		.amdhsa_system_vgpr_workitem_id 0
		.amdhsa_next_free_vgpr 1
		.amdhsa_next_free_sgpr 1
		.amdhsa_reserve_vcc 0
		.amdhsa_float_round_mode_32 0
		.amdhsa_float_round_mode_16_64 0
		.amdhsa_float_denorm_mode_32 3
		.amdhsa_float_denorm_mode_16_64 3
		.amdhsa_dx10_clamp 1
		.amdhsa_ieee_mode 1
		.amdhsa_fp16_overflow 0
		.amdhsa_workgroup_processor_mode 1
		.amdhsa_memory_ordered 1
		.amdhsa_forward_progress 0
		.amdhsa_shared_vgpr_count 0
		.amdhsa_exception_fp_ieee_invalid_op 0
		.amdhsa_exception_fp_denorm_src 0
		.amdhsa_exception_fp_ieee_div_zero 0
		.amdhsa_exception_fp_ieee_overflow 0
		.amdhsa_exception_fp_ieee_underflow 0
		.amdhsa_exception_fp_ieee_inexact 0
		.amdhsa_exception_int_div_zero 0
	.end_amdhsa_kernel
	.section	.text._ZN7rocprim17ROCPRIM_400000_NS6detail17trampoline_kernelINS0_13select_configILj256ELj13ELNS0_17block_load_methodE3ELS4_3ELS4_3ELNS0_20block_scan_algorithmE0ELj4294967295EEENS1_25partition_config_selectorILNS1_17partition_subalgoE4EjNS0_10empty_typeEbEEZZNS1_14partition_implILS8_4ELb0ES6_15HIP_vector_typeIjLj2EENS0_17counting_iteratorIjlEEPS9_SG_NS0_5tupleIJPjSI_NS0_16reverse_iteratorISI_EEEEENSH_IJSG_SG_SG_EEES9_SI_JZNS1_25segmented_radix_sort_implINS0_14default_configELb0EPKsPsPKlPlN2at6native12_GLOBAL__N_18offset_tEEE10hipError_tPvRmT1_PNSt15iterator_traitsIS12_E10value_typeET2_T3_PNS13_IS18_E10value_typeET4_jRbjT5_S1E_jjP12ihipStream_tbEUljE_ZNSN_ISO_Lb0ESQ_SR_ST_SU_SY_EESZ_S10_S11_S12_S16_S17_S18_S1B_S1C_jS1D_jS1E_S1E_jjS1G_bEUljE0_EEESZ_S10_S11_S18_S1C_S1E_T6_T7_T9_mT8_S1G_bDpT10_ENKUlT_T0_E_clISt17integral_constantIbLb1EES1T_IbLb0EEEEDaS1P_S1Q_EUlS1P_E_NS1_11comp_targetILNS1_3genE4ELNS1_11target_archE910ELNS1_3gpuE8ELNS1_3repE0EEENS1_30default_config_static_selectorELNS0_4arch9wavefront6targetE0EEEvS12_,"axG",@progbits,_ZN7rocprim17ROCPRIM_400000_NS6detail17trampoline_kernelINS0_13select_configILj256ELj13ELNS0_17block_load_methodE3ELS4_3ELS4_3ELNS0_20block_scan_algorithmE0ELj4294967295EEENS1_25partition_config_selectorILNS1_17partition_subalgoE4EjNS0_10empty_typeEbEEZZNS1_14partition_implILS8_4ELb0ES6_15HIP_vector_typeIjLj2EENS0_17counting_iteratorIjlEEPS9_SG_NS0_5tupleIJPjSI_NS0_16reverse_iteratorISI_EEEEENSH_IJSG_SG_SG_EEES9_SI_JZNS1_25segmented_radix_sort_implINS0_14default_configELb0EPKsPsPKlPlN2at6native12_GLOBAL__N_18offset_tEEE10hipError_tPvRmT1_PNSt15iterator_traitsIS12_E10value_typeET2_T3_PNS13_IS18_E10value_typeET4_jRbjT5_S1E_jjP12ihipStream_tbEUljE_ZNSN_ISO_Lb0ESQ_SR_ST_SU_SY_EESZ_S10_S11_S12_S16_S17_S18_S1B_S1C_jS1D_jS1E_S1E_jjS1G_bEUljE0_EEESZ_S10_S11_S18_S1C_S1E_T6_T7_T9_mT8_S1G_bDpT10_ENKUlT_T0_E_clISt17integral_constantIbLb1EES1T_IbLb0EEEEDaS1P_S1Q_EUlS1P_E_NS1_11comp_targetILNS1_3genE4ELNS1_11target_archE910ELNS1_3gpuE8ELNS1_3repE0EEENS1_30default_config_static_selectorELNS0_4arch9wavefront6targetE0EEEvS12_,comdat
.Lfunc_end968:
	.size	_ZN7rocprim17ROCPRIM_400000_NS6detail17trampoline_kernelINS0_13select_configILj256ELj13ELNS0_17block_load_methodE3ELS4_3ELS4_3ELNS0_20block_scan_algorithmE0ELj4294967295EEENS1_25partition_config_selectorILNS1_17partition_subalgoE4EjNS0_10empty_typeEbEEZZNS1_14partition_implILS8_4ELb0ES6_15HIP_vector_typeIjLj2EENS0_17counting_iteratorIjlEEPS9_SG_NS0_5tupleIJPjSI_NS0_16reverse_iteratorISI_EEEEENSH_IJSG_SG_SG_EEES9_SI_JZNS1_25segmented_radix_sort_implINS0_14default_configELb0EPKsPsPKlPlN2at6native12_GLOBAL__N_18offset_tEEE10hipError_tPvRmT1_PNSt15iterator_traitsIS12_E10value_typeET2_T3_PNS13_IS18_E10value_typeET4_jRbjT5_S1E_jjP12ihipStream_tbEUljE_ZNSN_ISO_Lb0ESQ_SR_ST_SU_SY_EESZ_S10_S11_S12_S16_S17_S18_S1B_S1C_jS1D_jS1E_S1E_jjS1G_bEUljE0_EEESZ_S10_S11_S18_S1C_S1E_T6_T7_T9_mT8_S1G_bDpT10_ENKUlT_T0_E_clISt17integral_constantIbLb1EES1T_IbLb0EEEEDaS1P_S1Q_EUlS1P_E_NS1_11comp_targetILNS1_3genE4ELNS1_11target_archE910ELNS1_3gpuE8ELNS1_3repE0EEENS1_30default_config_static_selectorELNS0_4arch9wavefront6targetE0EEEvS12_, .Lfunc_end968-_ZN7rocprim17ROCPRIM_400000_NS6detail17trampoline_kernelINS0_13select_configILj256ELj13ELNS0_17block_load_methodE3ELS4_3ELS4_3ELNS0_20block_scan_algorithmE0ELj4294967295EEENS1_25partition_config_selectorILNS1_17partition_subalgoE4EjNS0_10empty_typeEbEEZZNS1_14partition_implILS8_4ELb0ES6_15HIP_vector_typeIjLj2EENS0_17counting_iteratorIjlEEPS9_SG_NS0_5tupleIJPjSI_NS0_16reverse_iteratorISI_EEEEENSH_IJSG_SG_SG_EEES9_SI_JZNS1_25segmented_radix_sort_implINS0_14default_configELb0EPKsPsPKlPlN2at6native12_GLOBAL__N_18offset_tEEE10hipError_tPvRmT1_PNSt15iterator_traitsIS12_E10value_typeET2_T3_PNS13_IS18_E10value_typeET4_jRbjT5_S1E_jjP12ihipStream_tbEUljE_ZNSN_ISO_Lb0ESQ_SR_ST_SU_SY_EESZ_S10_S11_S12_S16_S17_S18_S1B_S1C_jS1D_jS1E_S1E_jjS1G_bEUljE0_EEESZ_S10_S11_S18_S1C_S1E_T6_T7_T9_mT8_S1G_bDpT10_ENKUlT_T0_E_clISt17integral_constantIbLb1EES1T_IbLb0EEEEDaS1P_S1Q_EUlS1P_E_NS1_11comp_targetILNS1_3genE4ELNS1_11target_archE910ELNS1_3gpuE8ELNS1_3repE0EEENS1_30default_config_static_selectorELNS0_4arch9wavefront6targetE0EEEvS12_
                                        ; -- End function
	.section	.AMDGPU.csdata,"",@progbits
; Kernel info:
; codeLenInByte = 0
; NumSgprs: 0
; NumVgprs: 0
; ScratchSize: 0
; MemoryBound: 0
; FloatMode: 240
; IeeeMode: 1
; LDSByteSize: 0 bytes/workgroup (compile time only)
; SGPRBlocks: 0
; VGPRBlocks: 0
; NumSGPRsForWavesPerEU: 1
; NumVGPRsForWavesPerEU: 1
; Occupancy: 16
; WaveLimiterHint : 0
; COMPUTE_PGM_RSRC2:SCRATCH_EN: 0
; COMPUTE_PGM_RSRC2:USER_SGPR: 15
; COMPUTE_PGM_RSRC2:TRAP_HANDLER: 0
; COMPUTE_PGM_RSRC2:TGID_X_EN: 1
; COMPUTE_PGM_RSRC2:TGID_Y_EN: 0
; COMPUTE_PGM_RSRC2:TGID_Z_EN: 0
; COMPUTE_PGM_RSRC2:TIDIG_COMP_CNT: 0
	.section	.text._ZN7rocprim17ROCPRIM_400000_NS6detail17trampoline_kernelINS0_13select_configILj256ELj13ELNS0_17block_load_methodE3ELS4_3ELS4_3ELNS0_20block_scan_algorithmE0ELj4294967295EEENS1_25partition_config_selectorILNS1_17partition_subalgoE4EjNS0_10empty_typeEbEEZZNS1_14partition_implILS8_4ELb0ES6_15HIP_vector_typeIjLj2EENS0_17counting_iteratorIjlEEPS9_SG_NS0_5tupleIJPjSI_NS0_16reverse_iteratorISI_EEEEENSH_IJSG_SG_SG_EEES9_SI_JZNS1_25segmented_radix_sort_implINS0_14default_configELb0EPKsPsPKlPlN2at6native12_GLOBAL__N_18offset_tEEE10hipError_tPvRmT1_PNSt15iterator_traitsIS12_E10value_typeET2_T3_PNS13_IS18_E10value_typeET4_jRbjT5_S1E_jjP12ihipStream_tbEUljE_ZNSN_ISO_Lb0ESQ_SR_ST_SU_SY_EESZ_S10_S11_S12_S16_S17_S18_S1B_S1C_jS1D_jS1E_S1E_jjS1G_bEUljE0_EEESZ_S10_S11_S18_S1C_S1E_T6_T7_T9_mT8_S1G_bDpT10_ENKUlT_T0_E_clISt17integral_constantIbLb1EES1T_IbLb0EEEEDaS1P_S1Q_EUlS1P_E_NS1_11comp_targetILNS1_3genE3ELNS1_11target_archE908ELNS1_3gpuE7ELNS1_3repE0EEENS1_30default_config_static_selectorELNS0_4arch9wavefront6targetE0EEEvS12_,"axG",@progbits,_ZN7rocprim17ROCPRIM_400000_NS6detail17trampoline_kernelINS0_13select_configILj256ELj13ELNS0_17block_load_methodE3ELS4_3ELS4_3ELNS0_20block_scan_algorithmE0ELj4294967295EEENS1_25partition_config_selectorILNS1_17partition_subalgoE4EjNS0_10empty_typeEbEEZZNS1_14partition_implILS8_4ELb0ES6_15HIP_vector_typeIjLj2EENS0_17counting_iteratorIjlEEPS9_SG_NS0_5tupleIJPjSI_NS0_16reverse_iteratorISI_EEEEENSH_IJSG_SG_SG_EEES9_SI_JZNS1_25segmented_radix_sort_implINS0_14default_configELb0EPKsPsPKlPlN2at6native12_GLOBAL__N_18offset_tEEE10hipError_tPvRmT1_PNSt15iterator_traitsIS12_E10value_typeET2_T3_PNS13_IS18_E10value_typeET4_jRbjT5_S1E_jjP12ihipStream_tbEUljE_ZNSN_ISO_Lb0ESQ_SR_ST_SU_SY_EESZ_S10_S11_S12_S16_S17_S18_S1B_S1C_jS1D_jS1E_S1E_jjS1G_bEUljE0_EEESZ_S10_S11_S18_S1C_S1E_T6_T7_T9_mT8_S1G_bDpT10_ENKUlT_T0_E_clISt17integral_constantIbLb1EES1T_IbLb0EEEEDaS1P_S1Q_EUlS1P_E_NS1_11comp_targetILNS1_3genE3ELNS1_11target_archE908ELNS1_3gpuE7ELNS1_3repE0EEENS1_30default_config_static_selectorELNS0_4arch9wavefront6targetE0EEEvS12_,comdat
	.globl	_ZN7rocprim17ROCPRIM_400000_NS6detail17trampoline_kernelINS0_13select_configILj256ELj13ELNS0_17block_load_methodE3ELS4_3ELS4_3ELNS0_20block_scan_algorithmE0ELj4294967295EEENS1_25partition_config_selectorILNS1_17partition_subalgoE4EjNS0_10empty_typeEbEEZZNS1_14partition_implILS8_4ELb0ES6_15HIP_vector_typeIjLj2EENS0_17counting_iteratorIjlEEPS9_SG_NS0_5tupleIJPjSI_NS0_16reverse_iteratorISI_EEEEENSH_IJSG_SG_SG_EEES9_SI_JZNS1_25segmented_radix_sort_implINS0_14default_configELb0EPKsPsPKlPlN2at6native12_GLOBAL__N_18offset_tEEE10hipError_tPvRmT1_PNSt15iterator_traitsIS12_E10value_typeET2_T3_PNS13_IS18_E10value_typeET4_jRbjT5_S1E_jjP12ihipStream_tbEUljE_ZNSN_ISO_Lb0ESQ_SR_ST_SU_SY_EESZ_S10_S11_S12_S16_S17_S18_S1B_S1C_jS1D_jS1E_S1E_jjS1G_bEUljE0_EEESZ_S10_S11_S18_S1C_S1E_T6_T7_T9_mT8_S1G_bDpT10_ENKUlT_T0_E_clISt17integral_constantIbLb1EES1T_IbLb0EEEEDaS1P_S1Q_EUlS1P_E_NS1_11comp_targetILNS1_3genE3ELNS1_11target_archE908ELNS1_3gpuE7ELNS1_3repE0EEENS1_30default_config_static_selectorELNS0_4arch9wavefront6targetE0EEEvS12_ ; -- Begin function _ZN7rocprim17ROCPRIM_400000_NS6detail17trampoline_kernelINS0_13select_configILj256ELj13ELNS0_17block_load_methodE3ELS4_3ELS4_3ELNS0_20block_scan_algorithmE0ELj4294967295EEENS1_25partition_config_selectorILNS1_17partition_subalgoE4EjNS0_10empty_typeEbEEZZNS1_14partition_implILS8_4ELb0ES6_15HIP_vector_typeIjLj2EENS0_17counting_iteratorIjlEEPS9_SG_NS0_5tupleIJPjSI_NS0_16reverse_iteratorISI_EEEEENSH_IJSG_SG_SG_EEES9_SI_JZNS1_25segmented_radix_sort_implINS0_14default_configELb0EPKsPsPKlPlN2at6native12_GLOBAL__N_18offset_tEEE10hipError_tPvRmT1_PNSt15iterator_traitsIS12_E10value_typeET2_T3_PNS13_IS18_E10value_typeET4_jRbjT5_S1E_jjP12ihipStream_tbEUljE_ZNSN_ISO_Lb0ESQ_SR_ST_SU_SY_EESZ_S10_S11_S12_S16_S17_S18_S1B_S1C_jS1D_jS1E_S1E_jjS1G_bEUljE0_EEESZ_S10_S11_S18_S1C_S1E_T6_T7_T9_mT8_S1G_bDpT10_ENKUlT_T0_E_clISt17integral_constantIbLb1EES1T_IbLb0EEEEDaS1P_S1Q_EUlS1P_E_NS1_11comp_targetILNS1_3genE3ELNS1_11target_archE908ELNS1_3gpuE7ELNS1_3repE0EEENS1_30default_config_static_selectorELNS0_4arch9wavefront6targetE0EEEvS12_
	.p2align	8
	.type	_ZN7rocprim17ROCPRIM_400000_NS6detail17trampoline_kernelINS0_13select_configILj256ELj13ELNS0_17block_load_methodE3ELS4_3ELS4_3ELNS0_20block_scan_algorithmE0ELj4294967295EEENS1_25partition_config_selectorILNS1_17partition_subalgoE4EjNS0_10empty_typeEbEEZZNS1_14partition_implILS8_4ELb0ES6_15HIP_vector_typeIjLj2EENS0_17counting_iteratorIjlEEPS9_SG_NS0_5tupleIJPjSI_NS0_16reverse_iteratorISI_EEEEENSH_IJSG_SG_SG_EEES9_SI_JZNS1_25segmented_radix_sort_implINS0_14default_configELb0EPKsPsPKlPlN2at6native12_GLOBAL__N_18offset_tEEE10hipError_tPvRmT1_PNSt15iterator_traitsIS12_E10value_typeET2_T3_PNS13_IS18_E10value_typeET4_jRbjT5_S1E_jjP12ihipStream_tbEUljE_ZNSN_ISO_Lb0ESQ_SR_ST_SU_SY_EESZ_S10_S11_S12_S16_S17_S18_S1B_S1C_jS1D_jS1E_S1E_jjS1G_bEUljE0_EEESZ_S10_S11_S18_S1C_S1E_T6_T7_T9_mT8_S1G_bDpT10_ENKUlT_T0_E_clISt17integral_constantIbLb1EES1T_IbLb0EEEEDaS1P_S1Q_EUlS1P_E_NS1_11comp_targetILNS1_3genE3ELNS1_11target_archE908ELNS1_3gpuE7ELNS1_3repE0EEENS1_30default_config_static_selectorELNS0_4arch9wavefront6targetE0EEEvS12_,@function
_ZN7rocprim17ROCPRIM_400000_NS6detail17trampoline_kernelINS0_13select_configILj256ELj13ELNS0_17block_load_methodE3ELS4_3ELS4_3ELNS0_20block_scan_algorithmE0ELj4294967295EEENS1_25partition_config_selectorILNS1_17partition_subalgoE4EjNS0_10empty_typeEbEEZZNS1_14partition_implILS8_4ELb0ES6_15HIP_vector_typeIjLj2EENS0_17counting_iteratorIjlEEPS9_SG_NS0_5tupleIJPjSI_NS0_16reverse_iteratorISI_EEEEENSH_IJSG_SG_SG_EEES9_SI_JZNS1_25segmented_radix_sort_implINS0_14default_configELb0EPKsPsPKlPlN2at6native12_GLOBAL__N_18offset_tEEE10hipError_tPvRmT1_PNSt15iterator_traitsIS12_E10value_typeET2_T3_PNS13_IS18_E10value_typeET4_jRbjT5_S1E_jjP12ihipStream_tbEUljE_ZNSN_ISO_Lb0ESQ_SR_ST_SU_SY_EESZ_S10_S11_S12_S16_S17_S18_S1B_S1C_jS1D_jS1E_S1E_jjS1G_bEUljE0_EEESZ_S10_S11_S18_S1C_S1E_T6_T7_T9_mT8_S1G_bDpT10_ENKUlT_T0_E_clISt17integral_constantIbLb1EES1T_IbLb0EEEEDaS1P_S1Q_EUlS1P_E_NS1_11comp_targetILNS1_3genE3ELNS1_11target_archE908ELNS1_3gpuE7ELNS1_3repE0EEENS1_30default_config_static_selectorELNS0_4arch9wavefront6targetE0EEEvS12_: ; @_ZN7rocprim17ROCPRIM_400000_NS6detail17trampoline_kernelINS0_13select_configILj256ELj13ELNS0_17block_load_methodE3ELS4_3ELS4_3ELNS0_20block_scan_algorithmE0ELj4294967295EEENS1_25partition_config_selectorILNS1_17partition_subalgoE4EjNS0_10empty_typeEbEEZZNS1_14partition_implILS8_4ELb0ES6_15HIP_vector_typeIjLj2EENS0_17counting_iteratorIjlEEPS9_SG_NS0_5tupleIJPjSI_NS0_16reverse_iteratorISI_EEEEENSH_IJSG_SG_SG_EEES9_SI_JZNS1_25segmented_radix_sort_implINS0_14default_configELb0EPKsPsPKlPlN2at6native12_GLOBAL__N_18offset_tEEE10hipError_tPvRmT1_PNSt15iterator_traitsIS12_E10value_typeET2_T3_PNS13_IS18_E10value_typeET4_jRbjT5_S1E_jjP12ihipStream_tbEUljE_ZNSN_ISO_Lb0ESQ_SR_ST_SU_SY_EESZ_S10_S11_S12_S16_S17_S18_S1B_S1C_jS1D_jS1E_S1E_jjS1G_bEUljE0_EEESZ_S10_S11_S18_S1C_S1E_T6_T7_T9_mT8_S1G_bDpT10_ENKUlT_T0_E_clISt17integral_constantIbLb1EES1T_IbLb0EEEEDaS1P_S1Q_EUlS1P_E_NS1_11comp_targetILNS1_3genE3ELNS1_11target_archE908ELNS1_3gpuE7ELNS1_3repE0EEENS1_30default_config_static_selectorELNS0_4arch9wavefront6targetE0EEEvS12_
; %bb.0:
	.section	.rodata,"a",@progbits
	.p2align	6, 0x0
	.amdhsa_kernel _ZN7rocprim17ROCPRIM_400000_NS6detail17trampoline_kernelINS0_13select_configILj256ELj13ELNS0_17block_load_methodE3ELS4_3ELS4_3ELNS0_20block_scan_algorithmE0ELj4294967295EEENS1_25partition_config_selectorILNS1_17partition_subalgoE4EjNS0_10empty_typeEbEEZZNS1_14partition_implILS8_4ELb0ES6_15HIP_vector_typeIjLj2EENS0_17counting_iteratorIjlEEPS9_SG_NS0_5tupleIJPjSI_NS0_16reverse_iteratorISI_EEEEENSH_IJSG_SG_SG_EEES9_SI_JZNS1_25segmented_radix_sort_implINS0_14default_configELb0EPKsPsPKlPlN2at6native12_GLOBAL__N_18offset_tEEE10hipError_tPvRmT1_PNSt15iterator_traitsIS12_E10value_typeET2_T3_PNS13_IS18_E10value_typeET4_jRbjT5_S1E_jjP12ihipStream_tbEUljE_ZNSN_ISO_Lb0ESQ_SR_ST_SU_SY_EESZ_S10_S11_S12_S16_S17_S18_S1B_S1C_jS1D_jS1E_S1E_jjS1G_bEUljE0_EEESZ_S10_S11_S18_S1C_S1E_T6_T7_T9_mT8_S1G_bDpT10_ENKUlT_T0_E_clISt17integral_constantIbLb1EES1T_IbLb0EEEEDaS1P_S1Q_EUlS1P_E_NS1_11comp_targetILNS1_3genE3ELNS1_11target_archE908ELNS1_3gpuE7ELNS1_3repE0EEENS1_30default_config_static_selectorELNS0_4arch9wavefront6targetE0EEEvS12_
		.amdhsa_group_segment_fixed_size 0
		.amdhsa_private_segment_fixed_size 0
		.amdhsa_kernarg_size 176
		.amdhsa_user_sgpr_count 15
		.amdhsa_user_sgpr_dispatch_ptr 0
		.amdhsa_user_sgpr_queue_ptr 0
		.amdhsa_user_sgpr_kernarg_segment_ptr 1
		.amdhsa_user_sgpr_dispatch_id 0
		.amdhsa_user_sgpr_private_segment_size 0
		.amdhsa_wavefront_size32 1
		.amdhsa_uses_dynamic_stack 0
		.amdhsa_enable_private_segment 0
		.amdhsa_system_sgpr_workgroup_id_x 1
		.amdhsa_system_sgpr_workgroup_id_y 0
		.amdhsa_system_sgpr_workgroup_id_z 0
		.amdhsa_system_sgpr_workgroup_info 0
		.amdhsa_system_vgpr_workitem_id 0
		.amdhsa_next_free_vgpr 1
		.amdhsa_next_free_sgpr 1
		.amdhsa_reserve_vcc 0
		.amdhsa_float_round_mode_32 0
		.amdhsa_float_round_mode_16_64 0
		.amdhsa_float_denorm_mode_32 3
		.amdhsa_float_denorm_mode_16_64 3
		.amdhsa_dx10_clamp 1
		.amdhsa_ieee_mode 1
		.amdhsa_fp16_overflow 0
		.amdhsa_workgroup_processor_mode 1
		.amdhsa_memory_ordered 1
		.amdhsa_forward_progress 0
		.amdhsa_shared_vgpr_count 0
		.amdhsa_exception_fp_ieee_invalid_op 0
		.amdhsa_exception_fp_denorm_src 0
		.amdhsa_exception_fp_ieee_div_zero 0
		.amdhsa_exception_fp_ieee_overflow 0
		.amdhsa_exception_fp_ieee_underflow 0
		.amdhsa_exception_fp_ieee_inexact 0
		.amdhsa_exception_int_div_zero 0
	.end_amdhsa_kernel
	.section	.text._ZN7rocprim17ROCPRIM_400000_NS6detail17trampoline_kernelINS0_13select_configILj256ELj13ELNS0_17block_load_methodE3ELS4_3ELS4_3ELNS0_20block_scan_algorithmE0ELj4294967295EEENS1_25partition_config_selectorILNS1_17partition_subalgoE4EjNS0_10empty_typeEbEEZZNS1_14partition_implILS8_4ELb0ES6_15HIP_vector_typeIjLj2EENS0_17counting_iteratorIjlEEPS9_SG_NS0_5tupleIJPjSI_NS0_16reverse_iteratorISI_EEEEENSH_IJSG_SG_SG_EEES9_SI_JZNS1_25segmented_radix_sort_implINS0_14default_configELb0EPKsPsPKlPlN2at6native12_GLOBAL__N_18offset_tEEE10hipError_tPvRmT1_PNSt15iterator_traitsIS12_E10value_typeET2_T3_PNS13_IS18_E10value_typeET4_jRbjT5_S1E_jjP12ihipStream_tbEUljE_ZNSN_ISO_Lb0ESQ_SR_ST_SU_SY_EESZ_S10_S11_S12_S16_S17_S18_S1B_S1C_jS1D_jS1E_S1E_jjS1G_bEUljE0_EEESZ_S10_S11_S18_S1C_S1E_T6_T7_T9_mT8_S1G_bDpT10_ENKUlT_T0_E_clISt17integral_constantIbLb1EES1T_IbLb0EEEEDaS1P_S1Q_EUlS1P_E_NS1_11comp_targetILNS1_3genE3ELNS1_11target_archE908ELNS1_3gpuE7ELNS1_3repE0EEENS1_30default_config_static_selectorELNS0_4arch9wavefront6targetE0EEEvS12_,"axG",@progbits,_ZN7rocprim17ROCPRIM_400000_NS6detail17trampoline_kernelINS0_13select_configILj256ELj13ELNS0_17block_load_methodE3ELS4_3ELS4_3ELNS0_20block_scan_algorithmE0ELj4294967295EEENS1_25partition_config_selectorILNS1_17partition_subalgoE4EjNS0_10empty_typeEbEEZZNS1_14partition_implILS8_4ELb0ES6_15HIP_vector_typeIjLj2EENS0_17counting_iteratorIjlEEPS9_SG_NS0_5tupleIJPjSI_NS0_16reverse_iteratorISI_EEEEENSH_IJSG_SG_SG_EEES9_SI_JZNS1_25segmented_radix_sort_implINS0_14default_configELb0EPKsPsPKlPlN2at6native12_GLOBAL__N_18offset_tEEE10hipError_tPvRmT1_PNSt15iterator_traitsIS12_E10value_typeET2_T3_PNS13_IS18_E10value_typeET4_jRbjT5_S1E_jjP12ihipStream_tbEUljE_ZNSN_ISO_Lb0ESQ_SR_ST_SU_SY_EESZ_S10_S11_S12_S16_S17_S18_S1B_S1C_jS1D_jS1E_S1E_jjS1G_bEUljE0_EEESZ_S10_S11_S18_S1C_S1E_T6_T7_T9_mT8_S1G_bDpT10_ENKUlT_T0_E_clISt17integral_constantIbLb1EES1T_IbLb0EEEEDaS1P_S1Q_EUlS1P_E_NS1_11comp_targetILNS1_3genE3ELNS1_11target_archE908ELNS1_3gpuE7ELNS1_3repE0EEENS1_30default_config_static_selectorELNS0_4arch9wavefront6targetE0EEEvS12_,comdat
.Lfunc_end969:
	.size	_ZN7rocprim17ROCPRIM_400000_NS6detail17trampoline_kernelINS0_13select_configILj256ELj13ELNS0_17block_load_methodE3ELS4_3ELS4_3ELNS0_20block_scan_algorithmE0ELj4294967295EEENS1_25partition_config_selectorILNS1_17partition_subalgoE4EjNS0_10empty_typeEbEEZZNS1_14partition_implILS8_4ELb0ES6_15HIP_vector_typeIjLj2EENS0_17counting_iteratorIjlEEPS9_SG_NS0_5tupleIJPjSI_NS0_16reverse_iteratorISI_EEEEENSH_IJSG_SG_SG_EEES9_SI_JZNS1_25segmented_radix_sort_implINS0_14default_configELb0EPKsPsPKlPlN2at6native12_GLOBAL__N_18offset_tEEE10hipError_tPvRmT1_PNSt15iterator_traitsIS12_E10value_typeET2_T3_PNS13_IS18_E10value_typeET4_jRbjT5_S1E_jjP12ihipStream_tbEUljE_ZNSN_ISO_Lb0ESQ_SR_ST_SU_SY_EESZ_S10_S11_S12_S16_S17_S18_S1B_S1C_jS1D_jS1E_S1E_jjS1G_bEUljE0_EEESZ_S10_S11_S18_S1C_S1E_T6_T7_T9_mT8_S1G_bDpT10_ENKUlT_T0_E_clISt17integral_constantIbLb1EES1T_IbLb0EEEEDaS1P_S1Q_EUlS1P_E_NS1_11comp_targetILNS1_3genE3ELNS1_11target_archE908ELNS1_3gpuE7ELNS1_3repE0EEENS1_30default_config_static_selectorELNS0_4arch9wavefront6targetE0EEEvS12_, .Lfunc_end969-_ZN7rocprim17ROCPRIM_400000_NS6detail17trampoline_kernelINS0_13select_configILj256ELj13ELNS0_17block_load_methodE3ELS4_3ELS4_3ELNS0_20block_scan_algorithmE0ELj4294967295EEENS1_25partition_config_selectorILNS1_17partition_subalgoE4EjNS0_10empty_typeEbEEZZNS1_14partition_implILS8_4ELb0ES6_15HIP_vector_typeIjLj2EENS0_17counting_iteratorIjlEEPS9_SG_NS0_5tupleIJPjSI_NS0_16reverse_iteratorISI_EEEEENSH_IJSG_SG_SG_EEES9_SI_JZNS1_25segmented_radix_sort_implINS0_14default_configELb0EPKsPsPKlPlN2at6native12_GLOBAL__N_18offset_tEEE10hipError_tPvRmT1_PNSt15iterator_traitsIS12_E10value_typeET2_T3_PNS13_IS18_E10value_typeET4_jRbjT5_S1E_jjP12ihipStream_tbEUljE_ZNSN_ISO_Lb0ESQ_SR_ST_SU_SY_EESZ_S10_S11_S12_S16_S17_S18_S1B_S1C_jS1D_jS1E_S1E_jjS1G_bEUljE0_EEESZ_S10_S11_S18_S1C_S1E_T6_T7_T9_mT8_S1G_bDpT10_ENKUlT_T0_E_clISt17integral_constantIbLb1EES1T_IbLb0EEEEDaS1P_S1Q_EUlS1P_E_NS1_11comp_targetILNS1_3genE3ELNS1_11target_archE908ELNS1_3gpuE7ELNS1_3repE0EEENS1_30default_config_static_selectorELNS0_4arch9wavefront6targetE0EEEvS12_
                                        ; -- End function
	.section	.AMDGPU.csdata,"",@progbits
; Kernel info:
; codeLenInByte = 0
; NumSgprs: 0
; NumVgprs: 0
; ScratchSize: 0
; MemoryBound: 0
; FloatMode: 240
; IeeeMode: 1
; LDSByteSize: 0 bytes/workgroup (compile time only)
; SGPRBlocks: 0
; VGPRBlocks: 0
; NumSGPRsForWavesPerEU: 1
; NumVGPRsForWavesPerEU: 1
; Occupancy: 16
; WaveLimiterHint : 0
; COMPUTE_PGM_RSRC2:SCRATCH_EN: 0
; COMPUTE_PGM_RSRC2:USER_SGPR: 15
; COMPUTE_PGM_RSRC2:TRAP_HANDLER: 0
; COMPUTE_PGM_RSRC2:TGID_X_EN: 1
; COMPUTE_PGM_RSRC2:TGID_Y_EN: 0
; COMPUTE_PGM_RSRC2:TGID_Z_EN: 0
; COMPUTE_PGM_RSRC2:TIDIG_COMP_CNT: 0
	.section	.text._ZN7rocprim17ROCPRIM_400000_NS6detail17trampoline_kernelINS0_13select_configILj256ELj13ELNS0_17block_load_methodE3ELS4_3ELS4_3ELNS0_20block_scan_algorithmE0ELj4294967295EEENS1_25partition_config_selectorILNS1_17partition_subalgoE4EjNS0_10empty_typeEbEEZZNS1_14partition_implILS8_4ELb0ES6_15HIP_vector_typeIjLj2EENS0_17counting_iteratorIjlEEPS9_SG_NS0_5tupleIJPjSI_NS0_16reverse_iteratorISI_EEEEENSH_IJSG_SG_SG_EEES9_SI_JZNS1_25segmented_radix_sort_implINS0_14default_configELb0EPKsPsPKlPlN2at6native12_GLOBAL__N_18offset_tEEE10hipError_tPvRmT1_PNSt15iterator_traitsIS12_E10value_typeET2_T3_PNS13_IS18_E10value_typeET4_jRbjT5_S1E_jjP12ihipStream_tbEUljE_ZNSN_ISO_Lb0ESQ_SR_ST_SU_SY_EESZ_S10_S11_S12_S16_S17_S18_S1B_S1C_jS1D_jS1E_S1E_jjS1G_bEUljE0_EEESZ_S10_S11_S18_S1C_S1E_T6_T7_T9_mT8_S1G_bDpT10_ENKUlT_T0_E_clISt17integral_constantIbLb1EES1T_IbLb0EEEEDaS1P_S1Q_EUlS1P_E_NS1_11comp_targetILNS1_3genE2ELNS1_11target_archE906ELNS1_3gpuE6ELNS1_3repE0EEENS1_30default_config_static_selectorELNS0_4arch9wavefront6targetE0EEEvS12_,"axG",@progbits,_ZN7rocprim17ROCPRIM_400000_NS6detail17trampoline_kernelINS0_13select_configILj256ELj13ELNS0_17block_load_methodE3ELS4_3ELS4_3ELNS0_20block_scan_algorithmE0ELj4294967295EEENS1_25partition_config_selectorILNS1_17partition_subalgoE4EjNS0_10empty_typeEbEEZZNS1_14partition_implILS8_4ELb0ES6_15HIP_vector_typeIjLj2EENS0_17counting_iteratorIjlEEPS9_SG_NS0_5tupleIJPjSI_NS0_16reverse_iteratorISI_EEEEENSH_IJSG_SG_SG_EEES9_SI_JZNS1_25segmented_radix_sort_implINS0_14default_configELb0EPKsPsPKlPlN2at6native12_GLOBAL__N_18offset_tEEE10hipError_tPvRmT1_PNSt15iterator_traitsIS12_E10value_typeET2_T3_PNS13_IS18_E10value_typeET4_jRbjT5_S1E_jjP12ihipStream_tbEUljE_ZNSN_ISO_Lb0ESQ_SR_ST_SU_SY_EESZ_S10_S11_S12_S16_S17_S18_S1B_S1C_jS1D_jS1E_S1E_jjS1G_bEUljE0_EEESZ_S10_S11_S18_S1C_S1E_T6_T7_T9_mT8_S1G_bDpT10_ENKUlT_T0_E_clISt17integral_constantIbLb1EES1T_IbLb0EEEEDaS1P_S1Q_EUlS1P_E_NS1_11comp_targetILNS1_3genE2ELNS1_11target_archE906ELNS1_3gpuE6ELNS1_3repE0EEENS1_30default_config_static_selectorELNS0_4arch9wavefront6targetE0EEEvS12_,comdat
	.globl	_ZN7rocprim17ROCPRIM_400000_NS6detail17trampoline_kernelINS0_13select_configILj256ELj13ELNS0_17block_load_methodE3ELS4_3ELS4_3ELNS0_20block_scan_algorithmE0ELj4294967295EEENS1_25partition_config_selectorILNS1_17partition_subalgoE4EjNS0_10empty_typeEbEEZZNS1_14partition_implILS8_4ELb0ES6_15HIP_vector_typeIjLj2EENS0_17counting_iteratorIjlEEPS9_SG_NS0_5tupleIJPjSI_NS0_16reverse_iteratorISI_EEEEENSH_IJSG_SG_SG_EEES9_SI_JZNS1_25segmented_radix_sort_implINS0_14default_configELb0EPKsPsPKlPlN2at6native12_GLOBAL__N_18offset_tEEE10hipError_tPvRmT1_PNSt15iterator_traitsIS12_E10value_typeET2_T3_PNS13_IS18_E10value_typeET4_jRbjT5_S1E_jjP12ihipStream_tbEUljE_ZNSN_ISO_Lb0ESQ_SR_ST_SU_SY_EESZ_S10_S11_S12_S16_S17_S18_S1B_S1C_jS1D_jS1E_S1E_jjS1G_bEUljE0_EEESZ_S10_S11_S18_S1C_S1E_T6_T7_T9_mT8_S1G_bDpT10_ENKUlT_T0_E_clISt17integral_constantIbLb1EES1T_IbLb0EEEEDaS1P_S1Q_EUlS1P_E_NS1_11comp_targetILNS1_3genE2ELNS1_11target_archE906ELNS1_3gpuE6ELNS1_3repE0EEENS1_30default_config_static_selectorELNS0_4arch9wavefront6targetE0EEEvS12_ ; -- Begin function _ZN7rocprim17ROCPRIM_400000_NS6detail17trampoline_kernelINS0_13select_configILj256ELj13ELNS0_17block_load_methodE3ELS4_3ELS4_3ELNS0_20block_scan_algorithmE0ELj4294967295EEENS1_25partition_config_selectorILNS1_17partition_subalgoE4EjNS0_10empty_typeEbEEZZNS1_14partition_implILS8_4ELb0ES6_15HIP_vector_typeIjLj2EENS0_17counting_iteratorIjlEEPS9_SG_NS0_5tupleIJPjSI_NS0_16reverse_iteratorISI_EEEEENSH_IJSG_SG_SG_EEES9_SI_JZNS1_25segmented_radix_sort_implINS0_14default_configELb0EPKsPsPKlPlN2at6native12_GLOBAL__N_18offset_tEEE10hipError_tPvRmT1_PNSt15iterator_traitsIS12_E10value_typeET2_T3_PNS13_IS18_E10value_typeET4_jRbjT5_S1E_jjP12ihipStream_tbEUljE_ZNSN_ISO_Lb0ESQ_SR_ST_SU_SY_EESZ_S10_S11_S12_S16_S17_S18_S1B_S1C_jS1D_jS1E_S1E_jjS1G_bEUljE0_EEESZ_S10_S11_S18_S1C_S1E_T6_T7_T9_mT8_S1G_bDpT10_ENKUlT_T0_E_clISt17integral_constantIbLb1EES1T_IbLb0EEEEDaS1P_S1Q_EUlS1P_E_NS1_11comp_targetILNS1_3genE2ELNS1_11target_archE906ELNS1_3gpuE6ELNS1_3repE0EEENS1_30default_config_static_selectorELNS0_4arch9wavefront6targetE0EEEvS12_
	.p2align	8
	.type	_ZN7rocprim17ROCPRIM_400000_NS6detail17trampoline_kernelINS0_13select_configILj256ELj13ELNS0_17block_load_methodE3ELS4_3ELS4_3ELNS0_20block_scan_algorithmE0ELj4294967295EEENS1_25partition_config_selectorILNS1_17partition_subalgoE4EjNS0_10empty_typeEbEEZZNS1_14partition_implILS8_4ELb0ES6_15HIP_vector_typeIjLj2EENS0_17counting_iteratorIjlEEPS9_SG_NS0_5tupleIJPjSI_NS0_16reverse_iteratorISI_EEEEENSH_IJSG_SG_SG_EEES9_SI_JZNS1_25segmented_radix_sort_implINS0_14default_configELb0EPKsPsPKlPlN2at6native12_GLOBAL__N_18offset_tEEE10hipError_tPvRmT1_PNSt15iterator_traitsIS12_E10value_typeET2_T3_PNS13_IS18_E10value_typeET4_jRbjT5_S1E_jjP12ihipStream_tbEUljE_ZNSN_ISO_Lb0ESQ_SR_ST_SU_SY_EESZ_S10_S11_S12_S16_S17_S18_S1B_S1C_jS1D_jS1E_S1E_jjS1G_bEUljE0_EEESZ_S10_S11_S18_S1C_S1E_T6_T7_T9_mT8_S1G_bDpT10_ENKUlT_T0_E_clISt17integral_constantIbLb1EES1T_IbLb0EEEEDaS1P_S1Q_EUlS1P_E_NS1_11comp_targetILNS1_3genE2ELNS1_11target_archE906ELNS1_3gpuE6ELNS1_3repE0EEENS1_30default_config_static_selectorELNS0_4arch9wavefront6targetE0EEEvS12_,@function
_ZN7rocprim17ROCPRIM_400000_NS6detail17trampoline_kernelINS0_13select_configILj256ELj13ELNS0_17block_load_methodE3ELS4_3ELS4_3ELNS0_20block_scan_algorithmE0ELj4294967295EEENS1_25partition_config_selectorILNS1_17partition_subalgoE4EjNS0_10empty_typeEbEEZZNS1_14partition_implILS8_4ELb0ES6_15HIP_vector_typeIjLj2EENS0_17counting_iteratorIjlEEPS9_SG_NS0_5tupleIJPjSI_NS0_16reverse_iteratorISI_EEEEENSH_IJSG_SG_SG_EEES9_SI_JZNS1_25segmented_radix_sort_implINS0_14default_configELb0EPKsPsPKlPlN2at6native12_GLOBAL__N_18offset_tEEE10hipError_tPvRmT1_PNSt15iterator_traitsIS12_E10value_typeET2_T3_PNS13_IS18_E10value_typeET4_jRbjT5_S1E_jjP12ihipStream_tbEUljE_ZNSN_ISO_Lb0ESQ_SR_ST_SU_SY_EESZ_S10_S11_S12_S16_S17_S18_S1B_S1C_jS1D_jS1E_S1E_jjS1G_bEUljE0_EEESZ_S10_S11_S18_S1C_S1E_T6_T7_T9_mT8_S1G_bDpT10_ENKUlT_T0_E_clISt17integral_constantIbLb1EES1T_IbLb0EEEEDaS1P_S1Q_EUlS1P_E_NS1_11comp_targetILNS1_3genE2ELNS1_11target_archE906ELNS1_3gpuE6ELNS1_3repE0EEENS1_30default_config_static_selectorELNS0_4arch9wavefront6targetE0EEEvS12_: ; @_ZN7rocprim17ROCPRIM_400000_NS6detail17trampoline_kernelINS0_13select_configILj256ELj13ELNS0_17block_load_methodE3ELS4_3ELS4_3ELNS0_20block_scan_algorithmE0ELj4294967295EEENS1_25partition_config_selectorILNS1_17partition_subalgoE4EjNS0_10empty_typeEbEEZZNS1_14partition_implILS8_4ELb0ES6_15HIP_vector_typeIjLj2EENS0_17counting_iteratorIjlEEPS9_SG_NS0_5tupleIJPjSI_NS0_16reverse_iteratorISI_EEEEENSH_IJSG_SG_SG_EEES9_SI_JZNS1_25segmented_radix_sort_implINS0_14default_configELb0EPKsPsPKlPlN2at6native12_GLOBAL__N_18offset_tEEE10hipError_tPvRmT1_PNSt15iterator_traitsIS12_E10value_typeET2_T3_PNS13_IS18_E10value_typeET4_jRbjT5_S1E_jjP12ihipStream_tbEUljE_ZNSN_ISO_Lb0ESQ_SR_ST_SU_SY_EESZ_S10_S11_S12_S16_S17_S18_S1B_S1C_jS1D_jS1E_S1E_jjS1G_bEUljE0_EEESZ_S10_S11_S18_S1C_S1E_T6_T7_T9_mT8_S1G_bDpT10_ENKUlT_T0_E_clISt17integral_constantIbLb1EES1T_IbLb0EEEEDaS1P_S1Q_EUlS1P_E_NS1_11comp_targetILNS1_3genE2ELNS1_11target_archE906ELNS1_3gpuE6ELNS1_3repE0EEENS1_30default_config_static_selectorELNS0_4arch9wavefront6targetE0EEEvS12_
; %bb.0:
	.section	.rodata,"a",@progbits
	.p2align	6, 0x0
	.amdhsa_kernel _ZN7rocprim17ROCPRIM_400000_NS6detail17trampoline_kernelINS0_13select_configILj256ELj13ELNS0_17block_load_methodE3ELS4_3ELS4_3ELNS0_20block_scan_algorithmE0ELj4294967295EEENS1_25partition_config_selectorILNS1_17partition_subalgoE4EjNS0_10empty_typeEbEEZZNS1_14partition_implILS8_4ELb0ES6_15HIP_vector_typeIjLj2EENS0_17counting_iteratorIjlEEPS9_SG_NS0_5tupleIJPjSI_NS0_16reverse_iteratorISI_EEEEENSH_IJSG_SG_SG_EEES9_SI_JZNS1_25segmented_radix_sort_implINS0_14default_configELb0EPKsPsPKlPlN2at6native12_GLOBAL__N_18offset_tEEE10hipError_tPvRmT1_PNSt15iterator_traitsIS12_E10value_typeET2_T3_PNS13_IS18_E10value_typeET4_jRbjT5_S1E_jjP12ihipStream_tbEUljE_ZNSN_ISO_Lb0ESQ_SR_ST_SU_SY_EESZ_S10_S11_S12_S16_S17_S18_S1B_S1C_jS1D_jS1E_S1E_jjS1G_bEUljE0_EEESZ_S10_S11_S18_S1C_S1E_T6_T7_T9_mT8_S1G_bDpT10_ENKUlT_T0_E_clISt17integral_constantIbLb1EES1T_IbLb0EEEEDaS1P_S1Q_EUlS1P_E_NS1_11comp_targetILNS1_3genE2ELNS1_11target_archE906ELNS1_3gpuE6ELNS1_3repE0EEENS1_30default_config_static_selectorELNS0_4arch9wavefront6targetE0EEEvS12_
		.amdhsa_group_segment_fixed_size 0
		.amdhsa_private_segment_fixed_size 0
		.amdhsa_kernarg_size 176
		.amdhsa_user_sgpr_count 15
		.amdhsa_user_sgpr_dispatch_ptr 0
		.amdhsa_user_sgpr_queue_ptr 0
		.amdhsa_user_sgpr_kernarg_segment_ptr 1
		.amdhsa_user_sgpr_dispatch_id 0
		.amdhsa_user_sgpr_private_segment_size 0
		.amdhsa_wavefront_size32 1
		.amdhsa_uses_dynamic_stack 0
		.amdhsa_enable_private_segment 0
		.amdhsa_system_sgpr_workgroup_id_x 1
		.amdhsa_system_sgpr_workgroup_id_y 0
		.amdhsa_system_sgpr_workgroup_id_z 0
		.amdhsa_system_sgpr_workgroup_info 0
		.amdhsa_system_vgpr_workitem_id 0
		.amdhsa_next_free_vgpr 1
		.amdhsa_next_free_sgpr 1
		.amdhsa_reserve_vcc 0
		.amdhsa_float_round_mode_32 0
		.amdhsa_float_round_mode_16_64 0
		.amdhsa_float_denorm_mode_32 3
		.amdhsa_float_denorm_mode_16_64 3
		.amdhsa_dx10_clamp 1
		.amdhsa_ieee_mode 1
		.amdhsa_fp16_overflow 0
		.amdhsa_workgroup_processor_mode 1
		.amdhsa_memory_ordered 1
		.amdhsa_forward_progress 0
		.amdhsa_shared_vgpr_count 0
		.amdhsa_exception_fp_ieee_invalid_op 0
		.amdhsa_exception_fp_denorm_src 0
		.amdhsa_exception_fp_ieee_div_zero 0
		.amdhsa_exception_fp_ieee_overflow 0
		.amdhsa_exception_fp_ieee_underflow 0
		.amdhsa_exception_fp_ieee_inexact 0
		.amdhsa_exception_int_div_zero 0
	.end_amdhsa_kernel
	.section	.text._ZN7rocprim17ROCPRIM_400000_NS6detail17trampoline_kernelINS0_13select_configILj256ELj13ELNS0_17block_load_methodE3ELS4_3ELS4_3ELNS0_20block_scan_algorithmE0ELj4294967295EEENS1_25partition_config_selectorILNS1_17partition_subalgoE4EjNS0_10empty_typeEbEEZZNS1_14partition_implILS8_4ELb0ES6_15HIP_vector_typeIjLj2EENS0_17counting_iteratorIjlEEPS9_SG_NS0_5tupleIJPjSI_NS0_16reverse_iteratorISI_EEEEENSH_IJSG_SG_SG_EEES9_SI_JZNS1_25segmented_radix_sort_implINS0_14default_configELb0EPKsPsPKlPlN2at6native12_GLOBAL__N_18offset_tEEE10hipError_tPvRmT1_PNSt15iterator_traitsIS12_E10value_typeET2_T3_PNS13_IS18_E10value_typeET4_jRbjT5_S1E_jjP12ihipStream_tbEUljE_ZNSN_ISO_Lb0ESQ_SR_ST_SU_SY_EESZ_S10_S11_S12_S16_S17_S18_S1B_S1C_jS1D_jS1E_S1E_jjS1G_bEUljE0_EEESZ_S10_S11_S18_S1C_S1E_T6_T7_T9_mT8_S1G_bDpT10_ENKUlT_T0_E_clISt17integral_constantIbLb1EES1T_IbLb0EEEEDaS1P_S1Q_EUlS1P_E_NS1_11comp_targetILNS1_3genE2ELNS1_11target_archE906ELNS1_3gpuE6ELNS1_3repE0EEENS1_30default_config_static_selectorELNS0_4arch9wavefront6targetE0EEEvS12_,"axG",@progbits,_ZN7rocprim17ROCPRIM_400000_NS6detail17trampoline_kernelINS0_13select_configILj256ELj13ELNS0_17block_load_methodE3ELS4_3ELS4_3ELNS0_20block_scan_algorithmE0ELj4294967295EEENS1_25partition_config_selectorILNS1_17partition_subalgoE4EjNS0_10empty_typeEbEEZZNS1_14partition_implILS8_4ELb0ES6_15HIP_vector_typeIjLj2EENS0_17counting_iteratorIjlEEPS9_SG_NS0_5tupleIJPjSI_NS0_16reverse_iteratorISI_EEEEENSH_IJSG_SG_SG_EEES9_SI_JZNS1_25segmented_radix_sort_implINS0_14default_configELb0EPKsPsPKlPlN2at6native12_GLOBAL__N_18offset_tEEE10hipError_tPvRmT1_PNSt15iterator_traitsIS12_E10value_typeET2_T3_PNS13_IS18_E10value_typeET4_jRbjT5_S1E_jjP12ihipStream_tbEUljE_ZNSN_ISO_Lb0ESQ_SR_ST_SU_SY_EESZ_S10_S11_S12_S16_S17_S18_S1B_S1C_jS1D_jS1E_S1E_jjS1G_bEUljE0_EEESZ_S10_S11_S18_S1C_S1E_T6_T7_T9_mT8_S1G_bDpT10_ENKUlT_T0_E_clISt17integral_constantIbLb1EES1T_IbLb0EEEEDaS1P_S1Q_EUlS1P_E_NS1_11comp_targetILNS1_3genE2ELNS1_11target_archE906ELNS1_3gpuE6ELNS1_3repE0EEENS1_30default_config_static_selectorELNS0_4arch9wavefront6targetE0EEEvS12_,comdat
.Lfunc_end970:
	.size	_ZN7rocprim17ROCPRIM_400000_NS6detail17trampoline_kernelINS0_13select_configILj256ELj13ELNS0_17block_load_methodE3ELS4_3ELS4_3ELNS0_20block_scan_algorithmE0ELj4294967295EEENS1_25partition_config_selectorILNS1_17partition_subalgoE4EjNS0_10empty_typeEbEEZZNS1_14partition_implILS8_4ELb0ES6_15HIP_vector_typeIjLj2EENS0_17counting_iteratorIjlEEPS9_SG_NS0_5tupleIJPjSI_NS0_16reverse_iteratorISI_EEEEENSH_IJSG_SG_SG_EEES9_SI_JZNS1_25segmented_radix_sort_implINS0_14default_configELb0EPKsPsPKlPlN2at6native12_GLOBAL__N_18offset_tEEE10hipError_tPvRmT1_PNSt15iterator_traitsIS12_E10value_typeET2_T3_PNS13_IS18_E10value_typeET4_jRbjT5_S1E_jjP12ihipStream_tbEUljE_ZNSN_ISO_Lb0ESQ_SR_ST_SU_SY_EESZ_S10_S11_S12_S16_S17_S18_S1B_S1C_jS1D_jS1E_S1E_jjS1G_bEUljE0_EEESZ_S10_S11_S18_S1C_S1E_T6_T7_T9_mT8_S1G_bDpT10_ENKUlT_T0_E_clISt17integral_constantIbLb1EES1T_IbLb0EEEEDaS1P_S1Q_EUlS1P_E_NS1_11comp_targetILNS1_3genE2ELNS1_11target_archE906ELNS1_3gpuE6ELNS1_3repE0EEENS1_30default_config_static_selectorELNS0_4arch9wavefront6targetE0EEEvS12_, .Lfunc_end970-_ZN7rocprim17ROCPRIM_400000_NS6detail17trampoline_kernelINS0_13select_configILj256ELj13ELNS0_17block_load_methodE3ELS4_3ELS4_3ELNS0_20block_scan_algorithmE0ELj4294967295EEENS1_25partition_config_selectorILNS1_17partition_subalgoE4EjNS0_10empty_typeEbEEZZNS1_14partition_implILS8_4ELb0ES6_15HIP_vector_typeIjLj2EENS0_17counting_iteratorIjlEEPS9_SG_NS0_5tupleIJPjSI_NS0_16reverse_iteratorISI_EEEEENSH_IJSG_SG_SG_EEES9_SI_JZNS1_25segmented_radix_sort_implINS0_14default_configELb0EPKsPsPKlPlN2at6native12_GLOBAL__N_18offset_tEEE10hipError_tPvRmT1_PNSt15iterator_traitsIS12_E10value_typeET2_T3_PNS13_IS18_E10value_typeET4_jRbjT5_S1E_jjP12ihipStream_tbEUljE_ZNSN_ISO_Lb0ESQ_SR_ST_SU_SY_EESZ_S10_S11_S12_S16_S17_S18_S1B_S1C_jS1D_jS1E_S1E_jjS1G_bEUljE0_EEESZ_S10_S11_S18_S1C_S1E_T6_T7_T9_mT8_S1G_bDpT10_ENKUlT_T0_E_clISt17integral_constantIbLb1EES1T_IbLb0EEEEDaS1P_S1Q_EUlS1P_E_NS1_11comp_targetILNS1_3genE2ELNS1_11target_archE906ELNS1_3gpuE6ELNS1_3repE0EEENS1_30default_config_static_selectorELNS0_4arch9wavefront6targetE0EEEvS12_
                                        ; -- End function
	.section	.AMDGPU.csdata,"",@progbits
; Kernel info:
; codeLenInByte = 0
; NumSgprs: 0
; NumVgprs: 0
; ScratchSize: 0
; MemoryBound: 0
; FloatMode: 240
; IeeeMode: 1
; LDSByteSize: 0 bytes/workgroup (compile time only)
; SGPRBlocks: 0
; VGPRBlocks: 0
; NumSGPRsForWavesPerEU: 1
; NumVGPRsForWavesPerEU: 1
; Occupancy: 16
; WaveLimiterHint : 0
; COMPUTE_PGM_RSRC2:SCRATCH_EN: 0
; COMPUTE_PGM_RSRC2:USER_SGPR: 15
; COMPUTE_PGM_RSRC2:TRAP_HANDLER: 0
; COMPUTE_PGM_RSRC2:TGID_X_EN: 1
; COMPUTE_PGM_RSRC2:TGID_Y_EN: 0
; COMPUTE_PGM_RSRC2:TGID_Z_EN: 0
; COMPUTE_PGM_RSRC2:TIDIG_COMP_CNT: 0
	.section	.text._ZN7rocprim17ROCPRIM_400000_NS6detail17trampoline_kernelINS0_13select_configILj256ELj13ELNS0_17block_load_methodE3ELS4_3ELS4_3ELNS0_20block_scan_algorithmE0ELj4294967295EEENS1_25partition_config_selectorILNS1_17partition_subalgoE4EjNS0_10empty_typeEbEEZZNS1_14partition_implILS8_4ELb0ES6_15HIP_vector_typeIjLj2EENS0_17counting_iteratorIjlEEPS9_SG_NS0_5tupleIJPjSI_NS0_16reverse_iteratorISI_EEEEENSH_IJSG_SG_SG_EEES9_SI_JZNS1_25segmented_radix_sort_implINS0_14default_configELb0EPKsPsPKlPlN2at6native12_GLOBAL__N_18offset_tEEE10hipError_tPvRmT1_PNSt15iterator_traitsIS12_E10value_typeET2_T3_PNS13_IS18_E10value_typeET4_jRbjT5_S1E_jjP12ihipStream_tbEUljE_ZNSN_ISO_Lb0ESQ_SR_ST_SU_SY_EESZ_S10_S11_S12_S16_S17_S18_S1B_S1C_jS1D_jS1E_S1E_jjS1G_bEUljE0_EEESZ_S10_S11_S18_S1C_S1E_T6_T7_T9_mT8_S1G_bDpT10_ENKUlT_T0_E_clISt17integral_constantIbLb1EES1T_IbLb0EEEEDaS1P_S1Q_EUlS1P_E_NS1_11comp_targetILNS1_3genE10ELNS1_11target_archE1200ELNS1_3gpuE4ELNS1_3repE0EEENS1_30default_config_static_selectorELNS0_4arch9wavefront6targetE0EEEvS12_,"axG",@progbits,_ZN7rocprim17ROCPRIM_400000_NS6detail17trampoline_kernelINS0_13select_configILj256ELj13ELNS0_17block_load_methodE3ELS4_3ELS4_3ELNS0_20block_scan_algorithmE0ELj4294967295EEENS1_25partition_config_selectorILNS1_17partition_subalgoE4EjNS0_10empty_typeEbEEZZNS1_14partition_implILS8_4ELb0ES6_15HIP_vector_typeIjLj2EENS0_17counting_iteratorIjlEEPS9_SG_NS0_5tupleIJPjSI_NS0_16reverse_iteratorISI_EEEEENSH_IJSG_SG_SG_EEES9_SI_JZNS1_25segmented_radix_sort_implINS0_14default_configELb0EPKsPsPKlPlN2at6native12_GLOBAL__N_18offset_tEEE10hipError_tPvRmT1_PNSt15iterator_traitsIS12_E10value_typeET2_T3_PNS13_IS18_E10value_typeET4_jRbjT5_S1E_jjP12ihipStream_tbEUljE_ZNSN_ISO_Lb0ESQ_SR_ST_SU_SY_EESZ_S10_S11_S12_S16_S17_S18_S1B_S1C_jS1D_jS1E_S1E_jjS1G_bEUljE0_EEESZ_S10_S11_S18_S1C_S1E_T6_T7_T9_mT8_S1G_bDpT10_ENKUlT_T0_E_clISt17integral_constantIbLb1EES1T_IbLb0EEEEDaS1P_S1Q_EUlS1P_E_NS1_11comp_targetILNS1_3genE10ELNS1_11target_archE1200ELNS1_3gpuE4ELNS1_3repE0EEENS1_30default_config_static_selectorELNS0_4arch9wavefront6targetE0EEEvS12_,comdat
	.globl	_ZN7rocprim17ROCPRIM_400000_NS6detail17trampoline_kernelINS0_13select_configILj256ELj13ELNS0_17block_load_methodE3ELS4_3ELS4_3ELNS0_20block_scan_algorithmE0ELj4294967295EEENS1_25partition_config_selectorILNS1_17partition_subalgoE4EjNS0_10empty_typeEbEEZZNS1_14partition_implILS8_4ELb0ES6_15HIP_vector_typeIjLj2EENS0_17counting_iteratorIjlEEPS9_SG_NS0_5tupleIJPjSI_NS0_16reverse_iteratorISI_EEEEENSH_IJSG_SG_SG_EEES9_SI_JZNS1_25segmented_radix_sort_implINS0_14default_configELb0EPKsPsPKlPlN2at6native12_GLOBAL__N_18offset_tEEE10hipError_tPvRmT1_PNSt15iterator_traitsIS12_E10value_typeET2_T3_PNS13_IS18_E10value_typeET4_jRbjT5_S1E_jjP12ihipStream_tbEUljE_ZNSN_ISO_Lb0ESQ_SR_ST_SU_SY_EESZ_S10_S11_S12_S16_S17_S18_S1B_S1C_jS1D_jS1E_S1E_jjS1G_bEUljE0_EEESZ_S10_S11_S18_S1C_S1E_T6_T7_T9_mT8_S1G_bDpT10_ENKUlT_T0_E_clISt17integral_constantIbLb1EES1T_IbLb0EEEEDaS1P_S1Q_EUlS1P_E_NS1_11comp_targetILNS1_3genE10ELNS1_11target_archE1200ELNS1_3gpuE4ELNS1_3repE0EEENS1_30default_config_static_selectorELNS0_4arch9wavefront6targetE0EEEvS12_ ; -- Begin function _ZN7rocprim17ROCPRIM_400000_NS6detail17trampoline_kernelINS0_13select_configILj256ELj13ELNS0_17block_load_methodE3ELS4_3ELS4_3ELNS0_20block_scan_algorithmE0ELj4294967295EEENS1_25partition_config_selectorILNS1_17partition_subalgoE4EjNS0_10empty_typeEbEEZZNS1_14partition_implILS8_4ELb0ES6_15HIP_vector_typeIjLj2EENS0_17counting_iteratorIjlEEPS9_SG_NS0_5tupleIJPjSI_NS0_16reverse_iteratorISI_EEEEENSH_IJSG_SG_SG_EEES9_SI_JZNS1_25segmented_radix_sort_implINS0_14default_configELb0EPKsPsPKlPlN2at6native12_GLOBAL__N_18offset_tEEE10hipError_tPvRmT1_PNSt15iterator_traitsIS12_E10value_typeET2_T3_PNS13_IS18_E10value_typeET4_jRbjT5_S1E_jjP12ihipStream_tbEUljE_ZNSN_ISO_Lb0ESQ_SR_ST_SU_SY_EESZ_S10_S11_S12_S16_S17_S18_S1B_S1C_jS1D_jS1E_S1E_jjS1G_bEUljE0_EEESZ_S10_S11_S18_S1C_S1E_T6_T7_T9_mT8_S1G_bDpT10_ENKUlT_T0_E_clISt17integral_constantIbLb1EES1T_IbLb0EEEEDaS1P_S1Q_EUlS1P_E_NS1_11comp_targetILNS1_3genE10ELNS1_11target_archE1200ELNS1_3gpuE4ELNS1_3repE0EEENS1_30default_config_static_selectorELNS0_4arch9wavefront6targetE0EEEvS12_
	.p2align	8
	.type	_ZN7rocprim17ROCPRIM_400000_NS6detail17trampoline_kernelINS0_13select_configILj256ELj13ELNS0_17block_load_methodE3ELS4_3ELS4_3ELNS0_20block_scan_algorithmE0ELj4294967295EEENS1_25partition_config_selectorILNS1_17partition_subalgoE4EjNS0_10empty_typeEbEEZZNS1_14partition_implILS8_4ELb0ES6_15HIP_vector_typeIjLj2EENS0_17counting_iteratorIjlEEPS9_SG_NS0_5tupleIJPjSI_NS0_16reverse_iteratorISI_EEEEENSH_IJSG_SG_SG_EEES9_SI_JZNS1_25segmented_radix_sort_implINS0_14default_configELb0EPKsPsPKlPlN2at6native12_GLOBAL__N_18offset_tEEE10hipError_tPvRmT1_PNSt15iterator_traitsIS12_E10value_typeET2_T3_PNS13_IS18_E10value_typeET4_jRbjT5_S1E_jjP12ihipStream_tbEUljE_ZNSN_ISO_Lb0ESQ_SR_ST_SU_SY_EESZ_S10_S11_S12_S16_S17_S18_S1B_S1C_jS1D_jS1E_S1E_jjS1G_bEUljE0_EEESZ_S10_S11_S18_S1C_S1E_T6_T7_T9_mT8_S1G_bDpT10_ENKUlT_T0_E_clISt17integral_constantIbLb1EES1T_IbLb0EEEEDaS1P_S1Q_EUlS1P_E_NS1_11comp_targetILNS1_3genE10ELNS1_11target_archE1200ELNS1_3gpuE4ELNS1_3repE0EEENS1_30default_config_static_selectorELNS0_4arch9wavefront6targetE0EEEvS12_,@function
_ZN7rocprim17ROCPRIM_400000_NS6detail17trampoline_kernelINS0_13select_configILj256ELj13ELNS0_17block_load_methodE3ELS4_3ELS4_3ELNS0_20block_scan_algorithmE0ELj4294967295EEENS1_25partition_config_selectorILNS1_17partition_subalgoE4EjNS0_10empty_typeEbEEZZNS1_14partition_implILS8_4ELb0ES6_15HIP_vector_typeIjLj2EENS0_17counting_iteratorIjlEEPS9_SG_NS0_5tupleIJPjSI_NS0_16reverse_iteratorISI_EEEEENSH_IJSG_SG_SG_EEES9_SI_JZNS1_25segmented_radix_sort_implINS0_14default_configELb0EPKsPsPKlPlN2at6native12_GLOBAL__N_18offset_tEEE10hipError_tPvRmT1_PNSt15iterator_traitsIS12_E10value_typeET2_T3_PNS13_IS18_E10value_typeET4_jRbjT5_S1E_jjP12ihipStream_tbEUljE_ZNSN_ISO_Lb0ESQ_SR_ST_SU_SY_EESZ_S10_S11_S12_S16_S17_S18_S1B_S1C_jS1D_jS1E_S1E_jjS1G_bEUljE0_EEESZ_S10_S11_S18_S1C_S1E_T6_T7_T9_mT8_S1G_bDpT10_ENKUlT_T0_E_clISt17integral_constantIbLb1EES1T_IbLb0EEEEDaS1P_S1Q_EUlS1P_E_NS1_11comp_targetILNS1_3genE10ELNS1_11target_archE1200ELNS1_3gpuE4ELNS1_3repE0EEENS1_30default_config_static_selectorELNS0_4arch9wavefront6targetE0EEEvS12_: ; @_ZN7rocprim17ROCPRIM_400000_NS6detail17trampoline_kernelINS0_13select_configILj256ELj13ELNS0_17block_load_methodE3ELS4_3ELS4_3ELNS0_20block_scan_algorithmE0ELj4294967295EEENS1_25partition_config_selectorILNS1_17partition_subalgoE4EjNS0_10empty_typeEbEEZZNS1_14partition_implILS8_4ELb0ES6_15HIP_vector_typeIjLj2EENS0_17counting_iteratorIjlEEPS9_SG_NS0_5tupleIJPjSI_NS0_16reverse_iteratorISI_EEEEENSH_IJSG_SG_SG_EEES9_SI_JZNS1_25segmented_radix_sort_implINS0_14default_configELb0EPKsPsPKlPlN2at6native12_GLOBAL__N_18offset_tEEE10hipError_tPvRmT1_PNSt15iterator_traitsIS12_E10value_typeET2_T3_PNS13_IS18_E10value_typeET4_jRbjT5_S1E_jjP12ihipStream_tbEUljE_ZNSN_ISO_Lb0ESQ_SR_ST_SU_SY_EESZ_S10_S11_S12_S16_S17_S18_S1B_S1C_jS1D_jS1E_S1E_jjS1G_bEUljE0_EEESZ_S10_S11_S18_S1C_S1E_T6_T7_T9_mT8_S1G_bDpT10_ENKUlT_T0_E_clISt17integral_constantIbLb1EES1T_IbLb0EEEEDaS1P_S1Q_EUlS1P_E_NS1_11comp_targetILNS1_3genE10ELNS1_11target_archE1200ELNS1_3gpuE4ELNS1_3repE0EEENS1_30default_config_static_selectorELNS0_4arch9wavefront6targetE0EEEvS12_
; %bb.0:
	.section	.rodata,"a",@progbits
	.p2align	6, 0x0
	.amdhsa_kernel _ZN7rocprim17ROCPRIM_400000_NS6detail17trampoline_kernelINS0_13select_configILj256ELj13ELNS0_17block_load_methodE3ELS4_3ELS4_3ELNS0_20block_scan_algorithmE0ELj4294967295EEENS1_25partition_config_selectorILNS1_17partition_subalgoE4EjNS0_10empty_typeEbEEZZNS1_14partition_implILS8_4ELb0ES6_15HIP_vector_typeIjLj2EENS0_17counting_iteratorIjlEEPS9_SG_NS0_5tupleIJPjSI_NS0_16reverse_iteratorISI_EEEEENSH_IJSG_SG_SG_EEES9_SI_JZNS1_25segmented_radix_sort_implINS0_14default_configELb0EPKsPsPKlPlN2at6native12_GLOBAL__N_18offset_tEEE10hipError_tPvRmT1_PNSt15iterator_traitsIS12_E10value_typeET2_T3_PNS13_IS18_E10value_typeET4_jRbjT5_S1E_jjP12ihipStream_tbEUljE_ZNSN_ISO_Lb0ESQ_SR_ST_SU_SY_EESZ_S10_S11_S12_S16_S17_S18_S1B_S1C_jS1D_jS1E_S1E_jjS1G_bEUljE0_EEESZ_S10_S11_S18_S1C_S1E_T6_T7_T9_mT8_S1G_bDpT10_ENKUlT_T0_E_clISt17integral_constantIbLb1EES1T_IbLb0EEEEDaS1P_S1Q_EUlS1P_E_NS1_11comp_targetILNS1_3genE10ELNS1_11target_archE1200ELNS1_3gpuE4ELNS1_3repE0EEENS1_30default_config_static_selectorELNS0_4arch9wavefront6targetE0EEEvS12_
		.amdhsa_group_segment_fixed_size 0
		.amdhsa_private_segment_fixed_size 0
		.amdhsa_kernarg_size 176
		.amdhsa_user_sgpr_count 15
		.amdhsa_user_sgpr_dispatch_ptr 0
		.amdhsa_user_sgpr_queue_ptr 0
		.amdhsa_user_sgpr_kernarg_segment_ptr 1
		.amdhsa_user_sgpr_dispatch_id 0
		.amdhsa_user_sgpr_private_segment_size 0
		.amdhsa_wavefront_size32 1
		.amdhsa_uses_dynamic_stack 0
		.amdhsa_enable_private_segment 0
		.amdhsa_system_sgpr_workgroup_id_x 1
		.amdhsa_system_sgpr_workgroup_id_y 0
		.amdhsa_system_sgpr_workgroup_id_z 0
		.amdhsa_system_sgpr_workgroup_info 0
		.amdhsa_system_vgpr_workitem_id 0
		.amdhsa_next_free_vgpr 1
		.amdhsa_next_free_sgpr 1
		.amdhsa_reserve_vcc 0
		.amdhsa_float_round_mode_32 0
		.amdhsa_float_round_mode_16_64 0
		.amdhsa_float_denorm_mode_32 3
		.amdhsa_float_denorm_mode_16_64 3
		.amdhsa_dx10_clamp 1
		.amdhsa_ieee_mode 1
		.amdhsa_fp16_overflow 0
		.amdhsa_workgroup_processor_mode 1
		.amdhsa_memory_ordered 1
		.amdhsa_forward_progress 0
		.amdhsa_shared_vgpr_count 0
		.amdhsa_exception_fp_ieee_invalid_op 0
		.amdhsa_exception_fp_denorm_src 0
		.amdhsa_exception_fp_ieee_div_zero 0
		.amdhsa_exception_fp_ieee_overflow 0
		.amdhsa_exception_fp_ieee_underflow 0
		.amdhsa_exception_fp_ieee_inexact 0
		.amdhsa_exception_int_div_zero 0
	.end_amdhsa_kernel
	.section	.text._ZN7rocprim17ROCPRIM_400000_NS6detail17trampoline_kernelINS0_13select_configILj256ELj13ELNS0_17block_load_methodE3ELS4_3ELS4_3ELNS0_20block_scan_algorithmE0ELj4294967295EEENS1_25partition_config_selectorILNS1_17partition_subalgoE4EjNS0_10empty_typeEbEEZZNS1_14partition_implILS8_4ELb0ES6_15HIP_vector_typeIjLj2EENS0_17counting_iteratorIjlEEPS9_SG_NS0_5tupleIJPjSI_NS0_16reverse_iteratorISI_EEEEENSH_IJSG_SG_SG_EEES9_SI_JZNS1_25segmented_radix_sort_implINS0_14default_configELb0EPKsPsPKlPlN2at6native12_GLOBAL__N_18offset_tEEE10hipError_tPvRmT1_PNSt15iterator_traitsIS12_E10value_typeET2_T3_PNS13_IS18_E10value_typeET4_jRbjT5_S1E_jjP12ihipStream_tbEUljE_ZNSN_ISO_Lb0ESQ_SR_ST_SU_SY_EESZ_S10_S11_S12_S16_S17_S18_S1B_S1C_jS1D_jS1E_S1E_jjS1G_bEUljE0_EEESZ_S10_S11_S18_S1C_S1E_T6_T7_T9_mT8_S1G_bDpT10_ENKUlT_T0_E_clISt17integral_constantIbLb1EES1T_IbLb0EEEEDaS1P_S1Q_EUlS1P_E_NS1_11comp_targetILNS1_3genE10ELNS1_11target_archE1200ELNS1_3gpuE4ELNS1_3repE0EEENS1_30default_config_static_selectorELNS0_4arch9wavefront6targetE0EEEvS12_,"axG",@progbits,_ZN7rocprim17ROCPRIM_400000_NS6detail17trampoline_kernelINS0_13select_configILj256ELj13ELNS0_17block_load_methodE3ELS4_3ELS4_3ELNS0_20block_scan_algorithmE0ELj4294967295EEENS1_25partition_config_selectorILNS1_17partition_subalgoE4EjNS0_10empty_typeEbEEZZNS1_14partition_implILS8_4ELb0ES6_15HIP_vector_typeIjLj2EENS0_17counting_iteratorIjlEEPS9_SG_NS0_5tupleIJPjSI_NS0_16reverse_iteratorISI_EEEEENSH_IJSG_SG_SG_EEES9_SI_JZNS1_25segmented_radix_sort_implINS0_14default_configELb0EPKsPsPKlPlN2at6native12_GLOBAL__N_18offset_tEEE10hipError_tPvRmT1_PNSt15iterator_traitsIS12_E10value_typeET2_T3_PNS13_IS18_E10value_typeET4_jRbjT5_S1E_jjP12ihipStream_tbEUljE_ZNSN_ISO_Lb0ESQ_SR_ST_SU_SY_EESZ_S10_S11_S12_S16_S17_S18_S1B_S1C_jS1D_jS1E_S1E_jjS1G_bEUljE0_EEESZ_S10_S11_S18_S1C_S1E_T6_T7_T9_mT8_S1G_bDpT10_ENKUlT_T0_E_clISt17integral_constantIbLb1EES1T_IbLb0EEEEDaS1P_S1Q_EUlS1P_E_NS1_11comp_targetILNS1_3genE10ELNS1_11target_archE1200ELNS1_3gpuE4ELNS1_3repE0EEENS1_30default_config_static_selectorELNS0_4arch9wavefront6targetE0EEEvS12_,comdat
.Lfunc_end971:
	.size	_ZN7rocprim17ROCPRIM_400000_NS6detail17trampoline_kernelINS0_13select_configILj256ELj13ELNS0_17block_load_methodE3ELS4_3ELS4_3ELNS0_20block_scan_algorithmE0ELj4294967295EEENS1_25partition_config_selectorILNS1_17partition_subalgoE4EjNS0_10empty_typeEbEEZZNS1_14partition_implILS8_4ELb0ES6_15HIP_vector_typeIjLj2EENS0_17counting_iteratorIjlEEPS9_SG_NS0_5tupleIJPjSI_NS0_16reverse_iteratorISI_EEEEENSH_IJSG_SG_SG_EEES9_SI_JZNS1_25segmented_radix_sort_implINS0_14default_configELb0EPKsPsPKlPlN2at6native12_GLOBAL__N_18offset_tEEE10hipError_tPvRmT1_PNSt15iterator_traitsIS12_E10value_typeET2_T3_PNS13_IS18_E10value_typeET4_jRbjT5_S1E_jjP12ihipStream_tbEUljE_ZNSN_ISO_Lb0ESQ_SR_ST_SU_SY_EESZ_S10_S11_S12_S16_S17_S18_S1B_S1C_jS1D_jS1E_S1E_jjS1G_bEUljE0_EEESZ_S10_S11_S18_S1C_S1E_T6_T7_T9_mT8_S1G_bDpT10_ENKUlT_T0_E_clISt17integral_constantIbLb1EES1T_IbLb0EEEEDaS1P_S1Q_EUlS1P_E_NS1_11comp_targetILNS1_3genE10ELNS1_11target_archE1200ELNS1_3gpuE4ELNS1_3repE0EEENS1_30default_config_static_selectorELNS0_4arch9wavefront6targetE0EEEvS12_, .Lfunc_end971-_ZN7rocprim17ROCPRIM_400000_NS6detail17trampoline_kernelINS0_13select_configILj256ELj13ELNS0_17block_load_methodE3ELS4_3ELS4_3ELNS0_20block_scan_algorithmE0ELj4294967295EEENS1_25partition_config_selectorILNS1_17partition_subalgoE4EjNS0_10empty_typeEbEEZZNS1_14partition_implILS8_4ELb0ES6_15HIP_vector_typeIjLj2EENS0_17counting_iteratorIjlEEPS9_SG_NS0_5tupleIJPjSI_NS0_16reverse_iteratorISI_EEEEENSH_IJSG_SG_SG_EEES9_SI_JZNS1_25segmented_radix_sort_implINS0_14default_configELb0EPKsPsPKlPlN2at6native12_GLOBAL__N_18offset_tEEE10hipError_tPvRmT1_PNSt15iterator_traitsIS12_E10value_typeET2_T3_PNS13_IS18_E10value_typeET4_jRbjT5_S1E_jjP12ihipStream_tbEUljE_ZNSN_ISO_Lb0ESQ_SR_ST_SU_SY_EESZ_S10_S11_S12_S16_S17_S18_S1B_S1C_jS1D_jS1E_S1E_jjS1G_bEUljE0_EEESZ_S10_S11_S18_S1C_S1E_T6_T7_T9_mT8_S1G_bDpT10_ENKUlT_T0_E_clISt17integral_constantIbLb1EES1T_IbLb0EEEEDaS1P_S1Q_EUlS1P_E_NS1_11comp_targetILNS1_3genE10ELNS1_11target_archE1200ELNS1_3gpuE4ELNS1_3repE0EEENS1_30default_config_static_selectorELNS0_4arch9wavefront6targetE0EEEvS12_
                                        ; -- End function
	.section	.AMDGPU.csdata,"",@progbits
; Kernel info:
; codeLenInByte = 0
; NumSgprs: 0
; NumVgprs: 0
; ScratchSize: 0
; MemoryBound: 0
; FloatMode: 240
; IeeeMode: 1
; LDSByteSize: 0 bytes/workgroup (compile time only)
; SGPRBlocks: 0
; VGPRBlocks: 0
; NumSGPRsForWavesPerEU: 1
; NumVGPRsForWavesPerEU: 1
; Occupancy: 16
; WaveLimiterHint : 0
; COMPUTE_PGM_RSRC2:SCRATCH_EN: 0
; COMPUTE_PGM_RSRC2:USER_SGPR: 15
; COMPUTE_PGM_RSRC2:TRAP_HANDLER: 0
; COMPUTE_PGM_RSRC2:TGID_X_EN: 1
; COMPUTE_PGM_RSRC2:TGID_Y_EN: 0
; COMPUTE_PGM_RSRC2:TGID_Z_EN: 0
; COMPUTE_PGM_RSRC2:TIDIG_COMP_CNT: 0
	.section	.text._ZN7rocprim17ROCPRIM_400000_NS6detail17trampoline_kernelINS0_13select_configILj256ELj13ELNS0_17block_load_methodE3ELS4_3ELS4_3ELNS0_20block_scan_algorithmE0ELj4294967295EEENS1_25partition_config_selectorILNS1_17partition_subalgoE4EjNS0_10empty_typeEbEEZZNS1_14partition_implILS8_4ELb0ES6_15HIP_vector_typeIjLj2EENS0_17counting_iteratorIjlEEPS9_SG_NS0_5tupleIJPjSI_NS0_16reverse_iteratorISI_EEEEENSH_IJSG_SG_SG_EEES9_SI_JZNS1_25segmented_radix_sort_implINS0_14default_configELb0EPKsPsPKlPlN2at6native12_GLOBAL__N_18offset_tEEE10hipError_tPvRmT1_PNSt15iterator_traitsIS12_E10value_typeET2_T3_PNS13_IS18_E10value_typeET4_jRbjT5_S1E_jjP12ihipStream_tbEUljE_ZNSN_ISO_Lb0ESQ_SR_ST_SU_SY_EESZ_S10_S11_S12_S16_S17_S18_S1B_S1C_jS1D_jS1E_S1E_jjS1G_bEUljE0_EEESZ_S10_S11_S18_S1C_S1E_T6_T7_T9_mT8_S1G_bDpT10_ENKUlT_T0_E_clISt17integral_constantIbLb1EES1T_IbLb0EEEEDaS1P_S1Q_EUlS1P_E_NS1_11comp_targetILNS1_3genE9ELNS1_11target_archE1100ELNS1_3gpuE3ELNS1_3repE0EEENS1_30default_config_static_selectorELNS0_4arch9wavefront6targetE0EEEvS12_,"axG",@progbits,_ZN7rocprim17ROCPRIM_400000_NS6detail17trampoline_kernelINS0_13select_configILj256ELj13ELNS0_17block_load_methodE3ELS4_3ELS4_3ELNS0_20block_scan_algorithmE0ELj4294967295EEENS1_25partition_config_selectorILNS1_17partition_subalgoE4EjNS0_10empty_typeEbEEZZNS1_14partition_implILS8_4ELb0ES6_15HIP_vector_typeIjLj2EENS0_17counting_iteratorIjlEEPS9_SG_NS0_5tupleIJPjSI_NS0_16reverse_iteratorISI_EEEEENSH_IJSG_SG_SG_EEES9_SI_JZNS1_25segmented_radix_sort_implINS0_14default_configELb0EPKsPsPKlPlN2at6native12_GLOBAL__N_18offset_tEEE10hipError_tPvRmT1_PNSt15iterator_traitsIS12_E10value_typeET2_T3_PNS13_IS18_E10value_typeET4_jRbjT5_S1E_jjP12ihipStream_tbEUljE_ZNSN_ISO_Lb0ESQ_SR_ST_SU_SY_EESZ_S10_S11_S12_S16_S17_S18_S1B_S1C_jS1D_jS1E_S1E_jjS1G_bEUljE0_EEESZ_S10_S11_S18_S1C_S1E_T6_T7_T9_mT8_S1G_bDpT10_ENKUlT_T0_E_clISt17integral_constantIbLb1EES1T_IbLb0EEEEDaS1P_S1Q_EUlS1P_E_NS1_11comp_targetILNS1_3genE9ELNS1_11target_archE1100ELNS1_3gpuE3ELNS1_3repE0EEENS1_30default_config_static_selectorELNS0_4arch9wavefront6targetE0EEEvS12_,comdat
	.globl	_ZN7rocprim17ROCPRIM_400000_NS6detail17trampoline_kernelINS0_13select_configILj256ELj13ELNS0_17block_load_methodE3ELS4_3ELS4_3ELNS0_20block_scan_algorithmE0ELj4294967295EEENS1_25partition_config_selectorILNS1_17partition_subalgoE4EjNS0_10empty_typeEbEEZZNS1_14partition_implILS8_4ELb0ES6_15HIP_vector_typeIjLj2EENS0_17counting_iteratorIjlEEPS9_SG_NS0_5tupleIJPjSI_NS0_16reverse_iteratorISI_EEEEENSH_IJSG_SG_SG_EEES9_SI_JZNS1_25segmented_radix_sort_implINS0_14default_configELb0EPKsPsPKlPlN2at6native12_GLOBAL__N_18offset_tEEE10hipError_tPvRmT1_PNSt15iterator_traitsIS12_E10value_typeET2_T3_PNS13_IS18_E10value_typeET4_jRbjT5_S1E_jjP12ihipStream_tbEUljE_ZNSN_ISO_Lb0ESQ_SR_ST_SU_SY_EESZ_S10_S11_S12_S16_S17_S18_S1B_S1C_jS1D_jS1E_S1E_jjS1G_bEUljE0_EEESZ_S10_S11_S18_S1C_S1E_T6_T7_T9_mT8_S1G_bDpT10_ENKUlT_T0_E_clISt17integral_constantIbLb1EES1T_IbLb0EEEEDaS1P_S1Q_EUlS1P_E_NS1_11comp_targetILNS1_3genE9ELNS1_11target_archE1100ELNS1_3gpuE3ELNS1_3repE0EEENS1_30default_config_static_selectorELNS0_4arch9wavefront6targetE0EEEvS12_ ; -- Begin function _ZN7rocprim17ROCPRIM_400000_NS6detail17trampoline_kernelINS0_13select_configILj256ELj13ELNS0_17block_load_methodE3ELS4_3ELS4_3ELNS0_20block_scan_algorithmE0ELj4294967295EEENS1_25partition_config_selectorILNS1_17partition_subalgoE4EjNS0_10empty_typeEbEEZZNS1_14partition_implILS8_4ELb0ES6_15HIP_vector_typeIjLj2EENS0_17counting_iteratorIjlEEPS9_SG_NS0_5tupleIJPjSI_NS0_16reverse_iteratorISI_EEEEENSH_IJSG_SG_SG_EEES9_SI_JZNS1_25segmented_radix_sort_implINS0_14default_configELb0EPKsPsPKlPlN2at6native12_GLOBAL__N_18offset_tEEE10hipError_tPvRmT1_PNSt15iterator_traitsIS12_E10value_typeET2_T3_PNS13_IS18_E10value_typeET4_jRbjT5_S1E_jjP12ihipStream_tbEUljE_ZNSN_ISO_Lb0ESQ_SR_ST_SU_SY_EESZ_S10_S11_S12_S16_S17_S18_S1B_S1C_jS1D_jS1E_S1E_jjS1G_bEUljE0_EEESZ_S10_S11_S18_S1C_S1E_T6_T7_T9_mT8_S1G_bDpT10_ENKUlT_T0_E_clISt17integral_constantIbLb1EES1T_IbLb0EEEEDaS1P_S1Q_EUlS1P_E_NS1_11comp_targetILNS1_3genE9ELNS1_11target_archE1100ELNS1_3gpuE3ELNS1_3repE0EEENS1_30default_config_static_selectorELNS0_4arch9wavefront6targetE0EEEvS12_
	.p2align	8
	.type	_ZN7rocprim17ROCPRIM_400000_NS6detail17trampoline_kernelINS0_13select_configILj256ELj13ELNS0_17block_load_methodE3ELS4_3ELS4_3ELNS0_20block_scan_algorithmE0ELj4294967295EEENS1_25partition_config_selectorILNS1_17partition_subalgoE4EjNS0_10empty_typeEbEEZZNS1_14partition_implILS8_4ELb0ES6_15HIP_vector_typeIjLj2EENS0_17counting_iteratorIjlEEPS9_SG_NS0_5tupleIJPjSI_NS0_16reverse_iteratorISI_EEEEENSH_IJSG_SG_SG_EEES9_SI_JZNS1_25segmented_radix_sort_implINS0_14default_configELb0EPKsPsPKlPlN2at6native12_GLOBAL__N_18offset_tEEE10hipError_tPvRmT1_PNSt15iterator_traitsIS12_E10value_typeET2_T3_PNS13_IS18_E10value_typeET4_jRbjT5_S1E_jjP12ihipStream_tbEUljE_ZNSN_ISO_Lb0ESQ_SR_ST_SU_SY_EESZ_S10_S11_S12_S16_S17_S18_S1B_S1C_jS1D_jS1E_S1E_jjS1G_bEUljE0_EEESZ_S10_S11_S18_S1C_S1E_T6_T7_T9_mT8_S1G_bDpT10_ENKUlT_T0_E_clISt17integral_constantIbLb1EES1T_IbLb0EEEEDaS1P_S1Q_EUlS1P_E_NS1_11comp_targetILNS1_3genE9ELNS1_11target_archE1100ELNS1_3gpuE3ELNS1_3repE0EEENS1_30default_config_static_selectorELNS0_4arch9wavefront6targetE0EEEvS12_,@function
_ZN7rocprim17ROCPRIM_400000_NS6detail17trampoline_kernelINS0_13select_configILj256ELj13ELNS0_17block_load_methodE3ELS4_3ELS4_3ELNS0_20block_scan_algorithmE0ELj4294967295EEENS1_25partition_config_selectorILNS1_17partition_subalgoE4EjNS0_10empty_typeEbEEZZNS1_14partition_implILS8_4ELb0ES6_15HIP_vector_typeIjLj2EENS0_17counting_iteratorIjlEEPS9_SG_NS0_5tupleIJPjSI_NS0_16reverse_iteratorISI_EEEEENSH_IJSG_SG_SG_EEES9_SI_JZNS1_25segmented_radix_sort_implINS0_14default_configELb0EPKsPsPKlPlN2at6native12_GLOBAL__N_18offset_tEEE10hipError_tPvRmT1_PNSt15iterator_traitsIS12_E10value_typeET2_T3_PNS13_IS18_E10value_typeET4_jRbjT5_S1E_jjP12ihipStream_tbEUljE_ZNSN_ISO_Lb0ESQ_SR_ST_SU_SY_EESZ_S10_S11_S12_S16_S17_S18_S1B_S1C_jS1D_jS1E_S1E_jjS1G_bEUljE0_EEESZ_S10_S11_S18_S1C_S1E_T6_T7_T9_mT8_S1G_bDpT10_ENKUlT_T0_E_clISt17integral_constantIbLb1EES1T_IbLb0EEEEDaS1P_S1Q_EUlS1P_E_NS1_11comp_targetILNS1_3genE9ELNS1_11target_archE1100ELNS1_3gpuE3ELNS1_3repE0EEENS1_30default_config_static_selectorELNS0_4arch9wavefront6targetE0EEEvS12_: ; @_ZN7rocprim17ROCPRIM_400000_NS6detail17trampoline_kernelINS0_13select_configILj256ELj13ELNS0_17block_load_methodE3ELS4_3ELS4_3ELNS0_20block_scan_algorithmE0ELj4294967295EEENS1_25partition_config_selectorILNS1_17partition_subalgoE4EjNS0_10empty_typeEbEEZZNS1_14partition_implILS8_4ELb0ES6_15HIP_vector_typeIjLj2EENS0_17counting_iteratorIjlEEPS9_SG_NS0_5tupleIJPjSI_NS0_16reverse_iteratorISI_EEEEENSH_IJSG_SG_SG_EEES9_SI_JZNS1_25segmented_radix_sort_implINS0_14default_configELb0EPKsPsPKlPlN2at6native12_GLOBAL__N_18offset_tEEE10hipError_tPvRmT1_PNSt15iterator_traitsIS12_E10value_typeET2_T3_PNS13_IS18_E10value_typeET4_jRbjT5_S1E_jjP12ihipStream_tbEUljE_ZNSN_ISO_Lb0ESQ_SR_ST_SU_SY_EESZ_S10_S11_S12_S16_S17_S18_S1B_S1C_jS1D_jS1E_S1E_jjS1G_bEUljE0_EEESZ_S10_S11_S18_S1C_S1E_T6_T7_T9_mT8_S1G_bDpT10_ENKUlT_T0_E_clISt17integral_constantIbLb1EES1T_IbLb0EEEEDaS1P_S1Q_EUlS1P_E_NS1_11comp_targetILNS1_3genE9ELNS1_11target_archE1100ELNS1_3gpuE3ELNS1_3repE0EEENS1_30default_config_static_selectorELNS0_4arch9wavefront6targetE0EEEvS12_
; %bb.0:
	s_clause 0x6
	s_load_b32 s5, s[0:1], 0x80
	s_load_b64 s[34:35], s[0:1], 0x10
	s_load_b64 s[2:3], s[0:1], 0x68
	s_load_b32 s8, s[0:1], 0x8
	s_load_b128 s[24:27], s[0:1], 0x58
	s_load_b64 s[40:41], s[0:1], 0xa8
	s_load_b256 s[16:23], s[0:1], 0x88
	s_mul_i32 s33, s15, 0xd00
	s_waitcnt lgkmcnt(0)
	s_mul_i32 s4, s5, 0xd00
	s_add_i32 s5, s5, -1
	s_add_u32 s6, s34, s4
	s_addc_u32 s7, s35, 0
	s_load_b128 s[28:31], s[26:27], 0x0
	s_cmp_eq_u32 s15, s5
	v_cmp_lt_u64_e64 s3, s[6:7], s[2:3]
	s_cselect_b32 s14, -1, 0
	s_cmp_lg_u32 s15, s5
	s_cselect_b32 s5, -1, 0
	s_add_i32 s6, s8, s33
	s_delay_alu instid0(VALU_DEP_1) | instskip(SKIP_4) | instid1(VALU_DEP_1)
	s_or_b32 s3, s5, s3
	s_add_i32 s6, s6, s34
	s_and_b32 vcc_lo, exec_lo, s3
	v_add_nc_u32_e32 v1, s6, v0
	s_mov_b32 s5, -1
	v_add_nc_u32_e32 v2, 0x100, v1
	v_add_nc_u32_e32 v3, 0x200, v1
	;; [unrolled: 1-line block ×12, first 2 shown]
	s_cbranch_vccz .LBB972_2
; %bb.1:
	v_lshlrev_b32_e32 v14, 2, v0
	s_mov_b32 s5, 0
	ds_store_2addr_stride64_b32 v14, v1, v2 offset1:4
	ds_store_2addr_stride64_b32 v14, v3, v4 offset0:8 offset1:12
	ds_store_2addr_stride64_b32 v14, v5, v6 offset0:16 offset1:20
	;; [unrolled: 1-line block ×5, first 2 shown]
	ds_store_b32 v14, v13 offset:12288
	s_waitcnt lgkmcnt(0)
	s_barrier
.LBB972_2:
	s_and_not1_b32 vcc_lo, exec_lo, s5
	s_add_i32 s4, s4, s34
	s_cbranch_vccnz .LBB972_4
; %bb.3:
	v_lshlrev_b32_e32 v14, 2, v0
	ds_store_2addr_stride64_b32 v14, v1, v2 offset1:4
	ds_store_2addr_stride64_b32 v14, v3, v4 offset0:8 offset1:12
	ds_store_2addr_stride64_b32 v14, v5, v6 offset0:16 offset1:20
	;; [unrolled: 1-line block ×5, first 2 shown]
	ds_store_b32 v14, v13 offset:12288
	s_waitcnt lgkmcnt(0)
	s_barrier
.LBB972_4:
	v_mul_u32_u24_e32 v28, 13, v0
	s_clause 0x1
	s_load_b128 s[36:39], s[0:1], 0x28
	s_load_b64 s[26:27], s[0:1], 0x38
	s_waitcnt lgkmcnt(0)
	buffer_gl0_inv
	v_cndmask_b32_e64 v26, 0, 1, s3
	s_sub_i32 s44, s2, s4
	v_lshlrev_b32_e32 v1, 2, v28
	s_and_not1_b32 vcc_lo, exec_lo, s3
	ds_load_2addr_b32 v[16:17], v1 offset1:1
	ds_load_2addr_b32 v[14:15], v1 offset0:2 offset1:3
	ds_load_2addr_b32 v[12:13], v1 offset0:4 offset1:5
	;; [unrolled: 1-line block ×5, first 2 shown]
	ds_load_b32 v27, v1 offset:48
	s_waitcnt lgkmcnt(0)
	s_barrier
	buffer_gl0_inv
	s_cbranch_vccnz .LBB972_32
; %bb.5:
	v_add_nc_u32_e32 v1, s17, v16
	v_add_nc_u32_e32 v2, s19, v16
	s_mov_b32 s46, 0
	s_mov_b32 s45, 0
	s_mov_b32 s3, exec_lo
	v_mul_lo_u32 v1, v1, s16
	v_mul_lo_u32 v2, v2, s18
	s_delay_alu instid0(VALU_DEP_1) | instskip(NEXT) | instid1(VALU_DEP_1)
	v_sub_nc_u32_e32 v1, v1, v2
	v_cmp_lt_u32_e32 vcc_lo, s20, v1
	v_cmpx_ge_u32_e64 s20, v1
; %bb.6:
	v_add_nc_u32_e32 v1, s22, v16
	v_add_nc_u32_e32 v2, s40, v16
	s_delay_alu instid0(VALU_DEP_2) | instskip(NEXT) | instid1(VALU_DEP_2)
	v_mul_lo_u32 v1, v1, s21
	v_mul_lo_u32 v2, v2, s23
	s_delay_alu instid0(VALU_DEP_1) | instskip(NEXT) | instid1(VALU_DEP_1)
	v_sub_nc_u32_e32 v1, v1, v2
	v_cmp_lt_u32_e64 s2, s41, v1
	s_delay_alu instid0(VALU_DEP_1)
	s_and_b32 s45, s2, exec_lo
; %bb.7:
	s_or_b32 exec_lo, exec_lo, s3
	v_add_nc_u32_e32 v1, s17, v17
	v_add_nc_u32_e32 v2, s19, v17
	s_mov_b32 s4, exec_lo
	s_delay_alu instid0(VALU_DEP_2) | instskip(NEXT) | instid1(VALU_DEP_2)
	v_mul_lo_u32 v1, v1, s16
	v_mul_lo_u32 v2, v2, s18
	s_delay_alu instid0(VALU_DEP_1) | instskip(NEXT) | instid1(VALU_DEP_1)
	v_sub_nc_u32_e32 v1, v1, v2
	v_cmp_lt_u32_e64 s2, s20, v1
	v_cmpx_ge_u32_e64 s20, v1
; %bb.8:
	v_add_nc_u32_e32 v1, s22, v17
	v_add_nc_u32_e32 v2, s40, v17
	s_delay_alu instid0(VALU_DEP_2) | instskip(NEXT) | instid1(VALU_DEP_2)
	v_mul_lo_u32 v1, v1, s21
	v_mul_lo_u32 v2, v2, s23
	s_delay_alu instid0(VALU_DEP_1) | instskip(NEXT) | instid1(VALU_DEP_1)
	v_sub_nc_u32_e32 v1, v1, v2
	v_cmp_lt_u32_e64 s3, s41, v1
	s_delay_alu instid0(VALU_DEP_1)
	s_and_b32 s46, s3, exec_lo
; %bb.9:
	s_or_b32 exec_lo, exec_lo, s4
	v_add_nc_u32_e32 v1, s17, v14
	v_add_nc_u32_e32 v2, s19, v14
	s_mov_b32 s48, 0
	s_mov_b32 s47, 0
	s_mov_b32 s5, exec_lo
	v_mul_lo_u32 v1, v1, s16
	v_mul_lo_u32 v2, v2, s18
	s_delay_alu instid0(VALU_DEP_1) | instskip(NEXT) | instid1(VALU_DEP_1)
	v_sub_nc_u32_e32 v1, v1, v2
	v_cmp_lt_u32_e64 s3, s20, v1
	v_cmpx_ge_u32_e64 s20, v1
; %bb.10:
	v_add_nc_u32_e32 v1, s22, v14
	v_add_nc_u32_e32 v2, s40, v14
	s_delay_alu instid0(VALU_DEP_2) | instskip(NEXT) | instid1(VALU_DEP_2)
	v_mul_lo_u32 v1, v1, s21
	v_mul_lo_u32 v2, v2, s23
	s_delay_alu instid0(VALU_DEP_1) | instskip(NEXT) | instid1(VALU_DEP_1)
	v_sub_nc_u32_e32 v1, v1, v2
	v_cmp_lt_u32_e64 s4, s41, v1
	s_delay_alu instid0(VALU_DEP_1)
	s_and_b32 s47, s4, exec_lo
; %bb.11:
	s_or_b32 exec_lo, exec_lo, s5
	v_add_nc_u32_e32 v1, s17, v15
	v_add_nc_u32_e32 v2, s19, v15
	s_mov_b32 s6, exec_lo
	s_delay_alu instid0(VALU_DEP_2) | instskip(NEXT) | instid1(VALU_DEP_2)
	v_mul_lo_u32 v1, v1, s16
	v_mul_lo_u32 v2, v2, s18
	s_delay_alu instid0(VALU_DEP_1) | instskip(NEXT) | instid1(VALU_DEP_1)
	v_sub_nc_u32_e32 v1, v1, v2
	v_cmp_lt_u32_e64 s4, s20, v1
	v_cmpx_ge_u32_e64 s20, v1
; %bb.12:
	v_add_nc_u32_e32 v1, s22, v15
	v_add_nc_u32_e32 v2, s40, v15
	s_delay_alu instid0(VALU_DEP_2) | instskip(NEXT) | instid1(VALU_DEP_2)
	v_mul_lo_u32 v1, v1, s21
	v_mul_lo_u32 v2, v2, s23
	s_delay_alu instid0(VALU_DEP_1) | instskip(NEXT) | instid1(VALU_DEP_1)
	v_sub_nc_u32_e32 v1, v1, v2
	v_cmp_lt_u32_e64 s5, s41, v1
	s_delay_alu instid0(VALU_DEP_1)
	s_and_b32 s48, s5, exec_lo
; %bb.13:
	s_or_b32 exec_lo, exec_lo, s6
	v_add_nc_u32_e32 v1, s17, v12
	v_add_nc_u32_e32 v2, s19, v12
	s_mov_b32 s50, 0
	s_mov_b32 s49, 0
	s_mov_b32 s7, exec_lo
	v_mul_lo_u32 v1, v1, s16
	v_mul_lo_u32 v2, v2, s18
	s_delay_alu instid0(VALU_DEP_1) | instskip(NEXT) | instid1(VALU_DEP_1)
	v_sub_nc_u32_e32 v1, v1, v2
	v_cmp_lt_u32_e64 s5, s20, v1
	;; [unrolled: 47-line block ×5, first 2 shown]
	v_cmpx_ge_u32_e64 s20, v1
; %bb.26:
	v_add_nc_u32_e32 v1, s22, v6
	v_add_nc_u32_e32 v2, s40, v6
	s_delay_alu instid0(VALU_DEP_2) | instskip(NEXT) | instid1(VALU_DEP_2)
	v_mul_lo_u32 v1, v1, s21
	v_mul_lo_u32 v2, v2, s23
	s_delay_alu instid0(VALU_DEP_1) | instskip(NEXT) | instid1(VALU_DEP_1)
	v_sub_nc_u32_e32 v1, v1, v2
	v_cmp_lt_u32_e64 s12, s41, v1
	s_delay_alu instid0(VALU_DEP_1)
	s_and_b32 s57, s12, exec_lo
; %bb.27:
	s_or_b32 exec_lo, exec_lo, s13
	v_add_nc_u32_e32 v1, s17, v7
	v_add_nc_u32_e32 v2, s19, v7
	s_mov_b32 s42, exec_lo
	s_delay_alu instid0(VALU_DEP_2) | instskip(NEXT) | instid1(VALU_DEP_2)
	v_mul_lo_u32 v1, v1, s16
	v_mul_lo_u32 v2, v2, s18
	s_delay_alu instid0(VALU_DEP_1) | instskip(NEXT) | instid1(VALU_DEP_1)
	v_sub_nc_u32_e32 v1, v1, v2
	v_cmp_lt_u32_e64 s12, s20, v1
	v_cmpx_ge_u32_e64 s20, v1
; %bb.28:
	v_add_nc_u32_e32 v1, s22, v7
	v_add_nc_u32_e32 v2, s40, v7
	s_delay_alu instid0(VALU_DEP_2) | instskip(NEXT) | instid1(VALU_DEP_2)
	v_mul_lo_u32 v1, v1, s21
	v_mul_lo_u32 v2, v2, s23
	s_delay_alu instid0(VALU_DEP_1) | instskip(NEXT) | instid1(VALU_DEP_1)
	v_sub_nc_u32_e32 v1, v1, v2
	v_cmp_lt_u32_e64 s13, s41, v1
	s_delay_alu instid0(VALU_DEP_1)
	s_and_b32 s56, s13, exec_lo
; %bb.29:
	s_or_b32 exec_lo, exec_lo, s42
	v_add_nc_u32_e32 v1, s17, v27
	v_add_nc_u32_e32 v2, s19, v27
	s_mov_b32 s42, -1
	s_mov_b32 s53, 0
	s_mov_b32 s43, 0
	v_mul_lo_u32 v1, v1, s16
	v_mul_lo_u32 v2, v2, s18
	s_mov_b32 s58, exec_lo
	s_delay_alu instid0(VALU_DEP_1) | instskip(NEXT) | instid1(VALU_DEP_1)
	v_sub_nc_u32_e32 v1, v1, v2
	v_cmpx_ge_u32_e64 s20, v1
; %bb.30:
	v_add_nc_u32_e32 v1, s22, v27
	v_add_nc_u32_e32 v2, s40, v27
	s_xor_b32 s42, exec_lo, -1
	s_delay_alu instid0(VALU_DEP_2) | instskip(NEXT) | instid1(VALU_DEP_2)
	v_mul_lo_u32 v1, v1, s21
	v_mul_lo_u32 v2, v2, s23
	s_delay_alu instid0(VALU_DEP_1) | instskip(NEXT) | instid1(VALU_DEP_1)
	v_sub_nc_u32_e32 v1, v1, v2
	v_cmp_lt_u32_e64 s13, s41, v1
	s_delay_alu instid0(VALU_DEP_1)
	s_and_b32 s43, s13, exec_lo
; %bb.31:
	s_or_b32 exec_lo, exec_lo, s58
	v_cndmask_b32_e64 v48, 0, 1, s57
	v_cndmask_b32_e64 v51, 0, 1, s12
	;; [unrolled: 1-line block ×22, first 2 shown]
	v_cndmask_b32_e64 v29, 0, 1, vcc_lo
	v_cndmask_b32_e64 v52, 0, 1, s56
	s_load_b64 s[4:5], s[0:1], 0x78
	s_and_b32 vcc_lo, exec_lo, s53
	s_add_i32 s3, s44, 0xd00
	s_cbranch_vccnz .LBB972_33
	s_branch .LBB972_86
.LBB972_32:
                                        ; implicit-def: $sgpr42
                                        ; implicit-def: $sgpr43
                                        ; implicit-def: $vgpr52
                                        ; implicit-def: $vgpr48
                                        ; implicit-def: $vgpr47
                                        ; implicit-def: $vgpr45
                                        ; implicit-def: $vgpr43
                                        ; implicit-def: $vgpr40
                                        ; implicit-def: $vgpr39
                                        ; implicit-def: $vgpr37
                                        ; implicit-def: $vgpr35
                                        ; implicit-def: $vgpr29
                                        ; implicit-def: $vgpr33
                                        ; implicit-def: $vgpr31
                                        ; implicit-def: $vgpr32
                                        ; implicit-def: $vgpr38
                                        ; implicit-def: $vgpr41
                                        ; implicit-def: $vgpr42
                                        ; implicit-def: $vgpr44
                                        ; implicit-def: $vgpr46
                                        ; implicit-def: $vgpr49
                                        ; implicit-def: $vgpr50
                                        ; implicit-def: $vgpr51
                                        ; implicit-def: $vgpr30
                                        ; implicit-def: $vgpr34
                                        ; implicit-def: $vgpr36
	s_load_b64 s[4:5], s[0:1], 0x78
	s_add_i32 s3, s44, 0xd00
	s_cbranch_execz .LBB972_86
.LBB972_33:
	v_dual_mov_b32 v30, 0 :: v_dual_mov_b32 v29, 0
	s_mov_b32 s2, 0
	s_mov_b32 s1, exec_lo
	v_cmpx_gt_u32_e64 s3, v28
	s_cbranch_execz .LBB972_37
; %bb.34:
	v_add_nc_u32_e32 v1, s17, v16
	v_add_nc_u32_e32 v2, s19, v16
	s_mov_b32 s6, exec_lo
	s_delay_alu instid0(VALU_DEP_2) | instskip(NEXT) | instid1(VALU_DEP_2)
	v_mul_lo_u32 v1, v1, s16
	v_mul_lo_u32 v2, v2, s18
	s_delay_alu instid0(VALU_DEP_1) | instskip(NEXT) | instid1(VALU_DEP_1)
	v_sub_nc_u32_e32 v1, v1, v2
	v_cmp_lt_u32_e32 vcc_lo, s20, v1
	v_cmpx_ge_u32_e64 s20, v1
; %bb.35:
	v_add_nc_u32_e32 v1, s22, v16
	v_add_nc_u32_e32 v2, s40, v16
	s_delay_alu instid0(VALU_DEP_2) | instskip(NEXT) | instid1(VALU_DEP_2)
	v_mul_lo_u32 v1, v1, s21
	v_mul_lo_u32 v2, v2, s23
	s_delay_alu instid0(VALU_DEP_1) | instskip(NEXT) | instid1(VALU_DEP_1)
	v_sub_nc_u32_e32 v1, v1, v2
	v_cmp_lt_u32_e64 s0, s41, v1
	s_delay_alu instid0(VALU_DEP_1)
	s_and_b32 s2, s0, exec_lo
; %bb.36:
	s_or_b32 exec_lo, exec_lo, s6
	v_cndmask_b32_e64 v29, 0, 1, vcc_lo
	v_cndmask_b32_e64 v30, 0, 1, s2
.LBB972_37:
	s_or_b32 exec_lo, exec_lo, s1
	v_dual_mov_b32 v34, 0 :: v_dual_add_nc_u32 v1, 1, v28
	v_mov_b32_e32 v33, 0
	s_mov_b32 s2, 0
	s_mov_b32 s1, exec_lo
	s_delay_alu instid0(VALU_DEP_2)
	v_cmpx_gt_u32_e64 s3, v1
	s_cbranch_execz .LBB972_41
; %bb.38:
	v_add_nc_u32_e32 v1, s17, v17
	v_add_nc_u32_e32 v2, s19, v17
	s_mov_b32 s6, exec_lo
	s_delay_alu instid0(VALU_DEP_2) | instskip(NEXT) | instid1(VALU_DEP_2)
	v_mul_lo_u32 v1, v1, s16
	v_mul_lo_u32 v2, v2, s18
	s_delay_alu instid0(VALU_DEP_1) | instskip(NEXT) | instid1(VALU_DEP_1)
	v_sub_nc_u32_e32 v1, v1, v2
	v_cmp_lt_u32_e32 vcc_lo, s20, v1
	v_cmpx_ge_u32_e64 s20, v1
; %bb.39:
	v_add_nc_u32_e32 v1, s22, v17
	v_add_nc_u32_e32 v2, s40, v17
	s_delay_alu instid0(VALU_DEP_2) | instskip(NEXT) | instid1(VALU_DEP_2)
	v_mul_lo_u32 v1, v1, s21
	v_mul_lo_u32 v2, v2, s23
	s_delay_alu instid0(VALU_DEP_1) | instskip(NEXT) | instid1(VALU_DEP_1)
	v_sub_nc_u32_e32 v1, v1, v2
	v_cmp_lt_u32_e64 s0, s41, v1
	s_delay_alu instid0(VALU_DEP_1)
	s_and_b32 s2, s0, exec_lo
; %bb.40:
	s_or_b32 exec_lo, exec_lo, s6
	v_cndmask_b32_e64 v33, 0, 1, vcc_lo
	v_cndmask_b32_e64 v34, 0, 1, s2
.LBB972_41:
	s_or_b32 exec_lo, exec_lo, s1
	v_dual_mov_b32 v36, 0 :: v_dual_add_nc_u32 v1, 2, v28
	v_mov_b32_e32 v31, 0
	s_mov_b32 s2, 0
	s_mov_b32 s1, exec_lo
	s_delay_alu instid0(VALU_DEP_2)
	;; [unrolled: 35-line block ×4, first 2 shown]
	v_cmpx_gt_u32_e64 s3, v1
	s_cbranch_execz .LBB972_53
; %bb.50:
	v_add_nc_u32_e32 v1, s17, v12
	v_add_nc_u32_e32 v2, s19, v12
	s_mov_b32 s6, exec_lo
	s_delay_alu instid0(VALU_DEP_2) | instskip(NEXT) | instid1(VALU_DEP_2)
	v_mul_lo_u32 v1, v1, s16
	v_mul_lo_u32 v2, v2, s18
	s_delay_alu instid0(VALU_DEP_1) | instskip(NEXT) | instid1(VALU_DEP_1)
	v_sub_nc_u32_e32 v1, v1, v2
	v_cmp_lt_u32_e32 vcc_lo, s20, v1
	v_cmpx_ge_u32_e64 s20, v1
; %bb.51:
	v_add_nc_u32_e32 v1, s22, v12
	v_add_nc_u32_e32 v2, s40, v12
	s_delay_alu instid0(VALU_DEP_2) | instskip(NEXT) | instid1(VALU_DEP_2)
	v_mul_lo_u32 v1, v1, s21
	v_mul_lo_u32 v2, v2, s23
	s_delay_alu instid0(VALU_DEP_1) | instskip(NEXT) | instid1(VALU_DEP_1)
	v_sub_nc_u32_e32 v1, v1, v2
	v_cmp_lt_u32_e64 s0, s41, v1
	s_delay_alu instid0(VALU_DEP_1)
	s_and_b32 s2, s0, exec_lo
; %bb.52:
	s_or_b32 exec_lo, exec_lo, s6
	v_cndmask_b32_e64 v38, 0, 1, vcc_lo
	v_cndmask_b32_e64 v37, 0, 1, s2
.LBB972_53:
	s_or_b32 exec_lo, exec_lo, s1
	v_add_nc_u32_e32 v1, 5, v28
	v_mov_b32_e32 v39, 0
	v_mov_b32_e32 v41, 0
	s_mov_b32 s2, 0
	s_mov_b32 s1, exec_lo
	v_cmpx_gt_u32_e64 s3, v1
	s_cbranch_execz .LBB972_57
; %bb.54:
	v_add_nc_u32_e32 v1, s17, v13
	v_add_nc_u32_e32 v2, s19, v13
	s_mov_b32 s6, exec_lo
	s_delay_alu instid0(VALU_DEP_2) | instskip(NEXT) | instid1(VALU_DEP_2)
	v_mul_lo_u32 v1, v1, s16
	v_mul_lo_u32 v2, v2, s18
	s_delay_alu instid0(VALU_DEP_1) | instskip(NEXT) | instid1(VALU_DEP_1)
	v_sub_nc_u32_e32 v1, v1, v2
	v_cmp_lt_u32_e32 vcc_lo, s20, v1
	v_cmpx_ge_u32_e64 s20, v1
; %bb.55:
	v_add_nc_u32_e32 v1, s22, v13
	v_add_nc_u32_e32 v2, s40, v13
	s_delay_alu instid0(VALU_DEP_2) | instskip(NEXT) | instid1(VALU_DEP_2)
	v_mul_lo_u32 v1, v1, s21
	v_mul_lo_u32 v2, v2, s23
	s_delay_alu instid0(VALU_DEP_1) | instskip(NEXT) | instid1(VALU_DEP_1)
	v_sub_nc_u32_e32 v1, v1, v2
	v_cmp_lt_u32_e64 s0, s41, v1
	s_delay_alu instid0(VALU_DEP_1)
	s_and_b32 s2, s0, exec_lo
; %bb.56:
	s_or_b32 exec_lo, exec_lo, s6
	v_cndmask_b32_e64 v41, 0, 1, vcc_lo
	v_cndmask_b32_e64 v39, 0, 1, s2
.LBB972_57:
	s_or_b32 exec_lo, exec_lo, s1
	v_dual_mov_b32 v40, 0 :: v_dual_add_nc_u32 v1, 6, v28
	v_mov_b32_e32 v42, 0
	s_mov_b32 s2, 0
	s_mov_b32 s1, exec_lo
	s_delay_alu instid0(VALU_DEP_2)
	v_cmpx_gt_u32_e64 s3, v1
	s_cbranch_execz .LBB972_61
; %bb.58:
	v_add_nc_u32_e32 v1, s17, v10
	v_add_nc_u32_e32 v2, s19, v10
	s_mov_b32 s6, exec_lo
	s_delay_alu instid0(VALU_DEP_2) | instskip(NEXT) | instid1(VALU_DEP_2)
	v_mul_lo_u32 v1, v1, s16
	v_mul_lo_u32 v2, v2, s18
	s_delay_alu instid0(VALU_DEP_1) | instskip(NEXT) | instid1(VALU_DEP_1)
	v_sub_nc_u32_e32 v1, v1, v2
	v_cmp_lt_u32_e32 vcc_lo, s20, v1
	v_cmpx_ge_u32_e64 s20, v1
; %bb.59:
	v_add_nc_u32_e32 v1, s22, v10
	v_add_nc_u32_e32 v2, s40, v10
	s_delay_alu instid0(VALU_DEP_2) | instskip(NEXT) | instid1(VALU_DEP_2)
	v_mul_lo_u32 v1, v1, s21
	v_mul_lo_u32 v2, v2, s23
	s_delay_alu instid0(VALU_DEP_1) | instskip(NEXT) | instid1(VALU_DEP_1)
	v_sub_nc_u32_e32 v1, v1, v2
	v_cmp_lt_u32_e64 s0, s41, v1
	s_delay_alu instid0(VALU_DEP_1)
	s_and_b32 s2, s0, exec_lo
; %bb.60:
	s_or_b32 exec_lo, exec_lo, s6
	v_cndmask_b32_e64 v42, 0, 1, vcc_lo
	v_cndmask_b32_e64 v40, 0, 1, s2
.LBB972_61:
	s_or_b32 exec_lo, exec_lo, s1
	v_dual_mov_b32 v44, 0 :: v_dual_add_nc_u32 v1, 7, v28
	v_mov_b32_e32 v43, 0
	s_mov_b32 s2, 0
	s_mov_b32 s1, exec_lo
	s_delay_alu instid0(VALU_DEP_2)
	;; [unrolled: 35-line block ×3, first 2 shown]
	v_cmpx_gt_u32_e64 s3, v1
	s_cbranch_execz .LBB972_69
; %bb.66:
	v_add_nc_u32_e32 v1, s17, v8
	v_add_nc_u32_e32 v2, s19, v8
	s_mov_b32 s6, exec_lo
	s_delay_alu instid0(VALU_DEP_2) | instskip(NEXT) | instid1(VALU_DEP_2)
	v_mul_lo_u32 v1, v1, s16
	v_mul_lo_u32 v2, v2, s18
	s_delay_alu instid0(VALU_DEP_1) | instskip(NEXT) | instid1(VALU_DEP_1)
	v_sub_nc_u32_e32 v1, v1, v2
	v_cmp_lt_u32_e32 vcc_lo, s20, v1
	v_cmpx_ge_u32_e64 s20, v1
; %bb.67:
	v_add_nc_u32_e32 v1, s22, v8
	v_add_nc_u32_e32 v2, s40, v8
	s_delay_alu instid0(VALU_DEP_2) | instskip(NEXT) | instid1(VALU_DEP_2)
	v_mul_lo_u32 v1, v1, s21
	v_mul_lo_u32 v2, v2, s23
	s_delay_alu instid0(VALU_DEP_1) | instskip(NEXT) | instid1(VALU_DEP_1)
	v_sub_nc_u32_e32 v1, v1, v2
	v_cmp_lt_u32_e64 s0, s41, v1
	s_delay_alu instid0(VALU_DEP_1)
	s_and_b32 s2, s0, exec_lo
; %bb.68:
	s_or_b32 exec_lo, exec_lo, s6
	v_cndmask_b32_e64 v46, 0, 1, vcc_lo
	v_cndmask_b32_e64 v45, 0, 1, s2
.LBB972_69:
	s_or_b32 exec_lo, exec_lo, s1
	v_add_nc_u32_e32 v1, 9, v28
	v_mov_b32_e32 v47, 0
	v_mov_b32_e32 v49, 0
	s_mov_b32 s2, 0
	s_mov_b32 s1, exec_lo
	v_cmpx_gt_u32_e64 s3, v1
	s_cbranch_execz .LBB972_73
; %bb.70:
	v_add_nc_u32_e32 v1, s17, v9
	v_add_nc_u32_e32 v2, s19, v9
	s_mov_b32 s6, exec_lo
	s_delay_alu instid0(VALU_DEP_2) | instskip(NEXT) | instid1(VALU_DEP_2)
	v_mul_lo_u32 v1, v1, s16
	v_mul_lo_u32 v2, v2, s18
	s_delay_alu instid0(VALU_DEP_1) | instskip(NEXT) | instid1(VALU_DEP_1)
	v_sub_nc_u32_e32 v1, v1, v2
	v_cmp_lt_u32_e32 vcc_lo, s20, v1
	v_cmpx_ge_u32_e64 s20, v1
; %bb.71:
	v_add_nc_u32_e32 v1, s22, v9
	v_add_nc_u32_e32 v2, s40, v9
	s_delay_alu instid0(VALU_DEP_2) | instskip(NEXT) | instid1(VALU_DEP_2)
	v_mul_lo_u32 v1, v1, s21
	v_mul_lo_u32 v2, v2, s23
	s_delay_alu instid0(VALU_DEP_1) | instskip(NEXT) | instid1(VALU_DEP_1)
	v_sub_nc_u32_e32 v1, v1, v2
	v_cmp_lt_u32_e64 s0, s41, v1
	s_delay_alu instid0(VALU_DEP_1)
	s_and_b32 s2, s0, exec_lo
; %bb.72:
	s_or_b32 exec_lo, exec_lo, s6
	v_cndmask_b32_e64 v49, 0, 1, vcc_lo
	v_cndmask_b32_e64 v47, 0, 1, s2
.LBB972_73:
	s_or_b32 exec_lo, exec_lo, s1
	v_dual_mov_b32 v48, 0 :: v_dual_add_nc_u32 v1, 10, v28
	v_mov_b32_e32 v50, 0
	s_mov_b32 s2, 0
	s_mov_b32 s1, exec_lo
	s_delay_alu instid0(VALU_DEP_2)
	v_cmpx_gt_u32_e64 s3, v1
	s_cbranch_execz .LBB972_77
; %bb.74:
	v_add_nc_u32_e32 v1, s17, v6
	v_add_nc_u32_e32 v2, s19, v6
	s_mov_b32 s6, exec_lo
	s_delay_alu instid0(VALU_DEP_2) | instskip(NEXT) | instid1(VALU_DEP_2)
	v_mul_lo_u32 v1, v1, s16
	v_mul_lo_u32 v2, v2, s18
	s_delay_alu instid0(VALU_DEP_1) | instskip(NEXT) | instid1(VALU_DEP_1)
	v_sub_nc_u32_e32 v1, v1, v2
	v_cmp_lt_u32_e32 vcc_lo, s20, v1
	v_cmpx_ge_u32_e64 s20, v1
; %bb.75:
	v_add_nc_u32_e32 v1, s22, v6
	v_add_nc_u32_e32 v2, s40, v6
	s_delay_alu instid0(VALU_DEP_2) | instskip(NEXT) | instid1(VALU_DEP_2)
	v_mul_lo_u32 v1, v1, s21
	v_mul_lo_u32 v2, v2, s23
	s_delay_alu instid0(VALU_DEP_1) | instskip(NEXT) | instid1(VALU_DEP_1)
	v_sub_nc_u32_e32 v1, v1, v2
	v_cmp_lt_u32_e64 s0, s41, v1
	s_delay_alu instid0(VALU_DEP_1)
	s_and_b32 s2, s0, exec_lo
; %bb.76:
	s_or_b32 exec_lo, exec_lo, s6
	v_cndmask_b32_e64 v50, 0, 1, vcc_lo
	v_cndmask_b32_e64 v48, 0, 1, s2
.LBB972_77:
	s_or_b32 exec_lo, exec_lo, s1
	v_dual_mov_b32 v52, 0 :: v_dual_add_nc_u32 v1, 11, v28
	v_mov_b32_e32 v51, 0
	s_mov_b32 s2, 0
	s_mov_b32 s1, exec_lo
	s_delay_alu instid0(VALU_DEP_2)
	v_cmpx_gt_u32_e64 s3, v1
	s_cbranch_execz .LBB972_81
; %bb.78:
	v_add_nc_u32_e32 v1, s17, v7
	v_add_nc_u32_e32 v2, s19, v7
	s_mov_b32 s6, exec_lo
	s_delay_alu instid0(VALU_DEP_2) | instskip(NEXT) | instid1(VALU_DEP_2)
	v_mul_lo_u32 v1, v1, s16
	v_mul_lo_u32 v2, v2, s18
	s_delay_alu instid0(VALU_DEP_1) | instskip(NEXT) | instid1(VALU_DEP_1)
	v_sub_nc_u32_e32 v1, v1, v2
	v_cmp_lt_u32_e32 vcc_lo, s20, v1
	v_cmpx_ge_u32_e64 s20, v1
; %bb.79:
	v_add_nc_u32_e32 v1, s22, v7
	v_add_nc_u32_e32 v2, s40, v7
	s_delay_alu instid0(VALU_DEP_2) | instskip(NEXT) | instid1(VALU_DEP_2)
	v_mul_lo_u32 v1, v1, s21
	v_mul_lo_u32 v2, v2, s23
	s_delay_alu instid0(VALU_DEP_1) | instskip(NEXT) | instid1(VALU_DEP_1)
	v_sub_nc_u32_e32 v1, v1, v2
	v_cmp_lt_u32_e64 s0, s41, v1
	s_delay_alu instid0(VALU_DEP_1)
	s_and_b32 s2, s0, exec_lo
; %bb.80:
	s_or_b32 exec_lo, exec_lo, s6
	v_cndmask_b32_e64 v51, 0, 1, vcc_lo
	v_cndmask_b32_e64 v52, 0, 1, s2
.LBB972_81:
	s_or_b32 exec_lo, exec_lo, s1
	v_add_nc_u32_e32 v1, 12, v28
	s_mov_b32 s42, 0
	s_mov_b32 s43, 0
	s_mov_b32 s0, exec_lo
	s_delay_alu instid0(VALU_DEP_1)
	v_cmpx_gt_u32_e64 s3, v1
	s_cbranch_execz .LBB972_85
; %bb.82:
	v_add_nc_u32_e32 v1, s17, v27
	v_add_nc_u32_e32 v2, s19, v27
	s_mov_b32 s2, -1
	s_mov_b32 s6, 0
	s_mov_b32 s1, exec_lo
	v_mul_lo_u32 v1, v1, s16
	v_mul_lo_u32 v2, v2, s18
	s_delay_alu instid0(VALU_DEP_1) | instskip(NEXT) | instid1(VALU_DEP_1)
	v_sub_nc_u32_e32 v1, v1, v2
	v_cmpx_ge_u32_e64 s20, v1
; %bb.83:
	v_add_nc_u32_e32 v1, s22, v27
	v_add_nc_u32_e32 v2, s40, v27
	s_xor_b32 s2, exec_lo, -1
	s_delay_alu instid0(VALU_DEP_2) | instskip(NEXT) | instid1(VALU_DEP_2)
	v_mul_lo_u32 v1, v1, s21
	v_mul_lo_u32 v2, v2, s23
	s_delay_alu instid0(VALU_DEP_1) | instskip(NEXT) | instid1(VALU_DEP_1)
	v_sub_nc_u32_e32 v1, v1, v2
	v_cmp_lt_u32_e32 vcc_lo, s41, v1
	s_and_b32 s6, vcc_lo, exec_lo
; %bb.84:
	s_or_b32 exec_lo, exec_lo, s1
	s_delay_alu instid0(SALU_CYCLE_1)
	s_and_b32 s43, s6, exec_lo
	s_and_b32 s42, s2, exec_lo
.LBB972_85:
	s_or_b32 exec_lo, exec_lo, s0
.LBB972_86:
	v_and_b32_e32 v75, 0xff, v29
	v_and_b32_e32 v76, 0xff, v30
	v_and_b32_e32 v71, 0xff, v33
	v_and_b32_e32 v72, 0xff, v34
	v_and_b32_e32 v73, 0xff, v31
	v_and_b32_e32 v74, 0xff, v36
	v_and_b32_e32 v69, 0xff, v32
	v_and_b32_e32 v70, 0xff, v35
	v_and_b32_e32 v67, 0xff, v38
	v_and_b32_e32 v68, 0xff, v37
	v_add3_u32 v1, v71, v73, v75
	v_add3_u32 v2, v72, v74, v76
	v_and_b32_e32 v65, 0xff, v41
	v_and_b32_e32 v66, 0xff, v39
	v_and_b32_e32 v61, 0xff, v42
	v_and_b32_e32 v62, 0xff, v40
	v_add3_u32 v1, v1, v69, v67
	v_add3_u32 v2, v2, v70, v68
	v_and_b32_e32 v63, 0xff, v44
	v_and_b32_e32 v64, 0xff, v43
	v_and_b32_e32 v59, 0xff, v46
	v_and_b32_e32 v60, 0xff, v45
	;; [unrolled: 6-line block ×3, first 2 shown]
	v_add3_u32 v1, v1, v63, v59
	v_add3_u32 v2, v2, v64, v60
	v_mbcnt_lo_u32_b32 v77, -1, 0
	v_and_b32_e32 v53, 0xff, v51
	v_and_b32_e32 v54, 0xff, v52
	v_cndmask_b32_e64 v3, 0, 1, s43
	v_add3_u32 v1, v1, v57, v55
	v_cndmask_b32_e64 v4, 0, 1, s42
	v_add3_u32 v2, v2, v58, v56
	v_and_b32_e32 v81, 15, v77
	v_and_b32_e32 v80, 16, v77
	v_lshrrev_b32_e32 v78, 5, v0
	v_add3_u32 v82, v1, v53, v4
	v_add3_u32 v83, v2, v54, v3
	v_cmp_eq_u32_e64 s1, 0, v81
	v_cmp_lt_u32_e64 s0, 1, v81
	v_cmp_lt_u32_e64 s2, 3, v81
	v_cmp_lt_u32_e32 vcc_lo, 7, v81
	v_or_b32_e32 v79, 31, v0
	s_cmp_lg_u32 s15, 0
	s_mov_b32 s6, -1
	s_cbranch_scc0 .LBB972_119
; %bb.87:
	v_mov_b32_dpp v1, v83 row_shr:1 row_mask:0xf bank_mask:0xf
	v_mov_b32_dpp v2, v82 row_shr:1 row_mask:0xf bank_mask:0xf
	s_delay_alu instid0(VALU_DEP_2) | instskip(NEXT) | instid1(VALU_DEP_1)
	v_add_nc_u32_e32 v1, v1, v83
	v_cndmask_b32_e64 v1, v1, v83, s1
	s_delay_alu instid0(VALU_DEP_1) | instskip(NEXT) | instid1(VALU_DEP_1)
	v_mov_b32_dpp v3, v1 row_shr:2 row_mask:0xf bank_mask:0xf
	v_add_nc_u32_e32 v3, v1, v3
	s_delay_alu instid0(VALU_DEP_1) | instskip(NEXT) | instid1(VALU_DEP_1)
	v_cndmask_b32_e64 v1, v1, v3, s0
	v_mov_b32_dpp v3, v1 row_shr:4 row_mask:0xf bank_mask:0xf
	s_delay_alu instid0(VALU_DEP_1) | instskip(NEXT) | instid1(VALU_DEP_1)
	v_add_nc_u32_e32 v3, v1, v3
	v_cndmask_b32_e64 v1, v1, v3, s2
	s_delay_alu instid0(VALU_DEP_1) | instskip(NEXT) | instid1(VALU_DEP_1)
	v_mov_b32_dpp v3, v1 row_shr:8 row_mask:0xf bank_mask:0xf
	v_add_nc_u32_e32 v3, v1, v3
	s_delay_alu instid0(VALU_DEP_1) | instskip(NEXT) | instid1(VALU_DEP_1)
	v_dual_cndmask_b32 v1, v1, v3 :: v_dual_add_nc_u32 v2, v2, v82
	v_cndmask_b32_e64 v2, v2, v82, s1
	s_delay_alu instid0(VALU_DEP_1) | instskip(NEXT) | instid1(VALU_DEP_1)
	v_mov_b32_dpp v4, v2 row_shr:2 row_mask:0xf bank_mask:0xf
	v_add_nc_u32_e32 v4, v2, v4
	s_delay_alu instid0(VALU_DEP_1) | instskip(NEXT) | instid1(VALU_DEP_1)
	v_cndmask_b32_e64 v2, v2, v4, s0
	v_mov_b32_dpp v4, v2 row_shr:4 row_mask:0xf bank_mask:0xf
	s_delay_alu instid0(VALU_DEP_1) | instskip(NEXT) | instid1(VALU_DEP_1)
	v_add_nc_u32_e32 v4, v2, v4
	v_cndmask_b32_e64 v2, v2, v4, s2
	s_mov_b32 s2, exec_lo
	s_delay_alu instid0(VALU_DEP_1) | instskip(NEXT) | instid1(VALU_DEP_1)
	v_mov_b32_dpp v4, v2 row_shr:8 row_mask:0xf bank_mask:0xf
	v_add_nc_u32_e32 v4, v2, v4
	s_delay_alu instid0(VALU_DEP_1)
	v_cndmask_b32_e32 v3, v2, v4, vcc_lo
	ds_swizzle_b32 v2, v1 offset:swizzle(BROADCAST,32,15)
	v_cmp_eq_u32_e32 vcc_lo, 0, v80
	s_waitcnt lgkmcnt(0)
	v_add_nc_u32_e32 v2, v1, v2
	ds_swizzle_b32 v4, v3 offset:swizzle(BROADCAST,32,15)
	v_cndmask_b32_e32 v2, v2, v1, vcc_lo
	s_waitcnt lgkmcnt(0)
	v_add_nc_u32_e32 v4, v3, v4
	s_delay_alu instid0(VALU_DEP_1)
	v_cndmask_b32_e32 v1, v4, v3, vcc_lo
	v_cmpx_eq_u32_e64 v79, v0
	s_cbranch_execz .LBB972_89
; %bb.88:
	v_lshlrev_b32_e32 v3, 3, v78
	ds_store_b64 v3, v[1:2]
.LBB972_89:
	s_or_b32 exec_lo, exec_lo, s2
	s_delay_alu instid0(SALU_CYCLE_1)
	s_mov_b32 s2, exec_lo
	s_waitcnt lgkmcnt(0)
	s_barrier
	buffer_gl0_inv
	v_cmpx_gt_u32_e32 8, v0
	s_cbranch_execz .LBB972_91
; %bb.90:
	v_lshlrev_b32_e32 v5, 3, v0
	ds_load_b64 v[3:4], v5
	s_waitcnt lgkmcnt(0)
	v_mov_b32_dpp v18, v3 row_shr:1 row_mask:0xf bank_mask:0xf
	v_mov_b32_dpp v19, v4 row_shr:1 row_mask:0xf bank_mask:0xf
	s_delay_alu instid0(VALU_DEP_2) | instskip(SKIP_1) | instid1(VALU_DEP_3)
	v_add_nc_u32_e32 v18, v18, v3
	v_and_b32_e32 v20, 7, v77
	v_add_nc_u32_e32 v19, v19, v4
	s_delay_alu instid0(VALU_DEP_2) | instskip(NEXT) | instid1(VALU_DEP_2)
	v_cmp_eq_u32_e32 vcc_lo, 0, v20
	v_dual_cndmask_b32 v4, v19, v4 :: v_dual_cndmask_b32 v3, v18, v3
	v_cmp_lt_u32_e32 vcc_lo, 1, v20
	s_delay_alu instid0(VALU_DEP_2) | instskip(NEXT) | instid1(VALU_DEP_3)
	v_mov_b32_dpp v19, v4 row_shr:2 row_mask:0xf bank_mask:0xf
	v_mov_b32_dpp v18, v3 row_shr:2 row_mask:0xf bank_mask:0xf
	s_delay_alu instid0(VALU_DEP_2) | instskip(NEXT) | instid1(VALU_DEP_2)
	v_add_nc_u32_e32 v19, v4, v19
	v_add_nc_u32_e32 v18, v3, v18
	s_delay_alu instid0(VALU_DEP_1) | instskip(SKIP_1) | instid1(VALU_DEP_2)
	v_dual_cndmask_b32 v4, v4, v19 :: v_dual_cndmask_b32 v3, v3, v18
	v_cmp_lt_u32_e32 vcc_lo, 3, v20
	v_mov_b32_dpp v19, v4 row_shr:4 row_mask:0xf bank_mask:0xf
	s_delay_alu instid0(VALU_DEP_3) | instskip(NEXT) | instid1(VALU_DEP_1)
	v_mov_b32_dpp v18, v3 row_shr:4 row_mask:0xf bank_mask:0xf
	v_dual_cndmask_b32 v19, 0, v19 :: v_dual_cndmask_b32 v18, 0, v18
	s_delay_alu instid0(VALU_DEP_1) | instskip(NEXT) | instid1(VALU_DEP_2)
	v_add_nc_u32_e32 v4, v19, v4
	v_add_nc_u32_e32 v3, v18, v3
	ds_store_b64 v5, v[3:4]
.LBB972_91:
	s_or_b32 exec_lo, exec_lo, s2
	v_cmp_gt_u32_e32 vcc_lo, 32, v0
	v_cmp_lt_u32_e64 s2, 31, v0
	s_waitcnt lgkmcnt(0)
	s_barrier
	buffer_gl0_inv
                                        ; implicit-def: $vgpr19
	s_and_saveexec_b32 s6, s2
	s_delay_alu instid0(SALU_CYCLE_1)
	s_xor_b32 s2, exec_lo, s6
	s_cbranch_execz .LBB972_93
; %bb.92:
	v_lshl_add_u32 v3, v78, 3, -8
	ds_load_b64 v[18:19], v3
	s_waitcnt lgkmcnt(0)
	v_add_nc_u32_e32 v2, v19, v2
	v_add_nc_u32_e32 v1, v18, v1
.LBB972_93:
	s_and_not1_saveexec_b32 s2, s2
; %bb.94:
                                        ; implicit-def: $vgpr18
; %bb.95:
	s_delay_alu instid0(SALU_CYCLE_1) | instskip(SKIP_1) | instid1(VALU_DEP_1)
	s_or_b32 exec_lo, exec_lo, s2
	v_add_nc_u32_e32 v3, -1, v77
	v_cmp_gt_i32_e64 s2, 0, v3
	s_delay_alu instid0(VALU_DEP_1) | instskip(SKIP_1) | instid1(VALU_DEP_2)
	v_cndmask_b32_e64 v3, v3, v77, s2
	v_cmp_eq_u32_e64 s2, 0, v77
	v_lshlrev_b32_e32 v3, 2, v3
	ds_bpermute_b32 v84, v3, v1
	ds_bpermute_b32 v85, v3, v2
	s_and_saveexec_b32 s6, vcc_lo
	s_cbranch_execz .LBB972_118
; %bb.96:
	v_mov_b32_e32 v4, 0
	ds_load_b64 v[1:2], v4 offset:56
	s_waitcnt lgkmcnt(0)
	v_readfirstlane_b32 s7, v2
	s_and_saveexec_b32 s8, s2
	s_cbranch_execz .LBB972_98
; %bb.97:
	s_add_i32 s10, s15, 32
	s_mov_b32 s11, 0
	v_mov_b32_e32 v3, 1
	s_lshl_b64 s[12:13], s[10:11], 4
	s_mov_b32 s16, s11
	s_add_u32 s12, s4, s12
	s_addc_u32 s13, s5, s13
	s_and_b32 s17, s7, 0xff000000
	s_and_b32 s19, s7, 0xff0000
	s_mov_b32 s18, s11
	v_dual_mov_b32 v21, s13 :: v_dual_mov_b32 v20, s12
	s_or_b64 s[16:17], s[18:19], s[16:17]
	s_and_b32 s19, s7, 0xff00
	s_delay_alu instid0(SALU_CYCLE_1) | instskip(SKIP_1) | instid1(SALU_CYCLE_1)
	s_or_b64 s[16:17], s[16:17], s[18:19]
	s_and_b32 s19, s7, 0xff
	s_or_b64 s[10:11], s[16:17], s[18:19]
	s_delay_alu instid0(SALU_CYCLE_1)
	v_mov_b32_e32 v2, s11
	;;#ASMSTART
	global_store_dwordx4 v[20:21], v[1:4] off	
s_waitcnt vmcnt(0)
	;;#ASMEND
.LBB972_98:
	s_or_b32 exec_lo, exec_lo, s8
	v_xad_u32 v20, v77, -1, s15
	s_mov_b32 s9, 0
	s_mov_b32 s8, exec_lo
	s_delay_alu instid0(VALU_DEP_1) | instskip(NEXT) | instid1(VALU_DEP_1)
	v_add_nc_u32_e32 v3, 32, v20
	v_lshlrev_b64 v[2:3], 4, v[3:4]
	s_delay_alu instid0(VALU_DEP_1) | instskip(NEXT) | instid1(VALU_DEP_2)
	v_add_co_u32 v21, vcc_lo, s4, v2
	v_add_co_ci_u32_e32 v22, vcc_lo, s5, v3, vcc_lo
	;;#ASMSTART
	global_load_dwordx4 v[2:5], v[21:22] off glc	
s_waitcnt vmcnt(0)
	;;#ASMEND
	v_and_b32_e32 v5, 0xff, v3
	v_and_b32_e32 v23, 0xff00, v3
	v_or3_b32 v2, v2, 0, 0
	v_and_b32_e32 v24, 0xff000000, v3
	v_and_b32_e32 v3, 0xff0000, v3
	s_delay_alu instid0(VALU_DEP_4) | instskip(SKIP_2) | instid1(VALU_DEP_3)
	v_or3_b32 v5, 0, v5, v23
	v_and_b32_e32 v23, 0xff, v4
	v_or3_b32 v2, v2, 0, 0
	v_or3_b32 v3, v5, v3, v24
	s_delay_alu instid0(VALU_DEP_3)
	v_cmpx_eq_u16_e32 0, v23
	s_cbranch_execz .LBB972_104
; %bb.99:
	s_mov_b32 s10, 1
	.p2align	6
.LBB972_100:                            ; =>This Loop Header: Depth=1
                                        ;     Child Loop BB972_101 Depth 2
	s_delay_alu instid0(SALU_CYCLE_1)
	s_max_u32 s11, s10, 1
.LBB972_101:                            ;   Parent Loop BB972_100 Depth=1
                                        ; =>  This Inner Loop Header: Depth=2
	s_delay_alu instid0(SALU_CYCLE_1)
	s_add_i32 s11, s11, -1
	s_sleep 1
	s_cmp_eq_u32 s11, 0
	s_cbranch_scc0 .LBB972_101
; %bb.102:                              ;   in Loop: Header=BB972_100 Depth=1
	;;#ASMSTART
	global_load_dwordx4 v[2:5], v[21:22] off glc	
s_waitcnt vmcnt(0)
	;;#ASMEND
	v_and_b32_e32 v5, 0xff, v4
	s_cmp_lt_u32 s10, 32
	s_cselect_b32 s11, -1, 0
	s_delay_alu instid0(SALU_CYCLE_1) | instskip(NEXT) | instid1(VALU_DEP_1)
	s_cmp_lg_u32 s11, 0
	v_cmp_ne_u16_e32 vcc_lo, 0, v5
	s_addc_u32 s10, s10, 0
	s_or_b32 s9, vcc_lo, s9
	s_delay_alu instid0(SALU_CYCLE_1)
	s_and_not1_b32 exec_lo, exec_lo, s9
	s_cbranch_execnz .LBB972_100
; %bb.103:
	s_or_b32 exec_lo, exec_lo, s9
.LBB972_104:
	s_delay_alu instid0(SALU_CYCLE_1)
	s_or_b32 exec_lo, exec_lo, s8
	v_cmp_ne_u32_e32 vcc_lo, 31, v77
	v_lshlrev_b32_e64 v87, v77, -1
	v_add_nc_u32_e32 v91, 4, v77
	v_add_nc_u32_e32 v93, 8, v77
	;; [unrolled: 1-line block ×3, first 2 shown]
	v_add_co_ci_u32_e32 v5, vcc_lo, 0, v77, vcc_lo
	s_delay_alu instid0(VALU_DEP_1)
	v_lshlrev_b32_e32 v86, 2, v5
	ds_bpermute_b32 v21, v86, v3
	ds_bpermute_b32 v5, v86, v2
	s_waitcnt lgkmcnt(1)
	v_add_nc_u32_e32 v21, v21, v3
	v_and_b32_e32 v22, 0xff, v4
	s_waitcnt lgkmcnt(0)
	v_add_nc_u32_e32 v5, v5, v2
	s_delay_alu instid0(VALU_DEP_2) | instskip(SKIP_2) | instid1(VALU_DEP_2)
	v_cmp_eq_u16_e32 vcc_lo, 2, v22
	v_and_or_b32 v22, vcc_lo, v87, 0x80000000
	v_cmp_gt_u32_e32 vcc_lo, 30, v77
	v_ctz_i32_b32_e32 v22, v22
	v_cndmask_b32_e64 v23, 0, 1, vcc_lo
	s_delay_alu instid0(VALU_DEP_2) | instskip(NEXT) | instid1(VALU_DEP_2)
	v_cmp_lt_u32_e32 vcc_lo, v77, v22
	v_dual_cndmask_b32 v2, v2, v5 :: v_dual_lshlrev_b32 v23, 1, v23
	s_delay_alu instid0(VALU_DEP_1)
	v_add_lshl_u32 v88, v23, v77, 2
	v_cndmask_b32_e32 v3, v3, v21, vcc_lo
	v_cmp_gt_u32_e32 vcc_lo, 28, v77
	ds_bpermute_b32 v5, v88, v2
	ds_bpermute_b32 v21, v88, v3
	v_cndmask_b32_e64 v23, 0, 1, vcc_lo
	s_waitcnt lgkmcnt(1)
	v_add_nc_u32_e32 v5, v2, v5
	v_add_nc_u32_e32 v89, 2, v77
	s_waitcnt lgkmcnt(0)
	v_add_nc_u32_e32 v21, v3, v21
	s_delay_alu instid0(VALU_DEP_2) | instskip(SKIP_1) | instid1(VALU_DEP_3)
	v_cmp_gt_u32_e32 vcc_lo, v89, v22
	v_dual_cndmask_b32 v2, v5, v2 :: v_dual_lshlrev_b32 v23, 2, v23
	v_cndmask_b32_e32 v3, v21, v3, vcc_lo
	v_cmp_gt_u32_e32 vcc_lo, 24, v77
	s_delay_alu instid0(VALU_DEP_3)
	v_add_lshl_u32 v90, v23, v77, 2
	v_cndmask_b32_e64 v23, 0, 1, vcc_lo
	v_cmp_gt_u32_e32 vcc_lo, v91, v22
	ds_bpermute_b32 v5, v90, v2
	ds_bpermute_b32 v21, v90, v3
	v_lshlrev_b32_e32 v23, 3, v23
	s_delay_alu instid0(VALU_DEP_1) | instskip(SKIP_3) | instid1(VALU_DEP_1)
	v_add_lshl_u32 v92, v23, v77, 2
	s_waitcnt lgkmcnt(1)
	v_add_nc_u32_e32 v5, v2, v5
	s_waitcnt lgkmcnt(0)
	v_dual_cndmask_b32 v2, v5, v2 :: v_dual_add_nc_u32 v21, v3, v21
	s_delay_alu instid0(VALU_DEP_1)
	v_cndmask_b32_e32 v3, v21, v3, vcc_lo
	v_cmp_gt_u32_e32 vcc_lo, 16, v77
	ds_bpermute_b32 v5, v92, v2
	ds_bpermute_b32 v21, v92, v3
	v_cndmask_b32_e64 v23, 0, 1, vcc_lo
	v_cmp_gt_u32_e32 vcc_lo, v93, v22
	s_delay_alu instid0(VALU_DEP_2) | instskip(NEXT) | instid1(VALU_DEP_1)
	v_lshlrev_b32_e32 v23, 4, v23
	v_add_lshl_u32 v94, v23, v77, 2
	s_waitcnt lgkmcnt(1)
	v_add_nc_u32_e32 v5, v2, v5
	s_waitcnt lgkmcnt(0)
	s_delay_alu instid0(VALU_DEP_1) | instskip(NEXT) | instid1(VALU_DEP_1)
	v_dual_cndmask_b32 v2, v5, v2 :: v_dual_add_nc_u32 v21, v3, v21
	v_cndmask_b32_e32 v3, v21, v3, vcc_lo
	v_cmp_le_u32_e32 vcc_lo, v95, v22
	ds_bpermute_b32 v5, v94, v2
	ds_bpermute_b32 v21, v94, v3
	s_waitcnt lgkmcnt(1)
	v_cndmask_b32_e32 v5, 0, v5, vcc_lo
	s_waitcnt lgkmcnt(0)
	s_delay_alu instid0(VALU_DEP_1) | instskip(NEXT) | instid1(VALU_DEP_1)
	v_dual_cndmask_b32 v21, 0, v21 :: v_dual_add_nc_u32 v2, v5, v2
	v_add_nc_u32_e32 v3, v21, v3
	v_mov_b32_e32 v21, 0
	s_branch .LBB972_106
.LBB972_105:                            ;   in Loop: Header=BB972_106 Depth=1
	s_or_b32 exec_lo, exec_lo, s8
	ds_bpermute_b32 v5, v86, v2
	ds_bpermute_b32 v24, v86, v3
	v_subrev_nc_u32_e32 v20, 32, v20
	s_waitcnt lgkmcnt(1)
	v_add_nc_u32_e32 v5, v5, v2
	v_and_b32_e32 v25, 0xff, v4
	s_waitcnt lgkmcnt(0)
	v_add_nc_u32_e32 v24, v24, v3
	s_delay_alu instid0(VALU_DEP_2) | instskip(SKIP_1) | instid1(VALU_DEP_1)
	v_cmp_eq_u16_e32 vcc_lo, 2, v25
	v_and_or_b32 v25, vcc_lo, v87, 0x80000000
	v_ctz_i32_b32_e32 v25, v25
	s_delay_alu instid0(VALU_DEP_1)
	v_cmp_lt_u32_e32 vcc_lo, v77, v25
	v_cndmask_b32_e32 v2, v2, v5, vcc_lo
	ds_bpermute_b32 v5, v88, v2
	s_waitcnt lgkmcnt(0)
	v_add_nc_u32_e32 v5, v2, v5
	v_cndmask_b32_e32 v3, v3, v24, vcc_lo
	v_cmp_gt_u32_e32 vcc_lo, v89, v25
	s_delay_alu instid0(VALU_DEP_3)
	v_cndmask_b32_e32 v2, v5, v2, vcc_lo
	ds_bpermute_b32 v24, v88, v3
	ds_bpermute_b32 v5, v90, v2
	s_waitcnt lgkmcnt(1)
	v_add_nc_u32_e32 v24, v3, v24
	s_waitcnt lgkmcnt(0)
	v_add_nc_u32_e32 v5, v2, v5
	s_delay_alu instid0(VALU_DEP_2) | instskip(SKIP_1) | instid1(VALU_DEP_3)
	v_cndmask_b32_e32 v3, v24, v3, vcc_lo
	v_cmp_gt_u32_e32 vcc_lo, v91, v25
	v_cndmask_b32_e32 v2, v5, v2, vcc_lo
	ds_bpermute_b32 v24, v90, v3
	ds_bpermute_b32 v5, v92, v2
	s_waitcnt lgkmcnt(1)
	v_add_nc_u32_e32 v24, v3, v24
	s_waitcnt lgkmcnt(0)
	v_add_nc_u32_e32 v5, v2, v5
	s_delay_alu instid0(VALU_DEP_2) | instskip(SKIP_1) | instid1(VALU_DEP_3)
	v_cndmask_b32_e32 v3, v24, v3, vcc_lo
	v_cmp_gt_u32_e32 vcc_lo, v93, v25
	v_cndmask_b32_e32 v2, v5, v2, vcc_lo
	ds_bpermute_b32 v24, v92, v3
	ds_bpermute_b32 v5, v94, v2
	s_waitcnt lgkmcnt(1)
	v_add_nc_u32_e32 v24, v3, v24
	s_delay_alu instid0(VALU_DEP_1) | instskip(SKIP_4) | instid1(VALU_DEP_1)
	v_cndmask_b32_e32 v3, v24, v3, vcc_lo
	v_cmp_le_u32_e32 vcc_lo, v95, v25
	ds_bpermute_b32 v24, v94, v3
	s_waitcnt lgkmcnt(1)
	v_cndmask_b32_e32 v5, 0, v5, vcc_lo
	v_add3_u32 v2, v2, v22, v5
	s_waitcnt lgkmcnt(0)
	v_cndmask_b32_e32 v24, 0, v24, vcc_lo
	s_delay_alu instid0(VALU_DEP_1)
	v_add3_u32 v3, v3, v23, v24
.LBB972_106:                            ; =>This Loop Header: Depth=1
                                        ;     Child Loop BB972_109 Depth 2
                                        ;       Child Loop BB972_110 Depth 3
	s_delay_alu instid0(VALU_DEP_1) | instskip(SKIP_1) | instid1(VALU_DEP_2)
	v_dual_mov_b32 v23, v3 :: v_dual_and_b32 v4, 0xff, v4
	v_mov_b32_e32 v22, v2
	v_cmp_ne_u16_e32 vcc_lo, 2, v4
	v_cndmask_b32_e64 v4, 0, 1, vcc_lo
	;;#ASMSTART
	;;#ASMEND
	s_delay_alu instid0(VALU_DEP_1)
	v_cmp_ne_u32_e32 vcc_lo, 0, v4
	s_cmp_lg_u32 vcc_lo, exec_lo
	s_cbranch_scc1 .LBB972_113
; %bb.107:                              ;   in Loop: Header=BB972_106 Depth=1
	v_lshlrev_b64 v[2:3], 4, v[20:21]
	s_mov_b32 s8, exec_lo
	s_delay_alu instid0(VALU_DEP_1) | instskip(NEXT) | instid1(VALU_DEP_2)
	v_add_co_u32 v24, vcc_lo, s4, v2
	v_add_co_ci_u32_e32 v25, vcc_lo, s5, v3, vcc_lo
	;;#ASMSTART
	global_load_dwordx4 v[2:5], v[24:25] off glc	
s_waitcnt vmcnt(0)
	;;#ASMEND
	v_and_b32_e32 v5, 0xff, v3
	v_and_b32_e32 v96, 0xff00, v3
	v_or3_b32 v2, v2, 0, 0
	v_and_b32_e32 v97, 0xff000000, v3
	v_and_b32_e32 v3, 0xff0000, v3
	s_delay_alu instid0(VALU_DEP_4) | instskip(SKIP_2) | instid1(VALU_DEP_3)
	v_or3_b32 v5, 0, v5, v96
	v_and_b32_e32 v96, 0xff, v4
	v_or3_b32 v2, v2, 0, 0
	v_or3_b32 v3, v5, v3, v97
	s_delay_alu instid0(VALU_DEP_3)
	v_cmpx_eq_u16_e32 0, v96
	s_cbranch_execz .LBB972_105
; %bb.108:                              ;   in Loop: Header=BB972_106 Depth=1
	s_mov_b32 s10, 1
	s_mov_b32 s9, 0
	.p2align	6
.LBB972_109:                            ;   Parent Loop BB972_106 Depth=1
                                        ; =>  This Loop Header: Depth=2
                                        ;       Child Loop BB972_110 Depth 3
	s_max_u32 s11, s10, 1
.LBB972_110:                            ;   Parent Loop BB972_106 Depth=1
                                        ;     Parent Loop BB972_109 Depth=2
                                        ; =>    This Inner Loop Header: Depth=3
	s_delay_alu instid0(SALU_CYCLE_1)
	s_add_i32 s11, s11, -1
	s_sleep 1
	s_cmp_eq_u32 s11, 0
	s_cbranch_scc0 .LBB972_110
; %bb.111:                              ;   in Loop: Header=BB972_109 Depth=2
	;;#ASMSTART
	global_load_dwordx4 v[2:5], v[24:25] off glc	
s_waitcnt vmcnt(0)
	;;#ASMEND
	v_and_b32_e32 v5, 0xff, v4
	s_cmp_lt_u32 s10, 32
	s_cselect_b32 s11, -1, 0
	s_delay_alu instid0(SALU_CYCLE_1) | instskip(NEXT) | instid1(VALU_DEP_1)
	s_cmp_lg_u32 s11, 0
	v_cmp_ne_u16_e32 vcc_lo, 0, v5
	s_addc_u32 s10, s10, 0
	s_or_b32 s9, vcc_lo, s9
	s_delay_alu instid0(SALU_CYCLE_1)
	s_and_not1_b32 exec_lo, exec_lo, s9
	s_cbranch_execnz .LBB972_109
; %bb.112:                              ;   in Loop: Header=BB972_106 Depth=1
	s_or_b32 exec_lo, exec_lo, s9
	s_branch .LBB972_105
.LBB972_113:                            ;   in Loop: Header=BB972_106 Depth=1
                                        ; implicit-def: $vgpr4
                                        ; implicit-def: $vgpr2_vgpr3
	s_cbranch_execz .LBB972_106
; %bb.114:
	s_and_saveexec_b32 s8, s2
	s_cbranch_execnz .LBB972_357
; %bb.115:
	s_or_b32 exec_lo, exec_lo, s8
	s_and_saveexec_b32 s8, s2
	s_cbranch_execnz .LBB972_358
.LBB972_116:
	s_or_b32 exec_lo, exec_lo, s8
	v_cmp_eq_u32_e32 vcc_lo, 0, v0
	s_and_b32 exec_lo, exec_lo, vcc_lo
	s_cbranch_execz .LBB972_118
.LBB972_117:
	v_mov_b32_e32 v1, 0
	ds_store_b64 v1, v[22:23] offset:56
.LBB972_118:
	s_or_b32 exec_lo, exec_lo, s6
	v_cmp_eq_u32_e32 vcc_lo, 0, v0
	v_mov_b32_e32 v1, 0
	s_waitcnt lgkmcnt(0)
	s_barrier
	buffer_gl0_inv
	v_add_nc_u32_e64 v3, 0x3400, 0
	ds_load_b64 v[20:21], v1 offset:56
	s_waitcnt lgkmcnt(0)
	s_barrier
	buffer_gl0_inv
	ds_load_2addr_b32 v[1:2], v3 offset1:2
	ds_load_2addr_b32 v[3:4], v3 offset0:4 offset1:6
	v_cndmask_b32_e64 v5, v84, v18, s2
	v_cndmask_b32_e64 v18, v85, v19, s2
	s_delay_alu instid0(VALU_DEP_2) | instskip(NEXT) | instid1(VALU_DEP_1)
	v_add_nc_u32_e32 v19, v20, v5
	v_dual_cndmask_b32 v20, v19, v20 :: v_dual_add_nc_u32 v5, v21, v18
	s_delay_alu instid0(VALU_DEP_1)
	v_cndmask_b32_e32 v5, v5, v21, vcc_lo
	s_branch .LBB972_129
.LBB972_119:
                                        ; implicit-def: $vgpr5
                                        ; implicit-def: $vgpr3
                                        ; implicit-def: $vgpr1
                                        ; implicit-def: $vgpr20_vgpr21
	s_and_b32 vcc_lo, exec_lo, s6
	s_cbranch_vccz .LBB972_129
; %bb.120:
	s_waitcnt lgkmcnt(0)
	v_mov_b32_dpp v2, v83 row_shr:1 row_mask:0xf bank_mask:0xf
	v_cmp_lt_u32_e32 vcc_lo, 3, v81
	v_mov_b32_dpp v1, v82 row_shr:1 row_mask:0xf bank_mask:0xf
	s_delay_alu instid0(VALU_DEP_3) | instskip(NEXT) | instid1(VALU_DEP_1)
	v_add_nc_u32_e32 v2, v2, v83
	v_cndmask_b32_e64 v2, v2, v83, s1
	s_delay_alu instid0(VALU_DEP_1) | instskip(NEXT) | instid1(VALU_DEP_1)
	v_mov_b32_dpp v4, v2 row_shr:2 row_mask:0xf bank_mask:0xf
	v_add_nc_u32_e32 v4, v2, v4
	s_delay_alu instid0(VALU_DEP_1) | instskip(NEXT) | instid1(VALU_DEP_1)
	v_cndmask_b32_e64 v2, v2, v4, s0
	v_mov_b32_dpp v4, v2 row_shr:4 row_mask:0xf bank_mask:0xf
	s_delay_alu instid0(VALU_DEP_1) | instskip(NEXT) | instid1(VALU_DEP_1)
	v_add_nc_u32_e32 v4, v2, v4
	v_dual_cndmask_b32 v2, v2, v4 :: v_dual_add_nc_u32 v1, v1, v82
	s_delay_alu instid0(VALU_DEP_1) | instskip(NEXT) | instid1(VALU_DEP_2)
	v_cndmask_b32_e64 v1, v1, v82, s1
	v_mov_b32_dpp v4, v2 row_shr:8 row_mask:0xf bank_mask:0xf
	s_delay_alu instid0(VALU_DEP_2) | instskip(NEXT) | instid1(VALU_DEP_2)
	v_mov_b32_dpp v3, v1 row_shr:2 row_mask:0xf bank_mask:0xf
	v_add_nc_u32_e32 v4, v2, v4
	s_delay_alu instid0(VALU_DEP_2) | instskip(NEXT) | instid1(VALU_DEP_1)
	v_add_nc_u32_e32 v3, v1, v3
	v_cndmask_b32_e64 v1, v1, v3, s0
	s_mov_b32 s0, exec_lo
	s_delay_alu instid0(VALU_DEP_1) | instskip(NEXT) | instid1(VALU_DEP_1)
	v_mov_b32_dpp v3, v1 row_shr:4 row_mask:0xf bank_mask:0xf
	v_add_nc_u32_e32 v3, v1, v3
	s_delay_alu instid0(VALU_DEP_1) | instskip(SKIP_1) | instid1(VALU_DEP_2)
	v_cndmask_b32_e32 v1, v1, v3, vcc_lo
	v_cmp_lt_u32_e32 vcc_lo, 7, v81
	v_mov_b32_dpp v3, v1 row_shr:8 row_mask:0xf bank_mask:0xf
	s_delay_alu instid0(VALU_DEP_1) | instskip(NEXT) | instid1(VALU_DEP_1)
	v_dual_cndmask_b32 v2, v2, v4 :: v_dual_add_nc_u32 v3, v1, v3
	v_cndmask_b32_e32 v1, v1, v3, vcc_lo
	ds_swizzle_b32 v3, v2 offset:swizzle(BROADCAST,32,15)
	v_cmp_eq_u32_e32 vcc_lo, 0, v80
	ds_swizzle_b32 v4, v1 offset:swizzle(BROADCAST,32,15)
	s_waitcnt lgkmcnt(1)
	v_add_nc_u32_e32 v3, v2, v3
	s_waitcnt lgkmcnt(0)
	v_add_nc_u32_e32 v4, v1, v4
	s_delay_alu instid0(VALU_DEP_1)
	v_dual_cndmask_b32 v2, v3, v2 :: v_dual_cndmask_b32 v1, v4, v1
	v_cmpx_eq_u32_e64 v79, v0
	s_cbranch_execz .LBB972_122
; %bb.121:
	v_lshlrev_b32_e32 v3, 3, v78
	ds_store_b64 v3, v[1:2]
.LBB972_122:
	s_or_b32 exec_lo, exec_lo, s0
	s_delay_alu instid0(SALU_CYCLE_1)
	s_mov_b32 s0, exec_lo
	s_waitcnt lgkmcnt(0)
	s_barrier
	buffer_gl0_inv
	v_cmpx_gt_u32_e32 8, v0
	s_cbranch_execz .LBB972_124
; %bb.123:
	v_lshlrev_b32_e32 v5, 3, v0
	ds_load_b64 v[3:4], v5
	s_waitcnt lgkmcnt(0)
	v_mov_b32_dpp v18, v3 row_shr:1 row_mask:0xf bank_mask:0xf
	v_mov_b32_dpp v19, v4 row_shr:1 row_mask:0xf bank_mask:0xf
	s_delay_alu instid0(VALU_DEP_2) | instskip(SKIP_1) | instid1(VALU_DEP_3)
	v_add_nc_u32_e32 v18, v18, v3
	v_and_b32_e32 v20, 7, v77
	v_add_nc_u32_e32 v19, v19, v4
	s_delay_alu instid0(VALU_DEP_2) | instskip(NEXT) | instid1(VALU_DEP_2)
	v_cmp_eq_u32_e32 vcc_lo, 0, v20
	v_dual_cndmask_b32 v4, v19, v4 :: v_dual_cndmask_b32 v3, v18, v3
	v_cmp_lt_u32_e32 vcc_lo, 1, v20
	s_delay_alu instid0(VALU_DEP_2) | instskip(NEXT) | instid1(VALU_DEP_3)
	v_mov_b32_dpp v19, v4 row_shr:2 row_mask:0xf bank_mask:0xf
	v_mov_b32_dpp v18, v3 row_shr:2 row_mask:0xf bank_mask:0xf
	s_delay_alu instid0(VALU_DEP_2) | instskip(NEXT) | instid1(VALU_DEP_2)
	v_add_nc_u32_e32 v19, v4, v19
	v_add_nc_u32_e32 v18, v3, v18
	s_delay_alu instid0(VALU_DEP_1) | instskip(SKIP_1) | instid1(VALU_DEP_2)
	v_dual_cndmask_b32 v4, v4, v19 :: v_dual_cndmask_b32 v3, v3, v18
	v_cmp_lt_u32_e32 vcc_lo, 3, v20
	v_mov_b32_dpp v19, v4 row_shr:4 row_mask:0xf bank_mask:0xf
	s_delay_alu instid0(VALU_DEP_3) | instskip(NEXT) | instid1(VALU_DEP_1)
	v_mov_b32_dpp v18, v3 row_shr:4 row_mask:0xf bank_mask:0xf
	v_dual_cndmask_b32 v19, 0, v19 :: v_dual_cndmask_b32 v18, 0, v18
	s_delay_alu instid0(VALU_DEP_1) | instskip(NEXT) | instid1(VALU_DEP_2)
	v_add_nc_u32_e32 v4, v19, v4
	v_add_nc_u32_e32 v3, v18, v3
	ds_store_b64 v5, v[3:4]
.LBB972_124:
	s_or_b32 exec_lo, exec_lo, s0
	v_dual_mov_b32 v3, 0 :: v_dual_mov_b32 v18, 0
	v_mov_b32_e32 v19, 0
	s_mov_b32 s0, exec_lo
	s_waitcnt lgkmcnt(0)
	s_barrier
	buffer_gl0_inv
	v_cmpx_lt_u32_e32 31, v0
	s_cbranch_execz .LBB972_126
; %bb.125:
	v_lshl_add_u32 v4, v78, 3, -8
	ds_load_b64 v[18:19], v4
.LBB972_126:
	s_or_b32 exec_lo, exec_lo, s0
	v_add_nc_u32_e32 v4, -1, v77
	s_waitcnt lgkmcnt(0)
	v_add_nc_u32_e32 v20, v19, v2
	v_add_nc_u32_e32 v5, v18, v1
	ds_load_b64 v[1:2], v3 offset:56
	v_cmp_gt_i32_e32 vcc_lo, 0, v4
	v_cndmask_b32_e32 v4, v4, v77, vcc_lo
	v_cmp_eq_u32_e32 vcc_lo, 0, v0
	s_delay_alu instid0(VALU_DEP_2)
	v_lshlrev_b32_e32 v4, 2, v4
	ds_bpermute_b32 v5, v4, v5
	ds_bpermute_b32 v20, v4, v20
	s_waitcnt lgkmcnt(2)
	v_readfirstlane_b32 s1, v2
	s_and_saveexec_b32 s0, vcc_lo
	s_cbranch_execz .LBB972_128
; %bb.127:
	s_mov_b32 s6, 0
	s_add_u32 s4, s4, 0x200
	s_addc_u32 s5, s5, 0
	s_and_b32 s7, s1, 0xff000000
	s_and_b32 s9, s1, 0xff0000
	s_mov_b32 s8, s6
	v_mov_b32_e32 v22, s5
	s_or_b64 s[8:9], s[8:9], s[6:7]
	s_and_b32 s7, s1, 0xff00
	v_dual_mov_b32 v4, 0 :: v_dual_mov_b32 v21, s4
	s_or_b64 s[8:9], s[8:9], s[6:7]
	s_and_b32 s7, s1, 0xff
	v_mov_b32_e32 v3, 2
	s_or_b64 s[6:7], s[8:9], s[6:7]
	s_delay_alu instid0(SALU_CYCLE_1)
	v_mov_b32_e32 v2, s7
	;;#ASMSTART
	global_store_dwordx4 v[21:22], v[1:4] off	
s_waitcnt vmcnt(0)
	;;#ASMEND
.LBB972_128:
	s_or_b32 exec_lo, exec_lo, s0
	v_cmp_eq_u32_e64 s0, 0, v77
	v_dual_mov_b32 v3, 0 :: v_dual_mov_b32 v2, s1
	s_waitcnt lgkmcnt(0)
	s_barrier
	s_delay_alu instid0(VALU_DEP_2)
	v_cndmask_b32_e64 v4, v5, v18, s0
	v_cndmask_b32_e64 v5, v20, v19, s0
	buffer_gl0_inv
	v_cndmask_b32_e64 v20, v4, 0, vcc_lo
	v_cndmask_b32_e64 v5, v5, 0, vcc_lo
	v_mov_b32_e32 v4, 0
.LBB972_129:
	v_and_b32_e32 v30, 1, v30
	v_and_b32_e32 v34, 1, v34
	;; [unrolled: 1-line block ×4, first 2 shown]
	s_waitcnt lgkmcnt(0)
	v_add_co_u32 v18, s0, s28, v3
	v_cmp_eq_u32_e32 vcc_lo, 1, v30
	v_add_nc_u32_e32 v22, v5, v76
	v_sub_nc_u32_e32 v5, v5, v4
	v_add_co_ci_u32_e64 v19, null, s29, 0, s0
	s_mov_b32 s2, -1
	s_delay_alu instid0(VALU_DEP_3) | instskip(SKIP_3) | instid1(VALU_DEP_3)
	v_add_nc_u32_e32 v24, v22, v72
	v_sub_nc_u32_e32 v22, v22, v4
	v_add_nc_u32_e32 v5, v5, v1
	v_sub_co_u32 v72, s0, s30, v1
	v_add_nc_u32_e32 v22, v22, v1
	v_add_nc_u32_e32 v21, v20, v75
	v_sub_nc_u32_e32 v20, v20, v3
	s_delay_alu instid0(VALU_DEP_2)
	v_add_nc_u32_e32 v23, v21, v71
	v_add_nc_u32_e32 v71, v24, v74
	v_lshlrev_b32_e32 v74, 1, v1
	v_sub_nc_u32_e32 v21, v21, v3
	v_add_nc_u32_e32 v75, v20, v5
	v_sub_nc_u32_e32 v24, v24, v4
	s_delay_alu instid0(VALU_DEP_4) | instskip(NEXT) | instid1(VALU_DEP_4)
	v_add3_u32 v28, v74, v2, v28
	v_add_nc_u32_e32 v76, v22, v21
	s_delay_alu instid0(VALU_DEP_3) | instskip(NEXT) | instid1(VALU_DEP_3)
	v_add_nc_u32_e32 v24, v24, v1
	v_sub_nc_u32_e32 v75, v28, v75
	s_delay_alu instid0(VALU_DEP_3) | instskip(NEXT) | instid1(VALU_DEP_1)
	v_sub_nc_u32_e32 v76, v28, v76
	v_dual_cndmask_b32 v5, v75, v5 :: v_dual_add_nc_u32 v30, 1, v76
	v_cmp_eq_u32_e32 vcc_lo, 1, v34
	s_delay_alu instid0(VALU_DEP_2) | instskip(SKIP_1) | instid1(VALU_DEP_4)
	v_cndmask_b32_e32 v22, v30, v22, vcc_lo
	v_cmp_eq_u32_e32 vcc_lo, 1, v29
	v_cndmask_b32_e32 v5, v5, v20, vcc_lo
	v_and_b32_e32 v20, 1, v36
	v_cmp_eq_u32_e32 vcc_lo, 1, v33
	s_delay_alu instid0(VALU_DEP_3) | instskip(SKIP_1) | instid1(VALU_DEP_4)
	v_lshlrev_b32_e32 v5, 2, v5
	v_cndmask_b32_e32 v21, v22, v21, vcc_lo
	v_cmp_eq_u32_e32 vcc_lo, 1, v20
	v_add_nc_u32_e32 v25, v23, v73
	v_sub_nc_u32_e32 v23, v23, v3
	v_and_b32_e32 v22, 1, v31
	v_sub_co_ci_u32_e64 v73, null, s31, 0, s0
	v_and_b32_e32 v31, 1, v32
	s_delay_alu instid0(VALU_DEP_4) | instskip(NEXT) | instid1(VALU_DEP_1)
	v_add_nc_u32_e32 v77, v24, v23
	v_sub_nc_u32_e32 v75, v28, v77
	s_delay_alu instid0(VALU_DEP_1) | instskip(NEXT) | instid1(VALU_DEP_1)
	v_add_nc_u32_e32 v29, 2, v75
	v_cndmask_b32_e32 v20, v29, v24, vcc_lo
	v_sub_nc_u32_e32 v24, v71, v4
	v_cmp_eq_u32_e32 vcc_lo, 1, v22
	v_add_nc_u32_e32 v69, v25, v69
	v_lshlrev_b32_e32 v29, 2, v21
	ds_store_b32 v5, v16
	ds_store_b32 v29, v17
	v_cndmask_b32_e32 v22, v20, v23, vcc_lo
	v_sub_nc_u32_e32 v23, v25, v3
	v_add_nc_u32_e32 v24, v24, v1
	v_add_co_u32 v20, vcc_lo, v72, v4
	s_delay_alu instid0(VALU_DEP_4) | instskip(SKIP_1) | instid1(VALU_DEP_4)
	v_lshlrev_b32_e32 v5, 2, v22
	v_and_b32_e32 v22, 1, v35
	v_add_nc_u32_e32 v25, v23, v24
	v_add_co_ci_u32_e32 v21, vcc_lo, 0, v73, vcc_lo
	ds_store_b32 v5, v14
	v_cmp_eq_u32_e32 vcc_lo, 1, v22
	v_sub_nc_u32_e32 v17, v28, v25
	v_sub_nc_u32_e32 v29, v69, v3
	v_add_nc_u32_e32 v67, v69, v67
	s_delay_alu instid0(VALU_DEP_3) | instskip(NEXT) | instid1(VALU_DEP_2)
	v_add_nc_u32_e32 v17, 3, v17
	v_sub_nc_u32_e32 v30, v67, v3
	s_delay_alu instid0(VALU_DEP_2) | instskip(SKIP_2) | instid1(VALU_DEP_3)
	v_cndmask_b32_e32 v17, v17, v24, vcc_lo
	v_cmp_eq_u32_e32 vcc_lo, 1, v31
	v_and_b32_e32 v24, 1, v39
	v_cndmask_b32_e32 v14, v17, v23, vcc_lo
	v_add_nc_u32_e32 v70, v71, v70
	v_and_b32_e32 v23, 1, v38
	s_delay_alu instid0(VALU_DEP_3) | instskip(NEXT) | instid1(VALU_DEP_3)
	v_lshlrev_b32_e32 v14, 2, v14
	v_add_nc_u32_e32 v68, v70, v68
	v_sub_nc_u32_e32 v16, v70, v4
	ds_store_b32 v14, v15
	v_sub_nc_u32_e32 v25, v68, v4
	v_add_nc_u32_e32 v16, v16, v1
	s_delay_alu instid0(VALU_DEP_2) | instskip(NEXT) | instid1(VALU_DEP_2)
	v_add_nc_u32_e32 v25, v25, v1
	v_add_nc_u32_e32 v32, v29, v16
	s_delay_alu instid0(VALU_DEP_2) | instskip(NEXT) | instid1(VALU_DEP_2)
	v_add_nc_u32_e32 v22, v30, v25
	v_sub_nc_u32_e32 v5, v28, v32
	s_delay_alu instid0(VALU_DEP_2) | instskip(SKIP_1) | instid1(VALU_DEP_3)
	v_sub_nc_u32_e32 v17, v28, v22
	v_and_b32_e32 v22, 1, v37
	v_add_nc_u32_e32 v5, 4, v5
	s_delay_alu instid0(VALU_DEP_3) | instskip(NEXT) | instid1(VALU_DEP_3)
	v_add_nc_u32_e32 v17, 5, v17
	v_cmp_eq_u32_e32 vcc_lo, 1, v22
	s_delay_alu instid0(VALU_DEP_3)
	v_cndmask_b32_e32 v5, v5, v16, vcc_lo
	v_cmp_eq_u32_e32 vcc_lo, 1, v24
	v_and_b32_e32 v16, 1, v41
	v_cndmask_b32_e32 v17, v17, v25, vcc_lo
	v_cmp_eq_u32_e32 vcc_lo, 1, v23
	v_cndmask_b32_e32 v5, v5, v29, vcc_lo
	s_delay_alu instid0(VALU_DEP_4) | instskip(SKIP_1) | instid1(VALU_DEP_3)
	v_cmp_eq_u32_e32 vcc_lo, 1, v16
	v_add_nc_u32_e32 v66, v68, v66
	v_dual_cndmask_b32 v16, v17, v30 :: v_dual_lshlrev_b32 v5, 2, v5
	s_delay_alu instid0(VALU_DEP_2) | instskip(SKIP_1) | instid1(VALU_DEP_3)
	v_sub_nc_u32_e32 v22, v66, v4
	v_add_nc_u32_e32 v62, v66, v62
	v_lshlrev_b32_e32 v16, 2, v16
	ds_store_b32 v5, v12
	ds_store_b32 v16, v13
	v_and_b32_e32 v12, 1, v40
	v_add_nc_u32_e32 v22, v22, v1
	v_add_nc_u32_e32 v64, v62, v64
	v_sub_nc_u32_e32 v17, v62, v4
	v_and_b32_e32 v16, 1, v43
	v_cmp_eq_u32_e32 vcc_lo, 1, v12
	v_add_nc_u32_e32 v65, v67, v65
	v_sub_nc_u32_e32 v15, v64, v4
	v_add_nc_u32_e32 v17, v17, v1
	s_delay_alu instid0(VALU_DEP_3) | instskip(NEXT) | instid1(VALU_DEP_3)
	v_sub_nc_u32_e32 v23, v65, v3
	v_add_nc_u32_e32 v15, v15, v1
	s_delay_alu instid0(VALU_DEP_2) | instskip(NEXT) | instid1(VALU_DEP_1)
	v_add_nc_u32_e32 v24, v23, v22
	v_sub_nc_u32_e32 v14, v28, v24
	v_and_b32_e32 v24, 1, v48
	s_delay_alu instid0(VALU_DEP_2) | instskip(SKIP_1) | instid1(VALU_DEP_2)
	v_add_nc_u32_e32 v13, 6, v14
	v_and_b32_e32 v14, 1, v42
	v_cndmask_b32_e32 v12, v13, v22, vcc_lo
	v_add_nc_u32_e32 v61, v65, v61
	s_delay_alu instid0(VALU_DEP_3) | instskip(SKIP_1) | instid1(VALU_DEP_3)
	v_cmp_eq_u32_e32 vcc_lo, 1, v14
	v_and_b32_e32 v22, 1, v44
	v_sub_nc_u32_e32 v25, v61, v3
	v_add_nc_u32_e32 v63, v61, v63
	v_cndmask_b32_e32 v12, v12, v23, vcc_lo
	v_cmp_eq_u32_e32 vcc_lo, 1, v16
	v_and_b32_e32 v23, 1, v46
	v_add_nc_u32_e32 v5, v25, v17
	v_sub_nc_u32_e32 v13, v63, v3
	v_lshlrev_b32_e32 v12, 2, v12
	v_add_nc_u32_e32 v59, v63, v59
	s_delay_alu instid0(VALU_DEP_4) | instskip(NEXT) | instid1(VALU_DEP_4)
	v_sub_nc_u32_e32 v5, v28, v5
	v_add_nc_u32_e32 v14, v13, v15
	s_delay_alu instid0(VALU_DEP_3) | instskip(NEXT) | instid1(VALU_DEP_3)
	v_add_nc_u32_e32 v57, v59, v57
	v_add_nc_u32_e32 v5, 7, v5
	s_delay_alu instid0(VALU_DEP_3) | instskip(NEXT) | instid1(VALU_DEP_3)
	v_sub_nc_u32_e32 v14, v28, v14
	v_add_nc_u32_e32 v55, v57, v55
	s_delay_alu instid0(VALU_DEP_3)
	v_cndmask_b32_e32 v5, v5, v17, vcc_lo
	v_cmp_eq_u32_e32 vcc_lo, 1, v22
	v_and_b32_e32 v17, 1, v45
	v_add_nc_u32_e32 v14, 8, v14
	v_sub_nc_u32_e32 v22, v59, v3
	v_add_nc_u32_e32 v53, v55, v53
	v_cndmask_b32_e32 v5, v5, v25, vcc_lo
	v_cmp_eq_u32_e32 vcc_lo, 1, v17
	v_sub_nc_u32_e32 v17, v55, v3
	v_and_b32_e32 v25, 1, v52
	s_delay_alu instid0(VALU_DEP_4)
	v_dual_cndmask_b32 v14, v14, v15 :: v_dual_lshlrev_b32 v5, 2, v5
	v_cmp_eq_u32_e32 vcc_lo, 1, v23
	v_add_nc_u32_e32 v60, v64, v60
	ds_store_b32 v12, v10
	ds_store_b32 v5, v11
	v_and_b32_e32 v11, 1, v49
	v_cndmask_b32_e32 v5, v14, v13, vcc_lo
	v_sub_nc_u32_e32 v16, v60, v4
	v_add_nc_u32_e32 v58, v60, v58
	v_and_b32_e32 v13, 1, v47
	s_delay_alu instid0(VALU_DEP_4) | instskip(NEXT) | instid1(VALU_DEP_4)
	v_lshlrev_b32_e32 v5, 2, v5
	v_add_nc_u32_e32 v16, v16, v1
	s_delay_alu instid0(VALU_DEP_4) | instskip(SKIP_2) | instid1(VALU_DEP_4)
	v_add_nc_u32_e32 v56, v58, v56
	v_sub_nc_u32_e32 v12, v58, v4
	v_cmp_eq_u32_e32 vcc_lo, 1, v13
	v_add_nc_u32_e32 v15, v22, v16
	s_delay_alu instid0(VALU_DEP_4) | instskip(NEXT) | instid1(VALU_DEP_4)
	v_sub_nc_u32_e32 v14, v56, v4
	v_add_nc_u32_e32 v12, v12, v1
	v_add_nc_u32_e32 v54, v56, v54
	s_delay_alu instid0(VALU_DEP_4) | instskip(SKIP_2) | instid1(VALU_DEP_4)
	v_sub_nc_u32_e32 v10, v28, v15
	v_sub_nc_u32_e32 v15, v57, v3
	v_add_nc_u32_e32 v14, v14, v1
	v_sub_nc_u32_e32 v23, v54, v4
	v_sub_nc_u32_e32 v3, v53, v3
	v_add_nc_u32_e32 v10, 9, v10
	v_add_nc_u32_e32 v13, v15, v12
	s_delay_alu instid0(VALU_DEP_2) | instskip(SKIP_2) | instid1(VALU_DEP_4)
	v_dual_cndmask_b32 v10, v10, v16 :: v_dual_add_nc_u32 v23, v23, v1
	v_add_nc_u32_e32 v16, v17, v14
	v_cmp_eq_u32_e32 vcc_lo, 1, v11
	v_sub_nc_u32_e32 v11, v28, v13
	v_and_b32_e32 v13, 1, v50
	s_delay_alu instid0(VALU_DEP_4) | instskip(NEXT) | instid1(VALU_DEP_3)
	v_sub_nc_u32_e32 v16, v28, v16
	v_dual_cndmask_b32 v10, v10, v22 :: v_dual_add_nc_u32 v11, 10, v11
	v_cmp_eq_u32_e32 vcc_lo, 1, v24
	v_add_nc_u32_e32 v22, v3, v23
	s_delay_alu instid0(VALU_DEP_4) | instskip(NEXT) | instid1(VALU_DEP_4)
	v_add_nc_u32_e32 v16, 11, v16
	v_dual_cndmask_b32 v11, v11, v12 :: v_dual_lshlrev_b32 v10, 2, v10
	v_cmp_eq_u32_e32 vcc_lo, 1, v25
	s_delay_alu instid0(VALU_DEP_4) | instskip(SKIP_3) | instid1(VALU_DEP_4)
	v_sub_nc_u32_e32 v22, v28, v22
	v_and_b32_e32 v12, 1, v51
	v_cndmask_b32_e32 v14, v16, v14, vcc_lo
	v_cmp_eq_u32_e32 vcc_lo, 1, v13
	v_dual_cndmask_b32 v11, v11, v15 :: v_dual_add_nc_u32 v16, 12, v22
	s_delay_alu instid0(VALU_DEP_4) | instskip(NEXT) | instid1(VALU_DEP_2)
	v_cmp_eq_u32_e32 vcc_lo, 1, v12
	v_cndmask_b32_e64 v13, v16, v23, s43
	s_delay_alu instid0(VALU_DEP_3) | instskip(NEXT) | instid1(VALU_DEP_2)
	v_dual_cndmask_b32 v12, v14, v17 :: v_dual_lshlrev_b32 v11, 2, v11
	v_cndmask_b32_e64 v3, v13, v3, s42
	s_delay_alu instid0(VALU_DEP_2)
	v_lshlrev_b32_e32 v12, 2, v12
	ds_store_b32 v5, v8
	ds_store_b32 v10, v9
	;; [unrolled: 1-line block ×4, first 2 shown]
	v_lshlrev_b32_e32 v3, 2, v3
	v_add_co_u32 v5, s0, v2, v74
	s_delay_alu instid0(VALU_DEP_1) | instskip(SKIP_4) | instid1(VALU_DEP_2)
	v_add_co_ci_u32_e64 v6, null, 0, 0, s0
	ds_store_b32 v3, v27
	v_add_co_u32 v3, vcc_lo, v5, v20
	v_add_co_ci_u32_e32 v5, vcc_lo, v6, v21, vcc_lo
	s_add_u32 s0, s34, s33
	v_add_co_u32 v3, vcc_lo, v3, v18
	s_delay_alu instid0(VALU_DEP_2) | instskip(SKIP_1) | instid1(VALU_DEP_2)
	v_add_co_ci_u32_e32 v5, vcc_lo, v5, v19, vcc_lo
	s_addc_u32 s1, s35, 0
	v_sub_co_u32 v3, vcc_lo, s0, v3
	s_delay_alu instid0(VALU_DEP_2)
	v_sub_co_ci_u32_e32 v9, vcc_lo, s1, v5, vcc_lo
	v_lshlrev_b64 v[5:6], 2, v[20:21]
	v_lshlrev_b64 v[7:8], 2, v[18:19]
	v_add_nc_u32_e32 v10, v1, v2
	s_add_u32 s1, s26, -4
	s_waitcnt lgkmcnt(0)
	s_barrier
	v_add_co_u32 v5, vcc_lo, s38, v5
	v_add_co_ci_u32_e32 v6, vcc_lo, s39, v6, vcc_lo
	v_cmp_ne_u32_e32 vcc_lo, 1, v26
	v_add_co_u32 v7, s0, s36, v7
	s_delay_alu instid0(VALU_DEP_1)
	v_add_co_ci_u32_e64 v8, s0, s37, v8, s0
	s_addc_u32 s0, s27, -1
	buffer_gl0_inv
	s_cbranch_vccz .LBB972_133
; %bb.130:
	s_and_b32 vcc_lo, exec_lo, s2
	s_cbranch_vccnz .LBB972_238
.LBB972_131:
	v_cmp_eq_u32_e32 vcc_lo, 0, v0
	s_and_b32 s0, vcc_lo, s14
	s_delay_alu instid0(SALU_CYCLE_1)
	s_and_saveexec_b32 s1, s0
	s_cbranch_execnz .LBB972_356
.LBB972_132:
	s_nop 0
	s_sendmsg sendmsg(MSG_DEALLOC_VGPRS)
	s_endpgm
.LBB972_133:
	s_mov_b32 s2, exec_lo
	v_cmpx_le_u32_e64 v1, v0
	s_xor_b32 s2, exec_lo, s2
	s_cbranch_execz .LBB972_139
; %bb.134:
	s_mov_b32 s4, exec_lo
	v_cmpx_le_u32_e64 v10, v0
	s_xor_b32 s4, exec_lo, s4
	s_cbranch_execz .LBB972_136
; %bb.135:
	v_lshlrev_b32_e32 v11, 2, v0
	ds_load_b32 v13, v11
	v_add_co_u32 v11, vcc_lo, v3, v0
	v_add_co_ci_u32_e32 v12, vcc_lo, 0, v9, vcc_lo
	s_delay_alu instid0(VALU_DEP_1) | instskip(NEXT) | instid1(VALU_DEP_1)
	v_lshlrev_b64 v[11:12], 2, v[11:12]
	v_sub_co_u32 v11, vcc_lo, s26, v11
	s_delay_alu instid0(VALU_DEP_2)
	v_sub_co_ci_u32_e32 v12, vcc_lo, s27, v12, vcc_lo
	s_waitcnt lgkmcnt(0)
	global_store_b32 v[11:12], v13, off offset:-4
.LBB972_136:
	s_and_not1_saveexec_b32 s4, s4
	s_cbranch_execz .LBB972_138
; %bb.137:
	v_lshlrev_b32_e32 v11, 2, v0
	v_readfirstlane_b32 s6, v5
	v_readfirstlane_b32 s7, v6
	ds_load_b32 v12, v11
	s_waitcnt lgkmcnt(0)
	global_store_b32 v11, v12, s[6:7]
.LBB972_138:
	s_or_b32 exec_lo, exec_lo, s4
.LBB972_139:
	s_and_not1_saveexec_b32 s2, s2
	s_cbranch_execz .LBB972_141
; %bb.140:
	v_lshlrev_b32_e32 v11, 2, v0
	v_readfirstlane_b32 s4, v7
	v_readfirstlane_b32 s5, v8
	ds_load_b32 v12, v11
	s_waitcnt lgkmcnt(0)
	global_store_b32 v11, v12, s[4:5]
.LBB972_141:
	s_or_b32 exec_lo, exec_lo, s2
	v_or_b32_e32 v11, 0x100, v0
	s_mov_b32 s2, exec_lo
	s_delay_alu instid0(VALU_DEP_1)
	v_cmpx_le_u32_e64 v1, v11
	s_xor_b32 s2, exec_lo, s2
	s_cbranch_execz .LBB972_147
; %bb.142:
	s_mov_b32 s4, exec_lo
	v_cmpx_le_u32_e64 v10, v11
	s_xor_b32 s4, exec_lo, s4
	s_cbranch_execz .LBB972_144
; %bb.143:
	v_lshlrev_b32_e32 v11, 2, v0
	ds_load_b32 v13, v11 offset:1024
	v_add_co_u32 v11, vcc_lo, v3, v0
	v_add_co_ci_u32_e32 v12, vcc_lo, 0, v9, vcc_lo
	s_delay_alu instid0(VALU_DEP_1) | instskip(NEXT) | instid1(VALU_DEP_1)
	v_lshlrev_b64 v[11:12], 2, v[11:12]
	v_sub_co_u32 v11, vcc_lo, s1, v11
	s_delay_alu instid0(VALU_DEP_2)
	v_sub_co_ci_u32_e32 v12, vcc_lo, s0, v12, vcc_lo
	s_waitcnt lgkmcnt(0)
	global_store_b32 v[11:12], v13, off offset:-1024
.LBB972_144:
	s_and_not1_saveexec_b32 s4, s4
	s_cbranch_execz .LBB972_146
; %bb.145:
	v_lshlrev_b32_e32 v11, 2, v0
	v_readfirstlane_b32 s6, v5
	v_readfirstlane_b32 s7, v6
	ds_load_b32 v12, v11 offset:1024
	s_waitcnt lgkmcnt(0)
	global_store_b32 v11, v12, s[6:7] offset:1024
.LBB972_146:
	s_or_b32 exec_lo, exec_lo, s4
.LBB972_147:
	s_and_not1_saveexec_b32 s2, s2
	s_cbranch_execz .LBB972_149
; %bb.148:
	v_lshlrev_b32_e32 v11, 2, v0
	v_readfirstlane_b32 s4, v7
	v_readfirstlane_b32 s5, v8
	ds_load_b32 v12, v11 offset:1024
	s_waitcnt lgkmcnt(0)
	global_store_b32 v11, v12, s[4:5] offset:1024
.LBB972_149:
	s_or_b32 exec_lo, exec_lo, s2
	v_or_b32_e32 v11, 0x200, v0
	s_mov_b32 s2, exec_lo
	s_delay_alu instid0(VALU_DEP_1)
	v_cmpx_le_u32_e64 v1, v11
	s_xor_b32 s2, exec_lo, s2
	s_cbranch_execz .LBB972_155
; %bb.150:
	s_mov_b32 s4, exec_lo
	v_cmpx_le_u32_e64 v10, v11
	s_xor_b32 s4, exec_lo, s4
	s_cbranch_execz .LBB972_152
; %bb.151:
	v_lshlrev_b32_e32 v11, 2, v0
	ds_load_b32 v13, v11 offset:2048
	v_add_co_u32 v11, vcc_lo, v3, v0
	v_add_co_ci_u32_e32 v12, vcc_lo, 0, v9, vcc_lo
	s_delay_alu instid0(VALU_DEP_1) | instskip(NEXT) | instid1(VALU_DEP_1)
	v_lshlrev_b64 v[11:12], 2, v[11:12]
	v_sub_co_u32 v11, vcc_lo, s1, v11
	s_delay_alu instid0(VALU_DEP_2)
	v_sub_co_ci_u32_e32 v12, vcc_lo, s0, v12, vcc_lo
	s_waitcnt lgkmcnt(0)
	global_store_b32 v[11:12], v13, off offset:-2048
.LBB972_152:
	s_and_not1_saveexec_b32 s4, s4
	s_cbranch_execz .LBB972_154
; %bb.153:
	v_lshlrev_b32_e32 v11, 2, v0
	v_readfirstlane_b32 s6, v5
	v_readfirstlane_b32 s7, v6
	ds_load_b32 v12, v11 offset:2048
	s_waitcnt lgkmcnt(0)
	global_store_b32 v11, v12, s[6:7] offset:2048
.LBB972_154:
	s_or_b32 exec_lo, exec_lo, s4
.LBB972_155:
	s_and_not1_saveexec_b32 s2, s2
	s_cbranch_execz .LBB972_157
; %bb.156:
	v_lshlrev_b32_e32 v11, 2, v0
	v_readfirstlane_b32 s4, v7
	v_readfirstlane_b32 s5, v8
	ds_load_b32 v12, v11 offset:2048
	s_waitcnt lgkmcnt(0)
	global_store_b32 v11, v12, s[4:5] offset:2048
.LBB972_157:
	;; [unrolled: 47-line block ×3, first 2 shown]
	s_or_b32 exec_lo, exec_lo, s2
	v_or_b32_e32 v11, 0x400, v0
	s_mov_b32 s2, exec_lo
	s_delay_alu instid0(VALU_DEP_1)
	v_cmpx_le_u32_e64 v1, v11
	s_xor_b32 s2, exec_lo, s2
	s_cbranch_execz .LBB972_171
; %bb.166:
	s_mov_b32 s4, exec_lo
	v_cmpx_le_u32_e64 v10, v11
	s_xor_b32 s4, exec_lo, s4
	s_cbranch_execz .LBB972_168
; %bb.167:
	v_lshlrev_b32_e32 v11, 2, v0
	ds_load_b32 v13, v11 offset:4096
	v_add_co_u32 v11, vcc_lo, v3, v0
	v_add_co_ci_u32_e32 v12, vcc_lo, 0, v9, vcc_lo
	s_delay_alu instid0(VALU_DEP_1) | instskip(NEXT) | instid1(VALU_DEP_1)
	v_lshlrev_b64 v[11:12], 2, v[11:12]
	v_sub_co_u32 v11, vcc_lo, s1, v11
	s_delay_alu instid0(VALU_DEP_2)
	v_sub_co_ci_u32_e32 v12, vcc_lo, s0, v12, vcc_lo
	s_waitcnt lgkmcnt(0)
	global_store_b32 v[11:12], v13, off offset:-4096
                                        ; implicit-def: $vgpr11
.LBB972_168:
	s_and_not1_saveexec_b32 s4, s4
	s_cbranch_execz .LBB972_170
; %bb.169:
	v_lshlrev_b32_e32 v12, 2, v0
	v_lshlrev_b32_e32 v11, 2, v11
	v_readfirstlane_b32 s6, v5
	v_readfirstlane_b32 s7, v6
	ds_load_b32 v12, v12 offset:4096
	s_waitcnt lgkmcnt(0)
	global_store_b32 v11, v12, s[6:7]
.LBB972_170:
	s_or_b32 exec_lo, exec_lo, s4
                                        ; implicit-def: $vgpr11
.LBB972_171:
	s_and_not1_saveexec_b32 s2, s2
	s_cbranch_execz .LBB972_173
; %bb.172:
	v_lshlrev_b32_e32 v12, 2, v0
	v_lshlrev_b32_e32 v11, 2, v11
	v_readfirstlane_b32 s4, v7
	v_readfirstlane_b32 s5, v8
	ds_load_b32 v12, v12 offset:4096
	s_waitcnt lgkmcnt(0)
	global_store_b32 v11, v12, s[4:5]
.LBB972_173:
	s_or_b32 exec_lo, exec_lo, s2
	v_or_b32_e32 v11, 0x500, v0
	s_mov_b32 s2, exec_lo
	s_delay_alu instid0(VALU_DEP_1)
	v_cmpx_le_u32_e64 v1, v11
	s_xor_b32 s2, exec_lo, s2
	s_cbranch_execz .LBB972_179
; %bb.174:
	s_mov_b32 s4, exec_lo
	v_cmpx_le_u32_e64 v10, v11
	s_xor_b32 s4, exec_lo, s4
	s_cbranch_execz .LBB972_176
; %bb.175:
	v_lshlrev_b32_e32 v12, 2, v0
	v_add_co_u32 v11, vcc_lo, v3, v11
	ds_load_b32 v13, v12 offset:5120
	v_add_co_ci_u32_e32 v12, vcc_lo, 0, v9, vcc_lo
	s_delay_alu instid0(VALU_DEP_1) | instskip(NEXT) | instid1(VALU_DEP_1)
	v_lshlrev_b64 v[11:12], 2, v[11:12]
	v_sub_co_u32 v11, vcc_lo, s1, v11
	s_delay_alu instid0(VALU_DEP_2)
	v_sub_co_ci_u32_e32 v12, vcc_lo, s0, v12, vcc_lo
	s_waitcnt lgkmcnt(0)
	global_store_b32 v[11:12], v13, off
                                        ; implicit-def: $vgpr11
.LBB972_176:
	s_and_not1_saveexec_b32 s4, s4
	s_cbranch_execz .LBB972_178
; %bb.177:
	v_lshlrev_b32_e32 v12, 2, v0
	v_lshlrev_b32_e32 v11, 2, v11
	v_readfirstlane_b32 s6, v5
	v_readfirstlane_b32 s7, v6
	ds_load_b32 v12, v12 offset:5120
	s_waitcnt lgkmcnt(0)
	global_store_b32 v11, v12, s[6:7]
.LBB972_178:
	s_or_b32 exec_lo, exec_lo, s4
                                        ; implicit-def: $vgpr11
.LBB972_179:
	s_and_not1_saveexec_b32 s2, s2
	s_cbranch_execz .LBB972_181
; %bb.180:
	v_lshlrev_b32_e32 v12, 2, v0
	v_lshlrev_b32_e32 v11, 2, v11
	v_readfirstlane_b32 s4, v7
	v_readfirstlane_b32 s5, v8
	ds_load_b32 v12, v12 offset:5120
	s_waitcnt lgkmcnt(0)
	global_store_b32 v11, v12, s[4:5]
.LBB972_181:
	s_or_b32 exec_lo, exec_lo, s2
	v_or_b32_e32 v11, 0x600, v0
	s_mov_b32 s2, exec_lo
	s_delay_alu instid0(VALU_DEP_1)
	v_cmpx_le_u32_e64 v1, v11
	s_xor_b32 s2, exec_lo, s2
	s_cbranch_execz .LBB972_187
; %bb.182:
	s_mov_b32 s4, exec_lo
	v_cmpx_le_u32_e64 v10, v11
	s_xor_b32 s4, exec_lo, s4
	s_cbranch_execz .LBB972_184
; %bb.183:
	v_lshlrev_b32_e32 v12, 2, v0
	v_add_co_u32 v11, vcc_lo, v3, v11
	ds_load_b32 v13, v12 offset:6144
	v_add_co_ci_u32_e32 v12, vcc_lo, 0, v9, vcc_lo
	s_delay_alu instid0(VALU_DEP_1) | instskip(NEXT) | instid1(VALU_DEP_1)
	v_lshlrev_b64 v[11:12], 2, v[11:12]
	v_sub_co_u32 v11, vcc_lo, s1, v11
	s_delay_alu instid0(VALU_DEP_2)
	v_sub_co_ci_u32_e32 v12, vcc_lo, s0, v12, vcc_lo
	s_waitcnt lgkmcnt(0)
	global_store_b32 v[11:12], v13, off
                                        ; implicit-def: $vgpr11
.LBB972_184:
	s_and_not1_saveexec_b32 s4, s4
	s_cbranch_execz .LBB972_186
; %bb.185:
	v_lshlrev_b32_e32 v12, 2, v0
	v_lshlrev_b32_e32 v11, 2, v11
	v_readfirstlane_b32 s6, v5
	v_readfirstlane_b32 s7, v6
	ds_load_b32 v12, v12 offset:6144
	s_waitcnt lgkmcnt(0)
	global_store_b32 v11, v12, s[6:7]
.LBB972_186:
	s_or_b32 exec_lo, exec_lo, s4
                                        ; implicit-def: $vgpr11
.LBB972_187:
	;; [unrolled: 51-line block ×8, first 2 shown]
	s_and_not1_saveexec_b32 s2, s2
	s_cbranch_execz .LBB972_237
; %bb.236:
	v_lshlrev_b32_e32 v12, 2, v0
	v_lshlrev_b32_e32 v11, 2, v11
	v_readfirstlane_b32 s4, v7
	v_readfirstlane_b32 s5, v8
	ds_load_b32 v12, v12 offset:12288
	s_waitcnt lgkmcnt(0)
	global_store_b32 v11, v12, s[4:5]
.LBB972_237:
	s_or_b32 exec_lo, exec_lo, s2
	s_branch .LBB972_131
.LBB972_238:
	s_mov_b32 s2, exec_lo
	v_cmpx_gt_u32_e64 s3, v0
	s_cbranch_execz .LBB972_247
; %bb.239:
	s_mov_b32 s4, exec_lo
	v_cmpx_le_u32_e64 v1, v0
	s_xor_b32 s4, exec_lo, s4
	s_cbranch_execz .LBB972_245
; %bb.240:
	s_mov_b32 s5, exec_lo
	v_cmpx_le_u32_e64 v10, v0
	s_xor_b32 s5, exec_lo, s5
	s_cbranch_execz .LBB972_242
; %bb.241:
	v_lshlrev_b32_e32 v11, 2, v0
	ds_load_b32 v13, v11
	v_add_co_u32 v11, vcc_lo, v3, v0
	v_add_co_ci_u32_e32 v12, vcc_lo, 0, v9, vcc_lo
	s_delay_alu instid0(VALU_DEP_1) | instskip(NEXT) | instid1(VALU_DEP_1)
	v_lshlrev_b64 v[11:12], 2, v[11:12]
	v_sub_co_u32 v11, vcc_lo, s26, v11
	s_delay_alu instid0(VALU_DEP_2)
	v_sub_co_ci_u32_e32 v12, vcc_lo, s27, v12, vcc_lo
	s_waitcnt lgkmcnt(0)
	global_store_b32 v[11:12], v13, off offset:-4
.LBB972_242:
	s_and_not1_saveexec_b32 s5, s5
	s_cbranch_execz .LBB972_244
; %bb.243:
	v_lshlrev_b32_e32 v11, 2, v0
	v_readfirstlane_b32 s6, v5
	v_readfirstlane_b32 s7, v6
	ds_load_b32 v12, v11
	s_waitcnt lgkmcnt(0)
	global_store_b32 v11, v12, s[6:7]
.LBB972_244:
	s_or_b32 exec_lo, exec_lo, s5
.LBB972_245:
	s_and_not1_saveexec_b32 s4, s4
	s_cbranch_execz .LBB972_247
; %bb.246:
	v_lshlrev_b32_e32 v11, 2, v0
	v_readfirstlane_b32 s4, v7
	v_readfirstlane_b32 s5, v8
	ds_load_b32 v12, v11
	s_waitcnt lgkmcnt(0)
	global_store_b32 v11, v12, s[4:5]
.LBB972_247:
	s_or_b32 exec_lo, exec_lo, s2
	v_or_b32_e32 v11, 0x100, v0
	s_mov_b32 s2, exec_lo
	s_delay_alu instid0(VALU_DEP_1)
	v_cmpx_gt_u32_e64 s3, v11
	s_cbranch_execz .LBB972_256
; %bb.248:
	s_mov_b32 s4, exec_lo
	v_cmpx_le_u32_e64 v1, v11
	s_xor_b32 s4, exec_lo, s4
	s_cbranch_execz .LBB972_254
; %bb.249:
	s_mov_b32 s5, exec_lo
	v_cmpx_le_u32_e64 v10, v11
	s_xor_b32 s5, exec_lo, s5
	s_cbranch_execz .LBB972_251
; %bb.250:
	v_lshlrev_b32_e32 v11, 2, v0
	ds_load_b32 v13, v11 offset:1024
	v_add_co_u32 v11, vcc_lo, v3, v0
	v_add_co_ci_u32_e32 v12, vcc_lo, 0, v9, vcc_lo
	s_delay_alu instid0(VALU_DEP_1) | instskip(NEXT) | instid1(VALU_DEP_1)
	v_lshlrev_b64 v[11:12], 2, v[11:12]
	v_sub_co_u32 v11, vcc_lo, s1, v11
	s_delay_alu instid0(VALU_DEP_2)
	v_sub_co_ci_u32_e32 v12, vcc_lo, s0, v12, vcc_lo
	s_waitcnt lgkmcnt(0)
	global_store_b32 v[11:12], v13, off offset:-1024
.LBB972_251:
	s_and_not1_saveexec_b32 s5, s5
	s_cbranch_execz .LBB972_253
; %bb.252:
	v_lshlrev_b32_e32 v11, 2, v0
	v_readfirstlane_b32 s6, v5
	v_readfirstlane_b32 s7, v6
	ds_load_b32 v12, v11 offset:1024
	s_waitcnt lgkmcnt(0)
	global_store_b32 v11, v12, s[6:7] offset:1024
.LBB972_253:
	s_or_b32 exec_lo, exec_lo, s5
.LBB972_254:
	s_and_not1_saveexec_b32 s4, s4
	s_cbranch_execz .LBB972_256
; %bb.255:
	v_lshlrev_b32_e32 v11, 2, v0
	v_readfirstlane_b32 s4, v7
	v_readfirstlane_b32 s5, v8
	ds_load_b32 v12, v11 offset:1024
	s_waitcnt lgkmcnt(0)
	global_store_b32 v11, v12, s[4:5] offset:1024
.LBB972_256:
	s_or_b32 exec_lo, exec_lo, s2
	v_or_b32_e32 v11, 0x200, v0
	s_mov_b32 s2, exec_lo
	s_delay_alu instid0(VALU_DEP_1)
	v_cmpx_gt_u32_e64 s3, v11
	s_cbranch_execz .LBB972_265
; %bb.257:
	s_mov_b32 s4, exec_lo
	v_cmpx_le_u32_e64 v1, v11
	s_xor_b32 s4, exec_lo, s4
	s_cbranch_execz .LBB972_263
; %bb.258:
	s_mov_b32 s5, exec_lo
	v_cmpx_le_u32_e64 v10, v11
	s_xor_b32 s5, exec_lo, s5
	s_cbranch_execz .LBB972_260
; %bb.259:
	v_lshlrev_b32_e32 v11, 2, v0
	ds_load_b32 v13, v11 offset:2048
	v_add_co_u32 v11, vcc_lo, v3, v0
	v_add_co_ci_u32_e32 v12, vcc_lo, 0, v9, vcc_lo
	s_delay_alu instid0(VALU_DEP_1) | instskip(NEXT) | instid1(VALU_DEP_1)
	v_lshlrev_b64 v[11:12], 2, v[11:12]
	v_sub_co_u32 v11, vcc_lo, s1, v11
	s_delay_alu instid0(VALU_DEP_2)
	v_sub_co_ci_u32_e32 v12, vcc_lo, s0, v12, vcc_lo
	s_waitcnt lgkmcnt(0)
	global_store_b32 v[11:12], v13, off offset:-2048
.LBB972_260:
	s_and_not1_saveexec_b32 s5, s5
	s_cbranch_execz .LBB972_262
; %bb.261:
	v_lshlrev_b32_e32 v11, 2, v0
	v_readfirstlane_b32 s6, v5
	v_readfirstlane_b32 s7, v6
	ds_load_b32 v12, v11 offset:2048
	s_waitcnt lgkmcnt(0)
	global_store_b32 v11, v12, s[6:7] offset:2048
.LBB972_262:
	s_or_b32 exec_lo, exec_lo, s5
.LBB972_263:
	s_and_not1_saveexec_b32 s4, s4
	s_cbranch_execz .LBB972_265
; %bb.264:
	v_lshlrev_b32_e32 v11, 2, v0
	v_readfirstlane_b32 s4, v7
	v_readfirstlane_b32 s5, v8
	ds_load_b32 v12, v11 offset:2048
	s_waitcnt lgkmcnt(0)
	global_store_b32 v11, v12, s[4:5] offset:2048
.LBB972_265:
	;; [unrolled: 51-line block ×3, first 2 shown]
	s_or_b32 exec_lo, exec_lo, s2
	v_or_b32_e32 v11, 0x400, v0
	s_mov_b32 s2, exec_lo
	s_delay_alu instid0(VALU_DEP_1)
	v_cmpx_gt_u32_e64 s3, v11
	s_cbranch_execz .LBB972_283
; %bb.275:
	s_mov_b32 s4, exec_lo
	v_cmpx_le_u32_e64 v1, v11
	s_xor_b32 s4, exec_lo, s4
	s_cbranch_execz .LBB972_281
; %bb.276:
	s_mov_b32 s5, exec_lo
	v_cmpx_le_u32_e64 v10, v11
	s_xor_b32 s5, exec_lo, s5
	s_cbranch_execz .LBB972_278
; %bb.277:
	v_lshlrev_b32_e32 v11, 2, v0
	ds_load_b32 v13, v11 offset:4096
	v_add_co_u32 v11, vcc_lo, v3, v0
	v_add_co_ci_u32_e32 v12, vcc_lo, 0, v9, vcc_lo
	s_delay_alu instid0(VALU_DEP_1) | instskip(NEXT) | instid1(VALU_DEP_1)
	v_lshlrev_b64 v[11:12], 2, v[11:12]
	v_sub_co_u32 v11, vcc_lo, s1, v11
	s_delay_alu instid0(VALU_DEP_2)
	v_sub_co_ci_u32_e32 v12, vcc_lo, s0, v12, vcc_lo
	s_waitcnt lgkmcnt(0)
	global_store_b32 v[11:12], v13, off offset:-4096
                                        ; implicit-def: $vgpr11
.LBB972_278:
	s_and_not1_saveexec_b32 s5, s5
	s_cbranch_execz .LBB972_280
; %bb.279:
	v_lshlrev_b32_e32 v12, 2, v0
	v_lshlrev_b32_e32 v11, 2, v11
	v_readfirstlane_b32 s6, v5
	v_readfirstlane_b32 s7, v6
	ds_load_b32 v12, v12 offset:4096
	s_waitcnt lgkmcnt(0)
	global_store_b32 v11, v12, s[6:7]
.LBB972_280:
	s_or_b32 exec_lo, exec_lo, s5
                                        ; implicit-def: $vgpr11
.LBB972_281:
	s_and_not1_saveexec_b32 s4, s4
	s_cbranch_execz .LBB972_283
; %bb.282:
	v_lshlrev_b32_e32 v12, 2, v0
	v_lshlrev_b32_e32 v11, 2, v11
	v_readfirstlane_b32 s4, v7
	v_readfirstlane_b32 s5, v8
	ds_load_b32 v12, v12 offset:4096
	s_waitcnt lgkmcnt(0)
	global_store_b32 v11, v12, s[4:5]
.LBB972_283:
	s_or_b32 exec_lo, exec_lo, s2
	v_or_b32_e32 v11, 0x500, v0
	s_mov_b32 s2, exec_lo
	s_delay_alu instid0(VALU_DEP_1)
	v_cmpx_gt_u32_e64 s3, v11
	s_cbranch_execz .LBB972_292
; %bb.284:
	s_mov_b32 s4, exec_lo
	v_cmpx_le_u32_e64 v1, v11
	s_xor_b32 s4, exec_lo, s4
	s_cbranch_execz .LBB972_290
; %bb.285:
	s_mov_b32 s5, exec_lo
	v_cmpx_le_u32_e64 v10, v11
	s_xor_b32 s5, exec_lo, s5
	s_cbranch_execz .LBB972_287
; %bb.286:
	v_lshlrev_b32_e32 v12, 2, v0
	v_add_co_u32 v11, vcc_lo, v3, v11
	ds_load_b32 v13, v12 offset:5120
	v_add_co_ci_u32_e32 v12, vcc_lo, 0, v9, vcc_lo
	s_delay_alu instid0(VALU_DEP_1) | instskip(NEXT) | instid1(VALU_DEP_1)
	v_lshlrev_b64 v[11:12], 2, v[11:12]
	v_sub_co_u32 v11, vcc_lo, s1, v11
	s_delay_alu instid0(VALU_DEP_2)
	v_sub_co_ci_u32_e32 v12, vcc_lo, s0, v12, vcc_lo
	s_waitcnt lgkmcnt(0)
	global_store_b32 v[11:12], v13, off
                                        ; implicit-def: $vgpr11
.LBB972_287:
	s_and_not1_saveexec_b32 s5, s5
	s_cbranch_execz .LBB972_289
; %bb.288:
	v_lshlrev_b32_e32 v12, 2, v0
	v_lshlrev_b32_e32 v11, 2, v11
	v_readfirstlane_b32 s6, v5
	v_readfirstlane_b32 s7, v6
	ds_load_b32 v12, v12 offset:5120
	s_waitcnt lgkmcnt(0)
	global_store_b32 v11, v12, s[6:7]
.LBB972_289:
	s_or_b32 exec_lo, exec_lo, s5
                                        ; implicit-def: $vgpr11
.LBB972_290:
	s_and_not1_saveexec_b32 s4, s4
	s_cbranch_execz .LBB972_292
; %bb.291:
	v_lshlrev_b32_e32 v12, 2, v0
	v_lshlrev_b32_e32 v11, 2, v11
	v_readfirstlane_b32 s4, v7
	v_readfirstlane_b32 s5, v8
	ds_load_b32 v12, v12 offset:5120
	s_waitcnt lgkmcnt(0)
	global_store_b32 v11, v12, s[4:5]
.LBB972_292:
	s_or_b32 exec_lo, exec_lo, s2
	v_or_b32_e32 v11, 0x600, v0
	s_mov_b32 s2, exec_lo
	s_delay_alu instid0(VALU_DEP_1)
	v_cmpx_gt_u32_e64 s3, v11
	s_cbranch_execz .LBB972_301
; %bb.293:
	s_mov_b32 s4, exec_lo
	v_cmpx_le_u32_e64 v1, v11
	s_xor_b32 s4, exec_lo, s4
	s_cbranch_execz .LBB972_299
; %bb.294:
	s_mov_b32 s5, exec_lo
	v_cmpx_le_u32_e64 v10, v11
	s_xor_b32 s5, exec_lo, s5
	s_cbranch_execz .LBB972_296
; %bb.295:
	v_lshlrev_b32_e32 v12, 2, v0
	v_add_co_u32 v11, vcc_lo, v3, v11
	ds_load_b32 v13, v12 offset:6144
	v_add_co_ci_u32_e32 v12, vcc_lo, 0, v9, vcc_lo
	s_delay_alu instid0(VALU_DEP_1) | instskip(NEXT) | instid1(VALU_DEP_1)
	v_lshlrev_b64 v[11:12], 2, v[11:12]
	v_sub_co_u32 v11, vcc_lo, s1, v11
	s_delay_alu instid0(VALU_DEP_2)
	v_sub_co_ci_u32_e32 v12, vcc_lo, s0, v12, vcc_lo
	s_waitcnt lgkmcnt(0)
	global_store_b32 v[11:12], v13, off
                                        ; implicit-def: $vgpr11
.LBB972_296:
	s_and_not1_saveexec_b32 s5, s5
	s_cbranch_execz .LBB972_298
; %bb.297:
	v_lshlrev_b32_e32 v12, 2, v0
	v_lshlrev_b32_e32 v11, 2, v11
	v_readfirstlane_b32 s6, v5
	v_readfirstlane_b32 s7, v6
	ds_load_b32 v12, v12 offset:6144
	s_waitcnt lgkmcnt(0)
	global_store_b32 v11, v12, s[6:7]
.LBB972_298:
	s_or_b32 exec_lo, exec_lo, s5
                                        ; implicit-def: $vgpr11
.LBB972_299:
	s_and_not1_saveexec_b32 s4, s4
	s_cbranch_execz .LBB972_301
; %bb.300:
	v_lshlrev_b32_e32 v12, 2, v0
	v_lshlrev_b32_e32 v11, 2, v11
	v_readfirstlane_b32 s4, v7
	v_readfirstlane_b32 s5, v8
	ds_load_b32 v12, v12 offset:6144
	s_waitcnt lgkmcnt(0)
	global_store_b32 v11, v12, s[4:5]
.LBB972_301:
	;; [unrolled: 55-line block ×7, first 2 shown]
	s_or_b32 exec_lo, exec_lo, s2
	v_or_b32_e32 v11, 0xc00, v0
	s_mov_b32 s2, exec_lo
	s_delay_alu instid0(VALU_DEP_1)
	v_cmpx_gt_u32_e64 s3, v11
	s_cbranch_execz .LBB972_355
; %bb.347:
	s_mov_b32 s3, exec_lo
	v_cmpx_le_u32_e64 v1, v11
	s_xor_b32 s3, exec_lo, s3
	s_cbranch_execz .LBB972_353
; %bb.348:
	s_mov_b32 s4, exec_lo
	v_cmpx_le_u32_e64 v10, v11
	s_xor_b32 s4, exec_lo, s4
	s_cbranch_execz .LBB972_350
; %bb.349:
	v_lshlrev_b32_e32 v5, 2, v0
	ds_load_b32 v7, v5 offset:12288
	v_add_co_u32 v5, vcc_lo, v3, v11
	v_add_co_ci_u32_e32 v6, vcc_lo, 0, v9, vcc_lo
                                        ; implicit-def: $vgpr11
	s_delay_alu instid0(VALU_DEP_1) | instskip(NEXT) | instid1(VALU_DEP_1)
	v_lshlrev_b64 v[5:6], 2, v[5:6]
	v_sub_co_u32 v5, vcc_lo, s1, v5
	s_delay_alu instid0(VALU_DEP_2)
	v_sub_co_ci_u32_e32 v6, vcc_lo, s0, v6, vcc_lo
	s_waitcnt lgkmcnt(0)
	global_store_b32 v[5:6], v7, off
                                        ; implicit-def: $vgpr5_vgpr6
.LBB972_350:
	s_and_not1_saveexec_b32 s0, s4
	s_cbranch_execz .LBB972_352
; %bb.351:
	v_lshlrev_b32_e32 v3, 2, v0
	v_lshlrev_b32_e32 v7, 2, v11
	v_readfirstlane_b32 s4, v5
	v_readfirstlane_b32 s5, v6
	ds_load_b32 v3, v3 offset:12288
	s_waitcnt lgkmcnt(0)
	global_store_b32 v7, v3, s[4:5]
.LBB972_352:
	s_or_b32 exec_lo, exec_lo, s0
                                        ; implicit-def: $vgpr11
                                        ; implicit-def: $vgpr7_vgpr8
.LBB972_353:
	s_and_not1_saveexec_b32 s0, s3
	s_cbranch_execz .LBB972_355
; %bb.354:
	v_lshlrev_b32_e32 v3, 2, v0
	v_lshlrev_b32_e32 v5, 2, v11
	v_readfirstlane_b32 s0, v7
	v_readfirstlane_b32 s1, v8
	ds_load_b32 v3, v3 offset:12288
	s_waitcnt lgkmcnt(0)
	global_store_b32 v5, v3, s[0:1]
.LBB972_355:
	s_or_b32 exec_lo, exec_lo, s2
	v_cmp_eq_u32_e32 vcc_lo, 0, v0
	s_and_b32 s0, vcc_lo, s14
	s_delay_alu instid0(SALU_CYCLE_1)
	s_and_saveexec_b32 s1, s0
	s_cbranch_execz .LBB972_132
.LBB972_356:
	v_add_co_u32 v2, s0, s30, v2
	s_delay_alu instid0(VALU_DEP_1) | instskip(SKIP_2) | instid1(VALU_DEP_4)
	v_add_co_ci_u32_e64 v3, null, s31, 0, s0
	v_add_co_u32 v0, vcc_lo, v18, v1
	v_add_co_ci_u32_e32 v1, vcc_lo, 0, v19, vcc_lo
	v_add_co_u32 v2, vcc_lo, v2, v4
	v_mov_b32_e32 v5, 0
	v_add_co_ci_u32_e32 v3, vcc_lo, 0, v3, vcc_lo
	global_store_b128 v5, v[0:3], s[24:25]
	s_nop 0
	s_sendmsg sendmsg(MSG_DEALLOC_VGPRS)
	s_endpgm
.LBB972_357:
	v_add_nc_u32_e32 v3, s7, v23
	s_add_i32 s10, s15, 32
	s_mov_b32 s11, 0
	v_dual_mov_b32 v5, 0 :: v_dual_add_nc_u32 v2, v22, v1
	s_lshl_b64 s[10:11], s[10:11], 4
	v_and_b32_e32 v20, 0xff0000, v3
	s_add_u32 s10, s4, s10
	s_addc_u32 s11, s5, s11
	v_and_b32_e32 v4, 0xff000000, v3
	s_delay_alu instid0(VALU_DEP_1) | instskip(SKIP_2) | instid1(VALU_DEP_1)
	v_or_b32_e32 v20, v20, v4
	v_dual_mov_b32 v4, 2 :: v_dual_and_b32 v21, 0xff00, v3
	v_and_b32_e32 v3, 0xff, v3
	v_or3_b32 v3, v20, v21, v3
	v_dual_mov_b32 v21, s11 :: v_dual_mov_b32 v20, s10
	;;#ASMSTART
	global_store_dwordx4 v[20:21], v[2:5] off	
s_waitcnt vmcnt(0)
	;;#ASMEND
	s_or_b32 exec_lo, exec_lo, s8
	s_and_saveexec_b32 s8, s2
	s_cbranch_execz .LBB972_116
.LBB972_358:
	v_mov_b32_e32 v2, s7
	v_add_nc_u32_e64 v3, 0x3400, 0
	ds_store_2addr_b32 v3, v1, v2 offset1:2
	ds_store_2addr_b32 v3, v22, v23 offset0:4 offset1:6
	s_or_b32 exec_lo, exec_lo, s8
	v_cmp_eq_u32_e32 vcc_lo, 0, v0
	s_and_b32 exec_lo, exec_lo, vcc_lo
	s_cbranch_execnz .LBB972_117
	s_branch .LBB972_118
	.section	.rodata,"a",@progbits
	.p2align	6, 0x0
	.amdhsa_kernel _ZN7rocprim17ROCPRIM_400000_NS6detail17trampoline_kernelINS0_13select_configILj256ELj13ELNS0_17block_load_methodE3ELS4_3ELS4_3ELNS0_20block_scan_algorithmE0ELj4294967295EEENS1_25partition_config_selectorILNS1_17partition_subalgoE4EjNS0_10empty_typeEbEEZZNS1_14partition_implILS8_4ELb0ES6_15HIP_vector_typeIjLj2EENS0_17counting_iteratorIjlEEPS9_SG_NS0_5tupleIJPjSI_NS0_16reverse_iteratorISI_EEEEENSH_IJSG_SG_SG_EEES9_SI_JZNS1_25segmented_radix_sort_implINS0_14default_configELb0EPKsPsPKlPlN2at6native12_GLOBAL__N_18offset_tEEE10hipError_tPvRmT1_PNSt15iterator_traitsIS12_E10value_typeET2_T3_PNS13_IS18_E10value_typeET4_jRbjT5_S1E_jjP12ihipStream_tbEUljE_ZNSN_ISO_Lb0ESQ_SR_ST_SU_SY_EESZ_S10_S11_S12_S16_S17_S18_S1B_S1C_jS1D_jS1E_S1E_jjS1G_bEUljE0_EEESZ_S10_S11_S18_S1C_S1E_T6_T7_T9_mT8_S1G_bDpT10_ENKUlT_T0_E_clISt17integral_constantIbLb1EES1T_IbLb0EEEEDaS1P_S1Q_EUlS1P_E_NS1_11comp_targetILNS1_3genE9ELNS1_11target_archE1100ELNS1_3gpuE3ELNS1_3repE0EEENS1_30default_config_static_selectorELNS0_4arch9wavefront6targetE0EEEvS12_
		.amdhsa_group_segment_fixed_size 13340
		.amdhsa_private_segment_fixed_size 0
		.amdhsa_kernarg_size 176
		.amdhsa_user_sgpr_count 15
		.amdhsa_user_sgpr_dispatch_ptr 0
		.amdhsa_user_sgpr_queue_ptr 0
		.amdhsa_user_sgpr_kernarg_segment_ptr 1
		.amdhsa_user_sgpr_dispatch_id 0
		.amdhsa_user_sgpr_private_segment_size 0
		.amdhsa_wavefront_size32 1
		.amdhsa_uses_dynamic_stack 0
		.amdhsa_enable_private_segment 0
		.amdhsa_system_sgpr_workgroup_id_x 1
		.amdhsa_system_sgpr_workgroup_id_y 0
		.amdhsa_system_sgpr_workgroup_id_z 0
		.amdhsa_system_sgpr_workgroup_info 0
		.amdhsa_system_vgpr_workitem_id 0
		.amdhsa_next_free_vgpr 98
		.amdhsa_next_free_sgpr 59
		.amdhsa_reserve_vcc 1
		.amdhsa_float_round_mode_32 0
		.amdhsa_float_round_mode_16_64 0
		.amdhsa_float_denorm_mode_32 3
		.amdhsa_float_denorm_mode_16_64 3
		.amdhsa_dx10_clamp 1
		.amdhsa_ieee_mode 1
		.amdhsa_fp16_overflow 0
		.amdhsa_workgroup_processor_mode 1
		.amdhsa_memory_ordered 1
		.amdhsa_forward_progress 0
		.amdhsa_shared_vgpr_count 0
		.amdhsa_exception_fp_ieee_invalid_op 0
		.amdhsa_exception_fp_denorm_src 0
		.amdhsa_exception_fp_ieee_div_zero 0
		.amdhsa_exception_fp_ieee_overflow 0
		.amdhsa_exception_fp_ieee_underflow 0
		.amdhsa_exception_fp_ieee_inexact 0
		.amdhsa_exception_int_div_zero 0
	.end_amdhsa_kernel
	.section	.text._ZN7rocprim17ROCPRIM_400000_NS6detail17trampoline_kernelINS0_13select_configILj256ELj13ELNS0_17block_load_methodE3ELS4_3ELS4_3ELNS0_20block_scan_algorithmE0ELj4294967295EEENS1_25partition_config_selectorILNS1_17partition_subalgoE4EjNS0_10empty_typeEbEEZZNS1_14partition_implILS8_4ELb0ES6_15HIP_vector_typeIjLj2EENS0_17counting_iteratorIjlEEPS9_SG_NS0_5tupleIJPjSI_NS0_16reverse_iteratorISI_EEEEENSH_IJSG_SG_SG_EEES9_SI_JZNS1_25segmented_radix_sort_implINS0_14default_configELb0EPKsPsPKlPlN2at6native12_GLOBAL__N_18offset_tEEE10hipError_tPvRmT1_PNSt15iterator_traitsIS12_E10value_typeET2_T3_PNS13_IS18_E10value_typeET4_jRbjT5_S1E_jjP12ihipStream_tbEUljE_ZNSN_ISO_Lb0ESQ_SR_ST_SU_SY_EESZ_S10_S11_S12_S16_S17_S18_S1B_S1C_jS1D_jS1E_S1E_jjS1G_bEUljE0_EEESZ_S10_S11_S18_S1C_S1E_T6_T7_T9_mT8_S1G_bDpT10_ENKUlT_T0_E_clISt17integral_constantIbLb1EES1T_IbLb0EEEEDaS1P_S1Q_EUlS1P_E_NS1_11comp_targetILNS1_3genE9ELNS1_11target_archE1100ELNS1_3gpuE3ELNS1_3repE0EEENS1_30default_config_static_selectorELNS0_4arch9wavefront6targetE0EEEvS12_,"axG",@progbits,_ZN7rocprim17ROCPRIM_400000_NS6detail17trampoline_kernelINS0_13select_configILj256ELj13ELNS0_17block_load_methodE3ELS4_3ELS4_3ELNS0_20block_scan_algorithmE0ELj4294967295EEENS1_25partition_config_selectorILNS1_17partition_subalgoE4EjNS0_10empty_typeEbEEZZNS1_14partition_implILS8_4ELb0ES6_15HIP_vector_typeIjLj2EENS0_17counting_iteratorIjlEEPS9_SG_NS0_5tupleIJPjSI_NS0_16reverse_iteratorISI_EEEEENSH_IJSG_SG_SG_EEES9_SI_JZNS1_25segmented_radix_sort_implINS0_14default_configELb0EPKsPsPKlPlN2at6native12_GLOBAL__N_18offset_tEEE10hipError_tPvRmT1_PNSt15iterator_traitsIS12_E10value_typeET2_T3_PNS13_IS18_E10value_typeET4_jRbjT5_S1E_jjP12ihipStream_tbEUljE_ZNSN_ISO_Lb0ESQ_SR_ST_SU_SY_EESZ_S10_S11_S12_S16_S17_S18_S1B_S1C_jS1D_jS1E_S1E_jjS1G_bEUljE0_EEESZ_S10_S11_S18_S1C_S1E_T6_T7_T9_mT8_S1G_bDpT10_ENKUlT_T0_E_clISt17integral_constantIbLb1EES1T_IbLb0EEEEDaS1P_S1Q_EUlS1P_E_NS1_11comp_targetILNS1_3genE9ELNS1_11target_archE1100ELNS1_3gpuE3ELNS1_3repE0EEENS1_30default_config_static_selectorELNS0_4arch9wavefront6targetE0EEEvS12_,comdat
.Lfunc_end972:
	.size	_ZN7rocprim17ROCPRIM_400000_NS6detail17trampoline_kernelINS0_13select_configILj256ELj13ELNS0_17block_load_methodE3ELS4_3ELS4_3ELNS0_20block_scan_algorithmE0ELj4294967295EEENS1_25partition_config_selectorILNS1_17partition_subalgoE4EjNS0_10empty_typeEbEEZZNS1_14partition_implILS8_4ELb0ES6_15HIP_vector_typeIjLj2EENS0_17counting_iteratorIjlEEPS9_SG_NS0_5tupleIJPjSI_NS0_16reverse_iteratorISI_EEEEENSH_IJSG_SG_SG_EEES9_SI_JZNS1_25segmented_radix_sort_implINS0_14default_configELb0EPKsPsPKlPlN2at6native12_GLOBAL__N_18offset_tEEE10hipError_tPvRmT1_PNSt15iterator_traitsIS12_E10value_typeET2_T3_PNS13_IS18_E10value_typeET4_jRbjT5_S1E_jjP12ihipStream_tbEUljE_ZNSN_ISO_Lb0ESQ_SR_ST_SU_SY_EESZ_S10_S11_S12_S16_S17_S18_S1B_S1C_jS1D_jS1E_S1E_jjS1G_bEUljE0_EEESZ_S10_S11_S18_S1C_S1E_T6_T7_T9_mT8_S1G_bDpT10_ENKUlT_T0_E_clISt17integral_constantIbLb1EES1T_IbLb0EEEEDaS1P_S1Q_EUlS1P_E_NS1_11comp_targetILNS1_3genE9ELNS1_11target_archE1100ELNS1_3gpuE3ELNS1_3repE0EEENS1_30default_config_static_selectorELNS0_4arch9wavefront6targetE0EEEvS12_, .Lfunc_end972-_ZN7rocprim17ROCPRIM_400000_NS6detail17trampoline_kernelINS0_13select_configILj256ELj13ELNS0_17block_load_methodE3ELS4_3ELS4_3ELNS0_20block_scan_algorithmE0ELj4294967295EEENS1_25partition_config_selectorILNS1_17partition_subalgoE4EjNS0_10empty_typeEbEEZZNS1_14partition_implILS8_4ELb0ES6_15HIP_vector_typeIjLj2EENS0_17counting_iteratorIjlEEPS9_SG_NS0_5tupleIJPjSI_NS0_16reverse_iteratorISI_EEEEENSH_IJSG_SG_SG_EEES9_SI_JZNS1_25segmented_radix_sort_implINS0_14default_configELb0EPKsPsPKlPlN2at6native12_GLOBAL__N_18offset_tEEE10hipError_tPvRmT1_PNSt15iterator_traitsIS12_E10value_typeET2_T3_PNS13_IS18_E10value_typeET4_jRbjT5_S1E_jjP12ihipStream_tbEUljE_ZNSN_ISO_Lb0ESQ_SR_ST_SU_SY_EESZ_S10_S11_S12_S16_S17_S18_S1B_S1C_jS1D_jS1E_S1E_jjS1G_bEUljE0_EEESZ_S10_S11_S18_S1C_S1E_T6_T7_T9_mT8_S1G_bDpT10_ENKUlT_T0_E_clISt17integral_constantIbLb1EES1T_IbLb0EEEEDaS1P_S1Q_EUlS1P_E_NS1_11comp_targetILNS1_3genE9ELNS1_11target_archE1100ELNS1_3gpuE3ELNS1_3repE0EEENS1_30default_config_static_selectorELNS0_4arch9wavefront6targetE0EEEvS12_
                                        ; -- End function
	.section	.AMDGPU.csdata,"",@progbits
; Kernel info:
; codeLenInByte = 15084
; NumSgprs: 61
; NumVgprs: 98
; ScratchSize: 0
; MemoryBound: 0
; FloatMode: 240
; IeeeMode: 1
; LDSByteSize: 13340 bytes/workgroup (compile time only)
; SGPRBlocks: 7
; VGPRBlocks: 12
; NumSGPRsForWavesPerEU: 61
; NumVGPRsForWavesPerEU: 98
; Occupancy: 12
; WaveLimiterHint : 1
; COMPUTE_PGM_RSRC2:SCRATCH_EN: 0
; COMPUTE_PGM_RSRC2:USER_SGPR: 15
; COMPUTE_PGM_RSRC2:TRAP_HANDLER: 0
; COMPUTE_PGM_RSRC2:TGID_X_EN: 1
; COMPUTE_PGM_RSRC2:TGID_Y_EN: 0
; COMPUTE_PGM_RSRC2:TGID_Z_EN: 0
; COMPUTE_PGM_RSRC2:TIDIG_COMP_CNT: 0
	.section	.text._ZN7rocprim17ROCPRIM_400000_NS6detail17trampoline_kernelINS0_13select_configILj256ELj13ELNS0_17block_load_methodE3ELS4_3ELS4_3ELNS0_20block_scan_algorithmE0ELj4294967295EEENS1_25partition_config_selectorILNS1_17partition_subalgoE4EjNS0_10empty_typeEbEEZZNS1_14partition_implILS8_4ELb0ES6_15HIP_vector_typeIjLj2EENS0_17counting_iteratorIjlEEPS9_SG_NS0_5tupleIJPjSI_NS0_16reverse_iteratorISI_EEEEENSH_IJSG_SG_SG_EEES9_SI_JZNS1_25segmented_radix_sort_implINS0_14default_configELb0EPKsPsPKlPlN2at6native12_GLOBAL__N_18offset_tEEE10hipError_tPvRmT1_PNSt15iterator_traitsIS12_E10value_typeET2_T3_PNS13_IS18_E10value_typeET4_jRbjT5_S1E_jjP12ihipStream_tbEUljE_ZNSN_ISO_Lb0ESQ_SR_ST_SU_SY_EESZ_S10_S11_S12_S16_S17_S18_S1B_S1C_jS1D_jS1E_S1E_jjS1G_bEUljE0_EEESZ_S10_S11_S18_S1C_S1E_T6_T7_T9_mT8_S1G_bDpT10_ENKUlT_T0_E_clISt17integral_constantIbLb1EES1T_IbLb0EEEEDaS1P_S1Q_EUlS1P_E_NS1_11comp_targetILNS1_3genE8ELNS1_11target_archE1030ELNS1_3gpuE2ELNS1_3repE0EEENS1_30default_config_static_selectorELNS0_4arch9wavefront6targetE0EEEvS12_,"axG",@progbits,_ZN7rocprim17ROCPRIM_400000_NS6detail17trampoline_kernelINS0_13select_configILj256ELj13ELNS0_17block_load_methodE3ELS4_3ELS4_3ELNS0_20block_scan_algorithmE0ELj4294967295EEENS1_25partition_config_selectorILNS1_17partition_subalgoE4EjNS0_10empty_typeEbEEZZNS1_14partition_implILS8_4ELb0ES6_15HIP_vector_typeIjLj2EENS0_17counting_iteratorIjlEEPS9_SG_NS0_5tupleIJPjSI_NS0_16reverse_iteratorISI_EEEEENSH_IJSG_SG_SG_EEES9_SI_JZNS1_25segmented_radix_sort_implINS0_14default_configELb0EPKsPsPKlPlN2at6native12_GLOBAL__N_18offset_tEEE10hipError_tPvRmT1_PNSt15iterator_traitsIS12_E10value_typeET2_T3_PNS13_IS18_E10value_typeET4_jRbjT5_S1E_jjP12ihipStream_tbEUljE_ZNSN_ISO_Lb0ESQ_SR_ST_SU_SY_EESZ_S10_S11_S12_S16_S17_S18_S1B_S1C_jS1D_jS1E_S1E_jjS1G_bEUljE0_EEESZ_S10_S11_S18_S1C_S1E_T6_T7_T9_mT8_S1G_bDpT10_ENKUlT_T0_E_clISt17integral_constantIbLb1EES1T_IbLb0EEEEDaS1P_S1Q_EUlS1P_E_NS1_11comp_targetILNS1_3genE8ELNS1_11target_archE1030ELNS1_3gpuE2ELNS1_3repE0EEENS1_30default_config_static_selectorELNS0_4arch9wavefront6targetE0EEEvS12_,comdat
	.globl	_ZN7rocprim17ROCPRIM_400000_NS6detail17trampoline_kernelINS0_13select_configILj256ELj13ELNS0_17block_load_methodE3ELS4_3ELS4_3ELNS0_20block_scan_algorithmE0ELj4294967295EEENS1_25partition_config_selectorILNS1_17partition_subalgoE4EjNS0_10empty_typeEbEEZZNS1_14partition_implILS8_4ELb0ES6_15HIP_vector_typeIjLj2EENS0_17counting_iteratorIjlEEPS9_SG_NS0_5tupleIJPjSI_NS0_16reverse_iteratorISI_EEEEENSH_IJSG_SG_SG_EEES9_SI_JZNS1_25segmented_radix_sort_implINS0_14default_configELb0EPKsPsPKlPlN2at6native12_GLOBAL__N_18offset_tEEE10hipError_tPvRmT1_PNSt15iterator_traitsIS12_E10value_typeET2_T3_PNS13_IS18_E10value_typeET4_jRbjT5_S1E_jjP12ihipStream_tbEUljE_ZNSN_ISO_Lb0ESQ_SR_ST_SU_SY_EESZ_S10_S11_S12_S16_S17_S18_S1B_S1C_jS1D_jS1E_S1E_jjS1G_bEUljE0_EEESZ_S10_S11_S18_S1C_S1E_T6_T7_T9_mT8_S1G_bDpT10_ENKUlT_T0_E_clISt17integral_constantIbLb1EES1T_IbLb0EEEEDaS1P_S1Q_EUlS1P_E_NS1_11comp_targetILNS1_3genE8ELNS1_11target_archE1030ELNS1_3gpuE2ELNS1_3repE0EEENS1_30default_config_static_selectorELNS0_4arch9wavefront6targetE0EEEvS12_ ; -- Begin function _ZN7rocprim17ROCPRIM_400000_NS6detail17trampoline_kernelINS0_13select_configILj256ELj13ELNS0_17block_load_methodE3ELS4_3ELS4_3ELNS0_20block_scan_algorithmE0ELj4294967295EEENS1_25partition_config_selectorILNS1_17partition_subalgoE4EjNS0_10empty_typeEbEEZZNS1_14partition_implILS8_4ELb0ES6_15HIP_vector_typeIjLj2EENS0_17counting_iteratorIjlEEPS9_SG_NS0_5tupleIJPjSI_NS0_16reverse_iteratorISI_EEEEENSH_IJSG_SG_SG_EEES9_SI_JZNS1_25segmented_radix_sort_implINS0_14default_configELb0EPKsPsPKlPlN2at6native12_GLOBAL__N_18offset_tEEE10hipError_tPvRmT1_PNSt15iterator_traitsIS12_E10value_typeET2_T3_PNS13_IS18_E10value_typeET4_jRbjT5_S1E_jjP12ihipStream_tbEUljE_ZNSN_ISO_Lb0ESQ_SR_ST_SU_SY_EESZ_S10_S11_S12_S16_S17_S18_S1B_S1C_jS1D_jS1E_S1E_jjS1G_bEUljE0_EEESZ_S10_S11_S18_S1C_S1E_T6_T7_T9_mT8_S1G_bDpT10_ENKUlT_T0_E_clISt17integral_constantIbLb1EES1T_IbLb0EEEEDaS1P_S1Q_EUlS1P_E_NS1_11comp_targetILNS1_3genE8ELNS1_11target_archE1030ELNS1_3gpuE2ELNS1_3repE0EEENS1_30default_config_static_selectorELNS0_4arch9wavefront6targetE0EEEvS12_
	.p2align	8
	.type	_ZN7rocprim17ROCPRIM_400000_NS6detail17trampoline_kernelINS0_13select_configILj256ELj13ELNS0_17block_load_methodE3ELS4_3ELS4_3ELNS0_20block_scan_algorithmE0ELj4294967295EEENS1_25partition_config_selectorILNS1_17partition_subalgoE4EjNS0_10empty_typeEbEEZZNS1_14partition_implILS8_4ELb0ES6_15HIP_vector_typeIjLj2EENS0_17counting_iteratorIjlEEPS9_SG_NS0_5tupleIJPjSI_NS0_16reverse_iteratorISI_EEEEENSH_IJSG_SG_SG_EEES9_SI_JZNS1_25segmented_radix_sort_implINS0_14default_configELb0EPKsPsPKlPlN2at6native12_GLOBAL__N_18offset_tEEE10hipError_tPvRmT1_PNSt15iterator_traitsIS12_E10value_typeET2_T3_PNS13_IS18_E10value_typeET4_jRbjT5_S1E_jjP12ihipStream_tbEUljE_ZNSN_ISO_Lb0ESQ_SR_ST_SU_SY_EESZ_S10_S11_S12_S16_S17_S18_S1B_S1C_jS1D_jS1E_S1E_jjS1G_bEUljE0_EEESZ_S10_S11_S18_S1C_S1E_T6_T7_T9_mT8_S1G_bDpT10_ENKUlT_T0_E_clISt17integral_constantIbLb1EES1T_IbLb0EEEEDaS1P_S1Q_EUlS1P_E_NS1_11comp_targetILNS1_3genE8ELNS1_11target_archE1030ELNS1_3gpuE2ELNS1_3repE0EEENS1_30default_config_static_selectorELNS0_4arch9wavefront6targetE0EEEvS12_,@function
_ZN7rocprim17ROCPRIM_400000_NS6detail17trampoline_kernelINS0_13select_configILj256ELj13ELNS0_17block_load_methodE3ELS4_3ELS4_3ELNS0_20block_scan_algorithmE0ELj4294967295EEENS1_25partition_config_selectorILNS1_17partition_subalgoE4EjNS0_10empty_typeEbEEZZNS1_14partition_implILS8_4ELb0ES6_15HIP_vector_typeIjLj2EENS0_17counting_iteratorIjlEEPS9_SG_NS0_5tupleIJPjSI_NS0_16reverse_iteratorISI_EEEEENSH_IJSG_SG_SG_EEES9_SI_JZNS1_25segmented_radix_sort_implINS0_14default_configELb0EPKsPsPKlPlN2at6native12_GLOBAL__N_18offset_tEEE10hipError_tPvRmT1_PNSt15iterator_traitsIS12_E10value_typeET2_T3_PNS13_IS18_E10value_typeET4_jRbjT5_S1E_jjP12ihipStream_tbEUljE_ZNSN_ISO_Lb0ESQ_SR_ST_SU_SY_EESZ_S10_S11_S12_S16_S17_S18_S1B_S1C_jS1D_jS1E_S1E_jjS1G_bEUljE0_EEESZ_S10_S11_S18_S1C_S1E_T6_T7_T9_mT8_S1G_bDpT10_ENKUlT_T0_E_clISt17integral_constantIbLb1EES1T_IbLb0EEEEDaS1P_S1Q_EUlS1P_E_NS1_11comp_targetILNS1_3genE8ELNS1_11target_archE1030ELNS1_3gpuE2ELNS1_3repE0EEENS1_30default_config_static_selectorELNS0_4arch9wavefront6targetE0EEEvS12_: ; @_ZN7rocprim17ROCPRIM_400000_NS6detail17trampoline_kernelINS0_13select_configILj256ELj13ELNS0_17block_load_methodE3ELS4_3ELS4_3ELNS0_20block_scan_algorithmE0ELj4294967295EEENS1_25partition_config_selectorILNS1_17partition_subalgoE4EjNS0_10empty_typeEbEEZZNS1_14partition_implILS8_4ELb0ES6_15HIP_vector_typeIjLj2EENS0_17counting_iteratorIjlEEPS9_SG_NS0_5tupleIJPjSI_NS0_16reverse_iteratorISI_EEEEENSH_IJSG_SG_SG_EEES9_SI_JZNS1_25segmented_radix_sort_implINS0_14default_configELb0EPKsPsPKlPlN2at6native12_GLOBAL__N_18offset_tEEE10hipError_tPvRmT1_PNSt15iterator_traitsIS12_E10value_typeET2_T3_PNS13_IS18_E10value_typeET4_jRbjT5_S1E_jjP12ihipStream_tbEUljE_ZNSN_ISO_Lb0ESQ_SR_ST_SU_SY_EESZ_S10_S11_S12_S16_S17_S18_S1B_S1C_jS1D_jS1E_S1E_jjS1G_bEUljE0_EEESZ_S10_S11_S18_S1C_S1E_T6_T7_T9_mT8_S1G_bDpT10_ENKUlT_T0_E_clISt17integral_constantIbLb1EES1T_IbLb0EEEEDaS1P_S1Q_EUlS1P_E_NS1_11comp_targetILNS1_3genE8ELNS1_11target_archE1030ELNS1_3gpuE2ELNS1_3repE0EEENS1_30default_config_static_selectorELNS0_4arch9wavefront6targetE0EEEvS12_
; %bb.0:
	.section	.rodata,"a",@progbits
	.p2align	6, 0x0
	.amdhsa_kernel _ZN7rocprim17ROCPRIM_400000_NS6detail17trampoline_kernelINS0_13select_configILj256ELj13ELNS0_17block_load_methodE3ELS4_3ELS4_3ELNS0_20block_scan_algorithmE0ELj4294967295EEENS1_25partition_config_selectorILNS1_17partition_subalgoE4EjNS0_10empty_typeEbEEZZNS1_14partition_implILS8_4ELb0ES6_15HIP_vector_typeIjLj2EENS0_17counting_iteratorIjlEEPS9_SG_NS0_5tupleIJPjSI_NS0_16reverse_iteratorISI_EEEEENSH_IJSG_SG_SG_EEES9_SI_JZNS1_25segmented_radix_sort_implINS0_14default_configELb0EPKsPsPKlPlN2at6native12_GLOBAL__N_18offset_tEEE10hipError_tPvRmT1_PNSt15iterator_traitsIS12_E10value_typeET2_T3_PNS13_IS18_E10value_typeET4_jRbjT5_S1E_jjP12ihipStream_tbEUljE_ZNSN_ISO_Lb0ESQ_SR_ST_SU_SY_EESZ_S10_S11_S12_S16_S17_S18_S1B_S1C_jS1D_jS1E_S1E_jjS1G_bEUljE0_EEESZ_S10_S11_S18_S1C_S1E_T6_T7_T9_mT8_S1G_bDpT10_ENKUlT_T0_E_clISt17integral_constantIbLb1EES1T_IbLb0EEEEDaS1P_S1Q_EUlS1P_E_NS1_11comp_targetILNS1_3genE8ELNS1_11target_archE1030ELNS1_3gpuE2ELNS1_3repE0EEENS1_30default_config_static_selectorELNS0_4arch9wavefront6targetE0EEEvS12_
		.amdhsa_group_segment_fixed_size 0
		.amdhsa_private_segment_fixed_size 0
		.amdhsa_kernarg_size 176
		.amdhsa_user_sgpr_count 15
		.amdhsa_user_sgpr_dispatch_ptr 0
		.amdhsa_user_sgpr_queue_ptr 0
		.amdhsa_user_sgpr_kernarg_segment_ptr 1
		.amdhsa_user_sgpr_dispatch_id 0
		.amdhsa_user_sgpr_private_segment_size 0
		.amdhsa_wavefront_size32 1
		.amdhsa_uses_dynamic_stack 0
		.amdhsa_enable_private_segment 0
		.amdhsa_system_sgpr_workgroup_id_x 1
		.amdhsa_system_sgpr_workgroup_id_y 0
		.amdhsa_system_sgpr_workgroup_id_z 0
		.amdhsa_system_sgpr_workgroup_info 0
		.amdhsa_system_vgpr_workitem_id 0
		.amdhsa_next_free_vgpr 1
		.amdhsa_next_free_sgpr 1
		.amdhsa_reserve_vcc 0
		.amdhsa_float_round_mode_32 0
		.amdhsa_float_round_mode_16_64 0
		.amdhsa_float_denorm_mode_32 3
		.amdhsa_float_denorm_mode_16_64 3
		.amdhsa_dx10_clamp 1
		.amdhsa_ieee_mode 1
		.amdhsa_fp16_overflow 0
		.amdhsa_workgroup_processor_mode 1
		.amdhsa_memory_ordered 1
		.amdhsa_forward_progress 0
		.amdhsa_shared_vgpr_count 0
		.amdhsa_exception_fp_ieee_invalid_op 0
		.amdhsa_exception_fp_denorm_src 0
		.amdhsa_exception_fp_ieee_div_zero 0
		.amdhsa_exception_fp_ieee_overflow 0
		.amdhsa_exception_fp_ieee_underflow 0
		.amdhsa_exception_fp_ieee_inexact 0
		.amdhsa_exception_int_div_zero 0
	.end_amdhsa_kernel
	.section	.text._ZN7rocprim17ROCPRIM_400000_NS6detail17trampoline_kernelINS0_13select_configILj256ELj13ELNS0_17block_load_methodE3ELS4_3ELS4_3ELNS0_20block_scan_algorithmE0ELj4294967295EEENS1_25partition_config_selectorILNS1_17partition_subalgoE4EjNS0_10empty_typeEbEEZZNS1_14partition_implILS8_4ELb0ES6_15HIP_vector_typeIjLj2EENS0_17counting_iteratorIjlEEPS9_SG_NS0_5tupleIJPjSI_NS0_16reverse_iteratorISI_EEEEENSH_IJSG_SG_SG_EEES9_SI_JZNS1_25segmented_radix_sort_implINS0_14default_configELb0EPKsPsPKlPlN2at6native12_GLOBAL__N_18offset_tEEE10hipError_tPvRmT1_PNSt15iterator_traitsIS12_E10value_typeET2_T3_PNS13_IS18_E10value_typeET4_jRbjT5_S1E_jjP12ihipStream_tbEUljE_ZNSN_ISO_Lb0ESQ_SR_ST_SU_SY_EESZ_S10_S11_S12_S16_S17_S18_S1B_S1C_jS1D_jS1E_S1E_jjS1G_bEUljE0_EEESZ_S10_S11_S18_S1C_S1E_T6_T7_T9_mT8_S1G_bDpT10_ENKUlT_T0_E_clISt17integral_constantIbLb1EES1T_IbLb0EEEEDaS1P_S1Q_EUlS1P_E_NS1_11comp_targetILNS1_3genE8ELNS1_11target_archE1030ELNS1_3gpuE2ELNS1_3repE0EEENS1_30default_config_static_selectorELNS0_4arch9wavefront6targetE0EEEvS12_,"axG",@progbits,_ZN7rocprim17ROCPRIM_400000_NS6detail17trampoline_kernelINS0_13select_configILj256ELj13ELNS0_17block_load_methodE3ELS4_3ELS4_3ELNS0_20block_scan_algorithmE0ELj4294967295EEENS1_25partition_config_selectorILNS1_17partition_subalgoE4EjNS0_10empty_typeEbEEZZNS1_14partition_implILS8_4ELb0ES6_15HIP_vector_typeIjLj2EENS0_17counting_iteratorIjlEEPS9_SG_NS0_5tupleIJPjSI_NS0_16reverse_iteratorISI_EEEEENSH_IJSG_SG_SG_EEES9_SI_JZNS1_25segmented_radix_sort_implINS0_14default_configELb0EPKsPsPKlPlN2at6native12_GLOBAL__N_18offset_tEEE10hipError_tPvRmT1_PNSt15iterator_traitsIS12_E10value_typeET2_T3_PNS13_IS18_E10value_typeET4_jRbjT5_S1E_jjP12ihipStream_tbEUljE_ZNSN_ISO_Lb0ESQ_SR_ST_SU_SY_EESZ_S10_S11_S12_S16_S17_S18_S1B_S1C_jS1D_jS1E_S1E_jjS1G_bEUljE0_EEESZ_S10_S11_S18_S1C_S1E_T6_T7_T9_mT8_S1G_bDpT10_ENKUlT_T0_E_clISt17integral_constantIbLb1EES1T_IbLb0EEEEDaS1P_S1Q_EUlS1P_E_NS1_11comp_targetILNS1_3genE8ELNS1_11target_archE1030ELNS1_3gpuE2ELNS1_3repE0EEENS1_30default_config_static_selectorELNS0_4arch9wavefront6targetE0EEEvS12_,comdat
.Lfunc_end973:
	.size	_ZN7rocprim17ROCPRIM_400000_NS6detail17trampoline_kernelINS0_13select_configILj256ELj13ELNS0_17block_load_methodE3ELS4_3ELS4_3ELNS0_20block_scan_algorithmE0ELj4294967295EEENS1_25partition_config_selectorILNS1_17partition_subalgoE4EjNS0_10empty_typeEbEEZZNS1_14partition_implILS8_4ELb0ES6_15HIP_vector_typeIjLj2EENS0_17counting_iteratorIjlEEPS9_SG_NS0_5tupleIJPjSI_NS0_16reverse_iteratorISI_EEEEENSH_IJSG_SG_SG_EEES9_SI_JZNS1_25segmented_radix_sort_implINS0_14default_configELb0EPKsPsPKlPlN2at6native12_GLOBAL__N_18offset_tEEE10hipError_tPvRmT1_PNSt15iterator_traitsIS12_E10value_typeET2_T3_PNS13_IS18_E10value_typeET4_jRbjT5_S1E_jjP12ihipStream_tbEUljE_ZNSN_ISO_Lb0ESQ_SR_ST_SU_SY_EESZ_S10_S11_S12_S16_S17_S18_S1B_S1C_jS1D_jS1E_S1E_jjS1G_bEUljE0_EEESZ_S10_S11_S18_S1C_S1E_T6_T7_T9_mT8_S1G_bDpT10_ENKUlT_T0_E_clISt17integral_constantIbLb1EES1T_IbLb0EEEEDaS1P_S1Q_EUlS1P_E_NS1_11comp_targetILNS1_3genE8ELNS1_11target_archE1030ELNS1_3gpuE2ELNS1_3repE0EEENS1_30default_config_static_selectorELNS0_4arch9wavefront6targetE0EEEvS12_, .Lfunc_end973-_ZN7rocprim17ROCPRIM_400000_NS6detail17trampoline_kernelINS0_13select_configILj256ELj13ELNS0_17block_load_methodE3ELS4_3ELS4_3ELNS0_20block_scan_algorithmE0ELj4294967295EEENS1_25partition_config_selectorILNS1_17partition_subalgoE4EjNS0_10empty_typeEbEEZZNS1_14partition_implILS8_4ELb0ES6_15HIP_vector_typeIjLj2EENS0_17counting_iteratorIjlEEPS9_SG_NS0_5tupleIJPjSI_NS0_16reverse_iteratorISI_EEEEENSH_IJSG_SG_SG_EEES9_SI_JZNS1_25segmented_radix_sort_implINS0_14default_configELb0EPKsPsPKlPlN2at6native12_GLOBAL__N_18offset_tEEE10hipError_tPvRmT1_PNSt15iterator_traitsIS12_E10value_typeET2_T3_PNS13_IS18_E10value_typeET4_jRbjT5_S1E_jjP12ihipStream_tbEUljE_ZNSN_ISO_Lb0ESQ_SR_ST_SU_SY_EESZ_S10_S11_S12_S16_S17_S18_S1B_S1C_jS1D_jS1E_S1E_jjS1G_bEUljE0_EEESZ_S10_S11_S18_S1C_S1E_T6_T7_T9_mT8_S1G_bDpT10_ENKUlT_T0_E_clISt17integral_constantIbLb1EES1T_IbLb0EEEEDaS1P_S1Q_EUlS1P_E_NS1_11comp_targetILNS1_3genE8ELNS1_11target_archE1030ELNS1_3gpuE2ELNS1_3repE0EEENS1_30default_config_static_selectorELNS0_4arch9wavefront6targetE0EEEvS12_
                                        ; -- End function
	.section	.AMDGPU.csdata,"",@progbits
; Kernel info:
; codeLenInByte = 0
; NumSgprs: 0
; NumVgprs: 0
; ScratchSize: 0
; MemoryBound: 0
; FloatMode: 240
; IeeeMode: 1
; LDSByteSize: 0 bytes/workgroup (compile time only)
; SGPRBlocks: 0
; VGPRBlocks: 0
; NumSGPRsForWavesPerEU: 1
; NumVGPRsForWavesPerEU: 1
; Occupancy: 16
; WaveLimiterHint : 0
; COMPUTE_PGM_RSRC2:SCRATCH_EN: 0
; COMPUTE_PGM_RSRC2:USER_SGPR: 15
; COMPUTE_PGM_RSRC2:TRAP_HANDLER: 0
; COMPUTE_PGM_RSRC2:TGID_X_EN: 1
; COMPUTE_PGM_RSRC2:TGID_Y_EN: 0
; COMPUTE_PGM_RSRC2:TGID_Z_EN: 0
; COMPUTE_PGM_RSRC2:TIDIG_COMP_CNT: 0
	.section	.text._ZN7rocprim17ROCPRIM_400000_NS6detail17trampoline_kernelINS0_13select_configILj256ELj13ELNS0_17block_load_methodE3ELS4_3ELS4_3ELNS0_20block_scan_algorithmE0ELj4294967295EEENS1_25partition_config_selectorILNS1_17partition_subalgoE4EjNS0_10empty_typeEbEEZZNS1_14partition_implILS8_4ELb0ES6_15HIP_vector_typeIjLj2EENS0_17counting_iteratorIjlEEPS9_SG_NS0_5tupleIJPjSI_NS0_16reverse_iteratorISI_EEEEENSH_IJSG_SG_SG_EEES9_SI_JZNS1_25segmented_radix_sort_implINS0_14default_configELb0EPKsPsPKlPlN2at6native12_GLOBAL__N_18offset_tEEE10hipError_tPvRmT1_PNSt15iterator_traitsIS12_E10value_typeET2_T3_PNS13_IS18_E10value_typeET4_jRbjT5_S1E_jjP12ihipStream_tbEUljE_ZNSN_ISO_Lb0ESQ_SR_ST_SU_SY_EESZ_S10_S11_S12_S16_S17_S18_S1B_S1C_jS1D_jS1E_S1E_jjS1G_bEUljE0_EEESZ_S10_S11_S18_S1C_S1E_T6_T7_T9_mT8_S1G_bDpT10_ENKUlT_T0_E_clISt17integral_constantIbLb0EES1T_IbLb1EEEEDaS1P_S1Q_EUlS1P_E_NS1_11comp_targetILNS1_3genE0ELNS1_11target_archE4294967295ELNS1_3gpuE0ELNS1_3repE0EEENS1_30default_config_static_selectorELNS0_4arch9wavefront6targetE0EEEvS12_,"axG",@progbits,_ZN7rocprim17ROCPRIM_400000_NS6detail17trampoline_kernelINS0_13select_configILj256ELj13ELNS0_17block_load_methodE3ELS4_3ELS4_3ELNS0_20block_scan_algorithmE0ELj4294967295EEENS1_25partition_config_selectorILNS1_17partition_subalgoE4EjNS0_10empty_typeEbEEZZNS1_14partition_implILS8_4ELb0ES6_15HIP_vector_typeIjLj2EENS0_17counting_iteratorIjlEEPS9_SG_NS0_5tupleIJPjSI_NS0_16reverse_iteratorISI_EEEEENSH_IJSG_SG_SG_EEES9_SI_JZNS1_25segmented_radix_sort_implINS0_14default_configELb0EPKsPsPKlPlN2at6native12_GLOBAL__N_18offset_tEEE10hipError_tPvRmT1_PNSt15iterator_traitsIS12_E10value_typeET2_T3_PNS13_IS18_E10value_typeET4_jRbjT5_S1E_jjP12ihipStream_tbEUljE_ZNSN_ISO_Lb0ESQ_SR_ST_SU_SY_EESZ_S10_S11_S12_S16_S17_S18_S1B_S1C_jS1D_jS1E_S1E_jjS1G_bEUljE0_EEESZ_S10_S11_S18_S1C_S1E_T6_T7_T9_mT8_S1G_bDpT10_ENKUlT_T0_E_clISt17integral_constantIbLb0EES1T_IbLb1EEEEDaS1P_S1Q_EUlS1P_E_NS1_11comp_targetILNS1_3genE0ELNS1_11target_archE4294967295ELNS1_3gpuE0ELNS1_3repE0EEENS1_30default_config_static_selectorELNS0_4arch9wavefront6targetE0EEEvS12_,comdat
	.globl	_ZN7rocprim17ROCPRIM_400000_NS6detail17trampoline_kernelINS0_13select_configILj256ELj13ELNS0_17block_load_methodE3ELS4_3ELS4_3ELNS0_20block_scan_algorithmE0ELj4294967295EEENS1_25partition_config_selectorILNS1_17partition_subalgoE4EjNS0_10empty_typeEbEEZZNS1_14partition_implILS8_4ELb0ES6_15HIP_vector_typeIjLj2EENS0_17counting_iteratorIjlEEPS9_SG_NS0_5tupleIJPjSI_NS0_16reverse_iteratorISI_EEEEENSH_IJSG_SG_SG_EEES9_SI_JZNS1_25segmented_radix_sort_implINS0_14default_configELb0EPKsPsPKlPlN2at6native12_GLOBAL__N_18offset_tEEE10hipError_tPvRmT1_PNSt15iterator_traitsIS12_E10value_typeET2_T3_PNS13_IS18_E10value_typeET4_jRbjT5_S1E_jjP12ihipStream_tbEUljE_ZNSN_ISO_Lb0ESQ_SR_ST_SU_SY_EESZ_S10_S11_S12_S16_S17_S18_S1B_S1C_jS1D_jS1E_S1E_jjS1G_bEUljE0_EEESZ_S10_S11_S18_S1C_S1E_T6_T7_T9_mT8_S1G_bDpT10_ENKUlT_T0_E_clISt17integral_constantIbLb0EES1T_IbLb1EEEEDaS1P_S1Q_EUlS1P_E_NS1_11comp_targetILNS1_3genE0ELNS1_11target_archE4294967295ELNS1_3gpuE0ELNS1_3repE0EEENS1_30default_config_static_selectorELNS0_4arch9wavefront6targetE0EEEvS12_ ; -- Begin function _ZN7rocprim17ROCPRIM_400000_NS6detail17trampoline_kernelINS0_13select_configILj256ELj13ELNS0_17block_load_methodE3ELS4_3ELS4_3ELNS0_20block_scan_algorithmE0ELj4294967295EEENS1_25partition_config_selectorILNS1_17partition_subalgoE4EjNS0_10empty_typeEbEEZZNS1_14partition_implILS8_4ELb0ES6_15HIP_vector_typeIjLj2EENS0_17counting_iteratorIjlEEPS9_SG_NS0_5tupleIJPjSI_NS0_16reverse_iteratorISI_EEEEENSH_IJSG_SG_SG_EEES9_SI_JZNS1_25segmented_radix_sort_implINS0_14default_configELb0EPKsPsPKlPlN2at6native12_GLOBAL__N_18offset_tEEE10hipError_tPvRmT1_PNSt15iterator_traitsIS12_E10value_typeET2_T3_PNS13_IS18_E10value_typeET4_jRbjT5_S1E_jjP12ihipStream_tbEUljE_ZNSN_ISO_Lb0ESQ_SR_ST_SU_SY_EESZ_S10_S11_S12_S16_S17_S18_S1B_S1C_jS1D_jS1E_S1E_jjS1G_bEUljE0_EEESZ_S10_S11_S18_S1C_S1E_T6_T7_T9_mT8_S1G_bDpT10_ENKUlT_T0_E_clISt17integral_constantIbLb0EES1T_IbLb1EEEEDaS1P_S1Q_EUlS1P_E_NS1_11comp_targetILNS1_3genE0ELNS1_11target_archE4294967295ELNS1_3gpuE0ELNS1_3repE0EEENS1_30default_config_static_selectorELNS0_4arch9wavefront6targetE0EEEvS12_
	.p2align	8
	.type	_ZN7rocprim17ROCPRIM_400000_NS6detail17trampoline_kernelINS0_13select_configILj256ELj13ELNS0_17block_load_methodE3ELS4_3ELS4_3ELNS0_20block_scan_algorithmE0ELj4294967295EEENS1_25partition_config_selectorILNS1_17partition_subalgoE4EjNS0_10empty_typeEbEEZZNS1_14partition_implILS8_4ELb0ES6_15HIP_vector_typeIjLj2EENS0_17counting_iteratorIjlEEPS9_SG_NS0_5tupleIJPjSI_NS0_16reverse_iteratorISI_EEEEENSH_IJSG_SG_SG_EEES9_SI_JZNS1_25segmented_radix_sort_implINS0_14default_configELb0EPKsPsPKlPlN2at6native12_GLOBAL__N_18offset_tEEE10hipError_tPvRmT1_PNSt15iterator_traitsIS12_E10value_typeET2_T3_PNS13_IS18_E10value_typeET4_jRbjT5_S1E_jjP12ihipStream_tbEUljE_ZNSN_ISO_Lb0ESQ_SR_ST_SU_SY_EESZ_S10_S11_S12_S16_S17_S18_S1B_S1C_jS1D_jS1E_S1E_jjS1G_bEUljE0_EEESZ_S10_S11_S18_S1C_S1E_T6_T7_T9_mT8_S1G_bDpT10_ENKUlT_T0_E_clISt17integral_constantIbLb0EES1T_IbLb1EEEEDaS1P_S1Q_EUlS1P_E_NS1_11comp_targetILNS1_3genE0ELNS1_11target_archE4294967295ELNS1_3gpuE0ELNS1_3repE0EEENS1_30default_config_static_selectorELNS0_4arch9wavefront6targetE0EEEvS12_,@function
_ZN7rocprim17ROCPRIM_400000_NS6detail17trampoline_kernelINS0_13select_configILj256ELj13ELNS0_17block_load_methodE3ELS4_3ELS4_3ELNS0_20block_scan_algorithmE0ELj4294967295EEENS1_25partition_config_selectorILNS1_17partition_subalgoE4EjNS0_10empty_typeEbEEZZNS1_14partition_implILS8_4ELb0ES6_15HIP_vector_typeIjLj2EENS0_17counting_iteratorIjlEEPS9_SG_NS0_5tupleIJPjSI_NS0_16reverse_iteratorISI_EEEEENSH_IJSG_SG_SG_EEES9_SI_JZNS1_25segmented_radix_sort_implINS0_14default_configELb0EPKsPsPKlPlN2at6native12_GLOBAL__N_18offset_tEEE10hipError_tPvRmT1_PNSt15iterator_traitsIS12_E10value_typeET2_T3_PNS13_IS18_E10value_typeET4_jRbjT5_S1E_jjP12ihipStream_tbEUljE_ZNSN_ISO_Lb0ESQ_SR_ST_SU_SY_EESZ_S10_S11_S12_S16_S17_S18_S1B_S1C_jS1D_jS1E_S1E_jjS1G_bEUljE0_EEESZ_S10_S11_S18_S1C_S1E_T6_T7_T9_mT8_S1G_bDpT10_ENKUlT_T0_E_clISt17integral_constantIbLb0EES1T_IbLb1EEEEDaS1P_S1Q_EUlS1P_E_NS1_11comp_targetILNS1_3genE0ELNS1_11target_archE4294967295ELNS1_3gpuE0ELNS1_3repE0EEENS1_30default_config_static_selectorELNS0_4arch9wavefront6targetE0EEEvS12_: ; @_ZN7rocprim17ROCPRIM_400000_NS6detail17trampoline_kernelINS0_13select_configILj256ELj13ELNS0_17block_load_methodE3ELS4_3ELS4_3ELNS0_20block_scan_algorithmE0ELj4294967295EEENS1_25partition_config_selectorILNS1_17partition_subalgoE4EjNS0_10empty_typeEbEEZZNS1_14partition_implILS8_4ELb0ES6_15HIP_vector_typeIjLj2EENS0_17counting_iteratorIjlEEPS9_SG_NS0_5tupleIJPjSI_NS0_16reverse_iteratorISI_EEEEENSH_IJSG_SG_SG_EEES9_SI_JZNS1_25segmented_radix_sort_implINS0_14default_configELb0EPKsPsPKlPlN2at6native12_GLOBAL__N_18offset_tEEE10hipError_tPvRmT1_PNSt15iterator_traitsIS12_E10value_typeET2_T3_PNS13_IS18_E10value_typeET4_jRbjT5_S1E_jjP12ihipStream_tbEUljE_ZNSN_ISO_Lb0ESQ_SR_ST_SU_SY_EESZ_S10_S11_S12_S16_S17_S18_S1B_S1C_jS1D_jS1E_S1E_jjS1G_bEUljE0_EEESZ_S10_S11_S18_S1C_S1E_T6_T7_T9_mT8_S1G_bDpT10_ENKUlT_T0_E_clISt17integral_constantIbLb0EES1T_IbLb1EEEEDaS1P_S1Q_EUlS1P_E_NS1_11comp_targetILNS1_3genE0ELNS1_11target_archE4294967295ELNS1_3gpuE0ELNS1_3repE0EEENS1_30default_config_static_selectorELNS0_4arch9wavefront6targetE0EEEvS12_
; %bb.0:
	.section	.rodata,"a",@progbits
	.p2align	6, 0x0
	.amdhsa_kernel _ZN7rocprim17ROCPRIM_400000_NS6detail17trampoline_kernelINS0_13select_configILj256ELj13ELNS0_17block_load_methodE3ELS4_3ELS4_3ELNS0_20block_scan_algorithmE0ELj4294967295EEENS1_25partition_config_selectorILNS1_17partition_subalgoE4EjNS0_10empty_typeEbEEZZNS1_14partition_implILS8_4ELb0ES6_15HIP_vector_typeIjLj2EENS0_17counting_iteratorIjlEEPS9_SG_NS0_5tupleIJPjSI_NS0_16reverse_iteratorISI_EEEEENSH_IJSG_SG_SG_EEES9_SI_JZNS1_25segmented_radix_sort_implINS0_14default_configELb0EPKsPsPKlPlN2at6native12_GLOBAL__N_18offset_tEEE10hipError_tPvRmT1_PNSt15iterator_traitsIS12_E10value_typeET2_T3_PNS13_IS18_E10value_typeET4_jRbjT5_S1E_jjP12ihipStream_tbEUljE_ZNSN_ISO_Lb0ESQ_SR_ST_SU_SY_EESZ_S10_S11_S12_S16_S17_S18_S1B_S1C_jS1D_jS1E_S1E_jjS1G_bEUljE0_EEESZ_S10_S11_S18_S1C_S1E_T6_T7_T9_mT8_S1G_bDpT10_ENKUlT_T0_E_clISt17integral_constantIbLb0EES1T_IbLb1EEEEDaS1P_S1Q_EUlS1P_E_NS1_11comp_targetILNS1_3genE0ELNS1_11target_archE4294967295ELNS1_3gpuE0ELNS1_3repE0EEENS1_30default_config_static_selectorELNS0_4arch9wavefront6targetE0EEEvS12_
		.amdhsa_group_segment_fixed_size 0
		.amdhsa_private_segment_fixed_size 0
		.amdhsa_kernarg_size 184
		.amdhsa_user_sgpr_count 15
		.amdhsa_user_sgpr_dispatch_ptr 0
		.amdhsa_user_sgpr_queue_ptr 0
		.amdhsa_user_sgpr_kernarg_segment_ptr 1
		.amdhsa_user_sgpr_dispatch_id 0
		.amdhsa_user_sgpr_private_segment_size 0
		.amdhsa_wavefront_size32 1
		.amdhsa_uses_dynamic_stack 0
		.amdhsa_enable_private_segment 0
		.amdhsa_system_sgpr_workgroup_id_x 1
		.amdhsa_system_sgpr_workgroup_id_y 0
		.amdhsa_system_sgpr_workgroup_id_z 0
		.amdhsa_system_sgpr_workgroup_info 0
		.amdhsa_system_vgpr_workitem_id 0
		.amdhsa_next_free_vgpr 1
		.amdhsa_next_free_sgpr 1
		.amdhsa_reserve_vcc 0
		.amdhsa_float_round_mode_32 0
		.amdhsa_float_round_mode_16_64 0
		.amdhsa_float_denorm_mode_32 3
		.amdhsa_float_denorm_mode_16_64 3
		.amdhsa_dx10_clamp 1
		.amdhsa_ieee_mode 1
		.amdhsa_fp16_overflow 0
		.amdhsa_workgroup_processor_mode 1
		.amdhsa_memory_ordered 1
		.amdhsa_forward_progress 0
		.amdhsa_shared_vgpr_count 0
		.amdhsa_exception_fp_ieee_invalid_op 0
		.amdhsa_exception_fp_denorm_src 0
		.amdhsa_exception_fp_ieee_div_zero 0
		.amdhsa_exception_fp_ieee_overflow 0
		.amdhsa_exception_fp_ieee_underflow 0
		.amdhsa_exception_fp_ieee_inexact 0
		.amdhsa_exception_int_div_zero 0
	.end_amdhsa_kernel
	.section	.text._ZN7rocprim17ROCPRIM_400000_NS6detail17trampoline_kernelINS0_13select_configILj256ELj13ELNS0_17block_load_methodE3ELS4_3ELS4_3ELNS0_20block_scan_algorithmE0ELj4294967295EEENS1_25partition_config_selectorILNS1_17partition_subalgoE4EjNS0_10empty_typeEbEEZZNS1_14partition_implILS8_4ELb0ES6_15HIP_vector_typeIjLj2EENS0_17counting_iteratorIjlEEPS9_SG_NS0_5tupleIJPjSI_NS0_16reverse_iteratorISI_EEEEENSH_IJSG_SG_SG_EEES9_SI_JZNS1_25segmented_radix_sort_implINS0_14default_configELb0EPKsPsPKlPlN2at6native12_GLOBAL__N_18offset_tEEE10hipError_tPvRmT1_PNSt15iterator_traitsIS12_E10value_typeET2_T3_PNS13_IS18_E10value_typeET4_jRbjT5_S1E_jjP12ihipStream_tbEUljE_ZNSN_ISO_Lb0ESQ_SR_ST_SU_SY_EESZ_S10_S11_S12_S16_S17_S18_S1B_S1C_jS1D_jS1E_S1E_jjS1G_bEUljE0_EEESZ_S10_S11_S18_S1C_S1E_T6_T7_T9_mT8_S1G_bDpT10_ENKUlT_T0_E_clISt17integral_constantIbLb0EES1T_IbLb1EEEEDaS1P_S1Q_EUlS1P_E_NS1_11comp_targetILNS1_3genE0ELNS1_11target_archE4294967295ELNS1_3gpuE0ELNS1_3repE0EEENS1_30default_config_static_selectorELNS0_4arch9wavefront6targetE0EEEvS12_,"axG",@progbits,_ZN7rocprim17ROCPRIM_400000_NS6detail17trampoline_kernelINS0_13select_configILj256ELj13ELNS0_17block_load_methodE3ELS4_3ELS4_3ELNS0_20block_scan_algorithmE0ELj4294967295EEENS1_25partition_config_selectorILNS1_17partition_subalgoE4EjNS0_10empty_typeEbEEZZNS1_14partition_implILS8_4ELb0ES6_15HIP_vector_typeIjLj2EENS0_17counting_iteratorIjlEEPS9_SG_NS0_5tupleIJPjSI_NS0_16reverse_iteratorISI_EEEEENSH_IJSG_SG_SG_EEES9_SI_JZNS1_25segmented_radix_sort_implINS0_14default_configELb0EPKsPsPKlPlN2at6native12_GLOBAL__N_18offset_tEEE10hipError_tPvRmT1_PNSt15iterator_traitsIS12_E10value_typeET2_T3_PNS13_IS18_E10value_typeET4_jRbjT5_S1E_jjP12ihipStream_tbEUljE_ZNSN_ISO_Lb0ESQ_SR_ST_SU_SY_EESZ_S10_S11_S12_S16_S17_S18_S1B_S1C_jS1D_jS1E_S1E_jjS1G_bEUljE0_EEESZ_S10_S11_S18_S1C_S1E_T6_T7_T9_mT8_S1G_bDpT10_ENKUlT_T0_E_clISt17integral_constantIbLb0EES1T_IbLb1EEEEDaS1P_S1Q_EUlS1P_E_NS1_11comp_targetILNS1_3genE0ELNS1_11target_archE4294967295ELNS1_3gpuE0ELNS1_3repE0EEENS1_30default_config_static_selectorELNS0_4arch9wavefront6targetE0EEEvS12_,comdat
.Lfunc_end974:
	.size	_ZN7rocprim17ROCPRIM_400000_NS6detail17trampoline_kernelINS0_13select_configILj256ELj13ELNS0_17block_load_methodE3ELS4_3ELS4_3ELNS0_20block_scan_algorithmE0ELj4294967295EEENS1_25partition_config_selectorILNS1_17partition_subalgoE4EjNS0_10empty_typeEbEEZZNS1_14partition_implILS8_4ELb0ES6_15HIP_vector_typeIjLj2EENS0_17counting_iteratorIjlEEPS9_SG_NS0_5tupleIJPjSI_NS0_16reverse_iteratorISI_EEEEENSH_IJSG_SG_SG_EEES9_SI_JZNS1_25segmented_radix_sort_implINS0_14default_configELb0EPKsPsPKlPlN2at6native12_GLOBAL__N_18offset_tEEE10hipError_tPvRmT1_PNSt15iterator_traitsIS12_E10value_typeET2_T3_PNS13_IS18_E10value_typeET4_jRbjT5_S1E_jjP12ihipStream_tbEUljE_ZNSN_ISO_Lb0ESQ_SR_ST_SU_SY_EESZ_S10_S11_S12_S16_S17_S18_S1B_S1C_jS1D_jS1E_S1E_jjS1G_bEUljE0_EEESZ_S10_S11_S18_S1C_S1E_T6_T7_T9_mT8_S1G_bDpT10_ENKUlT_T0_E_clISt17integral_constantIbLb0EES1T_IbLb1EEEEDaS1P_S1Q_EUlS1P_E_NS1_11comp_targetILNS1_3genE0ELNS1_11target_archE4294967295ELNS1_3gpuE0ELNS1_3repE0EEENS1_30default_config_static_selectorELNS0_4arch9wavefront6targetE0EEEvS12_, .Lfunc_end974-_ZN7rocprim17ROCPRIM_400000_NS6detail17trampoline_kernelINS0_13select_configILj256ELj13ELNS0_17block_load_methodE3ELS4_3ELS4_3ELNS0_20block_scan_algorithmE0ELj4294967295EEENS1_25partition_config_selectorILNS1_17partition_subalgoE4EjNS0_10empty_typeEbEEZZNS1_14partition_implILS8_4ELb0ES6_15HIP_vector_typeIjLj2EENS0_17counting_iteratorIjlEEPS9_SG_NS0_5tupleIJPjSI_NS0_16reverse_iteratorISI_EEEEENSH_IJSG_SG_SG_EEES9_SI_JZNS1_25segmented_radix_sort_implINS0_14default_configELb0EPKsPsPKlPlN2at6native12_GLOBAL__N_18offset_tEEE10hipError_tPvRmT1_PNSt15iterator_traitsIS12_E10value_typeET2_T3_PNS13_IS18_E10value_typeET4_jRbjT5_S1E_jjP12ihipStream_tbEUljE_ZNSN_ISO_Lb0ESQ_SR_ST_SU_SY_EESZ_S10_S11_S12_S16_S17_S18_S1B_S1C_jS1D_jS1E_S1E_jjS1G_bEUljE0_EEESZ_S10_S11_S18_S1C_S1E_T6_T7_T9_mT8_S1G_bDpT10_ENKUlT_T0_E_clISt17integral_constantIbLb0EES1T_IbLb1EEEEDaS1P_S1Q_EUlS1P_E_NS1_11comp_targetILNS1_3genE0ELNS1_11target_archE4294967295ELNS1_3gpuE0ELNS1_3repE0EEENS1_30default_config_static_selectorELNS0_4arch9wavefront6targetE0EEEvS12_
                                        ; -- End function
	.section	.AMDGPU.csdata,"",@progbits
; Kernel info:
; codeLenInByte = 0
; NumSgprs: 0
; NumVgprs: 0
; ScratchSize: 0
; MemoryBound: 0
; FloatMode: 240
; IeeeMode: 1
; LDSByteSize: 0 bytes/workgroup (compile time only)
; SGPRBlocks: 0
; VGPRBlocks: 0
; NumSGPRsForWavesPerEU: 1
; NumVGPRsForWavesPerEU: 1
; Occupancy: 16
; WaveLimiterHint : 0
; COMPUTE_PGM_RSRC2:SCRATCH_EN: 0
; COMPUTE_PGM_RSRC2:USER_SGPR: 15
; COMPUTE_PGM_RSRC2:TRAP_HANDLER: 0
; COMPUTE_PGM_RSRC2:TGID_X_EN: 1
; COMPUTE_PGM_RSRC2:TGID_Y_EN: 0
; COMPUTE_PGM_RSRC2:TGID_Z_EN: 0
; COMPUTE_PGM_RSRC2:TIDIG_COMP_CNT: 0
	.section	.text._ZN7rocprim17ROCPRIM_400000_NS6detail17trampoline_kernelINS0_13select_configILj256ELj13ELNS0_17block_load_methodE3ELS4_3ELS4_3ELNS0_20block_scan_algorithmE0ELj4294967295EEENS1_25partition_config_selectorILNS1_17partition_subalgoE4EjNS0_10empty_typeEbEEZZNS1_14partition_implILS8_4ELb0ES6_15HIP_vector_typeIjLj2EENS0_17counting_iteratorIjlEEPS9_SG_NS0_5tupleIJPjSI_NS0_16reverse_iteratorISI_EEEEENSH_IJSG_SG_SG_EEES9_SI_JZNS1_25segmented_radix_sort_implINS0_14default_configELb0EPKsPsPKlPlN2at6native12_GLOBAL__N_18offset_tEEE10hipError_tPvRmT1_PNSt15iterator_traitsIS12_E10value_typeET2_T3_PNS13_IS18_E10value_typeET4_jRbjT5_S1E_jjP12ihipStream_tbEUljE_ZNSN_ISO_Lb0ESQ_SR_ST_SU_SY_EESZ_S10_S11_S12_S16_S17_S18_S1B_S1C_jS1D_jS1E_S1E_jjS1G_bEUljE0_EEESZ_S10_S11_S18_S1C_S1E_T6_T7_T9_mT8_S1G_bDpT10_ENKUlT_T0_E_clISt17integral_constantIbLb0EES1T_IbLb1EEEEDaS1P_S1Q_EUlS1P_E_NS1_11comp_targetILNS1_3genE5ELNS1_11target_archE942ELNS1_3gpuE9ELNS1_3repE0EEENS1_30default_config_static_selectorELNS0_4arch9wavefront6targetE0EEEvS12_,"axG",@progbits,_ZN7rocprim17ROCPRIM_400000_NS6detail17trampoline_kernelINS0_13select_configILj256ELj13ELNS0_17block_load_methodE3ELS4_3ELS4_3ELNS0_20block_scan_algorithmE0ELj4294967295EEENS1_25partition_config_selectorILNS1_17partition_subalgoE4EjNS0_10empty_typeEbEEZZNS1_14partition_implILS8_4ELb0ES6_15HIP_vector_typeIjLj2EENS0_17counting_iteratorIjlEEPS9_SG_NS0_5tupleIJPjSI_NS0_16reverse_iteratorISI_EEEEENSH_IJSG_SG_SG_EEES9_SI_JZNS1_25segmented_radix_sort_implINS0_14default_configELb0EPKsPsPKlPlN2at6native12_GLOBAL__N_18offset_tEEE10hipError_tPvRmT1_PNSt15iterator_traitsIS12_E10value_typeET2_T3_PNS13_IS18_E10value_typeET4_jRbjT5_S1E_jjP12ihipStream_tbEUljE_ZNSN_ISO_Lb0ESQ_SR_ST_SU_SY_EESZ_S10_S11_S12_S16_S17_S18_S1B_S1C_jS1D_jS1E_S1E_jjS1G_bEUljE0_EEESZ_S10_S11_S18_S1C_S1E_T6_T7_T9_mT8_S1G_bDpT10_ENKUlT_T0_E_clISt17integral_constantIbLb0EES1T_IbLb1EEEEDaS1P_S1Q_EUlS1P_E_NS1_11comp_targetILNS1_3genE5ELNS1_11target_archE942ELNS1_3gpuE9ELNS1_3repE0EEENS1_30default_config_static_selectorELNS0_4arch9wavefront6targetE0EEEvS12_,comdat
	.globl	_ZN7rocprim17ROCPRIM_400000_NS6detail17trampoline_kernelINS0_13select_configILj256ELj13ELNS0_17block_load_methodE3ELS4_3ELS4_3ELNS0_20block_scan_algorithmE0ELj4294967295EEENS1_25partition_config_selectorILNS1_17partition_subalgoE4EjNS0_10empty_typeEbEEZZNS1_14partition_implILS8_4ELb0ES6_15HIP_vector_typeIjLj2EENS0_17counting_iteratorIjlEEPS9_SG_NS0_5tupleIJPjSI_NS0_16reverse_iteratorISI_EEEEENSH_IJSG_SG_SG_EEES9_SI_JZNS1_25segmented_radix_sort_implINS0_14default_configELb0EPKsPsPKlPlN2at6native12_GLOBAL__N_18offset_tEEE10hipError_tPvRmT1_PNSt15iterator_traitsIS12_E10value_typeET2_T3_PNS13_IS18_E10value_typeET4_jRbjT5_S1E_jjP12ihipStream_tbEUljE_ZNSN_ISO_Lb0ESQ_SR_ST_SU_SY_EESZ_S10_S11_S12_S16_S17_S18_S1B_S1C_jS1D_jS1E_S1E_jjS1G_bEUljE0_EEESZ_S10_S11_S18_S1C_S1E_T6_T7_T9_mT8_S1G_bDpT10_ENKUlT_T0_E_clISt17integral_constantIbLb0EES1T_IbLb1EEEEDaS1P_S1Q_EUlS1P_E_NS1_11comp_targetILNS1_3genE5ELNS1_11target_archE942ELNS1_3gpuE9ELNS1_3repE0EEENS1_30default_config_static_selectorELNS0_4arch9wavefront6targetE0EEEvS12_ ; -- Begin function _ZN7rocprim17ROCPRIM_400000_NS6detail17trampoline_kernelINS0_13select_configILj256ELj13ELNS0_17block_load_methodE3ELS4_3ELS4_3ELNS0_20block_scan_algorithmE0ELj4294967295EEENS1_25partition_config_selectorILNS1_17partition_subalgoE4EjNS0_10empty_typeEbEEZZNS1_14partition_implILS8_4ELb0ES6_15HIP_vector_typeIjLj2EENS0_17counting_iteratorIjlEEPS9_SG_NS0_5tupleIJPjSI_NS0_16reverse_iteratorISI_EEEEENSH_IJSG_SG_SG_EEES9_SI_JZNS1_25segmented_radix_sort_implINS0_14default_configELb0EPKsPsPKlPlN2at6native12_GLOBAL__N_18offset_tEEE10hipError_tPvRmT1_PNSt15iterator_traitsIS12_E10value_typeET2_T3_PNS13_IS18_E10value_typeET4_jRbjT5_S1E_jjP12ihipStream_tbEUljE_ZNSN_ISO_Lb0ESQ_SR_ST_SU_SY_EESZ_S10_S11_S12_S16_S17_S18_S1B_S1C_jS1D_jS1E_S1E_jjS1G_bEUljE0_EEESZ_S10_S11_S18_S1C_S1E_T6_T7_T9_mT8_S1G_bDpT10_ENKUlT_T0_E_clISt17integral_constantIbLb0EES1T_IbLb1EEEEDaS1P_S1Q_EUlS1P_E_NS1_11comp_targetILNS1_3genE5ELNS1_11target_archE942ELNS1_3gpuE9ELNS1_3repE0EEENS1_30default_config_static_selectorELNS0_4arch9wavefront6targetE0EEEvS12_
	.p2align	8
	.type	_ZN7rocprim17ROCPRIM_400000_NS6detail17trampoline_kernelINS0_13select_configILj256ELj13ELNS0_17block_load_methodE3ELS4_3ELS4_3ELNS0_20block_scan_algorithmE0ELj4294967295EEENS1_25partition_config_selectorILNS1_17partition_subalgoE4EjNS0_10empty_typeEbEEZZNS1_14partition_implILS8_4ELb0ES6_15HIP_vector_typeIjLj2EENS0_17counting_iteratorIjlEEPS9_SG_NS0_5tupleIJPjSI_NS0_16reverse_iteratorISI_EEEEENSH_IJSG_SG_SG_EEES9_SI_JZNS1_25segmented_radix_sort_implINS0_14default_configELb0EPKsPsPKlPlN2at6native12_GLOBAL__N_18offset_tEEE10hipError_tPvRmT1_PNSt15iterator_traitsIS12_E10value_typeET2_T3_PNS13_IS18_E10value_typeET4_jRbjT5_S1E_jjP12ihipStream_tbEUljE_ZNSN_ISO_Lb0ESQ_SR_ST_SU_SY_EESZ_S10_S11_S12_S16_S17_S18_S1B_S1C_jS1D_jS1E_S1E_jjS1G_bEUljE0_EEESZ_S10_S11_S18_S1C_S1E_T6_T7_T9_mT8_S1G_bDpT10_ENKUlT_T0_E_clISt17integral_constantIbLb0EES1T_IbLb1EEEEDaS1P_S1Q_EUlS1P_E_NS1_11comp_targetILNS1_3genE5ELNS1_11target_archE942ELNS1_3gpuE9ELNS1_3repE0EEENS1_30default_config_static_selectorELNS0_4arch9wavefront6targetE0EEEvS12_,@function
_ZN7rocprim17ROCPRIM_400000_NS6detail17trampoline_kernelINS0_13select_configILj256ELj13ELNS0_17block_load_methodE3ELS4_3ELS4_3ELNS0_20block_scan_algorithmE0ELj4294967295EEENS1_25partition_config_selectorILNS1_17partition_subalgoE4EjNS0_10empty_typeEbEEZZNS1_14partition_implILS8_4ELb0ES6_15HIP_vector_typeIjLj2EENS0_17counting_iteratorIjlEEPS9_SG_NS0_5tupleIJPjSI_NS0_16reverse_iteratorISI_EEEEENSH_IJSG_SG_SG_EEES9_SI_JZNS1_25segmented_radix_sort_implINS0_14default_configELb0EPKsPsPKlPlN2at6native12_GLOBAL__N_18offset_tEEE10hipError_tPvRmT1_PNSt15iterator_traitsIS12_E10value_typeET2_T3_PNS13_IS18_E10value_typeET4_jRbjT5_S1E_jjP12ihipStream_tbEUljE_ZNSN_ISO_Lb0ESQ_SR_ST_SU_SY_EESZ_S10_S11_S12_S16_S17_S18_S1B_S1C_jS1D_jS1E_S1E_jjS1G_bEUljE0_EEESZ_S10_S11_S18_S1C_S1E_T6_T7_T9_mT8_S1G_bDpT10_ENKUlT_T0_E_clISt17integral_constantIbLb0EES1T_IbLb1EEEEDaS1P_S1Q_EUlS1P_E_NS1_11comp_targetILNS1_3genE5ELNS1_11target_archE942ELNS1_3gpuE9ELNS1_3repE0EEENS1_30default_config_static_selectorELNS0_4arch9wavefront6targetE0EEEvS12_: ; @_ZN7rocprim17ROCPRIM_400000_NS6detail17trampoline_kernelINS0_13select_configILj256ELj13ELNS0_17block_load_methodE3ELS4_3ELS4_3ELNS0_20block_scan_algorithmE0ELj4294967295EEENS1_25partition_config_selectorILNS1_17partition_subalgoE4EjNS0_10empty_typeEbEEZZNS1_14partition_implILS8_4ELb0ES6_15HIP_vector_typeIjLj2EENS0_17counting_iteratorIjlEEPS9_SG_NS0_5tupleIJPjSI_NS0_16reverse_iteratorISI_EEEEENSH_IJSG_SG_SG_EEES9_SI_JZNS1_25segmented_radix_sort_implINS0_14default_configELb0EPKsPsPKlPlN2at6native12_GLOBAL__N_18offset_tEEE10hipError_tPvRmT1_PNSt15iterator_traitsIS12_E10value_typeET2_T3_PNS13_IS18_E10value_typeET4_jRbjT5_S1E_jjP12ihipStream_tbEUljE_ZNSN_ISO_Lb0ESQ_SR_ST_SU_SY_EESZ_S10_S11_S12_S16_S17_S18_S1B_S1C_jS1D_jS1E_S1E_jjS1G_bEUljE0_EEESZ_S10_S11_S18_S1C_S1E_T6_T7_T9_mT8_S1G_bDpT10_ENKUlT_T0_E_clISt17integral_constantIbLb0EES1T_IbLb1EEEEDaS1P_S1Q_EUlS1P_E_NS1_11comp_targetILNS1_3genE5ELNS1_11target_archE942ELNS1_3gpuE9ELNS1_3repE0EEENS1_30default_config_static_selectorELNS0_4arch9wavefront6targetE0EEEvS12_
; %bb.0:
	.section	.rodata,"a",@progbits
	.p2align	6, 0x0
	.amdhsa_kernel _ZN7rocprim17ROCPRIM_400000_NS6detail17trampoline_kernelINS0_13select_configILj256ELj13ELNS0_17block_load_methodE3ELS4_3ELS4_3ELNS0_20block_scan_algorithmE0ELj4294967295EEENS1_25partition_config_selectorILNS1_17partition_subalgoE4EjNS0_10empty_typeEbEEZZNS1_14partition_implILS8_4ELb0ES6_15HIP_vector_typeIjLj2EENS0_17counting_iteratorIjlEEPS9_SG_NS0_5tupleIJPjSI_NS0_16reverse_iteratorISI_EEEEENSH_IJSG_SG_SG_EEES9_SI_JZNS1_25segmented_radix_sort_implINS0_14default_configELb0EPKsPsPKlPlN2at6native12_GLOBAL__N_18offset_tEEE10hipError_tPvRmT1_PNSt15iterator_traitsIS12_E10value_typeET2_T3_PNS13_IS18_E10value_typeET4_jRbjT5_S1E_jjP12ihipStream_tbEUljE_ZNSN_ISO_Lb0ESQ_SR_ST_SU_SY_EESZ_S10_S11_S12_S16_S17_S18_S1B_S1C_jS1D_jS1E_S1E_jjS1G_bEUljE0_EEESZ_S10_S11_S18_S1C_S1E_T6_T7_T9_mT8_S1G_bDpT10_ENKUlT_T0_E_clISt17integral_constantIbLb0EES1T_IbLb1EEEEDaS1P_S1Q_EUlS1P_E_NS1_11comp_targetILNS1_3genE5ELNS1_11target_archE942ELNS1_3gpuE9ELNS1_3repE0EEENS1_30default_config_static_selectorELNS0_4arch9wavefront6targetE0EEEvS12_
		.amdhsa_group_segment_fixed_size 0
		.amdhsa_private_segment_fixed_size 0
		.amdhsa_kernarg_size 184
		.amdhsa_user_sgpr_count 15
		.amdhsa_user_sgpr_dispatch_ptr 0
		.amdhsa_user_sgpr_queue_ptr 0
		.amdhsa_user_sgpr_kernarg_segment_ptr 1
		.amdhsa_user_sgpr_dispatch_id 0
		.amdhsa_user_sgpr_private_segment_size 0
		.amdhsa_wavefront_size32 1
		.amdhsa_uses_dynamic_stack 0
		.amdhsa_enable_private_segment 0
		.amdhsa_system_sgpr_workgroup_id_x 1
		.amdhsa_system_sgpr_workgroup_id_y 0
		.amdhsa_system_sgpr_workgroup_id_z 0
		.amdhsa_system_sgpr_workgroup_info 0
		.amdhsa_system_vgpr_workitem_id 0
		.amdhsa_next_free_vgpr 1
		.amdhsa_next_free_sgpr 1
		.amdhsa_reserve_vcc 0
		.amdhsa_float_round_mode_32 0
		.amdhsa_float_round_mode_16_64 0
		.amdhsa_float_denorm_mode_32 3
		.amdhsa_float_denorm_mode_16_64 3
		.amdhsa_dx10_clamp 1
		.amdhsa_ieee_mode 1
		.amdhsa_fp16_overflow 0
		.amdhsa_workgroup_processor_mode 1
		.amdhsa_memory_ordered 1
		.amdhsa_forward_progress 0
		.amdhsa_shared_vgpr_count 0
		.amdhsa_exception_fp_ieee_invalid_op 0
		.amdhsa_exception_fp_denorm_src 0
		.amdhsa_exception_fp_ieee_div_zero 0
		.amdhsa_exception_fp_ieee_overflow 0
		.amdhsa_exception_fp_ieee_underflow 0
		.amdhsa_exception_fp_ieee_inexact 0
		.amdhsa_exception_int_div_zero 0
	.end_amdhsa_kernel
	.section	.text._ZN7rocprim17ROCPRIM_400000_NS6detail17trampoline_kernelINS0_13select_configILj256ELj13ELNS0_17block_load_methodE3ELS4_3ELS4_3ELNS0_20block_scan_algorithmE0ELj4294967295EEENS1_25partition_config_selectorILNS1_17partition_subalgoE4EjNS0_10empty_typeEbEEZZNS1_14partition_implILS8_4ELb0ES6_15HIP_vector_typeIjLj2EENS0_17counting_iteratorIjlEEPS9_SG_NS0_5tupleIJPjSI_NS0_16reverse_iteratorISI_EEEEENSH_IJSG_SG_SG_EEES9_SI_JZNS1_25segmented_radix_sort_implINS0_14default_configELb0EPKsPsPKlPlN2at6native12_GLOBAL__N_18offset_tEEE10hipError_tPvRmT1_PNSt15iterator_traitsIS12_E10value_typeET2_T3_PNS13_IS18_E10value_typeET4_jRbjT5_S1E_jjP12ihipStream_tbEUljE_ZNSN_ISO_Lb0ESQ_SR_ST_SU_SY_EESZ_S10_S11_S12_S16_S17_S18_S1B_S1C_jS1D_jS1E_S1E_jjS1G_bEUljE0_EEESZ_S10_S11_S18_S1C_S1E_T6_T7_T9_mT8_S1G_bDpT10_ENKUlT_T0_E_clISt17integral_constantIbLb0EES1T_IbLb1EEEEDaS1P_S1Q_EUlS1P_E_NS1_11comp_targetILNS1_3genE5ELNS1_11target_archE942ELNS1_3gpuE9ELNS1_3repE0EEENS1_30default_config_static_selectorELNS0_4arch9wavefront6targetE0EEEvS12_,"axG",@progbits,_ZN7rocprim17ROCPRIM_400000_NS6detail17trampoline_kernelINS0_13select_configILj256ELj13ELNS0_17block_load_methodE3ELS4_3ELS4_3ELNS0_20block_scan_algorithmE0ELj4294967295EEENS1_25partition_config_selectorILNS1_17partition_subalgoE4EjNS0_10empty_typeEbEEZZNS1_14partition_implILS8_4ELb0ES6_15HIP_vector_typeIjLj2EENS0_17counting_iteratorIjlEEPS9_SG_NS0_5tupleIJPjSI_NS0_16reverse_iteratorISI_EEEEENSH_IJSG_SG_SG_EEES9_SI_JZNS1_25segmented_radix_sort_implINS0_14default_configELb0EPKsPsPKlPlN2at6native12_GLOBAL__N_18offset_tEEE10hipError_tPvRmT1_PNSt15iterator_traitsIS12_E10value_typeET2_T3_PNS13_IS18_E10value_typeET4_jRbjT5_S1E_jjP12ihipStream_tbEUljE_ZNSN_ISO_Lb0ESQ_SR_ST_SU_SY_EESZ_S10_S11_S12_S16_S17_S18_S1B_S1C_jS1D_jS1E_S1E_jjS1G_bEUljE0_EEESZ_S10_S11_S18_S1C_S1E_T6_T7_T9_mT8_S1G_bDpT10_ENKUlT_T0_E_clISt17integral_constantIbLb0EES1T_IbLb1EEEEDaS1P_S1Q_EUlS1P_E_NS1_11comp_targetILNS1_3genE5ELNS1_11target_archE942ELNS1_3gpuE9ELNS1_3repE0EEENS1_30default_config_static_selectorELNS0_4arch9wavefront6targetE0EEEvS12_,comdat
.Lfunc_end975:
	.size	_ZN7rocprim17ROCPRIM_400000_NS6detail17trampoline_kernelINS0_13select_configILj256ELj13ELNS0_17block_load_methodE3ELS4_3ELS4_3ELNS0_20block_scan_algorithmE0ELj4294967295EEENS1_25partition_config_selectorILNS1_17partition_subalgoE4EjNS0_10empty_typeEbEEZZNS1_14partition_implILS8_4ELb0ES6_15HIP_vector_typeIjLj2EENS0_17counting_iteratorIjlEEPS9_SG_NS0_5tupleIJPjSI_NS0_16reverse_iteratorISI_EEEEENSH_IJSG_SG_SG_EEES9_SI_JZNS1_25segmented_radix_sort_implINS0_14default_configELb0EPKsPsPKlPlN2at6native12_GLOBAL__N_18offset_tEEE10hipError_tPvRmT1_PNSt15iterator_traitsIS12_E10value_typeET2_T3_PNS13_IS18_E10value_typeET4_jRbjT5_S1E_jjP12ihipStream_tbEUljE_ZNSN_ISO_Lb0ESQ_SR_ST_SU_SY_EESZ_S10_S11_S12_S16_S17_S18_S1B_S1C_jS1D_jS1E_S1E_jjS1G_bEUljE0_EEESZ_S10_S11_S18_S1C_S1E_T6_T7_T9_mT8_S1G_bDpT10_ENKUlT_T0_E_clISt17integral_constantIbLb0EES1T_IbLb1EEEEDaS1P_S1Q_EUlS1P_E_NS1_11comp_targetILNS1_3genE5ELNS1_11target_archE942ELNS1_3gpuE9ELNS1_3repE0EEENS1_30default_config_static_selectorELNS0_4arch9wavefront6targetE0EEEvS12_, .Lfunc_end975-_ZN7rocprim17ROCPRIM_400000_NS6detail17trampoline_kernelINS0_13select_configILj256ELj13ELNS0_17block_load_methodE3ELS4_3ELS4_3ELNS0_20block_scan_algorithmE0ELj4294967295EEENS1_25partition_config_selectorILNS1_17partition_subalgoE4EjNS0_10empty_typeEbEEZZNS1_14partition_implILS8_4ELb0ES6_15HIP_vector_typeIjLj2EENS0_17counting_iteratorIjlEEPS9_SG_NS0_5tupleIJPjSI_NS0_16reverse_iteratorISI_EEEEENSH_IJSG_SG_SG_EEES9_SI_JZNS1_25segmented_radix_sort_implINS0_14default_configELb0EPKsPsPKlPlN2at6native12_GLOBAL__N_18offset_tEEE10hipError_tPvRmT1_PNSt15iterator_traitsIS12_E10value_typeET2_T3_PNS13_IS18_E10value_typeET4_jRbjT5_S1E_jjP12ihipStream_tbEUljE_ZNSN_ISO_Lb0ESQ_SR_ST_SU_SY_EESZ_S10_S11_S12_S16_S17_S18_S1B_S1C_jS1D_jS1E_S1E_jjS1G_bEUljE0_EEESZ_S10_S11_S18_S1C_S1E_T6_T7_T9_mT8_S1G_bDpT10_ENKUlT_T0_E_clISt17integral_constantIbLb0EES1T_IbLb1EEEEDaS1P_S1Q_EUlS1P_E_NS1_11comp_targetILNS1_3genE5ELNS1_11target_archE942ELNS1_3gpuE9ELNS1_3repE0EEENS1_30default_config_static_selectorELNS0_4arch9wavefront6targetE0EEEvS12_
                                        ; -- End function
	.section	.AMDGPU.csdata,"",@progbits
; Kernel info:
; codeLenInByte = 0
; NumSgprs: 0
; NumVgprs: 0
; ScratchSize: 0
; MemoryBound: 0
; FloatMode: 240
; IeeeMode: 1
; LDSByteSize: 0 bytes/workgroup (compile time only)
; SGPRBlocks: 0
; VGPRBlocks: 0
; NumSGPRsForWavesPerEU: 1
; NumVGPRsForWavesPerEU: 1
; Occupancy: 16
; WaveLimiterHint : 0
; COMPUTE_PGM_RSRC2:SCRATCH_EN: 0
; COMPUTE_PGM_RSRC2:USER_SGPR: 15
; COMPUTE_PGM_RSRC2:TRAP_HANDLER: 0
; COMPUTE_PGM_RSRC2:TGID_X_EN: 1
; COMPUTE_PGM_RSRC2:TGID_Y_EN: 0
; COMPUTE_PGM_RSRC2:TGID_Z_EN: 0
; COMPUTE_PGM_RSRC2:TIDIG_COMP_CNT: 0
	.section	.text._ZN7rocprim17ROCPRIM_400000_NS6detail17trampoline_kernelINS0_13select_configILj256ELj13ELNS0_17block_load_methodE3ELS4_3ELS4_3ELNS0_20block_scan_algorithmE0ELj4294967295EEENS1_25partition_config_selectorILNS1_17partition_subalgoE4EjNS0_10empty_typeEbEEZZNS1_14partition_implILS8_4ELb0ES6_15HIP_vector_typeIjLj2EENS0_17counting_iteratorIjlEEPS9_SG_NS0_5tupleIJPjSI_NS0_16reverse_iteratorISI_EEEEENSH_IJSG_SG_SG_EEES9_SI_JZNS1_25segmented_radix_sort_implINS0_14default_configELb0EPKsPsPKlPlN2at6native12_GLOBAL__N_18offset_tEEE10hipError_tPvRmT1_PNSt15iterator_traitsIS12_E10value_typeET2_T3_PNS13_IS18_E10value_typeET4_jRbjT5_S1E_jjP12ihipStream_tbEUljE_ZNSN_ISO_Lb0ESQ_SR_ST_SU_SY_EESZ_S10_S11_S12_S16_S17_S18_S1B_S1C_jS1D_jS1E_S1E_jjS1G_bEUljE0_EEESZ_S10_S11_S18_S1C_S1E_T6_T7_T9_mT8_S1G_bDpT10_ENKUlT_T0_E_clISt17integral_constantIbLb0EES1T_IbLb1EEEEDaS1P_S1Q_EUlS1P_E_NS1_11comp_targetILNS1_3genE4ELNS1_11target_archE910ELNS1_3gpuE8ELNS1_3repE0EEENS1_30default_config_static_selectorELNS0_4arch9wavefront6targetE0EEEvS12_,"axG",@progbits,_ZN7rocprim17ROCPRIM_400000_NS6detail17trampoline_kernelINS0_13select_configILj256ELj13ELNS0_17block_load_methodE3ELS4_3ELS4_3ELNS0_20block_scan_algorithmE0ELj4294967295EEENS1_25partition_config_selectorILNS1_17partition_subalgoE4EjNS0_10empty_typeEbEEZZNS1_14partition_implILS8_4ELb0ES6_15HIP_vector_typeIjLj2EENS0_17counting_iteratorIjlEEPS9_SG_NS0_5tupleIJPjSI_NS0_16reverse_iteratorISI_EEEEENSH_IJSG_SG_SG_EEES9_SI_JZNS1_25segmented_radix_sort_implINS0_14default_configELb0EPKsPsPKlPlN2at6native12_GLOBAL__N_18offset_tEEE10hipError_tPvRmT1_PNSt15iterator_traitsIS12_E10value_typeET2_T3_PNS13_IS18_E10value_typeET4_jRbjT5_S1E_jjP12ihipStream_tbEUljE_ZNSN_ISO_Lb0ESQ_SR_ST_SU_SY_EESZ_S10_S11_S12_S16_S17_S18_S1B_S1C_jS1D_jS1E_S1E_jjS1G_bEUljE0_EEESZ_S10_S11_S18_S1C_S1E_T6_T7_T9_mT8_S1G_bDpT10_ENKUlT_T0_E_clISt17integral_constantIbLb0EES1T_IbLb1EEEEDaS1P_S1Q_EUlS1P_E_NS1_11comp_targetILNS1_3genE4ELNS1_11target_archE910ELNS1_3gpuE8ELNS1_3repE0EEENS1_30default_config_static_selectorELNS0_4arch9wavefront6targetE0EEEvS12_,comdat
	.globl	_ZN7rocprim17ROCPRIM_400000_NS6detail17trampoline_kernelINS0_13select_configILj256ELj13ELNS0_17block_load_methodE3ELS4_3ELS4_3ELNS0_20block_scan_algorithmE0ELj4294967295EEENS1_25partition_config_selectorILNS1_17partition_subalgoE4EjNS0_10empty_typeEbEEZZNS1_14partition_implILS8_4ELb0ES6_15HIP_vector_typeIjLj2EENS0_17counting_iteratorIjlEEPS9_SG_NS0_5tupleIJPjSI_NS0_16reverse_iteratorISI_EEEEENSH_IJSG_SG_SG_EEES9_SI_JZNS1_25segmented_radix_sort_implINS0_14default_configELb0EPKsPsPKlPlN2at6native12_GLOBAL__N_18offset_tEEE10hipError_tPvRmT1_PNSt15iterator_traitsIS12_E10value_typeET2_T3_PNS13_IS18_E10value_typeET4_jRbjT5_S1E_jjP12ihipStream_tbEUljE_ZNSN_ISO_Lb0ESQ_SR_ST_SU_SY_EESZ_S10_S11_S12_S16_S17_S18_S1B_S1C_jS1D_jS1E_S1E_jjS1G_bEUljE0_EEESZ_S10_S11_S18_S1C_S1E_T6_T7_T9_mT8_S1G_bDpT10_ENKUlT_T0_E_clISt17integral_constantIbLb0EES1T_IbLb1EEEEDaS1P_S1Q_EUlS1P_E_NS1_11comp_targetILNS1_3genE4ELNS1_11target_archE910ELNS1_3gpuE8ELNS1_3repE0EEENS1_30default_config_static_selectorELNS0_4arch9wavefront6targetE0EEEvS12_ ; -- Begin function _ZN7rocprim17ROCPRIM_400000_NS6detail17trampoline_kernelINS0_13select_configILj256ELj13ELNS0_17block_load_methodE3ELS4_3ELS4_3ELNS0_20block_scan_algorithmE0ELj4294967295EEENS1_25partition_config_selectorILNS1_17partition_subalgoE4EjNS0_10empty_typeEbEEZZNS1_14partition_implILS8_4ELb0ES6_15HIP_vector_typeIjLj2EENS0_17counting_iteratorIjlEEPS9_SG_NS0_5tupleIJPjSI_NS0_16reverse_iteratorISI_EEEEENSH_IJSG_SG_SG_EEES9_SI_JZNS1_25segmented_radix_sort_implINS0_14default_configELb0EPKsPsPKlPlN2at6native12_GLOBAL__N_18offset_tEEE10hipError_tPvRmT1_PNSt15iterator_traitsIS12_E10value_typeET2_T3_PNS13_IS18_E10value_typeET4_jRbjT5_S1E_jjP12ihipStream_tbEUljE_ZNSN_ISO_Lb0ESQ_SR_ST_SU_SY_EESZ_S10_S11_S12_S16_S17_S18_S1B_S1C_jS1D_jS1E_S1E_jjS1G_bEUljE0_EEESZ_S10_S11_S18_S1C_S1E_T6_T7_T9_mT8_S1G_bDpT10_ENKUlT_T0_E_clISt17integral_constantIbLb0EES1T_IbLb1EEEEDaS1P_S1Q_EUlS1P_E_NS1_11comp_targetILNS1_3genE4ELNS1_11target_archE910ELNS1_3gpuE8ELNS1_3repE0EEENS1_30default_config_static_selectorELNS0_4arch9wavefront6targetE0EEEvS12_
	.p2align	8
	.type	_ZN7rocprim17ROCPRIM_400000_NS6detail17trampoline_kernelINS0_13select_configILj256ELj13ELNS0_17block_load_methodE3ELS4_3ELS4_3ELNS0_20block_scan_algorithmE0ELj4294967295EEENS1_25partition_config_selectorILNS1_17partition_subalgoE4EjNS0_10empty_typeEbEEZZNS1_14partition_implILS8_4ELb0ES6_15HIP_vector_typeIjLj2EENS0_17counting_iteratorIjlEEPS9_SG_NS0_5tupleIJPjSI_NS0_16reverse_iteratorISI_EEEEENSH_IJSG_SG_SG_EEES9_SI_JZNS1_25segmented_radix_sort_implINS0_14default_configELb0EPKsPsPKlPlN2at6native12_GLOBAL__N_18offset_tEEE10hipError_tPvRmT1_PNSt15iterator_traitsIS12_E10value_typeET2_T3_PNS13_IS18_E10value_typeET4_jRbjT5_S1E_jjP12ihipStream_tbEUljE_ZNSN_ISO_Lb0ESQ_SR_ST_SU_SY_EESZ_S10_S11_S12_S16_S17_S18_S1B_S1C_jS1D_jS1E_S1E_jjS1G_bEUljE0_EEESZ_S10_S11_S18_S1C_S1E_T6_T7_T9_mT8_S1G_bDpT10_ENKUlT_T0_E_clISt17integral_constantIbLb0EES1T_IbLb1EEEEDaS1P_S1Q_EUlS1P_E_NS1_11comp_targetILNS1_3genE4ELNS1_11target_archE910ELNS1_3gpuE8ELNS1_3repE0EEENS1_30default_config_static_selectorELNS0_4arch9wavefront6targetE0EEEvS12_,@function
_ZN7rocprim17ROCPRIM_400000_NS6detail17trampoline_kernelINS0_13select_configILj256ELj13ELNS0_17block_load_methodE3ELS4_3ELS4_3ELNS0_20block_scan_algorithmE0ELj4294967295EEENS1_25partition_config_selectorILNS1_17partition_subalgoE4EjNS0_10empty_typeEbEEZZNS1_14partition_implILS8_4ELb0ES6_15HIP_vector_typeIjLj2EENS0_17counting_iteratorIjlEEPS9_SG_NS0_5tupleIJPjSI_NS0_16reverse_iteratorISI_EEEEENSH_IJSG_SG_SG_EEES9_SI_JZNS1_25segmented_radix_sort_implINS0_14default_configELb0EPKsPsPKlPlN2at6native12_GLOBAL__N_18offset_tEEE10hipError_tPvRmT1_PNSt15iterator_traitsIS12_E10value_typeET2_T3_PNS13_IS18_E10value_typeET4_jRbjT5_S1E_jjP12ihipStream_tbEUljE_ZNSN_ISO_Lb0ESQ_SR_ST_SU_SY_EESZ_S10_S11_S12_S16_S17_S18_S1B_S1C_jS1D_jS1E_S1E_jjS1G_bEUljE0_EEESZ_S10_S11_S18_S1C_S1E_T6_T7_T9_mT8_S1G_bDpT10_ENKUlT_T0_E_clISt17integral_constantIbLb0EES1T_IbLb1EEEEDaS1P_S1Q_EUlS1P_E_NS1_11comp_targetILNS1_3genE4ELNS1_11target_archE910ELNS1_3gpuE8ELNS1_3repE0EEENS1_30default_config_static_selectorELNS0_4arch9wavefront6targetE0EEEvS12_: ; @_ZN7rocprim17ROCPRIM_400000_NS6detail17trampoline_kernelINS0_13select_configILj256ELj13ELNS0_17block_load_methodE3ELS4_3ELS4_3ELNS0_20block_scan_algorithmE0ELj4294967295EEENS1_25partition_config_selectorILNS1_17partition_subalgoE4EjNS0_10empty_typeEbEEZZNS1_14partition_implILS8_4ELb0ES6_15HIP_vector_typeIjLj2EENS0_17counting_iteratorIjlEEPS9_SG_NS0_5tupleIJPjSI_NS0_16reverse_iteratorISI_EEEEENSH_IJSG_SG_SG_EEES9_SI_JZNS1_25segmented_radix_sort_implINS0_14default_configELb0EPKsPsPKlPlN2at6native12_GLOBAL__N_18offset_tEEE10hipError_tPvRmT1_PNSt15iterator_traitsIS12_E10value_typeET2_T3_PNS13_IS18_E10value_typeET4_jRbjT5_S1E_jjP12ihipStream_tbEUljE_ZNSN_ISO_Lb0ESQ_SR_ST_SU_SY_EESZ_S10_S11_S12_S16_S17_S18_S1B_S1C_jS1D_jS1E_S1E_jjS1G_bEUljE0_EEESZ_S10_S11_S18_S1C_S1E_T6_T7_T9_mT8_S1G_bDpT10_ENKUlT_T0_E_clISt17integral_constantIbLb0EES1T_IbLb1EEEEDaS1P_S1Q_EUlS1P_E_NS1_11comp_targetILNS1_3genE4ELNS1_11target_archE910ELNS1_3gpuE8ELNS1_3repE0EEENS1_30default_config_static_selectorELNS0_4arch9wavefront6targetE0EEEvS12_
; %bb.0:
	.section	.rodata,"a",@progbits
	.p2align	6, 0x0
	.amdhsa_kernel _ZN7rocprim17ROCPRIM_400000_NS6detail17trampoline_kernelINS0_13select_configILj256ELj13ELNS0_17block_load_methodE3ELS4_3ELS4_3ELNS0_20block_scan_algorithmE0ELj4294967295EEENS1_25partition_config_selectorILNS1_17partition_subalgoE4EjNS0_10empty_typeEbEEZZNS1_14partition_implILS8_4ELb0ES6_15HIP_vector_typeIjLj2EENS0_17counting_iteratorIjlEEPS9_SG_NS0_5tupleIJPjSI_NS0_16reverse_iteratorISI_EEEEENSH_IJSG_SG_SG_EEES9_SI_JZNS1_25segmented_radix_sort_implINS0_14default_configELb0EPKsPsPKlPlN2at6native12_GLOBAL__N_18offset_tEEE10hipError_tPvRmT1_PNSt15iterator_traitsIS12_E10value_typeET2_T3_PNS13_IS18_E10value_typeET4_jRbjT5_S1E_jjP12ihipStream_tbEUljE_ZNSN_ISO_Lb0ESQ_SR_ST_SU_SY_EESZ_S10_S11_S12_S16_S17_S18_S1B_S1C_jS1D_jS1E_S1E_jjS1G_bEUljE0_EEESZ_S10_S11_S18_S1C_S1E_T6_T7_T9_mT8_S1G_bDpT10_ENKUlT_T0_E_clISt17integral_constantIbLb0EES1T_IbLb1EEEEDaS1P_S1Q_EUlS1P_E_NS1_11comp_targetILNS1_3genE4ELNS1_11target_archE910ELNS1_3gpuE8ELNS1_3repE0EEENS1_30default_config_static_selectorELNS0_4arch9wavefront6targetE0EEEvS12_
		.amdhsa_group_segment_fixed_size 0
		.amdhsa_private_segment_fixed_size 0
		.amdhsa_kernarg_size 184
		.amdhsa_user_sgpr_count 15
		.amdhsa_user_sgpr_dispatch_ptr 0
		.amdhsa_user_sgpr_queue_ptr 0
		.amdhsa_user_sgpr_kernarg_segment_ptr 1
		.amdhsa_user_sgpr_dispatch_id 0
		.amdhsa_user_sgpr_private_segment_size 0
		.amdhsa_wavefront_size32 1
		.amdhsa_uses_dynamic_stack 0
		.amdhsa_enable_private_segment 0
		.amdhsa_system_sgpr_workgroup_id_x 1
		.amdhsa_system_sgpr_workgroup_id_y 0
		.amdhsa_system_sgpr_workgroup_id_z 0
		.amdhsa_system_sgpr_workgroup_info 0
		.amdhsa_system_vgpr_workitem_id 0
		.amdhsa_next_free_vgpr 1
		.amdhsa_next_free_sgpr 1
		.amdhsa_reserve_vcc 0
		.amdhsa_float_round_mode_32 0
		.amdhsa_float_round_mode_16_64 0
		.amdhsa_float_denorm_mode_32 3
		.amdhsa_float_denorm_mode_16_64 3
		.amdhsa_dx10_clamp 1
		.amdhsa_ieee_mode 1
		.amdhsa_fp16_overflow 0
		.amdhsa_workgroup_processor_mode 1
		.amdhsa_memory_ordered 1
		.amdhsa_forward_progress 0
		.amdhsa_shared_vgpr_count 0
		.amdhsa_exception_fp_ieee_invalid_op 0
		.amdhsa_exception_fp_denorm_src 0
		.amdhsa_exception_fp_ieee_div_zero 0
		.amdhsa_exception_fp_ieee_overflow 0
		.amdhsa_exception_fp_ieee_underflow 0
		.amdhsa_exception_fp_ieee_inexact 0
		.amdhsa_exception_int_div_zero 0
	.end_amdhsa_kernel
	.section	.text._ZN7rocprim17ROCPRIM_400000_NS6detail17trampoline_kernelINS0_13select_configILj256ELj13ELNS0_17block_load_methodE3ELS4_3ELS4_3ELNS0_20block_scan_algorithmE0ELj4294967295EEENS1_25partition_config_selectorILNS1_17partition_subalgoE4EjNS0_10empty_typeEbEEZZNS1_14partition_implILS8_4ELb0ES6_15HIP_vector_typeIjLj2EENS0_17counting_iteratorIjlEEPS9_SG_NS0_5tupleIJPjSI_NS0_16reverse_iteratorISI_EEEEENSH_IJSG_SG_SG_EEES9_SI_JZNS1_25segmented_radix_sort_implINS0_14default_configELb0EPKsPsPKlPlN2at6native12_GLOBAL__N_18offset_tEEE10hipError_tPvRmT1_PNSt15iterator_traitsIS12_E10value_typeET2_T3_PNS13_IS18_E10value_typeET4_jRbjT5_S1E_jjP12ihipStream_tbEUljE_ZNSN_ISO_Lb0ESQ_SR_ST_SU_SY_EESZ_S10_S11_S12_S16_S17_S18_S1B_S1C_jS1D_jS1E_S1E_jjS1G_bEUljE0_EEESZ_S10_S11_S18_S1C_S1E_T6_T7_T9_mT8_S1G_bDpT10_ENKUlT_T0_E_clISt17integral_constantIbLb0EES1T_IbLb1EEEEDaS1P_S1Q_EUlS1P_E_NS1_11comp_targetILNS1_3genE4ELNS1_11target_archE910ELNS1_3gpuE8ELNS1_3repE0EEENS1_30default_config_static_selectorELNS0_4arch9wavefront6targetE0EEEvS12_,"axG",@progbits,_ZN7rocprim17ROCPRIM_400000_NS6detail17trampoline_kernelINS0_13select_configILj256ELj13ELNS0_17block_load_methodE3ELS4_3ELS4_3ELNS0_20block_scan_algorithmE0ELj4294967295EEENS1_25partition_config_selectorILNS1_17partition_subalgoE4EjNS0_10empty_typeEbEEZZNS1_14partition_implILS8_4ELb0ES6_15HIP_vector_typeIjLj2EENS0_17counting_iteratorIjlEEPS9_SG_NS0_5tupleIJPjSI_NS0_16reverse_iteratorISI_EEEEENSH_IJSG_SG_SG_EEES9_SI_JZNS1_25segmented_radix_sort_implINS0_14default_configELb0EPKsPsPKlPlN2at6native12_GLOBAL__N_18offset_tEEE10hipError_tPvRmT1_PNSt15iterator_traitsIS12_E10value_typeET2_T3_PNS13_IS18_E10value_typeET4_jRbjT5_S1E_jjP12ihipStream_tbEUljE_ZNSN_ISO_Lb0ESQ_SR_ST_SU_SY_EESZ_S10_S11_S12_S16_S17_S18_S1B_S1C_jS1D_jS1E_S1E_jjS1G_bEUljE0_EEESZ_S10_S11_S18_S1C_S1E_T6_T7_T9_mT8_S1G_bDpT10_ENKUlT_T0_E_clISt17integral_constantIbLb0EES1T_IbLb1EEEEDaS1P_S1Q_EUlS1P_E_NS1_11comp_targetILNS1_3genE4ELNS1_11target_archE910ELNS1_3gpuE8ELNS1_3repE0EEENS1_30default_config_static_selectorELNS0_4arch9wavefront6targetE0EEEvS12_,comdat
.Lfunc_end976:
	.size	_ZN7rocprim17ROCPRIM_400000_NS6detail17trampoline_kernelINS0_13select_configILj256ELj13ELNS0_17block_load_methodE3ELS4_3ELS4_3ELNS0_20block_scan_algorithmE0ELj4294967295EEENS1_25partition_config_selectorILNS1_17partition_subalgoE4EjNS0_10empty_typeEbEEZZNS1_14partition_implILS8_4ELb0ES6_15HIP_vector_typeIjLj2EENS0_17counting_iteratorIjlEEPS9_SG_NS0_5tupleIJPjSI_NS0_16reverse_iteratorISI_EEEEENSH_IJSG_SG_SG_EEES9_SI_JZNS1_25segmented_radix_sort_implINS0_14default_configELb0EPKsPsPKlPlN2at6native12_GLOBAL__N_18offset_tEEE10hipError_tPvRmT1_PNSt15iterator_traitsIS12_E10value_typeET2_T3_PNS13_IS18_E10value_typeET4_jRbjT5_S1E_jjP12ihipStream_tbEUljE_ZNSN_ISO_Lb0ESQ_SR_ST_SU_SY_EESZ_S10_S11_S12_S16_S17_S18_S1B_S1C_jS1D_jS1E_S1E_jjS1G_bEUljE0_EEESZ_S10_S11_S18_S1C_S1E_T6_T7_T9_mT8_S1G_bDpT10_ENKUlT_T0_E_clISt17integral_constantIbLb0EES1T_IbLb1EEEEDaS1P_S1Q_EUlS1P_E_NS1_11comp_targetILNS1_3genE4ELNS1_11target_archE910ELNS1_3gpuE8ELNS1_3repE0EEENS1_30default_config_static_selectorELNS0_4arch9wavefront6targetE0EEEvS12_, .Lfunc_end976-_ZN7rocprim17ROCPRIM_400000_NS6detail17trampoline_kernelINS0_13select_configILj256ELj13ELNS0_17block_load_methodE3ELS4_3ELS4_3ELNS0_20block_scan_algorithmE0ELj4294967295EEENS1_25partition_config_selectorILNS1_17partition_subalgoE4EjNS0_10empty_typeEbEEZZNS1_14partition_implILS8_4ELb0ES6_15HIP_vector_typeIjLj2EENS0_17counting_iteratorIjlEEPS9_SG_NS0_5tupleIJPjSI_NS0_16reverse_iteratorISI_EEEEENSH_IJSG_SG_SG_EEES9_SI_JZNS1_25segmented_radix_sort_implINS0_14default_configELb0EPKsPsPKlPlN2at6native12_GLOBAL__N_18offset_tEEE10hipError_tPvRmT1_PNSt15iterator_traitsIS12_E10value_typeET2_T3_PNS13_IS18_E10value_typeET4_jRbjT5_S1E_jjP12ihipStream_tbEUljE_ZNSN_ISO_Lb0ESQ_SR_ST_SU_SY_EESZ_S10_S11_S12_S16_S17_S18_S1B_S1C_jS1D_jS1E_S1E_jjS1G_bEUljE0_EEESZ_S10_S11_S18_S1C_S1E_T6_T7_T9_mT8_S1G_bDpT10_ENKUlT_T0_E_clISt17integral_constantIbLb0EES1T_IbLb1EEEEDaS1P_S1Q_EUlS1P_E_NS1_11comp_targetILNS1_3genE4ELNS1_11target_archE910ELNS1_3gpuE8ELNS1_3repE0EEENS1_30default_config_static_selectorELNS0_4arch9wavefront6targetE0EEEvS12_
                                        ; -- End function
	.section	.AMDGPU.csdata,"",@progbits
; Kernel info:
; codeLenInByte = 0
; NumSgprs: 0
; NumVgprs: 0
; ScratchSize: 0
; MemoryBound: 0
; FloatMode: 240
; IeeeMode: 1
; LDSByteSize: 0 bytes/workgroup (compile time only)
; SGPRBlocks: 0
; VGPRBlocks: 0
; NumSGPRsForWavesPerEU: 1
; NumVGPRsForWavesPerEU: 1
; Occupancy: 16
; WaveLimiterHint : 0
; COMPUTE_PGM_RSRC2:SCRATCH_EN: 0
; COMPUTE_PGM_RSRC2:USER_SGPR: 15
; COMPUTE_PGM_RSRC2:TRAP_HANDLER: 0
; COMPUTE_PGM_RSRC2:TGID_X_EN: 1
; COMPUTE_PGM_RSRC2:TGID_Y_EN: 0
; COMPUTE_PGM_RSRC2:TGID_Z_EN: 0
; COMPUTE_PGM_RSRC2:TIDIG_COMP_CNT: 0
	.section	.text._ZN7rocprim17ROCPRIM_400000_NS6detail17trampoline_kernelINS0_13select_configILj256ELj13ELNS0_17block_load_methodE3ELS4_3ELS4_3ELNS0_20block_scan_algorithmE0ELj4294967295EEENS1_25partition_config_selectorILNS1_17partition_subalgoE4EjNS0_10empty_typeEbEEZZNS1_14partition_implILS8_4ELb0ES6_15HIP_vector_typeIjLj2EENS0_17counting_iteratorIjlEEPS9_SG_NS0_5tupleIJPjSI_NS0_16reverse_iteratorISI_EEEEENSH_IJSG_SG_SG_EEES9_SI_JZNS1_25segmented_radix_sort_implINS0_14default_configELb0EPKsPsPKlPlN2at6native12_GLOBAL__N_18offset_tEEE10hipError_tPvRmT1_PNSt15iterator_traitsIS12_E10value_typeET2_T3_PNS13_IS18_E10value_typeET4_jRbjT5_S1E_jjP12ihipStream_tbEUljE_ZNSN_ISO_Lb0ESQ_SR_ST_SU_SY_EESZ_S10_S11_S12_S16_S17_S18_S1B_S1C_jS1D_jS1E_S1E_jjS1G_bEUljE0_EEESZ_S10_S11_S18_S1C_S1E_T6_T7_T9_mT8_S1G_bDpT10_ENKUlT_T0_E_clISt17integral_constantIbLb0EES1T_IbLb1EEEEDaS1P_S1Q_EUlS1P_E_NS1_11comp_targetILNS1_3genE3ELNS1_11target_archE908ELNS1_3gpuE7ELNS1_3repE0EEENS1_30default_config_static_selectorELNS0_4arch9wavefront6targetE0EEEvS12_,"axG",@progbits,_ZN7rocprim17ROCPRIM_400000_NS6detail17trampoline_kernelINS0_13select_configILj256ELj13ELNS0_17block_load_methodE3ELS4_3ELS4_3ELNS0_20block_scan_algorithmE0ELj4294967295EEENS1_25partition_config_selectorILNS1_17partition_subalgoE4EjNS0_10empty_typeEbEEZZNS1_14partition_implILS8_4ELb0ES6_15HIP_vector_typeIjLj2EENS0_17counting_iteratorIjlEEPS9_SG_NS0_5tupleIJPjSI_NS0_16reverse_iteratorISI_EEEEENSH_IJSG_SG_SG_EEES9_SI_JZNS1_25segmented_radix_sort_implINS0_14default_configELb0EPKsPsPKlPlN2at6native12_GLOBAL__N_18offset_tEEE10hipError_tPvRmT1_PNSt15iterator_traitsIS12_E10value_typeET2_T3_PNS13_IS18_E10value_typeET4_jRbjT5_S1E_jjP12ihipStream_tbEUljE_ZNSN_ISO_Lb0ESQ_SR_ST_SU_SY_EESZ_S10_S11_S12_S16_S17_S18_S1B_S1C_jS1D_jS1E_S1E_jjS1G_bEUljE0_EEESZ_S10_S11_S18_S1C_S1E_T6_T7_T9_mT8_S1G_bDpT10_ENKUlT_T0_E_clISt17integral_constantIbLb0EES1T_IbLb1EEEEDaS1P_S1Q_EUlS1P_E_NS1_11comp_targetILNS1_3genE3ELNS1_11target_archE908ELNS1_3gpuE7ELNS1_3repE0EEENS1_30default_config_static_selectorELNS0_4arch9wavefront6targetE0EEEvS12_,comdat
	.globl	_ZN7rocprim17ROCPRIM_400000_NS6detail17trampoline_kernelINS0_13select_configILj256ELj13ELNS0_17block_load_methodE3ELS4_3ELS4_3ELNS0_20block_scan_algorithmE0ELj4294967295EEENS1_25partition_config_selectorILNS1_17partition_subalgoE4EjNS0_10empty_typeEbEEZZNS1_14partition_implILS8_4ELb0ES6_15HIP_vector_typeIjLj2EENS0_17counting_iteratorIjlEEPS9_SG_NS0_5tupleIJPjSI_NS0_16reverse_iteratorISI_EEEEENSH_IJSG_SG_SG_EEES9_SI_JZNS1_25segmented_radix_sort_implINS0_14default_configELb0EPKsPsPKlPlN2at6native12_GLOBAL__N_18offset_tEEE10hipError_tPvRmT1_PNSt15iterator_traitsIS12_E10value_typeET2_T3_PNS13_IS18_E10value_typeET4_jRbjT5_S1E_jjP12ihipStream_tbEUljE_ZNSN_ISO_Lb0ESQ_SR_ST_SU_SY_EESZ_S10_S11_S12_S16_S17_S18_S1B_S1C_jS1D_jS1E_S1E_jjS1G_bEUljE0_EEESZ_S10_S11_S18_S1C_S1E_T6_T7_T9_mT8_S1G_bDpT10_ENKUlT_T0_E_clISt17integral_constantIbLb0EES1T_IbLb1EEEEDaS1P_S1Q_EUlS1P_E_NS1_11comp_targetILNS1_3genE3ELNS1_11target_archE908ELNS1_3gpuE7ELNS1_3repE0EEENS1_30default_config_static_selectorELNS0_4arch9wavefront6targetE0EEEvS12_ ; -- Begin function _ZN7rocprim17ROCPRIM_400000_NS6detail17trampoline_kernelINS0_13select_configILj256ELj13ELNS0_17block_load_methodE3ELS4_3ELS4_3ELNS0_20block_scan_algorithmE0ELj4294967295EEENS1_25partition_config_selectorILNS1_17partition_subalgoE4EjNS0_10empty_typeEbEEZZNS1_14partition_implILS8_4ELb0ES6_15HIP_vector_typeIjLj2EENS0_17counting_iteratorIjlEEPS9_SG_NS0_5tupleIJPjSI_NS0_16reverse_iteratorISI_EEEEENSH_IJSG_SG_SG_EEES9_SI_JZNS1_25segmented_radix_sort_implINS0_14default_configELb0EPKsPsPKlPlN2at6native12_GLOBAL__N_18offset_tEEE10hipError_tPvRmT1_PNSt15iterator_traitsIS12_E10value_typeET2_T3_PNS13_IS18_E10value_typeET4_jRbjT5_S1E_jjP12ihipStream_tbEUljE_ZNSN_ISO_Lb0ESQ_SR_ST_SU_SY_EESZ_S10_S11_S12_S16_S17_S18_S1B_S1C_jS1D_jS1E_S1E_jjS1G_bEUljE0_EEESZ_S10_S11_S18_S1C_S1E_T6_T7_T9_mT8_S1G_bDpT10_ENKUlT_T0_E_clISt17integral_constantIbLb0EES1T_IbLb1EEEEDaS1P_S1Q_EUlS1P_E_NS1_11comp_targetILNS1_3genE3ELNS1_11target_archE908ELNS1_3gpuE7ELNS1_3repE0EEENS1_30default_config_static_selectorELNS0_4arch9wavefront6targetE0EEEvS12_
	.p2align	8
	.type	_ZN7rocprim17ROCPRIM_400000_NS6detail17trampoline_kernelINS0_13select_configILj256ELj13ELNS0_17block_load_methodE3ELS4_3ELS4_3ELNS0_20block_scan_algorithmE0ELj4294967295EEENS1_25partition_config_selectorILNS1_17partition_subalgoE4EjNS0_10empty_typeEbEEZZNS1_14partition_implILS8_4ELb0ES6_15HIP_vector_typeIjLj2EENS0_17counting_iteratorIjlEEPS9_SG_NS0_5tupleIJPjSI_NS0_16reverse_iteratorISI_EEEEENSH_IJSG_SG_SG_EEES9_SI_JZNS1_25segmented_radix_sort_implINS0_14default_configELb0EPKsPsPKlPlN2at6native12_GLOBAL__N_18offset_tEEE10hipError_tPvRmT1_PNSt15iterator_traitsIS12_E10value_typeET2_T3_PNS13_IS18_E10value_typeET4_jRbjT5_S1E_jjP12ihipStream_tbEUljE_ZNSN_ISO_Lb0ESQ_SR_ST_SU_SY_EESZ_S10_S11_S12_S16_S17_S18_S1B_S1C_jS1D_jS1E_S1E_jjS1G_bEUljE0_EEESZ_S10_S11_S18_S1C_S1E_T6_T7_T9_mT8_S1G_bDpT10_ENKUlT_T0_E_clISt17integral_constantIbLb0EES1T_IbLb1EEEEDaS1P_S1Q_EUlS1P_E_NS1_11comp_targetILNS1_3genE3ELNS1_11target_archE908ELNS1_3gpuE7ELNS1_3repE0EEENS1_30default_config_static_selectorELNS0_4arch9wavefront6targetE0EEEvS12_,@function
_ZN7rocprim17ROCPRIM_400000_NS6detail17trampoline_kernelINS0_13select_configILj256ELj13ELNS0_17block_load_methodE3ELS4_3ELS4_3ELNS0_20block_scan_algorithmE0ELj4294967295EEENS1_25partition_config_selectorILNS1_17partition_subalgoE4EjNS0_10empty_typeEbEEZZNS1_14partition_implILS8_4ELb0ES6_15HIP_vector_typeIjLj2EENS0_17counting_iteratorIjlEEPS9_SG_NS0_5tupleIJPjSI_NS0_16reverse_iteratorISI_EEEEENSH_IJSG_SG_SG_EEES9_SI_JZNS1_25segmented_radix_sort_implINS0_14default_configELb0EPKsPsPKlPlN2at6native12_GLOBAL__N_18offset_tEEE10hipError_tPvRmT1_PNSt15iterator_traitsIS12_E10value_typeET2_T3_PNS13_IS18_E10value_typeET4_jRbjT5_S1E_jjP12ihipStream_tbEUljE_ZNSN_ISO_Lb0ESQ_SR_ST_SU_SY_EESZ_S10_S11_S12_S16_S17_S18_S1B_S1C_jS1D_jS1E_S1E_jjS1G_bEUljE0_EEESZ_S10_S11_S18_S1C_S1E_T6_T7_T9_mT8_S1G_bDpT10_ENKUlT_T0_E_clISt17integral_constantIbLb0EES1T_IbLb1EEEEDaS1P_S1Q_EUlS1P_E_NS1_11comp_targetILNS1_3genE3ELNS1_11target_archE908ELNS1_3gpuE7ELNS1_3repE0EEENS1_30default_config_static_selectorELNS0_4arch9wavefront6targetE0EEEvS12_: ; @_ZN7rocprim17ROCPRIM_400000_NS6detail17trampoline_kernelINS0_13select_configILj256ELj13ELNS0_17block_load_methodE3ELS4_3ELS4_3ELNS0_20block_scan_algorithmE0ELj4294967295EEENS1_25partition_config_selectorILNS1_17partition_subalgoE4EjNS0_10empty_typeEbEEZZNS1_14partition_implILS8_4ELb0ES6_15HIP_vector_typeIjLj2EENS0_17counting_iteratorIjlEEPS9_SG_NS0_5tupleIJPjSI_NS0_16reverse_iteratorISI_EEEEENSH_IJSG_SG_SG_EEES9_SI_JZNS1_25segmented_radix_sort_implINS0_14default_configELb0EPKsPsPKlPlN2at6native12_GLOBAL__N_18offset_tEEE10hipError_tPvRmT1_PNSt15iterator_traitsIS12_E10value_typeET2_T3_PNS13_IS18_E10value_typeET4_jRbjT5_S1E_jjP12ihipStream_tbEUljE_ZNSN_ISO_Lb0ESQ_SR_ST_SU_SY_EESZ_S10_S11_S12_S16_S17_S18_S1B_S1C_jS1D_jS1E_S1E_jjS1G_bEUljE0_EEESZ_S10_S11_S18_S1C_S1E_T6_T7_T9_mT8_S1G_bDpT10_ENKUlT_T0_E_clISt17integral_constantIbLb0EES1T_IbLb1EEEEDaS1P_S1Q_EUlS1P_E_NS1_11comp_targetILNS1_3genE3ELNS1_11target_archE908ELNS1_3gpuE7ELNS1_3repE0EEENS1_30default_config_static_selectorELNS0_4arch9wavefront6targetE0EEEvS12_
; %bb.0:
	.section	.rodata,"a",@progbits
	.p2align	6, 0x0
	.amdhsa_kernel _ZN7rocprim17ROCPRIM_400000_NS6detail17trampoline_kernelINS0_13select_configILj256ELj13ELNS0_17block_load_methodE3ELS4_3ELS4_3ELNS0_20block_scan_algorithmE0ELj4294967295EEENS1_25partition_config_selectorILNS1_17partition_subalgoE4EjNS0_10empty_typeEbEEZZNS1_14partition_implILS8_4ELb0ES6_15HIP_vector_typeIjLj2EENS0_17counting_iteratorIjlEEPS9_SG_NS0_5tupleIJPjSI_NS0_16reverse_iteratorISI_EEEEENSH_IJSG_SG_SG_EEES9_SI_JZNS1_25segmented_radix_sort_implINS0_14default_configELb0EPKsPsPKlPlN2at6native12_GLOBAL__N_18offset_tEEE10hipError_tPvRmT1_PNSt15iterator_traitsIS12_E10value_typeET2_T3_PNS13_IS18_E10value_typeET4_jRbjT5_S1E_jjP12ihipStream_tbEUljE_ZNSN_ISO_Lb0ESQ_SR_ST_SU_SY_EESZ_S10_S11_S12_S16_S17_S18_S1B_S1C_jS1D_jS1E_S1E_jjS1G_bEUljE0_EEESZ_S10_S11_S18_S1C_S1E_T6_T7_T9_mT8_S1G_bDpT10_ENKUlT_T0_E_clISt17integral_constantIbLb0EES1T_IbLb1EEEEDaS1P_S1Q_EUlS1P_E_NS1_11comp_targetILNS1_3genE3ELNS1_11target_archE908ELNS1_3gpuE7ELNS1_3repE0EEENS1_30default_config_static_selectorELNS0_4arch9wavefront6targetE0EEEvS12_
		.amdhsa_group_segment_fixed_size 0
		.amdhsa_private_segment_fixed_size 0
		.amdhsa_kernarg_size 184
		.amdhsa_user_sgpr_count 15
		.amdhsa_user_sgpr_dispatch_ptr 0
		.amdhsa_user_sgpr_queue_ptr 0
		.amdhsa_user_sgpr_kernarg_segment_ptr 1
		.amdhsa_user_sgpr_dispatch_id 0
		.amdhsa_user_sgpr_private_segment_size 0
		.amdhsa_wavefront_size32 1
		.amdhsa_uses_dynamic_stack 0
		.amdhsa_enable_private_segment 0
		.amdhsa_system_sgpr_workgroup_id_x 1
		.amdhsa_system_sgpr_workgroup_id_y 0
		.amdhsa_system_sgpr_workgroup_id_z 0
		.amdhsa_system_sgpr_workgroup_info 0
		.amdhsa_system_vgpr_workitem_id 0
		.amdhsa_next_free_vgpr 1
		.amdhsa_next_free_sgpr 1
		.amdhsa_reserve_vcc 0
		.amdhsa_float_round_mode_32 0
		.amdhsa_float_round_mode_16_64 0
		.amdhsa_float_denorm_mode_32 3
		.amdhsa_float_denorm_mode_16_64 3
		.amdhsa_dx10_clamp 1
		.amdhsa_ieee_mode 1
		.amdhsa_fp16_overflow 0
		.amdhsa_workgroup_processor_mode 1
		.amdhsa_memory_ordered 1
		.amdhsa_forward_progress 0
		.amdhsa_shared_vgpr_count 0
		.amdhsa_exception_fp_ieee_invalid_op 0
		.amdhsa_exception_fp_denorm_src 0
		.amdhsa_exception_fp_ieee_div_zero 0
		.amdhsa_exception_fp_ieee_overflow 0
		.amdhsa_exception_fp_ieee_underflow 0
		.amdhsa_exception_fp_ieee_inexact 0
		.amdhsa_exception_int_div_zero 0
	.end_amdhsa_kernel
	.section	.text._ZN7rocprim17ROCPRIM_400000_NS6detail17trampoline_kernelINS0_13select_configILj256ELj13ELNS0_17block_load_methodE3ELS4_3ELS4_3ELNS0_20block_scan_algorithmE0ELj4294967295EEENS1_25partition_config_selectorILNS1_17partition_subalgoE4EjNS0_10empty_typeEbEEZZNS1_14partition_implILS8_4ELb0ES6_15HIP_vector_typeIjLj2EENS0_17counting_iteratorIjlEEPS9_SG_NS0_5tupleIJPjSI_NS0_16reverse_iteratorISI_EEEEENSH_IJSG_SG_SG_EEES9_SI_JZNS1_25segmented_radix_sort_implINS0_14default_configELb0EPKsPsPKlPlN2at6native12_GLOBAL__N_18offset_tEEE10hipError_tPvRmT1_PNSt15iterator_traitsIS12_E10value_typeET2_T3_PNS13_IS18_E10value_typeET4_jRbjT5_S1E_jjP12ihipStream_tbEUljE_ZNSN_ISO_Lb0ESQ_SR_ST_SU_SY_EESZ_S10_S11_S12_S16_S17_S18_S1B_S1C_jS1D_jS1E_S1E_jjS1G_bEUljE0_EEESZ_S10_S11_S18_S1C_S1E_T6_T7_T9_mT8_S1G_bDpT10_ENKUlT_T0_E_clISt17integral_constantIbLb0EES1T_IbLb1EEEEDaS1P_S1Q_EUlS1P_E_NS1_11comp_targetILNS1_3genE3ELNS1_11target_archE908ELNS1_3gpuE7ELNS1_3repE0EEENS1_30default_config_static_selectorELNS0_4arch9wavefront6targetE0EEEvS12_,"axG",@progbits,_ZN7rocprim17ROCPRIM_400000_NS6detail17trampoline_kernelINS0_13select_configILj256ELj13ELNS0_17block_load_methodE3ELS4_3ELS4_3ELNS0_20block_scan_algorithmE0ELj4294967295EEENS1_25partition_config_selectorILNS1_17partition_subalgoE4EjNS0_10empty_typeEbEEZZNS1_14partition_implILS8_4ELb0ES6_15HIP_vector_typeIjLj2EENS0_17counting_iteratorIjlEEPS9_SG_NS0_5tupleIJPjSI_NS0_16reverse_iteratorISI_EEEEENSH_IJSG_SG_SG_EEES9_SI_JZNS1_25segmented_radix_sort_implINS0_14default_configELb0EPKsPsPKlPlN2at6native12_GLOBAL__N_18offset_tEEE10hipError_tPvRmT1_PNSt15iterator_traitsIS12_E10value_typeET2_T3_PNS13_IS18_E10value_typeET4_jRbjT5_S1E_jjP12ihipStream_tbEUljE_ZNSN_ISO_Lb0ESQ_SR_ST_SU_SY_EESZ_S10_S11_S12_S16_S17_S18_S1B_S1C_jS1D_jS1E_S1E_jjS1G_bEUljE0_EEESZ_S10_S11_S18_S1C_S1E_T6_T7_T9_mT8_S1G_bDpT10_ENKUlT_T0_E_clISt17integral_constantIbLb0EES1T_IbLb1EEEEDaS1P_S1Q_EUlS1P_E_NS1_11comp_targetILNS1_3genE3ELNS1_11target_archE908ELNS1_3gpuE7ELNS1_3repE0EEENS1_30default_config_static_selectorELNS0_4arch9wavefront6targetE0EEEvS12_,comdat
.Lfunc_end977:
	.size	_ZN7rocprim17ROCPRIM_400000_NS6detail17trampoline_kernelINS0_13select_configILj256ELj13ELNS0_17block_load_methodE3ELS4_3ELS4_3ELNS0_20block_scan_algorithmE0ELj4294967295EEENS1_25partition_config_selectorILNS1_17partition_subalgoE4EjNS0_10empty_typeEbEEZZNS1_14partition_implILS8_4ELb0ES6_15HIP_vector_typeIjLj2EENS0_17counting_iteratorIjlEEPS9_SG_NS0_5tupleIJPjSI_NS0_16reverse_iteratorISI_EEEEENSH_IJSG_SG_SG_EEES9_SI_JZNS1_25segmented_radix_sort_implINS0_14default_configELb0EPKsPsPKlPlN2at6native12_GLOBAL__N_18offset_tEEE10hipError_tPvRmT1_PNSt15iterator_traitsIS12_E10value_typeET2_T3_PNS13_IS18_E10value_typeET4_jRbjT5_S1E_jjP12ihipStream_tbEUljE_ZNSN_ISO_Lb0ESQ_SR_ST_SU_SY_EESZ_S10_S11_S12_S16_S17_S18_S1B_S1C_jS1D_jS1E_S1E_jjS1G_bEUljE0_EEESZ_S10_S11_S18_S1C_S1E_T6_T7_T9_mT8_S1G_bDpT10_ENKUlT_T0_E_clISt17integral_constantIbLb0EES1T_IbLb1EEEEDaS1P_S1Q_EUlS1P_E_NS1_11comp_targetILNS1_3genE3ELNS1_11target_archE908ELNS1_3gpuE7ELNS1_3repE0EEENS1_30default_config_static_selectorELNS0_4arch9wavefront6targetE0EEEvS12_, .Lfunc_end977-_ZN7rocprim17ROCPRIM_400000_NS6detail17trampoline_kernelINS0_13select_configILj256ELj13ELNS0_17block_load_methodE3ELS4_3ELS4_3ELNS0_20block_scan_algorithmE0ELj4294967295EEENS1_25partition_config_selectorILNS1_17partition_subalgoE4EjNS0_10empty_typeEbEEZZNS1_14partition_implILS8_4ELb0ES6_15HIP_vector_typeIjLj2EENS0_17counting_iteratorIjlEEPS9_SG_NS0_5tupleIJPjSI_NS0_16reverse_iteratorISI_EEEEENSH_IJSG_SG_SG_EEES9_SI_JZNS1_25segmented_radix_sort_implINS0_14default_configELb0EPKsPsPKlPlN2at6native12_GLOBAL__N_18offset_tEEE10hipError_tPvRmT1_PNSt15iterator_traitsIS12_E10value_typeET2_T3_PNS13_IS18_E10value_typeET4_jRbjT5_S1E_jjP12ihipStream_tbEUljE_ZNSN_ISO_Lb0ESQ_SR_ST_SU_SY_EESZ_S10_S11_S12_S16_S17_S18_S1B_S1C_jS1D_jS1E_S1E_jjS1G_bEUljE0_EEESZ_S10_S11_S18_S1C_S1E_T6_T7_T9_mT8_S1G_bDpT10_ENKUlT_T0_E_clISt17integral_constantIbLb0EES1T_IbLb1EEEEDaS1P_S1Q_EUlS1P_E_NS1_11comp_targetILNS1_3genE3ELNS1_11target_archE908ELNS1_3gpuE7ELNS1_3repE0EEENS1_30default_config_static_selectorELNS0_4arch9wavefront6targetE0EEEvS12_
                                        ; -- End function
	.section	.AMDGPU.csdata,"",@progbits
; Kernel info:
; codeLenInByte = 0
; NumSgprs: 0
; NumVgprs: 0
; ScratchSize: 0
; MemoryBound: 0
; FloatMode: 240
; IeeeMode: 1
; LDSByteSize: 0 bytes/workgroup (compile time only)
; SGPRBlocks: 0
; VGPRBlocks: 0
; NumSGPRsForWavesPerEU: 1
; NumVGPRsForWavesPerEU: 1
; Occupancy: 16
; WaveLimiterHint : 0
; COMPUTE_PGM_RSRC2:SCRATCH_EN: 0
; COMPUTE_PGM_RSRC2:USER_SGPR: 15
; COMPUTE_PGM_RSRC2:TRAP_HANDLER: 0
; COMPUTE_PGM_RSRC2:TGID_X_EN: 1
; COMPUTE_PGM_RSRC2:TGID_Y_EN: 0
; COMPUTE_PGM_RSRC2:TGID_Z_EN: 0
; COMPUTE_PGM_RSRC2:TIDIG_COMP_CNT: 0
	.section	.text._ZN7rocprim17ROCPRIM_400000_NS6detail17trampoline_kernelINS0_13select_configILj256ELj13ELNS0_17block_load_methodE3ELS4_3ELS4_3ELNS0_20block_scan_algorithmE0ELj4294967295EEENS1_25partition_config_selectorILNS1_17partition_subalgoE4EjNS0_10empty_typeEbEEZZNS1_14partition_implILS8_4ELb0ES6_15HIP_vector_typeIjLj2EENS0_17counting_iteratorIjlEEPS9_SG_NS0_5tupleIJPjSI_NS0_16reverse_iteratorISI_EEEEENSH_IJSG_SG_SG_EEES9_SI_JZNS1_25segmented_radix_sort_implINS0_14default_configELb0EPKsPsPKlPlN2at6native12_GLOBAL__N_18offset_tEEE10hipError_tPvRmT1_PNSt15iterator_traitsIS12_E10value_typeET2_T3_PNS13_IS18_E10value_typeET4_jRbjT5_S1E_jjP12ihipStream_tbEUljE_ZNSN_ISO_Lb0ESQ_SR_ST_SU_SY_EESZ_S10_S11_S12_S16_S17_S18_S1B_S1C_jS1D_jS1E_S1E_jjS1G_bEUljE0_EEESZ_S10_S11_S18_S1C_S1E_T6_T7_T9_mT8_S1G_bDpT10_ENKUlT_T0_E_clISt17integral_constantIbLb0EES1T_IbLb1EEEEDaS1P_S1Q_EUlS1P_E_NS1_11comp_targetILNS1_3genE2ELNS1_11target_archE906ELNS1_3gpuE6ELNS1_3repE0EEENS1_30default_config_static_selectorELNS0_4arch9wavefront6targetE0EEEvS12_,"axG",@progbits,_ZN7rocprim17ROCPRIM_400000_NS6detail17trampoline_kernelINS0_13select_configILj256ELj13ELNS0_17block_load_methodE3ELS4_3ELS4_3ELNS0_20block_scan_algorithmE0ELj4294967295EEENS1_25partition_config_selectorILNS1_17partition_subalgoE4EjNS0_10empty_typeEbEEZZNS1_14partition_implILS8_4ELb0ES6_15HIP_vector_typeIjLj2EENS0_17counting_iteratorIjlEEPS9_SG_NS0_5tupleIJPjSI_NS0_16reverse_iteratorISI_EEEEENSH_IJSG_SG_SG_EEES9_SI_JZNS1_25segmented_radix_sort_implINS0_14default_configELb0EPKsPsPKlPlN2at6native12_GLOBAL__N_18offset_tEEE10hipError_tPvRmT1_PNSt15iterator_traitsIS12_E10value_typeET2_T3_PNS13_IS18_E10value_typeET4_jRbjT5_S1E_jjP12ihipStream_tbEUljE_ZNSN_ISO_Lb0ESQ_SR_ST_SU_SY_EESZ_S10_S11_S12_S16_S17_S18_S1B_S1C_jS1D_jS1E_S1E_jjS1G_bEUljE0_EEESZ_S10_S11_S18_S1C_S1E_T6_T7_T9_mT8_S1G_bDpT10_ENKUlT_T0_E_clISt17integral_constantIbLb0EES1T_IbLb1EEEEDaS1P_S1Q_EUlS1P_E_NS1_11comp_targetILNS1_3genE2ELNS1_11target_archE906ELNS1_3gpuE6ELNS1_3repE0EEENS1_30default_config_static_selectorELNS0_4arch9wavefront6targetE0EEEvS12_,comdat
	.globl	_ZN7rocprim17ROCPRIM_400000_NS6detail17trampoline_kernelINS0_13select_configILj256ELj13ELNS0_17block_load_methodE3ELS4_3ELS4_3ELNS0_20block_scan_algorithmE0ELj4294967295EEENS1_25partition_config_selectorILNS1_17partition_subalgoE4EjNS0_10empty_typeEbEEZZNS1_14partition_implILS8_4ELb0ES6_15HIP_vector_typeIjLj2EENS0_17counting_iteratorIjlEEPS9_SG_NS0_5tupleIJPjSI_NS0_16reverse_iteratorISI_EEEEENSH_IJSG_SG_SG_EEES9_SI_JZNS1_25segmented_radix_sort_implINS0_14default_configELb0EPKsPsPKlPlN2at6native12_GLOBAL__N_18offset_tEEE10hipError_tPvRmT1_PNSt15iterator_traitsIS12_E10value_typeET2_T3_PNS13_IS18_E10value_typeET4_jRbjT5_S1E_jjP12ihipStream_tbEUljE_ZNSN_ISO_Lb0ESQ_SR_ST_SU_SY_EESZ_S10_S11_S12_S16_S17_S18_S1B_S1C_jS1D_jS1E_S1E_jjS1G_bEUljE0_EEESZ_S10_S11_S18_S1C_S1E_T6_T7_T9_mT8_S1G_bDpT10_ENKUlT_T0_E_clISt17integral_constantIbLb0EES1T_IbLb1EEEEDaS1P_S1Q_EUlS1P_E_NS1_11comp_targetILNS1_3genE2ELNS1_11target_archE906ELNS1_3gpuE6ELNS1_3repE0EEENS1_30default_config_static_selectorELNS0_4arch9wavefront6targetE0EEEvS12_ ; -- Begin function _ZN7rocprim17ROCPRIM_400000_NS6detail17trampoline_kernelINS0_13select_configILj256ELj13ELNS0_17block_load_methodE3ELS4_3ELS4_3ELNS0_20block_scan_algorithmE0ELj4294967295EEENS1_25partition_config_selectorILNS1_17partition_subalgoE4EjNS0_10empty_typeEbEEZZNS1_14partition_implILS8_4ELb0ES6_15HIP_vector_typeIjLj2EENS0_17counting_iteratorIjlEEPS9_SG_NS0_5tupleIJPjSI_NS0_16reverse_iteratorISI_EEEEENSH_IJSG_SG_SG_EEES9_SI_JZNS1_25segmented_radix_sort_implINS0_14default_configELb0EPKsPsPKlPlN2at6native12_GLOBAL__N_18offset_tEEE10hipError_tPvRmT1_PNSt15iterator_traitsIS12_E10value_typeET2_T3_PNS13_IS18_E10value_typeET4_jRbjT5_S1E_jjP12ihipStream_tbEUljE_ZNSN_ISO_Lb0ESQ_SR_ST_SU_SY_EESZ_S10_S11_S12_S16_S17_S18_S1B_S1C_jS1D_jS1E_S1E_jjS1G_bEUljE0_EEESZ_S10_S11_S18_S1C_S1E_T6_T7_T9_mT8_S1G_bDpT10_ENKUlT_T0_E_clISt17integral_constantIbLb0EES1T_IbLb1EEEEDaS1P_S1Q_EUlS1P_E_NS1_11comp_targetILNS1_3genE2ELNS1_11target_archE906ELNS1_3gpuE6ELNS1_3repE0EEENS1_30default_config_static_selectorELNS0_4arch9wavefront6targetE0EEEvS12_
	.p2align	8
	.type	_ZN7rocprim17ROCPRIM_400000_NS6detail17trampoline_kernelINS0_13select_configILj256ELj13ELNS0_17block_load_methodE3ELS4_3ELS4_3ELNS0_20block_scan_algorithmE0ELj4294967295EEENS1_25partition_config_selectorILNS1_17partition_subalgoE4EjNS0_10empty_typeEbEEZZNS1_14partition_implILS8_4ELb0ES6_15HIP_vector_typeIjLj2EENS0_17counting_iteratorIjlEEPS9_SG_NS0_5tupleIJPjSI_NS0_16reverse_iteratorISI_EEEEENSH_IJSG_SG_SG_EEES9_SI_JZNS1_25segmented_radix_sort_implINS0_14default_configELb0EPKsPsPKlPlN2at6native12_GLOBAL__N_18offset_tEEE10hipError_tPvRmT1_PNSt15iterator_traitsIS12_E10value_typeET2_T3_PNS13_IS18_E10value_typeET4_jRbjT5_S1E_jjP12ihipStream_tbEUljE_ZNSN_ISO_Lb0ESQ_SR_ST_SU_SY_EESZ_S10_S11_S12_S16_S17_S18_S1B_S1C_jS1D_jS1E_S1E_jjS1G_bEUljE0_EEESZ_S10_S11_S18_S1C_S1E_T6_T7_T9_mT8_S1G_bDpT10_ENKUlT_T0_E_clISt17integral_constantIbLb0EES1T_IbLb1EEEEDaS1P_S1Q_EUlS1P_E_NS1_11comp_targetILNS1_3genE2ELNS1_11target_archE906ELNS1_3gpuE6ELNS1_3repE0EEENS1_30default_config_static_selectorELNS0_4arch9wavefront6targetE0EEEvS12_,@function
_ZN7rocprim17ROCPRIM_400000_NS6detail17trampoline_kernelINS0_13select_configILj256ELj13ELNS0_17block_load_methodE3ELS4_3ELS4_3ELNS0_20block_scan_algorithmE0ELj4294967295EEENS1_25partition_config_selectorILNS1_17partition_subalgoE4EjNS0_10empty_typeEbEEZZNS1_14partition_implILS8_4ELb0ES6_15HIP_vector_typeIjLj2EENS0_17counting_iteratorIjlEEPS9_SG_NS0_5tupleIJPjSI_NS0_16reverse_iteratorISI_EEEEENSH_IJSG_SG_SG_EEES9_SI_JZNS1_25segmented_radix_sort_implINS0_14default_configELb0EPKsPsPKlPlN2at6native12_GLOBAL__N_18offset_tEEE10hipError_tPvRmT1_PNSt15iterator_traitsIS12_E10value_typeET2_T3_PNS13_IS18_E10value_typeET4_jRbjT5_S1E_jjP12ihipStream_tbEUljE_ZNSN_ISO_Lb0ESQ_SR_ST_SU_SY_EESZ_S10_S11_S12_S16_S17_S18_S1B_S1C_jS1D_jS1E_S1E_jjS1G_bEUljE0_EEESZ_S10_S11_S18_S1C_S1E_T6_T7_T9_mT8_S1G_bDpT10_ENKUlT_T0_E_clISt17integral_constantIbLb0EES1T_IbLb1EEEEDaS1P_S1Q_EUlS1P_E_NS1_11comp_targetILNS1_3genE2ELNS1_11target_archE906ELNS1_3gpuE6ELNS1_3repE0EEENS1_30default_config_static_selectorELNS0_4arch9wavefront6targetE0EEEvS12_: ; @_ZN7rocprim17ROCPRIM_400000_NS6detail17trampoline_kernelINS0_13select_configILj256ELj13ELNS0_17block_load_methodE3ELS4_3ELS4_3ELNS0_20block_scan_algorithmE0ELj4294967295EEENS1_25partition_config_selectorILNS1_17partition_subalgoE4EjNS0_10empty_typeEbEEZZNS1_14partition_implILS8_4ELb0ES6_15HIP_vector_typeIjLj2EENS0_17counting_iteratorIjlEEPS9_SG_NS0_5tupleIJPjSI_NS0_16reverse_iteratorISI_EEEEENSH_IJSG_SG_SG_EEES9_SI_JZNS1_25segmented_radix_sort_implINS0_14default_configELb0EPKsPsPKlPlN2at6native12_GLOBAL__N_18offset_tEEE10hipError_tPvRmT1_PNSt15iterator_traitsIS12_E10value_typeET2_T3_PNS13_IS18_E10value_typeET4_jRbjT5_S1E_jjP12ihipStream_tbEUljE_ZNSN_ISO_Lb0ESQ_SR_ST_SU_SY_EESZ_S10_S11_S12_S16_S17_S18_S1B_S1C_jS1D_jS1E_S1E_jjS1G_bEUljE0_EEESZ_S10_S11_S18_S1C_S1E_T6_T7_T9_mT8_S1G_bDpT10_ENKUlT_T0_E_clISt17integral_constantIbLb0EES1T_IbLb1EEEEDaS1P_S1Q_EUlS1P_E_NS1_11comp_targetILNS1_3genE2ELNS1_11target_archE906ELNS1_3gpuE6ELNS1_3repE0EEENS1_30default_config_static_selectorELNS0_4arch9wavefront6targetE0EEEvS12_
; %bb.0:
	.section	.rodata,"a",@progbits
	.p2align	6, 0x0
	.amdhsa_kernel _ZN7rocprim17ROCPRIM_400000_NS6detail17trampoline_kernelINS0_13select_configILj256ELj13ELNS0_17block_load_methodE3ELS4_3ELS4_3ELNS0_20block_scan_algorithmE0ELj4294967295EEENS1_25partition_config_selectorILNS1_17partition_subalgoE4EjNS0_10empty_typeEbEEZZNS1_14partition_implILS8_4ELb0ES6_15HIP_vector_typeIjLj2EENS0_17counting_iteratorIjlEEPS9_SG_NS0_5tupleIJPjSI_NS0_16reverse_iteratorISI_EEEEENSH_IJSG_SG_SG_EEES9_SI_JZNS1_25segmented_radix_sort_implINS0_14default_configELb0EPKsPsPKlPlN2at6native12_GLOBAL__N_18offset_tEEE10hipError_tPvRmT1_PNSt15iterator_traitsIS12_E10value_typeET2_T3_PNS13_IS18_E10value_typeET4_jRbjT5_S1E_jjP12ihipStream_tbEUljE_ZNSN_ISO_Lb0ESQ_SR_ST_SU_SY_EESZ_S10_S11_S12_S16_S17_S18_S1B_S1C_jS1D_jS1E_S1E_jjS1G_bEUljE0_EEESZ_S10_S11_S18_S1C_S1E_T6_T7_T9_mT8_S1G_bDpT10_ENKUlT_T0_E_clISt17integral_constantIbLb0EES1T_IbLb1EEEEDaS1P_S1Q_EUlS1P_E_NS1_11comp_targetILNS1_3genE2ELNS1_11target_archE906ELNS1_3gpuE6ELNS1_3repE0EEENS1_30default_config_static_selectorELNS0_4arch9wavefront6targetE0EEEvS12_
		.amdhsa_group_segment_fixed_size 0
		.amdhsa_private_segment_fixed_size 0
		.amdhsa_kernarg_size 184
		.amdhsa_user_sgpr_count 15
		.amdhsa_user_sgpr_dispatch_ptr 0
		.amdhsa_user_sgpr_queue_ptr 0
		.amdhsa_user_sgpr_kernarg_segment_ptr 1
		.amdhsa_user_sgpr_dispatch_id 0
		.amdhsa_user_sgpr_private_segment_size 0
		.amdhsa_wavefront_size32 1
		.amdhsa_uses_dynamic_stack 0
		.amdhsa_enable_private_segment 0
		.amdhsa_system_sgpr_workgroup_id_x 1
		.amdhsa_system_sgpr_workgroup_id_y 0
		.amdhsa_system_sgpr_workgroup_id_z 0
		.amdhsa_system_sgpr_workgroup_info 0
		.amdhsa_system_vgpr_workitem_id 0
		.amdhsa_next_free_vgpr 1
		.amdhsa_next_free_sgpr 1
		.amdhsa_reserve_vcc 0
		.amdhsa_float_round_mode_32 0
		.amdhsa_float_round_mode_16_64 0
		.amdhsa_float_denorm_mode_32 3
		.amdhsa_float_denorm_mode_16_64 3
		.amdhsa_dx10_clamp 1
		.amdhsa_ieee_mode 1
		.amdhsa_fp16_overflow 0
		.amdhsa_workgroup_processor_mode 1
		.amdhsa_memory_ordered 1
		.amdhsa_forward_progress 0
		.amdhsa_shared_vgpr_count 0
		.amdhsa_exception_fp_ieee_invalid_op 0
		.amdhsa_exception_fp_denorm_src 0
		.amdhsa_exception_fp_ieee_div_zero 0
		.amdhsa_exception_fp_ieee_overflow 0
		.amdhsa_exception_fp_ieee_underflow 0
		.amdhsa_exception_fp_ieee_inexact 0
		.amdhsa_exception_int_div_zero 0
	.end_amdhsa_kernel
	.section	.text._ZN7rocprim17ROCPRIM_400000_NS6detail17trampoline_kernelINS0_13select_configILj256ELj13ELNS0_17block_load_methodE3ELS4_3ELS4_3ELNS0_20block_scan_algorithmE0ELj4294967295EEENS1_25partition_config_selectorILNS1_17partition_subalgoE4EjNS0_10empty_typeEbEEZZNS1_14partition_implILS8_4ELb0ES6_15HIP_vector_typeIjLj2EENS0_17counting_iteratorIjlEEPS9_SG_NS0_5tupleIJPjSI_NS0_16reverse_iteratorISI_EEEEENSH_IJSG_SG_SG_EEES9_SI_JZNS1_25segmented_radix_sort_implINS0_14default_configELb0EPKsPsPKlPlN2at6native12_GLOBAL__N_18offset_tEEE10hipError_tPvRmT1_PNSt15iterator_traitsIS12_E10value_typeET2_T3_PNS13_IS18_E10value_typeET4_jRbjT5_S1E_jjP12ihipStream_tbEUljE_ZNSN_ISO_Lb0ESQ_SR_ST_SU_SY_EESZ_S10_S11_S12_S16_S17_S18_S1B_S1C_jS1D_jS1E_S1E_jjS1G_bEUljE0_EEESZ_S10_S11_S18_S1C_S1E_T6_T7_T9_mT8_S1G_bDpT10_ENKUlT_T0_E_clISt17integral_constantIbLb0EES1T_IbLb1EEEEDaS1P_S1Q_EUlS1P_E_NS1_11comp_targetILNS1_3genE2ELNS1_11target_archE906ELNS1_3gpuE6ELNS1_3repE0EEENS1_30default_config_static_selectorELNS0_4arch9wavefront6targetE0EEEvS12_,"axG",@progbits,_ZN7rocprim17ROCPRIM_400000_NS6detail17trampoline_kernelINS0_13select_configILj256ELj13ELNS0_17block_load_methodE3ELS4_3ELS4_3ELNS0_20block_scan_algorithmE0ELj4294967295EEENS1_25partition_config_selectorILNS1_17partition_subalgoE4EjNS0_10empty_typeEbEEZZNS1_14partition_implILS8_4ELb0ES6_15HIP_vector_typeIjLj2EENS0_17counting_iteratorIjlEEPS9_SG_NS0_5tupleIJPjSI_NS0_16reverse_iteratorISI_EEEEENSH_IJSG_SG_SG_EEES9_SI_JZNS1_25segmented_radix_sort_implINS0_14default_configELb0EPKsPsPKlPlN2at6native12_GLOBAL__N_18offset_tEEE10hipError_tPvRmT1_PNSt15iterator_traitsIS12_E10value_typeET2_T3_PNS13_IS18_E10value_typeET4_jRbjT5_S1E_jjP12ihipStream_tbEUljE_ZNSN_ISO_Lb0ESQ_SR_ST_SU_SY_EESZ_S10_S11_S12_S16_S17_S18_S1B_S1C_jS1D_jS1E_S1E_jjS1G_bEUljE0_EEESZ_S10_S11_S18_S1C_S1E_T6_T7_T9_mT8_S1G_bDpT10_ENKUlT_T0_E_clISt17integral_constantIbLb0EES1T_IbLb1EEEEDaS1P_S1Q_EUlS1P_E_NS1_11comp_targetILNS1_3genE2ELNS1_11target_archE906ELNS1_3gpuE6ELNS1_3repE0EEENS1_30default_config_static_selectorELNS0_4arch9wavefront6targetE0EEEvS12_,comdat
.Lfunc_end978:
	.size	_ZN7rocprim17ROCPRIM_400000_NS6detail17trampoline_kernelINS0_13select_configILj256ELj13ELNS0_17block_load_methodE3ELS4_3ELS4_3ELNS0_20block_scan_algorithmE0ELj4294967295EEENS1_25partition_config_selectorILNS1_17partition_subalgoE4EjNS0_10empty_typeEbEEZZNS1_14partition_implILS8_4ELb0ES6_15HIP_vector_typeIjLj2EENS0_17counting_iteratorIjlEEPS9_SG_NS0_5tupleIJPjSI_NS0_16reverse_iteratorISI_EEEEENSH_IJSG_SG_SG_EEES9_SI_JZNS1_25segmented_radix_sort_implINS0_14default_configELb0EPKsPsPKlPlN2at6native12_GLOBAL__N_18offset_tEEE10hipError_tPvRmT1_PNSt15iterator_traitsIS12_E10value_typeET2_T3_PNS13_IS18_E10value_typeET4_jRbjT5_S1E_jjP12ihipStream_tbEUljE_ZNSN_ISO_Lb0ESQ_SR_ST_SU_SY_EESZ_S10_S11_S12_S16_S17_S18_S1B_S1C_jS1D_jS1E_S1E_jjS1G_bEUljE0_EEESZ_S10_S11_S18_S1C_S1E_T6_T7_T9_mT8_S1G_bDpT10_ENKUlT_T0_E_clISt17integral_constantIbLb0EES1T_IbLb1EEEEDaS1P_S1Q_EUlS1P_E_NS1_11comp_targetILNS1_3genE2ELNS1_11target_archE906ELNS1_3gpuE6ELNS1_3repE0EEENS1_30default_config_static_selectorELNS0_4arch9wavefront6targetE0EEEvS12_, .Lfunc_end978-_ZN7rocprim17ROCPRIM_400000_NS6detail17trampoline_kernelINS0_13select_configILj256ELj13ELNS0_17block_load_methodE3ELS4_3ELS4_3ELNS0_20block_scan_algorithmE0ELj4294967295EEENS1_25partition_config_selectorILNS1_17partition_subalgoE4EjNS0_10empty_typeEbEEZZNS1_14partition_implILS8_4ELb0ES6_15HIP_vector_typeIjLj2EENS0_17counting_iteratorIjlEEPS9_SG_NS0_5tupleIJPjSI_NS0_16reverse_iteratorISI_EEEEENSH_IJSG_SG_SG_EEES9_SI_JZNS1_25segmented_radix_sort_implINS0_14default_configELb0EPKsPsPKlPlN2at6native12_GLOBAL__N_18offset_tEEE10hipError_tPvRmT1_PNSt15iterator_traitsIS12_E10value_typeET2_T3_PNS13_IS18_E10value_typeET4_jRbjT5_S1E_jjP12ihipStream_tbEUljE_ZNSN_ISO_Lb0ESQ_SR_ST_SU_SY_EESZ_S10_S11_S12_S16_S17_S18_S1B_S1C_jS1D_jS1E_S1E_jjS1G_bEUljE0_EEESZ_S10_S11_S18_S1C_S1E_T6_T7_T9_mT8_S1G_bDpT10_ENKUlT_T0_E_clISt17integral_constantIbLb0EES1T_IbLb1EEEEDaS1P_S1Q_EUlS1P_E_NS1_11comp_targetILNS1_3genE2ELNS1_11target_archE906ELNS1_3gpuE6ELNS1_3repE0EEENS1_30default_config_static_selectorELNS0_4arch9wavefront6targetE0EEEvS12_
                                        ; -- End function
	.section	.AMDGPU.csdata,"",@progbits
; Kernel info:
; codeLenInByte = 0
; NumSgprs: 0
; NumVgprs: 0
; ScratchSize: 0
; MemoryBound: 0
; FloatMode: 240
; IeeeMode: 1
; LDSByteSize: 0 bytes/workgroup (compile time only)
; SGPRBlocks: 0
; VGPRBlocks: 0
; NumSGPRsForWavesPerEU: 1
; NumVGPRsForWavesPerEU: 1
; Occupancy: 16
; WaveLimiterHint : 0
; COMPUTE_PGM_RSRC2:SCRATCH_EN: 0
; COMPUTE_PGM_RSRC2:USER_SGPR: 15
; COMPUTE_PGM_RSRC2:TRAP_HANDLER: 0
; COMPUTE_PGM_RSRC2:TGID_X_EN: 1
; COMPUTE_PGM_RSRC2:TGID_Y_EN: 0
; COMPUTE_PGM_RSRC2:TGID_Z_EN: 0
; COMPUTE_PGM_RSRC2:TIDIG_COMP_CNT: 0
	.section	.text._ZN7rocprim17ROCPRIM_400000_NS6detail17trampoline_kernelINS0_13select_configILj256ELj13ELNS0_17block_load_methodE3ELS4_3ELS4_3ELNS0_20block_scan_algorithmE0ELj4294967295EEENS1_25partition_config_selectorILNS1_17partition_subalgoE4EjNS0_10empty_typeEbEEZZNS1_14partition_implILS8_4ELb0ES6_15HIP_vector_typeIjLj2EENS0_17counting_iteratorIjlEEPS9_SG_NS0_5tupleIJPjSI_NS0_16reverse_iteratorISI_EEEEENSH_IJSG_SG_SG_EEES9_SI_JZNS1_25segmented_radix_sort_implINS0_14default_configELb0EPKsPsPKlPlN2at6native12_GLOBAL__N_18offset_tEEE10hipError_tPvRmT1_PNSt15iterator_traitsIS12_E10value_typeET2_T3_PNS13_IS18_E10value_typeET4_jRbjT5_S1E_jjP12ihipStream_tbEUljE_ZNSN_ISO_Lb0ESQ_SR_ST_SU_SY_EESZ_S10_S11_S12_S16_S17_S18_S1B_S1C_jS1D_jS1E_S1E_jjS1G_bEUljE0_EEESZ_S10_S11_S18_S1C_S1E_T6_T7_T9_mT8_S1G_bDpT10_ENKUlT_T0_E_clISt17integral_constantIbLb0EES1T_IbLb1EEEEDaS1P_S1Q_EUlS1P_E_NS1_11comp_targetILNS1_3genE10ELNS1_11target_archE1200ELNS1_3gpuE4ELNS1_3repE0EEENS1_30default_config_static_selectorELNS0_4arch9wavefront6targetE0EEEvS12_,"axG",@progbits,_ZN7rocprim17ROCPRIM_400000_NS6detail17trampoline_kernelINS0_13select_configILj256ELj13ELNS0_17block_load_methodE3ELS4_3ELS4_3ELNS0_20block_scan_algorithmE0ELj4294967295EEENS1_25partition_config_selectorILNS1_17partition_subalgoE4EjNS0_10empty_typeEbEEZZNS1_14partition_implILS8_4ELb0ES6_15HIP_vector_typeIjLj2EENS0_17counting_iteratorIjlEEPS9_SG_NS0_5tupleIJPjSI_NS0_16reverse_iteratorISI_EEEEENSH_IJSG_SG_SG_EEES9_SI_JZNS1_25segmented_radix_sort_implINS0_14default_configELb0EPKsPsPKlPlN2at6native12_GLOBAL__N_18offset_tEEE10hipError_tPvRmT1_PNSt15iterator_traitsIS12_E10value_typeET2_T3_PNS13_IS18_E10value_typeET4_jRbjT5_S1E_jjP12ihipStream_tbEUljE_ZNSN_ISO_Lb0ESQ_SR_ST_SU_SY_EESZ_S10_S11_S12_S16_S17_S18_S1B_S1C_jS1D_jS1E_S1E_jjS1G_bEUljE0_EEESZ_S10_S11_S18_S1C_S1E_T6_T7_T9_mT8_S1G_bDpT10_ENKUlT_T0_E_clISt17integral_constantIbLb0EES1T_IbLb1EEEEDaS1P_S1Q_EUlS1P_E_NS1_11comp_targetILNS1_3genE10ELNS1_11target_archE1200ELNS1_3gpuE4ELNS1_3repE0EEENS1_30default_config_static_selectorELNS0_4arch9wavefront6targetE0EEEvS12_,comdat
	.globl	_ZN7rocprim17ROCPRIM_400000_NS6detail17trampoline_kernelINS0_13select_configILj256ELj13ELNS0_17block_load_methodE3ELS4_3ELS4_3ELNS0_20block_scan_algorithmE0ELj4294967295EEENS1_25partition_config_selectorILNS1_17partition_subalgoE4EjNS0_10empty_typeEbEEZZNS1_14partition_implILS8_4ELb0ES6_15HIP_vector_typeIjLj2EENS0_17counting_iteratorIjlEEPS9_SG_NS0_5tupleIJPjSI_NS0_16reverse_iteratorISI_EEEEENSH_IJSG_SG_SG_EEES9_SI_JZNS1_25segmented_radix_sort_implINS0_14default_configELb0EPKsPsPKlPlN2at6native12_GLOBAL__N_18offset_tEEE10hipError_tPvRmT1_PNSt15iterator_traitsIS12_E10value_typeET2_T3_PNS13_IS18_E10value_typeET4_jRbjT5_S1E_jjP12ihipStream_tbEUljE_ZNSN_ISO_Lb0ESQ_SR_ST_SU_SY_EESZ_S10_S11_S12_S16_S17_S18_S1B_S1C_jS1D_jS1E_S1E_jjS1G_bEUljE0_EEESZ_S10_S11_S18_S1C_S1E_T6_T7_T9_mT8_S1G_bDpT10_ENKUlT_T0_E_clISt17integral_constantIbLb0EES1T_IbLb1EEEEDaS1P_S1Q_EUlS1P_E_NS1_11comp_targetILNS1_3genE10ELNS1_11target_archE1200ELNS1_3gpuE4ELNS1_3repE0EEENS1_30default_config_static_selectorELNS0_4arch9wavefront6targetE0EEEvS12_ ; -- Begin function _ZN7rocprim17ROCPRIM_400000_NS6detail17trampoline_kernelINS0_13select_configILj256ELj13ELNS0_17block_load_methodE3ELS4_3ELS4_3ELNS0_20block_scan_algorithmE0ELj4294967295EEENS1_25partition_config_selectorILNS1_17partition_subalgoE4EjNS0_10empty_typeEbEEZZNS1_14partition_implILS8_4ELb0ES6_15HIP_vector_typeIjLj2EENS0_17counting_iteratorIjlEEPS9_SG_NS0_5tupleIJPjSI_NS0_16reverse_iteratorISI_EEEEENSH_IJSG_SG_SG_EEES9_SI_JZNS1_25segmented_radix_sort_implINS0_14default_configELb0EPKsPsPKlPlN2at6native12_GLOBAL__N_18offset_tEEE10hipError_tPvRmT1_PNSt15iterator_traitsIS12_E10value_typeET2_T3_PNS13_IS18_E10value_typeET4_jRbjT5_S1E_jjP12ihipStream_tbEUljE_ZNSN_ISO_Lb0ESQ_SR_ST_SU_SY_EESZ_S10_S11_S12_S16_S17_S18_S1B_S1C_jS1D_jS1E_S1E_jjS1G_bEUljE0_EEESZ_S10_S11_S18_S1C_S1E_T6_T7_T9_mT8_S1G_bDpT10_ENKUlT_T0_E_clISt17integral_constantIbLb0EES1T_IbLb1EEEEDaS1P_S1Q_EUlS1P_E_NS1_11comp_targetILNS1_3genE10ELNS1_11target_archE1200ELNS1_3gpuE4ELNS1_3repE0EEENS1_30default_config_static_selectorELNS0_4arch9wavefront6targetE0EEEvS12_
	.p2align	8
	.type	_ZN7rocprim17ROCPRIM_400000_NS6detail17trampoline_kernelINS0_13select_configILj256ELj13ELNS0_17block_load_methodE3ELS4_3ELS4_3ELNS0_20block_scan_algorithmE0ELj4294967295EEENS1_25partition_config_selectorILNS1_17partition_subalgoE4EjNS0_10empty_typeEbEEZZNS1_14partition_implILS8_4ELb0ES6_15HIP_vector_typeIjLj2EENS0_17counting_iteratorIjlEEPS9_SG_NS0_5tupleIJPjSI_NS0_16reverse_iteratorISI_EEEEENSH_IJSG_SG_SG_EEES9_SI_JZNS1_25segmented_radix_sort_implINS0_14default_configELb0EPKsPsPKlPlN2at6native12_GLOBAL__N_18offset_tEEE10hipError_tPvRmT1_PNSt15iterator_traitsIS12_E10value_typeET2_T3_PNS13_IS18_E10value_typeET4_jRbjT5_S1E_jjP12ihipStream_tbEUljE_ZNSN_ISO_Lb0ESQ_SR_ST_SU_SY_EESZ_S10_S11_S12_S16_S17_S18_S1B_S1C_jS1D_jS1E_S1E_jjS1G_bEUljE0_EEESZ_S10_S11_S18_S1C_S1E_T6_T7_T9_mT8_S1G_bDpT10_ENKUlT_T0_E_clISt17integral_constantIbLb0EES1T_IbLb1EEEEDaS1P_S1Q_EUlS1P_E_NS1_11comp_targetILNS1_3genE10ELNS1_11target_archE1200ELNS1_3gpuE4ELNS1_3repE0EEENS1_30default_config_static_selectorELNS0_4arch9wavefront6targetE0EEEvS12_,@function
_ZN7rocprim17ROCPRIM_400000_NS6detail17trampoline_kernelINS0_13select_configILj256ELj13ELNS0_17block_load_methodE3ELS4_3ELS4_3ELNS0_20block_scan_algorithmE0ELj4294967295EEENS1_25partition_config_selectorILNS1_17partition_subalgoE4EjNS0_10empty_typeEbEEZZNS1_14partition_implILS8_4ELb0ES6_15HIP_vector_typeIjLj2EENS0_17counting_iteratorIjlEEPS9_SG_NS0_5tupleIJPjSI_NS0_16reverse_iteratorISI_EEEEENSH_IJSG_SG_SG_EEES9_SI_JZNS1_25segmented_radix_sort_implINS0_14default_configELb0EPKsPsPKlPlN2at6native12_GLOBAL__N_18offset_tEEE10hipError_tPvRmT1_PNSt15iterator_traitsIS12_E10value_typeET2_T3_PNS13_IS18_E10value_typeET4_jRbjT5_S1E_jjP12ihipStream_tbEUljE_ZNSN_ISO_Lb0ESQ_SR_ST_SU_SY_EESZ_S10_S11_S12_S16_S17_S18_S1B_S1C_jS1D_jS1E_S1E_jjS1G_bEUljE0_EEESZ_S10_S11_S18_S1C_S1E_T6_T7_T9_mT8_S1G_bDpT10_ENKUlT_T0_E_clISt17integral_constantIbLb0EES1T_IbLb1EEEEDaS1P_S1Q_EUlS1P_E_NS1_11comp_targetILNS1_3genE10ELNS1_11target_archE1200ELNS1_3gpuE4ELNS1_3repE0EEENS1_30default_config_static_selectorELNS0_4arch9wavefront6targetE0EEEvS12_: ; @_ZN7rocprim17ROCPRIM_400000_NS6detail17trampoline_kernelINS0_13select_configILj256ELj13ELNS0_17block_load_methodE3ELS4_3ELS4_3ELNS0_20block_scan_algorithmE0ELj4294967295EEENS1_25partition_config_selectorILNS1_17partition_subalgoE4EjNS0_10empty_typeEbEEZZNS1_14partition_implILS8_4ELb0ES6_15HIP_vector_typeIjLj2EENS0_17counting_iteratorIjlEEPS9_SG_NS0_5tupleIJPjSI_NS0_16reverse_iteratorISI_EEEEENSH_IJSG_SG_SG_EEES9_SI_JZNS1_25segmented_radix_sort_implINS0_14default_configELb0EPKsPsPKlPlN2at6native12_GLOBAL__N_18offset_tEEE10hipError_tPvRmT1_PNSt15iterator_traitsIS12_E10value_typeET2_T3_PNS13_IS18_E10value_typeET4_jRbjT5_S1E_jjP12ihipStream_tbEUljE_ZNSN_ISO_Lb0ESQ_SR_ST_SU_SY_EESZ_S10_S11_S12_S16_S17_S18_S1B_S1C_jS1D_jS1E_S1E_jjS1G_bEUljE0_EEESZ_S10_S11_S18_S1C_S1E_T6_T7_T9_mT8_S1G_bDpT10_ENKUlT_T0_E_clISt17integral_constantIbLb0EES1T_IbLb1EEEEDaS1P_S1Q_EUlS1P_E_NS1_11comp_targetILNS1_3genE10ELNS1_11target_archE1200ELNS1_3gpuE4ELNS1_3repE0EEENS1_30default_config_static_selectorELNS0_4arch9wavefront6targetE0EEEvS12_
; %bb.0:
	.section	.rodata,"a",@progbits
	.p2align	6, 0x0
	.amdhsa_kernel _ZN7rocprim17ROCPRIM_400000_NS6detail17trampoline_kernelINS0_13select_configILj256ELj13ELNS0_17block_load_methodE3ELS4_3ELS4_3ELNS0_20block_scan_algorithmE0ELj4294967295EEENS1_25partition_config_selectorILNS1_17partition_subalgoE4EjNS0_10empty_typeEbEEZZNS1_14partition_implILS8_4ELb0ES6_15HIP_vector_typeIjLj2EENS0_17counting_iteratorIjlEEPS9_SG_NS0_5tupleIJPjSI_NS0_16reverse_iteratorISI_EEEEENSH_IJSG_SG_SG_EEES9_SI_JZNS1_25segmented_radix_sort_implINS0_14default_configELb0EPKsPsPKlPlN2at6native12_GLOBAL__N_18offset_tEEE10hipError_tPvRmT1_PNSt15iterator_traitsIS12_E10value_typeET2_T3_PNS13_IS18_E10value_typeET4_jRbjT5_S1E_jjP12ihipStream_tbEUljE_ZNSN_ISO_Lb0ESQ_SR_ST_SU_SY_EESZ_S10_S11_S12_S16_S17_S18_S1B_S1C_jS1D_jS1E_S1E_jjS1G_bEUljE0_EEESZ_S10_S11_S18_S1C_S1E_T6_T7_T9_mT8_S1G_bDpT10_ENKUlT_T0_E_clISt17integral_constantIbLb0EES1T_IbLb1EEEEDaS1P_S1Q_EUlS1P_E_NS1_11comp_targetILNS1_3genE10ELNS1_11target_archE1200ELNS1_3gpuE4ELNS1_3repE0EEENS1_30default_config_static_selectorELNS0_4arch9wavefront6targetE0EEEvS12_
		.amdhsa_group_segment_fixed_size 0
		.amdhsa_private_segment_fixed_size 0
		.amdhsa_kernarg_size 184
		.amdhsa_user_sgpr_count 15
		.amdhsa_user_sgpr_dispatch_ptr 0
		.amdhsa_user_sgpr_queue_ptr 0
		.amdhsa_user_sgpr_kernarg_segment_ptr 1
		.amdhsa_user_sgpr_dispatch_id 0
		.amdhsa_user_sgpr_private_segment_size 0
		.amdhsa_wavefront_size32 1
		.amdhsa_uses_dynamic_stack 0
		.amdhsa_enable_private_segment 0
		.amdhsa_system_sgpr_workgroup_id_x 1
		.amdhsa_system_sgpr_workgroup_id_y 0
		.amdhsa_system_sgpr_workgroup_id_z 0
		.amdhsa_system_sgpr_workgroup_info 0
		.amdhsa_system_vgpr_workitem_id 0
		.amdhsa_next_free_vgpr 1
		.amdhsa_next_free_sgpr 1
		.amdhsa_reserve_vcc 0
		.amdhsa_float_round_mode_32 0
		.amdhsa_float_round_mode_16_64 0
		.amdhsa_float_denorm_mode_32 3
		.amdhsa_float_denorm_mode_16_64 3
		.amdhsa_dx10_clamp 1
		.amdhsa_ieee_mode 1
		.amdhsa_fp16_overflow 0
		.amdhsa_workgroup_processor_mode 1
		.amdhsa_memory_ordered 1
		.amdhsa_forward_progress 0
		.amdhsa_shared_vgpr_count 0
		.amdhsa_exception_fp_ieee_invalid_op 0
		.amdhsa_exception_fp_denorm_src 0
		.amdhsa_exception_fp_ieee_div_zero 0
		.amdhsa_exception_fp_ieee_overflow 0
		.amdhsa_exception_fp_ieee_underflow 0
		.amdhsa_exception_fp_ieee_inexact 0
		.amdhsa_exception_int_div_zero 0
	.end_amdhsa_kernel
	.section	.text._ZN7rocprim17ROCPRIM_400000_NS6detail17trampoline_kernelINS0_13select_configILj256ELj13ELNS0_17block_load_methodE3ELS4_3ELS4_3ELNS0_20block_scan_algorithmE0ELj4294967295EEENS1_25partition_config_selectorILNS1_17partition_subalgoE4EjNS0_10empty_typeEbEEZZNS1_14partition_implILS8_4ELb0ES6_15HIP_vector_typeIjLj2EENS0_17counting_iteratorIjlEEPS9_SG_NS0_5tupleIJPjSI_NS0_16reverse_iteratorISI_EEEEENSH_IJSG_SG_SG_EEES9_SI_JZNS1_25segmented_radix_sort_implINS0_14default_configELb0EPKsPsPKlPlN2at6native12_GLOBAL__N_18offset_tEEE10hipError_tPvRmT1_PNSt15iterator_traitsIS12_E10value_typeET2_T3_PNS13_IS18_E10value_typeET4_jRbjT5_S1E_jjP12ihipStream_tbEUljE_ZNSN_ISO_Lb0ESQ_SR_ST_SU_SY_EESZ_S10_S11_S12_S16_S17_S18_S1B_S1C_jS1D_jS1E_S1E_jjS1G_bEUljE0_EEESZ_S10_S11_S18_S1C_S1E_T6_T7_T9_mT8_S1G_bDpT10_ENKUlT_T0_E_clISt17integral_constantIbLb0EES1T_IbLb1EEEEDaS1P_S1Q_EUlS1P_E_NS1_11comp_targetILNS1_3genE10ELNS1_11target_archE1200ELNS1_3gpuE4ELNS1_3repE0EEENS1_30default_config_static_selectorELNS0_4arch9wavefront6targetE0EEEvS12_,"axG",@progbits,_ZN7rocprim17ROCPRIM_400000_NS6detail17trampoline_kernelINS0_13select_configILj256ELj13ELNS0_17block_load_methodE3ELS4_3ELS4_3ELNS0_20block_scan_algorithmE0ELj4294967295EEENS1_25partition_config_selectorILNS1_17partition_subalgoE4EjNS0_10empty_typeEbEEZZNS1_14partition_implILS8_4ELb0ES6_15HIP_vector_typeIjLj2EENS0_17counting_iteratorIjlEEPS9_SG_NS0_5tupleIJPjSI_NS0_16reverse_iteratorISI_EEEEENSH_IJSG_SG_SG_EEES9_SI_JZNS1_25segmented_radix_sort_implINS0_14default_configELb0EPKsPsPKlPlN2at6native12_GLOBAL__N_18offset_tEEE10hipError_tPvRmT1_PNSt15iterator_traitsIS12_E10value_typeET2_T3_PNS13_IS18_E10value_typeET4_jRbjT5_S1E_jjP12ihipStream_tbEUljE_ZNSN_ISO_Lb0ESQ_SR_ST_SU_SY_EESZ_S10_S11_S12_S16_S17_S18_S1B_S1C_jS1D_jS1E_S1E_jjS1G_bEUljE0_EEESZ_S10_S11_S18_S1C_S1E_T6_T7_T9_mT8_S1G_bDpT10_ENKUlT_T0_E_clISt17integral_constantIbLb0EES1T_IbLb1EEEEDaS1P_S1Q_EUlS1P_E_NS1_11comp_targetILNS1_3genE10ELNS1_11target_archE1200ELNS1_3gpuE4ELNS1_3repE0EEENS1_30default_config_static_selectorELNS0_4arch9wavefront6targetE0EEEvS12_,comdat
.Lfunc_end979:
	.size	_ZN7rocprim17ROCPRIM_400000_NS6detail17trampoline_kernelINS0_13select_configILj256ELj13ELNS0_17block_load_methodE3ELS4_3ELS4_3ELNS0_20block_scan_algorithmE0ELj4294967295EEENS1_25partition_config_selectorILNS1_17partition_subalgoE4EjNS0_10empty_typeEbEEZZNS1_14partition_implILS8_4ELb0ES6_15HIP_vector_typeIjLj2EENS0_17counting_iteratorIjlEEPS9_SG_NS0_5tupleIJPjSI_NS0_16reverse_iteratorISI_EEEEENSH_IJSG_SG_SG_EEES9_SI_JZNS1_25segmented_radix_sort_implINS0_14default_configELb0EPKsPsPKlPlN2at6native12_GLOBAL__N_18offset_tEEE10hipError_tPvRmT1_PNSt15iterator_traitsIS12_E10value_typeET2_T3_PNS13_IS18_E10value_typeET4_jRbjT5_S1E_jjP12ihipStream_tbEUljE_ZNSN_ISO_Lb0ESQ_SR_ST_SU_SY_EESZ_S10_S11_S12_S16_S17_S18_S1B_S1C_jS1D_jS1E_S1E_jjS1G_bEUljE0_EEESZ_S10_S11_S18_S1C_S1E_T6_T7_T9_mT8_S1G_bDpT10_ENKUlT_T0_E_clISt17integral_constantIbLb0EES1T_IbLb1EEEEDaS1P_S1Q_EUlS1P_E_NS1_11comp_targetILNS1_3genE10ELNS1_11target_archE1200ELNS1_3gpuE4ELNS1_3repE0EEENS1_30default_config_static_selectorELNS0_4arch9wavefront6targetE0EEEvS12_, .Lfunc_end979-_ZN7rocprim17ROCPRIM_400000_NS6detail17trampoline_kernelINS0_13select_configILj256ELj13ELNS0_17block_load_methodE3ELS4_3ELS4_3ELNS0_20block_scan_algorithmE0ELj4294967295EEENS1_25partition_config_selectorILNS1_17partition_subalgoE4EjNS0_10empty_typeEbEEZZNS1_14partition_implILS8_4ELb0ES6_15HIP_vector_typeIjLj2EENS0_17counting_iteratorIjlEEPS9_SG_NS0_5tupleIJPjSI_NS0_16reverse_iteratorISI_EEEEENSH_IJSG_SG_SG_EEES9_SI_JZNS1_25segmented_radix_sort_implINS0_14default_configELb0EPKsPsPKlPlN2at6native12_GLOBAL__N_18offset_tEEE10hipError_tPvRmT1_PNSt15iterator_traitsIS12_E10value_typeET2_T3_PNS13_IS18_E10value_typeET4_jRbjT5_S1E_jjP12ihipStream_tbEUljE_ZNSN_ISO_Lb0ESQ_SR_ST_SU_SY_EESZ_S10_S11_S12_S16_S17_S18_S1B_S1C_jS1D_jS1E_S1E_jjS1G_bEUljE0_EEESZ_S10_S11_S18_S1C_S1E_T6_T7_T9_mT8_S1G_bDpT10_ENKUlT_T0_E_clISt17integral_constantIbLb0EES1T_IbLb1EEEEDaS1P_S1Q_EUlS1P_E_NS1_11comp_targetILNS1_3genE10ELNS1_11target_archE1200ELNS1_3gpuE4ELNS1_3repE0EEENS1_30default_config_static_selectorELNS0_4arch9wavefront6targetE0EEEvS12_
                                        ; -- End function
	.section	.AMDGPU.csdata,"",@progbits
; Kernel info:
; codeLenInByte = 0
; NumSgprs: 0
; NumVgprs: 0
; ScratchSize: 0
; MemoryBound: 0
; FloatMode: 240
; IeeeMode: 1
; LDSByteSize: 0 bytes/workgroup (compile time only)
; SGPRBlocks: 0
; VGPRBlocks: 0
; NumSGPRsForWavesPerEU: 1
; NumVGPRsForWavesPerEU: 1
; Occupancy: 16
; WaveLimiterHint : 0
; COMPUTE_PGM_RSRC2:SCRATCH_EN: 0
; COMPUTE_PGM_RSRC2:USER_SGPR: 15
; COMPUTE_PGM_RSRC2:TRAP_HANDLER: 0
; COMPUTE_PGM_RSRC2:TGID_X_EN: 1
; COMPUTE_PGM_RSRC2:TGID_Y_EN: 0
; COMPUTE_PGM_RSRC2:TGID_Z_EN: 0
; COMPUTE_PGM_RSRC2:TIDIG_COMP_CNT: 0
	.section	.text._ZN7rocprim17ROCPRIM_400000_NS6detail17trampoline_kernelINS0_13select_configILj256ELj13ELNS0_17block_load_methodE3ELS4_3ELS4_3ELNS0_20block_scan_algorithmE0ELj4294967295EEENS1_25partition_config_selectorILNS1_17partition_subalgoE4EjNS0_10empty_typeEbEEZZNS1_14partition_implILS8_4ELb0ES6_15HIP_vector_typeIjLj2EENS0_17counting_iteratorIjlEEPS9_SG_NS0_5tupleIJPjSI_NS0_16reverse_iteratorISI_EEEEENSH_IJSG_SG_SG_EEES9_SI_JZNS1_25segmented_radix_sort_implINS0_14default_configELb0EPKsPsPKlPlN2at6native12_GLOBAL__N_18offset_tEEE10hipError_tPvRmT1_PNSt15iterator_traitsIS12_E10value_typeET2_T3_PNS13_IS18_E10value_typeET4_jRbjT5_S1E_jjP12ihipStream_tbEUljE_ZNSN_ISO_Lb0ESQ_SR_ST_SU_SY_EESZ_S10_S11_S12_S16_S17_S18_S1B_S1C_jS1D_jS1E_S1E_jjS1G_bEUljE0_EEESZ_S10_S11_S18_S1C_S1E_T6_T7_T9_mT8_S1G_bDpT10_ENKUlT_T0_E_clISt17integral_constantIbLb0EES1T_IbLb1EEEEDaS1P_S1Q_EUlS1P_E_NS1_11comp_targetILNS1_3genE9ELNS1_11target_archE1100ELNS1_3gpuE3ELNS1_3repE0EEENS1_30default_config_static_selectorELNS0_4arch9wavefront6targetE0EEEvS12_,"axG",@progbits,_ZN7rocprim17ROCPRIM_400000_NS6detail17trampoline_kernelINS0_13select_configILj256ELj13ELNS0_17block_load_methodE3ELS4_3ELS4_3ELNS0_20block_scan_algorithmE0ELj4294967295EEENS1_25partition_config_selectorILNS1_17partition_subalgoE4EjNS0_10empty_typeEbEEZZNS1_14partition_implILS8_4ELb0ES6_15HIP_vector_typeIjLj2EENS0_17counting_iteratorIjlEEPS9_SG_NS0_5tupleIJPjSI_NS0_16reverse_iteratorISI_EEEEENSH_IJSG_SG_SG_EEES9_SI_JZNS1_25segmented_radix_sort_implINS0_14default_configELb0EPKsPsPKlPlN2at6native12_GLOBAL__N_18offset_tEEE10hipError_tPvRmT1_PNSt15iterator_traitsIS12_E10value_typeET2_T3_PNS13_IS18_E10value_typeET4_jRbjT5_S1E_jjP12ihipStream_tbEUljE_ZNSN_ISO_Lb0ESQ_SR_ST_SU_SY_EESZ_S10_S11_S12_S16_S17_S18_S1B_S1C_jS1D_jS1E_S1E_jjS1G_bEUljE0_EEESZ_S10_S11_S18_S1C_S1E_T6_T7_T9_mT8_S1G_bDpT10_ENKUlT_T0_E_clISt17integral_constantIbLb0EES1T_IbLb1EEEEDaS1P_S1Q_EUlS1P_E_NS1_11comp_targetILNS1_3genE9ELNS1_11target_archE1100ELNS1_3gpuE3ELNS1_3repE0EEENS1_30default_config_static_selectorELNS0_4arch9wavefront6targetE0EEEvS12_,comdat
	.globl	_ZN7rocprim17ROCPRIM_400000_NS6detail17trampoline_kernelINS0_13select_configILj256ELj13ELNS0_17block_load_methodE3ELS4_3ELS4_3ELNS0_20block_scan_algorithmE0ELj4294967295EEENS1_25partition_config_selectorILNS1_17partition_subalgoE4EjNS0_10empty_typeEbEEZZNS1_14partition_implILS8_4ELb0ES6_15HIP_vector_typeIjLj2EENS0_17counting_iteratorIjlEEPS9_SG_NS0_5tupleIJPjSI_NS0_16reverse_iteratorISI_EEEEENSH_IJSG_SG_SG_EEES9_SI_JZNS1_25segmented_radix_sort_implINS0_14default_configELb0EPKsPsPKlPlN2at6native12_GLOBAL__N_18offset_tEEE10hipError_tPvRmT1_PNSt15iterator_traitsIS12_E10value_typeET2_T3_PNS13_IS18_E10value_typeET4_jRbjT5_S1E_jjP12ihipStream_tbEUljE_ZNSN_ISO_Lb0ESQ_SR_ST_SU_SY_EESZ_S10_S11_S12_S16_S17_S18_S1B_S1C_jS1D_jS1E_S1E_jjS1G_bEUljE0_EEESZ_S10_S11_S18_S1C_S1E_T6_T7_T9_mT8_S1G_bDpT10_ENKUlT_T0_E_clISt17integral_constantIbLb0EES1T_IbLb1EEEEDaS1P_S1Q_EUlS1P_E_NS1_11comp_targetILNS1_3genE9ELNS1_11target_archE1100ELNS1_3gpuE3ELNS1_3repE0EEENS1_30default_config_static_selectorELNS0_4arch9wavefront6targetE0EEEvS12_ ; -- Begin function _ZN7rocprim17ROCPRIM_400000_NS6detail17trampoline_kernelINS0_13select_configILj256ELj13ELNS0_17block_load_methodE3ELS4_3ELS4_3ELNS0_20block_scan_algorithmE0ELj4294967295EEENS1_25partition_config_selectorILNS1_17partition_subalgoE4EjNS0_10empty_typeEbEEZZNS1_14partition_implILS8_4ELb0ES6_15HIP_vector_typeIjLj2EENS0_17counting_iteratorIjlEEPS9_SG_NS0_5tupleIJPjSI_NS0_16reverse_iteratorISI_EEEEENSH_IJSG_SG_SG_EEES9_SI_JZNS1_25segmented_radix_sort_implINS0_14default_configELb0EPKsPsPKlPlN2at6native12_GLOBAL__N_18offset_tEEE10hipError_tPvRmT1_PNSt15iterator_traitsIS12_E10value_typeET2_T3_PNS13_IS18_E10value_typeET4_jRbjT5_S1E_jjP12ihipStream_tbEUljE_ZNSN_ISO_Lb0ESQ_SR_ST_SU_SY_EESZ_S10_S11_S12_S16_S17_S18_S1B_S1C_jS1D_jS1E_S1E_jjS1G_bEUljE0_EEESZ_S10_S11_S18_S1C_S1E_T6_T7_T9_mT8_S1G_bDpT10_ENKUlT_T0_E_clISt17integral_constantIbLb0EES1T_IbLb1EEEEDaS1P_S1Q_EUlS1P_E_NS1_11comp_targetILNS1_3genE9ELNS1_11target_archE1100ELNS1_3gpuE3ELNS1_3repE0EEENS1_30default_config_static_selectorELNS0_4arch9wavefront6targetE0EEEvS12_
	.p2align	8
	.type	_ZN7rocprim17ROCPRIM_400000_NS6detail17trampoline_kernelINS0_13select_configILj256ELj13ELNS0_17block_load_methodE3ELS4_3ELS4_3ELNS0_20block_scan_algorithmE0ELj4294967295EEENS1_25partition_config_selectorILNS1_17partition_subalgoE4EjNS0_10empty_typeEbEEZZNS1_14partition_implILS8_4ELb0ES6_15HIP_vector_typeIjLj2EENS0_17counting_iteratorIjlEEPS9_SG_NS0_5tupleIJPjSI_NS0_16reverse_iteratorISI_EEEEENSH_IJSG_SG_SG_EEES9_SI_JZNS1_25segmented_radix_sort_implINS0_14default_configELb0EPKsPsPKlPlN2at6native12_GLOBAL__N_18offset_tEEE10hipError_tPvRmT1_PNSt15iterator_traitsIS12_E10value_typeET2_T3_PNS13_IS18_E10value_typeET4_jRbjT5_S1E_jjP12ihipStream_tbEUljE_ZNSN_ISO_Lb0ESQ_SR_ST_SU_SY_EESZ_S10_S11_S12_S16_S17_S18_S1B_S1C_jS1D_jS1E_S1E_jjS1G_bEUljE0_EEESZ_S10_S11_S18_S1C_S1E_T6_T7_T9_mT8_S1G_bDpT10_ENKUlT_T0_E_clISt17integral_constantIbLb0EES1T_IbLb1EEEEDaS1P_S1Q_EUlS1P_E_NS1_11comp_targetILNS1_3genE9ELNS1_11target_archE1100ELNS1_3gpuE3ELNS1_3repE0EEENS1_30default_config_static_selectorELNS0_4arch9wavefront6targetE0EEEvS12_,@function
_ZN7rocprim17ROCPRIM_400000_NS6detail17trampoline_kernelINS0_13select_configILj256ELj13ELNS0_17block_load_methodE3ELS4_3ELS4_3ELNS0_20block_scan_algorithmE0ELj4294967295EEENS1_25partition_config_selectorILNS1_17partition_subalgoE4EjNS0_10empty_typeEbEEZZNS1_14partition_implILS8_4ELb0ES6_15HIP_vector_typeIjLj2EENS0_17counting_iteratorIjlEEPS9_SG_NS0_5tupleIJPjSI_NS0_16reverse_iteratorISI_EEEEENSH_IJSG_SG_SG_EEES9_SI_JZNS1_25segmented_radix_sort_implINS0_14default_configELb0EPKsPsPKlPlN2at6native12_GLOBAL__N_18offset_tEEE10hipError_tPvRmT1_PNSt15iterator_traitsIS12_E10value_typeET2_T3_PNS13_IS18_E10value_typeET4_jRbjT5_S1E_jjP12ihipStream_tbEUljE_ZNSN_ISO_Lb0ESQ_SR_ST_SU_SY_EESZ_S10_S11_S12_S16_S17_S18_S1B_S1C_jS1D_jS1E_S1E_jjS1G_bEUljE0_EEESZ_S10_S11_S18_S1C_S1E_T6_T7_T9_mT8_S1G_bDpT10_ENKUlT_T0_E_clISt17integral_constantIbLb0EES1T_IbLb1EEEEDaS1P_S1Q_EUlS1P_E_NS1_11comp_targetILNS1_3genE9ELNS1_11target_archE1100ELNS1_3gpuE3ELNS1_3repE0EEENS1_30default_config_static_selectorELNS0_4arch9wavefront6targetE0EEEvS12_: ; @_ZN7rocprim17ROCPRIM_400000_NS6detail17trampoline_kernelINS0_13select_configILj256ELj13ELNS0_17block_load_methodE3ELS4_3ELS4_3ELNS0_20block_scan_algorithmE0ELj4294967295EEENS1_25partition_config_selectorILNS1_17partition_subalgoE4EjNS0_10empty_typeEbEEZZNS1_14partition_implILS8_4ELb0ES6_15HIP_vector_typeIjLj2EENS0_17counting_iteratorIjlEEPS9_SG_NS0_5tupleIJPjSI_NS0_16reverse_iteratorISI_EEEEENSH_IJSG_SG_SG_EEES9_SI_JZNS1_25segmented_radix_sort_implINS0_14default_configELb0EPKsPsPKlPlN2at6native12_GLOBAL__N_18offset_tEEE10hipError_tPvRmT1_PNSt15iterator_traitsIS12_E10value_typeET2_T3_PNS13_IS18_E10value_typeET4_jRbjT5_S1E_jjP12ihipStream_tbEUljE_ZNSN_ISO_Lb0ESQ_SR_ST_SU_SY_EESZ_S10_S11_S12_S16_S17_S18_S1B_S1C_jS1D_jS1E_S1E_jjS1G_bEUljE0_EEESZ_S10_S11_S18_S1C_S1E_T6_T7_T9_mT8_S1G_bDpT10_ENKUlT_T0_E_clISt17integral_constantIbLb0EES1T_IbLb1EEEEDaS1P_S1Q_EUlS1P_E_NS1_11comp_targetILNS1_3genE9ELNS1_11target_archE1100ELNS1_3gpuE3ELNS1_3repE0EEENS1_30default_config_static_selectorELNS0_4arch9wavefront6targetE0EEEvS12_
; %bb.0:
	s_clause 0x7
	s_load_b64 s[34:35], s[0:1], 0x10
	s_load_b128 s[28:31], s[0:1], 0x28
	s_load_b64 s[14:15], s[0:1], 0x38
	s_load_b128 s[24:27], s[0:1], 0x58
	s_load_b64 s[4:5], s[0:1], 0x68
	s_load_b64 s[36:37], s[0:1], 0x78
	;; [unrolled: 1-line block ×3, first 2 shown]
	s_load_b256 s[16:23], s[0:1], 0x90
	v_cmp_eq_u32_e64 s2, 0, v0
	s_delay_alu instid0(VALU_DEP_1)
	s_and_saveexec_b32 s3, s2
	s_cbranch_execz .LBB980_4
; %bb.1:
	s_mov_b32 s7, exec_lo
	s_mov_b32 s6, exec_lo
	v_mbcnt_lo_u32_b32 v1, s7, 0
                                        ; implicit-def: $vgpr2
	s_delay_alu instid0(VALU_DEP_1)
	v_cmpx_eq_u32_e32 0, v1
	s_cbranch_execz .LBB980_3
; %bb.2:
	s_load_b64 s[8:9], s[0:1], 0x88
	s_bcnt1_i32_b32 s7, s7
	s_delay_alu instid0(SALU_CYCLE_1)
	v_dual_mov_b32 v2, 0 :: v_dual_mov_b32 v3, s7
	s_waitcnt lgkmcnt(0)
	global_atomic_add_u32 v2, v2, v3, s[8:9] glc
.LBB980_3:
	s_or_b32 exec_lo, exec_lo, s6
	s_waitcnt vmcnt(0)
	v_readfirstlane_b32 s6, v2
	s_delay_alu instid0(VALU_DEP_1)
	v_dual_mov_b32 v2, 0 :: v_dual_add_nc_u32 v1, s6, v1
	ds_store_b32 v2, v1
.LBB980_4:
	s_or_b32 exec_lo, exec_lo, s3
	v_mov_b32_e32 v1, 0
	s_clause 0x1
	s_load_b32 s3, s[0:1], 0x8
	s_load_b32 s0, s[0:1], 0x80
	s_waitcnt lgkmcnt(0)
	s_barrier
	buffer_gl0_inv
	ds_load_b32 v5, v1
	s_waitcnt lgkmcnt(0)
	s_barrier
	buffer_gl0_inv
	global_load_b128 v[1:4], v1, s[26:27]
	s_add_i32 s3, s3, s34
	s_mul_i32 s1, s0, 0xd00
	s_add_i32 s0, s0, -1
	s_add_u32 s6, s34, s1
	s_addc_u32 s7, s35, 0
	v_mul_lo_u32 v30, 0xd00, v5
	v_readfirstlane_b32 s26, v5
	v_cmp_lt_u64_e64 s5, s[6:7], s[4:5]
	v_cmp_ne_u32_e32 vcc_lo, s0, v5
	s_delay_alu instid0(VALU_DEP_3) | instskip(SKIP_1) | instid1(VALU_DEP_4)
	s_cmp_eq_u32 s26, s0
	s_cselect_b32 s13, -1, 0
	v_add3_u32 v5, v30, s3, v0
	s_delay_alu instid0(VALU_DEP_3) | instskip(SKIP_2) | instid1(VALU_DEP_1)
	s_or_b32 s0, s5, vcc_lo
	s_mov_b32 s3, -1
	s_and_b32 vcc_lo, exec_lo, s0
	v_add_nc_u32_e32 v6, 0x100, v5
	v_add_nc_u32_e32 v7, 0x200, v5
	;; [unrolled: 1-line block ×12, first 2 shown]
	s_cbranch_vccz .LBB980_6
; %bb.5:
	v_lshlrev_b32_e32 v18, 2, v0
	s_mov_b32 s3, 0
	ds_store_2addr_stride64_b32 v18, v5, v6 offset1:4
	ds_store_2addr_stride64_b32 v18, v7, v8 offset0:8 offset1:12
	ds_store_2addr_stride64_b32 v18, v9, v10 offset0:16 offset1:20
	;; [unrolled: 1-line block ×5, first 2 shown]
	ds_store_b32 v18, v17 offset:12288
	s_waitcnt vmcnt(0) lgkmcnt(0)
	s_barrier
.LBB980_6:
	s_and_not1_b32 vcc_lo, exec_lo, s3
	s_add_i32 s1, s1, s34
	s_cbranch_vccnz .LBB980_8
; %bb.7:
	v_lshlrev_b32_e32 v18, 2, v0
	ds_store_2addr_stride64_b32 v18, v5, v6 offset1:4
	ds_store_2addr_stride64_b32 v18, v7, v8 offset0:8 offset1:12
	ds_store_2addr_stride64_b32 v18, v9, v10 offset0:16 offset1:20
	;; [unrolled: 1-line block ×5, first 2 shown]
	ds_store_b32 v18, v17 offset:12288
	s_waitcnt vmcnt(0) lgkmcnt(0)
	s_barrier
.LBB980_8:
	v_mul_u32_u24_e32 v33, 13, v0
	s_waitcnt vmcnt(0)
	buffer_gl0_inv
	v_cndmask_b32_e64 v31, 0, 1, s0
	s_sub_i32 s40, s4, s1
	s_and_not1_b32 vcc_lo, exec_lo, s0
	v_lshlrev_b32_e32 v5, 2, v33
	ds_load_2addr_b32 v[20:21], v5 offset1:1
	ds_load_2addr_b32 v[18:19], v5 offset0:2 offset1:3
	ds_load_2addr_b32 v[16:17], v5 offset0:4 offset1:5
	;; [unrolled: 1-line block ×5, first 2 shown]
	ds_load_b32 v32, v5 offset:48
	s_waitcnt lgkmcnt(0)
	s_barrier
	buffer_gl0_inv
	s_cbranch_vccnz .LBB980_36
; %bb.9:
	v_add_nc_u32_e32 v5, s17, v20
	v_add_nc_u32_e32 v6, s19, v20
	s_mov_b32 s42, 0
	s_mov_b32 s41, 0
	s_mov_b32 s1, exec_lo
	v_mul_lo_u32 v5, v5, s16
	v_mul_lo_u32 v6, v6, s18
	s_delay_alu instid0(VALU_DEP_1) | instskip(NEXT) | instid1(VALU_DEP_1)
	v_sub_nc_u32_e32 v5, v5, v6
	v_cmp_lt_u32_e32 vcc_lo, s20, v5
	v_cmpx_ge_u32_e64 s20, v5
; %bb.10:
	v_add_nc_u32_e32 v5, s22, v20
	v_add_nc_u32_e32 v6, s38, v20
	s_delay_alu instid0(VALU_DEP_2) | instskip(NEXT) | instid1(VALU_DEP_2)
	v_mul_lo_u32 v5, v5, s21
	v_mul_lo_u32 v6, v6, s23
	s_delay_alu instid0(VALU_DEP_1) | instskip(NEXT) | instid1(VALU_DEP_1)
	v_sub_nc_u32_e32 v5, v5, v6
	v_cmp_lt_u32_e64 s0, s39, v5
	s_delay_alu instid0(VALU_DEP_1)
	s_and_b32 s41, s0, exec_lo
; %bb.11:
	s_or_b32 exec_lo, exec_lo, s1
	v_add_nc_u32_e32 v5, s17, v21
	v_add_nc_u32_e32 v6, s19, v21
	s_mov_b32 s3, exec_lo
	s_delay_alu instid0(VALU_DEP_2) | instskip(NEXT) | instid1(VALU_DEP_2)
	v_mul_lo_u32 v5, v5, s16
	v_mul_lo_u32 v6, v6, s18
	s_delay_alu instid0(VALU_DEP_1) | instskip(NEXT) | instid1(VALU_DEP_1)
	v_sub_nc_u32_e32 v5, v5, v6
	v_cmp_lt_u32_e64 s0, s20, v5
	v_cmpx_ge_u32_e64 s20, v5
; %bb.12:
	v_add_nc_u32_e32 v5, s22, v21
	v_add_nc_u32_e32 v6, s38, v21
	s_delay_alu instid0(VALU_DEP_2) | instskip(NEXT) | instid1(VALU_DEP_2)
	v_mul_lo_u32 v5, v5, s21
	v_mul_lo_u32 v6, v6, s23
	s_delay_alu instid0(VALU_DEP_1) | instskip(NEXT) | instid1(VALU_DEP_1)
	v_sub_nc_u32_e32 v5, v5, v6
	v_cmp_lt_u32_e64 s1, s39, v5
	s_delay_alu instid0(VALU_DEP_1)
	s_and_b32 s42, s1, exec_lo
; %bb.13:
	s_or_b32 exec_lo, exec_lo, s3
	v_add_nc_u32_e32 v5, s17, v18
	v_add_nc_u32_e32 v6, s19, v18
	s_mov_b32 s44, 0
	s_mov_b32 s43, 0
	s_mov_b32 s4, exec_lo
	v_mul_lo_u32 v5, v5, s16
	v_mul_lo_u32 v6, v6, s18
	s_delay_alu instid0(VALU_DEP_1) | instskip(NEXT) | instid1(VALU_DEP_1)
	v_sub_nc_u32_e32 v5, v5, v6
	v_cmp_lt_u32_e64 s1, s20, v5
	v_cmpx_ge_u32_e64 s20, v5
; %bb.14:
	v_add_nc_u32_e32 v5, s22, v18
	v_add_nc_u32_e32 v6, s38, v18
	s_delay_alu instid0(VALU_DEP_2) | instskip(NEXT) | instid1(VALU_DEP_2)
	v_mul_lo_u32 v5, v5, s21
	v_mul_lo_u32 v6, v6, s23
	s_delay_alu instid0(VALU_DEP_1) | instskip(NEXT) | instid1(VALU_DEP_1)
	v_sub_nc_u32_e32 v5, v5, v6
	v_cmp_lt_u32_e64 s3, s39, v5
	s_delay_alu instid0(VALU_DEP_1)
	s_and_b32 s43, s3, exec_lo
; %bb.15:
	s_or_b32 exec_lo, exec_lo, s4
	v_add_nc_u32_e32 v5, s17, v19
	v_add_nc_u32_e32 v6, s19, v19
	s_mov_b32 s5, exec_lo
	s_delay_alu instid0(VALU_DEP_2) | instskip(NEXT) | instid1(VALU_DEP_2)
	v_mul_lo_u32 v5, v5, s16
	v_mul_lo_u32 v6, v6, s18
	s_delay_alu instid0(VALU_DEP_1) | instskip(NEXT) | instid1(VALU_DEP_1)
	v_sub_nc_u32_e32 v5, v5, v6
	v_cmp_lt_u32_e64 s3, s20, v5
	v_cmpx_ge_u32_e64 s20, v5
; %bb.16:
	v_add_nc_u32_e32 v5, s22, v19
	v_add_nc_u32_e32 v6, s38, v19
	s_delay_alu instid0(VALU_DEP_2) | instskip(NEXT) | instid1(VALU_DEP_2)
	v_mul_lo_u32 v5, v5, s21
	v_mul_lo_u32 v6, v6, s23
	s_delay_alu instid0(VALU_DEP_1) | instskip(NEXT) | instid1(VALU_DEP_1)
	v_sub_nc_u32_e32 v5, v5, v6
	v_cmp_lt_u32_e64 s4, s39, v5
	s_delay_alu instid0(VALU_DEP_1)
	s_and_b32 s44, s4, exec_lo
; %bb.17:
	s_or_b32 exec_lo, exec_lo, s5
	v_add_nc_u32_e32 v5, s17, v16
	v_add_nc_u32_e32 v6, s19, v16
	s_mov_b32 s46, 0
	s_mov_b32 s45, 0
	s_mov_b32 s6, exec_lo
	v_mul_lo_u32 v5, v5, s16
	v_mul_lo_u32 v6, v6, s18
	s_delay_alu instid0(VALU_DEP_1) | instskip(NEXT) | instid1(VALU_DEP_1)
	v_sub_nc_u32_e32 v5, v5, v6
	v_cmp_lt_u32_e64 s4, s20, v5
	v_cmpx_ge_u32_e64 s20, v5
; %bb.18:
	v_add_nc_u32_e32 v5, s22, v16
	v_add_nc_u32_e32 v6, s38, v16
	s_delay_alu instid0(VALU_DEP_2) | instskip(NEXT) | instid1(VALU_DEP_2)
	v_mul_lo_u32 v5, v5, s21
	v_mul_lo_u32 v6, v6, s23
	s_delay_alu instid0(VALU_DEP_1) | instskip(NEXT) | instid1(VALU_DEP_1)
	v_sub_nc_u32_e32 v5, v5, v6
	v_cmp_lt_u32_e64 s5, s39, v5
	s_delay_alu instid0(VALU_DEP_1)
	s_and_b32 s45, s5, exec_lo
; %bb.19:
	s_or_b32 exec_lo, exec_lo, s6
	v_add_nc_u32_e32 v5, s17, v17
	v_add_nc_u32_e32 v6, s19, v17
	s_mov_b32 s7, exec_lo
	s_delay_alu instid0(VALU_DEP_2) | instskip(NEXT) | instid1(VALU_DEP_2)
	v_mul_lo_u32 v5, v5, s16
	v_mul_lo_u32 v6, v6, s18
	s_delay_alu instid0(VALU_DEP_1) | instskip(NEXT) | instid1(VALU_DEP_1)
	v_sub_nc_u32_e32 v5, v5, v6
	v_cmp_lt_u32_e64 s5, s20, v5
	v_cmpx_ge_u32_e64 s20, v5
; %bb.20:
	v_add_nc_u32_e32 v5, s22, v17
	v_add_nc_u32_e32 v6, s38, v17
	s_delay_alu instid0(VALU_DEP_2) | instskip(NEXT) | instid1(VALU_DEP_2)
	v_mul_lo_u32 v5, v5, s21
	v_mul_lo_u32 v6, v6, s23
	s_delay_alu instid0(VALU_DEP_1) | instskip(NEXT) | instid1(VALU_DEP_1)
	v_sub_nc_u32_e32 v5, v5, v6
	v_cmp_lt_u32_e64 s6, s39, v5
	s_delay_alu instid0(VALU_DEP_1)
	s_and_b32 s46, s6, exec_lo
; %bb.21:
	s_or_b32 exec_lo, exec_lo, s7
	v_add_nc_u32_e32 v5, s17, v14
	v_add_nc_u32_e32 v6, s19, v14
	s_mov_b32 s48, 0
	s_mov_b32 s47, 0
	s_mov_b32 s8, exec_lo
	v_mul_lo_u32 v5, v5, s16
	v_mul_lo_u32 v6, v6, s18
	s_delay_alu instid0(VALU_DEP_1) | instskip(NEXT) | instid1(VALU_DEP_1)
	v_sub_nc_u32_e32 v5, v5, v6
	v_cmp_lt_u32_e64 s6, s20, v5
	v_cmpx_ge_u32_e64 s20, v5
; %bb.22:
	v_add_nc_u32_e32 v5, s22, v14
	v_add_nc_u32_e32 v6, s38, v14
	s_delay_alu instid0(VALU_DEP_2) | instskip(NEXT) | instid1(VALU_DEP_2)
	v_mul_lo_u32 v5, v5, s21
	v_mul_lo_u32 v6, v6, s23
	s_delay_alu instid0(VALU_DEP_1) | instskip(NEXT) | instid1(VALU_DEP_1)
	v_sub_nc_u32_e32 v5, v5, v6
	v_cmp_lt_u32_e64 s7, s39, v5
	s_delay_alu instid0(VALU_DEP_1)
	s_and_b32 s47, s7, exec_lo
; %bb.23:
	s_or_b32 exec_lo, exec_lo, s8
	v_add_nc_u32_e32 v5, s17, v15
	v_add_nc_u32_e32 v6, s19, v15
	s_mov_b32 s9, exec_lo
	s_delay_alu instid0(VALU_DEP_2) | instskip(NEXT) | instid1(VALU_DEP_2)
	v_mul_lo_u32 v5, v5, s16
	v_mul_lo_u32 v6, v6, s18
	s_delay_alu instid0(VALU_DEP_1) | instskip(NEXT) | instid1(VALU_DEP_1)
	v_sub_nc_u32_e32 v5, v5, v6
	v_cmp_lt_u32_e64 s7, s20, v5
	v_cmpx_ge_u32_e64 s20, v5
; %bb.24:
	v_add_nc_u32_e32 v5, s22, v15
	v_add_nc_u32_e32 v6, s38, v15
	s_delay_alu instid0(VALU_DEP_2) | instskip(NEXT) | instid1(VALU_DEP_2)
	v_mul_lo_u32 v5, v5, s21
	v_mul_lo_u32 v6, v6, s23
	s_delay_alu instid0(VALU_DEP_1) | instskip(NEXT) | instid1(VALU_DEP_1)
	v_sub_nc_u32_e32 v5, v5, v6
	v_cmp_lt_u32_e64 s8, s39, v5
	s_delay_alu instid0(VALU_DEP_1)
	s_and_b32 s48, s8, exec_lo
; %bb.25:
	s_or_b32 exec_lo, exec_lo, s9
	v_add_nc_u32_e32 v5, s17, v12
	v_add_nc_u32_e32 v6, s19, v12
	s_mov_b32 s51, 0
	s_mov_b32 s50, 0
	s_mov_b32 s10, exec_lo
	v_mul_lo_u32 v5, v5, s16
	v_mul_lo_u32 v6, v6, s18
	s_delay_alu instid0(VALU_DEP_1) | instskip(NEXT) | instid1(VALU_DEP_1)
	v_sub_nc_u32_e32 v5, v5, v6
	v_cmp_lt_u32_e64 s8, s20, v5
	v_cmpx_ge_u32_e64 s20, v5
; %bb.26:
	v_add_nc_u32_e32 v5, s22, v12
	v_add_nc_u32_e32 v6, s38, v12
	s_delay_alu instid0(VALU_DEP_2) | instskip(NEXT) | instid1(VALU_DEP_2)
	v_mul_lo_u32 v5, v5, s21
	v_mul_lo_u32 v6, v6, s23
	s_delay_alu instid0(VALU_DEP_1) | instskip(NEXT) | instid1(VALU_DEP_1)
	v_sub_nc_u32_e32 v5, v5, v6
	v_cmp_lt_u32_e64 s9, s39, v5
	s_delay_alu instid0(VALU_DEP_1)
	s_and_b32 s50, s9, exec_lo
; %bb.27:
	s_or_b32 exec_lo, exec_lo, s10
	v_add_nc_u32_e32 v5, s17, v13
	v_add_nc_u32_e32 v6, s19, v13
	s_mov_b32 s11, exec_lo
	s_delay_alu instid0(VALU_DEP_2) | instskip(NEXT) | instid1(VALU_DEP_2)
	v_mul_lo_u32 v5, v5, s16
	v_mul_lo_u32 v6, v6, s18
	s_delay_alu instid0(VALU_DEP_1) | instskip(NEXT) | instid1(VALU_DEP_1)
	v_sub_nc_u32_e32 v5, v5, v6
	v_cmp_lt_u32_e64 s9, s20, v5
	v_cmpx_ge_u32_e64 s20, v5
; %bb.28:
	v_add_nc_u32_e32 v5, s22, v13
	v_add_nc_u32_e32 v6, s38, v13
	s_delay_alu instid0(VALU_DEP_2) | instskip(NEXT) | instid1(VALU_DEP_2)
	v_mul_lo_u32 v5, v5, s21
	v_mul_lo_u32 v6, v6, s23
	s_delay_alu instid0(VALU_DEP_1) | instskip(NEXT) | instid1(VALU_DEP_1)
	v_sub_nc_u32_e32 v5, v5, v6
	v_cmp_lt_u32_e64 s10, s39, v5
	s_delay_alu instid0(VALU_DEP_1)
	s_and_b32 s51, s10, exec_lo
; %bb.29:
	s_or_b32 exec_lo, exec_lo, s11
	v_add_nc_u32_e32 v5, s17, v10
	v_add_nc_u32_e32 v6, s19, v10
	s_mov_b32 s52, 0
	s_mov_b32 s53, 0
	s_mov_b32 s12, exec_lo
	v_mul_lo_u32 v5, v5, s16
	v_mul_lo_u32 v6, v6, s18
	s_delay_alu instid0(VALU_DEP_1) | instskip(NEXT) | instid1(VALU_DEP_1)
	v_sub_nc_u32_e32 v5, v5, v6
	v_cmp_lt_u32_e64 s10, s20, v5
	v_cmpx_ge_u32_e64 s20, v5
; %bb.30:
	v_add_nc_u32_e32 v5, s22, v10
	v_add_nc_u32_e32 v6, s38, v10
	s_delay_alu instid0(VALU_DEP_2) | instskip(NEXT) | instid1(VALU_DEP_2)
	v_mul_lo_u32 v5, v5, s21
	v_mul_lo_u32 v6, v6, s23
	s_delay_alu instid0(VALU_DEP_1) | instskip(NEXT) | instid1(VALU_DEP_1)
	v_sub_nc_u32_e32 v5, v5, v6
	v_cmp_lt_u32_e64 s11, s39, v5
	s_delay_alu instid0(VALU_DEP_1)
	s_and_b32 s53, s11, exec_lo
; %bb.31:
	s_or_b32 exec_lo, exec_lo, s12
	v_add_nc_u32_e32 v5, s17, v11
	v_add_nc_u32_e32 v6, s19, v11
	s_mov_b32 s27, exec_lo
	s_delay_alu instid0(VALU_DEP_2) | instskip(NEXT) | instid1(VALU_DEP_2)
	v_mul_lo_u32 v5, v5, s16
	v_mul_lo_u32 v6, v6, s18
	s_delay_alu instid0(VALU_DEP_1) | instskip(NEXT) | instid1(VALU_DEP_1)
	v_sub_nc_u32_e32 v5, v5, v6
	v_cmp_lt_u32_e64 s11, s20, v5
	v_cmpx_ge_u32_e64 s20, v5
; %bb.32:
	v_add_nc_u32_e32 v5, s22, v11
	v_add_nc_u32_e32 v6, s38, v11
	s_delay_alu instid0(VALU_DEP_2) | instskip(NEXT) | instid1(VALU_DEP_2)
	v_mul_lo_u32 v5, v5, s21
	v_mul_lo_u32 v6, v6, s23
	s_delay_alu instid0(VALU_DEP_1) | instskip(NEXT) | instid1(VALU_DEP_1)
	v_sub_nc_u32_e32 v5, v5, v6
	v_cmp_lt_u32_e64 s12, s39, v5
	s_delay_alu instid0(VALU_DEP_1)
	s_and_b32 s52, s12, exec_lo
; %bb.33:
	s_or_b32 exec_lo, exec_lo, s27
	v_add_nc_u32_e32 v5, s17, v32
	v_add_nc_u32_e32 v6, s19, v32
	s_mov_b32 s27, -1
	s_mov_b32 s49, 0
	s_mov_b32 s33, 0
	v_mul_lo_u32 v5, v5, s16
	v_mul_lo_u32 v6, v6, s18
	s_mov_b32 s54, exec_lo
	s_delay_alu instid0(VALU_DEP_1) | instskip(NEXT) | instid1(VALU_DEP_1)
	v_sub_nc_u32_e32 v5, v5, v6
	v_cmpx_ge_u32_e64 s20, v5
; %bb.34:
	v_add_nc_u32_e32 v5, s22, v32
	v_add_nc_u32_e32 v6, s38, v32
	s_xor_b32 s27, exec_lo, -1
	s_delay_alu instid0(VALU_DEP_2) | instskip(NEXT) | instid1(VALU_DEP_2)
	v_mul_lo_u32 v5, v5, s21
	v_mul_lo_u32 v6, v6, s23
	s_delay_alu instid0(VALU_DEP_1) | instskip(NEXT) | instid1(VALU_DEP_1)
	v_sub_nc_u32_e32 v5, v5, v6
	v_cmp_lt_u32_e64 s12, s39, v5
	s_delay_alu instid0(VALU_DEP_1)
	s_and_b32 s33, s12, exec_lo
; %bb.35:
	s_or_b32 exec_lo, exec_lo, s54
	v_cndmask_b32_e64 v53, 0, 1, s53
	v_cndmask_b32_e64 v56, 0, 1, s11
	;; [unrolled: 1-line block ×22, first 2 shown]
	v_cndmask_b32_e64 v34, 0, 1, vcc_lo
	v_cndmask_b32_e64 v57, 0, 1, s52
	s_and_b32 vcc_lo, exec_lo, s49
	s_add_i32 s4, s40, 0xd00
	s_cbranch_vccnz .LBB980_37
	s_branch .LBB980_90
.LBB980_36:
                                        ; implicit-def: $sgpr27
                                        ; implicit-def: $sgpr33
                                        ; implicit-def: $vgpr57
                                        ; implicit-def: $vgpr53
                                        ; implicit-def: $vgpr52
                                        ; implicit-def: $vgpr50
                                        ; implicit-def: $vgpr48
                                        ; implicit-def: $vgpr46
                                        ; implicit-def: $vgpr44
                                        ; implicit-def: $vgpr42
                                        ; implicit-def: $vgpr39
                                        ; implicit-def: $vgpr34
                                        ; implicit-def: $vgpr37
                                        ; implicit-def: $vgpr36
                                        ; implicit-def: $vgpr41
                                        ; implicit-def: $vgpr43
                                        ; implicit-def: $vgpr45
                                        ; implicit-def: $vgpr47
                                        ; implicit-def: $vgpr49
                                        ; implicit-def: $vgpr51
                                        ; implicit-def: $vgpr54
                                        ; implicit-def: $vgpr55
                                        ; implicit-def: $vgpr56
                                        ; implicit-def: $vgpr35
                                        ; implicit-def: $vgpr40
                                        ; implicit-def: $vgpr38
	s_add_i32 s4, s40, 0xd00
	s_cbranch_execz .LBB980_90
.LBB980_37:
	v_dual_mov_b32 v35, 0 :: v_dual_mov_b32 v34, 0
	s_mov_b32 s3, 0
	s_mov_b32 s1, exec_lo
	v_cmpx_gt_u32_e64 s4, v33
	s_cbranch_execz .LBB980_41
; %bb.38:
	v_add_nc_u32_e32 v5, s17, v20
	v_add_nc_u32_e32 v6, s19, v20
	s_mov_b32 s5, exec_lo
	s_delay_alu instid0(VALU_DEP_2) | instskip(NEXT) | instid1(VALU_DEP_2)
	v_mul_lo_u32 v5, v5, s16
	v_mul_lo_u32 v6, v6, s18
	s_delay_alu instid0(VALU_DEP_1) | instskip(NEXT) | instid1(VALU_DEP_1)
	v_sub_nc_u32_e32 v5, v5, v6
	v_cmp_lt_u32_e32 vcc_lo, s20, v5
	v_cmpx_ge_u32_e64 s20, v5
; %bb.39:
	v_add_nc_u32_e32 v5, s22, v20
	v_add_nc_u32_e32 v6, s38, v20
	s_delay_alu instid0(VALU_DEP_2) | instskip(NEXT) | instid1(VALU_DEP_2)
	v_mul_lo_u32 v5, v5, s21
	v_mul_lo_u32 v6, v6, s23
	s_delay_alu instid0(VALU_DEP_1) | instskip(NEXT) | instid1(VALU_DEP_1)
	v_sub_nc_u32_e32 v5, v5, v6
	v_cmp_lt_u32_e64 s0, s39, v5
	s_delay_alu instid0(VALU_DEP_1)
	s_and_b32 s3, s0, exec_lo
; %bb.40:
	s_or_b32 exec_lo, exec_lo, s5
	v_cndmask_b32_e64 v34, 0, 1, vcc_lo
	v_cndmask_b32_e64 v35, 0, 1, s3
.LBB980_41:
	s_or_b32 exec_lo, exec_lo, s1
	v_dual_mov_b32 v40, 0 :: v_dual_add_nc_u32 v5, 1, v33
	v_mov_b32_e32 v37, 0
	s_mov_b32 s3, 0
	s_mov_b32 s1, exec_lo
	s_delay_alu instid0(VALU_DEP_2)
	v_cmpx_gt_u32_e64 s4, v5
	s_cbranch_execz .LBB980_45
; %bb.42:
	v_add_nc_u32_e32 v5, s17, v21
	v_add_nc_u32_e32 v6, s19, v21
	s_mov_b32 s5, exec_lo
	s_delay_alu instid0(VALU_DEP_2) | instskip(NEXT) | instid1(VALU_DEP_2)
	v_mul_lo_u32 v5, v5, s16
	v_mul_lo_u32 v6, v6, s18
	s_delay_alu instid0(VALU_DEP_1) | instskip(NEXT) | instid1(VALU_DEP_1)
	v_sub_nc_u32_e32 v5, v5, v6
	v_cmp_lt_u32_e32 vcc_lo, s20, v5
	v_cmpx_ge_u32_e64 s20, v5
; %bb.43:
	v_add_nc_u32_e32 v5, s22, v21
	v_add_nc_u32_e32 v6, s38, v21
	s_delay_alu instid0(VALU_DEP_2) | instskip(NEXT) | instid1(VALU_DEP_2)
	v_mul_lo_u32 v5, v5, s21
	v_mul_lo_u32 v6, v6, s23
	s_delay_alu instid0(VALU_DEP_1) | instskip(NEXT) | instid1(VALU_DEP_1)
	v_sub_nc_u32_e32 v5, v5, v6
	v_cmp_lt_u32_e64 s0, s39, v5
	s_delay_alu instid0(VALU_DEP_1)
	s_and_b32 s3, s0, exec_lo
; %bb.44:
	s_or_b32 exec_lo, exec_lo, s5
	v_cndmask_b32_e64 v37, 0, 1, vcc_lo
	v_cndmask_b32_e64 v40, 0, 1, s3
.LBB980_45:
	s_or_b32 exec_lo, exec_lo, s1
	v_dual_mov_b32 v36, 0 :: v_dual_add_nc_u32 v5, 2, v33
	v_mov_b32_e32 v38, 0
	s_mov_b32 s3, 0
	s_mov_b32 s1, exec_lo
	s_delay_alu instid0(VALU_DEP_2)
	v_cmpx_gt_u32_e64 s4, v5
	s_cbranch_execz .LBB980_49
; %bb.46:
	v_add_nc_u32_e32 v5, s17, v18
	v_add_nc_u32_e32 v6, s19, v18
	s_mov_b32 s5, exec_lo
	s_delay_alu instid0(VALU_DEP_2) | instskip(NEXT) | instid1(VALU_DEP_2)
	v_mul_lo_u32 v5, v5, s16
	v_mul_lo_u32 v6, v6, s18
	s_delay_alu instid0(VALU_DEP_1) | instskip(NEXT) | instid1(VALU_DEP_1)
	v_sub_nc_u32_e32 v5, v5, v6
	v_cmp_lt_u32_e32 vcc_lo, s20, v5
	v_cmpx_ge_u32_e64 s20, v5
; %bb.47:
	v_add_nc_u32_e32 v5, s22, v18
	v_add_nc_u32_e32 v6, s38, v18
	s_delay_alu instid0(VALU_DEP_2) | instskip(NEXT) | instid1(VALU_DEP_2)
	v_mul_lo_u32 v5, v5, s21
	v_mul_lo_u32 v6, v6, s23
	s_delay_alu instid0(VALU_DEP_1) | instskip(NEXT) | instid1(VALU_DEP_1)
	v_sub_nc_u32_e32 v5, v5, v6
	v_cmp_lt_u32_e64 s0, s39, v5
	s_delay_alu instid0(VALU_DEP_1)
	s_and_b32 s3, s0, exec_lo
; %bb.48:
	s_or_b32 exec_lo, exec_lo, s5
	v_cndmask_b32_e64 v36, 0, 1, vcc_lo
	v_cndmask_b32_e64 v38, 0, 1, s3
.LBB980_49:
	s_or_b32 exec_lo, exec_lo, s1
	v_add_nc_u32_e32 v5, 3, v33
	v_mov_b32_e32 v39, 0
	v_mov_b32_e32 v41, 0
	s_mov_b32 s3, 0
	s_mov_b32 s1, exec_lo
	v_cmpx_gt_u32_e64 s4, v5
	s_cbranch_execz .LBB980_53
; %bb.50:
	v_add_nc_u32_e32 v5, s17, v19
	v_add_nc_u32_e32 v6, s19, v19
	s_mov_b32 s5, exec_lo
	s_delay_alu instid0(VALU_DEP_2) | instskip(NEXT) | instid1(VALU_DEP_2)
	v_mul_lo_u32 v5, v5, s16
	v_mul_lo_u32 v6, v6, s18
	s_delay_alu instid0(VALU_DEP_1) | instskip(NEXT) | instid1(VALU_DEP_1)
	v_sub_nc_u32_e32 v5, v5, v6
	v_cmp_lt_u32_e32 vcc_lo, s20, v5
	v_cmpx_ge_u32_e64 s20, v5
; %bb.51:
	v_add_nc_u32_e32 v5, s22, v19
	v_add_nc_u32_e32 v6, s38, v19
	s_delay_alu instid0(VALU_DEP_2) | instskip(NEXT) | instid1(VALU_DEP_2)
	v_mul_lo_u32 v5, v5, s21
	v_mul_lo_u32 v6, v6, s23
	s_delay_alu instid0(VALU_DEP_1) | instskip(NEXT) | instid1(VALU_DEP_1)
	v_sub_nc_u32_e32 v5, v5, v6
	v_cmp_lt_u32_e64 s0, s39, v5
	s_delay_alu instid0(VALU_DEP_1)
	s_and_b32 s3, s0, exec_lo
; %bb.52:
	s_or_b32 exec_lo, exec_lo, s5
	v_cndmask_b32_e64 v41, 0, 1, vcc_lo
	v_cndmask_b32_e64 v39, 0, 1, s3
.LBB980_53:
	s_or_b32 exec_lo, exec_lo, s1
	v_dual_mov_b32 v42, 0 :: v_dual_add_nc_u32 v5, 4, v33
	v_mov_b32_e32 v43, 0
	s_mov_b32 s3, 0
	s_mov_b32 s1, exec_lo
	s_delay_alu instid0(VALU_DEP_2)
	v_cmpx_gt_u32_e64 s4, v5
	s_cbranch_execz .LBB980_57
; %bb.54:
	v_add_nc_u32_e32 v5, s17, v16
	v_add_nc_u32_e32 v6, s19, v16
	s_mov_b32 s5, exec_lo
	s_delay_alu instid0(VALU_DEP_2) | instskip(NEXT) | instid1(VALU_DEP_2)
	v_mul_lo_u32 v5, v5, s16
	v_mul_lo_u32 v6, v6, s18
	s_delay_alu instid0(VALU_DEP_1) | instskip(NEXT) | instid1(VALU_DEP_1)
	v_sub_nc_u32_e32 v5, v5, v6
	v_cmp_lt_u32_e32 vcc_lo, s20, v5
	v_cmpx_ge_u32_e64 s20, v5
; %bb.55:
	v_add_nc_u32_e32 v5, s22, v16
	v_add_nc_u32_e32 v6, s38, v16
	s_delay_alu instid0(VALU_DEP_2) | instskip(NEXT) | instid1(VALU_DEP_2)
	v_mul_lo_u32 v5, v5, s21
	v_mul_lo_u32 v6, v6, s23
	s_delay_alu instid0(VALU_DEP_1) | instskip(NEXT) | instid1(VALU_DEP_1)
	v_sub_nc_u32_e32 v5, v5, v6
	v_cmp_lt_u32_e64 s0, s39, v5
	s_delay_alu instid0(VALU_DEP_1)
	s_and_b32 s3, s0, exec_lo
; %bb.56:
	s_or_b32 exec_lo, exec_lo, s5
	v_cndmask_b32_e64 v43, 0, 1, vcc_lo
	v_cndmask_b32_e64 v42, 0, 1, s3
.LBB980_57:
	s_or_b32 exec_lo, exec_lo, s1
	v_dual_mov_b32 v44, 0 :: v_dual_add_nc_u32 v5, 5, v33
	v_mov_b32_e32 v45, 0
	s_mov_b32 s3, 0
	s_mov_b32 s1, exec_lo
	s_delay_alu instid0(VALU_DEP_2)
	;; [unrolled: 35-line block ×6, first 2 shown]
	v_cmpx_gt_u32_e64 s4, v5
	s_cbranch_execz .LBB980_77
; %bb.74:
	v_add_nc_u32_e32 v5, s17, v13
	v_add_nc_u32_e32 v6, s19, v13
	s_mov_b32 s5, exec_lo
	s_delay_alu instid0(VALU_DEP_2) | instskip(NEXT) | instid1(VALU_DEP_2)
	v_mul_lo_u32 v5, v5, s16
	v_mul_lo_u32 v6, v6, s18
	s_delay_alu instid0(VALU_DEP_1) | instskip(NEXT) | instid1(VALU_DEP_1)
	v_sub_nc_u32_e32 v5, v5, v6
	v_cmp_lt_u32_e32 vcc_lo, s20, v5
	v_cmpx_ge_u32_e64 s20, v5
; %bb.75:
	v_add_nc_u32_e32 v5, s22, v13
	v_add_nc_u32_e32 v6, s38, v13
	s_delay_alu instid0(VALU_DEP_2) | instskip(NEXT) | instid1(VALU_DEP_2)
	v_mul_lo_u32 v5, v5, s21
	v_mul_lo_u32 v6, v6, s23
	s_delay_alu instid0(VALU_DEP_1) | instskip(NEXT) | instid1(VALU_DEP_1)
	v_sub_nc_u32_e32 v5, v5, v6
	v_cmp_lt_u32_e64 s0, s39, v5
	s_delay_alu instid0(VALU_DEP_1)
	s_and_b32 s3, s0, exec_lo
; %bb.76:
	s_or_b32 exec_lo, exec_lo, s5
	v_cndmask_b32_e64 v54, 0, 1, vcc_lo
	v_cndmask_b32_e64 v52, 0, 1, s3
.LBB980_77:
	s_or_b32 exec_lo, exec_lo, s1
	v_add_nc_u32_e32 v5, 10, v33
	v_mov_b32_e32 v53, 0
	v_mov_b32_e32 v55, 0
	s_mov_b32 s3, 0
	s_mov_b32 s1, exec_lo
	v_cmpx_gt_u32_e64 s4, v5
	s_cbranch_execz .LBB980_81
; %bb.78:
	v_add_nc_u32_e32 v5, s17, v10
	v_add_nc_u32_e32 v6, s19, v10
	s_mov_b32 s5, exec_lo
	s_delay_alu instid0(VALU_DEP_2) | instskip(NEXT) | instid1(VALU_DEP_2)
	v_mul_lo_u32 v5, v5, s16
	v_mul_lo_u32 v6, v6, s18
	s_delay_alu instid0(VALU_DEP_1) | instskip(NEXT) | instid1(VALU_DEP_1)
	v_sub_nc_u32_e32 v5, v5, v6
	v_cmp_lt_u32_e32 vcc_lo, s20, v5
	v_cmpx_ge_u32_e64 s20, v5
; %bb.79:
	v_add_nc_u32_e32 v5, s22, v10
	v_add_nc_u32_e32 v6, s38, v10
	s_delay_alu instid0(VALU_DEP_2) | instskip(NEXT) | instid1(VALU_DEP_2)
	v_mul_lo_u32 v5, v5, s21
	v_mul_lo_u32 v6, v6, s23
	s_delay_alu instid0(VALU_DEP_1) | instskip(NEXT) | instid1(VALU_DEP_1)
	v_sub_nc_u32_e32 v5, v5, v6
	v_cmp_lt_u32_e64 s0, s39, v5
	s_delay_alu instid0(VALU_DEP_1)
	s_and_b32 s3, s0, exec_lo
; %bb.80:
	s_or_b32 exec_lo, exec_lo, s5
	v_cndmask_b32_e64 v55, 0, 1, vcc_lo
	v_cndmask_b32_e64 v53, 0, 1, s3
.LBB980_81:
	s_or_b32 exec_lo, exec_lo, s1
	v_dual_mov_b32 v56, 0 :: v_dual_add_nc_u32 v5, 11, v33
	v_mov_b32_e32 v57, 0
	s_mov_b32 s3, 0
	s_mov_b32 s1, exec_lo
	s_delay_alu instid0(VALU_DEP_2)
	v_cmpx_gt_u32_e64 s4, v5
	s_cbranch_execz .LBB980_85
; %bb.82:
	v_add_nc_u32_e32 v5, s17, v11
	v_add_nc_u32_e32 v6, s19, v11
	s_mov_b32 s5, exec_lo
	s_delay_alu instid0(VALU_DEP_2) | instskip(NEXT) | instid1(VALU_DEP_2)
	v_mul_lo_u32 v5, v5, s16
	v_mul_lo_u32 v6, v6, s18
	s_delay_alu instid0(VALU_DEP_1) | instskip(NEXT) | instid1(VALU_DEP_1)
	v_sub_nc_u32_e32 v5, v5, v6
	v_cmp_lt_u32_e32 vcc_lo, s20, v5
	v_cmpx_ge_u32_e64 s20, v5
; %bb.83:
	v_add_nc_u32_e32 v5, s22, v11
	v_add_nc_u32_e32 v6, s38, v11
	s_delay_alu instid0(VALU_DEP_2) | instskip(NEXT) | instid1(VALU_DEP_2)
	v_mul_lo_u32 v5, v5, s21
	v_mul_lo_u32 v6, v6, s23
	s_delay_alu instid0(VALU_DEP_1) | instskip(NEXT) | instid1(VALU_DEP_1)
	v_sub_nc_u32_e32 v5, v5, v6
	v_cmp_lt_u32_e64 s0, s39, v5
	s_delay_alu instid0(VALU_DEP_1)
	s_and_b32 s3, s0, exec_lo
; %bb.84:
	s_or_b32 exec_lo, exec_lo, s5
	v_cndmask_b32_e64 v56, 0, 1, vcc_lo
	v_cndmask_b32_e64 v57, 0, 1, s3
.LBB980_85:
	s_or_b32 exec_lo, exec_lo, s1
	v_add_nc_u32_e32 v5, 12, v33
	s_mov_b32 s27, 0
	s_mov_b32 s33, 0
	s_mov_b32 s0, exec_lo
	s_delay_alu instid0(VALU_DEP_1)
	v_cmpx_gt_u32_e64 s4, v5
	s_cbranch_execz .LBB980_89
; %bb.86:
	v_add_nc_u32_e32 v5, s17, v32
	v_add_nc_u32_e32 v6, s19, v32
	s_mov_b32 s3, -1
	s_mov_b32 s5, 0
	s_mov_b32 s1, exec_lo
	v_mul_lo_u32 v5, v5, s16
	v_mul_lo_u32 v6, v6, s18
	s_delay_alu instid0(VALU_DEP_1) | instskip(NEXT) | instid1(VALU_DEP_1)
	v_sub_nc_u32_e32 v5, v5, v6
	v_cmpx_ge_u32_e64 s20, v5
; %bb.87:
	v_add_nc_u32_e32 v5, s22, v32
	v_add_nc_u32_e32 v6, s38, v32
	s_xor_b32 s3, exec_lo, -1
	s_delay_alu instid0(VALU_DEP_2) | instskip(NEXT) | instid1(VALU_DEP_2)
	v_mul_lo_u32 v5, v5, s21
	v_mul_lo_u32 v6, v6, s23
	s_delay_alu instid0(VALU_DEP_1) | instskip(NEXT) | instid1(VALU_DEP_1)
	v_sub_nc_u32_e32 v5, v5, v6
	v_cmp_lt_u32_e32 vcc_lo, s39, v5
	s_and_b32 s5, vcc_lo, exec_lo
; %bb.88:
	s_or_b32 exec_lo, exec_lo, s1
	s_delay_alu instid0(SALU_CYCLE_1)
	s_and_b32 s33, s5, exec_lo
	s_and_b32 s27, s3, exec_lo
.LBB980_89:
	s_or_b32 exec_lo, exec_lo, s0
.LBB980_90:
	v_and_b32_e32 v80, 0xff, v34
	v_and_b32_e32 v81, 0xff, v35
	;; [unrolled: 1-line block ×10, first 2 shown]
	v_add3_u32 v5, v76, v78, v80
	v_add3_u32 v6, v77, v79, v81
	v_and_b32_e32 v70, 0xff, v45
	v_and_b32_e32 v71, 0xff, v44
	v_and_b32_e32 v64, 0xff, v47
	v_and_b32_e32 v65, 0xff, v46
	v_add3_u32 v5, v5, v74, v72
	v_add3_u32 v6, v6, v75, v73
	v_and_b32_e32 v68, 0xff, v49
	v_and_b32_e32 v69, 0xff, v48
	v_and_b32_e32 v66, 0xff, v51
	v_and_b32_e32 v67, 0xff, v50
	;; [unrolled: 6-line block ×3, first 2 shown]
	v_add3_u32 v5, v5, v68, v66
	v_add3_u32 v6, v6, v69, v67
	v_mbcnt_lo_u32_b32 v82, -1, 0
	v_and_b32_e32 v58, 0xff, v56
	v_and_b32_e32 v59, 0xff, v57
	v_cndmask_b32_e64 v7, 0, 1, s33
	v_add3_u32 v5, v5, v61, v60
	v_cndmask_b32_e64 v8, 0, 1, s27
	v_add3_u32 v6, v6, v62, v63
	v_and_b32_e32 v86, 15, v82
	v_and_b32_e32 v85, 16, v82
	v_lshrrev_b32_e32 v83, 5, v0
	v_add3_u32 v87, v5, v58, v8
	v_add3_u32 v88, v6, v59, v7
	v_cmp_eq_u32_e64 s1, 0, v86
	v_cmp_lt_u32_e64 s0, 1, v86
	v_cmp_lt_u32_e64 s3, 3, v86
	v_cmp_lt_u32_e32 vcc_lo, 7, v86
	v_or_b32_e32 v84, 31, v0
	s_cmp_lg_u32 s26, 0
	s_mov_b32 s5, -1
	s_cbranch_scc0 .LBB980_118
; %bb.91:
	v_mov_b32_dpp v5, v88 row_shr:1 row_mask:0xf bank_mask:0xf
	v_mov_b32_dpp v6, v87 row_shr:1 row_mask:0xf bank_mask:0xf
	s_delay_alu instid0(VALU_DEP_2) | instskip(NEXT) | instid1(VALU_DEP_2)
	v_add_nc_u32_e32 v5, v5, v88
	v_add_nc_u32_e32 v6, v6, v87
	s_delay_alu instid0(VALU_DEP_2) | instskip(NEXT) | instid1(VALU_DEP_2)
	v_cndmask_b32_e64 v5, v5, v88, s1
	v_cndmask_b32_e64 v6, v6, v87, s1
	s_delay_alu instid0(VALU_DEP_2) | instskip(NEXT) | instid1(VALU_DEP_2)
	v_mov_b32_dpp v7, v5 row_shr:2 row_mask:0xf bank_mask:0xf
	v_mov_b32_dpp v8, v6 row_shr:2 row_mask:0xf bank_mask:0xf
	s_delay_alu instid0(VALU_DEP_2) | instskip(NEXT) | instid1(VALU_DEP_1)
	v_add_nc_u32_e32 v7, v5, v7
	v_cndmask_b32_e64 v5, v5, v7, s0
	s_delay_alu instid0(VALU_DEP_1) | instskip(NEXT) | instid1(VALU_DEP_1)
	v_mov_b32_dpp v7, v5 row_shr:4 row_mask:0xf bank_mask:0xf
	v_add_nc_u32_e32 v7, v5, v7
	s_delay_alu instid0(VALU_DEP_1) | instskip(NEXT) | instid1(VALU_DEP_1)
	v_cndmask_b32_e64 v5, v5, v7, s3
	v_mov_b32_dpp v7, v5 row_shr:8 row_mask:0xf bank_mask:0xf
	s_delay_alu instid0(VALU_DEP_1) | instskip(NEXT) | instid1(VALU_DEP_1)
	v_add_nc_u32_e32 v7, v5, v7
	v_dual_cndmask_b32 v5, v5, v7 :: v_dual_add_nc_u32 v8, v6, v8
	s_delay_alu instid0(VALU_DEP_1) | instskip(NEXT) | instid1(VALU_DEP_1)
	v_cndmask_b32_e64 v6, v6, v8, s0
	v_mov_b32_dpp v8, v6 row_shr:4 row_mask:0xf bank_mask:0xf
	s_delay_alu instid0(VALU_DEP_1) | instskip(NEXT) | instid1(VALU_DEP_1)
	v_add_nc_u32_e32 v8, v6, v8
	v_cndmask_b32_e64 v6, v6, v8, s3
	s_mov_b32 s3, exec_lo
	s_delay_alu instid0(VALU_DEP_1) | instskip(NEXT) | instid1(VALU_DEP_1)
	v_mov_b32_dpp v8, v6 row_shr:8 row_mask:0xf bank_mask:0xf
	v_add_nc_u32_e32 v8, v6, v8
	s_delay_alu instid0(VALU_DEP_1)
	v_cndmask_b32_e32 v7, v6, v8, vcc_lo
	ds_swizzle_b32 v6, v5 offset:swizzle(BROADCAST,32,15)
	v_cmp_eq_u32_e32 vcc_lo, 0, v85
	s_waitcnt lgkmcnt(0)
	v_add_nc_u32_e32 v6, v5, v6
	ds_swizzle_b32 v8, v7 offset:swizzle(BROADCAST,32,15)
	v_cndmask_b32_e32 v6, v6, v5, vcc_lo
	s_waitcnt lgkmcnt(0)
	v_add_nc_u32_e32 v8, v7, v8
	s_delay_alu instid0(VALU_DEP_1)
	v_cndmask_b32_e32 v5, v8, v7, vcc_lo
	v_cmpx_eq_u32_e64 v84, v0
	s_cbranch_execz .LBB980_93
; %bb.92:
	v_lshlrev_b32_e32 v7, 3, v83
	ds_store_b64 v7, v[5:6]
.LBB980_93:
	s_or_b32 exec_lo, exec_lo, s3
	s_delay_alu instid0(SALU_CYCLE_1)
	s_mov_b32 s3, exec_lo
	s_waitcnt lgkmcnt(0)
	s_barrier
	buffer_gl0_inv
	v_cmpx_gt_u32_e32 8, v0
	s_cbranch_execz .LBB980_95
; %bb.94:
	v_lshlrev_b32_e32 v9, 3, v0
	ds_load_b64 v[7:8], v9
	s_waitcnt lgkmcnt(0)
	v_mov_b32_dpp v22, v7 row_shr:1 row_mask:0xf bank_mask:0xf
	v_mov_b32_dpp v23, v8 row_shr:1 row_mask:0xf bank_mask:0xf
	s_delay_alu instid0(VALU_DEP_2) | instskip(SKIP_1) | instid1(VALU_DEP_3)
	v_add_nc_u32_e32 v22, v22, v7
	v_and_b32_e32 v24, 7, v82
	v_add_nc_u32_e32 v23, v23, v8
	s_delay_alu instid0(VALU_DEP_2) | instskip(NEXT) | instid1(VALU_DEP_2)
	v_cmp_eq_u32_e32 vcc_lo, 0, v24
	v_dual_cndmask_b32 v8, v23, v8 :: v_dual_cndmask_b32 v7, v22, v7
	v_cmp_lt_u32_e32 vcc_lo, 1, v24
	s_delay_alu instid0(VALU_DEP_2) | instskip(NEXT) | instid1(VALU_DEP_3)
	v_mov_b32_dpp v23, v8 row_shr:2 row_mask:0xf bank_mask:0xf
	v_mov_b32_dpp v22, v7 row_shr:2 row_mask:0xf bank_mask:0xf
	s_delay_alu instid0(VALU_DEP_2) | instskip(NEXT) | instid1(VALU_DEP_2)
	v_add_nc_u32_e32 v23, v8, v23
	v_add_nc_u32_e32 v22, v7, v22
	s_delay_alu instid0(VALU_DEP_1) | instskip(SKIP_1) | instid1(VALU_DEP_2)
	v_dual_cndmask_b32 v8, v8, v23 :: v_dual_cndmask_b32 v7, v7, v22
	v_cmp_lt_u32_e32 vcc_lo, 3, v24
	v_mov_b32_dpp v23, v8 row_shr:4 row_mask:0xf bank_mask:0xf
	s_delay_alu instid0(VALU_DEP_3) | instskip(NEXT) | instid1(VALU_DEP_1)
	v_mov_b32_dpp v22, v7 row_shr:4 row_mask:0xf bank_mask:0xf
	v_dual_cndmask_b32 v23, 0, v23 :: v_dual_cndmask_b32 v22, 0, v22
	s_delay_alu instid0(VALU_DEP_1) | instskip(NEXT) | instid1(VALU_DEP_2)
	v_add_nc_u32_e32 v8, v23, v8
	v_add_nc_u32_e32 v7, v22, v7
	ds_store_b64 v9, v[7:8]
.LBB980_95:
	s_or_b32 exec_lo, exec_lo, s3
	v_cmp_gt_u32_e32 vcc_lo, 32, v0
	v_cmp_lt_u32_e64 s3, 31, v0
	s_waitcnt lgkmcnt(0)
	s_barrier
	buffer_gl0_inv
                                        ; implicit-def: $vgpr23
	s_and_saveexec_b32 s5, s3
	s_delay_alu instid0(SALU_CYCLE_1)
	s_xor_b32 s3, exec_lo, s5
	s_cbranch_execz .LBB980_97
; %bb.96:
	v_lshl_add_u32 v7, v83, 3, -8
	ds_load_b64 v[22:23], v7
	s_waitcnt lgkmcnt(0)
	v_add_nc_u32_e32 v6, v23, v6
	v_add_nc_u32_e32 v5, v22, v5
.LBB980_97:
	s_and_not1_saveexec_b32 s3, s3
; %bb.98:
                                        ; implicit-def: $vgpr22
; %bb.99:
	s_delay_alu instid0(SALU_CYCLE_1) | instskip(SKIP_1) | instid1(VALU_DEP_1)
	s_or_b32 exec_lo, exec_lo, s3
	v_add_nc_u32_e32 v7, -1, v82
	v_cmp_gt_i32_e64 s3, 0, v7
	s_delay_alu instid0(VALU_DEP_1) | instskip(SKIP_1) | instid1(VALU_DEP_2)
	v_cndmask_b32_e64 v7, v7, v82, s3
	v_cmp_eq_u32_e64 s3, 0, v82
	v_lshlrev_b32_e32 v7, 2, v7
	ds_bpermute_b32 v89, v7, v5
	ds_bpermute_b32 v90, v7, v6
	s_and_saveexec_b32 s5, vcc_lo
	s_cbranch_execz .LBB980_117
; %bb.100:
	v_mov_b32_e32 v8, 0
	ds_load_b64 v[5:6], v8 offset:56
	s_waitcnt lgkmcnt(0)
	v_readfirstlane_b32 s6, v6
	s_and_saveexec_b32 s7, s3
	s_cbranch_execz .LBB980_102
; %bb.101:
	s_add_i32 s8, s26, 32
	s_mov_b32 s9, 0
	v_mov_b32_e32 v7, 1
	s_lshl_b64 s[10:11], s[8:9], 4
	s_mov_b32 s16, s9
	s_add_u32 s10, s36, s10
	s_addc_u32 s11, s37, s11
	s_and_b32 s17, s6, 0xff000000
	s_and_b32 s19, s6, 0xff0000
	s_mov_b32 s18, s9
	v_dual_mov_b32 v25, s11 :: v_dual_mov_b32 v24, s10
	s_or_b64 s[16:17], s[18:19], s[16:17]
	s_and_b32 s19, s6, 0xff00
	s_delay_alu instid0(SALU_CYCLE_1) | instskip(SKIP_1) | instid1(SALU_CYCLE_1)
	s_or_b64 s[16:17], s[16:17], s[18:19]
	s_and_b32 s19, s6, 0xff
	s_or_b64 s[8:9], s[16:17], s[18:19]
	s_delay_alu instid0(SALU_CYCLE_1)
	v_mov_b32_e32 v6, s9
	;;#ASMSTART
	global_store_dwordx4 v[24:25], v[5:8] off	
s_waitcnt vmcnt(0)
	;;#ASMEND
.LBB980_102:
	s_or_b32 exec_lo, exec_lo, s7
	v_xad_u32 v24, v82, -1, s26
	s_mov_b32 s8, 0
	s_mov_b32 s7, exec_lo
	s_delay_alu instid0(VALU_DEP_1) | instskip(NEXT) | instid1(VALU_DEP_1)
	v_add_nc_u32_e32 v7, 32, v24
	v_lshlrev_b64 v[6:7], 4, v[7:8]
	s_delay_alu instid0(VALU_DEP_1) | instskip(NEXT) | instid1(VALU_DEP_2)
	v_add_co_u32 v25, vcc_lo, s36, v6
	v_add_co_ci_u32_e32 v26, vcc_lo, s37, v7, vcc_lo
	;;#ASMSTART
	global_load_dwordx4 v[6:9], v[25:26] off glc	
s_waitcnt vmcnt(0)
	;;#ASMEND
	v_and_b32_e32 v9, 0xff, v7
	v_and_b32_e32 v27, 0xff00, v7
	v_or3_b32 v6, v6, 0, 0
	v_and_b32_e32 v28, 0xff000000, v7
	v_and_b32_e32 v7, 0xff0000, v7
	s_delay_alu instid0(VALU_DEP_4) | instskip(SKIP_2) | instid1(VALU_DEP_3)
	v_or3_b32 v9, 0, v9, v27
	v_and_b32_e32 v27, 0xff, v8
	v_or3_b32 v6, v6, 0, 0
	v_or3_b32 v7, v9, v7, v28
	s_delay_alu instid0(VALU_DEP_3)
	v_cmpx_eq_u16_e32 0, v27
	s_cbranch_execz .LBB980_105
.LBB980_103:                            ; =>This Inner Loop Header: Depth=1
	;;#ASMSTART
	global_load_dwordx4 v[6:9], v[25:26] off glc	
s_waitcnt vmcnt(0)
	;;#ASMEND
	v_and_b32_e32 v9, 0xff, v8
	s_delay_alu instid0(VALU_DEP_1) | instskip(SKIP_1) | instid1(SALU_CYCLE_1)
	v_cmp_ne_u16_e32 vcc_lo, 0, v9
	s_or_b32 s8, vcc_lo, s8
	s_and_not1_b32 exec_lo, exec_lo, s8
	s_cbranch_execnz .LBB980_103
; %bb.104:
	s_or_b32 exec_lo, exec_lo, s8
.LBB980_105:
	s_delay_alu instid0(SALU_CYCLE_1) | instskip(SKIP_3) | instid1(VALU_DEP_1)
	s_or_b32 exec_lo, exec_lo, s7
	v_cmp_ne_u32_e32 vcc_lo, 31, v82
	v_lshlrev_b32_e64 v92, v82, -1
	v_add_co_ci_u32_e32 v9, vcc_lo, 0, v82, vcc_lo
	v_lshlrev_b32_e32 v91, 2, v9
	ds_bpermute_b32 v25, v91, v7
	ds_bpermute_b32 v9, v91, v6
	s_waitcnt lgkmcnt(1)
	v_add_nc_u32_e32 v25, v25, v7
	v_and_b32_e32 v26, 0xff, v8
	s_waitcnt lgkmcnt(0)
	v_add_nc_u32_e32 v9, v9, v6
	s_delay_alu instid0(VALU_DEP_2) | instskip(SKIP_2) | instid1(VALU_DEP_2)
	v_cmp_eq_u16_e32 vcc_lo, 2, v26
	v_and_or_b32 v26, vcc_lo, v92, 0x80000000
	v_cmp_gt_u32_e32 vcc_lo, 30, v82
	v_ctz_i32_b32_e32 v26, v26
	v_cndmask_b32_e64 v27, 0, 1, vcc_lo
	s_delay_alu instid0(VALU_DEP_2) | instskip(NEXT) | instid1(VALU_DEP_2)
	v_cmp_lt_u32_e32 vcc_lo, v82, v26
	v_dual_cndmask_b32 v6, v6, v9 :: v_dual_lshlrev_b32 v27, 1, v27
	s_delay_alu instid0(VALU_DEP_1)
	v_add_lshl_u32 v93, v27, v82, 2
	v_cndmask_b32_e32 v7, v7, v25, vcc_lo
	v_cmp_gt_u32_e32 vcc_lo, 28, v82
	ds_bpermute_b32 v9, v93, v6
	ds_bpermute_b32 v25, v93, v7
	v_cndmask_b32_e64 v27, 0, 1, vcc_lo
	s_waitcnt lgkmcnt(1)
	v_add_nc_u32_e32 v9, v6, v9
	s_waitcnt lgkmcnt(0)
	v_add_nc_u32_e32 v25, v7, v25
	v_add_nc_u32_e32 v94, 2, v82
	s_delay_alu instid0(VALU_DEP_1) | instskip(NEXT) | instid1(VALU_DEP_3)
	v_cmp_gt_u32_e32 vcc_lo, v94, v26
	v_cndmask_b32_e32 v7, v25, v7, vcc_lo
	v_dual_cndmask_b32 v6, v9, v6 :: v_dual_lshlrev_b32 v27, 2, v27
	v_cmp_gt_u32_e32 vcc_lo, 24, v82
	s_delay_alu instid0(VALU_DEP_2) | instskip(SKIP_4) | instid1(VALU_DEP_1)
	v_add_lshl_u32 v95, v27, v82, 2
	v_cndmask_b32_e64 v27, 0, 1, vcc_lo
	ds_bpermute_b32 v25, v95, v7
	ds_bpermute_b32 v9, v95, v6
	v_lshlrev_b32_e32 v27, 3, v27
	v_add_lshl_u32 v97, v27, v82, 2
	s_waitcnt lgkmcnt(1)
	v_add_nc_u32_e32 v25, v7, v25
	v_add_nc_u32_e32 v96, 4, v82
	s_waitcnt lgkmcnt(0)
	v_add_nc_u32_e32 v9, v6, v9
	s_delay_alu instid0(VALU_DEP_2) | instskip(SKIP_1) | instid1(VALU_DEP_3)
	v_cmp_gt_u32_e32 vcc_lo, v96, v26
	v_cndmask_b32_e32 v7, v25, v7, vcc_lo
	v_cndmask_b32_e32 v6, v9, v6, vcc_lo
	v_cmp_gt_u32_e32 vcc_lo, 16, v82
	ds_bpermute_b32 v25, v97, v7
	ds_bpermute_b32 v9, v97, v6
	v_cndmask_b32_e64 v27, 0, 1, vcc_lo
	s_delay_alu instid0(VALU_DEP_1) | instskip(NEXT) | instid1(VALU_DEP_1)
	v_lshlrev_b32_e32 v27, 4, v27
	v_add_lshl_u32 v99, v27, v82, 2
	s_waitcnt lgkmcnt(1)
	v_add_nc_u32_e32 v25, v7, v25
	v_add_nc_u32_e32 v98, 8, v82
	s_waitcnt lgkmcnt(0)
	v_add_nc_u32_e32 v9, v6, v9
	s_delay_alu instid0(VALU_DEP_2) | instskip(SKIP_1) | instid1(VALU_DEP_3)
	v_cmp_gt_u32_e32 vcc_lo, v98, v26
	v_cndmask_b32_e32 v7, v25, v7, vcc_lo
	v_cndmask_b32_e32 v6, v9, v6, vcc_lo
	ds_bpermute_b32 v25, v99, v7
	ds_bpermute_b32 v9, v99, v6
	v_add_nc_u32_e32 v100, 16, v82
	s_delay_alu instid0(VALU_DEP_1) | instskip(SKIP_2) | instid1(VALU_DEP_1)
	v_cmp_le_u32_e32 vcc_lo, v100, v26
	s_waitcnt lgkmcnt(0)
	v_cndmask_b32_e32 v9, 0, v9, vcc_lo
	v_dual_cndmask_b32 v25, 0, v25 :: v_dual_add_nc_u32 v6, v9, v6
	s_delay_alu instid0(VALU_DEP_1)
	v_add_nc_u32_e32 v7, v25, v7
	v_mov_b32_e32 v25, 0
	s_branch .LBB980_107
.LBB980_106:                            ;   in Loop: Header=BB980_107 Depth=1
	s_or_b32 exec_lo, exec_lo, s7
	ds_bpermute_b32 v9, v91, v6
	ds_bpermute_b32 v28, v91, v7
	v_subrev_nc_u32_e32 v24, 32, v24
	s_waitcnt lgkmcnt(1)
	v_add_nc_u32_e32 v9, v9, v6
	v_and_b32_e32 v29, 0xff, v8
	s_waitcnt lgkmcnt(0)
	v_add_nc_u32_e32 v28, v28, v7
	s_delay_alu instid0(VALU_DEP_2) | instskip(SKIP_1) | instid1(VALU_DEP_1)
	v_cmp_eq_u16_e32 vcc_lo, 2, v29
	v_and_or_b32 v29, vcc_lo, v92, 0x80000000
	v_ctz_i32_b32_e32 v29, v29
	s_delay_alu instid0(VALU_DEP_1)
	v_cmp_lt_u32_e32 vcc_lo, v82, v29
	v_cndmask_b32_e32 v6, v6, v9, vcc_lo
	ds_bpermute_b32 v9, v93, v6
	s_waitcnt lgkmcnt(0)
	v_add_nc_u32_e32 v9, v6, v9
	v_cndmask_b32_e32 v7, v7, v28, vcc_lo
	v_cmp_gt_u32_e32 vcc_lo, v94, v29
	s_delay_alu instid0(VALU_DEP_3)
	v_cndmask_b32_e32 v6, v9, v6, vcc_lo
	ds_bpermute_b32 v28, v93, v7
	ds_bpermute_b32 v9, v95, v6
	s_waitcnt lgkmcnt(1)
	v_add_nc_u32_e32 v28, v7, v28
	s_waitcnt lgkmcnt(0)
	v_add_nc_u32_e32 v9, v6, v9
	s_delay_alu instid0(VALU_DEP_2) | instskip(SKIP_1) | instid1(VALU_DEP_3)
	v_cndmask_b32_e32 v7, v28, v7, vcc_lo
	v_cmp_gt_u32_e32 vcc_lo, v96, v29
	v_cndmask_b32_e32 v6, v9, v6, vcc_lo
	ds_bpermute_b32 v28, v95, v7
	ds_bpermute_b32 v9, v97, v6
	s_waitcnt lgkmcnt(1)
	v_add_nc_u32_e32 v28, v7, v28
	s_waitcnt lgkmcnt(0)
	v_add_nc_u32_e32 v9, v6, v9
	s_delay_alu instid0(VALU_DEP_2) | instskip(SKIP_1) | instid1(VALU_DEP_3)
	v_cndmask_b32_e32 v7, v28, v7, vcc_lo
	v_cmp_gt_u32_e32 vcc_lo, v98, v29
	v_cndmask_b32_e32 v6, v9, v6, vcc_lo
	ds_bpermute_b32 v28, v97, v7
	ds_bpermute_b32 v9, v99, v6
	s_waitcnt lgkmcnt(1)
	v_add_nc_u32_e32 v28, v7, v28
	s_delay_alu instid0(VALU_DEP_1) | instskip(SKIP_4) | instid1(VALU_DEP_1)
	v_cndmask_b32_e32 v7, v28, v7, vcc_lo
	v_cmp_le_u32_e32 vcc_lo, v100, v29
	ds_bpermute_b32 v28, v99, v7
	s_waitcnt lgkmcnt(1)
	v_cndmask_b32_e32 v9, 0, v9, vcc_lo
	v_add3_u32 v6, v6, v26, v9
	s_waitcnt lgkmcnt(0)
	v_cndmask_b32_e32 v28, 0, v28, vcc_lo
	s_delay_alu instid0(VALU_DEP_1)
	v_add3_u32 v7, v7, v27, v28
.LBB980_107:                            ; =>This Loop Header: Depth=1
                                        ;     Child Loop BB980_110 Depth 2
	s_delay_alu instid0(VALU_DEP_1) | instskip(SKIP_1) | instid1(VALU_DEP_2)
	v_dual_mov_b32 v27, v7 :: v_dual_and_b32 v8, 0xff, v8
	v_mov_b32_e32 v26, v6
	v_cmp_ne_u16_e32 vcc_lo, 2, v8
	v_cndmask_b32_e64 v8, 0, 1, vcc_lo
	;;#ASMSTART
	;;#ASMEND
	s_delay_alu instid0(VALU_DEP_1)
	v_cmp_ne_u32_e32 vcc_lo, 0, v8
	s_cmp_lg_u32 vcc_lo, exec_lo
	s_cbranch_scc1 .LBB980_112
; %bb.108:                              ;   in Loop: Header=BB980_107 Depth=1
	v_lshlrev_b64 v[6:7], 4, v[24:25]
	s_mov_b32 s7, exec_lo
	s_delay_alu instid0(VALU_DEP_1) | instskip(NEXT) | instid1(VALU_DEP_2)
	v_add_co_u32 v28, vcc_lo, s36, v6
	v_add_co_ci_u32_e32 v29, vcc_lo, s37, v7, vcc_lo
	;;#ASMSTART
	global_load_dwordx4 v[6:9], v[28:29] off glc	
s_waitcnt vmcnt(0)
	;;#ASMEND
	v_and_b32_e32 v9, 0xff, v7
	v_and_b32_e32 v101, 0xff00, v7
	v_or3_b32 v6, v6, 0, 0
	v_and_b32_e32 v102, 0xff000000, v7
	v_and_b32_e32 v7, 0xff0000, v7
	s_delay_alu instid0(VALU_DEP_4) | instskip(SKIP_2) | instid1(VALU_DEP_3)
	v_or3_b32 v9, 0, v9, v101
	v_and_b32_e32 v101, 0xff, v8
	v_or3_b32 v6, v6, 0, 0
	v_or3_b32 v7, v9, v7, v102
	s_delay_alu instid0(VALU_DEP_3)
	v_cmpx_eq_u16_e32 0, v101
	s_cbranch_execz .LBB980_106
; %bb.109:                              ;   in Loop: Header=BB980_107 Depth=1
	s_mov_b32 s8, 0
.LBB980_110:                            ;   Parent Loop BB980_107 Depth=1
                                        ; =>  This Inner Loop Header: Depth=2
	;;#ASMSTART
	global_load_dwordx4 v[6:9], v[28:29] off glc	
s_waitcnt vmcnt(0)
	;;#ASMEND
	v_and_b32_e32 v9, 0xff, v8
	s_delay_alu instid0(VALU_DEP_1) | instskip(SKIP_1) | instid1(SALU_CYCLE_1)
	v_cmp_ne_u16_e32 vcc_lo, 0, v9
	s_or_b32 s8, vcc_lo, s8
	s_and_not1_b32 exec_lo, exec_lo, s8
	s_cbranch_execnz .LBB980_110
; %bb.111:                              ;   in Loop: Header=BB980_107 Depth=1
	s_or_b32 exec_lo, exec_lo, s8
	s_branch .LBB980_106
.LBB980_112:                            ;   in Loop: Header=BB980_107 Depth=1
                                        ; implicit-def: $vgpr8
                                        ; implicit-def: $vgpr6_vgpr7
	s_cbranch_execz .LBB980_107
; %bb.113:
	s_and_saveexec_b32 s7, s3
	s_cbranch_execnz .LBB980_356
; %bb.114:
	s_or_b32 exec_lo, exec_lo, s7
	s_and_saveexec_b32 s7, s3
	s_cbranch_execnz .LBB980_357
.LBB980_115:
	s_or_b32 exec_lo, exec_lo, s7
	s_delay_alu instid0(SALU_CYCLE_1)
	s_and_b32 exec_lo, exec_lo, s2
	s_cbranch_execz .LBB980_117
.LBB980_116:
	v_mov_b32_e32 v5, 0
	ds_store_b64 v5, v[26:27] offset:56
.LBB980_117:
	s_or_b32 exec_lo, exec_lo, s5
	s_waitcnt lgkmcnt(1)
	v_cndmask_b32_e64 v22, v89, v22, s3
	v_mov_b32_e32 v5, 0
	s_waitcnt lgkmcnt(0)
	s_barrier
	buffer_gl0_inv
	v_add_nc_u32_e64 v7, 0x3400, 0
	ds_load_b64 v[24:25], v5 offset:56
	s_waitcnt lgkmcnt(0)
	s_barrier
	buffer_gl0_inv
	ds_load_2addr_b32 v[5:6], v7 offset1:2
	ds_load_2addr_b32 v[7:8], v7 offset0:4 offset1:6
	v_cndmask_b32_e64 v9, v90, v23, s3
	v_add_nc_u32_e32 v22, v24, v22
	s_delay_alu instid0(VALU_DEP_2) | instskip(NEXT) | instid1(VALU_DEP_2)
	v_add_nc_u32_e32 v9, v25, v9
	v_cndmask_b32_e64 v22, v22, v24, s2
	s_delay_alu instid0(VALU_DEP_2)
	v_cndmask_b32_e64 v9, v9, v25, s2
	s_branch .LBB980_128
.LBB980_118:
                                        ; implicit-def: $vgpr9
                                        ; implicit-def: $vgpr7
                                        ; implicit-def: $vgpr5
                                        ; implicit-def: $vgpr22_vgpr23
	s_and_b32 vcc_lo, exec_lo, s5
	s_cbranch_vccz .LBB980_128
; %bb.119:
	s_waitcnt lgkmcnt(1)
	v_mov_b32_dpp v6, v88 row_shr:1 row_mask:0xf bank_mask:0xf
	v_cmp_lt_u32_e32 vcc_lo, 3, v86
	v_mov_b32_dpp v5, v87 row_shr:1 row_mask:0xf bank_mask:0xf
	s_delay_alu instid0(VALU_DEP_3) | instskip(NEXT) | instid1(VALU_DEP_1)
	v_add_nc_u32_e32 v6, v6, v88
	v_cndmask_b32_e64 v6, v6, v88, s1
	s_waitcnt lgkmcnt(0)
	s_delay_alu instid0(VALU_DEP_1) | instskip(NEXT) | instid1(VALU_DEP_1)
	v_mov_b32_dpp v8, v6 row_shr:2 row_mask:0xf bank_mask:0xf
	v_add_nc_u32_e32 v8, v6, v8
	s_delay_alu instid0(VALU_DEP_1) | instskip(NEXT) | instid1(VALU_DEP_1)
	v_cndmask_b32_e64 v6, v6, v8, s0
	v_mov_b32_dpp v8, v6 row_shr:4 row_mask:0xf bank_mask:0xf
	s_delay_alu instid0(VALU_DEP_1) | instskip(NEXT) | instid1(VALU_DEP_1)
	v_add_nc_u32_e32 v8, v6, v8
	v_dual_cndmask_b32 v6, v6, v8 :: v_dual_add_nc_u32 v5, v5, v87
	s_delay_alu instid0(VALU_DEP_1) | instskip(NEXT) | instid1(VALU_DEP_2)
	v_cndmask_b32_e64 v5, v5, v87, s1
	v_mov_b32_dpp v8, v6 row_shr:8 row_mask:0xf bank_mask:0xf
	s_delay_alu instid0(VALU_DEP_2) | instskip(NEXT) | instid1(VALU_DEP_2)
	v_mov_b32_dpp v7, v5 row_shr:2 row_mask:0xf bank_mask:0xf
	v_add_nc_u32_e32 v8, v6, v8
	s_delay_alu instid0(VALU_DEP_2) | instskip(NEXT) | instid1(VALU_DEP_1)
	v_add_nc_u32_e32 v7, v5, v7
	v_cndmask_b32_e64 v5, v5, v7, s0
	s_mov_b32 s0, exec_lo
	s_delay_alu instid0(VALU_DEP_1) | instskip(NEXT) | instid1(VALU_DEP_1)
	v_mov_b32_dpp v7, v5 row_shr:4 row_mask:0xf bank_mask:0xf
	v_add_nc_u32_e32 v7, v5, v7
	s_delay_alu instid0(VALU_DEP_1) | instskip(SKIP_1) | instid1(VALU_DEP_2)
	v_cndmask_b32_e32 v5, v5, v7, vcc_lo
	v_cmp_lt_u32_e32 vcc_lo, 7, v86
	v_mov_b32_dpp v7, v5 row_shr:8 row_mask:0xf bank_mask:0xf
	s_delay_alu instid0(VALU_DEP_1) | instskip(NEXT) | instid1(VALU_DEP_1)
	v_dual_cndmask_b32 v6, v6, v8 :: v_dual_add_nc_u32 v7, v5, v7
	v_cndmask_b32_e32 v5, v5, v7, vcc_lo
	ds_swizzle_b32 v7, v6 offset:swizzle(BROADCAST,32,15)
	v_cmp_eq_u32_e32 vcc_lo, 0, v85
	ds_swizzle_b32 v8, v5 offset:swizzle(BROADCAST,32,15)
	s_waitcnt lgkmcnt(1)
	v_add_nc_u32_e32 v7, v6, v7
	s_waitcnt lgkmcnt(0)
	v_add_nc_u32_e32 v8, v5, v8
	s_delay_alu instid0(VALU_DEP_1)
	v_dual_cndmask_b32 v6, v7, v6 :: v_dual_cndmask_b32 v5, v8, v5
	v_cmpx_eq_u32_e64 v84, v0
	s_cbranch_execz .LBB980_121
; %bb.120:
	v_lshlrev_b32_e32 v7, 3, v83
	ds_store_b64 v7, v[5:6]
.LBB980_121:
	s_or_b32 exec_lo, exec_lo, s0
	s_delay_alu instid0(SALU_CYCLE_1)
	s_mov_b32 s0, exec_lo
	s_waitcnt lgkmcnt(0)
	s_barrier
	buffer_gl0_inv
	v_cmpx_gt_u32_e32 8, v0
	s_cbranch_execz .LBB980_123
; %bb.122:
	v_lshlrev_b32_e32 v9, 3, v0
	ds_load_b64 v[7:8], v9
	s_waitcnt lgkmcnt(0)
	v_mov_b32_dpp v22, v7 row_shr:1 row_mask:0xf bank_mask:0xf
	v_mov_b32_dpp v23, v8 row_shr:1 row_mask:0xf bank_mask:0xf
	s_delay_alu instid0(VALU_DEP_2) | instskip(SKIP_1) | instid1(VALU_DEP_3)
	v_add_nc_u32_e32 v22, v22, v7
	v_and_b32_e32 v24, 7, v82
	v_add_nc_u32_e32 v23, v23, v8
	s_delay_alu instid0(VALU_DEP_2) | instskip(NEXT) | instid1(VALU_DEP_2)
	v_cmp_eq_u32_e32 vcc_lo, 0, v24
	v_dual_cndmask_b32 v8, v23, v8 :: v_dual_cndmask_b32 v7, v22, v7
	v_cmp_lt_u32_e32 vcc_lo, 1, v24
	s_delay_alu instid0(VALU_DEP_2) | instskip(NEXT) | instid1(VALU_DEP_3)
	v_mov_b32_dpp v23, v8 row_shr:2 row_mask:0xf bank_mask:0xf
	v_mov_b32_dpp v22, v7 row_shr:2 row_mask:0xf bank_mask:0xf
	s_delay_alu instid0(VALU_DEP_2) | instskip(NEXT) | instid1(VALU_DEP_2)
	v_add_nc_u32_e32 v23, v8, v23
	v_add_nc_u32_e32 v22, v7, v22
	s_delay_alu instid0(VALU_DEP_1) | instskip(SKIP_1) | instid1(VALU_DEP_2)
	v_dual_cndmask_b32 v8, v8, v23 :: v_dual_cndmask_b32 v7, v7, v22
	v_cmp_lt_u32_e32 vcc_lo, 3, v24
	v_mov_b32_dpp v23, v8 row_shr:4 row_mask:0xf bank_mask:0xf
	s_delay_alu instid0(VALU_DEP_3) | instskip(NEXT) | instid1(VALU_DEP_1)
	v_mov_b32_dpp v22, v7 row_shr:4 row_mask:0xf bank_mask:0xf
	v_dual_cndmask_b32 v23, 0, v23 :: v_dual_cndmask_b32 v22, 0, v22
	s_delay_alu instid0(VALU_DEP_1) | instskip(NEXT) | instid1(VALU_DEP_2)
	v_add_nc_u32_e32 v8, v23, v8
	v_add_nc_u32_e32 v7, v22, v7
	ds_store_b64 v9, v[7:8]
.LBB980_123:
	s_or_b32 exec_lo, exec_lo, s0
	v_dual_mov_b32 v7, 0 :: v_dual_mov_b32 v22, 0
	v_mov_b32_e32 v23, 0
	s_mov_b32 s0, exec_lo
	s_waitcnt lgkmcnt(0)
	s_barrier
	buffer_gl0_inv
	v_cmpx_lt_u32_e32 31, v0
	s_cbranch_execz .LBB980_125
; %bb.124:
	v_lshl_add_u32 v8, v83, 3, -8
	ds_load_b64 v[22:23], v8
.LBB980_125:
	s_or_b32 exec_lo, exec_lo, s0
	v_add_nc_u32_e32 v8, -1, v82
	s_waitcnt lgkmcnt(0)
	v_add_nc_u32_e32 v24, v23, v6
	v_add_nc_u32_e32 v9, v22, v5
	ds_load_b64 v[5:6], v7 offset:56
	v_cmp_gt_i32_e32 vcc_lo, 0, v8
	v_cndmask_b32_e32 v8, v8, v82, vcc_lo
	s_delay_alu instid0(VALU_DEP_1)
	v_lshlrev_b32_e32 v8, 2, v8
	ds_bpermute_b32 v9, v8, v9
	ds_bpermute_b32 v24, v8, v24
	s_waitcnt lgkmcnt(2)
	v_readfirstlane_b32 s0, v6
	s_and_saveexec_b32 s1, s2
	s_cbranch_execz .LBB980_127
; %bb.126:
	s_mov_b32 s8, 0
	s_add_u32 s6, s36, 0x200
	s_addc_u32 s7, s37, 0
	s_and_b32 s9, s0, 0xff000000
	s_and_b32 s11, s0, 0xff0000
	s_mov_b32 s10, s8
	v_mov_b32_e32 v26, s7
	s_or_b64 s[10:11], s[10:11], s[8:9]
	s_and_b32 s9, s0, 0xff00
	v_dual_mov_b32 v8, 0 :: v_dual_mov_b32 v25, s6
	s_or_b64 s[10:11], s[10:11], s[8:9]
	s_and_b32 s9, s0, 0xff
	v_mov_b32_e32 v7, 2
	s_or_b64 s[8:9], s[10:11], s[8:9]
	s_delay_alu instid0(SALU_CYCLE_1)
	v_mov_b32_e32 v6, s9
	;;#ASMSTART
	global_store_dwordx4 v[25:26], v[5:8] off	
s_waitcnt vmcnt(0)
	;;#ASMEND
.LBB980_127:
	s_or_b32 exec_lo, exec_lo, s1
	v_cmp_eq_u32_e32 vcc_lo, 0, v82
	v_dual_mov_b32 v7, 0 :: v_dual_mov_b32 v6, s0
	s_waitcnt lgkmcnt(0)
	s_barrier
	v_dual_cndmask_b32 v8, v9, v22 :: v_dual_cndmask_b32 v9, v24, v23
	buffer_gl0_inv
	v_cndmask_b32_e64 v22, v8, 0, s2
	v_cndmask_b32_e64 v9, v9, 0, s2
	v_mov_b32_e32 v8, 0
.LBB980_128:
	s_delay_alu instid0(VALU_DEP_1) | instskip(SKIP_1) | instid1(VALU_DEP_2)
	v_add_nc_u32_e32 v24, v9, v81
	s_waitcnt lgkmcnt(0)
	v_sub_nc_u32_e32 v9, v9, v8
	v_add_co_u32 v1, vcc_lo, v1, v7
	v_and_b32_e32 v35, 1, v35
	v_add_nc_u32_e32 v26, v24, v77
	v_sub_nc_u32_e32 v24, v24, v8
	v_lshlrev_b32_e32 v77, 1, v5
	v_add_nc_u32_e32 v9, v9, v5
	v_add_co_ci_u32_e32 v2, vcc_lo, 0, v2, vcc_lo
	v_add_nc_u32_e32 v28, v26, v79
	s_delay_alu instid0(VALU_DEP_4)
	v_add3_u32 v33, v77, v6, v33
	v_and_b32_e32 v40, 1, v40
	v_and_b32_e32 v37, 1, v37
	;; [unrolled: 1-line block ×3, first 2 shown]
	v_add_nc_u32_e32 v29, v28, v75
	v_sub_nc_u32_e32 v28, v28, v8
	v_sub_co_u32 v75, vcc_lo, v3, v5
	s_add_u32 s1, s14, -4
	s_delay_alu instid0(VALU_DEP_3) | instskip(SKIP_4) | instid1(VALU_DEP_3)
	v_add_nc_u32_e32 v73, v29, v73
	v_sub_nc_u32_e32 v29, v29, v8
	v_add_nc_u32_e32 v28, v28, v5
	v_add_nc_u32_e32 v24, v24, v5
	s_mov_b32 s3, -1
	v_add_nc_u32_e32 v29, v29, v5
	v_add_nc_u32_e32 v23, v22, v80
	v_sub_nc_u32_e32 v22, v22, v7
	s_delay_alu instid0(VALU_DEP_2) | instskip(SKIP_3) | instid1(VALU_DEP_3)
	v_add_nc_u32_e32 v25, v23, v76
	v_sub_nc_u32_e32 v23, v23, v7
	v_subrev_co_ci_u32_e32 v76, vcc_lo, 0, v4, vcc_lo
	v_cmp_eq_u32_e32 vcc_lo, 1, v35
	v_add_nc_u32_e32 v79, v24, v23
	s_delay_alu instid0(VALU_DEP_1) | instskip(NEXT) | instid1(VALU_DEP_1)
	v_sub_nc_u32_e32 v79, v33, v79
	v_add_nc_u32_e32 v79, 1, v79
	v_add_nc_u32_e32 v27, v25, v78
	;; [unrolled: 1-line block ×3, first 2 shown]
	s_delay_alu instid0(VALU_DEP_1) | instskip(NEXT) | instid1(VALU_DEP_1)
	v_sub_nc_u32_e32 v78, v33, v78
	v_dual_cndmask_b32 v9, v78, v9 :: v_dual_and_b32 v34, 1, v34
	v_cmp_eq_u32_e32 vcc_lo, 1, v40
	v_cndmask_b32_e32 v24, v79, v24, vcc_lo
	s_delay_alu instid0(VALU_DEP_3) | instskip(NEXT) | instid1(VALU_DEP_4)
	v_cmp_eq_u32_e32 vcc_lo, 1, v34
	v_cndmask_b32_e32 v9, v9, v22, vcc_lo
	v_sub_nc_u32_e32 v26, v26, v8
	v_cmp_eq_u32_e32 vcc_lo, 1, v37
	v_and_b32_e32 v37, 1, v38
	s_delay_alu instid0(VALU_DEP_4) | instskip(NEXT) | instid1(VALU_DEP_4)
	v_lshlrev_b32_e32 v9, 2, v9
	v_add_nc_u32_e32 v26, v26, v5
	v_cndmask_b32_e32 v24, v24, v23, vcc_lo
	v_sub_nc_u32_e32 v25, v25, v7
	v_add_co_u32 v22, vcc_lo, v75, v8
	v_add_co_ci_u32_e32 v23, vcc_lo, 0, v76, vcc_lo
	s_delay_alu instid0(VALU_DEP_3)
	v_add_nc_u32_e32 v34, v26, v25
	v_cmp_eq_u32_e32 vcc_lo, 1, v37
	v_lshlrev_b32_e32 v24, 2, v24
	ds_store_b32 v9, v20
	v_sub_nc_u32_e32 v34, v33, v34
	ds_store_b32 v24, v21
	v_and_b32_e32 v24, 1, v39
	v_add_nc_u32_e32 v34, 2, v34
	s_delay_alu instid0(VALU_DEP_1) | instskip(SKIP_3) | instid1(VALU_DEP_4)
	v_cndmask_b32_e32 v26, v34, v26, vcc_lo
	v_cmp_eq_u32_e32 vcc_lo, 1, v36
	v_add_nc_u32_e32 v74, v27, v74
	v_sub_nc_u32_e32 v27, v27, v7
	v_cndmask_b32_e32 v25, v26, v25, vcc_lo
	s_delay_alu instid0(VALU_DEP_3) | instskip(NEXT) | instid1(VALU_DEP_3)
	v_sub_nc_u32_e32 v37, v74, v7
	v_add_nc_u32_e32 v34, v27, v28
	v_cmp_eq_u32_e32 vcc_lo, 1, v24
	v_sub_nc_u32_e32 v26, v73, v8
	v_lshlrev_b32_e32 v21, 2, v25
	v_and_b32_e32 v25, 1, v41
	v_sub_nc_u32_e32 v9, v33, v34
	v_add_nc_u32_e32 v20, v37, v29
	v_and_b32_e32 v24, 1, v42
	v_add_nc_u32_e32 v26, v26, v5
	ds_store_b32 v21, v18
	v_add_nc_u32_e32 v9, 3, v9
	v_sub_nc_u32_e32 v20, v33, v20
	s_delay_alu instid0(VALU_DEP_2) | instskip(SKIP_2) | instid1(VALU_DEP_4)
	v_cndmask_b32_e32 v9, v9, v28, vcc_lo
	v_cmp_eq_u32_e32 vcc_lo, 1, v25
	v_add_nc_u32_e32 v72, v74, v72
	v_add_nc_u32_e32 v20, 4, v20
	v_and_b32_e32 v25, 1, v43
	v_cndmask_b32_e32 v9, v9, v27, vcc_lo
	s_delay_alu instid0(VALU_DEP_4)
	v_sub_nc_u32_e32 v28, v72, v7
	v_cmp_eq_u32_e32 vcc_lo, 1, v24
	v_and_b32_e32 v24, 1, v44
	v_add_nc_u32_e32 v70, v72, v70
	v_lshlrev_b32_e32 v9, 2, v9
	v_add_nc_u32_e32 v27, v28, v26
	v_cndmask_b32_e32 v20, v20, v29, vcc_lo
	v_cmp_eq_u32_e32 vcc_lo, 1, v25
	v_and_b32_e32 v25, 1, v45
	v_add_nc_u32_e32 v64, v70, v64
	v_sub_nc_u32_e32 v18, v33, v27
	v_sub_nc_u32_e32 v27, v70, v7
	v_cndmask_b32_e32 v20, v20, v37, vcc_lo
	v_cmp_eq_u32_e32 vcc_lo, 1, v24
	ds_store_b32 v9, v19
	v_add_nc_u32_e32 v18, 5, v18
	v_and_b32_e32 v19, 1, v46
	v_lshlrev_b32_e32 v20, 2, v20
	v_add_nc_u32_e32 v68, v64, v68
	s_delay_alu instid0(VALU_DEP_4)
	v_cndmask_b32_e32 v18, v18, v26, vcc_lo
	v_cmp_eq_u32_e32 vcc_lo, 1, v25
	v_sub_nc_u32_e32 v25, v64, v7
	ds_store_b32 v20, v16
	v_and_b32_e32 v20, 1, v49
	v_add_nc_u32_e32 v66, v68, v66
	v_dual_cndmask_b32 v18, v18, v28 :: v_dual_add_nc_u32 v71, v73, v71
	v_cmp_eq_u32_e32 vcc_lo, 1, v19
	v_and_b32_e32 v19, 1, v48
	s_delay_alu instid0(VALU_DEP_4) | instskip(NEXT) | instid1(VALU_DEP_4)
	v_add_nc_u32_e32 v61, v66, v61
	v_lshlrev_b32_e32 v18, 2, v18
	v_add_nc_u32_e32 v65, v71, v65
	v_sub_nc_u32_e32 v21, v71, v8
	s_delay_alu instid0(VALU_DEP_4)
	v_add_nc_u32_e32 v60, v61, v60
	ds_store_b32 v18, v17
	v_sub_nc_u32_e32 v24, v65, v8
	v_add_nc_u32_e32 v21, v21, v5
	v_add_nc_u32_e32 v69, v65, v69
	v_and_b32_e32 v17, 1, v47
	s_delay_alu instid0(VALU_DEP_4) | instskip(NEXT) | instid1(VALU_DEP_4)
	v_add_nc_u32_e32 v24, v24, v5
	v_add_nc_u32_e32 v26, v27, v21
	s_delay_alu instid0(VALU_DEP_4) | instskip(NEXT) | instid1(VALU_DEP_3)
	v_sub_nc_u32_e32 v18, v69, v8
	v_add_nc_u32_e32 v16, v25, v24
	s_delay_alu instid0(VALU_DEP_3) | instskip(NEXT) | instid1(VALU_DEP_3)
	v_sub_nc_u32_e32 v9, v33, v26
	v_add_nc_u32_e32 v18, v18, v5
	v_sub_nc_u32_e32 v26, v60, v7
	s_delay_alu instid0(VALU_DEP_4) | instskip(NEXT) | instid1(VALU_DEP_4)
	v_sub_nc_u32_e32 v16, v33, v16
	v_add_nc_u32_e32 v9, 6, v9
	s_delay_alu instid0(VALU_DEP_1) | instskip(SKIP_2) | instid1(VALU_DEP_3)
	v_dual_cndmask_b32 v9, v9, v21 :: v_dual_add_nc_u32 v16, 7, v16
	v_cmp_eq_u32_e32 vcc_lo, 1, v19
	v_sub_nc_u32_e32 v21, v68, v7
	v_cndmask_b32_e32 v16, v16, v24, vcc_lo
	v_cmp_eq_u32_e32 vcc_lo, 1, v17
	s_delay_alu instid0(VALU_DEP_3) | instskip(SKIP_3) | instid1(VALU_DEP_4)
	v_add_nc_u32_e32 v17, v21, v18
	v_cndmask_b32_e32 v9, v9, v27, vcc_lo
	v_cmp_eq_u32_e32 vcc_lo, 1, v20
	v_add_nc_u32_e32 v67, v69, v67
	v_sub_nc_u32_e32 v17, v33, v17
	v_sub_nc_u32_e32 v20, v66, v7
	v_lshlrev_b32_e32 v9, 2, v9
	v_cndmask_b32_e32 v16, v16, v25, vcc_lo
	v_sub_nc_u32_e32 v19, v67, v8
	v_add_nc_u32_e32 v62, v67, v62
	v_sub_nc_u32_e32 v25, v61, v7
	ds_store_b32 v9, v14
	v_and_b32_e32 v9, 1, v50
	v_add_nc_u32_e32 v19, v19, v5
	v_add_nc_u32_e32 v14, 8, v17
	v_lshlrev_b32_e32 v16, 2, v16
	v_add_nc_u32_e32 v63, v62, v63
	v_cmp_eq_u32_e32 vcc_lo, 1, v9
	v_add_nc_u32_e32 v17, v20, v19
	ds_store_b32 v16, v15
	v_and_b32_e32 v15, 1, v51
	v_cndmask_b32_e32 v9, v14, v18, vcc_lo
	v_sub_nc_u32_e32 v14, v33, v17
	v_and_b32_e32 v18, 1, v52
	v_sub_nc_u32_e32 v17, v62, v8
	v_and_b32_e32 v16, 1, v54
	v_sub_nc_u32_e32 v24, v63, v8
	v_add_nc_u32_e32 v14, 9, v14
	v_cmp_eq_u32_e32 vcc_lo, 1, v18
	v_add_nc_u32_e32 v17, v17, v5
	v_add_nc_u32_e32 v35, v63, v59
	;; [unrolled: 1-line block ×3, first 2 shown]
	v_cndmask_b32_e32 v14, v14, v19, vcc_lo
	v_cmp_eq_u32_e32 vcc_lo, 1, v15
	v_add_nc_u32_e32 v15, v25, v17
	s_delay_alu instid0(VALU_DEP_4)
	v_add_nc_u32_e32 v18, v26, v24
	v_and_b32_e32 v19, 1, v55
	v_cndmask_b32_e32 v9, v9, v21, vcc_lo
	v_cmp_eq_u32_e32 vcc_lo, 1, v16
	v_sub_nc_u32_e32 v15, v33, v15
	v_sub_nc_u32_e32 v18, v33, v18
	v_and_b32_e32 v21, 1, v57
	v_sub_nc_u32_e32 v16, v35, v8
	v_cndmask_b32_e32 v14, v14, v20, vcc_lo
	v_and_b32_e32 v20, 1, v53
	v_add_nc_u32_e32 v15, 10, v15
	v_add_nc_u32_e32 v18, 11, v18
	v_add_nc_u32_e32 v16, v16, v5
	v_lshlrev_b32_e32 v9, 2, v9
	v_cmp_eq_u32_e32 vcc_lo, 1, v20
	v_dual_cndmask_b32 v15, v15, v17 :: v_dual_lshlrev_b32 v14, 2, v14
	v_cmp_eq_u32_e32 vcc_lo, 1, v21
	v_and_b32_e32 v17, 1, v56
	v_cndmask_b32_e32 v18, v18, v24, vcc_lo
	v_cmp_eq_u32_e32 vcc_lo, 1, v19
	v_cndmask_b32_e32 v15, v15, v25, vcc_lo
	s_delay_alu instid0(VALU_DEP_4) | instskip(NEXT) | instid1(VALU_DEP_2)
	v_cmp_eq_u32_e32 vcc_lo, 1, v17
	v_lshlrev_b32_e32 v15, 2, v15
	v_cndmask_b32_e32 v17, v18, v26, vcc_lo
	v_add_nc_u32_e32 v40, v60, v58
	s_delay_alu instid0(VALU_DEP_2) | instskip(NEXT) | instid1(VALU_DEP_2)
	v_lshlrev_b32_e32 v17, 2, v17
	v_sub_nc_u32_e32 v7, v40, v7
	ds_store_b32 v9, v12
	ds_store_b32 v14, v13
	;; [unrolled: 1-line block ×4, first 2 shown]
	v_add_co_u32 v9, s0, v6, v77
	s_delay_alu instid0(VALU_DEP_1) | instskip(SKIP_1) | instid1(VALU_DEP_3)
	v_add_co_ci_u32_e64 v10, null, 0, 0, s0
	v_add_nc_u32_e32 v27, v7, v16
	v_add_co_u32 v9, vcc_lo, v9, v22
	s_delay_alu instid0(VALU_DEP_3) | instskip(NEXT) | instid1(VALU_DEP_3)
	v_add_co_ci_u32_e32 v10, vcc_lo, v10, v23, vcc_lo
	v_sub_nc_u32_e32 v20, v33, v27
	v_add_co_u32 v11, s0, s34, v30
	s_delay_alu instid0(VALU_DEP_4) | instskip(NEXT) | instid1(VALU_DEP_3)
	v_add_co_u32 v9, vcc_lo, v9, v1
	v_add_nc_u32_e32 v18, 12, v20
	v_add_co_ci_u32_e64 v12, null, s35, 0, s0
	v_add_co_ci_u32_e32 v10, vcc_lo, v10, v2, vcc_lo
	s_delay_alu instid0(VALU_DEP_3) | instskip(SKIP_1) | instid1(VALU_DEP_2)
	v_cndmask_b32_e64 v16, v18, v16, s33
	v_add_nc_u32_e32 v14, v5, v6
	v_cndmask_b32_e64 v7, v16, v7, s27
	s_delay_alu instid0(VALU_DEP_1)
	v_lshlrev_b32_e32 v7, 2, v7
	ds_store_b32 v7, v32
	v_sub_co_u32 v7, vcc_lo, v11, v9
	v_sub_co_ci_u32_e32 v13, vcc_lo, v12, v10, vcc_lo
	v_lshlrev_b64 v[9:10], 2, v[22:23]
	v_lshlrev_b64 v[11:12], 2, v[1:2]
	s_waitcnt lgkmcnt(0)
	s_barrier
	buffer_gl0_inv
	v_add_co_u32 v9, vcc_lo, s30, v9
	v_add_co_ci_u32_e32 v10, vcc_lo, s31, v10, vcc_lo
	v_cmp_ne_u32_e32 vcc_lo, 1, v31
	v_add_co_u32 v11, s0, s28, v11
	s_delay_alu instid0(VALU_DEP_1)
	v_add_co_ci_u32_e64 v12, s0, s29, v12, s0
	s_addc_u32 s0, s15, -1
	s_cbranch_vccz .LBB980_132
; %bb.129:
	s_and_b32 vcc_lo, exec_lo, s3
	s_cbranch_vccnz .LBB980_237
.LBB980_130:
	s_and_b32 s0, s2, s13
	s_delay_alu instid0(SALU_CYCLE_1)
	s_and_saveexec_b32 s1, s0
	s_cbranch_execnz .LBB980_355
.LBB980_131:
	s_nop 0
	s_sendmsg sendmsg(MSG_DEALLOC_VGPRS)
	s_endpgm
.LBB980_132:
	s_mov_b32 s3, exec_lo
	v_cmpx_le_u32_e64 v5, v0
	s_xor_b32 s3, exec_lo, s3
	s_cbranch_execz .LBB980_138
; %bb.133:
	s_mov_b32 s5, exec_lo
	v_cmpx_le_u32_e64 v14, v0
	s_xor_b32 s5, exec_lo, s5
	s_cbranch_execz .LBB980_135
; %bb.134:
	v_lshlrev_b32_e32 v15, 2, v0
	ds_load_b32 v17, v15
	v_add_co_u32 v15, vcc_lo, v7, v0
	v_add_co_ci_u32_e32 v16, vcc_lo, 0, v13, vcc_lo
	s_delay_alu instid0(VALU_DEP_1) | instskip(NEXT) | instid1(VALU_DEP_1)
	v_lshlrev_b64 v[15:16], 2, v[15:16]
	v_sub_co_u32 v15, vcc_lo, s14, v15
	s_delay_alu instid0(VALU_DEP_2)
	v_sub_co_ci_u32_e32 v16, vcc_lo, s15, v16, vcc_lo
	s_waitcnt lgkmcnt(0)
	global_store_b32 v[15:16], v17, off offset:-4
.LBB980_135:
	s_and_not1_saveexec_b32 s5, s5
	s_cbranch_execz .LBB980_137
; %bb.136:
	v_lshlrev_b32_e32 v15, 2, v0
	v_readfirstlane_b32 s6, v9
	v_readfirstlane_b32 s7, v10
	ds_load_b32 v16, v15
	s_waitcnt lgkmcnt(0)
	global_store_b32 v15, v16, s[6:7]
.LBB980_137:
	s_or_b32 exec_lo, exec_lo, s5
.LBB980_138:
	s_and_not1_saveexec_b32 s3, s3
	s_cbranch_execz .LBB980_140
; %bb.139:
	v_lshlrev_b32_e32 v15, 2, v0
	v_readfirstlane_b32 s6, v11
	v_readfirstlane_b32 s7, v12
	ds_load_b32 v16, v15
	s_waitcnt lgkmcnt(0)
	global_store_b32 v15, v16, s[6:7]
.LBB980_140:
	s_or_b32 exec_lo, exec_lo, s3
	v_or_b32_e32 v15, 0x100, v0
	s_mov_b32 s3, exec_lo
	s_delay_alu instid0(VALU_DEP_1)
	v_cmpx_le_u32_e64 v5, v15
	s_xor_b32 s3, exec_lo, s3
	s_cbranch_execz .LBB980_146
; %bb.141:
	s_mov_b32 s5, exec_lo
	v_cmpx_le_u32_e64 v14, v15
	s_xor_b32 s5, exec_lo, s5
	s_cbranch_execz .LBB980_143
; %bb.142:
	v_lshlrev_b32_e32 v15, 2, v0
	ds_load_b32 v17, v15 offset:1024
	v_add_co_u32 v15, vcc_lo, v7, v0
	v_add_co_ci_u32_e32 v16, vcc_lo, 0, v13, vcc_lo
	s_delay_alu instid0(VALU_DEP_1) | instskip(NEXT) | instid1(VALU_DEP_1)
	v_lshlrev_b64 v[15:16], 2, v[15:16]
	v_sub_co_u32 v15, vcc_lo, s1, v15
	s_delay_alu instid0(VALU_DEP_2)
	v_sub_co_ci_u32_e32 v16, vcc_lo, s0, v16, vcc_lo
	s_waitcnt lgkmcnt(0)
	global_store_b32 v[15:16], v17, off offset:-1024
.LBB980_143:
	s_and_not1_saveexec_b32 s5, s5
	s_cbranch_execz .LBB980_145
; %bb.144:
	v_lshlrev_b32_e32 v15, 2, v0
	v_readfirstlane_b32 s6, v9
	v_readfirstlane_b32 s7, v10
	ds_load_b32 v16, v15 offset:1024
	s_waitcnt lgkmcnt(0)
	global_store_b32 v15, v16, s[6:7] offset:1024
.LBB980_145:
	s_or_b32 exec_lo, exec_lo, s5
.LBB980_146:
	s_and_not1_saveexec_b32 s3, s3
	s_cbranch_execz .LBB980_148
; %bb.147:
	v_lshlrev_b32_e32 v15, 2, v0
	v_readfirstlane_b32 s6, v11
	v_readfirstlane_b32 s7, v12
	ds_load_b32 v16, v15 offset:1024
	s_waitcnt lgkmcnt(0)
	global_store_b32 v15, v16, s[6:7] offset:1024
.LBB980_148:
	s_or_b32 exec_lo, exec_lo, s3
	v_or_b32_e32 v15, 0x200, v0
	s_mov_b32 s3, exec_lo
	s_delay_alu instid0(VALU_DEP_1)
	v_cmpx_le_u32_e64 v5, v15
	s_xor_b32 s3, exec_lo, s3
	s_cbranch_execz .LBB980_154
; %bb.149:
	s_mov_b32 s5, exec_lo
	v_cmpx_le_u32_e64 v14, v15
	s_xor_b32 s5, exec_lo, s5
	s_cbranch_execz .LBB980_151
; %bb.150:
	v_lshlrev_b32_e32 v15, 2, v0
	ds_load_b32 v17, v15 offset:2048
	v_add_co_u32 v15, vcc_lo, v7, v0
	v_add_co_ci_u32_e32 v16, vcc_lo, 0, v13, vcc_lo
	s_delay_alu instid0(VALU_DEP_1) | instskip(NEXT) | instid1(VALU_DEP_1)
	v_lshlrev_b64 v[15:16], 2, v[15:16]
	v_sub_co_u32 v15, vcc_lo, s1, v15
	s_delay_alu instid0(VALU_DEP_2)
	v_sub_co_ci_u32_e32 v16, vcc_lo, s0, v16, vcc_lo
	s_waitcnt lgkmcnt(0)
	global_store_b32 v[15:16], v17, off offset:-2048
.LBB980_151:
	s_and_not1_saveexec_b32 s5, s5
	s_cbranch_execz .LBB980_153
; %bb.152:
	v_lshlrev_b32_e32 v15, 2, v0
	v_readfirstlane_b32 s6, v9
	v_readfirstlane_b32 s7, v10
	ds_load_b32 v16, v15 offset:2048
	s_waitcnt lgkmcnt(0)
	global_store_b32 v15, v16, s[6:7] offset:2048
.LBB980_153:
	s_or_b32 exec_lo, exec_lo, s5
.LBB980_154:
	s_and_not1_saveexec_b32 s3, s3
	s_cbranch_execz .LBB980_156
; %bb.155:
	v_lshlrev_b32_e32 v15, 2, v0
	v_readfirstlane_b32 s6, v11
	v_readfirstlane_b32 s7, v12
	ds_load_b32 v16, v15 offset:2048
	s_waitcnt lgkmcnt(0)
	global_store_b32 v15, v16, s[6:7] offset:2048
.LBB980_156:
	;; [unrolled: 47-line block ×3, first 2 shown]
	s_or_b32 exec_lo, exec_lo, s3
	v_or_b32_e32 v15, 0x400, v0
	s_mov_b32 s3, exec_lo
	s_delay_alu instid0(VALU_DEP_1)
	v_cmpx_le_u32_e64 v5, v15
	s_xor_b32 s3, exec_lo, s3
	s_cbranch_execz .LBB980_170
; %bb.165:
	s_mov_b32 s5, exec_lo
	v_cmpx_le_u32_e64 v14, v15
	s_xor_b32 s5, exec_lo, s5
	s_cbranch_execz .LBB980_167
; %bb.166:
	v_lshlrev_b32_e32 v15, 2, v0
	ds_load_b32 v17, v15 offset:4096
	v_add_co_u32 v15, vcc_lo, v7, v0
	v_add_co_ci_u32_e32 v16, vcc_lo, 0, v13, vcc_lo
	s_delay_alu instid0(VALU_DEP_1) | instskip(NEXT) | instid1(VALU_DEP_1)
	v_lshlrev_b64 v[15:16], 2, v[15:16]
	v_sub_co_u32 v15, vcc_lo, s1, v15
	s_delay_alu instid0(VALU_DEP_2)
	v_sub_co_ci_u32_e32 v16, vcc_lo, s0, v16, vcc_lo
	s_waitcnt lgkmcnt(0)
	global_store_b32 v[15:16], v17, off offset:-4096
                                        ; implicit-def: $vgpr15
.LBB980_167:
	s_and_not1_saveexec_b32 s5, s5
	s_cbranch_execz .LBB980_169
; %bb.168:
	v_lshlrev_b32_e32 v16, 2, v0
	v_lshlrev_b32_e32 v15, 2, v15
	v_readfirstlane_b32 s6, v9
	v_readfirstlane_b32 s7, v10
	ds_load_b32 v16, v16 offset:4096
	s_waitcnt lgkmcnt(0)
	global_store_b32 v15, v16, s[6:7]
.LBB980_169:
	s_or_b32 exec_lo, exec_lo, s5
                                        ; implicit-def: $vgpr15
.LBB980_170:
	s_and_not1_saveexec_b32 s3, s3
	s_cbranch_execz .LBB980_172
; %bb.171:
	v_lshlrev_b32_e32 v16, 2, v0
	v_lshlrev_b32_e32 v15, 2, v15
	v_readfirstlane_b32 s6, v11
	v_readfirstlane_b32 s7, v12
	ds_load_b32 v16, v16 offset:4096
	s_waitcnt lgkmcnt(0)
	global_store_b32 v15, v16, s[6:7]
.LBB980_172:
	s_or_b32 exec_lo, exec_lo, s3
	v_or_b32_e32 v15, 0x500, v0
	s_mov_b32 s3, exec_lo
	s_delay_alu instid0(VALU_DEP_1)
	v_cmpx_le_u32_e64 v5, v15
	s_xor_b32 s3, exec_lo, s3
	s_cbranch_execz .LBB980_178
; %bb.173:
	s_mov_b32 s5, exec_lo
	v_cmpx_le_u32_e64 v14, v15
	s_xor_b32 s5, exec_lo, s5
	s_cbranch_execz .LBB980_175
; %bb.174:
	v_lshlrev_b32_e32 v16, 2, v0
	v_add_co_u32 v15, vcc_lo, v7, v15
	ds_load_b32 v17, v16 offset:5120
	v_add_co_ci_u32_e32 v16, vcc_lo, 0, v13, vcc_lo
	s_delay_alu instid0(VALU_DEP_1) | instskip(NEXT) | instid1(VALU_DEP_1)
	v_lshlrev_b64 v[15:16], 2, v[15:16]
	v_sub_co_u32 v15, vcc_lo, s1, v15
	s_delay_alu instid0(VALU_DEP_2)
	v_sub_co_ci_u32_e32 v16, vcc_lo, s0, v16, vcc_lo
	s_waitcnt lgkmcnt(0)
	global_store_b32 v[15:16], v17, off
                                        ; implicit-def: $vgpr15
.LBB980_175:
	s_and_not1_saveexec_b32 s5, s5
	s_cbranch_execz .LBB980_177
; %bb.176:
	v_lshlrev_b32_e32 v16, 2, v0
	v_lshlrev_b32_e32 v15, 2, v15
	v_readfirstlane_b32 s6, v9
	v_readfirstlane_b32 s7, v10
	ds_load_b32 v16, v16 offset:5120
	s_waitcnt lgkmcnt(0)
	global_store_b32 v15, v16, s[6:7]
.LBB980_177:
	s_or_b32 exec_lo, exec_lo, s5
                                        ; implicit-def: $vgpr15
.LBB980_178:
	s_and_not1_saveexec_b32 s3, s3
	s_cbranch_execz .LBB980_180
; %bb.179:
	v_lshlrev_b32_e32 v16, 2, v0
	v_lshlrev_b32_e32 v15, 2, v15
	v_readfirstlane_b32 s6, v11
	v_readfirstlane_b32 s7, v12
	ds_load_b32 v16, v16 offset:5120
	s_waitcnt lgkmcnt(0)
	global_store_b32 v15, v16, s[6:7]
.LBB980_180:
	s_or_b32 exec_lo, exec_lo, s3
	v_or_b32_e32 v15, 0x600, v0
	s_mov_b32 s3, exec_lo
	s_delay_alu instid0(VALU_DEP_1)
	v_cmpx_le_u32_e64 v5, v15
	s_xor_b32 s3, exec_lo, s3
	s_cbranch_execz .LBB980_186
; %bb.181:
	s_mov_b32 s5, exec_lo
	v_cmpx_le_u32_e64 v14, v15
	s_xor_b32 s5, exec_lo, s5
	s_cbranch_execz .LBB980_183
; %bb.182:
	v_lshlrev_b32_e32 v16, 2, v0
	v_add_co_u32 v15, vcc_lo, v7, v15
	ds_load_b32 v17, v16 offset:6144
	v_add_co_ci_u32_e32 v16, vcc_lo, 0, v13, vcc_lo
	s_delay_alu instid0(VALU_DEP_1) | instskip(NEXT) | instid1(VALU_DEP_1)
	v_lshlrev_b64 v[15:16], 2, v[15:16]
	v_sub_co_u32 v15, vcc_lo, s1, v15
	s_delay_alu instid0(VALU_DEP_2)
	v_sub_co_ci_u32_e32 v16, vcc_lo, s0, v16, vcc_lo
	s_waitcnt lgkmcnt(0)
	global_store_b32 v[15:16], v17, off
                                        ; implicit-def: $vgpr15
.LBB980_183:
	s_and_not1_saveexec_b32 s5, s5
	s_cbranch_execz .LBB980_185
; %bb.184:
	v_lshlrev_b32_e32 v16, 2, v0
	v_lshlrev_b32_e32 v15, 2, v15
	v_readfirstlane_b32 s6, v9
	v_readfirstlane_b32 s7, v10
	ds_load_b32 v16, v16 offset:6144
	s_waitcnt lgkmcnt(0)
	global_store_b32 v15, v16, s[6:7]
.LBB980_185:
	s_or_b32 exec_lo, exec_lo, s5
                                        ; implicit-def: $vgpr15
.LBB980_186:
	;; [unrolled: 51-line block ×8, first 2 shown]
	s_and_not1_saveexec_b32 s3, s3
	s_cbranch_execz .LBB980_236
; %bb.235:
	v_lshlrev_b32_e32 v16, 2, v0
	v_lshlrev_b32_e32 v15, 2, v15
	v_readfirstlane_b32 s6, v11
	v_readfirstlane_b32 s7, v12
	ds_load_b32 v16, v16 offset:12288
	s_waitcnt lgkmcnt(0)
	global_store_b32 v15, v16, s[6:7]
.LBB980_236:
	s_or_b32 exec_lo, exec_lo, s3
	s_branch .LBB980_130
.LBB980_237:
	s_mov_b32 s3, exec_lo
	v_cmpx_gt_u32_e64 s4, v0
	s_cbranch_execz .LBB980_246
; %bb.238:
	s_mov_b32 s5, exec_lo
	v_cmpx_le_u32_e64 v5, v0
	s_xor_b32 s5, exec_lo, s5
	s_cbranch_execz .LBB980_244
; %bb.239:
	s_mov_b32 s6, exec_lo
	v_cmpx_le_u32_e64 v14, v0
	s_xor_b32 s6, exec_lo, s6
	s_cbranch_execz .LBB980_241
; %bb.240:
	v_lshlrev_b32_e32 v15, 2, v0
	ds_load_b32 v17, v15
	v_add_co_u32 v15, vcc_lo, v7, v0
	v_add_co_ci_u32_e32 v16, vcc_lo, 0, v13, vcc_lo
	s_delay_alu instid0(VALU_DEP_1) | instskip(NEXT) | instid1(VALU_DEP_1)
	v_lshlrev_b64 v[15:16], 2, v[15:16]
	v_sub_co_u32 v15, vcc_lo, s14, v15
	s_delay_alu instid0(VALU_DEP_2)
	v_sub_co_ci_u32_e32 v16, vcc_lo, s15, v16, vcc_lo
	s_waitcnt lgkmcnt(0)
	global_store_b32 v[15:16], v17, off offset:-4
.LBB980_241:
	s_and_not1_saveexec_b32 s6, s6
	s_cbranch_execz .LBB980_243
; %bb.242:
	v_lshlrev_b32_e32 v15, 2, v0
	v_readfirstlane_b32 s8, v9
	v_readfirstlane_b32 s9, v10
	ds_load_b32 v16, v15
	s_waitcnt lgkmcnt(0)
	global_store_b32 v15, v16, s[8:9]
.LBB980_243:
	s_or_b32 exec_lo, exec_lo, s6
.LBB980_244:
	s_and_not1_saveexec_b32 s5, s5
	s_cbranch_execz .LBB980_246
; %bb.245:
	v_lshlrev_b32_e32 v15, 2, v0
	v_readfirstlane_b32 s6, v11
	v_readfirstlane_b32 s7, v12
	ds_load_b32 v16, v15
	s_waitcnt lgkmcnt(0)
	global_store_b32 v15, v16, s[6:7]
.LBB980_246:
	s_or_b32 exec_lo, exec_lo, s3
	v_or_b32_e32 v15, 0x100, v0
	s_mov_b32 s3, exec_lo
	s_delay_alu instid0(VALU_DEP_1)
	v_cmpx_gt_u32_e64 s4, v15
	s_cbranch_execz .LBB980_255
; %bb.247:
	s_mov_b32 s5, exec_lo
	v_cmpx_le_u32_e64 v5, v15
	s_xor_b32 s5, exec_lo, s5
	s_cbranch_execz .LBB980_253
; %bb.248:
	s_mov_b32 s6, exec_lo
	v_cmpx_le_u32_e64 v14, v15
	s_xor_b32 s6, exec_lo, s6
	s_cbranch_execz .LBB980_250
; %bb.249:
	v_lshlrev_b32_e32 v15, 2, v0
	ds_load_b32 v17, v15 offset:1024
	v_add_co_u32 v15, vcc_lo, v7, v0
	v_add_co_ci_u32_e32 v16, vcc_lo, 0, v13, vcc_lo
	s_delay_alu instid0(VALU_DEP_1) | instskip(NEXT) | instid1(VALU_DEP_1)
	v_lshlrev_b64 v[15:16], 2, v[15:16]
	v_sub_co_u32 v15, vcc_lo, s1, v15
	s_delay_alu instid0(VALU_DEP_2)
	v_sub_co_ci_u32_e32 v16, vcc_lo, s0, v16, vcc_lo
	s_waitcnt lgkmcnt(0)
	global_store_b32 v[15:16], v17, off offset:-1024
.LBB980_250:
	s_and_not1_saveexec_b32 s6, s6
	s_cbranch_execz .LBB980_252
; %bb.251:
	v_lshlrev_b32_e32 v15, 2, v0
	v_readfirstlane_b32 s8, v9
	v_readfirstlane_b32 s9, v10
	ds_load_b32 v16, v15 offset:1024
	s_waitcnt lgkmcnt(0)
	global_store_b32 v15, v16, s[8:9] offset:1024
.LBB980_252:
	s_or_b32 exec_lo, exec_lo, s6
.LBB980_253:
	s_and_not1_saveexec_b32 s5, s5
	s_cbranch_execz .LBB980_255
; %bb.254:
	v_lshlrev_b32_e32 v15, 2, v0
	v_readfirstlane_b32 s6, v11
	v_readfirstlane_b32 s7, v12
	ds_load_b32 v16, v15 offset:1024
	s_waitcnt lgkmcnt(0)
	global_store_b32 v15, v16, s[6:7] offset:1024
.LBB980_255:
	s_or_b32 exec_lo, exec_lo, s3
	v_or_b32_e32 v15, 0x200, v0
	s_mov_b32 s3, exec_lo
	s_delay_alu instid0(VALU_DEP_1)
	v_cmpx_gt_u32_e64 s4, v15
	s_cbranch_execz .LBB980_264
; %bb.256:
	s_mov_b32 s5, exec_lo
	v_cmpx_le_u32_e64 v5, v15
	s_xor_b32 s5, exec_lo, s5
	s_cbranch_execz .LBB980_262
; %bb.257:
	s_mov_b32 s6, exec_lo
	v_cmpx_le_u32_e64 v14, v15
	s_xor_b32 s6, exec_lo, s6
	s_cbranch_execz .LBB980_259
; %bb.258:
	v_lshlrev_b32_e32 v15, 2, v0
	ds_load_b32 v17, v15 offset:2048
	v_add_co_u32 v15, vcc_lo, v7, v0
	v_add_co_ci_u32_e32 v16, vcc_lo, 0, v13, vcc_lo
	s_delay_alu instid0(VALU_DEP_1) | instskip(NEXT) | instid1(VALU_DEP_1)
	v_lshlrev_b64 v[15:16], 2, v[15:16]
	v_sub_co_u32 v15, vcc_lo, s1, v15
	s_delay_alu instid0(VALU_DEP_2)
	v_sub_co_ci_u32_e32 v16, vcc_lo, s0, v16, vcc_lo
	s_waitcnt lgkmcnt(0)
	global_store_b32 v[15:16], v17, off offset:-2048
.LBB980_259:
	s_and_not1_saveexec_b32 s6, s6
	s_cbranch_execz .LBB980_261
; %bb.260:
	v_lshlrev_b32_e32 v15, 2, v0
	v_readfirstlane_b32 s8, v9
	v_readfirstlane_b32 s9, v10
	ds_load_b32 v16, v15 offset:2048
	s_waitcnt lgkmcnt(0)
	global_store_b32 v15, v16, s[8:9] offset:2048
.LBB980_261:
	s_or_b32 exec_lo, exec_lo, s6
.LBB980_262:
	s_and_not1_saveexec_b32 s5, s5
	s_cbranch_execz .LBB980_264
; %bb.263:
	v_lshlrev_b32_e32 v15, 2, v0
	v_readfirstlane_b32 s6, v11
	v_readfirstlane_b32 s7, v12
	ds_load_b32 v16, v15 offset:2048
	s_waitcnt lgkmcnt(0)
	global_store_b32 v15, v16, s[6:7] offset:2048
.LBB980_264:
	;; [unrolled: 51-line block ×3, first 2 shown]
	s_or_b32 exec_lo, exec_lo, s3
	v_or_b32_e32 v15, 0x400, v0
	s_mov_b32 s3, exec_lo
	s_delay_alu instid0(VALU_DEP_1)
	v_cmpx_gt_u32_e64 s4, v15
	s_cbranch_execz .LBB980_282
; %bb.274:
	s_mov_b32 s5, exec_lo
	v_cmpx_le_u32_e64 v5, v15
	s_xor_b32 s5, exec_lo, s5
	s_cbranch_execz .LBB980_280
; %bb.275:
	s_mov_b32 s6, exec_lo
	v_cmpx_le_u32_e64 v14, v15
	s_xor_b32 s6, exec_lo, s6
	s_cbranch_execz .LBB980_277
; %bb.276:
	v_lshlrev_b32_e32 v15, 2, v0
	ds_load_b32 v17, v15 offset:4096
	v_add_co_u32 v15, vcc_lo, v7, v0
	v_add_co_ci_u32_e32 v16, vcc_lo, 0, v13, vcc_lo
	s_delay_alu instid0(VALU_DEP_1) | instskip(NEXT) | instid1(VALU_DEP_1)
	v_lshlrev_b64 v[15:16], 2, v[15:16]
	v_sub_co_u32 v15, vcc_lo, s1, v15
	s_delay_alu instid0(VALU_DEP_2)
	v_sub_co_ci_u32_e32 v16, vcc_lo, s0, v16, vcc_lo
	s_waitcnt lgkmcnt(0)
	global_store_b32 v[15:16], v17, off offset:-4096
                                        ; implicit-def: $vgpr15
.LBB980_277:
	s_and_not1_saveexec_b32 s6, s6
	s_cbranch_execz .LBB980_279
; %bb.278:
	v_lshlrev_b32_e32 v16, 2, v0
	v_lshlrev_b32_e32 v15, 2, v15
	v_readfirstlane_b32 s8, v9
	v_readfirstlane_b32 s9, v10
	ds_load_b32 v16, v16 offset:4096
	s_waitcnt lgkmcnt(0)
	global_store_b32 v15, v16, s[8:9]
.LBB980_279:
	s_or_b32 exec_lo, exec_lo, s6
                                        ; implicit-def: $vgpr15
.LBB980_280:
	s_and_not1_saveexec_b32 s5, s5
	s_cbranch_execz .LBB980_282
; %bb.281:
	v_lshlrev_b32_e32 v16, 2, v0
	v_lshlrev_b32_e32 v15, 2, v15
	v_readfirstlane_b32 s6, v11
	v_readfirstlane_b32 s7, v12
	ds_load_b32 v16, v16 offset:4096
	s_waitcnt lgkmcnt(0)
	global_store_b32 v15, v16, s[6:7]
.LBB980_282:
	s_or_b32 exec_lo, exec_lo, s3
	v_or_b32_e32 v15, 0x500, v0
	s_mov_b32 s3, exec_lo
	s_delay_alu instid0(VALU_DEP_1)
	v_cmpx_gt_u32_e64 s4, v15
	s_cbranch_execz .LBB980_291
; %bb.283:
	s_mov_b32 s5, exec_lo
	v_cmpx_le_u32_e64 v5, v15
	s_xor_b32 s5, exec_lo, s5
	s_cbranch_execz .LBB980_289
; %bb.284:
	s_mov_b32 s6, exec_lo
	v_cmpx_le_u32_e64 v14, v15
	s_xor_b32 s6, exec_lo, s6
	s_cbranch_execz .LBB980_286
; %bb.285:
	v_lshlrev_b32_e32 v16, 2, v0
	v_add_co_u32 v15, vcc_lo, v7, v15
	ds_load_b32 v17, v16 offset:5120
	v_add_co_ci_u32_e32 v16, vcc_lo, 0, v13, vcc_lo
	s_delay_alu instid0(VALU_DEP_1) | instskip(NEXT) | instid1(VALU_DEP_1)
	v_lshlrev_b64 v[15:16], 2, v[15:16]
	v_sub_co_u32 v15, vcc_lo, s1, v15
	s_delay_alu instid0(VALU_DEP_2)
	v_sub_co_ci_u32_e32 v16, vcc_lo, s0, v16, vcc_lo
	s_waitcnt lgkmcnt(0)
	global_store_b32 v[15:16], v17, off
                                        ; implicit-def: $vgpr15
.LBB980_286:
	s_and_not1_saveexec_b32 s6, s6
	s_cbranch_execz .LBB980_288
; %bb.287:
	v_lshlrev_b32_e32 v16, 2, v0
	v_lshlrev_b32_e32 v15, 2, v15
	v_readfirstlane_b32 s8, v9
	v_readfirstlane_b32 s9, v10
	ds_load_b32 v16, v16 offset:5120
	s_waitcnt lgkmcnt(0)
	global_store_b32 v15, v16, s[8:9]
.LBB980_288:
	s_or_b32 exec_lo, exec_lo, s6
                                        ; implicit-def: $vgpr15
.LBB980_289:
	s_and_not1_saveexec_b32 s5, s5
	s_cbranch_execz .LBB980_291
; %bb.290:
	v_lshlrev_b32_e32 v16, 2, v0
	v_lshlrev_b32_e32 v15, 2, v15
	v_readfirstlane_b32 s6, v11
	v_readfirstlane_b32 s7, v12
	ds_load_b32 v16, v16 offset:5120
	s_waitcnt lgkmcnt(0)
	global_store_b32 v15, v16, s[6:7]
.LBB980_291:
	s_or_b32 exec_lo, exec_lo, s3
	v_or_b32_e32 v15, 0x600, v0
	s_mov_b32 s3, exec_lo
	s_delay_alu instid0(VALU_DEP_1)
	v_cmpx_gt_u32_e64 s4, v15
	s_cbranch_execz .LBB980_300
; %bb.292:
	s_mov_b32 s5, exec_lo
	v_cmpx_le_u32_e64 v5, v15
	s_xor_b32 s5, exec_lo, s5
	s_cbranch_execz .LBB980_298
; %bb.293:
	s_mov_b32 s6, exec_lo
	v_cmpx_le_u32_e64 v14, v15
	s_xor_b32 s6, exec_lo, s6
	s_cbranch_execz .LBB980_295
; %bb.294:
	v_lshlrev_b32_e32 v16, 2, v0
	v_add_co_u32 v15, vcc_lo, v7, v15
	ds_load_b32 v17, v16 offset:6144
	v_add_co_ci_u32_e32 v16, vcc_lo, 0, v13, vcc_lo
	s_delay_alu instid0(VALU_DEP_1) | instskip(NEXT) | instid1(VALU_DEP_1)
	v_lshlrev_b64 v[15:16], 2, v[15:16]
	v_sub_co_u32 v15, vcc_lo, s1, v15
	s_delay_alu instid0(VALU_DEP_2)
	v_sub_co_ci_u32_e32 v16, vcc_lo, s0, v16, vcc_lo
	s_waitcnt lgkmcnt(0)
	global_store_b32 v[15:16], v17, off
                                        ; implicit-def: $vgpr15
.LBB980_295:
	s_and_not1_saveexec_b32 s6, s6
	s_cbranch_execz .LBB980_297
; %bb.296:
	v_lshlrev_b32_e32 v16, 2, v0
	v_lshlrev_b32_e32 v15, 2, v15
	v_readfirstlane_b32 s8, v9
	v_readfirstlane_b32 s9, v10
	ds_load_b32 v16, v16 offset:6144
	s_waitcnt lgkmcnt(0)
	global_store_b32 v15, v16, s[8:9]
.LBB980_297:
	s_or_b32 exec_lo, exec_lo, s6
                                        ; implicit-def: $vgpr15
.LBB980_298:
	s_and_not1_saveexec_b32 s5, s5
	s_cbranch_execz .LBB980_300
; %bb.299:
	v_lshlrev_b32_e32 v16, 2, v0
	v_lshlrev_b32_e32 v15, 2, v15
	v_readfirstlane_b32 s6, v11
	v_readfirstlane_b32 s7, v12
	ds_load_b32 v16, v16 offset:6144
	s_waitcnt lgkmcnt(0)
	global_store_b32 v15, v16, s[6:7]
.LBB980_300:
	;; [unrolled: 55-line block ×7, first 2 shown]
	s_or_b32 exec_lo, exec_lo, s3
	v_or_b32_e32 v15, 0xc00, v0
	s_mov_b32 s3, exec_lo
	s_delay_alu instid0(VALU_DEP_1)
	v_cmpx_gt_u32_e64 s4, v15
	s_cbranch_execz .LBB980_354
; %bb.346:
	s_mov_b32 s4, exec_lo
	v_cmpx_le_u32_e64 v5, v15
	s_xor_b32 s4, exec_lo, s4
	s_cbranch_execz .LBB980_352
; %bb.347:
	s_mov_b32 s5, exec_lo
	v_cmpx_le_u32_e64 v14, v15
	s_xor_b32 s5, exec_lo, s5
	s_cbranch_execz .LBB980_349
; %bb.348:
	v_lshlrev_b32_e32 v0, 2, v0
	v_add_co_u32 v9, vcc_lo, v7, v15
	v_add_co_ci_u32_e32 v10, vcc_lo, 0, v13, vcc_lo
	ds_load_b32 v0, v0 offset:12288
                                        ; implicit-def: $vgpr15
	v_lshlrev_b64 v[9:10], 2, v[9:10]
	s_delay_alu instid0(VALU_DEP_1) | instskip(NEXT) | instid1(VALU_DEP_2)
	v_sub_co_u32 v9, vcc_lo, s1, v9
	v_sub_co_ci_u32_e32 v10, vcc_lo, s0, v10, vcc_lo
	s_waitcnt lgkmcnt(0)
	global_store_b32 v[9:10], v0, off
                                        ; implicit-def: $vgpr0
                                        ; implicit-def: $vgpr9_vgpr10
.LBB980_349:
	s_and_not1_saveexec_b32 s0, s5
	s_cbranch_execz .LBB980_351
; %bb.350:
	v_lshlrev_b32_e32 v0, 2, v0
	v_lshlrev_b32_e32 v7, 2, v15
	v_readfirstlane_b32 s6, v9
	v_readfirstlane_b32 s7, v10
	ds_load_b32 v0, v0 offset:12288
	s_waitcnt lgkmcnt(0)
	global_store_b32 v7, v0, s[6:7]
.LBB980_351:
	s_or_b32 exec_lo, exec_lo, s0
                                        ; implicit-def: $vgpr0
                                        ; implicit-def: $vgpr15
                                        ; implicit-def: $vgpr11_vgpr12
.LBB980_352:
	s_and_not1_saveexec_b32 s0, s4
	s_cbranch_execz .LBB980_354
; %bb.353:
	v_lshlrev_b32_e32 v0, 2, v0
	v_lshlrev_b32_e32 v7, 2, v15
	v_readfirstlane_b32 s0, v11
	v_readfirstlane_b32 s1, v12
	ds_load_b32 v0, v0 offset:12288
	s_waitcnt lgkmcnt(0)
	global_store_b32 v7, v0, s[0:1]
.LBB980_354:
	s_or_b32 exec_lo, exec_lo, s3
	s_and_b32 s0, s2, s13
	s_delay_alu instid0(SALU_CYCLE_1)
	s_and_saveexec_b32 s1, s0
	s_cbranch_execz .LBB980_131
.LBB980_355:
	v_add_co_u32 v3, vcc_lo, v3, v6
	v_add_co_ci_u32_e32 v4, vcc_lo, 0, v4, vcc_lo
	v_add_co_u32 v0, vcc_lo, v1, v5
	v_add_co_ci_u32_e32 v1, vcc_lo, 0, v2, vcc_lo
	s_delay_alu instid0(VALU_DEP_4)
	v_add_co_u32 v2, vcc_lo, v3, v8
	v_mov_b32_e32 v7, 0
	v_add_co_ci_u32_e32 v3, vcc_lo, 0, v4, vcc_lo
	global_store_b128 v7, v[0:3], s[24:25]
	s_nop 0
	s_sendmsg sendmsg(MSG_DEALLOC_VGPRS)
	s_endpgm
.LBB980_356:
	v_add_nc_u32_e32 v7, s6, v27
	s_add_i32 s8, s26, 32
	s_mov_b32 s9, 0
	v_dual_mov_b32 v9, 0 :: v_dual_add_nc_u32 v6, v26, v5
	s_lshl_b64 s[8:9], s[8:9], 4
	v_and_b32_e32 v24, 0xff0000, v7
	s_add_u32 s8, s36, s8
	s_addc_u32 s9, s37, s9
	v_and_b32_e32 v8, 0xff000000, v7
	s_delay_alu instid0(VALU_DEP_1) | instskip(SKIP_2) | instid1(VALU_DEP_1)
	v_or_b32_e32 v24, v24, v8
	v_dual_mov_b32 v8, 2 :: v_dual_and_b32 v25, 0xff00, v7
	v_and_b32_e32 v7, 0xff, v7
	v_or3_b32 v7, v24, v25, v7
	v_dual_mov_b32 v25, s9 :: v_dual_mov_b32 v24, s8
	;;#ASMSTART
	global_store_dwordx4 v[24:25], v[6:9] off	
s_waitcnt vmcnt(0)
	;;#ASMEND
	s_or_b32 exec_lo, exec_lo, s7
	s_and_saveexec_b32 s7, s3
	s_cbranch_execz .LBB980_115
.LBB980_357:
	v_mov_b32_e32 v6, s6
	v_add_nc_u32_e64 v7, 0x3400, 0
	ds_store_2addr_b32 v7, v5, v6 offset1:2
	ds_store_2addr_b32 v7, v26, v27 offset0:4 offset1:6
	s_or_b32 exec_lo, exec_lo, s7
	s_delay_alu instid0(SALU_CYCLE_1)
	s_and_b32 exec_lo, exec_lo, s2
	s_cbranch_execnz .LBB980_116
	s_branch .LBB980_117
	.section	.rodata,"a",@progbits
	.p2align	6, 0x0
	.amdhsa_kernel _ZN7rocprim17ROCPRIM_400000_NS6detail17trampoline_kernelINS0_13select_configILj256ELj13ELNS0_17block_load_methodE3ELS4_3ELS4_3ELNS0_20block_scan_algorithmE0ELj4294967295EEENS1_25partition_config_selectorILNS1_17partition_subalgoE4EjNS0_10empty_typeEbEEZZNS1_14partition_implILS8_4ELb0ES6_15HIP_vector_typeIjLj2EENS0_17counting_iteratorIjlEEPS9_SG_NS0_5tupleIJPjSI_NS0_16reverse_iteratorISI_EEEEENSH_IJSG_SG_SG_EEES9_SI_JZNS1_25segmented_radix_sort_implINS0_14default_configELb0EPKsPsPKlPlN2at6native12_GLOBAL__N_18offset_tEEE10hipError_tPvRmT1_PNSt15iterator_traitsIS12_E10value_typeET2_T3_PNS13_IS18_E10value_typeET4_jRbjT5_S1E_jjP12ihipStream_tbEUljE_ZNSN_ISO_Lb0ESQ_SR_ST_SU_SY_EESZ_S10_S11_S12_S16_S17_S18_S1B_S1C_jS1D_jS1E_S1E_jjS1G_bEUljE0_EEESZ_S10_S11_S18_S1C_S1E_T6_T7_T9_mT8_S1G_bDpT10_ENKUlT_T0_E_clISt17integral_constantIbLb0EES1T_IbLb1EEEEDaS1P_S1Q_EUlS1P_E_NS1_11comp_targetILNS1_3genE9ELNS1_11target_archE1100ELNS1_3gpuE3ELNS1_3repE0EEENS1_30default_config_static_selectorELNS0_4arch9wavefront6targetE0EEEvS12_
		.amdhsa_group_segment_fixed_size 13340
		.amdhsa_private_segment_fixed_size 0
		.amdhsa_kernarg_size 184
		.amdhsa_user_sgpr_count 15
		.amdhsa_user_sgpr_dispatch_ptr 0
		.amdhsa_user_sgpr_queue_ptr 0
		.amdhsa_user_sgpr_kernarg_segment_ptr 1
		.amdhsa_user_sgpr_dispatch_id 0
		.amdhsa_user_sgpr_private_segment_size 0
		.amdhsa_wavefront_size32 1
		.amdhsa_uses_dynamic_stack 0
		.amdhsa_enable_private_segment 0
		.amdhsa_system_sgpr_workgroup_id_x 1
		.amdhsa_system_sgpr_workgroup_id_y 0
		.amdhsa_system_sgpr_workgroup_id_z 0
		.amdhsa_system_sgpr_workgroup_info 0
		.amdhsa_system_vgpr_workitem_id 0
		.amdhsa_next_free_vgpr 103
		.amdhsa_next_free_sgpr 55
		.amdhsa_reserve_vcc 1
		.amdhsa_float_round_mode_32 0
		.amdhsa_float_round_mode_16_64 0
		.amdhsa_float_denorm_mode_32 3
		.amdhsa_float_denorm_mode_16_64 3
		.amdhsa_dx10_clamp 1
		.amdhsa_ieee_mode 1
		.amdhsa_fp16_overflow 0
		.amdhsa_workgroup_processor_mode 1
		.amdhsa_memory_ordered 1
		.amdhsa_forward_progress 0
		.amdhsa_shared_vgpr_count 0
		.amdhsa_exception_fp_ieee_invalid_op 0
		.amdhsa_exception_fp_denorm_src 0
		.amdhsa_exception_fp_ieee_div_zero 0
		.amdhsa_exception_fp_ieee_overflow 0
		.amdhsa_exception_fp_ieee_underflow 0
		.amdhsa_exception_fp_ieee_inexact 0
		.amdhsa_exception_int_div_zero 0
	.end_amdhsa_kernel
	.section	.text._ZN7rocprim17ROCPRIM_400000_NS6detail17trampoline_kernelINS0_13select_configILj256ELj13ELNS0_17block_load_methodE3ELS4_3ELS4_3ELNS0_20block_scan_algorithmE0ELj4294967295EEENS1_25partition_config_selectorILNS1_17partition_subalgoE4EjNS0_10empty_typeEbEEZZNS1_14partition_implILS8_4ELb0ES6_15HIP_vector_typeIjLj2EENS0_17counting_iteratorIjlEEPS9_SG_NS0_5tupleIJPjSI_NS0_16reverse_iteratorISI_EEEEENSH_IJSG_SG_SG_EEES9_SI_JZNS1_25segmented_radix_sort_implINS0_14default_configELb0EPKsPsPKlPlN2at6native12_GLOBAL__N_18offset_tEEE10hipError_tPvRmT1_PNSt15iterator_traitsIS12_E10value_typeET2_T3_PNS13_IS18_E10value_typeET4_jRbjT5_S1E_jjP12ihipStream_tbEUljE_ZNSN_ISO_Lb0ESQ_SR_ST_SU_SY_EESZ_S10_S11_S12_S16_S17_S18_S1B_S1C_jS1D_jS1E_S1E_jjS1G_bEUljE0_EEESZ_S10_S11_S18_S1C_S1E_T6_T7_T9_mT8_S1G_bDpT10_ENKUlT_T0_E_clISt17integral_constantIbLb0EES1T_IbLb1EEEEDaS1P_S1Q_EUlS1P_E_NS1_11comp_targetILNS1_3genE9ELNS1_11target_archE1100ELNS1_3gpuE3ELNS1_3repE0EEENS1_30default_config_static_selectorELNS0_4arch9wavefront6targetE0EEEvS12_,"axG",@progbits,_ZN7rocprim17ROCPRIM_400000_NS6detail17trampoline_kernelINS0_13select_configILj256ELj13ELNS0_17block_load_methodE3ELS4_3ELS4_3ELNS0_20block_scan_algorithmE0ELj4294967295EEENS1_25partition_config_selectorILNS1_17partition_subalgoE4EjNS0_10empty_typeEbEEZZNS1_14partition_implILS8_4ELb0ES6_15HIP_vector_typeIjLj2EENS0_17counting_iteratorIjlEEPS9_SG_NS0_5tupleIJPjSI_NS0_16reverse_iteratorISI_EEEEENSH_IJSG_SG_SG_EEES9_SI_JZNS1_25segmented_radix_sort_implINS0_14default_configELb0EPKsPsPKlPlN2at6native12_GLOBAL__N_18offset_tEEE10hipError_tPvRmT1_PNSt15iterator_traitsIS12_E10value_typeET2_T3_PNS13_IS18_E10value_typeET4_jRbjT5_S1E_jjP12ihipStream_tbEUljE_ZNSN_ISO_Lb0ESQ_SR_ST_SU_SY_EESZ_S10_S11_S12_S16_S17_S18_S1B_S1C_jS1D_jS1E_S1E_jjS1G_bEUljE0_EEESZ_S10_S11_S18_S1C_S1E_T6_T7_T9_mT8_S1G_bDpT10_ENKUlT_T0_E_clISt17integral_constantIbLb0EES1T_IbLb1EEEEDaS1P_S1Q_EUlS1P_E_NS1_11comp_targetILNS1_3genE9ELNS1_11target_archE1100ELNS1_3gpuE3ELNS1_3repE0EEENS1_30default_config_static_selectorELNS0_4arch9wavefront6targetE0EEEvS12_,comdat
.Lfunc_end980:
	.size	_ZN7rocprim17ROCPRIM_400000_NS6detail17trampoline_kernelINS0_13select_configILj256ELj13ELNS0_17block_load_methodE3ELS4_3ELS4_3ELNS0_20block_scan_algorithmE0ELj4294967295EEENS1_25partition_config_selectorILNS1_17partition_subalgoE4EjNS0_10empty_typeEbEEZZNS1_14partition_implILS8_4ELb0ES6_15HIP_vector_typeIjLj2EENS0_17counting_iteratorIjlEEPS9_SG_NS0_5tupleIJPjSI_NS0_16reverse_iteratorISI_EEEEENSH_IJSG_SG_SG_EEES9_SI_JZNS1_25segmented_radix_sort_implINS0_14default_configELb0EPKsPsPKlPlN2at6native12_GLOBAL__N_18offset_tEEE10hipError_tPvRmT1_PNSt15iterator_traitsIS12_E10value_typeET2_T3_PNS13_IS18_E10value_typeET4_jRbjT5_S1E_jjP12ihipStream_tbEUljE_ZNSN_ISO_Lb0ESQ_SR_ST_SU_SY_EESZ_S10_S11_S12_S16_S17_S18_S1B_S1C_jS1D_jS1E_S1E_jjS1G_bEUljE0_EEESZ_S10_S11_S18_S1C_S1E_T6_T7_T9_mT8_S1G_bDpT10_ENKUlT_T0_E_clISt17integral_constantIbLb0EES1T_IbLb1EEEEDaS1P_S1Q_EUlS1P_E_NS1_11comp_targetILNS1_3genE9ELNS1_11target_archE1100ELNS1_3gpuE3ELNS1_3repE0EEENS1_30default_config_static_selectorELNS0_4arch9wavefront6targetE0EEEvS12_, .Lfunc_end980-_ZN7rocprim17ROCPRIM_400000_NS6detail17trampoline_kernelINS0_13select_configILj256ELj13ELNS0_17block_load_methodE3ELS4_3ELS4_3ELNS0_20block_scan_algorithmE0ELj4294967295EEENS1_25partition_config_selectorILNS1_17partition_subalgoE4EjNS0_10empty_typeEbEEZZNS1_14partition_implILS8_4ELb0ES6_15HIP_vector_typeIjLj2EENS0_17counting_iteratorIjlEEPS9_SG_NS0_5tupleIJPjSI_NS0_16reverse_iteratorISI_EEEEENSH_IJSG_SG_SG_EEES9_SI_JZNS1_25segmented_radix_sort_implINS0_14default_configELb0EPKsPsPKlPlN2at6native12_GLOBAL__N_18offset_tEEE10hipError_tPvRmT1_PNSt15iterator_traitsIS12_E10value_typeET2_T3_PNS13_IS18_E10value_typeET4_jRbjT5_S1E_jjP12ihipStream_tbEUljE_ZNSN_ISO_Lb0ESQ_SR_ST_SU_SY_EESZ_S10_S11_S12_S16_S17_S18_S1B_S1C_jS1D_jS1E_S1E_jjS1G_bEUljE0_EEESZ_S10_S11_S18_S1C_S1E_T6_T7_T9_mT8_S1G_bDpT10_ENKUlT_T0_E_clISt17integral_constantIbLb0EES1T_IbLb1EEEEDaS1P_S1Q_EUlS1P_E_NS1_11comp_targetILNS1_3genE9ELNS1_11target_archE1100ELNS1_3gpuE3ELNS1_3repE0EEENS1_30default_config_static_selectorELNS0_4arch9wavefront6targetE0EEEvS12_
                                        ; -- End function
	.section	.AMDGPU.csdata,"",@progbits
; Kernel info:
; codeLenInByte = 15060
; NumSgprs: 57
; NumVgprs: 103
; ScratchSize: 0
; MemoryBound: 0
; FloatMode: 240
; IeeeMode: 1
; LDSByteSize: 13340 bytes/workgroup (compile time only)
; SGPRBlocks: 7
; VGPRBlocks: 12
; NumSGPRsForWavesPerEU: 57
; NumVGPRsForWavesPerEU: 103
; Occupancy: 12
; WaveLimiterHint : 1
; COMPUTE_PGM_RSRC2:SCRATCH_EN: 0
; COMPUTE_PGM_RSRC2:USER_SGPR: 15
; COMPUTE_PGM_RSRC2:TRAP_HANDLER: 0
; COMPUTE_PGM_RSRC2:TGID_X_EN: 1
; COMPUTE_PGM_RSRC2:TGID_Y_EN: 0
; COMPUTE_PGM_RSRC2:TGID_Z_EN: 0
; COMPUTE_PGM_RSRC2:TIDIG_COMP_CNT: 0
	.section	.text._ZN7rocprim17ROCPRIM_400000_NS6detail17trampoline_kernelINS0_13select_configILj256ELj13ELNS0_17block_load_methodE3ELS4_3ELS4_3ELNS0_20block_scan_algorithmE0ELj4294967295EEENS1_25partition_config_selectorILNS1_17partition_subalgoE4EjNS0_10empty_typeEbEEZZNS1_14partition_implILS8_4ELb0ES6_15HIP_vector_typeIjLj2EENS0_17counting_iteratorIjlEEPS9_SG_NS0_5tupleIJPjSI_NS0_16reverse_iteratorISI_EEEEENSH_IJSG_SG_SG_EEES9_SI_JZNS1_25segmented_radix_sort_implINS0_14default_configELb0EPKsPsPKlPlN2at6native12_GLOBAL__N_18offset_tEEE10hipError_tPvRmT1_PNSt15iterator_traitsIS12_E10value_typeET2_T3_PNS13_IS18_E10value_typeET4_jRbjT5_S1E_jjP12ihipStream_tbEUljE_ZNSN_ISO_Lb0ESQ_SR_ST_SU_SY_EESZ_S10_S11_S12_S16_S17_S18_S1B_S1C_jS1D_jS1E_S1E_jjS1G_bEUljE0_EEESZ_S10_S11_S18_S1C_S1E_T6_T7_T9_mT8_S1G_bDpT10_ENKUlT_T0_E_clISt17integral_constantIbLb0EES1T_IbLb1EEEEDaS1P_S1Q_EUlS1P_E_NS1_11comp_targetILNS1_3genE8ELNS1_11target_archE1030ELNS1_3gpuE2ELNS1_3repE0EEENS1_30default_config_static_selectorELNS0_4arch9wavefront6targetE0EEEvS12_,"axG",@progbits,_ZN7rocprim17ROCPRIM_400000_NS6detail17trampoline_kernelINS0_13select_configILj256ELj13ELNS0_17block_load_methodE3ELS4_3ELS4_3ELNS0_20block_scan_algorithmE0ELj4294967295EEENS1_25partition_config_selectorILNS1_17partition_subalgoE4EjNS0_10empty_typeEbEEZZNS1_14partition_implILS8_4ELb0ES6_15HIP_vector_typeIjLj2EENS0_17counting_iteratorIjlEEPS9_SG_NS0_5tupleIJPjSI_NS0_16reverse_iteratorISI_EEEEENSH_IJSG_SG_SG_EEES9_SI_JZNS1_25segmented_radix_sort_implINS0_14default_configELb0EPKsPsPKlPlN2at6native12_GLOBAL__N_18offset_tEEE10hipError_tPvRmT1_PNSt15iterator_traitsIS12_E10value_typeET2_T3_PNS13_IS18_E10value_typeET4_jRbjT5_S1E_jjP12ihipStream_tbEUljE_ZNSN_ISO_Lb0ESQ_SR_ST_SU_SY_EESZ_S10_S11_S12_S16_S17_S18_S1B_S1C_jS1D_jS1E_S1E_jjS1G_bEUljE0_EEESZ_S10_S11_S18_S1C_S1E_T6_T7_T9_mT8_S1G_bDpT10_ENKUlT_T0_E_clISt17integral_constantIbLb0EES1T_IbLb1EEEEDaS1P_S1Q_EUlS1P_E_NS1_11comp_targetILNS1_3genE8ELNS1_11target_archE1030ELNS1_3gpuE2ELNS1_3repE0EEENS1_30default_config_static_selectorELNS0_4arch9wavefront6targetE0EEEvS12_,comdat
	.globl	_ZN7rocprim17ROCPRIM_400000_NS6detail17trampoline_kernelINS0_13select_configILj256ELj13ELNS0_17block_load_methodE3ELS4_3ELS4_3ELNS0_20block_scan_algorithmE0ELj4294967295EEENS1_25partition_config_selectorILNS1_17partition_subalgoE4EjNS0_10empty_typeEbEEZZNS1_14partition_implILS8_4ELb0ES6_15HIP_vector_typeIjLj2EENS0_17counting_iteratorIjlEEPS9_SG_NS0_5tupleIJPjSI_NS0_16reverse_iteratorISI_EEEEENSH_IJSG_SG_SG_EEES9_SI_JZNS1_25segmented_radix_sort_implINS0_14default_configELb0EPKsPsPKlPlN2at6native12_GLOBAL__N_18offset_tEEE10hipError_tPvRmT1_PNSt15iterator_traitsIS12_E10value_typeET2_T3_PNS13_IS18_E10value_typeET4_jRbjT5_S1E_jjP12ihipStream_tbEUljE_ZNSN_ISO_Lb0ESQ_SR_ST_SU_SY_EESZ_S10_S11_S12_S16_S17_S18_S1B_S1C_jS1D_jS1E_S1E_jjS1G_bEUljE0_EEESZ_S10_S11_S18_S1C_S1E_T6_T7_T9_mT8_S1G_bDpT10_ENKUlT_T0_E_clISt17integral_constantIbLb0EES1T_IbLb1EEEEDaS1P_S1Q_EUlS1P_E_NS1_11comp_targetILNS1_3genE8ELNS1_11target_archE1030ELNS1_3gpuE2ELNS1_3repE0EEENS1_30default_config_static_selectorELNS0_4arch9wavefront6targetE0EEEvS12_ ; -- Begin function _ZN7rocprim17ROCPRIM_400000_NS6detail17trampoline_kernelINS0_13select_configILj256ELj13ELNS0_17block_load_methodE3ELS4_3ELS4_3ELNS0_20block_scan_algorithmE0ELj4294967295EEENS1_25partition_config_selectorILNS1_17partition_subalgoE4EjNS0_10empty_typeEbEEZZNS1_14partition_implILS8_4ELb0ES6_15HIP_vector_typeIjLj2EENS0_17counting_iteratorIjlEEPS9_SG_NS0_5tupleIJPjSI_NS0_16reverse_iteratorISI_EEEEENSH_IJSG_SG_SG_EEES9_SI_JZNS1_25segmented_radix_sort_implINS0_14default_configELb0EPKsPsPKlPlN2at6native12_GLOBAL__N_18offset_tEEE10hipError_tPvRmT1_PNSt15iterator_traitsIS12_E10value_typeET2_T3_PNS13_IS18_E10value_typeET4_jRbjT5_S1E_jjP12ihipStream_tbEUljE_ZNSN_ISO_Lb0ESQ_SR_ST_SU_SY_EESZ_S10_S11_S12_S16_S17_S18_S1B_S1C_jS1D_jS1E_S1E_jjS1G_bEUljE0_EEESZ_S10_S11_S18_S1C_S1E_T6_T7_T9_mT8_S1G_bDpT10_ENKUlT_T0_E_clISt17integral_constantIbLb0EES1T_IbLb1EEEEDaS1P_S1Q_EUlS1P_E_NS1_11comp_targetILNS1_3genE8ELNS1_11target_archE1030ELNS1_3gpuE2ELNS1_3repE0EEENS1_30default_config_static_selectorELNS0_4arch9wavefront6targetE0EEEvS12_
	.p2align	8
	.type	_ZN7rocprim17ROCPRIM_400000_NS6detail17trampoline_kernelINS0_13select_configILj256ELj13ELNS0_17block_load_methodE3ELS4_3ELS4_3ELNS0_20block_scan_algorithmE0ELj4294967295EEENS1_25partition_config_selectorILNS1_17partition_subalgoE4EjNS0_10empty_typeEbEEZZNS1_14partition_implILS8_4ELb0ES6_15HIP_vector_typeIjLj2EENS0_17counting_iteratorIjlEEPS9_SG_NS0_5tupleIJPjSI_NS0_16reverse_iteratorISI_EEEEENSH_IJSG_SG_SG_EEES9_SI_JZNS1_25segmented_radix_sort_implINS0_14default_configELb0EPKsPsPKlPlN2at6native12_GLOBAL__N_18offset_tEEE10hipError_tPvRmT1_PNSt15iterator_traitsIS12_E10value_typeET2_T3_PNS13_IS18_E10value_typeET4_jRbjT5_S1E_jjP12ihipStream_tbEUljE_ZNSN_ISO_Lb0ESQ_SR_ST_SU_SY_EESZ_S10_S11_S12_S16_S17_S18_S1B_S1C_jS1D_jS1E_S1E_jjS1G_bEUljE0_EEESZ_S10_S11_S18_S1C_S1E_T6_T7_T9_mT8_S1G_bDpT10_ENKUlT_T0_E_clISt17integral_constantIbLb0EES1T_IbLb1EEEEDaS1P_S1Q_EUlS1P_E_NS1_11comp_targetILNS1_3genE8ELNS1_11target_archE1030ELNS1_3gpuE2ELNS1_3repE0EEENS1_30default_config_static_selectorELNS0_4arch9wavefront6targetE0EEEvS12_,@function
_ZN7rocprim17ROCPRIM_400000_NS6detail17trampoline_kernelINS0_13select_configILj256ELj13ELNS0_17block_load_methodE3ELS4_3ELS4_3ELNS0_20block_scan_algorithmE0ELj4294967295EEENS1_25partition_config_selectorILNS1_17partition_subalgoE4EjNS0_10empty_typeEbEEZZNS1_14partition_implILS8_4ELb0ES6_15HIP_vector_typeIjLj2EENS0_17counting_iteratorIjlEEPS9_SG_NS0_5tupleIJPjSI_NS0_16reverse_iteratorISI_EEEEENSH_IJSG_SG_SG_EEES9_SI_JZNS1_25segmented_radix_sort_implINS0_14default_configELb0EPKsPsPKlPlN2at6native12_GLOBAL__N_18offset_tEEE10hipError_tPvRmT1_PNSt15iterator_traitsIS12_E10value_typeET2_T3_PNS13_IS18_E10value_typeET4_jRbjT5_S1E_jjP12ihipStream_tbEUljE_ZNSN_ISO_Lb0ESQ_SR_ST_SU_SY_EESZ_S10_S11_S12_S16_S17_S18_S1B_S1C_jS1D_jS1E_S1E_jjS1G_bEUljE0_EEESZ_S10_S11_S18_S1C_S1E_T6_T7_T9_mT8_S1G_bDpT10_ENKUlT_T0_E_clISt17integral_constantIbLb0EES1T_IbLb1EEEEDaS1P_S1Q_EUlS1P_E_NS1_11comp_targetILNS1_3genE8ELNS1_11target_archE1030ELNS1_3gpuE2ELNS1_3repE0EEENS1_30default_config_static_selectorELNS0_4arch9wavefront6targetE0EEEvS12_: ; @_ZN7rocprim17ROCPRIM_400000_NS6detail17trampoline_kernelINS0_13select_configILj256ELj13ELNS0_17block_load_methodE3ELS4_3ELS4_3ELNS0_20block_scan_algorithmE0ELj4294967295EEENS1_25partition_config_selectorILNS1_17partition_subalgoE4EjNS0_10empty_typeEbEEZZNS1_14partition_implILS8_4ELb0ES6_15HIP_vector_typeIjLj2EENS0_17counting_iteratorIjlEEPS9_SG_NS0_5tupleIJPjSI_NS0_16reverse_iteratorISI_EEEEENSH_IJSG_SG_SG_EEES9_SI_JZNS1_25segmented_radix_sort_implINS0_14default_configELb0EPKsPsPKlPlN2at6native12_GLOBAL__N_18offset_tEEE10hipError_tPvRmT1_PNSt15iterator_traitsIS12_E10value_typeET2_T3_PNS13_IS18_E10value_typeET4_jRbjT5_S1E_jjP12ihipStream_tbEUljE_ZNSN_ISO_Lb0ESQ_SR_ST_SU_SY_EESZ_S10_S11_S12_S16_S17_S18_S1B_S1C_jS1D_jS1E_S1E_jjS1G_bEUljE0_EEESZ_S10_S11_S18_S1C_S1E_T6_T7_T9_mT8_S1G_bDpT10_ENKUlT_T0_E_clISt17integral_constantIbLb0EES1T_IbLb1EEEEDaS1P_S1Q_EUlS1P_E_NS1_11comp_targetILNS1_3genE8ELNS1_11target_archE1030ELNS1_3gpuE2ELNS1_3repE0EEENS1_30default_config_static_selectorELNS0_4arch9wavefront6targetE0EEEvS12_
; %bb.0:
	.section	.rodata,"a",@progbits
	.p2align	6, 0x0
	.amdhsa_kernel _ZN7rocprim17ROCPRIM_400000_NS6detail17trampoline_kernelINS0_13select_configILj256ELj13ELNS0_17block_load_methodE3ELS4_3ELS4_3ELNS0_20block_scan_algorithmE0ELj4294967295EEENS1_25partition_config_selectorILNS1_17partition_subalgoE4EjNS0_10empty_typeEbEEZZNS1_14partition_implILS8_4ELb0ES6_15HIP_vector_typeIjLj2EENS0_17counting_iteratorIjlEEPS9_SG_NS0_5tupleIJPjSI_NS0_16reverse_iteratorISI_EEEEENSH_IJSG_SG_SG_EEES9_SI_JZNS1_25segmented_radix_sort_implINS0_14default_configELb0EPKsPsPKlPlN2at6native12_GLOBAL__N_18offset_tEEE10hipError_tPvRmT1_PNSt15iterator_traitsIS12_E10value_typeET2_T3_PNS13_IS18_E10value_typeET4_jRbjT5_S1E_jjP12ihipStream_tbEUljE_ZNSN_ISO_Lb0ESQ_SR_ST_SU_SY_EESZ_S10_S11_S12_S16_S17_S18_S1B_S1C_jS1D_jS1E_S1E_jjS1G_bEUljE0_EEESZ_S10_S11_S18_S1C_S1E_T6_T7_T9_mT8_S1G_bDpT10_ENKUlT_T0_E_clISt17integral_constantIbLb0EES1T_IbLb1EEEEDaS1P_S1Q_EUlS1P_E_NS1_11comp_targetILNS1_3genE8ELNS1_11target_archE1030ELNS1_3gpuE2ELNS1_3repE0EEENS1_30default_config_static_selectorELNS0_4arch9wavefront6targetE0EEEvS12_
		.amdhsa_group_segment_fixed_size 0
		.amdhsa_private_segment_fixed_size 0
		.amdhsa_kernarg_size 184
		.amdhsa_user_sgpr_count 15
		.amdhsa_user_sgpr_dispatch_ptr 0
		.amdhsa_user_sgpr_queue_ptr 0
		.amdhsa_user_sgpr_kernarg_segment_ptr 1
		.amdhsa_user_sgpr_dispatch_id 0
		.amdhsa_user_sgpr_private_segment_size 0
		.amdhsa_wavefront_size32 1
		.amdhsa_uses_dynamic_stack 0
		.amdhsa_enable_private_segment 0
		.amdhsa_system_sgpr_workgroup_id_x 1
		.amdhsa_system_sgpr_workgroup_id_y 0
		.amdhsa_system_sgpr_workgroup_id_z 0
		.amdhsa_system_sgpr_workgroup_info 0
		.amdhsa_system_vgpr_workitem_id 0
		.amdhsa_next_free_vgpr 1
		.amdhsa_next_free_sgpr 1
		.amdhsa_reserve_vcc 0
		.amdhsa_float_round_mode_32 0
		.amdhsa_float_round_mode_16_64 0
		.amdhsa_float_denorm_mode_32 3
		.amdhsa_float_denorm_mode_16_64 3
		.amdhsa_dx10_clamp 1
		.amdhsa_ieee_mode 1
		.amdhsa_fp16_overflow 0
		.amdhsa_workgroup_processor_mode 1
		.amdhsa_memory_ordered 1
		.amdhsa_forward_progress 0
		.amdhsa_shared_vgpr_count 0
		.amdhsa_exception_fp_ieee_invalid_op 0
		.amdhsa_exception_fp_denorm_src 0
		.amdhsa_exception_fp_ieee_div_zero 0
		.amdhsa_exception_fp_ieee_overflow 0
		.amdhsa_exception_fp_ieee_underflow 0
		.amdhsa_exception_fp_ieee_inexact 0
		.amdhsa_exception_int_div_zero 0
	.end_amdhsa_kernel
	.section	.text._ZN7rocprim17ROCPRIM_400000_NS6detail17trampoline_kernelINS0_13select_configILj256ELj13ELNS0_17block_load_methodE3ELS4_3ELS4_3ELNS0_20block_scan_algorithmE0ELj4294967295EEENS1_25partition_config_selectorILNS1_17partition_subalgoE4EjNS0_10empty_typeEbEEZZNS1_14partition_implILS8_4ELb0ES6_15HIP_vector_typeIjLj2EENS0_17counting_iteratorIjlEEPS9_SG_NS0_5tupleIJPjSI_NS0_16reverse_iteratorISI_EEEEENSH_IJSG_SG_SG_EEES9_SI_JZNS1_25segmented_radix_sort_implINS0_14default_configELb0EPKsPsPKlPlN2at6native12_GLOBAL__N_18offset_tEEE10hipError_tPvRmT1_PNSt15iterator_traitsIS12_E10value_typeET2_T3_PNS13_IS18_E10value_typeET4_jRbjT5_S1E_jjP12ihipStream_tbEUljE_ZNSN_ISO_Lb0ESQ_SR_ST_SU_SY_EESZ_S10_S11_S12_S16_S17_S18_S1B_S1C_jS1D_jS1E_S1E_jjS1G_bEUljE0_EEESZ_S10_S11_S18_S1C_S1E_T6_T7_T9_mT8_S1G_bDpT10_ENKUlT_T0_E_clISt17integral_constantIbLb0EES1T_IbLb1EEEEDaS1P_S1Q_EUlS1P_E_NS1_11comp_targetILNS1_3genE8ELNS1_11target_archE1030ELNS1_3gpuE2ELNS1_3repE0EEENS1_30default_config_static_selectorELNS0_4arch9wavefront6targetE0EEEvS12_,"axG",@progbits,_ZN7rocprim17ROCPRIM_400000_NS6detail17trampoline_kernelINS0_13select_configILj256ELj13ELNS0_17block_load_methodE3ELS4_3ELS4_3ELNS0_20block_scan_algorithmE0ELj4294967295EEENS1_25partition_config_selectorILNS1_17partition_subalgoE4EjNS0_10empty_typeEbEEZZNS1_14partition_implILS8_4ELb0ES6_15HIP_vector_typeIjLj2EENS0_17counting_iteratorIjlEEPS9_SG_NS0_5tupleIJPjSI_NS0_16reverse_iteratorISI_EEEEENSH_IJSG_SG_SG_EEES9_SI_JZNS1_25segmented_radix_sort_implINS0_14default_configELb0EPKsPsPKlPlN2at6native12_GLOBAL__N_18offset_tEEE10hipError_tPvRmT1_PNSt15iterator_traitsIS12_E10value_typeET2_T3_PNS13_IS18_E10value_typeET4_jRbjT5_S1E_jjP12ihipStream_tbEUljE_ZNSN_ISO_Lb0ESQ_SR_ST_SU_SY_EESZ_S10_S11_S12_S16_S17_S18_S1B_S1C_jS1D_jS1E_S1E_jjS1G_bEUljE0_EEESZ_S10_S11_S18_S1C_S1E_T6_T7_T9_mT8_S1G_bDpT10_ENKUlT_T0_E_clISt17integral_constantIbLb0EES1T_IbLb1EEEEDaS1P_S1Q_EUlS1P_E_NS1_11comp_targetILNS1_3genE8ELNS1_11target_archE1030ELNS1_3gpuE2ELNS1_3repE0EEENS1_30default_config_static_selectorELNS0_4arch9wavefront6targetE0EEEvS12_,comdat
.Lfunc_end981:
	.size	_ZN7rocprim17ROCPRIM_400000_NS6detail17trampoline_kernelINS0_13select_configILj256ELj13ELNS0_17block_load_methodE3ELS4_3ELS4_3ELNS0_20block_scan_algorithmE0ELj4294967295EEENS1_25partition_config_selectorILNS1_17partition_subalgoE4EjNS0_10empty_typeEbEEZZNS1_14partition_implILS8_4ELb0ES6_15HIP_vector_typeIjLj2EENS0_17counting_iteratorIjlEEPS9_SG_NS0_5tupleIJPjSI_NS0_16reverse_iteratorISI_EEEEENSH_IJSG_SG_SG_EEES9_SI_JZNS1_25segmented_radix_sort_implINS0_14default_configELb0EPKsPsPKlPlN2at6native12_GLOBAL__N_18offset_tEEE10hipError_tPvRmT1_PNSt15iterator_traitsIS12_E10value_typeET2_T3_PNS13_IS18_E10value_typeET4_jRbjT5_S1E_jjP12ihipStream_tbEUljE_ZNSN_ISO_Lb0ESQ_SR_ST_SU_SY_EESZ_S10_S11_S12_S16_S17_S18_S1B_S1C_jS1D_jS1E_S1E_jjS1G_bEUljE0_EEESZ_S10_S11_S18_S1C_S1E_T6_T7_T9_mT8_S1G_bDpT10_ENKUlT_T0_E_clISt17integral_constantIbLb0EES1T_IbLb1EEEEDaS1P_S1Q_EUlS1P_E_NS1_11comp_targetILNS1_3genE8ELNS1_11target_archE1030ELNS1_3gpuE2ELNS1_3repE0EEENS1_30default_config_static_selectorELNS0_4arch9wavefront6targetE0EEEvS12_, .Lfunc_end981-_ZN7rocprim17ROCPRIM_400000_NS6detail17trampoline_kernelINS0_13select_configILj256ELj13ELNS0_17block_load_methodE3ELS4_3ELS4_3ELNS0_20block_scan_algorithmE0ELj4294967295EEENS1_25partition_config_selectorILNS1_17partition_subalgoE4EjNS0_10empty_typeEbEEZZNS1_14partition_implILS8_4ELb0ES6_15HIP_vector_typeIjLj2EENS0_17counting_iteratorIjlEEPS9_SG_NS0_5tupleIJPjSI_NS0_16reverse_iteratorISI_EEEEENSH_IJSG_SG_SG_EEES9_SI_JZNS1_25segmented_radix_sort_implINS0_14default_configELb0EPKsPsPKlPlN2at6native12_GLOBAL__N_18offset_tEEE10hipError_tPvRmT1_PNSt15iterator_traitsIS12_E10value_typeET2_T3_PNS13_IS18_E10value_typeET4_jRbjT5_S1E_jjP12ihipStream_tbEUljE_ZNSN_ISO_Lb0ESQ_SR_ST_SU_SY_EESZ_S10_S11_S12_S16_S17_S18_S1B_S1C_jS1D_jS1E_S1E_jjS1G_bEUljE0_EEESZ_S10_S11_S18_S1C_S1E_T6_T7_T9_mT8_S1G_bDpT10_ENKUlT_T0_E_clISt17integral_constantIbLb0EES1T_IbLb1EEEEDaS1P_S1Q_EUlS1P_E_NS1_11comp_targetILNS1_3genE8ELNS1_11target_archE1030ELNS1_3gpuE2ELNS1_3repE0EEENS1_30default_config_static_selectorELNS0_4arch9wavefront6targetE0EEEvS12_
                                        ; -- End function
	.section	.AMDGPU.csdata,"",@progbits
; Kernel info:
; codeLenInByte = 0
; NumSgprs: 0
; NumVgprs: 0
; ScratchSize: 0
; MemoryBound: 0
; FloatMode: 240
; IeeeMode: 1
; LDSByteSize: 0 bytes/workgroup (compile time only)
; SGPRBlocks: 0
; VGPRBlocks: 0
; NumSGPRsForWavesPerEU: 1
; NumVGPRsForWavesPerEU: 1
; Occupancy: 16
; WaveLimiterHint : 0
; COMPUTE_PGM_RSRC2:SCRATCH_EN: 0
; COMPUTE_PGM_RSRC2:USER_SGPR: 15
; COMPUTE_PGM_RSRC2:TRAP_HANDLER: 0
; COMPUTE_PGM_RSRC2:TGID_X_EN: 1
; COMPUTE_PGM_RSRC2:TGID_Y_EN: 0
; COMPUTE_PGM_RSRC2:TGID_Z_EN: 0
; COMPUTE_PGM_RSRC2:TIDIG_COMP_CNT: 0
	.section	.text._ZN7rocprim17ROCPRIM_400000_NS6detail17trampoline_kernelINS0_13select_configILj256ELj13ELNS0_17block_load_methodE3ELS4_3ELS4_3ELNS0_20block_scan_algorithmE0ELj4294967295EEENS1_25partition_config_selectorILNS1_17partition_subalgoE3EjNS0_10empty_typeEbEEZZNS1_14partition_implILS8_3ELb0ES6_jNS0_17counting_iteratorIjlEEPS9_SE_NS0_5tupleIJPjSE_EEENSF_IJSE_SE_EEES9_SG_JZNS1_25segmented_radix_sort_implINS0_14default_configELb0EPKsPsPKlPlN2at6native12_GLOBAL__N_18offset_tEEE10hipError_tPvRmT1_PNSt15iterator_traitsISY_E10value_typeET2_T3_PNSZ_IS14_E10value_typeET4_jRbjT5_S1A_jjP12ihipStream_tbEUljE_EEESV_SW_SX_S14_S18_S1A_T6_T7_T9_mT8_S1C_bDpT10_ENKUlT_T0_E_clISt17integral_constantIbLb0EES1P_EEDaS1K_S1L_EUlS1K_E_NS1_11comp_targetILNS1_3genE0ELNS1_11target_archE4294967295ELNS1_3gpuE0ELNS1_3repE0EEENS1_30default_config_static_selectorELNS0_4arch9wavefront6targetE0EEEvSY_,"axG",@progbits,_ZN7rocprim17ROCPRIM_400000_NS6detail17trampoline_kernelINS0_13select_configILj256ELj13ELNS0_17block_load_methodE3ELS4_3ELS4_3ELNS0_20block_scan_algorithmE0ELj4294967295EEENS1_25partition_config_selectorILNS1_17partition_subalgoE3EjNS0_10empty_typeEbEEZZNS1_14partition_implILS8_3ELb0ES6_jNS0_17counting_iteratorIjlEEPS9_SE_NS0_5tupleIJPjSE_EEENSF_IJSE_SE_EEES9_SG_JZNS1_25segmented_radix_sort_implINS0_14default_configELb0EPKsPsPKlPlN2at6native12_GLOBAL__N_18offset_tEEE10hipError_tPvRmT1_PNSt15iterator_traitsISY_E10value_typeET2_T3_PNSZ_IS14_E10value_typeET4_jRbjT5_S1A_jjP12ihipStream_tbEUljE_EEESV_SW_SX_S14_S18_S1A_T6_T7_T9_mT8_S1C_bDpT10_ENKUlT_T0_E_clISt17integral_constantIbLb0EES1P_EEDaS1K_S1L_EUlS1K_E_NS1_11comp_targetILNS1_3genE0ELNS1_11target_archE4294967295ELNS1_3gpuE0ELNS1_3repE0EEENS1_30default_config_static_selectorELNS0_4arch9wavefront6targetE0EEEvSY_,comdat
	.globl	_ZN7rocprim17ROCPRIM_400000_NS6detail17trampoline_kernelINS0_13select_configILj256ELj13ELNS0_17block_load_methodE3ELS4_3ELS4_3ELNS0_20block_scan_algorithmE0ELj4294967295EEENS1_25partition_config_selectorILNS1_17partition_subalgoE3EjNS0_10empty_typeEbEEZZNS1_14partition_implILS8_3ELb0ES6_jNS0_17counting_iteratorIjlEEPS9_SE_NS0_5tupleIJPjSE_EEENSF_IJSE_SE_EEES9_SG_JZNS1_25segmented_radix_sort_implINS0_14default_configELb0EPKsPsPKlPlN2at6native12_GLOBAL__N_18offset_tEEE10hipError_tPvRmT1_PNSt15iterator_traitsISY_E10value_typeET2_T3_PNSZ_IS14_E10value_typeET4_jRbjT5_S1A_jjP12ihipStream_tbEUljE_EEESV_SW_SX_S14_S18_S1A_T6_T7_T9_mT8_S1C_bDpT10_ENKUlT_T0_E_clISt17integral_constantIbLb0EES1P_EEDaS1K_S1L_EUlS1K_E_NS1_11comp_targetILNS1_3genE0ELNS1_11target_archE4294967295ELNS1_3gpuE0ELNS1_3repE0EEENS1_30default_config_static_selectorELNS0_4arch9wavefront6targetE0EEEvSY_ ; -- Begin function _ZN7rocprim17ROCPRIM_400000_NS6detail17trampoline_kernelINS0_13select_configILj256ELj13ELNS0_17block_load_methodE3ELS4_3ELS4_3ELNS0_20block_scan_algorithmE0ELj4294967295EEENS1_25partition_config_selectorILNS1_17partition_subalgoE3EjNS0_10empty_typeEbEEZZNS1_14partition_implILS8_3ELb0ES6_jNS0_17counting_iteratorIjlEEPS9_SE_NS0_5tupleIJPjSE_EEENSF_IJSE_SE_EEES9_SG_JZNS1_25segmented_radix_sort_implINS0_14default_configELb0EPKsPsPKlPlN2at6native12_GLOBAL__N_18offset_tEEE10hipError_tPvRmT1_PNSt15iterator_traitsISY_E10value_typeET2_T3_PNSZ_IS14_E10value_typeET4_jRbjT5_S1A_jjP12ihipStream_tbEUljE_EEESV_SW_SX_S14_S18_S1A_T6_T7_T9_mT8_S1C_bDpT10_ENKUlT_T0_E_clISt17integral_constantIbLb0EES1P_EEDaS1K_S1L_EUlS1K_E_NS1_11comp_targetILNS1_3genE0ELNS1_11target_archE4294967295ELNS1_3gpuE0ELNS1_3repE0EEENS1_30default_config_static_selectorELNS0_4arch9wavefront6targetE0EEEvSY_
	.p2align	8
	.type	_ZN7rocprim17ROCPRIM_400000_NS6detail17trampoline_kernelINS0_13select_configILj256ELj13ELNS0_17block_load_methodE3ELS4_3ELS4_3ELNS0_20block_scan_algorithmE0ELj4294967295EEENS1_25partition_config_selectorILNS1_17partition_subalgoE3EjNS0_10empty_typeEbEEZZNS1_14partition_implILS8_3ELb0ES6_jNS0_17counting_iteratorIjlEEPS9_SE_NS0_5tupleIJPjSE_EEENSF_IJSE_SE_EEES9_SG_JZNS1_25segmented_radix_sort_implINS0_14default_configELb0EPKsPsPKlPlN2at6native12_GLOBAL__N_18offset_tEEE10hipError_tPvRmT1_PNSt15iterator_traitsISY_E10value_typeET2_T3_PNSZ_IS14_E10value_typeET4_jRbjT5_S1A_jjP12ihipStream_tbEUljE_EEESV_SW_SX_S14_S18_S1A_T6_T7_T9_mT8_S1C_bDpT10_ENKUlT_T0_E_clISt17integral_constantIbLb0EES1P_EEDaS1K_S1L_EUlS1K_E_NS1_11comp_targetILNS1_3genE0ELNS1_11target_archE4294967295ELNS1_3gpuE0ELNS1_3repE0EEENS1_30default_config_static_selectorELNS0_4arch9wavefront6targetE0EEEvSY_,@function
_ZN7rocprim17ROCPRIM_400000_NS6detail17trampoline_kernelINS0_13select_configILj256ELj13ELNS0_17block_load_methodE3ELS4_3ELS4_3ELNS0_20block_scan_algorithmE0ELj4294967295EEENS1_25partition_config_selectorILNS1_17partition_subalgoE3EjNS0_10empty_typeEbEEZZNS1_14partition_implILS8_3ELb0ES6_jNS0_17counting_iteratorIjlEEPS9_SE_NS0_5tupleIJPjSE_EEENSF_IJSE_SE_EEES9_SG_JZNS1_25segmented_radix_sort_implINS0_14default_configELb0EPKsPsPKlPlN2at6native12_GLOBAL__N_18offset_tEEE10hipError_tPvRmT1_PNSt15iterator_traitsISY_E10value_typeET2_T3_PNSZ_IS14_E10value_typeET4_jRbjT5_S1A_jjP12ihipStream_tbEUljE_EEESV_SW_SX_S14_S18_S1A_T6_T7_T9_mT8_S1C_bDpT10_ENKUlT_T0_E_clISt17integral_constantIbLb0EES1P_EEDaS1K_S1L_EUlS1K_E_NS1_11comp_targetILNS1_3genE0ELNS1_11target_archE4294967295ELNS1_3gpuE0ELNS1_3repE0EEENS1_30default_config_static_selectorELNS0_4arch9wavefront6targetE0EEEvSY_: ; @_ZN7rocprim17ROCPRIM_400000_NS6detail17trampoline_kernelINS0_13select_configILj256ELj13ELNS0_17block_load_methodE3ELS4_3ELS4_3ELNS0_20block_scan_algorithmE0ELj4294967295EEENS1_25partition_config_selectorILNS1_17partition_subalgoE3EjNS0_10empty_typeEbEEZZNS1_14partition_implILS8_3ELb0ES6_jNS0_17counting_iteratorIjlEEPS9_SE_NS0_5tupleIJPjSE_EEENSF_IJSE_SE_EEES9_SG_JZNS1_25segmented_radix_sort_implINS0_14default_configELb0EPKsPsPKlPlN2at6native12_GLOBAL__N_18offset_tEEE10hipError_tPvRmT1_PNSt15iterator_traitsISY_E10value_typeET2_T3_PNSZ_IS14_E10value_typeET4_jRbjT5_S1A_jjP12ihipStream_tbEUljE_EEESV_SW_SX_S14_S18_S1A_T6_T7_T9_mT8_S1C_bDpT10_ENKUlT_T0_E_clISt17integral_constantIbLb0EES1P_EEDaS1K_S1L_EUlS1K_E_NS1_11comp_targetILNS1_3genE0ELNS1_11target_archE4294967295ELNS1_3gpuE0ELNS1_3repE0EEENS1_30default_config_static_selectorELNS0_4arch9wavefront6targetE0EEEvSY_
; %bb.0:
	.section	.rodata,"a",@progbits
	.p2align	6, 0x0
	.amdhsa_kernel _ZN7rocprim17ROCPRIM_400000_NS6detail17trampoline_kernelINS0_13select_configILj256ELj13ELNS0_17block_load_methodE3ELS4_3ELS4_3ELNS0_20block_scan_algorithmE0ELj4294967295EEENS1_25partition_config_selectorILNS1_17partition_subalgoE3EjNS0_10empty_typeEbEEZZNS1_14partition_implILS8_3ELb0ES6_jNS0_17counting_iteratorIjlEEPS9_SE_NS0_5tupleIJPjSE_EEENSF_IJSE_SE_EEES9_SG_JZNS1_25segmented_radix_sort_implINS0_14default_configELb0EPKsPsPKlPlN2at6native12_GLOBAL__N_18offset_tEEE10hipError_tPvRmT1_PNSt15iterator_traitsISY_E10value_typeET2_T3_PNSZ_IS14_E10value_typeET4_jRbjT5_S1A_jjP12ihipStream_tbEUljE_EEESV_SW_SX_S14_S18_S1A_T6_T7_T9_mT8_S1C_bDpT10_ENKUlT_T0_E_clISt17integral_constantIbLb0EES1P_EEDaS1K_S1L_EUlS1K_E_NS1_11comp_targetILNS1_3genE0ELNS1_11target_archE4294967295ELNS1_3gpuE0ELNS1_3repE0EEENS1_30default_config_static_selectorELNS0_4arch9wavefront6targetE0EEEvSY_
		.amdhsa_group_segment_fixed_size 0
		.amdhsa_private_segment_fixed_size 0
		.amdhsa_kernarg_size 144
		.amdhsa_user_sgpr_count 15
		.amdhsa_user_sgpr_dispatch_ptr 0
		.amdhsa_user_sgpr_queue_ptr 0
		.amdhsa_user_sgpr_kernarg_segment_ptr 1
		.amdhsa_user_sgpr_dispatch_id 0
		.amdhsa_user_sgpr_private_segment_size 0
		.amdhsa_wavefront_size32 1
		.amdhsa_uses_dynamic_stack 0
		.amdhsa_enable_private_segment 0
		.amdhsa_system_sgpr_workgroup_id_x 1
		.amdhsa_system_sgpr_workgroup_id_y 0
		.amdhsa_system_sgpr_workgroup_id_z 0
		.amdhsa_system_sgpr_workgroup_info 0
		.amdhsa_system_vgpr_workitem_id 0
		.amdhsa_next_free_vgpr 1
		.amdhsa_next_free_sgpr 1
		.amdhsa_reserve_vcc 0
		.amdhsa_float_round_mode_32 0
		.amdhsa_float_round_mode_16_64 0
		.amdhsa_float_denorm_mode_32 3
		.amdhsa_float_denorm_mode_16_64 3
		.amdhsa_dx10_clamp 1
		.amdhsa_ieee_mode 1
		.amdhsa_fp16_overflow 0
		.amdhsa_workgroup_processor_mode 1
		.amdhsa_memory_ordered 1
		.amdhsa_forward_progress 0
		.amdhsa_shared_vgpr_count 0
		.amdhsa_exception_fp_ieee_invalid_op 0
		.amdhsa_exception_fp_denorm_src 0
		.amdhsa_exception_fp_ieee_div_zero 0
		.amdhsa_exception_fp_ieee_overflow 0
		.amdhsa_exception_fp_ieee_underflow 0
		.amdhsa_exception_fp_ieee_inexact 0
		.amdhsa_exception_int_div_zero 0
	.end_amdhsa_kernel
	.section	.text._ZN7rocprim17ROCPRIM_400000_NS6detail17trampoline_kernelINS0_13select_configILj256ELj13ELNS0_17block_load_methodE3ELS4_3ELS4_3ELNS0_20block_scan_algorithmE0ELj4294967295EEENS1_25partition_config_selectorILNS1_17partition_subalgoE3EjNS0_10empty_typeEbEEZZNS1_14partition_implILS8_3ELb0ES6_jNS0_17counting_iteratorIjlEEPS9_SE_NS0_5tupleIJPjSE_EEENSF_IJSE_SE_EEES9_SG_JZNS1_25segmented_radix_sort_implINS0_14default_configELb0EPKsPsPKlPlN2at6native12_GLOBAL__N_18offset_tEEE10hipError_tPvRmT1_PNSt15iterator_traitsISY_E10value_typeET2_T3_PNSZ_IS14_E10value_typeET4_jRbjT5_S1A_jjP12ihipStream_tbEUljE_EEESV_SW_SX_S14_S18_S1A_T6_T7_T9_mT8_S1C_bDpT10_ENKUlT_T0_E_clISt17integral_constantIbLb0EES1P_EEDaS1K_S1L_EUlS1K_E_NS1_11comp_targetILNS1_3genE0ELNS1_11target_archE4294967295ELNS1_3gpuE0ELNS1_3repE0EEENS1_30default_config_static_selectorELNS0_4arch9wavefront6targetE0EEEvSY_,"axG",@progbits,_ZN7rocprim17ROCPRIM_400000_NS6detail17trampoline_kernelINS0_13select_configILj256ELj13ELNS0_17block_load_methodE3ELS4_3ELS4_3ELNS0_20block_scan_algorithmE0ELj4294967295EEENS1_25partition_config_selectorILNS1_17partition_subalgoE3EjNS0_10empty_typeEbEEZZNS1_14partition_implILS8_3ELb0ES6_jNS0_17counting_iteratorIjlEEPS9_SE_NS0_5tupleIJPjSE_EEENSF_IJSE_SE_EEES9_SG_JZNS1_25segmented_radix_sort_implINS0_14default_configELb0EPKsPsPKlPlN2at6native12_GLOBAL__N_18offset_tEEE10hipError_tPvRmT1_PNSt15iterator_traitsISY_E10value_typeET2_T3_PNSZ_IS14_E10value_typeET4_jRbjT5_S1A_jjP12ihipStream_tbEUljE_EEESV_SW_SX_S14_S18_S1A_T6_T7_T9_mT8_S1C_bDpT10_ENKUlT_T0_E_clISt17integral_constantIbLb0EES1P_EEDaS1K_S1L_EUlS1K_E_NS1_11comp_targetILNS1_3genE0ELNS1_11target_archE4294967295ELNS1_3gpuE0ELNS1_3repE0EEENS1_30default_config_static_selectorELNS0_4arch9wavefront6targetE0EEEvSY_,comdat
.Lfunc_end982:
	.size	_ZN7rocprim17ROCPRIM_400000_NS6detail17trampoline_kernelINS0_13select_configILj256ELj13ELNS0_17block_load_methodE3ELS4_3ELS4_3ELNS0_20block_scan_algorithmE0ELj4294967295EEENS1_25partition_config_selectorILNS1_17partition_subalgoE3EjNS0_10empty_typeEbEEZZNS1_14partition_implILS8_3ELb0ES6_jNS0_17counting_iteratorIjlEEPS9_SE_NS0_5tupleIJPjSE_EEENSF_IJSE_SE_EEES9_SG_JZNS1_25segmented_radix_sort_implINS0_14default_configELb0EPKsPsPKlPlN2at6native12_GLOBAL__N_18offset_tEEE10hipError_tPvRmT1_PNSt15iterator_traitsISY_E10value_typeET2_T3_PNSZ_IS14_E10value_typeET4_jRbjT5_S1A_jjP12ihipStream_tbEUljE_EEESV_SW_SX_S14_S18_S1A_T6_T7_T9_mT8_S1C_bDpT10_ENKUlT_T0_E_clISt17integral_constantIbLb0EES1P_EEDaS1K_S1L_EUlS1K_E_NS1_11comp_targetILNS1_3genE0ELNS1_11target_archE4294967295ELNS1_3gpuE0ELNS1_3repE0EEENS1_30default_config_static_selectorELNS0_4arch9wavefront6targetE0EEEvSY_, .Lfunc_end982-_ZN7rocprim17ROCPRIM_400000_NS6detail17trampoline_kernelINS0_13select_configILj256ELj13ELNS0_17block_load_methodE3ELS4_3ELS4_3ELNS0_20block_scan_algorithmE0ELj4294967295EEENS1_25partition_config_selectorILNS1_17partition_subalgoE3EjNS0_10empty_typeEbEEZZNS1_14partition_implILS8_3ELb0ES6_jNS0_17counting_iteratorIjlEEPS9_SE_NS0_5tupleIJPjSE_EEENSF_IJSE_SE_EEES9_SG_JZNS1_25segmented_radix_sort_implINS0_14default_configELb0EPKsPsPKlPlN2at6native12_GLOBAL__N_18offset_tEEE10hipError_tPvRmT1_PNSt15iterator_traitsISY_E10value_typeET2_T3_PNSZ_IS14_E10value_typeET4_jRbjT5_S1A_jjP12ihipStream_tbEUljE_EEESV_SW_SX_S14_S18_S1A_T6_T7_T9_mT8_S1C_bDpT10_ENKUlT_T0_E_clISt17integral_constantIbLb0EES1P_EEDaS1K_S1L_EUlS1K_E_NS1_11comp_targetILNS1_3genE0ELNS1_11target_archE4294967295ELNS1_3gpuE0ELNS1_3repE0EEENS1_30default_config_static_selectorELNS0_4arch9wavefront6targetE0EEEvSY_
                                        ; -- End function
	.section	.AMDGPU.csdata,"",@progbits
; Kernel info:
; codeLenInByte = 0
; NumSgprs: 0
; NumVgprs: 0
; ScratchSize: 0
; MemoryBound: 0
; FloatMode: 240
; IeeeMode: 1
; LDSByteSize: 0 bytes/workgroup (compile time only)
; SGPRBlocks: 0
; VGPRBlocks: 0
; NumSGPRsForWavesPerEU: 1
; NumVGPRsForWavesPerEU: 1
; Occupancy: 16
; WaveLimiterHint : 0
; COMPUTE_PGM_RSRC2:SCRATCH_EN: 0
; COMPUTE_PGM_RSRC2:USER_SGPR: 15
; COMPUTE_PGM_RSRC2:TRAP_HANDLER: 0
; COMPUTE_PGM_RSRC2:TGID_X_EN: 1
; COMPUTE_PGM_RSRC2:TGID_Y_EN: 0
; COMPUTE_PGM_RSRC2:TGID_Z_EN: 0
; COMPUTE_PGM_RSRC2:TIDIG_COMP_CNT: 0
	.section	.text._ZN7rocprim17ROCPRIM_400000_NS6detail17trampoline_kernelINS0_13select_configILj256ELj13ELNS0_17block_load_methodE3ELS4_3ELS4_3ELNS0_20block_scan_algorithmE0ELj4294967295EEENS1_25partition_config_selectorILNS1_17partition_subalgoE3EjNS0_10empty_typeEbEEZZNS1_14partition_implILS8_3ELb0ES6_jNS0_17counting_iteratorIjlEEPS9_SE_NS0_5tupleIJPjSE_EEENSF_IJSE_SE_EEES9_SG_JZNS1_25segmented_radix_sort_implINS0_14default_configELb0EPKsPsPKlPlN2at6native12_GLOBAL__N_18offset_tEEE10hipError_tPvRmT1_PNSt15iterator_traitsISY_E10value_typeET2_T3_PNSZ_IS14_E10value_typeET4_jRbjT5_S1A_jjP12ihipStream_tbEUljE_EEESV_SW_SX_S14_S18_S1A_T6_T7_T9_mT8_S1C_bDpT10_ENKUlT_T0_E_clISt17integral_constantIbLb0EES1P_EEDaS1K_S1L_EUlS1K_E_NS1_11comp_targetILNS1_3genE5ELNS1_11target_archE942ELNS1_3gpuE9ELNS1_3repE0EEENS1_30default_config_static_selectorELNS0_4arch9wavefront6targetE0EEEvSY_,"axG",@progbits,_ZN7rocprim17ROCPRIM_400000_NS6detail17trampoline_kernelINS0_13select_configILj256ELj13ELNS0_17block_load_methodE3ELS4_3ELS4_3ELNS0_20block_scan_algorithmE0ELj4294967295EEENS1_25partition_config_selectorILNS1_17partition_subalgoE3EjNS0_10empty_typeEbEEZZNS1_14partition_implILS8_3ELb0ES6_jNS0_17counting_iteratorIjlEEPS9_SE_NS0_5tupleIJPjSE_EEENSF_IJSE_SE_EEES9_SG_JZNS1_25segmented_radix_sort_implINS0_14default_configELb0EPKsPsPKlPlN2at6native12_GLOBAL__N_18offset_tEEE10hipError_tPvRmT1_PNSt15iterator_traitsISY_E10value_typeET2_T3_PNSZ_IS14_E10value_typeET4_jRbjT5_S1A_jjP12ihipStream_tbEUljE_EEESV_SW_SX_S14_S18_S1A_T6_T7_T9_mT8_S1C_bDpT10_ENKUlT_T0_E_clISt17integral_constantIbLb0EES1P_EEDaS1K_S1L_EUlS1K_E_NS1_11comp_targetILNS1_3genE5ELNS1_11target_archE942ELNS1_3gpuE9ELNS1_3repE0EEENS1_30default_config_static_selectorELNS0_4arch9wavefront6targetE0EEEvSY_,comdat
	.globl	_ZN7rocprim17ROCPRIM_400000_NS6detail17trampoline_kernelINS0_13select_configILj256ELj13ELNS0_17block_load_methodE3ELS4_3ELS4_3ELNS0_20block_scan_algorithmE0ELj4294967295EEENS1_25partition_config_selectorILNS1_17partition_subalgoE3EjNS0_10empty_typeEbEEZZNS1_14partition_implILS8_3ELb0ES6_jNS0_17counting_iteratorIjlEEPS9_SE_NS0_5tupleIJPjSE_EEENSF_IJSE_SE_EEES9_SG_JZNS1_25segmented_radix_sort_implINS0_14default_configELb0EPKsPsPKlPlN2at6native12_GLOBAL__N_18offset_tEEE10hipError_tPvRmT1_PNSt15iterator_traitsISY_E10value_typeET2_T3_PNSZ_IS14_E10value_typeET4_jRbjT5_S1A_jjP12ihipStream_tbEUljE_EEESV_SW_SX_S14_S18_S1A_T6_T7_T9_mT8_S1C_bDpT10_ENKUlT_T0_E_clISt17integral_constantIbLb0EES1P_EEDaS1K_S1L_EUlS1K_E_NS1_11comp_targetILNS1_3genE5ELNS1_11target_archE942ELNS1_3gpuE9ELNS1_3repE0EEENS1_30default_config_static_selectorELNS0_4arch9wavefront6targetE0EEEvSY_ ; -- Begin function _ZN7rocprim17ROCPRIM_400000_NS6detail17trampoline_kernelINS0_13select_configILj256ELj13ELNS0_17block_load_methodE3ELS4_3ELS4_3ELNS0_20block_scan_algorithmE0ELj4294967295EEENS1_25partition_config_selectorILNS1_17partition_subalgoE3EjNS0_10empty_typeEbEEZZNS1_14partition_implILS8_3ELb0ES6_jNS0_17counting_iteratorIjlEEPS9_SE_NS0_5tupleIJPjSE_EEENSF_IJSE_SE_EEES9_SG_JZNS1_25segmented_radix_sort_implINS0_14default_configELb0EPKsPsPKlPlN2at6native12_GLOBAL__N_18offset_tEEE10hipError_tPvRmT1_PNSt15iterator_traitsISY_E10value_typeET2_T3_PNSZ_IS14_E10value_typeET4_jRbjT5_S1A_jjP12ihipStream_tbEUljE_EEESV_SW_SX_S14_S18_S1A_T6_T7_T9_mT8_S1C_bDpT10_ENKUlT_T0_E_clISt17integral_constantIbLb0EES1P_EEDaS1K_S1L_EUlS1K_E_NS1_11comp_targetILNS1_3genE5ELNS1_11target_archE942ELNS1_3gpuE9ELNS1_3repE0EEENS1_30default_config_static_selectorELNS0_4arch9wavefront6targetE0EEEvSY_
	.p2align	8
	.type	_ZN7rocprim17ROCPRIM_400000_NS6detail17trampoline_kernelINS0_13select_configILj256ELj13ELNS0_17block_load_methodE3ELS4_3ELS4_3ELNS0_20block_scan_algorithmE0ELj4294967295EEENS1_25partition_config_selectorILNS1_17partition_subalgoE3EjNS0_10empty_typeEbEEZZNS1_14partition_implILS8_3ELb0ES6_jNS0_17counting_iteratorIjlEEPS9_SE_NS0_5tupleIJPjSE_EEENSF_IJSE_SE_EEES9_SG_JZNS1_25segmented_radix_sort_implINS0_14default_configELb0EPKsPsPKlPlN2at6native12_GLOBAL__N_18offset_tEEE10hipError_tPvRmT1_PNSt15iterator_traitsISY_E10value_typeET2_T3_PNSZ_IS14_E10value_typeET4_jRbjT5_S1A_jjP12ihipStream_tbEUljE_EEESV_SW_SX_S14_S18_S1A_T6_T7_T9_mT8_S1C_bDpT10_ENKUlT_T0_E_clISt17integral_constantIbLb0EES1P_EEDaS1K_S1L_EUlS1K_E_NS1_11comp_targetILNS1_3genE5ELNS1_11target_archE942ELNS1_3gpuE9ELNS1_3repE0EEENS1_30default_config_static_selectorELNS0_4arch9wavefront6targetE0EEEvSY_,@function
_ZN7rocprim17ROCPRIM_400000_NS6detail17trampoline_kernelINS0_13select_configILj256ELj13ELNS0_17block_load_methodE3ELS4_3ELS4_3ELNS0_20block_scan_algorithmE0ELj4294967295EEENS1_25partition_config_selectorILNS1_17partition_subalgoE3EjNS0_10empty_typeEbEEZZNS1_14partition_implILS8_3ELb0ES6_jNS0_17counting_iteratorIjlEEPS9_SE_NS0_5tupleIJPjSE_EEENSF_IJSE_SE_EEES9_SG_JZNS1_25segmented_radix_sort_implINS0_14default_configELb0EPKsPsPKlPlN2at6native12_GLOBAL__N_18offset_tEEE10hipError_tPvRmT1_PNSt15iterator_traitsISY_E10value_typeET2_T3_PNSZ_IS14_E10value_typeET4_jRbjT5_S1A_jjP12ihipStream_tbEUljE_EEESV_SW_SX_S14_S18_S1A_T6_T7_T9_mT8_S1C_bDpT10_ENKUlT_T0_E_clISt17integral_constantIbLb0EES1P_EEDaS1K_S1L_EUlS1K_E_NS1_11comp_targetILNS1_3genE5ELNS1_11target_archE942ELNS1_3gpuE9ELNS1_3repE0EEENS1_30default_config_static_selectorELNS0_4arch9wavefront6targetE0EEEvSY_: ; @_ZN7rocprim17ROCPRIM_400000_NS6detail17trampoline_kernelINS0_13select_configILj256ELj13ELNS0_17block_load_methodE3ELS4_3ELS4_3ELNS0_20block_scan_algorithmE0ELj4294967295EEENS1_25partition_config_selectorILNS1_17partition_subalgoE3EjNS0_10empty_typeEbEEZZNS1_14partition_implILS8_3ELb0ES6_jNS0_17counting_iteratorIjlEEPS9_SE_NS0_5tupleIJPjSE_EEENSF_IJSE_SE_EEES9_SG_JZNS1_25segmented_radix_sort_implINS0_14default_configELb0EPKsPsPKlPlN2at6native12_GLOBAL__N_18offset_tEEE10hipError_tPvRmT1_PNSt15iterator_traitsISY_E10value_typeET2_T3_PNSZ_IS14_E10value_typeET4_jRbjT5_S1A_jjP12ihipStream_tbEUljE_EEESV_SW_SX_S14_S18_S1A_T6_T7_T9_mT8_S1C_bDpT10_ENKUlT_T0_E_clISt17integral_constantIbLb0EES1P_EEDaS1K_S1L_EUlS1K_E_NS1_11comp_targetILNS1_3genE5ELNS1_11target_archE942ELNS1_3gpuE9ELNS1_3repE0EEENS1_30default_config_static_selectorELNS0_4arch9wavefront6targetE0EEEvSY_
; %bb.0:
	.section	.rodata,"a",@progbits
	.p2align	6, 0x0
	.amdhsa_kernel _ZN7rocprim17ROCPRIM_400000_NS6detail17trampoline_kernelINS0_13select_configILj256ELj13ELNS0_17block_load_methodE3ELS4_3ELS4_3ELNS0_20block_scan_algorithmE0ELj4294967295EEENS1_25partition_config_selectorILNS1_17partition_subalgoE3EjNS0_10empty_typeEbEEZZNS1_14partition_implILS8_3ELb0ES6_jNS0_17counting_iteratorIjlEEPS9_SE_NS0_5tupleIJPjSE_EEENSF_IJSE_SE_EEES9_SG_JZNS1_25segmented_radix_sort_implINS0_14default_configELb0EPKsPsPKlPlN2at6native12_GLOBAL__N_18offset_tEEE10hipError_tPvRmT1_PNSt15iterator_traitsISY_E10value_typeET2_T3_PNSZ_IS14_E10value_typeET4_jRbjT5_S1A_jjP12ihipStream_tbEUljE_EEESV_SW_SX_S14_S18_S1A_T6_T7_T9_mT8_S1C_bDpT10_ENKUlT_T0_E_clISt17integral_constantIbLb0EES1P_EEDaS1K_S1L_EUlS1K_E_NS1_11comp_targetILNS1_3genE5ELNS1_11target_archE942ELNS1_3gpuE9ELNS1_3repE0EEENS1_30default_config_static_selectorELNS0_4arch9wavefront6targetE0EEEvSY_
		.amdhsa_group_segment_fixed_size 0
		.amdhsa_private_segment_fixed_size 0
		.amdhsa_kernarg_size 144
		.amdhsa_user_sgpr_count 15
		.amdhsa_user_sgpr_dispatch_ptr 0
		.amdhsa_user_sgpr_queue_ptr 0
		.amdhsa_user_sgpr_kernarg_segment_ptr 1
		.amdhsa_user_sgpr_dispatch_id 0
		.amdhsa_user_sgpr_private_segment_size 0
		.amdhsa_wavefront_size32 1
		.amdhsa_uses_dynamic_stack 0
		.amdhsa_enable_private_segment 0
		.amdhsa_system_sgpr_workgroup_id_x 1
		.amdhsa_system_sgpr_workgroup_id_y 0
		.amdhsa_system_sgpr_workgroup_id_z 0
		.amdhsa_system_sgpr_workgroup_info 0
		.amdhsa_system_vgpr_workitem_id 0
		.amdhsa_next_free_vgpr 1
		.amdhsa_next_free_sgpr 1
		.amdhsa_reserve_vcc 0
		.amdhsa_float_round_mode_32 0
		.amdhsa_float_round_mode_16_64 0
		.amdhsa_float_denorm_mode_32 3
		.amdhsa_float_denorm_mode_16_64 3
		.amdhsa_dx10_clamp 1
		.amdhsa_ieee_mode 1
		.amdhsa_fp16_overflow 0
		.amdhsa_workgroup_processor_mode 1
		.amdhsa_memory_ordered 1
		.amdhsa_forward_progress 0
		.amdhsa_shared_vgpr_count 0
		.amdhsa_exception_fp_ieee_invalid_op 0
		.amdhsa_exception_fp_denorm_src 0
		.amdhsa_exception_fp_ieee_div_zero 0
		.amdhsa_exception_fp_ieee_overflow 0
		.amdhsa_exception_fp_ieee_underflow 0
		.amdhsa_exception_fp_ieee_inexact 0
		.amdhsa_exception_int_div_zero 0
	.end_amdhsa_kernel
	.section	.text._ZN7rocprim17ROCPRIM_400000_NS6detail17trampoline_kernelINS0_13select_configILj256ELj13ELNS0_17block_load_methodE3ELS4_3ELS4_3ELNS0_20block_scan_algorithmE0ELj4294967295EEENS1_25partition_config_selectorILNS1_17partition_subalgoE3EjNS0_10empty_typeEbEEZZNS1_14partition_implILS8_3ELb0ES6_jNS0_17counting_iteratorIjlEEPS9_SE_NS0_5tupleIJPjSE_EEENSF_IJSE_SE_EEES9_SG_JZNS1_25segmented_radix_sort_implINS0_14default_configELb0EPKsPsPKlPlN2at6native12_GLOBAL__N_18offset_tEEE10hipError_tPvRmT1_PNSt15iterator_traitsISY_E10value_typeET2_T3_PNSZ_IS14_E10value_typeET4_jRbjT5_S1A_jjP12ihipStream_tbEUljE_EEESV_SW_SX_S14_S18_S1A_T6_T7_T9_mT8_S1C_bDpT10_ENKUlT_T0_E_clISt17integral_constantIbLb0EES1P_EEDaS1K_S1L_EUlS1K_E_NS1_11comp_targetILNS1_3genE5ELNS1_11target_archE942ELNS1_3gpuE9ELNS1_3repE0EEENS1_30default_config_static_selectorELNS0_4arch9wavefront6targetE0EEEvSY_,"axG",@progbits,_ZN7rocprim17ROCPRIM_400000_NS6detail17trampoline_kernelINS0_13select_configILj256ELj13ELNS0_17block_load_methodE3ELS4_3ELS4_3ELNS0_20block_scan_algorithmE0ELj4294967295EEENS1_25partition_config_selectorILNS1_17partition_subalgoE3EjNS0_10empty_typeEbEEZZNS1_14partition_implILS8_3ELb0ES6_jNS0_17counting_iteratorIjlEEPS9_SE_NS0_5tupleIJPjSE_EEENSF_IJSE_SE_EEES9_SG_JZNS1_25segmented_radix_sort_implINS0_14default_configELb0EPKsPsPKlPlN2at6native12_GLOBAL__N_18offset_tEEE10hipError_tPvRmT1_PNSt15iterator_traitsISY_E10value_typeET2_T3_PNSZ_IS14_E10value_typeET4_jRbjT5_S1A_jjP12ihipStream_tbEUljE_EEESV_SW_SX_S14_S18_S1A_T6_T7_T9_mT8_S1C_bDpT10_ENKUlT_T0_E_clISt17integral_constantIbLb0EES1P_EEDaS1K_S1L_EUlS1K_E_NS1_11comp_targetILNS1_3genE5ELNS1_11target_archE942ELNS1_3gpuE9ELNS1_3repE0EEENS1_30default_config_static_selectorELNS0_4arch9wavefront6targetE0EEEvSY_,comdat
.Lfunc_end983:
	.size	_ZN7rocprim17ROCPRIM_400000_NS6detail17trampoline_kernelINS0_13select_configILj256ELj13ELNS0_17block_load_methodE3ELS4_3ELS4_3ELNS0_20block_scan_algorithmE0ELj4294967295EEENS1_25partition_config_selectorILNS1_17partition_subalgoE3EjNS0_10empty_typeEbEEZZNS1_14partition_implILS8_3ELb0ES6_jNS0_17counting_iteratorIjlEEPS9_SE_NS0_5tupleIJPjSE_EEENSF_IJSE_SE_EEES9_SG_JZNS1_25segmented_radix_sort_implINS0_14default_configELb0EPKsPsPKlPlN2at6native12_GLOBAL__N_18offset_tEEE10hipError_tPvRmT1_PNSt15iterator_traitsISY_E10value_typeET2_T3_PNSZ_IS14_E10value_typeET4_jRbjT5_S1A_jjP12ihipStream_tbEUljE_EEESV_SW_SX_S14_S18_S1A_T6_T7_T9_mT8_S1C_bDpT10_ENKUlT_T0_E_clISt17integral_constantIbLb0EES1P_EEDaS1K_S1L_EUlS1K_E_NS1_11comp_targetILNS1_3genE5ELNS1_11target_archE942ELNS1_3gpuE9ELNS1_3repE0EEENS1_30default_config_static_selectorELNS0_4arch9wavefront6targetE0EEEvSY_, .Lfunc_end983-_ZN7rocprim17ROCPRIM_400000_NS6detail17trampoline_kernelINS0_13select_configILj256ELj13ELNS0_17block_load_methodE3ELS4_3ELS4_3ELNS0_20block_scan_algorithmE0ELj4294967295EEENS1_25partition_config_selectorILNS1_17partition_subalgoE3EjNS0_10empty_typeEbEEZZNS1_14partition_implILS8_3ELb0ES6_jNS0_17counting_iteratorIjlEEPS9_SE_NS0_5tupleIJPjSE_EEENSF_IJSE_SE_EEES9_SG_JZNS1_25segmented_radix_sort_implINS0_14default_configELb0EPKsPsPKlPlN2at6native12_GLOBAL__N_18offset_tEEE10hipError_tPvRmT1_PNSt15iterator_traitsISY_E10value_typeET2_T3_PNSZ_IS14_E10value_typeET4_jRbjT5_S1A_jjP12ihipStream_tbEUljE_EEESV_SW_SX_S14_S18_S1A_T6_T7_T9_mT8_S1C_bDpT10_ENKUlT_T0_E_clISt17integral_constantIbLb0EES1P_EEDaS1K_S1L_EUlS1K_E_NS1_11comp_targetILNS1_3genE5ELNS1_11target_archE942ELNS1_3gpuE9ELNS1_3repE0EEENS1_30default_config_static_selectorELNS0_4arch9wavefront6targetE0EEEvSY_
                                        ; -- End function
	.section	.AMDGPU.csdata,"",@progbits
; Kernel info:
; codeLenInByte = 0
; NumSgprs: 0
; NumVgprs: 0
; ScratchSize: 0
; MemoryBound: 0
; FloatMode: 240
; IeeeMode: 1
; LDSByteSize: 0 bytes/workgroup (compile time only)
; SGPRBlocks: 0
; VGPRBlocks: 0
; NumSGPRsForWavesPerEU: 1
; NumVGPRsForWavesPerEU: 1
; Occupancy: 16
; WaveLimiterHint : 0
; COMPUTE_PGM_RSRC2:SCRATCH_EN: 0
; COMPUTE_PGM_RSRC2:USER_SGPR: 15
; COMPUTE_PGM_RSRC2:TRAP_HANDLER: 0
; COMPUTE_PGM_RSRC2:TGID_X_EN: 1
; COMPUTE_PGM_RSRC2:TGID_Y_EN: 0
; COMPUTE_PGM_RSRC2:TGID_Z_EN: 0
; COMPUTE_PGM_RSRC2:TIDIG_COMP_CNT: 0
	.section	.text._ZN7rocprim17ROCPRIM_400000_NS6detail17trampoline_kernelINS0_13select_configILj256ELj13ELNS0_17block_load_methodE3ELS4_3ELS4_3ELNS0_20block_scan_algorithmE0ELj4294967295EEENS1_25partition_config_selectorILNS1_17partition_subalgoE3EjNS0_10empty_typeEbEEZZNS1_14partition_implILS8_3ELb0ES6_jNS0_17counting_iteratorIjlEEPS9_SE_NS0_5tupleIJPjSE_EEENSF_IJSE_SE_EEES9_SG_JZNS1_25segmented_radix_sort_implINS0_14default_configELb0EPKsPsPKlPlN2at6native12_GLOBAL__N_18offset_tEEE10hipError_tPvRmT1_PNSt15iterator_traitsISY_E10value_typeET2_T3_PNSZ_IS14_E10value_typeET4_jRbjT5_S1A_jjP12ihipStream_tbEUljE_EEESV_SW_SX_S14_S18_S1A_T6_T7_T9_mT8_S1C_bDpT10_ENKUlT_T0_E_clISt17integral_constantIbLb0EES1P_EEDaS1K_S1L_EUlS1K_E_NS1_11comp_targetILNS1_3genE4ELNS1_11target_archE910ELNS1_3gpuE8ELNS1_3repE0EEENS1_30default_config_static_selectorELNS0_4arch9wavefront6targetE0EEEvSY_,"axG",@progbits,_ZN7rocprim17ROCPRIM_400000_NS6detail17trampoline_kernelINS0_13select_configILj256ELj13ELNS0_17block_load_methodE3ELS4_3ELS4_3ELNS0_20block_scan_algorithmE0ELj4294967295EEENS1_25partition_config_selectorILNS1_17partition_subalgoE3EjNS0_10empty_typeEbEEZZNS1_14partition_implILS8_3ELb0ES6_jNS0_17counting_iteratorIjlEEPS9_SE_NS0_5tupleIJPjSE_EEENSF_IJSE_SE_EEES9_SG_JZNS1_25segmented_radix_sort_implINS0_14default_configELb0EPKsPsPKlPlN2at6native12_GLOBAL__N_18offset_tEEE10hipError_tPvRmT1_PNSt15iterator_traitsISY_E10value_typeET2_T3_PNSZ_IS14_E10value_typeET4_jRbjT5_S1A_jjP12ihipStream_tbEUljE_EEESV_SW_SX_S14_S18_S1A_T6_T7_T9_mT8_S1C_bDpT10_ENKUlT_T0_E_clISt17integral_constantIbLb0EES1P_EEDaS1K_S1L_EUlS1K_E_NS1_11comp_targetILNS1_3genE4ELNS1_11target_archE910ELNS1_3gpuE8ELNS1_3repE0EEENS1_30default_config_static_selectorELNS0_4arch9wavefront6targetE0EEEvSY_,comdat
	.globl	_ZN7rocprim17ROCPRIM_400000_NS6detail17trampoline_kernelINS0_13select_configILj256ELj13ELNS0_17block_load_methodE3ELS4_3ELS4_3ELNS0_20block_scan_algorithmE0ELj4294967295EEENS1_25partition_config_selectorILNS1_17partition_subalgoE3EjNS0_10empty_typeEbEEZZNS1_14partition_implILS8_3ELb0ES6_jNS0_17counting_iteratorIjlEEPS9_SE_NS0_5tupleIJPjSE_EEENSF_IJSE_SE_EEES9_SG_JZNS1_25segmented_radix_sort_implINS0_14default_configELb0EPKsPsPKlPlN2at6native12_GLOBAL__N_18offset_tEEE10hipError_tPvRmT1_PNSt15iterator_traitsISY_E10value_typeET2_T3_PNSZ_IS14_E10value_typeET4_jRbjT5_S1A_jjP12ihipStream_tbEUljE_EEESV_SW_SX_S14_S18_S1A_T6_T7_T9_mT8_S1C_bDpT10_ENKUlT_T0_E_clISt17integral_constantIbLb0EES1P_EEDaS1K_S1L_EUlS1K_E_NS1_11comp_targetILNS1_3genE4ELNS1_11target_archE910ELNS1_3gpuE8ELNS1_3repE0EEENS1_30default_config_static_selectorELNS0_4arch9wavefront6targetE0EEEvSY_ ; -- Begin function _ZN7rocprim17ROCPRIM_400000_NS6detail17trampoline_kernelINS0_13select_configILj256ELj13ELNS0_17block_load_methodE3ELS4_3ELS4_3ELNS0_20block_scan_algorithmE0ELj4294967295EEENS1_25partition_config_selectorILNS1_17partition_subalgoE3EjNS0_10empty_typeEbEEZZNS1_14partition_implILS8_3ELb0ES6_jNS0_17counting_iteratorIjlEEPS9_SE_NS0_5tupleIJPjSE_EEENSF_IJSE_SE_EEES9_SG_JZNS1_25segmented_radix_sort_implINS0_14default_configELb0EPKsPsPKlPlN2at6native12_GLOBAL__N_18offset_tEEE10hipError_tPvRmT1_PNSt15iterator_traitsISY_E10value_typeET2_T3_PNSZ_IS14_E10value_typeET4_jRbjT5_S1A_jjP12ihipStream_tbEUljE_EEESV_SW_SX_S14_S18_S1A_T6_T7_T9_mT8_S1C_bDpT10_ENKUlT_T0_E_clISt17integral_constantIbLb0EES1P_EEDaS1K_S1L_EUlS1K_E_NS1_11comp_targetILNS1_3genE4ELNS1_11target_archE910ELNS1_3gpuE8ELNS1_3repE0EEENS1_30default_config_static_selectorELNS0_4arch9wavefront6targetE0EEEvSY_
	.p2align	8
	.type	_ZN7rocprim17ROCPRIM_400000_NS6detail17trampoline_kernelINS0_13select_configILj256ELj13ELNS0_17block_load_methodE3ELS4_3ELS4_3ELNS0_20block_scan_algorithmE0ELj4294967295EEENS1_25partition_config_selectorILNS1_17partition_subalgoE3EjNS0_10empty_typeEbEEZZNS1_14partition_implILS8_3ELb0ES6_jNS0_17counting_iteratorIjlEEPS9_SE_NS0_5tupleIJPjSE_EEENSF_IJSE_SE_EEES9_SG_JZNS1_25segmented_radix_sort_implINS0_14default_configELb0EPKsPsPKlPlN2at6native12_GLOBAL__N_18offset_tEEE10hipError_tPvRmT1_PNSt15iterator_traitsISY_E10value_typeET2_T3_PNSZ_IS14_E10value_typeET4_jRbjT5_S1A_jjP12ihipStream_tbEUljE_EEESV_SW_SX_S14_S18_S1A_T6_T7_T9_mT8_S1C_bDpT10_ENKUlT_T0_E_clISt17integral_constantIbLb0EES1P_EEDaS1K_S1L_EUlS1K_E_NS1_11comp_targetILNS1_3genE4ELNS1_11target_archE910ELNS1_3gpuE8ELNS1_3repE0EEENS1_30default_config_static_selectorELNS0_4arch9wavefront6targetE0EEEvSY_,@function
_ZN7rocprim17ROCPRIM_400000_NS6detail17trampoline_kernelINS0_13select_configILj256ELj13ELNS0_17block_load_methodE3ELS4_3ELS4_3ELNS0_20block_scan_algorithmE0ELj4294967295EEENS1_25partition_config_selectorILNS1_17partition_subalgoE3EjNS0_10empty_typeEbEEZZNS1_14partition_implILS8_3ELb0ES6_jNS0_17counting_iteratorIjlEEPS9_SE_NS0_5tupleIJPjSE_EEENSF_IJSE_SE_EEES9_SG_JZNS1_25segmented_radix_sort_implINS0_14default_configELb0EPKsPsPKlPlN2at6native12_GLOBAL__N_18offset_tEEE10hipError_tPvRmT1_PNSt15iterator_traitsISY_E10value_typeET2_T3_PNSZ_IS14_E10value_typeET4_jRbjT5_S1A_jjP12ihipStream_tbEUljE_EEESV_SW_SX_S14_S18_S1A_T6_T7_T9_mT8_S1C_bDpT10_ENKUlT_T0_E_clISt17integral_constantIbLb0EES1P_EEDaS1K_S1L_EUlS1K_E_NS1_11comp_targetILNS1_3genE4ELNS1_11target_archE910ELNS1_3gpuE8ELNS1_3repE0EEENS1_30default_config_static_selectorELNS0_4arch9wavefront6targetE0EEEvSY_: ; @_ZN7rocprim17ROCPRIM_400000_NS6detail17trampoline_kernelINS0_13select_configILj256ELj13ELNS0_17block_load_methodE3ELS4_3ELS4_3ELNS0_20block_scan_algorithmE0ELj4294967295EEENS1_25partition_config_selectorILNS1_17partition_subalgoE3EjNS0_10empty_typeEbEEZZNS1_14partition_implILS8_3ELb0ES6_jNS0_17counting_iteratorIjlEEPS9_SE_NS0_5tupleIJPjSE_EEENSF_IJSE_SE_EEES9_SG_JZNS1_25segmented_radix_sort_implINS0_14default_configELb0EPKsPsPKlPlN2at6native12_GLOBAL__N_18offset_tEEE10hipError_tPvRmT1_PNSt15iterator_traitsISY_E10value_typeET2_T3_PNSZ_IS14_E10value_typeET4_jRbjT5_S1A_jjP12ihipStream_tbEUljE_EEESV_SW_SX_S14_S18_S1A_T6_T7_T9_mT8_S1C_bDpT10_ENKUlT_T0_E_clISt17integral_constantIbLb0EES1P_EEDaS1K_S1L_EUlS1K_E_NS1_11comp_targetILNS1_3genE4ELNS1_11target_archE910ELNS1_3gpuE8ELNS1_3repE0EEENS1_30default_config_static_selectorELNS0_4arch9wavefront6targetE0EEEvSY_
; %bb.0:
	.section	.rodata,"a",@progbits
	.p2align	6, 0x0
	.amdhsa_kernel _ZN7rocprim17ROCPRIM_400000_NS6detail17trampoline_kernelINS0_13select_configILj256ELj13ELNS0_17block_load_methodE3ELS4_3ELS4_3ELNS0_20block_scan_algorithmE0ELj4294967295EEENS1_25partition_config_selectorILNS1_17partition_subalgoE3EjNS0_10empty_typeEbEEZZNS1_14partition_implILS8_3ELb0ES6_jNS0_17counting_iteratorIjlEEPS9_SE_NS0_5tupleIJPjSE_EEENSF_IJSE_SE_EEES9_SG_JZNS1_25segmented_radix_sort_implINS0_14default_configELb0EPKsPsPKlPlN2at6native12_GLOBAL__N_18offset_tEEE10hipError_tPvRmT1_PNSt15iterator_traitsISY_E10value_typeET2_T3_PNSZ_IS14_E10value_typeET4_jRbjT5_S1A_jjP12ihipStream_tbEUljE_EEESV_SW_SX_S14_S18_S1A_T6_T7_T9_mT8_S1C_bDpT10_ENKUlT_T0_E_clISt17integral_constantIbLb0EES1P_EEDaS1K_S1L_EUlS1K_E_NS1_11comp_targetILNS1_3genE4ELNS1_11target_archE910ELNS1_3gpuE8ELNS1_3repE0EEENS1_30default_config_static_selectorELNS0_4arch9wavefront6targetE0EEEvSY_
		.amdhsa_group_segment_fixed_size 0
		.amdhsa_private_segment_fixed_size 0
		.amdhsa_kernarg_size 144
		.amdhsa_user_sgpr_count 15
		.amdhsa_user_sgpr_dispatch_ptr 0
		.amdhsa_user_sgpr_queue_ptr 0
		.amdhsa_user_sgpr_kernarg_segment_ptr 1
		.amdhsa_user_sgpr_dispatch_id 0
		.amdhsa_user_sgpr_private_segment_size 0
		.amdhsa_wavefront_size32 1
		.amdhsa_uses_dynamic_stack 0
		.amdhsa_enable_private_segment 0
		.amdhsa_system_sgpr_workgroup_id_x 1
		.amdhsa_system_sgpr_workgroup_id_y 0
		.amdhsa_system_sgpr_workgroup_id_z 0
		.amdhsa_system_sgpr_workgroup_info 0
		.amdhsa_system_vgpr_workitem_id 0
		.amdhsa_next_free_vgpr 1
		.amdhsa_next_free_sgpr 1
		.amdhsa_reserve_vcc 0
		.amdhsa_float_round_mode_32 0
		.amdhsa_float_round_mode_16_64 0
		.amdhsa_float_denorm_mode_32 3
		.amdhsa_float_denorm_mode_16_64 3
		.amdhsa_dx10_clamp 1
		.amdhsa_ieee_mode 1
		.amdhsa_fp16_overflow 0
		.amdhsa_workgroup_processor_mode 1
		.amdhsa_memory_ordered 1
		.amdhsa_forward_progress 0
		.amdhsa_shared_vgpr_count 0
		.amdhsa_exception_fp_ieee_invalid_op 0
		.amdhsa_exception_fp_denorm_src 0
		.amdhsa_exception_fp_ieee_div_zero 0
		.amdhsa_exception_fp_ieee_overflow 0
		.amdhsa_exception_fp_ieee_underflow 0
		.amdhsa_exception_fp_ieee_inexact 0
		.amdhsa_exception_int_div_zero 0
	.end_amdhsa_kernel
	.section	.text._ZN7rocprim17ROCPRIM_400000_NS6detail17trampoline_kernelINS0_13select_configILj256ELj13ELNS0_17block_load_methodE3ELS4_3ELS4_3ELNS0_20block_scan_algorithmE0ELj4294967295EEENS1_25partition_config_selectorILNS1_17partition_subalgoE3EjNS0_10empty_typeEbEEZZNS1_14partition_implILS8_3ELb0ES6_jNS0_17counting_iteratorIjlEEPS9_SE_NS0_5tupleIJPjSE_EEENSF_IJSE_SE_EEES9_SG_JZNS1_25segmented_radix_sort_implINS0_14default_configELb0EPKsPsPKlPlN2at6native12_GLOBAL__N_18offset_tEEE10hipError_tPvRmT1_PNSt15iterator_traitsISY_E10value_typeET2_T3_PNSZ_IS14_E10value_typeET4_jRbjT5_S1A_jjP12ihipStream_tbEUljE_EEESV_SW_SX_S14_S18_S1A_T6_T7_T9_mT8_S1C_bDpT10_ENKUlT_T0_E_clISt17integral_constantIbLb0EES1P_EEDaS1K_S1L_EUlS1K_E_NS1_11comp_targetILNS1_3genE4ELNS1_11target_archE910ELNS1_3gpuE8ELNS1_3repE0EEENS1_30default_config_static_selectorELNS0_4arch9wavefront6targetE0EEEvSY_,"axG",@progbits,_ZN7rocprim17ROCPRIM_400000_NS6detail17trampoline_kernelINS0_13select_configILj256ELj13ELNS0_17block_load_methodE3ELS4_3ELS4_3ELNS0_20block_scan_algorithmE0ELj4294967295EEENS1_25partition_config_selectorILNS1_17partition_subalgoE3EjNS0_10empty_typeEbEEZZNS1_14partition_implILS8_3ELb0ES6_jNS0_17counting_iteratorIjlEEPS9_SE_NS0_5tupleIJPjSE_EEENSF_IJSE_SE_EEES9_SG_JZNS1_25segmented_radix_sort_implINS0_14default_configELb0EPKsPsPKlPlN2at6native12_GLOBAL__N_18offset_tEEE10hipError_tPvRmT1_PNSt15iterator_traitsISY_E10value_typeET2_T3_PNSZ_IS14_E10value_typeET4_jRbjT5_S1A_jjP12ihipStream_tbEUljE_EEESV_SW_SX_S14_S18_S1A_T6_T7_T9_mT8_S1C_bDpT10_ENKUlT_T0_E_clISt17integral_constantIbLb0EES1P_EEDaS1K_S1L_EUlS1K_E_NS1_11comp_targetILNS1_3genE4ELNS1_11target_archE910ELNS1_3gpuE8ELNS1_3repE0EEENS1_30default_config_static_selectorELNS0_4arch9wavefront6targetE0EEEvSY_,comdat
.Lfunc_end984:
	.size	_ZN7rocprim17ROCPRIM_400000_NS6detail17trampoline_kernelINS0_13select_configILj256ELj13ELNS0_17block_load_methodE3ELS4_3ELS4_3ELNS0_20block_scan_algorithmE0ELj4294967295EEENS1_25partition_config_selectorILNS1_17partition_subalgoE3EjNS0_10empty_typeEbEEZZNS1_14partition_implILS8_3ELb0ES6_jNS0_17counting_iteratorIjlEEPS9_SE_NS0_5tupleIJPjSE_EEENSF_IJSE_SE_EEES9_SG_JZNS1_25segmented_radix_sort_implINS0_14default_configELb0EPKsPsPKlPlN2at6native12_GLOBAL__N_18offset_tEEE10hipError_tPvRmT1_PNSt15iterator_traitsISY_E10value_typeET2_T3_PNSZ_IS14_E10value_typeET4_jRbjT5_S1A_jjP12ihipStream_tbEUljE_EEESV_SW_SX_S14_S18_S1A_T6_T7_T9_mT8_S1C_bDpT10_ENKUlT_T0_E_clISt17integral_constantIbLb0EES1P_EEDaS1K_S1L_EUlS1K_E_NS1_11comp_targetILNS1_3genE4ELNS1_11target_archE910ELNS1_3gpuE8ELNS1_3repE0EEENS1_30default_config_static_selectorELNS0_4arch9wavefront6targetE0EEEvSY_, .Lfunc_end984-_ZN7rocprim17ROCPRIM_400000_NS6detail17trampoline_kernelINS0_13select_configILj256ELj13ELNS0_17block_load_methodE3ELS4_3ELS4_3ELNS0_20block_scan_algorithmE0ELj4294967295EEENS1_25partition_config_selectorILNS1_17partition_subalgoE3EjNS0_10empty_typeEbEEZZNS1_14partition_implILS8_3ELb0ES6_jNS0_17counting_iteratorIjlEEPS9_SE_NS0_5tupleIJPjSE_EEENSF_IJSE_SE_EEES9_SG_JZNS1_25segmented_radix_sort_implINS0_14default_configELb0EPKsPsPKlPlN2at6native12_GLOBAL__N_18offset_tEEE10hipError_tPvRmT1_PNSt15iterator_traitsISY_E10value_typeET2_T3_PNSZ_IS14_E10value_typeET4_jRbjT5_S1A_jjP12ihipStream_tbEUljE_EEESV_SW_SX_S14_S18_S1A_T6_T7_T9_mT8_S1C_bDpT10_ENKUlT_T0_E_clISt17integral_constantIbLb0EES1P_EEDaS1K_S1L_EUlS1K_E_NS1_11comp_targetILNS1_3genE4ELNS1_11target_archE910ELNS1_3gpuE8ELNS1_3repE0EEENS1_30default_config_static_selectorELNS0_4arch9wavefront6targetE0EEEvSY_
                                        ; -- End function
	.section	.AMDGPU.csdata,"",@progbits
; Kernel info:
; codeLenInByte = 0
; NumSgprs: 0
; NumVgprs: 0
; ScratchSize: 0
; MemoryBound: 0
; FloatMode: 240
; IeeeMode: 1
; LDSByteSize: 0 bytes/workgroup (compile time only)
; SGPRBlocks: 0
; VGPRBlocks: 0
; NumSGPRsForWavesPerEU: 1
; NumVGPRsForWavesPerEU: 1
; Occupancy: 16
; WaveLimiterHint : 0
; COMPUTE_PGM_RSRC2:SCRATCH_EN: 0
; COMPUTE_PGM_RSRC2:USER_SGPR: 15
; COMPUTE_PGM_RSRC2:TRAP_HANDLER: 0
; COMPUTE_PGM_RSRC2:TGID_X_EN: 1
; COMPUTE_PGM_RSRC2:TGID_Y_EN: 0
; COMPUTE_PGM_RSRC2:TGID_Z_EN: 0
; COMPUTE_PGM_RSRC2:TIDIG_COMP_CNT: 0
	.section	.text._ZN7rocprim17ROCPRIM_400000_NS6detail17trampoline_kernelINS0_13select_configILj256ELj13ELNS0_17block_load_methodE3ELS4_3ELS4_3ELNS0_20block_scan_algorithmE0ELj4294967295EEENS1_25partition_config_selectorILNS1_17partition_subalgoE3EjNS0_10empty_typeEbEEZZNS1_14partition_implILS8_3ELb0ES6_jNS0_17counting_iteratorIjlEEPS9_SE_NS0_5tupleIJPjSE_EEENSF_IJSE_SE_EEES9_SG_JZNS1_25segmented_radix_sort_implINS0_14default_configELb0EPKsPsPKlPlN2at6native12_GLOBAL__N_18offset_tEEE10hipError_tPvRmT1_PNSt15iterator_traitsISY_E10value_typeET2_T3_PNSZ_IS14_E10value_typeET4_jRbjT5_S1A_jjP12ihipStream_tbEUljE_EEESV_SW_SX_S14_S18_S1A_T6_T7_T9_mT8_S1C_bDpT10_ENKUlT_T0_E_clISt17integral_constantIbLb0EES1P_EEDaS1K_S1L_EUlS1K_E_NS1_11comp_targetILNS1_3genE3ELNS1_11target_archE908ELNS1_3gpuE7ELNS1_3repE0EEENS1_30default_config_static_selectorELNS0_4arch9wavefront6targetE0EEEvSY_,"axG",@progbits,_ZN7rocprim17ROCPRIM_400000_NS6detail17trampoline_kernelINS0_13select_configILj256ELj13ELNS0_17block_load_methodE3ELS4_3ELS4_3ELNS0_20block_scan_algorithmE0ELj4294967295EEENS1_25partition_config_selectorILNS1_17partition_subalgoE3EjNS0_10empty_typeEbEEZZNS1_14partition_implILS8_3ELb0ES6_jNS0_17counting_iteratorIjlEEPS9_SE_NS0_5tupleIJPjSE_EEENSF_IJSE_SE_EEES9_SG_JZNS1_25segmented_radix_sort_implINS0_14default_configELb0EPKsPsPKlPlN2at6native12_GLOBAL__N_18offset_tEEE10hipError_tPvRmT1_PNSt15iterator_traitsISY_E10value_typeET2_T3_PNSZ_IS14_E10value_typeET4_jRbjT5_S1A_jjP12ihipStream_tbEUljE_EEESV_SW_SX_S14_S18_S1A_T6_T7_T9_mT8_S1C_bDpT10_ENKUlT_T0_E_clISt17integral_constantIbLb0EES1P_EEDaS1K_S1L_EUlS1K_E_NS1_11comp_targetILNS1_3genE3ELNS1_11target_archE908ELNS1_3gpuE7ELNS1_3repE0EEENS1_30default_config_static_selectorELNS0_4arch9wavefront6targetE0EEEvSY_,comdat
	.globl	_ZN7rocprim17ROCPRIM_400000_NS6detail17trampoline_kernelINS0_13select_configILj256ELj13ELNS0_17block_load_methodE3ELS4_3ELS4_3ELNS0_20block_scan_algorithmE0ELj4294967295EEENS1_25partition_config_selectorILNS1_17partition_subalgoE3EjNS0_10empty_typeEbEEZZNS1_14partition_implILS8_3ELb0ES6_jNS0_17counting_iteratorIjlEEPS9_SE_NS0_5tupleIJPjSE_EEENSF_IJSE_SE_EEES9_SG_JZNS1_25segmented_radix_sort_implINS0_14default_configELb0EPKsPsPKlPlN2at6native12_GLOBAL__N_18offset_tEEE10hipError_tPvRmT1_PNSt15iterator_traitsISY_E10value_typeET2_T3_PNSZ_IS14_E10value_typeET4_jRbjT5_S1A_jjP12ihipStream_tbEUljE_EEESV_SW_SX_S14_S18_S1A_T6_T7_T9_mT8_S1C_bDpT10_ENKUlT_T0_E_clISt17integral_constantIbLb0EES1P_EEDaS1K_S1L_EUlS1K_E_NS1_11comp_targetILNS1_3genE3ELNS1_11target_archE908ELNS1_3gpuE7ELNS1_3repE0EEENS1_30default_config_static_selectorELNS0_4arch9wavefront6targetE0EEEvSY_ ; -- Begin function _ZN7rocprim17ROCPRIM_400000_NS6detail17trampoline_kernelINS0_13select_configILj256ELj13ELNS0_17block_load_methodE3ELS4_3ELS4_3ELNS0_20block_scan_algorithmE0ELj4294967295EEENS1_25partition_config_selectorILNS1_17partition_subalgoE3EjNS0_10empty_typeEbEEZZNS1_14partition_implILS8_3ELb0ES6_jNS0_17counting_iteratorIjlEEPS9_SE_NS0_5tupleIJPjSE_EEENSF_IJSE_SE_EEES9_SG_JZNS1_25segmented_radix_sort_implINS0_14default_configELb0EPKsPsPKlPlN2at6native12_GLOBAL__N_18offset_tEEE10hipError_tPvRmT1_PNSt15iterator_traitsISY_E10value_typeET2_T3_PNSZ_IS14_E10value_typeET4_jRbjT5_S1A_jjP12ihipStream_tbEUljE_EEESV_SW_SX_S14_S18_S1A_T6_T7_T9_mT8_S1C_bDpT10_ENKUlT_T0_E_clISt17integral_constantIbLb0EES1P_EEDaS1K_S1L_EUlS1K_E_NS1_11comp_targetILNS1_3genE3ELNS1_11target_archE908ELNS1_3gpuE7ELNS1_3repE0EEENS1_30default_config_static_selectorELNS0_4arch9wavefront6targetE0EEEvSY_
	.p2align	8
	.type	_ZN7rocprim17ROCPRIM_400000_NS6detail17trampoline_kernelINS0_13select_configILj256ELj13ELNS0_17block_load_methodE3ELS4_3ELS4_3ELNS0_20block_scan_algorithmE0ELj4294967295EEENS1_25partition_config_selectorILNS1_17partition_subalgoE3EjNS0_10empty_typeEbEEZZNS1_14partition_implILS8_3ELb0ES6_jNS0_17counting_iteratorIjlEEPS9_SE_NS0_5tupleIJPjSE_EEENSF_IJSE_SE_EEES9_SG_JZNS1_25segmented_radix_sort_implINS0_14default_configELb0EPKsPsPKlPlN2at6native12_GLOBAL__N_18offset_tEEE10hipError_tPvRmT1_PNSt15iterator_traitsISY_E10value_typeET2_T3_PNSZ_IS14_E10value_typeET4_jRbjT5_S1A_jjP12ihipStream_tbEUljE_EEESV_SW_SX_S14_S18_S1A_T6_T7_T9_mT8_S1C_bDpT10_ENKUlT_T0_E_clISt17integral_constantIbLb0EES1P_EEDaS1K_S1L_EUlS1K_E_NS1_11comp_targetILNS1_3genE3ELNS1_11target_archE908ELNS1_3gpuE7ELNS1_3repE0EEENS1_30default_config_static_selectorELNS0_4arch9wavefront6targetE0EEEvSY_,@function
_ZN7rocprim17ROCPRIM_400000_NS6detail17trampoline_kernelINS0_13select_configILj256ELj13ELNS0_17block_load_methodE3ELS4_3ELS4_3ELNS0_20block_scan_algorithmE0ELj4294967295EEENS1_25partition_config_selectorILNS1_17partition_subalgoE3EjNS0_10empty_typeEbEEZZNS1_14partition_implILS8_3ELb0ES6_jNS0_17counting_iteratorIjlEEPS9_SE_NS0_5tupleIJPjSE_EEENSF_IJSE_SE_EEES9_SG_JZNS1_25segmented_radix_sort_implINS0_14default_configELb0EPKsPsPKlPlN2at6native12_GLOBAL__N_18offset_tEEE10hipError_tPvRmT1_PNSt15iterator_traitsISY_E10value_typeET2_T3_PNSZ_IS14_E10value_typeET4_jRbjT5_S1A_jjP12ihipStream_tbEUljE_EEESV_SW_SX_S14_S18_S1A_T6_T7_T9_mT8_S1C_bDpT10_ENKUlT_T0_E_clISt17integral_constantIbLb0EES1P_EEDaS1K_S1L_EUlS1K_E_NS1_11comp_targetILNS1_3genE3ELNS1_11target_archE908ELNS1_3gpuE7ELNS1_3repE0EEENS1_30default_config_static_selectorELNS0_4arch9wavefront6targetE0EEEvSY_: ; @_ZN7rocprim17ROCPRIM_400000_NS6detail17trampoline_kernelINS0_13select_configILj256ELj13ELNS0_17block_load_methodE3ELS4_3ELS4_3ELNS0_20block_scan_algorithmE0ELj4294967295EEENS1_25partition_config_selectorILNS1_17partition_subalgoE3EjNS0_10empty_typeEbEEZZNS1_14partition_implILS8_3ELb0ES6_jNS0_17counting_iteratorIjlEEPS9_SE_NS0_5tupleIJPjSE_EEENSF_IJSE_SE_EEES9_SG_JZNS1_25segmented_radix_sort_implINS0_14default_configELb0EPKsPsPKlPlN2at6native12_GLOBAL__N_18offset_tEEE10hipError_tPvRmT1_PNSt15iterator_traitsISY_E10value_typeET2_T3_PNSZ_IS14_E10value_typeET4_jRbjT5_S1A_jjP12ihipStream_tbEUljE_EEESV_SW_SX_S14_S18_S1A_T6_T7_T9_mT8_S1C_bDpT10_ENKUlT_T0_E_clISt17integral_constantIbLb0EES1P_EEDaS1K_S1L_EUlS1K_E_NS1_11comp_targetILNS1_3genE3ELNS1_11target_archE908ELNS1_3gpuE7ELNS1_3repE0EEENS1_30default_config_static_selectorELNS0_4arch9wavefront6targetE0EEEvSY_
; %bb.0:
	.section	.rodata,"a",@progbits
	.p2align	6, 0x0
	.amdhsa_kernel _ZN7rocprim17ROCPRIM_400000_NS6detail17trampoline_kernelINS0_13select_configILj256ELj13ELNS0_17block_load_methodE3ELS4_3ELS4_3ELNS0_20block_scan_algorithmE0ELj4294967295EEENS1_25partition_config_selectorILNS1_17partition_subalgoE3EjNS0_10empty_typeEbEEZZNS1_14partition_implILS8_3ELb0ES6_jNS0_17counting_iteratorIjlEEPS9_SE_NS0_5tupleIJPjSE_EEENSF_IJSE_SE_EEES9_SG_JZNS1_25segmented_radix_sort_implINS0_14default_configELb0EPKsPsPKlPlN2at6native12_GLOBAL__N_18offset_tEEE10hipError_tPvRmT1_PNSt15iterator_traitsISY_E10value_typeET2_T3_PNSZ_IS14_E10value_typeET4_jRbjT5_S1A_jjP12ihipStream_tbEUljE_EEESV_SW_SX_S14_S18_S1A_T6_T7_T9_mT8_S1C_bDpT10_ENKUlT_T0_E_clISt17integral_constantIbLb0EES1P_EEDaS1K_S1L_EUlS1K_E_NS1_11comp_targetILNS1_3genE3ELNS1_11target_archE908ELNS1_3gpuE7ELNS1_3repE0EEENS1_30default_config_static_selectorELNS0_4arch9wavefront6targetE0EEEvSY_
		.amdhsa_group_segment_fixed_size 0
		.amdhsa_private_segment_fixed_size 0
		.amdhsa_kernarg_size 144
		.amdhsa_user_sgpr_count 15
		.amdhsa_user_sgpr_dispatch_ptr 0
		.amdhsa_user_sgpr_queue_ptr 0
		.amdhsa_user_sgpr_kernarg_segment_ptr 1
		.amdhsa_user_sgpr_dispatch_id 0
		.amdhsa_user_sgpr_private_segment_size 0
		.amdhsa_wavefront_size32 1
		.amdhsa_uses_dynamic_stack 0
		.amdhsa_enable_private_segment 0
		.amdhsa_system_sgpr_workgroup_id_x 1
		.amdhsa_system_sgpr_workgroup_id_y 0
		.amdhsa_system_sgpr_workgroup_id_z 0
		.amdhsa_system_sgpr_workgroup_info 0
		.amdhsa_system_vgpr_workitem_id 0
		.amdhsa_next_free_vgpr 1
		.amdhsa_next_free_sgpr 1
		.amdhsa_reserve_vcc 0
		.amdhsa_float_round_mode_32 0
		.amdhsa_float_round_mode_16_64 0
		.amdhsa_float_denorm_mode_32 3
		.amdhsa_float_denorm_mode_16_64 3
		.amdhsa_dx10_clamp 1
		.amdhsa_ieee_mode 1
		.amdhsa_fp16_overflow 0
		.amdhsa_workgroup_processor_mode 1
		.amdhsa_memory_ordered 1
		.amdhsa_forward_progress 0
		.amdhsa_shared_vgpr_count 0
		.amdhsa_exception_fp_ieee_invalid_op 0
		.amdhsa_exception_fp_denorm_src 0
		.amdhsa_exception_fp_ieee_div_zero 0
		.amdhsa_exception_fp_ieee_overflow 0
		.amdhsa_exception_fp_ieee_underflow 0
		.amdhsa_exception_fp_ieee_inexact 0
		.amdhsa_exception_int_div_zero 0
	.end_amdhsa_kernel
	.section	.text._ZN7rocprim17ROCPRIM_400000_NS6detail17trampoline_kernelINS0_13select_configILj256ELj13ELNS0_17block_load_methodE3ELS4_3ELS4_3ELNS0_20block_scan_algorithmE0ELj4294967295EEENS1_25partition_config_selectorILNS1_17partition_subalgoE3EjNS0_10empty_typeEbEEZZNS1_14partition_implILS8_3ELb0ES6_jNS0_17counting_iteratorIjlEEPS9_SE_NS0_5tupleIJPjSE_EEENSF_IJSE_SE_EEES9_SG_JZNS1_25segmented_radix_sort_implINS0_14default_configELb0EPKsPsPKlPlN2at6native12_GLOBAL__N_18offset_tEEE10hipError_tPvRmT1_PNSt15iterator_traitsISY_E10value_typeET2_T3_PNSZ_IS14_E10value_typeET4_jRbjT5_S1A_jjP12ihipStream_tbEUljE_EEESV_SW_SX_S14_S18_S1A_T6_T7_T9_mT8_S1C_bDpT10_ENKUlT_T0_E_clISt17integral_constantIbLb0EES1P_EEDaS1K_S1L_EUlS1K_E_NS1_11comp_targetILNS1_3genE3ELNS1_11target_archE908ELNS1_3gpuE7ELNS1_3repE0EEENS1_30default_config_static_selectorELNS0_4arch9wavefront6targetE0EEEvSY_,"axG",@progbits,_ZN7rocprim17ROCPRIM_400000_NS6detail17trampoline_kernelINS0_13select_configILj256ELj13ELNS0_17block_load_methodE3ELS4_3ELS4_3ELNS0_20block_scan_algorithmE0ELj4294967295EEENS1_25partition_config_selectorILNS1_17partition_subalgoE3EjNS0_10empty_typeEbEEZZNS1_14partition_implILS8_3ELb0ES6_jNS0_17counting_iteratorIjlEEPS9_SE_NS0_5tupleIJPjSE_EEENSF_IJSE_SE_EEES9_SG_JZNS1_25segmented_radix_sort_implINS0_14default_configELb0EPKsPsPKlPlN2at6native12_GLOBAL__N_18offset_tEEE10hipError_tPvRmT1_PNSt15iterator_traitsISY_E10value_typeET2_T3_PNSZ_IS14_E10value_typeET4_jRbjT5_S1A_jjP12ihipStream_tbEUljE_EEESV_SW_SX_S14_S18_S1A_T6_T7_T9_mT8_S1C_bDpT10_ENKUlT_T0_E_clISt17integral_constantIbLb0EES1P_EEDaS1K_S1L_EUlS1K_E_NS1_11comp_targetILNS1_3genE3ELNS1_11target_archE908ELNS1_3gpuE7ELNS1_3repE0EEENS1_30default_config_static_selectorELNS0_4arch9wavefront6targetE0EEEvSY_,comdat
.Lfunc_end985:
	.size	_ZN7rocprim17ROCPRIM_400000_NS6detail17trampoline_kernelINS0_13select_configILj256ELj13ELNS0_17block_load_methodE3ELS4_3ELS4_3ELNS0_20block_scan_algorithmE0ELj4294967295EEENS1_25partition_config_selectorILNS1_17partition_subalgoE3EjNS0_10empty_typeEbEEZZNS1_14partition_implILS8_3ELb0ES6_jNS0_17counting_iteratorIjlEEPS9_SE_NS0_5tupleIJPjSE_EEENSF_IJSE_SE_EEES9_SG_JZNS1_25segmented_radix_sort_implINS0_14default_configELb0EPKsPsPKlPlN2at6native12_GLOBAL__N_18offset_tEEE10hipError_tPvRmT1_PNSt15iterator_traitsISY_E10value_typeET2_T3_PNSZ_IS14_E10value_typeET4_jRbjT5_S1A_jjP12ihipStream_tbEUljE_EEESV_SW_SX_S14_S18_S1A_T6_T7_T9_mT8_S1C_bDpT10_ENKUlT_T0_E_clISt17integral_constantIbLb0EES1P_EEDaS1K_S1L_EUlS1K_E_NS1_11comp_targetILNS1_3genE3ELNS1_11target_archE908ELNS1_3gpuE7ELNS1_3repE0EEENS1_30default_config_static_selectorELNS0_4arch9wavefront6targetE0EEEvSY_, .Lfunc_end985-_ZN7rocprim17ROCPRIM_400000_NS6detail17trampoline_kernelINS0_13select_configILj256ELj13ELNS0_17block_load_methodE3ELS4_3ELS4_3ELNS0_20block_scan_algorithmE0ELj4294967295EEENS1_25partition_config_selectorILNS1_17partition_subalgoE3EjNS0_10empty_typeEbEEZZNS1_14partition_implILS8_3ELb0ES6_jNS0_17counting_iteratorIjlEEPS9_SE_NS0_5tupleIJPjSE_EEENSF_IJSE_SE_EEES9_SG_JZNS1_25segmented_radix_sort_implINS0_14default_configELb0EPKsPsPKlPlN2at6native12_GLOBAL__N_18offset_tEEE10hipError_tPvRmT1_PNSt15iterator_traitsISY_E10value_typeET2_T3_PNSZ_IS14_E10value_typeET4_jRbjT5_S1A_jjP12ihipStream_tbEUljE_EEESV_SW_SX_S14_S18_S1A_T6_T7_T9_mT8_S1C_bDpT10_ENKUlT_T0_E_clISt17integral_constantIbLb0EES1P_EEDaS1K_S1L_EUlS1K_E_NS1_11comp_targetILNS1_3genE3ELNS1_11target_archE908ELNS1_3gpuE7ELNS1_3repE0EEENS1_30default_config_static_selectorELNS0_4arch9wavefront6targetE0EEEvSY_
                                        ; -- End function
	.section	.AMDGPU.csdata,"",@progbits
; Kernel info:
; codeLenInByte = 0
; NumSgprs: 0
; NumVgprs: 0
; ScratchSize: 0
; MemoryBound: 0
; FloatMode: 240
; IeeeMode: 1
; LDSByteSize: 0 bytes/workgroup (compile time only)
; SGPRBlocks: 0
; VGPRBlocks: 0
; NumSGPRsForWavesPerEU: 1
; NumVGPRsForWavesPerEU: 1
; Occupancy: 16
; WaveLimiterHint : 0
; COMPUTE_PGM_RSRC2:SCRATCH_EN: 0
; COMPUTE_PGM_RSRC2:USER_SGPR: 15
; COMPUTE_PGM_RSRC2:TRAP_HANDLER: 0
; COMPUTE_PGM_RSRC2:TGID_X_EN: 1
; COMPUTE_PGM_RSRC2:TGID_Y_EN: 0
; COMPUTE_PGM_RSRC2:TGID_Z_EN: 0
; COMPUTE_PGM_RSRC2:TIDIG_COMP_CNT: 0
	.section	.text._ZN7rocprim17ROCPRIM_400000_NS6detail17trampoline_kernelINS0_13select_configILj256ELj13ELNS0_17block_load_methodE3ELS4_3ELS4_3ELNS0_20block_scan_algorithmE0ELj4294967295EEENS1_25partition_config_selectorILNS1_17partition_subalgoE3EjNS0_10empty_typeEbEEZZNS1_14partition_implILS8_3ELb0ES6_jNS0_17counting_iteratorIjlEEPS9_SE_NS0_5tupleIJPjSE_EEENSF_IJSE_SE_EEES9_SG_JZNS1_25segmented_radix_sort_implINS0_14default_configELb0EPKsPsPKlPlN2at6native12_GLOBAL__N_18offset_tEEE10hipError_tPvRmT1_PNSt15iterator_traitsISY_E10value_typeET2_T3_PNSZ_IS14_E10value_typeET4_jRbjT5_S1A_jjP12ihipStream_tbEUljE_EEESV_SW_SX_S14_S18_S1A_T6_T7_T9_mT8_S1C_bDpT10_ENKUlT_T0_E_clISt17integral_constantIbLb0EES1P_EEDaS1K_S1L_EUlS1K_E_NS1_11comp_targetILNS1_3genE2ELNS1_11target_archE906ELNS1_3gpuE6ELNS1_3repE0EEENS1_30default_config_static_selectorELNS0_4arch9wavefront6targetE0EEEvSY_,"axG",@progbits,_ZN7rocprim17ROCPRIM_400000_NS6detail17trampoline_kernelINS0_13select_configILj256ELj13ELNS0_17block_load_methodE3ELS4_3ELS4_3ELNS0_20block_scan_algorithmE0ELj4294967295EEENS1_25partition_config_selectorILNS1_17partition_subalgoE3EjNS0_10empty_typeEbEEZZNS1_14partition_implILS8_3ELb0ES6_jNS0_17counting_iteratorIjlEEPS9_SE_NS0_5tupleIJPjSE_EEENSF_IJSE_SE_EEES9_SG_JZNS1_25segmented_radix_sort_implINS0_14default_configELb0EPKsPsPKlPlN2at6native12_GLOBAL__N_18offset_tEEE10hipError_tPvRmT1_PNSt15iterator_traitsISY_E10value_typeET2_T3_PNSZ_IS14_E10value_typeET4_jRbjT5_S1A_jjP12ihipStream_tbEUljE_EEESV_SW_SX_S14_S18_S1A_T6_T7_T9_mT8_S1C_bDpT10_ENKUlT_T0_E_clISt17integral_constantIbLb0EES1P_EEDaS1K_S1L_EUlS1K_E_NS1_11comp_targetILNS1_3genE2ELNS1_11target_archE906ELNS1_3gpuE6ELNS1_3repE0EEENS1_30default_config_static_selectorELNS0_4arch9wavefront6targetE0EEEvSY_,comdat
	.globl	_ZN7rocprim17ROCPRIM_400000_NS6detail17trampoline_kernelINS0_13select_configILj256ELj13ELNS0_17block_load_methodE3ELS4_3ELS4_3ELNS0_20block_scan_algorithmE0ELj4294967295EEENS1_25partition_config_selectorILNS1_17partition_subalgoE3EjNS0_10empty_typeEbEEZZNS1_14partition_implILS8_3ELb0ES6_jNS0_17counting_iteratorIjlEEPS9_SE_NS0_5tupleIJPjSE_EEENSF_IJSE_SE_EEES9_SG_JZNS1_25segmented_radix_sort_implINS0_14default_configELb0EPKsPsPKlPlN2at6native12_GLOBAL__N_18offset_tEEE10hipError_tPvRmT1_PNSt15iterator_traitsISY_E10value_typeET2_T3_PNSZ_IS14_E10value_typeET4_jRbjT5_S1A_jjP12ihipStream_tbEUljE_EEESV_SW_SX_S14_S18_S1A_T6_T7_T9_mT8_S1C_bDpT10_ENKUlT_T0_E_clISt17integral_constantIbLb0EES1P_EEDaS1K_S1L_EUlS1K_E_NS1_11comp_targetILNS1_3genE2ELNS1_11target_archE906ELNS1_3gpuE6ELNS1_3repE0EEENS1_30default_config_static_selectorELNS0_4arch9wavefront6targetE0EEEvSY_ ; -- Begin function _ZN7rocprim17ROCPRIM_400000_NS6detail17trampoline_kernelINS0_13select_configILj256ELj13ELNS0_17block_load_methodE3ELS4_3ELS4_3ELNS0_20block_scan_algorithmE0ELj4294967295EEENS1_25partition_config_selectorILNS1_17partition_subalgoE3EjNS0_10empty_typeEbEEZZNS1_14partition_implILS8_3ELb0ES6_jNS0_17counting_iteratorIjlEEPS9_SE_NS0_5tupleIJPjSE_EEENSF_IJSE_SE_EEES9_SG_JZNS1_25segmented_radix_sort_implINS0_14default_configELb0EPKsPsPKlPlN2at6native12_GLOBAL__N_18offset_tEEE10hipError_tPvRmT1_PNSt15iterator_traitsISY_E10value_typeET2_T3_PNSZ_IS14_E10value_typeET4_jRbjT5_S1A_jjP12ihipStream_tbEUljE_EEESV_SW_SX_S14_S18_S1A_T6_T7_T9_mT8_S1C_bDpT10_ENKUlT_T0_E_clISt17integral_constantIbLb0EES1P_EEDaS1K_S1L_EUlS1K_E_NS1_11comp_targetILNS1_3genE2ELNS1_11target_archE906ELNS1_3gpuE6ELNS1_3repE0EEENS1_30default_config_static_selectorELNS0_4arch9wavefront6targetE0EEEvSY_
	.p2align	8
	.type	_ZN7rocprim17ROCPRIM_400000_NS6detail17trampoline_kernelINS0_13select_configILj256ELj13ELNS0_17block_load_methodE3ELS4_3ELS4_3ELNS0_20block_scan_algorithmE0ELj4294967295EEENS1_25partition_config_selectorILNS1_17partition_subalgoE3EjNS0_10empty_typeEbEEZZNS1_14partition_implILS8_3ELb0ES6_jNS0_17counting_iteratorIjlEEPS9_SE_NS0_5tupleIJPjSE_EEENSF_IJSE_SE_EEES9_SG_JZNS1_25segmented_radix_sort_implINS0_14default_configELb0EPKsPsPKlPlN2at6native12_GLOBAL__N_18offset_tEEE10hipError_tPvRmT1_PNSt15iterator_traitsISY_E10value_typeET2_T3_PNSZ_IS14_E10value_typeET4_jRbjT5_S1A_jjP12ihipStream_tbEUljE_EEESV_SW_SX_S14_S18_S1A_T6_T7_T9_mT8_S1C_bDpT10_ENKUlT_T0_E_clISt17integral_constantIbLb0EES1P_EEDaS1K_S1L_EUlS1K_E_NS1_11comp_targetILNS1_3genE2ELNS1_11target_archE906ELNS1_3gpuE6ELNS1_3repE0EEENS1_30default_config_static_selectorELNS0_4arch9wavefront6targetE0EEEvSY_,@function
_ZN7rocprim17ROCPRIM_400000_NS6detail17trampoline_kernelINS0_13select_configILj256ELj13ELNS0_17block_load_methodE3ELS4_3ELS4_3ELNS0_20block_scan_algorithmE0ELj4294967295EEENS1_25partition_config_selectorILNS1_17partition_subalgoE3EjNS0_10empty_typeEbEEZZNS1_14partition_implILS8_3ELb0ES6_jNS0_17counting_iteratorIjlEEPS9_SE_NS0_5tupleIJPjSE_EEENSF_IJSE_SE_EEES9_SG_JZNS1_25segmented_radix_sort_implINS0_14default_configELb0EPKsPsPKlPlN2at6native12_GLOBAL__N_18offset_tEEE10hipError_tPvRmT1_PNSt15iterator_traitsISY_E10value_typeET2_T3_PNSZ_IS14_E10value_typeET4_jRbjT5_S1A_jjP12ihipStream_tbEUljE_EEESV_SW_SX_S14_S18_S1A_T6_T7_T9_mT8_S1C_bDpT10_ENKUlT_T0_E_clISt17integral_constantIbLb0EES1P_EEDaS1K_S1L_EUlS1K_E_NS1_11comp_targetILNS1_3genE2ELNS1_11target_archE906ELNS1_3gpuE6ELNS1_3repE0EEENS1_30default_config_static_selectorELNS0_4arch9wavefront6targetE0EEEvSY_: ; @_ZN7rocprim17ROCPRIM_400000_NS6detail17trampoline_kernelINS0_13select_configILj256ELj13ELNS0_17block_load_methodE3ELS4_3ELS4_3ELNS0_20block_scan_algorithmE0ELj4294967295EEENS1_25partition_config_selectorILNS1_17partition_subalgoE3EjNS0_10empty_typeEbEEZZNS1_14partition_implILS8_3ELb0ES6_jNS0_17counting_iteratorIjlEEPS9_SE_NS0_5tupleIJPjSE_EEENSF_IJSE_SE_EEES9_SG_JZNS1_25segmented_radix_sort_implINS0_14default_configELb0EPKsPsPKlPlN2at6native12_GLOBAL__N_18offset_tEEE10hipError_tPvRmT1_PNSt15iterator_traitsISY_E10value_typeET2_T3_PNSZ_IS14_E10value_typeET4_jRbjT5_S1A_jjP12ihipStream_tbEUljE_EEESV_SW_SX_S14_S18_S1A_T6_T7_T9_mT8_S1C_bDpT10_ENKUlT_T0_E_clISt17integral_constantIbLb0EES1P_EEDaS1K_S1L_EUlS1K_E_NS1_11comp_targetILNS1_3genE2ELNS1_11target_archE906ELNS1_3gpuE6ELNS1_3repE0EEENS1_30default_config_static_selectorELNS0_4arch9wavefront6targetE0EEEvSY_
; %bb.0:
	.section	.rodata,"a",@progbits
	.p2align	6, 0x0
	.amdhsa_kernel _ZN7rocprim17ROCPRIM_400000_NS6detail17trampoline_kernelINS0_13select_configILj256ELj13ELNS0_17block_load_methodE3ELS4_3ELS4_3ELNS0_20block_scan_algorithmE0ELj4294967295EEENS1_25partition_config_selectorILNS1_17partition_subalgoE3EjNS0_10empty_typeEbEEZZNS1_14partition_implILS8_3ELb0ES6_jNS0_17counting_iteratorIjlEEPS9_SE_NS0_5tupleIJPjSE_EEENSF_IJSE_SE_EEES9_SG_JZNS1_25segmented_radix_sort_implINS0_14default_configELb0EPKsPsPKlPlN2at6native12_GLOBAL__N_18offset_tEEE10hipError_tPvRmT1_PNSt15iterator_traitsISY_E10value_typeET2_T3_PNSZ_IS14_E10value_typeET4_jRbjT5_S1A_jjP12ihipStream_tbEUljE_EEESV_SW_SX_S14_S18_S1A_T6_T7_T9_mT8_S1C_bDpT10_ENKUlT_T0_E_clISt17integral_constantIbLb0EES1P_EEDaS1K_S1L_EUlS1K_E_NS1_11comp_targetILNS1_3genE2ELNS1_11target_archE906ELNS1_3gpuE6ELNS1_3repE0EEENS1_30default_config_static_selectorELNS0_4arch9wavefront6targetE0EEEvSY_
		.amdhsa_group_segment_fixed_size 0
		.amdhsa_private_segment_fixed_size 0
		.amdhsa_kernarg_size 144
		.amdhsa_user_sgpr_count 15
		.amdhsa_user_sgpr_dispatch_ptr 0
		.amdhsa_user_sgpr_queue_ptr 0
		.amdhsa_user_sgpr_kernarg_segment_ptr 1
		.amdhsa_user_sgpr_dispatch_id 0
		.amdhsa_user_sgpr_private_segment_size 0
		.amdhsa_wavefront_size32 1
		.amdhsa_uses_dynamic_stack 0
		.amdhsa_enable_private_segment 0
		.amdhsa_system_sgpr_workgroup_id_x 1
		.amdhsa_system_sgpr_workgroup_id_y 0
		.amdhsa_system_sgpr_workgroup_id_z 0
		.amdhsa_system_sgpr_workgroup_info 0
		.amdhsa_system_vgpr_workitem_id 0
		.amdhsa_next_free_vgpr 1
		.amdhsa_next_free_sgpr 1
		.amdhsa_reserve_vcc 0
		.amdhsa_float_round_mode_32 0
		.amdhsa_float_round_mode_16_64 0
		.amdhsa_float_denorm_mode_32 3
		.amdhsa_float_denorm_mode_16_64 3
		.amdhsa_dx10_clamp 1
		.amdhsa_ieee_mode 1
		.amdhsa_fp16_overflow 0
		.amdhsa_workgroup_processor_mode 1
		.amdhsa_memory_ordered 1
		.amdhsa_forward_progress 0
		.amdhsa_shared_vgpr_count 0
		.amdhsa_exception_fp_ieee_invalid_op 0
		.amdhsa_exception_fp_denorm_src 0
		.amdhsa_exception_fp_ieee_div_zero 0
		.amdhsa_exception_fp_ieee_overflow 0
		.amdhsa_exception_fp_ieee_underflow 0
		.amdhsa_exception_fp_ieee_inexact 0
		.amdhsa_exception_int_div_zero 0
	.end_amdhsa_kernel
	.section	.text._ZN7rocprim17ROCPRIM_400000_NS6detail17trampoline_kernelINS0_13select_configILj256ELj13ELNS0_17block_load_methodE3ELS4_3ELS4_3ELNS0_20block_scan_algorithmE0ELj4294967295EEENS1_25partition_config_selectorILNS1_17partition_subalgoE3EjNS0_10empty_typeEbEEZZNS1_14partition_implILS8_3ELb0ES6_jNS0_17counting_iteratorIjlEEPS9_SE_NS0_5tupleIJPjSE_EEENSF_IJSE_SE_EEES9_SG_JZNS1_25segmented_radix_sort_implINS0_14default_configELb0EPKsPsPKlPlN2at6native12_GLOBAL__N_18offset_tEEE10hipError_tPvRmT1_PNSt15iterator_traitsISY_E10value_typeET2_T3_PNSZ_IS14_E10value_typeET4_jRbjT5_S1A_jjP12ihipStream_tbEUljE_EEESV_SW_SX_S14_S18_S1A_T6_T7_T9_mT8_S1C_bDpT10_ENKUlT_T0_E_clISt17integral_constantIbLb0EES1P_EEDaS1K_S1L_EUlS1K_E_NS1_11comp_targetILNS1_3genE2ELNS1_11target_archE906ELNS1_3gpuE6ELNS1_3repE0EEENS1_30default_config_static_selectorELNS0_4arch9wavefront6targetE0EEEvSY_,"axG",@progbits,_ZN7rocprim17ROCPRIM_400000_NS6detail17trampoline_kernelINS0_13select_configILj256ELj13ELNS0_17block_load_methodE3ELS4_3ELS4_3ELNS0_20block_scan_algorithmE0ELj4294967295EEENS1_25partition_config_selectorILNS1_17partition_subalgoE3EjNS0_10empty_typeEbEEZZNS1_14partition_implILS8_3ELb0ES6_jNS0_17counting_iteratorIjlEEPS9_SE_NS0_5tupleIJPjSE_EEENSF_IJSE_SE_EEES9_SG_JZNS1_25segmented_radix_sort_implINS0_14default_configELb0EPKsPsPKlPlN2at6native12_GLOBAL__N_18offset_tEEE10hipError_tPvRmT1_PNSt15iterator_traitsISY_E10value_typeET2_T3_PNSZ_IS14_E10value_typeET4_jRbjT5_S1A_jjP12ihipStream_tbEUljE_EEESV_SW_SX_S14_S18_S1A_T6_T7_T9_mT8_S1C_bDpT10_ENKUlT_T0_E_clISt17integral_constantIbLb0EES1P_EEDaS1K_S1L_EUlS1K_E_NS1_11comp_targetILNS1_3genE2ELNS1_11target_archE906ELNS1_3gpuE6ELNS1_3repE0EEENS1_30default_config_static_selectorELNS0_4arch9wavefront6targetE0EEEvSY_,comdat
.Lfunc_end986:
	.size	_ZN7rocprim17ROCPRIM_400000_NS6detail17trampoline_kernelINS0_13select_configILj256ELj13ELNS0_17block_load_methodE3ELS4_3ELS4_3ELNS0_20block_scan_algorithmE0ELj4294967295EEENS1_25partition_config_selectorILNS1_17partition_subalgoE3EjNS0_10empty_typeEbEEZZNS1_14partition_implILS8_3ELb0ES6_jNS0_17counting_iteratorIjlEEPS9_SE_NS0_5tupleIJPjSE_EEENSF_IJSE_SE_EEES9_SG_JZNS1_25segmented_radix_sort_implINS0_14default_configELb0EPKsPsPKlPlN2at6native12_GLOBAL__N_18offset_tEEE10hipError_tPvRmT1_PNSt15iterator_traitsISY_E10value_typeET2_T3_PNSZ_IS14_E10value_typeET4_jRbjT5_S1A_jjP12ihipStream_tbEUljE_EEESV_SW_SX_S14_S18_S1A_T6_T7_T9_mT8_S1C_bDpT10_ENKUlT_T0_E_clISt17integral_constantIbLb0EES1P_EEDaS1K_S1L_EUlS1K_E_NS1_11comp_targetILNS1_3genE2ELNS1_11target_archE906ELNS1_3gpuE6ELNS1_3repE0EEENS1_30default_config_static_selectorELNS0_4arch9wavefront6targetE0EEEvSY_, .Lfunc_end986-_ZN7rocprim17ROCPRIM_400000_NS6detail17trampoline_kernelINS0_13select_configILj256ELj13ELNS0_17block_load_methodE3ELS4_3ELS4_3ELNS0_20block_scan_algorithmE0ELj4294967295EEENS1_25partition_config_selectorILNS1_17partition_subalgoE3EjNS0_10empty_typeEbEEZZNS1_14partition_implILS8_3ELb0ES6_jNS0_17counting_iteratorIjlEEPS9_SE_NS0_5tupleIJPjSE_EEENSF_IJSE_SE_EEES9_SG_JZNS1_25segmented_radix_sort_implINS0_14default_configELb0EPKsPsPKlPlN2at6native12_GLOBAL__N_18offset_tEEE10hipError_tPvRmT1_PNSt15iterator_traitsISY_E10value_typeET2_T3_PNSZ_IS14_E10value_typeET4_jRbjT5_S1A_jjP12ihipStream_tbEUljE_EEESV_SW_SX_S14_S18_S1A_T6_T7_T9_mT8_S1C_bDpT10_ENKUlT_T0_E_clISt17integral_constantIbLb0EES1P_EEDaS1K_S1L_EUlS1K_E_NS1_11comp_targetILNS1_3genE2ELNS1_11target_archE906ELNS1_3gpuE6ELNS1_3repE0EEENS1_30default_config_static_selectorELNS0_4arch9wavefront6targetE0EEEvSY_
                                        ; -- End function
	.section	.AMDGPU.csdata,"",@progbits
; Kernel info:
; codeLenInByte = 0
; NumSgprs: 0
; NumVgprs: 0
; ScratchSize: 0
; MemoryBound: 0
; FloatMode: 240
; IeeeMode: 1
; LDSByteSize: 0 bytes/workgroup (compile time only)
; SGPRBlocks: 0
; VGPRBlocks: 0
; NumSGPRsForWavesPerEU: 1
; NumVGPRsForWavesPerEU: 1
; Occupancy: 16
; WaveLimiterHint : 0
; COMPUTE_PGM_RSRC2:SCRATCH_EN: 0
; COMPUTE_PGM_RSRC2:USER_SGPR: 15
; COMPUTE_PGM_RSRC2:TRAP_HANDLER: 0
; COMPUTE_PGM_RSRC2:TGID_X_EN: 1
; COMPUTE_PGM_RSRC2:TGID_Y_EN: 0
; COMPUTE_PGM_RSRC2:TGID_Z_EN: 0
; COMPUTE_PGM_RSRC2:TIDIG_COMP_CNT: 0
	.section	.text._ZN7rocprim17ROCPRIM_400000_NS6detail17trampoline_kernelINS0_13select_configILj256ELj13ELNS0_17block_load_methodE3ELS4_3ELS4_3ELNS0_20block_scan_algorithmE0ELj4294967295EEENS1_25partition_config_selectorILNS1_17partition_subalgoE3EjNS0_10empty_typeEbEEZZNS1_14partition_implILS8_3ELb0ES6_jNS0_17counting_iteratorIjlEEPS9_SE_NS0_5tupleIJPjSE_EEENSF_IJSE_SE_EEES9_SG_JZNS1_25segmented_radix_sort_implINS0_14default_configELb0EPKsPsPKlPlN2at6native12_GLOBAL__N_18offset_tEEE10hipError_tPvRmT1_PNSt15iterator_traitsISY_E10value_typeET2_T3_PNSZ_IS14_E10value_typeET4_jRbjT5_S1A_jjP12ihipStream_tbEUljE_EEESV_SW_SX_S14_S18_S1A_T6_T7_T9_mT8_S1C_bDpT10_ENKUlT_T0_E_clISt17integral_constantIbLb0EES1P_EEDaS1K_S1L_EUlS1K_E_NS1_11comp_targetILNS1_3genE10ELNS1_11target_archE1200ELNS1_3gpuE4ELNS1_3repE0EEENS1_30default_config_static_selectorELNS0_4arch9wavefront6targetE0EEEvSY_,"axG",@progbits,_ZN7rocprim17ROCPRIM_400000_NS6detail17trampoline_kernelINS0_13select_configILj256ELj13ELNS0_17block_load_methodE3ELS4_3ELS4_3ELNS0_20block_scan_algorithmE0ELj4294967295EEENS1_25partition_config_selectorILNS1_17partition_subalgoE3EjNS0_10empty_typeEbEEZZNS1_14partition_implILS8_3ELb0ES6_jNS0_17counting_iteratorIjlEEPS9_SE_NS0_5tupleIJPjSE_EEENSF_IJSE_SE_EEES9_SG_JZNS1_25segmented_radix_sort_implINS0_14default_configELb0EPKsPsPKlPlN2at6native12_GLOBAL__N_18offset_tEEE10hipError_tPvRmT1_PNSt15iterator_traitsISY_E10value_typeET2_T3_PNSZ_IS14_E10value_typeET4_jRbjT5_S1A_jjP12ihipStream_tbEUljE_EEESV_SW_SX_S14_S18_S1A_T6_T7_T9_mT8_S1C_bDpT10_ENKUlT_T0_E_clISt17integral_constantIbLb0EES1P_EEDaS1K_S1L_EUlS1K_E_NS1_11comp_targetILNS1_3genE10ELNS1_11target_archE1200ELNS1_3gpuE4ELNS1_3repE0EEENS1_30default_config_static_selectorELNS0_4arch9wavefront6targetE0EEEvSY_,comdat
	.globl	_ZN7rocprim17ROCPRIM_400000_NS6detail17trampoline_kernelINS0_13select_configILj256ELj13ELNS0_17block_load_methodE3ELS4_3ELS4_3ELNS0_20block_scan_algorithmE0ELj4294967295EEENS1_25partition_config_selectorILNS1_17partition_subalgoE3EjNS0_10empty_typeEbEEZZNS1_14partition_implILS8_3ELb0ES6_jNS0_17counting_iteratorIjlEEPS9_SE_NS0_5tupleIJPjSE_EEENSF_IJSE_SE_EEES9_SG_JZNS1_25segmented_radix_sort_implINS0_14default_configELb0EPKsPsPKlPlN2at6native12_GLOBAL__N_18offset_tEEE10hipError_tPvRmT1_PNSt15iterator_traitsISY_E10value_typeET2_T3_PNSZ_IS14_E10value_typeET4_jRbjT5_S1A_jjP12ihipStream_tbEUljE_EEESV_SW_SX_S14_S18_S1A_T6_T7_T9_mT8_S1C_bDpT10_ENKUlT_T0_E_clISt17integral_constantIbLb0EES1P_EEDaS1K_S1L_EUlS1K_E_NS1_11comp_targetILNS1_3genE10ELNS1_11target_archE1200ELNS1_3gpuE4ELNS1_3repE0EEENS1_30default_config_static_selectorELNS0_4arch9wavefront6targetE0EEEvSY_ ; -- Begin function _ZN7rocprim17ROCPRIM_400000_NS6detail17trampoline_kernelINS0_13select_configILj256ELj13ELNS0_17block_load_methodE3ELS4_3ELS4_3ELNS0_20block_scan_algorithmE0ELj4294967295EEENS1_25partition_config_selectorILNS1_17partition_subalgoE3EjNS0_10empty_typeEbEEZZNS1_14partition_implILS8_3ELb0ES6_jNS0_17counting_iteratorIjlEEPS9_SE_NS0_5tupleIJPjSE_EEENSF_IJSE_SE_EEES9_SG_JZNS1_25segmented_radix_sort_implINS0_14default_configELb0EPKsPsPKlPlN2at6native12_GLOBAL__N_18offset_tEEE10hipError_tPvRmT1_PNSt15iterator_traitsISY_E10value_typeET2_T3_PNSZ_IS14_E10value_typeET4_jRbjT5_S1A_jjP12ihipStream_tbEUljE_EEESV_SW_SX_S14_S18_S1A_T6_T7_T9_mT8_S1C_bDpT10_ENKUlT_T0_E_clISt17integral_constantIbLb0EES1P_EEDaS1K_S1L_EUlS1K_E_NS1_11comp_targetILNS1_3genE10ELNS1_11target_archE1200ELNS1_3gpuE4ELNS1_3repE0EEENS1_30default_config_static_selectorELNS0_4arch9wavefront6targetE0EEEvSY_
	.p2align	8
	.type	_ZN7rocprim17ROCPRIM_400000_NS6detail17trampoline_kernelINS0_13select_configILj256ELj13ELNS0_17block_load_methodE3ELS4_3ELS4_3ELNS0_20block_scan_algorithmE0ELj4294967295EEENS1_25partition_config_selectorILNS1_17partition_subalgoE3EjNS0_10empty_typeEbEEZZNS1_14partition_implILS8_3ELb0ES6_jNS0_17counting_iteratorIjlEEPS9_SE_NS0_5tupleIJPjSE_EEENSF_IJSE_SE_EEES9_SG_JZNS1_25segmented_radix_sort_implINS0_14default_configELb0EPKsPsPKlPlN2at6native12_GLOBAL__N_18offset_tEEE10hipError_tPvRmT1_PNSt15iterator_traitsISY_E10value_typeET2_T3_PNSZ_IS14_E10value_typeET4_jRbjT5_S1A_jjP12ihipStream_tbEUljE_EEESV_SW_SX_S14_S18_S1A_T6_T7_T9_mT8_S1C_bDpT10_ENKUlT_T0_E_clISt17integral_constantIbLb0EES1P_EEDaS1K_S1L_EUlS1K_E_NS1_11comp_targetILNS1_3genE10ELNS1_11target_archE1200ELNS1_3gpuE4ELNS1_3repE0EEENS1_30default_config_static_selectorELNS0_4arch9wavefront6targetE0EEEvSY_,@function
_ZN7rocprim17ROCPRIM_400000_NS6detail17trampoline_kernelINS0_13select_configILj256ELj13ELNS0_17block_load_methodE3ELS4_3ELS4_3ELNS0_20block_scan_algorithmE0ELj4294967295EEENS1_25partition_config_selectorILNS1_17partition_subalgoE3EjNS0_10empty_typeEbEEZZNS1_14partition_implILS8_3ELb0ES6_jNS0_17counting_iteratorIjlEEPS9_SE_NS0_5tupleIJPjSE_EEENSF_IJSE_SE_EEES9_SG_JZNS1_25segmented_radix_sort_implINS0_14default_configELb0EPKsPsPKlPlN2at6native12_GLOBAL__N_18offset_tEEE10hipError_tPvRmT1_PNSt15iterator_traitsISY_E10value_typeET2_T3_PNSZ_IS14_E10value_typeET4_jRbjT5_S1A_jjP12ihipStream_tbEUljE_EEESV_SW_SX_S14_S18_S1A_T6_T7_T9_mT8_S1C_bDpT10_ENKUlT_T0_E_clISt17integral_constantIbLb0EES1P_EEDaS1K_S1L_EUlS1K_E_NS1_11comp_targetILNS1_3genE10ELNS1_11target_archE1200ELNS1_3gpuE4ELNS1_3repE0EEENS1_30default_config_static_selectorELNS0_4arch9wavefront6targetE0EEEvSY_: ; @_ZN7rocprim17ROCPRIM_400000_NS6detail17trampoline_kernelINS0_13select_configILj256ELj13ELNS0_17block_load_methodE3ELS4_3ELS4_3ELNS0_20block_scan_algorithmE0ELj4294967295EEENS1_25partition_config_selectorILNS1_17partition_subalgoE3EjNS0_10empty_typeEbEEZZNS1_14partition_implILS8_3ELb0ES6_jNS0_17counting_iteratorIjlEEPS9_SE_NS0_5tupleIJPjSE_EEENSF_IJSE_SE_EEES9_SG_JZNS1_25segmented_radix_sort_implINS0_14default_configELb0EPKsPsPKlPlN2at6native12_GLOBAL__N_18offset_tEEE10hipError_tPvRmT1_PNSt15iterator_traitsISY_E10value_typeET2_T3_PNSZ_IS14_E10value_typeET4_jRbjT5_S1A_jjP12ihipStream_tbEUljE_EEESV_SW_SX_S14_S18_S1A_T6_T7_T9_mT8_S1C_bDpT10_ENKUlT_T0_E_clISt17integral_constantIbLb0EES1P_EEDaS1K_S1L_EUlS1K_E_NS1_11comp_targetILNS1_3genE10ELNS1_11target_archE1200ELNS1_3gpuE4ELNS1_3repE0EEENS1_30default_config_static_selectorELNS0_4arch9wavefront6targetE0EEEvSY_
; %bb.0:
	.section	.rodata,"a",@progbits
	.p2align	6, 0x0
	.amdhsa_kernel _ZN7rocprim17ROCPRIM_400000_NS6detail17trampoline_kernelINS0_13select_configILj256ELj13ELNS0_17block_load_methodE3ELS4_3ELS4_3ELNS0_20block_scan_algorithmE0ELj4294967295EEENS1_25partition_config_selectorILNS1_17partition_subalgoE3EjNS0_10empty_typeEbEEZZNS1_14partition_implILS8_3ELb0ES6_jNS0_17counting_iteratorIjlEEPS9_SE_NS0_5tupleIJPjSE_EEENSF_IJSE_SE_EEES9_SG_JZNS1_25segmented_radix_sort_implINS0_14default_configELb0EPKsPsPKlPlN2at6native12_GLOBAL__N_18offset_tEEE10hipError_tPvRmT1_PNSt15iterator_traitsISY_E10value_typeET2_T3_PNSZ_IS14_E10value_typeET4_jRbjT5_S1A_jjP12ihipStream_tbEUljE_EEESV_SW_SX_S14_S18_S1A_T6_T7_T9_mT8_S1C_bDpT10_ENKUlT_T0_E_clISt17integral_constantIbLb0EES1P_EEDaS1K_S1L_EUlS1K_E_NS1_11comp_targetILNS1_3genE10ELNS1_11target_archE1200ELNS1_3gpuE4ELNS1_3repE0EEENS1_30default_config_static_selectorELNS0_4arch9wavefront6targetE0EEEvSY_
		.amdhsa_group_segment_fixed_size 0
		.amdhsa_private_segment_fixed_size 0
		.amdhsa_kernarg_size 144
		.amdhsa_user_sgpr_count 15
		.amdhsa_user_sgpr_dispatch_ptr 0
		.amdhsa_user_sgpr_queue_ptr 0
		.amdhsa_user_sgpr_kernarg_segment_ptr 1
		.amdhsa_user_sgpr_dispatch_id 0
		.amdhsa_user_sgpr_private_segment_size 0
		.amdhsa_wavefront_size32 1
		.amdhsa_uses_dynamic_stack 0
		.amdhsa_enable_private_segment 0
		.amdhsa_system_sgpr_workgroup_id_x 1
		.amdhsa_system_sgpr_workgroup_id_y 0
		.amdhsa_system_sgpr_workgroup_id_z 0
		.amdhsa_system_sgpr_workgroup_info 0
		.amdhsa_system_vgpr_workitem_id 0
		.amdhsa_next_free_vgpr 1
		.amdhsa_next_free_sgpr 1
		.amdhsa_reserve_vcc 0
		.amdhsa_float_round_mode_32 0
		.amdhsa_float_round_mode_16_64 0
		.amdhsa_float_denorm_mode_32 3
		.amdhsa_float_denorm_mode_16_64 3
		.amdhsa_dx10_clamp 1
		.amdhsa_ieee_mode 1
		.amdhsa_fp16_overflow 0
		.amdhsa_workgroup_processor_mode 1
		.amdhsa_memory_ordered 1
		.amdhsa_forward_progress 0
		.amdhsa_shared_vgpr_count 0
		.amdhsa_exception_fp_ieee_invalid_op 0
		.amdhsa_exception_fp_denorm_src 0
		.amdhsa_exception_fp_ieee_div_zero 0
		.amdhsa_exception_fp_ieee_overflow 0
		.amdhsa_exception_fp_ieee_underflow 0
		.amdhsa_exception_fp_ieee_inexact 0
		.amdhsa_exception_int_div_zero 0
	.end_amdhsa_kernel
	.section	.text._ZN7rocprim17ROCPRIM_400000_NS6detail17trampoline_kernelINS0_13select_configILj256ELj13ELNS0_17block_load_methodE3ELS4_3ELS4_3ELNS0_20block_scan_algorithmE0ELj4294967295EEENS1_25partition_config_selectorILNS1_17partition_subalgoE3EjNS0_10empty_typeEbEEZZNS1_14partition_implILS8_3ELb0ES6_jNS0_17counting_iteratorIjlEEPS9_SE_NS0_5tupleIJPjSE_EEENSF_IJSE_SE_EEES9_SG_JZNS1_25segmented_radix_sort_implINS0_14default_configELb0EPKsPsPKlPlN2at6native12_GLOBAL__N_18offset_tEEE10hipError_tPvRmT1_PNSt15iterator_traitsISY_E10value_typeET2_T3_PNSZ_IS14_E10value_typeET4_jRbjT5_S1A_jjP12ihipStream_tbEUljE_EEESV_SW_SX_S14_S18_S1A_T6_T7_T9_mT8_S1C_bDpT10_ENKUlT_T0_E_clISt17integral_constantIbLb0EES1P_EEDaS1K_S1L_EUlS1K_E_NS1_11comp_targetILNS1_3genE10ELNS1_11target_archE1200ELNS1_3gpuE4ELNS1_3repE0EEENS1_30default_config_static_selectorELNS0_4arch9wavefront6targetE0EEEvSY_,"axG",@progbits,_ZN7rocprim17ROCPRIM_400000_NS6detail17trampoline_kernelINS0_13select_configILj256ELj13ELNS0_17block_load_methodE3ELS4_3ELS4_3ELNS0_20block_scan_algorithmE0ELj4294967295EEENS1_25partition_config_selectorILNS1_17partition_subalgoE3EjNS0_10empty_typeEbEEZZNS1_14partition_implILS8_3ELb0ES6_jNS0_17counting_iteratorIjlEEPS9_SE_NS0_5tupleIJPjSE_EEENSF_IJSE_SE_EEES9_SG_JZNS1_25segmented_radix_sort_implINS0_14default_configELb0EPKsPsPKlPlN2at6native12_GLOBAL__N_18offset_tEEE10hipError_tPvRmT1_PNSt15iterator_traitsISY_E10value_typeET2_T3_PNSZ_IS14_E10value_typeET4_jRbjT5_S1A_jjP12ihipStream_tbEUljE_EEESV_SW_SX_S14_S18_S1A_T6_T7_T9_mT8_S1C_bDpT10_ENKUlT_T0_E_clISt17integral_constantIbLb0EES1P_EEDaS1K_S1L_EUlS1K_E_NS1_11comp_targetILNS1_3genE10ELNS1_11target_archE1200ELNS1_3gpuE4ELNS1_3repE0EEENS1_30default_config_static_selectorELNS0_4arch9wavefront6targetE0EEEvSY_,comdat
.Lfunc_end987:
	.size	_ZN7rocprim17ROCPRIM_400000_NS6detail17trampoline_kernelINS0_13select_configILj256ELj13ELNS0_17block_load_methodE3ELS4_3ELS4_3ELNS0_20block_scan_algorithmE0ELj4294967295EEENS1_25partition_config_selectorILNS1_17partition_subalgoE3EjNS0_10empty_typeEbEEZZNS1_14partition_implILS8_3ELb0ES6_jNS0_17counting_iteratorIjlEEPS9_SE_NS0_5tupleIJPjSE_EEENSF_IJSE_SE_EEES9_SG_JZNS1_25segmented_radix_sort_implINS0_14default_configELb0EPKsPsPKlPlN2at6native12_GLOBAL__N_18offset_tEEE10hipError_tPvRmT1_PNSt15iterator_traitsISY_E10value_typeET2_T3_PNSZ_IS14_E10value_typeET4_jRbjT5_S1A_jjP12ihipStream_tbEUljE_EEESV_SW_SX_S14_S18_S1A_T6_T7_T9_mT8_S1C_bDpT10_ENKUlT_T0_E_clISt17integral_constantIbLb0EES1P_EEDaS1K_S1L_EUlS1K_E_NS1_11comp_targetILNS1_3genE10ELNS1_11target_archE1200ELNS1_3gpuE4ELNS1_3repE0EEENS1_30default_config_static_selectorELNS0_4arch9wavefront6targetE0EEEvSY_, .Lfunc_end987-_ZN7rocprim17ROCPRIM_400000_NS6detail17trampoline_kernelINS0_13select_configILj256ELj13ELNS0_17block_load_methodE3ELS4_3ELS4_3ELNS0_20block_scan_algorithmE0ELj4294967295EEENS1_25partition_config_selectorILNS1_17partition_subalgoE3EjNS0_10empty_typeEbEEZZNS1_14partition_implILS8_3ELb0ES6_jNS0_17counting_iteratorIjlEEPS9_SE_NS0_5tupleIJPjSE_EEENSF_IJSE_SE_EEES9_SG_JZNS1_25segmented_radix_sort_implINS0_14default_configELb0EPKsPsPKlPlN2at6native12_GLOBAL__N_18offset_tEEE10hipError_tPvRmT1_PNSt15iterator_traitsISY_E10value_typeET2_T3_PNSZ_IS14_E10value_typeET4_jRbjT5_S1A_jjP12ihipStream_tbEUljE_EEESV_SW_SX_S14_S18_S1A_T6_T7_T9_mT8_S1C_bDpT10_ENKUlT_T0_E_clISt17integral_constantIbLb0EES1P_EEDaS1K_S1L_EUlS1K_E_NS1_11comp_targetILNS1_3genE10ELNS1_11target_archE1200ELNS1_3gpuE4ELNS1_3repE0EEENS1_30default_config_static_selectorELNS0_4arch9wavefront6targetE0EEEvSY_
                                        ; -- End function
	.section	.AMDGPU.csdata,"",@progbits
; Kernel info:
; codeLenInByte = 0
; NumSgprs: 0
; NumVgprs: 0
; ScratchSize: 0
; MemoryBound: 0
; FloatMode: 240
; IeeeMode: 1
; LDSByteSize: 0 bytes/workgroup (compile time only)
; SGPRBlocks: 0
; VGPRBlocks: 0
; NumSGPRsForWavesPerEU: 1
; NumVGPRsForWavesPerEU: 1
; Occupancy: 16
; WaveLimiterHint : 0
; COMPUTE_PGM_RSRC2:SCRATCH_EN: 0
; COMPUTE_PGM_RSRC2:USER_SGPR: 15
; COMPUTE_PGM_RSRC2:TRAP_HANDLER: 0
; COMPUTE_PGM_RSRC2:TGID_X_EN: 1
; COMPUTE_PGM_RSRC2:TGID_Y_EN: 0
; COMPUTE_PGM_RSRC2:TGID_Z_EN: 0
; COMPUTE_PGM_RSRC2:TIDIG_COMP_CNT: 0
	.section	.text._ZN7rocprim17ROCPRIM_400000_NS6detail17trampoline_kernelINS0_13select_configILj256ELj13ELNS0_17block_load_methodE3ELS4_3ELS4_3ELNS0_20block_scan_algorithmE0ELj4294967295EEENS1_25partition_config_selectorILNS1_17partition_subalgoE3EjNS0_10empty_typeEbEEZZNS1_14partition_implILS8_3ELb0ES6_jNS0_17counting_iteratorIjlEEPS9_SE_NS0_5tupleIJPjSE_EEENSF_IJSE_SE_EEES9_SG_JZNS1_25segmented_radix_sort_implINS0_14default_configELb0EPKsPsPKlPlN2at6native12_GLOBAL__N_18offset_tEEE10hipError_tPvRmT1_PNSt15iterator_traitsISY_E10value_typeET2_T3_PNSZ_IS14_E10value_typeET4_jRbjT5_S1A_jjP12ihipStream_tbEUljE_EEESV_SW_SX_S14_S18_S1A_T6_T7_T9_mT8_S1C_bDpT10_ENKUlT_T0_E_clISt17integral_constantIbLb0EES1P_EEDaS1K_S1L_EUlS1K_E_NS1_11comp_targetILNS1_3genE9ELNS1_11target_archE1100ELNS1_3gpuE3ELNS1_3repE0EEENS1_30default_config_static_selectorELNS0_4arch9wavefront6targetE0EEEvSY_,"axG",@progbits,_ZN7rocprim17ROCPRIM_400000_NS6detail17trampoline_kernelINS0_13select_configILj256ELj13ELNS0_17block_load_methodE3ELS4_3ELS4_3ELNS0_20block_scan_algorithmE0ELj4294967295EEENS1_25partition_config_selectorILNS1_17partition_subalgoE3EjNS0_10empty_typeEbEEZZNS1_14partition_implILS8_3ELb0ES6_jNS0_17counting_iteratorIjlEEPS9_SE_NS0_5tupleIJPjSE_EEENSF_IJSE_SE_EEES9_SG_JZNS1_25segmented_radix_sort_implINS0_14default_configELb0EPKsPsPKlPlN2at6native12_GLOBAL__N_18offset_tEEE10hipError_tPvRmT1_PNSt15iterator_traitsISY_E10value_typeET2_T3_PNSZ_IS14_E10value_typeET4_jRbjT5_S1A_jjP12ihipStream_tbEUljE_EEESV_SW_SX_S14_S18_S1A_T6_T7_T9_mT8_S1C_bDpT10_ENKUlT_T0_E_clISt17integral_constantIbLb0EES1P_EEDaS1K_S1L_EUlS1K_E_NS1_11comp_targetILNS1_3genE9ELNS1_11target_archE1100ELNS1_3gpuE3ELNS1_3repE0EEENS1_30default_config_static_selectorELNS0_4arch9wavefront6targetE0EEEvSY_,comdat
	.globl	_ZN7rocprim17ROCPRIM_400000_NS6detail17trampoline_kernelINS0_13select_configILj256ELj13ELNS0_17block_load_methodE3ELS4_3ELS4_3ELNS0_20block_scan_algorithmE0ELj4294967295EEENS1_25partition_config_selectorILNS1_17partition_subalgoE3EjNS0_10empty_typeEbEEZZNS1_14partition_implILS8_3ELb0ES6_jNS0_17counting_iteratorIjlEEPS9_SE_NS0_5tupleIJPjSE_EEENSF_IJSE_SE_EEES9_SG_JZNS1_25segmented_radix_sort_implINS0_14default_configELb0EPKsPsPKlPlN2at6native12_GLOBAL__N_18offset_tEEE10hipError_tPvRmT1_PNSt15iterator_traitsISY_E10value_typeET2_T3_PNSZ_IS14_E10value_typeET4_jRbjT5_S1A_jjP12ihipStream_tbEUljE_EEESV_SW_SX_S14_S18_S1A_T6_T7_T9_mT8_S1C_bDpT10_ENKUlT_T0_E_clISt17integral_constantIbLb0EES1P_EEDaS1K_S1L_EUlS1K_E_NS1_11comp_targetILNS1_3genE9ELNS1_11target_archE1100ELNS1_3gpuE3ELNS1_3repE0EEENS1_30default_config_static_selectorELNS0_4arch9wavefront6targetE0EEEvSY_ ; -- Begin function _ZN7rocprim17ROCPRIM_400000_NS6detail17trampoline_kernelINS0_13select_configILj256ELj13ELNS0_17block_load_methodE3ELS4_3ELS4_3ELNS0_20block_scan_algorithmE0ELj4294967295EEENS1_25partition_config_selectorILNS1_17partition_subalgoE3EjNS0_10empty_typeEbEEZZNS1_14partition_implILS8_3ELb0ES6_jNS0_17counting_iteratorIjlEEPS9_SE_NS0_5tupleIJPjSE_EEENSF_IJSE_SE_EEES9_SG_JZNS1_25segmented_radix_sort_implINS0_14default_configELb0EPKsPsPKlPlN2at6native12_GLOBAL__N_18offset_tEEE10hipError_tPvRmT1_PNSt15iterator_traitsISY_E10value_typeET2_T3_PNSZ_IS14_E10value_typeET4_jRbjT5_S1A_jjP12ihipStream_tbEUljE_EEESV_SW_SX_S14_S18_S1A_T6_T7_T9_mT8_S1C_bDpT10_ENKUlT_T0_E_clISt17integral_constantIbLb0EES1P_EEDaS1K_S1L_EUlS1K_E_NS1_11comp_targetILNS1_3genE9ELNS1_11target_archE1100ELNS1_3gpuE3ELNS1_3repE0EEENS1_30default_config_static_selectorELNS0_4arch9wavefront6targetE0EEEvSY_
	.p2align	8
	.type	_ZN7rocprim17ROCPRIM_400000_NS6detail17trampoline_kernelINS0_13select_configILj256ELj13ELNS0_17block_load_methodE3ELS4_3ELS4_3ELNS0_20block_scan_algorithmE0ELj4294967295EEENS1_25partition_config_selectorILNS1_17partition_subalgoE3EjNS0_10empty_typeEbEEZZNS1_14partition_implILS8_3ELb0ES6_jNS0_17counting_iteratorIjlEEPS9_SE_NS0_5tupleIJPjSE_EEENSF_IJSE_SE_EEES9_SG_JZNS1_25segmented_radix_sort_implINS0_14default_configELb0EPKsPsPKlPlN2at6native12_GLOBAL__N_18offset_tEEE10hipError_tPvRmT1_PNSt15iterator_traitsISY_E10value_typeET2_T3_PNSZ_IS14_E10value_typeET4_jRbjT5_S1A_jjP12ihipStream_tbEUljE_EEESV_SW_SX_S14_S18_S1A_T6_T7_T9_mT8_S1C_bDpT10_ENKUlT_T0_E_clISt17integral_constantIbLb0EES1P_EEDaS1K_S1L_EUlS1K_E_NS1_11comp_targetILNS1_3genE9ELNS1_11target_archE1100ELNS1_3gpuE3ELNS1_3repE0EEENS1_30default_config_static_selectorELNS0_4arch9wavefront6targetE0EEEvSY_,@function
_ZN7rocprim17ROCPRIM_400000_NS6detail17trampoline_kernelINS0_13select_configILj256ELj13ELNS0_17block_load_methodE3ELS4_3ELS4_3ELNS0_20block_scan_algorithmE0ELj4294967295EEENS1_25partition_config_selectorILNS1_17partition_subalgoE3EjNS0_10empty_typeEbEEZZNS1_14partition_implILS8_3ELb0ES6_jNS0_17counting_iteratorIjlEEPS9_SE_NS0_5tupleIJPjSE_EEENSF_IJSE_SE_EEES9_SG_JZNS1_25segmented_radix_sort_implINS0_14default_configELb0EPKsPsPKlPlN2at6native12_GLOBAL__N_18offset_tEEE10hipError_tPvRmT1_PNSt15iterator_traitsISY_E10value_typeET2_T3_PNSZ_IS14_E10value_typeET4_jRbjT5_S1A_jjP12ihipStream_tbEUljE_EEESV_SW_SX_S14_S18_S1A_T6_T7_T9_mT8_S1C_bDpT10_ENKUlT_T0_E_clISt17integral_constantIbLb0EES1P_EEDaS1K_S1L_EUlS1K_E_NS1_11comp_targetILNS1_3genE9ELNS1_11target_archE1100ELNS1_3gpuE3ELNS1_3repE0EEENS1_30default_config_static_selectorELNS0_4arch9wavefront6targetE0EEEvSY_: ; @_ZN7rocprim17ROCPRIM_400000_NS6detail17trampoline_kernelINS0_13select_configILj256ELj13ELNS0_17block_load_methodE3ELS4_3ELS4_3ELNS0_20block_scan_algorithmE0ELj4294967295EEENS1_25partition_config_selectorILNS1_17partition_subalgoE3EjNS0_10empty_typeEbEEZZNS1_14partition_implILS8_3ELb0ES6_jNS0_17counting_iteratorIjlEEPS9_SE_NS0_5tupleIJPjSE_EEENSF_IJSE_SE_EEES9_SG_JZNS1_25segmented_radix_sort_implINS0_14default_configELb0EPKsPsPKlPlN2at6native12_GLOBAL__N_18offset_tEEE10hipError_tPvRmT1_PNSt15iterator_traitsISY_E10value_typeET2_T3_PNSZ_IS14_E10value_typeET4_jRbjT5_S1A_jjP12ihipStream_tbEUljE_EEESV_SW_SX_S14_S18_S1A_T6_T7_T9_mT8_S1C_bDpT10_ENKUlT_T0_E_clISt17integral_constantIbLb0EES1P_EEDaS1K_S1L_EUlS1K_E_NS1_11comp_targetILNS1_3genE9ELNS1_11target_archE1100ELNS1_3gpuE3ELNS1_3repE0EEENS1_30default_config_static_selectorELNS0_4arch9wavefront6targetE0EEEvSY_
; %bb.0:
	s_clause 0x5
	s_load_b32 s2, s[0:1], 0x70
	s_load_b64 s[16:17], s[0:1], 0x10
	s_load_b64 s[12:13], s[0:1], 0x58
	s_load_b32 s18, s[0:1], 0x8
	s_load_b128 s[8:11], s[0:1], 0x48
	s_load_b128 s[4:7], s[0:1], 0x78
	s_mul_i32 s23, s15, 0xd00
	v_lshlrev_b32_e32 v30, 2, v0
	s_waitcnt lgkmcnt(0)
	s_mul_i32 s20, s2, 0xd00
	s_add_i32 s19, s2, -1
	s_add_u32 s2, s16, s20
	s_addc_u32 s3, s17, 0
	s_cmp_eq_u32 s15, s19
	v_cmp_lt_u64_e64 s3, s[2:3], s[12:13]
	s_cselect_b32 s14, -1, 0
	s_cmp_lg_u32 s15, s19
	s_cselect_b32 s21, -1, 0
	s_add_i32 s2, s18, s23
	s_delay_alu instid0(VALU_DEP_1)
	s_or_b32 s3, s21, s3
	s_add_i32 s18, s2, s16
	s_load_b32 s2, s[0:1], 0x88
	v_add_nc_u32_e32 v1, s18, v0
	s_load_b64 s[18:19], s[10:11], 0x0
	s_and_b32 vcc_lo, exec_lo, s3
	s_mov_b32 s10, -1
	s_delay_alu instid0(VALU_DEP_1)
	v_add_nc_u32_e32 v2, 0x100, v1
	v_add_nc_u32_e32 v3, 0x200, v1
	;; [unrolled: 1-line block ×12, first 2 shown]
	s_cbranch_vccz .LBB988_2
; %bb.1:
	ds_store_2addr_stride64_b32 v30, v1, v2 offset1:4
	ds_store_2addr_stride64_b32 v30, v3, v4 offset0:8 offset1:12
	ds_store_2addr_stride64_b32 v30, v5, v6 offset0:16 offset1:20
	;; [unrolled: 1-line block ×5, first 2 shown]
	ds_store_b32 v30, v13 offset:12288
	s_waitcnt lgkmcnt(0)
	s_mov_b32 s10, 0
	s_barrier
.LBB988_2:
	s_and_not1_b32 vcc_lo, exec_lo, s10
	s_add_i32 s20, s20, s16
	s_cbranch_vccnz .LBB988_4
; %bb.3:
	ds_store_2addr_stride64_b32 v30, v1, v2 offset1:4
	ds_store_2addr_stride64_b32 v30, v3, v4 offset0:8 offset1:12
	ds_store_2addr_stride64_b32 v30, v5, v6 offset0:16 offset1:20
	;; [unrolled: 1-line block ×5, first 2 shown]
	ds_store_b32 v30, v13 offset:12288
	s_waitcnt lgkmcnt(0)
	s_barrier
.LBB988_4:
	v_mul_u32_u24_e32 v33, 13, v0
	s_waitcnt lgkmcnt(0)
	buffer_gl0_inv
	v_cndmask_b32_e64 v31, 0, 1, s3
	s_sub_i32 s22, s12, s20
	s_and_not1_b32 vcc_lo, exec_lo, s3
	v_lshlrev_b32_e32 v1, 2, v33
	ds_load_2addr_b32 v[28:29], v1 offset1:1
	ds_load_2addr_b32 v[26:27], v1 offset0:2 offset1:3
	ds_load_2addr_b32 v[24:25], v1 offset0:4 offset1:5
	;; [unrolled: 1-line block ×5, first 2 shown]
	ds_load_b32 v32, v1 offset:48
	s_waitcnt lgkmcnt(0)
	s_barrier
	buffer_gl0_inv
	s_cbranch_vccnz .LBB988_6
; %bb.5:
	v_add_nc_u32_e32 v1, s5, v28
	v_add_nc_u32_e32 v2, s7, v28
	;; [unrolled: 1-line block ×5, first 2 shown]
	v_mul_lo_u32 v1, v1, s4
	v_mul_lo_u32 v2, v2, s6
	;; [unrolled: 1-line block ×4, first 2 shown]
	v_add_nc_u32_e32 v6, s7, v26
	v_add_nc_u32_e32 v7, s5, v27
	;; [unrolled: 1-line block ×3, first 2 shown]
	v_mul_lo_u32 v5, v5, s4
	v_add_nc_u32_e32 v9, s5, v22
	v_sub_nc_u32_e32 v1, v1, v2
	v_mul_lo_u32 v2, v6, s6
	v_sub_nc_u32_e32 v3, v3, v4
	v_mul_lo_u32 v4, v7, s4
	v_mul_lo_u32 v6, v8, s6
	v_add_nc_u32_e32 v7, s5, v24
	v_cmp_lt_u32_e32 vcc_lo, s2, v1
	v_add_nc_u32_e32 v8, s5, v25
	v_add_nc_u32_e32 v10, s7, v22
	v_sub_nc_u32_e32 v2, v5, v2
	v_add_nc_u32_e32 v5, s7, v24
	v_cndmask_b32_e64 v1, 0, 1, vcc_lo
	v_sub_nc_u32_e32 v4, v4, v6
	v_mul_lo_u32 v6, v7, s4
	v_add_nc_u32_e32 v7, s7, v25
	v_cmp_lt_u32_e32 vcc_lo, s2, v3
	v_mul_lo_u32 v5, v5, s6
	v_mul_lo_u32 v8, v8, s4
	;; [unrolled: 1-line block ×4, first 2 shown]
	v_cndmask_b32_e64 v3, 0, 1, vcc_lo
	v_cmp_lt_u32_e32 vcc_lo, s2, v2
	v_mul_lo_u32 v10, v10, s6
	v_add_nc_u32_e32 v11, s5, v20
	v_sub_nc_u32_e32 v5, v6, v5
	v_add_nc_u32_e32 v12, s7, v20
	v_cndmask_b32_e64 v2, 0, 1, vcc_lo
	v_sub_nc_u32_e32 v6, v8, v7
	v_add_nc_u32_e32 v7, s5, v23
	v_add_nc_u32_e32 v8, s7, v23
	v_cmp_lt_u32_e32 vcc_lo, s2, v4
	v_sub_nc_u32_e32 v9, v9, v10
	v_mul_lo_u32 v10, v11, s4
	v_mul_lo_u32 v7, v7, s4
	;; [unrolled: 1-line block ×4, first 2 shown]
	v_cndmask_b32_e64 v4, 0, 1, vcc_lo
	v_cmp_lt_u32_e32 vcc_lo, s2, v5
	v_add_nc_u32_e32 v12, s5, v21
	v_add_nc_u32_e32 v13, s7, v18
	;; [unrolled: 1-line block ×4, first 2 shown]
	v_cndmask_b32_e64 v5, 0, 1, vcc_lo
	v_cmp_lt_u32_e32 vcc_lo, s2, v6
	v_sub_nc_u32_e32 v7, v7, v8
	v_sub_nc_u32_e32 v8, v10, v11
	v_add_nc_u32_e32 v11, s7, v21
	v_mul_lo_u32 v10, v12, s4
	v_cndmask_b32_e64 v6, 0, 1, vcc_lo
	v_cmp_lt_u32_e32 vcc_lo, s2, v9
	v_add_nc_u32_e32 v12, s5, v18
	v_mul_lo_u32 v11, v11, s6
	v_mul_lo_u32 v13, v13, s6
	;; [unrolled: 1-line block ×3, first 2 shown]
	v_cndmask_b32_e64 v9, 0, 1, vcc_lo
	v_cmp_lt_u32_e32 vcc_lo, s2, v7
	v_mul_lo_u32 v12, v12, s4
	v_mul_lo_u32 v15, v15, s6
	v_lshlrev_b16 v3, 8, v3
	v_sub_nc_u32_e32 v10, v10, v11
	v_cndmask_b32_e64 v7, 0, 1, vcc_lo
	v_cmp_lt_u32_e32 vcc_lo, s2, v8
	v_add_nc_u32_e32 v11, s5, v32
	v_or_b32_e32 v1, v1, v3
	v_sub_nc_u32_e32 v12, v12, v13
	v_sub_nc_u32_e32 v13, v14, v15
	v_cndmask_b32_e64 v8, 0, 1, vcc_lo
	v_cmp_lt_u32_e32 vcc_lo, s2, v10
	v_add_nc_u32_e32 v16, s7, v32
	v_mul_lo_u32 v11, v11, s4
	v_lshlrev_b16 v4, 8, v4
	v_lshlrev_b16 v6, 8, v6
	v_cndmask_b32_e64 v10, 0, 1, vcc_lo
	v_cmp_lt_u32_e32 vcc_lo, s2, v12
	v_mul_lo_u32 v14, v16, s6
	v_lshlrev_b16 v7, 8, v7
	v_or_b32_e32 v2, v2, v4
	v_lshlrev_b16 v10, 8, v10
	v_cndmask_b32_e64 v3, 0, 1, vcc_lo
	v_cmp_lt_u32_e32 vcc_lo, s2, v13
	v_or_b32_e32 v4, v5, v6
	v_or_b32_e32 v5, v9, v7
	v_sub_nc_u32_e32 v11, v11, v14
	v_or_b32_e32 v6, v8, v10
	v_cndmask_b32_e64 v12, 0, 1, vcc_lo
	v_and_b32_e32 v1, 0xffff, v1
	v_lshlrev_b32_e32 v2, 16, v2
	v_and_b32_e32 v4, 0xffff, v4
	v_lshlrev_b32_e32 v5, 16, v5
	v_lshlrev_b16 v12, 8, v12
	v_and_b32_e32 v6, 0xffff, v6
	v_cmp_lt_u32_e32 vcc_lo, s2, v11
	v_or_b32_e32 v39, v1, v2
	v_or_b32_e32 v37, v4, v5
	;; [unrolled: 1-line block ×3, first 2 shown]
	s_mov_b32 s3, 0
	v_cndmask_b32_e64 v34, 0, 1, vcc_lo
	s_delay_alu instid0(VALU_DEP_2) | instskip(NEXT) | instid1(VALU_DEP_1)
	v_lshlrev_b32_e32 v3, 16, v3
	v_or_b32_e32 v35, v6, v3
	s_branch .LBB988_7
.LBB988_6:
	s_mov_b32 s3, -1
                                        ; implicit-def: $vgpr34
                                        ; implicit-def: $vgpr35
                                        ; implicit-def: $vgpr37
                                        ; implicit-def: $vgpr39
.LBB988_7:
	s_clause 0x1
	s_load_b64 s[10:11], s[0:1], 0x28
	s_load_b64 s[20:21], s[0:1], 0x68
	s_and_not1_b32 vcc_lo, exec_lo, s3
	s_addk_i32 s22, 0xd00
	s_cbranch_vccnz .LBB988_35
; %bb.8:
	v_dual_mov_b32 v2, 0 :: v_dual_mov_b32 v1, 0
	s_mov_b32 s0, exec_lo
	v_cmpx_gt_u32_e64 s22, v33
; %bb.9:
	v_add_nc_u32_e32 v1, s5, v28
	v_add_nc_u32_e32 v3, s7, v28
	s_delay_alu instid0(VALU_DEP_2) | instskip(NEXT) | instid1(VALU_DEP_2)
	v_mul_lo_u32 v1, v1, s4
	v_mul_lo_u32 v3, v3, s6
	s_delay_alu instid0(VALU_DEP_1) | instskip(NEXT) | instid1(VALU_DEP_1)
	v_sub_nc_u32_e32 v1, v1, v3
	v_cmp_lt_u32_e32 vcc_lo, s2, v1
	v_cndmask_b32_e64 v1, 0, 1, vcc_lo
; %bb.10:
	s_or_b32 exec_lo, exec_lo, s0
	v_add_nc_u32_e32 v3, 1, v33
	s_mov_b32 s0, exec_lo
	s_delay_alu instid0(VALU_DEP_1)
	v_cmpx_gt_u32_e64 s22, v3
; %bb.11:
	v_add_nc_u32_e32 v2, s5, v29
	v_add_nc_u32_e32 v3, s7, v29
	s_delay_alu instid0(VALU_DEP_2) | instskip(NEXT) | instid1(VALU_DEP_2)
	v_mul_lo_u32 v2, v2, s4
	v_mul_lo_u32 v3, v3, s6
	s_delay_alu instid0(VALU_DEP_1) | instskip(NEXT) | instid1(VALU_DEP_1)
	v_sub_nc_u32_e32 v2, v2, v3
	v_cmp_lt_u32_e32 vcc_lo, s2, v2
	v_cndmask_b32_e64 v2, 0, 1, vcc_lo
; %bb.12:
	s_or_b32 exec_lo, exec_lo, s0
	v_dual_mov_b32 v4, 0 :: v_dual_add_nc_u32 v3, 2, v33
	s_delay_alu instid0(VALU_DEP_1)
	v_cmp_gt_u32_e32 vcc_lo, s22, v3
	v_mov_b32_e32 v3, 0
	s_and_saveexec_b32 s0, vcc_lo
; %bb.13:
	v_add_nc_u32_e32 v3, s5, v26
	v_add_nc_u32_e32 v5, s7, v26
	s_delay_alu instid0(VALU_DEP_2) | instskip(NEXT) | instid1(VALU_DEP_2)
	v_mul_lo_u32 v3, v3, s4
	v_mul_lo_u32 v5, v5, s6
	s_delay_alu instid0(VALU_DEP_1) | instskip(NEXT) | instid1(VALU_DEP_1)
	v_sub_nc_u32_e32 v3, v3, v5
	v_cmp_lt_u32_e32 vcc_lo, s2, v3
	v_cndmask_b32_e64 v3, 0, 1, vcc_lo
; %bb.14:
	s_or_b32 exec_lo, exec_lo, s0
	v_add_nc_u32_e32 v5, 3, v33
	s_mov_b32 s0, exec_lo
	s_delay_alu instid0(VALU_DEP_1)
	v_cmpx_gt_u32_e64 s22, v5
; %bb.15:
	v_add_nc_u32_e32 v4, s5, v27
	v_add_nc_u32_e32 v5, s7, v27
	s_delay_alu instid0(VALU_DEP_2) | instskip(NEXT) | instid1(VALU_DEP_2)
	v_mul_lo_u32 v4, v4, s4
	v_mul_lo_u32 v5, v5, s6
	s_delay_alu instid0(VALU_DEP_1) | instskip(NEXT) | instid1(VALU_DEP_1)
	v_sub_nc_u32_e32 v4, v4, v5
	v_cmp_lt_u32_e32 vcc_lo, s2, v4
	v_cndmask_b32_e64 v4, 0, 1, vcc_lo
; %bb.16:
	s_or_b32 exec_lo, exec_lo, s0
	v_dual_mov_b32 v6, 0 :: v_dual_add_nc_u32 v5, 4, v33
	s_delay_alu instid0(VALU_DEP_1)
	v_cmp_gt_u32_e32 vcc_lo, s22, v5
	v_mov_b32_e32 v5, 0
	s_and_saveexec_b32 s0, vcc_lo
	;; [unrolled: 33-line block ×5, first 2 shown]
; %bb.29:
	v_add_nc_u32_e32 v11, s5, v18
	v_add_nc_u32_e32 v13, s7, v18
	s_delay_alu instid0(VALU_DEP_2) | instskip(NEXT) | instid1(VALU_DEP_2)
	v_mul_lo_u32 v11, v11, s4
	v_mul_lo_u32 v13, v13, s6
	s_delay_alu instid0(VALU_DEP_1) | instskip(NEXT) | instid1(VALU_DEP_1)
	v_sub_nc_u32_e32 v11, v11, v13
	v_cmp_lt_u32_e32 vcc_lo, s2, v11
	v_cndmask_b32_e64 v11, 0, 1, vcc_lo
; %bb.30:
	s_or_b32 exec_lo, exec_lo, s0
	v_add_nc_u32_e32 v13, 11, v33
	s_mov_b32 s0, exec_lo
	s_delay_alu instid0(VALU_DEP_1)
	v_cmpx_gt_u32_e64 s22, v13
; %bb.31:
	v_add_nc_u32_e32 v12, s5, v19
	v_add_nc_u32_e32 v13, s7, v19
	s_delay_alu instid0(VALU_DEP_2) | instskip(NEXT) | instid1(VALU_DEP_2)
	v_mul_lo_u32 v12, v12, s4
	v_mul_lo_u32 v13, v13, s6
	s_delay_alu instid0(VALU_DEP_1) | instskip(NEXT) | instid1(VALU_DEP_1)
	v_sub_nc_u32_e32 v12, v12, v13
	v_cmp_lt_u32_e32 vcc_lo, s2, v12
	v_cndmask_b32_e64 v12, 0, 1, vcc_lo
; %bb.32:
	s_or_b32 exec_lo, exec_lo, s0
	v_dual_mov_b32 v34, 0 :: v_dual_add_nc_u32 v13, 12, v33
	s_mov_b32 s0, exec_lo
	s_delay_alu instid0(VALU_DEP_1)
	v_cmpx_gt_u32_e64 s22, v13
; %bb.33:
	v_add_nc_u32_e32 v13, s5, v32
	v_add_nc_u32_e32 v14, s7, v32
	s_delay_alu instid0(VALU_DEP_2) | instskip(NEXT) | instid1(VALU_DEP_2)
	v_mul_lo_u32 v13, v13, s4
	v_mul_lo_u32 v14, v14, s6
	s_delay_alu instid0(VALU_DEP_1) | instskip(NEXT) | instid1(VALU_DEP_1)
	v_sub_nc_u32_e32 v13, v13, v14
	v_cmp_lt_u32_e32 vcc_lo, s2, v13
	v_cndmask_b32_e64 v34, 0, 1, vcc_lo
; %bb.34:
	s_or_b32 exec_lo, exec_lo, s0
	v_lshlrev_b16 v2, 8, v2
	v_lshlrev_b16 v4, 8, v4
	;; [unrolled: 1-line block ×5, first 2 shown]
	v_or_b32_e32 v1, v1, v2
	v_lshlrev_b16 v2, 8, v12
	v_or_b32_e32 v3, v3, v4
	v_or_b32_e32 v4, v5, v6
	;; [unrolled: 1-line block ×5, first 2 shown]
	v_and_b32_e32 v1, 0xffff, v1
	v_lshlrev_b32_e32 v3, 16, v3
	v_and_b32_e32 v4, 0xffff, v4
	v_lshlrev_b32_e32 v5, 16, v5
	;; [unrolled: 2-line block ×3, first 2 shown]
	v_or_b32_e32 v39, v1, v3
	s_delay_alu instid0(VALU_DEP_4) | instskip(NEXT) | instid1(VALU_DEP_3)
	v_or_b32_e32 v37, v4, v5
	v_or_b32_e32 v35, v6, v2
.LBB988_35:
	s_delay_alu instid0(VALU_DEP_3)
	v_and_b32_e32 v41, 0xff, v39
	v_bfe_u32 v42, v39, 8, 8
	v_bfe_u32 v43, v39, 16, 8
	v_lshrrev_b32_e32 v40, 24, v39
	v_and_b32_e32 v44, 0xff, v37
	v_bfe_u32 v45, v37, 8, 8
	v_bfe_u32 v46, v37, 16, 8
	v_add3_u32 v1, v42, v41, v43
	v_lshrrev_b32_e32 v38, 24, v37
	v_and_b32_e32 v47, 0xff, v35
	v_bfe_u32 v48, v35, 8, 8
	v_mbcnt_lo_u32_b32 v50, -1, 0
	v_add3_u32 v1, v1, v40, v44
	v_bfe_u32 v49, v35, 16, 8
	v_lshrrev_b32_e32 v36, 24, v35
	v_and_b32_e32 v2, 0xff, v34
	v_and_b32_e32 v3, 15, v50
	v_add3_u32 v1, v1, v45, v46
	v_or_b32_e32 v4, 31, v0
	v_and_b32_e32 v5, 16, v50
	v_lshrrev_b32_e32 v51, 5, v0
	v_cmp_eq_u32_e64 s5, 0, v3
	v_add3_u32 v1, v1, v38, v47
	v_cmp_lt_u32_e64 s4, 1, v3
	v_cmp_lt_u32_e64 s3, 3, v3
	;; [unrolled: 1-line block ×3, first 2 shown]
	v_cmp_eq_u32_e64 s1, 0, v5
	v_add3_u32 v1, v1, v48, v49
	v_cmp_eq_u32_e64 s0, v4, v0
	s_cmp_lg_u32 s15, 0
	s_mov_b32 s6, -1
	s_delay_alu instid0(VALU_DEP_2)
	v_add3_u32 v52, v1, v36, v2
	s_cbranch_scc0 .LBB988_61
; %bb.36:
	s_delay_alu instid0(VALU_DEP_1) | instskip(NEXT) | instid1(VALU_DEP_1)
	v_mov_b32_dpp v1, v52 row_shr:1 row_mask:0xf bank_mask:0xf
	v_cndmask_b32_e64 v1, v1, 0, s5
	s_delay_alu instid0(VALU_DEP_1) | instskip(NEXT) | instid1(VALU_DEP_1)
	v_add_nc_u32_e32 v1, v1, v52
	v_mov_b32_dpp v2, v1 row_shr:2 row_mask:0xf bank_mask:0xf
	s_delay_alu instid0(VALU_DEP_1) | instskip(NEXT) | instid1(VALU_DEP_1)
	v_cndmask_b32_e64 v2, 0, v2, s4
	v_add_nc_u32_e32 v1, v1, v2
	s_delay_alu instid0(VALU_DEP_1) | instskip(NEXT) | instid1(VALU_DEP_1)
	v_mov_b32_dpp v2, v1 row_shr:4 row_mask:0xf bank_mask:0xf
	v_cndmask_b32_e64 v2, 0, v2, s3
	s_delay_alu instid0(VALU_DEP_1) | instskip(NEXT) | instid1(VALU_DEP_1)
	v_add_nc_u32_e32 v1, v1, v2
	v_mov_b32_dpp v2, v1 row_shr:8 row_mask:0xf bank_mask:0xf
	s_delay_alu instid0(VALU_DEP_1) | instskip(NEXT) | instid1(VALU_DEP_1)
	v_cndmask_b32_e64 v2, 0, v2, s2
	v_add_nc_u32_e32 v1, v1, v2
	ds_swizzle_b32 v2, v1 offset:swizzle(BROADCAST,32,15)
	s_waitcnt lgkmcnt(0)
	v_cndmask_b32_e64 v2, v2, 0, s1
	s_delay_alu instid0(VALU_DEP_1)
	v_add_nc_u32_e32 v1, v1, v2
	s_and_saveexec_b32 s6, s0
	s_cbranch_execz .LBB988_38
; %bb.37:
	v_lshlrev_b32_e32 v2, 2, v51
	ds_store_b32 v2, v1
.LBB988_38:
	s_or_b32 exec_lo, exec_lo, s6
	s_delay_alu instid0(SALU_CYCLE_1)
	s_mov_b32 s6, exec_lo
	s_waitcnt lgkmcnt(0)
	s_barrier
	buffer_gl0_inv
	v_cmpx_gt_u32_e32 8, v0
	s_cbranch_execz .LBB988_40
; %bb.39:
	ds_load_b32 v2, v30
	s_waitcnt lgkmcnt(0)
	v_mov_b32_dpp v4, v2 row_shr:1 row_mask:0xf bank_mask:0xf
	v_and_b32_e32 v3, 7, v50
	s_delay_alu instid0(VALU_DEP_1) | instskip(NEXT) | instid1(VALU_DEP_3)
	v_cmp_ne_u32_e32 vcc_lo, 0, v3
	v_cndmask_b32_e32 v4, 0, v4, vcc_lo
	v_cmp_lt_u32_e32 vcc_lo, 1, v3
	s_delay_alu instid0(VALU_DEP_2) | instskip(NEXT) | instid1(VALU_DEP_1)
	v_add_nc_u32_e32 v2, v4, v2
	v_mov_b32_dpp v4, v2 row_shr:2 row_mask:0xf bank_mask:0xf
	s_delay_alu instid0(VALU_DEP_1) | instskip(SKIP_1) | instid1(VALU_DEP_2)
	v_cndmask_b32_e32 v4, 0, v4, vcc_lo
	v_cmp_lt_u32_e32 vcc_lo, 3, v3
	v_add_nc_u32_e32 v2, v2, v4
	s_delay_alu instid0(VALU_DEP_1) | instskip(NEXT) | instid1(VALU_DEP_1)
	v_mov_b32_dpp v4, v2 row_shr:4 row_mask:0xf bank_mask:0xf
	v_cndmask_b32_e32 v3, 0, v4, vcc_lo
	s_delay_alu instid0(VALU_DEP_1)
	v_add_nc_u32_e32 v2, v2, v3
	ds_store_b32 v30, v2
.LBB988_40:
	s_or_b32 exec_lo, exec_lo, s6
	v_cmp_gt_u32_e32 vcc_lo, 32, v0
	s_mov_b32 s7, exec_lo
	s_waitcnt lgkmcnt(0)
	s_barrier
	buffer_gl0_inv
                                        ; implicit-def: $vgpr8
	v_cmpx_lt_u32_e32 31, v0
	s_cbranch_execz .LBB988_42
; %bb.41:
	v_lshl_add_u32 v2, v51, 2, -4
	ds_load_b32 v8, v2
	s_waitcnt lgkmcnt(0)
	v_add_nc_u32_e32 v1, v8, v1
.LBB988_42:
	s_or_b32 exec_lo, exec_lo, s7
	v_add_nc_u32_e32 v2, -1, v50
	s_delay_alu instid0(VALU_DEP_1) | instskip(NEXT) | instid1(VALU_DEP_1)
	v_cmp_gt_i32_e64 s6, 0, v2
	v_cndmask_b32_e64 v2, v2, v50, s6
	v_cmp_eq_u32_e64 s6, 0, v50
	s_delay_alu instid0(VALU_DEP_2)
	v_lshlrev_b32_e32 v2, 2, v2
	ds_bpermute_b32 v9, v2, v1
	s_and_saveexec_b32 s7, vcc_lo
	s_cbranch_execz .LBB988_60
; %bb.43:
	v_mov_b32_e32 v4, 0
	ds_load_b32 v1, v4 offset:28
	s_and_saveexec_b32 s24, s6
	s_cbranch_execz .LBB988_45
; %bb.44:
	s_add_i32 s26, s15, 32
	s_mov_b32 s27, 0
	v_mov_b32_e32 v2, 1
	s_lshl_b64 s[26:27], s[26:27], 3
	s_delay_alu instid0(SALU_CYCLE_1)
	s_add_u32 s26, s20, s26
	s_addc_u32 s27, s21, s27
	s_waitcnt lgkmcnt(0)
	global_store_b64 v4, v[1:2], s[26:27]
.LBB988_45:
	s_or_b32 exec_lo, exec_lo, s24
	v_xad_u32 v2, v50, -1, s15
	s_mov_b32 s25, 0
	s_mov_b32 s24, exec_lo
	s_delay_alu instid0(VALU_DEP_1) | instskip(NEXT) | instid1(VALU_DEP_1)
	v_add_nc_u32_e32 v3, 32, v2
	v_lshlrev_b64 v[3:4], 3, v[3:4]
	s_delay_alu instid0(VALU_DEP_1) | instskip(NEXT) | instid1(VALU_DEP_2)
	v_add_co_u32 v6, vcc_lo, s20, v3
	v_add_co_ci_u32_e32 v7, vcc_lo, s21, v4, vcc_lo
	global_load_b64 v[4:5], v[6:7], off glc
	s_waitcnt vmcnt(0)
	v_and_b32_e32 v3, 0xff, v5
	s_delay_alu instid0(VALU_DEP_1)
	v_cmpx_eq_u16_e32 0, v3
	s_cbranch_execz .LBB988_48
.LBB988_46:                             ; =>This Inner Loop Header: Depth=1
	global_load_b64 v[4:5], v[6:7], off glc
	s_waitcnt vmcnt(0)
	v_and_b32_e32 v3, 0xff, v5
	s_delay_alu instid0(VALU_DEP_1) | instskip(SKIP_1) | instid1(SALU_CYCLE_1)
	v_cmp_ne_u16_e32 vcc_lo, 0, v3
	s_or_b32 s25, vcc_lo, s25
	s_and_not1_b32 exec_lo, exec_lo, s25
	s_cbranch_execnz .LBB988_46
; %bb.47:
	s_or_b32 exec_lo, exec_lo, s25
.LBB988_48:
	s_delay_alu instid0(SALU_CYCLE_1)
	s_or_b32 exec_lo, exec_lo, s24
	v_cmp_ne_u32_e32 vcc_lo, 31, v50
	v_lshlrev_b32_e64 v11, v50, -1
	v_add_nc_u32_e32 v13, 2, v50
	v_add_nc_u32_e32 v16, 4, v50
	;; [unrolled: 1-line block ×3, first 2 shown]
	v_add_co_ci_u32_e32 v3, vcc_lo, 0, v50, vcc_lo
	v_add_nc_u32_e32 v55, 16, v50
	s_delay_alu instid0(VALU_DEP_2) | instskip(SKIP_2) | instid1(VALU_DEP_1)
	v_lshlrev_b32_e32 v10, 2, v3
	ds_bpermute_b32 v6, v10, v4
	v_and_b32_e32 v3, 0xff, v5
	v_cmp_eq_u16_e32 vcc_lo, 2, v3
	v_and_or_b32 v3, vcc_lo, v11, 0x80000000
	v_cmp_gt_u32_e32 vcc_lo, 30, v50
	s_delay_alu instid0(VALU_DEP_2) | instskip(SKIP_1) | instid1(VALU_DEP_2)
	v_ctz_i32_b32_e32 v3, v3
	v_cndmask_b32_e64 v7, 0, 1, vcc_lo
	v_cmp_lt_u32_e32 vcc_lo, v50, v3
	s_waitcnt lgkmcnt(0)
	s_delay_alu instid0(VALU_DEP_2) | instskip(NEXT) | instid1(VALU_DEP_1)
	v_dual_cndmask_b32 v6, 0, v6 :: v_dual_lshlrev_b32 v7, 1, v7
	v_add_lshl_u32 v12, v7, v50, 2
	v_cmp_gt_u32_e32 vcc_lo, 28, v50
	s_delay_alu instid0(VALU_DEP_3) | instskip(SKIP_4) | instid1(VALU_DEP_1)
	v_add_nc_u32_e32 v4, v6, v4
	v_cndmask_b32_e64 v7, 0, 1, vcc_lo
	v_cmp_le_u32_e32 vcc_lo, v13, v3
	ds_bpermute_b32 v6, v12, v4
	v_lshlrev_b32_e32 v7, 2, v7
	v_add_lshl_u32 v14, v7, v50, 2
	s_waitcnt lgkmcnt(0)
	v_cndmask_b32_e32 v6, 0, v6, vcc_lo
	v_cmp_gt_u32_e32 vcc_lo, 24, v50
	s_delay_alu instid0(VALU_DEP_2) | instskip(SKIP_4) | instid1(VALU_DEP_1)
	v_add_nc_u32_e32 v4, v4, v6
	v_cndmask_b32_e64 v7, 0, 1, vcc_lo
	v_cmp_le_u32_e32 vcc_lo, v16, v3
	ds_bpermute_b32 v6, v14, v4
	v_lshlrev_b32_e32 v7, 3, v7
	v_add_lshl_u32 v17, v7, v50, 2
	s_waitcnt lgkmcnt(0)
	v_cndmask_b32_e32 v6, 0, v6, vcc_lo
	v_cmp_gt_u32_e32 vcc_lo, 16, v50
	s_delay_alu instid0(VALU_DEP_2) | instskip(SKIP_4) | instid1(VALU_DEP_1)
	v_add_nc_u32_e32 v4, v4, v6
	v_cndmask_b32_e64 v7, 0, 1, vcc_lo
	v_cmp_le_u32_e32 vcc_lo, v53, v3
	ds_bpermute_b32 v6, v17, v4
	v_lshlrev_b32_e32 v7, 4, v7
	v_add_lshl_u32 v54, v7, v50, 2
	s_waitcnt lgkmcnt(0)
	v_cndmask_b32_e32 v6, 0, v6, vcc_lo
	v_cmp_le_u32_e32 vcc_lo, v55, v3
	s_delay_alu instid0(VALU_DEP_2) | instskip(SKIP_3) | instid1(VALU_DEP_1)
	v_add_nc_u32_e32 v4, v4, v6
	ds_bpermute_b32 v6, v54, v4
	s_waitcnt lgkmcnt(0)
	v_cndmask_b32_e32 v3, 0, v6, vcc_lo
	v_dual_mov_b32 v3, 0 :: v_dual_add_nc_u32 v4, v4, v3
	s_branch .LBB988_50
.LBB988_49:                             ;   in Loop: Header=BB988_50 Depth=1
	s_or_b32 exec_lo, exec_lo, s24
	ds_bpermute_b32 v7, v10, v4
	v_and_b32_e32 v6, 0xff, v5
	v_subrev_nc_u32_e32 v2, 32, v2
	s_delay_alu instid0(VALU_DEP_2) | instskip(SKIP_1) | instid1(VALU_DEP_1)
	v_cmp_eq_u16_e32 vcc_lo, 2, v6
	v_and_or_b32 v6, vcc_lo, v11, 0x80000000
	v_ctz_i32_b32_e32 v6, v6
	s_delay_alu instid0(VALU_DEP_1) | instskip(SKIP_3) | instid1(VALU_DEP_2)
	v_cmp_lt_u32_e32 vcc_lo, v50, v6
	s_waitcnt lgkmcnt(0)
	v_cndmask_b32_e32 v7, 0, v7, vcc_lo
	v_cmp_le_u32_e32 vcc_lo, v13, v6
	v_add_nc_u32_e32 v4, v7, v4
	ds_bpermute_b32 v7, v12, v4
	s_waitcnt lgkmcnt(0)
	v_cndmask_b32_e32 v7, 0, v7, vcc_lo
	v_cmp_le_u32_e32 vcc_lo, v16, v6
	s_delay_alu instid0(VALU_DEP_2) | instskip(SKIP_4) | instid1(VALU_DEP_2)
	v_add_nc_u32_e32 v4, v4, v7
	ds_bpermute_b32 v7, v14, v4
	s_waitcnt lgkmcnt(0)
	v_cndmask_b32_e32 v7, 0, v7, vcc_lo
	v_cmp_le_u32_e32 vcc_lo, v53, v6
	v_add_nc_u32_e32 v4, v4, v7
	ds_bpermute_b32 v7, v17, v4
	s_waitcnt lgkmcnt(0)
	v_cndmask_b32_e32 v7, 0, v7, vcc_lo
	v_cmp_le_u32_e32 vcc_lo, v55, v6
	s_delay_alu instid0(VALU_DEP_2) | instskip(SKIP_3) | instid1(VALU_DEP_1)
	v_add_nc_u32_e32 v4, v4, v7
	ds_bpermute_b32 v7, v54, v4
	s_waitcnt lgkmcnt(0)
	v_cndmask_b32_e32 v6, 0, v7, vcc_lo
	v_add3_u32 v4, v6, v15, v4
.LBB988_50:                             ; =>This Loop Header: Depth=1
                                        ;     Child Loop BB988_53 Depth 2
	v_and_b32_e32 v5, 0xff, v5
	s_delay_alu instid0(VALU_DEP_2) | instskip(NEXT) | instid1(VALU_DEP_2)
	v_mov_b32_e32 v15, v4
	v_cmp_ne_u16_e32 vcc_lo, 2, v5
	v_cndmask_b32_e64 v5, 0, 1, vcc_lo
	;;#ASMSTART
	;;#ASMEND
	s_delay_alu instid0(VALU_DEP_1)
	v_cmp_ne_u32_e32 vcc_lo, 0, v5
	s_cmp_lg_u32 vcc_lo, exec_lo
	s_cbranch_scc1 .LBB988_55
; %bb.51:                               ;   in Loop: Header=BB988_50 Depth=1
	v_lshlrev_b64 v[4:5], 3, v[2:3]
	s_mov_b32 s24, exec_lo
	s_delay_alu instid0(VALU_DEP_1) | instskip(NEXT) | instid1(VALU_DEP_2)
	v_add_co_u32 v6, vcc_lo, s20, v4
	v_add_co_ci_u32_e32 v7, vcc_lo, s21, v5, vcc_lo
	global_load_b64 v[4:5], v[6:7], off glc
	s_waitcnt vmcnt(0)
	v_and_b32_e32 v56, 0xff, v5
	s_delay_alu instid0(VALU_DEP_1)
	v_cmpx_eq_u16_e32 0, v56
	s_cbranch_execz .LBB988_49
; %bb.52:                               ;   in Loop: Header=BB988_50 Depth=1
	s_mov_b32 s25, 0
.LBB988_53:                             ;   Parent Loop BB988_50 Depth=1
                                        ; =>  This Inner Loop Header: Depth=2
	global_load_b64 v[4:5], v[6:7], off glc
	s_waitcnt vmcnt(0)
	v_and_b32_e32 v56, 0xff, v5
	s_delay_alu instid0(VALU_DEP_1) | instskip(SKIP_1) | instid1(SALU_CYCLE_1)
	v_cmp_ne_u16_e32 vcc_lo, 0, v56
	s_or_b32 s25, vcc_lo, s25
	s_and_not1_b32 exec_lo, exec_lo, s25
	s_cbranch_execnz .LBB988_53
; %bb.54:                               ;   in Loop: Header=BB988_50 Depth=1
	s_or_b32 exec_lo, exec_lo, s25
	s_branch .LBB988_49
.LBB988_55:                             ;   in Loop: Header=BB988_50 Depth=1
                                        ; implicit-def: $vgpr4
                                        ; implicit-def: $vgpr5
	s_cbranch_execz .LBB988_50
; %bb.56:
	s_and_saveexec_b32 s24, s6
	s_cbranch_execz .LBB988_58
; %bb.57:
	s_add_i32 s26, s15, 32
	s_mov_b32 s27, 0
	v_dual_mov_b32 v3, 2 :: v_dual_add_nc_u32 v2, v15, v1
	s_lshl_b64 s[26:27], s[26:27], 3
	v_mov_b32_e32 v4, 0
	v_add_nc_u32_e64 v5, 0x3400, 0
	s_add_u32 s26, s20, s26
	s_addc_u32 s27, s21, s27
	global_store_b64 v4, v[2:3], s[26:27]
	ds_store_2addr_b32 v5, v1, v15 offset1:2
.LBB988_58:
	s_or_b32 exec_lo, exec_lo, s24
	v_cmp_eq_u32_e32 vcc_lo, 0, v0
	s_and_b32 exec_lo, exec_lo, vcc_lo
	s_cbranch_execz .LBB988_60
; %bb.59:
	v_mov_b32_e32 v1, 0
	ds_store_b32 v1, v15 offset:28
.LBB988_60:
	s_or_b32 exec_lo, exec_lo, s7
	s_waitcnt lgkmcnt(0)
	v_cndmask_b32_e64 v2, v9, v8, s6
	v_cmp_ne_u32_e32 vcc_lo, 0, v0
	v_mov_b32_e32 v1, 0
	s_waitcnt_vscnt null, 0x0
	s_barrier
	buffer_gl0_inv
	v_cndmask_b32_e32 v2, 0, v2, vcc_lo
	ds_load_b32 v1, v1 offset:28
	v_add_nc_u32_e64 v11, 0x3400, 0
	s_waitcnt lgkmcnt(0)
	s_barrier
	buffer_gl0_inv
	ds_load_2addr_b32 v[16:17], v11 offset1:2
	v_add_nc_u32_e32 v1, v1, v2
	s_delay_alu instid0(VALU_DEP_1) | instskip(NEXT) | instid1(VALU_DEP_1)
	v_add_nc_u32_e32 v2, v1, v41
	v_add_nc_u32_e32 v3, v2, v42
	s_delay_alu instid0(VALU_DEP_1) | instskip(NEXT) | instid1(VALU_DEP_1)
	v_add_nc_u32_e32 v4, v3, v43
	v_add_nc_u32_e32 v5, v4, v40
	s_delay_alu instid0(VALU_DEP_1) | instskip(NEXT) | instid1(VALU_DEP_1)
	v_add_nc_u32_e32 v6, v5, v44
	v_add_nc_u32_e32 v7, v6, v45
	s_delay_alu instid0(VALU_DEP_1) | instskip(NEXT) | instid1(VALU_DEP_1)
	v_add_nc_u32_e32 v8, v7, v46
	v_add_nc_u32_e32 v9, v8, v38
	s_delay_alu instid0(VALU_DEP_1) | instskip(NEXT) | instid1(VALU_DEP_1)
	v_add_nc_u32_e32 v10, v9, v47
	v_add_nc_u32_e32 v11, v10, v48
	s_delay_alu instid0(VALU_DEP_1) | instskip(NEXT) | instid1(VALU_DEP_1)
	v_add_nc_u32_e32 v12, v11, v49
	v_add_nc_u32_e32 v13, v12, v36
	s_branch .LBB988_71
.LBB988_61:
                                        ; implicit-def: $vgpr17
                                        ; implicit-def: $vgpr1_vgpr2_vgpr3_vgpr4_vgpr5_vgpr6_vgpr7_vgpr8_vgpr9_vgpr10_vgpr11_vgpr12_vgpr13_vgpr14_vgpr15_vgpr16
	s_and_b32 vcc_lo, exec_lo, s6
	s_cbranch_vccz .LBB988_71
; %bb.62:
	s_delay_alu instid0(VALU_DEP_1) | instskip(NEXT) | instid1(VALU_DEP_1)
	v_mov_b32_dpp v1, v52 row_shr:1 row_mask:0xf bank_mask:0xf
	v_cndmask_b32_e64 v1, v1, 0, s5
	s_delay_alu instid0(VALU_DEP_1) | instskip(NEXT) | instid1(VALU_DEP_1)
	v_add_nc_u32_e32 v1, v1, v52
	v_mov_b32_dpp v2, v1 row_shr:2 row_mask:0xf bank_mask:0xf
	s_delay_alu instid0(VALU_DEP_1) | instskip(NEXT) | instid1(VALU_DEP_1)
	v_cndmask_b32_e64 v2, 0, v2, s4
	v_add_nc_u32_e32 v1, v1, v2
	s_delay_alu instid0(VALU_DEP_1) | instskip(NEXT) | instid1(VALU_DEP_1)
	v_mov_b32_dpp v2, v1 row_shr:4 row_mask:0xf bank_mask:0xf
	v_cndmask_b32_e64 v2, 0, v2, s3
	s_delay_alu instid0(VALU_DEP_1) | instskip(NEXT) | instid1(VALU_DEP_1)
	v_add_nc_u32_e32 v1, v1, v2
	v_mov_b32_dpp v2, v1 row_shr:8 row_mask:0xf bank_mask:0xf
	s_delay_alu instid0(VALU_DEP_1) | instskip(NEXT) | instid1(VALU_DEP_1)
	v_cndmask_b32_e64 v2, 0, v2, s2
	v_add_nc_u32_e32 v1, v1, v2
	ds_swizzle_b32 v2, v1 offset:swizzle(BROADCAST,32,15)
	s_waitcnt lgkmcnt(0)
	v_cndmask_b32_e64 v2, v2, 0, s1
	s_delay_alu instid0(VALU_DEP_1)
	v_add_nc_u32_e32 v1, v1, v2
	s_and_saveexec_b32 s1, s0
	s_cbranch_execz .LBB988_64
; %bb.63:
	v_lshlrev_b32_e32 v2, 2, v51
	ds_store_b32 v2, v1
.LBB988_64:
	s_or_b32 exec_lo, exec_lo, s1
	s_delay_alu instid0(SALU_CYCLE_1)
	s_mov_b32 s0, exec_lo
	s_waitcnt lgkmcnt(0)
	s_barrier
	buffer_gl0_inv
	v_cmpx_gt_u32_e32 8, v0
	s_cbranch_execz .LBB988_66
; %bb.65:
	ds_load_b32 v2, v30
	s_waitcnt lgkmcnt(0)
	v_mov_b32_dpp v4, v2 row_shr:1 row_mask:0xf bank_mask:0xf
	v_and_b32_e32 v3, 7, v50
	s_delay_alu instid0(VALU_DEP_1) | instskip(NEXT) | instid1(VALU_DEP_3)
	v_cmp_ne_u32_e32 vcc_lo, 0, v3
	v_cndmask_b32_e32 v4, 0, v4, vcc_lo
	v_cmp_lt_u32_e32 vcc_lo, 1, v3
	s_delay_alu instid0(VALU_DEP_2) | instskip(NEXT) | instid1(VALU_DEP_1)
	v_add_nc_u32_e32 v2, v4, v2
	v_mov_b32_dpp v4, v2 row_shr:2 row_mask:0xf bank_mask:0xf
	s_delay_alu instid0(VALU_DEP_1) | instskip(SKIP_1) | instid1(VALU_DEP_2)
	v_cndmask_b32_e32 v4, 0, v4, vcc_lo
	v_cmp_lt_u32_e32 vcc_lo, 3, v3
	v_add_nc_u32_e32 v2, v2, v4
	s_delay_alu instid0(VALU_DEP_1) | instskip(NEXT) | instid1(VALU_DEP_1)
	v_mov_b32_dpp v4, v2 row_shr:4 row_mask:0xf bank_mask:0xf
	v_cndmask_b32_e32 v3, 0, v4, vcc_lo
	s_delay_alu instid0(VALU_DEP_1)
	v_add_nc_u32_e32 v2, v2, v3
	ds_store_b32 v30, v2
.LBB988_66:
	s_or_b32 exec_lo, exec_lo, s0
	v_dual_mov_b32 v3, 0 :: v_dual_mov_b32 v2, 0
	s_mov_b32 s0, exec_lo
	s_waitcnt lgkmcnt(0)
	s_barrier
	buffer_gl0_inv
	v_cmpx_lt_u32_e32 31, v0
	s_cbranch_execz .LBB988_68
; %bb.67:
	v_lshl_add_u32 v2, v51, 2, -4
	ds_load_b32 v2, v2
.LBB988_68:
	s_or_b32 exec_lo, exec_lo, s0
	v_add_nc_u32_e32 v4, -1, v50
	ds_load_b32 v16, v3 offset:28
	s_waitcnt lgkmcnt(1)
	v_add_nc_u32_e32 v1, v2, v1
	v_cmp_gt_i32_e32 vcc_lo, 0, v4
	v_cndmask_b32_e32 v4, v4, v50, vcc_lo
	v_cmp_eq_u32_e32 vcc_lo, 0, v0
	s_delay_alu instid0(VALU_DEP_2)
	v_lshlrev_b32_e32 v4, 2, v4
	ds_bpermute_b32 v1, v4, v1
	s_and_saveexec_b32 s0, vcc_lo
	s_cbranch_execz .LBB988_70
; %bb.69:
	v_mov_b32_e32 v3, 0
	v_mov_b32_e32 v17, 2
	s_waitcnt lgkmcnt(1)
	global_store_b64 v3, v[16:17], s[20:21] offset:256
.LBB988_70:
	s_or_b32 exec_lo, exec_lo, s0
	v_cmp_eq_u32_e64 s0, 0, v50
	s_waitcnt lgkmcnt(0)
	s_waitcnt_vscnt null, 0x0
	s_barrier
	buffer_gl0_inv
	v_mov_b32_e32 v17, 0
	v_cndmask_b32_e64 v1, v1, v2, s0
	s_delay_alu instid0(VALU_DEP_1) | instskip(NEXT) | instid1(VALU_DEP_1)
	v_cndmask_b32_e64 v1, v1, 0, vcc_lo
	v_add_nc_u32_e32 v2, v1, v41
	s_delay_alu instid0(VALU_DEP_1) | instskip(NEXT) | instid1(VALU_DEP_1)
	v_add_nc_u32_e32 v3, v2, v42
	v_add_nc_u32_e32 v4, v3, v43
	s_delay_alu instid0(VALU_DEP_1) | instskip(NEXT) | instid1(VALU_DEP_1)
	v_add_nc_u32_e32 v5, v4, v40
	;; [unrolled: 3-line block ×5, first 2 shown]
	v_add_nc_u32_e32 v12, v11, v49
	s_delay_alu instid0(VALU_DEP_1)
	v_add_nc_u32_e32 v13, v12, v36
.LBB988_71:
	v_lshrrev_b32_e32 v44, 8, v39
	v_lshrrev_b32_e32 v43, 16, v39
	s_waitcnt lgkmcnt(0)
	v_sub_nc_u32_e32 v1, v1, v17
	v_and_b32_e32 v39, 1, v39
	v_sub_nc_u32_e32 v3, v3, v17
	v_add_nc_u32_e32 v33, v16, v33
	v_sub_nc_u32_e32 v2, v2, v17
	v_sub_nc_u32_e32 v4, v4, v17
	v_cmp_eq_u32_e32 vcc_lo, 1, v39
	v_and_b32_e32 v39, 1, v43
	v_sub_nc_u32_e32 v45, v33, v1
	v_and_b32_e32 v44, 1, v44
	v_sub_nc_u32_e32 v43, v33, v2
	v_lshrrev_b32_e32 v42, 8, v37
	v_lshrrev_b32_e32 v41, 16, v37
	v_cndmask_b32_e32 v1, v45, v1, vcc_lo
	v_sub_nc_u32_e32 v45, v33, v3
	v_add_nc_u32_e32 v43, 1, v43
	v_cmp_eq_u32_e32 vcc_lo, 1, v44
	v_and_b32_e32 v40, 1, v40
	v_lshlrev_b32_e32 v1, 2, v1
	v_add_nc_u32_e32 v45, 2, v45
	v_lshrrev_b32_e32 v15, 8, v35
	v_lshrrev_b32_e32 v14, 16, v35
	ds_store_b32 v1, v28
	v_cndmask_b32_e32 v1, v43, v2, vcc_lo
	v_cmp_eq_u32_e32 vcc_lo, 1, v39
	v_or_b32_e32 v28, 0x500, v0
	s_delay_alu instid0(VALU_DEP_3)
	v_dual_cndmask_b32 v2, v45, v3 :: v_dual_lshlrev_b32 v1, 2, v1
	v_sub_nc_u32_e32 v46, v33, v4
	v_cmp_eq_u32_e32 vcc_lo, 1, v40
	ds_store_b32 v1, v29
	v_lshlrev_b32_e32 v2, 2, v2
	v_add_nc_u32_e32 v46, 3, v46
	v_or_b32_e32 v29, 0x400, v0
	s_delay_alu instid0(VALU_DEP_2) | instskip(SKIP_2) | instid1(VALU_DEP_3)
	v_cndmask_b32_e32 v3, v46, v4, vcc_lo
	v_sub_nc_u32_e32 v4, v5, v17
	v_sub_nc_u32_e32 v5, v6, v17
	v_lshlrev_b32_e32 v3, 2, v3
	s_delay_alu instid0(VALU_DEP_3) | instskip(NEXT) | instid1(VALU_DEP_3)
	v_sub_nc_u32_e32 v1, v33, v4
	v_sub_nc_u32_e32 v6, v33, v5
	ds_store_b32 v2, v26
	ds_store_b32 v3, v27
	v_and_b32_e32 v2, 1, v37
	v_add_nc_u32_e32 v1, 4, v1
	v_add_nc_u32_e32 v3, 5, v6
	v_sub_nc_u32_e32 v6, v7, v17
	v_and_b32_e32 v7, 1, v42
	v_cmp_eq_u32_e32 vcc_lo, 1, v2
	v_sub_nc_u32_e32 v2, v8, v17
	v_and_b32_e32 v8, 1, v38
	v_or_b32_e32 v27, 0x600, v0
	v_or_b32_e32 v26, 0x700, v0
	v_cndmask_b32_e32 v1, v1, v4, vcc_lo
	v_sub_nc_u32_e32 v4, v33, v6
	v_cmp_eq_u32_e32 vcc_lo, 1, v7
	v_and_b32_e32 v7, 1, v41
	s_delay_alu instid0(VALU_DEP_4) | instskip(NEXT) | instid1(VALU_DEP_4)
	v_lshlrev_b32_e32 v1, 2, v1
	v_dual_cndmask_b32 v3, v3, v5 :: v_dual_add_nc_u32 v4, 6, v4
	v_sub_nc_u32_e32 v5, v33, v2
	s_delay_alu instid0(VALU_DEP_4) | instskip(SKIP_1) | instid1(VALU_DEP_4)
	v_cmp_eq_u32_e32 vcc_lo, 1, v7
	v_sub_nc_u32_e32 v7, v13, v17
	v_lshlrev_b32_e32 v3, 2, v3
	s_delay_alu instid0(VALU_DEP_4)
	v_dual_cndmask_b32 v4, v4, v6 :: v_dual_add_nc_u32 v5, 7, v5
	v_cmp_eq_u32_e32 vcc_lo, 1, v8
	v_sub_nc_u32_e32 v6, v9, v17
	ds_store_b32 v1, v24
	ds_store_b32 v3, v25
	v_or_b32_e32 v25, 0x800, v0
	v_dual_cndmask_b32 v2, v5, v2 :: v_dual_lshlrev_b32 v3, 2, v4
	v_and_b32_e32 v5, 1, v35
	v_sub_nc_u32_e32 v1, v33, v6
	v_sub_nc_u32_e32 v4, v10, v17
	v_and_b32_e32 v10, 1, v36
	v_or_b32_e32 v24, 0x900, v0
	v_cmp_eq_u32_e32 vcc_lo, 1, v5
	v_sub_nc_u32_e32 v5, v12, v17
	v_add_nc_u32_e32 v1, 8, v1
	s_delay_alu instid0(VALU_DEP_2) | instskip(NEXT) | instid1(VALU_DEP_2)
	v_sub_nc_u32_e32 v9, v33, v5
	v_dual_cndmask_b32 v1, v1, v6 :: v_dual_and_b32 v6, 1, v15
	v_add_co_u32 v15, s0, s18, v17
	s_delay_alu instid0(VALU_DEP_3)
	v_add_nc_u32_e32 v9, 11, v9
	v_lshlrev_b32_e32 v2, 2, v2
	ds_store_b32 v3, v22
	ds_store_b32 v2, v23
	v_sub_nc_u32_e32 v3, v11, v17
	v_sub_nc_u32_e32 v2, v33, v4
	v_cmp_eq_u32_e32 vcc_lo, 1, v6
	v_and_b32_e32 v11, 1, v34
	v_lshlrev_b32_e32 v1, 2, v1
	v_sub_nc_u32_e32 v8, v33, v3
	v_add_nc_u32_e32 v2, 9, v2
	v_add_co_ci_u32_e64 v17, null, s19, 0, s0
	s_add_u32 s0, s16, s23
	s_delay_alu instid0(VALU_DEP_3)
	v_add_nc_u32_e32 v6, 10, v8
	v_and_b32_e32 v8, 1, v14
	v_cndmask_b32_e32 v2, v2, v4, vcc_lo
	v_sub_nc_u32_e32 v4, v33, v7
	s_addc_u32 s1, s17, 0
	s_sub_u32 s0, s12, s0
	v_cmp_eq_u32_e32 vcc_lo, 1, v8
	v_lshlrev_b32_e32 v2, 2, v2
	v_add_nc_u32_e32 v4, 12, v4
	s_subb_u32 s1, s13, s1
	v_add_co_u32 v13, s0, s0, v16
	v_cndmask_b32_e32 v3, v6, v3, vcc_lo
	v_cmp_eq_u32_e32 vcc_lo, 1, v10
	v_add_co_ci_u32_e64 v14, null, s1, 0, s0
	v_or_b32_e32 v34, 0x100, v0
	s_delay_alu instid0(VALU_DEP_4)
	v_lshlrev_b32_e32 v3, 2, v3
	v_cndmask_b32_e32 v5, v9, v5, vcc_lo
	v_cmp_eq_u32_e32 vcc_lo, 1, v11
	v_or_b32_e32 v33, 0x200, v0
	v_or_b32_e32 v23, 0xa00, v0
	;; [unrolled: 1-line block ×3, first 2 shown]
	v_dual_cndmask_b32 v4, v4, v7 :: v_dual_lshlrev_b32 v5, 2, v5
	v_cmp_ne_u32_e32 vcc_lo, 1, v31
	s_delay_alu instid0(VALU_DEP_2)
	v_lshlrev_b32_e32 v4, 2, v4
	ds_store_b32 v1, v20
	ds_store_b32 v2, v21
	;; [unrolled: 1-line block ×5, first 2 shown]
	s_waitcnt lgkmcnt(0)
	s_barrier
	buffer_gl0_inv
	ds_load_2addr_stride64_b32 v[11:12], v30 offset1:4
	ds_load_2addr_stride64_b32 v[9:10], v30 offset0:8 offset1:12
	ds_load_2addr_stride64_b32 v[7:8], v30 offset0:16 offset1:20
	;; [unrolled: 1-line block ×5, first 2 shown]
	ds_load_b32 v18, v30 offset:12288
	v_add_co_u32 v20, s0, v13, v15
	v_or_b32_e32 v32, 0x300, v0
	v_or_b32_e32 v19, 0xc00, v0
	v_add_co_ci_u32_e64 v21, s0, v14, v17, s0
	s_mov_b32 s0, 0
	s_cbranch_vccnz .LBB988_125
; %bb.72:
	s_mov_b32 s0, exec_lo
                                        ; implicit-def: $vgpr13_vgpr14
	v_cmpx_ge_u32_e64 v0, v16
	s_xor_b32 s0, exec_lo, s0
; %bb.73:
	v_not_b32_e32 v13, v0
	s_delay_alu instid0(VALU_DEP_1) | instskip(SKIP_1) | instid1(VALU_DEP_2)
	v_ashrrev_i32_e32 v14, 31, v13
	v_add_co_u32 v13, vcc_lo, v20, v13
	v_add_co_ci_u32_e32 v14, vcc_lo, v21, v14, vcc_lo
; %bb.74:
	s_and_not1_saveexec_b32 s0, s0
; %bb.75:
	v_add_co_u32 v13, vcc_lo, v15, v0
	v_add_co_ci_u32_e32 v14, vcc_lo, 0, v17, vcc_lo
; %bb.76:
	s_or_b32 exec_lo, exec_lo, s0
	s_delay_alu instid0(VALU_DEP_1) | instskip(SKIP_1) | instid1(VALU_DEP_1)
	v_lshlrev_b64 v[13:14], 2, v[13:14]
	s_mov_b32 s0, exec_lo
	v_add_co_u32 v13, vcc_lo, s10, v13
	s_delay_alu instid0(VALU_DEP_2)
	v_add_co_ci_u32_e32 v14, vcc_lo, s11, v14, vcc_lo
	s_waitcnt lgkmcnt(6)
	global_store_b32 v[13:14], v11, off
                                        ; implicit-def: $vgpr13_vgpr14
	v_cmpx_ge_u32_e64 v34, v16
	s_xor_b32 s0, exec_lo, s0
; %bb.77:
	v_xor_b32_e32 v13, 0xfffffeff, v0
	s_delay_alu instid0(VALU_DEP_1) | instskip(SKIP_1) | instid1(VALU_DEP_2)
	v_ashrrev_i32_e32 v14, 31, v13
	v_add_co_u32 v13, vcc_lo, v20, v13
	v_add_co_ci_u32_e32 v14, vcc_lo, v21, v14, vcc_lo
; %bb.78:
	s_and_not1_saveexec_b32 s0, s0
; %bb.79:
	v_add_co_u32 v13, vcc_lo, v15, v34
	v_add_co_ci_u32_e32 v14, vcc_lo, 0, v17, vcc_lo
; %bb.80:
	s_or_b32 exec_lo, exec_lo, s0
	s_delay_alu instid0(VALU_DEP_1) | instskip(SKIP_1) | instid1(VALU_DEP_1)
	v_lshlrev_b64 v[13:14], 2, v[13:14]
	s_mov_b32 s0, exec_lo
	v_add_co_u32 v13, vcc_lo, s10, v13
	s_delay_alu instid0(VALU_DEP_2)
	v_add_co_ci_u32_e32 v14, vcc_lo, s11, v14, vcc_lo
	global_store_b32 v[13:14], v12, off
                                        ; implicit-def: $vgpr13_vgpr14
	v_cmpx_ge_u32_e64 v33, v16
	s_xor_b32 s0, exec_lo, s0
; %bb.81:
	v_xor_b32_e32 v13, 0xfffffdff, v0
	s_delay_alu instid0(VALU_DEP_1) | instskip(SKIP_1) | instid1(VALU_DEP_2)
	v_ashrrev_i32_e32 v14, 31, v13
	v_add_co_u32 v13, vcc_lo, v20, v13
	v_add_co_ci_u32_e32 v14, vcc_lo, v21, v14, vcc_lo
; %bb.82:
	s_and_not1_saveexec_b32 s0, s0
; %bb.83:
	v_add_co_u32 v13, vcc_lo, v15, v33
	v_add_co_ci_u32_e32 v14, vcc_lo, 0, v17, vcc_lo
; %bb.84:
	s_or_b32 exec_lo, exec_lo, s0
	s_delay_alu instid0(VALU_DEP_1) | instskip(SKIP_1) | instid1(VALU_DEP_1)
	v_lshlrev_b64 v[13:14], 2, v[13:14]
	s_mov_b32 s0, exec_lo
	v_add_co_u32 v13, vcc_lo, s10, v13
	s_delay_alu instid0(VALU_DEP_2)
	v_add_co_ci_u32_e32 v14, vcc_lo, s11, v14, vcc_lo
	s_waitcnt lgkmcnt(5)
	global_store_b32 v[13:14], v9, off
                                        ; implicit-def: $vgpr13_vgpr14
	v_cmpx_ge_u32_e64 v32, v16
	s_xor_b32 s0, exec_lo, s0
; %bb.85:
	v_xor_b32_e32 v13, 0xfffffcff, v0
	s_delay_alu instid0(VALU_DEP_1) | instskip(SKIP_1) | instid1(VALU_DEP_2)
	v_ashrrev_i32_e32 v14, 31, v13
	v_add_co_u32 v13, vcc_lo, v20, v13
	v_add_co_ci_u32_e32 v14, vcc_lo, v21, v14, vcc_lo
; %bb.86:
	s_and_not1_saveexec_b32 s0, s0
; %bb.87:
	v_add_co_u32 v13, vcc_lo, v15, v32
	v_add_co_ci_u32_e32 v14, vcc_lo, 0, v17, vcc_lo
; %bb.88:
	s_or_b32 exec_lo, exec_lo, s0
	s_delay_alu instid0(VALU_DEP_1) | instskip(SKIP_1) | instid1(VALU_DEP_1)
	v_lshlrev_b64 v[13:14], 2, v[13:14]
	s_mov_b32 s0, exec_lo
	v_add_co_u32 v13, vcc_lo, s10, v13
	s_delay_alu instid0(VALU_DEP_2)
	v_add_co_ci_u32_e32 v14, vcc_lo, s11, v14, vcc_lo
	global_store_b32 v[13:14], v10, off
                                        ; implicit-def: $vgpr13_vgpr14
	v_cmpx_ge_u32_e64 v29, v16
	s_xor_b32 s0, exec_lo, s0
; %bb.89:
	v_xor_b32_e32 v13, 0xfffffbff, v0
	;; [unrolled: 47-line block ×6, first 2 shown]
	s_delay_alu instid0(VALU_DEP_1) | instskip(SKIP_1) | instid1(VALU_DEP_2)
	v_ashrrev_i32_e32 v14, 31, v13
	v_add_co_u32 v13, vcc_lo, v20, v13
	v_add_co_ci_u32_e32 v14, vcc_lo, v21, v14, vcc_lo
; %bb.122:
	s_and_not1_saveexec_b32 s0, s0
; %bb.123:
	v_add_co_u32 v13, vcc_lo, v15, v19
	v_add_co_ci_u32_e32 v14, vcc_lo, 0, v17, vcc_lo
; %bb.124:
	s_or_b32 exec_lo, exec_lo, s0
	s_mov_b32 s0, -1
	s_branch .LBB988_205
.LBB988_125:
                                        ; implicit-def: $vgpr13_vgpr14
	s_cbranch_execz .LBB988_205
; %bb.126:
	s_mov_b32 s1, exec_lo
	v_cmpx_gt_u32_e64 s22, v0
	s_cbranch_execz .LBB988_162
; %bb.127:
	s_mov_b32 s2, exec_lo
                                        ; implicit-def: $vgpr13_vgpr14
	v_cmpx_ge_u32_e64 v0, v16
	s_xor_b32 s2, exec_lo, s2
; %bb.128:
	v_not_b32_e32 v13, v0
	s_delay_alu instid0(VALU_DEP_1) | instskip(SKIP_1) | instid1(VALU_DEP_2)
	v_ashrrev_i32_e32 v14, 31, v13
	v_add_co_u32 v13, vcc_lo, v20, v13
	v_add_co_ci_u32_e32 v14, vcc_lo, v21, v14, vcc_lo
; %bb.129:
	s_and_not1_saveexec_b32 s2, s2
; %bb.130:
	v_add_co_u32 v13, vcc_lo, v15, v0
	v_add_co_ci_u32_e32 v14, vcc_lo, 0, v17, vcc_lo
; %bb.131:
	s_or_b32 exec_lo, exec_lo, s2
	s_delay_alu instid0(VALU_DEP_1) | instskip(NEXT) | instid1(VALU_DEP_1)
	v_lshlrev_b64 v[13:14], 2, v[13:14]
	v_add_co_u32 v13, vcc_lo, s10, v13
	s_delay_alu instid0(VALU_DEP_2) | instskip(SKIP_3) | instid1(SALU_CYCLE_1)
	v_add_co_ci_u32_e32 v14, vcc_lo, s11, v14, vcc_lo
	s_waitcnt lgkmcnt(6)
	global_store_b32 v[13:14], v11, off
	s_or_b32 exec_lo, exec_lo, s1
	s_mov_b32 s1, exec_lo
	v_cmpx_gt_u32_e64 s22, v34
	s_cbranch_execnz .LBB988_163
.LBB988_132:
	s_or_b32 exec_lo, exec_lo, s1
	s_delay_alu instid0(SALU_CYCLE_1)
	s_mov_b32 s1, exec_lo
	v_cmpx_gt_u32_e64 s22, v33
	s_cbranch_execz .LBB988_168
.LBB988_133:
	s_mov_b32 s2, exec_lo
                                        ; implicit-def: $vgpr11_vgpr12
	v_cmpx_ge_u32_e64 v33, v16
	s_xor_b32 s2, exec_lo, s2
	s_cbranch_execz .LBB988_135
; %bb.134:
	s_waitcnt lgkmcnt(6)
	v_xor_b32_e32 v11, 0xfffffdff, v0
                                        ; implicit-def: $vgpr33
	s_delay_alu instid0(VALU_DEP_1) | instskip(SKIP_1) | instid1(VALU_DEP_2)
	v_ashrrev_i32_e32 v12, 31, v11
	v_add_co_u32 v11, vcc_lo, v20, v11
	v_add_co_ci_u32_e32 v12, vcc_lo, v21, v12, vcc_lo
.LBB988_135:
	s_and_not1_saveexec_b32 s2, s2
	s_cbranch_execz .LBB988_137
; %bb.136:
	s_waitcnt lgkmcnt(6)
	v_add_co_u32 v11, vcc_lo, v15, v33
	v_add_co_ci_u32_e32 v12, vcc_lo, 0, v17, vcc_lo
.LBB988_137:
	s_or_b32 exec_lo, exec_lo, s2
	s_waitcnt lgkmcnt(6)
	s_delay_alu instid0(VALU_DEP_1) | instskip(NEXT) | instid1(VALU_DEP_1)
	v_lshlrev_b64 v[11:12], 2, v[11:12]
	v_add_co_u32 v11, vcc_lo, s10, v11
	s_delay_alu instid0(VALU_DEP_2) | instskip(SKIP_3) | instid1(SALU_CYCLE_1)
	v_add_co_ci_u32_e32 v12, vcc_lo, s11, v12, vcc_lo
	s_waitcnt lgkmcnt(5)
	global_store_b32 v[11:12], v9, off
	s_or_b32 exec_lo, exec_lo, s1
	s_mov_b32 s1, exec_lo
	v_cmpx_gt_u32_e64 s22, v32
	s_cbranch_execnz .LBB988_169
.LBB988_138:
	s_or_b32 exec_lo, exec_lo, s1
	s_delay_alu instid0(SALU_CYCLE_1)
	s_mov_b32 s1, exec_lo
	v_cmpx_gt_u32_e64 s22, v29
	s_cbranch_execz .LBB988_174
.LBB988_139:
	s_mov_b32 s2, exec_lo
                                        ; implicit-def: $vgpr9_vgpr10
	v_cmpx_ge_u32_e64 v29, v16
	s_xor_b32 s2, exec_lo, s2
	s_cbranch_execz .LBB988_141
; %bb.140:
	s_waitcnt lgkmcnt(5)
	v_xor_b32_e32 v9, 0xfffffbff, v0
                                        ; implicit-def: $vgpr29
	s_delay_alu instid0(VALU_DEP_1) | instskip(SKIP_1) | instid1(VALU_DEP_2)
	v_ashrrev_i32_e32 v10, 31, v9
	v_add_co_u32 v9, vcc_lo, v20, v9
	v_add_co_ci_u32_e32 v10, vcc_lo, v21, v10, vcc_lo
.LBB988_141:
	s_and_not1_saveexec_b32 s2, s2
	s_cbranch_execz .LBB988_143
; %bb.142:
	s_waitcnt lgkmcnt(5)
	v_add_co_u32 v9, vcc_lo, v15, v29
	v_add_co_ci_u32_e32 v10, vcc_lo, 0, v17, vcc_lo
.LBB988_143:
	s_or_b32 exec_lo, exec_lo, s2
	s_waitcnt lgkmcnt(5)
	s_delay_alu instid0(VALU_DEP_1) | instskip(NEXT) | instid1(VALU_DEP_1)
	v_lshlrev_b64 v[9:10], 2, v[9:10]
	v_add_co_u32 v9, vcc_lo, s10, v9
	s_delay_alu instid0(VALU_DEP_2) | instskip(SKIP_3) | instid1(SALU_CYCLE_1)
	v_add_co_ci_u32_e32 v10, vcc_lo, s11, v10, vcc_lo
	s_waitcnt lgkmcnt(4)
	global_store_b32 v[9:10], v7, off
	s_or_b32 exec_lo, exec_lo, s1
	s_mov_b32 s1, exec_lo
	v_cmpx_gt_u32_e64 s22, v28
	s_cbranch_execnz .LBB988_175
.LBB988_144:
	s_or_b32 exec_lo, exec_lo, s1
	s_delay_alu instid0(SALU_CYCLE_1)
	s_mov_b32 s1, exec_lo
	v_cmpx_gt_u32_e64 s22, v27
	s_cbranch_execz .LBB988_180
.LBB988_145:
	s_mov_b32 s2, exec_lo
                                        ; implicit-def: $vgpr7_vgpr8
	v_cmpx_ge_u32_e64 v27, v16
	s_xor_b32 s2, exec_lo, s2
	s_cbranch_execz .LBB988_147
; %bb.146:
	s_waitcnt lgkmcnt(4)
	v_xor_b32_e32 v7, 0xfffff9ff, v0
                                        ; implicit-def: $vgpr27
	s_delay_alu instid0(VALU_DEP_1) | instskip(SKIP_1) | instid1(VALU_DEP_2)
	v_ashrrev_i32_e32 v8, 31, v7
	v_add_co_u32 v7, vcc_lo, v20, v7
	v_add_co_ci_u32_e32 v8, vcc_lo, v21, v8, vcc_lo
.LBB988_147:
	s_and_not1_saveexec_b32 s2, s2
	s_cbranch_execz .LBB988_149
; %bb.148:
	s_waitcnt lgkmcnt(4)
	v_add_co_u32 v7, vcc_lo, v15, v27
	v_add_co_ci_u32_e32 v8, vcc_lo, 0, v17, vcc_lo
.LBB988_149:
	s_or_b32 exec_lo, exec_lo, s2
	s_waitcnt lgkmcnt(4)
	s_delay_alu instid0(VALU_DEP_1) | instskip(NEXT) | instid1(VALU_DEP_1)
	v_lshlrev_b64 v[7:8], 2, v[7:8]
	v_add_co_u32 v7, vcc_lo, s10, v7
	s_delay_alu instid0(VALU_DEP_2) | instskip(SKIP_3) | instid1(SALU_CYCLE_1)
	v_add_co_ci_u32_e32 v8, vcc_lo, s11, v8, vcc_lo
	s_waitcnt lgkmcnt(3)
	global_store_b32 v[7:8], v5, off
	s_or_b32 exec_lo, exec_lo, s1
	s_mov_b32 s1, exec_lo
	v_cmpx_gt_u32_e64 s22, v26
	s_cbranch_execnz .LBB988_181
.LBB988_150:
	s_or_b32 exec_lo, exec_lo, s1
	s_delay_alu instid0(SALU_CYCLE_1)
	s_mov_b32 s1, exec_lo
	v_cmpx_gt_u32_e64 s22, v25
	s_cbranch_execz .LBB988_186
.LBB988_151:
	s_mov_b32 s2, exec_lo
                                        ; implicit-def: $vgpr5_vgpr6
	v_cmpx_ge_u32_e64 v25, v16
	s_xor_b32 s2, exec_lo, s2
	s_cbranch_execz .LBB988_153
; %bb.152:
	s_waitcnt lgkmcnt(3)
	v_xor_b32_e32 v5, 0xfffff7ff, v0
                                        ; implicit-def: $vgpr25
	s_delay_alu instid0(VALU_DEP_1) | instskip(SKIP_1) | instid1(VALU_DEP_2)
	v_ashrrev_i32_e32 v6, 31, v5
	v_add_co_u32 v5, vcc_lo, v20, v5
	v_add_co_ci_u32_e32 v6, vcc_lo, v21, v6, vcc_lo
.LBB988_153:
	s_and_not1_saveexec_b32 s2, s2
	s_cbranch_execz .LBB988_155
; %bb.154:
	s_waitcnt lgkmcnt(3)
	v_add_co_u32 v5, vcc_lo, v15, v25
	v_add_co_ci_u32_e32 v6, vcc_lo, 0, v17, vcc_lo
.LBB988_155:
	s_or_b32 exec_lo, exec_lo, s2
	s_waitcnt lgkmcnt(3)
	s_delay_alu instid0(VALU_DEP_1) | instskip(NEXT) | instid1(VALU_DEP_1)
	v_lshlrev_b64 v[5:6], 2, v[5:6]
	v_add_co_u32 v5, vcc_lo, s10, v5
	s_delay_alu instid0(VALU_DEP_2) | instskip(SKIP_3) | instid1(SALU_CYCLE_1)
	v_add_co_ci_u32_e32 v6, vcc_lo, s11, v6, vcc_lo
	s_waitcnt lgkmcnt(2)
	global_store_b32 v[5:6], v3, off
	s_or_b32 exec_lo, exec_lo, s1
	s_mov_b32 s1, exec_lo
	v_cmpx_gt_u32_e64 s22, v24
	s_cbranch_execnz .LBB988_187
.LBB988_156:
	s_or_b32 exec_lo, exec_lo, s1
	s_delay_alu instid0(SALU_CYCLE_1)
	s_mov_b32 s1, exec_lo
	v_cmpx_gt_u32_e64 s22, v23
	s_cbranch_execz .LBB988_192
.LBB988_157:
	s_mov_b32 s2, exec_lo
                                        ; implicit-def: $vgpr3_vgpr4
	v_cmpx_ge_u32_e64 v23, v16
	s_xor_b32 s2, exec_lo, s2
	s_cbranch_execz .LBB988_159
; %bb.158:
	s_waitcnt lgkmcnt(2)
	v_xor_b32_e32 v3, 0xfffff5ff, v0
                                        ; implicit-def: $vgpr23
	s_delay_alu instid0(VALU_DEP_1) | instskip(SKIP_1) | instid1(VALU_DEP_2)
	v_ashrrev_i32_e32 v4, 31, v3
	v_add_co_u32 v3, vcc_lo, v20, v3
	v_add_co_ci_u32_e32 v4, vcc_lo, v21, v4, vcc_lo
.LBB988_159:
	s_and_not1_saveexec_b32 s2, s2
	s_cbranch_execz .LBB988_161
; %bb.160:
	s_waitcnt lgkmcnt(2)
	v_add_co_u32 v3, vcc_lo, v15, v23
	v_add_co_ci_u32_e32 v4, vcc_lo, 0, v17, vcc_lo
.LBB988_161:
	s_or_b32 exec_lo, exec_lo, s2
	s_waitcnt lgkmcnt(2)
	s_delay_alu instid0(VALU_DEP_1) | instskip(NEXT) | instid1(VALU_DEP_1)
	v_lshlrev_b64 v[3:4], 2, v[3:4]
	v_add_co_u32 v3, vcc_lo, s10, v3
	s_delay_alu instid0(VALU_DEP_2) | instskip(SKIP_3) | instid1(SALU_CYCLE_1)
	v_add_co_ci_u32_e32 v4, vcc_lo, s11, v4, vcc_lo
	s_waitcnt lgkmcnt(1)
	global_store_b32 v[3:4], v1, off
	s_or_b32 exec_lo, exec_lo, s1
	s_mov_b32 s1, exec_lo
	v_cmpx_gt_u32_e64 s22, v22
	s_cbranch_execz .LBB988_198
	s_branch .LBB988_193
.LBB988_162:
	s_or_b32 exec_lo, exec_lo, s1
	s_delay_alu instid0(SALU_CYCLE_1)
	s_mov_b32 s1, exec_lo
	v_cmpx_gt_u32_e64 s22, v34
	s_cbranch_execz .LBB988_132
.LBB988_163:
	s_mov_b32 s2, exec_lo
                                        ; implicit-def: $vgpr13_vgpr14
	v_cmpx_ge_u32_e64 v34, v16
	s_xor_b32 s2, exec_lo, s2
	s_cbranch_execz .LBB988_165
; %bb.164:
	s_waitcnt lgkmcnt(6)
	v_xor_b32_e32 v11, 0xfffffeff, v0
                                        ; implicit-def: $vgpr34
	s_delay_alu instid0(VALU_DEP_1) | instskip(SKIP_1) | instid1(VALU_DEP_2)
	v_ashrrev_i32_e32 v14, 31, v11
	v_add_co_u32 v13, vcc_lo, v20, v11
	v_add_co_ci_u32_e32 v14, vcc_lo, v21, v14, vcc_lo
.LBB988_165:
	s_and_not1_saveexec_b32 s2, s2
; %bb.166:
	v_add_co_u32 v13, vcc_lo, v15, v34
	v_add_co_ci_u32_e32 v14, vcc_lo, 0, v17, vcc_lo
; %bb.167:
	s_or_b32 exec_lo, exec_lo, s2
	s_delay_alu instid0(VALU_DEP_1) | instskip(NEXT) | instid1(VALU_DEP_1)
	v_lshlrev_b64 v[13:14], 2, v[13:14]
	v_add_co_u32 v13, vcc_lo, s10, v13
	s_delay_alu instid0(VALU_DEP_2) | instskip(SKIP_3) | instid1(SALU_CYCLE_1)
	v_add_co_ci_u32_e32 v14, vcc_lo, s11, v14, vcc_lo
	s_waitcnt lgkmcnt(6)
	global_store_b32 v[13:14], v12, off
	s_or_b32 exec_lo, exec_lo, s1
	s_mov_b32 s1, exec_lo
	v_cmpx_gt_u32_e64 s22, v33
	s_cbranch_execnz .LBB988_133
.LBB988_168:
	s_or_b32 exec_lo, exec_lo, s1
	s_delay_alu instid0(SALU_CYCLE_1)
	s_mov_b32 s1, exec_lo
	v_cmpx_gt_u32_e64 s22, v32
	s_cbranch_execz .LBB988_138
.LBB988_169:
	s_mov_b32 s2, exec_lo
                                        ; implicit-def: $vgpr11_vgpr12
	v_cmpx_ge_u32_e64 v32, v16
	s_xor_b32 s2, exec_lo, s2
	s_cbranch_execz .LBB988_171
; %bb.170:
	s_waitcnt lgkmcnt(5)
	v_xor_b32_e32 v9, 0xfffffcff, v0
                                        ; implicit-def: $vgpr32
	s_delay_alu instid0(VALU_DEP_1) | instskip(SKIP_1) | instid1(VALU_DEP_2)
	v_ashrrev_i32_e32 v12, 31, v9
	v_add_co_u32 v11, vcc_lo, v20, v9
	v_add_co_ci_u32_e32 v12, vcc_lo, v21, v12, vcc_lo
.LBB988_171:
	s_and_not1_saveexec_b32 s2, s2
	s_cbranch_execz .LBB988_173
; %bb.172:
	s_waitcnt lgkmcnt(6)
	v_add_co_u32 v11, vcc_lo, v15, v32
	v_add_co_ci_u32_e32 v12, vcc_lo, 0, v17, vcc_lo
.LBB988_173:
	s_or_b32 exec_lo, exec_lo, s2
	s_waitcnt lgkmcnt(6)
	s_delay_alu instid0(VALU_DEP_1) | instskip(NEXT) | instid1(VALU_DEP_1)
	v_lshlrev_b64 v[11:12], 2, v[11:12]
	v_add_co_u32 v11, vcc_lo, s10, v11
	s_delay_alu instid0(VALU_DEP_2) | instskip(SKIP_3) | instid1(SALU_CYCLE_1)
	v_add_co_ci_u32_e32 v12, vcc_lo, s11, v12, vcc_lo
	s_waitcnt lgkmcnt(5)
	global_store_b32 v[11:12], v10, off
	s_or_b32 exec_lo, exec_lo, s1
	s_mov_b32 s1, exec_lo
	v_cmpx_gt_u32_e64 s22, v29
	s_cbranch_execnz .LBB988_139
.LBB988_174:
	s_or_b32 exec_lo, exec_lo, s1
	s_delay_alu instid0(SALU_CYCLE_1)
	s_mov_b32 s1, exec_lo
	v_cmpx_gt_u32_e64 s22, v28
	s_cbranch_execz .LBB988_144
.LBB988_175:
	s_mov_b32 s2, exec_lo
                                        ; implicit-def: $vgpr9_vgpr10
	v_cmpx_ge_u32_e64 v28, v16
	s_xor_b32 s2, exec_lo, s2
	s_cbranch_execz .LBB988_177
; %bb.176:
	s_waitcnt lgkmcnt(4)
	v_xor_b32_e32 v7, 0xfffffaff, v0
                                        ; implicit-def: $vgpr28
	s_delay_alu instid0(VALU_DEP_1) | instskip(SKIP_1) | instid1(VALU_DEP_2)
	v_ashrrev_i32_e32 v10, 31, v7
	v_add_co_u32 v9, vcc_lo, v20, v7
	v_add_co_ci_u32_e32 v10, vcc_lo, v21, v10, vcc_lo
.LBB988_177:
	s_and_not1_saveexec_b32 s2, s2
	s_cbranch_execz .LBB988_179
; %bb.178:
	s_waitcnt lgkmcnt(5)
	v_add_co_u32 v9, vcc_lo, v15, v28
	v_add_co_ci_u32_e32 v10, vcc_lo, 0, v17, vcc_lo
.LBB988_179:
	s_or_b32 exec_lo, exec_lo, s2
	s_waitcnt lgkmcnt(5)
	s_delay_alu instid0(VALU_DEP_1) | instskip(NEXT) | instid1(VALU_DEP_1)
	v_lshlrev_b64 v[9:10], 2, v[9:10]
	v_add_co_u32 v9, vcc_lo, s10, v9
	s_delay_alu instid0(VALU_DEP_2) | instskip(SKIP_3) | instid1(SALU_CYCLE_1)
	v_add_co_ci_u32_e32 v10, vcc_lo, s11, v10, vcc_lo
	s_waitcnt lgkmcnt(4)
	global_store_b32 v[9:10], v8, off
	s_or_b32 exec_lo, exec_lo, s1
	s_mov_b32 s1, exec_lo
	v_cmpx_gt_u32_e64 s22, v27
	s_cbranch_execnz .LBB988_145
.LBB988_180:
	s_or_b32 exec_lo, exec_lo, s1
	s_delay_alu instid0(SALU_CYCLE_1)
	s_mov_b32 s1, exec_lo
	v_cmpx_gt_u32_e64 s22, v26
	s_cbranch_execz .LBB988_150
.LBB988_181:
	s_mov_b32 s2, exec_lo
                                        ; implicit-def: $vgpr7_vgpr8
	v_cmpx_ge_u32_e64 v26, v16
	s_xor_b32 s2, exec_lo, s2
	s_cbranch_execz .LBB988_183
; %bb.182:
	s_waitcnt lgkmcnt(3)
	v_xor_b32_e32 v5, 0xfffff8ff, v0
                                        ; implicit-def: $vgpr26
	s_delay_alu instid0(VALU_DEP_1) | instskip(SKIP_1) | instid1(VALU_DEP_2)
	v_ashrrev_i32_e32 v8, 31, v5
	v_add_co_u32 v7, vcc_lo, v20, v5
	v_add_co_ci_u32_e32 v8, vcc_lo, v21, v8, vcc_lo
.LBB988_183:
	s_and_not1_saveexec_b32 s2, s2
	s_cbranch_execz .LBB988_185
; %bb.184:
	s_waitcnt lgkmcnt(4)
	v_add_co_u32 v7, vcc_lo, v15, v26
	v_add_co_ci_u32_e32 v8, vcc_lo, 0, v17, vcc_lo
.LBB988_185:
	s_or_b32 exec_lo, exec_lo, s2
	s_waitcnt lgkmcnt(4)
	s_delay_alu instid0(VALU_DEP_1) | instskip(NEXT) | instid1(VALU_DEP_1)
	v_lshlrev_b64 v[7:8], 2, v[7:8]
	v_add_co_u32 v7, vcc_lo, s10, v7
	s_delay_alu instid0(VALU_DEP_2) | instskip(SKIP_3) | instid1(SALU_CYCLE_1)
	v_add_co_ci_u32_e32 v8, vcc_lo, s11, v8, vcc_lo
	s_waitcnt lgkmcnt(3)
	global_store_b32 v[7:8], v6, off
	s_or_b32 exec_lo, exec_lo, s1
	s_mov_b32 s1, exec_lo
	v_cmpx_gt_u32_e64 s22, v25
	s_cbranch_execnz .LBB988_151
.LBB988_186:
	s_or_b32 exec_lo, exec_lo, s1
	s_delay_alu instid0(SALU_CYCLE_1)
	s_mov_b32 s1, exec_lo
	v_cmpx_gt_u32_e64 s22, v24
	s_cbranch_execz .LBB988_156
.LBB988_187:
	s_mov_b32 s2, exec_lo
                                        ; implicit-def: $vgpr5_vgpr6
	v_cmpx_ge_u32_e64 v24, v16
	s_xor_b32 s2, exec_lo, s2
	s_cbranch_execz .LBB988_189
; %bb.188:
	s_waitcnt lgkmcnt(2)
	v_xor_b32_e32 v3, 0xfffff6ff, v0
                                        ; implicit-def: $vgpr24
	s_delay_alu instid0(VALU_DEP_1) | instskip(SKIP_1) | instid1(VALU_DEP_2)
	v_ashrrev_i32_e32 v6, 31, v3
	v_add_co_u32 v5, vcc_lo, v20, v3
	v_add_co_ci_u32_e32 v6, vcc_lo, v21, v6, vcc_lo
.LBB988_189:
	s_and_not1_saveexec_b32 s2, s2
	s_cbranch_execz .LBB988_191
; %bb.190:
	s_waitcnt lgkmcnt(3)
	v_add_co_u32 v5, vcc_lo, v15, v24
	v_add_co_ci_u32_e32 v6, vcc_lo, 0, v17, vcc_lo
.LBB988_191:
	s_or_b32 exec_lo, exec_lo, s2
	s_waitcnt lgkmcnt(3)
	s_delay_alu instid0(VALU_DEP_1) | instskip(NEXT) | instid1(VALU_DEP_1)
	v_lshlrev_b64 v[5:6], 2, v[5:6]
	v_add_co_u32 v5, vcc_lo, s10, v5
	s_delay_alu instid0(VALU_DEP_2) | instskip(SKIP_3) | instid1(SALU_CYCLE_1)
	v_add_co_ci_u32_e32 v6, vcc_lo, s11, v6, vcc_lo
	s_waitcnt lgkmcnt(2)
	global_store_b32 v[5:6], v4, off
	s_or_b32 exec_lo, exec_lo, s1
	s_mov_b32 s1, exec_lo
	v_cmpx_gt_u32_e64 s22, v23
	s_cbranch_execnz .LBB988_157
.LBB988_192:
	s_or_b32 exec_lo, exec_lo, s1
	s_delay_alu instid0(SALU_CYCLE_1)
	s_mov_b32 s1, exec_lo
	v_cmpx_gt_u32_e64 s22, v22
	s_cbranch_execz .LBB988_198
.LBB988_193:
	s_mov_b32 s2, exec_lo
                                        ; implicit-def: $vgpr3_vgpr4
	v_cmpx_ge_u32_e64 v22, v16
	s_xor_b32 s2, exec_lo, s2
	s_cbranch_execz .LBB988_195
; %bb.194:
	s_waitcnt lgkmcnt(1)
	v_xor_b32_e32 v1, 0xfffff4ff, v0
                                        ; implicit-def: $vgpr22
	s_delay_alu instid0(VALU_DEP_1) | instskip(SKIP_1) | instid1(VALU_DEP_2)
	v_ashrrev_i32_e32 v4, 31, v1
	v_add_co_u32 v3, vcc_lo, v20, v1
	v_add_co_ci_u32_e32 v4, vcc_lo, v21, v4, vcc_lo
.LBB988_195:
	s_and_not1_saveexec_b32 s2, s2
	s_cbranch_execz .LBB988_197
; %bb.196:
	s_waitcnt lgkmcnt(2)
	v_add_co_u32 v3, vcc_lo, v15, v22
	v_add_co_ci_u32_e32 v4, vcc_lo, 0, v17, vcc_lo
.LBB988_197:
	s_or_b32 exec_lo, exec_lo, s2
	s_waitcnt lgkmcnt(2)
	s_delay_alu instid0(VALU_DEP_1) | instskip(NEXT) | instid1(VALU_DEP_1)
	v_lshlrev_b64 v[3:4], 2, v[3:4]
	v_add_co_u32 v3, vcc_lo, s10, v3
	s_delay_alu instid0(VALU_DEP_2)
	v_add_co_ci_u32_e32 v4, vcc_lo, s11, v4, vcc_lo
	s_waitcnt lgkmcnt(1)
	global_store_b32 v[3:4], v2, off
.LBB988_198:
	s_or_b32 exec_lo, exec_lo, s1
	s_delay_alu instid0(SALU_CYCLE_1)
	s_mov_b32 s1, exec_lo
                                        ; implicit-def: $vgpr13_vgpr14
	v_cmpx_gt_u32_e64 s22, v19
	s_cbranch_execz .LBB988_204
; %bb.199:
	s_mov_b32 s2, exec_lo
                                        ; implicit-def: $vgpr13_vgpr14
	v_cmpx_ge_u32_e64 v19, v16
	s_xor_b32 s2, exec_lo, s2
	s_cbranch_execz .LBB988_201
; %bb.200:
	s_waitcnt lgkmcnt(1)
	v_xor_b32_e32 v1, 0xfffff3ff, v0
                                        ; implicit-def: $vgpr19
	s_delay_alu instid0(VALU_DEP_1) | instskip(SKIP_1) | instid1(VALU_DEP_2)
	v_ashrrev_i32_e32 v2, 31, v1
	v_add_co_u32 v13, vcc_lo, v20, v1
	v_add_co_ci_u32_e32 v14, vcc_lo, v21, v2, vcc_lo
.LBB988_201:
	s_and_not1_saveexec_b32 s2, s2
; %bb.202:
	v_add_co_u32 v13, vcc_lo, v15, v19
	v_add_co_ci_u32_e32 v14, vcc_lo, 0, v17, vcc_lo
; %bb.203:
	s_or_b32 exec_lo, exec_lo, s2
	s_delay_alu instid0(SALU_CYCLE_1)
	s_or_b32 s0, s0, exec_lo
.LBB988_204:
	s_or_b32 exec_lo, exec_lo, s1
.LBB988_205:
	s_and_saveexec_b32 s1, s0
	s_cbranch_execz .LBB988_207
; %bb.206:
	s_waitcnt lgkmcnt(1)
	v_lshlrev_b64 v[1:2], 2, v[13:14]
	s_delay_alu instid0(VALU_DEP_1) | instskip(NEXT) | instid1(VALU_DEP_2)
	v_add_co_u32 v1, vcc_lo, s10, v1
	v_add_co_ci_u32_e32 v2, vcc_lo, s11, v2, vcc_lo
	s_waitcnt lgkmcnt(0)
	global_store_b32 v[1:2], v18, off
.LBB988_207:
	s_or_b32 exec_lo, exec_lo, s1
	v_cmp_eq_u32_e32 vcc_lo, 0, v0
	s_and_b32 s0, vcc_lo, s14
	s_delay_alu instid0(SALU_CYCLE_1)
	s_and_saveexec_b32 s1, s0
	s_cbranch_execz .LBB988_209
; %bb.208:
	v_add_co_u32 v0, vcc_lo, v15, v16
	s_waitcnt lgkmcnt(1)
	v_mov_b32_e32 v2, 0
	v_add_co_ci_u32_e32 v1, vcc_lo, 0, v17, vcc_lo
	global_store_b64 v2, v[0:1], s[8:9]
.LBB988_209:
	s_nop 0
	s_sendmsg sendmsg(MSG_DEALLOC_VGPRS)
	s_endpgm
	.section	.rodata,"a",@progbits
	.p2align	6, 0x0
	.amdhsa_kernel _ZN7rocprim17ROCPRIM_400000_NS6detail17trampoline_kernelINS0_13select_configILj256ELj13ELNS0_17block_load_methodE3ELS4_3ELS4_3ELNS0_20block_scan_algorithmE0ELj4294967295EEENS1_25partition_config_selectorILNS1_17partition_subalgoE3EjNS0_10empty_typeEbEEZZNS1_14partition_implILS8_3ELb0ES6_jNS0_17counting_iteratorIjlEEPS9_SE_NS0_5tupleIJPjSE_EEENSF_IJSE_SE_EEES9_SG_JZNS1_25segmented_radix_sort_implINS0_14default_configELb0EPKsPsPKlPlN2at6native12_GLOBAL__N_18offset_tEEE10hipError_tPvRmT1_PNSt15iterator_traitsISY_E10value_typeET2_T3_PNSZ_IS14_E10value_typeET4_jRbjT5_S1A_jjP12ihipStream_tbEUljE_EEESV_SW_SX_S14_S18_S1A_T6_T7_T9_mT8_S1C_bDpT10_ENKUlT_T0_E_clISt17integral_constantIbLb0EES1P_EEDaS1K_S1L_EUlS1K_E_NS1_11comp_targetILNS1_3genE9ELNS1_11target_archE1100ELNS1_3gpuE3ELNS1_3repE0EEENS1_30default_config_static_selectorELNS0_4arch9wavefront6targetE0EEEvSY_
		.amdhsa_group_segment_fixed_size 13324
		.amdhsa_private_segment_fixed_size 0
		.amdhsa_kernarg_size 144
		.amdhsa_user_sgpr_count 15
		.amdhsa_user_sgpr_dispatch_ptr 0
		.amdhsa_user_sgpr_queue_ptr 0
		.amdhsa_user_sgpr_kernarg_segment_ptr 1
		.amdhsa_user_sgpr_dispatch_id 0
		.amdhsa_user_sgpr_private_segment_size 0
		.amdhsa_wavefront_size32 1
		.amdhsa_uses_dynamic_stack 0
		.amdhsa_enable_private_segment 0
		.amdhsa_system_sgpr_workgroup_id_x 1
		.amdhsa_system_sgpr_workgroup_id_y 0
		.amdhsa_system_sgpr_workgroup_id_z 0
		.amdhsa_system_sgpr_workgroup_info 0
		.amdhsa_system_vgpr_workitem_id 0
		.amdhsa_next_free_vgpr 57
		.amdhsa_next_free_sgpr 28
		.amdhsa_reserve_vcc 1
		.amdhsa_float_round_mode_32 0
		.amdhsa_float_round_mode_16_64 0
		.amdhsa_float_denorm_mode_32 3
		.amdhsa_float_denorm_mode_16_64 3
		.amdhsa_dx10_clamp 1
		.amdhsa_ieee_mode 1
		.amdhsa_fp16_overflow 0
		.amdhsa_workgroup_processor_mode 1
		.amdhsa_memory_ordered 1
		.amdhsa_forward_progress 0
		.amdhsa_shared_vgpr_count 0
		.amdhsa_exception_fp_ieee_invalid_op 0
		.amdhsa_exception_fp_denorm_src 0
		.amdhsa_exception_fp_ieee_div_zero 0
		.amdhsa_exception_fp_ieee_overflow 0
		.amdhsa_exception_fp_ieee_underflow 0
		.amdhsa_exception_fp_ieee_inexact 0
		.amdhsa_exception_int_div_zero 0
	.end_amdhsa_kernel
	.section	.text._ZN7rocprim17ROCPRIM_400000_NS6detail17trampoline_kernelINS0_13select_configILj256ELj13ELNS0_17block_load_methodE3ELS4_3ELS4_3ELNS0_20block_scan_algorithmE0ELj4294967295EEENS1_25partition_config_selectorILNS1_17partition_subalgoE3EjNS0_10empty_typeEbEEZZNS1_14partition_implILS8_3ELb0ES6_jNS0_17counting_iteratorIjlEEPS9_SE_NS0_5tupleIJPjSE_EEENSF_IJSE_SE_EEES9_SG_JZNS1_25segmented_radix_sort_implINS0_14default_configELb0EPKsPsPKlPlN2at6native12_GLOBAL__N_18offset_tEEE10hipError_tPvRmT1_PNSt15iterator_traitsISY_E10value_typeET2_T3_PNSZ_IS14_E10value_typeET4_jRbjT5_S1A_jjP12ihipStream_tbEUljE_EEESV_SW_SX_S14_S18_S1A_T6_T7_T9_mT8_S1C_bDpT10_ENKUlT_T0_E_clISt17integral_constantIbLb0EES1P_EEDaS1K_S1L_EUlS1K_E_NS1_11comp_targetILNS1_3genE9ELNS1_11target_archE1100ELNS1_3gpuE3ELNS1_3repE0EEENS1_30default_config_static_selectorELNS0_4arch9wavefront6targetE0EEEvSY_,"axG",@progbits,_ZN7rocprim17ROCPRIM_400000_NS6detail17trampoline_kernelINS0_13select_configILj256ELj13ELNS0_17block_load_methodE3ELS4_3ELS4_3ELNS0_20block_scan_algorithmE0ELj4294967295EEENS1_25partition_config_selectorILNS1_17partition_subalgoE3EjNS0_10empty_typeEbEEZZNS1_14partition_implILS8_3ELb0ES6_jNS0_17counting_iteratorIjlEEPS9_SE_NS0_5tupleIJPjSE_EEENSF_IJSE_SE_EEES9_SG_JZNS1_25segmented_radix_sort_implINS0_14default_configELb0EPKsPsPKlPlN2at6native12_GLOBAL__N_18offset_tEEE10hipError_tPvRmT1_PNSt15iterator_traitsISY_E10value_typeET2_T3_PNSZ_IS14_E10value_typeET4_jRbjT5_S1A_jjP12ihipStream_tbEUljE_EEESV_SW_SX_S14_S18_S1A_T6_T7_T9_mT8_S1C_bDpT10_ENKUlT_T0_E_clISt17integral_constantIbLb0EES1P_EEDaS1K_S1L_EUlS1K_E_NS1_11comp_targetILNS1_3genE9ELNS1_11target_archE1100ELNS1_3gpuE3ELNS1_3repE0EEENS1_30default_config_static_selectorELNS0_4arch9wavefront6targetE0EEEvSY_,comdat
.Lfunc_end988:
	.size	_ZN7rocprim17ROCPRIM_400000_NS6detail17trampoline_kernelINS0_13select_configILj256ELj13ELNS0_17block_load_methodE3ELS4_3ELS4_3ELNS0_20block_scan_algorithmE0ELj4294967295EEENS1_25partition_config_selectorILNS1_17partition_subalgoE3EjNS0_10empty_typeEbEEZZNS1_14partition_implILS8_3ELb0ES6_jNS0_17counting_iteratorIjlEEPS9_SE_NS0_5tupleIJPjSE_EEENSF_IJSE_SE_EEES9_SG_JZNS1_25segmented_radix_sort_implINS0_14default_configELb0EPKsPsPKlPlN2at6native12_GLOBAL__N_18offset_tEEE10hipError_tPvRmT1_PNSt15iterator_traitsISY_E10value_typeET2_T3_PNSZ_IS14_E10value_typeET4_jRbjT5_S1A_jjP12ihipStream_tbEUljE_EEESV_SW_SX_S14_S18_S1A_T6_T7_T9_mT8_S1C_bDpT10_ENKUlT_T0_E_clISt17integral_constantIbLb0EES1P_EEDaS1K_S1L_EUlS1K_E_NS1_11comp_targetILNS1_3genE9ELNS1_11target_archE1100ELNS1_3gpuE3ELNS1_3repE0EEENS1_30default_config_static_selectorELNS0_4arch9wavefront6targetE0EEEvSY_, .Lfunc_end988-_ZN7rocprim17ROCPRIM_400000_NS6detail17trampoline_kernelINS0_13select_configILj256ELj13ELNS0_17block_load_methodE3ELS4_3ELS4_3ELNS0_20block_scan_algorithmE0ELj4294967295EEENS1_25partition_config_selectorILNS1_17partition_subalgoE3EjNS0_10empty_typeEbEEZZNS1_14partition_implILS8_3ELb0ES6_jNS0_17counting_iteratorIjlEEPS9_SE_NS0_5tupleIJPjSE_EEENSF_IJSE_SE_EEES9_SG_JZNS1_25segmented_radix_sort_implINS0_14default_configELb0EPKsPsPKlPlN2at6native12_GLOBAL__N_18offset_tEEE10hipError_tPvRmT1_PNSt15iterator_traitsISY_E10value_typeET2_T3_PNSZ_IS14_E10value_typeET4_jRbjT5_S1A_jjP12ihipStream_tbEUljE_EEESV_SW_SX_S14_S18_S1A_T6_T7_T9_mT8_S1C_bDpT10_ENKUlT_T0_E_clISt17integral_constantIbLb0EES1P_EEDaS1K_S1L_EUlS1K_E_NS1_11comp_targetILNS1_3genE9ELNS1_11target_archE1100ELNS1_3gpuE3ELNS1_3repE0EEENS1_30default_config_static_selectorELNS0_4arch9wavefront6targetE0EEEvSY_
                                        ; -- End function
	.section	.AMDGPU.csdata,"",@progbits
; Kernel info:
; codeLenInByte = 8864
; NumSgprs: 30
; NumVgprs: 57
; ScratchSize: 0
; MemoryBound: 0
; FloatMode: 240
; IeeeMode: 1
; LDSByteSize: 13324 bytes/workgroup (compile time only)
; SGPRBlocks: 3
; VGPRBlocks: 7
; NumSGPRsForWavesPerEU: 30
; NumVGPRsForWavesPerEU: 57
; Occupancy: 16
; WaveLimiterHint : 0
; COMPUTE_PGM_RSRC2:SCRATCH_EN: 0
; COMPUTE_PGM_RSRC2:USER_SGPR: 15
; COMPUTE_PGM_RSRC2:TRAP_HANDLER: 0
; COMPUTE_PGM_RSRC2:TGID_X_EN: 1
; COMPUTE_PGM_RSRC2:TGID_Y_EN: 0
; COMPUTE_PGM_RSRC2:TGID_Z_EN: 0
; COMPUTE_PGM_RSRC2:TIDIG_COMP_CNT: 0
	.section	.text._ZN7rocprim17ROCPRIM_400000_NS6detail17trampoline_kernelINS0_13select_configILj256ELj13ELNS0_17block_load_methodE3ELS4_3ELS4_3ELNS0_20block_scan_algorithmE0ELj4294967295EEENS1_25partition_config_selectorILNS1_17partition_subalgoE3EjNS0_10empty_typeEbEEZZNS1_14partition_implILS8_3ELb0ES6_jNS0_17counting_iteratorIjlEEPS9_SE_NS0_5tupleIJPjSE_EEENSF_IJSE_SE_EEES9_SG_JZNS1_25segmented_radix_sort_implINS0_14default_configELb0EPKsPsPKlPlN2at6native12_GLOBAL__N_18offset_tEEE10hipError_tPvRmT1_PNSt15iterator_traitsISY_E10value_typeET2_T3_PNSZ_IS14_E10value_typeET4_jRbjT5_S1A_jjP12ihipStream_tbEUljE_EEESV_SW_SX_S14_S18_S1A_T6_T7_T9_mT8_S1C_bDpT10_ENKUlT_T0_E_clISt17integral_constantIbLb0EES1P_EEDaS1K_S1L_EUlS1K_E_NS1_11comp_targetILNS1_3genE8ELNS1_11target_archE1030ELNS1_3gpuE2ELNS1_3repE0EEENS1_30default_config_static_selectorELNS0_4arch9wavefront6targetE0EEEvSY_,"axG",@progbits,_ZN7rocprim17ROCPRIM_400000_NS6detail17trampoline_kernelINS0_13select_configILj256ELj13ELNS0_17block_load_methodE3ELS4_3ELS4_3ELNS0_20block_scan_algorithmE0ELj4294967295EEENS1_25partition_config_selectorILNS1_17partition_subalgoE3EjNS0_10empty_typeEbEEZZNS1_14partition_implILS8_3ELb0ES6_jNS0_17counting_iteratorIjlEEPS9_SE_NS0_5tupleIJPjSE_EEENSF_IJSE_SE_EEES9_SG_JZNS1_25segmented_radix_sort_implINS0_14default_configELb0EPKsPsPKlPlN2at6native12_GLOBAL__N_18offset_tEEE10hipError_tPvRmT1_PNSt15iterator_traitsISY_E10value_typeET2_T3_PNSZ_IS14_E10value_typeET4_jRbjT5_S1A_jjP12ihipStream_tbEUljE_EEESV_SW_SX_S14_S18_S1A_T6_T7_T9_mT8_S1C_bDpT10_ENKUlT_T0_E_clISt17integral_constantIbLb0EES1P_EEDaS1K_S1L_EUlS1K_E_NS1_11comp_targetILNS1_3genE8ELNS1_11target_archE1030ELNS1_3gpuE2ELNS1_3repE0EEENS1_30default_config_static_selectorELNS0_4arch9wavefront6targetE0EEEvSY_,comdat
	.globl	_ZN7rocprim17ROCPRIM_400000_NS6detail17trampoline_kernelINS0_13select_configILj256ELj13ELNS0_17block_load_methodE3ELS4_3ELS4_3ELNS0_20block_scan_algorithmE0ELj4294967295EEENS1_25partition_config_selectorILNS1_17partition_subalgoE3EjNS0_10empty_typeEbEEZZNS1_14partition_implILS8_3ELb0ES6_jNS0_17counting_iteratorIjlEEPS9_SE_NS0_5tupleIJPjSE_EEENSF_IJSE_SE_EEES9_SG_JZNS1_25segmented_radix_sort_implINS0_14default_configELb0EPKsPsPKlPlN2at6native12_GLOBAL__N_18offset_tEEE10hipError_tPvRmT1_PNSt15iterator_traitsISY_E10value_typeET2_T3_PNSZ_IS14_E10value_typeET4_jRbjT5_S1A_jjP12ihipStream_tbEUljE_EEESV_SW_SX_S14_S18_S1A_T6_T7_T9_mT8_S1C_bDpT10_ENKUlT_T0_E_clISt17integral_constantIbLb0EES1P_EEDaS1K_S1L_EUlS1K_E_NS1_11comp_targetILNS1_3genE8ELNS1_11target_archE1030ELNS1_3gpuE2ELNS1_3repE0EEENS1_30default_config_static_selectorELNS0_4arch9wavefront6targetE0EEEvSY_ ; -- Begin function _ZN7rocprim17ROCPRIM_400000_NS6detail17trampoline_kernelINS0_13select_configILj256ELj13ELNS0_17block_load_methodE3ELS4_3ELS4_3ELNS0_20block_scan_algorithmE0ELj4294967295EEENS1_25partition_config_selectorILNS1_17partition_subalgoE3EjNS0_10empty_typeEbEEZZNS1_14partition_implILS8_3ELb0ES6_jNS0_17counting_iteratorIjlEEPS9_SE_NS0_5tupleIJPjSE_EEENSF_IJSE_SE_EEES9_SG_JZNS1_25segmented_radix_sort_implINS0_14default_configELb0EPKsPsPKlPlN2at6native12_GLOBAL__N_18offset_tEEE10hipError_tPvRmT1_PNSt15iterator_traitsISY_E10value_typeET2_T3_PNSZ_IS14_E10value_typeET4_jRbjT5_S1A_jjP12ihipStream_tbEUljE_EEESV_SW_SX_S14_S18_S1A_T6_T7_T9_mT8_S1C_bDpT10_ENKUlT_T0_E_clISt17integral_constantIbLb0EES1P_EEDaS1K_S1L_EUlS1K_E_NS1_11comp_targetILNS1_3genE8ELNS1_11target_archE1030ELNS1_3gpuE2ELNS1_3repE0EEENS1_30default_config_static_selectorELNS0_4arch9wavefront6targetE0EEEvSY_
	.p2align	8
	.type	_ZN7rocprim17ROCPRIM_400000_NS6detail17trampoline_kernelINS0_13select_configILj256ELj13ELNS0_17block_load_methodE3ELS4_3ELS4_3ELNS0_20block_scan_algorithmE0ELj4294967295EEENS1_25partition_config_selectorILNS1_17partition_subalgoE3EjNS0_10empty_typeEbEEZZNS1_14partition_implILS8_3ELb0ES6_jNS0_17counting_iteratorIjlEEPS9_SE_NS0_5tupleIJPjSE_EEENSF_IJSE_SE_EEES9_SG_JZNS1_25segmented_radix_sort_implINS0_14default_configELb0EPKsPsPKlPlN2at6native12_GLOBAL__N_18offset_tEEE10hipError_tPvRmT1_PNSt15iterator_traitsISY_E10value_typeET2_T3_PNSZ_IS14_E10value_typeET4_jRbjT5_S1A_jjP12ihipStream_tbEUljE_EEESV_SW_SX_S14_S18_S1A_T6_T7_T9_mT8_S1C_bDpT10_ENKUlT_T0_E_clISt17integral_constantIbLb0EES1P_EEDaS1K_S1L_EUlS1K_E_NS1_11comp_targetILNS1_3genE8ELNS1_11target_archE1030ELNS1_3gpuE2ELNS1_3repE0EEENS1_30default_config_static_selectorELNS0_4arch9wavefront6targetE0EEEvSY_,@function
_ZN7rocprim17ROCPRIM_400000_NS6detail17trampoline_kernelINS0_13select_configILj256ELj13ELNS0_17block_load_methodE3ELS4_3ELS4_3ELNS0_20block_scan_algorithmE0ELj4294967295EEENS1_25partition_config_selectorILNS1_17partition_subalgoE3EjNS0_10empty_typeEbEEZZNS1_14partition_implILS8_3ELb0ES6_jNS0_17counting_iteratorIjlEEPS9_SE_NS0_5tupleIJPjSE_EEENSF_IJSE_SE_EEES9_SG_JZNS1_25segmented_radix_sort_implINS0_14default_configELb0EPKsPsPKlPlN2at6native12_GLOBAL__N_18offset_tEEE10hipError_tPvRmT1_PNSt15iterator_traitsISY_E10value_typeET2_T3_PNSZ_IS14_E10value_typeET4_jRbjT5_S1A_jjP12ihipStream_tbEUljE_EEESV_SW_SX_S14_S18_S1A_T6_T7_T9_mT8_S1C_bDpT10_ENKUlT_T0_E_clISt17integral_constantIbLb0EES1P_EEDaS1K_S1L_EUlS1K_E_NS1_11comp_targetILNS1_3genE8ELNS1_11target_archE1030ELNS1_3gpuE2ELNS1_3repE0EEENS1_30default_config_static_selectorELNS0_4arch9wavefront6targetE0EEEvSY_: ; @_ZN7rocprim17ROCPRIM_400000_NS6detail17trampoline_kernelINS0_13select_configILj256ELj13ELNS0_17block_load_methodE3ELS4_3ELS4_3ELNS0_20block_scan_algorithmE0ELj4294967295EEENS1_25partition_config_selectorILNS1_17partition_subalgoE3EjNS0_10empty_typeEbEEZZNS1_14partition_implILS8_3ELb0ES6_jNS0_17counting_iteratorIjlEEPS9_SE_NS0_5tupleIJPjSE_EEENSF_IJSE_SE_EEES9_SG_JZNS1_25segmented_radix_sort_implINS0_14default_configELb0EPKsPsPKlPlN2at6native12_GLOBAL__N_18offset_tEEE10hipError_tPvRmT1_PNSt15iterator_traitsISY_E10value_typeET2_T3_PNSZ_IS14_E10value_typeET4_jRbjT5_S1A_jjP12ihipStream_tbEUljE_EEESV_SW_SX_S14_S18_S1A_T6_T7_T9_mT8_S1C_bDpT10_ENKUlT_T0_E_clISt17integral_constantIbLb0EES1P_EEDaS1K_S1L_EUlS1K_E_NS1_11comp_targetILNS1_3genE8ELNS1_11target_archE1030ELNS1_3gpuE2ELNS1_3repE0EEENS1_30default_config_static_selectorELNS0_4arch9wavefront6targetE0EEEvSY_
; %bb.0:
	.section	.rodata,"a",@progbits
	.p2align	6, 0x0
	.amdhsa_kernel _ZN7rocprim17ROCPRIM_400000_NS6detail17trampoline_kernelINS0_13select_configILj256ELj13ELNS0_17block_load_methodE3ELS4_3ELS4_3ELNS0_20block_scan_algorithmE0ELj4294967295EEENS1_25partition_config_selectorILNS1_17partition_subalgoE3EjNS0_10empty_typeEbEEZZNS1_14partition_implILS8_3ELb0ES6_jNS0_17counting_iteratorIjlEEPS9_SE_NS0_5tupleIJPjSE_EEENSF_IJSE_SE_EEES9_SG_JZNS1_25segmented_radix_sort_implINS0_14default_configELb0EPKsPsPKlPlN2at6native12_GLOBAL__N_18offset_tEEE10hipError_tPvRmT1_PNSt15iterator_traitsISY_E10value_typeET2_T3_PNSZ_IS14_E10value_typeET4_jRbjT5_S1A_jjP12ihipStream_tbEUljE_EEESV_SW_SX_S14_S18_S1A_T6_T7_T9_mT8_S1C_bDpT10_ENKUlT_T0_E_clISt17integral_constantIbLb0EES1P_EEDaS1K_S1L_EUlS1K_E_NS1_11comp_targetILNS1_3genE8ELNS1_11target_archE1030ELNS1_3gpuE2ELNS1_3repE0EEENS1_30default_config_static_selectorELNS0_4arch9wavefront6targetE0EEEvSY_
		.amdhsa_group_segment_fixed_size 0
		.amdhsa_private_segment_fixed_size 0
		.amdhsa_kernarg_size 144
		.amdhsa_user_sgpr_count 15
		.amdhsa_user_sgpr_dispatch_ptr 0
		.amdhsa_user_sgpr_queue_ptr 0
		.amdhsa_user_sgpr_kernarg_segment_ptr 1
		.amdhsa_user_sgpr_dispatch_id 0
		.amdhsa_user_sgpr_private_segment_size 0
		.amdhsa_wavefront_size32 1
		.amdhsa_uses_dynamic_stack 0
		.amdhsa_enable_private_segment 0
		.amdhsa_system_sgpr_workgroup_id_x 1
		.amdhsa_system_sgpr_workgroup_id_y 0
		.amdhsa_system_sgpr_workgroup_id_z 0
		.amdhsa_system_sgpr_workgroup_info 0
		.amdhsa_system_vgpr_workitem_id 0
		.amdhsa_next_free_vgpr 1
		.amdhsa_next_free_sgpr 1
		.amdhsa_reserve_vcc 0
		.amdhsa_float_round_mode_32 0
		.amdhsa_float_round_mode_16_64 0
		.amdhsa_float_denorm_mode_32 3
		.amdhsa_float_denorm_mode_16_64 3
		.amdhsa_dx10_clamp 1
		.amdhsa_ieee_mode 1
		.amdhsa_fp16_overflow 0
		.amdhsa_workgroup_processor_mode 1
		.amdhsa_memory_ordered 1
		.amdhsa_forward_progress 0
		.amdhsa_shared_vgpr_count 0
		.amdhsa_exception_fp_ieee_invalid_op 0
		.amdhsa_exception_fp_denorm_src 0
		.amdhsa_exception_fp_ieee_div_zero 0
		.amdhsa_exception_fp_ieee_overflow 0
		.amdhsa_exception_fp_ieee_underflow 0
		.amdhsa_exception_fp_ieee_inexact 0
		.amdhsa_exception_int_div_zero 0
	.end_amdhsa_kernel
	.section	.text._ZN7rocprim17ROCPRIM_400000_NS6detail17trampoline_kernelINS0_13select_configILj256ELj13ELNS0_17block_load_methodE3ELS4_3ELS4_3ELNS0_20block_scan_algorithmE0ELj4294967295EEENS1_25partition_config_selectorILNS1_17partition_subalgoE3EjNS0_10empty_typeEbEEZZNS1_14partition_implILS8_3ELb0ES6_jNS0_17counting_iteratorIjlEEPS9_SE_NS0_5tupleIJPjSE_EEENSF_IJSE_SE_EEES9_SG_JZNS1_25segmented_radix_sort_implINS0_14default_configELb0EPKsPsPKlPlN2at6native12_GLOBAL__N_18offset_tEEE10hipError_tPvRmT1_PNSt15iterator_traitsISY_E10value_typeET2_T3_PNSZ_IS14_E10value_typeET4_jRbjT5_S1A_jjP12ihipStream_tbEUljE_EEESV_SW_SX_S14_S18_S1A_T6_T7_T9_mT8_S1C_bDpT10_ENKUlT_T0_E_clISt17integral_constantIbLb0EES1P_EEDaS1K_S1L_EUlS1K_E_NS1_11comp_targetILNS1_3genE8ELNS1_11target_archE1030ELNS1_3gpuE2ELNS1_3repE0EEENS1_30default_config_static_selectorELNS0_4arch9wavefront6targetE0EEEvSY_,"axG",@progbits,_ZN7rocprim17ROCPRIM_400000_NS6detail17trampoline_kernelINS0_13select_configILj256ELj13ELNS0_17block_load_methodE3ELS4_3ELS4_3ELNS0_20block_scan_algorithmE0ELj4294967295EEENS1_25partition_config_selectorILNS1_17partition_subalgoE3EjNS0_10empty_typeEbEEZZNS1_14partition_implILS8_3ELb0ES6_jNS0_17counting_iteratorIjlEEPS9_SE_NS0_5tupleIJPjSE_EEENSF_IJSE_SE_EEES9_SG_JZNS1_25segmented_radix_sort_implINS0_14default_configELb0EPKsPsPKlPlN2at6native12_GLOBAL__N_18offset_tEEE10hipError_tPvRmT1_PNSt15iterator_traitsISY_E10value_typeET2_T3_PNSZ_IS14_E10value_typeET4_jRbjT5_S1A_jjP12ihipStream_tbEUljE_EEESV_SW_SX_S14_S18_S1A_T6_T7_T9_mT8_S1C_bDpT10_ENKUlT_T0_E_clISt17integral_constantIbLb0EES1P_EEDaS1K_S1L_EUlS1K_E_NS1_11comp_targetILNS1_3genE8ELNS1_11target_archE1030ELNS1_3gpuE2ELNS1_3repE0EEENS1_30default_config_static_selectorELNS0_4arch9wavefront6targetE0EEEvSY_,comdat
.Lfunc_end989:
	.size	_ZN7rocprim17ROCPRIM_400000_NS6detail17trampoline_kernelINS0_13select_configILj256ELj13ELNS0_17block_load_methodE3ELS4_3ELS4_3ELNS0_20block_scan_algorithmE0ELj4294967295EEENS1_25partition_config_selectorILNS1_17partition_subalgoE3EjNS0_10empty_typeEbEEZZNS1_14partition_implILS8_3ELb0ES6_jNS0_17counting_iteratorIjlEEPS9_SE_NS0_5tupleIJPjSE_EEENSF_IJSE_SE_EEES9_SG_JZNS1_25segmented_radix_sort_implINS0_14default_configELb0EPKsPsPKlPlN2at6native12_GLOBAL__N_18offset_tEEE10hipError_tPvRmT1_PNSt15iterator_traitsISY_E10value_typeET2_T3_PNSZ_IS14_E10value_typeET4_jRbjT5_S1A_jjP12ihipStream_tbEUljE_EEESV_SW_SX_S14_S18_S1A_T6_T7_T9_mT8_S1C_bDpT10_ENKUlT_T0_E_clISt17integral_constantIbLb0EES1P_EEDaS1K_S1L_EUlS1K_E_NS1_11comp_targetILNS1_3genE8ELNS1_11target_archE1030ELNS1_3gpuE2ELNS1_3repE0EEENS1_30default_config_static_selectorELNS0_4arch9wavefront6targetE0EEEvSY_, .Lfunc_end989-_ZN7rocprim17ROCPRIM_400000_NS6detail17trampoline_kernelINS0_13select_configILj256ELj13ELNS0_17block_load_methodE3ELS4_3ELS4_3ELNS0_20block_scan_algorithmE0ELj4294967295EEENS1_25partition_config_selectorILNS1_17partition_subalgoE3EjNS0_10empty_typeEbEEZZNS1_14partition_implILS8_3ELb0ES6_jNS0_17counting_iteratorIjlEEPS9_SE_NS0_5tupleIJPjSE_EEENSF_IJSE_SE_EEES9_SG_JZNS1_25segmented_radix_sort_implINS0_14default_configELb0EPKsPsPKlPlN2at6native12_GLOBAL__N_18offset_tEEE10hipError_tPvRmT1_PNSt15iterator_traitsISY_E10value_typeET2_T3_PNSZ_IS14_E10value_typeET4_jRbjT5_S1A_jjP12ihipStream_tbEUljE_EEESV_SW_SX_S14_S18_S1A_T6_T7_T9_mT8_S1C_bDpT10_ENKUlT_T0_E_clISt17integral_constantIbLb0EES1P_EEDaS1K_S1L_EUlS1K_E_NS1_11comp_targetILNS1_3genE8ELNS1_11target_archE1030ELNS1_3gpuE2ELNS1_3repE0EEENS1_30default_config_static_selectorELNS0_4arch9wavefront6targetE0EEEvSY_
                                        ; -- End function
	.section	.AMDGPU.csdata,"",@progbits
; Kernel info:
; codeLenInByte = 0
; NumSgprs: 0
; NumVgprs: 0
; ScratchSize: 0
; MemoryBound: 0
; FloatMode: 240
; IeeeMode: 1
; LDSByteSize: 0 bytes/workgroup (compile time only)
; SGPRBlocks: 0
; VGPRBlocks: 0
; NumSGPRsForWavesPerEU: 1
; NumVGPRsForWavesPerEU: 1
; Occupancy: 16
; WaveLimiterHint : 0
; COMPUTE_PGM_RSRC2:SCRATCH_EN: 0
; COMPUTE_PGM_RSRC2:USER_SGPR: 15
; COMPUTE_PGM_RSRC2:TRAP_HANDLER: 0
; COMPUTE_PGM_RSRC2:TGID_X_EN: 1
; COMPUTE_PGM_RSRC2:TGID_Y_EN: 0
; COMPUTE_PGM_RSRC2:TGID_Z_EN: 0
; COMPUTE_PGM_RSRC2:TIDIG_COMP_CNT: 0
	.section	.text._ZN7rocprim17ROCPRIM_400000_NS6detail17trampoline_kernelINS0_13select_configILj256ELj13ELNS0_17block_load_methodE3ELS4_3ELS4_3ELNS0_20block_scan_algorithmE0ELj4294967295EEENS1_25partition_config_selectorILNS1_17partition_subalgoE3EjNS0_10empty_typeEbEEZZNS1_14partition_implILS8_3ELb0ES6_jNS0_17counting_iteratorIjlEEPS9_SE_NS0_5tupleIJPjSE_EEENSF_IJSE_SE_EEES9_SG_JZNS1_25segmented_radix_sort_implINS0_14default_configELb0EPKsPsPKlPlN2at6native12_GLOBAL__N_18offset_tEEE10hipError_tPvRmT1_PNSt15iterator_traitsISY_E10value_typeET2_T3_PNSZ_IS14_E10value_typeET4_jRbjT5_S1A_jjP12ihipStream_tbEUljE_EEESV_SW_SX_S14_S18_S1A_T6_T7_T9_mT8_S1C_bDpT10_ENKUlT_T0_E_clISt17integral_constantIbLb1EES1P_EEDaS1K_S1L_EUlS1K_E_NS1_11comp_targetILNS1_3genE0ELNS1_11target_archE4294967295ELNS1_3gpuE0ELNS1_3repE0EEENS1_30default_config_static_selectorELNS0_4arch9wavefront6targetE0EEEvSY_,"axG",@progbits,_ZN7rocprim17ROCPRIM_400000_NS6detail17trampoline_kernelINS0_13select_configILj256ELj13ELNS0_17block_load_methodE3ELS4_3ELS4_3ELNS0_20block_scan_algorithmE0ELj4294967295EEENS1_25partition_config_selectorILNS1_17partition_subalgoE3EjNS0_10empty_typeEbEEZZNS1_14partition_implILS8_3ELb0ES6_jNS0_17counting_iteratorIjlEEPS9_SE_NS0_5tupleIJPjSE_EEENSF_IJSE_SE_EEES9_SG_JZNS1_25segmented_radix_sort_implINS0_14default_configELb0EPKsPsPKlPlN2at6native12_GLOBAL__N_18offset_tEEE10hipError_tPvRmT1_PNSt15iterator_traitsISY_E10value_typeET2_T3_PNSZ_IS14_E10value_typeET4_jRbjT5_S1A_jjP12ihipStream_tbEUljE_EEESV_SW_SX_S14_S18_S1A_T6_T7_T9_mT8_S1C_bDpT10_ENKUlT_T0_E_clISt17integral_constantIbLb1EES1P_EEDaS1K_S1L_EUlS1K_E_NS1_11comp_targetILNS1_3genE0ELNS1_11target_archE4294967295ELNS1_3gpuE0ELNS1_3repE0EEENS1_30default_config_static_selectorELNS0_4arch9wavefront6targetE0EEEvSY_,comdat
	.globl	_ZN7rocprim17ROCPRIM_400000_NS6detail17trampoline_kernelINS0_13select_configILj256ELj13ELNS0_17block_load_methodE3ELS4_3ELS4_3ELNS0_20block_scan_algorithmE0ELj4294967295EEENS1_25partition_config_selectorILNS1_17partition_subalgoE3EjNS0_10empty_typeEbEEZZNS1_14partition_implILS8_3ELb0ES6_jNS0_17counting_iteratorIjlEEPS9_SE_NS0_5tupleIJPjSE_EEENSF_IJSE_SE_EEES9_SG_JZNS1_25segmented_radix_sort_implINS0_14default_configELb0EPKsPsPKlPlN2at6native12_GLOBAL__N_18offset_tEEE10hipError_tPvRmT1_PNSt15iterator_traitsISY_E10value_typeET2_T3_PNSZ_IS14_E10value_typeET4_jRbjT5_S1A_jjP12ihipStream_tbEUljE_EEESV_SW_SX_S14_S18_S1A_T6_T7_T9_mT8_S1C_bDpT10_ENKUlT_T0_E_clISt17integral_constantIbLb1EES1P_EEDaS1K_S1L_EUlS1K_E_NS1_11comp_targetILNS1_3genE0ELNS1_11target_archE4294967295ELNS1_3gpuE0ELNS1_3repE0EEENS1_30default_config_static_selectorELNS0_4arch9wavefront6targetE0EEEvSY_ ; -- Begin function _ZN7rocprim17ROCPRIM_400000_NS6detail17trampoline_kernelINS0_13select_configILj256ELj13ELNS0_17block_load_methodE3ELS4_3ELS4_3ELNS0_20block_scan_algorithmE0ELj4294967295EEENS1_25partition_config_selectorILNS1_17partition_subalgoE3EjNS0_10empty_typeEbEEZZNS1_14partition_implILS8_3ELb0ES6_jNS0_17counting_iteratorIjlEEPS9_SE_NS0_5tupleIJPjSE_EEENSF_IJSE_SE_EEES9_SG_JZNS1_25segmented_radix_sort_implINS0_14default_configELb0EPKsPsPKlPlN2at6native12_GLOBAL__N_18offset_tEEE10hipError_tPvRmT1_PNSt15iterator_traitsISY_E10value_typeET2_T3_PNSZ_IS14_E10value_typeET4_jRbjT5_S1A_jjP12ihipStream_tbEUljE_EEESV_SW_SX_S14_S18_S1A_T6_T7_T9_mT8_S1C_bDpT10_ENKUlT_T0_E_clISt17integral_constantIbLb1EES1P_EEDaS1K_S1L_EUlS1K_E_NS1_11comp_targetILNS1_3genE0ELNS1_11target_archE4294967295ELNS1_3gpuE0ELNS1_3repE0EEENS1_30default_config_static_selectorELNS0_4arch9wavefront6targetE0EEEvSY_
	.p2align	8
	.type	_ZN7rocprim17ROCPRIM_400000_NS6detail17trampoline_kernelINS0_13select_configILj256ELj13ELNS0_17block_load_methodE3ELS4_3ELS4_3ELNS0_20block_scan_algorithmE0ELj4294967295EEENS1_25partition_config_selectorILNS1_17partition_subalgoE3EjNS0_10empty_typeEbEEZZNS1_14partition_implILS8_3ELb0ES6_jNS0_17counting_iteratorIjlEEPS9_SE_NS0_5tupleIJPjSE_EEENSF_IJSE_SE_EEES9_SG_JZNS1_25segmented_radix_sort_implINS0_14default_configELb0EPKsPsPKlPlN2at6native12_GLOBAL__N_18offset_tEEE10hipError_tPvRmT1_PNSt15iterator_traitsISY_E10value_typeET2_T3_PNSZ_IS14_E10value_typeET4_jRbjT5_S1A_jjP12ihipStream_tbEUljE_EEESV_SW_SX_S14_S18_S1A_T6_T7_T9_mT8_S1C_bDpT10_ENKUlT_T0_E_clISt17integral_constantIbLb1EES1P_EEDaS1K_S1L_EUlS1K_E_NS1_11comp_targetILNS1_3genE0ELNS1_11target_archE4294967295ELNS1_3gpuE0ELNS1_3repE0EEENS1_30default_config_static_selectorELNS0_4arch9wavefront6targetE0EEEvSY_,@function
_ZN7rocprim17ROCPRIM_400000_NS6detail17trampoline_kernelINS0_13select_configILj256ELj13ELNS0_17block_load_methodE3ELS4_3ELS4_3ELNS0_20block_scan_algorithmE0ELj4294967295EEENS1_25partition_config_selectorILNS1_17partition_subalgoE3EjNS0_10empty_typeEbEEZZNS1_14partition_implILS8_3ELb0ES6_jNS0_17counting_iteratorIjlEEPS9_SE_NS0_5tupleIJPjSE_EEENSF_IJSE_SE_EEES9_SG_JZNS1_25segmented_radix_sort_implINS0_14default_configELb0EPKsPsPKlPlN2at6native12_GLOBAL__N_18offset_tEEE10hipError_tPvRmT1_PNSt15iterator_traitsISY_E10value_typeET2_T3_PNSZ_IS14_E10value_typeET4_jRbjT5_S1A_jjP12ihipStream_tbEUljE_EEESV_SW_SX_S14_S18_S1A_T6_T7_T9_mT8_S1C_bDpT10_ENKUlT_T0_E_clISt17integral_constantIbLb1EES1P_EEDaS1K_S1L_EUlS1K_E_NS1_11comp_targetILNS1_3genE0ELNS1_11target_archE4294967295ELNS1_3gpuE0ELNS1_3repE0EEENS1_30default_config_static_selectorELNS0_4arch9wavefront6targetE0EEEvSY_: ; @_ZN7rocprim17ROCPRIM_400000_NS6detail17trampoline_kernelINS0_13select_configILj256ELj13ELNS0_17block_load_methodE3ELS4_3ELS4_3ELNS0_20block_scan_algorithmE0ELj4294967295EEENS1_25partition_config_selectorILNS1_17partition_subalgoE3EjNS0_10empty_typeEbEEZZNS1_14partition_implILS8_3ELb0ES6_jNS0_17counting_iteratorIjlEEPS9_SE_NS0_5tupleIJPjSE_EEENSF_IJSE_SE_EEES9_SG_JZNS1_25segmented_radix_sort_implINS0_14default_configELb0EPKsPsPKlPlN2at6native12_GLOBAL__N_18offset_tEEE10hipError_tPvRmT1_PNSt15iterator_traitsISY_E10value_typeET2_T3_PNSZ_IS14_E10value_typeET4_jRbjT5_S1A_jjP12ihipStream_tbEUljE_EEESV_SW_SX_S14_S18_S1A_T6_T7_T9_mT8_S1C_bDpT10_ENKUlT_T0_E_clISt17integral_constantIbLb1EES1P_EEDaS1K_S1L_EUlS1K_E_NS1_11comp_targetILNS1_3genE0ELNS1_11target_archE4294967295ELNS1_3gpuE0ELNS1_3repE0EEENS1_30default_config_static_selectorELNS0_4arch9wavefront6targetE0EEEvSY_
; %bb.0:
	.section	.rodata,"a",@progbits
	.p2align	6, 0x0
	.amdhsa_kernel _ZN7rocprim17ROCPRIM_400000_NS6detail17trampoline_kernelINS0_13select_configILj256ELj13ELNS0_17block_load_methodE3ELS4_3ELS4_3ELNS0_20block_scan_algorithmE0ELj4294967295EEENS1_25partition_config_selectorILNS1_17partition_subalgoE3EjNS0_10empty_typeEbEEZZNS1_14partition_implILS8_3ELb0ES6_jNS0_17counting_iteratorIjlEEPS9_SE_NS0_5tupleIJPjSE_EEENSF_IJSE_SE_EEES9_SG_JZNS1_25segmented_radix_sort_implINS0_14default_configELb0EPKsPsPKlPlN2at6native12_GLOBAL__N_18offset_tEEE10hipError_tPvRmT1_PNSt15iterator_traitsISY_E10value_typeET2_T3_PNSZ_IS14_E10value_typeET4_jRbjT5_S1A_jjP12ihipStream_tbEUljE_EEESV_SW_SX_S14_S18_S1A_T6_T7_T9_mT8_S1C_bDpT10_ENKUlT_T0_E_clISt17integral_constantIbLb1EES1P_EEDaS1K_S1L_EUlS1K_E_NS1_11comp_targetILNS1_3genE0ELNS1_11target_archE4294967295ELNS1_3gpuE0ELNS1_3repE0EEENS1_30default_config_static_selectorELNS0_4arch9wavefront6targetE0EEEvSY_
		.amdhsa_group_segment_fixed_size 0
		.amdhsa_private_segment_fixed_size 0
		.amdhsa_kernarg_size 152
		.amdhsa_user_sgpr_count 15
		.amdhsa_user_sgpr_dispatch_ptr 0
		.amdhsa_user_sgpr_queue_ptr 0
		.amdhsa_user_sgpr_kernarg_segment_ptr 1
		.amdhsa_user_sgpr_dispatch_id 0
		.amdhsa_user_sgpr_private_segment_size 0
		.amdhsa_wavefront_size32 1
		.amdhsa_uses_dynamic_stack 0
		.amdhsa_enable_private_segment 0
		.amdhsa_system_sgpr_workgroup_id_x 1
		.amdhsa_system_sgpr_workgroup_id_y 0
		.amdhsa_system_sgpr_workgroup_id_z 0
		.amdhsa_system_sgpr_workgroup_info 0
		.amdhsa_system_vgpr_workitem_id 0
		.amdhsa_next_free_vgpr 1
		.amdhsa_next_free_sgpr 1
		.amdhsa_reserve_vcc 0
		.amdhsa_float_round_mode_32 0
		.amdhsa_float_round_mode_16_64 0
		.amdhsa_float_denorm_mode_32 3
		.amdhsa_float_denorm_mode_16_64 3
		.amdhsa_dx10_clamp 1
		.amdhsa_ieee_mode 1
		.amdhsa_fp16_overflow 0
		.amdhsa_workgroup_processor_mode 1
		.amdhsa_memory_ordered 1
		.amdhsa_forward_progress 0
		.amdhsa_shared_vgpr_count 0
		.amdhsa_exception_fp_ieee_invalid_op 0
		.amdhsa_exception_fp_denorm_src 0
		.amdhsa_exception_fp_ieee_div_zero 0
		.amdhsa_exception_fp_ieee_overflow 0
		.amdhsa_exception_fp_ieee_underflow 0
		.amdhsa_exception_fp_ieee_inexact 0
		.amdhsa_exception_int_div_zero 0
	.end_amdhsa_kernel
	.section	.text._ZN7rocprim17ROCPRIM_400000_NS6detail17trampoline_kernelINS0_13select_configILj256ELj13ELNS0_17block_load_methodE3ELS4_3ELS4_3ELNS0_20block_scan_algorithmE0ELj4294967295EEENS1_25partition_config_selectorILNS1_17partition_subalgoE3EjNS0_10empty_typeEbEEZZNS1_14partition_implILS8_3ELb0ES6_jNS0_17counting_iteratorIjlEEPS9_SE_NS0_5tupleIJPjSE_EEENSF_IJSE_SE_EEES9_SG_JZNS1_25segmented_radix_sort_implINS0_14default_configELb0EPKsPsPKlPlN2at6native12_GLOBAL__N_18offset_tEEE10hipError_tPvRmT1_PNSt15iterator_traitsISY_E10value_typeET2_T3_PNSZ_IS14_E10value_typeET4_jRbjT5_S1A_jjP12ihipStream_tbEUljE_EEESV_SW_SX_S14_S18_S1A_T6_T7_T9_mT8_S1C_bDpT10_ENKUlT_T0_E_clISt17integral_constantIbLb1EES1P_EEDaS1K_S1L_EUlS1K_E_NS1_11comp_targetILNS1_3genE0ELNS1_11target_archE4294967295ELNS1_3gpuE0ELNS1_3repE0EEENS1_30default_config_static_selectorELNS0_4arch9wavefront6targetE0EEEvSY_,"axG",@progbits,_ZN7rocprim17ROCPRIM_400000_NS6detail17trampoline_kernelINS0_13select_configILj256ELj13ELNS0_17block_load_methodE3ELS4_3ELS4_3ELNS0_20block_scan_algorithmE0ELj4294967295EEENS1_25partition_config_selectorILNS1_17partition_subalgoE3EjNS0_10empty_typeEbEEZZNS1_14partition_implILS8_3ELb0ES6_jNS0_17counting_iteratorIjlEEPS9_SE_NS0_5tupleIJPjSE_EEENSF_IJSE_SE_EEES9_SG_JZNS1_25segmented_radix_sort_implINS0_14default_configELb0EPKsPsPKlPlN2at6native12_GLOBAL__N_18offset_tEEE10hipError_tPvRmT1_PNSt15iterator_traitsISY_E10value_typeET2_T3_PNSZ_IS14_E10value_typeET4_jRbjT5_S1A_jjP12ihipStream_tbEUljE_EEESV_SW_SX_S14_S18_S1A_T6_T7_T9_mT8_S1C_bDpT10_ENKUlT_T0_E_clISt17integral_constantIbLb1EES1P_EEDaS1K_S1L_EUlS1K_E_NS1_11comp_targetILNS1_3genE0ELNS1_11target_archE4294967295ELNS1_3gpuE0ELNS1_3repE0EEENS1_30default_config_static_selectorELNS0_4arch9wavefront6targetE0EEEvSY_,comdat
.Lfunc_end990:
	.size	_ZN7rocprim17ROCPRIM_400000_NS6detail17trampoline_kernelINS0_13select_configILj256ELj13ELNS0_17block_load_methodE3ELS4_3ELS4_3ELNS0_20block_scan_algorithmE0ELj4294967295EEENS1_25partition_config_selectorILNS1_17partition_subalgoE3EjNS0_10empty_typeEbEEZZNS1_14partition_implILS8_3ELb0ES6_jNS0_17counting_iteratorIjlEEPS9_SE_NS0_5tupleIJPjSE_EEENSF_IJSE_SE_EEES9_SG_JZNS1_25segmented_radix_sort_implINS0_14default_configELb0EPKsPsPKlPlN2at6native12_GLOBAL__N_18offset_tEEE10hipError_tPvRmT1_PNSt15iterator_traitsISY_E10value_typeET2_T3_PNSZ_IS14_E10value_typeET4_jRbjT5_S1A_jjP12ihipStream_tbEUljE_EEESV_SW_SX_S14_S18_S1A_T6_T7_T9_mT8_S1C_bDpT10_ENKUlT_T0_E_clISt17integral_constantIbLb1EES1P_EEDaS1K_S1L_EUlS1K_E_NS1_11comp_targetILNS1_3genE0ELNS1_11target_archE4294967295ELNS1_3gpuE0ELNS1_3repE0EEENS1_30default_config_static_selectorELNS0_4arch9wavefront6targetE0EEEvSY_, .Lfunc_end990-_ZN7rocprim17ROCPRIM_400000_NS6detail17trampoline_kernelINS0_13select_configILj256ELj13ELNS0_17block_load_methodE3ELS4_3ELS4_3ELNS0_20block_scan_algorithmE0ELj4294967295EEENS1_25partition_config_selectorILNS1_17partition_subalgoE3EjNS0_10empty_typeEbEEZZNS1_14partition_implILS8_3ELb0ES6_jNS0_17counting_iteratorIjlEEPS9_SE_NS0_5tupleIJPjSE_EEENSF_IJSE_SE_EEES9_SG_JZNS1_25segmented_radix_sort_implINS0_14default_configELb0EPKsPsPKlPlN2at6native12_GLOBAL__N_18offset_tEEE10hipError_tPvRmT1_PNSt15iterator_traitsISY_E10value_typeET2_T3_PNSZ_IS14_E10value_typeET4_jRbjT5_S1A_jjP12ihipStream_tbEUljE_EEESV_SW_SX_S14_S18_S1A_T6_T7_T9_mT8_S1C_bDpT10_ENKUlT_T0_E_clISt17integral_constantIbLb1EES1P_EEDaS1K_S1L_EUlS1K_E_NS1_11comp_targetILNS1_3genE0ELNS1_11target_archE4294967295ELNS1_3gpuE0ELNS1_3repE0EEENS1_30default_config_static_selectorELNS0_4arch9wavefront6targetE0EEEvSY_
                                        ; -- End function
	.section	.AMDGPU.csdata,"",@progbits
; Kernel info:
; codeLenInByte = 0
; NumSgprs: 0
; NumVgprs: 0
; ScratchSize: 0
; MemoryBound: 0
; FloatMode: 240
; IeeeMode: 1
; LDSByteSize: 0 bytes/workgroup (compile time only)
; SGPRBlocks: 0
; VGPRBlocks: 0
; NumSGPRsForWavesPerEU: 1
; NumVGPRsForWavesPerEU: 1
; Occupancy: 16
; WaveLimiterHint : 0
; COMPUTE_PGM_RSRC2:SCRATCH_EN: 0
; COMPUTE_PGM_RSRC2:USER_SGPR: 15
; COMPUTE_PGM_RSRC2:TRAP_HANDLER: 0
; COMPUTE_PGM_RSRC2:TGID_X_EN: 1
; COMPUTE_PGM_RSRC2:TGID_Y_EN: 0
; COMPUTE_PGM_RSRC2:TGID_Z_EN: 0
; COMPUTE_PGM_RSRC2:TIDIG_COMP_CNT: 0
	.section	.text._ZN7rocprim17ROCPRIM_400000_NS6detail17trampoline_kernelINS0_13select_configILj256ELj13ELNS0_17block_load_methodE3ELS4_3ELS4_3ELNS0_20block_scan_algorithmE0ELj4294967295EEENS1_25partition_config_selectorILNS1_17partition_subalgoE3EjNS0_10empty_typeEbEEZZNS1_14partition_implILS8_3ELb0ES6_jNS0_17counting_iteratorIjlEEPS9_SE_NS0_5tupleIJPjSE_EEENSF_IJSE_SE_EEES9_SG_JZNS1_25segmented_radix_sort_implINS0_14default_configELb0EPKsPsPKlPlN2at6native12_GLOBAL__N_18offset_tEEE10hipError_tPvRmT1_PNSt15iterator_traitsISY_E10value_typeET2_T3_PNSZ_IS14_E10value_typeET4_jRbjT5_S1A_jjP12ihipStream_tbEUljE_EEESV_SW_SX_S14_S18_S1A_T6_T7_T9_mT8_S1C_bDpT10_ENKUlT_T0_E_clISt17integral_constantIbLb1EES1P_EEDaS1K_S1L_EUlS1K_E_NS1_11comp_targetILNS1_3genE5ELNS1_11target_archE942ELNS1_3gpuE9ELNS1_3repE0EEENS1_30default_config_static_selectorELNS0_4arch9wavefront6targetE0EEEvSY_,"axG",@progbits,_ZN7rocprim17ROCPRIM_400000_NS6detail17trampoline_kernelINS0_13select_configILj256ELj13ELNS0_17block_load_methodE3ELS4_3ELS4_3ELNS0_20block_scan_algorithmE0ELj4294967295EEENS1_25partition_config_selectorILNS1_17partition_subalgoE3EjNS0_10empty_typeEbEEZZNS1_14partition_implILS8_3ELb0ES6_jNS0_17counting_iteratorIjlEEPS9_SE_NS0_5tupleIJPjSE_EEENSF_IJSE_SE_EEES9_SG_JZNS1_25segmented_radix_sort_implINS0_14default_configELb0EPKsPsPKlPlN2at6native12_GLOBAL__N_18offset_tEEE10hipError_tPvRmT1_PNSt15iterator_traitsISY_E10value_typeET2_T3_PNSZ_IS14_E10value_typeET4_jRbjT5_S1A_jjP12ihipStream_tbEUljE_EEESV_SW_SX_S14_S18_S1A_T6_T7_T9_mT8_S1C_bDpT10_ENKUlT_T0_E_clISt17integral_constantIbLb1EES1P_EEDaS1K_S1L_EUlS1K_E_NS1_11comp_targetILNS1_3genE5ELNS1_11target_archE942ELNS1_3gpuE9ELNS1_3repE0EEENS1_30default_config_static_selectorELNS0_4arch9wavefront6targetE0EEEvSY_,comdat
	.globl	_ZN7rocprim17ROCPRIM_400000_NS6detail17trampoline_kernelINS0_13select_configILj256ELj13ELNS0_17block_load_methodE3ELS4_3ELS4_3ELNS0_20block_scan_algorithmE0ELj4294967295EEENS1_25partition_config_selectorILNS1_17partition_subalgoE3EjNS0_10empty_typeEbEEZZNS1_14partition_implILS8_3ELb0ES6_jNS0_17counting_iteratorIjlEEPS9_SE_NS0_5tupleIJPjSE_EEENSF_IJSE_SE_EEES9_SG_JZNS1_25segmented_radix_sort_implINS0_14default_configELb0EPKsPsPKlPlN2at6native12_GLOBAL__N_18offset_tEEE10hipError_tPvRmT1_PNSt15iterator_traitsISY_E10value_typeET2_T3_PNSZ_IS14_E10value_typeET4_jRbjT5_S1A_jjP12ihipStream_tbEUljE_EEESV_SW_SX_S14_S18_S1A_T6_T7_T9_mT8_S1C_bDpT10_ENKUlT_T0_E_clISt17integral_constantIbLb1EES1P_EEDaS1K_S1L_EUlS1K_E_NS1_11comp_targetILNS1_3genE5ELNS1_11target_archE942ELNS1_3gpuE9ELNS1_3repE0EEENS1_30default_config_static_selectorELNS0_4arch9wavefront6targetE0EEEvSY_ ; -- Begin function _ZN7rocprim17ROCPRIM_400000_NS6detail17trampoline_kernelINS0_13select_configILj256ELj13ELNS0_17block_load_methodE3ELS4_3ELS4_3ELNS0_20block_scan_algorithmE0ELj4294967295EEENS1_25partition_config_selectorILNS1_17partition_subalgoE3EjNS0_10empty_typeEbEEZZNS1_14partition_implILS8_3ELb0ES6_jNS0_17counting_iteratorIjlEEPS9_SE_NS0_5tupleIJPjSE_EEENSF_IJSE_SE_EEES9_SG_JZNS1_25segmented_radix_sort_implINS0_14default_configELb0EPKsPsPKlPlN2at6native12_GLOBAL__N_18offset_tEEE10hipError_tPvRmT1_PNSt15iterator_traitsISY_E10value_typeET2_T3_PNSZ_IS14_E10value_typeET4_jRbjT5_S1A_jjP12ihipStream_tbEUljE_EEESV_SW_SX_S14_S18_S1A_T6_T7_T9_mT8_S1C_bDpT10_ENKUlT_T0_E_clISt17integral_constantIbLb1EES1P_EEDaS1K_S1L_EUlS1K_E_NS1_11comp_targetILNS1_3genE5ELNS1_11target_archE942ELNS1_3gpuE9ELNS1_3repE0EEENS1_30default_config_static_selectorELNS0_4arch9wavefront6targetE0EEEvSY_
	.p2align	8
	.type	_ZN7rocprim17ROCPRIM_400000_NS6detail17trampoline_kernelINS0_13select_configILj256ELj13ELNS0_17block_load_methodE3ELS4_3ELS4_3ELNS0_20block_scan_algorithmE0ELj4294967295EEENS1_25partition_config_selectorILNS1_17partition_subalgoE3EjNS0_10empty_typeEbEEZZNS1_14partition_implILS8_3ELb0ES6_jNS0_17counting_iteratorIjlEEPS9_SE_NS0_5tupleIJPjSE_EEENSF_IJSE_SE_EEES9_SG_JZNS1_25segmented_radix_sort_implINS0_14default_configELb0EPKsPsPKlPlN2at6native12_GLOBAL__N_18offset_tEEE10hipError_tPvRmT1_PNSt15iterator_traitsISY_E10value_typeET2_T3_PNSZ_IS14_E10value_typeET4_jRbjT5_S1A_jjP12ihipStream_tbEUljE_EEESV_SW_SX_S14_S18_S1A_T6_T7_T9_mT8_S1C_bDpT10_ENKUlT_T0_E_clISt17integral_constantIbLb1EES1P_EEDaS1K_S1L_EUlS1K_E_NS1_11comp_targetILNS1_3genE5ELNS1_11target_archE942ELNS1_3gpuE9ELNS1_3repE0EEENS1_30default_config_static_selectorELNS0_4arch9wavefront6targetE0EEEvSY_,@function
_ZN7rocprim17ROCPRIM_400000_NS6detail17trampoline_kernelINS0_13select_configILj256ELj13ELNS0_17block_load_methodE3ELS4_3ELS4_3ELNS0_20block_scan_algorithmE0ELj4294967295EEENS1_25partition_config_selectorILNS1_17partition_subalgoE3EjNS0_10empty_typeEbEEZZNS1_14partition_implILS8_3ELb0ES6_jNS0_17counting_iteratorIjlEEPS9_SE_NS0_5tupleIJPjSE_EEENSF_IJSE_SE_EEES9_SG_JZNS1_25segmented_radix_sort_implINS0_14default_configELb0EPKsPsPKlPlN2at6native12_GLOBAL__N_18offset_tEEE10hipError_tPvRmT1_PNSt15iterator_traitsISY_E10value_typeET2_T3_PNSZ_IS14_E10value_typeET4_jRbjT5_S1A_jjP12ihipStream_tbEUljE_EEESV_SW_SX_S14_S18_S1A_T6_T7_T9_mT8_S1C_bDpT10_ENKUlT_T0_E_clISt17integral_constantIbLb1EES1P_EEDaS1K_S1L_EUlS1K_E_NS1_11comp_targetILNS1_3genE5ELNS1_11target_archE942ELNS1_3gpuE9ELNS1_3repE0EEENS1_30default_config_static_selectorELNS0_4arch9wavefront6targetE0EEEvSY_: ; @_ZN7rocprim17ROCPRIM_400000_NS6detail17trampoline_kernelINS0_13select_configILj256ELj13ELNS0_17block_load_methodE3ELS4_3ELS4_3ELNS0_20block_scan_algorithmE0ELj4294967295EEENS1_25partition_config_selectorILNS1_17partition_subalgoE3EjNS0_10empty_typeEbEEZZNS1_14partition_implILS8_3ELb0ES6_jNS0_17counting_iteratorIjlEEPS9_SE_NS0_5tupleIJPjSE_EEENSF_IJSE_SE_EEES9_SG_JZNS1_25segmented_radix_sort_implINS0_14default_configELb0EPKsPsPKlPlN2at6native12_GLOBAL__N_18offset_tEEE10hipError_tPvRmT1_PNSt15iterator_traitsISY_E10value_typeET2_T3_PNSZ_IS14_E10value_typeET4_jRbjT5_S1A_jjP12ihipStream_tbEUljE_EEESV_SW_SX_S14_S18_S1A_T6_T7_T9_mT8_S1C_bDpT10_ENKUlT_T0_E_clISt17integral_constantIbLb1EES1P_EEDaS1K_S1L_EUlS1K_E_NS1_11comp_targetILNS1_3genE5ELNS1_11target_archE942ELNS1_3gpuE9ELNS1_3repE0EEENS1_30default_config_static_selectorELNS0_4arch9wavefront6targetE0EEEvSY_
; %bb.0:
	.section	.rodata,"a",@progbits
	.p2align	6, 0x0
	.amdhsa_kernel _ZN7rocprim17ROCPRIM_400000_NS6detail17trampoline_kernelINS0_13select_configILj256ELj13ELNS0_17block_load_methodE3ELS4_3ELS4_3ELNS0_20block_scan_algorithmE0ELj4294967295EEENS1_25partition_config_selectorILNS1_17partition_subalgoE3EjNS0_10empty_typeEbEEZZNS1_14partition_implILS8_3ELb0ES6_jNS0_17counting_iteratorIjlEEPS9_SE_NS0_5tupleIJPjSE_EEENSF_IJSE_SE_EEES9_SG_JZNS1_25segmented_radix_sort_implINS0_14default_configELb0EPKsPsPKlPlN2at6native12_GLOBAL__N_18offset_tEEE10hipError_tPvRmT1_PNSt15iterator_traitsISY_E10value_typeET2_T3_PNSZ_IS14_E10value_typeET4_jRbjT5_S1A_jjP12ihipStream_tbEUljE_EEESV_SW_SX_S14_S18_S1A_T6_T7_T9_mT8_S1C_bDpT10_ENKUlT_T0_E_clISt17integral_constantIbLb1EES1P_EEDaS1K_S1L_EUlS1K_E_NS1_11comp_targetILNS1_3genE5ELNS1_11target_archE942ELNS1_3gpuE9ELNS1_3repE0EEENS1_30default_config_static_selectorELNS0_4arch9wavefront6targetE0EEEvSY_
		.amdhsa_group_segment_fixed_size 0
		.amdhsa_private_segment_fixed_size 0
		.amdhsa_kernarg_size 152
		.amdhsa_user_sgpr_count 15
		.amdhsa_user_sgpr_dispatch_ptr 0
		.amdhsa_user_sgpr_queue_ptr 0
		.amdhsa_user_sgpr_kernarg_segment_ptr 1
		.amdhsa_user_sgpr_dispatch_id 0
		.amdhsa_user_sgpr_private_segment_size 0
		.amdhsa_wavefront_size32 1
		.amdhsa_uses_dynamic_stack 0
		.amdhsa_enable_private_segment 0
		.amdhsa_system_sgpr_workgroup_id_x 1
		.amdhsa_system_sgpr_workgroup_id_y 0
		.amdhsa_system_sgpr_workgroup_id_z 0
		.amdhsa_system_sgpr_workgroup_info 0
		.amdhsa_system_vgpr_workitem_id 0
		.amdhsa_next_free_vgpr 1
		.amdhsa_next_free_sgpr 1
		.amdhsa_reserve_vcc 0
		.amdhsa_float_round_mode_32 0
		.amdhsa_float_round_mode_16_64 0
		.amdhsa_float_denorm_mode_32 3
		.amdhsa_float_denorm_mode_16_64 3
		.amdhsa_dx10_clamp 1
		.amdhsa_ieee_mode 1
		.amdhsa_fp16_overflow 0
		.amdhsa_workgroup_processor_mode 1
		.amdhsa_memory_ordered 1
		.amdhsa_forward_progress 0
		.amdhsa_shared_vgpr_count 0
		.amdhsa_exception_fp_ieee_invalid_op 0
		.amdhsa_exception_fp_denorm_src 0
		.amdhsa_exception_fp_ieee_div_zero 0
		.amdhsa_exception_fp_ieee_overflow 0
		.amdhsa_exception_fp_ieee_underflow 0
		.amdhsa_exception_fp_ieee_inexact 0
		.amdhsa_exception_int_div_zero 0
	.end_amdhsa_kernel
	.section	.text._ZN7rocprim17ROCPRIM_400000_NS6detail17trampoline_kernelINS0_13select_configILj256ELj13ELNS0_17block_load_methodE3ELS4_3ELS4_3ELNS0_20block_scan_algorithmE0ELj4294967295EEENS1_25partition_config_selectorILNS1_17partition_subalgoE3EjNS0_10empty_typeEbEEZZNS1_14partition_implILS8_3ELb0ES6_jNS0_17counting_iteratorIjlEEPS9_SE_NS0_5tupleIJPjSE_EEENSF_IJSE_SE_EEES9_SG_JZNS1_25segmented_radix_sort_implINS0_14default_configELb0EPKsPsPKlPlN2at6native12_GLOBAL__N_18offset_tEEE10hipError_tPvRmT1_PNSt15iterator_traitsISY_E10value_typeET2_T3_PNSZ_IS14_E10value_typeET4_jRbjT5_S1A_jjP12ihipStream_tbEUljE_EEESV_SW_SX_S14_S18_S1A_T6_T7_T9_mT8_S1C_bDpT10_ENKUlT_T0_E_clISt17integral_constantIbLb1EES1P_EEDaS1K_S1L_EUlS1K_E_NS1_11comp_targetILNS1_3genE5ELNS1_11target_archE942ELNS1_3gpuE9ELNS1_3repE0EEENS1_30default_config_static_selectorELNS0_4arch9wavefront6targetE0EEEvSY_,"axG",@progbits,_ZN7rocprim17ROCPRIM_400000_NS6detail17trampoline_kernelINS0_13select_configILj256ELj13ELNS0_17block_load_methodE3ELS4_3ELS4_3ELNS0_20block_scan_algorithmE0ELj4294967295EEENS1_25partition_config_selectorILNS1_17partition_subalgoE3EjNS0_10empty_typeEbEEZZNS1_14partition_implILS8_3ELb0ES6_jNS0_17counting_iteratorIjlEEPS9_SE_NS0_5tupleIJPjSE_EEENSF_IJSE_SE_EEES9_SG_JZNS1_25segmented_radix_sort_implINS0_14default_configELb0EPKsPsPKlPlN2at6native12_GLOBAL__N_18offset_tEEE10hipError_tPvRmT1_PNSt15iterator_traitsISY_E10value_typeET2_T3_PNSZ_IS14_E10value_typeET4_jRbjT5_S1A_jjP12ihipStream_tbEUljE_EEESV_SW_SX_S14_S18_S1A_T6_T7_T9_mT8_S1C_bDpT10_ENKUlT_T0_E_clISt17integral_constantIbLb1EES1P_EEDaS1K_S1L_EUlS1K_E_NS1_11comp_targetILNS1_3genE5ELNS1_11target_archE942ELNS1_3gpuE9ELNS1_3repE0EEENS1_30default_config_static_selectorELNS0_4arch9wavefront6targetE0EEEvSY_,comdat
.Lfunc_end991:
	.size	_ZN7rocprim17ROCPRIM_400000_NS6detail17trampoline_kernelINS0_13select_configILj256ELj13ELNS0_17block_load_methodE3ELS4_3ELS4_3ELNS0_20block_scan_algorithmE0ELj4294967295EEENS1_25partition_config_selectorILNS1_17partition_subalgoE3EjNS0_10empty_typeEbEEZZNS1_14partition_implILS8_3ELb0ES6_jNS0_17counting_iteratorIjlEEPS9_SE_NS0_5tupleIJPjSE_EEENSF_IJSE_SE_EEES9_SG_JZNS1_25segmented_radix_sort_implINS0_14default_configELb0EPKsPsPKlPlN2at6native12_GLOBAL__N_18offset_tEEE10hipError_tPvRmT1_PNSt15iterator_traitsISY_E10value_typeET2_T3_PNSZ_IS14_E10value_typeET4_jRbjT5_S1A_jjP12ihipStream_tbEUljE_EEESV_SW_SX_S14_S18_S1A_T6_T7_T9_mT8_S1C_bDpT10_ENKUlT_T0_E_clISt17integral_constantIbLb1EES1P_EEDaS1K_S1L_EUlS1K_E_NS1_11comp_targetILNS1_3genE5ELNS1_11target_archE942ELNS1_3gpuE9ELNS1_3repE0EEENS1_30default_config_static_selectorELNS0_4arch9wavefront6targetE0EEEvSY_, .Lfunc_end991-_ZN7rocprim17ROCPRIM_400000_NS6detail17trampoline_kernelINS0_13select_configILj256ELj13ELNS0_17block_load_methodE3ELS4_3ELS4_3ELNS0_20block_scan_algorithmE0ELj4294967295EEENS1_25partition_config_selectorILNS1_17partition_subalgoE3EjNS0_10empty_typeEbEEZZNS1_14partition_implILS8_3ELb0ES6_jNS0_17counting_iteratorIjlEEPS9_SE_NS0_5tupleIJPjSE_EEENSF_IJSE_SE_EEES9_SG_JZNS1_25segmented_radix_sort_implINS0_14default_configELb0EPKsPsPKlPlN2at6native12_GLOBAL__N_18offset_tEEE10hipError_tPvRmT1_PNSt15iterator_traitsISY_E10value_typeET2_T3_PNSZ_IS14_E10value_typeET4_jRbjT5_S1A_jjP12ihipStream_tbEUljE_EEESV_SW_SX_S14_S18_S1A_T6_T7_T9_mT8_S1C_bDpT10_ENKUlT_T0_E_clISt17integral_constantIbLb1EES1P_EEDaS1K_S1L_EUlS1K_E_NS1_11comp_targetILNS1_3genE5ELNS1_11target_archE942ELNS1_3gpuE9ELNS1_3repE0EEENS1_30default_config_static_selectorELNS0_4arch9wavefront6targetE0EEEvSY_
                                        ; -- End function
	.section	.AMDGPU.csdata,"",@progbits
; Kernel info:
; codeLenInByte = 0
; NumSgprs: 0
; NumVgprs: 0
; ScratchSize: 0
; MemoryBound: 0
; FloatMode: 240
; IeeeMode: 1
; LDSByteSize: 0 bytes/workgroup (compile time only)
; SGPRBlocks: 0
; VGPRBlocks: 0
; NumSGPRsForWavesPerEU: 1
; NumVGPRsForWavesPerEU: 1
; Occupancy: 16
; WaveLimiterHint : 0
; COMPUTE_PGM_RSRC2:SCRATCH_EN: 0
; COMPUTE_PGM_RSRC2:USER_SGPR: 15
; COMPUTE_PGM_RSRC2:TRAP_HANDLER: 0
; COMPUTE_PGM_RSRC2:TGID_X_EN: 1
; COMPUTE_PGM_RSRC2:TGID_Y_EN: 0
; COMPUTE_PGM_RSRC2:TGID_Z_EN: 0
; COMPUTE_PGM_RSRC2:TIDIG_COMP_CNT: 0
	.section	.text._ZN7rocprim17ROCPRIM_400000_NS6detail17trampoline_kernelINS0_13select_configILj256ELj13ELNS0_17block_load_methodE3ELS4_3ELS4_3ELNS0_20block_scan_algorithmE0ELj4294967295EEENS1_25partition_config_selectorILNS1_17partition_subalgoE3EjNS0_10empty_typeEbEEZZNS1_14partition_implILS8_3ELb0ES6_jNS0_17counting_iteratorIjlEEPS9_SE_NS0_5tupleIJPjSE_EEENSF_IJSE_SE_EEES9_SG_JZNS1_25segmented_radix_sort_implINS0_14default_configELb0EPKsPsPKlPlN2at6native12_GLOBAL__N_18offset_tEEE10hipError_tPvRmT1_PNSt15iterator_traitsISY_E10value_typeET2_T3_PNSZ_IS14_E10value_typeET4_jRbjT5_S1A_jjP12ihipStream_tbEUljE_EEESV_SW_SX_S14_S18_S1A_T6_T7_T9_mT8_S1C_bDpT10_ENKUlT_T0_E_clISt17integral_constantIbLb1EES1P_EEDaS1K_S1L_EUlS1K_E_NS1_11comp_targetILNS1_3genE4ELNS1_11target_archE910ELNS1_3gpuE8ELNS1_3repE0EEENS1_30default_config_static_selectorELNS0_4arch9wavefront6targetE0EEEvSY_,"axG",@progbits,_ZN7rocprim17ROCPRIM_400000_NS6detail17trampoline_kernelINS0_13select_configILj256ELj13ELNS0_17block_load_methodE3ELS4_3ELS4_3ELNS0_20block_scan_algorithmE0ELj4294967295EEENS1_25partition_config_selectorILNS1_17partition_subalgoE3EjNS0_10empty_typeEbEEZZNS1_14partition_implILS8_3ELb0ES6_jNS0_17counting_iteratorIjlEEPS9_SE_NS0_5tupleIJPjSE_EEENSF_IJSE_SE_EEES9_SG_JZNS1_25segmented_radix_sort_implINS0_14default_configELb0EPKsPsPKlPlN2at6native12_GLOBAL__N_18offset_tEEE10hipError_tPvRmT1_PNSt15iterator_traitsISY_E10value_typeET2_T3_PNSZ_IS14_E10value_typeET4_jRbjT5_S1A_jjP12ihipStream_tbEUljE_EEESV_SW_SX_S14_S18_S1A_T6_T7_T9_mT8_S1C_bDpT10_ENKUlT_T0_E_clISt17integral_constantIbLb1EES1P_EEDaS1K_S1L_EUlS1K_E_NS1_11comp_targetILNS1_3genE4ELNS1_11target_archE910ELNS1_3gpuE8ELNS1_3repE0EEENS1_30default_config_static_selectorELNS0_4arch9wavefront6targetE0EEEvSY_,comdat
	.globl	_ZN7rocprim17ROCPRIM_400000_NS6detail17trampoline_kernelINS0_13select_configILj256ELj13ELNS0_17block_load_methodE3ELS4_3ELS4_3ELNS0_20block_scan_algorithmE0ELj4294967295EEENS1_25partition_config_selectorILNS1_17partition_subalgoE3EjNS0_10empty_typeEbEEZZNS1_14partition_implILS8_3ELb0ES6_jNS0_17counting_iteratorIjlEEPS9_SE_NS0_5tupleIJPjSE_EEENSF_IJSE_SE_EEES9_SG_JZNS1_25segmented_radix_sort_implINS0_14default_configELb0EPKsPsPKlPlN2at6native12_GLOBAL__N_18offset_tEEE10hipError_tPvRmT1_PNSt15iterator_traitsISY_E10value_typeET2_T3_PNSZ_IS14_E10value_typeET4_jRbjT5_S1A_jjP12ihipStream_tbEUljE_EEESV_SW_SX_S14_S18_S1A_T6_T7_T9_mT8_S1C_bDpT10_ENKUlT_T0_E_clISt17integral_constantIbLb1EES1P_EEDaS1K_S1L_EUlS1K_E_NS1_11comp_targetILNS1_3genE4ELNS1_11target_archE910ELNS1_3gpuE8ELNS1_3repE0EEENS1_30default_config_static_selectorELNS0_4arch9wavefront6targetE0EEEvSY_ ; -- Begin function _ZN7rocprim17ROCPRIM_400000_NS6detail17trampoline_kernelINS0_13select_configILj256ELj13ELNS0_17block_load_methodE3ELS4_3ELS4_3ELNS0_20block_scan_algorithmE0ELj4294967295EEENS1_25partition_config_selectorILNS1_17partition_subalgoE3EjNS0_10empty_typeEbEEZZNS1_14partition_implILS8_3ELb0ES6_jNS0_17counting_iteratorIjlEEPS9_SE_NS0_5tupleIJPjSE_EEENSF_IJSE_SE_EEES9_SG_JZNS1_25segmented_radix_sort_implINS0_14default_configELb0EPKsPsPKlPlN2at6native12_GLOBAL__N_18offset_tEEE10hipError_tPvRmT1_PNSt15iterator_traitsISY_E10value_typeET2_T3_PNSZ_IS14_E10value_typeET4_jRbjT5_S1A_jjP12ihipStream_tbEUljE_EEESV_SW_SX_S14_S18_S1A_T6_T7_T9_mT8_S1C_bDpT10_ENKUlT_T0_E_clISt17integral_constantIbLb1EES1P_EEDaS1K_S1L_EUlS1K_E_NS1_11comp_targetILNS1_3genE4ELNS1_11target_archE910ELNS1_3gpuE8ELNS1_3repE0EEENS1_30default_config_static_selectorELNS0_4arch9wavefront6targetE0EEEvSY_
	.p2align	8
	.type	_ZN7rocprim17ROCPRIM_400000_NS6detail17trampoline_kernelINS0_13select_configILj256ELj13ELNS0_17block_load_methodE3ELS4_3ELS4_3ELNS0_20block_scan_algorithmE0ELj4294967295EEENS1_25partition_config_selectorILNS1_17partition_subalgoE3EjNS0_10empty_typeEbEEZZNS1_14partition_implILS8_3ELb0ES6_jNS0_17counting_iteratorIjlEEPS9_SE_NS0_5tupleIJPjSE_EEENSF_IJSE_SE_EEES9_SG_JZNS1_25segmented_radix_sort_implINS0_14default_configELb0EPKsPsPKlPlN2at6native12_GLOBAL__N_18offset_tEEE10hipError_tPvRmT1_PNSt15iterator_traitsISY_E10value_typeET2_T3_PNSZ_IS14_E10value_typeET4_jRbjT5_S1A_jjP12ihipStream_tbEUljE_EEESV_SW_SX_S14_S18_S1A_T6_T7_T9_mT8_S1C_bDpT10_ENKUlT_T0_E_clISt17integral_constantIbLb1EES1P_EEDaS1K_S1L_EUlS1K_E_NS1_11comp_targetILNS1_3genE4ELNS1_11target_archE910ELNS1_3gpuE8ELNS1_3repE0EEENS1_30default_config_static_selectorELNS0_4arch9wavefront6targetE0EEEvSY_,@function
_ZN7rocprim17ROCPRIM_400000_NS6detail17trampoline_kernelINS0_13select_configILj256ELj13ELNS0_17block_load_methodE3ELS4_3ELS4_3ELNS0_20block_scan_algorithmE0ELj4294967295EEENS1_25partition_config_selectorILNS1_17partition_subalgoE3EjNS0_10empty_typeEbEEZZNS1_14partition_implILS8_3ELb0ES6_jNS0_17counting_iteratorIjlEEPS9_SE_NS0_5tupleIJPjSE_EEENSF_IJSE_SE_EEES9_SG_JZNS1_25segmented_radix_sort_implINS0_14default_configELb0EPKsPsPKlPlN2at6native12_GLOBAL__N_18offset_tEEE10hipError_tPvRmT1_PNSt15iterator_traitsISY_E10value_typeET2_T3_PNSZ_IS14_E10value_typeET4_jRbjT5_S1A_jjP12ihipStream_tbEUljE_EEESV_SW_SX_S14_S18_S1A_T6_T7_T9_mT8_S1C_bDpT10_ENKUlT_T0_E_clISt17integral_constantIbLb1EES1P_EEDaS1K_S1L_EUlS1K_E_NS1_11comp_targetILNS1_3genE4ELNS1_11target_archE910ELNS1_3gpuE8ELNS1_3repE0EEENS1_30default_config_static_selectorELNS0_4arch9wavefront6targetE0EEEvSY_: ; @_ZN7rocprim17ROCPRIM_400000_NS6detail17trampoline_kernelINS0_13select_configILj256ELj13ELNS0_17block_load_methodE3ELS4_3ELS4_3ELNS0_20block_scan_algorithmE0ELj4294967295EEENS1_25partition_config_selectorILNS1_17partition_subalgoE3EjNS0_10empty_typeEbEEZZNS1_14partition_implILS8_3ELb0ES6_jNS0_17counting_iteratorIjlEEPS9_SE_NS0_5tupleIJPjSE_EEENSF_IJSE_SE_EEES9_SG_JZNS1_25segmented_radix_sort_implINS0_14default_configELb0EPKsPsPKlPlN2at6native12_GLOBAL__N_18offset_tEEE10hipError_tPvRmT1_PNSt15iterator_traitsISY_E10value_typeET2_T3_PNSZ_IS14_E10value_typeET4_jRbjT5_S1A_jjP12ihipStream_tbEUljE_EEESV_SW_SX_S14_S18_S1A_T6_T7_T9_mT8_S1C_bDpT10_ENKUlT_T0_E_clISt17integral_constantIbLb1EES1P_EEDaS1K_S1L_EUlS1K_E_NS1_11comp_targetILNS1_3genE4ELNS1_11target_archE910ELNS1_3gpuE8ELNS1_3repE0EEENS1_30default_config_static_selectorELNS0_4arch9wavefront6targetE0EEEvSY_
; %bb.0:
	.section	.rodata,"a",@progbits
	.p2align	6, 0x0
	.amdhsa_kernel _ZN7rocprim17ROCPRIM_400000_NS6detail17trampoline_kernelINS0_13select_configILj256ELj13ELNS0_17block_load_methodE3ELS4_3ELS4_3ELNS0_20block_scan_algorithmE0ELj4294967295EEENS1_25partition_config_selectorILNS1_17partition_subalgoE3EjNS0_10empty_typeEbEEZZNS1_14partition_implILS8_3ELb0ES6_jNS0_17counting_iteratorIjlEEPS9_SE_NS0_5tupleIJPjSE_EEENSF_IJSE_SE_EEES9_SG_JZNS1_25segmented_radix_sort_implINS0_14default_configELb0EPKsPsPKlPlN2at6native12_GLOBAL__N_18offset_tEEE10hipError_tPvRmT1_PNSt15iterator_traitsISY_E10value_typeET2_T3_PNSZ_IS14_E10value_typeET4_jRbjT5_S1A_jjP12ihipStream_tbEUljE_EEESV_SW_SX_S14_S18_S1A_T6_T7_T9_mT8_S1C_bDpT10_ENKUlT_T0_E_clISt17integral_constantIbLb1EES1P_EEDaS1K_S1L_EUlS1K_E_NS1_11comp_targetILNS1_3genE4ELNS1_11target_archE910ELNS1_3gpuE8ELNS1_3repE0EEENS1_30default_config_static_selectorELNS0_4arch9wavefront6targetE0EEEvSY_
		.amdhsa_group_segment_fixed_size 0
		.amdhsa_private_segment_fixed_size 0
		.amdhsa_kernarg_size 152
		.amdhsa_user_sgpr_count 15
		.amdhsa_user_sgpr_dispatch_ptr 0
		.amdhsa_user_sgpr_queue_ptr 0
		.amdhsa_user_sgpr_kernarg_segment_ptr 1
		.amdhsa_user_sgpr_dispatch_id 0
		.amdhsa_user_sgpr_private_segment_size 0
		.amdhsa_wavefront_size32 1
		.amdhsa_uses_dynamic_stack 0
		.amdhsa_enable_private_segment 0
		.amdhsa_system_sgpr_workgroup_id_x 1
		.amdhsa_system_sgpr_workgroup_id_y 0
		.amdhsa_system_sgpr_workgroup_id_z 0
		.amdhsa_system_sgpr_workgroup_info 0
		.amdhsa_system_vgpr_workitem_id 0
		.amdhsa_next_free_vgpr 1
		.amdhsa_next_free_sgpr 1
		.amdhsa_reserve_vcc 0
		.amdhsa_float_round_mode_32 0
		.amdhsa_float_round_mode_16_64 0
		.amdhsa_float_denorm_mode_32 3
		.amdhsa_float_denorm_mode_16_64 3
		.amdhsa_dx10_clamp 1
		.amdhsa_ieee_mode 1
		.amdhsa_fp16_overflow 0
		.amdhsa_workgroup_processor_mode 1
		.amdhsa_memory_ordered 1
		.amdhsa_forward_progress 0
		.amdhsa_shared_vgpr_count 0
		.amdhsa_exception_fp_ieee_invalid_op 0
		.amdhsa_exception_fp_denorm_src 0
		.amdhsa_exception_fp_ieee_div_zero 0
		.amdhsa_exception_fp_ieee_overflow 0
		.amdhsa_exception_fp_ieee_underflow 0
		.amdhsa_exception_fp_ieee_inexact 0
		.amdhsa_exception_int_div_zero 0
	.end_amdhsa_kernel
	.section	.text._ZN7rocprim17ROCPRIM_400000_NS6detail17trampoline_kernelINS0_13select_configILj256ELj13ELNS0_17block_load_methodE3ELS4_3ELS4_3ELNS0_20block_scan_algorithmE0ELj4294967295EEENS1_25partition_config_selectorILNS1_17partition_subalgoE3EjNS0_10empty_typeEbEEZZNS1_14partition_implILS8_3ELb0ES6_jNS0_17counting_iteratorIjlEEPS9_SE_NS0_5tupleIJPjSE_EEENSF_IJSE_SE_EEES9_SG_JZNS1_25segmented_radix_sort_implINS0_14default_configELb0EPKsPsPKlPlN2at6native12_GLOBAL__N_18offset_tEEE10hipError_tPvRmT1_PNSt15iterator_traitsISY_E10value_typeET2_T3_PNSZ_IS14_E10value_typeET4_jRbjT5_S1A_jjP12ihipStream_tbEUljE_EEESV_SW_SX_S14_S18_S1A_T6_T7_T9_mT8_S1C_bDpT10_ENKUlT_T0_E_clISt17integral_constantIbLb1EES1P_EEDaS1K_S1L_EUlS1K_E_NS1_11comp_targetILNS1_3genE4ELNS1_11target_archE910ELNS1_3gpuE8ELNS1_3repE0EEENS1_30default_config_static_selectorELNS0_4arch9wavefront6targetE0EEEvSY_,"axG",@progbits,_ZN7rocprim17ROCPRIM_400000_NS6detail17trampoline_kernelINS0_13select_configILj256ELj13ELNS0_17block_load_methodE3ELS4_3ELS4_3ELNS0_20block_scan_algorithmE0ELj4294967295EEENS1_25partition_config_selectorILNS1_17partition_subalgoE3EjNS0_10empty_typeEbEEZZNS1_14partition_implILS8_3ELb0ES6_jNS0_17counting_iteratorIjlEEPS9_SE_NS0_5tupleIJPjSE_EEENSF_IJSE_SE_EEES9_SG_JZNS1_25segmented_radix_sort_implINS0_14default_configELb0EPKsPsPKlPlN2at6native12_GLOBAL__N_18offset_tEEE10hipError_tPvRmT1_PNSt15iterator_traitsISY_E10value_typeET2_T3_PNSZ_IS14_E10value_typeET4_jRbjT5_S1A_jjP12ihipStream_tbEUljE_EEESV_SW_SX_S14_S18_S1A_T6_T7_T9_mT8_S1C_bDpT10_ENKUlT_T0_E_clISt17integral_constantIbLb1EES1P_EEDaS1K_S1L_EUlS1K_E_NS1_11comp_targetILNS1_3genE4ELNS1_11target_archE910ELNS1_3gpuE8ELNS1_3repE0EEENS1_30default_config_static_selectorELNS0_4arch9wavefront6targetE0EEEvSY_,comdat
.Lfunc_end992:
	.size	_ZN7rocprim17ROCPRIM_400000_NS6detail17trampoline_kernelINS0_13select_configILj256ELj13ELNS0_17block_load_methodE3ELS4_3ELS4_3ELNS0_20block_scan_algorithmE0ELj4294967295EEENS1_25partition_config_selectorILNS1_17partition_subalgoE3EjNS0_10empty_typeEbEEZZNS1_14partition_implILS8_3ELb0ES6_jNS0_17counting_iteratorIjlEEPS9_SE_NS0_5tupleIJPjSE_EEENSF_IJSE_SE_EEES9_SG_JZNS1_25segmented_radix_sort_implINS0_14default_configELb0EPKsPsPKlPlN2at6native12_GLOBAL__N_18offset_tEEE10hipError_tPvRmT1_PNSt15iterator_traitsISY_E10value_typeET2_T3_PNSZ_IS14_E10value_typeET4_jRbjT5_S1A_jjP12ihipStream_tbEUljE_EEESV_SW_SX_S14_S18_S1A_T6_T7_T9_mT8_S1C_bDpT10_ENKUlT_T0_E_clISt17integral_constantIbLb1EES1P_EEDaS1K_S1L_EUlS1K_E_NS1_11comp_targetILNS1_3genE4ELNS1_11target_archE910ELNS1_3gpuE8ELNS1_3repE0EEENS1_30default_config_static_selectorELNS0_4arch9wavefront6targetE0EEEvSY_, .Lfunc_end992-_ZN7rocprim17ROCPRIM_400000_NS6detail17trampoline_kernelINS0_13select_configILj256ELj13ELNS0_17block_load_methodE3ELS4_3ELS4_3ELNS0_20block_scan_algorithmE0ELj4294967295EEENS1_25partition_config_selectorILNS1_17partition_subalgoE3EjNS0_10empty_typeEbEEZZNS1_14partition_implILS8_3ELb0ES6_jNS0_17counting_iteratorIjlEEPS9_SE_NS0_5tupleIJPjSE_EEENSF_IJSE_SE_EEES9_SG_JZNS1_25segmented_radix_sort_implINS0_14default_configELb0EPKsPsPKlPlN2at6native12_GLOBAL__N_18offset_tEEE10hipError_tPvRmT1_PNSt15iterator_traitsISY_E10value_typeET2_T3_PNSZ_IS14_E10value_typeET4_jRbjT5_S1A_jjP12ihipStream_tbEUljE_EEESV_SW_SX_S14_S18_S1A_T6_T7_T9_mT8_S1C_bDpT10_ENKUlT_T0_E_clISt17integral_constantIbLb1EES1P_EEDaS1K_S1L_EUlS1K_E_NS1_11comp_targetILNS1_3genE4ELNS1_11target_archE910ELNS1_3gpuE8ELNS1_3repE0EEENS1_30default_config_static_selectorELNS0_4arch9wavefront6targetE0EEEvSY_
                                        ; -- End function
	.section	.AMDGPU.csdata,"",@progbits
; Kernel info:
; codeLenInByte = 0
; NumSgprs: 0
; NumVgprs: 0
; ScratchSize: 0
; MemoryBound: 0
; FloatMode: 240
; IeeeMode: 1
; LDSByteSize: 0 bytes/workgroup (compile time only)
; SGPRBlocks: 0
; VGPRBlocks: 0
; NumSGPRsForWavesPerEU: 1
; NumVGPRsForWavesPerEU: 1
; Occupancy: 16
; WaveLimiterHint : 0
; COMPUTE_PGM_RSRC2:SCRATCH_EN: 0
; COMPUTE_PGM_RSRC2:USER_SGPR: 15
; COMPUTE_PGM_RSRC2:TRAP_HANDLER: 0
; COMPUTE_PGM_RSRC2:TGID_X_EN: 1
; COMPUTE_PGM_RSRC2:TGID_Y_EN: 0
; COMPUTE_PGM_RSRC2:TGID_Z_EN: 0
; COMPUTE_PGM_RSRC2:TIDIG_COMP_CNT: 0
	.section	.text._ZN7rocprim17ROCPRIM_400000_NS6detail17trampoline_kernelINS0_13select_configILj256ELj13ELNS0_17block_load_methodE3ELS4_3ELS4_3ELNS0_20block_scan_algorithmE0ELj4294967295EEENS1_25partition_config_selectorILNS1_17partition_subalgoE3EjNS0_10empty_typeEbEEZZNS1_14partition_implILS8_3ELb0ES6_jNS0_17counting_iteratorIjlEEPS9_SE_NS0_5tupleIJPjSE_EEENSF_IJSE_SE_EEES9_SG_JZNS1_25segmented_radix_sort_implINS0_14default_configELb0EPKsPsPKlPlN2at6native12_GLOBAL__N_18offset_tEEE10hipError_tPvRmT1_PNSt15iterator_traitsISY_E10value_typeET2_T3_PNSZ_IS14_E10value_typeET4_jRbjT5_S1A_jjP12ihipStream_tbEUljE_EEESV_SW_SX_S14_S18_S1A_T6_T7_T9_mT8_S1C_bDpT10_ENKUlT_T0_E_clISt17integral_constantIbLb1EES1P_EEDaS1K_S1L_EUlS1K_E_NS1_11comp_targetILNS1_3genE3ELNS1_11target_archE908ELNS1_3gpuE7ELNS1_3repE0EEENS1_30default_config_static_selectorELNS0_4arch9wavefront6targetE0EEEvSY_,"axG",@progbits,_ZN7rocprim17ROCPRIM_400000_NS6detail17trampoline_kernelINS0_13select_configILj256ELj13ELNS0_17block_load_methodE3ELS4_3ELS4_3ELNS0_20block_scan_algorithmE0ELj4294967295EEENS1_25partition_config_selectorILNS1_17partition_subalgoE3EjNS0_10empty_typeEbEEZZNS1_14partition_implILS8_3ELb0ES6_jNS0_17counting_iteratorIjlEEPS9_SE_NS0_5tupleIJPjSE_EEENSF_IJSE_SE_EEES9_SG_JZNS1_25segmented_radix_sort_implINS0_14default_configELb0EPKsPsPKlPlN2at6native12_GLOBAL__N_18offset_tEEE10hipError_tPvRmT1_PNSt15iterator_traitsISY_E10value_typeET2_T3_PNSZ_IS14_E10value_typeET4_jRbjT5_S1A_jjP12ihipStream_tbEUljE_EEESV_SW_SX_S14_S18_S1A_T6_T7_T9_mT8_S1C_bDpT10_ENKUlT_T0_E_clISt17integral_constantIbLb1EES1P_EEDaS1K_S1L_EUlS1K_E_NS1_11comp_targetILNS1_3genE3ELNS1_11target_archE908ELNS1_3gpuE7ELNS1_3repE0EEENS1_30default_config_static_selectorELNS0_4arch9wavefront6targetE0EEEvSY_,comdat
	.globl	_ZN7rocprim17ROCPRIM_400000_NS6detail17trampoline_kernelINS0_13select_configILj256ELj13ELNS0_17block_load_methodE3ELS4_3ELS4_3ELNS0_20block_scan_algorithmE0ELj4294967295EEENS1_25partition_config_selectorILNS1_17partition_subalgoE3EjNS0_10empty_typeEbEEZZNS1_14partition_implILS8_3ELb0ES6_jNS0_17counting_iteratorIjlEEPS9_SE_NS0_5tupleIJPjSE_EEENSF_IJSE_SE_EEES9_SG_JZNS1_25segmented_radix_sort_implINS0_14default_configELb0EPKsPsPKlPlN2at6native12_GLOBAL__N_18offset_tEEE10hipError_tPvRmT1_PNSt15iterator_traitsISY_E10value_typeET2_T3_PNSZ_IS14_E10value_typeET4_jRbjT5_S1A_jjP12ihipStream_tbEUljE_EEESV_SW_SX_S14_S18_S1A_T6_T7_T9_mT8_S1C_bDpT10_ENKUlT_T0_E_clISt17integral_constantIbLb1EES1P_EEDaS1K_S1L_EUlS1K_E_NS1_11comp_targetILNS1_3genE3ELNS1_11target_archE908ELNS1_3gpuE7ELNS1_3repE0EEENS1_30default_config_static_selectorELNS0_4arch9wavefront6targetE0EEEvSY_ ; -- Begin function _ZN7rocprim17ROCPRIM_400000_NS6detail17trampoline_kernelINS0_13select_configILj256ELj13ELNS0_17block_load_methodE3ELS4_3ELS4_3ELNS0_20block_scan_algorithmE0ELj4294967295EEENS1_25partition_config_selectorILNS1_17partition_subalgoE3EjNS0_10empty_typeEbEEZZNS1_14partition_implILS8_3ELb0ES6_jNS0_17counting_iteratorIjlEEPS9_SE_NS0_5tupleIJPjSE_EEENSF_IJSE_SE_EEES9_SG_JZNS1_25segmented_radix_sort_implINS0_14default_configELb0EPKsPsPKlPlN2at6native12_GLOBAL__N_18offset_tEEE10hipError_tPvRmT1_PNSt15iterator_traitsISY_E10value_typeET2_T3_PNSZ_IS14_E10value_typeET4_jRbjT5_S1A_jjP12ihipStream_tbEUljE_EEESV_SW_SX_S14_S18_S1A_T6_T7_T9_mT8_S1C_bDpT10_ENKUlT_T0_E_clISt17integral_constantIbLb1EES1P_EEDaS1K_S1L_EUlS1K_E_NS1_11comp_targetILNS1_3genE3ELNS1_11target_archE908ELNS1_3gpuE7ELNS1_3repE0EEENS1_30default_config_static_selectorELNS0_4arch9wavefront6targetE0EEEvSY_
	.p2align	8
	.type	_ZN7rocprim17ROCPRIM_400000_NS6detail17trampoline_kernelINS0_13select_configILj256ELj13ELNS0_17block_load_methodE3ELS4_3ELS4_3ELNS0_20block_scan_algorithmE0ELj4294967295EEENS1_25partition_config_selectorILNS1_17partition_subalgoE3EjNS0_10empty_typeEbEEZZNS1_14partition_implILS8_3ELb0ES6_jNS0_17counting_iteratorIjlEEPS9_SE_NS0_5tupleIJPjSE_EEENSF_IJSE_SE_EEES9_SG_JZNS1_25segmented_radix_sort_implINS0_14default_configELb0EPKsPsPKlPlN2at6native12_GLOBAL__N_18offset_tEEE10hipError_tPvRmT1_PNSt15iterator_traitsISY_E10value_typeET2_T3_PNSZ_IS14_E10value_typeET4_jRbjT5_S1A_jjP12ihipStream_tbEUljE_EEESV_SW_SX_S14_S18_S1A_T6_T7_T9_mT8_S1C_bDpT10_ENKUlT_T0_E_clISt17integral_constantIbLb1EES1P_EEDaS1K_S1L_EUlS1K_E_NS1_11comp_targetILNS1_3genE3ELNS1_11target_archE908ELNS1_3gpuE7ELNS1_3repE0EEENS1_30default_config_static_selectorELNS0_4arch9wavefront6targetE0EEEvSY_,@function
_ZN7rocprim17ROCPRIM_400000_NS6detail17trampoline_kernelINS0_13select_configILj256ELj13ELNS0_17block_load_methodE3ELS4_3ELS4_3ELNS0_20block_scan_algorithmE0ELj4294967295EEENS1_25partition_config_selectorILNS1_17partition_subalgoE3EjNS0_10empty_typeEbEEZZNS1_14partition_implILS8_3ELb0ES6_jNS0_17counting_iteratorIjlEEPS9_SE_NS0_5tupleIJPjSE_EEENSF_IJSE_SE_EEES9_SG_JZNS1_25segmented_radix_sort_implINS0_14default_configELb0EPKsPsPKlPlN2at6native12_GLOBAL__N_18offset_tEEE10hipError_tPvRmT1_PNSt15iterator_traitsISY_E10value_typeET2_T3_PNSZ_IS14_E10value_typeET4_jRbjT5_S1A_jjP12ihipStream_tbEUljE_EEESV_SW_SX_S14_S18_S1A_T6_T7_T9_mT8_S1C_bDpT10_ENKUlT_T0_E_clISt17integral_constantIbLb1EES1P_EEDaS1K_S1L_EUlS1K_E_NS1_11comp_targetILNS1_3genE3ELNS1_11target_archE908ELNS1_3gpuE7ELNS1_3repE0EEENS1_30default_config_static_selectorELNS0_4arch9wavefront6targetE0EEEvSY_: ; @_ZN7rocprim17ROCPRIM_400000_NS6detail17trampoline_kernelINS0_13select_configILj256ELj13ELNS0_17block_load_methodE3ELS4_3ELS4_3ELNS0_20block_scan_algorithmE0ELj4294967295EEENS1_25partition_config_selectorILNS1_17partition_subalgoE3EjNS0_10empty_typeEbEEZZNS1_14partition_implILS8_3ELb0ES6_jNS0_17counting_iteratorIjlEEPS9_SE_NS0_5tupleIJPjSE_EEENSF_IJSE_SE_EEES9_SG_JZNS1_25segmented_radix_sort_implINS0_14default_configELb0EPKsPsPKlPlN2at6native12_GLOBAL__N_18offset_tEEE10hipError_tPvRmT1_PNSt15iterator_traitsISY_E10value_typeET2_T3_PNSZ_IS14_E10value_typeET4_jRbjT5_S1A_jjP12ihipStream_tbEUljE_EEESV_SW_SX_S14_S18_S1A_T6_T7_T9_mT8_S1C_bDpT10_ENKUlT_T0_E_clISt17integral_constantIbLb1EES1P_EEDaS1K_S1L_EUlS1K_E_NS1_11comp_targetILNS1_3genE3ELNS1_11target_archE908ELNS1_3gpuE7ELNS1_3repE0EEENS1_30default_config_static_selectorELNS0_4arch9wavefront6targetE0EEEvSY_
; %bb.0:
	.section	.rodata,"a",@progbits
	.p2align	6, 0x0
	.amdhsa_kernel _ZN7rocprim17ROCPRIM_400000_NS6detail17trampoline_kernelINS0_13select_configILj256ELj13ELNS0_17block_load_methodE3ELS4_3ELS4_3ELNS0_20block_scan_algorithmE0ELj4294967295EEENS1_25partition_config_selectorILNS1_17partition_subalgoE3EjNS0_10empty_typeEbEEZZNS1_14partition_implILS8_3ELb0ES6_jNS0_17counting_iteratorIjlEEPS9_SE_NS0_5tupleIJPjSE_EEENSF_IJSE_SE_EEES9_SG_JZNS1_25segmented_radix_sort_implINS0_14default_configELb0EPKsPsPKlPlN2at6native12_GLOBAL__N_18offset_tEEE10hipError_tPvRmT1_PNSt15iterator_traitsISY_E10value_typeET2_T3_PNSZ_IS14_E10value_typeET4_jRbjT5_S1A_jjP12ihipStream_tbEUljE_EEESV_SW_SX_S14_S18_S1A_T6_T7_T9_mT8_S1C_bDpT10_ENKUlT_T0_E_clISt17integral_constantIbLb1EES1P_EEDaS1K_S1L_EUlS1K_E_NS1_11comp_targetILNS1_3genE3ELNS1_11target_archE908ELNS1_3gpuE7ELNS1_3repE0EEENS1_30default_config_static_selectorELNS0_4arch9wavefront6targetE0EEEvSY_
		.amdhsa_group_segment_fixed_size 0
		.amdhsa_private_segment_fixed_size 0
		.amdhsa_kernarg_size 152
		.amdhsa_user_sgpr_count 15
		.amdhsa_user_sgpr_dispatch_ptr 0
		.amdhsa_user_sgpr_queue_ptr 0
		.amdhsa_user_sgpr_kernarg_segment_ptr 1
		.amdhsa_user_sgpr_dispatch_id 0
		.amdhsa_user_sgpr_private_segment_size 0
		.amdhsa_wavefront_size32 1
		.amdhsa_uses_dynamic_stack 0
		.amdhsa_enable_private_segment 0
		.amdhsa_system_sgpr_workgroup_id_x 1
		.amdhsa_system_sgpr_workgroup_id_y 0
		.amdhsa_system_sgpr_workgroup_id_z 0
		.amdhsa_system_sgpr_workgroup_info 0
		.amdhsa_system_vgpr_workitem_id 0
		.amdhsa_next_free_vgpr 1
		.amdhsa_next_free_sgpr 1
		.amdhsa_reserve_vcc 0
		.amdhsa_float_round_mode_32 0
		.amdhsa_float_round_mode_16_64 0
		.amdhsa_float_denorm_mode_32 3
		.amdhsa_float_denorm_mode_16_64 3
		.amdhsa_dx10_clamp 1
		.amdhsa_ieee_mode 1
		.amdhsa_fp16_overflow 0
		.amdhsa_workgroup_processor_mode 1
		.amdhsa_memory_ordered 1
		.amdhsa_forward_progress 0
		.amdhsa_shared_vgpr_count 0
		.amdhsa_exception_fp_ieee_invalid_op 0
		.amdhsa_exception_fp_denorm_src 0
		.amdhsa_exception_fp_ieee_div_zero 0
		.amdhsa_exception_fp_ieee_overflow 0
		.amdhsa_exception_fp_ieee_underflow 0
		.amdhsa_exception_fp_ieee_inexact 0
		.amdhsa_exception_int_div_zero 0
	.end_amdhsa_kernel
	.section	.text._ZN7rocprim17ROCPRIM_400000_NS6detail17trampoline_kernelINS0_13select_configILj256ELj13ELNS0_17block_load_methodE3ELS4_3ELS4_3ELNS0_20block_scan_algorithmE0ELj4294967295EEENS1_25partition_config_selectorILNS1_17partition_subalgoE3EjNS0_10empty_typeEbEEZZNS1_14partition_implILS8_3ELb0ES6_jNS0_17counting_iteratorIjlEEPS9_SE_NS0_5tupleIJPjSE_EEENSF_IJSE_SE_EEES9_SG_JZNS1_25segmented_radix_sort_implINS0_14default_configELb0EPKsPsPKlPlN2at6native12_GLOBAL__N_18offset_tEEE10hipError_tPvRmT1_PNSt15iterator_traitsISY_E10value_typeET2_T3_PNSZ_IS14_E10value_typeET4_jRbjT5_S1A_jjP12ihipStream_tbEUljE_EEESV_SW_SX_S14_S18_S1A_T6_T7_T9_mT8_S1C_bDpT10_ENKUlT_T0_E_clISt17integral_constantIbLb1EES1P_EEDaS1K_S1L_EUlS1K_E_NS1_11comp_targetILNS1_3genE3ELNS1_11target_archE908ELNS1_3gpuE7ELNS1_3repE0EEENS1_30default_config_static_selectorELNS0_4arch9wavefront6targetE0EEEvSY_,"axG",@progbits,_ZN7rocprim17ROCPRIM_400000_NS6detail17trampoline_kernelINS0_13select_configILj256ELj13ELNS0_17block_load_methodE3ELS4_3ELS4_3ELNS0_20block_scan_algorithmE0ELj4294967295EEENS1_25partition_config_selectorILNS1_17partition_subalgoE3EjNS0_10empty_typeEbEEZZNS1_14partition_implILS8_3ELb0ES6_jNS0_17counting_iteratorIjlEEPS9_SE_NS0_5tupleIJPjSE_EEENSF_IJSE_SE_EEES9_SG_JZNS1_25segmented_radix_sort_implINS0_14default_configELb0EPKsPsPKlPlN2at6native12_GLOBAL__N_18offset_tEEE10hipError_tPvRmT1_PNSt15iterator_traitsISY_E10value_typeET2_T3_PNSZ_IS14_E10value_typeET4_jRbjT5_S1A_jjP12ihipStream_tbEUljE_EEESV_SW_SX_S14_S18_S1A_T6_T7_T9_mT8_S1C_bDpT10_ENKUlT_T0_E_clISt17integral_constantIbLb1EES1P_EEDaS1K_S1L_EUlS1K_E_NS1_11comp_targetILNS1_3genE3ELNS1_11target_archE908ELNS1_3gpuE7ELNS1_3repE0EEENS1_30default_config_static_selectorELNS0_4arch9wavefront6targetE0EEEvSY_,comdat
.Lfunc_end993:
	.size	_ZN7rocprim17ROCPRIM_400000_NS6detail17trampoline_kernelINS0_13select_configILj256ELj13ELNS0_17block_load_methodE3ELS4_3ELS4_3ELNS0_20block_scan_algorithmE0ELj4294967295EEENS1_25partition_config_selectorILNS1_17partition_subalgoE3EjNS0_10empty_typeEbEEZZNS1_14partition_implILS8_3ELb0ES6_jNS0_17counting_iteratorIjlEEPS9_SE_NS0_5tupleIJPjSE_EEENSF_IJSE_SE_EEES9_SG_JZNS1_25segmented_radix_sort_implINS0_14default_configELb0EPKsPsPKlPlN2at6native12_GLOBAL__N_18offset_tEEE10hipError_tPvRmT1_PNSt15iterator_traitsISY_E10value_typeET2_T3_PNSZ_IS14_E10value_typeET4_jRbjT5_S1A_jjP12ihipStream_tbEUljE_EEESV_SW_SX_S14_S18_S1A_T6_T7_T9_mT8_S1C_bDpT10_ENKUlT_T0_E_clISt17integral_constantIbLb1EES1P_EEDaS1K_S1L_EUlS1K_E_NS1_11comp_targetILNS1_3genE3ELNS1_11target_archE908ELNS1_3gpuE7ELNS1_3repE0EEENS1_30default_config_static_selectorELNS0_4arch9wavefront6targetE0EEEvSY_, .Lfunc_end993-_ZN7rocprim17ROCPRIM_400000_NS6detail17trampoline_kernelINS0_13select_configILj256ELj13ELNS0_17block_load_methodE3ELS4_3ELS4_3ELNS0_20block_scan_algorithmE0ELj4294967295EEENS1_25partition_config_selectorILNS1_17partition_subalgoE3EjNS0_10empty_typeEbEEZZNS1_14partition_implILS8_3ELb0ES6_jNS0_17counting_iteratorIjlEEPS9_SE_NS0_5tupleIJPjSE_EEENSF_IJSE_SE_EEES9_SG_JZNS1_25segmented_radix_sort_implINS0_14default_configELb0EPKsPsPKlPlN2at6native12_GLOBAL__N_18offset_tEEE10hipError_tPvRmT1_PNSt15iterator_traitsISY_E10value_typeET2_T3_PNSZ_IS14_E10value_typeET4_jRbjT5_S1A_jjP12ihipStream_tbEUljE_EEESV_SW_SX_S14_S18_S1A_T6_T7_T9_mT8_S1C_bDpT10_ENKUlT_T0_E_clISt17integral_constantIbLb1EES1P_EEDaS1K_S1L_EUlS1K_E_NS1_11comp_targetILNS1_3genE3ELNS1_11target_archE908ELNS1_3gpuE7ELNS1_3repE0EEENS1_30default_config_static_selectorELNS0_4arch9wavefront6targetE0EEEvSY_
                                        ; -- End function
	.section	.AMDGPU.csdata,"",@progbits
; Kernel info:
; codeLenInByte = 0
; NumSgprs: 0
; NumVgprs: 0
; ScratchSize: 0
; MemoryBound: 0
; FloatMode: 240
; IeeeMode: 1
; LDSByteSize: 0 bytes/workgroup (compile time only)
; SGPRBlocks: 0
; VGPRBlocks: 0
; NumSGPRsForWavesPerEU: 1
; NumVGPRsForWavesPerEU: 1
; Occupancy: 16
; WaveLimiterHint : 0
; COMPUTE_PGM_RSRC2:SCRATCH_EN: 0
; COMPUTE_PGM_RSRC2:USER_SGPR: 15
; COMPUTE_PGM_RSRC2:TRAP_HANDLER: 0
; COMPUTE_PGM_RSRC2:TGID_X_EN: 1
; COMPUTE_PGM_RSRC2:TGID_Y_EN: 0
; COMPUTE_PGM_RSRC2:TGID_Z_EN: 0
; COMPUTE_PGM_RSRC2:TIDIG_COMP_CNT: 0
	.section	.text._ZN7rocprim17ROCPRIM_400000_NS6detail17trampoline_kernelINS0_13select_configILj256ELj13ELNS0_17block_load_methodE3ELS4_3ELS4_3ELNS0_20block_scan_algorithmE0ELj4294967295EEENS1_25partition_config_selectorILNS1_17partition_subalgoE3EjNS0_10empty_typeEbEEZZNS1_14partition_implILS8_3ELb0ES6_jNS0_17counting_iteratorIjlEEPS9_SE_NS0_5tupleIJPjSE_EEENSF_IJSE_SE_EEES9_SG_JZNS1_25segmented_radix_sort_implINS0_14default_configELb0EPKsPsPKlPlN2at6native12_GLOBAL__N_18offset_tEEE10hipError_tPvRmT1_PNSt15iterator_traitsISY_E10value_typeET2_T3_PNSZ_IS14_E10value_typeET4_jRbjT5_S1A_jjP12ihipStream_tbEUljE_EEESV_SW_SX_S14_S18_S1A_T6_T7_T9_mT8_S1C_bDpT10_ENKUlT_T0_E_clISt17integral_constantIbLb1EES1P_EEDaS1K_S1L_EUlS1K_E_NS1_11comp_targetILNS1_3genE2ELNS1_11target_archE906ELNS1_3gpuE6ELNS1_3repE0EEENS1_30default_config_static_selectorELNS0_4arch9wavefront6targetE0EEEvSY_,"axG",@progbits,_ZN7rocprim17ROCPRIM_400000_NS6detail17trampoline_kernelINS0_13select_configILj256ELj13ELNS0_17block_load_methodE3ELS4_3ELS4_3ELNS0_20block_scan_algorithmE0ELj4294967295EEENS1_25partition_config_selectorILNS1_17partition_subalgoE3EjNS0_10empty_typeEbEEZZNS1_14partition_implILS8_3ELb0ES6_jNS0_17counting_iteratorIjlEEPS9_SE_NS0_5tupleIJPjSE_EEENSF_IJSE_SE_EEES9_SG_JZNS1_25segmented_radix_sort_implINS0_14default_configELb0EPKsPsPKlPlN2at6native12_GLOBAL__N_18offset_tEEE10hipError_tPvRmT1_PNSt15iterator_traitsISY_E10value_typeET2_T3_PNSZ_IS14_E10value_typeET4_jRbjT5_S1A_jjP12ihipStream_tbEUljE_EEESV_SW_SX_S14_S18_S1A_T6_T7_T9_mT8_S1C_bDpT10_ENKUlT_T0_E_clISt17integral_constantIbLb1EES1P_EEDaS1K_S1L_EUlS1K_E_NS1_11comp_targetILNS1_3genE2ELNS1_11target_archE906ELNS1_3gpuE6ELNS1_3repE0EEENS1_30default_config_static_selectorELNS0_4arch9wavefront6targetE0EEEvSY_,comdat
	.globl	_ZN7rocprim17ROCPRIM_400000_NS6detail17trampoline_kernelINS0_13select_configILj256ELj13ELNS0_17block_load_methodE3ELS4_3ELS4_3ELNS0_20block_scan_algorithmE0ELj4294967295EEENS1_25partition_config_selectorILNS1_17partition_subalgoE3EjNS0_10empty_typeEbEEZZNS1_14partition_implILS8_3ELb0ES6_jNS0_17counting_iteratorIjlEEPS9_SE_NS0_5tupleIJPjSE_EEENSF_IJSE_SE_EEES9_SG_JZNS1_25segmented_radix_sort_implINS0_14default_configELb0EPKsPsPKlPlN2at6native12_GLOBAL__N_18offset_tEEE10hipError_tPvRmT1_PNSt15iterator_traitsISY_E10value_typeET2_T3_PNSZ_IS14_E10value_typeET4_jRbjT5_S1A_jjP12ihipStream_tbEUljE_EEESV_SW_SX_S14_S18_S1A_T6_T7_T9_mT8_S1C_bDpT10_ENKUlT_T0_E_clISt17integral_constantIbLb1EES1P_EEDaS1K_S1L_EUlS1K_E_NS1_11comp_targetILNS1_3genE2ELNS1_11target_archE906ELNS1_3gpuE6ELNS1_3repE0EEENS1_30default_config_static_selectorELNS0_4arch9wavefront6targetE0EEEvSY_ ; -- Begin function _ZN7rocprim17ROCPRIM_400000_NS6detail17trampoline_kernelINS0_13select_configILj256ELj13ELNS0_17block_load_methodE3ELS4_3ELS4_3ELNS0_20block_scan_algorithmE0ELj4294967295EEENS1_25partition_config_selectorILNS1_17partition_subalgoE3EjNS0_10empty_typeEbEEZZNS1_14partition_implILS8_3ELb0ES6_jNS0_17counting_iteratorIjlEEPS9_SE_NS0_5tupleIJPjSE_EEENSF_IJSE_SE_EEES9_SG_JZNS1_25segmented_radix_sort_implINS0_14default_configELb0EPKsPsPKlPlN2at6native12_GLOBAL__N_18offset_tEEE10hipError_tPvRmT1_PNSt15iterator_traitsISY_E10value_typeET2_T3_PNSZ_IS14_E10value_typeET4_jRbjT5_S1A_jjP12ihipStream_tbEUljE_EEESV_SW_SX_S14_S18_S1A_T6_T7_T9_mT8_S1C_bDpT10_ENKUlT_T0_E_clISt17integral_constantIbLb1EES1P_EEDaS1K_S1L_EUlS1K_E_NS1_11comp_targetILNS1_3genE2ELNS1_11target_archE906ELNS1_3gpuE6ELNS1_3repE0EEENS1_30default_config_static_selectorELNS0_4arch9wavefront6targetE0EEEvSY_
	.p2align	8
	.type	_ZN7rocprim17ROCPRIM_400000_NS6detail17trampoline_kernelINS0_13select_configILj256ELj13ELNS0_17block_load_methodE3ELS4_3ELS4_3ELNS0_20block_scan_algorithmE0ELj4294967295EEENS1_25partition_config_selectorILNS1_17partition_subalgoE3EjNS0_10empty_typeEbEEZZNS1_14partition_implILS8_3ELb0ES6_jNS0_17counting_iteratorIjlEEPS9_SE_NS0_5tupleIJPjSE_EEENSF_IJSE_SE_EEES9_SG_JZNS1_25segmented_radix_sort_implINS0_14default_configELb0EPKsPsPKlPlN2at6native12_GLOBAL__N_18offset_tEEE10hipError_tPvRmT1_PNSt15iterator_traitsISY_E10value_typeET2_T3_PNSZ_IS14_E10value_typeET4_jRbjT5_S1A_jjP12ihipStream_tbEUljE_EEESV_SW_SX_S14_S18_S1A_T6_T7_T9_mT8_S1C_bDpT10_ENKUlT_T0_E_clISt17integral_constantIbLb1EES1P_EEDaS1K_S1L_EUlS1K_E_NS1_11comp_targetILNS1_3genE2ELNS1_11target_archE906ELNS1_3gpuE6ELNS1_3repE0EEENS1_30default_config_static_selectorELNS0_4arch9wavefront6targetE0EEEvSY_,@function
_ZN7rocprim17ROCPRIM_400000_NS6detail17trampoline_kernelINS0_13select_configILj256ELj13ELNS0_17block_load_methodE3ELS4_3ELS4_3ELNS0_20block_scan_algorithmE0ELj4294967295EEENS1_25partition_config_selectorILNS1_17partition_subalgoE3EjNS0_10empty_typeEbEEZZNS1_14partition_implILS8_3ELb0ES6_jNS0_17counting_iteratorIjlEEPS9_SE_NS0_5tupleIJPjSE_EEENSF_IJSE_SE_EEES9_SG_JZNS1_25segmented_radix_sort_implINS0_14default_configELb0EPKsPsPKlPlN2at6native12_GLOBAL__N_18offset_tEEE10hipError_tPvRmT1_PNSt15iterator_traitsISY_E10value_typeET2_T3_PNSZ_IS14_E10value_typeET4_jRbjT5_S1A_jjP12ihipStream_tbEUljE_EEESV_SW_SX_S14_S18_S1A_T6_T7_T9_mT8_S1C_bDpT10_ENKUlT_T0_E_clISt17integral_constantIbLb1EES1P_EEDaS1K_S1L_EUlS1K_E_NS1_11comp_targetILNS1_3genE2ELNS1_11target_archE906ELNS1_3gpuE6ELNS1_3repE0EEENS1_30default_config_static_selectorELNS0_4arch9wavefront6targetE0EEEvSY_: ; @_ZN7rocprim17ROCPRIM_400000_NS6detail17trampoline_kernelINS0_13select_configILj256ELj13ELNS0_17block_load_methodE3ELS4_3ELS4_3ELNS0_20block_scan_algorithmE0ELj4294967295EEENS1_25partition_config_selectorILNS1_17partition_subalgoE3EjNS0_10empty_typeEbEEZZNS1_14partition_implILS8_3ELb0ES6_jNS0_17counting_iteratorIjlEEPS9_SE_NS0_5tupleIJPjSE_EEENSF_IJSE_SE_EEES9_SG_JZNS1_25segmented_radix_sort_implINS0_14default_configELb0EPKsPsPKlPlN2at6native12_GLOBAL__N_18offset_tEEE10hipError_tPvRmT1_PNSt15iterator_traitsISY_E10value_typeET2_T3_PNSZ_IS14_E10value_typeET4_jRbjT5_S1A_jjP12ihipStream_tbEUljE_EEESV_SW_SX_S14_S18_S1A_T6_T7_T9_mT8_S1C_bDpT10_ENKUlT_T0_E_clISt17integral_constantIbLb1EES1P_EEDaS1K_S1L_EUlS1K_E_NS1_11comp_targetILNS1_3genE2ELNS1_11target_archE906ELNS1_3gpuE6ELNS1_3repE0EEENS1_30default_config_static_selectorELNS0_4arch9wavefront6targetE0EEEvSY_
; %bb.0:
	.section	.rodata,"a",@progbits
	.p2align	6, 0x0
	.amdhsa_kernel _ZN7rocprim17ROCPRIM_400000_NS6detail17trampoline_kernelINS0_13select_configILj256ELj13ELNS0_17block_load_methodE3ELS4_3ELS4_3ELNS0_20block_scan_algorithmE0ELj4294967295EEENS1_25partition_config_selectorILNS1_17partition_subalgoE3EjNS0_10empty_typeEbEEZZNS1_14partition_implILS8_3ELb0ES6_jNS0_17counting_iteratorIjlEEPS9_SE_NS0_5tupleIJPjSE_EEENSF_IJSE_SE_EEES9_SG_JZNS1_25segmented_radix_sort_implINS0_14default_configELb0EPKsPsPKlPlN2at6native12_GLOBAL__N_18offset_tEEE10hipError_tPvRmT1_PNSt15iterator_traitsISY_E10value_typeET2_T3_PNSZ_IS14_E10value_typeET4_jRbjT5_S1A_jjP12ihipStream_tbEUljE_EEESV_SW_SX_S14_S18_S1A_T6_T7_T9_mT8_S1C_bDpT10_ENKUlT_T0_E_clISt17integral_constantIbLb1EES1P_EEDaS1K_S1L_EUlS1K_E_NS1_11comp_targetILNS1_3genE2ELNS1_11target_archE906ELNS1_3gpuE6ELNS1_3repE0EEENS1_30default_config_static_selectorELNS0_4arch9wavefront6targetE0EEEvSY_
		.amdhsa_group_segment_fixed_size 0
		.amdhsa_private_segment_fixed_size 0
		.amdhsa_kernarg_size 152
		.amdhsa_user_sgpr_count 15
		.amdhsa_user_sgpr_dispatch_ptr 0
		.amdhsa_user_sgpr_queue_ptr 0
		.amdhsa_user_sgpr_kernarg_segment_ptr 1
		.amdhsa_user_sgpr_dispatch_id 0
		.amdhsa_user_sgpr_private_segment_size 0
		.amdhsa_wavefront_size32 1
		.amdhsa_uses_dynamic_stack 0
		.amdhsa_enable_private_segment 0
		.amdhsa_system_sgpr_workgroup_id_x 1
		.amdhsa_system_sgpr_workgroup_id_y 0
		.amdhsa_system_sgpr_workgroup_id_z 0
		.amdhsa_system_sgpr_workgroup_info 0
		.amdhsa_system_vgpr_workitem_id 0
		.amdhsa_next_free_vgpr 1
		.amdhsa_next_free_sgpr 1
		.amdhsa_reserve_vcc 0
		.amdhsa_float_round_mode_32 0
		.amdhsa_float_round_mode_16_64 0
		.amdhsa_float_denorm_mode_32 3
		.amdhsa_float_denorm_mode_16_64 3
		.amdhsa_dx10_clamp 1
		.amdhsa_ieee_mode 1
		.amdhsa_fp16_overflow 0
		.amdhsa_workgroup_processor_mode 1
		.amdhsa_memory_ordered 1
		.amdhsa_forward_progress 0
		.amdhsa_shared_vgpr_count 0
		.amdhsa_exception_fp_ieee_invalid_op 0
		.amdhsa_exception_fp_denorm_src 0
		.amdhsa_exception_fp_ieee_div_zero 0
		.amdhsa_exception_fp_ieee_overflow 0
		.amdhsa_exception_fp_ieee_underflow 0
		.amdhsa_exception_fp_ieee_inexact 0
		.amdhsa_exception_int_div_zero 0
	.end_amdhsa_kernel
	.section	.text._ZN7rocprim17ROCPRIM_400000_NS6detail17trampoline_kernelINS0_13select_configILj256ELj13ELNS0_17block_load_methodE3ELS4_3ELS4_3ELNS0_20block_scan_algorithmE0ELj4294967295EEENS1_25partition_config_selectorILNS1_17partition_subalgoE3EjNS0_10empty_typeEbEEZZNS1_14partition_implILS8_3ELb0ES6_jNS0_17counting_iteratorIjlEEPS9_SE_NS0_5tupleIJPjSE_EEENSF_IJSE_SE_EEES9_SG_JZNS1_25segmented_radix_sort_implINS0_14default_configELb0EPKsPsPKlPlN2at6native12_GLOBAL__N_18offset_tEEE10hipError_tPvRmT1_PNSt15iterator_traitsISY_E10value_typeET2_T3_PNSZ_IS14_E10value_typeET4_jRbjT5_S1A_jjP12ihipStream_tbEUljE_EEESV_SW_SX_S14_S18_S1A_T6_T7_T9_mT8_S1C_bDpT10_ENKUlT_T0_E_clISt17integral_constantIbLb1EES1P_EEDaS1K_S1L_EUlS1K_E_NS1_11comp_targetILNS1_3genE2ELNS1_11target_archE906ELNS1_3gpuE6ELNS1_3repE0EEENS1_30default_config_static_selectorELNS0_4arch9wavefront6targetE0EEEvSY_,"axG",@progbits,_ZN7rocprim17ROCPRIM_400000_NS6detail17trampoline_kernelINS0_13select_configILj256ELj13ELNS0_17block_load_methodE3ELS4_3ELS4_3ELNS0_20block_scan_algorithmE0ELj4294967295EEENS1_25partition_config_selectorILNS1_17partition_subalgoE3EjNS0_10empty_typeEbEEZZNS1_14partition_implILS8_3ELb0ES6_jNS0_17counting_iteratorIjlEEPS9_SE_NS0_5tupleIJPjSE_EEENSF_IJSE_SE_EEES9_SG_JZNS1_25segmented_radix_sort_implINS0_14default_configELb0EPKsPsPKlPlN2at6native12_GLOBAL__N_18offset_tEEE10hipError_tPvRmT1_PNSt15iterator_traitsISY_E10value_typeET2_T3_PNSZ_IS14_E10value_typeET4_jRbjT5_S1A_jjP12ihipStream_tbEUljE_EEESV_SW_SX_S14_S18_S1A_T6_T7_T9_mT8_S1C_bDpT10_ENKUlT_T0_E_clISt17integral_constantIbLb1EES1P_EEDaS1K_S1L_EUlS1K_E_NS1_11comp_targetILNS1_3genE2ELNS1_11target_archE906ELNS1_3gpuE6ELNS1_3repE0EEENS1_30default_config_static_selectorELNS0_4arch9wavefront6targetE0EEEvSY_,comdat
.Lfunc_end994:
	.size	_ZN7rocprim17ROCPRIM_400000_NS6detail17trampoline_kernelINS0_13select_configILj256ELj13ELNS0_17block_load_methodE3ELS4_3ELS4_3ELNS0_20block_scan_algorithmE0ELj4294967295EEENS1_25partition_config_selectorILNS1_17partition_subalgoE3EjNS0_10empty_typeEbEEZZNS1_14partition_implILS8_3ELb0ES6_jNS0_17counting_iteratorIjlEEPS9_SE_NS0_5tupleIJPjSE_EEENSF_IJSE_SE_EEES9_SG_JZNS1_25segmented_radix_sort_implINS0_14default_configELb0EPKsPsPKlPlN2at6native12_GLOBAL__N_18offset_tEEE10hipError_tPvRmT1_PNSt15iterator_traitsISY_E10value_typeET2_T3_PNSZ_IS14_E10value_typeET4_jRbjT5_S1A_jjP12ihipStream_tbEUljE_EEESV_SW_SX_S14_S18_S1A_T6_T7_T9_mT8_S1C_bDpT10_ENKUlT_T0_E_clISt17integral_constantIbLb1EES1P_EEDaS1K_S1L_EUlS1K_E_NS1_11comp_targetILNS1_3genE2ELNS1_11target_archE906ELNS1_3gpuE6ELNS1_3repE0EEENS1_30default_config_static_selectorELNS0_4arch9wavefront6targetE0EEEvSY_, .Lfunc_end994-_ZN7rocprim17ROCPRIM_400000_NS6detail17trampoline_kernelINS0_13select_configILj256ELj13ELNS0_17block_load_methodE3ELS4_3ELS4_3ELNS0_20block_scan_algorithmE0ELj4294967295EEENS1_25partition_config_selectorILNS1_17partition_subalgoE3EjNS0_10empty_typeEbEEZZNS1_14partition_implILS8_3ELb0ES6_jNS0_17counting_iteratorIjlEEPS9_SE_NS0_5tupleIJPjSE_EEENSF_IJSE_SE_EEES9_SG_JZNS1_25segmented_radix_sort_implINS0_14default_configELb0EPKsPsPKlPlN2at6native12_GLOBAL__N_18offset_tEEE10hipError_tPvRmT1_PNSt15iterator_traitsISY_E10value_typeET2_T3_PNSZ_IS14_E10value_typeET4_jRbjT5_S1A_jjP12ihipStream_tbEUljE_EEESV_SW_SX_S14_S18_S1A_T6_T7_T9_mT8_S1C_bDpT10_ENKUlT_T0_E_clISt17integral_constantIbLb1EES1P_EEDaS1K_S1L_EUlS1K_E_NS1_11comp_targetILNS1_3genE2ELNS1_11target_archE906ELNS1_3gpuE6ELNS1_3repE0EEENS1_30default_config_static_selectorELNS0_4arch9wavefront6targetE0EEEvSY_
                                        ; -- End function
	.section	.AMDGPU.csdata,"",@progbits
; Kernel info:
; codeLenInByte = 0
; NumSgprs: 0
; NumVgprs: 0
; ScratchSize: 0
; MemoryBound: 0
; FloatMode: 240
; IeeeMode: 1
; LDSByteSize: 0 bytes/workgroup (compile time only)
; SGPRBlocks: 0
; VGPRBlocks: 0
; NumSGPRsForWavesPerEU: 1
; NumVGPRsForWavesPerEU: 1
; Occupancy: 16
; WaveLimiterHint : 0
; COMPUTE_PGM_RSRC2:SCRATCH_EN: 0
; COMPUTE_PGM_RSRC2:USER_SGPR: 15
; COMPUTE_PGM_RSRC2:TRAP_HANDLER: 0
; COMPUTE_PGM_RSRC2:TGID_X_EN: 1
; COMPUTE_PGM_RSRC2:TGID_Y_EN: 0
; COMPUTE_PGM_RSRC2:TGID_Z_EN: 0
; COMPUTE_PGM_RSRC2:TIDIG_COMP_CNT: 0
	.section	.text._ZN7rocprim17ROCPRIM_400000_NS6detail17trampoline_kernelINS0_13select_configILj256ELj13ELNS0_17block_load_methodE3ELS4_3ELS4_3ELNS0_20block_scan_algorithmE0ELj4294967295EEENS1_25partition_config_selectorILNS1_17partition_subalgoE3EjNS0_10empty_typeEbEEZZNS1_14partition_implILS8_3ELb0ES6_jNS0_17counting_iteratorIjlEEPS9_SE_NS0_5tupleIJPjSE_EEENSF_IJSE_SE_EEES9_SG_JZNS1_25segmented_radix_sort_implINS0_14default_configELb0EPKsPsPKlPlN2at6native12_GLOBAL__N_18offset_tEEE10hipError_tPvRmT1_PNSt15iterator_traitsISY_E10value_typeET2_T3_PNSZ_IS14_E10value_typeET4_jRbjT5_S1A_jjP12ihipStream_tbEUljE_EEESV_SW_SX_S14_S18_S1A_T6_T7_T9_mT8_S1C_bDpT10_ENKUlT_T0_E_clISt17integral_constantIbLb1EES1P_EEDaS1K_S1L_EUlS1K_E_NS1_11comp_targetILNS1_3genE10ELNS1_11target_archE1200ELNS1_3gpuE4ELNS1_3repE0EEENS1_30default_config_static_selectorELNS0_4arch9wavefront6targetE0EEEvSY_,"axG",@progbits,_ZN7rocprim17ROCPRIM_400000_NS6detail17trampoline_kernelINS0_13select_configILj256ELj13ELNS0_17block_load_methodE3ELS4_3ELS4_3ELNS0_20block_scan_algorithmE0ELj4294967295EEENS1_25partition_config_selectorILNS1_17partition_subalgoE3EjNS0_10empty_typeEbEEZZNS1_14partition_implILS8_3ELb0ES6_jNS0_17counting_iteratorIjlEEPS9_SE_NS0_5tupleIJPjSE_EEENSF_IJSE_SE_EEES9_SG_JZNS1_25segmented_radix_sort_implINS0_14default_configELb0EPKsPsPKlPlN2at6native12_GLOBAL__N_18offset_tEEE10hipError_tPvRmT1_PNSt15iterator_traitsISY_E10value_typeET2_T3_PNSZ_IS14_E10value_typeET4_jRbjT5_S1A_jjP12ihipStream_tbEUljE_EEESV_SW_SX_S14_S18_S1A_T6_T7_T9_mT8_S1C_bDpT10_ENKUlT_T0_E_clISt17integral_constantIbLb1EES1P_EEDaS1K_S1L_EUlS1K_E_NS1_11comp_targetILNS1_3genE10ELNS1_11target_archE1200ELNS1_3gpuE4ELNS1_3repE0EEENS1_30default_config_static_selectorELNS0_4arch9wavefront6targetE0EEEvSY_,comdat
	.globl	_ZN7rocprim17ROCPRIM_400000_NS6detail17trampoline_kernelINS0_13select_configILj256ELj13ELNS0_17block_load_methodE3ELS4_3ELS4_3ELNS0_20block_scan_algorithmE0ELj4294967295EEENS1_25partition_config_selectorILNS1_17partition_subalgoE3EjNS0_10empty_typeEbEEZZNS1_14partition_implILS8_3ELb0ES6_jNS0_17counting_iteratorIjlEEPS9_SE_NS0_5tupleIJPjSE_EEENSF_IJSE_SE_EEES9_SG_JZNS1_25segmented_radix_sort_implINS0_14default_configELb0EPKsPsPKlPlN2at6native12_GLOBAL__N_18offset_tEEE10hipError_tPvRmT1_PNSt15iterator_traitsISY_E10value_typeET2_T3_PNSZ_IS14_E10value_typeET4_jRbjT5_S1A_jjP12ihipStream_tbEUljE_EEESV_SW_SX_S14_S18_S1A_T6_T7_T9_mT8_S1C_bDpT10_ENKUlT_T0_E_clISt17integral_constantIbLb1EES1P_EEDaS1K_S1L_EUlS1K_E_NS1_11comp_targetILNS1_3genE10ELNS1_11target_archE1200ELNS1_3gpuE4ELNS1_3repE0EEENS1_30default_config_static_selectorELNS0_4arch9wavefront6targetE0EEEvSY_ ; -- Begin function _ZN7rocprim17ROCPRIM_400000_NS6detail17trampoline_kernelINS0_13select_configILj256ELj13ELNS0_17block_load_methodE3ELS4_3ELS4_3ELNS0_20block_scan_algorithmE0ELj4294967295EEENS1_25partition_config_selectorILNS1_17partition_subalgoE3EjNS0_10empty_typeEbEEZZNS1_14partition_implILS8_3ELb0ES6_jNS0_17counting_iteratorIjlEEPS9_SE_NS0_5tupleIJPjSE_EEENSF_IJSE_SE_EEES9_SG_JZNS1_25segmented_radix_sort_implINS0_14default_configELb0EPKsPsPKlPlN2at6native12_GLOBAL__N_18offset_tEEE10hipError_tPvRmT1_PNSt15iterator_traitsISY_E10value_typeET2_T3_PNSZ_IS14_E10value_typeET4_jRbjT5_S1A_jjP12ihipStream_tbEUljE_EEESV_SW_SX_S14_S18_S1A_T6_T7_T9_mT8_S1C_bDpT10_ENKUlT_T0_E_clISt17integral_constantIbLb1EES1P_EEDaS1K_S1L_EUlS1K_E_NS1_11comp_targetILNS1_3genE10ELNS1_11target_archE1200ELNS1_3gpuE4ELNS1_3repE0EEENS1_30default_config_static_selectorELNS0_4arch9wavefront6targetE0EEEvSY_
	.p2align	8
	.type	_ZN7rocprim17ROCPRIM_400000_NS6detail17trampoline_kernelINS0_13select_configILj256ELj13ELNS0_17block_load_methodE3ELS4_3ELS4_3ELNS0_20block_scan_algorithmE0ELj4294967295EEENS1_25partition_config_selectorILNS1_17partition_subalgoE3EjNS0_10empty_typeEbEEZZNS1_14partition_implILS8_3ELb0ES6_jNS0_17counting_iteratorIjlEEPS9_SE_NS0_5tupleIJPjSE_EEENSF_IJSE_SE_EEES9_SG_JZNS1_25segmented_radix_sort_implINS0_14default_configELb0EPKsPsPKlPlN2at6native12_GLOBAL__N_18offset_tEEE10hipError_tPvRmT1_PNSt15iterator_traitsISY_E10value_typeET2_T3_PNSZ_IS14_E10value_typeET4_jRbjT5_S1A_jjP12ihipStream_tbEUljE_EEESV_SW_SX_S14_S18_S1A_T6_T7_T9_mT8_S1C_bDpT10_ENKUlT_T0_E_clISt17integral_constantIbLb1EES1P_EEDaS1K_S1L_EUlS1K_E_NS1_11comp_targetILNS1_3genE10ELNS1_11target_archE1200ELNS1_3gpuE4ELNS1_3repE0EEENS1_30default_config_static_selectorELNS0_4arch9wavefront6targetE0EEEvSY_,@function
_ZN7rocprim17ROCPRIM_400000_NS6detail17trampoline_kernelINS0_13select_configILj256ELj13ELNS0_17block_load_methodE3ELS4_3ELS4_3ELNS0_20block_scan_algorithmE0ELj4294967295EEENS1_25partition_config_selectorILNS1_17partition_subalgoE3EjNS0_10empty_typeEbEEZZNS1_14partition_implILS8_3ELb0ES6_jNS0_17counting_iteratorIjlEEPS9_SE_NS0_5tupleIJPjSE_EEENSF_IJSE_SE_EEES9_SG_JZNS1_25segmented_radix_sort_implINS0_14default_configELb0EPKsPsPKlPlN2at6native12_GLOBAL__N_18offset_tEEE10hipError_tPvRmT1_PNSt15iterator_traitsISY_E10value_typeET2_T3_PNSZ_IS14_E10value_typeET4_jRbjT5_S1A_jjP12ihipStream_tbEUljE_EEESV_SW_SX_S14_S18_S1A_T6_T7_T9_mT8_S1C_bDpT10_ENKUlT_T0_E_clISt17integral_constantIbLb1EES1P_EEDaS1K_S1L_EUlS1K_E_NS1_11comp_targetILNS1_3genE10ELNS1_11target_archE1200ELNS1_3gpuE4ELNS1_3repE0EEENS1_30default_config_static_selectorELNS0_4arch9wavefront6targetE0EEEvSY_: ; @_ZN7rocprim17ROCPRIM_400000_NS6detail17trampoline_kernelINS0_13select_configILj256ELj13ELNS0_17block_load_methodE3ELS4_3ELS4_3ELNS0_20block_scan_algorithmE0ELj4294967295EEENS1_25partition_config_selectorILNS1_17partition_subalgoE3EjNS0_10empty_typeEbEEZZNS1_14partition_implILS8_3ELb0ES6_jNS0_17counting_iteratorIjlEEPS9_SE_NS0_5tupleIJPjSE_EEENSF_IJSE_SE_EEES9_SG_JZNS1_25segmented_radix_sort_implINS0_14default_configELb0EPKsPsPKlPlN2at6native12_GLOBAL__N_18offset_tEEE10hipError_tPvRmT1_PNSt15iterator_traitsISY_E10value_typeET2_T3_PNSZ_IS14_E10value_typeET4_jRbjT5_S1A_jjP12ihipStream_tbEUljE_EEESV_SW_SX_S14_S18_S1A_T6_T7_T9_mT8_S1C_bDpT10_ENKUlT_T0_E_clISt17integral_constantIbLb1EES1P_EEDaS1K_S1L_EUlS1K_E_NS1_11comp_targetILNS1_3genE10ELNS1_11target_archE1200ELNS1_3gpuE4ELNS1_3repE0EEENS1_30default_config_static_selectorELNS0_4arch9wavefront6targetE0EEEvSY_
; %bb.0:
	.section	.rodata,"a",@progbits
	.p2align	6, 0x0
	.amdhsa_kernel _ZN7rocprim17ROCPRIM_400000_NS6detail17trampoline_kernelINS0_13select_configILj256ELj13ELNS0_17block_load_methodE3ELS4_3ELS4_3ELNS0_20block_scan_algorithmE0ELj4294967295EEENS1_25partition_config_selectorILNS1_17partition_subalgoE3EjNS0_10empty_typeEbEEZZNS1_14partition_implILS8_3ELb0ES6_jNS0_17counting_iteratorIjlEEPS9_SE_NS0_5tupleIJPjSE_EEENSF_IJSE_SE_EEES9_SG_JZNS1_25segmented_radix_sort_implINS0_14default_configELb0EPKsPsPKlPlN2at6native12_GLOBAL__N_18offset_tEEE10hipError_tPvRmT1_PNSt15iterator_traitsISY_E10value_typeET2_T3_PNSZ_IS14_E10value_typeET4_jRbjT5_S1A_jjP12ihipStream_tbEUljE_EEESV_SW_SX_S14_S18_S1A_T6_T7_T9_mT8_S1C_bDpT10_ENKUlT_T0_E_clISt17integral_constantIbLb1EES1P_EEDaS1K_S1L_EUlS1K_E_NS1_11comp_targetILNS1_3genE10ELNS1_11target_archE1200ELNS1_3gpuE4ELNS1_3repE0EEENS1_30default_config_static_selectorELNS0_4arch9wavefront6targetE0EEEvSY_
		.amdhsa_group_segment_fixed_size 0
		.amdhsa_private_segment_fixed_size 0
		.amdhsa_kernarg_size 152
		.amdhsa_user_sgpr_count 15
		.amdhsa_user_sgpr_dispatch_ptr 0
		.amdhsa_user_sgpr_queue_ptr 0
		.amdhsa_user_sgpr_kernarg_segment_ptr 1
		.amdhsa_user_sgpr_dispatch_id 0
		.amdhsa_user_sgpr_private_segment_size 0
		.amdhsa_wavefront_size32 1
		.amdhsa_uses_dynamic_stack 0
		.amdhsa_enable_private_segment 0
		.amdhsa_system_sgpr_workgroup_id_x 1
		.amdhsa_system_sgpr_workgroup_id_y 0
		.amdhsa_system_sgpr_workgroup_id_z 0
		.amdhsa_system_sgpr_workgroup_info 0
		.amdhsa_system_vgpr_workitem_id 0
		.amdhsa_next_free_vgpr 1
		.amdhsa_next_free_sgpr 1
		.amdhsa_reserve_vcc 0
		.amdhsa_float_round_mode_32 0
		.amdhsa_float_round_mode_16_64 0
		.amdhsa_float_denorm_mode_32 3
		.amdhsa_float_denorm_mode_16_64 3
		.amdhsa_dx10_clamp 1
		.amdhsa_ieee_mode 1
		.amdhsa_fp16_overflow 0
		.amdhsa_workgroup_processor_mode 1
		.amdhsa_memory_ordered 1
		.amdhsa_forward_progress 0
		.amdhsa_shared_vgpr_count 0
		.amdhsa_exception_fp_ieee_invalid_op 0
		.amdhsa_exception_fp_denorm_src 0
		.amdhsa_exception_fp_ieee_div_zero 0
		.amdhsa_exception_fp_ieee_overflow 0
		.amdhsa_exception_fp_ieee_underflow 0
		.amdhsa_exception_fp_ieee_inexact 0
		.amdhsa_exception_int_div_zero 0
	.end_amdhsa_kernel
	.section	.text._ZN7rocprim17ROCPRIM_400000_NS6detail17trampoline_kernelINS0_13select_configILj256ELj13ELNS0_17block_load_methodE3ELS4_3ELS4_3ELNS0_20block_scan_algorithmE0ELj4294967295EEENS1_25partition_config_selectorILNS1_17partition_subalgoE3EjNS0_10empty_typeEbEEZZNS1_14partition_implILS8_3ELb0ES6_jNS0_17counting_iteratorIjlEEPS9_SE_NS0_5tupleIJPjSE_EEENSF_IJSE_SE_EEES9_SG_JZNS1_25segmented_radix_sort_implINS0_14default_configELb0EPKsPsPKlPlN2at6native12_GLOBAL__N_18offset_tEEE10hipError_tPvRmT1_PNSt15iterator_traitsISY_E10value_typeET2_T3_PNSZ_IS14_E10value_typeET4_jRbjT5_S1A_jjP12ihipStream_tbEUljE_EEESV_SW_SX_S14_S18_S1A_T6_T7_T9_mT8_S1C_bDpT10_ENKUlT_T0_E_clISt17integral_constantIbLb1EES1P_EEDaS1K_S1L_EUlS1K_E_NS1_11comp_targetILNS1_3genE10ELNS1_11target_archE1200ELNS1_3gpuE4ELNS1_3repE0EEENS1_30default_config_static_selectorELNS0_4arch9wavefront6targetE0EEEvSY_,"axG",@progbits,_ZN7rocprim17ROCPRIM_400000_NS6detail17trampoline_kernelINS0_13select_configILj256ELj13ELNS0_17block_load_methodE3ELS4_3ELS4_3ELNS0_20block_scan_algorithmE0ELj4294967295EEENS1_25partition_config_selectorILNS1_17partition_subalgoE3EjNS0_10empty_typeEbEEZZNS1_14partition_implILS8_3ELb0ES6_jNS0_17counting_iteratorIjlEEPS9_SE_NS0_5tupleIJPjSE_EEENSF_IJSE_SE_EEES9_SG_JZNS1_25segmented_radix_sort_implINS0_14default_configELb0EPKsPsPKlPlN2at6native12_GLOBAL__N_18offset_tEEE10hipError_tPvRmT1_PNSt15iterator_traitsISY_E10value_typeET2_T3_PNSZ_IS14_E10value_typeET4_jRbjT5_S1A_jjP12ihipStream_tbEUljE_EEESV_SW_SX_S14_S18_S1A_T6_T7_T9_mT8_S1C_bDpT10_ENKUlT_T0_E_clISt17integral_constantIbLb1EES1P_EEDaS1K_S1L_EUlS1K_E_NS1_11comp_targetILNS1_3genE10ELNS1_11target_archE1200ELNS1_3gpuE4ELNS1_3repE0EEENS1_30default_config_static_selectorELNS0_4arch9wavefront6targetE0EEEvSY_,comdat
.Lfunc_end995:
	.size	_ZN7rocprim17ROCPRIM_400000_NS6detail17trampoline_kernelINS0_13select_configILj256ELj13ELNS0_17block_load_methodE3ELS4_3ELS4_3ELNS0_20block_scan_algorithmE0ELj4294967295EEENS1_25partition_config_selectorILNS1_17partition_subalgoE3EjNS0_10empty_typeEbEEZZNS1_14partition_implILS8_3ELb0ES6_jNS0_17counting_iteratorIjlEEPS9_SE_NS0_5tupleIJPjSE_EEENSF_IJSE_SE_EEES9_SG_JZNS1_25segmented_radix_sort_implINS0_14default_configELb0EPKsPsPKlPlN2at6native12_GLOBAL__N_18offset_tEEE10hipError_tPvRmT1_PNSt15iterator_traitsISY_E10value_typeET2_T3_PNSZ_IS14_E10value_typeET4_jRbjT5_S1A_jjP12ihipStream_tbEUljE_EEESV_SW_SX_S14_S18_S1A_T6_T7_T9_mT8_S1C_bDpT10_ENKUlT_T0_E_clISt17integral_constantIbLb1EES1P_EEDaS1K_S1L_EUlS1K_E_NS1_11comp_targetILNS1_3genE10ELNS1_11target_archE1200ELNS1_3gpuE4ELNS1_3repE0EEENS1_30default_config_static_selectorELNS0_4arch9wavefront6targetE0EEEvSY_, .Lfunc_end995-_ZN7rocprim17ROCPRIM_400000_NS6detail17trampoline_kernelINS0_13select_configILj256ELj13ELNS0_17block_load_methodE3ELS4_3ELS4_3ELNS0_20block_scan_algorithmE0ELj4294967295EEENS1_25partition_config_selectorILNS1_17partition_subalgoE3EjNS0_10empty_typeEbEEZZNS1_14partition_implILS8_3ELb0ES6_jNS0_17counting_iteratorIjlEEPS9_SE_NS0_5tupleIJPjSE_EEENSF_IJSE_SE_EEES9_SG_JZNS1_25segmented_radix_sort_implINS0_14default_configELb0EPKsPsPKlPlN2at6native12_GLOBAL__N_18offset_tEEE10hipError_tPvRmT1_PNSt15iterator_traitsISY_E10value_typeET2_T3_PNSZ_IS14_E10value_typeET4_jRbjT5_S1A_jjP12ihipStream_tbEUljE_EEESV_SW_SX_S14_S18_S1A_T6_T7_T9_mT8_S1C_bDpT10_ENKUlT_T0_E_clISt17integral_constantIbLb1EES1P_EEDaS1K_S1L_EUlS1K_E_NS1_11comp_targetILNS1_3genE10ELNS1_11target_archE1200ELNS1_3gpuE4ELNS1_3repE0EEENS1_30default_config_static_selectorELNS0_4arch9wavefront6targetE0EEEvSY_
                                        ; -- End function
	.section	.AMDGPU.csdata,"",@progbits
; Kernel info:
; codeLenInByte = 0
; NumSgprs: 0
; NumVgprs: 0
; ScratchSize: 0
; MemoryBound: 0
; FloatMode: 240
; IeeeMode: 1
; LDSByteSize: 0 bytes/workgroup (compile time only)
; SGPRBlocks: 0
; VGPRBlocks: 0
; NumSGPRsForWavesPerEU: 1
; NumVGPRsForWavesPerEU: 1
; Occupancy: 16
; WaveLimiterHint : 0
; COMPUTE_PGM_RSRC2:SCRATCH_EN: 0
; COMPUTE_PGM_RSRC2:USER_SGPR: 15
; COMPUTE_PGM_RSRC2:TRAP_HANDLER: 0
; COMPUTE_PGM_RSRC2:TGID_X_EN: 1
; COMPUTE_PGM_RSRC2:TGID_Y_EN: 0
; COMPUTE_PGM_RSRC2:TGID_Z_EN: 0
; COMPUTE_PGM_RSRC2:TIDIG_COMP_CNT: 0
	.section	.text._ZN7rocprim17ROCPRIM_400000_NS6detail17trampoline_kernelINS0_13select_configILj256ELj13ELNS0_17block_load_methodE3ELS4_3ELS4_3ELNS0_20block_scan_algorithmE0ELj4294967295EEENS1_25partition_config_selectorILNS1_17partition_subalgoE3EjNS0_10empty_typeEbEEZZNS1_14partition_implILS8_3ELb0ES6_jNS0_17counting_iteratorIjlEEPS9_SE_NS0_5tupleIJPjSE_EEENSF_IJSE_SE_EEES9_SG_JZNS1_25segmented_radix_sort_implINS0_14default_configELb0EPKsPsPKlPlN2at6native12_GLOBAL__N_18offset_tEEE10hipError_tPvRmT1_PNSt15iterator_traitsISY_E10value_typeET2_T3_PNSZ_IS14_E10value_typeET4_jRbjT5_S1A_jjP12ihipStream_tbEUljE_EEESV_SW_SX_S14_S18_S1A_T6_T7_T9_mT8_S1C_bDpT10_ENKUlT_T0_E_clISt17integral_constantIbLb1EES1P_EEDaS1K_S1L_EUlS1K_E_NS1_11comp_targetILNS1_3genE9ELNS1_11target_archE1100ELNS1_3gpuE3ELNS1_3repE0EEENS1_30default_config_static_selectorELNS0_4arch9wavefront6targetE0EEEvSY_,"axG",@progbits,_ZN7rocprim17ROCPRIM_400000_NS6detail17trampoline_kernelINS0_13select_configILj256ELj13ELNS0_17block_load_methodE3ELS4_3ELS4_3ELNS0_20block_scan_algorithmE0ELj4294967295EEENS1_25partition_config_selectorILNS1_17partition_subalgoE3EjNS0_10empty_typeEbEEZZNS1_14partition_implILS8_3ELb0ES6_jNS0_17counting_iteratorIjlEEPS9_SE_NS0_5tupleIJPjSE_EEENSF_IJSE_SE_EEES9_SG_JZNS1_25segmented_radix_sort_implINS0_14default_configELb0EPKsPsPKlPlN2at6native12_GLOBAL__N_18offset_tEEE10hipError_tPvRmT1_PNSt15iterator_traitsISY_E10value_typeET2_T3_PNSZ_IS14_E10value_typeET4_jRbjT5_S1A_jjP12ihipStream_tbEUljE_EEESV_SW_SX_S14_S18_S1A_T6_T7_T9_mT8_S1C_bDpT10_ENKUlT_T0_E_clISt17integral_constantIbLb1EES1P_EEDaS1K_S1L_EUlS1K_E_NS1_11comp_targetILNS1_3genE9ELNS1_11target_archE1100ELNS1_3gpuE3ELNS1_3repE0EEENS1_30default_config_static_selectorELNS0_4arch9wavefront6targetE0EEEvSY_,comdat
	.globl	_ZN7rocprim17ROCPRIM_400000_NS6detail17trampoline_kernelINS0_13select_configILj256ELj13ELNS0_17block_load_methodE3ELS4_3ELS4_3ELNS0_20block_scan_algorithmE0ELj4294967295EEENS1_25partition_config_selectorILNS1_17partition_subalgoE3EjNS0_10empty_typeEbEEZZNS1_14partition_implILS8_3ELb0ES6_jNS0_17counting_iteratorIjlEEPS9_SE_NS0_5tupleIJPjSE_EEENSF_IJSE_SE_EEES9_SG_JZNS1_25segmented_radix_sort_implINS0_14default_configELb0EPKsPsPKlPlN2at6native12_GLOBAL__N_18offset_tEEE10hipError_tPvRmT1_PNSt15iterator_traitsISY_E10value_typeET2_T3_PNSZ_IS14_E10value_typeET4_jRbjT5_S1A_jjP12ihipStream_tbEUljE_EEESV_SW_SX_S14_S18_S1A_T6_T7_T9_mT8_S1C_bDpT10_ENKUlT_T0_E_clISt17integral_constantIbLb1EES1P_EEDaS1K_S1L_EUlS1K_E_NS1_11comp_targetILNS1_3genE9ELNS1_11target_archE1100ELNS1_3gpuE3ELNS1_3repE0EEENS1_30default_config_static_selectorELNS0_4arch9wavefront6targetE0EEEvSY_ ; -- Begin function _ZN7rocprim17ROCPRIM_400000_NS6detail17trampoline_kernelINS0_13select_configILj256ELj13ELNS0_17block_load_methodE3ELS4_3ELS4_3ELNS0_20block_scan_algorithmE0ELj4294967295EEENS1_25partition_config_selectorILNS1_17partition_subalgoE3EjNS0_10empty_typeEbEEZZNS1_14partition_implILS8_3ELb0ES6_jNS0_17counting_iteratorIjlEEPS9_SE_NS0_5tupleIJPjSE_EEENSF_IJSE_SE_EEES9_SG_JZNS1_25segmented_radix_sort_implINS0_14default_configELb0EPKsPsPKlPlN2at6native12_GLOBAL__N_18offset_tEEE10hipError_tPvRmT1_PNSt15iterator_traitsISY_E10value_typeET2_T3_PNSZ_IS14_E10value_typeET4_jRbjT5_S1A_jjP12ihipStream_tbEUljE_EEESV_SW_SX_S14_S18_S1A_T6_T7_T9_mT8_S1C_bDpT10_ENKUlT_T0_E_clISt17integral_constantIbLb1EES1P_EEDaS1K_S1L_EUlS1K_E_NS1_11comp_targetILNS1_3genE9ELNS1_11target_archE1100ELNS1_3gpuE3ELNS1_3repE0EEENS1_30default_config_static_selectorELNS0_4arch9wavefront6targetE0EEEvSY_
	.p2align	8
	.type	_ZN7rocprim17ROCPRIM_400000_NS6detail17trampoline_kernelINS0_13select_configILj256ELj13ELNS0_17block_load_methodE3ELS4_3ELS4_3ELNS0_20block_scan_algorithmE0ELj4294967295EEENS1_25partition_config_selectorILNS1_17partition_subalgoE3EjNS0_10empty_typeEbEEZZNS1_14partition_implILS8_3ELb0ES6_jNS0_17counting_iteratorIjlEEPS9_SE_NS0_5tupleIJPjSE_EEENSF_IJSE_SE_EEES9_SG_JZNS1_25segmented_radix_sort_implINS0_14default_configELb0EPKsPsPKlPlN2at6native12_GLOBAL__N_18offset_tEEE10hipError_tPvRmT1_PNSt15iterator_traitsISY_E10value_typeET2_T3_PNSZ_IS14_E10value_typeET4_jRbjT5_S1A_jjP12ihipStream_tbEUljE_EEESV_SW_SX_S14_S18_S1A_T6_T7_T9_mT8_S1C_bDpT10_ENKUlT_T0_E_clISt17integral_constantIbLb1EES1P_EEDaS1K_S1L_EUlS1K_E_NS1_11comp_targetILNS1_3genE9ELNS1_11target_archE1100ELNS1_3gpuE3ELNS1_3repE0EEENS1_30default_config_static_selectorELNS0_4arch9wavefront6targetE0EEEvSY_,@function
_ZN7rocprim17ROCPRIM_400000_NS6detail17trampoline_kernelINS0_13select_configILj256ELj13ELNS0_17block_load_methodE3ELS4_3ELS4_3ELNS0_20block_scan_algorithmE0ELj4294967295EEENS1_25partition_config_selectorILNS1_17partition_subalgoE3EjNS0_10empty_typeEbEEZZNS1_14partition_implILS8_3ELb0ES6_jNS0_17counting_iteratorIjlEEPS9_SE_NS0_5tupleIJPjSE_EEENSF_IJSE_SE_EEES9_SG_JZNS1_25segmented_radix_sort_implINS0_14default_configELb0EPKsPsPKlPlN2at6native12_GLOBAL__N_18offset_tEEE10hipError_tPvRmT1_PNSt15iterator_traitsISY_E10value_typeET2_T3_PNSZ_IS14_E10value_typeET4_jRbjT5_S1A_jjP12ihipStream_tbEUljE_EEESV_SW_SX_S14_S18_S1A_T6_T7_T9_mT8_S1C_bDpT10_ENKUlT_T0_E_clISt17integral_constantIbLb1EES1P_EEDaS1K_S1L_EUlS1K_E_NS1_11comp_targetILNS1_3genE9ELNS1_11target_archE1100ELNS1_3gpuE3ELNS1_3repE0EEENS1_30default_config_static_selectorELNS0_4arch9wavefront6targetE0EEEvSY_: ; @_ZN7rocprim17ROCPRIM_400000_NS6detail17trampoline_kernelINS0_13select_configILj256ELj13ELNS0_17block_load_methodE3ELS4_3ELS4_3ELNS0_20block_scan_algorithmE0ELj4294967295EEENS1_25partition_config_selectorILNS1_17partition_subalgoE3EjNS0_10empty_typeEbEEZZNS1_14partition_implILS8_3ELb0ES6_jNS0_17counting_iteratorIjlEEPS9_SE_NS0_5tupleIJPjSE_EEENSF_IJSE_SE_EEES9_SG_JZNS1_25segmented_radix_sort_implINS0_14default_configELb0EPKsPsPKlPlN2at6native12_GLOBAL__N_18offset_tEEE10hipError_tPvRmT1_PNSt15iterator_traitsISY_E10value_typeET2_T3_PNSZ_IS14_E10value_typeET4_jRbjT5_S1A_jjP12ihipStream_tbEUljE_EEESV_SW_SX_S14_S18_S1A_T6_T7_T9_mT8_S1C_bDpT10_ENKUlT_T0_E_clISt17integral_constantIbLb1EES1P_EEDaS1K_S1L_EUlS1K_E_NS1_11comp_targetILNS1_3genE9ELNS1_11target_archE1100ELNS1_3gpuE3ELNS1_3repE0EEENS1_30default_config_static_selectorELNS0_4arch9wavefront6targetE0EEEvSY_
; %bb.0:
	s_clause 0x6
	s_load_b64 s[16:17], s[0:1], 0x10
	s_load_b64 s[12:13], s[0:1], 0x28
	;; [unrolled: 1-line block ×3, first 2 shown]
	s_load_b128 s[8:11], s[0:1], 0x48
	s_load_b32 s3, s[0:1], 0x90
	s_load_b64 s[18:19], s[0:1], 0x68
	s_load_b128 s[4:7], s[0:1], 0x80
	v_cmp_eq_u32_e64 s2, 0, v0
	s_delay_alu instid0(VALU_DEP_1)
	s_and_saveexec_b32 s20, s2
	s_cbranch_execz .LBB996_4
; %bb.1:
	s_mov_b32 s22, exec_lo
	s_mov_b32 s21, exec_lo
	v_mbcnt_lo_u32_b32 v1, s22, 0
                                        ; implicit-def: $vgpr2
	s_delay_alu instid0(VALU_DEP_1)
	v_cmpx_eq_u32_e32 0, v1
	s_cbranch_execz .LBB996_3
; %bb.2:
	s_load_b64 s[24:25], s[0:1], 0x78
	s_bcnt1_i32_b32 s22, s22
	s_delay_alu instid0(SALU_CYCLE_1)
	v_dual_mov_b32 v2, 0 :: v_dual_mov_b32 v3, s22
	s_waitcnt lgkmcnt(0)
	global_atomic_add_u32 v2, v2, v3, s[24:25] glc
.LBB996_3:
	s_or_b32 exec_lo, exec_lo, s21
	s_waitcnt vmcnt(0)
	v_readfirstlane_b32 s21, v2
	s_delay_alu instid0(VALU_DEP_1)
	v_dual_mov_b32 v2, 0 :: v_dual_add_nc_u32 v1, s21, v1
	ds_store_b32 v2, v1
.LBB996_4:
	s_or_b32 exec_lo, exec_lo, s20
	v_mov_b32_e32 v1, 0
	s_clause 0x1
	s_load_b32 s20, s[0:1], 0x8
	s_load_b32 s0, s[0:1], 0x70
	s_waitcnt lgkmcnt(0)
	s_barrier
	buffer_gl0_inv
	ds_load_b32 v2, v1
	s_waitcnt lgkmcnt(0)
	s_barrier
	buffer_gl0_inv
	global_load_b64 v[18:19], v1, s[10:11]
	v_lshlrev_b32_e32 v33, 2, v0
	s_add_i32 s21, s20, s16
	s_mul_i32 s1, s0, 0xd00
	s_add_i32 s0, s0, -1
	s_add_u32 s10, s16, s1
	s_addc_u32 s11, s17, 0
	v_mul_lo_u32 v32, 0xd00, v2
	v_readfirstlane_b32 s20, v2
	v_cmp_lt_u64_e64 s11, s[10:11], s[14:15]
	v_cmp_ne_u32_e32 vcc_lo, s0, v2
	s_delay_alu instid0(VALU_DEP_3) | instskip(SKIP_1) | instid1(VALU_DEP_4)
	s_cmp_eq_u32 s20, s0
	s_cselect_b32 s10, -1, 0
	v_add3_u32 v1, v32, s21, v0
	s_delay_alu instid0(VALU_DEP_3) | instskip(SKIP_2) | instid1(VALU_DEP_1)
	s_or_b32 s0, s11, vcc_lo
	s_mov_b32 s11, -1
	s_and_b32 vcc_lo, exec_lo, s0
	v_add_nc_u32_e32 v2, 0x100, v1
	v_add_nc_u32_e32 v3, 0x200, v1
	v_add_nc_u32_e32 v4, 0x300, v1
	v_add_nc_u32_e32 v5, 0x400, v1
	v_add_nc_u32_e32 v6, 0x500, v1
	v_add_nc_u32_e32 v7, 0x600, v1
	v_add_nc_u32_e32 v8, 0x700, v1
	v_add_nc_u32_e32 v9, 0x800, v1
	v_add_nc_u32_e32 v10, 0x900, v1
	v_add_nc_u32_e32 v11, 0xa00, v1
	v_add_nc_u32_e32 v12, 0xb00, v1
	v_add_nc_u32_e32 v13, 0xc00, v1
	s_cbranch_vccz .LBB996_6
; %bb.5:
	ds_store_2addr_stride64_b32 v33, v1, v2 offset1:4
	ds_store_2addr_stride64_b32 v33, v3, v4 offset0:8 offset1:12
	ds_store_2addr_stride64_b32 v33, v5, v6 offset0:16 offset1:20
	;; [unrolled: 1-line block ×5, first 2 shown]
	ds_store_b32 v33, v13 offset:12288
	s_waitcnt vmcnt(0) lgkmcnt(0)
	s_mov_b32 s11, 0
	s_barrier
.LBB996_6:
	s_and_not1_b32 vcc_lo, exec_lo, s11
	s_add_i32 s1, s1, s16
	s_cbranch_vccnz .LBB996_8
; %bb.7:
	ds_store_2addr_stride64_b32 v33, v1, v2 offset1:4
	ds_store_2addr_stride64_b32 v33, v3, v4 offset0:8 offset1:12
	ds_store_2addr_stride64_b32 v33, v5, v6 offset0:16 offset1:20
	;; [unrolled: 1-line block ×5, first 2 shown]
	ds_store_b32 v33, v13 offset:12288
	s_waitcnt vmcnt(0) lgkmcnt(0)
	s_barrier
.LBB996_8:
	v_mul_u32_u24_e32 v36, 13, v0
	s_waitcnt vmcnt(0)
	buffer_gl0_inv
	v_cndmask_b32_e64 v34, 0, 1, s0
	s_sub_i32 s11, s14, s1
	s_and_not1_b32 vcc_lo, exec_lo, s0
	v_lshlrev_b32_e32 v1, 2, v36
	ds_load_2addr_b32 v[30:31], v1 offset1:1
	ds_load_2addr_b32 v[28:29], v1 offset0:2 offset1:3
	ds_load_2addr_b32 v[26:27], v1 offset0:4 offset1:5
	;; [unrolled: 1-line block ×5, first 2 shown]
	ds_load_b32 v35, v1 offset:48
	s_waitcnt lgkmcnt(0)
	s_barrier
	buffer_gl0_inv
	s_cbranch_vccnz .LBB996_10
; %bb.9:
	v_add_nc_u32_e32 v1, s5, v30
	v_add_nc_u32_e32 v2, s7, v30
	v_add_nc_u32_e32 v3, s5, v31
	v_add_nc_u32_e32 v4, s7, v31
	v_add_nc_u32_e32 v5, s5, v28
	v_mul_lo_u32 v1, v1, s4
	v_mul_lo_u32 v2, v2, s6
	;; [unrolled: 1-line block ×4, first 2 shown]
	v_add_nc_u32_e32 v6, s7, v28
	v_add_nc_u32_e32 v7, s5, v29
	;; [unrolled: 1-line block ×3, first 2 shown]
	v_mul_lo_u32 v5, v5, s4
	v_add_nc_u32_e32 v9, s5, v24
	v_sub_nc_u32_e32 v1, v1, v2
	v_mul_lo_u32 v2, v6, s6
	v_sub_nc_u32_e32 v3, v3, v4
	v_mul_lo_u32 v4, v7, s4
	v_mul_lo_u32 v6, v8, s6
	v_add_nc_u32_e32 v7, s5, v26
	v_cmp_lt_u32_e32 vcc_lo, s3, v1
	v_add_nc_u32_e32 v8, s5, v27
	v_add_nc_u32_e32 v10, s7, v24
	v_sub_nc_u32_e32 v2, v5, v2
	v_add_nc_u32_e32 v5, s7, v26
	v_cndmask_b32_e64 v1, 0, 1, vcc_lo
	v_sub_nc_u32_e32 v4, v4, v6
	v_mul_lo_u32 v6, v7, s4
	v_add_nc_u32_e32 v7, s7, v27
	v_cmp_lt_u32_e32 vcc_lo, s3, v3
	v_mul_lo_u32 v5, v5, s6
	v_mul_lo_u32 v8, v8, s4
	;; [unrolled: 1-line block ×4, first 2 shown]
	v_cndmask_b32_e64 v3, 0, 1, vcc_lo
	v_cmp_lt_u32_e32 vcc_lo, s3, v2
	v_mul_lo_u32 v10, v10, s6
	v_add_nc_u32_e32 v11, s5, v22
	v_sub_nc_u32_e32 v5, v6, v5
	v_add_nc_u32_e32 v12, s7, v22
	v_cndmask_b32_e64 v2, 0, 1, vcc_lo
	v_sub_nc_u32_e32 v6, v8, v7
	v_add_nc_u32_e32 v7, s5, v25
	v_add_nc_u32_e32 v8, s7, v25
	v_cmp_lt_u32_e32 vcc_lo, s3, v4
	v_sub_nc_u32_e32 v9, v9, v10
	v_mul_lo_u32 v10, v11, s4
	v_mul_lo_u32 v7, v7, s4
	v_mul_lo_u32 v8, v8, s6
	v_mul_lo_u32 v11, v12, s6
	v_cndmask_b32_e64 v4, 0, 1, vcc_lo
	v_cmp_lt_u32_e32 vcc_lo, s3, v5
	v_add_nc_u32_e32 v12, s5, v23
	v_add_nc_u32_e32 v13, s7, v20
	;; [unrolled: 1-line block ×4, first 2 shown]
	v_cndmask_b32_e64 v5, 0, 1, vcc_lo
	v_cmp_lt_u32_e32 vcc_lo, s3, v6
	v_sub_nc_u32_e32 v7, v7, v8
	v_sub_nc_u32_e32 v8, v10, v11
	v_add_nc_u32_e32 v11, s7, v23
	v_mul_lo_u32 v10, v12, s4
	v_cndmask_b32_e64 v6, 0, 1, vcc_lo
	v_cmp_lt_u32_e32 vcc_lo, s3, v9
	v_add_nc_u32_e32 v12, s5, v20
	v_mul_lo_u32 v11, v11, s6
	v_mul_lo_u32 v13, v13, s6
	v_mul_lo_u32 v14, v14, s4
	v_cndmask_b32_e64 v9, 0, 1, vcc_lo
	v_cmp_lt_u32_e32 vcc_lo, s3, v7
	v_mul_lo_u32 v12, v12, s4
	v_mul_lo_u32 v15, v15, s6
	v_lshlrev_b16 v3, 8, v3
	v_sub_nc_u32_e32 v10, v10, v11
	v_cndmask_b32_e64 v7, 0, 1, vcc_lo
	v_cmp_lt_u32_e32 vcc_lo, s3, v8
	v_add_nc_u32_e32 v11, s5, v35
	v_or_b32_e32 v1, v1, v3
	v_sub_nc_u32_e32 v12, v12, v13
	v_sub_nc_u32_e32 v13, v14, v15
	v_cndmask_b32_e64 v8, 0, 1, vcc_lo
	v_cmp_lt_u32_e32 vcc_lo, s3, v10
	v_add_nc_u32_e32 v16, s7, v35
	v_mul_lo_u32 v11, v11, s4
	v_lshlrev_b16 v4, 8, v4
	v_lshlrev_b16 v6, 8, v6
	v_cndmask_b32_e64 v10, 0, 1, vcc_lo
	v_cmp_lt_u32_e32 vcc_lo, s3, v12
	v_mul_lo_u32 v14, v16, s6
	v_lshlrev_b16 v7, 8, v7
	v_or_b32_e32 v2, v2, v4
	v_lshlrev_b16 v10, 8, v10
	v_cndmask_b32_e64 v3, 0, 1, vcc_lo
	v_cmp_lt_u32_e32 vcc_lo, s3, v13
	v_or_b32_e32 v4, v5, v6
	v_or_b32_e32 v5, v9, v7
	v_sub_nc_u32_e32 v11, v11, v14
	v_or_b32_e32 v6, v8, v10
	v_cndmask_b32_e64 v12, 0, 1, vcc_lo
	v_and_b32_e32 v1, 0xffff, v1
	v_lshlrev_b32_e32 v2, 16, v2
	v_and_b32_e32 v4, 0xffff, v4
	v_lshlrev_b32_e32 v5, 16, v5
	v_lshlrev_b16 v12, 8, v12
	v_and_b32_e32 v6, 0xffff, v6
	v_cmp_lt_u32_e32 vcc_lo, s3, v11
	v_or_b32_e32 v42, v1, v2
	v_or_b32_e32 v40, v4, v5
	;; [unrolled: 1-line block ×3, first 2 shown]
	v_cndmask_b32_e64 v37, 0, 1, vcc_lo
	s_delay_alu instid0(VALU_DEP_2) | instskip(NEXT) | instid1(VALU_DEP_1)
	v_lshlrev_b32_e32 v3, 16, v3
	v_or_b32_e32 v38, v6, v3
	s_addk_i32 s11, 0xd00
	s_cbranch_execz .LBB996_11
	s_branch .LBB996_38
.LBB996_10:
                                        ; implicit-def: $vgpr37
                                        ; implicit-def: $vgpr38
                                        ; implicit-def: $vgpr40
                                        ; implicit-def: $vgpr42
	s_addk_i32 s11, 0xd00
.LBB996_11:
	v_dual_mov_b32 v2, 0 :: v_dual_mov_b32 v1, 0
	s_mov_b32 s0, exec_lo
	v_cmpx_gt_u32_e64 s11, v36
; %bb.12:
	v_add_nc_u32_e32 v1, s5, v30
	v_add_nc_u32_e32 v3, s7, v30
	s_delay_alu instid0(VALU_DEP_2) | instskip(NEXT) | instid1(VALU_DEP_2)
	v_mul_lo_u32 v1, v1, s4
	v_mul_lo_u32 v3, v3, s6
	s_delay_alu instid0(VALU_DEP_1) | instskip(NEXT) | instid1(VALU_DEP_1)
	v_sub_nc_u32_e32 v1, v1, v3
	v_cmp_lt_u32_e32 vcc_lo, s3, v1
	v_cndmask_b32_e64 v1, 0, 1, vcc_lo
; %bb.13:
	s_or_b32 exec_lo, exec_lo, s0
	v_add_nc_u32_e32 v3, 1, v36
	s_mov_b32 s0, exec_lo
	s_delay_alu instid0(VALU_DEP_1)
	v_cmpx_gt_u32_e64 s11, v3
; %bb.14:
	v_add_nc_u32_e32 v2, s5, v31
	v_add_nc_u32_e32 v3, s7, v31
	s_delay_alu instid0(VALU_DEP_2) | instskip(NEXT) | instid1(VALU_DEP_2)
	v_mul_lo_u32 v2, v2, s4
	v_mul_lo_u32 v3, v3, s6
	s_delay_alu instid0(VALU_DEP_1) | instskip(NEXT) | instid1(VALU_DEP_1)
	v_sub_nc_u32_e32 v2, v2, v3
	v_cmp_lt_u32_e32 vcc_lo, s3, v2
	v_cndmask_b32_e64 v2, 0, 1, vcc_lo
; %bb.15:
	s_or_b32 exec_lo, exec_lo, s0
	v_dual_mov_b32 v4, 0 :: v_dual_add_nc_u32 v3, 2, v36
	s_delay_alu instid0(VALU_DEP_1)
	v_cmp_gt_u32_e32 vcc_lo, s11, v3
	v_mov_b32_e32 v3, 0
	s_and_saveexec_b32 s0, vcc_lo
; %bb.16:
	v_add_nc_u32_e32 v3, s5, v28
	v_add_nc_u32_e32 v5, s7, v28
	s_delay_alu instid0(VALU_DEP_2) | instskip(NEXT) | instid1(VALU_DEP_2)
	v_mul_lo_u32 v3, v3, s4
	v_mul_lo_u32 v5, v5, s6
	s_delay_alu instid0(VALU_DEP_1) | instskip(NEXT) | instid1(VALU_DEP_1)
	v_sub_nc_u32_e32 v3, v3, v5
	v_cmp_lt_u32_e32 vcc_lo, s3, v3
	v_cndmask_b32_e64 v3, 0, 1, vcc_lo
; %bb.17:
	s_or_b32 exec_lo, exec_lo, s0
	v_add_nc_u32_e32 v5, 3, v36
	s_mov_b32 s0, exec_lo
	s_delay_alu instid0(VALU_DEP_1)
	v_cmpx_gt_u32_e64 s11, v5
; %bb.18:
	v_add_nc_u32_e32 v4, s5, v29
	v_add_nc_u32_e32 v5, s7, v29
	s_delay_alu instid0(VALU_DEP_2) | instskip(NEXT) | instid1(VALU_DEP_2)
	v_mul_lo_u32 v4, v4, s4
	v_mul_lo_u32 v5, v5, s6
	s_delay_alu instid0(VALU_DEP_1) | instskip(NEXT) | instid1(VALU_DEP_1)
	v_sub_nc_u32_e32 v4, v4, v5
	v_cmp_lt_u32_e32 vcc_lo, s3, v4
	v_cndmask_b32_e64 v4, 0, 1, vcc_lo
; %bb.19:
	s_or_b32 exec_lo, exec_lo, s0
	v_dual_mov_b32 v6, 0 :: v_dual_add_nc_u32 v5, 4, v36
	s_delay_alu instid0(VALU_DEP_1)
	v_cmp_gt_u32_e32 vcc_lo, s11, v5
	v_mov_b32_e32 v5, 0
	s_and_saveexec_b32 s0, vcc_lo
	;; [unrolled: 33-line block ×5, first 2 shown]
; %bb.32:
	v_add_nc_u32_e32 v11, s5, v20
	v_add_nc_u32_e32 v13, s7, v20
	s_delay_alu instid0(VALU_DEP_2) | instskip(NEXT) | instid1(VALU_DEP_2)
	v_mul_lo_u32 v11, v11, s4
	v_mul_lo_u32 v13, v13, s6
	s_delay_alu instid0(VALU_DEP_1) | instskip(NEXT) | instid1(VALU_DEP_1)
	v_sub_nc_u32_e32 v11, v11, v13
	v_cmp_lt_u32_e32 vcc_lo, s3, v11
	v_cndmask_b32_e64 v11, 0, 1, vcc_lo
; %bb.33:
	s_or_b32 exec_lo, exec_lo, s0
	v_add_nc_u32_e32 v13, 11, v36
	s_mov_b32 s0, exec_lo
	s_delay_alu instid0(VALU_DEP_1)
	v_cmpx_gt_u32_e64 s11, v13
; %bb.34:
	v_add_nc_u32_e32 v12, s5, v21
	v_add_nc_u32_e32 v13, s7, v21
	s_delay_alu instid0(VALU_DEP_2) | instskip(NEXT) | instid1(VALU_DEP_2)
	v_mul_lo_u32 v12, v12, s4
	v_mul_lo_u32 v13, v13, s6
	s_delay_alu instid0(VALU_DEP_1) | instskip(NEXT) | instid1(VALU_DEP_1)
	v_sub_nc_u32_e32 v12, v12, v13
	v_cmp_lt_u32_e32 vcc_lo, s3, v12
	v_cndmask_b32_e64 v12, 0, 1, vcc_lo
; %bb.35:
	s_or_b32 exec_lo, exec_lo, s0
	v_add_nc_u32_e32 v13, 12, v36
	v_mov_b32_e32 v37, 0
	s_mov_b32 s0, exec_lo
	s_delay_alu instid0(VALU_DEP_2)
	v_cmpx_gt_u32_e64 s11, v13
; %bb.36:
	v_add_nc_u32_e32 v13, s5, v35
	v_add_nc_u32_e32 v14, s7, v35
	s_delay_alu instid0(VALU_DEP_2) | instskip(NEXT) | instid1(VALU_DEP_2)
	v_mul_lo_u32 v13, v13, s4
	v_mul_lo_u32 v14, v14, s6
	s_delay_alu instid0(VALU_DEP_1) | instskip(NEXT) | instid1(VALU_DEP_1)
	v_sub_nc_u32_e32 v13, v13, v14
	v_cmp_lt_u32_e32 vcc_lo, s3, v13
	v_cndmask_b32_e64 v37, 0, 1, vcc_lo
; %bb.37:
	s_or_b32 exec_lo, exec_lo, s0
	v_lshlrev_b16 v2, 8, v2
	v_lshlrev_b16 v4, 8, v4
	;; [unrolled: 1-line block ×5, first 2 shown]
	v_or_b32_e32 v1, v1, v2
	v_lshlrev_b16 v2, 8, v12
	v_or_b32_e32 v3, v3, v4
	v_or_b32_e32 v4, v5, v6
	;; [unrolled: 1-line block ×5, first 2 shown]
	v_and_b32_e32 v1, 0xffff, v1
	v_lshlrev_b32_e32 v3, 16, v3
	v_and_b32_e32 v4, 0xffff, v4
	v_lshlrev_b32_e32 v5, 16, v5
	;; [unrolled: 2-line block ×3, first 2 shown]
	v_or_b32_e32 v42, v1, v3
	s_delay_alu instid0(VALU_DEP_4) | instskip(NEXT) | instid1(VALU_DEP_3)
	v_or_b32_e32 v40, v4, v5
	v_or_b32_e32 v38, v6, v2
.LBB996_38:
	s_delay_alu instid0(VALU_DEP_3)
	v_and_b32_e32 v44, 0xff, v42
	v_bfe_u32 v45, v42, 8, 8
	v_bfe_u32 v46, v42, 16, 8
	v_lshrrev_b32_e32 v43, 24, v42
	v_and_b32_e32 v47, 0xff, v40
	v_bfe_u32 v48, v40, 8, 8
	v_bfe_u32 v49, v40, 16, 8
	v_add3_u32 v1, v45, v44, v46
	v_lshrrev_b32_e32 v41, 24, v40
	v_and_b32_e32 v50, 0xff, v38
	v_bfe_u32 v51, v38, 8, 8
	v_mbcnt_lo_u32_b32 v53, -1, 0
	v_add3_u32 v1, v1, v43, v47
	v_bfe_u32 v52, v38, 16, 8
	v_lshrrev_b32_e32 v39, 24, v38
	v_and_b32_e32 v2, 0xff, v37
	v_and_b32_e32 v3, 15, v53
	v_add3_u32 v1, v1, v48, v49
	v_or_b32_e32 v4, 31, v0
	v_and_b32_e32 v5, 16, v53
	v_lshrrev_b32_e32 v54, 5, v0
	v_cmp_eq_u32_e64 s6, 0, v3
	v_add3_u32 v1, v1, v41, v50
	v_cmp_lt_u32_e64 s5, 1, v3
	v_cmp_lt_u32_e64 s4, 3, v3
	;; [unrolled: 1-line block ×3, first 2 shown]
	v_cmp_eq_u32_e64 s1, 0, v5
	v_add3_u32 v1, v1, v51, v52
	v_cmp_eq_u32_e64 s0, v4, v0
	s_cmp_lg_u32 s20, 0
	s_mov_b32 s7, -1
	s_delay_alu instid0(VALU_DEP_2)
	v_add3_u32 v55, v1, v39, v2
	s_cbranch_scc0 .LBB996_69
; %bb.39:
	s_delay_alu instid0(VALU_DEP_1) | instskip(NEXT) | instid1(VALU_DEP_1)
	v_mov_b32_dpp v1, v55 row_shr:1 row_mask:0xf bank_mask:0xf
	v_cndmask_b32_e64 v1, v1, 0, s6
	s_delay_alu instid0(VALU_DEP_1) | instskip(NEXT) | instid1(VALU_DEP_1)
	v_add_nc_u32_e32 v1, v1, v55
	v_mov_b32_dpp v2, v1 row_shr:2 row_mask:0xf bank_mask:0xf
	s_delay_alu instid0(VALU_DEP_1) | instskip(NEXT) | instid1(VALU_DEP_1)
	v_cndmask_b32_e64 v2, 0, v2, s5
	v_add_nc_u32_e32 v1, v1, v2
	s_delay_alu instid0(VALU_DEP_1) | instskip(NEXT) | instid1(VALU_DEP_1)
	v_mov_b32_dpp v2, v1 row_shr:4 row_mask:0xf bank_mask:0xf
	v_cndmask_b32_e64 v2, 0, v2, s4
	s_delay_alu instid0(VALU_DEP_1) | instskip(NEXT) | instid1(VALU_DEP_1)
	v_add_nc_u32_e32 v1, v1, v2
	v_mov_b32_dpp v2, v1 row_shr:8 row_mask:0xf bank_mask:0xf
	s_delay_alu instid0(VALU_DEP_1) | instskip(NEXT) | instid1(VALU_DEP_1)
	v_cndmask_b32_e64 v2, 0, v2, s3
	v_add_nc_u32_e32 v1, v1, v2
	ds_swizzle_b32 v2, v1 offset:swizzle(BROADCAST,32,15)
	s_waitcnt lgkmcnt(0)
	v_cndmask_b32_e64 v2, v2, 0, s1
	s_delay_alu instid0(VALU_DEP_1)
	v_add_nc_u32_e32 v1, v1, v2
	s_and_saveexec_b32 s7, s0
	s_cbranch_execz .LBB996_41
; %bb.40:
	v_lshlrev_b32_e32 v2, 2, v54
	ds_store_b32 v2, v1
.LBB996_41:
	s_or_b32 exec_lo, exec_lo, s7
	s_delay_alu instid0(SALU_CYCLE_1)
	s_mov_b32 s7, exec_lo
	s_waitcnt lgkmcnt(0)
	s_barrier
	buffer_gl0_inv
	v_cmpx_gt_u32_e32 8, v0
	s_cbranch_execz .LBB996_43
; %bb.42:
	ds_load_b32 v2, v33
	s_waitcnt lgkmcnt(0)
	v_mov_b32_dpp v4, v2 row_shr:1 row_mask:0xf bank_mask:0xf
	v_and_b32_e32 v3, 7, v53
	s_delay_alu instid0(VALU_DEP_1) | instskip(NEXT) | instid1(VALU_DEP_3)
	v_cmp_ne_u32_e32 vcc_lo, 0, v3
	v_cndmask_b32_e32 v4, 0, v4, vcc_lo
	v_cmp_lt_u32_e32 vcc_lo, 1, v3
	s_delay_alu instid0(VALU_DEP_2) | instskip(NEXT) | instid1(VALU_DEP_1)
	v_add_nc_u32_e32 v2, v4, v2
	v_mov_b32_dpp v4, v2 row_shr:2 row_mask:0xf bank_mask:0xf
	s_delay_alu instid0(VALU_DEP_1) | instskip(SKIP_1) | instid1(VALU_DEP_2)
	v_cndmask_b32_e32 v4, 0, v4, vcc_lo
	v_cmp_lt_u32_e32 vcc_lo, 3, v3
	v_add_nc_u32_e32 v2, v2, v4
	s_delay_alu instid0(VALU_DEP_1) | instskip(NEXT) | instid1(VALU_DEP_1)
	v_mov_b32_dpp v4, v2 row_shr:4 row_mask:0xf bank_mask:0xf
	v_cndmask_b32_e32 v3, 0, v4, vcc_lo
	s_delay_alu instid0(VALU_DEP_1)
	v_add_nc_u32_e32 v2, v2, v3
	ds_store_b32 v33, v2
.LBB996_43:
	s_or_b32 exec_lo, exec_lo, s7
	v_cmp_gt_u32_e32 vcc_lo, 32, v0
	s_mov_b32 s21, exec_lo
	s_waitcnt lgkmcnt(0)
	s_barrier
	buffer_gl0_inv
                                        ; implicit-def: $vgpr8
	v_cmpx_lt_u32_e32 31, v0
	s_cbranch_execz .LBB996_45
; %bb.44:
	v_lshl_add_u32 v2, v54, 2, -4
	ds_load_b32 v8, v2
	s_waitcnt lgkmcnt(0)
	v_add_nc_u32_e32 v1, v8, v1
.LBB996_45:
	s_or_b32 exec_lo, exec_lo, s21
	v_add_nc_u32_e32 v2, -1, v53
	s_delay_alu instid0(VALU_DEP_1) | instskip(NEXT) | instid1(VALU_DEP_1)
	v_cmp_gt_i32_e64 s7, 0, v2
	v_cndmask_b32_e64 v2, v2, v53, s7
	v_cmp_eq_u32_e64 s7, 0, v53
	s_delay_alu instid0(VALU_DEP_2)
	v_lshlrev_b32_e32 v2, 2, v2
	ds_bpermute_b32 v9, v2, v1
	s_and_saveexec_b32 s21, vcc_lo
	s_cbranch_execz .LBB996_68
; %bb.46:
	v_mov_b32_e32 v4, 0
	ds_load_b32 v1, v4 offset:28
	s_and_saveexec_b32 s22, s7
	s_cbranch_execz .LBB996_48
; %bb.47:
	s_add_i32 s24, s20, 32
	s_mov_b32 s25, 0
	v_mov_b32_e32 v2, 1
	s_lshl_b64 s[24:25], s[24:25], 3
	s_delay_alu instid0(SALU_CYCLE_1)
	s_add_u32 s24, s18, s24
	s_addc_u32 s25, s19, s25
	s_waitcnt lgkmcnt(0)
	global_store_b64 v4, v[1:2], s[24:25]
.LBB996_48:
	s_or_b32 exec_lo, exec_lo, s22
	v_xad_u32 v2, v53, -1, s20
	s_mov_b32 s23, 0
	s_mov_b32 s22, exec_lo
	s_delay_alu instid0(VALU_DEP_1) | instskip(NEXT) | instid1(VALU_DEP_1)
	v_add_nc_u32_e32 v3, 32, v2
	v_lshlrev_b64 v[3:4], 3, v[3:4]
	s_delay_alu instid0(VALU_DEP_1) | instskip(NEXT) | instid1(VALU_DEP_2)
	v_add_co_u32 v6, vcc_lo, s18, v3
	v_add_co_ci_u32_e32 v7, vcc_lo, s19, v4, vcc_lo
	global_load_b64 v[4:5], v[6:7], off glc
	s_waitcnt vmcnt(0)
	v_and_b32_e32 v3, 0xff, v5
	s_delay_alu instid0(VALU_DEP_1)
	v_cmpx_eq_u16_e32 0, v3
	s_cbranch_execz .LBB996_54
; %bb.49:
	s_mov_b32 s24, 1
	.p2align	6
.LBB996_50:                             ; =>This Loop Header: Depth=1
                                        ;     Child Loop BB996_51 Depth 2
	s_delay_alu instid0(SALU_CYCLE_1)
	s_max_u32 s25, s24, 1
.LBB996_51:                             ;   Parent Loop BB996_50 Depth=1
                                        ; =>  This Inner Loop Header: Depth=2
	s_delay_alu instid0(SALU_CYCLE_1)
	s_add_i32 s25, s25, -1
	s_sleep 1
	s_cmp_eq_u32 s25, 0
	s_cbranch_scc0 .LBB996_51
; %bb.52:                               ;   in Loop: Header=BB996_50 Depth=1
	global_load_b64 v[4:5], v[6:7], off glc
	s_cmp_lt_u32 s24, 32
	s_cselect_b32 s25, -1, 0
	s_delay_alu instid0(SALU_CYCLE_1) | instskip(SKIP_3) | instid1(VALU_DEP_1)
	s_cmp_lg_u32 s25, 0
	s_addc_u32 s24, s24, 0
	s_waitcnt vmcnt(0)
	v_and_b32_e32 v3, 0xff, v5
	v_cmp_ne_u16_e32 vcc_lo, 0, v3
	s_or_b32 s23, vcc_lo, s23
	s_delay_alu instid0(SALU_CYCLE_1)
	s_and_not1_b32 exec_lo, exec_lo, s23
	s_cbranch_execnz .LBB996_50
; %bb.53:
	s_or_b32 exec_lo, exec_lo, s23
.LBB996_54:
	s_delay_alu instid0(SALU_CYCLE_1)
	s_or_b32 exec_lo, exec_lo, s22
	v_cmp_ne_u32_e32 vcc_lo, 31, v53
	v_lshlrev_b32_e64 v11, v53, -1
	v_add_nc_u32_e32 v13, 2, v53
	v_add_nc_u32_e32 v15, 4, v53
	;; [unrolled: 1-line block ×3, first 2 shown]
	v_add_co_ci_u32_e32 v3, vcc_lo, 0, v53, vcc_lo
	v_add_nc_u32_e32 v58, 16, v53
	s_delay_alu instid0(VALU_DEP_2) | instskip(SKIP_2) | instid1(VALU_DEP_1)
	v_lshlrev_b32_e32 v10, 2, v3
	ds_bpermute_b32 v6, v10, v4
	v_and_b32_e32 v3, 0xff, v5
	v_cmp_eq_u16_e32 vcc_lo, 2, v3
	v_and_or_b32 v3, vcc_lo, v11, 0x80000000
	v_cmp_gt_u32_e32 vcc_lo, 30, v53
	s_delay_alu instid0(VALU_DEP_2) | instskip(SKIP_1) | instid1(VALU_DEP_2)
	v_ctz_i32_b32_e32 v3, v3
	v_cndmask_b32_e64 v7, 0, 1, vcc_lo
	v_cmp_lt_u32_e32 vcc_lo, v53, v3
	s_waitcnt lgkmcnt(0)
	s_delay_alu instid0(VALU_DEP_2) | instskip(NEXT) | instid1(VALU_DEP_1)
	v_dual_cndmask_b32 v6, 0, v6 :: v_dual_lshlrev_b32 v7, 1, v7
	v_add_lshl_u32 v12, v7, v53, 2
	v_cmp_gt_u32_e32 vcc_lo, 28, v53
	s_delay_alu instid0(VALU_DEP_3) | instskip(SKIP_4) | instid1(VALU_DEP_1)
	v_add_nc_u32_e32 v4, v6, v4
	v_cndmask_b32_e64 v7, 0, 1, vcc_lo
	v_cmp_le_u32_e32 vcc_lo, v13, v3
	ds_bpermute_b32 v6, v12, v4
	v_lshlrev_b32_e32 v7, 2, v7
	v_add_lshl_u32 v14, v7, v53, 2
	s_waitcnt lgkmcnt(0)
	v_cndmask_b32_e32 v6, 0, v6, vcc_lo
	v_cmp_gt_u32_e32 vcc_lo, 24, v53
	s_delay_alu instid0(VALU_DEP_2) | instskip(SKIP_4) | instid1(VALU_DEP_1)
	v_add_nc_u32_e32 v4, v4, v6
	v_cndmask_b32_e64 v7, 0, 1, vcc_lo
	v_cmp_le_u32_e32 vcc_lo, v15, v3
	ds_bpermute_b32 v6, v14, v4
	v_lshlrev_b32_e32 v7, 3, v7
	v_add_lshl_u32 v17, v7, v53, 2
	s_waitcnt lgkmcnt(0)
	v_cndmask_b32_e32 v6, 0, v6, vcc_lo
	v_cmp_gt_u32_e32 vcc_lo, 16, v53
	s_delay_alu instid0(VALU_DEP_2) | instskip(SKIP_4) | instid1(VALU_DEP_1)
	v_add_nc_u32_e32 v4, v4, v6
	v_cndmask_b32_e64 v7, 0, 1, vcc_lo
	v_cmp_le_u32_e32 vcc_lo, v56, v3
	ds_bpermute_b32 v6, v17, v4
	v_lshlrev_b32_e32 v7, 4, v7
	v_add_lshl_u32 v57, v7, v53, 2
	s_waitcnt lgkmcnt(0)
	v_cndmask_b32_e32 v6, 0, v6, vcc_lo
	v_cmp_le_u32_e32 vcc_lo, v58, v3
	s_delay_alu instid0(VALU_DEP_2) | instskip(SKIP_3) | instid1(VALU_DEP_1)
	v_add_nc_u32_e32 v4, v4, v6
	ds_bpermute_b32 v6, v57, v4
	s_waitcnt lgkmcnt(0)
	v_cndmask_b32_e32 v3, 0, v6, vcc_lo
	v_dual_mov_b32 v3, 0 :: v_dual_add_nc_u32 v4, v4, v3
	s_branch .LBB996_56
.LBB996_55:                             ;   in Loop: Header=BB996_56 Depth=1
	s_or_b32 exec_lo, exec_lo, s22
	ds_bpermute_b32 v7, v10, v4
	v_and_b32_e32 v6, 0xff, v5
	v_subrev_nc_u32_e32 v2, 32, v2
	s_delay_alu instid0(VALU_DEP_2) | instskip(SKIP_1) | instid1(VALU_DEP_1)
	v_cmp_eq_u16_e32 vcc_lo, 2, v6
	v_and_or_b32 v6, vcc_lo, v11, 0x80000000
	v_ctz_i32_b32_e32 v6, v6
	s_delay_alu instid0(VALU_DEP_1) | instskip(SKIP_3) | instid1(VALU_DEP_2)
	v_cmp_lt_u32_e32 vcc_lo, v53, v6
	s_waitcnt lgkmcnt(0)
	v_cndmask_b32_e32 v7, 0, v7, vcc_lo
	v_cmp_le_u32_e32 vcc_lo, v13, v6
	v_add_nc_u32_e32 v4, v7, v4
	ds_bpermute_b32 v7, v12, v4
	s_waitcnt lgkmcnt(0)
	v_cndmask_b32_e32 v7, 0, v7, vcc_lo
	v_cmp_le_u32_e32 vcc_lo, v15, v6
	s_delay_alu instid0(VALU_DEP_2) | instskip(SKIP_4) | instid1(VALU_DEP_2)
	v_add_nc_u32_e32 v4, v4, v7
	ds_bpermute_b32 v7, v14, v4
	s_waitcnt lgkmcnt(0)
	v_cndmask_b32_e32 v7, 0, v7, vcc_lo
	v_cmp_le_u32_e32 vcc_lo, v56, v6
	v_add_nc_u32_e32 v4, v4, v7
	ds_bpermute_b32 v7, v17, v4
	s_waitcnt lgkmcnt(0)
	v_cndmask_b32_e32 v7, 0, v7, vcc_lo
	v_cmp_le_u32_e32 vcc_lo, v58, v6
	s_delay_alu instid0(VALU_DEP_2) | instskip(SKIP_3) | instid1(VALU_DEP_1)
	v_add_nc_u32_e32 v4, v4, v7
	ds_bpermute_b32 v7, v57, v4
	s_waitcnt lgkmcnt(0)
	v_cndmask_b32_e32 v6, 0, v7, vcc_lo
	v_add3_u32 v4, v6, v16, v4
.LBB996_56:                             ; =>This Loop Header: Depth=1
                                        ;     Child Loop BB996_59 Depth 2
                                        ;       Child Loop BB996_60 Depth 3
	s_delay_alu instid0(VALU_DEP_1) | instskip(NEXT) | instid1(VALU_DEP_1)
	v_dual_mov_b32 v16, v4 :: v_dual_and_b32 v5, 0xff, v5
	v_cmp_ne_u16_e32 vcc_lo, 2, v5
	v_cndmask_b32_e64 v5, 0, 1, vcc_lo
	;;#ASMSTART
	;;#ASMEND
	s_delay_alu instid0(VALU_DEP_1)
	v_cmp_ne_u32_e32 vcc_lo, 0, v5
	s_cmp_lg_u32 vcc_lo, exec_lo
	s_cbranch_scc1 .LBB996_63
; %bb.57:                               ;   in Loop: Header=BB996_56 Depth=1
	v_lshlrev_b64 v[4:5], 3, v[2:3]
	s_mov_b32 s22, exec_lo
	s_delay_alu instid0(VALU_DEP_1) | instskip(NEXT) | instid1(VALU_DEP_2)
	v_add_co_u32 v6, vcc_lo, s18, v4
	v_add_co_ci_u32_e32 v7, vcc_lo, s19, v5, vcc_lo
	global_load_b64 v[4:5], v[6:7], off glc
	s_waitcnt vmcnt(0)
	v_and_b32_e32 v59, 0xff, v5
	s_delay_alu instid0(VALU_DEP_1)
	v_cmpx_eq_u16_e32 0, v59
	s_cbranch_execz .LBB996_55
; %bb.58:                               ;   in Loop: Header=BB996_56 Depth=1
	s_mov_b32 s24, 1
	s_mov_b32 s23, 0
	.p2align	6
.LBB996_59:                             ;   Parent Loop BB996_56 Depth=1
                                        ; =>  This Loop Header: Depth=2
                                        ;       Child Loop BB996_60 Depth 3
	s_max_u32 s25, s24, 1
.LBB996_60:                             ;   Parent Loop BB996_56 Depth=1
                                        ;     Parent Loop BB996_59 Depth=2
                                        ; =>    This Inner Loop Header: Depth=3
	s_delay_alu instid0(SALU_CYCLE_1)
	s_add_i32 s25, s25, -1
	s_sleep 1
	s_cmp_eq_u32 s25, 0
	s_cbranch_scc0 .LBB996_60
; %bb.61:                               ;   in Loop: Header=BB996_59 Depth=2
	global_load_b64 v[4:5], v[6:7], off glc
	s_cmp_lt_u32 s24, 32
	s_cselect_b32 s25, -1, 0
	s_delay_alu instid0(SALU_CYCLE_1) | instskip(SKIP_3) | instid1(VALU_DEP_1)
	s_cmp_lg_u32 s25, 0
	s_addc_u32 s24, s24, 0
	s_waitcnt vmcnt(0)
	v_and_b32_e32 v59, 0xff, v5
	v_cmp_ne_u16_e32 vcc_lo, 0, v59
	s_or_b32 s23, vcc_lo, s23
	s_delay_alu instid0(SALU_CYCLE_1)
	s_and_not1_b32 exec_lo, exec_lo, s23
	s_cbranch_execnz .LBB996_59
; %bb.62:                               ;   in Loop: Header=BB996_56 Depth=1
	s_or_b32 exec_lo, exec_lo, s23
	s_branch .LBB996_55
.LBB996_63:                             ;   in Loop: Header=BB996_56 Depth=1
                                        ; implicit-def: $vgpr4
                                        ; implicit-def: $vgpr5
	s_cbranch_execz .LBB996_56
; %bb.64:
	s_and_saveexec_b32 s22, s7
	s_cbranch_execz .LBB996_66
; %bb.65:
	s_add_i32 s24, s20, 32
	s_mov_b32 s25, 0
	v_dual_mov_b32 v3, 2 :: v_dual_add_nc_u32 v2, v16, v1
	s_lshl_b64 s[24:25], s[24:25], 3
	v_mov_b32_e32 v4, 0
	v_add_nc_u32_e64 v5, 0x3400, 0
	s_add_u32 s24, s18, s24
	s_addc_u32 s25, s19, s25
	global_store_b64 v4, v[2:3], s[24:25]
	ds_store_2addr_b32 v5, v1, v16 offset1:2
.LBB996_66:
	s_or_b32 exec_lo, exec_lo, s22
	s_delay_alu instid0(SALU_CYCLE_1)
	s_and_b32 exec_lo, exec_lo, s2
	s_cbranch_execz .LBB996_68
; %bb.67:
	v_mov_b32_e32 v1, 0
	ds_store_b32 v1, v16 offset:28
.LBB996_68:
	s_or_b32 exec_lo, exec_lo, s21
	v_mov_b32_e32 v1, 0
	s_waitcnt lgkmcnt(0)
	s_waitcnt_vscnt null, 0x0
	s_barrier
	buffer_gl0_inv
	v_cndmask_b32_e64 v2, v9, v8, s7
	ds_load_b32 v1, v1 offset:28
	v_add_nc_u32_e64 v11, 0x3400, 0
	s_waitcnt lgkmcnt(0)
	s_barrier
	v_cndmask_b32_e64 v2, v2, 0, s2
	buffer_gl0_inv
	ds_load_2addr_b32 v[16:17], v11 offset1:2
	v_add_nc_u32_e32 v1, v1, v2
	s_delay_alu instid0(VALU_DEP_1) | instskip(NEXT) | instid1(VALU_DEP_1)
	v_add_nc_u32_e32 v2, v1, v44
	v_add_nc_u32_e32 v3, v2, v45
	s_delay_alu instid0(VALU_DEP_1) | instskip(NEXT) | instid1(VALU_DEP_1)
	v_add_nc_u32_e32 v4, v3, v46
	;; [unrolled: 3-line block ×6, first 2 shown]
	v_add_nc_u32_e32 v13, v12, v39
	s_branch .LBB996_79
.LBB996_69:
                                        ; implicit-def: $vgpr17
                                        ; implicit-def: $vgpr1_vgpr2_vgpr3_vgpr4_vgpr5_vgpr6_vgpr7_vgpr8_vgpr9_vgpr10_vgpr11_vgpr12_vgpr13_vgpr14_vgpr15_vgpr16
	s_and_b32 vcc_lo, exec_lo, s7
	s_cbranch_vccz .LBB996_79
; %bb.70:
	s_delay_alu instid0(VALU_DEP_1) | instskip(NEXT) | instid1(VALU_DEP_1)
	v_mov_b32_dpp v1, v55 row_shr:1 row_mask:0xf bank_mask:0xf
	v_cndmask_b32_e64 v1, v1, 0, s6
	s_delay_alu instid0(VALU_DEP_1) | instskip(NEXT) | instid1(VALU_DEP_1)
	v_add_nc_u32_e32 v1, v1, v55
	v_mov_b32_dpp v2, v1 row_shr:2 row_mask:0xf bank_mask:0xf
	s_delay_alu instid0(VALU_DEP_1) | instskip(NEXT) | instid1(VALU_DEP_1)
	v_cndmask_b32_e64 v2, 0, v2, s5
	v_add_nc_u32_e32 v1, v1, v2
	s_delay_alu instid0(VALU_DEP_1) | instskip(NEXT) | instid1(VALU_DEP_1)
	v_mov_b32_dpp v2, v1 row_shr:4 row_mask:0xf bank_mask:0xf
	v_cndmask_b32_e64 v2, 0, v2, s4
	s_delay_alu instid0(VALU_DEP_1) | instskip(NEXT) | instid1(VALU_DEP_1)
	v_add_nc_u32_e32 v1, v1, v2
	v_mov_b32_dpp v2, v1 row_shr:8 row_mask:0xf bank_mask:0xf
	s_delay_alu instid0(VALU_DEP_1) | instskip(NEXT) | instid1(VALU_DEP_1)
	v_cndmask_b32_e64 v2, 0, v2, s3
	v_add_nc_u32_e32 v1, v1, v2
	ds_swizzle_b32 v2, v1 offset:swizzle(BROADCAST,32,15)
	s_waitcnt lgkmcnt(0)
	v_cndmask_b32_e64 v2, v2, 0, s1
	s_delay_alu instid0(VALU_DEP_1)
	v_add_nc_u32_e32 v1, v1, v2
	s_and_saveexec_b32 s1, s0
	s_cbranch_execz .LBB996_72
; %bb.71:
	v_lshlrev_b32_e32 v2, 2, v54
	ds_store_b32 v2, v1
.LBB996_72:
	s_or_b32 exec_lo, exec_lo, s1
	s_delay_alu instid0(SALU_CYCLE_1)
	s_mov_b32 s0, exec_lo
	s_waitcnt lgkmcnt(0)
	s_barrier
	buffer_gl0_inv
	v_cmpx_gt_u32_e32 8, v0
	s_cbranch_execz .LBB996_74
; %bb.73:
	ds_load_b32 v2, v33
	s_waitcnt lgkmcnt(0)
	v_mov_b32_dpp v4, v2 row_shr:1 row_mask:0xf bank_mask:0xf
	v_and_b32_e32 v3, 7, v53
	s_delay_alu instid0(VALU_DEP_1) | instskip(NEXT) | instid1(VALU_DEP_3)
	v_cmp_ne_u32_e32 vcc_lo, 0, v3
	v_cndmask_b32_e32 v4, 0, v4, vcc_lo
	v_cmp_lt_u32_e32 vcc_lo, 1, v3
	s_delay_alu instid0(VALU_DEP_2) | instskip(NEXT) | instid1(VALU_DEP_1)
	v_add_nc_u32_e32 v2, v4, v2
	v_mov_b32_dpp v4, v2 row_shr:2 row_mask:0xf bank_mask:0xf
	s_delay_alu instid0(VALU_DEP_1) | instskip(SKIP_1) | instid1(VALU_DEP_2)
	v_cndmask_b32_e32 v4, 0, v4, vcc_lo
	v_cmp_lt_u32_e32 vcc_lo, 3, v3
	v_add_nc_u32_e32 v2, v2, v4
	s_delay_alu instid0(VALU_DEP_1) | instskip(NEXT) | instid1(VALU_DEP_1)
	v_mov_b32_dpp v4, v2 row_shr:4 row_mask:0xf bank_mask:0xf
	v_cndmask_b32_e32 v3, 0, v4, vcc_lo
	s_delay_alu instid0(VALU_DEP_1)
	v_add_nc_u32_e32 v2, v2, v3
	ds_store_b32 v33, v2
.LBB996_74:
	s_or_b32 exec_lo, exec_lo, s0
	v_dual_mov_b32 v3, 0 :: v_dual_mov_b32 v2, 0
	s_mov_b32 s0, exec_lo
	s_waitcnt lgkmcnt(0)
	s_barrier
	buffer_gl0_inv
	v_cmpx_lt_u32_e32 31, v0
	s_cbranch_execz .LBB996_76
; %bb.75:
	v_lshl_add_u32 v2, v54, 2, -4
	ds_load_b32 v2, v2
.LBB996_76:
	s_or_b32 exec_lo, exec_lo, s0
	v_add_nc_u32_e32 v4, -1, v53
	s_waitcnt lgkmcnt(0)
	v_add_nc_u32_e32 v1, v2, v1
	ds_load_b32 v16, v3 offset:28
	v_cmp_gt_i32_e32 vcc_lo, 0, v4
	v_cndmask_b32_e32 v4, v4, v53, vcc_lo
	s_delay_alu instid0(VALU_DEP_1)
	v_lshlrev_b32_e32 v4, 2, v4
	ds_bpermute_b32 v1, v4, v1
	s_and_saveexec_b32 s0, s2
	s_cbranch_execz .LBB996_78
; %bb.77:
	v_mov_b32_e32 v3, 0
	v_mov_b32_e32 v17, 2
	s_waitcnt lgkmcnt(1)
	global_store_b64 v3, v[16:17], s[18:19] offset:256
.LBB996_78:
	s_or_b32 exec_lo, exec_lo, s0
	v_cmp_eq_u32_e32 vcc_lo, 0, v53
	s_waitcnt lgkmcnt(0)
	s_waitcnt_vscnt null, 0x0
	s_barrier
	buffer_gl0_inv
	v_mov_b32_e32 v17, 0
	v_cndmask_b32_e32 v1, v1, v2, vcc_lo
	s_delay_alu instid0(VALU_DEP_1) | instskip(NEXT) | instid1(VALU_DEP_1)
	v_cndmask_b32_e64 v1, v1, 0, s2
	v_add_nc_u32_e32 v2, v1, v44
	s_delay_alu instid0(VALU_DEP_1) | instskip(NEXT) | instid1(VALU_DEP_1)
	v_add_nc_u32_e32 v3, v2, v45
	v_add_nc_u32_e32 v4, v3, v46
	s_delay_alu instid0(VALU_DEP_1) | instskip(NEXT) | instid1(VALU_DEP_1)
	v_add_nc_u32_e32 v5, v4, v43
	;; [unrolled: 3-line block ×5, first 2 shown]
	v_add_nc_u32_e32 v12, v11, v52
	s_delay_alu instid0(VALU_DEP_1)
	v_add_nc_u32_e32 v13, v12, v39
.LBB996_79:
	s_waitcnt lgkmcnt(0)
	v_sub_nc_u32_e32 v1, v1, v17
	v_sub_nc_u32_e32 v2, v2, v17
	v_add_nc_u32_e32 v36, v16, v36
	v_lshrrev_b32_e32 v47, 8, v42
	v_lshrrev_b32_e32 v46, 16, v42
	v_sub_nc_u32_e32 v4, v4, v17
	v_sub_nc_u32_e32 v3, v3, v17
	;; [unrolled: 1-line block ×3, first 2 shown]
	v_and_b32_e32 v42, 1, v42
	v_and_b32_e32 v47, 1, v47
	;; [unrolled: 1-line block ×3, first 2 shown]
	v_lshrrev_b32_e32 v45, 8, v40
	v_lshrrev_b32_e32 v44, 16, v40
	v_cmp_eq_u32_e32 vcc_lo, 1, v42
	v_and_b32_e32 v42, 1, v46
	v_sub_nc_u32_e32 v46, v36, v2
	v_lshrrev_b32_e32 v15, 8, v38
	v_lshrrev_b32_e32 v14, 16, v38
	v_cndmask_b32_e32 v1, v48, v1, vcc_lo
	v_cmp_eq_u32_e32 vcc_lo, 1, v47
	v_add_nc_u32_e32 v46, 1, v46
	s_delay_alu instid0(VALU_DEP_3)
	v_lshlrev_b32_e32 v1, 2, v1
	ds_store_b32 v1, v30
	v_cndmask_b32_e32 v1, v46, v2, vcc_lo
	v_sub_nc_u32_e32 v48, v36, v3
	v_sub_nc_u32_e32 v49, v36, v4
	v_cmp_eq_u32_e32 vcc_lo, 1, v42
	v_or_b32_e32 v30, 0x300, v0
	v_lshlrev_b32_e32 v1, 2, v1
	v_add_nc_u32_e32 v48, 2, v48
	v_add_nc_u32_e32 v49, 3, v49
	ds_store_b32 v1, v31
	v_cndmask_b32_e32 v2, v48, v3, vcc_lo
	v_cmp_eq_u32_e32 vcc_lo, 1, v43
	v_or_b32_e32 v31, 0x200, v0
	s_delay_alu instid0(VALU_DEP_3) | instskip(SKIP_2) | instid1(VALU_DEP_3)
	v_dual_cndmask_b32 v3, v49, v4 :: v_dual_lshlrev_b32 v2, 2, v2
	v_sub_nc_u32_e32 v4, v5, v17
	v_sub_nc_u32_e32 v5, v6, v17
	v_lshlrev_b32_e32 v3, 2, v3
	s_delay_alu instid0(VALU_DEP_3) | instskip(NEXT) | instid1(VALU_DEP_3)
	v_sub_nc_u32_e32 v1, v36, v4
	v_sub_nc_u32_e32 v6, v36, v5
	ds_store_b32 v2, v28
	ds_store_b32 v3, v29
	v_and_b32_e32 v2, 1, v40
	v_add_nc_u32_e32 v1, 4, v1
	v_add_nc_u32_e32 v3, 5, v6
	v_sub_nc_u32_e32 v6, v7, v17
	v_and_b32_e32 v7, 1, v45
	v_cmp_eq_u32_e32 vcc_lo, 1, v2
	v_sub_nc_u32_e32 v2, v8, v17
	v_and_b32_e32 v8, 1, v41
	v_or_b32_e32 v29, 0x400, v0
	v_or_b32_e32 v28, 0x500, v0
	v_cndmask_b32_e32 v1, v1, v4, vcc_lo
	v_sub_nc_u32_e32 v4, v36, v6
	v_cmp_eq_u32_e32 vcc_lo, 1, v7
	v_and_b32_e32 v7, 1, v44
	s_delay_alu instid0(VALU_DEP_4) | instskip(NEXT) | instid1(VALU_DEP_4)
	v_lshlrev_b32_e32 v1, 2, v1
	v_dual_cndmask_b32 v3, v3, v5 :: v_dual_add_nc_u32 v4, 6, v4
	v_sub_nc_u32_e32 v5, v36, v2
	s_delay_alu instid0(VALU_DEP_4) | instskip(SKIP_2) | instid1(VALU_DEP_4)
	v_cmp_eq_u32_e32 vcc_lo, 1, v7
	v_sub_nc_u32_e32 v7, v13, v17
	v_add_co_u32 v13, s0, s16, v32
	v_dual_cndmask_b32 v4, v4, v6 :: v_dual_add_nc_u32 v5, 7, v5
	v_cmp_eq_u32_e32 vcc_lo, 1, v8
	v_sub_nc_u32_e32 v6, v9, v17
	v_lshlrev_b32_e32 v3, 2, v3
	ds_store_b32 v1, v26
	ds_store_b32 v3, v27
	v_cndmask_b32_e32 v2, v5, v2, vcc_lo
	v_sub_nc_u32_e32 v1, v36, v6
	v_lshlrev_b32_e32 v3, 2, v4
	v_and_b32_e32 v5, 1, v38
	v_sub_nc_u32_e32 v4, v10, v17
	v_lshlrev_b32_e32 v2, 2, v2
	v_add_nc_u32_e32 v1, 8, v1
	ds_store_b32 v3, v24
	ds_store_b32 v2, v25
	v_cmp_eq_u32_e32 vcc_lo, 1, v5
	v_sub_nc_u32_e32 v3, v11, v17
	v_sub_nc_u32_e32 v2, v36, v4
	;; [unrolled: 1-line block ×3, first 2 shown]
	v_dual_cndmask_b32 v1, v1, v6 :: v_dual_and_b32 v10, 1, v39
	v_and_b32_e32 v6, 1, v15
	v_sub_nc_u32_e32 v8, v36, v3
	v_add_nc_u32_e32 v2, 9, v2
	v_sub_nc_u32_e32 v9, v36, v5
	v_and_b32_e32 v11, 1, v37
	v_cmp_eq_u32_e32 vcc_lo, 1, v6
	v_add_nc_u32_e32 v6, 10, v8
	v_and_b32_e32 v8, 1, v14
	v_add_nc_u32_e32 v9, 11, v9
	v_dual_cndmask_b32 v2, v2, v4 :: v_dual_lshlrev_b32 v1, 2, v1
	v_sub_nc_u32_e32 v4, v36, v7
	s_delay_alu instid0(VALU_DEP_4) | instskip(SKIP_1) | instid1(VALU_DEP_4)
	v_cmp_eq_u32_e32 vcc_lo, 1, v8
	v_add_co_ci_u32_e64 v14, null, s17, 0, s0
	v_lshlrev_b32_e32 v2, 2, v2
	s_delay_alu instid0(VALU_DEP_4)
	v_dual_cndmask_b32 v3, v6, v3 :: v_dual_add_nc_u32 v4, 12, v4
	v_cmp_eq_u32_e32 vcc_lo, 1, v10
	v_or_b32_e32 v27, 0x600, v0
	v_or_b32_e32 v26, 0x700, v0
	;; [unrolled: 1-line block ×3, first 2 shown]
	v_lshlrev_b32_e32 v3, 2, v3
	v_cndmask_b32_e32 v5, v9, v5, vcc_lo
	v_cmp_eq_u32_e32 vcc_lo, 1, v11
	v_or_b32_e32 v24, 0x900, v0
	s_delay_alu instid0(VALU_DEP_3) | instskip(SKIP_2) | instid1(VALU_DEP_3)
	v_dual_cndmask_b32 v4, v4, v7 :: v_dual_lshlrev_b32 v5, 2, v5
	v_sub_co_u32 v13, vcc_lo, s14, v13
	v_sub_co_ci_u32_e32 v14, vcc_lo, s15, v14, vcc_lo
	v_lshlrev_b32_e32 v4, 2, v4
	ds_store_b32 v1, v22
	ds_store_b32 v2, v23
	;; [unrolled: 1-line block ×5, first 2 shown]
	s_waitcnt lgkmcnt(0)
	s_barrier
	buffer_gl0_inv
	ds_load_2addr_stride64_b32 v[11:12], v33 offset1:4
	ds_load_2addr_stride64_b32 v[9:10], v33 offset0:8 offset1:12
	ds_load_2addr_stride64_b32 v[7:8], v33 offset0:16 offset1:20
	;; [unrolled: 1-line block ×5, first 2 shown]
	ds_load_b32 v20, v33 offset:12288
	v_add_co_u32 v15, vcc_lo, v18, v17
	v_add_co_ci_u32_e32 v17, vcc_lo, 0, v19, vcc_lo
	v_add_co_u32 v13, vcc_lo, v13, v16
	v_add_co_ci_u32_e32 v14, vcc_lo, 0, v14, vcc_lo
	v_cmp_ne_u32_e32 vcc_lo, 1, v34
	s_delay_alu instid0(VALU_DEP_3)
	v_add_co_u32 v18, s0, v13, v15
	v_or_b32_e32 v35, 0x100, v0
	v_or_b32_e32 v23, 0xa00, v0
	;; [unrolled: 1-line block ×4, first 2 shown]
	v_add_co_ci_u32_e64 v19, s0, v14, v17, s0
	s_mov_b32 s0, 0
	s_cbranch_vccnz .LBB996_136
; %bb.80:
	s_mov_b32 s0, exec_lo
                                        ; implicit-def: $vgpr13_vgpr14
	v_cmpx_ge_u32_e64 v0, v16
	s_xor_b32 s0, exec_lo, s0
; %bb.81:
	v_not_b32_e32 v13, v0
	s_delay_alu instid0(VALU_DEP_1) | instskip(SKIP_1) | instid1(VALU_DEP_2)
	v_ashrrev_i32_e32 v14, 31, v13
	v_add_co_u32 v13, vcc_lo, v18, v13
	v_add_co_ci_u32_e32 v14, vcc_lo, v19, v14, vcc_lo
; %bb.82:
	s_and_not1_saveexec_b32 s0, s0
; %bb.83:
	v_add_co_u32 v13, vcc_lo, v15, v0
	v_add_co_ci_u32_e32 v14, vcc_lo, 0, v17, vcc_lo
; %bb.84:
	s_or_b32 exec_lo, exec_lo, s0
	s_delay_alu instid0(VALU_DEP_1) | instskip(SKIP_1) | instid1(VALU_DEP_1)
	v_lshlrev_b64 v[13:14], 2, v[13:14]
	s_mov_b32 s0, exec_lo
	v_add_co_u32 v13, vcc_lo, s12, v13
	s_delay_alu instid0(VALU_DEP_2)
	v_add_co_ci_u32_e32 v14, vcc_lo, s13, v14, vcc_lo
	s_waitcnt lgkmcnt(6)
	global_store_b32 v[13:14], v11, off
                                        ; implicit-def: $vgpr13_vgpr14
	v_cmpx_ge_u32_e64 v35, v16
	s_xor_b32 s0, exec_lo, s0
; %bb.85:
	v_xor_b32_e32 v13, 0xfffffeff, v0
	s_delay_alu instid0(VALU_DEP_1) | instskip(SKIP_1) | instid1(VALU_DEP_2)
	v_ashrrev_i32_e32 v14, 31, v13
	v_add_co_u32 v13, vcc_lo, v18, v13
	v_add_co_ci_u32_e32 v14, vcc_lo, v19, v14, vcc_lo
; %bb.86:
	s_and_not1_saveexec_b32 s0, s0
; %bb.87:
	v_add_co_u32 v13, vcc_lo, v15, v35
	v_add_co_ci_u32_e32 v14, vcc_lo, 0, v17, vcc_lo
; %bb.88:
	s_or_b32 exec_lo, exec_lo, s0
	s_delay_alu instid0(VALU_DEP_1) | instskip(SKIP_1) | instid1(VALU_DEP_1)
	v_lshlrev_b64 v[13:14], 2, v[13:14]
	s_mov_b32 s0, exec_lo
	v_add_co_u32 v13, vcc_lo, s12, v13
	s_delay_alu instid0(VALU_DEP_2)
	v_add_co_ci_u32_e32 v14, vcc_lo, s13, v14, vcc_lo
	global_store_b32 v[13:14], v12, off
                                        ; implicit-def: $vgpr13_vgpr14
	v_cmpx_ge_u32_e64 v31, v16
	s_xor_b32 s0, exec_lo, s0
; %bb.89:
	v_xor_b32_e32 v13, 0xfffffdff, v0
	s_delay_alu instid0(VALU_DEP_1) | instskip(SKIP_1) | instid1(VALU_DEP_2)
	v_ashrrev_i32_e32 v14, 31, v13
	v_add_co_u32 v13, vcc_lo, v18, v13
	v_add_co_ci_u32_e32 v14, vcc_lo, v19, v14, vcc_lo
; %bb.90:
	s_and_not1_saveexec_b32 s0, s0
; %bb.91:
	v_add_co_u32 v13, vcc_lo, v15, v31
	v_add_co_ci_u32_e32 v14, vcc_lo, 0, v17, vcc_lo
; %bb.92:
	s_or_b32 exec_lo, exec_lo, s0
	s_delay_alu instid0(VALU_DEP_1) | instskip(SKIP_1) | instid1(VALU_DEP_1)
	v_lshlrev_b64 v[13:14], 2, v[13:14]
	s_mov_b32 s0, exec_lo
	v_add_co_u32 v13, vcc_lo, s12, v13
	s_delay_alu instid0(VALU_DEP_2)
	v_add_co_ci_u32_e32 v14, vcc_lo, s13, v14, vcc_lo
	s_waitcnt lgkmcnt(5)
	global_store_b32 v[13:14], v9, off
                                        ; implicit-def: $vgpr13_vgpr14
	v_cmpx_ge_u32_e64 v30, v16
	s_xor_b32 s0, exec_lo, s0
; %bb.93:
	v_xor_b32_e32 v13, 0xfffffcff, v0
	s_delay_alu instid0(VALU_DEP_1) | instskip(SKIP_1) | instid1(VALU_DEP_2)
	v_ashrrev_i32_e32 v14, 31, v13
	v_add_co_u32 v13, vcc_lo, v18, v13
	v_add_co_ci_u32_e32 v14, vcc_lo, v19, v14, vcc_lo
; %bb.94:
	s_and_not1_saveexec_b32 s0, s0
; %bb.95:
	v_add_co_u32 v13, vcc_lo, v15, v30
	v_add_co_ci_u32_e32 v14, vcc_lo, 0, v17, vcc_lo
; %bb.96:
	s_or_b32 exec_lo, exec_lo, s0
	s_delay_alu instid0(VALU_DEP_1) | instskip(SKIP_1) | instid1(VALU_DEP_1)
	v_lshlrev_b64 v[13:14], 2, v[13:14]
	s_mov_b32 s0, exec_lo
	v_add_co_u32 v13, vcc_lo, s12, v13
	s_delay_alu instid0(VALU_DEP_2)
	v_add_co_ci_u32_e32 v14, vcc_lo, s13, v14, vcc_lo
	global_store_b32 v[13:14], v10, off
                                        ; implicit-def: $vgpr13_vgpr14
	v_cmpx_ge_u32_e64 v29, v16
	s_xor_b32 s0, exec_lo, s0
; %bb.97:
	v_xor_b32_e32 v13, 0xfffffbff, v0
	;; [unrolled: 47-line block ×6, first 2 shown]
	s_delay_alu instid0(VALU_DEP_1) | instskip(SKIP_1) | instid1(VALU_DEP_2)
	v_ashrrev_i32_e32 v14, 31, v13
	v_add_co_u32 v13, vcc_lo, v18, v13
	v_add_co_ci_u32_e32 v14, vcc_lo, v19, v14, vcc_lo
; %bb.130:
	s_and_not1_saveexec_b32 s0, s0
; %bb.131:
	v_add_co_u32 v13, vcc_lo, v15, v21
	v_add_co_ci_u32_e32 v14, vcc_lo, 0, v17, vcc_lo
; %bb.132:
	s_or_b32 exec_lo, exec_lo, s0
	s_mov_b32 s0, -1
.LBB996_133:
	s_delay_alu instid0(SALU_CYCLE_1)
	s_and_saveexec_b32 s1, s0
	s_cbranch_execz .LBB996_216
.LBB996_134:
	s_waitcnt lgkmcnt(1)
	v_lshlrev_b64 v[0:1], 2, v[13:14]
	s_delay_alu instid0(VALU_DEP_1) | instskip(NEXT) | instid1(VALU_DEP_2)
	v_add_co_u32 v0, vcc_lo, s12, v0
	v_add_co_ci_u32_e32 v1, vcc_lo, s13, v1, vcc_lo
	s_waitcnt lgkmcnt(0)
	global_store_b32 v[0:1], v20, off
	s_or_b32 exec_lo, exec_lo, s1
	s_and_b32 s0, s2, s10
	s_delay_alu instid0(SALU_CYCLE_1)
	s_and_saveexec_b32 s1, s0
	s_cbranch_execnz .LBB996_217
.LBB996_135:
	s_nop 0
	s_sendmsg sendmsg(MSG_DEALLOC_VGPRS)
	s_endpgm
.LBB996_136:
                                        ; implicit-def: $vgpr13_vgpr14
	s_cbranch_execz .LBB996_133
; %bb.137:
	s_mov_b32 s1, exec_lo
	v_cmpx_gt_u32_e64 s11, v0
	s_cbranch_execz .LBB996_173
; %bb.138:
	s_mov_b32 s3, exec_lo
                                        ; implicit-def: $vgpr13_vgpr14
	v_cmpx_ge_u32_e64 v0, v16
	s_xor_b32 s3, exec_lo, s3
; %bb.139:
	v_not_b32_e32 v13, v0
	s_delay_alu instid0(VALU_DEP_1) | instskip(SKIP_1) | instid1(VALU_DEP_2)
	v_ashrrev_i32_e32 v14, 31, v13
	v_add_co_u32 v13, vcc_lo, v18, v13
	v_add_co_ci_u32_e32 v14, vcc_lo, v19, v14, vcc_lo
; %bb.140:
	s_and_not1_saveexec_b32 s3, s3
; %bb.141:
	v_add_co_u32 v13, vcc_lo, v15, v0
	v_add_co_ci_u32_e32 v14, vcc_lo, 0, v17, vcc_lo
; %bb.142:
	s_or_b32 exec_lo, exec_lo, s3
	s_delay_alu instid0(VALU_DEP_1) | instskip(NEXT) | instid1(VALU_DEP_1)
	v_lshlrev_b64 v[13:14], 2, v[13:14]
	v_add_co_u32 v13, vcc_lo, s12, v13
	s_delay_alu instid0(VALU_DEP_2) | instskip(SKIP_3) | instid1(SALU_CYCLE_1)
	v_add_co_ci_u32_e32 v14, vcc_lo, s13, v14, vcc_lo
	s_waitcnt lgkmcnt(6)
	global_store_b32 v[13:14], v11, off
	s_or_b32 exec_lo, exec_lo, s1
	s_mov_b32 s1, exec_lo
	v_cmpx_gt_u32_e64 s11, v35
	s_cbranch_execnz .LBB996_174
.LBB996_143:
	s_or_b32 exec_lo, exec_lo, s1
	s_delay_alu instid0(SALU_CYCLE_1)
	s_mov_b32 s1, exec_lo
	v_cmpx_gt_u32_e64 s11, v31
	s_cbranch_execz .LBB996_179
.LBB996_144:
	s_mov_b32 s3, exec_lo
                                        ; implicit-def: $vgpr11_vgpr12
	v_cmpx_ge_u32_e64 v31, v16
	s_xor_b32 s3, exec_lo, s3
	s_cbranch_execz .LBB996_146
; %bb.145:
	s_waitcnt lgkmcnt(6)
	v_xor_b32_e32 v11, 0xfffffdff, v0
                                        ; implicit-def: $vgpr31
	s_delay_alu instid0(VALU_DEP_1) | instskip(SKIP_1) | instid1(VALU_DEP_2)
	v_ashrrev_i32_e32 v12, 31, v11
	v_add_co_u32 v11, vcc_lo, v18, v11
	v_add_co_ci_u32_e32 v12, vcc_lo, v19, v12, vcc_lo
.LBB996_146:
	s_and_not1_saveexec_b32 s3, s3
	s_cbranch_execz .LBB996_148
; %bb.147:
	s_waitcnt lgkmcnt(6)
	v_add_co_u32 v11, vcc_lo, v15, v31
	v_add_co_ci_u32_e32 v12, vcc_lo, 0, v17, vcc_lo
.LBB996_148:
	s_or_b32 exec_lo, exec_lo, s3
	s_waitcnt lgkmcnt(6)
	s_delay_alu instid0(VALU_DEP_1) | instskip(NEXT) | instid1(VALU_DEP_1)
	v_lshlrev_b64 v[11:12], 2, v[11:12]
	v_add_co_u32 v11, vcc_lo, s12, v11
	s_delay_alu instid0(VALU_DEP_2) | instskip(SKIP_3) | instid1(SALU_CYCLE_1)
	v_add_co_ci_u32_e32 v12, vcc_lo, s13, v12, vcc_lo
	s_waitcnt lgkmcnt(5)
	global_store_b32 v[11:12], v9, off
	s_or_b32 exec_lo, exec_lo, s1
	s_mov_b32 s1, exec_lo
	v_cmpx_gt_u32_e64 s11, v30
	s_cbranch_execnz .LBB996_180
.LBB996_149:
	s_or_b32 exec_lo, exec_lo, s1
	s_delay_alu instid0(SALU_CYCLE_1)
	s_mov_b32 s1, exec_lo
	v_cmpx_gt_u32_e64 s11, v29
	s_cbranch_execz .LBB996_185
.LBB996_150:
	s_mov_b32 s3, exec_lo
                                        ; implicit-def: $vgpr9_vgpr10
	v_cmpx_ge_u32_e64 v29, v16
	s_xor_b32 s3, exec_lo, s3
	s_cbranch_execz .LBB996_152
; %bb.151:
	s_waitcnt lgkmcnt(5)
	v_xor_b32_e32 v9, 0xfffffbff, v0
                                        ; implicit-def: $vgpr29
	s_delay_alu instid0(VALU_DEP_1) | instskip(SKIP_1) | instid1(VALU_DEP_2)
	v_ashrrev_i32_e32 v10, 31, v9
	v_add_co_u32 v9, vcc_lo, v18, v9
	v_add_co_ci_u32_e32 v10, vcc_lo, v19, v10, vcc_lo
.LBB996_152:
	s_and_not1_saveexec_b32 s3, s3
	s_cbranch_execz .LBB996_154
; %bb.153:
	s_waitcnt lgkmcnt(5)
	v_add_co_u32 v9, vcc_lo, v15, v29
	v_add_co_ci_u32_e32 v10, vcc_lo, 0, v17, vcc_lo
.LBB996_154:
	s_or_b32 exec_lo, exec_lo, s3
	s_waitcnt lgkmcnt(5)
	s_delay_alu instid0(VALU_DEP_1) | instskip(NEXT) | instid1(VALU_DEP_1)
	v_lshlrev_b64 v[9:10], 2, v[9:10]
	v_add_co_u32 v9, vcc_lo, s12, v9
	s_delay_alu instid0(VALU_DEP_2) | instskip(SKIP_3) | instid1(SALU_CYCLE_1)
	v_add_co_ci_u32_e32 v10, vcc_lo, s13, v10, vcc_lo
	s_waitcnt lgkmcnt(4)
	global_store_b32 v[9:10], v7, off
	s_or_b32 exec_lo, exec_lo, s1
	s_mov_b32 s1, exec_lo
	v_cmpx_gt_u32_e64 s11, v28
	s_cbranch_execnz .LBB996_186
.LBB996_155:
	s_or_b32 exec_lo, exec_lo, s1
	s_delay_alu instid0(SALU_CYCLE_1)
	s_mov_b32 s1, exec_lo
	v_cmpx_gt_u32_e64 s11, v27
	s_cbranch_execz .LBB996_191
.LBB996_156:
	s_mov_b32 s3, exec_lo
                                        ; implicit-def: $vgpr7_vgpr8
	v_cmpx_ge_u32_e64 v27, v16
	s_xor_b32 s3, exec_lo, s3
	s_cbranch_execz .LBB996_158
; %bb.157:
	s_waitcnt lgkmcnt(4)
	v_xor_b32_e32 v7, 0xfffff9ff, v0
                                        ; implicit-def: $vgpr27
	s_delay_alu instid0(VALU_DEP_1) | instskip(SKIP_1) | instid1(VALU_DEP_2)
	v_ashrrev_i32_e32 v8, 31, v7
	v_add_co_u32 v7, vcc_lo, v18, v7
	v_add_co_ci_u32_e32 v8, vcc_lo, v19, v8, vcc_lo
.LBB996_158:
	s_and_not1_saveexec_b32 s3, s3
	s_cbranch_execz .LBB996_160
; %bb.159:
	s_waitcnt lgkmcnt(4)
	v_add_co_u32 v7, vcc_lo, v15, v27
	v_add_co_ci_u32_e32 v8, vcc_lo, 0, v17, vcc_lo
.LBB996_160:
	s_or_b32 exec_lo, exec_lo, s3
	s_waitcnt lgkmcnt(4)
	s_delay_alu instid0(VALU_DEP_1) | instskip(NEXT) | instid1(VALU_DEP_1)
	v_lshlrev_b64 v[7:8], 2, v[7:8]
	v_add_co_u32 v7, vcc_lo, s12, v7
	s_delay_alu instid0(VALU_DEP_2) | instskip(SKIP_3) | instid1(SALU_CYCLE_1)
	v_add_co_ci_u32_e32 v8, vcc_lo, s13, v8, vcc_lo
	s_waitcnt lgkmcnt(3)
	global_store_b32 v[7:8], v5, off
	s_or_b32 exec_lo, exec_lo, s1
	s_mov_b32 s1, exec_lo
	v_cmpx_gt_u32_e64 s11, v26
	s_cbranch_execnz .LBB996_192
.LBB996_161:
	s_or_b32 exec_lo, exec_lo, s1
	s_delay_alu instid0(SALU_CYCLE_1)
	s_mov_b32 s1, exec_lo
	v_cmpx_gt_u32_e64 s11, v25
	s_cbranch_execz .LBB996_197
.LBB996_162:
	s_mov_b32 s3, exec_lo
                                        ; implicit-def: $vgpr5_vgpr6
	v_cmpx_ge_u32_e64 v25, v16
	s_xor_b32 s3, exec_lo, s3
	s_cbranch_execz .LBB996_164
; %bb.163:
	s_waitcnt lgkmcnt(3)
	v_xor_b32_e32 v5, 0xfffff7ff, v0
                                        ; implicit-def: $vgpr25
	s_delay_alu instid0(VALU_DEP_1) | instskip(SKIP_1) | instid1(VALU_DEP_2)
	v_ashrrev_i32_e32 v6, 31, v5
	v_add_co_u32 v5, vcc_lo, v18, v5
	v_add_co_ci_u32_e32 v6, vcc_lo, v19, v6, vcc_lo
.LBB996_164:
	s_and_not1_saveexec_b32 s3, s3
	s_cbranch_execz .LBB996_166
; %bb.165:
	s_waitcnt lgkmcnt(3)
	v_add_co_u32 v5, vcc_lo, v15, v25
	v_add_co_ci_u32_e32 v6, vcc_lo, 0, v17, vcc_lo
.LBB996_166:
	s_or_b32 exec_lo, exec_lo, s3
	s_waitcnt lgkmcnt(3)
	s_delay_alu instid0(VALU_DEP_1) | instskip(NEXT) | instid1(VALU_DEP_1)
	v_lshlrev_b64 v[5:6], 2, v[5:6]
	v_add_co_u32 v5, vcc_lo, s12, v5
	s_delay_alu instid0(VALU_DEP_2) | instskip(SKIP_3) | instid1(SALU_CYCLE_1)
	v_add_co_ci_u32_e32 v6, vcc_lo, s13, v6, vcc_lo
	s_waitcnt lgkmcnt(2)
	global_store_b32 v[5:6], v3, off
	s_or_b32 exec_lo, exec_lo, s1
	s_mov_b32 s1, exec_lo
	v_cmpx_gt_u32_e64 s11, v24
	s_cbranch_execnz .LBB996_198
.LBB996_167:
	s_or_b32 exec_lo, exec_lo, s1
	s_delay_alu instid0(SALU_CYCLE_1)
	s_mov_b32 s1, exec_lo
	v_cmpx_gt_u32_e64 s11, v23
	s_cbranch_execz .LBB996_203
.LBB996_168:
	s_mov_b32 s3, exec_lo
                                        ; implicit-def: $vgpr3_vgpr4
	v_cmpx_ge_u32_e64 v23, v16
	s_xor_b32 s3, exec_lo, s3
	s_cbranch_execz .LBB996_170
; %bb.169:
	s_waitcnt lgkmcnt(2)
	v_xor_b32_e32 v3, 0xfffff5ff, v0
                                        ; implicit-def: $vgpr23
	s_delay_alu instid0(VALU_DEP_1) | instskip(SKIP_1) | instid1(VALU_DEP_2)
	v_ashrrev_i32_e32 v4, 31, v3
	v_add_co_u32 v3, vcc_lo, v18, v3
	v_add_co_ci_u32_e32 v4, vcc_lo, v19, v4, vcc_lo
.LBB996_170:
	s_and_not1_saveexec_b32 s3, s3
	s_cbranch_execz .LBB996_172
; %bb.171:
	s_waitcnt lgkmcnt(2)
	v_add_co_u32 v3, vcc_lo, v15, v23
	v_add_co_ci_u32_e32 v4, vcc_lo, 0, v17, vcc_lo
.LBB996_172:
	s_or_b32 exec_lo, exec_lo, s3
	s_waitcnt lgkmcnt(2)
	s_delay_alu instid0(VALU_DEP_1) | instskip(NEXT) | instid1(VALU_DEP_1)
	v_lshlrev_b64 v[3:4], 2, v[3:4]
	v_add_co_u32 v3, vcc_lo, s12, v3
	s_delay_alu instid0(VALU_DEP_2) | instskip(SKIP_3) | instid1(SALU_CYCLE_1)
	v_add_co_ci_u32_e32 v4, vcc_lo, s13, v4, vcc_lo
	s_waitcnt lgkmcnt(1)
	global_store_b32 v[3:4], v1, off
	s_or_b32 exec_lo, exec_lo, s1
	s_mov_b32 s1, exec_lo
	v_cmpx_gt_u32_e64 s11, v22
	s_cbranch_execz .LBB996_209
	s_branch .LBB996_204
.LBB996_173:
	s_or_b32 exec_lo, exec_lo, s1
	s_delay_alu instid0(SALU_CYCLE_1)
	s_mov_b32 s1, exec_lo
	v_cmpx_gt_u32_e64 s11, v35
	s_cbranch_execz .LBB996_143
.LBB996_174:
	s_mov_b32 s3, exec_lo
                                        ; implicit-def: $vgpr13_vgpr14
	v_cmpx_ge_u32_e64 v35, v16
	s_xor_b32 s3, exec_lo, s3
	s_cbranch_execz .LBB996_176
; %bb.175:
	s_waitcnt lgkmcnt(6)
	v_xor_b32_e32 v11, 0xfffffeff, v0
                                        ; implicit-def: $vgpr35
	s_delay_alu instid0(VALU_DEP_1) | instskip(SKIP_1) | instid1(VALU_DEP_2)
	v_ashrrev_i32_e32 v14, 31, v11
	v_add_co_u32 v13, vcc_lo, v18, v11
	v_add_co_ci_u32_e32 v14, vcc_lo, v19, v14, vcc_lo
.LBB996_176:
	s_and_not1_saveexec_b32 s3, s3
; %bb.177:
	v_add_co_u32 v13, vcc_lo, v15, v35
	v_add_co_ci_u32_e32 v14, vcc_lo, 0, v17, vcc_lo
; %bb.178:
	s_or_b32 exec_lo, exec_lo, s3
	s_delay_alu instid0(VALU_DEP_1) | instskip(NEXT) | instid1(VALU_DEP_1)
	v_lshlrev_b64 v[13:14], 2, v[13:14]
	v_add_co_u32 v13, vcc_lo, s12, v13
	s_delay_alu instid0(VALU_DEP_2) | instskip(SKIP_3) | instid1(SALU_CYCLE_1)
	v_add_co_ci_u32_e32 v14, vcc_lo, s13, v14, vcc_lo
	s_waitcnt lgkmcnt(6)
	global_store_b32 v[13:14], v12, off
	s_or_b32 exec_lo, exec_lo, s1
	s_mov_b32 s1, exec_lo
	v_cmpx_gt_u32_e64 s11, v31
	s_cbranch_execnz .LBB996_144
.LBB996_179:
	s_or_b32 exec_lo, exec_lo, s1
	s_delay_alu instid0(SALU_CYCLE_1)
	s_mov_b32 s1, exec_lo
	v_cmpx_gt_u32_e64 s11, v30
	s_cbranch_execz .LBB996_149
.LBB996_180:
	s_mov_b32 s3, exec_lo
                                        ; implicit-def: $vgpr11_vgpr12
	v_cmpx_ge_u32_e64 v30, v16
	s_xor_b32 s3, exec_lo, s3
	s_cbranch_execz .LBB996_182
; %bb.181:
	s_waitcnt lgkmcnt(5)
	v_xor_b32_e32 v9, 0xfffffcff, v0
                                        ; implicit-def: $vgpr30
	s_delay_alu instid0(VALU_DEP_1) | instskip(SKIP_1) | instid1(VALU_DEP_2)
	v_ashrrev_i32_e32 v12, 31, v9
	v_add_co_u32 v11, vcc_lo, v18, v9
	v_add_co_ci_u32_e32 v12, vcc_lo, v19, v12, vcc_lo
.LBB996_182:
	s_and_not1_saveexec_b32 s3, s3
	s_cbranch_execz .LBB996_184
; %bb.183:
	s_waitcnt lgkmcnt(6)
	v_add_co_u32 v11, vcc_lo, v15, v30
	v_add_co_ci_u32_e32 v12, vcc_lo, 0, v17, vcc_lo
.LBB996_184:
	s_or_b32 exec_lo, exec_lo, s3
	s_waitcnt lgkmcnt(6)
	s_delay_alu instid0(VALU_DEP_1) | instskip(NEXT) | instid1(VALU_DEP_1)
	v_lshlrev_b64 v[11:12], 2, v[11:12]
	v_add_co_u32 v11, vcc_lo, s12, v11
	s_delay_alu instid0(VALU_DEP_2) | instskip(SKIP_3) | instid1(SALU_CYCLE_1)
	v_add_co_ci_u32_e32 v12, vcc_lo, s13, v12, vcc_lo
	s_waitcnt lgkmcnt(5)
	global_store_b32 v[11:12], v10, off
	s_or_b32 exec_lo, exec_lo, s1
	s_mov_b32 s1, exec_lo
	v_cmpx_gt_u32_e64 s11, v29
	s_cbranch_execnz .LBB996_150
.LBB996_185:
	s_or_b32 exec_lo, exec_lo, s1
	s_delay_alu instid0(SALU_CYCLE_1)
	s_mov_b32 s1, exec_lo
	v_cmpx_gt_u32_e64 s11, v28
	s_cbranch_execz .LBB996_155
.LBB996_186:
	s_mov_b32 s3, exec_lo
                                        ; implicit-def: $vgpr9_vgpr10
	v_cmpx_ge_u32_e64 v28, v16
	s_xor_b32 s3, exec_lo, s3
	s_cbranch_execz .LBB996_188
; %bb.187:
	s_waitcnt lgkmcnt(4)
	v_xor_b32_e32 v7, 0xfffffaff, v0
                                        ; implicit-def: $vgpr28
	s_delay_alu instid0(VALU_DEP_1) | instskip(SKIP_1) | instid1(VALU_DEP_2)
	v_ashrrev_i32_e32 v10, 31, v7
	v_add_co_u32 v9, vcc_lo, v18, v7
	v_add_co_ci_u32_e32 v10, vcc_lo, v19, v10, vcc_lo
.LBB996_188:
	s_and_not1_saveexec_b32 s3, s3
	s_cbranch_execz .LBB996_190
; %bb.189:
	s_waitcnt lgkmcnt(5)
	v_add_co_u32 v9, vcc_lo, v15, v28
	v_add_co_ci_u32_e32 v10, vcc_lo, 0, v17, vcc_lo
.LBB996_190:
	s_or_b32 exec_lo, exec_lo, s3
	s_waitcnt lgkmcnt(5)
	s_delay_alu instid0(VALU_DEP_1) | instskip(NEXT) | instid1(VALU_DEP_1)
	v_lshlrev_b64 v[9:10], 2, v[9:10]
	v_add_co_u32 v9, vcc_lo, s12, v9
	s_delay_alu instid0(VALU_DEP_2) | instskip(SKIP_3) | instid1(SALU_CYCLE_1)
	v_add_co_ci_u32_e32 v10, vcc_lo, s13, v10, vcc_lo
	s_waitcnt lgkmcnt(4)
	global_store_b32 v[9:10], v8, off
	s_or_b32 exec_lo, exec_lo, s1
	s_mov_b32 s1, exec_lo
	v_cmpx_gt_u32_e64 s11, v27
	s_cbranch_execnz .LBB996_156
.LBB996_191:
	s_or_b32 exec_lo, exec_lo, s1
	s_delay_alu instid0(SALU_CYCLE_1)
	s_mov_b32 s1, exec_lo
	v_cmpx_gt_u32_e64 s11, v26
	s_cbranch_execz .LBB996_161
.LBB996_192:
	s_mov_b32 s3, exec_lo
                                        ; implicit-def: $vgpr7_vgpr8
	v_cmpx_ge_u32_e64 v26, v16
	s_xor_b32 s3, exec_lo, s3
	s_cbranch_execz .LBB996_194
; %bb.193:
	s_waitcnt lgkmcnt(3)
	v_xor_b32_e32 v5, 0xfffff8ff, v0
                                        ; implicit-def: $vgpr26
	s_delay_alu instid0(VALU_DEP_1) | instskip(SKIP_1) | instid1(VALU_DEP_2)
	v_ashrrev_i32_e32 v8, 31, v5
	v_add_co_u32 v7, vcc_lo, v18, v5
	v_add_co_ci_u32_e32 v8, vcc_lo, v19, v8, vcc_lo
.LBB996_194:
	s_and_not1_saveexec_b32 s3, s3
	s_cbranch_execz .LBB996_196
; %bb.195:
	s_waitcnt lgkmcnt(4)
	v_add_co_u32 v7, vcc_lo, v15, v26
	v_add_co_ci_u32_e32 v8, vcc_lo, 0, v17, vcc_lo
.LBB996_196:
	s_or_b32 exec_lo, exec_lo, s3
	s_waitcnt lgkmcnt(4)
	s_delay_alu instid0(VALU_DEP_1) | instskip(NEXT) | instid1(VALU_DEP_1)
	v_lshlrev_b64 v[7:8], 2, v[7:8]
	v_add_co_u32 v7, vcc_lo, s12, v7
	s_delay_alu instid0(VALU_DEP_2) | instskip(SKIP_3) | instid1(SALU_CYCLE_1)
	v_add_co_ci_u32_e32 v8, vcc_lo, s13, v8, vcc_lo
	s_waitcnt lgkmcnt(3)
	global_store_b32 v[7:8], v6, off
	s_or_b32 exec_lo, exec_lo, s1
	s_mov_b32 s1, exec_lo
	v_cmpx_gt_u32_e64 s11, v25
	s_cbranch_execnz .LBB996_162
.LBB996_197:
	s_or_b32 exec_lo, exec_lo, s1
	s_delay_alu instid0(SALU_CYCLE_1)
	s_mov_b32 s1, exec_lo
	v_cmpx_gt_u32_e64 s11, v24
	s_cbranch_execz .LBB996_167
.LBB996_198:
	s_mov_b32 s3, exec_lo
                                        ; implicit-def: $vgpr5_vgpr6
	v_cmpx_ge_u32_e64 v24, v16
	s_xor_b32 s3, exec_lo, s3
	s_cbranch_execz .LBB996_200
; %bb.199:
	s_waitcnt lgkmcnt(2)
	v_xor_b32_e32 v3, 0xfffff6ff, v0
                                        ; implicit-def: $vgpr24
	s_delay_alu instid0(VALU_DEP_1) | instskip(SKIP_1) | instid1(VALU_DEP_2)
	v_ashrrev_i32_e32 v6, 31, v3
	v_add_co_u32 v5, vcc_lo, v18, v3
	v_add_co_ci_u32_e32 v6, vcc_lo, v19, v6, vcc_lo
.LBB996_200:
	s_and_not1_saveexec_b32 s3, s3
	s_cbranch_execz .LBB996_202
; %bb.201:
	s_waitcnt lgkmcnt(3)
	v_add_co_u32 v5, vcc_lo, v15, v24
	v_add_co_ci_u32_e32 v6, vcc_lo, 0, v17, vcc_lo
.LBB996_202:
	s_or_b32 exec_lo, exec_lo, s3
	s_waitcnt lgkmcnt(3)
	s_delay_alu instid0(VALU_DEP_1) | instskip(NEXT) | instid1(VALU_DEP_1)
	v_lshlrev_b64 v[5:6], 2, v[5:6]
	v_add_co_u32 v5, vcc_lo, s12, v5
	s_delay_alu instid0(VALU_DEP_2) | instskip(SKIP_3) | instid1(SALU_CYCLE_1)
	v_add_co_ci_u32_e32 v6, vcc_lo, s13, v6, vcc_lo
	s_waitcnt lgkmcnt(2)
	global_store_b32 v[5:6], v4, off
	s_or_b32 exec_lo, exec_lo, s1
	s_mov_b32 s1, exec_lo
	v_cmpx_gt_u32_e64 s11, v23
	s_cbranch_execnz .LBB996_168
.LBB996_203:
	s_or_b32 exec_lo, exec_lo, s1
	s_delay_alu instid0(SALU_CYCLE_1)
	s_mov_b32 s1, exec_lo
	v_cmpx_gt_u32_e64 s11, v22
	s_cbranch_execz .LBB996_209
.LBB996_204:
	s_mov_b32 s3, exec_lo
                                        ; implicit-def: $vgpr3_vgpr4
	v_cmpx_ge_u32_e64 v22, v16
	s_xor_b32 s3, exec_lo, s3
	s_cbranch_execz .LBB996_206
; %bb.205:
	s_waitcnt lgkmcnt(1)
	v_xor_b32_e32 v1, 0xfffff4ff, v0
                                        ; implicit-def: $vgpr22
	s_delay_alu instid0(VALU_DEP_1) | instskip(SKIP_1) | instid1(VALU_DEP_2)
	v_ashrrev_i32_e32 v4, 31, v1
	v_add_co_u32 v3, vcc_lo, v18, v1
	v_add_co_ci_u32_e32 v4, vcc_lo, v19, v4, vcc_lo
.LBB996_206:
	s_and_not1_saveexec_b32 s3, s3
	s_cbranch_execz .LBB996_208
; %bb.207:
	s_waitcnt lgkmcnt(2)
	v_add_co_u32 v3, vcc_lo, v15, v22
	v_add_co_ci_u32_e32 v4, vcc_lo, 0, v17, vcc_lo
.LBB996_208:
	s_or_b32 exec_lo, exec_lo, s3
	s_waitcnt lgkmcnt(2)
	s_delay_alu instid0(VALU_DEP_1) | instskip(NEXT) | instid1(VALU_DEP_1)
	v_lshlrev_b64 v[3:4], 2, v[3:4]
	v_add_co_u32 v3, vcc_lo, s12, v3
	s_delay_alu instid0(VALU_DEP_2)
	v_add_co_ci_u32_e32 v4, vcc_lo, s13, v4, vcc_lo
	s_waitcnt lgkmcnt(1)
	global_store_b32 v[3:4], v2, off
.LBB996_209:
	s_or_b32 exec_lo, exec_lo, s1
	s_delay_alu instid0(SALU_CYCLE_1)
	s_mov_b32 s1, exec_lo
                                        ; implicit-def: $vgpr13_vgpr14
	v_cmpx_gt_u32_e64 s11, v21
	s_cbranch_execz .LBB996_215
; %bb.210:
	s_mov_b32 s3, exec_lo
                                        ; implicit-def: $vgpr13_vgpr14
	v_cmpx_ge_u32_e64 v21, v16
	s_xor_b32 s3, exec_lo, s3
	s_cbranch_execz .LBB996_212
; %bb.211:
	v_xor_b32_e32 v0, 0xfffff3ff, v0
                                        ; implicit-def: $vgpr21
	s_waitcnt lgkmcnt(1)
	s_delay_alu instid0(VALU_DEP_1) | instskip(SKIP_1) | instid1(VALU_DEP_2)
	v_ashrrev_i32_e32 v1, 31, v0
	v_add_co_u32 v13, vcc_lo, v18, v0
	v_add_co_ci_u32_e32 v14, vcc_lo, v19, v1, vcc_lo
.LBB996_212:
	s_and_not1_saveexec_b32 s3, s3
; %bb.213:
	v_add_co_u32 v13, vcc_lo, v15, v21
	v_add_co_ci_u32_e32 v14, vcc_lo, 0, v17, vcc_lo
; %bb.214:
	s_or_b32 exec_lo, exec_lo, s3
	s_delay_alu instid0(SALU_CYCLE_1)
	s_or_b32 s0, s0, exec_lo
.LBB996_215:
	s_or_b32 exec_lo, exec_lo, s1
	s_and_saveexec_b32 s1, s0
	s_cbranch_execnz .LBB996_134
.LBB996_216:
	s_or_b32 exec_lo, exec_lo, s1
	s_and_b32 s0, s2, s10
	s_delay_alu instid0(SALU_CYCLE_1)
	s_and_saveexec_b32 s1, s0
	s_cbranch_execz .LBB996_135
.LBB996_217:
	v_add_co_u32 v0, vcc_lo, v15, v16
	s_waitcnt lgkmcnt(1)
	v_mov_b32_e32 v2, 0
	v_add_co_ci_u32_e32 v1, vcc_lo, 0, v17, vcc_lo
	global_store_b64 v2, v[0:1], s[8:9]
	s_nop 0
	s_sendmsg sendmsg(MSG_DEALLOC_VGPRS)
	s_endpgm
	.section	.rodata,"a",@progbits
	.p2align	6, 0x0
	.amdhsa_kernel _ZN7rocprim17ROCPRIM_400000_NS6detail17trampoline_kernelINS0_13select_configILj256ELj13ELNS0_17block_load_methodE3ELS4_3ELS4_3ELNS0_20block_scan_algorithmE0ELj4294967295EEENS1_25partition_config_selectorILNS1_17partition_subalgoE3EjNS0_10empty_typeEbEEZZNS1_14partition_implILS8_3ELb0ES6_jNS0_17counting_iteratorIjlEEPS9_SE_NS0_5tupleIJPjSE_EEENSF_IJSE_SE_EEES9_SG_JZNS1_25segmented_radix_sort_implINS0_14default_configELb0EPKsPsPKlPlN2at6native12_GLOBAL__N_18offset_tEEE10hipError_tPvRmT1_PNSt15iterator_traitsISY_E10value_typeET2_T3_PNSZ_IS14_E10value_typeET4_jRbjT5_S1A_jjP12ihipStream_tbEUljE_EEESV_SW_SX_S14_S18_S1A_T6_T7_T9_mT8_S1C_bDpT10_ENKUlT_T0_E_clISt17integral_constantIbLb1EES1P_EEDaS1K_S1L_EUlS1K_E_NS1_11comp_targetILNS1_3genE9ELNS1_11target_archE1100ELNS1_3gpuE3ELNS1_3repE0EEENS1_30default_config_static_selectorELNS0_4arch9wavefront6targetE0EEEvSY_
		.amdhsa_group_segment_fixed_size 13324
		.amdhsa_private_segment_fixed_size 0
		.amdhsa_kernarg_size 152
		.amdhsa_user_sgpr_count 15
		.amdhsa_user_sgpr_dispatch_ptr 0
		.amdhsa_user_sgpr_queue_ptr 0
		.amdhsa_user_sgpr_kernarg_segment_ptr 1
		.amdhsa_user_sgpr_dispatch_id 0
		.amdhsa_user_sgpr_private_segment_size 0
		.amdhsa_wavefront_size32 1
		.amdhsa_uses_dynamic_stack 0
		.amdhsa_enable_private_segment 0
		.amdhsa_system_sgpr_workgroup_id_x 1
		.amdhsa_system_sgpr_workgroup_id_y 0
		.amdhsa_system_sgpr_workgroup_id_z 0
		.amdhsa_system_sgpr_workgroup_info 0
		.amdhsa_system_vgpr_workitem_id 0
		.amdhsa_next_free_vgpr 60
		.amdhsa_next_free_sgpr 26
		.amdhsa_reserve_vcc 1
		.amdhsa_float_round_mode_32 0
		.amdhsa_float_round_mode_16_64 0
		.amdhsa_float_denorm_mode_32 3
		.amdhsa_float_denorm_mode_16_64 3
		.amdhsa_dx10_clamp 1
		.amdhsa_ieee_mode 1
		.amdhsa_fp16_overflow 0
		.amdhsa_workgroup_processor_mode 1
		.amdhsa_memory_ordered 1
		.amdhsa_forward_progress 0
		.amdhsa_shared_vgpr_count 0
		.amdhsa_exception_fp_ieee_invalid_op 0
		.amdhsa_exception_fp_denorm_src 0
		.amdhsa_exception_fp_ieee_div_zero 0
		.amdhsa_exception_fp_ieee_overflow 0
		.amdhsa_exception_fp_ieee_underflow 0
		.amdhsa_exception_fp_ieee_inexact 0
		.amdhsa_exception_int_div_zero 0
	.end_amdhsa_kernel
	.section	.text._ZN7rocprim17ROCPRIM_400000_NS6detail17trampoline_kernelINS0_13select_configILj256ELj13ELNS0_17block_load_methodE3ELS4_3ELS4_3ELNS0_20block_scan_algorithmE0ELj4294967295EEENS1_25partition_config_selectorILNS1_17partition_subalgoE3EjNS0_10empty_typeEbEEZZNS1_14partition_implILS8_3ELb0ES6_jNS0_17counting_iteratorIjlEEPS9_SE_NS0_5tupleIJPjSE_EEENSF_IJSE_SE_EEES9_SG_JZNS1_25segmented_radix_sort_implINS0_14default_configELb0EPKsPsPKlPlN2at6native12_GLOBAL__N_18offset_tEEE10hipError_tPvRmT1_PNSt15iterator_traitsISY_E10value_typeET2_T3_PNSZ_IS14_E10value_typeET4_jRbjT5_S1A_jjP12ihipStream_tbEUljE_EEESV_SW_SX_S14_S18_S1A_T6_T7_T9_mT8_S1C_bDpT10_ENKUlT_T0_E_clISt17integral_constantIbLb1EES1P_EEDaS1K_S1L_EUlS1K_E_NS1_11comp_targetILNS1_3genE9ELNS1_11target_archE1100ELNS1_3gpuE3ELNS1_3repE0EEENS1_30default_config_static_selectorELNS0_4arch9wavefront6targetE0EEEvSY_,"axG",@progbits,_ZN7rocprim17ROCPRIM_400000_NS6detail17trampoline_kernelINS0_13select_configILj256ELj13ELNS0_17block_load_methodE3ELS4_3ELS4_3ELNS0_20block_scan_algorithmE0ELj4294967295EEENS1_25partition_config_selectorILNS1_17partition_subalgoE3EjNS0_10empty_typeEbEEZZNS1_14partition_implILS8_3ELb0ES6_jNS0_17counting_iteratorIjlEEPS9_SE_NS0_5tupleIJPjSE_EEENSF_IJSE_SE_EEES9_SG_JZNS1_25segmented_radix_sort_implINS0_14default_configELb0EPKsPsPKlPlN2at6native12_GLOBAL__N_18offset_tEEE10hipError_tPvRmT1_PNSt15iterator_traitsISY_E10value_typeET2_T3_PNSZ_IS14_E10value_typeET4_jRbjT5_S1A_jjP12ihipStream_tbEUljE_EEESV_SW_SX_S14_S18_S1A_T6_T7_T9_mT8_S1C_bDpT10_ENKUlT_T0_E_clISt17integral_constantIbLb1EES1P_EEDaS1K_S1L_EUlS1K_E_NS1_11comp_targetILNS1_3genE9ELNS1_11target_archE1100ELNS1_3gpuE3ELNS1_3repE0EEENS1_30default_config_static_selectorELNS0_4arch9wavefront6targetE0EEEvSY_,comdat
.Lfunc_end996:
	.size	_ZN7rocprim17ROCPRIM_400000_NS6detail17trampoline_kernelINS0_13select_configILj256ELj13ELNS0_17block_load_methodE3ELS4_3ELS4_3ELNS0_20block_scan_algorithmE0ELj4294967295EEENS1_25partition_config_selectorILNS1_17partition_subalgoE3EjNS0_10empty_typeEbEEZZNS1_14partition_implILS8_3ELb0ES6_jNS0_17counting_iteratorIjlEEPS9_SE_NS0_5tupleIJPjSE_EEENSF_IJSE_SE_EEES9_SG_JZNS1_25segmented_radix_sort_implINS0_14default_configELb0EPKsPsPKlPlN2at6native12_GLOBAL__N_18offset_tEEE10hipError_tPvRmT1_PNSt15iterator_traitsISY_E10value_typeET2_T3_PNSZ_IS14_E10value_typeET4_jRbjT5_S1A_jjP12ihipStream_tbEUljE_EEESV_SW_SX_S14_S18_S1A_T6_T7_T9_mT8_S1C_bDpT10_ENKUlT_T0_E_clISt17integral_constantIbLb1EES1P_EEDaS1K_S1L_EUlS1K_E_NS1_11comp_targetILNS1_3genE9ELNS1_11target_archE1100ELNS1_3gpuE3ELNS1_3repE0EEENS1_30default_config_static_selectorELNS0_4arch9wavefront6targetE0EEEvSY_, .Lfunc_end996-_ZN7rocprim17ROCPRIM_400000_NS6detail17trampoline_kernelINS0_13select_configILj256ELj13ELNS0_17block_load_methodE3ELS4_3ELS4_3ELNS0_20block_scan_algorithmE0ELj4294967295EEENS1_25partition_config_selectorILNS1_17partition_subalgoE3EjNS0_10empty_typeEbEEZZNS1_14partition_implILS8_3ELb0ES6_jNS0_17counting_iteratorIjlEEPS9_SE_NS0_5tupleIJPjSE_EEENSF_IJSE_SE_EEES9_SG_JZNS1_25segmented_radix_sort_implINS0_14default_configELb0EPKsPsPKlPlN2at6native12_GLOBAL__N_18offset_tEEE10hipError_tPvRmT1_PNSt15iterator_traitsISY_E10value_typeET2_T3_PNSZ_IS14_E10value_typeET4_jRbjT5_S1A_jjP12ihipStream_tbEUljE_EEESV_SW_SX_S14_S18_S1A_T6_T7_T9_mT8_S1C_bDpT10_ENKUlT_T0_E_clISt17integral_constantIbLb1EES1P_EEDaS1K_S1L_EUlS1K_E_NS1_11comp_targetILNS1_3genE9ELNS1_11target_archE1100ELNS1_3gpuE3ELNS1_3repE0EEENS1_30default_config_static_selectorELNS0_4arch9wavefront6targetE0EEEvSY_
                                        ; -- End function
	.section	.AMDGPU.csdata,"",@progbits
; Kernel info:
; codeLenInByte = 9140
; NumSgprs: 28
; NumVgprs: 60
; ScratchSize: 0
; MemoryBound: 0
; FloatMode: 240
; IeeeMode: 1
; LDSByteSize: 13324 bytes/workgroup (compile time only)
; SGPRBlocks: 3
; VGPRBlocks: 7
; NumSGPRsForWavesPerEU: 28
; NumVGPRsForWavesPerEU: 60
; Occupancy: 16
; WaveLimiterHint : 0
; COMPUTE_PGM_RSRC2:SCRATCH_EN: 0
; COMPUTE_PGM_RSRC2:USER_SGPR: 15
; COMPUTE_PGM_RSRC2:TRAP_HANDLER: 0
; COMPUTE_PGM_RSRC2:TGID_X_EN: 1
; COMPUTE_PGM_RSRC2:TGID_Y_EN: 0
; COMPUTE_PGM_RSRC2:TGID_Z_EN: 0
; COMPUTE_PGM_RSRC2:TIDIG_COMP_CNT: 0
	.section	.text._ZN7rocprim17ROCPRIM_400000_NS6detail17trampoline_kernelINS0_13select_configILj256ELj13ELNS0_17block_load_methodE3ELS4_3ELS4_3ELNS0_20block_scan_algorithmE0ELj4294967295EEENS1_25partition_config_selectorILNS1_17partition_subalgoE3EjNS0_10empty_typeEbEEZZNS1_14partition_implILS8_3ELb0ES6_jNS0_17counting_iteratorIjlEEPS9_SE_NS0_5tupleIJPjSE_EEENSF_IJSE_SE_EEES9_SG_JZNS1_25segmented_radix_sort_implINS0_14default_configELb0EPKsPsPKlPlN2at6native12_GLOBAL__N_18offset_tEEE10hipError_tPvRmT1_PNSt15iterator_traitsISY_E10value_typeET2_T3_PNSZ_IS14_E10value_typeET4_jRbjT5_S1A_jjP12ihipStream_tbEUljE_EEESV_SW_SX_S14_S18_S1A_T6_T7_T9_mT8_S1C_bDpT10_ENKUlT_T0_E_clISt17integral_constantIbLb1EES1P_EEDaS1K_S1L_EUlS1K_E_NS1_11comp_targetILNS1_3genE8ELNS1_11target_archE1030ELNS1_3gpuE2ELNS1_3repE0EEENS1_30default_config_static_selectorELNS0_4arch9wavefront6targetE0EEEvSY_,"axG",@progbits,_ZN7rocprim17ROCPRIM_400000_NS6detail17trampoline_kernelINS0_13select_configILj256ELj13ELNS0_17block_load_methodE3ELS4_3ELS4_3ELNS0_20block_scan_algorithmE0ELj4294967295EEENS1_25partition_config_selectorILNS1_17partition_subalgoE3EjNS0_10empty_typeEbEEZZNS1_14partition_implILS8_3ELb0ES6_jNS0_17counting_iteratorIjlEEPS9_SE_NS0_5tupleIJPjSE_EEENSF_IJSE_SE_EEES9_SG_JZNS1_25segmented_radix_sort_implINS0_14default_configELb0EPKsPsPKlPlN2at6native12_GLOBAL__N_18offset_tEEE10hipError_tPvRmT1_PNSt15iterator_traitsISY_E10value_typeET2_T3_PNSZ_IS14_E10value_typeET4_jRbjT5_S1A_jjP12ihipStream_tbEUljE_EEESV_SW_SX_S14_S18_S1A_T6_T7_T9_mT8_S1C_bDpT10_ENKUlT_T0_E_clISt17integral_constantIbLb1EES1P_EEDaS1K_S1L_EUlS1K_E_NS1_11comp_targetILNS1_3genE8ELNS1_11target_archE1030ELNS1_3gpuE2ELNS1_3repE0EEENS1_30default_config_static_selectorELNS0_4arch9wavefront6targetE0EEEvSY_,comdat
	.globl	_ZN7rocprim17ROCPRIM_400000_NS6detail17trampoline_kernelINS0_13select_configILj256ELj13ELNS0_17block_load_methodE3ELS4_3ELS4_3ELNS0_20block_scan_algorithmE0ELj4294967295EEENS1_25partition_config_selectorILNS1_17partition_subalgoE3EjNS0_10empty_typeEbEEZZNS1_14partition_implILS8_3ELb0ES6_jNS0_17counting_iteratorIjlEEPS9_SE_NS0_5tupleIJPjSE_EEENSF_IJSE_SE_EEES9_SG_JZNS1_25segmented_radix_sort_implINS0_14default_configELb0EPKsPsPKlPlN2at6native12_GLOBAL__N_18offset_tEEE10hipError_tPvRmT1_PNSt15iterator_traitsISY_E10value_typeET2_T3_PNSZ_IS14_E10value_typeET4_jRbjT5_S1A_jjP12ihipStream_tbEUljE_EEESV_SW_SX_S14_S18_S1A_T6_T7_T9_mT8_S1C_bDpT10_ENKUlT_T0_E_clISt17integral_constantIbLb1EES1P_EEDaS1K_S1L_EUlS1K_E_NS1_11comp_targetILNS1_3genE8ELNS1_11target_archE1030ELNS1_3gpuE2ELNS1_3repE0EEENS1_30default_config_static_selectorELNS0_4arch9wavefront6targetE0EEEvSY_ ; -- Begin function _ZN7rocprim17ROCPRIM_400000_NS6detail17trampoline_kernelINS0_13select_configILj256ELj13ELNS0_17block_load_methodE3ELS4_3ELS4_3ELNS0_20block_scan_algorithmE0ELj4294967295EEENS1_25partition_config_selectorILNS1_17partition_subalgoE3EjNS0_10empty_typeEbEEZZNS1_14partition_implILS8_3ELb0ES6_jNS0_17counting_iteratorIjlEEPS9_SE_NS0_5tupleIJPjSE_EEENSF_IJSE_SE_EEES9_SG_JZNS1_25segmented_radix_sort_implINS0_14default_configELb0EPKsPsPKlPlN2at6native12_GLOBAL__N_18offset_tEEE10hipError_tPvRmT1_PNSt15iterator_traitsISY_E10value_typeET2_T3_PNSZ_IS14_E10value_typeET4_jRbjT5_S1A_jjP12ihipStream_tbEUljE_EEESV_SW_SX_S14_S18_S1A_T6_T7_T9_mT8_S1C_bDpT10_ENKUlT_T0_E_clISt17integral_constantIbLb1EES1P_EEDaS1K_S1L_EUlS1K_E_NS1_11comp_targetILNS1_3genE8ELNS1_11target_archE1030ELNS1_3gpuE2ELNS1_3repE0EEENS1_30default_config_static_selectorELNS0_4arch9wavefront6targetE0EEEvSY_
	.p2align	8
	.type	_ZN7rocprim17ROCPRIM_400000_NS6detail17trampoline_kernelINS0_13select_configILj256ELj13ELNS0_17block_load_methodE3ELS4_3ELS4_3ELNS0_20block_scan_algorithmE0ELj4294967295EEENS1_25partition_config_selectorILNS1_17partition_subalgoE3EjNS0_10empty_typeEbEEZZNS1_14partition_implILS8_3ELb0ES6_jNS0_17counting_iteratorIjlEEPS9_SE_NS0_5tupleIJPjSE_EEENSF_IJSE_SE_EEES9_SG_JZNS1_25segmented_radix_sort_implINS0_14default_configELb0EPKsPsPKlPlN2at6native12_GLOBAL__N_18offset_tEEE10hipError_tPvRmT1_PNSt15iterator_traitsISY_E10value_typeET2_T3_PNSZ_IS14_E10value_typeET4_jRbjT5_S1A_jjP12ihipStream_tbEUljE_EEESV_SW_SX_S14_S18_S1A_T6_T7_T9_mT8_S1C_bDpT10_ENKUlT_T0_E_clISt17integral_constantIbLb1EES1P_EEDaS1K_S1L_EUlS1K_E_NS1_11comp_targetILNS1_3genE8ELNS1_11target_archE1030ELNS1_3gpuE2ELNS1_3repE0EEENS1_30default_config_static_selectorELNS0_4arch9wavefront6targetE0EEEvSY_,@function
_ZN7rocprim17ROCPRIM_400000_NS6detail17trampoline_kernelINS0_13select_configILj256ELj13ELNS0_17block_load_methodE3ELS4_3ELS4_3ELNS0_20block_scan_algorithmE0ELj4294967295EEENS1_25partition_config_selectorILNS1_17partition_subalgoE3EjNS0_10empty_typeEbEEZZNS1_14partition_implILS8_3ELb0ES6_jNS0_17counting_iteratorIjlEEPS9_SE_NS0_5tupleIJPjSE_EEENSF_IJSE_SE_EEES9_SG_JZNS1_25segmented_radix_sort_implINS0_14default_configELb0EPKsPsPKlPlN2at6native12_GLOBAL__N_18offset_tEEE10hipError_tPvRmT1_PNSt15iterator_traitsISY_E10value_typeET2_T3_PNSZ_IS14_E10value_typeET4_jRbjT5_S1A_jjP12ihipStream_tbEUljE_EEESV_SW_SX_S14_S18_S1A_T6_T7_T9_mT8_S1C_bDpT10_ENKUlT_T0_E_clISt17integral_constantIbLb1EES1P_EEDaS1K_S1L_EUlS1K_E_NS1_11comp_targetILNS1_3genE8ELNS1_11target_archE1030ELNS1_3gpuE2ELNS1_3repE0EEENS1_30default_config_static_selectorELNS0_4arch9wavefront6targetE0EEEvSY_: ; @_ZN7rocprim17ROCPRIM_400000_NS6detail17trampoline_kernelINS0_13select_configILj256ELj13ELNS0_17block_load_methodE3ELS4_3ELS4_3ELNS0_20block_scan_algorithmE0ELj4294967295EEENS1_25partition_config_selectorILNS1_17partition_subalgoE3EjNS0_10empty_typeEbEEZZNS1_14partition_implILS8_3ELb0ES6_jNS0_17counting_iteratorIjlEEPS9_SE_NS0_5tupleIJPjSE_EEENSF_IJSE_SE_EEES9_SG_JZNS1_25segmented_radix_sort_implINS0_14default_configELb0EPKsPsPKlPlN2at6native12_GLOBAL__N_18offset_tEEE10hipError_tPvRmT1_PNSt15iterator_traitsISY_E10value_typeET2_T3_PNSZ_IS14_E10value_typeET4_jRbjT5_S1A_jjP12ihipStream_tbEUljE_EEESV_SW_SX_S14_S18_S1A_T6_T7_T9_mT8_S1C_bDpT10_ENKUlT_T0_E_clISt17integral_constantIbLb1EES1P_EEDaS1K_S1L_EUlS1K_E_NS1_11comp_targetILNS1_3genE8ELNS1_11target_archE1030ELNS1_3gpuE2ELNS1_3repE0EEENS1_30default_config_static_selectorELNS0_4arch9wavefront6targetE0EEEvSY_
; %bb.0:
	.section	.rodata,"a",@progbits
	.p2align	6, 0x0
	.amdhsa_kernel _ZN7rocprim17ROCPRIM_400000_NS6detail17trampoline_kernelINS0_13select_configILj256ELj13ELNS0_17block_load_methodE3ELS4_3ELS4_3ELNS0_20block_scan_algorithmE0ELj4294967295EEENS1_25partition_config_selectorILNS1_17partition_subalgoE3EjNS0_10empty_typeEbEEZZNS1_14partition_implILS8_3ELb0ES6_jNS0_17counting_iteratorIjlEEPS9_SE_NS0_5tupleIJPjSE_EEENSF_IJSE_SE_EEES9_SG_JZNS1_25segmented_radix_sort_implINS0_14default_configELb0EPKsPsPKlPlN2at6native12_GLOBAL__N_18offset_tEEE10hipError_tPvRmT1_PNSt15iterator_traitsISY_E10value_typeET2_T3_PNSZ_IS14_E10value_typeET4_jRbjT5_S1A_jjP12ihipStream_tbEUljE_EEESV_SW_SX_S14_S18_S1A_T6_T7_T9_mT8_S1C_bDpT10_ENKUlT_T0_E_clISt17integral_constantIbLb1EES1P_EEDaS1K_S1L_EUlS1K_E_NS1_11comp_targetILNS1_3genE8ELNS1_11target_archE1030ELNS1_3gpuE2ELNS1_3repE0EEENS1_30default_config_static_selectorELNS0_4arch9wavefront6targetE0EEEvSY_
		.amdhsa_group_segment_fixed_size 0
		.amdhsa_private_segment_fixed_size 0
		.amdhsa_kernarg_size 152
		.amdhsa_user_sgpr_count 15
		.amdhsa_user_sgpr_dispatch_ptr 0
		.amdhsa_user_sgpr_queue_ptr 0
		.amdhsa_user_sgpr_kernarg_segment_ptr 1
		.amdhsa_user_sgpr_dispatch_id 0
		.amdhsa_user_sgpr_private_segment_size 0
		.amdhsa_wavefront_size32 1
		.amdhsa_uses_dynamic_stack 0
		.amdhsa_enable_private_segment 0
		.amdhsa_system_sgpr_workgroup_id_x 1
		.amdhsa_system_sgpr_workgroup_id_y 0
		.amdhsa_system_sgpr_workgroup_id_z 0
		.amdhsa_system_sgpr_workgroup_info 0
		.amdhsa_system_vgpr_workitem_id 0
		.amdhsa_next_free_vgpr 1
		.amdhsa_next_free_sgpr 1
		.amdhsa_reserve_vcc 0
		.amdhsa_float_round_mode_32 0
		.amdhsa_float_round_mode_16_64 0
		.amdhsa_float_denorm_mode_32 3
		.amdhsa_float_denorm_mode_16_64 3
		.amdhsa_dx10_clamp 1
		.amdhsa_ieee_mode 1
		.amdhsa_fp16_overflow 0
		.amdhsa_workgroup_processor_mode 1
		.amdhsa_memory_ordered 1
		.amdhsa_forward_progress 0
		.amdhsa_shared_vgpr_count 0
		.amdhsa_exception_fp_ieee_invalid_op 0
		.amdhsa_exception_fp_denorm_src 0
		.amdhsa_exception_fp_ieee_div_zero 0
		.amdhsa_exception_fp_ieee_overflow 0
		.amdhsa_exception_fp_ieee_underflow 0
		.amdhsa_exception_fp_ieee_inexact 0
		.amdhsa_exception_int_div_zero 0
	.end_amdhsa_kernel
	.section	.text._ZN7rocprim17ROCPRIM_400000_NS6detail17trampoline_kernelINS0_13select_configILj256ELj13ELNS0_17block_load_methodE3ELS4_3ELS4_3ELNS0_20block_scan_algorithmE0ELj4294967295EEENS1_25partition_config_selectorILNS1_17partition_subalgoE3EjNS0_10empty_typeEbEEZZNS1_14partition_implILS8_3ELb0ES6_jNS0_17counting_iteratorIjlEEPS9_SE_NS0_5tupleIJPjSE_EEENSF_IJSE_SE_EEES9_SG_JZNS1_25segmented_radix_sort_implINS0_14default_configELb0EPKsPsPKlPlN2at6native12_GLOBAL__N_18offset_tEEE10hipError_tPvRmT1_PNSt15iterator_traitsISY_E10value_typeET2_T3_PNSZ_IS14_E10value_typeET4_jRbjT5_S1A_jjP12ihipStream_tbEUljE_EEESV_SW_SX_S14_S18_S1A_T6_T7_T9_mT8_S1C_bDpT10_ENKUlT_T0_E_clISt17integral_constantIbLb1EES1P_EEDaS1K_S1L_EUlS1K_E_NS1_11comp_targetILNS1_3genE8ELNS1_11target_archE1030ELNS1_3gpuE2ELNS1_3repE0EEENS1_30default_config_static_selectorELNS0_4arch9wavefront6targetE0EEEvSY_,"axG",@progbits,_ZN7rocprim17ROCPRIM_400000_NS6detail17trampoline_kernelINS0_13select_configILj256ELj13ELNS0_17block_load_methodE3ELS4_3ELS4_3ELNS0_20block_scan_algorithmE0ELj4294967295EEENS1_25partition_config_selectorILNS1_17partition_subalgoE3EjNS0_10empty_typeEbEEZZNS1_14partition_implILS8_3ELb0ES6_jNS0_17counting_iteratorIjlEEPS9_SE_NS0_5tupleIJPjSE_EEENSF_IJSE_SE_EEES9_SG_JZNS1_25segmented_radix_sort_implINS0_14default_configELb0EPKsPsPKlPlN2at6native12_GLOBAL__N_18offset_tEEE10hipError_tPvRmT1_PNSt15iterator_traitsISY_E10value_typeET2_T3_PNSZ_IS14_E10value_typeET4_jRbjT5_S1A_jjP12ihipStream_tbEUljE_EEESV_SW_SX_S14_S18_S1A_T6_T7_T9_mT8_S1C_bDpT10_ENKUlT_T0_E_clISt17integral_constantIbLb1EES1P_EEDaS1K_S1L_EUlS1K_E_NS1_11comp_targetILNS1_3genE8ELNS1_11target_archE1030ELNS1_3gpuE2ELNS1_3repE0EEENS1_30default_config_static_selectorELNS0_4arch9wavefront6targetE0EEEvSY_,comdat
.Lfunc_end997:
	.size	_ZN7rocprim17ROCPRIM_400000_NS6detail17trampoline_kernelINS0_13select_configILj256ELj13ELNS0_17block_load_methodE3ELS4_3ELS4_3ELNS0_20block_scan_algorithmE0ELj4294967295EEENS1_25partition_config_selectorILNS1_17partition_subalgoE3EjNS0_10empty_typeEbEEZZNS1_14partition_implILS8_3ELb0ES6_jNS0_17counting_iteratorIjlEEPS9_SE_NS0_5tupleIJPjSE_EEENSF_IJSE_SE_EEES9_SG_JZNS1_25segmented_radix_sort_implINS0_14default_configELb0EPKsPsPKlPlN2at6native12_GLOBAL__N_18offset_tEEE10hipError_tPvRmT1_PNSt15iterator_traitsISY_E10value_typeET2_T3_PNSZ_IS14_E10value_typeET4_jRbjT5_S1A_jjP12ihipStream_tbEUljE_EEESV_SW_SX_S14_S18_S1A_T6_T7_T9_mT8_S1C_bDpT10_ENKUlT_T0_E_clISt17integral_constantIbLb1EES1P_EEDaS1K_S1L_EUlS1K_E_NS1_11comp_targetILNS1_3genE8ELNS1_11target_archE1030ELNS1_3gpuE2ELNS1_3repE0EEENS1_30default_config_static_selectorELNS0_4arch9wavefront6targetE0EEEvSY_, .Lfunc_end997-_ZN7rocprim17ROCPRIM_400000_NS6detail17trampoline_kernelINS0_13select_configILj256ELj13ELNS0_17block_load_methodE3ELS4_3ELS4_3ELNS0_20block_scan_algorithmE0ELj4294967295EEENS1_25partition_config_selectorILNS1_17partition_subalgoE3EjNS0_10empty_typeEbEEZZNS1_14partition_implILS8_3ELb0ES6_jNS0_17counting_iteratorIjlEEPS9_SE_NS0_5tupleIJPjSE_EEENSF_IJSE_SE_EEES9_SG_JZNS1_25segmented_radix_sort_implINS0_14default_configELb0EPKsPsPKlPlN2at6native12_GLOBAL__N_18offset_tEEE10hipError_tPvRmT1_PNSt15iterator_traitsISY_E10value_typeET2_T3_PNSZ_IS14_E10value_typeET4_jRbjT5_S1A_jjP12ihipStream_tbEUljE_EEESV_SW_SX_S14_S18_S1A_T6_T7_T9_mT8_S1C_bDpT10_ENKUlT_T0_E_clISt17integral_constantIbLb1EES1P_EEDaS1K_S1L_EUlS1K_E_NS1_11comp_targetILNS1_3genE8ELNS1_11target_archE1030ELNS1_3gpuE2ELNS1_3repE0EEENS1_30default_config_static_selectorELNS0_4arch9wavefront6targetE0EEEvSY_
                                        ; -- End function
	.section	.AMDGPU.csdata,"",@progbits
; Kernel info:
; codeLenInByte = 0
; NumSgprs: 0
; NumVgprs: 0
; ScratchSize: 0
; MemoryBound: 0
; FloatMode: 240
; IeeeMode: 1
; LDSByteSize: 0 bytes/workgroup (compile time only)
; SGPRBlocks: 0
; VGPRBlocks: 0
; NumSGPRsForWavesPerEU: 1
; NumVGPRsForWavesPerEU: 1
; Occupancy: 16
; WaveLimiterHint : 0
; COMPUTE_PGM_RSRC2:SCRATCH_EN: 0
; COMPUTE_PGM_RSRC2:USER_SGPR: 15
; COMPUTE_PGM_RSRC2:TRAP_HANDLER: 0
; COMPUTE_PGM_RSRC2:TGID_X_EN: 1
; COMPUTE_PGM_RSRC2:TGID_Y_EN: 0
; COMPUTE_PGM_RSRC2:TGID_Z_EN: 0
; COMPUTE_PGM_RSRC2:TIDIG_COMP_CNT: 0
	.section	.text._ZN7rocprim17ROCPRIM_400000_NS6detail17trampoline_kernelINS0_13select_configILj256ELj13ELNS0_17block_load_methodE3ELS4_3ELS4_3ELNS0_20block_scan_algorithmE0ELj4294967295EEENS1_25partition_config_selectorILNS1_17partition_subalgoE3EjNS0_10empty_typeEbEEZZNS1_14partition_implILS8_3ELb0ES6_jNS0_17counting_iteratorIjlEEPS9_SE_NS0_5tupleIJPjSE_EEENSF_IJSE_SE_EEES9_SG_JZNS1_25segmented_radix_sort_implINS0_14default_configELb0EPKsPsPKlPlN2at6native12_GLOBAL__N_18offset_tEEE10hipError_tPvRmT1_PNSt15iterator_traitsISY_E10value_typeET2_T3_PNSZ_IS14_E10value_typeET4_jRbjT5_S1A_jjP12ihipStream_tbEUljE_EEESV_SW_SX_S14_S18_S1A_T6_T7_T9_mT8_S1C_bDpT10_ENKUlT_T0_E_clISt17integral_constantIbLb1EES1O_IbLb0EEEEDaS1K_S1L_EUlS1K_E_NS1_11comp_targetILNS1_3genE0ELNS1_11target_archE4294967295ELNS1_3gpuE0ELNS1_3repE0EEENS1_30default_config_static_selectorELNS0_4arch9wavefront6targetE0EEEvSY_,"axG",@progbits,_ZN7rocprim17ROCPRIM_400000_NS6detail17trampoline_kernelINS0_13select_configILj256ELj13ELNS0_17block_load_methodE3ELS4_3ELS4_3ELNS0_20block_scan_algorithmE0ELj4294967295EEENS1_25partition_config_selectorILNS1_17partition_subalgoE3EjNS0_10empty_typeEbEEZZNS1_14partition_implILS8_3ELb0ES6_jNS0_17counting_iteratorIjlEEPS9_SE_NS0_5tupleIJPjSE_EEENSF_IJSE_SE_EEES9_SG_JZNS1_25segmented_radix_sort_implINS0_14default_configELb0EPKsPsPKlPlN2at6native12_GLOBAL__N_18offset_tEEE10hipError_tPvRmT1_PNSt15iterator_traitsISY_E10value_typeET2_T3_PNSZ_IS14_E10value_typeET4_jRbjT5_S1A_jjP12ihipStream_tbEUljE_EEESV_SW_SX_S14_S18_S1A_T6_T7_T9_mT8_S1C_bDpT10_ENKUlT_T0_E_clISt17integral_constantIbLb1EES1O_IbLb0EEEEDaS1K_S1L_EUlS1K_E_NS1_11comp_targetILNS1_3genE0ELNS1_11target_archE4294967295ELNS1_3gpuE0ELNS1_3repE0EEENS1_30default_config_static_selectorELNS0_4arch9wavefront6targetE0EEEvSY_,comdat
	.globl	_ZN7rocprim17ROCPRIM_400000_NS6detail17trampoline_kernelINS0_13select_configILj256ELj13ELNS0_17block_load_methodE3ELS4_3ELS4_3ELNS0_20block_scan_algorithmE0ELj4294967295EEENS1_25partition_config_selectorILNS1_17partition_subalgoE3EjNS0_10empty_typeEbEEZZNS1_14partition_implILS8_3ELb0ES6_jNS0_17counting_iteratorIjlEEPS9_SE_NS0_5tupleIJPjSE_EEENSF_IJSE_SE_EEES9_SG_JZNS1_25segmented_radix_sort_implINS0_14default_configELb0EPKsPsPKlPlN2at6native12_GLOBAL__N_18offset_tEEE10hipError_tPvRmT1_PNSt15iterator_traitsISY_E10value_typeET2_T3_PNSZ_IS14_E10value_typeET4_jRbjT5_S1A_jjP12ihipStream_tbEUljE_EEESV_SW_SX_S14_S18_S1A_T6_T7_T9_mT8_S1C_bDpT10_ENKUlT_T0_E_clISt17integral_constantIbLb1EES1O_IbLb0EEEEDaS1K_S1L_EUlS1K_E_NS1_11comp_targetILNS1_3genE0ELNS1_11target_archE4294967295ELNS1_3gpuE0ELNS1_3repE0EEENS1_30default_config_static_selectorELNS0_4arch9wavefront6targetE0EEEvSY_ ; -- Begin function _ZN7rocprim17ROCPRIM_400000_NS6detail17trampoline_kernelINS0_13select_configILj256ELj13ELNS0_17block_load_methodE3ELS4_3ELS4_3ELNS0_20block_scan_algorithmE0ELj4294967295EEENS1_25partition_config_selectorILNS1_17partition_subalgoE3EjNS0_10empty_typeEbEEZZNS1_14partition_implILS8_3ELb0ES6_jNS0_17counting_iteratorIjlEEPS9_SE_NS0_5tupleIJPjSE_EEENSF_IJSE_SE_EEES9_SG_JZNS1_25segmented_radix_sort_implINS0_14default_configELb0EPKsPsPKlPlN2at6native12_GLOBAL__N_18offset_tEEE10hipError_tPvRmT1_PNSt15iterator_traitsISY_E10value_typeET2_T3_PNSZ_IS14_E10value_typeET4_jRbjT5_S1A_jjP12ihipStream_tbEUljE_EEESV_SW_SX_S14_S18_S1A_T6_T7_T9_mT8_S1C_bDpT10_ENKUlT_T0_E_clISt17integral_constantIbLb1EES1O_IbLb0EEEEDaS1K_S1L_EUlS1K_E_NS1_11comp_targetILNS1_3genE0ELNS1_11target_archE4294967295ELNS1_3gpuE0ELNS1_3repE0EEENS1_30default_config_static_selectorELNS0_4arch9wavefront6targetE0EEEvSY_
	.p2align	8
	.type	_ZN7rocprim17ROCPRIM_400000_NS6detail17trampoline_kernelINS0_13select_configILj256ELj13ELNS0_17block_load_methodE3ELS4_3ELS4_3ELNS0_20block_scan_algorithmE0ELj4294967295EEENS1_25partition_config_selectorILNS1_17partition_subalgoE3EjNS0_10empty_typeEbEEZZNS1_14partition_implILS8_3ELb0ES6_jNS0_17counting_iteratorIjlEEPS9_SE_NS0_5tupleIJPjSE_EEENSF_IJSE_SE_EEES9_SG_JZNS1_25segmented_radix_sort_implINS0_14default_configELb0EPKsPsPKlPlN2at6native12_GLOBAL__N_18offset_tEEE10hipError_tPvRmT1_PNSt15iterator_traitsISY_E10value_typeET2_T3_PNSZ_IS14_E10value_typeET4_jRbjT5_S1A_jjP12ihipStream_tbEUljE_EEESV_SW_SX_S14_S18_S1A_T6_T7_T9_mT8_S1C_bDpT10_ENKUlT_T0_E_clISt17integral_constantIbLb1EES1O_IbLb0EEEEDaS1K_S1L_EUlS1K_E_NS1_11comp_targetILNS1_3genE0ELNS1_11target_archE4294967295ELNS1_3gpuE0ELNS1_3repE0EEENS1_30default_config_static_selectorELNS0_4arch9wavefront6targetE0EEEvSY_,@function
_ZN7rocprim17ROCPRIM_400000_NS6detail17trampoline_kernelINS0_13select_configILj256ELj13ELNS0_17block_load_methodE3ELS4_3ELS4_3ELNS0_20block_scan_algorithmE0ELj4294967295EEENS1_25partition_config_selectorILNS1_17partition_subalgoE3EjNS0_10empty_typeEbEEZZNS1_14partition_implILS8_3ELb0ES6_jNS0_17counting_iteratorIjlEEPS9_SE_NS0_5tupleIJPjSE_EEENSF_IJSE_SE_EEES9_SG_JZNS1_25segmented_radix_sort_implINS0_14default_configELb0EPKsPsPKlPlN2at6native12_GLOBAL__N_18offset_tEEE10hipError_tPvRmT1_PNSt15iterator_traitsISY_E10value_typeET2_T3_PNSZ_IS14_E10value_typeET4_jRbjT5_S1A_jjP12ihipStream_tbEUljE_EEESV_SW_SX_S14_S18_S1A_T6_T7_T9_mT8_S1C_bDpT10_ENKUlT_T0_E_clISt17integral_constantIbLb1EES1O_IbLb0EEEEDaS1K_S1L_EUlS1K_E_NS1_11comp_targetILNS1_3genE0ELNS1_11target_archE4294967295ELNS1_3gpuE0ELNS1_3repE0EEENS1_30default_config_static_selectorELNS0_4arch9wavefront6targetE0EEEvSY_: ; @_ZN7rocprim17ROCPRIM_400000_NS6detail17trampoline_kernelINS0_13select_configILj256ELj13ELNS0_17block_load_methodE3ELS4_3ELS4_3ELNS0_20block_scan_algorithmE0ELj4294967295EEENS1_25partition_config_selectorILNS1_17partition_subalgoE3EjNS0_10empty_typeEbEEZZNS1_14partition_implILS8_3ELb0ES6_jNS0_17counting_iteratorIjlEEPS9_SE_NS0_5tupleIJPjSE_EEENSF_IJSE_SE_EEES9_SG_JZNS1_25segmented_radix_sort_implINS0_14default_configELb0EPKsPsPKlPlN2at6native12_GLOBAL__N_18offset_tEEE10hipError_tPvRmT1_PNSt15iterator_traitsISY_E10value_typeET2_T3_PNSZ_IS14_E10value_typeET4_jRbjT5_S1A_jjP12ihipStream_tbEUljE_EEESV_SW_SX_S14_S18_S1A_T6_T7_T9_mT8_S1C_bDpT10_ENKUlT_T0_E_clISt17integral_constantIbLb1EES1O_IbLb0EEEEDaS1K_S1L_EUlS1K_E_NS1_11comp_targetILNS1_3genE0ELNS1_11target_archE4294967295ELNS1_3gpuE0ELNS1_3repE0EEENS1_30default_config_static_selectorELNS0_4arch9wavefront6targetE0EEEvSY_
; %bb.0:
	.section	.rodata,"a",@progbits
	.p2align	6, 0x0
	.amdhsa_kernel _ZN7rocprim17ROCPRIM_400000_NS6detail17trampoline_kernelINS0_13select_configILj256ELj13ELNS0_17block_load_methodE3ELS4_3ELS4_3ELNS0_20block_scan_algorithmE0ELj4294967295EEENS1_25partition_config_selectorILNS1_17partition_subalgoE3EjNS0_10empty_typeEbEEZZNS1_14partition_implILS8_3ELb0ES6_jNS0_17counting_iteratorIjlEEPS9_SE_NS0_5tupleIJPjSE_EEENSF_IJSE_SE_EEES9_SG_JZNS1_25segmented_radix_sort_implINS0_14default_configELb0EPKsPsPKlPlN2at6native12_GLOBAL__N_18offset_tEEE10hipError_tPvRmT1_PNSt15iterator_traitsISY_E10value_typeET2_T3_PNSZ_IS14_E10value_typeET4_jRbjT5_S1A_jjP12ihipStream_tbEUljE_EEESV_SW_SX_S14_S18_S1A_T6_T7_T9_mT8_S1C_bDpT10_ENKUlT_T0_E_clISt17integral_constantIbLb1EES1O_IbLb0EEEEDaS1K_S1L_EUlS1K_E_NS1_11comp_targetILNS1_3genE0ELNS1_11target_archE4294967295ELNS1_3gpuE0ELNS1_3repE0EEENS1_30default_config_static_selectorELNS0_4arch9wavefront6targetE0EEEvSY_
		.amdhsa_group_segment_fixed_size 0
		.amdhsa_private_segment_fixed_size 0
		.amdhsa_kernarg_size 144
		.amdhsa_user_sgpr_count 15
		.amdhsa_user_sgpr_dispatch_ptr 0
		.amdhsa_user_sgpr_queue_ptr 0
		.amdhsa_user_sgpr_kernarg_segment_ptr 1
		.amdhsa_user_sgpr_dispatch_id 0
		.amdhsa_user_sgpr_private_segment_size 0
		.amdhsa_wavefront_size32 1
		.amdhsa_uses_dynamic_stack 0
		.amdhsa_enable_private_segment 0
		.amdhsa_system_sgpr_workgroup_id_x 1
		.amdhsa_system_sgpr_workgroup_id_y 0
		.amdhsa_system_sgpr_workgroup_id_z 0
		.amdhsa_system_sgpr_workgroup_info 0
		.amdhsa_system_vgpr_workitem_id 0
		.amdhsa_next_free_vgpr 1
		.amdhsa_next_free_sgpr 1
		.amdhsa_reserve_vcc 0
		.amdhsa_float_round_mode_32 0
		.amdhsa_float_round_mode_16_64 0
		.amdhsa_float_denorm_mode_32 3
		.amdhsa_float_denorm_mode_16_64 3
		.amdhsa_dx10_clamp 1
		.amdhsa_ieee_mode 1
		.amdhsa_fp16_overflow 0
		.amdhsa_workgroup_processor_mode 1
		.amdhsa_memory_ordered 1
		.amdhsa_forward_progress 0
		.amdhsa_shared_vgpr_count 0
		.amdhsa_exception_fp_ieee_invalid_op 0
		.amdhsa_exception_fp_denorm_src 0
		.amdhsa_exception_fp_ieee_div_zero 0
		.amdhsa_exception_fp_ieee_overflow 0
		.amdhsa_exception_fp_ieee_underflow 0
		.amdhsa_exception_fp_ieee_inexact 0
		.amdhsa_exception_int_div_zero 0
	.end_amdhsa_kernel
	.section	.text._ZN7rocprim17ROCPRIM_400000_NS6detail17trampoline_kernelINS0_13select_configILj256ELj13ELNS0_17block_load_methodE3ELS4_3ELS4_3ELNS0_20block_scan_algorithmE0ELj4294967295EEENS1_25partition_config_selectorILNS1_17partition_subalgoE3EjNS0_10empty_typeEbEEZZNS1_14partition_implILS8_3ELb0ES6_jNS0_17counting_iteratorIjlEEPS9_SE_NS0_5tupleIJPjSE_EEENSF_IJSE_SE_EEES9_SG_JZNS1_25segmented_radix_sort_implINS0_14default_configELb0EPKsPsPKlPlN2at6native12_GLOBAL__N_18offset_tEEE10hipError_tPvRmT1_PNSt15iterator_traitsISY_E10value_typeET2_T3_PNSZ_IS14_E10value_typeET4_jRbjT5_S1A_jjP12ihipStream_tbEUljE_EEESV_SW_SX_S14_S18_S1A_T6_T7_T9_mT8_S1C_bDpT10_ENKUlT_T0_E_clISt17integral_constantIbLb1EES1O_IbLb0EEEEDaS1K_S1L_EUlS1K_E_NS1_11comp_targetILNS1_3genE0ELNS1_11target_archE4294967295ELNS1_3gpuE0ELNS1_3repE0EEENS1_30default_config_static_selectorELNS0_4arch9wavefront6targetE0EEEvSY_,"axG",@progbits,_ZN7rocprim17ROCPRIM_400000_NS6detail17trampoline_kernelINS0_13select_configILj256ELj13ELNS0_17block_load_methodE3ELS4_3ELS4_3ELNS0_20block_scan_algorithmE0ELj4294967295EEENS1_25partition_config_selectorILNS1_17partition_subalgoE3EjNS0_10empty_typeEbEEZZNS1_14partition_implILS8_3ELb0ES6_jNS0_17counting_iteratorIjlEEPS9_SE_NS0_5tupleIJPjSE_EEENSF_IJSE_SE_EEES9_SG_JZNS1_25segmented_radix_sort_implINS0_14default_configELb0EPKsPsPKlPlN2at6native12_GLOBAL__N_18offset_tEEE10hipError_tPvRmT1_PNSt15iterator_traitsISY_E10value_typeET2_T3_PNSZ_IS14_E10value_typeET4_jRbjT5_S1A_jjP12ihipStream_tbEUljE_EEESV_SW_SX_S14_S18_S1A_T6_T7_T9_mT8_S1C_bDpT10_ENKUlT_T0_E_clISt17integral_constantIbLb1EES1O_IbLb0EEEEDaS1K_S1L_EUlS1K_E_NS1_11comp_targetILNS1_3genE0ELNS1_11target_archE4294967295ELNS1_3gpuE0ELNS1_3repE0EEENS1_30default_config_static_selectorELNS0_4arch9wavefront6targetE0EEEvSY_,comdat
.Lfunc_end998:
	.size	_ZN7rocprim17ROCPRIM_400000_NS6detail17trampoline_kernelINS0_13select_configILj256ELj13ELNS0_17block_load_methodE3ELS4_3ELS4_3ELNS0_20block_scan_algorithmE0ELj4294967295EEENS1_25partition_config_selectorILNS1_17partition_subalgoE3EjNS0_10empty_typeEbEEZZNS1_14partition_implILS8_3ELb0ES6_jNS0_17counting_iteratorIjlEEPS9_SE_NS0_5tupleIJPjSE_EEENSF_IJSE_SE_EEES9_SG_JZNS1_25segmented_radix_sort_implINS0_14default_configELb0EPKsPsPKlPlN2at6native12_GLOBAL__N_18offset_tEEE10hipError_tPvRmT1_PNSt15iterator_traitsISY_E10value_typeET2_T3_PNSZ_IS14_E10value_typeET4_jRbjT5_S1A_jjP12ihipStream_tbEUljE_EEESV_SW_SX_S14_S18_S1A_T6_T7_T9_mT8_S1C_bDpT10_ENKUlT_T0_E_clISt17integral_constantIbLb1EES1O_IbLb0EEEEDaS1K_S1L_EUlS1K_E_NS1_11comp_targetILNS1_3genE0ELNS1_11target_archE4294967295ELNS1_3gpuE0ELNS1_3repE0EEENS1_30default_config_static_selectorELNS0_4arch9wavefront6targetE0EEEvSY_, .Lfunc_end998-_ZN7rocprim17ROCPRIM_400000_NS6detail17trampoline_kernelINS0_13select_configILj256ELj13ELNS0_17block_load_methodE3ELS4_3ELS4_3ELNS0_20block_scan_algorithmE0ELj4294967295EEENS1_25partition_config_selectorILNS1_17partition_subalgoE3EjNS0_10empty_typeEbEEZZNS1_14partition_implILS8_3ELb0ES6_jNS0_17counting_iteratorIjlEEPS9_SE_NS0_5tupleIJPjSE_EEENSF_IJSE_SE_EEES9_SG_JZNS1_25segmented_radix_sort_implINS0_14default_configELb0EPKsPsPKlPlN2at6native12_GLOBAL__N_18offset_tEEE10hipError_tPvRmT1_PNSt15iterator_traitsISY_E10value_typeET2_T3_PNSZ_IS14_E10value_typeET4_jRbjT5_S1A_jjP12ihipStream_tbEUljE_EEESV_SW_SX_S14_S18_S1A_T6_T7_T9_mT8_S1C_bDpT10_ENKUlT_T0_E_clISt17integral_constantIbLb1EES1O_IbLb0EEEEDaS1K_S1L_EUlS1K_E_NS1_11comp_targetILNS1_3genE0ELNS1_11target_archE4294967295ELNS1_3gpuE0ELNS1_3repE0EEENS1_30default_config_static_selectorELNS0_4arch9wavefront6targetE0EEEvSY_
                                        ; -- End function
	.section	.AMDGPU.csdata,"",@progbits
; Kernel info:
; codeLenInByte = 0
; NumSgprs: 0
; NumVgprs: 0
; ScratchSize: 0
; MemoryBound: 0
; FloatMode: 240
; IeeeMode: 1
; LDSByteSize: 0 bytes/workgroup (compile time only)
; SGPRBlocks: 0
; VGPRBlocks: 0
; NumSGPRsForWavesPerEU: 1
; NumVGPRsForWavesPerEU: 1
; Occupancy: 16
; WaveLimiterHint : 0
; COMPUTE_PGM_RSRC2:SCRATCH_EN: 0
; COMPUTE_PGM_RSRC2:USER_SGPR: 15
; COMPUTE_PGM_RSRC2:TRAP_HANDLER: 0
; COMPUTE_PGM_RSRC2:TGID_X_EN: 1
; COMPUTE_PGM_RSRC2:TGID_Y_EN: 0
; COMPUTE_PGM_RSRC2:TGID_Z_EN: 0
; COMPUTE_PGM_RSRC2:TIDIG_COMP_CNT: 0
	.section	.text._ZN7rocprim17ROCPRIM_400000_NS6detail17trampoline_kernelINS0_13select_configILj256ELj13ELNS0_17block_load_methodE3ELS4_3ELS4_3ELNS0_20block_scan_algorithmE0ELj4294967295EEENS1_25partition_config_selectorILNS1_17partition_subalgoE3EjNS0_10empty_typeEbEEZZNS1_14partition_implILS8_3ELb0ES6_jNS0_17counting_iteratorIjlEEPS9_SE_NS0_5tupleIJPjSE_EEENSF_IJSE_SE_EEES9_SG_JZNS1_25segmented_radix_sort_implINS0_14default_configELb0EPKsPsPKlPlN2at6native12_GLOBAL__N_18offset_tEEE10hipError_tPvRmT1_PNSt15iterator_traitsISY_E10value_typeET2_T3_PNSZ_IS14_E10value_typeET4_jRbjT5_S1A_jjP12ihipStream_tbEUljE_EEESV_SW_SX_S14_S18_S1A_T6_T7_T9_mT8_S1C_bDpT10_ENKUlT_T0_E_clISt17integral_constantIbLb1EES1O_IbLb0EEEEDaS1K_S1L_EUlS1K_E_NS1_11comp_targetILNS1_3genE5ELNS1_11target_archE942ELNS1_3gpuE9ELNS1_3repE0EEENS1_30default_config_static_selectorELNS0_4arch9wavefront6targetE0EEEvSY_,"axG",@progbits,_ZN7rocprim17ROCPRIM_400000_NS6detail17trampoline_kernelINS0_13select_configILj256ELj13ELNS0_17block_load_methodE3ELS4_3ELS4_3ELNS0_20block_scan_algorithmE0ELj4294967295EEENS1_25partition_config_selectorILNS1_17partition_subalgoE3EjNS0_10empty_typeEbEEZZNS1_14partition_implILS8_3ELb0ES6_jNS0_17counting_iteratorIjlEEPS9_SE_NS0_5tupleIJPjSE_EEENSF_IJSE_SE_EEES9_SG_JZNS1_25segmented_radix_sort_implINS0_14default_configELb0EPKsPsPKlPlN2at6native12_GLOBAL__N_18offset_tEEE10hipError_tPvRmT1_PNSt15iterator_traitsISY_E10value_typeET2_T3_PNSZ_IS14_E10value_typeET4_jRbjT5_S1A_jjP12ihipStream_tbEUljE_EEESV_SW_SX_S14_S18_S1A_T6_T7_T9_mT8_S1C_bDpT10_ENKUlT_T0_E_clISt17integral_constantIbLb1EES1O_IbLb0EEEEDaS1K_S1L_EUlS1K_E_NS1_11comp_targetILNS1_3genE5ELNS1_11target_archE942ELNS1_3gpuE9ELNS1_3repE0EEENS1_30default_config_static_selectorELNS0_4arch9wavefront6targetE0EEEvSY_,comdat
	.globl	_ZN7rocprim17ROCPRIM_400000_NS6detail17trampoline_kernelINS0_13select_configILj256ELj13ELNS0_17block_load_methodE3ELS4_3ELS4_3ELNS0_20block_scan_algorithmE0ELj4294967295EEENS1_25partition_config_selectorILNS1_17partition_subalgoE3EjNS0_10empty_typeEbEEZZNS1_14partition_implILS8_3ELb0ES6_jNS0_17counting_iteratorIjlEEPS9_SE_NS0_5tupleIJPjSE_EEENSF_IJSE_SE_EEES9_SG_JZNS1_25segmented_radix_sort_implINS0_14default_configELb0EPKsPsPKlPlN2at6native12_GLOBAL__N_18offset_tEEE10hipError_tPvRmT1_PNSt15iterator_traitsISY_E10value_typeET2_T3_PNSZ_IS14_E10value_typeET4_jRbjT5_S1A_jjP12ihipStream_tbEUljE_EEESV_SW_SX_S14_S18_S1A_T6_T7_T9_mT8_S1C_bDpT10_ENKUlT_T0_E_clISt17integral_constantIbLb1EES1O_IbLb0EEEEDaS1K_S1L_EUlS1K_E_NS1_11comp_targetILNS1_3genE5ELNS1_11target_archE942ELNS1_3gpuE9ELNS1_3repE0EEENS1_30default_config_static_selectorELNS0_4arch9wavefront6targetE0EEEvSY_ ; -- Begin function _ZN7rocprim17ROCPRIM_400000_NS6detail17trampoline_kernelINS0_13select_configILj256ELj13ELNS0_17block_load_methodE3ELS4_3ELS4_3ELNS0_20block_scan_algorithmE0ELj4294967295EEENS1_25partition_config_selectorILNS1_17partition_subalgoE3EjNS0_10empty_typeEbEEZZNS1_14partition_implILS8_3ELb0ES6_jNS0_17counting_iteratorIjlEEPS9_SE_NS0_5tupleIJPjSE_EEENSF_IJSE_SE_EEES9_SG_JZNS1_25segmented_radix_sort_implINS0_14default_configELb0EPKsPsPKlPlN2at6native12_GLOBAL__N_18offset_tEEE10hipError_tPvRmT1_PNSt15iterator_traitsISY_E10value_typeET2_T3_PNSZ_IS14_E10value_typeET4_jRbjT5_S1A_jjP12ihipStream_tbEUljE_EEESV_SW_SX_S14_S18_S1A_T6_T7_T9_mT8_S1C_bDpT10_ENKUlT_T0_E_clISt17integral_constantIbLb1EES1O_IbLb0EEEEDaS1K_S1L_EUlS1K_E_NS1_11comp_targetILNS1_3genE5ELNS1_11target_archE942ELNS1_3gpuE9ELNS1_3repE0EEENS1_30default_config_static_selectorELNS0_4arch9wavefront6targetE0EEEvSY_
	.p2align	8
	.type	_ZN7rocprim17ROCPRIM_400000_NS6detail17trampoline_kernelINS0_13select_configILj256ELj13ELNS0_17block_load_methodE3ELS4_3ELS4_3ELNS0_20block_scan_algorithmE0ELj4294967295EEENS1_25partition_config_selectorILNS1_17partition_subalgoE3EjNS0_10empty_typeEbEEZZNS1_14partition_implILS8_3ELb0ES6_jNS0_17counting_iteratorIjlEEPS9_SE_NS0_5tupleIJPjSE_EEENSF_IJSE_SE_EEES9_SG_JZNS1_25segmented_radix_sort_implINS0_14default_configELb0EPKsPsPKlPlN2at6native12_GLOBAL__N_18offset_tEEE10hipError_tPvRmT1_PNSt15iterator_traitsISY_E10value_typeET2_T3_PNSZ_IS14_E10value_typeET4_jRbjT5_S1A_jjP12ihipStream_tbEUljE_EEESV_SW_SX_S14_S18_S1A_T6_T7_T9_mT8_S1C_bDpT10_ENKUlT_T0_E_clISt17integral_constantIbLb1EES1O_IbLb0EEEEDaS1K_S1L_EUlS1K_E_NS1_11comp_targetILNS1_3genE5ELNS1_11target_archE942ELNS1_3gpuE9ELNS1_3repE0EEENS1_30default_config_static_selectorELNS0_4arch9wavefront6targetE0EEEvSY_,@function
_ZN7rocprim17ROCPRIM_400000_NS6detail17trampoline_kernelINS0_13select_configILj256ELj13ELNS0_17block_load_methodE3ELS4_3ELS4_3ELNS0_20block_scan_algorithmE0ELj4294967295EEENS1_25partition_config_selectorILNS1_17partition_subalgoE3EjNS0_10empty_typeEbEEZZNS1_14partition_implILS8_3ELb0ES6_jNS0_17counting_iteratorIjlEEPS9_SE_NS0_5tupleIJPjSE_EEENSF_IJSE_SE_EEES9_SG_JZNS1_25segmented_radix_sort_implINS0_14default_configELb0EPKsPsPKlPlN2at6native12_GLOBAL__N_18offset_tEEE10hipError_tPvRmT1_PNSt15iterator_traitsISY_E10value_typeET2_T3_PNSZ_IS14_E10value_typeET4_jRbjT5_S1A_jjP12ihipStream_tbEUljE_EEESV_SW_SX_S14_S18_S1A_T6_T7_T9_mT8_S1C_bDpT10_ENKUlT_T0_E_clISt17integral_constantIbLb1EES1O_IbLb0EEEEDaS1K_S1L_EUlS1K_E_NS1_11comp_targetILNS1_3genE5ELNS1_11target_archE942ELNS1_3gpuE9ELNS1_3repE0EEENS1_30default_config_static_selectorELNS0_4arch9wavefront6targetE0EEEvSY_: ; @_ZN7rocprim17ROCPRIM_400000_NS6detail17trampoline_kernelINS0_13select_configILj256ELj13ELNS0_17block_load_methodE3ELS4_3ELS4_3ELNS0_20block_scan_algorithmE0ELj4294967295EEENS1_25partition_config_selectorILNS1_17partition_subalgoE3EjNS0_10empty_typeEbEEZZNS1_14partition_implILS8_3ELb0ES6_jNS0_17counting_iteratorIjlEEPS9_SE_NS0_5tupleIJPjSE_EEENSF_IJSE_SE_EEES9_SG_JZNS1_25segmented_radix_sort_implINS0_14default_configELb0EPKsPsPKlPlN2at6native12_GLOBAL__N_18offset_tEEE10hipError_tPvRmT1_PNSt15iterator_traitsISY_E10value_typeET2_T3_PNSZ_IS14_E10value_typeET4_jRbjT5_S1A_jjP12ihipStream_tbEUljE_EEESV_SW_SX_S14_S18_S1A_T6_T7_T9_mT8_S1C_bDpT10_ENKUlT_T0_E_clISt17integral_constantIbLb1EES1O_IbLb0EEEEDaS1K_S1L_EUlS1K_E_NS1_11comp_targetILNS1_3genE5ELNS1_11target_archE942ELNS1_3gpuE9ELNS1_3repE0EEENS1_30default_config_static_selectorELNS0_4arch9wavefront6targetE0EEEvSY_
; %bb.0:
	.section	.rodata,"a",@progbits
	.p2align	6, 0x0
	.amdhsa_kernel _ZN7rocprim17ROCPRIM_400000_NS6detail17trampoline_kernelINS0_13select_configILj256ELj13ELNS0_17block_load_methodE3ELS4_3ELS4_3ELNS0_20block_scan_algorithmE0ELj4294967295EEENS1_25partition_config_selectorILNS1_17partition_subalgoE3EjNS0_10empty_typeEbEEZZNS1_14partition_implILS8_3ELb0ES6_jNS0_17counting_iteratorIjlEEPS9_SE_NS0_5tupleIJPjSE_EEENSF_IJSE_SE_EEES9_SG_JZNS1_25segmented_radix_sort_implINS0_14default_configELb0EPKsPsPKlPlN2at6native12_GLOBAL__N_18offset_tEEE10hipError_tPvRmT1_PNSt15iterator_traitsISY_E10value_typeET2_T3_PNSZ_IS14_E10value_typeET4_jRbjT5_S1A_jjP12ihipStream_tbEUljE_EEESV_SW_SX_S14_S18_S1A_T6_T7_T9_mT8_S1C_bDpT10_ENKUlT_T0_E_clISt17integral_constantIbLb1EES1O_IbLb0EEEEDaS1K_S1L_EUlS1K_E_NS1_11comp_targetILNS1_3genE5ELNS1_11target_archE942ELNS1_3gpuE9ELNS1_3repE0EEENS1_30default_config_static_selectorELNS0_4arch9wavefront6targetE0EEEvSY_
		.amdhsa_group_segment_fixed_size 0
		.amdhsa_private_segment_fixed_size 0
		.amdhsa_kernarg_size 144
		.amdhsa_user_sgpr_count 15
		.amdhsa_user_sgpr_dispatch_ptr 0
		.amdhsa_user_sgpr_queue_ptr 0
		.amdhsa_user_sgpr_kernarg_segment_ptr 1
		.amdhsa_user_sgpr_dispatch_id 0
		.amdhsa_user_sgpr_private_segment_size 0
		.amdhsa_wavefront_size32 1
		.amdhsa_uses_dynamic_stack 0
		.amdhsa_enable_private_segment 0
		.amdhsa_system_sgpr_workgroup_id_x 1
		.amdhsa_system_sgpr_workgroup_id_y 0
		.amdhsa_system_sgpr_workgroup_id_z 0
		.amdhsa_system_sgpr_workgroup_info 0
		.amdhsa_system_vgpr_workitem_id 0
		.amdhsa_next_free_vgpr 1
		.amdhsa_next_free_sgpr 1
		.amdhsa_reserve_vcc 0
		.amdhsa_float_round_mode_32 0
		.amdhsa_float_round_mode_16_64 0
		.amdhsa_float_denorm_mode_32 3
		.amdhsa_float_denorm_mode_16_64 3
		.amdhsa_dx10_clamp 1
		.amdhsa_ieee_mode 1
		.amdhsa_fp16_overflow 0
		.amdhsa_workgroup_processor_mode 1
		.amdhsa_memory_ordered 1
		.amdhsa_forward_progress 0
		.amdhsa_shared_vgpr_count 0
		.amdhsa_exception_fp_ieee_invalid_op 0
		.amdhsa_exception_fp_denorm_src 0
		.amdhsa_exception_fp_ieee_div_zero 0
		.amdhsa_exception_fp_ieee_overflow 0
		.amdhsa_exception_fp_ieee_underflow 0
		.amdhsa_exception_fp_ieee_inexact 0
		.amdhsa_exception_int_div_zero 0
	.end_amdhsa_kernel
	.section	.text._ZN7rocprim17ROCPRIM_400000_NS6detail17trampoline_kernelINS0_13select_configILj256ELj13ELNS0_17block_load_methodE3ELS4_3ELS4_3ELNS0_20block_scan_algorithmE0ELj4294967295EEENS1_25partition_config_selectorILNS1_17partition_subalgoE3EjNS0_10empty_typeEbEEZZNS1_14partition_implILS8_3ELb0ES6_jNS0_17counting_iteratorIjlEEPS9_SE_NS0_5tupleIJPjSE_EEENSF_IJSE_SE_EEES9_SG_JZNS1_25segmented_radix_sort_implINS0_14default_configELb0EPKsPsPKlPlN2at6native12_GLOBAL__N_18offset_tEEE10hipError_tPvRmT1_PNSt15iterator_traitsISY_E10value_typeET2_T3_PNSZ_IS14_E10value_typeET4_jRbjT5_S1A_jjP12ihipStream_tbEUljE_EEESV_SW_SX_S14_S18_S1A_T6_T7_T9_mT8_S1C_bDpT10_ENKUlT_T0_E_clISt17integral_constantIbLb1EES1O_IbLb0EEEEDaS1K_S1L_EUlS1K_E_NS1_11comp_targetILNS1_3genE5ELNS1_11target_archE942ELNS1_3gpuE9ELNS1_3repE0EEENS1_30default_config_static_selectorELNS0_4arch9wavefront6targetE0EEEvSY_,"axG",@progbits,_ZN7rocprim17ROCPRIM_400000_NS6detail17trampoline_kernelINS0_13select_configILj256ELj13ELNS0_17block_load_methodE3ELS4_3ELS4_3ELNS0_20block_scan_algorithmE0ELj4294967295EEENS1_25partition_config_selectorILNS1_17partition_subalgoE3EjNS0_10empty_typeEbEEZZNS1_14partition_implILS8_3ELb0ES6_jNS0_17counting_iteratorIjlEEPS9_SE_NS0_5tupleIJPjSE_EEENSF_IJSE_SE_EEES9_SG_JZNS1_25segmented_radix_sort_implINS0_14default_configELb0EPKsPsPKlPlN2at6native12_GLOBAL__N_18offset_tEEE10hipError_tPvRmT1_PNSt15iterator_traitsISY_E10value_typeET2_T3_PNSZ_IS14_E10value_typeET4_jRbjT5_S1A_jjP12ihipStream_tbEUljE_EEESV_SW_SX_S14_S18_S1A_T6_T7_T9_mT8_S1C_bDpT10_ENKUlT_T0_E_clISt17integral_constantIbLb1EES1O_IbLb0EEEEDaS1K_S1L_EUlS1K_E_NS1_11comp_targetILNS1_3genE5ELNS1_11target_archE942ELNS1_3gpuE9ELNS1_3repE0EEENS1_30default_config_static_selectorELNS0_4arch9wavefront6targetE0EEEvSY_,comdat
.Lfunc_end999:
	.size	_ZN7rocprim17ROCPRIM_400000_NS6detail17trampoline_kernelINS0_13select_configILj256ELj13ELNS0_17block_load_methodE3ELS4_3ELS4_3ELNS0_20block_scan_algorithmE0ELj4294967295EEENS1_25partition_config_selectorILNS1_17partition_subalgoE3EjNS0_10empty_typeEbEEZZNS1_14partition_implILS8_3ELb0ES6_jNS0_17counting_iteratorIjlEEPS9_SE_NS0_5tupleIJPjSE_EEENSF_IJSE_SE_EEES9_SG_JZNS1_25segmented_radix_sort_implINS0_14default_configELb0EPKsPsPKlPlN2at6native12_GLOBAL__N_18offset_tEEE10hipError_tPvRmT1_PNSt15iterator_traitsISY_E10value_typeET2_T3_PNSZ_IS14_E10value_typeET4_jRbjT5_S1A_jjP12ihipStream_tbEUljE_EEESV_SW_SX_S14_S18_S1A_T6_T7_T9_mT8_S1C_bDpT10_ENKUlT_T0_E_clISt17integral_constantIbLb1EES1O_IbLb0EEEEDaS1K_S1L_EUlS1K_E_NS1_11comp_targetILNS1_3genE5ELNS1_11target_archE942ELNS1_3gpuE9ELNS1_3repE0EEENS1_30default_config_static_selectorELNS0_4arch9wavefront6targetE0EEEvSY_, .Lfunc_end999-_ZN7rocprim17ROCPRIM_400000_NS6detail17trampoline_kernelINS0_13select_configILj256ELj13ELNS0_17block_load_methodE3ELS4_3ELS4_3ELNS0_20block_scan_algorithmE0ELj4294967295EEENS1_25partition_config_selectorILNS1_17partition_subalgoE3EjNS0_10empty_typeEbEEZZNS1_14partition_implILS8_3ELb0ES6_jNS0_17counting_iteratorIjlEEPS9_SE_NS0_5tupleIJPjSE_EEENSF_IJSE_SE_EEES9_SG_JZNS1_25segmented_radix_sort_implINS0_14default_configELb0EPKsPsPKlPlN2at6native12_GLOBAL__N_18offset_tEEE10hipError_tPvRmT1_PNSt15iterator_traitsISY_E10value_typeET2_T3_PNSZ_IS14_E10value_typeET4_jRbjT5_S1A_jjP12ihipStream_tbEUljE_EEESV_SW_SX_S14_S18_S1A_T6_T7_T9_mT8_S1C_bDpT10_ENKUlT_T0_E_clISt17integral_constantIbLb1EES1O_IbLb0EEEEDaS1K_S1L_EUlS1K_E_NS1_11comp_targetILNS1_3genE5ELNS1_11target_archE942ELNS1_3gpuE9ELNS1_3repE0EEENS1_30default_config_static_selectorELNS0_4arch9wavefront6targetE0EEEvSY_
                                        ; -- End function
	.section	.AMDGPU.csdata,"",@progbits
; Kernel info:
; codeLenInByte = 0
; NumSgprs: 0
; NumVgprs: 0
; ScratchSize: 0
; MemoryBound: 0
; FloatMode: 240
; IeeeMode: 1
; LDSByteSize: 0 bytes/workgroup (compile time only)
; SGPRBlocks: 0
; VGPRBlocks: 0
; NumSGPRsForWavesPerEU: 1
; NumVGPRsForWavesPerEU: 1
; Occupancy: 16
; WaveLimiterHint : 0
; COMPUTE_PGM_RSRC2:SCRATCH_EN: 0
; COMPUTE_PGM_RSRC2:USER_SGPR: 15
; COMPUTE_PGM_RSRC2:TRAP_HANDLER: 0
; COMPUTE_PGM_RSRC2:TGID_X_EN: 1
; COMPUTE_PGM_RSRC2:TGID_Y_EN: 0
; COMPUTE_PGM_RSRC2:TGID_Z_EN: 0
; COMPUTE_PGM_RSRC2:TIDIG_COMP_CNT: 0
	.section	.text._ZN7rocprim17ROCPRIM_400000_NS6detail17trampoline_kernelINS0_13select_configILj256ELj13ELNS0_17block_load_methodE3ELS4_3ELS4_3ELNS0_20block_scan_algorithmE0ELj4294967295EEENS1_25partition_config_selectorILNS1_17partition_subalgoE3EjNS0_10empty_typeEbEEZZNS1_14partition_implILS8_3ELb0ES6_jNS0_17counting_iteratorIjlEEPS9_SE_NS0_5tupleIJPjSE_EEENSF_IJSE_SE_EEES9_SG_JZNS1_25segmented_radix_sort_implINS0_14default_configELb0EPKsPsPKlPlN2at6native12_GLOBAL__N_18offset_tEEE10hipError_tPvRmT1_PNSt15iterator_traitsISY_E10value_typeET2_T3_PNSZ_IS14_E10value_typeET4_jRbjT5_S1A_jjP12ihipStream_tbEUljE_EEESV_SW_SX_S14_S18_S1A_T6_T7_T9_mT8_S1C_bDpT10_ENKUlT_T0_E_clISt17integral_constantIbLb1EES1O_IbLb0EEEEDaS1K_S1L_EUlS1K_E_NS1_11comp_targetILNS1_3genE4ELNS1_11target_archE910ELNS1_3gpuE8ELNS1_3repE0EEENS1_30default_config_static_selectorELNS0_4arch9wavefront6targetE0EEEvSY_,"axG",@progbits,_ZN7rocprim17ROCPRIM_400000_NS6detail17trampoline_kernelINS0_13select_configILj256ELj13ELNS0_17block_load_methodE3ELS4_3ELS4_3ELNS0_20block_scan_algorithmE0ELj4294967295EEENS1_25partition_config_selectorILNS1_17partition_subalgoE3EjNS0_10empty_typeEbEEZZNS1_14partition_implILS8_3ELb0ES6_jNS0_17counting_iteratorIjlEEPS9_SE_NS0_5tupleIJPjSE_EEENSF_IJSE_SE_EEES9_SG_JZNS1_25segmented_radix_sort_implINS0_14default_configELb0EPKsPsPKlPlN2at6native12_GLOBAL__N_18offset_tEEE10hipError_tPvRmT1_PNSt15iterator_traitsISY_E10value_typeET2_T3_PNSZ_IS14_E10value_typeET4_jRbjT5_S1A_jjP12ihipStream_tbEUljE_EEESV_SW_SX_S14_S18_S1A_T6_T7_T9_mT8_S1C_bDpT10_ENKUlT_T0_E_clISt17integral_constantIbLb1EES1O_IbLb0EEEEDaS1K_S1L_EUlS1K_E_NS1_11comp_targetILNS1_3genE4ELNS1_11target_archE910ELNS1_3gpuE8ELNS1_3repE0EEENS1_30default_config_static_selectorELNS0_4arch9wavefront6targetE0EEEvSY_,comdat
	.globl	_ZN7rocprim17ROCPRIM_400000_NS6detail17trampoline_kernelINS0_13select_configILj256ELj13ELNS0_17block_load_methodE3ELS4_3ELS4_3ELNS0_20block_scan_algorithmE0ELj4294967295EEENS1_25partition_config_selectorILNS1_17partition_subalgoE3EjNS0_10empty_typeEbEEZZNS1_14partition_implILS8_3ELb0ES6_jNS0_17counting_iteratorIjlEEPS9_SE_NS0_5tupleIJPjSE_EEENSF_IJSE_SE_EEES9_SG_JZNS1_25segmented_radix_sort_implINS0_14default_configELb0EPKsPsPKlPlN2at6native12_GLOBAL__N_18offset_tEEE10hipError_tPvRmT1_PNSt15iterator_traitsISY_E10value_typeET2_T3_PNSZ_IS14_E10value_typeET4_jRbjT5_S1A_jjP12ihipStream_tbEUljE_EEESV_SW_SX_S14_S18_S1A_T6_T7_T9_mT8_S1C_bDpT10_ENKUlT_T0_E_clISt17integral_constantIbLb1EES1O_IbLb0EEEEDaS1K_S1L_EUlS1K_E_NS1_11comp_targetILNS1_3genE4ELNS1_11target_archE910ELNS1_3gpuE8ELNS1_3repE0EEENS1_30default_config_static_selectorELNS0_4arch9wavefront6targetE0EEEvSY_ ; -- Begin function _ZN7rocprim17ROCPRIM_400000_NS6detail17trampoline_kernelINS0_13select_configILj256ELj13ELNS0_17block_load_methodE3ELS4_3ELS4_3ELNS0_20block_scan_algorithmE0ELj4294967295EEENS1_25partition_config_selectorILNS1_17partition_subalgoE3EjNS0_10empty_typeEbEEZZNS1_14partition_implILS8_3ELb0ES6_jNS0_17counting_iteratorIjlEEPS9_SE_NS0_5tupleIJPjSE_EEENSF_IJSE_SE_EEES9_SG_JZNS1_25segmented_radix_sort_implINS0_14default_configELb0EPKsPsPKlPlN2at6native12_GLOBAL__N_18offset_tEEE10hipError_tPvRmT1_PNSt15iterator_traitsISY_E10value_typeET2_T3_PNSZ_IS14_E10value_typeET4_jRbjT5_S1A_jjP12ihipStream_tbEUljE_EEESV_SW_SX_S14_S18_S1A_T6_T7_T9_mT8_S1C_bDpT10_ENKUlT_T0_E_clISt17integral_constantIbLb1EES1O_IbLb0EEEEDaS1K_S1L_EUlS1K_E_NS1_11comp_targetILNS1_3genE4ELNS1_11target_archE910ELNS1_3gpuE8ELNS1_3repE0EEENS1_30default_config_static_selectorELNS0_4arch9wavefront6targetE0EEEvSY_
	.p2align	8
	.type	_ZN7rocprim17ROCPRIM_400000_NS6detail17trampoline_kernelINS0_13select_configILj256ELj13ELNS0_17block_load_methodE3ELS4_3ELS4_3ELNS0_20block_scan_algorithmE0ELj4294967295EEENS1_25partition_config_selectorILNS1_17partition_subalgoE3EjNS0_10empty_typeEbEEZZNS1_14partition_implILS8_3ELb0ES6_jNS0_17counting_iteratorIjlEEPS9_SE_NS0_5tupleIJPjSE_EEENSF_IJSE_SE_EEES9_SG_JZNS1_25segmented_radix_sort_implINS0_14default_configELb0EPKsPsPKlPlN2at6native12_GLOBAL__N_18offset_tEEE10hipError_tPvRmT1_PNSt15iterator_traitsISY_E10value_typeET2_T3_PNSZ_IS14_E10value_typeET4_jRbjT5_S1A_jjP12ihipStream_tbEUljE_EEESV_SW_SX_S14_S18_S1A_T6_T7_T9_mT8_S1C_bDpT10_ENKUlT_T0_E_clISt17integral_constantIbLb1EES1O_IbLb0EEEEDaS1K_S1L_EUlS1K_E_NS1_11comp_targetILNS1_3genE4ELNS1_11target_archE910ELNS1_3gpuE8ELNS1_3repE0EEENS1_30default_config_static_selectorELNS0_4arch9wavefront6targetE0EEEvSY_,@function
_ZN7rocprim17ROCPRIM_400000_NS6detail17trampoline_kernelINS0_13select_configILj256ELj13ELNS0_17block_load_methodE3ELS4_3ELS4_3ELNS0_20block_scan_algorithmE0ELj4294967295EEENS1_25partition_config_selectorILNS1_17partition_subalgoE3EjNS0_10empty_typeEbEEZZNS1_14partition_implILS8_3ELb0ES6_jNS0_17counting_iteratorIjlEEPS9_SE_NS0_5tupleIJPjSE_EEENSF_IJSE_SE_EEES9_SG_JZNS1_25segmented_radix_sort_implINS0_14default_configELb0EPKsPsPKlPlN2at6native12_GLOBAL__N_18offset_tEEE10hipError_tPvRmT1_PNSt15iterator_traitsISY_E10value_typeET2_T3_PNSZ_IS14_E10value_typeET4_jRbjT5_S1A_jjP12ihipStream_tbEUljE_EEESV_SW_SX_S14_S18_S1A_T6_T7_T9_mT8_S1C_bDpT10_ENKUlT_T0_E_clISt17integral_constantIbLb1EES1O_IbLb0EEEEDaS1K_S1L_EUlS1K_E_NS1_11comp_targetILNS1_3genE4ELNS1_11target_archE910ELNS1_3gpuE8ELNS1_3repE0EEENS1_30default_config_static_selectorELNS0_4arch9wavefront6targetE0EEEvSY_: ; @_ZN7rocprim17ROCPRIM_400000_NS6detail17trampoline_kernelINS0_13select_configILj256ELj13ELNS0_17block_load_methodE3ELS4_3ELS4_3ELNS0_20block_scan_algorithmE0ELj4294967295EEENS1_25partition_config_selectorILNS1_17partition_subalgoE3EjNS0_10empty_typeEbEEZZNS1_14partition_implILS8_3ELb0ES6_jNS0_17counting_iteratorIjlEEPS9_SE_NS0_5tupleIJPjSE_EEENSF_IJSE_SE_EEES9_SG_JZNS1_25segmented_radix_sort_implINS0_14default_configELb0EPKsPsPKlPlN2at6native12_GLOBAL__N_18offset_tEEE10hipError_tPvRmT1_PNSt15iterator_traitsISY_E10value_typeET2_T3_PNSZ_IS14_E10value_typeET4_jRbjT5_S1A_jjP12ihipStream_tbEUljE_EEESV_SW_SX_S14_S18_S1A_T6_T7_T9_mT8_S1C_bDpT10_ENKUlT_T0_E_clISt17integral_constantIbLb1EES1O_IbLb0EEEEDaS1K_S1L_EUlS1K_E_NS1_11comp_targetILNS1_3genE4ELNS1_11target_archE910ELNS1_3gpuE8ELNS1_3repE0EEENS1_30default_config_static_selectorELNS0_4arch9wavefront6targetE0EEEvSY_
; %bb.0:
	.section	.rodata,"a",@progbits
	.p2align	6, 0x0
	.amdhsa_kernel _ZN7rocprim17ROCPRIM_400000_NS6detail17trampoline_kernelINS0_13select_configILj256ELj13ELNS0_17block_load_methodE3ELS4_3ELS4_3ELNS0_20block_scan_algorithmE0ELj4294967295EEENS1_25partition_config_selectorILNS1_17partition_subalgoE3EjNS0_10empty_typeEbEEZZNS1_14partition_implILS8_3ELb0ES6_jNS0_17counting_iteratorIjlEEPS9_SE_NS0_5tupleIJPjSE_EEENSF_IJSE_SE_EEES9_SG_JZNS1_25segmented_radix_sort_implINS0_14default_configELb0EPKsPsPKlPlN2at6native12_GLOBAL__N_18offset_tEEE10hipError_tPvRmT1_PNSt15iterator_traitsISY_E10value_typeET2_T3_PNSZ_IS14_E10value_typeET4_jRbjT5_S1A_jjP12ihipStream_tbEUljE_EEESV_SW_SX_S14_S18_S1A_T6_T7_T9_mT8_S1C_bDpT10_ENKUlT_T0_E_clISt17integral_constantIbLb1EES1O_IbLb0EEEEDaS1K_S1L_EUlS1K_E_NS1_11comp_targetILNS1_3genE4ELNS1_11target_archE910ELNS1_3gpuE8ELNS1_3repE0EEENS1_30default_config_static_selectorELNS0_4arch9wavefront6targetE0EEEvSY_
		.amdhsa_group_segment_fixed_size 0
		.amdhsa_private_segment_fixed_size 0
		.amdhsa_kernarg_size 144
		.amdhsa_user_sgpr_count 15
		.amdhsa_user_sgpr_dispatch_ptr 0
		.amdhsa_user_sgpr_queue_ptr 0
		.amdhsa_user_sgpr_kernarg_segment_ptr 1
		.amdhsa_user_sgpr_dispatch_id 0
		.amdhsa_user_sgpr_private_segment_size 0
		.amdhsa_wavefront_size32 1
		.amdhsa_uses_dynamic_stack 0
		.amdhsa_enable_private_segment 0
		.amdhsa_system_sgpr_workgroup_id_x 1
		.amdhsa_system_sgpr_workgroup_id_y 0
		.amdhsa_system_sgpr_workgroup_id_z 0
		.amdhsa_system_sgpr_workgroup_info 0
		.amdhsa_system_vgpr_workitem_id 0
		.amdhsa_next_free_vgpr 1
		.amdhsa_next_free_sgpr 1
		.amdhsa_reserve_vcc 0
		.amdhsa_float_round_mode_32 0
		.amdhsa_float_round_mode_16_64 0
		.amdhsa_float_denorm_mode_32 3
		.amdhsa_float_denorm_mode_16_64 3
		.amdhsa_dx10_clamp 1
		.amdhsa_ieee_mode 1
		.amdhsa_fp16_overflow 0
		.amdhsa_workgroup_processor_mode 1
		.amdhsa_memory_ordered 1
		.amdhsa_forward_progress 0
		.amdhsa_shared_vgpr_count 0
		.amdhsa_exception_fp_ieee_invalid_op 0
		.amdhsa_exception_fp_denorm_src 0
		.amdhsa_exception_fp_ieee_div_zero 0
		.amdhsa_exception_fp_ieee_overflow 0
		.amdhsa_exception_fp_ieee_underflow 0
		.amdhsa_exception_fp_ieee_inexact 0
		.amdhsa_exception_int_div_zero 0
	.end_amdhsa_kernel
	.section	.text._ZN7rocprim17ROCPRIM_400000_NS6detail17trampoline_kernelINS0_13select_configILj256ELj13ELNS0_17block_load_methodE3ELS4_3ELS4_3ELNS0_20block_scan_algorithmE0ELj4294967295EEENS1_25partition_config_selectorILNS1_17partition_subalgoE3EjNS0_10empty_typeEbEEZZNS1_14partition_implILS8_3ELb0ES6_jNS0_17counting_iteratorIjlEEPS9_SE_NS0_5tupleIJPjSE_EEENSF_IJSE_SE_EEES9_SG_JZNS1_25segmented_radix_sort_implINS0_14default_configELb0EPKsPsPKlPlN2at6native12_GLOBAL__N_18offset_tEEE10hipError_tPvRmT1_PNSt15iterator_traitsISY_E10value_typeET2_T3_PNSZ_IS14_E10value_typeET4_jRbjT5_S1A_jjP12ihipStream_tbEUljE_EEESV_SW_SX_S14_S18_S1A_T6_T7_T9_mT8_S1C_bDpT10_ENKUlT_T0_E_clISt17integral_constantIbLb1EES1O_IbLb0EEEEDaS1K_S1L_EUlS1K_E_NS1_11comp_targetILNS1_3genE4ELNS1_11target_archE910ELNS1_3gpuE8ELNS1_3repE0EEENS1_30default_config_static_selectorELNS0_4arch9wavefront6targetE0EEEvSY_,"axG",@progbits,_ZN7rocprim17ROCPRIM_400000_NS6detail17trampoline_kernelINS0_13select_configILj256ELj13ELNS0_17block_load_methodE3ELS4_3ELS4_3ELNS0_20block_scan_algorithmE0ELj4294967295EEENS1_25partition_config_selectorILNS1_17partition_subalgoE3EjNS0_10empty_typeEbEEZZNS1_14partition_implILS8_3ELb0ES6_jNS0_17counting_iteratorIjlEEPS9_SE_NS0_5tupleIJPjSE_EEENSF_IJSE_SE_EEES9_SG_JZNS1_25segmented_radix_sort_implINS0_14default_configELb0EPKsPsPKlPlN2at6native12_GLOBAL__N_18offset_tEEE10hipError_tPvRmT1_PNSt15iterator_traitsISY_E10value_typeET2_T3_PNSZ_IS14_E10value_typeET4_jRbjT5_S1A_jjP12ihipStream_tbEUljE_EEESV_SW_SX_S14_S18_S1A_T6_T7_T9_mT8_S1C_bDpT10_ENKUlT_T0_E_clISt17integral_constantIbLb1EES1O_IbLb0EEEEDaS1K_S1L_EUlS1K_E_NS1_11comp_targetILNS1_3genE4ELNS1_11target_archE910ELNS1_3gpuE8ELNS1_3repE0EEENS1_30default_config_static_selectorELNS0_4arch9wavefront6targetE0EEEvSY_,comdat
.Lfunc_end1000:
	.size	_ZN7rocprim17ROCPRIM_400000_NS6detail17trampoline_kernelINS0_13select_configILj256ELj13ELNS0_17block_load_methodE3ELS4_3ELS4_3ELNS0_20block_scan_algorithmE0ELj4294967295EEENS1_25partition_config_selectorILNS1_17partition_subalgoE3EjNS0_10empty_typeEbEEZZNS1_14partition_implILS8_3ELb0ES6_jNS0_17counting_iteratorIjlEEPS9_SE_NS0_5tupleIJPjSE_EEENSF_IJSE_SE_EEES9_SG_JZNS1_25segmented_radix_sort_implINS0_14default_configELb0EPKsPsPKlPlN2at6native12_GLOBAL__N_18offset_tEEE10hipError_tPvRmT1_PNSt15iterator_traitsISY_E10value_typeET2_T3_PNSZ_IS14_E10value_typeET4_jRbjT5_S1A_jjP12ihipStream_tbEUljE_EEESV_SW_SX_S14_S18_S1A_T6_T7_T9_mT8_S1C_bDpT10_ENKUlT_T0_E_clISt17integral_constantIbLb1EES1O_IbLb0EEEEDaS1K_S1L_EUlS1K_E_NS1_11comp_targetILNS1_3genE4ELNS1_11target_archE910ELNS1_3gpuE8ELNS1_3repE0EEENS1_30default_config_static_selectorELNS0_4arch9wavefront6targetE0EEEvSY_, .Lfunc_end1000-_ZN7rocprim17ROCPRIM_400000_NS6detail17trampoline_kernelINS0_13select_configILj256ELj13ELNS0_17block_load_methodE3ELS4_3ELS4_3ELNS0_20block_scan_algorithmE0ELj4294967295EEENS1_25partition_config_selectorILNS1_17partition_subalgoE3EjNS0_10empty_typeEbEEZZNS1_14partition_implILS8_3ELb0ES6_jNS0_17counting_iteratorIjlEEPS9_SE_NS0_5tupleIJPjSE_EEENSF_IJSE_SE_EEES9_SG_JZNS1_25segmented_radix_sort_implINS0_14default_configELb0EPKsPsPKlPlN2at6native12_GLOBAL__N_18offset_tEEE10hipError_tPvRmT1_PNSt15iterator_traitsISY_E10value_typeET2_T3_PNSZ_IS14_E10value_typeET4_jRbjT5_S1A_jjP12ihipStream_tbEUljE_EEESV_SW_SX_S14_S18_S1A_T6_T7_T9_mT8_S1C_bDpT10_ENKUlT_T0_E_clISt17integral_constantIbLb1EES1O_IbLb0EEEEDaS1K_S1L_EUlS1K_E_NS1_11comp_targetILNS1_3genE4ELNS1_11target_archE910ELNS1_3gpuE8ELNS1_3repE0EEENS1_30default_config_static_selectorELNS0_4arch9wavefront6targetE0EEEvSY_
                                        ; -- End function
	.section	.AMDGPU.csdata,"",@progbits
; Kernel info:
; codeLenInByte = 0
; NumSgprs: 0
; NumVgprs: 0
; ScratchSize: 0
; MemoryBound: 0
; FloatMode: 240
; IeeeMode: 1
; LDSByteSize: 0 bytes/workgroup (compile time only)
; SGPRBlocks: 0
; VGPRBlocks: 0
; NumSGPRsForWavesPerEU: 1
; NumVGPRsForWavesPerEU: 1
; Occupancy: 16
; WaveLimiterHint : 0
; COMPUTE_PGM_RSRC2:SCRATCH_EN: 0
; COMPUTE_PGM_RSRC2:USER_SGPR: 15
; COMPUTE_PGM_RSRC2:TRAP_HANDLER: 0
; COMPUTE_PGM_RSRC2:TGID_X_EN: 1
; COMPUTE_PGM_RSRC2:TGID_Y_EN: 0
; COMPUTE_PGM_RSRC2:TGID_Z_EN: 0
; COMPUTE_PGM_RSRC2:TIDIG_COMP_CNT: 0
	.section	.text._ZN7rocprim17ROCPRIM_400000_NS6detail17trampoline_kernelINS0_13select_configILj256ELj13ELNS0_17block_load_methodE3ELS4_3ELS4_3ELNS0_20block_scan_algorithmE0ELj4294967295EEENS1_25partition_config_selectorILNS1_17partition_subalgoE3EjNS0_10empty_typeEbEEZZNS1_14partition_implILS8_3ELb0ES6_jNS0_17counting_iteratorIjlEEPS9_SE_NS0_5tupleIJPjSE_EEENSF_IJSE_SE_EEES9_SG_JZNS1_25segmented_radix_sort_implINS0_14default_configELb0EPKsPsPKlPlN2at6native12_GLOBAL__N_18offset_tEEE10hipError_tPvRmT1_PNSt15iterator_traitsISY_E10value_typeET2_T3_PNSZ_IS14_E10value_typeET4_jRbjT5_S1A_jjP12ihipStream_tbEUljE_EEESV_SW_SX_S14_S18_S1A_T6_T7_T9_mT8_S1C_bDpT10_ENKUlT_T0_E_clISt17integral_constantIbLb1EES1O_IbLb0EEEEDaS1K_S1L_EUlS1K_E_NS1_11comp_targetILNS1_3genE3ELNS1_11target_archE908ELNS1_3gpuE7ELNS1_3repE0EEENS1_30default_config_static_selectorELNS0_4arch9wavefront6targetE0EEEvSY_,"axG",@progbits,_ZN7rocprim17ROCPRIM_400000_NS6detail17trampoline_kernelINS0_13select_configILj256ELj13ELNS0_17block_load_methodE3ELS4_3ELS4_3ELNS0_20block_scan_algorithmE0ELj4294967295EEENS1_25partition_config_selectorILNS1_17partition_subalgoE3EjNS0_10empty_typeEbEEZZNS1_14partition_implILS8_3ELb0ES6_jNS0_17counting_iteratorIjlEEPS9_SE_NS0_5tupleIJPjSE_EEENSF_IJSE_SE_EEES9_SG_JZNS1_25segmented_radix_sort_implINS0_14default_configELb0EPKsPsPKlPlN2at6native12_GLOBAL__N_18offset_tEEE10hipError_tPvRmT1_PNSt15iterator_traitsISY_E10value_typeET2_T3_PNSZ_IS14_E10value_typeET4_jRbjT5_S1A_jjP12ihipStream_tbEUljE_EEESV_SW_SX_S14_S18_S1A_T6_T7_T9_mT8_S1C_bDpT10_ENKUlT_T0_E_clISt17integral_constantIbLb1EES1O_IbLb0EEEEDaS1K_S1L_EUlS1K_E_NS1_11comp_targetILNS1_3genE3ELNS1_11target_archE908ELNS1_3gpuE7ELNS1_3repE0EEENS1_30default_config_static_selectorELNS0_4arch9wavefront6targetE0EEEvSY_,comdat
	.globl	_ZN7rocprim17ROCPRIM_400000_NS6detail17trampoline_kernelINS0_13select_configILj256ELj13ELNS0_17block_load_methodE3ELS4_3ELS4_3ELNS0_20block_scan_algorithmE0ELj4294967295EEENS1_25partition_config_selectorILNS1_17partition_subalgoE3EjNS0_10empty_typeEbEEZZNS1_14partition_implILS8_3ELb0ES6_jNS0_17counting_iteratorIjlEEPS9_SE_NS0_5tupleIJPjSE_EEENSF_IJSE_SE_EEES9_SG_JZNS1_25segmented_radix_sort_implINS0_14default_configELb0EPKsPsPKlPlN2at6native12_GLOBAL__N_18offset_tEEE10hipError_tPvRmT1_PNSt15iterator_traitsISY_E10value_typeET2_T3_PNSZ_IS14_E10value_typeET4_jRbjT5_S1A_jjP12ihipStream_tbEUljE_EEESV_SW_SX_S14_S18_S1A_T6_T7_T9_mT8_S1C_bDpT10_ENKUlT_T0_E_clISt17integral_constantIbLb1EES1O_IbLb0EEEEDaS1K_S1L_EUlS1K_E_NS1_11comp_targetILNS1_3genE3ELNS1_11target_archE908ELNS1_3gpuE7ELNS1_3repE0EEENS1_30default_config_static_selectorELNS0_4arch9wavefront6targetE0EEEvSY_ ; -- Begin function _ZN7rocprim17ROCPRIM_400000_NS6detail17trampoline_kernelINS0_13select_configILj256ELj13ELNS0_17block_load_methodE3ELS4_3ELS4_3ELNS0_20block_scan_algorithmE0ELj4294967295EEENS1_25partition_config_selectorILNS1_17partition_subalgoE3EjNS0_10empty_typeEbEEZZNS1_14partition_implILS8_3ELb0ES6_jNS0_17counting_iteratorIjlEEPS9_SE_NS0_5tupleIJPjSE_EEENSF_IJSE_SE_EEES9_SG_JZNS1_25segmented_radix_sort_implINS0_14default_configELb0EPKsPsPKlPlN2at6native12_GLOBAL__N_18offset_tEEE10hipError_tPvRmT1_PNSt15iterator_traitsISY_E10value_typeET2_T3_PNSZ_IS14_E10value_typeET4_jRbjT5_S1A_jjP12ihipStream_tbEUljE_EEESV_SW_SX_S14_S18_S1A_T6_T7_T9_mT8_S1C_bDpT10_ENKUlT_T0_E_clISt17integral_constantIbLb1EES1O_IbLb0EEEEDaS1K_S1L_EUlS1K_E_NS1_11comp_targetILNS1_3genE3ELNS1_11target_archE908ELNS1_3gpuE7ELNS1_3repE0EEENS1_30default_config_static_selectorELNS0_4arch9wavefront6targetE0EEEvSY_
	.p2align	8
	.type	_ZN7rocprim17ROCPRIM_400000_NS6detail17trampoline_kernelINS0_13select_configILj256ELj13ELNS0_17block_load_methodE3ELS4_3ELS4_3ELNS0_20block_scan_algorithmE0ELj4294967295EEENS1_25partition_config_selectorILNS1_17partition_subalgoE3EjNS0_10empty_typeEbEEZZNS1_14partition_implILS8_3ELb0ES6_jNS0_17counting_iteratorIjlEEPS9_SE_NS0_5tupleIJPjSE_EEENSF_IJSE_SE_EEES9_SG_JZNS1_25segmented_radix_sort_implINS0_14default_configELb0EPKsPsPKlPlN2at6native12_GLOBAL__N_18offset_tEEE10hipError_tPvRmT1_PNSt15iterator_traitsISY_E10value_typeET2_T3_PNSZ_IS14_E10value_typeET4_jRbjT5_S1A_jjP12ihipStream_tbEUljE_EEESV_SW_SX_S14_S18_S1A_T6_T7_T9_mT8_S1C_bDpT10_ENKUlT_T0_E_clISt17integral_constantIbLb1EES1O_IbLb0EEEEDaS1K_S1L_EUlS1K_E_NS1_11comp_targetILNS1_3genE3ELNS1_11target_archE908ELNS1_3gpuE7ELNS1_3repE0EEENS1_30default_config_static_selectorELNS0_4arch9wavefront6targetE0EEEvSY_,@function
_ZN7rocprim17ROCPRIM_400000_NS6detail17trampoline_kernelINS0_13select_configILj256ELj13ELNS0_17block_load_methodE3ELS4_3ELS4_3ELNS0_20block_scan_algorithmE0ELj4294967295EEENS1_25partition_config_selectorILNS1_17partition_subalgoE3EjNS0_10empty_typeEbEEZZNS1_14partition_implILS8_3ELb0ES6_jNS0_17counting_iteratorIjlEEPS9_SE_NS0_5tupleIJPjSE_EEENSF_IJSE_SE_EEES9_SG_JZNS1_25segmented_radix_sort_implINS0_14default_configELb0EPKsPsPKlPlN2at6native12_GLOBAL__N_18offset_tEEE10hipError_tPvRmT1_PNSt15iterator_traitsISY_E10value_typeET2_T3_PNSZ_IS14_E10value_typeET4_jRbjT5_S1A_jjP12ihipStream_tbEUljE_EEESV_SW_SX_S14_S18_S1A_T6_T7_T9_mT8_S1C_bDpT10_ENKUlT_T0_E_clISt17integral_constantIbLb1EES1O_IbLb0EEEEDaS1K_S1L_EUlS1K_E_NS1_11comp_targetILNS1_3genE3ELNS1_11target_archE908ELNS1_3gpuE7ELNS1_3repE0EEENS1_30default_config_static_selectorELNS0_4arch9wavefront6targetE0EEEvSY_: ; @_ZN7rocprim17ROCPRIM_400000_NS6detail17trampoline_kernelINS0_13select_configILj256ELj13ELNS0_17block_load_methodE3ELS4_3ELS4_3ELNS0_20block_scan_algorithmE0ELj4294967295EEENS1_25partition_config_selectorILNS1_17partition_subalgoE3EjNS0_10empty_typeEbEEZZNS1_14partition_implILS8_3ELb0ES6_jNS0_17counting_iteratorIjlEEPS9_SE_NS0_5tupleIJPjSE_EEENSF_IJSE_SE_EEES9_SG_JZNS1_25segmented_radix_sort_implINS0_14default_configELb0EPKsPsPKlPlN2at6native12_GLOBAL__N_18offset_tEEE10hipError_tPvRmT1_PNSt15iterator_traitsISY_E10value_typeET2_T3_PNSZ_IS14_E10value_typeET4_jRbjT5_S1A_jjP12ihipStream_tbEUljE_EEESV_SW_SX_S14_S18_S1A_T6_T7_T9_mT8_S1C_bDpT10_ENKUlT_T0_E_clISt17integral_constantIbLb1EES1O_IbLb0EEEEDaS1K_S1L_EUlS1K_E_NS1_11comp_targetILNS1_3genE3ELNS1_11target_archE908ELNS1_3gpuE7ELNS1_3repE0EEENS1_30default_config_static_selectorELNS0_4arch9wavefront6targetE0EEEvSY_
; %bb.0:
	.section	.rodata,"a",@progbits
	.p2align	6, 0x0
	.amdhsa_kernel _ZN7rocprim17ROCPRIM_400000_NS6detail17trampoline_kernelINS0_13select_configILj256ELj13ELNS0_17block_load_methodE3ELS4_3ELS4_3ELNS0_20block_scan_algorithmE0ELj4294967295EEENS1_25partition_config_selectorILNS1_17partition_subalgoE3EjNS0_10empty_typeEbEEZZNS1_14partition_implILS8_3ELb0ES6_jNS0_17counting_iteratorIjlEEPS9_SE_NS0_5tupleIJPjSE_EEENSF_IJSE_SE_EEES9_SG_JZNS1_25segmented_radix_sort_implINS0_14default_configELb0EPKsPsPKlPlN2at6native12_GLOBAL__N_18offset_tEEE10hipError_tPvRmT1_PNSt15iterator_traitsISY_E10value_typeET2_T3_PNSZ_IS14_E10value_typeET4_jRbjT5_S1A_jjP12ihipStream_tbEUljE_EEESV_SW_SX_S14_S18_S1A_T6_T7_T9_mT8_S1C_bDpT10_ENKUlT_T0_E_clISt17integral_constantIbLb1EES1O_IbLb0EEEEDaS1K_S1L_EUlS1K_E_NS1_11comp_targetILNS1_3genE3ELNS1_11target_archE908ELNS1_3gpuE7ELNS1_3repE0EEENS1_30default_config_static_selectorELNS0_4arch9wavefront6targetE0EEEvSY_
		.amdhsa_group_segment_fixed_size 0
		.amdhsa_private_segment_fixed_size 0
		.amdhsa_kernarg_size 144
		.amdhsa_user_sgpr_count 15
		.amdhsa_user_sgpr_dispatch_ptr 0
		.amdhsa_user_sgpr_queue_ptr 0
		.amdhsa_user_sgpr_kernarg_segment_ptr 1
		.amdhsa_user_sgpr_dispatch_id 0
		.amdhsa_user_sgpr_private_segment_size 0
		.amdhsa_wavefront_size32 1
		.amdhsa_uses_dynamic_stack 0
		.amdhsa_enable_private_segment 0
		.amdhsa_system_sgpr_workgroup_id_x 1
		.amdhsa_system_sgpr_workgroup_id_y 0
		.amdhsa_system_sgpr_workgroup_id_z 0
		.amdhsa_system_sgpr_workgroup_info 0
		.amdhsa_system_vgpr_workitem_id 0
		.amdhsa_next_free_vgpr 1
		.amdhsa_next_free_sgpr 1
		.amdhsa_reserve_vcc 0
		.amdhsa_float_round_mode_32 0
		.amdhsa_float_round_mode_16_64 0
		.amdhsa_float_denorm_mode_32 3
		.amdhsa_float_denorm_mode_16_64 3
		.amdhsa_dx10_clamp 1
		.amdhsa_ieee_mode 1
		.amdhsa_fp16_overflow 0
		.amdhsa_workgroup_processor_mode 1
		.amdhsa_memory_ordered 1
		.amdhsa_forward_progress 0
		.amdhsa_shared_vgpr_count 0
		.amdhsa_exception_fp_ieee_invalid_op 0
		.amdhsa_exception_fp_denorm_src 0
		.amdhsa_exception_fp_ieee_div_zero 0
		.amdhsa_exception_fp_ieee_overflow 0
		.amdhsa_exception_fp_ieee_underflow 0
		.amdhsa_exception_fp_ieee_inexact 0
		.amdhsa_exception_int_div_zero 0
	.end_amdhsa_kernel
	.section	.text._ZN7rocprim17ROCPRIM_400000_NS6detail17trampoline_kernelINS0_13select_configILj256ELj13ELNS0_17block_load_methodE3ELS4_3ELS4_3ELNS0_20block_scan_algorithmE0ELj4294967295EEENS1_25partition_config_selectorILNS1_17partition_subalgoE3EjNS0_10empty_typeEbEEZZNS1_14partition_implILS8_3ELb0ES6_jNS0_17counting_iteratorIjlEEPS9_SE_NS0_5tupleIJPjSE_EEENSF_IJSE_SE_EEES9_SG_JZNS1_25segmented_radix_sort_implINS0_14default_configELb0EPKsPsPKlPlN2at6native12_GLOBAL__N_18offset_tEEE10hipError_tPvRmT1_PNSt15iterator_traitsISY_E10value_typeET2_T3_PNSZ_IS14_E10value_typeET4_jRbjT5_S1A_jjP12ihipStream_tbEUljE_EEESV_SW_SX_S14_S18_S1A_T6_T7_T9_mT8_S1C_bDpT10_ENKUlT_T0_E_clISt17integral_constantIbLb1EES1O_IbLb0EEEEDaS1K_S1L_EUlS1K_E_NS1_11comp_targetILNS1_3genE3ELNS1_11target_archE908ELNS1_3gpuE7ELNS1_3repE0EEENS1_30default_config_static_selectorELNS0_4arch9wavefront6targetE0EEEvSY_,"axG",@progbits,_ZN7rocprim17ROCPRIM_400000_NS6detail17trampoline_kernelINS0_13select_configILj256ELj13ELNS0_17block_load_methodE3ELS4_3ELS4_3ELNS0_20block_scan_algorithmE0ELj4294967295EEENS1_25partition_config_selectorILNS1_17partition_subalgoE3EjNS0_10empty_typeEbEEZZNS1_14partition_implILS8_3ELb0ES6_jNS0_17counting_iteratorIjlEEPS9_SE_NS0_5tupleIJPjSE_EEENSF_IJSE_SE_EEES9_SG_JZNS1_25segmented_radix_sort_implINS0_14default_configELb0EPKsPsPKlPlN2at6native12_GLOBAL__N_18offset_tEEE10hipError_tPvRmT1_PNSt15iterator_traitsISY_E10value_typeET2_T3_PNSZ_IS14_E10value_typeET4_jRbjT5_S1A_jjP12ihipStream_tbEUljE_EEESV_SW_SX_S14_S18_S1A_T6_T7_T9_mT8_S1C_bDpT10_ENKUlT_T0_E_clISt17integral_constantIbLb1EES1O_IbLb0EEEEDaS1K_S1L_EUlS1K_E_NS1_11comp_targetILNS1_3genE3ELNS1_11target_archE908ELNS1_3gpuE7ELNS1_3repE0EEENS1_30default_config_static_selectorELNS0_4arch9wavefront6targetE0EEEvSY_,comdat
.Lfunc_end1001:
	.size	_ZN7rocprim17ROCPRIM_400000_NS6detail17trampoline_kernelINS0_13select_configILj256ELj13ELNS0_17block_load_methodE3ELS4_3ELS4_3ELNS0_20block_scan_algorithmE0ELj4294967295EEENS1_25partition_config_selectorILNS1_17partition_subalgoE3EjNS0_10empty_typeEbEEZZNS1_14partition_implILS8_3ELb0ES6_jNS0_17counting_iteratorIjlEEPS9_SE_NS0_5tupleIJPjSE_EEENSF_IJSE_SE_EEES9_SG_JZNS1_25segmented_radix_sort_implINS0_14default_configELb0EPKsPsPKlPlN2at6native12_GLOBAL__N_18offset_tEEE10hipError_tPvRmT1_PNSt15iterator_traitsISY_E10value_typeET2_T3_PNSZ_IS14_E10value_typeET4_jRbjT5_S1A_jjP12ihipStream_tbEUljE_EEESV_SW_SX_S14_S18_S1A_T6_T7_T9_mT8_S1C_bDpT10_ENKUlT_T0_E_clISt17integral_constantIbLb1EES1O_IbLb0EEEEDaS1K_S1L_EUlS1K_E_NS1_11comp_targetILNS1_3genE3ELNS1_11target_archE908ELNS1_3gpuE7ELNS1_3repE0EEENS1_30default_config_static_selectorELNS0_4arch9wavefront6targetE0EEEvSY_, .Lfunc_end1001-_ZN7rocprim17ROCPRIM_400000_NS6detail17trampoline_kernelINS0_13select_configILj256ELj13ELNS0_17block_load_methodE3ELS4_3ELS4_3ELNS0_20block_scan_algorithmE0ELj4294967295EEENS1_25partition_config_selectorILNS1_17partition_subalgoE3EjNS0_10empty_typeEbEEZZNS1_14partition_implILS8_3ELb0ES6_jNS0_17counting_iteratorIjlEEPS9_SE_NS0_5tupleIJPjSE_EEENSF_IJSE_SE_EEES9_SG_JZNS1_25segmented_radix_sort_implINS0_14default_configELb0EPKsPsPKlPlN2at6native12_GLOBAL__N_18offset_tEEE10hipError_tPvRmT1_PNSt15iterator_traitsISY_E10value_typeET2_T3_PNSZ_IS14_E10value_typeET4_jRbjT5_S1A_jjP12ihipStream_tbEUljE_EEESV_SW_SX_S14_S18_S1A_T6_T7_T9_mT8_S1C_bDpT10_ENKUlT_T0_E_clISt17integral_constantIbLb1EES1O_IbLb0EEEEDaS1K_S1L_EUlS1K_E_NS1_11comp_targetILNS1_3genE3ELNS1_11target_archE908ELNS1_3gpuE7ELNS1_3repE0EEENS1_30default_config_static_selectorELNS0_4arch9wavefront6targetE0EEEvSY_
                                        ; -- End function
	.section	.AMDGPU.csdata,"",@progbits
; Kernel info:
; codeLenInByte = 0
; NumSgprs: 0
; NumVgprs: 0
; ScratchSize: 0
; MemoryBound: 0
; FloatMode: 240
; IeeeMode: 1
; LDSByteSize: 0 bytes/workgroup (compile time only)
; SGPRBlocks: 0
; VGPRBlocks: 0
; NumSGPRsForWavesPerEU: 1
; NumVGPRsForWavesPerEU: 1
; Occupancy: 16
; WaveLimiterHint : 0
; COMPUTE_PGM_RSRC2:SCRATCH_EN: 0
; COMPUTE_PGM_RSRC2:USER_SGPR: 15
; COMPUTE_PGM_RSRC2:TRAP_HANDLER: 0
; COMPUTE_PGM_RSRC2:TGID_X_EN: 1
; COMPUTE_PGM_RSRC2:TGID_Y_EN: 0
; COMPUTE_PGM_RSRC2:TGID_Z_EN: 0
; COMPUTE_PGM_RSRC2:TIDIG_COMP_CNT: 0
	.section	.text._ZN7rocprim17ROCPRIM_400000_NS6detail17trampoline_kernelINS0_13select_configILj256ELj13ELNS0_17block_load_methodE3ELS4_3ELS4_3ELNS0_20block_scan_algorithmE0ELj4294967295EEENS1_25partition_config_selectorILNS1_17partition_subalgoE3EjNS0_10empty_typeEbEEZZNS1_14partition_implILS8_3ELb0ES6_jNS0_17counting_iteratorIjlEEPS9_SE_NS0_5tupleIJPjSE_EEENSF_IJSE_SE_EEES9_SG_JZNS1_25segmented_radix_sort_implINS0_14default_configELb0EPKsPsPKlPlN2at6native12_GLOBAL__N_18offset_tEEE10hipError_tPvRmT1_PNSt15iterator_traitsISY_E10value_typeET2_T3_PNSZ_IS14_E10value_typeET4_jRbjT5_S1A_jjP12ihipStream_tbEUljE_EEESV_SW_SX_S14_S18_S1A_T6_T7_T9_mT8_S1C_bDpT10_ENKUlT_T0_E_clISt17integral_constantIbLb1EES1O_IbLb0EEEEDaS1K_S1L_EUlS1K_E_NS1_11comp_targetILNS1_3genE2ELNS1_11target_archE906ELNS1_3gpuE6ELNS1_3repE0EEENS1_30default_config_static_selectorELNS0_4arch9wavefront6targetE0EEEvSY_,"axG",@progbits,_ZN7rocprim17ROCPRIM_400000_NS6detail17trampoline_kernelINS0_13select_configILj256ELj13ELNS0_17block_load_methodE3ELS4_3ELS4_3ELNS0_20block_scan_algorithmE0ELj4294967295EEENS1_25partition_config_selectorILNS1_17partition_subalgoE3EjNS0_10empty_typeEbEEZZNS1_14partition_implILS8_3ELb0ES6_jNS0_17counting_iteratorIjlEEPS9_SE_NS0_5tupleIJPjSE_EEENSF_IJSE_SE_EEES9_SG_JZNS1_25segmented_radix_sort_implINS0_14default_configELb0EPKsPsPKlPlN2at6native12_GLOBAL__N_18offset_tEEE10hipError_tPvRmT1_PNSt15iterator_traitsISY_E10value_typeET2_T3_PNSZ_IS14_E10value_typeET4_jRbjT5_S1A_jjP12ihipStream_tbEUljE_EEESV_SW_SX_S14_S18_S1A_T6_T7_T9_mT8_S1C_bDpT10_ENKUlT_T0_E_clISt17integral_constantIbLb1EES1O_IbLb0EEEEDaS1K_S1L_EUlS1K_E_NS1_11comp_targetILNS1_3genE2ELNS1_11target_archE906ELNS1_3gpuE6ELNS1_3repE0EEENS1_30default_config_static_selectorELNS0_4arch9wavefront6targetE0EEEvSY_,comdat
	.globl	_ZN7rocprim17ROCPRIM_400000_NS6detail17trampoline_kernelINS0_13select_configILj256ELj13ELNS0_17block_load_methodE3ELS4_3ELS4_3ELNS0_20block_scan_algorithmE0ELj4294967295EEENS1_25partition_config_selectorILNS1_17partition_subalgoE3EjNS0_10empty_typeEbEEZZNS1_14partition_implILS8_3ELb0ES6_jNS0_17counting_iteratorIjlEEPS9_SE_NS0_5tupleIJPjSE_EEENSF_IJSE_SE_EEES9_SG_JZNS1_25segmented_radix_sort_implINS0_14default_configELb0EPKsPsPKlPlN2at6native12_GLOBAL__N_18offset_tEEE10hipError_tPvRmT1_PNSt15iterator_traitsISY_E10value_typeET2_T3_PNSZ_IS14_E10value_typeET4_jRbjT5_S1A_jjP12ihipStream_tbEUljE_EEESV_SW_SX_S14_S18_S1A_T6_T7_T9_mT8_S1C_bDpT10_ENKUlT_T0_E_clISt17integral_constantIbLb1EES1O_IbLb0EEEEDaS1K_S1L_EUlS1K_E_NS1_11comp_targetILNS1_3genE2ELNS1_11target_archE906ELNS1_3gpuE6ELNS1_3repE0EEENS1_30default_config_static_selectorELNS0_4arch9wavefront6targetE0EEEvSY_ ; -- Begin function _ZN7rocprim17ROCPRIM_400000_NS6detail17trampoline_kernelINS0_13select_configILj256ELj13ELNS0_17block_load_methodE3ELS4_3ELS4_3ELNS0_20block_scan_algorithmE0ELj4294967295EEENS1_25partition_config_selectorILNS1_17partition_subalgoE3EjNS0_10empty_typeEbEEZZNS1_14partition_implILS8_3ELb0ES6_jNS0_17counting_iteratorIjlEEPS9_SE_NS0_5tupleIJPjSE_EEENSF_IJSE_SE_EEES9_SG_JZNS1_25segmented_radix_sort_implINS0_14default_configELb0EPKsPsPKlPlN2at6native12_GLOBAL__N_18offset_tEEE10hipError_tPvRmT1_PNSt15iterator_traitsISY_E10value_typeET2_T3_PNSZ_IS14_E10value_typeET4_jRbjT5_S1A_jjP12ihipStream_tbEUljE_EEESV_SW_SX_S14_S18_S1A_T6_T7_T9_mT8_S1C_bDpT10_ENKUlT_T0_E_clISt17integral_constantIbLb1EES1O_IbLb0EEEEDaS1K_S1L_EUlS1K_E_NS1_11comp_targetILNS1_3genE2ELNS1_11target_archE906ELNS1_3gpuE6ELNS1_3repE0EEENS1_30default_config_static_selectorELNS0_4arch9wavefront6targetE0EEEvSY_
	.p2align	8
	.type	_ZN7rocprim17ROCPRIM_400000_NS6detail17trampoline_kernelINS0_13select_configILj256ELj13ELNS0_17block_load_methodE3ELS4_3ELS4_3ELNS0_20block_scan_algorithmE0ELj4294967295EEENS1_25partition_config_selectorILNS1_17partition_subalgoE3EjNS0_10empty_typeEbEEZZNS1_14partition_implILS8_3ELb0ES6_jNS0_17counting_iteratorIjlEEPS9_SE_NS0_5tupleIJPjSE_EEENSF_IJSE_SE_EEES9_SG_JZNS1_25segmented_radix_sort_implINS0_14default_configELb0EPKsPsPKlPlN2at6native12_GLOBAL__N_18offset_tEEE10hipError_tPvRmT1_PNSt15iterator_traitsISY_E10value_typeET2_T3_PNSZ_IS14_E10value_typeET4_jRbjT5_S1A_jjP12ihipStream_tbEUljE_EEESV_SW_SX_S14_S18_S1A_T6_T7_T9_mT8_S1C_bDpT10_ENKUlT_T0_E_clISt17integral_constantIbLb1EES1O_IbLb0EEEEDaS1K_S1L_EUlS1K_E_NS1_11comp_targetILNS1_3genE2ELNS1_11target_archE906ELNS1_3gpuE6ELNS1_3repE0EEENS1_30default_config_static_selectorELNS0_4arch9wavefront6targetE0EEEvSY_,@function
_ZN7rocprim17ROCPRIM_400000_NS6detail17trampoline_kernelINS0_13select_configILj256ELj13ELNS0_17block_load_methodE3ELS4_3ELS4_3ELNS0_20block_scan_algorithmE0ELj4294967295EEENS1_25partition_config_selectorILNS1_17partition_subalgoE3EjNS0_10empty_typeEbEEZZNS1_14partition_implILS8_3ELb0ES6_jNS0_17counting_iteratorIjlEEPS9_SE_NS0_5tupleIJPjSE_EEENSF_IJSE_SE_EEES9_SG_JZNS1_25segmented_radix_sort_implINS0_14default_configELb0EPKsPsPKlPlN2at6native12_GLOBAL__N_18offset_tEEE10hipError_tPvRmT1_PNSt15iterator_traitsISY_E10value_typeET2_T3_PNSZ_IS14_E10value_typeET4_jRbjT5_S1A_jjP12ihipStream_tbEUljE_EEESV_SW_SX_S14_S18_S1A_T6_T7_T9_mT8_S1C_bDpT10_ENKUlT_T0_E_clISt17integral_constantIbLb1EES1O_IbLb0EEEEDaS1K_S1L_EUlS1K_E_NS1_11comp_targetILNS1_3genE2ELNS1_11target_archE906ELNS1_3gpuE6ELNS1_3repE0EEENS1_30default_config_static_selectorELNS0_4arch9wavefront6targetE0EEEvSY_: ; @_ZN7rocprim17ROCPRIM_400000_NS6detail17trampoline_kernelINS0_13select_configILj256ELj13ELNS0_17block_load_methodE3ELS4_3ELS4_3ELNS0_20block_scan_algorithmE0ELj4294967295EEENS1_25partition_config_selectorILNS1_17partition_subalgoE3EjNS0_10empty_typeEbEEZZNS1_14partition_implILS8_3ELb0ES6_jNS0_17counting_iteratorIjlEEPS9_SE_NS0_5tupleIJPjSE_EEENSF_IJSE_SE_EEES9_SG_JZNS1_25segmented_radix_sort_implINS0_14default_configELb0EPKsPsPKlPlN2at6native12_GLOBAL__N_18offset_tEEE10hipError_tPvRmT1_PNSt15iterator_traitsISY_E10value_typeET2_T3_PNSZ_IS14_E10value_typeET4_jRbjT5_S1A_jjP12ihipStream_tbEUljE_EEESV_SW_SX_S14_S18_S1A_T6_T7_T9_mT8_S1C_bDpT10_ENKUlT_T0_E_clISt17integral_constantIbLb1EES1O_IbLb0EEEEDaS1K_S1L_EUlS1K_E_NS1_11comp_targetILNS1_3genE2ELNS1_11target_archE906ELNS1_3gpuE6ELNS1_3repE0EEENS1_30default_config_static_selectorELNS0_4arch9wavefront6targetE0EEEvSY_
; %bb.0:
	.section	.rodata,"a",@progbits
	.p2align	6, 0x0
	.amdhsa_kernel _ZN7rocprim17ROCPRIM_400000_NS6detail17trampoline_kernelINS0_13select_configILj256ELj13ELNS0_17block_load_methodE3ELS4_3ELS4_3ELNS0_20block_scan_algorithmE0ELj4294967295EEENS1_25partition_config_selectorILNS1_17partition_subalgoE3EjNS0_10empty_typeEbEEZZNS1_14partition_implILS8_3ELb0ES6_jNS0_17counting_iteratorIjlEEPS9_SE_NS0_5tupleIJPjSE_EEENSF_IJSE_SE_EEES9_SG_JZNS1_25segmented_radix_sort_implINS0_14default_configELb0EPKsPsPKlPlN2at6native12_GLOBAL__N_18offset_tEEE10hipError_tPvRmT1_PNSt15iterator_traitsISY_E10value_typeET2_T3_PNSZ_IS14_E10value_typeET4_jRbjT5_S1A_jjP12ihipStream_tbEUljE_EEESV_SW_SX_S14_S18_S1A_T6_T7_T9_mT8_S1C_bDpT10_ENKUlT_T0_E_clISt17integral_constantIbLb1EES1O_IbLb0EEEEDaS1K_S1L_EUlS1K_E_NS1_11comp_targetILNS1_3genE2ELNS1_11target_archE906ELNS1_3gpuE6ELNS1_3repE0EEENS1_30default_config_static_selectorELNS0_4arch9wavefront6targetE0EEEvSY_
		.amdhsa_group_segment_fixed_size 0
		.amdhsa_private_segment_fixed_size 0
		.amdhsa_kernarg_size 144
		.amdhsa_user_sgpr_count 15
		.amdhsa_user_sgpr_dispatch_ptr 0
		.amdhsa_user_sgpr_queue_ptr 0
		.amdhsa_user_sgpr_kernarg_segment_ptr 1
		.amdhsa_user_sgpr_dispatch_id 0
		.amdhsa_user_sgpr_private_segment_size 0
		.amdhsa_wavefront_size32 1
		.amdhsa_uses_dynamic_stack 0
		.amdhsa_enable_private_segment 0
		.amdhsa_system_sgpr_workgroup_id_x 1
		.amdhsa_system_sgpr_workgroup_id_y 0
		.amdhsa_system_sgpr_workgroup_id_z 0
		.amdhsa_system_sgpr_workgroup_info 0
		.amdhsa_system_vgpr_workitem_id 0
		.amdhsa_next_free_vgpr 1
		.amdhsa_next_free_sgpr 1
		.amdhsa_reserve_vcc 0
		.amdhsa_float_round_mode_32 0
		.amdhsa_float_round_mode_16_64 0
		.amdhsa_float_denorm_mode_32 3
		.amdhsa_float_denorm_mode_16_64 3
		.amdhsa_dx10_clamp 1
		.amdhsa_ieee_mode 1
		.amdhsa_fp16_overflow 0
		.amdhsa_workgroup_processor_mode 1
		.amdhsa_memory_ordered 1
		.amdhsa_forward_progress 0
		.amdhsa_shared_vgpr_count 0
		.amdhsa_exception_fp_ieee_invalid_op 0
		.amdhsa_exception_fp_denorm_src 0
		.amdhsa_exception_fp_ieee_div_zero 0
		.amdhsa_exception_fp_ieee_overflow 0
		.amdhsa_exception_fp_ieee_underflow 0
		.amdhsa_exception_fp_ieee_inexact 0
		.amdhsa_exception_int_div_zero 0
	.end_amdhsa_kernel
	.section	.text._ZN7rocprim17ROCPRIM_400000_NS6detail17trampoline_kernelINS0_13select_configILj256ELj13ELNS0_17block_load_methodE3ELS4_3ELS4_3ELNS0_20block_scan_algorithmE0ELj4294967295EEENS1_25partition_config_selectorILNS1_17partition_subalgoE3EjNS0_10empty_typeEbEEZZNS1_14partition_implILS8_3ELb0ES6_jNS0_17counting_iteratorIjlEEPS9_SE_NS0_5tupleIJPjSE_EEENSF_IJSE_SE_EEES9_SG_JZNS1_25segmented_radix_sort_implINS0_14default_configELb0EPKsPsPKlPlN2at6native12_GLOBAL__N_18offset_tEEE10hipError_tPvRmT1_PNSt15iterator_traitsISY_E10value_typeET2_T3_PNSZ_IS14_E10value_typeET4_jRbjT5_S1A_jjP12ihipStream_tbEUljE_EEESV_SW_SX_S14_S18_S1A_T6_T7_T9_mT8_S1C_bDpT10_ENKUlT_T0_E_clISt17integral_constantIbLb1EES1O_IbLb0EEEEDaS1K_S1L_EUlS1K_E_NS1_11comp_targetILNS1_3genE2ELNS1_11target_archE906ELNS1_3gpuE6ELNS1_3repE0EEENS1_30default_config_static_selectorELNS0_4arch9wavefront6targetE0EEEvSY_,"axG",@progbits,_ZN7rocprim17ROCPRIM_400000_NS6detail17trampoline_kernelINS0_13select_configILj256ELj13ELNS0_17block_load_methodE3ELS4_3ELS4_3ELNS0_20block_scan_algorithmE0ELj4294967295EEENS1_25partition_config_selectorILNS1_17partition_subalgoE3EjNS0_10empty_typeEbEEZZNS1_14partition_implILS8_3ELb0ES6_jNS0_17counting_iteratorIjlEEPS9_SE_NS0_5tupleIJPjSE_EEENSF_IJSE_SE_EEES9_SG_JZNS1_25segmented_radix_sort_implINS0_14default_configELb0EPKsPsPKlPlN2at6native12_GLOBAL__N_18offset_tEEE10hipError_tPvRmT1_PNSt15iterator_traitsISY_E10value_typeET2_T3_PNSZ_IS14_E10value_typeET4_jRbjT5_S1A_jjP12ihipStream_tbEUljE_EEESV_SW_SX_S14_S18_S1A_T6_T7_T9_mT8_S1C_bDpT10_ENKUlT_T0_E_clISt17integral_constantIbLb1EES1O_IbLb0EEEEDaS1K_S1L_EUlS1K_E_NS1_11comp_targetILNS1_3genE2ELNS1_11target_archE906ELNS1_3gpuE6ELNS1_3repE0EEENS1_30default_config_static_selectorELNS0_4arch9wavefront6targetE0EEEvSY_,comdat
.Lfunc_end1002:
	.size	_ZN7rocprim17ROCPRIM_400000_NS6detail17trampoline_kernelINS0_13select_configILj256ELj13ELNS0_17block_load_methodE3ELS4_3ELS4_3ELNS0_20block_scan_algorithmE0ELj4294967295EEENS1_25partition_config_selectorILNS1_17partition_subalgoE3EjNS0_10empty_typeEbEEZZNS1_14partition_implILS8_3ELb0ES6_jNS0_17counting_iteratorIjlEEPS9_SE_NS0_5tupleIJPjSE_EEENSF_IJSE_SE_EEES9_SG_JZNS1_25segmented_radix_sort_implINS0_14default_configELb0EPKsPsPKlPlN2at6native12_GLOBAL__N_18offset_tEEE10hipError_tPvRmT1_PNSt15iterator_traitsISY_E10value_typeET2_T3_PNSZ_IS14_E10value_typeET4_jRbjT5_S1A_jjP12ihipStream_tbEUljE_EEESV_SW_SX_S14_S18_S1A_T6_T7_T9_mT8_S1C_bDpT10_ENKUlT_T0_E_clISt17integral_constantIbLb1EES1O_IbLb0EEEEDaS1K_S1L_EUlS1K_E_NS1_11comp_targetILNS1_3genE2ELNS1_11target_archE906ELNS1_3gpuE6ELNS1_3repE0EEENS1_30default_config_static_selectorELNS0_4arch9wavefront6targetE0EEEvSY_, .Lfunc_end1002-_ZN7rocprim17ROCPRIM_400000_NS6detail17trampoline_kernelINS0_13select_configILj256ELj13ELNS0_17block_load_methodE3ELS4_3ELS4_3ELNS0_20block_scan_algorithmE0ELj4294967295EEENS1_25partition_config_selectorILNS1_17partition_subalgoE3EjNS0_10empty_typeEbEEZZNS1_14partition_implILS8_3ELb0ES6_jNS0_17counting_iteratorIjlEEPS9_SE_NS0_5tupleIJPjSE_EEENSF_IJSE_SE_EEES9_SG_JZNS1_25segmented_radix_sort_implINS0_14default_configELb0EPKsPsPKlPlN2at6native12_GLOBAL__N_18offset_tEEE10hipError_tPvRmT1_PNSt15iterator_traitsISY_E10value_typeET2_T3_PNSZ_IS14_E10value_typeET4_jRbjT5_S1A_jjP12ihipStream_tbEUljE_EEESV_SW_SX_S14_S18_S1A_T6_T7_T9_mT8_S1C_bDpT10_ENKUlT_T0_E_clISt17integral_constantIbLb1EES1O_IbLb0EEEEDaS1K_S1L_EUlS1K_E_NS1_11comp_targetILNS1_3genE2ELNS1_11target_archE906ELNS1_3gpuE6ELNS1_3repE0EEENS1_30default_config_static_selectorELNS0_4arch9wavefront6targetE0EEEvSY_
                                        ; -- End function
	.section	.AMDGPU.csdata,"",@progbits
; Kernel info:
; codeLenInByte = 0
; NumSgprs: 0
; NumVgprs: 0
; ScratchSize: 0
; MemoryBound: 0
; FloatMode: 240
; IeeeMode: 1
; LDSByteSize: 0 bytes/workgroup (compile time only)
; SGPRBlocks: 0
; VGPRBlocks: 0
; NumSGPRsForWavesPerEU: 1
; NumVGPRsForWavesPerEU: 1
; Occupancy: 16
; WaveLimiterHint : 0
; COMPUTE_PGM_RSRC2:SCRATCH_EN: 0
; COMPUTE_PGM_RSRC2:USER_SGPR: 15
; COMPUTE_PGM_RSRC2:TRAP_HANDLER: 0
; COMPUTE_PGM_RSRC2:TGID_X_EN: 1
; COMPUTE_PGM_RSRC2:TGID_Y_EN: 0
; COMPUTE_PGM_RSRC2:TGID_Z_EN: 0
; COMPUTE_PGM_RSRC2:TIDIG_COMP_CNT: 0
	.section	.text._ZN7rocprim17ROCPRIM_400000_NS6detail17trampoline_kernelINS0_13select_configILj256ELj13ELNS0_17block_load_methodE3ELS4_3ELS4_3ELNS0_20block_scan_algorithmE0ELj4294967295EEENS1_25partition_config_selectorILNS1_17partition_subalgoE3EjNS0_10empty_typeEbEEZZNS1_14partition_implILS8_3ELb0ES6_jNS0_17counting_iteratorIjlEEPS9_SE_NS0_5tupleIJPjSE_EEENSF_IJSE_SE_EEES9_SG_JZNS1_25segmented_radix_sort_implINS0_14default_configELb0EPKsPsPKlPlN2at6native12_GLOBAL__N_18offset_tEEE10hipError_tPvRmT1_PNSt15iterator_traitsISY_E10value_typeET2_T3_PNSZ_IS14_E10value_typeET4_jRbjT5_S1A_jjP12ihipStream_tbEUljE_EEESV_SW_SX_S14_S18_S1A_T6_T7_T9_mT8_S1C_bDpT10_ENKUlT_T0_E_clISt17integral_constantIbLb1EES1O_IbLb0EEEEDaS1K_S1L_EUlS1K_E_NS1_11comp_targetILNS1_3genE10ELNS1_11target_archE1200ELNS1_3gpuE4ELNS1_3repE0EEENS1_30default_config_static_selectorELNS0_4arch9wavefront6targetE0EEEvSY_,"axG",@progbits,_ZN7rocprim17ROCPRIM_400000_NS6detail17trampoline_kernelINS0_13select_configILj256ELj13ELNS0_17block_load_methodE3ELS4_3ELS4_3ELNS0_20block_scan_algorithmE0ELj4294967295EEENS1_25partition_config_selectorILNS1_17partition_subalgoE3EjNS0_10empty_typeEbEEZZNS1_14partition_implILS8_3ELb0ES6_jNS0_17counting_iteratorIjlEEPS9_SE_NS0_5tupleIJPjSE_EEENSF_IJSE_SE_EEES9_SG_JZNS1_25segmented_radix_sort_implINS0_14default_configELb0EPKsPsPKlPlN2at6native12_GLOBAL__N_18offset_tEEE10hipError_tPvRmT1_PNSt15iterator_traitsISY_E10value_typeET2_T3_PNSZ_IS14_E10value_typeET4_jRbjT5_S1A_jjP12ihipStream_tbEUljE_EEESV_SW_SX_S14_S18_S1A_T6_T7_T9_mT8_S1C_bDpT10_ENKUlT_T0_E_clISt17integral_constantIbLb1EES1O_IbLb0EEEEDaS1K_S1L_EUlS1K_E_NS1_11comp_targetILNS1_3genE10ELNS1_11target_archE1200ELNS1_3gpuE4ELNS1_3repE0EEENS1_30default_config_static_selectorELNS0_4arch9wavefront6targetE0EEEvSY_,comdat
	.globl	_ZN7rocprim17ROCPRIM_400000_NS6detail17trampoline_kernelINS0_13select_configILj256ELj13ELNS0_17block_load_methodE3ELS4_3ELS4_3ELNS0_20block_scan_algorithmE0ELj4294967295EEENS1_25partition_config_selectorILNS1_17partition_subalgoE3EjNS0_10empty_typeEbEEZZNS1_14partition_implILS8_3ELb0ES6_jNS0_17counting_iteratorIjlEEPS9_SE_NS0_5tupleIJPjSE_EEENSF_IJSE_SE_EEES9_SG_JZNS1_25segmented_radix_sort_implINS0_14default_configELb0EPKsPsPKlPlN2at6native12_GLOBAL__N_18offset_tEEE10hipError_tPvRmT1_PNSt15iterator_traitsISY_E10value_typeET2_T3_PNSZ_IS14_E10value_typeET4_jRbjT5_S1A_jjP12ihipStream_tbEUljE_EEESV_SW_SX_S14_S18_S1A_T6_T7_T9_mT8_S1C_bDpT10_ENKUlT_T0_E_clISt17integral_constantIbLb1EES1O_IbLb0EEEEDaS1K_S1L_EUlS1K_E_NS1_11comp_targetILNS1_3genE10ELNS1_11target_archE1200ELNS1_3gpuE4ELNS1_3repE0EEENS1_30default_config_static_selectorELNS0_4arch9wavefront6targetE0EEEvSY_ ; -- Begin function _ZN7rocprim17ROCPRIM_400000_NS6detail17trampoline_kernelINS0_13select_configILj256ELj13ELNS0_17block_load_methodE3ELS4_3ELS4_3ELNS0_20block_scan_algorithmE0ELj4294967295EEENS1_25partition_config_selectorILNS1_17partition_subalgoE3EjNS0_10empty_typeEbEEZZNS1_14partition_implILS8_3ELb0ES6_jNS0_17counting_iteratorIjlEEPS9_SE_NS0_5tupleIJPjSE_EEENSF_IJSE_SE_EEES9_SG_JZNS1_25segmented_radix_sort_implINS0_14default_configELb0EPKsPsPKlPlN2at6native12_GLOBAL__N_18offset_tEEE10hipError_tPvRmT1_PNSt15iterator_traitsISY_E10value_typeET2_T3_PNSZ_IS14_E10value_typeET4_jRbjT5_S1A_jjP12ihipStream_tbEUljE_EEESV_SW_SX_S14_S18_S1A_T6_T7_T9_mT8_S1C_bDpT10_ENKUlT_T0_E_clISt17integral_constantIbLb1EES1O_IbLb0EEEEDaS1K_S1L_EUlS1K_E_NS1_11comp_targetILNS1_3genE10ELNS1_11target_archE1200ELNS1_3gpuE4ELNS1_3repE0EEENS1_30default_config_static_selectorELNS0_4arch9wavefront6targetE0EEEvSY_
	.p2align	8
	.type	_ZN7rocprim17ROCPRIM_400000_NS6detail17trampoline_kernelINS0_13select_configILj256ELj13ELNS0_17block_load_methodE3ELS4_3ELS4_3ELNS0_20block_scan_algorithmE0ELj4294967295EEENS1_25partition_config_selectorILNS1_17partition_subalgoE3EjNS0_10empty_typeEbEEZZNS1_14partition_implILS8_3ELb0ES6_jNS0_17counting_iteratorIjlEEPS9_SE_NS0_5tupleIJPjSE_EEENSF_IJSE_SE_EEES9_SG_JZNS1_25segmented_radix_sort_implINS0_14default_configELb0EPKsPsPKlPlN2at6native12_GLOBAL__N_18offset_tEEE10hipError_tPvRmT1_PNSt15iterator_traitsISY_E10value_typeET2_T3_PNSZ_IS14_E10value_typeET4_jRbjT5_S1A_jjP12ihipStream_tbEUljE_EEESV_SW_SX_S14_S18_S1A_T6_T7_T9_mT8_S1C_bDpT10_ENKUlT_T0_E_clISt17integral_constantIbLb1EES1O_IbLb0EEEEDaS1K_S1L_EUlS1K_E_NS1_11comp_targetILNS1_3genE10ELNS1_11target_archE1200ELNS1_3gpuE4ELNS1_3repE0EEENS1_30default_config_static_selectorELNS0_4arch9wavefront6targetE0EEEvSY_,@function
_ZN7rocprim17ROCPRIM_400000_NS6detail17trampoline_kernelINS0_13select_configILj256ELj13ELNS0_17block_load_methodE3ELS4_3ELS4_3ELNS0_20block_scan_algorithmE0ELj4294967295EEENS1_25partition_config_selectorILNS1_17partition_subalgoE3EjNS0_10empty_typeEbEEZZNS1_14partition_implILS8_3ELb0ES6_jNS0_17counting_iteratorIjlEEPS9_SE_NS0_5tupleIJPjSE_EEENSF_IJSE_SE_EEES9_SG_JZNS1_25segmented_radix_sort_implINS0_14default_configELb0EPKsPsPKlPlN2at6native12_GLOBAL__N_18offset_tEEE10hipError_tPvRmT1_PNSt15iterator_traitsISY_E10value_typeET2_T3_PNSZ_IS14_E10value_typeET4_jRbjT5_S1A_jjP12ihipStream_tbEUljE_EEESV_SW_SX_S14_S18_S1A_T6_T7_T9_mT8_S1C_bDpT10_ENKUlT_T0_E_clISt17integral_constantIbLb1EES1O_IbLb0EEEEDaS1K_S1L_EUlS1K_E_NS1_11comp_targetILNS1_3genE10ELNS1_11target_archE1200ELNS1_3gpuE4ELNS1_3repE0EEENS1_30default_config_static_selectorELNS0_4arch9wavefront6targetE0EEEvSY_: ; @_ZN7rocprim17ROCPRIM_400000_NS6detail17trampoline_kernelINS0_13select_configILj256ELj13ELNS0_17block_load_methodE3ELS4_3ELS4_3ELNS0_20block_scan_algorithmE0ELj4294967295EEENS1_25partition_config_selectorILNS1_17partition_subalgoE3EjNS0_10empty_typeEbEEZZNS1_14partition_implILS8_3ELb0ES6_jNS0_17counting_iteratorIjlEEPS9_SE_NS0_5tupleIJPjSE_EEENSF_IJSE_SE_EEES9_SG_JZNS1_25segmented_radix_sort_implINS0_14default_configELb0EPKsPsPKlPlN2at6native12_GLOBAL__N_18offset_tEEE10hipError_tPvRmT1_PNSt15iterator_traitsISY_E10value_typeET2_T3_PNSZ_IS14_E10value_typeET4_jRbjT5_S1A_jjP12ihipStream_tbEUljE_EEESV_SW_SX_S14_S18_S1A_T6_T7_T9_mT8_S1C_bDpT10_ENKUlT_T0_E_clISt17integral_constantIbLb1EES1O_IbLb0EEEEDaS1K_S1L_EUlS1K_E_NS1_11comp_targetILNS1_3genE10ELNS1_11target_archE1200ELNS1_3gpuE4ELNS1_3repE0EEENS1_30default_config_static_selectorELNS0_4arch9wavefront6targetE0EEEvSY_
; %bb.0:
	.section	.rodata,"a",@progbits
	.p2align	6, 0x0
	.amdhsa_kernel _ZN7rocprim17ROCPRIM_400000_NS6detail17trampoline_kernelINS0_13select_configILj256ELj13ELNS0_17block_load_methodE3ELS4_3ELS4_3ELNS0_20block_scan_algorithmE0ELj4294967295EEENS1_25partition_config_selectorILNS1_17partition_subalgoE3EjNS0_10empty_typeEbEEZZNS1_14partition_implILS8_3ELb0ES6_jNS0_17counting_iteratorIjlEEPS9_SE_NS0_5tupleIJPjSE_EEENSF_IJSE_SE_EEES9_SG_JZNS1_25segmented_radix_sort_implINS0_14default_configELb0EPKsPsPKlPlN2at6native12_GLOBAL__N_18offset_tEEE10hipError_tPvRmT1_PNSt15iterator_traitsISY_E10value_typeET2_T3_PNSZ_IS14_E10value_typeET4_jRbjT5_S1A_jjP12ihipStream_tbEUljE_EEESV_SW_SX_S14_S18_S1A_T6_T7_T9_mT8_S1C_bDpT10_ENKUlT_T0_E_clISt17integral_constantIbLb1EES1O_IbLb0EEEEDaS1K_S1L_EUlS1K_E_NS1_11comp_targetILNS1_3genE10ELNS1_11target_archE1200ELNS1_3gpuE4ELNS1_3repE0EEENS1_30default_config_static_selectorELNS0_4arch9wavefront6targetE0EEEvSY_
		.amdhsa_group_segment_fixed_size 0
		.amdhsa_private_segment_fixed_size 0
		.amdhsa_kernarg_size 144
		.amdhsa_user_sgpr_count 15
		.amdhsa_user_sgpr_dispatch_ptr 0
		.amdhsa_user_sgpr_queue_ptr 0
		.amdhsa_user_sgpr_kernarg_segment_ptr 1
		.amdhsa_user_sgpr_dispatch_id 0
		.amdhsa_user_sgpr_private_segment_size 0
		.amdhsa_wavefront_size32 1
		.amdhsa_uses_dynamic_stack 0
		.amdhsa_enable_private_segment 0
		.amdhsa_system_sgpr_workgroup_id_x 1
		.amdhsa_system_sgpr_workgroup_id_y 0
		.amdhsa_system_sgpr_workgroup_id_z 0
		.amdhsa_system_sgpr_workgroup_info 0
		.amdhsa_system_vgpr_workitem_id 0
		.amdhsa_next_free_vgpr 1
		.amdhsa_next_free_sgpr 1
		.amdhsa_reserve_vcc 0
		.amdhsa_float_round_mode_32 0
		.amdhsa_float_round_mode_16_64 0
		.amdhsa_float_denorm_mode_32 3
		.amdhsa_float_denorm_mode_16_64 3
		.amdhsa_dx10_clamp 1
		.amdhsa_ieee_mode 1
		.amdhsa_fp16_overflow 0
		.amdhsa_workgroup_processor_mode 1
		.amdhsa_memory_ordered 1
		.amdhsa_forward_progress 0
		.amdhsa_shared_vgpr_count 0
		.amdhsa_exception_fp_ieee_invalid_op 0
		.amdhsa_exception_fp_denorm_src 0
		.amdhsa_exception_fp_ieee_div_zero 0
		.amdhsa_exception_fp_ieee_overflow 0
		.amdhsa_exception_fp_ieee_underflow 0
		.amdhsa_exception_fp_ieee_inexact 0
		.amdhsa_exception_int_div_zero 0
	.end_amdhsa_kernel
	.section	.text._ZN7rocprim17ROCPRIM_400000_NS6detail17trampoline_kernelINS0_13select_configILj256ELj13ELNS0_17block_load_methodE3ELS4_3ELS4_3ELNS0_20block_scan_algorithmE0ELj4294967295EEENS1_25partition_config_selectorILNS1_17partition_subalgoE3EjNS0_10empty_typeEbEEZZNS1_14partition_implILS8_3ELb0ES6_jNS0_17counting_iteratorIjlEEPS9_SE_NS0_5tupleIJPjSE_EEENSF_IJSE_SE_EEES9_SG_JZNS1_25segmented_radix_sort_implINS0_14default_configELb0EPKsPsPKlPlN2at6native12_GLOBAL__N_18offset_tEEE10hipError_tPvRmT1_PNSt15iterator_traitsISY_E10value_typeET2_T3_PNSZ_IS14_E10value_typeET4_jRbjT5_S1A_jjP12ihipStream_tbEUljE_EEESV_SW_SX_S14_S18_S1A_T6_T7_T9_mT8_S1C_bDpT10_ENKUlT_T0_E_clISt17integral_constantIbLb1EES1O_IbLb0EEEEDaS1K_S1L_EUlS1K_E_NS1_11comp_targetILNS1_3genE10ELNS1_11target_archE1200ELNS1_3gpuE4ELNS1_3repE0EEENS1_30default_config_static_selectorELNS0_4arch9wavefront6targetE0EEEvSY_,"axG",@progbits,_ZN7rocprim17ROCPRIM_400000_NS6detail17trampoline_kernelINS0_13select_configILj256ELj13ELNS0_17block_load_methodE3ELS4_3ELS4_3ELNS0_20block_scan_algorithmE0ELj4294967295EEENS1_25partition_config_selectorILNS1_17partition_subalgoE3EjNS0_10empty_typeEbEEZZNS1_14partition_implILS8_3ELb0ES6_jNS0_17counting_iteratorIjlEEPS9_SE_NS0_5tupleIJPjSE_EEENSF_IJSE_SE_EEES9_SG_JZNS1_25segmented_radix_sort_implINS0_14default_configELb0EPKsPsPKlPlN2at6native12_GLOBAL__N_18offset_tEEE10hipError_tPvRmT1_PNSt15iterator_traitsISY_E10value_typeET2_T3_PNSZ_IS14_E10value_typeET4_jRbjT5_S1A_jjP12ihipStream_tbEUljE_EEESV_SW_SX_S14_S18_S1A_T6_T7_T9_mT8_S1C_bDpT10_ENKUlT_T0_E_clISt17integral_constantIbLb1EES1O_IbLb0EEEEDaS1K_S1L_EUlS1K_E_NS1_11comp_targetILNS1_3genE10ELNS1_11target_archE1200ELNS1_3gpuE4ELNS1_3repE0EEENS1_30default_config_static_selectorELNS0_4arch9wavefront6targetE0EEEvSY_,comdat
.Lfunc_end1003:
	.size	_ZN7rocprim17ROCPRIM_400000_NS6detail17trampoline_kernelINS0_13select_configILj256ELj13ELNS0_17block_load_methodE3ELS4_3ELS4_3ELNS0_20block_scan_algorithmE0ELj4294967295EEENS1_25partition_config_selectorILNS1_17partition_subalgoE3EjNS0_10empty_typeEbEEZZNS1_14partition_implILS8_3ELb0ES6_jNS0_17counting_iteratorIjlEEPS9_SE_NS0_5tupleIJPjSE_EEENSF_IJSE_SE_EEES9_SG_JZNS1_25segmented_radix_sort_implINS0_14default_configELb0EPKsPsPKlPlN2at6native12_GLOBAL__N_18offset_tEEE10hipError_tPvRmT1_PNSt15iterator_traitsISY_E10value_typeET2_T3_PNSZ_IS14_E10value_typeET4_jRbjT5_S1A_jjP12ihipStream_tbEUljE_EEESV_SW_SX_S14_S18_S1A_T6_T7_T9_mT8_S1C_bDpT10_ENKUlT_T0_E_clISt17integral_constantIbLb1EES1O_IbLb0EEEEDaS1K_S1L_EUlS1K_E_NS1_11comp_targetILNS1_3genE10ELNS1_11target_archE1200ELNS1_3gpuE4ELNS1_3repE0EEENS1_30default_config_static_selectorELNS0_4arch9wavefront6targetE0EEEvSY_, .Lfunc_end1003-_ZN7rocprim17ROCPRIM_400000_NS6detail17trampoline_kernelINS0_13select_configILj256ELj13ELNS0_17block_load_methodE3ELS4_3ELS4_3ELNS0_20block_scan_algorithmE0ELj4294967295EEENS1_25partition_config_selectorILNS1_17partition_subalgoE3EjNS0_10empty_typeEbEEZZNS1_14partition_implILS8_3ELb0ES6_jNS0_17counting_iteratorIjlEEPS9_SE_NS0_5tupleIJPjSE_EEENSF_IJSE_SE_EEES9_SG_JZNS1_25segmented_radix_sort_implINS0_14default_configELb0EPKsPsPKlPlN2at6native12_GLOBAL__N_18offset_tEEE10hipError_tPvRmT1_PNSt15iterator_traitsISY_E10value_typeET2_T3_PNSZ_IS14_E10value_typeET4_jRbjT5_S1A_jjP12ihipStream_tbEUljE_EEESV_SW_SX_S14_S18_S1A_T6_T7_T9_mT8_S1C_bDpT10_ENKUlT_T0_E_clISt17integral_constantIbLb1EES1O_IbLb0EEEEDaS1K_S1L_EUlS1K_E_NS1_11comp_targetILNS1_3genE10ELNS1_11target_archE1200ELNS1_3gpuE4ELNS1_3repE0EEENS1_30default_config_static_selectorELNS0_4arch9wavefront6targetE0EEEvSY_
                                        ; -- End function
	.section	.AMDGPU.csdata,"",@progbits
; Kernel info:
; codeLenInByte = 0
; NumSgprs: 0
; NumVgprs: 0
; ScratchSize: 0
; MemoryBound: 0
; FloatMode: 240
; IeeeMode: 1
; LDSByteSize: 0 bytes/workgroup (compile time only)
; SGPRBlocks: 0
; VGPRBlocks: 0
; NumSGPRsForWavesPerEU: 1
; NumVGPRsForWavesPerEU: 1
; Occupancy: 16
; WaveLimiterHint : 0
; COMPUTE_PGM_RSRC2:SCRATCH_EN: 0
; COMPUTE_PGM_RSRC2:USER_SGPR: 15
; COMPUTE_PGM_RSRC2:TRAP_HANDLER: 0
; COMPUTE_PGM_RSRC2:TGID_X_EN: 1
; COMPUTE_PGM_RSRC2:TGID_Y_EN: 0
; COMPUTE_PGM_RSRC2:TGID_Z_EN: 0
; COMPUTE_PGM_RSRC2:TIDIG_COMP_CNT: 0
	.section	.text._ZN7rocprim17ROCPRIM_400000_NS6detail17trampoline_kernelINS0_13select_configILj256ELj13ELNS0_17block_load_methodE3ELS4_3ELS4_3ELNS0_20block_scan_algorithmE0ELj4294967295EEENS1_25partition_config_selectorILNS1_17partition_subalgoE3EjNS0_10empty_typeEbEEZZNS1_14partition_implILS8_3ELb0ES6_jNS0_17counting_iteratorIjlEEPS9_SE_NS0_5tupleIJPjSE_EEENSF_IJSE_SE_EEES9_SG_JZNS1_25segmented_radix_sort_implINS0_14default_configELb0EPKsPsPKlPlN2at6native12_GLOBAL__N_18offset_tEEE10hipError_tPvRmT1_PNSt15iterator_traitsISY_E10value_typeET2_T3_PNSZ_IS14_E10value_typeET4_jRbjT5_S1A_jjP12ihipStream_tbEUljE_EEESV_SW_SX_S14_S18_S1A_T6_T7_T9_mT8_S1C_bDpT10_ENKUlT_T0_E_clISt17integral_constantIbLb1EES1O_IbLb0EEEEDaS1K_S1L_EUlS1K_E_NS1_11comp_targetILNS1_3genE9ELNS1_11target_archE1100ELNS1_3gpuE3ELNS1_3repE0EEENS1_30default_config_static_selectorELNS0_4arch9wavefront6targetE0EEEvSY_,"axG",@progbits,_ZN7rocprim17ROCPRIM_400000_NS6detail17trampoline_kernelINS0_13select_configILj256ELj13ELNS0_17block_load_methodE3ELS4_3ELS4_3ELNS0_20block_scan_algorithmE0ELj4294967295EEENS1_25partition_config_selectorILNS1_17partition_subalgoE3EjNS0_10empty_typeEbEEZZNS1_14partition_implILS8_3ELb0ES6_jNS0_17counting_iteratorIjlEEPS9_SE_NS0_5tupleIJPjSE_EEENSF_IJSE_SE_EEES9_SG_JZNS1_25segmented_radix_sort_implINS0_14default_configELb0EPKsPsPKlPlN2at6native12_GLOBAL__N_18offset_tEEE10hipError_tPvRmT1_PNSt15iterator_traitsISY_E10value_typeET2_T3_PNSZ_IS14_E10value_typeET4_jRbjT5_S1A_jjP12ihipStream_tbEUljE_EEESV_SW_SX_S14_S18_S1A_T6_T7_T9_mT8_S1C_bDpT10_ENKUlT_T0_E_clISt17integral_constantIbLb1EES1O_IbLb0EEEEDaS1K_S1L_EUlS1K_E_NS1_11comp_targetILNS1_3genE9ELNS1_11target_archE1100ELNS1_3gpuE3ELNS1_3repE0EEENS1_30default_config_static_selectorELNS0_4arch9wavefront6targetE0EEEvSY_,comdat
	.globl	_ZN7rocprim17ROCPRIM_400000_NS6detail17trampoline_kernelINS0_13select_configILj256ELj13ELNS0_17block_load_methodE3ELS4_3ELS4_3ELNS0_20block_scan_algorithmE0ELj4294967295EEENS1_25partition_config_selectorILNS1_17partition_subalgoE3EjNS0_10empty_typeEbEEZZNS1_14partition_implILS8_3ELb0ES6_jNS0_17counting_iteratorIjlEEPS9_SE_NS0_5tupleIJPjSE_EEENSF_IJSE_SE_EEES9_SG_JZNS1_25segmented_radix_sort_implINS0_14default_configELb0EPKsPsPKlPlN2at6native12_GLOBAL__N_18offset_tEEE10hipError_tPvRmT1_PNSt15iterator_traitsISY_E10value_typeET2_T3_PNSZ_IS14_E10value_typeET4_jRbjT5_S1A_jjP12ihipStream_tbEUljE_EEESV_SW_SX_S14_S18_S1A_T6_T7_T9_mT8_S1C_bDpT10_ENKUlT_T0_E_clISt17integral_constantIbLb1EES1O_IbLb0EEEEDaS1K_S1L_EUlS1K_E_NS1_11comp_targetILNS1_3genE9ELNS1_11target_archE1100ELNS1_3gpuE3ELNS1_3repE0EEENS1_30default_config_static_selectorELNS0_4arch9wavefront6targetE0EEEvSY_ ; -- Begin function _ZN7rocprim17ROCPRIM_400000_NS6detail17trampoline_kernelINS0_13select_configILj256ELj13ELNS0_17block_load_methodE3ELS4_3ELS4_3ELNS0_20block_scan_algorithmE0ELj4294967295EEENS1_25partition_config_selectorILNS1_17partition_subalgoE3EjNS0_10empty_typeEbEEZZNS1_14partition_implILS8_3ELb0ES6_jNS0_17counting_iteratorIjlEEPS9_SE_NS0_5tupleIJPjSE_EEENSF_IJSE_SE_EEES9_SG_JZNS1_25segmented_radix_sort_implINS0_14default_configELb0EPKsPsPKlPlN2at6native12_GLOBAL__N_18offset_tEEE10hipError_tPvRmT1_PNSt15iterator_traitsISY_E10value_typeET2_T3_PNSZ_IS14_E10value_typeET4_jRbjT5_S1A_jjP12ihipStream_tbEUljE_EEESV_SW_SX_S14_S18_S1A_T6_T7_T9_mT8_S1C_bDpT10_ENKUlT_T0_E_clISt17integral_constantIbLb1EES1O_IbLb0EEEEDaS1K_S1L_EUlS1K_E_NS1_11comp_targetILNS1_3genE9ELNS1_11target_archE1100ELNS1_3gpuE3ELNS1_3repE0EEENS1_30default_config_static_selectorELNS0_4arch9wavefront6targetE0EEEvSY_
	.p2align	8
	.type	_ZN7rocprim17ROCPRIM_400000_NS6detail17trampoline_kernelINS0_13select_configILj256ELj13ELNS0_17block_load_methodE3ELS4_3ELS4_3ELNS0_20block_scan_algorithmE0ELj4294967295EEENS1_25partition_config_selectorILNS1_17partition_subalgoE3EjNS0_10empty_typeEbEEZZNS1_14partition_implILS8_3ELb0ES6_jNS0_17counting_iteratorIjlEEPS9_SE_NS0_5tupleIJPjSE_EEENSF_IJSE_SE_EEES9_SG_JZNS1_25segmented_radix_sort_implINS0_14default_configELb0EPKsPsPKlPlN2at6native12_GLOBAL__N_18offset_tEEE10hipError_tPvRmT1_PNSt15iterator_traitsISY_E10value_typeET2_T3_PNSZ_IS14_E10value_typeET4_jRbjT5_S1A_jjP12ihipStream_tbEUljE_EEESV_SW_SX_S14_S18_S1A_T6_T7_T9_mT8_S1C_bDpT10_ENKUlT_T0_E_clISt17integral_constantIbLb1EES1O_IbLb0EEEEDaS1K_S1L_EUlS1K_E_NS1_11comp_targetILNS1_3genE9ELNS1_11target_archE1100ELNS1_3gpuE3ELNS1_3repE0EEENS1_30default_config_static_selectorELNS0_4arch9wavefront6targetE0EEEvSY_,@function
_ZN7rocprim17ROCPRIM_400000_NS6detail17trampoline_kernelINS0_13select_configILj256ELj13ELNS0_17block_load_methodE3ELS4_3ELS4_3ELNS0_20block_scan_algorithmE0ELj4294967295EEENS1_25partition_config_selectorILNS1_17partition_subalgoE3EjNS0_10empty_typeEbEEZZNS1_14partition_implILS8_3ELb0ES6_jNS0_17counting_iteratorIjlEEPS9_SE_NS0_5tupleIJPjSE_EEENSF_IJSE_SE_EEES9_SG_JZNS1_25segmented_radix_sort_implINS0_14default_configELb0EPKsPsPKlPlN2at6native12_GLOBAL__N_18offset_tEEE10hipError_tPvRmT1_PNSt15iterator_traitsISY_E10value_typeET2_T3_PNSZ_IS14_E10value_typeET4_jRbjT5_S1A_jjP12ihipStream_tbEUljE_EEESV_SW_SX_S14_S18_S1A_T6_T7_T9_mT8_S1C_bDpT10_ENKUlT_T0_E_clISt17integral_constantIbLb1EES1O_IbLb0EEEEDaS1K_S1L_EUlS1K_E_NS1_11comp_targetILNS1_3genE9ELNS1_11target_archE1100ELNS1_3gpuE3ELNS1_3repE0EEENS1_30default_config_static_selectorELNS0_4arch9wavefront6targetE0EEEvSY_: ; @_ZN7rocprim17ROCPRIM_400000_NS6detail17trampoline_kernelINS0_13select_configILj256ELj13ELNS0_17block_load_methodE3ELS4_3ELS4_3ELNS0_20block_scan_algorithmE0ELj4294967295EEENS1_25partition_config_selectorILNS1_17partition_subalgoE3EjNS0_10empty_typeEbEEZZNS1_14partition_implILS8_3ELb0ES6_jNS0_17counting_iteratorIjlEEPS9_SE_NS0_5tupleIJPjSE_EEENSF_IJSE_SE_EEES9_SG_JZNS1_25segmented_radix_sort_implINS0_14default_configELb0EPKsPsPKlPlN2at6native12_GLOBAL__N_18offset_tEEE10hipError_tPvRmT1_PNSt15iterator_traitsISY_E10value_typeET2_T3_PNSZ_IS14_E10value_typeET4_jRbjT5_S1A_jjP12ihipStream_tbEUljE_EEESV_SW_SX_S14_S18_S1A_T6_T7_T9_mT8_S1C_bDpT10_ENKUlT_T0_E_clISt17integral_constantIbLb1EES1O_IbLb0EEEEDaS1K_S1L_EUlS1K_E_NS1_11comp_targetILNS1_3genE9ELNS1_11target_archE1100ELNS1_3gpuE3ELNS1_3repE0EEENS1_30default_config_static_selectorELNS0_4arch9wavefront6targetE0EEEvSY_
; %bb.0:
	s_clause 0x5
	s_load_b32 s2, s[0:1], 0x70
	s_load_b64 s[16:17], s[0:1], 0x10
	s_load_b64 s[12:13], s[0:1], 0x58
	s_load_b32 s18, s[0:1], 0x8
	s_load_b128 s[8:11], s[0:1], 0x48
	s_load_b128 s[4:7], s[0:1], 0x78
	s_mul_i32 s23, s15, 0xd00
	v_lshlrev_b32_e32 v30, 2, v0
	s_waitcnt lgkmcnt(0)
	s_mul_i32 s20, s2, 0xd00
	s_add_i32 s19, s2, -1
	s_add_u32 s2, s16, s20
	s_addc_u32 s3, s17, 0
	s_cmp_eq_u32 s15, s19
	v_cmp_lt_u64_e64 s3, s[2:3], s[12:13]
	s_cselect_b32 s14, -1, 0
	s_cmp_lg_u32 s15, s19
	s_cselect_b32 s21, -1, 0
	s_add_i32 s2, s18, s23
	s_delay_alu instid0(VALU_DEP_1)
	s_or_b32 s3, s21, s3
	s_add_i32 s18, s2, s16
	s_load_b32 s2, s[0:1], 0x88
	v_add_nc_u32_e32 v1, s18, v0
	s_load_b64 s[18:19], s[10:11], 0x0
	s_and_b32 vcc_lo, exec_lo, s3
	s_mov_b32 s10, -1
	s_delay_alu instid0(VALU_DEP_1)
	v_add_nc_u32_e32 v2, 0x100, v1
	v_add_nc_u32_e32 v3, 0x200, v1
	;; [unrolled: 1-line block ×12, first 2 shown]
	s_cbranch_vccz .LBB1004_2
; %bb.1:
	ds_store_2addr_stride64_b32 v30, v1, v2 offset1:4
	ds_store_2addr_stride64_b32 v30, v3, v4 offset0:8 offset1:12
	ds_store_2addr_stride64_b32 v30, v5, v6 offset0:16 offset1:20
	ds_store_2addr_stride64_b32 v30, v7, v8 offset0:24 offset1:28
	ds_store_2addr_stride64_b32 v30, v9, v10 offset0:32 offset1:36
	ds_store_2addr_stride64_b32 v30, v11, v12 offset0:40 offset1:44
	ds_store_b32 v30, v13 offset:12288
	s_waitcnt lgkmcnt(0)
	s_mov_b32 s10, 0
	s_barrier
.LBB1004_2:
	s_and_not1_b32 vcc_lo, exec_lo, s10
	s_add_i32 s20, s20, s16
	s_cbranch_vccnz .LBB1004_4
; %bb.3:
	ds_store_2addr_stride64_b32 v30, v1, v2 offset1:4
	ds_store_2addr_stride64_b32 v30, v3, v4 offset0:8 offset1:12
	ds_store_2addr_stride64_b32 v30, v5, v6 offset0:16 offset1:20
	;; [unrolled: 1-line block ×5, first 2 shown]
	ds_store_b32 v30, v13 offset:12288
	s_waitcnt lgkmcnt(0)
	s_barrier
.LBB1004_4:
	v_mul_u32_u24_e32 v33, 13, v0
	s_waitcnt lgkmcnt(0)
	buffer_gl0_inv
	v_cndmask_b32_e64 v31, 0, 1, s3
	s_sub_i32 s22, s12, s20
	s_and_not1_b32 vcc_lo, exec_lo, s3
	v_lshlrev_b32_e32 v1, 2, v33
	ds_load_2addr_b32 v[28:29], v1 offset1:1
	ds_load_2addr_b32 v[26:27], v1 offset0:2 offset1:3
	ds_load_2addr_b32 v[24:25], v1 offset0:4 offset1:5
	;; [unrolled: 1-line block ×5, first 2 shown]
	ds_load_b32 v32, v1 offset:48
	s_waitcnt lgkmcnt(0)
	s_barrier
	buffer_gl0_inv
	s_cbranch_vccnz .LBB1004_6
; %bb.5:
	v_add_nc_u32_e32 v1, s5, v28
	v_add_nc_u32_e32 v2, s7, v28
	;; [unrolled: 1-line block ×5, first 2 shown]
	v_mul_lo_u32 v1, v1, s4
	v_mul_lo_u32 v2, v2, s6
	;; [unrolled: 1-line block ×4, first 2 shown]
	v_add_nc_u32_e32 v6, s7, v26
	v_add_nc_u32_e32 v7, s5, v27
	;; [unrolled: 1-line block ×3, first 2 shown]
	v_mul_lo_u32 v5, v5, s4
	v_add_nc_u32_e32 v9, s5, v22
	v_sub_nc_u32_e32 v1, v1, v2
	v_mul_lo_u32 v2, v6, s6
	v_sub_nc_u32_e32 v3, v3, v4
	v_mul_lo_u32 v4, v7, s4
	v_mul_lo_u32 v6, v8, s6
	v_add_nc_u32_e32 v7, s5, v24
	v_cmp_lt_u32_e32 vcc_lo, s2, v1
	v_add_nc_u32_e32 v8, s5, v25
	v_add_nc_u32_e32 v10, s7, v22
	v_sub_nc_u32_e32 v2, v5, v2
	v_add_nc_u32_e32 v5, s7, v24
	v_cndmask_b32_e64 v1, 0, 1, vcc_lo
	v_sub_nc_u32_e32 v4, v4, v6
	v_mul_lo_u32 v6, v7, s4
	v_add_nc_u32_e32 v7, s7, v25
	v_cmp_lt_u32_e32 vcc_lo, s2, v3
	v_mul_lo_u32 v5, v5, s6
	v_mul_lo_u32 v8, v8, s4
	;; [unrolled: 1-line block ×4, first 2 shown]
	v_cndmask_b32_e64 v3, 0, 1, vcc_lo
	v_cmp_lt_u32_e32 vcc_lo, s2, v2
	v_mul_lo_u32 v10, v10, s6
	v_add_nc_u32_e32 v11, s5, v20
	v_sub_nc_u32_e32 v5, v6, v5
	v_add_nc_u32_e32 v12, s7, v20
	v_cndmask_b32_e64 v2, 0, 1, vcc_lo
	v_sub_nc_u32_e32 v6, v8, v7
	v_add_nc_u32_e32 v7, s5, v23
	v_add_nc_u32_e32 v8, s7, v23
	v_cmp_lt_u32_e32 vcc_lo, s2, v4
	v_sub_nc_u32_e32 v9, v9, v10
	v_mul_lo_u32 v10, v11, s4
	v_mul_lo_u32 v7, v7, s4
	v_mul_lo_u32 v8, v8, s6
	v_mul_lo_u32 v11, v12, s6
	v_cndmask_b32_e64 v4, 0, 1, vcc_lo
	v_cmp_lt_u32_e32 vcc_lo, s2, v5
	v_add_nc_u32_e32 v12, s5, v21
	v_add_nc_u32_e32 v13, s7, v18
	;; [unrolled: 1-line block ×4, first 2 shown]
	v_cndmask_b32_e64 v5, 0, 1, vcc_lo
	v_cmp_lt_u32_e32 vcc_lo, s2, v6
	v_sub_nc_u32_e32 v7, v7, v8
	v_sub_nc_u32_e32 v8, v10, v11
	v_add_nc_u32_e32 v11, s7, v21
	v_mul_lo_u32 v10, v12, s4
	v_cndmask_b32_e64 v6, 0, 1, vcc_lo
	v_cmp_lt_u32_e32 vcc_lo, s2, v9
	v_add_nc_u32_e32 v12, s5, v18
	v_mul_lo_u32 v11, v11, s6
	v_mul_lo_u32 v13, v13, s6
	;; [unrolled: 1-line block ×3, first 2 shown]
	v_cndmask_b32_e64 v9, 0, 1, vcc_lo
	v_cmp_lt_u32_e32 vcc_lo, s2, v7
	v_mul_lo_u32 v12, v12, s4
	v_mul_lo_u32 v15, v15, s6
	v_lshlrev_b16 v3, 8, v3
	v_sub_nc_u32_e32 v10, v10, v11
	v_cndmask_b32_e64 v7, 0, 1, vcc_lo
	v_cmp_lt_u32_e32 vcc_lo, s2, v8
	v_add_nc_u32_e32 v11, s5, v32
	v_or_b32_e32 v1, v1, v3
	v_sub_nc_u32_e32 v12, v12, v13
	v_sub_nc_u32_e32 v13, v14, v15
	v_cndmask_b32_e64 v8, 0, 1, vcc_lo
	v_cmp_lt_u32_e32 vcc_lo, s2, v10
	v_add_nc_u32_e32 v16, s7, v32
	v_mul_lo_u32 v11, v11, s4
	v_lshlrev_b16 v4, 8, v4
	v_lshlrev_b16 v6, 8, v6
	v_cndmask_b32_e64 v10, 0, 1, vcc_lo
	v_cmp_lt_u32_e32 vcc_lo, s2, v12
	v_mul_lo_u32 v14, v16, s6
	v_lshlrev_b16 v7, 8, v7
	v_or_b32_e32 v2, v2, v4
	v_lshlrev_b16 v10, 8, v10
	v_cndmask_b32_e64 v3, 0, 1, vcc_lo
	v_cmp_lt_u32_e32 vcc_lo, s2, v13
	v_or_b32_e32 v4, v5, v6
	v_or_b32_e32 v5, v9, v7
	v_sub_nc_u32_e32 v11, v11, v14
	v_or_b32_e32 v6, v8, v10
	v_cndmask_b32_e64 v12, 0, 1, vcc_lo
	v_and_b32_e32 v1, 0xffff, v1
	v_lshlrev_b32_e32 v2, 16, v2
	v_and_b32_e32 v4, 0xffff, v4
	v_lshlrev_b32_e32 v5, 16, v5
	v_lshlrev_b16 v12, 8, v12
	v_and_b32_e32 v6, 0xffff, v6
	v_cmp_lt_u32_e32 vcc_lo, s2, v11
	v_or_b32_e32 v39, v1, v2
	v_or_b32_e32 v37, v4, v5
	;; [unrolled: 1-line block ×3, first 2 shown]
	s_mov_b32 s3, 0
	v_cndmask_b32_e64 v34, 0, 1, vcc_lo
	s_delay_alu instid0(VALU_DEP_2) | instskip(NEXT) | instid1(VALU_DEP_1)
	v_lshlrev_b32_e32 v3, 16, v3
	v_or_b32_e32 v35, v6, v3
	s_branch .LBB1004_7
.LBB1004_6:
	s_mov_b32 s3, -1
                                        ; implicit-def: $vgpr34
                                        ; implicit-def: $vgpr35
                                        ; implicit-def: $vgpr37
                                        ; implicit-def: $vgpr39
.LBB1004_7:
	s_clause 0x1
	s_load_b64 s[10:11], s[0:1], 0x28
	s_load_b64 s[20:21], s[0:1], 0x68
	s_and_not1_b32 vcc_lo, exec_lo, s3
	s_addk_i32 s22, 0xd00
	s_cbranch_vccnz .LBB1004_35
; %bb.8:
	v_dual_mov_b32 v2, 0 :: v_dual_mov_b32 v1, 0
	s_mov_b32 s0, exec_lo
	v_cmpx_gt_u32_e64 s22, v33
; %bb.9:
	v_add_nc_u32_e32 v1, s5, v28
	v_add_nc_u32_e32 v3, s7, v28
	s_delay_alu instid0(VALU_DEP_2) | instskip(NEXT) | instid1(VALU_DEP_2)
	v_mul_lo_u32 v1, v1, s4
	v_mul_lo_u32 v3, v3, s6
	s_delay_alu instid0(VALU_DEP_1) | instskip(NEXT) | instid1(VALU_DEP_1)
	v_sub_nc_u32_e32 v1, v1, v3
	v_cmp_lt_u32_e32 vcc_lo, s2, v1
	v_cndmask_b32_e64 v1, 0, 1, vcc_lo
; %bb.10:
	s_or_b32 exec_lo, exec_lo, s0
	v_add_nc_u32_e32 v3, 1, v33
	s_mov_b32 s0, exec_lo
	s_delay_alu instid0(VALU_DEP_1)
	v_cmpx_gt_u32_e64 s22, v3
; %bb.11:
	v_add_nc_u32_e32 v2, s5, v29
	v_add_nc_u32_e32 v3, s7, v29
	s_delay_alu instid0(VALU_DEP_2) | instskip(NEXT) | instid1(VALU_DEP_2)
	v_mul_lo_u32 v2, v2, s4
	v_mul_lo_u32 v3, v3, s6
	s_delay_alu instid0(VALU_DEP_1) | instskip(NEXT) | instid1(VALU_DEP_1)
	v_sub_nc_u32_e32 v2, v2, v3
	v_cmp_lt_u32_e32 vcc_lo, s2, v2
	v_cndmask_b32_e64 v2, 0, 1, vcc_lo
; %bb.12:
	s_or_b32 exec_lo, exec_lo, s0
	v_dual_mov_b32 v4, 0 :: v_dual_add_nc_u32 v3, 2, v33
	s_delay_alu instid0(VALU_DEP_1)
	v_cmp_gt_u32_e32 vcc_lo, s22, v3
	v_mov_b32_e32 v3, 0
	s_and_saveexec_b32 s0, vcc_lo
; %bb.13:
	v_add_nc_u32_e32 v3, s5, v26
	v_add_nc_u32_e32 v5, s7, v26
	s_delay_alu instid0(VALU_DEP_2) | instskip(NEXT) | instid1(VALU_DEP_2)
	v_mul_lo_u32 v3, v3, s4
	v_mul_lo_u32 v5, v5, s6
	s_delay_alu instid0(VALU_DEP_1) | instskip(NEXT) | instid1(VALU_DEP_1)
	v_sub_nc_u32_e32 v3, v3, v5
	v_cmp_lt_u32_e32 vcc_lo, s2, v3
	v_cndmask_b32_e64 v3, 0, 1, vcc_lo
; %bb.14:
	s_or_b32 exec_lo, exec_lo, s0
	v_add_nc_u32_e32 v5, 3, v33
	s_mov_b32 s0, exec_lo
	s_delay_alu instid0(VALU_DEP_1)
	v_cmpx_gt_u32_e64 s22, v5
; %bb.15:
	v_add_nc_u32_e32 v4, s5, v27
	v_add_nc_u32_e32 v5, s7, v27
	s_delay_alu instid0(VALU_DEP_2) | instskip(NEXT) | instid1(VALU_DEP_2)
	v_mul_lo_u32 v4, v4, s4
	v_mul_lo_u32 v5, v5, s6
	s_delay_alu instid0(VALU_DEP_1) | instskip(NEXT) | instid1(VALU_DEP_1)
	v_sub_nc_u32_e32 v4, v4, v5
	v_cmp_lt_u32_e32 vcc_lo, s2, v4
	v_cndmask_b32_e64 v4, 0, 1, vcc_lo
; %bb.16:
	s_or_b32 exec_lo, exec_lo, s0
	v_dual_mov_b32 v6, 0 :: v_dual_add_nc_u32 v5, 4, v33
	s_delay_alu instid0(VALU_DEP_1)
	v_cmp_gt_u32_e32 vcc_lo, s22, v5
	v_mov_b32_e32 v5, 0
	s_and_saveexec_b32 s0, vcc_lo
	;; [unrolled: 33-line block ×5, first 2 shown]
; %bb.29:
	v_add_nc_u32_e32 v11, s5, v18
	v_add_nc_u32_e32 v13, s7, v18
	s_delay_alu instid0(VALU_DEP_2) | instskip(NEXT) | instid1(VALU_DEP_2)
	v_mul_lo_u32 v11, v11, s4
	v_mul_lo_u32 v13, v13, s6
	s_delay_alu instid0(VALU_DEP_1) | instskip(NEXT) | instid1(VALU_DEP_1)
	v_sub_nc_u32_e32 v11, v11, v13
	v_cmp_lt_u32_e32 vcc_lo, s2, v11
	v_cndmask_b32_e64 v11, 0, 1, vcc_lo
; %bb.30:
	s_or_b32 exec_lo, exec_lo, s0
	v_add_nc_u32_e32 v13, 11, v33
	s_mov_b32 s0, exec_lo
	s_delay_alu instid0(VALU_DEP_1)
	v_cmpx_gt_u32_e64 s22, v13
; %bb.31:
	v_add_nc_u32_e32 v12, s5, v19
	v_add_nc_u32_e32 v13, s7, v19
	s_delay_alu instid0(VALU_DEP_2) | instskip(NEXT) | instid1(VALU_DEP_2)
	v_mul_lo_u32 v12, v12, s4
	v_mul_lo_u32 v13, v13, s6
	s_delay_alu instid0(VALU_DEP_1) | instskip(NEXT) | instid1(VALU_DEP_1)
	v_sub_nc_u32_e32 v12, v12, v13
	v_cmp_lt_u32_e32 vcc_lo, s2, v12
	v_cndmask_b32_e64 v12, 0, 1, vcc_lo
; %bb.32:
	s_or_b32 exec_lo, exec_lo, s0
	v_dual_mov_b32 v34, 0 :: v_dual_add_nc_u32 v13, 12, v33
	s_mov_b32 s0, exec_lo
	s_delay_alu instid0(VALU_DEP_1)
	v_cmpx_gt_u32_e64 s22, v13
; %bb.33:
	v_add_nc_u32_e32 v13, s5, v32
	v_add_nc_u32_e32 v14, s7, v32
	s_delay_alu instid0(VALU_DEP_2) | instskip(NEXT) | instid1(VALU_DEP_2)
	v_mul_lo_u32 v13, v13, s4
	v_mul_lo_u32 v14, v14, s6
	s_delay_alu instid0(VALU_DEP_1) | instskip(NEXT) | instid1(VALU_DEP_1)
	v_sub_nc_u32_e32 v13, v13, v14
	v_cmp_lt_u32_e32 vcc_lo, s2, v13
	v_cndmask_b32_e64 v34, 0, 1, vcc_lo
; %bb.34:
	s_or_b32 exec_lo, exec_lo, s0
	v_lshlrev_b16 v2, 8, v2
	v_lshlrev_b16 v4, 8, v4
	;; [unrolled: 1-line block ×5, first 2 shown]
	v_or_b32_e32 v1, v1, v2
	v_lshlrev_b16 v2, 8, v12
	v_or_b32_e32 v3, v3, v4
	v_or_b32_e32 v4, v5, v6
	v_or_b32_e32 v5, v7, v8
	v_or_b32_e32 v6, v9, v10
	v_or_b32_e32 v2, v11, v2
	v_and_b32_e32 v1, 0xffff, v1
	v_lshlrev_b32_e32 v3, 16, v3
	v_and_b32_e32 v4, 0xffff, v4
	v_lshlrev_b32_e32 v5, 16, v5
	;; [unrolled: 2-line block ×3, first 2 shown]
	v_or_b32_e32 v39, v1, v3
	s_delay_alu instid0(VALU_DEP_4) | instskip(NEXT) | instid1(VALU_DEP_3)
	v_or_b32_e32 v37, v4, v5
	v_or_b32_e32 v35, v6, v2
.LBB1004_35:
	s_delay_alu instid0(VALU_DEP_3)
	v_and_b32_e32 v41, 0xff, v39
	v_bfe_u32 v42, v39, 8, 8
	v_bfe_u32 v43, v39, 16, 8
	v_lshrrev_b32_e32 v40, 24, v39
	v_and_b32_e32 v44, 0xff, v37
	v_bfe_u32 v45, v37, 8, 8
	v_bfe_u32 v46, v37, 16, 8
	v_add3_u32 v1, v42, v41, v43
	v_lshrrev_b32_e32 v38, 24, v37
	v_and_b32_e32 v47, 0xff, v35
	v_bfe_u32 v48, v35, 8, 8
	v_mbcnt_lo_u32_b32 v50, -1, 0
	v_add3_u32 v1, v1, v40, v44
	v_bfe_u32 v49, v35, 16, 8
	v_lshrrev_b32_e32 v36, 24, v35
	v_and_b32_e32 v2, 0xff, v34
	v_and_b32_e32 v3, 15, v50
	v_add3_u32 v1, v1, v45, v46
	v_or_b32_e32 v4, 31, v0
	v_and_b32_e32 v5, 16, v50
	v_lshrrev_b32_e32 v51, 5, v0
	v_cmp_eq_u32_e64 s5, 0, v3
	v_add3_u32 v1, v1, v38, v47
	v_cmp_lt_u32_e64 s4, 1, v3
	v_cmp_lt_u32_e64 s3, 3, v3
	;; [unrolled: 1-line block ×3, first 2 shown]
	v_cmp_eq_u32_e64 s1, 0, v5
	v_add3_u32 v1, v1, v48, v49
	v_cmp_eq_u32_e64 s0, v4, v0
	s_cmp_lg_u32 s15, 0
	s_mov_b32 s6, -1
	s_delay_alu instid0(VALU_DEP_2)
	v_add3_u32 v52, v1, v36, v2
	s_cbranch_scc0 .LBB1004_66
; %bb.36:
	s_delay_alu instid0(VALU_DEP_1) | instskip(NEXT) | instid1(VALU_DEP_1)
	v_mov_b32_dpp v1, v52 row_shr:1 row_mask:0xf bank_mask:0xf
	v_cndmask_b32_e64 v1, v1, 0, s5
	s_delay_alu instid0(VALU_DEP_1) | instskip(NEXT) | instid1(VALU_DEP_1)
	v_add_nc_u32_e32 v1, v1, v52
	v_mov_b32_dpp v2, v1 row_shr:2 row_mask:0xf bank_mask:0xf
	s_delay_alu instid0(VALU_DEP_1) | instskip(NEXT) | instid1(VALU_DEP_1)
	v_cndmask_b32_e64 v2, 0, v2, s4
	v_add_nc_u32_e32 v1, v1, v2
	s_delay_alu instid0(VALU_DEP_1) | instskip(NEXT) | instid1(VALU_DEP_1)
	v_mov_b32_dpp v2, v1 row_shr:4 row_mask:0xf bank_mask:0xf
	v_cndmask_b32_e64 v2, 0, v2, s3
	s_delay_alu instid0(VALU_DEP_1) | instskip(NEXT) | instid1(VALU_DEP_1)
	v_add_nc_u32_e32 v1, v1, v2
	v_mov_b32_dpp v2, v1 row_shr:8 row_mask:0xf bank_mask:0xf
	s_delay_alu instid0(VALU_DEP_1) | instskip(NEXT) | instid1(VALU_DEP_1)
	v_cndmask_b32_e64 v2, 0, v2, s2
	v_add_nc_u32_e32 v1, v1, v2
	ds_swizzle_b32 v2, v1 offset:swizzle(BROADCAST,32,15)
	s_waitcnt lgkmcnt(0)
	v_cndmask_b32_e64 v2, v2, 0, s1
	s_delay_alu instid0(VALU_DEP_1)
	v_add_nc_u32_e32 v1, v1, v2
	s_and_saveexec_b32 s6, s0
	s_cbranch_execz .LBB1004_38
; %bb.37:
	v_lshlrev_b32_e32 v2, 2, v51
	ds_store_b32 v2, v1
.LBB1004_38:
	s_or_b32 exec_lo, exec_lo, s6
	s_delay_alu instid0(SALU_CYCLE_1)
	s_mov_b32 s6, exec_lo
	s_waitcnt lgkmcnt(0)
	s_barrier
	buffer_gl0_inv
	v_cmpx_gt_u32_e32 8, v0
	s_cbranch_execz .LBB1004_40
; %bb.39:
	ds_load_b32 v2, v30
	s_waitcnt lgkmcnt(0)
	v_mov_b32_dpp v4, v2 row_shr:1 row_mask:0xf bank_mask:0xf
	v_and_b32_e32 v3, 7, v50
	s_delay_alu instid0(VALU_DEP_1) | instskip(NEXT) | instid1(VALU_DEP_3)
	v_cmp_ne_u32_e32 vcc_lo, 0, v3
	v_cndmask_b32_e32 v4, 0, v4, vcc_lo
	v_cmp_lt_u32_e32 vcc_lo, 1, v3
	s_delay_alu instid0(VALU_DEP_2) | instskip(NEXT) | instid1(VALU_DEP_1)
	v_add_nc_u32_e32 v2, v4, v2
	v_mov_b32_dpp v4, v2 row_shr:2 row_mask:0xf bank_mask:0xf
	s_delay_alu instid0(VALU_DEP_1) | instskip(SKIP_1) | instid1(VALU_DEP_2)
	v_cndmask_b32_e32 v4, 0, v4, vcc_lo
	v_cmp_lt_u32_e32 vcc_lo, 3, v3
	v_add_nc_u32_e32 v2, v2, v4
	s_delay_alu instid0(VALU_DEP_1) | instskip(NEXT) | instid1(VALU_DEP_1)
	v_mov_b32_dpp v4, v2 row_shr:4 row_mask:0xf bank_mask:0xf
	v_cndmask_b32_e32 v3, 0, v4, vcc_lo
	s_delay_alu instid0(VALU_DEP_1)
	v_add_nc_u32_e32 v2, v2, v3
	ds_store_b32 v30, v2
.LBB1004_40:
	s_or_b32 exec_lo, exec_lo, s6
	v_cmp_gt_u32_e32 vcc_lo, 32, v0
	s_mov_b32 s7, exec_lo
	s_waitcnt lgkmcnt(0)
	s_barrier
	buffer_gl0_inv
                                        ; implicit-def: $vgpr8
	v_cmpx_lt_u32_e32 31, v0
	s_cbranch_execz .LBB1004_42
; %bb.41:
	v_lshl_add_u32 v2, v51, 2, -4
	ds_load_b32 v8, v2
	s_waitcnt lgkmcnt(0)
	v_add_nc_u32_e32 v1, v8, v1
.LBB1004_42:
	s_or_b32 exec_lo, exec_lo, s7
	v_add_nc_u32_e32 v2, -1, v50
	s_delay_alu instid0(VALU_DEP_1) | instskip(NEXT) | instid1(VALU_DEP_1)
	v_cmp_gt_i32_e64 s6, 0, v2
	v_cndmask_b32_e64 v2, v2, v50, s6
	v_cmp_eq_u32_e64 s6, 0, v50
	s_delay_alu instid0(VALU_DEP_2)
	v_lshlrev_b32_e32 v2, 2, v2
	ds_bpermute_b32 v9, v2, v1
	s_and_saveexec_b32 s7, vcc_lo
	s_cbranch_execz .LBB1004_65
; %bb.43:
	v_mov_b32_e32 v4, 0
	ds_load_b32 v1, v4 offset:28
	s_and_saveexec_b32 s24, s6
	s_cbranch_execz .LBB1004_45
; %bb.44:
	s_add_i32 s26, s15, 32
	s_mov_b32 s27, 0
	v_mov_b32_e32 v2, 1
	s_lshl_b64 s[26:27], s[26:27], 3
	s_delay_alu instid0(SALU_CYCLE_1)
	s_add_u32 s26, s20, s26
	s_addc_u32 s27, s21, s27
	s_waitcnt lgkmcnt(0)
	global_store_b64 v4, v[1:2], s[26:27]
.LBB1004_45:
	s_or_b32 exec_lo, exec_lo, s24
	v_xad_u32 v2, v50, -1, s15
	s_mov_b32 s25, 0
	s_mov_b32 s24, exec_lo
	s_delay_alu instid0(VALU_DEP_1) | instskip(NEXT) | instid1(VALU_DEP_1)
	v_add_nc_u32_e32 v3, 32, v2
	v_lshlrev_b64 v[3:4], 3, v[3:4]
	s_delay_alu instid0(VALU_DEP_1) | instskip(NEXT) | instid1(VALU_DEP_2)
	v_add_co_u32 v6, vcc_lo, s20, v3
	v_add_co_ci_u32_e32 v7, vcc_lo, s21, v4, vcc_lo
	global_load_b64 v[4:5], v[6:7], off glc
	s_waitcnt vmcnt(0)
	v_and_b32_e32 v3, 0xff, v5
	s_delay_alu instid0(VALU_DEP_1)
	v_cmpx_eq_u16_e32 0, v3
	s_cbranch_execz .LBB1004_51
; %bb.46:
	s_mov_b32 s26, 1
	.p2align	6
.LBB1004_47:                            ; =>This Loop Header: Depth=1
                                        ;     Child Loop BB1004_48 Depth 2
	s_delay_alu instid0(SALU_CYCLE_1)
	s_max_u32 s27, s26, 1
.LBB1004_48:                            ;   Parent Loop BB1004_47 Depth=1
                                        ; =>  This Inner Loop Header: Depth=2
	s_delay_alu instid0(SALU_CYCLE_1)
	s_add_i32 s27, s27, -1
	s_sleep 1
	s_cmp_eq_u32 s27, 0
	s_cbranch_scc0 .LBB1004_48
; %bb.49:                               ;   in Loop: Header=BB1004_47 Depth=1
	global_load_b64 v[4:5], v[6:7], off glc
	s_cmp_lt_u32 s26, 32
	s_cselect_b32 s27, -1, 0
	s_delay_alu instid0(SALU_CYCLE_1) | instskip(SKIP_3) | instid1(VALU_DEP_1)
	s_cmp_lg_u32 s27, 0
	s_addc_u32 s26, s26, 0
	s_waitcnt vmcnt(0)
	v_and_b32_e32 v3, 0xff, v5
	v_cmp_ne_u16_e32 vcc_lo, 0, v3
	s_or_b32 s25, vcc_lo, s25
	s_delay_alu instid0(SALU_CYCLE_1)
	s_and_not1_b32 exec_lo, exec_lo, s25
	s_cbranch_execnz .LBB1004_47
; %bb.50:
	s_or_b32 exec_lo, exec_lo, s25
.LBB1004_51:
	s_delay_alu instid0(SALU_CYCLE_1)
	s_or_b32 exec_lo, exec_lo, s24
	v_cmp_ne_u32_e32 vcc_lo, 31, v50
	v_lshlrev_b32_e64 v11, v50, -1
	v_add_nc_u32_e32 v13, 2, v50
	v_add_nc_u32_e32 v16, 4, v50
	;; [unrolled: 1-line block ×3, first 2 shown]
	v_add_co_ci_u32_e32 v3, vcc_lo, 0, v50, vcc_lo
	v_add_nc_u32_e32 v55, 16, v50
	s_delay_alu instid0(VALU_DEP_2) | instskip(SKIP_2) | instid1(VALU_DEP_1)
	v_lshlrev_b32_e32 v10, 2, v3
	ds_bpermute_b32 v6, v10, v4
	v_and_b32_e32 v3, 0xff, v5
	v_cmp_eq_u16_e32 vcc_lo, 2, v3
	v_and_or_b32 v3, vcc_lo, v11, 0x80000000
	v_cmp_gt_u32_e32 vcc_lo, 30, v50
	s_delay_alu instid0(VALU_DEP_2) | instskip(SKIP_1) | instid1(VALU_DEP_2)
	v_ctz_i32_b32_e32 v3, v3
	v_cndmask_b32_e64 v7, 0, 1, vcc_lo
	v_cmp_lt_u32_e32 vcc_lo, v50, v3
	s_waitcnt lgkmcnt(0)
	s_delay_alu instid0(VALU_DEP_2) | instskip(NEXT) | instid1(VALU_DEP_1)
	v_dual_cndmask_b32 v6, 0, v6 :: v_dual_lshlrev_b32 v7, 1, v7
	v_add_lshl_u32 v12, v7, v50, 2
	v_cmp_gt_u32_e32 vcc_lo, 28, v50
	s_delay_alu instid0(VALU_DEP_3) | instskip(SKIP_4) | instid1(VALU_DEP_1)
	v_add_nc_u32_e32 v4, v6, v4
	v_cndmask_b32_e64 v7, 0, 1, vcc_lo
	v_cmp_le_u32_e32 vcc_lo, v13, v3
	ds_bpermute_b32 v6, v12, v4
	v_lshlrev_b32_e32 v7, 2, v7
	v_add_lshl_u32 v14, v7, v50, 2
	s_waitcnt lgkmcnt(0)
	v_cndmask_b32_e32 v6, 0, v6, vcc_lo
	v_cmp_gt_u32_e32 vcc_lo, 24, v50
	s_delay_alu instid0(VALU_DEP_2) | instskip(SKIP_4) | instid1(VALU_DEP_1)
	v_add_nc_u32_e32 v4, v4, v6
	v_cndmask_b32_e64 v7, 0, 1, vcc_lo
	v_cmp_le_u32_e32 vcc_lo, v16, v3
	ds_bpermute_b32 v6, v14, v4
	v_lshlrev_b32_e32 v7, 3, v7
	v_add_lshl_u32 v17, v7, v50, 2
	s_waitcnt lgkmcnt(0)
	v_cndmask_b32_e32 v6, 0, v6, vcc_lo
	v_cmp_gt_u32_e32 vcc_lo, 16, v50
	s_delay_alu instid0(VALU_DEP_2) | instskip(SKIP_4) | instid1(VALU_DEP_1)
	v_add_nc_u32_e32 v4, v4, v6
	v_cndmask_b32_e64 v7, 0, 1, vcc_lo
	v_cmp_le_u32_e32 vcc_lo, v53, v3
	ds_bpermute_b32 v6, v17, v4
	v_lshlrev_b32_e32 v7, 4, v7
	v_add_lshl_u32 v54, v7, v50, 2
	s_waitcnt lgkmcnt(0)
	v_cndmask_b32_e32 v6, 0, v6, vcc_lo
	v_cmp_le_u32_e32 vcc_lo, v55, v3
	s_delay_alu instid0(VALU_DEP_2) | instskip(SKIP_3) | instid1(VALU_DEP_1)
	v_add_nc_u32_e32 v4, v4, v6
	ds_bpermute_b32 v6, v54, v4
	s_waitcnt lgkmcnt(0)
	v_cndmask_b32_e32 v3, 0, v6, vcc_lo
	v_dual_mov_b32 v3, 0 :: v_dual_add_nc_u32 v4, v4, v3
	s_branch .LBB1004_53
.LBB1004_52:                            ;   in Loop: Header=BB1004_53 Depth=1
	s_or_b32 exec_lo, exec_lo, s24
	ds_bpermute_b32 v7, v10, v4
	v_and_b32_e32 v6, 0xff, v5
	v_subrev_nc_u32_e32 v2, 32, v2
	s_delay_alu instid0(VALU_DEP_2) | instskip(SKIP_1) | instid1(VALU_DEP_1)
	v_cmp_eq_u16_e32 vcc_lo, 2, v6
	v_and_or_b32 v6, vcc_lo, v11, 0x80000000
	v_ctz_i32_b32_e32 v6, v6
	s_delay_alu instid0(VALU_DEP_1) | instskip(SKIP_3) | instid1(VALU_DEP_2)
	v_cmp_lt_u32_e32 vcc_lo, v50, v6
	s_waitcnt lgkmcnt(0)
	v_cndmask_b32_e32 v7, 0, v7, vcc_lo
	v_cmp_le_u32_e32 vcc_lo, v13, v6
	v_add_nc_u32_e32 v4, v7, v4
	ds_bpermute_b32 v7, v12, v4
	s_waitcnt lgkmcnt(0)
	v_cndmask_b32_e32 v7, 0, v7, vcc_lo
	v_cmp_le_u32_e32 vcc_lo, v16, v6
	s_delay_alu instid0(VALU_DEP_2) | instskip(SKIP_4) | instid1(VALU_DEP_2)
	v_add_nc_u32_e32 v4, v4, v7
	ds_bpermute_b32 v7, v14, v4
	s_waitcnt lgkmcnt(0)
	v_cndmask_b32_e32 v7, 0, v7, vcc_lo
	v_cmp_le_u32_e32 vcc_lo, v53, v6
	v_add_nc_u32_e32 v4, v4, v7
	ds_bpermute_b32 v7, v17, v4
	s_waitcnt lgkmcnt(0)
	v_cndmask_b32_e32 v7, 0, v7, vcc_lo
	v_cmp_le_u32_e32 vcc_lo, v55, v6
	s_delay_alu instid0(VALU_DEP_2) | instskip(SKIP_3) | instid1(VALU_DEP_1)
	v_add_nc_u32_e32 v4, v4, v7
	ds_bpermute_b32 v7, v54, v4
	s_waitcnt lgkmcnt(0)
	v_cndmask_b32_e32 v6, 0, v7, vcc_lo
	v_add3_u32 v4, v6, v15, v4
.LBB1004_53:                            ; =>This Loop Header: Depth=1
                                        ;     Child Loop BB1004_56 Depth 2
                                        ;       Child Loop BB1004_57 Depth 3
	v_and_b32_e32 v5, 0xff, v5
	s_delay_alu instid0(VALU_DEP_2) | instskip(NEXT) | instid1(VALU_DEP_2)
	v_mov_b32_e32 v15, v4
	v_cmp_ne_u16_e32 vcc_lo, 2, v5
	v_cndmask_b32_e64 v5, 0, 1, vcc_lo
	;;#ASMSTART
	;;#ASMEND
	s_delay_alu instid0(VALU_DEP_1)
	v_cmp_ne_u32_e32 vcc_lo, 0, v5
	s_cmp_lg_u32 vcc_lo, exec_lo
	s_cbranch_scc1 .LBB1004_60
; %bb.54:                               ;   in Loop: Header=BB1004_53 Depth=1
	v_lshlrev_b64 v[4:5], 3, v[2:3]
	s_mov_b32 s24, exec_lo
	s_delay_alu instid0(VALU_DEP_1) | instskip(NEXT) | instid1(VALU_DEP_2)
	v_add_co_u32 v6, vcc_lo, s20, v4
	v_add_co_ci_u32_e32 v7, vcc_lo, s21, v5, vcc_lo
	global_load_b64 v[4:5], v[6:7], off glc
	s_waitcnt vmcnt(0)
	v_and_b32_e32 v56, 0xff, v5
	s_delay_alu instid0(VALU_DEP_1)
	v_cmpx_eq_u16_e32 0, v56
	s_cbranch_execz .LBB1004_52
; %bb.55:                               ;   in Loop: Header=BB1004_53 Depth=1
	s_mov_b32 s26, 1
	s_mov_b32 s25, 0
	.p2align	6
.LBB1004_56:                            ;   Parent Loop BB1004_53 Depth=1
                                        ; =>  This Loop Header: Depth=2
                                        ;       Child Loop BB1004_57 Depth 3
	s_max_u32 s27, s26, 1
.LBB1004_57:                            ;   Parent Loop BB1004_53 Depth=1
                                        ;     Parent Loop BB1004_56 Depth=2
                                        ; =>    This Inner Loop Header: Depth=3
	s_delay_alu instid0(SALU_CYCLE_1)
	s_add_i32 s27, s27, -1
	s_sleep 1
	s_cmp_eq_u32 s27, 0
	s_cbranch_scc0 .LBB1004_57
; %bb.58:                               ;   in Loop: Header=BB1004_56 Depth=2
	global_load_b64 v[4:5], v[6:7], off glc
	s_cmp_lt_u32 s26, 32
	s_cselect_b32 s27, -1, 0
	s_delay_alu instid0(SALU_CYCLE_1) | instskip(SKIP_3) | instid1(VALU_DEP_1)
	s_cmp_lg_u32 s27, 0
	s_addc_u32 s26, s26, 0
	s_waitcnt vmcnt(0)
	v_and_b32_e32 v56, 0xff, v5
	v_cmp_ne_u16_e32 vcc_lo, 0, v56
	s_or_b32 s25, vcc_lo, s25
	s_delay_alu instid0(SALU_CYCLE_1)
	s_and_not1_b32 exec_lo, exec_lo, s25
	s_cbranch_execnz .LBB1004_56
; %bb.59:                               ;   in Loop: Header=BB1004_53 Depth=1
	s_or_b32 exec_lo, exec_lo, s25
	s_branch .LBB1004_52
.LBB1004_60:                            ;   in Loop: Header=BB1004_53 Depth=1
                                        ; implicit-def: $vgpr4
                                        ; implicit-def: $vgpr5
	s_cbranch_execz .LBB1004_53
; %bb.61:
	s_and_saveexec_b32 s24, s6
	s_cbranch_execz .LBB1004_63
; %bb.62:
	s_add_i32 s26, s15, 32
	s_mov_b32 s27, 0
	v_dual_mov_b32 v3, 2 :: v_dual_add_nc_u32 v2, v15, v1
	s_lshl_b64 s[26:27], s[26:27], 3
	v_mov_b32_e32 v4, 0
	v_add_nc_u32_e64 v5, 0x3400, 0
	s_add_u32 s26, s20, s26
	s_addc_u32 s27, s21, s27
	global_store_b64 v4, v[2:3], s[26:27]
	ds_store_2addr_b32 v5, v1, v15 offset1:2
.LBB1004_63:
	s_or_b32 exec_lo, exec_lo, s24
	v_cmp_eq_u32_e32 vcc_lo, 0, v0
	s_and_b32 exec_lo, exec_lo, vcc_lo
	s_cbranch_execz .LBB1004_65
; %bb.64:
	v_mov_b32_e32 v1, 0
	ds_store_b32 v1, v15 offset:28
.LBB1004_65:
	s_or_b32 exec_lo, exec_lo, s7
	s_waitcnt lgkmcnt(0)
	v_cndmask_b32_e64 v2, v9, v8, s6
	v_cmp_ne_u32_e32 vcc_lo, 0, v0
	v_mov_b32_e32 v1, 0
	s_waitcnt_vscnt null, 0x0
	s_barrier
	buffer_gl0_inv
	v_cndmask_b32_e32 v2, 0, v2, vcc_lo
	ds_load_b32 v1, v1 offset:28
	v_add_nc_u32_e64 v11, 0x3400, 0
	s_waitcnt lgkmcnt(0)
	s_barrier
	buffer_gl0_inv
	ds_load_2addr_b32 v[16:17], v11 offset1:2
	v_add_nc_u32_e32 v1, v1, v2
	s_delay_alu instid0(VALU_DEP_1) | instskip(NEXT) | instid1(VALU_DEP_1)
	v_add_nc_u32_e32 v2, v1, v41
	v_add_nc_u32_e32 v3, v2, v42
	s_delay_alu instid0(VALU_DEP_1) | instskip(NEXT) | instid1(VALU_DEP_1)
	v_add_nc_u32_e32 v4, v3, v43
	;; [unrolled: 3-line block ×6, first 2 shown]
	v_add_nc_u32_e32 v13, v12, v36
	s_branch .LBB1004_76
.LBB1004_66:
                                        ; implicit-def: $vgpr17
                                        ; implicit-def: $vgpr1_vgpr2_vgpr3_vgpr4_vgpr5_vgpr6_vgpr7_vgpr8_vgpr9_vgpr10_vgpr11_vgpr12_vgpr13_vgpr14_vgpr15_vgpr16
	s_and_b32 vcc_lo, exec_lo, s6
	s_cbranch_vccz .LBB1004_76
; %bb.67:
	s_delay_alu instid0(VALU_DEP_1) | instskip(NEXT) | instid1(VALU_DEP_1)
	v_mov_b32_dpp v1, v52 row_shr:1 row_mask:0xf bank_mask:0xf
	v_cndmask_b32_e64 v1, v1, 0, s5
	s_delay_alu instid0(VALU_DEP_1) | instskip(NEXT) | instid1(VALU_DEP_1)
	v_add_nc_u32_e32 v1, v1, v52
	v_mov_b32_dpp v2, v1 row_shr:2 row_mask:0xf bank_mask:0xf
	s_delay_alu instid0(VALU_DEP_1) | instskip(NEXT) | instid1(VALU_DEP_1)
	v_cndmask_b32_e64 v2, 0, v2, s4
	v_add_nc_u32_e32 v1, v1, v2
	s_delay_alu instid0(VALU_DEP_1) | instskip(NEXT) | instid1(VALU_DEP_1)
	v_mov_b32_dpp v2, v1 row_shr:4 row_mask:0xf bank_mask:0xf
	v_cndmask_b32_e64 v2, 0, v2, s3
	s_delay_alu instid0(VALU_DEP_1) | instskip(NEXT) | instid1(VALU_DEP_1)
	v_add_nc_u32_e32 v1, v1, v2
	v_mov_b32_dpp v2, v1 row_shr:8 row_mask:0xf bank_mask:0xf
	s_delay_alu instid0(VALU_DEP_1) | instskip(NEXT) | instid1(VALU_DEP_1)
	v_cndmask_b32_e64 v2, 0, v2, s2
	v_add_nc_u32_e32 v1, v1, v2
	ds_swizzle_b32 v2, v1 offset:swizzle(BROADCAST,32,15)
	s_waitcnt lgkmcnt(0)
	v_cndmask_b32_e64 v2, v2, 0, s1
	s_delay_alu instid0(VALU_DEP_1)
	v_add_nc_u32_e32 v1, v1, v2
	s_and_saveexec_b32 s1, s0
	s_cbranch_execz .LBB1004_69
; %bb.68:
	v_lshlrev_b32_e32 v2, 2, v51
	ds_store_b32 v2, v1
.LBB1004_69:
	s_or_b32 exec_lo, exec_lo, s1
	s_delay_alu instid0(SALU_CYCLE_1)
	s_mov_b32 s0, exec_lo
	s_waitcnt lgkmcnt(0)
	s_barrier
	buffer_gl0_inv
	v_cmpx_gt_u32_e32 8, v0
	s_cbranch_execz .LBB1004_71
; %bb.70:
	ds_load_b32 v2, v30
	s_waitcnt lgkmcnt(0)
	v_mov_b32_dpp v4, v2 row_shr:1 row_mask:0xf bank_mask:0xf
	v_and_b32_e32 v3, 7, v50
	s_delay_alu instid0(VALU_DEP_1) | instskip(NEXT) | instid1(VALU_DEP_3)
	v_cmp_ne_u32_e32 vcc_lo, 0, v3
	v_cndmask_b32_e32 v4, 0, v4, vcc_lo
	v_cmp_lt_u32_e32 vcc_lo, 1, v3
	s_delay_alu instid0(VALU_DEP_2) | instskip(NEXT) | instid1(VALU_DEP_1)
	v_add_nc_u32_e32 v2, v4, v2
	v_mov_b32_dpp v4, v2 row_shr:2 row_mask:0xf bank_mask:0xf
	s_delay_alu instid0(VALU_DEP_1) | instskip(SKIP_1) | instid1(VALU_DEP_2)
	v_cndmask_b32_e32 v4, 0, v4, vcc_lo
	v_cmp_lt_u32_e32 vcc_lo, 3, v3
	v_add_nc_u32_e32 v2, v2, v4
	s_delay_alu instid0(VALU_DEP_1) | instskip(NEXT) | instid1(VALU_DEP_1)
	v_mov_b32_dpp v4, v2 row_shr:4 row_mask:0xf bank_mask:0xf
	v_cndmask_b32_e32 v3, 0, v4, vcc_lo
	s_delay_alu instid0(VALU_DEP_1)
	v_add_nc_u32_e32 v2, v2, v3
	ds_store_b32 v30, v2
.LBB1004_71:
	s_or_b32 exec_lo, exec_lo, s0
	v_dual_mov_b32 v3, 0 :: v_dual_mov_b32 v2, 0
	s_mov_b32 s0, exec_lo
	s_waitcnt lgkmcnt(0)
	s_barrier
	buffer_gl0_inv
	v_cmpx_lt_u32_e32 31, v0
	s_cbranch_execz .LBB1004_73
; %bb.72:
	v_lshl_add_u32 v2, v51, 2, -4
	ds_load_b32 v2, v2
.LBB1004_73:
	s_or_b32 exec_lo, exec_lo, s0
	v_add_nc_u32_e32 v4, -1, v50
	ds_load_b32 v16, v3 offset:28
	s_waitcnt lgkmcnt(1)
	v_add_nc_u32_e32 v1, v2, v1
	v_cmp_gt_i32_e32 vcc_lo, 0, v4
	v_cndmask_b32_e32 v4, v4, v50, vcc_lo
	v_cmp_eq_u32_e32 vcc_lo, 0, v0
	s_delay_alu instid0(VALU_DEP_2)
	v_lshlrev_b32_e32 v4, 2, v4
	ds_bpermute_b32 v1, v4, v1
	s_and_saveexec_b32 s0, vcc_lo
	s_cbranch_execz .LBB1004_75
; %bb.74:
	v_mov_b32_e32 v3, 0
	v_mov_b32_e32 v17, 2
	s_waitcnt lgkmcnt(1)
	global_store_b64 v3, v[16:17], s[20:21] offset:256
.LBB1004_75:
	s_or_b32 exec_lo, exec_lo, s0
	v_cmp_eq_u32_e64 s0, 0, v50
	s_waitcnt lgkmcnt(0)
	s_waitcnt_vscnt null, 0x0
	s_barrier
	buffer_gl0_inv
	v_mov_b32_e32 v17, 0
	v_cndmask_b32_e64 v1, v1, v2, s0
	s_delay_alu instid0(VALU_DEP_1) | instskip(NEXT) | instid1(VALU_DEP_1)
	v_cndmask_b32_e64 v1, v1, 0, vcc_lo
	v_add_nc_u32_e32 v2, v1, v41
	s_delay_alu instid0(VALU_DEP_1) | instskip(NEXT) | instid1(VALU_DEP_1)
	v_add_nc_u32_e32 v3, v2, v42
	v_add_nc_u32_e32 v4, v3, v43
	s_delay_alu instid0(VALU_DEP_1) | instskip(NEXT) | instid1(VALU_DEP_1)
	v_add_nc_u32_e32 v5, v4, v40
	;; [unrolled: 3-line block ×5, first 2 shown]
	v_add_nc_u32_e32 v12, v11, v49
	s_delay_alu instid0(VALU_DEP_1)
	v_add_nc_u32_e32 v13, v12, v36
.LBB1004_76:
	v_lshrrev_b32_e32 v44, 8, v39
	v_lshrrev_b32_e32 v43, 16, v39
	s_waitcnt lgkmcnt(0)
	v_sub_nc_u32_e32 v1, v1, v17
	v_and_b32_e32 v39, 1, v39
	v_sub_nc_u32_e32 v3, v3, v17
	v_add_nc_u32_e32 v33, v16, v33
	v_sub_nc_u32_e32 v2, v2, v17
	v_sub_nc_u32_e32 v4, v4, v17
	v_cmp_eq_u32_e32 vcc_lo, 1, v39
	v_and_b32_e32 v39, 1, v43
	v_sub_nc_u32_e32 v45, v33, v1
	v_and_b32_e32 v44, 1, v44
	v_sub_nc_u32_e32 v43, v33, v2
	v_lshrrev_b32_e32 v42, 8, v37
	v_lshrrev_b32_e32 v41, 16, v37
	v_cndmask_b32_e32 v1, v45, v1, vcc_lo
	v_sub_nc_u32_e32 v45, v33, v3
	v_add_nc_u32_e32 v43, 1, v43
	v_cmp_eq_u32_e32 vcc_lo, 1, v44
	v_and_b32_e32 v40, 1, v40
	v_lshlrev_b32_e32 v1, 2, v1
	v_add_nc_u32_e32 v45, 2, v45
	v_lshrrev_b32_e32 v15, 8, v35
	v_lshrrev_b32_e32 v14, 16, v35
	ds_store_b32 v1, v28
	v_cndmask_b32_e32 v1, v43, v2, vcc_lo
	v_cmp_eq_u32_e32 vcc_lo, 1, v39
	v_or_b32_e32 v28, 0x500, v0
	s_delay_alu instid0(VALU_DEP_3)
	v_dual_cndmask_b32 v2, v45, v3 :: v_dual_lshlrev_b32 v1, 2, v1
	v_sub_nc_u32_e32 v46, v33, v4
	v_cmp_eq_u32_e32 vcc_lo, 1, v40
	ds_store_b32 v1, v29
	v_lshlrev_b32_e32 v2, 2, v2
	v_add_nc_u32_e32 v46, 3, v46
	v_or_b32_e32 v29, 0x400, v0
	s_delay_alu instid0(VALU_DEP_2) | instskip(SKIP_2) | instid1(VALU_DEP_3)
	v_cndmask_b32_e32 v3, v46, v4, vcc_lo
	v_sub_nc_u32_e32 v4, v5, v17
	v_sub_nc_u32_e32 v5, v6, v17
	v_lshlrev_b32_e32 v3, 2, v3
	s_delay_alu instid0(VALU_DEP_3) | instskip(NEXT) | instid1(VALU_DEP_3)
	v_sub_nc_u32_e32 v1, v33, v4
	v_sub_nc_u32_e32 v6, v33, v5
	ds_store_b32 v2, v26
	ds_store_b32 v3, v27
	v_and_b32_e32 v2, 1, v37
	v_add_nc_u32_e32 v1, 4, v1
	v_add_nc_u32_e32 v3, 5, v6
	v_sub_nc_u32_e32 v6, v7, v17
	v_and_b32_e32 v7, 1, v42
	v_cmp_eq_u32_e32 vcc_lo, 1, v2
	v_sub_nc_u32_e32 v2, v8, v17
	v_and_b32_e32 v8, 1, v38
	v_or_b32_e32 v27, 0x600, v0
	v_or_b32_e32 v26, 0x700, v0
	v_cndmask_b32_e32 v1, v1, v4, vcc_lo
	v_sub_nc_u32_e32 v4, v33, v6
	v_cmp_eq_u32_e32 vcc_lo, 1, v7
	v_and_b32_e32 v7, 1, v41
	s_delay_alu instid0(VALU_DEP_4) | instskip(NEXT) | instid1(VALU_DEP_4)
	v_lshlrev_b32_e32 v1, 2, v1
	v_dual_cndmask_b32 v3, v3, v5 :: v_dual_add_nc_u32 v4, 6, v4
	v_sub_nc_u32_e32 v5, v33, v2
	s_delay_alu instid0(VALU_DEP_4) | instskip(SKIP_1) | instid1(VALU_DEP_4)
	v_cmp_eq_u32_e32 vcc_lo, 1, v7
	v_sub_nc_u32_e32 v7, v13, v17
	v_lshlrev_b32_e32 v3, 2, v3
	s_delay_alu instid0(VALU_DEP_4)
	v_dual_cndmask_b32 v4, v4, v6 :: v_dual_add_nc_u32 v5, 7, v5
	v_cmp_eq_u32_e32 vcc_lo, 1, v8
	v_sub_nc_u32_e32 v6, v9, v17
	ds_store_b32 v1, v24
	ds_store_b32 v3, v25
	v_or_b32_e32 v25, 0x800, v0
	v_dual_cndmask_b32 v2, v5, v2 :: v_dual_lshlrev_b32 v3, 2, v4
	v_and_b32_e32 v5, 1, v35
	v_sub_nc_u32_e32 v1, v33, v6
	v_sub_nc_u32_e32 v4, v10, v17
	v_and_b32_e32 v10, 1, v36
	v_or_b32_e32 v24, 0x900, v0
	v_cmp_eq_u32_e32 vcc_lo, 1, v5
	v_sub_nc_u32_e32 v5, v12, v17
	v_add_nc_u32_e32 v1, 8, v1
	s_delay_alu instid0(VALU_DEP_2) | instskip(NEXT) | instid1(VALU_DEP_2)
	v_sub_nc_u32_e32 v9, v33, v5
	v_dual_cndmask_b32 v1, v1, v6 :: v_dual_and_b32 v6, 1, v15
	v_add_co_u32 v15, s0, s18, v17
	s_delay_alu instid0(VALU_DEP_3)
	v_add_nc_u32_e32 v9, 11, v9
	v_lshlrev_b32_e32 v2, 2, v2
	ds_store_b32 v3, v22
	ds_store_b32 v2, v23
	v_sub_nc_u32_e32 v3, v11, v17
	v_sub_nc_u32_e32 v2, v33, v4
	v_cmp_eq_u32_e32 vcc_lo, 1, v6
	v_and_b32_e32 v11, 1, v34
	v_lshlrev_b32_e32 v1, 2, v1
	v_sub_nc_u32_e32 v8, v33, v3
	v_add_nc_u32_e32 v2, 9, v2
	v_add_co_ci_u32_e64 v17, null, s19, 0, s0
	s_add_u32 s0, s16, s23
	s_delay_alu instid0(VALU_DEP_3)
	v_add_nc_u32_e32 v6, 10, v8
	v_and_b32_e32 v8, 1, v14
	v_cndmask_b32_e32 v2, v2, v4, vcc_lo
	v_sub_nc_u32_e32 v4, v33, v7
	s_addc_u32 s1, s17, 0
	s_sub_u32 s0, s12, s0
	v_cmp_eq_u32_e32 vcc_lo, 1, v8
	v_lshlrev_b32_e32 v2, 2, v2
	v_add_nc_u32_e32 v4, 12, v4
	s_subb_u32 s1, s13, s1
	v_add_co_u32 v13, s0, s0, v16
	v_cndmask_b32_e32 v3, v6, v3, vcc_lo
	v_cmp_eq_u32_e32 vcc_lo, 1, v10
	v_add_co_ci_u32_e64 v14, null, s1, 0, s0
	v_or_b32_e32 v34, 0x100, v0
	s_delay_alu instid0(VALU_DEP_4)
	v_lshlrev_b32_e32 v3, 2, v3
	v_cndmask_b32_e32 v5, v9, v5, vcc_lo
	v_cmp_eq_u32_e32 vcc_lo, 1, v11
	v_or_b32_e32 v33, 0x200, v0
	v_or_b32_e32 v23, 0xa00, v0
	;; [unrolled: 1-line block ×3, first 2 shown]
	v_dual_cndmask_b32 v4, v4, v7 :: v_dual_lshlrev_b32 v5, 2, v5
	v_cmp_ne_u32_e32 vcc_lo, 1, v31
	s_delay_alu instid0(VALU_DEP_2)
	v_lshlrev_b32_e32 v4, 2, v4
	ds_store_b32 v1, v20
	ds_store_b32 v2, v21
	;; [unrolled: 1-line block ×5, first 2 shown]
	s_waitcnt lgkmcnt(0)
	s_barrier
	buffer_gl0_inv
	ds_load_2addr_stride64_b32 v[11:12], v30 offset1:4
	ds_load_2addr_stride64_b32 v[9:10], v30 offset0:8 offset1:12
	ds_load_2addr_stride64_b32 v[7:8], v30 offset0:16 offset1:20
	;; [unrolled: 1-line block ×5, first 2 shown]
	ds_load_b32 v18, v30 offset:12288
	v_add_co_u32 v20, s0, v13, v15
	v_or_b32_e32 v32, 0x300, v0
	v_or_b32_e32 v19, 0xc00, v0
	v_add_co_ci_u32_e64 v21, s0, v14, v17, s0
	s_mov_b32 s0, 0
	s_cbranch_vccnz .LBB1004_130
; %bb.77:
	s_mov_b32 s0, exec_lo
                                        ; implicit-def: $vgpr13_vgpr14
	v_cmpx_ge_u32_e64 v0, v16
	s_xor_b32 s0, exec_lo, s0
; %bb.78:
	v_not_b32_e32 v13, v0
	s_delay_alu instid0(VALU_DEP_1) | instskip(SKIP_1) | instid1(VALU_DEP_2)
	v_ashrrev_i32_e32 v14, 31, v13
	v_add_co_u32 v13, vcc_lo, v20, v13
	v_add_co_ci_u32_e32 v14, vcc_lo, v21, v14, vcc_lo
; %bb.79:
	s_and_not1_saveexec_b32 s0, s0
; %bb.80:
	v_add_co_u32 v13, vcc_lo, v15, v0
	v_add_co_ci_u32_e32 v14, vcc_lo, 0, v17, vcc_lo
; %bb.81:
	s_or_b32 exec_lo, exec_lo, s0
	s_delay_alu instid0(VALU_DEP_1) | instskip(SKIP_1) | instid1(VALU_DEP_1)
	v_lshlrev_b64 v[13:14], 2, v[13:14]
	s_mov_b32 s0, exec_lo
	v_add_co_u32 v13, vcc_lo, s10, v13
	s_delay_alu instid0(VALU_DEP_2)
	v_add_co_ci_u32_e32 v14, vcc_lo, s11, v14, vcc_lo
	s_waitcnt lgkmcnt(6)
	global_store_b32 v[13:14], v11, off
                                        ; implicit-def: $vgpr13_vgpr14
	v_cmpx_ge_u32_e64 v34, v16
	s_xor_b32 s0, exec_lo, s0
; %bb.82:
	v_xor_b32_e32 v13, 0xfffffeff, v0
	s_delay_alu instid0(VALU_DEP_1) | instskip(SKIP_1) | instid1(VALU_DEP_2)
	v_ashrrev_i32_e32 v14, 31, v13
	v_add_co_u32 v13, vcc_lo, v20, v13
	v_add_co_ci_u32_e32 v14, vcc_lo, v21, v14, vcc_lo
; %bb.83:
	s_and_not1_saveexec_b32 s0, s0
; %bb.84:
	v_add_co_u32 v13, vcc_lo, v15, v34
	v_add_co_ci_u32_e32 v14, vcc_lo, 0, v17, vcc_lo
; %bb.85:
	s_or_b32 exec_lo, exec_lo, s0
	s_delay_alu instid0(VALU_DEP_1) | instskip(SKIP_1) | instid1(VALU_DEP_1)
	v_lshlrev_b64 v[13:14], 2, v[13:14]
	s_mov_b32 s0, exec_lo
	v_add_co_u32 v13, vcc_lo, s10, v13
	s_delay_alu instid0(VALU_DEP_2)
	v_add_co_ci_u32_e32 v14, vcc_lo, s11, v14, vcc_lo
	global_store_b32 v[13:14], v12, off
                                        ; implicit-def: $vgpr13_vgpr14
	v_cmpx_ge_u32_e64 v33, v16
	s_xor_b32 s0, exec_lo, s0
; %bb.86:
	v_xor_b32_e32 v13, 0xfffffdff, v0
	s_delay_alu instid0(VALU_DEP_1) | instskip(SKIP_1) | instid1(VALU_DEP_2)
	v_ashrrev_i32_e32 v14, 31, v13
	v_add_co_u32 v13, vcc_lo, v20, v13
	v_add_co_ci_u32_e32 v14, vcc_lo, v21, v14, vcc_lo
; %bb.87:
	s_and_not1_saveexec_b32 s0, s0
; %bb.88:
	v_add_co_u32 v13, vcc_lo, v15, v33
	v_add_co_ci_u32_e32 v14, vcc_lo, 0, v17, vcc_lo
; %bb.89:
	s_or_b32 exec_lo, exec_lo, s0
	s_delay_alu instid0(VALU_DEP_1) | instskip(SKIP_1) | instid1(VALU_DEP_1)
	v_lshlrev_b64 v[13:14], 2, v[13:14]
	s_mov_b32 s0, exec_lo
	v_add_co_u32 v13, vcc_lo, s10, v13
	s_delay_alu instid0(VALU_DEP_2)
	v_add_co_ci_u32_e32 v14, vcc_lo, s11, v14, vcc_lo
	s_waitcnt lgkmcnt(5)
	global_store_b32 v[13:14], v9, off
                                        ; implicit-def: $vgpr13_vgpr14
	v_cmpx_ge_u32_e64 v32, v16
	s_xor_b32 s0, exec_lo, s0
; %bb.90:
	v_xor_b32_e32 v13, 0xfffffcff, v0
	s_delay_alu instid0(VALU_DEP_1) | instskip(SKIP_1) | instid1(VALU_DEP_2)
	v_ashrrev_i32_e32 v14, 31, v13
	v_add_co_u32 v13, vcc_lo, v20, v13
	v_add_co_ci_u32_e32 v14, vcc_lo, v21, v14, vcc_lo
; %bb.91:
	s_and_not1_saveexec_b32 s0, s0
; %bb.92:
	v_add_co_u32 v13, vcc_lo, v15, v32
	v_add_co_ci_u32_e32 v14, vcc_lo, 0, v17, vcc_lo
; %bb.93:
	s_or_b32 exec_lo, exec_lo, s0
	s_delay_alu instid0(VALU_DEP_1) | instskip(SKIP_1) | instid1(VALU_DEP_1)
	v_lshlrev_b64 v[13:14], 2, v[13:14]
	s_mov_b32 s0, exec_lo
	v_add_co_u32 v13, vcc_lo, s10, v13
	s_delay_alu instid0(VALU_DEP_2)
	v_add_co_ci_u32_e32 v14, vcc_lo, s11, v14, vcc_lo
	global_store_b32 v[13:14], v10, off
                                        ; implicit-def: $vgpr13_vgpr14
	v_cmpx_ge_u32_e64 v29, v16
	s_xor_b32 s0, exec_lo, s0
; %bb.94:
	v_xor_b32_e32 v13, 0xfffffbff, v0
	;; [unrolled: 47-line block ×6, first 2 shown]
	s_delay_alu instid0(VALU_DEP_1) | instskip(SKIP_1) | instid1(VALU_DEP_2)
	v_ashrrev_i32_e32 v14, 31, v13
	v_add_co_u32 v13, vcc_lo, v20, v13
	v_add_co_ci_u32_e32 v14, vcc_lo, v21, v14, vcc_lo
; %bb.127:
	s_and_not1_saveexec_b32 s0, s0
; %bb.128:
	v_add_co_u32 v13, vcc_lo, v15, v19
	v_add_co_ci_u32_e32 v14, vcc_lo, 0, v17, vcc_lo
; %bb.129:
	s_or_b32 exec_lo, exec_lo, s0
	s_mov_b32 s0, -1
	s_branch .LBB1004_210
.LBB1004_130:
                                        ; implicit-def: $vgpr13_vgpr14
	s_cbranch_execz .LBB1004_210
; %bb.131:
	s_mov_b32 s1, exec_lo
	v_cmpx_gt_u32_e64 s22, v0
	s_cbranch_execz .LBB1004_167
; %bb.132:
	s_mov_b32 s2, exec_lo
                                        ; implicit-def: $vgpr13_vgpr14
	v_cmpx_ge_u32_e64 v0, v16
	s_xor_b32 s2, exec_lo, s2
; %bb.133:
	v_not_b32_e32 v13, v0
	s_delay_alu instid0(VALU_DEP_1) | instskip(SKIP_1) | instid1(VALU_DEP_2)
	v_ashrrev_i32_e32 v14, 31, v13
	v_add_co_u32 v13, vcc_lo, v20, v13
	v_add_co_ci_u32_e32 v14, vcc_lo, v21, v14, vcc_lo
; %bb.134:
	s_and_not1_saveexec_b32 s2, s2
; %bb.135:
	v_add_co_u32 v13, vcc_lo, v15, v0
	v_add_co_ci_u32_e32 v14, vcc_lo, 0, v17, vcc_lo
; %bb.136:
	s_or_b32 exec_lo, exec_lo, s2
	s_delay_alu instid0(VALU_DEP_1) | instskip(NEXT) | instid1(VALU_DEP_1)
	v_lshlrev_b64 v[13:14], 2, v[13:14]
	v_add_co_u32 v13, vcc_lo, s10, v13
	s_delay_alu instid0(VALU_DEP_2) | instskip(SKIP_3) | instid1(SALU_CYCLE_1)
	v_add_co_ci_u32_e32 v14, vcc_lo, s11, v14, vcc_lo
	s_waitcnt lgkmcnt(6)
	global_store_b32 v[13:14], v11, off
	s_or_b32 exec_lo, exec_lo, s1
	s_mov_b32 s1, exec_lo
	v_cmpx_gt_u32_e64 s22, v34
	s_cbranch_execnz .LBB1004_168
.LBB1004_137:
	s_or_b32 exec_lo, exec_lo, s1
	s_delay_alu instid0(SALU_CYCLE_1)
	s_mov_b32 s1, exec_lo
	v_cmpx_gt_u32_e64 s22, v33
	s_cbranch_execz .LBB1004_173
.LBB1004_138:
	s_mov_b32 s2, exec_lo
                                        ; implicit-def: $vgpr11_vgpr12
	v_cmpx_ge_u32_e64 v33, v16
	s_xor_b32 s2, exec_lo, s2
	s_cbranch_execz .LBB1004_140
; %bb.139:
	s_waitcnt lgkmcnt(6)
	v_xor_b32_e32 v11, 0xfffffdff, v0
                                        ; implicit-def: $vgpr33
	s_delay_alu instid0(VALU_DEP_1) | instskip(SKIP_1) | instid1(VALU_DEP_2)
	v_ashrrev_i32_e32 v12, 31, v11
	v_add_co_u32 v11, vcc_lo, v20, v11
	v_add_co_ci_u32_e32 v12, vcc_lo, v21, v12, vcc_lo
.LBB1004_140:
	s_and_not1_saveexec_b32 s2, s2
	s_cbranch_execz .LBB1004_142
; %bb.141:
	s_waitcnt lgkmcnt(6)
	v_add_co_u32 v11, vcc_lo, v15, v33
	v_add_co_ci_u32_e32 v12, vcc_lo, 0, v17, vcc_lo
.LBB1004_142:
	s_or_b32 exec_lo, exec_lo, s2
	s_waitcnt lgkmcnt(6)
	s_delay_alu instid0(VALU_DEP_1) | instskip(NEXT) | instid1(VALU_DEP_1)
	v_lshlrev_b64 v[11:12], 2, v[11:12]
	v_add_co_u32 v11, vcc_lo, s10, v11
	s_delay_alu instid0(VALU_DEP_2) | instskip(SKIP_3) | instid1(SALU_CYCLE_1)
	v_add_co_ci_u32_e32 v12, vcc_lo, s11, v12, vcc_lo
	s_waitcnt lgkmcnt(5)
	global_store_b32 v[11:12], v9, off
	s_or_b32 exec_lo, exec_lo, s1
	s_mov_b32 s1, exec_lo
	v_cmpx_gt_u32_e64 s22, v32
	s_cbranch_execnz .LBB1004_174
.LBB1004_143:
	s_or_b32 exec_lo, exec_lo, s1
	s_delay_alu instid0(SALU_CYCLE_1)
	s_mov_b32 s1, exec_lo
	v_cmpx_gt_u32_e64 s22, v29
	s_cbranch_execz .LBB1004_179
.LBB1004_144:
	s_mov_b32 s2, exec_lo
                                        ; implicit-def: $vgpr9_vgpr10
	v_cmpx_ge_u32_e64 v29, v16
	s_xor_b32 s2, exec_lo, s2
	s_cbranch_execz .LBB1004_146
; %bb.145:
	s_waitcnt lgkmcnt(5)
	v_xor_b32_e32 v9, 0xfffffbff, v0
                                        ; implicit-def: $vgpr29
	s_delay_alu instid0(VALU_DEP_1) | instskip(SKIP_1) | instid1(VALU_DEP_2)
	v_ashrrev_i32_e32 v10, 31, v9
	v_add_co_u32 v9, vcc_lo, v20, v9
	v_add_co_ci_u32_e32 v10, vcc_lo, v21, v10, vcc_lo
.LBB1004_146:
	s_and_not1_saveexec_b32 s2, s2
	s_cbranch_execz .LBB1004_148
; %bb.147:
	s_waitcnt lgkmcnt(5)
	v_add_co_u32 v9, vcc_lo, v15, v29
	v_add_co_ci_u32_e32 v10, vcc_lo, 0, v17, vcc_lo
.LBB1004_148:
	s_or_b32 exec_lo, exec_lo, s2
	s_waitcnt lgkmcnt(5)
	s_delay_alu instid0(VALU_DEP_1) | instskip(NEXT) | instid1(VALU_DEP_1)
	v_lshlrev_b64 v[9:10], 2, v[9:10]
	v_add_co_u32 v9, vcc_lo, s10, v9
	s_delay_alu instid0(VALU_DEP_2) | instskip(SKIP_3) | instid1(SALU_CYCLE_1)
	v_add_co_ci_u32_e32 v10, vcc_lo, s11, v10, vcc_lo
	s_waitcnt lgkmcnt(4)
	global_store_b32 v[9:10], v7, off
	s_or_b32 exec_lo, exec_lo, s1
	s_mov_b32 s1, exec_lo
	v_cmpx_gt_u32_e64 s22, v28
	s_cbranch_execnz .LBB1004_180
.LBB1004_149:
	s_or_b32 exec_lo, exec_lo, s1
	s_delay_alu instid0(SALU_CYCLE_1)
	s_mov_b32 s1, exec_lo
	v_cmpx_gt_u32_e64 s22, v27
	s_cbranch_execz .LBB1004_185
.LBB1004_150:
	s_mov_b32 s2, exec_lo
                                        ; implicit-def: $vgpr7_vgpr8
	v_cmpx_ge_u32_e64 v27, v16
	s_xor_b32 s2, exec_lo, s2
	s_cbranch_execz .LBB1004_152
; %bb.151:
	s_waitcnt lgkmcnt(4)
	v_xor_b32_e32 v7, 0xfffff9ff, v0
                                        ; implicit-def: $vgpr27
	s_delay_alu instid0(VALU_DEP_1) | instskip(SKIP_1) | instid1(VALU_DEP_2)
	v_ashrrev_i32_e32 v8, 31, v7
	v_add_co_u32 v7, vcc_lo, v20, v7
	v_add_co_ci_u32_e32 v8, vcc_lo, v21, v8, vcc_lo
.LBB1004_152:
	s_and_not1_saveexec_b32 s2, s2
	s_cbranch_execz .LBB1004_154
; %bb.153:
	s_waitcnt lgkmcnt(4)
	v_add_co_u32 v7, vcc_lo, v15, v27
	v_add_co_ci_u32_e32 v8, vcc_lo, 0, v17, vcc_lo
.LBB1004_154:
	s_or_b32 exec_lo, exec_lo, s2
	s_waitcnt lgkmcnt(4)
	s_delay_alu instid0(VALU_DEP_1) | instskip(NEXT) | instid1(VALU_DEP_1)
	v_lshlrev_b64 v[7:8], 2, v[7:8]
	v_add_co_u32 v7, vcc_lo, s10, v7
	s_delay_alu instid0(VALU_DEP_2) | instskip(SKIP_3) | instid1(SALU_CYCLE_1)
	v_add_co_ci_u32_e32 v8, vcc_lo, s11, v8, vcc_lo
	s_waitcnt lgkmcnt(3)
	global_store_b32 v[7:8], v5, off
	s_or_b32 exec_lo, exec_lo, s1
	s_mov_b32 s1, exec_lo
	v_cmpx_gt_u32_e64 s22, v26
	s_cbranch_execnz .LBB1004_186
.LBB1004_155:
	s_or_b32 exec_lo, exec_lo, s1
	s_delay_alu instid0(SALU_CYCLE_1)
	s_mov_b32 s1, exec_lo
	v_cmpx_gt_u32_e64 s22, v25
	s_cbranch_execz .LBB1004_191
.LBB1004_156:
	s_mov_b32 s2, exec_lo
                                        ; implicit-def: $vgpr5_vgpr6
	v_cmpx_ge_u32_e64 v25, v16
	s_xor_b32 s2, exec_lo, s2
	s_cbranch_execz .LBB1004_158
; %bb.157:
	s_waitcnt lgkmcnt(3)
	v_xor_b32_e32 v5, 0xfffff7ff, v0
                                        ; implicit-def: $vgpr25
	s_delay_alu instid0(VALU_DEP_1) | instskip(SKIP_1) | instid1(VALU_DEP_2)
	v_ashrrev_i32_e32 v6, 31, v5
	v_add_co_u32 v5, vcc_lo, v20, v5
	v_add_co_ci_u32_e32 v6, vcc_lo, v21, v6, vcc_lo
.LBB1004_158:
	s_and_not1_saveexec_b32 s2, s2
	s_cbranch_execz .LBB1004_160
; %bb.159:
	s_waitcnt lgkmcnt(3)
	v_add_co_u32 v5, vcc_lo, v15, v25
	v_add_co_ci_u32_e32 v6, vcc_lo, 0, v17, vcc_lo
.LBB1004_160:
	s_or_b32 exec_lo, exec_lo, s2
	s_waitcnt lgkmcnt(3)
	s_delay_alu instid0(VALU_DEP_1) | instskip(NEXT) | instid1(VALU_DEP_1)
	v_lshlrev_b64 v[5:6], 2, v[5:6]
	v_add_co_u32 v5, vcc_lo, s10, v5
	s_delay_alu instid0(VALU_DEP_2) | instskip(SKIP_3) | instid1(SALU_CYCLE_1)
	v_add_co_ci_u32_e32 v6, vcc_lo, s11, v6, vcc_lo
	s_waitcnt lgkmcnt(2)
	global_store_b32 v[5:6], v3, off
	s_or_b32 exec_lo, exec_lo, s1
	s_mov_b32 s1, exec_lo
	v_cmpx_gt_u32_e64 s22, v24
	s_cbranch_execnz .LBB1004_192
.LBB1004_161:
	s_or_b32 exec_lo, exec_lo, s1
	s_delay_alu instid0(SALU_CYCLE_1)
	s_mov_b32 s1, exec_lo
	v_cmpx_gt_u32_e64 s22, v23
	s_cbranch_execz .LBB1004_197
.LBB1004_162:
	s_mov_b32 s2, exec_lo
                                        ; implicit-def: $vgpr3_vgpr4
	v_cmpx_ge_u32_e64 v23, v16
	s_xor_b32 s2, exec_lo, s2
	s_cbranch_execz .LBB1004_164
; %bb.163:
	s_waitcnt lgkmcnt(2)
	v_xor_b32_e32 v3, 0xfffff5ff, v0
                                        ; implicit-def: $vgpr23
	s_delay_alu instid0(VALU_DEP_1) | instskip(SKIP_1) | instid1(VALU_DEP_2)
	v_ashrrev_i32_e32 v4, 31, v3
	v_add_co_u32 v3, vcc_lo, v20, v3
	v_add_co_ci_u32_e32 v4, vcc_lo, v21, v4, vcc_lo
.LBB1004_164:
	s_and_not1_saveexec_b32 s2, s2
	s_cbranch_execz .LBB1004_166
; %bb.165:
	s_waitcnt lgkmcnt(2)
	v_add_co_u32 v3, vcc_lo, v15, v23
	v_add_co_ci_u32_e32 v4, vcc_lo, 0, v17, vcc_lo
.LBB1004_166:
	s_or_b32 exec_lo, exec_lo, s2
	s_waitcnt lgkmcnt(2)
	s_delay_alu instid0(VALU_DEP_1) | instskip(NEXT) | instid1(VALU_DEP_1)
	v_lshlrev_b64 v[3:4], 2, v[3:4]
	v_add_co_u32 v3, vcc_lo, s10, v3
	s_delay_alu instid0(VALU_DEP_2) | instskip(SKIP_3) | instid1(SALU_CYCLE_1)
	v_add_co_ci_u32_e32 v4, vcc_lo, s11, v4, vcc_lo
	s_waitcnt lgkmcnt(1)
	global_store_b32 v[3:4], v1, off
	s_or_b32 exec_lo, exec_lo, s1
	s_mov_b32 s1, exec_lo
	v_cmpx_gt_u32_e64 s22, v22
	s_cbranch_execz .LBB1004_203
	s_branch .LBB1004_198
.LBB1004_167:
	s_or_b32 exec_lo, exec_lo, s1
	s_delay_alu instid0(SALU_CYCLE_1)
	s_mov_b32 s1, exec_lo
	v_cmpx_gt_u32_e64 s22, v34
	s_cbranch_execz .LBB1004_137
.LBB1004_168:
	s_mov_b32 s2, exec_lo
                                        ; implicit-def: $vgpr13_vgpr14
	v_cmpx_ge_u32_e64 v34, v16
	s_xor_b32 s2, exec_lo, s2
	s_cbranch_execz .LBB1004_170
; %bb.169:
	s_waitcnt lgkmcnt(6)
	v_xor_b32_e32 v11, 0xfffffeff, v0
                                        ; implicit-def: $vgpr34
	s_delay_alu instid0(VALU_DEP_1) | instskip(SKIP_1) | instid1(VALU_DEP_2)
	v_ashrrev_i32_e32 v14, 31, v11
	v_add_co_u32 v13, vcc_lo, v20, v11
	v_add_co_ci_u32_e32 v14, vcc_lo, v21, v14, vcc_lo
.LBB1004_170:
	s_and_not1_saveexec_b32 s2, s2
; %bb.171:
	v_add_co_u32 v13, vcc_lo, v15, v34
	v_add_co_ci_u32_e32 v14, vcc_lo, 0, v17, vcc_lo
; %bb.172:
	s_or_b32 exec_lo, exec_lo, s2
	s_delay_alu instid0(VALU_DEP_1) | instskip(NEXT) | instid1(VALU_DEP_1)
	v_lshlrev_b64 v[13:14], 2, v[13:14]
	v_add_co_u32 v13, vcc_lo, s10, v13
	s_delay_alu instid0(VALU_DEP_2) | instskip(SKIP_3) | instid1(SALU_CYCLE_1)
	v_add_co_ci_u32_e32 v14, vcc_lo, s11, v14, vcc_lo
	s_waitcnt lgkmcnt(6)
	global_store_b32 v[13:14], v12, off
	s_or_b32 exec_lo, exec_lo, s1
	s_mov_b32 s1, exec_lo
	v_cmpx_gt_u32_e64 s22, v33
	s_cbranch_execnz .LBB1004_138
.LBB1004_173:
	s_or_b32 exec_lo, exec_lo, s1
	s_delay_alu instid0(SALU_CYCLE_1)
	s_mov_b32 s1, exec_lo
	v_cmpx_gt_u32_e64 s22, v32
	s_cbranch_execz .LBB1004_143
.LBB1004_174:
	s_mov_b32 s2, exec_lo
                                        ; implicit-def: $vgpr11_vgpr12
	v_cmpx_ge_u32_e64 v32, v16
	s_xor_b32 s2, exec_lo, s2
	s_cbranch_execz .LBB1004_176
; %bb.175:
	s_waitcnt lgkmcnt(5)
	v_xor_b32_e32 v9, 0xfffffcff, v0
                                        ; implicit-def: $vgpr32
	s_delay_alu instid0(VALU_DEP_1) | instskip(SKIP_1) | instid1(VALU_DEP_2)
	v_ashrrev_i32_e32 v12, 31, v9
	v_add_co_u32 v11, vcc_lo, v20, v9
	v_add_co_ci_u32_e32 v12, vcc_lo, v21, v12, vcc_lo
.LBB1004_176:
	s_and_not1_saveexec_b32 s2, s2
	s_cbranch_execz .LBB1004_178
; %bb.177:
	s_waitcnt lgkmcnt(6)
	v_add_co_u32 v11, vcc_lo, v15, v32
	v_add_co_ci_u32_e32 v12, vcc_lo, 0, v17, vcc_lo
.LBB1004_178:
	s_or_b32 exec_lo, exec_lo, s2
	s_waitcnt lgkmcnt(6)
	s_delay_alu instid0(VALU_DEP_1) | instskip(NEXT) | instid1(VALU_DEP_1)
	v_lshlrev_b64 v[11:12], 2, v[11:12]
	v_add_co_u32 v11, vcc_lo, s10, v11
	s_delay_alu instid0(VALU_DEP_2) | instskip(SKIP_3) | instid1(SALU_CYCLE_1)
	v_add_co_ci_u32_e32 v12, vcc_lo, s11, v12, vcc_lo
	s_waitcnt lgkmcnt(5)
	global_store_b32 v[11:12], v10, off
	s_or_b32 exec_lo, exec_lo, s1
	s_mov_b32 s1, exec_lo
	v_cmpx_gt_u32_e64 s22, v29
	s_cbranch_execnz .LBB1004_144
.LBB1004_179:
	s_or_b32 exec_lo, exec_lo, s1
	s_delay_alu instid0(SALU_CYCLE_1)
	s_mov_b32 s1, exec_lo
	v_cmpx_gt_u32_e64 s22, v28
	s_cbranch_execz .LBB1004_149
.LBB1004_180:
	s_mov_b32 s2, exec_lo
                                        ; implicit-def: $vgpr9_vgpr10
	v_cmpx_ge_u32_e64 v28, v16
	s_xor_b32 s2, exec_lo, s2
	s_cbranch_execz .LBB1004_182
; %bb.181:
	s_waitcnt lgkmcnt(4)
	v_xor_b32_e32 v7, 0xfffffaff, v0
                                        ; implicit-def: $vgpr28
	s_delay_alu instid0(VALU_DEP_1) | instskip(SKIP_1) | instid1(VALU_DEP_2)
	v_ashrrev_i32_e32 v10, 31, v7
	v_add_co_u32 v9, vcc_lo, v20, v7
	v_add_co_ci_u32_e32 v10, vcc_lo, v21, v10, vcc_lo
.LBB1004_182:
	s_and_not1_saveexec_b32 s2, s2
	s_cbranch_execz .LBB1004_184
; %bb.183:
	s_waitcnt lgkmcnt(5)
	v_add_co_u32 v9, vcc_lo, v15, v28
	v_add_co_ci_u32_e32 v10, vcc_lo, 0, v17, vcc_lo
.LBB1004_184:
	s_or_b32 exec_lo, exec_lo, s2
	s_waitcnt lgkmcnt(5)
	s_delay_alu instid0(VALU_DEP_1) | instskip(NEXT) | instid1(VALU_DEP_1)
	v_lshlrev_b64 v[9:10], 2, v[9:10]
	v_add_co_u32 v9, vcc_lo, s10, v9
	s_delay_alu instid0(VALU_DEP_2) | instskip(SKIP_3) | instid1(SALU_CYCLE_1)
	v_add_co_ci_u32_e32 v10, vcc_lo, s11, v10, vcc_lo
	s_waitcnt lgkmcnt(4)
	global_store_b32 v[9:10], v8, off
	s_or_b32 exec_lo, exec_lo, s1
	s_mov_b32 s1, exec_lo
	v_cmpx_gt_u32_e64 s22, v27
	s_cbranch_execnz .LBB1004_150
.LBB1004_185:
	s_or_b32 exec_lo, exec_lo, s1
	s_delay_alu instid0(SALU_CYCLE_1)
	s_mov_b32 s1, exec_lo
	v_cmpx_gt_u32_e64 s22, v26
	s_cbranch_execz .LBB1004_155
.LBB1004_186:
	s_mov_b32 s2, exec_lo
                                        ; implicit-def: $vgpr7_vgpr8
	v_cmpx_ge_u32_e64 v26, v16
	s_xor_b32 s2, exec_lo, s2
	s_cbranch_execz .LBB1004_188
; %bb.187:
	s_waitcnt lgkmcnt(3)
	v_xor_b32_e32 v5, 0xfffff8ff, v0
                                        ; implicit-def: $vgpr26
	s_delay_alu instid0(VALU_DEP_1) | instskip(SKIP_1) | instid1(VALU_DEP_2)
	v_ashrrev_i32_e32 v8, 31, v5
	v_add_co_u32 v7, vcc_lo, v20, v5
	v_add_co_ci_u32_e32 v8, vcc_lo, v21, v8, vcc_lo
.LBB1004_188:
	s_and_not1_saveexec_b32 s2, s2
	s_cbranch_execz .LBB1004_190
; %bb.189:
	s_waitcnt lgkmcnt(4)
	v_add_co_u32 v7, vcc_lo, v15, v26
	v_add_co_ci_u32_e32 v8, vcc_lo, 0, v17, vcc_lo
.LBB1004_190:
	s_or_b32 exec_lo, exec_lo, s2
	s_waitcnt lgkmcnt(4)
	s_delay_alu instid0(VALU_DEP_1) | instskip(NEXT) | instid1(VALU_DEP_1)
	v_lshlrev_b64 v[7:8], 2, v[7:8]
	v_add_co_u32 v7, vcc_lo, s10, v7
	s_delay_alu instid0(VALU_DEP_2) | instskip(SKIP_3) | instid1(SALU_CYCLE_1)
	v_add_co_ci_u32_e32 v8, vcc_lo, s11, v8, vcc_lo
	s_waitcnt lgkmcnt(3)
	global_store_b32 v[7:8], v6, off
	s_or_b32 exec_lo, exec_lo, s1
	s_mov_b32 s1, exec_lo
	v_cmpx_gt_u32_e64 s22, v25
	s_cbranch_execnz .LBB1004_156
.LBB1004_191:
	s_or_b32 exec_lo, exec_lo, s1
	s_delay_alu instid0(SALU_CYCLE_1)
	s_mov_b32 s1, exec_lo
	v_cmpx_gt_u32_e64 s22, v24
	s_cbranch_execz .LBB1004_161
.LBB1004_192:
	s_mov_b32 s2, exec_lo
                                        ; implicit-def: $vgpr5_vgpr6
	v_cmpx_ge_u32_e64 v24, v16
	s_xor_b32 s2, exec_lo, s2
	s_cbranch_execz .LBB1004_194
; %bb.193:
	s_waitcnt lgkmcnt(2)
	v_xor_b32_e32 v3, 0xfffff6ff, v0
                                        ; implicit-def: $vgpr24
	s_delay_alu instid0(VALU_DEP_1) | instskip(SKIP_1) | instid1(VALU_DEP_2)
	v_ashrrev_i32_e32 v6, 31, v3
	v_add_co_u32 v5, vcc_lo, v20, v3
	v_add_co_ci_u32_e32 v6, vcc_lo, v21, v6, vcc_lo
.LBB1004_194:
	s_and_not1_saveexec_b32 s2, s2
	s_cbranch_execz .LBB1004_196
; %bb.195:
	s_waitcnt lgkmcnt(3)
	v_add_co_u32 v5, vcc_lo, v15, v24
	v_add_co_ci_u32_e32 v6, vcc_lo, 0, v17, vcc_lo
.LBB1004_196:
	s_or_b32 exec_lo, exec_lo, s2
	s_waitcnt lgkmcnt(3)
	s_delay_alu instid0(VALU_DEP_1) | instskip(NEXT) | instid1(VALU_DEP_1)
	v_lshlrev_b64 v[5:6], 2, v[5:6]
	v_add_co_u32 v5, vcc_lo, s10, v5
	s_delay_alu instid0(VALU_DEP_2) | instskip(SKIP_3) | instid1(SALU_CYCLE_1)
	v_add_co_ci_u32_e32 v6, vcc_lo, s11, v6, vcc_lo
	s_waitcnt lgkmcnt(2)
	global_store_b32 v[5:6], v4, off
	s_or_b32 exec_lo, exec_lo, s1
	s_mov_b32 s1, exec_lo
	v_cmpx_gt_u32_e64 s22, v23
	s_cbranch_execnz .LBB1004_162
.LBB1004_197:
	s_or_b32 exec_lo, exec_lo, s1
	s_delay_alu instid0(SALU_CYCLE_1)
	s_mov_b32 s1, exec_lo
	v_cmpx_gt_u32_e64 s22, v22
	s_cbranch_execz .LBB1004_203
.LBB1004_198:
	s_mov_b32 s2, exec_lo
                                        ; implicit-def: $vgpr3_vgpr4
	v_cmpx_ge_u32_e64 v22, v16
	s_xor_b32 s2, exec_lo, s2
	s_cbranch_execz .LBB1004_200
; %bb.199:
	s_waitcnt lgkmcnt(1)
	v_xor_b32_e32 v1, 0xfffff4ff, v0
                                        ; implicit-def: $vgpr22
	s_delay_alu instid0(VALU_DEP_1) | instskip(SKIP_1) | instid1(VALU_DEP_2)
	v_ashrrev_i32_e32 v4, 31, v1
	v_add_co_u32 v3, vcc_lo, v20, v1
	v_add_co_ci_u32_e32 v4, vcc_lo, v21, v4, vcc_lo
.LBB1004_200:
	s_and_not1_saveexec_b32 s2, s2
	s_cbranch_execz .LBB1004_202
; %bb.201:
	s_waitcnt lgkmcnt(2)
	v_add_co_u32 v3, vcc_lo, v15, v22
	v_add_co_ci_u32_e32 v4, vcc_lo, 0, v17, vcc_lo
.LBB1004_202:
	s_or_b32 exec_lo, exec_lo, s2
	s_waitcnt lgkmcnt(2)
	s_delay_alu instid0(VALU_DEP_1) | instskip(NEXT) | instid1(VALU_DEP_1)
	v_lshlrev_b64 v[3:4], 2, v[3:4]
	v_add_co_u32 v3, vcc_lo, s10, v3
	s_delay_alu instid0(VALU_DEP_2)
	v_add_co_ci_u32_e32 v4, vcc_lo, s11, v4, vcc_lo
	s_waitcnt lgkmcnt(1)
	global_store_b32 v[3:4], v2, off
.LBB1004_203:
	s_or_b32 exec_lo, exec_lo, s1
	s_delay_alu instid0(SALU_CYCLE_1)
	s_mov_b32 s1, exec_lo
                                        ; implicit-def: $vgpr13_vgpr14
	v_cmpx_gt_u32_e64 s22, v19
	s_cbranch_execz .LBB1004_209
; %bb.204:
	s_mov_b32 s2, exec_lo
                                        ; implicit-def: $vgpr13_vgpr14
	v_cmpx_ge_u32_e64 v19, v16
	s_xor_b32 s2, exec_lo, s2
	s_cbranch_execz .LBB1004_206
; %bb.205:
	s_waitcnt lgkmcnt(1)
	v_xor_b32_e32 v1, 0xfffff3ff, v0
                                        ; implicit-def: $vgpr19
	s_delay_alu instid0(VALU_DEP_1) | instskip(SKIP_1) | instid1(VALU_DEP_2)
	v_ashrrev_i32_e32 v2, 31, v1
	v_add_co_u32 v13, vcc_lo, v20, v1
	v_add_co_ci_u32_e32 v14, vcc_lo, v21, v2, vcc_lo
.LBB1004_206:
	s_and_not1_saveexec_b32 s2, s2
; %bb.207:
	v_add_co_u32 v13, vcc_lo, v15, v19
	v_add_co_ci_u32_e32 v14, vcc_lo, 0, v17, vcc_lo
; %bb.208:
	s_or_b32 exec_lo, exec_lo, s2
	s_delay_alu instid0(SALU_CYCLE_1)
	s_or_b32 s0, s0, exec_lo
.LBB1004_209:
	s_or_b32 exec_lo, exec_lo, s1
.LBB1004_210:
	s_and_saveexec_b32 s1, s0
	s_cbranch_execz .LBB1004_212
; %bb.211:
	s_waitcnt lgkmcnt(1)
	v_lshlrev_b64 v[1:2], 2, v[13:14]
	s_delay_alu instid0(VALU_DEP_1) | instskip(NEXT) | instid1(VALU_DEP_2)
	v_add_co_u32 v1, vcc_lo, s10, v1
	v_add_co_ci_u32_e32 v2, vcc_lo, s11, v2, vcc_lo
	s_waitcnt lgkmcnt(0)
	global_store_b32 v[1:2], v18, off
.LBB1004_212:
	s_or_b32 exec_lo, exec_lo, s1
	v_cmp_eq_u32_e32 vcc_lo, 0, v0
	s_and_b32 s0, vcc_lo, s14
	s_delay_alu instid0(SALU_CYCLE_1)
	s_and_saveexec_b32 s1, s0
	s_cbranch_execz .LBB1004_214
; %bb.213:
	v_add_co_u32 v0, vcc_lo, v15, v16
	s_waitcnt lgkmcnt(1)
	v_mov_b32_e32 v2, 0
	v_add_co_ci_u32_e32 v1, vcc_lo, 0, v17, vcc_lo
	global_store_b64 v2, v[0:1], s[8:9]
.LBB1004_214:
	s_nop 0
	s_sendmsg sendmsg(MSG_DEALLOC_VGPRS)
	s_endpgm
	.section	.rodata,"a",@progbits
	.p2align	6, 0x0
	.amdhsa_kernel _ZN7rocprim17ROCPRIM_400000_NS6detail17trampoline_kernelINS0_13select_configILj256ELj13ELNS0_17block_load_methodE3ELS4_3ELS4_3ELNS0_20block_scan_algorithmE0ELj4294967295EEENS1_25partition_config_selectorILNS1_17partition_subalgoE3EjNS0_10empty_typeEbEEZZNS1_14partition_implILS8_3ELb0ES6_jNS0_17counting_iteratorIjlEEPS9_SE_NS0_5tupleIJPjSE_EEENSF_IJSE_SE_EEES9_SG_JZNS1_25segmented_radix_sort_implINS0_14default_configELb0EPKsPsPKlPlN2at6native12_GLOBAL__N_18offset_tEEE10hipError_tPvRmT1_PNSt15iterator_traitsISY_E10value_typeET2_T3_PNSZ_IS14_E10value_typeET4_jRbjT5_S1A_jjP12ihipStream_tbEUljE_EEESV_SW_SX_S14_S18_S1A_T6_T7_T9_mT8_S1C_bDpT10_ENKUlT_T0_E_clISt17integral_constantIbLb1EES1O_IbLb0EEEEDaS1K_S1L_EUlS1K_E_NS1_11comp_targetILNS1_3genE9ELNS1_11target_archE1100ELNS1_3gpuE3ELNS1_3repE0EEENS1_30default_config_static_selectorELNS0_4arch9wavefront6targetE0EEEvSY_
		.amdhsa_group_segment_fixed_size 13324
		.amdhsa_private_segment_fixed_size 0
		.amdhsa_kernarg_size 144
		.amdhsa_user_sgpr_count 15
		.amdhsa_user_sgpr_dispatch_ptr 0
		.amdhsa_user_sgpr_queue_ptr 0
		.amdhsa_user_sgpr_kernarg_segment_ptr 1
		.amdhsa_user_sgpr_dispatch_id 0
		.amdhsa_user_sgpr_private_segment_size 0
		.amdhsa_wavefront_size32 1
		.amdhsa_uses_dynamic_stack 0
		.amdhsa_enable_private_segment 0
		.amdhsa_system_sgpr_workgroup_id_x 1
		.amdhsa_system_sgpr_workgroup_id_y 0
		.amdhsa_system_sgpr_workgroup_id_z 0
		.amdhsa_system_sgpr_workgroup_info 0
		.amdhsa_system_vgpr_workitem_id 0
		.amdhsa_next_free_vgpr 57
		.amdhsa_next_free_sgpr 28
		.amdhsa_reserve_vcc 1
		.amdhsa_float_round_mode_32 0
		.amdhsa_float_round_mode_16_64 0
		.amdhsa_float_denorm_mode_32 3
		.amdhsa_float_denorm_mode_16_64 3
		.amdhsa_dx10_clamp 1
		.amdhsa_ieee_mode 1
		.amdhsa_fp16_overflow 0
		.amdhsa_workgroup_processor_mode 1
		.amdhsa_memory_ordered 1
		.amdhsa_forward_progress 0
		.amdhsa_shared_vgpr_count 0
		.amdhsa_exception_fp_ieee_invalid_op 0
		.amdhsa_exception_fp_denorm_src 0
		.amdhsa_exception_fp_ieee_div_zero 0
		.amdhsa_exception_fp_ieee_overflow 0
		.amdhsa_exception_fp_ieee_underflow 0
		.amdhsa_exception_fp_ieee_inexact 0
		.amdhsa_exception_int_div_zero 0
	.end_amdhsa_kernel
	.section	.text._ZN7rocprim17ROCPRIM_400000_NS6detail17trampoline_kernelINS0_13select_configILj256ELj13ELNS0_17block_load_methodE3ELS4_3ELS4_3ELNS0_20block_scan_algorithmE0ELj4294967295EEENS1_25partition_config_selectorILNS1_17partition_subalgoE3EjNS0_10empty_typeEbEEZZNS1_14partition_implILS8_3ELb0ES6_jNS0_17counting_iteratorIjlEEPS9_SE_NS0_5tupleIJPjSE_EEENSF_IJSE_SE_EEES9_SG_JZNS1_25segmented_radix_sort_implINS0_14default_configELb0EPKsPsPKlPlN2at6native12_GLOBAL__N_18offset_tEEE10hipError_tPvRmT1_PNSt15iterator_traitsISY_E10value_typeET2_T3_PNSZ_IS14_E10value_typeET4_jRbjT5_S1A_jjP12ihipStream_tbEUljE_EEESV_SW_SX_S14_S18_S1A_T6_T7_T9_mT8_S1C_bDpT10_ENKUlT_T0_E_clISt17integral_constantIbLb1EES1O_IbLb0EEEEDaS1K_S1L_EUlS1K_E_NS1_11comp_targetILNS1_3genE9ELNS1_11target_archE1100ELNS1_3gpuE3ELNS1_3repE0EEENS1_30default_config_static_selectorELNS0_4arch9wavefront6targetE0EEEvSY_,"axG",@progbits,_ZN7rocprim17ROCPRIM_400000_NS6detail17trampoline_kernelINS0_13select_configILj256ELj13ELNS0_17block_load_methodE3ELS4_3ELS4_3ELNS0_20block_scan_algorithmE0ELj4294967295EEENS1_25partition_config_selectorILNS1_17partition_subalgoE3EjNS0_10empty_typeEbEEZZNS1_14partition_implILS8_3ELb0ES6_jNS0_17counting_iteratorIjlEEPS9_SE_NS0_5tupleIJPjSE_EEENSF_IJSE_SE_EEES9_SG_JZNS1_25segmented_radix_sort_implINS0_14default_configELb0EPKsPsPKlPlN2at6native12_GLOBAL__N_18offset_tEEE10hipError_tPvRmT1_PNSt15iterator_traitsISY_E10value_typeET2_T3_PNSZ_IS14_E10value_typeET4_jRbjT5_S1A_jjP12ihipStream_tbEUljE_EEESV_SW_SX_S14_S18_S1A_T6_T7_T9_mT8_S1C_bDpT10_ENKUlT_T0_E_clISt17integral_constantIbLb1EES1O_IbLb0EEEEDaS1K_S1L_EUlS1K_E_NS1_11comp_targetILNS1_3genE9ELNS1_11target_archE1100ELNS1_3gpuE3ELNS1_3repE0EEENS1_30default_config_static_selectorELNS0_4arch9wavefront6targetE0EEEvSY_,comdat
.Lfunc_end1004:
	.size	_ZN7rocprim17ROCPRIM_400000_NS6detail17trampoline_kernelINS0_13select_configILj256ELj13ELNS0_17block_load_methodE3ELS4_3ELS4_3ELNS0_20block_scan_algorithmE0ELj4294967295EEENS1_25partition_config_selectorILNS1_17partition_subalgoE3EjNS0_10empty_typeEbEEZZNS1_14partition_implILS8_3ELb0ES6_jNS0_17counting_iteratorIjlEEPS9_SE_NS0_5tupleIJPjSE_EEENSF_IJSE_SE_EEES9_SG_JZNS1_25segmented_radix_sort_implINS0_14default_configELb0EPKsPsPKlPlN2at6native12_GLOBAL__N_18offset_tEEE10hipError_tPvRmT1_PNSt15iterator_traitsISY_E10value_typeET2_T3_PNSZ_IS14_E10value_typeET4_jRbjT5_S1A_jjP12ihipStream_tbEUljE_EEESV_SW_SX_S14_S18_S1A_T6_T7_T9_mT8_S1C_bDpT10_ENKUlT_T0_E_clISt17integral_constantIbLb1EES1O_IbLb0EEEEDaS1K_S1L_EUlS1K_E_NS1_11comp_targetILNS1_3genE9ELNS1_11target_archE1100ELNS1_3gpuE3ELNS1_3repE0EEENS1_30default_config_static_selectorELNS0_4arch9wavefront6targetE0EEEvSY_, .Lfunc_end1004-_ZN7rocprim17ROCPRIM_400000_NS6detail17trampoline_kernelINS0_13select_configILj256ELj13ELNS0_17block_load_methodE3ELS4_3ELS4_3ELNS0_20block_scan_algorithmE0ELj4294967295EEENS1_25partition_config_selectorILNS1_17partition_subalgoE3EjNS0_10empty_typeEbEEZZNS1_14partition_implILS8_3ELb0ES6_jNS0_17counting_iteratorIjlEEPS9_SE_NS0_5tupleIJPjSE_EEENSF_IJSE_SE_EEES9_SG_JZNS1_25segmented_radix_sort_implINS0_14default_configELb0EPKsPsPKlPlN2at6native12_GLOBAL__N_18offset_tEEE10hipError_tPvRmT1_PNSt15iterator_traitsISY_E10value_typeET2_T3_PNSZ_IS14_E10value_typeET4_jRbjT5_S1A_jjP12ihipStream_tbEUljE_EEESV_SW_SX_S14_S18_S1A_T6_T7_T9_mT8_S1C_bDpT10_ENKUlT_T0_E_clISt17integral_constantIbLb1EES1O_IbLb0EEEEDaS1K_S1L_EUlS1K_E_NS1_11comp_targetILNS1_3genE9ELNS1_11target_archE1100ELNS1_3gpuE3ELNS1_3repE0EEENS1_30default_config_static_selectorELNS0_4arch9wavefront6targetE0EEEvSY_
                                        ; -- End function
	.section	.AMDGPU.csdata,"",@progbits
; Kernel info:
; codeLenInByte = 8964
; NumSgprs: 30
; NumVgprs: 57
; ScratchSize: 0
; MemoryBound: 0
; FloatMode: 240
; IeeeMode: 1
; LDSByteSize: 13324 bytes/workgroup (compile time only)
; SGPRBlocks: 3
; VGPRBlocks: 7
; NumSGPRsForWavesPerEU: 30
; NumVGPRsForWavesPerEU: 57
; Occupancy: 16
; WaveLimiterHint : 0
; COMPUTE_PGM_RSRC2:SCRATCH_EN: 0
; COMPUTE_PGM_RSRC2:USER_SGPR: 15
; COMPUTE_PGM_RSRC2:TRAP_HANDLER: 0
; COMPUTE_PGM_RSRC2:TGID_X_EN: 1
; COMPUTE_PGM_RSRC2:TGID_Y_EN: 0
; COMPUTE_PGM_RSRC2:TGID_Z_EN: 0
; COMPUTE_PGM_RSRC2:TIDIG_COMP_CNT: 0
	.section	.text._ZN7rocprim17ROCPRIM_400000_NS6detail17trampoline_kernelINS0_13select_configILj256ELj13ELNS0_17block_load_methodE3ELS4_3ELS4_3ELNS0_20block_scan_algorithmE0ELj4294967295EEENS1_25partition_config_selectorILNS1_17partition_subalgoE3EjNS0_10empty_typeEbEEZZNS1_14partition_implILS8_3ELb0ES6_jNS0_17counting_iteratorIjlEEPS9_SE_NS0_5tupleIJPjSE_EEENSF_IJSE_SE_EEES9_SG_JZNS1_25segmented_radix_sort_implINS0_14default_configELb0EPKsPsPKlPlN2at6native12_GLOBAL__N_18offset_tEEE10hipError_tPvRmT1_PNSt15iterator_traitsISY_E10value_typeET2_T3_PNSZ_IS14_E10value_typeET4_jRbjT5_S1A_jjP12ihipStream_tbEUljE_EEESV_SW_SX_S14_S18_S1A_T6_T7_T9_mT8_S1C_bDpT10_ENKUlT_T0_E_clISt17integral_constantIbLb1EES1O_IbLb0EEEEDaS1K_S1L_EUlS1K_E_NS1_11comp_targetILNS1_3genE8ELNS1_11target_archE1030ELNS1_3gpuE2ELNS1_3repE0EEENS1_30default_config_static_selectorELNS0_4arch9wavefront6targetE0EEEvSY_,"axG",@progbits,_ZN7rocprim17ROCPRIM_400000_NS6detail17trampoline_kernelINS0_13select_configILj256ELj13ELNS0_17block_load_methodE3ELS4_3ELS4_3ELNS0_20block_scan_algorithmE0ELj4294967295EEENS1_25partition_config_selectorILNS1_17partition_subalgoE3EjNS0_10empty_typeEbEEZZNS1_14partition_implILS8_3ELb0ES6_jNS0_17counting_iteratorIjlEEPS9_SE_NS0_5tupleIJPjSE_EEENSF_IJSE_SE_EEES9_SG_JZNS1_25segmented_radix_sort_implINS0_14default_configELb0EPKsPsPKlPlN2at6native12_GLOBAL__N_18offset_tEEE10hipError_tPvRmT1_PNSt15iterator_traitsISY_E10value_typeET2_T3_PNSZ_IS14_E10value_typeET4_jRbjT5_S1A_jjP12ihipStream_tbEUljE_EEESV_SW_SX_S14_S18_S1A_T6_T7_T9_mT8_S1C_bDpT10_ENKUlT_T0_E_clISt17integral_constantIbLb1EES1O_IbLb0EEEEDaS1K_S1L_EUlS1K_E_NS1_11comp_targetILNS1_3genE8ELNS1_11target_archE1030ELNS1_3gpuE2ELNS1_3repE0EEENS1_30default_config_static_selectorELNS0_4arch9wavefront6targetE0EEEvSY_,comdat
	.globl	_ZN7rocprim17ROCPRIM_400000_NS6detail17trampoline_kernelINS0_13select_configILj256ELj13ELNS0_17block_load_methodE3ELS4_3ELS4_3ELNS0_20block_scan_algorithmE0ELj4294967295EEENS1_25partition_config_selectorILNS1_17partition_subalgoE3EjNS0_10empty_typeEbEEZZNS1_14partition_implILS8_3ELb0ES6_jNS0_17counting_iteratorIjlEEPS9_SE_NS0_5tupleIJPjSE_EEENSF_IJSE_SE_EEES9_SG_JZNS1_25segmented_radix_sort_implINS0_14default_configELb0EPKsPsPKlPlN2at6native12_GLOBAL__N_18offset_tEEE10hipError_tPvRmT1_PNSt15iterator_traitsISY_E10value_typeET2_T3_PNSZ_IS14_E10value_typeET4_jRbjT5_S1A_jjP12ihipStream_tbEUljE_EEESV_SW_SX_S14_S18_S1A_T6_T7_T9_mT8_S1C_bDpT10_ENKUlT_T0_E_clISt17integral_constantIbLb1EES1O_IbLb0EEEEDaS1K_S1L_EUlS1K_E_NS1_11comp_targetILNS1_3genE8ELNS1_11target_archE1030ELNS1_3gpuE2ELNS1_3repE0EEENS1_30default_config_static_selectorELNS0_4arch9wavefront6targetE0EEEvSY_ ; -- Begin function _ZN7rocprim17ROCPRIM_400000_NS6detail17trampoline_kernelINS0_13select_configILj256ELj13ELNS0_17block_load_methodE3ELS4_3ELS4_3ELNS0_20block_scan_algorithmE0ELj4294967295EEENS1_25partition_config_selectorILNS1_17partition_subalgoE3EjNS0_10empty_typeEbEEZZNS1_14partition_implILS8_3ELb0ES6_jNS0_17counting_iteratorIjlEEPS9_SE_NS0_5tupleIJPjSE_EEENSF_IJSE_SE_EEES9_SG_JZNS1_25segmented_radix_sort_implINS0_14default_configELb0EPKsPsPKlPlN2at6native12_GLOBAL__N_18offset_tEEE10hipError_tPvRmT1_PNSt15iterator_traitsISY_E10value_typeET2_T3_PNSZ_IS14_E10value_typeET4_jRbjT5_S1A_jjP12ihipStream_tbEUljE_EEESV_SW_SX_S14_S18_S1A_T6_T7_T9_mT8_S1C_bDpT10_ENKUlT_T0_E_clISt17integral_constantIbLb1EES1O_IbLb0EEEEDaS1K_S1L_EUlS1K_E_NS1_11comp_targetILNS1_3genE8ELNS1_11target_archE1030ELNS1_3gpuE2ELNS1_3repE0EEENS1_30default_config_static_selectorELNS0_4arch9wavefront6targetE0EEEvSY_
	.p2align	8
	.type	_ZN7rocprim17ROCPRIM_400000_NS6detail17trampoline_kernelINS0_13select_configILj256ELj13ELNS0_17block_load_methodE3ELS4_3ELS4_3ELNS0_20block_scan_algorithmE0ELj4294967295EEENS1_25partition_config_selectorILNS1_17partition_subalgoE3EjNS0_10empty_typeEbEEZZNS1_14partition_implILS8_3ELb0ES6_jNS0_17counting_iteratorIjlEEPS9_SE_NS0_5tupleIJPjSE_EEENSF_IJSE_SE_EEES9_SG_JZNS1_25segmented_radix_sort_implINS0_14default_configELb0EPKsPsPKlPlN2at6native12_GLOBAL__N_18offset_tEEE10hipError_tPvRmT1_PNSt15iterator_traitsISY_E10value_typeET2_T3_PNSZ_IS14_E10value_typeET4_jRbjT5_S1A_jjP12ihipStream_tbEUljE_EEESV_SW_SX_S14_S18_S1A_T6_T7_T9_mT8_S1C_bDpT10_ENKUlT_T0_E_clISt17integral_constantIbLb1EES1O_IbLb0EEEEDaS1K_S1L_EUlS1K_E_NS1_11comp_targetILNS1_3genE8ELNS1_11target_archE1030ELNS1_3gpuE2ELNS1_3repE0EEENS1_30default_config_static_selectorELNS0_4arch9wavefront6targetE0EEEvSY_,@function
_ZN7rocprim17ROCPRIM_400000_NS6detail17trampoline_kernelINS0_13select_configILj256ELj13ELNS0_17block_load_methodE3ELS4_3ELS4_3ELNS0_20block_scan_algorithmE0ELj4294967295EEENS1_25partition_config_selectorILNS1_17partition_subalgoE3EjNS0_10empty_typeEbEEZZNS1_14partition_implILS8_3ELb0ES6_jNS0_17counting_iteratorIjlEEPS9_SE_NS0_5tupleIJPjSE_EEENSF_IJSE_SE_EEES9_SG_JZNS1_25segmented_radix_sort_implINS0_14default_configELb0EPKsPsPKlPlN2at6native12_GLOBAL__N_18offset_tEEE10hipError_tPvRmT1_PNSt15iterator_traitsISY_E10value_typeET2_T3_PNSZ_IS14_E10value_typeET4_jRbjT5_S1A_jjP12ihipStream_tbEUljE_EEESV_SW_SX_S14_S18_S1A_T6_T7_T9_mT8_S1C_bDpT10_ENKUlT_T0_E_clISt17integral_constantIbLb1EES1O_IbLb0EEEEDaS1K_S1L_EUlS1K_E_NS1_11comp_targetILNS1_3genE8ELNS1_11target_archE1030ELNS1_3gpuE2ELNS1_3repE0EEENS1_30default_config_static_selectorELNS0_4arch9wavefront6targetE0EEEvSY_: ; @_ZN7rocprim17ROCPRIM_400000_NS6detail17trampoline_kernelINS0_13select_configILj256ELj13ELNS0_17block_load_methodE3ELS4_3ELS4_3ELNS0_20block_scan_algorithmE0ELj4294967295EEENS1_25partition_config_selectorILNS1_17partition_subalgoE3EjNS0_10empty_typeEbEEZZNS1_14partition_implILS8_3ELb0ES6_jNS0_17counting_iteratorIjlEEPS9_SE_NS0_5tupleIJPjSE_EEENSF_IJSE_SE_EEES9_SG_JZNS1_25segmented_radix_sort_implINS0_14default_configELb0EPKsPsPKlPlN2at6native12_GLOBAL__N_18offset_tEEE10hipError_tPvRmT1_PNSt15iterator_traitsISY_E10value_typeET2_T3_PNSZ_IS14_E10value_typeET4_jRbjT5_S1A_jjP12ihipStream_tbEUljE_EEESV_SW_SX_S14_S18_S1A_T6_T7_T9_mT8_S1C_bDpT10_ENKUlT_T0_E_clISt17integral_constantIbLb1EES1O_IbLb0EEEEDaS1K_S1L_EUlS1K_E_NS1_11comp_targetILNS1_3genE8ELNS1_11target_archE1030ELNS1_3gpuE2ELNS1_3repE0EEENS1_30default_config_static_selectorELNS0_4arch9wavefront6targetE0EEEvSY_
; %bb.0:
	.section	.rodata,"a",@progbits
	.p2align	6, 0x0
	.amdhsa_kernel _ZN7rocprim17ROCPRIM_400000_NS6detail17trampoline_kernelINS0_13select_configILj256ELj13ELNS0_17block_load_methodE3ELS4_3ELS4_3ELNS0_20block_scan_algorithmE0ELj4294967295EEENS1_25partition_config_selectorILNS1_17partition_subalgoE3EjNS0_10empty_typeEbEEZZNS1_14partition_implILS8_3ELb0ES6_jNS0_17counting_iteratorIjlEEPS9_SE_NS0_5tupleIJPjSE_EEENSF_IJSE_SE_EEES9_SG_JZNS1_25segmented_radix_sort_implINS0_14default_configELb0EPKsPsPKlPlN2at6native12_GLOBAL__N_18offset_tEEE10hipError_tPvRmT1_PNSt15iterator_traitsISY_E10value_typeET2_T3_PNSZ_IS14_E10value_typeET4_jRbjT5_S1A_jjP12ihipStream_tbEUljE_EEESV_SW_SX_S14_S18_S1A_T6_T7_T9_mT8_S1C_bDpT10_ENKUlT_T0_E_clISt17integral_constantIbLb1EES1O_IbLb0EEEEDaS1K_S1L_EUlS1K_E_NS1_11comp_targetILNS1_3genE8ELNS1_11target_archE1030ELNS1_3gpuE2ELNS1_3repE0EEENS1_30default_config_static_selectorELNS0_4arch9wavefront6targetE0EEEvSY_
		.amdhsa_group_segment_fixed_size 0
		.amdhsa_private_segment_fixed_size 0
		.amdhsa_kernarg_size 144
		.amdhsa_user_sgpr_count 15
		.amdhsa_user_sgpr_dispatch_ptr 0
		.amdhsa_user_sgpr_queue_ptr 0
		.amdhsa_user_sgpr_kernarg_segment_ptr 1
		.amdhsa_user_sgpr_dispatch_id 0
		.amdhsa_user_sgpr_private_segment_size 0
		.amdhsa_wavefront_size32 1
		.amdhsa_uses_dynamic_stack 0
		.amdhsa_enable_private_segment 0
		.amdhsa_system_sgpr_workgroup_id_x 1
		.amdhsa_system_sgpr_workgroup_id_y 0
		.amdhsa_system_sgpr_workgroup_id_z 0
		.amdhsa_system_sgpr_workgroup_info 0
		.amdhsa_system_vgpr_workitem_id 0
		.amdhsa_next_free_vgpr 1
		.amdhsa_next_free_sgpr 1
		.amdhsa_reserve_vcc 0
		.amdhsa_float_round_mode_32 0
		.amdhsa_float_round_mode_16_64 0
		.amdhsa_float_denorm_mode_32 3
		.amdhsa_float_denorm_mode_16_64 3
		.amdhsa_dx10_clamp 1
		.amdhsa_ieee_mode 1
		.amdhsa_fp16_overflow 0
		.amdhsa_workgroup_processor_mode 1
		.amdhsa_memory_ordered 1
		.amdhsa_forward_progress 0
		.amdhsa_shared_vgpr_count 0
		.amdhsa_exception_fp_ieee_invalid_op 0
		.amdhsa_exception_fp_denorm_src 0
		.amdhsa_exception_fp_ieee_div_zero 0
		.amdhsa_exception_fp_ieee_overflow 0
		.amdhsa_exception_fp_ieee_underflow 0
		.amdhsa_exception_fp_ieee_inexact 0
		.amdhsa_exception_int_div_zero 0
	.end_amdhsa_kernel
	.section	.text._ZN7rocprim17ROCPRIM_400000_NS6detail17trampoline_kernelINS0_13select_configILj256ELj13ELNS0_17block_load_methodE3ELS4_3ELS4_3ELNS0_20block_scan_algorithmE0ELj4294967295EEENS1_25partition_config_selectorILNS1_17partition_subalgoE3EjNS0_10empty_typeEbEEZZNS1_14partition_implILS8_3ELb0ES6_jNS0_17counting_iteratorIjlEEPS9_SE_NS0_5tupleIJPjSE_EEENSF_IJSE_SE_EEES9_SG_JZNS1_25segmented_radix_sort_implINS0_14default_configELb0EPKsPsPKlPlN2at6native12_GLOBAL__N_18offset_tEEE10hipError_tPvRmT1_PNSt15iterator_traitsISY_E10value_typeET2_T3_PNSZ_IS14_E10value_typeET4_jRbjT5_S1A_jjP12ihipStream_tbEUljE_EEESV_SW_SX_S14_S18_S1A_T6_T7_T9_mT8_S1C_bDpT10_ENKUlT_T0_E_clISt17integral_constantIbLb1EES1O_IbLb0EEEEDaS1K_S1L_EUlS1K_E_NS1_11comp_targetILNS1_3genE8ELNS1_11target_archE1030ELNS1_3gpuE2ELNS1_3repE0EEENS1_30default_config_static_selectorELNS0_4arch9wavefront6targetE0EEEvSY_,"axG",@progbits,_ZN7rocprim17ROCPRIM_400000_NS6detail17trampoline_kernelINS0_13select_configILj256ELj13ELNS0_17block_load_methodE3ELS4_3ELS4_3ELNS0_20block_scan_algorithmE0ELj4294967295EEENS1_25partition_config_selectorILNS1_17partition_subalgoE3EjNS0_10empty_typeEbEEZZNS1_14partition_implILS8_3ELb0ES6_jNS0_17counting_iteratorIjlEEPS9_SE_NS0_5tupleIJPjSE_EEENSF_IJSE_SE_EEES9_SG_JZNS1_25segmented_radix_sort_implINS0_14default_configELb0EPKsPsPKlPlN2at6native12_GLOBAL__N_18offset_tEEE10hipError_tPvRmT1_PNSt15iterator_traitsISY_E10value_typeET2_T3_PNSZ_IS14_E10value_typeET4_jRbjT5_S1A_jjP12ihipStream_tbEUljE_EEESV_SW_SX_S14_S18_S1A_T6_T7_T9_mT8_S1C_bDpT10_ENKUlT_T0_E_clISt17integral_constantIbLb1EES1O_IbLb0EEEEDaS1K_S1L_EUlS1K_E_NS1_11comp_targetILNS1_3genE8ELNS1_11target_archE1030ELNS1_3gpuE2ELNS1_3repE0EEENS1_30default_config_static_selectorELNS0_4arch9wavefront6targetE0EEEvSY_,comdat
.Lfunc_end1005:
	.size	_ZN7rocprim17ROCPRIM_400000_NS6detail17trampoline_kernelINS0_13select_configILj256ELj13ELNS0_17block_load_methodE3ELS4_3ELS4_3ELNS0_20block_scan_algorithmE0ELj4294967295EEENS1_25partition_config_selectorILNS1_17partition_subalgoE3EjNS0_10empty_typeEbEEZZNS1_14partition_implILS8_3ELb0ES6_jNS0_17counting_iteratorIjlEEPS9_SE_NS0_5tupleIJPjSE_EEENSF_IJSE_SE_EEES9_SG_JZNS1_25segmented_radix_sort_implINS0_14default_configELb0EPKsPsPKlPlN2at6native12_GLOBAL__N_18offset_tEEE10hipError_tPvRmT1_PNSt15iterator_traitsISY_E10value_typeET2_T3_PNSZ_IS14_E10value_typeET4_jRbjT5_S1A_jjP12ihipStream_tbEUljE_EEESV_SW_SX_S14_S18_S1A_T6_T7_T9_mT8_S1C_bDpT10_ENKUlT_T0_E_clISt17integral_constantIbLb1EES1O_IbLb0EEEEDaS1K_S1L_EUlS1K_E_NS1_11comp_targetILNS1_3genE8ELNS1_11target_archE1030ELNS1_3gpuE2ELNS1_3repE0EEENS1_30default_config_static_selectorELNS0_4arch9wavefront6targetE0EEEvSY_, .Lfunc_end1005-_ZN7rocprim17ROCPRIM_400000_NS6detail17trampoline_kernelINS0_13select_configILj256ELj13ELNS0_17block_load_methodE3ELS4_3ELS4_3ELNS0_20block_scan_algorithmE0ELj4294967295EEENS1_25partition_config_selectorILNS1_17partition_subalgoE3EjNS0_10empty_typeEbEEZZNS1_14partition_implILS8_3ELb0ES6_jNS0_17counting_iteratorIjlEEPS9_SE_NS0_5tupleIJPjSE_EEENSF_IJSE_SE_EEES9_SG_JZNS1_25segmented_radix_sort_implINS0_14default_configELb0EPKsPsPKlPlN2at6native12_GLOBAL__N_18offset_tEEE10hipError_tPvRmT1_PNSt15iterator_traitsISY_E10value_typeET2_T3_PNSZ_IS14_E10value_typeET4_jRbjT5_S1A_jjP12ihipStream_tbEUljE_EEESV_SW_SX_S14_S18_S1A_T6_T7_T9_mT8_S1C_bDpT10_ENKUlT_T0_E_clISt17integral_constantIbLb1EES1O_IbLb0EEEEDaS1K_S1L_EUlS1K_E_NS1_11comp_targetILNS1_3genE8ELNS1_11target_archE1030ELNS1_3gpuE2ELNS1_3repE0EEENS1_30default_config_static_selectorELNS0_4arch9wavefront6targetE0EEEvSY_
                                        ; -- End function
	.section	.AMDGPU.csdata,"",@progbits
; Kernel info:
; codeLenInByte = 0
; NumSgprs: 0
; NumVgprs: 0
; ScratchSize: 0
; MemoryBound: 0
; FloatMode: 240
; IeeeMode: 1
; LDSByteSize: 0 bytes/workgroup (compile time only)
; SGPRBlocks: 0
; VGPRBlocks: 0
; NumSGPRsForWavesPerEU: 1
; NumVGPRsForWavesPerEU: 1
; Occupancy: 16
; WaveLimiterHint : 0
; COMPUTE_PGM_RSRC2:SCRATCH_EN: 0
; COMPUTE_PGM_RSRC2:USER_SGPR: 15
; COMPUTE_PGM_RSRC2:TRAP_HANDLER: 0
; COMPUTE_PGM_RSRC2:TGID_X_EN: 1
; COMPUTE_PGM_RSRC2:TGID_Y_EN: 0
; COMPUTE_PGM_RSRC2:TGID_Z_EN: 0
; COMPUTE_PGM_RSRC2:TIDIG_COMP_CNT: 0
	.section	.text._ZN7rocprim17ROCPRIM_400000_NS6detail17trampoline_kernelINS0_13select_configILj256ELj13ELNS0_17block_load_methodE3ELS4_3ELS4_3ELNS0_20block_scan_algorithmE0ELj4294967295EEENS1_25partition_config_selectorILNS1_17partition_subalgoE3EjNS0_10empty_typeEbEEZZNS1_14partition_implILS8_3ELb0ES6_jNS0_17counting_iteratorIjlEEPS9_SE_NS0_5tupleIJPjSE_EEENSF_IJSE_SE_EEES9_SG_JZNS1_25segmented_radix_sort_implINS0_14default_configELb0EPKsPsPKlPlN2at6native12_GLOBAL__N_18offset_tEEE10hipError_tPvRmT1_PNSt15iterator_traitsISY_E10value_typeET2_T3_PNSZ_IS14_E10value_typeET4_jRbjT5_S1A_jjP12ihipStream_tbEUljE_EEESV_SW_SX_S14_S18_S1A_T6_T7_T9_mT8_S1C_bDpT10_ENKUlT_T0_E_clISt17integral_constantIbLb0EES1O_IbLb1EEEEDaS1K_S1L_EUlS1K_E_NS1_11comp_targetILNS1_3genE0ELNS1_11target_archE4294967295ELNS1_3gpuE0ELNS1_3repE0EEENS1_30default_config_static_selectorELNS0_4arch9wavefront6targetE0EEEvSY_,"axG",@progbits,_ZN7rocprim17ROCPRIM_400000_NS6detail17trampoline_kernelINS0_13select_configILj256ELj13ELNS0_17block_load_methodE3ELS4_3ELS4_3ELNS0_20block_scan_algorithmE0ELj4294967295EEENS1_25partition_config_selectorILNS1_17partition_subalgoE3EjNS0_10empty_typeEbEEZZNS1_14partition_implILS8_3ELb0ES6_jNS0_17counting_iteratorIjlEEPS9_SE_NS0_5tupleIJPjSE_EEENSF_IJSE_SE_EEES9_SG_JZNS1_25segmented_radix_sort_implINS0_14default_configELb0EPKsPsPKlPlN2at6native12_GLOBAL__N_18offset_tEEE10hipError_tPvRmT1_PNSt15iterator_traitsISY_E10value_typeET2_T3_PNSZ_IS14_E10value_typeET4_jRbjT5_S1A_jjP12ihipStream_tbEUljE_EEESV_SW_SX_S14_S18_S1A_T6_T7_T9_mT8_S1C_bDpT10_ENKUlT_T0_E_clISt17integral_constantIbLb0EES1O_IbLb1EEEEDaS1K_S1L_EUlS1K_E_NS1_11comp_targetILNS1_3genE0ELNS1_11target_archE4294967295ELNS1_3gpuE0ELNS1_3repE0EEENS1_30default_config_static_selectorELNS0_4arch9wavefront6targetE0EEEvSY_,comdat
	.globl	_ZN7rocprim17ROCPRIM_400000_NS6detail17trampoline_kernelINS0_13select_configILj256ELj13ELNS0_17block_load_methodE3ELS4_3ELS4_3ELNS0_20block_scan_algorithmE0ELj4294967295EEENS1_25partition_config_selectorILNS1_17partition_subalgoE3EjNS0_10empty_typeEbEEZZNS1_14partition_implILS8_3ELb0ES6_jNS0_17counting_iteratorIjlEEPS9_SE_NS0_5tupleIJPjSE_EEENSF_IJSE_SE_EEES9_SG_JZNS1_25segmented_radix_sort_implINS0_14default_configELb0EPKsPsPKlPlN2at6native12_GLOBAL__N_18offset_tEEE10hipError_tPvRmT1_PNSt15iterator_traitsISY_E10value_typeET2_T3_PNSZ_IS14_E10value_typeET4_jRbjT5_S1A_jjP12ihipStream_tbEUljE_EEESV_SW_SX_S14_S18_S1A_T6_T7_T9_mT8_S1C_bDpT10_ENKUlT_T0_E_clISt17integral_constantIbLb0EES1O_IbLb1EEEEDaS1K_S1L_EUlS1K_E_NS1_11comp_targetILNS1_3genE0ELNS1_11target_archE4294967295ELNS1_3gpuE0ELNS1_3repE0EEENS1_30default_config_static_selectorELNS0_4arch9wavefront6targetE0EEEvSY_ ; -- Begin function _ZN7rocprim17ROCPRIM_400000_NS6detail17trampoline_kernelINS0_13select_configILj256ELj13ELNS0_17block_load_methodE3ELS4_3ELS4_3ELNS0_20block_scan_algorithmE0ELj4294967295EEENS1_25partition_config_selectorILNS1_17partition_subalgoE3EjNS0_10empty_typeEbEEZZNS1_14partition_implILS8_3ELb0ES6_jNS0_17counting_iteratorIjlEEPS9_SE_NS0_5tupleIJPjSE_EEENSF_IJSE_SE_EEES9_SG_JZNS1_25segmented_radix_sort_implINS0_14default_configELb0EPKsPsPKlPlN2at6native12_GLOBAL__N_18offset_tEEE10hipError_tPvRmT1_PNSt15iterator_traitsISY_E10value_typeET2_T3_PNSZ_IS14_E10value_typeET4_jRbjT5_S1A_jjP12ihipStream_tbEUljE_EEESV_SW_SX_S14_S18_S1A_T6_T7_T9_mT8_S1C_bDpT10_ENKUlT_T0_E_clISt17integral_constantIbLb0EES1O_IbLb1EEEEDaS1K_S1L_EUlS1K_E_NS1_11comp_targetILNS1_3genE0ELNS1_11target_archE4294967295ELNS1_3gpuE0ELNS1_3repE0EEENS1_30default_config_static_selectorELNS0_4arch9wavefront6targetE0EEEvSY_
	.p2align	8
	.type	_ZN7rocprim17ROCPRIM_400000_NS6detail17trampoline_kernelINS0_13select_configILj256ELj13ELNS0_17block_load_methodE3ELS4_3ELS4_3ELNS0_20block_scan_algorithmE0ELj4294967295EEENS1_25partition_config_selectorILNS1_17partition_subalgoE3EjNS0_10empty_typeEbEEZZNS1_14partition_implILS8_3ELb0ES6_jNS0_17counting_iteratorIjlEEPS9_SE_NS0_5tupleIJPjSE_EEENSF_IJSE_SE_EEES9_SG_JZNS1_25segmented_radix_sort_implINS0_14default_configELb0EPKsPsPKlPlN2at6native12_GLOBAL__N_18offset_tEEE10hipError_tPvRmT1_PNSt15iterator_traitsISY_E10value_typeET2_T3_PNSZ_IS14_E10value_typeET4_jRbjT5_S1A_jjP12ihipStream_tbEUljE_EEESV_SW_SX_S14_S18_S1A_T6_T7_T9_mT8_S1C_bDpT10_ENKUlT_T0_E_clISt17integral_constantIbLb0EES1O_IbLb1EEEEDaS1K_S1L_EUlS1K_E_NS1_11comp_targetILNS1_3genE0ELNS1_11target_archE4294967295ELNS1_3gpuE0ELNS1_3repE0EEENS1_30default_config_static_selectorELNS0_4arch9wavefront6targetE0EEEvSY_,@function
_ZN7rocprim17ROCPRIM_400000_NS6detail17trampoline_kernelINS0_13select_configILj256ELj13ELNS0_17block_load_methodE3ELS4_3ELS4_3ELNS0_20block_scan_algorithmE0ELj4294967295EEENS1_25partition_config_selectorILNS1_17partition_subalgoE3EjNS0_10empty_typeEbEEZZNS1_14partition_implILS8_3ELb0ES6_jNS0_17counting_iteratorIjlEEPS9_SE_NS0_5tupleIJPjSE_EEENSF_IJSE_SE_EEES9_SG_JZNS1_25segmented_radix_sort_implINS0_14default_configELb0EPKsPsPKlPlN2at6native12_GLOBAL__N_18offset_tEEE10hipError_tPvRmT1_PNSt15iterator_traitsISY_E10value_typeET2_T3_PNSZ_IS14_E10value_typeET4_jRbjT5_S1A_jjP12ihipStream_tbEUljE_EEESV_SW_SX_S14_S18_S1A_T6_T7_T9_mT8_S1C_bDpT10_ENKUlT_T0_E_clISt17integral_constantIbLb0EES1O_IbLb1EEEEDaS1K_S1L_EUlS1K_E_NS1_11comp_targetILNS1_3genE0ELNS1_11target_archE4294967295ELNS1_3gpuE0ELNS1_3repE0EEENS1_30default_config_static_selectorELNS0_4arch9wavefront6targetE0EEEvSY_: ; @_ZN7rocprim17ROCPRIM_400000_NS6detail17trampoline_kernelINS0_13select_configILj256ELj13ELNS0_17block_load_methodE3ELS4_3ELS4_3ELNS0_20block_scan_algorithmE0ELj4294967295EEENS1_25partition_config_selectorILNS1_17partition_subalgoE3EjNS0_10empty_typeEbEEZZNS1_14partition_implILS8_3ELb0ES6_jNS0_17counting_iteratorIjlEEPS9_SE_NS0_5tupleIJPjSE_EEENSF_IJSE_SE_EEES9_SG_JZNS1_25segmented_radix_sort_implINS0_14default_configELb0EPKsPsPKlPlN2at6native12_GLOBAL__N_18offset_tEEE10hipError_tPvRmT1_PNSt15iterator_traitsISY_E10value_typeET2_T3_PNSZ_IS14_E10value_typeET4_jRbjT5_S1A_jjP12ihipStream_tbEUljE_EEESV_SW_SX_S14_S18_S1A_T6_T7_T9_mT8_S1C_bDpT10_ENKUlT_T0_E_clISt17integral_constantIbLb0EES1O_IbLb1EEEEDaS1K_S1L_EUlS1K_E_NS1_11comp_targetILNS1_3genE0ELNS1_11target_archE4294967295ELNS1_3gpuE0ELNS1_3repE0EEENS1_30default_config_static_selectorELNS0_4arch9wavefront6targetE0EEEvSY_
; %bb.0:
	.section	.rodata,"a",@progbits
	.p2align	6, 0x0
	.amdhsa_kernel _ZN7rocprim17ROCPRIM_400000_NS6detail17trampoline_kernelINS0_13select_configILj256ELj13ELNS0_17block_load_methodE3ELS4_3ELS4_3ELNS0_20block_scan_algorithmE0ELj4294967295EEENS1_25partition_config_selectorILNS1_17partition_subalgoE3EjNS0_10empty_typeEbEEZZNS1_14partition_implILS8_3ELb0ES6_jNS0_17counting_iteratorIjlEEPS9_SE_NS0_5tupleIJPjSE_EEENSF_IJSE_SE_EEES9_SG_JZNS1_25segmented_radix_sort_implINS0_14default_configELb0EPKsPsPKlPlN2at6native12_GLOBAL__N_18offset_tEEE10hipError_tPvRmT1_PNSt15iterator_traitsISY_E10value_typeET2_T3_PNSZ_IS14_E10value_typeET4_jRbjT5_S1A_jjP12ihipStream_tbEUljE_EEESV_SW_SX_S14_S18_S1A_T6_T7_T9_mT8_S1C_bDpT10_ENKUlT_T0_E_clISt17integral_constantIbLb0EES1O_IbLb1EEEEDaS1K_S1L_EUlS1K_E_NS1_11comp_targetILNS1_3genE0ELNS1_11target_archE4294967295ELNS1_3gpuE0ELNS1_3repE0EEENS1_30default_config_static_selectorELNS0_4arch9wavefront6targetE0EEEvSY_
		.amdhsa_group_segment_fixed_size 0
		.amdhsa_private_segment_fixed_size 0
		.amdhsa_kernarg_size 152
		.amdhsa_user_sgpr_count 15
		.amdhsa_user_sgpr_dispatch_ptr 0
		.amdhsa_user_sgpr_queue_ptr 0
		.amdhsa_user_sgpr_kernarg_segment_ptr 1
		.amdhsa_user_sgpr_dispatch_id 0
		.amdhsa_user_sgpr_private_segment_size 0
		.amdhsa_wavefront_size32 1
		.amdhsa_uses_dynamic_stack 0
		.amdhsa_enable_private_segment 0
		.amdhsa_system_sgpr_workgroup_id_x 1
		.amdhsa_system_sgpr_workgroup_id_y 0
		.amdhsa_system_sgpr_workgroup_id_z 0
		.amdhsa_system_sgpr_workgroup_info 0
		.amdhsa_system_vgpr_workitem_id 0
		.amdhsa_next_free_vgpr 1
		.amdhsa_next_free_sgpr 1
		.amdhsa_reserve_vcc 0
		.amdhsa_float_round_mode_32 0
		.amdhsa_float_round_mode_16_64 0
		.amdhsa_float_denorm_mode_32 3
		.amdhsa_float_denorm_mode_16_64 3
		.amdhsa_dx10_clamp 1
		.amdhsa_ieee_mode 1
		.amdhsa_fp16_overflow 0
		.amdhsa_workgroup_processor_mode 1
		.amdhsa_memory_ordered 1
		.amdhsa_forward_progress 0
		.amdhsa_shared_vgpr_count 0
		.amdhsa_exception_fp_ieee_invalid_op 0
		.amdhsa_exception_fp_denorm_src 0
		.amdhsa_exception_fp_ieee_div_zero 0
		.amdhsa_exception_fp_ieee_overflow 0
		.amdhsa_exception_fp_ieee_underflow 0
		.amdhsa_exception_fp_ieee_inexact 0
		.amdhsa_exception_int_div_zero 0
	.end_amdhsa_kernel
	.section	.text._ZN7rocprim17ROCPRIM_400000_NS6detail17trampoline_kernelINS0_13select_configILj256ELj13ELNS0_17block_load_methodE3ELS4_3ELS4_3ELNS0_20block_scan_algorithmE0ELj4294967295EEENS1_25partition_config_selectorILNS1_17partition_subalgoE3EjNS0_10empty_typeEbEEZZNS1_14partition_implILS8_3ELb0ES6_jNS0_17counting_iteratorIjlEEPS9_SE_NS0_5tupleIJPjSE_EEENSF_IJSE_SE_EEES9_SG_JZNS1_25segmented_radix_sort_implINS0_14default_configELb0EPKsPsPKlPlN2at6native12_GLOBAL__N_18offset_tEEE10hipError_tPvRmT1_PNSt15iterator_traitsISY_E10value_typeET2_T3_PNSZ_IS14_E10value_typeET4_jRbjT5_S1A_jjP12ihipStream_tbEUljE_EEESV_SW_SX_S14_S18_S1A_T6_T7_T9_mT8_S1C_bDpT10_ENKUlT_T0_E_clISt17integral_constantIbLb0EES1O_IbLb1EEEEDaS1K_S1L_EUlS1K_E_NS1_11comp_targetILNS1_3genE0ELNS1_11target_archE4294967295ELNS1_3gpuE0ELNS1_3repE0EEENS1_30default_config_static_selectorELNS0_4arch9wavefront6targetE0EEEvSY_,"axG",@progbits,_ZN7rocprim17ROCPRIM_400000_NS6detail17trampoline_kernelINS0_13select_configILj256ELj13ELNS0_17block_load_methodE3ELS4_3ELS4_3ELNS0_20block_scan_algorithmE0ELj4294967295EEENS1_25partition_config_selectorILNS1_17partition_subalgoE3EjNS0_10empty_typeEbEEZZNS1_14partition_implILS8_3ELb0ES6_jNS0_17counting_iteratorIjlEEPS9_SE_NS0_5tupleIJPjSE_EEENSF_IJSE_SE_EEES9_SG_JZNS1_25segmented_radix_sort_implINS0_14default_configELb0EPKsPsPKlPlN2at6native12_GLOBAL__N_18offset_tEEE10hipError_tPvRmT1_PNSt15iterator_traitsISY_E10value_typeET2_T3_PNSZ_IS14_E10value_typeET4_jRbjT5_S1A_jjP12ihipStream_tbEUljE_EEESV_SW_SX_S14_S18_S1A_T6_T7_T9_mT8_S1C_bDpT10_ENKUlT_T0_E_clISt17integral_constantIbLb0EES1O_IbLb1EEEEDaS1K_S1L_EUlS1K_E_NS1_11comp_targetILNS1_3genE0ELNS1_11target_archE4294967295ELNS1_3gpuE0ELNS1_3repE0EEENS1_30default_config_static_selectorELNS0_4arch9wavefront6targetE0EEEvSY_,comdat
.Lfunc_end1006:
	.size	_ZN7rocprim17ROCPRIM_400000_NS6detail17trampoline_kernelINS0_13select_configILj256ELj13ELNS0_17block_load_methodE3ELS4_3ELS4_3ELNS0_20block_scan_algorithmE0ELj4294967295EEENS1_25partition_config_selectorILNS1_17partition_subalgoE3EjNS0_10empty_typeEbEEZZNS1_14partition_implILS8_3ELb0ES6_jNS0_17counting_iteratorIjlEEPS9_SE_NS0_5tupleIJPjSE_EEENSF_IJSE_SE_EEES9_SG_JZNS1_25segmented_radix_sort_implINS0_14default_configELb0EPKsPsPKlPlN2at6native12_GLOBAL__N_18offset_tEEE10hipError_tPvRmT1_PNSt15iterator_traitsISY_E10value_typeET2_T3_PNSZ_IS14_E10value_typeET4_jRbjT5_S1A_jjP12ihipStream_tbEUljE_EEESV_SW_SX_S14_S18_S1A_T6_T7_T9_mT8_S1C_bDpT10_ENKUlT_T0_E_clISt17integral_constantIbLb0EES1O_IbLb1EEEEDaS1K_S1L_EUlS1K_E_NS1_11comp_targetILNS1_3genE0ELNS1_11target_archE4294967295ELNS1_3gpuE0ELNS1_3repE0EEENS1_30default_config_static_selectorELNS0_4arch9wavefront6targetE0EEEvSY_, .Lfunc_end1006-_ZN7rocprim17ROCPRIM_400000_NS6detail17trampoline_kernelINS0_13select_configILj256ELj13ELNS0_17block_load_methodE3ELS4_3ELS4_3ELNS0_20block_scan_algorithmE0ELj4294967295EEENS1_25partition_config_selectorILNS1_17partition_subalgoE3EjNS0_10empty_typeEbEEZZNS1_14partition_implILS8_3ELb0ES6_jNS0_17counting_iteratorIjlEEPS9_SE_NS0_5tupleIJPjSE_EEENSF_IJSE_SE_EEES9_SG_JZNS1_25segmented_radix_sort_implINS0_14default_configELb0EPKsPsPKlPlN2at6native12_GLOBAL__N_18offset_tEEE10hipError_tPvRmT1_PNSt15iterator_traitsISY_E10value_typeET2_T3_PNSZ_IS14_E10value_typeET4_jRbjT5_S1A_jjP12ihipStream_tbEUljE_EEESV_SW_SX_S14_S18_S1A_T6_T7_T9_mT8_S1C_bDpT10_ENKUlT_T0_E_clISt17integral_constantIbLb0EES1O_IbLb1EEEEDaS1K_S1L_EUlS1K_E_NS1_11comp_targetILNS1_3genE0ELNS1_11target_archE4294967295ELNS1_3gpuE0ELNS1_3repE0EEENS1_30default_config_static_selectorELNS0_4arch9wavefront6targetE0EEEvSY_
                                        ; -- End function
	.section	.AMDGPU.csdata,"",@progbits
; Kernel info:
; codeLenInByte = 0
; NumSgprs: 0
; NumVgprs: 0
; ScratchSize: 0
; MemoryBound: 0
; FloatMode: 240
; IeeeMode: 1
; LDSByteSize: 0 bytes/workgroup (compile time only)
; SGPRBlocks: 0
; VGPRBlocks: 0
; NumSGPRsForWavesPerEU: 1
; NumVGPRsForWavesPerEU: 1
; Occupancy: 16
; WaveLimiterHint : 0
; COMPUTE_PGM_RSRC2:SCRATCH_EN: 0
; COMPUTE_PGM_RSRC2:USER_SGPR: 15
; COMPUTE_PGM_RSRC2:TRAP_HANDLER: 0
; COMPUTE_PGM_RSRC2:TGID_X_EN: 1
; COMPUTE_PGM_RSRC2:TGID_Y_EN: 0
; COMPUTE_PGM_RSRC2:TGID_Z_EN: 0
; COMPUTE_PGM_RSRC2:TIDIG_COMP_CNT: 0
	.section	.text._ZN7rocprim17ROCPRIM_400000_NS6detail17trampoline_kernelINS0_13select_configILj256ELj13ELNS0_17block_load_methodE3ELS4_3ELS4_3ELNS0_20block_scan_algorithmE0ELj4294967295EEENS1_25partition_config_selectorILNS1_17partition_subalgoE3EjNS0_10empty_typeEbEEZZNS1_14partition_implILS8_3ELb0ES6_jNS0_17counting_iteratorIjlEEPS9_SE_NS0_5tupleIJPjSE_EEENSF_IJSE_SE_EEES9_SG_JZNS1_25segmented_radix_sort_implINS0_14default_configELb0EPKsPsPKlPlN2at6native12_GLOBAL__N_18offset_tEEE10hipError_tPvRmT1_PNSt15iterator_traitsISY_E10value_typeET2_T3_PNSZ_IS14_E10value_typeET4_jRbjT5_S1A_jjP12ihipStream_tbEUljE_EEESV_SW_SX_S14_S18_S1A_T6_T7_T9_mT8_S1C_bDpT10_ENKUlT_T0_E_clISt17integral_constantIbLb0EES1O_IbLb1EEEEDaS1K_S1L_EUlS1K_E_NS1_11comp_targetILNS1_3genE5ELNS1_11target_archE942ELNS1_3gpuE9ELNS1_3repE0EEENS1_30default_config_static_selectorELNS0_4arch9wavefront6targetE0EEEvSY_,"axG",@progbits,_ZN7rocprim17ROCPRIM_400000_NS6detail17trampoline_kernelINS0_13select_configILj256ELj13ELNS0_17block_load_methodE3ELS4_3ELS4_3ELNS0_20block_scan_algorithmE0ELj4294967295EEENS1_25partition_config_selectorILNS1_17partition_subalgoE3EjNS0_10empty_typeEbEEZZNS1_14partition_implILS8_3ELb0ES6_jNS0_17counting_iteratorIjlEEPS9_SE_NS0_5tupleIJPjSE_EEENSF_IJSE_SE_EEES9_SG_JZNS1_25segmented_radix_sort_implINS0_14default_configELb0EPKsPsPKlPlN2at6native12_GLOBAL__N_18offset_tEEE10hipError_tPvRmT1_PNSt15iterator_traitsISY_E10value_typeET2_T3_PNSZ_IS14_E10value_typeET4_jRbjT5_S1A_jjP12ihipStream_tbEUljE_EEESV_SW_SX_S14_S18_S1A_T6_T7_T9_mT8_S1C_bDpT10_ENKUlT_T0_E_clISt17integral_constantIbLb0EES1O_IbLb1EEEEDaS1K_S1L_EUlS1K_E_NS1_11comp_targetILNS1_3genE5ELNS1_11target_archE942ELNS1_3gpuE9ELNS1_3repE0EEENS1_30default_config_static_selectorELNS0_4arch9wavefront6targetE0EEEvSY_,comdat
	.globl	_ZN7rocprim17ROCPRIM_400000_NS6detail17trampoline_kernelINS0_13select_configILj256ELj13ELNS0_17block_load_methodE3ELS4_3ELS4_3ELNS0_20block_scan_algorithmE0ELj4294967295EEENS1_25partition_config_selectorILNS1_17partition_subalgoE3EjNS0_10empty_typeEbEEZZNS1_14partition_implILS8_3ELb0ES6_jNS0_17counting_iteratorIjlEEPS9_SE_NS0_5tupleIJPjSE_EEENSF_IJSE_SE_EEES9_SG_JZNS1_25segmented_radix_sort_implINS0_14default_configELb0EPKsPsPKlPlN2at6native12_GLOBAL__N_18offset_tEEE10hipError_tPvRmT1_PNSt15iterator_traitsISY_E10value_typeET2_T3_PNSZ_IS14_E10value_typeET4_jRbjT5_S1A_jjP12ihipStream_tbEUljE_EEESV_SW_SX_S14_S18_S1A_T6_T7_T9_mT8_S1C_bDpT10_ENKUlT_T0_E_clISt17integral_constantIbLb0EES1O_IbLb1EEEEDaS1K_S1L_EUlS1K_E_NS1_11comp_targetILNS1_3genE5ELNS1_11target_archE942ELNS1_3gpuE9ELNS1_3repE0EEENS1_30default_config_static_selectorELNS0_4arch9wavefront6targetE0EEEvSY_ ; -- Begin function _ZN7rocprim17ROCPRIM_400000_NS6detail17trampoline_kernelINS0_13select_configILj256ELj13ELNS0_17block_load_methodE3ELS4_3ELS4_3ELNS0_20block_scan_algorithmE0ELj4294967295EEENS1_25partition_config_selectorILNS1_17partition_subalgoE3EjNS0_10empty_typeEbEEZZNS1_14partition_implILS8_3ELb0ES6_jNS0_17counting_iteratorIjlEEPS9_SE_NS0_5tupleIJPjSE_EEENSF_IJSE_SE_EEES9_SG_JZNS1_25segmented_radix_sort_implINS0_14default_configELb0EPKsPsPKlPlN2at6native12_GLOBAL__N_18offset_tEEE10hipError_tPvRmT1_PNSt15iterator_traitsISY_E10value_typeET2_T3_PNSZ_IS14_E10value_typeET4_jRbjT5_S1A_jjP12ihipStream_tbEUljE_EEESV_SW_SX_S14_S18_S1A_T6_T7_T9_mT8_S1C_bDpT10_ENKUlT_T0_E_clISt17integral_constantIbLb0EES1O_IbLb1EEEEDaS1K_S1L_EUlS1K_E_NS1_11comp_targetILNS1_3genE5ELNS1_11target_archE942ELNS1_3gpuE9ELNS1_3repE0EEENS1_30default_config_static_selectorELNS0_4arch9wavefront6targetE0EEEvSY_
	.p2align	8
	.type	_ZN7rocprim17ROCPRIM_400000_NS6detail17trampoline_kernelINS0_13select_configILj256ELj13ELNS0_17block_load_methodE3ELS4_3ELS4_3ELNS0_20block_scan_algorithmE0ELj4294967295EEENS1_25partition_config_selectorILNS1_17partition_subalgoE3EjNS0_10empty_typeEbEEZZNS1_14partition_implILS8_3ELb0ES6_jNS0_17counting_iteratorIjlEEPS9_SE_NS0_5tupleIJPjSE_EEENSF_IJSE_SE_EEES9_SG_JZNS1_25segmented_radix_sort_implINS0_14default_configELb0EPKsPsPKlPlN2at6native12_GLOBAL__N_18offset_tEEE10hipError_tPvRmT1_PNSt15iterator_traitsISY_E10value_typeET2_T3_PNSZ_IS14_E10value_typeET4_jRbjT5_S1A_jjP12ihipStream_tbEUljE_EEESV_SW_SX_S14_S18_S1A_T6_T7_T9_mT8_S1C_bDpT10_ENKUlT_T0_E_clISt17integral_constantIbLb0EES1O_IbLb1EEEEDaS1K_S1L_EUlS1K_E_NS1_11comp_targetILNS1_3genE5ELNS1_11target_archE942ELNS1_3gpuE9ELNS1_3repE0EEENS1_30default_config_static_selectorELNS0_4arch9wavefront6targetE0EEEvSY_,@function
_ZN7rocprim17ROCPRIM_400000_NS6detail17trampoline_kernelINS0_13select_configILj256ELj13ELNS0_17block_load_methodE3ELS4_3ELS4_3ELNS0_20block_scan_algorithmE0ELj4294967295EEENS1_25partition_config_selectorILNS1_17partition_subalgoE3EjNS0_10empty_typeEbEEZZNS1_14partition_implILS8_3ELb0ES6_jNS0_17counting_iteratorIjlEEPS9_SE_NS0_5tupleIJPjSE_EEENSF_IJSE_SE_EEES9_SG_JZNS1_25segmented_radix_sort_implINS0_14default_configELb0EPKsPsPKlPlN2at6native12_GLOBAL__N_18offset_tEEE10hipError_tPvRmT1_PNSt15iterator_traitsISY_E10value_typeET2_T3_PNSZ_IS14_E10value_typeET4_jRbjT5_S1A_jjP12ihipStream_tbEUljE_EEESV_SW_SX_S14_S18_S1A_T6_T7_T9_mT8_S1C_bDpT10_ENKUlT_T0_E_clISt17integral_constantIbLb0EES1O_IbLb1EEEEDaS1K_S1L_EUlS1K_E_NS1_11comp_targetILNS1_3genE5ELNS1_11target_archE942ELNS1_3gpuE9ELNS1_3repE0EEENS1_30default_config_static_selectorELNS0_4arch9wavefront6targetE0EEEvSY_: ; @_ZN7rocprim17ROCPRIM_400000_NS6detail17trampoline_kernelINS0_13select_configILj256ELj13ELNS0_17block_load_methodE3ELS4_3ELS4_3ELNS0_20block_scan_algorithmE0ELj4294967295EEENS1_25partition_config_selectorILNS1_17partition_subalgoE3EjNS0_10empty_typeEbEEZZNS1_14partition_implILS8_3ELb0ES6_jNS0_17counting_iteratorIjlEEPS9_SE_NS0_5tupleIJPjSE_EEENSF_IJSE_SE_EEES9_SG_JZNS1_25segmented_radix_sort_implINS0_14default_configELb0EPKsPsPKlPlN2at6native12_GLOBAL__N_18offset_tEEE10hipError_tPvRmT1_PNSt15iterator_traitsISY_E10value_typeET2_T3_PNSZ_IS14_E10value_typeET4_jRbjT5_S1A_jjP12ihipStream_tbEUljE_EEESV_SW_SX_S14_S18_S1A_T6_T7_T9_mT8_S1C_bDpT10_ENKUlT_T0_E_clISt17integral_constantIbLb0EES1O_IbLb1EEEEDaS1K_S1L_EUlS1K_E_NS1_11comp_targetILNS1_3genE5ELNS1_11target_archE942ELNS1_3gpuE9ELNS1_3repE0EEENS1_30default_config_static_selectorELNS0_4arch9wavefront6targetE0EEEvSY_
; %bb.0:
	.section	.rodata,"a",@progbits
	.p2align	6, 0x0
	.amdhsa_kernel _ZN7rocprim17ROCPRIM_400000_NS6detail17trampoline_kernelINS0_13select_configILj256ELj13ELNS0_17block_load_methodE3ELS4_3ELS4_3ELNS0_20block_scan_algorithmE0ELj4294967295EEENS1_25partition_config_selectorILNS1_17partition_subalgoE3EjNS0_10empty_typeEbEEZZNS1_14partition_implILS8_3ELb0ES6_jNS0_17counting_iteratorIjlEEPS9_SE_NS0_5tupleIJPjSE_EEENSF_IJSE_SE_EEES9_SG_JZNS1_25segmented_radix_sort_implINS0_14default_configELb0EPKsPsPKlPlN2at6native12_GLOBAL__N_18offset_tEEE10hipError_tPvRmT1_PNSt15iterator_traitsISY_E10value_typeET2_T3_PNSZ_IS14_E10value_typeET4_jRbjT5_S1A_jjP12ihipStream_tbEUljE_EEESV_SW_SX_S14_S18_S1A_T6_T7_T9_mT8_S1C_bDpT10_ENKUlT_T0_E_clISt17integral_constantIbLb0EES1O_IbLb1EEEEDaS1K_S1L_EUlS1K_E_NS1_11comp_targetILNS1_3genE5ELNS1_11target_archE942ELNS1_3gpuE9ELNS1_3repE0EEENS1_30default_config_static_selectorELNS0_4arch9wavefront6targetE0EEEvSY_
		.amdhsa_group_segment_fixed_size 0
		.amdhsa_private_segment_fixed_size 0
		.amdhsa_kernarg_size 152
		.amdhsa_user_sgpr_count 15
		.amdhsa_user_sgpr_dispatch_ptr 0
		.amdhsa_user_sgpr_queue_ptr 0
		.amdhsa_user_sgpr_kernarg_segment_ptr 1
		.amdhsa_user_sgpr_dispatch_id 0
		.amdhsa_user_sgpr_private_segment_size 0
		.amdhsa_wavefront_size32 1
		.amdhsa_uses_dynamic_stack 0
		.amdhsa_enable_private_segment 0
		.amdhsa_system_sgpr_workgroup_id_x 1
		.amdhsa_system_sgpr_workgroup_id_y 0
		.amdhsa_system_sgpr_workgroup_id_z 0
		.amdhsa_system_sgpr_workgroup_info 0
		.amdhsa_system_vgpr_workitem_id 0
		.amdhsa_next_free_vgpr 1
		.amdhsa_next_free_sgpr 1
		.amdhsa_reserve_vcc 0
		.amdhsa_float_round_mode_32 0
		.amdhsa_float_round_mode_16_64 0
		.amdhsa_float_denorm_mode_32 3
		.amdhsa_float_denorm_mode_16_64 3
		.amdhsa_dx10_clamp 1
		.amdhsa_ieee_mode 1
		.amdhsa_fp16_overflow 0
		.amdhsa_workgroup_processor_mode 1
		.amdhsa_memory_ordered 1
		.amdhsa_forward_progress 0
		.amdhsa_shared_vgpr_count 0
		.amdhsa_exception_fp_ieee_invalid_op 0
		.amdhsa_exception_fp_denorm_src 0
		.amdhsa_exception_fp_ieee_div_zero 0
		.amdhsa_exception_fp_ieee_overflow 0
		.amdhsa_exception_fp_ieee_underflow 0
		.amdhsa_exception_fp_ieee_inexact 0
		.amdhsa_exception_int_div_zero 0
	.end_amdhsa_kernel
	.section	.text._ZN7rocprim17ROCPRIM_400000_NS6detail17trampoline_kernelINS0_13select_configILj256ELj13ELNS0_17block_load_methodE3ELS4_3ELS4_3ELNS0_20block_scan_algorithmE0ELj4294967295EEENS1_25partition_config_selectorILNS1_17partition_subalgoE3EjNS0_10empty_typeEbEEZZNS1_14partition_implILS8_3ELb0ES6_jNS0_17counting_iteratorIjlEEPS9_SE_NS0_5tupleIJPjSE_EEENSF_IJSE_SE_EEES9_SG_JZNS1_25segmented_radix_sort_implINS0_14default_configELb0EPKsPsPKlPlN2at6native12_GLOBAL__N_18offset_tEEE10hipError_tPvRmT1_PNSt15iterator_traitsISY_E10value_typeET2_T3_PNSZ_IS14_E10value_typeET4_jRbjT5_S1A_jjP12ihipStream_tbEUljE_EEESV_SW_SX_S14_S18_S1A_T6_T7_T9_mT8_S1C_bDpT10_ENKUlT_T0_E_clISt17integral_constantIbLb0EES1O_IbLb1EEEEDaS1K_S1L_EUlS1K_E_NS1_11comp_targetILNS1_3genE5ELNS1_11target_archE942ELNS1_3gpuE9ELNS1_3repE0EEENS1_30default_config_static_selectorELNS0_4arch9wavefront6targetE0EEEvSY_,"axG",@progbits,_ZN7rocprim17ROCPRIM_400000_NS6detail17trampoline_kernelINS0_13select_configILj256ELj13ELNS0_17block_load_methodE3ELS4_3ELS4_3ELNS0_20block_scan_algorithmE0ELj4294967295EEENS1_25partition_config_selectorILNS1_17partition_subalgoE3EjNS0_10empty_typeEbEEZZNS1_14partition_implILS8_3ELb0ES6_jNS0_17counting_iteratorIjlEEPS9_SE_NS0_5tupleIJPjSE_EEENSF_IJSE_SE_EEES9_SG_JZNS1_25segmented_radix_sort_implINS0_14default_configELb0EPKsPsPKlPlN2at6native12_GLOBAL__N_18offset_tEEE10hipError_tPvRmT1_PNSt15iterator_traitsISY_E10value_typeET2_T3_PNSZ_IS14_E10value_typeET4_jRbjT5_S1A_jjP12ihipStream_tbEUljE_EEESV_SW_SX_S14_S18_S1A_T6_T7_T9_mT8_S1C_bDpT10_ENKUlT_T0_E_clISt17integral_constantIbLb0EES1O_IbLb1EEEEDaS1K_S1L_EUlS1K_E_NS1_11comp_targetILNS1_3genE5ELNS1_11target_archE942ELNS1_3gpuE9ELNS1_3repE0EEENS1_30default_config_static_selectorELNS0_4arch9wavefront6targetE0EEEvSY_,comdat
.Lfunc_end1007:
	.size	_ZN7rocprim17ROCPRIM_400000_NS6detail17trampoline_kernelINS0_13select_configILj256ELj13ELNS0_17block_load_methodE3ELS4_3ELS4_3ELNS0_20block_scan_algorithmE0ELj4294967295EEENS1_25partition_config_selectorILNS1_17partition_subalgoE3EjNS0_10empty_typeEbEEZZNS1_14partition_implILS8_3ELb0ES6_jNS0_17counting_iteratorIjlEEPS9_SE_NS0_5tupleIJPjSE_EEENSF_IJSE_SE_EEES9_SG_JZNS1_25segmented_radix_sort_implINS0_14default_configELb0EPKsPsPKlPlN2at6native12_GLOBAL__N_18offset_tEEE10hipError_tPvRmT1_PNSt15iterator_traitsISY_E10value_typeET2_T3_PNSZ_IS14_E10value_typeET4_jRbjT5_S1A_jjP12ihipStream_tbEUljE_EEESV_SW_SX_S14_S18_S1A_T6_T7_T9_mT8_S1C_bDpT10_ENKUlT_T0_E_clISt17integral_constantIbLb0EES1O_IbLb1EEEEDaS1K_S1L_EUlS1K_E_NS1_11comp_targetILNS1_3genE5ELNS1_11target_archE942ELNS1_3gpuE9ELNS1_3repE0EEENS1_30default_config_static_selectorELNS0_4arch9wavefront6targetE0EEEvSY_, .Lfunc_end1007-_ZN7rocprim17ROCPRIM_400000_NS6detail17trampoline_kernelINS0_13select_configILj256ELj13ELNS0_17block_load_methodE3ELS4_3ELS4_3ELNS0_20block_scan_algorithmE0ELj4294967295EEENS1_25partition_config_selectorILNS1_17partition_subalgoE3EjNS0_10empty_typeEbEEZZNS1_14partition_implILS8_3ELb0ES6_jNS0_17counting_iteratorIjlEEPS9_SE_NS0_5tupleIJPjSE_EEENSF_IJSE_SE_EEES9_SG_JZNS1_25segmented_radix_sort_implINS0_14default_configELb0EPKsPsPKlPlN2at6native12_GLOBAL__N_18offset_tEEE10hipError_tPvRmT1_PNSt15iterator_traitsISY_E10value_typeET2_T3_PNSZ_IS14_E10value_typeET4_jRbjT5_S1A_jjP12ihipStream_tbEUljE_EEESV_SW_SX_S14_S18_S1A_T6_T7_T9_mT8_S1C_bDpT10_ENKUlT_T0_E_clISt17integral_constantIbLb0EES1O_IbLb1EEEEDaS1K_S1L_EUlS1K_E_NS1_11comp_targetILNS1_3genE5ELNS1_11target_archE942ELNS1_3gpuE9ELNS1_3repE0EEENS1_30default_config_static_selectorELNS0_4arch9wavefront6targetE0EEEvSY_
                                        ; -- End function
	.section	.AMDGPU.csdata,"",@progbits
; Kernel info:
; codeLenInByte = 0
; NumSgprs: 0
; NumVgprs: 0
; ScratchSize: 0
; MemoryBound: 0
; FloatMode: 240
; IeeeMode: 1
; LDSByteSize: 0 bytes/workgroup (compile time only)
; SGPRBlocks: 0
; VGPRBlocks: 0
; NumSGPRsForWavesPerEU: 1
; NumVGPRsForWavesPerEU: 1
; Occupancy: 16
; WaveLimiterHint : 0
; COMPUTE_PGM_RSRC2:SCRATCH_EN: 0
; COMPUTE_PGM_RSRC2:USER_SGPR: 15
; COMPUTE_PGM_RSRC2:TRAP_HANDLER: 0
; COMPUTE_PGM_RSRC2:TGID_X_EN: 1
; COMPUTE_PGM_RSRC2:TGID_Y_EN: 0
; COMPUTE_PGM_RSRC2:TGID_Z_EN: 0
; COMPUTE_PGM_RSRC2:TIDIG_COMP_CNT: 0
	.section	.text._ZN7rocprim17ROCPRIM_400000_NS6detail17trampoline_kernelINS0_13select_configILj256ELj13ELNS0_17block_load_methodE3ELS4_3ELS4_3ELNS0_20block_scan_algorithmE0ELj4294967295EEENS1_25partition_config_selectorILNS1_17partition_subalgoE3EjNS0_10empty_typeEbEEZZNS1_14partition_implILS8_3ELb0ES6_jNS0_17counting_iteratorIjlEEPS9_SE_NS0_5tupleIJPjSE_EEENSF_IJSE_SE_EEES9_SG_JZNS1_25segmented_radix_sort_implINS0_14default_configELb0EPKsPsPKlPlN2at6native12_GLOBAL__N_18offset_tEEE10hipError_tPvRmT1_PNSt15iterator_traitsISY_E10value_typeET2_T3_PNSZ_IS14_E10value_typeET4_jRbjT5_S1A_jjP12ihipStream_tbEUljE_EEESV_SW_SX_S14_S18_S1A_T6_T7_T9_mT8_S1C_bDpT10_ENKUlT_T0_E_clISt17integral_constantIbLb0EES1O_IbLb1EEEEDaS1K_S1L_EUlS1K_E_NS1_11comp_targetILNS1_3genE4ELNS1_11target_archE910ELNS1_3gpuE8ELNS1_3repE0EEENS1_30default_config_static_selectorELNS0_4arch9wavefront6targetE0EEEvSY_,"axG",@progbits,_ZN7rocprim17ROCPRIM_400000_NS6detail17trampoline_kernelINS0_13select_configILj256ELj13ELNS0_17block_load_methodE3ELS4_3ELS4_3ELNS0_20block_scan_algorithmE0ELj4294967295EEENS1_25partition_config_selectorILNS1_17partition_subalgoE3EjNS0_10empty_typeEbEEZZNS1_14partition_implILS8_3ELb0ES6_jNS0_17counting_iteratorIjlEEPS9_SE_NS0_5tupleIJPjSE_EEENSF_IJSE_SE_EEES9_SG_JZNS1_25segmented_radix_sort_implINS0_14default_configELb0EPKsPsPKlPlN2at6native12_GLOBAL__N_18offset_tEEE10hipError_tPvRmT1_PNSt15iterator_traitsISY_E10value_typeET2_T3_PNSZ_IS14_E10value_typeET4_jRbjT5_S1A_jjP12ihipStream_tbEUljE_EEESV_SW_SX_S14_S18_S1A_T6_T7_T9_mT8_S1C_bDpT10_ENKUlT_T0_E_clISt17integral_constantIbLb0EES1O_IbLb1EEEEDaS1K_S1L_EUlS1K_E_NS1_11comp_targetILNS1_3genE4ELNS1_11target_archE910ELNS1_3gpuE8ELNS1_3repE0EEENS1_30default_config_static_selectorELNS0_4arch9wavefront6targetE0EEEvSY_,comdat
	.globl	_ZN7rocprim17ROCPRIM_400000_NS6detail17trampoline_kernelINS0_13select_configILj256ELj13ELNS0_17block_load_methodE3ELS4_3ELS4_3ELNS0_20block_scan_algorithmE0ELj4294967295EEENS1_25partition_config_selectorILNS1_17partition_subalgoE3EjNS0_10empty_typeEbEEZZNS1_14partition_implILS8_3ELb0ES6_jNS0_17counting_iteratorIjlEEPS9_SE_NS0_5tupleIJPjSE_EEENSF_IJSE_SE_EEES9_SG_JZNS1_25segmented_radix_sort_implINS0_14default_configELb0EPKsPsPKlPlN2at6native12_GLOBAL__N_18offset_tEEE10hipError_tPvRmT1_PNSt15iterator_traitsISY_E10value_typeET2_T3_PNSZ_IS14_E10value_typeET4_jRbjT5_S1A_jjP12ihipStream_tbEUljE_EEESV_SW_SX_S14_S18_S1A_T6_T7_T9_mT8_S1C_bDpT10_ENKUlT_T0_E_clISt17integral_constantIbLb0EES1O_IbLb1EEEEDaS1K_S1L_EUlS1K_E_NS1_11comp_targetILNS1_3genE4ELNS1_11target_archE910ELNS1_3gpuE8ELNS1_3repE0EEENS1_30default_config_static_selectorELNS0_4arch9wavefront6targetE0EEEvSY_ ; -- Begin function _ZN7rocprim17ROCPRIM_400000_NS6detail17trampoline_kernelINS0_13select_configILj256ELj13ELNS0_17block_load_methodE3ELS4_3ELS4_3ELNS0_20block_scan_algorithmE0ELj4294967295EEENS1_25partition_config_selectorILNS1_17partition_subalgoE3EjNS0_10empty_typeEbEEZZNS1_14partition_implILS8_3ELb0ES6_jNS0_17counting_iteratorIjlEEPS9_SE_NS0_5tupleIJPjSE_EEENSF_IJSE_SE_EEES9_SG_JZNS1_25segmented_radix_sort_implINS0_14default_configELb0EPKsPsPKlPlN2at6native12_GLOBAL__N_18offset_tEEE10hipError_tPvRmT1_PNSt15iterator_traitsISY_E10value_typeET2_T3_PNSZ_IS14_E10value_typeET4_jRbjT5_S1A_jjP12ihipStream_tbEUljE_EEESV_SW_SX_S14_S18_S1A_T6_T7_T9_mT8_S1C_bDpT10_ENKUlT_T0_E_clISt17integral_constantIbLb0EES1O_IbLb1EEEEDaS1K_S1L_EUlS1K_E_NS1_11comp_targetILNS1_3genE4ELNS1_11target_archE910ELNS1_3gpuE8ELNS1_3repE0EEENS1_30default_config_static_selectorELNS0_4arch9wavefront6targetE0EEEvSY_
	.p2align	8
	.type	_ZN7rocprim17ROCPRIM_400000_NS6detail17trampoline_kernelINS0_13select_configILj256ELj13ELNS0_17block_load_methodE3ELS4_3ELS4_3ELNS0_20block_scan_algorithmE0ELj4294967295EEENS1_25partition_config_selectorILNS1_17partition_subalgoE3EjNS0_10empty_typeEbEEZZNS1_14partition_implILS8_3ELb0ES6_jNS0_17counting_iteratorIjlEEPS9_SE_NS0_5tupleIJPjSE_EEENSF_IJSE_SE_EEES9_SG_JZNS1_25segmented_radix_sort_implINS0_14default_configELb0EPKsPsPKlPlN2at6native12_GLOBAL__N_18offset_tEEE10hipError_tPvRmT1_PNSt15iterator_traitsISY_E10value_typeET2_T3_PNSZ_IS14_E10value_typeET4_jRbjT5_S1A_jjP12ihipStream_tbEUljE_EEESV_SW_SX_S14_S18_S1A_T6_T7_T9_mT8_S1C_bDpT10_ENKUlT_T0_E_clISt17integral_constantIbLb0EES1O_IbLb1EEEEDaS1K_S1L_EUlS1K_E_NS1_11comp_targetILNS1_3genE4ELNS1_11target_archE910ELNS1_3gpuE8ELNS1_3repE0EEENS1_30default_config_static_selectorELNS0_4arch9wavefront6targetE0EEEvSY_,@function
_ZN7rocprim17ROCPRIM_400000_NS6detail17trampoline_kernelINS0_13select_configILj256ELj13ELNS0_17block_load_methodE3ELS4_3ELS4_3ELNS0_20block_scan_algorithmE0ELj4294967295EEENS1_25partition_config_selectorILNS1_17partition_subalgoE3EjNS0_10empty_typeEbEEZZNS1_14partition_implILS8_3ELb0ES6_jNS0_17counting_iteratorIjlEEPS9_SE_NS0_5tupleIJPjSE_EEENSF_IJSE_SE_EEES9_SG_JZNS1_25segmented_radix_sort_implINS0_14default_configELb0EPKsPsPKlPlN2at6native12_GLOBAL__N_18offset_tEEE10hipError_tPvRmT1_PNSt15iterator_traitsISY_E10value_typeET2_T3_PNSZ_IS14_E10value_typeET4_jRbjT5_S1A_jjP12ihipStream_tbEUljE_EEESV_SW_SX_S14_S18_S1A_T6_T7_T9_mT8_S1C_bDpT10_ENKUlT_T0_E_clISt17integral_constantIbLb0EES1O_IbLb1EEEEDaS1K_S1L_EUlS1K_E_NS1_11comp_targetILNS1_3genE4ELNS1_11target_archE910ELNS1_3gpuE8ELNS1_3repE0EEENS1_30default_config_static_selectorELNS0_4arch9wavefront6targetE0EEEvSY_: ; @_ZN7rocprim17ROCPRIM_400000_NS6detail17trampoline_kernelINS0_13select_configILj256ELj13ELNS0_17block_load_methodE3ELS4_3ELS4_3ELNS0_20block_scan_algorithmE0ELj4294967295EEENS1_25partition_config_selectorILNS1_17partition_subalgoE3EjNS0_10empty_typeEbEEZZNS1_14partition_implILS8_3ELb0ES6_jNS0_17counting_iteratorIjlEEPS9_SE_NS0_5tupleIJPjSE_EEENSF_IJSE_SE_EEES9_SG_JZNS1_25segmented_radix_sort_implINS0_14default_configELb0EPKsPsPKlPlN2at6native12_GLOBAL__N_18offset_tEEE10hipError_tPvRmT1_PNSt15iterator_traitsISY_E10value_typeET2_T3_PNSZ_IS14_E10value_typeET4_jRbjT5_S1A_jjP12ihipStream_tbEUljE_EEESV_SW_SX_S14_S18_S1A_T6_T7_T9_mT8_S1C_bDpT10_ENKUlT_T0_E_clISt17integral_constantIbLb0EES1O_IbLb1EEEEDaS1K_S1L_EUlS1K_E_NS1_11comp_targetILNS1_3genE4ELNS1_11target_archE910ELNS1_3gpuE8ELNS1_3repE0EEENS1_30default_config_static_selectorELNS0_4arch9wavefront6targetE0EEEvSY_
; %bb.0:
	.section	.rodata,"a",@progbits
	.p2align	6, 0x0
	.amdhsa_kernel _ZN7rocprim17ROCPRIM_400000_NS6detail17trampoline_kernelINS0_13select_configILj256ELj13ELNS0_17block_load_methodE3ELS4_3ELS4_3ELNS0_20block_scan_algorithmE0ELj4294967295EEENS1_25partition_config_selectorILNS1_17partition_subalgoE3EjNS0_10empty_typeEbEEZZNS1_14partition_implILS8_3ELb0ES6_jNS0_17counting_iteratorIjlEEPS9_SE_NS0_5tupleIJPjSE_EEENSF_IJSE_SE_EEES9_SG_JZNS1_25segmented_radix_sort_implINS0_14default_configELb0EPKsPsPKlPlN2at6native12_GLOBAL__N_18offset_tEEE10hipError_tPvRmT1_PNSt15iterator_traitsISY_E10value_typeET2_T3_PNSZ_IS14_E10value_typeET4_jRbjT5_S1A_jjP12ihipStream_tbEUljE_EEESV_SW_SX_S14_S18_S1A_T6_T7_T9_mT8_S1C_bDpT10_ENKUlT_T0_E_clISt17integral_constantIbLb0EES1O_IbLb1EEEEDaS1K_S1L_EUlS1K_E_NS1_11comp_targetILNS1_3genE4ELNS1_11target_archE910ELNS1_3gpuE8ELNS1_3repE0EEENS1_30default_config_static_selectorELNS0_4arch9wavefront6targetE0EEEvSY_
		.amdhsa_group_segment_fixed_size 0
		.amdhsa_private_segment_fixed_size 0
		.amdhsa_kernarg_size 152
		.amdhsa_user_sgpr_count 15
		.amdhsa_user_sgpr_dispatch_ptr 0
		.amdhsa_user_sgpr_queue_ptr 0
		.amdhsa_user_sgpr_kernarg_segment_ptr 1
		.amdhsa_user_sgpr_dispatch_id 0
		.amdhsa_user_sgpr_private_segment_size 0
		.amdhsa_wavefront_size32 1
		.amdhsa_uses_dynamic_stack 0
		.amdhsa_enable_private_segment 0
		.amdhsa_system_sgpr_workgroup_id_x 1
		.amdhsa_system_sgpr_workgroup_id_y 0
		.amdhsa_system_sgpr_workgroup_id_z 0
		.amdhsa_system_sgpr_workgroup_info 0
		.amdhsa_system_vgpr_workitem_id 0
		.amdhsa_next_free_vgpr 1
		.amdhsa_next_free_sgpr 1
		.amdhsa_reserve_vcc 0
		.amdhsa_float_round_mode_32 0
		.amdhsa_float_round_mode_16_64 0
		.amdhsa_float_denorm_mode_32 3
		.amdhsa_float_denorm_mode_16_64 3
		.amdhsa_dx10_clamp 1
		.amdhsa_ieee_mode 1
		.amdhsa_fp16_overflow 0
		.amdhsa_workgroup_processor_mode 1
		.amdhsa_memory_ordered 1
		.amdhsa_forward_progress 0
		.amdhsa_shared_vgpr_count 0
		.amdhsa_exception_fp_ieee_invalid_op 0
		.amdhsa_exception_fp_denorm_src 0
		.amdhsa_exception_fp_ieee_div_zero 0
		.amdhsa_exception_fp_ieee_overflow 0
		.amdhsa_exception_fp_ieee_underflow 0
		.amdhsa_exception_fp_ieee_inexact 0
		.amdhsa_exception_int_div_zero 0
	.end_amdhsa_kernel
	.section	.text._ZN7rocprim17ROCPRIM_400000_NS6detail17trampoline_kernelINS0_13select_configILj256ELj13ELNS0_17block_load_methodE3ELS4_3ELS4_3ELNS0_20block_scan_algorithmE0ELj4294967295EEENS1_25partition_config_selectorILNS1_17partition_subalgoE3EjNS0_10empty_typeEbEEZZNS1_14partition_implILS8_3ELb0ES6_jNS0_17counting_iteratorIjlEEPS9_SE_NS0_5tupleIJPjSE_EEENSF_IJSE_SE_EEES9_SG_JZNS1_25segmented_radix_sort_implINS0_14default_configELb0EPKsPsPKlPlN2at6native12_GLOBAL__N_18offset_tEEE10hipError_tPvRmT1_PNSt15iterator_traitsISY_E10value_typeET2_T3_PNSZ_IS14_E10value_typeET4_jRbjT5_S1A_jjP12ihipStream_tbEUljE_EEESV_SW_SX_S14_S18_S1A_T6_T7_T9_mT8_S1C_bDpT10_ENKUlT_T0_E_clISt17integral_constantIbLb0EES1O_IbLb1EEEEDaS1K_S1L_EUlS1K_E_NS1_11comp_targetILNS1_3genE4ELNS1_11target_archE910ELNS1_3gpuE8ELNS1_3repE0EEENS1_30default_config_static_selectorELNS0_4arch9wavefront6targetE0EEEvSY_,"axG",@progbits,_ZN7rocprim17ROCPRIM_400000_NS6detail17trampoline_kernelINS0_13select_configILj256ELj13ELNS0_17block_load_methodE3ELS4_3ELS4_3ELNS0_20block_scan_algorithmE0ELj4294967295EEENS1_25partition_config_selectorILNS1_17partition_subalgoE3EjNS0_10empty_typeEbEEZZNS1_14partition_implILS8_3ELb0ES6_jNS0_17counting_iteratorIjlEEPS9_SE_NS0_5tupleIJPjSE_EEENSF_IJSE_SE_EEES9_SG_JZNS1_25segmented_radix_sort_implINS0_14default_configELb0EPKsPsPKlPlN2at6native12_GLOBAL__N_18offset_tEEE10hipError_tPvRmT1_PNSt15iterator_traitsISY_E10value_typeET2_T3_PNSZ_IS14_E10value_typeET4_jRbjT5_S1A_jjP12ihipStream_tbEUljE_EEESV_SW_SX_S14_S18_S1A_T6_T7_T9_mT8_S1C_bDpT10_ENKUlT_T0_E_clISt17integral_constantIbLb0EES1O_IbLb1EEEEDaS1K_S1L_EUlS1K_E_NS1_11comp_targetILNS1_3genE4ELNS1_11target_archE910ELNS1_3gpuE8ELNS1_3repE0EEENS1_30default_config_static_selectorELNS0_4arch9wavefront6targetE0EEEvSY_,comdat
.Lfunc_end1008:
	.size	_ZN7rocprim17ROCPRIM_400000_NS6detail17trampoline_kernelINS0_13select_configILj256ELj13ELNS0_17block_load_methodE3ELS4_3ELS4_3ELNS0_20block_scan_algorithmE0ELj4294967295EEENS1_25partition_config_selectorILNS1_17partition_subalgoE3EjNS0_10empty_typeEbEEZZNS1_14partition_implILS8_3ELb0ES6_jNS0_17counting_iteratorIjlEEPS9_SE_NS0_5tupleIJPjSE_EEENSF_IJSE_SE_EEES9_SG_JZNS1_25segmented_radix_sort_implINS0_14default_configELb0EPKsPsPKlPlN2at6native12_GLOBAL__N_18offset_tEEE10hipError_tPvRmT1_PNSt15iterator_traitsISY_E10value_typeET2_T3_PNSZ_IS14_E10value_typeET4_jRbjT5_S1A_jjP12ihipStream_tbEUljE_EEESV_SW_SX_S14_S18_S1A_T6_T7_T9_mT8_S1C_bDpT10_ENKUlT_T0_E_clISt17integral_constantIbLb0EES1O_IbLb1EEEEDaS1K_S1L_EUlS1K_E_NS1_11comp_targetILNS1_3genE4ELNS1_11target_archE910ELNS1_3gpuE8ELNS1_3repE0EEENS1_30default_config_static_selectorELNS0_4arch9wavefront6targetE0EEEvSY_, .Lfunc_end1008-_ZN7rocprim17ROCPRIM_400000_NS6detail17trampoline_kernelINS0_13select_configILj256ELj13ELNS0_17block_load_methodE3ELS4_3ELS4_3ELNS0_20block_scan_algorithmE0ELj4294967295EEENS1_25partition_config_selectorILNS1_17partition_subalgoE3EjNS0_10empty_typeEbEEZZNS1_14partition_implILS8_3ELb0ES6_jNS0_17counting_iteratorIjlEEPS9_SE_NS0_5tupleIJPjSE_EEENSF_IJSE_SE_EEES9_SG_JZNS1_25segmented_radix_sort_implINS0_14default_configELb0EPKsPsPKlPlN2at6native12_GLOBAL__N_18offset_tEEE10hipError_tPvRmT1_PNSt15iterator_traitsISY_E10value_typeET2_T3_PNSZ_IS14_E10value_typeET4_jRbjT5_S1A_jjP12ihipStream_tbEUljE_EEESV_SW_SX_S14_S18_S1A_T6_T7_T9_mT8_S1C_bDpT10_ENKUlT_T0_E_clISt17integral_constantIbLb0EES1O_IbLb1EEEEDaS1K_S1L_EUlS1K_E_NS1_11comp_targetILNS1_3genE4ELNS1_11target_archE910ELNS1_3gpuE8ELNS1_3repE0EEENS1_30default_config_static_selectorELNS0_4arch9wavefront6targetE0EEEvSY_
                                        ; -- End function
	.section	.AMDGPU.csdata,"",@progbits
; Kernel info:
; codeLenInByte = 0
; NumSgprs: 0
; NumVgprs: 0
; ScratchSize: 0
; MemoryBound: 0
; FloatMode: 240
; IeeeMode: 1
; LDSByteSize: 0 bytes/workgroup (compile time only)
; SGPRBlocks: 0
; VGPRBlocks: 0
; NumSGPRsForWavesPerEU: 1
; NumVGPRsForWavesPerEU: 1
; Occupancy: 16
; WaveLimiterHint : 0
; COMPUTE_PGM_RSRC2:SCRATCH_EN: 0
; COMPUTE_PGM_RSRC2:USER_SGPR: 15
; COMPUTE_PGM_RSRC2:TRAP_HANDLER: 0
; COMPUTE_PGM_RSRC2:TGID_X_EN: 1
; COMPUTE_PGM_RSRC2:TGID_Y_EN: 0
; COMPUTE_PGM_RSRC2:TGID_Z_EN: 0
; COMPUTE_PGM_RSRC2:TIDIG_COMP_CNT: 0
	.section	.text._ZN7rocprim17ROCPRIM_400000_NS6detail17trampoline_kernelINS0_13select_configILj256ELj13ELNS0_17block_load_methodE3ELS4_3ELS4_3ELNS0_20block_scan_algorithmE0ELj4294967295EEENS1_25partition_config_selectorILNS1_17partition_subalgoE3EjNS0_10empty_typeEbEEZZNS1_14partition_implILS8_3ELb0ES6_jNS0_17counting_iteratorIjlEEPS9_SE_NS0_5tupleIJPjSE_EEENSF_IJSE_SE_EEES9_SG_JZNS1_25segmented_radix_sort_implINS0_14default_configELb0EPKsPsPKlPlN2at6native12_GLOBAL__N_18offset_tEEE10hipError_tPvRmT1_PNSt15iterator_traitsISY_E10value_typeET2_T3_PNSZ_IS14_E10value_typeET4_jRbjT5_S1A_jjP12ihipStream_tbEUljE_EEESV_SW_SX_S14_S18_S1A_T6_T7_T9_mT8_S1C_bDpT10_ENKUlT_T0_E_clISt17integral_constantIbLb0EES1O_IbLb1EEEEDaS1K_S1L_EUlS1K_E_NS1_11comp_targetILNS1_3genE3ELNS1_11target_archE908ELNS1_3gpuE7ELNS1_3repE0EEENS1_30default_config_static_selectorELNS0_4arch9wavefront6targetE0EEEvSY_,"axG",@progbits,_ZN7rocprim17ROCPRIM_400000_NS6detail17trampoline_kernelINS0_13select_configILj256ELj13ELNS0_17block_load_methodE3ELS4_3ELS4_3ELNS0_20block_scan_algorithmE0ELj4294967295EEENS1_25partition_config_selectorILNS1_17partition_subalgoE3EjNS0_10empty_typeEbEEZZNS1_14partition_implILS8_3ELb0ES6_jNS0_17counting_iteratorIjlEEPS9_SE_NS0_5tupleIJPjSE_EEENSF_IJSE_SE_EEES9_SG_JZNS1_25segmented_radix_sort_implINS0_14default_configELb0EPKsPsPKlPlN2at6native12_GLOBAL__N_18offset_tEEE10hipError_tPvRmT1_PNSt15iterator_traitsISY_E10value_typeET2_T3_PNSZ_IS14_E10value_typeET4_jRbjT5_S1A_jjP12ihipStream_tbEUljE_EEESV_SW_SX_S14_S18_S1A_T6_T7_T9_mT8_S1C_bDpT10_ENKUlT_T0_E_clISt17integral_constantIbLb0EES1O_IbLb1EEEEDaS1K_S1L_EUlS1K_E_NS1_11comp_targetILNS1_3genE3ELNS1_11target_archE908ELNS1_3gpuE7ELNS1_3repE0EEENS1_30default_config_static_selectorELNS0_4arch9wavefront6targetE0EEEvSY_,comdat
	.globl	_ZN7rocprim17ROCPRIM_400000_NS6detail17trampoline_kernelINS0_13select_configILj256ELj13ELNS0_17block_load_methodE3ELS4_3ELS4_3ELNS0_20block_scan_algorithmE0ELj4294967295EEENS1_25partition_config_selectorILNS1_17partition_subalgoE3EjNS0_10empty_typeEbEEZZNS1_14partition_implILS8_3ELb0ES6_jNS0_17counting_iteratorIjlEEPS9_SE_NS0_5tupleIJPjSE_EEENSF_IJSE_SE_EEES9_SG_JZNS1_25segmented_radix_sort_implINS0_14default_configELb0EPKsPsPKlPlN2at6native12_GLOBAL__N_18offset_tEEE10hipError_tPvRmT1_PNSt15iterator_traitsISY_E10value_typeET2_T3_PNSZ_IS14_E10value_typeET4_jRbjT5_S1A_jjP12ihipStream_tbEUljE_EEESV_SW_SX_S14_S18_S1A_T6_T7_T9_mT8_S1C_bDpT10_ENKUlT_T0_E_clISt17integral_constantIbLb0EES1O_IbLb1EEEEDaS1K_S1L_EUlS1K_E_NS1_11comp_targetILNS1_3genE3ELNS1_11target_archE908ELNS1_3gpuE7ELNS1_3repE0EEENS1_30default_config_static_selectorELNS0_4arch9wavefront6targetE0EEEvSY_ ; -- Begin function _ZN7rocprim17ROCPRIM_400000_NS6detail17trampoline_kernelINS0_13select_configILj256ELj13ELNS0_17block_load_methodE3ELS4_3ELS4_3ELNS0_20block_scan_algorithmE0ELj4294967295EEENS1_25partition_config_selectorILNS1_17partition_subalgoE3EjNS0_10empty_typeEbEEZZNS1_14partition_implILS8_3ELb0ES6_jNS0_17counting_iteratorIjlEEPS9_SE_NS0_5tupleIJPjSE_EEENSF_IJSE_SE_EEES9_SG_JZNS1_25segmented_radix_sort_implINS0_14default_configELb0EPKsPsPKlPlN2at6native12_GLOBAL__N_18offset_tEEE10hipError_tPvRmT1_PNSt15iterator_traitsISY_E10value_typeET2_T3_PNSZ_IS14_E10value_typeET4_jRbjT5_S1A_jjP12ihipStream_tbEUljE_EEESV_SW_SX_S14_S18_S1A_T6_T7_T9_mT8_S1C_bDpT10_ENKUlT_T0_E_clISt17integral_constantIbLb0EES1O_IbLb1EEEEDaS1K_S1L_EUlS1K_E_NS1_11comp_targetILNS1_3genE3ELNS1_11target_archE908ELNS1_3gpuE7ELNS1_3repE0EEENS1_30default_config_static_selectorELNS0_4arch9wavefront6targetE0EEEvSY_
	.p2align	8
	.type	_ZN7rocprim17ROCPRIM_400000_NS6detail17trampoline_kernelINS0_13select_configILj256ELj13ELNS0_17block_load_methodE3ELS4_3ELS4_3ELNS0_20block_scan_algorithmE0ELj4294967295EEENS1_25partition_config_selectorILNS1_17partition_subalgoE3EjNS0_10empty_typeEbEEZZNS1_14partition_implILS8_3ELb0ES6_jNS0_17counting_iteratorIjlEEPS9_SE_NS0_5tupleIJPjSE_EEENSF_IJSE_SE_EEES9_SG_JZNS1_25segmented_radix_sort_implINS0_14default_configELb0EPKsPsPKlPlN2at6native12_GLOBAL__N_18offset_tEEE10hipError_tPvRmT1_PNSt15iterator_traitsISY_E10value_typeET2_T3_PNSZ_IS14_E10value_typeET4_jRbjT5_S1A_jjP12ihipStream_tbEUljE_EEESV_SW_SX_S14_S18_S1A_T6_T7_T9_mT8_S1C_bDpT10_ENKUlT_T0_E_clISt17integral_constantIbLb0EES1O_IbLb1EEEEDaS1K_S1L_EUlS1K_E_NS1_11comp_targetILNS1_3genE3ELNS1_11target_archE908ELNS1_3gpuE7ELNS1_3repE0EEENS1_30default_config_static_selectorELNS0_4arch9wavefront6targetE0EEEvSY_,@function
_ZN7rocprim17ROCPRIM_400000_NS6detail17trampoline_kernelINS0_13select_configILj256ELj13ELNS0_17block_load_methodE3ELS4_3ELS4_3ELNS0_20block_scan_algorithmE0ELj4294967295EEENS1_25partition_config_selectorILNS1_17partition_subalgoE3EjNS0_10empty_typeEbEEZZNS1_14partition_implILS8_3ELb0ES6_jNS0_17counting_iteratorIjlEEPS9_SE_NS0_5tupleIJPjSE_EEENSF_IJSE_SE_EEES9_SG_JZNS1_25segmented_radix_sort_implINS0_14default_configELb0EPKsPsPKlPlN2at6native12_GLOBAL__N_18offset_tEEE10hipError_tPvRmT1_PNSt15iterator_traitsISY_E10value_typeET2_T3_PNSZ_IS14_E10value_typeET4_jRbjT5_S1A_jjP12ihipStream_tbEUljE_EEESV_SW_SX_S14_S18_S1A_T6_T7_T9_mT8_S1C_bDpT10_ENKUlT_T0_E_clISt17integral_constantIbLb0EES1O_IbLb1EEEEDaS1K_S1L_EUlS1K_E_NS1_11comp_targetILNS1_3genE3ELNS1_11target_archE908ELNS1_3gpuE7ELNS1_3repE0EEENS1_30default_config_static_selectorELNS0_4arch9wavefront6targetE0EEEvSY_: ; @_ZN7rocprim17ROCPRIM_400000_NS6detail17trampoline_kernelINS0_13select_configILj256ELj13ELNS0_17block_load_methodE3ELS4_3ELS4_3ELNS0_20block_scan_algorithmE0ELj4294967295EEENS1_25partition_config_selectorILNS1_17partition_subalgoE3EjNS0_10empty_typeEbEEZZNS1_14partition_implILS8_3ELb0ES6_jNS0_17counting_iteratorIjlEEPS9_SE_NS0_5tupleIJPjSE_EEENSF_IJSE_SE_EEES9_SG_JZNS1_25segmented_radix_sort_implINS0_14default_configELb0EPKsPsPKlPlN2at6native12_GLOBAL__N_18offset_tEEE10hipError_tPvRmT1_PNSt15iterator_traitsISY_E10value_typeET2_T3_PNSZ_IS14_E10value_typeET4_jRbjT5_S1A_jjP12ihipStream_tbEUljE_EEESV_SW_SX_S14_S18_S1A_T6_T7_T9_mT8_S1C_bDpT10_ENKUlT_T0_E_clISt17integral_constantIbLb0EES1O_IbLb1EEEEDaS1K_S1L_EUlS1K_E_NS1_11comp_targetILNS1_3genE3ELNS1_11target_archE908ELNS1_3gpuE7ELNS1_3repE0EEENS1_30default_config_static_selectorELNS0_4arch9wavefront6targetE0EEEvSY_
; %bb.0:
	.section	.rodata,"a",@progbits
	.p2align	6, 0x0
	.amdhsa_kernel _ZN7rocprim17ROCPRIM_400000_NS6detail17trampoline_kernelINS0_13select_configILj256ELj13ELNS0_17block_load_methodE3ELS4_3ELS4_3ELNS0_20block_scan_algorithmE0ELj4294967295EEENS1_25partition_config_selectorILNS1_17partition_subalgoE3EjNS0_10empty_typeEbEEZZNS1_14partition_implILS8_3ELb0ES6_jNS0_17counting_iteratorIjlEEPS9_SE_NS0_5tupleIJPjSE_EEENSF_IJSE_SE_EEES9_SG_JZNS1_25segmented_radix_sort_implINS0_14default_configELb0EPKsPsPKlPlN2at6native12_GLOBAL__N_18offset_tEEE10hipError_tPvRmT1_PNSt15iterator_traitsISY_E10value_typeET2_T3_PNSZ_IS14_E10value_typeET4_jRbjT5_S1A_jjP12ihipStream_tbEUljE_EEESV_SW_SX_S14_S18_S1A_T6_T7_T9_mT8_S1C_bDpT10_ENKUlT_T0_E_clISt17integral_constantIbLb0EES1O_IbLb1EEEEDaS1K_S1L_EUlS1K_E_NS1_11comp_targetILNS1_3genE3ELNS1_11target_archE908ELNS1_3gpuE7ELNS1_3repE0EEENS1_30default_config_static_selectorELNS0_4arch9wavefront6targetE0EEEvSY_
		.amdhsa_group_segment_fixed_size 0
		.amdhsa_private_segment_fixed_size 0
		.amdhsa_kernarg_size 152
		.amdhsa_user_sgpr_count 15
		.amdhsa_user_sgpr_dispatch_ptr 0
		.amdhsa_user_sgpr_queue_ptr 0
		.amdhsa_user_sgpr_kernarg_segment_ptr 1
		.amdhsa_user_sgpr_dispatch_id 0
		.amdhsa_user_sgpr_private_segment_size 0
		.amdhsa_wavefront_size32 1
		.amdhsa_uses_dynamic_stack 0
		.amdhsa_enable_private_segment 0
		.amdhsa_system_sgpr_workgroup_id_x 1
		.amdhsa_system_sgpr_workgroup_id_y 0
		.amdhsa_system_sgpr_workgroup_id_z 0
		.amdhsa_system_sgpr_workgroup_info 0
		.amdhsa_system_vgpr_workitem_id 0
		.amdhsa_next_free_vgpr 1
		.amdhsa_next_free_sgpr 1
		.amdhsa_reserve_vcc 0
		.amdhsa_float_round_mode_32 0
		.amdhsa_float_round_mode_16_64 0
		.amdhsa_float_denorm_mode_32 3
		.amdhsa_float_denorm_mode_16_64 3
		.amdhsa_dx10_clamp 1
		.amdhsa_ieee_mode 1
		.amdhsa_fp16_overflow 0
		.amdhsa_workgroup_processor_mode 1
		.amdhsa_memory_ordered 1
		.amdhsa_forward_progress 0
		.amdhsa_shared_vgpr_count 0
		.amdhsa_exception_fp_ieee_invalid_op 0
		.amdhsa_exception_fp_denorm_src 0
		.amdhsa_exception_fp_ieee_div_zero 0
		.amdhsa_exception_fp_ieee_overflow 0
		.amdhsa_exception_fp_ieee_underflow 0
		.amdhsa_exception_fp_ieee_inexact 0
		.amdhsa_exception_int_div_zero 0
	.end_amdhsa_kernel
	.section	.text._ZN7rocprim17ROCPRIM_400000_NS6detail17trampoline_kernelINS0_13select_configILj256ELj13ELNS0_17block_load_methodE3ELS4_3ELS4_3ELNS0_20block_scan_algorithmE0ELj4294967295EEENS1_25partition_config_selectorILNS1_17partition_subalgoE3EjNS0_10empty_typeEbEEZZNS1_14partition_implILS8_3ELb0ES6_jNS0_17counting_iteratorIjlEEPS9_SE_NS0_5tupleIJPjSE_EEENSF_IJSE_SE_EEES9_SG_JZNS1_25segmented_radix_sort_implINS0_14default_configELb0EPKsPsPKlPlN2at6native12_GLOBAL__N_18offset_tEEE10hipError_tPvRmT1_PNSt15iterator_traitsISY_E10value_typeET2_T3_PNSZ_IS14_E10value_typeET4_jRbjT5_S1A_jjP12ihipStream_tbEUljE_EEESV_SW_SX_S14_S18_S1A_T6_T7_T9_mT8_S1C_bDpT10_ENKUlT_T0_E_clISt17integral_constantIbLb0EES1O_IbLb1EEEEDaS1K_S1L_EUlS1K_E_NS1_11comp_targetILNS1_3genE3ELNS1_11target_archE908ELNS1_3gpuE7ELNS1_3repE0EEENS1_30default_config_static_selectorELNS0_4arch9wavefront6targetE0EEEvSY_,"axG",@progbits,_ZN7rocprim17ROCPRIM_400000_NS6detail17trampoline_kernelINS0_13select_configILj256ELj13ELNS0_17block_load_methodE3ELS4_3ELS4_3ELNS0_20block_scan_algorithmE0ELj4294967295EEENS1_25partition_config_selectorILNS1_17partition_subalgoE3EjNS0_10empty_typeEbEEZZNS1_14partition_implILS8_3ELb0ES6_jNS0_17counting_iteratorIjlEEPS9_SE_NS0_5tupleIJPjSE_EEENSF_IJSE_SE_EEES9_SG_JZNS1_25segmented_radix_sort_implINS0_14default_configELb0EPKsPsPKlPlN2at6native12_GLOBAL__N_18offset_tEEE10hipError_tPvRmT1_PNSt15iterator_traitsISY_E10value_typeET2_T3_PNSZ_IS14_E10value_typeET4_jRbjT5_S1A_jjP12ihipStream_tbEUljE_EEESV_SW_SX_S14_S18_S1A_T6_T7_T9_mT8_S1C_bDpT10_ENKUlT_T0_E_clISt17integral_constantIbLb0EES1O_IbLb1EEEEDaS1K_S1L_EUlS1K_E_NS1_11comp_targetILNS1_3genE3ELNS1_11target_archE908ELNS1_3gpuE7ELNS1_3repE0EEENS1_30default_config_static_selectorELNS0_4arch9wavefront6targetE0EEEvSY_,comdat
.Lfunc_end1009:
	.size	_ZN7rocprim17ROCPRIM_400000_NS6detail17trampoline_kernelINS0_13select_configILj256ELj13ELNS0_17block_load_methodE3ELS4_3ELS4_3ELNS0_20block_scan_algorithmE0ELj4294967295EEENS1_25partition_config_selectorILNS1_17partition_subalgoE3EjNS0_10empty_typeEbEEZZNS1_14partition_implILS8_3ELb0ES6_jNS0_17counting_iteratorIjlEEPS9_SE_NS0_5tupleIJPjSE_EEENSF_IJSE_SE_EEES9_SG_JZNS1_25segmented_radix_sort_implINS0_14default_configELb0EPKsPsPKlPlN2at6native12_GLOBAL__N_18offset_tEEE10hipError_tPvRmT1_PNSt15iterator_traitsISY_E10value_typeET2_T3_PNSZ_IS14_E10value_typeET4_jRbjT5_S1A_jjP12ihipStream_tbEUljE_EEESV_SW_SX_S14_S18_S1A_T6_T7_T9_mT8_S1C_bDpT10_ENKUlT_T0_E_clISt17integral_constantIbLb0EES1O_IbLb1EEEEDaS1K_S1L_EUlS1K_E_NS1_11comp_targetILNS1_3genE3ELNS1_11target_archE908ELNS1_3gpuE7ELNS1_3repE0EEENS1_30default_config_static_selectorELNS0_4arch9wavefront6targetE0EEEvSY_, .Lfunc_end1009-_ZN7rocprim17ROCPRIM_400000_NS6detail17trampoline_kernelINS0_13select_configILj256ELj13ELNS0_17block_load_methodE3ELS4_3ELS4_3ELNS0_20block_scan_algorithmE0ELj4294967295EEENS1_25partition_config_selectorILNS1_17partition_subalgoE3EjNS0_10empty_typeEbEEZZNS1_14partition_implILS8_3ELb0ES6_jNS0_17counting_iteratorIjlEEPS9_SE_NS0_5tupleIJPjSE_EEENSF_IJSE_SE_EEES9_SG_JZNS1_25segmented_radix_sort_implINS0_14default_configELb0EPKsPsPKlPlN2at6native12_GLOBAL__N_18offset_tEEE10hipError_tPvRmT1_PNSt15iterator_traitsISY_E10value_typeET2_T3_PNSZ_IS14_E10value_typeET4_jRbjT5_S1A_jjP12ihipStream_tbEUljE_EEESV_SW_SX_S14_S18_S1A_T6_T7_T9_mT8_S1C_bDpT10_ENKUlT_T0_E_clISt17integral_constantIbLb0EES1O_IbLb1EEEEDaS1K_S1L_EUlS1K_E_NS1_11comp_targetILNS1_3genE3ELNS1_11target_archE908ELNS1_3gpuE7ELNS1_3repE0EEENS1_30default_config_static_selectorELNS0_4arch9wavefront6targetE0EEEvSY_
                                        ; -- End function
	.section	.AMDGPU.csdata,"",@progbits
; Kernel info:
; codeLenInByte = 0
; NumSgprs: 0
; NumVgprs: 0
; ScratchSize: 0
; MemoryBound: 0
; FloatMode: 240
; IeeeMode: 1
; LDSByteSize: 0 bytes/workgroup (compile time only)
; SGPRBlocks: 0
; VGPRBlocks: 0
; NumSGPRsForWavesPerEU: 1
; NumVGPRsForWavesPerEU: 1
; Occupancy: 16
; WaveLimiterHint : 0
; COMPUTE_PGM_RSRC2:SCRATCH_EN: 0
; COMPUTE_PGM_RSRC2:USER_SGPR: 15
; COMPUTE_PGM_RSRC2:TRAP_HANDLER: 0
; COMPUTE_PGM_RSRC2:TGID_X_EN: 1
; COMPUTE_PGM_RSRC2:TGID_Y_EN: 0
; COMPUTE_PGM_RSRC2:TGID_Z_EN: 0
; COMPUTE_PGM_RSRC2:TIDIG_COMP_CNT: 0
	.section	.text._ZN7rocprim17ROCPRIM_400000_NS6detail17trampoline_kernelINS0_13select_configILj256ELj13ELNS0_17block_load_methodE3ELS4_3ELS4_3ELNS0_20block_scan_algorithmE0ELj4294967295EEENS1_25partition_config_selectorILNS1_17partition_subalgoE3EjNS0_10empty_typeEbEEZZNS1_14partition_implILS8_3ELb0ES6_jNS0_17counting_iteratorIjlEEPS9_SE_NS0_5tupleIJPjSE_EEENSF_IJSE_SE_EEES9_SG_JZNS1_25segmented_radix_sort_implINS0_14default_configELb0EPKsPsPKlPlN2at6native12_GLOBAL__N_18offset_tEEE10hipError_tPvRmT1_PNSt15iterator_traitsISY_E10value_typeET2_T3_PNSZ_IS14_E10value_typeET4_jRbjT5_S1A_jjP12ihipStream_tbEUljE_EEESV_SW_SX_S14_S18_S1A_T6_T7_T9_mT8_S1C_bDpT10_ENKUlT_T0_E_clISt17integral_constantIbLb0EES1O_IbLb1EEEEDaS1K_S1L_EUlS1K_E_NS1_11comp_targetILNS1_3genE2ELNS1_11target_archE906ELNS1_3gpuE6ELNS1_3repE0EEENS1_30default_config_static_selectorELNS0_4arch9wavefront6targetE0EEEvSY_,"axG",@progbits,_ZN7rocprim17ROCPRIM_400000_NS6detail17trampoline_kernelINS0_13select_configILj256ELj13ELNS0_17block_load_methodE3ELS4_3ELS4_3ELNS0_20block_scan_algorithmE0ELj4294967295EEENS1_25partition_config_selectorILNS1_17partition_subalgoE3EjNS0_10empty_typeEbEEZZNS1_14partition_implILS8_3ELb0ES6_jNS0_17counting_iteratorIjlEEPS9_SE_NS0_5tupleIJPjSE_EEENSF_IJSE_SE_EEES9_SG_JZNS1_25segmented_radix_sort_implINS0_14default_configELb0EPKsPsPKlPlN2at6native12_GLOBAL__N_18offset_tEEE10hipError_tPvRmT1_PNSt15iterator_traitsISY_E10value_typeET2_T3_PNSZ_IS14_E10value_typeET4_jRbjT5_S1A_jjP12ihipStream_tbEUljE_EEESV_SW_SX_S14_S18_S1A_T6_T7_T9_mT8_S1C_bDpT10_ENKUlT_T0_E_clISt17integral_constantIbLb0EES1O_IbLb1EEEEDaS1K_S1L_EUlS1K_E_NS1_11comp_targetILNS1_3genE2ELNS1_11target_archE906ELNS1_3gpuE6ELNS1_3repE0EEENS1_30default_config_static_selectorELNS0_4arch9wavefront6targetE0EEEvSY_,comdat
	.globl	_ZN7rocprim17ROCPRIM_400000_NS6detail17trampoline_kernelINS0_13select_configILj256ELj13ELNS0_17block_load_methodE3ELS4_3ELS4_3ELNS0_20block_scan_algorithmE0ELj4294967295EEENS1_25partition_config_selectorILNS1_17partition_subalgoE3EjNS0_10empty_typeEbEEZZNS1_14partition_implILS8_3ELb0ES6_jNS0_17counting_iteratorIjlEEPS9_SE_NS0_5tupleIJPjSE_EEENSF_IJSE_SE_EEES9_SG_JZNS1_25segmented_radix_sort_implINS0_14default_configELb0EPKsPsPKlPlN2at6native12_GLOBAL__N_18offset_tEEE10hipError_tPvRmT1_PNSt15iterator_traitsISY_E10value_typeET2_T3_PNSZ_IS14_E10value_typeET4_jRbjT5_S1A_jjP12ihipStream_tbEUljE_EEESV_SW_SX_S14_S18_S1A_T6_T7_T9_mT8_S1C_bDpT10_ENKUlT_T0_E_clISt17integral_constantIbLb0EES1O_IbLb1EEEEDaS1K_S1L_EUlS1K_E_NS1_11comp_targetILNS1_3genE2ELNS1_11target_archE906ELNS1_3gpuE6ELNS1_3repE0EEENS1_30default_config_static_selectorELNS0_4arch9wavefront6targetE0EEEvSY_ ; -- Begin function _ZN7rocprim17ROCPRIM_400000_NS6detail17trampoline_kernelINS0_13select_configILj256ELj13ELNS0_17block_load_methodE3ELS4_3ELS4_3ELNS0_20block_scan_algorithmE0ELj4294967295EEENS1_25partition_config_selectorILNS1_17partition_subalgoE3EjNS0_10empty_typeEbEEZZNS1_14partition_implILS8_3ELb0ES6_jNS0_17counting_iteratorIjlEEPS9_SE_NS0_5tupleIJPjSE_EEENSF_IJSE_SE_EEES9_SG_JZNS1_25segmented_radix_sort_implINS0_14default_configELb0EPKsPsPKlPlN2at6native12_GLOBAL__N_18offset_tEEE10hipError_tPvRmT1_PNSt15iterator_traitsISY_E10value_typeET2_T3_PNSZ_IS14_E10value_typeET4_jRbjT5_S1A_jjP12ihipStream_tbEUljE_EEESV_SW_SX_S14_S18_S1A_T6_T7_T9_mT8_S1C_bDpT10_ENKUlT_T0_E_clISt17integral_constantIbLb0EES1O_IbLb1EEEEDaS1K_S1L_EUlS1K_E_NS1_11comp_targetILNS1_3genE2ELNS1_11target_archE906ELNS1_3gpuE6ELNS1_3repE0EEENS1_30default_config_static_selectorELNS0_4arch9wavefront6targetE0EEEvSY_
	.p2align	8
	.type	_ZN7rocprim17ROCPRIM_400000_NS6detail17trampoline_kernelINS0_13select_configILj256ELj13ELNS0_17block_load_methodE3ELS4_3ELS4_3ELNS0_20block_scan_algorithmE0ELj4294967295EEENS1_25partition_config_selectorILNS1_17partition_subalgoE3EjNS0_10empty_typeEbEEZZNS1_14partition_implILS8_3ELb0ES6_jNS0_17counting_iteratorIjlEEPS9_SE_NS0_5tupleIJPjSE_EEENSF_IJSE_SE_EEES9_SG_JZNS1_25segmented_radix_sort_implINS0_14default_configELb0EPKsPsPKlPlN2at6native12_GLOBAL__N_18offset_tEEE10hipError_tPvRmT1_PNSt15iterator_traitsISY_E10value_typeET2_T3_PNSZ_IS14_E10value_typeET4_jRbjT5_S1A_jjP12ihipStream_tbEUljE_EEESV_SW_SX_S14_S18_S1A_T6_T7_T9_mT8_S1C_bDpT10_ENKUlT_T0_E_clISt17integral_constantIbLb0EES1O_IbLb1EEEEDaS1K_S1L_EUlS1K_E_NS1_11comp_targetILNS1_3genE2ELNS1_11target_archE906ELNS1_3gpuE6ELNS1_3repE0EEENS1_30default_config_static_selectorELNS0_4arch9wavefront6targetE0EEEvSY_,@function
_ZN7rocprim17ROCPRIM_400000_NS6detail17trampoline_kernelINS0_13select_configILj256ELj13ELNS0_17block_load_methodE3ELS4_3ELS4_3ELNS0_20block_scan_algorithmE0ELj4294967295EEENS1_25partition_config_selectorILNS1_17partition_subalgoE3EjNS0_10empty_typeEbEEZZNS1_14partition_implILS8_3ELb0ES6_jNS0_17counting_iteratorIjlEEPS9_SE_NS0_5tupleIJPjSE_EEENSF_IJSE_SE_EEES9_SG_JZNS1_25segmented_radix_sort_implINS0_14default_configELb0EPKsPsPKlPlN2at6native12_GLOBAL__N_18offset_tEEE10hipError_tPvRmT1_PNSt15iterator_traitsISY_E10value_typeET2_T3_PNSZ_IS14_E10value_typeET4_jRbjT5_S1A_jjP12ihipStream_tbEUljE_EEESV_SW_SX_S14_S18_S1A_T6_T7_T9_mT8_S1C_bDpT10_ENKUlT_T0_E_clISt17integral_constantIbLb0EES1O_IbLb1EEEEDaS1K_S1L_EUlS1K_E_NS1_11comp_targetILNS1_3genE2ELNS1_11target_archE906ELNS1_3gpuE6ELNS1_3repE0EEENS1_30default_config_static_selectorELNS0_4arch9wavefront6targetE0EEEvSY_: ; @_ZN7rocprim17ROCPRIM_400000_NS6detail17trampoline_kernelINS0_13select_configILj256ELj13ELNS0_17block_load_methodE3ELS4_3ELS4_3ELNS0_20block_scan_algorithmE0ELj4294967295EEENS1_25partition_config_selectorILNS1_17partition_subalgoE3EjNS0_10empty_typeEbEEZZNS1_14partition_implILS8_3ELb0ES6_jNS0_17counting_iteratorIjlEEPS9_SE_NS0_5tupleIJPjSE_EEENSF_IJSE_SE_EEES9_SG_JZNS1_25segmented_radix_sort_implINS0_14default_configELb0EPKsPsPKlPlN2at6native12_GLOBAL__N_18offset_tEEE10hipError_tPvRmT1_PNSt15iterator_traitsISY_E10value_typeET2_T3_PNSZ_IS14_E10value_typeET4_jRbjT5_S1A_jjP12ihipStream_tbEUljE_EEESV_SW_SX_S14_S18_S1A_T6_T7_T9_mT8_S1C_bDpT10_ENKUlT_T0_E_clISt17integral_constantIbLb0EES1O_IbLb1EEEEDaS1K_S1L_EUlS1K_E_NS1_11comp_targetILNS1_3genE2ELNS1_11target_archE906ELNS1_3gpuE6ELNS1_3repE0EEENS1_30default_config_static_selectorELNS0_4arch9wavefront6targetE0EEEvSY_
; %bb.0:
	.section	.rodata,"a",@progbits
	.p2align	6, 0x0
	.amdhsa_kernel _ZN7rocprim17ROCPRIM_400000_NS6detail17trampoline_kernelINS0_13select_configILj256ELj13ELNS0_17block_load_methodE3ELS4_3ELS4_3ELNS0_20block_scan_algorithmE0ELj4294967295EEENS1_25partition_config_selectorILNS1_17partition_subalgoE3EjNS0_10empty_typeEbEEZZNS1_14partition_implILS8_3ELb0ES6_jNS0_17counting_iteratorIjlEEPS9_SE_NS0_5tupleIJPjSE_EEENSF_IJSE_SE_EEES9_SG_JZNS1_25segmented_radix_sort_implINS0_14default_configELb0EPKsPsPKlPlN2at6native12_GLOBAL__N_18offset_tEEE10hipError_tPvRmT1_PNSt15iterator_traitsISY_E10value_typeET2_T3_PNSZ_IS14_E10value_typeET4_jRbjT5_S1A_jjP12ihipStream_tbEUljE_EEESV_SW_SX_S14_S18_S1A_T6_T7_T9_mT8_S1C_bDpT10_ENKUlT_T0_E_clISt17integral_constantIbLb0EES1O_IbLb1EEEEDaS1K_S1L_EUlS1K_E_NS1_11comp_targetILNS1_3genE2ELNS1_11target_archE906ELNS1_3gpuE6ELNS1_3repE0EEENS1_30default_config_static_selectorELNS0_4arch9wavefront6targetE0EEEvSY_
		.amdhsa_group_segment_fixed_size 0
		.amdhsa_private_segment_fixed_size 0
		.amdhsa_kernarg_size 152
		.amdhsa_user_sgpr_count 15
		.amdhsa_user_sgpr_dispatch_ptr 0
		.amdhsa_user_sgpr_queue_ptr 0
		.amdhsa_user_sgpr_kernarg_segment_ptr 1
		.amdhsa_user_sgpr_dispatch_id 0
		.amdhsa_user_sgpr_private_segment_size 0
		.amdhsa_wavefront_size32 1
		.amdhsa_uses_dynamic_stack 0
		.amdhsa_enable_private_segment 0
		.amdhsa_system_sgpr_workgroup_id_x 1
		.amdhsa_system_sgpr_workgroup_id_y 0
		.amdhsa_system_sgpr_workgroup_id_z 0
		.amdhsa_system_sgpr_workgroup_info 0
		.amdhsa_system_vgpr_workitem_id 0
		.amdhsa_next_free_vgpr 1
		.amdhsa_next_free_sgpr 1
		.amdhsa_reserve_vcc 0
		.amdhsa_float_round_mode_32 0
		.amdhsa_float_round_mode_16_64 0
		.amdhsa_float_denorm_mode_32 3
		.amdhsa_float_denorm_mode_16_64 3
		.amdhsa_dx10_clamp 1
		.amdhsa_ieee_mode 1
		.amdhsa_fp16_overflow 0
		.amdhsa_workgroup_processor_mode 1
		.amdhsa_memory_ordered 1
		.amdhsa_forward_progress 0
		.amdhsa_shared_vgpr_count 0
		.amdhsa_exception_fp_ieee_invalid_op 0
		.amdhsa_exception_fp_denorm_src 0
		.amdhsa_exception_fp_ieee_div_zero 0
		.amdhsa_exception_fp_ieee_overflow 0
		.amdhsa_exception_fp_ieee_underflow 0
		.amdhsa_exception_fp_ieee_inexact 0
		.amdhsa_exception_int_div_zero 0
	.end_amdhsa_kernel
	.section	.text._ZN7rocprim17ROCPRIM_400000_NS6detail17trampoline_kernelINS0_13select_configILj256ELj13ELNS0_17block_load_methodE3ELS4_3ELS4_3ELNS0_20block_scan_algorithmE0ELj4294967295EEENS1_25partition_config_selectorILNS1_17partition_subalgoE3EjNS0_10empty_typeEbEEZZNS1_14partition_implILS8_3ELb0ES6_jNS0_17counting_iteratorIjlEEPS9_SE_NS0_5tupleIJPjSE_EEENSF_IJSE_SE_EEES9_SG_JZNS1_25segmented_radix_sort_implINS0_14default_configELb0EPKsPsPKlPlN2at6native12_GLOBAL__N_18offset_tEEE10hipError_tPvRmT1_PNSt15iterator_traitsISY_E10value_typeET2_T3_PNSZ_IS14_E10value_typeET4_jRbjT5_S1A_jjP12ihipStream_tbEUljE_EEESV_SW_SX_S14_S18_S1A_T6_T7_T9_mT8_S1C_bDpT10_ENKUlT_T0_E_clISt17integral_constantIbLb0EES1O_IbLb1EEEEDaS1K_S1L_EUlS1K_E_NS1_11comp_targetILNS1_3genE2ELNS1_11target_archE906ELNS1_3gpuE6ELNS1_3repE0EEENS1_30default_config_static_selectorELNS0_4arch9wavefront6targetE0EEEvSY_,"axG",@progbits,_ZN7rocprim17ROCPRIM_400000_NS6detail17trampoline_kernelINS0_13select_configILj256ELj13ELNS0_17block_load_methodE3ELS4_3ELS4_3ELNS0_20block_scan_algorithmE0ELj4294967295EEENS1_25partition_config_selectorILNS1_17partition_subalgoE3EjNS0_10empty_typeEbEEZZNS1_14partition_implILS8_3ELb0ES6_jNS0_17counting_iteratorIjlEEPS9_SE_NS0_5tupleIJPjSE_EEENSF_IJSE_SE_EEES9_SG_JZNS1_25segmented_radix_sort_implINS0_14default_configELb0EPKsPsPKlPlN2at6native12_GLOBAL__N_18offset_tEEE10hipError_tPvRmT1_PNSt15iterator_traitsISY_E10value_typeET2_T3_PNSZ_IS14_E10value_typeET4_jRbjT5_S1A_jjP12ihipStream_tbEUljE_EEESV_SW_SX_S14_S18_S1A_T6_T7_T9_mT8_S1C_bDpT10_ENKUlT_T0_E_clISt17integral_constantIbLb0EES1O_IbLb1EEEEDaS1K_S1L_EUlS1K_E_NS1_11comp_targetILNS1_3genE2ELNS1_11target_archE906ELNS1_3gpuE6ELNS1_3repE0EEENS1_30default_config_static_selectorELNS0_4arch9wavefront6targetE0EEEvSY_,comdat
.Lfunc_end1010:
	.size	_ZN7rocprim17ROCPRIM_400000_NS6detail17trampoline_kernelINS0_13select_configILj256ELj13ELNS0_17block_load_methodE3ELS4_3ELS4_3ELNS0_20block_scan_algorithmE0ELj4294967295EEENS1_25partition_config_selectorILNS1_17partition_subalgoE3EjNS0_10empty_typeEbEEZZNS1_14partition_implILS8_3ELb0ES6_jNS0_17counting_iteratorIjlEEPS9_SE_NS0_5tupleIJPjSE_EEENSF_IJSE_SE_EEES9_SG_JZNS1_25segmented_radix_sort_implINS0_14default_configELb0EPKsPsPKlPlN2at6native12_GLOBAL__N_18offset_tEEE10hipError_tPvRmT1_PNSt15iterator_traitsISY_E10value_typeET2_T3_PNSZ_IS14_E10value_typeET4_jRbjT5_S1A_jjP12ihipStream_tbEUljE_EEESV_SW_SX_S14_S18_S1A_T6_T7_T9_mT8_S1C_bDpT10_ENKUlT_T0_E_clISt17integral_constantIbLb0EES1O_IbLb1EEEEDaS1K_S1L_EUlS1K_E_NS1_11comp_targetILNS1_3genE2ELNS1_11target_archE906ELNS1_3gpuE6ELNS1_3repE0EEENS1_30default_config_static_selectorELNS0_4arch9wavefront6targetE0EEEvSY_, .Lfunc_end1010-_ZN7rocprim17ROCPRIM_400000_NS6detail17trampoline_kernelINS0_13select_configILj256ELj13ELNS0_17block_load_methodE3ELS4_3ELS4_3ELNS0_20block_scan_algorithmE0ELj4294967295EEENS1_25partition_config_selectorILNS1_17partition_subalgoE3EjNS0_10empty_typeEbEEZZNS1_14partition_implILS8_3ELb0ES6_jNS0_17counting_iteratorIjlEEPS9_SE_NS0_5tupleIJPjSE_EEENSF_IJSE_SE_EEES9_SG_JZNS1_25segmented_radix_sort_implINS0_14default_configELb0EPKsPsPKlPlN2at6native12_GLOBAL__N_18offset_tEEE10hipError_tPvRmT1_PNSt15iterator_traitsISY_E10value_typeET2_T3_PNSZ_IS14_E10value_typeET4_jRbjT5_S1A_jjP12ihipStream_tbEUljE_EEESV_SW_SX_S14_S18_S1A_T6_T7_T9_mT8_S1C_bDpT10_ENKUlT_T0_E_clISt17integral_constantIbLb0EES1O_IbLb1EEEEDaS1K_S1L_EUlS1K_E_NS1_11comp_targetILNS1_3genE2ELNS1_11target_archE906ELNS1_3gpuE6ELNS1_3repE0EEENS1_30default_config_static_selectorELNS0_4arch9wavefront6targetE0EEEvSY_
                                        ; -- End function
	.section	.AMDGPU.csdata,"",@progbits
; Kernel info:
; codeLenInByte = 0
; NumSgprs: 0
; NumVgprs: 0
; ScratchSize: 0
; MemoryBound: 0
; FloatMode: 240
; IeeeMode: 1
; LDSByteSize: 0 bytes/workgroup (compile time only)
; SGPRBlocks: 0
; VGPRBlocks: 0
; NumSGPRsForWavesPerEU: 1
; NumVGPRsForWavesPerEU: 1
; Occupancy: 16
; WaveLimiterHint : 0
; COMPUTE_PGM_RSRC2:SCRATCH_EN: 0
; COMPUTE_PGM_RSRC2:USER_SGPR: 15
; COMPUTE_PGM_RSRC2:TRAP_HANDLER: 0
; COMPUTE_PGM_RSRC2:TGID_X_EN: 1
; COMPUTE_PGM_RSRC2:TGID_Y_EN: 0
; COMPUTE_PGM_RSRC2:TGID_Z_EN: 0
; COMPUTE_PGM_RSRC2:TIDIG_COMP_CNT: 0
	.section	.text._ZN7rocprim17ROCPRIM_400000_NS6detail17trampoline_kernelINS0_13select_configILj256ELj13ELNS0_17block_load_methodE3ELS4_3ELS4_3ELNS0_20block_scan_algorithmE0ELj4294967295EEENS1_25partition_config_selectorILNS1_17partition_subalgoE3EjNS0_10empty_typeEbEEZZNS1_14partition_implILS8_3ELb0ES6_jNS0_17counting_iteratorIjlEEPS9_SE_NS0_5tupleIJPjSE_EEENSF_IJSE_SE_EEES9_SG_JZNS1_25segmented_radix_sort_implINS0_14default_configELb0EPKsPsPKlPlN2at6native12_GLOBAL__N_18offset_tEEE10hipError_tPvRmT1_PNSt15iterator_traitsISY_E10value_typeET2_T3_PNSZ_IS14_E10value_typeET4_jRbjT5_S1A_jjP12ihipStream_tbEUljE_EEESV_SW_SX_S14_S18_S1A_T6_T7_T9_mT8_S1C_bDpT10_ENKUlT_T0_E_clISt17integral_constantIbLb0EES1O_IbLb1EEEEDaS1K_S1L_EUlS1K_E_NS1_11comp_targetILNS1_3genE10ELNS1_11target_archE1200ELNS1_3gpuE4ELNS1_3repE0EEENS1_30default_config_static_selectorELNS0_4arch9wavefront6targetE0EEEvSY_,"axG",@progbits,_ZN7rocprim17ROCPRIM_400000_NS6detail17trampoline_kernelINS0_13select_configILj256ELj13ELNS0_17block_load_methodE3ELS4_3ELS4_3ELNS0_20block_scan_algorithmE0ELj4294967295EEENS1_25partition_config_selectorILNS1_17partition_subalgoE3EjNS0_10empty_typeEbEEZZNS1_14partition_implILS8_3ELb0ES6_jNS0_17counting_iteratorIjlEEPS9_SE_NS0_5tupleIJPjSE_EEENSF_IJSE_SE_EEES9_SG_JZNS1_25segmented_radix_sort_implINS0_14default_configELb0EPKsPsPKlPlN2at6native12_GLOBAL__N_18offset_tEEE10hipError_tPvRmT1_PNSt15iterator_traitsISY_E10value_typeET2_T3_PNSZ_IS14_E10value_typeET4_jRbjT5_S1A_jjP12ihipStream_tbEUljE_EEESV_SW_SX_S14_S18_S1A_T6_T7_T9_mT8_S1C_bDpT10_ENKUlT_T0_E_clISt17integral_constantIbLb0EES1O_IbLb1EEEEDaS1K_S1L_EUlS1K_E_NS1_11comp_targetILNS1_3genE10ELNS1_11target_archE1200ELNS1_3gpuE4ELNS1_3repE0EEENS1_30default_config_static_selectorELNS0_4arch9wavefront6targetE0EEEvSY_,comdat
	.globl	_ZN7rocprim17ROCPRIM_400000_NS6detail17trampoline_kernelINS0_13select_configILj256ELj13ELNS0_17block_load_methodE3ELS4_3ELS4_3ELNS0_20block_scan_algorithmE0ELj4294967295EEENS1_25partition_config_selectorILNS1_17partition_subalgoE3EjNS0_10empty_typeEbEEZZNS1_14partition_implILS8_3ELb0ES6_jNS0_17counting_iteratorIjlEEPS9_SE_NS0_5tupleIJPjSE_EEENSF_IJSE_SE_EEES9_SG_JZNS1_25segmented_radix_sort_implINS0_14default_configELb0EPKsPsPKlPlN2at6native12_GLOBAL__N_18offset_tEEE10hipError_tPvRmT1_PNSt15iterator_traitsISY_E10value_typeET2_T3_PNSZ_IS14_E10value_typeET4_jRbjT5_S1A_jjP12ihipStream_tbEUljE_EEESV_SW_SX_S14_S18_S1A_T6_T7_T9_mT8_S1C_bDpT10_ENKUlT_T0_E_clISt17integral_constantIbLb0EES1O_IbLb1EEEEDaS1K_S1L_EUlS1K_E_NS1_11comp_targetILNS1_3genE10ELNS1_11target_archE1200ELNS1_3gpuE4ELNS1_3repE0EEENS1_30default_config_static_selectorELNS0_4arch9wavefront6targetE0EEEvSY_ ; -- Begin function _ZN7rocprim17ROCPRIM_400000_NS6detail17trampoline_kernelINS0_13select_configILj256ELj13ELNS0_17block_load_methodE3ELS4_3ELS4_3ELNS0_20block_scan_algorithmE0ELj4294967295EEENS1_25partition_config_selectorILNS1_17partition_subalgoE3EjNS0_10empty_typeEbEEZZNS1_14partition_implILS8_3ELb0ES6_jNS0_17counting_iteratorIjlEEPS9_SE_NS0_5tupleIJPjSE_EEENSF_IJSE_SE_EEES9_SG_JZNS1_25segmented_radix_sort_implINS0_14default_configELb0EPKsPsPKlPlN2at6native12_GLOBAL__N_18offset_tEEE10hipError_tPvRmT1_PNSt15iterator_traitsISY_E10value_typeET2_T3_PNSZ_IS14_E10value_typeET4_jRbjT5_S1A_jjP12ihipStream_tbEUljE_EEESV_SW_SX_S14_S18_S1A_T6_T7_T9_mT8_S1C_bDpT10_ENKUlT_T0_E_clISt17integral_constantIbLb0EES1O_IbLb1EEEEDaS1K_S1L_EUlS1K_E_NS1_11comp_targetILNS1_3genE10ELNS1_11target_archE1200ELNS1_3gpuE4ELNS1_3repE0EEENS1_30default_config_static_selectorELNS0_4arch9wavefront6targetE0EEEvSY_
	.p2align	8
	.type	_ZN7rocprim17ROCPRIM_400000_NS6detail17trampoline_kernelINS0_13select_configILj256ELj13ELNS0_17block_load_methodE3ELS4_3ELS4_3ELNS0_20block_scan_algorithmE0ELj4294967295EEENS1_25partition_config_selectorILNS1_17partition_subalgoE3EjNS0_10empty_typeEbEEZZNS1_14partition_implILS8_3ELb0ES6_jNS0_17counting_iteratorIjlEEPS9_SE_NS0_5tupleIJPjSE_EEENSF_IJSE_SE_EEES9_SG_JZNS1_25segmented_radix_sort_implINS0_14default_configELb0EPKsPsPKlPlN2at6native12_GLOBAL__N_18offset_tEEE10hipError_tPvRmT1_PNSt15iterator_traitsISY_E10value_typeET2_T3_PNSZ_IS14_E10value_typeET4_jRbjT5_S1A_jjP12ihipStream_tbEUljE_EEESV_SW_SX_S14_S18_S1A_T6_T7_T9_mT8_S1C_bDpT10_ENKUlT_T0_E_clISt17integral_constantIbLb0EES1O_IbLb1EEEEDaS1K_S1L_EUlS1K_E_NS1_11comp_targetILNS1_3genE10ELNS1_11target_archE1200ELNS1_3gpuE4ELNS1_3repE0EEENS1_30default_config_static_selectorELNS0_4arch9wavefront6targetE0EEEvSY_,@function
_ZN7rocprim17ROCPRIM_400000_NS6detail17trampoline_kernelINS0_13select_configILj256ELj13ELNS0_17block_load_methodE3ELS4_3ELS4_3ELNS0_20block_scan_algorithmE0ELj4294967295EEENS1_25partition_config_selectorILNS1_17partition_subalgoE3EjNS0_10empty_typeEbEEZZNS1_14partition_implILS8_3ELb0ES6_jNS0_17counting_iteratorIjlEEPS9_SE_NS0_5tupleIJPjSE_EEENSF_IJSE_SE_EEES9_SG_JZNS1_25segmented_radix_sort_implINS0_14default_configELb0EPKsPsPKlPlN2at6native12_GLOBAL__N_18offset_tEEE10hipError_tPvRmT1_PNSt15iterator_traitsISY_E10value_typeET2_T3_PNSZ_IS14_E10value_typeET4_jRbjT5_S1A_jjP12ihipStream_tbEUljE_EEESV_SW_SX_S14_S18_S1A_T6_T7_T9_mT8_S1C_bDpT10_ENKUlT_T0_E_clISt17integral_constantIbLb0EES1O_IbLb1EEEEDaS1K_S1L_EUlS1K_E_NS1_11comp_targetILNS1_3genE10ELNS1_11target_archE1200ELNS1_3gpuE4ELNS1_3repE0EEENS1_30default_config_static_selectorELNS0_4arch9wavefront6targetE0EEEvSY_: ; @_ZN7rocprim17ROCPRIM_400000_NS6detail17trampoline_kernelINS0_13select_configILj256ELj13ELNS0_17block_load_methodE3ELS4_3ELS4_3ELNS0_20block_scan_algorithmE0ELj4294967295EEENS1_25partition_config_selectorILNS1_17partition_subalgoE3EjNS0_10empty_typeEbEEZZNS1_14partition_implILS8_3ELb0ES6_jNS0_17counting_iteratorIjlEEPS9_SE_NS0_5tupleIJPjSE_EEENSF_IJSE_SE_EEES9_SG_JZNS1_25segmented_radix_sort_implINS0_14default_configELb0EPKsPsPKlPlN2at6native12_GLOBAL__N_18offset_tEEE10hipError_tPvRmT1_PNSt15iterator_traitsISY_E10value_typeET2_T3_PNSZ_IS14_E10value_typeET4_jRbjT5_S1A_jjP12ihipStream_tbEUljE_EEESV_SW_SX_S14_S18_S1A_T6_T7_T9_mT8_S1C_bDpT10_ENKUlT_T0_E_clISt17integral_constantIbLb0EES1O_IbLb1EEEEDaS1K_S1L_EUlS1K_E_NS1_11comp_targetILNS1_3genE10ELNS1_11target_archE1200ELNS1_3gpuE4ELNS1_3repE0EEENS1_30default_config_static_selectorELNS0_4arch9wavefront6targetE0EEEvSY_
; %bb.0:
	.section	.rodata,"a",@progbits
	.p2align	6, 0x0
	.amdhsa_kernel _ZN7rocprim17ROCPRIM_400000_NS6detail17trampoline_kernelINS0_13select_configILj256ELj13ELNS0_17block_load_methodE3ELS4_3ELS4_3ELNS0_20block_scan_algorithmE0ELj4294967295EEENS1_25partition_config_selectorILNS1_17partition_subalgoE3EjNS0_10empty_typeEbEEZZNS1_14partition_implILS8_3ELb0ES6_jNS0_17counting_iteratorIjlEEPS9_SE_NS0_5tupleIJPjSE_EEENSF_IJSE_SE_EEES9_SG_JZNS1_25segmented_radix_sort_implINS0_14default_configELb0EPKsPsPKlPlN2at6native12_GLOBAL__N_18offset_tEEE10hipError_tPvRmT1_PNSt15iterator_traitsISY_E10value_typeET2_T3_PNSZ_IS14_E10value_typeET4_jRbjT5_S1A_jjP12ihipStream_tbEUljE_EEESV_SW_SX_S14_S18_S1A_T6_T7_T9_mT8_S1C_bDpT10_ENKUlT_T0_E_clISt17integral_constantIbLb0EES1O_IbLb1EEEEDaS1K_S1L_EUlS1K_E_NS1_11comp_targetILNS1_3genE10ELNS1_11target_archE1200ELNS1_3gpuE4ELNS1_3repE0EEENS1_30default_config_static_selectorELNS0_4arch9wavefront6targetE0EEEvSY_
		.amdhsa_group_segment_fixed_size 0
		.amdhsa_private_segment_fixed_size 0
		.amdhsa_kernarg_size 152
		.amdhsa_user_sgpr_count 15
		.amdhsa_user_sgpr_dispatch_ptr 0
		.amdhsa_user_sgpr_queue_ptr 0
		.amdhsa_user_sgpr_kernarg_segment_ptr 1
		.amdhsa_user_sgpr_dispatch_id 0
		.amdhsa_user_sgpr_private_segment_size 0
		.amdhsa_wavefront_size32 1
		.amdhsa_uses_dynamic_stack 0
		.amdhsa_enable_private_segment 0
		.amdhsa_system_sgpr_workgroup_id_x 1
		.amdhsa_system_sgpr_workgroup_id_y 0
		.amdhsa_system_sgpr_workgroup_id_z 0
		.amdhsa_system_sgpr_workgroup_info 0
		.amdhsa_system_vgpr_workitem_id 0
		.amdhsa_next_free_vgpr 1
		.amdhsa_next_free_sgpr 1
		.amdhsa_reserve_vcc 0
		.amdhsa_float_round_mode_32 0
		.amdhsa_float_round_mode_16_64 0
		.amdhsa_float_denorm_mode_32 3
		.amdhsa_float_denorm_mode_16_64 3
		.amdhsa_dx10_clamp 1
		.amdhsa_ieee_mode 1
		.amdhsa_fp16_overflow 0
		.amdhsa_workgroup_processor_mode 1
		.amdhsa_memory_ordered 1
		.amdhsa_forward_progress 0
		.amdhsa_shared_vgpr_count 0
		.amdhsa_exception_fp_ieee_invalid_op 0
		.amdhsa_exception_fp_denorm_src 0
		.amdhsa_exception_fp_ieee_div_zero 0
		.amdhsa_exception_fp_ieee_overflow 0
		.amdhsa_exception_fp_ieee_underflow 0
		.amdhsa_exception_fp_ieee_inexact 0
		.amdhsa_exception_int_div_zero 0
	.end_amdhsa_kernel
	.section	.text._ZN7rocprim17ROCPRIM_400000_NS6detail17trampoline_kernelINS0_13select_configILj256ELj13ELNS0_17block_load_methodE3ELS4_3ELS4_3ELNS0_20block_scan_algorithmE0ELj4294967295EEENS1_25partition_config_selectorILNS1_17partition_subalgoE3EjNS0_10empty_typeEbEEZZNS1_14partition_implILS8_3ELb0ES6_jNS0_17counting_iteratorIjlEEPS9_SE_NS0_5tupleIJPjSE_EEENSF_IJSE_SE_EEES9_SG_JZNS1_25segmented_radix_sort_implINS0_14default_configELb0EPKsPsPKlPlN2at6native12_GLOBAL__N_18offset_tEEE10hipError_tPvRmT1_PNSt15iterator_traitsISY_E10value_typeET2_T3_PNSZ_IS14_E10value_typeET4_jRbjT5_S1A_jjP12ihipStream_tbEUljE_EEESV_SW_SX_S14_S18_S1A_T6_T7_T9_mT8_S1C_bDpT10_ENKUlT_T0_E_clISt17integral_constantIbLb0EES1O_IbLb1EEEEDaS1K_S1L_EUlS1K_E_NS1_11comp_targetILNS1_3genE10ELNS1_11target_archE1200ELNS1_3gpuE4ELNS1_3repE0EEENS1_30default_config_static_selectorELNS0_4arch9wavefront6targetE0EEEvSY_,"axG",@progbits,_ZN7rocprim17ROCPRIM_400000_NS6detail17trampoline_kernelINS0_13select_configILj256ELj13ELNS0_17block_load_methodE3ELS4_3ELS4_3ELNS0_20block_scan_algorithmE0ELj4294967295EEENS1_25partition_config_selectorILNS1_17partition_subalgoE3EjNS0_10empty_typeEbEEZZNS1_14partition_implILS8_3ELb0ES6_jNS0_17counting_iteratorIjlEEPS9_SE_NS0_5tupleIJPjSE_EEENSF_IJSE_SE_EEES9_SG_JZNS1_25segmented_radix_sort_implINS0_14default_configELb0EPKsPsPKlPlN2at6native12_GLOBAL__N_18offset_tEEE10hipError_tPvRmT1_PNSt15iterator_traitsISY_E10value_typeET2_T3_PNSZ_IS14_E10value_typeET4_jRbjT5_S1A_jjP12ihipStream_tbEUljE_EEESV_SW_SX_S14_S18_S1A_T6_T7_T9_mT8_S1C_bDpT10_ENKUlT_T0_E_clISt17integral_constantIbLb0EES1O_IbLb1EEEEDaS1K_S1L_EUlS1K_E_NS1_11comp_targetILNS1_3genE10ELNS1_11target_archE1200ELNS1_3gpuE4ELNS1_3repE0EEENS1_30default_config_static_selectorELNS0_4arch9wavefront6targetE0EEEvSY_,comdat
.Lfunc_end1011:
	.size	_ZN7rocprim17ROCPRIM_400000_NS6detail17trampoline_kernelINS0_13select_configILj256ELj13ELNS0_17block_load_methodE3ELS4_3ELS4_3ELNS0_20block_scan_algorithmE0ELj4294967295EEENS1_25partition_config_selectorILNS1_17partition_subalgoE3EjNS0_10empty_typeEbEEZZNS1_14partition_implILS8_3ELb0ES6_jNS0_17counting_iteratorIjlEEPS9_SE_NS0_5tupleIJPjSE_EEENSF_IJSE_SE_EEES9_SG_JZNS1_25segmented_radix_sort_implINS0_14default_configELb0EPKsPsPKlPlN2at6native12_GLOBAL__N_18offset_tEEE10hipError_tPvRmT1_PNSt15iterator_traitsISY_E10value_typeET2_T3_PNSZ_IS14_E10value_typeET4_jRbjT5_S1A_jjP12ihipStream_tbEUljE_EEESV_SW_SX_S14_S18_S1A_T6_T7_T9_mT8_S1C_bDpT10_ENKUlT_T0_E_clISt17integral_constantIbLb0EES1O_IbLb1EEEEDaS1K_S1L_EUlS1K_E_NS1_11comp_targetILNS1_3genE10ELNS1_11target_archE1200ELNS1_3gpuE4ELNS1_3repE0EEENS1_30default_config_static_selectorELNS0_4arch9wavefront6targetE0EEEvSY_, .Lfunc_end1011-_ZN7rocprim17ROCPRIM_400000_NS6detail17trampoline_kernelINS0_13select_configILj256ELj13ELNS0_17block_load_methodE3ELS4_3ELS4_3ELNS0_20block_scan_algorithmE0ELj4294967295EEENS1_25partition_config_selectorILNS1_17partition_subalgoE3EjNS0_10empty_typeEbEEZZNS1_14partition_implILS8_3ELb0ES6_jNS0_17counting_iteratorIjlEEPS9_SE_NS0_5tupleIJPjSE_EEENSF_IJSE_SE_EEES9_SG_JZNS1_25segmented_radix_sort_implINS0_14default_configELb0EPKsPsPKlPlN2at6native12_GLOBAL__N_18offset_tEEE10hipError_tPvRmT1_PNSt15iterator_traitsISY_E10value_typeET2_T3_PNSZ_IS14_E10value_typeET4_jRbjT5_S1A_jjP12ihipStream_tbEUljE_EEESV_SW_SX_S14_S18_S1A_T6_T7_T9_mT8_S1C_bDpT10_ENKUlT_T0_E_clISt17integral_constantIbLb0EES1O_IbLb1EEEEDaS1K_S1L_EUlS1K_E_NS1_11comp_targetILNS1_3genE10ELNS1_11target_archE1200ELNS1_3gpuE4ELNS1_3repE0EEENS1_30default_config_static_selectorELNS0_4arch9wavefront6targetE0EEEvSY_
                                        ; -- End function
	.section	.AMDGPU.csdata,"",@progbits
; Kernel info:
; codeLenInByte = 0
; NumSgprs: 0
; NumVgprs: 0
; ScratchSize: 0
; MemoryBound: 0
; FloatMode: 240
; IeeeMode: 1
; LDSByteSize: 0 bytes/workgroup (compile time only)
; SGPRBlocks: 0
; VGPRBlocks: 0
; NumSGPRsForWavesPerEU: 1
; NumVGPRsForWavesPerEU: 1
; Occupancy: 16
; WaveLimiterHint : 0
; COMPUTE_PGM_RSRC2:SCRATCH_EN: 0
; COMPUTE_PGM_RSRC2:USER_SGPR: 15
; COMPUTE_PGM_RSRC2:TRAP_HANDLER: 0
; COMPUTE_PGM_RSRC2:TGID_X_EN: 1
; COMPUTE_PGM_RSRC2:TGID_Y_EN: 0
; COMPUTE_PGM_RSRC2:TGID_Z_EN: 0
; COMPUTE_PGM_RSRC2:TIDIG_COMP_CNT: 0
	.section	.text._ZN7rocprim17ROCPRIM_400000_NS6detail17trampoline_kernelINS0_13select_configILj256ELj13ELNS0_17block_load_methodE3ELS4_3ELS4_3ELNS0_20block_scan_algorithmE0ELj4294967295EEENS1_25partition_config_selectorILNS1_17partition_subalgoE3EjNS0_10empty_typeEbEEZZNS1_14partition_implILS8_3ELb0ES6_jNS0_17counting_iteratorIjlEEPS9_SE_NS0_5tupleIJPjSE_EEENSF_IJSE_SE_EEES9_SG_JZNS1_25segmented_radix_sort_implINS0_14default_configELb0EPKsPsPKlPlN2at6native12_GLOBAL__N_18offset_tEEE10hipError_tPvRmT1_PNSt15iterator_traitsISY_E10value_typeET2_T3_PNSZ_IS14_E10value_typeET4_jRbjT5_S1A_jjP12ihipStream_tbEUljE_EEESV_SW_SX_S14_S18_S1A_T6_T7_T9_mT8_S1C_bDpT10_ENKUlT_T0_E_clISt17integral_constantIbLb0EES1O_IbLb1EEEEDaS1K_S1L_EUlS1K_E_NS1_11comp_targetILNS1_3genE9ELNS1_11target_archE1100ELNS1_3gpuE3ELNS1_3repE0EEENS1_30default_config_static_selectorELNS0_4arch9wavefront6targetE0EEEvSY_,"axG",@progbits,_ZN7rocprim17ROCPRIM_400000_NS6detail17trampoline_kernelINS0_13select_configILj256ELj13ELNS0_17block_load_methodE3ELS4_3ELS4_3ELNS0_20block_scan_algorithmE0ELj4294967295EEENS1_25partition_config_selectorILNS1_17partition_subalgoE3EjNS0_10empty_typeEbEEZZNS1_14partition_implILS8_3ELb0ES6_jNS0_17counting_iteratorIjlEEPS9_SE_NS0_5tupleIJPjSE_EEENSF_IJSE_SE_EEES9_SG_JZNS1_25segmented_radix_sort_implINS0_14default_configELb0EPKsPsPKlPlN2at6native12_GLOBAL__N_18offset_tEEE10hipError_tPvRmT1_PNSt15iterator_traitsISY_E10value_typeET2_T3_PNSZ_IS14_E10value_typeET4_jRbjT5_S1A_jjP12ihipStream_tbEUljE_EEESV_SW_SX_S14_S18_S1A_T6_T7_T9_mT8_S1C_bDpT10_ENKUlT_T0_E_clISt17integral_constantIbLb0EES1O_IbLb1EEEEDaS1K_S1L_EUlS1K_E_NS1_11comp_targetILNS1_3genE9ELNS1_11target_archE1100ELNS1_3gpuE3ELNS1_3repE0EEENS1_30default_config_static_selectorELNS0_4arch9wavefront6targetE0EEEvSY_,comdat
	.globl	_ZN7rocprim17ROCPRIM_400000_NS6detail17trampoline_kernelINS0_13select_configILj256ELj13ELNS0_17block_load_methodE3ELS4_3ELS4_3ELNS0_20block_scan_algorithmE0ELj4294967295EEENS1_25partition_config_selectorILNS1_17partition_subalgoE3EjNS0_10empty_typeEbEEZZNS1_14partition_implILS8_3ELb0ES6_jNS0_17counting_iteratorIjlEEPS9_SE_NS0_5tupleIJPjSE_EEENSF_IJSE_SE_EEES9_SG_JZNS1_25segmented_radix_sort_implINS0_14default_configELb0EPKsPsPKlPlN2at6native12_GLOBAL__N_18offset_tEEE10hipError_tPvRmT1_PNSt15iterator_traitsISY_E10value_typeET2_T3_PNSZ_IS14_E10value_typeET4_jRbjT5_S1A_jjP12ihipStream_tbEUljE_EEESV_SW_SX_S14_S18_S1A_T6_T7_T9_mT8_S1C_bDpT10_ENKUlT_T0_E_clISt17integral_constantIbLb0EES1O_IbLb1EEEEDaS1K_S1L_EUlS1K_E_NS1_11comp_targetILNS1_3genE9ELNS1_11target_archE1100ELNS1_3gpuE3ELNS1_3repE0EEENS1_30default_config_static_selectorELNS0_4arch9wavefront6targetE0EEEvSY_ ; -- Begin function _ZN7rocprim17ROCPRIM_400000_NS6detail17trampoline_kernelINS0_13select_configILj256ELj13ELNS0_17block_load_methodE3ELS4_3ELS4_3ELNS0_20block_scan_algorithmE0ELj4294967295EEENS1_25partition_config_selectorILNS1_17partition_subalgoE3EjNS0_10empty_typeEbEEZZNS1_14partition_implILS8_3ELb0ES6_jNS0_17counting_iteratorIjlEEPS9_SE_NS0_5tupleIJPjSE_EEENSF_IJSE_SE_EEES9_SG_JZNS1_25segmented_radix_sort_implINS0_14default_configELb0EPKsPsPKlPlN2at6native12_GLOBAL__N_18offset_tEEE10hipError_tPvRmT1_PNSt15iterator_traitsISY_E10value_typeET2_T3_PNSZ_IS14_E10value_typeET4_jRbjT5_S1A_jjP12ihipStream_tbEUljE_EEESV_SW_SX_S14_S18_S1A_T6_T7_T9_mT8_S1C_bDpT10_ENKUlT_T0_E_clISt17integral_constantIbLb0EES1O_IbLb1EEEEDaS1K_S1L_EUlS1K_E_NS1_11comp_targetILNS1_3genE9ELNS1_11target_archE1100ELNS1_3gpuE3ELNS1_3repE0EEENS1_30default_config_static_selectorELNS0_4arch9wavefront6targetE0EEEvSY_
	.p2align	8
	.type	_ZN7rocprim17ROCPRIM_400000_NS6detail17trampoline_kernelINS0_13select_configILj256ELj13ELNS0_17block_load_methodE3ELS4_3ELS4_3ELNS0_20block_scan_algorithmE0ELj4294967295EEENS1_25partition_config_selectorILNS1_17partition_subalgoE3EjNS0_10empty_typeEbEEZZNS1_14partition_implILS8_3ELb0ES6_jNS0_17counting_iteratorIjlEEPS9_SE_NS0_5tupleIJPjSE_EEENSF_IJSE_SE_EEES9_SG_JZNS1_25segmented_radix_sort_implINS0_14default_configELb0EPKsPsPKlPlN2at6native12_GLOBAL__N_18offset_tEEE10hipError_tPvRmT1_PNSt15iterator_traitsISY_E10value_typeET2_T3_PNSZ_IS14_E10value_typeET4_jRbjT5_S1A_jjP12ihipStream_tbEUljE_EEESV_SW_SX_S14_S18_S1A_T6_T7_T9_mT8_S1C_bDpT10_ENKUlT_T0_E_clISt17integral_constantIbLb0EES1O_IbLb1EEEEDaS1K_S1L_EUlS1K_E_NS1_11comp_targetILNS1_3genE9ELNS1_11target_archE1100ELNS1_3gpuE3ELNS1_3repE0EEENS1_30default_config_static_selectorELNS0_4arch9wavefront6targetE0EEEvSY_,@function
_ZN7rocprim17ROCPRIM_400000_NS6detail17trampoline_kernelINS0_13select_configILj256ELj13ELNS0_17block_load_methodE3ELS4_3ELS4_3ELNS0_20block_scan_algorithmE0ELj4294967295EEENS1_25partition_config_selectorILNS1_17partition_subalgoE3EjNS0_10empty_typeEbEEZZNS1_14partition_implILS8_3ELb0ES6_jNS0_17counting_iteratorIjlEEPS9_SE_NS0_5tupleIJPjSE_EEENSF_IJSE_SE_EEES9_SG_JZNS1_25segmented_radix_sort_implINS0_14default_configELb0EPKsPsPKlPlN2at6native12_GLOBAL__N_18offset_tEEE10hipError_tPvRmT1_PNSt15iterator_traitsISY_E10value_typeET2_T3_PNSZ_IS14_E10value_typeET4_jRbjT5_S1A_jjP12ihipStream_tbEUljE_EEESV_SW_SX_S14_S18_S1A_T6_T7_T9_mT8_S1C_bDpT10_ENKUlT_T0_E_clISt17integral_constantIbLb0EES1O_IbLb1EEEEDaS1K_S1L_EUlS1K_E_NS1_11comp_targetILNS1_3genE9ELNS1_11target_archE1100ELNS1_3gpuE3ELNS1_3repE0EEENS1_30default_config_static_selectorELNS0_4arch9wavefront6targetE0EEEvSY_: ; @_ZN7rocprim17ROCPRIM_400000_NS6detail17trampoline_kernelINS0_13select_configILj256ELj13ELNS0_17block_load_methodE3ELS4_3ELS4_3ELNS0_20block_scan_algorithmE0ELj4294967295EEENS1_25partition_config_selectorILNS1_17partition_subalgoE3EjNS0_10empty_typeEbEEZZNS1_14partition_implILS8_3ELb0ES6_jNS0_17counting_iteratorIjlEEPS9_SE_NS0_5tupleIJPjSE_EEENSF_IJSE_SE_EEES9_SG_JZNS1_25segmented_radix_sort_implINS0_14default_configELb0EPKsPsPKlPlN2at6native12_GLOBAL__N_18offset_tEEE10hipError_tPvRmT1_PNSt15iterator_traitsISY_E10value_typeET2_T3_PNSZ_IS14_E10value_typeET4_jRbjT5_S1A_jjP12ihipStream_tbEUljE_EEESV_SW_SX_S14_S18_S1A_T6_T7_T9_mT8_S1C_bDpT10_ENKUlT_T0_E_clISt17integral_constantIbLb0EES1O_IbLb1EEEEDaS1K_S1L_EUlS1K_E_NS1_11comp_targetILNS1_3genE9ELNS1_11target_archE1100ELNS1_3gpuE3ELNS1_3repE0EEENS1_30default_config_static_selectorELNS0_4arch9wavefront6targetE0EEEvSY_
; %bb.0:
	s_clause 0x6
	s_load_b64 s[16:17], s[0:1], 0x10
	s_load_b64 s[12:13], s[0:1], 0x28
	;; [unrolled: 1-line block ×3, first 2 shown]
	s_load_b128 s[8:11], s[0:1], 0x48
	s_load_b32 s3, s[0:1], 0x90
	s_load_b64 s[18:19], s[0:1], 0x68
	s_load_b128 s[4:7], s[0:1], 0x80
	v_cmp_eq_u32_e64 s2, 0, v0
	s_delay_alu instid0(VALU_DEP_1)
	s_and_saveexec_b32 s20, s2
	s_cbranch_execz .LBB1012_4
; %bb.1:
	s_mov_b32 s22, exec_lo
	s_mov_b32 s21, exec_lo
	v_mbcnt_lo_u32_b32 v1, s22, 0
                                        ; implicit-def: $vgpr2
	s_delay_alu instid0(VALU_DEP_1)
	v_cmpx_eq_u32_e32 0, v1
	s_cbranch_execz .LBB1012_3
; %bb.2:
	s_load_b64 s[24:25], s[0:1], 0x78
	s_bcnt1_i32_b32 s22, s22
	s_delay_alu instid0(SALU_CYCLE_1)
	v_dual_mov_b32 v2, 0 :: v_dual_mov_b32 v3, s22
	s_waitcnt lgkmcnt(0)
	global_atomic_add_u32 v2, v2, v3, s[24:25] glc
.LBB1012_3:
	s_or_b32 exec_lo, exec_lo, s21
	s_waitcnt vmcnt(0)
	v_readfirstlane_b32 s21, v2
	s_delay_alu instid0(VALU_DEP_1)
	v_dual_mov_b32 v2, 0 :: v_dual_add_nc_u32 v1, s21, v1
	ds_store_b32 v2, v1
.LBB1012_4:
	s_or_b32 exec_lo, exec_lo, s20
	v_mov_b32_e32 v1, 0
	s_clause 0x1
	s_load_b32 s20, s[0:1], 0x8
	s_load_b32 s0, s[0:1], 0x70
	s_waitcnt lgkmcnt(0)
	s_barrier
	buffer_gl0_inv
	ds_load_b32 v2, v1
	s_waitcnt lgkmcnt(0)
	s_barrier
	buffer_gl0_inv
	global_load_b64 v[18:19], v1, s[10:11]
	v_lshlrev_b32_e32 v33, 2, v0
	s_add_i32 s21, s20, s16
	s_mul_i32 s1, s0, 0xd00
	s_add_i32 s0, s0, -1
	s_add_u32 s10, s16, s1
	s_addc_u32 s11, s17, 0
	v_mul_lo_u32 v32, 0xd00, v2
	v_readfirstlane_b32 s20, v2
	v_cmp_lt_u64_e64 s11, s[10:11], s[14:15]
	v_cmp_ne_u32_e32 vcc_lo, s0, v2
	s_delay_alu instid0(VALU_DEP_3) | instskip(SKIP_1) | instid1(VALU_DEP_4)
	s_cmp_eq_u32 s20, s0
	s_cselect_b32 s10, -1, 0
	v_add3_u32 v1, v32, s21, v0
	s_delay_alu instid0(VALU_DEP_3) | instskip(SKIP_2) | instid1(VALU_DEP_1)
	s_or_b32 s0, s11, vcc_lo
	s_mov_b32 s11, -1
	s_and_b32 vcc_lo, exec_lo, s0
	v_add_nc_u32_e32 v2, 0x100, v1
	v_add_nc_u32_e32 v3, 0x200, v1
	;; [unrolled: 1-line block ×12, first 2 shown]
	s_cbranch_vccz .LBB1012_6
; %bb.5:
	ds_store_2addr_stride64_b32 v33, v1, v2 offset1:4
	ds_store_2addr_stride64_b32 v33, v3, v4 offset0:8 offset1:12
	ds_store_2addr_stride64_b32 v33, v5, v6 offset0:16 offset1:20
	;; [unrolled: 1-line block ×5, first 2 shown]
	ds_store_b32 v33, v13 offset:12288
	s_waitcnt vmcnt(0) lgkmcnt(0)
	s_mov_b32 s11, 0
	s_barrier
.LBB1012_6:
	s_and_not1_b32 vcc_lo, exec_lo, s11
	s_add_i32 s1, s1, s16
	s_cbranch_vccnz .LBB1012_8
; %bb.7:
	ds_store_2addr_stride64_b32 v33, v1, v2 offset1:4
	ds_store_2addr_stride64_b32 v33, v3, v4 offset0:8 offset1:12
	ds_store_2addr_stride64_b32 v33, v5, v6 offset0:16 offset1:20
	;; [unrolled: 1-line block ×5, first 2 shown]
	ds_store_b32 v33, v13 offset:12288
	s_waitcnt vmcnt(0) lgkmcnt(0)
	s_barrier
.LBB1012_8:
	v_mul_u32_u24_e32 v36, 13, v0
	s_waitcnt vmcnt(0)
	buffer_gl0_inv
	v_cndmask_b32_e64 v34, 0, 1, s0
	s_sub_i32 s11, s14, s1
	s_and_not1_b32 vcc_lo, exec_lo, s0
	v_lshlrev_b32_e32 v1, 2, v36
	ds_load_2addr_b32 v[30:31], v1 offset1:1
	ds_load_2addr_b32 v[28:29], v1 offset0:2 offset1:3
	ds_load_2addr_b32 v[26:27], v1 offset0:4 offset1:5
	;; [unrolled: 1-line block ×5, first 2 shown]
	ds_load_b32 v35, v1 offset:48
	s_waitcnt lgkmcnt(0)
	s_barrier
	buffer_gl0_inv
	s_cbranch_vccnz .LBB1012_10
; %bb.9:
	v_add_nc_u32_e32 v1, s5, v30
	v_add_nc_u32_e32 v2, s7, v30
	;; [unrolled: 1-line block ×5, first 2 shown]
	v_mul_lo_u32 v1, v1, s4
	v_mul_lo_u32 v2, v2, s6
	;; [unrolled: 1-line block ×4, first 2 shown]
	v_add_nc_u32_e32 v6, s7, v28
	v_add_nc_u32_e32 v7, s5, v29
	;; [unrolled: 1-line block ×3, first 2 shown]
	v_mul_lo_u32 v5, v5, s4
	v_add_nc_u32_e32 v9, s5, v24
	v_sub_nc_u32_e32 v1, v1, v2
	v_mul_lo_u32 v2, v6, s6
	v_sub_nc_u32_e32 v3, v3, v4
	v_mul_lo_u32 v4, v7, s4
	v_mul_lo_u32 v6, v8, s6
	v_add_nc_u32_e32 v7, s5, v26
	v_cmp_lt_u32_e32 vcc_lo, s3, v1
	v_add_nc_u32_e32 v8, s5, v27
	v_add_nc_u32_e32 v10, s7, v24
	v_sub_nc_u32_e32 v2, v5, v2
	v_add_nc_u32_e32 v5, s7, v26
	v_cndmask_b32_e64 v1, 0, 1, vcc_lo
	v_sub_nc_u32_e32 v4, v4, v6
	v_mul_lo_u32 v6, v7, s4
	v_add_nc_u32_e32 v7, s7, v27
	v_cmp_lt_u32_e32 vcc_lo, s3, v3
	v_mul_lo_u32 v5, v5, s6
	v_mul_lo_u32 v8, v8, s4
	;; [unrolled: 1-line block ×4, first 2 shown]
	v_cndmask_b32_e64 v3, 0, 1, vcc_lo
	v_cmp_lt_u32_e32 vcc_lo, s3, v2
	v_mul_lo_u32 v10, v10, s6
	v_add_nc_u32_e32 v11, s5, v22
	v_sub_nc_u32_e32 v5, v6, v5
	v_add_nc_u32_e32 v12, s7, v22
	v_cndmask_b32_e64 v2, 0, 1, vcc_lo
	v_sub_nc_u32_e32 v6, v8, v7
	v_add_nc_u32_e32 v7, s5, v25
	v_add_nc_u32_e32 v8, s7, v25
	v_cmp_lt_u32_e32 vcc_lo, s3, v4
	v_sub_nc_u32_e32 v9, v9, v10
	v_mul_lo_u32 v10, v11, s4
	v_mul_lo_u32 v7, v7, s4
	;; [unrolled: 1-line block ×4, first 2 shown]
	v_cndmask_b32_e64 v4, 0, 1, vcc_lo
	v_cmp_lt_u32_e32 vcc_lo, s3, v5
	v_add_nc_u32_e32 v12, s5, v23
	v_add_nc_u32_e32 v13, s7, v20
	;; [unrolled: 1-line block ×4, first 2 shown]
	v_cndmask_b32_e64 v5, 0, 1, vcc_lo
	v_cmp_lt_u32_e32 vcc_lo, s3, v6
	v_sub_nc_u32_e32 v7, v7, v8
	v_sub_nc_u32_e32 v8, v10, v11
	v_add_nc_u32_e32 v11, s7, v23
	v_mul_lo_u32 v10, v12, s4
	v_cndmask_b32_e64 v6, 0, 1, vcc_lo
	v_cmp_lt_u32_e32 vcc_lo, s3, v9
	v_add_nc_u32_e32 v12, s5, v20
	v_mul_lo_u32 v11, v11, s6
	v_mul_lo_u32 v13, v13, s6
	;; [unrolled: 1-line block ×3, first 2 shown]
	v_cndmask_b32_e64 v9, 0, 1, vcc_lo
	v_cmp_lt_u32_e32 vcc_lo, s3, v7
	v_mul_lo_u32 v12, v12, s4
	v_mul_lo_u32 v15, v15, s6
	v_lshlrev_b16 v3, 8, v3
	v_sub_nc_u32_e32 v10, v10, v11
	v_cndmask_b32_e64 v7, 0, 1, vcc_lo
	v_cmp_lt_u32_e32 vcc_lo, s3, v8
	v_add_nc_u32_e32 v11, s5, v35
	v_or_b32_e32 v1, v1, v3
	v_sub_nc_u32_e32 v12, v12, v13
	v_sub_nc_u32_e32 v13, v14, v15
	v_cndmask_b32_e64 v8, 0, 1, vcc_lo
	v_cmp_lt_u32_e32 vcc_lo, s3, v10
	v_add_nc_u32_e32 v16, s7, v35
	v_mul_lo_u32 v11, v11, s4
	v_lshlrev_b16 v4, 8, v4
	v_lshlrev_b16 v6, 8, v6
	v_cndmask_b32_e64 v10, 0, 1, vcc_lo
	v_cmp_lt_u32_e32 vcc_lo, s3, v12
	v_mul_lo_u32 v14, v16, s6
	v_lshlrev_b16 v7, 8, v7
	v_or_b32_e32 v2, v2, v4
	v_lshlrev_b16 v10, 8, v10
	v_cndmask_b32_e64 v3, 0, 1, vcc_lo
	v_cmp_lt_u32_e32 vcc_lo, s3, v13
	v_or_b32_e32 v4, v5, v6
	v_or_b32_e32 v5, v9, v7
	v_sub_nc_u32_e32 v11, v11, v14
	v_or_b32_e32 v6, v8, v10
	v_cndmask_b32_e64 v12, 0, 1, vcc_lo
	v_and_b32_e32 v1, 0xffff, v1
	v_lshlrev_b32_e32 v2, 16, v2
	v_and_b32_e32 v4, 0xffff, v4
	v_lshlrev_b32_e32 v5, 16, v5
	v_lshlrev_b16 v12, 8, v12
	v_and_b32_e32 v6, 0xffff, v6
	v_cmp_lt_u32_e32 vcc_lo, s3, v11
	v_or_b32_e32 v42, v1, v2
	v_or_b32_e32 v40, v4, v5
	;; [unrolled: 1-line block ×3, first 2 shown]
	v_cndmask_b32_e64 v37, 0, 1, vcc_lo
	s_delay_alu instid0(VALU_DEP_2) | instskip(NEXT) | instid1(VALU_DEP_1)
	v_lshlrev_b32_e32 v3, 16, v3
	v_or_b32_e32 v38, v6, v3
	s_addk_i32 s11, 0xd00
	s_cbranch_execz .LBB1012_11
	s_branch .LBB1012_38
.LBB1012_10:
                                        ; implicit-def: $vgpr37
                                        ; implicit-def: $vgpr38
                                        ; implicit-def: $vgpr40
                                        ; implicit-def: $vgpr42
	s_addk_i32 s11, 0xd00
.LBB1012_11:
	v_dual_mov_b32 v2, 0 :: v_dual_mov_b32 v1, 0
	s_mov_b32 s0, exec_lo
	v_cmpx_gt_u32_e64 s11, v36
; %bb.12:
	v_add_nc_u32_e32 v1, s5, v30
	v_add_nc_u32_e32 v3, s7, v30
	s_delay_alu instid0(VALU_DEP_2) | instskip(NEXT) | instid1(VALU_DEP_2)
	v_mul_lo_u32 v1, v1, s4
	v_mul_lo_u32 v3, v3, s6
	s_delay_alu instid0(VALU_DEP_1) | instskip(NEXT) | instid1(VALU_DEP_1)
	v_sub_nc_u32_e32 v1, v1, v3
	v_cmp_lt_u32_e32 vcc_lo, s3, v1
	v_cndmask_b32_e64 v1, 0, 1, vcc_lo
; %bb.13:
	s_or_b32 exec_lo, exec_lo, s0
	v_add_nc_u32_e32 v3, 1, v36
	s_mov_b32 s0, exec_lo
	s_delay_alu instid0(VALU_DEP_1)
	v_cmpx_gt_u32_e64 s11, v3
; %bb.14:
	v_add_nc_u32_e32 v2, s5, v31
	v_add_nc_u32_e32 v3, s7, v31
	s_delay_alu instid0(VALU_DEP_2) | instskip(NEXT) | instid1(VALU_DEP_2)
	v_mul_lo_u32 v2, v2, s4
	v_mul_lo_u32 v3, v3, s6
	s_delay_alu instid0(VALU_DEP_1) | instskip(NEXT) | instid1(VALU_DEP_1)
	v_sub_nc_u32_e32 v2, v2, v3
	v_cmp_lt_u32_e32 vcc_lo, s3, v2
	v_cndmask_b32_e64 v2, 0, 1, vcc_lo
; %bb.15:
	s_or_b32 exec_lo, exec_lo, s0
	v_dual_mov_b32 v4, 0 :: v_dual_add_nc_u32 v3, 2, v36
	s_delay_alu instid0(VALU_DEP_1)
	v_cmp_gt_u32_e32 vcc_lo, s11, v3
	v_mov_b32_e32 v3, 0
	s_and_saveexec_b32 s0, vcc_lo
; %bb.16:
	v_add_nc_u32_e32 v3, s5, v28
	v_add_nc_u32_e32 v5, s7, v28
	s_delay_alu instid0(VALU_DEP_2) | instskip(NEXT) | instid1(VALU_DEP_2)
	v_mul_lo_u32 v3, v3, s4
	v_mul_lo_u32 v5, v5, s6
	s_delay_alu instid0(VALU_DEP_1) | instskip(NEXT) | instid1(VALU_DEP_1)
	v_sub_nc_u32_e32 v3, v3, v5
	v_cmp_lt_u32_e32 vcc_lo, s3, v3
	v_cndmask_b32_e64 v3, 0, 1, vcc_lo
; %bb.17:
	s_or_b32 exec_lo, exec_lo, s0
	v_add_nc_u32_e32 v5, 3, v36
	s_mov_b32 s0, exec_lo
	s_delay_alu instid0(VALU_DEP_1)
	v_cmpx_gt_u32_e64 s11, v5
; %bb.18:
	v_add_nc_u32_e32 v4, s5, v29
	v_add_nc_u32_e32 v5, s7, v29
	s_delay_alu instid0(VALU_DEP_2) | instskip(NEXT) | instid1(VALU_DEP_2)
	v_mul_lo_u32 v4, v4, s4
	v_mul_lo_u32 v5, v5, s6
	s_delay_alu instid0(VALU_DEP_1) | instskip(NEXT) | instid1(VALU_DEP_1)
	v_sub_nc_u32_e32 v4, v4, v5
	v_cmp_lt_u32_e32 vcc_lo, s3, v4
	v_cndmask_b32_e64 v4, 0, 1, vcc_lo
; %bb.19:
	s_or_b32 exec_lo, exec_lo, s0
	v_dual_mov_b32 v6, 0 :: v_dual_add_nc_u32 v5, 4, v36
	s_delay_alu instid0(VALU_DEP_1)
	v_cmp_gt_u32_e32 vcc_lo, s11, v5
	v_mov_b32_e32 v5, 0
	s_and_saveexec_b32 s0, vcc_lo
	;; [unrolled: 33-line block ×5, first 2 shown]
; %bb.32:
	v_add_nc_u32_e32 v11, s5, v20
	v_add_nc_u32_e32 v13, s7, v20
	s_delay_alu instid0(VALU_DEP_2) | instskip(NEXT) | instid1(VALU_DEP_2)
	v_mul_lo_u32 v11, v11, s4
	v_mul_lo_u32 v13, v13, s6
	s_delay_alu instid0(VALU_DEP_1) | instskip(NEXT) | instid1(VALU_DEP_1)
	v_sub_nc_u32_e32 v11, v11, v13
	v_cmp_lt_u32_e32 vcc_lo, s3, v11
	v_cndmask_b32_e64 v11, 0, 1, vcc_lo
; %bb.33:
	s_or_b32 exec_lo, exec_lo, s0
	v_add_nc_u32_e32 v13, 11, v36
	s_mov_b32 s0, exec_lo
	s_delay_alu instid0(VALU_DEP_1)
	v_cmpx_gt_u32_e64 s11, v13
; %bb.34:
	v_add_nc_u32_e32 v12, s5, v21
	v_add_nc_u32_e32 v13, s7, v21
	s_delay_alu instid0(VALU_DEP_2) | instskip(NEXT) | instid1(VALU_DEP_2)
	v_mul_lo_u32 v12, v12, s4
	v_mul_lo_u32 v13, v13, s6
	s_delay_alu instid0(VALU_DEP_1) | instskip(NEXT) | instid1(VALU_DEP_1)
	v_sub_nc_u32_e32 v12, v12, v13
	v_cmp_lt_u32_e32 vcc_lo, s3, v12
	v_cndmask_b32_e64 v12, 0, 1, vcc_lo
; %bb.35:
	s_or_b32 exec_lo, exec_lo, s0
	v_add_nc_u32_e32 v13, 12, v36
	v_mov_b32_e32 v37, 0
	s_mov_b32 s0, exec_lo
	s_delay_alu instid0(VALU_DEP_2)
	v_cmpx_gt_u32_e64 s11, v13
; %bb.36:
	v_add_nc_u32_e32 v13, s5, v35
	v_add_nc_u32_e32 v14, s7, v35
	s_delay_alu instid0(VALU_DEP_2) | instskip(NEXT) | instid1(VALU_DEP_2)
	v_mul_lo_u32 v13, v13, s4
	v_mul_lo_u32 v14, v14, s6
	s_delay_alu instid0(VALU_DEP_1) | instskip(NEXT) | instid1(VALU_DEP_1)
	v_sub_nc_u32_e32 v13, v13, v14
	v_cmp_lt_u32_e32 vcc_lo, s3, v13
	v_cndmask_b32_e64 v37, 0, 1, vcc_lo
; %bb.37:
	s_or_b32 exec_lo, exec_lo, s0
	v_lshlrev_b16 v2, 8, v2
	v_lshlrev_b16 v4, 8, v4
	;; [unrolled: 1-line block ×5, first 2 shown]
	v_or_b32_e32 v1, v1, v2
	v_lshlrev_b16 v2, 8, v12
	v_or_b32_e32 v3, v3, v4
	v_or_b32_e32 v4, v5, v6
	;; [unrolled: 1-line block ×5, first 2 shown]
	v_and_b32_e32 v1, 0xffff, v1
	v_lshlrev_b32_e32 v3, 16, v3
	v_and_b32_e32 v4, 0xffff, v4
	v_lshlrev_b32_e32 v5, 16, v5
	;; [unrolled: 2-line block ×3, first 2 shown]
	v_or_b32_e32 v42, v1, v3
	s_delay_alu instid0(VALU_DEP_4) | instskip(NEXT) | instid1(VALU_DEP_3)
	v_or_b32_e32 v40, v4, v5
	v_or_b32_e32 v38, v6, v2
.LBB1012_38:
	s_delay_alu instid0(VALU_DEP_3)
	v_and_b32_e32 v44, 0xff, v42
	v_bfe_u32 v45, v42, 8, 8
	v_bfe_u32 v46, v42, 16, 8
	v_lshrrev_b32_e32 v43, 24, v42
	v_and_b32_e32 v47, 0xff, v40
	v_bfe_u32 v48, v40, 8, 8
	v_bfe_u32 v49, v40, 16, 8
	v_add3_u32 v1, v45, v44, v46
	v_lshrrev_b32_e32 v41, 24, v40
	v_and_b32_e32 v50, 0xff, v38
	v_bfe_u32 v51, v38, 8, 8
	v_mbcnt_lo_u32_b32 v53, -1, 0
	v_add3_u32 v1, v1, v43, v47
	v_bfe_u32 v52, v38, 16, 8
	v_lshrrev_b32_e32 v39, 24, v38
	v_and_b32_e32 v2, 0xff, v37
	v_and_b32_e32 v3, 15, v53
	v_add3_u32 v1, v1, v48, v49
	v_or_b32_e32 v4, 31, v0
	v_and_b32_e32 v5, 16, v53
	v_lshrrev_b32_e32 v54, 5, v0
	v_cmp_eq_u32_e64 s6, 0, v3
	v_add3_u32 v1, v1, v41, v50
	v_cmp_lt_u32_e64 s5, 1, v3
	v_cmp_lt_u32_e64 s4, 3, v3
	;; [unrolled: 1-line block ×3, first 2 shown]
	v_cmp_eq_u32_e64 s1, 0, v5
	v_add3_u32 v1, v1, v51, v52
	v_cmp_eq_u32_e64 s0, v4, v0
	s_cmp_lg_u32 s20, 0
	s_mov_b32 s7, -1
	s_delay_alu instid0(VALU_DEP_2)
	v_add3_u32 v55, v1, v39, v2
	s_cbranch_scc0 .LBB1012_64
; %bb.39:
	s_delay_alu instid0(VALU_DEP_1) | instskip(NEXT) | instid1(VALU_DEP_1)
	v_mov_b32_dpp v1, v55 row_shr:1 row_mask:0xf bank_mask:0xf
	v_cndmask_b32_e64 v1, v1, 0, s6
	s_delay_alu instid0(VALU_DEP_1) | instskip(NEXT) | instid1(VALU_DEP_1)
	v_add_nc_u32_e32 v1, v1, v55
	v_mov_b32_dpp v2, v1 row_shr:2 row_mask:0xf bank_mask:0xf
	s_delay_alu instid0(VALU_DEP_1) | instskip(NEXT) | instid1(VALU_DEP_1)
	v_cndmask_b32_e64 v2, 0, v2, s5
	v_add_nc_u32_e32 v1, v1, v2
	s_delay_alu instid0(VALU_DEP_1) | instskip(NEXT) | instid1(VALU_DEP_1)
	v_mov_b32_dpp v2, v1 row_shr:4 row_mask:0xf bank_mask:0xf
	v_cndmask_b32_e64 v2, 0, v2, s4
	s_delay_alu instid0(VALU_DEP_1) | instskip(NEXT) | instid1(VALU_DEP_1)
	v_add_nc_u32_e32 v1, v1, v2
	v_mov_b32_dpp v2, v1 row_shr:8 row_mask:0xf bank_mask:0xf
	s_delay_alu instid0(VALU_DEP_1) | instskip(NEXT) | instid1(VALU_DEP_1)
	v_cndmask_b32_e64 v2, 0, v2, s3
	v_add_nc_u32_e32 v1, v1, v2
	ds_swizzle_b32 v2, v1 offset:swizzle(BROADCAST,32,15)
	s_waitcnt lgkmcnt(0)
	v_cndmask_b32_e64 v2, v2, 0, s1
	s_delay_alu instid0(VALU_DEP_1)
	v_add_nc_u32_e32 v1, v1, v2
	s_and_saveexec_b32 s7, s0
	s_cbranch_execz .LBB1012_41
; %bb.40:
	v_lshlrev_b32_e32 v2, 2, v54
	ds_store_b32 v2, v1
.LBB1012_41:
	s_or_b32 exec_lo, exec_lo, s7
	s_delay_alu instid0(SALU_CYCLE_1)
	s_mov_b32 s7, exec_lo
	s_waitcnt lgkmcnt(0)
	s_barrier
	buffer_gl0_inv
	v_cmpx_gt_u32_e32 8, v0
	s_cbranch_execz .LBB1012_43
; %bb.42:
	ds_load_b32 v2, v33
	s_waitcnt lgkmcnt(0)
	v_mov_b32_dpp v4, v2 row_shr:1 row_mask:0xf bank_mask:0xf
	v_and_b32_e32 v3, 7, v53
	s_delay_alu instid0(VALU_DEP_1) | instskip(NEXT) | instid1(VALU_DEP_3)
	v_cmp_ne_u32_e32 vcc_lo, 0, v3
	v_cndmask_b32_e32 v4, 0, v4, vcc_lo
	v_cmp_lt_u32_e32 vcc_lo, 1, v3
	s_delay_alu instid0(VALU_DEP_2) | instskip(NEXT) | instid1(VALU_DEP_1)
	v_add_nc_u32_e32 v2, v4, v2
	v_mov_b32_dpp v4, v2 row_shr:2 row_mask:0xf bank_mask:0xf
	s_delay_alu instid0(VALU_DEP_1) | instskip(SKIP_1) | instid1(VALU_DEP_2)
	v_cndmask_b32_e32 v4, 0, v4, vcc_lo
	v_cmp_lt_u32_e32 vcc_lo, 3, v3
	v_add_nc_u32_e32 v2, v2, v4
	s_delay_alu instid0(VALU_DEP_1) | instskip(NEXT) | instid1(VALU_DEP_1)
	v_mov_b32_dpp v4, v2 row_shr:4 row_mask:0xf bank_mask:0xf
	v_cndmask_b32_e32 v3, 0, v4, vcc_lo
	s_delay_alu instid0(VALU_DEP_1)
	v_add_nc_u32_e32 v2, v2, v3
	ds_store_b32 v33, v2
.LBB1012_43:
	s_or_b32 exec_lo, exec_lo, s7
	v_cmp_gt_u32_e32 vcc_lo, 32, v0
	s_mov_b32 s21, exec_lo
	s_waitcnt lgkmcnt(0)
	s_barrier
	buffer_gl0_inv
                                        ; implicit-def: $vgpr8
	v_cmpx_lt_u32_e32 31, v0
	s_cbranch_execz .LBB1012_45
; %bb.44:
	v_lshl_add_u32 v2, v54, 2, -4
	ds_load_b32 v8, v2
	s_waitcnt lgkmcnt(0)
	v_add_nc_u32_e32 v1, v8, v1
.LBB1012_45:
	s_or_b32 exec_lo, exec_lo, s21
	v_add_nc_u32_e32 v2, -1, v53
	s_delay_alu instid0(VALU_DEP_1) | instskip(NEXT) | instid1(VALU_DEP_1)
	v_cmp_gt_i32_e64 s7, 0, v2
	v_cndmask_b32_e64 v2, v2, v53, s7
	v_cmp_eq_u32_e64 s7, 0, v53
	s_delay_alu instid0(VALU_DEP_2)
	v_lshlrev_b32_e32 v2, 2, v2
	ds_bpermute_b32 v9, v2, v1
	s_and_saveexec_b32 s21, vcc_lo
	s_cbranch_execz .LBB1012_63
; %bb.46:
	v_mov_b32_e32 v4, 0
	ds_load_b32 v1, v4 offset:28
	s_and_saveexec_b32 s22, s7
	s_cbranch_execz .LBB1012_48
; %bb.47:
	s_add_i32 s24, s20, 32
	s_mov_b32 s25, 0
	v_mov_b32_e32 v2, 1
	s_lshl_b64 s[24:25], s[24:25], 3
	s_delay_alu instid0(SALU_CYCLE_1)
	s_add_u32 s24, s18, s24
	s_addc_u32 s25, s19, s25
	s_waitcnt lgkmcnt(0)
	global_store_b64 v4, v[1:2], s[24:25]
.LBB1012_48:
	s_or_b32 exec_lo, exec_lo, s22
	v_xad_u32 v2, v53, -1, s20
	s_mov_b32 s23, 0
	s_mov_b32 s22, exec_lo
	s_delay_alu instid0(VALU_DEP_1) | instskip(NEXT) | instid1(VALU_DEP_1)
	v_add_nc_u32_e32 v3, 32, v2
	v_lshlrev_b64 v[3:4], 3, v[3:4]
	s_delay_alu instid0(VALU_DEP_1) | instskip(NEXT) | instid1(VALU_DEP_2)
	v_add_co_u32 v6, vcc_lo, s18, v3
	v_add_co_ci_u32_e32 v7, vcc_lo, s19, v4, vcc_lo
	global_load_b64 v[4:5], v[6:7], off glc
	s_waitcnt vmcnt(0)
	v_and_b32_e32 v3, 0xff, v5
	s_delay_alu instid0(VALU_DEP_1)
	v_cmpx_eq_u16_e32 0, v3
	s_cbranch_execz .LBB1012_51
.LBB1012_49:                            ; =>This Inner Loop Header: Depth=1
	global_load_b64 v[4:5], v[6:7], off glc
	s_waitcnt vmcnt(0)
	v_and_b32_e32 v3, 0xff, v5
	s_delay_alu instid0(VALU_DEP_1) | instskip(SKIP_1) | instid1(SALU_CYCLE_1)
	v_cmp_ne_u16_e32 vcc_lo, 0, v3
	s_or_b32 s23, vcc_lo, s23
	s_and_not1_b32 exec_lo, exec_lo, s23
	s_cbranch_execnz .LBB1012_49
; %bb.50:
	s_or_b32 exec_lo, exec_lo, s23
.LBB1012_51:
	s_delay_alu instid0(SALU_CYCLE_1)
	s_or_b32 exec_lo, exec_lo, s22
	v_cmp_ne_u32_e32 vcc_lo, 31, v53
	v_lshlrev_b32_e64 v11, v53, -1
	v_add_nc_u32_e32 v13, 2, v53
	v_add_nc_u32_e32 v15, 4, v53
	v_add_nc_u32_e32 v56, 8, v53
	v_add_co_ci_u32_e32 v3, vcc_lo, 0, v53, vcc_lo
	v_add_nc_u32_e32 v58, 16, v53
	s_delay_alu instid0(VALU_DEP_2) | instskip(SKIP_2) | instid1(VALU_DEP_1)
	v_lshlrev_b32_e32 v10, 2, v3
	ds_bpermute_b32 v6, v10, v4
	v_and_b32_e32 v3, 0xff, v5
	v_cmp_eq_u16_e32 vcc_lo, 2, v3
	v_and_or_b32 v3, vcc_lo, v11, 0x80000000
	v_cmp_gt_u32_e32 vcc_lo, 30, v53
	s_delay_alu instid0(VALU_DEP_2) | instskip(SKIP_1) | instid1(VALU_DEP_2)
	v_ctz_i32_b32_e32 v3, v3
	v_cndmask_b32_e64 v7, 0, 1, vcc_lo
	v_cmp_lt_u32_e32 vcc_lo, v53, v3
	s_waitcnt lgkmcnt(0)
	s_delay_alu instid0(VALU_DEP_2) | instskip(NEXT) | instid1(VALU_DEP_1)
	v_dual_cndmask_b32 v6, 0, v6 :: v_dual_lshlrev_b32 v7, 1, v7
	v_add_lshl_u32 v12, v7, v53, 2
	v_cmp_gt_u32_e32 vcc_lo, 28, v53
	s_delay_alu instid0(VALU_DEP_3) | instskip(SKIP_4) | instid1(VALU_DEP_1)
	v_add_nc_u32_e32 v4, v6, v4
	v_cndmask_b32_e64 v7, 0, 1, vcc_lo
	v_cmp_le_u32_e32 vcc_lo, v13, v3
	ds_bpermute_b32 v6, v12, v4
	v_lshlrev_b32_e32 v7, 2, v7
	v_add_lshl_u32 v14, v7, v53, 2
	s_waitcnt lgkmcnt(0)
	v_cndmask_b32_e32 v6, 0, v6, vcc_lo
	v_cmp_gt_u32_e32 vcc_lo, 24, v53
	s_delay_alu instid0(VALU_DEP_2) | instskip(SKIP_4) | instid1(VALU_DEP_1)
	v_add_nc_u32_e32 v4, v4, v6
	v_cndmask_b32_e64 v7, 0, 1, vcc_lo
	v_cmp_le_u32_e32 vcc_lo, v15, v3
	ds_bpermute_b32 v6, v14, v4
	v_lshlrev_b32_e32 v7, 3, v7
	v_add_lshl_u32 v17, v7, v53, 2
	s_waitcnt lgkmcnt(0)
	v_cndmask_b32_e32 v6, 0, v6, vcc_lo
	v_cmp_gt_u32_e32 vcc_lo, 16, v53
	s_delay_alu instid0(VALU_DEP_2) | instskip(SKIP_4) | instid1(VALU_DEP_1)
	v_add_nc_u32_e32 v4, v4, v6
	v_cndmask_b32_e64 v7, 0, 1, vcc_lo
	v_cmp_le_u32_e32 vcc_lo, v56, v3
	ds_bpermute_b32 v6, v17, v4
	v_lshlrev_b32_e32 v7, 4, v7
	v_add_lshl_u32 v57, v7, v53, 2
	s_waitcnt lgkmcnt(0)
	v_cndmask_b32_e32 v6, 0, v6, vcc_lo
	v_cmp_le_u32_e32 vcc_lo, v58, v3
	s_delay_alu instid0(VALU_DEP_2) | instskip(SKIP_3) | instid1(VALU_DEP_1)
	v_add_nc_u32_e32 v4, v4, v6
	ds_bpermute_b32 v6, v57, v4
	s_waitcnt lgkmcnt(0)
	v_cndmask_b32_e32 v3, 0, v6, vcc_lo
	v_dual_mov_b32 v3, 0 :: v_dual_add_nc_u32 v4, v4, v3
	s_branch .LBB1012_53
.LBB1012_52:                            ;   in Loop: Header=BB1012_53 Depth=1
	s_or_b32 exec_lo, exec_lo, s22
	ds_bpermute_b32 v7, v10, v4
	v_and_b32_e32 v6, 0xff, v5
	v_subrev_nc_u32_e32 v2, 32, v2
	s_delay_alu instid0(VALU_DEP_2) | instskip(SKIP_1) | instid1(VALU_DEP_1)
	v_cmp_eq_u16_e32 vcc_lo, 2, v6
	v_and_or_b32 v6, vcc_lo, v11, 0x80000000
	v_ctz_i32_b32_e32 v6, v6
	s_delay_alu instid0(VALU_DEP_1) | instskip(SKIP_3) | instid1(VALU_DEP_2)
	v_cmp_lt_u32_e32 vcc_lo, v53, v6
	s_waitcnt lgkmcnt(0)
	v_cndmask_b32_e32 v7, 0, v7, vcc_lo
	v_cmp_le_u32_e32 vcc_lo, v13, v6
	v_add_nc_u32_e32 v4, v7, v4
	ds_bpermute_b32 v7, v12, v4
	s_waitcnt lgkmcnt(0)
	v_cndmask_b32_e32 v7, 0, v7, vcc_lo
	v_cmp_le_u32_e32 vcc_lo, v15, v6
	s_delay_alu instid0(VALU_DEP_2) | instskip(SKIP_4) | instid1(VALU_DEP_2)
	v_add_nc_u32_e32 v4, v4, v7
	ds_bpermute_b32 v7, v14, v4
	s_waitcnt lgkmcnt(0)
	v_cndmask_b32_e32 v7, 0, v7, vcc_lo
	v_cmp_le_u32_e32 vcc_lo, v56, v6
	v_add_nc_u32_e32 v4, v4, v7
	ds_bpermute_b32 v7, v17, v4
	s_waitcnt lgkmcnt(0)
	v_cndmask_b32_e32 v7, 0, v7, vcc_lo
	v_cmp_le_u32_e32 vcc_lo, v58, v6
	s_delay_alu instid0(VALU_DEP_2) | instskip(SKIP_3) | instid1(VALU_DEP_1)
	v_add_nc_u32_e32 v4, v4, v7
	ds_bpermute_b32 v7, v57, v4
	s_waitcnt lgkmcnt(0)
	v_cndmask_b32_e32 v6, 0, v7, vcc_lo
	v_add3_u32 v4, v6, v16, v4
.LBB1012_53:                            ; =>This Loop Header: Depth=1
                                        ;     Child Loop BB1012_56 Depth 2
	s_delay_alu instid0(VALU_DEP_1) | instskip(NEXT) | instid1(VALU_DEP_1)
	v_dual_mov_b32 v16, v4 :: v_dual_and_b32 v5, 0xff, v5
	v_cmp_ne_u16_e32 vcc_lo, 2, v5
	v_cndmask_b32_e64 v5, 0, 1, vcc_lo
	;;#ASMSTART
	;;#ASMEND
	s_delay_alu instid0(VALU_DEP_1)
	v_cmp_ne_u32_e32 vcc_lo, 0, v5
	s_cmp_lg_u32 vcc_lo, exec_lo
	s_cbranch_scc1 .LBB1012_58
; %bb.54:                               ;   in Loop: Header=BB1012_53 Depth=1
	v_lshlrev_b64 v[4:5], 3, v[2:3]
	s_mov_b32 s22, exec_lo
	s_delay_alu instid0(VALU_DEP_1) | instskip(NEXT) | instid1(VALU_DEP_2)
	v_add_co_u32 v6, vcc_lo, s18, v4
	v_add_co_ci_u32_e32 v7, vcc_lo, s19, v5, vcc_lo
	global_load_b64 v[4:5], v[6:7], off glc
	s_waitcnt vmcnt(0)
	v_and_b32_e32 v59, 0xff, v5
	s_delay_alu instid0(VALU_DEP_1)
	v_cmpx_eq_u16_e32 0, v59
	s_cbranch_execz .LBB1012_52
; %bb.55:                               ;   in Loop: Header=BB1012_53 Depth=1
	s_mov_b32 s23, 0
.LBB1012_56:                            ;   Parent Loop BB1012_53 Depth=1
                                        ; =>  This Inner Loop Header: Depth=2
	global_load_b64 v[4:5], v[6:7], off glc
	s_waitcnt vmcnt(0)
	v_and_b32_e32 v59, 0xff, v5
	s_delay_alu instid0(VALU_DEP_1) | instskip(SKIP_1) | instid1(SALU_CYCLE_1)
	v_cmp_ne_u16_e32 vcc_lo, 0, v59
	s_or_b32 s23, vcc_lo, s23
	s_and_not1_b32 exec_lo, exec_lo, s23
	s_cbranch_execnz .LBB1012_56
; %bb.57:                               ;   in Loop: Header=BB1012_53 Depth=1
	s_or_b32 exec_lo, exec_lo, s23
	s_branch .LBB1012_52
.LBB1012_58:                            ;   in Loop: Header=BB1012_53 Depth=1
                                        ; implicit-def: $vgpr4
                                        ; implicit-def: $vgpr5
	s_cbranch_execz .LBB1012_53
; %bb.59:
	s_and_saveexec_b32 s22, s7
	s_cbranch_execz .LBB1012_61
; %bb.60:
	s_add_i32 s24, s20, 32
	s_mov_b32 s25, 0
	v_dual_mov_b32 v3, 2 :: v_dual_add_nc_u32 v2, v16, v1
	s_lshl_b64 s[24:25], s[24:25], 3
	v_mov_b32_e32 v4, 0
	v_add_nc_u32_e64 v5, 0x3400, 0
	s_add_u32 s24, s18, s24
	s_addc_u32 s25, s19, s25
	global_store_b64 v4, v[2:3], s[24:25]
	ds_store_2addr_b32 v5, v1, v16 offset1:2
.LBB1012_61:
	s_or_b32 exec_lo, exec_lo, s22
	s_delay_alu instid0(SALU_CYCLE_1)
	s_and_b32 exec_lo, exec_lo, s2
	s_cbranch_execz .LBB1012_63
; %bb.62:
	v_mov_b32_e32 v1, 0
	ds_store_b32 v1, v16 offset:28
.LBB1012_63:
	s_or_b32 exec_lo, exec_lo, s21
	v_mov_b32_e32 v1, 0
	s_waitcnt lgkmcnt(0)
	s_waitcnt_vscnt null, 0x0
	s_barrier
	buffer_gl0_inv
	v_cndmask_b32_e64 v2, v9, v8, s7
	ds_load_b32 v1, v1 offset:28
	v_add_nc_u32_e64 v11, 0x3400, 0
	s_waitcnt lgkmcnt(0)
	s_barrier
	v_cndmask_b32_e64 v2, v2, 0, s2
	buffer_gl0_inv
	ds_load_2addr_b32 v[16:17], v11 offset1:2
	v_add_nc_u32_e32 v1, v1, v2
	s_delay_alu instid0(VALU_DEP_1) | instskip(NEXT) | instid1(VALU_DEP_1)
	v_add_nc_u32_e32 v2, v1, v44
	v_add_nc_u32_e32 v3, v2, v45
	s_delay_alu instid0(VALU_DEP_1) | instskip(NEXT) | instid1(VALU_DEP_1)
	v_add_nc_u32_e32 v4, v3, v46
	v_add_nc_u32_e32 v5, v4, v43
	s_delay_alu instid0(VALU_DEP_1) | instskip(NEXT) | instid1(VALU_DEP_1)
	v_add_nc_u32_e32 v6, v5, v47
	v_add_nc_u32_e32 v7, v6, v48
	s_delay_alu instid0(VALU_DEP_1) | instskip(NEXT) | instid1(VALU_DEP_1)
	v_add_nc_u32_e32 v8, v7, v49
	v_add_nc_u32_e32 v9, v8, v41
	s_delay_alu instid0(VALU_DEP_1) | instskip(NEXT) | instid1(VALU_DEP_1)
	v_add_nc_u32_e32 v10, v9, v50
	v_add_nc_u32_e32 v11, v10, v51
	s_delay_alu instid0(VALU_DEP_1) | instskip(NEXT) | instid1(VALU_DEP_1)
	v_add_nc_u32_e32 v12, v11, v52
	v_add_nc_u32_e32 v13, v12, v39
	s_branch .LBB1012_74
.LBB1012_64:
                                        ; implicit-def: $vgpr17
                                        ; implicit-def: $vgpr1_vgpr2_vgpr3_vgpr4_vgpr5_vgpr6_vgpr7_vgpr8_vgpr9_vgpr10_vgpr11_vgpr12_vgpr13_vgpr14_vgpr15_vgpr16
	s_and_b32 vcc_lo, exec_lo, s7
	s_cbranch_vccz .LBB1012_74
; %bb.65:
	s_delay_alu instid0(VALU_DEP_1) | instskip(NEXT) | instid1(VALU_DEP_1)
	v_mov_b32_dpp v1, v55 row_shr:1 row_mask:0xf bank_mask:0xf
	v_cndmask_b32_e64 v1, v1, 0, s6
	s_delay_alu instid0(VALU_DEP_1) | instskip(NEXT) | instid1(VALU_DEP_1)
	v_add_nc_u32_e32 v1, v1, v55
	v_mov_b32_dpp v2, v1 row_shr:2 row_mask:0xf bank_mask:0xf
	s_delay_alu instid0(VALU_DEP_1) | instskip(NEXT) | instid1(VALU_DEP_1)
	v_cndmask_b32_e64 v2, 0, v2, s5
	v_add_nc_u32_e32 v1, v1, v2
	s_delay_alu instid0(VALU_DEP_1) | instskip(NEXT) | instid1(VALU_DEP_1)
	v_mov_b32_dpp v2, v1 row_shr:4 row_mask:0xf bank_mask:0xf
	v_cndmask_b32_e64 v2, 0, v2, s4
	s_delay_alu instid0(VALU_DEP_1) | instskip(NEXT) | instid1(VALU_DEP_1)
	v_add_nc_u32_e32 v1, v1, v2
	v_mov_b32_dpp v2, v1 row_shr:8 row_mask:0xf bank_mask:0xf
	s_delay_alu instid0(VALU_DEP_1) | instskip(NEXT) | instid1(VALU_DEP_1)
	v_cndmask_b32_e64 v2, 0, v2, s3
	v_add_nc_u32_e32 v1, v1, v2
	ds_swizzle_b32 v2, v1 offset:swizzle(BROADCAST,32,15)
	s_waitcnt lgkmcnt(0)
	v_cndmask_b32_e64 v2, v2, 0, s1
	s_delay_alu instid0(VALU_DEP_1)
	v_add_nc_u32_e32 v1, v1, v2
	s_and_saveexec_b32 s1, s0
	s_cbranch_execz .LBB1012_67
; %bb.66:
	v_lshlrev_b32_e32 v2, 2, v54
	ds_store_b32 v2, v1
.LBB1012_67:
	s_or_b32 exec_lo, exec_lo, s1
	s_delay_alu instid0(SALU_CYCLE_1)
	s_mov_b32 s0, exec_lo
	s_waitcnt lgkmcnt(0)
	s_barrier
	buffer_gl0_inv
	v_cmpx_gt_u32_e32 8, v0
	s_cbranch_execz .LBB1012_69
; %bb.68:
	ds_load_b32 v2, v33
	s_waitcnt lgkmcnt(0)
	v_mov_b32_dpp v4, v2 row_shr:1 row_mask:0xf bank_mask:0xf
	v_and_b32_e32 v3, 7, v53
	s_delay_alu instid0(VALU_DEP_1) | instskip(NEXT) | instid1(VALU_DEP_3)
	v_cmp_ne_u32_e32 vcc_lo, 0, v3
	v_cndmask_b32_e32 v4, 0, v4, vcc_lo
	v_cmp_lt_u32_e32 vcc_lo, 1, v3
	s_delay_alu instid0(VALU_DEP_2) | instskip(NEXT) | instid1(VALU_DEP_1)
	v_add_nc_u32_e32 v2, v4, v2
	v_mov_b32_dpp v4, v2 row_shr:2 row_mask:0xf bank_mask:0xf
	s_delay_alu instid0(VALU_DEP_1) | instskip(SKIP_1) | instid1(VALU_DEP_2)
	v_cndmask_b32_e32 v4, 0, v4, vcc_lo
	v_cmp_lt_u32_e32 vcc_lo, 3, v3
	v_add_nc_u32_e32 v2, v2, v4
	s_delay_alu instid0(VALU_DEP_1) | instskip(NEXT) | instid1(VALU_DEP_1)
	v_mov_b32_dpp v4, v2 row_shr:4 row_mask:0xf bank_mask:0xf
	v_cndmask_b32_e32 v3, 0, v4, vcc_lo
	s_delay_alu instid0(VALU_DEP_1)
	v_add_nc_u32_e32 v2, v2, v3
	ds_store_b32 v33, v2
.LBB1012_69:
	s_or_b32 exec_lo, exec_lo, s0
	v_dual_mov_b32 v3, 0 :: v_dual_mov_b32 v2, 0
	s_mov_b32 s0, exec_lo
	s_waitcnt lgkmcnt(0)
	s_barrier
	buffer_gl0_inv
	v_cmpx_lt_u32_e32 31, v0
	s_cbranch_execz .LBB1012_71
; %bb.70:
	v_lshl_add_u32 v2, v54, 2, -4
	ds_load_b32 v2, v2
.LBB1012_71:
	s_or_b32 exec_lo, exec_lo, s0
	v_add_nc_u32_e32 v4, -1, v53
	s_waitcnt lgkmcnt(0)
	v_add_nc_u32_e32 v1, v2, v1
	ds_load_b32 v16, v3 offset:28
	v_cmp_gt_i32_e32 vcc_lo, 0, v4
	v_cndmask_b32_e32 v4, v4, v53, vcc_lo
	s_delay_alu instid0(VALU_DEP_1)
	v_lshlrev_b32_e32 v4, 2, v4
	ds_bpermute_b32 v1, v4, v1
	s_and_saveexec_b32 s0, s2
	s_cbranch_execz .LBB1012_73
; %bb.72:
	v_mov_b32_e32 v3, 0
	v_mov_b32_e32 v17, 2
	s_waitcnt lgkmcnt(1)
	global_store_b64 v3, v[16:17], s[18:19] offset:256
.LBB1012_73:
	s_or_b32 exec_lo, exec_lo, s0
	v_cmp_eq_u32_e32 vcc_lo, 0, v53
	s_waitcnt lgkmcnt(0)
	s_waitcnt_vscnt null, 0x0
	s_barrier
	buffer_gl0_inv
	v_mov_b32_e32 v17, 0
	v_cndmask_b32_e32 v1, v1, v2, vcc_lo
	s_delay_alu instid0(VALU_DEP_1) | instskip(NEXT) | instid1(VALU_DEP_1)
	v_cndmask_b32_e64 v1, v1, 0, s2
	v_add_nc_u32_e32 v2, v1, v44
	s_delay_alu instid0(VALU_DEP_1) | instskip(NEXT) | instid1(VALU_DEP_1)
	v_add_nc_u32_e32 v3, v2, v45
	v_add_nc_u32_e32 v4, v3, v46
	s_delay_alu instid0(VALU_DEP_1) | instskip(NEXT) | instid1(VALU_DEP_1)
	v_add_nc_u32_e32 v5, v4, v43
	;; [unrolled: 3-line block ×5, first 2 shown]
	v_add_nc_u32_e32 v12, v11, v52
	s_delay_alu instid0(VALU_DEP_1)
	v_add_nc_u32_e32 v13, v12, v39
.LBB1012_74:
	s_waitcnt lgkmcnt(0)
	v_sub_nc_u32_e32 v1, v1, v17
	v_sub_nc_u32_e32 v2, v2, v17
	v_add_nc_u32_e32 v36, v16, v36
	v_lshrrev_b32_e32 v47, 8, v42
	v_lshrrev_b32_e32 v46, 16, v42
	v_sub_nc_u32_e32 v4, v4, v17
	v_sub_nc_u32_e32 v3, v3, v17
	;; [unrolled: 1-line block ×3, first 2 shown]
	v_and_b32_e32 v42, 1, v42
	v_and_b32_e32 v47, 1, v47
	;; [unrolled: 1-line block ×3, first 2 shown]
	v_lshrrev_b32_e32 v45, 8, v40
	v_lshrrev_b32_e32 v44, 16, v40
	v_cmp_eq_u32_e32 vcc_lo, 1, v42
	v_and_b32_e32 v42, 1, v46
	v_sub_nc_u32_e32 v46, v36, v2
	v_lshrrev_b32_e32 v15, 8, v38
	v_lshrrev_b32_e32 v14, 16, v38
	v_cndmask_b32_e32 v1, v48, v1, vcc_lo
	v_cmp_eq_u32_e32 vcc_lo, 1, v47
	v_add_nc_u32_e32 v46, 1, v46
	s_delay_alu instid0(VALU_DEP_3)
	v_lshlrev_b32_e32 v1, 2, v1
	ds_store_b32 v1, v30
	v_cndmask_b32_e32 v1, v46, v2, vcc_lo
	v_sub_nc_u32_e32 v48, v36, v3
	v_sub_nc_u32_e32 v49, v36, v4
	v_cmp_eq_u32_e32 vcc_lo, 1, v42
	v_or_b32_e32 v30, 0x300, v0
	v_lshlrev_b32_e32 v1, 2, v1
	v_add_nc_u32_e32 v48, 2, v48
	v_add_nc_u32_e32 v49, 3, v49
	ds_store_b32 v1, v31
	v_cndmask_b32_e32 v2, v48, v3, vcc_lo
	v_cmp_eq_u32_e32 vcc_lo, 1, v43
	v_or_b32_e32 v31, 0x200, v0
	s_delay_alu instid0(VALU_DEP_3) | instskip(SKIP_2) | instid1(VALU_DEP_3)
	v_dual_cndmask_b32 v3, v49, v4 :: v_dual_lshlrev_b32 v2, 2, v2
	v_sub_nc_u32_e32 v4, v5, v17
	v_sub_nc_u32_e32 v5, v6, v17
	v_lshlrev_b32_e32 v3, 2, v3
	s_delay_alu instid0(VALU_DEP_3) | instskip(NEXT) | instid1(VALU_DEP_3)
	v_sub_nc_u32_e32 v1, v36, v4
	v_sub_nc_u32_e32 v6, v36, v5
	ds_store_b32 v2, v28
	ds_store_b32 v3, v29
	v_and_b32_e32 v2, 1, v40
	v_add_nc_u32_e32 v1, 4, v1
	v_add_nc_u32_e32 v3, 5, v6
	v_sub_nc_u32_e32 v6, v7, v17
	v_and_b32_e32 v7, 1, v45
	v_cmp_eq_u32_e32 vcc_lo, 1, v2
	v_sub_nc_u32_e32 v2, v8, v17
	v_and_b32_e32 v8, 1, v41
	v_or_b32_e32 v29, 0x400, v0
	v_or_b32_e32 v28, 0x500, v0
	v_cndmask_b32_e32 v1, v1, v4, vcc_lo
	v_sub_nc_u32_e32 v4, v36, v6
	v_cmp_eq_u32_e32 vcc_lo, 1, v7
	v_and_b32_e32 v7, 1, v44
	s_delay_alu instid0(VALU_DEP_4) | instskip(NEXT) | instid1(VALU_DEP_4)
	v_lshlrev_b32_e32 v1, 2, v1
	v_dual_cndmask_b32 v3, v3, v5 :: v_dual_add_nc_u32 v4, 6, v4
	v_sub_nc_u32_e32 v5, v36, v2
	s_delay_alu instid0(VALU_DEP_4) | instskip(SKIP_2) | instid1(VALU_DEP_4)
	v_cmp_eq_u32_e32 vcc_lo, 1, v7
	v_sub_nc_u32_e32 v7, v13, v17
	v_add_co_u32 v13, s0, s16, v32
	v_dual_cndmask_b32 v4, v4, v6 :: v_dual_add_nc_u32 v5, 7, v5
	v_cmp_eq_u32_e32 vcc_lo, 1, v8
	v_sub_nc_u32_e32 v6, v9, v17
	v_lshlrev_b32_e32 v3, 2, v3
	ds_store_b32 v1, v26
	ds_store_b32 v3, v27
	v_cndmask_b32_e32 v2, v5, v2, vcc_lo
	v_sub_nc_u32_e32 v1, v36, v6
	v_lshlrev_b32_e32 v3, 2, v4
	v_and_b32_e32 v5, 1, v38
	v_sub_nc_u32_e32 v4, v10, v17
	v_lshlrev_b32_e32 v2, 2, v2
	v_add_nc_u32_e32 v1, 8, v1
	ds_store_b32 v3, v24
	ds_store_b32 v2, v25
	v_cmp_eq_u32_e32 vcc_lo, 1, v5
	v_sub_nc_u32_e32 v3, v11, v17
	v_sub_nc_u32_e32 v2, v36, v4
	;; [unrolled: 1-line block ×3, first 2 shown]
	v_dual_cndmask_b32 v1, v1, v6 :: v_dual_and_b32 v10, 1, v39
	v_and_b32_e32 v6, 1, v15
	v_sub_nc_u32_e32 v8, v36, v3
	v_add_nc_u32_e32 v2, 9, v2
	v_sub_nc_u32_e32 v9, v36, v5
	v_and_b32_e32 v11, 1, v37
	v_cmp_eq_u32_e32 vcc_lo, 1, v6
	v_add_nc_u32_e32 v6, 10, v8
	v_and_b32_e32 v8, 1, v14
	v_add_nc_u32_e32 v9, 11, v9
	v_dual_cndmask_b32 v2, v2, v4 :: v_dual_lshlrev_b32 v1, 2, v1
	v_sub_nc_u32_e32 v4, v36, v7
	s_delay_alu instid0(VALU_DEP_4) | instskip(SKIP_1) | instid1(VALU_DEP_4)
	v_cmp_eq_u32_e32 vcc_lo, 1, v8
	v_add_co_ci_u32_e64 v14, null, s17, 0, s0
	v_lshlrev_b32_e32 v2, 2, v2
	s_delay_alu instid0(VALU_DEP_4)
	v_dual_cndmask_b32 v3, v6, v3 :: v_dual_add_nc_u32 v4, 12, v4
	v_cmp_eq_u32_e32 vcc_lo, 1, v10
	v_or_b32_e32 v27, 0x600, v0
	v_or_b32_e32 v26, 0x700, v0
	;; [unrolled: 1-line block ×3, first 2 shown]
	v_lshlrev_b32_e32 v3, 2, v3
	v_cndmask_b32_e32 v5, v9, v5, vcc_lo
	v_cmp_eq_u32_e32 vcc_lo, 1, v11
	v_or_b32_e32 v24, 0x900, v0
	s_delay_alu instid0(VALU_DEP_3) | instskip(SKIP_2) | instid1(VALU_DEP_3)
	v_dual_cndmask_b32 v4, v4, v7 :: v_dual_lshlrev_b32 v5, 2, v5
	v_sub_co_u32 v13, vcc_lo, s14, v13
	v_sub_co_ci_u32_e32 v14, vcc_lo, s15, v14, vcc_lo
	v_lshlrev_b32_e32 v4, 2, v4
	ds_store_b32 v1, v22
	ds_store_b32 v2, v23
	;; [unrolled: 1-line block ×5, first 2 shown]
	s_waitcnt lgkmcnt(0)
	s_barrier
	buffer_gl0_inv
	ds_load_2addr_stride64_b32 v[11:12], v33 offset1:4
	ds_load_2addr_stride64_b32 v[9:10], v33 offset0:8 offset1:12
	ds_load_2addr_stride64_b32 v[7:8], v33 offset0:16 offset1:20
	;; [unrolled: 1-line block ×5, first 2 shown]
	ds_load_b32 v20, v33 offset:12288
	v_add_co_u32 v15, vcc_lo, v18, v17
	v_add_co_ci_u32_e32 v17, vcc_lo, 0, v19, vcc_lo
	v_add_co_u32 v13, vcc_lo, v13, v16
	v_add_co_ci_u32_e32 v14, vcc_lo, 0, v14, vcc_lo
	v_cmp_ne_u32_e32 vcc_lo, 1, v34
	s_delay_alu instid0(VALU_DEP_3)
	v_add_co_u32 v18, s0, v13, v15
	v_or_b32_e32 v35, 0x100, v0
	v_or_b32_e32 v23, 0xa00, v0
	;; [unrolled: 1-line block ×4, first 2 shown]
	v_add_co_ci_u32_e64 v19, s0, v14, v17, s0
	s_mov_b32 s0, 0
	s_cbranch_vccnz .LBB1012_131
; %bb.75:
	s_mov_b32 s0, exec_lo
                                        ; implicit-def: $vgpr13_vgpr14
	v_cmpx_ge_u32_e64 v0, v16
	s_xor_b32 s0, exec_lo, s0
; %bb.76:
	v_not_b32_e32 v13, v0
	s_delay_alu instid0(VALU_DEP_1) | instskip(SKIP_1) | instid1(VALU_DEP_2)
	v_ashrrev_i32_e32 v14, 31, v13
	v_add_co_u32 v13, vcc_lo, v18, v13
	v_add_co_ci_u32_e32 v14, vcc_lo, v19, v14, vcc_lo
; %bb.77:
	s_and_not1_saveexec_b32 s0, s0
; %bb.78:
	v_add_co_u32 v13, vcc_lo, v15, v0
	v_add_co_ci_u32_e32 v14, vcc_lo, 0, v17, vcc_lo
; %bb.79:
	s_or_b32 exec_lo, exec_lo, s0
	s_delay_alu instid0(VALU_DEP_1) | instskip(SKIP_1) | instid1(VALU_DEP_1)
	v_lshlrev_b64 v[13:14], 2, v[13:14]
	s_mov_b32 s0, exec_lo
	v_add_co_u32 v13, vcc_lo, s12, v13
	s_delay_alu instid0(VALU_DEP_2)
	v_add_co_ci_u32_e32 v14, vcc_lo, s13, v14, vcc_lo
	s_waitcnt lgkmcnt(6)
	global_store_b32 v[13:14], v11, off
                                        ; implicit-def: $vgpr13_vgpr14
	v_cmpx_ge_u32_e64 v35, v16
	s_xor_b32 s0, exec_lo, s0
; %bb.80:
	v_xor_b32_e32 v13, 0xfffffeff, v0
	s_delay_alu instid0(VALU_DEP_1) | instskip(SKIP_1) | instid1(VALU_DEP_2)
	v_ashrrev_i32_e32 v14, 31, v13
	v_add_co_u32 v13, vcc_lo, v18, v13
	v_add_co_ci_u32_e32 v14, vcc_lo, v19, v14, vcc_lo
; %bb.81:
	s_and_not1_saveexec_b32 s0, s0
; %bb.82:
	v_add_co_u32 v13, vcc_lo, v15, v35
	v_add_co_ci_u32_e32 v14, vcc_lo, 0, v17, vcc_lo
; %bb.83:
	s_or_b32 exec_lo, exec_lo, s0
	s_delay_alu instid0(VALU_DEP_1) | instskip(SKIP_1) | instid1(VALU_DEP_1)
	v_lshlrev_b64 v[13:14], 2, v[13:14]
	s_mov_b32 s0, exec_lo
	v_add_co_u32 v13, vcc_lo, s12, v13
	s_delay_alu instid0(VALU_DEP_2)
	v_add_co_ci_u32_e32 v14, vcc_lo, s13, v14, vcc_lo
	global_store_b32 v[13:14], v12, off
                                        ; implicit-def: $vgpr13_vgpr14
	v_cmpx_ge_u32_e64 v31, v16
	s_xor_b32 s0, exec_lo, s0
; %bb.84:
	v_xor_b32_e32 v13, 0xfffffdff, v0
	s_delay_alu instid0(VALU_DEP_1) | instskip(SKIP_1) | instid1(VALU_DEP_2)
	v_ashrrev_i32_e32 v14, 31, v13
	v_add_co_u32 v13, vcc_lo, v18, v13
	v_add_co_ci_u32_e32 v14, vcc_lo, v19, v14, vcc_lo
; %bb.85:
	s_and_not1_saveexec_b32 s0, s0
; %bb.86:
	v_add_co_u32 v13, vcc_lo, v15, v31
	v_add_co_ci_u32_e32 v14, vcc_lo, 0, v17, vcc_lo
; %bb.87:
	s_or_b32 exec_lo, exec_lo, s0
	s_delay_alu instid0(VALU_DEP_1) | instskip(SKIP_1) | instid1(VALU_DEP_1)
	v_lshlrev_b64 v[13:14], 2, v[13:14]
	s_mov_b32 s0, exec_lo
	v_add_co_u32 v13, vcc_lo, s12, v13
	s_delay_alu instid0(VALU_DEP_2)
	v_add_co_ci_u32_e32 v14, vcc_lo, s13, v14, vcc_lo
	s_waitcnt lgkmcnt(5)
	global_store_b32 v[13:14], v9, off
                                        ; implicit-def: $vgpr13_vgpr14
	v_cmpx_ge_u32_e64 v30, v16
	s_xor_b32 s0, exec_lo, s0
; %bb.88:
	v_xor_b32_e32 v13, 0xfffffcff, v0
	s_delay_alu instid0(VALU_DEP_1) | instskip(SKIP_1) | instid1(VALU_DEP_2)
	v_ashrrev_i32_e32 v14, 31, v13
	v_add_co_u32 v13, vcc_lo, v18, v13
	v_add_co_ci_u32_e32 v14, vcc_lo, v19, v14, vcc_lo
; %bb.89:
	s_and_not1_saveexec_b32 s0, s0
; %bb.90:
	v_add_co_u32 v13, vcc_lo, v15, v30
	v_add_co_ci_u32_e32 v14, vcc_lo, 0, v17, vcc_lo
; %bb.91:
	s_or_b32 exec_lo, exec_lo, s0
	s_delay_alu instid0(VALU_DEP_1) | instskip(SKIP_1) | instid1(VALU_DEP_1)
	v_lshlrev_b64 v[13:14], 2, v[13:14]
	s_mov_b32 s0, exec_lo
	v_add_co_u32 v13, vcc_lo, s12, v13
	s_delay_alu instid0(VALU_DEP_2)
	v_add_co_ci_u32_e32 v14, vcc_lo, s13, v14, vcc_lo
	global_store_b32 v[13:14], v10, off
                                        ; implicit-def: $vgpr13_vgpr14
	v_cmpx_ge_u32_e64 v29, v16
	s_xor_b32 s0, exec_lo, s0
; %bb.92:
	v_xor_b32_e32 v13, 0xfffffbff, v0
	;; [unrolled: 47-line block ×6, first 2 shown]
	s_delay_alu instid0(VALU_DEP_1) | instskip(SKIP_1) | instid1(VALU_DEP_2)
	v_ashrrev_i32_e32 v14, 31, v13
	v_add_co_u32 v13, vcc_lo, v18, v13
	v_add_co_ci_u32_e32 v14, vcc_lo, v19, v14, vcc_lo
; %bb.125:
	s_and_not1_saveexec_b32 s0, s0
; %bb.126:
	v_add_co_u32 v13, vcc_lo, v15, v21
	v_add_co_ci_u32_e32 v14, vcc_lo, 0, v17, vcc_lo
; %bb.127:
	s_or_b32 exec_lo, exec_lo, s0
	s_mov_b32 s0, -1
.LBB1012_128:
	s_delay_alu instid0(SALU_CYCLE_1)
	s_and_saveexec_b32 s1, s0
	s_cbranch_execz .LBB1012_211
.LBB1012_129:
	s_waitcnt lgkmcnt(1)
	v_lshlrev_b64 v[0:1], 2, v[13:14]
	s_delay_alu instid0(VALU_DEP_1) | instskip(NEXT) | instid1(VALU_DEP_2)
	v_add_co_u32 v0, vcc_lo, s12, v0
	v_add_co_ci_u32_e32 v1, vcc_lo, s13, v1, vcc_lo
	s_waitcnt lgkmcnt(0)
	global_store_b32 v[0:1], v20, off
	s_or_b32 exec_lo, exec_lo, s1
	s_and_b32 s0, s2, s10
	s_delay_alu instid0(SALU_CYCLE_1)
	s_and_saveexec_b32 s1, s0
	s_cbranch_execnz .LBB1012_212
.LBB1012_130:
	s_nop 0
	s_sendmsg sendmsg(MSG_DEALLOC_VGPRS)
	s_endpgm
.LBB1012_131:
                                        ; implicit-def: $vgpr13_vgpr14
	s_cbranch_execz .LBB1012_128
; %bb.132:
	s_mov_b32 s1, exec_lo
	v_cmpx_gt_u32_e64 s11, v0
	s_cbranch_execz .LBB1012_168
; %bb.133:
	s_mov_b32 s3, exec_lo
                                        ; implicit-def: $vgpr13_vgpr14
	v_cmpx_ge_u32_e64 v0, v16
	s_xor_b32 s3, exec_lo, s3
; %bb.134:
	v_not_b32_e32 v13, v0
	s_delay_alu instid0(VALU_DEP_1) | instskip(SKIP_1) | instid1(VALU_DEP_2)
	v_ashrrev_i32_e32 v14, 31, v13
	v_add_co_u32 v13, vcc_lo, v18, v13
	v_add_co_ci_u32_e32 v14, vcc_lo, v19, v14, vcc_lo
; %bb.135:
	s_and_not1_saveexec_b32 s3, s3
; %bb.136:
	v_add_co_u32 v13, vcc_lo, v15, v0
	v_add_co_ci_u32_e32 v14, vcc_lo, 0, v17, vcc_lo
; %bb.137:
	s_or_b32 exec_lo, exec_lo, s3
	s_delay_alu instid0(VALU_DEP_1) | instskip(NEXT) | instid1(VALU_DEP_1)
	v_lshlrev_b64 v[13:14], 2, v[13:14]
	v_add_co_u32 v13, vcc_lo, s12, v13
	s_delay_alu instid0(VALU_DEP_2) | instskip(SKIP_3) | instid1(SALU_CYCLE_1)
	v_add_co_ci_u32_e32 v14, vcc_lo, s13, v14, vcc_lo
	s_waitcnt lgkmcnt(6)
	global_store_b32 v[13:14], v11, off
	s_or_b32 exec_lo, exec_lo, s1
	s_mov_b32 s1, exec_lo
	v_cmpx_gt_u32_e64 s11, v35
	s_cbranch_execnz .LBB1012_169
.LBB1012_138:
	s_or_b32 exec_lo, exec_lo, s1
	s_delay_alu instid0(SALU_CYCLE_1)
	s_mov_b32 s1, exec_lo
	v_cmpx_gt_u32_e64 s11, v31
	s_cbranch_execz .LBB1012_174
.LBB1012_139:
	s_mov_b32 s3, exec_lo
                                        ; implicit-def: $vgpr11_vgpr12
	v_cmpx_ge_u32_e64 v31, v16
	s_xor_b32 s3, exec_lo, s3
	s_cbranch_execz .LBB1012_141
; %bb.140:
	s_waitcnt lgkmcnt(6)
	v_xor_b32_e32 v11, 0xfffffdff, v0
                                        ; implicit-def: $vgpr31
	s_delay_alu instid0(VALU_DEP_1) | instskip(SKIP_1) | instid1(VALU_DEP_2)
	v_ashrrev_i32_e32 v12, 31, v11
	v_add_co_u32 v11, vcc_lo, v18, v11
	v_add_co_ci_u32_e32 v12, vcc_lo, v19, v12, vcc_lo
.LBB1012_141:
	s_and_not1_saveexec_b32 s3, s3
	s_cbranch_execz .LBB1012_143
; %bb.142:
	s_waitcnt lgkmcnt(6)
	v_add_co_u32 v11, vcc_lo, v15, v31
	v_add_co_ci_u32_e32 v12, vcc_lo, 0, v17, vcc_lo
.LBB1012_143:
	s_or_b32 exec_lo, exec_lo, s3
	s_waitcnt lgkmcnt(6)
	s_delay_alu instid0(VALU_DEP_1) | instskip(NEXT) | instid1(VALU_DEP_1)
	v_lshlrev_b64 v[11:12], 2, v[11:12]
	v_add_co_u32 v11, vcc_lo, s12, v11
	s_delay_alu instid0(VALU_DEP_2) | instskip(SKIP_3) | instid1(SALU_CYCLE_1)
	v_add_co_ci_u32_e32 v12, vcc_lo, s13, v12, vcc_lo
	s_waitcnt lgkmcnt(5)
	global_store_b32 v[11:12], v9, off
	s_or_b32 exec_lo, exec_lo, s1
	s_mov_b32 s1, exec_lo
	v_cmpx_gt_u32_e64 s11, v30
	s_cbranch_execnz .LBB1012_175
.LBB1012_144:
	s_or_b32 exec_lo, exec_lo, s1
	s_delay_alu instid0(SALU_CYCLE_1)
	s_mov_b32 s1, exec_lo
	v_cmpx_gt_u32_e64 s11, v29
	s_cbranch_execz .LBB1012_180
.LBB1012_145:
	s_mov_b32 s3, exec_lo
                                        ; implicit-def: $vgpr9_vgpr10
	v_cmpx_ge_u32_e64 v29, v16
	s_xor_b32 s3, exec_lo, s3
	s_cbranch_execz .LBB1012_147
; %bb.146:
	s_waitcnt lgkmcnt(5)
	v_xor_b32_e32 v9, 0xfffffbff, v0
                                        ; implicit-def: $vgpr29
	s_delay_alu instid0(VALU_DEP_1) | instskip(SKIP_1) | instid1(VALU_DEP_2)
	v_ashrrev_i32_e32 v10, 31, v9
	v_add_co_u32 v9, vcc_lo, v18, v9
	v_add_co_ci_u32_e32 v10, vcc_lo, v19, v10, vcc_lo
.LBB1012_147:
	s_and_not1_saveexec_b32 s3, s3
	s_cbranch_execz .LBB1012_149
; %bb.148:
	s_waitcnt lgkmcnt(5)
	v_add_co_u32 v9, vcc_lo, v15, v29
	v_add_co_ci_u32_e32 v10, vcc_lo, 0, v17, vcc_lo
.LBB1012_149:
	s_or_b32 exec_lo, exec_lo, s3
	s_waitcnt lgkmcnt(5)
	s_delay_alu instid0(VALU_DEP_1) | instskip(NEXT) | instid1(VALU_DEP_1)
	v_lshlrev_b64 v[9:10], 2, v[9:10]
	v_add_co_u32 v9, vcc_lo, s12, v9
	s_delay_alu instid0(VALU_DEP_2) | instskip(SKIP_3) | instid1(SALU_CYCLE_1)
	v_add_co_ci_u32_e32 v10, vcc_lo, s13, v10, vcc_lo
	s_waitcnt lgkmcnt(4)
	global_store_b32 v[9:10], v7, off
	s_or_b32 exec_lo, exec_lo, s1
	s_mov_b32 s1, exec_lo
	v_cmpx_gt_u32_e64 s11, v28
	s_cbranch_execnz .LBB1012_181
.LBB1012_150:
	s_or_b32 exec_lo, exec_lo, s1
	s_delay_alu instid0(SALU_CYCLE_1)
	s_mov_b32 s1, exec_lo
	v_cmpx_gt_u32_e64 s11, v27
	s_cbranch_execz .LBB1012_186
.LBB1012_151:
	s_mov_b32 s3, exec_lo
                                        ; implicit-def: $vgpr7_vgpr8
	v_cmpx_ge_u32_e64 v27, v16
	s_xor_b32 s3, exec_lo, s3
	s_cbranch_execz .LBB1012_153
; %bb.152:
	s_waitcnt lgkmcnt(4)
	v_xor_b32_e32 v7, 0xfffff9ff, v0
                                        ; implicit-def: $vgpr27
	s_delay_alu instid0(VALU_DEP_1) | instskip(SKIP_1) | instid1(VALU_DEP_2)
	v_ashrrev_i32_e32 v8, 31, v7
	v_add_co_u32 v7, vcc_lo, v18, v7
	v_add_co_ci_u32_e32 v8, vcc_lo, v19, v8, vcc_lo
.LBB1012_153:
	s_and_not1_saveexec_b32 s3, s3
	s_cbranch_execz .LBB1012_155
; %bb.154:
	s_waitcnt lgkmcnt(4)
	v_add_co_u32 v7, vcc_lo, v15, v27
	v_add_co_ci_u32_e32 v8, vcc_lo, 0, v17, vcc_lo
.LBB1012_155:
	s_or_b32 exec_lo, exec_lo, s3
	s_waitcnt lgkmcnt(4)
	s_delay_alu instid0(VALU_DEP_1) | instskip(NEXT) | instid1(VALU_DEP_1)
	v_lshlrev_b64 v[7:8], 2, v[7:8]
	v_add_co_u32 v7, vcc_lo, s12, v7
	s_delay_alu instid0(VALU_DEP_2) | instskip(SKIP_3) | instid1(SALU_CYCLE_1)
	v_add_co_ci_u32_e32 v8, vcc_lo, s13, v8, vcc_lo
	s_waitcnt lgkmcnt(3)
	global_store_b32 v[7:8], v5, off
	s_or_b32 exec_lo, exec_lo, s1
	s_mov_b32 s1, exec_lo
	v_cmpx_gt_u32_e64 s11, v26
	s_cbranch_execnz .LBB1012_187
.LBB1012_156:
	s_or_b32 exec_lo, exec_lo, s1
	s_delay_alu instid0(SALU_CYCLE_1)
	s_mov_b32 s1, exec_lo
	v_cmpx_gt_u32_e64 s11, v25
	s_cbranch_execz .LBB1012_192
.LBB1012_157:
	s_mov_b32 s3, exec_lo
                                        ; implicit-def: $vgpr5_vgpr6
	v_cmpx_ge_u32_e64 v25, v16
	s_xor_b32 s3, exec_lo, s3
	s_cbranch_execz .LBB1012_159
; %bb.158:
	s_waitcnt lgkmcnt(3)
	v_xor_b32_e32 v5, 0xfffff7ff, v0
                                        ; implicit-def: $vgpr25
	s_delay_alu instid0(VALU_DEP_1) | instskip(SKIP_1) | instid1(VALU_DEP_2)
	v_ashrrev_i32_e32 v6, 31, v5
	v_add_co_u32 v5, vcc_lo, v18, v5
	v_add_co_ci_u32_e32 v6, vcc_lo, v19, v6, vcc_lo
.LBB1012_159:
	s_and_not1_saveexec_b32 s3, s3
	s_cbranch_execz .LBB1012_161
; %bb.160:
	s_waitcnt lgkmcnt(3)
	v_add_co_u32 v5, vcc_lo, v15, v25
	v_add_co_ci_u32_e32 v6, vcc_lo, 0, v17, vcc_lo
.LBB1012_161:
	s_or_b32 exec_lo, exec_lo, s3
	s_waitcnt lgkmcnt(3)
	s_delay_alu instid0(VALU_DEP_1) | instskip(NEXT) | instid1(VALU_DEP_1)
	v_lshlrev_b64 v[5:6], 2, v[5:6]
	v_add_co_u32 v5, vcc_lo, s12, v5
	s_delay_alu instid0(VALU_DEP_2) | instskip(SKIP_3) | instid1(SALU_CYCLE_1)
	v_add_co_ci_u32_e32 v6, vcc_lo, s13, v6, vcc_lo
	s_waitcnt lgkmcnt(2)
	global_store_b32 v[5:6], v3, off
	s_or_b32 exec_lo, exec_lo, s1
	s_mov_b32 s1, exec_lo
	v_cmpx_gt_u32_e64 s11, v24
	s_cbranch_execnz .LBB1012_193
.LBB1012_162:
	s_or_b32 exec_lo, exec_lo, s1
	s_delay_alu instid0(SALU_CYCLE_1)
	s_mov_b32 s1, exec_lo
	v_cmpx_gt_u32_e64 s11, v23
	s_cbranch_execz .LBB1012_198
.LBB1012_163:
	s_mov_b32 s3, exec_lo
                                        ; implicit-def: $vgpr3_vgpr4
	v_cmpx_ge_u32_e64 v23, v16
	s_xor_b32 s3, exec_lo, s3
	s_cbranch_execz .LBB1012_165
; %bb.164:
	s_waitcnt lgkmcnt(2)
	v_xor_b32_e32 v3, 0xfffff5ff, v0
                                        ; implicit-def: $vgpr23
	s_delay_alu instid0(VALU_DEP_1) | instskip(SKIP_1) | instid1(VALU_DEP_2)
	v_ashrrev_i32_e32 v4, 31, v3
	v_add_co_u32 v3, vcc_lo, v18, v3
	v_add_co_ci_u32_e32 v4, vcc_lo, v19, v4, vcc_lo
.LBB1012_165:
	s_and_not1_saveexec_b32 s3, s3
	s_cbranch_execz .LBB1012_167
; %bb.166:
	s_waitcnt lgkmcnt(2)
	v_add_co_u32 v3, vcc_lo, v15, v23
	v_add_co_ci_u32_e32 v4, vcc_lo, 0, v17, vcc_lo
.LBB1012_167:
	s_or_b32 exec_lo, exec_lo, s3
	s_waitcnt lgkmcnt(2)
	s_delay_alu instid0(VALU_DEP_1) | instskip(NEXT) | instid1(VALU_DEP_1)
	v_lshlrev_b64 v[3:4], 2, v[3:4]
	v_add_co_u32 v3, vcc_lo, s12, v3
	s_delay_alu instid0(VALU_DEP_2) | instskip(SKIP_3) | instid1(SALU_CYCLE_1)
	v_add_co_ci_u32_e32 v4, vcc_lo, s13, v4, vcc_lo
	s_waitcnt lgkmcnt(1)
	global_store_b32 v[3:4], v1, off
	s_or_b32 exec_lo, exec_lo, s1
	s_mov_b32 s1, exec_lo
	v_cmpx_gt_u32_e64 s11, v22
	s_cbranch_execz .LBB1012_204
	s_branch .LBB1012_199
.LBB1012_168:
	s_or_b32 exec_lo, exec_lo, s1
	s_delay_alu instid0(SALU_CYCLE_1)
	s_mov_b32 s1, exec_lo
	v_cmpx_gt_u32_e64 s11, v35
	s_cbranch_execz .LBB1012_138
.LBB1012_169:
	s_mov_b32 s3, exec_lo
                                        ; implicit-def: $vgpr13_vgpr14
	v_cmpx_ge_u32_e64 v35, v16
	s_xor_b32 s3, exec_lo, s3
	s_cbranch_execz .LBB1012_171
; %bb.170:
	s_waitcnt lgkmcnt(6)
	v_xor_b32_e32 v11, 0xfffffeff, v0
                                        ; implicit-def: $vgpr35
	s_delay_alu instid0(VALU_DEP_1) | instskip(SKIP_1) | instid1(VALU_DEP_2)
	v_ashrrev_i32_e32 v14, 31, v11
	v_add_co_u32 v13, vcc_lo, v18, v11
	v_add_co_ci_u32_e32 v14, vcc_lo, v19, v14, vcc_lo
.LBB1012_171:
	s_and_not1_saveexec_b32 s3, s3
; %bb.172:
	v_add_co_u32 v13, vcc_lo, v15, v35
	v_add_co_ci_u32_e32 v14, vcc_lo, 0, v17, vcc_lo
; %bb.173:
	s_or_b32 exec_lo, exec_lo, s3
	s_delay_alu instid0(VALU_DEP_1) | instskip(NEXT) | instid1(VALU_DEP_1)
	v_lshlrev_b64 v[13:14], 2, v[13:14]
	v_add_co_u32 v13, vcc_lo, s12, v13
	s_delay_alu instid0(VALU_DEP_2) | instskip(SKIP_3) | instid1(SALU_CYCLE_1)
	v_add_co_ci_u32_e32 v14, vcc_lo, s13, v14, vcc_lo
	s_waitcnt lgkmcnt(6)
	global_store_b32 v[13:14], v12, off
	s_or_b32 exec_lo, exec_lo, s1
	s_mov_b32 s1, exec_lo
	v_cmpx_gt_u32_e64 s11, v31
	s_cbranch_execnz .LBB1012_139
.LBB1012_174:
	s_or_b32 exec_lo, exec_lo, s1
	s_delay_alu instid0(SALU_CYCLE_1)
	s_mov_b32 s1, exec_lo
	v_cmpx_gt_u32_e64 s11, v30
	s_cbranch_execz .LBB1012_144
.LBB1012_175:
	s_mov_b32 s3, exec_lo
                                        ; implicit-def: $vgpr11_vgpr12
	v_cmpx_ge_u32_e64 v30, v16
	s_xor_b32 s3, exec_lo, s3
	s_cbranch_execz .LBB1012_177
; %bb.176:
	s_waitcnt lgkmcnt(5)
	v_xor_b32_e32 v9, 0xfffffcff, v0
                                        ; implicit-def: $vgpr30
	s_delay_alu instid0(VALU_DEP_1) | instskip(SKIP_1) | instid1(VALU_DEP_2)
	v_ashrrev_i32_e32 v12, 31, v9
	v_add_co_u32 v11, vcc_lo, v18, v9
	v_add_co_ci_u32_e32 v12, vcc_lo, v19, v12, vcc_lo
.LBB1012_177:
	s_and_not1_saveexec_b32 s3, s3
	s_cbranch_execz .LBB1012_179
; %bb.178:
	s_waitcnt lgkmcnt(6)
	v_add_co_u32 v11, vcc_lo, v15, v30
	v_add_co_ci_u32_e32 v12, vcc_lo, 0, v17, vcc_lo
.LBB1012_179:
	s_or_b32 exec_lo, exec_lo, s3
	s_waitcnt lgkmcnt(6)
	s_delay_alu instid0(VALU_DEP_1) | instskip(NEXT) | instid1(VALU_DEP_1)
	v_lshlrev_b64 v[11:12], 2, v[11:12]
	v_add_co_u32 v11, vcc_lo, s12, v11
	s_delay_alu instid0(VALU_DEP_2) | instskip(SKIP_3) | instid1(SALU_CYCLE_1)
	v_add_co_ci_u32_e32 v12, vcc_lo, s13, v12, vcc_lo
	s_waitcnt lgkmcnt(5)
	global_store_b32 v[11:12], v10, off
	s_or_b32 exec_lo, exec_lo, s1
	s_mov_b32 s1, exec_lo
	v_cmpx_gt_u32_e64 s11, v29
	s_cbranch_execnz .LBB1012_145
.LBB1012_180:
	s_or_b32 exec_lo, exec_lo, s1
	s_delay_alu instid0(SALU_CYCLE_1)
	s_mov_b32 s1, exec_lo
	v_cmpx_gt_u32_e64 s11, v28
	s_cbranch_execz .LBB1012_150
.LBB1012_181:
	s_mov_b32 s3, exec_lo
                                        ; implicit-def: $vgpr9_vgpr10
	v_cmpx_ge_u32_e64 v28, v16
	s_xor_b32 s3, exec_lo, s3
	s_cbranch_execz .LBB1012_183
; %bb.182:
	s_waitcnt lgkmcnt(4)
	v_xor_b32_e32 v7, 0xfffffaff, v0
                                        ; implicit-def: $vgpr28
	s_delay_alu instid0(VALU_DEP_1) | instskip(SKIP_1) | instid1(VALU_DEP_2)
	v_ashrrev_i32_e32 v10, 31, v7
	v_add_co_u32 v9, vcc_lo, v18, v7
	v_add_co_ci_u32_e32 v10, vcc_lo, v19, v10, vcc_lo
.LBB1012_183:
	s_and_not1_saveexec_b32 s3, s3
	s_cbranch_execz .LBB1012_185
; %bb.184:
	s_waitcnt lgkmcnt(5)
	v_add_co_u32 v9, vcc_lo, v15, v28
	v_add_co_ci_u32_e32 v10, vcc_lo, 0, v17, vcc_lo
.LBB1012_185:
	s_or_b32 exec_lo, exec_lo, s3
	s_waitcnt lgkmcnt(5)
	s_delay_alu instid0(VALU_DEP_1) | instskip(NEXT) | instid1(VALU_DEP_1)
	v_lshlrev_b64 v[9:10], 2, v[9:10]
	v_add_co_u32 v9, vcc_lo, s12, v9
	s_delay_alu instid0(VALU_DEP_2) | instskip(SKIP_3) | instid1(SALU_CYCLE_1)
	v_add_co_ci_u32_e32 v10, vcc_lo, s13, v10, vcc_lo
	s_waitcnt lgkmcnt(4)
	global_store_b32 v[9:10], v8, off
	s_or_b32 exec_lo, exec_lo, s1
	s_mov_b32 s1, exec_lo
	v_cmpx_gt_u32_e64 s11, v27
	s_cbranch_execnz .LBB1012_151
.LBB1012_186:
	s_or_b32 exec_lo, exec_lo, s1
	s_delay_alu instid0(SALU_CYCLE_1)
	s_mov_b32 s1, exec_lo
	v_cmpx_gt_u32_e64 s11, v26
	s_cbranch_execz .LBB1012_156
.LBB1012_187:
	s_mov_b32 s3, exec_lo
                                        ; implicit-def: $vgpr7_vgpr8
	v_cmpx_ge_u32_e64 v26, v16
	s_xor_b32 s3, exec_lo, s3
	s_cbranch_execz .LBB1012_189
; %bb.188:
	s_waitcnt lgkmcnt(3)
	v_xor_b32_e32 v5, 0xfffff8ff, v0
                                        ; implicit-def: $vgpr26
	s_delay_alu instid0(VALU_DEP_1) | instskip(SKIP_1) | instid1(VALU_DEP_2)
	v_ashrrev_i32_e32 v8, 31, v5
	v_add_co_u32 v7, vcc_lo, v18, v5
	v_add_co_ci_u32_e32 v8, vcc_lo, v19, v8, vcc_lo
.LBB1012_189:
	s_and_not1_saveexec_b32 s3, s3
	s_cbranch_execz .LBB1012_191
; %bb.190:
	s_waitcnt lgkmcnt(4)
	v_add_co_u32 v7, vcc_lo, v15, v26
	v_add_co_ci_u32_e32 v8, vcc_lo, 0, v17, vcc_lo
.LBB1012_191:
	s_or_b32 exec_lo, exec_lo, s3
	s_waitcnt lgkmcnt(4)
	s_delay_alu instid0(VALU_DEP_1) | instskip(NEXT) | instid1(VALU_DEP_1)
	v_lshlrev_b64 v[7:8], 2, v[7:8]
	v_add_co_u32 v7, vcc_lo, s12, v7
	s_delay_alu instid0(VALU_DEP_2) | instskip(SKIP_3) | instid1(SALU_CYCLE_1)
	v_add_co_ci_u32_e32 v8, vcc_lo, s13, v8, vcc_lo
	s_waitcnt lgkmcnt(3)
	global_store_b32 v[7:8], v6, off
	s_or_b32 exec_lo, exec_lo, s1
	s_mov_b32 s1, exec_lo
	v_cmpx_gt_u32_e64 s11, v25
	s_cbranch_execnz .LBB1012_157
.LBB1012_192:
	s_or_b32 exec_lo, exec_lo, s1
	s_delay_alu instid0(SALU_CYCLE_1)
	s_mov_b32 s1, exec_lo
	v_cmpx_gt_u32_e64 s11, v24
	s_cbranch_execz .LBB1012_162
.LBB1012_193:
	s_mov_b32 s3, exec_lo
                                        ; implicit-def: $vgpr5_vgpr6
	v_cmpx_ge_u32_e64 v24, v16
	s_xor_b32 s3, exec_lo, s3
	s_cbranch_execz .LBB1012_195
; %bb.194:
	s_waitcnt lgkmcnt(2)
	v_xor_b32_e32 v3, 0xfffff6ff, v0
                                        ; implicit-def: $vgpr24
	s_delay_alu instid0(VALU_DEP_1) | instskip(SKIP_1) | instid1(VALU_DEP_2)
	v_ashrrev_i32_e32 v6, 31, v3
	v_add_co_u32 v5, vcc_lo, v18, v3
	v_add_co_ci_u32_e32 v6, vcc_lo, v19, v6, vcc_lo
.LBB1012_195:
	s_and_not1_saveexec_b32 s3, s3
	s_cbranch_execz .LBB1012_197
; %bb.196:
	s_waitcnt lgkmcnt(3)
	v_add_co_u32 v5, vcc_lo, v15, v24
	v_add_co_ci_u32_e32 v6, vcc_lo, 0, v17, vcc_lo
.LBB1012_197:
	s_or_b32 exec_lo, exec_lo, s3
	s_waitcnt lgkmcnt(3)
	s_delay_alu instid0(VALU_DEP_1) | instskip(NEXT) | instid1(VALU_DEP_1)
	v_lshlrev_b64 v[5:6], 2, v[5:6]
	v_add_co_u32 v5, vcc_lo, s12, v5
	s_delay_alu instid0(VALU_DEP_2) | instskip(SKIP_3) | instid1(SALU_CYCLE_1)
	v_add_co_ci_u32_e32 v6, vcc_lo, s13, v6, vcc_lo
	s_waitcnt lgkmcnt(2)
	global_store_b32 v[5:6], v4, off
	s_or_b32 exec_lo, exec_lo, s1
	s_mov_b32 s1, exec_lo
	v_cmpx_gt_u32_e64 s11, v23
	s_cbranch_execnz .LBB1012_163
.LBB1012_198:
	s_or_b32 exec_lo, exec_lo, s1
	s_delay_alu instid0(SALU_CYCLE_1)
	s_mov_b32 s1, exec_lo
	v_cmpx_gt_u32_e64 s11, v22
	s_cbranch_execz .LBB1012_204
.LBB1012_199:
	s_mov_b32 s3, exec_lo
                                        ; implicit-def: $vgpr3_vgpr4
	v_cmpx_ge_u32_e64 v22, v16
	s_xor_b32 s3, exec_lo, s3
	s_cbranch_execz .LBB1012_201
; %bb.200:
	s_waitcnt lgkmcnt(1)
	v_xor_b32_e32 v1, 0xfffff4ff, v0
                                        ; implicit-def: $vgpr22
	s_delay_alu instid0(VALU_DEP_1) | instskip(SKIP_1) | instid1(VALU_DEP_2)
	v_ashrrev_i32_e32 v4, 31, v1
	v_add_co_u32 v3, vcc_lo, v18, v1
	v_add_co_ci_u32_e32 v4, vcc_lo, v19, v4, vcc_lo
.LBB1012_201:
	s_and_not1_saveexec_b32 s3, s3
	s_cbranch_execz .LBB1012_203
; %bb.202:
	s_waitcnt lgkmcnt(2)
	v_add_co_u32 v3, vcc_lo, v15, v22
	v_add_co_ci_u32_e32 v4, vcc_lo, 0, v17, vcc_lo
.LBB1012_203:
	s_or_b32 exec_lo, exec_lo, s3
	s_waitcnt lgkmcnt(2)
	s_delay_alu instid0(VALU_DEP_1) | instskip(NEXT) | instid1(VALU_DEP_1)
	v_lshlrev_b64 v[3:4], 2, v[3:4]
	v_add_co_u32 v3, vcc_lo, s12, v3
	s_delay_alu instid0(VALU_DEP_2)
	v_add_co_ci_u32_e32 v4, vcc_lo, s13, v4, vcc_lo
	s_waitcnt lgkmcnt(1)
	global_store_b32 v[3:4], v2, off
.LBB1012_204:
	s_or_b32 exec_lo, exec_lo, s1
	s_delay_alu instid0(SALU_CYCLE_1)
	s_mov_b32 s1, exec_lo
                                        ; implicit-def: $vgpr13_vgpr14
	v_cmpx_gt_u32_e64 s11, v21
	s_cbranch_execz .LBB1012_210
; %bb.205:
	s_mov_b32 s3, exec_lo
                                        ; implicit-def: $vgpr13_vgpr14
	v_cmpx_ge_u32_e64 v21, v16
	s_xor_b32 s3, exec_lo, s3
	s_cbranch_execz .LBB1012_207
; %bb.206:
	v_xor_b32_e32 v0, 0xfffff3ff, v0
                                        ; implicit-def: $vgpr21
	s_waitcnt lgkmcnt(1)
	s_delay_alu instid0(VALU_DEP_1) | instskip(SKIP_1) | instid1(VALU_DEP_2)
	v_ashrrev_i32_e32 v1, 31, v0
	v_add_co_u32 v13, vcc_lo, v18, v0
	v_add_co_ci_u32_e32 v14, vcc_lo, v19, v1, vcc_lo
.LBB1012_207:
	s_and_not1_saveexec_b32 s3, s3
; %bb.208:
	v_add_co_u32 v13, vcc_lo, v15, v21
	v_add_co_ci_u32_e32 v14, vcc_lo, 0, v17, vcc_lo
; %bb.209:
	s_or_b32 exec_lo, exec_lo, s3
	s_delay_alu instid0(SALU_CYCLE_1)
	s_or_b32 s0, s0, exec_lo
.LBB1012_210:
	s_or_b32 exec_lo, exec_lo, s1
	s_and_saveexec_b32 s1, s0
	s_cbranch_execnz .LBB1012_129
.LBB1012_211:
	s_or_b32 exec_lo, exec_lo, s1
	s_and_b32 s0, s2, s10
	s_delay_alu instid0(SALU_CYCLE_1)
	s_and_saveexec_b32 s1, s0
	s_cbranch_execz .LBB1012_130
.LBB1012_212:
	v_add_co_u32 v0, vcc_lo, v15, v16
	s_waitcnt lgkmcnt(1)
	v_mov_b32_e32 v2, 0
	v_add_co_ci_u32_e32 v1, vcc_lo, 0, v17, vcc_lo
	global_store_b64 v2, v[0:1], s[8:9]
	s_nop 0
	s_sendmsg sendmsg(MSG_DEALLOC_VGPRS)
	s_endpgm
	.section	.rodata,"a",@progbits
	.p2align	6, 0x0
	.amdhsa_kernel _ZN7rocprim17ROCPRIM_400000_NS6detail17trampoline_kernelINS0_13select_configILj256ELj13ELNS0_17block_load_methodE3ELS4_3ELS4_3ELNS0_20block_scan_algorithmE0ELj4294967295EEENS1_25partition_config_selectorILNS1_17partition_subalgoE3EjNS0_10empty_typeEbEEZZNS1_14partition_implILS8_3ELb0ES6_jNS0_17counting_iteratorIjlEEPS9_SE_NS0_5tupleIJPjSE_EEENSF_IJSE_SE_EEES9_SG_JZNS1_25segmented_radix_sort_implINS0_14default_configELb0EPKsPsPKlPlN2at6native12_GLOBAL__N_18offset_tEEE10hipError_tPvRmT1_PNSt15iterator_traitsISY_E10value_typeET2_T3_PNSZ_IS14_E10value_typeET4_jRbjT5_S1A_jjP12ihipStream_tbEUljE_EEESV_SW_SX_S14_S18_S1A_T6_T7_T9_mT8_S1C_bDpT10_ENKUlT_T0_E_clISt17integral_constantIbLb0EES1O_IbLb1EEEEDaS1K_S1L_EUlS1K_E_NS1_11comp_targetILNS1_3genE9ELNS1_11target_archE1100ELNS1_3gpuE3ELNS1_3repE0EEENS1_30default_config_static_selectorELNS0_4arch9wavefront6targetE0EEEvSY_
		.amdhsa_group_segment_fixed_size 13324
		.amdhsa_private_segment_fixed_size 0
		.amdhsa_kernarg_size 152
		.amdhsa_user_sgpr_count 15
		.amdhsa_user_sgpr_dispatch_ptr 0
		.amdhsa_user_sgpr_queue_ptr 0
		.amdhsa_user_sgpr_kernarg_segment_ptr 1
		.amdhsa_user_sgpr_dispatch_id 0
		.amdhsa_user_sgpr_private_segment_size 0
		.amdhsa_wavefront_size32 1
		.amdhsa_uses_dynamic_stack 0
		.amdhsa_enable_private_segment 0
		.amdhsa_system_sgpr_workgroup_id_x 1
		.amdhsa_system_sgpr_workgroup_id_y 0
		.amdhsa_system_sgpr_workgroup_id_z 0
		.amdhsa_system_sgpr_workgroup_info 0
		.amdhsa_system_vgpr_workitem_id 0
		.amdhsa_next_free_vgpr 60
		.amdhsa_next_free_sgpr 26
		.amdhsa_reserve_vcc 1
		.amdhsa_float_round_mode_32 0
		.amdhsa_float_round_mode_16_64 0
		.amdhsa_float_denorm_mode_32 3
		.amdhsa_float_denorm_mode_16_64 3
		.amdhsa_dx10_clamp 1
		.amdhsa_ieee_mode 1
		.amdhsa_fp16_overflow 0
		.amdhsa_workgroup_processor_mode 1
		.amdhsa_memory_ordered 1
		.amdhsa_forward_progress 0
		.amdhsa_shared_vgpr_count 0
		.amdhsa_exception_fp_ieee_invalid_op 0
		.amdhsa_exception_fp_denorm_src 0
		.amdhsa_exception_fp_ieee_div_zero 0
		.amdhsa_exception_fp_ieee_overflow 0
		.amdhsa_exception_fp_ieee_underflow 0
		.amdhsa_exception_fp_ieee_inexact 0
		.amdhsa_exception_int_div_zero 0
	.end_amdhsa_kernel
	.section	.text._ZN7rocprim17ROCPRIM_400000_NS6detail17trampoline_kernelINS0_13select_configILj256ELj13ELNS0_17block_load_methodE3ELS4_3ELS4_3ELNS0_20block_scan_algorithmE0ELj4294967295EEENS1_25partition_config_selectorILNS1_17partition_subalgoE3EjNS0_10empty_typeEbEEZZNS1_14partition_implILS8_3ELb0ES6_jNS0_17counting_iteratorIjlEEPS9_SE_NS0_5tupleIJPjSE_EEENSF_IJSE_SE_EEES9_SG_JZNS1_25segmented_radix_sort_implINS0_14default_configELb0EPKsPsPKlPlN2at6native12_GLOBAL__N_18offset_tEEE10hipError_tPvRmT1_PNSt15iterator_traitsISY_E10value_typeET2_T3_PNSZ_IS14_E10value_typeET4_jRbjT5_S1A_jjP12ihipStream_tbEUljE_EEESV_SW_SX_S14_S18_S1A_T6_T7_T9_mT8_S1C_bDpT10_ENKUlT_T0_E_clISt17integral_constantIbLb0EES1O_IbLb1EEEEDaS1K_S1L_EUlS1K_E_NS1_11comp_targetILNS1_3genE9ELNS1_11target_archE1100ELNS1_3gpuE3ELNS1_3repE0EEENS1_30default_config_static_selectorELNS0_4arch9wavefront6targetE0EEEvSY_,"axG",@progbits,_ZN7rocprim17ROCPRIM_400000_NS6detail17trampoline_kernelINS0_13select_configILj256ELj13ELNS0_17block_load_methodE3ELS4_3ELS4_3ELNS0_20block_scan_algorithmE0ELj4294967295EEENS1_25partition_config_selectorILNS1_17partition_subalgoE3EjNS0_10empty_typeEbEEZZNS1_14partition_implILS8_3ELb0ES6_jNS0_17counting_iteratorIjlEEPS9_SE_NS0_5tupleIJPjSE_EEENSF_IJSE_SE_EEES9_SG_JZNS1_25segmented_radix_sort_implINS0_14default_configELb0EPKsPsPKlPlN2at6native12_GLOBAL__N_18offset_tEEE10hipError_tPvRmT1_PNSt15iterator_traitsISY_E10value_typeET2_T3_PNSZ_IS14_E10value_typeET4_jRbjT5_S1A_jjP12ihipStream_tbEUljE_EEESV_SW_SX_S14_S18_S1A_T6_T7_T9_mT8_S1C_bDpT10_ENKUlT_T0_E_clISt17integral_constantIbLb0EES1O_IbLb1EEEEDaS1K_S1L_EUlS1K_E_NS1_11comp_targetILNS1_3genE9ELNS1_11target_archE1100ELNS1_3gpuE3ELNS1_3repE0EEENS1_30default_config_static_selectorELNS0_4arch9wavefront6targetE0EEEvSY_,comdat
.Lfunc_end1012:
	.size	_ZN7rocprim17ROCPRIM_400000_NS6detail17trampoline_kernelINS0_13select_configILj256ELj13ELNS0_17block_load_methodE3ELS4_3ELS4_3ELNS0_20block_scan_algorithmE0ELj4294967295EEENS1_25partition_config_selectorILNS1_17partition_subalgoE3EjNS0_10empty_typeEbEEZZNS1_14partition_implILS8_3ELb0ES6_jNS0_17counting_iteratorIjlEEPS9_SE_NS0_5tupleIJPjSE_EEENSF_IJSE_SE_EEES9_SG_JZNS1_25segmented_radix_sort_implINS0_14default_configELb0EPKsPsPKlPlN2at6native12_GLOBAL__N_18offset_tEEE10hipError_tPvRmT1_PNSt15iterator_traitsISY_E10value_typeET2_T3_PNSZ_IS14_E10value_typeET4_jRbjT5_S1A_jjP12ihipStream_tbEUljE_EEESV_SW_SX_S14_S18_S1A_T6_T7_T9_mT8_S1C_bDpT10_ENKUlT_T0_E_clISt17integral_constantIbLb0EES1O_IbLb1EEEEDaS1K_S1L_EUlS1K_E_NS1_11comp_targetILNS1_3genE9ELNS1_11target_archE1100ELNS1_3gpuE3ELNS1_3repE0EEENS1_30default_config_static_selectorELNS0_4arch9wavefront6targetE0EEEvSY_, .Lfunc_end1012-_ZN7rocprim17ROCPRIM_400000_NS6detail17trampoline_kernelINS0_13select_configILj256ELj13ELNS0_17block_load_methodE3ELS4_3ELS4_3ELNS0_20block_scan_algorithmE0ELj4294967295EEENS1_25partition_config_selectorILNS1_17partition_subalgoE3EjNS0_10empty_typeEbEEZZNS1_14partition_implILS8_3ELb0ES6_jNS0_17counting_iteratorIjlEEPS9_SE_NS0_5tupleIJPjSE_EEENSF_IJSE_SE_EEES9_SG_JZNS1_25segmented_radix_sort_implINS0_14default_configELb0EPKsPsPKlPlN2at6native12_GLOBAL__N_18offset_tEEE10hipError_tPvRmT1_PNSt15iterator_traitsISY_E10value_typeET2_T3_PNSZ_IS14_E10value_typeET4_jRbjT5_S1A_jjP12ihipStream_tbEUljE_EEESV_SW_SX_S14_S18_S1A_T6_T7_T9_mT8_S1C_bDpT10_ENKUlT_T0_E_clISt17integral_constantIbLb0EES1O_IbLb1EEEEDaS1K_S1L_EUlS1K_E_NS1_11comp_targetILNS1_3genE9ELNS1_11target_archE1100ELNS1_3gpuE3ELNS1_3repE0EEENS1_30default_config_static_selectorELNS0_4arch9wavefront6targetE0EEEvSY_
                                        ; -- End function
	.section	.AMDGPU.csdata,"",@progbits
; Kernel info:
; codeLenInByte = 9040
; NumSgprs: 28
; NumVgprs: 60
; ScratchSize: 0
; MemoryBound: 0
; FloatMode: 240
; IeeeMode: 1
; LDSByteSize: 13324 bytes/workgroup (compile time only)
; SGPRBlocks: 3
; VGPRBlocks: 7
; NumSGPRsForWavesPerEU: 28
; NumVGPRsForWavesPerEU: 60
; Occupancy: 16
; WaveLimiterHint : 0
; COMPUTE_PGM_RSRC2:SCRATCH_EN: 0
; COMPUTE_PGM_RSRC2:USER_SGPR: 15
; COMPUTE_PGM_RSRC2:TRAP_HANDLER: 0
; COMPUTE_PGM_RSRC2:TGID_X_EN: 1
; COMPUTE_PGM_RSRC2:TGID_Y_EN: 0
; COMPUTE_PGM_RSRC2:TGID_Z_EN: 0
; COMPUTE_PGM_RSRC2:TIDIG_COMP_CNT: 0
	.section	.text._ZN7rocprim17ROCPRIM_400000_NS6detail17trampoline_kernelINS0_13select_configILj256ELj13ELNS0_17block_load_methodE3ELS4_3ELS4_3ELNS0_20block_scan_algorithmE0ELj4294967295EEENS1_25partition_config_selectorILNS1_17partition_subalgoE3EjNS0_10empty_typeEbEEZZNS1_14partition_implILS8_3ELb0ES6_jNS0_17counting_iteratorIjlEEPS9_SE_NS0_5tupleIJPjSE_EEENSF_IJSE_SE_EEES9_SG_JZNS1_25segmented_radix_sort_implINS0_14default_configELb0EPKsPsPKlPlN2at6native12_GLOBAL__N_18offset_tEEE10hipError_tPvRmT1_PNSt15iterator_traitsISY_E10value_typeET2_T3_PNSZ_IS14_E10value_typeET4_jRbjT5_S1A_jjP12ihipStream_tbEUljE_EEESV_SW_SX_S14_S18_S1A_T6_T7_T9_mT8_S1C_bDpT10_ENKUlT_T0_E_clISt17integral_constantIbLb0EES1O_IbLb1EEEEDaS1K_S1L_EUlS1K_E_NS1_11comp_targetILNS1_3genE8ELNS1_11target_archE1030ELNS1_3gpuE2ELNS1_3repE0EEENS1_30default_config_static_selectorELNS0_4arch9wavefront6targetE0EEEvSY_,"axG",@progbits,_ZN7rocprim17ROCPRIM_400000_NS6detail17trampoline_kernelINS0_13select_configILj256ELj13ELNS0_17block_load_methodE3ELS4_3ELS4_3ELNS0_20block_scan_algorithmE0ELj4294967295EEENS1_25partition_config_selectorILNS1_17partition_subalgoE3EjNS0_10empty_typeEbEEZZNS1_14partition_implILS8_3ELb0ES6_jNS0_17counting_iteratorIjlEEPS9_SE_NS0_5tupleIJPjSE_EEENSF_IJSE_SE_EEES9_SG_JZNS1_25segmented_radix_sort_implINS0_14default_configELb0EPKsPsPKlPlN2at6native12_GLOBAL__N_18offset_tEEE10hipError_tPvRmT1_PNSt15iterator_traitsISY_E10value_typeET2_T3_PNSZ_IS14_E10value_typeET4_jRbjT5_S1A_jjP12ihipStream_tbEUljE_EEESV_SW_SX_S14_S18_S1A_T6_T7_T9_mT8_S1C_bDpT10_ENKUlT_T0_E_clISt17integral_constantIbLb0EES1O_IbLb1EEEEDaS1K_S1L_EUlS1K_E_NS1_11comp_targetILNS1_3genE8ELNS1_11target_archE1030ELNS1_3gpuE2ELNS1_3repE0EEENS1_30default_config_static_selectorELNS0_4arch9wavefront6targetE0EEEvSY_,comdat
	.globl	_ZN7rocprim17ROCPRIM_400000_NS6detail17trampoline_kernelINS0_13select_configILj256ELj13ELNS0_17block_load_methodE3ELS4_3ELS4_3ELNS0_20block_scan_algorithmE0ELj4294967295EEENS1_25partition_config_selectorILNS1_17partition_subalgoE3EjNS0_10empty_typeEbEEZZNS1_14partition_implILS8_3ELb0ES6_jNS0_17counting_iteratorIjlEEPS9_SE_NS0_5tupleIJPjSE_EEENSF_IJSE_SE_EEES9_SG_JZNS1_25segmented_radix_sort_implINS0_14default_configELb0EPKsPsPKlPlN2at6native12_GLOBAL__N_18offset_tEEE10hipError_tPvRmT1_PNSt15iterator_traitsISY_E10value_typeET2_T3_PNSZ_IS14_E10value_typeET4_jRbjT5_S1A_jjP12ihipStream_tbEUljE_EEESV_SW_SX_S14_S18_S1A_T6_T7_T9_mT8_S1C_bDpT10_ENKUlT_T0_E_clISt17integral_constantIbLb0EES1O_IbLb1EEEEDaS1K_S1L_EUlS1K_E_NS1_11comp_targetILNS1_3genE8ELNS1_11target_archE1030ELNS1_3gpuE2ELNS1_3repE0EEENS1_30default_config_static_selectorELNS0_4arch9wavefront6targetE0EEEvSY_ ; -- Begin function _ZN7rocprim17ROCPRIM_400000_NS6detail17trampoline_kernelINS0_13select_configILj256ELj13ELNS0_17block_load_methodE3ELS4_3ELS4_3ELNS0_20block_scan_algorithmE0ELj4294967295EEENS1_25partition_config_selectorILNS1_17partition_subalgoE3EjNS0_10empty_typeEbEEZZNS1_14partition_implILS8_3ELb0ES6_jNS0_17counting_iteratorIjlEEPS9_SE_NS0_5tupleIJPjSE_EEENSF_IJSE_SE_EEES9_SG_JZNS1_25segmented_radix_sort_implINS0_14default_configELb0EPKsPsPKlPlN2at6native12_GLOBAL__N_18offset_tEEE10hipError_tPvRmT1_PNSt15iterator_traitsISY_E10value_typeET2_T3_PNSZ_IS14_E10value_typeET4_jRbjT5_S1A_jjP12ihipStream_tbEUljE_EEESV_SW_SX_S14_S18_S1A_T6_T7_T9_mT8_S1C_bDpT10_ENKUlT_T0_E_clISt17integral_constantIbLb0EES1O_IbLb1EEEEDaS1K_S1L_EUlS1K_E_NS1_11comp_targetILNS1_3genE8ELNS1_11target_archE1030ELNS1_3gpuE2ELNS1_3repE0EEENS1_30default_config_static_selectorELNS0_4arch9wavefront6targetE0EEEvSY_
	.p2align	8
	.type	_ZN7rocprim17ROCPRIM_400000_NS6detail17trampoline_kernelINS0_13select_configILj256ELj13ELNS0_17block_load_methodE3ELS4_3ELS4_3ELNS0_20block_scan_algorithmE0ELj4294967295EEENS1_25partition_config_selectorILNS1_17partition_subalgoE3EjNS0_10empty_typeEbEEZZNS1_14partition_implILS8_3ELb0ES6_jNS0_17counting_iteratorIjlEEPS9_SE_NS0_5tupleIJPjSE_EEENSF_IJSE_SE_EEES9_SG_JZNS1_25segmented_radix_sort_implINS0_14default_configELb0EPKsPsPKlPlN2at6native12_GLOBAL__N_18offset_tEEE10hipError_tPvRmT1_PNSt15iterator_traitsISY_E10value_typeET2_T3_PNSZ_IS14_E10value_typeET4_jRbjT5_S1A_jjP12ihipStream_tbEUljE_EEESV_SW_SX_S14_S18_S1A_T6_T7_T9_mT8_S1C_bDpT10_ENKUlT_T0_E_clISt17integral_constantIbLb0EES1O_IbLb1EEEEDaS1K_S1L_EUlS1K_E_NS1_11comp_targetILNS1_3genE8ELNS1_11target_archE1030ELNS1_3gpuE2ELNS1_3repE0EEENS1_30default_config_static_selectorELNS0_4arch9wavefront6targetE0EEEvSY_,@function
_ZN7rocprim17ROCPRIM_400000_NS6detail17trampoline_kernelINS0_13select_configILj256ELj13ELNS0_17block_load_methodE3ELS4_3ELS4_3ELNS0_20block_scan_algorithmE0ELj4294967295EEENS1_25partition_config_selectorILNS1_17partition_subalgoE3EjNS0_10empty_typeEbEEZZNS1_14partition_implILS8_3ELb0ES6_jNS0_17counting_iteratorIjlEEPS9_SE_NS0_5tupleIJPjSE_EEENSF_IJSE_SE_EEES9_SG_JZNS1_25segmented_radix_sort_implINS0_14default_configELb0EPKsPsPKlPlN2at6native12_GLOBAL__N_18offset_tEEE10hipError_tPvRmT1_PNSt15iterator_traitsISY_E10value_typeET2_T3_PNSZ_IS14_E10value_typeET4_jRbjT5_S1A_jjP12ihipStream_tbEUljE_EEESV_SW_SX_S14_S18_S1A_T6_T7_T9_mT8_S1C_bDpT10_ENKUlT_T0_E_clISt17integral_constantIbLb0EES1O_IbLb1EEEEDaS1K_S1L_EUlS1K_E_NS1_11comp_targetILNS1_3genE8ELNS1_11target_archE1030ELNS1_3gpuE2ELNS1_3repE0EEENS1_30default_config_static_selectorELNS0_4arch9wavefront6targetE0EEEvSY_: ; @_ZN7rocprim17ROCPRIM_400000_NS6detail17trampoline_kernelINS0_13select_configILj256ELj13ELNS0_17block_load_methodE3ELS4_3ELS4_3ELNS0_20block_scan_algorithmE0ELj4294967295EEENS1_25partition_config_selectorILNS1_17partition_subalgoE3EjNS0_10empty_typeEbEEZZNS1_14partition_implILS8_3ELb0ES6_jNS0_17counting_iteratorIjlEEPS9_SE_NS0_5tupleIJPjSE_EEENSF_IJSE_SE_EEES9_SG_JZNS1_25segmented_radix_sort_implINS0_14default_configELb0EPKsPsPKlPlN2at6native12_GLOBAL__N_18offset_tEEE10hipError_tPvRmT1_PNSt15iterator_traitsISY_E10value_typeET2_T3_PNSZ_IS14_E10value_typeET4_jRbjT5_S1A_jjP12ihipStream_tbEUljE_EEESV_SW_SX_S14_S18_S1A_T6_T7_T9_mT8_S1C_bDpT10_ENKUlT_T0_E_clISt17integral_constantIbLb0EES1O_IbLb1EEEEDaS1K_S1L_EUlS1K_E_NS1_11comp_targetILNS1_3genE8ELNS1_11target_archE1030ELNS1_3gpuE2ELNS1_3repE0EEENS1_30default_config_static_selectorELNS0_4arch9wavefront6targetE0EEEvSY_
; %bb.0:
	.section	.rodata,"a",@progbits
	.p2align	6, 0x0
	.amdhsa_kernel _ZN7rocprim17ROCPRIM_400000_NS6detail17trampoline_kernelINS0_13select_configILj256ELj13ELNS0_17block_load_methodE3ELS4_3ELS4_3ELNS0_20block_scan_algorithmE0ELj4294967295EEENS1_25partition_config_selectorILNS1_17partition_subalgoE3EjNS0_10empty_typeEbEEZZNS1_14partition_implILS8_3ELb0ES6_jNS0_17counting_iteratorIjlEEPS9_SE_NS0_5tupleIJPjSE_EEENSF_IJSE_SE_EEES9_SG_JZNS1_25segmented_radix_sort_implINS0_14default_configELb0EPKsPsPKlPlN2at6native12_GLOBAL__N_18offset_tEEE10hipError_tPvRmT1_PNSt15iterator_traitsISY_E10value_typeET2_T3_PNSZ_IS14_E10value_typeET4_jRbjT5_S1A_jjP12ihipStream_tbEUljE_EEESV_SW_SX_S14_S18_S1A_T6_T7_T9_mT8_S1C_bDpT10_ENKUlT_T0_E_clISt17integral_constantIbLb0EES1O_IbLb1EEEEDaS1K_S1L_EUlS1K_E_NS1_11comp_targetILNS1_3genE8ELNS1_11target_archE1030ELNS1_3gpuE2ELNS1_3repE0EEENS1_30default_config_static_selectorELNS0_4arch9wavefront6targetE0EEEvSY_
		.amdhsa_group_segment_fixed_size 0
		.amdhsa_private_segment_fixed_size 0
		.amdhsa_kernarg_size 152
		.amdhsa_user_sgpr_count 15
		.amdhsa_user_sgpr_dispatch_ptr 0
		.amdhsa_user_sgpr_queue_ptr 0
		.amdhsa_user_sgpr_kernarg_segment_ptr 1
		.amdhsa_user_sgpr_dispatch_id 0
		.amdhsa_user_sgpr_private_segment_size 0
		.amdhsa_wavefront_size32 1
		.amdhsa_uses_dynamic_stack 0
		.amdhsa_enable_private_segment 0
		.amdhsa_system_sgpr_workgroup_id_x 1
		.amdhsa_system_sgpr_workgroup_id_y 0
		.amdhsa_system_sgpr_workgroup_id_z 0
		.amdhsa_system_sgpr_workgroup_info 0
		.amdhsa_system_vgpr_workitem_id 0
		.amdhsa_next_free_vgpr 1
		.amdhsa_next_free_sgpr 1
		.amdhsa_reserve_vcc 0
		.amdhsa_float_round_mode_32 0
		.amdhsa_float_round_mode_16_64 0
		.amdhsa_float_denorm_mode_32 3
		.amdhsa_float_denorm_mode_16_64 3
		.amdhsa_dx10_clamp 1
		.amdhsa_ieee_mode 1
		.amdhsa_fp16_overflow 0
		.amdhsa_workgroup_processor_mode 1
		.amdhsa_memory_ordered 1
		.amdhsa_forward_progress 0
		.amdhsa_shared_vgpr_count 0
		.amdhsa_exception_fp_ieee_invalid_op 0
		.amdhsa_exception_fp_denorm_src 0
		.amdhsa_exception_fp_ieee_div_zero 0
		.amdhsa_exception_fp_ieee_overflow 0
		.amdhsa_exception_fp_ieee_underflow 0
		.amdhsa_exception_fp_ieee_inexact 0
		.amdhsa_exception_int_div_zero 0
	.end_amdhsa_kernel
	.section	.text._ZN7rocprim17ROCPRIM_400000_NS6detail17trampoline_kernelINS0_13select_configILj256ELj13ELNS0_17block_load_methodE3ELS4_3ELS4_3ELNS0_20block_scan_algorithmE0ELj4294967295EEENS1_25partition_config_selectorILNS1_17partition_subalgoE3EjNS0_10empty_typeEbEEZZNS1_14partition_implILS8_3ELb0ES6_jNS0_17counting_iteratorIjlEEPS9_SE_NS0_5tupleIJPjSE_EEENSF_IJSE_SE_EEES9_SG_JZNS1_25segmented_radix_sort_implINS0_14default_configELb0EPKsPsPKlPlN2at6native12_GLOBAL__N_18offset_tEEE10hipError_tPvRmT1_PNSt15iterator_traitsISY_E10value_typeET2_T3_PNSZ_IS14_E10value_typeET4_jRbjT5_S1A_jjP12ihipStream_tbEUljE_EEESV_SW_SX_S14_S18_S1A_T6_T7_T9_mT8_S1C_bDpT10_ENKUlT_T0_E_clISt17integral_constantIbLb0EES1O_IbLb1EEEEDaS1K_S1L_EUlS1K_E_NS1_11comp_targetILNS1_3genE8ELNS1_11target_archE1030ELNS1_3gpuE2ELNS1_3repE0EEENS1_30default_config_static_selectorELNS0_4arch9wavefront6targetE0EEEvSY_,"axG",@progbits,_ZN7rocprim17ROCPRIM_400000_NS6detail17trampoline_kernelINS0_13select_configILj256ELj13ELNS0_17block_load_methodE3ELS4_3ELS4_3ELNS0_20block_scan_algorithmE0ELj4294967295EEENS1_25partition_config_selectorILNS1_17partition_subalgoE3EjNS0_10empty_typeEbEEZZNS1_14partition_implILS8_3ELb0ES6_jNS0_17counting_iteratorIjlEEPS9_SE_NS0_5tupleIJPjSE_EEENSF_IJSE_SE_EEES9_SG_JZNS1_25segmented_radix_sort_implINS0_14default_configELb0EPKsPsPKlPlN2at6native12_GLOBAL__N_18offset_tEEE10hipError_tPvRmT1_PNSt15iterator_traitsISY_E10value_typeET2_T3_PNSZ_IS14_E10value_typeET4_jRbjT5_S1A_jjP12ihipStream_tbEUljE_EEESV_SW_SX_S14_S18_S1A_T6_T7_T9_mT8_S1C_bDpT10_ENKUlT_T0_E_clISt17integral_constantIbLb0EES1O_IbLb1EEEEDaS1K_S1L_EUlS1K_E_NS1_11comp_targetILNS1_3genE8ELNS1_11target_archE1030ELNS1_3gpuE2ELNS1_3repE0EEENS1_30default_config_static_selectorELNS0_4arch9wavefront6targetE0EEEvSY_,comdat
.Lfunc_end1013:
	.size	_ZN7rocprim17ROCPRIM_400000_NS6detail17trampoline_kernelINS0_13select_configILj256ELj13ELNS0_17block_load_methodE3ELS4_3ELS4_3ELNS0_20block_scan_algorithmE0ELj4294967295EEENS1_25partition_config_selectorILNS1_17partition_subalgoE3EjNS0_10empty_typeEbEEZZNS1_14partition_implILS8_3ELb0ES6_jNS0_17counting_iteratorIjlEEPS9_SE_NS0_5tupleIJPjSE_EEENSF_IJSE_SE_EEES9_SG_JZNS1_25segmented_radix_sort_implINS0_14default_configELb0EPKsPsPKlPlN2at6native12_GLOBAL__N_18offset_tEEE10hipError_tPvRmT1_PNSt15iterator_traitsISY_E10value_typeET2_T3_PNSZ_IS14_E10value_typeET4_jRbjT5_S1A_jjP12ihipStream_tbEUljE_EEESV_SW_SX_S14_S18_S1A_T6_T7_T9_mT8_S1C_bDpT10_ENKUlT_T0_E_clISt17integral_constantIbLb0EES1O_IbLb1EEEEDaS1K_S1L_EUlS1K_E_NS1_11comp_targetILNS1_3genE8ELNS1_11target_archE1030ELNS1_3gpuE2ELNS1_3repE0EEENS1_30default_config_static_selectorELNS0_4arch9wavefront6targetE0EEEvSY_, .Lfunc_end1013-_ZN7rocprim17ROCPRIM_400000_NS6detail17trampoline_kernelINS0_13select_configILj256ELj13ELNS0_17block_load_methodE3ELS4_3ELS4_3ELNS0_20block_scan_algorithmE0ELj4294967295EEENS1_25partition_config_selectorILNS1_17partition_subalgoE3EjNS0_10empty_typeEbEEZZNS1_14partition_implILS8_3ELb0ES6_jNS0_17counting_iteratorIjlEEPS9_SE_NS0_5tupleIJPjSE_EEENSF_IJSE_SE_EEES9_SG_JZNS1_25segmented_radix_sort_implINS0_14default_configELb0EPKsPsPKlPlN2at6native12_GLOBAL__N_18offset_tEEE10hipError_tPvRmT1_PNSt15iterator_traitsISY_E10value_typeET2_T3_PNSZ_IS14_E10value_typeET4_jRbjT5_S1A_jjP12ihipStream_tbEUljE_EEESV_SW_SX_S14_S18_S1A_T6_T7_T9_mT8_S1C_bDpT10_ENKUlT_T0_E_clISt17integral_constantIbLb0EES1O_IbLb1EEEEDaS1K_S1L_EUlS1K_E_NS1_11comp_targetILNS1_3genE8ELNS1_11target_archE1030ELNS1_3gpuE2ELNS1_3repE0EEENS1_30default_config_static_selectorELNS0_4arch9wavefront6targetE0EEEvSY_
                                        ; -- End function
	.section	.AMDGPU.csdata,"",@progbits
; Kernel info:
; codeLenInByte = 0
; NumSgprs: 0
; NumVgprs: 0
; ScratchSize: 0
; MemoryBound: 0
; FloatMode: 240
; IeeeMode: 1
; LDSByteSize: 0 bytes/workgroup (compile time only)
; SGPRBlocks: 0
; VGPRBlocks: 0
; NumSGPRsForWavesPerEU: 1
; NumVGPRsForWavesPerEU: 1
; Occupancy: 16
; WaveLimiterHint : 0
; COMPUTE_PGM_RSRC2:SCRATCH_EN: 0
; COMPUTE_PGM_RSRC2:USER_SGPR: 15
; COMPUTE_PGM_RSRC2:TRAP_HANDLER: 0
; COMPUTE_PGM_RSRC2:TGID_X_EN: 1
; COMPUTE_PGM_RSRC2:TGID_Y_EN: 0
; COMPUTE_PGM_RSRC2:TGID_Z_EN: 0
; COMPUTE_PGM_RSRC2:TIDIG_COMP_CNT: 0
	.section	.text._ZN7rocprim17ROCPRIM_400000_NS6detail17trampoline_kernelINS0_14default_configENS1_36segmented_radix_sort_config_selectorIslEEZNS1_25segmented_radix_sort_implIS3_Lb0EPKsPsPKlPlN2at6native12_GLOBAL__N_18offset_tEEE10hipError_tPvRmT1_PNSt15iterator_traitsISK_E10value_typeET2_T3_PNSL_ISQ_E10value_typeET4_jRbjT5_SW_jjP12ihipStream_tbEUlT_E_NS1_11comp_targetILNS1_3genE0ELNS1_11target_archE4294967295ELNS1_3gpuE0ELNS1_3repE0EEENS1_30default_config_static_selectorELNS0_4arch9wavefront6targetE0EEEvSK_,"axG",@progbits,_ZN7rocprim17ROCPRIM_400000_NS6detail17trampoline_kernelINS0_14default_configENS1_36segmented_radix_sort_config_selectorIslEEZNS1_25segmented_radix_sort_implIS3_Lb0EPKsPsPKlPlN2at6native12_GLOBAL__N_18offset_tEEE10hipError_tPvRmT1_PNSt15iterator_traitsISK_E10value_typeET2_T3_PNSL_ISQ_E10value_typeET4_jRbjT5_SW_jjP12ihipStream_tbEUlT_E_NS1_11comp_targetILNS1_3genE0ELNS1_11target_archE4294967295ELNS1_3gpuE0ELNS1_3repE0EEENS1_30default_config_static_selectorELNS0_4arch9wavefront6targetE0EEEvSK_,comdat
	.globl	_ZN7rocprim17ROCPRIM_400000_NS6detail17trampoline_kernelINS0_14default_configENS1_36segmented_radix_sort_config_selectorIslEEZNS1_25segmented_radix_sort_implIS3_Lb0EPKsPsPKlPlN2at6native12_GLOBAL__N_18offset_tEEE10hipError_tPvRmT1_PNSt15iterator_traitsISK_E10value_typeET2_T3_PNSL_ISQ_E10value_typeET4_jRbjT5_SW_jjP12ihipStream_tbEUlT_E_NS1_11comp_targetILNS1_3genE0ELNS1_11target_archE4294967295ELNS1_3gpuE0ELNS1_3repE0EEENS1_30default_config_static_selectorELNS0_4arch9wavefront6targetE0EEEvSK_ ; -- Begin function _ZN7rocprim17ROCPRIM_400000_NS6detail17trampoline_kernelINS0_14default_configENS1_36segmented_radix_sort_config_selectorIslEEZNS1_25segmented_radix_sort_implIS3_Lb0EPKsPsPKlPlN2at6native12_GLOBAL__N_18offset_tEEE10hipError_tPvRmT1_PNSt15iterator_traitsISK_E10value_typeET2_T3_PNSL_ISQ_E10value_typeET4_jRbjT5_SW_jjP12ihipStream_tbEUlT_E_NS1_11comp_targetILNS1_3genE0ELNS1_11target_archE4294967295ELNS1_3gpuE0ELNS1_3repE0EEENS1_30default_config_static_selectorELNS0_4arch9wavefront6targetE0EEEvSK_
	.p2align	8
	.type	_ZN7rocprim17ROCPRIM_400000_NS6detail17trampoline_kernelINS0_14default_configENS1_36segmented_radix_sort_config_selectorIslEEZNS1_25segmented_radix_sort_implIS3_Lb0EPKsPsPKlPlN2at6native12_GLOBAL__N_18offset_tEEE10hipError_tPvRmT1_PNSt15iterator_traitsISK_E10value_typeET2_T3_PNSL_ISQ_E10value_typeET4_jRbjT5_SW_jjP12ihipStream_tbEUlT_E_NS1_11comp_targetILNS1_3genE0ELNS1_11target_archE4294967295ELNS1_3gpuE0ELNS1_3repE0EEENS1_30default_config_static_selectorELNS0_4arch9wavefront6targetE0EEEvSK_,@function
_ZN7rocprim17ROCPRIM_400000_NS6detail17trampoline_kernelINS0_14default_configENS1_36segmented_radix_sort_config_selectorIslEEZNS1_25segmented_radix_sort_implIS3_Lb0EPKsPsPKlPlN2at6native12_GLOBAL__N_18offset_tEEE10hipError_tPvRmT1_PNSt15iterator_traitsISK_E10value_typeET2_T3_PNSL_ISQ_E10value_typeET4_jRbjT5_SW_jjP12ihipStream_tbEUlT_E_NS1_11comp_targetILNS1_3genE0ELNS1_11target_archE4294967295ELNS1_3gpuE0ELNS1_3repE0EEENS1_30default_config_static_selectorELNS0_4arch9wavefront6targetE0EEEvSK_: ; @_ZN7rocprim17ROCPRIM_400000_NS6detail17trampoline_kernelINS0_14default_configENS1_36segmented_radix_sort_config_selectorIslEEZNS1_25segmented_radix_sort_implIS3_Lb0EPKsPsPKlPlN2at6native12_GLOBAL__N_18offset_tEEE10hipError_tPvRmT1_PNSt15iterator_traitsISK_E10value_typeET2_T3_PNSL_ISQ_E10value_typeET4_jRbjT5_SW_jjP12ihipStream_tbEUlT_E_NS1_11comp_targetILNS1_3genE0ELNS1_11target_archE4294967295ELNS1_3gpuE0ELNS1_3repE0EEENS1_30default_config_static_selectorELNS0_4arch9wavefront6targetE0EEEvSK_
; %bb.0:
	.section	.rodata,"a",@progbits
	.p2align	6, 0x0
	.amdhsa_kernel _ZN7rocprim17ROCPRIM_400000_NS6detail17trampoline_kernelINS0_14default_configENS1_36segmented_radix_sort_config_selectorIslEEZNS1_25segmented_radix_sort_implIS3_Lb0EPKsPsPKlPlN2at6native12_GLOBAL__N_18offset_tEEE10hipError_tPvRmT1_PNSt15iterator_traitsISK_E10value_typeET2_T3_PNSL_ISQ_E10value_typeET4_jRbjT5_SW_jjP12ihipStream_tbEUlT_E_NS1_11comp_targetILNS1_3genE0ELNS1_11target_archE4294967295ELNS1_3gpuE0ELNS1_3repE0EEENS1_30default_config_static_selectorELNS0_4arch9wavefront6targetE0EEEvSK_
		.amdhsa_group_segment_fixed_size 0
		.amdhsa_private_segment_fixed_size 0
		.amdhsa_kernarg_size 96
		.amdhsa_user_sgpr_count 15
		.amdhsa_user_sgpr_dispatch_ptr 0
		.amdhsa_user_sgpr_queue_ptr 0
		.amdhsa_user_sgpr_kernarg_segment_ptr 1
		.amdhsa_user_sgpr_dispatch_id 0
		.amdhsa_user_sgpr_private_segment_size 0
		.amdhsa_wavefront_size32 1
		.amdhsa_uses_dynamic_stack 0
		.amdhsa_enable_private_segment 0
		.amdhsa_system_sgpr_workgroup_id_x 1
		.amdhsa_system_sgpr_workgroup_id_y 0
		.amdhsa_system_sgpr_workgroup_id_z 0
		.amdhsa_system_sgpr_workgroup_info 0
		.amdhsa_system_vgpr_workitem_id 0
		.amdhsa_next_free_vgpr 1
		.amdhsa_next_free_sgpr 1
		.amdhsa_reserve_vcc 0
		.amdhsa_float_round_mode_32 0
		.amdhsa_float_round_mode_16_64 0
		.amdhsa_float_denorm_mode_32 3
		.amdhsa_float_denorm_mode_16_64 3
		.amdhsa_dx10_clamp 1
		.amdhsa_ieee_mode 1
		.amdhsa_fp16_overflow 0
		.amdhsa_workgroup_processor_mode 1
		.amdhsa_memory_ordered 1
		.amdhsa_forward_progress 0
		.amdhsa_shared_vgpr_count 0
		.amdhsa_exception_fp_ieee_invalid_op 0
		.amdhsa_exception_fp_denorm_src 0
		.amdhsa_exception_fp_ieee_div_zero 0
		.amdhsa_exception_fp_ieee_overflow 0
		.amdhsa_exception_fp_ieee_underflow 0
		.amdhsa_exception_fp_ieee_inexact 0
		.amdhsa_exception_int_div_zero 0
	.end_amdhsa_kernel
	.section	.text._ZN7rocprim17ROCPRIM_400000_NS6detail17trampoline_kernelINS0_14default_configENS1_36segmented_radix_sort_config_selectorIslEEZNS1_25segmented_radix_sort_implIS3_Lb0EPKsPsPKlPlN2at6native12_GLOBAL__N_18offset_tEEE10hipError_tPvRmT1_PNSt15iterator_traitsISK_E10value_typeET2_T3_PNSL_ISQ_E10value_typeET4_jRbjT5_SW_jjP12ihipStream_tbEUlT_E_NS1_11comp_targetILNS1_3genE0ELNS1_11target_archE4294967295ELNS1_3gpuE0ELNS1_3repE0EEENS1_30default_config_static_selectorELNS0_4arch9wavefront6targetE0EEEvSK_,"axG",@progbits,_ZN7rocprim17ROCPRIM_400000_NS6detail17trampoline_kernelINS0_14default_configENS1_36segmented_radix_sort_config_selectorIslEEZNS1_25segmented_radix_sort_implIS3_Lb0EPKsPsPKlPlN2at6native12_GLOBAL__N_18offset_tEEE10hipError_tPvRmT1_PNSt15iterator_traitsISK_E10value_typeET2_T3_PNSL_ISQ_E10value_typeET4_jRbjT5_SW_jjP12ihipStream_tbEUlT_E_NS1_11comp_targetILNS1_3genE0ELNS1_11target_archE4294967295ELNS1_3gpuE0ELNS1_3repE0EEENS1_30default_config_static_selectorELNS0_4arch9wavefront6targetE0EEEvSK_,comdat
.Lfunc_end1014:
	.size	_ZN7rocprim17ROCPRIM_400000_NS6detail17trampoline_kernelINS0_14default_configENS1_36segmented_radix_sort_config_selectorIslEEZNS1_25segmented_radix_sort_implIS3_Lb0EPKsPsPKlPlN2at6native12_GLOBAL__N_18offset_tEEE10hipError_tPvRmT1_PNSt15iterator_traitsISK_E10value_typeET2_T3_PNSL_ISQ_E10value_typeET4_jRbjT5_SW_jjP12ihipStream_tbEUlT_E_NS1_11comp_targetILNS1_3genE0ELNS1_11target_archE4294967295ELNS1_3gpuE0ELNS1_3repE0EEENS1_30default_config_static_selectorELNS0_4arch9wavefront6targetE0EEEvSK_, .Lfunc_end1014-_ZN7rocprim17ROCPRIM_400000_NS6detail17trampoline_kernelINS0_14default_configENS1_36segmented_radix_sort_config_selectorIslEEZNS1_25segmented_radix_sort_implIS3_Lb0EPKsPsPKlPlN2at6native12_GLOBAL__N_18offset_tEEE10hipError_tPvRmT1_PNSt15iterator_traitsISK_E10value_typeET2_T3_PNSL_ISQ_E10value_typeET4_jRbjT5_SW_jjP12ihipStream_tbEUlT_E_NS1_11comp_targetILNS1_3genE0ELNS1_11target_archE4294967295ELNS1_3gpuE0ELNS1_3repE0EEENS1_30default_config_static_selectorELNS0_4arch9wavefront6targetE0EEEvSK_
                                        ; -- End function
	.section	.AMDGPU.csdata,"",@progbits
; Kernel info:
; codeLenInByte = 0
; NumSgprs: 0
; NumVgprs: 0
; ScratchSize: 0
; MemoryBound: 0
; FloatMode: 240
; IeeeMode: 1
; LDSByteSize: 0 bytes/workgroup (compile time only)
; SGPRBlocks: 0
; VGPRBlocks: 0
; NumSGPRsForWavesPerEU: 1
; NumVGPRsForWavesPerEU: 1
; Occupancy: 16
; WaveLimiterHint : 0
; COMPUTE_PGM_RSRC2:SCRATCH_EN: 0
; COMPUTE_PGM_RSRC2:USER_SGPR: 15
; COMPUTE_PGM_RSRC2:TRAP_HANDLER: 0
; COMPUTE_PGM_RSRC2:TGID_X_EN: 1
; COMPUTE_PGM_RSRC2:TGID_Y_EN: 0
; COMPUTE_PGM_RSRC2:TGID_Z_EN: 0
; COMPUTE_PGM_RSRC2:TIDIG_COMP_CNT: 0
	.section	.text._ZN7rocprim17ROCPRIM_400000_NS6detail17trampoline_kernelINS0_14default_configENS1_36segmented_radix_sort_config_selectorIslEEZNS1_25segmented_radix_sort_implIS3_Lb0EPKsPsPKlPlN2at6native12_GLOBAL__N_18offset_tEEE10hipError_tPvRmT1_PNSt15iterator_traitsISK_E10value_typeET2_T3_PNSL_ISQ_E10value_typeET4_jRbjT5_SW_jjP12ihipStream_tbEUlT_E_NS1_11comp_targetILNS1_3genE5ELNS1_11target_archE942ELNS1_3gpuE9ELNS1_3repE0EEENS1_30default_config_static_selectorELNS0_4arch9wavefront6targetE0EEEvSK_,"axG",@progbits,_ZN7rocprim17ROCPRIM_400000_NS6detail17trampoline_kernelINS0_14default_configENS1_36segmented_radix_sort_config_selectorIslEEZNS1_25segmented_radix_sort_implIS3_Lb0EPKsPsPKlPlN2at6native12_GLOBAL__N_18offset_tEEE10hipError_tPvRmT1_PNSt15iterator_traitsISK_E10value_typeET2_T3_PNSL_ISQ_E10value_typeET4_jRbjT5_SW_jjP12ihipStream_tbEUlT_E_NS1_11comp_targetILNS1_3genE5ELNS1_11target_archE942ELNS1_3gpuE9ELNS1_3repE0EEENS1_30default_config_static_selectorELNS0_4arch9wavefront6targetE0EEEvSK_,comdat
	.globl	_ZN7rocprim17ROCPRIM_400000_NS6detail17trampoline_kernelINS0_14default_configENS1_36segmented_radix_sort_config_selectorIslEEZNS1_25segmented_radix_sort_implIS3_Lb0EPKsPsPKlPlN2at6native12_GLOBAL__N_18offset_tEEE10hipError_tPvRmT1_PNSt15iterator_traitsISK_E10value_typeET2_T3_PNSL_ISQ_E10value_typeET4_jRbjT5_SW_jjP12ihipStream_tbEUlT_E_NS1_11comp_targetILNS1_3genE5ELNS1_11target_archE942ELNS1_3gpuE9ELNS1_3repE0EEENS1_30default_config_static_selectorELNS0_4arch9wavefront6targetE0EEEvSK_ ; -- Begin function _ZN7rocprim17ROCPRIM_400000_NS6detail17trampoline_kernelINS0_14default_configENS1_36segmented_radix_sort_config_selectorIslEEZNS1_25segmented_radix_sort_implIS3_Lb0EPKsPsPKlPlN2at6native12_GLOBAL__N_18offset_tEEE10hipError_tPvRmT1_PNSt15iterator_traitsISK_E10value_typeET2_T3_PNSL_ISQ_E10value_typeET4_jRbjT5_SW_jjP12ihipStream_tbEUlT_E_NS1_11comp_targetILNS1_3genE5ELNS1_11target_archE942ELNS1_3gpuE9ELNS1_3repE0EEENS1_30default_config_static_selectorELNS0_4arch9wavefront6targetE0EEEvSK_
	.p2align	8
	.type	_ZN7rocprim17ROCPRIM_400000_NS6detail17trampoline_kernelINS0_14default_configENS1_36segmented_radix_sort_config_selectorIslEEZNS1_25segmented_radix_sort_implIS3_Lb0EPKsPsPKlPlN2at6native12_GLOBAL__N_18offset_tEEE10hipError_tPvRmT1_PNSt15iterator_traitsISK_E10value_typeET2_T3_PNSL_ISQ_E10value_typeET4_jRbjT5_SW_jjP12ihipStream_tbEUlT_E_NS1_11comp_targetILNS1_3genE5ELNS1_11target_archE942ELNS1_3gpuE9ELNS1_3repE0EEENS1_30default_config_static_selectorELNS0_4arch9wavefront6targetE0EEEvSK_,@function
_ZN7rocprim17ROCPRIM_400000_NS6detail17trampoline_kernelINS0_14default_configENS1_36segmented_radix_sort_config_selectorIslEEZNS1_25segmented_radix_sort_implIS3_Lb0EPKsPsPKlPlN2at6native12_GLOBAL__N_18offset_tEEE10hipError_tPvRmT1_PNSt15iterator_traitsISK_E10value_typeET2_T3_PNSL_ISQ_E10value_typeET4_jRbjT5_SW_jjP12ihipStream_tbEUlT_E_NS1_11comp_targetILNS1_3genE5ELNS1_11target_archE942ELNS1_3gpuE9ELNS1_3repE0EEENS1_30default_config_static_selectorELNS0_4arch9wavefront6targetE0EEEvSK_: ; @_ZN7rocprim17ROCPRIM_400000_NS6detail17trampoline_kernelINS0_14default_configENS1_36segmented_radix_sort_config_selectorIslEEZNS1_25segmented_radix_sort_implIS3_Lb0EPKsPsPKlPlN2at6native12_GLOBAL__N_18offset_tEEE10hipError_tPvRmT1_PNSt15iterator_traitsISK_E10value_typeET2_T3_PNSL_ISQ_E10value_typeET4_jRbjT5_SW_jjP12ihipStream_tbEUlT_E_NS1_11comp_targetILNS1_3genE5ELNS1_11target_archE942ELNS1_3gpuE9ELNS1_3repE0EEENS1_30default_config_static_selectorELNS0_4arch9wavefront6targetE0EEEvSK_
; %bb.0:
	.section	.rodata,"a",@progbits
	.p2align	6, 0x0
	.amdhsa_kernel _ZN7rocprim17ROCPRIM_400000_NS6detail17trampoline_kernelINS0_14default_configENS1_36segmented_radix_sort_config_selectorIslEEZNS1_25segmented_radix_sort_implIS3_Lb0EPKsPsPKlPlN2at6native12_GLOBAL__N_18offset_tEEE10hipError_tPvRmT1_PNSt15iterator_traitsISK_E10value_typeET2_T3_PNSL_ISQ_E10value_typeET4_jRbjT5_SW_jjP12ihipStream_tbEUlT_E_NS1_11comp_targetILNS1_3genE5ELNS1_11target_archE942ELNS1_3gpuE9ELNS1_3repE0EEENS1_30default_config_static_selectorELNS0_4arch9wavefront6targetE0EEEvSK_
		.amdhsa_group_segment_fixed_size 0
		.amdhsa_private_segment_fixed_size 0
		.amdhsa_kernarg_size 96
		.amdhsa_user_sgpr_count 15
		.amdhsa_user_sgpr_dispatch_ptr 0
		.amdhsa_user_sgpr_queue_ptr 0
		.amdhsa_user_sgpr_kernarg_segment_ptr 1
		.amdhsa_user_sgpr_dispatch_id 0
		.amdhsa_user_sgpr_private_segment_size 0
		.amdhsa_wavefront_size32 1
		.amdhsa_uses_dynamic_stack 0
		.amdhsa_enable_private_segment 0
		.amdhsa_system_sgpr_workgroup_id_x 1
		.amdhsa_system_sgpr_workgroup_id_y 0
		.amdhsa_system_sgpr_workgroup_id_z 0
		.amdhsa_system_sgpr_workgroup_info 0
		.amdhsa_system_vgpr_workitem_id 0
		.amdhsa_next_free_vgpr 1
		.amdhsa_next_free_sgpr 1
		.amdhsa_reserve_vcc 0
		.amdhsa_float_round_mode_32 0
		.amdhsa_float_round_mode_16_64 0
		.amdhsa_float_denorm_mode_32 3
		.amdhsa_float_denorm_mode_16_64 3
		.amdhsa_dx10_clamp 1
		.amdhsa_ieee_mode 1
		.amdhsa_fp16_overflow 0
		.amdhsa_workgroup_processor_mode 1
		.amdhsa_memory_ordered 1
		.amdhsa_forward_progress 0
		.amdhsa_shared_vgpr_count 0
		.amdhsa_exception_fp_ieee_invalid_op 0
		.amdhsa_exception_fp_denorm_src 0
		.amdhsa_exception_fp_ieee_div_zero 0
		.amdhsa_exception_fp_ieee_overflow 0
		.amdhsa_exception_fp_ieee_underflow 0
		.amdhsa_exception_fp_ieee_inexact 0
		.amdhsa_exception_int_div_zero 0
	.end_amdhsa_kernel
	.section	.text._ZN7rocprim17ROCPRIM_400000_NS6detail17trampoline_kernelINS0_14default_configENS1_36segmented_radix_sort_config_selectorIslEEZNS1_25segmented_radix_sort_implIS3_Lb0EPKsPsPKlPlN2at6native12_GLOBAL__N_18offset_tEEE10hipError_tPvRmT1_PNSt15iterator_traitsISK_E10value_typeET2_T3_PNSL_ISQ_E10value_typeET4_jRbjT5_SW_jjP12ihipStream_tbEUlT_E_NS1_11comp_targetILNS1_3genE5ELNS1_11target_archE942ELNS1_3gpuE9ELNS1_3repE0EEENS1_30default_config_static_selectorELNS0_4arch9wavefront6targetE0EEEvSK_,"axG",@progbits,_ZN7rocprim17ROCPRIM_400000_NS6detail17trampoline_kernelINS0_14default_configENS1_36segmented_radix_sort_config_selectorIslEEZNS1_25segmented_radix_sort_implIS3_Lb0EPKsPsPKlPlN2at6native12_GLOBAL__N_18offset_tEEE10hipError_tPvRmT1_PNSt15iterator_traitsISK_E10value_typeET2_T3_PNSL_ISQ_E10value_typeET4_jRbjT5_SW_jjP12ihipStream_tbEUlT_E_NS1_11comp_targetILNS1_3genE5ELNS1_11target_archE942ELNS1_3gpuE9ELNS1_3repE0EEENS1_30default_config_static_selectorELNS0_4arch9wavefront6targetE0EEEvSK_,comdat
.Lfunc_end1015:
	.size	_ZN7rocprim17ROCPRIM_400000_NS6detail17trampoline_kernelINS0_14default_configENS1_36segmented_radix_sort_config_selectorIslEEZNS1_25segmented_radix_sort_implIS3_Lb0EPKsPsPKlPlN2at6native12_GLOBAL__N_18offset_tEEE10hipError_tPvRmT1_PNSt15iterator_traitsISK_E10value_typeET2_T3_PNSL_ISQ_E10value_typeET4_jRbjT5_SW_jjP12ihipStream_tbEUlT_E_NS1_11comp_targetILNS1_3genE5ELNS1_11target_archE942ELNS1_3gpuE9ELNS1_3repE0EEENS1_30default_config_static_selectorELNS0_4arch9wavefront6targetE0EEEvSK_, .Lfunc_end1015-_ZN7rocprim17ROCPRIM_400000_NS6detail17trampoline_kernelINS0_14default_configENS1_36segmented_radix_sort_config_selectorIslEEZNS1_25segmented_radix_sort_implIS3_Lb0EPKsPsPKlPlN2at6native12_GLOBAL__N_18offset_tEEE10hipError_tPvRmT1_PNSt15iterator_traitsISK_E10value_typeET2_T3_PNSL_ISQ_E10value_typeET4_jRbjT5_SW_jjP12ihipStream_tbEUlT_E_NS1_11comp_targetILNS1_3genE5ELNS1_11target_archE942ELNS1_3gpuE9ELNS1_3repE0EEENS1_30default_config_static_selectorELNS0_4arch9wavefront6targetE0EEEvSK_
                                        ; -- End function
	.section	.AMDGPU.csdata,"",@progbits
; Kernel info:
; codeLenInByte = 0
; NumSgprs: 0
; NumVgprs: 0
; ScratchSize: 0
; MemoryBound: 0
; FloatMode: 240
; IeeeMode: 1
; LDSByteSize: 0 bytes/workgroup (compile time only)
; SGPRBlocks: 0
; VGPRBlocks: 0
; NumSGPRsForWavesPerEU: 1
; NumVGPRsForWavesPerEU: 1
; Occupancy: 16
; WaveLimiterHint : 0
; COMPUTE_PGM_RSRC2:SCRATCH_EN: 0
; COMPUTE_PGM_RSRC2:USER_SGPR: 15
; COMPUTE_PGM_RSRC2:TRAP_HANDLER: 0
; COMPUTE_PGM_RSRC2:TGID_X_EN: 1
; COMPUTE_PGM_RSRC2:TGID_Y_EN: 0
; COMPUTE_PGM_RSRC2:TGID_Z_EN: 0
; COMPUTE_PGM_RSRC2:TIDIG_COMP_CNT: 0
	.section	.text._ZN7rocprim17ROCPRIM_400000_NS6detail17trampoline_kernelINS0_14default_configENS1_36segmented_radix_sort_config_selectorIslEEZNS1_25segmented_radix_sort_implIS3_Lb0EPKsPsPKlPlN2at6native12_GLOBAL__N_18offset_tEEE10hipError_tPvRmT1_PNSt15iterator_traitsISK_E10value_typeET2_T3_PNSL_ISQ_E10value_typeET4_jRbjT5_SW_jjP12ihipStream_tbEUlT_E_NS1_11comp_targetILNS1_3genE4ELNS1_11target_archE910ELNS1_3gpuE8ELNS1_3repE0EEENS1_30default_config_static_selectorELNS0_4arch9wavefront6targetE0EEEvSK_,"axG",@progbits,_ZN7rocprim17ROCPRIM_400000_NS6detail17trampoline_kernelINS0_14default_configENS1_36segmented_radix_sort_config_selectorIslEEZNS1_25segmented_radix_sort_implIS3_Lb0EPKsPsPKlPlN2at6native12_GLOBAL__N_18offset_tEEE10hipError_tPvRmT1_PNSt15iterator_traitsISK_E10value_typeET2_T3_PNSL_ISQ_E10value_typeET4_jRbjT5_SW_jjP12ihipStream_tbEUlT_E_NS1_11comp_targetILNS1_3genE4ELNS1_11target_archE910ELNS1_3gpuE8ELNS1_3repE0EEENS1_30default_config_static_selectorELNS0_4arch9wavefront6targetE0EEEvSK_,comdat
	.globl	_ZN7rocprim17ROCPRIM_400000_NS6detail17trampoline_kernelINS0_14default_configENS1_36segmented_radix_sort_config_selectorIslEEZNS1_25segmented_radix_sort_implIS3_Lb0EPKsPsPKlPlN2at6native12_GLOBAL__N_18offset_tEEE10hipError_tPvRmT1_PNSt15iterator_traitsISK_E10value_typeET2_T3_PNSL_ISQ_E10value_typeET4_jRbjT5_SW_jjP12ihipStream_tbEUlT_E_NS1_11comp_targetILNS1_3genE4ELNS1_11target_archE910ELNS1_3gpuE8ELNS1_3repE0EEENS1_30default_config_static_selectorELNS0_4arch9wavefront6targetE0EEEvSK_ ; -- Begin function _ZN7rocprim17ROCPRIM_400000_NS6detail17trampoline_kernelINS0_14default_configENS1_36segmented_radix_sort_config_selectorIslEEZNS1_25segmented_radix_sort_implIS3_Lb0EPKsPsPKlPlN2at6native12_GLOBAL__N_18offset_tEEE10hipError_tPvRmT1_PNSt15iterator_traitsISK_E10value_typeET2_T3_PNSL_ISQ_E10value_typeET4_jRbjT5_SW_jjP12ihipStream_tbEUlT_E_NS1_11comp_targetILNS1_3genE4ELNS1_11target_archE910ELNS1_3gpuE8ELNS1_3repE0EEENS1_30default_config_static_selectorELNS0_4arch9wavefront6targetE0EEEvSK_
	.p2align	8
	.type	_ZN7rocprim17ROCPRIM_400000_NS6detail17trampoline_kernelINS0_14default_configENS1_36segmented_radix_sort_config_selectorIslEEZNS1_25segmented_radix_sort_implIS3_Lb0EPKsPsPKlPlN2at6native12_GLOBAL__N_18offset_tEEE10hipError_tPvRmT1_PNSt15iterator_traitsISK_E10value_typeET2_T3_PNSL_ISQ_E10value_typeET4_jRbjT5_SW_jjP12ihipStream_tbEUlT_E_NS1_11comp_targetILNS1_3genE4ELNS1_11target_archE910ELNS1_3gpuE8ELNS1_3repE0EEENS1_30default_config_static_selectorELNS0_4arch9wavefront6targetE0EEEvSK_,@function
_ZN7rocprim17ROCPRIM_400000_NS6detail17trampoline_kernelINS0_14default_configENS1_36segmented_radix_sort_config_selectorIslEEZNS1_25segmented_radix_sort_implIS3_Lb0EPKsPsPKlPlN2at6native12_GLOBAL__N_18offset_tEEE10hipError_tPvRmT1_PNSt15iterator_traitsISK_E10value_typeET2_T3_PNSL_ISQ_E10value_typeET4_jRbjT5_SW_jjP12ihipStream_tbEUlT_E_NS1_11comp_targetILNS1_3genE4ELNS1_11target_archE910ELNS1_3gpuE8ELNS1_3repE0EEENS1_30default_config_static_selectorELNS0_4arch9wavefront6targetE0EEEvSK_: ; @_ZN7rocprim17ROCPRIM_400000_NS6detail17trampoline_kernelINS0_14default_configENS1_36segmented_radix_sort_config_selectorIslEEZNS1_25segmented_radix_sort_implIS3_Lb0EPKsPsPKlPlN2at6native12_GLOBAL__N_18offset_tEEE10hipError_tPvRmT1_PNSt15iterator_traitsISK_E10value_typeET2_T3_PNSL_ISQ_E10value_typeET4_jRbjT5_SW_jjP12ihipStream_tbEUlT_E_NS1_11comp_targetILNS1_3genE4ELNS1_11target_archE910ELNS1_3gpuE8ELNS1_3repE0EEENS1_30default_config_static_selectorELNS0_4arch9wavefront6targetE0EEEvSK_
; %bb.0:
	.section	.rodata,"a",@progbits
	.p2align	6, 0x0
	.amdhsa_kernel _ZN7rocprim17ROCPRIM_400000_NS6detail17trampoline_kernelINS0_14default_configENS1_36segmented_radix_sort_config_selectorIslEEZNS1_25segmented_radix_sort_implIS3_Lb0EPKsPsPKlPlN2at6native12_GLOBAL__N_18offset_tEEE10hipError_tPvRmT1_PNSt15iterator_traitsISK_E10value_typeET2_T3_PNSL_ISQ_E10value_typeET4_jRbjT5_SW_jjP12ihipStream_tbEUlT_E_NS1_11comp_targetILNS1_3genE4ELNS1_11target_archE910ELNS1_3gpuE8ELNS1_3repE0EEENS1_30default_config_static_selectorELNS0_4arch9wavefront6targetE0EEEvSK_
		.amdhsa_group_segment_fixed_size 0
		.amdhsa_private_segment_fixed_size 0
		.amdhsa_kernarg_size 96
		.amdhsa_user_sgpr_count 15
		.amdhsa_user_sgpr_dispatch_ptr 0
		.amdhsa_user_sgpr_queue_ptr 0
		.amdhsa_user_sgpr_kernarg_segment_ptr 1
		.amdhsa_user_sgpr_dispatch_id 0
		.amdhsa_user_sgpr_private_segment_size 0
		.amdhsa_wavefront_size32 1
		.amdhsa_uses_dynamic_stack 0
		.amdhsa_enable_private_segment 0
		.amdhsa_system_sgpr_workgroup_id_x 1
		.amdhsa_system_sgpr_workgroup_id_y 0
		.amdhsa_system_sgpr_workgroup_id_z 0
		.amdhsa_system_sgpr_workgroup_info 0
		.amdhsa_system_vgpr_workitem_id 0
		.amdhsa_next_free_vgpr 1
		.amdhsa_next_free_sgpr 1
		.amdhsa_reserve_vcc 0
		.amdhsa_float_round_mode_32 0
		.amdhsa_float_round_mode_16_64 0
		.amdhsa_float_denorm_mode_32 3
		.amdhsa_float_denorm_mode_16_64 3
		.amdhsa_dx10_clamp 1
		.amdhsa_ieee_mode 1
		.amdhsa_fp16_overflow 0
		.amdhsa_workgroup_processor_mode 1
		.amdhsa_memory_ordered 1
		.amdhsa_forward_progress 0
		.amdhsa_shared_vgpr_count 0
		.amdhsa_exception_fp_ieee_invalid_op 0
		.amdhsa_exception_fp_denorm_src 0
		.amdhsa_exception_fp_ieee_div_zero 0
		.amdhsa_exception_fp_ieee_overflow 0
		.amdhsa_exception_fp_ieee_underflow 0
		.amdhsa_exception_fp_ieee_inexact 0
		.amdhsa_exception_int_div_zero 0
	.end_amdhsa_kernel
	.section	.text._ZN7rocprim17ROCPRIM_400000_NS6detail17trampoline_kernelINS0_14default_configENS1_36segmented_radix_sort_config_selectorIslEEZNS1_25segmented_radix_sort_implIS3_Lb0EPKsPsPKlPlN2at6native12_GLOBAL__N_18offset_tEEE10hipError_tPvRmT1_PNSt15iterator_traitsISK_E10value_typeET2_T3_PNSL_ISQ_E10value_typeET4_jRbjT5_SW_jjP12ihipStream_tbEUlT_E_NS1_11comp_targetILNS1_3genE4ELNS1_11target_archE910ELNS1_3gpuE8ELNS1_3repE0EEENS1_30default_config_static_selectorELNS0_4arch9wavefront6targetE0EEEvSK_,"axG",@progbits,_ZN7rocprim17ROCPRIM_400000_NS6detail17trampoline_kernelINS0_14default_configENS1_36segmented_radix_sort_config_selectorIslEEZNS1_25segmented_radix_sort_implIS3_Lb0EPKsPsPKlPlN2at6native12_GLOBAL__N_18offset_tEEE10hipError_tPvRmT1_PNSt15iterator_traitsISK_E10value_typeET2_T3_PNSL_ISQ_E10value_typeET4_jRbjT5_SW_jjP12ihipStream_tbEUlT_E_NS1_11comp_targetILNS1_3genE4ELNS1_11target_archE910ELNS1_3gpuE8ELNS1_3repE0EEENS1_30default_config_static_selectorELNS0_4arch9wavefront6targetE0EEEvSK_,comdat
.Lfunc_end1016:
	.size	_ZN7rocprim17ROCPRIM_400000_NS6detail17trampoline_kernelINS0_14default_configENS1_36segmented_radix_sort_config_selectorIslEEZNS1_25segmented_radix_sort_implIS3_Lb0EPKsPsPKlPlN2at6native12_GLOBAL__N_18offset_tEEE10hipError_tPvRmT1_PNSt15iterator_traitsISK_E10value_typeET2_T3_PNSL_ISQ_E10value_typeET4_jRbjT5_SW_jjP12ihipStream_tbEUlT_E_NS1_11comp_targetILNS1_3genE4ELNS1_11target_archE910ELNS1_3gpuE8ELNS1_3repE0EEENS1_30default_config_static_selectorELNS0_4arch9wavefront6targetE0EEEvSK_, .Lfunc_end1016-_ZN7rocprim17ROCPRIM_400000_NS6detail17trampoline_kernelINS0_14default_configENS1_36segmented_radix_sort_config_selectorIslEEZNS1_25segmented_radix_sort_implIS3_Lb0EPKsPsPKlPlN2at6native12_GLOBAL__N_18offset_tEEE10hipError_tPvRmT1_PNSt15iterator_traitsISK_E10value_typeET2_T3_PNSL_ISQ_E10value_typeET4_jRbjT5_SW_jjP12ihipStream_tbEUlT_E_NS1_11comp_targetILNS1_3genE4ELNS1_11target_archE910ELNS1_3gpuE8ELNS1_3repE0EEENS1_30default_config_static_selectorELNS0_4arch9wavefront6targetE0EEEvSK_
                                        ; -- End function
	.section	.AMDGPU.csdata,"",@progbits
; Kernel info:
; codeLenInByte = 0
; NumSgprs: 0
; NumVgprs: 0
; ScratchSize: 0
; MemoryBound: 0
; FloatMode: 240
; IeeeMode: 1
; LDSByteSize: 0 bytes/workgroup (compile time only)
; SGPRBlocks: 0
; VGPRBlocks: 0
; NumSGPRsForWavesPerEU: 1
; NumVGPRsForWavesPerEU: 1
; Occupancy: 16
; WaveLimiterHint : 0
; COMPUTE_PGM_RSRC2:SCRATCH_EN: 0
; COMPUTE_PGM_RSRC2:USER_SGPR: 15
; COMPUTE_PGM_RSRC2:TRAP_HANDLER: 0
; COMPUTE_PGM_RSRC2:TGID_X_EN: 1
; COMPUTE_PGM_RSRC2:TGID_Y_EN: 0
; COMPUTE_PGM_RSRC2:TGID_Z_EN: 0
; COMPUTE_PGM_RSRC2:TIDIG_COMP_CNT: 0
	.section	.text._ZN7rocprim17ROCPRIM_400000_NS6detail17trampoline_kernelINS0_14default_configENS1_36segmented_radix_sort_config_selectorIslEEZNS1_25segmented_radix_sort_implIS3_Lb0EPKsPsPKlPlN2at6native12_GLOBAL__N_18offset_tEEE10hipError_tPvRmT1_PNSt15iterator_traitsISK_E10value_typeET2_T3_PNSL_ISQ_E10value_typeET4_jRbjT5_SW_jjP12ihipStream_tbEUlT_E_NS1_11comp_targetILNS1_3genE3ELNS1_11target_archE908ELNS1_3gpuE7ELNS1_3repE0EEENS1_30default_config_static_selectorELNS0_4arch9wavefront6targetE0EEEvSK_,"axG",@progbits,_ZN7rocprim17ROCPRIM_400000_NS6detail17trampoline_kernelINS0_14default_configENS1_36segmented_radix_sort_config_selectorIslEEZNS1_25segmented_radix_sort_implIS3_Lb0EPKsPsPKlPlN2at6native12_GLOBAL__N_18offset_tEEE10hipError_tPvRmT1_PNSt15iterator_traitsISK_E10value_typeET2_T3_PNSL_ISQ_E10value_typeET4_jRbjT5_SW_jjP12ihipStream_tbEUlT_E_NS1_11comp_targetILNS1_3genE3ELNS1_11target_archE908ELNS1_3gpuE7ELNS1_3repE0EEENS1_30default_config_static_selectorELNS0_4arch9wavefront6targetE0EEEvSK_,comdat
	.globl	_ZN7rocprim17ROCPRIM_400000_NS6detail17trampoline_kernelINS0_14default_configENS1_36segmented_radix_sort_config_selectorIslEEZNS1_25segmented_radix_sort_implIS3_Lb0EPKsPsPKlPlN2at6native12_GLOBAL__N_18offset_tEEE10hipError_tPvRmT1_PNSt15iterator_traitsISK_E10value_typeET2_T3_PNSL_ISQ_E10value_typeET4_jRbjT5_SW_jjP12ihipStream_tbEUlT_E_NS1_11comp_targetILNS1_3genE3ELNS1_11target_archE908ELNS1_3gpuE7ELNS1_3repE0EEENS1_30default_config_static_selectorELNS0_4arch9wavefront6targetE0EEEvSK_ ; -- Begin function _ZN7rocprim17ROCPRIM_400000_NS6detail17trampoline_kernelINS0_14default_configENS1_36segmented_radix_sort_config_selectorIslEEZNS1_25segmented_radix_sort_implIS3_Lb0EPKsPsPKlPlN2at6native12_GLOBAL__N_18offset_tEEE10hipError_tPvRmT1_PNSt15iterator_traitsISK_E10value_typeET2_T3_PNSL_ISQ_E10value_typeET4_jRbjT5_SW_jjP12ihipStream_tbEUlT_E_NS1_11comp_targetILNS1_3genE3ELNS1_11target_archE908ELNS1_3gpuE7ELNS1_3repE0EEENS1_30default_config_static_selectorELNS0_4arch9wavefront6targetE0EEEvSK_
	.p2align	8
	.type	_ZN7rocprim17ROCPRIM_400000_NS6detail17trampoline_kernelINS0_14default_configENS1_36segmented_radix_sort_config_selectorIslEEZNS1_25segmented_radix_sort_implIS3_Lb0EPKsPsPKlPlN2at6native12_GLOBAL__N_18offset_tEEE10hipError_tPvRmT1_PNSt15iterator_traitsISK_E10value_typeET2_T3_PNSL_ISQ_E10value_typeET4_jRbjT5_SW_jjP12ihipStream_tbEUlT_E_NS1_11comp_targetILNS1_3genE3ELNS1_11target_archE908ELNS1_3gpuE7ELNS1_3repE0EEENS1_30default_config_static_selectorELNS0_4arch9wavefront6targetE0EEEvSK_,@function
_ZN7rocprim17ROCPRIM_400000_NS6detail17trampoline_kernelINS0_14default_configENS1_36segmented_radix_sort_config_selectorIslEEZNS1_25segmented_radix_sort_implIS3_Lb0EPKsPsPKlPlN2at6native12_GLOBAL__N_18offset_tEEE10hipError_tPvRmT1_PNSt15iterator_traitsISK_E10value_typeET2_T3_PNSL_ISQ_E10value_typeET4_jRbjT5_SW_jjP12ihipStream_tbEUlT_E_NS1_11comp_targetILNS1_3genE3ELNS1_11target_archE908ELNS1_3gpuE7ELNS1_3repE0EEENS1_30default_config_static_selectorELNS0_4arch9wavefront6targetE0EEEvSK_: ; @_ZN7rocprim17ROCPRIM_400000_NS6detail17trampoline_kernelINS0_14default_configENS1_36segmented_radix_sort_config_selectorIslEEZNS1_25segmented_radix_sort_implIS3_Lb0EPKsPsPKlPlN2at6native12_GLOBAL__N_18offset_tEEE10hipError_tPvRmT1_PNSt15iterator_traitsISK_E10value_typeET2_T3_PNSL_ISQ_E10value_typeET4_jRbjT5_SW_jjP12ihipStream_tbEUlT_E_NS1_11comp_targetILNS1_3genE3ELNS1_11target_archE908ELNS1_3gpuE7ELNS1_3repE0EEENS1_30default_config_static_selectorELNS0_4arch9wavefront6targetE0EEEvSK_
; %bb.0:
	.section	.rodata,"a",@progbits
	.p2align	6, 0x0
	.amdhsa_kernel _ZN7rocprim17ROCPRIM_400000_NS6detail17trampoline_kernelINS0_14default_configENS1_36segmented_radix_sort_config_selectorIslEEZNS1_25segmented_radix_sort_implIS3_Lb0EPKsPsPKlPlN2at6native12_GLOBAL__N_18offset_tEEE10hipError_tPvRmT1_PNSt15iterator_traitsISK_E10value_typeET2_T3_PNSL_ISQ_E10value_typeET4_jRbjT5_SW_jjP12ihipStream_tbEUlT_E_NS1_11comp_targetILNS1_3genE3ELNS1_11target_archE908ELNS1_3gpuE7ELNS1_3repE0EEENS1_30default_config_static_selectorELNS0_4arch9wavefront6targetE0EEEvSK_
		.amdhsa_group_segment_fixed_size 0
		.amdhsa_private_segment_fixed_size 0
		.amdhsa_kernarg_size 96
		.amdhsa_user_sgpr_count 15
		.amdhsa_user_sgpr_dispatch_ptr 0
		.amdhsa_user_sgpr_queue_ptr 0
		.amdhsa_user_sgpr_kernarg_segment_ptr 1
		.amdhsa_user_sgpr_dispatch_id 0
		.amdhsa_user_sgpr_private_segment_size 0
		.amdhsa_wavefront_size32 1
		.amdhsa_uses_dynamic_stack 0
		.amdhsa_enable_private_segment 0
		.amdhsa_system_sgpr_workgroup_id_x 1
		.amdhsa_system_sgpr_workgroup_id_y 0
		.amdhsa_system_sgpr_workgroup_id_z 0
		.amdhsa_system_sgpr_workgroup_info 0
		.amdhsa_system_vgpr_workitem_id 0
		.amdhsa_next_free_vgpr 1
		.amdhsa_next_free_sgpr 1
		.amdhsa_reserve_vcc 0
		.amdhsa_float_round_mode_32 0
		.amdhsa_float_round_mode_16_64 0
		.amdhsa_float_denorm_mode_32 3
		.amdhsa_float_denorm_mode_16_64 3
		.amdhsa_dx10_clamp 1
		.amdhsa_ieee_mode 1
		.amdhsa_fp16_overflow 0
		.amdhsa_workgroup_processor_mode 1
		.amdhsa_memory_ordered 1
		.amdhsa_forward_progress 0
		.amdhsa_shared_vgpr_count 0
		.amdhsa_exception_fp_ieee_invalid_op 0
		.amdhsa_exception_fp_denorm_src 0
		.amdhsa_exception_fp_ieee_div_zero 0
		.amdhsa_exception_fp_ieee_overflow 0
		.amdhsa_exception_fp_ieee_underflow 0
		.amdhsa_exception_fp_ieee_inexact 0
		.amdhsa_exception_int_div_zero 0
	.end_amdhsa_kernel
	.section	.text._ZN7rocprim17ROCPRIM_400000_NS6detail17trampoline_kernelINS0_14default_configENS1_36segmented_radix_sort_config_selectorIslEEZNS1_25segmented_radix_sort_implIS3_Lb0EPKsPsPKlPlN2at6native12_GLOBAL__N_18offset_tEEE10hipError_tPvRmT1_PNSt15iterator_traitsISK_E10value_typeET2_T3_PNSL_ISQ_E10value_typeET4_jRbjT5_SW_jjP12ihipStream_tbEUlT_E_NS1_11comp_targetILNS1_3genE3ELNS1_11target_archE908ELNS1_3gpuE7ELNS1_3repE0EEENS1_30default_config_static_selectorELNS0_4arch9wavefront6targetE0EEEvSK_,"axG",@progbits,_ZN7rocprim17ROCPRIM_400000_NS6detail17trampoline_kernelINS0_14default_configENS1_36segmented_radix_sort_config_selectorIslEEZNS1_25segmented_radix_sort_implIS3_Lb0EPKsPsPKlPlN2at6native12_GLOBAL__N_18offset_tEEE10hipError_tPvRmT1_PNSt15iterator_traitsISK_E10value_typeET2_T3_PNSL_ISQ_E10value_typeET4_jRbjT5_SW_jjP12ihipStream_tbEUlT_E_NS1_11comp_targetILNS1_3genE3ELNS1_11target_archE908ELNS1_3gpuE7ELNS1_3repE0EEENS1_30default_config_static_selectorELNS0_4arch9wavefront6targetE0EEEvSK_,comdat
.Lfunc_end1017:
	.size	_ZN7rocprim17ROCPRIM_400000_NS6detail17trampoline_kernelINS0_14default_configENS1_36segmented_radix_sort_config_selectorIslEEZNS1_25segmented_radix_sort_implIS3_Lb0EPKsPsPKlPlN2at6native12_GLOBAL__N_18offset_tEEE10hipError_tPvRmT1_PNSt15iterator_traitsISK_E10value_typeET2_T3_PNSL_ISQ_E10value_typeET4_jRbjT5_SW_jjP12ihipStream_tbEUlT_E_NS1_11comp_targetILNS1_3genE3ELNS1_11target_archE908ELNS1_3gpuE7ELNS1_3repE0EEENS1_30default_config_static_selectorELNS0_4arch9wavefront6targetE0EEEvSK_, .Lfunc_end1017-_ZN7rocprim17ROCPRIM_400000_NS6detail17trampoline_kernelINS0_14default_configENS1_36segmented_radix_sort_config_selectorIslEEZNS1_25segmented_radix_sort_implIS3_Lb0EPKsPsPKlPlN2at6native12_GLOBAL__N_18offset_tEEE10hipError_tPvRmT1_PNSt15iterator_traitsISK_E10value_typeET2_T3_PNSL_ISQ_E10value_typeET4_jRbjT5_SW_jjP12ihipStream_tbEUlT_E_NS1_11comp_targetILNS1_3genE3ELNS1_11target_archE908ELNS1_3gpuE7ELNS1_3repE0EEENS1_30default_config_static_selectorELNS0_4arch9wavefront6targetE0EEEvSK_
                                        ; -- End function
	.section	.AMDGPU.csdata,"",@progbits
; Kernel info:
; codeLenInByte = 0
; NumSgprs: 0
; NumVgprs: 0
; ScratchSize: 0
; MemoryBound: 0
; FloatMode: 240
; IeeeMode: 1
; LDSByteSize: 0 bytes/workgroup (compile time only)
; SGPRBlocks: 0
; VGPRBlocks: 0
; NumSGPRsForWavesPerEU: 1
; NumVGPRsForWavesPerEU: 1
; Occupancy: 16
; WaveLimiterHint : 0
; COMPUTE_PGM_RSRC2:SCRATCH_EN: 0
; COMPUTE_PGM_RSRC2:USER_SGPR: 15
; COMPUTE_PGM_RSRC2:TRAP_HANDLER: 0
; COMPUTE_PGM_RSRC2:TGID_X_EN: 1
; COMPUTE_PGM_RSRC2:TGID_Y_EN: 0
; COMPUTE_PGM_RSRC2:TGID_Z_EN: 0
; COMPUTE_PGM_RSRC2:TIDIG_COMP_CNT: 0
	.section	.text._ZN7rocprim17ROCPRIM_400000_NS6detail17trampoline_kernelINS0_14default_configENS1_36segmented_radix_sort_config_selectorIslEEZNS1_25segmented_radix_sort_implIS3_Lb0EPKsPsPKlPlN2at6native12_GLOBAL__N_18offset_tEEE10hipError_tPvRmT1_PNSt15iterator_traitsISK_E10value_typeET2_T3_PNSL_ISQ_E10value_typeET4_jRbjT5_SW_jjP12ihipStream_tbEUlT_E_NS1_11comp_targetILNS1_3genE2ELNS1_11target_archE906ELNS1_3gpuE6ELNS1_3repE0EEENS1_30default_config_static_selectorELNS0_4arch9wavefront6targetE0EEEvSK_,"axG",@progbits,_ZN7rocprim17ROCPRIM_400000_NS6detail17trampoline_kernelINS0_14default_configENS1_36segmented_radix_sort_config_selectorIslEEZNS1_25segmented_radix_sort_implIS3_Lb0EPKsPsPKlPlN2at6native12_GLOBAL__N_18offset_tEEE10hipError_tPvRmT1_PNSt15iterator_traitsISK_E10value_typeET2_T3_PNSL_ISQ_E10value_typeET4_jRbjT5_SW_jjP12ihipStream_tbEUlT_E_NS1_11comp_targetILNS1_3genE2ELNS1_11target_archE906ELNS1_3gpuE6ELNS1_3repE0EEENS1_30default_config_static_selectorELNS0_4arch9wavefront6targetE0EEEvSK_,comdat
	.globl	_ZN7rocprim17ROCPRIM_400000_NS6detail17trampoline_kernelINS0_14default_configENS1_36segmented_radix_sort_config_selectorIslEEZNS1_25segmented_radix_sort_implIS3_Lb0EPKsPsPKlPlN2at6native12_GLOBAL__N_18offset_tEEE10hipError_tPvRmT1_PNSt15iterator_traitsISK_E10value_typeET2_T3_PNSL_ISQ_E10value_typeET4_jRbjT5_SW_jjP12ihipStream_tbEUlT_E_NS1_11comp_targetILNS1_3genE2ELNS1_11target_archE906ELNS1_3gpuE6ELNS1_3repE0EEENS1_30default_config_static_selectorELNS0_4arch9wavefront6targetE0EEEvSK_ ; -- Begin function _ZN7rocprim17ROCPRIM_400000_NS6detail17trampoline_kernelINS0_14default_configENS1_36segmented_radix_sort_config_selectorIslEEZNS1_25segmented_radix_sort_implIS3_Lb0EPKsPsPKlPlN2at6native12_GLOBAL__N_18offset_tEEE10hipError_tPvRmT1_PNSt15iterator_traitsISK_E10value_typeET2_T3_PNSL_ISQ_E10value_typeET4_jRbjT5_SW_jjP12ihipStream_tbEUlT_E_NS1_11comp_targetILNS1_3genE2ELNS1_11target_archE906ELNS1_3gpuE6ELNS1_3repE0EEENS1_30default_config_static_selectorELNS0_4arch9wavefront6targetE0EEEvSK_
	.p2align	8
	.type	_ZN7rocprim17ROCPRIM_400000_NS6detail17trampoline_kernelINS0_14default_configENS1_36segmented_radix_sort_config_selectorIslEEZNS1_25segmented_radix_sort_implIS3_Lb0EPKsPsPKlPlN2at6native12_GLOBAL__N_18offset_tEEE10hipError_tPvRmT1_PNSt15iterator_traitsISK_E10value_typeET2_T3_PNSL_ISQ_E10value_typeET4_jRbjT5_SW_jjP12ihipStream_tbEUlT_E_NS1_11comp_targetILNS1_3genE2ELNS1_11target_archE906ELNS1_3gpuE6ELNS1_3repE0EEENS1_30default_config_static_selectorELNS0_4arch9wavefront6targetE0EEEvSK_,@function
_ZN7rocprim17ROCPRIM_400000_NS6detail17trampoline_kernelINS0_14default_configENS1_36segmented_radix_sort_config_selectorIslEEZNS1_25segmented_radix_sort_implIS3_Lb0EPKsPsPKlPlN2at6native12_GLOBAL__N_18offset_tEEE10hipError_tPvRmT1_PNSt15iterator_traitsISK_E10value_typeET2_T3_PNSL_ISQ_E10value_typeET4_jRbjT5_SW_jjP12ihipStream_tbEUlT_E_NS1_11comp_targetILNS1_3genE2ELNS1_11target_archE906ELNS1_3gpuE6ELNS1_3repE0EEENS1_30default_config_static_selectorELNS0_4arch9wavefront6targetE0EEEvSK_: ; @_ZN7rocprim17ROCPRIM_400000_NS6detail17trampoline_kernelINS0_14default_configENS1_36segmented_radix_sort_config_selectorIslEEZNS1_25segmented_radix_sort_implIS3_Lb0EPKsPsPKlPlN2at6native12_GLOBAL__N_18offset_tEEE10hipError_tPvRmT1_PNSt15iterator_traitsISK_E10value_typeET2_T3_PNSL_ISQ_E10value_typeET4_jRbjT5_SW_jjP12ihipStream_tbEUlT_E_NS1_11comp_targetILNS1_3genE2ELNS1_11target_archE906ELNS1_3gpuE6ELNS1_3repE0EEENS1_30default_config_static_selectorELNS0_4arch9wavefront6targetE0EEEvSK_
; %bb.0:
	.section	.rodata,"a",@progbits
	.p2align	6, 0x0
	.amdhsa_kernel _ZN7rocprim17ROCPRIM_400000_NS6detail17trampoline_kernelINS0_14default_configENS1_36segmented_radix_sort_config_selectorIslEEZNS1_25segmented_radix_sort_implIS3_Lb0EPKsPsPKlPlN2at6native12_GLOBAL__N_18offset_tEEE10hipError_tPvRmT1_PNSt15iterator_traitsISK_E10value_typeET2_T3_PNSL_ISQ_E10value_typeET4_jRbjT5_SW_jjP12ihipStream_tbEUlT_E_NS1_11comp_targetILNS1_3genE2ELNS1_11target_archE906ELNS1_3gpuE6ELNS1_3repE0EEENS1_30default_config_static_selectorELNS0_4arch9wavefront6targetE0EEEvSK_
		.amdhsa_group_segment_fixed_size 0
		.amdhsa_private_segment_fixed_size 0
		.amdhsa_kernarg_size 96
		.amdhsa_user_sgpr_count 15
		.amdhsa_user_sgpr_dispatch_ptr 0
		.amdhsa_user_sgpr_queue_ptr 0
		.amdhsa_user_sgpr_kernarg_segment_ptr 1
		.amdhsa_user_sgpr_dispatch_id 0
		.amdhsa_user_sgpr_private_segment_size 0
		.amdhsa_wavefront_size32 1
		.amdhsa_uses_dynamic_stack 0
		.amdhsa_enable_private_segment 0
		.amdhsa_system_sgpr_workgroup_id_x 1
		.amdhsa_system_sgpr_workgroup_id_y 0
		.amdhsa_system_sgpr_workgroup_id_z 0
		.amdhsa_system_sgpr_workgroup_info 0
		.amdhsa_system_vgpr_workitem_id 0
		.amdhsa_next_free_vgpr 1
		.amdhsa_next_free_sgpr 1
		.amdhsa_reserve_vcc 0
		.amdhsa_float_round_mode_32 0
		.amdhsa_float_round_mode_16_64 0
		.amdhsa_float_denorm_mode_32 3
		.amdhsa_float_denorm_mode_16_64 3
		.amdhsa_dx10_clamp 1
		.amdhsa_ieee_mode 1
		.amdhsa_fp16_overflow 0
		.amdhsa_workgroup_processor_mode 1
		.amdhsa_memory_ordered 1
		.amdhsa_forward_progress 0
		.amdhsa_shared_vgpr_count 0
		.amdhsa_exception_fp_ieee_invalid_op 0
		.amdhsa_exception_fp_denorm_src 0
		.amdhsa_exception_fp_ieee_div_zero 0
		.amdhsa_exception_fp_ieee_overflow 0
		.amdhsa_exception_fp_ieee_underflow 0
		.amdhsa_exception_fp_ieee_inexact 0
		.amdhsa_exception_int_div_zero 0
	.end_amdhsa_kernel
	.section	.text._ZN7rocprim17ROCPRIM_400000_NS6detail17trampoline_kernelINS0_14default_configENS1_36segmented_radix_sort_config_selectorIslEEZNS1_25segmented_radix_sort_implIS3_Lb0EPKsPsPKlPlN2at6native12_GLOBAL__N_18offset_tEEE10hipError_tPvRmT1_PNSt15iterator_traitsISK_E10value_typeET2_T3_PNSL_ISQ_E10value_typeET4_jRbjT5_SW_jjP12ihipStream_tbEUlT_E_NS1_11comp_targetILNS1_3genE2ELNS1_11target_archE906ELNS1_3gpuE6ELNS1_3repE0EEENS1_30default_config_static_selectorELNS0_4arch9wavefront6targetE0EEEvSK_,"axG",@progbits,_ZN7rocprim17ROCPRIM_400000_NS6detail17trampoline_kernelINS0_14default_configENS1_36segmented_radix_sort_config_selectorIslEEZNS1_25segmented_radix_sort_implIS3_Lb0EPKsPsPKlPlN2at6native12_GLOBAL__N_18offset_tEEE10hipError_tPvRmT1_PNSt15iterator_traitsISK_E10value_typeET2_T3_PNSL_ISQ_E10value_typeET4_jRbjT5_SW_jjP12ihipStream_tbEUlT_E_NS1_11comp_targetILNS1_3genE2ELNS1_11target_archE906ELNS1_3gpuE6ELNS1_3repE0EEENS1_30default_config_static_selectorELNS0_4arch9wavefront6targetE0EEEvSK_,comdat
.Lfunc_end1018:
	.size	_ZN7rocprim17ROCPRIM_400000_NS6detail17trampoline_kernelINS0_14default_configENS1_36segmented_radix_sort_config_selectorIslEEZNS1_25segmented_radix_sort_implIS3_Lb0EPKsPsPKlPlN2at6native12_GLOBAL__N_18offset_tEEE10hipError_tPvRmT1_PNSt15iterator_traitsISK_E10value_typeET2_T3_PNSL_ISQ_E10value_typeET4_jRbjT5_SW_jjP12ihipStream_tbEUlT_E_NS1_11comp_targetILNS1_3genE2ELNS1_11target_archE906ELNS1_3gpuE6ELNS1_3repE0EEENS1_30default_config_static_selectorELNS0_4arch9wavefront6targetE0EEEvSK_, .Lfunc_end1018-_ZN7rocprim17ROCPRIM_400000_NS6detail17trampoline_kernelINS0_14default_configENS1_36segmented_radix_sort_config_selectorIslEEZNS1_25segmented_radix_sort_implIS3_Lb0EPKsPsPKlPlN2at6native12_GLOBAL__N_18offset_tEEE10hipError_tPvRmT1_PNSt15iterator_traitsISK_E10value_typeET2_T3_PNSL_ISQ_E10value_typeET4_jRbjT5_SW_jjP12ihipStream_tbEUlT_E_NS1_11comp_targetILNS1_3genE2ELNS1_11target_archE906ELNS1_3gpuE6ELNS1_3repE0EEENS1_30default_config_static_selectorELNS0_4arch9wavefront6targetE0EEEvSK_
                                        ; -- End function
	.section	.AMDGPU.csdata,"",@progbits
; Kernel info:
; codeLenInByte = 0
; NumSgprs: 0
; NumVgprs: 0
; ScratchSize: 0
; MemoryBound: 0
; FloatMode: 240
; IeeeMode: 1
; LDSByteSize: 0 bytes/workgroup (compile time only)
; SGPRBlocks: 0
; VGPRBlocks: 0
; NumSGPRsForWavesPerEU: 1
; NumVGPRsForWavesPerEU: 1
; Occupancy: 16
; WaveLimiterHint : 0
; COMPUTE_PGM_RSRC2:SCRATCH_EN: 0
; COMPUTE_PGM_RSRC2:USER_SGPR: 15
; COMPUTE_PGM_RSRC2:TRAP_HANDLER: 0
; COMPUTE_PGM_RSRC2:TGID_X_EN: 1
; COMPUTE_PGM_RSRC2:TGID_Y_EN: 0
; COMPUTE_PGM_RSRC2:TGID_Z_EN: 0
; COMPUTE_PGM_RSRC2:TIDIG_COMP_CNT: 0
	.section	.text._ZN7rocprim17ROCPRIM_400000_NS6detail17trampoline_kernelINS0_14default_configENS1_36segmented_radix_sort_config_selectorIslEEZNS1_25segmented_radix_sort_implIS3_Lb0EPKsPsPKlPlN2at6native12_GLOBAL__N_18offset_tEEE10hipError_tPvRmT1_PNSt15iterator_traitsISK_E10value_typeET2_T3_PNSL_ISQ_E10value_typeET4_jRbjT5_SW_jjP12ihipStream_tbEUlT_E_NS1_11comp_targetILNS1_3genE10ELNS1_11target_archE1201ELNS1_3gpuE5ELNS1_3repE0EEENS1_30default_config_static_selectorELNS0_4arch9wavefront6targetE0EEEvSK_,"axG",@progbits,_ZN7rocprim17ROCPRIM_400000_NS6detail17trampoline_kernelINS0_14default_configENS1_36segmented_radix_sort_config_selectorIslEEZNS1_25segmented_radix_sort_implIS3_Lb0EPKsPsPKlPlN2at6native12_GLOBAL__N_18offset_tEEE10hipError_tPvRmT1_PNSt15iterator_traitsISK_E10value_typeET2_T3_PNSL_ISQ_E10value_typeET4_jRbjT5_SW_jjP12ihipStream_tbEUlT_E_NS1_11comp_targetILNS1_3genE10ELNS1_11target_archE1201ELNS1_3gpuE5ELNS1_3repE0EEENS1_30default_config_static_selectorELNS0_4arch9wavefront6targetE0EEEvSK_,comdat
	.globl	_ZN7rocprim17ROCPRIM_400000_NS6detail17trampoline_kernelINS0_14default_configENS1_36segmented_radix_sort_config_selectorIslEEZNS1_25segmented_radix_sort_implIS3_Lb0EPKsPsPKlPlN2at6native12_GLOBAL__N_18offset_tEEE10hipError_tPvRmT1_PNSt15iterator_traitsISK_E10value_typeET2_T3_PNSL_ISQ_E10value_typeET4_jRbjT5_SW_jjP12ihipStream_tbEUlT_E_NS1_11comp_targetILNS1_3genE10ELNS1_11target_archE1201ELNS1_3gpuE5ELNS1_3repE0EEENS1_30default_config_static_selectorELNS0_4arch9wavefront6targetE0EEEvSK_ ; -- Begin function _ZN7rocprim17ROCPRIM_400000_NS6detail17trampoline_kernelINS0_14default_configENS1_36segmented_radix_sort_config_selectorIslEEZNS1_25segmented_radix_sort_implIS3_Lb0EPKsPsPKlPlN2at6native12_GLOBAL__N_18offset_tEEE10hipError_tPvRmT1_PNSt15iterator_traitsISK_E10value_typeET2_T3_PNSL_ISQ_E10value_typeET4_jRbjT5_SW_jjP12ihipStream_tbEUlT_E_NS1_11comp_targetILNS1_3genE10ELNS1_11target_archE1201ELNS1_3gpuE5ELNS1_3repE0EEENS1_30default_config_static_selectorELNS0_4arch9wavefront6targetE0EEEvSK_
	.p2align	8
	.type	_ZN7rocprim17ROCPRIM_400000_NS6detail17trampoline_kernelINS0_14default_configENS1_36segmented_radix_sort_config_selectorIslEEZNS1_25segmented_radix_sort_implIS3_Lb0EPKsPsPKlPlN2at6native12_GLOBAL__N_18offset_tEEE10hipError_tPvRmT1_PNSt15iterator_traitsISK_E10value_typeET2_T3_PNSL_ISQ_E10value_typeET4_jRbjT5_SW_jjP12ihipStream_tbEUlT_E_NS1_11comp_targetILNS1_3genE10ELNS1_11target_archE1201ELNS1_3gpuE5ELNS1_3repE0EEENS1_30default_config_static_selectorELNS0_4arch9wavefront6targetE0EEEvSK_,@function
_ZN7rocprim17ROCPRIM_400000_NS6detail17trampoline_kernelINS0_14default_configENS1_36segmented_radix_sort_config_selectorIslEEZNS1_25segmented_radix_sort_implIS3_Lb0EPKsPsPKlPlN2at6native12_GLOBAL__N_18offset_tEEE10hipError_tPvRmT1_PNSt15iterator_traitsISK_E10value_typeET2_T3_PNSL_ISQ_E10value_typeET4_jRbjT5_SW_jjP12ihipStream_tbEUlT_E_NS1_11comp_targetILNS1_3genE10ELNS1_11target_archE1201ELNS1_3gpuE5ELNS1_3repE0EEENS1_30default_config_static_selectorELNS0_4arch9wavefront6targetE0EEEvSK_: ; @_ZN7rocprim17ROCPRIM_400000_NS6detail17trampoline_kernelINS0_14default_configENS1_36segmented_radix_sort_config_selectorIslEEZNS1_25segmented_radix_sort_implIS3_Lb0EPKsPsPKlPlN2at6native12_GLOBAL__N_18offset_tEEE10hipError_tPvRmT1_PNSt15iterator_traitsISK_E10value_typeET2_T3_PNSL_ISQ_E10value_typeET4_jRbjT5_SW_jjP12ihipStream_tbEUlT_E_NS1_11comp_targetILNS1_3genE10ELNS1_11target_archE1201ELNS1_3gpuE5ELNS1_3repE0EEENS1_30default_config_static_selectorELNS0_4arch9wavefront6targetE0EEEvSK_
; %bb.0:
	.section	.rodata,"a",@progbits
	.p2align	6, 0x0
	.amdhsa_kernel _ZN7rocprim17ROCPRIM_400000_NS6detail17trampoline_kernelINS0_14default_configENS1_36segmented_radix_sort_config_selectorIslEEZNS1_25segmented_radix_sort_implIS3_Lb0EPKsPsPKlPlN2at6native12_GLOBAL__N_18offset_tEEE10hipError_tPvRmT1_PNSt15iterator_traitsISK_E10value_typeET2_T3_PNSL_ISQ_E10value_typeET4_jRbjT5_SW_jjP12ihipStream_tbEUlT_E_NS1_11comp_targetILNS1_3genE10ELNS1_11target_archE1201ELNS1_3gpuE5ELNS1_3repE0EEENS1_30default_config_static_selectorELNS0_4arch9wavefront6targetE0EEEvSK_
		.amdhsa_group_segment_fixed_size 0
		.amdhsa_private_segment_fixed_size 0
		.amdhsa_kernarg_size 96
		.amdhsa_user_sgpr_count 15
		.amdhsa_user_sgpr_dispatch_ptr 0
		.amdhsa_user_sgpr_queue_ptr 0
		.amdhsa_user_sgpr_kernarg_segment_ptr 1
		.amdhsa_user_sgpr_dispatch_id 0
		.amdhsa_user_sgpr_private_segment_size 0
		.amdhsa_wavefront_size32 1
		.amdhsa_uses_dynamic_stack 0
		.amdhsa_enable_private_segment 0
		.amdhsa_system_sgpr_workgroup_id_x 1
		.amdhsa_system_sgpr_workgroup_id_y 0
		.amdhsa_system_sgpr_workgroup_id_z 0
		.amdhsa_system_sgpr_workgroup_info 0
		.amdhsa_system_vgpr_workitem_id 0
		.amdhsa_next_free_vgpr 1
		.amdhsa_next_free_sgpr 1
		.amdhsa_reserve_vcc 0
		.amdhsa_float_round_mode_32 0
		.amdhsa_float_round_mode_16_64 0
		.amdhsa_float_denorm_mode_32 3
		.amdhsa_float_denorm_mode_16_64 3
		.amdhsa_dx10_clamp 1
		.amdhsa_ieee_mode 1
		.amdhsa_fp16_overflow 0
		.amdhsa_workgroup_processor_mode 1
		.amdhsa_memory_ordered 1
		.amdhsa_forward_progress 0
		.amdhsa_shared_vgpr_count 0
		.amdhsa_exception_fp_ieee_invalid_op 0
		.amdhsa_exception_fp_denorm_src 0
		.amdhsa_exception_fp_ieee_div_zero 0
		.amdhsa_exception_fp_ieee_overflow 0
		.amdhsa_exception_fp_ieee_underflow 0
		.amdhsa_exception_fp_ieee_inexact 0
		.amdhsa_exception_int_div_zero 0
	.end_amdhsa_kernel
	.section	.text._ZN7rocprim17ROCPRIM_400000_NS6detail17trampoline_kernelINS0_14default_configENS1_36segmented_radix_sort_config_selectorIslEEZNS1_25segmented_radix_sort_implIS3_Lb0EPKsPsPKlPlN2at6native12_GLOBAL__N_18offset_tEEE10hipError_tPvRmT1_PNSt15iterator_traitsISK_E10value_typeET2_T3_PNSL_ISQ_E10value_typeET4_jRbjT5_SW_jjP12ihipStream_tbEUlT_E_NS1_11comp_targetILNS1_3genE10ELNS1_11target_archE1201ELNS1_3gpuE5ELNS1_3repE0EEENS1_30default_config_static_selectorELNS0_4arch9wavefront6targetE0EEEvSK_,"axG",@progbits,_ZN7rocprim17ROCPRIM_400000_NS6detail17trampoline_kernelINS0_14default_configENS1_36segmented_radix_sort_config_selectorIslEEZNS1_25segmented_radix_sort_implIS3_Lb0EPKsPsPKlPlN2at6native12_GLOBAL__N_18offset_tEEE10hipError_tPvRmT1_PNSt15iterator_traitsISK_E10value_typeET2_T3_PNSL_ISQ_E10value_typeET4_jRbjT5_SW_jjP12ihipStream_tbEUlT_E_NS1_11comp_targetILNS1_3genE10ELNS1_11target_archE1201ELNS1_3gpuE5ELNS1_3repE0EEENS1_30default_config_static_selectorELNS0_4arch9wavefront6targetE0EEEvSK_,comdat
.Lfunc_end1019:
	.size	_ZN7rocprim17ROCPRIM_400000_NS6detail17trampoline_kernelINS0_14default_configENS1_36segmented_radix_sort_config_selectorIslEEZNS1_25segmented_radix_sort_implIS3_Lb0EPKsPsPKlPlN2at6native12_GLOBAL__N_18offset_tEEE10hipError_tPvRmT1_PNSt15iterator_traitsISK_E10value_typeET2_T3_PNSL_ISQ_E10value_typeET4_jRbjT5_SW_jjP12ihipStream_tbEUlT_E_NS1_11comp_targetILNS1_3genE10ELNS1_11target_archE1201ELNS1_3gpuE5ELNS1_3repE0EEENS1_30default_config_static_selectorELNS0_4arch9wavefront6targetE0EEEvSK_, .Lfunc_end1019-_ZN7rocprim17ROCPRIM_400000_NS6detail17trampoline_kernelINS0_14default_configENS1_36segmented_radix_sort_config_selectorIslEEZNS1_25segmented_radix_sort_implIS3_Lb0EPKsPsPKlPlN2at6native12_GLOBAL__N_18offset_tEEE10hipError_tPvRmT1_PNSt15iterator_traitsISK_E10value_typeET2_T3_PNSL_ISQ_E10value_typeET4_jRbjT5_SW_jjP12ihipStream_tbEUlT_E_NS1_11comp_targetILNS1_3genE10ELNS1_11target_archE1201ELNS1_3gpuE5ELNS1_3repE0EEENS1_30default_config_static_selectorELNS0_4arch9wavefront6targetE0EEEvSK_
                                        ; -- End function
	.section	.AMDGPU.csdata,"",@progbits
; Kernel info:
; codeLenInByte = 0
; NumSgprs: 0
; NumVgprs: 0
; ScratchSize: 0
; MemoryBound: 0
; FloatMode: 240
; IeeeMode: 1
; LDSByteSize: 0 bytes/workgroup (compile time only)
; SGPRBlocks: 0
; VGPRBlocks: 0
; NumSGPRsForWavesPerEU: 1
; NumVGPRsForWavesPerEU: 1
; Occupancy: 16
; WaveLimiterHint : 0
; COMPUTE_PGM_RSRC2:SCRATCH_EN: 0
; COMPUTE_PGM_RSRC2:USER_SGPR: 15
; COMPUTE_PGM_RSRC2:TRAP_HANDLER: 0
; COMPUTE_PGM_RSRC2:TGID_X_EN: 1
; COMPUTE_PGM_RSRC2:TGID_Y_EN: 0
; COMPUTE_PGM_RSRC2:TGID_Z_EN: 0
; COMPUTE_PGM_RSRC2:TIDIG_COMP_CNT: 0
	.section	.text._ZN7rocprim17ROCPRIM_400000_NS6detail17trampoline_kernelINS0_14default_configENS1_36segmented_radix_sort_config_selectorIslEEZNS1_25segmented_radix_sort_implIS3_Lb0EPKsPsPKlPlN2at6native12_GLOBAL__N_18offset_tEEE10hipError_tPvRmT1_PNSt15iterator_traitsISK_E10value_typeET2_T3_PNSL_ISQ_E10value_typeET4_jRbjT5_SW_jjP12ihipStream_tbEUlT_E_NS1_11comp_targetILNS1_3genE10ELNS1_11target_archE1200ELNS1_3gpuE4ELNS1_3repE0EEENS1_30default_config_static_selectorELNS0_4arch9wavefront6targetE0EEEvSK_,"axG",@progbits,_ZN7rocprim17ROCPRIM_400000_NS6detail17trampoline_kernelINS0_14default_configENS1_36segmented_radix_sort_config_selectorIslEEZNS1_25segmented_radix_sort_implIS3_Lb0EPKsPsPKlPlN2at6native12_GLOBAL__N_18offset_tEEE10hipError_tPvRmT1_PNSt15iterator_traitsISK_E10value_typeET2_T3_PNSL_ISQ_E10value_typeET4_jRbjT5_SW_jjP12ihipStream_tbEUlT_E_NS1_11comp_targetILNS1_3genE10ELNS1_11target_archE1200ELNS1_3gpuE4ELNS1_3repE0EEENS1_30default_config_static_selectorELNS0_4arch9wavefront6targetE0EEEvSK_,comdat
	.globl	_ZN7rocprim17ROCPRIM_400000_NS6detail17trampoline_kernelINS0_14default_configENS1_36segmented_radix_sort_config_selectorIslEEZNS1_25segmented_radix_sort_implIS3_Lb0EPKsPsPKlPlN2at6native12_GLOBAL__N_18offset_tEEE10hipError_tPvRmT1_PNSt15iterator_traitsISK_E10value_typeET2_T3_PNSL_ISQ_E10value_typeET4_jRbjT5_SW_jjP12ihipStream_tbEUlT_E_NS1_11comp_targetILNS1_3genE10ELNS1_11target_archE1200ELNS1_3gpuE4ELNS1_3repE0EEENS1_30default_config_static_selectorELNS0_4arch9wavefront6targetE0EEEvSK_ ; -- Begin function _ZN7rocprim17ROCPRIM_400000_NS6detail17trampoline_kernelINS0_14default_configENS1_36segmented_radix_sort_config_selectorIslEEZNS1_25segmented_radix_sort_implIS3_Lb0EPKsPsPKlPlN2at6native12_GLOBAL__N_18offset_tEEE10hipError_tPvRmT1_PNSt15iterator_traitsISK_E10value_typeET2_T3_PNSL_ISQ_E10value_typeET4_jRbjT5_SW_jjP12ihipStream_tbEUlT_E_NS1_11comp_targetILNS1_3genE10ELNS1_11target_archE1200ELNS1_3gpuE4ELNS1_3repE0EEENS1_30default_config_static_selectorELNS0_4arch9wavefront6targetE0EEEvSK_
	.p2align	8
	.type	_ZN7rocprim17ROCPRIM_400000_NS6detail17trampoline_kernelINS0_14default_configENS1_36segmented_radix_sort_config_selectorIslEEZNS1_25segmented_radix_sort_implIS3_Lb0EPKsPsPKlPlN2at6native12_GLOBAL__N_18offset_tEEE10hipError_tPvRmT1_PNSt15iterator_traitsISK_E10value_typeET2_T3_PNSL_ISQ_E10value_typeET4_jRbjT5_SW_jjP12ihipStream_tbEUlT_E_NS1_11comp_targetILNS1_3genE10ELNS1_11target_archE1200ELNS1_3gpuE4ELNS1_3repE0EEENS1_30default_config_static_selectorELNS0_4arch9wavefront6targetE0EEEvSK_,@function
_ZN7rocprim17ROCPRIM_400000_NS6detail17trampoline_kernelINS0_14default_configENS1_36segmented_radix_sort_config_selectorIslEEZNS1_25segmented_radix_sort_implIS3_Lb0EPKsPsPKlPlN2at6native12_GLOBAL__N_18offset_tEEE10hipError_tPvRmT1_PNSt15iterator_traitsISK_E10value_typeET2_T3_PNSL_ISQ_E10value_typeET4_jRbjT5_SW_jjP12ihipStream_tbEUlT_E_NS1_11comp_targetILNS1_3genE10ELNS1_11target_archE1200ELNS1_3gpuE4ELNS1_3repE0EEENS1_30default_config_static_selectorELNS0_4arch9wavefront6targetE0EEEvSK_: ; @_ZN7rocprim17ROCPRIM_400000_NS6detail17trampoline_kernelINS0_14default_configENS1_36segmented_radix_sort_config_selectorIslEEZNS1_25segmented_radix_sort_implIS3_Lb0EPKsPsPKlPlN2at6native12_GLOBAL__N_18offset_tEEE10hipError_tPvRmT1_PNSt15iterator_traitsISK_E10value_typeET2_T3_PNSL_ISQ_E10value_typeET4_jRbjT5_SW_jjP12ihipStream_tbEUlT_E_NS1_11comp_targetILNS1_3genE10ELNS1_11target_archE1200ELNS1_3gpuE4ELNS1_3repE0EEENS1_30default_config_static_selectorELNS0_4arch9wavefront6targetE0EEEvSK_
; %bb.0:
	.section	.rodata,"a",@progbits
	.p2align	6, 0x0
	.amdhsa_kernel _ZN7rocprim17ROCPRIM_400000_NS6detail17trampoline_kernelINS0_14default_configENS1_36segmented_radix_sort_config_selectorIslEEZNS1_25segmented_radix_sort_implIS3_Lb0EPKsPsPKlPlN2at6native12_GLOBAL__N_18offset_tEEE10hipError_tPvRmT1_PNSt15iterator_traitsISK_E10value_typeET2_T3_PNSL_ISQ_E10value_typeET4_jRbjT5_SW_jjP12ihipStream_tbEUlT_E_NS1_11comp_targetILNS1_3genE10ELNS1_11target_archE1200ELNS1_3gpuE4ELNS1_3repE0EEENS1_30default_config_static_selectorELNS0_4arch9wavefront6targetE0EEEvSK_
		.amdhsa_group_segment_fixed_size 0
		.amdhsa_private_segment_fixed_size 0
		.amdhsa_kernarg_size 96
		.amdhsa_user_sgpr_count 15
		.amdhsa_user_sgpr_dispatch_ptr 0
		.amdhsa_user_sgpr_queue_ptr 0
		.amdhsa_user_sgpr_kernarg_segment_ptr 1
		.amdhsa_user_sgpr_dispatch_id 0
		.amdhsa_user_sgpr_private_segment_size 0
		.amdhsa_wavefront_size32 1
		.amdhsa_uses_dynamic_stack 0
		.amdhsa_enable_private_segment 0
		.amdhsa_system_sgpr_workgroup_id_x 1
		.amdhsa_system_sgpr_workgroup_id_y 0
		.amdhsa_system_sgpr_workgroup_id_z 0
		.amdhsa_system_sgpr_workgroup_info 0
		.amdhsa_system_vgpr_workitem_id 0
		.amdhsa_next_free_vgpr 1
		.amdhsa_next_free_sgpr 1
		.amdhsa_reserve_vcc 0
		.amdhsa_float_round_mode_32 0
		.amdhsa_float_round_mode_16_64 0
		.amdhsa_float_denorm_mode_32 3
		.amdhsa_float_denorm_mode_16_64 3
		.amdhsa_dx10_clamp 1
		.amdhsa_ieee_mode 1
		.amdhsa_fp16_overflow 0
		.amdhsa_workgroup_processor_mode 1
		.amdhsa_memory_ordered 1
		.amdhsa_forward_progress 0
		.amdhsa_shared_vgpr_count 0
		.amdhsa_exception_fp_ieee_invalid_op 0
		.amdhsa_exception_fp_denorm_src 0
		.amdhsa_exception_fp_ieee_div_zero 0
		.amdhsa_exception_fp_ieee_overflow 0
		.amdhsa_exception_fp_ieee_underflow 0
		.amdhsa_exception_fp_ieee_inexact 0
		.amdhsa_exception_int_div_zero 0
	.end_amdhsa_kernel
	.section	.text._ZN7rocprim17ROCPRIM_400000_NS6detail17trampoline_kernelINS0_14default_configENS1_36segmented_radix_sort_config_selectorIslEEZNS1_25segmented_radix_sort_implIS3_Lb0EPKsPsPKlPlN2at6native12_GLOBAL__N_18offset_tEEE10hipError_tPvRmT1_PNSt15iterator_traitsISK_E10value_typeET2_T3_PNSL_ISQ_E10value_typeET4_jRbjT5_SW_jjP12ihipStream_tbEUlT_E_NS1_11comp_targetILNS1_3genE10ELNS1_11target_archE1200ELNS1_3gpuE4ELNS1_3repE0EEENS1_30default_config_static_selectorELNS0_4arch9wavefront6targetE0EEEvSK_,"axG",@progbits,_ZN7rocprim17ROCPRIM_400000_NS6detail17trampoline_kernelINS0_14default_configENS1_36segmented_radix_sort_config_selectorIslEEZNS1_25segmented_radix_sort_implIS3_Lb0EPKsPsPKlPlN2at6native12_GLOBAL__N_18offset_tEEE10hipError_tPvRmT1_PNSt15iterator_traitsISK_E10value_typeET2_T3_PNSL_ISQ_E10value_typeET4_jRbjT5_SW_jjP12ihipStream_tbEUlT_E_NS1_11comp_targetILNS1_3genE10ELNS1_11target_archE1200ELNS1_3gpuE4ELNS1_3repE0EEENS1_30default_config_static_selectorELNS0_4arch9wavefront6targetE0EEEvSK_,comdat
.Lfunc_end1020:
	.size	_ZN7rocprim17ROCPRIM_400000_NS6detail17trampoline_kernelINS0_14default_configENS1_36segmented_radix_sort_config_selectorIslEEZNS1_25segmented_radix_sort_implIS3_Lb0EPKsPsPKlPlN2at6native12_GLOBAL__N_18offset_tEEE10hipError_tPvRmT1_PNSt15iterator_traitsISK_E10value_typeET2_T3_PNSL_ISQ_E10value_typeET4_jRbjT5_SW_jjP12ihipStream_tbEUlT_E_NS1_11comp_targetILNS1_3genE10ELNS1_11target_archE1200ELNS1_3gpuE4ELNS1_3repE0EEENS1_30default_config_static_selectorELNS0_4arch9wavefront6targetE0EEEvSK_, .Lfunc_end1020-_ZN7rocprim17ROCPRIM_400000_NS6detail17trampoline_kernelINS0_14default_configENS1_36segmented_radix_sort_config_selectorIslEEZNS1_25segmented_radix_sort_implIS3_Lb0EPKsPsPKlPlN2at6native12_GLOBAL__N_18offset_tEEE10hipError_tPvRmT1_PNSt15iterator_traitsISK_E10value_typeET2_T3_PNSL_ISQ_E10value_typeET4_jRbjT5_SW_jjP12ihipStream_tbEUlT_E_NS1_11comp_targetILNS1_3genE10ELNS1_11target_archE1200ELNS1_3gpuE4ELNS1_3repE0EEENS1_30default_config_static_selectorELNS0_4arch9wavefront6targetE0EEEvSK_
                                        ; -- End function
	.section	.AMDGPU.csdata,"",@progbits
; Kernel info:
; codeLenInByte = 0
; NumSgprs: 0
; NumVgprs: 0
; ScratchSize: 0
; MemoryBound: 0
; FloatMode: 240
; IeeeMode: 1
; LDSByteSize: 0 bytes/workgroup (compile time only)
; SGPRBlocks: 0
; VGPRBlocks: 0
; NumSGPRsForWavesPerEU: 1
; NumVGPRsForWavesPerEU: 1
; Occupancy: 16
; WaveLimiterHint : 0
; COMPUTE_PGM_RSRC2:SCRATCH_EN: 0
; COMPUTE_PGM_RSRC2:USER_SGPR: 15
; COMPUTE_PGM_RSRC2:TRAP_HANDLER: 0
; COMPUTE_PGM_RSRC2:TGID_X_EN: 1
; COMPUTE_PGM_RSRC2:TGID_Y_EN: 0
; COMPUTE_PGM_RSRC2:TGID_Z_EN: 0
; COMPUTE_PGM_RSRC2:TIDIG_COMP_CNT: 0
	.text
	.p2align	2                               ; -- Begin function _ZN7rocprim17ROCPRIM_400000_NS6detail40segmented_radix_sort_single_block_helperIslLj256ELj16ELb0EE4sortIPKsPsPKlPlEEbT_T0_T1_T2_jjjjRNS3_12storage_typeE
	.type	_ZN7rocprim17ROCPRIM_400000_NS6detail40segmented_radix_sort_single_block_helperIslLj256ELj16ELb0EE4sortIPKsPsPKlPlEEbT_T0_T1_T2_jjjjRNS3_12storage_typeE,@function
_ZN7rocprim17ROCPRIM_400000_NS6detail40segmented_radix_sort_single_block_helperIslLj256ELj16ELb0EE4sortIPKsPsPKlPlEEbT_T0_T1_T2_jjjjRNS3_12storage_typeE: ; @_ZN7rocprim17ROCPRIM_400000_NS6detail40segmented_radix_sort_single_block_helperIslLj256ELj16ELb0EE4sortIPKsPsPKlPlEEbT_T0_T1_T2_jjjjRNS3_12storage_typeE
; %bb.0:
	s_waitcnt vmcnt(0) expcnt(0) lgkmcnt(0)
	s_clause 0x1f
	scratch_store_b32 off, v40, s32 offset:180
	; meta instruction
	scratch_store_b32 off, v41, s32 offset:176
	; meta instruction
	;; [unrolled: 2-line block ×31, first 2 shown]
	scratch_store_b32 off, v95, s32 offset:56
	s_clause 0xd
	scratch_store_b32 off, v104, s32 offset:52
	; meta instruction
	scratch_store_b32 off, v105, s32 offset:48
	; meta instruction
	;; [unrolled: 2-line block ×13, first 2 shown]
	scratch_store_b32 off, v125, s32
	v_sub_nc_u32_e32 v47, v9, v8
	s_mov_b32 s24, exec_lo
	s_delay_alu instid0(VALU_DEP_1)
	v_cmpx_gt_u32_e32 0x1001, v47
	s_cbranch_execz .LBB1021_372
; %bb.1:
	v_bfe_u32 v14, v31, 10, 10
	v_bfe_u32 v15, v31, 20, 10
	v_and_b32_e32 v26, 0x3ff, v31
	v_mbcnt_lo_u32_b32 v35, -1, 0
	s_mov_b32 s0, exec_lo
	v_cmpx_lt_u32_e32 0x800, v47
	s_xor_b32 s25, exec_lo, s0
	s_cbranch_execz .LBB1021_143
; %bb.2:
	s_load_b64 s[0:1], s[8:9], 0x0
	v_mov_b32_e32 v9, 0
	s_mov_b32 s16, 0x7fff7fff
	s_delay_alu instid0(SALU_CYCLE_1)
	s_mov_b32 s17, s16
	s_mov_b32 s18, s16
	s_mov_b32 s19, s16
	s_mov_b32 s20, s16
	s_mov_b32 s21, s16
	s_mov_b32 s22, s16
	s_mov_b32 s23, s16
	s_waitcnt lgkmcnt(0)
	s_cmp_lt_u32 s13, s1
	s_cselect_b32 s1, 14, 20
	s_delay_alu instid0(SALU_CYCLE_1) | instskip(SKIP_4) | instid1(SALU_CYCLE_1)
	s_add_u32 s2, s8, s1
	s_addc_u32 s3, s9, 0
	s_cmp_lt_u32 s12, s0
	global_load_u16 v16, v9, s[2:3]
	s_cselect_b32 s0, 12, 18
	s_add_u32 s0, s8, s0
	s_addc_u32 s1, s9, 0
	global_load_u16 v17, v9, s[0:1]
	s_waitcnt vmcnt(1)
	v_mad_u32_u24 v14, v15, v16, v14
	s_waitcnt vmcnt(0)
	s_delay_alu instid0(VALU_DEP_1) | instskip(SKIP_2) | instid1(VALU_DEP_3)
	v_mad_u64_u32 v[27:28], null, v14, v17, v[26:27]
	v_lshlrev_b32_e32 v14, 1, v35
	v_lshlrev_b64 v[29:30], 1, v[8:9]
	v_lshlrev_b32_e32 v15, 4, v27
	s_delay_alu instid0(VALU_DEP_1) | instskip(NEXT) | instid1(VALU_DEP_3)
	v_dual_mov_b32 v23, v9 :: v_dual_and_b32 v22, 0xfffffe00, v15
	v_add_co_u32 v15, vcc_lo, v0, v29
	s_delay_alu instid0(VALU_DEP_4) | instskip(NEXT) | instid1(VALU_DEP_3)
	v_add_co_ci_u32_e32 v16, vcc_lo, v1, v30, vcc_lo
	v_lshlrev_b64 v[0:1], 1, v[22:23]
	s_delay_alu instid0(VALU_DEP_3) | instskip(NEXT) | instid1(VALU_DEP_3)
	v_add_co_u32 v14, vcc_lo, v15, v14
	v_add_co_ci_u32_e32 v15, vcc_lo, 0, v16, vcc_lo
	v_or_b32_e32 v24, v22, v35
	s_delay_alu instid0(VALU_DEP_3) | instskip(NEXT) | instid1(VALU_DEP_1)
	v_add_co_u32 v0, s0, v14, v0
	v_add_co_ci_u32_e64 v1, s0, v15, v1, s0
	v_dual_mov_b32 v14, s16 :: v_dual_mov_b32 v15, s17
	s_delay_alu instid0(VALU_DEP_4)
	v_cmp_lt_u32_e32 vcc_lo, v24, v47
	v_dual_mov_b32 v16, s18 :: v_dual_mov_b32 v17, s19
	v_dual_mov_b32 v18, s20 :: v_dual_mov_b32 v19, s21
	v_dual_mov_b32 v20, s22 :: v_dual_mov_b32 v21, s23
	s_and_saveexec_b32 s0, vcc_lo
	s_cbranch_execz .LBB1021_4
; %bb.3:
	v_mov_b32_e32 v15, 0x7fff7fff
	s_delay_alu instid0(VALU_DEP_1)
	v_dual_mov_b32 v14, 0x7fff0000 :: v_dual_mov_b32 v17, v15
	flat_load_d16_b16 v14, v[0:1]
	v_mov_b32_e32 v16, v15
	v_mov_b32_e32 v18, v15
	;; [unrolled: 1-line block ×5, first 2 shown]
.LBB1021_4:
	s_or_b32 exec_lo, exec_lo, s0
	v_or_b32_e32 v25, 32, v24
	s_delay_alu instid0(VALU_DEP_1) | instskip(NEXT) | instid1(VALU_DEP_1)
	v_cmp_lt_u32_e64 s0, v25, v47
	s_and_saveexec_b32 s1, s0
	s_cbranch_execz .LBB1021_6
; %bb.5:
	s_waitcnt vmcnt(0) lgkmcnt(0)
	flat_load_d16_hi_b16 v14, v[0:1] offset:64
.LBB1021_6:
	s_or_b32 exec_lo, exec_lo, s1
	v_or_b32_e32 v25, 64, v24
	s_delay_alu instid0(VALU_DEP_1) | instskip(NEXT) | instid1(VALU_DEP_1)
	v_cmp_lt_u32_e64 s1, v25, v47
	s_and_saveexec_b32 s2, s1
	s_cbranch_execz .LBB1021_8
; %bb.7:
	flat_load_d16_b16 v15, v[0:1] offset:128
.LBB1021_8:
	s_or_b32 exec_lo, exec_lo, s2
	v_or_b32_e32 v25, 0x60, v24
	s_delay_alu instid0(VALU_DEP_1) | instskip(NEXT) | instid1(VALU_DEP_1)
	v_cmp_lt_u32_e64 s2, v25, v47
	s_and_saveexec_b32 s3, s2
	s_cbranch_execz .LBB1021_10
; %bb.9:
	s_waitcnt vmcnt(0) lgkmcnt(0)
	flat_load_d16_hi_b16 v15, v[0:1] offset:192
.LBB1021_10:
	s_or_b32 exec_lo, exec_lo, s3
	v_or_b32_e32 v25, 0x80, v24
	s_delay_alu instid0(VALU_DEP_1) | instskip(NEXT) | instid1(VALU_DEP_1)
	v_cmp_lt_u32_e64 s3, v25, v47
	s_and_saveexec_b32 s4, s3
	s_cbranch_execz .LBB1021_12
; %bb.11:
	flat_load_d16_b16 v16, v[0:1] offset:256
.LBB1021_12:
	;; [unrolled: 19-line block ×7, first 2 shown]
	s_or_b32 exec_lo, exec_lo, s18
	v_or_b32_e32 v24, 0x1e0, v24
	s_delay_alu instid0(VALU_DEP_1) | instskip(NEXT) | instid1(VALU_DEP_1)
	v_cmp_lt_u32_e64 s18, v24, v47
	s_and_saveexec_b32 s19, s18
	s_cbranch_execz .LBB1021_34
; %bb.33:
	s_waitcnt vmcnt(0) lgkmcnt(0)
	flat_load_d16_hi_b16 v21, v[0:1] offset:960
.LBB1021_34:
	s_or_b32 exec_lo, exec_lo, s19
	v_lshlrev_b64 v[0:1], 3, v[8:9]
	v_lshlrev_b32_e32 v8, 3, v35
                                        ; implicit-def: $vgpr166_vgpr167
	s_delay_alu instid0(VALU_DEP_2) | instskip(NEXT) | instid1(VALU_DEP_1)
	v_add_co_u32 v9, s19, v4, v0
	v_add_co_ci_u32_e64 v24, s19, v5, v1, s19
	v_lshlrev_b64 v[4:5], 3, v[22:23]
	s_delay_alu instid0(VALU_DEP_3) | instskip(NEXT) | instid1(VALU_DEP_1)
	v_add_co_u32 v8, s19, v9, v8
	v_add_co_ci_u32_e64 v9, s19, 0, v24, s19
	s_delay_alu instid0(VALU_DEP_2) | instskip(NEXT) | instid1(VALU_DEP_1)
	v_add_co_u32 v4, s19, v8, v4
	v_add_co_ci_u32_e64 v5, s19, v9, v5, s19
	s_and_saveexec_b32 s19, vcc_lo
	s_cbranch_execnz .LBB1021_196
; %bb.35:
	s_or_b32 exec_lo, exec_lo, s19
                                        ; implicit-def: $vgpr178_vgpr179
	s_and_saveexec_b32 s19, s0
	s_cbranch_execnz .LBB1021_197
.LBB1021_36:
	s_or_b32 exec_lo, exec_lo, s19
                                        ; implicit-def: $vgpr182_vgpr183
	s_and_saveexec_b32 s0, s1
	s_cbranch_execnz .LBB1021_198
.LBB1021_37:
	s_or_b32 exec_lo, exec_lo, s0
                                        ; implicit-def: $vgpr194_vgpr195
	s_and_saveexec_b32 s0, s2
	s_cbranch_execnz .LBB1021_199
.LBB1021_38:
	s_or_b32 exec_lo, exec_lo, s0
                                        ; implicit-def: $vgpr198_vgpr199
	s_and_saveexec_b32 s0, s3
	s_cbranch_execnz .LBB1021_200
.LBB1021_39:
	s_or_b32 exec_lo, exec_lo, s0
                                        ; implicit-def: $vgpr116_vgpr117
	s_and_saveexec_b32 s0, s4
	s_cbranch_execnz .LBB1021_201
.LBB1021_40:
	s_or_b32 exec_lo, exec_lo, s0
                                        ; implicit-def: $vgpr146_vgpr147
	s_and_saveexec_b32 s0, s5
	s_cbranch_execnz .LBB1021_202
.LBB1021_41:
	s_or_b32 exec_lo, exec_lo, s0
                                        ; implicit-def: $vgpr176_vgpr177
	s_and_saveexec_b32 s0, s6
	s_cbranch_execnz .LBB1021_203
.LBB1021_42:
	s_or_b32 exec_lo, exec_lo, s0
                                        ; implicit-def: $vgpr180_vgpr181
	s_and_saveexec_b32 s0, s7
	s_cbranch_execnz .LBB1021_204
.LBB1021_43:
	s_or_b32 exec_lo, exec_lo, s0
                                        ; implicit-def: $vgpr192_vgpr193
	s_and_saveexec_b32 s0, s10
	s_cbranch_execnz .LBB1021_205
.LBB1021_44:
	s_or_b32 exec_lo, exec_lo, s0
                                        ; implicit-def: $vgpr196_vgpr197
	s_and_saveexec_b32 s0, s11
	s_cbranch_execnz .LBB1021_206
.LBB1021_45:
	s_or_b32 exec_lo, exec_lo, s0
                                        ; implicit-def: $vgpr208_vgpr209
	s_and_saveexec_b32 s0, s14
	s_cbranch_execnz .LBB1021_207
.LBB1021_46:
	s_or_b32 exec_lo, exec_lo, s0
                                        ; implicit-def: $vgpr210_vgpr211
	s_and_saveexec_b32 s0, s15
	s_cbranch_execnz .LBB1021_208
.LBB1021_47:
	s_or_b32 exec_lo, exec_lo, s0
                                        ; implicit-def: $vgpr212_vgpr213
	s_and_saveexec_b32 s0, s16
	s_cbranch_execnz .LBB1021_209
.LBB1021_48:
	s_or_b32 exec_lo, exec_lo, s0
                                        ; implicit-def: $vgpr214_vgpr215
	s_and_saveexec_b32 s0, s17
	s_cbranch_execnz .LBB1021_210
.LBB1021_49:
	s_or_b32 exec_lo, exec_lo, s0
                                        ; implicit-def: $vgpr224_vgpr225
	s_and_saveexec_b32 s0, s18
	s_cbranch_execz .LBB1021_51
.LBB1021_50:
	flat_load_b64 v[224:225], v[4:5] offset:3840
.LBB1021_51:
	s_or_b32 exec_lo, exec_lo, s0
	v_dual_mov_b32 v5, 0 :: v_dual_lshlrev_b32 v4, 5, v26
	s_mov_b32 s20, 0
	s_waitcnt vmcnt(0) lgkmcnt(0)
	v_xor_b32_e32 v121, 0x80008000, v17
	v_add_co_u32 v28, vcc_lo, v12, 32
	v_add_nc_u32_e32 v17, -1, v35
	v_xor_b32_e32 v120, 0x80008000, v16
	s_mov_b32 s21, s20
	s_mov_b32 s22, s20
	;; [unrolled: 1-line block ×3, first 2 shown]
	v_and_b32_e32 v16, 0x3e0, v26
	v_add_co_ci_u32_e32 v74, vcc_lo, 0, v13, vcc_lo
	v_add_co_u32 v8, vcc_lo, v12, v4
	v_xor_b32_e32 v111, 0x80008000, v15
	v_add_co_ci_u32_e32 v9, vcc_lo, 0, v13, vcc_lo
	v_and_b32_e32 v15, 15, v35
	v_cmp_gt_i32_e64 s4, 0, v17
	v_add_co_u32 v31, vcc_lo, v28, v4
	v_min_u32_e32 v4, 0xe0, v16
	v_and_b32_e32 v16, 16, v35
	s_getpc_b64 s[0:1]
	s_add_u32 s0, s0, _ZN7rocprim17ROCPRIM_400000_NS16block_radix_sortIsLj256ELj16ElLj1ELj1ELj8ELNS0_26block_radix_rank_algorithmE2ELNS0_18block_padding_hintE2ELNS0_4arch9wavefront6targetE0EE19radix_bits_per_passE@rel32@lo+4
	s_addc_u32 s1, s1, _ZN7rocprim17ROCPRIM_400000_NS16block_radix_sortIsLj256ELj16ElLj1ELj1ELj8ELNS0_26block_radix_rank_algorithmE2ELNS0_18block_padding_hintE2ELNS0_4arch9wavefront6targetE0EE19radix_bits_per_passE@rel32@hi+12
	v_add_co_ci_u32_e32 v32, vcc_lo, 0, v74, vcc_lo
	s_load_b32 s19, s[0:1], 0x0
	v_cmp_eq_u32_e32 vcc_lo, 0, v15
	v_cmp_lt_u32_e64 s0, 1, v15
	v_cmp_lt_u32_e64 s1, 3, v15
	;; [unrolled: 1-line block ×3, first 2 shown]
	v_cndmask_b32_e64 v15, v17, v35, s4
	v_lshlrev_b32_e32 v17, 4, v26
	v_or_b32_e32 v4, 31, v4
	v_cmp_eq_u32_e64 s3, 0, v16
	v_lshrrev_b32_e32 v16, 5, v26
	v_xor_b32_e32 v123, 0x80008000, v19
	v_and_or_b32 v17, 0x3e00, v17, v35
	v_cmp_eq_u32_e64 s4, v4, v26
	v_lshlrev_b32_e32 v76, 2, v15
	v_lshlrev_b32_e32 v4, 2, v16
	;; [unrolled: 1-line block ×4, first 2 shown]
	v_xor_b32_e32 v122, 0x80008000, v18
	v_and_b32_e32 v18, 7, v35
	v_add_co_u32 v70, s11, v12, v4
	v_add_nc_u32_e32 v4, -1, v16
	v_add_co_ci_u32_e64 v71, s11, 0, v13, s11
	v_add_co_u32 v82, s16, v12, v19
	v_add_co_u32 v80, s11, v12, v15
	s_delay_alu instid0(VALU_DEP_4) | instskip(SKIP_3) | instid1(VALU_DEP_4)
	v_lshlrev_b64 v[15:16], 2, v[4:5]
	v_add_co_ci_u32_e64 v83, s16, 0, v13, s16
	v_add_co_ci_u32_e64 v81, s11, 0, v13, s11
	v_xor_b32_e32 v78, 0x80008000, v14
	v_add_co_u32 v86, s16, v12, v15
	s_delay_alu instid0(VALU_DEP_4)
	v_mad_u64_u32 v[102:103], null, v17, 6, v[82:83]
	v_add_co_ci_u32_e64 v87, s16, v13, v16, s16
	v_mov_b32_e32 v14, s20
	v_xor_b32_e32 v124, 0x80008000, v20
	v_xor_b32_e32 v125, 0x80008000, v21
	v_lshrrev_b32_e32 v75, 5, v27
	v_cmp_gt_u32_e64 s5, 8, v26
	v_cmp_lt_u32_e64 s6, 31, v26
	v_cmp_eq_u32_e64 s7, 0, v35
	v_cmp_eq_u32_e64 s10, 0, v26
	;; [unrolled: 1-line block ×3, first 2 shown]
	v_cmp_lt_u32_e64 s14, 1, v18
	v_cmp_lt_u32_e64 s15, 3, v18
	v_sub_nc_u32_e32 v77, v11, v10
	v_dual_mov_b32 v15, s21 :: v_dual_mov_b32 v16, s22
	v_mov_b32_e32 v17, s23
	s_waitcnt lgkmcnt(0)
	s_waitcnt_vscnt null, 0x0
	s_barrier
	buffer_gl0_inv
	s_branch .LBB1021_53
.LBB1021_52:                            ;   in Loop: Header=BB1021_53 Depth=1
	s_or_b32 exec_lo, exec_lo, s17
	s_delay_alu instid0(SALU_CYCLE_1) | instskip(NEXT) | instid1(SALU_CYCLE_1)
	s_and_b32 s16, exec_lo, s18
	s_or_b32 s20, s16, s20
	s_delay_alu instid0(SALU_CYCLE_1)
	s_and_not1_b32 exec_lo, exec_lo, s20
	s_cbranch_execz .LBB1021_93
.LBB1021_53:                            ; =>This Inner Loop Header: Depth=1
	v_min_u32_e32 v4, s19, v77
	v_dual_mov_b32 v79, v125 :: v_dual_and_b32 v18, 0xffff, v78
	v_dual_mov_b32 v88, v124 :: v_dual_mov_b32 v89, v123
	s_delay_alu instid0(VALU_DEP_3) | instskip(SKIP_1) | instid1(VALU_DEP_4)
	v_lshlrev_b32_e64 v4, v4, -1
	v_dual_mov_b32 v90, v122 :: v_dual_mov_b32 v91, v121
	v_lshrrev_b32_e32 v19, v10, v18
	v_dual_mov_b32 v92, v120 :: v_dual_mov_b32 v93, v111
	s_delay_alu instid0(VALU_DEP_4) | instskip(SKIP_2) | instid1(VALU_DEP_3)
	v_not_b32_e32 v18, v4
	v_dual_mov_b32 v64, v166 :: v_dual_mov_b32 v65, v167
	v_dual_mov_b32 v68, v178 :: v_dual_mov_b32 v69, v179
	v_dual_mov_b32 v35, v194 :: v_dual_and_b32 v4, v19, v18
	v_dual_mov_b32 v36, v195 :: v_dual_mov_b32 v33, v198
	s_delay_alu instid0(VALU_DEP_2) | instskip(SKIP_3) | instid1(VALU_DEP_4)
	v_dual_mov_b32 v34, v199 :: v_dual_and_b32 v19, 1, v4
	v_lshlrev_b32_e32 v20, 30, v4
	v_dual_mov_b32 v112, v116 :: v_dual_lshlrev_b32 v21, 29, v4
	v_mov_b32_e32 v113, v117
	v_add_co_u32 v19, s16, v19, -1
	s_delay_alu instid0(VALU_DEP_1)
	v_cndmask_b32_e64 v23, 0, 1, s16
	v_not_b32_e32 v38, v20
	v_lshlrev_b32_e32 v22, 28, v4
	v_cmp_gt_i32_e64 s17, 0, v20
	v_not_b32_e32 v20, v21
	v_cmp_ne_u32_e64 s16, 0, v23
	v_ashrrev_i32_e32 v38, 31, v38
	v_dual_mov_b32 v114, v146 :: v_dual_lshlrev_b32 v25, 26, v4
	v_lshlrev_b32_e32 v24, 27, v4
	s_delay_alu instid0(VALU_DEP_4)
	v_xor_b32_e32 v19, s16, v19
	v_cmp_gt_i32_e64 s16, 0, v21
	v_ashrrev_i32_e32 v20, 31, v20
	v_xor_b32_e32 v38, s17, v38
	v_mov_b32_e32 v115, v147
	v_not_b32_e32 v21, v22
	v_dual_mov_b32 v98, v192 :: v_dual_and_b32 v19, exec_lo, v19
	v_dual_mov_b32 v100, v176 :: v_dual_lshlrev_b32 v37, 25, v4
	v_cmp_gt_i32_e64 s17, 0, v22
	s_delay_alu instid0(VALU_DEP_4)
	v_ashrrev_i32_e32 v21, 31, v21
	v_xor_b32_e32 v20, s16, v20
	v_dual_mov_b32 v96, v196 :: v_dual_and_b32 v19, v19, v38
	v_mov_b32_e32 v101, v177
	v_not_b32_e32 v22, v24
	v_cmp_gt_i32_e64 s16, 0, v24
	v_not_b32_e32 v24, v25
	v_xor_b32_e32 v21, s17, v21
	v_dual_mov_b32 v50, v208 :: v_dual_and_b32 v19, v19, v20
	v_ashrrev_i32_e32 v22, 31, v22
	v_dual_mov_b32 v84, v180 :: v_dual_lshlrev_b32 v23, 24, v4
	v_cmp_gt_i32_e64 s17, 0, v25
	v_not_b32_e32 v20, v37
	v_ashrrev_i32_e32 v24, 31, v24
	v_xor_b32_e32 v22, s16, v22
	v_dual_mov_b32 v48, v210 :: v_dual_and_b32 v19, v19, v21
	v_cmp_gt_i32_e64 s16, 0, v37
	v_not_b32_e32 v21, v23
	v_ashrrev_i32_e32 v20, 31, v20
	v_xor_b32_e32 v24, s17, v24
	v_dual_mov_b32 v54, v212 :: v_dual_and_b32 v19, v19, v22
	v_cmp_gt_i32_e64 s17, 0, v23
	v_ashrrev_i32_e32 v21, 31, v21
	v_xor_b32_e32 v20, s16, v20
	s_delay_alu instid0(VALU_DEP_4) | instskip(SKIP_1) | instid1(VALU_DEP_4)
	v_dual_mov_b32 v52, v214 :: v_dual_and_b32 v19, v19, v24
	v_mov_b32_e32 v37, v224
	v_xor_b32_e32 v21, s17, v21
	v_mov_b32_e32 v85, v181
	s_delay_alu instid0(VALU_DEP_4) | instskip(SKIP_2) | instid1(VALU_DEP_3)
	v_dual_mov_b32 v38, v225 :: v_dual_and_b32 v19, v19, v20
	v_lshlrev_b32_e32 v20, 3, v4
	v_dual_mov_b32 v66, v182 :: v_dual_mov_b32 v67, v183
	v_and_b32_e32 v19, v19, v21
	v_mov_b32_e32 v99, v193
	s_delay_alu instid0(VALU_DEP_4)
	v_add_lshl_u32 v20, v20, v75, 2
	v_mov_b32_e32 v97, v197
	v_mov_b32_e32 v51, v209
	v_mbcnt_lo_u32_b32 v4, v19, 0
	v_cmp_ne_u32_e64 s17, 0, v19
	v_add_co_u32 v116, s18, v28, v20
	v_mov_b32_e32 v49, v211
	s_delay_alu instid0(VALU_DEP_4) | instskip(SKIP_3) | instid1(VALU_DEP_4)
	v_cmp_eq_u32_e64 s16, 0, v4
	v_mov_b32_e32 v55, v213
	v_mov_b32_e32 v53, v215
	v_add_co_ci_u32_e64 v117, s18, 0, v74, s18
	s_and_b32 s17, s17, s16
	s_clause 0x1
	flat_store_b128 v[8:9], v[14:17] offset:32
	flat_store_b128 v[31:32], v[14:17] offset:16
	s_waitcnt lgkmcnt(0)
	s_waitcnt_vscnt null, 0x0
	s_barrier
	buffer_gl0_inv
	; wave barrier
	s_and_saveexec_b32 s16, s17
	s_cbranch_execz .LBB1021_55
; %bb.54:                               ;   in Loop: Header=BB1021_53 Depth=1
	v_bcnt_u32_b32 v19, v19, 0
	flat_store_b32 v[116:117], v19
.LBB1021_55:                            ;   in Loop: Header=BB1021_53 Depth=1
	s_or_b32 exec_lo, exec_lo, s16
	v_lshrrev_b32_e32 v94, 16, v78
	; wave barrier
	s_delay_alu instid0(VALU_DEP_1) | instskip(NEXT) | instid1(VALU_DEP_1)
	v_lshrrev_b32_e32 v19, v10, v94
	v_and_b32_e32 v19, v19, v18
	s_delay_alu instid0(VALU_DEP_1) | instskip(SKIP_3) | instid1(VALU_DEP_4)
	v_lshlrev_b32_e32 v20, 3, v19
	v_lshlrev_b32_e32 v22, 30, v19
	;; [unrolled: 1-line block ×4, first 2 shown]
	v_add_lshl_u32 v20, v20, v75, 2
	s_delay_alu instid0(VALU_DEP_1) | instskip(NEXT) | instid1(VALU_DEP_1)
	v_add_co_u32 v118, s16, v28, v20
	v_add_co_ci_u32_e64 v119, s16, 0, v74, s16
	v_and_b32_e32 v20, 1, v19
	flat_load_b32 v39, v[118:119]
	v_add_co_u32 v20, s16, v20, -1
	s_delay_alu instid0(VALU_DEP_1) | instskip(NEXT) | instid1(VALU_DEP_1)
	v_cndmask_b32_e64 v21, 0, 1, s16
	; wave barrier
	v_cmp_ne_u32_e64 s16, 0, v21
	v_not_b32_e32 v21, v22
	s_delay_alu instid0(VALU_DEP_2) | instskip(SKIP_1) | instid1(VALU_DEP_3)
	v_xor_b32_e32 v20, s16, v20
	v_cmp_gt_i32_e64 s16, 0, v22
	v_ashrrev_i32_e32 v21, 31, v21
	v_not_b32_e32 v22, v23
	s_delay_alu instid0(VALU_DEP_4) | instskip(NEXT) | instid1(VALU_DEP_3)
	v_and_b32_e32 v20, exec_lo, v20
	v_xor_b32_e32 v21, s16, v21
	v_cmp_gt_i32_e64 s16, 0, v23
	s_delay_alu instid0(VALU_DEP_4) | instskip(SKIP_1) | instid1(VALU_DEP_4)
	v_ashrrev_i32_e32 v22, 31, v22
	v_not_b32_e32 v23, v24
	v_and_b32_e32 v20, v20, v21
	v_lshlrev_b32_e32 v21, 27, v19
	s_delay_alu instid0(VALU_DEP_4) | instskip(SKIP_2) | instid1(VALU_DEP_4)
	v_xor_b32_e32 v22, s16, v22
	v_cmp_gt_i32_e64 s16, 0, v24
	v_ashrrev_i32_e32 v23, 31, v23
	v_not_b32_e32 v24, v21
	s_delay_alu instid0(VALU_DEP_4) | instskip(SKIP_1) | instid1(VALU_DEP_4)
	v_and_b32_e32 v20, v20, v22
	v_lshlrev_b32_e32 v22, 26, v19
	v_xor_b32_e32 v23, s16, v23
	v_cmp_gt_i32_e64 s16, 0, v21
	v_ashrrev_i32_e32 v21, 31, v24
	s_delay_alu instid0(VALU_DEP_4) | instskip(NEXT) | instid1(VALU_DEP_4)
	v_not_b32_e32 v24, v22
	v_and_b32_e32 v20, v20, v23
	v_lshlrev_b32_e32 v23, 25, v19
	s_delay_alu instid0(VALU_DEP_4)
	v_xor_b32_e32 v21, s16, v21
	v_cmp_gt_i32_e64 s16, 0, v22
	v_ashrrev_i32_e32 v22, 31, v24
	v_lshlrev_b32_e32 v19, 24, v19
	v_not_b32_e32 v24, v23
	v_and_b32_e32 v20, v20, v21
	s_delay_alu instid0(VALU_DEP_4) | instskip(SKIP_1) | instid1(VALU_DEP_4)
	v_xor_b32_e32 v21, s16, v22
	v_cmp_gt_i32_e64 s16, 0, v23
	v_ashrrev_i32_e32 v22, 31, v24
	v_not_b32_e32 v23, v19
	s_delay_alu instid0(VALU_DEP_4) | instskip(NEXT) | instid1(VALU_DEP_3)
	v_and_b32_e32 v20, v20, v21
	v_xor_b32_e32 v21, s16, v22
	v_cmp_gt_i32_e64 s16, 0, v19
	s_delay_alu instid0(VALU_DEP_4) | instskip(NEXT) | instid1(VALU_DEP_3)
	v_ashrrev_i32_e32 v19, 31, v23
	v_and_b32_e32 v20, v20, v21
	s_delay_alu instid0(VALU_DEP_2) | instskip(NEXT) | instid1(VALU_DEP_1)
	v_xor_b32_e32 v19, s16, v19
	v_and_b32_e32 v19, v20, v19
	s_delay_alu instid0(VALU_DEP_1) | instskip(SKIP_1) | instid1(VALU_DEP_2)
	v_mbcnt_lo_u32_b32 v180, v19, 0
	v_cmp_ne_u32_e64 s17, 0, v19
	v_cmp_eq_u32_e64 s16, 0, v180
	s_delay_alu instid0(VALU_DEP_1) | instskip(NEXT) | instid1(SALU_CYCLE_1)
	s_and_b32 s17, s17, s16
	s_and_saveexec_b32 s16, s17
	s_cbranch_execz .LBB1021_57
; %bb.56:                               ;   in Loop: Header=BB1021_53 Depth=1
	s_waitcnt vmcnt(0) lgkmcnt(0)
	v_bcnt_u32_b32 v19, v19, v39
	flat_store_b32 v[118:119], v19
.LBB1021_57:                            ;   in Loop: Header=BB1021_53 Depth=1
	s_or_b32 exec_lo, exec_lo, s16
	v_and_b32_e32 v19, 0xffff, v93
	; wave barrier
	s_delay_alu instid0(VALU_DEP_1) | instskip(NEXT) | instid1(VALU_DEP_1)
	v_lshrrev_b32_e32 v19, v10, v19
	v_and_b32_e32 v19, v19, v18
	s_delay_alu instid0(VALU_DEP_1) | instskip(SKIP_3) | instid1(VALU_DEP_4)
	v_lshlrev_b32_e32 v20, 3, v19
	v_lshlrev_b32_e32 v22, 30, v19
	v_lshlrev_b32_e32 v23, 29, v19
	v_lshlrev_b32_e32 v24, 28, v19
	v_add_lshl_u32 v20, v20, v75, 2
	s_delay_alu instid0(VALU_DEP_1) | instskip(NEXT) | instid1(VALU_DEP_1)
	v_add_co_u32 v128, s16, v28, v20
	v_add_co_ci_u32_e64 v129, s16, 0, v74, s16
	v_and_b32_e32 v20, 1, v19
	flat_load_b32 v181, v[128:129]
	v_add_co_u32 v20, s16, v20, -1
	s_delay_alu instid0(VALU_DEP_1) | instskip(NEXT) | instid1(VALU_DEP_1)
	v_cndmask_b32_e64 v21, 0, 1, s16
	; wave barrier
	v_cmp_ne_u32_e64 s16, 0, v21
	v_not_b32_e32 v21, v22
	s_delay_alu instid0(VALU_DEP_2) | instskip(SKIP_1) | instid1(VALU_DEP_3)
	v_xor_b32_e32 v20, s16, v20
	v_cmp_gt_i32_e64 s16, 0, v22
	v_ashrrev_i32_e32 v21, 31, v21
	v_not_b32_e32 v22, v23
	s_delay_alu instid0(VALU_DEP_4) | instskip(NEXT) | instid1(VALU_DEP_3)
	v_and_b32_e32 v20, exec_lo, v20
	v_xor_b32_e32 v21, s16, v21
	v_cmp_gt_i32_e64 s16, 0, v23
	s_delay_alu instid0(VALU_DEP_4) | instskip(SKIP_1) | instid1(VALU_DEP_4)
	v_ashrrev_i32_e32 v22, 31, v22
	v_not_b32_e32 v23, v24
	v_and_b32_e32 v20, v20, v21
	v_lshlrev_b32_e32 v21, 27, v19
	s_delay_alu instid0(VALU_DEP_4) | instskip(SKIP_2) | instid1(VALU_DEP_4)
	v_xor_b32_e32 v22, s16, v22
	v_cmp_gt_i32_e64 s16, 0, v24
	v_ashrrev_i32_e32 v23, 31, v23
	v_not_b32_e32 v24, v21
	s_delay_alu instid0(VALU_DEP_4) | instskip(SKIP_1) | instid1(VALU_DEP_4)
	v_and_b32_e32 v20, v20, v22
	v_lshlrev_b32_e32 v22, 26, v19
	v_xor_b32_e32 v23, s16, v23
	v_cmp_gt_i32_e64 s16, 0, v21
	v_ashrrev_i32_e32 v21, 31, v24
	s_delay_alu instid0(VALU_DEP_4) | instskip(NEXT) | instid1(VALU_DEP_4)
	v_not_b32_e32 v24, v22
	v_and_b32_e32 v20, v20, v23
	v_lshlrev_b32_e32 v23, 25, v19
	s_delay_alu instid0(VALU_DEP_4)
	v_xor_b32_e32 v21, s16, v21
	v_cmp_gt_i32_e64 s16, 0, v22
	v_ashrrev_i32_e32 v22, 31, v24
	v_lshlrev_b32_e32 v19, 24, v19
	v_not_b32_e32 v24, v23
	v_and_b32_e32 v20, v20, v21
	s_delay_alu instid0(VALU_DEP_4) | instskip(SKIP_1) | instid1(VALU_DEP_4)
	v_xor_b32_e32 v21, s16, v22
	v_cmp_gt_i32_e64 s16, 0, v23
	v_ashrrev_i32_e32 v22, 31, v24
	v_not_b32_e32 v23, v19
	s_delay_alu instid0(VALU_DEP_4) | instskip(NEXT) | instid1(VALU_DEP_3)
	v_and_b32_e32 v20, v20, v21
	v_xor_b32_e32 v21, s16, v22
	v_cmp_gt_i32_e64 s16, 0, v19
	s_delay_alu instid0(VALU_DEP_4) | instskip(NEXT) | instid1(VALU_DEP_3)
	v_ashrrev_i32_e32 v19, 31, v23
	v_and_b32_e32 v20, v20, v21
	s_delay_alu instid0(VALU_DEP_2) | instskip(NEXT) | instid1(VALU_DEP_1)
	v_xor_b32_e32 v19, s16, v19
	v_and_b32_e32 v19, v20, v19
	s_delay_alu instid0(VALU_DEP_1) | instskip(SKIP_1) | instid1(VALU_DEP_2)
	v_mbcnt_lo_u32_b32 v182, v19, 0
	v_cmp_ne_u32_e64 s17, 0, v19
	v_cmp_eq_u32_e64 s16, 0, v182
	s_delay_alu instid0(VALU_DEP_1) | instskip(NEXT) | instid1(SALU_CYCLE_1)
	s_and_b32 s17, s17, s16
	s_and_saveexec_b32 s16, s17
	s_cbranch_execz .LBB1021_59
; %bb.58:                               ;   in Loop: Header=BB1021_53 Depth=1
	s_waitcnt vmcnt(0) lgkmcnt(0)
	v_bcnt_u32_b32 v19, v19, v181
	flat_store_b32 v[128:129], v19
.LBB1021_59:                            ;   in Loop: Header=BB1021_53 Depth=1
	s_or_b32 exec_lo, exec_lo, s16
	v_lshrrev_b32_e32 v95, 16, v93
	; wave barrier
	s_delay_alu instid0(VALU_DEP_1) | instskip(NEXT) | instid1(VALU_DEP_1)
	v_lshrrev_b32_e32 v19, v10, v95
	v_and_b32_e32 v19, v19, v18
	s_delay_alu instid0(VALU_DEP_1) | instskip(SKIP_3) | instid1(VALU_DEP_4)
	v_lshlrev_b32_e32 v20, 3, v19
	v_lshlrev_b32_e32 v22, 30, v19
	;; [unrolled: 1-line block ×4, first 2 shown]
	v_add_lshl_u32 v20, v20, v75, 2
	s_delay_alu instid0(VALU_DEP_1) | instskip(NEXT) | instid1(VALU_DEP_1)
	v_add_co_u32 v130, s16, v28, v20
	v_add_co_ci_u32_e64 v131, s16, 0, v74, s16
	v_and_b32_e32 v20, 1, v19
	flat_load_b32 v183, v[130:131]
	v_add_co_u32 v20, s16, v20, -1
	s_delay_alu instid0(VALU_DEP_1) | instskip(NEXT) | instid1(VALU_DEP_1)
	v_cndmask_b32_e64 v21, 0, 1, s16
	; wave barrier
	v_cmp_ne_u32_e64 s16, 0, v21
	v_not_b32_e32 v21, v22
	s_delay_alu instid0(VALU_DEP_2) | instskip(SKIP_1) | instid1(VALU_DEP_3)
	v_xor_b32_e32 v20, s16, v20
	v_cmp_gt_i32_e64 s16, 0, v22
	v_ashrrev_i32_e32 v21, 31, v21
	v_not_b32_e32 v22, v23
	s_delay_alu instid0(VALU_DEP_4) | instskip(NEXT) | instid1(VALU_DEP_3)
	v_and_b32_e32 v20, exec_lo, v20
	v_xor_b32_e32 v21, s16, v21
	v_cmp_gt_i32_e64 s16, 0, v23
	s_delay_alu instid0(VALU_DEP_4) | instskip(SKIP_1) | instid1(VALU_DEP_4)
	v_ashrrev_i32_e32 v22, 31, v22
	v_not_b32_e32 v23, v24
	v_and_b32_e32 v20, v20, v21
	v_lshlrev_b32_e32 v21, 27, v19
	s_delay_alu instid0(VALU_DEP_4) | instskip(SKIP_2) | instid1(VALU_DEP_4)
	v_xor_b32_e32 v22, s16, v22
	v_cmp_gt_i32_e64 s16, 0, v24
	v_ashrrev_i32_e32 v23, 31, v23
	v_not_b32_e32 v24, v21
	s_delay_alu instid0(VALU_DEP_4) | instskip(SKIP_1) | instid1(VALU_DEP_4)
	v_and_b32_e32 v20, v20, v22
	v_lshlrev_b32_e32 v22, 26, v19
	v_xor_b32_e32 v23, s16, v23
	v_cmp_gt_i32_e64 s16, 0, v21
	v_ashrrev_i32_e32 v21, 31, v24
	s_delay_alu instid0(VALU_DEP_4) | instskip(NEXT) | instid1(VALU_DEP_4)
	v_not_b32_e32 v24, v22
	v_and_b32_e32 v20, v20, v23
	v_lshlrev_b32_e32 v23, 25, v19
	s_delay_alu instid0(VALU_DEP_4)
	v_xor_b32_e32 v21, s16, v21
	v_cmp_gt_i32_e64 s16, 0, v22
	v_ashrrev_i32_e32 v22, 31, v24
	v_lshlrev_b32_e32 v19, 24, v19
	v_not_b32_e32 v24, v23
	v_and_b32_e32 v20, v20, v21
	s_delay_alu instid0(VALU_DEP_4) | instskip(SKIP_1) | instid1(VALU_DEP_4)
	v_xor_b32_e32 v21, s16, v22
	v_cmp_gt_i32_e64 s16, 0, v23
	v_ashrrev_i32_e32 v22, 31, v24
	v_not_b32_e32 v23, v19
	s_delay_alu instid0(VALU_DEP_4) | instskip(NEXT) | instid1(VALU_DEP_3)
	v_and_b32_e32 v20, v20, v21
	v_xor_b32_e32 v21, s16, v22
	v_cmp_gt_i32_e64 s16, 0, v19
	s_delay_alu instid0(VALU_DEP_4) | instskip(NEXT) | instid1(VALU_DEP_3)
	v_ashrrev_i32_e32 v19, 31, v23
	v_and_b32_e32 v20, v20, v21
	s_delay_alu instid0(VALU_DEP_2) | instskip(NEXT) | instid1(VALU_DEP_1)
	v_xor_b32_e32 v19, s16, v19
	v_and_b32_e32 v19, v20, v19
	s_delay_alu instid0(VALU_DEP_1) | instskip(SKIP_1) | instid1(VALU_DEP_2)
	v_mbcnt_lo_u32_b32 v192, v19, 0
	v_cmp_ne_u32_e64 s17, 0, v19
	v_cmp_eq_u32_e64 s16, 0, v192
	s_delay_alu instid0(VALU_DEP_1) | instskip(NEXT) | instid1(SALU_CYCLE_1)
	s_and_b32 s17, s17, s16
	s_and_saveexec_b32 s16, s17
	s_cbranch_execz .LBB1021_61
; %bb.60:                               ;   in Loop: Header=BB1021_53 Depth=1
	s_waitcnt vmcnt(0) lgkmcnt(0)
	v_bcnt_u32_b32 v19, v19, v183
	flat_store_b32 v[130:131], v19
.LBB1021_61:                            ;   in Loop: Header=BB1021_53 Depth=1
	s_or_b32 exec_lo, exec_lo, s16
	v_and_b32_e32 v19, 0xffff, v92
	; wave barrier
	s_delay_alu instid0(VALU_DEP_1) | instskip(NEXT) | instid1(VALU_DEP_1)
	v_lshrrev_b32_e32 v19, v10, v19
	v_and_b32_e32 v19, v19, v18
	s_delay_alu instid0(VALU_DEP_1) | instskip(SKIP_3) | instid1(VALU_DEP_4)
	v_lshlrev_b32_e32 v20, 3, v19
	v_lshlrev_b32_e32 v22, 30, v19
	;; [unrolled: 1-line block ×4, first 2 shown]
	v_add_lshl_u32 v20, v20, v75, 2
	s_delay_alu instid0(VALU_DEP_1) | instskip(NEXT) | instid1(VALU_DEP_1)
	v_add_co_u32 v132, s16, v28, v20
	v_add_co_ci_u32_e64 v133, s16, 0, v74, s16
	v_and_b32_e32 v20, 1, v19
	flat_load_b32 v193, v[132:133]
	v_add_co_u32 v20, s16, v20, -1
	s_delay_alu instid0(VALU_DEP_1) | instskip(NEXT) | instid1(VALU_DEP_1)
	v_cndmask_b32_e64 v21, 0, 1, s16
	; wave barrier
	v_cmp_ne_u32_e64 s16, 0, v21
	v_not_b32_e32 v21, v22
	s_delay_alu instid0(VALU_DEP_2) | instskip(SKIP_1) | instid1(VALU_DEP_3)
	v_xor_b32_e32 v20, s16, v20
	v_cmp_gt_i32_e64 s16, 0, v22
	v_ashrrev_i32_e32 v21, 31, v21
	v_not_b32_e32 v22, v23
	s_delay_alu instid0(VALU_DEP_4) | instskip(NEXT) | instid1(VALU_DEP_3)
	v_and_b32_e32 v20, exec_lo, v20
	v_xor_b32_e32 v21, s16, v21
	v_cmp_gt_i32_e64 s16, 0, v23
	s_delay_alu instid0(VALU_DEP_4) | instskip(SKIP_1) | instid1(VALU_DEP_4)
	v_ashrrev_i32_e32 v22, 31, v22
	v_not_b32_e32 v23, v24
	v_and_b32_e32 v20, v20, v21
	v_lshlrev_b32_e32 v21, 27, v19
	s_delay_alu instid0(VALU_DEP_4) | instskip(SKIP_2) | instid1(VALU_DEP_4)
	v_xor_b32_e32 v22, s16, v22
	v_cmp_gt_i32_e64 s16, 0, v24
	v_ashrrev_i32_e32 v23, 31, v23
	v_not_b32_e32 v24, v21
	s_delay_alu instid0(VALU_DEP_4) | instskip(SKIP_1) | instid1(VALU_DEP_4)
	v_and_b32_e32 v20, v20, v22
	v_lshlrev_b32_e32 v22, 26, v19
	v_xor_b32_e32 v23, s16, v23
	v_cmp_gt_i32_e64 s16, 0, v21
	v_ashrrev_i32_e32 v21, 31, v24
	s_delay_alu instid0(VALU_DEP_4) | instskip(NEXT) | instid1(VALU_DEP_4)
	v_not_b32_e32 v24, v22
	v_and_b32_e32 v20, v20, v23
	v_lshlrev_b32_e32 v23, 25, v19
	s_delay_alu instid0(VALU_DEP_4)
	v_xor_b32_e32 v21, s16, v21
	v_cmp_gt_i32_e64 s16, 0, v22
	v_ashrrev_i32_e32 v22, 31, v24
	v_lshlrev_b32_e32 v19, 24, v19
	v_not_b32_e32 v24, v23
	v_and_b32_e32 v20, v20, v21
	s_delay_alu instid0(VALU_DEP_4) | instskip(SKIP_1) | instid1(VALU_DEP_4)
	v_xor_b32_e32 v21, s16, v22
	v_cmp_gt_i32_e64 s16, 0, v23
	v_ashrrev_i32_e32 v22, 31, v24
	v_not_b32_e32 v23, v19
	s_delay_alu instid0(VALU_DEP_4) | instskip(NEXT) | instid1(VALU_DEP_3)
	v_and_b32_e32 v20, v20, v21
	v_xor_b32_e32 v21, s16, v22
	v_cmp_gt_i32_e64 s16, 0, v19
	s_delay_alu instid0(VALU_DEP_4) | instskip(NEXT) | instid1(VALU_DEP_3)
	v_ashrrev_i32_e32 v19, 31, v23
	v_and_b32_e32 v20, v20, v21
	s_delay_alu instid0(VALU_DEP_2) | instskip(NEXT) | instid1(VALU_DEP_1)
	v_xor_b32_e32 v19, s16, v19
	v_and_b32_e32 v19, v20, v19
	s_delay_alu instid0(VALU_DEP_1) | instskip(SKIP_1) | instid1(VALU_DEP_2)
	v_mbcnt_lo_u32_b32 v194, v19, 0
	v_cmp_ne_u32_e64 s17, 0, v19
	v_cmp_eq_u32_e64 s16, 0, v194
	s_delay_alu instid0(VALU_DEP_1) | instskip(NEXT) | instid1(SALU_CYCLE_1)
	s_and_b32 s17, s17, s16
	s_and_saveexec_b32 s16, s17
	s_cbranch_execz .LBB1021_63
; %bb.62:                               ;   in Loop: Header=BB1021_53 Depth=1
	s_waitcnt vmcnt(0) lgkmcnt(0)
	v_bcnt_u32_b32 v19, v19, v193
	flat_store_b32 v[132:133], v19
.LBB1021_63:                            ;   in Loop: Header=BB1021_53 Depth=1
	s_or_b32 exec_lo, exec_lo, s16
	v_lshrrev_b32_e32 v104, 16, v92
	; wave barrier
	s_delay_alu instid0(VALU_DEP_1) | instskip(NEXT) | instid1(VALU_DEP_1)
	v_lshrrev_b32_e32 v19, v10, v104
	v_and_b32_e32 v19, v19, v18
	s_delay_alu instid0(VALU_DEP_1) | instskip(SKIP_3) | instid1(VALU_DEP_4)
	v_lshlrev_b32_e32 v20, 3, v19
	v_lshlrev_b32_e32 v22, 30, v19
	;; [unrolled: 1-line block ×4, first 2 shown]
	v_add_lshl_u32 v20, v20, v75, 2
	s_delay_alu instid0(VALU_DEP_1) | instskip(NEXT) | instid1(VALU_DEP_1)
	v_add_co_u32 v134, s16, v28, v20
	v_add_co_ci_u32_e64 v135, s16, 0, v74, s16
	v_and_b32_e32 v20, 1, v19
	flat_load_b32 v195, v[134:135]
	v_add_co_u32 v20, s16, v20, -1
	s_delay_alu instid0(VALU_DEP_1) | instskip(NEXT) | instid1(VALU_DEP_1)
	v_cndmask_b32_e64 v21, 0, 1, s16
	; wave barrier
	v_cmp_ne_u32_e64 s16, 0, v21
	v_not_b32_e32 v21, v22
	s_delay_alu instid0(VALU_DEP_2) | instskip(SKIP_1) | instid1(VALU_DEP_3)
	v_xor_b32_e32 v20, s16, v20
	v_cmp_gt_i32_e64 s16, 0, v22
	v_ashrrev_i32_e32 v21, 31, v21
	v_not_b32_e32 v22, v23
	s_delay_alu instid0(VALU_DEP_4) | instskip(NEXT) | instid1(VALU_DEP_3)
	v_and_b32_e32 v20, exec_lo, v20
	v_xor_b32_e32 v21, s16, v21
	v_cmp_gt_i32_e64 s16, 0, v23
	s_delay_alu instid0(VALU_DEP_4) | instskip(SKIP_1) | instid1(VALU_DEP_4)
	v_ashrrev_i32_e32 v22, 31, v22
	v_not_b32_e32 v23, v24
	v_and_b32_e32 v20, v20, v21
	v_lshlrev_b32_e32 v21, 27, v19
	s_delay_alu instid0(VALU_DEP_4) | instskip(SKIP_2) | instid1(VALU_DEP_4)
	v_xor_b32_e32 v22, s16, v22
	v_cmp_gt_i32_e64 s16, 0, v24
	v_ashrrev_i32_e32 v23, 31, v23
	v_not_b32_e32 v24, v21
	s_delay_alu instid0(VALU_DEP_4) | instskip(SKIP_1) | instid1(VALU_DEP_4)
	v_and_b32_e32 v20, v20, v22
	v_lshlrev_b32_e32 v22, 26, v19
	v_xor_b32_e32 v23, s16, v23
	v_cmp_gt_i32_e64 s16, 0, v21
	v_ashrrev_i32_e32 v21, 31, v24
	s_delay_alu instid0(VALU_DEP_4) | instskip(NEXT) | instid1(VALU_DEP_4)
	v_not_b32_e32 v24, v22
	v_and_b32_e32 v20, v20, v23
	v_lshlrev_b32_e32 v23, 25, v19
	s_delay_alu instid0(VALU_DEP_4)
	v_xor_b32_e32 v21, s16, v21
	v_cmp_gt_i32_e64 s16, 0, v22
	v_ashrrev_i32_e32 v22, 31, v24
	v_lshlrev_b32_e32 v19, 24, v19
	v_not_b32_e32 v24, v23
	v_and_b32_e32 v20, v20, v21
	s_delay_alu instid0(VALU_DEP_4) | instskip(SKIP_1) | instid1(VALU_DEP_4)
	v_xor_b32_e32 v21, s16, v22
	v_cmp_gt_i32_e64 s16, 0, v23
	v_ashrrev_i32_e32 v22, 31, v24
	v_not_b32_e32 v23, v19
	s_delay_alu instid0(VALU_DEP_4) | instskip(NEXT) | instid1(VALU_DEP_3)
	v_and_b32_e32 v20, v20, v21
	v_xor_b32_e32 v21, s16, v22
	v_cmp_gt_i32_e64 s16, 0, v19
	s_delay_alu instid0(VALU_DEP_4) | instskip(NEXT) | instid1(VALU_DEP_3)
	v_ashrrev_i32_e32 v19, 31, v23
	v_and_b32_e32 v20, v20, v21
	s_delay_alu instid0(VALU_DEP_2) | instskip(NEXT) | instid1(VALU_DEP_1)
	v_xor_b32_e32 v19, s16, v19
	v_and_b32_e32 v19, v20, v19
	s_delay_alu instid0(VALU_DEP_1) | instskip(SKIP_1) | instid1(VALU_DEP_2)
	v_mbcnt_lo_u32_b32 v196, v19, 0
	v_cmp_ne_u32_e64 s17, 0, v19
	v_cmp_eq_u32_e64 s16, 0, v196
	s_delay_alu instid0(VALU_DEP_1) | instskip(NEXT) | instid1(SALU_CYCLE_1)
	s_and_b32 s17, s17, s16
	s_and_saveexec_b32 s16, s17
	s_cbranch_execz .LBB1021_65
; %bb.64:                               ;   in Loop: Header=BB1021_53 Depth=1
	s_waitcnt vmcnt(0) lgkmcnt(0)
	v_bcnt_u32_b32 v19, v19, v195
	flat_store_b32 v[134:135], v19
.LBB1021_65:                            ;   in Loop: Header=BB1021_53 Depth=1
	s_or_b32 exec_lo, exec_lo, s16
	v_and_b32_e32 v19, 0xffff, v91
	; wave barrier
	s_delay_alu instid0(VALU_DEP_1) | instskip(NEXT) | instid1(VALU_DEP_1)
	v_lshrrev_b32_e32 v19, v10, v19
	v_and_b32_e32 v19, v19, v18
	s_delay_alu instid0(VALU_DEP_1) | instskip(SKIP_3) | instid1(VALU_DEP_4)
	v_lshlrev_b32_e32 v20, 3, v19
	v_lshlrev_b32_e32 v22, 30, v19
	;; [unrolled: 1-line block ×4, first 2 shown]
	v_add_lshl_u32 v20, v20, v75, 2
	s_delay_alu instid0(VALU_DEP_1) | instskip(NEXT) | instid1(VALU_DEP_1)
	v_add_co_u32 v144, s16, v28, v20
	v_add_co_ci_u32_e64 v145, s16, 0, v74, s16
	v_and_b32_e32 v20, 1, v19
	flat_load_b32 v197, v[144:145]
	v_add_co_u32 v20, s16, v20, -1
	s_delay_alu instid0(VALU_DEP_1) | instskip(NEXT) | instid1(VALU_DEP_1)
	v_cndmask_b32_e64 v21, 0, 1, s16
	; wave barrier
	v_cmp_ne_u32_e64 s16, 0, v21
	v_not_b32_e32 v21, v22
	s_delay_alu instid0(VALU_DEP_2) | instskip(SKIP_1) | instid1(VALU_DEP_3)
	v_xor_b32_e32 v20, s16, v20
	v_cmp_gt_i32_e64 s16, 0, v22
	v_ashrrev_i32_e32 v21, 31, v21
	v_not_b32_e32 v22, v23
	s_delay_alu instid0(VALU_DEP_4) | instskip(NEXT) | instid1(VALU_DEP_3)
	v_and_b32_e32 v20, exec_lo, v20
	v_xor_b32_e32 v21, s16, v21
	v_cmp_gt_i32_e64 s16, 0, v23
	s_delay_alu instid0(VALU_DEP_4) | instskip(SKIP_1) | instid1(VALU_DEP_4)
	v_ashrrev_i32_e32 v22, 31, v22
	v_not_b32_e32 v23, v24
	v_and_b32_e32 v20, v20, v21
	v_lshlrev_b32_e32 v21, 27, v19
	s_delay_alu instid0(VALU_DEP_4) | instskip(SKIP_2) | instid1(VALU_DEP_4)
	v_xor_b32_e32 v22, s16, v22
	v_cmp_gt_i32_e64 s16, 0, v24
	v_ashrrev_i32_e32 v23, 31, v23
	v_not_b32_e32 v24, v21
	s_delay_alu instid0(VALU_DEP_4) | instskip(SKIP_1) | instid1(VALU_DEP_4)
	v_and_b32_e32 v20, v20, v22
	v_lshlrev_b32_e32 v22, 26, v19
	v_xor_b32_e32 v23, s16, v23
	v_cmp_gt_i32_e64 s16, 0, v21
	v_ashrrev_i32_e32 v21, 31, v24
	s_delay_alu instid0(VALU_DEP_4) | instskip(NEXT) | instid1(VALU_DEP_4)
	v_not_b32_e32 v24, v22
	v_and_b32_e32 v20, v20, v23
	v_lshlrev_b32_e32 v23, 25, v19
	s_delay_alu instid0(VALU_DEP_4)
	v_xor_b32_e32 v21, s16, v21
	v_cmp_gt_i32_e64 s16, 0, v22
	v_ashrrev_i32_e32 v22, 31, v24
	v_lshlrev_b32_e32 v19, 24, v19
	v_not_b32_e32 v24, v23
	v_and_b32_e32 v20, v20, v21
	s_delay_alu instid0(VALU_DEP_4) | instskip(SKIP_1) | instid1(VALU_DEP_4)
	v_xor_b32_e32 v21, s16, v22
	v_cmp_gt_i32_e64 s16, 0, v23
	v_ashrrev_i32_e32 v22, 31, v24
	v_not_b32_e32 v23, v19
	s_delay_alu instid0(VALU_DEP_4) | instskip(NEXT) | instid1(VALU_DEP_3)
	v_and_b32_e32 v20, v20, v21
	v_xor_b32_e32 v21, s16, v22
	v_cmp_gt_i32_e64 s16, 0, v19
	s_delay_alu instid0(VALU_DEP_4) | instskip(NEXT) | instid1(VALU_DEP_3)
	v_ashrrev_i32_e32 v19, 31, v23
	v_and_b32_e32 v20, v20, v21
	s_delay_alu instid0(VALU_DEP_2) | instskip(NEXT) | instid1(VALU_DEP_1)
	v_xor_b32_e32 v19, s16, v19
	v_and_b32_e32 v19, v20, v19
	s_delay_alu instid0(VALU_DEP_1) | instskip(SKIP_1) | instid1(VALU_DEP_2)
	v_mbcnt_lo_u32_b32 v198, v19, 0
	v_cmp_ne_u32_e64 s17, 0, v19
	v_cmp_eq_u32_e64 s16, 0, v198
	s_delay_alu instid0(VALU_DEP_1) | instskip(NEXT) | instid1(SALU_CYCLE_1)
	s_and_b32 s17, s17, s16
	s_and_saveexec_b32 s16, s17
	s_cbranch_execz .LBB1021_67
; %bb.66:                               ;   in Loop: Header=BB1021_53 Depth=1
	s_waitcnt vmcnt(0) lgkmcnt(0)
	v_bcnt_u32_b32 v19, v19, v197
	flat_store_b32 v[144:145], v19
.LBB1021_67:                            ;   in Loop: Header=BB1021_53 Depth=1
	s_or_b32 exec_lo, exec_lo, s16
	v_lshrrev_b32_e32 v105, 16, v91
	; wave barrier
	s_delay_alu instid0(VALU_DEP_1) | instskip(NEXT) | instid1(VALU_DEP_1)
	v_lshrrev_b32_e32 v19, v10, v105
	v_and_b32_e32 v19, v19, v18
	s_delay_alu instid0(VALU_DEP_1) | instskip(SKIP_3) | instid1(VALU_DEP_4)
	v_lshlrev_b32_e32 v20, 3, v19
	v_lshlrev_b32_e32 v22, 30, v19
	;; [unrolled: 1-line block ×4, first 2 shown]
	v_add_lshl_u32 v20, v20, v75, 2
	s_delay_alu instid0(VALU_DEP_1) | instskip(NEXT) | instid1(VALU_DEP_1)
	v_add_co_u32 v146, s16, v28, v20
	v_add_co_ci_u32_e64 v147, s16, 0, v74, s16
	v_and_b32_e32 v20, 1, v19
	flat_load_b32 v199, v[146:147]
	v_add_co_u32 v20, s16, v20, -1
	s_delay_alu instid0(VALU_DEP_1) | instskip(NEXT) | instid1(VALU_DEP_1)
	v_cndmask_b32_e64 v21, 0, 1, s16
	; wave barrier
	v_cmp_ne_u32_e64 s16, 0, v21
	v_not_b32_e32 v21, v22
	s_delay_alu instid0(VALU_DEP_2) | instskip(SKIP_1) | instid1(VALU_DEP_3)
	v_xor_b32_e32 v20, s16, v20
	v_cmp_gt_i32_e64 s16, 0, v22
	v_ashrrev_i32_e32 v21, 31, v21
	v_not_b32_e32 v22, v23
	s_delay_alu instid0(VALU_DEP_4) | instskip(NEXT) | instid1(VALU_DEP_3)
	v_and_b32_e32 v20, exec_lo, v20
	v_xor_b32_e32 v21, s16, v21
	v_cmp_gt_i32_e64 s16, 0, v23
	s_delay_alu instid0(VALU_DEP_4) | instskip(SKIP_1) | instid1(VALU_DEP_4)
	v_ashrrev_i32_e32 v22, 31, v22
	v_not_b32_e32 v23, v24
	v_and_b32_e32 v20, v20, v21
	v_lshlrev_b32_e32 v21, 27, v19
	s_delay_alu instid0(VALU_DEP_4) | instskip(SKIP_2) | instid1(VALU_DEP_4)
	v_xor_b32_e32 v22, s16, v22
	v_cmp_gt_i32_e64 s16, 0, v24
	v_ashrrev_i32_e32 v23, 31, v23
	v_not_b32_e32 v24, v21
	s_delay_alu instid0(VALU_DEP_4) | instskip(SKIP_1) | instid1(VALU_DEP_4)
	v_and_b32_e32 v20, v20, v22
	v_lshlrev_b32_e32 v22, 26, v19
	v_xor_b32_e32 v23, s16, v23
	v_cmp_gt_i32_e64 s16, 0, v21
	v_ashrrev_i32_e32 v21, 31, v24
	s_delay_alu instid0(VALU_DEP_4) | instskip(NEXT) | instid1(VALU_DEP_4)
	v_not_b32_e32 v24, v22
	v_and_b32_e32 v20, v20, v23
	v_lshlrev_b32_e32 v23, 25, v19
	s_delay_alu instid0(VALU_DEP_4)
	v_xor_b32_e32 v21, s16, v21
	v_cmp_gt_i32_e64 s16, 0, v22
	v_ashrrev_i32_e32 v22, 31, v24
	v_lshlrev_b32_e32 v19, 24, v19
	v_not_b32_e32 v24, v23
	v_and_b32_e32 v20, v20, v21
	s_delay_alu instid0(VALU_DEP_4) | instskip(SKIP_1) | instid1(VALU_DEP_4)
	v_xor_b32_e32 v21, s16, v22
	v_cmp_gt_i32_e64 s16, 0, v23
	v_ashrrev_i32_e32 v22, 31, v24
	v_not_b32_e32 v23, v19
	s_delay_alu instid0(VALU_DEP_4) | instskip(NEXT) | instid1(VALU_DEP_3)
	v_and_b32_e32 v20, v20, v21
	v_xor_b32_e32 v21, s16, v22
	v_cmp_gt_i32_e64 s16, 0, v19
	s_delay_alu instid0(VALU_DEP_4) | instskip(NEXT) | instid1(VALU_DEP_3)
	v_ashrrev_i32_e32 v19, 31, v23
	v_and_b32_e32 v20, v20, v21
	s_delay_alu instid0(VALU_DEP_2) | instskip(NEXT) | instid1(VALU_DEP_1)
	v_xor_b32_e32 v19, s16, v19
	v_and_b32_e32 v19, v20, v19
	s_delay_alu instid0(VALU_DEP_1) | instskip(SKIP_1) | instid1(VALU_DEP_2)
	v_mbcnt_lo_u32_b32 v208, v19, 0
	v_cmp_ne_u32_e64 s17, 0, v19
	v_cmp_eq_u32_e64 s16, 0, v208
	s_delay_alu instid0(VALU_DEP_1) | instskip(NEXT) | instid1(SALU_CYCLE_1)
	s_and_b32 s17, s17, s16
	s_and_saveexec_b32 s16, s17
	s_cbranch_execz .LBB1021_69
; %bb.68:                               ;   in Loop: Header=BB1021_53 Depth=1
	s_waitcnt vmcnt(0) lgkmcnt(0)
	v_bcnt_u32_b32 v19, v19, v199
	flat_store_b32 v[146:147], v19
.LBB1021_69:                            ;   in Loop: Header=BB1021_53 Depth=1
	s_or_b32 exec_lo, exec_lo, s16
	v_and_b32_e32 v19, 0xffff, v90
	; wave barrier
	s_delay_alu instid0(VALU_DEP_1) | instskip(NEXT) | instid1(VALU_DEP_1)
	v_lshrrev_b32_e32 v19, v10, v19
	v_and_b32_e32 v19, v19, v18
	s_delay_alu instid0(VALU_DEP_1) | instskip(SKIP_3) | instid1(VALU_DEP_4)
	v_lshlrev_b32_e32 v20, 3, v19
	v_lshlrev_b32_e32 v22, 30, v19
	;; [unrolled: 1-line block ×4, first 2 shown]
	v_add_lshl_u32 v20, v20, v75, 2
	s_delay_alu instid0(VALU_DEP_1) | instskip(NEXT) | instid1(VALU_DEP_1)
	v_add_co_u32 v148, s16, v28, v20
	v_add_co_ci_u32_e64 v149, s16, 0, v74, s16
	v_and_b32_e32 v20, 1, v19
	flat_load_b32 v209, v[148:149]
	v_add_co_u32 v20, s16, v20, -1
	s_delay_alu instid0(VALU_DEP_1) | instskip(NEXT) | instid1(VALU_DEP_1)
	v_cndmask_b32_e64 v21, 0, 1, s16
	; wave barrier
	v_cmp_ne_u32_e64 s16, 0, v21
	v_not_b32_e32 v21, v22
	s_delay_alu instid0(VALU_DEP_2) | instskip(SKIP_1) | instid1(VALU_DEP_3)
	v_xor_b32_e32 v20, s16, v20
	v_cmp_gt_i32_e64 s16, 0, v22
	v_ashrrev_i32_e32 v21, 31, v21
	v_not_b32_e32 v22, v23
	s_delay_alu instid0(VALU_DEP_4) | instskip(NEXT) | instid1(VALU_DEP_3)
	v_and_b32_e32 v20, exec_lo, v20
	v_xor_b32_e32 v21, s16, v21
	v_cmp_gt_i32_e64 s16, 0, v23
	s_delay_alu instid0(VALU_DEP_4) | instskip(SKIP_1) | instid1(VALU_DEP_4)
	v_ashrrev_i32_e32 v22, 31, v22
	v_not_b32_e32 v23, v24
	v_and_b32_e32 v20, v20, v21
	v_lshlrev_b32_e32 v21, 27, v19
	s_delay_alu instid0(VALU_DEP_4) | instskip(SKIP_2) | instid1(VALU_DEP_4)
	v_xor_b32_e32 v22, s16, v22
	v_cmp_gt_i32_e64 s16, 0, v24
	v_ashrrev_i32_e32 v23, 31, v23
	v_not_b32_e32 v24, v21
	s_delay_alu instid0(VALU_DEP_4) | instskip(SKIP_1) | instid1(VALU_DEP_4)
	v_and_b32_e32 v20, v20, v22
	v_lshlrev_b32_e32 v22, 26, v19
	v_xor_b32_e32 v23, s16, v23
	v_cmp_gt_i32_e64 s16, 0, v21
	v_ashrrev_i32_e32 v21, 31, v24
	s_delay_alu instid0(VALU_DEP_4) | instskip(NEXT) | instid1(VALU_DEP_4)
	v_not_b32_e32 v24, v22
	v_and_b32_e32 v20, v20, v23
	v_lshlrev_b32_e32 v23, 25, v19
	s_delay_alu instid0(VALU_DEP_4)
	v_xor_b32_e32 v21, s16, v21
	v_cmp_gt_i32_e64 s16, 0, v22
	v_ashrrev_i32_e32 v22, 31, v24
	v_lshlrev_b32_e32 v19, 24, v19
	v_not_b32_e32 v24, v23
	v_and_b32_e32 v20, v20, v21
	s_delay_alu instid0(VALU_DEP_4) | instskip(SKIP_1) | instid1(VALU_DEP_4)
	v_xor_b32_e32 v21, s16, v22
	v_cmp_gt_i32_e64 s16, 0, v23
	v_ashrrev_i32_e32 v22, 31, v24
	v_not_b32_e32 v23, v19
	s_delay_alu instid0(VALU_DEP_4) | instskip(NEXT) | instid1(VALU_DEP_3)
	v_and_b32_e32 v20, v20, v21
	v_xor_b32_e32 v21, s16, v22
	v_cmp_gt_i32_e64 s16, 0, v19
	s_delay_alu instid0(VALU_DEP_4) | instskip(NEXT) | instid1(VALU_DEP_3)
	v_ashrrev_i32_e32 v19, 31, v23
	v_and_b32_e32 v20, v20, v21
	s_delay_alu instid0(VALU_DEP_2) | instskip(NEXT) | instid1(VALU_DEP_1)
	v_xor_b32_e32 v19, s16, v19
	v_and_b32_e32 v19, v20, v19
	s_delay_alu instid0(VALU_DEP_1) | instskip(SKIP_1) | instid1(VALU_DEP_2)
	v_mbcnt_lo_u32_b32 v210, v19, 0
	v_cmp_ne_u32_e64 s17, 0, v19
	v_cmp_eq_u32_e64 s16, 0, v210
	s_delay_alu instid0(VALU_DEP_1) | instskip(NEXT) | instid1(SALU_CYCLE_1)
	s_and_b32 s17, s17, s16
	s_and_saveexec_b32 s16, s17
	s_cbranch_execz .LBB1021_71
; %bb.70:                               ;   in Loop: Header=BB1021_53 Depth=1
	s_waitcnt vmcnt(0) lgkmcnt(0)
	v_bcnt_u32_b32 v19, v19, v209
	flat_store_b32 v[148:149], v19
.LBB1021_71:                            ;   in Loop: Header=BB1021_53 Depth=1
	s_or_b32 exec_lo, exec_lo, s16
	v_lshrrev_b32_e32 v106, 16, v90
	; wave barrier
	s_delay_alu instid0(VALU_DEP_1) | instskip(NEXT) | instid1(VALU_DEP_1)
	v_lshrrev_b32_e32 v19, v10, v106
	v_and_b32_e32 v19, v19, v18
	s_delay_alu instid0(VALU_DEP_1) | instskip(SKIP_3) | instid1(VALU_DEP_4)
	v_lshlrev_b32_e32 v20, 3, v19
	v_lshlrev_b32_e32 v22, 30, v19
	v_lshlrev_b32_e32 v23, 29, v19
	v_lshlrev_b32_e32 v24, 28, v19
	v_add_lshl_u32 v20, v20, v75, 2
	s_delay_alu instid0(VALU_DEP_1) | instskip(NEXT) | instid1(VALU_DEP_1)
	v_add_co_u32 v150, s16, v28, v20
	v_add_co_ci_u32_e64 v151, s16, 0, v74, s16
	v_and_b32_e32 v20, 1, v19
	flat_load_b32 v211, v[150:151]
	v_add_co_u32 v20, s16, v20, -1
	s_delay_alu instid0(VALU_DEP_1) | instskip(NEXT) | instid1(VALU_DEP_1)
	v_cndmask_b32_e64 v21, 0, 1, s16
	; wave barrier
	v_cmp_ne_u32_e64 s16, 0, v21
	v_not_b32_e32 v21, v22
	s_delay_alu instid0(VALU_DEP_2) | instskip(SKIP_1) | instid1(VALU_DEP_3)
	v_xor_b32_e32 v20, s16, v20
	v_cmp_gt_i32_e64 s16, 0, v22
	v_ashrrev_i32_e32 v21, 31, v21
	v_not_b32_e32 v22, v23
	s_delay_alu instid0(VALU_DEP_4) | instskip(NEXT) | instid1(VALU_DEP_3)
	v_and_b32_e32 v20, exec_lo, v20
	v_xor_b32_e32 v21, s16, v21
	v_cmp_gt_i32_e64 s16, 0, v23
	s_delay_alu instid0(VALU_DEP_4) | instskip(SKIP_1) | instid1(VALU_DEP_4)
	v_ashrrev_i32_e32 v22, 31, v22
	v_not_b32_e32 v23, v24
	v_and_b32_e32 v20, v20, v21
	v_lshlrev_b32_e32 v21, 27, v19
	s_delay_alu instid0(VALU_DEP_4) | instskip(SKIP_2) | instid1(VALU_DEP_4)
	v_xor_b32_e32 v22, s16, v22
	v_cmp_gt_i32_e64 s16, 0, v24
	v_ashrrev_i32_e32 v23, 31, v23
	v_not_b32_e32 v24, v21
	s_delay_alu instid0(VALU_DEP_4) | instskip(SKIP_1) | instid1(VALU_DEP_4)
	v_and_b32_e32 v20, v20, v22
	v_lshlrev_b32_e32 v22, 26, v19
	v_xor_b32_e32 v23, s16, v23
	v_cmp_gt_i32_e64 s16, 0, v21
	v_ashrrev_i32_e32 v21, 31, v24
	s_delay_alu instid0(VALU_DEP_4) | instskip(NEXT) | instid1(VALU_DEP_4)
	v_not_b32_e32 v24, v22
	v_and_b32_e32 v20, v20, v23
	v_lshlrev_b32_e32 v23, 25, v19
	s_delay_alu instid0(VALU_DEP_4)
	v_xor_b32_e32 v21, s16, v21
	v_cmp_gt_i32_e64 s16, 0, v22
	v_ashrrev_i32_e32 v22, 31, v24
	v_lshlrev_b32_e32 v19, 24, v19
	v_not_b32_e32 v24, v23
	v_and_b32_e32 v20, v20, v21
	s_delay_alu instid0(VALU_DEP_4) | instskip(SKIP_1) | instid1(VALU_DEP_4)
	v_xor_b32_e32 v21, s16, v22
	v_cmp_gt_i32_e64 s16, 0, v23
	v_ashrrev_i32_e32 v22, 31, v24
	v_not_b32_e32 v23, v19
	s_delay_alu instid0(VALU_DEP_4) | instskip(NEXT) | instid1(VALU_DEP_3)
	v_and_b32_e32 v20, v20, v21
	v_xor_b32_e32 v21, s16, v22
	v_cmp_gt_i32_e64 s16, 0, v19
	s_delay_alu instid0(VALU_DEP_4) | instskip(NEXT) | instid1(VALU_DEP_3)
	v_ashrrev_i32_e32 v19, 31, v23
	v_and_b32_e32 v20, v20, v21
	s_delay_alu instid0(VALU_DEP_2) | instskip(NEXT) | instid1(VALU_DEP_1)
	v_xor_b32_e32 v19, s16, v19
	v_and_b32_e32 v19, v20, v19
	s_delay_alu instid0(VALU_DEP_1) | instskip(SKIP_1) | instid1(VALU_DEP_2)
	v_mbcnt_lo_u32_b32 v212, v19, 0
	v_cmp_ne_u32_e64 s17, 0, v19
	v_cmp_eq_u32_e64 s16, 0, v212
	s_delay_alu instid0(VALU_DEP_1) | instskip(NEXT) | instid1(SALU_CYCLE_1)
	s_and_b32 s17, s17, s16
	s_and_saveexec_b32 s16, s17
	s_cbranch_execz .LBB1021_73
; %bb.72:                               ;   in Loop: Header=BB1021_53 Depth=1
	s_waitcnt vmcnt(0) lgkmcnt(0)
	v_bcnt_u32_b32 v19, v19, v211
	flat_store_b32 v[150:151], v19
.LBB1021_73:                            ;   in Loop: Header=BB1021_53 Depth=1
	s_or_b32 exec_lo, exec_lo, s16
	v_and_b32_e32 v19, 0xffff, v89
	; wave barrier
	s_delay_alu instid0(VALU_DEP_1) | instskip(NEXT) | instid1(VALU_DEP_1)
	v_lshrrev_b32_e32 v19, v10, v19
	v_and_b32_e32 v19, v19, v18
	s_delay_alu instid0(VALU_DEP_1) | instskip(SKIP_3) | instid1(VALU_DEP_4)
	v_lshlrev_b32_e32 v20, 3, v19
	v_lshlrev_b32_e32 v22, 30, v19
	;; [unrolled: 1-line block ×4, first 2 shown]
	v_add_lshl_u32 v20, v20, v75, 2
	s_delay_alu instid0(VALU_DEP_1) | instskip(NEXT) | instid1(VALU_DEP_1)
	v_add_co_u32 v160, s16, v28, v20
	v_add_co_ci_u32_e64 v161, s16, 0, v74, s16
	v_and_b32_e32 v20, 1, v19
	flat_load_b32 v213, v[160:161]
	v_add_co_u32 v20, s16, v20, -1
	s_delay_alu instid0(VALU_DEP_1) | instskip(NEXT) | instid1(VALU_DEP_1)
	v_cndmask_b32_e64 v21, 0, 1, s16
	; wave barrier
	v_cmp_ne_u32_e64 s16, 0, v21
	v_not_b32_e32 v21, v22
	s_delay_alu instid0(VALU_DEP_2) | instskip(SKIP_1) | instid1(VALU_DEP_3)
	v_xor_b32_e32 v20, s16, v20
	v_cmp_gt_i32_e64 s16, 0, v22
	v_ashrrev_i32_e32 v21, 31, v21
	v_not_b32_e32 v22, v23
	s_delay_alu instid0(VALU_DEP_4) | instskip(NEXT) | instid1(VALU_DEP_3)
	v_and_b32_e32 v20, exec_lo, v20
	v_xor_b32_e32 v21, s16, v21
	v_cmp_gt_i32_e64 s16, 0, v23
	s_delay_alu instid0(VALU_DEP_4) | instskip(SKIP_1) | instid1(VALU_DEP_4)
	v_ashrrev_i32_e32 v22, 31, v22
	v_not_b32_e32 v23, v24
	v_and_b32_e32 v20, v20, v21
	v_lshlrev_b32_e32 v21, 27, v19
	s_delay_alu instid0(VALU_DEP_4) | instskip(SKIP_2) | instid1(VALU_DEP_4)
	v_xor_b32_e32 v22, s16, v22
	v_cmp_gt_i32_e64 s16, 0, v24
	v_ashrrev_i32_e32 v23, 31, v23
	v_not_b32_e32 v24, v21
	s_delay_alu instid0(VALU_DEP_4) | instskip(SKIP_1) | instid1(VALU_DEP_4)
	v_and_b32_e32 v20, v20, v22
	v_lshlrev_b32_e32 v22, 26, v19
	v_xor_b32_e32 v23, s16, v23
	v_cmp_gt_i32_e64 s16, 0, v21
	v_ashrrev_i32_e32 v21, 31, v24
	s_delay_alu instid0(VALU_DEP_4) | instskip(NEXT) | instid1(VALU_DEP_4)
	v_not_b32_e32 v24, v22
	v_and_b32_e32 v20, v20, v23
	v_lshlrev_b32_e32 v23, 25, v19
	s_delay_alu instid0(VALU_DEP_4)
	v_xor_b32_e32 v21, s16, v21
	v_cmp_gt_i32_e64 s16, 0, v22
	v_ashrrev_i32_e32 v22, 31, v24
	v_lshlrev_b32_e32 v19, 24, v19
	v_not_b32_e32 v24, v23
	v_and_b32_e32 v20, v20, v21
	s_delay_alu instid0(VALU_DEP_4) | instskip(SKIP_1) | instid1(VALU_DEP_4)
	v_xor_b32_e32 v21, s16, v22
	v_cmp_gt_i32_e64 s16, 0, v23
	v_ashrrev_i32_e32 v22, 31, v24
	v_not_b32_e32 v23, v19
	s_delay_alu instid0(VALU_DEP_4) | instskip(NEXT) | instid1(VALU_DEP_3)
	v_and_b32_e32 v20, v20, v21
	v_xor_b32_e32 v21, s16, v22
	v_cmp_gt_i32_e64 s16, 0, v19
	s_delay_alu instid0(VALU_DEP_4) | instskip(NEXT) | instid1(VALU_DEP_3)
	v_ashrrev_i32_e32 v19, 31, v23
	v_and_b32_e32 v20, v20, v21
	s_delay_alu instid0(VALU_DEP_2) | instskip(NEXT) | instid1(VALU_DEP_1)
	v_xor_b32_e32 v19, s16, v19
	v_and_b32_e32 v19, v20, v19
	s_delay_alu instid0(VALU_DEP_1) | instskip(SKIP_1) | instid1(VALU_DEP_2)
	v_mbcnt_lo_u32_b32 v214, v19, 0
	v_cmp_ne_u32_e64 s17, 0, v19
	v_cmp_eq_u32_e64 s16, 0, v214
	s_delay_alu instid0(VALU_DEP_1) | instskip(NEXT) | instid1(SALU_CYCLE_1)
	s_and_b32 s17, s17, s16
	s_and_saveexec_b32 s16, s17
	s_cbranch_execz .LBB1021_75
; %bb.74:                               ;   in Loop: Header=BB1021_53 Depth=1
	s_waitcnt vmcnt(0) lgkmcnt(0)
	v_bcnt_u32_b32 v19, v19, v213
	flat_store_b32 v[160:161], v19
.LBB1021_75:                            ;   in Loop: Header=BB1021_53 Depth=1
	s_or_b32 exec_lo, exec_lo, s16
	v_lshrrev_b32_e32 v107, 16, v89
	; wave barrier
	s_delay_alu instid0(VALU_DEP_1) | instskip(NEXT) | instid1(VALU_DEP_1)
	v_lshrrev_b32_e32 v19, v10, v107
	v_and_b32_e32 v19, v19, v18
	s_delay_alu instid0(VALU_DEP_1) | instskip(SKIP_3) | instid1(VALU_DEP_4)
	v_lshlrev_b32_e32 v20, 3, v19
	v_lshlrev_b32_e32 v22, 30, v19
	;; [unrolled: 1-line block ×4, first 2 shown]
	v_add_lshl_u32 v20, v20, v75, 2
	s_delay_alu instid0(VALU_DEP_1) | instskip(NEXT) | instid1(VALU_DEP_1)
	v_add_co_u32 v162, s16, v28, v20
	v_add_co_ci_u32_e64 v163, s16, 0, v74, s16
	v_and_b32_e32 v20, 1, v19
	flat_load_b32 v215, v[162:163]
	v_add_co_u32 v20, s16, v20, -1
	s_delay_alu instid0(VALU_DEP_1) | instskip(NEXT) | instid1(VALU_DEP_1)
	v_cndmask_b32_e64 v21, 0, 1, s16
	; wave barrier
	v_cmp_ne_u32_e64 s16, 0, v21
	v_not_b32_e32 v21, v22
	s_delay_alu instid0(VALU_DEP_2) | instskip(SKIP_1) | instid1(VALU_DEP_3)
	v_xor_b32_e32 v20, s16, v20
	v_cmp_gt_i32_e64 s16, 0, v22
	v_ashrrev_i32_e32 v21, 31, v21
	v_not_b32_e32 v22, v23
	s_delay_alu instid0(VALU_DEP_4) | instskip(NEXT) | instid1(VALU_DEP_3)
	v_and_b32_e32 v20, exec_lo, v20
	v_xor_b32_e32 v21, s16, v21
	v_cmp_gt_i32_e64 s16, 0, v23
	s_delay_alu instid0(VALU_DEP_4) | instskip(SKIP_1) | instid1(VALU_DEP_4)
	v_ashrrev_i32_e32 v22, 31, v22
	v_not_b32_e32 v23, v24
	v_and_b32_e32 v20, v20, v21
	v_lshlrev_b32_e32 v21, 27, v19
	s_delay_alu instid0(VALU_DEP_4) | instskip(SKIP_2) | instid1(VALU_DEP_4)
	v_xor_b32_e32 v22, s16, v22
	v_cmp_gt_i32_e64 s16, 0, v24
	v_ashrrev_i32_e32 v23, 31, v23
	v_not_b32_e32 v24, v21
	s_delay_alu instid0(VALU_DEP_4) | instskip(SKIP_1) | instid1(VALU_DEP_4)
	v_and_b32_e32 v20, v20, v22
	v_lshlrev_b32_e32 v22, 26, v19
	v_xor_b32_e32 v23, s16, v23
	v_cmp_gt_i32_e64 s16, 0, v21
	v_ashrrev_i32_e32 v21, 31, v24
	s_delay_alu instid0(VALU_DEP_4) | instskip(NEXT) | instid1(VALU_DEP_4)
	v_not_b32_e32 v24, v22
	v_and_b32_e32 v20, v20, v23
	v_lshlrev_b32_e32 v23, 25, v19
	s_delay_alu instid0(VALU_DEP_4)
	v_xor_b32_e32 v21, s16, v21
	v_cmp_gt_i32_e64 s16, 0, v22
	v_ashrrev_i32_e32 v22, 31, v24
	v_lshlrev_b32_e32 v19, 24, v19
	v_not_b32_e32 v24, v23
	v_and_b32_e32 v20, v20, v21
	s_delay_alu instid0(VALU_DEP_4) | instskip(SKIP_1) | instid1(VALU_DEP_4)
	v_xor_b32_e32 v21, s16, v22
	v_cmp_gt_i32_e64 s16, 0, v23
	v_ashrrev_i32_e32 v22, 31, v24
	v_not_b32_e32 v23, v19
	s_delay_alu instid0(VALU_DEP_4) | instskip(NEXT) | instid1(VALU_DEP_3)
	v_and_b32_e32 v20, v20, v21
	v_xor_b32_e32 v21, s16, v22
	v_cmp_gt_i32_e64 s16, 0, v19
	s_delay_alu instid0(VALU_DEP_4) | instskip(NEXT) | instid1(VALU_DEP_3)
	v_ashrrev_i32_e32 v19, 31, v23
	v_and_b32_e32 v20, v20, v21
	s_delay_alu instid0(VALU_DEP_2) | instskip(NEXT) | instid1(VALU_DEP_1)
	v_xor_b32_e32 v19, s16, v19
	v_and_b32_e32 v19, v20, v19
	s_delay_alu instid0(VALU_DEP_1) | instskip(SKIP_1) | instid1(VALU_DEP_2)
	v_mbcnt_lo_u32_b32 v224, v19, 0
	v_cmp_ne_u32_e64 s17, 0, v19
	v_cmp_eq_u32_e64 s16, 0, v224
	s_delay_alu instid0(VALU_DEP_1) | instskip(NEXT) | instid1(SALU_CYCLE_1)
	s_and_b32 s17, s17, s16
	s_and_saveexec_b32 s16, s17
	s_cbranch_execz .LBB1021_77
; %bb.76:                               ;   in Loop: Header=BB1021_53 Depth=1
	s_waitcnt vmcnt(0) lgkmcnt(0)
	v_bcnt_u32_b32 v19, v19, v215
	flat_store_b32 v[162:163], v19
.LBB1021_77:                            ;   in Loop: Header=BB1021_53 Depth=1
	s_or_b32 exec_lo, exec_lo, s16
	v_and_b32_e32 v19, 0xffff, v88
	; wave barrier
	s_delay_alu instid0(VALU_DEP_1) | instskip(NEXT) | instid1(VALU_DEP_1)
	v_lshrrev_b32_e32 v19, v10, v19
	v_and_b32_e32 v19, v19, v18
	s_delay_alu instid0(VALU_DEP_1) | instskip(SKIP_3) | instid1(VALU_DEP_4)
	v_lshlrev_b32_e32 v20, 3, v19
	v_lshlrev_b32_e32 v22, 30, v19
	;; [unrolled: 1-line block ×4, first 2 shown]
	v_add_lshl_u32 v20, v20, v75, 2
	s_delay_alu instid0(VALU_DEP_1) | instskip(NEXT) | instid1(VALU_DEP_1)
	v_add_co_u32 v164, s16, v28, v20
	v_add_co_ci_u32_e64 v165, s16, 0, v74, s16
	v_and_b32_e32 v20, 1, v19
	flat_load_b32 v225, v[164:165]
	v_add_co_u32 v20, s16, v20, -1
	s_delay_alu instid0(VALU_DEP_1) | instskip(NEXT) | instid1(VALU_DEP_1)
	v_cndmask_b32_e64 v21, 0, 1, s16
	; wave barrier
	v_cmp_ne_u32_e64 s16, 0, v21
	v_not_b32_e32 v21, v22
	s_delay_alu instid0(VALU_DEP_2) | instskip(SKIP_1) | instid1(VALU_DEP_3)
	v_xor_b32_e32 v20, s16, v20
	v_cmp_gt_i32_e64 s16, 0, v22
	v_ashrrev_i32_e32 v21, 31, v21
	v_not_b32_e32 v22, v23
	s_delay_alu instid0(VALU_DEP_4) | instskip(NEXT) | instid1(VALU_DEP_3)
	v_and_b32_e32 v20, exec_lo, v20
	v_xor_b32_e32 v21, s16, v21
	v_cmp_gt_i32_e64 s16, 0, v23
	s_delay_alu instid0(VALU_DEP_4) | instskip(SKIP_1) | instid1(VALU_DEP_4)
	v_ashrrev_i32_e32 v22, 31, v22
	v_not_b32_e32 v23, v24
	v_and_b32_e32 v20, v20, v21
	v_lshlrev_b32_e32 v21, 27, v19
	s_delay_alu instid0(VALU_DEP_4) | instskip(SKIP_2) | instid1(VALU_DEP_4)
	v_xor_b32_e32 v22, s16, v22
	v_cmp_gt_i32_e64 s16, 0, v24
	v_ashrrev_i32_e32 v23, 31, v23
	v_not_b32_e32 v24, v21
	s_delay_alu instid0(VALU_DEP_4) | instskip(SKIP_1) | instid1(VALU_DEP_4)
	v_and_b32_e32 v20, v20, v22
	v_lshlrev_b32_e32 v22, 26, v19
	v_xor_b32_e32 v23, s16, v23
	v_cmp_gt_i32_e64 s16, 0, v21
	v_ashrrev_i32_e32 v21, 31, v24
	s_delay_alu instid0(VALU_DEP_4) | instskip(NEXT) | instid1(VALU_DEP_4)
	v_not_b32_e32 v24, v22
	v_and_b32_e32 v20, v20, v23
	v_lshlrev_b32_e32 v23, 25, v19
	s_delay_alu instid0(VALU_DEP_4)
	v_xor_b32_e32 v21, s16, v21
	v_cmp_gt_i32_e64 s16, 0, v22
	v_ashrrev_i32_e32 v22, 31, v24
	v_lshlrev_b32_e32 v19, 24, v19
	v_not_b32_e32 v24, v23
	v_and_b32_e32 v20, v20, v21
	s_delay_alu instid0(VALU_DEP_4) | instskip(SKIP_1) | instid1(VALU_DEP_4)
	v_xor_b32_e32 v21, s16, v22
	v_cmp_gt_i32_e64 s16, 0, v23
	v_ashrrev_i32_e32 v22, 31, v24
	v_not_b32_e32 v23, v19
	s_delay_alu instid0(VALU_DEP_4) | instskip(NEXT) | instid1(VALU_DEP_3)
	v_and_b32_e32 v20, v20, v21
	v_xor_b32_e32 v21, s16, v22
	v_cmp_gt_i32_e64 s16, 0, v19
	s_delay_alu instid0(VALU_DEP_4) | instskip(NEXT) | instid1(VALU_DEP_3)
	v_ashrrev_i32_e32 v19, 31, v23
	v_and_b32_e32 v20, v20, v21
	s_delay_alu instid0(VALU_DEP_2) | instskip(NEXT) | instid1(VALU_DEP_1)
	v_xor_b32_e32 v19, s16, v19
	v_and_b32_e32 v19, v20, v19
	s_delay_alu instid0(VALU_DEP_1) | instskip(SKIP_1) | instid1(VALU_DEP_2)
	v_mbcnt_lo_u32_b32 v226, v19, 0
	v_cmp_ne_u32_e64 s17, 0, v19
	v_cmp_eq_u32_e64 s16, 0, v226
	s_delay_alu instid0(VALU_DEP_1) | instskip(NEXT) | instid1(SALU_CYCLE_1)
	s_and_b32 s17, s17, s16
	s_and_saveexec_b32 s16, s17
	s_cbranch_execz .LBB1021_79
; %bb.78:                               ;   in Loop: Header=BB1021_53 Depth=1
	s_waitcnt vmcnt(0) lgkmcnt(0)
	v_bcnt_u32_b32 v19, v19, v225
	flat_store_b32 v[164:165], v19
.LBB1021_79:                            ;   in Loop: Header=BB1021_53 Depth=1
	s_or_b32 exec_lo, exec_lo, s16
	v_lshrrev_b32_e32 v108, 16, v88
	; wave barrier
	s_delay_alu instid0(VALU_DEP_1) | instskip(NEXT) | instid1(VALU_DEP_1)
	v_lshrrev_b32_e32 v19, v10, v108
	v_and_b32_e32 v19, v19, v18
	s_delay_alu instid0(VALU_DEP_1) | instskip(SKIP_3) | instid1(VALU_DEP_4)
	v_lshlrev_b32_e32 v20, 3, v19
	v_lshlrev_b32_e32 v22, 30, v19
	;; [unrolled: 1-line block ×4, first 2 shown]
	v_add_lshl_u32 v20, v20, v75, 2
	s_delay_alu instid0(VALU_DEP_1) | instskip(NEXT) | instid1(VALU_DEP_1)
	v_add_co_u32 v166, s16, v28, v20
	v_add_co_ci_u32_e64 v167, s16, 0, v74, s16
	v_and_b32_e32 v20, 1, v19
	flat_load_b32 v227, v[166:167]
	v_add_co_u32 v20, s16, v20, -1
	s_delay_alu instid0(VALU_DEP_1) | instskip(NEXT) | instid1(VALU_DEP_1)
	v_cndmask_b32_e64 v21, 0, 1, s16
	; wave barrier
	v_cmp_ne_u32_e64 s16, 0, v21
	v_not_b32_e32 v21, v22
	s_delay_alu instid0(VALU_DEP_2) | instskip(SKIP_1) | instid1(VALU_DEP_3)
	v_xor_b32_e32 v20, s16, v20
	v_cmp_gt_i32_e64 s16, 0, v22
	v_ashrrev_i32_e32 v21, 31, v21
	v_not_b32_e32 v22, v23
	s_delay_alu instid0(VALU_DEP_4) | instskip(NEXT) | instid1(VALU_DEP_3)
	v_and_b32_e32 v20, exec_lo, v20
	v_xor_b32_e32 v21, s16, v21
	v_cmp_gt_i32_e64 s16, 0, v23
	s_delay_alu instid0(VALU_DEP_4) | instskip(SKIP_1) | instid1(VALU_DEP_4)
	v_ashrrev_i32_e32 v22, 31, v22
	v_not_b32_e32 v23, v24
	v_and_b32_e32 v20, v20, v21
	v_lshlrev_b32_e32 v21, 27, v19
	s_delay_alu instid0(VALU_DEP_4) | instskip(SKIP_2) | instid1(VALU_DEP_4)
	v_xor_b32_e32 v22, s16, v22
	v_cmp_gt_i32_e64 s16, 0, v24
	v_ashrrev_i32_e32 v23, 31, v23
	v_not_b32_e32 v24, v21
	s_delay_alu instid0(VALU_DEP_4) | instskip(SKIP_1) | instid1(VALU_DEP_4)
	v_and_b32_e32 v20, v20, v22
	v_lshlrev_b32_e32 v22, 26, v19
	v_xor_b32_e32 v23, s16, v23
	v_cmp_gt_i32_e64 s16, 0, v21
	v_ashrrev_i32_e32 v21, 31, v24
	s_delay_alu instid0(VALU_DEP_4) | instskip(NEXT) | instid1(VALU_DEP_4)
	v_not_b32_e32 v24, v22
	v_and_b32_e32 v20, v20, v23
	v_lshlrev_b32_e32 v23, 25, v19
	s_delay_alu instid0(VALU_DEP_4)
	v_xor_b32_e32 v21, s16, v21
	v_cmp_gt_i32_e64 s16, 0, v22
	v_ashrrev_i32_e32 v22, 31, v24
	v_lshlrev_b32_e32 v19, 24, v19
	v_not_b32_e32 v24, v23
	v_and_b32_e32 v20, v20, v21
	s_delay_alu instid0(VALU_DEP_4) | instskip(SKIP_1) | instid1(VALU_DEP_4)
	v_xor_b32_e32 v21, s16, v22
	v_cmp_gt_i32_e64 s16, 0, v23
	v_ashrrev_i32_e32 v22, 31, v24
	v_not_b32_e32 v23, v19
	s_delay_alu instid0(VALU_DEP_4) | instskip(NEXT) | instid1(VALU_DEP_3)
	v_and_b32_e32 v20, v20, v21
	v_xor_b32_e32 v21, s16, v22
	v_cmp_gt_i32_e64 s16, 0, v19
	s_delay_alu instid0(VALU_DEP_4) | instskip(NEXT) | instid1(VALU_DEP_3)
	v_ashrrev_i32_e32 v19, 31, v23
	v_and_b32_e32 v20, v20, v21
	s_delay_alu instid0(VALU_DEP_2) | instskip(NEXT) | instid1(VALU_DEP_1)
	v_xor_b32_e32 v19, s16, v19
	v_and_b32_e32 v19, v20, v19
	s_delay_alu instid0(VALU_DEP_1) | instskip(SKIP_1) | instid1(VALU_DEP_2)
	v_mbcnt_lo_u32_b32 v228, v19, 0
	v_cmp_ne_u32_e64 s17, 0, v19
	v_cmp_eq_u32_e64 s16, 0, v228
	s_delay_alu instid0(VALU_DEP_1) | instskip(NEXT) | instid1(SALU_CYCLE_1)
	s_and_b32 s17, s17, s16
	s_and_saveexec_b32 s16, s17
	s_cbranch_execz .LBB1021_81
; %bb.80:                               ;   in Loop: Header=BB1021_53 Depth=1
	s_waitcnt vmcnt(0) lgkmcnt(0)
	v_bcnt_u32_b32 v19, v19, v227
	flat_store_b32 v[166:167], v19
.LBB1021_81:                            ;   in Loop: Header=BB1021_53 Depth=1
	s_or_b32 exec_lo, exec_lo, s16
	v_and_b32_e32 v19, 0xffff, v79
	; wave barrier
	s_delay_alu instid0(VALU_DEP_1) | instskip(NEXT) | instid1(VALU_DEP_1)
	v_lshrrev_b32_e32 v19, v10, v19
	v_and_b32_e32 v19, v19, v18
	s_delay_alu instid0(VALU_DEP_1) | instskip(SKIP_3) | instid1(VALU_DEP_4)
	v_lshlrev_b32_e32 v20, 3, v19
	v_lshlrev_b32_e32 v22, 30, v19
	;; [unrolled: 1-line block ×4, first 2 shown]
	v_add_lshl_u32 v20, v20, v75, 2
	s_delay_alu instid0(VALU_DEP_1) | instskip(NEXT) | instid1(VALU_DEP_1)
	v_add_co_u32 v176, s16, v28, v20
	v_add_co_ci_u32_e64 v177, s16, 0, v74, s16
	v_and_b32_e32 v20, 1, v19
	flat_load_b32 v229, v[176:177]
	v_add_co_u32 v20, s16, v20, -1
	s_delay_alu instid0(VALU_DEP_1) | instskip(NEXT) | instid1(VALU_DEP_1)
	v_cndmask_b32_e64 v21, 0, 1, s16
	; wave barrier
	v_cmp_ne_u32_e64 s16, 0, v21
	v_not_b32_e32 v21, v22
	s_delay_alu instid0(VALU_DEP_2) | instskip(SKIP_1) | instid1(VALU_DEP_3)
	v_xor_b32_e32 v20, s16, v20
	v_cmp_gt_i32_e64 s16, 0, v22
	v_ashrrev_i32_e32 v21, 31, v21
	v_not_b32_e32 v22, v23
	s_delay_alu instid0(VALU_DEP_4) | instskip(NEXT) | instid1(VALU_DEP_3)
	v_and_b32_e32 v20, exec_lo, v20
	v_xor_b32_e32 v21, s16, v21
	v_cmp_gt_i32_e64 s16, 0, v23
	s_delay_alu instid0(VALU_DEP_4) | instskip(SKIP_1) | instid1(VALU_DEP_4)
	v_ashrrev_i32_e32 v22, 31, v22
	v_not_b32_e32 v23, v24
	v_and_b32_e32 v20, v20, v21
	v_lshlrev_b32_e32 v21, 27, v19
	s_delay_alu instid0(VALU_DEP_4) | instskip(SKIP_2) | instid1(VALU_DEP_4)
	v_xor_b32_e32 v22, s16, v22
	v_cmp_gt_i32_e64 s16, 0, v24
	v_ashrrev_i32_e32 v23, 31, v23
	v_not_b32_e32 v24, v21
	s_delay_alu instid0(VALU_DEP_4) | instskip(SKIP_1) | instid1(VALU_DEP_4)
	v_and_b32_e32 v20, v20, v22
	v_lshlrev_b32_e32 v22, 26, v19
	v_xor_b32_e32 v23, s16, v23
	v_cmp_gt_i32_e64 s16, 0, v21
	v_ashrrev_i32_e32 v21, 31, v24
	s_delay_alu instid0(VALU_DEP_4) | instskip(NEXT) | instid1(VALU_DEP_4)
	v_not_b32_e32 v24, v22
	v_and_b32_e32 v20, v20, v23
	v_lshlrev_b32_e32 v23, 25, v19
	s_delay_alu instid0(VALU_DEP_4)
	v_xor_b32_e32 v21, s16, v21
	v_cmp_gt_i32_e64 s16, 0, v22
	v_ashrrev_i32_e32 v22, 31, v24
	v_lshlrev_b32_e32 v19, 24, v19
	v_not_b32_e32 v24, v23
	v_and_b32_e32 v20, v20, v21
	s_delay_alu instid0(VALU_DEP_4) | instskip(SKIP_1) | instid1(VALU_DEP_4)
	v_xor_b32_e32 v21, s16, v22
	v_cmp_gt_i32_e64 s16, 0, v23
	v_ashrrev_i32_e32 v22, 31, v24
	v_not_b32_e32 v23, v19
	s_delay_alu instid0(VALU_DEP_4) | instskip(NEXT) | instid1(VALU_DEP_3)
	v_and_b32_e32 v20, v20, v21
	v_xor_b32_e32 v21, s16, v22
	v_cmp_gt_i32_e64 s16, 0, v19
	s_delay_alu instid0(VALU_DEP_4) | instskip(NEXT) | instid1(VALU_DEP_3)
	v_ashrrev_i32_e32 v19, 31, v23
	v_and_b32_e32 v20, v20, v21
	s_delay_alu instid0(VALU_DEP_2) | instskip(NEXT) | instid1(VALU_DEP_1)
	v_xor_b32_e32 v19, s16, v19
	v_and_b32_e32 v19, v20, v19
	s_delay_alu instid0(VALU_DEP_1) | instskip(SKIP_1) | instid1(VALU_DEP_2)
	v_mbcnt_lo_u32_b32 v230, v19, 0
	v_cmp_ne_u32_e64 s17, 0, v19
	v_cmp_eq_u32_e64 s16, 0, v230
	s_delay_alu instid0(VALU_DEP_1) | instskip(NEXT) | instid1(SALU_CYCLE_1)
	s_and_b32 s17, s17, s16
	s_and_saveexec_b32 s16, s17
	s_cbranch_execz .LBB1021_83
; %bb.82:                               ;   in Loop: Header=BB1021_53 Depth=1
	s_waitcnt vmcnt(0) lgkmcnt(0)
	v_bcnt_u32_b32 v19, v19, v229
	flat_store_b32 v[176:177], v19
.LBB1021_83:                            ;   in Loop: Header=BB1021_53 Depth=1
	s_or_b32 exec_lo, exec_lo, s16
	v_lshrrev_b32_e32 v109, 16, v79
	; wave barrier
	s_delay_alu instid0(VALU_DEP_1) | instskip(NEXT) | instid1(VALU_DEP_1)
	v_lshrrev_b32_e32 v19, v10, v109
	v_and_b32_e32 v18, v19, v18
	s_delay_alu instid0(VALU_DEP_1) | instskip(SKIP_3) | instid1(VALU_DEP_4)
	v_lshlrev_b32_e32 v19, 3, v18
	v_lshlrev_b32_e32 v21, 30, v18
	;; [unrolled: 1-line block ×4, first 2 shown]
	v_add_lshl_u32 v19, v19, v75, 2
	s_delay_alu instid0(VALU_DEP_1) | instskip(NEXT) | instid1(VALU_DEP_1)
	v_add_co_u32 v178, s16, v28, v19
	v_add_co_ci_u32_e64 v179, s16, 0, v74, s16
	v_and_b32_e32 v19, 1, v18
	flat_load_b32 v231, v[178:179]
	v_add_co_u32 v19, s16, v19, -1
	s_delay_alu instid0(VALU_DEP_1) | instskip(NEXT) | instid1(VALU_DEP_1)
	v_cndmask_b32_e64 v20, 0, 1, s16
	; wave barrier
	v_cmp_ne_u32_e64 s16, 0, v20
	v_not_b32_e32 v20, v21
	s_delay_alu instid0(VALU_DEP_2) | instskip(SKIP_1) | instid1(VALU_DEP_3)
	v_xor_b32_e32 v19, s16, v19
	v_cmp_gt_i32_e64 s16, 0, v21
	v_ashrrev_i32_e32 v20, 31, v20
	v_not_b32_e32 v21, v22
	s_delay_alu instid0(VALU_DEP_4) | instskip(NEXT) | instid1(VALU_DEP_3)
	v_and_b32_e32 v19, exec_lo, v19
	v_xor_b32_e32 v20, s16, v20
	v_cmp_gt_i32_e64 s16, 0, v22
	s_delay_alu instid0(VALU_DEP_4) | instskip(SKIP_1) | instid1(VALU_DEP_4)
	v_ashrrev_i32_e32 v21, 31, v21
	v_not_b32_e32 v22, v23
	v_and_b32_e32 v19, v19, v20
	v_lshlrev_b32_e32 v20, 27, v18
	s_delay_alu instid0(VALU_DEP_4) | instskip(SKIP_2) | instid1(VALU_DEP_4)
	v_xor_b32_e32 v21, s16, v21
	v_cmp_gt_i32_e64 s16, 0, v23
	v_ashrrev_i32_e32 v22, 31, v22
	v_not_b32_e32 v23, v20
	s_delay_alu instid0(VALU_DEP_4) | instskip(SKIP_1) | instid1(VALU_DEP_4)
	v_and_b32_e32 v19, v19, v21
	v_lshlrev_b32_e32 v21, 26, v18
	v_xor_b32_e32 v22, s16, v22
	v_cmp_gt_i32_e64 s16, 0, v20
	v_ashrrev_i32_e32 v20, 31, v23
	s_delay_alu instid0(VALU_DEP_4) | instskip(NEXT) | instid1(VALU_DEP_4)
	v_not_b32_e32 v23, v21
	v_and_b32_e32 v19, v19, v22
	v_lshlrev_b32_e32 v22, 25, v18
	s_delay_alu instid0(VALU_DEP_4)
	v_xor_b32_e32 v20, s16, v20
	v_cmp_gt_i32_e64 s16, 0, v21
	v_ashrrev_i32_e32 v21, 31, v23
	v_lshlrev_b32_e32 v18, 24, v18
	v_not_b32_e32 v23, v22
	v_and_b32_e32 v19, v19, v20
	s_delay_alu instid0(VALU_DEP_4) | instskip(SKIP_1) | instid1(VALU_DEP_4)
	v_xor_b32_e32 v20, s16, v21
	v_cmp_gt_i32_e64 s16, 0, v22
	v_ashrrev_i32_e32 v21, 31, v23
	v_not_b32_e32 v22, v18
	s_delay_alu instid0(VALU_DEP_4) | instskip(NEXT) | instid1(VALU_DEP_3)
	v_and_b32_e32 v19, v19, v20
	v_xor_b32_e32 v20, s16, v21
	v_cmp_gt_i32_e64 s16, 0, v18
	s_delay_alu instid0(VALU_DEP_4) | instskip(NEXT) | instid1(VALU_DEP_3)
	v_ashrrev_i32_e32 v18, 31, v22
	v_and_b32_e32 v19, v19, v20
	s_delay_alu instid0(VALU_DEP_2) | instskip(NEXT) | instid1(VALU_DEP_1)
	v_xor_b32_e32 v18, s16, v18
	v_and_b32_e32 v18, v19, v18
	s_delay_alu instid0(VALU_DEP_1) | instskip(SKIP_1) | instid1(VALU_DEP_2)
	v_mbcnt_lo_u32_b32 v240, v18, 0
	v_cmp_ne_u32_e64 s17, 0, v18
	v_cmp_eq_u32_e64 s16, 0, v240
	s_delay_alu instid0(VALU_DEP_1) | instskip(NEXT) | instid1(SALU_CYCLE_1)
	s_and_b32 s17, s17, s16
	s_and_saveexec_b32 s16, s17
	s_cbranch_execz .LBB1021_85
; %bb.84:                               ;   in Loop: Header=BB1021_53 Depth=1
	s_waitcnt vmcnt(0) lgkmcnt(0)
	v_bcnt_u32_b32 v18, v18, v231
	flat_store_b32 v[178:179], v18
.LBB1021_85:                            ;   in Loop: Header=BB1021_53 Depth=1
	s_or_b32 exec_lo, exec_lo, s16
	; wave barrier
	s_waitcnt vmcnt(0) lgkmcnt(0)
	s_waitcnt_vscnt null, 0x0
	s_barrier
	buffer_gl0_inv
	s_clause 0x1
	flat_load_b128 v[22:25], v[8:9] offset:32
	flat_load_b128 v[18:21], v[31:32] offset:16
	s_waitcnt vmcnt(1) lgkmcnt(1)
	v_add_nc_u32_e32 v241, v23, v22
	s_delay_alu instid0(VALU_DEP_1) | instskip(SKIP_1) | instid1(VALU_DEP_1)
	v_add3_u32 v241, v241, v24, v25
	s_waitcnt vmcnt(0) lgkmcnt(0)
	v_add3_u32 v241, v241, v18, v19
	s_delay_alu instid0(VALU_DEP_1) | instskip(NEXT) | instid1(VALU_DEP_1)
	v_add3_u32 v21, v241, v20, v21
	v_mov_b32_dpp v241, v21 row_shr:1 row_mask:0xf bank_mask:0xf
	s_delay_alu instid0(VALU_DEP_1) | instskip(NEXT) | instid1(VALU_DEP_1)
	v_cndmask_b32_e64 v241, v241, 0, vcc_lo
	v_add_nc_u32_e32 v21, v241, v21
	s_delay_alu instid0(VALU_DEP_1) | instskip(NEXT) | instid1(VALU_DEP_1)
	v_mov_b32_dpp v241, v21 row_shr:2 row_mask:0xf bank_mask:0xf
	v_cndmask_b32_e64 v241, 0, v241, s0
	s_delay_alu instid0(VALU_DEP_1) | instskip(NEXT) | instid1(VALU_DEP_1)
	v_add_nc_u32_e32 v21, v21, v241
	v_mov_b32_dpp v241, v21 row_shr:4 row_mask:0xf bank_mask:0xf
	s_delay_alu instid0(VALU_DEP_1) | instskip(NEXT) | instid1(VALU_DEP_1)
	v_cndmask_b32_e64 v241, 0, v241, s1
	v_add_nc_u32_e32 v21, v21, v241
	s_delay_alu instid0(VALU_DEP_1) | instskip(NEXT) | instid1(VALU_DEP_1)
	v_mov_b32_dpp v241, v21 row_shr:8 row_mask:0xf bank_mask:0xf
	v_cndmask_b32_e64 v241, 0, v241, s2
	s_delay_alu instid0(VALU_DEP_1) | instskip(SKIP_3) | instid1(VALU_DEP_1)
	v_add_nc_u32_e32 v21, v21, v241
	ds_swizzle_b32 v241, v21 offset:swizzle(BROADCAST,32,15)
	s_waitcnt lgkmcnt(0)
	v_cndmask_b32_e64 v241, v241, 0, s3
	v_add_nc_u32_e32 v21, v21, v241
	s_and_saveexec_b32 s16, s4
	s_cbranch_execz .LBB1021_87
; %bb.86:                               ;   in Loop: Header=BB1021_53 Depth=1
	flat_store_b32 v[70:71], v21
.LBB1021_87:                            ;   in Loop: Header=BB1021_53 Depth=1
	s_or_b32 exec_lo, exec_lo, s16
	s_waitcnt lgkmcnt(0)
	s_waitcnt_vscnt null, 0x0
	s_barrier
	buffer_gl0_inv
	s_and_saveexec_b32 s16, s5
	s_cbranch_execz .LBB1021_89
; %bb.88:                               ;   in Loop: Header=BB1021_53 Depth=1
	flat_load_b32 v241, v[80:81]
	s_waitcnt vmcnt(0) lgkmcnt(0)
	v_mov_b32_dpp v242, v241 row_shr:1 row_mask:0xf bank_mask:0xf
	s_delay_alu instid0(VALU_DEP_1) | instskip(NEXT) | instid1(VALU_DEP_1)
	v_cndmask_b32_e64 v242, v242, 0, s11
	v_add_nc_u32_e32 v241, v242, v241
	s_delay_alu instid0(VALU_DEP_1) | instskip(NEXT) | instid1(VALU_DEP_1)
	v_mov_b32_dpp v242, v241 row_shr:2 row_mask:0xf bank_mask:0xf
	v_cndmask_b32_e64 v242, 0, v242, s14
	s_delay_alu instid0(VALU_DEP_1) | instskip(NEXT) | instid1(VALU_DEP_1)
	v_add_nc_u32_e32 v241, v241, v242
	v_mov_b32_dpp v242, v241 row_shr:4 row_mask:0xf bank_mask:0xf
	s_delay_alu instid0(VALU_DEP_1) | instskip(NEXT) | instid1(VALU_DEP_1)
	v_cndmask_b32_e64 v242, 0, v242, s15
	v_add_nc_u32_e32 v241, v241, v242
	flat_store_b32 v[80:81], v241
.LBB1021_89:                            ;   in Loop: Header=BB1021_53 Depth=1
	s_or_b32 exec_lo, exec_lo, s16
	v_mov_b32_e32 v241, 0
	s_waitcnt lgkmcnt(0)
	s_waitcnt_vscnt null, 0x0
	s_barrier
	buffer_gl0_inv
	s_and_saveexec_b32 s16, s6
	s_cbranch_execz .LBB1021_91
; %bb.90:                               ;   in Loop: Header=BB1021_53 Depth=1
	flat_load_b32 v241, v[86:87]
.LBB1021_91:                            ;   in Loop: Header=BB1021_53 Depth=1
	s_or_b32 exec_lo, exec_lo, s16
	s_waitcnt vmcnt(0) lgkmcnt(0)
	v_dual_mov_b32 v110, v78 :: v_dual_add_nc_u32 v21, v241, v21
	v_add_nc_u32_e32 v10, 8, v10
	s_mov_b32 s18, -1
                                        ; implicit-def: $vgpr125
                                        ; implicit-def: $vgpr124
                                        ; implicit-def: $vgpr123
                                        ; implicit-def: $vgpr122
                                        ; implicit-def: $vgpr121
                                        ; implicit-def: $vgpr120
                                        ; implicit-def: $vgpr111
	ds_bpermute_b32 v21, v76, v21
	s_waitcnt lgkmcnt(0)
	v_cndmask_b32_e64 v21, v21, v241, s7
	s_delay_alu instid0(VALU_DEP_1) | instskip(NEXT) | instid1(VALU_DEP_1)
	v_cndmask_b32_e64 v21, v21, 0, s10
	v_add_nc_u32_e32 v22, v21, v22
	s_delay_alu instid0(VALU_DEP_1) | instskip(NEXT) | instid1(VALU_DEP_1)
	v_add_nc_u32_e32 v23, v22, v23
	v_add_nc_u32_e32 v24, v23, v24
	s_delay_alu instid0(VALU_DEP_1) | instskip(SKIP_1) | instid1(VALU_DEP_2)
	v_add_nc_u32_e32 v241, v24, v25
	v_mov_b32_e32 v25, v5
	v_add_nc_u32_e32 v242, v241, v18
	s_delay_alu instid0(VALU_DEP_1) | instskip(NEXT) | instid1(VALU_DEP_1)
	v_add_nc_u32_e32 v243, v242, v19
	v_dual_mov_b32 v19, v5 :: v_dual_add_nc_u32 v244, v243, v20
	s_clause 0x1
	flat_store_b128 v[8:9], v[21:24] offset:32
	flat_store_b128 v[31:32], v[241:244] offset:16
	s_waitcnt lgkmcnt(0)
	s_waitcnt_vscnt null, 0x0
	s_barrier
	buffer_gl0_inv
	s_clause 0xf
	flat_load_b32 v18, v[116:117]
	flat_load_b32 v20, v[118:119]
	;; [unrolled: 1-line block ×16, first 2 shown]
	v_mov_b32_e32 v163, v5
	v_mov_b32_e32 v151, v5
	;; [unrolled: 1-line block ×13, first 2 shown]
	v_cmp_lt_u32_e64 s16, v10, v11
	s_waitcnt vmcnt(0) lgkmcnt(0)
	v_add_nc_u32_e32 v4, v18, v4
	v_add3_u32 v164, v180, v39, v20
	v_add3_u32 v162, v182, v181, v22
	;; [unrolled: 1-line block ×5, first 2 shown]
	v_lshlrev_b64 v[116:117], 1, v[4:5]
	v_add3_u32 v134, v208, v199, v128
	v_add3_u32 v132, v210, v209, v130
	;; [unrolled: 1-line block ×4, first 2 shown]
	v_lshlrev_b64 v[146:147], 1, v[164:165]
	v_add3_u32 v24, v226, v225, v242
	v_add3_u32 v22, v228, v227, v166
	;; [unrolled: 1-line block ×3, first 2 shown]
	v_lshlrev_b64 v[166:167], 1, v[162:163]
	v_add_co_u32 v226, s17, v12, v116
	s_delay_alu instid0(VALU_DEP_1) | instskip(SKIP_3) | instid1(VALU_DEP_1)
	v_add_co_ci_u32_e64 v227, s17, v13, v117, s17
	v_add3_u32 v18, v240, v231, v176
	v_lshlrev_b64 v[176:177], 1, v[160:161]
	v_add_co_u32 v228, s17, v12, v146
	v_add_co_ci_u32_e64 v229, s17, v13, v147, s17
	v_lshlrev_b64 v[178:179], 1, v[150:151]
	v_add_co_u32 v230, s17, v12, v166
	v_add3_u32 v144, v198, v197, v118
	v_add_co_ci_u32_e64 v231, s17, v13, v167, s17
	v_lshlrev_b64 v[180:181], 1, v[148:149]
	v_add_co_u32 v240, s17, v12, v176
	v_add3_u32 v118, v224, v215, v241
	v_add_co_ci_u32_e64 v241, s17, v13, v177, s17
	v_lshlrev_b64 v[182:183], 1, v[144:145]
	v_add_co_u32 v242, s17, v12, v178
	s_delay_alu instid0(VALU_DEP_1) | instskip(SKIP_2) | instid1(VALU_DEP_1)
	v_add_co_ci_u32_e64 v243, s17, v13, v179, s17
	v_lshlrev_b64 v[192:193], 1, v[134:135]
	v_add_co_u32 v244, s17, v12, v180
	v_add_co_ci_u32_e64 v245, s17, v13, v181, s17
	v_lshlrev_b64 v[194:195], 1, v[132:133]
	v_add_co_u32 v246, s17, v12, v182
	s_delay_alu instid0(VALU_DEP_1) | instskip(SKIP_2) | instid1(VALU_DEP_1)
	v_add_co_ci_u32_e64 v247, s17, v13, v183, s17
	v_lshlrev_b64 v[196:197], 1, v[130:131]
	v_add_co_u32 v39, s17, v12, v192
	;; [unrolled: 7-line block ×5, first 2 shown]
	v_add_co_ci_u32_e64 v73, s17, v13, v213, s17
	v_add_co_u32 v43, s17, v12, v214
	s_delay_alu instid0(VALU_DEP_1) | instskip(SKIP_1) | instid1(VALU_DEP_1)
	v_add_co_ci_u32_e64 v44, s17, v13, v215, s17
	v_add_co_u32 v56, s17, v12, v224
	v_add_co_ci_u32_e64 v57, s17, v13, v225, s17
                                        ; implicit-def: $vgpr166_vgpr167
                                        ; implicit-def: $vgpr178_vgpr179
                                        ; implicit-def: $vgpr182_vgpr183
                                        ; implicit-def: $vgpr194_vgpr195
                                        ; implicit-def: $vgpr198_vgpr199
                                        ; implicit-def: $vgpr116_vgpr117
                                        ; implicit-def: $vgpr146_vgpr147
                                        ; implicit-def: $vgpr176_vgpr177
                                        ; implicit-def: $vgpr180_vgpr181
                                        ; implicit-def: $vgpr192_vgpr193
                                        ; implicit-def: $vgpr196_vgpr197
                                        ; implicit-def: $vgpr208_vgpr209
                                        ; implicit-def: $vgpr210_vgpr211
                                        ; implicit-def: $vgpr212_vgpr213
                                        ; implicit-def: $vgpr214_vgpr215
                                        ; implicit-def: $vgpr224_vgpr225
	s_and_saveexec_b32 s17, s16
	s_cbranch_execz .LBB1021_52
; %bb.92:                               ;   in Loop: Header=BB1021_53 Depth=1
	s_barrier
	buffer_gl0_inv
	s_clause 0xf
	flat_store_b16 v[226:227], v78
	flat_store_b16 v[228:229], v94
	;; [unrolled: 1-line block ×16, first 2 shown]
	s_waitcnt lgkmcnt(0)
	s_waitcnt_vscnt null, 0x0
	s_barrier
	buffer_gl0_inv
	s_clause 0x7
	flat_load_u16 v78, v[82:83]
	flat_load_u16 v111, v[82:83] offset:128
	flat_load_u16 v120, v[82:83] offset:256
	;; [unrolled: 1-line block ×7, first 2 shown]
	v_mad_u64_u32 v[116:117], null, v4, 6, v[226:227]
	v_mad_u64_u32 v[146:147], null, v164, 6, v[228:229]
	;; [unrolled: 1-line block ×16, first 2 shown]
	v_add_nc_u32_e32 v77, -8, v77
	s_xor_b32 s18, exec_lo, -1
	s_waitcnt vmcnt(7) lgkmcnt(7)
	flat_load_d16_hi_b16 v78, v[82:83] offset:64
	s_waitcnt vmcnt(7) lgkmcnt(7)
	flat_load_d16_hi_b16 v111, v[82:83] offset:192
	;; [unrolled: 2-line block ×8, first 2 shown]
	s_waitcnt vmcnt(0) lgkmcnt(0)
	s_barrier
	buffer_gl0_inv
	s_clause 0xf
	flat_store_b64 v[116:117], v[64:65]
	flat_store_b64 v[146:147], v[68:69]
	;; [unrolled: 1-line block ×16, first 2 shown]
	s_waitcnt lgkmcnt(0)
	s_waitcnt_vscnt null, 0x0
	s_barrier
	buffer_gl0_inv
	s_clause 0xf
	flat_load_b64 v[166:167], v[102:103]
	flat_load_b64 v[178:179], v[102:103] offset:256
	flat_load_b64 v[182:183], v[102:103] offset:512
	;; [unrolled: 1-line block ×15, first 2 shown]
	s_waitcnt vmcnt(0) lgkmcnt(0)
	s_barrier
	buffer_gl0_inv
	s_branch .LBB1021_52
.LBB1021_93:
	s_or_b32 exec_lo, exec_lo, s20
	v_or_b32_e32 v28, 0x800, v26
	v_lshlrev_b32_e32 v8, 1, v26
	v_or_b32_e32 v167, 0xc00, v26
	v_lshlrev_b64 v[4:5], 3, v[4:5]
	s_barrier
	v_lshlrev_b32_e32 v10, 1, v28
	v_add_co_u32 v8, vcc_lo, v12, v8
	v_add_co_ci_u32_e32 v9, vcc_lo, 0, v13, vcc_lo
	s_delay_alu instid0(VALU_DEP_3) | instskip(SKIP_4) | instid1(VALU_DEP_4)
	v_add_co_u32 v10, vcc_lo, v12, v10
	v_lshlrev_b32_e32 v16, 1, v167
	v_add_co_ci_u32_e32 v11, vcc_lo, 0, v13, vcc_lo
	v_add_co_u32 v14, vcc_lo, 0x1000, v8
	v_add_co_ci_u32_e32 v15, vcc_lo, 0, v9, vcc_lo
	v_add_co_u32 v16, vcc_lo, v12, v16
	v_add_co_ci_u32_e32 v17, vcc_lo, 0, v13, vcc_lo
	buffer_gl0_inv
	s_clause 0xf
	flat_store_b16 v[226:227], v110
	flat_store_b16 v[228:229], v94
	;; [unrolled: 1-line block ×16, first 2 shown]
	s_waitcnt lgkmcnt(0)
	s_waitcnt_vscnt null, 0x0
	s_barrier
	buffer_gl0_inv
	s_clause 0xd
	flat_load_u16 v166, v[8:9]
	flat_load_u16 v147, v[8:9] offset:512
	flat_load_u16 v146, v[8:9] offset:1024
	;; [unrolled: 1-line block ×7, first 2 shown]
	flat_load_u16 v87, v[10:11]
	flat_load_u16 v83, v[14:15] offset:512
	flat_load_u16 v82, v[14:15] offset:1024
	;; [unrolled: 1-line block ×5, first 2 shown]
	v_add_co_u32 v8, vcc_lo, 0x1e00, v8
	v_lshlrev_b64 v[10:11], 3, v[164:165]
	v_add_co_ci_u32_e32 v9, vcc_lo, 0, v9, vcc_lo
	s_clause 0x1
	flat_load_u16 v81, v[16:17]
	flat_load_u16 v39, v[14:15] offset:3584
	v_add_co_u32 v4, vcc_lo, v12, v4
	v_lshlrev_b64 v[14:15], 3, v[162:163]
	v_add_co_ci_u32_e32 v5, vcc_lo, v13, v5, vcc_lo
	v_add_co_u32 v10, vcc_lo, v12, v10
	v_add_co_ci_u32_e32 v11, vcc_lo, v13, v11, vcc_lo
	s_delay_alu instid0(VALU_DEP_4)
	v_add_co_u32 v14, vcc_lo, v12, v14
	v_add_co_ci_u32_e32 v15, vcc_lo, v13, v15, vcc_lo
	v_lshlrev_b64 v[16:17], 3, v[160:161]
	s_waitcnt vmcnt(0) lgkmcnt(0)
	s_barrier
	buffer_gl0_inv
	s_clause 0x2
	flat_store_b64 v[4:5], v[64:65]
	flat_store_b64 v[10:11], v[68:69]
	;; [unrolled: 1-line block ×3, first 2 shown]
	v_lshlrev_b64 v[4:5], 3, v[150:151]
	v_add_co_u32 v10, vcc_lo, v12, v16
	v_lshlrev_b64 v[14:15], 3, v[148:149]
	v_add_co_ci_u32_e32 v11, vcc_lo, v13, v17, vcc_lo
	s_delay_alu instid0(VALU_DEP_4) | instskip(SKIP_4) | instid1(VALU_DEP_4)
	v_add_co_u32 v4, vcc_lo, v12, v4
	v_lshlrev_b64 v[16:17], 3, v[144:145]
	v_add_co_ci_u32_e32 v5, vcc_lo, v13, v5, vcc_lo
	v_add_co_u32 v14, vcc_lo, v12, v14
	v_add_co_ci_u32_e32 v15, vcc_lo, v13, v15, vcc_lo
	v_add_co_u32 v16, vcc_lo, v12, v16
	v_add_co_ci_u32_e32 v17, vcc_lo, v13, v17, vcc_lo
	flat_store_b64 v[10:11], v[35:36]
	v_lshlrev_b64 v[10:11], 3, v[134:135]
	s_clause 0x2
	flat_store_b64 v[4:5], v[33:34]
	flat_store_b64 v[14:15], v[112:113]
	;; [unrolled: 1-line block ×3, first 2 shown]
	v_lshlrev_b64 v[4:5], 3, v[132:133]
	v_lshlrev_b64 v[14:15], 3, v[130:131]
	;; [unrolled: 1-line block ×4, first 2 shown]
	v_add_co_u32 v10, vcc_lo, v12, v10
	v_add_co_ci_u32_e32 v11, vcc_lo, v13, v11, vcc_lo
	v_add_co_u32 v4, vcc_lo, v12, v4
	v_add_co_ci_u32_e32 v5, vcc_lo, v13, v5, vcc_lo
	;; [unrolled: 2-line block ×4, first 2 shown]
	flat_store_b64 v[10:11], v[100:101]
	v_lshlrev_b64 v[10:11], 3, v[118:119]
	s_clause 0x2
	flat_store_b64 v[4:5], v[84:85]
	flat_store_b64 v[14:15], v[98:99]
	;; [unrolled: 1-line block ×3, first 2 shown]
	v_lshlrev_b64 v[4:5], 3, v[24:25]
	v_lshlrev_b64 v[14:15], 3, v[22:23]
	v_lshlrev_b64 v[16:17], 3, v[20:21]
	v_add_nc_u32_e32 v176, 0xf00, v26
	v_add_co_u32 v10, vcc_lo, v12, v10
	v_add_co_ci_u32_e32 v11, vcc_lo, v13, v11, vcc_lo
	v_add_co_u32 v4, vcc_lo, v12, v4
	v_add_co_ci_u32_e32 v5, vcc_lo, v13, v5, vcc_lo
	;; [unrolled: 2-line block ×5, first 2 shown]
	s_clause 0x4
	flat_store_b64 v[10:11], v[50:51]
	flat_store_b64 v[4:5], v[48:49]
	;; [unrolled: 1-line block ×5, first 2 shown]
	v_lshlrev_b32_e32 v4, 3, v26
	v_lshl_or_b32 v14, v26, 3, 0x2000
	s_waitcnt lgkmcnt(0)
	s_waitcnt_vscnt null, 0x0
	s_barrier
	buffer_gl0_inv
	v_add_co_u32 v4, vcc_lo, v12, v4
	v_add_co_ci_u32_e32 v5, vcc_lo, 0, v13, vcc_lo
	v_mad_u64_u32 v[64:65], null, v176, 6, v[8:9]
	s_delay_alu instid0(VALU_DEP_3) | instskip(NEXT) | instid1(VALU_DEP_3)
	v_add_co_u32 v10, vcc_lo, 0x1000, v4
	v_add_co_ci_u32_e32 v11, vcc_lo, 0, v5, vcc_lo
	v_add_co_u32 v14, vcc_lo, v12, v14
	v_add_co_ci_u32_e32 v15, vcc_lo, 0, v13, vcc_lo
	v_add_co_u32 v16, vcc_lo, 0x2000, v4
	s_clause 0x3
	flat_load_b64 v[50:51], v[4:5]
	flat_load_b64 v[48:49], v[4:5] offset:2048
	flat_load_b64 v[37:38], v[10:11]
	flat_load_b64 v[35:36], v[10:11] offset:2048
	v_lshlrev_b32_e32 v10, 3, v28
	v_add_co_ci_u32_e32 v17, vcc_lo, 0, v5, vcc_lo
	v_add_co_u32 v18, vcc_lo, 0x3000, v4
	v_add_co_ci_u32_e32 v19, vcc_lo, 0, v5, vcc_lo
	s_delay_alu instid0(VALU_DEP_4)
	v_add_co_u32 v10, vcc_lo, v12, v10
	v_add_co_ci_u32_e32 v11, vcc_lo, 0, v13, vcc_lo
	s_clause 0x3
	flat_load_b64 v[33:34], v[14:15]
	flat_load_b64 v[31:32], v[16:17] offset:2048
	flat_load_b64 v[22:23], v[18:19]
	flat_load_b64 v[18:19], v[18:19] offset:2048
	v_add_co_u32 v14, vcc_lo, 0x4000, v4
	v_lshlrev_b32_e32 v16, 3, v167
	v_add_co_ci_u32_e32 v15, vcc_lo, 0, v5, vcc_lo
	v_add_co_u32 v52, vcc_lo, 0x5000, v4
	v_add_co_ci_u32_e32 v53, vcc_lo, 0, v5, vcc_lo
	s_delay_alu instid0(VALU_DEP_4)
	v_add_co_u32 v12, vcc_lo, v12, v16
	v_add_co_ci_u32_e32 v13, vcc_lo, 0, v13, vcc_lo
	v_add_co_u32 v54, vcc_lo, 0x6000, v4
	v_add_co_ci_u32_e32 v55, vcc_lo, 0, v5, vcc_lo
	;; [unrolled: 2-line block ×3, first 2 shown]
	s_clause 0x7
	flat_load_b64 v[24:25], v[10:11]
	flat_load_b64 v[20:21], v[14:15] offset:2048
	flat_load_b64 v[16:17], v[52:53]
	flat_load_b64 v[14:15], v[52:53] offset:2048
	flat_load_b64 v[12:13], v[12:13]
	flat_load_b64 v[10:11], v[54:55] offset:2048
	flat_load_b64 v[8:9], v[4:5]
	flat_load_b64 v[4:5], v[64:65]
	v_mov_b32_e32 v28, 0
	v_add_co_u32 v2, vcc_lo, v2, v29
	v_add_co_ci_u32_e32 v3, vcc_lo, v3, v30, vcc_lo
	s_delay_alu instid0(VALU_DEP_3)
	v_lshlrev_b64 v[52:53], 1, v[27:28]
	s_waitcnt vmcnt(0) lgkmcnt(0)
	s_barrier
	buffer_gl0_inv
	v_add_co_u32 v2, vcc_lo, v2, v52
	v_add_co_ci_u32_e32 v3, vcc_lo, v3, v53, vcc_lo
	v_cmp_lt_u32_e32 vcc_lo, v27, v47
	s_and_saveexec_b32 s0, vcc_lo
	s_cbranch_execz .LBB1021_95
; %bb.94:
	v_xor_b32_e32 v26, 0xffff8000, v166
	flat_store_b16 v[2:3], v26
.LBB1021_95:
	s_or_b32 exec_lo, exec_lo, s0
	v_add_nc_u32_e32 v26, 0x100, v27
	s_delay_alu instid0(VALU_DEP_1) | instskip(NEXT) | instid1(VALU_DEP_1)
	v_cmp_lt_u32_e64 s3, v26, v47
	s_and_saveexec_b32 s0, s3
	s_cbranch_execz .LBB1021_97
; %bb.96:
	v_xor_b32_e32 v26, 0xffff8000, v147
	flat_store_b16 v[2:3], v26 offset:512
.LBB1021_97:
	s_or_b32 exec_lo, exec_lo, s0
	v_add_nc_u32_e32 v26, 0x200, v27
	s_delay_alu instid0(VALU_DEP_1) | instskip(NEXT) | instid1(VALU_DEP_1)
	v_cmp_lt_u32_e64 s10, v26, v47
	s_and_saveexec_b32 s0, s10
	s_cbranch_execz .LBB1021_99
; %bb.98:
	v_xor_b32_e32 v26, 0xffff8000, v146
	flat_store_b16 v[2:3], v26 offset:1024
.LBB1021_99:
	;; [unrolled: 10-line block ×7, first 2 shown]
	s_or_b32 exec_lo, exec_lo, s0
	v_add_nc_u32_e32 v26, 0x800, v27
	s_delay_alu instid0(VALU_DEP_1) | instskip(NEXT) | instid1(VALU_DEP_1)
	v_cmp_lt_u32_e64 s0, v26, v47
	s_and_saveexec_b32 s11, s0
	s_cbranch_execz .LBB1021_111
; %bb.110:
	v_add_co_u32 v29, s5, 0x1000, v2
	v_xor_b32_e32 v26, 0xffff8000, v87
	v_add_co_ci_u32_e64 v30, s5, 0, v3, s5
	flat_store_b16 v[29:30], v26
.LBB1021_111:
	s_or_b32 exec_lo, exec_lo, s11
	v_add_nc_u32_e32 v26, 0x900, v27
	s_delay_alu instid0(VALU_DEP_1) | instskip(NEXT) | instid1(VALU_DEP_1)
	v_cmp_lt_u32_e64 s5, v26, v47
	s_and_saveexec_b32 s14, s5
	s_cbranch_execz .LBB1021_113
; %bb.112:
	v_add_co_u32 v29, s11, 0x1000, v2
	v_xor_b32_e32 v26, 0xffff8000, v83
	v_add_co_ci_u32_e64 v30, s11, 0, v3, s11
	flat_store_b16 v[29:30], v26 offset:512
.LBB1021_113:
	s_or_b32 exec_lo, exec_lo, s14
	v_add_nc_u32_e32 v26, 0xa00, v27
	s_delay_alu instid0(VALU_DEP_1) | instskip(NEXT) | instid1(VALU_DEP_1)
	v_cmp_lt_u32_e64 s11, v26, v47
	s_and_saveexec_b32 s15, s11
	s_cbranch_execz .LBB1021_115
; %bb.114:
	v_add_co_u32 v29, s14, 0x1000, v2
	v_xor_b32_e32 v26, 0xffff8000, v82
	v_add_co_ci_u32_e64 v30, s14, 0, v3, s14
	flat_store_b16 v[29:30], v26 offset:1024
.LBB1021_115:
	;; [unrolled: 12-line block ×7, first 2 shown]
	s_or_b32 exec_lo, exec_lo, s20
	v_lshlrev_b64 v[2:3], 3, v[27:28]
	v_add_co_u32 v0, s19, v6, v0
	s_delay_alu instid0(VALU_DEP_1) | instskip(NEXT) | instid1(VALU_DEP_2)
	v_add_co_ci_u32_e64 v1, s19, v7, v1, s19
	v_add_co_u32 v0, s19, v0, v2
	s_delay_alu instid0(VALU_DEP_1)
	v_add_co_ci_u32_e64 v1, s19, v1, v3, s19
	s_and_saveexec_b32 s19, vcc_lo
	s_cbranch_execnz .LBB1021_211
; %bb.126:
	s_or_b32 exec_lo, exec_lo, s19
	s_and_saveexec_b32 s19, s3
	s_cbranch_execnz .LBB1021_212
.LBB1021_127:
	s_or_b32 exec_lo, exec_lo, s19
	s_and_saveexec_b32 s3, s10
	s_cbranch_execnz .LBB1021_213
.LBB1021_128:
	s_or_b32 exec_lo, exec_lo, s3
	s_and_saveexec_b32 s3, s7
	s_cbranch_execnz .LBB1021_214
.LBB1021_129:
	s_or_b32 exec_lo, exec_lo, s3
	s_and_saveexec_b32 s3, s6
	s_cbranch_execnz .LBB1021_215
.LBB1021_130:
	s_or_b32 exec_lo, exec_lo, s3
	s_and_saveexec_b32 s3, s4
	s_cbranch_execnz .LBB1021_216
.LBB1021_131:
	s_or_b32 exec_lo, exec_lo, s3
	s_and_saveexec_b32 s3, s2
	s_cbranch_execnz .LBB1021_217
.LBB1021_132:
	s_or_b32 exec_lo, exec_lo, s3
	s_and_saveexec_b32 s2, s1
	s_cbranch_execnz .LBB1021_218
.LBB1021_133:
	s_or_b32 exec_lo, exec_lo, s2
	s_and_saveexec_b32 s1, s0
	s_cbranch_execnz .LBB1021_219
.LBB1021_134:
	s_or_b32 exec_lo, exec_lo, s1
	s_and_saveexec_b32 s0, s5
	s_cbranch_execnz .LBB1021_220
.LBB1021_135:
	s_or_b32 exec_lo, exec_lo, s0
	s_and_saveexec_b32 s0, s11
	s_cbranch_execnz .LBB1021_221
.LBB1021_136:
	s_or_b32 exec_lo, exec_lo, s0
	s_and_saveexec_b32 s0, s14
	s_cbranch_execnz .LBB1021_222
.LBB1021_137:
	s_or_b32 exec_lo, exec_lo, s0
	s_and_saveexec_b32 s0, s15
	s_cbranch_execnz .LBB1021_223
.LBB1021_138:
	s_or_b32 exec_lo, exec_lo, s0
	s_and_saveexec_b32 s0, s16
	s_cbranch_execnz .LBB1021_224
.LBB1021_139:
	s_or_b32 exec_lo, exec_lo, s0
	s_and_saveexec_b32 s0, s17
	s_cbranch_execnz .LBB1021_225
.LBB1021_140:
	s_or_b32 exec_lo, exec_lo, s0
	s_and_saveexec_b32 s0, s18
	s_cbranch_execz .LBB1021_142
.LBB1021_141:
	v_add_co_u32 v0, vcc_lo, 0x7000, v0
	v_add_co_ci_u32_e32 v1, vcc_lo, 0, v1, vcc_lo
	flat_store_b64 v[0:1], v[4:5] offset:2048
.LBB1021_142:
	s_or_b32 exec_lo, exec_lo, s0
                                        ; implicit-def: $vgpr47
                                        ; implicit-def: $vgpr0
                                        ; implicit-def: $vgpr1
                                        ; implicit-def: $vgpr2
                                        ; implicit-def: $vgpr3
                                        ; implicit-def: $vgpr4
                                        ; implicit-def: $vgpr5
                                        ; implicit-def: $vgpr6
                                        ; implicit-def: $vgpr7
                                        ; implicit-def: $vgpr8
                                        ; implicit-def: $vgpr10
                                        ; implicit-def: $vgpr11
                                        ; implicit-def: $vgpr12
                                        ; implicit-def: $vgpr13
                                        ; implicit-def: $vgpr14
                                        ; implicit-def: $vgpr15
                                        ; implicit-def: $vgpr26
                                        ; implicit-def: $vgpr35
.LBB1021_143:
	s_and_not1_saveexec_b32 s0, s25
	s_cbranch_execz .LBB1021_372
; %bb.144:
	s_mov_b32 s0, exec_lo
	v_cmpx_lt_u32_e32 0x400, v47
	s_xor_b32 s19, exec_lo, s0
	s_cbranch_execz .LBB1021_252
; %bb.145:
	s_load_b64 s[0:1], s[8:9], 0x0
	v_mov_b32_e32 v9, 0
	s_mov_b32 s4, 0x7fff7fff
	s_delay_alu instid0(SALU_CYCLE_1)
	s_mov_b32 s5, s4
	s_mov_b32 s6, s4
	;; [unrolled: 1-line block ×3, first 2 shown]
	s_waitcnt lgkmcnt(0)
	s_cmp_lt_u32 s13, s1
	s_cselect_b32 s1, 14, 20
	s_delay_alu instid0(SALU_CYCLE_1) | instskip(SKIP_4) | instid1(SALU_CYCLE_1)
	s_add_u32 s2, s8, s1
	s_addc_u32 s3, s9, 0
	s_cmp_lt_u32 s12, s0
	global_load_u16 v16, v9, s[2:3]
	s_cselect_b32 s0, 12, 18
	s_add_u32 s0, s8, s0
	s_addc_u32 s1, s9, 0
	global_load_u16 v17, v9, s[0:1]
	s_waitcnt vmcnt(1)
	v_mad_u32_u24 v14, v15, v16, v14
	s_waitcnt vmcnt(0)
	s_delay_alu instid0(VALU_DEP_1) | instskip(SKIP_2) | instid1(VALU_DEP_3)
	v_mad_u64_u32 v[27:28], null, v14, v17, v[26:27]
	v_lshlrev_b32_e32 v14, 1, v35
	v_lshlrev_b64 v[29:30], 1, v[8:9]
	v_lshlrev_b32_e32 v15, 3, v27
	s_delay_alu instid0(VALU_DEP_1) | instskip(NEXT) | instid1(VALU_DEP_3)
	v_dual_mov_b32 v19, v9 :: v_dual_and_b32 v18, 0xffffff00, v15
	v_add_co_u32 v15, vcc_lo, v0, v29
	s_delay_alu instid0(VALU_DEP_4) | instskip(NEXT) | instid1(VALU_DEP_3)
	v_add_co_ci_u32_e32 v16, vcc_lo, v1, v30, vcc_lo
	v_lshlrev_b64 v[0:1], 1, v[18:19]
	s_delay_alu instid0(VALU_DEP_3) | instskip(NEXT) | instid1(VALU_DEP_3)
	v_add_co_u32 v14, vcc_lo, v15, v14
	v_add_co_ci_u32_e32 v15, vcc_lo, 0, v16, vcc_lo
	v_or_b32_e32 v20, v18, v35
	s_delay_alu instid0(VALU_DEP_3) | instskip(NEXT) | instid1(VALU_DEP_1)
	v_add_co_u32 v0, s0, v14, v0
	v_add_co_ci_u32_e64 v1, s0, v15, v1, s0
	v_dual_mov_b32 v17, s7 :: v_dual_mov_b32 v14, s4
	s_delay_alu instid0(VALU_DEP_4)
	v_cmp_lt_u32_e32 vcc_lo, v20, v47
	v_dual_mov_b32 v16, s6 :: v_dual_mov_b32 v15, s5
	s_and_saveexec_b32 s0, vcc_lo
	s_cbranch_execz .LBB1021_147
; %bb.146:
	v_mov_b32_e32 v15, 0x7fff7fff
	s_delay_alu instid0(VALU_DEP_1)
	v_dual_mov_b32 v14, 0x7fff0000 :: v_dual_mov_b32 v17, v15
	flat_load_d16_b16 v14, v[0:1]
	v_mov_b32_e32 v16, v15
.LBB1021_147:
	s_or_b32 exec_lo, exec_lo, s0
	v_or_b32_e32 v21, 32, v20
	s_delay_alu instid0(VALU_DEP_1) | instskip(NEXT) | instid1(VALU_DEP_1)
	v_cmp_lt_u32_e64 s0, v21, v47
	s_and_saveexec_b32 s1, s0
	s_cbranch_execz .LBB1021_149
; %bb.148:
	s_waitcnt vmcnt(0) lgkmcnt(0)
	flat_load_d16_hi_b16 v14, v[0:1] offset:64
.LBB1021_149:
	s_or_b32 exec_lo, exec_lo, s1
	v_or_b32_e32 v21, 64, v20
	s_delay_alu instid0(VALU_DEP_1) | instskip(NEXT) | instid1(VALU_DEP_1)
	v_cmp_lt_u32_e64 s1, v21, v47
	s_and_saveexec_b32 s2, s1
	s_cbranch_execz .LBB1021_151
; %bb.150:
	flat_load_d16_b16 v15, v[0:1] offset:128
.LBB1021_151:
	s_or_b32 exec_lo, exec_lo, s2
	v_or_b32_e32 v21, 0x60, v20
	s_delay_alu instid0(VALU_DEP_1) | instskip(NEXT) | instid1(VALU_DEP_1)
	v_cmp_lt_u32_e64 s2, v21, v47
	s_and_saveexec_b32 s3, s2
	s_cbranch_execz .LBB1021_153
; %bb.152:
	s_waitcnt vmcnt(0) lgkmcnt(0)
	flat_load_d16_hi_b16 v15, v[0:1] offset:192
.LBB1021_153:
	s_or_b32 exec_lo, exec_lo, s3
	v_or_b32_e32 v21, 0x80, v20
	s_delay_alu instid0(VALU_DEP_1) | instskip(NEXT) | instid1(VALU_DEP_1)
	v_cmp_lt_u32_e64 s3, v21, v47
	s_and_saveexec_b32 s4, s3
	s_cbranch_execz .LBB1021_155
; %bb.154:
	flat_load_d16_b16 v16, v[0:1] offset:256
.LBB1021_155:
	;; [unrolled: 19-line block ×3, first 2 shown]
	s_or_b32 exec_lo, exec_lo, s6
	v_or_b32_e32 v20, 0xe0, v20
	s_delay_alu instid0(VALU_DEP_1) | instskip(NEXT) | instid1(VALU_DEP_1)
	v_cmp_lt_u32_e64 s6, v20, v47
	s_and_saveexec_b32 s7, s6
	s_cbranch_execz .LBB1021_161
; %bb.160:
	s_waitcnt vmcnt(0) lgkmcnt(0)
	flat_load_d16_hi_b16 v17, v[0:1] offset:448
.LBB1021_161:
	s_or_b32 exec_lo, exec_lo, s7
	v_lshlrev_b64 v[0:1], 3, v[8:9]
	v_lshlrev_b32_e32 v8, 3, v35
	s_delay_alu instid0(VALU_DEP_2) | instskip(NEXT) | instid1(VALU_DEP_1)
	v_add_co_u32 v9, s7, v4, v0
	v_add_co_ci_u32_e64 v20, s7, v5, v1, s7
	v_lshlrev_b64 v[4:5], 3, v[18:19]
	s_delay_alu instid0(VALU_DEP_3) | instskip(NEXT) | instid1(VALU_DEP_1)
	v_add_co_u32 v8, s7, v9, v8
	v_add_co_ci_u32_e64 v9, s7, 0, v20, s7
                                        ; implicit-def: $vgpr18_vgpr19
	s_delay_alu instid0(VALU_DEP_2) | instskip(NEXT) | instid1(VALU_DEP_1)
	v_add_co_u32 v4, s7, v8, v4
	v_add_co_ci_u32_e64 v5, s7, v9, v5, s7
	s_and_saveexec_b32 s7, vcc_lo
	s_cbranch_execnz .LBB1021_285
; %bb.162:
	s_or_b32 exec_lo, exec_lo, s7
                                        ; implicit-def: $vgpr20_vgpr21
	s_and_saveexec_b32 s7, s0
	s_cbranch_execnz .LBB1021_286
.LBB1021_163:
	s_or_b32 exec_lo, exec_lo, s7
                                        ; implicit-def: $vgpr22_vgpr23
	s_and_saveexec_b32 s0, s1
	s_cbranch_execnz .LBB1021_287
.LBB1021_164:
	s_or_b32 exec_lo, exec_lo, s0
                                        ; implicit-def: $vgpr24_vgpr25
	s_and_saveexec_b32 s0, s2
	s_cbranch_execnz .LBB1021_288
.LBB1021_165:
	s_or_b32 exec_lo, exec_lo, s0
                                        ; implicit-def: $vgpr84_vgpr85
	s_and_saveexec_b32 s0, s3
	s_cbranch_execnz .LBB1021_289
.LBB1021_166:
	s_or_b32 exec_lo, exec_lo, s0
                                        ; implicit-def: $vgpr86_vgpr87
	s_and_saveexec_b32 s0, s4
	s_cbranch_execnz .LBB1021_290
.LBB1021_167:
	s_or_b32 exec_lo, exec_lo, s0
                                        ; implicit-def: $vgpr96_vgpr97
	s_and_saveexec_b32 s0, s5
	s_cbranch_execnz .LBB1021_291
.LBB1021_168:
	s_or_b32 exec_lo, exec_lo, s0
                                        ; implicit-def: $vgpr98_vgpr99
	s_and_saveexec_b32 s0, s6
	s_cbranch_execz .LBB1021_170
.LBB1021_169:
	flat_load_b64 v[98:99], v[4:5] offset:1792
.LBB1021_170:
	s_or_b32 exec_lo, exec_lo, s0
	v_dual_mov_b32 v5, 0 :: v_dual_lshlrev_b32 v4, 5, v26
	v_add_co_u32 v28, vcc_lo, v12, 32
	s_waitcnt vmcnt(0) lgkmcnt(0)
	v_xor_b32_e32 v113, 0x80008000, v17
	v_and_b32_e32 v17, 0x3e0, v26
	v_add_co_ci_u32_e32 v39, vcc_lo, 0, v13, vcc_lo
	s_mov_b32 s20, 0
	v_add_co_u32 v8, vcc_lo, v12, v4
	s_mov_b32 s21, s20
	s_mov_b32 s22, s20
	;; [unrolled: 1-line block ×3, first 2 shown]
	v_add_nc_u32_e32 v33, -1, v35
	v_add_co_ci_u32_e32 v9, vcc_lo, 0, v13, vcc_lo
	v_add_co_u32 v31, vcc_lo, v28, v4
	v_min_u32_e32 v4, 0xe0, v17
	v_and_b32_e32 v17, 16, v35
	v_xor_b32_e32 v103, 0x80008000, v16
	v_and_b32_e32 v16, 15, v35
	v_cmp_gt_i32_e64 s4, 0, v33
	v_or_b32_e32 v4, 31, v4
	v_cmp_eq_u32_e64 s3, 0, v17
	v_lshrrev_b32_e32 v17, 5, v26
	s_getpc_b64 s[0:1]
	s_add_u32 s0, s0, _ZN7rocprim17ROCPRIM_400000_NS16block_radix_sortIsLj256ELj8ElLj1ELj1ELj8ELNS0_26block_radix_rank_algorithmE2ELNS0_18block_padding_hintE2ELNS0_4arch9wavefront6targetE0EE19radix_bits_per_passE@rel32@lo+4
	s_addc_u32 s1, s1, _ZN7rocprim17ROCPRIM_400000_NS16block_radix_sortIsLj256ELj8ElLj1ELj1ELj8ELNS0_26block_radix_rank_algorithmE2ELNS0_18block_padding_hintE2ELNS0_4arch9wavefront6targetE0EE19radix_bits_per_passE@rel32@hi+12
	v_xor_b32_e32 v101, 0x80008000, v15
	v_lshlrev_b32_e32 v15, 3, v26
	v_add_co_ci_u32_e32 v32, vcc_lo, 0, v39, vcc_lo
	s_load_b32 s25, s[0:1], 0x0
	v_cmp_eq_u32_e32 vcc_lo, 0, v16
	v_cmp_lt_u32_e64 s0, 1, v16
	v_cmp_lt_u32_e64 s1, 3, v16
	;; [unrolled: 1-line block ×3, first 2 shown]
	v_cndmask_b32_e64 v16, v33, v35, s4
	v_cmp_eq_u32_e64 s4, v4, v26
	v_lshlrev_b32_e32 v4, 2, v17
	v_and_or_b32 v52, 0x1f00, v15, v35
	v_and_b32_e32 v37, 7, v35
	v_lshlrev_b32_e32 v162, 2, v16
	v_lshlrev_b32_e32 v16, 2, v26
	v_add_co_u32 v33, s11, v12, v4
	v_add_nc_u32_e32 v4, -1, v17
	v_lshlrev_b32_e32 v17, 1, v52
	v_add_co_ci_u32_e64 v34, s11, 0, v13, s11
	v_cmp_eq_u32_e64 s7, 0, v35
	v_add_co_u32 v35, s11, v12, v16
	s_delay_alu instid0(VALU_DEP_1)
	v_add_co_ci_u32_e64 v36, s11, 0, v13, s11
	v_cmp_eq_u32_e64 s11, 0, v37
	v_cmp_lt_u32_e64 s14, 1, v37
	v_cmp_lt_u32_e64 s15, 3, v37
	v_add_co_u32 v37, s16, v12, v17
	v_lshlrev_b64 v[15:16], 2, v[4:5]
	v_add_co_ci_u32_e64 v38, s16, 0, v13, s16
	v_xor_b32_e32 v164, 0x80008000, v14
	v_lshrrev_b32_e32 v135, 5, v27
	v_cmp_gt_u32_e64 s5, 8, v26
	v_add_co_u32 v48, s16, v12, v15
	v_mad_u64_u32 v[50:51], null, v52, 6, v[37:38]
	v_add_co_ci_u32_e64 v49, s16, v13, v16, s16
	v_dual_mov_b32 v14, s20 :: v_dual_mov_b32 v17, s23
	v_cmp_lt_u32_e64 s6, 31, v26
	v_cmp_eq_u32_e64 s10, 0, v26
	v_sub_nc_u32_e32 v163, v11, v10
	v_dual_mov_b32 v15, s21 :: v_dual_mov_b32 v16, s22
	s_waitcnt lgkmcnt(0)
	s_waitcnt_vscnt null, 0x0
	s_barrier
	buffer_gl0_inv
	s_branch .LBB1021_172
.LBB1021_171:                           ;   in Loop: Header=BB1021_172 Depth=1
	s_or_b32 exec_lo, exec_lo, s17
	s_delay_alu instid0(SALU_CYCLE_1) | instskip(NEXT) | instid1(SALU_CYCLE_1)
	s_and_b32 s16, exec_lo, s18
	s_or_b32 s20, s16, s20
	s_delay_alu instid0(SALU_CYCLE_1)
	s_and_not1_b32 exec_lo, exec_lo, s20
	s_cbranch_execz .LBB1021_226
.LBB1021_172:                           ; =>This Inner Loop Header: Depth=1
	v_min_u32_e32 v4, s25, v163
	v_dual_mov_b32 v165, v113 :: v_dual_and_b32 v52, 0xffff, v164
	s_clause 0x1
	flat_store_b128 v[8:9], v[14:17] offset:32
	flat_store_b128 v[31:32], v[14:17] offset:16
	s_waitcnt lgkmcnt(0)
	s_waitcnt_vscnt null, 0x0
	v_lshlrev_b32_e64 v4, v4, -1
	v_lshrrev_b32_e32 v52, v10, v52
	s_barrier
	buffer_gl0_inv
	v_not_b32_e32 v114, v4
	; wave barrier
	v_mov_b32_e32 v167, v101
	v_mov_b32_e32 v83, v19
	s_delay_alu instid0(VALU_DEP_3) | instskip(SKIP_3) | instid1(VALU_DEP_4)
	v_dual_mov_b32 v81, v21 :: v_dual_and_b32 v4, v52, v114
	v_mov_b32_e32 v166, v103
	v_mov_b32_e32 v82, v18
	v_dual_mov_b32 v80, v20 :: v_dual_mov_b32 v71, v25
	v_lshlrev_b32_e32 v53, 30, v4
	v_and_b32_e32 v52, 1, v4
	v_lshlrev_b32_e32 v54, 29, v4
	v_lshlrev_b32_e32 v55, 28, v4
	;; [unrolled: 1-line block ×3, first 2 shown]
	v_not_b32_e32 v68, v53
	v_add_co_u32 v52, s16, v52, -1
	s_delay_alu instid0(VALU_DEP_1)
	v_cndmask_b32_e64 v64, 0, 1, s16
	v_cmp_gt_i32_e64 s17, 0, v53
	v_not_b32_e32 v53, v54
	v_ashrrev_i32_e32 v68, 31, v68
	v_lshlrev_b32_e32 v66, 26, v4
	v_cmp_ne_u32_e64 s16, 0, v64
	v_lshlrev_b32_e32 v64, 24, v4
	v_ashrrev_i32_e32 v53, 31, v53
	v_xor_b32_e32 v68, s17, v68
	v_cmp_gt_i32_e64 s17, 0, v55
	v_xor_b32_e32 v52, s16, v52
	v_cmp_gt_i32_e64 s16, 0, v54
	v_not_b32_e32 v54, v55
	v_not_b32_e32 v55, v65
	v_lshlrev_b32_e32 v67, 25, v4
	v_and_b32_e32 v52, exec_lo, v52
	v_xor_b32_e32 v53, s16, v53
	v_ashrrev_i32_e32 v54, 31, v54
	v_cmp_gt_i32_e64 s16, 0, v65
	v_not_b32_e32 v65, v66
	v_and_b32_e32 v52, v52, v68
	v_ashrrev_i32_e32 v55, 31, v55
	v_xor_b32_e32 v54, s17, v54
	v_cmp_gt_i32_e64 s17, 0, v66
	v_ashrrev_i32_e32 v65, 31, v65
	v_and_b32_e32 v52, v52, v53
	v_xor_b32_e32 v55, s16, v55
	v_mov_b32_e32 v70, v24
	v_mov_b32_e32 v68, v84
	v_xor_b32_e32 v65, s17, v65
	v_and_b32_e32 v52, v52, v54
	v_not_b32_e32 v54, v64
	v_cmp_gt_i32_e64 s17, 0, v64
	s_delay_alu instid0(VALU_DEP_3) | instskip(NEXT) | instid1(VALU_DEP_3)
	v_dual_mov_b32 v69, v85 :: v_dual_and_b32 v52, v52, v55
	v_ashrrev_i32_e32 v54, 31, v54
	s_delay_alu instid0(VALU_DEP_2)
	v_dual_mov_b32 v65, v23 :: v_dual_and_b32 v52, v52, v65
	v_mov_b32_e32 v64, v22
	v_not_b32_e32 v53, v67
	v_cmp_gt_i32_e64 s16, 0, v67
	v_xor_b32_e32 v18, s17, v54
	v_dual_mov_b32 v54, v98 :: v_dual_mov_b32 v55, v99
	s_delay_alu instid0(VALU_DEP_4) | instskip(SKIP_1) | instid1(VALU_DEP_2)
	v_ashrrev_i32_e32 v53, 31, v53
	v_dual_mov_b32 v66, v86 :: v_dual_mov_b32 v67, v87
	v_xor_b32_e32 v53, s16, v53
	s_delay_alu instid0(VALU_DEP_1) | instskip(SKIP_1) | instid1(VALU_DEP_2)
	v_and_b32_e32 v19, v52, v53
	v_dual_mov_b32 v52, v96 :: v_dual_mov_b32 v53, v97
	v_and_b32_e32 v18, v19, v18
	v_lshlrev_b32_e32 v19, 3, v4
	s_delay_alu instid0(VALU_DEP_2) | instskip(NEXT) | instid1(VALU_DEP_2)
	v_mbcnt_lo_u32_b32 v4, v18, 0
	v_add_lshl_u32 v19, v19, v135, 2
	v_cmp_ne_u32_e64 s16, 0, v18
	s_delay_alu instid0(VALU_DEP_3) | instskip(NEXT) | instid1(VALU_DEP_3)
	v_cmp_eq_u32_e64 s17, 0, v4
	v_add_co_u32 v84, s18, v28, v19
	s_delay_alu instid0(VALU_DEP_1) | instskip(NEXT) | instid1(VALU_DEP_3)
	v_add_co_ci_u32_e64 v85, s18, 0, v39, s18
	s_and_b32 s17, s16, s17
	s_delay_alu instid0(SALU_CYCLE_1)
	s_and_saveexec_b32 s16, s17
	s_cbranch_execz .LBB1021_174
; %bb.173:                              ;   in Loop: Header=BB1021_172 Depth=1
	v_bcnt_u32_b32 v18, v18, 0
	flat_store_b32 v[84:85], v18
.LBB1021_174:                           ;   in Loop: Header=BB1021_172 Depth=1
	s_or_b32 exec_lo, exec_lo, s16
	v_lshrrev_b32_e32 v176, 16, v164
	; wave barrier
	s_delay_alu instid0(VALU_DEP_1) | instskip(NEXT) | instid1(VALU_DEP_1)
	v_lshrrev_b32_e32 v18, v10, v176
	v_and_b32_e32 v18, v18, v114
	s_delay_alu instid0(VALU_DEP_1) | instskip(SKIP_3) | instid1(VALU_DEP_4)
	v_lshlrev_b32_e32 v19, 3, v18
	v_lshlrev_b32_e32 v21, 30, v18
	;; [unrolled: 1-line block ×4, first 2 shown]
	v_add_lshl_u32 v19, v19, v135, 2
	s_delay_alu instid0(VALU_DEP_1) | instskip(NEXT) | instid1(VALU_DEP_1)
	v_add_co_u32 v86, s16, v28, v19
	v_add_co_ci_u32_e64 v87, s16, 0, v39, s16
	v_and_b32_e32 v19, 1, v18
	flat_load_b32 v116, v[86:87]
	v_add_co_u32 v19, s16, v19, -1
	s_delay_alu instid0(VALU_DEP_1) | instskip(NEXT) | instid1(VALU_DEP_1)
	v_cndmask_b32_e64 v20, 0, 1, s16
	; wave barrier
	v_cmp_ne_u32_e64 s16, 0, v20
	v_not_b32_e32 v20, v21
	s_delay_alu instid0(VALU_DEP_2) | instskip(SKIP_1) | instid1(VALU_DEP_3)
	v_xor_b32_e32 v19, s16, v19
	v_cmp_gt_i32_e64 s16, 0, v21
	v_ashrrev_i32_e32 v20, 31, v20
	v_not_b32_e32 v21, v22
	s_delay_alu instid0(VALU_DEP_4) | instskip(NEXT) | instid1(VALU_DEP_3)
	v_and_b32_e32 v19, exec_lo, v19
	v_xor_b32_e32 v20, s16, v20
	v_cmp_gt_i32_e64 s16, 0, v22
	s_delay_alu instid0(VALU_DEP_4) | instskip(SKIP_1) | instid1(VALU_DEP_4)
	v_ashrrev_i32_e32 v21, 31, v21
	v_not_b32_e32 v22, v23
	v_and_b32_e32 v19, v19, v20
	v_lshlrev_b32_e32 v20, 27, v18
	s_delay_alu instid0(VALU_DEP_4) | instskip(SKIP_2) | instid1(VALU_DEP_4)
	v_xor_b32_e32 v21, s16, v21
	v_cmp_gt_i32_e64 s16, 0, v23
	v_ashrrev_i32_e32 v22, 31, v22
	v_not_b32_e32 v23, v20
	s_delay_alu instid0(VALU_DEP_4) | instskip(SKIP_1) | instid1(VALU_DEP_4)
	v_and_b32_e32 v19, v19, v21
	v_lshlrev_b32_e32 v21, 26, v18
	v_xor_b32_e32 v22, s16, v22
	v_cmp_gt_i32_e64 s16, 0, v20
	v_ashrrev_i32_e32 v20, 31, v23
	s_delay_alu instid0(VALU_DEP_4) | instskip(NEXT) | instid1(VALU_DEP_4)
	v_not_b32_e32 v23, v21
	v_and_b32_e32 v19, v19, v22
	v_lshlrev_b32_e32 v22, 25, v18
	s_delay_alu instid0(VALU_DEP_4)
	v_xor_b32_e32 v20, s16, v20
	v_cmp_gt_i32_e64 s16, 0, v21
	v_ashrrev_i32_e32 v21, 31, v23
	v_lshlrev_b32_e32 v18, 24, v18
	v_not_b32_e32 v23, v22
	v_and_b32_e32 v19, v19, v20
	s_delay_alu instid0(VALU_DEP_4) | instskip(SKIP_1) | instid1(VALU_DEP_4)
	v_xor_b32_e32 v20, s16, v21
	v_cmp_gt_i32_e64 s16, 0, v22
	v_ashrrev_i32_e32 v21, 31, v23
	v_not_b32_e32 v22, v18
	s_delay_alu instid0(VALU_DEP_4) | instskip(NEXT) | instid1(VALU_DEP_3)
	v_and_b32_e32 v19, v19, v20
	v_xor_b32_e32 v20, s16, v21
	v_cmp_gt_i32_e64 s16, 0, v18
	s_delay_alu instid0(VALU_DEP_4) | instskip(NEXT) | instid1(VALU_DEP_3)
	v_ashrrev_i32_e32 v18, 31, v22
	v_and_b32_e32 v19, v19, v20
	s_delay_alu instid0(VALU_DEP_2) | instskip(NEXT) | instid1(VALU_DEP_1)
	v_xor_b32_e32 v18, s16, v18
	v_and_b32_e32 v18, v19, v18
	s_delay_alu instid0(VALU_DEP_1) | instskip(SKIP_1) | instid1(VALU_DEP_2)
	v_mbcnt_lo_u32_b32 v118, v18, 0
	v_cmp_ne_u32_e64 s17, 0, v18
	v_cmp_eq_u32_e64 s16, 0, v118
	s_delay_alu instid0(VALU_DEP_1) | instskip(NEXT) | instid1(SALU_CYCLE_1)
	s_and_b32 s17, s17, s16
	s_and_saveexec_b32 s16, s17
	s_cbranch_execz .LBB1021_176
; %bb.175:                              ;   in Loop: Header=BB1021_172 Depth=1
	s_waitcnt vmcnt(0) lgkmcnt(0)
	v_bcnt_u32_b32 v18, v18, v116
	flat_store_b32 v[86:87], v18
.LBB1021_176:                           ;   in Loop: Header=BB1021_172 Depth=1
	s_or_b32 exec_lo, exec_lo, s16
	v_and_b32_e32 v18, 0xffff, v167
	; wave barrier
	s_delay_alu instid0(VALU_DEP_1) | instskip(NEXT) | instid1(VALU_DEP_1)
	v_lshrrev_b32_e32 v18, v10, v18
	v_and_b32_e32 v18, v18, v114
	s_delay_alu instid0(VALU_DEP_1) | instskip(SKIP_3) | instid1(VALU_DEP_4)
	v_lshlrev_b32_e32 v19, 3, v18
	v_lshlrev_b32_e32 v21, 30, v18
	;; [unrolled: 1-line block ×4, first 2 shown]
	v_add_lshl_u32 v19, v19, v135, 2
	s_delay_alu instid0(VALU_DEP_1) | instskip(NEXT) | instid1(VALU_DEP_1)
	v_add_co_u32 v96, s16, v28, v19
	v_add_co_ci_u32_e64 v97, s16, 0, v39, s16
	v_and_b32_e32 v19, 1, v18
	flat_load_b32 v128, v[96:97]
	v_add_co_u32 v19, s16, v19, -1
	s_delay_alu instid0(VALU_DEP_1) | instskip(NEXT) | instid1(VALU_DEP_1)
	v_cndmask_b32_e64 v20, 0, 1, s16
	; wave barrier
	v_cmp_ne_u32_e64 s16, 0, v20
	v_not_b32_e32 v20, v21
	s_delay_alu instid0(VALU_DEP_2) | instskip(SKIP_1) | instid1(VALU_DEP_3)
	v_xor_b32_e32 v19, s16, v19
	v_cmp_gt_i32_e64 s16, 0, v21
	v_ashrrev_i32_e32 v20, 31, v20
	v_not_b32_e32 v21, v22
	s_delay_alu instid0(VALU_DEP_4) | instskip(NEXT) | instid1(VALU_DEP_3)
	v_and_b32_e32 v19, exec_lo, v19
	v_xor_b32_e32 v20, s16, v20
	v_cmp_gt_i32_e64 s16, 0, v22
	s_delay_alu instid0(VALU_DEP_4) | instskip(SKIP_1) | instid1(VALU_DEP_4)
	v_ashrrev_i32_e32 v21, 31, v21
	v_not_b32_e32 v22, v23
	v_and_b32_e32 v19, v19, v20
	v_lshlrev_b32_e32 v20, 27, v18
	s_delay_alu instid0(VALU_DEP_4) | instskip(SKIP_2) | instid1(VALU_DEP_4)
	v_xor_b32_e32 v21, s16, v21
	v_cmp_gt_i32_e64 s16, 0, v23
	v_ashrrev_i32_e32 v22, 31, v22
	v_not_b32_e32 v23, v20
	s_delay_alu instid0(VALU_DEP_4) | instskip(SKIP_1) | instid1(VALU_DEP_4)
	v_and_b32_e32 v19, v19, v21
	v_lshlrev_b32_e32 v21, 26, v18
	v_xor_b32_e32 v22, s16, v22
	v_cmp_gt_i32_e64 s16, 0, v20
	v_ashrrev_i32_e32 v20, 31, v23
	s_delay_alu instid0(VALU_DEP_4) | instskip(NEXT) | instid1(VALU_DEP_4)
	v_not_b32_e32 v23, v21
	v_and_b32_e32 v19, v19, v22
	v_lshlrev_b32_e32 v22, 25, v18
	s_delay_alu instid0(VALU_DEP_4)
	v_xor_b32_e32 v20, s16, v20
	v_cmp_gt_i32_e64 s16, 0, v21
	v_ashrrev_i32_e32 v21, 31, v23
	v_lshlrev_b32_e32 v18, 24, v18
	v_not_b32_e32 v23, v22
	v_and_b32_e32 v19, v19, v20
	s_delay_alu instid0(VALU_DEP_4) | instskip(SKIP_1) | instid1(VALU_DEP_4)
	v_xor_b32_e32 v20, s16, v21
	v_cmp_gt_i32_e64 s16, 0, v22
	v_ashrrev_i32_e32 v21, 31, v23
	v_not_b32_e32 v22, v18
	s_delay_alu instid0(VALU_DEP_4) | instskip(NEXT) | instid1(VALU_DEP_3)
	v_and_b32_e32 v19, v19, v20
	v_xor_b32_e32 v20, s16, v21
	v_cmp_gt_i32_e64 s16, 0, v18
	s_delay_alu instid0(VALU_DEP_4) | instskip(NEXT) | instid1(VALU_DEP_3)
	v_ashrrev_i32_e32 v18, 31, v22
	v_and_b32_e32 v19, v19, v20
	s_delay_alu instid0(VALU_DEP_2) | instskip(NEXT) | instid1(VALU_DEP_1)
	v_xor_b32_e32 v18, s16, v18
	v_and_b32_e32 v18, v19, v18
	s_delay_alu instid0(VALU_DEP_1) | instskip(SKIP_1) | instid1(VALU_DEP_2)
	v_mbcnt_lo_u32_b32 v130, v18, 0
	v_cmp_ne_u32_e64 s17, 0, v18
	v_cmp_eq_u32_e64 s16, 0, v130
	s_delay_alu instid0(VALU_DEP_1) | instskip(NEXT) | instid1(SALU_CYCLE_1)
	s_and_b32 s17, s17, s16
	s_and_saveexec_b32 s16, s17
	s_cbranch_execz .LBB1021_178
; %bb.177:                              ;   in Loop: Header=BB1021_172 Depth=1
	s_waitcnt vmcnt(0) lgkmcnt(0)
	v_bcnt_u32_b32 v18, v18, v128
	flat_store_b32 v[96:97], v18
.LBB1021_178:                           ;   in Loop: Header=BB1021_172 Depth=1
	s_or_b32 exec_lo, exec_lo, s16
	v_lshrrev_b32_e32 v177, 16, v167
	; wave barrier
	s_delay_alu instid0(VALU_DEP_1) | instskip(NEXT) | instid1(VALU_DEP_1)
	v_lshrrev_b32_e32 v18, v10, v177
	v_and_b32_e32 v18, v18, v114
	s_delay_alu instid0(VALU_DEP_1) | instskip(SKIP_3) | instid1(VALU_DEP_4)
	v_lshlrev_b32_e32 v19, 3, v18
	v_lshlrev_b32_e32 v21, 30, v18
	;; [unrolled: 1-line block ×4, first 2 shown]
	v_add_lshl_u32 v19, v19, v135, 2
	s_delay_alu instid0(VALU_DEP_1) | instskip(NEXT) | instid1(VALU_DEP_1)
	v_add_co_u32 v98, s16, v28, v19
	v_add_co_ci_u32_e64 v99, s16, 0, v39, s16
	v_and_b32_e32 v19, 1, v18
	flat_load_b32 v131, v[98:99]
	v_add_co_u32 v19, s16, v19, -1
	s_delay_alu instid0(VALU_DEP_1) | instskip(NEXT) | instid1(VALU_DEP_1)
	v_cndmask_b32_e64 v20, 0, 1, s16
	; wave barrier
	v_cmp_ne_u32_e64 s16, 0, v20
	v_not_b32_e32 v20, v21
	s_delay_alu instid0(VALU_DEP_2) | instskip(SKIP_1) | instid1(VALU_DEP_3)
	v_xor_b32_e32 v19, s16, v19
	v_cmp_gt_i32_e64 s16, 0, v21
	v_ashrrev_i32_e32 v20, 31, v20
	v_not_b32_e32 v21, v22
	s_delay_alu instid0(VALU_DEP_4) | instskip(NEXT) | instid1(VALU_DEP_3)
	v_and_b32_e32 v19, exec_lo, v19
	v_xor_b32_e32 v20, s16, v20
	v_cmp_gt_i32_e64 s16, 0, v22
	s_delay_alu instid0(VALU_DEP_4) | instskip(SKIP_1) | instid1(VALU_DEP_4)
	v_ashrrev_i32_e32 v21, 31, v21
	v_not_b32_e32 v22, v23
	v_and_b32_e32 v19, v19, v20
	v_lshlrev_b32_e32 v20, 27, v18
	s_delay_alu instid0(VALU_DEP_4) | instskip(SKIP_2) | instid1(VALU_DEP_4)
	v_xor_b32_e32 v21, s16, v21
	v_cmp_gt_i32_e64 s16, 0, v23
	v_ashrrev_i32_e32 v22, 31, v22
	v_not_b32_e32 v23, v20
	s_delay_alu instid0(VALU_DEP_4) | instskip(SKIP_1) | instid1(VALU_DEP_4)
	v_and_b32_e32 v19, v19, v21
	v_lshlrev_b32_e32 v21, 26, v18
	v_xor_b32_e32 v22, s16, v22
	v_cmp_gt_i32_e64 s16, 0, v20
	v_ashrrev_i32_e32 v20, 31, v23
	s_delay_alu instid0(VALU_DEP_4) | instskip(NEXT) | instid1(VALU_DEP_4)
	v_not_b32_e32 v23, v21
	v_and_b32_e32 v19, v19, v22
	v_lshlrev_b32_e32 v22, 25, v18
	s_delay_alu instid0(VALU_DEP_4)
	v_xor_b32_e32 v20, s16, v20
	v_cmp_gt_i32_e64 s16, 0, v21
	v_ashrrev_i32_e32 v21, 31, v23
	v_lshlrev_b32_e32 v18, 24, v18
	v_not_b32_e32 v23, v22
	v_and_b32_e32 v19, v19, v20
	s_delay_alu instid0(VALU_DEP_4) | instskip(SKIP_1) | instid1(VALU_DEP_4)
	v_xor_b32_e32 v20, s16, v21
	v_cmp_gt_i32_e64 s16, 0, v22
	v_ashrrev_i32_e32 v21, 31, v23
	v_not_b32_e32 v22, v18
	s_delay_alu instid0(VALU_DEP_4) | instskip(NEXT) | instid1(VALU_DEP_3)
	v_and_b32_e32 v19, v19, v20
	v_xor_b32_e32 v20, s16, v21
	v_cmp_gt_i32_e64 s16, 0, v18
	s_delay_alu instid0(VALU_DEP_4) | instskip(NEXT) | instid1(VALU_DEP_3)
	v_ashrrev_i32_e32 v18, 31, v22
	v_and_b32_e32 v19, v19, v20
	s_delay_alu instid0(VALU_DEP_2) | instskip(NEXT) | instid1(VALU_DEP_1)
	v_xor_b32_e32 v18, s16, v18
	v_and_b32_e32 v18, v19, v18
	s_delay_alu instid0(VALU_DEP_1) | instskip(SKIP_1) | instid1(VALU_DEP_2)
	v_mbcnt_lo_u32_b32 v132, v18, 0
	v_cmp_ne_u32_e64 s17, 0, v18
	v_cmp_eq_u32_e64 s16, 0, v132
	s_delay_alu instid0(VALU_DEP_1) | instskip(NEXT) | instid1(SALU_CYCLE_1)
	s_and_b32 s17, s17, s16
	s_and_saveexec_b32 s16, s17
	s_cbranch_execz .LBB1021_180
; %bb.179:                              ;   in Loop: Header=BB1021_172 Depth=1
	s_waitcnt vmcnt(0) lgkmcnt(0)
	v_bcnt_u32_b32 v18, v18, v131
	flat_store_b32 v[98:99], v18
.LBB1021_180:                           ;   in Loop: Header=BB1021_172 Depth=1
	s_or_b32 exec_lo, exec_lo, s16
	v_and_b32_e32 v18, 0xffff, v166
	; wave barrier
	s_delay_alu instid0(VALU_DEP_1) | instskip(NEXT) | instid1(VALU_DEP_1)
	v_lshrrev_b32_e32 v18, v10, v18
	v_and_b32_e32 v18, v18, v114
	s_delay_alu instid0(VALU_DEP_1) | instskip(SKIP_3) | instid1(VALU_DEP_4)
	v_lshlrev_b32_e32 v19, 3, v18
	v_lshlrev_b32_e32 v21, 30, v18
	;; [unrolled: 1-line block ×4, first 2 shown]
	v_add_lshl_u32 v19, v19, v135, 2
	s_delay_alu instid0(VALU_DEP_1) | instskip(NEXT) | instid1(VALU_DEP_1)
	v_add_co_u32 v100, s16, v28, v19
	v_add_co_ci_u32_e64 v101, s16, 0, v39, s16
	v_and_b32_e32 v19, 1, v18
	flat_load_b32 v133, v[100:101]
	v_add_co_u32 v19, s16, v19, -1
	s_delay_alu instid0(VALU_DEP_1) | instskip(NEXT) | instid1(VALU_DEP_1)
	v_cndmask_b32_e64 v20, 0, 1, s16
	; wave barrier
	v_cmp_ne_u32_e64 s16, 0, v20
	v_not_b32_e32 v20, v21
	s_delay_alu instid0(VALU_DEP_2) | instskip(SKIP_1) | instid1(VALU_DEP_3)
	v_xor_b32_e32 v19, s16, v19
	v_cmp_gt_i32_e64 s16, 0, v21
	v_ashrrev_i32_e32 v20, 31, v20
	v_not_b32_e32 v21, v22
	s_delay_alu instid0(VALU_DEP_4) | instskip(NEXT) | instid1(VALU_DEP_3)
	v_and_b32_e32 v19, exec_lo, v19
	v_xor_b32_e32 v20, s16, v20
	v_cmp_gt_i32_e64 s16, 0, v22
	s_delay_alu instid0(VALU_DEP_4) | instskip(SKIP_1) | instid1(VALU_DEP_4)
	v_ashrrev_i32_e32 v21, 31, v21
	v_not_b32_e32 v22, v23
	v_and_b32_e32 v19, v19, v20
	v_lshlrev_b32_e32 v20, 27, v18
	s_delay_alu instid0(VALU_DEP_4) | instskip(SKIP_2) | instid1(VALU_DEP_4)
	v_xor_b32_e32 v21, s16, v21
	v_cmp_gt_i32_e64 s16, 0, v23
	v_ashrrev_i32_e32 v22, 31, v22
	v_not_b32_e32 v23, v20
	s_delay_alu instid0(VALU_DEP_4) | instskip(SKIP_1) | instid1(VALU_DEP_4)
	v_and_b32_e32 v19, v19, v21
	v_lshlrev_b32_e32 v21, 26, v18
	v_xor_b32_e32 v22, s16, v22
	v_cmp_gt_i32_e64 s16, 0, v20
	v_ashrrev_i32_e32 v20, 31, v23
	s_delay_alu instid0(VALU_DEP_4) | instskip(NEXT) | instid1(VALU_DEP_4)
	v_not_b32_e32 v23, v21
	v_and_b32_e32 v19, v19, v22
	v_lshlrev_b32_e32 v22, 25, v18
	s_delay_alu instid0(VALU_DEP_4)
	v_xor_b32_e32 v20, s16, v20
	v_cmp_gt_i32_e64 s16, 0, v21
	v_ashrrev_i32_e32 v21, 31, v23
	v_lshlrev_b32_e32 v18, 24, v18
	v_not_b32_e32 v23, v22
	v_and_b32_e32 v19, v19, v20
	s_delay_alu instid0(VALU_DEP_4) | instskip(SKIP_1) | instid1(VALU_DEP_4)
	v_xor_b32_e32 v20, s16, v21
	v_cmp_gt_i32_e64 s16, 0, v22
	v_ashrrev_i32_e32 v21, 31, v23
	v_not_b32_e32 v22, v18
	s_delay_alu instid0(VALU_DEP_4) | instskip(NEXT) | instid1(VALU_DEP_3)
	v_and_b32_e32 v19, v19, v20
	v_xor_b32_e32 v20, s16, v21
	v_cmp_gt_i32_e64 s16, 0, v18
	s_delay_alu instid0(VALU_DEP_4) | instskip(NEXT) | instid1(VALU_DEP_3)
	v_ashrrev_i32_e32 v18, 31, v22
	v_and_b32_e32 v19, v19, v20
	s_delay_alu instid0(VALU_DEP_2) | instskip(NEXT) | instid1(VALU_DEP_1)
	v_xor_b32_e32 v18, s16, v18
	v_and_b32_e32 v18, v19, v18
	s_delay_alu instid0(VALU_DEP_1) | instskip(SKIP_1) | instid1(VALU_DEP_2)
	v_mbcnt_lo_u32_b32 v134, v18, 0
	v_cmp_ne_u32_e64 s17, 0, v18
	v_cmp_eq_u32_e64 s16, 0, v134
	s_delay_alu instid0(VALU_DEP_1) | instskip(NEXT) | instid1(SALU_CYCLE_1)
	s_and_b32 s17, s17, s16
	s_and_saveexec_b32 s16, s17
	s_cbranch_execz .LBB1021_182
; %bb.181:                              ;   in Loop: Header=BB1021_172 Depth=1
	s_waitcnt vmcnt(0) lgkmcnt(0)
	v_bcnt_u32_b32 v18, v18, v133
	flat_store_b32 v[100:101], v18
.LBB1021_182:                           ;   in Loop: Header=BB1021_172 Depth=1
	s_or_b32 exec_lo, exec_lo, s16
	v_lshrrev_b32_e32 v178, 16, v166
	; wave barrier
	s_delay_alu instid0(VALU_DEP_1) | instskip(NEXT) | instid1(VALU_DEP_1)
	v_lshrrev_b32_e32 v18, v10, v178
	v_and_b32_e32 v18, v18, v114
	s_delay_alu instid0(VALU_DEP_1) | instskip(SKIP_3) | instid1(VALU_DEP_4)
	v_lshlrev_b32_e32 v19, 3, v18
	v_lshlrev_b32_e32 v21, 30, v18
	;; [unrolled: 1-line block ×4, first 2 shown]
	v_add_lshl_u32 v19, v19, v135, 2
	s_delay_alu instid0(VALU_DEP_1) | instskip(NEXT) | instid1(VALU_DEP_1)
	v_add_co_u32 v102, s16, v28, v19
	v_add_co_ci_u32_e64 v103, s16, 0, v39, s16
	v_and_b32_e32 v19, 1, v18
	flat_load_b32 v144, v[102:103]
	v_add_co_u32 v19, s16, v19, -1
	s_delay_alu instid0(VALU_DEP_1) | instskip(NEXT) | instid1(VALU_DEP_1)
	v_cndmask_b32_e64 v20, 0, 1, s16
	; wave barrier
	v_cmp_ne_u32_e64 s16, 0, v20
	v_not_b32_e32 v20, v21
	s_delay_alu instid0(VALU_DEP_2) | instskip(SKIP_1) | instid1(VALU_DEP_3)
	v_xor_b32_e32 v19, s16, v19
	v_cmp_gt_i32_e64 s16, 0, v21
	v_ashrrev_i32_e32 v20, 31, v20
	v_not_b32_e32 v21, v22
	s_delay_alu instid0(VALU_DEP_4) | instskip(NEXT) | instid1(VALU_DEP_3)
	v_and_b32_e32 v19, exec_lo, v19
	v_xor_b32_e32 v20, s16, v20
	v_cmp_gt_i32_e64 s16, 0, v22
	s_delay_alu instid0(VALU_DEP_4) | instskip(SKIP_1) | instid1(VALU_DEP_4)
	v_ashrrev_i32_e32 v21, 31, v21
	v_not_b32_e32 v22, v23
	v_and_b32_e32 v19, v19, v20
	v_lshlrev_b32_e32 v20, 27, v18
	s_delay_alu instid0(VALU_DEP_4) | instskip(SKIP_2) | instid1(VALU_DEP_4)
	v_xor_b32_e32 v21, s16, v21
	v_cmp_gt_i32_e64 s16, 0, v23
	v_ashrrev_i32_e32 v22, 31, v22
	v_not_b32_e32 v23, v20
	s_delay_alu instid0(VALU_DEP_4) | instskip(SKIP_1) | instid1(VALU_DEP_4)
	v_and_b32_e32 v19, v19, v21
	v_lshlrev_b32_e32 v21, 26, v18
	v_xor_b32_e32 v22, s16, v22
	v_cmp_gt_i32_e64 s16, 0, v20
	v_ashrrev_i32_e32 v20, 31, v23
	s_delay_alu instid0(VALU_DEP_4) | instskip(NEXT) | instid1(VALU_DEP_4)
	v_not_b32_e32 v23, v21
	v_and_b32_e32 v19, v19, v22
	v_lshlrev_b32_e32 v22, 25, v18
	s_delay_alu instid0(VALU_DEP_4)
	v_xor_b32_e32 v20, s16, v20
	v_cmp_gt_i32_e64 s16, 0, v21
	v_ashrrev_i32_e32 v21, 31, v23
	v_lshlrev_b32_e32 v18, 24, v18
	v_not_b32_e32 v23, v22
	v_and_b32_e32 v19, v19, v20
	s_delay_alu instid0(VALU_DEP_4) | instskip(SKIP_1) | instid1(VALU_DEP_4)
	v_xor_b32_e32 v20, s16, v21
	v_cmp_gt_i32_e64 s16, 0, v22
	v_ashrrev_i32_e32 v21, 31, v23
	v_not_b32_e32 v22, v18
	s_delay_alu instid0(VALU_DEP_4) | instskip(NEXT) | instid1(VALU_DEP_3)
	v_and_b32_e32 v19, v19, v20
	v_xor_b32_e32 v20, s16, v21
	v_cmp_gt_i32_e64 s16, 0, v18
	s_delay_alu instid0(VALU_DEP_4) | instskip(NEXT) | instid1(VALU_DEP_3)
	v_ashrrev_i32_e32 v18, 31, v22
	v_and_b32_e32 v19, v19, v20
	s_delay_alu instid0(VALU_DEP_2) | instskip(NEXT) | instid1(VALU_DEP_1)
	v_xor_b32_e32 v18, s16, v18
	v_and_b32_e32 v18, v19, v18
	s_delay_alu instid0(VALU_DEP_1) | instskip(SKIP_1) | instid1(VALU_DEP_2)
	v_mbcnt_lo_u32_b32 v145, v18, 0
	v_cmp_ne_u32_e64 s17, 0, v18
	v_cmp_eq_u32_e64 s16, 0, v145
	s_delay_alu instid0(VALU_DEP_1) | instskip(NEXT) | instid1(SALU_CYCLE_1)
	s_and_b32 s17, s17, s16
	s_and_saveexec_b32 s16, s17
	s_cbranch_execz .LBB1021_184
; %bb.183:                              ;   in Loop: Header=BB1021_172 Depth=1
	s_waitcnt vmcnt(0) lgkmcnt(0)
	v_bcnt_u32_b32 v18, v18, v144
	flat_store_b32 v[102:103], v18
.LBB1021_184:                           ;   in Loop: Header=BB1021_172 Depth=1
	s_or_b32 exec_lo, exec_lo, s16
	v_and_b32_e32 v18, 0xffff, v165
	; wave barrier
	s_delay_alu instid0(VALU_DEP_1) | instskip(NEXT) | instid1(VALU_DEP_1)
	v_lshrrev_b32_e32 v18, v10, v18
	v_and_b32_e32 v18, v18, v114
	s_delay_alu instid0(VALU_DEP_1) | instskip(SKIP_3) | instid1(VALU_DEP_4)
	v_lshlrev_b32_e32 v19, 3, v18
	v_lshlrev_b32_e32 v21, 30, v18
	;; [unrolled: 1-line block ×4, first 2 shown]
	v_add_lshl_u32 v19, v19, v135, 2
	s_delay_alu instid0(VALU_DEP_1) | instskip(NEXT) | instid1(VALU_DEP_1)
	v_add_co_u32 v112, s16, v28, v19
	v_add_co_ci_u32_e64 v113, s16, 0, v39, s16
	v_and_b32_e32 v19, 1, v18
	flat_load_b32 v146, v[112:113]
	v_add_co_u32 v19, s16, v19, -1
	s_delay_alu instid0(VALU_DEP_1) | instskip(NEXT) | instid1(VALU_DEP_1)
	v_cndmask_b32_e64 v20, 0, 1, s16
	; wave barrier
	v_cmp_ne_u32_e64 s16, 0, v20
	v_not_b32_e32 v20, v21
	s_delay_alu instid0(VALU_DEP_2) | instskip(SKIP_1) | instid1(VALU_DEP_3)
	v_xor_b32_e32 v19, s16, v19
	v_cmp_gt_i32_e64 s16, 0, v21
	v_ashrrev_i32_e32 v20, 31, v20
	v_not_b32_e32 v21, v22
	s_delay_alu instid0(VALU_DEP_4) | instskip(NEXT) | instid1(VALU_DEP_3)
	v_and_b32_e32 v19, exec_lo, v19
	v_xor_b32_e32 v20, s16, v20
	v_cmp_gt_i32_e64 s16, 0, v22
	s_delay_alu instid0(VALU_DEP_4) | instskip(SKIP_1) | instid1(VALU_DEP_4)
	v_ashrrev_i32_e32 v21, 31, v21
	v_not_b32_e32 v22, v23
	v_and_b32_e32 v19, v19, v20
	v_lshlrev_b32_e32 v20, 27, v18
	s_delay_alu instid0(VALU_DEP_4) | instskip(SKIP_2) | instid1(VALU_DEP_4)
	v_xor_b32_e32 v21, s16, v21
	v_cmp_gt_i32_e64 s16, 0, v23
	v_ashrrev_i32_e32 v22, 31, v22
	v_not_b32_e32 v23, v20
	s_delay_alu instid0(VALU_DEP_4) | instskip(SKIP_1) | instid1(VALU_DEP_4)
	v_and_b32_e32 v19, v19, v21
	v_lshlrev_b32_e32 v21, 26, v18
	v_xor_b32_e32 v22, s16, v22
	v_cmp_gt_i32_e64 s16, 0, v20
	v_ashrrev_i32_e32 v20, 31, v23
	s_delay_alu instid0(VALU_DEP_4) | instskip(NEXT) | instid1(VALU_DEP_4)
	v_not_b32_e32 v23, v21
	v_and_b32_e32 v19, v19, v22
	v_lshlrev_b32_e32 v22, 25, v18
	s_delay_alu instid0(VALU_DEP_4)
	v_xor_b32_e32 v20, s16, v20
	v_cmp_gt_i32_e64 s16, 0, v21
	v_ashrrev_i32_e32 v21, 31, v23
	v_lshlrev_b32_e32 v18, 24, v18
	v_not_b32_e32 v23, v22
	v_and_b32_e32 v19, v19, v20
	s_delay_alu instid0(VALU_DEP_4) | instskip(SKIP_1) | instid1(VALU_DEP_4)
	v_xor_b32_e32 v20, s16, v21
	v_cmp_gt_i32_e64 s16, 0, v22
	v_ashrrev_i32_e32 v21, 31, v23
	v_not_b32_e32 v22, v18
	s_delay_alu instid0(VALU_DEP_4) | instskip(NEXT) | instid1(VALU_DEP_3)
	v_and_b32_e32 v19, v19, v20
	v_xor_b32_e32 v20, s16, v21
	v_cmp_gt_i32_e64 s16, 0, v18
	s_delay_alu instid0(VALU_DEP_4) | instskip(NEXT) | instid1(VALU_DEP_3)
	v_ashrrev_i32_e32 v18, 31, v22
	v_and_b32_e32 v19, v19, v20
	s_delay_alu instid0(VALU_DEP_2) | instskip(NEXT) | instid1(VALU_DEP_1)
	v_xor_b32_e32 v18, s16, v18
	v_and_b32_e32 v18, v19, v18
	s_delay_alu instid0(VALU_DEP_1) | instskip(SKIP_1) | instid1(VALU_DEP_2)
	v_mbcnt_lo_u32_b32 v147, v18, 0
	v_cmp_ne_u32_e64 s17, 0, v18
	v_cmp_eq_u32_e64 s16, 0, v147
	s_delay_alu instid0(VALU_DEP_1) | instskip(NEXT) | instid1(SALU_CYCLE_1)
	s_and_b32 s17, s17, s16
	s_and_saveexec_b32 s16, s17
	s_cbranch_execz .LBB1021_186
; %bb.185:                              ;   in Loop: Header=BB1021_172 Depth=1
	s_waitcnt vmcnt(0) lgkmcnt(0)
	v_bcnt_u32_b32 v18, v18, v146
	flat_store_b32 v[112:113], v18
.LBB1021_186:                           ;   in Loop: Header=BB1021_172 Depth=1
	s_or_b32 exec_lo, exec_lo, s16
	v_lshrrev_b32_e32 v179, 16, v165
	; wave barrier
	s_delay_alu instid0(VALU_DEP_1) | instskip(NEXT) | instid1(VALU_DEP_1)
	v_lshrrev_b32_e32 v18, v10, v179
	v_and_b32_e32 v18, v18, v114
	s_delay_alu instid0(VALU_DEP_1) | instskip(SKIP_3) | instid1(VALU_DEP_4)
	v_lshlrev_b32_e32 v19, 3, v18
	v_lshlrev_b32_e32 v21, 30, v18
	;; [unrolled: 1-line block ×4, first 2 shown]
	v_add_lshl_u32 v19, v19, v135, 2
	s_delay_alu instid0(VALU_DEP_1) | instskip(NEXT) | instid1(VALU_DEP_1)
	v_add_co_u32 v114, s16, v28, v19
	v_add_co_ci_u32_e64 v115, s16, 0, v39, s16
	v_and_b32_e32 v19, 1, v18
	flat_load_b32 v148, v[114:115]
	v_add_co_u32 v19, s16, v19, -1
	s_delay_alu instid0(VALU_DEP_1) | instskip(NEXT) | instid1(VALU_DEP_1)
	v_cndmask_b32_e64 v20, 0, 1, s16
	; wave barrier
	v_cmp_ne_u32_e64 s16, 0, v20
	v_not_b32_e32 v20, v21
	s_delay_alu instid0(VALU_DEP_2) | instskip(SKIP_1) | instid1(VALU_DEP_3)
	v_xor_b32_e32 v19, s16, v19
	v_cmp_gt_i32_e64 s16, 0, v21
	v_ashrrev_i32_e32 v20, 31, v20
	v_not_b32_e32 v21, v22
	s_delay_alu instid0(VALU_DEP_4) | instskip(NEXT) | instid1(VALU_DEP_3)
	v_and_b32_e32 v19, exec_lo, v19
	v_xor_b32_e32 v20, s16, v20
	v_cmp_gt_i32_e64 s16, 0, v22
	s_delay_alu instid0(VALU_DEP_4) | instskip(SKIP_1) | instid1(VALU_DEP_4)
	v_ashrrev_i32_e32 v21, 31, v21
	v_not_b32_e32 v22, v23
	v_and_b32_e32 v19, v19, v20
	v_lshlrev_b32_e32 v20, 27, v18
	s_delay_alu instid0(VALU_DEP_4) | instskip(SKIP_2) | instid1(VALU_DEP_4)
	v_xor_b32_e32 v21, s16, v21
	v_cmp_gt_i32_e64 s16, 0, v23
	v_ashrrev_i32_e32 v22, 31, v22
	v_not_b32_e32 v23, v20
	s_delay_alu instid0(VALU_DEP_4) | instskip(SKIP_1) | instid1(VALU_DEP_4)
	v_and_b32_e32 v19, v19, v21
	v_lshlrev_b32_e32 v21, 26, v18
	v_xor_b32_e32 v22, s16, v22
	v_cmp_gt_i32_e64 s16, 0, v20
	v_ashrrev_i32_e32 v20, 31, v23
	s_delay_alu instid0(VALU_DEP_4) | instskip(NEXT) | instid1(VALU_DEP_4)
	v_not_b32_e32 v23, v21
	v_and_b32_e32 v19, v19, v22
	v_lshlrev_b32_e32 v22, 25, v18
	s_delay_alu instid0(VALU_DEP_4)
	v_xor_b32_e32 v20, s16, v20
	v_cmp_gt_i32_e64 s16, 0, v21
	v_ashrrev_i32_e32 v21, 31, v23
	v_lshlrev_b32_e32 v18, 24, v18
	v_not_b32_e32 v23, v22
	v_and_b32_e32 v19, v19, v20
	s_delay_alu instid0(VALU_DEP_4) | instskip(SKIP_1) | instid1(VALU_DEP_4)
	v_xor_b32_e32 v20, s16, v21
	v_cmp_gt_i32_e64 s16, 0, v22
	v_ashrrev_i32_e32 v21, 31, v23
	v_not_b32_e32 v22, v18
	s_delay_alu instid0(VALU_DEP_4) | instskip(NEXT) | instid1(VALU_DEP_3)
	v_and_b32_e32 v19, v19, v20
	v_xor_b32_e32 v20, s16, v21
	v_cmp_gt_i32_e64 s16, 0, v18
	s_delay_alu instid0(VALU_DEP_4) | instskip(NEXT) | instid1(VALU_DEP_3)
	v_ashrrev_i32_e32 v18, 31, v22
	v_and_b32_e32 v19, v19, v20
	s_delay_alu instid0(VALU_DEP_2) | instskip(NEXT) | instid1(VALU_DEP_1)
	v_xor_b32_e32 v18, s16, v18
	v_and_b32_e32 v18, v19, v18
	s_delay_alu instid0(VALU_DEP_1) | instskip(SKIP_1) | instid1(VALU_DEP_2)
	v_mbcnt_lo_u32_b32 v149, v18, 0
	v_cmp_ne_u32_e64 s17, 0, v18
	v_cmp_eq_u32_e64 s16, 0, v149
	s_delay_alu instid0(VALU_DEP_1) | instskip(NEXT) | instid1(SALU_CYCLE_1)
	s_and_b32 s17, s17, s16
	s_and_saveexec_b32 s16, s17
	s_cbranch_execz .LBB1021_188
; %bb.187:                              ;   in Loop: Header=BB1021_172 Depth=1
	s_waitcnt vmcnt(0) lgkmcnt(0)
	v_bcnt_u32_b32 v18, v18, v148
	flat_store_b32 v[114:115], v18
.LBB1021_188:                           ;   in Loop: Header=BB1021_172 Depth=1
	s_or_b32 exec_lo, exec_lo, s16
	; wave barrier
	s_waitcnt vmcnt(0) lgkmcnt(0)
	s_waitcnt_vscnt null, 0x0
	s_barrier
	buffer_gl0_inv
	s_clause 0x1
	flat_load_b128 v[22:25], v[8:9] offset:32
	flat_load_b128 v[18:21], v[31:32] offset:16
	s_waitcnt vmcnt(1) lgkmcnt(1)
	v_add_nc_u32_e32 v117, v23, v22
	s_delay_alu instid0(VALU_DEP_1) | instskip(SKIP_1) | instid1(VALU_DEP_1)
	v_add3_u32 v117, v117, v24, v25
	s_waitcnt vmcnt(0) lgkmcnt(0)
	v_add3_u32 v117, v117, v18, v19
	s_delay_alu instid0(VALU_DEP_1) | instskip(NEXT) | instid1(VALU_DEP_1)
	v_add3_u32 v21, v117, v20, v21
	v_mov_b32_dpp v117, v21 row_shr:1 row_mask:0xf bank_mask:0xf
	s_delay_alu instid0(VALU_DEP_1) | instskip(NEXT) | instid1(VALU_DEP_1)
	v_cndmask_b32_e64 v117, v117, 0, vcc_lo
	v_add_nc_u32_e32 v21, v117, v21
	s_delay_alu instid0(VALU_DEP_1) | instskip(NEXT) | instid1(VALU_DEP_1)
	v_mov_b32_dpp v117, v21 row_shr:2 row_mask:0xf bank_mask:0xf
	v_cndmask_b32_e64 v117, 0, v117, s0
	s_delay_alu instid0(VALU_DEP_1) | instskip(NEXT) | instid1(VALU_DEP_1)
	v_add_nc_u32_e32 v21, v21, v117
	v_mov_b32_dpp v117, v21 row_shr:4 row_mask:0xf bank_mask:0xf
	s_delay_alu instid0(VALU_DEP_1) | instskip(NEXT) | instid1(VALU_DEP_1)
	v_cndmask_b32_e64 v117, 0, v117, s1
	v_add_nc_u32_e32 v21, v21, v117
	s_delay_alu instid0(VALU_DEP_1) | instskip(NEXT) | instid1(VALU_DEP_1)
	v_mov_b32_dpp v117, v21 row_shr:8 row_mask:0xf bank_mask:0xf
	v_cndmask_b32_e64 v117, 0, v117, s2
	s_delay_alu instid0(VALU_DEP_1) | instskip(SKIP_3) | instid1(VALU_DEP_1)
	v_add_nc_u32_e32 v21, v21, v117
	ds_swizzle_b32 v117, v21 offset:swizzle(BROADCAST,32,15)
	s_waitcnt lgkmcnt(0)
	v_cndmask_b32_e64 v117, v117, 0, s3
	v_add_nc_u32_e32 v21, v21, v117
	s_and_saveexec_b32 s16, s4
	s_cbranch_execz .LBB1021_190
; %bb.189:                              ;   in Loop: Header=BB1021_172 Depth=1
	flat_store_b32 v[33:34], v21
.LBB1021_190:                           ;   in Loop: Header=BB1021_172 Depth=1
	s_or_b32 exec_lo, exec_lo, s16
	s_waitcnt lgkmcnt(0)
	s_waitcnt_vscnt null, 0x0
	s_barrier
	buffer_gl0_inv
	s_and_saveexec_b32 s16, s5
	s_cbranch_execz .LBB1021_192
; %bb.191:                              ;   in Loop: Header=BB1021_172 Depth=1
	flat_load_b32 v117, v[35:36]
	s_waitcnt vmcnt(0) lgkmcnt(0)
	v_mov_b32_dpp v119, v117 row_shr:1 row_mask:0xf bank_mask:0xf
	s_delay_alu instid0(VALU_DEP_1) | instskip(NEXT) | instid1(VALU_DEP_1)
	v_cndmask_b32_e64 v119, v119, 0, s11
	v_add_nc_u32_e32 v117, v119, v117
	s_delay_alu instid0(VALU_DEP_1) | instskip(NEXT) | instid1(VALU_DEP_1)
	v_mov_b32_dpp v119, v117 row_shr:2 row_mask:0xf bank_mask:0xf
	v_cndmask_b32_e64 v119, 0, v119, s14
	s_delay_alu instid0(VALU_DEP_1) | instskip(NEXT) | instid1(VALU_DEP_1)
	v_add_nc_u32_e32 v117, v117, v119
	v_mov_b32_dpp v119, v117 row_shr:4 row_mask:0xf bank_mask:0xf
	s_delay_alu instid0(VALU_DEP_1) | instskip(NEXT) | instid1(VALU_DEP_1)
	v_cndmask_b32_e64 v119, 0, v119, s15
	v_add_nc_u32_e32 v117, v117, v119
	flat_store_b32 v[35:36], v117
.LBB1021_192:                           ;   in Loop: Header=BB1021_172 Depth=1
	s_or_b32 exec_lo, exec_lo, s16
	v_mov_b32_e32 v117, 0
	s_waitcnt lgkmcnt(0)
	s_waitcnt_vscnt null, 0x0
	s_barrier
	buffer_gl0_inv
	s_and_saveexec_b32 s16, s6
	s_cbranch_execz .LBB1021_194
; %bb.193:                              ;   in Loop: Header=BB1021_172 Depth=1
	flat_load_b32 v117, v[48:49]
.LBB1021_194:                           ;   in Loop: Header=BB1021_172 Depth=1
	s_or_b32 exec_lo, exec_lo, s16
	s_waitcnt vmcnt(0) lgkmcnt(0)
	v_add_nc_u32_e32 v21, v117, v21
	v_dual_mov_b32 v129, v5 :: v_dual_add_nc_u32 v10, 8, v10
	v_mov_b32_e32 v119, v5
	s_mov_b32 s18, -1
	ds_bpermute_b32 v21, v162, v21
	s_waitcnt lgkmcnt(0)
	v_cndmask_b32_e64 v21, v21, v117, s7
	v_mov_b32_e32 v117, v5
	s_delay_alu instid0(VALU_DEP_2) | instskip(NEXT) | instid1(VALU_DEP_1)
	v_cndmask_b32_e64 v21, v21, 0, s10
	v_add_nc_u32_e32 v22, v21, v22
	s_delay_alu instid0(VALU_DEP_1) | instskip(NEXT) | instid1(VALU_DEP_1)
	v_add_nc_u32_e32 v23, v22, v23
	v_add_nc_u32_e32 v24, v23, v24
	s_delay_alu instid0(VALU_DEP_1) | instskip(NEXT) | instid1(VALU_DEP_1)
	v_add_nc_u32_e32 v180, v24, v25
	;; [unrolled: 3-line block ×3, first 2 shown]
	v_add_nc_u32_e32 v183, v182, v20
	s_clause 0x1
	flat_store_b128 v[8:9], v[21:24] offset:32
	flat_store_b128 v[31:32], v[180:183] offset:16
	s_waitcnt lgkmcnt(0)
	s_waitcnt_vscnt null, 0x0
	s_barrier
	buffer_gl0_inv
	s_clause 0x7
	flat_load_b32 v18, v[84:85]
	flat_load_b32 v19, v[86:87]
	;; [unrolled: 1-line block ×8, first 2 shown]
	v_mov_b32_e32 v101, v5
	v_mov_b32_e32 v115, v5
	;; [unrolled: 1-line block ×3, first 2 shown]
	v_dual_mov_b32 v103, v5 :: v_dual_mov_b32 v180, v164
	v_cmp_lt_u32_e64 s16, v10, v11
	s_waitcnt vmcnt(0) lgkmcnt(0)
	v_add_nc_u32_e32 v4, v18, v4
	v_add3_u32 v112, v118, v116, v19
	v_add3_u32 v100, v130, v128, v20
	;; [unrolled: 1-line block ×4, first 2 shown]
	v_lshlrev_b64 v[18:19], 1, v[4:5]
	v_lshlrev_b64 v[20:21], 1, v[112:113]
	v_add3_u32 v116, v145, v144, v23
	v_lshlrev_b64 v[22:23], 1, v[100:101]
	v_add3_u32 v128, v149, v148, v25
	v_add3_u32 v118, v147, v146, v24
	v_add_co_u32 v150, s17, v12, v18
	s_delay_alu instid0(VALU_DEP_1) | instskip(SKIP_2) | instid1(VALU_DEP_1)
	v_add_co_ci_u32_e64 v151, s17, v13, v19, s17
	v_lshlrev_b64 v[24:25], 1, v[102:103]
	v_add_co_u32 v160, s17, v12, v20
	v_add_co_ci_u32_e64 v161, s17, v13, v21, s17
	v_lshlrev_b64 v[84:85], 1, v[114:115]
	v_lshlrev_b64 v[98:99], 1, v[128:129]
	v_add_co_u32 v129, s17, v12, v22
	s_delay_alu instid0(VALU_DEP_1) | instskip(SKIP_2) | instid1(VALU_DEP_1)
	v_add_co_ci_u32_e64 v130, s17, v13, v23, s17
	v_lshlrev_b64 v[86:87], 1, v[116:117]
	v_add_co_u32 v131, s17, v12, v24
	v_add_co_ci_u32_e64 v132, s17, v13, v25, s17
	v_lshlrev_b64 v[96:97], 1, v[118:119]
	v_add_co_u32 v133, s17, v12, v84
	s_delay_alu instid0(VALU_DEP_1) | instskip(SKIP_1) | instid1(VALU_DEP_1)
	v_add_co_ci_u32_e64 v134, s17, v13, v85, s17
	v_add_co_u32 v144, s17, v12, v86
	v_add_co_ci_u32_e64 v145, s17, v13, v87, s17
	v_add_co_u32 v146, s17, v12, v96
	s_delay_alu instid0(VALU_DEP_1) | instskip(SKIP_1) | instid1(VALU_DEP_1)
	v_add_co_ci_u32_e64 v147, s17, v13, v97, s17
	v_add_co_u32 v148, s17, v12, v98
	v_add_co_ci_u32_e64 v149, s17, v13, v99, s17
                                        ; implicit-def: $vgpr113
                                        ; implicit-def: $vgpr103
                                        ; implicit-def: $vgpr101
                                        ; implicit-def: $vgpr18_vgpr19
                                        ; implicit-def: $vgpr20_vgpr21
                                        ; implicit-def: $vgpr22_vgpr23
                                        ; implicit-def: $vgpr24_vgpr25
                                        ; implicit-def: $vgpr84_vgpr85
                                        ; implicit-def: $vgpr86_vgpr87
                                        ; implicit-def: $vgpr96_vgpr97
                                        ; implicit-def: $vgpr98_vgpr99
	s_and_saveexec_b32 s17, s16
	s_cbranch_execz .LBB1021_171
; %bb.195:                              ;   in Loop: Header=BB1021_172 Depth=1
	s_barrier
	buffer_gl0_inv
	s_clause 0x7
	flat_store_b16 v[150:151], v164
	flat_store_b16 v[160:161], v176
	;; [unrolled: 1-line block ×8, first 2 shown]
	s_waitcnt lgkmcnt(0)
	s_waitcnt_vscnt null, 0x0
	s_barrier
	buffer_gl0_inv
	s_clause 0x3
	flat_load_u16 v164, v[37:38]
	flat_load_u16 v101, v[37:38] offset:128
	flat_load_u16 v103, v[37:38] offset:256
	;; [unrolled: 1-line block ×3, first 2 shown]
	v_mad_u64_u32 v[18:19], null, v4, 6, v[150:151]
	v_mad_u64_u32 v[20:21], null, v112, 6, v[160:161]
	;; [unrolled: 1-line block ×8, first 2 shown]
	v_add_nc_u32_e32 v163, -8, v163
	s_xor_b32 s18, exec_lo, -1
	s_waitcnt vmcnt(3) lgkmcnt(3)
	flat_load_d16_hi_b16 v164, v[37:38] offset:64
	s_waitcnt vmcnt(3) lgkmcnt(3)
	flat_load_d16_hi_b16 v101, v[37:38] offset:192
	;; [unrolled: 2-line block ×4, first 2 shown]
	s_waitcnt vmcnt(0) lgkmcnt(0)
	s_barrier
	buffer_gl0_inv
	s_clause 0x7
	flat_store_b64 v[18:19], v[82:83]
	flat_store_b64 v[20:21], v[80:81]
	;; [unrolled: 1-line block ×8, first 2 shown]
	s_waitcnt lgkmcnt(0)
	s_waitcnt_vscnt null, 0x0
	s_barrier
	buffer_gl0_inv
	s_clause 0x7
	flat_load_b64 v[18:19], v[50:51]
	flat_load_b64 v[20:21], v[50:51] offset:256
	flat_load_b64 v[22:23], v[50:51] offset:512
	;; [unrolled: 1-line block ×7, first 2 shown]
	s_waitcnt vmcnt(0) lgkmcnt(0)
	s_barrier
	buffer_gl0_inv
	s_branch .LBB1021_171
.LBB1021_196:
	flat_load_b64 v[166:167], v[4:5]
	s_or_b32 exec_lo, exec_lo, s19
                                        ; implicit-def: $vgpr178_vgpr179
	s_and_saveexec_b32 s19, s0
	s_cbranch_execz .LBB1021_36
.LBB1021_197:
	flat_load_b64 v[178:179], v[4:5] offset:256
	s_or_b32 exec_lo, exec_lo, s19
                                        ; implicit-def: $vgpr182_vgpr183
	s_and_saveexec_b32 s0, s1
	s_cbranch_execz .LBB1021_37
.LBB1021_198:
	flat_load_b64 v[182:183], v[4:5] offset:512
	s_or_b32 exec_lo, exec_lo, s0
                                        ; implicit-def: $vgpr194_vgpr195
	s_and_saveexec_b32 s0, s2
	s_cbranch_execz .LBB1021_38
.LBB1021_199:
	flat_load_b64 v[194:195], v[4:5] offset:768
	s_or_b32 exec_lo, exec_lo, s0
                                        ; implicit-def: $vgpr198_vgpr199
	s_and_saveexec_b32 s0, s3
	s_cbranch_execz .LBB1021_39
.LBB1021_200:
	flat_load_b64 v[198:199], v[4:5] offset:1024
	s_or_b32 exec_lo, exec_lo, s0
                                        ; implicit-def: $vgpr116_vgpr117
	s_and_saveexec_b32 s0, s4
	s_cbranch_execz .LBB1021_40
.LBB1021_201:
	flat_load_b64 v[116:117], v[4:5] offset:1280
	s_or_b32 exec_lo, exec_lo, s0
                                        ; implicit-def: $vgpr146_vgpr147
	s_and_saveexec_b32 s0, s5
	s_cbranch_execz .LBB1021_41
.LBB1021_202:
	flat_load_b64 v[146:147], v[4:5] offset:1536
	s_or_b32 exec_lo, exec_lo, s0
                                        ; implicit-def: $vgpr176_vgpr177
	s_and_saveexec_b32 s0, s6
	s_cbranch_execz .LBB1021_42
.LBB1021_203:
	flat_load_b64 v[176:177], v[4:5] offset:1792
	s_or_b32 exec_lo, exec_lo, s0
                                        ; implicit-def: $vgpr180_vgpr181
	s_and_saveexec_b32 s0, s7
	s_cbranch_execz .LBB1021_43
.LBB1021_204:
	flat_load_b64 v[180:181], v[4:5] offset:2048
	s_or_b32 exec_lo, exec_lo, s0
                                        ; implicit-def: $vgpr192_vgpr193
	s_and_saveexec_b32 s0, s10
	s_cbranch_execz .LBB1021_44
.LBB1021_205:
	flat_load_b64 v[192:193], v[4:5] offset:2304
	s_or_b32 exec_lo, exec_lo, s0
                                        ; implicit-def: $vgpr196_vgpr197
	s_and_saveexec_b32 s0, s11
	s_cbranch_execz .LBB1021_45
.LBB1021_206:
	flat_load_b64 v[196:197], v[4:5] offset:2560
	s_or_b32 exec_lo, exec_lo, s0
                                        ; implicit-def: $vgpr208_vgpr209
	s_and_saveexec_b32 s0, s14
	s_cbranch_execz .LBB1021_46
.LBB1021_207:
	flat_load_b64 v[208:209], v[4:5] offset:2816
	s_or_b32 exec_lo, exec_lo, s0
                                        ; implicit-def: $vgpr210_vgpr211
	s_and_saveexec_b32 s0, s15
	s_cbranch_execz .LBB1021_47
.LBB1021_208:
	flat_load_b64 v[210:211], v[4:5] offset:3072
	s_or_b32 exec_lo, exec_lo, s0
                                        ; implicit-def: $vgpr212_vgpr213
	s_and_saveexec_b32 s0, s16
	s_cbranch_execz .LBB1021_48
.LBB1021_209:
	flat_load_b64 v[212:213], v[4:5] offset:3328
	s_or_b32 exec_lo, exec_lo, s0
                                        ; implicit-def: $vgpr214_vgpr215
	s_and_saveexec_b32 s0, s17
	s_cbranch_execz .LBB1021_49
.LBB1021_210:
	flat_load_b64 v[214:215], v[4:5] offset:3584
	s_or_b32 exec_lo, exec_lo, s0
                                        ; implicit-def: $vgpr224_vgpr225
	s_and_saveexec_b32 s0, s18
	s_cbranch_execnz .LBB1021_50
	s_branch .LBB1021_51
.LBB1021_211:
	flat_store_b64 v[0:1], v[50:51]
	s_or_b32 exec_lo, exec_lo, s19
	s_and_saveexec_b32 s19, s3
	s_cbranch_execz .LBB1021_127
.LBB1021_212:
	flat_store_b64 v[0:1], v[48:49] offset:2048
	s_or_b32 exec_lo, exec_lo, s19
	s_and_saveexec_b32 s3, s10
	s_cbranch_execz .LBB1021_128
.LBB1021_213:
	v_add_co_u32 v2, vcc_lo, 0x1000, v0
	v_add_co_ci_u32_e32 v3, vcc_lo, 0, v1, vcc_lo
	flat_store_b64 v[2:3], v[37:38]
	s_or_b32 exec_lo, exec_lo, s3
	s_and_saveexec_b32 s3, s7
	s_cbranch_execz .LBB1021_129
.LBB1021_214:
	v_add_co_u32 v2, vcc_lo, 0x1000, v0
	v_add_co_ci_u32_e32 v3, vcc_lo, 0, v1, vcc_lo
	flat_store_b64 v[2:3], v[35:36] offset:2048
	s_or_b32 exec_lo, exec_lo, s3
	s_and_saveexec_b32 s3, s6
	s_cbranch_execz .LBB1021_130
.LBB1021_215:
	v_add_co_u32 v2, vcc_lo, 0x2000, v0
	v_add_co_ci_u32_e32 v3, vcc_lo, 0, v1, vcc_lo
	flat_store_b64 v[2:3], v[33:34]
	s_or_b32 exec_lo, exec_lo, s3
	s_and_saveexec_b32 s3, s4
	s_cbranch_execz .LBB1021_131
.LBB1021_216:
	v_add_co_u32 v2, vcc_lo, 0x2000, v0
	v_add_co_ci_u32_e32 v3, vcc_lo, 0, v1, vcc_lo
	flat_store_b64 v[2:3], v[31:32] offset:2048
	s_or_b32 exec_lo, exec_lo, s3
	s_and_saveexec_b32 s3, s2
	s_cbranch_execz .LBB1021_132
.LBB1021_217:
	v_add_co_u32 v2, vcc_lo, 0x3000, v0
	v_add_co_ci_u32_e32 v3, vcc_lo, 0, v1, vcc_lo
	flat_store_b64 v[2:3], v[22:23]
	s_or_b32 exec_lo, exec_lo, s3
	s_and_saveexec_b32 s2, s1
	s_cbranch_execz .LBB1021_133
.LBB1021_218:
	v_add_co_u32 v2, vcc_lo, 0x3000, v0
	v_add_co_ci_u32_e32 v3, vcc_lo, 0, v1, vcc_lo
	flat_store_b64 v[2:3], v[18:19] offset:2048
	s_or_b32 exec_lo, exec_lo, s2
	s_and_saveexec_b32 s1, s0
	s_cbranch_execz .LBB1021_134
.LBB1021_219:
	v_add_co_u32 v2, vcc_lo, 0x4000, v0
	v_add_co_ci_u32_e32 v3, vcc_lo, 0, v1, vcc_lo
	flat_store_b64 v[2:3], v[24:25]
	s_or_b32 exec_lo, exec_lo, s1
	s_and_saveexec_b32 s0, s5
	s_cbranch_execz .LBB1021_135
.LBB1021_220:
	v_add_co_u32 v2, vcc_lo, 0x4000, v0
	v_add_co_ci_u32_e32 v3, vcc_lo, 0, v1, vcc_lo
	flat_store_b64 v[2:3], v[20:21] offset:2048
	s_or_b32 exec_lo, exec_lo, s0
	s_and_saveexec_b32 s0, s11
	s_cbranch_execz .LBB1021_136
.LBB1021_221:
	v_add_co_u32 v2, vcc_lo, 0x5000, v0
	v_add_co_ci_u32_e32 v3, vcc_lo, 0, v1, vcc_lo
	flat_store_b64 v[2:3], v[16:17]
	s_or_b32 exec_lo, exec_lo, s0
	s_and_saveexec_b32 s0, s14
	s_cbranch_execz .LBB1021_137
.LBB1021_222:
	v_add_co_u32 v2, vcc_lo, 0x5000, v0
	v_add_co_ci_u32_e32 v3, vcc_lo, 0, v1, vcc_lo
	flat_store_b64 v[2:3], v[14:15] offset:2048
	s_or_b32 exec_lo, exec_lo, s0
	s_and_saveexec_b32 s0, s15
	s_cbranch_execz .LBB1021_138
.LBB1021_223:
	v_add_co_u32 v2, vcc_lo, 0x6000, v0
	v_add_co_ci_u32_e32 v3, vcc_lo, 0, v1, vcc_lo
	flat_store_b64 v[2:3], v[12:13]
	s_or_b32 exec_lo, exec_lo, s0
	s_and_saveexec_b32 s0, s16
	s_cbranch_execz .LBB1021_139
.LBB1021_224:
	v_add_co_u32 v2, vcc_lo, 0x6000, v0
	v_add_co_ci_u32_e32 v3, vcc_lo, 0, v1, vcc_lo
	flat_store_b64 v[2:3], v[10:11] offset:2048
	s_or_b32 exec_lo, exec_lo, s0
	s_and_saveexec_b32 s0, s17
	s_cbranch_execz .LBB1021_140
.LBB1021_225:
	v_add_co_u32 v2, vcc_lo, 0x7000, v0
	v_add_co_ci_u32_e32 v3, vcc_lo, 0, v1, vcc_lo
	flat_store_b64 v[2:3], v[8:9]
	s_or_b32 exec_lo, exec_lo, s0
	s_and_saveexec_b32 s0, s18
	s_cbranch_execnz .LBB1021_141
	s_branch .LBB1021_142
.LBB1021_226:
	s_or_b32 exec_lo, exec_lo, s20
	v_dual_mov_b32 v28, 0 :: v_dual_lshlrev_b32 v5, 1, v26
	v_mad_u64_u32 v[10:11], null, v4, 6, v[150:151]
	s_barrier
	s_delay_alu instid0(VALU_DEP_2)
	v_add_co_u32 v8, vcc_lo, v12, v5
	v_mad_u64_u32 v[4:5], null, v112, 6, v[160:161]
	v_add_co_ci_u32_e32 v9, vcc_lo, 0, v13, vcc_lo
	buffer_gl0_inv
	s_clause 0x7
	flat_store_b16 v[150:151], v180
	flat_store_b16 v[160:161], v176
	;; [unrolled: 1-line block ×8, first 2 shown]
	s_waitcnt lgkmcnt(0)
	s_waitcnt_vscnt null, 0x0
	s_barrier
	buffer_gl0_inv
	s_clause 0x7
	flat_load_u16 v34, v[8:9]
	flat_load_u16 v33, v[8:9] offset:512
	flat_load_u16 v32, v[8:9] offset:1024
	flat_load_u16 v31, v[8:9] offset:1536
	flat_load_u16 v25, v[8:9] offset:2048
	flat_load_u16 v24, v[8:9] offset:2560
	flat_load_u16 v23, v[8:9] offset:3072
	flat_load_u16 v22, v[8:9] offset:3584
	s_waitcnt vmcnt(0) lgkmcnt(0)
	s_barrier
	buffer_gl0_inv
	s_clause 0x1
	flat_store_b64 v[10:11], v[82:83]
	flat_store_b64 v[4:5], v[80:81]
	v_mad_u64_u32 v[4:5], null, v100, 6, v[129:130]
	v_mad_u64_u32 v[10:11], null, v102, 6, v[131:132]
	;; [unrolled: 1-line block ×4, first 2 shown]
	s_clause 0x3
	flat_store_b64 v[4:5], v[64:65]
	flat_store_b64 v[10:11], v[70:71]
	;; [unrolled: 1-line block ×4, first 2 shown]
	v_mad_u64_u32 v[4:5], null, v26, 6, v[8:9]
	v_lshl_or_b32 v10, v26, 3, 0x2000
	v_mad_u64_u32 v[18:19], null, v118, 6, v[146:147]
	v_mad_u64_u32 v[20:21], null, v128, 6, v[148:149]
	s_clause 0x1
	flat_store_b64 v[18:19], v[52:53]
	flat_store_b64 v[20:21], v[54:55]
	v_add_co_u32 v8, vcc_lo, 0x1000, v4
	v_add_co_ci_u32_e32 v9, vcc_lo, 0, v5, vcc_lo
	v_add_co_u32 v10, vcc_lo, v12, v10
	v_add_co_ci_u32_e32 v11, vcc_lo, 0, v13, vcc_lo
	;; [unrolled: 2-line block ×3, first 2 shown]
	v_add_co_u32 v37, vcc_lo, 0x3000, v4
	s_waitcnt lgkmcnt(0)
	s_waitcnt_vscnt null, 0x0
	s_barrier
	buffer_gl0_inv
	v_add_co_ci_u32_e32 v38, vcc_lo, 0, v5, vcc_lo
	s_clause 0x7
	flat_load_b64 v[20:21], v[4:5]
	flat_load_b64 v[18:19], v[4:5] offset:2048
	flat_load_b64 v[16:17], v[8:9]
	flat_load_b64 v[14:15], v[8:9] offset:2048
	flat_load_b64 v[12:13], v[10:11]
	flat_load_b64 v[10:11], v[35:36] offset:2048
	flat_load_b64 v[8:9], v[37:38]
	flat_load_b64 v[4:5], v[37:38] offset:2048
	v_lshlrev_b64 v[35:36], 1, v[27:28]
	v_add_co_u32 v2, vcc_lo, v2, v29
	v_add_co_ci_u32_e32 v3, vcc_lo, v3, v30, vcc_lo
	s_waitcnt vmcnt(0) lgkmcnt(0)
	s_delay_alu instid0(VALU_DEP_2) | instskip(NEXT) | instid1(VALU_DEP_2)
	v_add_co_u32 v2, vcc_lo, v2, v35
	v_add_co_ci_u32_e32 v3, vcc_lo, v3, v36, vcc_lo
	v_cmp_lt_u32_e32 vcc_lo, v27, v47
	s_barrier
	buffer_gl0_inv
	s_and_saveexec_b32 s0, vcc_lo
	s_cbranch_execz .LBB1021_228
; %bb.227:
	v_xor_b32_e32 v26, 0xffff8000, v34
	flat_store_b16 v[2:3], v26
.LBB1021_228:
	s_or_b32 exec_lo, exec_lo, s0
	v_add_nc_u32_e32 v26, 0x100, v27
	s_delay_alu instid0(VALU_DEP_1) | instskip(NEXT) | instid1(VALU_DEP_1)
	v_cmp_lt_u32_e64 s2, v26, v47
	s_and_saveexec_b32 s0, s2
	s_cbranch_execz .LBB1021_230
; %bb.229:
	v_xor_b32_e32 v26, 0xffff8000, v33
	flat_store_b16 v[2:3], v26 offset:512
.LBB1021_230:
	s_or_b32 exec_lo, exec_lo, s0
	v_add_nc_u32_e32 v26, 0x200, v27
	s_delay_alu instid0(VALU_DEP_1) | instskip(NEXT) | instid1(VALU_DEP_1)
	v_cmp_lt_u32_e64 s6, v26, v47
	s_and_saveexec_b32 s0, s6
	s_cbranch_execz .LBB1021_232
; %bb.231:
	v_xor_b32_e32 v26, 0xffff8000, v32
	flat_store_b16 v[2:3], v26 offset:1024
.LBB1021_232:
	;; [unrolled: 10-line block ×7, first 2 shown]
	s_or_b32 exec_lo, exec_lo, s7
	v_lshlrev_b64 v[2:3], 3, v[27:28]
	v_add_co_u32 v0, s7, v6, v0
	s_delay_alu instid0(VALU_DEP_1) | instskip(NEXT) | instid1(VALU_DEP_2)
	v_add_co_ci_u32_e64 v1, s7, v7, v1, s7
	v_add_co_u32 v0, s7, v0, v2
	s_delay_alu instid0(VALU_DEP_1)
	v_add_co_ci_u32_e64 v1, s7, v1, v3, s7
	s_and_saveexec_b32 s7, vcc_lo
	s_cbranch_execnz .LBB1021_292
; %bb.243:
	s_or_b32 exec_lo, exec_lo, s7
	s_and_saveexec_b32 s7, s2
	s_cbranch_execnz .LBB1021_293
.LBB1021_244:
	s_or_b32 exec_lo, exec_lo, s7
	s_and_saveexec_b32 s2, s6
	s_cbranch_execnz .LBB1021_294
.LBB1021_245:
	s_or_b32 exec_lo, exec_lo, s2
	s_and_saveexec_b32 s2, s5
	s_cbranch_execnz .LBB1021_295
.LBB1021_246:
	s_or_b32 exec_lo, exec_lo, s2
	s_and_saveexec_b32 s2, s4
	s_cbranch_execnz .LBB1021_296
.LBB1021_247:
	s_or_b32 exec_lo, exec_lo, s2
	s_and_saveexec_b32 s2, s3
	s_cbranch_execnz .LBB1021_297
.LBB1021_248:
	s_or_b32 exec_lo, exec_lo, s2
	s_and_saveexec_b32 s2, s1
	s_cbranch_execnz .LBB1021_298
.LBB1021_249:
	s_or_b32 exec_lo, exec_lo, s2
	s_and_saveexec_b32 s1, s0
	s_cbranch_execz .LBB1021_251
.LBB1021_250:
	v_add_co_u32 v0, vcc_lo, 0x3000, v0
	v_add_co_ci_u32_e32 v1, vcc_lo, 0, v1, vcc_lo
	flat_store_b64 v[0:1], v[4:5] offset:2048
.LBB1021_251:
	s_or_b32 exec_lo, exec_lo, s1
                                        ; implicit-def: $vgpr47
                                        ; implicit-def: $vgpr0
                                        ; implicit-def: $vgpr1
                                        ; implicit-def: $vgpr2
                                        ; implicit-def: $vgpr3
                                        ; implicit-def: $vgpr4
                                        ; implicit-def: $vgpr5
                                        ; implicit-def: $vgpr6
                                        ; implicit-def: $vgpr7
                                        ; implicit-def: $vgpr8
                                        ; implicit-def: $vgpr10
                                        ; implicit-def: $vgpr11
                                        ; implicit-def: $vgpr12
                                        ; implicit-def: $vgpr13
                                        ; implicit-def: $vgpr14
                                        ; implicit-def: $vgpr15
                                        ; implicit-def: $vgpr26
                                        ; implicit-def: $vgpr35
.LBB1021_252:
	s_and_not1_saveexec_b32 s0, s19
	s_cbranch_execz .LBB1021_372
; %bb.253:
	s_mov_b32 s0, exec_lo
	v_cmpx_lt_u32_e32 0x200, v47
	s_xor_b32 s19, exec_lo, s0
	s_cbranch_execz .LBB1021_313
; %bb.254:
	s_load_b64 s[0:1], s[8:9], 0x0
	v_mov_b32_e32 v9, 0
	s_waitcnt lgkmcnt(0)
	s_cmp_lt_u32 s13, s1
	s_cselect_b32 s1, 14, 20
	s_delay_alu instid0(SALU_CYCLE_1) | instskip(SKIP_4) | instid1(SALU_CYCLE_1)
	s_add_u32 s2, s8, s1
	s_addc_u32 s3, s9, 0
	s_cmp_lt_u32 s12, s0
	global_load_u16 v16, v9, s[2:3]
	s_cselect_b32 s0, 12, 18
	s_add_u32 s0, s8, s0
	s_addc_u32 s1, s9, 0
	global_load_u16 v17, v9, s[0:1]
	s_mov_b32 s2, 0x7fff7fff
	s_delay_alu instid0(SALU_CYCLE_1) | instskip(SKIP_4) | instid1(VALU_DEP_2)
	s_mov_b32 s3, s2
	s_waitcnt vmcnt(1)
	v_mad_u32_u24 v14, v15, v16, v14
	v_lshlrev_b32_e32 v15, 1, v35
	s_waitcnt vmcnt(0)
	v_mad_u64_u32 v[27:28], null, v14, v17, v[26:27]
	s_delay_alu instid0(VALU_DEP_1) | instskip(SKIP_1) | instid1(VALU_DEP_2)
	v_lshlrev_b32_e32 v14, 2, v27
	v_lshlrev_b64 v[29:30], 1, v[8:9]
	v_dual_mov_b32 v17, v9 :: v_dual_and_b32 v16, 0xffffff80, v14
	s_delay_alu instid0(VALU_DEP_2) | instskip(NEXT) | instid1(VALU_DEP_3)
	v_add_co_u32 v14, vcc_lo, v0, v29
	v_add_co_ci_u32_e32 v19, vcc_lo, v1, v30, vcc_lo
	s_delay_alu instid0(VALU_DEP_3) | instskip(NEXT) | instid1(VALU_DEP_3)
	v_lshlrev_b64 v[0:1], 1, v[16:17]
	v_add_co_u32 v14, vcc_lo, v14, v15
	s_delay_alu instid0(VALU_DEP_3) | instskip(SKIP_1) | instid1(VALU_DEP_3)
	v_add_co_ci_u32_e32 v15, vcc_lo, 0, v19, vcc_lo
	v_or_b32_e32 v18, v16, v35
	v_add_co_u32 v0, s0, v14, v0
	s_delay_alu instid0(VALU_DEP_1) | instskip(SKIP_1) | instid1(VALU_DEP_4)
	v_add_co_ci_u32_e64 v1, s0, v15, v1, s0
	v_mov_b32_e32 v15, s3
	v_cmp_lt_u32_e32 vcc_lo, v18, v47
	v_mov_b32_e32 v14, s2
	s_and_saveexec_b32 s0, vcc_lo
	s_cbranch_execz .LBB1021_256
; %bb.255:
	v_mov_b32_e32 v14, 0x7fff0000
	v_mov_b32_e32 v15, 0x7fff7fff
	flat_load_d16_b16 v14, v[0:1]
.LBB1021_256:
	s_or_b32 exec_lo, exec_lo, s0
	v_or_b32_e32 v19, 32, v18
	s_delay_alu instid0(VALU_DEP_1) | instskip(NEXT) | instid1(VALU_DEP_1)
	v_cmp_lt_u32_e64 s0, v19, v47
	s_and_saveexec_b32 s1, s0
	s_cbranch_execz .LBB1021_258
; %bb.257:
	s_waitcnt vmcnt(0) lgkmcnt(0)
	flat_load_d16_hi_b16 v14, v[0:1] offset:64
.LBB1021_258:
	s_or_b32 exec_lo, exec_lo, s1
	v_or_b32_e32 v19, 64, v18
	s_delay_alu instid0(VALU_DEP_1) | instskip(NEXT) | instid1(VALU_DEP_1)
	v_cmp_lt_u32_e64 s1, v19, v47
	s_and_saveexec_b32 s2, s1
	s_cbranch_execz .LBB1021_260
; %bb.259:
	flat_load_d16_b16 v15, v[0:1] offset:128
.LBB1021_260:
	s_or_b32 exec_lo, exec_lo, s2
	v_or_b32_e32 v18, 0x60, v18
	s_delay_alu instid0(VALU_DEP_1) | instskip(NEXT) | instid1(VALU_DEP_1)
	v_cmp_lt_u32_e64 s2, v18, v47
	s_and_saveexec_b32 s3, s2
	s_cbranch_execz .LBB1021_262
; %bb.261:
	s_waitcnt vmcnt(0) lgkmcnt(0)
	flat_load_d16_hi_b16 v15, v[0:1] offset:192
.LBB1021_262:
	s_or_b32 exec_lo, exec_lo, s3
	v_lshlrev_b64 v[0:1], 3, v[8:9]
	v_lshlrev_b32_e32 v8, 3, v35
	s_delay_alu instid0(VALU_DEP_2) | instskip(NEXT) | instid1(VALU_DEP_1)
	v_add_co_u32 v9, s3, v4, v0
	v_add_co_ci_u32_e64 v18, s3, v5, v1, s3
	v_lshlrev_b64 v[4:5], 3, v[16:17]
	s_delay_alu instid0(VALU_DEP_3) | instskip(NEXT) | instid1(VALU_DEP_1)
	v_add_co_u32 v8, s3, v9, v8
	v_add_co_ci_u32_e64 v9, s3, 0, v18, s3
                                        ; implicit-def: $vgpr18_vgpr19
	s_delay_alu instid0(VALU_DEP_2) | instskip(NEXT) | instid1(VALU_DEP_1)
	v_add_co_u32 v4, s3, v8, v4
	v_add_co_ci_u32_e64 v5, s3, v9, v5, s3
	s_and_saveexec_b32 s3, vcc_lo
	s_cbranch_execnz .LBB1021_337
; %bb.263:
	s_or_b32 exec_lo, exec_lo, s3
                                        ; implicit-def: $vgpr20_vgpr21
	s_and_saveexec_b32 s3, s0
	s_cbranch_execnz .LBB1021_338
.LBB1021_264:
	s_or_b32 exec_lo, exec_lo, s3
                                        ; implicit-def: $vgpr22_vgpr23
	s_and_saveexec_b32 s0, s1
	s_cbranch_execnz .LBB1021_339
.LBB1021_265:
	s_or_b32 exec_lo, exec_lo, s0
                                        ; implicit-def: $vgpr24_vgpr25
	s_and_saveexec_b32 s0, s2
	s_cbranch_execz .LBB1021_267
.LBB1021_266:
	flat_load_b64 v[24:25], v[4:5] offset:768
.LBB1021_267:
	s_or_b32 exec_lo, exec_lo, s0
	v_dual_mov_b32 v5, 0 :: v_dual_lshlrev_b32 v4, 5, v26
	v_add_nc_u32_e32 v17, -1, v35
	v_add_co_u32 v28, vcc_lo, v12, 32
	v_add_co_ci_u32_e32 v39, vcc_lo, 0, v13, vcc_lo
	s_mov_b32 s20, 0
	v_add_co_u32 v8, vcc_lo, v12, v4
	s_waitcnt vmcnt(0) lgkmcnt(0)
	v_xor_b32_e32 v69, 0x80008000, v15
	v_cmp_gt_i32_e64 s4, 0, v17
	s_mov_b32 s21, s20
	s_mov_b32 s22, s20
	;; [unrolled: 1-line block ×3, first 2 shown]
	v_and_b32_e32 v15, 15, v35
	v_add_co_ci_u32_e32 v9, vcc_lo, 0, v13, vcc_lo
	v_and_b32_e32 v16, 0x3e0, v26
	v_add_co_u32 v31, vcc_lo, v28, v4
	s_getpc_b64 s[0:1]
	s_add_u32 s0, s0, _ZN7rocprim17ROCPRIM_400000_NS16block_radix_sortIsLj256ELj4ElLj1ELj1ELj8ELNS0_26block_radix_rank_algorithmE2ELNS0_18block_padding_hintE2ELNS0_4arch9wavefront6targetE0EE19radix_bits_per_passE@rel32@lo+4
	s_addc_u32 s1, s1, _ZN7rocprim17ROCPRIM_400000_NS16block_radix_sortIsLj256ELj4ElLj1ELj1ELj8ELNS0_26block_radix_rank_algorithmE2ELNS0_18block_padding_hintE2ELNS0_4arch9wavefront6targetE0EE19radix_bits_per_passE@rel32@hi+12
	v_add_co_ci_u32_e32 v32, vcc_lo, 0, v39, vcc_lo
	s_load_b32 s25, s[0:1], 0x0
	v_cmp_eq_u32_e32 vcc_lo, 0, v15
	v_cmp_lt_u32_e64 s0, 1, v15
	v_cmp_lt_u32_e64 s1, 3, v15
	v_cmp_lt_u32_e64 s2, 7, v15
	v_cndmask_b32_e64 v15, v17, v35, s4
	v_min_u32_e32 v4, 0xe0, v16
	v_and_b32_e32 v16, 16, v35
	v_cmp_eq_u32_e64 s7, 0, v35
	v_and_b32_e32 v17, 7, v35
	v_lshlrev_b32_e32 v98, 2, v15
	v_lshlrev_b32_e32 v15, 2, v26
	v_or_b32_e32 v4, 31, v4
	v_cmp_eq_u32_e64 s3, 0, v16
	v_lshrrev_b32_e32 v16, 5, v26
	v_cmp_lt_u32_e64 s14, 1, v17
	v_and_or_b32 v52, 0xf80, v15, v35
	v_cmp_eq_u32_e64 s4, v4, v26
	v_cmp_lt_u32_e64 s15, 3, v17
	v_lshlrev_b32_e32 v4, 2, v16
	v_xor_b32_e32 v100, 0x80008000, v14
	v_lshlrev_b32_e32 v37, 1, v52
	v_lshrrev_b32_e32 v87, 5, v27
	v_cmp_gt_u32_e64 s5, 8, v26
	v_add_co_u32 v33, s11, v12, v4
	v_add_nc_u32_e32 v4, -1, v16
	v_add_co_ci_u32_e64 v34, s11, 0, v13, s11
	v_add_co_u32 v37, s16, v12, v37
	v_add_co_u32 v35, s11, v12, v15
	s_delay_alu instid0(VALU_DEP_4) | instskip(SKIP_3) | instid1(VALU_DEP_4)
	v_lshlrev_b64 v[15:16], 2, v[4:5]
	v_add_co_ci_u32_e64 v38, s16, 0, v13, s16
	v_add_co_ci_u32_e64 v36, s11, 0, v13, s11
	v_cmp_eq_u32_e64 s11, 0, v17
	v_add_co_u32 v48, s16, v12, v15
	s_delay_alu instid0(VALU_DEP_4)
	v_mad_u64_u32 v[50:51], null, v52, 6, v[37:38]
	v_add_co_ci_u32_e64 v49, s16, v13, v16, s16
	v_mov_b32_e32 v14, s20
	v_cmp_lt_u32_e64 s6, 31, v26
	v_cmp_eq_u32_e64 s10, 0, v26
	v_sub_nc_u32_e32 v99, v11, v10
	v_dual_mov_b32 v15, s21 :: v_dual_mov_b32 v16, s22
	v_mov_b32_e32 v17, s23
	s_waitcnt lgkmcnt(0)
	s_waitcnt_vscnt null, 0x0
	s_barrier
	buffer_gl0_inv
	s_branch .LBB1021_269
.LBB1021_268:                           ;   in Loop: Header=BB1021_269 Depth=1
	s_or_b32 exec_lo, exec_lo, s17
	s_delay_alu instid0(SALU_CYCLE_1) | instskip(NEXT) | instid1(SALU_CYCLE_1)
	s_and_b32 s16, exec_lo, s18
	s_or_b32 s20, s16, s20
	s_delay_alu instid0(SALU_CYCLE_1)
	s_and_not1_b32 exec_lo, exec_lo, s20
	s_cbranch_execz .LBB1021_299
.LBB1021_269:                           ; =>This Inner Loop Header: Depth=1
	v_min_u32_e32 v4, s25, v99
	v_dual_mov_b32 v101, v69 :: v_dual_and_b32 v52, 0xffff, v100
	s_clause 0x1
	flat_store_b128 v[8:9], v[14:17] offset:32
	flat_store_b128 v[31:32], v[14:17] offset:16
	s_waitcnt lgkmcnt(0)
	s_waitcnt_vscnt null, 0x0
	v_lshlrev_b32_e64 v4, v4, -1
	v_lshrrev_b32_e32 v52, v10, v52
	s_barrier
	buffer_gl0_inv
	v_not_b32_e32 v82, v4
	; wave barrier
	s_delay_alu instid0(VALU_DEP_1) | instskip(NEXT) | instid1(VALU_DEP_1)
	v_and_b32_e32 v4, v52, v82
	v_and_b32_e32 v52, 1, v4
	v_lshlrev_b32_e32 v53, 30, v4
	v_lshlrev_b32_e32 v54, 29, v4
	;; [unrolled: 1-line block ×4, first 2 shown]
	v_add_co_u32 v52, s16, v52, -1
	s_delay_alu instid0(VALU_DEP_1)
	v_cndmask_b32_e64 v64, 0, 1, s16
	v_not_b32_e32 v68, v53
	v_cmp_gt_i32_e64 s17, 0, v53
	v_not_b32_e32 v53, v54
	v_lshlrev_b32_e32 v66, 26, v4
	v_cmp_ne_u32_e64 s16, 0, v64
	v_ashrrev_i32_e32 v68, 31, v68
	v_lshlrev_b32_e32 v64, 24, v4
	v_ashrrev_i32_e32 v53, 31, v53
	s_delay_alu instid0(VALU_DEP_4)
	v_xor_b32_e32 v52, s16, v52
	v_cmp_gt_i32_e64 s16, 0, v54
	v_not_b32_e32 v54, v55
	v_xor_b32_e32 v68, s17, v68
	v_cmp_gt_i32_e64 s17, 0, v55
	v_and_b32_e32 v52, exec_lo, v52
	v_not_b32_e32 v55, v65
	v_ashrrev_i32_e32 v54, 31, v54
	v_xor_b32_e32 v53, s16, v53
	v_cmp_gt_i32_e64 s16, 0, v65
	v_and_b32_e32 v52, v52, v68
	v_not_b32_e32 v65, v66
	v_ashrrev_i32_e32 v55, 31, v55
	v_xor_b32_e32 v54, s17, v54
	v_cmp_gt_i32_e64 s17, 0, v66
	v_and_b32_e32 v52, v52, v53
	v_ashrrev_i32_e32 v65, 31, v65
	v_xor_b32_e32 v55, s16, v55
	s_delay_alu instid0(VALU_DEP_3) | instskip(NEXT) | instid1(VALU_DEP_3)
	v_and_b32_e32 v52, v52, v54
	v_xor_b32_e32 v65, s17, v65
	v_not_b32_e32 v54, v64
	v_cmp_gt_i32_e64 s17, 0, v64
	s_delay_alu instid0(VALU_DEP_4) | instskip(NEXT) | instid1(VALU_DEP_3)
	v_and_b32_e32 v52, v52, v55
	v_ashrrev_i32_e32 v54, 31, v54
	s_delay_alu instid0(VALU_DEP_2) | instskip(SKIP_1) | instid1(VALU_DEP_3)
	v_dual_mov_b32 v65, v19 :: v_dual_and_b32 v52, v52, v65
	v_lshlrev_b32_e32 v67, 25, v4
	v_xor_b32_e32 v66, s17, v54
	v_dual_mov_b32 v64, v18 :: v_dual_lshlrev_b32 v19, 3, v4
	v_mov_b32_e32 v55, v21
	s_delay_alu instid0(VALU_DEP_4) | instskip(SKIP_3) | instid1(VALU_DEP_4)
	v_not_b32_e32 v53, v67
	v_cmp_gt_i32_e64 s16, 0, v67
	v_mov_b32_e32 v54, v20
	v_add_lshl_u32 v19, v19, v87, 2
	v_ashrrev_i32_e32 v53, 31, v53
	s_delay_alu instid0(VALU_DEP_2) | instskip(NEXT) | instid1(VALU_DEP_2)
	v_add_co_u32 v68, s18, v28, v19
	v_xor_b32_e32 v53, s16, v53
	v_add_co_ci_u32_e64 v69, s18, 0, v39, s18
	s_delay_alu instid0(VALU_DEP_2) | instskip(SKIP_1) | instid1(VALU_DEP_2)
	v_and_b32_e32 v67, v52, v53
	v_dual_mov_b32 v53, v23 :: v_dual_mov_b32 v52, v22
	v_dual_mov_b32 v67, v25 :: v_dual_and_b32 v18, v67, v66
	v_mov_b32_e32 v66, v24
	s_delay_alu instid0(VALU_DEP_2) | instskip(SKIP_1) | instid1(VALU_DEP_2)
	v_mbcnt_lo_u32_b32 v4, v18, 0
	v_cmp_ne_u32_e64 s16, 0, v18
	v_cmp_eq_u32_e64 s17, 0, v4
	s_delay_alu instid0(VALU_DEP_1) | instskip(NEXT) | instid1(SALU_CYCLE_1)
	s_and_b32 s17, s16, s17
	s_and_saveexec_b32 s16, s17
	s_cbranch_execz .LBB1021_271
; %bb.270:                              ;   in Loop: Header=BB1021_269 Depth=1
	v_bcnt_u32_b32 v18, v18, 0
	flat_store_b32 v[68:69], v18
.LBB1021_271:                           ;   in Loop: Header=BB1021_269 Depth=1
	s_or_b32 exec_lo, exec_lo, s16
	v_lshrrev_b32_e32 v102, 16, v100
	; wave barrier
	s_delay_alu instid0(VALU_DEP_1) | instskip(NEXT) | instid1(VALU_DEP_1)
	v_lshrrev_b32_e32 v18, v10, v102
	v_and_b32_e32 v18, v18, v82
	s_delay_alu instid0(VALU_DEP_1) | instskip(SKIP_3) | instid1(VALU_DEP_4)
	v_lshlrev_b32_e32 v19, 3, v18
	v_lshlrev_b32_e32 v21, 30, v18
	;; [unrolled: 1-line block ×4, first 2 shown]
	v_add_lshl_u32 v19, v19, v87, 2
	s_delay_alu instid0(VALU_DEP_1) | instskip(NEXT) | instid1(VALU_DEP_1)
	v_add_co_u32 v70, s16, v28, v19
	v_add_co_ci_u32_e64 v71, s16, 0, v39, s16
	v_and_b32_e32 v19, 1, v18
	flat_load_b32 v84, v[70:71]
	v_add_co_u32 v19, s16, v19, -1
	s_delay_alu instid0(VALU_DEP_1) | instskip(NEXT) | instid1(VALU_DEP_1)
	v_cndmask_b32_e64 v20, 0, 1, s16
	; wave barrier
	v_cmp_ne_u32_e64 s16, 0, v20
	v_not_b32_e32 v20, v21
	s_delay_alu instid0(VALU_DEP_2) | instskip(SKIP_1) | instid1(VALU_DEP_3)
	v_xor_b32_e32 v19, s16, v19
	v_cmp_gt_i32_e64 s16, 0, v21
	v_ashrrev_i32_e32 v20, 31, v20
	v_not_b32_e32 v21, v22
	s_delay_alu instid0(VALU_DEP_4) | instskip(NEXT) | instid1(VALU_DEP_3)
	v_and_b32_e32 v19, exec_lo, v19
	v_xor_b32_e32 v20, s16, v20
	v_cmp_gt_i32_e64 s16, 0, v22
	s_delay_alu instid0(VALU_DEP_4) | instskip(SKIP_1) | instid1(VALU_DEP_4)
	v_ashrrev_i32_e32 v21, 31, v21
	v_not_b32_e32 v22, v23
	v_and_b32_e32 v19, v19, v20
	v_lshlrev_b32_e32 v20, 27, v18
	s_delay_alu instid0(VALU_DEP_4) | instskip(SKIP_2) | instid1(VALU_DEP_4)
	v_xor_b32_e32 v21, s16, v21
	v_cmp_gt_i32_e64 s16, 0, v23
	v_ashrrev_i32_e32 v22, 31, v22
	v_not_b32_e32 v23, v20
	s_delay_alu instid0(VALU_DEP_4) | instskip(SKIP_1) | instid1(VALU_DEP_4)
	v_and_b32_e32 v19, v19, v21
	v_lshlrev_b32_e32 v21, 26, v18
	v_xor_b32_e32 v22, s16, v22
	v_cmp_gt_i32_e64 s16, 0, v20
	v_ashrrev_i32_e32 v20, 31, v23
	s_delay_alu instid0(VALU_DEP_4) | instskip(NEXT) | instid1(VALU_DEP_4)
	v_not_b32_e32 v23, v21
	v_and_b32_e32 v19, v19, v22
	v_lshlrev_b32_e32 v22, 25, v18
	s_delay_alu instid0(VALU_DEP_4)
	v_xor_b32_e32 v20, s16, v20
	v_cmp_gt_i32_e64 s16, 0, v21
	v_ashrrev_i32_e32 v21, 31, v23
	v_lshlrev_b32_e32 v18, 24, v18
	v_not_b32_e32 v23, v22
	v_and_b32_e32 v19, v19, v20
	s_delay_alu instid0(VALU_DEP_4) | instskip(SKIP_1) | instid1(VALU_DEP_4)
	v_xor_b32_e32 v20, s16, v21
	v_cmp_gt_i32_e64 s16, 0, v22
	v_ashrrev_i32_e32 v21, 31, v23
	v_not_b32_e32 v22, v18
	s_delay_alu instid0(VALU_DEP_4) | instskip(NEXT) | instid1(VALU_DEP_3)
	v_and_b32_e32 v19, v19, v20
	v_xor_b32_e32 v20, s16, v21
	v_cmp_gt_i32_e64 s16, 0, v18
	s_delay_alu instid0(VALU_DEP_4) | instskip(NEXT) | instid1(VALU_DEP_3)
	v_ashrrev_i32_e32 v18, 31, v22
	v_and_b32_e32 v19, v19, v20
	s_delay_alu instid0(VALU_DEP_2) | instskip(NEXT) | instid1(VALU_DEP_1)
	v_xor_b32_e32 v18, s16, v18
	v_and_b32_e32 v18, v19, v18
	s_delay_alu instid0(VALU_DEP_1) | instskip(SKIP_1) | instid1(VALU_DEP_2)
	v_mbcnt_lo_u32_b32 v85, v18, 0
	v_cmp_ne_u32_e64 s17, 0, v18
	v_cmp_eq_u32_e64 s16, 0, v85
	s_delay_alu instid0(VALU_DEP_1) | instskip(NEXT) | instid1(SALU_CYCLE_1)
	s_and_b32 s17, s17, s16
	s_and_saveexec_b32 s16, s17
	s_cbranch_execz .LBB1021_273
; %bb.272:                              ;   in Loop: Header=BB1021_269 Depth=1
	s_waitcnt vmcnt(0) lgkmcnt(0)
	v_bcnt_u32_b32 v18, v18, v84
	flat_store_b32 v[70:71], v18
.LBB1021_273:                           ;   in Loop: Header=BB1021_269 Depth=1
	s_or_b32 exec_lo, exec_lo, s16
	v_and_b32_e32 v18, 0xffff, v101
	; wave barrier
	s_delay_alu instid0(VALU_DEP_1) | instskip(NEXT) | instid1(VALU_DEP_1)
	v_lshrrev_b32_e32 v18, v10, v18
	v_and_b32_e32 v18, v18, v82
	s_delay_alu instid0(VALU_DEP_1) | instskip(SKIP_3) | instid1(VALU_DEP_4)
	v_lshlrev_b32_e32 v19, 3, v18
	v_lshlrev_b32_e32 v21, 30, v18
	;; [unrolled: 1-line block ×4, first 2 shown]
	v_add_lshl_u32 v19, v19, v87, 2
	s_delay_alu instid0(VALU_DEP_1) | instskip(NEXT) | instid1(VALU_DEP_1)
	v_add_co_u32 v80, s16, v28, v19
	v_add_co_ci_u32_e64 v81, s16, 0, v39, s16
	v_and_b32_e32 v19, 1, v18
	flat_load_b32 v86, v[80:81]
	v_add_co_u32 v19, s16, v19, -1
	s_delay_alu instid0(VALU_DEP_1) | instskip(NEXT) | instid1(VALU_DEP_1)
	v_cndmask_b32_e64 v20, 0, 1, s16
	; wave barrier
	v_cmp_ne_u32_e64 s16, 0, v20
	v_not_b32_e32 v20, v21
	s_delay_alu instid0(VALU_DEP_2) | instskip(SKIP_1) | instid1(VALU_DEP_3)
	v_xor_b32_e32 v19, s16, v19
	v_cmp_gt_i32_e64 s16, 0, v21
	v_ashrrev_i32_e32 v20, 31, v20
	v_not_b32_e32 v21, v22
	s_delay_alu instid0(VALU_DEP_4) | instskip(NEXT) | instid1(VALU_DEP_3)
	v_and_b32_e32 v19, exec_lo, v19
	v_xor_b32_e32 v20, s16, v20
	v_cmp_gt_i32_e64 s16, 0, v22
	s_delay_alu instid0(VALU_DEP_4) | instskip(SKIP_1) | instid1(VALU_DEP_4)
	v_ashrrev_i32_e32 v21, 31, v21
	v_not_b32_e32 v22, v23
	v_and_b32_e32 v19, v19, v20
	v_lshlrev_b32_e32 v20, 27, v18
	s_delay_alu instid0(VALU_DEP_4) | instskip(SKIP_2) | instid1(VALU_DEP_4)
	v_xor_b32_e32 v21, s16, v21
	v_cmp_gt_i32_e64 s16, 0, v23
	v_ashrrev_i32_e32 v22, 31, v22
	v_not_b32_e32 v23, v20
	s_delay_alu instid0(VALU_DEP_4) | instskip(SKIP_1) | instid1(VALU_DEP_4)
	v_and_b32_e32 v19, v19, v21
	v_lshlrev_b32_e32 v21, 26, v18
	v_xor_b32_e32 v22, s16, v22
	v_cmp_gt_i32_e64 s16, 0, v20
	v_ashrrev_i32_e32 v20, 31, v23
	s_delay_alu instid0(VALU_DEP_4) | instskip(NEXT) | instid1(VALU_DEP_4)
	v_not_b32_e32 v23, v21
	v_and_b32_e32 v19, v19, v22
	v_lshlrev_b32_e32 v22, 25, v18
	s_delay_alu instid0(VALU_DEP_4)
	v_xor_b32_e32 v20, s16, v20
	v_cmp_gt_i32_e64 s16, 0, v21
	v_ashrrev_i32_e32 v21, 31, v23
	v_lshlrev_b32_e32 v18, 24, v18
	v_not_b32_e32 v23, v22
	v_and_b32_e32 v19, v19, v20
	s_delay_alu instid0(VALU_DEP_4) | instskip(SKIP_1) | instid1(VALU_DEP_4)
	v_xor_b32_e32 v20, s16, v21
	v_cmp_gt_i32_e64 s16, 0, v22
	v_ashrrev_i32_e32 v21, 31, v23
	v_not_b32_e32 v22, v18
	s_delay_alu instid0(VALU_DEP_4) | instskip(NEXT) | instid1(VALU_DEP_3)
	v_and_b32_e32 v19, v19, v20
	v_xor_b32_e32 v20, s16, v21
	v_cmp_gt_i32_e64 s16, 0, v18
	s_delay_alu instid0(VALU_DEP_4) | instskip(NEXT) | instid1(VALU_DEP_3)
	v_ashrrev_i32_e32 v18, 31, v22
	v_and_b32_e32 v19, v19, v20
	s_delay_alu instid0(VALU_DEP_2) | instskip(NEXT) | instid1(VALU_DEP_1)
	v_xor_b32_e32 v18, s16, v18
	v_and_b32_e32 v18, v19, v18
	s_delay_alu instid0(VALU_DEP_1) | instskip(SKIP_1) | instid1(VALU_DEP_2)
	v_mbcnt_lo_u32_b32 v96, v18, 0
	v_cmp_ne_u32_e64 s17, 0, v18
	v_cmp_eq_u32_e64 s16, 0, v96
	s_delay_alu instid0(VALU_DEP_1) | instskip(NEXT) | instid1(SALU_CYCLE_1)
	s_and_b32 s17, s17, s16
	s_and_saveexec_b32 s16, s17
	s_cbranch_execz .LBB1021_275
; %bb.274:                              ;   in Loop: Header=BB1021_269 Depth=1
	s_waitcnt vmcnt(0) lgkmcnt(0)
	v_bcnt_u32_b32 v18, v18, v86
	flat_store_b32 v[80:81], v18
.LBB1021_275:                           ;   in Loop: Header=BB1021_269 Depth=1
	s_or_b32 exec_lo, exec_lo, s16
	v_lshrrev_b32_e32 v103, 16, v101
	; wave barrier
	s_delay_alu instid0(VALU_DEP_1) | instskip(NEXT) | instid1(VALU_DEP_1)
	v_lshrrev_b32_e32 v18, v10, v103
	v_and_b32_e32 v18, v18, v82
	s_delay_alu instid0(VALU_DEP_1) | instskip(SKIP_3) | instid1(VALU_DEP_4)
	v_lshlrev_b32_e32 v19, 3, v18
	v_lshlrev_b32_e32 v21, 30, v18
	;; [unrolled: 1-line block ×4, first 2 shown]
	v_add_lshl_u32 v19, v19, v87, 2
	s_delay_alu instid0(VALU_DEP_1) | instskip(NEXT) | instid1(VALU_DEP_1)
	v_add_co_u32 v82, s16, v28, v19
	v_add_co_ci_u32_e64 v83, s16, 0, v39, s16
	v_and_b32_e32 v19, 1, v18
	flat_load_b32 v97, v[82:83]
	v_add_co_u32 v19, s16, v19, -1
	s_delay_alu instid0(VALU_DEP_1) | instskip(NEXT) | instid1(VALU_DEP_1)
	v_cndmask_b32_e64 v20, 0, 1, s16
	; wave barrier
	v_cmp_ne_u32_e64 s16, 0, v20
	v_not_b32_e32 v20, v21
	s_delay_alu instid0(VALU_DEP_2) | instskip(SKIP_1) | instid1(VALU_DEP_3)
	v_xor_b32_e32 v19, s16, v19
	v_cmp_gt_i32_e64 s16, 0, v21
	v_ashrrev_i32_e32 v20, 31, v20
	v_not_b32_e32 v21, v22
	s_delay_alu instid0(VALU_DEP_4) | instskip(NEXT) | instid1(VALU_DEP_3)
	v_and_b32_e32 v19, exec_lo, v19
	v_xor_b32_e32 v20, s16, v20
	v_cmp_gt_i32_e64 s16, 0, v22
	s_delay_alu instid0(VALU_DEP_4) | instskip(SKIP_1) | instid1(VALU_DEP_4)
	v_ashrrev_i32_e32 v21, 31, v21
	v_not_b32_e32 v22, v23
	v_and_b32_e32 v19, v19, v20
	v_lshlrev_b32_e32 v20, 27, v18
	s_delay_alu instid0(VALU_DEP_4) | instskip(SKIP_2) | instid1(VALU_DEP_4)
	v_xor_b32_e32 v21, s16, v21
	v_cmp_gt_i32_e64 s16, 0, v23
	v_ashrrev_i32_e32 v22, 31, v22
	v_not_b32_e32 v23, v20
	s_delay_alu instid0(VALU_DEP_4) | instskip(SKIP_1) | instid1(VALU_DEP_4)
	v_and_b32_e32 v19, v19, v21
	v_lshlrev_b32_e32 v21, 26, v18
	v_xor_b32_e32 v22, s16, v22
	v_cmp_gt_i32_e64 s16, 0, v20
	v_ashrrev_i32_e32 v20, 31, v23
	s_delay_alu instid0(VALU_DEP_4) | instskip(NEXT) | instid1(VALU_DEP_4)
	v_not_b32_e32 v23, v21
	v_and_b32_e32 v19, v19, v22
	v_lshlrev_b32_e32 v22, 25, v18
	s_delay_alu instid0(VALU_DEP_4)
	v_xor_b32_e32 v20, s16, v20
	v_cmp_gt_i32_e64 s16, 0, v21
	v_ashrrev_i32_e32 v21, 31, v23
	v_lshlrev_b32_e32 v18, 24, v18
	v_not_b32_e32 v23, v22
	v_and_b32_e32 v19, v19, v20
	s_delay_alu instid0(VALU_DEP_4) | instskip(SKIP_1) | instid1(VALU_DEP_4)
	v_xor_b32_e32 v20, s16, v21
	v_cmp_gt_i32_e64 s16, 0, v22
	v_ashrrev_i32_e32 v21, 31, v23
	v_not_b32_e32 v22, v18
	s_delay_alu instid0(VALU_DEP_4) | instskip(NEXT) | instid1(VALU_DEP_3)
	v_and_b32_e32 v19, v19, v20
	v_xor_b32_e32 v20, s16, v21
	v_cmp_gt_i32_e64 s16, 0, v18
	s_delay_alu instid0(VALU_DEP_4) | instskip(NEXT) | instid1(VALU_DEP_3)
	v_ashrrev_i32_e32 v18, 31, v22
	v_and_b32_e32 v19, v19, v20
	s_delay_alu instid0(VALU_DEP_2) | instskip(NEXT) | instid1(VALU_DEP_1)
	v_xor_b32_e32 v18, s16, v18
	v_and_b32_e32 v18, v19, v18
	s_delay_alu instid0(VALU_DEP_1) | instskip(SKIP_1) | instid1(VALU_DEP_2)
	v_mbcnt_lo_u32_b32 v113, v18, 0
	v_cmp_ne_u32_e64 s17, 0, v18
	v_cmp_eq_u32_e64 s16, 0, v113
	s_delay_alu instid0(VALU_DEP_1) | instskip(NEXT) | instid1(SALU_CYCLE_1)
	s_and_b32 s17, s17, s16
	s_and_saveexec_b32 s16, s17
	s_cbranch_execz .LBB1021_277
; %bb.276:                              ;   in Loop: Header=BB1021_269 Depth=1
	s_waitcnt vmcnt(0) lgkmcnt(0)
	v_bcnt_u32_b32 v18, v18, v97
	flat_store_b32 v[82:83], v18
.LBB1021_277:                           ;   in Loop: Header=BB1021_269 Depth=1
	s_or_b32 exec_lo, exec_lo, s16
	; wave barrier
	s_waitcnt vmcnt(0) lgkmcnt(0)
	s_waitcnt_vscnt null, 0x0
	s_barrier
	buffer_gl0_inv
	s_clause 0x1
	flat_load_b128 v[22:25], v[8:9] offset:32
	flat_load_b128 v[18:21], v[31:32] offset:16
	s_waitcnt vmcnt(1) lgkmcnt(1)
	v_add_nc_u32_e32 v112, v23, v22
	s_delay_alu instid0(VALU_DEP_1) | instskip(SKIP_1) | instid1(VALU_DEP_1)
	v_add3_u32 v112, v112, v24, v25
	s_waitcnt vmcnt(0) lgkmcnt(0)
	v_add3_u32 v112, v112, v18, v19
	s_delay_alu instid0(VALU_DEP_1) | instskip(NEXT) | instid1(VALU_DEP_1)
	v_add3_u32 v21, v112, v20, v21
	v_mov_b32_dpp v112, v21 row_shr:1 row_mask:0xf bank_mask:0xf
	s_delay_alu instid0(VALU_DEP_1) | instskip(NEXT) | instid1(VALU_DEP_1)
	v_cndmask_b32_e64 v112, v112, 0, vcc_lo
	v_add_nc_u32_e32 v21, v112, v21
	s_delay_alu instid0(VALU_DEP_1) | instskip(NEXT) | instid1(VALU_DEP_1)
	v_mov_b32_dpp v112, v21 row_shr:2 row_mask:0xf bank_mask:0xf
	v_cndmask_b32_e64 v112, 0, v112, s0
	s_delay_alu instid0(VALU_DEP_1) | instskip(NEXT) | instid1(VALU_DEP_1)
	v_add_nc_u32_e32 v21, v21, v112
	v_mov_b32_dpp v112, v21 row_shr:4 row_mask:0xf bank_mask:0xf
	s_delay_alu instid0(VALU_DEP_1) | instskip(NEXT) | instid1(VALU_DEP_1)
	v_cndmask_b32_e64 v112, 0, v112, s1
	v_add_nc_u32_e32 v21, v21, v112
	s_delay_alu instid0(VALU_DEP_1) | instskip(NEXT) | instid1(VALU_DEP_1)
	v_mov_b32_dpp v112, v21 row_shr:8 row_mask:0xf bank_mask:0xf
	v_cndmask_b32_e64 v112, 0, v112, s2
	s_delay_alu instid0(VALU_DEP_1) | instskip(SKIP_3) | instid1(VALU_DEP_1)
	v_add_nc_u32_e32 v21, v21, v112
	ds_swizzle_b32 v112, v21 offset:swizzle(BROADCAST,32,15)
	s_waitcnt lgkmcnt(0)
	v_cndmask_b32_e64 v112, v112, 0, s3
	v_add_nc_u32_e32 v21, v21, v112
	s_and_saveexec_b32 s16, s4
	s_cbranch_execz .LBB1021_279
; %bb.278:                              ;   in Loop: Header=BB1021_269 Depth=1
	flat_store_b32 v[33:34], v21
.LBB1021_279:                           ;   in Loop: Header=BB1021_269 Depth=1
	s_or_b32 exec_lo, exec_lo, s16
	s_waitcnt lgkmcnt(0)
	s_waitcnt_vscnt null, 0x0
	s_barrier
	buffer_gl0_inv
	s_and_saveexec_b32 s16, s5
	s_cbranch_execz .LBB1021_281
; %bb.280:                              ;   in Loop: Header=BB1021_269 Depth=1
	flat_load_b32 v112, v[35:36]
	s_waitcnt vmcnt(0) lgkmcnt(0)
	v_mov_b32_dpp v114, v112 row_shr:1 row_mask:0xf bank_mask:0xf
	s_delay_alu instid0(VALU_DEP_1) | instskip(NEXT) | instid1(VALU_DEP_1)
	v_cndmask_b32_e64 v114, v114, 0, s11
	v_add_nc_u32_e32 v112, v114, v112
	s_delay_alu instid0(VALU_DEP_1) | instskip(NEXT) | instid1(VALU_DEP_1)
	v_mov_b32_dpp v114, v112 row_shr:2 row_mask:0xf bank_mask:0xf
	v_cndmask_b32_e64 v114, 0, v114, s14
	s_delay_alu instid0(VALU_DEP_1) | instskip(NEXT) | instid1(VALU_DEP_1)
	v_add_nc_u32_e32 v112, v112, v114
	v_mov_b32_dpp v114, v112 row_shr:4 row_mask:0xf bank_mask:0xf
	s_delay_alu instid0(VALU_DEP_1) | instskip(NEXT) | instid1(VALU_DEP_1)
	v_cndmask_b32_e64 v114, 0, v114, s15
	v_add_nc_u32_e32 v112, v112, v114
	flat_store_b32 v[35:36], v112
.LBB1021_281:                           ;   in Loop: Header=BB1021_269 Depth=1
	s_or_b32 exec_lo, exec_lo, s16
	v_mov_b32_e32 v112, 0
	s_waitcnt lgkmcnt(0)
	s_waitcnt_vscnt null, 0x0
	s_barrier
	buffer_gl0_inv
	s_and_saveexec_b32 s16, s6
	s_cbranch_execz .LBB1021_283
; %bb.282:                              ;   in Loop: Header=BB1021_269 Depth=1
	flat_load_b32 v112, v[48:49]
.LBB1021_283:                           ;   in Loop: Header=BB1021_269 Depth=1
	s_or_b32 exec_lo, exec_lo, s16
	s_waitcnt vmcnt(0) lgkmcnt(0)
	v_add_nc_u32_e32 v21, v112, v21
	v_add_nc_u32_e32 v10, 8, v10
	s_mov_b32 s18, -1
	ds_bpermute_b32 v21, v98, v21
	s_waitcnt lgkmcnt(0)
	v_cndmask_b32_e64 v21, v21, v112, s7
	v_mov_b32_e32 v112, v100
	s_delay_alu instid0(VALU_DEP_2) | instskip(NEXT) | instid1(VALU_DEP_1)
	v_cndmask_b32_e64 v21, v21, 0, s10
	v_add_nc_u32_e32 v22, v21, v22
	s_delay_alu instid0(VALU_DEP_1) | instskip(NEXT) | instid1(VALU_DEP_1)
	v_add_nc_u32_e32 v23, v22, v23
	v_add_nc_u32_e32 v24, v23, v24
	s_delay_alu instid0(VALU_DEP_1) | instskip(NEXT) | instid1(VALU_DEP_1)
	v_add_nc_u32_e32 v114, v24, v25
	;; [unrolled: 3-line block ×3, first 2 shown]
	v_add_nc_u32_e32 v117, v116, v20
	s_clause 0x1
	flat_store_b128 v[8:9], v[21:24] offset:32
	flat_store_b128 v[31:32], v[114:117] offset:16
	s_waitcnt lgkmcnt(0)
	s_waitcnt_vscnt null, 0x0
	s_barrier
	buffer_gl0_inv
	s_clause 0x3
	flat_load_b32 v18, v[68:69]
	flat_load_b32 v19, v[70:71]
	;; [unrolled: 1-line block ×4, first 2 shown]
	v_mov_b32_e32 v81, v5
	v_mov_b32_e32 v69, v5
	;; [unrolled: 1-line block ×3, first 2 shown]
	s_waitcnt vmcnt(0) lgkmcnt(0)
	v_add_nc_u32_e32 v4, v18, v4
	v_add3_u32 v68, v85, v84, v19
	v_add3_u32 v70, v96, v86, v20
	v_add3_u32 v80, v113, v97, v21
	s_delay_alu instid0(VALU_DEP_4) | instskip(NEXT) | instid1(VALU_DEP_4)
	v_lshlrev_b64 v[18:19], 1, v[4:5]
	v_lshlrev_b64 v[20:21], 1, v[68:69]
	s_delay_alu instid0(VALU_DEP_4) | instskip(NEXT) | instid1(VALU_DEP_4)
	v_lshlrev_b64 v[22:23], 1, v[70:71]
	v_lshlrev_b64 v[24:25], 1, v[80:81]
                                        ; implicit-def: $vgpr69
	s_delay_alu instid0(VALU_DEP_4) | instskip(NEXT) | instid1(VALU_DEP_1)
	v_add_co_u32 v81, s17, v12, v18
	v_add_co_ci_u32_e64 v82, s17, v13, v19, s17
	v_add_co_u32 v83, s17, v12, v20
	s_delay_alu instid0(VALU_DEP_1) | instskip(SKIP_1) | instid1(VALU_DEP_1)
	v_add_co_ci_u32_e64 v84, s17, v13, v21, s17
	v_add_co_u32 v85, s17, v12, v22
	v_add_co_ci_u32_e64 v86, s17, v13, v23, s17
	v_add_co_u32 v96, s17, v12, v24
	s_delay_alu instid0(VALU_DEP_1)
	v_add_co_ci_u32_e64 v97, s17, v13, v25, s17
	s_mov_b32 s17, exec_lo
                                        ; implicit-def: $vgpr18_vgpr19
                                        ; implicit-def: $vgpr20_vgpr21
                                        ; implicit-def: $vgpr22_vgpr23
                                        ; implicit-def: $vgpr24_vgpr25
	v_cmpx_lt_u32_e64 v10, v11
	s_cbranch_execz .LBB1021_268
; %bb.284:                              ;   in Loop: Header=BB1021_269 Depth=1
	s_barrier
	buffer_gl0_inv
	s_clause 0x3
	flat_store_b16 v[81:82], v100
	flat_store_b16 v[83:84], v102
	;; [unrolled: 1-line block ×4, first 2 shown]
	s_waitcnt lgkmcnt(0)
	s_waitcnt_vscnt null, 0x0
	s_barrier
	buffer_gl0_inv
	s_clause 0x1
	flat_load_u16 v100, v[37:38]
	flat_load_u16 v69, v[37:38] offset:128
	v_mad_u64_u32 v[18:19], null, v4, 6, v[81:82]
	v_mad_u64_u32 v[20:21], null, v68, 6, v[83:84]
	;; [unrolled: 1-line block ×4, first 2 shown]
	v_add_nc_u32_e32 v99, -8, v99
	s_xor_b32 s18, exec_lo, -1
	s_waitcnt vmcnt(1) lgkmcnt(1)
	flat_load_d16_hi_b16 v100, v[37:38] offset:64
	s_waitcnt vmcnt(1) lgkmcnt(1)
	flat_load_d16_hi_b16 v69, v[37:38] offset:192
	s_waitcnt vmcnt(0) lgkmcnt(0)
	s_barrier
	buffer_gl0_inv
	s_clause 0x3
	flat_store_b64 v[18:19], v[64:65]
	flat_store_b64 v[20:21], v[54:55]
	flat_store_b64 v[22:23], v[52:53]
	flat_store_b64 v[24:25], v[66:67]
	s_waitcnt lgkmcnt(0)
	s_waitcnt_vscnt null, 0x0
	s_barrier
	buffer_gl0_inv
	s_clause 0x3
	flat_load_b64 v[18:19], v[50:51]
	flat_load_b64 v[20:21], v[50:51] offset:256
	flat_load_b64 v[22:23], v[50:51] offset:512
	;; [unrolled: 1-line block ×3, first 2 shown]
	s_waitcnt vmcnt(0) lgkmcnt(0)
	s_barrier
	buffer_gl0_inv
	s_branch .LBB1021_268
.LBB1021_285:
	flat_load_b64 v[18:19], v[4:5]
	s_or_b32 exec_lo, exec_lo, s7
                                        ; implicit-def: $vgpr20_vgpr21
	s_and_saveexec_b32 s7, s0
	s_cbranch_execz .LBB1021_163
.LBB1021_286:
	flat_load_b64 v[20:21], v[4:5] offset:256
	s_or_b32 exec_lo, exec_lo, s7
                                        ; implicit-def: $vgpr22_vgpr23
	s_and_saveexec_b32 s0, s1
	s_cbranch_execz .LBB1021_164
.LBB1021_287:
	flat_load_b64 v[22:23], v[4:5] offset:512
	s_or_b32 exec_lo, exec_lo, s0
                                        ; implicit-def: $vgpr24_vgpr25
	s_and_saveexec_b32 s0, s2
	s_cbranch_execz .LBB1021_165
.LBB1021_288:
	flat_load_b64 v[24:25], v[4:5] offset:768
	s_or_b32 exec_lo, exec_lo, s0
                                        ; implicit-def: $vgpr84_vgpr85
	s_and_saveexec_b32 s0, s3
	s_cbranch_execz .LBB1021_166
.LBB1021_289:
	flat_load_b64 v[84:85], v[4:5] offset:1024
	s_or_b32 exec_lo, exec_lo, s0
                                        ; implicit-def: $vgpr86_vgpr87
	s_and_saveexec_b32 s0, s4
	s_cbranch_execz .LBB1021_167
.LBB1021_290:
	flat_load_b64 v[86:87], v[4:5] offset:1280
	s_or_b32 exec_lo, exec_lo, s0
                                        ; implicit-def: $vgpr96_vgpr97
	s_and_saveexec_b32 s0, s5
	s_cbranch_execz .LBB1021_168
.LBB1021_291:
	flat_load_b64 v[96:97], v[4:5] offset:1536
	s_or_b32 exec_lo, exec_lo, s0
                                        ; implicit-def: $vgpr98_vgpr99
	s_and_saveexec_b32 s0, s6
	s_cbranch_execnz .LBB1021_169
	s_branch .LBB1021_170
.LBB1021_292:
	flat_store_b64 v[0:1], v[20:21]
	s_or_b32 exec_lo, exec_lo, s7
	s_and_saveexec_b32 s7, s2
	s_cbranch_execz .LBB1021_244
.LBB1021_293:
	flat_store_b64 v[0:1], v[18:19] offset:2048
	s_or_b32 exec_lo, exec_lo, s7
	s_and_saveexec_b32 s2, s6
	s_cbranch_execz .LBB1021_245
.LBB1021_294:
	v_add_co_u32 v2, vcc_lo, 0x1000, v0
	v_add_co_ci_u32_e32 v3, vcc_lo, 0, v1, vcc_lo
	flat_store_b64 v[2:3], v[16:17]
	s_or_b32 exec_lo, exec_lo, s2
	s_and_saveexec_b32 s2, s5
	s_cbranch_execz .LBB1021_246
.LBB1021_295:
	v_add_co_u32 v2, vcc_lo, 0x1000, v0
	v_add_co_ci_u32_e32 v3, vcc_lo, 0, v1, vcc_lo
	flat_store_b64 v[2:3], v[14:15] offset:2048
	s_or_b32 exec_lo, exec_lo, s2
	s_and_saveexec_b32 s2, s4
	s_cbranch_execz .LBB1021_247
.LBB1021_296:
	v_add_co_u32 v2, vcc_lo, 0x2000, v0
	v_add_co_ci_u32_e32 v3, vcc_lo, 0, v1, vcc_lo
	flat_store_b64 v[2:3], v[12:13]
	s_or_b32 exec_lo, exec_lo, s2
	s_and_saveexec_b32 s2, s3
	s_cbranch_execz .LBB1021_248
.LBB1021_297:
	v_add_co_u32 v2, vcc_lo, 0x2000, v0
	v_add_co_ci_u32_e32 v3, vcc_lo, 0, v1, vcc_lo
	flat_store_b64 v[2:3], v[10:11] offset:2048
	s_or_b32 exec_lo, exec_lo, s2
	s_and_saveexec_b32 s2, s1
	s_cbranch_execz .LBB1021_249
.LBB1021_298:
	v_add_co_u32 v2, vcc_lo, 0x3000, v0
	v_add_co_ci_u32_e32 v3, vcc_lo, 0, v1, vcc_lo
	flat_store_b64 v[2:3], v[8:9]
	s_or_b32 exec_lo, exec_lo, s2
	s_and_saveexec_b32 s1, s0
	s_cbranch_execnz .LBB1021_250
	s_branch .LBB1021_251
.LBB1021_299:
	s_or_b32 exec_lo, exec_lo, s20
	v_dual_mov_b32 v28, 0 :: v_dual_lshlrev_b32 v5, 1, v26
	v_mad_u64_u32 v[10:11], null, v4, 6, v[81:82]
	v_mad_u64_u32 v[18:19], null, v80, 6, v[96:97]
	s_delay_alu instid0(VALU_DEP_3) | instskip(SKIP_3) | instid1(VALU_DEP_3)
	v_add_co_u32 v8, vcc_lo, v12, v5
	v_add_co_ci_u32_e32 v9, vcc_lo, 0, v13, vcc_lo
	v_mad_u64_u32 v[4:5], null, v68, 6, v[83:84]
	v_mad_u64_u32 v[12:13], null, v70, 6, v[85:86]
	;; [unrolled: 1-line block ×3, first 2 shown]
	s_barrier
	buffer_gl0_inv
	s_clause 0x3
	flat_store_b16 v[81:82], v112
	flat_store_b16 v[83:84], v102
	;; [unrolled: 1-line block ×4, first 2 shown]
	s_waitcnt lgkmcnt(0)
	s_waitcnt_vscnt null, 0x0
	s_barrier
	buffer_gl0_inv
	s_clause 0x3
	flat_load_u16 v17, v[8:9]
	flat_load_u16 v16, v[8:9] offset:512
	flat_load_u16 v15, v[8:9] offset:1024
	;; [unrolled: 1-line block ×3, first 2 shown]
	s_waitcnt vmcnt(0) lgkmcnt(0)
	s_barrier
	buffer_gl0_inv
	s_clause 0x3
	flat_store_b64 v[10:11], v[64:65]
	flat_store_b64 v[4:5], v[54:55]
	;; [unrolled: 1-line block ×4, first 2 shown]
	v_add_co_u32 v4, vcc_lo, 0x1000, v20
	v_add_co_ci_u32_e32 v5, vcc_lo, 0, v21, vcc_lo
	s_waitcnt lgkmcnt(0)
	s_waitcnt_vscnt null, 0x0
	s_barrier
	buffer_gl0_inv
	s_clause 0x3
	flat_load_b64 v[12:13], v[20:21]
	flat_load_b64 v[10:11], v[20:21] offset:2048
	flat_load_b64 v[8:9], v[4:5]
	flat_load_b64 v[4:5], v[4:5] offset:2048
	v_lshlrev_b64 v[18:19], 1, v[27:28]
	v_add_co_u32 v2, vcc_lo, v2, v29
	v_add_co_ci_u32_e32 v3, vcc_lo, v3, v30, vcc_lo
	s_waitcnt vmcnt(0) lgkmcnt(0)
	s_delay_alu instid0(VALU_DEP_2) | instskip(NEXT) | instid1(VALU_DEP_2)
	v_add_co_u32 v2, vcc_lo, v2, v18
	v_add_co_ci_u32_e32 v3, vcc_lo, v3, v19, vcc_lo
	v_cmp_lt_u32_e32 vcc_lo, v27, v47
	s_barrier
	buffer_gl0_inv
	s_and_saveexec_b32 s0, vcc_lo
	s_cbranch_execz .LBB1021_301
; %bb.300:
	v_xor_b32_e32 v17, 0xffff8000, v17
	flat_store_b16 v[2:3], v17
.LBB1021_301:
	s_or_b32 exec_lo, exec_lo, s0
	v_add_nc_u32_e32 v17, 0x100, v27
	s_delay_alu instid0(VALU_DEP_1) | instskip(NEXT) | instid1(VALU_DEP_1)
	v_cmp_lt_u32_e64 s0, v17, v47
	s_and_saveexec_b32 s1, s0
	s_cbranch_execz .LBB1021_303
; %bb.302:
	v_xor_b32_e32 v16, 0xffff8000, v16
	flat_store_b16 v[2:3], v16 offset:512
.LBB1021_303:
	s_or_b32 exec_lo, exec_lo, s1
	v_add_nc_u32_e32 v16, 0x200, v27
	s_delay_alu instid0(VALU_DEP_1) | instskip(NEXT) | instid1(VALU_DEP_1)
	v_cmp_lt_u32_e64 s2, v16, v47
	s_and_saveexec_b32 s1, s2
	s_cbranch_execz .LBB1021_305
; %bb.304:
	v_xor_b32_e32 v15, 0xffff8000, v15
	flat_store_b16 v[2:3], v15 offset:1024
.LBB1021_305:
	;; [unrolled: 10-line block ×3, first 2 shown]
	s_or_b32 exec_lo, exec_lo, s3
	v_lshlrev_b64 v[2:3], 3, v[27:28]
	v_add_co_u32 v0, s3, v6, v0
	s_delay_alu instid0(VALU_DEP_1) | instskip(NEXT) | instid1(VALU_DEP_2)
	v_add_co_ci_u32_e64 v1, s3, v7, v1, s3
	v_add_co_u32 v0, s3, v0, v2
	s_delay_alu instid0(VALU_DEP_1)
	v_add_co_ci_u32_e64 v1, s3, v1, v3, s3
	s_and_saveexec_b32 s3, vcc_lo
	s_cbranch_execnz .LBB1021_340
; %bb.308:
	s_or_b32 exec_lo, exec_lo, s3
	s_and_saveexec_b32 s3, s0
	s_cbranch_execnz .LBB1021_341
.LBB1021_309:
	s_or_b32 exec_lo, exec_lo, s3
	s_and_saveexec_b32 s0, s2
	s_cbranch_execnz .LBB1021_342
.LBB1021_310:
	s_or_b32 exec_lo, exec_lo, s0
	s_and_saveexec_b32 s0, s1
	s_cbranch_execz .LBB1021_312
.LBB1021_311:
	v_add_co_u32 v0, vcc_lo, 0x1000, v0
	v_add_co_ci_u32_e32 v1, vcc_lo, 0, v1, vcc_lo
	flat_store_b64 v[0:1], v[4:5] offset:2048
.LBB1021_312:
	s_or_b32 exec_lo, exec_lo, s0
                                        ; implicit-def: $vgpr47
                                        ; implicit-def: $vgpr0
                                        ; implicit-def: $vgpr1
                                        ; implicit-def: $vgpr2
                                        ; implicit-def: $vgpr3
                                        ; implicit-def: $vgpr4
                                        ; implicit-def: $vgpr5
                                        ; implicit-def: $vgpr6
                                        ; implicit-def: $vgpr7
                                        ; implicit-def: $vgpr8
                                        ; implicit-def: $vgpr10
                                        ; implicit-def: $vgpr11
                                        ; implicit-def: $vgpr12
                                        ; implicit-def: $vgpr13
                                        ; implicit-def: $vgpr14
                                        ; implicit-def: $vgpr15
                                        ; implicit-def: $vgpr26
                                        ; implicit-def: $vgpr35
.LBB1021_313:
	s_and_not1_saveexec_b32 s0, s19
	s_cbranch_execz .LBB1021_372
; %bb.314:
	s_load_b64 s[0:1], s[8:9], 0x0
	v_mov_b32_e32 v9, 0
	s_delay_alu instid0(VALU_DEP_1) | instskip(SKIP_3) | instid1(SALU_CYCLE_1)
	v_lshlrev_b64 v[29:30], 1, v[8:9]
	s_waitcnt lgkmcnt(0)
	s_cmp_lt_u32 s13, s1
	s_cselect_b32 s1, 14, 20
	s_add_u32 s2, s8, s1
	s_addc_u32 s3, s9, 0
	s_cmp_lt_u32 s12, s0
	global_load_u16 v16, v9, s[2:3]
	s_cselect_b32 s0, 12, 18
	s_delay_alu instid0(SALU_CYCLE_1)
	s_add_u32 s0, s8, s0
	s_addc_u32 s1, s9, 0
	global_load_u16 v17, v9, s[0:1]
	s_mov_b32 s0, exec_lo
	s_waitcnt vmcnt(1)
	v_mad_u32_u24 v14, v15, v16, v14
	s_waitcnt vmcnt(0)
	s_delay_alu instid0(VALU_DEP_1)
	v_mad_u64_u32 v[27:28], null, v14, v17, v[26:27]
	v_cmpx_lt_u32_e32 0x100, v47
	s_xor_b32 s15, exec_lo, s0
	s_cbranch_execz .LBB1021_352
; %bb.315:
	s_delay_alu instid0(VALU_DEP_2) | instskip(SKIP_2) | instid1(VALU_DEP_3)
	v_dual_mov_b32 v15, v9 :: v_dual_lshlrev_b32 v14, 1, v27
	v_lshlrev_b32_e32 v16, 1, v35
	v_add_co_u32 v17, vcc_lo, v0, v29
	v_and_b32_e32 v14, 0xffffffc0, v14
	v_add_co_ci_u32_e32 v18, vcc_lo, v1, v30, vcc_lo
	s_delay_alu instid0(VALU_DEP_3) | instskip(NEXT) | instid1(VALU_DEP_3)
	v_add_co_u32 v16, vcc_lo, v17, v16
	v_lshlrev_b64 v[0:1], 1, v[14:15]
	s_delay_alu instid0(VALU_DEP_3) | instskip(SKIP_1) | instid1(VALU_DEP_3)
	v_add_co_ci_u32_e32 v18, vcc_lo, 0, v18, vcc_lo
	v_or_b32_e32 v17, v35, v14
	v_add_co_u32 v0, vcc_lo, v16, v0
	s_delay_alu instid0(VALU_DEP_3) | instskip(NEXT) | instid1(VALU_DEP_3)
	v_add_co_ci_u32_e32 v1, vcc_lo, v18, v1, vcc_lo
	v_cmp_lt_u32_e32 vcc_lo, v17, v47
	v_mov_b32_e32 v16, 0x7fff7fff
	s_and_saveexec_b32 s0, vcc_lo
	s_cbranch_execz .LBB1021_317
; %bb.316:
	v_mov_b32_e32 v16, 0x7fff0000
	flat_load_d16_b16 v16, v[0:1]
.LBB1021_317:
	s_or_b32 exec_lo, exec_lo, s0
	v_or_b32_e32 v17, 32, v17
	s_delay_alu instid0(VALU_DEP_1) | instskip(NEXT) | instid1(VALU_DEP_1)
	v_cmp_lt_u32_e64 s0, v17, v47
	s_and_saveexec_b32 s1, s0
	s_cbranch_execz .LBB1021_319
; %bb.318:
	s_waitcnt vmcnt(0) lgkmcnt(0)
	flat_load_d16_hi_b16 v16, v[0:1] offset:64
.LBB1021_319:
	s_or_b32 exec_lo, exec_lo, s1
	v_lshlrev_b64 v[0:1], 3, v[8:9]
	v_lshlrev_b32_e32 v8, 3, v35
                                        ; implicit-def: $vgpr18_vgpr19
	s_delay_alu instid0(VALU_DEP_2) | instskip(NEXT) | instid1(VALU_DEP_1)
	v_add_co_u32 v9, s1, v4, v0
	v_add_co_ci_u32_e64 v17, s1, v5, v1, s1
	v_lshlrev_b64 v[4:5], 3, v[14:15]
	s_delay_alu instid0(VALU_DEP_3) | instskip(NEXT) | instid1(VALU_DEP_1)
	v_add_co_u32 v8, s1, v9, v8
	v_add_co_ci_u32_e64 v9, s1, 0, v17, s1
	s_delay_alu instid0(VALU_DEP_2) | instskip(NEXT) | instid1(VALU_DEP_1)
	v_add_co_u32 v4, s1, v8, v4
	v_add_co_ci_u32_e64 v5, s1, v9, v5, s1
	s_and_saveexec_b32 s1, vcc_lo
	s_cbranch_execz .LBB1021_321
; %bb.320:
	flat_load_b64 v[18:19], v[4:5]
.LBB1021_321:
	s_or_b32 exec_lo, exec_lo, s1
                                        ; implicit-def: $vgpr20_vgpr21
	s_and_saveexec_b32 s1, s0
	s_cbranch_execz .LBB1021_323
; %bb.322:
	flat_load_b64 v[20:21], v[4:5] offset:256
.LBB1021_323:
	s_or_b32 exec_lo, exec_lo, s1
	v_dual_mov_b32 v5, 0 :: v_dual_lshlrev_b32 v4, 5, v26
	s_mov_b32 s16, 0
	s_waitcnt vmcnt(0) lgkmcnt(0)
	v_xor_b32_e32 v28, 0x80008000, v16
	v_add_co_u32 v39, vcc_lo, v12, 32
	s_mov_b32 s17, s16
	s_mov_b32 s18, s16
	;; [unrolled: 1-line block ×3, first 2 shown]
	v_add_nc_u32_e32 v16, -1, v35
	v_and_b32_e32 v15, 0x3e0, v26
	v_add_co_ci_u32_e32 v68, vcc_lo, 0, v13, vcc_lo
	v_add_co_u32 v8, vcc_lo, v12, v4
	v_add_co_ci_u32_e32 v9, vcc_lo, 0, v13, vcc_lo
	v_and_b32_e32 v14, 15, v35
	v_cmp_gt_i32_e64 s4, 0, v16
	v_add_co_u32 v31, vcc_lo, v39, v4
	v_min_u32_e32 v4, 0xe0, v15
	v_and_b32_e32 v15, 16, v35
	s_getpc_b64 s[0:1]
	s_add_u32 s0, s0, _ZN7rocprim17ROCPRIM_400000_NS16block_radix_sortIsLj256ELj2ElLj1ELj1ELj8ELNS0_26block_radix_rank_algorithmE2ELNS0_18block_padding_hintE2ELNS0_4arch9wavefront6targetE0EE19radix_bits_per_passE@rel32@lo+4
	s_addc_u32 s1, s1, _ZN7rocprim17ROCPRIM_400000_NS16block_radix_sortIsLj256ELj2ElLj1ELj1ELj8ELNS0_26block_radix_rank_algorithmE2ELNS0_18block_padding_hintE2ELNS0_4arch9wavefront6targetE0EE19radix_bits_per_passE@rel32@hi+12
	v_add_co_ci_u32_e32 v32, vcc_lo, 0, v68, vcc_lo
	s_load_b32 s20, s[0:1], 0x0
	v_cmp_eq_u32_e32 vcc_lo, 0, v14
	v_cmp_lt_u32_e64 s0, 1, v14
	v_cmp_lt_u32_e64 s1, 3, v14
	;; [unrolled: 1-line block ×3, first 2 shown]
	v_cndmask_b32_e64 v14, v16, v35, s4
	v_lshlrev_b32_e32 v16, 1, v26
	v_or_b32_e32 v4, 31, v4
	v_cmp_eq_u32_e64 s3, 0, v15
	v_lshrrev_b32_e32 v15, 5, v26
	v_lshlrev_b32_e32 v70, 2, v14
	v_and_or_b32 v16, 0x7c0, v16, v35
	v_cmp_eq_u32_e64 s4, v4, v26
	v_lshlrev_b32_e32 v14, 2, v26
	v_lshlrev_b32_e32 v4, 2, v15
	v_cmp_eq_u32_e64 s7, 0, v35
	v_lshlrev_b32_e32 v22, 1, v16
	v_and_b32_e32 v17, 7, v35
	v_lshrrev_b32_e32 v69, 5, v27
	v_add_co_u32 v33, s9, v12, v4
	v_add_nc_u32_e32 v4, -1, v15
	v_add_co_ci_u32_e64 v34, s9, 0, v13, s9
	v_add_co_u32 v37, s12, v12, v22
	v_add_co_u32 v35, s9, v12, v14
	s_delay_alu instid0(VALU_DEP_4) | instskip(SKIP_3) | instid1(VALU_DEP_4)
	v_lshlrev_b64 v[14:15], 2, v[4:5]
	v_add_co_ci_u32_e64 v38, s12, 0, v13, s12
	v_add_co_ci_u32_e64 v36, s9, 0, v13, s9
	v_cmp_eq_u32_e64 s9, 0, v17
	v_add_co_u32 v48, s12, v12, v14
	s_delay_alu instid0(VALU_DEP_4)
	v_mad_u64_u32 v[50:51], null, v16, 6, v[37:38]
	v_cmp_lt_u32_e64 s10, 1, v17
	v_cmp_lt_u32_e64 s11, 3, v17
	v_add_co_ci_u32_e64 v49, s12, v13, v15, s12
	v_dual_mov_b32 v14, s16 :: v_dual_mov_b32 v15, s17
	v_cmp_gt_u32_e64 s5, 8, v26
	v_cmp_lt_u32_e64 s6, 31, v26
	v_cmp_eq_u32_e64 s8, 0, v26
	v_sub_nc_u32_e32 v71, v11, v10
	v_dual_mov_b32 v16, s18 :: v_dual_mov_b32 v17, s19
	s_waitcnt lgkmcnt(0)
	s_waitcnt_vscnt null, 0x0
	s_barrier
	buffer_gl0_inv
	s_branch .LBB1021_325
.LBB1021_324:                           ;   in Loop: Header=BB1021_325 Depth=1
	s_or_b32 exec_lo, exec_lo, s13
	s_delay_alu instid0(SALU_CYCLE_1) | instskip(NEXT) | instid1(SALU_CYCLE_1)
	s_and_b32 s12, exec_lo, s14
	s_or_b32 s16, s12, s16
	s_delay_alu instid0(SALU_CYCLE_1)
	s_and_not1_b32 exec_lo, exec_lo, s16
	s_cbranch_execz .LBB1021_343
.LBB1021_325:                           ; =>This Inner Loop Header: Depth=1
	v_min_u32_e32 v4, s20, v71
	v_and_b32_e32 v22, 0xffff, v28
	s_clause 0x1
	flat_store_b128 v[8:9], v[14:17] offset:32
	flat_store_b128 v[31:32], v[14:17] offset:16
	s_waitcnt lgkmcnt(0)
	s_waitcnt_vscnt null, 0x0
	s_barrier
	v_lshlrev_b32_e64 v4, v4, -1
	v_lshrrev_b32_e32 v23, v10, v22
	buffer_gl0_inv
	; wave barrier
	v_not_b32_e32 v22, v4
	s_delay_alu instid0(VALU_DEP_1) | instskip(NEXT) | instid1(VALU_DEP_1)
	v_and_b32_e32 v4, v23, v22
	v_and_b32_e32 v23, 1, v4
	v_lshlrev_b32_e32 v24, 30, v4
	v_lshlrev_b32_e32 v25, 29, v4
	;; [unrolled: 1-line block ×4, first 2 shown]
	v_add_co_u32 v23, s12, v23, -1
	s_delay_alu instid0(VALU_DEP_1)
	v_cndmask_b32_e64 v53, 0, 1, s12
	v_not_b32_e32 v65, v24
	v_cmp_gt_i32_e64 s13, 0, v24
	v_not_b32_e32 v24, v25
	v_lshlrev_b32_e32 v55, 26, v4
	v_cmp_ne_u32_e64 s12, 0, v53
	v_ashrrev_i32_e32 v65, 31, v65
	v_lshlrev_b32_e32 v64, 25, v4
	v_ashrrev_i32_e32 v24, 31, v24
	v_lshlrev_b32_e32 v53, 24, v4
	v_xor_b32_e32 v23, s12, v23
	v_cmp_gt_i32_e64 s12, 0, v25
	v_not_b32_e32 v25, v52
	v_xor_b32_e32 v65, s13, v65
	v_cmp_gt_i32_e64 s13, 0, v52
	v_and_b32_e32 v23, exec_lo, v23
	v_not_b32_e32 v52, v54
	v_ashrrev_i32_e32 v25, 31, v25
	v_xor_b32_e32 v24, s12, v24
	v_cmp_gt_i32_e64 s12, 0, v54
	v_and_b32_e32 v23, v23, v65
	v_not_b32_e32 v54, v55
	v_ashrrev_i32_e32 v52, 31, v52
	v_xor_b32_e32 v25, s13, v25
	v_cmp_gt_i32_e64 s13, 0, v55
	v_and_b32_e32 v23, v23, v24
	;; [unrolled: 5-line block ×4, first 2 shown]
	v_ashrrev_i32_e32 v25, 31, v25
	v_xor_b32_e32 v24, s12, v24
	v_dual_mov_b32 v53, v21 :: v_dual_mov_b32 v52, v20
	s_delay_alu instid0(VALU_DEP_4) | instskip(NEXT) | instid1(VALU_DEP_4)
	v_and_b32_e32 v23, v23, v54
	v_xor_b32_e32 v25, s13, v25
	v_dual_mov_b32 v55, v19 :: v_dual_mov_b32 v54, v18
	v_lshlrev_b32_e32 v18, 3, v4
	s_delay_alu instid0(VALU_DEP_4) | instskip(NEXT) | instid1(VALU_DEP_2)
	v_and_b32_e32 v23, v23, v24
	v_add_lshl_u32 v18, v18, v69, 2
	s_delay_alu instid0(VALU_DEP_2) | instskip(NEXT) | instid1(VALU_DEP_2)
	v_and_b32_e32 v20, v23, v25
	v_add_co_u32 v64, s14, v39, v18
	s_delay_alu instid0(VALU_DEP_2) | instskip(SKIP_2) | instid1(VALU_DEP_3)
	v_mbcnt_lo_u32_b32 v4, v20, 0
	v_cmp_ne_u32_e64 s12, 0, v20
	v_add_co_ci_u32_e64 v65, s14, 0, v68, s14
	v_cmp_eq_u32_e64 s13, 0, v4
	s_delay_alu instid0(VALU_DEP_1) | instskip(NEXT) | instid1(SALU_CYCLE_1)
	s_and_b32 s13, s12, s13
	s_and_saveexec_b32 s12, s13
	s_cbranch_execz .LBB1021_327
; %bb.326:                              ;   in Loop: Header=BB1021_325 Depth=1
	v_bcnt_u32_b32 v18, v20, 0
	flat_store_b32 v[64:65], v18
.LBB1021_327:                           ;   in Loop: Header=BB1021_325 Depth=1
	s_or_b32 exec_lo, exec_lo, s12
	v_lshrrev_b32_e32 v80, 16, v28
	; wave barrier
	s_delay_alu instid0(VALU_DEP_1) | instskip(NEXT) | instid1(VALU_DEP_1)
	v_lshrrev_b32_e32 v18, v10, v80
	v_and_b32_e32 v18, v18, v22
	s_delay_alu instid0(VALU_DEP_1) | instskip(SKIP_3) | instid1(VALU_DEP_4)
	v_lshlrev_b32_e32 v19, 3, v18
	v_lshlrev_b32_e32 v21, 30, v18
	;; [unrolled: 1-line block ×4, first 2 shown]
	v_add_lshl_u32 v19, v19, v69, 2
	s_delay_alu instid0(VALU_DEP_1) | instskip(NEXT) | instid1(VALU_DEP_1)
	v_add_co_u32 v66, s12, v39, v19
	v_add_co_ci_u32_e64 v67, s12, 0, v68, s12
	v_and_b32_e32 v19, 1, v18
	flat_load_b32 v81, v[66:67]
	v_add_co_u32 v19, s12, v19, -1
	s_delay_alu instid0(VALU_DEP_1) | instskip(NEXT) | instid1(VALU_DEP_1)
	v_cndmask_b32_e64 v20, 0, 1, s12
	; wave barrier
	v_cmp_ne_u32_e64 s12, 0, v20
	v_not_b32_e32 v20, v21
	s_delay_alu instid0(VALU_DEP_2) | instskip(SKIP_1) | instid1(VALU_DEP_3)
	v_xor_b32_e32 v19, s12, v19
	v_cmp_gt_i32_e64 s12, 0, v21
	v_ashrrev_i32_e32 v20, 31, v20
	v_not_b32_e32 v21, v22
	s_delay_alu instid0(VALU_DEP_4) | instskip(NEXT) | instid1(VALU_DEP_3)
	v_and_b32_e32 v19, exec_lo, v19
	v_xor_b32_e32 v20, s12, v20
	v_cmp_gt_i32_e64 s12, 0, v22
	s_delay_alu instid0(VALU_DEP_4) | instskip(SKIP_1) | instid1(VALU_DEP_4)
	v_ashrrev_i32_e32 v21, 31, v21
	v_not_b32_e32 v22, v23
	v_and_b32_e32 v19, v19, v20
	v_lshlrev_b32_e32 v20, 27, v18
	s_delay_alu instid0(VALU_DEP_4) | instskip(SKIP_2) | instid1(VALU_DEP_4)
	v_xor_b32_e32 v21, s12, v21
	v_cmp_gt_i32_e64 s12, 0, v23
	v_ashrrev_i32_e32 v22, 31, v22
	v_not_b32_e32 v23, v20
	s_delay_alu instid0(VALU_DEP_4) | instskip(SKIP_1) | instid1(VALU_DEP_4)
	v_and_b32_e32 v19, v19, v21
	v_lshlrev_b32_e32 v21, 26, v18
	v_xor_b32_e32 v22, s12, v22
	v_cmp_gt_i32_e64 s12, 0, v20
	v_ashrrev_i32_e32 v20, 31, v23
	s_delay_alu instid0(VALU_DEP_4) | instskip(NEXT) | instid1(VALU_DEP_4)
	v_not_b32_e32 v23, v21
	v_and_b32_e32 v19, v19, v22
	v_lshlrev_b32_e32 v22, 25, v18
	s_delay_alu instid0(VALU_DEP_4)
	v_xor_b32_e32 v20, s12, v20
	v_cmp_gt_i32_e64 s12, 0, v21
	v_ashrrev_i32_e32 v21, 31, v23
	v_lshlrev_b32_e32 v18, 24, v18
	v_not_b32_e32 v23, v22
	v_and_b32_e32 v19, v19, v20
	s_delay_alu instid0(VALU_DEP_4) | instskip(SKIP_1) | instid1(VALU_DEP_4)
	v_xor_b32_e32 v20, s12, v21
	v_cmp_gt_i32_e64 s12, 0, v22
	v_ashrrev_i32_e32 v21, 31, v23
	v_not_b32_e32 v22, v18
	s_delay_alu instid0(VALU_DEP_4) | instskip(NEXT) | instid1(VALU_DEP_3)
	v_and_b32_e32 v19, v19, v20
	v_xor_b32_e32 v20, s12, v21
	v_cmp_gt_i32_e64 s12, 0, v18
	s_delay_alu instid0(VALU_DEP_4) | instskip(NEXT) | instid1(VALU_DEP_3)
	v_ashrrev_i32_e32 v18, 31, v22
	v_and_b32_e32 v19, v19, v20
	s_delay_alu instid0(VALU_DEP_2) | instskip(NEXT) | instid1(VALU_DEP_1)
	v_xor_b32_e32 v18, s12, v18
	v_and_b32_e32 v18, v19, v18
	s_delay_alu instid0(VALU_DEP_1) | instskip(SKIP_1) | instid1(VALU_DEP_2)
	v_mbcnt_lo_u32_b32 v82, v18, 0
	v_cmp_ne_u32_e64 s13, 0, v18
	v_cmp_eq_u32_e64 s12, 0, v82
	s_delay_alu instid0(VALU_DEP_1) | instskip(NEXT) | instid1(SALU_CYCLE_1)
	s_and_b32 s13, s13, s12
	s_and_saveexec_b32 s12, s13
	s_cbranch_execz .LBB1021_329
; %bb.328:                              ;   in Loop: Header=BB1021_325 Depth=1
	s_waitcnt vmcnt(0) lgkmcnt(0)
	v_bcnt_u32_b32 v18, v18, v81
	flat_store_b32 v[66:67], v18
.LBB1021_329:                           ;   in Loop: Header=BB1021_325 Depth=1
	s_or_b32 exec_lo, exec_lo, s12
	; wave barrier
	s_waitcnt vmcnt(0) lgkmcnt(0)
	s_waitcnt_vscnt null, 0x0
	s_barrier
	buffer_gl0_inv
	s_clause 0x1
	flat_load_b128 v[22:25], v[8:9] offset:32
	flat_load_b128 v[18:21], v[31:32] offset:16
	s_waitcnt vmcnt(1) lgkmcnt(1)
	v_add_nc_u32_e32 v83, v23, v22
	s_delay_alu instid0(VALU_DEP_1) | instskip(SKIP_1) | instid1(VALU_DEP_1)
	v_add3_u32 v83, v83, v24, v25
	s_waitcnt vmcnt(0) lgkmcnt(0)
	v_add3_u32 v83, v83, v18, v19
	s_delay_alu instid0(VALU_DEP_1) | instskip(NEXT) | instid1(VALU_DEP_1)
	v_add3_u32 v21, v83, v20, v21
	v_mov_b32_dpp v83, v21 row_shr:1 row_mask:0xf bank_mask:0xf
	s_delay_alu instid0(VALU_DEP_1) | instskip(NEXT) | instid1(VALU_DEP_1)
	v_cndmask_b32_e64 v83, v83, 0, vcc_lo
	v_add_nc_u32_e32 v21, v83, v21
	s_delay_alu instid0(VALU_DEP_1) | instskip(NEXT) | instid1(VALU_DEP_1)
	v_mov_b32_dpp v83, v21 row_shr:2 row_mask:0xf bank_mask:0xf
	v_cndmask_b32_e64 v83, 0, v83, s0
	s_delay_alu instid0(VALU_DEP_1) | instskip(NEXT) | instid1(VALU_DEP_1)
	v_add_nc_u32_e32 v21, v21, v83
	v_mov_b32_dpp v83, v21 row_shr:4 row_mask:0xf bank_mask:0xf
	s_delay_alu instid0(VALU_DEP_1) | instskip(NEXT) | instid1(VALU_DEP_1)
	v_cndmask_b32_e64 v83, 0, v83, s1
	v_add_nc_u32_e32 v21, v21, v83
	s_delay_alu instid0(VALU_DEP_1) | instskip(NEXT) | instid1(VALU_DEP_1)
	v_mov_b32_dpp v83, v21 row_shr:8 row_mask:0xf bank_mask:0xf
	v_cndmask_b32_e64 v83, 0, v83, s2
	s_delay_alu instid0(VALU_DEP_1) | instskip(SKIP_3) | instid1(VALU_DEP_1)
	v_add_nc_u32_e32 v21, v21, v83
	ds_swizzle_b32 v83, v21 offset:swizzle(BROADCAST,32,15)
	s_waitcnt lgkmcnt(0)
	v_cndmask_b32_e64 v83, v83, 0, s3
	v_add_nc_u32_e32 v21, v21, v83
	s_and_saveexec_b32 s12, s4
	s_cbranch_execz .LBB1021_331
; %bb.330:                              ;   in Loop: Header=BB1021_325 Depth=1
	flat_store_b32 v[33:34], v21
.LBB1021_331:                           ;   in Loop: Header=BB1021_325 Depth=1
	s_or_b32 exec_lo, exec_lo, s12
	s_waitcnt lgkmcnt(0)
	s_waitcnt_vscnt null, 0x0
	s_barrier
	buffer_gl0_inv
	s_and_saveexec_b32 s12, s5
	s_cbranch_execz .LBB1021_333
; %bb.332:                              ;   in Loop: Header=BB1021_325 Depth=1
	flat_load_b32 v83, v[35:36]
	s_waitcnt vmcnt(0) lgkmcnt(0)
	v_mov_b32_dpp v84, v83 row_shr:1 row_mask:0xf bank_mask:0xf
	s_delay_alu instid0(VALU_DEP_1) | instskip(NEXT) | instid1(VALU_DEP_1)
	v_cndmask_b32_e64 v84, v84, 0, s9
	v_add_nc_u32_e32 v83, v84, v83
	s_delay_alu instid0(VALU_DEP_1) | instskip(NEXT) | instid1(VALU_DEP_1)
	v_mov_b32_dpp v84, v83 row_shr:2 row_mask:0xf bank_mask:0xf
	v_cndmask_b32_e64 v84, 0, v84, s10
	s_delay_alu instid0(VALU_DEP_1) | instskip(NEXT) | instid1(VALU_DEP_1)
	v_add_nc_u32_e32 v83, v83, v84
	v_mov_b32_dpp v84, v83 row_shr:4 row_mask:0xf bank_mask:0xf
	s_delay_alu instid0(VALU_DEP_1) | instskip(NEXT) | instid1(VALU_DEP_1)
	v_cndmask_b32_e64 v84, 0, v84, s11
	v_add_nc_u32_e32 v83, v83, v84
	flat_store_b32 v[35:36], v83
.LBB1021_333:                           ;   in Loop: Header=BB1021_325 Depth=1
	s_or_b32 exec_lo, exec_lo, s12
	v_mov_b32_e32 v83, 0
	s_waitcnt lgkmcnt(0)
	s_waitcnt_vscnt null, 0x0
	s_barrier
	buffer_gl0_inv
	s_and_saveexec_b32 s12, s6
	s_cbranch_execz .LBB1021_335
; %bb.334:                              ;   in Loop: Header=BB1021_325 Depth=1
	flat_load_b32 v83, v[48:49]
.LBB1021_335:                           ;   in Loop: Header=BB1021_325 Depth=1
	s_or_b32 exec_lo, exec_lo, s12
	s_waitcnt vmcnt(0) lgkmcnt(0)
	v_add_nc_u32_e32 v21, v83, v21
	v_add_nc_u32_e32 v10, 8, v10
	s_mov_b32 s14, -1
	ds_bpermute_b32 v21, v70, v21
	s_waitcnt lgkmcnt(0)
	v_cndmask_b32_e64 v21, v21, v83, s7
	s_delay_alu instid0(VALU_DEP_1) | instskip(NEXT) | instid1(VALU_DEP_1)
	v_cndmask_b32_e64 v21, v21, 0, s8
	v_add_nc_u32_e32 v22, v21, v22
	s_delay_alu instid0(VALU_DEP_1) | instskip(NEXT) | instid1(VALU_DEP_1)
	v_add_nc_u32_e32 v23, v22, v23
	v_add_nc_u32_e32 v24, v23, v24
	s_delay_alu instid0(VALU_DEP_1) | instskip(NEXT) | instid1(VALU_DEP_1)
	v_add_nc_u32_e32 v83, v24, v25
	v_dual_mov_b32 v25, v28 :: v_dual_add_nc_u32 v84, v83, v18
	s_delay_alu instid0(VALU_DEP_1) | instskip(NEXT) | instid1(VALU_DEP_1)
	v_add_nc_u32_e32 v85, v84, v19
	v_add_nc_u32_e32 v86, v85, v20
	s_clause 0x1
	flat_store_b128 v[8:9], v[21:24] offset:32
	flat_store_b128 v[31:32], v[83:86] offset:16
	v_mov_b32_e32 v23, v5
	s_waitcnt lgkmcnt(0)
	s_waitcnt_vscnt null, 0x0
	s_barrier
	buffer_gl0_inv
	s_clause 0x1
	flat_load_b32 v18, v[64:65]
	flat_load_b32 v19, v[66:67]
	s_waitcnt vmcnt(0) lgkmcnt(0)
	v_add_nc_u32_e32 v4, v18, v4
	v_add3_u32 v22, v82, v81, v19
	s_delay_alu instid0(VALU_DEP_2) | instskip(NEXT) | instid1(VALU_DEP_2)
	v_lshlrev_b64 v[18:19], 1, v[4:5]
	v_lshlrev_b64 v[20:21], 1, v[22:23]
	s_delay_alu instid0(VALU_DEP_2) | instskip(NEXT) | instid1(VALU_DEP_1)
	v_add_co_u32 v23, s13, v12, v18
	v_add_co_ci_u32_e64 v24, s13, v13, v19, s13
	s_delay_alu instid0(VALU_DEP_3) | instskip(NEXT) | instid1(VALU_DEP_1)
	v_add_co_u32 v64, s13, v12, v20
	v_add_co_ci_u32_e64 v65, s13, v13, v21, s13
	s_mov_b32 s13, exec_lo
                                        ; implicit-def: $vgpr20_vgpr21
                                        ; implicit-def: $vgpr18_vgpr19
	v_cmpx_lt_u32_e64 v10, v11
	s_cbranch_execz .LBB1021_324
; %bb.336:                              ;   in Loop: Header=BB1021_325 Depth=1
	s_barrier
	buffer_gl0_inv
	s_clause 0x1
	flat_store_b16 v[23:24], v28
	flat_store_b16 v[64:65], v80
	s_waitcnt lgkmcnt(0)
	s_waitcnt_vscnt null, 0x0
	s_barrier
	buffer_gl0_inv
	flat_load_u16 v28, v[37:38]
	v_mad_u64_u32 v[18:19], null, v4, 6, v[23:24]
	v_mad_u64_u32 v[20:21], null, v22, 6, v[64:65]
	v_add_nc_u32_e32 v71, -8, v71
	s_xor_b32 s14, exec_lo, -1
	s_waitcnt vmcnt(0) lgkmcnt(0)
	flat_load_d16_hi_b16 v28, v[37:38] offset:64
	s_waitcnt vmcnt(0) lgkmcnt(0)
	s_barrier
	buffer_gl0_inv
	s_clause 0x1
	flat_store_b64 v[18:19], v[54:55]
	flat_store_b64 v[20:21], v[52:53]
	s_waitcnt lgkmcnt(0)
	s_waitcnt_vscnt null, 0x0
	s_barrier
	buffer_gl0_inv
	s_clause 0x1
	flat_load_b64 v[18:19], v[50:51]
	flat_load_b64 v[20:21], v[50:51] offset:256
	s_waitcnt vmcnt(0) lgkmcnt(0)
	s_barrier
	buffer_gl0_inv
	s_branch .LBB1021_324
.LBB1021_337:
	flat_load_b64 v[18:19], v[4:5]
	s_or_b32 exec_lo, exec_lo, s3
                                        ; implicit-def: $vgpr20_vgpr21
	s_and_saveexec_b32 s3, s0
	s_cbranch_execz .LBB1021_264
.LBB1021_338:
	flat_load_b64 v[20:21], v[4:5] offset:256
	s_or_b32 exec_lo, exec_lo, s3
                                        ; implicit-def: $vgpr22_vgpr23
	s_and_saveexec_b32 s0, s1
	s_cbranch_execz .LBB1021_265
.LBB1021_339:
	flat_load_b64 v[22:23], v[4:5] offset:512
	s_or_b32 exec_lo, exec_lo, s0
                                        ; implicit-def: $vgpr24_vgpr25
	s_and_saveexec_b32 s0, s2
	s_cbranch_execnz .LBB1021_266
	s_branch .LBB1021_267
.LBB1021_340:
	flat_store_b64 v[0:1], v[12:13]
	s_or_b32 exec_lo, exec_lo, s3
	s_and_saveexec_b32 s3, s0
	s_cbranch_execz .LBB1021_309
.LBB1021_341:
	flat_store_b64 v[0:1], v[10:11] offset:2048
	s_or_b32 exec_lo, exec_lo, s3
	s_and_saveexec_b32 s0, s2
	s_cbranch_execz .LBB1021_310
.LBB1021_342:
	v_add_co_u32 v2, vcc_lo, 0x1000, v0
	v_add_co_ci_u32_e32 v3, vcc_lo, 0, v1, vcc_lo
	flat_store_b64 v[2:3], v[8:9]
	s_or_b32 exec_lo, exec_lo, s0
	s_and_saveexec_b32 s0, s1
	s_cbranch_execnz .LBB1021_311
	s_branch .LBB1021_312
.LBB1021_343:
	s_or_b32 exec_lo, exec_lo, s16
	v_dual_mov_b32 v28, 0 :: v_dual_lshlrev_b32 v5, 1, v26
	s_barrier
	buffer_gl0_inv
	s_clause 0x1
	flat_store_b16 v[23:24], v25
	flat_store_b16 v[64:65], v80
	v_add_co_u32 v8, vcc_lo, v12, v5
	v_add_co_ci_u32_e32 v9, vcc_lo, 0, v13, vcc_lo
	v_mad_u64_u32 v[12:13], null, v4, 6, v[23:24]
	v_mad_u64_u32 v[4:5], null, v22, 6, v[64:65]
	s_delay_alu instid0(VALU_DEP_3)
	v_mad_u64_u32 v[14:15], null, v26, 6, v[8:9]
	s_waitcnt lgkmcnt(0)
	s_waitcnt_vscnt null, 0x0
	s_barrier
	buffer_gl0_inv
	s_clause 0x1
	flat_load_u16 v11, v[8:9]
	flat_load_u16 v10, v[8:9] offset:512
	s_waitcnt vmcnt(0) lgkmcnt(0)
	s_barrier
	buffer_gl0_inv
	s_clause 0x1
	flat_store_b64 v[12:13], v[54:55]
	flat_store_b64 v[4:5], v[52:53]
	s_waitcnt lgkmcnt(0)
	s_waitcnt_vscnt null, 0x0
	s_barrier
	buffer_gl0_inv
	s_clause 0x1
	flat_load_b64 v[8:9], v[14:15]
	flat_load_b64 v[4:5], v[14:15] offset:2048
	v_lshlrev_b64 v[12:13], 1, v[27:28]
	v_add_co_u32 v2, vcc_lo, v2, v29
	v_add_co_ci_u32_e32 v3, vcc_lo, v3, v30, vcc_lo
	s_waitcnt vmcnt(0) lgkmcnt(0)
	s_delay_alu instid0(VALU_DEP_2) | instskip(NEXT) | instid1(VALU_DEP_2)
	v_add_co_u32 v2, vcc_lo, v2, v12
	v_add_co_ci_u32_e32 v3, vcc_lo, v3, v13, vcc_lo
	v_cmp_lt_u32_e32 vcc_lo, v27, v47
	s_barrier
	buffer_gl0_inv
	s_and_saveexec_b32 s0, vcc_lo
	s_cbranch_execz .LBB1021_345
; %bb.344:
	v_xor_b32_e32 v11, 0xffff8000, v11
	flat_store_b16 v[2:3], v11
.LBB1021_345:
	s_or_b32 exec_lo, exec_lo, s0
	v_add_nc_u32_e32 v11, 0x100, v27
	s_delay_alu instid0(VALU_DEP_1) | instskip(NEXT) | instid1(VALU_DEP_1)
	v_cmp_lt_u32_e64 s0, v11, v47
	s_and_saveexec_b32 s1, s0
	s_cbranch_execz .LBB1021_347
; %bb.346:
	v_xor_b32_e32 v10, 0xffff8000, v10
	flat_store_b16 v[2:3], v10 offset:512
.LBB1021_347:
	s_or_b32 exec_lo, exec_lo, s1
	v_lshlrev_b64 v[2:3], 3, v[27:28]
	v_add_co_u32 v0, s1, v6, v0
	s_delay_alu instid0(VALU_DEP_1) | instskip(NEXT) | instid1(VALU_DEP_2)
	v_add_co_ci_u32_e64 v1, s1, v7, v1, s1
	v_add_co_u32 v0, s1, v0, v2
	s_delay_alu instid0(VALU_DEP_1)
	v_add_co_ci_u32_e64 v1, s1, v1, v3, s1
	s_and_saveexec_b32 s1, vcc_lo
	s_cbranch_execz .LBB1021_349
; %bb.348:
	flat_store_b64 v[0:1], v[8:9]
.LBB1021_349:
	s_or_b32 exec_lo, exec_lo, s1
	s_and_saveexec_b32 s1, s0
	s_cbranch_execz .LBB1021_351
; %bb.350:
	flat_store_b64 v[0:1], v[4:5] offset:2048
.LBB1021_351:
	s_or_b32 exec_lo, exec_lo, s1
                                        ; implicit-def: $vgpr27_vgpr28
                                        ; implicit-def: $vgpr8_vgpr9
                                        ; implicit-def: $vgpr29_vgpr30
                                        ; implicit-def: $vgpr47
                                        ; implicit-def: $vgpr0
                                        ; implicit-def: $vgpr1
                                        ; implicit-def: $vgpr2
                                        ; implicit-def: $vgpr3
                                        ; implicit-def: $vgpr4
                                        ; implicit-def: $vgpr5
                                        ; implicit-def: $vgpr6
                                        ; implicit-def: $vgpr7
                                        ; implicit-def: $vgpr10
                                        ; implicit-def: $vgpr11
                                        ; implicit-def: $vgpr12
                                        ; implicit-def: $vgpr13
                                        ; implicit-def: $vgpr26
                                        ; implicit-def: $vgpr35
.LBB1021_352:
	s_and_not1_saveexec_b32 s0, s15
	s_cbranch_execz .LBB1021_372
; %bb.353:
	s_delay_alu instid0(VALU_DEP_2) | instskip(SKIP_1) | instid1(VALU_DEP_2)
	v_and_b32_e32 v14, 0xffffffe0, v27
	v_mov_b32_e32 v22, -1
	v_or_b32_e32 v15, v35, v14
	s_delay_alu instid0(VALU_DEP_1)
	v_cmp_lt_u32_e32 vcc_lo, v15, v47
	s_and_saveexec_b32 s1, vcc_lo
	s_cbranch_execz .LBB1021_355
; %bb.354:
	v_dual_mov_b32 v15, 0 :: v_dual_lshlrev_b32 v16, 1, v35
	v_add_co_u32 v17, s0, v0, v29
	s_delay_alu instid0(VALU_DEP_1) | instskip(NEXT) | instid1(VALU_DEP_3)
	v_add_co_ci_u32_e64 v18, s0, v1, v30, s0
	v_lshlrev_b64 v[0:1], 1, v[14:15]
	s_delay_alu instid0(VALU_DEP_3) | instskip(NEXT) | instid1(VALU_DEP_1)
	v_add_co_u32 v15, s0, v17, v16
	v_add_co_ci_u32_e64 v16, s0, 0, v18, s0
	s_delay_alu instid0(VALU_DEP_2) | instskip(NEXT) | instid1(VALU_DEP_1)
	v_add_co_u32 v0, s0, v15, v0
	v_add_co_ci_u32_e64 v1, s0, v16, v1, s0
	flat_load_u16 v0, v[0:1]
	s_waitcnt vmcnt(0) lgkmcnt(0)
	v_xor_b32_e32 v22, 0xffff8000, v0
.LBB1021_355:
	s_or_b32 exec_lo, exec_lo, s1
	v_lshlrev_b64 v[0:1], 3, v[8:9]
                                        ; implicit-def: $vgpr18_vgpr19
	s_and_saveexec_b32 s0, vcc_lo
	s_cbranch_execz .LBB1021_357
; %bb.356:
	v_dual_mov_b32 v15, 0 :: v_dual_lshlrev_b32 v8, 3, v35
	s_delay_alu instid0(VALU_DEP_2) | instskip(NEXT) | instid1(VALU_DEP_3)
	v_add_co_u32 v9, vcc_lo, v4, v0
	v_add_co_ci_u32_e32 v16, vcc_lo, v5, v1, vcc_lo
	s_delay_alu instid0(VALU_DEP_3) | instskip(NEXT) | instid1(VALU_DEP_3)
	v_lshlrev_b64 v[4:5], 3, v[14:15]
	v_add_co_u32 v8, vcc_lo, v9, v8
	s_delay_alu instid0(VALU_DEP_3) | instskip(NEXT) | instid1(VALU_DEP_2)
	v_add_co_ci_u32_e32 v9, vcc_lo, 0, v16, vcc_lo
	v_add_co_u32 v4, vcc_lo, v8, v4
	s_delay_alu instid0(VALU_DEP_2)
	v_add_co_ci_u32_e32 v5, vcc_lo, v9, v5, vcc_lo
	flat_load_b64 v[18:19], v[4:5]
.LBB1021_357:
	s_or_b32 exec_lo, exec_lo, s0
	v_dual_mov_b32 v5, 0 :: v_dual_lshlrev_b32 v4, 5, v26
	s_mov_b32 s16, 0
	v_add_co_u32 v28, vcc_lo, v12, 32
	s_mov_b32 s17, s16
	s_mov_b32 s18, s16
	;; [unrolled: 1-line block ×3, first 2 shown]
	v_and_b32_e32 v15, 0x3e0, v26
	v_add_co_ci_u32_e32 v39, vcc_lo, 0, v13, vcc_lo
	v_add_co_u32 v8, vcc_lo, v12, v4
	v_add_co_ci_u32_e32 v9, vcc_lo, 0, v13, vcc_lo
	v_add_co_u32 v31, vcc_lo, v28, v4
	v_min_u32_e32 v4, 0xe0, v15
	v_and_b32_e32 v16, 16, v35
	v_add_nc_u32_e32 v17, -1, v35
	v_and_b32_e32 v14, 15, v35
	s_getpc_b64 s[0:1]
	s_add_u32 s0, s0, _ZN7rocprim17ROCPRIM_400000_NS16block_radix_sortIsLj256ELj1ElLj1ELj1ELj8ELNS0_26block_radix_rank_algorithmE2ELNS0_18block_padding_hintE2ELNS0_4arch9wavefront6targetE0EE19radix_bits_per_passE@rel32@lo+4
	s_addc_u32 s1, s1, _ZN7rocprim17ROCPRIM_400000_NS16block_radix_sortIsLj256ELj1ElLj1ELj1ELj8ELNS0_26block_radix_rank_algorithmE2ELNS0_18block_padding_hintE2ELNS0_4arch9wavefront6targetE0EE19radix_bits_per_passE@rel32@hi+12
	v_or_b32_e32 v4, 31, v4
	v_cmp_eq_u32_e64 s3, 0, v16
	v_cmp_gt_i32_e64 s4, 0, v17
	v_lshrrev_b32_e32 v16, 5, v26
	v_add_co_ci_u32_e32 v32, vcc_lo, 0, v39, vcc_lo
	s_load_b32 s15, s[0:1], 0x0
	v_cmp_eq_u32_e32 vcc_lo, 0, v14
	v_cmp_lt_u32_e64 s0, 1, v14
	v_cmp_lt_u32_e64 s1, 3, v14
	;; [unrolled: 1-line block ×3, first 2 shown]
	v_cndmask_b32_e64 v14, v17, v35, s4
	v_cmp_eq_u32_e64 s4, v4, v26
	v_lshlrev_b32_e32 v4, 2, v16
	v_or_b32_e32 v20, v35, v15
	v_cmp_eq_u32_e64 s7, 0, v35
	v_lshlrev_b32_e32 v65, 2, v14
	v_lshlrev_b32_e32 v14, 2, v26
	v_add_co_u32 v33, s9, v12, v4
	v_add_nc_u32_e32 v4, -1, v16
	v_lshlrev_b32_e32 v16, 1, v20
	v_add_co_ci_u32_e64 v34, s9, 0, v13, s9
	v_and_b32_e32 v17, 7, v35
	v_add_co_u32 v35, s9, v12, v14
	s_delay_alu instid0(VALU_DEP_4) | instskip(SKIP_4) | instid1(VALU_DEP_4)
	v_add_co_u32 v37, s12, v12, v16
	v_lshlrev_b64 v[14:15], 2, v[4:5]
	v_add_co_ci_u32_e64 v38, s12, 0, v13, s12
	v_add_co_ci_u32_e64 v36, s9, 0, v13, s9
	v_cmp_eq_u32_e64 s9, 0, v17
	v_add_co_u32 v48, s12, v12, v14
	s_delay_alu instid0(VALU_DEP_4)
	v_mad_u64_u32 v[50:51], null, v20, 6, v[37:38]
	v_cmp_lt_u32_e64 s10, 1, v17
	v_cmp_lt_u32_e64 s11, 3, v17
	v_add_co_ci_u32_e64 v49, s12, v13, v15, s12
	v_mov_b32_e32 v14, s16
	v_lshrrev_b32_e32 v64, 5, v27
	v_cmp_gt_u32_e64 s5, 8, v26
	v_cmp_lt_u32_e64 s6, 31, v26
	v_cmp_eq_u32_e64 s8, 0, v26
	v_sub_nc_u32_e32 v66, v11, v10
	v_dual_mov_b32 v15, s17 :: v_dual_mov_b32 v16, s18
	v_mov_b32_e32 v17, s19
	s_waitcnt vmcnt(0) lgkmcnt(0)
	s_waitcnt_vscnt null, 0x0
	s_barrier
	buffer_gl0_inv
	s_branch .LBB1021_359
.LBB1021_358:                           ;   in Loop: Header=BB1021_359 Depth=1
	s_or_b32 exec_lo, exec_lo, s13
	s_delay_alu instid0(SALU_CYCLE_1) | instskip(NEXT) | instid1(SALU_CYCLE_1)
	s_and_b32 s12, exec_lo, s14
	s_or_b32 s16, s12, s16
	s_delay_alu instid0(SALU_CYCLE_1)
	s_and_not1_b32 exec_lo, exec_lo, s16
	s_cbranch_execz .LBB1021_369
.LBB1021_359:                           ; =>This Inner Loop Header: Depth=1
	v_mov_b32_e32 v67, v22
	v_min_u32_e32 v20, s15, v66
	s_clause 0x1
	flat_store_b128 v[8:9], v[14:17] offset:32
	flat_store_b128 v[31:32], v[14:17] offset:16
	s_waitcnt lgkmcnt(0)
	s_waitcnt_vscnt null, 0x0
	s_barrier
	v_and_b32_e32 v4, 0xffff, v67
	buffer_gl0_inv
	; wave barrier
	v_lshrrev_b32_e32 v4, v10, v4
	s_delay_alu instid0(VALU_DEP_1) | instskip(NEXT) | instid1(VALU_DEP_1)
	v_bfe_u32 v4, v4, 0, v20
	v_and_b32_e32 v20, 1, v4
	v_lshlrev_b32_e32 v21, 30, v4
	v_lshlrev_b32_e32 v22, 29, v4
	;; [unrolled: 1-line block ×4, first 2 shown]
	v_add_co_u32 v20, s12, v20, -1
	s_delay_alu instid0(VALU_DEP_1)
	v_cndmask_b32_e64 v24, 0, 1, s12
	v_not_b32_e32 v54, v21
	v_cmp_gt_i32_e64 s13, 0, v21
	v_not_b32_e32 v21, v22
	v_lshlrev_b32_e32 v52, 26, v4
	v_cmp_ne_u32_e64 s12, 0, v24
	v_ashrrev_i32_e32 v54, 31, v54
	v_lshlrev_b32_e32 v53, 25, v4
	v_ashrrev_i32_e32 v21, 31, v21
	v_lshlrev_b32_e32 v24, 24, v4
	v_xor_b32_e32 v20, s12, v20
	v_cmp_gt_i32_e64 s12, 0, v22
	v_not_b32_e32 v22, v23
	v_xor_b32_e32 v54, s13, v54
	v_cmp_gt_i32_e64 s13, 0, v23
	v_and_b32_e32 v20, exec_lo, v20
	v_not_b32_e32 v23, v25
	v_ashrrev_i32_e32 v22, 31, v22
	v_xor_b32_e32 v21, s12, v21
	v_cmp_gt_i32_e64 s12, 0, v25
	v_and_b32_e32 v20, v20, v54
	v_not_b32_e32 v25, v52
	v_ashrrev_i32_e32 v23, 31, v23
	v_xor_b32_e32 v22, s13, v22
	v_cmp_gt_i32_e64 s13, 0, v52
	v_and_b32_e32 v20, v20, v21
	;; [unrolled: 5-line block ×4, first 2 shown]
	v_ashrrev_i32_e32 v22, 31, v22
	v_xor_b32_e32 v21, s12, v21
	v_dual_mov_b32 v53, v19 :: v_dual_mov_b32 v52, v18
	s_delay_alu instid0(VALU_DEP_4) | instskip(NEXT) | instid1(VALU_DEP_4)
	v_and_b32_e32 v20, v20, v25
	v_xor_b32_e32 v22, s13, v22
	v_lshlrev_b32_e32 v18, 3, v4
	s_delay_alu instid0(VALU_DEP_3) | instskip(NEXT) | instid1(VALU_DEP_2)
	v_and_b32_e32 v20, v20, v21
	v_add_lshl_u32 v18, v18, v64, 2
	s_delay_alu instid0(VALU_DEP_2) | instskip(NEXT) | instid1(VALU_DEP_2)
	v_and_b32_e32 v20, v20, v22
	v_add_co_u32 v54, s14, v28, v18
	s_delay_alu instid0(VALU_DEP_1) | instskip(NEXT) | instid1(VALU_DEP_3)
	v_add_co_ci_u32_e64 v55, s14, 0, v39, s14
	v_mbcnt_lo_u32_b32 v4, v20, 0
	v_cmp_ne_u32_e64 s12, 0, v20
	s_delay_alu instid0(VALU_DEP_2) | instskip(NEXT) | instid1(VALU_DEP_1)
	v_cmp_eq_u32_e64 s13, 0, v4
	s_and_b32 s13, s12, s13
	s_delay_alu instid0(SALU_CYCLE_1)
	s_and_saveexec_b32 s12, s13
	s_cbranch_execz .LBB1021_361
; %bb.360:                              ;   in Loop: Header=BB1021_359 Depth=1
	v_bcnt_u32_b32 v18, v20, 0
	flat_store_b32 v[54:55], v18
.LBB1021_361:                           ;   in Loop: Header=BB1021_359 Depth=1
	s_or_b32 exec_lo, exec_lo, s12
	; wave barrier
	s_waitcnt lgkmcnt(0)
	s_waitcnt_vscnt null, 0x0
	s_barrier
	buffer_gl0_inv
	s_clause 0x1
	flat_load_b128 v[22:25], v[8:9] offset:32
	flat_load_b128 v[18:21], v[31:32] offset:16
	s_waitcnt vmcnt(1) lgkmcnt(1)
	v_add_nc_u32_e32 v68, v23, v22
	s_delay_alu instid0(VALU_DEP_1) | instskip(SKIP_1) | instid1(VALU_DEP_1)
	v_add3_u32 v68, v68, v24, v25
	s_waitcnt vmcnt(0) lgkmcnt(0)
	v_add3_u32 v68, v68, v18, v19
	s_delay_alu instid0(VALU_DEP_1) | instskip(NEXT) | instid1(VALU_DEP_1)
	v_add3_u32 v21, v68, v20, v21
	v_mov_b32_dpp v68, v21 row_shr:1 row_mask:0xf bank_mask:0xf
	s_delay_alu instid0(VALU_DEP_1) | instskip(NEXT) | instid1(VALU_DEP_1)
	v_cndmask_b32_e64 v68, v68, 0, vcc_lo
	v_add_nc_u32_e32 v21, v68, v21
	s_delay_alu instid0(VALU_DEP_1) | instskip(NEXT) | instid1(VALU_DEP_1)
	v_mov_b32_dpp v68, v21 row_shr:2 row_mask:0xf bank_mask:0xf
	v_cndmask_b32_e64 v68, 0, v68, s0
	s_delay_alu instid0(VALU_DEP_1) | instskip(NEXT) | instid1(VALU_DEP_1)
	v_add_nc_u32_e32 v21, v21, v68
	v_mov_b32_dpp v68, v21 row_shr:4 row_mask:0xf bank_mask:0xf
	s_delay_alu instid0(VALU_DEP_1) | instskip(NEXT) | instid1(VALU_DEP_1)
	v_cndmask_b32_e64 v68, 0, v68, s1
	v_add_nc_u32_e32 v21, v21, v68
	s_delay_alu instid0(VALU_DEP_1) | instskip(NEXT) | instid1(VALU_DEP_1)
	v_mov_b32_dpp v68, v21 row_shr:8 row_mask:0xf bank_mask:0xf
	v_cndmask_b32_e64 v68, 0, v68, s2
	s_delay_alu instid0(VALU_DEP_1) | instskip(SKIP_3) | instid1(VALU_DEP_1)
	v_add_nc_u32_e32 v21, v21, v68
	ds_swizzle_b32 v68, v21 offset:swizzle(BROADCAST,32,15)
	s_waitcnt lgkmcnt(0)
	v_cndmask_b32_e64 v68, v68, 0, s3
	v_add_nc_u32_e32 v21, v21, v68
	s_and_saveexec_b32 s12, s4
	s_cbranch_execz .LBB1021_363
; %bb.362:                              ;   in Loop: Header=BB1021_359 Depth=1
	flat_store_b32 v[33:34], v21
.LBB1021_363:                           ;   in Loop: Header=BB1021_359 Depth=1
	s_or_b32 exec_lo, exec_lo, s12
	s_waitcnt lgkmcnt(0)
	s_waitcnt_vscnt null, 0x0
	s_barrier
	buffer_gl0_inv
	s_and_saveexec_b32 s12, s5
	s_cbranch_execz .LBB1021_365
; %bb.364:                              ;   in Loop: Header=BB1021_359 Depth=1
	flat_load_b32 v68, v[35:36]
	s_waitcnt vmcnt(0) lgkmcnt(0)
	v_mov_b32_dpp v69, v68 row_shr:1 row_mask:0xf bank_mask:0xf
	s_delay_alu instid0(VALU_DEP_1) | instskip(NEXT) | instid1(VALU_DEP_1)
	v_cndmask_b32_e64 v69, v69, 0, s9
	v_add_nc_u32_e32 v68, v69, v68
	s_delay_alu instid0(VALU_DEP_1) | instskip(NEXT) | instid1(VALU_DEP_1)
	v_mov_b32_dpp v69, v68 row_shr:2 row_mask:0xf bank_mask:0xf
	v_cndmask_b32_e64 v69, 0, v69, s10
	s_delay_alu instid0(VALU_DEP_1) | instskip(NEXT) | instid1(VALU_DEP_1)
	v_add_nc_u32_e32 v68, v68, v69
	v_mov_b32_dpp v69, v68 row_shr:4 row_mask:0xf bank_mask:0xf
	s_delay_alu instid0(VALU_DEP_1) | instskip(NEXT) | instid1(VALU_DEP_1)
	v_cndmask_b32_e64 v69, 0, v69, s11
	v_add_nc_u32_e32 v68, v68, v69
	flat_store_b32 v[35:36], v68
.LBB1021_365:                           ;   in Loop: Header=BB1021_359 Depth=1
	s_or_b32 exec_lo, exec_lo, s12
	v_mov_b32_e32 v68, 0
	s_waitcnt lgkmcnt(0)
	s_waitcnt_vscnt null, 0x0
	s_barrier
	buffer_gl0_inv
	s_and_saveexec_b32 s12, s6
	s_cbranch_execz .LBB1021_367
; %bb.366:                              ;   in Loop: Header=BB1021_359 Depth=1
	flat_load_b32 v68, v[48:49]
.LBB1021_367:                           ;   in Loop: Header=BB1021_359 Depth=1
	s_or_b32 exec_lo, exec_lo, s12
	s_waitcnt vmcnt(0) lgkmcnt(0)
	v_add_nc_u32_e32 v21, v68, v21
	v_add_nc_u32_e32 v10, 8, v10
	s_mov_b32 s14, -1
	ds_bpermute_b32 v21, v65, v21
	s_waitcnt lgkmcnt(0)
	v_cndmask_b32_e64 v21, v21, v68, s7
	s_delay_alu instid0(VALU_DEP_1) | instskip(NEXT) | instid1(VALU_DEP_1)
	v_cndmask_b32_e64 v21, v21, 0, s8
	v_add_nc_u32_e32 v22, v21, v22
	s_delay_alu instid0(VALU_DEP_1) | instskip(NEXT) | instid1(VALU_DEP_1)
	v_add_nc_u32_e32 v23, v22, v23
	v_add_nc_u32_e32 v24, v23, v24
	s_delay_alu instid0(VALU_DEP_1) | instskip(NEXT) | instid1(VALU_DEP_1)
	v_add_nc_u32_e32 v68, v24, v25
	;; [unrolled: 3-line block ×3, first 2 shown]
	v_add_nc_u32_e32 v71, v70, v20
	s_clause 0x1
	flat_store_b128 v[8:9], v[21:24] offset:32
	flat_store_b128 v[31:32], v[68:71] offset:16
	s_waitcnt lgkmcnt(0)
	s_waitcnt_vscnt null, 0x0
	s_barrier
	buffer_gl0_inv
	flat_load_b32 v18, v[54:55]
	s_waitcnt vmcnt(0) lgkmcnt(0)
	s_waitcnt_vscnt null, 0x0
                                        ; implicit-def: $vgpr22
	s_waitcnt vmcnt(0) lgkmcnt(0)
	v_add_nc_u32_e32 v4, v18, v4
	s_delay_alu instid0(VALU_DEP_1) | instskip(NEXT) | instid1(VALU_DEP_1)
	v_lshlrev_b64 v[18:19], 1, v[4:5]
	v_add_co_u32 v20, s13, v12, v18
	s_delay_alu instid0(VALU_DEP_1)
	v_add_co_ci_u32_e64 v21, s13, v13, v19, s13
	s_mov_b32 s13, exec_lo
                                        ; implicit-def: $vgpr18_vgpr19
	v_cmpx_lt_u32_e64 v10, v11
	s_cbranch_execz .LBB1021_358
; %bb.368:                              ;   in Loop: Header=BB1021_359 Depth=1
	s_delay_alu instid0(VALU_DEP_2)
	v_mad_u64_u32 v[18:19], null, v4, 6, v[20:21]
	s_barrier
	buffer_gl0_inv
	flat_store_b16 v[20:21], v67
	s_waitcnt lgkmcnt(0)
	s_waitcnt_vscnt null, 0x0
	s_barrier
	buffer_gl0_inv
	flat_load_u16 v22, v[37:38]
	s_waitcnt vmcnt(0) lgkmcnt(0)
	s_barrier
	buffer_gl0_inv
	flat_store_b64 v[18:19], v[52:53]
	s_waitcnt lgkmcnt(0)
	s_waitcnt_vscnt null, 0x0
	s_barrier
	buffer_gl0_inv
	flat_load_b64 v[18:19], v[50:51]
	v_add_nc_u32_e32 v66, -8, v66
	s_xor_b32 s14, exec_lo, -1
	s_waitcnt vmcnt(0) lgkmcnt(0)
	s_barrier
	buffer_gl0_inv
	s_branch .LBB1021_358
.LBB1021_369:
	s_or_b32 exec_lo, exec_lo, s16
	v_dual_mov_b32 v28, 0 :: v_dual_lshlrev_b32 v5, 1, v26
	s_barrier
	buffer_gl0_inv
	flat_store_b16 v[20:21], v67
	v_add_co_u32 v9, vcc_lo, v12, v5
	v_add_co_ci_u32_e32 v10, vcc_lo, 0, v13, vcc_lo
	v_mad_u64_u32 v[11:12], null, v4, 6, v[20:21]
	s_waitcnt lgkmcnt(0)
	s_waitcnt_vscnt null, 0x0
	s_delay_alu instid0(VALU_DEP_2)
	v_mad_u64_u32 v[4:5], null, v26, 6, v[9:10]
	s_barrier
	buffer_gl0_inv
	flat_load_u16 v8, v[9:10]
	s_waitcnt vmcnt(0) lgkmcnt(0)
	s_barrier
	buffer_gl0_inv
	flat_store_b64 v[11:12], v[52:53]
	s_waitcnt lgkmcnt(0)
	s_waitcnt_vscnt null, 0x0
	s_barrier
	buffer_gl0_inv
	flat_load_b64 v[4:5], v[4:5]
	s_mov_b32 s0, exec_lo
	s_waitcnt vmcnt(0) lgkmcnt(0)
	s_barrier
	buffer_gl0_inv
	v_cmpx_lt_u32_e64 v27, v47
	s_cbranch_execz .LBB1021_371
; %bb.370:
	v_lshlrev_b64 v[9:10], 1, v[27:28]
	v_add_co_u32 v2, vcc_lo, v2, v29
	v_add_co_ci_u32_e32 v3, vcc_lo, v3, v30, vcc_lo
	s_delay_alu instid0(VALU_DEP_2) | instskip(NEXT) | instid1(VALU_DEP_2)
	v_add_co_u32 v2, vcc_lo, v2, v9
	v_add_co_ci_u32_e32 v3, vcc_lo, v3, v10, vcc_lo
	v_lshlrev_b64 v[9:10], 3, v[27:28]
	v_add_co_u32 v0, vcc_lo, v6, v0
	v_add_co_ci_u32_e32 v1, vcc_lo, v7, v1, vcc_lo
	v_xor_b32_e32 v6, 0xffff8000, v8
	s_delay_alu instid0(VALU_DEP_3) | instskip(NEXT) | instid1(VALU_DEP_3)
	v_add_co_u32 v0, vcc_lo, v0, v9
	v_add_co_ci_u32_e32 v1, vcc_lo, v1, v10, vcc_lo
	flat_store_b16 v[2:3], v6
	flat_store_b64 v[0:1], v[4:5]
.LBB1021_371:
	s_or_b32 exec_lo, exec_lo, s0
.LBB1021_372:
	s_delay_alu instid0(SALU_CYCLE_1)
	s_or_b32 exec_lo, exec_lo, s24
	s_clause 0x1f
	scratch_load_b32 v125, off, s32
	scratch_load_b32 v124, off, s32 offset:4
	scratch_load_b32 v123, off, s32 offset:8
	;; [unrolled: 1-line block ×31, first 2 shown]
	s_clause 0xd
	scratch_load_b32 v61, off, s32 offset:128
	scratch_load_b32 v60, off, s32 offset:132
	;; [unrolled: 1-line block ×14, first 2 shown]
	s_waitcnt vmcnt(0) lgkmcnt(0)
	s_setpc_b64 s[30:31]
.Lfunc_end1021:
	.size	_ZN7rocprim17ROCPRIM_400000_NS6detail40segmented_radix_sort_single_block_helperIslLj256ELj16ELb0EE4sortIPKsPsPKlPlEEbT_T0_T1_T2_jjjjRNS3_12storage_typeE, .Lfunc_end1021-_ZN7rocprim17ROCPRIM_400000_NS6detail40segmented_radix_sort_single_block_helperIslLj256ELj16ELb0EE4sortIPKsPsPKlPlEEbT_T0_T1_T2_jjjjRNS3_12storage_typeE
                                        ; -- End function
	.section	.AMDGPU.csdata,"",@progbits
; Function info:
; codeLenInByte = 31800
; NumSgprs: 35
; NumVgprs: 248
; ScratchSize: 188
; MemoryBound: 1
	.section	.text._ZN7rocprim17ROCPRIM_400000_NS6detail17trampoline_kernelINS0_14default_configENS1_36segmented_radix_sort_config_selectorIslEEZNS1_25segmented_radix_sort_implIS3_Lb0EPKsPsPKlPlN2at6native12_GLOBAL__N_18offset_tEEE10hipError_tPvRmT1_PNSt15iterator_traitsISK_E10value_typeET2_T3_PNSL_ISQ_E10value_typeET4_jRbjT5_SW_jjP12ihipStream_tbEUlT_E_NS1_11comp_targetILNS1_3genE9ELNS1_11target_archE1100ELNS1_3gpuE3ELNS1_3repE0EEENS1_30default_config_static_selectorELNS0_4arch9wavefront6targetE0EEEvSK_,"axG",@progbits,_ZN7rocprim17ROCPRIM_400000_NS6detail17trampoline_kernelINS0_14default_configENS1_36segmented_radix_sort_config_selectorIslEEZNS1_25segmented_radix_sort_implIS3_Lb0EPKsPsPKlPlN2at6native12_GLOBAL__N_18offset_tEEE10hipError_tPvRmT1_PNSt15iterator_traitsISK_E10value_typeET2_T3_PNSL_ISQ_E10value_typeET4_jRbjT5_SW_jjP12ihipStream_tbEUlT_E_NS1_11comp_targetILNS1_3genE9ELNS1_11target_archE1100ELNS1_3gpuE3ELNS1_3repE0EEENS1_30default_config_static_selectorELNS0_4arch9wavefront6targetE0EEEvSK_,comdat
	.globl	_ZN7rocprim17ROCPRIM_400000_NS6detail17trampoline_kernelINS0_14default_configENS1_36segmented_radix_sort_config_selectorIslEEZNS1_25segmented_radix_sort_implIS3_Lb0EPKsPsPKlPlN2at6native12_GLOBAL__N_18offset_tEEE10hipError_tPvRmT1_PNSt15iterator_traitsISK_E10value_typeET2_T3_PNSL_ISQ_E10value_typeET4_jRbjT5_SW_jjP12ihipStream_tbEUlT_E_NS1_11comp_targetILNS1_3genE9ELNS1_11target_archE1100ELNS1_3gpuE3ELNS1_3repE0EEENS1_30default_config_static_selectorELNS0_4arch9wavefront6targetE0EEEvSK_ ; -- Begin function _ZN7rocprim17ROCPRIM_400000_NS6detail17trampoline_kernelINS0_14default_configENS1_36segmented_radix_sort_config_selectorIslEEZNS1_25segmented_radix_sort_implIS3_Lb0EPKsPsPKlPlN2at6native12_GLOBAL__N_18offset_tEEE10hipError_tPvRmT1_PNSt15iterator_traitsISK_E10value_typeET2_T3_PNSL_ISQ_E10value_typeET4_jRbjT5_SW_jjP12ihipStream_tbEUlT_E_NS1_11comp_targetILNS1_3genE9ELNS1_11target_archE1100ELNS1_3gpuE3ELNS1_3repE0EEENS1_30default_config_static_selectorELNS0_4arch9wavefront6targetE0EEEvSK_
	.p2align	8
	.type	_ZN7rocprim17ROCPRIM_400000_NS6detail17trampoline_kernelINS0_14default_configENS1_36segmented_radix_sort_config_selectorIslEEZNS1_25segmented_radix_sort_implIS3_Lb0EPKsPsPKlPlN2at6native12_GLOBAL__N_18offset_tEEE10hipError_tPvRmT1_PNSt15iterator_traitsISK_E10value_typeET2_T3_PNSL_ISQ_E10value_typeET4_jRbjT5_SW_jjP12ihipStream_tbEUlT_E_NS1_11comp_targetILNS1_3genE9ELNS1_11target_archE1100ELNS1_3gpuE3ELNS1_3repE0EEENS1_30default_config_static_selectorELNS0_4arch9wavefront6targetE0EEEvSK_,@function
_ZN7rocprim17ROCPRIM_400000_NS6detail17trampoline_kernelINS0_14default_configENS1_36segmented_radix_sort_config_selectorIslEEZNS1_25segmented_radix_sort_implIS3_Lb0EPKsPsPKlPlN2at6native12_GLOBAL__N_18offset_tEEE10hipError_tPvRmT1_PNSt15iterator_traitsISK_E10value_typeET2_T3_PNSL_ISQ_E10value_typeET4_jRbjT5_SW_jjP12ihipStream_tbEUlT_E_NS1_11comp_targetILNS1_3genE9ELNS1_11target_archE1100ELNS1_3gpuE3ELNS1_3repE0EEENS1_30default_config_static_selectorELNS0_4arch9wavefront6targetE0EEEvSK_: ; @_ZN7rocprim17ROCPRIM_400000_NS6detail17trampoline_kernelINS0_14default_configENS1_36segmented_radix_sort_config_selectorIslEEZNS1_25segmented_radix_sort_implIS3_Lb0EPKsPsPKlPlN2at6native12_GLOBAL__N_18offset_tEEE10hipError_tPvRmT1_PNSt15iterator_traitsISK_E10value_typeET2_T3_PNSL_ISQ_E10value_typeET4_jRbjT5_SW_jjP12ihipStream_tbEUlT_E_NS1_11comp_targetILNS1_3genE9ELNS1_11target_archE1100ELNS1_3gpuE3ELNS1_3repE0EEENS1_30default_config_static_selectorELNS0_4arch9wavefront6targetE0EEEvSK_
; %bb.0:
	s_clause 0x1
	s_load_b64 s[2:3], s[0:1], 0x38
	s_load_b128 s[4:7], s[0:1], 0x40
	s_mov_b32 s26, s14
	s_mov_b32 s27, 0
	;; [unrolled: 1-line block ×3, first 2 shown]
	s_lshl_b64 s[8:9], s[26:27], 2
	s_waitcnt lgkmcnt(0)
	s_add_u32 s2, s2, s8
	s_addc_u32 s3, s3, s9
	s_load_b32 s2, s[2:3], 0x0
	s_waitcnt lgkmcnt(0)
	s_add_i32 s62, s2, s5
	s_add_i32 s63, s2, s7
	s_mul_i32 s62, s62, s4
	s_mul_i32 s63, s63, s6
	s_delay_alu instid0(SALU_CYCLE_1)
	s_cmp_le_u32 s63, s62
	s_cbranch_scc1 .LBB1022_1190
; %bb.1:
	s_clause 0x3
	s_load_b32 s2, s[0:1], 0x30
	s_load_b128 s[52:55], s[0:1], 0x20
	s_load_b128 s[56:59], s[0:1], 0x50
	s_load_b256 s[36:43], s[0:1], 0x0
	s_waitcnt lgkmcnt(0)
	s_bitcmp1_b32 s2, 0
	s_mov_b32 s2, -1
	s_cselect_b32 s59, -1, 0
	s_sub_i32 s64, s63, s62
	s_delay_alu instid0(SALU_CYCLE_1)
	s_cmpk_lt_u32 s64, 0x1001
	s_cbranch_scc0 .LBB1022_7
; %bb.2:
	v_cndmask_b32_e64 v1, 0, 1, s59
	s_and_b32 s2, s56, 1
	s_delay_alu instid0(VALU_DEP_1) | instid1(SALU_CYCLE_1)
	v_cmp_ne_u32_e32 vcc_lo, s2, v1
	s_mov_b32 s2, -1
	s_cbranch_vccnz .LBB1022_4
; %bb.3:
	s_mov_b64 s[2:3], src_shared_base
	v_mov_b32_e32 v31, v0
	v_dual_mov_b32 v40, v0 :: v_dual_mov_b32 v1, s37
	v_mov_b32_e32 v0, s36
	v_dual_mov_b32 v2, s40 :: v_dual_mov_b32 v3, s41
	v_dual_mov_b32 v4, s42 :: v_dual_mov_b32 v5, s43
	;; [unrolled: 1-line block ×6, first 2 shown]
	s_add_u32 s8, s0, 0x60
	s_addc_u32 s9, s1, 0
	s_mov_b32 s12, s26
	s_mov_b32 s13, s15
	s_getpc_b64 s[4:5]
	s_add_u32 s4, s4, _ZN7rocprim17ROCPRIM_400000_NS6detail40segmented_radix_sort_single_block_helperIslLj256ELj16ELb0EE4sortIPKsPsPKlPlEEbT_T0_T1_T2_jjjjRNS3_12storage_typeE@rel32@lo+4
	s_addc_u32 s5, s5, _ZN7rocprim17ROCPRIM_400000_NS6detail40segmented_radix_sort_single_block_helperIslLj256ELj16ELb0EE4sortIPKsPsPKlPlEEbT_T0_T1_T2_jjjjRNS3_12storage_typeE@rel32@hi+12
	s_mov_b64 s[28:29], s[0:1]
	s_mov_b32 s27, s15
	s_swappc_b64 s[30:31], s[4:5]
	v_mov_b32_e32 v0, v40
	s_mov_b32 s15, s27
	s_mov_b64 s[0:1], s[28:29]
	s_mov_b32 s2, 0
.LBB1022_4:
	s_delay_alu instid0(SALU_CYCLE_1)
	s_and_not1_b32 vcc_lo, exec_lo, s2
	s_cbranch_vccnz .LBB1022_6
; %bb.5:
	s_mov_b64 s[2:3], src_shared_base
	v_mov_b32_e32 v31, v0
	v_dual_mov_b32 v40, v0 :: v_dual_mov_b32 v1, s37
	v_mov_b32_e32 v0, s36
	v_dual_mov_b32 v2, s38 :: v_dual_mov_b32 v3, s39
	v_dual_mov_b32 v4, s42 :: v_dual_mov_b32 v5, s43
	;; [unrolled: 1-line block ×6, first 2 shown]
	s_add_u32 s8, s0, 0x60
	s_addc_u32 s9, s1, 0
	s_mov_b32 s12, s26
	s_mov_b32 s13, s15
	s_getpc_b64 s[4:5]
	s_add_u32 s4, s4, _ZN7rocprim17ROCPRIM_400000_NS6detail40segmented_radix_sort_single_block_helperIslLj256ELj16ELb0EE4sortIPKsPsPKlPlEEbT_T0_T1_T2_jjjjRNS3_12storage_typeE@rel32@lo+4
	s_addc_u32 s5, s5, _ZN7rocprim17ROCPRIM_400000_NS6detail40segmented_radix_sort_single_block_helperIslLj256ELj16ELb0EE4sortIPKsPsPKlPlEEbT_T0_T1_T2_jjjjRNS3_12storage_typeE@rel32@hi+12
	s_mov_b64 s[28:29], s[0:1]
	s_mov_b32 s27, s15
	s_swappc_b64 s[30:31], s[4:5]
	v_mov_b32_e32 v0, v40
	s_mov_b32 s15, s27
	s_mov_b64 s[0:1], s[28:29]
.LBB1022_6:
	s_mov_b32 s2, 0
.LBB1022_7:
	s_delay_alu instid0(SALU_CYCLE_1)
	s_and_not1_b32 vcc_lo, exec_lo, s2
	s_cbranch_vccnz .LBB1022_1190
; %bb.8:
	s_cmp_ge_u32 s57, s58
	s_cbranch_scc1 .LBB1022_1190
; %bb.9:
	v_and_b32_e32 v18, 0x3ff, v0
	v_bfe_u32 v72, v0, 20, 10
	v_bfe_u32 v74, v0, 10, 10
	v_mov_b32_e32 v20, 0
	s_add_u32 s60, s0, 0x60
	v_lshlrev_b32_e32 v47, 2, v18
	v_lshrrev_b32_e32 v2, 3, v18
	v_or_b32_e32 v3, 31, v18
	v_dual_mov_b32 v98, 1 :: v_dual_lshlrev_b32 v1, 1, v18
	s_delay_alu instid0(VALU_DEP_4) | instskip(NEXT) | instid1(VALU_DEP_4)
	v_mad_u32_u24 v67, v18, 12, v47
	v_and_b32_e32 v65, 28, v2
	v_lshlrev_b32_e32 v2, 4, v18
	v_cmp_eq_u32_e64 s3, v3, v18
	v_add_nc_u32_e32 v3, 1, v18
	v_mad_u32_u24 v73, v18, 20, v67
	v_lshlrev_b32_e32 v4, 5, v18
	v_and_b32_e32 v71, 0xe00, v2
	v_mul_u32_u24_e32 v2, 9, v18
	v_mul_u32_u24_e32 v0, 9, v3
	v_add_co_u32 v52, s2, s40, v1
	v_or_b32_e32 v48, 0x100, v18
	s_delay_alu instid0(VALU_DEP_4)
	v_lshl_add_u32 v75, v2, 2, 0x420
	v_lshlrev_b32_e32 v2, 3, v71
	v_lshlrev_b32_e32 v77, 2, v0
	;; [unrolled: 1-line block ×3, first 2 shown]
	v_or_b32_e32 v49, 0x200, v18
	v_or_b32_e32 v50, 0x300, v18
	v_add_co_u32 v78, s7, s54, v2
	s_delay_alu instid0(VALU_DEP_1) | instskip(SKIP_1) | instid1(VALU_DEP_1)
	v_add_co_ci_u32_e64 v79, null, s55, 0, s7
	v_add_co_u32 v80, s7, s40, v0
	v_add_co_ci_u32_e64 v81, null, s41, 0, s7
	v_add_co_u32 v86, s7, s38, v1
	s_delay_alu instid0(VALU_DEP_1) | instskip(SKIP_1) | instid1(VALU_DEP_1)
	v_add_co_ci_u32_e64 v87, null, s39, 0, s7
	v_add_co_u32 v88, s7, s52, v2
	v_add_co_ci_u32_e64 v89, null, s53, 0, s7
	v_add_co_u32 v90, s7, s38, v0
	s_delay_alu instid0(VALU_DEP_1) | instskip(SKIP_1) | instid1(VALU_DEP_1)
	v_add_co_ci_u32_e64 v91, null, s39, 0, s7
	v_add_co_u32 v92, s7, s36, v1
	v_add_co_ci_u32_e64 v93, null, s37, 0, s7
	v_add_co_u32 v94, s7, s42, v2
	s_delay_alu instid0(VALU_DEP_1)
	v_add_co_ci_u32_e64 v95, null, s43, 0, s7
	v_add_co_u32 v96, s7, s36, v0
	v_and_b32_e32 v51, 3, v18
	v_add_co_ci_u32_e64 v53, null, s41, 0, s2
	v_or_b32_e32 v54, 0x400, v18
	v_or_b32_e32 v55, 0x500, v18
	;; [unrolled: 1-line block ×12, first 2 shown]
	v_cmp_gt_u32_e64 s2, 0x100, v18
	v_or_b32_e32 v68, 0x8400, v65
	v_cmp_gt_u32_e64 s4, 8, v18
	v_add_nc_u32_e32 v69, 0x8400, v47
	v_cmp_lt_u32_e64 s5, 31, v18
	v_add_nc_u32_e32 v70, 0x83fc, v65
	v_sub_nc_u32_e32 v76, v73, v4
	v_cmp_eq_u32_e64 s0, 0, v18
	v_cmp_ne_u32_e64 s6, 0x100, v3
	v_sub_nc_u32_e32 v82, 0, v1
	v_add_nc_u32_e32 v83, 0x400, v1
	v_dual_mov_b32 v1, 0x7fff7fff :: v_dual_lshlrev_b32 v84, 3, v18
	v_mul_u32_u24_e32 v85, 6, v18
	v_add_co_ci_u32_e64 v97, null, s37, 0, s7
	v_lshlrev_b32_e32 v99, 1, v18
	v_mbcnt_lo_u32_b32 v100, -1, 0
	s_mov_b32 s35, 0
	s_addc_u32 s61, s1, 0
	s_mov_b32 s44, 0x7fff7fff
	s_mov_b32 s42, s57
	s_branch .LBB1022_12
.LBB1022_10:                            ;   in Loop: Header=BB1022_12 Depth=1
	s_waitcnt lgkmcnt(0)
	s_barrier
.LBB1022_11:                            ;   in Loop: Header=BB1022_12 Depth=1
	s_add_i32 s42, s42, 8
	buffer_gl0_inv
	s_cmp_ge_u32 s42, s58
	s_cbranch_scc1 .LBB1022_1190
.LBB1022_12:                            ; =>This Loop Header: Depth=1
                                        ;     Child Loop BB1022_16 Depth 2
                                        ;     Child Loop BB1022_98 Depth 2
	;; [unrolled: 1-line block ×8, first 2 shown]
	s_sub_i32 s1, s58, s42
	s_xor_b32 s59, s59, -1
	s_min_u32 s1, s1, 8
	ds_store_2addr_stride64_b32 v47, v20, v20 offset1:4
	s_lshl_b32 s1, -1, s1
	ds_store_2addr_stride64_b32 v47, v20, v20 offset0:8 offset1:12
	s_not_b32 s43, s1
	s_cmp_lg_u32 s42, s57
	s_mov_b32 s1, -1
	s_waitcnt lgkmcnt(0)
	s_waitcnt_vscnt null, 0x0
	s_cbranch_scc0 .LBB1022_602
; %bb.13:                               ;   in Loop: Header=BB1022_12 Depth=1
	s_and_b32 vcc_lo, exec_lo, s59
	s_cbranch_vccz .LBB1022_307
; %bb.14:                               ;   in Loop: Header=BB1022_12 Depth=1
	s_mov_b32 s1, s64
	s_mov_b32 s34, s62
	s_barrier
	buffer_gl0_inv
                                        ; implicit-def: $vgpr2_vgpr3_vgpr4_vgpr5_vgpr6_vgpr7_vgpr8_vgpr9
	s_branch .LBB1022_16
.LBB1022_15:                            ;   in Loop: Header=BB1022_16 Depth=2
	s_or_b32 exec_lo, exec_lo, s8
	s_addk_i32 s1, 0xf000
	s_cmp_ge_u32 s7, s63
	s_mov_b32 s34, s7
	s_cbranch_scc1 .LBB1022_86
.LBB1022_16:                            ;   Parent Loop BB1022_12 Depth=1
                                        ; =>  This Inner Loop Header: Depth=2
	s_add_i32 s7, s34, 0x1000
	s_delay_alu instid0(SALU_CYCLE_1)
	s_cmp_gt_u32 s7, s63
	s_cbranch_scc1 .LBB1022_19
; %bb.17:                               ;   in Loop: Header=BB1022_16 Depth=2
	s_mov_b32 s9, 0
	s_mov_b32 s8, s34
	s_waitcnt vmcnt(7)
	v_mov_b32_e32 v17, v9
	s_lshl_b64 s[10:11], s[8:9], 1
	s_delay_alu instid0(SALU_CYCLE_1) | instskip(SKIP_2) | instid1(VALU_DEP_2)
	v_add_co_u32 v21, vcc_lo, v52, s10
	v_add_co_ci_u32_e32 v22, vcc_lo, s11, v53, vcc_lo
	s_movk_i32 s11, 0x1000
	v_add_co_u32 v23, vcc_lo, 0x1000, v21
	s_delay_alu instid0(VALU_DEP_2)
	v_add_co_ci_u32_e32 v24, vcc_lo, 0, v22, vcc_lo
	s_clause 0x6
	global_load_u16 v10, v[21:22], off
	global_load_u16 v11, v[21:22], off offset:1024
	global_load_u16 v12, v[21:22], off offset:2048
	;; [unrolled: 1-line block ×3, first 2 shown]
	global_load_u16 v14, v[23:24], off
	global_load_u16 v15, v[23:24], off offset:1024
	global_load_u16 v16, v[23:24], off offset:2048
	s_mov_b32 s10, -1
	s_clause 0x7
	global_load_d16_b16 v17, v[23:24], off offset:3072
	global_load_d16_hi_b16 v10, v[21:22], off offset:512
	global_load_d16_hi_b16 v11, v[21:22], off offset:1536
	global_load_d16_hi_b16 v12, v[21:22], off offset:2560
	global_load_d16_hi_b16 v13, v[21:22], off offset:3584
	global_load_d16_hi_b16 v14, v[23:24], off offset:512
	global_load_d16_hi_b16 v15, v[23:24], off offset:1536
	global_load_d16_hi_b16 v16, v[23:24], off offset:2560
	v_add_co_u32 v21, vcc_lo, 0x1e00, v21
	v_add_co_ci_u32_e32 v22, vcc_lo, 0, v22, vcc_lo
	s_cbranch_execz .LBB1022_20
; %bb.18:                               ;   in Loop: Header=BB1022_16 Depth=2
                                        ; implicit-def: $vgpr2_vgpr3_vgpr4_vgpr5_vgpr6_vgpr7_vgpr8_vgpr9
	v_mov_b32_e32 v0, s1
	s_and_saveexec_b32 s8, s10
	s_cbranch_execnz .LBB1022_39
	s_branch .LBB1022_40
.LBB1022_19:                            ;   in Loop: Header=BB1022_16 Depth=2
	s_mov_b32 s10, 0
                                        ; implicit-def: $sgpr11
                                        ; implicit-def: $vgpr10_vgpr11_vgpr12_vgpr13_vgpr14_vgpr15_vgpr16_vgpr17
                                        ; implicit-def: $vgpr21_vgpr22
.LBB1022_20:                            ;   in Loop: Header=BB1022_16 Depth=2
	s_lshl_b64 s[8:9], s[34:35], 1
	s_mov_b32 s11, exec_lo
	s_add_u32 s8, s40, s8
	s_addc_u32 s9, s41, s9
	v_cmpx_gt_u32_e64 s1, v18
	s_cbranch_execz .LBB1022_72
; %bb.21:                               ;   in Loop: Header=BB1022_16 Depth=2
	global_load_d16_b16 v2, v99, s[8:9]
	s_or_b32 exec_lo, exec_lo, s11
	s_delay_alu instid0(SALU_CYCLE_1)
	s_mov_b32 s11, exec_lo
	v_cmpx_gt_u32_e64 s1, v48
	s_cbranch_execnz .LBB1022_73
.LBB1022_22:                            ;   in Loop: Header=BB1022_16 Depth=2
	s_or_b32 exec_lo, exec_lo, s11
	s_delay_alu instid0(SALU_CYCLE_1)
	s_mov_b32 s11, exec_lo
	v_cmpx_gt_u32_e64 s1, v49
	s_cbranch_execz .LBB1022_74
.LBB1022_23:                            ;   in Loop: Header=BB1022_16 Depth=2
	global_load_d16_b16 v3, v99, s[8:9] offset:1024
	s_or_b32 exec_lo, exec_lo, s11
	s_delay_alu instid0(SALU_CYCLE_1)
	s_mov_b32 s11, exec_lo
	v_cmpx_gt_u32_e64 s1, v50
	s_cbranch_execnz .LBB1022_75
.LBB1022_24:                            ;   in Loop: Header=BB1022_16 Depth=2
	s_or_b32 exec_lo, exec_lo, s11
	s_delay_alu instid0(SALU_CYCLE_1)
	s_mov_b32 s11, exec_lo
	v_cmpx_gt_u32_e64 s1, v54
	s_cbranch_execz .LBB1022_76
.LBB1022_25:                            ;   in Loop: Header=BB1022_16 Depth=2
	global_load_d16_b16 v4, v99, s[8:9] offset:2048
	s_or_b32 exec_lo, exec_lo, s11
	s_delay_alu instid0(SALU_CYCLE_1)
	s_mov_b32 s11, exec_lo
	v_cmpx_gt_u32_e64 s1, v55
	s_cbranch_execnz .LBB1022_77
.LBB1022_26:                            ;   in Loop: Header=BB1022_16 Depth=2
	s_or_b32 exec_lo, exec_lo, s11
	s_delay_alu instid0(SALU_CYCLE_1)
	s_mov_b32 s11, exec_lo
	v_cmpx_gt_u32_e64 s1, v56
	s_cbranch_execz .LBB1022_78
.LBB1022_27:                            ;   in Loop: Header=BB1022_16 Depth=2
	global_load_d16_b16 v5, v99, s[8:9] offset:3072
	s_or_b32 exec_lo, exec_lo, s11
	s_delay_alu instid0(SALU_CYCLE_1)
	s_mov_b32 s11, exec_lo
	v_cmpx_gt_u32_e64 s1, v57
	s_cbranch_execnz .LBB1022_79
.LBB1022_28:                            ;   in Loop: Header=BB1022_16 Depth=2
	s_or_b32 exec_lo, exec_lo, s11
	s_delay_alu instid0(SALU_CYCLE_1)
	s_mov_b32 s11, exec_lo
	v_cmpx_gt_u32_e64 s1, v58
	s_cbranch_execz .LBB1022_80
.LBB1022_29:                            ;   in Loop: Header=BB1022_16 Depth=2
	v_lshlrev_b32_e32 v0, 1, v58
	global_load_d16_b16 v6, v0, s[8:9]
	s_or_b32 exec_lo, exec_lo, s11
	s_delay_alu instid0(SALU_CYCLE_1)
	s_mov_b32 s11, exec_lo
	v_cmpx_gt_u32_e64 s1, v59
	s_cbranch_execnz .LBB1022_81
.LBB1022_30:                            ;   in Loop: Header=BB1022_16 Depth=2
	s_or_b32 exec_lo, exec_lo, s11
	s_delay_alu instid0(SALU_CYCLE_1)
	s_mov_b32 s11, exec_lo
	v_cmpx_gt_u32_e64 s1, v60
	s_cbranch_execz .LBB1022_82
.LBB1022_31:                            ;   in Loop: Header=BB1022_16 Depth=2
	v_lshlrev_b32_e32 v0, 1, v60
	global_load_d16_b16 v7, v0, s[8:9]
	s_or_b32 exec_lo, exec_lo, s11
	s_delay_alu instid0(SALU_CYCLE_1)
	s_mov_b32 s11, exec_lo
	v_cmpx_gt_u32_e64 s1, v61
	s_cbranch_execnz .LBB1022_83
.LBB1022_32:                            ;   in Loop: Header=BB1022_16 Depth=2
	s_or_b32 exec_lo, exec_lo, s11
	s_delay_alu instid0(SALU_CYCLE_1)
	s_mov_b32 s11, exec_lo
	v_cmpx_gt_u32_e64 s1, v62
	s_cbranch_execz .LBB1022_84
.LBB1022_33:                            ;   in Loop: Header=BB1022_16 Depth=2
	v_lshlrev_b32_e32 v0, 1, v62
	global_load_d16_b16 v8, v0, s[8:9]
	s_or_b32 exec_lo, exec_lo, s11
	s_delay_alu instid0(SALU_CYCLE_1)
	s_mov_b32 s11, exec_lo
	v_cmpx_gt_u32_e64 s1, v63
	s_cbranch_execnz .LBB1022_85
.LBB1022_34:                            ;   in Loop: Header=BB1022_16 Depth=2
	s_or_b32 exec_lo, exec_lo, s11
	s_delay_alu instid0(SALU_CYCLE_1)
	s_mov_b32 s11, exec_lo
	v_cmpx_gt_u32_e64 s1, v64
	s_cbranch_execz .LBB1022_36
.LBB1022_35:                            ;   in Loop: Header=BB1022_16 Depth=2
	v_lshlrev_b32_e32 v0, 1, v64
	global_load_d16_b16 v9, v0, s[8:9]
.LBB1022_36:                            ;   in Loop: Header=BB1022_16 Depth=2
	s_or_b32 exec_lo, exec_lo, s11
	s_delay_alu instid0(SALU_CYCLE_1)
	s_mov_b32 s12, exec_lo
                                        ; implicit-def: $sgpr11
                                        ; implicit-def: $vgpr21_vgpr22
	v_cmpx_gt_u32_e64 s1, v66
; %bb.37:                               ;   in Loop: Header=BB1022_16 Depth=2
	v_lshlrev_b32_e32 v0, 1, v66
	s_sub_i32 s11, s63, s34
	s_or_b32 s10, s10, exec_lo
	s_delay_alu instid0(VALU_DEP_1) | instskip(NEXT) | instid1(VALU_DEP_1)
	v_add_co_u32 v21, s8, s8, v0
	v_add_co_ci_u32_e64 v22, null, s9, 0, s8
; %bb.38:                               ;   in Loop: Header=BB1022_16 Depth=2
	s_or_b32 exec_lo, exec_lo, s12
	s_waitcnt vmcnt(0)
	v_dual_mov_b32 v17, v9 :: v_dual_mov_b32 v16, v8
	v_dual_mov_b32 v15, v7 :: v_dual_mov_b32 v14, v6
	v_dual_mov_b32 v13, v5 :: v_dual_mov_b32 v12, v4
	v_dual_mov_b32 v11, v3 :: v_dual_mov_b32 v10, v2
	v_mov_b32_e32 v0, s1
	s_and_saveexec_b32 s8, s10
	s_cbranch_execz .LBB1022_40
.LBB1022_39:                            ;   in Loop: Header=BB1022_16 Depth=2
	global_load_d16_hi_b16 v17, v[21:22], off
	s_waitcnt vmcnt(0)
	v_dual_mov_b32 v2, v10 :: v_dual_mov_b32 v5, v13
	v_dual_mov_b32 v0, s11 :: v_dual_mov_b32 v3, v11
	;; [unrolled: 1-line block ×3, first 2 shown]
	v_mov_b32_e32 v6, v14
	v_dual_mov_b32 v8, v16 :: v_dual_mov_b32 v9, v17
.LBB1022_40:                            ;   in Loop: Header=BB1022_16 Depth=2
	s_or_b32 exec_lo, exec_lo, s8
	s_delay_alu instid0(SALU_CYCLE_1)
	s_mov_b32 s8, exec_lo
	v_cmpx_lt_u32_e64 v18, v0
	s_cbranch_execz .LBB1022_56
; %bb.41:                               ;   in Loop: Header=BB1022_16 Depth=2
	s_waitcnt vmcnt(6)
	v_xor_b32_e32 v10, 0xffff8000, v2
	s_waitcnt vmcnt(5)
	v_lshlrev_b32_e32 v11, 2, v51
	s_delay_alu instid0(VALU_DEP_2) | instskip(NEXT) | instid1(VALU_DEP_1)
	v_and_b32_e32 v10, 0xffff, v10
	v_lshrrev_b32_e32 v10, s42, v10
	s_delay_alu instid0(VALU_DEP_1) | instskip(NEXT) | instid1(VALU_DEP_1)
	v_and_b32_e32 v10, s43, v10
	v_lshl_or_b32 v10, v10, 4, v11
	ds_add_u32 v10, v98
	s_or_b32 exec_lo, exec_lo, s8
	s_delay_alu instid0(SALU_CYCLE_1)
	s_mov_b32 s8, exec_lo
	v_cmpx_lt_u32_e64 v48, v0
	s_cbranch_execnz .LBB1022_57
.LBB1022_42:                            ;   in Loop: Header=BB1022_16 Depth=2
	s_or_b32 exec_lo, exec_lo, s8
	s_delay_alu instid0(SALU_CYCLE_1)
	s_mov_b32 s8, exec_lo
	v_cmpx_lt_u32_e64 v49, v0
	s_cbranch_execz .LBB1022_58
.LBB1022_43:                            ;   in Loop: Header=BB1022_16 Depth=2
	s_waitcnt vmcnt(6)
	v_xor_b32_e32 v10, 0xffff8000, v3
	s_waitcnt vmcnt(5)
	v_lshlrev_b32_e32 v11, 2, v51
	s_delay_alu instid0(VALU_DEP_2) | instskip(NEXT) | instid1(VALU_DEP_1)
	v_and_b32_e32 v10, 0xffff, v10
	v_lshrrev_b32_e32 v10, s42, v10
	s_delay_alu instid0(VALU_DEP_1) | instskip(NEXT) | instid1(VALU_DEP_1)
	v_and_b32_e32 v10, s43, v10
	v_lshl_or_b32 v10, v10, 4, v11
	ds_add_u32 v10, v98
	s_or_b32 exec_lo, exec_lo, s8
	s_delay_alu instid0(SALU_CYCLE_1)
	s_mov_b32 s8, exec_lo
	v_cmpx_lt_u32_e64 v50, v0
	s_cbranch_execnz .LBB1022_59
.LBB1022_44:                            ;   in Loop: Header=BB1022_16 Depth=2
	s_or_b32 exec_lo, exec_lo, s8
	s_delay_alu instid0(SALU_CYCLE_1)
	s_mov_b32 s8, exec_lo
	v_cmpx_lt_u32_e64 v54, v0
	s_cbranch_execz .LBB1022_60
.LBB1022_45:                            ;   in Loop: Header=BB1022_16 Depth=2
	s_waitcnt vmcnt(6)
	v_xor_b32_e32 v10, 0xffff8000, v4
	s_waitcnt vmcnt(5)
	v_lshlrev_b32_e32 v11, 2, v51
	s_delay_alu instid0(VALU_DEP_2) | instskip(NEXT) | instid1(VALU_DEP_1)
	v_and_b32_e32 v10, 0xffff, v10
	v_lshrrev_b32_e32 v10, s42, v10
	s_delay_alu instid0(VALU_DEP_1) | instskip(NEXT) | instid1(VALU_DEP_1)
	v_and_b32_e32 v10, s43, v10
	v_lshl_or_b32 v10, v10, 4, v11
	ds_add_u32 v10, v98
	s_or_b32 exec_lo, exec_lo, s8
	s_delay_alu instid0(SALU_CYCLE_1)
	s_mov_b32 s8, exec_lo
	v_cmpx_lt_u32_e64 v55, v0
	s_cbranch_execnz .LBB1022_61
.LBB1022_46:                            ;   in Loop: Header=BB1022_16 Depth=2
	s_or_b32 exec_lo, exec_lo, s8
	s_delay_alu instid0(SALU_CYCLE_1)
	s_mov_b32 s8, exec_lo
	v_cmpx_lt_u32_e64 v56, v0
	s_cbranch_execz .LBB1022_62
.LBB1022_47:                            ;   in Loop: Header=BB1022_16 Depth=2
	s_waitcnt vmcnt(6)
	v_xor_b32_e32 v10, 0xffff8000, v5
	s_waitcnt vmcnt(5)
	v_lshlrev_b32_e32 v11, 2, v51
	s_delay_alu instid0(VALU_DEP_2) | instskip(NEXT) | instid1(VALU_DEP_1)
	v_and_b32_e32 v10, 0xffff, v10
	v_lshrrev_b32_e32 v10, s42, v10
	s_delay_alu instid0(VALU_DEP_1) | instskip(NEXT) | instid1(VALU_DEP_1)
	v_and_b32_e32 v10, s43, v10
	v_lshl_or_b32 v10, v10, 4, v11
	ds_add_u32 v10, v98
	s_or_b32 exec_lo, exec_lo, s8
	s_delay_alu instid0(SALU_CYCLE_1)
	s_mov_b32 s8, exec_lo
	v_cmpx_lt_u32_e64 v57, v0
	s_cbranch_execnz .LBB1022_63
.LBB1022_48:                            ;   in Loop: Header=BB1022_16 Depth=2
	s_or_b32 exec_lo, exec_lo, s8
	s_delay_alu instid0(SALU_CYCLE_1)
	s_mov_b32 s8, exec_lo
	v_cmpx_lt_u32_e64 v58, v0
	s_cbranch_execz .LBB1022_64
.LBB1022_49:                            ;   in Loop: Header=BB1022_16 Depth=2
	s_waitcnt vmcnt(6)
	v_xor_b32_e32 v10, 0xffff8000, v6
	s_waitcnt vmcnt(5)
	v_lshlrev_b32_e32 v11, 2, v51
	s_delay_alu instid0(VALU_DEP_2) | instskip(NEXT) | instid1(VALU_DEP_1)
	v_and_b32_e32 v10, 0xffff, v10
	v_lshrrev_b32_e32 v10, s42, v10
	s_delay_alu instid0(VALU_DEP_1) | instskip(NEXT) | instid1(VALU_DEP_1)
	v_and_b32_e32 v10, s43, v10
	v_lshl_or_b32 v10, v10, 4, v11
	ds_add_u32 v10, v98
	s_or_b32 exec_lo, exec_lo, s8
	s_delay_alu instid0(SALU_CYCLE_1)
	s_mov_b32 s8, exec_lo
	v_cmpx_lt_u32_e64 v59, v0
	s_cbranch_execnz .LBB1022_65
.LBB1022_50:                            ;   in Loop: Header=BB1022_16 Depth=2
	s_or_b32 exec_lo, exec_lo, s8
	s_delay_alu instid0(SALU_CYCLE_1)
	s_mov_b32 s8, exec_lo
	v_cmpx_lt_u32_e64 v60, v0
	s_cbranch_execz .LBB1022_66
.LBB1022_51:                            ;   in Loop: Header=BB1022_16 Depth=2
	s_waitcnt vmcnt(6)
	v_xor_b32_e32 v10, 0xffff8000, v7
	s_waitcnt vmcnt(5)
	v_lshlrev_b32_e32 v11, 2, v51
	s_delay_alu instid0(VALU_DEP_2) | instskip(NEXT) | instid1(VALU_DEP_1)
	v_and_b32_e32 v10, 0xffff, v10
	v_lshrrev_b32_e32 v10, s42, v10
	s_delay_alu instid0(VALU_DEP_1) | instskip(NEXT) | instid1(VALU_DEP_1)
	v_and_b32_e32 v10, s43, v10
	v_lshl_or_b32 v10, v10, 4, v11
	ds_add_u32 v10, v98
	s_or_b32 exec_lo, exec_lo, s8
	s_delay_alu instid0(SALU_CYCLE_1)
	s_mov_b32 s8, exec_lo
	v_cmpx_lt_u32_e64 v61, v0
	s_cbranch_execnz .LBB1022_67
.LBB1022_52:                            ;   in Loop: Header=BB1022_16 Depth=2
	s_or_b32 exec_lo, exec_lo, s8
	s_delay_alu instid0(SALU_CYCLE_1)
	s_mov_b32 s8, exec_lo
	v_cmpx_lt_u32_e64 v62, v0
	s_cbranch_execz .LBB1022_68
.LBB1022_53:                            ;   in Loop: Header=BB1022_16 Depth=2
	s_waitcnt vmcnt(6)
	v_xor_b32_e32 v10, 0xffff8000, v8
	s_waitcnt vmcnt(5)
	v_lshlrev_b32_e32 v11, 2, v51
	s_delay_alu instid0(VALU_DEP_2) | instskip(NEXT) | instid1(VALU_DEP_1)
	v_and_b32_e32 v10, 0xffff, v10
	v_lshrrev_b32_e32 v10, s42, v10
	s_delay_alu instid0(VALU_DEP_1) | instskip(NEXT) | instid1(VALU_DEP_1)
	v_and_b32_e32 v10, s43, v10
	v_lshl_or_b32 v10, v10, 4, v11
	ds_add_u32 v10, v98
	s_or_b32 exec_lo, exec_lo, s8
	s_delay_alu instid0(SALU_CYCLE_1)
	s_mov_b32 s8, exec_lo
	v_cmpx_lt_u32_e64 v63, v0
	s_cbranch_execnz .LBB1022_69
.LBB1022_54:                            ;   in Loop: Header=BB1022_16 Depth=2
	s_or_b32 exec_lo, exec_lo, s8
	s_delay_alu instid0(SALU_CYCLE_1)
	s_mov_b32 s8, exec_lo
	v_cmpx_lt_u32_e64 v64, v0
	s_cbranch_execz .LBB1022_70
.LBB1022_55:                            ;   in Loop: Header=BB1022_16 Depth=2
	s_waitcnt vmcnt(6)
	v_xor_b32_e32 v10, 0xffff8000, v9
	s_waitcnt vmcnt(5)
	v_lshlrev_b32_e32 v11, 2, v51
	s_delay_alu instid0(VALU_DEP_2) | instskip(NEXT) | instid1(VALU_DEP_1)
	v_and_b32_e32 v10, 0xffff, v10
	v_lshrrev_b32_e32 v10, s42, v10
	s_delay_alu instid0(VALU_DEP_1) | instskip(NEXT) | instid1(VALU_DEP_1)
	v_and_b32_e32 v10, s43, v10
	v_lshl_or_b32 v10, v10, 4, v11
	ds_add_u32 v10, v98
	s_or_b32 exec_lo, exec_lo, s8
	s_delay_alu instid0(SALU_CYCLE_1)
	s_mov_b32 s8, exec_lo
	v_cmpx_lt_u32_e64 v66, v0
	s_cbranch_execz .LBB1022_15
	s_branch .LBB1022_71
.LBB1022_56:                            ;   in Loop: Header=BB1022_16 Depth=2
	s_or_b32 exec_lo, exec_lo, s8
	s_delay_alu instid0(SALU_CYCLE_1)
	s_mov_b32 s8, exec_lo
	v_cmpx_lt_u32_e64 v48, v0
	s_cbranch_execz .LBB1022_42
.LBB1022_57:                            ;   in Loop: Header=BB1022_16 Depth=2
	s_waitcnt vmcnt(6)
	v_lshrrev_b32_e32 v10, 16, v2
	s_waitcnt vmcnt(5)
	v_lshlrev_b32_e32 v11, 2, v51
	s_delay_alu instid0(VALU_DEP_2) | instskip(NEXT) | instid1(VALU_DEP_1)
	v_xor_b32_e32 v10, 0xffff8000, v10
	v_and_b32_e32 v10, 0xffff, v10
	s_delay_alu instid0(VALU_DEP_1) | instskip(NEXT) | instid1(VALU_DEP_1)
	v_lshrrev_b32_e32 v10, s42, v10
	v_and_b32_e32 v10, s43, v10
	s_delay_alu instid0(VALU_DEP_1) | instskip(SKIP_2) | instid1(SALU_CYCLE_1)
	v_lshl_or_b32 v10, v10, 4, v11
	ds_add_u32 v10, v98
	s_or_b32 exec_lo, exec_lo, s8
	s_mov_b32 s8, exec_lo
	v_cmpx_lt_u32_e64 v49, v0
	s_cbranch_execnz .LBB1022_43
.LBB1022_58:                            ;   in Loop: Header=BB1022_16 Depth=2
	s_or_b32 exec_lo, exec_lo, s8
	s_delay_alu instid0(SALU_CYCLE_1)
	s_mov_b32 s8, exec_lo
	v_cmpx_lt_u32_e64 v50, v0
	s_cbranch_execz .LBB1022_44
.LBB1022_59:                            ;   in Loop: Header=BB1022_16 Depth=2
	s_waitcnt vmcnt(6)
	v_lshrrev_b32_e32 v10, 16, v3
	s_waitcnt vmcnt(5)
	v_lshlrev_b32_e32 v11, 2, v51
	s_delay_alu instid0(VALU_DEP_2) | instskip(NEXT) | instid1(VALU_DEP_1)
	v_xor_b32_e32 v10, 0xffff8000, v10
	v_and_b32_e32 v10, 0xffff, v10
	s_delay_alu instid0(VALU_DEP_1) | instskip(NEXT) | instid1(VALU_DEP_1)
	v_lshrrev_b32_e32 v10, s42, v10
	v_and_b32_e32 v10, s43, v10
	s_delay_alu instid0(VALU_DEP_1) | instskip(SKIP_2) | instid1(SALU_CYCLE_1)
	v_lshl_or_b32 v10, v10, 4, v11
	ds_add_u32 v10, v98
	s_or_b32 exec_lo, exec_lo, s8
	s_mov_b32 s8, exec_lo
	v_cmpx_lt_u32_e64 v54, v0
	s_cbranch_execnz .LBB1022_45
.LBB1022_60:                            ;   in Loop: Header=BB1022_16 Depth=2
	s_or_b32 exec_lo, exec_lo, s8
	s_delay_alu instid0(SALU_CYCLE_1)
	s_mov_b32 s8, exec_lo
	v_cmpx_lt_u32_e64 v55, v0
	s_cbranch_execz .LBB1022_46
.LBB1022_61:                            ;   in Loop: Header=BB1022_16 Depth=2
	s_waitcnt vmcnt(6)
	v_lshrrev_b32_e32 v10, 16, v4
	s_waitcnt vmcnt(5)
	v_lshlrev_b32_e32 v11, 2, v51
	s_delay_alu instid0(VALU_DEP_2) | instskip(NEXT) | instid1(VALU_DEP_1)
	v_xor_b32_e32 v10, 0xffff8000, v10
	v_and_b32_e32 v10, 0xffff, v10
	s_delay_alu instid0(VALU_DEP_1) | instskip(NEXT) | instid1(VALU_DEP_1)
	v_lshrrev_b32_e32 v10, s42, v10
	v_and_b32_e32 v10, s43, v10
	s_delay_alu instid0(VALU_DEP_1) | instskip(SKIP_2) | instid1(SALU_CYCLE_1)
	v_lshl_or_b32 v10, v10, 4, v11
	ds_add_u32 v10, v98
	s_or_b32 exec_lo, exec_lo, s8
	s_mov_b32 s8, exec_lo
	v_cmpx_lt_u32_e64 v56, v0
	s_cbranch_execnz .LBB1022_47
.LBB1022_62:                            ;   in Loop: Header=BB1022_16 Depth=2
	s_or_b32 exec_lo, exec_lo, s8
	s_delay_alu instid0(SALU_CYCLE_1)
	s_mov_b32 s8, exec_lo
	v_cmpx_lt_u32_e64 v57, v0
	s_cbranch_execz .LBB1022_48
.LBB1022_63:                            ;   in Loop: Header=BB1022_16 Depth=2
	s_waitcnt vmcnt(6)
	v_lshrrev_b32_e32 v10, 16, v5
	s_waitcnt vmcnt(5)
	v_lshlrev_b32_e32 v11, 2, v51
	s_delay_alu instid0(VALU_DEP_2) | instskip(NEXT) | instid1(VALU_DEP_1)
	v_xor_b32_e32 v10, 0xffff8000, v10
	v_and_b32_e32 v10, 0xffff, v10
	s_delay_alu instid0(VALU_DEP_1) | instskip(NEXT) | instid1(VALU_DEP_1)
	v_lshrrev_b32_e32 v10, s42, v10
	v_and_b32_e32 v10, s43, v10
	s_delay_alu instid0(VALU_DEP_1) | instskip(SKIP_2) | instid1(SALU_CYCLE_1)
	v_lshl_or_b32 v10, v10, 4, v11
	ds_add_u32 v10, v98
	s_or_b32 exec_lo, exec_lo, s8
	s_mov_b32 s8, exec_lo
	v_cmpx_lt_u32_e64 v58, v0
	s_cbranch_execnz .LBB1022_49
.LBB1022_64:                            ;   in Loop: Header=BB1022_16 Depth=2
	s_or_b32 exec_lo, exec_lo, s8
	s_delay_alu instid0(SALU_CYCLE_1)
	s_mov_b32 s8, exec_lo
	v_cmpx_lt_u32_e64 v59, v0
	s_cbranch_execz .LBB1022_50
.LBB1022_65:                            ;   in Loop: Header=BB1022_16 Depth=2
	s_waitcnt vmcnt(6)
	v_lshrrev_b32_e32 v10, 16, v6
	s_waitcnt vmcnt(5)
	v_lshlrev_b32_e32 v11, 2, v51
	s_delay_alu instid0(VALU_DEP_2) | instskip(NEXT) | instid1(VALU_DEP_1)
	v_xor_b32_e32 v10, 0xffff8000, v10
	v_and_b32_e32 v10, 0xffff, v10
	s_delay_alu instid0(VALU_DEP_1) | instskip(NEXT) | instid1(VALU_DEP_1)
	v_lshrrev_b32_e32 v10, s42, v10
	v_and_b32_e32 v10, s43, v10
	s_delay_alu instid0(VALU_DEP_1) | instskip(SKIP_2) | instid1(SALU_CYCLE_1)
	v_lshl_or_b32 v10, v10, 4, v11
	ds_add_u32 v10, v98
	s_or_b32 exec_lo, exec_lo, s8
	s_mov_b32 s8, exec_lo
	v_cmpx_lt_u32_e64 v60, v0
	s_cbranch_execnz .LBB1022_51
.LBB1022_66:                            ;   in Loop: Header=BB1022_16 Depth=2
	s_or_b32 exec_lo, exec_lo, s8
	s_delay_alu instid0(SALU_CYCLE_1)
	s_mov_b32 s8, exec_lo
	v_cmpx_lt_u32_e64 v61, v0
	s_cbranch_execz .LBB1022_52
.LBB1022_67:                            ;   in Loop: Header=BB1022_16 Depth=2
	s_waitcnt vmcnt(6)
	v_lshrrev_b32_e32 v10, 16, v7
	s_waitcnt vmcnt(5)
	v_lshlrev_b32_e32 v11, 2, v51
	s_delay_alu instid0(VALU_DEP_2) | instskip(NEXT) | instid1(VALU_DEP_1)
	v_xor_b32_e32 v10, 0xffff8000, v10
	v_and_b32_e32 v10, 0xffff, v10
	s_delay_alu instid0(VALU_DEP_1) | instskip(NEXT) | instid1(VALU_DEP_1)
	v_lshrrev_b32_e32 v10, s42, v10
	v_and_b32_e32 v10, s43, v10
	s_delay_alu instid0(VALU_DEP_1) | instskip(SKIP_2) | instid1(SALU_CYCLE_1)
	v_lshl_or_b32 v10, v10, 4, v11
	ds_add_u32 v10, v98
	s_or_b32 exec_lo, exec_lo, s8
	s_mov_b32 s8, exec_lo
	v_cmpx_lt_u32_e64 v62, v0
	s_cbranch_execnz .LBB1022_53
.LBB1022_68:                            ;   in Loop: Header=BB1022_16 Depth=2
	s_or_b32 exec_lo, exec_lo, s8
	s_delay_alu instid0(SALU_CYCLE_1)
	s_mov_b32 s8, exec_lo
	v_cmpx_lt_u32_e64 v63, v0
	s_cbranch_execz .LBB1022_54
.LBB1022_69:                            ;   in Loop: Header=BB1022_16 Depth=2
	s_waitcnt vmcnt(6)
	v_lshrrev_b32_e32 v10, 16, v8
	s_waitcnt vmcnt(5)
	v_lshlrev_b32_e32 v11, 2, v51
	s_delay_alu instid0(VALU_DEP_2) | instskip(NEXT) | instid1(VALU_DEP_1)
	v_xor_b32_e32 v10, 0xffff8000, v10
	v_and_b32_e32 v10, 0xffff, v10
	s_delay_alu instid0(VALU_DEP_1) | instskip(NEXT) | instid1(VALU_DEP_1)
	v_lshrrev_b32_e32 v10, s42, v10
	v_and_b32_e32 v10, s43, v10
	s_delay_alu instid0(VALU_DEP_1) | instskip(SKIP_2) | instid1(SALU_CYCLE_1)
	v_lshl_or_b32 v10, v10, 4, v11
	ds_add_u32 v10, v98
	s_or_b32 exec_lo, exec_lo, s8
	s_mov_b32 s8, exec_lo
	v_cmpx_lt_u32_e64 v64, v0
	s_cbranch_execnz .LBB1022_55
.LBB1022_70:                            ;   in Loop: Header=BB1022_16 Depth=2
	s_or_b32 exec_lo, exec_lo, s8
	s_delay_alu instid0(SALU_CYCLE_1)
	s_mov_b32 s8, exec_lo
	v_cmpx_lt_u32_e64 v66, v0
	s_cbranch_execz .LBB1022_15
.LBB1022_71:                            ;   in Loop: Header=BB1022_16 Depth=2
	v_lshrrev_b32_e32 v0, 16, v9
	s_waitcnt vmcnt(6)
	v_lshlrev_b32_e32 v10, 2, v51
	s_delay_alu instid0(VALU_DEP_2) | instskip(NEXT) | instid1(VALU_DEP_1)
	v_xor_b32_e32 v0, 0xffff8000, v0
	v_and_b32_e32 v0, 0xffff, v0
	s_delay_alu instid0(VALU_DEP_1) | instskip(NEXT) | instid1(VALU_DEP_1)
	v_lshrrev_b32_e32 v0, s42, v0
	v_and_b32_e32 v0, s43, v0
	s_delay_alu instid0(VALU_DEP_1)
	v_lshl_or_b32 v0, v0, 4, v10
	ds_add_u32 v0, v98
	s_branch .LBB1022_15
.LBB1022_72:                            ;   in Loop: Header=BB1022_16 Depth=2
	s_or_b32 exec_lo, exec_lo, s11
	s_delay_alu instid0(SALU_CYCLE_1)
	s_mov_b32 s11, exec_lo
	v_cmpx_gt_u32_e64 s1, v48
	s_cbranch_execz .LBB1022_22
.LBB1022_73:                            ;   in Loop: Header=BB1022_16 Depth=2
	global_load_d16_hi_b16 v2, v99, s[8:9] offset:512
	s_or_b32 exec_lo, exec_lo, s11
	s_delay_alu instid0(SALU_CYCLE_1)
	s_mov_b32 s11, exec_lo
	v_cmpx_gt_u32_e64 s1, v49
	s_cbranch_execnz .LBB1022_23
.LBB1022_74:                            ;   in Loop: Header=BB1022_16 Depth=2
	s_or_b32 exec_lo, exec_lo, s11
	s_delay_alu instid0(SALU_CYCLE_1)
	s_mov_b32 s11, exec_lo
	v_cmpx_gt_u32_e64 s1, v50
	s_cbranch_execz .LBB1022_24
.LBB1022_75:                            ;   in Loop: Header=BB1022_16 Depth=2
	global_load_d16_hi_b16 v3, v99, s[8:9] offset:1536
	s_or_b32 exec_lo, exec_lo, s11
	s_delay_alu instid0(SALU_CYCLE_1)
	s_mov_b32 s11, exec_lo
	v_cmpx_gt_u32_e64 s1, v54
	s_cbranch_execnz .LBB1022_25
.LBB1022_76:                            ;   in Loop: Header=BB1022_16 Depth=2
	s_or_b32 exec_lo, exec_lo, s11
	s_delay_alu instid0(SALU_CYCLE_1)
	s_mov_b32 s11, exec_lo
	v_cmpx_gt_u32_e64 s1, v55
	s_cbranch_execz .LBB1022_26
.LBB1022_77:                            ;   in Loop: Header=BB1022_16 Depth=2
	global_load_d16_hi_b16 v4, v99, s[8:9] offset:2560
	s_or_b32 exec_lo, exec_lo, s11
	s_delay_alu instid0(SALU_CYCLE_1)
	s_mov_b32 s11, exec_lo
	v_cmpx_gt_u32_e64 s1, v56
	s_cbranch_execnz .LBB1022_27
.LBB1022_78:                            ;   in Loop: Header=BB1022_16 Depth=2
	s_or_b32 exec_lo, exec_lo, s11
	s_delay_alu instid0(SALU_CYCLE_1)
	s_mov_b32 s11, exec_lo
	v_cmpx_gt_u32_e64 s1, v57
	s_cbranch_execz .LBB1022_28
.LBB1022_79:                            ;   in Loop: Header=BB1022_16 Depth=2
	global_load_d16_hi_b16 v5, v99, s[8:9] offset:3584
	s_or_b32 exec_lo, exec_lo, s11
	s_delay_alu instid0(SALU_CYCLE_1)
	s_mov_b32 s11, exec_lo
	v_cmpx_gt_u32_e64 s1, v58
	s_cbranch_execnz .LBB1022_29
.LBB1022_80:                            ;   in Loop: Header=BB1022_16 Depth=2
	s_or_b32 exec_lo, exec_lo, s11
	s_delay_alu instid0(SALU_CYCLE_1)
	s_mov_b32 s11, exec_lo
	v_cmpx_gt_u32_e64 s1, v59
	s_cbranch_execz .LBB1022_30
.LBB1022_81:                            ;   in Loop: Header=BB1022_16 Depth=2
	v_lshlrev_b32_e32 v0, 1, v59
	global_load_d16_hi_b16 v6, v0, s[8:9]
	s_or_b32 exec_lo, exec_lo, s11
	s_delay_alu instid0(SALU_CYCLE_1)
	s_mov_b32 s11, exec_lo
	v_cmpx_gt_u32_e64 s1, v60
	s_cbranch_execnz .LBB1022_31
.LBB1022_82:                            ;   in Loop: Header=BB1022_16 Depth=2
	s_or_b32 exec_lo, exec_lo, s11
	s_delay_alu instid0(SALU_CYCLE_1)
	s_mov_b32 s11, exec_lo
	v_cmpx_gt_u32_e64 s1, v61
	s_cbranch_execz .LBB1022_32
.LBB1022_83:                            ;   in Loop: Header=BB1022_16 Depth=2
	v_lshlrev_b32_e32 v0, 1, v61
	global_load_d16_hi_b16 v7, v0, s[8:9]
	s_or_b32 exec_lo, exec_lo, s11
	s_delay_alu instid0(SALU_CYCLE_1)
	s_mov_b32 s11, exec_lo
	v_cmpx_gt_u32_e64 s1, v62
	s_cbranch_execnz .LBB1022_33
.LBB1022_84:                            ;   in Loop: Header=BB1022_16 Depth=2
	s_or_b32 exec_lo, exec_lo, s11
	s_delay_alu instid0(SALU_CYCLE_1)
	s_mov_b32 s11, exec_lo
	v_cmpx_gt_u32_e64 s1, v63
	s_cbranch_execz .LBB1022_34
.LBB1022_85:                            ;   in Loop: Header=BB1022_16 Depth=2
	v_lshlrev_b32_e32 v0, 1, v63
	global_load_d16_hi_b16 v8, v0, s[8:9]
	s_or_b32 exec_lo, exec_lo, s11
	s_delay_alu instid0(SALU_CYCLE_1)
	s_mov_b32 s11, exec_lo
	v_cmpx_gt_u32_e64 s1, v64
	s_cbranch_execz .LBB1022_36
	s_branch .LBB1022_35
.LBB1022_86:                            ;   in Loop: Header=BB1022_12 Depth=1
	v_mov_b32_e32 v0, 0
	s_waitcnt vmcnt(0) lgkmcnt(0)
	s_barrier
	buffer_gl0_inv
	s_and_saveexec_b32 s1, s2
	s_cbranch_execz .LBB1022_88
; %bb.87:                               ;   in Loop: Header=BB1022_12 Depth=1
	ds_load_2addr_b64 v[2:5], v67 offset1:1
	s_waitcnt lgkmcnt(0)
	v_add_nc_u32_e32 v0, v3, v2
	s_delay_alu instid0(VALU_DEP_1)
	v_add3_u32 v0, v0, v4, v5
.LBB1022_88:                            ;   in Loop: Header=BB1022_12 Depth=1
	s_or_b32 exec_lo, exec_lo, s1
	v_and_b32_e32 v2, 15, v100
	s_delay_alu instid0(VALU_DEP_2) | instskip(SKIP_1) | instid1(VALU_DEP_3)
	v_mov_b32_dpp v3, v0 row_shr:1 row_mask:0xf bank_mask:0xf
	v_and_b32_e32 v4, 16, v100
	v_cmp_eq_u32_e64 s1, 0, v2
	v_cmp_lt_u32_e64 s7, 1, v2
	v_cmp_lt_u32_e64 s8, 3, v2
	;; [unrolled: 1-line block ×3, first 2 shown]
	v_cmp_eq_u32_e64 s10, 0, v4
	v_cndmask_b32_e64 v3, v3, 0, s1
	s_delay_alu instid0(VALU_DEP_1) | instskip(NEXT) | instid1(VALU_DEP_1)
	v_add_nc_u32_e32 v0, v3, v0
	v_mov_b32_dpp v3, v0 row_shr:2 row_mask:0xf bank_mask:0xf
	s_delay_alu instid0(VALU_DEP_1) | instskip(NEXT) | instid1(VALU_DEP_1)
	v_cndmask_b32_e64 v3, 0, v3, s7
	v_add_nc_u32_e32 v0, v0, v3
	s_delay_alu instid0(VALU_DEP_1) | instskip(NEXT) | instid1(VALU_DEP_1)
	v_mov_b32_dpp v3, v0 row_shr:4 row_mask:0xf bank_mask:0xf
	v_cndmask_b32_e64 v3, 0, v3, s8
	s_delay_alu instid0(VALU_DEP_1) | instskip(NEXT) | instid1(VALU_DEP_1)
	v_add_nc_u32_e32 v0, v0, v3
	v_mov_b32_dpp v3, v0 row_shr:8 row_mask:0xf bank_mask:0xf
	s_delay_alu instid0(VALU_DEP_1) | instskip(SKIP_1) | instid1(VALU_DEP_2)
	v_cndmask_b32_e64 v2, 0, v3, s9
	v_bfe_i32 v3, v100, 4, 1
	v_add_nc_u32_e32 v0, v0, v2
	ds_swizzle_b32 v2, v0 offset:swizzle(BROADCAST,32,15)
	s_waitcnt lgkmcnt(0)
	v_and_b32_e32 v2, v3, v2
	s_delay_alu instid0(VALU_DEP_1)
	v_add_nc_u32_e32 v2, v0, v2
	s_and_saveexec_b32 s11, s3
	s_cbranch_execz .LBB1022_90
; %bb.89:                               ;   in Loop: Header=BB1022_12 Depth=1
	ds_store_b32 v68, v2
.LBB1022_90:                            ;   in Loop: Header=BB1022_12 Depth=1
	s_or_b32 exec_lo, exec_lo, s11
	v_and_b32_e32 v0, 7, v100
	s_waitcnt lgkmcnt(0)
	s_barrier
	buffer_gl0_inv
	s_and_saveexec_b32 s11, s4
	s_cbranch_execz .LBB1022_92
; %bb.91:                               ;   in Loop: Header=BB1022_12 Depth=1
	ds_load_b32 v3, v69
	v_cmp_ne_u32_e32 vcc_lo, 0, v0
	s_waitcnt lgkmcnt(0)
	v_mov_b32_dpp v4, v3 row_shr:1 row_mask:0xf bank_mask:0xf
	s_delay_alu instid0(VALU_DEP_1) | instskip(SKIP_1) | instid1(VALU_DEP_2)
	v_cndmask_b32_e32 v4, 0, v4, vcc_lo
	v_cmp_lt_u32_e32 vcc_lo, 1, v0
	v_add_nc_u32_e32 v3, v4, v3
	s_delay_alu instid0(VALU_DEP_1) | instskip(NEXT) | instid1(VALU_DEP_1)
	v_mov_b32_dpp v4, v3 row_shr:2 row_mask:0xf bank_mask:0xf
	v_cndmask_b32_e32 v4, 0, v4, vcc_lo
	v_cmp_lt_u32_e32 vcc_lo, 3, v0
	s_delay_alu instid0(VALU_DEP_2) | instskip(NEXT) | instid1(VALU_DEP_1)
	v_add_nc_u32_e32 v3, v3, v4
	v_mov_b32_dpp v4, v3 row_shr:4 row_mask:0xf bank_mask:0xf
	s_delay_alu instid0(VALU_DEP_1) | instskip(NEXT) | instid1(VALU_DEP_1)
	v_cndmask_b32_e32 v4, 0, v4, vcc_lo
	v_add_nc_u32_e32 v3, v3, v4
	ds_store_b32 v69, v3
.LBB1022_92:                            ;   in Loop: Header=BB1022_12 Depth=1
	s_or_b32 exec_lo, exec_lo, s11
	v_mov_b32_e32 v3, 0
	s_waitcnt lgkmcnt(0)
	s_barrier
	buffer_gl0_inv
	s_and_saveexec_b32 s11, s5
	s_cbranch_execz .LBB1022_94
; %bb.93:                               ;   in Loop: Header=BB1022_12 Depth=1
	ds_load_b32 v3, v70
.LBB1022_94:                            ;   in Loop: Header=BB1022_12 Depth=1
	s_or_b32 exec_lo, exec_lo, s11
	v_add_nc_u32_e32 v4, -1, v100
	s_waitcnt lgkmcnt(0)
	v_add_nc_u32_e32 v2, v3, v2
	v_cmp_eq_u32_e64 s11, 0, v100
	s_barrier
	v_cmp_gt_i32_e32 vcc_lo, 0, v4
	buffer_gl0_inv
	v_cndmask_b32_e32 v4, v4, v100, vcc_lo
	s_delay_alu instid0(VALU_DEP_1)
	v_lshlrev_b32_e32 v101, 2, v4
	ds_bpermute_b32 v2, v101, v2
	s_and_saveexec_b32 s12, s2
	s_cbranch_execz .LBB1022_96
; %bb.95:                               ;   in Loop: Header=BB1022_12 Depth=1
	s_waitcnt lgkmcnt(0)
	v_cndmask_b32_e64 v2, v2, v3, s11
	s_delay_alu instid0(VALU_DEP_1)
	v_add_nc_u32_e32 v2, s62, v2
	ds_store_b32 v47, v2
.LBB1022_96:                            ;   in Loop: Header=BB1022_12 Depth=1
	s_or_b32 exec_lo, exec_lo, s12
	s_clause 0x1
	s_load_b32 s12, s[60:61], 0x4
	s_load_b32 s16, s[60:61], 0xc
	v_lshlrev_b32_e32 v3, 3, v100
	v_cmp_lt_u32_e64 s14, 3, v0
	v_or_b32_e32 v102, v100, v71
	s_mov_b32 s56, s64
	s_mov_b32 s34, s62
	v_add_co_u32 v103, vcc_lo, v78, v3
	v_add_co_ci_u32_e32 v104, vcc_lo, 0, v79, vcc_lo
	v_or_b32_e32 v105, 32, v102
	v_or_b32_e32 v106, 64, v102
	;; [unrolled: 1-line block ×9, first 2 shown]
	s_waitcnt lgkmcnt(0)
	s_cmp_lt_u32 s15, s12
	v_or_b32_e32 v114, 0x140, v102
	s_cselect_b32 s12, 14, 20
	v_or_b32_e32 v115, 0x160, v102
	s_add_u32 s12, s60, s12
	s_addc_u32 s13, s61, 0
	s_and_b32 s16, s16, 0xffff
	global_load_u16 v2, v20, s[12:13]
	v_cmp_eq_u32_e64 s12, 0, v0
	v_cmp_lt_u32_e64 s13, 1, v0
	v_lshlrev_b32_e32 v0, 1, v100
	v_or_b32_e32 v116, 0x180, v102
	v_or_b32_e32 v117, 0x1a0, v102
	;; [unrolled: 1-line block ×4, first 2 shown]
	v_add_co_u32 v120, vcc_lo, v80, v0
	v_add_co_ci_u32_e32 v121, vcc_lo, 0, v81, vcc_lo
                                        ; implicit-def: $vgpr10_vgpr11
                                        ; implicit-def: $vgpr12_vgpr13
                                        ; implicit-def: $vgpr14_vgpr15
                                        ; implicit-def: $vgpr16_vgpr17
                                        ; implicit-def: $vgpr21_vgpr22
                                        ; implicit-def: $vgpr23_vgpr24
                                        ; implicit-def: $vgpr25_vgpr26
                                        ; implicit-def: $vgpr27_vgpr28
                                        ; implicit-def: $vgpr29_vgpr30
                                        ; implicit-def: $vgpr31_vgpr32
                                        ; implicit-def: $vgpr33_vgpr34
                                        ; implicit-def: $vgpr35_vgpr36
                                        ; implicit-def: $vgpr37_vgpr38
                                        ; implicit-def: $vgpr39_vgpr40
                                        ; implicit-def: $vgpr41_vgpr42
                                        ; implicit-def: $vgpr43_vgpr44
                                        ; implicit-def: $vgpr125
                                        ; implicit-def: $vgpr126
                                        ; implicit-def: $vgpr127
                                        ; implicit-def: $vgpr128
                                        ; implicit-def: $vgpr129
                                        ; implicit-def: $vgpr130
                                        ; implicit-def: $vgpr131
                                        ; implicit-def: $vgpr132
                                        ; implicit-def: $vgpr133
                                        ; implicit-def: $vgpr134
                                        ; implicit-def: $vgpr135
                                        ; implicit-def: $vgpr136
                                        ; implicit-def: $vgpr137
                                        ; implicit-def: $vgpr138
                                        ; implicit-def: $vgpr139
                                        ; implicit-def: $vgpr140
                                        ; implicit-def: $vgpr9
	s_delay_alu instid0(VALU_DEP_2) | instskip(NEXT) | instid1(VALU_DEP_2)
	v_add_co_u32 v123, vcc_lo, 0x3c0, v120
	v_add_co_ci_u32_e32 v124, vcc_lo, 0, v121, vcc_lo
	s_waitcnt vmcnt(0)
	v_mad_u32_u24 v4, v72, v2, v74
	s_delay_alu instid0(VALU_DEP_1) | instskip(NEXT) | instid1(VALU_DEP_1)
	v_mad_u64_u32 v[2:3], null, v4, s16, v[18:19]
	v_lshrrev_b32_e32 v122, 5, v2
	s_branch .LBB1022_98
.LBB1022_97:                            ;   in Loop: Header=BB1022_98 Depth=2
	s_or_b32 exec_lo, exec_lo, s16
	s_addk_i32 s56, 0xf000
	s_cmp_lt_u32 s65, s63
	s_mov_b32 s34, s65
	s_cbranch_scc0 .LBB1022_306
.LBB1022_98:                            ;   Parent Loop BB1022_12 Depth=1
                                        ; =>  This Inner Loop Header: Depth=2
	s_add_i32 s65, s34, 0x1000
	s_delay_alu instid0(SALU_CYCLE_1)
	s_cmp_gt_u32 s65, s63
	s_cbranch_scc1 .LBB1022_100
; %bb.99:                               ;   in Loop: Header=BB1022_98 Depth=2
	s_mov_b32 s17, 0
	s_mov_b32 s16, s34
	s_delay_alu instid0(SALU_CYCLE_1) | instskip(NEXT) | instid1(SALU_CYCLE_1)
	s_lshl_b64 s[18:19], s[16:17], 1
	v_add_co_u32 v45, vcc_lo, v120, s18
	v_add_co_ci_u32_e32 v46, vcc_lo, s19, v121, vcc_lo
	s_mov_b32 s19, -1
	s_movk_i32 s18, 0x1000
	s_clause 0xe
	global_load_u16 v2, v[45:46], off
	global_load_u16 v3, v[45:46], off offset:128
	global_load_u16 v4, v[45:46], off offset:256
	;; [unrolled: 1-line block ×6, first 2 shown]
	global_load_d16_b16 v9, v[45:46], off offset:896
	global_load_d16_hi_b16 v2, v[45:46], off offset:64
	global_load_d16_hi_b16 v3, v[45:46], off offset:192
	;; [unrolled: 1-line block ×7, first 2 shown]
	s_cbranch_execz .LBB1022_101
	s_branch .LBB1022_118
.LBB1022_100:                           ;   in Loop: Header=BB1022_98 Depth=2
	s_mov_b32 s17, -1
	s_mov_b32 s19, 0
                                        ; implicit-def: $sgpr18
                                        ; implicit-def: $vgpr2_vgpr3_vgpr4_vgpr5_vgpr6_vgpr7_vgpr8_vgpr9
.LBB1022_101:                           ;   in Loop: Header=BB1022_98 Depth=2
	s_lshl_b64 s[16:17], s[34:35], 1
	s_mov_b32 s45, s44
	v_add_co_u32 v45, vcc_lo, v120, s16
	s_mov_b32 s46, s44
	s_mov_b32 s47, s44
	;; [unrolled: 1-line block ×6, first 2 shown]
	s_waitcnt vmcnt(0)
	v_dual_mov_b32 v2, s44 :: v_dual_mov_b32 v3, s45
	v_add_co_ci_u32_e32 v46, vcc_lo, s17, v121, vcc_lo
	v_dual_mov_b32 v4, s46 :: v_dual_mov_b32 v5, s47
	v_dual_mov_b32 v6, s48 :: v_dual_mov_b32 v7, s49
	;; [unrolled: 1-line block ×3, first 2 shown]
	s_mov_b32 s16, exec_lo
	v_cmpx_gt_u32_e64 s56, v102
	s_cbranch_execz .LBB1022_292
; %bb.102:                              ;   in Loop: Header=BB1022_98 Depth=2
	v_dual_mov_b32 v0, 0x7fff0000 :: v_dual_mov_b32 v3, v1
	v_mov_b32_e32 v7, v1
	v_mov_b32_e32 v2, v1
	;; [unrolled: 1-line block ×3, first 2 shown]
	global_load_d16_b16 v0, v[45:46], off
	v_mov_b32_e32 v5, v1
	v_mov_b32_e32 v6, v1
	s_waitcnt vmcnt(0)
	v_mov_b32_e32 v9, v7
	s_delay_alu instid0(VALU_DEP_2)
	v_dual_mov_b32 v8, v6 :: v_dual_mov_b32 v7, v5
	v_mov_b32_e32 v6, v4
	v_mov_b32_e32 v5, v3
	;; [unrolled: 1-line block ×5, first 2 shown]
	s_or_b32 exec_lo, exec_lo, s16
	s_delay_alu instid0(SALU_CYCLE_1)
	s_mov_b32 s16, exec_lo
	v_cmpx_gt_u32_e64 s56, v105
	s_cbranch_execnz .LBB1022_293
.LBB1022_103:                           ;   in Loop: Header=BB1022_98 Depth=2
	s_or_b32 exec_lo, exec_lo, s16
	s_delay_alu instid0(SALU_CYCLE_1)
	s_mov_b32 s16, exec_lo
	v_cmpx_gt_u32_e64 s56, v106
	s_cbranch_execz .LBB1022_294
.LBB1022_104:                           ;   in Loop: Header=BB1022_98 Depth=2
	global_load_d16_b16 v3, v[45:46], off offset:128
	s_or_b32 exec_lo, exec_lo, s16
	s_delay_alu instid0(SALU_CYCLE_1)
	s_mov_b32 s16, exec_lo
	v_cmpx_gt_u32_e64 s56, v107
	s_cbranch_execnz .LBB1022_295
.LBB1022_105:                           ;   in Loop: Header=BB1022_98 Depth=2
	s_or_b32 exec_lo, exec_lo, s16
	s_delay_alu instid0(SALU_CYCLE_1)
	s_mov_b32 s16, exec_lo
	v_cmpx_gt_u32_e64 s56, v108
	s_cbranch_execz .LBB1022_296
.LBB1022_106:                           ;   in Loop: Header=BB1022_98 Depth=2
	global_load_d16_b16 v4, v[45:46], off offset:256
	s_or_b32 exec_lo, exec_lo, s16
	s_delay_alu instid0(SALU_CYCLE_1)
	s_mov_b32 s16, exec_lo
	v_cmpx_gt_u32_e64 s56, v109
	s_cbranch_execnz .LBB1022_297
.LBB1022_107:                           ;   in Loop: Header=BB1022_98 Depth=2
	s_or_b32 exec_lo, exec_lo, s16
	s_delay_alu instid0(SALU_CYCLE_1)
	s_mov_b32 s16, exec_lo
	v_cmpx_gt_u32_e64 s56, v110
	s_cbranch_execz .LBB1022_298
.LBB1022_108:                           ;   in Loop: Header=BB1022_98 Depth=2
	global_load_d16_b16 v5, v[45:46], off offset:384
	s_or_b32 exec_lo, exec_lo, s16
	s_delay_alu instid0(SALU_CYCLE_1)
	s_mov_b32 s16, exec_lo
	v_cmpx_gt_u32_e64 s56, v111
	s_cbranch_execnz .LBB1022_299
.LBB1022_109:                           ;   in Loop: Header=BB1022_98 Depth=2
	s_or_b32 exec_lo, exec_lo, s16
	s_delay_alu instid0(SALU_CYCLE_1)
	s_mov_b32 s16, exec_lo
	v_cmpx_gt_u32_e64 s56, v112
	s_cbranch_execz .LBB1022_300
.LBB1022_110:                           ;   in Loop: Header=BB1022_98 Depth=2
	global_load_d16_b16 v6, v[45:46], off offset:512
	s_or_b32 exec_lo, exec_lo, s16
	s_delay_alu instid0(SALU_CYCLE_1)
	s_mov_b32 s16, exec_lo
	v_cmpx_gt_u32_e64 s56, v113
	s_cbranch_execnz .LBB1022_301
.LBB1022_111:                           ;   in Loop: Header=BB1022_98 Depth=2
	s_or_b32 exec_lo, exec_lo, s16
	s_delay_alu instid0(SALU_CYCLE_1)
	s_mov_b32 s16, exec_lo
	v_cmpx_gt_u32_e64 s56, v114
	s_cbranch_execz .LBB1022_302
.LBB1022_112:                           ;   in Loop: Header=BB1022_98 Depth=2
	global_load_d16_b16 v7, v[45:46], off offset:640
	s_or_b32 exec_lo, exec_lo, s16
	s_delay_alu instid0(SALU_CYCLE_1)
	s_mov_b32 s16, exec_lo
	v_cmpx_gt_u32_e64 s56, v115
	s_cbranch_execnz .LBB1022_303
.LBB1022_113:                           ;   in Loop: Header=BB1022_98 Depth=2
	s_or_b32 exec_lo, exec_lo, s16
	s_delay_alu instid0(SALU_CYCLE_1)
	s_mov_b32 s16, exec_lo
	v_cmpx_gt_u32_e64 s56, v116
	s_cbranch_execz .LBB1022_304
.LBB1022_114:                           ;   in Loop: Header=BB1022_98 Depth=2
	global_load_d16_b16 v8, v[45:46], off offset:768
	s_or_b32 exec_lo, exec_lo, s16
	s_delay_alu instid0(SALU_CYCLE_1)
	s_mov_b32 s16, exec_lo
	v_cmpx_gt_u32_e64 s56, v117
	s_cbranch_execnz .LBB1022_305
.LBB1022_115:                           ;   in Loop: Header=BB1022_98 Depth=2
	s_or_b32 exec_lo, exec_lo, s16
	s_delay_alu instid0(SALU_CYCLE_1)
	s_mov_b32 s16, exec_lo
	v_cmpx_gt_u32_e64 s56, v118
	s_cbranch_execz .LBB1022_117
.LBB1022_116:                           ;   in Loop: Header=BB1022_98 Depth=2
	global_load_d16_b16 v9, v[45:46], off offset:896
.LBB1022_117:                           ;   in Loop: Header=BB1022_98 Depth=2
	s_or_b32 exec_lo, exec_lo, s16
	v_cmp_gt_u32_e64 s19, s56, v119
	s_sub_i32 s18, s63, s34
	s_mov_b64 s[16:17], s[34:35]
.LBB1022_118:                           ;   in Loop: Header=BB1022_98 Depth=2
	v_mov_b32_e32 v0, s56
	s_delay_alu instid0(VALU_DEP_2)
	s_and_saveexec_b32 s20, s19
	s_cbranch_execz .LBB1022_120
; %bb.119:                              ;   in Loop: Header=BB1022_98 Depth=2
	s_lshl_b64 s[16:17], s[16:17], 1
	v_mov_b32_e32 v0, s18
	v_add_co_u32 v45, vcc_lo, v123, s16
	v_add_co_ci_u32_e32 v46, vcc_lo, s17, v124, vcc_lo
	global_load_d16_hi_b16 v9, v[45:46], off
.LBB1022_120:                           ;   in Loop: Header=BB1022_98 Depth=2
	s_or_b32 exec_lo, exec_lo, s20
	s_waitcnt vmcnt(0)
	v_xor_b32_e32 v19, 0x80008000, v2
	ds_store_b32 v73, v20 offset:1056
	ds_store_2addr_b32 v75, v20, v20 offset0:1 offset1:2
	ds_store_2addr_b32 v75, v20, v20 offset0:3 offset1:4
	;; [unrolled: 1-line block ×4, first 2 shown]
	s_waitcnt lgkmcnt(0)
	s_barrier
	v_and_b32_e32 v2, 0xffff, v19
	buffer_gl0_inv
	; wave barrier
	v_lshrrev_b32_e32 v2, s42, v2
	s_delay_alu instid0(VALU_DEP_1) | instskip(NEXT) | instid1(VALU_DEP_1)
	v_and_b32_e32 v45, s43, v2
	v_and_b32_e32 v2, 1, v45
	v_lshlrev_b32_e32 v46, 30, v45
	v_lshlrev_b32_e32 v141, 29, v45
	;; [unrolled: 1-line block ×4, first 2 shown]
	v_add_co_u32 v2, s16, v2, -1
	s_delay_alu instid0(VALU_DEP_1)
	v_cndmask_b32_e64 v143, 0, 1, s16
	v_not_b32_e32 v147, v46
	v_cmp_gt_i32_e64 s16, 0, v46
	v_not_b32_e32 v46, v141
	v_lshlrev_b32_e32 v145, 26, v45
	v_cmp_ne_u32_e32 vcc_lo, 0, v143
	v_ashrrev_i32_e32 v147, 31, v147
	v_lshlrev_b32_e32 v146, 25, v45
	v_ashrrev_i32_e32 v46, 31, v46
	v_lshlrev_b32_e32 v143, 24, v45
	v_xor_b32_e32 v2, vcc_lo, v2
	v_cmp_gt_i32_e32 vcc_lo, 0, v141
	v_not_b32_e32 v141, v142
	v_xor_b32_e32 v147, s16, v147
	v_cmp_gt_i32_e64 s16, 0, v142
	v_and_b32_e32 v2, exec_lo, v2
	v_not_b32_e32 v142, v144
	v_ashrrev_i32_e32 v141, 31, v141
	v_xor_b32_e32 v46, vcc_lo, v46
	v_cmp_gt_i32_e32 vcc_lo, 0, v144
	v_and_b32_e32 v2, v2, v147
	v_not_b32_e32 v144, v145
	v_ashrrev_i32_e32 v142, 31, v142
	v_xor_b32_e32 v141, s16, v141
	v_cmp_gt_i32_e64 s16, 0, v145
	v_and_b32_e32 v2, v2, v46
	v_not_b32_e32 v46, v146
	v_ashrrev_i32_e32 v144, 31, v144
	v_xor_b32_e32 v142, vcc_lo, v142
	v_cmp_gt_i32_e32 vcc_lo, 0, v146
	v_and_b32_e32 v2, v2, v141
	v_not_b32_e32 v141, v143
	v_ashrrev_i32_e32 v46, 31, v46
	v_xor_b32_e32 v144, s16, v144
	v_cmp_gt_i32_e64 s16, 0, v143
	v_and_b32_e32 v2, v2, v142
	v_ashrrev_i32_e32 v141, 31, v141
	v_xor_b32_e32 v46, vcc_lo, v46
	v_mad_u32_u24 v45, v45, 9, v122
	s_delay_alu instid0(VALU_DEP_4) | instskip(NEXT) | instid1(VALU_DEP_4)
	v_and_b32_e32 v2, v2, v144
	v_xor_b32_e32 v141, s16, v141
	s_delay_alu instid0(VALU_DEP_3) | instskip(NEXT) | instid1(VALU_DEP_3)
	v_lshl_add_u32 v143, v45, 2, 0x420
	v_and_b32_e32 v2, v2, v46
	s_delay_alu instid0(VALU_DEP_1) | instskip(NEXT) | instid1(VALU_DEP_1)
	v_and_b32_e32 v2, v2, v141
	v_mbcnt_lo_u32_b32 v141, v2, 0
	v_cmp_ne_u32_e64 s16, 0, v2
	s_delay_alu instid0(VALU_DEP_2) | instskip(NEXT) | instid1(VALU_DEP_2)
	v_cmp_eq_u32_e32 vcc_lo, 0, v141
	s_and_b32 s17, s16, vcc_lo
	s_delay_alu instid0(SALU_CYCLE_1)
	s_and_saveexec_b32 s16, s17
	s_cbranch_execz .LBB1022_122
; %bb.121:                              ;   in Loop: Header=BB1022_98 Depth=2
	v_bcnt_u32_b32 v2, v2, 0
	ds_store_b32 v143, v2
.LBB1022_122:                           ;   in Loop: Header=BB1022_98 Depth=2
	s_or_b32 exec_lo, exec_lo, s16
	v_lshrrev_b32_e32 v142, 16, v19
	; wave barrier
	s_delay_alu instid0(VALU_DEP_1) | instskip(NEXT) | instid1(VALU_DEP_1)
	v_lshrrev_b32_e32 v2, s42, v142
	v_and_b32_e32 v2, s43, v2
	s_delay_alu instid0(VALU_DEP_1)
	v_and_b32_e32 v45, 1, v2
	v_lshlrev_b32_e32 v46, 30, v2
	v_lshlrev_b32_e32 v144, 29, v2
	;; [unrolled: 1-line block ×4, first 2 shown]
	v_add_co_u32 v45, s16, v45, -1
	s_delay_alu instid0(VALU_DEP_1)
	v_cndmask_b32_e64 v146, 0, 1, s16
	v_not_b32_e32 v150, v46
	v_cmp_gt_i32_e64 s16, 0, v46
	v_not_b32_e32 v46, v144
	v_lshlrev_b32_e32 v148, 26, v2
	v_cmp_ne_u32_e32 vcc_lo, 0, v146
	v_ashrrev_i32_e32 v150, 31, v150
	v_lshlrev_b32_e32 v149, 25, v2
	v_ashrrev_i32_e32 v46, 31, v46
	v_lshlrev_b32_e32 v146, 24, v2
	v_xor_b32_e32 v45, vcc_lo, v45
	v_cmp_gt_i32_e32 vcc_lo, 0, v144
	v_not_b32_e32 v144, v145
	v_xor_b32_e32 v150, s16, v150
	v_cmp_gt_i32_e64 s16, 0, v145
	v_and_b32_e32 v45, exec_lo, v45
	v_not_b32_e32 v145, v147
	v_ashrrev_i32_e32 v144, 31, v144
	v_xor_b32_e32 v46, vcc_lo, v46
	v_cmp_gt_i32_e32 vcc_lo, 0, v147
	v_and_b32_e32 v45, v45, v150
	v_not_b32_e32 v147, v148
	v_ashrrev_i32_e32 v145, 31, v145
	v_xor_b32_e32 v144, s16, v144
	v_cmp_gt_i32_e64 s16, 0, v148
	v_and_b32_e32 v45, v45, v46
	v_not_b32_e32 v46, v149
	v_ashrrev_i32_e32 v147, 31, v147
	v_xor_b32_e32 v145, vcc_lo, v145
	v_cmp_gt_i32_e32 vcc_lo, 0, v149
	v_and_b32_e32 v45, v45, v144
	v_not_b32_e32 v144, v146
	v_ashrrev_i32_e32 v46, 31, v46
	v_xor_b32_e32 v147, s16, v147
	v_mul_u32_u24_e32 v2, 9, v2
	v_and_b32_e32 v45, v45, v145
	v_cmp_gt_i32_e64 s16, 0, v146
	v_ashrrev_i32_e32 v144, 31, v144
	v_xor_b32_e32 v46, vcc_lo, v46
	s_delay_alu instid0(VALU_DEP_4) | instskip(SKIP_1) | instid1(VALU_DEP_4)
	v_and_b32_e32 v45, v45, v147
	v_add_lshl_u32 v147, v2, v122, 2
	v_xor_b32_e32 v2, s16, v144
	s_delay_alu instid0(VALU_DEP_3) | instskip(SKIP_3) | instid1(VALU_DEP_1)
	v_and_b32_e32 v45, v45, v46
	ds_load_b32 v145, v147 offset:1056
	v_add_nc_u32_e32 v147, 0x420, v147
	; wave barrier
	v_and_b32_e32 v2, v45, v2
	v_mbcnt_lo_u32_b32 v146, v2, 0
	v_cmp_ne_u32_e64 s16, 0, v2
	s_delay_alu instid0(VALU_DEP_2) | instskip(NEXT) | instid1(VALU_DEP_2)
	v_cmp_eq_u32_e32 vcc_lo, 0, v146
	s_and_b32 s17, s16, vcc_lo
	s_delay_alu instid0(SALU_CYCLE_1)
	s_and_saveexec_b32 s16, s17
	s_cbranch_execz .LBB1022_124
; %bb.123:                              ;   in Loop: Header=BB1022_98 Depth=2
	s_waitcnt lgkmcnt(0)
	v_bcnt_u32_b32 v2, v2, v145
	ds_store_b32 v147, v2
.LBB1022_124:                           ;   in Loop: Header=BB1022_98 Depth=2
	s_or_b32 exec_lo, exec_lo, s16
	v_xor_b32_e32 v144, 0x80008000, v3
	; wave barrier
	s_delay_alu instid0(VALU_DEP_1) | instskip(NEXT) | instid1(VALU_DEP_1)
	v_and_b32_e32 v2, 0xffff, v144
	v_lshrrev_b32_e32 v2, s42, v2
	s_delay_alu instid0(VALU_DEP_1) | instskip(NEXT) | instid1(VALU_DEP_1)
	v_and_b32_e32 v2, s43, v2
	v_and_b32_e32 v3, 1, v2
	v_lshlrev_b32_e32 v45, 30, v2
	v_lshlrev_b32_e32 v46, 29, v2
	v_lshlrev_b32_e32 v148, 28, v2
	v_lshlrev_b32_e32 v150, 27, v2
	v_add_co_u32 v3, s16, v3, -1
	s_delay_alu instid0(VALU_DEP_1)
	v_cndmask_b32_e64 v149, 0, 1, s16
	v_not_b32_e32 v153, v45
	v_cmp_gt_i32_e64 s16, 0, v45
	v_not_b32_e32 v45, v46
	v_lshlrev_b32_e32 v151, 26, v2
	v_cmp_ne_u32_e32 vcc_lo, 0, v149
	v_ashrrev_i32_e32 v153, 31, v153
	v_lshlrev_b32_e32 v152, 25, v2
	v_ashrrev_i32_e32 v45, 31, v45
	v_lshlrev_b32_e32 v149, 24, v2
	v_xor_b32_e32 v3, vcc_lo, v3
	v_cmp_gt_i32_e32 vcc_lo, 0, v46
	v_not_b32_e32 v46, v148
	v_xor_b32_e32 v153, s16, v153
	v_cmp_gt_i32_e64 s16, 0, v148
	v_and_b32_e32 v3, exec_lo, v3
	v_not_b32_e32 v148, v150
	v_ashrrev_i32_e32 v46, 31, v46
	v_xor_b32_e32 v45, vcc_lo, v45
	v_cmp_gt_i32_e32 vcc_lo, 0, v150
	v_and_b32_e32 v3, v3, v153
	v_not_b32_e32 v150, v151
	v_ashrrev_i32_e32 v148, 31, v148
	v_xor_b32_e32 v46, s16, v46
	v_cmp_gt_i32_e64 s16, 0, v151
	v_and_b32_e32 v3, v3, v45
	v_not_b32_e32 v45, v152
	v_ashrrev_i32_e32 v150, 31, v150
	v_xor_b32_e32 v148, vcc_lo, v148
	v_cmp_gt_i32_e32 vcc_lo, 0, v152
	v_and_b32_e32 v3, v3, v46
	v_not_b32_e32 v46, v149
	v_ashrrev_i32_e32 v45, 31, v45
	v_xor_b32_e32 v150, s16, v150
	v_mul_u32_u24_e32 v2, 9, v2
	v_and_b32_e32 v3, v3, v148
	v_cmp_gt_i32_e64 s16, 0, v149
	v_ashrrev_i32_e32 v46, 31, v46
	v_xor_b32_e32 v45, vcc_lo, v45
	v_add_lshl_u32 v148, v2, v122, 2
	v_and_b32_e32 v3, v3, v150
	s_delay_alu instid0(VALU_DEP_4) | instskip(SKIP_3) | instid1(VALU_DEP_2)
	v_xor_b32_e32 v2, s16, v46
	ds_load_b32 v149, v148 offset:1056
	v_and_b32_e32 v3, v3, v45
	v_add_nc_u32_e32 v151, 0x420, v148
	; wave barrier
	v_and_b32_e32 v2, v3, v2
	s_delay_alu instid0(VALU_DEP_1) | instskip(SKIP_1) | instid1(VALU_DEP_2)
	v_mbcnt_lo_u32_b32 v150, v2, 0
	v_cmp_ne_u32_e64 s16, 0, v2
	v_cmp_eq_u32_e32 vcc_lo, 0, v150
	s_delay_alu instid0(VALU_DEP_2) | instskip(NEXT) | instid1(SALU_CYCLE_1)
	s_and_b32 s17, s16, vcc_lo
	s_and_saveexec_b32 s16, s17
	s_cbranch_execz .LBB1022_126
; %bb.125:                              ;   in Loop: Header=BB1022_98 Depth=2
	s_waitcnt lgkmcnt(0)
	v_bcnt_u32_b32 v2, v2, v149
	ds_store_b32 v151, v2
.LBB1022_126:                           ;   in Loop: Header=BB1022_98 Depth=2
	s_or_b32 exec_lo, exec_lo, s16
	v_lshrrev_b32_e32 v148, 16, v144
	; wave barrier
	s_delay_alu instid0(VALU_DEP_1) | instskip(NEXT) | instid1(VALU_DEP_1)
	v_lshrrev_b32_e32 v2, s42, v148
	v_and_b32_e32 v2, s43, v2
	s_delay_alu instid0(VALU_DEP_1)
	v_and_b32_e32 v3, 1, v2
	v_lshlrev_b32_e32 v45, 30, v2
	v_lshlrev_b32_e32 v46, 29, v2
	;; [unrolled: 1-line block ×4, first 2 shown]
	v_add_co_u32 v3, s16, v3, -1
	s_delay_alu instid0(VALU_DEP_1)
	v_cndmask_b32_e64 v153, 0, 1, s16
	v_not_b32_e32 v157, v45
	v_cmp_gt_i32_e64 s16, 0, v45
	v_not_b32_e32 v45, v46
	v_lshlrev_b32_e32 v155, 26, v2
	v_cmp_ne_u32_e32 vcc_lo, 0, v153
	v_ashrrev_i32_e32 v157, 31, v157
	v_lshlrev_b32_e32 v156, 25, v2
	v_ashrrev_i32_e32 v45, 31, v45
	v_lshlrev_b32_e32 v153, 24, v2
	v_xor_b32_e32 v3, vcc_lo, v3
	v_cmp_gt_i32_e32 vcc_lo, 0, v46
	v_not_b32_e32 v46, v152
	v_xor_b32_e32 v157, s16, v157
	v_cmp_gt_i32_e64 s16, 0, v152
	v_and_b32_e32 v3, exec_lo, v3
	v_not_b32_e32 v152, v154
	v_ashrrev_i32_e32 v46, 31, v46
	v_xor_b32_e32 v45, vcc_lo, v45
	v_cmp_gt_i32_e32 vcc_lo, 0, v154
	v_and_b32_e32 v3, v3, v157
	v_not_b32_e32 v154, v155
	v_ashrrev_i32_e32 v152, 31, v152
	v_xor_b32_e32 v46, s16, v46
	v_cmp_gt_i32_e64 s16, 0, v155
	v_and_b32_e32 v3, v3, v45
	v_not_b32_e32 v45, v156
	v_ashrrev_i32_e32 v154, 31, v154
	v_xor_b32_e32 v152, vcc_lo, v152
	v_cmp_gt_i32_e32 vcc_lo, 0, v156
	v_and_b32_e32 v3, v3, v46
	v_not_b32_e32 v46, v153
	v_ashrrev_i32_e32 v45, 31, v45
	v_xor_b32_e32 v154, s16, v154
	v_mul_u32_u24_e32 v2, 9, v2
	v_and_b32_e32 v3, v3, v152
	v_cmp_gt_i32_e64 s16, 0, v153
	v_ashrrev_i32_e32 v46, 31, v46
	v_xor_b32_e32 v45, vcc_lo, v45
	v_add_lshl_u32 v152, v2, v122, 2
	v_and_b32_e32 v3, v3, v154
	s_delay_alu instid0(VALU_DEP_4) | instskip(SKIP_3) | instid1(VALU_DEP_2)
	v_xor_b32_e32 v2, s16, v46
	ds_load_b32 v153, v152 offset:1056
	v_and_b32_e32 v3, v3, v45
	v_add_nc_u32_e32 v155, 0x420, v152
	; wave barrier
	v_and_b32_e32 v2, v3, v2
	s_delay_alu instid0(VALU_DEP_1) | instskip(SKIP_1) | instid1(VALU_DEP_2)
	v_mbcnt_lo_u32_b32 v154, v2, 0
	v_cmp_ne_u32_e64 s16, 0, v2
	v_cmp_eq_u32_e32 vcc_lo, 0, v154
	s_delay_alu instid0(VALU_DEP_2) | instskip(NEXT) | instid1(SALU_CYCLE_1)
	s_and_b32 s17, s16, vcc_lo
	s_and_saveexec_b32 s16, s17
	s_cbranch_execz .LBB1022_128
; %bb.127:                              ;   in Loop: Header=BB1022_98 Depth=2
	s_waitcnt lgkmcnt(0)
	v_bcnt_u32_b32 v2, v2, v153
	ds_store_b32 v155, v2
.LBB1022_128:                           ;   in Loop: Header=BB1022_98 Depth=2
	s_or_b32 exec_lo, exec_lo, s16
	v_xor_b32_e32 v152, 0x80008000, v4
	; wave barrier
	s_delay_alu instid0(VALU_DEP_1) | instskip(NEXT) | instid1(VALU_DEP_1)
	v_and_b32_e32 v2, 0xffff, v152
	v_lshrrev_b32_e32 v2, s42, v2
	s_delay_alu instid0(VALU_DEP_1) | instskip(NEXT) | instid1(VALU_DEP_1)
	v_and_b32_e32 v2, s43, v2
	v_and_b32_e32 v3, 1, v2
	v_lshlrev_b32_e32 v4, 30, v2
	v_lshlrev_b32_e32 v45, 29, v2
	;; [unrolled: 1-line block ×4, first 2 shown]
	v_add_co_u32 v3, s16, v3, -1
	s_delay_alu instid0(VALU_DEP_1)
	v_cndmask_b32_e64 v156, 0, 1, s16
	v_not_b32_e32 v160, v4
	v_cmp_gt_i32_e64 s16, 0, v4
	v_not_b32_e32 v4, v45
	v_lshlrev_b32_e32 v158, 26, v2
	v_cmp_ne_u32_e32 vcc_lo, 0, v156
	v_ashrrev_i32_e32 v160, 31, v160
	v_lshlrev_b32_e32 v159, 25, v2
	v_ashrrev_i32_e32 v4, 31, v4
	v_lshlrev_b32_e32 v156, 24, v2
	v_xor_b32_e32 v3, vcc_lo, v3
	v_cmp_gt_i32_e32 vcc_lo, 0, v45
	v_not_b32_e32 v45, v46
	v_xor_b32_e32 v160, s16, v160
	v_cmp_gt_i32_e64 s16, 0, v46
	v_and_b32_e32 v3, exec_lo, v3
	v_not_b32_e32 v46, v157
	v_ashrrev_i32_e32 v45, 31, v45
	v_xor_b32_e32 v4, vcc_lo, v4
	v_cmp_gt_i32_e32 vcc_lo, 0, v157
	v_and_b32_e32 v3, v3, v160
	v_not_b32_e32 v157, v158
	v_ashrrev_i32_e32 v46, 31, v46
	v_xor_b32_e32 v45, s16, v45
	v_cmp_gt_i32_e64 s16, 0, v158
	v_and_b32_e32 v3, v3, v4
	v_not_b32_e32 v4, v159
	v_ashrrev_i32_e32 v157, 31, v157
	v_xor_b32_e32 v46, vcc_lo, v46
	v_cmp_gt_i32_e32 vcc_lo, 0, v159
	v_and_b32_e32 v3, v3, v45
	v_not_b32_e32 v45, v156
	v_ashrrev_i32_e32 v4, 31, v4
	v_xor_b32_e32 v157, s16, v157
	v_mul_u32_u24_e32 v2, 9, v2
	v_and_b32_e32 v3, v3, v46
	v_cmp_gt_i32_e64 s16, 0, v156
	v_ashrrev_i32_e32 v45, 31, v45
	v_xor_b32_e32 v4, vcc_lo, v4
	v_add_lshl_u32 v46, v2, v122, 2
	v_and_b32_e32 v3, v3, v157
	s_delay_alu instid0(VALU_DEP_4) | instskip(SKIP_3) | instid1(VALU_DEP_2)
	v_xor_b32_e32 v2, s16, v45
	ds_load_b32 v157, v46 offset:1056
	v_and_b32_e32 v3, v3, v4
	v_add_nc_u32_e32 v159, 0x420, v46
	; wave barrier
	v_and_b32_e32 v2, v3, v2
	s_delay_alu instid0(VALU_DEP_1) | instskip(SKIP_1) | instid1(VALU_DEP_2)
	v_mbcnt_lo_u32_b32 v158, v2, 0
	v_cmp_ne_u32_e64 s16, 0, v2
	v_cmp_eq_u32_e32 vcc_lo, 0, v158
	s_delay_alu instid0(VALU_DEP_2) | instskip(NEXT) | instid1(SALU_CYCLE_1)
	s_and_b32 s17, s16, vcc_lo
	s_and_saveexec_b32 s16, s17
	s_cbranch_execz .LBB1022_130
; %bb.129:                              ;   in Loop: Header=BB1022_98 Depth=2
	s_waitcnt lgkmcnt(0)
	v_bcnt_u32_b32 v2, v2, v157
	ds_store_b32 v159, v2
.LBB1022_130:                           ;   in Loop: Header=BB1022_98 Depth=2
	s_or_b32 exec_lo, exec_lo, s16
	v_lshrrev_b32_e32 v156, 16, v152
	; wave barrier
	s_delay_alu instid0(VALU_DEP_1) | instskip(NEXT) | instid1(VALU_DEP_1)
	v_lshrrev_b32_e32 v2, s42, v156
	v_and_b32_e32 v2, s43, v2
	s_delay_alu instid0(VALU_DEP_1)
	v_and_b32_e32 v3, 1, v2
	v_lshlrev_b32_e32 v4, 30, v2
	v_lshlrev_b32_e32 v45, 29, v2
	;; [unrolled: 1-line block ×4, first 2 shown]
	v_add_co_u32 v3, s16, v3, -1
	s_delay_alu instid0(VALU_DEP_1)
	v_cndmask_b32_e64 v160, 0, 1, s16
	v_not_b32_e32 v164, v4
	v_cmp_gt_i32_e64 s16, 0, v4
	v_not_b32_e32 v4, v45
	v_lshlrev_b32_e32 v162, 26, v2
	v_cmp_ne_u32_e32 vcc_lo, 0, v160
	v_ashrrev_i32_e32 v164, 31, v164
	v_lshlrev_b32_e32 v163, 25, v2
	v_ashrrev_i32_e32 v4, 31, v4
	v_lshlrev_b32_e32 v160, 24, v2
	v_xor_b32_e32 v3, vcc_lo, v3
	v_cmp_gt_i32_e32 vcc_lo, 0, v45
	v_not_b32_e32 v45, v46
	v_xor_b32_e32 v164, s16, v164
	v_cmp_gt_i32_e64 s16, 0, v46
	v_and_b32_e32 v3, exec_lo, v3
	v_not_b32_e32 v46, v161
	v_ashrrev_i32_e32 v45, 31, v45
	v_xor_b32_e32 v4, vcc_lo, v4
	v_cmp_gt_i32_e32 vcc_lo, 0, v161
	v_and_b32_e32 v3, v3, v164
	v_not_b32_e32 v161, v162
	v_ashrrev_i32_e32 v46, 31, v46
	v_xor_b32_e32 v45, s16, v45
	v_cmp_gt_i32_e64 s16, 0, v162
	v_and_b32_e32 v3, v3, v4
	v_not_b32_e32 v4, v163
	v_ashrrev_i32_e32 v161, 31, v161
	v_xor_b32_e32 v46, vcc_lo, v46
	v_cmp_gt_i32_e32 vcc_lo, 0, v163
	v_and_b32_e32 v3, v3, v45
	v_not_b32_e32 v45, v160
	v_ashrrev_i32_e32 v4, 31, v4
	v_xor_b32_e32 v161, s16, v161
	v_mul_u32_u24_e32 v2, 9, v2
	v_and_b32_e32 v3, v3, v46
	v_cmp_gt_i32_e64 s16, 0, v160
	v_ashrrev_i32_e32 v45, 31, v45
	v_xor_b32_e32 v4, vcc_lo, v4
	v_add_lshl_u32 v46, v2, v122, 2
	v_and_b32_e32 v3, v3, v161
	s_delay_alu instid0(VALU_DEP_4) | instskip(SKIP_3) | instid1(VALU_DEP_2)
	v_xor_b32_e32 v2, s16, v45
	ds_load_b32 v161, v46 offset:1056
	v_and_b32_e32 v3, v3, v4
	v_add_nc_u32_e32 v163, 0x420, v46
	; wave barrier
	v_and_b32_e32 v2, v3, v2
	s_delay_alu instid0(VALU_DEP_1) | instskip(SKIP_1) | instid1(VALU_DEP_2)
	v_mbcnt_lo_u32_b32 v162, v2, 0
	v_cmp_ne_u32_e64 s16, 0, v2
	v_cmp_eq_u32_e32 vcc_lo, 0, v162
	s_delay_alu instid0(VALU_DEP_2) | instskip(NEXT) | instid1(SALU_CYCLE_1)
	s_and_b32 s17, s16, vcc_lo
	s_and_saveexec_b32 s16, s17
	s_cbranch_execz .LBB1022_132
; %bb.131:                              ;   in Loop: Header=BB1022_98 Depth=2
	s_waitcnt lgkmcnt(0)
	v_bcnt_u32_b32 v2, v2, v161
	ds_store_b32 v163, v2
.LBB1022_132:                           ;   in Loop: Header=BB1022_98 Depth=2
	s_or_b32 exec_lo, exec_lo, s16
	v_xor_b32_e32 v160, 0x80008000, v5
	; wave barrier
	s_delay_alu instid0(VALU_DEP_1) | instskip(NEXT) | instid1(VALU_DEP_1)
	v_and_b32_e32 v2, 0xffff, v160
	v_lshrrev_b32_e32 v2, s42, v2
	s_delay_alu instid0(VALU_DEP_1) | instskip(NEXT) | instid1(VALU_DEP_1)
	v_and_b32_e32 v2, s43, v2
	v_and_b32_e32 v3, 1, v2
	v_lshlrev_b32_e32 v4, 30, v2
	v_lshlrev_b32_e32 v5, 29, v2
	;; [unrolled: 1-line block ×4, first 2 shown]
	v_add_co_u32 v3, s16, v3, -1
	s_delay_alu instid0(VALU_DEP_1)
	v_cndmask_b32_e64 v46, 0, 1, s16
	v_not_b32_e32 v167, v4
	v_cmp_gt_i32_e64 s16, 0, v4
	v_not_b32_e32 v4, v5
	v_lshlrev_b32_e32 v165, 26, v2
	v_cmp_ne_u32_e32 vcc_lo, 0, v46
	v_ashrrev_i32_e32 v167, 31, v167
	v_lshlrev_b32_e32 v166, 25, v2
	v_ashrrev_i32_e32 v4, 31, v4
	v_lshlrev_b32_e32 v46, 24, v2
	v_xor_b32_e32 v3, vcc_lo, v3
	v_cmp_gt_i32_e32 vcc_lo, 0, v5
	v_not_b32_e32 v5, v45
	v_xor_b32_e32 v167, s16, v167
	v_cmp_gt_i32_e64 s16, 0, v45
	v_and_b32_e32 v3, exec_lo, v3
	v_not_b32_e32 v45, v164
	v_ashrrev_i32_e32 v5, 31, v5
	v_xor_b32_e32 v4, vcc_lo, v4
	v_cmp_gt_i32_e32 vcc_lo, 0, v164
	v_and_b32_e32 v3, v3, v167
	v_not_b32_e32 v164, v165
	v_ashrrev_i32_e32 v45, 31, v45
	v_xor_b32_e32 v5, s16, v5
	v_cmp_gt_i32_e64 s16, 0, v165
	v_and_b32_e32 v3, v3, v4
	v_not_b32_e32 v4, v166
	v_ashrrev_i32_e32 v164, 31, v164
	v_xor_b32_e32 v45, vcc_lo, v45
	v_cmp_gt_i32_e32 vcc_lo, 0, v166
	v_and_b32_e32 v3, v3, v5
	v_not_b32_e32 v5, v46
	v_ashrrev_i32_e32 v4, 31, v4
	v_xor_b32_e32 v164, s16, v164
	v_mul_u32_u24_e32 v2, 9, v2
	v_and_b32_e32 v3, v3, v45
	v_cmp_gt_i32_e64 s16, 0, v46
	v_ashrrev_i32_e32 v5, 31, v5
	v_xor_b32_e32 v4, vcc_lo, v4
	v_add_lshl_u32 v45, v2, v122, 2
	v_and_b32_e32 v3, v3, v164
	s_delay_alu instid0(VALU_DEP_4) | instskip(SKIP_3) | instid1(VALU_DEP_2)
	v_xor_b32_e32 v2, s16, v5
	ds_load_b32 v165, v45 offset:1056
	v_and_b32_e32 v3, v3, v4
	v_add_nc_u32_e32 v167, 0x420, v45
	; wave barrier
	v_and_b32_e32 v2, v3, v2
	s_delay_alu instid0(VALU_DEP_1) | instskip(SKIP_1) | instid1(VALU_DEP_2)
	v_mbcnt_lo_u32_b32 v166, v2, 0
	v_cmp_ne_u32_e64 s16, 0, v2
	v_cmp_eq_u32_e32 vcc_lo, 0, v166
	s_delay_alu instid0(VALU_DEP_2) | instskip(NEXT) | instid1(SALU_CYCLE_1)
	s_and_b32 s17, s16, vcc_lo
	s_and_saveexec_b32 s16, s17
	s_cbranch_execz .LBB1022_134
; %bb.133:                              ;   in Loop: Header=BB1022_98 Depth=2
	s_waitcnt lgkmcnt(0)
	v_bcnt_u32_b32 v2, v2, v165
	ds_store_b32 v167, v2
.LBB1022_134:                           ;   in Loop: Header=BB1022_98 Depth=2
	s_or_b32 exec_lo, exec_lo, s16
	v_lshrrev_b32_e32 v164, 16, v160
	; wave barrier
	s_delay_alu instid0(VALU_DEP_1) | instskip(NEXT) | instid1(VALU_DEP_1)
	v_lshrrev_b32_e32 v2, s42, v164
	v_and_b32_e32 v2, s43, v2
	s_delay_alu instid0(VALU_DEP_1)
	v_and_b32_e32 v3, 1, v2
	v_lshlrev_b32_e32 v4, 30, v2
	v_lshlrev_b32_e32 v5, 29, v2
	;; [unrolled: 1-line block ×4, first 2 shown]
	v_add_co_u32 v3, s16, v3, -1
	s_delay_alu instid0(VALU_DEP_1)
	v_cndmask_b32_e64 v46, 0, 1, s16
	v_not_b32_e32 v171, v4
	v_cmp_gt_i32_e64 s16, 0, v4
	v_not_b32_e32 v4, v5
	v_lshlrev_b32_e32 v169, 26, v2
	v_cmp_ne_u32_e32 vcc_lo, 0, v46
	v_ashrrev_i32_e32 v171, 31, v171
	v_lshlrev_b32_e32 v170, 25, v2
	v_ashrrev_i32_e32 v4, 31, v4
	v_lshlrev_b32_e32 v46, 24, v2
	v_xor_b32_e32 v3, vcc_lo, v3
	v_cmp_gt_i32_e32 vcc_lo, 0, v5
	v_not_b32_e32 v5, v45
	v_xor_b32_e32 v171, s16, v171
	v_cmp_gt_i32_e64 s16, 0, v45
	v_and_b32_e32 v3, exec_lo, v3
	v_not_b32_e32 v45, v168
	v_ashrrev_i32_e32 v5, 31, v5
	v_xor_b32_e32 v4, vcc_lo, v4
	v_cmp_gt_i32_e32 vcc_lo, 0, v168
	v_and_b32_e32 v3, v3, v171
	v_not_b32_e32 v168, v169
	v_ashrrev_i32_e32 v45, 31, v45
	v_xor_b32_e32 v5, s16, v5
	v_cmp_gt_i32_e64 s16, 0, v169
	v_and_b32_e32 v3, v3, v4
	v_not_b32_e32 v4, v170
	v_ashrrev_i32_e32 v168, 31, v168
	v_xor_b32_e32 v45, vcc_lo, v45
	v_cmp_gt_i32_e32 vcc_lo, 0, v170
	v_and_b32_e32 v3, v3, v5
	v_not_b32_e32 v5, v46
	v_ashrrev_i32_e32 v4, 31, v4
	v_xor_b32_e32 v168, s16, v168
	v_mul_u32_u24_e32 v2, 9, v2
	v_and_b32_e32 v3, v3, v45
	v_cmp_gt_i32_e64 s16, 0, v46
	v_ashrrev_i32_e32 v5, 31, v5
	v_xor_b32_e32 v4, vcc_lo, v4
	v_add_lshl_u32 v45, v2, v122, 2
	v_and_b32_e32 v3, v3, v168
	s_delay_alu instid0(VALU_DEP_4) | instskip(SKIP_3) | instid1(VALU_DEP_2)
	v_xor_b32_e32 v2, s16, v5
	ds_load_b32 v169, v45 offset:1056
	v_and_b32_e32 v3, v3, v4
	v_add_nc_u32_e32 v171, 0x420, v45
	; wave barrier
	v_and_b32_e32 v2, v3, v2
	s_delay_alu instid0(VALU_DEP_1) | instskip(SKIP_1) | instid1(VALU_DEP_2)
	v_mbcnt_lo_u32_b32 v170, v2, 0
	v_cmp_ne_u32_e64 s16, 0, v2
	v_cmp_eq_u32_e32 vcc_lo, 0, v170
	s_delay_alu instid0(VALU_DEP_2) | instskip(NEXT) | instid1(SALU_CYCLE_1)
	s_and_b32 s17, s16, vcc_lo
	s_and_saveexec_b32 s16, s17
	s_cbranch_execz .LBB1022_136
; %bb.135:                              ;   in Loop: Header=BB1022_98 Depth=2
	s_waitcnt lgkmcnt(0)
	v_bcnt_u32_b32 v2, v2, v169
	ds_store_b32 v171, v2
.LBB1022_136:                           ;   in Loop: Header=BB1022_98 Depth=2
	s_or_b32 exec_lo, exec_lo, s16
	v_xor_b32_e32 v168, 0x80008000, v6
	; wave barrier
	s_delay_alu instid0(VALU_DEP_1) | instskip(NEXT) | instid1(VALU_DEP_1)
	v_and_b32_e32 v2, 0xffff, v168
	v_lshrrev_b32_e32 v2, s42, v2
	s_delay_alu instid0(VALU_DEP_1) | instskip(NEXT) | instid1(VALU_DEP_1)
	v_and_b32_e32 v2, s43, v2
	v_and_b32_e32 v3, 1, v2
	v_lshlrev_b32_e32 v4, 30, v2
	v_lshlrev_b32_e32 v5, 29, v2
	v_lshlrev_b32_e32 v6, 28, v2
	v_lshlrev_b32_e32 v46, 27, v2
	v_add_co_u32 v3, s16, v3, -1
	s_delay_alu instid0(VALU_DEP_1)
	v_cndmask_b32_e64 v45, 0, 1, s16
	v_not_b32_e32 v174, v4
	v_cmp_gt_i32_e64 s16, 0, v4
	v_not_b32_e32 v4, v5
	v_lshlrev_b32_e32 v172, 26, v2
	v_cmp_ne_u32_e32 vcc_lo, 0, v45
	v_ashrrev_i32_e32 v174, 31, v174
	v_lshlrev_b32_e32 v173, 25, v2
	v_ashrrev_i32_e32 v4, 31, v4
	v_lshlrev_b32_e32 v45, 24, v2
	v_xor_b32_e32 v3, vcc_lo, v3
	v_cmp_gt_i32_e32 vcc_lo, 0, v5
	v_not_b32_e32 v5, v6
	v_xor_b32_e32 v174, s16, v174
	v_cmp_gt_i32_e64 s16, 0, v6
	v_and_b32_e32 v3, exec_lo, v3
	v_not_b32_e32 v6, v46
	v_ashrrev_i32_e32 v5, 31, v5
	v_xor_b32_e32 v4, vcc_lo, v4
	v_cmp_gt_i32_e32 vcc_lo, 0, v46
	v_and_b32_e32 v3, v3, v174
	v_not_b32_e32 v46, v172
	v_ashrrev_i32_e32 v6, 31, v6
	v_xor_b32_e32 v5, s16, v5
	v_cmp_gt_i32_e64 s16, 0, v172
	v_and_b32_e32 v3, v3, v4
	v_not_b32_e32 v4, v173
	v_ashrrev_i32_e32 v46, 31, v46
	v_xor_b32_e32 v6, vcc_lo, v6
	v_cmp_gt_i32_e32 vcc_lo, 0, v173
	v_and_b32_e32 v3, v3, v5
	v_not_b32_e32 v5, v45
	v_ashrrev_i32_e32 v4, 31, v4
	v_xor_b32_e32 v46, s16, v46
	v_mul_u32_u24_e32 v2, 9, v2
	v_and_b32_e32 v3, v3, v6
	v_cmp_gt_i32_e64 s16, 0, v45
	v_ashrrev_i32_e32 v5, 31, v5
	v_xor_b32_e32 v4, vcc_lo, v4
	v_add_lshl_u32 v6, v2, v122, 2
	v_and_b32_e32 v3, v3, v46
	s_delay_alu instid0(VALU_DEP_4) | instskip(SKIP_3) | instid1(VALU_DEP_2)
	v_xor_b32_e32 v2, s16, v5
	ds_load_b32 v173, v6 offset:1056
	v_and_b32_e32 v3, v3, v4
	v_add_nc_u32_e32 v175, 0x420, v6
	; wave barrier
	v_and_b32_e32 v2, v3, v2
	s_delay_alu instid0(VALU_DEP_1) | instskip(SKIP_1) | instid1(VALU_DEP_2)
	v_mbcnt_lo_u32_b32 v174, v2, 0
	v_cmp_ne_u32_e64 s16, 0, v2
	v_cmp_eq_u32_e32 vcc_lo, 0, v174
	s_delay_alu instid0(VALU_DEP_2) | instskip(NEXT) | instid1(SALU_CYCLE_1)
	s_and_b32 s17, s16, vcc_lo
	s_and_saveexec_b32 s16, s17
	s_cbranch_execz .LBB1022_138
; %bb.137:                              ;   in Loop: Header=BB1022_98 Depth=2
	s_waitcnt lgkmcnt(0)
	v_bcnt_u32_b32 v2, v2, v173
	ds_store_b32 v175, v2
.LBB1022_138:                           ;   in Loop: Header=BB1022_98 Depth=2
	s_or_b32 exec_lo, exec_lo, s16
	v_lshrrev_b32_e32 v172, 16, v168
	; wave barrier
	s_delay_alu instid0(VALU_DEP_1) | instskip(NEXT) | instid1(VALU_DEP_1)
	v_lshrrev_b32_e32 v2, s42, v172
	v_and_b32_e32 v2, s43, v2
	s_delay_alu instid0(VALU_DEP_1)
	v_and_b32_e32 v3, 1, v2
	v_lshlrev_b32_e32 v4, 30, v2
	v_lshlrev_b32_e32 v5, 29, v2
	;; [unrolled: 1-line block ×4, first 2 shown]
	v_add_co_u32 v3, s16, v3, -1
	s_delay_alu instid0(VALU_DEP_1)
	v_cndmask_b32_e64 v45, 0, 1, s16
	v_not_b32_e32 v178, v4
	v_cmp_gt_i32_e64 s16, 0, v4
	v_not_b32_e32 v4, v5
	v_lshlrev_b32_e32 v176, 26, v2
	v_cmp_ne_u32_e32 vcc_lo, 0, v45
	v_ashrrev_i32_e32 v178, 31, v178
	v_lshlrev_b32_e32 v177, 25, v2
	v_ashrrev_i32_e32 v4, 31, v4
	v_lshlrev_b32_e32 v45, 24, v2
	v_xor_b32_e32 v3, vcc_lo, v3
	v_cmp_gt_i32_e32 vcc_lo, 0, v5
	v_not_b32_e32 v5, v6
	v_xor_b32_e32 v178, s16, v178
	v_cmp_gt_i32_e64 s16, 0, v6
	v_and_b32_e32 v3, exec_lo, v3
	v_not_b32_e32 v6, v46
	v_ashrrev_i32_e32 v5, 31, v5
	v_xor_b32_e32 v4, vcc_lo, v4
	v_cmp_gt_i32_e32 vcc_lo, 0, v46
	v_and_b32_e32 v3, v3, v178
	v_not_b32_e32 v46, v176
	v_ashrrev_i32_e32 v6, 31, v6
	v_xor_b32_e32 v5, s16, v5
	v_cmp_gt_i32_e64 s16, 0, v176
	v_and_b32_e32 v3, v3, v4
	v_not_b32_e32 v4, v177
	v_ashrrev_i32_e32 v46, 31, v46
	v_xor_b32_e32 v6, vcc_lo, v6
	v_cmp_gt_i32_e32 vcc_lo, 0, v177
	v_and_b32_e32 v3, v3, v5
	v_not_b32_e32 v5, v45
	v_ashrrev_i32_e32 v4, 31, v4
	v_xor_b32_e32 v46, s16, v46
	v_mul_u32_u24_e32 v2, 9, v2
	v_and_b32_e32 v3, v3, v6
	v_cmp_gt_i32_e64 s16, 0, v45
	v_ashrrev_i32_e32 v5, 31, v5
	v_xor_b32_e32 v4, vcc_lo, v4
	v_add_lshl_u32 v6, v2, v122, 2
	v_and_b32_e32 v3, v3, v46
	s_delay_alu instid0(VALU_DEP_4) | instskip(SKIP_3) | instid1(VALU_DEP_2)
	v_xor_b32_e32 v2, s16, v5
	ds_load_b32 v177, v6 offset:1056
	v_and_b32_e32 v3, v3, v4
	v_add_nc_u32_e32 v179, 0x420, v6
	; wave barrier
	v_and_b32_e32 v2, v3, v2
	s_delay_alu instid0(VALU_DEP_1) | instskip(SKIP_1) | instid1(VALU_DEP_2)
	v_mbcnt_lo_u32_b32 v178, v2, 0
	v_cmp_ne_u32_e64 s16, 0, v2
	v_cmp_eq_u32_e32 vcc_lo, 0, v178
	s_delay_alu instid0(VALU_DEP_2) | instskip(NEXT) | instid1(SALU_CYCLE_1)
	s_and_b32 s17, s16, vcc_lo
	s_and_saveexec_b32 s16, s17
	s_cbranch_execz .LBB1022_140
; %bb.139:                              ;   in Loop: Header=BB1022_98 Depth=2
	s_waitcnt lgkmcnt(0)
	v_bcnt_u32_b32 v2, v2, v177
	ds_store_b32 v179, v2
.LBB1022_140:                           ;   in Loop: Header=BB1022_98 Depth=2
	s_or_b32 exec_lo, exec_lo, s16
	v_xor_b32_e32 v176, 0x80008000, v7
	; wave barrier
	s_delay_alu instid0(VALU_DEP_1) | instskip(NEXT) | instid1(VALU_DEP_1)
	v_and_b32_e32 v2, 0xffff, v176
	v_lshrrev_b32_e32 v2, s42, v2
	s_delay_alu instid0(VALU_DEP_1) | instskip(NEXT) | instid1(VALU_DEP_1)
	v_and_b32_e32 v2, s43, v2
	v_and_b32_e32 v3, 1, v2
	v_lshlrev_b32_e32 v4, 30, v2
	v_lshlrev_b32_e32 v5, 29, v2
	;; [unrolled: 1-line block ×4, first 2 shown]
	v_add_co_u32 v3, s16, v3, -1
	s_delay_alu instid0(VALU_DEP_1)
	v_cndmask_b32_e64 v7, 0, 1, s16
	v_not_b32_e32 v181, v4
	v_cmp_gt_i32_e64 s16, 0, v4
	v_not_b32_e32 v4, v5
	v_lshlrev_b32_e32 v46, 26, v2
	v_cmp_ne_u32_e32 vcc_lo, 0, v7
	v_ashrrev_i32_e32 v181, 31, v181
	v_lshlrev_b32_e32 v180, 25, v2
	v_ashrrev_i32_e32 v4, 31, v4
	v_lshlrev_b32_e32 v7, 24, v2
	v_xor_b32_e32 v3, vcc_lo, v3
	v_cmp_gt_i32_e32 vcc_lo, 0, v5
	v_not_b32_e32 v5, v6
	v_xor_b32_e32 v181, s16, v181
	v_cmp_gt_i32_e64 s16, 0, v6
	v_and_b32_e32 v3, exec_lo, v3
	v_not_b32_e32 v6, v45
	v_ashrrev_i32_e32 v5, 31, v5
	v_xor_b32_e32 v4, vcc_lo, v4
	v_cmp_gt_i32_e32 vcc_lo, 0, v45
	v_and_b32_e32 v3, v3, v181
	v_not_b32_e32 v45, v46
	v_ashrrev_i32_e32 v6, 31, v6
	v_xor_b32_e32 v5, s16, v5
	v_cmp_gt_i32_e64 s16, 0, v46
	v_and_b32_e32 v3, v3, v4
	v_not_b32_e32 v4, v180
	v_ashrrev_i32_e32 v45, 31, v45
	v_xor_b32_e32 v6, vcc_lo, v6
	v_cmp_gt_i32_e32 vcc_lo, 0, v180
	v_and_b32_e32 v3, v3, v5
	v_not_b32_e32 v5, v7
	v_ashrrev_i32_e32 v4, 31, v4
	v_xor_b32_e32 v45, s16, v45
	v_mul_u32_u24_e32 v2, 9, v2
	v_and_b32_e32 v3, v3, v6
	v_cmp_gt_i32_e64 s16, 0, v7
	v_ashrrev_i32_e32 v5, 31, v5
	v_xor_b32_e32 v4, vcc_lo, v4
	v_add_lshl_u32 v6, v2, v122, 2
	v_and_b32_e32 v3, v3, v45
	s_delay_alu instid0(VALU_DEP_4) | instskip(SKIP_3) | instid1(VALU_DEP_2)
	v_xor_b32_e32 v2, s16, v5
	ds_load_b32 v181, v6 offset:1056
	v_and_b32_e32 v3, v3, v4
	v_add_nc_u32_e32 v183, 0x420, v6
	; wave barrier
	v_and_b32_e32 v2, v3, v2
	s_delay_alu instid0(VALU_DEP_1) | instskip(SKIP_1) | instid1(VALU_DEP_2)
	v_mbcnt_lo_u32_b32 v182, v2, 0
	v_cmp_ne_u32_e64 s16, 0, v2
	v_cmp_eq_u32_e32 vcc_lo, 0, v182
	s_delay_alu instid0(VALU_DEP_2) | instskip(NEXT) | instid1(SALU_CYCLE_1)
	s_and_b32 s17, s16, vcc_lo
	s_and_saveexec_b32 s16, s17
	s_cbranch_execz .LBB1022_142
; %bb.141:                              ;   in Loop: Header=BB1022_98 Depth=2
	s_waitcnt lgkmcnt(0)
	v_bcnt_u32_b32 v2, v2, v181
	ds_store_b32 v183, v2
.LBB1022_142:                           ;   in Loop: Header=BB1022_98 Depth=2
	s_or_b32 exec_lo, exec_lo, s16
	v_lshrrev_b32_e32 v180, 16, v176
	; wave barrier
	s_delay_alu instid0(VALU_DEP_1) | instskip(NEXT) | instid1(VALU_DEP_1)
	v_lshrrev_b32_e32 v2, s42, v180
	v_and_b32_e32 v2, s43, v2
	s_delay_alu instid0(VALU_DEP_1)
	v_and_b32_e32 v3, 1, v2
	v_lshlrev_b32_e32 v4, 30, v2
	v_lshlrev_b32_e32 v5, 29, v2
	;; [unrolled: 1-line block ×4, first 2 shown]
	v_add_co_u32 v3, s16, v3, -1
	s_delay_alu instid0(VALU_DEP_1)
	v_cndmask_b32_e64 v7, 0, 1, s16
	v_not_b32_e32 v185, v4
	v_cmp_gt_i32_e64 s16, 0, v4
	v_not_b32_e32 v4, v5
	v_lshlrev_b32_e32 v46, 26, v2
	v_cmp_ne_u32_e32 vcc_lo, 0, v7
	v_ashrrev_i32_e32 v185, 31, v185
	v_lshlrev_b32_e32 v184, 25, v2
	v_ashrrev_i32_e32 v4, 31, v4
	v_lshlrev_b32_e32 v7, 24, v2
	v_xor_b32_e32 v3, vcc_lo, v3
	v_cmp_gt_i32_e32 vcc_lo, 0, v5
	v_not_b32_e32 v5, v6
	v_xor_b32_e32 v185, s16, v185
	v_cmp_gt_i32_e64 s16, 0, v6
	v_and_b32_e32 v3, exec_lo, v3
	v_not_b32_e32 v6, v45
	v_ashrrev_i32_e32 v5, 31, v5
	v_xor_b32_e32 v4, vcc_lo, v4
	v_cmp_gt_i32_e32 vcc_lo, 0, v45
	v_and_b32_e32 v3, v3, v185
	v_not_b32_e32 v45, v46
	v_ashrrev_i32_e32 v6, 31, v6
	v_xor_b32_e32 v5, s16, v5
	v_cmp_gt_i32_e64 s16, 0, v46
	v_and_b32_e32 v3, v3, v4
	v_not_b32_e32 v4, v184
	v_ashrrev_i32_e32 v45, 31, v45
	v_xor_b32_e32 v6, vcc_lo, v6
	v_cmp_gt_i32_e32 vcc_lo, 0, v184
	v_and_b32_e32 v3, v3, v5
	v_not_b32_e32 v5, v7
	v_ashrrev_i32_e32 v4, 31, v4
	v_xor_b32_e32 v45, s16, v45
	v_mul_u32_u24_e32 v2, 9, v2
	v_and_b32_e32 v3, v3, v6
	v_cmp_gt_i32_e64 s16, 0, v7
	v_ashrrev_i32_e32 v5, 31, v5
	v_xor_b32_e32 v4, vcc_lo, v4
	v_add_lshl_u32 v6, v2, v122, 2
	v_and_b32_e32 v3, v3, v45
	s_delay_alu instid0(VALU_DEP_4) | instskip(SKIP_3) | instid1(VALU_DEP_2)
	v_xor_b32_e32 v2, s16, v5
	ds_load_b32 v185, v6 offset:1056
	v_and_b32_e32 v3, v3, v4
	v_add_nc_u32_e32 v187, 0x420, v6
	; wave barrier
	v_and_b32_e32 v2, v3, v2
	s_delay_alu instid0(VALU_DEP_1) | instskip(SKIP_1) | instid1(VALU_DEP_2)
	v_mbcnt_lo_u32_b32 v186, v2, 0
	v_cmp_ne_u32_e64 s16, 0, v2
	v_cmp_eq_u32_e32 vcc_lo, 0, v186
	s_delay_alu instid0(VALU_DEP_2) | instskip(NEXT) | instid1(SALU_CYCLE_1)
	s_and_b32 s17, s16, vcc_lo
	s_and_saveexec_b32 s16, s17
	s_cbranch_execz .LBB1022_144
; %bb.143:                              ;   in Loop: Header=BB1022_98 Depth=2
	s_waitcnt lgkmcnt(0)
	v_bcnt_u32_b32 v2, v2, v185
	ds_store_b32 v187, v2
.LBB1022_144:                           ;   in Loop: Header=BB1022_98 Depth=2
	s_or_b32 exec_lo, exec_lo, s16
	v_xor_b32_e32 v184, 0x80008000, v8
	; wave barrier
	s_delay_alu instid0(VALU_DEP_1) | instskip(NEXT) | instid1(VALU_DEP_1)
	v_and_b32_e32 v2, 0xffff, v184
	v_lshrrev_b32_e32 v2, s42, v2
	s_delay_alu instid0(VALU_DEP_1) | instskip(NEXT) | instid1(VALU_DEP_1)
	v_and_b32_e32 v2, s43, v2
	v_and_b32_e32 v3, 1, v2
	v_lshlrev_b32_e32 v4, 30, v2
	v_lshlrev_b32_e32 v5, 29, v2
	;; [unrolled: 1-line block ×4, first 2 shown]
	v_add_co_u32 v3, s16, v3, -1
	s_delay_alu instid0(VALU_DEP_1)
	v_cndmask_b32_e64 v7, 0, 1, s16
	v_not_b32_e32 v188, v4
	v_cmp_gt_i32_e64 s16, 0, v4
	v_not_b32_e32 v4, v5
	v_lshlrev_b32_e32 v45, 26, v2
	v_cmp_ne_u32_e32 vcc_lo, 0, v7
	v_ashrrev_i32_e32 v188, 31, v188
	v_lshlrev_b32_e32 v46, 25, v2
	v_ashrrev_i32_e32 v4, 31, v4
	v_lshlrev_b32_e32 v7, 24, v2
	v_xor_b32_e32 v3, vcc_lo, v3
	v_cmp_gt_i32_e32 vcc_lo, 0, v5
	v_not_b32_e32 v5, v6
	v_xor_b32_e32 v188, s16, v188
	v_cmp_gt_i32_e64 s16, 0, v6
	v_and_b32_e32 v3, exec_lo, v3
	v_not_b32_e32 v6, v8
	v_ashrrev_i32_e32 v5, 31, v5
	v_xor_b32_e32 v4, vcc_lo, v4
	v_cmp_gt_i32_e32 vcc_lo, 0, v8
	v_and_b32_e32 v3, v3, v188
	v_not_b32_e32 v8, v45
	v_ashrrev_i32_e32 v6, 31, v6
	v_xor_b32_e32 v5, s16, v5
	v_cmp_gt_i32_e64 s16, 0, v45
	v_and_b32_e32 v3, v3, v4
	v_not_b32_e32 v4, v46
	v_ashrrev_i32_e32 v8, 31, v8
	v_xor_b32_e32 v6, vcc_lo, v6
	v_cmp_gt_i32_e32 vcc_lo, 0, v46
	v_and_b32_e32 v3, v3, v5
	v_not_b32_e32 v5, v7
	v_ashrrev_i32_e32 v4, 31, v4
	v_xor_b32_e32 v8, s16, v8
	v_mul_u32_u24_e32 v2, 9, v2
	v_and_b32_e32 v3, v3, v6
	v_cmp_gt_i32_e64 s16, 0, v7
	v_ashrrev_i32_e32 v5, 31, v5
	v_xor_b32_e32 v4, vcc_lo, v4
	v_add_lshl_u32 v6, v2, v122, 2
	v_and_b32_e32 v3, v3, v8
	s_delay_alu instid0(VALU_DEP_4) | instskip(SKIP_3) | instid1(VALU_DEP_2)
	v_xor_b32_e32 v2, s16, v5
	ds_load_b32 v8, v6 offset:1056
	v_and_b32_e32 v3, v3, v4
	v_add_nc_u32_e32 v190, 0x420, v6
	; wave barrier
	v_and_b32_e32 v2, v3, v2
	s_delay_alu instid0(VALU_DEP_1) | instskip(SKIP_1) | instid1(VALU_DEP_2)
	v_mbcnt_lo_u32_b32 v189, v2, 0
	v_cmp_ne_u32_e64 s16, 0, v2
	v_cmp_eq_u32_e32 vcc_lo, 0, v189
	s_delay_alu instid0(VALU_DEP_2) | instskip(NEXT) | instid1(SALU_CYCLE_1)
	s_and_b32 s17, s16, vcc_lo
	s_and_saveexec_b32 s16, s17
	s_cbranch_execz .LBB1022_146
; %bb.145:                              ;   in Loop: Header=BB1022_98 Depth=2
	s_waitcnt lgkmcnt(0)
	v_bcnt_u32_b32 v2, v2, v8
	ds_store_b32 v190, v2
.LBB1022_146:                           ;   in Loop: Header=BB1022_98 Depth=2
	s_or_b32 exec_lo, exec_lo, s16
	v_lshrrev_b32_e32 v188, 16, v184
	; wave barrier
	s_delay_alu instid0(VALU_DEP_1) | instskip(NEXT) | instid1(VALU_DEP_1)
	v_lshrrev_b32_e32 v2, s42, v188
	v_and_b32_e32 v2, s43, v2
	s_delay_alu instid0(VALU_DEP_1)
	v_and_b32_e32 v3, 1, v2
	v_lshlrev_b32_e32 v4, 30, v2
	v_lshlrev_b32_e32 v5, 29, v2
	;; [unrolled: 1-line block ×4, first 2 shown]
	v_add_co_u32 v3, s16, v3, -1
	s_delay_alu instid0(VALU_DEP_1)
	v_cndmask_b32_e64 v7, 0, 1, s16
	v_not_b32_e32 v192, v4
	v_cmp_gt_i32_e64 s16, 0, v4
	v_not_b32_e32 v4, v5
	v_lshlrev_b32_e32 v46, 26, v2
	v_cmp_ne_u32_e32 vcc_lo, 0, v7
	v_ashrrev_i32_e32 v192, 31, v192
	v_lshlrev_b32_e32 v191, 25, v2
	v_ashrrev_i32_e32 v4, 31, v4
	v_lshlrev_b32_e32 v7, 24, v2
	v_xor_b32_e32 v3, vcc_lo, v3
	v_cmp_gt_i32_e32 vcc_lo, 0, v5
	v_not_b32_e32 v5, v6
	v_xor_b32_e32 v192, s16, v192
	v_cmp_gt_i32_e64 s16, 0, v6
	v_and_b32_e32 v3, exec_lo, v3
	v_not_b32_e32 v6, v45
	v_ashrrev_i32_e32 v5, 31, v5
	v_xor_b32_e32 v4, vcc_lo, v4
	v_cmp_gt_i32_e32 vcc_lo, 0, v45
	v_and_b32_e32 v3, v3, v192
	v_not_b32_e32 v45, v46
	v_ashrrev_i32_e32 v6, 31, v6
	v_xor_b32_e32 v5, s16, v5
	v_cmp_gt_i32_e64 s16, 0, v46
	v_and_b32_e32 v3, v3, v4
	v_not_b32_e32 v4, v191
	v_ashrrev_i32_e32 v45, 31, v45
	v_xor_b32_e32 v6, vcc_lo, v6
	v_cmp_gt_i32_e32 vcc_lo, 0, v191
	v_and_b32_e32 v3, v3, v5
	v_not_b32_e32 v5, v7
	v_ashrrev_i32_e32 v4, 31, v4
	v_xor_b32_e32 v45, s16, v45
	v_mul_u32_u24_e32 v2, 9, v2
	v_and_b32_e32 v3, v3, v6
	v_cmp_gt_i32_e64 s16, 0, v7
	v_ashrrev_i32_e32 v5, 31, v5
	v_xor_b32_e32 v4, vcc_lo, v4
	v_add_lshl_u32 v6, v2, v122, 2
	v_and_b32_e32 v3, v3, v45
	s_delay_alu instid0(VALU_DEP_4) | instskip(SKIP_3) | instid1(VALU_DEP_2)
	v_xor_b32_e32 v2, s16, v5
	ds_load_b32 v191, v6 offset:1056
	v_and_b32_e32 v3, v3, v4
	v_add_nc_u32_e32 v193, 0x420, v6
	; wave barrier
	v_and_b32_e32 v2, v3, v2
	s_delay_alu instid0(VALU_DEP_1) | instskip(SKIP_1) | instid1(VALU_DEP_2)
	v_mbcnt_lo_u32_b32 v192, v2, 0
	v_cmp_ne_u32_e64 s16, 0, v2
	v_cmp_eq_u32_e32 vcc_lo, 0, v192
	s_delay_alu instid0(VALU_DEP_2) | instskip(NEXT) | instid1(SALU_CYCLE_1)
	s_and_b32 s17, s16, vcc_lo
	s_and_saveexec_b32 s16, s17
	s_cbranch_execz .LBB1022_148
; %bb.147:                              ;   in Loop: Header=BB1022_98 Depth=2
	s_waitcnt lgkmcnt(0)
	v_bcnt_u32_b32 v2, v2, v191
	ds_store_b32 v193, v2
.LBB1022_148:                           ;   in Loop: Header=BB1022_98 Depth=2
	s_or_b32 exec_lo, exec_lo, s16
	v_xor_b32_e32 v9, 0x80008000, v9
	; wave barrier
	s_delay_alu instid0(VALU_DEP_1) | instskip(NEXT) | instid1(VALU_DEP_1)
	v_and_b32_e32 v2, 0xffff, v9
	v_lshrrev_b32_e32 v2, s42, v2
	s_delay_alu instid0(VALU_DEP_1) | instskip(NEXT) | instid1(VALU_DEP_1)
	v_and_b32_e32 v2, s43, v2
	v_and_b32_e32 v3, 1, v2
	v_lshlrev_b32_e32 v4, 30, v2
	v_lshlrev_b32_e32 v5, 29, v2
	;; [unrolled: 1-line block ×4, first 2 shown]
	v_add_co_u32 v3, s16, v3, -1
	s_delay_alu instid0(VALU_DEP_1)
	v_cndmask_b32_e64 v7, 0, 1, s16
	v_not_b32_e32 v195, v4
	v_cmp_gt_i32_e64 s16, 0, v4
	v_not_b32_e32 v4, v5
	v_lshlrev_b32_e32 v46, 26, v2
	v_cmp_ne_u32_e32 vcc_lo, 0, v7
	v_ashrrev_i32_e32 v195, 31, v195
	v_lshlrev_b32_e32 v194, 25, v2
	v_ashrrev_i32_e32 v4, 31, v4
	v_lshlrev_b32_e32 v7, 24, v2
	v_xor_b32_e32 v3, vcc_lo, v3
	v_cmp_gt_i32_e32 vcc_lo, 0, v5
	v_not_b32_e32 v5, v6
	v_xor_b32_e32 v195, s16, v195
	v_cmp_gt_i32_e64 s16, 0, v6
	v_and_b32_e32 v3, exec_lo, v3
	v_not_b32_e32 v6, v45
	v_ashrrev_i32_e32 v5, 31, v5
	v_xor_b32_e32 v4, vcc_lo, v4
	v_cmp_gt_i32_e32 vcc_lo, 0, v45
	v_and_b32_e32 v3, v3, v195
	v_not_b32_e32 v45, v46
	v_ashrrev_i32_e32 v6, 31, v6
	v_xor_b32_e32 v5, s16, v5
	v_cmp_gt_i32_e64 s16, 0, v46
	v_and_b32_e32 v3, v3, v4
	v_not_b32_e32 v4, v194
	v_ashrrev_i32_e32 v45, 31, v45
	v_xor_b32_e32 v6, vcc_lo, v6
	v_cmp_gt_i32_e32 vcc_lo, 0, v194
	v_and_b32_e32 v3, v3, v5
	v_not_b32_e32 v5, v7
	v_ashrrev_i32_e32 v4, 31, v4
	v_xor_b32_e32 v45, s16, v45
	v_mul_u32_u24_e32 v2, 9, v2
	v_and_b32_e32 v3, v3, v6
	v_cmp_gt_i32_e64 s16, 0, v7
	v_ashrrev_i32_e32 v5, 31, v5
	v_xor_b32_e32 v4, vcc_lo, v4
	v_add_lshl_u32 v6, v2, v122, 2
	v_and_b32_e32 v3, v3, v45
	s_delay_alu instid0(VALU_DEP_4) | instskip(SKIP_3) | instid1(VALU_DEP_2)
	v_xor_b32_e32 v2, s16, v5
	ds_load_b32 v195, v6 offset:1056
	v_and_b32_e32 v3, v3, v4
	v_add_nc_u32_e32 v197, 0x420, v6
	; wave barrier
	v_and_b32_e32 v2, v3, v2
	s_delay_alu instid0(VALU_DEP_1) | instskip(SKIP_1) | instid1(VALU_DEP_2)
	v_mbcnt_lo_u32_b32 v196, v2, 0
	v_cmp_ne_u32_e64 s16, 0, v2
	v_cmp_eq_u32_e32 vcc_lo, 0, v196
	s_delay_alu instid0(VALU_DEP_2) | instskip(NEXT) | instid1(SALU_CYCLE_1)
	s_and_b32 s17, s16, vcc_lo
	s_and_saveexec_b32 s16, s17
	s_cbranch_execz .LBB1022_150
; %bb.149:                              ;   in Loop: Header=BB1022_98 Depth=2
	s_waitcnt lgkmcnt(0)
	v_bcnt_u32_b32 v2, v2, v195
	ds_store_b32 v197, v2
.LBB1022_150:                           ;   in Loop: Header=BB1022_98 Depth=2
	s_or_b32 exec_lo, exec_lo, s16
	v_lshrrev_b32_e32 v194, 16, v9
	; wave barrier
	s_delay_alu instid0(VALU_DEP_1) | instskip(NEXT) | instid1(VALU_DEP_1)
	v_lshrrev_b32_e32 v2, s42, v194
	v_and_b32_e32 v2, s43, v2
	s_delay_alu instid0(VALU_DEP_1)
	v_and_b32_e32 v3, 1, v2
	v_lshlrev_b32_e32 v4, 30, v2
	v_lshlrev_b32_e32 v5, 29, v2
	;; [unrolled: 1-line block ×4, first 2 shown]
	v_add_co_u32 v3, s16, v3, -1
	s_delay_alu instid0(VALU_DEP_1)
	v_cndmask_b32_e64 v7, 0, 1, s16
	v_not_b32_e32 v199, v4
	v_cmp_gt_i32_e64 s16, 0, v4
	v_not_b32_e32 v4, v5
	v_lshlrev_b32_e32 v46, 26, v2
	v_cmp_ne_u32_e32 vcc_lo, 0, v7
	v_ashrrev_i32_e32 v199, 31, v199
	v_lshlrev_b32_e32 v198, 25, v2
	v_ashrrev_i32_e32 v4, 31, v4
	v_lshlrev_b32_e32 v7, 24, v2
	v_xor_b32_e32 v3, vcc_lo, v3
	v_cmp_gt_i32_e32 vcc_lo, 0, v5
	v_not_b32_e32 v5, v6
	v_xor_b32_e32 v199, s16, v199
	v_cmp_gt_i32_e64 s16, 0, v6
	v_and_b32_e32 v3, exec_lo, v3
	v_not_b32_e32 v6, v45
	v_ashrrev_i32_e32 v5, 31, v5
	v_xor_b32_e32 v4, vcc_lo, v4
	v_cmp_gt_i32_e32 vcc_lo, 0, v45
	v_and_b32_e32 v3, v3, v199
	v_not_b32_e32 v45, v46
	v_ashrrev_i32_e32 v6, 31, v6
	v_xor_b32_e32 v5, s16, v5
	v_cmp_gt_i32_e64 s16, 0, v46
	v_and_b32_e32 v3, v3, v4
	v_not_b32_e32 v4, v198
	v_ashrrev_i32_e32 v45, 31, v45
	v_xor_b32_e32 v6, vcc_lo, v6
	v_cmp_gt_i32_e32 vcc_lo, 0, v198
	v_and_b32_e32 v3, v3, v5
	v_not_b32_e32 v5, v7
	v_ashrrev_i32_e32 v4, 31, v4
	v_xor_b32_e32 v45, s16, v45
	v_mul_u32_u24_e32 v2, 9, v2
	v_and_b32_e32 v3, v3, v6
	v_cmp_gt_i32_e64 s16, 0, v7
	v_ashrrev_i32_e32 v5, 31, v5
	v_xor_b32_e32 v4, vcc_lo, v4
	v_add_lshl_u32 v6, v2, v122, 2
	v_and_b32_e32 v3, v3, v45
	s_delay_alu instid0(VALU_DEP_4) | instskip(SKIP_3) | instid1(VALU_DEP_2)
	v_xor_b32_e32 v2, s16, v5
	ds_load_b32 v198, v6 offset:1056
	v_and_b32_e32 v3, v3, v4
	v_add_nc_u32_e32 v200, 0x420, v6
	; wave barrier
	v_and_b32_e32 v2, v3, v2
	s_delay_alu instid0(VALU_DEP_1) | instskip(SKIP_1) | instid1(VALU_DEP_2)
	v_mbcnt_lo_u32_b32 v199, v2, 0
	v_cmp_ne_u32_e64 s16, 0, v2
	v_cmp_eq_u32_e32 vcc_lo, 0, v199
	s_delay_alu instid0(VALU_DEP_2) | instskip(NEXT) | instid1(SALU_CYCLE_1)
	s_and_b32 s17, s16, vcc_lo
	s_and_saveexec_b32 s16, s17
	s_cbranch_execz .LBB1022_152
; %bb.151:                              ;   in Loop: Header=BB1022_98 Depth=2
	s_waitcnt lgkmcnt(0)
	v_bcnt_u32_b32 v2, v2, v198
	ds_store_b32 v200, v2
.LBB1022_152:                           ;   in Loop: Header=BB1022_98 Depth=2
	s_or_b32 exec_lo, exec_lo, s16
	; wave barrier
	s_waitcnt lgkmcnt(0)
	s_barrier
	buffer_gl0_inv
	ds_load_b32 v201, v73 offset:1056
	ds_load_2addr_b32 v[45:46], v75 offset0:1 offset1:2
	ds_load_2addr_b32 v[6:7], v75 offset0:3 offset1:4
	;; [unrolled: 1-line block ×4, first 2 shown]
	s_waitcnt lgkmcnt(3)
	v_add3_u32 v202, v45, v201, v46
	s_waitcnt lgkmcnt(2)
	s_delay_alu instid0(VALU_DEP_1) | instskip(SKIP_1) | instid1(VALU_DEP_1)
	v_add3_u32 v202, v202, v6, v7
	s_waitcnt lgkmcnt(1)
	v_add3_u32 v202, v202, v2, v3
	s_waitcnt lgkmcnt(0)
	s_delay_alu instid0(VALU_DEP_1) | instskip(NEXT) | instid1(VALU_DEP_1)
	v_add3_u32 v5, v202, v4, v5
	v_mov_b32_dpp v202, v5 row_shr:1 row_mask:0xf bank_mask:0xf
	s_delay_alu instid0(VALU_DEP_1) | instskip(NEXT) | instid1(VALU_DEP_1)
	v_cndmask_b32_e64 v202, v202, 0, s1
	v_add_nc_u32_e32 v5, v202, v5
	s_delay_alu instid0(VALU_DEP_1) | instskip(NEXT) | instid1(VALU_DEP_1)
	v_mov_b32_dpp v202, v5 row_shr:2 row_mask:0xf bank_mask:0xf
	v_cndmask_b32_e64 v202, 0, v202, s7
	s_delay_alu instid0(VALU_DEP_1) | instskip(NEXT) | instid1(VALU_DEP_1)
	v_add_nc_u32_e32 v5, v5, v202
	v_mov_b32_dpp v202, v5 row_shr:4 row_mask:0xf bank_mask:0xf
	s_delay_alu instid0(VALU_DEP_1) | instskip(NEXT) | instid1(VALU_DEP_1)
	v_cndmask_b32_e64 v202, 0, v202, s8
	v_add_nc_u32_e32 v5, v5, v202
	s_delay_alu instid0(VALU_DEP_1) | instskip(NEXT) | instid1(VALU_DEP_1)
	v_mov_b32_dpp v202, v5 row_shr:8 row_mask:0xf bank_mask:0xf
	v_cndmask_b32_e64 v202, 0, v202, s9
	s_delay_alu instid0(VALU_DEP_1) | instskip(SKIP_3) | instid1(VALU_DEP_1)
	v_add_nc_u32_e32 v5, v5, v202
	ds_swizzle_b32 v202, v5 offset:swizzle(BROADCAST,32,15)
	s_waitcnt lgkmcnt(0)
	v_cndmask_b32_e64 v202, v202, 0, s10
	v_add_nc_u32_e32 v5, v5, v202
	s_and_saveexec_b32 s16, s3
	s_cbranch_execz .LBB1022_154
; %bb.153:                              ;   in Loop: Header=BB1022_98 Depth=2
	ds_store_b32 v65, v5 offset:1024
.LBB1022_154:                           ;   in Loop: Header=BB1022_98 Depth=2
	s_or_b32 exec_lo, exec_lo, s16
	s_waitcnt lgkmcnt(0)
	s_barrier
	buffer_gl0_inv
	s_and_saveexec_b32 s16, s4
	s_cbranch_execz .LBB1022_156
; %bb.155:                              ;   in Loop: Header=BB1022_98 Depth=2
	ds_load_b32 v202, v76 offset:1024
	s_waitcnt lgkmcnt(0)
	v_mov_b32_dpp v203, v202 row_shr:1 row_mask:0xf bank_mask:0xf
	s_delay_alu instid0(VALU_DEP_1) | instskip(NEXT) | instid1(VALU_DEP_1)
	v_cndmask_b32_e64 v203, v203, 0, s12
	v_add_nc_u32_e32 v202, v203, v202
	s_delay_alu instid0(VALU_DEP_1) | instskip(NEXT) | instid1(VALU_DEP_1)
	v_mov_b32_dpp v203, v202 row_shr:2 row_mask:0xf bank_mask:0xf
	v_cndmask_b32_e64 v203, 0, v203, s13
	s_delay_alu instid0(VALU_DEP_1) | instskip(NEXT) | instid1(VALU_DEP_1)
	v_add_nc_u32_e32 v202, v202, v203
	v_mov_b32_dpp v203, v202 row_shr:4 row_mask:0xf bank_mask:0xf
	s_delay_alu instid0(VALU_DEP_1) | instskip(NEXT) | instid1(VALU_DEP_1)
	v_cndmask_b32_e64 v203, 0, v203, s14
	v_add_nc_u32_e32 v202, v202, v203
	ds_store_b32 v76, v202 offset:1024
.LBB1022_156:                           ;   in Loop: Header=BB1022_98 Depth=2
	s_or_b32 exec_lo, exec_lo, s16
	v_mov_b32_e32 v202, 0
	s_waitcnt lgkmcnt(0)
	s_barrier
	buffer_gl0_inv
	s_and_saveexec_b32 s16, s5
	s_cbranch_execz .LBB1022_158
; %bb.157:                              ;   in Loop: Header=BB1022_98 Depth=2
	ds_load_b32 v202, v65 offset:1020
.LBB1022_158:                           ;   in Loop: Header=BB1022_98 Depth=2
	s_or_b32 exec_lo, exec_lo, s16
	s_waitcnt lgkmcnt(0)
	v_add_nc_u32_e32 v5, v202, v5
	ds_bpermute_b32 v5, v101, v5
	s_waitcnt lgkmcnt(0)
	v_cndmask_b32_e64 v5, v5, v202, s11
	s_delay_alu instid0(VALU_DEP_1) | instskip(NEXT) | instid1(VALU_DEP_1)
	v_cndmask_b32_e64 v5, v5, 0, s0
	v_add_nc_u32_e32 v201, v5, v201
	s_delay_alu instid0(VALU_DEP_1) | instskip(NEXT) | instid1(VALU_DEP_1)
	v_add_nc_u32_e32 v45, v201, v45
	v_add_nc_u32_e32 v46, v45, v46
	s_delay_alu instid0(VALU_DEP_1) | instskip(NEXT) | instid1(VALU_DEP_1)
	v_add_nc_u32_e32 v6, v46, v6
	;; [unrolled: 3-line block ×3, first 2 shown]
	v_add_nc_u32_e32 v3, v2, v3
	s_delay_alu instid0(VALU_DEP_1)
	v_add_nc_u32_e32 v4, v3, v4
	ds_store_b32 v73, v5 offset:1056
	ds_store_2addr_b32 v75, v201, v45 offset0:1 offset1:2
	ds_store_2addr_b32 v75, v46, v6 offset0:3 offset1:4
	ds_store_2addr_b32 v75, v7, v2 offset0:5 offset1:6
	ds_store_2addr_b32 v75, v3, v4 offset0:7 offset1:8
	v_mov_b32_e32 v4, 0x1000
	s_waitcnt lgkmcnt(0)
	s_barrier
	buffer_gl0_inv
	ds_load_b32 v5, v147
	ds_load_b32 v6, v151
	;; [unrolled: 1-line block ×16, first 2 shown]
	ds_load_b32 v151, v73 offset:1056
	s_and_saveexec_b32 s16, s6
	s_cbranch_execz .LBB1022_160
; %bb.159:                              ;   in Loop: Header=BB1022_98 Depth=2
	ds_load_b32 v4, v77 offset:1056
.LBB1022_160:                           ;   in Loop: Header=BB1022_98 Depth=2
	s_or_b32 exec_lo, exec_lo, s16
	s_waitcnt lgkmcnt(0)
	s_barrier
	buffer_gl0_inv
	s_and_saveexec_b32 s16, s2
	s_cbranch_execz .LBB1022_162
; %bb.161:                              ;   in Loop: Header=BB1022_98 Depth=2
	ds_load_b32 v155, v47
	s_waitcnt lgkmcnt(0)
	v_sub_nc_u32_e32 v151, v155, v151
	ds_store_b32 v47, v151
.LBB1022_162:                           ;   in Loop: Header=BB1022_98 Depth=2
	s_or_b32 exec_lo, exec_lo, s16
	v_add_nc_u32_e32 v159, v143, v141
	v_add3_u32 v155, v146, v145, v5
	v_add3_u32 v151, v150, v149, v6
	;; [unrolled: 1-line block ×4, first 2 shown]
	v_lshlrev_b32_e32 v153, 1, v159
	v_add3_u32 v45, v192, v191, v2
	v_lshlrev_b32_e32 v2, 1, v155
	v_add3_u32 v149, v158, v157, v46
	v_add3_u32 v146, v166, v165, v163
	;; [unrolled: 1-line block ×5, first 2 shown]
	ds_store_b16 v153, v19 offset:1024
	v_lshlrev_b32_e32 v3, 1, v151
	ds_store_b16 v2, v142 offset:1024
	v_lshlrev_b32_e32 v2, 1, v147
	v_add3_u32 v143, v174, v173, v171
	v_lshlrev_b32_e32 v19, 1, v150
	v_add3_u32 v141, v178, v177, v175
	;; [unrolled: 2-line block ×3, first 2 shown]
	v_add3_u32 v6, v186, v185, v183
	ds_store_b16 v3, v144 offset:1024
	ds_store_b16 v19, v148 offset:1024
	;; [unrolled: 1-line block ×3, first 2 shown]
	v_lshlrev_b32_e32 v3, 1, v146
	ds_store_b16 v2, v156 offset:1024
	v_lshlrev_b32_e32 v2, 1, v145
	v_lshlrev_b32_e32 v19, 1, v143
	;; [unrolled: 1-line block ×3, first 2 shown]
	v_add3_u32 v7, v199, v198, v7
	ds_store_b16 v3, v160 offset:1024
	v_lshlrev_b32_e32 v3, 1, v46
	ds_store_b16 v2, v164 offset:1024
	ds_store_b16 v19, v168 offset:1024
	;; [unrolled: 1-line block ×3, first 2 shown]
	v_lshlrev_b32_e32 v2, 1, v6
	v_cmp_lt_u32_e32 vcc_lo, v18, v0
	v_lshlrev_b32_e32 v19, 1, v45
	ds_store_b16 v3, v176 offset:1024
	v_lshlrev_b32_e32 v3, 1, v5
	ds_store_b16 v2, v180 offset:1024
	v_lshlrev_b32_e32 v2, 1, v7
	v_lshlrev_b32_e32 v142, 1, v8
	ds_store_b16 v3, v184 offset:1024
	ds_store_b16 v19, v188 offset:1024
	;; [unrolled: 1-line block ×4, first 2 shown]
	s_waitcnt lgkmcnt(0)
	s_barrier
	buffer_gl0_inv
	s_and_saveexec_b32 s17, vcc_lo
	s_cbranch_execz .LBB1022_178
; %bb.163:                              ;   in Loop: Header=BB1022_98 Depth=2
	v_add_nc_u32_e32 v2, v76, v82
	ds_load_u16 v142, v2 offset:1024
	s_waitcnt lgkmcnt(0)
	v_and_b32_e32 v2, 0xffff, v142
	s_delay_alu instid0(VALU_DEP_1) | instskip(NEXT) | instid1(VALU_DEP_1)
	v_lshrrev_b32_e32 v2, s42, v2
	v_and_b32_e32 v2, s43, v2
	s_delay_alu instid0(VALU_DEP_1) | instskip(SKIP_3) | instid1(VALU_DEP_1)
	v_lshlrev_b32_e32 v2, 2, v2
	ds_load_b32 v2, v2
	s_waitcnt lgkmcnt(0)
	v_add_nc_u32_e32 v19, v2, v18
	v_lshlrev_b64 v[2:3], 1, v[19:20]
	v_xor_b32_e32 v19, 0xffff8000, v142
	s_delay_alu instid0(VALU_DEP_2) | instskip(NEXT) | instid1(VALU_DEP_1)
	v_add_co_u32 v2, s16, s38, v2
	v_add_co_ci_u32_e64 v3, s16, s39, v3, s16
	global_store_b16 v[2:3], v19, off
	s_or_b32 exec_lo, exec_lo, s17
	v_cmp_lt_u32_e64 s16, v48, v0
	s_delay_alu instid0(VALU_DEP_1)
	s_and_saveexec_b32 s18, s16
	s_cbranch_execnz .LBB1022_179
.LBB1022_164:                           ;   in Loop: Header=BB1022_98 Depth=2
	s_or_b32 exec_lo, exec_lo, s18
	v_cmp_lt_u32_e64 s17, v49, v0
	s_delay_alu instid0(VALU_DEP_1)
	s_and_saveexec_b32 s19, s17
	s_cbranch_execz .LBB1022_180
.LBB1022_165:                           ;   in Loop: Header=BB1022_98 Depth=2
	ds_load_u16 v142, v83 offset:1024
	s_waitcnt lgkmcnt(0)
	v_and_b32_e32 v2, 0xffff, v142
	s_delay_alu instid0(VALU_DEP_1) | instskip(NEXT) | instid1(VALU_DEP_1)
	v_lshrrev_b32_e32 v2, s42, v2
	v_and_b32_e32 v2, s43, v2
	s_delay_alu instid0(VALU_DEP_1) | instskip(SKIP_3) | instid1(VALU_DEP_1)
	v_lshlrev_b32_e32 v2, 2, v2
	ds_load_b32 v2, v2
	s_waitcnt lgkmcnt(0)
	v_add_nc_u32_e32 v19, v2, v49
	v_lshlrev_b64 v[2:3], 1, v[19:20]
	v_xor_b32_e32 v19, 0xffff8000, v142
	s_delay_alu instid0(VALU_DEP_2) | instskip(NEXT) | instid1(VALU_DEP_1)
	v_add_co_u32 v2, s18, s38, v2
	v_add_co_ci_u32_e64 v3, s18, s39, v3, s18
	global_store_b16 v[2:3], v19, off
	s_or_b32 exec_lo, exec_lo, s19
	v_cmp_lt_u32_e64 s18, v50, v0
	s_delay_alu instid0(VALU_DEP_1)
	s_and_saveexec_b32 s20, s18
	s_cbranch_execnz .LBB1022_181
.LBB1022_166:                           ;   in Loop: Header=BB1022_98 Depth=2
	s_or_b32 exec_lo, exec_lo, s20
	v_cmp_lt_u32_e64 s19, v54, v0
	s_delay_alu instid0(VALU_DEP_1)
	s_and_saveexec_b32 s21, s19
	s_cbranch_execz .LBB1022_182
.LBB1022_167:                           ;   in Loop: Header=BB1022_98 Depth=2
	ds_load_u16 v142, v83 offset:2048
	s_waitcnt lgkmcnt(0)
	v_and_b32_e32 v2, 0xffff, v142
	s_delay_alu instid0(VALU_DEP_1) | instskip(NEXT) | instid1(VALU_DEP_1)
	v_lshrrev_b32_e32 v2, s42, v2
	v_and_b32_e32 v2, s43, v2
	s_delay_alu instid0(VALU_DEP_1) | instskip(SKIP_3) | instid1(VALU_DEP_1)
	v_lshlrev_b32_e32 v2, 2, v2
	ds_load_b32 v2, v2
	s_waitcnt lgkmcnt(0)
	v_add_nc_u32_e32 v19, v2, v54
	v_lshlrev_b64 v[2:3], 1, v[19:20]
	v_xor_b32_e32 v19, 0xffff8000, v142
	s_delay_alu instid0(VALU_DEP_2) | instskip(NEXT) | instid1(VALU_DEP_1)
	v_add_co_u32 v2, s20, s38, v2
	v_add_co_ci_u32_e64 v3, s20, s39, v3, s20
	global_store_b16 v[2:3], v19, off
	s_or_b32 exec_lo, exec_lo, s21
	v_cmp_lt_u32_e64 s20, v55, v0
	s_delay_alu instid0(VALU_DEP_1)
	s_and_saveexec_b32 s22, s20
	s_cbranch_execnz .LBB1022_183
.LBB1022_168:                           ;   in Loop: Header=BB1022_98 Depth=2
	s_or_b32 exec_lo, exec_lo, s22
	v_cmp_lt_u32_e64 s21, v56, v0
	s_delay_alu instid0(VALU_DEP_1)
	s_and_saveexec_b32 s23, s21
	s_cbranch_execz .LBB1022_184
.LBB1022_169:                           ;   in Loop: Header=BB1022_98 Depth=2
	ds_load_u16 v142, v83 offset:3072
	s_waitcnt lgkmcnt(0)
	v_and_b32_e32 v2, 0xffff, v142
	s_delay_alu instid0(VALU_DEP_1) | instskip(NEXT) | instid1(VALU_DEP_1)
	v_lshrrev_b32_e32 v2, s42, v2
	v_and_b32_e32 v2, s43, v2
	s_delay_alu instid0(VALU_DEP_1) | instskip(SKIP_3) | instid1(VALU_DEP_1)
	v_lshlrev_b32_e32 v2, 2, v2
	ds_load_b32 v2, v2
	s_waitcnt lgkmcnt(0)
	v_add_nc_u32_e32 v19, v2, v56
	v_lshlrev_b64 v[2:3], 1, v[19:20]
	v_xor_b32_e32 v19, 0xffff8000, v142
	s_delay_alu instid0(VALU_DEP_2) | instskip(NEXT) | instid1(VALU_DEP_1)
	v_add_co_u32 v2, s22, s38, v2
	v_add_co_ci_u32_e64 v3, s22, s39, v3, s22
	global_store_b16 v[2:3], v19, off
	s_or_b32 exec_lo, exec_lo, s23
	v_cmp_lt_u32_e64 s22, v57, v0
	s_delay_alu instid0(VALU_DEP_1)
	s_and_saveexec_b32 s24, s22
	s_cbranch_execnz .LBB1022_185
.LBB1022_170:                           ;   in Loop: Header=BB1022_98 Depth=2
	s_or_b32 exec_lo, exec_lo, s24
	v_cmp_lt_u32_e64 s23, v58, v0
	s_delay_alu instid0(VALU_DEP_1)
	s_and_saveexec_b32 s25, s23
	s_cbranch_execz .LBB1022_186
.LBB1022_171:                           ;   in Loop: Header=BB1022_98 Depth=2
	ds_load_u16 v142, v83 offset:4096
	s_waitcnt lgkmcnt(0)
	v_and_b32_e32 v2, 0xffff, v142
	s_delay_alu instid0(VALU_DEP_1) | instskip(NEXT) | instid1(VALU_DEP_1)
	v_lshrrev_b32_e32 v2, s42, v2
	v_and_b32_e32 v2, s43, v2
	s_delay_alu instid0(VALU_DEP_1) | instskip(SKIP_3) | instid1(VALU_DEP_1)
	v_lshlrev_b32_e32 v2, 2, v2
	ds_load_b32 v2, v2
	s_waitcnt lgkmcnt(0)
	v_add_nc_u32_e32 v19, v2, v58
	v_lshlrev_b64 v[2:3], 1, v[19:20]
	v_xor_b32_e32 v19, 0xffff8000, v142
	s_delay_alu instid0(VALU_DEP_2) | instskip(NEXT) | instid1(VALU_DEP_1)
	v_add_co_u32 v2, s24, s38, v2
	v_add_co_ci_u32_e64 v3, s24, s39, v3, s24
	global_store_b16 v[2:3], v19, off
	s_or_b32 exec_lo, exec_lo, s25
	v_cmp_lt_u32_e64 s24, v59, v0
	s_delay_alu instid0(VALU_DEP_1)
	s_and_saveexec_b32 s27, s24
	s_cbranch_execnz .LBB1022_187
.LBB1022_172:                           ;   in Loop: Header=BB1022_98 Depth=2
	s_or_b32 exec_lo, exec_lo, s27
	v_cmp_lt_u32_e64 s25, v60, v0
	s_delay_alu instid0(VALU_DEP_1)
	s_and_saveexec_b32 s28, s25
	s_cbranch_execz .LBB1022_188
.LBB1022_173:                           ;   in Loop: Header=BB1022_98 Depth=2
	ds_load_u16 v142, v83 offset:5120
	s_waitcnt lgkmcnt(0)
	v_and_b32_e32 v2, 0xffff, v142
	s_delay_alu instid0(VALU_DEP_1) | instskip(NEXT) | instid1(VALU_DEP_1)
	v_lshrrev_b32_e32 v2, s42, v2
	v_and_b32_e32 v2, s43, v2
	s_delay_alu instid0(VALU_DEP_1) | instskip(SKIP_3) | instid1(VALU_DEP_1)
	v_lshlrev_b32_e32 v2, 2, v2
	ds_load_b32 v2, v2
	s_waitcnt lgkmcnt(0)
	v_add_nc_u32_e32 v19, v2, v60
	v_lshlrev_b64 v[2:3], 1, v[19:20]
	v_xor_b32_e32 v19, 0xffff8000, v142
	s_delay_alu instid0(VALU_DEP_2) | instskip(NEXT) | instid1(VALU_DEP_1)
	v_add_co_u32 v2, s27, s38, v2
	v_add_co_ci_u32_e64 v3, s27, s39, v3, s27
	global_store_b16 v[2:3], v19, off
	s_or_b32 exec_lo, exec_lo, s28
	v_cmp_lt_u32_e64 s27, v61, v0
	s_delay_alu instid0(VALU_DEP_1)
	s_and_saveexec_b32 s29, s27
	s_cbranch_execnz .LBB1022_189
.LBB1022_174:                           ;   in Loop: Header=BB1022_98 Depth=2
	s_or_b32 exec_lo, exec_lo, s29
	v_cmp_lt_u32_e64 s28, v62, v0
	s_delay_alu instid0(VALU_DEP_1)
	s_and_saveexec_b32 s30, s28
	s_cbranch_execz .LBB1022_190
.LBB1022_175:                           ;   in Loop: Header=BB1022_98 Depth=2
	ds_load_u16 v142, v83 offset:6144
	s_waitcnt lgkmcnt(0)
	v_and_b32_e32 v2, 0xffff, v142
	s_delay_alu instid0(VALU_DEP_1) | instskip(NEXT) | instid1(VALU_DEP_1)
	v_lshrrev_b32_e32 v2, s42, v2
	v_and_b32_e32 v2, s43, v2
	s_delay_alu instid0(VALU_DEP_1) | instskip(SKIP_3) | instid1(VALU_DEP_1)
	v_lshlrev_b32_e32 v2, 2, v2
	ds_load_b32 v2, v2
	s_waitcnt lgkmcnt(0)
	v_add_nc_u32_e32 v19, v2, v62
	v_lshlrev_b64 v[2:3], 1, v[19:20]
	v_xor_b32_e32 v19, 0xffff8000, v142
	s_delay_alu instid0(VALU_DEP_2) | instskip(NEXT) | instid1(VALU_DEP_1)
	v_add_co_u32 v2, s29, s38, v2
	v_add_co_ci_u32_e64 v3, s29, s39, v3, s29
	global_store_b16 v[2:3], v19, off
	s_or_b32 exec_lo, exec_lo, s30
	v_cmp_lt_u32_e64 s29, v63, v0
	s_delay_alu instid0(VALU_DEP_1)
	s_and_saveexec_b32 s31, s29
	s_cbranch_execnz .LBB1022_191
.LBB1022_176:                           ;   in Loop: Header=BB1022_98 Depth=2
	s_or_b32 exec_lo, exec_lo, s31
	v_cmp_lt_u32_e64 s30, v64, v0
	s_delay_alu instid0(VALU_DEP_1)
	s_and_saveexec_b32 s33, s30
	s_cbranch_execz .LBB1022_192
.LBB1022_177:                           ;   in Loop: Header=BB1022_98 Depth=2
	ds_load_u16 v142, v83 offset:7168
	s_waitcnt lgkmcnt(0)
	v_and_b32_e32 v2, 0xffff, v142
	s_delay_alu instid0(VALU_DEP_1) | instskip(NEXT) | instid1(VALU_DEP_1)
	v_lshrrev_b32_e32 v2, s42, v2
	v_and_b32_e32 v2, s43, v2
	s_delay_alu instid0(VALU_DEP_1) | instskip(SKIP_3) | instid1(VALU_DEP_1)
	v_lshlrev_b32_e32 v2, 2, v2
	ds_load_b32 v2, v2
	s_waitcnt lgkmcnt(0)
	v_add_nc_u32_e32 v19, v2, v64
	v_lshlrev_b64 v[2:3], 1, v[19:20]
	v_xor_b32_e32 v19, 0xffff8000, v142
	s_delay_alu instid0(VALU_DEP_2) | instskip(NEXT) | instid1(VALU_DEP_1)
	v_add_co_u32 v2, s31, s38, v2
	v_add_co_ci_u32_e64 v3, s31, s39, v3, s31
	global_store_b16 v[2:3], v19, off
	s_or_b32 exec_lo, exec_lo, s33
	v_cmp_lt_u32_e64 s31, v66, v0
	s_delay_alu instid0(VALU_DEP_1)
	s_and_saveexec_b32 s45, s31
	s_cbranch_execnz .LBB1022_193
	s_branch .LBB1022_194
.LBB1022_178:                           ;   in Loop: Header=BB1022_98 Depth=2
	s_or_b32 exec_lo, exec_lo, s17
	v_cmp_lt_u32_e64 s16, v48, v0
	s_delay_alu instid0(VALU_DEP_1)
	s_and_saveexec_b32 s18, s16
	s_cbranch_execz .LBB1022_164
.LBB1022_179:                           ;   in Loop: Header=BB1022_98 Depth=2
	ds_load_u16 v142, v83 offset:512
	s_waitcnt lgkmcnt(0)
	v_and_b32_e32 v2, 0xffff, v142
	s_delay_alu instid0(VALU_DEP_1) | instskip(NEXT) | instid1(VALU_DEP_1)
	v_lshrrev_b32_e32 v2, s42, v2
	v_and_b32_e32 v2, s43, v2
	s_delay_alu instid0(VALU_DEP_1) | instskip(SKIP_3) | instid1(VALU_DEP_1)
	v_lshlrev_b32_e32 v2, 2, v2
	ds_load_b32 v2, v2
	s_waitcnt lgkmcnt(0)
	v_add_nc_u32_e32 v19, v2, v48
	v_lshlrev_b64 v[2:3], 1, v[19:20]
	v_xor_b32_e32 v19, 0xffff8000, v142
	s_delay_alu instid0(VALU_DEP_2) | instskip(NEXT) | instid1(VALU_DEP_1)
	v_add_co_u32 v2, s17, s38, v2
	v_add_co_ci_u32_e64 v3, s17, s39, v3, s17
	global_store_b16 v[2:3], v19, off
	s_or_b32 exec_lo, exec_lo, s18
	v_cmp_lt_u32_e64 s17, v49, v0
	s_delay_alu instid0(VALU_DEP_1)
	s_and_saveexec_b32 s19, s17
	s_cbranch_execnz .LBB1022_165
.LBB1022_180:                           ;   in Loop: Header=BB1022_98 Depth=2
	s_or_b32 exec_lo, exec_lo, s19
	v_cmp_lt_u32_e64 s18, v50, v0
	s_delay_alu instid0(VALU_DEP_1)
	s_and_saveexec_b32 s20, s18
	s_cbranch_execz .LBB1022_166
.LBB1022_181:                           ;   in Loop: Header=BB1022_98 Depth=2
	ds_load_u16 v142, v83 offset:1536
	s_waitcnt lgkmcnt(0)
	v_and_b32_e32 v2, 0xffff, v142
	s_delay_alu instid0(VALU_DEP_1) | instskip(NEXT) | instid1(VALU_DEP_1)
	v_lshrrev_b32_e32 v2, s42, v2
	v_and_b32_e32 v2, s43, v2
	s_delay_alu instid0(VALU_DEP_1) | instskip(SKIP_3) | instid1(VALU_DEP_1)
	v_lshlrev_b32_e32 v2, 2, v2
	ds_load_b32 v2, v2
	s_waitcnt lgkmcnt(0)
	v_add_nc_u32_e32 v19, v2, v50
	v_lshlrev_b64 v[2:3], 1, v[19:20]
	v_xor_b32_e32 v19, 0xffff8000, v142
	s_delay_alu instid0(VALU_DEP_2) | instskip(NEXT) | instid1(VALU_DEP_1)
	v_add_co_u32 v2, s19, s38, v2
	v_add_co_ci_u32_e64 v3, s19, s39, v3, s19
	global_store_b16 v[2:3], v19, off
	s_or_b32 exec_lo, exec_lo, s20
	v_cmp_lt_u32_e64 s19, v54, v0
	s_delay_alu instid0(VALU_DEP_1)
	s_and_saveexec_b32 s21, s19
	s_cbranch_execnz .LBB1022_167
.LBB1022_182:                           ;   in Loop: Header=BB1022_98 Depth=2
	s_or_b32 exec_lo, exec_lo, s21
	v_cmp_lt_u32_e64 s20, v55, v0
	s_delay_alu instid0(VALU_DEP_1)
	s_and_saveexec_b32 s22, s20
	s_cbranch_execz .LBB1022_168
.LBB1022_183:                           ;   in Loop: Header=BB1022_98 Depth=2
	ds_load_u16 v142, v83 offset:2560
	s_waitcnt lgkmcnt(0)
	v_and_b32_e32 v2, 0xffff, v142
	s_delay_alu instid0(VALU_DEP_1) | instskip(NEXT) | instid1(VALU_DEP_1)
	v_lshrrev_b32_e32 v2, s42, v2
	v_and_b32_e32 v2, s43, v2
	s_delay_alu instid0(VALU_DEP_1) | instskip(SKIP_3) | instid1(VALU_DEP_1)
	v_lshlrev_b32_e32 v2, 2, v2
	ds_load_b32 v2, v2
	s_waitcnt lgkmcnt(0)
	v_add_nc_u32_e32 v19, v2, v55
	v_lshlrev_b64 v[2:3], 1, v[19:20]
	v_xor_b32_e32 v19, 0xffff8000, v142
	s_delay_alu instid0(VALU_DEP_2) | instskip(NEXT) | instid1(VALU_DEP_1)
	v_add_co_u32 v2, s21, s38, v2
	v_add_co_ci_u32_e64 v3, s21, s39, v3, s21
	global_store_b16 v[2:3], v19, off
	s_or_b32 exec_lo, exec_lo, s22
	v_cmp_lt_u32_e64 s21, v56, v0
	s_delay_alu instid0(VALU_DEP_1)
	s_and_saveexec_b32 s23, s21
	s_cbranch_execnz .LBB1022_169
.LBB1022_184:                           ;   in Loop: Header=BB1022_98 Depth=2
	s_or_b32 exec_lo, exec_lo, s23
	v_cmp_lt_u32_e64 s22, v57, v0
	s_delay_alu instid0(VALU_DEP_1)
	s_and_saveexec_b32 s24, s22
	s_cbranch_execz .LBB1022_170
.LBB1022_185:                           ;   in Loop: Header=BB1022_98 Depth=2
	ds_load_u16 v142, v83 offset:3584
	s_waitcnt lgkmcnt(0)
	v_and_b32_e32 v2, 0xffff, v142
	s_delay_alu instid0(VALU_DEP_1) | instskip(NEXT) | instid1(VALU_DEP_1)
	v_lshrrev_b32_e32 v2, s42, v2
	v_and_b32_e32 v2, s43, v2
	s_delay_alu instid0(VALU_DEP_1) | instskip(SKIP_3) | instid1(VALU_DEP_1)
	v_lshlrev_b32_e32 v2, 2, v2
	ds_load_b32 v2, v2
	s_waitcnt lgkmcnt(0)
	v_add_nc_u32_e32 v19, v2, v57
	v_lshlrev_b64 v[2:3], 1, v[19:20]
	v_xor_b32_e32 v19, 0xffff8000, v142
	s_delay_alu instid0(VALU_DEP_2) | instskip(NEXT) | instid1(VALU_DEP_1)
	v_add_co_u32 v2, s23, s38, v2
	v_add_co_ci_u32_e64 v3, s23, s39, v3, s23
	global_store_b16 v[2:3], v19, off
	s_or_b32 exec_lo, exec_lo, s24
	v_cmp_lt_u32_e64 s23, v58, v0
	s_delay_alu instid0(VALU_DEP_1)
	s_and_saveexec_b32 s25, s23
	s_cbranch_execnz .LBB1022_171
.LBB1022_186:                           ;   in Loop: Header=BB1022_98 Depth=2
	s_or_b32 exec_lo, exec_lo, s25
	v_cmp_lt_u32_e64 s24, v59, v0
	s_delay_alu instid0(VALU_DEP_1)
	s_and_saveexec_b32 s27, s24
	s_cbranch_execz .LBB1022_172
.LBB1022_187:                           ;   in Loop: Header=BB1022_98 Depth=2
	ds_load_u16 v142, v83 offset:4608
	s_waitcnt lgkmcnt(0)
	v_and_b32_e32 v2, 0xffff, v142
	s_delay_alu instid0(VALU_DEP_1) | instskip(NEXT) | instid1(VALU_DEP_1)
	v_lshrrev_b32_e32 v2, s42, v2
	v_and_b32_e32 v2, s43, v2
	s_delay_alu instid0(VALU_DEP_1) | instskip(SKIP_3) | instid1(VALU_DEP_1)
	v_lshlrev_b32_e32 v2, 2, v2
	ds_load_b32 v2, v2
	s_waitcnt lgkmcnt(0)
	v_add_nc_u32_e32 v19, v2, v59
	v_lshlrev_b64 v[2:3], 1, v[19:20]
	v_xor_b32_e32 v19, 0xffff8000, v142
	s_delay_alu instid0(VALU_DEP_2) | instskip(NEXT) | instid1(VALU_DEP_1)
	v_add_co_u32 v2, s25, s38, v2
	v_add_co_ci_u32_e64 v3, s25, s39, v3, s25
	global_store_b16 v[2:3], v19, off
	s_or_b32 exec_lo, exec_lo, s27
	v_cmp_lt_u32_e64 s25, v60, v0
	s_delay_alu instid0(VALU_DEP_1)
	s_and_saveexec_b32 s28, s25
	s_cbranch_execnz .LBB1022_173
.LBB1022_188:                           ;   in Loop: Header=BB1022_98 Depth=2
	s_or_b32 exec_lo, exec_lo, s28
	v_cmp_lt_u32_e64 s27, v61, v0
	s_delay_alu instid0(VALU_DEP_1)
	s_and_saveexec_b32 s29, s27
	s_cbranch_execz .LBB1022_174
.LBB1022_189:                           ;   in Loop: Header=BB1022_98 Depth=2
	ds_load_u16 v142, v83 offset:5632
	s_waitcnt lgkmcnt(0)
	v_and_b32_e32 v2, 0xffff, v142
	s_delay_alu instid0(VALU_DEP_1) | instskip(NEXT) | instid1(VALU_DEP_1)
	v_lshrrev_b32_e32 v2, s42, v2
	v_and_b32_e32 v2, s43, v2
	s_delay_alu instid0(VALU_DEP_1) | instskip(SKIP_3) | instid1(VALU_DEP_1)
	v_lshlrev_b32_e32 v2, 2, v2
	ds_load_b32 v2, v2
	s_waitcnt lgkmcnt(0)
	v_add_nc_u32_e32 v19, v2, v61
	v_lshlrev_b64 v[2:3], 1, v[19:20]
	v_xor_b32_e32 v19, 0xffff8000, v142
	s_delay_alu instid0(VALU_DEP_2) | instskip(NEXT) | instid1(VALU_DEP_1)
	v_add_co_u32 v2, s28, s38, v2
	v_add_co_ci_u32_e64 v3, s28, s39, v3, s28
	global_store_b16 v[2:3], v19, off
	s_or_b32 exec_lo, exec_lo, s29
	v_cmp_lt_u32_e64 s28, v62, v0
	s_delay_alu instid0(VALU_DEP_1)
	s_and_saveexec_b32 s30, s28
	s_cbranch_execnz .LBB1022_175
.LBB1022_190:                           ;   in Loop: Header=BB1022_98 Depth=2
	s_or_b32 exec_lo, exec_lo, s30
	v_cmp_lt_u32_e64 s29, v63, v0
	s_delay_alu instid0(VALU_DEP_1)
	s_and_saveexec_b32 s31, s29
	s_cbranch_execz .LBB1022_176
.LBB1022_191:                           ;   in Loop: Header=BB1022_98 Depth=2
	ds_load_u16 v142, v83 offset:6656
	s_waitcnt lgkmcnt(0)
	v_and_b32_e32 v2, 0xffff, v142
	s_delay_alu instid0(VALU_DEP_1) | instskip(NEXT) | instid1(VALU_DEP_1)
	v_lshrrev_b32_e32 v2, s42, v2
	v_and_b32_e32 v2, s43, v2
	s_delay_alu instid0(VALU_DEP_1) | instskip(SKIP_3) | instid1(VALU_DEP_1)
	v_lshlrev_b32_e32 v2, 2, v2
	ds_load_b32 v2, v2
	s_waitcnt lgkmcnt(0)
	v_add_nc_u32_e32 v19, v2, v63
	v_lshlrev_b64 v[2:3], 1, v[19:20]
	v_xor_b32_e32 v19, 0xffff8000, v142
	s_delay_alu instid0(VALU_DEP_2) | instskip(NEXT) | instid1(VALU_DEP_1)
	v_add_co_u32 v2, s30, s38, v2
	v_add_co_ci_u32_e64 v3, s30, s39, v3, s30
	global_store_b16 v[2:3], v19, off
	s_or_b32 exec_lo, exec_lo, s31
	v_cmp_lt_u32_e64 s30, v64, v0
	s_delay_alu instid0(VALU_DEP_1)
	s_and_saveexec_b32 s33, s30
	s_cbranch_execnz .LBB1022_177
.LBB1022_192:                           ;   in Loop: Header=BB1022_98 Depth=2
	s_or_b32 exec_lo, exec_lo, s33
	v_cmp_lt_u32_e64 s31, v66, v0
	s_delay_alu instid0(VALU_DEP_1)
	s_and_saveexec_b32 s45, s31
	s_cbranch_execz .LBB1022_194
.LBB1022_193:                           ;   in Loop: Header=BB1022_98 Depth=2
	ds_load_u16 v142, v83 offset:7680
	s_waitcnt lgkmcnt(0)
	v_and_b32_e32 v2, 0xffff, v142
	s_delay_alu instid0(VALU_DEP_1) | instskip(NEXT) | instid1(VALU_DEP_1)
	v_lshrrev_b32_e32 v2, s42, v2
	v_and_b32_e32 v2, s43, v2
	s_delay_alu instid0(VALU_DEP_1) | instskip(SKIP_3) | instid1(VALU_DEP_1)
	v_lshlrev_b32_e32 v2, 2, v2
	ds_load_b32 v2, v2
	s_waitcnt lgkmcnt(0)
	v_add_nc_u32_e32 v19, v2, v66
	v_lshlrev_b64 v[2:3], 1, v[19:20]
	v_xor_b32_e32 v19, 0xffff8000, v142
	s_delay_alu instid0(VALU_DEP_2) | instskip(NEXT) | instid1(VALU_DEP_1)
	v_add_co_u32 v2, s33, s38, v2
	v_add_co_ci_u32_e64 v3, s33, s39, v3, s33
	global_store_b16 v[2:3], v19, off
.LBB1022_194:                           ;   in Loop: Header=BB1022_98 Depth=2
	s_or_b32 exec_lo, exec_lo, s45
	s_lshl_b64 s[46:47], s[34:35], 3
	s_delay_alu instid0(SALU_CYCLE_1) | instskip(NEXT) | instid1(VALU_DEP_1)
	v_add_co_u32 v2, s33, v103, s46
	v_add_co_ci_u32_e64 v3, s33, s47, v104, s33
	v_cmp_lt_u32_e64 s33, v102, v0
	s_delay_alu instid0(VALU_DEP_1) | instskip(NEXT) | instid1(SALU_CYCLE_1)
	s_and_saveexec_b32 s34, s33
	s_xor_b32 s33, exec_lo, s34
	s_cbranch_execz .LBB1022_226
; %bb.195:                              ;   in Loop: Header=BB1022_98 Depth=2
	global_load_b64 v[43:44], v[2:3], off
	s_or_b32 exec_lo, exec_lo, s33
	s_delay_alu instid0(SALU_CYCLE_1)
	s_mov_b32 s34, exec_lo
	v_cmpx_lt_u32_e64 v105, v0
	s_cbranch_execnz .LBB1022_227
.LBB1022_196:                           ;   in Loop: Header=BB1022_98 Depth=2
	s_or_b32 exec_lo, exec_lo, s34
	s_delay_alu instid0(SALU_CYCLE_1)
	s_mov_b32 s34, exec_lo
	v_cmpx_lt_u32_e64 v106, v0
	s_cbranch_execz .LBB1022_228
.LBB1022_197:                           ;   in Loop: Header=BB1022_98 Depth=2
	global_load_b64 v[39:40], v[2:3], off offset:512
	s_or_b32 exec_lo, exec_lo, s34
	s_delay_alu instid0(SALU_CYCLE_1)
	s_mov_b32 s34, exec_lo
	v_cmpx_lt_u32_e64 v107, v0
	s_cbranch_execnz .LBB1022_229
.LBB1022_198:                           ;   in Loop: Header=BB1022_98 Depth=2
	s_or_b32 exec_lo, exec_lo, s34
	s_delay_alu instid0(SALU_CYCLE_1)
	s_mov_b32 s34, exec_lo
	v_cmpx_lt_u32_e64 v108, v0
	s_cbranch_execz .LBB1022_230
.LBB1022_199:                           ;   in Loop: Header=BB1022_98 Depth=2
	global_load_b64 v[35:36], v[2:3], off offset:1024
	s_or_b32 exec_lo, exec_lo, s34
	s_delay_alu instid0(SALU_CYCLE_1)
	s_mov_b32 s34, exec_lo
	v_cmpx_lt_u32_e64 v109, v0
	s_cbranch_execnz .LBB1022_231
.LBB1022_200:                           ;   in Loop: Header=BB1022_98 Depth=2
	s_or_b32 exec_lo, exec_lo, s34
	s_delay_alu instid0(SALU_CYCLE_1)
	s_mov_b32 s34, exec_lo
	v_cmpx_lt_u32_e64 v110, v0
	s_cbranch_execz .LBB1022_232
.LBB1022_201:                           ;   in Loop: Header=BB1022_98 Depth=2
	global_load_b64 v[31:32], v[2:3], off offset:1536
	s_or_b32 exec_lo, exec_lo, s34
	s_delay_alu instid0(SALU_CYCLE_1)
	s_mov_b32 s34, exec_lo
	v_cmpx_lt_u32_e64 v111, v0
	s_cbranch_execnz .LBB1022_233
.LBB1022_202:                           ;   in Loop: Header=BB1022_98 Depth=2
	s_or_b32 exec_lo, exec_lo, s34
	s_delay_alu instid0(SALU_CYCLE_1)
	s_mov_b32 s34, exec_lo
	v_cmpx_lt_u32_e64 v112, v0
	s_cbranch_execz .LBB1022_234
.LBB1022_203:                           ;   in Loop: Header=BB1022_98 Depth=2
	global_load_b64 v[27:28], v[2:3], off offset:2048
	s_or_b32 exec_lo, exec_lo, s34
	s_delay_alu instid0(SALU_CYCLE_1)
	s_mov_b32 s34, exec_lo
	v_cmpx_lt_u32_e64 v113, v0
	s_cbranch_execnz .LBB1022_235
.LBB1022_204:                           ;   in Loop: Header=BB1022_98 Depth=2
	s_or_b32 exec_lo, exec_lo, s34
	s_delay_alu instid0(SALU_CYCLE_1)
	s_mov_b32 s34, exec_lo
	v_cmpx_lt_u32_e64 v114, v0
	s_cbranch_execz .LBB1022_236
.LBB1022_205:                           ;   in Loop: Header=BB1022_98 Depth=2
	global_load_b64 v[23:24], v[2:3], off offset:2560
	s_or_b32 exec_lo, exec_lo, s34
	s_delay_alu instid0(SALU_CYCLE_1)
	s_mov_b32 s34, exec_lo
	v_cmpx_lt_u32_e64 v115, v0
	s_cbranch_execnz .LBB1022_237
.LBB1022_206:                           ;   in Loop: Header=BB1022_98 Depth=2
	s_or_b32 exec_lo, exec_lo, s34
	s_delay_alu instid0(SALU_CYCLE_1)
	s_mov_b32 s34, exec_lo
	v_cmpx_lt_u32_e64 v116, v0
	s_cbranch_execz .LBB1022_238
.LBB1022_207:                           ;   in Loop: Header=BB1022_98 Depth=2
	global_load_b64 v[16:17], v[2:3], off offset:3072
	s_or_b32 exec_lo, exec_lo, s34
	s_delay_alu instid0(SALU_CYCLE_1)
	s_mov_b32 s34, exec_lo
	v_cmpx_lt_u32_e64 v117, v0
	s_cbranch_execnz .LBB1022_239
.LBB1022_208:                           ;   in Loop: Header=BB1022_98 Depth=2
	s_or_b32 exec_lo, exec_lo, s34
	s_delay_alu instid0(SALU_CYCLE_1)
	s_mov_b32 s34, exec_lo
	v_cmpx_lt_u32_e64 v118, v0
	s_cbranch_execz .LBB1022_240
.LBB1022_209:                           ;   in Loop: Header=BB1022_98 Depth=2
	global_load_b64 v[12:13], v[2:3], off offset:3584
	s_or_b32 exec_lo, exec_lo, s34
	s_delay_alu instid0(SALU_CYCLE_1)
	s_mov_b32 s34, exec_lo
	v_cmpx_lt_u32_e64 v119, v0
	s_cbranch_execnz .LBB1022_241
.LBB1022_210:                           ;   in Loop: Header=BB1022_98 Depth=2
	s_or_b32 exec_lo, exec_lo, s34
	s_and_saveexec_b32 s33, vcc_lo
	s_cbranch_execz .LBB1022_242
.LBB1022_211:                           ;   in Loop: Header=BB1022_98 Depth=2
	v_add_nc_u32_e32 v0, v76, v82
	ds_load_u16 v0, v0 offset:1024
	s_waitcnt lgkmcnt(0)
	v_lshrrev_b32_e32 v0, s42, v0
	s_delay_alu instid0(VALU_DEP_1)
	v_and_b32_e32 v140, s43, v0
	s_or_b32 exec_lo, exec_lo, s33
	s_and_saveexec_b32 s33, s16
	s_cbranch_execnz .LBB1022_243
.LBB1022_212:                           ;   in Loop: Header=BB1022_98 Depth=2
	s_or_b32 exec_lo, exec_lo, s33
	s_and_saveexec_b32 s33, s17
	s_cbranch_execz .LBB1022_244
.LBB1022_213:                           ;   in Loop: Header=BB1022_98 Depth=2
	ds_load_u16 v0, v83 offset:1024
	s_waitcnt lgkmcnt(0)
	v_lshrrev_b32_e32 v0, s42, v0
	s_delay_alu instid0(VALU_DEP_1)
	v_and_b32_e32 v138, s43, v0
	s_or_b32 exec_lo, exec_lo, s33
	s_and_saveexec_b32 s33, s18
	s_cbranch_execnz .LBB1022_245
.LBB1022_214:                           ;   in Loop: Header=BB1022_98 Depth=2
	s_or_b32 exec_lo, exec_lo, s33
	s_and_saveexec_b32 s33, s19
	s_cbranch_execz .LBB1022_246
.LBB1022_215:                           ;   in Loop: Header=BB1022_98 Depth=2
	ds_load_u16 v0, v83 offset:2048
	s_waitcnt lgkmcnt(0)
	v_lshrrev_b32_e32 v0, s42, v0
	s_delay_alu instid0(VALU_DEP_1)
	v_and_b32_e32 v136, s43, v0
	s_or_b32 exec_lo, exec_lo, s33
	s_and_saveexec_b32 s33, s20
	s_cbranch_execnz .LBB1022_247
.LBB1022_216:                           ;   in Loop: Header=BB1022_98 Depth=2
	s_or_b32 exec_lo, exec_lo, s33
	s_and_saveexec_b32 s33, s21
	s_cbranch_execz .LBB1022_248
.LBB1022_217:                           ;   in Loop: Header=BB1022_98 Depth=2
	ds_load_u16 v0, v83 offset:3072
	s_waitcnt lgkmcnt(0)
	v_lshrrev_b32_e32 v0, s42, v0
	s_delay_alu instid0(VALU_DEP_1)
	v_and_b32_e32 v134, s43, v0
	s_or_b32 exec_lo, exec_lo, s33
	s_and_saveexec_b32 s33, s22
	s_cbranch_execnz .LBB1022_249
.LBB1022_218:                           ;   in Loop: Header=BB1022_98 Depth=2
	s_or_b32 exec_lo, exec_lo, s33
	s_and_saveexec_b32 s33, s23
	s_cbranch_execz .LBB1022_250
.LBB1022_219:                           ;   in Loop: Header=BB1022_98 Depth=2
	ds_load_u16 v0, v83 offset:4096
	s_waitcnt lgkmcnt(0)
	v_lshrrev_b32_e32 v0, s42, v0
	s_delay_alu instid0(VALU_DEP_1)
	v_and_b32_e32 v132, s43, v0
	s_or_b32 exec_lo, exec_lo, s33
	s_and_saveexec_b32 s33, s24
	s_cbranch_execnz .LBB1022_251
.LBB1022_220:                           ;   in Loop: Header=BB1022_98 Depth=2
	s_or_b32 exec_lo, exec_lo, s33
	s_and_saveexec_b32 s33, s25
	s_cbranch_execz .LBB1022_252
.LBB1022_221:                           ;   in Loop: Header=BB1022_98 Depth=2
	ds_load_u16 v0, v83 offset:5120
	s_waitcnt lgkmcnt(0)
	v_lshrrev_b32_e32 v0, s42, v0
	s_delay_alu instid0(VALU_DEP_1)
	v_and_b32_e32 v130, s43, v0
	s_or_b32 exec_lo, exec_lo, s33
	s_and_saveexec_b32 s33, s27
	s_cbranch_execnz .LBB1022_253
.LBB1022_222:                           ;   in Loop: Header=BB1022_98 Depth=2
	s_or_b32 exec_lo, exec_lo, s33
	s_and_saveexec_b32 s33, s28
	s_cbranch_execz .LBB1022_254
.LBB1022_223:                           ;   in Loop: Header=BB1022_98 Depth=2
	ds_load_u16 v0, v83 offset:6144
	s_waitcnt lgkmcnt(0)
	v_lshrrev_b32_e32 v0, s42, v0
	s_delay_alu instid0(VALU_DEP_1)
	v_and_b32_e32 v128, s43, v0
	s_or_b32 exec_lo, exec_lo, s33
	s_and_saveexec_b32 s33, s29
	s_cbranch_execnz .LBB1022_255
.LBB1022_224:                           ;   in Loop: Header=BB1022_98 Depth=2
	s_or_b32 exec_lo, exec_lo, s33
	s_and_saveexec_b32 s33, s30
	s_cbranch_execz .LBB1022_256
.LBB1022_225:                           ;   in Loop: Header=BB1022_98 Depth=2
	ds_load_u16 v0, v83 offset:7168
	s_waitcnt lgkmcnt(0)
	v_lshrrev_b32_e32 v0, s42, v0
	s_delay_alu instid0(VALU_DEP_1)
	v_and_b32_e32 v126, s43, v0
	s_or_b32 exec_lo, exec_lo, s33
	s_and_saveexec_b32 s33, s31
	s_cbranch_execnz .LBB1022_257
	s_branch .LBB1022_258
.LBB1022_226:                           ;   in Loop: Header=BB1022_98 Depth=2
	s_or_b32 exec_lo, exec_lo, s33
	s_delay_alu instid0(SALU_CYCLE_1)
	s_mov_b32 s34, exec_lo
	v_cmpx_lt_u32_e64 v105, v0
	s_cbranch_execz .LBB1022_196
.LBB1022_227:                           ;   in Loop: Header=BB1022_98 Depth=2
	global_load_b64 v[41:42], v[2:3], off offset:256
	s_or_b32 exec_lo, exec_lo, s34
	s_delay_alu instid0(SALU_CYCLE_1)
	s_mov_b32 s34, exec_lo
	v_cmpx_lt_u32_e64 v106, v0
	s_cbranch_execnz .LBB1022_197
.LBB1022_228:                           ;   in Loop: Header=BB1022_98 Depth=2
	s_or_b32 exec_lo, exec_lo, s34
	s_delay_alu instid0(SALU_CYCLE_1)
	s_mov_b32 s34, exec_lo
	v_cmpx_lt_u32_e64 v107, v0
	s_cbranch_execz .LBB1022_198
.LBB1022_229:                           ;   in Loop: Header=BB1022_98 Depth=2
	global_load_b64 v[37:38], v[2:3], off offset:768
	s_or_b32 exec_lo, exec_lo, s34
	s_delay_alu instid0(SALU_CYCLE_1)
	s_mov_b32 s34, exec_lo
	v_cmpx_lt_u32_e64 v108, v0
	s_cbranch_execnz .LBB1022_199
.LBB1022_230:                           ;   in Loop: Header=BB1022_98 Depth=2
	s_or_b32 exec_lo, exec_lo, s34
	s_delay_alu instid0(SALU_CYCLE_1)
	s_mov_b32 s34, exec_lo
	v_cmpx_lt_u32_e64 v109, v0
	s_cbranch_execz .LBB1022_200
.LBB1022_231:                           ;   in Loop: Header=BB1022_98 Depth=2
	global_load_b64 v[33:34], v[2:3], off offset:1280
	s_or_b32 exec_lo, exec_lo, s34
	s_delay_alu instid0(SALU_CYCLE_1)
	s_mov_b32 s34, exec_lo
	v_cmpx_lt_u32_e64 v110, v0
	s_cbranch_execnz .LBB1022_201
.LBB1022_232:                           ;   in Loop: Header=BB1022_98 Depth=2
	s_or_b32 exec_lo, exec_lo, s34
	s_delay_alu instid0(SALU_CYCLE_1)
	s_mov_b32 s34, exec_lo
	v_cmpx_lt_u32_e64 v111, v0
	s_cbranch_execz .LBB1022_202
.LBB1022_233:                           ;   in Loop: Header=BB1022_98 Depth=2
	global_load_b64 v[29:30], v[2:3], off offset:1792
	s_or_b32 exec_lo, exec_lo, s34
	s_delay_alu instid0(SALU_CYCLE_1)
	s_mov_b32 s34, exec_lo
	v_cmpx_lt_u32_e64 v112, v0
	s_cbranch_execnz .LBB1022_203
.LBB1022_234:                           ;   in Loop: Header=BB1022_98 Depth=2
	s_or_b32 exec_lo, exec_lo, s34
	s_delay_alu instid0(SALU_CYCLE_1)
	s_mov_b32 s34, exec_lo
	v_cmpx_lt_u32_e64 v113, v0
	s_cbranch_execz .LBB1022_204
.LBB1022_235:                           ;   in Loop: Header=BB1022_98 Depth=2
	global_load_b64 v[25:26], v[2:3], off offset:2304
	s_or_b32 exec_lo, exec_lo, s34
	s_delay_alu instid0(SALU_CYCLE_1)
	s_mov_b32 s34, exec_lo
	v_cmpx_lt_u32_e64 v114, v0
	s_cbranch_execnz .LBB1022_205
.LBB1022_236:                           ;   in Loop: Header=BB1022_98 Depth=2
	s_or_b32 exec_lo, exec_lo, s34
	s_delay_alu instid0(SALU_CYCLE_1)
	s_mov_b32 s34, exec_lo
	v_cmpx_lt_u32_e64 v115, v0
	s_cbranch_execz .LBB1022_206
.LBB1022_237:                           ;   in Loop: Header=BB1022_98 Depth=2
	global_load_b64 v[21:22], v[2:3], off offset:2816
	s_or_b32 exec_lo, exec_lo, s34
	s_delay_alu instid0(SALU_CYCLE_1)
	s_mov_b32 s34, exec_lo
	v_cmpx_lt_u32_e64 v116, v0
	s_cbranch_execnz .LBB1022_207
.LBB1022_238:                           ;   in Loop: Header=BB1022_98 Depth=2
	s_or_b32 exec_lo, exec_lo, s34
	s_delay_alu instid0(SALU_CYCLE_1)
	s_mov_b32 s34, exec_lo
	v_cmpx_lt_u32_e64 v117, v0
	s_cbranch_execz .LBB1022_208
.LBB1022_239:                           ;   in Loop: Header=BB1022_98 Depth=2
	global_load_b64 v[14:15], v[2:3], off offset:3328
	s_or_b32 exec_lo, exec_lo, s34
	s_delay_alu instid0(SALU_CYCLE_1)
	s_mov_b32 s34, exec_lo
	v_cmpx_lt_u32_e64 v118, v0
	s_cbranch_execnz .LBB1022_209
.LBB1022_240:                           ;   in Loop: Header=BB1022_98 Depth=2
	s_or_b32 exec_lo, exec_lo, s34
	s_delay_alu instid0(SALU_CYCLE_1)
	s_mov_b32 s34, exec_lo
	v_cmpx_lt_u32_e64 v119, v0
	s_cbranch_execz .LBB1022_210
.LBB1022_241:                           ;   in Loop: Header=BB1022_98 Depth=2
	global_load_b64 v[10:11], v[2:3], off offset:3840
	s_or_b32 exec_lo, exec_lo, s34
	s_and_saveexec_b32 s33, vcc_lo
	s_cbranch_execnz .LBB1022_211
.LBB1022_242:                           ;   in Loop: Header=BB1022_98 Depth=2
	s_or_b32 exec_lo, exec_lo, s33
	s_and_saveexec_b32 s33, s16
	s_cbranch_execz .LBB1022_212
.LBB1022_243:                           ;   in Loop: Header=BB1022_98 Depth=2
	ds_load_u16 v0, v83 offset:512
	s_waitcnt lgkmcnt(0)
	v_lshrrev_b32_e32 v0, s42, v0
	s_delay_alu instid0(VALU_DEP_1)
	v_and_b32_e32 v139, s43, v0
	s_or_b32 exec_lo, exec_lo, s33
	s_and_saveexec_b32 s33, s17
	s_cbranch_execnz .LBB1022_213
.LBB1022_244:                           ;   in Loop: Header=BB1022_98 Depth=2
	s_or_b32 exec_lo, exec_lo, s33
	s_and_saveexec_b32 s33, s18
	s_cbranch_execz .LBB1022_214
.LBB1022_245:                           ;   in Loop: Header=BB1022_98 Depth=2
	ds_load_u16 v0, v83 offset:1536
	s_waitcnt lgkmcnt(0)
	v_lshrrev_b32_e32 v0, s42, v0
	s_delay_alu instid0(VALU_DEP_1)
	v_and_b32_e32 v137, s43, v0
	s_or_b32 exec_lo, exec_lo, s33
	s_and_saveexec_b32 s33, s19
	s_cbranch_execnz .LBB1022_215
.LBB1022_246:                           ;   in Loop: Header=BB1022_98 Depth=2
	s_or_b32 exec_lo, exec_lo, s33
	s_and_saveexec_b32 s33, s20
	s_cbranch_execz .LBB1022_216
.LBB1022_247:                           ;   in Loop: Header=BB1022_98 Depth=2
	ds_load_u16 v0, v83 offset:2560
	s_waitcnt lgkmcnt(0)
	v_lshrrev_b32_e32 v0, s42, v0
	s_delay_alu instid0(VALU_DEP_1)
	v_and_b32_e32 v135, s43, v0
	s_or_b32 exec_lo, exec_lo, s33
	s_and_saveexec_b32 s33, s21
	s_cbranch_execnz .LBB1022_217
.LBB1022_248:                           ;   in Loop: Header=BB1022_98 Depth=2
	s_or_b32 exec_lo, exec_lo, s33
	s_and_saveexec_b32 s33, s22
	s_cbranch_execz .LBB1022_218
.LBB1022_249:                           ;   in Loop: Header=BB1022_98 Depth=2
	ds_load_u16 v0, v83 offset:3584
	s_waitcnt lgkmcnt(0)
	v_lshrrev_b32_e32 v0, s42, v0
	s_delay_alu instid0(VALU_DEP_1)
	v_and_b32_e32 v133, s43, v0
	s_or_b32 exec_lo, exec_lo, s33
	s_and_saveexec_b32 s33, s23
	s_cbranch_execnz .LBB1022_219
.LBB1022_250:                           ;   in Loop: Header=BB1022_98 Depth=2
	s_or_b32 exec_lo, exec_lo, s33
	s_and_saveexec_b32 s33, s24
	s_cbranch_execz .LBB1022_220
.LBB1022_251:                           ;   in Loop: Header=BB1022_98 Depth=2
	ds_load_u16 v0, v83 offset:4608
	s_waitcnt lgkmcnt(0)
	v_lshrrev_b32_e32 v0, s42, v0
	s_delay_alu instid0(VALU_DEP_1)
	v_and_b32_e32 v131, s43, v0
	s_or_b32 exec_lo, exec_lo, s33
	s_and_saveexec_b32 s33, s25
	s_cbranch_execnz .LBB1022_221
.LBB1022_252:                           ;   in Loop: Header=BB1022_98 Depth=2
	s_or_b32 exec_lo, exec_lo, s33
	s_and_saveexec_b32 s33, s27
	s_cbranch_execz .LBB1022_222
.LBB1022_253:                           ;   in Loop: Header=BB1022_98 Depth=2
	ds_load_u16 v0, v83 offset:5632
	s_waitcnt lgkmcnt(0)
	v_lshrrev_b32_e32 v0, s42, v0
	s_delay_alu instid0(VALU_DEP_1)
	v_and_b32_e32 v129, s43, v0
	s_or_b32 exec_lo, exec_lo, s33
	s_and_saveexec_b32 s33, s28
	s_cbranch_execnz .LBB1022_223
.LBB1022_254:                           ;   in Loop: Header=BB1022_98 Depth=2
	s_or_b32 exec_lo, exec_lo, s33
	s_and_saveexec_b32 s33, s29
	s_cbranch_execz .LBB1022_224
.LBB1022_255:                           ;   in Loop: Header=BB1022_98 Depth=2
	ds_load_u16 v0, v83 offset:6656
	s_waitcnt lgkmcnt(0)
	v_lshrrev_b32_e32 v0, s42, v0
	s_delay_alu instid0(VALU_DEP_1)
	v_and_b32_e32 v127, s43, v0
	s_or_b32 exec_lo, exec_lo, s33
	s_and_saveexec_b32 s33, s30
	s_cbranch_execnz .LBB1022_225
.LBB1022_256:                           ;   in Loop: Header=BB1022_98 Depth=2
	s_or_b32 exec_lo, exec_lo, s33
	s_and_saveexec_b32 s33, s31
	s_cbranch_execz .LBB1022_258
.LBB1022_257:                           ;   in Loop: Header=BB1022_98 Depth=2
	ds_load_u16 v0, v83 offset:7680
	s_waitcnt lgkmcnt(0)
	v_lshrrev_b32_e32 v0, s42, v0
	s_delay_alu instid0(VALU_DEP_1)
	v_and_b32_e32 v125, s43, v0
.LBB1022_258:                           ;   in Loop: Header=BB1022_98 Depth=2
	s_or_b32 exec_lo, exec_lo, s33
	v_lshlrev_b32_e32 v0, 3, v159
	v_lshlrev_b32_e32 v2, 3, v155
	s_waitcnt vmcnt(0)
	s_waitcnt_vscnt null, 0x0
	s_barrier
	buffer_gl0_inv
	ds_store_b64 v0, v[43:44] offset:1024
	v_lshlrev_b32_e32 v0, 3, v151
	v_lshlrev_b32_e32 v3, 3, v150
	;; [unrolled: 1-line block ×4, first 2 shown]
	ds_store_b64 v2, v[41:42] offset:1024
	ds_store_b64 v0, v[39:40] offset:1024
	;; [unrolled: 1-line block ×5, first 2 shown]
	v_lshlrev_b32_e32 v0, 3, v146
	v_lshlrev_b32_e32 v2, 3, v145
	;; [unrolled: 1-line block ×5, first 2 shown]
	ds_store_b64 v0, v[31:32] offset:1024
	ds_store_b64 v2, v[29:30] offset:1024
	;; [unrolled: 1-line block ×5, first 2 shown]
	v_lshlrev_b32_e32 v0, 3, v6
	v_lshlrev_b32_e32 v2, 3, v5
	;; [unrolled: 1-line block ×5, first 2 shown]
	ds_store_b64 v0, v[21:22] offset:1024
	ds_store_b64 v2, v[16:17] offset:1024
	;; [unrolled: 1-line block ×5, first 2 shown]
	s_waitcnt lgkmcnt(0)
	s_barrier
	buffer_gl0_inv
	s_and_saveexec_b32 s33, vcc_lo
	s_cbranch_execz .LBB1022_274
; %bb.259:                              ;   in Loop: Header=BB1022_98 Depth=2
	v_lshlrev_b32_e32 v0, 2, v140
	ds_load_b32 v0, v0
	ds_load_b64 v[2:3], v84 offset:1024
	s_waitcnt lgkmcnt(1)
	v_add_nc_u32_e32 v19, v0, v18
	s_delay_alu instid0(VALU_DEP_1) | instskip(NEXT) | instid1(VALU_DEP_1)
	v_lshlrev_b64 v[5:6], 3, v[19:20]
	v_add_co_u32 v5, vcc_lo, s52, v5
	s_delay_alu instid0(VALU_DEP_2)
	v_add_co_ci_u32_e32 v6, vcc_lo, s53, v6, vcc_lo
	s_waitcnt lgkmcnt(0)
	global_store_b64 v[5:6], v[2:3], off
	s_or_b32 exec_lo, exec_lo, s33
	s_and_saveexec_b32 s33, s16
	s_cbranch_execnz .LBB1022_275
.LBB1022_260:                           ;   in Loop: Header=BB1022_98 Depth=2
	s_or_b32 exec_lo, exec_lo, s33
	s_and_saveexec_b32 s16, s17
	s_cbranch_execz .LBB1022_276
.LBB1022_261:                           ;   in Loop: Header=BB1022_98 Depth=2
	v_lshlrev_b32_e32 v0, 2, v138
	v_add_nc_u32_e32 v2, v83, v85
	ds_load_b32 v0, v0
	ds_load_b64 v[2:3], v2 offset:4096
	s_waitcnt lgkmcnt(1)
	v_add_nc_u32_e32 v19, v0, v49
	s_delay_alu instid0(VALU_DEP_1) | instskip(NEXT) | instid1(VALU_DEP_1)
	v_lshlrev_b64 v[5:6], 3, v[19:20]
	v_add_co_u32 v5, vcc_lo, s52, v5
	s_delay_alu instid0(VALU_DEP_2)
	v_add_co_ci_u32_e32 v6, vcc_lo, s53, v6, vcc_lo
	s_waitcnt lgkmcnt(0)
	global_store_b64 v[5:6], v[2:3], off
	s_or_b32 exec_lo, exec_lo, s16
	s_and_saveexec_b32 s16, s18
	s_cbranch_execnz .LBB1022_277
.LBB1022_262:                           ;   in Loop: Header=BB1022_98 Depth=2
	s_or_b32 exec_lo, exec_lo, s16
	s_and_saveexec_b32 s16, s19
	s_cbranch_execz .LBB1022_278
.LBB1022_263:                           ;   in Loop: Header=BB1022_98 Depth=2
	v_lshlrev_b32_e32 v0, 2, v136
	v_add_nc_u32_e32 v2, v83, v85
	ds_load_b32 v0, v0
	ds_load_b64 v[2:3], v2 offset:8192
	s_waitcnt lgkmcnt(1)
	v_add_nc_u32_e32 v19, v0, v54
	s_delay_alu instid0(VALU_DEP_1) | instskip(NEXT) | instid1(VALU_DEP_1)
	v_lshlrev_b64 v[5:6], 3, v[19:20]
	v_add_co_u32 v5, vcc_lo, s52, v5
	s_delay_alu instid0(VALU_DEP_2)
	v_add_co_ci_u32_e32 v6, vcc_lo, s53, v6, vcc_lo
	s_waitcnt lgkmcnt(0)
	global_store_b64 v[5:6], v[2:3], off
	s_or_b32 exec_lo, exec_lo, s16
	s_and_saveexec_b32 s16, s20
	s_cbranch_execnz .LBB1022_279
.LBB1022_264:                           ;   in Loop: Header=BB1022_98 Depth=2
	s_or_b32 exec_lo, exec_lo, s16
	s_and_saveexec_b32 s16, s21
	s_cbranch_execz .LBB1022_280
.LBB1022_265:                           ;   in Loop: Header=BB1022_98 Depth=2
	v_lshlrev_b32_e32 v0, 2, v134
	v_add_nc_u32_e32 v2, v83, v85
	ds_load_b32 v0, v0
	ds_load_b64 v[2:3], v2 offset:12288
	s_waitcnt lgkmcnt(1)
	v_add_nc_u32_e32 v19, v0, v56
	s_delay_alu instid0(VALU_DEP_1) | instskip(NEXT) | instid1(VALU_DEP_1)
	v_lshlrev_b64 v[5:6], 3, v[19:20]
	v_add_co_u32 v5, vcc_lo, s52, v5
	s_delay_alu instid0(VALU_DEP_2)
	v_add_co_ci_u32_e32 v6, vcc_lo, s53, v6, vcc_lo
	s_waitcnt lgkmcnt(0)
	global_store_b64 v[5:6], v[2:3], off
	s_or_b32 exec_lo, exec_lo, s16
	s_and_saveexec_b32 s16, s22
	s_cbranch_execnz .LBB1022_281
.LBB1022_266:                           ;   in Loop: Header=BB1022_98 Depth=2
	s_or_b32 exec_lo, exec_lo, s16
	s_and_saveexec_b32 s16, s23
	s_cbranch_execz .LBB1022_282
.LBB1022_267:                           ;   in Loop: Header=BB1022_98 Depth=2
	v_lshlrev_b32_e32 v0, 2, v132
	v_add_nc_u32_e32 v2, v83, v85
	ds_load_b32 v0, v0
	ds_load_b64 v[2:3], v2 offset:16384
	s_waitcnt lgkmcnt(1)
	v_add_nc_u32_e32 v19, v0, v58
	s_delay_alu instid0(VALU_DEP_1) | instskip(NEXT) | instid1(VALU_DEP_1)
	v_lshlrev_b64 v[5:6], 3, v[19:20]
	v_add_co_u32 v5, vcc_lo, s52, v5
	s_delay_alu instid0(VALU_DEP_2)
	v_add_co_ci_u32_e32 v6, vcc_lo, s53, v6, vcc_lo
	s_waitcnt lgkmcnt(0)
	global_store_b64 v[5:6], v[2:3], off
	s_or_b32 exec_lo, exec_lo, s16
	s_and_saveexec_b32 s16, s24
	s_cbranch_execnz .LBB1022_283
.LBB1022_268:                           ;   in Loop: Header=BB1022_98 Depth=2
	s_or_b32 exec_lo, exec_lo, s16
	s_and_saveexec_b32 s16, s25
	s_cbranch_execz .LBB1022_284
.LBB1022_269:                           ;   in Loop: Header=BB1022_98 Depth=2
	v_lshlrev_b32_e32 v0, 2, v130
	v_add_nc_u32_e32 v2, v83, v85
	ds_load_b32 v0, v0
	ds_load_b64 v[2:3], v2 offset:20480
	s_waitcnt lgkmcnt(1)
	v_add_nc_u32_e32 v19, v0, v60
	s_delay_alu instid0(VALU_DEP_1) | instskip(NEXT) | instid1(VALU_DEP_1)
	v_lshlrev_b64 v[5:6], 3, v[19:20]
	v_add_co_u32 v5, vcc_lo, s52, v5
	s_delay_alu instid0(VALU_DEP_2)
	v_add_co_ci_u32_e32 v6, vcc_lo, s53, v6, vcc_lo
	s_waitcnt lgkmcnt(0)
	global_store_b64 v[5:6], v[2:3], off
	s_or_b32 exec_lo, exec_lo, s16
	s_and_saveexec_b32 s16, s27
	s_cbranch_execnz .LBB1022_285
.LBB1022_270:                           ;   in Loop: Header=BB1022_98 Depth=2
	s_or_b32 exec_lo, exec_lo, s16
	s_and_saveexec_b32 s16, s28
	s_cbranch_execz .LBB1022_286
.LBB1022_271:                           ;   in Loop: Header=BB1022_98 Depth=2
	v_lshlrev_b32_e32 v0, 2, v128
	v_add_nc_u32_e32 v2, v83, v85
	ds_load_b32 v0, v0
	ds_load_b64 v[2:3], v2 offset:24576
	s_waitcnt lgkmcnt(1)
	v_add_nc_u32_e32 v19, v0, v62
	s_delay_alu instid0(VALU_DEP_1) | instskip(NEXT) | instid1(VALU_DEP_1)
	v_lshlrev_b64 v[5:6], 3, v[19:20]
	v_add_co_u32 v5, vcc_lo, s52, v5
	s_delay_alu instid0(VALU_DEP_2)
	v_add_co_ci_u32_e32 v6, vcc_lo, s53, v6, vcc_lo
	s_waitcnt lgkmcnt(0)
	global_store_b64 v[5:6], v[2:3], off
	s_or_b32 exec_lo, exec_lo, s16
	s_and_saveexec_b32 s16, s29
	s_cbranch_execnz .LBB1022_287
.LBB1022_272:                           ;   in Loop: Header=BB1022_98 Depth=2
	s_or_b32 exec_lo, exec_lo, s16
	s_and_saveexec_b32 s16, s30
	s_cbranch_execz .LBB1022_288
.LBB1022_273:                           ;   in Loop: Header=BB1022_98 Depth=2
	v_lshlrev_b32_e32 v0, 2, v126
	v_add_nc_u32_e32 v2, v83, v85
	ds_load_b32 v0, v0
	ds_load_b64 v[2:3], v2 offset:28672
	s_waitcnt lgkmcnt(1)
	v_add_nc_u32_e32 v19, v0, v64
	s_delay_alu instid0(VALU_DEP_1) | instskip(NEXT) | instid1(VALU_DEP_1)
	v_lshlrev_b64 v[5:6], 3, v[19:20]
	v_add_co_u32 v5, vcc_lo, s52, v5
	s_delay_alu instid0(VALU_DEP_2)
	v_add_co_ci_u32_e32 v6, vcc_lo, s53, v6, vcc_lo
	s_waitcnt lgkmcnt(0)
	global_store_b64 v[5:6], v[2:3], off
	s_or_b32 exec_lo, exec_lo, s16
	s_and_saveexec_b32 s16, s31
	s_cbranch_execnz .LBB1022_289
	s_branch .LBB1022_290
.LBB1022_274:                           ;   in Loop: Header=BB1022_98 Depth=2
	s_or_b32 exec_lo, exec_lo, s33
	s_and_saveexec_b32 s33, s16
	s_cbranch_execz .LBB1022_260
.LBB1022_275:                           ;   in Loop: Header=BB1022_98 Depth=2
	v_lshlrev_b32_e32 v0, 2, v139
	v_add_nc_u32_e32 v2, v83, v85
	ds_load_b32 v0, v0
	ds_load_b64 v[2:3], v2 offset:2048
	s_waitcnt lgkmcnt(1)
	v_add_nc_u32_e32 v19, v0, v48
	s_delay_alu instid0(VALU_DEP_1) | instskip(NEXT) | instid1(VALU_DEP_1)
	v_lshlrev_b64 v[5:6], 3, v[19:20]
	v_add_co_u32 v5, vcc_lo, s52, v5
	s_delay_alu instid0(VALU_DEP_2)
	v_add_co_ci_u32_e32 v6, vcc_lo, s53, v6, vcc_lo
	s_waitcnt lgkmcnt(0)
	global_store_b64 v[5:6], v[2:3], off
	s_or_b32 exec_lo, exec_lo, s33
	s_and_saveexec_b32 s16, s17
	s_cbranch_execnz .LBB1022_261
.LBB1022_276:                           ;   in Loop: Header=BB1022_98 Depth=2
	s_or_b32 exec_lo, exec_lo, s16
	s_and_saveexec_b32 s16, s18
	s_cbranch_execz .LBB1022_262
.LBB1022_277:                           ;   in Loop: Header=BB1022_98 Depth=2
	v_lshlrev_b32_e32 v0, 2, v137
	v_add_nc_u32_e32 v2, v83, v85
	ds_load_b32 v0, v0
	ds_load_b64 v[2:3], v2 offset:6144
	s_waitcnt lgkmcnt(1)
	v_add_nc_u32_e32 v19, v0, v50
	s_delay_alu instid0(VALU_DEP_1) | instskip(NEXT) | instid1(VALU_DEP_1)
	v_lshlrev_b64 v[5:6], 3, v[19:20]
	v_add_co_u32 v5, vcc_lo, s52, v5
	s_delay_alu instid0(VALU_DEP_2)
	v_add_co_ci_u32_e32 v6, vcc_lo, s53, v6, vcc_lo
	s_waitcnt lgkmcnt(0)
	global_store_b64 v[5:6], v[2:3], off
	s_or_b32 exec_lo, exec_lo, s16
	s_and_saveexec_b32 s16, s19
	s_cbranch_execnz .LBB1022_263
.LBB1022_278:                           ;   in Loop: Header=BB1022_98 Depth=2
	s_or_b32 exec_lo, exec_lo, s16
	s_and_saveexec_b32 s16, s20
	s_cbranch_execz .LBB1022_264
.LBB1022_279:                           ;   in Loop: Header=BB1022_98 Depth=2
	v_lshlrev_b32_e32 v0, 2, v135
	v_add_nc_u32_e32 v2, v83, v85
	ds_load_b32 v0, v0
	ds_load_b64 v[2:3], v2 offset:10240
	s_waitcnt lgkmcnt(1)
	v_add_nc_u32_e32 v19, v0, v55
	s_delay_alu instid0(VALU_DEP_1) | instskip(NEXT) | instid1(VALU_DEP_1)
	v_lshlrev_b64 v[5:6], 3, v[19:20]
	v_add_co_u32 v5, vcc_lo, s52, v5
	s_delay_alu instid0(VALU_DEP_2)
	v_add_co_ci_u32_e32 v6, vcc_lo, s53, v6, vcc_lo
	s_waitcnt lgkmcnt(0)
	global_store_b64 v[5:6], v[2:3], off
	s_or_b32 exec_lo, exec_lo, s16
	s_and_saveexec_b32 s16, s21
	s_cbranch_execnz .LBB1022_265
.LBB1022_280:                           ;   in Loop: Header=BB1022_98 Depth=2
	s_or_b32 exec_lo, exec_lo, s16
	s_and_saveexec_b32 s16, s22
	s_cbranch_execz .LBB1022_266
.LBB1022_281:                           ;   in Loop: Header=BB1022_98 Depth=2
	v_lshlrev_b32_e32 v0, 2, v133
	v_add_nc_u32_e32 v2, v83, v85
	ds_load_b32 v0, v0
	ds_load_b64 v[2:3], v2 offset:14336
	s_waitcnt lgkmcnt(1)
	v_add_nc_u32_e32 v19, v0, v57
	s_delay_alu instid0(VALU_DEP_1) | instskip(NEXT) | instid1(VALU_DEP_1)
	v_lshlrev_b64 v[5:6], 3, v[19:20]
	v_add_co_u32 v5, vcc_lo, s52, v5
	s_delay_alu instid0(VALU_DEP_2)
	v_add_co_ci_u32_e32 v6, vcc_lo, s53, v6, vcc_lo
	s_waitcnt lgkmcnt(0)
	global_store_b64 v[5:6], v[2:3], off
	s_or_b32 exec_lo, exec_lo, s16
	s_and_saveexec_b32 s16, s23
	s_cbranch_execnz .LBB1022_267
.LBB1022_282:                           ;   in Loop: Header=BB1022_98 Depth=2
	s_or_b32 exec_lo, exec_lo, s16
	s_and_saveexec_b32 s16, s24
	s_cbranch_execz .LBB1022_268
.LBB1022_283:                           ;   in Loop: Header=BB1022_98 Depth=2
	v_lshlrev_b32_e32 v0, 2, v131
	v_add_nc_u32_e32 v2, v83, v85
	ds_load_b32 v0, v0
	ds_load_b64 v[2:3], v2 offset:18432
	s_waitcnt lgkmcnt(1)
	v_add_nc_u32_e32 v19, v0, v59
	s_delay_alu instid0(VALU_DEP_1) | instskip(NEXT) | instid1(VALU_DEP_1)
	v_lshlrev_b64 v[5:6], 3, v[19:20]
	v_add_co_u32 v5, vcc_lo, s52, v5
	s_delay_alu instid0(VALU_DEP_2)
	v_add_co_ci_u32_e32 v6, vcc_lo, s53, v6, vcc_lo
	s_waitcnt lgkmcnt(0)
	global_store_b64 v[5:6], v[2:3], off
	s_or_b32 exec_lo, exec_lo, s16
	s_and_saveexec_b32 s16, s25
	s_cbranch_execnz .LBB1022_269
.LBB1022_284:                           ;   in Loop: Header=BB1022_98 Depth=2
	s_or_b32 exec_lo, exec_lo, s16
	s_and_saveexec_b32 s16, s27
	s_cbranch_execz .LBB1022_270
.LBB1022_285:                           ;   in Loop: Header=BB1022_98 Depth=2
	v_lshlrev_b32_e32 v0, 2, v129
	v_add_nc_u32_e32 v2, v83, v85
	ds_load_b32 v0, v0
	ds_load_b64 v[2:3], v2 offset:22528
	s_waitcnt lgkmcnt(1)
	v_add_nc_u32_e32 v19, v0, v61
	s_delay_alu instid0(VALU_DEP_1) | instskip(NEXT) | instid1(VALU_DEP_1)
	v_lshlrev_b64 v[5:6], 3, v[19:20]
	v_add_co_u32 v5, vcc_lo, s52, v5
	s_delay_alu instid0(VALU_DEP_2)
	v_add_co_ci_u32_e32 v6, vcc_lo, s53, v6, vcc_lo
	s_waitcnt lgkmcnt(0)
	global_store_b64 v[5:6], v[2:3], off
	s_or_b32 exec_lo, exec_lo, s16
	s_and_saveexec_b32 s16, s28
	s_cbranch_execnz .LBB1022_271
.LBB1022_286:                           ;   in Loop: Header=BB1022_98 Depth=2
	s_or_b32 exec_lo, exec_lo, s16
	s_and_saveexec_b32 s16, s29
	s_cbranch_execz .LBB1022_272
.LBB1022_287:                           ;   in Loop: Header=BB1022_98 Depth=2
	v_lshlrev_b32_e32 v0, 2, v127
	v_add_nc_u32_e32 v2, v83, v85
	ds_load_b32 v0, v0
	ds_load_b64 v[2:3], v2 offset:26624
	s_waitcnt lgkmcnt(1)
	v_add_nc_u32_e32 v19, v0, v63
	s_delay_alu instid0(VALU_DEP_1) | instskip(NEXT) | instid1(VALU_DEP_1)
	v_lshlrev_b64 v[5:6], 3, v[19:20]
	v_add_co_u32 v5, vcc_lo, s52, v5
	s_delay_alu instid0(VALU_DEP_2)
	v_add_co_ci_u32_e32 v6, vcc_lo, s53, v6, vcc_lo
	s_waitcnt lgkmcnt(0)
	global_store_b64 v[5:6], v[2:3], off
	s_or_b32 exec_lo, exec_lo, s16
	s_and_saveexec_b32 s16, s30
	s_cbranch_execnz .LBB1022_273
.LBB1022_288:                           ;   in Loop: Header=BB1022_98 Depth=2
	s_or_b32 exec_lo, exec_lo, s16
	s_and_saveexec_b32 s16, s31
	s_cbranch_execz .LBB1022_290
.LBB1022_289:                           ;   in Loop: Header=BB1022_98 Depth=2
	v_lshlrev_b32_e32 v0, 2, v125
	v_add_nc_u32_e32 v2, v83, v85
	ds_load_b32 v0, v0
	ds_load_b64 v[2:3], v2 offset:30720
	s_waitcnt lgkmcnt(1)
	v_add_nc_u32_e32 v19, v0, v66
	s_delay_alu instid0(VALU_DEP_1) | instskip(NEXT) | instid1(VALU_DEP_1)
	v_lshlrev_b64 v[5:6], 3, v[19:20]
	v_add_co_u32 v5, vcc_lo, s52, v5
	s_delay_alu instid0(VALU_DEP_2)
	v_add_co_ci_u32_e32 v6, vcc_lo, s53, v6, vcc_lo
	s_waitcnt lgkmcnt(0)
	global_store_b64 v[5:6], v[2:3], off
.LBB1022_290:                           ;   in Loop: Header=BB1022_98 Depth=2
	s_or_b32 exec_lo, exec_lo, s16
	s_waitcnt_vscnt null, 0x0
	s_barrier
	buffer_gl0_inv
	s_and_saveexec_b32 s16, s2
	s_cbranch_execz .LBB1022_97
; %bb.291:                              ;   in Loop: Header=BB1022_98 Depth=2
	ds_load_b32 v0, v47
	s_waitcnt lgkmcnt(0)
	v_add_nc_u32_e32 v0, v0, v4
	ds_store_b32 v47, v0
	s_branch .LBB1022_97
.LBB1022_292:                           ;   in Loop: Header=BB1022_98 Depth=2
	s_or_b32 exec_lo, exec_lo, s16
	s_delay_alu instid0(SALU_CYCLE_1)
	s_mov_b32 s16, exec_lo
	v_cmpx_gt_u32_e64 s56, v105
	s_cbranch_execz .LBB1022_103
.LBB1022_293:                           ;   in Loop: Header=BB1022_98 Depth=2
	global_load_d16_hi_b16 v2, v[45:46], off offset:64
	s_or_b32 exec_lo, exec_lo, s16
	s_delay_alu instid0(SALU_CYCLE_1)
	s_mov_b32 s16, exec_lo
	v_cmpx_gt_u32_e64 s56, v106
	s_cbranch_execnz .LBB1022_104
.LBB1022_294:                           ;   in Loop: Header=BB1022_98 Depth=2
	s_or_b32 exec_lo, exec_lo, s16
	s_delay_alu instid0(SALU_CYCLE_1)
	s_mov_b32 s16, exec_lo
	v_cmpx_gt_u32_e64 s56, v107
	s_cbranch_execz .LBB1022_105
.LBB1022_295:                           ;   in Loop: Header=BB1022_98 Depth=2
	global_load_d16_hi_b16 v3, v[45:46], off offset:192
	s_or_b32 exec_lo, exec_lo, s16
	s_delay_alu instid0(SALU_CYCLE_1)
	s_mov_b32 s16, exec_lo
	v_cmpx_gt_u32_e64 s56, v108
	s_cbranch_execnz .LBB1022_106
.LBB1022_296:                           ;   in Loop: Header=BB1022_98 Depth=2
	s_or_b32 exec_lo, exec_lo, s16
	s_delay_alu instid0(SALU_CYCLE_1)
	s_mov_b32 s16, exec_lo
	v_cmpx_gt_u32_e64 s56, v109
	s_cbranch_execz .LBB1022_107
.LBB1022_297:                           ;   in Loop: Header=BB1022_98 Depth=2
	global_load_d16_hi_b16 v4, v[45:46], off offset:320
	s_or_b32 exec_lo, exec_lo, s16
	s_delay_alu instid0(SALU_CYCLE_1)
	s_mov_b32 s16, exec_lo
	v_cmpx_gt_u32_e64 s56, v110
	s_cbranch_execnz .LBB1022_108
.LBB1022_298:                           ;   in Loop: Header=BB1022_98 Depth=2
	s_or_b32 exec_lo, exec_lo, s16
	s_delay_alu instid0(SALU_CYCLE_1)
	s_mov_b32 s16, exec_lo
	v_cmpx_gt_u32_e64 s56, v111
	s_cbranch_execz .LBB1022_109
.LBB1022_299:                           ;   in Loop: Header=BB1022_98 Depth=2
	global_load_d16_hi_b16 v5, v[45:46], off offset:448
	s_or_b32 exec_lo, exec_lo, s16
	s_delay_alu instid0(SALU_CYCLE_1)
	s_mov_b32 s16, exec_lo
	v_cmpx_gt_u32_e64 s56, v112
	s_cbranch_execnz .LBB1022_110
.LBB1022_300:                           ;   in Loop: Header=BB1022_98 Depth=2
	s_or_b32 exec_lo, exec_lo, s16
	s_delay_alu instid0(SALU_CYCLE_1)
	s_mov_b32 s16, exec_lo
	v_cmpx_gt_u32_e64 s56, v113
	s_cbranch_execz .LBB1022_111
.LBB1022_301:                           ;   in Loop: Header=BB1022_98 Depth=2
	global_load_d16_hi_b16 v6, v[45:46], off offset:576
	s_or_b32 exec_lo, exec_lo, s16
	s_delay_alu instid0(SALU_CYCLE_1)
	s_mov_b32 s16, exec_lo
	v_cmpx_gt_u32_e64 s56, v114
	s_cbranch_execnz .LBB1022_112
.LBB1022_302:                           ;   in Loop: Header=BB1022_98 Depth=2
	s_or_b32 exec_lo, exec_lo, s16
	s_delay_alu instid0(SALU_CYCLE_1)
	s_mov_b32 s16, exec_lo
	v_cmpx_gt_u32_e64 s56, v115
	s_cbranch_execz .LBB1022_113
.LBB1022_303:                           ;   in Loop: Header=BB1022_98 Depth=2
	global_load_d16_hi_b16 v7, v[45:46], off offset:704
	s_or_b32 exec_lo, exec_lo, s16
	s_delay_alu instid0(SALU_CYCLE_1)
	s_mov_b32 s16, exec_lo
	v_cmpx_gt_u32_e64 s56, v116
	s_cbranch_execnz .LBB1022_114
.LBB1022_304:                           ;   in Loop: Header=BB1022_98 Depth=2
	s_or_b32 exec_lo, exec_lo, s16
	s_delay_alu instid0(SALU_CYCLE_1)
	s_mov_b32 s16, exec_lo
	v_cmpx_gt_u32_e64 s56, v117
	s_cbranch_execz .LBB1022_115
.LBB1022_305:                           ;   in Loop: Header=BB1022_98 Depth=2
	global_load_d16_hi_b16 v8, v[45:46], off offset:832
	s_or_b32 exec_lo, exec_lo, s16
	s_delay_alu instid0(SALU_CYCLE_1)
	s_mov_b32 s16, exec_lo
	v_cmpx_gt_u32_e64 s56, v118
	s_cbranch_execnz .LBB1022_116
	s_branch .LBB1022_117
.LBB1022_306:                           ;   in Loop: Header=BB1022_12 Depth=1
	s_waitcnt lgkmcnt(0)
	s_mov_b32 s1, 0
	s_barrier
.LBB1022_307:                           ;   in Loop: Header=BB1022_12 Depth=1
	s_and_b32 vcc_lo, exec_lo, s1
	s_cbranch_vccz .LBB1022_601
; %bb.308:                              ;   in Loop: Header=BB1022_12 Depth=1
	s_mov_b32 s1, s64
	s_mov_b32 s34, s62
	s_barrier
	buffer_gl0_inv
                                        ; implicit-def: $vgpr2_vgpr3_vgpr4_vgpr5_vgpr6_vgpr7_vgpr8_vgpr9
	s_branch .LBB1022_310
.LBB1022_309:                           ;   in Loop: Header=BB1022_310 Depth=2
	s_or_b32 exec_lo, exec_lo, s8
	s_addk_i32 s1, 0xf000
	s_cmp_ge_u32 s7, s63
	s_mov_b32 s34, s7
	s_cbranch_scc1 .LBB1022_380
.LBB1022_310:                           ;   Parent Loop BB1022_12 Depth=1
                                        ; =>  This Inner Loop Header: Depth=2
	s_add_i32 s7, s34, 0x1000
	s_delay_alu instid0(SALU_CYCLE_1)
	s_cmp_gt_u32 s7, s63
	s_cbranch_scc1 .LBB1022_313
; %bb.311:                              ;   in Loop: Header=BB1022_310 Depth=2
	s_mov_b32 s9, 0
	s_mov_b32 s8, s34
	s_waitcnt vmcnt(7)
	v_mov_b32_e32 v17, v9
	s_lshl_b64 s[10:11], s[8:9], 1
	s_delay_alu instid0(SALU_CYCLE_1) | instskip(SKIP_2) | instid1(VALU_DEP_2)
	v_add_co_u32 v21, vcc_lo, v86, s10
	v_add_co_ci_u32_e32 v22, vcc_lo, s11, v87, vcc_lo
	s_movk_i32 s11, 0x1000
	v_add_co_u32 v23, vcc_lo, 0x1000, v21
	s_delay_alu instid0(VALU_DEP_2)
	v_add_co_ci_u32_e32 v24, vcc_lo, 0, v22, vcc_lo
	s_clause 0x6
	global_load_u16 v10, v[21:22], off
	global_load_u16 v11, v[21:22], off offset:1024
	global_load_u16 v12, v[21:22], off offset:2048
	;; [unrolled: 1-line block ×3, first 2 shown]
	global_load_u16 v14, v[23:24], off
	global_load_u16 v15, v[23:24], off offset:1024
	global_load_u16 v16, v[23:24], off offset:2048
	s_mov_b32 s10, -1
	s_clause 0x7
	global_load_d16_b16 v17, v[23:24], off offset:3072
	global_load_d16_hi_b16 v10, v[21:22], off offset:512
	global_load_d16_hi_b16 v11, v[21:22], off offset:1536
	;; [unrolled: 1-line block ×7, first 2 shown]
	v_add_co_u32 v21, vcc_lo, 0x1e00, v21
	v_add_co_ci_u32_e32 v22, vcc_lo, 0, v22, vcc_lo
	s_cbranch_execz .LBB1022_314
; %bb.312:                              ;   in Loop: Header=BB1022_310 Depth=2
                                        ; implicit-def: $vgpr2_vgpr3_vgpr4_vgpr5_vgpr6_vgpr7_vgpr8_vgpr9
	v_mov_b32_e32 v0, s1
	s_and_saveexec_b32 s8, s10
	s_cbranch_execnz .LBB1022_333
	s_branch .LBB1022_334
.LBB1022_313:                           ;   in Loop: Header=BB1022_310 Depth=2
	s_mov_b32 s10, 0
                                        ; implicit-def: $sgpr11
                                        ; implicit-def: $vgpr10_vgpr11_vgpr12_vgpr13_vgpr14_vgpr15_vgpr16_vgpr17
                                        ; implicit-def: $vgpr21_vgpr22
.LBB1022_314:                           ;   in Loop: Header=BB1022_310 Depth=2
	s_lshl_b64 s[8:9], s[34:35], 1
	s_mov_b32 s11, exec_lo
	s_add_u32 s8, s38, s8
	s_addc_u32 s9, s39, s9
	v_cmpx_gt_u32_e64 s1, v18
	s_cbranch_execz .LBB1022_366
; %bb.315:                              ;   in Loop: Header=BB1022_310 Depth=2
	global_load_d16_b16 v2, v99, s[8:9]
	s_or_b32 exec_lo, exec_lo, s11
	s_delay_alu instid0(SALU_CYCLE_1)
	s_mov_b32 s11, exec_lo
	v_cmpx_gt_u32_e64 s1, v48
	s_cbranch_execnz .LBB1022_367
.LBB1022_316:                           ;   in Loop: Header=BB1022_310 Depth=2
	s_or_b32 exec_lo, exec_lo, s11
	s_delay_alu instid0(SALU_CYCLE_1)
	s_mov_b32 s11, exec_lo
	v_cmpx_gt_u32_e64 s1, v49
	s_cbranch_execz .LBB1022_368
.LBB1022_317:                           ;   in Loop: Header=BB1022_310 Depth=2
	global_load_d16_b16 v3, v99, s[8:9] offset:1024
	s_or_b32 exec_lo, exec_lo, s11
	s_delay_alu instid0(SALU_CYCLE_1)
	s_mov_b32 s11, exec_lo
	v_cmpx_gt_u32_e64 s1, v50
	s_cbranch_execnz .LBB1022_369
.LBB1022_318:                           ;   in Loop: Header=BB1022_310 Depth=2
	s_or_b32 exec_lo, exec_lo, s11
	s_delay_alu instid0(SALU_CYCLE_1)
	s_mov_b32 s11, exec_lo
	v_cmpx_gt_u32_e64 s1, v54
	s_cbranch_execz .LBB1022_370
.LBB1022_319:                           ;   in Loop: Header=BB1022_310 Depth=2
	global_load_d16_b16 v4, v99, s[8:9] offset:2048
	s_or_b32 exec_lo, exec_lo, s11
	s_delay_alu instid0(SALU_CYCLE_1)
	s_mov_b32 s11, exec_lo
	v_cmpx_gt_u32_e64 s1, v55
	s_cbranch_execnz .LBB1022_371
.LBB1022_320:                           ;   in Loop: Header=BB1022_310 Depth=2
	s_or_b32 exec_lo, exec_lo, s11
	s_delay_alu instid0(SALU_CYCLE_1)
	s_mov_b32 s11, exec_lo
	v_cmpx_gt_u32_e64 s1, v56
	s_cbranch_execz .LBB1022_372
.LBB1022_321:                           ;   in Loop: Header=BB1022_310 Depth=2
	global_load_d16_b16 v5, v99, s[8:9] offset:3072
	s_or_b32 exec_lo, exec_lo, s11
	s_delay_alu instid0(SALU_CYCLE_1)
	s_mov_b32 s11, exec_lo
	v_cmpx_gt_u32_e64 s1, v57
	s_cbranch_execnz .LBB1022_373
.LBB1022_322:                           ;   in Loop: Header=BB1022_310 Depth=2
	s_or_b32 exec_lo, exec_lo, s11
	s_delay_alu instid0(SALU_CYCLE_1)
	s_mov_b32 s11, exec_lo
	v_cmpx_gt_u32_e64 s1, v58
	s_cbranch_execz .LBB1022_374
.LBB1022_323:                           ;   in Loop: Header=BB1022_310 Depth=2
	v_lshlrev_b32_e32 v0, 1, v58
	global_load_d16_b16 v6, v0, s[8:9]
	s_or_b32 exec_lo, exec_lo, s11
	s_delay_alu instid0(SALU_CYCLE_1)
	s_mov_b32 s11, exec_lo
	v_cmpx_gt_u32_e64 s1, v59
	s_cbranch_execnz .LBB1022_375
.LBB1022_324:                           ;   in Loop: Header=BB1022_310 Depth=2
	s_or_b32 exec_lo, exec_lo, s11
	s_delay_alu instid0(SALU_CYCLE_1)
	s_mov_b32 s11, exec_lo
	v_cmpx_gt_u32_e64 s1, v60
	s_cbranch_execz .LBB1022_376
.LBB1022_325:                           ;   in Loop: Header=BB1022_310 Depth=2
	v_lshlrev_b32_e32 v0, 1, v60
	global_load_d16_b16 v7, v0, s[8:9]
	s_or_b32 exec_lo, exec_lo, s11
	s_delay_alu instid0(SALU_CYCLE_1)
	s_mov_b32 s11, exec_lo
	v_cmpx_gt_u32_e64 s1, v61
	s_cbranch_execnz .LBB1022_377
.LBB1022_326:                           ;   in Loop: Header=BB1022_310 Depth=2
	s_or_b32 exec_lo, exec_lo, s11
	s_delay_alu instid0(SALU_CYCLE_1)
	s_mov_b32 s11, exec_lo
	v_cmpx_gt_u32_e64 s1, v62
	s_cbranch_execz .LBB1022_378
.LBB1022_327:                           ;   in Loop: Header=BB1022_310 Depth=2
	v_lshlrev_b32_e32 v0, 1, v62
	global_load_d16_b16 v8, v0, s[8:9]
	s_or_b32 exec_lo, exec_lo, s11
	s_delay_alu instid0(SALU_CYCLE_1)
	s_mov_b32 s11, exec_lo
	v_cmpx_gt_u32_e64 s1, v63
	s_cbranch_execnz .LBB1022_379
.LBB1022_328:                           ;   in Loop: Header=BB1022_310 Depth=2
	s_or_b32 exec_lo, exec_lo, s11
	s_delay_alu instid0(SALU_CYCLE_1)
	s_mov_b32 s11, exec_lo
	v_cmpx_gt_u32_e64 s1, v64
	s_cbranch_execz .LBB1022_330
.LBB1022_329:                           ;   in Loop: Header=BB1022_310 Depth=2
	v_lshlrev_b32_e32 v0, 1, v64
	global_load_d16_b16 v9, v0, s[8:9]
.LBB1022_330:                           ;   in Loop: Header=BB1022_310 Depth=2
	s_or_b32 exec_lo, exec_lo, s11
	s_delay_alu instid0(SALU_CYCLE_1)
	s_mov_b32 s12, exec_lo
                                        ; implicit-def: $sgpr11
                                        ; implicit-def: $vgpr21_vgpr22
	v_cmpx_gt_u32_e64 s1, v66
; %bb.331:                              ;   in Loop: Header=BB1022_310 Depth=2
	v_lshlrev_b32_e32 v0, 1, v66
	s_sub_i32 s11, s63, s34
	s_or_b32 s10, s10, exec_lo
	s_delay_alu instid0(VALU_DEP_1) | instskip(NEXT) | instid1(VALU_DEP_1)
	v_add_co_u32 v21, s8, s8, v0
	v_add_co_ci_u32_e64 v22, null, s9, 0, s8
; %bb.332:                              ;   in Loop: Header=BB1022_310 Depth=2
	s_or_b32 exec_lo, exec_lo, s12
	s_waitcnt vmcnt(0)
	v_dual_mov_b32 v17, v9 :: v_dual_mov_b32 v16, v8
	v_dual_mov_b32 v15, v7 :: v_dual_mov_b32 v14, v6
	;; [unrolled: 1-line block ×4, first 2 shown]
	v_mov_b32_e32 v0, s1
	s_and_saveexec_b32 s8, s10
	s_cbranch_execz .LBB1022_334
.LBB1022_333:                           ;   in Loop: Header=BB1022_310 Depth=2
	global_load_d16_hi_b16 v17, v[21:22], off
	s_waitcnt vmcnt(0)
	v_dual_mov_b32 v2, v10 :: v_dual_mov_b32 v5, v13
	v_dual_mov_b32 v0, s11 :: v_dual_mov_b32 v3, v11
	;; [unrolled: 1-line block ×3, first 2 shown]
	v_mov_b32_e32 v6, v14
	v_dual_mov_b32 v8, v16 :: v_dual_mov_b32 v9, v17
.LBB1022_334:                           ;   in Loop: Header=BB1022_310 Depth=2
	s_or_b32 exec_lo, exec_lo, s8
	s_delay_alu instid0(SALU_CYCLE_1)
	s_mov_b32 s8, exec_lo
	v_cmpx_lt_u32_e64 v18, v0
	s_cbranch_execz .LBB1022_350
; %bb.335:                              ;   in Loop: Header=BB1022_310 Depth=2
	s_waitcnt vmcnt(6)
	v_xor_b32_e32 v10, 0xffff8000, v2
	s_waitcnt vmcnt(5)
	v_lshlrev_b32_e32 v11, 2, v51
	s_delay_alu instid0(VALU_DEP_2) | instskip(NEXT) | instid1(VALU_DEP_1)
	v_and_b32_e32 v10, 0xffff, v10
	v_lshrrev_b32_e32 v10, s42, v10
	s_delay_alu instid0(VALU_DEP_1) | instskip(NEXT) | instid1(VALU_DEP_1)
	v_and_b32_e32 v10, s43, v10
	v_lshl_or_b32 v10, v10, 4, v11
	ds_add_u32 v10, v98
	s_or_b32 exec_lo, exec_lo, s8
	s_delay_alu instid0(SALU_CYCLE_1)
	s_mov_b32 s8, exec_lo
	v_cmpx_lt_u32_e64 v48, v0
	s_cbranch_execnz .LBB1022_351
.LBB1022_336:                           ;   in Loop: Header=BB1022_310 Depth=2
	s_or_b32 exec_lo, exec_lo, s8
	s_delay_alu instid0(SALU_CYCLE_1)
	s_mov_b32 s8, exec_lo
	v_cmpx_lt_u32_e64 v49, v0
	s_cbranch_execz .LBB1022_352
.LBB1022_337:                           ;   in Loop: Header=BB1022_310 Depth=2
	s_waitcnt vmcnt(6)
	v_xor_b32_e32 v10, 0xffff8000, v3
	s_waitcnt vmcnt(5)
	v_lshlrev_b32_e32 v11, 2, v51
	s_delay_alu instid0(VALU_DEP_2) | instskip(NEXT) | instid1(VALU_DEP_1)
	v_and_b32_e32 v10, 0xffff, v10
	v_lshrrev_b32_e32 v10, s42, v10
	s_delay_alu instid0(VALU_DEP_1) | instskip(NEXT) | instid1(VALU_DEP_1)
	v_and_b32_e32 v10, s43, v10
	v_lshl_or_b32 v10, v10, 4, v11
	ds_add_u32 v10, v98
	s_or_b32 exec_lo, exec_lo, s8
	s_delay_alu instid0(SALU_CYCLE_1)
	s_mov_b32 s8, exec_lo
	v_cmpx_lt_u32_e64 v50, v0
	s_cbranch_execnz .LBB1022_353
.LBB1022_338:                           ;   in Loop: Header=BB1022_310 Depth=2
	s_or_b32 exec_lo, exec_lo, s8
	s_delay_alu instid0(SALU_CYCLE_1)
	s_mov_b32 s8, exec_lo
	v_cmpx_lt_u32_e64 v54, v0
	s_cbranch_execz .LBB1022_354
.LBB1022_339:                           ;   in Loop: Header=BB1022_310 Depth=2
	s_waitcnt vmcnt(6)
	v_xor_b32_e32 v10, 0xffff8000, v4
	s_waitcnt vmcnt(5)
	v_lshlrev_b32_e32 v11, 2, v51
	s_delay_alu instid0(VALU_DEP_2) | instskip(NEXT) | instid1(VALU_DEP_1)
	v_and_b32_e32 v10, 0xffff, v10
	v_lshrrev_b32_e32 v10, s42, v10
	s_delay_alu instid0(VALU_DEP_1) | instskip(NEXT) | instid1(VALU_DEP_1)
	v_and_b32_e32 v10, s43, v10
	v_lshl_or_b32 v10, v10, 4, v11
	ds_add_u32 v10, v98
	s_or_b32 exec_lo, exec_lo, s8
	s_delay_alu instid0(SALU_CYCLE_1)
	s_mov_b32 s8, exec_lo
	v_cmpx_lt_u32_e64 v55, v0
	s_cbranch_execnz .LBB1022_355
.LBB1022_340:                           ;   in Loop: Header=BB1022_310 Depth=2
	s_or_b32 exec_lo, exec_lo, s8
	s_delay_alu instid0(SALU_CYCLE_1)
	s_mov_b32 s8, exec_lo
	v_cmpx_lt_u32_e64 v56, v0
	s_cbranch_execz .LBB1022_356
.LBB1022_341:                           ;   in Loop: Header=BB1022_310 Depth=2
	s_waitcnt vmcnt(6)
	v_xor_b32_e32 v10, 0xffff8000, v5
	s_waitcnt vmcnt(5)
	v_lshlrev_b32_e32 v11, 2, v51
	s_delay_alu instid0(VALU_DEP_2) | instskip(NEXT) | instid1(VALU_DEP_1)
	v_and_b32_e32 v10, 0xffff, v10
	v_lshrrev_b32_e32 v10, s42, v10
	s_delay_alu instid0(VALU_DEP_1) | instskip(NEXT) | instid1(VALU_DEP_1)
	v_and_b32_e32 v10, s43, v10
	v_lshl_or_b32 v10, v10, 4, v11
	ds_add_u32 v10, v98
	s_or_b32 exec_lo, exec_lo, s8
	s_delay_alu instid0(SALU_CYCLE_1)
	s_mov_b32 s8, exec_lo
	v_cmpx_lt_u32_e64 v57, v0
	s_cbranch_execnz .LBB1022_357
.LBB1022_342:                           ;   in Loop: Header=BB1022_310 Depth=2
	s_or_b32 exec_lo, exec_lo, s8
	s_delay_alu instid0(SALU_CYCLE_1)
	s_mov_b32 s8, exec_lo
	v_cmpx_lt_u32_e64 v58, v0
	s_cbranch_execz .LBB1022_358
.LBB1022_343:                           ;   in Loop: Header=BB1022_310 Depth=2
	s_waitcnt vmcnt(6)
	v_xor_b32_e32 v10, 0xffff8000, v6
	s_waitcnt vmcnt(5)
	v_lshlrev_b32_e32 v11, 2, v51
	s_delay_alu instid0(VALU_DEP_2) | instskip(NEXT) | instid1(VALU_DEP_1)
	v_and_b32_e32 v10, 0xffff, v10
	v_lshrrev_b32_e32 v10, s42, v10
	s_delay_alu instid0(VALU_DEP_1) | instskip(NEXT) | instid1(VALU_DEP_1)
	v_and_b32_e32 v10, s43, v10
	v_lshl_or_b32 v10, v10, 4, v11
	ds_add_u32 v10, v98
	s_or_b32 exec_lo, exec_lo, s8
	s_delay_alu instid0(SALU_CYCLE_1)
	s_mov_b32 s8, exec_lo
	v_cmpx_lt_u32_e64 v59, v0
	s_cbranch_execnz .LBB1022_359
.LBB1022_344:                           ;   in Loop: Header=BB1022_310 Depth=2
	s_or_b32 exec_lo, exec_lo, s8
	s_delay_alu instid0(SALU_CYCLE_1)
	s_mov_b32 s8, exec_lo
	v_cmpx_lt_u32_e64 v60, v0
	s_cbranch_execz .LBB1022_360
.LBB1022_345:                           ;   in Loop: Header=BB1022_310 Depth=2
	s_waitcnt vmcnt(6)
	v_xor_b32_e32 v10, 0xffff8000, v7
	s_waitcnt vmcnt(5)
	v_lshlrev_b32_e32 v11, 2, v51
	s_delay_alu instid0(VALU_DEP_2) | instskip(NEXT) | instid1(VALU_DEP_1)
	v_and_b32_e32 v10, 0xffff, v10
	v_lshrrev_b32_e32 v10, s42, v10
	s_delay_alu instid0(VALU_DEP_1) | instskip(NEXT) | instid1(VALU_DEP_1)
	v_and_b32_e32 v10, s43, v10
	v_lshl_or_b32 v10, v10, 4, v11
	ds_add_u32 v10, v98
	s_or_b32 exec_lo, exec_lo, s8
	s_delay_alu instid0(SALU_CYCLE_1)
	s_mov_b32 s8, exec_lo
	v_cmpx_lt_u32_e64 v61, v0
	s_cbranch_execnz .LBB1022_361
.LBB1022_346:                           ;   in Loop: Header=BB1022_310 Depth=2
	s_or_b32 exec_lo, exec_lo, s8
	s_delay_alu instid0(SALU_CYCLE_1)
	s_mov_b32 s8, exec_lo
	v_cmpx_lt_u32_e64 v62, v0
	s_cbranch_execz .LBB1022_362
.LBB1022_347:                           ;   in Loop: Header=BB1022_310 Depth=2
	s_waitcnt vmcnt(6)
	v_xor_b32_e32 v10, 0xffff8000, v8
	s_waitcnt vmcnt(5)
	v_lshlrev_b32_e32 v11, 2, v51
	s_delay_alu instid0(VALU_DEP_2) | instskip(NEXT) | instid1(VALU_DEP_1)
	v_and_b32_e32 v10, 0xffff, v10
	v_lshrrev_b32_e32 v10, s42, v10
	s_delay_alu instid0(VALU_DEP_1) | instskip(NEXT) | instid1(VALU_DEP_1)
	v_and_b32_e32 v10, s43, v10
	v_lshl_or_b32 v10, v10, 4, v11
	ds_add_u32 v10, v98
	s_or_b32 exec_lo, exec_lo, s8
	s_delay_alu instid0(SALU_CYCLE_1)
	s_mov_b32 s8, exec_lo
	v_cmpx_lt_u32_e64 v63, v0
	s_cbranch_execnz .LBB1022_363
.LBB1022_348:                           ;   in Loop: Header=BB1022_310 Depth=2
	s_or_b32 exec_lo, exec_lo, s8
	s_delay_alu instid0(SALU_CYCLE_1)
	s_mov_b32 s8, exec_lo
	v_cmpx_lt_u32_e64 v64, v0
	s_cbranch_execz .LBB1022_364
.LBB1022_349:                           ;   in Loop: Header=BB1022_310 Depth=2
	s_waitcnt vmcnt(6)
	v_xor_b32_e32 v10, 0xffff8000, v9
	s_waitcnt vmcnt(5)
	v_lshlrev_b32_e32 v11, 2, v51
	s_delay_alu instid0(VALU_DEP_2) | instskip(NEXT) | instid1(VALU_DEP_1)
	v_and_b32_e32 v10, 0xffff, v10
	v_lshrrev_b32_e32 v10, s42, v10
	s_delay_alu instid0(VALU_DEP_1) | instskip(NEXT) | instid1(VALU_DEP_1)
	v_and_b32_e32 v10, s43, v10
	v_lshl_or_b32 v10, v10, 4, v11
	ds_add_u32 v10, v98
	s_or_b32 exec_lo, exec_lo, s8
	s_delay_alu instid0(SALU_CYCLE_1)
	s_mov_b32 s8, exec_lo
	v_cmpx_lt_u32_e64 v66, v0
	s_cbranch_execz .LBB1022_309
	s_branch .LBB1022_365
.LBB1022_350:                           ;   in Loop: Header=BB1022_310 Depth=2
	s_or_b32 exec_lo, exec_lo, s8
	s_delay_alu instid0(SALU_CYCLE_1)
	s_mov_b32 s8, exec_lo
	v_cmpx_lt_u32_e64 v48, v0
	s_cbranch_execz .LBB1022_336
.LBB1022_351:                           ;   in Loop: Header=BB1022_310 Depth=2
	s_waitcnt vmcnt(6)
	v_lshrrev_b32_e32 v10, 16, v2
	s_waitcnt vmcnt(5)
	v_lshlrev_b32_e32 v11, 2, v51
	s_delay_alu instid0(VALU_DEP_2) | instskip(NEXT) | instid1(VALU_DEP_1)
	v_xor_b32_e32 v10, 0xffff8000, v10
	v_and_b32_e32 v10, 0xffff, v10
	s_delay_alu instid0(VALU_DEP_1) | instskip(NEXT) | instid1(VALU_DEP_1)
	v_lshrrev_b32_e32 v10, s42, v10
	v_and_b32_e32 v10, s43, v10
	s_delay_alu instid0(VALU_DEP_1) | instskip(SKIP_2) | instid1(SALU_CYCLE_1)
	v_lshl_or_b32 v10, v10, 4, v11
	ds_add_u32 v10, v98
	s_or_b32 exec_lo, exec_lo, s8
	s_mov_b32 s8, exec_lo
	v_cmpx_lt_u32_e64 v49, v0
	s_cbranch_execnz .LBB1022_337
.LBB1022_352:                           ;   in Loop: Header=BB1022_310 Depth=2
	s_or_b32 exec_lo, exec_lo, s8
	s_delay_alu instid0(SALU_CYCLE_1)
	s_mov_b32 s8, exec_lo
	v_cmpx_lt_u32_e64 v50, v0
	s_cbranch_execz .LBB1022_338
.LBB1022_353:                           ;   in Loop: Header=BB1022_310 Depth=2
	s_waitcnt vmcnt(6)
	v_lshrrev_b32_e32 v10, 16, v3
	s_waitcnt vmcnt(5)
	v_lshlrev_b32_e32 v11, 2, v51
	s_delay_alu instid0(VALU_DEP_2) | instskip(NEXT) | instid1(VALU_DEP_1)
	v_xor_b32_e32 v10, 0xffff8000, v10
	v_and_b32_e32 v10, 0xffff, v10
	s_delay_alu instid0(VALU_DEP_1) | instskip(NEXT) | instid1(VALU_DEP_1)
	v_lshrrev_b32_e32 v10, s42, v10
	v_and_b32_e32 v10, s43, v10
	s_delay_alu instid0(VALU_DEP_1) | instskip(SKIP_2) | instid1(SALU_CYCLE_1)
	v_lshl_or_b32 v10, v10, 4, v11
	ds_add_u32 v10, v98
	s_or_b32 exec_lo, exec_lo, s8
	s_mov_b32 s8, exec_lo
	v_cmpx_lt_u32_e64 v54, v0
	s_cbranch_execnz .LBB1022_339
.LBB1022_354:                           ;   in Loop: Header=BB1022_310 Depth=2
	s_or_b32 exec_lo, exec_lo, s8
	s_delay_alu instid0(SALU_CYCLE_1)
	s_mov_b32 s8, exec_lo
	v_cmpx_lt_u32_e64 v55, v0
	s_cbranch_execz .LBB1022_340
.LBB1022_355:                           ;   in Loop: Header=BB1022_310 Depth=2
	s_waitcnt vmcnt(6)
	v_lshrrev_b32_e32 v10, 16, v4
	s_waitcnt vmcnt(5)
	v_lshlrev_b32_e32 v11, 2, v51
	s_delay_alu instid0(VALU_DEP_2) | instskip(NEXT) | instid1(VALU_DEP_1)
	v_xor_b32_e32 v10, 0xffff8000, v10
	v_and_b32_e32 v10, 0xffff, v10
	s_delay_alu instid0(VALU_DEP_1) | instskip(NEXT) | instid1(VALU_DEP_1)
	v_lshrrev_b32_e32 v10, s42, v10
	v_and_b32_e32 v10, s43, v10
	s_delay_alu instid0(VALU_DEP_1) | instskip(SKIP_2) | instid1(SALU_CYCLE_1)
	v_lshl_or_b32 v10, v10, 4, v11
	ds_add_u32 v10, v98
	s_or_b32 exec_lo, exec_lo, s8
	s_mov_b32 s8, exec_lo
	v_cmpx_lt_u32_e64 v56, v0
	s_cbranch_execnz .LBB1022_341
.LBB1022_356:                           ;   in Loop: Header=BB1022_310 Depth=2
	s_or_b32 exec_lo, exec_lo, s8
	s_delay_alu instid0(SALU_CYCLE_1)
	s_mov_b32 s8, exec_lo
	v_cmpx_lt_u32_e64 v57, v0
	s_cbranch_execz .LBB1022_342
.LBB1022_357:                           ;   in Loop: Header=BB1022_310 Depth=2
	s_waitcnt vmcnt(6)
	v_lshrrev_b32_e32 v10, 16, v5
	s_waitcnt vmcnt(5)
	v_lshlrev_b32_e32 v11, 2, v51
	s_delay_alu instid0(VALU_DEP_2) | instskip(NEXT) | instid1(VALU_DEP_1)
	v_xor_b32_e32 v10, 0xffff8000, v10
	v_and_b32_e32 v10, 0xffff, v10
	s_delay_alu instid0(VALU_DEP_1) | instskip(NEXT) | instid1(VALU_DEP_1)
	v_lshrrev_b32_e32 v10, s42, v10
	v_and_b32_e32 v10, s43, v10
	s_delay_alu instid0(VALU_DEP_1) | instskip(SKIP_2) | instid1(SALU_CYCLE_1)
	v_lshl_or_b32 v10, v10, 4, v11
	ds_add_u32 v10, v98
	s_or_b32 exec_lo, exec_lo, s8
	s_mov_b32 s8, exec_lo
	v_cmpx_lt_u32_e64 v58, v0
	s_cbranch_execnz .LBB1022_343
.LBB1022_358:                           ;   in Loop: Header=BB1022_310 Depth=2
	s_or_b32 exec_lo, exec_lo, s8
	s_delay_alu instid0(SALU_CYCLE_1)
	s_mov_b32 s8, exec_lo
	v_cmpx_lt_u32_e64 v59, v0
	s_cbranch_execz .LBB1022_344
.LBB1022_359:                           ;   in Loop: Header=BB1022_310 Depth=2
	s_waitcnt vmcnt(6)
	v_lshrrev_b32_e32 v10, 16, v6
	s_waitcnt vmcnt(5)
	v_lshlrev_b32_e32 v11, 2, v51
	s_delay_alu instid0(VALU_DEP_2) | instskip(NEXT) | instid1(VALU_DEP_1)
	v_xor_b32_e32 v10, 0xffff8000, v10
	v_and_b32_e32 v10, 0xffff, v10
	s_delay_alu instid0(VALU_DEP_1) | instskip(NEXT) | instid1(VALU_DEP_1)
	v_lshrrev_b32_e32 v10, s42, v10
	v_and_b32_e32 v10, s43, v10
	s_delay_alu instid0(VALU_DEP_1) | instskip(SKIP_2) | instid1(SALU_CYCLE_1)
	v_lshl_or_b32 v10, v10, 4, v11
	ds_add_u32 v10, v98
	s_or_b32 exec_lo, exec_lo, s8
	s_mov_b32 s8, exec_lo
	v_cmpx_lt_u32_e64 v60, v0
	s_cbranch_execnz .LBB1022_345
.LBB1022_360:                           ;   in Loop: Header=BB1022_310 Depth=2
	s_or_b32 exec_lo, exec_lo, s8
	s_delay_alu instid0(SALU_CYCLE_1)
	s_mov_b32 s8, exec_lo
	v_cmpx_lt_u32_e64 v61, v0
	s_cbranch_execz .LBB1022_346
.LBB1022_361:                           ;   in Loop: Header=BB1022_310 Depth=2
	s_waitcnt vmcnt(6)
	v_lshrrev_b32_e32 v10, 16, v7
	s_waitcnt vmcnt(5)
	v_lshlrev_b32_e32 v11, 2, v51
	s_delay_alu instid0(VALU_DEP_2) | instskip(NEXT) | instid1(VALU_DEP_1)
	v_xor_b32_e32 v10, 0xffff8000, v10
	v_and_b32_e32 v10, 0xffff, v10
	s_delay_alu instid0(VALU_DEP_1) | instskip(NEXT) | instid1(VALU_DEP_1)
	v_lshrrev_b32_e32 v10, s42, v10
	v_and_b32_e32 v10, s43, v10
	s_delay_alu instid0(VALU_DEP_1) | instskip(SKIP_2) | instid1(SALU_CYCLE_1)
	v_lshl_or_b32 v10, v10, 4, v11
	ds_add_u32 v10, v98
	s_or_b32 exec_lo, exec_lo, s8
	s_mov_b32 s8, exec_lo
	v_cmpx_lt_u32_e64 v62, v0
	s_cbranch_execnz .LBB1022_347
.LBB1022_362:                           ;   in Loop: Header=BB1022_310 Depth=2
	s_or_b32 exec_lo, exec_lo, s8
	s_delay_alu instid0(SALU_CYCLE_1)
	s_mov_b32 s8, exec_lo
	v_cmpx_lt_u32_e64 v63, v0
	s_cbranch_execz .LBB1022_348
.LBB1022_363:                           ;   in Loop: Header=BB1022_310 Depth=2
	s_waitcnt vmcnt(6)
	v_lshrrev_b32_e32 v10, 16, v8
	s_waitcnt vmcnt(5)
	v_lshlrev_b32_e32 v11, 2, v51
	s_delay_alu instid0(VALU_DEP_2) | instskip(NEXT) | instid1(VALU_DEP_1)
	v_xor_b32_e32 v10, 0xffff8000, v10
	v_and_b32_e32 v10, 0xffff, v10
	s_delay_alu instid0(VALU_DEP_1) | instskip(NEXT) | instid1(VALU_DEP_1)
	v_lshrrev_b32_e32 v10, s42, v10
	v_and_b32_e32 v10, s43, v10
	s_delay_alu instid0(VALU_DEP_1) | instskip(SKIP_2) | instid1(SALU_CYCLE_1)
	v_lshl_or_b32 v10, v10, 4, v11
	ds_add_u32 v10, v98
	s_or_b32 exec_lo, exec_lo, s8
	s_mov_b32 s8, exec_lo
	v_cmpx_lt_u32_e64 v64, v0
	s_cbranch_execnz .LBB1022_349
.LBB1022_364:                           ;   in Loop: Header=BB1022_310 Depth=2
	s_or_b32 exec_lo, exec_lo, s8
	s_delay_alu instid0(SALU_CYCLE_1)
	s_mov_b32 s8, exec_lo
	v_cmpx_lt_u32_e64 v66, v0
	s_cbranch_execz .LBB1022_309
.LBB1022_365:                           ;   in Loop: Header=BB1022_310 Depth=2
	v_lshrrev_b32_e32 v0, 16, v9
	s_waitcnt vmcnt(6)
	v_lshlrev_b32_e32 v10, 2, v51
	s_delay_alu instid0(VALU_DEP_2) | instskip(NEXT) | instid1(VALU_DEP_1)
	v_xor_b32_e32 v0, 0xffff8000, v0
	v_and_b32_e32 v0, 0xffff, v0
	s_delay_alu instid0(VALU_DEP_1) | instskip(NEXT) | instid1(VALU_DEP_1)
	v_lshrrev_b32_e32 v0, s42, v0
	v_and_b32_e32 v0, s43, v0
	s_delay_alu instid0(VALU_DEP_1)
	v_lshl_or_b32 v0, v0, 4, v10
	ds_add_u32 v0, v98
	s_branch .LBB1022_309
.LBB1022_366:                           ;   in Loop: Header=BB1022_310 Depth=2
	s_or_b32 exec_lo, exec_lo, s11
	s_delay_alu instid0(SALU_CYCLE_1)
	s_mov_b32 s11, exec_lo
	v_cmpx_gt_u32_e64 s1, v48
	s_cbranch_execz .LBB1022_316
.LBB1022_367:                           ;   in Loop: Header=BB1022_310 Depth=2
	global_load_d16_hi_b16 v2, v99, s[8:9] offset:512
	s_or_b32 exec_lo, exec_lo, s11
	s_delay_alu instid0(SALU_CYCLE_1)
	s_mov_b32 s11, exec_lo
	v_cmpx_gt_u32_e64 s1, v49
	s_cbranch_execnz .LBB1022_317
.LBB1022_368:                           ;   in Loop: Header=BB1022_310 Depth=2
	s_or_b32 exec_lo, exec_lo, s11
	s_delay_alu instid0(SALU_CYCLE_1)
	s_mov_b32 s11, exec_lo
	v_cmpx_gt_u32_e64 s1, v50
	s_cbranch_execz .LBB1022_318
.LBB1022_369:                           ;   in Loop: Header=BB1022_310 Depth=2
	global_load_d16_hi_b16 v3, v99, s[8:9] offset:1536
	s_or_b32 exec_lo, exec_lo, s11
	s_delay_alu instid0(SALU_CYCLE_1)
	s_mov_b32 s11, exec_lo
	v_cmpx_gt_u32_e64 s1, v54
	s_cbranch_execnz .LBB1022_319
.LBB1022_370:                           ;   in Loop: Header=BB1022_310 Depth=2
	s_or_b32 exec_lo, exec_lo, s11
	s_delay_alu instid0(SALU_CYCLE_1)
	s_mov_b32 s11, exec_lo
	v_cmpx_gt_u32_e64 s1, v55
	s_cbranch_execz .LBB1022_320
.LBB1022_371:                           ;   in Loop: Header=BB1022_310 Depth=2
	global_load_d16_hi_b16 v4, v99, s[8:9] offset:2560
	s_or_b32 exec_lo, exec_lo, s11
	s_delay_alu instid0(SALU_CYCLE_1)
	s_mov_b32 s11, exec_lo
	v_cmpx_gt_u32_e64 s1, v56
	s_cbranch_execnz .LBB1022_321
.LBB1022_372:                           ;   in Loop: Header=BB1022_310 Depth=2
	s_or_b32 exec_lo, exec_lo, s11
	s_delay_alu instid0(SALU_CYCLE_1)
	s_mov_b32 s11, exec_lo
	v_cmpx_gt_u32_e64 s1, v57
	s_cbranch_execz .LBB1022_322
.LBB1022_373:                           ;   in Loop: Header=BB1022_310 Depth=2
	global_load_d16_hi_b16 v5, v99, s[8:9] offset:3584
	s_or_b32 exec_lo, exec_lo, s11
	s_delay_alu instid0(SALU_CYCLE_1)
	s_mov_b32 s11, exec_lo
	v_cmpx_gt_u32_e64 s1, v58
	s_cbranch_execnz .LBB1022_323
.LBB1022_374:                           ;   in Loop: Header=BB1022_310 Depth=2
	s_or_b32 exec_lo, exec_lo, s11
	s_delay_alu instid0(SALU_CYCLE_1)
	s_mov_b32 s11, exec_lo
	v_cmpx_gt_u32_e64 s1, v59
	s_cbranch_execz .LBB1022_324
.LBB1022_375:                           ;   in Loop: Header=BB1022_310 Depth=2
	v_lshlrev_b32_e32 v0, 1, v59
	global_load_d16_hi_b16 v6, v0, s[8:9]
	s_or_b32 exec_lo, exec_lo, s11
	s_delay_alu instid0(SALU_CYCLE_1)
	s_mov_b32 s11, exec_lo
	v_cmpx_gt_u32_e64 s1, v60
	s_cbranch_execnz .LBB1022_325
.LBB1022_376:                           ;   in Loop: Header=BB1022_310 Depth=2
	s_or_b32 exec_lo, exec_lo, s11
	s_delay_alu instid0(SALU_CYCLE_1)
	s_mov_b32 s11, exec_lo
	v_cmpx_gt_u32_e64 s1, v61
	s_cbranch_execz .LBB1022_326
.LBB1022_377:                           ;   in Loop: Header=BB1022_310 Depth=2
	v_lshlrev_b32_e32 v0, 1, v61
	global_load_d16_hi_b16 v7, v0, s[8:9]
	s_or_b32 exec_lo, exec_lo, s11
	s_delay_alu instid0(SALU_CYCLE_1)
	s_mov_b32 s11, exec_lo
	v_cmpx_gt_u32_e64 s1, v62
	s_cbranch_execnz .LBB1022_327
.LBB1022_378:                           ;   in Loop: Header=BB1022_310 Depth=2
	s_or_b32 exec_lo, exec_lo, s11
	s_delay_alu instid0(SALU_CYCLE_1)
	s_mov_b32 s11, exec_lo
	v_cmpx_gt_u32_e64 s1, v63
	s_cbranch_execz .LBB1022_328
.LBB1022_379:                           ;   in Loop: Header=BB1022_310 Depth=2
	v_lshlrev_b32_e32 v0, 1, v63
	global_load_d16_hi_b16 v8, v0, s[8:9]
	s_or_b32 exec_lo, exec_lo, s11
	s_delay_alu instid0(SALU_CYCLE_1)
	s_mov_b32 s11, exec_lo
	v_cmpx_gt_u32_e64 s1, v64
	s_cbranch_execz .LBB1022_330
	s_branch .LBB1022_329
.LBB1022_380:                           ;   in Loop: Header=BB1022_12 Depth=1
	v_mov_b32_e32 v0, 0
	s_waitcnt vmcnt(0) lgkmcnt(0)
	s_barrier
	buffer_gl0_inv
	s_and_saveexec_b32 s1, s2
	s_cbranch_execz .LBB1022_382
; %bb.381:                              ;   in Loop: Header=BB1022_12 Depth=1
	ds_load_2addr_b64 v[2:5], v67 offset1:1
	s_waitcnt lgkmcnt(0)
	v_add_nc_u32_e32 v0, v3, v2
	s_delay_alu instid0(VALU_DEP_1)
	v_add3_u32 v0, v0, v4, v5
.LBB1022_382:                           ;   in Loop: Header=BB1022_12 Depth=1
	s_or_b32 exec_lo, exec_lo, s1
	v_and_b32_e32 v2, 15, v100
	s_delay_alu instid0(VALU_DEP_2) | instskip(SKIP_1) | instid1(VALU_DEP_3)
	v_mov_b32_dpp v3, v0 row_shr:1 row_mask:0xf bank_mask:0xf
	v_and_b32_e32 v4, 16, v100
	v_cmp_eq_u32_e64 s1, 0, v2
	v_cmp_lt_u32_e64 s7, 1, v2
	v_cmp_lt_u32_e64 s8, 3, v2
	;; [unrolled: 1-line block ×3, first 2 shown]
	v_cmp_eq_u32_e64 s10, 0, v4
	v_cndmask_b32_e64 v3, v3, 0, s1
	s_delay_alu instid0(VALU_DEP_1) | instskip(NEXT) | instid1(VALU_DEP_1)
	v_add_nc_u32_e32 v0, v3, v0
	v_mov_b32_dpp v3, v0 row_shr:2 row_mask:0xf bank_mask:0xf
	s_delay_alu instid0(VALU_DEP_1) | instskip(NEXT) | instid1(VALU_DEP_1)
	v_cndmask_b32_e64 v3, 0, v3, s7
	v_add_nc_u32_e32 v0, v0, v3
	s_delay_alu instid0(VALU_DEP_1) | instskip(NEXT) | instid1(VALU_DEP_1)
	v_mov_b32_dpp v3, v0 row_shr:4 row_mask:0xf bank_mask:0xf
	v_cndmask_b32_e64 v3, 0, v3, s8
	s_delay_alu instid0(VALU_DEP_1) | instskip(NEXT) | instid1(VALU_DEP_1)
	v_add_nc_u32_e32 v0, v0, v3
	v_mov_b32_dpp v3, v0 row_shr:8 row_mask:0xf bank_mask:0xf
	s_delay_alu instid0(VALU_DEP_1) | instskip(SKIP_1) | instid1(VALU_DEP_2)
	v_cndmask_b32_e64 v2, 0, v3, s9
	v_bfe_i32 v3, v100, 4, 1
	v_add_nc_u32_e32 v0, v0, v2
	ds_swizzle_b32 v2, v0 offset:swizzle(BROADCAST,32,15)
	s_waitcnt lgkmcnt(0)
	v_and_b32_e32 v2, v3, v2
	s_delay_alu instid0(VALU_DEP_1)
	v_add_nc_u32_e32 v2, v0, v2
	s_and_saveexec_b32 s11, s3
	s_cbranch_execz .LBB1022_384
; %bb.383:                              ;   in Loop: Header=BB1022_12 Depth=1
	ds_store_b32 v68, v2
.LBB1022_384:                           ;   in Loop: Header=BB1022_12 Depth=1
	s_or_b32 exec_lo, exec_lo, s11
	v_and_b32_e32 v0, 7, v100
	s_waitcnt lgkmcnt(0)
	s_barrier
	buffer_gl0_inv
	s_and_saveexec_b32 s11, s4
	s_cbranch_execz .LBB1022_386
; %bb.385:                              ;   in Loop: Header=BB1022_12 Depth=1
	ds_load_b32 v3, v69
	v_cmp_ne_u32_e32 vcc_lo, 0, v0
	s_waitcnt lgkmcnt(0)
	v_mov_b32_dpp v4, v3 row_shr:1 row_mask:0xf bank_mask:0xf
	s_delay_alu instid0(VALU_DEP_1) | instskip(SKIP_1) | instid1(VALU_DEP_2)
	v_cndmask_b32_e32 v4, 0, v4, vcc_lo
	v_cmp_lt_u32_e32 vcc_lo, 1, v0
	v_add_nc_u32_e32 v3, v4, v3
	s_delay_alu instid0(VALU_DEP_1) | instskip(NEXT) | instid1(VALU_DEP_1)
	v_mov_b32_dpp v4, v3 row_shr:2 row_mask:0xf bank_mask:0xf
	v_cndmask_b32_e32 v4, 0, v4, vcc_lo
	v_cmp_lt_u32_e32 vcc_lo, 3, v0
	s_delay_alu instid0(VALU_DEP_2) | instskip(NEXT) | instid1(VALU_DEP_1)
	v_add_nc_u32_e32 v3, v3, v4
	v_mov_b32_dpp v4, v3 row_shr:4 row_mask:0xf bank_mask:0xf
	s_delay_alu instid0(VALU_DEP_1) | instskip(NEXT) | instid1(VALU_DEP_1)
	v_cndmask_b32_e32 v4, 0, v4, vcc_lo
	v_add_nc_u32_e32 v3, v3, v4
	ds_store_b32 v69, v3
.LBB1022_386:                           ;   in Loop: Header=BB1022_12 Depth=1
	s_or_b32 exec_lo, exec_lo, s11
	v_mov_b32_e32 v3, 0
	s_waitcnt lgkmcnt(0)
	s_barrier
	buffer_gl0_inv
	s_and_saveexec_b32 s11, s5
	s_cbranch_execz .LBB1022_388
; %bb.387:                              ;   in Loop: Header=BB1022_12 Depth=1
	ds_load_b32 v3, v70
.LBB1022_388:                           ;   in Loop: Header=BB1022_12 Depth=1
	s_or_b32 exec_lo, exec_lo, s11
	v_add_nc_u32_e32 v4, -1, v100
	s_waitcnt lgkmcnt(0)
	v_add_nc_u32_e32 v2, v3, v2
	v_cmp_eq_u32_e64 s11, 0, v100
	s_barrier
	v_cmp_gt_i32_e32 vcc_lo, 0, v4
	buffer_gl0_inv
	v_cndmask_b32_e32 v4, v4, v100, vcc_lo
	s_delay_alu instid0(VALU_DEP_1)
	v_lshlrev_b32_e32 v101, 2, v4
	ds_bpermute_b32 v2, v101, v2
	s_and_saveexec_b32 s12, s2
	s_cbranch_execz .LBB1022_390
; %bb.389:                              ;   in Loop: Header=BB1022_12 Depth=1
	s_waitcnt lgkmcnt(0)
	v_cndmask_b32_e64 v2, v2, v3, s11
	s_delay_alu instid0(VALU_DEP_1)
	v_add_nc_u32_e32 v2, s62, v2
	ds_store_b32 v47, v2
.LBB1022_390:                           ;   in Loop: Header=BB1022_12 Depth=1
	s_or_b32 exec_lo, exec_lo, s12
	s_load_b64 s[12:13], s[60:61], 0x0
	v_lshlrev_b32_e32 v3, 3, v100
	v_cmp_lt_u32_e64 s14, 3, v0
	v_or_b32_e32 v102, v100, v71
	s_mov_b32 s56, s64
	s_mov_b32 s34, s62
	v_add_co_u32 v103, vcc_lo, v88, v3
	v_add_co_ci_u32_e32 v104, vcc_lo, 0, v89, vcc_lo
	v_or_b32_e32 v105, 32, v102
	v_or_b32_e32 v106, 64, v102
	;; [unrolled: 1-line block ×10, first 2 shown]
	s_waitcnt lgkmcnt(0)
	s_cmp_lt_u32 s15, s13
	v_or_b32_e32 v115, 0x160, v102
	s_cselect_b32 s13, 14, 20
	v_or_b32_e32 v116, 0x180, v102
	s_add_u32 s16, s60, s13
	s_addc_u32 s17, s61, 0
	s_cmp_lt_u32 s26, s12
	global_load_u16 v2, v20, s[16:17]
	s_cselect_b32 s12, 12, 18
	v_or_b32_e32 v117, 0x1a0, v102
	s_add_u32 s12, s60, s12
	s_addc_u32 s13, s61, 0
	v_or_b32_e32 v118, 0x1c0, v102
	global_load_u16 v4, v20, s[12:13]
	v_cmp_eq_u32_e64 s12, 0, v0
	v_cmp_lt_u32_e64 s13, 1, v0
	v_lshlrev_b32_e32 v0, 1, v100
	v_or_b32_e32 v119, 0x1e0, v102
                                        ; implicit-def: $vgpr10_vgpr11
                                        ; implicit-def: $vgpr12_vgpr13
                                        ; implicit-def: $vgpr14_vgpr15
                                        ; implicit-def: $vgpr16_vgpr17
                                        ; implicit-def: $vgpr21_vgpr22
                                        ; implicit-def: $vgpr23_vgpr24
                                        ; implicit-def: $vgpr25_vgpr26
                                        ; implicit-def: $vgpr27_vgpr28
                                        ; implicit-def: $vgpr29_vgpr30
                                        ; implicit-def: $vgpr31_vgpr32
                                        ; implicit-def: $vgpr33_vgpr34
                                        ; implicit-def: $vgpr35_vgpr36
                                        ; implicit-def: $vgpr37_vgpr38
                                        ; implicit-def: $vgpr39_vgpr40
                                        ; implicit-def: $vgpr41_vgpr42
                                        ; implicit-def: $vgpr43_vgpr44
                                        ; implicit-def: $vgpr125
                                        ; implicit-def: $vgpr126
                                        ; implicit-def: $vgpr127
                                        ; implicit-def: $vgpr128
                                        ; implicit-def: $vgpr129
                                        ; implicit-def: $vgpr130
                                        ; implicit-def: $vgpr131
                                        ; implicit-def: $vgpr132
                                        ; implicit-def: $vgpr133
                                        ; implicit-def: $vgpr134
                                        ; implicit-def: $vgpr135
                                        ; implicit-def: $vgpr136
                                        ; implicit-def: $vgpr137
                                        ; implicit-def: $vgpr138
                                        ; implicit-def: $vgpr139
                                        ; implicit-def: $vgpr140
                                        ; implicit-def: $vgpr9
	s_delay_alu instid0(VALU_DEP_2) | instskip(SKIP_1) | instid1(VALU_DEP_2)
	v_add_co_u32 v120, vcc_lo, v90, v0
	v_add_co_ci_u32_e32 v121, vcc_lo, 0, v91, vcc_lo
	v_add_co_u32 v123, vcc_lo, 0x3c0, v120
	s_delay_alu instid0(VALU_DEP_2) | instskip(SKIP_3) | instid1(VALU_DEP_1)
	v_add_co_ci_u32_e32 v124, vcc_lo, 0, v121, vcc_lo
	s_waitcnt vmcnt(1)
	v_mad_u32_u24 v5, v72, v2, v74
	s_waitcnt vmcnt(0)
	v_mad_u64_u32 v[2:3], null, v5, v4, v[18:19]
	s_delay_alu instid0(VALU_DEP_1)
	v_lshrrev_b32_e32 v122, 5, v2
	s_branch .LBB1022_392
.LBB1022_391:                           ;   in Loop: Header=BB1022_392 Depth=2
	s_or_b32 exec_lo, exec_lo, s16
	s_addk_i32 s56, 0xf000
	s_cmp_lt_u32 s65, s63
	s_mov_b32 s34, s65
	s_cbranch_scc0 .LBB1022_600
.LBB1022_392:                           ;   Parent Loop BB1022_12 Depth=1
                                        ; =>  This Inner Loop Header: Depth=2
	s_add_i32 s65, s34, 0x1000
	s_delay_alu instid0(SALU_CYCLE_1)
	s_cmp_gt_u32 s65, s63
	s_cbranch_scc1 .LBB1022_394
; %bb.393:                              ;   in Loop: Header=BB1022_392 Depth=2
	s_mov_b32 s17, 0
	s_mov_b32 s16, s34
	s_delay_alu instid0(SALU_CYCLE_1) | instskip(NEXT) | instid1(SALU_CYCLE_1)
	s_lshl_b64 s[18:19], s[16:17], 1
	v_add_co_u32 v45, vcc_lo, v120, s18
	v_add_co_ci_u32_e32 v46, vcc_lo, s19, v121, vcc_lo
	s_mov_b32 s19, -1
	s_movk_i32 s18, 0x1000
	s_clause 0xe
	global_load_u16 v2, v[45:46], off
	global_load_u16 v3, v[45:46], off offset:128
	global_load_u16 v4, v[45:46], off offset:256
	;; [unrolled: 1-line block ×6, first 2 shown]
	global_load_d16_b16 v9, v[45:46], off offset:896
	global_load_d16_hi_b16 v2, v[45:46], off offset:64
	global_load_d16_hi_b16 v3, v[45:46], off offset:192
	;; [unrolled: 1-line block ×7, first 2 shown]
	s_cbranch_execz .LBB1022_395
	s_branch .LBB1022_412
.LBB1022_394:                           ;   in Loop: Header=BB1022_392 Depth=2
	s_mov_b32 s17, -1
	s_mov_b32 s19, 0
                                        ; implicit-def: $sgpr18
                                        ; implicit-def: $vgpr2_vgpr3_vgpr4_vgpr5_vgpr6_vgpr7_vgpr8_vgpr9
.LBB1022_395:                           ;   in Loop: Header=BB1022_392 Depth=2
	s_lshl_b64 s[16:17], s[34:35], 1
	s_mov_b32 s45, s44
	v_add_co_u32 v45, vcc_lo, v120, s16
	s_mov_b32 s46, s44
	s_mov_b32 s47, s44
	;; [unrolled: 1-line block ×6, first 2 shown]
	s_waitcnt vmcnt(0)
	v_dual_mov_b32 v2, s44 :: v_dual_mov_b32 v3, s45
	v_add_co_ci_u32_e32 v46, vcc_lo, s17, v121, vcc_lo
	v_dual_mov_b32 v4, s46 :: v_dual_mov_b32 v5, s47
	v_dual_mov_b32 v6, s48 :: v_dual_mov_b32 v7, s49
	v_dual_mov_b32 v8, s50 :: v_dual_mov_b32 v9, s51
	s_mov_b32 s16, exec_lo
	v_cmpx_gt_u32_e64 s56, v102
	s_cbranch_execz .LBB1022_586
; %bb.396:                              ;   in Loop: Header=BB1022_392 Depth=2
	v_dual_mov_b32 v0, 0x7fff0000 :: v_dual_mov_b32 v3, v1
	v_mov_b32_e32 v7, v1
	v_mov_b32_e32 v2, v1
	;; [unrolled: 1-line block ×3, first 2 shown]
	global_load_d16_b16 v0, v[45:46], off
	v_mov_b32_e32 v5, v1
	v_mov_b32_e32 v6, v1
	s_waitcnt vmcnt(0)
	v_mov_b32_e32 v9, v7
	s_delay_alu instid0(VALU_DEP_2)
	v_dual_mov_b32 v8, v6 :: v_dual_mov_b32 v7, v5
	v_mov_b32_e32 v6, v4
	v_mov_b32_e32 v5, v3
	;; [unrolled: 1-line block ×5, first 2 shown]
	s_or_b32 exec_lo, exec_lo, s16
	s_delay_alu instid0(SALU_CYCLE_1)
	s_mov_b32 s16, exec_lo
	v_cmpx_gt_u32_e64 s56, v105
	s_cbranch_execnz .LBB1022_587
.LBB1022_397:                           ;   in Loop: Header=BB1022_392 Depth=2
	s_or_b32 exec_lo, exec_lo, s16
	s_delay_alu instid0(SALU_CYCLE_1)
	s_mov_b32 s16, exec_lo
	v_cmpx_gt_u32_e64 s56, v106
	s_cbranch_execz .LBB1022_588
.LBB1022_398:                           ;   in Loop: Header=BB1022_392 Depth=2
	global_load_d16_b16 v3, v[45:46], off offset:128
	s_or_b32 exec_lo, exec_lo, s16
	s_delay_alu instid0(SALU_CYCLE_1)
	s_mov_b32 s16, exec_lo
	v_cmpx_gt_u32_e64 s56, v107
	s_cbranch_execnz .LBB1022_589
.LBB1022_399:                           ;   in Loop: Header=BB1022_392 Depth=2
	s_or_b32 exec_lo, exec_lo, s16
	s_delay_alu instid0(SALU_CYCLE_1)
	s_mov_b32 s16, exec_lo
	v_cmpx_gt_u32_e64 s56, v108
	s_cbranch_execz .LBB1022_590
.LBB1022_400:                           ;   in Loop: Header=BB1022_392 Depth=2
	global_load_d16_b16 v4, v[45:46], off offset:256
	s_or_b32 exec_lo, exec_lo, s16
	s_delay_alu instid0(SALU_CYCLE_1)
	s_mov_b32 s16, exec_lo
	v_cmpx_gt_u32_e64 s56, v109
	s_cbranch_execnz .LBB1022_591
.LBB1022_401:                           ;   in Loop: Header=BB1022_392 Depth=2
	s_or_b32 exec_lo, exec_lo, s16
	s_delay_alu instid0(SALU_CYCLE_1)
	s_mov_b32 s16, exec_lo
	v_cmpx_gt_u32_e64 s56, v110
	s_cbranch_execz .LBB1022_592
.LBB1022_402:                           ;   in Loop: Header=BB1022_392 Depth=2
	global_load_d16_b16 v5, v[45:46], off offset:384
	s_or_b32 exec_lo, exec_lo, s16
	s_delay_alu instid0(SALU_CYCLE_1)
	s_mov_b32 s16, exec_lo
	v_cmpx_gt_u32_e64 s56, v111
	s_cbranch_execnz .LBB1022_593
.LBB1022_403:                           ;   in Loop: Header=BB1022_392 Depth=2
	s_or_b32 exec_lo, exec_lo, s16
	s_delay_alu instid0(SALU_CYCLE_1)
	s_mov_b32 s16, exec_lo
	v_cmpx_gt_u32_e64 s56, v112
	s_cbranch_execz .LBB1022_594
.LBB1022_404:                           ;   in Loop: Header=BB1022_392 Depth=2
	global_load_d16_b16 v6, v[45:46], off offset:512
	s_or_b32 exec_lo, exec_lo, s16
	s_delay_alu instid0(SALU_CYCLE_1)
	s_mov_b32 s16, exec_lo
	v_cmpx_gt_u32_e64 s56, v113
	s_cbranch_execnz .LBB1022_595
.LBB1022_405:                           ;   in Loop: Header=BB1022_392 Depth=2
	s_or_b32 exec_lo, exec_lo, s16
	s_delay_alu instid0(SALU_CYCLE_1)
	s_mov_b32 s16, exec_lo
	v_cmpx_gt_u32_e64 s56, v114
	s_cbranch_execz .LBB1022_596
.LBB1022_406:                           ;   in Loop: Header=BB1022_392 Depth=2
	global_load_d16_b16 v7, v[45:46], off offset:640
	s_or_b32 exec_lo, exec_lo, s16
	s_delay_alu instid0(SALU_CYCLE_1)
	s_mov_b32 s16, exec_lo
	v_cmpx_gt_u32_e64 s56, v115
	s_cbranch_execnz .LBB1022_597
.LBB1022_407:                           ;   in Loop: Header=BB1022_392 Depth=2
	s_or_b32 exec_lo, exec_lo, s16
	s_delay_alu instid0(SALU_CYCLE_1)
	s_mov_b32 s16, exec_lo
	v_cmpx_gt_u32_e64 s56, v116
	s_cbranch_execz .LBB1022_598
.LBB1022_408:                           ;   in Loop: Header=BB1022_392 Depth=2
	global_load_d16_b16 v8, v[45:46], off offset:768
	s_or_b32 exec_lo, exec_lo, s16
	s_delay_alu instid0(SALU_CYCLE_1)
	s_mov_b32 s16, exec_lo
	v_cmpx_gt_u32_e64 s56, v117
	s_cbranch_execnz .LBB1022_599
.LBB1022_409:                           ;   in Loop: Header=BB1022_392 Depth=2
	s_or_b32 exec_lo, exec_lo, s16
	s_delay_alu instid0(SALU_CYCLE_1)
	s_mov_b32 s16, exec_lo
	v_cmpx_gt_u32_e64 s56, v118
	s_cbranch_execz .LBB1022_411
.LBB1022_410:                           ;   in Loop: Header=BB1022_392 Depth=2
	global_load_d16_b16 v9, v[45:46], off offset:896
.LBB1022_411:                           ;   in Loop: Header=BB1022_392 Depth=2
	s_or_b32 exec_lo, exec_lo, s16
	v_cmp_gt_u32_e64 s19, s56, v119
	s_sub_i32 s18, s63, s34
	s_mov_b64 s[16:17], s[34:35]
.LBB1022_412:                           ;   in Loop: Header=BB1022_392 Depth=2
	v_mov_b32_e32 v0, s56
	s_delay_alu instid0(VALU_DEP_2)
	s_and_saveexec_b32 s20, s19
	s_cbranch_execz .LBB1022_414
; %bb.413:                              ;   in Loop: Header=BB1022_392 Depth=2
	s_lshl_b64 s[16:17], s[16:17], 1
	v_mov_b32_e32 v0, s18
	v_add_co_u32 v45, vcc_lo, v123, s16
	v_add_co_ci_u32_e32 v46, vcc_lo, s17, v124, vcc_lo
	global_load_d16_hi_b16 v9, v[45:46], off
.LBB1022_414:                           ;   in Loop: Header=BB1022_392 Depth=2
	s_or_b32 exec_lo, exec_lo, s20
	s_waitcnt vmcnt(0)
	v_xor_b32_e32 v19, 0x80008000, v2
	ds_store_b32 v73, v20 offset:1056
	ds_store_2addr_b32 v75, v20, v20 offset0:1 offset1:2
	ds_store_2addr_b32 v75, v20, v20 offset0:3 offset1:4
	;; [unrolled: 1-line block ×4, first 2 shown]
	s_waitcnt lgkmcnt(0)
	s_barrier
	v_and_b32_e32 v2, 0xffff, v19
	buffer_gl0_inv
	; wave barrier
	v_lshrrev_b32_e32 v2, s42, v2
	s_delay_alu instid0(VALU_DEP_1) | instskip(NEXT) | instid1(VALU_DEP_1)
	v_and_b32_e32 v45, s43, v2
	v_and_b32_e32 v2, 1, v45
	v_lshlrev_b32_e32 v46, 30, v45
	v_lshlrev_b32_e32 v141, 29, v45
	;; [unrolled: 1-line block ×4, first 2 shown]
	v_add_co_u32 v2, s16, v2, -1
	s_delay_alu instid0(VALU_DEP_1)
	v_cndmask_b32_e64 v143, 0, 1, s16
	v_not_b32_e32 v147, v46
	v_cmp_gt_i32_e64 s16, 0, v46
	v_not_b32_e32 v46, v141
	v_lshlrev_b32_e32 v145, 26, v45
	v_cmp_ne_u32_e32 vcc_lo, 0, v143
	v_ashrrev_i32_e32 v147, 31, v147
	v_lshlrev_b32_e32 v146, 25, v45
	v_ashrrev_i32_e32 v46, 31, v46
	v_lshlrev_b32_e32 v143, 24, v45
	v_xor_b32_e32 v2, vcc_lo, v2
	v_cmp_gt_i32_e32 vcc_lo, 0, v141
	v_not_b32_e32 v141, v142
	v_xor_b32_e32 v147, s16, v147
	v_cmp_gt_i32_e64 s16, 0, v142
	v_and_b32_e32 v2, exec_lo, v2
	v_not_b32_e32 v142, v144
	v_ashrrev_i32_e32 v141, 31, v141
	v_xor_b32_e32 v46, vcc_lo, v46
	v_cmp_gt_i32_e32 vcc_lo, 0, v144
	v_and_b32_e32 v2, v2, v147
	v_not_b32_e32 v144, v145
	v_ashrrev_i32_e32 v142, 31, v142
	v_xor_b32_e32 v141, s16, v141
	v_cmp_gt_i32_e64 s16, 0, v145
	v_and_b32_e32 v2, v2, v46
	v_not_b32_e32 v46, v146
	v_ashrrev_i32_e32 v144, 31, v144
	v_xor_b32_e32 v142, vcc_lo, v142
	v_cmp_gt_i32_e32 vcc_lo, 0, v146
	v_and_b32_e32 v2, v2, v141
	v_not_b32_e32 v141, v143
	v_ashrrev_i32_e32 v46, 31, v46
	v_xor_b32_e32 v144, s16, v144
	v_cmp_gt_i32_e64 s16, 0, v143
	v_and_b32_e32 v2, v2, v142
	v_ashrrev_i32_e32 v141, 31, v141
	v_xor_b32_e32 v46, vcc_lo, v46
	v_mad_u32_u24 v45, v45, 9, v122
	s_delay_alu instid0(VALU_DEP_4) | instskip(NEXT) | instid1(VALU_DEP_4)
	v_and_b32_e32 v2, v2, v144
	v_xor_b32_e32 v141, s16, v141
	s_delay_alu instid0(VALU_DEP_3) | instskip(NEXT) | instid1(VALU_DEP_3)
	v_lshl_add_u32 v143, v45, 2, 0x420
	v_and_b32_e32 v2, v2, v46
	s_delay_alu instid0(VALU_DEP_1) | instskip(NEXT) | instid1(VALU_DEP_1)
	v_and_b32_e32 v2, v2, v141
	v_mbcnt_lo_u32_b32 v141, v2, 0
	v_cmp_ne_u32_e64 s16, 0, v2
	s_delay_alu instid0(VALU_DEP_2) | instskip(NEXT) | instid1(VALU_DEP_2)
	v_cmp_eq_u32_e32 vcc_lo, 0, v141
	s_and_b32 s17, s16, vcc_lo
	s_delay_alu instid0(SALU_CYCLE_1)
	s_and_saveexec_b32 s16, s17
	s_cbranch_execz .LBB1022_416
; %bb.415:                              ;   in Loop: Header=BB1022_392 Depth=2
	v_bcnt_u32_b32 v2, v2, 0
	ds_store_b32 v143, v2
.LBB1022_416:                           ;   in Loop: Header=BB1022_392 Depth=2
	s_or_b32 exec_lo, exec_lo, s16
	v_lshrrev_b32_e32 v142, 16, v19
	; wave barrier
	s_delay_alu instid0(VALU_DEP_1) | instskip(NEXT) | instid1(VALU_DEP_1)
	v_lshrrev_b32_e32 v2, s42, v142
	v_and_b32_e32 v2, s43, v2
	s_delay_alu instid0(VALU_DEP_1)
	v_and_b32_e32 v45, 1, v2
	v_lshlrev_b32_e32 v46, 30, v2
	v_lshlrev_b32_e32 v144, 29, v2
	;; [unrolled: 1-line block ×4, first 2 shown]
	v_add_co_u32 v45, s16, v45, -1
	s_delay_alu instid0(VALU_DEP_1)
	v_cndmask_b32_e64 v146, 0, 1, s16
	v_not_b32_e32 v150, v46
	v_cmp_gt_i32_e64 s16, 0, v46
	v_not_b32_e32 v46, v144
	v_lshlrev_b32_e32 v148, 26, v2
	v_cmp_ne_u32_e32 vcc_lo, 0, v146
	v_ashrrev_i32_e32 v150, 31, v150
	v_lshlrev_b32_e32 v149, 25, v2
	v_ashrrev_i32_e32 v46, 31, v46
	v_lshlrev_b32_e32 v146, 24, v2
	v_xor_b32_e32 v45, vcc_lo, v45
	v_cmp_gt_i32_e32 vcc_lo, 0, v144
	v_not_b32_e32 v144, v145
	v_xor_b32_e32 v150, s16, v150
	v_cmp_gt_i32_e64 s16, 0, v145
	v_and_b32_e32 v45, exec_lo, v45
	v_not_b32_e32 v145, v147
	v_ashrrev_i32_e32 v144, 31, v144
	v_xor_b32_e32 v46, vcc_lo, v46
	v_cmp_gt_i32_e32 vcc_lo, 0, v147
	v_and_b32_e32 v45, v45, v150
	v_not_b32_e32 v147, v148
	v_ashrrev_i32_e32 v145, 31, v145
	v_xor_b32_e32 v144, s16, v144
	v_cmp_gt_i32_e64 s16, 0, v148
	v_and_b32_e32 v45, v45, v46
	v_not_b32_e32 v46, v149
	v_ashrrev_i32_e32 v147, 31, v147
	v_xor_b32_e32 v145, vcc_lo, v145
	v_cmp_gt_i32_e32 vcc_lo, 0, v149
	v_and_b32_e32 v45, v45, v144
	v_not_b32_e32 v144, v146
	v_ashrrev_i32_e32 v46, 31, v46
	v_xor_b32_e32 v147, s16, v147
	v_mul_u32_u24_e32 v2, 9, v2
	v_and_b32_e32 v45, v45, v145
	v_cmp_gt_i32_e64 s16, 0, v146
	v_ashrrev_i32_e32 v144, 31, v144
	v_xor_b32_e32 v46, vcc_lo, v46
	s_delay_alu instid0(VALU_DEP_4) | instskip(SKIP_1) | instid1(VALU_DEP_4)
	v_and_b32_e32 v45, v45, v147
	v_add_lshl_u32 v147, v2, v122, 2
	v_xor_b32_e32 v2, s16, v144
	s_delay_alu instid0(VALU_DEP_3) | instskip(SKIP_3) | instid1(VALU_DEP_1)
	v_and_b32_e32 v45, v45, v46
	ds_load_b32 v145, v147 offset:1056
	v_add_nc_u32_e32 v147, 0x420, v147
	; wave barrier
	v_and_b32_e32 v2, v45, v2
	v_mbcnt_lo_u32_b32 v146, v2, 0
	v_cmp_ne_u32_e64 s16, 0, v2
	s_delay_alu instid0(VALU_DEP_2) | instskip(NEXT) | instid1(VALU_DEP_2)
	v_cmp_eq_u32_e32 vcc_lo, 0, v146
	s_and_b32 s17, s16, vcc_lo
	s_delay_alu instid0(SALU_CYCLE_1)
	s_and_saveexec_b32 s16, s17
	s_cbranch_execz .LBB1022_418
; %bb.417:                              ;   in Loop: Header=BB1022_392 Depth=2
	s_waitcnt lgkmcnt(0)
	v_bcnt_u32_b32 v2, v2, v145
	ds_store_b32 v147, v2
.LBB1022_418:                           ;   in Loop: Header=BB1022_392 Depth=2
	s_or_b32 exec_lo, exec_lo, s16
	v_xor_b32_e32 v144, 0x80008000, v3
	; wave barrier
	s_delay_alu instid0(VALU_DEP_1) | instskip(NEXT) | instid1(VALU_DEP_1)
	v_and_b32_e32 v2, 0xffff, v144
	v_lshrrev_b32_e32 v2, s42, v2
	s_delay_alu instid0(VALU_DEP_1) | instskip(NEXT) | instid1(VALU_DEP_1)
	v_and_b32_e32 v2, s43, v2
	v_and_b32_e32 v3, 1, v2
	v_lshlrev_b32_e32 v45, 30, v2
	v_lshlrev_b32_e32 v46, 29, v2
	;; [unrolled: 1-line block ×4, first 2 shown]
	v_add_co_u32 v3, s16, v3, -1
	s_delay_alu instid0(VALU_DEP_1)
	v_cndmask_b32_e64 v149, 0, 1, s16
	v_not_b32_e32 v153, v45
	v_cmp_gt_i32_e64 s16, 0, v45
	v_not_b32_e32 v45, v46
	v_lshlrev_b32_e32 v151, 26, v2
	v_cmp_ne_u32_e32 vcc_lo, 0, v149
	v_ashrrev_i32_e32 v153, 31, v153
	v_lshlrev_b32_e32 v152, 25, v2
	v_ashrrev_i32_e32 v45, 31, v45
	v_lshlrev_b32_e32 v149, 24, v2
	v_xor_b32_e32 v3, vcc_lo, v3
	v_cmp_gt_i32_e32 vcc_lo, 0, v46
	v_not_b32_e32 v46, v148
	v_xor_b32_e32 v153, s16, v153
	v_cmp_gt_i32_e64 s16, 0, v148
	v_and_b32_e32 v3, exec_lo, v3
	v_not_b32_e32 v148, v150
	v_ashrrev_i32_e32 v46, 31, v46
	v_xor_b32_e32 v45, vcc_lo, v45
	v_cmp_gt_i32_e32 vcc_lo, 0, v150
	v_and_b32_e32 v3, v3, v153
	v_not_b32_e32 v150, v151
	v_ashrrev_i32_e32 v148, 31, v148
	v_xor_b32_e32 v46, s16, v46
	v_cmp_gt_i32_e64 s16, 0, v151
	v_and_b32_e32 v3, v3, v45
	v_not_b32_e32 v45, v152
	v_ashrrev_i32_e32 v150, 31, v150
	v_xor_b32_e32 v148, vcc_lo, v148
	v_cmp_gt_i32_e32 vcc_lo, 0, v152
	v_and_b32_e32 v3, v3, v46
	v_not_b32_e32 v46, v149
	v_ashrrev_i32_e32 v45, 31, v45
	v_xor_b32_e32 v150, s16, v150
	v_mul_u32_u24_e32 v2, 9, v2
	v_and_b32_e32 v3, v3, v148
	v_cmp_gt_i32_e64 s16, 0, v149
	v_ashrrev_i32_e32 v46, 31, v46
	v_xor_b32_e32 v45, vcc_lo, v45
	v_add_lshl_u32 v148, v2, v122, 2
	v_and_b32_e32 v3, v3, v150
	s_delay_alu instid0(VALU_DEP_4) | instskip(SKIP_3) | instid1(VALU_DEP_2)
	v_xor_b32_e32 v2, s16, v46
	ds_load_b32 v149, v148 offset:1056
	v_and_b32_e32 v3, v3, v45
	v_add_nc_u32_e32 v151, 0x420, v148
	; wave barrier
	v_and_b32_e32 v2, v3, v2
	s_delay_alu instid0(VALU_DEP_1) | instskip(SKIP_1) | instid1(VALU_DEP_2)
	v_mbcnt_lo_u32_b32 v150, v2, 0
	v_cmp_ne_u32_e64 s16, 0, v2
	v_cmp_eq_u32_e32 vcc_lo, 0, v150
	s_delay_alu instid0(VALU_DEP_2) | instskip(NEXT) | instid1(SALU_CYCLE_1)
	s_and_b32 s17, s16, vcc_lo
	s_and_saveexec_b32 s16, s17
	s_cbranch_execz .LBB1022_420
; %bb.419:                              ;   in Loop: Header=BB1022_392 Depth=2
	s_waitcnt lgkmcnt(0)
	v_bcnt_u32_b32 v2, v2, v149
	ds_store_b32 v151, v2
.LBB1022_420:                           ;   in Loop: Header=BB1022_392 Depth=2
	s_or_b32 exec_lo, exec_lo, s16
	v_lshrrev_b32_e32 v148, 16, v144
	; wave barrier
	s_delay_alu instid0(VALU_DEP_1) | instskip(NEXT) | instid1(VALU_DEP_1)
	v_lshrrev_b32_e32 v2, s42, v148
	v_and_b32_e32 v2, s43, v2
	s_delay_alu instid0(VALU_DEP_1)
	v_and_b32_e32 v3, 1, v2
	v_lshlrev_b32_e32 v45, 30, v2
	v_lshlrev_b32_e32 v46, 29, v2
	;; [unrolled: 1-line block ×4, first 2 shown]
	v_add_co_u32 v3, s16, v3, -1
	s_delay_alu instid0(VALU_DEP_1)
	v_cndmask_b32_e64 v153, 0, 1, s16
	v_not_b32_e32 v157, v45
	v_cmp_gt_i32_e64 s16, 0, v45
	v_not_b32_e32 v45, v46
	v_lshlrev_b32_e32 v155, 26, v2
	v_cmp_ne_u32_e32 vcc_lo, 0, v153
	v_ashrrev_i32_e32 v157, 31, v157
	v_lshlrev_b32_e32 v156, 25, v2
	v_ashrrev_i32_e32 v45, 31, v45
	v_lshlrev_b32_e32 v153, 24, v2
	v_xor_b32_e32 v3, vcc_lo, v3
	v_cmp_gt_i32_e32 vcc_lo, 0, v46
	v_not_b32_e32 v46, v152
	v_xor_b32_e32 v157, s16, v157
	v_cmp_gt_i32_e64 s16, 0, v152
	v_and_b32_e32 v3, exec_lo, v3
	v_not_b32_e32 v152, v154
	v_ashrrev_i32_e32 v46, 31, v46
	v_xor_b32_e32 v45, vcc_lo, v45
	v_cmp_gt_i32_e32 vcc_lo, 0, v154
	v_and_b32_e32 v3, v3, v157
	v_not_b32_e32 v154, v155
	v_ashrrev_i32_e32 v152, 31, v152
	v_xor_b32_e32 v46, s16, v46
	v_cmp_gt_i32_e64 s16, 0, v155
	v_and_b32_e32 v3, v3, v45
	v_not_b32_e32 v45, v156
	v_ashrrev_i32_e32 v154, 31, v154
	v_xor_b32_e32 v152, vcc_lo, v152
	v_cmp_gt_i32_e32 vcc_lo, 0, v156
	v_and_b32_e32 v3, v3, v46
	v_not_b32_e32 v46, v153
	v_ashrrev_i32_e32 v45, 31, v45
	v_xor_b32_e32 v154, s16, v154
	v_mul_u32_u24_e32 v2, 9, v2
	v_and_b32_e32 v3, v3, v152
	v_cmp_gt_i32_e64 s16, 0, v153
	v_ashrrev_i32_e32 v46, 31, v46
	v_xor_b32_e32 v45, vcc_lo, v45
	v_add_lshl_u32 v152, v2, v122, 2
	v_and_b32_e32 v3, v3, v154
	s_delay_alu instid0(VALU_DEP_4) | instskip(SKIP_3) | instid1(VALU_DEP_2)
	v_xor_b32_e32 v2, s16, v46
	ds_load_b32 v153, v152 offset:1056
	v_and_b32_e32 v3, v3, v45
	v_add_nc_u32_e32 v155, 0x420, v152
	; wave barrier
	v_and_b32_e32 v2, v3, v2
	s_delay_alu instid0(VALU_DEP_1) | instskip(SKIP_1) | instid1(VALU_DEP_2)
	v_mbcnt_lo_u32_b32 v154, v2, 0
	v_cmp_ne_u32_e64 s16, 0, v2
	v_cmp_eq_u32_e32 vcc_lo, 0, v154
	s_delay_alu instid0(VALU_DEP_2) | instskip(NEXT) | instid1(SALU_CYCLE_1)
	s_and_b32 s17, s16, vcc_lo
	s_and_saveexec_b32 s16, s17
	s_cbranch_execz .LBB1022_422
; %bb.421:                              ;   in Loop: Header=BB1022_392 Depth=2
	s_waitcnt lgkmcnt(0)
	v_bcnt_u32_b32 v2, v2, v153
	ds_store_b32 v155, v2
.LBB1022_422:                           ;   in Loop: Header=BB1022_392 Depth=2
	s_or_b32 exec_lo, exec_lo, s16
	v_xor_b32_e32 v152, 0x80008000, v4
	; wave barrier
	s_delay_alu instid0(VALU_DEP_1) | instskip(NEXT) | instid1(VALU_DEP_1)
	v_and_b32_e32 v2, 0xffff, v152
	v_lshrrev_b32_e32 v2, s42, v2
	s_delay_alu instid0(VALU_DEP_1) | instskip(NEXT) | instid1(VALU_DEP_1)
	v_and_b32_e32 v2, s43, v2
	v_and_b32_e32 v3, 1, v2
	v_lshlrev_b32_e32 v4, 30, v2
	v_lshlrev_b32_e32 v45, 29, v2
	;; [unrolled: 1-line block ×4, first 2 shown]
	v_add_co_u32 v3, s16, v3, -1
	s_delay_alu instid0(VALU_DEP_1)
	v_cndmask_b32_e64 v156, 0, 1, s16
	v_not_b32_e32 v160, v4
	v_cmp_gt_i32_e64 s16, 0, v4
	v_not_b32_e32 v4, v45
	v_lshlrev_b32_e32 v158, 26, v2
	v_cmp_ne_u32_e32 vcc_lo, 0, v156
	v_ashrrev_i32_e32 v160, 31, v160
	v_lshlrev_b32_e32 v159, 25, v2
	v_ashrrev_i32_e32 v4, 31, v4
	v_lshlrev_b32_e32 v156, 24, v2
	v_xor_b32_e32 v3, vcc_lo, v3
	v_cmp_gt_i32_e32 vcc_lo, 0, v45
	v_not_b32_e32 v45, v46
	v_xor_b32_e32 v160, s16, v160
	v_cmp_gt_i32_e64 s16, 0, v46
	v_and_b32_e32 v3, exec_lo, v3
	v_not_b32_e32 v46, v157
	v_ashrrev_i32_e32 v45, 31, v45
	v_xor_b32_e32 v4, vcc_lo, v4
	v_cmp_gt_i32_e32 vcc_lo, 0, v157
	v_and_b32_e32 v3, v3, v160
	v_not_b32_e32 v157, v158
	v_ashrrev_i32_e32 v46, 31, v46
	v_xor_b32_e32 v45, s16, v45
	v_cmp_gt_i32_e64 s16, 0, v158
	v_and_b32_e32 v3, v3, v4
	v_not_b32_e32 v4, v159
	v_ashrrev_i32_e32 v157, 31, v157
	v_xor_b32_e32 v46, vcc_lo, v46
	v_cmp_gt_i32_e32 vcc_lo, 0, v159
	v_and_b32_e32 v3, v3, v45
	v_not_b32_e32 v45, v156
	v_ashrrev_i32_e32 v4, 31, v4
	v_xor_b32_e32 v157, s16, v157
	v_mul_u32_u24_e32 v2, 9, v2
	v_and_b32_e32 v3, v3, v46
	v_cmp_gt_i32_e64 s16, 0, v156
	v_ashrrev_i32_e32 v45, 31, v45
	v_xor_b32_e32 v4, vcc_lo, v4
	v_add_lshl_u32 v46, v2, v122, 2
	v_and_b32_e32 v3, v3, v157
	s_delay_alu instid0(VALU_DEP_4) | instskip(SKIP_3) | instid1(VALU_DEP_2)
	v_xor_b32_e32 v2, s16, v45
	ds_load_b32 v157, v46 offset:1056
	v_and_b32_e32 v3, v3, v4
	v_add_nc_u32_e32 v159, 0x420, v46
	; wave barrier
	v_and_b32_e32 v2, v3, v2
	s_delay_alu instid0(VALU_DEP_1) | instskip(SKIP_1) | instid1(VALU_DEP_2)
	v_mbcnt_lo_u32_b32 v158, v2, 0
	v_cmp_ne_u32_e64 s16, 0, v2
	v_cmp_eq_u32_e32 vcc_lo, 0, v158
	s_delay_alu instid0(VALU_DEP_2) | instskip(NEXT) | instid1(SALU_CYCLE_1)
	s_and_b32 s17, s16, vcc_lo
	s_and_saveexec_b32 s16, s17
	s_cbranch_execz .LBB1022_424
; %bb.423:                              ;   in Loop: Header=BB1022_392 Depth=2
	s_waitcnt lgkmcnt(0)
	v_bcnt_u32_b32 v2, v2, v157
	ds_store_b32 v159, v2
.LBB1022_424:                           ;   in Loop: Header=BB1022_392 Depth=2
	s_or_b32 exec_lo, exec_lo, s16
	v_lshrrev_b32_e32 v156, 16, v152
	; wave barrier
	s_delay_alu instid0(VALU_DEP_1) | instskip(NEXT) | instid1(VALU_DEP_1)
	v_lshrrev_b32_e32 v2, s42, v156
	v_and_b32_e32 v2, s43, v2
	s_delay_alu instid0(VALU_DEP_1)
	v_and_b32_e32 v3, 1, v2
	v_lshlrev_b32_e32 v4, 30, v2
	v_lshlrev_b32_e32 v45, 29, v2
	;; [unrolled: 1-line block ×4, first 2 shown]
	v_add_co_u32 v3, s16, v3, -1
	s_delay_alu instid0(VALU_DEP_1)
	v_cndmask_b32_e64 v160, 0, 1, s16
	v_not_b32_e32 v164, v4
	v_cmp_gt_i32_e64 s16, 0, v4
	v_not_b32_e32 v4, v45
	v_lshlrev_b32_e32 v162, 26, v2
	v_cmp_ne_u32_e32 vcc_lo, 0, v160
	v_ashrrev_i32_e32 v164, 31, v164
	v_lshlrev_b32_e32 v163, 25, v2
	v_ashrrev_i32_e32 v4, 31, v4
	v_lshlrev_b32_e32 v160, 24, v2
	v_xor_b32_e32 v3, vcc_lo, v3
	v_cmp_gt_i32_e32 vcc_lo, 0, v45
	v_not_b32_e32 v45, v46
	v_xor_b32_e32 v164, s16, v164
	v_cmp_gt_i32_e64 s16, 0, v46
	v_and_b32_e32 v3, exec_lo, v3
	v_not_b32_e32 v46, v161
	v_ashrrev_i32_e32 v45, 31, v45
	v_xor_b32_e32 v4, vcc_lo, v4
	v_cmp_gt_i32_e32 vcc_lo, 0, v161
	v_and_b32_e32 v3, v3, v164
	v_not_b32_e32 v161, v162
	v_ashrrev_i32_e32 v46, 31, v46
	v_xor_b32_e32 v45, s16, v45
	v_cmp_gt_i32_e64 s16, 0, v162
	v_and_b32_e32 v3, v3, v4
	v_not_b32_e32 v4, v163
	v_ashrrev_i32_e32 v161, 31, v161
	v_xor_b32_e32 v46, vcc_lo, v46
	v_cmp_gt_i32_e32 vcc_lo, 0, v163
	v_and_b32_e32 v3, v3, v45
	v_not_b32_e32 v45, v160
	v_ashrrev_i32_e32 v4, 31, v4
	v_xor_b32_e32 v161, s16, v161
	v_mul_u32_u24_e32 v2, 9, v2
	v_and_b32_e32 v3, v3, v46
	v_cmp_gt_i32_e64 s16, 0, v160
	v_ashrrev_i32_e32 v45, 31, v45
	v_xor_b32_e32 v4, vcc_lo, v4
	v_add_lshl_u32 v46, v2, v122, 2
	v_and_b32_e32 v3, v3, v161
	s_delay_alu instid0(VALU_DEP_4) | instskip(SKIP_3) | instid1(VALU_DEP_2)
	v_xor_b32_e32 v2, s16, v45
	ds_load_b32 v161, v46 offset:1056
	v_and_b32_e32 v3, v3, v4
	v_add_nc_u32_e32 v163, 0x420, v46
	; wave barrier
	v_and_b32_e32 v2, v3, v2
	s_delay_alu instid0(VALU_DEP_1) | instskip(SKIP_1) | instid1(VALU_DEP_2)
	v_mbcnt_lo_u32_b32 v162, v2, 0
	v_cmp_ne_u32_e64 s16, 0, v2
	v_cmp_eq_u32_e32 vcc_lo, 0, v162
	s_delay_alu instid0(VALU_DEP_2) | instskip(NEXT) | instid1(SALU_CYCLE_1)
	s_and_b32 s17, s16, vcc_lo
	s_and_saveexec_b32 s16, s17
	s_cbranch_execz .LBB1022_426
; %bb.425:                              ;   in Loop: Header=BB1022_392 Depth=2
	s_waitcnt lgkmcnt(0)
	v_bcnt_u32_b32 v2, v2, v161
	ds_store_b32 v163, v2
.LBB1022_426:                           ;   in Loop: Header=BB1022_392 Depth=2
	s_or_b32 exec_lo, exec_lo, s16
	v_xor_b32_e32 v160, 0x80008000, v5
	; wave barrier
	s_delay_alu instid0(VALU_DEP_1) | instskip(NEXT) | instid1(VALU_DEP_1)
	v_and_b32_e32 v2, 0xffff, v160
	v_lshrrev_b32_e32 v2, s42, v2
	s_delay_alu instid0(VALU_DEP_1) | instskip(NEXT) | instid1(VALU_DEP_1)
	v_and_b32_e32 v2, s43, v2
	v_and_b32_e32 v3, 1, v2
	v_lshlrev_b32_e32 v4, 30, v2
	v_lshlrev_b32_e32 v5, 29, v2
	;; [unrolled: 1-line block ×4, first 2 shown]
	v_add_co_u32 v3, s16, v3, -1
	s_delay_alu instid0(VALU_DEP_1)
	v_cndmask_b32_e64 v46, 0, 1, s16
	v_not_b32_e32 v167, v4
	v_cmp_gt_i32_e64 s16, 0, v4
	v_not_b32_e32 v4, v5
	v_lshlrev_b32_e32 v165, 26, v2
	v_cmp_ne_u32_e32 vcc_lo, 0, v46
	v_ashrrev_i32_e32 v167, 31, v167
	v_lshlrev_b32_e32 v166, 25, v2
	v_ashrrev_i32_e32 v4, 31, v4
	v_lshlrev_b32_e32 v46, 24, v2
	v_xor_b32_e32 v3, vcc_lo, v3
	v_cmp_gt_i32_e32 vcc_lo, 0, v5
	v_not_b32_e32 v5, v45
	v_xor_b32_e32 v167, s16, v167
	v_cmp_gt_i32_e64 s16, 0, v45
	v_and_b32_e32 v3, exec_lo, v3
	v_not_b32_e32 v45, v164
	v_ashrrev_i32_e32 v5, 31, v5
	v_xor_b32_e32 v4, vcc_lo, v4
	v_cmp_gt_i32_e32 vcc_lo, 0, v164
	v_and_b32_e32 v3, v3, v167
	v_not_b32_e32 v164, v165
	v_ashrrev_i32_e32 v45, 31, v45
	v_xor_b32_e32 v5, s16, v5
	v_cmp_gt_i32_e64 s16, 0, v165
	v_and_b32_e32 v3, v3, v4
	v_not_b32_e32 v4, v166
	v_ashrrev_i32_e32 v164, 31, v164
	v_xor_b32_e32 v45, vcc_lo, v45
	v_cmp_gt_i32_e32 vcc_lo, 0, v166
	v_and_b32_e32 v3, v3, v5
	v_not_b32_e32 v5, v46
	v_ashrrev_i32_e32 v4, 31, v4
	v_xor_b32_e32 v164, s16, v164
	v_mul_u32_u24_e32 v2, 9, v2
	v_and_b32_e32 v3, v3, v45
	v_cmp_gt_i32_e64 s16, 0, v46
	v_ashrrev_i32_e32 v5, 31, v5
	v_xor_b32_e32 v4, vcc_lo, v4
	v_add_lshl_u32 v45, v2, v122, 2
	v_and_b32_e32 v3, v3, v164
	s_delay_alu instid0(VALU_DEP_4) | instskip(SKIP_3) | instid1(VALU_DEP_2)
	v_xor_b32_e32 v2, s16, v5
	ds_load_b32 v165, v45 offset:1056
	v_and_b32_e32 v3, v3, v4
	v_add_nc_u32_e32 v167, 0x420, v45
	; wave barrier
	v_and_b32_e32 v2, v3, v2
	s_delay_alu instid0(VALU_DEP_1) | instskip(SKIP_1) | instid1(VALU_DEP_2)
	v_mbcnt_lo_u32_b32 v166, v2, 0
	v_cmp_ne_u32_e64 s16, 0, v2
	v_cmp_eq_u32_e32 vcc_lo, 0, v166
	s_delay_alu instid0(VALU_DEP_2) | instskip(NEXT) | instid1(SALU_CYCLE_1)
	s_and_b32 s17, s16, vcc_lo
	s_and_saveexec_b32 s16, s17
	s_cbranch_execz .LBB1022_428
; %bb.427:                              ;   in Loop: Header=BB1022_392 Depth=2
	s_waitcnt lgkmcnt(0)
	v_bcnt_u32_b32 v2, v2, v165
	ds_store_b32 v167, v2
.LBB1022_428:                           ;   in Loop: Header=BB1022_392 Depth=2
	s_or_b32 exec_lo, exec_lo, s16
	v_lshrrev_b32_e32 v164, 16, v160
	; wave barrier
	s_delay_alu instid0(VALU_DEP_1) | instskip(NEXT) | instid1(VALU_DEP_1)
	v_lshrrev_b32_e32 v2, s42, v164
	v_and_b32_e32 v2, s43, v2
	s_delay_alu instid0(VALU_DEP_1)
	v_and_b32_e32 v3, 1, v2
	v_lshlrev_b32_e32 v4, 30, v2
	v_lshlrev_b32_e32 v5, 29, v2
	;; [unrolled: 1-line block ×4, first 2 shown]
	v_add_co_u32 v3, s16, v3, -1
	s_delay_alu instid0(VALU_DEP_1)
	v_cndmask_b32_e64 v46, 0, 1, s16
	v_not_b32_e32 v171, v4
	v_cmp_gt_i32_e64 s16, 0, v4
	v_not_b32_e32 v4, v5
	v_lshlrev_b32_e32 v169, 26, v2
	v_cmp_ne_u32_e32 vcc_lo, 0, v46
	v_ashrrev_i32_e32 v171, 31, v171
	v_lshlrev_b32_e32 v170, 25, v2
	v_ashrrev_i32_e32 v4, 31, v4
	v_lshlrev_b32_e32 v46, 24, v2
	v_xor_b32_e32 v3, vcc_lo, v3
	v_cmp_gt_i32_e32 vcc_lo, 0, v5
	v_not_b32_e32 v5, v45
	v_xor_b32_e32 v171, s16, v171
	v_cmp_gt_i32_e64 s16, 0, v45
	v_and_b32_e32 v3, exec_lo, v3
	v_not_b32_e32 v45, v168
	v_ashrrev_i32_e32 v5, 31, v5
	v_xor_b32_e32 v4, vcc_lo, v4
	v_cmp_gt_i32_e32 vcc_lo, 0, v168
	v_and_b32_e32 v3, v3, v171
	v_not_b32_e32 v168, v169
	v_ashrrev_i32_e32 v45, 31, v45
	v_xor_b32_e32 v5, s16, v5
	v_cmp_gt_i32_e64 s16, 0, v169
	v_and_b32_e32 v3, v3, v4
	v_not_b32_e32 v4, v170
	v_ashrrev_i32_e32 v168, 31, v168
	v_xor_b32_e32 v45, vcc_lo, v45
	v_cmp_gt_i32_e32 vcc_lo, 0, v170
	v_and_b32_e32 v3, v3, v5
	v_not_b32_e32 v5, v46
	v_ashrrev_i32_e32 v4, 31, v4
	v_xor_b32_e32 v168, s16, v168
	v_mul_u32_u24_e32 v2, 9, v2
	v_and_b32_e32 v3, v3, v45
	v_cmp_gt_i32_e64 s16, 0, v46
	v_ashrrev_i32_e32 v5, 31, v5
	v_xor_b32_e32 v4, vcc_lo, v4
	v_add_lshl_u32 v45, v2, v122, 2
	v_and_b32_e32 v3, v3, v168
	s_delay_alu instid0(VALU_DEP_4) | instskip(SKIP_3) | instid1(VALU_DEP_2)
	v_xor_b32_e32 v2, s16, v5
	ds_load_b32 v169, v45 offset:1056
	v_and_b32_e32 v3, v3, v4
	v_add_nc_u32_e32 v171, 0x420, v45
	; wave barrier
	v_and_b32_e32 v2, v3, v2
	s_delay_alu instid0(VALU_DEP_1) | instskip(SKIP_1) | instid1(VALU_DEP_2)
	v_mbcnt_lo_u32_b32 v170, v2, 0
	v_cmp_ne_u32_e64 s16, 0, v2
	v_cmp_eq_u32_e32 vcc_lo, 0, v170
	s_delay_alu instid0(VALU_DEP_2) | instskip(NEXT) | instid1(SALU_CYCLE_1)
	s_and_b32 s17, s16, vcc_lo
	s_and_saveexec_b32 s16, s17
	s_cbranch_execz .LBB1022_430
; %bb.429:                              ;   in Loop: Header=BB1022_392 Depth=2
	s_waitcnt lgkmcnt(0)
	v_bcnt_u32_b32 v2, v2, v169
	ds_store_b32 v171, v2
.LBB1022_430:                           ;   in Loop: Header=BB1022_392 Depth=2
	s_or_b32 exec_lo, exec_lo, s16
	v_xor_b32_e32 v168, 0x80008000, v6
	; wave barrier
	s_delay_alu instid0(VALU_DEP_1) | instskip(NEXT) | instid1(VALU_DEP_1)
	v_and_b32_e32 v2, 0xffff, v168
	v_lshrrev_b32_e32 v2, s42, v2
	s_delay_alu instid0(VALU_DEP_1) | instskip(NEXT) | instid1(VALU_DEP_1)
	v_and_b32_e32 v2, s43, v2
	v_and_b32_e32 v3, 1, v2
	v_lshlrev_b32_e32 v4, 30, v2
	v_lshlrev_b32_e32 v5, 29, v2
	;; [unrolled: 1-line block ×4, first 2 shown]
	v_add_co_u32 v3, s16, v3, -1
	s_delay_alu instid0(VALU_DEP_1)
	v_cndmask_b32_e64 v45, 0, 1, s16
	v_not_b32_e32 v174, v4
	v_cmp_gt_i32_e64 s16, 0, v4
	v_not_b32_e32 v4, v5
	v_lshlrev_b32_e32 v172, 26, v2
	v_cmp_ne_u32_e32 vcc_lo, 0, v45
	v_ashrrev_i32_e32 v174, 31, v174
	v_lshlrev_b32_e32 v173, 25, v2
	v_ashrrev_i32_e32 v4, 31, v4
	v_lshlrev_b32_e32 v45, 24, v2
	v_xor_b32_e32 v3, vcc_lo, v3
	v_cmp_gt_i32_e32 vcc_lo, 0, v5
	v_not_b32_e32 v5, v6
	v_xor_b32_e32 v174, s16, v174
	v_cmp_gt_i32_e64 s16, 0, v6
	v_and_b32_e32 v3, exec_lo, v3
	v_not_b32_e32 v6, v46
	v_ashrrev_i32_e32 v5, 31, v5
	v_xor_b32_e32 v4, vcc_lo, v4
	v_cmp_gt_i32_e32 vcc_lo, 0, v46
	v_and_b32_e32 v3, v3, v174
	v_not_b32_e32 v46, v172
	v_ashrrev_i32_e32 v6, 31, v6
	v_xor_b32_e32 v5, s16, v5
	v_cmp_gt_i32_e64 s16, 0, v172
	v_and_b32_e32 v3, v3, v4
	v_not_b32_e32 v4, v173
	v_ashrrev_i32_e32 v46, 31, v46
	v_xor_b32_e32 v6, vcc_lo, v6
	v_cmp_gt_i32_e32 vcc_lo, 0, v173
	v_and_b32_e32 v3, v3, v5
	v_not_b32_e32 v5, v45
	v_ashrrev_i32_e32 v4, 31, v4
	v_xor_b32_e32 v46, s16, v46
	v_mul_u32_u24_e32 v2, 9, v2
	v_and_b32_e32 v3, v3, v6
	v_cmp_gt_i32_e64 s16, 0, v45
	v_ashrrev_i32_e32 v5, 31, v5
	v_xor_b32_e32 v4, vcc_lo, v4
	v_add_lshl_u32 v6, v2, v122, 2
	v_and_b32_e32 v3, v3, v46
	s_delay_alu instid0(VALU_DEP_4) | instskip(SKIP_3) | instid1(VALU_DEP_2)
	v_xor_b32_e32 v2, s16, v5
	ds_load_b32 v173, v6 offset:1056
	v_and_b32_e32 v3, v3, v4
	v_add_nc_u32_e32 v175, 0x420, v6
	; wave barrier
	v_and_b32_e32 v2, v3, v2
	s_delay_alu instid0(VALU_DEP_1) | instskip(SKIP_1) | instid1(VALU_DEP_2)
	v_mbcnt_lo_u32_b32 v174, v2, 0
	v_cmp_ne_u32_e64 s16, 0, v2
	v_cmp_eq_u32_e32 vcc_lo, 0, v174
	s_delay_alu instid0(VALU_DEP_2) | instskip(NEXT) | instid1(SALU_CYCLE_1)
	s_and_b32 s17, s16, vcc_lo
	s_and_saveexec_b32 s16, s17
	s_cbranch_execz .LBB1022_432
; %bb.431:                              ;   in Loop: Header=BB1022_392 Depth=2
	s_waitcnt lgkmcnt(0)
	v_bcnt_u32_b32 v2, v2, v173
	ds_store_b32 v175, v2
.LBB1022_432:                           ;   in Loop: Header=BB1022_392 Depth=2
	s_or_b32 exec_lo, exec_lo, s16
	v_lshrrev_b32_e32 v172, 16, v168
	; wave barrier
	s_delay_alu instid0(VALU_DEP_1) | instskip(NEXT) | instid1(VALU_DEP_1)
	v_lshrrev_b32_e32 v2, s42, v172
	v_and_b32_e32 v2, s43, v2
	s_delay_alu instid0(VALU_DEP_1)
	v_and_b32_e32 v3, 1, v2
	v_lshlrev_b32_e32 v4, 30, v2
	v_lshlrev_b32_e32 v5, 29, v2
	;; [unrolled: 1-line block ×4, first 2 shown]
	v_add_co_u32 v3, s16, v3, -1
	s_delay_alu instid0(VALU_DEP_1)
	v_cndmask_b32_e64 v45, 0, 1, s16
	v_not_b32_e32 v178, v4
	v_cmp_gt_i32_e64 s16, 0, v4
	v_not_b32_e32 v4, v5
	v_lshlrev_b32_e32 v176, 26, v2
	v_cmp_ne_u32_e32 vcc_lo, 0, v45
	v_ashrrev_i32_e32 v178, 31, v178
	v_lshlrev_b32_e32 v177, 25, v2
	v_ashrrev_i32_e32 v4, 31, v4
	v_lshlrev_b32_e32 v45, 24, v2
	v_xor_b32_e32 v3, vcc_lo, v3
	v_cmp_gt_i32_e32 vcc_lo, 0, v5
	v_not_b32_e32 v5, v6
	v_xor_b32_e32 v178, s16, v178
	v_cmp_gt_i32_e64 s16, 0, v6
	v_and_b32_e32 v3, exec_lo, v3
	v_not_b32_e32 v6, v46
	v_ashrrev_i32_e32 v5, 31, v5
	v_xor_b32_e32 v4, vcc_lo, v4
	v_cmp_gt_i32_e32 vcc_lo, 0, v46
	v_and_b32_e32 v3, v3, v178
	v_not_b32_e32 v46, v176
	v_ashrrev_i32_e32 v6, 31, v6
	v_xor_b32_e32 v5, s16, v5
	v_cmp_gt_i32_e64 s16, 0, v176
	v_and_b32_e32 v3, v3, v4
	v_not_b32_e32 v4, v177
	v_ashrrev_i32_e32 v46, 31, v46
	v_xor_b32_e32 v6, vcc_lo, v6
	v_cmp_gt_i32_e32 vcc_lo, 0, v177
	v_and_b32_e32 v3, v3, v5
	v_not_b32_e32 v5, v45
	v_ashrrev_i32_e32 v4, 31, v4
	v_xor_b32_e32 v46, s16, v46
	v_mul_u32_u24_e32 v2, 9, v2
	v_and_b32_e32 v3, v3, v6
	v_cmp_gt_i32_e64 s16, 0, v45
	v_ashrrev_i32_e32 v5, 31, v5
	v_xor_b32_e32 v4, vcc_lo, v4
	v_add_lshl_u32 v6, v2, v122, 2
	v_and_b32_e32 v3, v3, v46
	s_delay_alu instid0(VALU_DEP_4) | instskip(SKIP_3) | instid1(VALU_DEP_2)
	v_xor_b32_e32 v2, s16, v5
	ds_load_b32 v177, v6 offset:1056
	v_and_b32_e32 v3, v3, v4
	v_add_nc_u32_e32 v179, 0x420, v6
	; wave barrier
	v_and_b32_e32 v2, v3, v2
	s_delay_alu instid0(VALU_DEP_1) | instskip(SKIP_1) | instid1(VALU_DEP_2)
	v_mbcnt_lo_u32_b32 v178, v2, 0
	v_cmp_ne_u32_e64 s16, 0, v2
	v_cmp_eq_u32_e32 vcc_lo, 0, v178
	s_delay_alu instid0(VALU_DEP_2) | instskip(NEXT) | instid1(SALU_CYCLE_1)
	s_and_b32 s17, s16, vcc_lo
	s_and_saveexec_b32 s16, s17
	s_cbranch_execz .LBB1022_434
; %bb.433:                              ;   in Loop: Header=BB1022_392 Depth=2
	s_waitcnt lgkmcnt(0)
	v_bcnt_u32_b32 v2, v2, v177
	ds_store_b32 v179, v2
.LBB1022_434:                           ;   in Loop: Header=BB1022_392 Depth=2
	s_or_b32 exec_lo, exec_lo, s16
	v_xor_b32_e32 v176, 0x80008000, v7
	; wave barrier
	s_delay_alu instid0(VALU_DEP_1) | instskip(NEXT) | instid1(VALU_DEP_1)
	v_and_b32_e32 v2, 0xffff, v176
	v_lshrrev_b32_e32 v2, s42, v2
	s_delay_alu instid0(VALU_DEP_1) | instskip(NEXT) | instid1(VALU_DEP_1)
	v_and_b32_e32 v2, s43, v2
	v_and_b32_e32 v3, 1, v2
	v_lshlrev_b32_e32 v4, 30, v2
	v_lshlrev_b32_e32 v5, 29, v2
	;; [unrolled: 1-line block ×4, first 2 shown]
	v_add_co_u32 v3, s16, v3, -1
	s_delay_alu instid0(VALU_DEP_1)
	v_cndmask_b32_e64 v7, 0, 1, s16
	v_not_b32_e32 v181, v4
	v_cmp_gt_i32_e64 s16, 0, v4
	v_not_b32_e32 v4, v5
	v_lshlrev_b32_e32 v46, 26, v2
	v_cmp_ne_u32_e32 vcc_lo, 0, v7
	v_ashrrev_i32_e32 v181, 31, v181
	v_lshlrev_b32_e32 v180, 25, v2
	v_ashrrev_i32_e32 v4, 31, v4
	v_lshlrev_b32_e32 v7, 24, v2
	v_xor_b32_e32 v3, vcc_lo, v3
	v_cmp_gt_i32_e32 vcc_lo, 0, v5
	v_not_b32_e32 v5, v6
	v_xor_b32_e32 v181, s16, v181
	v_cmp_gt_i32_e64 s16, 0, v6
	v_and_b32_e32 v3, exec_lo, v3
	v_not_b32_e32 v6, v45
	v_ashrrev_i32_e32 v5, 31, v5
	v_xor_b32_e32 v4, vcc_lo, v4
	v_cmp_gt_i32_e32 vcc_lo, 0, v45
	v_and_b32_e32 v3, v3, v181
	v_not_b32_e32 v45, v46
	v_ashrrev_i32_e32 v6, 31, v6
	v_xor_b32_e32 v5, s16, v5
	v_cmp_gt_i32_e64 s16, 0, v46
	v_and_b32_e32 v3, v3, v4
	v_not_b32_e32 v4, v180
	v_ashrrev_i32_e32 v45, 31, v45
	v_xor_b32_e32 v6, vcc_lo, v6
	v_cmp_gt_i32_e32 vcc_lo, 0, v180
	v_and_b32_e32 v3, v3, v5
	v_not_b32_e32 v5, v7
	v_ashrrev_i32_e32 v4, 31, v4
	v_xor_b32_e32 v45, s16, v45
	v_mul_u32_u24_e32 v2, 9, v2
	v_and_b32_e32 v3, v3, v6
	v_cmp_gt_i32_e64 s16, 0, v7
	v_ashrrev_i32_e32 v5, 31, v5
	v_xor_b32_e32 v4, vcc_lo, v4
	v_add_lshl_u32 v6, v2, v122, 2
	v_and_b32_e32 v3, v3, v45
	s_delay_alu instid0(VALU_DEP_4) | instskip(SKIP_3) | instid1(VALU_DEP_2)
	v_xor_b32_e32 v2, s16, v5
	ds_load_b32 v181, v6 offset:1056
	v_and_b32_e32 v3, v3, v4
	v_add_nc_u32_e32 v183, 0x420, v6
	; wave barrier
	v_and_b32_e32 v2, v3, v2
	s_delay_alu instid0(VALU_DEP_1) | instskip(SKIP_1) | instid1(VALU_DEP_2)
	v_mbcnt_lo_u32_b32 v182, v2, 0
	v_cmp_ne_u32_e64 s16, 0, v2
	v_cmp_eq_u32_e32 vcc_lo, 0, v182
	s_delay_alu instid0(VALU_DEP_2) | instskip(NEXT) | instid1(SALU_CYCLE_1)
	s_and_b32 s17, s16, vcc_lo
	s_and_saveexec_b32 s16, s17
	s_cbranch_execz .LBB1022_436
; %bb.435:                              ;   in Loop: Header=BB1022_392 Depth=2
	s_waitcnt lgkmcnt(0)
	v_bcnt_u32_b32 v2, v2, v181
	ds_store_b32 v183, v2
.LBB1022_436:                           ;   in Loop: Header=BB1022_392 Depth=2
	s_or_b32 exec_lo, exec_lo, s16
	v_lshrrev_b32_e32 v180, 16, v176
	; wave barrier
	s_delay_alu instid0(VALU_DEP_1) | instskip(NEXT) | instid1(VALU_DEP_1)
	v_lshrrev_b32_e32 v2, s42, v180
	v_and_b32_e32 v2, s43, v2
	s_delay_alu instid0(VALU_DEP_1)
	v_and_b32_e32 v3, 1, v2
	v_lshlrev_b32_e32 v4, 30, v2
	v_lshlrev_b32_e32 v5, 29, v2
	;; [unrolled: 1-line block ×4, first 2 shown]
	v_add_co_u32 v3, s16, v3, -1
	s_delay_alu instid0(VALU_DEP_1)
	v_cndmask_b32_e64 v7, 0, 1, s16
	v_not_b32_e32 v185, v4
	v_cmp_gt_i32_e64 s16, 0, v4
	v_not_b32_e32 v4, v5
	v_lshlrev_b32_e32 v46, 26, v2
	v_cmp_ne_u32_e32 vcc_lo, 0, v7
	v_ashrrev_i32_e32 v185, 31, v185
	v_lshlrev_b32_e32 v184, 25, v2
	v_ashrrev_i32_e32 v4, 31, v4
	v_lshlrev_b32_e32 v7, 24, v2
	v_xor_b32_e32 v3, vcc_lo, v3
	v_cmp_gt_i32_e32 vcc_lo, 0, v5
	v_not_b32_e32 v5, v6
	v_xor_b32_e32 v185, s16, v185
	v_cmp_gt_i32_e64 s16, 0, v6
	v_and_b32_e32 v3, exec_lo, v3
	v_not_b32_e32 v6, v45
	v_ashrrev_i32_e32 v5, 31, v5
	v_xor_b32_e32 v4, vcc_lo, v4
	v_cmp_gt_i32_e32 vcc_lo, 0, v45
	v_and_b32_e32 v3, v3, v185
	v_not_b32_e32 v45, v46
	v_ashrrev_i32_e32 v6, 31, v6
	v_xor_b32_e32 v5, s16, v5
	v_cmp_gt_i32_e64 s16, 0, v46
	v_and_b32_e32 v3, v3, v4
	v_not_b32_e32 v4, v184
	v_ashrrev_i32_e32 v45, 31, v45
	v_xor_b32_e32 v6, vcc_lo, v6
	v_cmp_gt_i32_e32 vcc_lo, 0, v184
	v_and_b32_e32 v3, v3, v5
	v_not_b32_e32 v5, v7
	v_ashrrev_i32_e32 v4, 31, v4
	v_xor_b32_e32 v45, s16, v45
	v_mul_u32_u24_e32 v2, 9, v2
	v_and_b32_e32 v3, v3, v6
	v_cmp_gt_i32_e64 s16, 0, v7
	v_ashrrev_i32_e32 v5, 31, v5
	v_xor_b32_e32 v4, vcc_lo, v4
	v_add_lshl_u32 v6, v2, v122, 2
	v_and_b32_e32 v3, v3, v45
	s_delay_alu instid0(VALU_DEP_4) | instskip(SKIP_3) | instid1(VALU_DEP_2)
	v_xor_b32_e32 v2, s16, v5
	ds_load_b32 v185, v6 offset:1056
	v_and_b32_e32 v3, v3, v4
	v_add_nc_u32_e32 v187, 0x420, v6
	; wave barrier
	v_and_b32_e32 v2, v3, v2
	s_delay_alu instid0(VALU_DEP_1) | instskip(SKIP_1) | instid1(VALU_DEP_2)
	v_mbcnt_lo_u32_b32 v186, v2, 0
	v_cmp_ne_u32_e64 s16, 0, v2
	v_cmp_eq_u32_e32 vcc_lo, 0, v186
	s_delay_alu instid0(VALU_DEP_2) | instskip(NEXT) | instid1(SALU_CYCLE_1)
	s_and_b32 s17, s16, vcc_lo
	s_and_saveexec_b32 s16, s17
	s_cbranch_execz .LBB1022_438
; %bb.437:                              ;   in Loop: Header=BB1022_392 Depth=2
	s_waitcnt lgkmcnt(0)
	v_bcnt_u32_b32 v2, v2, v185
	ds_store_b32 v187, v2
.LBB1022_438:                           ;   in Loop: Header=BB1022_392 Depth=2
	s_or_b32 exec_lo, exec_lo, s16
	v_xor_b32_e32 v184, 0x80008000, v8
	; wave barrier
	s_delay_alu instid0(VALU_DEP_1) | instskip(NEXT) | instid1(VALU_DEP_1)
	v_and_b32_e32 v2, 0xffff, v184
	v_lshrrev_b32_e32 v2, s42, v2
	s_delay_alu instid0(VALU_DEP_1) | instskip(NEXT) | instid1(VALU_DEP_1)
	v_and_b32_e32 v2, s43, v2
	v_and_b32_e32 v3, 1, v2
	v_lshlrev_b32_e32 v4, 30, v2
	v_lshlrev_b32_e32 v5, 29, v2
	;; [unrolled: 1-line block ×4, first 2 shown]
	v_add_co_u32 v3, s16, v3, -1
	s_delay_alu instid0(VALU_DEP_1)
	v_cndmask_b32_e64 v7, 0, 1, s16
	v_not_b32_e32 v188, v4
	v_cmp_gt_i32_e64 s16, 0, v4
	v_not_b32_e32 v4, v5
	v_lshlrev_b32_e32 v45, 26, v2
	v_cmp_ne_u32_e32 vcc_lo, 0, v7
	v_ashrrev_i32_e32 v188, 31, v188
	v_lshlrev_b32_e32 v46, 25, v2
	v_ashrrev_i32_e32 v4, 31, v4
	v_lshlrev_b32_e32 v7, 24, v2
	v_xor_b32_e32 v3, vcc_lo, v3
	v_cmp_gt_i32_e32 vcc_lo, 0, v5
	v_not_b32_e32 v5, v6
	v_xor_b32_e32 v188, s16, v188
	v_cmp_gt_i32_e64 s16, 0, v6
	v_and_b32_e32 v3, exec_lo, v3
	v_not_b32_e32 v6, v8
	v_ashrrev_i32_e32 v5, 31, v5
	v_xor_b32_e32 v4, vcc_lo, v4
	v_cmp_gt_i32_e32 vcc_lo, 0, v8
	v_and_b32_e32 v3, v3, v188
	v_not_b32_e32 v8, v45
	v_ashrrev_i32_e32 v6, 31, v6
	v_xor_b32_e32 v5, s16, v5
	v_cmp_gt_i32_e64 s16, 0, v45
	v_and_b32_e32 v3, v3, v4
	v_not_b32_e32 v4, v46
	v_ashrrev_i32_e32 v8, 31, v8
	v_xor_b32_e32 v6, vcc_lo, v6
	v_cmp_gt_i32_e32 vcc_lo, 0, v46
	v_and_b32_e32 v3, v3, v5
	v_not_b32_e32 v5, v7
	v_ashrrev_i32_e32 v4, 31, v4
	v_xor_b32_e32 v8, s16, v8
	v_mul_u32_u24_e32 v2, 9, v2
	v_and_b32_e32 v3, v3, v6
	v_cmp_gt_i32_e64 s16, 0, v7
	v_ashrrev_i32_e32 v5, 31, v5
	v_xor_b32_e32 v4, vcc_lo, v4
	v_add_lshl_u32 v6, v2, v122, 2
	v_and_b32_e32 v3, v3, v8
	s_delay_alu instid0(VALU_DEP_4) | instskip(SKIP_3) | instid1(VALU_DEP_2)
	v_xor_b32_e32 v2, s16, v5
	ds_load_b32 v8, v6 offset:1056
	v_and_b32_e32 v3, v3, v4
	v_add_nc_u32_e32 v190, 0x420, v6
	; wave barrier
	v_and_b32_e32 v2, v3, v2
	s_delay_alu instid0(VALU_DEP_1) | instskip(SKIP_1) | instid1(VALU_DEP_2)
	v_mbcnt_lo_u32_b32 v189, v2, 0
	v_cmp_ne_u32_e64 s16, 0, v2
	v_cmp_eq_u32_e32 vcc_lo, 0, v189
	s_delay_alu instid0(VALU_DEP_2) | instskip(NEXT) | instid1(SALU_CYCLE_1)
	s_and_b32 s17, s16, vcc_lo
	s_and_saveexec_b32 s16, s17
	s_cbranch_execz .LBB1022_440
; %bb.439:                              ;   in Loop: Header=BB1022_392 Depth=2
	s_waitcnt lgkmcnt(0)
	v_bcnt_u32_b32 v2, v2, v8
	ds_store_b32 v190, v2
.LBB1022_440:                           ;   in Loop: Header=BB1022_392 Depth=2
	s_or_b32 exec_lo, exec_lo, s16
	v_lshrrev_b32_e32 v188, 16, v184
	; wave barrier
	s_delay_alu instid0(VALU_DEP_1) | instskip(NEXT) | instid1(VALU_DEP_1)
	v_lshrrev_b32_e32 v2, s42, v188
	v_and_b32_e32 v2, s43, v2
	s_delay_alu instid0(VALU_DEP_1)
	v_and_b32_e32 v3, 1, v2
	v_lshlrev_b32_e32 v4, 30, v2
	v_lshlrev_b32_e32 v5, 29, v2
	;; [unrolled: 1-line block ×4, first 2 shown]
	v_add_co_u32 v3, s16, v3, -1
	s_delay_alu instid0(VALU_DEP_1)
	v_cndmask_b32_e64 v7, 0, 1, s16
	v_not_b32_e32 v192, v4
	v_cmp_gt_i32_e64 s16, 0, v4
	v_not_b32_e32 v4, v5
	v_lshlrev_b32_e32 v46, 26, v2
	v_cmp_ne_u32_e32 vcc_lo, 0, v7
	v_ashrrev_i32_e32 v192, 31, v192
	v_lshlrev_b32_e32 v191, 25, v2
	v_ashrrev_i32_e32 v4, 31, v4
	v_lshlrev_b32_e32 v7, 24, v2
	v_xor_b32_e32 v3, vcc_lo, v3
	v_cmp_gt_i32_e32 vcc_lo, 0, v5
	v_not_b32_e32 v5, v6
	v_xor_b32_e32 v192, s16, v192
	v_cmp_gt_i32_e64 s16, 0, v6
	v_and_b32_e32 v3, exec_lo, v3
	v_not_b32_e32 v6, v45
	v_ashrrev_i32_e32 v5, 31, v5
	v_xor_b32_e32 v4, vcc_lo, v4
	v_cmp_gt_i32_e32 vcc_lo, 0, v45
	v_and_b32_e32 v3, v3, v192
	v_not_b32_e32 v45, v46
	v_ashrrev_i32_e32 v6, 31, v6
	v_xor_b32_e32 v5, s16, v5
	v_cmp_gt_i32_e64 s16, 0, v46
	v_and_b32_e32 v3, v3, v4
	v_not_b32_e32 v4, v191
	v_ashrrev_i32_e32 v45, 31, v45
	v_xor_b32_e32 v6, vcc_lo, v6
	v_cmp_gt_i32_e32 vcc_lo, 0, v191
	v_and_b32_e32 v3, v3, v5
	v_not_b32_e32 v5, v7
	v_ashrrev_i32_e32 v4, 31, v4
	v_xor_b32_e32 v45, s16, v45
	v_mul_u32_u24_e32 v2, 9, v2
	v_and_b32_e32 v3, v3, v6
	v_cmp_gt_i32_e64 s16, 0, v7
	v_ashrrev_i32_e32 v5, 31, v5
	v_xor_b32_e32 v4, vcc_lo, v4
	v_add_lshl_u32 v6, v2, v122, 2
	v_and_b32_e32 v3, v3, v45
	s_delay_alu instid0(VALU_DEP_4) | instskip(SKIP_3) | instid1(VALU_DEP_2)
	v_xor_b32_e32 v2, s16, v5
	ds_load_b32 v191, v6 offset:1056
	v_and_b32_e32 v3, v3, v4
	v_add_nc_u32_e32 v193, 0x420, v6
	; wave barrier
	v_and_b32_e32 v2, v3, v2
	s_delay_alu instid0(VALU_DEP_1) | instskip(SKIP_1) | instid1(VALU_DEP_2)
	v_mbcnt_lo_u32_b32 v192, v2, 0
	v_cmp_ne_u32_e64 s16, 0, v2
	v_cmp_eq_u32_e32 vcc_lo, 0, v192
	s_delay_alu instid0(VALU_DEP_2) | instskip(NEXT) | instid1(SALU_CYCLE_1)
	s_and_b32 s17, s16, vcc_lo
	s_and_saveexec_b32 s16, s17
	s_cbranch_execz .LBB1022_442
; %bb.441:                              ;   in Loop: Header=BB1022_392 Depth=2
	s_waitcnt lgkmcnt(0)
	v_bcnt_u32_b32 v2, v2, v191
	ds_store_b32 v193, v2
.LBB1022_442:                           ;   in Loop: Header=BB1022_392 Depth=2
	s_or_b32 exec_lo, exec_lo, s16
	v_xor_b32_e32 v9, 0x80008000, v9
	; wave barrier
	s_delay_alu instid0(VALU_DEP_1) | instskip(NEXT) | instid1(VALU_DEP_1)
	v_and_b32_e32 v2, 0xffff, v9
	v_lshrrev_b32_e32 v2, s42, v2
	s_delay_alu instid0(VALU_DEP_1) | instskip(NEXT) | instid1(VALU_DEP_1)
	v_and_b32_e32 v2, s43, v2
	v_and_b32_e32 v3, 1, v2
	v_lshlrev_b32_e32 v4, 30, v2
	v_lshlrev_b32_e32 v5, 29, v2
	;; [unrolled: 1-line block ×4, first 2 shown]
	v_add_co_u32 v3, s16, v3, -1
	s_delay_alu instid0(VALU_DEP_1)
	v_cndmask_b32_e64 v7, 0, 1, s16
	v_not_b32_e32 v195, v4
	v_cmp_gt_i32_e64 s16, 0, v4
	v_not_b32_e32 v4, v5
	v_lshlrev_b32_e32 v46, 26, v2
	v_cmp_ne_u32_e32 vcc_lo, 0, v7
	v_ashrrev_i32_e32 v195, 31, v195
	v_lshlrev_b32_e32 v194, 25, v2
	v_ashrrev_i32_e32 v4, 31, v4
	v_lshlrev_b32_e32 v7, 24, v2
	v_xor_b32_e32 v3, vcc_lo, v3
	v_cmp_gt_i32_e32 vcc_lo, 0, v5
	v_not_b32_e32 v5, v6
	v_xor_b32_e32 v195, s16, v195
	v_cmp_gt_i32_e64 s16, 0, v6
	v_and_b32_e32 v3, exec_lo, v3
	v_not_b32_e32 v6, v45
	v_ashrrev_i32_e32 v5, 31, v5
	v_xor_b32_e32 v4, vcc_lo, v4
	v_cmp_gt_i32_e32 vcc_lo, 0, v45
	v_and_b32_e32 v3, v3, v195
	v_not_b32_e32 v45, v46
	v_ashrrev_i32_e32 v6, 31, v6
	v_xor_b32_e32 v5, s16, v5
	v_cmp_gt_i32_e64 s16, 0, v46
	v_and_b32_e32 v3, v3, v4
	v_not_b32_e32 v4, v194
	v_ashrrev_i32_e32 v45, 31, v45
	v_xor_b32_e32 v6, vcc_lo, v6
	v_cmp_gt_i32_e32 vcc_lo, 0, v194
	v_and_b32_e32 v3, v3, v5
	v_not_b32_e32 v5, v7
	v_ashrrev_i32_e32 v4, 31, v4
	v_xor_b32_e32 v45, s16, v45
	v_mul_u32_u24_e32 v2, 9, v2
	v_and_b32_e32 v3, v3, v6
	v_cmp_gt_i32_e64 s16, 0, v7
	v_ashrrev_i32_e32 v5, 31, v5
	v_xor_b32_e32 v4, vcc_lo, v4
	v_add_lshl_u32 v6, v2, v122, 2
	v_and_b32_e32 v3, v3, v45
	s_delay_alu instid0(VALU_DEP_4) | instskip(SKIP_3) | instid1(VALU_DEP_2)
	v_xor_b32_e32 v2, s16, v5
	ds_load_b32 v195, v6 offset:1056
	v_and_b32_e32 v3, v3, v4
	v_add_nc_u32_e32 v197, 0x420, v6
	; wave barrier
	v_and_b32_e32 v2, v3, v2
	s_delay_alu instid0(VALU_DEP_1) | instskip(SKIP_1) | instid1(VALU_DEP_2)
	v_mbcnt_lo_u32_b32 v196, v2, 0
	v_cmp_ne_u32_e64 s16, 0, v2
	v_cmp_eq_u32_e32 vcc_lo, 0, v196
	s_delay_alu instid0(VALU_DEP_2) | instskip(NEXT) | instid1(SALU_CYCLE_1)
	s_and_b32 s17, s16, vcc_lo
	s_and_saveexec_b32 s16, s17
	s_cbranch_execz .LBB1022_444
; %bb.443:                              ;   in Loop: Header=BB1022_392 Depth=2
	s_waitcnt lgkmcnt(0)
	v_bcnt_u32_b32 v2, v2, v195
	ds_store_b32 v197, v2
.LBB1022_444:                           ;   in Loop: Header=BB1022_392 Depth=2
	s_or_b32 exec_lo, exec_lo, s16
	v_lshrrev_b32_e32 v194, 16, v9
	; wave barrier
	s_delay_alu instid0(VALU_DEP_1) | instskip(NEXT) | instid1(VALU_DEP_1)
	v_lshrrev_b32_e32 v2, s42, v194
	v_and_b32_e32 v2, s43, v2
	s_delay_alu instid0(VALU_DEP_1)
	v_and_b32_e32 v3, 1, v2
	v_lshlrev_b32_e32 v4, 30, v2
	v_lshlrev_b32_e32 v5, 29, v2
	;; [unrolled: 1-line block ×4, first 2 shown]
	v_add_co_u32 v3, s16, v3, -1
	s_delay_alu instid0(VALU_DEP_1)
	v_cndmask_b32_e64 v7, 0, 1, s16
	v_not_b32_e32 v199, v4
	v_cmp_gt_i32_e64 s16, 0, v4
	v_not_b32_e32 v4, v5
	v_lshlrev_b32_e32 v46, 26, v2
	v_cmp_ne_u32_e32 vcc_lo, 0, v7
	v_ashrrev_i32_e32 v199, 31, v199
	v_lshlrev_b32_e32 v198, 25, v2
	v_ashrrev_i32_e32 v4, 31, v4
	v_lshlrev_b32_e32 v7, 24, v2
	v_xor_b32_e32 v3, vcc_lo, v3
	v_cmp_gt_i32_e32 vcc_lo, 0, v5
	v_not_b32_e32 v5, v6
	v_xor_b32_e32 v199, s16, v199
	v_cmp_gt_i32_e64 s16, 0, v6
	v_and_b32_e32 v3, exec_lo, v3
	v_not_b32_e32 v6, v45
	v_ashrrev_i32_e32 v5, 31, v5
	v_xor_b32_e32 v4, vcc_lo, v4
	v_cmp_gt_i32_e32 vcc_lo, 0, v45
	v_and_b32_e32 v3, v3, v199
	v_not_b32_e32 v45, v46
	v_ashrrev_i32_e32 v6, 31, v6
	v_xor_b32_e32 v5, s16, v5
	v_cmp_gt_i32_e64 s16, 0, v46
	v_and_b32_e32 v3, v3, v4
	v_not_b32_e32 v4, v198
	v_ashrrev_i32_e32 v45, 31, v45
	v_xor_b32_e32 v6, vcc_lo, v6
	v_cmp_gt_i32_e32 vcc_lo, 0, v198
	v_and_b32_e32 v3, v3, v5
	v_not_b32_e32 v5, v7
	v_ashrrev_i32_e32 v4, 31, v4
	v_xor_b32_e32 v45, s16, v45
	v_mul_u32_u24_e32 v2, 9, v2
	v_and_b32_e32 v3, v3, v6
	v_cmp_gt_i32_e64 s16, 0, v7
	v_ashrrev_i32_e32 v5, 31, v5
	v_xor_b32_e32 v4, vcc_lo, v4
	v_add_lshl_u32 v6, v2, v122, 2
	v_and_b32_e32 v3, v3, v45
	s_delay_alu instid0(VALU_DEP_4) | instskip(SKIP_3) | instid1(VALU_DEP_2)
	v_xor_b32_e32 v2, s16, v5
	ds_load_b32 v198, v6 offset:1056
	v_and_b32_e32 v3, v3, v4
	v_add_nc_u32_e32 v200, 0x420, v6
	; wave barrier
	v_and_b32_e32 v2, v3, v2
	s_delay_alu instid0(VALU_DEP_1) | instskip(SKIP_1) | instid1(VALU_DEP_2)
	v_mbcnt_lo_u32_b32 v199, v2, 0
	v_cmp_ne_u32_e64 s16, 0, v2
	v_cmp_eq_u32_e32 vcc_lo, 0, v199
	s_delay_alu instid0(VALU_DEP_2) | instskip(NEXT) | instid1(SALU_CYCLE_1)
	s_and_b32 s17, s16, vcc_lo
	s_and_saveexec_b32 s16, s17
	s_cbranch_execz .LBB1022_446
; %bb.445:                              ;   in Loop: Header=BB1022_392 Depth=2
	s_waitcnt lgkmcnt(0)
	v_bcnt_u32_b32 v2, v2, v198
	ds_store_b32 v200, v2
.LBB1022_446:                           ;   in Loop: Header=BB1022_392 Depth=2
	s_or_b32 exec_lo, exec_lo, s16
	; wave barrier
	s_waitcnt lgkmcnt(0)
	s_barrier
	buffer_gl0_inv
	ds_load_b32 v201, v73 offset:1056
	ds_load_2addr_b32 v[45:46], v75 offset0:1 offset1:2
	ds_load_2addr_b32 v[6:7], v75 offset0:3 offset1:4
	;; [unrolled: 1-line block ×4, first 2 shown]
	s_waitcnt lgkmcnt(3)
	v_add3_u32 v202, v45, v201, v46
	s_waitcnt lgkmcnt(2)
	s_delay_alu instid0(VALU_DEP_1) | instskip(SKIP_1) | instid1(VALU_DEP_1)
	v_add3_u32 v202, v202, v6, v7
	s_waitcnt lgkmcnt(1)
	v_add3_u32 v202, v202, v2, v3
	s_waitcnt lgkmcnt(0)
	s_delay_alu instid0(VALU_DEP_1) | instskip(NEXT) | instid1(VALU_DEP_1)
	v_add3_u32 v5, v202, v4, v5
	v_mov_b32_dpp v202, v5 row_shr:1 row_mask:0xf bank_mask:0xf
	s_delay_alu instid0(VALU_DEP_1) | instskip(NEXT) | instid1(VALU_DEP_1)
	v_cndmask_b32_e64 v202, v202, 0, s1
	v_add_nc_u32_e32 v5, v202, v5
	s_delay_alu instid0(VALU_DEP_1) | instskip(NEXT) | instid1(VALU_DEP_1)
	v_mov_b32_dpp v202, v5 row_shr:2 row_mask:0xf bank_mask:0xf
	v_cndmask_b32_e64 v202, 0, v202, s7
	s_delay_alu instid0(VALU_DEP_1) | instskip(NEXT) | instid1(VALU_DEP_1)
	v_add_nc_u32_e32 v5, v5, v202
	v_mov_b32_dpp v202, v5 row_shr:4 row_mask:0xf bank_mask:0xf
	s_delay_alu instid0(VALU_DEP_1) | instskip(NEXT) | instid1(VALU_DEP_1)
	v_cndmask_b32_e64 v202, 0, v202, s8
	v_add_nc_u32_e32 v5, v5, v202
	s_delay_alu instid0(VALU_DEP_1) | instskip(NEXT) | instid1(VALU_DEP_1)
	v_mov_b32_dpp v202, v5 row_shr:8 row_mask:0xf bank_mask:0xf
	v_cndmask_b32_e64 v202, 0, v202, s9
	s_delay_alu instid0(VALU_DEP_1) | instskip(SKIP_3) | instid1(VALU_DEP_1)
	v_add_nc_u32_e32 v5, v5, v202
	ds_swizzle_b32 v202, v5 offset:swizzle(BROADCAST,32,15)
	s_waitcnt lgkmcnt(0)
	v_cndmask_b32_e64 v202, v202, 0, s10
	v_add_nc_u32_e32 v5, v5, v202
	s_and_saveexec_b32 s16, s3
	s_cbranch_execz .LBB1022_448
; %bb.447:                              ;   in Loop: Header=BB1022_392 Depth=2
	ds_store_b32 v65, v5 offset:1024
.LBB1022_448:                           ;   in Loop: Header=BB1022_392 Depth=2
	s_or_b32 exec_lo, exec_lo, s16
	s_waitcnt lgkmcnt(0)
	s_barrier
	buffer_gl0_inv
	s_and_saveexec_b32 s16, s4
	s_cbranch_execz .LBB1022_450
; %bb.449:                              ;   in Loop: Header=BB1022_392 Depth=2
	ds_load_b32 v202, v76 offset:1024
	s_waitcnt lgkmcnt(0)
	v_mov_b32_dpp v203, v202 row_shr:1 row_mask:0xf bank_mask:0xf
	s_delay_alu instid0(VALU_DEP_1) | instskip(NEXT) | instid1(VALU_DEP_1)
	v_cndmask_b32_e64 v203, v203, 0, s12
	v_add_nc_u32_e32 v202, v203, v202
	s_delay_alu instid0(VALU_DEP_1) | instskip(NEXT) | instid1(VALU_DEP_1)
	v_mov_b32_dpp v203, v202 row_shr:2 row_mask:0xf bank_mask:0xf
	v_cndmask_b32_e64 v203, 0, v203, s13
	s_delay_alu instid0(VALU_DEP_1) | instskip(NEXT) | instid1(VALU_DEP_1)
	v_add_nc_u32_e32 v202, v202, v203
	v_mov_b32_dpp v203, v202 row_shr:4 row_mask:0xf bank_mask:0xf
	s_delay_alu instid0(VALU_DEP_1) | instskip(NEXT) | instid1(VALU_DEP_1)
	v_cndmask_b32_e64 v203, 0, v203, s14
	v_add_nc_u32_e32 v202, v202, v203
	ds_store_b32 v76, v202 offset:1024
.LBB1022_450:                           ;   in Loop: Header=BB1022_392 Depth=2
	s_or_b32 exec_lo, exec_lo, s16
	v_mov_b32_e32 v202, 0
	s_waitcnt lgkmcnt(0)
	s_barrier
	buffer_gl0_inv
	s_and_saveexec_b32 s16, s5
	s_cbranch_execz .LBB1022_452
; %bb.451:                              ;   in Loop: Header=BB1022_392 Depth=2
	ds_load_b32 v202, v65 offset:1020
.LBB1022_452:                           ;   in Loop: Header=BB1022_392 Depth=2
	s_or_b32 exec_lo, exec_lo, s16
	s_waitcnt lgkmcnt(0)
	v_add_nc_u32_e32 v5, v202, v5
	ds_bpermute_b32 v5, v101, v5
	s_waitcnt lgkmcnt(0)
	v_cndmask_b32_e64 v5, v5, v202, s11
	s_delay_alu instid0(VALU_DEP_1) | instskip(NEXT) | instid1(VALU_DEP_1)
	v_cndmask_b32_e64 v5, v5, 0, s0
	v_add_nc_u32_e32 v201, v5, v201
	s_delay_alu instid0(VALU_DEP_1) | instskip(NEXT) | instid1(VALU_DEP_1)
	v_add_nc_u32_e32 v45, v201, v45
	v_add_nc_u32_e32 v46, v45, v46
	s_delay_alu instid0(VALU_DEP_1) | instskip(NEXT) | instid1(VALU_DEP_1)
	v_add_nc_u32_e32 v6, v46, v6
	;; [unrolled: 3-line block ×3, first 2 shown]
	v_add_nc_u32_e32 v3, v2, v3
	s_delay_alu instid0(VALU_DEP_1)
	v_add_nc_u32_e32 v4, v3, v4
	ds_store_b32 v73, v5 offset:1056
	ds_store_2addr_b32 v75, v201, v45 offset0:1 offset1:2
	ds_store_2addr_b32 v75, v46, v6 offset0:3 offset1:4
	;; [unrolled: 1-line block ×4, first 2 shown]
	v_mov_b32_e32 v4, 0x1000
	s_waitcnt lgkmcnt(0)
	s_barrier
	buffer_gl0_inv
	ds_load_b32 v5, v147
	ds_load_b32 v6, v151
	;; [unrolled: 1-line block ×16, first 2 shown]
	ds_load_b32 v151, v73 offset:1056
	s_and_saveexec_b32 s16, s6
	s_cbranch_execz .LBB1022_454
; %bb.453:                              ;   in Loop: Header=BB1022_392 Depth=2
	ds_load_b32 v4, v77 offset:1056
.LBB1022_454:                           ;   in Loop: Header=BB1022_392 Depth=2
	s_or_b32 exec_lo, exec_lo, s16
	s_waitcnt lgkmcnt(0)
	s_barrier
	buffer_gl0_inv
	s_and_saveexec_b32 s16, s2
	s_cbranch_execz .LBB1022_456
; %bb.455:                              ;   in Loop: Header=BB1022_392 Depth=2
	ds_load_b32 v155, v47
	s_waitcnt lgkmcnt(0)
	v_sub_nc_u32_e32 v151, v155, v151
	ds_store_b32 v47, v151
.LBB1022_456:                           ;   in Loop: Header=BB1022_392 Depth=2
	s_or_b32 exec_lo, exec_lo, s16
	v_add_nc_u32_e32 v159, v143, v141
	v_add3_u32 v155, v146, v145, v5
	v_add3_u32 v151, v150, v149, v6
	;; [unrolled: 1-line block ×4, first 2 shown]
	v_lshlrev_b32_e32 v153, 1, v159
	v_add3_u32 v45, v192, v191, v2
	v_lshlrev_b32_e32 v2, 1, v155
	v_add3_u32 v149, v158, v157, v46
	v_add3_u32 v146, v166, v165, v163
	;; [unrolled: 1-line block ×5, first 2 shown]
	ds_store_b16 v153, v19 offset:1024
	v_lshlrev_b32_e32 v3, 1, v151
	ds_store_b16 v2, v142 offset:1024
	v_lshlrev_b32_e32 v2, 1, v147
	v_add3_u32 v143, v174, v173, v171
	v_lshlrev_b32_e32 v19, 1, v150
	v_add3_u32 v141, v178, v177, v175
	;; [unrolled: 2-line block ×3, first 2 shown]
	v_add3_u32 v6, v186, v185, v183
	ds_store_b16 v3, v144 offset:1024
	ds_store_b16 v19, v148 offset:1024
	;; [unrolled: 1-line block ×3, first 2 shown]
	v_lshlrev_b32_e32 v3, 1, v146
	ds_store_b16 v2, v156 offset:1024
	v_lshlrev_b32_e32 v2, 1, v145
	v_lshlrev_b32_e32 v19, 1, v143
	;; [unrolled: 1-line block ×3, first 2 shown]
	v_add3_u32 v7, v199, v198, v7
	ds_store_b16 v3, v160 offset:1024
	v_lshlrev_b32_e32 v3, 1, v46
	ds_store_b16 v2, v164 offset:1024
	ds_store_b16 v19, v168 offset:1024
	;; [unrolled: 1-line block ×3, first 2 shown]
	v_lshlrev_b32_e32 v2, 1, v6
	v_cmp_lt_u32_e32 vcc_lo, v18, v0
	v_lshlrev_b32_e32 v19, 1, v45
	ds_store_b16 v3, v176 offset:1024
	v_lshlrev_b32_e32 v3, 1, v5
	ds_store_b16 v2, v180 offset:1024
	v_lshlrev_b32_e32 v2, 1, v7
	v_lshlrev_b32_e32 v142, 1, v8
	ds_store_b16 v3, v184 offset:1024
	ds_store_b16 v19, v188 offset:1024
	;; [unrolled: 1-line block ×4, first 2 shown]
	s_waitcnt lgkmcnt(0)
	s_barrier
	buffer_gl0_inv
	s_and_saveexec_b32 s17, vcc_lo
	s_cbranch_execz .LBB1022_472
; %bb.457:                              ;   in Loop: Header=BB1022_392 Depth=2
	v_add_nc_u32_e32 v2, v76, v82
	ds_load_u16 v142, v2 offset:1024
	s_waitcnt lgkmcnt(0)
	v_and_b32_e32 v2, 0xffff, v142
	s_delay_alu instid0(VALU_DEP_1) | instskip(NEXT) | instid1(VALU_DEP_1)
	v_lshrrev_b32_e32 v2, s42, v2
	v_and_b32_e32 v2, s43, v2
	s_delay_alu instid0(VALU_DEP_1) | instskip(SKIP_3) | instid1(VALU_DEP_1)
	v_lshlrev_b32_e32 v2, 2, v2
	ds_load_b32 v2, v2
	s_waitcnt lgkmcnt(0)
	v_add_nc_u32_e32 v19, v2, v18
	v_lshlrev_b64 v[2:3], 1, v[19:20]
	v_xor_b32_e32 v19, 0xffff8000, v142
	s_delay_alu instid0(VALU_DEP_2) | instskip(NEXT) | instid1(VALU_DEP_1)
	v_add_co_u32 v2, s16, s40, v2
	v_add_co_ci_u32_e64 v3, s16, s41, v3, s16
	global_store_b16 v[2:3], v19, off
	s_or_b32 exec_lo, exec_lo, s17
	v_cmp_lt_u32_e64 s16, v48, v0
	s_delay_alu instid0(VALU_DEP_1)
	s_and_saveexec_b32 s18, s16
	s_cbranch_execnz .LBB1022_473
.LBB1022_458:                           ;   in Loop: Header=BB1022_392 Depth=2
	s_or_b32 exec_lo, exec_lo, s18
	v_cmp_lt_u32_e64 s17, v49, v0
	s_delay_alu instid0(VALU_DEP_1)
	s_and_saveexec_b32 s19, s17
	s_cbranch_execz .LBB1022_474
.LBB1022_459:                           ;   in Loop: Header=BB1022_392 Depth=2
	ds_load_u16 v142, v83 offset:1024
	s_waitcnt lgkmcnt(0)
	v_and_b32_e32 v2, 0xffff, v142
	s_delay_alu instid0(VALU_DEP_1) | instskip(NEXT) | instid1(VALU_DEP_1)
	v_lshrrev_b32_e32 v2, s42, v2
	v_and_b32_e32 v2, s43, v2
	s_delay_alu instid0(VALU_DEP_1) | instskip(SKIP_3) | instid1(VALU_DEP_1)
	v_lshlrev_b32_e32 v2, 2, v2
	ds_load_b32 v2, v2
	s_waitcnt lgkmcnt(0)
	v_add_nc_u32_e32 v19, v2, v49
	v_lshlrev_b64 v[2:3], 1, v[19:20]
	v_xor_b32_e32 v19, 0xffff8000, v142
	s_delay_alu instid0(VALU_DEP_2) | instskip(NEXT) | instid1(VALU_DEP_1)
	v_add_co_u32 v2, s18, s40, v2
	v_add_co_ci_u32_e64 v3, s18, s41, v3, s18
	global_store_b16 v[2:3], v19, off
	s_or_b32 exec_lo, exec_lo, s19
	v_cmp_lt_u32_e64 s18, v50, v0
	s_delay_alu instid0(VALU_DEP_1)
	s_and_saveexec_b32 s20, s18
	s_cbranch_execnz .LBB1022_475
.LBB1022_460:                           ;   in Loop: Header=BB1022_392 Depth=2
	s_or_b32 exec_lo, exec_lo, s20
	v_cmp_lt_u32_e64 s19, v54, v0
	s_delay_alu instid0(VALU_DEP_1)
	s_and_saveexec_b32 s21, s19
	s_cbranch_execz .LBB1022_476
.LBB1022_461:                           ;   in Loop: Header=BB1022_392 Depth=2
	ds_load_u16 v142, v83 offset:2048
	s_waitcnt lgkmcnt(0)
	v_and_b32_e32 v2, 0xffff, v142
	s_delay_alu instid0(VALU_DEP_1) | instskip(NEXT) | instid1(VALU_DEP_1)
	v_lshrrev_b32_e32 v2, s42, v2
	v_and_b32_e32 v2, s43, v2
	s_delay_alu instid0(VALU_DEP_1) | instskip(SKIP_3) | instid1(VALU_DEP_1)
	v_lshlrev_b32_e32 v2, 2, v2
	ds_load_b32 v2, v2
	s_waitcnt lgkmcnt(0)
	v_add_nc_u32_e32 v19, v2, v54
	v_lshlrev_b64 v[2:3], 1, v[19:20]
	v_xor_b32_e32 v19, 0xffff8000, v142
	s_delay_alu instid0(VALU_DEP_2) | instskip(NEXT) | instid1(VALU_DEP_1)
	v_add_co_u32 v2, s20, s40, v2
	v_add_co_ci_u32_e64 v3, s20, s41, v3, s20
	global_store_b16 v[2:3], v19, off
	s_or_b32 exec_lo, exec_lo, s21
	v_cmp_lt_u32_e64 s20, v55, v0
	s_delay_alu instid0(VALU_DEP_1)
	s_and_saveexec_b32 s22, s20
	s_cbranch_execnz .LBB1022_477
.LBB1022_462:                           ;   in Loop: Header=BB1022_392 Depth=2
	s_or_b32 exec_lo, exec_lo, s22
	v_cmp_lt_u32_e64 s21, v56, v0
	s_delay_alu instid0(VALU_DEP_1)
	s_and_saveexec_b32 s23, s21
	s_cbranch_execz .LBB1022_478
.LBB1022_463:                           ;   in Loop: Header=BB1022_392 Depth=2
	ds_load_u16 v142, v83 offset:3072
	s_waitcnt lgkmcnt(0)
	v_and_b32_e32 v2, 0xffff, v142
	s_delay_alu instid0(VALU_DEP_1) | instskip(NEXT) | instid1(VALU_DEP_1)
	v_lshrrev_b32_e32 v2, s42, v2
	v_and_b32_e32 v2, s43, v2
	s_delay_alu instid0(VALU_DEP_1) | instskip(SKIP_3) | instid1(VALU_DEP_1)
	v_lshlrev_b32_e32 v2, 2, v2
	ds_load_b32 v2, v2
	s_waitcnt lgkmcnt(0)
	v_add_nc_u32_e32 v19, v2, v56
	v_lshlrev_b64 v[2:3], 1, v[19:20]
	v_xor_b32_e32 v19, 0xffff8000, v142
	s_delay_alu instid0(VALU_DEP_2) | instskip(NEXT) | instid1(VALU_DEP_1)
	v_add_co_u32 v2, s22, s40, v2
	v_add_co_ci_u32_e64 v3, s22, s41, v3, s22
	global_store_b16 v[2:3], v19, off
	s_or_b32 exec_lo, exec_lo, s23
	v_cmp_lt_u32_e64 s22, v57, v0
	s_delay_alu instid0(VALU_DEP_1)
	s_and_saveexec_b32 s24, s22
	s_cbranch_execnz .LBB1022_479
.LBB1022_464:                           ;   in Loop: Header=BB1022_392 Depth=2
	s_or_b32 exec_lo, exec_lo, s24
	v_cmp_lt_u32_e64 s23, v58, v0
	s_delay_alu instid0(VALU_DEP_1)
	s_and_saveexec_b32 s25, s23
	s_cbranch_execz .LBB1022_480
.LBB1022_465:                           ;   in Loop: Header=BB1022_392 Depth=2
	ds_load_u16 v142, v83 offset:4096
	s_waitcnt lgkmcnt(0)
	v_and_b32_e32 v2, 0xffff, v142
	s_delay_alu instid0(VALU_DEP_1) | instskip(NEXT) | instid1(VALU_DEP_1)
	v_lshrrev_b32_e32 v2, s42, v2
	v_and_b32_e32 v2, s43, v2
	s_delay_alu instid0(VALU_DEP_1) | instskip(SKIP_3) | instid1(VALU_DEP_1)
	v_lshlrev_b32_e32 v2, 2, v2
	ds_load_b32 v2, v2
	s_waitcnt lgkmcnt(0)
	v_add_nc_u32_e32 v19, v2, v58
	v_lshlrev_b64 v[2:3], 1, v[19:20]
	v_xor_b32_e32 v19, 0xffff8000, v142
	s_delay_alu instid0(VALU_DEP_2) | instskip(NEXT) | instid1(VALU_DEP_1)
	v_add_co_u32 v2, s24, s40, v2
	v_add_co_ci_u32_e64 v3, s24, s41, v3, s24
	global_store_b16 v[2:3], v19, off
	s_or_b32 exec_lo, exec_lo, s25
	v_cmp_lt_u32_e64 s24, v59, v0
	s_delay_alu instid0(VALU_DEP_1)
	s_and_saveexec_b32 s27, s24
	s_cbranch_execnz .LBB1022_481
.LBB1022_466:                           ;   in Loop: Header=BB1022_392 Depth=2
	s_or_b32 exec_lo, exec_lo, s27
	v_cmp_lt_u32_e64 s25, v60, v0
	s_delay_alu instid0(VALU_DEP_1)
	s_and_saveexec_b32 s28, s25
	s_cbranch_execz .LBB1022_482
.LBB1022_467:                           ;   in Loop: Header=BB1022_392 Depth=2
	ds_load_u16 v142, v83 offset:5120
	s_waitcnt lgkmcnt(0)
	v_and_b32_e32 v2, 0xffff, v142
	s_delay_alu instid0(VALU_DEP_1) | instskip(NEXT) | instid1(VALU_DEP_1)
	v_lshrrev_b32_e32 v2, s42, v2
	v_and_b32_e32 v2, s43, v2
	s_delay_alu instid0(VALU_DEP_1) | instskip(SKIP_3) | instid1(VALU_DEP_1)
	v_lshlrev_b32_e32 v2, 2, v2
	ds_load_b32 v2, v2
	s_waitcnt lgkmcnt(0)
	v_add_nc_u32_e32 v19, v2, v60
	v_lshlrev_b64 v[2:3], 1, v[19:20]
	v_xor_b32_e32 v19, 0xffff8000, v142
	s_delay_alu instid0(VALU_DEP_2) | instskip(NEXT) | instid1(VALU_DEP_1)
	v_add_co_u32 v2, s27, s40, v2
	v_add_co_ci_u32_e64 v3, s27, s41, v3, s27
	global_store_b16 v[2:3], v19, off
	s_or_b32 exec_lo, exec_lo, s28
	v_cmp_lt_u32_e64 s27, v61, v0
	s_delay_alu instid0(VALU_DEP_1)
	s_and_saveexec_b32 s29, s27
	s_cbranch_execnz .LBB1022_483
.LBB1022_468:                           ;   in Loop: Header=BB1022_392 Depth=2
	s_or_b32 exec_lo, exec_lo, s29
	v_cmp_lt_u32_e64 s28, v62, v0
	s_delay_alu instid0(VALU_DEP_1)
	s_and_saveexec_b32 s30, s28
	s_cbranch_execz .LBB1022_484
.LBB1022_469:                           ;   in Loop: Header=BB1022_392 Depth=2
	ds_load_u16 v142, v83 offset:6144
	s_waitcnt lgkmcnt(0)
	v_and_b32_e32 v2, 0xffff, v142
	s_delay_alu instid0(VALU_DEP_1) | instskip(NEXT) | instid1(VALU_DEP_1)
	v_lshrrev_b32_e32 v2, s42, v2
	v_and_b32_e32 v2, s43, v2
	s_delay_alu instid0(VALU_DEP_1) | instskip(SKIP_3) | instid1(VALU_DEP_1)
	v_lshlrev_b32_e32 v2, 2, v2
	ds_load_b32 v2, v2
	s_waitcnt lgkmcnt(0)
	v_add_nc_u32_e32 v19, v2, v62
	v_lshlrev_b64 v[2:3], 1, v[19:20]
	v_xor_b32_e32 v19, 0xffff8000, v142
	s_delay_alu instid0(VALU_DEP_2) | instskip(NEXT) | instid1(VALU_DEP_1)
	v_add_co_u32 v2, s29, s40, v2
	v_add_co_ci_u32_e64 v3, s29, s41, v3, s29
	global_store_b16 v[2:3], v19, off
	s_or_b32 exec_lo, exec_lo, s30
	v_cmp_lt_u32_e64 s29, v63, v0
	s_delay_alu instid0(VALU_DEP_1)
	s_and_saveexec_b32 s31, s29
	s_cbranch_execnz .LBB1022_485
.LBB1022_470:                           ;   in Loop: Header=BB1022_392 Depth=2
	s_or_b32 exec_lo, exec_lo, s31
	v_cmp_lt_u32_e64 s30, v64, v0
	s_delay_alu instid0(VALU_DEP_1)
	s_and_saveexec_b32 s33, s30
	s_cbranch_execz .LBB1022_486
.LBB1022_471:                           ;   in Loop: Header=BB1022_392 Depth=2
	ds_load_u16 v142, v83 offset:7168
	s_waitcnt lgkmcnt(0)
	v_and_b32_e32 v2, 0xffff, v142
	s_delay_alu instid0(VALU_DEP_1) | instskip(NEXT) | instid1(VALU_DEP_1)
	v_lshrrev_b32_e32 v2, s42, v2
	v_and_b32_e32 v2, s43, v2
	s_delay_alu instid0(VALU_DEP_1) | instskip(SKIP_3) | instid1(VALU_DEP_1)
	v_lshlrev_b32_e32 v2, 2, v2
	ds_load_b32 v2, v2
	s_waitcnt lgkmcnt(0)
	v_add_nc_u32_e32 v19, v2, v64
	v_lshlrev_b64 v[2:3], 1, v[19:20]
	v_xor_b32_e32 v19, 0xffff8000, v142
	s_delay_alu instid0(VALU_DEP_2) | instskip(NEXT) | instid1(VALU_DEP_1)
	v_add_co_u32 v2, s31, s40, v2
	v_add_co_ci_u32_e64 v3, s31, s41, v3, s31
	global_store_b16 v[2:3], v19, off
	s_or_b32 exec_lo, exec_lo, s33
	v_cmp_lt_u32_e64 s31, v66, v0
	s_delay_alu instid0(VALU_DEP_1)
	s_and_saveexec_b32 s45, s31
	s_cbranch_execnz .LBB1022_487
	s_branch .LBB1022_488
.LBB1022_472:                           ;   in Loop: Header=BB1022_392 Depth=2
	s_or_b32 exec_lo, exec_lo, s17
	v_cmp_lt_u32_e64 s16, v48, v0
	s_delay_alu instid0(VALU_DEP_1)
	s_and_saveexec_b32 s18, s16
	s_cbranch_execz .LBB1022_458
.LBB1022_473:                           ;   in Loop: Header=BB1022_392 Depth=2
	ds_load_u16 v142, v83 offset:512
	s_waitcnt lgkmcnt(0)
	v_and_b32_e32 v2, 0xffff, v142
	s_delay_alu instid0(VALU_DEP_1) | instskip(NEXT) | instid1(VALU_DEP_1)
	v_lshrrev_b32_e32 v2, s42, v2
	v_and_b32_e32 v2, s43, v2
	s_delay_alu instid0(VALU_DEP_1) | instskip(SKIP_3) | instid1(VALU_DEP_1)
	v_lshlrev_b32_e32 v2, 2, v2
	ds_load_b32 v2, v2
	s_waitcnt lgkmcnt(0)
	v_add_nc_u32_e32 v19, v2, v48
	v_lshlrev_b64 v[2:3], 1, v[19:20]
	v_xor_b32_e32 v19, 0xffff8000, v142
	s_delay_alu instid0(VALU_DEP_2) | instskip(NEXT) | instid1(VALU_DEP_1)
	v_add_co_u32 v2, s17, s40, v2
	v_add_co_ci_u32_e64 v3, s17, s41, v3, s17
	global_store_b16 v[2:3], v19, off
	s_or_b32 exec_lo, exec_lo, s18
	v_cmp_lt_u32_e64 s17, v49, v0
	s_delay_alu instid0(VALU_DEP_1)
	s_and_saveexec_b32 s19, s17
	s_cbranch_execnz .LBB1022_459
.LBB1022_474:                           ;   in Loop: Header=BB1022_392 Depth=2
	s_or_b32 exec_lo, exec_lo, s19
	v_cmp_lt_u32_e64 s18, v50, v0
	s_delay_alu instid0(VALU_DEP_1)
	s_and_saveexec_b32 s20, s18
	s_cbranch_execz .LBB1022_460
.LBB1022_475:                           ;   in Loop: Header=BB1022_392 Depth=2
	ds_load_u16 v142, v83 offset:1536
	s_waitcnt lgkmcnt(0)
	v_and_b32_e32 v2, 0xffff, v142
	s_delay_alu instid0(VALU_DEP_1) | instskip(NEXT) | instid1(VALU_DEP_1)
	v_lshrrev_b32_e32 v2, s42, v2
	v_and_b32_e32 v2, s43, v2
	s_delay_alu instid0(VALU_DEP_1) | instskip(SKIP_3) | instid1(VALU_DEP_1)
	v_lshlrev_b32_e32 v2, 2, v2
	ds_load_b32 v2, v2
	s_waitcnt lgkmcnt(0)
	v_add_nc_u32_e32 v19, v2, v50
	v_lshlrev_b64 v[2:3], 1, v[19:20]
	v_xor_b32_e32 v19, 0xffff8000, v142
	s_delay_alu instid0(VALU_DEP_2) | instskip(NEXT) | instid1(VALU_DEP_1)
	v_add_co_u32 v2, s19, s40, v2
	v_add_co_ci_u32_e64 v3, s19, s41, v3, s19
	global_store_b16 v[2:3], v19, off
	s_or_b32 exec_lo, exec_lo, s20
	v_cmp_lt_u32_e64 s19, v54, v0
	s_delay_alu instid0(VALU_DEP_1)
	s_and_saveexec_b32 s21, s19
	s_cbranch_execnz .LBB1022_461
.LBB1022_476:                           ;   in Loop: Header=BB1022_392 Depth=2
	s_or_b32 exec_lo, exec_lo, s21
	v_cmp_lt_u32_e64 s20, v55, v0
	s_delay_alu instid0(VALU_DEP_1)
	s_and_saveexec_b32 s22, s20
	s_cbranch_execz .LBB1022_462
.LBB1022_477:                           ;   in Loop: Header=BB1022_392 Depth=2
	ds_load_u16 v142, v83 offset:2560
	s_waitcnt lgkmcnt(0)
	v_and_b32_e32 v2, 0xffff, v142
	s_delay_alu instid0(VALU_DEP_1) | instskip(NEXT) | instid1(VALU_DEP_1)
	v_lshrrev_b32_e32 v2, s42, v2
	v_and_b32_e32 v2, s43, v2
	s_delay_alu instid0(VALU_DEP_1) | instskip(SKIP_3) | instid1(VALU_DEP_1)
	v_lshlrev_b32_e32 v2, 2, v2
	ds_load_b32 v2, v2
	s_waitcnt lgkmcnt(0)
	v_add_nc_u32_e32 v19, v2, v55
	v_lshlrev_b64 v[2:3], 1, v[19:20]
	v_xor_b32_e32 v19, 0xffff8000, v142
	s_delay_alu instid0(VALU_DEP_2) | instskip(NEXT) | instid1(VALU_DEP_1)
	v_add_co_u32 v2, s21, s40, v2
	v_add_co_ci_u32_e64 v3, s21, s41, v3, s21
	global_store_b16 v[2:3], v19, off
	s_or_b32 exec_lo, exec_lo, s22
	v_cmp_lt_u32_e64 s21, v56, v0
	s_delay_alu instid0(VALU_DEP_1)
	s_and_saveexec_b32 s23, s21
	s_cbranch_execnz .LBB1022_463
.LBB1022_478:                           ;   in Loop: Header=BB1022_392 Depth=2
	s_or_b32 exec_lo, exec_lo, s23
	v_cmp_lt_u32_e64 s22, v57, v0
	s_delay_alu instid0(VALU_DEP_1)
	s_and_saveexec_b32 s24, s22
	s_cbranch_execz .LBB1022_464
.LBB1022_479:                           ;   in Loop: Header=BB1022_392 Depth=2
	ds_load_u16 v142, v83 offset:3584
	s_waitcnt lgkmcnt(0)
	v_and_b32_e32 v2, 0xffff, v142
	s_delay_alu instid0(VALU_DEP_1) | instskip(NEXT) | instid1(VALU_DEP_1)
	v_lshrrev_b32_e32 v2, s42, v2
	v_and_b32_e32 v2, s43, v2
	s_delay_alu instid0(VALU_DEP_1) | instskip(SKIP_3) | instid1(VALU_DEP_1)
	v_lshlrev_b32_e32 v2, 2, v2
	ds_load_b32 v2, v2
	s_waitcnt lgkmcnt(0)
	v_add_nc_u32_e32 v19, v2, v57
	v_lshlrev_b64 v[2:3], 1, v[19:20]
	v_xor_b32_e32 v19, 0xffff8000, v142
	s_delay_alu instid0(VALU_DEP_2) | instskip(NEXT) | instid1(VALU_DEP_1)
	v_add_co_u32 v2, s23, s40, v2
	v_add_co_ci_u32_e64 v3, s23, s41, v3, s23
	global_store_b16 v[2:3], v19, off
	s_or_b32 exec_lo, exec_lo, s24
	v_cmp_lt_u32_e64 s23, v58, v0
	s_delay_alu instid0(VALU_DEP_1)
	s_and_saveexec_b32 s25, s23
	s_cbranch_execnz .LBB1022_465
.LBB1022_480:                           ;   in Loop: Header=BB1022_392 Depth=2
	s_or_b32 exec_lo, exec_lo, s25
	v_cmp_lt_u32_e64 s24, v59, v0
	s_delay_alu instid0(VALU_DEP_1)
	s_and_saveexec_b32 s27, s24
	s_cbranch_execz .LBB1022_466
.LBB1022_481:                           ;   in Loop: Header=BB1022_392 Depth=2
	ds_load_u16 v142, v83 offset:4608
	s_waitcnt lgkmcnt(0)
	v_and_b32_e32 v2, 0xffff, v142
	s_delay_alu instid0(VALU_DEP_1) | instskip(NEXT) | instid1(VALU_DEP_1)
	v_lshrrev_b32_e32 v2, s42, v2
	v_and_b32_e32 v2, s43, v2
	s_delay_alu instid0(VALU_DEP_1) | instskip(SKIP_3) | instid1(VALU_DEP_1)
	v_lshlrev_b32_e32 v2, 2, v2
	ds_load_b32 v2, v2
	s_waitcnt lgkmcnt(0)
	v_add_nc_u32_e32 v19, v2, v59
	v_lshlrev_b64 v[2:3], 1, v[19:20]
	v_xor_b32_e32 v19, 0xffff8000, v142
	s_delay_alu instid0(VALU_DEP_2) | instskip(NEXT) | instid1(VALU_DEP_1)
	v_add_co_u32 v2, s25, s40, v2
	v_add_co_ci_u32_e64 v3, s25, s41, v3, s25
	global_store_b16 v[2:3], v19, off
	s_or_b32 exec_lo, exec_lo, s27
	v_cmp_lt_u32_e64 s25, v60, v0
	s_delay_alu instid0(VALU_DEP_1)
	s_and_saveexec_b32 s28, s25
	s_cbranch_execnz .LBB1022_467
.LBB1022_482:                           ;   in Loop: Header=BB1022_392 Depth=2
	s_or_b32 exec_lo, exec_lo, s28
	v_cmp_lt_u32_e64 s27, v61, v0
	s_delay_alu instid0(VALU_DEP_1)
	s_and_saveexec_b32 s29, s27
	s_cbranch_execz .LBB1022_468
.LBB1022_483:                           ;   in Loop: Header=BB1022_392 Depth=2
	ds_load_u16 v142, v83 offset:5632
	s_waitcnt lgkmcnt(0)
	v_and_b32_e32 v2, 0xffff, v142
	s_delay_alu instid0(VALU_DEP_1) | instskip(NEXT) | instid1(VALU_DEP_1)
	v_lshrrev_b32_e32 v2, s42, v2
	v_and_b32_e32 v2, s43, v2
	s_delay_alu instid0(VALU_DEP_1) | instskip(SKIP_3) | instid1(VALU_DEP_1)
	v_lshlrev_b32_e32 v2, 2, v2
	ds_load_b32 v2, v2
	s_waitcnt lgkmcnt(0)
	v_add_nc_u32_e32 v19, v2, v61
	v_lshlrev_b64 v[2:3], 1, v[19:20]
	v_xor_b32_e32 v19, 0xffff8000, v142
	s_delay_alu instid0(VALU_DEP_2) | instskip(NEXT) | instid1(VALU_DEP_1)
	v_add_co_u32 v2, s28, s40, v2
	v_add_co_ci_u32_e64 v3, s28, s41, v3, s28
	global_store_b16 v[2:3], v19, off
	s_or_b32 exec_lo, exec_lo, s29
	v_cmp_lt_u32_e64 s28, v62, v0
	s_delay_alu instid0(VALU_DEP_1)
	s_and_saveexec_b32 s30, s28
	s_cbranch_execnz .LBB1022_469
.LBB1022_484:                           ;   in Loop: Header=BB1022_392 Depth=2
	s_or_b32 exec_lo, exec_lo, s30
	v_cmp_lt_u32_e64 s29, v63, v0
	s_delay_alu instid0(VALU_DEP_1)
	s_and_saveexec_b32 s31, s29
	s_cbranch_execz .LBB1022_470
.LBB1022_485:                           ;   in Loop: Header=BB1022_392 Depth=2
	ds_load_u16 v142, v83 offset:6656
	s_waitcnt lgkmcnt(0)
	v_and_b32_e32 v2, 0xffff, v142
	s_delay_alu instid0(VALU_DEP_1) | instskip(NEXT) | instid1(VALU_DEP_1)
	v_lshrrev_b32_e32 v2, s42, v2
	v_and_b32_e32 v2, s43, v2
	s_delay_alu instid0(VALU_DEP_1) | instskip(SKIP_3) | instid1(VALU_DEP_1)
	v_lshlrev_b32_e32 v2, 2, v2
	ds_load_b32 v2, v2
	s_waitcnt lgkmcnt(0)
	v_add_nc_u32_e32 v19, v2, v63
	v_lshlrev_b64 v[2:3], 1, v[19:20]
	v_xor_b32_e32 v19, 0xffff8000, v142
	s_delay_alu instid0(VALU_DEP_2) | instskip(NEXT) | instid1(VALU_DEP_1)
	v_add_co_u32 v2, s30, s40, v2
	v_add_co_ci_u32_e64 v3, s30, s41, v3, s30
	global_store_b16 v[2:3], v19, off
	s_or_b32 exec_lo, exec_lo, s31
	v_cmp_lt_u32_e64 s30, v64, v0
	s_delay_alu instid0(VALU_DEP_1)
	s_and_saveexec_b32 s33, s30
	s_cbranch_execnz .LBB1022_471
.LBB1022_486:                           ;   in Loop: Header=BB1022_392 Depth=2
	s_or_b32 exec_lo, exec_lo, s33
	v_cmp_lt_u32_e64 s31, v66, v0
	s_delay_alu instid0(VALU_DEP_1)
	s_and_saveexec_b32 s45, s31
	s_cbranch_execz .LBB1022_488
.LBB1022_487:                           ;   in Loop: Header=BB1022_392 Depth=2
	ds_load_u16 v142, v83 offset:7680
	s_waitcnt lgkmcnt(0)
	v_and_b32_e32 v2, 0xffff, v142
	s_delay_alu instid0(VALU_DEP_1) | instskip(NEXT) | instid1(VALU_DEP_1)
	v_lshrrev_b32_e32 v2, s42, v2
	v_and_b32_e32 v2, s43, v2
	s_delay_alu instid0(VALU_DEP_1) | instskip(SKIP_3) | instid1(VALU_DEP_1)
	v_lshlrev_b32_e32 v2, 2, v2
	ds_load_b32 v2, v2
	s_waitcnt lgkmcnt(0)
	v_add_nc_u32_e32 v19, v2, v66
	v_lshlrev_b64 v[2:3], 1, v[19:20]
	v_xor_b32_e32 v19, 0xffff8000, v142
	s_delay_alu instid0(VALU_DEP_2) | instskip(NEXT) | instid1(VALU_DEP_1)
	v_add_co_u32 v2, s33, s40, v2
	v_add_co_ci_u32_e64 v3, s33, s41, v3, s33
	global_store_b16 v[2:3], v19, off
.LBB1022_488:                           ;   in Loop: Header=BB1022_392 Depth=2
	s_or_b32 exec_lo, exec_lo, s45
	s_lshl_b64 s[46:47], s[34:35], 3
	s_delay_alu instid0(SALU_CYCLE_1) | instskip(NEXT) | instid1(VALU_DEP_1)
	v_add_co_u32 v2, s33, v103, s46
	v_add_co_ci_u32_e64 v3, s33, s47, v104, s33
	v_cmp_lt_u32_e64 s33, v102, v0
	s_delay_alu instid0(VALU_DEP_1) | instskip(NEXT) | instid1(SALU_CYCLE_1)
	s_and_saveexec_b32 s34, s33
	s_xor_b32 s33, exec_lo, s34
	s_cbranch_execz .LBB1022_520
; %bb.489:                              ;   in Loop: Header=BB1022_392 Depth=2
	global_load_b64 v[43:44], v[2:3], off
	s_or_b32 exec_lo, exec_lo, s33
	s_delay_alu instid0(SALU_CYCLE_1)
	s_mov_b32 s34, exec_lo
	v_cmpx_lt_u32_e64 v105, v0
	s_cbranch_execnz .LBB1022_521
.LBB1022_490:                           ;   in Loop: Header=BB1022_392 Depth=2
	s_or_b32 exec_lo, exec_lo, s34
	s_delay_alu instid0(SALU_CYCLE_1)
	s_mov_b32 s34, exec_lo
	v_cmpx_lt_u32_e64 v106, v0
	s_cbranch_execz .LBB1022_522
.LBB1022_491:                           ;   in Loop: Header=BB1022_392 Depth=2
	global_load_b64 v[39:40], v[2:3], off offset:512
	s_or_b32 exec_lo, exec_lo, s34
	s_delay_alu instid0(SALU_CYCLE_1)
	s_mov_b32 s34, exec_lo
	v_cmpx_lt_u32_e64 v107, v0
	s_cbranch_execnz .LBB1022_523
.LBB1022_492:                           ;   in Loop: Header=BB1022_392 Depth=2
	s_or_b32 exec_lo, exec_lo, s34
	s_delay_alu instid0(SALU_CYCLE_1)
	s_mov_b32 s34, exec_lo
	v_cmpx_lt_u32_e64 v108, v0
	s_cbranch_execz .LBB1022_524
.LBB1022_493:                           ;   in Loop: Header=BB1022_392 Depth=2
	global_load_b64 v[35:36], v[2:3], off offset:1024
	s_or_b32 exec_lo, exec_lo, s34
	s_delay_alu instid0(SALU_CYCLE_1)
	s_mov_b32 s34, exec_lo
	v_cmpx_lt_u32_e64 v109, v0
	s_cbranch_execnz .LBB1022_525
.LBB1022_494:                           ;   in Loop: Header=BB1022_392 Depth=2
	s_or_b32 exec_lo, exec_lo, s34
	s_delay_alu instid0(SALU_CYCLE_1)
	s_mov_b32 s34, exec_lo
	v_cmpx_lt_u32_e64 v110, v0
	s_cbranch_execz .LBB1022_526
.LBB1022_495:                           ;   in Loop: Header=BB1022_392 Depth=2
	global_load_b64 v[31:32], v[2:3], off offset:1536
	s_or_b32 exec_lo, exec_lo, s34
	s_delay_alu instid0(SALU_CYCLE_1)
	s_mov_b32 s34, exec_lo
	v_cmpx_lt_u32_e64 v111, v0
	s_cbranch_execnz .LBB1022_527
.LBB1022_496:                           ;   in Loop: Header=BB1022_392 Depth=2
	s_or_b32 exec_lo, exec_lo, s34
	s_delay_alu instid0(SALU_CYCLE_1)
	s_mov_b32 s34, exec_lo
	v_cmpx_lt_u32_e64 v112, v0
	s_cbranch_execz .LBB1022_528
.LBB1022_497:                           ;   in Loop: Header=BB1022_392 Depth=2
	global_load_b64 v[27:28], v[2:3], off offset:2048
	s_or_b32 exec_lo, exec_lo, s34
	s_delay_alu instid0(SALU_CYCLE_1)
	s_mov_b32 s34, exec_lo
	v_cmpx_lt_u32_e64 v113, v0
	s_cbranch_execnz .LBB1022_529
.LBB1022_498:                           ;   in Loop: Header=BB1022_392 Depth=2
	s_or_b32 exec_lo, exec_lo, s34
	s_delay_alu instid0(SALU_CYCLE_1)
	s_mov_b32 s34, exec_lo
	v_cmpx_lt_u32_e64 v114, v0
	s_cbranch_execz .LBB1022_530
.LBB1022_499:                           ;   in Loop: Header=BB1022_392 Depth=2
	global_load_b64 v[23:24], v[2:3], off offset:2560
	s_or_b32 exec_lo, exec_lo, s34
	s_delay_alu instid0(SALU_CYCLE_1)
	s_mov_b32 s34, exec_lo
	v_cmpx_lt_u32_e64 v115, v0
	s_cbranch_execnz .LBB1022_531
.LBB1022_500:                           ;   in Loop: Header=BB1022_392 Depth=2
	s_or_b32 exec_lo, exec_lo, s34
	s_delay_alu instid0(SALU_CYCLE_1)
	s_mov_b32 s34, exec_lo
	v_cmpx_lt_u32_e64 v116, v0
	s_cbranch_execz .LBB1022_532
.LBB1022_501:                           ;   in Loop: Header=BB1022_392 Depth=2
	global_load_b64 v[16:17], v[2:3], off offset:3072
	s_or_b32 exec_lo, exec_lo, s34
	s_delay_alu instid0(SALU_CYCLE_1)
	s_mov_b32 s34, exec_lo
	v_cmpx_lt_u32_e64 v117, v0
	s_cbranch_execnz .LBB1022_533
.LBB1022_502:                           ;   in Loop: Header=BB1022_392 Depth=2
	s_or_b32 exec_lo, exec_lo, s34
	s_delay_alu instid0(SALU_CYCLE_1)
	s_mov_b32 s34, exec_lo
	v_cmpx_lt_u32_e64 v118, v0
	s_cbranch_execz .LBB1022_534
.LBB1022_503:                           ;   in Loop: Header=BB1022_392 Depth=2
	global_load_b64 v[12:13], v[2:3], off offset:3584
	s_or_b32 exec_lo, exec_lo, s34
	s_delay_alu instid0(SALU_CYCLE_1)
	s_mov_b32 s34, exec_lo
	v_cmpx_lt_u32_e64 v119, v0
	s_cbranch_execnz .LBB1022_535
.LBB1022_504:                           ;   in Loop: Header=BB1022_392 Depth=2
	s_or_b32 exec_lo, exec_lo, s34
	s_and_saveexec_b32 s33, vcc_lo
	s_cbranch_execz .LBB1022_536
.LBB1022_505:                           ;   in Loop: Header=BB1022_392 Depth=2
	v_add_nc_u32_e32 v0, v76, v82
	ds_load_u16 v0, v0 offset:1024
	s_waitcnt lgkmcnt(0)
	v_lshrrev_b32_e32 v0, s42, v0
	s_delay_alu instid0(VALU_DEP_1)
	v_and_b32_e32 v140, s43, v0
	s_or_b32 exec_lo, exec_lo, s33
	s_and_saveexec_b32 s33, s16
	s_cbranch_execnz .LBB1022_537
.LBB1022_506:                           ;   in Loop: Header=BB1022_392 Depth=2
	s_or_b32 exec_lo, exec_lo, s33
	s_and_saveexec_b32 s33, s17
	s_cbranch_execz .LBB1022_538
.LBB1022_507:                           ;   in Loop: Header=BB1022_392 Depth=2
	ds_load_u16 v0, v83 offset:1024
	s_waitcnt lgkmcnt(0)
	v_lshrrev_b32_e32 v0, s42, v0
	s_delay_alu instid0(VALU_DEP_1)
	v_and_b32_e32 v138, s43, v0
	s_or_b32 exec_lo, exec_lo, s33
	s_and_saveexec_b32 s33, s18
	s_cbranch_execnz .LBB1022_539
.LBB1022_508:                           ;   in Loop: Header=BB1022_392 Depth=2
	s_or_b32 exec_lo, exec_lo, s33
	s_and_saveexec_b32 s33, s19
	s_cbranch_execz .LBB1022_540
.LBB1022_509:                           ;   in Loop: Header=BB1022_392 Depth=2
	ds_load_u16 v0, v83 offset:2048
	s_waitcnt lgkmcnt(0)
	v_lshrrev_b32_e32 v0, s42, v0
	s_delay_alu instid0(VALU_DEP_1)
	v_and_b32_e32 v136, s43, v0
	s_or_b32 exec_lo, exec_lo, s33
	s_and_saveexec_b32 s33, s20
	s_cbranch_execnz .LBB1022_541
.LBB1022_510:                           ;   in Loop: Header=BB1022_392 Depth=2
	s_or_b32 exec_lo, exec_lo, s33
	s_and_saveexec_b32 s33, s21
	s_cbranch_execz .LBB1022_542
.LBB1022_511:                           ;   in Loop: Header=BB1022_392 Depth=2
	ds_load_u16 v0, v83 offset:3072
	s_waitcnt lgkmcnt(0)
	v_lshrrev_b32_e32 v0, s42, v0
	s_delay_alu instid0(VALU_DEP_1)
	v_and_b32_e32 v134, s43, v0
	s_or_b32 exec_lo, exec_lo, s33
	s_and_saveexec_b32 s33, s22
	s_cbranch_execnz .LBB1022_543
.LBB1022_512:                           ;   in Loop: Header=BB1022_392 Depth=2
	s_or_b32 exec_lo, exec_lo, s33
	s_and_saveexec_b32 s33, s23
	s_cbranch_execz .LBB1022_544
.LBB1022_513:                           ;   in Loop: Header=BB1022_392 Depth=2
	ds_load_u16 v0, v83 offset:4096
	s_waitcnt lgkmcnt(0)
	v_lshrrev_b32_e32 v0, s42, v0
	s_delay_alu instid0(VALU_DEP_1)
	v_and_b32_e32 v132, s43, v0
	s_or_b32 exec_lo, exec_lo, s33
	s_and_saveexec_b32 s33, s24
	s_cbranch_execnz .LBB1022_545
.LBB1022_514:                           ;   in Loop: Header=BB1022_392 Depth=2
	s_or_b32 exec_lo, exec_lo, s33
	s_and_saveexec_b32 s33, s25
	s_cbranch_execz .LBB1022_546
.LBB1022_515:                           ;   in Loop: Header=BB1022_392 Depth=2
	ds_load_u16 v0, v83 offset:5120
	s_waitcnt lgkmcnt(0)
	v_lshrrev_b32_e32 v0, s42, v0
	s_delay_alu instid0(VALU_DEP_1)
	v_and_b32_e32 v130, s43, v0
	s_or_b32 exec_lo, exec_lo, s33
	s_and_saveexec_b32 s33, s27
	s_cbranch_execnz .LBB1022_547
.LBB1022_516:                           ;   in Loop: Header=BB1022_392 Depth=2
	s_or_b32 exec_lo, exec_lo, s33
	s_and_saveexec_b32 s33, s28
	s_cbranch_execz .LBB1022_548
.LBB1022_517:                           ;   in Loop: Header=BB1022_392 Depth=2
	ds_load_u16 v0, v83 offset:6144
	s_waitcnt lgkmcnt(0)
	v_lshrrev_b32_e32 v0, s42, v0
	s_delay_alu instid0(VALU_DEP_1)
	v_and_b32_e32 v128, s43, v0
	s_or_b32 exec_lo, exec_lo, s33
	s_and_saveexec_b32 s33, s29
	s_cbranch_execnz .LBB1022_549
.LBB1022_518:                           ;   in Loop: Header=BB1022_392 Depth=2
	s_or_b32 exec_lo, exec_lo, s33
	s_and_saveexec_b32 s33, s30
	s_cbranch_execz .LBB1022_550
.LBB1022_519:                           ;   in Loop: Header=BB1022_392 Depth=2
	ds_load_u16 v0, v83 offset:7168
	s_waitcnt lgkmcnt(0)
	v_lshrrev_b32_e32 v0, s42, v0
	s_delay_alu instid0(VALU_DEP_1)
	v_and_b32_e32 v126, s43, v0
	s_or_b32 exec_lo, exec_lo, s33
	s_and_saveexec_b32 s33, s31
	s_cbranch_execnz .LBB1022_551
	s_branch .LBB1022_552
.LBB1022_520:                           ;   in Loop: Header=BB1022_392 Depth=2
	s_or_b32 exec_lo, exec_lo, s33
	s_delay_alu instid0(SALU_CYCLE_1)
	s_mov_b32 s34, exec_lo
	v_cmpx_lt_u32_e64 v105, v0
	s_cbranch_execz .LBB1022_490
.LBB1022_521:                           ;   in Loop: Header=BB1022_392 Depth=2
	global_load_b64 v[41:42], v[2:3], off offset:256
	s_or_b32 exec_lo, exec_lo, s34
	s_delay_alu instid0(SALU_CYCLE_1)
	s_mov_b32 s34, exec_lo
	v_cmpx_lt_u32_e64 v106, v0
	s_cbranch_execnz .LBB1022_491
.LBB1022_522:                           ;   in Loop: Header=BB1022_392 Depth=2
	s_or_b32 exec_lo, exec_lo, s34
	s_delay_alu instid0(SALU_CYCLE_1)
	s_mov_b32 s34, exec_lo
	v_cmpx_lt_u32_e64 v107, v0
	s_cbranch_execz .LBB1022_492
.LBB1022_523:                           ;   in Loop: Header=BB1022_392 Depth=2
	global_load_b64 v[37:38], v[2:3], off offset:768
	s_or_b32 exec_lo, exec_lo, s34
	s_delay_alu instid0(SALU_CYCLE_1)
	s_mov_b32 s34, exec_lo
	v_cmpx_lt_u32_e64 v108, v0
	s_cbranch_execnz .LBB1022_493
.LBB1022_524:                           ;   in Loop: Header=BB1022_392 Depth=2
	s_or_b32 exec_lo, exec_lo, s34
	s_delay_alu instid0(SALU_CYCLE_1)
	s_mov_b32 s34, exec_lo
	v_cmpx_lt_u32_e64 v109, v0
	s_cbranch_execz .LBB1022_494
.LBB1022_525:                           ;   in Loop: Header=BB1022_392 Depth=2
	global_load_b64 v[33:34], v[2:3], off offset:1280
	s_or_b32 exec_lo, exec_lo, s34
	s_delay_alu instid0(SALU_CYCLE_1)
	s_mov_b32 s34, exec_lo
	v_cmpx_lt_u32_e64 v110, v0
	s_cbranch_execnz .LBB1022_495
.LBB1022_526:                           ;   in Loop: Header=BB1022_392 Depth=2
	s_or_b32 exec_lo, exec_lo, s34
	s_delay_alu instid0(SALU_CYCLE_1)
	s_mov_b32 s34, exec_lo
	v_cmpx_lt_u32_e64 v111, v0
	s_cbranch_execz .LBB1022_496
.LBB1022_527:                           ;   in Loop: Header=BB1022_392 Depth=2
	global_load_b64 v[29:30], v[2:3], off offset:1792
	s_or_b32 exec_lo, exec_lo, s34
	s_delay_alu instid0(SALU_CYCLE_1)
	s_mov_b32 s34, exec_lo
	v_cmpx_lt_u32_e64 v112, v0
	s_cbranch_execnz .LBB1022_497
.LBB1022_528:                           ;   in Loop: Header=BB1022_392 Depth=2
	s_or_b32 exec_lo, exec_lo, s34
	s_delay_alu instid0(SALU_CYCLE_1)
	s_mov_b32 s34, exec_lo
	v_cmpx_lt_u32_e64 v113, v0
	s_cbranch_execz .LBB1022_498
.LBB1022_529:                           ;   in Loop: Header=BB1022_392 Depth=2
	global_load_b64 v[25:26], v[2:3], off offset:2304
	s_or_b32 exec_lo, exec_lo, s34
	s_delay_alu instid0(SALU_CYCLE_1)
	s_mov_b32 s34, exec_lo
	v_cmpx_lt_u32_e64 v114, v0
	s_cbranch_execnz .LBB1022_499
.LBB1022_530:                           ;   in Loop: Header=BB1022_392 Depth=2
	s_or_b32 exec_lo, exec_lo, s34
	s_delay_alu instid0(SALU_CYCLE_1)
	s_mov_b32 s34, exec_lo
	v_cmpx_lt_u32_e64 v115, v0
	s_cbranch_execz .LBB1022_500
.LBB1022_531:                           ;   in Loop: Header=BB1022_392 Depth=2
	global_load_b64 v[21:22], v[2:3], off offset:2816
	s_or_b32 exec_lo, exec_lo, s34
	s_delay_alu instid0(SALU_CYCLE_1)
	s_mov_b32 s34, exec_lo
	v_cmpx_lt_u32_e64 v116, v0
	s_cbranch_execnz .LBB1022_501
.LBB1022_532:                           ;   in Loop: Header=BB1022_392 Depth=2
	s_or_b32 exec_lo, exec_lo, s34
	s_delay_alu instid0(SALU_CYCLE_1)
	s_mov_b32 s34, exec_lo
	v_cmpx_lt_u32_e64 v117, v0
	s_cbranch_execz .LBB1022_502
.LBB1022_533:                           ;   in Loop: Header=BB1022_392 Depth=2
	global_load_b64 v[14:15], v[2:3], off offset:3328
	s_or_b32 exec_lo, exec_lo, s34
	s_delay_alu instid0(SALU_CYCLE_1)
	s_mov_b32 s34, exec_lo
	v_cmpx_lt_u32_e64 v118, v0
	s_cbranch_execnz .LBB1022_503
.LBB1022_534:                           ;   in Loop: Header=BB1022_392 Depth=2
	s_or_b32 exec_lo, exec_lo, s34
	s_delay_alu instid0(SALU_CYCLE_1)
	s_mov_b32 s34, exec_lo
	v_cmpx_lt_u32_e64 v119, v0
	s_cbranch_execz .LBB1022_504
.LBB1022_535:                           ;   in Loop: Header=BB1022_392 Depth=2
	global_load_b64 v[10:11], v[2:3], off offset:3840
	s_or_b32 exec_lo, exec_lo, s34
	s_and_saveexec_b32 s33, vcc_lo
	s_cbranch_execnz .LBB1022_505
.LBB1022_536:                           ;   in Loop: Header=BB1022_392 Depth=2
	s_or_b32 exec_lo, exec_lo, s33
	s_and_saveexec_b32 s33, s16
	s_cbranch_execz .LBB1022_506
.LBB1022_537:                           ;   in Loop: Header=BB1022_392 Depth=2
	ds_load_u16 v0, v83 offset:512
	s_waitcnt lgkmcnt(0)
	v_lshrrev_b32_e32 v0, s42, v0
	s_delay_alu instid0(VALU_DEP_1)
	v_and_b32_e32 v139, s43, v0
	s_or_b32 exec_lo, exec_lo, s33
	s_and_saveexec_b32 s33, s17
	s_cbranch_execnz .LBB1022_507
.LBB1022_538:                           ;   in Loop: Header=BB1022_392 Depth=2
	s_or_b32 exec_lo, exec_lo, s33
	s_and_saveexec_b32 s33, s18
	s_cbranch_execz .LBB1022_508
.LBB1022_539:                           ;   in Loop: Header=BB1022_392 Depth=2
	ds_load_u16 v0, v83 offset:1536
	s_waitcnt lgkmcnt(0)
	v_lshrrev_b32_e32 v0, s42, v0
	s_delay_alu instid0(VALU_DEP_1)
	v_and_b32_e32 v137, s43, v0
	s_or_b32 exec_lo, exec_lo, s33
	s_and_saveexec_b32 s33, s19
	s_cbranch_execnz .LBB1022_509
.LBB1022_540:                           ;   in Loop: Header=BB1022_392 Depth=2
	s_or_b32 exec_lo, exec_lo, s33
	s_and_saveexec_b32 s33, s20
	s_cbranch_execz .LBB1022_510
.LBB1022_541:                           ;   in Loop: Header=BB1022_392 Depth=2
	ds_load_u16 v0, v83 offset:2560
	s_waitcnt lgkmcnt(0)
	v_lshrrev_b32_e32 v0, s42, v0
	s_delay_alu instid0(VALU_DEP_1)
	v_and_b32_e32 v135, s43, v0
	s_or_b32 exec_lo, exec_lo, s33
	s_and_saveexec_b32 s33, s21
	s_cbranch_execnz .LBB1022_511
.LBB1022_542:                           ;   in Loop: Header=BB1022_392 Depth=2
	s_or_b32 exec_lo, exec_lo, s33
	s_and_saveexec_b32 s33, s22
	s_cbranch_execz .LBB1022_512
.LBB1022_543:                           ;   in Loop: Header=BB1022_392 Depth=2
	ds_load_u16 v0, v83 offset:3584
	s_waitcnt lgkmcnt(0)
	v_lshrrev_b32_e32 v0, s42, v0
	s_delay_alu instid0(VALU_DEP_1)
	v_and_b32_e32 v133, s43, v0
	s_or_b32 exec_lo, exec_lo, s33
	s_and_saveexec_b32 s33, s23
	s_cbranch_execnz .LBB1022_513
.LBB1022_544:                           ;   in Loop: Header=BB1022_392 Depth=2
	s_or_b32 exec_lo, exec_lo, s33
	s_and_saveexec_b32 s33, s24
	s_cbranch_execz .LBB1022_514
.LBB1022_545:                           ;   in Loop: Header=BB1022_392 Depth=2
	ds_load_u16 v0, v83 offset:4608
	s_waitcnt lgkmcnt(0)
	v_lshrrev_b32_e32 v0, s42, v0
	s_delay_alu instid0(VALU_DEP_1)
	v_and_b32_e32 v131, s43, v0
	s_or_b32 exec_lo, exec_lo, s33
	s_and_saveexec_b32 s33, s25
	s_cbranch_execnz .LBB1022_515
.LBB1022_546:                           ;   in Loop: Header=BB1022_392 Depth=2
	s_or_b32 exec_lo, exec_lo, s33
	s_and_saveexec_b32 s33, s27
	s_cbranch_execz .LBB1022_516
.LBB1022_547:                           ;   in Loop: Header=BB1022_392 Depth=2
	ds_load_u16 v0, v83 offset:5632
	s_waitcnt lgkmcnt(0)
	v_lshrrev_b32_e32 v0, s42, v0
	s_delay_alu instid0(VALU_DEP_1)
	v_and_b32_e32 v129, s43, v0
	s_or_b32 exec_lo, exec_lo, s33
	s_and_saveexec_b32 s33, s28
	s_cbranch_execnz .LBB1022_517
.LBB1022_548:                           ;   in Loop: Header=BB1022_392 Depth=2
	s_or_b32 exec_lo, exec_lo, s33
	s_and_saveexec_b32 s33, s29
	s_cbranch_execz .LBB1022_518
.LBB1022_549:                           ;   in Loop: Header=BB1022_392 Depth=2
	ds_load_u16 v0, v83 offset:6656
	s_waitcnt lgkmcnt(0)
	v_lshrrev_b32_e32 v0, s42, v0
	s_delay_alu instid0(VALU_DEP_1)
	v_and_b32_e32 v127, s43, v0
	s_or_b32 exec_lo, exec_lo, s33
	s_and_saveexec_b32 s33, s30
	s_cbranch_execnz .LBB1022_519
.LBB1022_550:                           ;   in Loop: Header=BB1022_392 Depth=2
	s_or_b32 exec_lo, exec_lo, s33
	s_and_saveexec_b32 s33, s31
	s_cbranch_execz .LBB1022_552
.LBB1022_551:                           ;   in Loop: Header=BB1022_392 Depth=2
	ds_load_u16 v0, v83 offset:7680
	s_waitcnt lgkmcnt(0)
	v_lshrrev_b32_e32 v0, s42, v0
	s_delay_alu instid0(VALU_DEP_1)
	v_and_b32_e32 v125, s43, v0
.LBB1022_552:                           ;   in Loop: Header=BB1022_392 Depth=2
	s_or_b32 exec_lo, exec_lo, s33
	v_lshlrev_b32_e32 v0, 3, v159
	v_lshlrev_b32_e32 v2, 3, v155
	s_waitcnt vmcnt(0)
	s_waitcnt_vscnt null, 0x0
	s_barrier
	buffer_gl0_inv
	ds_store_b64 v0, v[43:44] offset:1024
	v_lshlrev_b32_e32 v0, 3, v151
	v_lshlrev_b32_e32 v3, 3, v150
	v_lshlrev_b32_e32 v19, 3, v149
	v_lshlrev_b32_e32 v142, 3, v147
	ds_store_b64 v2, v[41:42] offset:1024
	ds_store_b64 v0, v[39:40] offset:1024
	ds_store_b64 v3, v[37:38] offset:1024
	ds_store_b64 v19, v[35:36] offset:1024
	ds_store_b64 v142, v[33:34] offset:1024
	v_lshlrev_b32_e32 v0, 3, v146
	v_lshlrev_b32_e32 v2, 3, v145
	;; [unrolled: 1-line block ×5, first 2 shown]
	ds_store_b64 v0, v[31:32] offset:1024
	ds_store_b64 v2, v[29:30] offset:1024
	;; [unrolled: 1-line block ×5, first 2 shown]
	v_lshlrev_b32_e32 v0, 3, v6
	v_lshlrev_b32_e32 v2, 3, v5
	;; [unrolled: 1-line block ×5, first 2 shown]
	ds_store_b64 v0, v[21:22] offset:1024
	ds_store_b64 v2, v[16:17] offset:1024
	;; [unrolled: 1-line block ×5, first 2 shown]
	s_waitcnt lgkmcnt(0)
	s_barrier
	buffer_gl0_inv
	s_and_saveexec_b32 s33, vcc_lo
	s_cbranch_execz .LBB1022_568
; %bb.553:                              ;   in Loop: Header=BB1022_392 Depth=2
	v_lshlrev_b32_e32 v0, 2, v140
	ds_load_b32 v0, v0
	ds_load_b64 v[2:3], v84 offset:1024
	s_waitcnt lgkmcnt(1)
	v_add_nc_u32_e32 v19, v0, v18
	s_delay_alu instid0(VALU_DEP_1) | instskip(NEXT) | instid1(VALU_DEP_1)
	v_lshlrev_b64 v[5:6], 3, v[19:20]
	v_add_co_u32 v5, vcc_lo, s54, v5
	s_delay_alu instid0(VALU_DEP_2)
	v_add_co_ci_u32_e32 v6, vcc_lo, s55, v6, vcc_lo
	s_waitcnt lgkmcnt(0)
	global_store_b64 v[5:6], v[2:3], off
	s_or_b32 exec_lo, exec_lo, s33
	s_and_saveexec_b32 s33, s16
	s_cbranch_execnz .LBB1022_569
.LBB1022_554:                           ;   in Loop: Header=BB1022_392 Depth=2
	s_or_b32 exec_lo, exec_lo, s33
	s_and_saveexec_b32 s16, s17
	s_cbranch_execz .LBB1022_570
.LBB1022_555:                           ;   in Loop: Header=BB1022_392 Depth=2
	v_lshlrev_b32_e32 v0, 2, v138
	v_add_nc_u32_e32 v2, v83, v85
	ds_load_b32 v0, v0
	ds_load_b64 v[2:3], v2 offset:4096
	s_waitcnt lgkmcnt(1)
	v_add_nc_u32_e32 v19, v0, v49
	s_delay_alu instid0(VALU_DEP_1) | instskip(NEXT) | instid1(VALU_DEP_1)
	v_lshlrev_b64 v[5:6], 3, v[19:20]
	v_add_co_u32 v5, vcc_lo, s54, v5
	s_delay_alu instid0(VALU_DEP_2)
	v_add_co_ci_u32_e32 v6, vcc_lo, s55, v6, vcc_lo
	s_waitcnt lgkmcnt(0)
	global_store_b64 v[5:6], v[2:3], off
	s_or_b32 exec_lo, exec_lo, s16
	s_and_saveexec_b32 s16, s18
	s_cbranch_execnz .LBB1022_571
.LBB1022_556:                           ;   in Loop: Header=BB1022_392 Depth=2
	s_or_b32 exec_lo, exec_lo, s16
	s_and_saveexec_b32 s16, s19
	s_cbranch_execz .LBB1022_572
.LBB1022_557:                           ;   in Loop: Header=BB1022_392 Depth=2
	v_lshlrev_b32_e32 v0, 2, v136
	v_add_nc_u32_e32 v2, v83, v85
	ds_load_b32 v0, v0
	ds_load_b64 v[2:3], v2 offset:8192
	s_waitcnt lgkmcnt(1)
	v_add_nc_u32_e32 v19, v0, v54
	s_delay_alu instid0(VALU_DEP_1) | instskip(NEXT) | instid1(VALU_DEP_1)
	v_lshlrev_b64 v[5:6], 3, v[19:20]
	v_add_co_u32 v5, vcc_lo, s54, v5
	s_delay_alu instid0(VALU_DEP_2)
	v_add_co_ci_u32_e32 v6, vcc_lo, s55, v6, vcc_lo
	s_waitcnt lgkmcnt(0)
	global_store_b64 v[5:6], v[2:3], off
	s_or_b32 exec_lo, exec_lo, s16
	s_and_saveexec_b32 s16, s20
	s_cbranch_execnz .LBB1022_573
.LBB1022_558:                           ;   in Loop: Header=BB1022_392 Depth=2
	s_or_b32 exec_lo, exec_lo, s16
	s_and_saveexec_b32 s16, s21
	s_cbranch_execz .LBB1022_574
.LBB1022_559:                           ;   in Loop: Header=BB1022_392 Depth=2
	v_lshlrev_b32_e32 v0, 2, v134
	v_add_nc_u32_e32 v2, v83, v85
	ds_load_b32 v0, v0
	ds_load_b64 v[2:3], v2 offset:12288
	s_waitcnt lgkmcnt(1)
	v_add_nc_u32_e32 v19, v0, v56
	s_delay_alu instid0(VALU_DEP_1) | instskip(NEXT) | instid1(VALU_DEP_1)
	v_lshlrev_b64 v[5:6], 3, v[19:20]
	v_add_co_u32 v5, vcc_lo, s54, v5
	s_delay_alu instid0(VALU_DEP_2)
	v_add_co_ci_u32_e32 v6, vcc_lo, s55, v6, vcc_lo
	s_waitcnt lgkmcnt(0)
	global_store_b64 v[5:6], v[2:3], off
	s_or_b32 exec_lo, exec_lo, s16
	s_and_saveexec_b32 s16, s22
	s_cbranch_execnz .LBB1022_575
.LBB1022_560:                           ;   in Loop: Header=BB1022_392 Depth=2
	s_or_b32 exec_lo, exec_lo, s16
	s_and_saveexec_b32 s16, s23
	s_cbranch_execz .LBB1022_576
.LBB1022_561:                           ;   in Loop: Header=BB1022_392 Depth=2
	v_lshlrev_b32_e32 v0, 2, v132
	v_add_nc_u32_e32 v2, v83, v85
	ds_load_b32 v0, v0
	ds_load_b64 v[2:3], v2 offset:16384
	s_waitcnt lgkmcnt(1)
	v_add_nc_u32_e32 v19, v0, v58
	s_delay_alu instid0(VALU_DEP_1) | instskip(NEXT) | instid1(VALU_DEP_1)
	v_lshlrev_b64 v[5:6], 3, v[19:20]
	v_add_co_u32 v5, vcc_lo, s54, v5
	s_delay_alu instid0(VALU_DEP_2)
	v_add_co_ci_u32_e32 v6, vcc_lo, s55, v6, vcc_lo
	s_waitcnt lgkmcnt(0)
	global_store_b64 v[5:6], v[2:3], off
	s_or_b32 exec_lo, exec_lo, s16
	s_and_saveexec_b32 s16, s24
	s_cbranch_execnz .LBB1022_577
.LBB1022_562:                           ;   in Loop: Header=BB1022_392 Depth=2
	s_or_b32 exec_lo, exec_lo, s16
	s_and_saveexec_b32 s16, s25
	s_cbranch_execz .LBB1022_578
.LBB1022_563:                           ;   in Loop: Header=BB1022_392 Depth=2
	v_lshlrev_b32_e32 v0, 2, v130
	v_add_nc_u32_e32 v2, v83, v85
	ds_load_b32 v0, v0
	ds_load_b64 v[2:3], v2 offset:20480
	s_waitcnt lgkmcnt(1)
	v_add_nc_u32_e32 v19, v0, v60
	s_delay_alu instid0(VALU_DEP_1) | instskip(NEXT) | instid1(VALU_DEP_1)
	v_lshlrev_b64 v[5:6], 3, v[19:20]
	v_add_co_u32 v5, vcc_lo, s54, v5
	s_delay_alu instid0(VALU_DEP_2)
	v_add_co_ci_u32_e32 v6, vcc_lo, s55, v6, vcc_lo
	s_waitcnt lgkmcnt(0)
	global_store_b64 v[5:6], v[2:3], off
	s_or_b32 exec_lo, exec_lo, s16
	s_and_saveexec_b32 s16, s27
	s_cbranch_execnz .LBB1022_579
.LBB1022_564:                           ;   in Loop: Header=BB1022_392 Depth=2
	s_or_b32 exec_lo, exec_lo, s16
	s_and_saveexec_b32 s16, s28
	s_cbranch_execz .LBB1022_580
.LBB1022_565:                           ;   in Loop: Header=BB1022_392 Depth=2
	v_lshlrev_b32_e32 v0, 2, v128
	v_add_nc_u32_e32 v2, v83, v85
	ds_load_b32 v0, v0
	ds_load_b64 v[2:3], v2 offset:24576
	s_waitcnt lgkmcnt(1)
	v_add_nc_u32_e32 v19, v0, v62
	s_delay_alu instid0(VALU_DEP_1) | instskip(NEXT) | instid1(VALU_DEP_1)
	v_lshlrev_b64 v[5:6], 3, v[19:20]
	v_add_co_u32 v5, vcc_lo, s54, v5
	s_delay_alu instid0(VALU_DEP_2)
	v_add_co_ci_u32_e32 v6, vcc_lo, s55, v6, vcc_lo
	s_waitcnt lgkmcnt(0)
	global_store_b64 v[5:6], v[2:3], off
	s_or_b32 exec_lo, exec_lo, s16
	s_and_saveexec_b32 s16, s29
	s_cbranch_execnz .LBB1022_581
.LBB1022_566:                           ;   in Loop: Header=BB1022_392 Depth=2
	s_or_b32 exec_lo, exec_lo, s16
	s_and_saveexec_b32 s16, s30
	s_cbranch_execz .LBB1022_582
.LBB1022_567:                           ;   in Loop: Header=BB1022_392 Depth=2
	v_lshlrev_b32_e32 v0, 2, v126
	v_add_nc_u32_e32 v2, v83, v85
	ds_load_b32 v0, v0
	ds_load_b64 v[2:3], v2 offset:28672
	s_waitcnt lgkmcnt(1)
	v_add_nc_u32_e32 v19, v0, v64
	s_delay_alu instid0(VALU_DEP_1) | instskip(NEXT) | instid1(VALU_DEP_1)
	v_lshlrev_b64 v[5:6], 3, v[19:20]
	v_add_co_u32 v5, vcc_lo, s54, v5
	s_delay_alu instid0(VALU_DEP_2)
	v_add_co_ci_u32_e32 v6, vcc_lo, s55, v6, vcc_lo
	s_waitcnt lgkmcnt(0)
	global_store_b64 v[5:6], v[2:3], off
	s_or_b32 exec_lo, exec_lo, s16
	s_and_saveexec_b32 s16, s31
	s_cbranch_execnz .LBB1022_583
	s_branch .LBB1022_584
.LBB1022_568:                           ;   in Loop: Header=BB1022_392 Depth=2
	s_or_b32 exec_lo, exec_lo, s33
	s_and_saveexec_b32 s33, s16
	s_cbranch_execz .LBB1022_554
.LBB1022_569:                           ;   in Loop: Header=BB1022_392 Depth=2
	v_lshlrev_b32_e32 v0, 2, v139
	v_add_nc_u32_e32 v2, v83, v85
	ds_load_b32 v0, v0
	ds_load_b64 v[2:3], v2 offset:2048
	s_waitcnt lgkmcnt(1)
	v_add_nc_u32_e32 v19, v0, v48
	s_delay_alu instid0(VALU_DEP_1) | instskip(NEXT) | instid1(VALU_DEP_1)
	v_lshlrev_b64 v[5:6], 3, v[19:20]
	v_add_co_u32 v5, vcc_lo, s54, v5
	s_delay_alu instid0(VALU_DEP_2)
	v_add_co_ci_u32_e32 v6, vcc_lo, s55, v6, vcc_lo
	s_waitcnt lgkmcnt(0)
	global_store_b64 v[5:6], v[2:3], off
	s_or_b32 exec_lo, exec_lo, s33
	s_and_saveexec_b32 s16, s17
	s_cbranch_execnz .LBB1022_555
.LBB1022_570:                           ;   in Loop: Header=BB1022_392 Depth=2
	s_or_b32 exec_lo, exec_lo, s16
	s_and_saveexec_b32 s16, s18
	s_cbranch_execz .LBB1022_556
.LBB1022_571:                           ;   in Loop: Header=BB1022_392 Depth=2
	v_lshlrev_b32_e32 v0, 2, v137
	v_add_nc_u32_e32 v2, v83, v85
	ds_load_b32 v0, v0
	ds_load_b64 v[2:3], v2 offset:6144
	s_waitcnt lgkmcnt(1)
	v_add_nc_u32_e32 v19, v0, v50
	s_delay_alu instid0(VALU_DEP_1) | instskip(NEXT) | instid1(VALU_DEP_1)
	v_lshlrev_b64 v[5:6], 3, v[19:20]
	v_add_co_u32 v5, vcc_lo, s54, v5
	s_delay_alu instid0(VALU_DEP_2)
	v_add_co_ci_u32_e32 v6, vcc_lo, s55, v6, vcc_lo
	s_waitcnt lgkmcnt(0)
	global_store_b64 v[5:6], v[2:3], off
	s_or_b32 exec_lo, exec_lo, s16
	s_and_saveexec_b32 s16, s19
	s_cbranch_execnz .LBB1022_557
.LBB1022_572:                           ;   in Loop: Header=BB1022_392 Depth=2
	s_or_b32 exec_lo, exec_lo, s16
	s_and_saveexec_b32 s16, s20
	s_cbranch_execz .LBB1022_558
.LBB1022_573:                           ;   in Loop: Header=BB1022_392 Depth=2
	v_lshlrev_b32_e32 v0, 2, v135
	v_add_nc_u32_e32 v2, v83, v85
	ds_load_b32 v0, v0
	ds_load_b64 v[2:3], v2 offset:10240
	s_waitcnt lgkmcnt(1)
	v_add_nc_u32_e32 v19, v0, v55
	s_delay_alu instid0(VALU_DEP_1) | instskip(NEXT) | instid1(VALU_DEP_1)
	v_lshlrev_b64 v[5:6], 3, v[19:20]
	v_add_co_u32 v5, vcc_lo, s54, v5
	s_delay_alu instid0(VALU_DEP_2)
	v_add_co_ci_u32_e32 v6, vcc_lo, s55, v6, vcc_lo
	s_waitcnt lgkmcnt(0)
	global_store_b64 v[5:6], v[2:3], off
	s_or_b32 exec_lo, exec_lo, s16
	s_and_saveexec_b32 s16, s21
	s_cbranch_execnz .LBB1022_559
.LBB1022_574:                           ;   in Loop: Header=BB1022_392 Depth=2
	s_or_b32 exec_lo, exec_lo, s16
	s_and_saveexec_b32 s16, s22
	s_cbranch_execz .LBB1022_560
.LBB1022_575:                           ;   in Loop: Header=BB1022_392 Depth=2
	v_lshlrev_b32_e32 v0, 2, v133
	v_add_nc_u32_e32 v2, v83, v85
	ds_load_b32 v0, v0
	ds_load_b64 v[2:3], v2 offset:14336
	s_waitcnt lgkmcnt(1)
	v_add_nc_u32_e32 v19, v0, v57
	s_delay_alu instid0(VALU_DEP_1) | instskip(NEXT) | instid1(VALU_DEP_1)
	v_lshlrev_b64 v[5:6], 3, v[19:20]
	v_add_co_u32 v5, vcc_lo, s54, v5
	s_delay_alu instid0(VALU_DEP_2)
	v_add_co_ci_u32_e32 v6, vcc_lo, s55, v6, vcc_lo
	s_waitcnt lgkmcnt(0)
	global_store_b64 v[5:6], v[2:3], off
	s_or_b32 exec_lo, exec_lo, s16
	s_and_saveexec_b32 s16, s23
	s_cbranch_execnz .LBB1022_561
.LBB1022_576:                           ;   in Loop: Header=BB1022_392 Depth=2
	s_or_b32 exec_lo, exec_lo, s16
	s_and_saveexec_b32 s16, s24
	s_cbranch_execz .LBB1022_562
.LBB1022_577:                           ;   in Loop: Header=BB1022_392 Depth=2
	v_lshlrev_b32_e32 v0, 2, v131
	v_add_nc_u32_e32 v2, v83, v85
	ds_load_b32 v0, v0
	ds_load_b64 v[2:3], v2 offset:18432
	s_waitcnt lgkmcnt(1)
	v_add_nc_u32_e32 v19, v0, v59
	s_delay_alu instid0(VALU_DEP_1) | instskip(NEXT) | instid1(VALU_DEP_1)
	v_lshlrev_b64 v[5:6], 3, v[19:20]
	v_add_co_u32 v5, vcc_lo, s54, v5
	s_delay_alu instid0(VALU_DEP_2)
	v_add_co_ci_u32_e32 v6, vcc_lo, s55, v6, vcc_lo
	s_waitcnt lgkmcnt(0)
	global_store_b64 v[5:6], v[2:3], off
	s_or_b32 exec_lo, exec_lo, s16
	s_and_saveexec_b32 s16, s25
	s_cbranch_execnz .LBB1022_563
.LBB1022_578:                           ;   in Loop: Header=BB1022_392 Depth=2
	s_or_b32 exec_lo, exec_lo, s16
	s_and_saveexec_b32 s16, s27
	s_cbranch_execz .LBB1022_564
.LBB1022_579:                           ;   in Loop: Header=BB1022_392 Depth=2
	v_lshlrev_b32_e32 v0, 2, v129
	v_add_nc_u32_e32 v2, v83, v85
	ds_load_b32 v0, v0
	ds_load_b64 v[2:3], v2 offset:22528
	s_waitcnt lgkmcnt(1)
	v_add_nc_u32_e32 v19, v0, v61
	s_delay_alu instid0(VALU_DEP_1) | instskip(NEXT) | instid1(VALU_DEP_1)
	v_lshlrev_b64 v[5:6], 3, v[19:20]
	v_add_co_u32 v5, vcc_lo, s54, v5
	s_delay_alu instid0(VALU_DEP_2)
	v_add_co_ci_u32_e32 v6, vcc_lo, s55, v6, vcc_lo
	s_waitcnt lgkmcnt(0)
	global_store_b64 v[5:6], v[2:3], off
	s_or_b32 exec_lo, exec_lo, s16
	s_and_saveexec_b32 s16, s28
	s_cbranch_execnz .LBB1022_565
.LBB1022_580:                           ;   in Loop: Header=BB1022_392 Depth=2
	s_or_b32 exec_lo, exec_lo, s16
	s_and_saveexec_b32 s16, s29
	s_cbranch_execz .LBB1022_566
.LBB1022_581:                           ;   in Loop: Header=BB1022_392 Depth=2
	v_lshlrev_b32_e32 v0, 2, v127
	v_add_nc_u32_e32 v2, v83, v85
	ds_load_b32 v0, v0
	ds_load_b64 v[2:3], v2 offset:26624
	s_waitcnt lgkmcnt(1)
	v_add_nc_u32_e32 v19, v0, v63
	s_delay_alu instid0(VALU_DEP_1) | instskip(NEXT) | instid1(VALU_DEP_1)
	v_lshlrev_b64 v[5:6], 3, v[19:20]
	v_add_co_u32 v5, vcc_lo, s54, v5
	s_delay_alu instid0(VALU_DEP_2)
	v_add_co_ci_u32_e32 v6, vcc_lo, s55, v6, vcc_lo
	s_waitcnt lgkmcnt(0)
	global_store_b64 v[5:6], v[2:3], off
	s_or_b32 exec_lo, exec_lo, s16
	s_and_saveexec_b32 s16, s30
	s_cbranch_execnz .LBB1022_567
.LBB1022_582:                           ;   in Loop: Header=BB1022_392 Depth=2
	s_or_b32 exec_lo, exec_lo, s16
	s_and_saveexec_b32 s16, s31
	s_cbranch_execz .LBB1022_584
.LBB1022_583:                           ;   in Loop: Header=BB1022_392 Depth=2
	v_lshlrev_b32_e32 v0, 2, v125
	v_add_nc_u32_e32 v2, v83, v85
	ds_load_b32 v0, v0
	ds_load_b64 v[2:3], v2 offset:30720
	s_waitcnt lgkmcnt(1)
	v_add_nc_u32_e32 v19, v0, v66
	s_delay_alu instid0(VALU_DEP_1) | instskip(NEXT) | instid1(VALU_DEP_1)
	v_lshlrev_b64 v[5:6], 3, v[19:20]
	v_add_co_u32 v5, vcc_lo, s54, v5
	s_delay_alu instid0(VALU_DEP_2)
	v_add_co_ci_u32_e32 v6, vcc_lo, s55, v6, vcc_lo
	s_waitcnt lgkmcnt(0)
	global_store_b64 v[5:6], v[2:3], off
.LBB1022_584:                           ;   in Loop: Header=BB1022_392 Depth=2
	s_or_b32 exec_lo, exec_lo, s16
	s_waitcnt_vscnt null, 0x0
	s_barrier
	buffer_gl0_inv
	s_and_saveexec_b32 s16, s2
	s_cbranch_execz .LBB1022_391
; %bb.585:                              ;   in Loop: Header=BB1022_392 Depth=2
	ds_load_b32 v0, v47
	s_waitcnt lgkmcnt(0)
	v_add_nc_u32_e32 v0, v0, v4
	ds_store_b32 v47, v0
	s_branch .LBB1022_391
.LBB1022_586:                           ;   in Loop: Header=BB1022_392 Depth=2
	s_or_b32 exec_lo, exec_lo, s16
	s_delay_alu instid0(SALU_CYCLE_1)
	s_mov_b32 s16, exec_lo
	v_cmpx_gt_u32_e64 s56, v105
	s_cbranch_execz .LBB1022_397
.LBB1022_587:                           ;   in Loop: Header=BB1022_392 Depth=2
	global_load_d16_hi_b16 v2, v[45:46], off offset:64
	s_or_b32 exec_lo, exec_lo, s16
	s_delay_alu instid0(SALU_CYCLE_1)
	s_mov_b32 s16, exec_lo
	v_cmpx_gt_u32_e64 s56, v106
	s_cbranch_execnz .LBB1022_398
.LBB1022_588:                           ;   in Loop: Header=BB1022_392 Depth=2
	s_or_b32 exec_lo, exec_lo, s16
	s_delay_alu instid0(SALU_CYCLE_1)
	s_mov_b32 s16, exec_lo
	v_cmpx_gt_u32_e64 s56, v107
	s_cbranch_execz .LBB1022_399
.LBB1022_589:                           ;   in Loop: Header=BB1022_392 Depth=2
	global_load_d16_hi_b16 v3, v[45:46], off offset:192
	s_or_b32 exec_lo, exec_lo, s16
	s_delay_alu instid0(SALU_CYCLE_1)
	s_mov_b32 s16, exec_lo
	v_cmpx_gt_u32_e64 s56, v108
	s_cbranch_execnz .LBB1022_400
.LBB1022_590:                           ;   in Loop: Header=BB1022_392 Depth=2
	s_or_b32 exec_lo, exec_lo, s16
	s_delay_alu instid0(SALU_CYCLE_1)
	s_mov_b32 s16, exec_lo
	v_cmpx_gt_u32_e64 s56, v109
	s_cbranch_execz .LBB1022_401
.LBB1022_591:                           ;   in Loop: Header=BB1022_392 Depth=2
	global_load_d16_hi_b16 v4, v[45:46], off offset:320
	s_or_b32 exec_lo, exec_lo, s16
	s_delay_alu instid0(SALU_CYCLE_1)
	s_mov_b32 s16, exec_lo
	v_cmpx_gt_u32_e64 s56, v110
	s_cbranch_execnz .LBB1022_402
.LBB1022_592:                           ;   in Loop: Header=BB1022_392 Depth=2
	s_or_b32 exec_lo, exec_lo, s16
	s_delay_alu instid0(SALU_CYCLE_1)
	s_mov_b32 s16, exec_lo
	v_cmpx_gt_u32_e64 s56, v111
	s_cbranch_execz .LBB1022_403
.LBB1022_593:                           ;   in Loop: Header=BB1022_392 Depth=2
	global_load_d16_hi_b16 v5, v[45:46], off offset:448
	s_or_b32 exec_lo, exec_lo, s16
	s_delay_alu instid0(SALU_CYCLE_1)
	s_mov_b32 s16, exec_lo
	v_cmpx_gt_u32_e64 s56, v112
	s_cbranch_execnz .LBB1022_404
.LBB1022_594:                           ;   in Loop: Header=BB1022_392 Depth=2
	s_or_b32 exec_lo, exec_lo, s16
	s_delay_alu instid0(SALU_CYCLE_1)
	s_mov_b32 s16, exec_lo
	v_cmpx_gt_u32_e64 s56, v113
	s_cbranch_execz .LBB1022_405
.LBB1022_595:                           ;   in Loop: Header=BB1022_392 Depth=2
	global_load_d16_hi_b16 v6, v[45:46], off offset:576
	s_or_b32 exec_lo, exec_lo, s16
	s_delay_alu instid0(SALU_CYCLE_1)
	s_mov_b32 s16, exec_lo
	v_cmpx_gt_u32_e64 s56, v114
	s_cbranch_execnz .LBB1022_406
.LBB1022_596:                           ;   in Loop: Header=BB1022_392 Depth=2
	s_or_b32 exec_lo, exec_lo, s16
	s_delay_alu instid0(SALU_CYCLE_1)
	s_mov_b32 s16, exec_lo
	v_cmpx_gt_u32_e64 s56, v115
	s_cbranch_execz .LBB1022_407
.LBB1022_597:                           ;   in Loop: Header=BB1022_392 Depth=2
	global_load_d16_hi_b16 v7, v[45:46], off offset:704
	s_or_b32 exec_lo, exec_lo, s16
	s_delay_alu instid0(SALU_CYCLE_1)
	s_mov_b32 s16, exec_lo
	v_cmpx_gt_u32_e64 s56, v116
	s_cbranch_execnz .LBB1022_408
.LBB1022_598:                           ;   in Loop: Header=BB1022_392 Depth=2
	s_or_b32 exec_lo, exec_lo, s16
	s_delay_alu instid0(SALU_CYCLE_1)
	s_mov_b32 s16, exec_lo
	v_cmpx_gt_u32_e64 s56, v117
	s_cbranch_execz .LBB1022_409
.LBB1022_599:                           ;   in Loop: Header=BB1022_392 Depth=2
	global_load_d16_hi_b16 v8, v[45:46], off offset:832
	s_or_b32 exec_lo, exec_lo, s16
	s_delay_alu instid0(SALU_CYCLE_1)
	s_mov_b32 s16, exec_lo
	v_cmpx_gt_u32_e64 s56, v118
	s_cbranch_execnz .LBB1022_410
	s_branch .LBB1022_411
.LBB1022_600:                           ;   in Loop: Header=BB1022_12 Depth=1
	s_waitcnt lgkmcnt(0)
	s_barrier
.LBB1022_601:                           ;   in Loop: Header=BB1022_12 Depth=1
	s_mov_b32 s1, 0
.LBB1022_602:                           ;   in Loop: Header=BB1022_12 Depth=1
	s_delay_alu instid0(SALU_CYCLE_1)
	s_and_not1_b32 vcc_lo, exec_lo, s1
	s_cbranch_vccnz .LBB1022_11
; %bb.603:                              ;   in Loop: Header=BB1022_12 Depth=1
	s_and_b32 vcc_lo, exec_lo, s59
	s_mov_b32 s1, -1
	s_cbranch_vccz .LBB1022_897
; %bb.604:                              ;   in Loop: Header=BB1022_12 Depth=1
	s_mov_b32 s1, s64
	s_mov_b32 s34, s62
	s_barrier
	buffer_gl0_inv
                                        ; implicit-def: $vgpr2_vgpr3_vgpr4_vgpr5_vgpr6_vgpr7_vgpr8_vgpr9
	s_branch .LBB1022_606
.LBB1022_605:                           ;   in Loop: Header=BB1022_606 Depth=2
	s_or_b32 exec_lo, exec_lo, s8
	s_addk_i32 s1, 0xf000
	s_cmp_ge_u32 s7, s63
	s_mov_b32 s34, s7
	s_cbranch_scc1 .LBB1022_676
.LBB1022_606:                           ;   Parent Loop BB1022_12 Depth=1
                                        ; =>  This Inner Loop Header: Depth=2
	s_add_i32 s7, s34, 0x1000
	s_delay_alu instid0(SALU_CYCLE_1)
	s_cmp_gt_u32 s7, s63
	s_cbranch_scc1 .LBB1022_609
; %bb.607:                              ;   in Loop: Header=BB1022_606 Depth=2
	s_mov_b32 s9, 0
	s_mov_b32 s8, s34
	s_waitcnt vmcnt(7)
	v_mov_b32_e32 v17, v9
	s_lshl_b64 s[10:11], s[8:9], 1
	s_delay_alu instid0(SALU_CYCLE_1) | instskip(SKIP_2) | instid1(VALU_DEP_2)
	v_add_co_u32 v21, vcc_lo, v92, s10
	v_add_co_ci_u32_e32 v22, vcc_lo, s11, v93, vcc_lo
	s_movk_i32 s11, 0x1000
	v_add_co_u32 v23, vcc_lo, 0x1000, v21
	s_delay_alu instid0(VALU_DEP_2)
	v_add_co_ci_u32_e32 v24, vcc_lo, 0, v22, vcc_lo
	s_clause 0x6
	global_load_u16 v10, v[21:22], off
	global_load_u16 v11, v[21:22], off offset:1024
	global_load_u16 v12, v[21:22], off offset:2048
	global_load_u16 v13, v[21:22], off offset:3072
	global_load_u16 v14, v[23:24], off
	global_load_u16 v15, v[23:24], off offset:1024
	global_load_u16 v16, v[23:24], off offset:2048
	s_mov_b32 s10, -1
	s_clause 0x7
	global_load_d16_b16 v17, v[23:24], off offset:3072
	global_load_d16_hi_b16 v10, v[21:22], off offset:512
	global_load_d16_hi_b16 v11, v[21:22], off offset:1536
	;; [unrolled: 1-line block ×7, first 2 shown]
	v_add_co_u32 v21, vcc_lo, 0x1e00, v21
	v_add_co_ci_u32_e32 v22, vcc_lo, 0, v22, vcc_lo
	s_cbranch_execz .LBB1022_610
; %bb.608:                              ;   in Loop: Header=BB1022_606 Depth=2
                                        ; implicit-def: $vgpr2_vgpr3_vgpr4_vgpr5_vgpr6_vgpr7_vgpr8_vgpr9
	v_mov_b32_e32 v0, s1
	s_and_saveexec_b32 s8, s10
	s_cbranch_execnz .LBB1022_629
	s_branch .LBB1022_630
.LBB1022_609:                           ;   in Loop: Header=BB1022_606 Depth=2
	s_mov_b32 s10, 0
                                        ; implicit-def: $sgpr11
                                        ; implicit-def: $vgpr10_vgpr11_vgpr12_vgpr13_vgpr14_vgpr15_vgpr16_vgpr17
                                        ; implicit-def: $vgpr21_vgpr22
.LBB1022_610:                           ;   in Loop: Header=BB1022_606 Depth=2
	s_lshl_b64 s[8:9], s[34:35], 1
	s_mov_b32 s11, exec_lo
	s_add_u32 s8, s36, s8
	s_addc_u32 s9, s37, s9
	v_cmpx_gt_u32_e64 s1, v18
	s_cbranch_execz .LBB1022_662
; %bb.611:                              ;   in Loop: Header=BB1022_606 Depth=2
	global_load_d16_b16 v2, v99, s[8:9]
	s_or_b32 exec_lo, exec_lo, s11
	s_delay_alu instid0(SALU_CYCLE_1)
	s_mov_b32 s11, exec_lo
	v_cmpx_gt_u32_e64 s1, v48
	s_cbranch_execnz .LBB1022_663
.LBB1022_612:                           ;   in Loop: Header=BB1022_606 Depth=2
	s_or_b32 exec_lo, exec_lo, s11
	s_delay_alu instid0(SALU_CYCLE_1)
	s_mov_b32 s11, exec_lo
	v_cmpx_gt_u32_e64 s1, v49
	s_cbranch_execz .LBB1022_664
.LBB1022_613:                           ;   in Loop: Header=BB1022_606 Depth=2
	global_load_d16_b16 v3, v99, s[8:9] offset:1024
	s_or_b32 exec_lo, exec_lo, s11
	s_delay_alu instid0(SALU_CYCLE_1)
	s_mov_b32 s11, exec_lo
	v_cmpx_gt_u32_e64 s1, v50
	s_cbranch_execnz .LBB1022_665
.LBB1022_614:                           ;   in Loop: Header=BB1022_606 Depth=2
	s_or_b32 exec_lo, exec_lo, s11
	s_delay_alu instid0(SALU_CYCLE_1)
	s_mov_b32 s11, exec_lo
	v_cmpx_gt_u32_e64 s1, v54
	s_cbranch_execz .LBB1022_666
.LBB1022_615:                           ;   in Loop: Header=BB1022_606 Depth=2
	global_load_d16_b16 v4, v99, s[8:9] offset:2048
	s_or_b32 exec_lo, exec_lo, s11
	s_delay_alu instid0(SALU_CYCLE_1)
	s_mov_b32 s11, exec_lo
	v_cmpx_gt_u32_e64 s1, v55
	s_cbranch_execnz .LBB1022_667
.LBB1022_616:                           ;   in Loop: Header=BB1022_606 Depth=2
	s_or_b32 exec_lo, exec_lo, s11
	s_delay_alu instid0(SALU_CYCLE_1)
	s_mov_b32 s11, exec_lo
	v_cmpx_gt_u32_e64 s1, v56
	s_cbranch_execz .LBB1022_668
.LBB1022_617:                           ;   in Loop: Header=BB1022_606 Depth=2
	global_load_d16_b16 v5, v99, s[8:9] offset:3072
	s_or_b32 exec_lo, exec_lo, s11
	s_delay_alu instid0(SALU_CYCLE_1)
	s_mov_b32 s11, exec_lo
	v_cmpx_gt_u32_e64 s1, v57
	s_cbranch_execnz .LBB1022_669
.LBB1022_618:                           ;   in Loop: Header=BB1022_606 Depth=2
	s_or_b32 exec_lo, exec_lo, s11
	s_delay_alu instid0(SALU_CYCLE_1)
	s_mov_b32 s11, exec_lo
	v_cmpx_gt_u32_e64 s1, v58
	s_cbranch_execz .LBB1022_670
.LBB1022_619:                           ;   in Loop: Header=BB1022_606 Depth=2
	v_lshlrev_b32_e32 v0, 1, v58
	global_load_d16_b16 v6, v0, s[8:9]
	s_or_b32 exec_lo, exec_lo, s11
	s_delay_alu instid0(SALU_CYCLE_1)
	s_mov_b32 s11, exec_lo
	v_cmpx_gt_u32_e64 s1, v59
	s_cbranch_execnz .LBB1022_671
.LBB1022_620:                           ;   in Loop: Header=BB1022_606 Depth=2
	s_or_b32 exec_lo, exec_lo, s11
	s_delay_alu instid0(SALU_CYCLE_1)
	s_mov_b32 s11, exec_lo
	v_cmpx_gt_u32_e64 s1, v60
	s_cbranch_execz .LBB1022_672
.LBB1022_621:                           ;   in Loop: Header=BB1022_606 Depth=2
	v_lshlrev_b32_e32 v0, 1, v60
	global_load_d16_b16 v7, v0, s[8:9]
	s_or_b32 exec_lo, exec_lo, s11
	s_delay_alu instid0(SALU_CYCLE_1)
	s_mov_b32 s11, exec_lo
	v_cmpx_gt_u32_e64 s1, v61
	s_cbranch_execnz .LBB1022_673
.LBB1022_622:                           ;   in Loop: Header=BB1022_606 Depth=2
	s_or_b32 exec_lo, exec_lo, s11
	s_delay_alu instid0(SALU_CYCLE_1)
	s_mov_b32 s11, exec_lo
	v_cmpx_gt_u32_e64 s1, v62
	s_cbranch_execz .LBB1022_674
.LBB1022_623:                           ;   in Loop: Header=BB1022_606 Depth=2
	v_lshlrev_b32_e32 v0, 1, v62
	global_load_d16_b16 v8, v0, s[8:9]
	s_or_b32 exec_lo, exec_lo, s11
	s_delay_alu instid0(SALU_CYCLE_1)
	s_mov_b32 s11, exec_lo
	v_cmpx_gt_u32_e64 s1, v63
	s_cbranch_execnz .LBB1022_675
.LBB1022_624:                           ;   in Loop: Header=BB1022_606 Depth=2
	s_or_b32 exec_lo, exec_lo, s11
	s_delay_alu instid0(SALU_CYCLE_1)
	s_mov_b32 s11, exec_lo
	v_cmpx_gt_u32_e64 s1, v64
	s_cbranch_execz .LBB1022_626
.LBB1022_625:                           ;   in Loop: Header=BB1022_606 Depth=2
	v_lshlrev_b32_e32 v0, 1, v64
	global_load_d16_b16 v9, v0, s[8:9]
.LBB1022_626:                           ;   in Loop: Header=BB1022_606 Depth=2
	s_or_b32 exec_lo, exec_lo, s11
	s_delay_alu instid0(SALU_CYCLE_1)
	s_mov_b32 s12, exec_lo
                                        ; implicit-def: $sgpr11
                                        ; implicit-def: $vgpr21_vgpr22
	v_cmpx_gt_u32_e64 s1, v66
; %bb.627:                              ;   in Loop: Header=BB1022_606 Depth=2
	v_lshlrev_b32_e32 v0, 1, v66
	s_sub_i32 s11, s63, s34
	s_or_b32 s10, s10, exec_lo
	s_delay_alu instid0(VALU_DEP_1) | instskip(NEXT) | instid1(VALU_DEP_1)
	v_add_co_u32 v21, s8, s8, v0
	v_add_co_ci_u32_e64 v22, null, s9, 0, s8
; %bb.628:                              ;   in Loop: Header=BB1022_606 Depth=2
	s_or_b32 exec_lo, exec_lo, s12
	s_waitcnt vmcnt(0)
	v_dual_mov_b32 v17, v9 :: v_dual_mov_b32 v16, v8
	v_dual_mov_b32 v15, v7 :: v_dual_mov_b32 v14, v6
	;; [unrolled: 1-line block ×4, first 2 shown]
	v_mov_b32_e32 v0, s1
	s_and_saveexec_b32 s8, s10
	s_cbranch_execz .LBB1022_630
.LBB1022_629:                           ;   in Loop: Header=BB1022_606 Depth=2
	global_load_d16_hi_b16 v17, v[21:22], off
	s_waitcnt vmcnt(0)
	v_dual_mov_b32 v2, v10 :: v_dual_mov_b32 v5, v13
	v_dual_mov_b32 v0, s11 :: v_dual_mov_b32 v3, v11
	;; [unrolled: 1-line block ×3, first 2 shown]
	v_mov_b32_e32 v6, v14
	v_dual_mov_b32 v8, v16 :: v_dual_mov_b32 v9, v17
.LBB1022_630:                           ;   in Loop: Header=BB1022_606 Depth=2
	s_or_b32 exec_lo, exec_lo, s8
	s_delay_alu instid0(SALU_CYCLE_1)
	s_mov_b32 s8, exec_lo
	v_cmpx_lt_u32_e64 v18, v0
	s_cbranch_execz .LBB1022_646
; %bb.631:                              ;   in Loop: Header=BB1022_606 Depth=2
	s_waitcnt vmcnt(6)
	v_xor_b32_e32 v10, 0xffff8000, v2
	s_waitcnt vmcnt(5)
	v_lshlrev_b32_e32 v11, 2, v51
	s_delay_alu instid0(VALU_DEP_2) | instskip(NEXT) | instid1(VALU_DEP_1)
	v_and_b32_e32 v10, 0xffff, v10
	v_lshrrev_b32_e32 v10, s57, v10
	s_delay_alu instid0(VALU_DEP_1) | instskip(NEXT) | instid1(VALU_DEP_1)
	v_and_b32_e32 v10, s43, v10
	v_lshl_or_b32 v10, v10, 4, v11
	ds_add_u32 v10, v98
	s_or_b32 exec_lo, exec_lo, s8
	s_delay_alu instid0(SALU_CYCLE_1)
	s_mov_b32 s8, exec_lo
	v_cmpx_lt_u32_e64 v48, v0
	s_cbranch_execnz .LBB1022_647
.LBB1022_632:                           ;   in Loop: Header=BB1022_606 Depth=2
	s_or_b32 exec_lo, exec_lo, s8
	s_delay_alu instid0(SALU_CYCLE_1)
	s_mov_b32 s8, exec_lo
	v_cmpx_lt_u32_e64 v49, v0
	s_cbranch_execz .LBB1022_648
.LBB1022_633:                           ;   in Loop: Header=BB1022_606 Depth=2
	s_waitcnt vmcnt(6)
	v_xor_b32_e32 v10, 0xffff8000, v3
	s_waitcnt vmcnt(5)
	v_lshlrev_b32_e32 v11, 2, v51
	s_delay_alu instid0(VALU_DEP_2) | instskip(NEXT) | instid1(VALU_DEP_1)
	v_and_b32_e32 v10, 0xffff, v10
	v_lshrrev_b32_e32 v10, s57, v10
	s_delay_alu instid0(VALU_DEP_1) | instskip(NEXT) | instid1(VALU_DEP_1)
	v_and_b32_e32 v10, s43, v10
	v_lshl_or_b32 v10, v10, 4, v11
	ds_add_u32 v10, v98
	s_or_b32 exec_lo, exec_lo, s8
	s_delay_alu instid0(SALU_CYCLE_1)
	s_mov_b32 s8, exec_lo
	v_cmpx_lt_u32_e64 v50, v0
	s_cbranch_execnz .LBB1022_649
.LBB1022_634:                           ;   in Loop: Header=BB1022_606 Depth=2
	s_or_b32 exec_lo, exec_lo, s8
	s_delay_alu instid0(SALU_CYCLE_1)
	s_mov_b32 s8, exec_lo
	v_cmpx_lt_u32_e64 v54, v0
	s_cbranch_execz .LBB1022_650
.LBB1022_635:                           ;   in Loop: Header=BB1022_606 Depth=2
	s_waitcnt vmcnt(6)
	v_xor_b32_e32 v10, 0xffff8000, v4
	s_waitcnt vmcnt(5)
	v_lshlrev_b32_e32 v11, 2, v51
	s_delay_alu instid0(VALU_DEP_2) | instskip(NEXT) | instid1(VALU_DEP_1)
	v_and_b32_e32 v10, 0xffff, v10
	v_lshrrev_b32_e32 v10, s57, v10
	s_delay_alu instid0(VALU_DEP_1) | instskip(NEXT) | instid1(VALU_DEP_1)
	v_and_b32_e32 v10, s43, v10
	v_lshl_or_b32 v10, v10, 4, v11
	ds_add_u32 v10, v98
	s_or_b32 exec_lo, exec_lo, s8
	s_delay_alu instid0(SALU_CYCLE_1)
	s_mov_b32 s8, exec_lo
	v_cmpx_lt_u32_e64 v55, v0
	s_cbranch_execnz .LBB1022_651
.LBB1022_636:                           ;   in Loop: Header=BB1022_606 Depth=2
	s_or_b32 exec_lo, exec_lo, s8
	s_delay_alu instid0(SALU_CYCLE_1)
	s_mov_b32 s8, exec_lo
	v_cmpx_lt_u32_e64 v56, v0
	s_cbranch_execz .LBB1022_652
.LBB1022_637:                           ;   in Loop: Header=BB1022_606 Depth=2
	s_waitcnt vmcnt(6)
	v_xor_b32_e32 v10, 0xffff8000, v5
	s_waitcnt vmcnt(5)
	v_lshlrev_b32_e32 v11, 2, v51
	s_delay_alu instid0(VALU_DEP_2) | instskip(NEXT) | instid1(VALU_DEP_1)
	v_and_b32_e32 v10, 0xffff, v10
	v_lshrrev_b32_e32 v10, s57, v10
	s_delay_alu instid0(VALU_DEP_1) | instskip(NEXT) | instid1(VALU_DEP_1)
	v_and_b32_e32 v10, s43, v10
	v_lshl_or_b32 v10, v10, 4, v11
	ds_add_u32 v10, v98
	s_or_b32 exec_lo, exec_lo, s8
	s_delay_alu instid0(SALU_CYCLE_1)
	s_mov_b32 s8, exec_lo
	v_cmpx_lt_u32_e64 v57, v0
	s_cbranch_execnz .LBB1022_653
.LBB1022_638:                           ;   in Loop: Header=BB1022_606 Depth=2
	s_or_b32 exec_lo, exec_lo, s8
	s_delay_alu instid0(SALU_CYCLE_1)
	s_mov_b32 s8, exec_lo
	v_cmpx_lt_u32_e64 v58, v0
	s_cbranch_execz .LBB1022_654
.LBB1022_639:                           ;   in Loop: Header=BB1022_606 Depth=2
	s_waitcnt vmcnt(6)
	v_xor_b32_e32 v10, 0xffff8000, v6
	s_waitcnt vmcnt(5)
	v_lshlrev_b32_e32 v11, 2, v51
	s_delay_alu instid0(VALU_DEP_2) | instskip(NEXT) | instid1(VALU_DEP_1)
	v_and_b32_e32 v10, 0xffff, v10
	v_lshrrev_b32_e32 v10, s57, v10
	s_delay_alu instid0(VALU_DEP_1) | instskip(NEXT) | instid1(VALU_DEP_1)
	v_and_b32_e32 v10, s43, v10
	v_lshl_or_b32 v10, v10, 4, v11
	ds_add_u32 v10, v98
	s_or_b32 exec_lo, exec_lo, s8
	s_delay_alu instid0(SALU_CYCLE_1)
	s_mov_b32 s8, exec_lo
	v_cmpx_lt_u32_e64 v59, v0
	s_cbranch_execnz .LBB1022_655
.LBB1022_640:                           ;   in Loop: Header=BB1022_606 Depth=2
	s_or_b32 exec_lo, exec_lo, s8
	s_delay_alu instid0(SALU_CYCLE_1)
	s_mov_b32 s8, exec_lo
	v_cmpx_lt_u32_e64 v60, v0
	s_cbranch_execz .LBB1022_656
.LBB1022_641:                           ;   in Loop: Header=BB1022_606 Depth=2
	s_waitcnt vmcnt(6)
	v_xor_b32_e32 v10, 0xffff8000, v7
	s_waitcnt vmcnt(5)
	v_lshlrev_b32_e32 v11, 2, v51
	s_delay_alu instid0(VALU_DEP_2) | instskip(NEXT) | instid1(VALU_DEP_1)
	v_and_b32_e32 v10, 0xffff, v10
	v_lshrrev_b32_e32 v10, s57, v10
	s_delay_alu instid0(VALU_DEP_1) | instskip(NEXT) | instid1(VALU_DEP_1)
	v_and_b32_e32 v10, s43, v10
	v_lshl_or_b32 v10, v10, 4, v11
	ds_add_u32 v10, v98
	s_or_b32 exec_lo, exec_lo, s8
	s_delay_alu instid0(SALU_CYCLE_1)
	s_mov_b32 s8, exec_lo
	v_cmpx_lt_u32_e64 v61, v0
	s_cbranch_execnz .LBB1022_657
.LBB1022_642:                           ;   in Loop: Header=BB1022_606 Depth=2
	s_or_b32 exec_lo, exec_lo, s8
	s_delay_alu instid0(SALU_CYCLE_1)
	s_mov_b32 s8, exec_lo
	v_cmpx_lt_u32_e64 v62, v0
	s_cbranch_execz .LBB1022_658
.LBB1022_643:                           ;   in Loop: Header=BB1022_606 Depth=2
	s_waitcnt vmcnt(6)
	v_xor_b32_e32 v10, 0xffff8000, v8
	s_waitcnt vmcnt(5)
	v_lshlrev_b32_e32 v11, 2, v51
	s_delay_alu instid0(VALU_DEP_2) | instskip(NEXT) | instid1(VALU_DEP_1)
	v_and_b32_e32 v10, 0xffff, v10
	v_lshrrev_b32_e32 v10, s57, v10
	s_delay_alu instid0(VALU_DEP_1) | instskip(NEXT) | instid1(VALU_DEP_1)
	v_and_b32_e32 v10, s43, v10
	v_lshl_or_b32 v10, v10, 4, v11
	ds_add_u32 v10, v98
	s_or_b32 exec_lo, exec_lo, s8
	s_delay_alu instid0(SALU_CYCLE_1)
	s_mov_b32 s8, exec_lo
	v_cmpx_lt_u32_e64 v63, v0
	s_cbranch_execnz .LBB1022_659
.LBB1022_644:                           ;   in Loop: Header=BB1022_606 Depth=2
	s_or_b32 exec_lo, exec_lo, s8
	s_delay_alu instid0(SALU_CYCLE_1)
	s_mov_b32 s8, exec_lo
	v_cmpx_lt_u32_e64 v64, v0
	s_cbranch_execz .LBB1022_660
.LBB1022_645:                           ;   in Loop: Header=BB1022_606 Depth=2
	s_waitcnt vmcnt(6)
	v_xor_b32_e32 v10, 0xffff8000, v9
	s_waitcnt vmcnt(5)
	v_lshlrev_b32_e32 v11, 2, v51
	s_delay_alu instid0(VALU_DEP_2) | instskip(NEXT) | instid1(VALU_DEP_1)
	v_and_b32_e32 v10, 0xffff, v10
	v_lshrrev_b32_e32 v10, s57, v10
	s_delay_alu instid0(VALU_DEP_1) | instskip(NEXT) | instid1(VALU_DEP_1)
	v_and_b32_e32 v10, s43, v10
	v_lshl_or_b32 v10, v10, 4, v11
	ds_add_u32 v10, v98
	s_or_b32 exec_lo, exec_lo, s8
	s_delay_alu instid0(SALU_CYCLE_1)
	s_mov_b32 s8, exec_lo
	v_cmpx_lt_u32_e64 v66, v0
	s_cbranch_execz .LBB1022_605
	s_branch .LBB1022_661
.LBB1022_646:                           ;   in Loop: Header=BB1022_606 Depth=2
	s_or_b32 exec_lo, exec_lo, s8
	s_delay_alu instid0(SALU_CYCLE_1)
	s_mov_b32 s8, exec_lo
	v_cmpx_lt_u32_e64 v48, v0
	s_cbranch_execz .LBB1022_632
.LBB1022_647:                           ;   in Loop: Header=BB1022_606 Depth=2
	s_waitcnt vmcnt(6)
	v_lshrrev_b32_e32 v10, 16, v2
	s_waitcnt vmcnt(5)
	v_lshlrev_b32_e32 v11, 2, v51
	s_delay_alu instid0(VALU_DEP_2) | instskip(NEXT) | instid1(VALU_DEP_1)
	v_xor_b32_e32 v10, 0xffff8000, v10
	v_and_b32_e32 v10, 0xffff, v10
	s_delay_alu instid0(VALU_DEP_1) | instskip(NEXT) | instid1(VALU_DEP_1)
	v_lshrrev_b32_e32 v10, s57, v10
	v_and_b32_e32 v10, s43, v10
	s_delay_alu instid0(VALU_DEP_1) | instskip(SKIP_2) | instid1(SALU_CYCLE_1)
	v_lshl_or_b32 v10, v10, 4, v11
	ds_add_u32 v10, v98
	s_or_b32 exec_lo, exec_lo, s8
	s_mov_b32 s8, exec_lo
	v_cmpx_lt_u32_e64 v49, v0
	s_cbranch_execnz .LBB1022_633
.LBB1022_648:                           ;   in Loop: Header=BB1022_606 Depth=2
	s_or_b32 exec_lo, exec_lo, s8
	s_delay_alu instid0(SALU_CYCLE_1)
	s_mov_b32 s8, exec_lo
	v_cmpx_lt_u32_e64 v50, v0
	s_cbranch_execz .LBB1022_634
.LBB1022_649:                           ;   in Loop: Header=BB1022_606 Depth=2
	s_waitcnt vmcnt(6)
	v_lshrrev_b32_e32 v10, 16, v3
	s_waitcnt vmcnt(5)
	v_lshlrev_b32_e32 v11, 2, v51
	s_delay_alu instid0(VALU_DEP_2) | instskip(NEXT) | instid1(VALU_DEP_1)
	v_xor_b32_e32 v10, 0xffff8000, v10
	v_and_b32_e32 v10, 0xffff, v10
	s_delay_alu instid0(VALU_DEP_1) | instskip(NEXT) | instid1(VALU_DEP_1)
	v_lshrrev_b32_e32 v10, s57, v10
	v_and_b32_e32 v10, s43, v10
	s_delay_alu instid0(VALU_DEP_1) | instskip(SKIP_2) | instid1(SALU_CYCLE_1)
	v_lshl_or_b32 v10, v10, 4, v11
	ds_add_u32 v10, v98
	s_or_b32 exec_lo, exec_lo, s8
	s_mov_b32 s8, exec_lo
	v_cmpx_lt_u32_e64 v54, v0
	s_cbranch_execnz .LBB1022_635
.LBB1022_650:                           ;   in Loop: Header=BB1022_606 Depth=2
	s_or_b32 exec_lo, exec_lo, s8
	s_delay_alu instid0(SALU_CYCLE_1)
	s_mov_b32 s8, exec_lo
	v_cmpx_lt_u32_e64 v55, v0
	s_cbranch_execz .LBB1022_636
.LBB1022_651:                           ;   in Loop: Header=BB1022_606 Depth=2
	s_waitcnt vmcnt(6)
	v_lshrrev_b32_e32 v10, 16, v4
	s_waitcnt vmcnt(5)
	v_lshlrev_b32_e32 v11, 2, v51
	s_delay_alu instid0(VALU_DEP_2) | instskip(NEXT) | instid1(VALU_DEP_1)
	v_xor_b32_e32 v10, 0xffff8000, v10
	v_and_b32_e32 v10, 0xffff, v10
	s_delay_alu instid0(VALU_DEP_1) | instskip(NEXT) | instid1(VALU_DEP_1)
	v_lshrrev_b32_e32 v10, s57, v10
	v_and_b32_e32 v10, s43, v10
	s_delay_alu instid0(VALU_DEP_1) | instskip(SKIP_2) | instid1(SALU_CYCLE_1)
	v_lshl_or_b32 v10, v10, 4, v11
	ds_add_u32 v10, v98
	s_or_b32 exec_lo, exec_lo, s8
	s_mov_b32 s8, exec_lo
	v_cmpx_lt_u32_e64 v56, v0
	s_cbranch_execnz .LBB1022_637
.LBB1022_652:                           ;   in Loop: Header=BB1022_606 Depth=2
	s_or_b32 exec_lo, exec_lo, s8
	s_delay_alu instid0(SALU_CYCLE_1)
	s_mov_b32 s8, exec_lo
	v_cmpx_lt_u32_e64 v57, v0
	s_cbranch_execz .LBB1022_638
.LBB1022_653:                           ;   in Loop: Header=BB1022_606 Depth=2
	s_waitcnt vmcnt(6)
	v_lshrrev_b32_e32 v10, 16, v5
	s_waitcnt vmcnt(5)
	v_lshlrev_b32_e32 v11, 2, v51
	s_delay_alu instid0(VALU_DEP_2) | instskip(NEXT) | instid1(VALU_DEP_1)
	v_xor_b32_e32 v10, 0xffff8000, v10
	v_and_b32_e32 v10, 0xffff, v10
	s_delay_alu instid0(VALU_DEP_1) | instskip(NEXT) | instid1(VALU_DEP_1)
	v_lshrrev_b32_e32 v10, s57, v10
	v_and_b32_e32 v10, s43, v10
	s_delay_alu instid0(VALU_DEP_1) | instskip(SKIP_2) | instid1(SALU_CYCLE_1)
	v_lshl_or_b32 v10, v10, 4, v11
	ds_add_u32 v10, v98
	s_or_b32 exec_lo, exec_lo, s8
	s_mov_b32 s8, exec_lo
	v_cmpx_lt_u32_e64 v58, v0
	s_cbranch_execnz .LBB1022_639
.LBB1022_654:                           ;   in Loop: Header=BB1022_606 Depth=2
	s_or_b32 exec_lo, exec_lo, s8
	s_delay_alu instid0(SALU_CYCLE_1)
	s_mov_b32 s8, exec_lo
	v_cmpx_lt_u32_e64 v59, v0
	s_cbranch_execz .LBB1022_640
.LBB1022_655:                           ;   in Loop: Header=BB1022_606 Depth=2
	s_waitcnt vmcnt(6)
	v_lshrrev_b32_e32 v10, 16, v6
	s_waitcnt vmcnt(5)
	v_lshlrev_b32_e32 v11, 2, v51
	s_delay_alu instid0(VALU_DEP_2) | instskip(NEXT) | instid1(VALU_DEP_1)
	v_xor_b32_e32 v10, 0xffff8000, v10
	v_and_b32_e32 v10, 0xffff, v10
	s_delay_alu instid0(VALU_DEP_1) | instskip(NEXT) | instid1(VALU_DEP_1)
	v_lshrrev_b32_e32 v10, s57, v10
	v_and_b32_e32 v10, s43, v10
	s_delay_alu instid0(VALU_DEP_1) | instskip(SKIP_2) | instid1(SALU_CYCLE_1)
	v_lshl_or_b32 v10, v10, 4, v11
	ds_add_u32 v10, v98
	s_or_b32 exec_lo, exec_lo, s8
	s_mov_b32 s8, exec_lo
	v_cmpx_lt_u32_e64 v60, v0
	s_cbranch_execnz .LBB1022_641
.LBB1022_656:                           ;   in Loop: Header=BB1022_606 Depth=2
	s_or_b32 exec_lo, exec_lo, s8
	s_delay_alu instid0(SALU_CYCLE_1)
	s_mov_b32 s8, exec_lo
	v_cmpx_lt_u32_e64 v61, v0
	s_cbranch_execz .LBB1022_642
.LBB1022_657:                           ;   in Loop: Header=BB1022_606 Depth=2
	s_waitcnt vmcnt(6)
	v_lshrrev_b32_e32 v10, 16, v7
	s_waitcnt vmcnt(5)
	v_lshlrev_b32_e32 v11, 2, v51
	s_delay_alu instid0(VALU_DEP_2) | instskip(NEXT) | instid1(VALU_DEP_1)
	v_xor_b32_e32 v10, 0xffff8000, v10
	v_and_b32_e32 v10, 0xffff, v10
	s_delay_alu instid0(VALU_DEP_1) | instskip(NEXT) | instid1(VALU_DEP_1)
	v_lshrrev_b32_e32 v10, s57, v10
	v_and_b32_e32 v10, s43, v10
	s_delay_alu instid0(VALU_DEP_1) | instskip(SKIP_2) | instid1(SALU_CYCLE_1)
	v_lshl_or_b32 v10, v10, 4, v11
	ds_add_u32 v10, v98
	s_or_b32 exec_lo, exec_lo, s8
	s_mov_b32 s8, exec_lo
	v_cmpx_lt_u32_e64 v62, v0
	s_cbranch_execnz .LBB1022_643
.LBB1022_658:                           ;   in Loop: Header=BB1022_606 Depth=2
	s_or_b32 exec_lo, exec_lo, s8
	s_delay_alu instid0(SALU_CYCLE_1)
	s_mov_b32 s8, exec_lo
	v_cmpx_lt_u32_e64 v63, v0
	s_cbranch_execz .LBB1022_644
.LBB1022_659:                           ;   in Loop: Header=BB1022_606 Depth=2
	s_waitcnt vmcnt(6)
	v_lshrrev_b32_e32 v10, 16, v8
	s_waitcnt vmcnt(5)
	v_lshlrev_b32_e32 v11, 2, v51
	s_delay_alu instid0(VALU_DEP_2) | instskip(NEXT) | instid1(VALU_DEP_1)
	v_xor_b32_e32 v10, 0xffff8000, v10
	v_and_b32_e32 v10, 0xffff, v10
	s_delay_alu instid0(VALU_DEP_1) | instskip(NEXT) | instid1(VALU_DEP_1)
	v_lshrrev_b32_e32 v10, s57, v10
	v_and_b32_e32 v10, s43, v10
	s_delay_alu instid0(VALU_DEP_1) | instskip(SKIP_2) | instid1(SALU_CYCLE_1)
	v_lshl_or_b32 v10, v10, 4, v11
	ds_add_u32 v10, v98
	s_or_b32 exec_lo, exec_lo, s8
	s_mov_b32 s8, exec_lo
	v_cmpx_lt_u32_e64 v64, v0
	s_cbranch_execnz .LBB1022_645
.LBB1022_660:                           ;   in Loop: Header=BB1022_606 Depth=2
	s_or_b32 exec_lo, exec_lo, s8
	s_delay_alu instid0(SALU_CYCLE_1)
	s_mov_b32 s8, exec_lo
	v_cmpx_lt_u32_e64 v66, v0
	s_cbranch_execz .LBB1022_605
.LBB1022_661:                           ;   in Loop: Header=BB1022_606 Depth=2
	v_lshrrev_b32_e32 v0, 16, v9
	s_waitcnt vmcnt(6)
	v_lshlrev_b32_e32 v10, 2, v51
	s_delay_alu instid0(VALU_DEP_2) | instskip(NEXT) | instid1(VALU_DEP_1)
	v_xor_b32_e32 v0, 0xffff8000, v0
	v_and_b32_e32 v0, 0xffff, v0
	s_delay_alu instid0(VALU_DEP_1) | instskip(NEXT) | instid1(VALU_DEP_1)
	v_lshrrev_b32_e32 v0, s57, v0
	v_and_b32_e32 v0, s43, v0
	s_delay_alu instid0(VALU_DEP_1)
	v_lshl_or_b32 v0, v0, 4, v10
	ds_add_u32 v0, v98
	s_branch .LBB1022_605
.LBB1022_662:                           ;   in Loop: Header=BB1022_606 Depth=2
	s_or_b32 exec_lo, exec_lo, s11
	s_delay_alu instid0(SALU_CYCLE_1)
	s_mov_b32 s11, exec_lo
	v_cmpx_gt_u32_e64 s1, v48
	s_cbranch_execz .LBB1022_612
.LBB1022_663:                           ;   in Loop: Header=BB1022_606 Depth=2
	global_load_d16_hi_b16 v2, v99, s[8:9] offset:512
	s_or_b32 exec_lo, exec_lo, s11
	s_delay_alu instid0(SALU_CYCLE_1)
	s_mov_b32 s11, exec_lo
	v_cmpx_gt_u32_e64 s1, v49
	s_cbranch_execnz .LBB1022_613
.LBB1022_664:                           ;   in Loop: Header=BB1022_606 Depth=2
	s_or_b32 exec_lo, exec_lo, s11
	s_delay_alu instid0(SALU_CYCLE_1)
	s_mov_b32 s11, exec_lo
	v_cmpx_gt_u32_e64 s1, v50
	s_cbranch_execz .LBB1022_614
.LBB1022_665:                           ;   in Loop: Header=BB1022_606 Depth=2
	global_load_d16_hi_b16 v3, v99, s[8:9] offset:1536
	s_or_b32 exec_lo, exec_lo, s11
	s_delay_alu instid0(SALU_CYCLE_1)
	s_mov_b32 s11, exec_lo
	v_cmpx_gt_u32_e64 s1, v54
	s_cbranch_execnz .LBB1022_615
.LBB1022_666:                           ;   in Loop: Header=BB1022_606 Depth=2
	s_or_b32 exec_lo, exec_lo, s11
	s_delay_alu instid0(SALU_CYCLE_1)
	s_mov_b32 s11, exec_lo
	v_cmpx_gt_u32_e64 s1, v55
	s_cbranch_execz .LBB1022_616
.LBB1022_667:                           ;   in Loop: Header=BB1022_606 Depth=2
	global_load_d16_hi_b16 v4, v99, s[8:9] offset:2560
	s_or_b32 exec_lo, exec_lo, s11
	s_delay_alu instid0(SALU_CYCLE_1)
	s_mov_b32 s11, exec_lo
	v_cmpx_gt_u32_e64 s1, v56
	s_cbranch_execnz .LBB1022_617
.LBB1022_668:                           ;   in Loop: Header=BB1022_606 Depth=2
	s_or_b32 exec_lo, exec_lo, s11
	s_delay_alu instid0(SALU_CYCLE_1)
	s_mov_b32 s11, exec_lo
	v_cmpx_gt_u32_e64 s1, v57
	s_cbranch_execz .LBB1022_618
.LBB1022_669:                           ;   in Loop: Header=BB1022_606 Depth=2
	global_load_d16_hi_b16 v5, v99, s[8:9] offset:3584
	s_or_b32 exec_lo, exec_lo, s11
	s_delay_alu instid0(SALU_CYCLE_1)
	s_mov_b32 s11, exec_lo
	v_cmpx_gt_u32_e64 s1, v58
	s_cbranch_execnz .LBB1022_619
.LBB1022_670:                           ;   in Loop: Header=BB1022_606 Depth=2
	s_or_b32 exec_lo, exec_lo, s11
	s_delay_alu instid0(SALU_CYCLE_1)
	s_mov_b32 s11, exec_lo
	v_cmpx_gt_u32_e64 s1, v59
	s_cbranch_execz .LBB1022_620
.LBB1022_671:                           ;   in Loop: Header=BB1022_606 Depth=2
	v_lshlrev_b32_e32 v0, 1, v59
	global_load_d16_hi_b16 v6, v0, s[8:9]
	s_or_b32 exec_lo, exec_lo, s11
	s_delay_alu instid0(SALU_CYCLE_1)
	s_mov_b32 s11, exec_lo
	v_cmpx_gt_u32_e64 s1, v60
	s_cbranch_execnz .LBB1022_621
.LBB1022_672:                           ;   in Loop: Header=BB1022_606 Depth=2
	s_or_b32 exec_lo, exec_lo, s11
	s_delay_alu instid0(SALU_CYCLE_1)
	s_mov_b32 s11, exec_lo
	v_cmpx_gt_u32_e64 s1, v61
	s_cbranch_execz .LBB1022_622
.LBB1022_673:                           ;   in Loop: Header=BB1022_606 Depth=2
	v_lshlrev_b32_e32 v0, 1, v61
	global_load_d16_hi_b16 v7, v0, s[8:9]
	s_or_b32 exec_lo, exec_lo, s11
	s_delay_alu instid0(SALU_CYCLE_1)
	s_mov_b32 s11, exec_lo
	v_cmpx_gt_u32_e64 s1, v62
	s_cbranch_execnz .LBB1022_623
.LBB1022_674:                           ;   in Loop: Header=BB1022_606 Depth=2
	s_or_b32 exec_lo, exec_lo, s11
	s_delay_alu instid0(SALU_CYCLE_1)
	s_mov_b32 s11, exec_lo
	v_cmpx_gt_u32_e64 s1, v63
	s_cbranch_execz .LBB1022_624
.LBB1022_675:                           ;   in Loop: Header=BB1022_606 Depth=2
	v_lshlrev_b32_e32 v0, 1, v63
	global_load_d16_hi_b16 v8, v0, s[8:9]
	s_or_b32 exec_lo, exec_lo, s11
	s_delay_alu instid0(SALU_CYCLE_1)
	s_mov_b32 s11, exec_lo
	v_cmpx_gt_u32_e64 s1, v64
	s_cbranch_execz .LBB1022_626
	s_branch .LBB1022_625
.LBB1022_676:                           ;   in Loop: Header=BB1022_12 Depth=1
	v_mov_b32_e32 v0, 0
	s_waitcnt vmcnt(0) lgkmcnt(0)
	s_barrier
	buffer_gl0_inv
	s_and_saveexec_b32 s1, s2
	s_cbranch_execz .LBB1022_678
; %bb.677:                              ;   in Loop: Header=BB1022_12 Depth=1
	ds_load_2addr_b64 v[2:5], v67 offset1:1
	s_waitcnt lgkmcnt(0)
	v_add_nc_u32_e32 v0, v3, v2
	s_delay_alu instid0(VALU_DEP_1)
	v_add3_u32 v0, v0, v4, v5
.LBB1022_678:                           ;   in Loop: Header=BB1022_12 Depth=1
	s_or_b32 exec_lo, exec_lo, s1
	v_and_b32_e32 v2, 15, v100
	s_delay_alu instid0(VALU_DEP_2) | instskip(SKIP_1) | instid1(VALU_DEP_3)
	v_mov_b32_dpp v3, v0 row_shr:1 row_mask:0xf bank_mask:0xf
	v_and_b32_e32 v4, 16, v100
	v_cmp_eq_u32_e64 s1, 0, v2
	v_cmp_lt_u32_e64 s7, 1, v2
	v_cmp_lt_u32_e64 s8, 3, v2
	;; [unrolled: 1-line block ×3, first 2 shown]
	v_cmp_eq_u32_e64 s10, 0, v4
	v_cndmask_b32_e64 v3, v3, 0, s1
	s_delay_alu instid0(VALU_DEP_1) | instskip(NEXT) | instid1(VALU_DEP_1)
	v_add_nc_u32_e32 v0, v3, v0
	v_mov_b32_dpp v3, v0 row_shr:2 row_mask:0xf bank_mask:0xf
	s_delay_alu instid0(VALU_DEP_1) | instskip(NEXT) | instid1(VALU_DEP_1)
	v_cndmask_b32_e64 v3, 0, v3, s7
	v_add_nc_u32_e32 v0, v0, v3
	s_delay_alu instid0(VALU_DEP_1) | instskip(NEXT) | instid1(VALU_DEP_1)
	v_mov_b32_dpp v3, v0 row_shr:4 row_mask:0xf bank_mask:0xf
	v_cndmask_b32_e64 v3, 0, v3, s8
	s_delay_alu instid0(VALU_DEP_1) | instskip(NEXT) | instid1(VALU_DEP_1)
	v_add_nc_u32_e32 v0, v0, v3
	v_mov_b32_dpp v3, v0 row_shr:8 row_mask:0xf bank_mask:0xf
	s_delay_alu instid0(VALU_DEP_1) | instskip(SKIP_1) | instid1(VALU_DEP_2)
	v_cndmask_b32_e64 v2, 0, v3, s9
	v_bfe_i32 v3, v100, 4, 1
	v_add_nc_u32_e32 v0, v0, v2
	ds_swizzle_b32 v2, v0 offset:swizzle(BROADCAST,32,15)
	s_waitcnt lgkmcnt(0)
	v_and_b32_e32 v2, v3, v2
	s_delay_alu instid0(VALU_DEP_1)
	v_add_nc_u32_e32 v2, v0, v2
	s_and_saveexec_b32 s11, s3
	s_cbranch_execz .LBB1022_680
; %bb.679:                              ;   in Loop: Header=BB1022_12 Depth=1
	ds_store_b32 v68, v2
.LBB1022_680:                           ;   in Loop: Header=BB1022_12 Depth=1
	s_or_b32 exec_lo, exec_lo, s11
	v_and_b32_e32 v0, 7, v100
	s_waitcnt lgkmcnt(0)
	s_barrier
	buffer_gl0_inv
	s_and_saveexec_b32 s11, s4
	s_cbranch_execz .LBB1022_682
; %bb.681:                              ;   in Loop: Header=BB1022_12 Depth=1
	ds_load_b32 v3, v69
	v_cmp_ne_u32_e32 vcc_lo, 0, v0
	s_waitcnt lgkmcnt(0)
	v_mov_b32_dpp v4, v3 row_shr:1 row_mask:0xf bank_mask:0xf
	s_delay_alu instid0(VALU_DEP_1) | instskip(SKIP_1) | instid1(VALU_DEP_2)
	v_cndmask_b32_e32 v4, 0, v4, vcc_lo
	v_cmp_lt_u32_e32 vcc_lo, 1, v0
	v_add_nc_u32_e32 v3, v4, v3
	s_delay_alu instid0(VALU_DEP_1) | instskip(NEXT) | instid1(VALU_DEP_1)
	v_mov_b32_dpp v4, v3 row_shr:2 row_mask:0xf bank_mask:0xf
	v_cndmask_b32_e32 v4, 0, v4, vcc_lo
	v_cmp_lt_u32_e32 vcc_lo, 3, v0
	s_delay_alu instid0(VALU_DEP_2) | instskip(NEXT) | instid1(VALU_DEP_1)
	v_add_nc_u32_e32 v3, v3, v4
	v_mov_b32_dpp v4, v3 row_shr:4 row_mask:0xf bank_mask:0xf
	s_delay_alu instid0(VALU_DEP_1) | instskip(NEXT) | instid1(VALU_DEP_1)
	v_cndmask_b32_e32 v4, 0, v4, vcc_lo
	v_add_nc_u32_e32 v3, v3, v4
	ds_store_b32 v69, v3
.LBB1022_682:                           ;   in Loop: Header=BB1022_12 Depth=1
	s_or_b32 exec_lo, exec_lo, s11
	v_mov_b32_e32 v3, 0
	s_waitcnt lgkmcnt(0)
	s_barrier
	buffer_gl0_inv
	s_and_saveexec_b32 s11, s5
	s_cbranch_execz .LBB1022_684
; %bb.683:                              ;   in Loop: Header=BB1022_12 Depth=1
	ds_load_b32 v3, v70
.LBB1022_684:                           ;   in Loop: Header=BB1022_12 Depth=1
	s_or_b32 exec_lo, exec_lo, s11
	v_add_nc_u32_e32 v4, -1, v100
	s_waitcnt lgkmcnt(0)
	v_add_nc_u32_e32 v2, v3, v2
	v_cmp_eq_u32_e64 s11, 0, v100
	s_barrier
	v_cmp_gt_i32_e32 vcc_lo, 0, v4
	buffer_gl0_inv
	v_cndmask_b32_e32 v4, v4, v100, vcc_lo
	s_delay_alu instid0(VALU_DEP_1)
	v_lshlrev_b32_e32 v101, 2, v4
	ds_bpermute_b32 v2, v101, v2
	s_and_saveexec_b32 s12, s2
	s_cbranch_execz .LBB1022_686
; %bb.685:                              ;   in Loop: Header=BB1022_12 Depth=1
	s_waitcnt lgkmcnt(0)
	v_cndmask_b32_e64 v2, v2, v3, s11
	s_delay_alu instid0(VALU_DEP_1)
	v_add_nc_u32_e32 v2, s62, v2
	ds_store_b32 v47, v2
.LBB1022_686:                           ;   in Loop: Header=BB1022_12 Depth=1
	s_or_b32 exec_lo, exec_lo, s12
	s_load_b64 s[12:13], s[60:61], 0x0
	v_lshlrev_b32_e32 v3, 3, v100
	v_cmp_lt_u32_e64 s14, 3, v0
	v_or_b32_e32 v102, v100, v71
	s_mov_b32 s56, s64
	s_mov_b32 s34, s62
	v_add_co_u32 v103, vcc_lo, v94, v3
	v_add_co_ci_u32_e32 v104, vcc_lo, 0, v95, vcc_lo
	v_or_b32_e32 v105, 32, v102
	v_or_b32_e32 v106, 64, v102
	;; [unrolled: 1-line block ×10, first 2 shown]
	s_waitcnt lgkmcnt(0)
	s_cmp_lt_u32 s15, s13
	v_or_b32_e32 v115, 0x160, v102
	s_cselect_b32 s13, 14, 20
	v_or_b32_e32 v116, 0x180, v102
	s_add_u32 s16, s60, s13
	s_addc_u32 s17, s61, 0
	s_cmp_lt_u32 s26, s12
	global_load_u16 v2, v20, s[16:17]
	s_cselect_b32 s12, 12, 18
	v_or_b32_e32 v117, 0x1a0, v102
	s_add_u32 s12, s60, s12
	s_addc_u32 s13, s61, 0
	v_or_b32_e32 v118, 0x1c0, v102
	global_load_u16 v4, v20, s[12:13]
	v_cmp_eq_u32_e64 s12, 0, v0
	v_cmp_lt_u32_e64 s13, 1, v0
	v_lshlrev_b32_e32 v0, 1, v100
	v_or_b32_e32 v119, 0x1e0, v102
                                        ; implicit-def: $vgpr10_vgpr11
                                        ; implicit-def: $vgpr12_vgpr13
                                        ; implicit-def: $vgpr14_vgpr15
                                        ; implicit-def: $vgpr16_vgpr17
                                        ; implicit-def: $vgpr21_vgpr22
                                        ; implicit-def: $vgpr23_vgpr24
                                        ; implicit-def: $vgpr25_vgpr26
                                        ; implicit-def: $vgpr27_vgpr28
                                        ; implicit-def: $vgpr29_vgpr30
                                        ; implicit-def: $vgpr31_vgpr32
                                        ; implicit-def: $vgpr33_vgpr34
                                        ; implicit-def: $vgpr35_vgpr36
                                        ; implicit-def: $vgpr37_vgpr38
                                        ; implicit-def: $vgpr39_vgpr40
                                        ; implicit-def: $vgpr41_vgpr42
                                        ; implicit-def: $vgpr43_vgpr44
                                        ; implicit-def: $vgpr125
                                        ; implicit-def: $vgpr126
                                        ; implicit-def: $vgpr127
                                        ; implicit-def: $vgpr128
                                        ; implicit-def: $vgpr129
                                        ; implicit-def: $vgpr130
                                        ; implicit-def: $vgpr131
                                        ; implicit-def: $vgpr132
                                        ; implicit-def: $vgpr133
                                        ; implicit-def: $vgpr134
                                        ; implicit-def: $vgpr135
                                        ; implicit-def: $vgpr136
                                        ; implicit-def: $vgpr137
                                        ; implicit-def: $vgpr138
                                        ; implicit-def: $vgpr139
                                        ; implicit-def: $vgpr140
                                        ; implicit-def: $vgpr9
	s_delay_alu instid0(VALU_DEP_2) | instskip(SKIP_1) | instid1(VALU_DEP_2)
	v_add_co_u32 v120, vcc_lo, v96, v0
	v_add_co_ci_u32_e32 v121, vcc_lo, 0, v97, vcc_lo
	v_add_co_u32 v123, vcc_lo, 0x3c0, v120
	s_delay_alu instid0(VALU_DEP_2) | instskip(SKIP_3) | instid1(VALU_DEP_1)
	v_add_co_ci_u32_e32 v124, vcc_lo, 0, v121, vcc_lo
	s_waitcnt vmcnt(1)
	v_mad_u32_u24 v5, v72, v2, v74
	s_waitcnt vmcnt(0)
	v_mad_u64_u32 v[2:3], null, v5, v4, v[18:19]
	s_delay_alu instid0(VALU_DEP_1)
	v_lshrrev_b32_e32 v122, 5, v2
	s_branch .LBB1022_688
.LBB1022_687:                           ;   in Loop: Header=BB1022_688 Depth=2
	s_or_b32 exec_lo, exec_lo, s16
	s_addk_i32 s56, 0xf000
	s_cmp_lt_u32 s65, s63
	s_mov_b32 s34, s65
	s_cbranch_scc0 .LBB1022_896
.LBB1022_688:                           ;   Parent Loop BB1022_12 Depth=1
                                        ; =>  This Inner Loop Header: Depth=2
	s_add_i32 s65, s34, 0x1000
	s_delay_alu instid0(SALU_CYCLE_1)
	s_cmp_gt_u32 s65, s63
	s_cbranch_scc1 .LBB1022_690
; %bb.689:                              ;   in Loop: Header=BB1022_688 Depth=2
	s_mov_b32 s17, 0
	s_mov_b32 s16, s34
	s_delay_alu instid0(SALU_CYCLE_1) | instskip(NEXT) | instid1(SALU_CYCLE_1)
	s_lshl_b64 s[18:19], s[16:17], 1
	v_add_co_u32 v45, vcc_lo, v120, s18
	v_add_co_ci_u32_e32 v46, vcc_lo, s19, v121, vcc_lo
	s_mov_b32 s19, -1
	s_movk_i32 s18, 0x1000
	s_clause 0xe
	global_load_u16 v2, v[45:46], off
	global_load_u16 v3, v[45:46], off offset:128
	global_load_u16 v4, v[45:46], off offset:256
	;; [unrolled: 1-line block ×6, first 2 shown]
	global_load_d16_b16 v9, v[45:46], off offset:896
	global_load_d16_hi_b16 v2, v[45:46], off offset:64
	global_load_d16_hi_b16 v3, v[45:46], off offset:192
	;; [unrolled: 1-line block ×7, first 2 shown]
	s_cbranch_execz .LBB1022_691
	s_branch .LBB1022_708
.LBB1022_690:                           ;   in Loop: Header=BB1022_688 Depth=2
	s_mov_b32 s17, -1
	s_mov_b32 s19, 0
                                        ; implicit-def: $sgpr18
                                        ; implicit-def: $vgpr2_vgpr3_vgpr4_vgpr5_vgpr6_vgpr7_vgpr8_vgpr9
.LBB1022_691:                           ;   in Loop: Header=BB1022_688 Depth=2
	s_lshl_b64 s[16:17], s[34:35], 1
	s_mov_b32 s45, s44
	v_add_co_u32 v45, vcc_lo, v120, s16
	s_mov_b32 s46, s44
	s_mov_b32 s47, s44
	;; [unrolled: 1-line block ×6, first 2 shown]
	s_waitcnt vmcnt(0)
	v_dual_mov_b32 v2, s44 :: v_dual_mov_b32 v3, s45
	v_add_co_ci_u32_e32 v46, vcc_lo, s17, v121, vcc_lo
	v_dual_mov_b32 v4, s46 :: v_dual_mov_b32 v5, s47
	v_dual_mov_b32 v6, s48 :: v_dual_mov_b32 v7, s49
	;; [unrolled: 1-line block ×3, first 2 shown]
	s_mov_b32 s16, exec_lo
	v_cmpx_gt_u32_e64 s56, v102
	s_cbranch_execz .LBB1022_882
; %bb.692:                              ;   in Loop: Header=BB1022_688 Depth=2
	v_dual_mov_b32 v0, 0x7fff0000 :: v_dual_mov_b32 v3, v1
	v_mov_b32_e32 v7, v1
	v_mov_b32_e32 v2, v1
	;; [unrolled: 1-line block ×3, first 2 shown]
	global_load_d16_b16 v0, v[45:46], off
	v_mov_b32_e32 v5, v1
	v_mov_b32_e32 v6, v1
	s_waitcnt vmcnt(0)
	v_mov_b32_e32 v9, v7
	s_delay_alu instid0(VALU_DEP_2)
	v_dual_mov_b32 v8, v6 :: v_dual_mov_b32 v7, v5
	v_mov_b32_e32 v6, v4
	v_mov_b32_e32 v5, v3
	;; [unrolled: 1-line block ×5, first 2 shown]
	s_or_b32 exec_lo, exec_lo, s16
	s_delay_alu instid0(SALU_CYCLE_1)
	s_mov_b32 s16, exec_lo
	v_cmpx_gt_u32_e64 s56, v105
	s_cbranch_execnz .LBB1022_883
.LBB1022_693:                           ;   in Loop: Header=BB1022_688 Depth=2
	s_or_b32 exec_lo, exec_lo, s16
	s_delay_alu instid0(SALU_CYCLE_1)
	s_mov_b32 s16, exec_lo
	v_cmpx_gt_u32_e64 s56, v106
	s_cbranch_execz .LBB1022_884
.LBB1022_694:                           ;   in Loop: Header=BB1022_688 Depth=2
	global_load_d16_b16 v3, v[45:46], off offset:128
	s_or_b32 exec_lo, exec_lo, s16
	s_delay_alu instid0(SALU_CYCLE_1)
	s_mov_b32 s16, exec_lo
	v_cmpx_gt_u32_e64 s56, v107
	s_cbranch_execnz .LBB1022_885
.LBB1022_695:                           ;   in Loop: Header=BB1022_688 Depth=2
	s_or_b32 exec_lo, exec_lo, s16
	s_delay_alu instid0(SALU_CYCLE_1)
	s_mov_b32 s16, exec_lo
	v_cmpx_gt_u32_e64 s56, v108
	s_cbranch_execz .LBB1022_886
.LBB1022_696:                           ;   in Loop: Header=BB1022_688 Depth=2
	global_load_d16_b16 v4, v[45:46], off offset:256
	s_or_b32 exec_lo, exec_lo, s16
	s_delay_alu instid0(SALU_CYCLE_1)
	s_mov_b32 s16, exec_lo
	v_cmpx_gt_u32_e64 s56, v109
	s_cbranch_execnz .LBB1022_887
.LBB1022_697:                           ;   in Loop: Header=BB1022_688 Depth=2
	s_or_b32 exec_lo, exec_lo, s16
	s_delay_alu instid0(SALU_CYCLE_1)
	s_mov_b32 s16, exec_lo
	v_cmpx_gt_u32_e64 s56, v110
	s_cbranch_execz .LBB1022_888
.LBB1022_698:                           ;   in Loop: Header=BB1022_688 Depth=2
	global_load_d16_b16 v5, v[45:46], off offset:384
	s_or_b32 exec_lo, exec_lo, s16
	s_delay_alu instid0(SALU_CYCLE_1)
	s_mov_b32 s16, exec_lo
	v_cmpx_gt_u32_e64 s56, v111
	s_cbranch_execnz .LBB1022_889
.LBB1022_699:                           ;   in Loop: Header=BB1022_688 Depth=2
	s_or_b32 exec_lo, exec_lo, s16
	s_delay_alu instid0(SALU_CYCLE_1)
	s_mov_b32 s16, exec_lo
	v_cmpx_gt_u32_e64 s56, v112
	s_cbranch_execz .LBB1022_890
.LBB1022_700:                           ;   in Loop: Header=BB1022_688 Depth=2
	global_load_d16_b16 v6, v[45:46], off offset:512
	s_or_b32 exec_lo, exec_lo, s16
	s_delay_alu instid0(SALU_CYCLE_1)
	s_mov_b32 s16, exec_lo
	v_cmpx_gt_u32_e64 s56, v113
	s_cbranch_execnz .LBB1022_891
.LBB1022_701:                           ;   in Loop: Header=BB1022_688 Depth=2
	s_or_b32 exec_lo, exec_lo, s16
	s_delay_alu instid0(SALU_CYCLE_1)
	s_mov_b32 s16, exec_lo
	v_cmpx_gt_u32_e64 s56, v114
	s_cbranch_execz .LBB1022_892
.LBB1022_702:                           ;   in Loop: Header=BB1022_688 Depth=2
	global_load_d16_b16 v7, v[45:46], off offset:640
	s_or_b32 exec_lo, exec_lo, s16
	s_delay_alu instid0(SALU_CYCLE_1)
	s_mov_b32 s16, exec_lo
	v_cmpx_gt_u32_e64 s56, v115
	s_cbranch_execnz .LBB1022_893
.LBB1022_703:                           ;   in Loop: Header=BB1022_688 Depth=2
	s_or_b32 exec_lo, exec_lo, s16
	s_delay_alu instid0(SALU_CYCLE_1)
	s_mov_b32 s16, exec_lo
	v_cmpx_gt_u32_e64 s56, v116
	s_cbranch_execz .LBB1022_894
.LBB1022_704:                           ;   in Loop: Header=BB1022_688 Depth=2
	global_load_d16_b16 v8, v[45:46], off offset:768
	s_or_b32 exec_lo, exec_lo, s16
	s_delay_alu instid0(SALU_CYCLE_1)
	s_mov_b32 s16, exec_lo
	v_cmpx_gt_u32_e64 s56, v117
	s_cbranch_execnz .LBB1022_895
.LBB1022_705:                           ;   in Loop: Header=BB1022_688 Depth=2
	s_or_b32 exec_lo, exec_lo, s16
	s_delay_alu instid0(SALU_CYCLE_1)
	s_mov_b32 s16, exec_lo
	v_cmpx_gt_u32_e64 s56, v118
	s_cbranch_execz .LBB1022_707
.LBB1022_706:                           ;   in Loop: Header=BB1022_688 Depth=2
	global_load_d16_b16 v9, v[45:46], off offset:896
.LBB1022_707:                           ;   in Loop: Header=BB1022_688 Depth=2
	s_or_b32 exec_lo, exec_lo, s16
	v_cmp_gt_u32_e64 s19, s56, v119
	s_sub_i32 s18, s63, s34
	s_mov_b64 s[16:17], s[34:35]
.LBB1022_708:                           ;   in Loop: Header=BB1022_688 Depth=2
	v_mov_b32_e32 v0, s56
	s_delay_alu instid0(VALU_DEP_2)
	s_and_saveexec_b32 s20, s19
	s_cbranch_execz .LBB1022_710
; %bb.709:                              ;   in Loop: Header=BB1022_688 Depth=2
	s_lshl_b64 s[16:17], s[16:17], 1
	v_mov_b32_e32 v0, s18
	v_add_co_u32 v45, vcc_lo, v123, s16
	v_add_co_ci_u32_e32 v46, vcc_lo, s17, v124, vcc_lo
	global_load_d16_hi_b16 v9, v[45:46], off
.LBB1022_710:                           ;   in Loop: Header=BB1022_688 Depth=2
	s_or_b32 exec_lo, exec_lo, s20
	s_waitcnt vmcnt(0)
	v_xor_b32_e32 v19, 0x80008000, v2
	ds_store_b32 v73, v20 offset:1056
	ds_store_2addr_b32 v75, v20, v20 offset0:1 offset1:2
	ds_store_2addr_b32 v75, v20, v20 offset0:3 offset1:4
	;; [unrolled: 1-line block ×4, first 2 shown]
	s_waitcnt lgkmcnt(0)
	s_barrier
	v_and_b32_e32 v2, 0xffff, v19
	buffer_gl0_inv
	; wave barrier
	v_lshrrev_b32_e32 v2, s57, v2
	s_delay_alu instid0(VALU_DEP_1) | instskip(NEXT) | instid1(VALU_DEP_1)
	v_and_b32_e32 v45, s43, v2
	v_and_b32_e32 v2, 1, v45
	v_lshlrev_b32_e32 v46, 30, v45
	v_lshlrev_b32_e32 v141, 29, v45
	;; [unrolled: 1-line block ×4, first 2 shown]
	v_add_co_u32 v2, s16, v2, -1
	s_delay_alu instid0(VALU_DEP_1)
	v_cndmask_b32_e64 v143, 0, 1, s16
	v_not_b32_e32 v147, v46
	v_cmp_gt_i32_e64 s16, 0, v46
	v_not_b32_e32 v46, v141
	v_lshlrev_b32_e32 v145, 26, v45
	v_cmp_ne_u32_e32 vcc_lo, 0, v143
	v_ashrrev_i32_e32 v147, 31, v147
	v_lshlrev_b32_e32 v146, 25, v45
	v_ashrrev_i32_e32 v46, 31, v46
	v_lshlrev_b32_e32 v143, 24, v45
	v_xor_b32_e32 v2, vcc_lo, v2
	v_cmp_gt_i32_e32 vcc_lo, 0, v141
	v_not_b32_e32 v141, v142
	v_xor_b32_e32 v147, s16, v147
	v_cmp_gt_i32_e64 s16, 0, v142
	v_and_b32_e32 v2, exec_lo, v2
	v_not_b32_e32 v142, v144
	v_ashrrev_i32_e32 v141, 31, v141
	v_xor_b32_e32 v46, vcc_lo, v46
	v_cmp_gt_i32_e32 vcc_lo, 0, v144
	v_and_b32_e32 v2, v2, v147
	v_not_b32_e32 v144, v145
	v_ashrrev_i32_e32 v142, 31, v142
	v_xor_b32_e32 v141, s16, v141
	v_cmp_gt_i32_e64 s16, 0, v145
	v_and_b32_e32 v2, v2, v46
	v_not_b32_e32 v46, v146
	v_ashrrev_i32_e32 v144, 31, v144
	v_xor_b32_e32 v142, vcc_lo, v142
	v_cmp_gt_i32_e32 vcc_lo, 0, v146
	v_and_b32_e32 v2, v2, v141
	v_not_b32_e32 v141, v143
	v_ashrrev_i32_e32 v46, 31, v46
	v_xor_b32_e32 v144, s16, v144
	v_cmp_gt_i32_e64 s16, 0, v143
	v_and_b32_e32 v2, v2, v142
	v_ashrrev_i32_e32 v141, 31, v141
	v_xor_b32_e32 v46, vcc_lo, v46
	v_mad_u32_u24 v45, v45, 9, v122
	s_delay_alu instid0(VALU_DEP_4) | instskip(NEXT) | instid1(VALU_DEP_4)
	v_and_b32_e32 v2, v2, v144
	v_xor_b32_e32 v141, s16, v141
	s_delay_alu instid0(VALU_DEP_3) | instskip(NEXT) | instid1(VALU_DEP_3)
	v_lshl_add_u32 v143, v45, 2, 0x420
	v_and_b32_e32 v2, v2, v46
	s_delay_alu instid0(VALU_DEP_1) | instskip(NEXT) | instid1(VALU_DEP_1)
	v_and_b32_e32 v2, v2, v141
	v_mbcnt_lo_u32_b32 v141, v2, 0
	v_cmp_ne_u32_e64 s16, 0, v2
	s_delay_alu instid0(VALU_DEP_2) | instskip(NEXT) | instid1(VALU_DEP_2)
	v_cmp_eq_u32_e32 vcc_lo, 0, v141
	s_and_b32 s17, s16, vcc_lo
	s_delay_alu instid0(SALU_CYCLE_1)
	s_and_saveexec_b32 s16, s17
	s_cbranch_execz .LBB1022_712
; %bb.711:                              ;   in Loop: Header=BB1022_688 Depth=2
	v_bcnt_u32_b32 v2, v2, 0
	ds_store_b32 v143, v2
.LBB1022_712:                           ;   in Loop: Header=BB1022_688 Depth=2
	s_or_b32 exec_lo, exec_lo, s16
	v_lshrrev_b32_e32 v142, 16, v19
	; wave barrier
	s_delay_alu instid0(VALU_DEP_1) | instskip(NEXT) | instid1(VALU_DEP_1)
	v_lshrrev_b32_e32 v2, s57, v142
	v_and_b32_e32 v2, s43, v2
	s_delay_alu instid0(VALU_DEP_1)
	v_and_b32_e32 v45, 1, v2
	v_lshlrev_b32_e32 v46, 30, v2
	v_lshlrev_b32_e32 v144, 29, v2
	;; [unrolled: 1-line block ×4, first 2 shown]
	v_add_co_u32 v45, s16, v45, -1
	s_delay_alu instid0(VALU_DEP_1)
	v_cndmask_b32_e64 v146, 0, 1, s16
	v_not_b32_e32 v150, v46
	v_cmp_gt_i32_e64 s16, 0, v46
	v_not_b32_e32 v46, v144
	v_lshlrev_b32_e32 v148, 26, v2
	v_cmp_ne_u32_e32 vcc_lo, 0, v146
	v_ashrrev_i32_e32 v150, 31, v150
	v_lshlrev_b32_e32 v149, 25, v2
	v_ashrrev_i32_e32 v46, 31, v46
	v_lshlrev_b32_e32 v146, 24, v2
	v_xor_b32_e32 v45, vcc_lo, v45
	v_cmp_gt_i32_e32 vcc_lo, 0, v144
	v_not_b32_e32 v144, v145
	v_xor_b32_e32 v150, s16, v150
	v_cmp_gt_i32_e64 s16, 0, v145
	v_and_b32_e32 v45, exec_lo, v45
	v_not_b32_e32 v145, v147
	v_ashrrev_i32_e32 v144, 31, v144
	v_xor_b32_e32 v46, vcc_lo, v46
	v_cmp_gt_i32_e32 vcc_lo, 0, v147
	v_and_b32_e32 v45, v45, v150
	v_not_b32_e32 v147, v148
	v_ashrrev_i32_e32 v145, 31, v145
	v_xor_b32_e32 v144, s16, v144
	v_cmp_gt_i32_e64 s16, 0, v148
	v_and_b32_e32 v45, v45, v46
	v_not_b32_e32 v46, v149
	v_ashrrev_i32_e32 v147, 31, v147
	v_xor_b32_e32 v145, vcc_lo, v145
	v_cmp_gt_i32_e32 vcc_lo, 0, v149
	v_and_b32_e32 v45, v45, v144
	v_not_b32_e32 v144, v146
	v_ashrrev_i32_e32 v46, 31, v46
	v_xor_b32_e32 v147, s16, v147
	v_mul_u32_u24_e32 v2, 9, v2
	v_and_b32_e32 v45, v45, v145
	v_cmp_gt_i32_e64 s16, 0, v146
	v_ashrrev_i32_e32 v144, 31, v144
	v_xor_b32_e32 v46, vcc_lo, v46
	s_delay_alu instid0(VALU_DEP_4) | instskip(SKIP_1) | instid1(VALU_DEP_4)
	v_and_b32_e32 v45, v45, v147
	v_add_lshl_u32 v147, v2, v122, 2
	v_xor_b32_e32 v2, s16, v144
	s_delay_alu instid0(VALU_DEP_3) | instskip(SKIP_3) | instid1(VALU_DEP_1)
	v_and_b32_e32 v45, v45, v46
	ds_load_b32 v145, v147 offset:1056
	v_add_nc_u32_e32 v147, 0x420, v147
	; wave barrier
	v_and_b32_e32 v2, v45, v2
	v_mbcnt_lo_u32_b32 v146, v2, 0
	v_cmp_ne_u32_e64 s16, 0, v2
	s_delay_alu instid0(VALU_DEP_2) | instskip(NEXT) | instid1(VALU_DEP_2)
	v_cmp_eq_u32_e32 vcc_lo, 0, v146
	s_and_b32 s17, s16, vcc_lo
	s_delay_alu instid0(SALU_CYCLE_1)
	s_and_saveexec_b32 s16, s17
	s_cbranch_execz .LBB1022_714
; %bb.713:                              ;   in Loop: Header=BB1022_688 Depth=2
	s_waitcnt lgkmcnt(0)
	v_bcnt_u32_b32 v2, v2, v145
	ds_store_b32 v147, v2
.LBB1022_714:                           ;   in Loop: Header=BB1022_688 Depth=2
	s_or_b32 exec_lo, exec_lo, s16
	v_xor_b32_e32 v144, 0x80008000, v3
	; wave barrier
	s_delay_alu instid0(VALU_DEP_1) | instskip(NEXT) | instid1(VALU_DEP_1)
	v_and_b32_e32 v2, 0xffff, v144
	v_lshrrev_b32_e32 v2, s57, v2
	s_delay_alu instid0(VALU_DEP_1) | instskip(NEXT) | instid1(VALU_DEP_1)
	v_and_b32_e32 v2, s43, v2
	v_and_b32_e32 v3, 1, v2
	v_lshlrev_b32_e32 v45, 30, v2
	v_lshlrev_b32_e32 v46, 29, v2
	v_lshlrev_b32_e32 v148, 28, v2
	v_lshlrev_b32_e32 v150, 27, v2
	v_add_co_u32 v3, s16, v3, -1
	s_delay_alu instid0(VALU_DEP_1)
	v_cndmask_b32_e64 v149, 0, 1, s16
	v_not_b32_e32 v153, v45
	v_cmp_gt_i32_e64 s16, 0, v45
	v_not_b32_e32 v45, v46
	v_lshlrev_b32_e32 v151, 26, v2
	v_cmp_ne_u32_e32 vcc_lo, 0, v149
	v_ashrrev_i32_e32 v153, 31, v153
	v_lshlrev_b32_e32 v152, 25, v2
	v_ashrrev_i32_e32 v45, 31, v45
	v_lshlrev_b32_e32 v149, 24, v2
	v_xor_b32_e32 v3, vcc_lo, v3
	v_cmp_gt_i32_e32 vcc_lo, 0, v46
	v_not_b32_e32 v46, v148
	v_xor_b32_e32 v153, s16, v153
	v_cmp_gt_i32_e64 s16, 0, v148
	v_and_b32_e32 v3, exec_lo, v3
	v_not_b32_e32 v148, v150
	v_ashrrev_i32_e32 v46, 31, v46
	v_xor_b32_e32 v45, vcc_lo, v45
	v_cmp_gt_i32_e32 vcc_lo, 0, v150
	v_and_b32_e32 v3, v3, v153
	v_not_b32_e32 v150, v151
	v_ashrrev_i32_e32 v148, 31, v148
	v_xor_b32_e32 v46, s16, v46
	v_cmp_gt_i32_e64 s16, 0, v151
	v_and_b32_e32 v3, v3, v45
	v_not_b32_e32 v45, v152
	v_ashrrev_i32_e32 v150, 31, v150
	v_xor_b32_e32 v148, vcc_lo, v148
	v_cmp_gt_i32_e32 vcc_lo, 0, v152
	v_and_b32_e32 v3, v3, v46
	v_not_b32_e32 v46, v149
	v_ashrrev_i32_e32 v45, 31, v45
	v_xor_b32_e32 v150, s16, v150
	v_mul_u32_u24_e32 v2, 9, v2
	v_and_b32_e32 v3, v3, v148
	v_cmp_gt_i32_e64 s16, 0, v149
	v_ashrrev_i32_e32 v46, 31, v46
	v_xor_b32_e32 v45, vcc_lo, v45
	v_add_lshl_u32 v148, v2, v122, 2
	v_and_b32_e32 v3, v3, v150
	s_delay_alu instid0(VALU_DEP_4) | instskip(SKIP_3) | instid1(VALU_DEP_2)
	v_xor_b32_e32 v2, s16, v46
	ds_load_b32 v149, v148 offset:1056
	v_and_b32_e32 v3, v3, v45
	v_add_nc_u32_e32 v151, 0x420, v148
	; wave barrier
	v_and_b32_e32 v2, v3, v2
	s_delay_alu instid0(VALU_DEP_1) | instskip(SKIP_1) | instid1(VALU_DEP_2)
	v_mbcnt_lo_u32_b32 v150, v2, 0
	v_cmp_ne_u32_e64 s16, 0, v2
	v_cmp_eq_u32_e32 vcc_lo, 0, v150
	s_delay_alu instid0(VALU_DEP_2) | instskip(NEXT) | instid1(SALU_CYCLE_1)
	s_and_b32 s17, s16, vcc_lo
	s_and_saveexec_b32 s16, s17
	s_cbranch_execz .LBB1022_716
; %bb.715:                              ;   in Loop: Header=BB1022_688 Depth=2
	s_waitcnt lgkmcnt(0)
	v_bcnt_u32_b32 v2, v2, v149
	ds_store_b32 v151, v2
.LBB1022_716:                           ;   in Loop: Header=BB1022_688 Depth=2
	s_or_b32 exec_lo, exec_lo, s16
	v_lshrrev_b32_e32 v148, 16, v144
	; wave barrier
	s_delay_alu instid0(VALU_DEP_1) | instskip(NEXT) | instid1(VALU_DEP_1)
	v_lshrrev_b32_e32 v2, s57, v148
	v_and_b32_e32 v2, s43, v2
	s_delay_alu instid0(VALU_DEP_1)
	v_and_b32_e32 v3, 1, v2
	v_lshlrev_b32_e32 v45, 30, v2
	v_lshlrev_b32_e32 v46, 29, v2
	;; [unrolled: 1-line block ×4, first 2 shown]
	v_add_co_u32 v3, s16, v3, -1
	s_delay_alu instid0(VALU_DEP_1)
	v_cndmask_b32_e64 v153, 0, 1, s16
	v_not_b32_e32 v157, v45
	v_cmp_gt_i32_e64 s16, 0, v45
	v_not_b32_e32 v45, v46
	v_lshlrev_b32_e32 v155, 26, v2
	v_cmp_ne_u32_e32 vcc_lo, 0, v153
	v_ashrrev_i32_e32 v157, 31, v157
	v_lshlrev_b32_e32 v156, 25, v2
	v_ashrrev_i32_e32 v45, 31, v45
	v_lshlrev_b32_e32 v153, 24, v2
	v_xor_b32_e32 v3, vcc_lo, v3
	v_cmp_gt_i32_e32 vcc_lo, 0, v46
	v_not_b32_e32 v46, v152
	v_xor_b32_e32 v157, s16, v157
	v_cmp_gt_i32_e64 s16, 0, v152
	v_and_b32_e32 v3, exec_lo, v3
	v_not_b32_e32 v152, v154
	v_ashrrev_i32_e32 v46, 31, v46
	v_xor_b32_e32 v45, vcc_lo, v45
	v_cmp_gt_i32_e32 vcc_lo, 0, v154
	v_and_b32_e32 v3, v3, v157
	v_not_b32_e32 v154, v155
	v_ashrrev_i32_e32 v152, 31, v152
	v_xor_b32_e32 v46, s16, v46
	v_cmp_gt_i32_e64 s16, 0, v155
	v_and_b32_e32 v3, v3, v45
	v_not_b32_e32 v45, v156
	v_ashrrev_i32_e32 v154, 31, v154
	v_xor_b32_e32 v152, vcc_lo, v152
	v_cmp_gt_i32_e32 vcc_lo, 0, v156
	v_and_b32_e32 v3, v3, v46
	v_not_b32_e32 v46, v153
	v_ashrrev_i32_e32 v45, 31, v45
	v_xor_b32_e32 v154, s16, v154
	v_mul_u32_u24_e32 v2, 9, v2
	v_and_b32_e32 v3, v3, v152
	v_cmp_gt_i32_e64 s16, 0, v153
	v_ashrrev_i32_e32 v46, 31, v46
	v_xor_b32_e32 v45, vcc_lo, v45
	v_add_lshl_u32 v152, v2, v122, 2
	v_and_b32_e32 v3, v3, v154
	s_delay_alu instid0(VALU_DEP_4) | instskip(SKIP_3) | instid1(VALU_DEP_2)
	v_xor_b32_e32 v2, s16, v46
	ds_load_b32 v153, v152 offset:1056
	v_and_b32_e32 v3, v3, v45
	v_add_nc_u32_e32 v155, 0x420, v152
	; wave barrier
	v_and_b32_e32 v2, v3, v2
	s_delay_alu instid0(VALU_DEP_1) | instskip(SKIP_1) | instid1(VALU_DEP_2)
	v_mbcnt_lo_u32_b32 v154, v2, 0
	v_cmp_ne_u32_e64 s16, 0, v2
	v_cmp_eq_u32_e32 vcc_lo, 0, v154
	s_delay_alu instid0(VALU_DEP_2) | instskip(NEXT) | instid1(SALU_CYCLE_1)
	s_and_b32 s17, s16, vcc_lo
	s_and_saveexec_b32 s16, s17
	s_cbranch_execz .LBB1022_718
; %bb.717:                              ;   in Loop: Header=BB1022_688 Depth=2
	s_waitcnt lgkmcnt(0)
	v_bcnt_u32_b32 v2, v2, v153
	ds_store_b32 v155, v2
.LBB1022_718:                           ;   in Loop: Header=BB1022_688 Depth=2
	s_or_b32 exec_lo, exec_lo, s16
	v_xor_b32_e32 v152, 0x80008000, v4
	; wave barrier
	s_delay_alu instid0(VALU_DEP_1) | instskip(NEXT) | instid1(VALU_DEP_1)
	v_and_b32_e32 v2, 0xffff, v152
	v_lshrrev_b32_e32 v2, s57, v2
	s_delay_alu instid0(VALU_DEP_1) | instskip(NEXT) | instid1(VALU_DEP_1)
	v_and_b32_e32 v2, s43, v2
	v_and_b32_e32 v3, 1, v2
	v_lshlrev_b32_e32 v4, 30, v2
	v_lshlrev_b32_e32 v45, 29, v2
	;; [unrolled: 1-line block ×4, first 2 shown]
	v_add_co_u32 v3, s16, v3, -1
	s_delay_alu instid0(VALU_DEP_1)
	v_cndmask_b32_e64 v156, 0, 1, s16
	v_not_b32_e32 v160, v4
	v_cmp_gt_i32_e64 s16, 0, v4
	v_not_b32_e32 v4, v45
	v_lshlrev_b32_e32 v158, 26, v2
	v_cmp_ne_u32_e32 vcc_lo, 0, v156
	v_ashrrev_i32_e32 v160, 31, v160
	v_lshlrev_b32_e32 v159, 25, v2
	v_ashrrev_i32_e32 v4, 31, v4
	v_lshlrev_b32_e32 v156, 24, v2
	v_xor_b32_e32 v3, vcc_lo, v3
	v_cmp_gt_i32_e32 vcc_lo, 0, v45
	v_not_b32_e32 v45, v46
	v_xor_b32_e32 v160, s16, v160
	v_cmp_gt_i32_e64 s16, 0, v46
	v_and_b32_e32 v3, exec_lo, v3
	v_not_b32_e32 v46, v157
	v_ashrrev_i32_e32 v45, 31, v45
	v_xor_b32_e32 v4, vcc_lo, v4
	v_cmp_gt_i32_e32 vcc_lo, 0, v157
	v_and_b32_e32 v3, v3, v160
	v_not_b32_e32 v157, v158
	v_ashrrev_i32_e32 v46, 31, v46
	v_xor_b32_e32 v45, s16, v45
	v_cmp_gt_i32_e64 s16, 0, v158
	v_and_b32_e32 v3, v3, v4
	v_not_b32_e32 v4, v159
	v_ashrrev_i32_e32 v157, 31, v157
	v_xor_b32_e32 v46, vcc_lo, v46
	v_cmp_gt_i32_e32 vcc_lo, 0, v159
	v_and_b32_e32 v3, v3, v45
	v_not_b32_e32 v45, v156
	v_ashrrev_i32_e32 v4, 31, v4
	v_xor_b32_e32 v157, s16, v157
	v_mul_u32_u24_e32 v2, 9, v2
	v_and_b32_e32 v3, v3, v46
	v_cmp_gt_i32_e64 s16, 0, v156
	v_ashrrev_i32_e32 v45, 31, v45
	v_xor_b32_e32 v4, vcc_lo, v4
	v_add_lshl_u32 v46, v2, v122, 2
	v_and_b32_e32 v3, v3, v157
	s_delay_alu instid0(VALU_DEP_4) | instskip(SKIP_3) | instid1(VALU_DEP_2)
	v_xor_b32_e32 v2, s16, v45
	ds_load_b32 v157, v46 offset:1056
	v_and_b32_e32 v3, v3, v4
	v_add_nc_u32_e32 v159, 0x420, v46
	; wave barrier
	v_and_b32_e32 v2, v3, v2
	s_delay_alu instid0(VALU_DEP_1) | instskip(SKIP_1) | instid1(VALU_DEP_2)
	v_mbcnt_lo_u32_b32 v158, v2, 0
	v_cmp_ne_u32_e64 s16, 0, v2
	v_cmp_eq_u32_e32 vcc_lo, 0, v158
	s_delay_alu instid0(VALU_DEP_2) | instskip(NEXT) | instid1(SALU_CYCLE_1)
	s_and_b32 s17, s16, vcc_lo
	s_and_saveexec_b32 s16, s17
	s_cbranch_execz .LBB1022_720
; %bb.719:                              ;   in Loop: Header=BB1022_688 Depth=2
	s_waitcnt lgkmcnt(0)
	v_bcnt_u32_b32 v2, v2, v157
	ds_store_b32 v159, v2
.LBB1022_720:                           ;   in Loop: Header=BB1022_688 Depth=2
	s_or_b32 exec_lo, exec_lo, s16
	v_lshrrev_b32_e32 v156, 16, v152
	; wave barrier
	s_delay_alu instid0(VALU_DEP_1) | instskip(NEXT) | instid1(VALU_DEP_1)
	v_lshrrev_b32_e32 v2, s57, v156
	v_and_b32_e32 v2, s43, v2
	s_delay_alu instid0(VALU_DEP_1)
	v_and_b32_e32 v3, 1, v2
	v_lshlrev_b32_e32 v4, 30, v2
	v_lshlrev_b32_e32 v45, 29, v2
	;; [unrolled: 1-line block ×4, first 2 shown]
	v_add_co_u32 v3, s16, v3, -1
	s_delay_alu instid0(VALU_DEP_1)
	v_cndmask_b32_e64 v160, 0, 1, s16
	v_not_b32_e32 v164, v4
	v_cmp_gt_i32_e64 s16, 0, v4
	v_not_b32_e32 v4, v45
	v_lshlrev_b32_e32 v162, 26, v2
	v_cmp_ne_u32_e32 vcc_lo, 0, v160
	v_ashrrev_i32_e32 v164, 31, v164
	v_lshlrev_b32_e32 v163, 25, v2
	v_ashrrev_i32_e32 v4, 31, v4
	v_lshlrev_b32_e32 v160, 24, v2
	v_xor_b32_e32 v3, vcc_lo, v3
	v_cmp_gt_i32_e32 vcc_lo, 0, v45
	v_not_b32_e32 v45, v46
	v_xor_b32_e32 v164, s16, v164
	v_cmp_gt_i32_e64 s16, 0, v46
	v_and_b32_e32 v3, exec_lo, v3
	v_not_b32_e32 v46, v161
	v_ashrrev_i32_e32 v45, 31, v45
	v_xor_b32_e32 v4, vcc_lo, v4
	v_cmp_gt_i32_e32 vcc_lo, 0, v161
	v_and_b32_e32 v3, v3, v164
	v_not_b32_e32 v161, v162
	v_ashrrev_i32_e32 v46, 31, v46
	v_xor_b32_e32 v45, s16, v45
	v_cmp_gt_i32_e64 s16, 0, v162
	v_and_b32_e32 v3, v3, v4
	v_not_b32_e32 v4, v163
	v_ashrrev_i32_e32 v161, 31, v161
	v_xor_b32_e32 v46, vcc_lo, v46
	v_cmp_gt_i32_e32 vcc_lo, 0, v163
	v_and_b32_e32 v3, v3, v45
	v_not_b32_e32 v45, v160
	v_ashrrev_i32_e32 v4, 31, v4
	v_xor_b32_e32 v161, s16, v161
	v_mul_u32_u24_e32 v2, 9, v2
	v_and_b32_e32 v3, v3, v46
	v_cmp_gt_i32_e64 s16, 0, v160
	v_ashrrev_i32_e32 v45, 31, v45
	v_xor_b32_e32 v4, vcc_lo, v4
	v_add_lshl_u32 v46, v2, v122, 2
	v_and_b32_e32 v3, v3, v161
	s_delay_alu instid0(VALU_DEP_4) | instskip(SKIP_3) | instid1(VALU_DEP_2)
	v_xor_b32_e32 v2, s16, v45
	ds_load_b32 v161, v46 offset:1056
	v_and_b32_e32 v3, v3, v4
	v_add_nc_u32_e32 v163, 0x420, v46
	; wave barrier
	v_and_b32_e32 v2, v3, v2
	s_delay_alu instid0(VALU_DEP_1) | instskip(SKIP_1) | instid1(VALU_DEP_2)
	v_mbcnt_lo_u32_b32 v162, v2, 0
	v_cmp_ne_u32_e64 s16, 0, v2
	v_cmp_eq_u32_e32 vcc_lo, 0, v162
	s_delay_alu instid0(VALU_DEP_2) | instskip(NEXT) | instid1(SALU_CYCLE_1)
	s_and_b32 s17, s16, vcc_lo
	s_and_saveexec_b32 s16, s17
	s_cbranch_execz .LBB1022_722
; %bb.721:                              ;   in Loop: Header=BB1022_688 Depth=2
	s_waitcnt lgkmcnt(0)
	v_bcnt_u32_b32 v2, v2, v161
	ds_store_b32 v163, v2
.LBB1022_722:                           ;   in Loop: Header=BB1022_688 Depth=2
	s_or_b32 exec_lo, exec_lo, s16
	v_xor_b32_e32 v160, 0x80008000, v5
	; wave barrier
	s_delay_alu instid0(VALU_DEP_1) | instskip(NEXT) | instid1(VALU_DEP_1)
	v_and_b32_e32 v2, 0xffff, v160
	v_lshrrev_b32_e32 v2, s57, v2
	s_delay_alu instid0(VALU_DEP_1) | instskip(NEXT) | instid1(VALU_DEP_1)
	v_and_b32_e32 v2, s43, v2
	v_and_b32_e32 v3, 1, v2
	v_lshlrev_b32_e32 v4, 30, v2
	v_lshlrev_b32_e32 v5, 29, v2
	;; [unrolled: 1-line block ×4, first 2 shown]
	v_add_co_u32 v3, s16, v3, -1
	s_delay_alu instid0(VALU_DEP_1)
	v_cndmask_b32_e64 v46, 0, 1, s16
	v_not_b32_e32 v167, v4
	v_cmp_gt_i32_e64 s16, 0, v4
	v_not_b32_e32 v4, v5
	v_lshlrev_b32_e32 v165, 26, v2
	v_cmp_ne_u32_e32 vcc_lo, 0, v46
	v_ashrrev_i32_e32 v167, 31, v167
	v_lshlrev_b32_e32 v166, 25, v2
	v_ashrrev_i32_e32 v4, 31, v4
	v_lshlrev_b32_e32 v46, 24, v2
	v_xor_b32_e32 v3, vcc_lo, v3
	v_cmp_gt_i32_e32 vcc_lo, 0, v5
	v_not_b32_e32 v5, v45
	v_xor_b32_e32 v167, s16, v167
	v_cmp_gt_i32_e64 s16, 0, v45
	v_and_b32_e32 v3, exec_lo, v3
	v_not_b32_e32 v45, v164
	v_ashrrev_i32_e32 v5, 31, v5
	v_xor_b32_e32 v4, vcc_lo, v4
	v_cmp_gt_i32_e32 vcc_lo, 0, v164
	v_and_b32_e32 v3, v3, v167
	v_not_b32_e32 v164, v165
	v_ashrrev_i32_e32 v45, 31, v45
	v_xor_b32_e32 v5, s16, v5
	v_cmp_gt_i32_e64 s16, 0, v165
	v_and_b32_e32 v3, v3, v4
	v_not_b32_e32 v4, v166
	v_ashrrev_i32_e32 v164, 31, v164
	v_xor_b32_e32 v45, vcc_lo, v45
	v_cmp_gt_i32_e32 vcc_lo, 0, v166
	v_and_b32_e32 v3, v3, v5
	v_not_b32_e32 v5, v46
	v_ashrrev_i32_e32 v4, 31, v4
	v_xor_b32_e32 v164, s16, v164
	v_mul_u32_u24_e32 v2, 9, v2
	v_and_b32_e32 v3, v3, v45
	v_cmp_gt_i32_e64 s16, 0, v46
	v_ashrrev_i32_e32 v5, 31, v5
	v_xor_b32_e32 v4, vcc_lo, v4
	v_add_lshl_u32 v45, v2, v122, 2
	v_and_b32_e32 v3, v3, v164
	s_delay_alu instid0(VALU_DEP_4) | instskip(SKIP_3) | instid1(VALU_DEP_2)
	v_xor_b32_e32 v2, s16, v5
	ds_load_b32 v165, v45 offset:1056
	v_and_b32_e32 v3, v3, v4
	v_add_nc_u32_e32 v167, 0x420, v45
	; wave barrier
	v_and_b32_e32 v2, v3, v2
	s_delay_alu instid0(VALU_DEP_1) | instskip(SKIP_1) | instid1(VALU_DEP_2)
	v_mbcnt_lo_u32_b32 v166, v2, 0
	v_cmp_ne_u32_e64 s16, 0, v2
	v_cmp_eq_u32_e32 vcc_lo, 0, v166
	s_delay_alu instid0(VALU_DEP_2) | instskip(NEXT) | instid1(SALU_CYCLE_1)
	s_and_b32 s17, s16, vcc_lo
	s_and_saveexec_b32 s16, s17
	s_cbranch_execz .LBB1022_724
; %bb.723:                              ;   in Loop: Header=BB1022_688 Depth=2
	s_waitcnt lgkmcnt(0)
	v_bcnt_u32_b32 v2, v2, v165
	ds_store_b32 v167, v2
.LBB1022_724:                           ;   in Loop: Header=BB1022_688 Depth=2
	s_or_b32 exec_lo, exec_lo, s16
	v_lshrrev_b32_e32 v164, 16, v160
	; wave barrier
	s_delay_alu instid0(VALU_DEP_1) | instskip(NEXT) | instid1(VALU_DEP_1)
	v_lshrrev_b32_e32 v2, s57, v164
	v_and_b32_e32 v2, s43, v2
	s_delay_alu instid0(VALU_DEP_1)
	v_and_b32_e32 v3, 1, v2
	v_lshlrev_b32_e32 v4, 30, v2
	v_lshlrev_b32_e32 v5, 29, v2
	;; [unrolled: 1-line block ×4, first 2 shown]
	v_add_co_u32 v3, s16, v3, -1
	s_delay_alu instid0(VALU_DEP_1)
	v_cndmask_b32_e64 v46, 0, 1, s16
	v_not_b32_e32 v171, v4
	v_cmp_gt_i32_e64 s16, 0, v4
	v_not_b32_e32 v4, v5
	v_lshlrev_b32_e32 v169, 26, v2
	v_cmp_ne_u32_e32 vcc_lo, 0, v46
	v_ashrrev_i32_e32 v171, 31, v171
	v_lshlrev_b32_e32 v170, 25, v2
	v_ashrrev_i32_e32 v4, 31, v4
	v_lshlrev_b32_e32 v46, 24, v2
	v_xor_b32_e32 v3, vcc_lo, v3
	v_cmp_gt_i32_e32 vcc_lo, 0, v5
	v_not_b32_e32 v5, v45
	v_xor_b32_e32 v171, s16, v171
	v_cmp_gt_i32_e64 s16, 0, v45
	v_and_b32_e32 v3, exec_lo, v3
	v_not_b32_e32 v45, v168
	v_ashrrev_i32_e32 v5, 31, v5
	v_xor_b32_e32 v4, vcc_lo, v4
	v_cmp_gt_i32_e32 vcc_lo, 0, v168
	v_and_b32_e32 v3, v3, v171
	v_not_b32_e32 v168, v169
	v_ashrrev_i32_e32 v45, 31, v45
	v_xor_b32_e32 v5, s16, v5
	v_cmp_gt_i32_e64 s16, 0, v169
	v_and_b32_e32 v3, v3, v4
	v_not_b32_e32 v4, v170
	v_ashrrev_i32_e32 v168, 31, v168
	v_xor_b32_e32 v45, vcc_lo, v45
	v_cmp_gt_i32_e32 vcc_lo, 0, v170
	v_and_b32_e32 v3, v3, v5
	v_not_b32_e32 v5, v46
	v_ashrrev_i32_e32 v4, 31, v4
	v_xor_b32_e32 v168, s16, v168
	v_mul_u32_u24_e32 v2, 9, v2
	v_and_b32_e32 v3, v3, v45
	v_cmp_gt_i32_e64 s16, 0, v46
	v_ashrrev_i32_e32 v5, 31, v5
	v_xor_b32_e32 v4, vcc_lo, v4
	v_add_lshl_u32 v45, v2, v122, 2
	v_and_b32_e32 v3, v3, v168
	s_delay_alu instid0(VALU_DEP_4) | instskip(SKIP_3) | instid1(VALU_DEP_2)
	v_xor_b32_e32 v2, s16, v5
	ds_load_b32 v169, v45 offset:1056
	v_and_b32_e32 v3, v3, v4
	v_add_nc_u32_e32 v171, 0x420, v45
	; wave barrier
	v_and_b32_e32 v2, v3, v2
	s_delay_alu instid0(VALU_DEP_1) | instskip(SKIP_1) | instid1(VALU_DEP_2)
	v_mbcnt_lo_u32_b32 v170, v2, 0
	v_cmp_ne_u32_e64 s16, 0, v2
	v_cmp_eq_u32_e32 vcc_lo, 0, v170
	s_delay_alu instid0(VALU_DEP_2) | instskip(NEXT) | instid1(SALU_CYCLE_1)
	s_and_b32 s17, s16, vcc_lo
	s_and_saveexec_b32 s16, s17
	s_cbranch_execz .LBB1022_726
; %bb.725:                              ;   in Loop: Header=BB1022_688 Depth=2
	s_waitcnt lgkmcnt(0)
	v_bcnt_u32_b32 v2, v2, v169
	ds_store_b32 v171, v2
.LBB1022_726:                           ;   in Loop: Header=BB1022_688 Depth=2
	s_or_b32 exec_lo, exec_lo, s16
	v_xor_b32_e32 v168, 0x80008000, v6
	; wave barrier
	s_delay_alu instid0(VALU_DEP_1) | instskip(NEXT) | instid1(VALU_DEP_1)
	v_and_b32_e32 v2, 0xffff, v168
	v_lshrrev_b32_e32 v2, s57, v2
	s_delay_alu instid0(VALU_DEP_1) | instskip(NEXT) | instid1(VALU_DEP_1)
	v_and_b32_e32 v2, s43, v2
	v_and_b32_e32 v3, 1, v2
	v_lshlrev_b32_e32 v4, 30, v2
	v_lshlrev_b32_e32 v5, 29, v2
	;; [unrolled: 1-line block ×4, first 2 shown]
	v_add_co_u32 v3, s16, v3, -1
	s_delay_alu instid0(VALU_DEP_1)
	v_cndmask_b32_e64 v45, 0, 1, s16
	v_not_b32_e32 v174, v4
	v_cmp_gt_i32_e64 s16, 0, v4
	v_not_b32_e32 v4, v5
	v_lshlrev_b32_e32 v172, 26, v2
	v_cmp_ne_u32_e32 vcc_lo, 0, v45
	v_ashrrev_i32_e32 v174, 31, v174
	v_lshlrev_b32_e32 v173, 25, v2
	v_ashrrev_i32_e32 v4, 31, v4
	v_lshlrev_b32_e32 v45, 24, v2
	v_xor_b32_e32 v3, vcc_lo, v3
	v_cmp_gt_i32_e32 vcc_lo, 0, v5
	v_not_b32_e32 v5, v6
	v_xor_b32_e32 v174, s16, v174
	v_cmp_gt_i32_e64 s16, 0, v6
	v_and_b32_e32 v3, exec_lo, v3
	v_not_b32_e32 v6, v46
	v_ashrrev_i32_e32 v5, 31, v5
	v_xor_b32_e32 v4, vcc_lo, v4
	v_cmp_gt_i32_e32 vcc_lo, 0, v46
	v_and_b32_e32 v3, v3, v174
	v_not_b32_e32 v46, v172
	v_ashrrev_i32_e32 v6, 31, v6
	v_xor_b32_e32 v5, s16, v5
	v_cmp_gt_i32_e64 s16, 0, v172
	v_and_b32_e32 v3, v3, v4
	v_not_b32_e32 v4, v173
	v_ashrrev_i32_e32 v46, 31, v46
	v_xor_b32_e32 v6, vcc_lo, v6
	v_cmp_gt_i32_e32 vcc_lo, 0, v173
	v_and_b32_e32 v3, v3, v5
	v_not_b32_e32 v5, v45
	v_ashrrev_i32_e32 v4, 31, v4
	v_xor_b32_e32 v46, s16, v46
	v_mul_u32_u24_e32 v2, 9, v2
	v_and_b32_e32 v3, v3, v6
	v_cmp_gt_i32_e64 s16, 0, v45
	v_ashrrev_i32_e32 v5, 31, v5
	v_xor_b32_e32 v4, vcc_lo, v4
	v_add_lshl_u32 v6, v2, v122, 2
	v_and_b32_e32 v3, v3, v46
	s_delay_alu instid0(VALU_DEP_4) | instskip(SKIP_3) | instid1(VALU_DEP_2)
	v_xor_b32_e32 v2, s16, v5
	ds_load_b32 v173, v6 offset:1056
	v_and_b32_e32 v3, v3, v4
	v_add_nc_u32_e32 v175, 0x420, v6
	; wave barrier
	v_and_b32_e32 v2, v3, v2
	s_delay_alu instid0(VALU_DEP_1) | instskip(SKIP_1) | instid1(VALU_DEP_2)
	v_mbcnt_lo_u32_b32 v174, v2, 0
	v_cmp_ne_u32_e64 s16, 0, v2
	v_cmp_eq_u32_e32 vcc_lo, 0, v174
	s_delay_alu instid0(VALU_DEP_2) | instskip(NEXT) | instid1(SALU_CYCLE_1)
	s_and_b32 s17, s16, vcc_lo
	s_and_saveexec_b32 s16, s17
	s_cbranch_execz .LBB1022_728
; %bb.727:                              ;   in Loop: Header=BB1022_688 Depth=2
	s_waitcnt lgkmcnt(0)
	v_bcnt_u32_b32 v2, v2, v173
	ds_store_b32 v175, v2
.LBB1022_728:                           ;   in Loop: Header=BB1022_688 Depth=2
	s_or_b32 exec_lo, exec_lo, s16
	v_lshrrev_b32_e32 v172, 16, v168
	; wave barrier
	s_delay_alu instid0(VALU_DEP_1) | instskip(NEXT) | instid1(VALU_DEP_1)
	v_lshrrev_b32_e32 v2, s57, v172
	v_and_b32_e32 v2, s43, v2
	s_delay_alu instid0(VALU_DEP_1)
	v_and_b32_e32 v3, 1, v2
	v_lshlrev_b32_e32 v4, 30, v2
	v_lshlrev_b32_e32 v5, 29, v2
	;; [unrolled: 1-line block ×4, first 2 shown]
	v_add_co_u32 v3, s16, v3, -1
	s_delay_alu instid0(VALU_DEP_1)
	v_cndmask_b32_e64 v45, 0, 1, s16
	v_not_b32_e32 v178, v4
	v_cmp_gt_i32_e64 s16, 0, v4
	v_not_b32_e32 v4, v5
	v_lshlrev_b32_e32 v176, 26, v2
	v_cmp_ne_u32_e32 vcc_lo, 0, v45
	v_ashrrev_i32_e32 v178, 31, v178
	v_lshlrev_b32_e32 v177, 25, v2
	v_ashrrev_i32_e32 v4, 31, v4
	v_lshlrev_b32_e32 v45, 24, v2
	v_xor_b32_e32 v3, vcc_lo, v3
	v_cmp_gt_i32_e32 vcc_lo, 0, v5
	v_not_b32_e32 v5, v6
	v_xor_b32_e32 v178, s16, v178
	v_cmp_gt_i32_e64 s16, 0, v6
	v_and_b32_e32 v3, exec_lo, v3
	v_not_b32_e32 v6, v46
	v_ashrrev_i32_e32 v5, 31, v5
	v_xor_b32_e32 v4, vcc_lo, v4
	v_cmp_gt_i32_e32 vcc_lo, 0, v46
	v_and_b32_e32 v3, v3, v178
	v_not_b32_e32 v46, v176
	v_ashrrev_i32_e32 v6, 31, v6
	v_xor_b32_e32 v5, s16, v5
	v_cmp_gt_i32_e64 s16, 0, v176
	v_and_b32_e32 v3, v3, v4
	v_not_b32_e32 v4, v177
	v_ashrrev_i32_e32 v46, 31, v46
	v_xor_b32_e32 v6, vcc_lo, v6
	v_cmp_gt_i32_e32 vcc_lo, 0, v177
	v_and_b32_e32 v3, v3, v5
	v_not_b32_e32 v5, v45
	v_ashrrev_i32_e32 v4, 31, v4
	v_xor_b32_e32 v46, s16, v46
	v_mul_u32_u24_e32 v2, 9, v2
	v_and_b32_e32 v3, v3, v6
	v_cmp_gt_i32_e64 s16, 0, v45
	v_ashrrev_i32_e32 v5, 31, v5
	v_xor_b32_e32 v4, vcc_lo, v4
	v_add_lshl_u32 v6, v2, v122, 2
	v_and_b32_e32 v3, v3, v46
	s_delay_alu instid0(VALU_DEP_4) | instskip(SKIP_3) | instid1(VALU_DEP_2)
	v_xor_b32_e32 v2, s16, v5
	ds_load_b32 v177, v6 offset:1056
	v_and_b32_e32 v3, v3, v4
	v_add_nc_u32_e32 v179, 0x420, v6
	; wave barrier
	v_and_b32_e32 v2, v3, v2
	s_delay_alu instid0(VALU_DEP_1) | instskip(SKIP_1) | instid1(VALU_DEP_2)
	v_mbcnt_lo_u32_b32 v178, v2, 0
	v_cmp_ne_u32_e64 s16, 0, v2
	v_cmp_eq_u32_e32 vcc_lo, 0, v178
	s_delay_alu instid0(VALU_DEP_2) | instskip(NEXT) | instid1(SALU_CYCLE_1)
	s_and_b32 s17, s16, vcc_lo
	s_and_saveexec_b32 s16, s17
	s_cbranch_execz .LBB1022_730
; %bb.729:                              ;   in Loop: Header=BB1022_688 Depth=2
	s_waitcnt lgkmcnt(0)
	v_bcnt_u32_b32 v2, v2, v177
	ds_store_b32 v179, v2
.LBB1022_730:                           ;   in Loop: Header=BB1022_688 Depth=2
	s_or_b32 exec_lo, exec_lo, s16
	v_xor_b32_e32 v176, 0x80008000, v7
	; wave barrier
	s_delay_alu instid0(VALU_DEP_1) | instskip(NEXT) | instid1(VALU_DEP_1)
	v_and_b32_e32 v2, 0xffff, v176
	v_lshrrev_b32_e32 v2, s57, v2
	s_delay_alu instid0(VALU_DEP_1) | instskip(NEXT) | instid1(VALU_DEP_1)
	v_and_b32_e32 v2, s43, v2
	v_and_b32_e32 v3, 1, v2
	v_lshlrev_b32_e32 v4, 30, v2
	v_lshlrev_b32_e32 v5, 29, v2
	;; [unrolled: 1-line block ×4, first 2 shown]
	v_add_co_u32 v3, s16, v3, -1
	s_delay_alu instid0(VALU_DEP_1)
	v_cndmask_b32_e64 v7, 0, 1, s16
	v_not_b32_e32 v181, v4
	v_cmp_gt_i32_e64 s16, 0, v4
	v_not_b32_e32 v4, v5
	v_lshlrev_b32_e32 v46, 26, v2
	v_cmp_ne_u32_e32 vcc_lo, 0, v7
	v_ashrrev_i32_e32 v181, 31, v181
	v_lshlrev_b32_e32 v180, 25, v2
	v_ashrrev_i32_e32 v4, 31, v4
	v_lshlrev_b32_e32 v7, 24, v2
	v_xor_b32_e32 v3, vcc_lo, v3
	v_cmp_gt_i32_e32 vcc_lo, 0, v5
	v_not_b32_e32 v5, v6
	v_xor_b32_e32 v181, s16, v181
	v_cmp_gt_i32_e64 s16, 0, v6
	v_and_b32_e32 v3, exec_lo, v3
	v_not_b32_e32 v6, v45
	v_ashrrev_i32_e32 v5, 31, v5
	v_xor_b32_e32 v4, vcc_lo, v4
	v_cmp_gt_i32_e32 vcc_lo, 0, v45
	v_and_b32_e32 v3, v3, v181
	v_not_b32_e32 v45, v46
	v_ashrrev_i32_e32 v6, 31, v6
	v_xor_b32_e32 v5, s16, v5
	v_cmp_gt_i32_e64 s16, 0, v46
	v_and_b32_e32 v3, v3, v4
	v_not_b32_e32 v4, v180
	v_ashrrev_i32_e32 v45, 31, v45
	v_xor_b32_e32 v6, vcc_lo, v6
	v_cmp_gt_i32_e32 vcc_lo, 0, v180
	v_and_b32_e32 v3, v3, v5
	v_not_b32_e32 v5, v7
	v_ashrrev_i32_e32 v4, 31, v4
	v_xor_b32_e32 v45, s16, v45
	v_mul_u32_u24_e32 v2, 9, v2
	v_and_b32_e32 v3, v3, v6
	v_cmp_gt_i32_e64 s16, 0, v7
	v_ashrrev_i32_e32 v5, 31, v5
	v_xor_b32_e32 v4, vcc_lo, v4
	v_add_lshl_u32 v6, v2, v122, 2
	v_and_b32_e32 v3, v3, v45
	s_delay_alu instid0(VALU_DEP_4) | instskip(SKIP_3) | instid1(VALU_DEP_2)
	v_xor_b32_e32 v2, s16, v5
	ds_load_b32 v181, v6 offset:1056
	v_and_b32_e32 v3, v3, v4
	v_add_nc_u32_e32 v183, 0x420, v6
	; wave barrier
	v_and_b32_e32 v2, v3, v2
	s_delay_alu instid0(VALU_DEP_1) | instskip(SKIP_1) | instid1(VALU_DEP_2)
	v_mbcnt_lo_u32_b32 v182, v2, 0
	v_cmp_ne_u32_e64 s16, 0, v2
	v_cmp_eq_u32_e32 vcc_lo, 0, v182
	s_delay_alu instid0(VALU_DEP_2) | instskip(NEXT) | instid1(SALU_CYCLE_1)
	s_and_b32 s17, s16, vcc_lo
	s_and_saveexec_b32 s16, s17
	s_cbranch_execz .LBB1022_732
; %bb.731:                              ;   in Loop: Header=BB1022_688 Depth=2
	s_waitcnt lgkmcnt(0)
	v_bcnt_u32_b32 v2, v2, v181
	ds_store_b32 v183, v2
.LBB1022_732:                           ;   in Loop: Header=BB1022_688 Depth=2
	s_or_b32 exec_lo, exec_lo, s16
	v_lshrrev_b32_e32 v180, 16, v176
	; wave barrier
	s_delay_alu instid0(VALU_DEP_1) | instskip(NEXT) | instid1(VALU_DEP_1)
	v_lshrrev_b32_e32 v2, s57, v180
	v_and_b32_e32 v2, s43, v2
	s_delay_alu instid0(VALU_DEP_1)
	v_and_b32_e32 v3, 1, v2
	v_lshlrev_b32_e32 v4, 30, v2
	v_lshlrev_b32_e32 v5, 29, v2
	;; [unrolled: 1-line block ×4, first 2 shown]
	v_add_co_u32 v3, s16, v3, -1
	s_delay_alu instid0(VALU_DEP_1)
	v_cndmask_b32_e64 v7, 0, 1, s16
	v_not_b32_e32 v185, v4
	v_cmp_gt_i32_e64 s16, 0, v4
	v_not_b32_e32 v4, v5
	v_lshlrev_b32_e32 v46, 26, v2
	v_cmp_ne_u32_e32 vcc_lo, 0, v7
	v_ashrrev_i32_e32 v185, 31, v185
	v_lshlrev_b32_e32 v184, 25, v2
	v_ashrrev_i32_e32 v4, 31, v4
	v_lshlrev_b32_e32 v7, 24, v2
	v_xor_b32_e32 v3, vcc_lo, v3
	v_cmp_gt_i32_e32 vcc_lo, 0, v5
	v_not_b32_e32 v5, v6
	v_xor_b32_e32 v185, s16, v185
	v_cmp_gt_i32_e64 s16, 0, v6
	v_and_b32_e32 v3, exec_lo, v3
	v_not_b32_e32 v6, v45
	v_ashrrev_i32_e32 v5, 31, v5
	v_xor_b32_e32 v4, vcc_lo, v4
	v_cmp_gt_i32_e32 vcc_lo, 0, v45
	v_and_b32_e32 v3, v3, v185
	v_not_b32_e32 v45, v46
	v_ashrrev_i32_e32 v6, 31, v6
	v_xor_b32_e32 v5, s16, v5
	v_cmp_gt_i32_e64 s16, 0, v46
	v_and_b32_e32 v3, v3, v4
	v_not_b32_e32 v4, v184
	v_ashrrev_i32_e32 v45, 31, v45
	v_xor_b32_e32 v6, vcc_lo, v6
	v_cmp_gt_i32_e32 vcc_lo, 0, v184
	v_and_b32_e32 v3, v3, v5
	v_not_b32_e32 v5, v7
	v_ashrrev_i32_e32 v4, 31, v4
	v_xor_b32_e32 v45, s16, v45
	v_mul_u32_u24_e32 v2, 9, v2
	v_and_b32_e32 v3, v3, v6
	v_cmp_gt_i32_e64 s16, 0, v7
	v_ashrrev_i32_e32 v5, 31, v5
	v_xor_b32_e32 v4, vcc_lo, v4
	v_add_lshl_u32 v6, v2, v122, 2
	v_and_b32_e32 v3, v3, v45
	s_delay_alu instid0(VALU_DEP_4) | instskip(SKIP_3) | instid1(VALU_DEP_2)
	v_xor_b32_e32 v2, s16, v5
	ds_load_b32 v185, v6 offset:1056
	v_and_b32_e32 v3, v3, v4
	v_add_nc_u32_e32 v187, 0x420, v6
	; wave barrier
	v_and_b32_e32 v2, v3, v2
	s_delay_alu instid0(VALU_DEP_1) | instskip(SKIP_1) | instid1(VALU_DEP_2)
	v_mbcnt_lo_u32_b32 v186, v2, 0
	v_cmp_ne_u32_e64 s16, 0, v2
	v_cmp_eq_u32_e32 vcc_lo, 0, v186
	s_delay_alu instid0(VALU_DEP_2) | instskip(NEXT) | instid1(SALU_CYCLE_1)
	s_and_b32 s17, s16, vcc_lo
	s_and_saveexec_b32 s16, s17
	s_cbranch_execz .LBB1022_734
; %bb.733:                              ;   in Loop: Header=BB1022_688 Depth=2
	s_waitcnt lgkmcnt(0)
	v_bcnt_u32_b32 v2, v2, v185
	ds_store_b32 v187, v2
.LBB1022_734:                           ;   in Loop: Header=BB1022_688 Depth=2
	s_or_b32 exec_lo, exec_lo, s16
	v_xor_b32_e32 v184, 0x80008000, v8
	; wave barrier
	s_delay_alu instid0(VALU_DEP_1) | instskip(NEXT) | instid1(VALU_DEP_1)
	v_and_b32_e32 v2, 0xffff, v184
	v_lshrrev_b32_e32 v2, s57, v2
	s_delay_alu instid0(VALU_DEP_1) | instskip(NEXT) | instid1(VALU_DEP_1)
	v_and_b32_e32 v2, s43, v2
	v_and_b32_e32 v3, 1, v2
	v_lshlrev_b32_e32 v4, 30, v2
	v_lshlrev_b32_e32 v5, 29, v2
	v_lshlrev_b32_e32 v6, 28, v2
	v_lshlrev_b32_e32 v8, 27, v2
	v_add_co_u32 v3, s16, v3, -1
	s_delay_alu instid0(VALU_DEP_1)
	v_cndmask_b32_e64 v7, 0, 1, s16
	v_not_b32_e32 v188, v4
	v_cmp_gt_i32_e64 s16, 0, v4
	v_not_b32_e32 v4, v5
	v_lshlrev_b32_e32 v45, 26, v2
	v_cmp_ne_u32_e32 vcc_lo, 0, v7
	v_ashrrev_i32_e32 v188, 31, v188
	v_lshlrev_b32_e32 v46, 25, v2
	v_ashrrev_i32_e32 v4, 31, v4
	v_lshlrev_b32_e32 v7, 24, v2
	v_xor_b32_e32 v3, vcc_lo, v3
	v_cmp_gt_i32_e32 vcc_lo, 0, v5
	v_not_b32_e32 v5, v6
	v_xor_b32_e32 v188, s16, v188
	v_cmp_gt_i32_e64 s16, 0, v6
	v_and_b32_e32 v3, exec_lo, v3
	v_not_b32_e32 v6, v8
	v_ashrrev_i32_e32 v5, 31, v5
	v_xor_b32_e32 v4, vcc_lo, v4
	v_cmp_gt_i32_e32 vcc_lo, 0, v8
	v_and_b32_e32 v3, v3, v188
	v_not_b32_e32 v8, v45
	v_ashrrev_i32_e32 v6, 31, v6
	v_xor_b32_e32 v5, s16, v5
	v_cmp_gt_i32_e64 s16, 0, v45
	v_and_b32_e32 v3, v3, v4
	v_not_b32_e32 v4, v46
	v_ashrrev_i32_e32 v8, 31, v8
	v_xor_b32_e32 v6, vcc_lo, v6
	v_cmp_gt_i32_e32 vcc_lo, 0, v46
	v_and_b32_e32 v3, v3, v5
	v_not_b32_e32 v5, v7
	v_ashrrev_i32_e32 v4, 31, v4
	v_xor_b32_e32 v8, s16, v8
	v_mul_u32_u24_e32 v2, 9, v2
	v_and_b32_e32 v3, v3, v6
	v_cmp_gt_i32_e64 s16, 0, v7
	v_ashrrev_i32_e32 v5, 31, v5
	v_xor_b32_e32 v4, vcc_lo, v4
	v_add_lshl_u32 v6, v2, v122, 2
	v_and_b32_e32 v3, v3, v8
	s_delay_alu instid0(VALU_DEP_4) | instskip(SKIP_3) | instid1(VALU_DEP_2)
	v_xor_b32_e32 v2, s16, v5
	ds_load_b32 v8, v6 offset:1056
	v_and_b32_e32 v3, v3, v4
	v_add_nc_u32_e32 v190, 0x420, v6
	; wave barrier
	v_and_b32_e32 v2, v3, v2
	s_delay_alu instid0(VALU_DEP_1) | instskip(SKIP_1) | instid1(VALU_DEP_2)
	v_mbcnt_lo_u32_b32 v189, v2, 0
	v_cmp_ne_u32_e64 s16, 0, v2
	v_cmp_eq_u32_e32 vcc_lo, 0, v189
	s_delay_alu instid0(VALU_DEP_2) | instskip(NEXT) | instid1(SALU_CYCLE_1)
	s_and_b32 s17, s16, vcc_lo
	s_and_saveexec_b32 s16, s17
	s_cbranch_execz .LBB1022_736
; %bb.735:                              ;   in Loop: Header=BB1022_688 Depth=2
	s_waitcnt lgkmcnt(0)
	v_bcnt_u32_b32 v2, v2, v8
	ds_store_b32 v190, v2
.LBB1022_736:                           ;   in Loop: Header=BB1022_688 Depth=2
	s_or_b32 exec_lo, exec_lo, s16
	v_lshrrev_b32_e32 v188, 16, v184
	; wave barrier
	s_delay_alu instid0(VALU_DEP_1) | instskip(NEXT) | instid1(VALU_DEP_1)
	v_lshrrev_b32_e32 v2, s57, v188
	v_and_b32_e32 v2, s43, v2
	s_delay_alu instid0(VALU_DEP_1)
	v_and_b32_e32 v3, 1, v2
	v_lshlrev_b32_e32 v4, 30, v2
	v_lshlrev_b32_e32 v5, 29, v2
	;; [unrolled: 1-line block ×4, first 2 shown]
	v_add_co_u32 v3, s16, v3, -1
	s_delay_alu instid0(VALU_DEP_1)
	v_cndmask_b32_e64 v7, 0, 1, s16
	v_not_b32_e32 v192, v4
	v_cmp_gt_i32_e64 s16, 0, v4
	v_not_b32_e32 v4, v5
	v_lshlrev_b32_e32 v46, 26, v2
	v_cmp_ne_u32_e32 vcc_lo, 0, v7
	v_ashrrev_i32_e32 v192, 31, v192
	v_lshlrev_b32_e32 v191, 25, v2
	v_ashrrev_i32_e32 v4, 31, v4
	v_lshlrev_b32_e32 v7, 24, v2
	v_xor_b32_e32 v3, vcc_lo, v3
	v_cmp_gt_i32_e32 vcc_lo, 0, v5
	v_not_b32_e32 v5, v6
	v_xor_b32_e32 v192, s16, v192
	v_cmp_gt_i32_e64 s16, 0, v6
	v_and_b32_e32 v3, exec_lo, v3
	v_not_b32_e32 v6, v45
	v_ashrrev_i32_e32 v5, 31, v5
	v_xor_b32_e32 v4, vcc_lo, v4
	v_cmp_gt_i32_e32 vcc_lo, 0, v45
	v_and_b32_e32 v3, v3, v192
	v_not_b32_e32 v45, v46
	v_ashrrev_i32_e32 v6, 31, v6
	v_xor_b32_e32 v5, s16, v5
	v_cmp_gt_i32_e64 s16, 0, v46
	v_and_b32_e32 v3, v3, v4
	v_not_b32_e32 v4, v191
	v_ashrrev_i32_e32 v45, 31, v45
	v_xor_b32_e32 v6, vcc_lo, v6
	v_cmp_gt_i32_e32 vcc_lo, 0, v191
	v_and_b32_e32 v3, v3, v5
	v_not_b32_e32 v5, v7
	v_ashrrev_i32_e32 v4, 31, v4
	v_xor_b32_e32 v45, s16, v45
	v_mul_u32_u24_e32 v2, 9, v2
	v_and_b32_e32 v3, v3, v6
	v_cmp_gt_i32_e64 s16, 0, v7
	v_ashrrev_i32_e32 v5, 31, v5
	v_xor_b32_e32 v4, vcc_lo, v4
	v_add_lshl_u32 v6, v2, v122, 2
	v_and_b32_e32 v3, v3, v45
	s_delay_alu instid0(VALU_DEP_4) | instskip(SKIP_3) | instid1(VALU_DEP_2)
	v_xor_b32_e32 v2, s16, v5
	ds_load_b32 v191, v6 offset:1056
	v_and_b32_e32 v3, v3, v4
	v_add_nc_u32_e32 v193, 0x420, v6
	; wave barrier
	v_and_b32_e32 v2, v3, v2
	s_delay_alu instid0(VALU_DEP_1) | instskip(SKIP_1) | instid1(VALU_DEP_2)
	v_mbcnt_lo_u32_b32 v192, v2, 0
	v_cmp_ne_u32_e64 s16, 0, v2
	v_cmp_eq_u32_e32 vcc_lo, 0, v192
	s_delay_alu instid0(VALU_DEP_2) | instskip(NEXT) | instid1(SALU_CYCLE_1)
	s_and_b32 s17, s16, vcc_lo
	s_and_saveexec_b32 s16, s17
	s_cbranch_execz .LBB1022_738
; %bb.737:                              ;   in Loop: Header=BB1022_688 Depth=2
	s_waitcnt lgkmcnt(0)
	v_bcnt_u32_b32 v2, v2, v191
	ds_store_b32 v193, v2
.LBB1022_738:                           ;   in Loop: Header=BB1022_688 Depth=2
	s_or_b32 exec_lo, exec_lo, s16
	v_xor_b32_e32 v9, 0x80008000, v9
	; wave barrier
	s_delay_alu instid0(VALU_DEP_1) | instskip(NEXT) | instid1(VALU_DEP_1)
	v_and_b32_e32 v2, 0xffff, v9
	v_lshrrev_b32_e32 v2, s57, v2
	s_delay_alu instid0(VALU_DEP_1) | instskip(NEXT) | instid1(VALU_DEP_1)
	v_and_b32_e32 v2, s43, v2
	v_and_b32_e32 v3, 1, v2
	v_lshlrev_b32_e32 v4, 30, v2
	v_lshlrev_b32_e32 v5, 29, v2
	;; [unrolled: 1-line block ×4, first 2 shown]
	v_add_co_u32 v3, s16, v3, -1
	s_delay_alu instid0(VALU_DEP_1)
	v_cndmask_b32_e64 v7, 0, 1, s16
	v_not_b32_e32 v195, v4
	v_cmp_gt_i32_e64 s16, 0, v4
	v_not_b32_e32 v4, v5
	v_lshlrev_b32_e32 v46, 26, v2
	v_cmp_ne_u32_e32 vcc_lo, 0, v7
	v_ashrrev_i32_e32 v195, 31, v195
	v_lshlrev_b32_e32 v194, 25, v2
	v_ashrrev_i32_e32 v4, 31, v4
	v_lshlrev_b32_e32 v7, 24, v2
	v_xor_b32_e32 v3, vcc_lo, v3
	v_cmp_gt_i32_e32 vcc_lo, 0, v5
	v_not_b32_e32 v5, v6
	v_xor_b32_e32 v195, s16, v195
	v_cmp_gt_i32_e64 s16, 0, v6
	v_and_b32_e32 v3, exec_lo, v3
	v_not_b32_e32 v6, v45
	v_ashrrev_i32_e32 v5, 31, v5
	v_xor_b32_e32 v4, vcc_lo, v4
	v_cmp_gt_i32_e32 vcc_lo, 0, v45
	v_and_b32_e32 v3, v3, v195
	v_not_b32_e32 v45, v46
	v_ashrrev_i32_e32 v6, 31, v6
	v_xor_b32_e32 v5, s16, v5
	v_cmp_gt_i32_e64 s16, 0, v46
	v_and_b32_e32 v3, v3, v4
	v_not_b32_e32 v4, v194
	v_ashrrev_i32_e32 v45, 31, v45
	v_xor_b32_e32 v6, vcc_lo, v6
	v_cmp_gt_i32_e32 vcc_lo, 0, v194
	v_and_b32_e32 v3, v3, v5
	v_not_b32_e32 v5, v7
	v_ashrrev_i32_e32 v4, 31, v4
	v_xor_b32_e32 v45, s16, v45
	v_mul_u32_u24_e32 v2, 9, v2
	v_and_b32_e32 v3, v3, v6
	v_cmp_gt_i32_e64 s16, 0, v7
	v_ashrrev_i32_e32 v5, 31, v5
	v_xor_b32_e32 v4, vcc_lo, v4
	v_add_lshl_u32 v6, v2, v122, 2
	v_and_b32_e32 v3, v3, v45
	s_delay_alu instid0(VALU_DEP_4) | instskip(SKIP_3) | instid1(VALU_DEP_2)
	v_xor_b32_e32 v2, s16, v5
	ds_load_b32 v195, v6 offset:1056
	v_and_b32_e32 v3, v3, v4
	v_add_nc_u32_e32 v197, 0x420, v6
	; wave barrier
	v_and_b32_e32 v2, v3, v2
	s_delay_alu instid0(VALU_DEP_1) | instskip(SKIP_1) | instid1(VALU_DEP_2)
	v_mbcnt_lo_u32_b32 v196, v2, 0
	v_cmp_ne_u32_e64 s16, 0, v2
	v_cmp_eq_u32_e32 vcc_lo, 0, v196
	s_delay_alu instid0(VALU_DEP_2) | instskip(NEXT) | instid1(SALU_CYCLE_1)
	s_and_b32 s17, s16, vcc_lo
	s_and_saveexec_b32 s16, s17
	s_cbranch_execz .LBB1022_740
; %bb.739:                              ;   in Loop: Header=BB1022_688 Depth=2
	s_waitcnt lgkmcnt(0)
	v_bcnt_u32_b32 v2, v2, v195
	ds_store_b32 v197, v2
.LBB1022_740:                           ;   in Loop: Header=BB1022_688 Depth=2
	s_or_b32 exec_lo, exec_lo, s16
	v_lshrrev_b32_e32 v194, 16, v9
	; wave barrier
	s_delay_alu instid0(VALU_DEP_1) | instskip(NEXT) | instid1(VALU_DEP_1)
	v_lshrrev_b32_e32 v2, s57, v194
	v_and_b32_e32 v2, s43, v2
	s_delay_alu instid0(VALU_DEP_1)
	v_and_b32_e32 v3, 1, v2
	v_lshlrev_b32_e32 v4, 30, v2
	v_lshlrev_b32_e32 v5, 29, v2
	;; [unrolled: 1-line block ×4, first 2 shown]
	v_add_co_u32 v3, s16, v3, -1
	s_delay_alu instid0(VALU_DEP_1)
	v_cndmask_b32_e64 v7, 0, 1, s16
	v_not_b32_e32 v199, v4
	v_cmp_gt_i32_e64 s16, 0, v4
	v_not_b32_e32 v4, v5
	v_lshlrev_b32_e32 v46, 26, v2
	v_cmp_ne_u32_e32 vcc_lo, 0, v7
	v_ashrrev_i32_e32 v199, 31, v199
	v_lshlrev_b32_e32 v198, 25, v2
	v_ashrrev_i32_e32 v4, 31, v4
	v_lshlrev_b32_e32 v7, 24, v2
	v_xor_b32_e32 v3, vcc_lo, v3
	v_cmp_gt_i32_e32 vcc_lo, 0, v5
	v_not_b32_e32 v5, v6
	v_xor_b32_e32 v199, s16, v199
	v_cmp_gt_i32_e64 s16, 0, v6
	v_and_b32_e32 v3, exec_lo, v3
	v_not_b32_e32 v6, v45
	v_ashrrev_i32_e32 v5, 31, v5
	v_xor_b32_e32 v4, vcc_lo, v4
	v_cmp_gt_i32_e32 vcc_lo, 0, v45
	v_and_b32_e32 v3, v3, v199
	v_not_b32_e32 v45, v46
	v_ashrrev_i32_e32 v6, 31, v6
	v_xor_b32_e32 v5, s16, v5
	v_cmp_gt_i32_e64 s16, 0, v46
	v_and_b32_e32 v3, v3, v4
	v_not_b32_e32 v4, v198
	v_ashrrev_i32_e32 v45, 31, v45
	v_xor_b32_e32 v6, vcc_lo, v6
	v_cmp_gt_i32_e32 vcc_lo, 0, v198
	v_and_b32_e32 v3, v3, v5
	v_not_b32_e32 v5, v7
	v_ashrrev_i32_e32 v4, 31, v4
	v_xor_b32_e32 v45, s16, v45
	v_mul_u32_u24_e32 v2, 9, v2
	v_and_b32_e32 v3, v3, v6
	v_cmp_gt_i32_e64 s16, 0, v7
	v_ashrrev_i32_e32 v5, 31, v5
	v_xor_b32_e32 v4, vcc_lo, v4
	v_add_lshl_u32 v6, v2, v122, 2
	v_and_b32_e32 v3, v3, v45
	s_delay_alu instid0(VALU_DEP_4) | instskip(SKIP_3) | instid1(VALU_DEP_2)
	v_xor_b32_e32 v2, s16, v5
	ds_load_b32 v198, v6 offset:1056
	v_and_b32_e32 v3, v3, v4
	v_add_nc_u32_e32 v200, 0x420, v6
	; wave barrier
	v_and_b32_e32 v2, v3, v2
	s_delay_alu instid0(VALU_DEP_1) | instskip(SKIP_1) | instid1(VALU_DEP_2)
	v_mbcnt_lo_u32_b32 v199, v2, 0
	v_cmp_ne_u32_e64 s16, 0, v2
	v_cmp_eq_u32_e32 vcc_lo, 0, v199
	s_delay_alu instid0(VALU_DEP_2) | instskip(NEXT) | instid1(SALU_CYCLE_1)
	s_and_b32 s17, s16, vcc_lo
	s_and_saveexec_b32 s16, s17
	s_cbranch_execz .LBB1022_742
; %bb.741:                              ;   in Loop: Header=BB1022_688 Depth=2
	s_waitcnt lgkmcnt(0)
	v_bcnt_u32_b32 v2, v2, v198
	ds_store_b32 v200, v2
.LBB1022_742:                           ;   in Loop: Header=BB1022_688 Depth=2
	s_or_b32 exec_lo, exec_lo, s16
	; wave barrier
	s_waitcnt lgkmcnt(0)
	s_barrier
	buffer_gl0_inv
	ds_load_b32 v201, v73 offset:1056
	ds_load_2addr_b32 v[45:46], v75 offset0:1 offset1:2
	ds_load_2addr_b32 v[6:7], v75 offset0:3 offset1:4
	;; [unrolled: 1-line block ×4, first 2 shown]
	s_waitcnt lgkmcnt(3)
	v_add3_u32 v202, v45, v201, v46
	s_waitcnt lgkmcnt(2)
	s_delay_alu instid0(VALU_DEP_1) | instskip(SKIP_1) | instid1(VALU_DEP_1)
	v_add3_u32 v202, v202, v6, v7
	s_waitcnt lgkmcnt(1)
	v_add3_u32 v202, v202, v2, v3
	s_waitcnt lgkmcnt(0)
	s_delay_alu instid0(VALU_DEP_1) | instskip(NEXT) | instid1(VALU_DEP_1)
	v_add3_u32 v5, v202, v4, v5
	v_mov_b32_dpp v202, v5 row_shr:1 row_mask:0xf bank_mask:0xf
	s_delay_alu instid0(VALU_DEP_1) | instskip(NEXT) | instid1(VALU_DEP_1)
	v_cndmask_b32_e64 v202, v202, 0, s1
	v_add_nc_u32_e32 v5, v202, v5
	s_delay_alu instid0(VALU_DEP_1) | instskip(NEXT) | instid1(VALU_DEP_1)
	v_mov_b32_dpp v202, v5 row_shr:2 row_mask:0xf bank_mask:0xf
	v_cndmask_b32_e64 v202, 0, v202, s7
	s_delay_alu instid0(VALU_DEP_1) | instskip(NEXT) | instid1(VALU_DEP_1)
	v_add_nc_u32_e32 v5, v5, v202
	v_mov_b32_dpp v202, v5 row_shr:4 row_mask:0xf bank_mask:0xf
	s_delay_alu instid0(VALU_DEP_1) | instskip(NEXT) | instid1(VALU_DEP_1)
	v_cndmask_b32_e64 v202, 0, v202, s8
	v_add_nc_u32_e32 v5, v5, v202
	s_delay_alu instid0(VALU_DEP_1) | instskip(NEXT) | instid1(VALU_DEP_1)
	v_mov_b32_dpp v202, v5 row_shr:8 row_mask:0xf bank_mask:0xf
	v_cndmask_b32_e64 v202, 0, v202, s9
	s_delay_alu instid0(VALU_DEP_1) | instskip(SKIP_3) | instid1(VALU_DEP_1)
	v_add_nc_u32_e32 v5, v5, v202
	ds_swizzle_b32 v202, v5 offset:swizzle(BROADCAST,32,15)
	s_waitcnt lgkmcnt(0)
	v_cndmask_b32_e64 v202, v202, 0, s10
	v_add_nc_u32_e32 v5, v5, v202
	s_and_saveexec_b32 s16, s3
	s_cbranch_execz .LBB1022_744
; %bb.743:                              ;   in Loop: Header=BB1022_688 Depth=2
	ds_store_b32 v65, v5 offset:1024
.LBB1022_744:                           ;   in Loop: Header=BB1022_688 Depth=2
	s_or_b32 exec_lo, exec_lo, s16
	s_waitcnt lgkmcnt(0)
	s_barrier
	buffer_gl0_inv
	s_and_saveexec_b32 s16, s4
	s_cbranch_execz .LBB1022_746
; %bb.745:                              ;   in Loop: Header=BB1022_688 Depth=2
	ds_load_b32 v202, v76 offset:1024
	s_waitcnt lgkmcnt(0)
	v_mov_b32_dpp v203, v202 row_shr:1 row_mask:0xf bank_mask:0xf
	s_delay_alu instid0(VALU_DEP_1) | instskip(NEXT) | instid1(VALU_DEP_1)
	v_cndmask_b32_e64 v203, v203, 0, s12
	v_add_nc_u32_e32 v202, v203, v202
	s_delay_alu instid0(VALU_DEP_1) | instskip(NEXT) | instid1(VALU_DEP_1)
	v_mov_b32_dpp v203, v202 row_shr:2 row_mask:0xf bank_mask:0xf
	v_cndmask_b32_e64 v203, 0, v203, s13
	s_delay_alu instid0(VALU_DEP_1) | instskip(NEXT) | instid1(VALU_DEP_1)
	v_add_nc_u32_e32 v202, v202, v203
	v_mov_b32_dpp v203, v202 row_shr:4 row_mask:0xf bank_mask:0xf
	s_delay_alu instid0(VALU_DEP_1) | instskip(NEXT) | instid1(VALU_DEP_1)
	v_cndmask_b32_e64 v203, 0, v203, s14
	v_add_nc_u32_e32 v202, v202, v203
	ds_store_b32 v76, v202 offset:1024
.LBB1022_746:                           ;   in Loop: Header=BB1022_688 Depth=2
	s_or_b32 exec_lo, exec_lo, s16
	v_mov_b32_e32 v202, 0
	s_waitcnt lgkmcnt(0)
	s_barrier
	buffer_gl0_inv
	s_and_saveexec_b32 s16, s5
	s_cbranch_execz .LBB1022_748
; %bb.747:                              ;   in Loop: Header=BB1022_688 Depth=2
	ds_load_b32 v202, v65 offset:1020
.LBB1022_748:                           ;   in Loop: Header=BB1022_688 Depth=2
	s_or_b32 exec_lo, exec_lo, s16
	s_waitcnt lgkmcnt(0)
	v_add_nc_u32_e32 v5, v202, v5
	ds_bpermute_b32 v5, v101, v5
	s_waitcnt lgkmcnt(0)
	v_cndmask_b32_e64 v5, v5, v202, s11
	s_delay_alu instid0(VALU_DEP_1) | instskip(NEXT) | instid1(VALU_DEP_1)
	v_cndmask_b32_e64 v5, v5, 0, s0
	v_add_nc_u32_e32 v201, v5, v201
	s_delay_alu instid0(VALU_DEP_1) | instskip(NEXT) | instid1(VALU_DEP_1)
	v_add_nc_u32_e32 v45, v201, v45
	v_add_nc_u32_e32 v46, v45, v46
	s_delay_alu instid0(VALU_DEP_1) | instskip(NEXT) | instid1(VALU_DEP_1)
	v_add_nc_u32_e32 v6, v46, v6
	;; [unrolled: 3-line block ×3, first 2 shown]
	v_add_nc_u32_e32 v3, v2, v3
	s_delay_alu instid0(VALU_DEP_1)
	v_add_nc_u32_e32 v4, v3, v4
	ds_store_b32 v73, v5 offset:1056
	ds_store_2addr_b32 v75, v201, v45 offset0:1 offset1:2
	ds_store_2addr_b32 v75, v46, v6 offset0:3 offset1:4
	;; [unrolled: 1-line block ×4, first 2 shown]
	v_mov_b32_e32 v4, 0x1000
	s_waitcnt lgkmcnt(0)
	s_barrier
	buffer_gl0_inv
	ds_load_b32 v5, v147
	ds_load_b32 v6, v151
	;; [unrolled: 1-line block ×16, first 2 shown]
	ds_load_b32 v151, v73 offset:1056
	s_and_saveexec_b32 s16, s6
	s_cbranch_execz .LBB1022_750
; %bb.749:                              ;   in Loop: Header=BB1022_688 Depth=2
	ds_load_b32 v4, v77 offset:1056
.LBB1022_750:                           ;   in Loop: Header=BB1022_688 Depth=2
	s_or_b32 exec_lo, exec_lo, s16
	s_waitcnt lgkmcnt(0)
	s_barrier
	buffer_gl0_inv
	s_and_saveexec_b32 s16, s2
	s_cbranch_execz .LBB1022_752
; %bb.751:                              ;   in Loop: Header=BB1022_688 Depth=2
	ds_load_b32 v155, v47
	s_waitcnt lgkmcnt(0)
	v_sub_nc_u32_e32 v151, v155, v151
	ds_store_b32 v47, v151
.LBB1022_752:                           ;   in Loop: Header=BB1022_688 Depth=2
	s_or_b32 exec_lo, exec_lo, s16
	v_add_nc_u32_e32 v159, v143, v141
	v_add3_u32 v155, v146, v145, v5
	v_add3_u32 v151, v150, v149, v6
	;; [unrolled: 1-line block ×4, first 2 shown]
	v_lshlrev_b32_e32 v153, 1, v159
	v_add3_u32 v45, v192, v191, v2
	v_lshlrev_b32_e32 v2, 1, v155
	v_add3_u32 v149, v158, v157, v46
	v_add3_u32 v146, v166, v165, v163
	;; [unrolled: 1-line block ×5, first 2 shown]
	ds_store_b16 v153, v19 offset:1024
	v_lshlrev_b32_e32 v3, 1, v151
	ds_store_b16 v2, v142 offset:1024
	v_lshlrev_b32_e32 v2, 1, v147
	v_add3_u32 v143, v174, v173, v171
	v_lshlrev_b32_e32 v19, 1, v150
	v_add3_u32 v141, v178, v177, v175
	;; [unrolled: 2-line block ×3, first 2 shown]
	v_add3_u32 v6, v186, v185, v183
	ds_store_b16 v3, v144 offset:1024
	ds_store_b16 v19, v148 offset:1024
	ds_store_b16 v153, v152 offset:1024
	v_lshlrev_b32_e32 v3, 1, v146
	ds_store_b16 v2, v156 offset:1024
	v_lshlrev_b32_e32 v2, 1, v145
	v_lshlrev_b32_e32 v19, 1, v143
	;; [unrolled: 1-line block ×3, first 2 shown]
	v_add3_u32 v7, v199, v198, v7
	ds_store_b16 v3, v160 offset:1024
	v_lshlrev_b32_e32 v3, 1, v46
	ds_store_b16 v2, v164 offset:1024
	ds_store_b16 v19, v168 offset:1024
	;; [unrolled: 1-line block ×3, first 2 shown]
	v_lshlrev_b32_e32 v2, 1, v6
	v_cmp_lt_u32_e32 vcc_lo, v18, v0
	v_lshlrev_b32_e32 v19, 1, v45
	ds_store_b16 v3, v176 offset:1024
	v_lshlrev_b32_e32 v3, 1, v5
	ds_store_b16 v2, v180 offset:1024
	v_lshlrev_b32_e32 v2, 1, v7
	v_lshlrev_b32_e32 v142, 1, v8
	ds_store_b16 v3, v184 offset:1024
	ds_store_b16 v19, v188 offset:1024
	;; [unrolled: 1-line block ×4, first 2 shown]
	s_waitcnt lgkmcnt(0)
	s_barrier
	buffer_gl0_inv
	s_and_saveexec_b32 s17, vcc_lo
	s_cbranch_execz .LBB1022_768
; %bb.753:                              ;   in Loop: Header=BB1022_688 Depth=2
	v_add_nc_u32_e32 v2, v76, v82
	ds_load_u16 v142, v2 offset:1024
	s_waitcnt lgkmcnt(0)
	v_and_b32_e32 v2, 0xffff, v142
	s_delay_alu instid0(VALU_DEP_1) | instskip(NEXT) | instid1(VALU_DEP_1)
	v_lshrrev_b32_e32 v2, s57, v2
	v_and_b32_e32 v2, s43, v2
	s_delay_alu instid0(VALU_DEP_1) | instskip(SKIP_3) | instid1(VALU_DEP_1)
	v_lshlrev_b32_e32 v2, 2, v2
	ds_load_b32 v2, v2
	s_waitcnt lgkmcnt(0)
	v_add_nc_u32_e32 v19, v2, v18
	v_lshlrev_b64 v[2:3], 1, v[19:20]
	v_xor_b32_e32 v19, 0xffff8000, v142
	s_delay_alu instid0(VALU_DEP_2) | instskip(NEXT) | instid1(VALU_DEP_1)
	v_add_co_u32 v2, s16, s38, v2
	v_add_co_ci_u32_e64 v3, s16, s39, v3, s16
	global_store_b16 v[2:3], v19, off
	s_or_b32 exec_lo, exec_lo, s17
	v_cmp_lt_u32_e64 s16, v48, v0
	s_delay_alu instid0(VALU_DEP_1)
	s_and_saveexec_b32 s18, s16
	s_cbranch_execnz .LBB1022_769
.LBB1022_754:                           ;   in Loop: Header=BB1022_688 Depth=2
	s_or_b32 exec_lo, exec_lo, s18
	v_cmp_lt_u32_e64 s17, v49, v0
	s_delay_alu instid0(VALU_DEP_1)
	s_and_saveexec_b32 s19, s17
	s_cbranch_execz .LBB1022_770
.LBB1022_755:                           ;   in Loop: Header=BB1022_688 Depth=2
	ds_load_u16 v142, v83 offset:1024
	s_waitcnt lgkmcnt(0)
	v_and_b32_e32 v2, 0xffff, v142
	s_delay_alu instid0(VALU_DEP_1) | instskip(NEXT) | instid1(VALU_DEP_1)
	v_lshrrev_b32_e32 v2, s57, v2
	v_and_b32_e32 v2, s43, v2
	s_delay_alu instid0(VALU_DEP_1) | instskip(SKIP_3) | instid1(VALU_DEP_1)
	v_lshlrev_b32_e32 v2, 2, v2
	ds_load_b32 v2, v2
	s_waitcnt lgkmcnt(0)
	v_add_nc_u32_e32 v19, v2, v49
	v_lshlrev_b64 v[2:3], 1, v[19:20]
	v_xor_b32_e32 v19, 0xffff8000, v142
	s_delay_alu instid0(VALU_DEP_2) | instskip(NEXT) | instid1(VALU_DEP_1)
	v_add_co_u32 v2, s18, s38, v2
	v_add_co_ci_u32_e64 v3, s18, s39, v3, s18
	global_store_b16 v[2:3], v19, off
	s_or_b32 exec_lo, exec_lo, s19
	v_cmp_lt_u32_e64 s18, v50, v0
	s_delay_alu instid0(VALU_DEP_1)
	s_and_saveexec_b32 s20, s18
	s_cbranch_execnz .LBB1022_771
.LBB1022_756:                           ;   in Loop: Header=BB1022_688 Depth=2
	s_or_b32 exec_lo, exec_lo, s20
	v_cmp_lt_u32_e64 s19, v54, v0
	s_delay_alu instid0(VALU_DEP_1)
	s_and_saveexec_b32 s21, s19
	s_cbranch_execz .LBB1022_772
.LBB1022_757:                           ;   in Loop: Header=BB1022_688 Depth=2
	ds_load_u16 v142, v83 offset:2048
	s_waitcnt lgkmcnt(0)
	v_and_b32_e32 v2, 0xffff, v142
	s_delay_alu instid0(VALU_DEP_1) | instskip(NEXT) | instid1(VALU_DEP_1)
	v_lshrrev_b32_e32 v2, s57, v2
	v_and_b32_e32 v2, s43, v2
	s_delay_alu instid0(VALU_DEP_1) | instskip(SKIP_3) | instid1(VALU_DEP_1)
	v_lshlrev_b32_e32 v2, 2, v2
	ds_load_b32 v2, v2
	s_waitcnt lgkmcnt(0)
	v_add_nc_u32_e32 v19, v2, v54
	v_lshlrev_b64 v[2:3], 1, v[19:20]
	v_xor_b32_e32 v19, 0xffff8000, v142
	s_delay_alu instid0(VALU_DEP_2) | instskip(NEXT) | instid1(VALU_DEP_1)
	v_add_co_u32 v2, s20, s38, v2
	v_add_co_ci_u32_e64 v3, s20, s39, v3, s20
	global_store_b16 v[2:3], v19, off
	s_or_b32 exec_lo, exec_lo, s21
	v_cmp_lt_u32_e64 s20, v55, v0
	s_delay_alu instid0(VALU_DEP_1)
	s_and_saveexec_b32 s22, s20
	s_cbranch_execnz .LBB1022_773
.LBB1022_758:                           ;   in Loop: Header=BB1022_688 Depth=2
	s_or_b32 exec_lo, exec_lo, s22
	v_cmp_lt_u32_e64 s21, v56, v0
	s_delay_alu instid0(VALU_DEP_1)
	s_and_saveexec_b32 s23, s21
	s_cbranch_execz .LBB1022_774
.LBB1022_759:                           ;   in Loop: Header=BB1022_688 Depth=2
	ds_load_u16 v142, v83 offset:3072
	s_waitcnt lgkmcnt(0)
	v_and_b32_e32 v2, 0xffff, v142
	s_delay_alu instid0(VALU_DEP_1) | instskip(NEXT) | instid1(VALU_DEP_1)
	v_lshrrev_b32_e32 v2, s57, v2
	v_and_b32_e32 v2, s43, v2
	s_delay_alu instid0(VALU_DEP_1) | instskip(SKIP_3) | instid1(VALU_DEP_1)
	v_lshlrev_b32_e32 v2, 2, v2
	ds_load_b32 v2, v2
	s_waitcnt lgkmcnt(0)
	v_add_nc_u32_e32 v19, v2, v56
	v_lshlrev_b64 v[2:3], 1, v[19:20]
	v_xor_b32_e32 v19, 0xffff8000, v142
	s_delay_alu instid0(VALU_DEP_2) | instskip(NEXT) | instid1(VALU_DEP_1)
	v_add_co_u32 v2, s22, s38, v2
	v_add_co_ci_u32_e64 v3, s22, s39, v3, s22
	global_store_b16 v[2:3], v19, off
	s_or_b32 exec_lo, exec_lo, s23
	v_cmp_lt_u32_e64 s22, v57, v0
	s_delay_alu instid0(VALU_DEP_1)
	s_and_saveexec_b32 s24, s22
	s_cbranch_execnz .LBB1022_775
.LBB1022_760:                           ;   in Loop: Header=BB1022_688 Depth=2
	s_or_b32 exec_lo, exec_lo, s24
	v_cmp_lt_u32_e64 s23, v58, v0
	s_delay_alu instid0(VALU_DEP_1)
	s_and_saveexec_b32 s25, s23
	s_cbranch_execz .LBB1022_776
.LBB1022_761:                           ;   in Loop: Header=BB1022_688 Depth=2
	ds_load_u16 v142, v83 offset:4096
	s_waitcnt lgkmcnt(0)
	v_and_b32_e32 v2, 0xffff, v142
	s_delay_alu instid0(VALU_DEP_1) | instskip(NEXT) | instid1(VALU_DEP_1)
	v_lshrrev_b32_e32 v2, s57, v2
	v_and_b32_e32 v2, s43, v2
	s_delay_alu instid0(VALU_DEP_1) | instskip(SKIP_3) | instid1(VALU_DEP_1)
	v_lshlrev_b32_e32 v2, 2, v2
	ds_load_b32 v2, v2
	s_waitcnt lgkmcnt(0)
	v_add_nc_u32_e32 v19, v2, v58
	v_lshlrev_b64 v[2:3], 1, v[19:20]
	v_xor_b32_e32 v19, 0xffff8000, v142
	s_delay_alu instid0(VALU_DEP_2) | instskip(NEXT) | instid1(VALU_DEP_1)
	v_add_co_u32 v2, s24, s38, v2
	v_add_co_ci_u32_e64 v3, s24, s39, v3, s24
	global_store_b16 v[2:3], v19, off
	s_or_b32 exec_lo, exec_lo, s25
	v_cmp_lt_u32_e64 s24, v59, v0
	s_delay_alu instid0(VALU_DEP_1)
	s_and_saveexec_b32 s27, s24
	s_cbranch_execnz .LBB1022_777
.LBB1022_762:                           ;   in Loop: Header=BB1022_688 Depth=2
	s_or_b32 exec_lo, exec_lo, s27
	v_cmp_lt_u32_e64 s25, v60, v0
	s_delay_alu instid0(VALU_DEP_1)
	s_and_saveexec_b32 s28, s25
	s_cbranch_execz .LBB1022_778
.LBB1022_763:                           ;   in Loop: Header=BB1022_688 Depth=2
	ds_load_u16 v142, v83 offset:5120
	s_waitcnt lgkmcnt(0)
	v_and_b32_e32 v2, 0xffff, v142
	s_delay_alu instid0(VALU_DEP_1) | instskip(NEXT) | instid1(VALU_DEP_1)
	v_lshrrev_b32_e32 v2, s57, v2
	v_and_b32_e32 v2, s43, v2
	s_delay_alu instid0(VALU_DEP_1) | instskip(SKIP_3) | instid1(VALU_DEP_1)
	v_lshlrev_b32_e32 v2, 2, v2
	ds_load_b32 v2, v2
	s_waitcnt lgkmcnt(0)
	v_add_nc_u32_e32 v19, v2, v60
	v_lshlrev_b64 v[2:3], 1, v[19:20]
	v_xor_b32_e32 v19, 0xffff8000, v142
	s_delay_alu instid0(VALU_DEP_2) | instskip(NEXT) | instid1(VALU_DEP_1)
	v_add_co_u32 v2, s27, s38, v2
	v_add_co_ci_u32_e64 v3, s27, s39, v3, s27
	global_store_b16 v[2:3], v19, off
	s_or_b32 exec_lo, exec_lo, s28
	v_cmp_lt_u32_e64 s27, v61, v0
	s_delay_alu instid0(VALU_DEP_1)
	s_and_saveexec_b32 s29, s27
	s_cbranch_execnz .LBB1022_779
.LBB1022_764:                           ;   in Loop: Header=BB1022_688 Depth=2
	s_or_b32 exec_lo, exec_lo, s29
	v_cmp_lt_u32_e64 s28, v62, v0
	s_delay_alu instid0(VALU_DEP_1)
	s_and_saveexec_b32 s30, s28
	s_cbranch_execz .LBB1022_780
.LBB1022_765:                           ;   in Loop: Header=BB1022_688 Depth=2
	ds_load_u16 v142, v83 offset:6144
	s_waitcnt lgkmcnt(0)
	v_and_b32_e32 v2, 0xffff, v142
	s_delay_alu instid0(VALU_DEP_1) | instskip(NEXT) | instid1(VALU_DEP_1)
	v_lshrrev_b32_e32 v2, s57, v2
	v_and_b32_e32 v2, s43, v2
	s_delay_alu instid0(VALU_DEP_1) | instskip(SKIP_3) | instid1(VALU_DEP_1)
	v_lshlrev_b32_e32 v2, 2, v2
	ds_load_b32 v2, v2
	s_waitcnt lgkmcnt(0)
	v_add_nc_u32_e32 v19, v2, v62
	v_lshlrev_b64 v[2:3], 1, v[19:20]
	v_xor_b32_e32 v19, 0xffff8000, v142
	s_delay_alu instid0(VALU_DEP_2) | instskip(NEXT) | instid1(VALU_DEP_1)
	v_add_co_u32 v2, s29, s38, v2
	v_add_co_ci_u32_e64 v3, s29, s39, v3, s29
	global_store_b16 v[2:3], v19, off
	s_or_b32 exec_lo, exec_lo, s30
	v_cmp_lt_u32_e64 s29, v63, v0
	s_delay_alu instid0(VALU_DEP_1)
	s_and_saveexec_b32 s31, s29
	s_cbranch_execnz .LBB1022_781
.LBB1022_766:                           ;   in Loop: Header=BB1022_688 Depth=2
	s_or_b32 exec_lo, exec_lo, s31
	v_cmp_lt_u32_e64 s30, v64, v0
	s_delay_alu instid0(VALU_DEP_1)
	s_and_saveexec_b32 s33, s30
	s_cbranch_execz .LBB1022_782
.LBB1022_767:                           ;   in Loop: Header=BB1022_688 Depth=2
	ds_load_u16 v142, v83 offset:7168
	s_waitcnt lgkmcnt(0)
	v_and_b32_e32 v2, 0xffff, v142
	s_delay_alu instid0(VALU_DEP_1) | instskip(NEXT) | instid1(VALU_DEP_1)
	v_lshrrev_b32_e32 v2, s57, v2
	v_and_b32_e32 v2, s43, v2
	s_delay_alu instid0(VALU_DEP_1) | instskip(SKIP_3) | instid1(VALU_DEP_1)
	v_lshlrev_b32_e32 v2, 2, v2
	ds_load_b32 v2, v2
	s_waitcnt lgkmcnt(0)
	v_add_nc_u32_e32 v19, v2, v64
	v_lshlrev_b64 v[2:3], 1, v[19:20]
	v_xor_b32_e32 v19, 0xffff8000, v142
	s_delay_alu instid0(VALU_DEP_2) | instskip(NEXT) | instid1(VALU_DEP_1)
	v_add_co_u32 v2, s31, s38, v2
	v_add_co_ci_u32_e64 v3, s31, s39, v3, s31
	global_store_b16 v[2:3], v19, off
	s_or_b32 exec_lo, exec_lo, s33
	v_cmp_lt_u32_e64 s31, v66, v0
	s_delay_alu instid0(VALU_DEP_1)
	s_and_saveexec_b32 s45, s31
	s_cbranch_execnz .LBB1022_783
	s_branch .LBB1022_784
.LBB1022_768:                           ;   in Loop: Header=BB1022_688 Depth=2
	s_or_b32 exec_lo, exec_lo, s17
	v_cmp_lt_u32_e64 s16, v48, v0
	s_delay_alu instid0(VALU_DEP_1)
	s_and_saveexec_b32 s18, s16
	s_cbranch_execz .LBB1022_754
.LBB1022_769:                           ;   in Loop: Header=BB1022_688 Depth=2
	ds_load_u16 v142, v83 offset:512
	s_waitcnt lgkmcnt(0)
	v_and_b32_e32 v2, 0xffff, v142
	s_delay_alu instid0(VALU_DEP_1) | instskip(NEXT) | instid1(VALU_DEP_1)
	v_lshrrev_b32_e32 v2, s57, v2
	v_and_b32_e32 v2, s43, v2
	s_delay_alu instid0(VALU_DEP_1) | instskip(SKIP_3) | instid1(VALU_DEP_1)
	v_lshlrev_b32_e32 v2, 2, v2
	ds_load_b32 v2, v2
	s_waitcnt lgkmcnt(0)
	v_add_nc_u32_e32 v19, v2, v48
	v_lshlrev_b64 v[2:3], 1, v[19:20]
	v_xor_b32_e32 v19, 0xffff8000, v142
	s_delay_alu instid0(VALU_DEP_2) | instskip(NEXT) | instid1(VALU_DEP_1)
	v_add_co_u32 v2, s17, s38, v2
	v_add_co_ci_u32_e64 v3, s17, s39, v3, s17
	global_store_b16 v[2:3], v19, off
	s_or_b32 exec_lo, exec_lo, s18
	v_cmp_lt_u32_e64 s17, v49, v0
	s_delay_alu instid0(VALU_DEP_1)
	s_and_saveexec_b32 s19, s17
	s_cbranch_execnz .LBB1022_755
.LBB1022_770:                           ;   in Loop: Header=BB1022_688 Depth=2
	s_or_b32 exec_lo, exec_lo, s19
	v_cmp_lt_u32_e64 s18, v50, v0
	s_delay_alu instid0(VALU_DEP_1)
	s_and_saveexec_b32 s20, s18
	s_cbranch_execz .LBB1022_756
.LBB1022_771:                           ;   in Loop: Header=BB1022_688 Depth=2
	ds_load_u16 v142, v83 offset:1536
	s_waitcnt lgkmcnt(0)
	v_and_b32_e32 v2, 0xffff, v142
	s_delay_alu instid0(VALU_DEP_1) | instskip(NEXT) | instid1(VALU_DEP_1)
	v_lshrrev_b32_e32 v2, s57, v2
	v_and_b32_e32 v2, s43, v2
	s_delay_alu instid0(VALU_DEP_1) | instskip(SKIP_3) | instid1(VALU_DEP_1)
	v_lshlrev_b32_e32 v2, 2, v2
	ds_load_b32 v2, v2
	s_waitcnt lgkmcnt(0)
	v_add_nc_u32_e32 v19, v2, v50
	v_lshlrev_b64 v[2:3], 1, v[19:20]
	v_xor_b32_e32 v19, 0xffff8000, v142
	s_delay_alu instid0(VALU_DEP_2) | instskip(NEXT) | instid1(VALU_DEP_1)
	v_add_co_u32 v2, s19, s38, v2
	v_add_co_ci_u32_e64 v3, s19, s39, v3, s19
	global_store_b16 v[2:3], v19, off
	s_or_b32 exec_lo, exec_lo, s20
	v_cmp_lt_u32_e64 s19, v54, v0
	s_delay_alu instid0(VALU_DEP_1)
	s_and_saveexec_b32 s21, s19
	s_cbranch_execnz .LBB1022_757
.LBB1022_772:                           ;   in Loop: Header=BB1022_688 Depth=2
	s_or_b32 exec_lo, exec_lo, s21
	v_cmp_lt_u32_e64 s20, v55, v0
	s_delay_alu instid0(VALU_DEP_1)
	s_and_saveexec_b32 s22, s20
	s_cbranch_execz .LBB1022_758
.LBB1022_773:                           ;   in Loop: Header=BB1022_688 Depth=2
	ds_load_u16 v142, v83 offset:2560
	s_waitcnt lgkmcnt(0)
	v_and_b32_e32 v2, 0xffff, v142
	s_delay_alu instid0(VALU_DEP_1) | instskip(NEXT) | instid1(VALU_DEP_1)
	v_lshrrev_b32_e32 v2, s57, v2
	v_and_b32_e32 v2, s43, v2
	s_delay_alu instid0(VALU_DEP_1) | instskip(SKIP_3) | instid1(VALU_DEP_1)
	v_lshlrev_b32_e32 v2, 2, v2
	ds_load_b32 v2, v2
	s_waitcnt lgkmcnt(0)
	v_add_nc_u32_e32 v19, v2, v55
	v_lshlrev_b64 v[2:3], 1, v[19:20]
	v_xor_b32_e32 v19, 0xffff8000, v142
	s_delay_alu instid0(VALU_DEP_2) | instskip(NEXT) | instid1(VALU_DEP_1)
	v_add_co_u32 v2, s21, s38, v2
	v_add_co_ci_u32_e64 v3, s21, s39, v3, s21
	global_store_b16 v[2:3], v19, off
	s_or_b32 exec_lo, exec_lo, s22
	v_cmp_lt_u32_e64 s21, v56, v0
	s_delay_alu instid0(VALU_DEP_1)
	s_and_saveexec_b32 s23, s21
	s_cbranch_execnz .LBB1022_759
.LBB1022_774:                           ;   in Loop: Header=BB1022_688 Depth=2
	s_or_b32 exec_lo, exec_lo, s23
	v_cmp_lt_u32_e64 s22, v57, v0
	s_delay_alu instid0(VALU_DEP_1)
	s_and_saveexec_b32 s24, s22
	s_cbranch_execz .LBB1022_760
.LBB1022_775:                           ;   in Loop: Header=BB1022_688 Depth=2
	ds_load_u16 v142, v83 offset:3584
	s_waitcnt lgkmcnt(0)
	v_and_b32_e32 v2, 0xffff, v142
	s_delay_alu instid0(VALU_DEP_1) | instskip(NEXT) | instid1(VALU_DEP_1)
	v_lshrrev_b32_e32 v2, s57, v2
	v_and_b32_e32 v2, s43, v2
	s_delay_alu instid0(VALU_DEP_1) | instskip(SKIP_3) | instid1(VALU_DEP_1)
	v_lshlrev_b32_e32 v2, 2, v2
	ds_load_b32 v2, v2
	s_waitcnt lgkmcnt(0)
	v_add_nc_u32_e32 v19, v2, v57
	v_lshlrev_b64 v[2:3], 1, v[19:20]
	v_xor_b32_e32 v19, 0xffff8000, v142
	s_delay_alu instid0(VALU_DEP_2) | instskip(NEXT) | instid1(VALU_DEP_1)
	v_add_co_u32 v2, s23, s38, v2
	v_add_co_ci_u32_e64 v3, s23, s39, v3, s23
	global_store_b16 v[2:3], v19, off
	s_or_b32 exec_lo, exec_lo, s24
	v_cmp_lt_u32_e64 s23, v58, v0
	s_delay_alu instid0(VALU_DEP_1)
	s_and_saveexec_b32 s25, s23
	s_cbranch_execnz .LBB1022_761
.LBB1022_776:                           ;   in Loop: Header=BB1022_688 Depth=2
	s_or_b32 exec_lo, exec_lo, s25
	v_cmp_lt_u32_e64 s24, v59, v0
	s_delay_alu instid0(VALU_DEP_1)
	s_and_saveexec_b32 s27, s24
	s_cbranch_execz .LBB1022_762
.LBB1022_777:                           ;   in Loop: Header=BB1022_688 Depth=2
	ds_load_u16 v142, v83 offset:4608
	s_waitcnt lgkmcnt(0)
	v_and_b32_e32 v2, 0xffff, v142
	s_delay_alu instid0(VALU_DEP_1) | instskip(NEXT) | instid1(VALU_DEP_1)
	v_lshrrev_b32_e32 v2, s57, v2
	v_and_b32_e32 v2, s43, v2
	s_delay_alu instid0(VALU_DEP_1) | instskip(SKIP_3) | instid1(VALU_DEP_1)
	v_lshlrev_b32_e32 v2, 2, v2
	ds_load_b32 v2, v2
	s_waitcnt lgkmcnt(0)
	v_add_nc_u32_e32 v19, v2, v59
	v_lshlrev_b64 v[2:3], 1, v[19:20]
	v_xor_b32_e32 v19, 0xffff8000, v142
	s_delay_alu instid0(VALU_DEP_2) | instskip(NEXT) | instid1(VALU_DEP_1)
	v_add_co_u32 v2, s25, s38, v2
	v_add_co_ci_u32_e64 v3, s25, s39, v3, s25
	global_store_b16 v[2:3], v19, off
	s_or_b32 exec_lo, exec_lo, s27
	v_cmp_lt_u32_e64 s25, v60, v0
	s_delay_alu instid0(VALU_DEP_1)
	s_and_saveexec_b32 s28, s25
	s_cbranch_execnz .LBB1022_763
.LBB1022_778:                           ;   in Loop: Header=BB1022_688 Depth=2
	s_or_b32 exec_lo, exec_lo, s28
	v_cmp_lt_u32_e64 s27, v61, v0
	s_delay_alu instid0(VALU_DEP_1)
	s_and_saveexec_b32 s29, s27
	s_cbranch_execz .LBB1022_764
.LBB1022_779:                           ;   in Loop: Header=BB1022_688 Depth=2
	ds_load_u16 v142, v83 offset:5632
	s_waitcnt lgkmcnt(0)
	v_and_b32_e32 v2, 0xffff, v142
	s_delay_alu instid0(VALU_DEP_1) | instskip(NEXT) | instid1(VALU_DEP_1)
	v_lshrrev_b32_e32 v2, s57, v2
	v_and_b32_e32 v2, s43, v2
	s_delay_alu instid0(VALU_DEP_1) | instskip(SKIP_3) | instid1(VALU_DEP_1)
	v_lshlrev_b32_e32 v2, 2, v2
	ds_load_b32 v2, v2
	s_waitcnt lgkmcnt(0)
	v_add_nc_u32_e32 v19, v2, v61
	v_lshlrev_b64 v[2:3], 1, v[19:20]
	v_xor_b32_e32 v19, 0xffff8000, v142
	s_delay_alu instid0(VALU_DEP_2) | instskip(NEXT) | instid1(VALU_DEP_1)
	v_add_co_u32 v2, s28, s38, v2
	v_add_co_ci_u32_e64 v3, s28, s39, v3, s28
	global_store_b16 v[2:3], v19, off
	s_or_b32 exec_lo, exec_lo, s29
	v_cmp_lt_u32_e64 s28, v62, v0
	s_delay_alu instid0(VALU_DEP_1)
	s_and_saveexec_b32 s30, s28
	s_cbranch_execnz .LBB1022_765
.LBB1022_780:                           ;   in Loop: Header=BB1022_688 Depth=2
	s_or_b32 exec_lo, exec_lo, s30
	v_cmp_lt_u32_e64 s29, v63, v0
	s_delay_alu instid0(VALU_DEP_1)
	s_and_saveexec_b32 s31, s29
	s_cbranch_execz .LBB1022_766
.LBB1022_781:                           ;   in Loop: Header=BB1022_688 Depth=2
	ds_load_u16 v142, v83 offset:6656
	s_waitcnt lgkmcnt(0)
	v_and_b32_e32 v2, 0xffff, v142
	s_delay_alu instid0(VALU_DEP_1) | instskip(NEXT) | instid1(VALU_DEP_1)
	v_lshrrev_b32_e32 v2, s57, v2
	v_and_b32_e32 v2, s43, v2
	s_delay_alu instid0(VALU_DEP_1) | instskip(SKIP_3) | instid1(VALU_DEP_1)
	v_lshlrev_b32_e32 v2, 2, v2
	ds_load_b32 v2, v2
	s_waitcnt lgkmcnt(0)
	v_add_nc_u32_e32 v19, v2, v63
	v_lshlrev_b64 v[2:3], 1, v[19:20]
	v_xor_b32_e32 v19, 0xffff8000, v142
	s_delay_alu instid0(VALU_DEP_2) | instskip(NEXT) | instid1(VALU_DEP_1)
	v_add_co_u32 v2, s30, s38, v2
	v_add_co_ci_u32_e64 v3, s30, s39, v3, s30
	global_store_b16 v[2:3], v19, off
	s_or_b32 exec_lo, exec_lo, s31
	v_cmp_lt_u32_e64 s30, v64, v0
	s_delay_alu instid0(VALU_DEP_1)
	s_and_saveexec_b32 s33, s30
	s_cbranch_execnz .LBB1022_767
.LBB1022_782:                           ;   in Loop: Header=BB1022_688 Depth=2
	s_or_b32 exec_lo, exec_lo, s33
	v_cmp_lt_u32_e64 s31, v66, v0
	s_delay_alu instid0(VALU_DEP_1)
	s_and_saveexec_b32 s45, s31
	s_cbranch_execz .LBB1022_784
.LBB1022_783:                           ;   in Loop: Header=BB1022_688 Depth=2
	ds_load_u16 v142, v83 offset:7680
	s_waitcnt lgkmcnt(0)
	v_and_b32_e32 v2, 0xffff, v142
	s_delay_alu instid0(VALU_DEP_1) | instskip(NEXT) | instid1(VALU_DEP_1)
	v_lshrrev_b32_e32 v2, s57, v2
	v_and_b32_e32 v2, s43, v2
	s_delay_alu instid0(VALU_DEP_1) | instskip(SKIP_3) | instid1(VALU_DEP_1)
	v_lshlrev_b32_e32 v2, 2, v2
	ds_load_b32 v2, v2
	s_waitcnt lgkmcnt(0)
	v_add_nc_u32_e32 v19, v2, v66
	v_lshlrev_b64 v[2:3], 1, v[19:20]
	v_xor_b32_e32 v19, 0xffff8000, v142
	s_delay_alu instid0(VALU_DEP_2) | instskip(NEXT) | instid1(VALU_DEP_1)
	v_add_co_u32 v2, s33, s38, v2
	v_add_co_ci_u32_e64 v3, s33, s39, v3, s33
	global_store_b16 v[2:3], v19, off
.LBB1022_784:                           ;   in Loop: Header=BB1022_688 Depth=2
	s_or_b32 exec_lo, exec_lo, s45
	s_lshl_b64 s[46:47], s[34:35], 3
	s_delay_alu instid0(SALU_CYCLE_1) | instskip(NEXT) | instid1(VALU_DEP_1)
	v_add_co_u32 v2, s33, v103, s46
	v_add_co_ci_u32_e64 v3, s33, s47, v104, s33
	v_cmp_lt_u32_e64 s33, v102, v0
	s_delay_alu instid0(VALU_DEP_1) | instskip(NEXT) | instid1(SALU_CYCLE_1)
	s_and_saveexec_b32 s34, s33
	s_xor_b32 s33, exec_lo, s34
	s_cbranch_execz .LBB1022_816
; %bb.785:                              ;   in Loop: Header=BB1022_688 Depth=2
	global_load_b64 v[43:44], v[2:3], off
	s_or_b32 exec_lo, exec_lo, s33
	s_delay_alu instid0(SALU_CYCLE_1)
	s_mov_b32 s34, exec_lo
	v_cmpx_lt_u32_e64 v105, v0
	s_cbranch_execnz .LBB1022_817
.LBB1022_786:                           ;   in Loop: Header=BB1022_688 Depth=2
	s_or_b32 exec_lo, exec_lo, s34
	s_delay_alu instid0(SALU_CYCLE_1)
	s_mov_b32 s34, exec_lo
	v_cmpx_lt_u32_e64 v106, v0
	s_cbranch_execz .LBB1022_818
.LBB1022_787:                           ;   in Loop: Header=BB1022_688 Depth=2
	global_load_b64 v[39:40], v[2:3], off offset:512
	s_or_b32 exec_lo, exec_lo, s34
	s_delay_alu instid0(SALU_CYCLE_1)
	s_mov_b32 s34, exec_lo
	v_cmpx_lt_u32_e64 v107, v0
	s_cbranch_execnz .LBB1022_819
.LBB1022_788:                           ;   in Loop: Header=BB1022_688 Depth=2
	s_or_b32 exec_lo, exec_lo, s34
	s_delay_alu instid0(SALU_CYCLE_1)
	s_mov_b32 s34, exec_lo
	v_cmpx_lt_u32_e64 v108, v0
	s_cbranch_execz .LBB1022_820
.LBB1022_789:                           ;   in Loop: Header=BB1022_688 Depth=2
	global_load_b64 v[35:36], v[2:3], off offset:1024
	s_or_b32 exec_lo, exec_lo, s34
	s_delay_alu instid0(SALU_CYCLE_1)
	s_mov_b32 s34, exec_lo
	v_cmpx_lt_u32_e64 v109, v0
	s_cbranch_execnz .LBB1022_821
.LBB1022_790:                           ;   in Loop: Header=BB1022_688 Depth=2
	s_or_b32 exec_lo, exec_lo, s34
	s_delay_alu instid0(SALU_CYCLE_1)
	s_mov_b32 s34, exec_lo
	v_cmpx_lt_u32_e64 v110, v0
	s_cbranch_execz .LBB1022_822
.LBB1022_791:                           ;   in Loop: Header=BB1022_688 Depth=2
	global_load_b64 v[31:32], v[2:3], off offset:1536
	s_or_b32 exec_lo, exec_lo, s34
	s_delay_alu instid0(SALU_CYCLE_1)
	s_mov_b32 s34, exec_lo
	v_cmpx_lt_u32_e64 v111, v0
	s_cbranch_execnz .LBB1022_823
.LBB1022_792:                           ;   in Loop: Header=BB1022_688 Depth=2
	s_or_b32 exec_lo, exec_lo, s34
	s_delay_alu instid0(SALU_CYCLE_1)
	s_mov_b32 s34, exec_lo
	v_cmpx_lt_u32_e64 v112, v0
	s_cbranch_execz .LBB1022_824
.LBB1022_793:                           ;   in Loop: Header=BB1022_688 Depth=2
	global_load_b64 v[27:28], v[2:3], off offset:2048
	s_or_b32 exec_lo, exec_lo, s34
	s_delay_alu instid0(SALU_CYCLE_1)
	s_mov_b32 s34, exec_lo
	v_cmpx_lt_u32_e64 v113, v0
	s_cbranch_execnz .LBB1022_825
.LBB1022_794:                           ;   in Loop: Header=BB1022_688 Depth=2
	s_or_b32 exec_lo, exec_lo, s34
	s_delay_alu instid0(SALU_CYCLE_1)
	s_mov_b32 s34, exec_lo
	v_cmpx_lt_u32_e64 v114, v0
	s_cbranch_execz .LBB1022_826
.LBB1022_795:                           ;   in Loop: Header=BB1022_688 Depth=2
	global_load_b64 v[23:24], v[2:3], off offset:2560
	s_or_b32 exec_lo, exec_lo, s34
	s_delay_alu instid0(SALU_CYCLE_1)
	s_mov_b32 s34, exec_lo
	v_cmpx_lt_u32_e64 v115, v0
	s_cbranch_execnz .LBB1022_827
.LBB1022_796:                           ;   in Loop: Header=BB1022_688 Depth=2
	s_or_b32 exec_lo, exec_lo, s34
	s_delay_alu instid0(SALU_CYCLE_1)
	s_mov_b32 s34, exec_lo
	v_cmpx_lt_u32_e64 v116, v0
	s_cbranch_execz .LBB1022_828
.LBB1022_797:                           ;   in Loop: Header=BB1022_688 Depth=2
	global_load_b64 v[16:17], v[2:3], off offset:3072
	s_or_b32 exec_lo, exec_lo, s34
	s_delay_alu instid0(SALU_CYCLE_1)
	s_mov_b32 s34, exec_lo
	v_cmpx_lt_u32_e64 v117, v0
	s_cbranch_execnz .LBB1022_829
.LBB1022_798:                           ;   in Loop: Header=BB1022_688 Depth=2
	s_or_b32 exec_lo, exec_lo, s34
	s_delay_alu instid0(SALU_CYCLE_1)
	s_mov_b32 s34, exec_lo
	v_cmpx_lt_u32_e64 v118, v0
	s_cbranch_execz .LBB1022_830
.LBB1022_799:                           ;   in Loop: Header=BB1022_688 Depth=2
	global_load_b64 v[12:13], v[2:3], off offset:3584
	s_or_b32 exec_lo, exec_lo, s34
	s_delay_alu instid0(SALU_CYCLE_1)
	s_mov_b32 s34, exec_lo
	v_cmpx_lt_u32_e64 v119, v0
	s_cbranch_execnz .LBB1022_831
.LBB1022_800:                           ;   in Loop: Header=BB1022_688 Depth=2
	s_or_b32 exec_lo, exec_lo, s34
	s_and_saveexec_b32 s33, vcc_lo
	s_cbranch_execz .LBB1022_832
.LBB1022_801:                           ;   in Loop: Header=BB1022_688 Depth=2
	v_add_nc_u32_e32 v0, v76, v82
	ds_load_u16 v0, v0 offset:1024
	s_waitcnt lgkmcnt(0)
	v_lshrrev_b32_e32 v0, s57, v0
	s_delay_alu instid0(VALU_DEP_1)
	v_and_b32_e32 v140, s43, v0
	s_or_b32 exec_lo, exec_lo, s33
	s_and_saveexec_b32 s33, s16
	s_cbranch_execnz .LBB1022_833
.LBB1022_802:                           ;   in Loop: Header=BB1022_688 Depth=2
	s_or_b32 exec_lo, exec_lo, s33
	s_and_saveexec_b32 s33, s17
	s_cbranch_execz .LBB1022_834
.LBB1022_803:                           ;   in Loop: Header=BB1022_688 Depth=2
	ds_load_u16 v0, v83 offset:1024
	s_waitcnt lgkmcnt(0)
	v_lshrrev_b32_e32 v0, s57, v0
	s_delay_alu instid0(VALU_DEP_1)
	v_and_b32_e32 v138, s43, v0
	s_or_b32 exec_lo, exec_lo, s33
	s_and_saveexec_b32 s33, s18
	s_cbranch_execnz .LBB1022_835
.LBB1022_804:                           ;   in Loop: Header=BB1022_688 Depth=2
	s_or_b32 exec_lo, exec_lo, s33
	s_and_saveexec_b32 s33, s19
	s_cbranch_execz .LBB1022_836
.LBB1022_805:                           ;   in Loop: Header=BB1022_688 Depth=2
	ds_load_u16 v0, v83 offset:2048
	s_waitcnt lgkmcnt(0)
	v_lshrrev_b32_e32 v0, s57, v0
	s_delay_alu instid0(VALU_DEP_1)
	v_and_b32_e32 v136, s43, v0
	s_or_b32 exec_lo, exec_lo, s33
	s_and_saveexec_b32 s33, s20
	s_cbranch_execnz .LBB1022_837
.LBB1022_806:                           ;   in Loop: Header=BB1022_688 Depth=2
	s_or_b32 exec_lo, exec_lo, s33
	s_and_saveexec_b32 s33, s21
	s_cbranch_execz .LBB1022_838
.LBB1022_807:                           ;   in Loop: Header=BB1022_688 Depth=2
	ds_load_u16 v0, v83 offset:3072
	s_waitcnt lgkmcnt(0)
	v_lshrrev_b32_e32 v0, s57, v0
	s_delay_alu instid0(VALU_DEP_1)
	v_and_b32_e32 v134, s43, v0
	s_or_b32 exec_lo, exec_lo, s33
	s_and_saveexec_b32 s33, s22
	s_cbranch_execnz .LBB1022_839
.LBB1022_808:                           ;   in Loop: Header=BB1022_688 Depth=2
	s_or_b32 exec_lo, exec_lo, s33
	s_and_saveexec_b32 s33, s23
	s_cbranch_execz .LBB1022_840
.LBB1022_809:                           ;   in Loop: Header=BB1022_688 Depth=2
	ds_load_u16 v0, v83 offset:4096
	s_waitcnt lgkmcnt(0)
	v_lshrrev_b32_e32 v0, s57, v0
	s_delay_alu instid0(VALU_DEP_1)
	v_and_b32_e32 v132, s43, v0
	s_or_b32 exec_lo, exec_lo, s33
	s_and_saveexec_b32 s33, s24
	s_cbranch_execnz .LBB1022_841
.LBB1022_810:                           ;   in Loop: Header=BB1022_688 Depth=2
	s_or_b32 exec_lo, exec_lo, s33
	s_and_saveexec_b32 s33, s25
	s_cbranch_execz .LBB1022_842
.LBB1022_811:                           ;   in Loop: Header=BB1022_688 Depth=2
	ds_load_u16 v0, v83 offset:5120
	s_waitcnt lgkmcnt(0)
	v_lshrrev_b32_e32 v0, s57, v0
	s_delay_alu instid0(VALU_DEP_1)
	v_and_b32_e32 v130, s43, v0
	s_or_b32 exec_lo, exec_lo, s33
	s_and_saveexec_b32 s33, s27
	s_cbranch_execnz .LBB1022_843
.LBB1022_812:                           ;   in Loop: Header=BB1022_688 Depth=2
	s_or_b32 exec_lo, exec_lo, s33
	s_and_saveexec_b32 s33, s28
	s_cbranch_execz .LBB1022_844
.LBB1022_813:                           ;   in Loop: Header=BB1022_688 Depth=2
	ds_load_u16 v0, v83 offset:6144
	s_waitcnt lgkmcnt(0)
	v_lshrrev_b32_e32 v0, s57, v0
	s_delay_alu instid0(VALU_DEP_1)
	v_and_b32_e32 v128, s43, v0
	s_or_b32 exec_lo, exec_lo, s33
	s_and_saveexec_b32 s33, s29
	s_cbranch_execnz .LBB1022_845
.LBB1022_814:                           ;   in Loop: Header=BB1022_688 Depth=2
	s_or_b32 exec_lo, exec_lo, s33
	s_and_saveexec_b32 s33, s30
	s_cbranch_execz .LBB1022_846
.LBB1022_815:                           ;   in Loop: Header=BB1022_688 Depth=2
	ds_load_u16 v0, v83 offset:7168
	s_waitcnt lgkmcnt(0)
	v_lshrrev_b32_e32 v0, s57, v0
	s_delay_alu instid0(VALU_DEP_1)
	v_and_b32_e32 v126, s43, v0
	s_or_b32 exec_lo, exec_lo, s33
	s_and_saveexec_b32 s33, s31
	s_cbranch_execnz .LBB1022_847
	s_branch .LBB1022_848
.LBB1022_816:                           ;   in Loop: Header=BB1022_688 Depth=2
	s_or_b32 exec_lo, exec_lo, s33
	s_delay_alu instid0(SALU_CYCLE_1)
	s_mov_b32 s34, exec_lo
	v_cmpx_lt_u32_e64 v105, v0
	s_cbranch_execz .LBB1022_786
.LBB1022_817:                           ;   in Loop: Header=BB1022_688 Depth=2
	global_load_b64 v[41:42], v[2:3], off offset:256
	s_or_b32 exec_lo, exec_lo, s34
	s_delay_alu instid0(SALU_CYCLE_1)
	s_mov_b32 s34, exec_lo
	v_cmpx_lt_u32_e64 v106, v0
	s_cbranch_execnz .LBB1022_787
.LBB1022_818:                           ;   in Loop: Header=BB1022_688 Depth=2
	s_or_b32 exec_lo, exec_lo, s34
	s_delay_alu instid0(SALU_CYCLE_1)
	s_mov_b32 s34, exec_lo
	v_cmpx_lt_u32_e64 v107, v0
	s_cbranch_execz .LBB1022_788
.LBB1022_819:                           ;   in Loop: Header=BB1022_688 Depth=2
	global_load_b64 v[37:38], v[2:3], off offset:768
	s_or_b32 exec_lo, exec_lo, s34
	s_delay_alu instid0(SALU_CYCLE_1)
	s_mov_b32 s34, exec_lo
	v_cmpx_lt_u32_e64 v108, v0
	s_cbranch_execnz .LBB1022_789
.LBB1022_820:                           ;   in Loop: Header=BB1022_688 Depth=2
	s_or_b32 exec_lo, exec_lo, s34
	s_delay_alu instid0(SALU_CYCLE_1)
	s_mov_b32 s34, exec_lo
	v_cmpx_lt_u32_e64 v109, v0
	s_cbranch_execz .LBB1022_790
.LBB1022_821:                           ;   in Loop: Header=BB1022_688 Depth=2
	global_load_b64 v[33:34], v[2:3], off offset:1280
	s_or_b32 exec_lo, exec_lo, s34
	s_delay_alu instid0(SALU_CYCLE_1)
	s_mov_b32 s34, exec_lo
	v_cmpx_lt_u32_e64 v110, v0
	s_cbranch_execnz .LBB1022_791
.LBB1022_822:                           ;   in Loop: Header=BB1022_688 Depth=2
	s_or_b32 exec_lo, exec_lo, s34
	s_delay_alu instid0(SALU_CYCLE_1)
	s_mov_b32 s34, exec_lo
	v_cmpx_lt_u32_e64 v111, v0
	s_cbranch_execz .LBB1022_792
.LBB1022_823:                           ;   in Loop: Header=BB1022_688 Depth=2
	global_load_b64 v[29:30], v[2:3], off offset:1792
	s_or_b32 exec_lo, exec_lo, s34
	s_delay_alu instid0(SALU_CYCLE_1)
	s_mov_b32 s34, exec_lo
	v_cmpx_lt_u32_e64 v112, v0
	s_cbranch_execnz .LBB1022_793
.LBB1022_824:                           ;   in Loop: Header=BB1022_688 Depth=2
	s_or_b32 exec_lo, exec_lo, s34
	s_delay_alu instid0(SALU_CYCLE_1)
	s_mov_b32 s34, exec_lo
	v_cmpx_lt_u32_e64 v113, v0
	s_cbranch_execz .LBB1022_794
.LBB1022_825:                           ;   in Loop: Header=BB1022_688 Depth=2
	global_load_b64 v[25:26], v[2:3], off offset:2304
	s_or_b32 exec_lo, exec_lo, s34
	s_delay_alu instid0(SALU_CYCLE_1)
	s_mov_b32 s34, exec_lo
	v_cmpx_lt_u32_e64 v114, v0
	s_cbranch_execnz .LBB1022_795
.LBB1022_826:                           ;   in Loop: Header=BB1022_688 Depth=2
	s_or_b32 exec_lo, exec_lo, s34
	s_delay_alu instid0(SALU_CYCLE_1)
	s_mov_b32 s34, exec_lo
	v_cmpx_lt_u32_e64 v115, v0
	s_cbranch_execz .LBB1022_796
.LBB1022_827:                           ;   in Loop: Header=BB1022_688 Depth=2
	global_load_b64 v[21:22], v[2:3], off offset:2816
	s_or_b32 exec_lo, exec_lo, s34
	s_delay_alu instid0(SALU_CYCLE_1)
	s_mov_b32 s34, exec_lo
	v_cmpx_lt_u32_e64 v116, v0
	s_cbranch_execnz .LBB1022_797
.LBB1022_828:                           ;   in Loop: Header=BB1022_688 Depth=2
	s_or_b32 exec_lo, exec_lo, s34
	s_delay_alu instid0(SALU_CYCLE_1)
	s_mov_b32 s34, exec_lo
	v_cmpx_lt_u32_e64 v117, v0
	s_cbranch_execz .LBB1022_798
.LBB1022_829:                           ;   in Loop: Header=BB1022_688 Depth=2
	global_load_b64 v[14:15], v[2:3], off offset:3328
	s_or_b32 exec_lo, exec_lo, s34
	s_delay_alu instid0(SALU_CYCLE_1)
	s_mov_b32 s34, exec_lo
	v_cmpx_lt_u32_e64 v118, v0
	s_cbranch_execnz .LBB1022_799
.LBB1022_830:                           ;   in Loop: Header=BB1022_688 Depth=2
	s_or_b32 exec_lo, exec_lo, s34
	s_delay_alu instid0(SALU_CYCLE_1)
	s_mov_b32 s34, exec_lo
	v_cmpx_lt_u32_e64 v119, v0
	s_cbranch_execz .LBB1022_800
.LBB1022_831:                           ;   in Loop: Header=BB1022_688 Depth=2
	global_load_b64 v[10:11], v[2:3], off offset:3840
	s_or_b32 exec_lo, exec_lo, s34
	s_and_saveexec_b32 s33, vcc_lo
	s_cbranch_execnz .LBB1022_801
.LBB1022_832:                           ;   in Loop: Header=BB1022_688 Depth=2
	s_or_b32 exec_lo, exec_lo, s33
	s_and_saveexec_b32 s33, s16
	s_cbranch_execz .LBB1022_802
.LBB1022_833:                           ;   in Loop: Header=BB1022_688 Depth=2
	ds_load_u16 v0, v83 offset:512
	s_waitcnt lgkmcnt(0)
	v_lshrrev_b32_e32 v0, s57, v0
	s_delay_alu instid0(VALU_DEP_1)
	v_and_b32_e32 v139, s43, v0
	s_or_b32 exec_lo, exec_lo, s33
	s_and_saveexec_b32 s33, s17
	s_cbranch_execnz .LBB1022_803
.LBB1022_834:                           ;   in Loop: Header=BB1022_688 Depth=2
	s_or_b32 exec_lo, exec_lo, s33
	s_and_saveexec_b32 s33, s18
	s_cbranch_execz .LBB1022_804
.LBB1022_835:                           ;   in Loop: Header=BB1022_688 Depth=2
	ds_load_u16 v0, v83 offset:1536
	s_waitcnt lgkmcnt(0)
	v_lshrrev_b32_e32 v0, s57, v0
	s_delay_alu instid0(VALU_DEP_1)
	v_and_b32_e32 v137, s43, v0
	s_or_b32 exec_lo, exec_lo, s33
	s_and_saveexec_b32 s33, s19
	s_cbranch_execnz .LBB1022_805
.LBB1022_836:                           ;   in Loop: Header=BB1022_688 Depth=2
	s_or_b32 exec_lo, exec_lo, s33
	s_and_saveexec_b32 s33, s20
	s_cbranch_execz .LBB1022_806
.LBB1022_837:                           ;   in Loop: Header=BB1022_688 Depth=2
	ds_load_u16 v0, v83 offset:2560
	s_waitcnt lgkmcnt(0)
	v_lshrrev_b32_e32 v0, s57, v0
	s_delay_alu instid0(VALU_DEP_1)
	v_and_b32_e32 v135, s43, v0
	s_or_b32 exec_lo, exec_lo, s33
	s_and_saveexec_b32 s33, s21
	s_cbranch_execnz .LBB1022_807
.LBB1022_838:                           ;   in Loop: Header=BB1022_688 Depth=2
	s_or_b32 exec_lo, exec_lo, s33
	s_and_saveexec_b32 s33, s22
	s_cbranch_execz .LBB1022_808
.LBB1022_839:                           ;   in Loop: Header=BB1022_688 Depth=2
	ds_load_u16 v0, v83 offset:3584
	s_waitcnt lgkmcnt(0)
	v_lshrrev_b32_e32 v0, s57, v0
	s_delay_alu instid0(VALU_DEP_1)
	v_and_b32_e32 v133, s43, v0
	s_or_b32 exec_lo, exec_lo, s33
	s_and_saveexec_b32 s33, s23
	s_cbranch_execnz .LBB1022_809
.LBB1022_840:                           ;   in Loop: Header=BB1022_688 Depth=2
	s_or_b32 exec_lo, exec_lo, s33
	s_and_saveexec_b32 s33, s24
	s_cbranch_execz .LBB1022_810
.LBB1022_841:                           ;   in Loop: Header=BB1022_688 Depth=2
	ds_load_u16 v0, v83 offset:4608
	s_waitcnt lgkmcnt(0)
	v_lshrrev_b32_e32 v0, s57, v0
	s_delay_alu instid0(VALU_DEP_1)
	v_and_b32_e32 v131, s43, v0
	s_or_b32 exec_lo, exec_lo, s33
	s_and_saveexec_b32 s33, s25
	s_cbranch_execnz .LBB1022_811
.LBB1022_842:                           ;   in Loop: Header=BB1022_688 Depth=2
	s_or_b32 exec_lo, exec_lo, s33
	s_and_saveexec_b32 s33, s27
	s_cbranch_execz .LBB1022_812
.LBB1022_843:                           ;   in Loop: Header=BB1022_688 Depth=2
	ds_load_u16 v0, v83 offset:5632
	s_waitcnt lgkmcnt(0)
	v_lshrrev_b32_e32 v0, s57, v0
	s_delay_alu instid0(VALU_DEP_1)
	v_and_b32_e32 v129, s43, v0
	s_or_b32 exec_lo, exec_lo, s33
	s_and_saveexec_b32 s33, s28
	s_cbranch_execnz .LBB1022_813
.LBB1022_844:                           ;   in Loop: Header=BB1022_688 Depth=2
	s_or_b32 exec_lo, exec_lo, s33
	s_and_saveexec_b32 s33, s29
	s_cbranch_execz .LBB1022_814
.LBB1022_845:                           ;   in Loop: Header=BB1022_688 Depth=2
	ds_load_u16 v0, v83 offset:6656
	s_waitcnt lgkmcnt(0)
	v_lshrrev_b32_e32 v0, s57, v0
	s_delay_alu instid0(VALU_DEP_1)
	v_and_b32_e32 v127, s43, v0
	s_or_b32 exec_lo, exec_lo, s33
	s_and_saveexec_b32 s33, s30
	s_cbranch_execnz .LBB1022_815
.LBB1022_846:                           ;   in Loop: Header=BB1022_688 Depth=2
	s_or_b32 exec_lo, exec_lo, s33
	s_and_saveexec_b32 s33, s31
	s_cbranch_execz .LBB1022_848
.LBB1022_847:                           ;   in Loop: Header=BB1022_688 Depth=2
	ds_load_u16 v0, v83 offset:7680
	s_waitcnt lgkmcnt(0)
	v_lshrrev_b32_e32 v0, s57, v0
	s_delay_alu instid0(VALU_DEP_1)
	v_and_b32_e32 v125, s43, v0
.LBB1022_848:                           ;   in Loop: Header=BB1022_688 Depth=2
	s_or_b32 exec_lo, exec_lo, s33
	v_lshlrev_b32_e32 v0, 3, v159
	v_lshlrev_b32_e32 v2, 3, v155
	s_waitcnt vmcnt(0)
	s_waitcnt_vscnt null, 0x0
	s_barrier
	buffer_gl0_inv
	ds_store_b64 v0, v[43:44] offset:1024
	v_lshlrev_b32_e32 v0, 3, v151
	v_lshlrev_b32_e32 v3, 3, v150
	;; [unrolled: 1-line block ×4, first 2 shown]
	ds_store_b64 v2, v[41:42] offset:1024
	ds_store_b64 v0, v[39:40] offset:1024
	;; [unrolled: 1-line block ×5, first 2 shown]
	v_lshlrev_b32_e32 v0, 3, v146
	v_lshlrev_b32_e32 v2, 3, v145
	;; [unrolled: 1-line block ×5, first 2 shown]
	ds_store_b64 v0, v[31:32] offset:1024
	ds_store_b64 v2, v[29:30] offset:1024
	;; [unrolled: 1-line block ×5, first 2 shown]
	v_lshlrev_b32_e32 v0, 3, v6
	v_lshlrev_b32_e32 v2, 3, v5
	;; [unrolled: 1-line block ×5, first 2 shown]
	ds_store_b64 v0, v[21:22] offset:1024
	ds_store_b64 v2, v[16:17] offset:1024
	;; [unrolled: 1-line block ×5, first 2 shown]
	s_waitcnt lgkmcnt(0)
	s_barrier
	buffer_gl0_inv
	s_and_saveexec_b32 s33, vcc_lo
	s_cbranch_execz .LBB1022_864
; %bb.849:                              ;   in Loop: Header=BB1022_688 Depth=2
	v_lshlrev_b32_e32 v0, 2, v140
	ds_load_b32 v0, v0
	ds_load_b64 v[2:3], v84 offset:1024
	s_waitcnt lgkmcnt(1)
	v_add_nc_u32_e32 v19, v0, v18
	s_delay_alu instid0(VALU_DEP_1) | instskip(NEXT) | instid1(VALU_DEP_1)
	v_lshlrev_b64 v[5:6], 3, v[19:20]
	v_add_co_u32 v5, vcc_lo, s52, v5
	s_delay_alu instid0(VALU_DEP_2)
	v_add_co_ci_u32_e32 v6, vcc_lo, s53, v6, vcc_lo
	s_waitcnt lgkmcnt(0)
	global_store_b64 v[5:6], v[2:3], off
	s_or_b32 exec_lo, exec_lo, s33
	s_and_saveexec_b32 s33, s16
	s_cbranch_execnz .LBB1022_865
.LBB1022_850:                           ;   in Loop: Header=BB1022_688 Depth=2
	s_or_b32 exec_lo, exec_lo, s33
	s_and_saveexec_b32 s16, s17
	s_cbranch_execz .LBB1022_866
.LBB1022_851:                           ;   in Loop: Header=BB1022_688 Depth=2
	v_lshlrev_b32_e32 v0, 2, v138
	v_add_nc_u32_e32 v2, v83, v85
	ds_load_b32 v0, v0
	ds_load_b64 v[2:3], v2 offset:4096
	s_waitcnt lgkmcnt(1)
	v_add_nc_u32_e32 v19, v0, v49
	s_delay_alu instid0(VALU_DEP_1) | instskip(NEXT) | instid1(VALU_DEP_1)
	v_lshlrev_b64 v[5:6], 3, v[19:20]
	v_add_co_u32 v5, vcc_lo, s52, v5
	s_delay_alu instid0(VALU_DEP_2)
	v_add_co_ci_u32_e32 v6, vcc_lo, s53, v6, vcc_lo
	s_waitcnt lgkmcnt(0)
	global_store_b64 v[5:6], v[2:3], off
	s_or_b32 exec_lo, exec_lo, s16
	s_and_saveexec_b32 s16, s18
	s_cbranch_execnz .LBB1022_867
.LBB1022_852:                           ;   in Loop: Header=BB1022_688 Depth=2
	s_or_b32 exec_lo, exec_lo, s16
	s_and_saveexec_b32 s16, s19
	s_cbranch_execz .LBB1022_868
.LBB1022_853:                           ;   in Loop: Header=BB1022_688 Depth=2
	v_lshlrev_b32_e32 v0, 2, v136
	v_add_nc_u32_e32 v2, v83, v85
	ds_load_b32 v0, v0
	ds_load_b64 v[2:3], v2 offset:8192
	s_waitcnt lgkmcnt(1)
	v_add_nc_u32_e32 v19, v0, v54
	s_delay_alu instid0(VALU_DEP_1) | instskip(NEXT) | instid1(VALU_DEP_1)
	v_lshlrev_b64 v[5:6], 3, v[19:20]
	v_add_co_u32 v5, vcc_lo, s52, v5
	s_delay_alu instid0(VALU_DEP_2)
	v_add_co_ci_u32_e32 v6, vcc_lo, s53, v6, vcc_lo
	s_waitcnt lgkmcnt(0)
	global_store_b64 v[5:6], v[2:3], off
	s_or_b32 exec_lo, exec_lo, s16
	s_and_saveexec_b32 s16, s20
	s_cbranch_execnz .LBB1022_869
.LBB1022_854:                           ;   in Loop: Header=BB1022_688 Depth=2
	s_or_b32 exec_lo, exec_lo, s16
	s_and_saveexec_b32 s16, s21
	s_cbranch_execz .LBB1022_870
.LBB1022_855:                           ;   in Loop: Header=BB1022_688 Depth=2
	v_lshlrev_b32_e32 v0, 2, v134
	v_add_nc_u32_e32 v2, v83, v85
	ds_load_b32 v0, v0
	ds_load_b64 v[2:3], v2 offset:12288
	s_waitcnt lgkmcnt(1)
	v_add_nc_u32_e32 v19, v0, v56
	s_delay_alu instid0(VALU_DEP_1) | instskip(NEXT) | instid1(VALU_DEP_1)
	v_lshlrev_b64 v[5:6], 3, v[19:20]
	v_add_co_u32 v5, vcc_lo, s52, v5
	s_delay_alu instid0(VALU_DEP_2)
	v_add_co_ci_u32_e32 v6, vcc_lo, s53, v6, vcc_lo
	s_waitcnt lgkmcnt(0)
	global_store_b64 v[5:6], v[2:3], off
	s_or_b32 exec_lo, exec_lo, s16
	s_and_saveexec_b32 s16, s22
	s_cbranch_execnz .LBB1022_871
.LBB1022_856:                           ;   in Loop: Header=BB1022_688 Depth=2
	s_or_b32 exec_lo, exec_lo, s16
	s_and_saveexec_b32 s16, s23
	s_cbranch_execz .LBB1022_872
.LBB1022_857:                           ;   in Loop: Header=BB1022_688 Depth=2
	v_lshlrev_b32_e32 v0, 2, v132
	v_add_nc_u32_e32 v2, v83, v85
	ds_load_b32 v0, v0
	ds_load_b64 v[2:3], v2 offset:16384
	s_waitcnt lgkmcnt(1)
	v_add_nc_u32_e32 v19, v0, v58
	s_delay_alu instid0(VALU_DEP_1) | instskip(NEXT) | instid1(VALU_DEP_1)
	v_lshlrev_b64 v[5:6], 3, v[19:20]
	v_add_co_u32 v5, vcc_lo, s52, v5
	s_delay_alu instid0(VALU_DEP_2)
	v_add_co_ci_u32_e32 v6, vcc_lo, s53, v6, vcc_lo
	s_waitcnt lgkmcnt(0)
	global_store_b64 v[5:6], v[2:3], off
	s_or_b32 exec_lo, exec_lo, s16
	s_and_saveexec_b32 s16, s24
	s_cbranch_execnz .LBB1022_873
.LBB1022_858:                           ;   in Loop: Header=BB1022_688 Depth=2
	s_or_b32 exec_lo, exec_lo, s16
	s_and_saveexec_b32 s16, s25
	s_cbranch_execz .LBB1022_874
.LBB1022_859:                           ;   in Loop: Header=BB1022_688 Depth=2
	v_lshlrev_b32_e32 v0, 2, v130
	v_add_nc_u32_e32 v2, v83, v85
	ds_load_b32 v0, v0
	ds_load_b64 v[2:3], v2 offset:20480
	s_waitcnt lgkmcnt(1)
	v_add_nc_u32_e32 v19, v0, v60
	s_delay_alu instid0(VALU_DEP_1) | instskip(NEXT) | instid1(VALU_DEP_1)
	v_lshlrev_b64 v[5:6], 3, v[19:20]
	v_add_co_u32 v5, vcc_lo, s52, v5
	s_delay_alu instid0(VALU_DEP_2)
	v_add_co_ci_u32_e32 v6, vcc_lo, s53, v6, vcc_lo
	s_waitcnt lgkmcnt(0)
	global_store_b64 v[5:6], v[2:3], off
	s_or_b32 exec_lo, exec_lo, s16
	s_and_saveexec_b32 s16, s27
	s_cbranch_execnz .LBB1022_875
.LBB1022_860:                           ;   in Loop: Header=BB1022_688 Depth=2
	s_or_b32 exec_lo, exec_lo, s16
	s_and_saveexec_b32 s16, s28
	s_cbranch_execz .LBB1022_876
.LBB1022_861:                           ;   in Loop: Header=BB1022_688 Depth=2
	v_lshlrev_b32_e32 v0, 2, v128
	v_add_nc_u32_e32 v2, v83, v85
	ds_load_b32 v0, v0
	ds_load_b64 v[2:3], v2 offset:24576
	s_waitcnt lgkmcnt(1)
	v_add_nc_u32_e32 v19, v0, v62
	s_delay_alu instid0(VALU_DEP_1) | instskip(NEXT) | instid1(VALU_DEP_1)
	v_lshlrev_b64 v[5:6], 3, v[19:20]
	v_add_co_u32 v5, vcc_lo, s52, v5
	s_delay_alu instid0(VALU_DEP_2)
	v_add_co_ci_u32_e32 v6, vcc_lo, s53, v6, vcc_lo
	s_waitcnt lgkmcnt(0)
	global_store_b64 v[5:6], v[2:3], off
	s_or_b32 exec_lo, exec_lo, s16
	s_and_saveexec_b32 s16, s29
	s_cbranch_execnz .LBB1022_877
.LBB1022_862:                           ;   in Loop: Header=BB1022_688 Depth=2
	s_or_b32 exec_lo, exec_lo, s16
	s_and_saveexec_b32 s16, s30
	s_cbranch_execz .LBB1022_878
.LBB1022_863:                           ;   in Loop: Header=BB1022_688 Depth=2
	v_lshlrev_b32_e32 v0, 2, v126
	v_add_nc_u32_e32 v2, v83, v85
	ds_load_b32 v0, v0
	ds_load_b64 v[2:3], v2 offset:28672
	s_waitcnt lgkmcnt(1)
	v_add_nc_u32_e32 v19, v0, v64
	s_delay_alu instid0(VALU_DEP_1) | instskip(NEXT) | instid1(VALU_DEP_1)
	v_lshlrev_b64 v[5:6], 3, v[19:20]
	v_add_co_u32 v5, vcc_lo, s52, v5
	s_delay_alu instid0(VALU_DEP_2)
	v_add_co_ci_u32_e32 v6, vcc_lo, s53, v6, vcc_lo
	s_waitcnt lgkmcnt(0)
	global_store_b64 v[5:6], v[2:3], off
	s_or_b32 exec_lo, exec_lo, s16
	s_and_saveexec_b32 s16, s31
	s_cbranch_execnz .LBB1022_879
	s_branch .LBB1022_880
.LBB1022_864:                           ;   in Loop: Header=BB1022_688 Depth=2
	s_or_b32 exec_lo, exec_lo, s33
	s_and_saveexec_b32 s33, s16
	s_cbranch_execz .LBB1022_850
.LBB1022_865:                           ;   in Loop: Header=BB1022_688 Depth=2
	v_lshlrev_b32_e32 v0, 2, v139
	v_add_nc_u32_e32 v2, v83, v85
	ds_load_b32 v0, v0
	ds_load_b64 v[2:3], v2 offset:2048
	s_waitcnt lgkmcnt(1)
	v_add_nc_u32_e32 v19, v0, v48
	s_delay_alu instid0(VALU_DEP_1) | instskip(NEXT) | instid1(VALU_DEP_1)
	v_lshlrev_b64 v[5:6], 3, v[19:20]
	v_add_co_u32 v5, vcc_lo, s52, v5
	s_delay_alu instid0(VALU_DEP_2)
	v_add_co_ci_u32_e32 v6, vcc_lo, s53, v6, vcc_lo
	s_waitcnt lgkmcnt(0)
	global_store_b64 v[5:6], v[2:3], off
	s_or_b32 exec_lo, exec_lo, s33
	s_and_saveexec_b32 s16, s17
	s_cbranch_execnz .LBB1022_851
.LBB1022_866:                           ;   in Loop: Header=BB1022_688 Depth=2
	s_or_b32 exec_lo, exec_lo, s16
	s_and_saveexec_b32 s16, s18
	s_cbranch_execz .LBB1022_852
.LBB1022_867:                           ;   in Loop: Header=BB1022_688 Depth=2
	v_lshlrev_b32_e32 v0, 2, v137
	v_add_nc_u32_e32 v2, v83, v85
	ds_load_b32 v0, v0
	ds_load_b64 v[2:3], v2 offset:6144
	s_waitcnt lgkmcnt(1)
	v_add_nc_u32_e32 v19, v0, v50
	s_delay_alu instid0(VALU_DEP_1) | instskip(NEXT) | instid1(VALU_DEP_1)
	v_lshlrev_b64 v[5:6], 3, v[19:20]
	v_add_co_u32 v5, vcc_lo, s52, v5
	s_delay_alu instid0(VALU_DEP_2)
	v_add_co_ci_u32_e32 v6, vcc_lo, s53, v6, vcc_lo
	s_waitcnt lgkmcnt(0)
	global_store_b64 v[5:6], v[2:3], off
	s_or_b32 exec_lo, exec_lo, s16
	s_and_saveexec_b32 s16, s19
	s_cbranch_execnz .LBB1022_853
.LBB1022_868:                           ;   in Loop: Header=BB1022_688 Depth=2
	s_or_b32 exec_lo, exec_lo, s16
	s_and_saveexec_b32 s16, s20
	s_cbranch_execz .LBB1022_854
.LBB1022_869:                           ;   in Loop: Header=BB1022_688 Depth=2
	v_lshlrev_b32_e32 v0, 2, v135
	v_add_nc_u32_e32 v2, v83, v85
	ds_load_b32 v0, v0
	ds_load_b64 v[2:3], v2 offset:10240
	s_waitcnt lgkmcnt(1)
	v_add_nc_u32_e32 v19, v0, v55
	s_delay_alu instid0(VALU_DEP_1) | instskip(NEXT) | instid1(VALU_DEP_1)
	v_lshlrev_b64 v[5:6], 3, v[19:20]
	v_add_co_u32 v5, vcc_lo, s52, v5
	s_delay_alu instid0(VALU_DEP_2)
	v_add_co_ci_u32_e32 v6, vcc_lo, s53, v6, vcc_lo
	s_waitcnt lgkmcnt(0)
	global_store_b64 v[5:6], v[2:3], off
	s_or_b32 exec_lo, exec_lo, s16
	s_and_saveexec_b32 s16, s21
	s_cbranch_execnz .LBB1022_855
.LBB1022_870:                           ;   in Loop: Header=BB1022_688 Depth=2
	s_or_b32 exec_lo, exec_lo, s16
	s_and_saveexec_b32 s16, s22
	s_cbranch_execz .LBB1022_856
.LBB1022_871:                           ;   in Loop: Header=BB1022_688 Depth=2
	v_lshlrev_b32_e32 v0, 2, v133
	v_add_nc_u32_e32 v2, v83, v85
	ds_load_b32 v0, v0
	ds_load_b64 v[2:3], v2 offset:14336
	s_waitcnt lgkmcnt(1)
	v_add_nc_u32_e32 v19, v0, v57
	s_delay_alu instid0(VALU_DEP_1) | instskip(NEXT) | instid1(VALU_DEP_1)
	v_lshlrev_b64 v[5:6], 3, v[19:20]
	v_add_co_u32 v5, vcc_lo, s52, v5
	s_delay_alu instid0(VALU_DEP_2)
	v_add_co_ci_u32_e32 v6, vcc_lo, s53, v6, vcc_lo
	s_waitcnt lgkmcnt(0)
	global_store_b64 v[5:6], v[2:3], off
	s_or_b32 exec_lo, exec_lo, s16
	s_and_saveexec_b32 s16, s23
	s_cbranch_execnz .LBB1022_857
.LBB1022_872:                           ;   in Loop: Header=BB1022_688 Depth=2
	s_or_b32 exec_lo, exec_lo, s16
	s_and_saveexec_b32 s16, s24
	s_cbranch_execz .LBB1022_858
.LBB1022_873:                           ;   in Loop: Header=BB1022_688 Depth=2
	v_lshlrev_b32_e32 v0, 2, v131
	v_add_nc_u32_e32 v2, v83, v85
	ds_load_b32 v0, v0
	ds_load_b64 v[2:3], v2 offset:18432
	s_waitcnt lgkmcnt(1)
	v_add_nc_u32_e32 v19, v0, v59
	s_delay_alu instid0(VALU_DEP_1) | instskip(NEXT) | instid1(VALU_DEP_1)
	v_lshlrev_b64 v[5:6], 3, v[19:20]
	v_add_co_u32 v5, vcc_lo, s52, v5
	s_delay_alu instid0(VALU_DEP_2)
	v_add_co_ci_u32_e32 v6, vcc_lo, s53, v6, vcc_lo
	s_waitcnt lgkmcnt(0)
	global_store_b64 v[5:6], v[2:3], off
	s_or_b32 exec_lo, exec_lo, s16
	s_and_saveexec_b32 s16, s25
	s_cbranch_execnz .LBB1022_859
.LBB1022_874:                           ;   in Loop: Header=BB1022_688 Depth=2
	s_or_b32 exec_lo, exec_lo, s16
	s_and_saveexec_b32 s16, s27
	s_cbranch_execz .LBB1022_860
.LBB1022_875:                           ;   in Loop: Header=BB1022_688 Depth=2
	v_lshlrev_b32_e32 v0, 2, v129
	v_add_nc_u32_e32 v2, v83, v85
	ds_load_b32 v0, v0
	ds_load_b64 v[2:3], v2 offset:22528
	s_waitcnt lgkmcnt(1)
	v_add_nc_u32_e32 v19, v0, v61
	s_delay_alu instid0(VALU_DEP_1) | instskip(NEXT) | instid1(VALU_DEP_1)
	v_lshlrev_b64 v[5:6], 3, v[19:20]
	v_add_co_u32 v5, vcc_lo, s52, v5
	s_delay_alu instid0(VALU_DEP_2)
	v_add_co_ci_u32_e32 v6, vcc_lo, s53, v6, vcc_lo
	s_waitcnt lgkmcnt(0)
	global_store_b64 v[5:6], v[2:3], off
	s_or_b32 exec_lo, exec_lo, s16
	s_and_saveexec_b32 s16, s28
	s_cbranch_execnz .LBB1022_861
.LBB1022_876:                           ;   in Loop: Header=BB1022_688 Depth=2
	s_or_b32 exec_lo, exec_lo, s16
	s_and_saveexec_b32 s16, s29
	s_cbranch_execz .LBB1022_862
.LBB1022_877:                           ;   in Loop: Header=BB1022_688 Depth=2
	v_lshlrev_b32_e32 v0, 2, v127
	v_add_nc_u32_e32 v2, v83, v85
	ds_load_b32 v0, v0
	ds_load_b64 v[2:3], v2 offset:26624
	s_waitcnt lgkmcnt(1)
	v_add_nc_u32_e32 v19, v0, v63
	s_delay_alu instid0(VALU_DEP_1) | instskip(NEXT) | instid1(VALU_DEP_1)
	v_lshlrev_b64 v[5:6], 3, v[19:20]
	v_add_co_u32 v5, vcc_lo, s52, v5
	s_delay_alu instid0(VALU_DEP_2)
	v_add_co_ci_u32_e32 v6, vcc_lo, s53, v6, vcc_lo
	s_waitcnt lgkmcnt(0)
	global_store_b64 v[5:6], v[2:3], off
	s_or_b32 exec_lo, exec_lo, s16
	s_and_saveexec_b32 s16, s30
	s_cbranch_execnz .LBB1022_863
.LBB1022_878:                           ;   in Loop: Header=BB1022_688 Depth=2
	s_or_b32 exec_lo, exec_lo, s16
	s_and_saveexec_b32 s16, s31
	s_cbranch_execz .LBB1022_880
.LBB1022_879:                           ;   in Loop: Header=BB1022_688 Depth=2
	v_lshlrev_b32_e32 v0, 2, v125
	v_add_nc_u32_e32 v2, v83, v85
	ds_load_b32 v0, v0
	ds_load_b64 v[2:3], v2 offset:30720
	s_waitcnt lgkmcnt(1)
	v_add_nc_u32_e32 v19, v0, v66
	s_delay_alu instid0(VALU_DEP_1) | instskip(NEXT) | instid1(VALU_DEP_1)
	v_lshlrev_b64 v[5:6], 3, v[19:20]
	v_add_co_u32 v5, vcc_lo, s52, v5
	s_delay_alu instid0(VALU_DEP_2)
	v_add_co_ci_u32_e32 v6, vcc_lo, s53, v6, vcc_lo
	s_waitcnt lgkmcnt(0)
	global_store_b64 v[5:6], v[2:3], off
.LBB1022_880:                           ;   in Loop: Header=BB1022_688 Depth=2
	s_or_b32 exec_lo, exec_lo, s16
	s_waitcnt_vscnt null, 0x0
	s_barrier
	buffer_gl0_inv
	s_and_saveexec_b32 s16, s2
	s_cbranch_execz .LBB1022_687
; %bb.881:                              ;   in Loop: Header=BB1022_688 Depth=2
	ds_load_b32 v0, v47
	s_waitcnt lgkmcnt(0)
	v_add_nc_u32_e32 v0, v0, v4
	ds_store_b32 v47, v0
	s_branch .LBB1022_687
.LBB1022_882:                           ;   in Loop: Header=BB1022_688 Depth=2
	s_or_b32 exec_lo, exec_lo, s16
	s_delay_alu instid0(SALU_CYCLE_1)
	s_mov_b32 s16, exec_lo
	v_cmpx_gt_u32_e64 s56, v105
	s_cbranch_execz .LBB1022_693
.LBB1022_883:                           ;   in Loop: Header=BB1022_688 Depth=2
	global_load_d16_hi_b16 v2, v[45:46], off offset:64
	s_or_b32 exec_lo, exec_lo, s16
	s_delay_alu instid0(SALU_CYCLE_1)
	s_mov_b32 s16, exec_lo
	v_cmpx_gt_u32_e64 s56, v106
	s_cbranch_execnz .LBB1022_694
.LBB1022_884:                           ;   in Loop: Header=BB1022_688 Depth=2
	s_or_b32 exec_lo, exec_lo, s16
	s_delay_alu instid0(SALU_CYCLE_1)
	s_mov_b32 s16, exec_lo
	v_cmpx_gt_u32_e64 s56, v107
	s_cbranch_execz .LBB1022_695
.LBB1022_885:                           ;   in Loop: Header=BB1022_688 Depth=2
	global_load_d16_hi_b16 v3, v[45:46], off offset:192
	s_or_b32 exec_lo, exec_lo, s16
	s_delay_alu instid0(SALU_CYCLE_1)
	s_mov_b32 s16, exec_lo
	v_cmpx_gt_u32_e64 s56, v108
	s_cbranch_execnz .LBB1022_696
.LBB1022_886:                           ;   in Loop: Header=BB1022_688 Depth=2
	s_or_b32 exec_lo, exec_lo, s16
	s_delay_alu instid0(SALU_CYCLE_1)
	s_mov_b32 s16, exec_lo
	v_cmpx_gt_u32_e64 s56, v109
	s_cbranch_execz .LBB1022_697
.LBB1022_887:                           ;   in Loop: Header=BB1022_688 Depth=2
	global_load_d16_hi_b16 v4, v[45:46], off offset:320
	s_or_b32 exec_lo, exec_lo, s16
	s_delay_alu instid0(SALU_CYCLE_1)
	s_mov_b32 s16, exec_lo
	v_cmpx_gt_u32_e64 s56, v110
	s_cbranch_execnz .LBB1022_698
.LBB1022_888:                           ;   in Loop: Header=BB1022_688 Depth=2
	s_or_b32 exec_lo, exec_lo, s16
	s_delay_alu instid0(SALU_CYCLE_1)
	s_mov_b32 s16, exec_lo
	v_cmpx_gt_u32_e64 s56, v111
	s_cbranch_execz .LBB1022_699
.LBB1022_889:                           ;   in Loop: Header=BB1022_688 Depth=2
	global_load_d16_hi_b16 v5, v[45:46], off offset:448
	s_or_b32 exec_lo, exec_lo, s16
	s_delay_alu instid0(SALU_CYCLE_1)
	s_mov_b32 s16, exec_lo
	v_cmpx_gt_u32_e64 s56, v112
	s_cbranch_execnz .LBB1022_700
.LBB1022_890:                           ;   in Loop: Header=BB1022_688 Depth=2
	s_or_b32 exec_lo, exec_lo, s16
	s_delay_alu instid0(SALU_CYCLE_1)
	s_mov_b32 s16, exec_lo
	v_cmpx_gt_u32_e64 s56, v113
	s_cbranch_execz .LBB1022_701
.LBB1022_891:                           ;   in Loop: Header=BB1022_688 Depth=2
	global_load_d16_hi_b16 v6, v[45:46], off offset:576
	s_or_b32 exec_lo, exec_lo, s16
	s_delay_alu instid0(SALU_CYCLE_1)
	s_mov_b32 s16, exec_lo
	v_cmpx_gt_u32_e64 s56, v114
	s_cbranch_execnz .LBB1022_702
.LBB1022_892:                           ;   in Loop: Header=BB1022_688 Depth=2
	s_or_b32 exec_lo, exec_lo, s16
	s_delay_alu instid0(SALU_CYCLE_1)
	s_mov_b32 s16, exec_lo
	v_cmpx_gt_u32_e64 s56, v115
	s_cbranch_execz .LBB1022_703
.LBB1022_893:                           ;   in Loop: Header=BB1022_688 Depth=2
	global_load_d16_hi_b16 v7, v[45:46], off offset:704
	s_or_b32 exec_lo, exec_lo, s16
	s_delay_alu instid0(SALU_CYCLE_1)
	s_mov_b32 s16, exec_lo
	v_cmpx_gt_u32_e64 s56, v116
	s_cbranch_execnz .LBB1022_704
.LBB1022_894:                           ;   in Loop: Header=BB1022_688 Depth=2
	s_or_b32 exec_lo, exec_lo, s16
	s_delay_alu instid0(SALU_CYCLE_1)
	s_mov_b32 s16, exec_lo
	v_cmpx_gt_u32_e64 s56, v117
	s_cbranch_execz .LBB1022_705
.LBB1022_895:                           ;   in Loop: Header=BB1022_688 Depth=2
	global_load_d16_hi_b16 v8, v[45:46], off offset:832
	s_or_b32 exec_lo, exec_lo, s16
	s_delay_alu instid0(SALU_CYCLE_1)
	s_mov_b32 s16, exec_lo
	v_cmpx_gt_u32_e64 s56, v118
	s_cbranch_execnz .LBB1022_706
	s_branch .LBB1022_707
.LBB1022_896:                           ;   in Loop: Header=BB1022_12 Depth=1
	s_waitcnt lgkmcnt(0)
	s_mov_b32 s1, 0
	s_barrier
.LBB1022_897:                           ;   in Loop: Header=BB1022_12 Depth=1
	s_and_b32 vcc_lo, exec_lo, s1
	s_cbranch_vccz .LBB1022_11
; %bb.898:                              ;   in Loop: Header=BB1022_12 Depth=1
	s_mov_b32 s1, s64
	s_mov_b32 s34, s62
	s_barrier
	buffer_gl0_inv
                                        ; implicit-def: $vgpr2_vgpr3_vgpr4_vgpr5_vgpr6_vgpr7_vgpr8_vgpr9
	s_branch .LBB1022_900
.LBB1022_899:                           ;   in Loop: Header=BB1022_900 Depth=2
	s_or_b32 exec_lo, exec_lo, s8
	s_addk_i32 s1, 0xf000
	s_cmp_ge_u32 s7, s63
	s_mov_b32 s34, s7
	s_cbranch_scc1 .LBB1022_970
.LBB1022_900:                           ;   Parent Loop BB1022_12 Depth=1
                                        ; =>  This Inner Loop Header: Depth=2
	s_add_i32 s7, s34, 0x1000
	s_delay_alu instid0(SALU_CYCLE_1)
	s_cmp_gt_u32 s7, s63
	s_cbranch_scc1 .LBB1022_903
; %bb.901:                              ;   in Loop: Header=BB1022_900 Depth=2
	s_mov_b32 s9, 0
	s_mov_b32 s8, s34
	v_mov_b32_e32 v17, v9
	s_lshl_b64 s[10:11], s[8:9], 1
	s_delay_alu instid0(SALU_CYCLE_1) | instskip(SKIP_2) | instid1(VALU_DEP_2)
	v_add_co_u32 v21, vcc_lo, v92, s10
	v_add_co_ci_u32_e32 v22, vcc_lo, s11, v93, vcc_lo
	s_movk_i32 s11, 0x1000
	v_add_co_u32 v23, vcc_lo, 0x1000, v21
	s_delay_alu instid0(VALU_DEP_2)
	v_add_co_ci_u32_e32 v24, vcc_lo, 0, v22, vcc_lo
	s_clause 0x6
	global_load_u16 v10, v[21:22], off
	global_load_u16 v11, v[21:22], off offset:1024
	global_load_u16 v12, v[21:22], off offset:2048
	;; [unrolled: 1-line block ×3, first 2 shown]
	global_load_u16 v14, v[23:24], off
	global_load_u16 v15, v[23:24], off offset:1024
	global_load_u16 v16, v[23:24], off offset:2048
	s_mov_b32 s10, -1
	s_clause 0x7
	global_load_d16_b16 v17, v[23:24], off offset:3072
	global_load_d16_hi_b16 v10, v[21:22], off offset:512
	global_load_d16_hi_b16 v11, v[21:22], off offset:1536
	;; [unrolled: 1-line block ×7, first 2 shown]
	v_add_co_u32 v21, vcc_lo, 0x1e00, v21
	v_add_co_ci_u32_e32 v22, vcc_lo, 0, v22, vcc_lo
	s_cbranch_execz .LBB1022_904
; %bb.902:                              ;   in Loop: Header=BB1022_900 Depth=2
                                        ; implicit-def: $vgpr2_vgpr3_vgpr4_vgpr5_vgpr6_vgpr7_vgpr8_vgpr9
	v_mov_b32_e32 v0, s1
	s_and_saveexec_b32 s8, s10
	s_cbranch_execnz .LBB1022_923
	s_branch .LBB1022_924
.LBB1022_903:                           ;   in Loop: Header=BB1022_900 Depth=2
	s_mov_b32 s10, 0
                                        ; implicit-def: $sgpr11
                                        ; implicit-def: $vgpr10_vgpr11_vgpr12_vgpr13_vgpr14_vgpr15_vgpr16_vgpr17
                                        ; implicit-def: $vgpr21_vgpr22
.LBB1022_904:                           ;   in Loop: Header=BB1022_900 Depth=2
	s_lshl_b64 s[8:9], s[34:35], 1
	s_mov_b32 s11, exec_lo
	s_add_u32 s8, s36, s8
	s_addc_u32 s9, s37, s9
	v_cmpx_gt_u32_e64 s1, v18
	s_cbranch_execz .LBB1022_956
; %bb.905:                              ;   in Loop: Header=BB1022_900 Depth=2
	global_load_d16_b16 v2, v99, s[8:9]
	s_or_b32 exec_lo, exec_lo, s11
	s_delay_alu instid0(SALU_CYCLE_1)
	s_mov_b32 s11, exec_lo
	v_cmpx_gt_u32_e64 s1, v48
	s_cbranch_execnz .LBB1022_957
.LBB1022_906:                           ;   in Loop: Header=BB1022_900 Depth=2
	s_or_b32 exec_lo, exec_lo, s11
	s_delay_alu instid0(SALU_CYCLE_1)
	s_mov_b32 s11, exec_lo
	v_cmpx_gt_u32_e64 s1, v49
	s_cbranch_execz .LBB1022_958
.LBB1022_907:                           ;   in Loop: Header=BB1022_900 Depth=2
	global_load_d16_b16 v3, v99, s[8:9] offset:1024
	s_or_b32 exec_lo, exec_lo, s11
	s_delay_alu instid0(SALU_CYCLE_1)
	s_mov_b32 s11, exec_lo
	v_cmpx_gt_u32_e64 s1, v50
	s_cbranch_execnz .LBB1022_959
.LBB1022_908:                           ;   in Loop: Header=BB1022_900 Depth=2
	s_or_b32 exec_lo, exec_lo, s11
	s_delay_alu instid0(SALU_CYCLE_1)
	s_mov_b32 s11, exec_lo
	v_cmpx_gt_u32_e64 s1, v54
	s_cbranch_execz .LBB1022_960
.LBB1022_909:                           ;   in Loop: Header=BB1022_900 Depth=2
	global_load_d16_b16 v4, v99, s[8:9] offset:2048
	s_or_b32 exec_lo, exec_lo, s11
	s_delay_alu instid0(SALU_CYCLE_1)
	s_mov_b32 s11, exec_lo
	v_cmpx_gt_u32_e64 s1, v55
	s_cbranch_execnz .LBB1022_961
.LBB1022_910:                           ;   in Loop: Header=BB1022_900 Depth=2
	s_or_b32 exec_lo, exec_lo, s11
	s_delay_alu instid0(SALU_CYCLE_1)
	s_mov_b32 s11, exec_lo
	v_cmpx_gt_u32_e64 s1, v56
	s_cbranch_execz .LBB1022_962
.LBB1022_911:                           ;   in Loop: Header=BB1022_900 Depth=2
	global_load_d16_b16 v5, v99, s[8:9] offset:3072
	s_or_b32 exec_lo, exec_lo, s11
	s_delay_alu instid0(SALU_CYCLE_1)
	s_mov_b32 s11, exec_lo
	v_cmpx_gt_u32_e64 s1, v57
	s_cbranch_execnz .LBB1022_963
.LBB1022_912:                           ;   in Loop: Header=BB1022_900 Depth=2
	s_or_b32 exec_lo, exec_lo, s11
	s_delay_alu instid0(SALU_CYCLE_1)
	s_mov_b32 s11, exec_lo
	v_cmpx_gt_u32_e64 s1, v58
	s_cbranch_execz .LBB1022_964
.LBB1022_913:                           ;   in Loop: Header=BB1022_900 Depth=2
	v_lshlrev_b32_e32 v0, 1, v58
	global_load_d16_b16 v6, v0, s[8:9]
	s_or_b32 exec_lo, exec_lo, s11
	s_delay_alu instid0(SALU_CYCLE_1)
	s_mov_b32 s11, exec_lo
	v_cmpx_gt_u32_e64 s1, v59
	s_cbranch_execnz .LBB1022_965
.LBB1022_914:                           ;   in Loop: Header=BB1022_900 Depth=2
	s_or_b32 exec_lo, exec_lo, s11
	s_delay_alu instid0(SALU_CYCLE_1)
	s_mov_b32 s11, exec_lo
	v_cmpx_gt_u32_e64 s1, v60
	s_cbranch_execz .LBB1022_966
.LBB1022_915:                           ;   in Loop: Header=BB1022_900 Depth=2
	v_lshlrev_b32_e32 v0, 1, v60
	global_load_d16_b16 v7, v0, s[8:9]
	s_or_b32 exec_lo, exec_lo, s11
	s_delay_alu instid0(SALU_CYCLE_1)
	s_mov_b32 s11, exec_lo
	v_cmpx_gt_u32_e64 s1, v61
	s_cbranch_execnz .LBB1022_967
.LBB1022_916:                           ;   in Loop: Header=BB1022_900 Depth=2
	s_or_b32 exec_lo, exec_lo, s11
	s_delay_alu instid0(SALU_CYCLE_1)
	s_mov_b32 s11, exec_lo
	v_cmpx_gt_u32_e64 s1, v62
	s_cbranch_execz .LBB1022_968
.LBB1022_917:                           ;   in Loop: Header=BB1022_900 Depth=2
	v_lshlrev_b32_e32 v0, 1, v62
	global_load_d16_b16 v8, v0, s[8:9]
	s_or_b32 exec_lo, exec_lo, s11
	s_delay_alu instid0(SALU_CYCLE_1)
	s_mov_b32 s11, exec_lo
	v_cmpx_gt_u32_e64 s1, v63
	s_cbranch_execnz .LBB1022_969
.LBB1022_918:                           ;   in Loop: Header=BB1022_900 Depth=2
	s_or_b32 exec_lo, exec_lo, s11
	s_delay_alu instid0(SALU_CYCLE_1)
	s_mov_b32 s11, exec_lo
	v_cmpx_gt_u32_e64 s1, v64
	s_cbranch_execz .LBB1022_920
.LBB1022_919:                           ;   in Loop: Header=BB1022_900 Depth=2
	v_lshlrev_b32_e32 v0, 1, v64
	global_load_d16_b16 v9, v0, s[8:9]
.LBB1022_920:                           ;   in Loop: Header=BB1022_900 Depth=2
	s_or_b32 exec_lo, exec_lo, s11
	s_delay_alu instid0(SALU_CYCLE_1)
	s_mov_b32 s12, exec_lo
                                        ; implicit-def: $sgpr11
                                        ; implicit-def: $vgpr21_vgpr22
	v_cmpx_gt_u32_e64 s1, v66
; %bb.921:                              ;   in Loop: Header=BB1022_900 Depth=2
	v_lshlrev_b32_e32 v0, 1, v66
	s_sub_i32 s11, s63, s34
	s_or_b32 s10, s10, exec_lo
	s_delay_alu instid0(VALU_DEP_1) | instskip(NEXT) | instid1(VALU_DEP_1)
	v_add_co_u32 v21, s8, s8, v0
	v_add_co_ci_u32_e64 v22, null, s9, 0, s8
; %bb.922:                              ;   in Loop: Header=BB1022_900 Depth=2
	s_or_b32 exec_lo, exec_lo, s12
	s_waitcnt vmcnt(0)
	v_dual_mov_b32 v17, v9 :: v_dual_mov_b32 v16, v8
	v_dual_mov_b32 v15, v7 :: v_dual_mov_b32 v14, v6
	;; [unrolled: 1-line block ×4, first 2 shown]
	v_mov_b32_e32 v0, s1
	s_and_saveexec_b32 s8, s10
	s_cbranch_execz .LBB1022_924
.LBB1022_923:                           ;   in Loop: Header=BB1022_900 Depth=2
	global_load_d16_hi_b16 v17, v[21:22], off
	s_waitcnt vmcnt(0)
	v_dual_mov_b32 v2, v10 :: v_dual_mov_b32 v5, v13
	v_dual_mov_b32 v0, s11 :: v_dual_mov_b32 v3, v11
	;; [unrolled: 1-line block ×3, first 2 shown]
	v_mov_b32_e32 v6, v14
	v_dual_mov_b32 v8, v16 :: v_dual_mov_b32 v9, v17
.LBB1022_924:                           ;   in Loop: Header=BB1022_900 Depth=2
	s_or_b32 exec_lo, exec_lo, s8
	s_waitcnt vmcnt(6)
	v_lshlrev_b32_e32 v10, 2, v51
	s_mov_b32 s8, exec_lo
	v_cmpx_lt_u32_e64 v18, v0
	s_cbranch_execz .LBB1022_940
; %bb.925:                              ;   in Loop: Header=BB1022_900 Depth=2
	s_waitcnt vmcnt(5)
	v_xor_b32_e32 v11, 0xffff8000, v2
	s_delay_alu instid0(VALU_DEP_1) | instskip(NEXT) | instid1(VALU_DEP_1)
	v_and_b32_e32 v11, 0xffff, v11
	v_lshrrev_b32_e32 v11, s57, v11
	s_delay_alu instid0(VALU_DEP_1) | instskip(NEXT) | instid1(VALU_DEP_1)
	v_and_b32_e32 v11, s43, v11
	v_lshl_or_b32 v11, v11, 4, v10
	ds_add_u32 v11, v98
	s_or_b32 exec_lo, exec_lo, s8
	s_delay_alu instid0(SALU_CYCLE_1)
	s_mov_b32 s8, exec_lo
	v_cmpx_lt_u32_e64 v48, v0
	s_cbranch_execnz .LBB1022_941
.LBB1022_926:                           ;   in Loop: Header=BB1022_900 Depth=2
	s_or_b32 exec_lo, exec_lo, s8
	s_delay_alu instid0(SALU_CYCLE_1)
	s_mov_b32 s8, exec_lo
	v_cmpx_lt_u32_e64 v49, v0
	s_cbranch_execz .LBB1022_942
.LBB1022_927:                           ;   in Loop: Header=BB1022_900 Depth=2
	s_waitcnt vmcnt(5)
	v_xor_b32_e32 v11, 0xffff8000, v3
	s_delay_alu instid0(VALU_DEP_1) | instskip(NEXT) | instid1(VALU_DEP_1)
	v_and_b32_e32 v11, 0xffff, v11
	v_lshrrev_b32_e32 v11, s57, v11
	s_delay_alu instid0(VALU_DEP_1) | instskip(NEXT) | instid1(VALU_DEP_1)
	v_and_b32_e32 v11, s43, v11
	v_lshl_or_b32 v11, v11, 4, v10
	ds_add_u32 v11, v98
	s_or_b32 exec_lo, exec_lo, s8
	s_delay_alu instid0(SALU_CYCLE_1)
	s_mov_b32 s8, exec_lo
	v_cmpx_lt_u32_e64 v50, v0
	s_cbranch_execnz .LBB1022_943
.LBB1022_928:                           ;   in Loop: Header=BB1022_900 Depth=2
	s_or_b32 exec_lo, exec_lo, s8
	s_delay_alu instid0(SALU_CYCLE_1)
	s_mov_b32 s8, exec_lo
	v_cmpx_lt_u32_e64 v54, v0
	s_cbranch_execz .LBB1022_944
.LBB1022_929:                           ;   in Loop: Header=BB1022_900 Depth=2
	s_waitcnt vmcnt(5)
	v_xor_b32_e32 v11, 0xffff8000, v4
	s_delay_alu instid0(VALU_DEP_1) | instskip(NEXT) | instid1(VALU_DEP_1)
	v_and_b32_e32 v11, 0xffff, v11
	v_lshrrev_b32_e32 v11, s57, v11
	s_delay_alu instid0(VALU_DEP_1) | instskip(NEXT) | instid1(VALU_DEP_1)
	v_and_b32_e32 v11, s43, v11
	v_lshl_or_b32 v11, v11, 4, v10
	ds_add_u32 v11, v98
	s_or_b32 exec_lo, exec_lo, s8
	s_delay_alu instid0(SALU_CYCLE_1)
	s_mov_b32 s8, exec_lo
	v_cmpx_lt_u32_e64 v55, v0
	s_cbranch_execnz .LBB1022_945
.LBB1022_930:                           ;   in Loop: Header=BB1022_900 Depth=2
	s_or_b32 exec_lo, exec_lo, s8
	s_delay_alu instid0(SALU_CYCLE_1)
	s_mov_b32 s8, exec_lo
	v_cmpx_lt_u32_e64 v56, v0
	s_cbranch_execz .LBB1022_946
.LBB1022_931:                           ;   in Loop: Header=BB1022_900 Depth=2
	s_waitcnt vmcnt(5)
	v_xor_b32_e32 v11, 0xffff8000, v5
	s_delay_alu instid0(VALU_DEP_1) | instskip(NEXT) | instid1(VALU_DEP_1)
	v_and_b32_e32 v11, 0xffff, v11
	v_lshrrev_b32_e32 v11, s57, v11
	s_delay_alu instid0(VALU_DEP_1) | instskip(NEXT) | instid1(VALU_DEP_1)
	v_and_b32_e32 v11, s43, v11
	v_lshl_or_b32 v11, v11, 4, v10
	ds_add_u32 v11, v98
	s_or_b32 exec_lo, exec_lo, s8
	s_delay_alu instid0(SALU_CYCLE_1)
	s_mov_b32 s8, exec_lo
	v_cmpx_lt_u32_e64 v57, v0
	s_cbranch_execnz .LBB1022_947
.LBB1022_932:                           ;   in Loop: Header=BB1022_900 Depth=2
	s_or_b32 exec_lo, exec_lo, s8
	s_delay_alu instid0(SALU_CYCLE_1)
	s_mov_b32 s8, exec_lo
	v_cmpx_lt_u32_e64 v58, v0
	s_cbranch_execz .LBB1022_948
.LBB1022_933:                           ;   in Loop: Header=BB1022_900 Depth=2
	s_waitcnt vmcnt(5)
	v_xor_b32_e32 v11, 0xffff8000, v6
	s_delay_alu instid0(VALU_DEP_1) | instskip(NEXT) | instid1(VALU_DEP_1)
	v_and_b32_e32 v11, 0xffff, v11
	v_lshrrev_b32_e32 v11, s57, v11
	s_delay_alu instid0(VALU_DEP_1) | instskip(NEXT) | instid1(VALU_DEP_1)
	v_and_b32_e32 v11, s43, v11
	v_lshl_or_b32 v11, v11, 4, v10
	ds_add_u32 v11, v98
	s_or_b32 exec_lo, exec_lo, s8
	s_delay_alu instid0(SALU_CYCLE_1)
	s_mov_b32 s8, exec_lo
	v_cmpx_lt_u32_e64 v59, v0
	s_cbranch_execnz .LBB1022_949
.LBB1022_934:                           ;   in Loop: Header=BB1022_900 Depth=2
	s_or_b32 exec_lo, exec_lo, s8
	s_delay_alu instid0(SALU_CYCLE_1)
	s_mov_b32 s8, exec_lo
	v_cmpx_lt_u32_e64 v60, v0
	s_cbranch_execz .LBB1022_950
.LBB1022_935:                           ;   in Loop: Header=BB1022_900 Depth=2
	s_waitcnt vmcnt(5)
	v_xor_b32_e32 v11, 0xffff8000, v7
	s_delay_alu instid0(VALU_DEP_1) | instskip(NEXT) | instid1(VALU_DEP_1)
	v_and_b32_e32 v11, 0xffff, v11
	v_lshrrev_b32_e32 v11, s57, v11
	s_delay_alu instid0(VALU_DEP_1) | instskip(NEXT) | instid1(VALU_DEP_1)
	v_and_b32_e32 v11, s43, v11
	v_lshl_or_b32 v11, v11, 4, v10
	ds_add_u32 v11, v98
	s_or_b32 exec_lo, exec_lo, s8
	s_delay_alu instid0(SALU_CYCLE_1)
	s_mov_b32 s8, exec_lo
	v_cmpx_lt_u32_e64 v61, v0
	s_cbranch_execnz .LBB1022_951
.LBB1022_936:                           ;   in Loop: Header=BB1022_900 Depth=2
	s_or_b32 exec_lo, exec_lo, s8
	s_delay_alu instid0(SALU_CYCLE_1)
	s_mov_b32 s8, exec_lo
	v_cmpx_lt_u32_e64 v62, v0
	s_cbranch_execz .LBB1022_952
.LBB1022_937:                           ;   in Loop: Header=BB1022_900 Depth=2
	s_waitcnt vmcnt(5)
	v_xor_b32_e32 v11, 0xffff8000, v8
	s_delay_alu instid0(VALU_DEP_1) | instskip(NEXT) | instid1(VALU_DEP_1)
	v_and_b32_e32 v11, 0xffff, v11
	v_lshrrev_b32_e32 v11, s57, v11
	s_delay_alu instid0(VALU_DEP_1) | instskip(NEXT) | instid1(VALU_DEP_1)
	v_and_b32_e32 v11, s43, v11
	v_lshl_or_b32 v11, v11, 4, v10
	ds_add_u32 v11, v98
	s_or_b32 exec_lo, exec_lo, s8
	s_delay_alu instid0(SALU_CYCLE_1)
	s_mov_b32 s8, exec_lo
	v_cmpx_lt_u32_e64 v63, v0
	s_cbranch_execnz .LBB1022_953
.LBB1022_938:                           ;   in Loop: Header=BB1022_900 Depth=2
	s_or_b32 exec_lo, exec_lo, s8
	s_delay_alu instid0(SALU_CYCLE_1)
	s_mov_b32 s8, exec_lo
	v_cmpx_lt_u32_e64 v64, v0
	s_cbranch_execz .LBB1022_954
.LBB1022_939:                           ;   in Loop: Header=BB1022_900 Depth=2
	s_waitcnt vmcnt(5)
	v_xor_b32_e32 v11, 0xffff8000, v9
	s_delay_alu instid0(VALU_DEP_1) | instskip(NEXT) | instid1(VALU_DEP_1)
	v_and_b32_e32 v11, 0xffff, v11
	v_lshrrev_b32_e32 v11, s57, v11
	s_delay_alu instid0(VALU_DEP_1) | instskip(NEXT) | instid1(VALU_DEP_1)
	v_and_b32_e32 v11, s43, v11
	v_lshl_or_b32 v11, v11, 4, v10
	ds_add_u32 v11, v98
	s_or_b32 exec_lo, exec_lo, s8
	s_delay_alu instid0(SALU_CYCLE_1)
	s_mov_b32 s8, exec_lo
	v_cmpx_lt_u32_e64 v66, v0
	s_cbranch_execz .LBB1022_899
	s_branch .LBB1022_955
.LBB1022_940:                           ;   in Loop: Header=BB1022_900 Depth=2
	s_or_b32 exec_lo, exec_lo, s8
	s_delay_alu instid0(SALU_CYCLE_1)
	s_mov_b32 s8, exec_lo
	v_cmpx_lt_u32_e64 v48, v0
	s_cbranch_execz .LBB1022_926
.LBB1022_941:                           ;   in Loop: Header=BB1022_900 Depth=2
	s_waitcnt vmcnt(5)
	v_lshrrev_b32_e32 v11, 16, v2
	s_delay_alu instid0(VALU_DEP_1) | instskip(NEXT) | instid1(VALU_DEP_1)
	v_xor_b32_e32 v11, 0xffff8000, v11
	v_and_b32_e32 v11, 0xffff, v11
	s_delay_alu instid0(VALU_DEP_1) | instskip(NEXT) | instid1(VALU_DEP_1)
	v_lshrrev_b32_e32 v11, s57, v11
	v_and_b32_e32 v11, s43, v11
	s_delay_alu instid0(VALU_DEP_1) | instskip(SKIP_2) | instid1(SALU_CYCLE_1)
	v_lshl_or_b32 v11, v11, 4, v10
	ds_add_u32 v11, v98
	s_or_b32 exec_lo, exec_lo, s8
	s_mov_b32 s8, exec_lo
	v_cmpx_lt_u32_e64 v49, v0
	s_cbranch_execnz .LBB1022_927
.LBB1022_942:                           ;   in Loop: Header=BB1022_900 Depth=2
	s_or_b32 exec_lo, exec_lo, s8
	s_delay_alu instid0(SALU_CYCLE_1)
	s_mov_b32 s8, exec_lo
	v_cmpx_lt_u32_e64 v50, v0
	s_cbranch_execz .LBB1022_928
.LBB1022_943:                           ;   in Loop: Header=BB1022_900 Depth=2
	s_waitcnt vmcnt(5)
	v_lshrrev_b32_e32 v11, 16, v3
	s_delay_alu instid0(VALU_DEP_1) | instskip(NEXT) | instid1(VALU_DEP_1)
	v_xor_b32_e32 v11, 0xffff8000, v11
	v_and_b32_e32 v11, 0xffff, v11
	s_delay_alu instid0(VALU_DEP_1) | instskip(NEXT) | instid1(VALU_DEP_1)
	v_lshrrev_b32_e32 v11, s57, v11
	v_and_b32_e32 v11, s43, v11
	s_delay_alu instid0(VALU_DEP_1) | instskip(SKIP_2) | instid1(SALU_CYCLE_1)
	v_lshl_or_b32 v11, v11, 4, v10
	ds_add_u32 v11, v98
	s_or_b32 exec_lo, exec_lo, s8
	s_mov_b32 s8, exec_lo
	v_cmpx_lt_u32_e64 v54, v0
	s_cbranch_execnz .LBB1022_929
.LBB1022_944:                           ;   in Loop: Header=BB1022_900 Depth=2
	s_or_b32 exec_lo, exec_lo, s8
	s_delay_alu instid0(SALU_CYCLE_1)
	s_mov_b32 s8, exec_lo
	v_cmpx_lt_u32_e64 v55, v0
	s_cbranch_execz .LBB1022_930
.LBB1022_945:                           ;   in Loop: Header=BB1022_900 Depth=2
	s_waitcnt vmcnt(5)
	v_lshrrev_b32_e32 v11, 16, v4
	s_delay_alu instid0(VALU_DEP_1) | instskip(NEXT) | instid1(VALU_DEP_1)
	v_xor_b32_e32 v11, 0xffff8000, v11
	v_and_b32_e32 v11, 0xffff, v11
	s_delay_alu instid0(VALU_DEP_1) | instskip(NEXT) | instid1(VALU_DEP_1)
	v_lshrrev_b32_e32 v11, s57, v11
	v_and_b32_e32 v11, s43, v11
	s_delay_alu instid0(VALU_DEP_1) | instskip(SKIP_2) | instid1(SALU_CYCLE_1)
	v_lshl_or_b32 v11, v11, 4, v10
	ds_add_u32 v11, v98
	s_or_b32 exec_lo, exec_lo, s8
	s_mov_b32 s8, exec_lo
	v_cmpx_lt_u32_e64 v56, v0
	s_cbranch_execnz .LBB1022_931
.LBB1022_946:                           ;   in Loop: Header=BB1022_900 Depth=2
	s_or_b32 exec_lo, exec_lo, s8
	s_delay_alu instid0(SALU_CYCLE_1)
	s_mov_b32 s8, exec_lo
	v_cmpx_lt_u32_e64 v57, v0
	s_cbranch_execz .LBB1022_932
.LBB1022_947:                           ;   in Loop: Header=BB1022_900 Depth=2
	s_waitcnt vmcnt(5)
	v_lshrrev_b32_e32 v11, 16, v5
	s_delay_alu instid0(VALU_DEP_1) | instskip(NEXT) | instid1(VALU_DEP_1)
	v_xor_b32_e32 v11, 0xffff8000, v11
	v_and_b32_e32 v11, 0xffff, v11
	s_delay_alu instid0(VALU_DEP_1) | instskip(NEXT) | instid1(VALU_DEP_1)
	v_lshrrev_b32_e32 v11, s57, v11
	v_and_b32_e32 v11, s43, v11
	s_delay_alu instid0(VALU_DEP_1) | instskip(SKIP_2) | instid1(SALU_CYCLE_1)
	v_lshl_or_b32 v11, v11, 4, v10
	ds_add_u32 v11, v98
	s_or_b32 exec_lo, exec_lo, s8
	s_mov_b32 s8, exec_lo
	v_cmpx_lt_u32_e64 v58, v0
	s_cbranch_execnz .LBB1022_933
.LBB1022_948:                           ;   in Loop: Header=BB1022_900 Depth=2
	s_or_b32 exec_lo, exec_lo, s8
	s_delay_alu instid0(SALU_CYCLE_1)
	s_mov_b32 s8, exec_lo
	v_cmpx_lt_u32_e64 v59, v0
	s_cbranch_execz .LBB1022_934
.LBB1022_949:                           ;   in Loop: Header=BB1022_900 Depth=2
	s_waitcnt vmcnt(5)
	v_lshrrev_b32_e32 v11, 16, v6
	s_delay_alu instid0(VALU_DEP_1) | instskip(NEXT) | instid1(VALU_DEP_1)
	v_xor_b32_e32 v11, 0xffff8000, v11
	v_and_b32_e32 v11, 0xffff, v11
	s_delay_alu instid0(VALU_DEP_1) | instskip(NEXT) | instid1(VALU_DEP_1)
	v_lshrrev_b32_e32 v11, s57, v11
	v_and_b32_e32 v11, s43, v11
	s_delay_alu instid0(VALU_DEP_1) | instskip(SKIP_2) | instid1(SALU_CYCLE_1)
	v_lshl_or_b32 v11, v11, 4, v10
	ds_add_u32 v11, v98
	s_or_b32 exec_lo, exec_lo, s8
	s_mov_b32 s8, exec_lo
	v_cmpx_lt_u32_e64 v60, v0
	s_cbranch_execnz .LBB1022_935
.LBB1022_950:                           ;   in Loop: Header=BB1022_900 Depth=2
	s_or_b32 exec_lo, exec_lo, s8
	s_delay_alu instid0(SALU_CYCLE_1)
	s_mov_b32 s8, exec_lo
	v_cmpx_lt_u32_e64 v61, v0
	s_cbranch_execz .LBB1022_936
.LBB1022_951:                           ;   in Loop: Header=BB1022_900 Depth=2
	s_waitcnt vmcnt(5)
	v_lshrrev_b32_e32 v11, 16, v7
	s_delay_alu instid0(VALU_DEP_1) | instskip(NEXT) | instid1(VALU_DEP_1)
	v_xor_b32_e32 v11, 0xffff8000, v11
	v_and_b32_e32 v11, 0xffff, v11
	s_delay_alu instid0(VALU_DEP_1) | instskip(NEXT) | instid1(VALU_DEP_1)
	v_lshrrev_b32_e32 v11, s57, v11
	v_and_b32_e32 v11, s43, v11
	s_delay_alu instid0(VALU_DEP_1) | instskip(SKIP_2) | instid1(SALU_CYCLE_1)
	v_lshl_or_b32 v11, v11, 4, v10
	ds_add_u32 v11, v98
	s_or_b32 exec_lo, exec_lo, s8
	s_mov_b32 s8, exec_lo
	v_cmpx_lt_u32_e64 v62, v0
	s_cbranch_execnz .LBB1022_937
.LBB1022_952:                           ;   in Loop: Header=BB1022_900 Depth=2
	s_or_b32 exec_lo, exec_lo, s8
	s_delay_alu instid0(SALU_CYCLE_1)
	s_mov_b32 s8, exec_lo
	v_cmpx_lt_u32_e64 v63, v0
	s_cbranch_execz .LBB1022_938
.LBB1022_953:                           ;   in Loop: Header=BB1022_900 Depth=2
	s_waitcnt vmcnt(5)
	v_lshrrev_b32_e32 v11, 16, v8
	s_delay_alu instid0(VALU_DEP_1) | instskip(NEXT) | instid1(VALU_DEP_1)
	v_xor_b32_e32 v11, 0xffff8000, v11
	v_and_b32_e32 v11, 0xffff, v11
	s_delay_alu instid0(VALU_DEP_1) | instskip(NEXT) | instid1(VALU_DEP_1)
	v_lshrrev_b32_e32 v11, s57, v11
	v_and_b32_e32 v11, s43, v11
	s_delay_alu instid0(VALU_DEP_1) | instskip(SKIP_2) | instid1(SALU_CYCLE_1)
	v_lshl_or_b32 v11, v11, 4, v10
	ds_add_u32 v11, v98
	s_or_b32 exec_lo, exec_lo, s8
	s_mov_b32 s8, exec_lo
	v_cmpx_lt_u32_e64 v64, v0
	s_cbranch_execnz .LBB1022_939
.LBB1022_954:                           ;   in Loop: Header=BB1022_900 Depth=2
	s_or_b32 exec_lo, exec_lo, s8
	s_delay_alu instid0(SALU_CYCLE_1)
	s_mov_b32 s8, exec_lo
	v_cmpx_lt_u32_e64 v66, v0
	s_cbranch_execz .LBB1022_899
.LBB1022_955:                           ;   in Loop: Header=BB1022_900 Depth=2
	v_lshrrev_b32_e32 v0, 16, v9
	s_delay_alu instid0(VALU_DEP_1) | instskip(NEXT) | instid1(VALU_DEP_1)
	v_xor_b32_e32 v0, 0xffff8000, v0
	v_and_b32_e32 v0, 0xffff, v0
	s_delay_alu instid0(VALU_DEP_1) | instskip(NEXT) | instid1(VALU_DEP_1)
	v_lshrrev_b32_e32 v0, s57, v0
	v_and_b32_e32 v0, s43, v0
	s_delay_alu instid0(VALU_DEP_1)
	v_lshl_or_b32 v0, v0, 4, v10
	ds_add_u32 v0, v98
	s_branch .LBB1022_899
.LBB1022_956:                           ;   in Loop: Header=BB1022_900 Depth=2
	s_or_b32 exec_lo, exec_lo, s11
	s_delay_alu instid0(SALU_CYCLE_1)
	s_mov_b32 s11, exec_lo
	v_cmpx_gt_u32_e64 s1, v48
	s_cbranch_execz .LBB1022_906
.LBB1022_957:                           ;   in Loop: Header=BB1022_900 Depth=2
	global_load_d16_hi_b16 v2, v99, s[8:9] offset:512
	s_or_b32 exec_lo, exec_lo, s11
	s_delay_alu instid0(SALU_CYCLE_1)
	s_mov_b32 s11, exec_lo
	v_cmpx_gt_u32_e64 s1, v49
	s_cbranch_execnz .LBB1022_907
.LBB1022_958:                           ;   in Loop: Header=BB1022_900 Depth=2
	s_or_b32 exec_lo, exec_lo, s11
	s_delay_alu instid0(SALU_CYCLE_1)
	s_mov_b32 s11, exec_lo
	v_cmpx_gt_u32_e64 s1, v50
	s_cbranch_execz .LBB1022_908
.LBB1022_959:                           ;   in Loop: Header=BB1022_900 Depth=2
	global_load_d16_hi_b16 v3, v99, s[8:9] offset:1536
	s_or_b32 exec_lo, exec_lo, s11
	s_delay_alu instid0(SALU_CYCLE_1)
	s_mov_b32 s11, exec_lo
	v_cmpx_gt_u32_e64 s1, v54
	s_cbranch_execnz .LBB1022_909
.LBB1022_960:                           ;   in Loop: Header=BB1022_900 Depth=2
	s_or_b32 exec_lo, exec_lo, s11
	s_delay_alu instid0(SALU_CYCLE_1)
	s_mov_b32 s11, exec_lo
	v_cmpx_gt_u32_e64 s1, v55
	s_cbranch_execz .LBB1022_910
.LBB1022_961:                           ;   in Loop: Header=BB1022_900 Depth=2
	global_load_d16_hi_b16 v4, v99, s[8:9] offset:2560
	s_or_b32 exec_lo, exec_lo, s11
	s_delay_alu instid0(SALU_CYCLE_1)
	s_mov_b32 s11, exec_lo
	v_cmpx_gt_u32_e64 s1, v56
	s_cbranch_execnz .LBB1022_911
.LBB1022_962:                           ;   in Loop: Header=BB1022_900 Depth=2
	s_or_b32 exec_lo, exec_lo, s11
	s_delay_alu instid0(SALU_CYCLE_1)
	s_mov_b32 s11, exec_lo
	v_cmpx_gt_u32_e64 s1, v57
	s_cbranch_execz .LBB1022_912
.LBB1022_963:                           ;   in Loop: Header=BB1022_900 Depth=2
	global_load_d16_hi_b16 v5, v99, s[8:9] offset:3584
	s_or_b32 exec_lo, exec_lo, s11
	s_delay_alu instid0(SALU_CYCLE_1)
	s_mov_b32 s11, exec_lo
	v_cmpx_gt_u32_e64 s1, v58
	s_cbranch_execnz .LBB1022_913
.LBB1022_964:                           ;   in Loop: Header=BB1022_900 Depth=2
	s_or_b32 exec_lo, exec_lo, s11
	s_delay_alu instid0(SALU_CYCLE_1)
	s_mov_b32 s11, exec_lo
	v_cmpx_gt_u32_e64 s1, v59
	s_cbranch_execz .LBB1022_914
.LBB1022_965:                           ;   in Loop: Header=BB1022_900 Depth=2
	v_lshlrev_b32_e32 v0, 1, v59
	global_load_d16_hi_b16 v6, v0, s[8:9]
	s_or_b32 exec_lo, exec_lo, s11
	s_delay_alu instid0(SALU_CYCLE_1)
	s_mov_b32 s11, exec_lo
	v_cmpx_gt_u32_e64 s1, v60
	s_cbranch_execnz .LBB1022_915
.LBB1022_966:                           ;   in Loop: Header=BB1022_900 Depth=2
	s_or_b32 exec_lo, exec_lo, s11
	s_delay_alu instid0(SALU_CYCLE_1)
	s_mov_b32 s11, exec_lo
	v_cmpx_gt_u32_e64 s1, v61
	s_cbranch_execz .LBB1022_916
.LBB1022_967:                           ;   in Loop: Header=BB1022_900 Depth=2
	v_lshlrev_b32_e32 v0, 1, v61
	global_load_d16_hi_b16 v7, v0, s[8:9]
	s_or_b32 exec_lo, exec_lo, s11
	s_delay_alu instid0(SALU_CYCLE_1)
	s_mov_b32 s11, exec_lo
	v_cmpx_gt_u32_e64 s1, v62
	s_cbranch_execnz .LBB1022_917
.LBB1022_968:                           ;   in Loop: Header=BB1022_900 Depth=2
	s_or_b32 exec_lo, exec_lo, s11
	s_delay_alu instid0(SALU_CYCLE_1)
	s_mov_b32 s11, exec_lo
	v_cmpx_gt_u32_e64 s1, v63
	s_cbranch_execz .LBB1022_918
.LBB1022_969:                           ;   in Loop: Header=BB1022_900 Depth=2
	v_lshlrev_b32_e32 v0, 1, v63
	global_load_d16_hi_b16 v8, v0, s[8:9]
	s_or_b32 exec_lo, exec_lo, s11
	s_delay_alu instid0(SALU_CYCLE_1)
	s_mov_b32 s11, exec_lo
	v_cmpx_gt_u32_e64 s1, v64
	s_cbranch_execz .LBB1022_920
	s_branch .LBB1022_919
.LBB1022_970:                           ;   in Loop: Header=BB1022_12 Depth=1
	v_mov_b32_e32 v0, 0
	s_waitcnt vmcnt(0) lgkmcnt(0)
	s_barrier
	buffer_gl0_inv
	s_and_saveexec_b32 s1, s2
	s_cbranch_execz .LBB1022_972
; %bb.971:                              ;   in Loop: Header=BB1022_12 Depth=1
	ds_load_2addr_b64 v[2:5], v67 offset1:1
	s_waitcnt lgkmcnt(0)
	v_add_nc_u32_e32 v0, v3, v2
	s_delay_alu instid0(VALU_DEP_1)
	v_add3_u32 v0, v0, v4, v5
.LBB1022_972:                           ;   in Loop: Header=BB1022_12 Depth=1
	s_or_b32 exec_lo, exec_lo, s1
	v_and_b32_e32 v2, 15, v100
	s_delay_alu instid0(VALU_DEP_2) | instskip(SKIP_1) | instid1(VALU_DEP_3)
	v_mov_b32_dpp v3, v0 row_shr:1 row_mask:0xf bank_mask:0xf
	v_and_b32_e32 v4, 16, v100
	v_cmp_eq_u32_e64 s1, 0, v2
	v_cmp_lt_u32_e64 s7, 1, v2
	v_cmp_lt_u32_e64 s8, 3, v2
	v_cmp_lt_u32_e64 s9, 7, v2
	v_cmp_eq_u32_e64 s10, 0, v4
	v_cndmask_b32_e64 v3, v3, 0, s1
	s_delay_alu instid0(VALU_DEP_1) | instskip(NEXT) | instid1(VALU_DEP_1)
	v_add_nc_u32_e32 v0, v3, v0
	v_mov_b32_dpp v3, v0 row_shr:2 row_mask:0xf bank_mask:0xf
	s_delay_alu instid0(VALU_DEP_1) | instskip(NEXT) | instid1(VALU_DEP_1)
	v_cndmask_b32_e64 v3, 0, v3, s7
	v_add_nc_u32_e32 v0, v0, v3
	s_delay_alu instid0(VALU_DEP_1) | instskip(NEXT) | instid1(VALU_DEP_1)
	v_mov_b32_dpp v3, v0 row_shr:4 row_mask:0xf bank_mask:0xf
	v_cndmask_b32_e64 v3, 0, v3, s8
	s_delay_alu instid0(VALU_DEP_1) | instskip(NEXT) | instid1(VALU_DEP_1)
	v_add_nc_u32_e32 v0, v0, v3
	v_mov_b32_dpp v3, v0 row_shr:8 row_mask:0xf bank_mask:0xf
	s_delay_alu instid0(VALU_DEP_1) | instskip(SKIP_1) | instid1(VALU_DEP_2)
	v_cndmask_b32_e64 v2, 0, v3, s9
	v_bfe_i32 v3, v100, 4, 1
	v_add_nc_u32_e32 v0, v0, v2
	ds_swizzle_b32 v2, v0 offset:swizzle(BROADCAST,32,15)
	s_waitcnt lgkmcnt(0)
	v_and_b32_e32 v2, v3, v2
	s_delay_alu instid0(VALU_DEP_1)
	v_add_nc_u32_e32 v2, v0, v2
	s_and_saveexec_b32 s11, s3
	s_cbranch_execz .LBB1022_974
; %bb.973:                              ;   in Loop: Header=BB1022_12 Depth=1
	ds_store_b32 v68, v2
.LBB1022_974:                           ;   in Loop: Header=BB1022_12 Depth=1
	s_or_b32 exec_lo, exec_lo, s11
	v_and_b32_e32 v0, 7, v100
	s_waitcnt lgkmcnt(0)
	s_barrier
	buffer_gl0_inv
	s_and_saveexec_b32 s11, s4
	s_cbranch_execz .LBB1022_976
; %bb.975:                              ;   in Loop: Header=BB1022_12 Depth=1
	ds_load_b32 v3, v69
	v_cmp_ne_u32_e32 vcc_lo, 0, v0
	s_waitcnt lgkmcnt(0)
	v_mov_b32_dpp v4, v3 row_shr:1 row_mask:0xf bank_mask:0xf
	s_delay_alu instid0(VALU_DEP_1) | instskip(SKIP_1) | instid1(VALU_DEP_2)
	v_cndmask_b32_e32 v4, 0, v4, vcc_lo
	v_cmp_lt_u32_e32 vcc_lo, 1, v0
	v_add_nc_u32_e32 v3, v4, v3
	s_delay_alu instid0(VALU_DEP_1) | instskip(NEXT) | instid1(VALU_DEP_1)
	v_mov_b32_dpp v4, v3 row_shr:2 row_mask:0xf bank_mask:0xf
	v_cndmask_b32_e32 v4, 0, v4, vcc_lo
	v_cmp_lt_u32_e32 vcc_lo, 3, v0
	s_delay_alu instid0(VALU_DEP_2) | instskip(NEXT) | instid1(VALU_DEP_1)
	v_add_nc_u32_e32 v3, v3, v4
	v_mov_b32_dpp v4, v3 row_shr:4 row_mask:0xf bank_mask:0xf
	s_delay_alu instid0(VALU_DEP_1) | instskip(NEXT) | instid1(VALU_DEP_1)
	v_cndmask_b32_e32 v4, 0, v4, vcc_lo
	v_add_nc_u32_e32 v3, v3, v4
	ds_store_b32 v69, v3
.LBB1022_976:                           ;   in Loop: Header=BB1022_12 Depth=1
	s_or_b32 exec_lo, exec_lo, s11
	v_mov_b32_e32 v3, 0
	s_waitcnt lgkmcnt(0)
	s_barrier
	buffer_gl0_inv
	s_and_saveexec_b32 s11, s5
	s_cbranch_execz .LBB1022_978
; %bb.977:                              ;   in Loop: Header=BB1022_12 Depth=1
	ds_load_b32 v3, v70
.LBB1022_978:                           ;   in Loop: Header=BB1022_12 Depth=1
	s_or_b32 exec_lo, exec_lo, s11
	v_add_nc_u32_e32 v4, -1, v100
	s_waitcnt lgkmcnt(0)
	v_add_nc_u32_e32 v2, v3, v2
	v_cmp_eq_u32_e64 s11, 0, v100
	s_barrier
	v_cmp_gt_i32_e32 vcc_lo, 0, v4
	buffer_gl0_inv
	v_cndmask_b32_e32 v4, v4, v100, vcc_lo
	s_delay_alu instid0(VALU_DEP_1)
	v_lshlrev_b32_e32 v101, 2, v4
	ds_bpermute_b32 v2, v101, v2
	s_and_saveexec_b32 s12, s2
	s_cbranch_execz .LBB1022_980
; %bb.979:                              ;   in Loop: Header=BB1022_12 Depth=1
	s_waitcnt lgkmcnt(0)
	v_cndmask_b32_e64 v2, v2, v3, s11
	s_delay_alu instid0(VALU_DEP_1)
	v_add_nc_u32_e32 v2, s62, v2
	ds_store_b32 v47, v2
.LBB1022_980:                           ;   in Loop: Header=BB1022_12 Depth=1
	s_or_b32 exec_lo, exec_lo, s12
	s_load_b64 s[12:13], s[60:61], 0x0
	v_lshlrev_b32_e32 v3, 3, v100
	v_cmp_lt_u32_e64 s14, 3, v0
	v_or_b32_e32 v102, v100, v71
	s_mov_b32 s56, s64
	s_mov_b32 s34, s62
	v_add_co_u32 v103, vcc_lo, v94, v3
	v_add_co_ci_u32_e32 v104, vcc_lo, 0, v95, vcc_lo
	v_or_b32_e32 v105, 32, v102
	v_or_b32_e32 v106, 64, v102
	;; [unrolled: 1-line block ×10, first 2 shown]
	s_waitcnt lgkmcnt(0)
	s_cmp_lt_u32 s15, s13
	v_or_b32_e32 v115, 0x160, v102
	s_cselect_b32 s13, 14, 20
	v_or_b32_e32 v116, 0x180, v102
	s_add_u32 s16, s60, s13
	s_addc_u32 s17, s61, 0
	s_cmp_lt_u32 s26, s12
	global_load_u16 v2, v20, s[16:17]
	s_cselect_b32 s12, 12, 18
	v_or_b32_e32 v117, 0x1a0, v102
	s_add_u32 s12, s60, s12
	s_addc_u32 s13, s61, 0
	v_or_b32_e32 v118, 0x1c0, v102
	global_load_u16 v4, v20, s[12:13]
	v_cmp_eq_u32_e64 s12, 0, v0
	v_cmp_lt_u32_e64 s13, 1, v0
	v_lshlrev_b32_e32 v0, 1, v100
	v_or_b32_e32 v119, 0x1e0, v102
                                        ; implicit-def: $vgpr10_vgpr11
                                        ; implicit-def: $vgpr12_vgpr13
                                        ; implicit-def: $vgpr14_vgpr15
                                        ; implicit-def: $vgpr16_vgpr17
                                        ; implicit-def: $vgpr21_vgpr22
                                        ; implicit-def: $vgpr23_vgpr24
                                        ; implicit-def: $vgpr25_vgpr26
                                        ; implicit-def: $vgpr27_vgpr28
                                        ; implicit-def: $vgpr29_vgpr30
                                        ; implicit-def: $vgpr31_vgpr32
                                        ; implicit-def: $vgpr33_vgpr34
                                        ; implicit-def: $vgpr35_vgpr36
                                        ; implicit-def: $vgpr37_vgpr38
                                        ; implicit-def: $vgpr39_vgpr40
                                        ; implicit-def: $vgpr41_vgpr42
                                        ; implicit-def: $vgpr43_vgpr44
                                        ; implicit-def: $vgpr125
                                        ; implicit-def: $vgpr126
                                        ; implicit-def: $vgpr127
                                        ; implicit-def: $vgpr128
                                        ; implicit-def: $vgpr129
                                        ; implicit-def: $vgpr130
                                        ; implicit-def: $vgpr131
                                        ; implicit-def: $vgpr132
                                        ; implicit-def: $vgpr133
                                        ; implicit-def: $vgpr134
                                        ; implicit-def: $vgpr135
                                        ; implicit-def: $vgpr136
                                        ; implicit-def: $vgpr137
                                        ; implicit-def: $vgpr138
                                        ; implicit-def: $vgpr139
                                        ; implicit-def: $vgpr140
                                        ; implicit-def: $vgpr9
	s_delay_alu instid0(VALU_DEP_2) | instskip(SKIP_1) | instid1(VALU_DEP_2)
	v_add_co_u32 v120, vcc_lo, v96, v0
	v_add_co_ci_u32_e32 v121, vcc_lo, 0, v97, vcc_lo
	v_add_co_u32 v123, vcc_lo, 0x3c0, v120
	s_delay_alu instid0(VALU_DEP_2) | instskip(SKIP_3) | instid1(VALU_DEP_1)
	v_add_co_ci_u32_e32 v124, vcc_lo, 0, v121, vcc_lo
	s_waitcnt vmcnt(1)
	v_mad_u32_u24 v5, v72, v2, v74
	s_waitcnt vmcnt(0)
	v_mad_u64_u32 v[2:3], null, v5, v4, v[18:19]
	s_delay_alu instid0(VALU_DEP_1)
	v_lshrrev_b32_e32 v122, 5, v2
	s_branch .LBB1022_982
.LBB1022_981:                           ;   in Loop: Header=BB1022_982 Depth=2
	s_or_b32 exec_lo, exec_lo, s16
	s_addk_i32 s56, 0xf000
	s_cmp_lt_u32 s65, s63
	s_mov_b32 s34, s65
	s_cbranch_scc0 .LBB1022_10
.LBB1022_982:                           ;   Parent Loop BB1022_12 Depth=1
                                        ; =>  This Inner Loop Header: Depth=2
	s_add_i32 s65, s34, 0x1000
	s_delay_alu instid0(SALU_CYCLE_1)
	s_cmp_gt_u32 s65, s63
	s_cbranch_scc1 .LBB1022_984
; %bb.983:                              ;   in Loop: Header=BB1022_982 Depth=2
	s_mov_b32 s17, 0
	s_mov_b32 s16, s34
	s_delay_alu instid0(SALU_CYCLE_1) | instskip(NEXT) | instid1(SALU_CYCLE_1)
	s_lshl_b64 s[18:19], s[16:17], 1
	v_add_co_u32 v45, vcc_lo, v120, s18
	v_add_co_ci_u32_e32 v46, vcc_lo, s19, v121, vcc_lo
	s_mov_b32 s19, -1
	s_movk_i32 s18, 0x1000
	s_clause 0xe
	global_load_u16 v2, v[45:46], off
	global_load_u16 v3, v[45:46], off offset:128
	global_load_u16 v4, v[45:46], off offset:256
	;; [unrolled: 1-line block ×6, first 2 shown]
	global_load_d16_b16 v9, v[45:46], off offset:896
	global_load_d16_hi_b16 v2, v[45:46], off offset:64
	global_load_d16_hi_b16 v3, v[45:46], off offset:192
	;; [unrolled: 1-line block ×7, first 2 shown]
	s_cbranch_execz .LBB1022_985
	s_branch .LBB1022_1002
.LBB1022_984:                           ;   in Loop: Header=BB1022_982 Depth=2
	s_mov_b32 s17, -1
	s_mov_b32 s19, 0
                                        ; implicit-def: $sgpr18
                                        ; implicit-def: $vgpr2_vgpr3_vgpr4_vgpr5_vgpr6_vgpr7_vgpr8_vgpr9
.LBB1022_985:                           ;   in Loop: Header=BB1022_982 Depth=2
	s_lshl_b64 s[16:17], s[34:35], 1
	s_mov_b32 s45, s44
	v_add_co_u32 v45, vcc_lo, v120, s16
	s_mov_b32 s46, s44
	s_mov_b32 s47, s44
	;; [unrolled: 1-line block ×6, first 2 shown]
	s_waitcnt vmcnt(0)
	v_dual_mov_b32 v2, s44 :: v_dual_mov_b32 v3, s45
	v_add_co_ci_u32_e32 v46, vcc_lo, s17, v121, vcc_lo
	v_dual_mov_b32 v4, s46 :: v_dual_mov_b32 v5, s47
	v_dual_mov_b32 v6, s48 :: v_dual_mov_b32 v7, s49
	;; [unrolled: 1-line block ×3, first 2 shown]
	s_mov_b32 s16, exec_lo
	v_cmpx_gt_u32_e64 s56, v102
	s_cbranch_execz .LBB1022_1176
; %bb.986:                              ;   in Loop: Header=BB1022_982 Depth=2
	v_dual_mov_b32 v0, 0x7fff0000 :: v_dual_mov_b32 v3, v1
	v_mov_b32_e32 v7, v1
	v_mov_b32_e32 v2, v1
	;; [unrolled: 1-line block ×3, first 2 shown]
	global_load_d16_b16 v0, v[45:46], off
	v_mov_b32_e32 v5, v1
	v_mov_b32_e32 v6, v1
	s_waitcnt vmcnt(0)
	v_mov_b32_e32 v9, v7
	s_delay_alu instid0(VALU_DEP_2)
	v_dual_mov_b32 v8, v6 :: v_dual_mov_b32 v7, v5
	v_mov_b32_e32 v6, v4
	v_mov_b32_e32 v5, v3
	;; [unrolled: 1-line block ×5, first 2 shown]
	s_or_b32 exec_lo, exec_lo, s16
	s_delay_alu instid0(SALU_CYCLE_1)
	s_mov_b32 s16, exec_lo
	v_cmpx_gt_u32_e64 s56, v105
	s_cbranch_execnz .LBB1022_1177
.LBB1022_987:                           ;   in Loop: Header=BB1022_982 Depth=2
	s_or_b32 exec_lo, exec_lo, s16
	s_delay_alu instid0(SALU_CYCLE_1)
	s_mov_b32 s16, exec_lo
	v_cmpx_gt_u32_e64 s56, v106
	s_cbranch_execz .LBB1022_1178
.LBB1022_988:                           ;   in Loop: Header=BB1022_982 Depth=2
	global_load_d16_b16 v3, v[45:46], off offset:128
	s_or_b32 exec_lo, exec_lo, s16
	s_delay_alu instid0(SALU_CYCLE_1)
	s_mov_b32 s16, exec_lo
	v_cmpx_gt_u32_e64 s56, v107
	s_cbranch_execnz .LBB1022_1179
.LBB1022_989:                           ;   in Loop: Header=BB1022_982 Depth=2
	s_or_b32 exec_lo, exec_lo, s16
	s_delay_alu instid0(SALU_CYCLE_1)
	s_mov_b32 s16, exec_lo
	v_cmpx_gt_u32_e64 s56, v108
	s_cbranch_execz .LBB1022_1180
.LBB1022_990:                           ;   in Loop: Header=BB1022_982 Depth=2
	global_load_d16_b16 v4, v[45:46], off offset:256
	s_or_b32 exec_lo, exec_lo, s16
	s_delay_alu instid0(SALU_CYCLE_1)
	s_mov_b32 s16, exec_lo
	v_cmpx_gt_u32_e64 s56, v109
	s_cbranch_execnz .LBB1022_1181
.LBB1022_991:                           ;   in Loop: Header=BB1022_982 Depth=2
	s_or_b32 exec_lo, exec_lo, s16
	s_delay_alu instid0(SALU_CYCLE_1)
	s_mov_b32 s16, exec_lo
	v_cmpx_gt_u32_e64 s56, v110
	s_cbranch_execz .LBB1022_1182
.LBB1022_992:                           ;   in Loop: Header=BB1022_982 Depth=2
	global_load_d16_b16 v5, v[45:46], off offset:384
	s_or_b32 exec_lo, exec_lo, s16
	s_delay_alu instid0(SALU_CYCLE_1)
	s_mov_b32 s16, exec_lo
	v_cmpx_gt_u32_e64 s56, v111
	s_cbranch_execnz .LBB1022_1183
.LBB1022_993:                           ;   in Loop: Header=BB1022_982 Depth=2
	s_or_b32 exec_lo, exec_lo, s16
	s_delay_alu instid0(SALU_CYCLE_1)
	s_mov_b32 s16, exec_lo
	v_cmpx_gt_u32_e64 s56, v112
	s_cbranch_execz .LBB1022_1184
.LBB1022_994:                           ;   in Loop: Header=BB1022_982 Depth=2
	global_load_d16_b16 v6, v[45:46], off offset:512
	s_or_b32 exec_lo, exec_lo, s16
	s_delay_alu instid0(SALU_CYCLE_1)
	s_mov_b32 s16, exec_lo
	v_cmpx_gt_u32_e64 s56, v113
	s_cbranch_execnz .LBB1022_1185
.LBB1022_995:                           ;   in Loop: Header=BB1022_982 Depth=2
	s_or_b32 exec_lo, exec_lo, s16
	s_delay_alu instid0(SALU_CYCLE_1)
	s_mov_b32 s16, exec_lo
	v_cmpx_gt_u32_e64 s56, v114
	s_cbranch_execz .LBB1022_1186
.LBB1022_996:                           ;   in Loop: Header=BB1022_982 Depth=2
	global_load_d16_b16 v7, v[45:46], off offset:640
	s_or_b32 exec_lo, exec_lo, s16
	s_delay_alu instid0(SALU_CYCLE_1)
	s_mov_b32 s16, exec_lo
	v_cmpx_gt_u32_e64 s56, v115
	s_cbranch_execnz .LBB1022_1187
.LBB1022_997:                           ;   in Loop: Header=BB1022_982 Depth=2
	s_or_b32 exec_lo, exec_lo, s16
	s_delay_alu instid0(SALU_CYCLE_1)
	s_mov_b32 s16, exec_lo
	v_cmpx_gt_u32_e64 s56, v116
	s_cbranch_execz .LBB1022_1188
.LBB1022_998:                           ;   in Loop: Header=BB1022_982 Depth=2
	global_load_d16_b16 v8, v[45:46], off offset:768
	s_or_b32 exec_lo, exec_lo, s16
	s_delay_alu instid0(SALU_CYCLE_1)
	s_mov_b32 s16, exec_lo
	v_cmpx_gt_u32_e64 s56, v117
	s_cbranch_execnz .LBB1022_1189
.LBB1022_999:                           ;   in Loop: Header=BB1022_982 Depth=2
	s_or_b32 exec_lo, exec_lo, s16
	s_delay_alu instid0(SALU_CYCLE_1)
	s_mov_b32 s16, exec_lo
	v_cmpx_gt_u32_e64 s56, v118
	s_cbranch_execz .LBB1022_1001
.LBB1022_1000:                          ;   in Loop: Header=BB1022_982 Depth=2
	global_load_d16_b16 v9, v[45:46], off offset:896
.LBB1022_1001:                          ;   in Loop: Header=BB1022_982 Depth=2
	s_or_b32 exec_lo, exec_lo, s16
	v_cmp_gt_u32_e64 s19, s56, v119
	s_sub_i32 s18, s63, s34
	s_mov_b64 s[16:17], s[34:35]
.LBB1022_1002:                          ;   in Loop: Header=BB1022_982 Depth=2
	v_mov_b32_e32 v0, s56
	s_delay_alu instid0(VALU_DEP_2)
	s_and_saveexec_b32 s20, s19
	s_cbranch_execz .LBB1022_1004
; %bb.1003:                             ;   in Loop: Header=BB1022_982 Depth=2
	s_lshl_b64 s[16:17], s[16:17], 1
	v_mov_b32_e32 v0, s18
	v_add_co_u32 v45, vcc_lo, v123, s16
	v_add_co_ci_u32_e32 v46, vcc_lo, s17, v124, vcc_lo
	global_load_d16_hi_b16 v9, v[45:46], off
.LBB1022_1004:                          ;   in Loop: Header=BB1022_982 Depth=2
	s_or_b32 exec_lo, exec_lo, s20
	s_waitcnt vmcnt(0)
	v_xor_b32_e32 v19, 0x80008000, v2
	ds_store_b32 v73, v20 offset:1056
	ds_store_2addr_b32 v75, v20, v20 offset0:1 offset1:2
	ds_store_2addr_b32 v75, v20, v20 offset0:3 offset1:4
	;; [unrolled: 1-line block ×4, first 2 shown]
	s_waitcnt lgkmcnt(0)
	s_barrier
	v_and_b32_e32 v2, 0xffff, v19
	buffer_gl0_inv
	; wave barrier
	v_lshrrev_b32_e32 v2, s57, v2
	s_delay_alu instid0(VALU_DEP_1) | instskip(NEXT) | instid1(VALU_DEP_1)
	v_and_b32_e32 v45, s43, v2
	v_and_b32_e32 v2, 1, v45
	v_lshlrev_b32_e32 v46, 30, v45
	v_lshlrev_b32_e32 v141, 29, v45
	;; [unrolled: 1-line block ×4, first 2 shown]
	v_add_co_u32 v2, s16, v2, -1
	s_delay_alu instid0(VALU_DEP_1)
	v_cndmask_b32_e64 v143, 0, 1, s16
	v_not_b32_e32 v147, v46
	v_cmp_gt_i32_e64 s16, 0, v46
	v_not_b32_e32 v46, v141
	v_lshlrev_b32_e32 v145, 26, v45
	v_cmp_ne_u32_e32 vcc_lo, 0, v143
	v_ashrrev_i32_e32 v147, 31, v147
	v_lshlrev_b32_e32 v146, 25, v45
	v_ashrrev_i32_e32 v46, 31, v46
	v_lshlrev_b32_e32 v143, 24, v45
	v_xor_b32_e32 v2, vcc_lo, v2
	v_cmp_gt_i32_e32 vcc_lo, 0, v141
	v_not_b32_e32 v141, v142
	v_xor_b32_e32 v147, s16, v147
	v_cmp_gt_i32_e64 s16, 0, v142
	v_and_b32_e32 v2, exec_lo, v2
	v_not_b32_e32 v142, v144
	v_ashrrev_i32_e32 v141, 31, v141
	v_xor_b32_e32 v46, vcc_lo, v46
	v_cmp_gt_i32_e32 vcc_lo, 0, v144
	v_and_b32_e32 v2, v2, v147
	v_not_b32_e32 v144, v145
	v_ashrrev_i32_e32 v142, 31, v142
	v_xor_b32_e32 v141, s16, v141
	v_cmp_gt_i32_e64 s16, 0, v145
	v_and_b32_e32 v2, v2, v46
	v_not_b32_e32 v46, v146
	v_ashrrev_i32_e32 v144, 31, v144
	v_xor_b32_e32 v142, vcc_lo, v142
	v_cmp_gt_i32_e32 vcc_lo, 0, v146
	v_and_b32_e32 v2, v2, v141
	v_not_b32_e32 v141, v143
	v_ashrrev_i32_e32 v46, 31, v46
	v_xor_b32_e32 v144, s16, v144
	v_cmp_gt_i32_e64 s16, 0, v143
	v_and_b32_e32 v2, v2, v142
	v_ashrrev_i32_e32 v141, 31, v141
	v_xor_b32_e32 v46, vcc_lo, v46
	v_mad_u32_u24 v45, v45, 9, v122
	s_delay_alu instid0(VALU_DEP_4) | instskip(NEXT) | instid1(VALU_DEP_4)
	v_and_b32_e32 v2, v2, v144
	v_xor_b32_e32 v141, s16, v141
	s_delay_alu instid0(VALU_DEP_3) | instskip(NEXT) | instid1(VALU_DEP_3)
	v_lshl_add_u32 v143, v45, 2, 0x420
	v_and_b32_e32 v2, v2, v46
	s_delay_alu instid0(VALU_DEP_1) | instskip(NEXT) | instid1(VALU_DEP_1)
	v_and_b32_e32 v2, v2, v141
	v_mbcnt_lo_u32_b32 v141, v2, 0
	v_cmp_ne_u32_e64 s16, 0, v2
	s_delay_alu instid0(VALU_DEP_2) | instskip(NEXT) | instid1(VALU_DEP_2)
	v_cmp_eq_u32_e32 vcc_lo, 0, v141
	s_and_b32 s17, s16, vcc_lo
	s_delay_alu instid0(SALU_CYCLE_1)
	s_and_saveexec_b32 s16, s17
	s_cbranch_execz .LBB1022_1006
; %bb.1005:                             ;   in Loop: Header=BB1022_982 Depth=2
	v_bcnt_u32_b32 v2, v2, 0
	ds_store_b32 v143, v2
.LBB1022_1006:                          ;   in Loop: Header=BB1022_982 Depth=2
	s_or_b32 exec_lo, exec_lo, s16
	v_lshrrev_b32_e32 v142, 16, v19
	; wave barrier
	s_delay_alu instid0(VALU_DEP_1) | instskip(NEXT) | instid1(VALU_DEP_1)
	v_lshrrev_b32_e32 v2, s57, v142
	v_and_b32_e32 v2, s43, v2
	s_delay_alu instid0(VALU_DEP_1)
	v_and_b32_e32 v45, 1, v2
	v_lshlrev_b32_e32 v46, 30, v2
	v_lshlrev_b32_e32 v144, 29, v2
	;; [unrolled: 1-line block ×4, first 2 shown]
	v_add_co_u32 v45, s16, v45, -1
	s_delay_alu instid0(VALU_DEP_1)
	v_cndmask_b32_e64 v146, 0, 1, s16
	v_not_b32_e32 v150, v46
	v_cmp_gt_i32_e64 s16, 0, v46
	v_not_b32_e32 v46, v144
	v_lshlrev_b32_e32 v148, 26, v2
	v_cmp_ne_u32_e32 vcc_lo, 0, v146
	v_ashrrev_i32_e32 v150, 31, v150
	v_lshlrev_b32_e32 v149, 25, v2
	v_ashrrev_i32_e32 v46, 31, v46
	v_lshlrev_b32_e32 v146, 24, v2
	v_xor_b32_e32 v45, vcc_lo, v45
	v_cmp_gt_i32_e32 vcc_lo, 0, v144
	v_not_b32_e32 v144, v145
	v_xor_b32_e32 v150, s16, v150
	v_cmp_gt_i32_e64 s16, 0, v145
	v_and_b32_e32 v45, exec_lo, v45
	v_not_b32_e32 v145, v147
	v_ashrrev_i32_e32 v144, 31, v144
	v_xor_b32_e32 v46, vcc_lo, v46
	v_cmp_gt_i32_e32 vcc_lo, 0, v147
	v_and_b32_e32 v45, v45, v150
	v_not_b32_e32 v147, v148
	v_ashrrev_i32_e32 v145, 31, v145
	v_xor_b32_e32 v144, s16, v144
	v_cmp_gt_i32_e64 s16, 0, v148
	v_and_b32_e32 v45, v45, v46
	v_not_b32_e32 v46, v149
	v_ashrrev_i32_e32 v147, 31, v147
	v_xor_b32_e32 v145, vcc_lo, v145
	v_cmp_gt_i32_e32 vcc_lo, 0, v149
	v_and_b32_e32 v45, v45, v144
	v_not_b32_e32 v144, v146
	v_ashrrev_i32_e32 v46, 31, v46
	v_xor_b32_e32 v147, s16, v147
	v_mul_u32_u24_e32 v2, 9, v2
	v_and_b32_e32 v45, v45, v145
	v_cmp_gt_i32_e64 s16, 0, v146
	v_ashrrev_i32_e32 v144, 31, v144
	v_xor_b32_e32 v46, vcc_lo, v46
	s_delay_alu instid0(VALU_DEP_4) | instskip(SKIP_1) | instid1(VALU_DEP_4)
	v_and_b32_e32 v45, v45, v147
	v_add_lshl_u32 v147, v2, v122, 2
	v_xor_b32_e32 v2, s16, v144
	s_delay_alu instid0(VALU_DEP_3) | instskip(SKIP_3) | instid1(VALU_DEP_1)
	v_and_b32_e32 v45, v45, v46
	ds_load_b32 v145, v147 offset:1056
	v_add_nc_u32_e32 v147, 0x420, v147
	; wave barrier
	v_and_b32_e32 v2, v45, v2
	v_mbcnt_lo_u32_b32 v146, v2, 0
	v_cmp_ne_u32_e64 s16, 0, v2
	s_delay_alu instid0(VALU_DEP_2) | instskip(NEXT) | instid1(VALU_DEP_2)
	v_cmp_eq_u32_e32 vcc_lo, 0, v146
	s_and_b32 s17, s16, vcc_lo
	s_delay_alu instid0(SALU_CYCLE_1)
	s_and_saveexec_b32 s16, s17
	s_cbranch_execz .LBB1022_1008
; %bb.1007:                             ;   in Loop: Header=BB1022_982 Depth=2
	s_waitcnt lgkmcnt(0)
	v_bcnt_u32_b32 v2, v2, v145
	ds_store_b32 v147, v2
.LBB1022_1008:                          ;   in Loop: Header=BB1022_982 Depth=2
	s_or_b32 exec_lo, exec_lo, s16
	v_xor_b32_e32 v144, 0x80008000, v3
	; wave barrier
	s_delay_alu instid0(VALU_DEP_1) | instskip(NEXT) | instid1(VALU_DEP_1)
	v_and_b32_e32 v2, 0xffff, v144
	v_lshrrev_b32_e32 v2, s57, v2
	s_delay_alu instid0(VALU_DEP_1) | instskip(NEXT) | instid1(VALU_DEP_1)
	v_and_b32_e32 v2, s43, v2
	v_and_b32_e32 v3, 1, v2
	v_lshlrev_b32_e32 v45, 30, v2
	v_lshlrev_b32_e32 v46, 29, v2
	;; [unrolled: 1-line block ×4, first 2 shown]
	v_add_co_u32 v3, s16, v3, -1
	s_delay_alu instid0(VALU_DEP_1)
	v_cndmask_b32_e64 v149, 0, 1, s16
	v_not_b32_e32 v153, v45
	v_cmp_gt_i32_e64 s16, 0, v45
	v_not_b32_e32 v45, v46
	v_lshlrev_b32_e32 v151, 26, v2
	v_cmp_ne_u32_e32 vcc_lo, 0, v149
	v_ashrrev_i32_e32 v153, 31, v153
	v_lshlrev_b32_e32 v152, 25, v2
	v_ashrrev_i32_e32 v45, 31, v45
	v_lshlrev_b32_e32 v149, 24, v2
	v_xor_b32_e32 v3, vcc_lo, v3
	v_cmp_gt_i32_e32 vcc_lo, 0, v46
	v_not_b32_e32 v46, v148
	v_xor_b32_e32 v153, s16, v153
	v_cmp_gt_i32_e64 s16, 0, v148
	v_and_b32_e32 v3, exec_lo, v3
	v_not_b32_e32 v148, v150
	v_ashrrev_i32_e32 v46, 31, v46
	v_xor_b32_e32 v45, vcc_lo, v45
	v_cmp_gt_i32_e32 vcc_lo, 0, v150
	v_and_b32_e32 v3, v3, v153
	v_not_b32_e32 v150, v151
	v_ashrrev_i32_e32 v148, 31, v148
	v_xor_b32_e32 v46, s16, v46
	v_cmp_gt_i32_e64 s16, 0, v151
	v_and_b32_e32 v3, v3, v45
	v_not_b32_e32 v45, v152
	v_ashrrev_i32_e32 v150, 31, v150
	v_xor_b32_e32 v148, vcc_lo, v148
	v_cmp_gt_i32_e32 vcc_lo, 0, v152
	v_and_b32_e32 v3, v3, v46
	v_not_b32_e32 v46, v149
	v_ashrrev_i32_e32 v45, 31, v45
	v_xor_b32_e32 v150, s16, v150
	v_mul_u32_u24_e32 v2, 9, v2
	v_and_b32_e32 v3, v3, v148
	v_cmp_gt_i32_e64 s16, 0, v149
	v_ashrrev_i32_e32 v46, 31, v46
	v_xor_b32_e32 v45, vcc_lo, v45
	v_add_lshl_u32 v148, v2, v122, 2
	v_and_b32_e32 v3, v3, v150
	s_delay_alu instid0(VALU_DEP_4) | instskip(SKIP_3) | instid1(VALU_DEP_2)
	v_xor_b32_e32 v2, s16, v46
	ds_load_b32 v149, v148 offset:1056
	v_and_b32_e32 v3, v3, v45
	v_add_nc_u32_e32 v151, 0x420, v148
	; wave barrier
	v_and_b32_e32 v2, v3, v2
	s_delay_alu instid0(VALU_DEP_1) | instskip(SKIP_1) | instid1(VALU_DEP_2)
	v_mbcnt_lo_u32_b32 v150, v2, 0
	v_cmp_ne_u32_e64 s16, 0, v2
	v_cmp_eq_u32_e32 vcc_lo, 0, v150
	s_delay_alu instid0(VALU_DEP_2) | instskip(NEXT) | instid1(SALU_CYCLE_1)
	s_and_b32 s17, s16, vcc_lo
	s_and_saveexec_b32 s16, s17
	s_cbranch_execz .LBB1022_1010
; %bb.1009:                             ;   in Loop: Header=BB1022_982 Depth=2
	s_waitcnt lgkmcnt(0)
	v_bcnt_u32_b32 v2, v2, v149
	ds_store_b32 v151, v2
.LBB1022_1010:                          ;   in Loop: Header=BB1022_982 Depth=2
	s_or_b32 exec_lo, exec_lo, s16
	v_lshrrev_b32_e32 v148, 16, v144
	; wave barrier
	s_delay_alu instid0(VALU_DEP_1) | instskip(NEXT) | instid1(VALU_DEP_1)
	v_lshrrev_b32_e32 v2, s57, v148
	v_and_b32_e32 v2, s43, v2
	s_delay_alu instid0(VALU_DEP_1)
	v_and_b32_e32 v3, 1, v2
	v_lshlrev_b32_e32 v45, 30, v2
	v_lshlrev_b32_e32 v46, 29, v2
	;; [unrolled: 1-line block ×4, first 2 shown]
	v_add_co_u32 v3, s16, v3, -1
	s_delay_alu instid0(VALU_DEP_1)
	v_cndmask_b32_e64 v153, 0, 1, s16
	v_not_b32_e32 v157, v45
	v_cmp_gt_i32_e64 s16, 0, v45
	v_not_b32_e32 v45, v46
	v_lshlrev_b32_e32 v155, 26, v2
	v_cmp_ne_u32_e32 vcc_lo, 0, v153
	v_ashrrev_i32_e32 v157, 31, v157
	v_lshlrev_b32_e32 v156, 25, v2
	v_ashrrev_i32_e32 v45, 31, v45
	v_lshlrev_b32_e32 v153, 24, v2
	v_xor_b32_e32 v3, vcc_lo, v3
	v_cmp_gt_i32_e32 vcc_lo, 0, v46
	v_not_b32_e32 v46, v152
	v_xor_b32_e32 v157, s16, v157
	v_cmp_gt_i32_e64 s16, 0, v152
	v_and_b32_e32 v3, exec_lo, v3
	v_not_b32_e32 v152, v154
	v_ashrrev_i32_e32 v46, 31, v46
	v_xor_b32_e32 v45, vcc_lo, v45
	v_cmp_gt_i32_e32 vcc_lo, 0, v154
	v_and_b32_e32 v3, v3, v157
	v_not_b32_e32 v154, v155
	v_ashrrev_i32_e32 v152, 31, v152
	v_xor_b32_e32 v46, s16, v46
	v_cmp_gt_i32_e64 s16, 0, v155
	v_and_b32_e32 v3, v3, v45
	v_not_b32_e32 v45, v156
	v_ashrrev_i32_e32 v154, 31, v154
	v_xor_b32_e32 v152, vcc_lo, v152
	v_cmp_gt_i32_e32 vcc_lo, 0, v156
	v_and_b32_e32 v3, v3, v46
	v_not_b32_e32 v46, v153
	v_ashrrev_i32_e32 v45, 31, v45
	v_xor_b32_e32 v154, s16, v154
	v_mul_u32_u24_e32 v2, 9, v2
	v_and_b32_e32 v3, v3, v152
	v_cmp_gt_i32_e64 s16, 0, v153
	v_ashrrev_i32_e32 v46, 31, v46
	v_xor_b32_e32 v45, vcc_lo, v45
	v_add_lshl_u32 v152, v2, v122, 2
	v_and_b32_e32 v3, v3, v154
	s_delay_alu instid0(VALU_DEP_4) | instskip(SKIP_3) | instid1(VALU_DEP_2)
	v_xor_b32_e32 v2, s16, v46
	ds_load_b32 v153, v152 offset:1056
	v_and_b32_e32 v3, v3, v45
	v_add_nc_u32_e32 v155, 0x420, v152
	; wave barrier
	v_and_b32_e32 v2, v3, v2
	s_delay_alu instid0(VALU_DEP_1) | instskip(SKIP_1) | instid1(VALU_DEP_2)
	v_mbcnt_lo_u32_b32 v154, v2, 0
	v_cmp_ne_u32_e64 s16, 0, v2
	v_cmp_eq_u32_e32 vcc_lo, 0, v154
	s_delay_alu instid0(VALU_DEP_2) | instskip(NEXT) | instid1(SALU_CYCLE_1)
	s_and_b32 s17, s16, vcc_lo
	s_and_saveexec_b32 s16, s17
	s_cbranch_execz .LBB1022_1012
; %bb.1011:                             ;   in Loop: Header=BB1022_982 Depth=2
	s_waitcnt lgkmcnt(0)
	v_bcnt_u32_b32 v2, v2, v153
	ds_store_b32 v155, v2
.LBB1022_1012:                          ;   in Loop: Header=BB1022_982 Depth=2
	s_or_b32 exec_lo, exec_lo, s16
	v_xor_b32_e32 v152, 0x80008000, v4
	; wave barrier
	s_delay_alu instid0(VALU_DEP_1) | instskip(NEXT) | instid1(VALU_DEP_1)
	v_and_b32_e32 v2, 0xffff, v152
	v_lshrrev_b32_e32 v2, s57, v2
	s_delay_alu instid0(VALU_DEP_1) | instskip(NEXT) | instid1(VALU_DEP_1)
	v_and_b32_e32 v2, s43, v2
	v_and_b32_e32 v3, 1, v2
	v_lshlrev_b32_e32 v4, 30, v2
	v_lshlrev_b32_e32 v45, 29, v2
	;; [unrolled: 1-line block ×4, first 2 shown]
	v_add_co_u32 v3, s16, v3, -1
	s_delay_alu instid0(VALU_DEP_1)
	v_cndmask_b32_e64 v156, 0, 1, s16
	v_not_b32_e32 v160, v4
	v_cmp_gt_i32_e64 s16, 0, v4
	v_not_b32_e32 v4, v45
	v_lshlrev_b32_e32 v158, 26, v2
	v_cmp_ne_u32_e32 vcc_lo, 0, v156
	v_ashrrev_i32_e32 v160, 31, v160
	v_lshlrev_b32_e32 v159, 25, v2
	v_ashrrev_i32_e32 v4, 31, v4
	v_lshlrev_b32_e32 v156, 24, v2
	v_xor_b32_e32 v3, vcc_lo, v3
	v_cmp_gt_i32_e32 vcc_lo, 0, v45
	v_not_b32_e32 v45, v46
	v_xor_b32_e32 v160, s16, v160
	v_cmp_gt_i32_e64 s16, 0, v46
	v_and_b32_e32 v3, exec_lo, v3
	v_not_b32_e32 v46, v157
	v_ashrrev_i32_e32 v45, 31, v45
	v_xor_b32_e32 v4, vcc_lo, v4
	v_cmp_gt_i32_e32 vcc_lo, 0, v157
	v_and_b32_e32 v3, v3, v160
	v_not_b32_e32 v157, v158
	v_ashrrev_i32_e32 v46, 31, v46
	v_xor_b32_e32 v45, s16, v45
	v_cmp_gt_i32_e64 s16, 0, v158
	v_and_b32_e32 v3, v3, v4
	v_not_b32_e32 v4, v159
	v_ashrrev_i32_e32 v157, 31, v157
	v_xor_b32_e32 v46, vcc_lo, v46
	v_cmp_gt_i32_e32 vcc_lo, 0, v159
	v_and_b32_e32 v3, v3, v45
	v_not_b32_e32 v45, v156
	v_ashrrev_i32_e32 v4, 31, v4
	v_xor_b32_e32 v157, s16, v157
	v_mul_u32_u24_e32 v2, 9, v2
	v_and_b32_e32 v3, v3, v46
	v_cmp_gt_i32_e64 s16, 0, v156
	v_ashrrev_i32_e32 v45, 31, v45
	v_xor_b32_e32 v4, vcc_lo, v4
	v_add_lshl_u32 v46, v2, v122, 2
	v_and_b32_e32 v3, v3, v157
	s_delay_alu instid0(VALU_DEP_4) | instskip(SKIP_3) | instid1(VALU_DEP_2)
	v_xor_b32_e32 v2, s16, v45
	ds_load_b32 v157, v46 offset:1056
	v_and_b32_e32 v3, v3, v4
	v_add_nc_u32_e32 v159, 0x420, v46
	; wave barrier
	v_and_b32_e32 v2, v3, v2
	s_delay_alu instid0(VALU_DEP_1) | instskip(SKIP_1) | instid1(VALU_DEP_2)
	v_mbcnt_lo_u32_b32 v158, v2, 0
	v_cmp_ne_u32_e64 s16, 0, v2
	v_cmp_eq_u32_e32 vcc_lo, 0, v158
	s_delay_alu instid0(VALU_DEP_2) | instskip(NEXT) | instid1(SALU_CYCLE_1)
	s_and_b32 s17, s16, vcc_lo
	s_and_saveexec_b32 s16, s17
	s_cbranch_execz .LBB1022_1014
; %bb.1013:                             ;   in Loop: Header=BB1022_982 Depth=2
	s_waitcnt lgkmcnt(0)
	v_bcnt_u32_b32 v2, v2, v157
	ds_store_b32 v159, v2
.LBB1022_1014:                          ;   in Loop: Header=BB1022_982 Depth=2
	s_or_b32 exec_lo, exec_lo, s16
	v_lshrrev_b32_e32 v156, 16, v152
	; wave barrier
	s_delay_alu instid0(VALU_DEP_1) | instskip(NEXT) | instid1(VALU_DEP_1)
	v_lshrrev_b32_e32 v2, s57, v156
	v_and_b32_e32 v2, s43, v2
	s_delay_alu instid0(VALU_DEP_1)
	v_and_b32_e32 v3, 1, v2
	v_lshlrev_b32_e32 v4, 30, v2
	v_lshlrev_b32_e32 v45, 29, v2
	;; [unrolled: 1-line block ×4, first 2 shown]
	v_add_co_u32 v3, s16, v3, -1
	s_delay_alu instid0(VALU_DEP_1)
	v_cndmask_b32_e64 v160, 0, 1, s16
	v_not_b32_e32 v164, v4
	v_cmp_gt_i32_e64 s16, 0, v4
	v_not_b32_e32 v4, v45
	v_lshlrev_b32_e32 v162, 26, v2
	v_cmp_ne_u32_e32 vcc_lo, 0, v160
	v_ashrrev_i32_e32 v164, 31, v164
	v_lshlrev_b32_e32 v163, 25, v2
	v_ashrrev_i32_e32 v4, 31, v4
	v_lshlrev_b32_e32 v160, 24, v2
	v_xor_b32_e32 v3, vcc_lo, v3
	v_cmp_gt_i32_e32 vcc_lo, 0, v45
	v_not_b32_e32 v45, v46
	v_xor_b32_e32 v164, s16, v164
	v_cmp_gt_i32_e64 s16, 0, v46
	v_and_b32_e32 v3, exec_lo, v3
	v_not_b32_e32 v46, v161
	v_ashrrev_i32_e32 v45, 31, v45
	v_xor_b32_e32 v4, vcc_lo, v4
	v_cmp_gt_i32_e32 vcc_lo, 0, v161
	v_and_b32_e32 v3, v3, v164
	v_not_b32_e32 v161, v162
	v_ashrrev_i32_e32 v46, 31, v46
	v_xor_b32_e32 v45, s16, v45
	v_cmp_gt_i32_e64 s16, 0, v162
	v_and_b32_e32 v3, v3, v4
	v_not_b32_e32 v4, v163
	v_ashrrev_i32_e32 v161, 31, v161
	v_xor_b32_e32 v46, vcc_lo, v46
	v_cmp_gt_i32_e32 vcc_lo, 0, v163
	v_and_b32_e32 v3, v3, v45
	v_not_b32_e32 v45, v160
	v_ashrrev_i32_e32 v4, 31, v4
	v_xor_b32_e32 v161, s16, v161
	v_mul_u32_u24_e32 v2, 9, v2
	v_and_b32_e32 v3, v3, v46
	v_cmp_gt_i32_e64 s16, 0, v160
	v_ashrrev_i32_e32 v45, 31, v45
	v_xor_b32_e32 v4, vcc_lo, v4
	v_add_lshl_u32 v46, v2, v122, 2
	v_and_b32_e32 v3, v3, v161
	s_delay_alu instid0(VALU_DEP_4) | instskip(SKIP_3) | instid1(VALU_DEP_2)
	v_xor_b32_e32 v2, s16, v45
	ds_load_b32 v161, v46 offset:1056
	v_and_b32_e32 v3, v3, v4
	v_add_nc_u32_e32 v163, 0x420, v46
	; wave barrier
	v_and_b32_e32 v2, v3, v2
	s_delay_alu instid0(VALU_DEP_1) | instskip(SKIP_1) | instid1(VALU_DEP_2)
	v_mbcnt_lo_u32_b32 v162, v2, 0
	v_cmp_ne_u32_e64 s16, 0, v2
	v_cmp_eq_u32_e32 vcc_lo, 0, v162
	s_delay_alu instid0(VALU_DEP_2) | instskip(NEXT) | instid1(SALU_CYCLE_1)
	s_and_b32 s17, s16, vcc_lo
	s_and_saveexec_b32 s16, s17
	s_cbranch_execz .LBB1022_1016
; %bb.1015:                             ;   in Loop: Header=BB1022_982 Depth=2
	s_waitcnt lgkmcnt(0)
	v_bcnt_u32_b32 v2, v2, v161
	ds_store_b32 v163, v2
.LBB1022_1016:                          ;   in Loop: Header=BB1022_982 Depth=2
	s_or_b32 exec_lo, exec_lo, s16
	v_xor_b32_e32 v160, 0x80008000, v5
	; wave barrier
	s_delay_alu instid0(VALU_DEP_1) | instskip(NEXT) | instid1(VALU_DEP_1)
	v_and_b32_e32 v2, 0xffff, v160
	v_lshrrev_b32_e32 v2, s57, v2
	s_delay_alu instid0(VALU_DEP_1) | instskip(NEXT) | instid1(VALU_DEP_1)
	v_and_b32_e32 v2, s43, v2
	v_and_b32_e32 v3, 1, v2
	v_lshlrev_b32_e32 v4, 30, v2
	v_lshlrev_b32_e32 v5, 29, v2
	;; [unrolled: 1-line block ×4, first 2 shown]
	v_add_co_u32 v3, s16, v3, -1
	s_delay_alu instid0(VALU_DEP_1)
	v_cndmask_b32_e64 v46, 0, 1, s16
	v_not_b32_e32 v167, v4
	v_cmp_gt_i32_e64 s16, 0, v4
	v_not_b32_e32 v4, v5
	v_lshlrev_b32_e32 v165, 26, v2
	v_cmp_ne_u32_e32 vcc_lo, 0, v46
	v_ashrrev_i32_e32 v167, 31, v167
	v_lshlrev_b32_e32 v166, 25, v2
	v_ashrrev_i32_e32 v4, 31, v4
	v_lshlrev_b32_e32 v46, 24, v2
	v_xor_b32_e32 v3, vcc_lo, v3
	v_cmp_gt_i32_e32 vcc_lo, 0, v5
	v_not_b32_e32 v5, v45
	v_xor_b32_e32 v167, s16, v167
	v_cmp_gt_i32_e64 s16, 0, v45
	v_and_b32_e32 v3, exec_lo, v3
	v_not_b32_e32 v45, v164
	v_ashrrev_i32_e32 v5, 31, v5
	v_xor_b32_e32 v4, vcc_lo, v4
	v_cmp_gt_i32_e32 vcc_lo, 0, v164
	v_and_b32_e32 v3, v3, v167
	v_not_b32_e32 v164, v165
	v_ashrrev_i32_e32 v45, 31, v45
	v_xor_b32_e32 v5, s16, v5
	v_cmp_gt_i32_e64 s16, 0, v165
	v_and_b32_e32 v3, v3, v4
	v_not_b32_e32 v4, v166
	v_ashrrev_i32_e32 v164, 31, v164
	v_xor_b32_e32 v45, vcc_lo, v45
	v_cmp_gt_i32_e32 vcc_lo, 0, v166
	v_and_b32_e32 v3, v3, v5
	v_not_b32_e32 v5, v46
	v_ashrrev_i32_e32 v4, 31, v4
	v_xor_b32_e32 v164, s16, v164
	v_mul_u32_u24_e32 v2, 9, v2
	v_and_b32_e32 v3, v3, v45
	v_cmp_gt_i32_e64 s16, 0, v46
	v_ashrrev_i32_e32 v5, 31, v5
	v_xor_b32_e32 v4, vcc_lo, v4
	v_add_lshl_u32 v45, v2, v122, 2
	v_and_b32_e32 v3, v3, v164
	s_delay_alu instid0(VALU_DEP_4) | instskip(SKIP_3) | instid1(VALU_DEP_2)
	v_xor_b32_e32 v2, s16, v5
	ds_load_b32 v165, v45 offset:1056
	v_and_b32_e32 v3, v3, v4
	v_add_nc_u32_e32 v167, 0x420, v45
	; wave barrier
	v_and_b32_e32 v2, v3, v2
	s_delay_alu instid0(VALU_DEP_1) | instskip(SKIP_1) | instid1(VALU_DEP_2)
	v_mbcnt_lo_u32_b32 v166, v2, 0
	v_cmp_ne_u32_e64 s16, 0, v2
	v_cmp_eq_u32_e32 vcc_lo, 0, v166
	s_delay_alu instid0(VALU_DEP_2) | instskip(NEXT) | instid1(SALU_CYCLE_1)
	s_and_b32 s17, s16, vcc_lo
	s_and_saveexec_b32 s16, s17
	s_cbranch_execz .LBB1022_1018
; %bb.1017:                             ;   in Loop: Header=BB1022_982 Depth=2
	s_waitcnt lgkmcnt(0)
	v_bcnt_u32_b32 v2, v2, v165
	ds_store_b32 v167, v2
.LBB1022_1018:                          ;   in Loop: Header=BB1022_982 Depth=2
	s_or_b32 exec_lo, exec_lo, s16
	v_lshrrev_b32_e32 v164, 16, v160
	; wave barrier
	s_delay_alu instid0(VALU_DEP_1) | instskip(NEXT) | instid1(VALU_DEP_1)
	v_lshrrev_b32_e32 v2, s57, v164
	v_and_b32_e32 v2, s43, v2
	s_delay_alu instid0(VALU_DEP_1)
	v_and_b32_e32 v3, 1, v2
	v_lshlrev_b32_e32 v4, 30, v2
	v_lshlrev_b32_e32 v5, 29, v2
	;; [unrolled: 1-line block ×4, first 2 shown]
	v_add_co_u32 v3, s16, v3, -1
	s_delay_alu instid0(VALU_DEP_1)
	v_cndmask_b32_e64 v46, 0, 1, s16
	v_not_b32_e32 v171, v4
	v_cmp_gt_i32_e64 s16, 0, v4
	v_not_b32_e32 v4, v5
	v_lshlrev_b32_e32 v169, 26, v2
	v_cmp_ne_u32_e32 vcc_lo, 0, v46
	v_ashrrev_i32_e32 v171, 31, v171
	v_lshlrev_b32_e32 v170, 25, v2
	v_ashrrev_i32_e32 v4, 31, v4
	v_lshlrev_b32_e32 v46, 24, v2
	v_xor_b32_e32 v3, vcc_lo, v3
	v_cmp_gt_i32_e32 vcc_lo, 0, v5
	v_not_b32_e32 v5, v45
	v_xor_b32_e32 v171, s16, v171
	v_cmp_gt_i32_e64 s16, 0, v45
	v_and_b32_e32 v3, exec_lo, v3
	v_not_b32_e32 v45, v168
	v_ashrrev_i32_e32 v5, 31, v5
	v_xor_b32_e32 v4, vcc_lo, v4
	v_cmp_gt_i32_e32 vcc_lo, 0, v168
	v_and_b32_e32 v3, v3, v171
	v_not_b32_e32 v168, v169
	v_ashrrev_i32_e32 v45, 31, v45
	v_xor_b32_e32 v5, s16, v5
	v_cmp_gt_i32_e64 s16, 0, v169
	v_and_b32_e32 v3, v3, v4
	v_not_b32_e32 v4, v170
	v_ashrrev_i32_e32 v168, 31, v168
	v_xor_b32_e32 v45, vcc_lo, v45
	v_cmp_gt_i32_e32 vcc_lo, 0, v170
	v_and_b32_e32 v3, v3, v5
	v_not_b32_e32 v5, v46
	v_ashrrev_i32_e32 v4, 31, v4
	v_xor_b32_e32 v168, s16, v168
	v_mul_u32_u24_e32 v2, 9, v2
	v_and_b32_e32 v3, v3, v45
	v_cmp_gt_i32_e64 s16, 0, v46
	v_ashrrev_i32_e32 v5, 31, v5
	v_xor_b32_e32 v4, vcc_lo, v4
	v_add_lshl_u32 v45, v2, v122, 2
	v_and_b32_e32 v3, v3, v168
	s_delay_alu instid0(VALU_DEP_4) | instskip(SKIP_3) | instid1(VALU_DEP_2)
	v_xor_b32_e32 v2, s16, v5
	ds_load_b32 v169, v45 offset:1056
	v_and_b32_e32 v3, v3, v4
	v_add_nc_u32_e32 v171, 0x420, v45
	; wave barrier
	v_and_b32_e32 v2, v3, v2
	s_delay_alu instid0(VALU_DEP_1) | instskip(SKIP_1) | instid1(VALU_DEP_2)
	v_mbcnt_lo_u32_b32 v170, v2, 0
	v_cmp_ne_u32_e64 s16, 0, v2
	v_cmp_eq_u32_e32 vcc_lo, 0, v170
	s_delay_alu instid0(VALU_DEP_2) | instskip(NEXT) | instid1(SALU_CYCLE_1)
	s_and_b32 s17, s16, vcc_lo
	s_and_saveexec_b32 s16, s17
	s_cbranch_execz .LBB1022_1020
; %bb.1019:                             ;   in Loop: Header=BB1022_982 Depth=2
	s_waitcnt lgkmcnt(0)
	v_bcnt_u32_b32 v2, v2, v169
	ds_store_b32 v171, v2
.LBB1022_1020:                          ;   in Loop: Header=BB1022_982 Depth=2
	s_or_b32 exec_lo, exec_lo, s16
	v_xor_b32_e32 v168, 0x80008000, v6
	; wave barrier
	s_delay_alu instid0(VALU_DEP_1) | instskip(NEXT) | instid1(VALU_DEP_1)
	v_and_b32_e32 v2, 0xffff, v168
	v_lshrrev_b32_e32 v2, s57, v2
	s_delay_alu instid0(VALU_DEP_1) | instskip(NEXT) | instid1(VALU_DEP_1)
	v_and_b32_e32 v2, s43, v2
	v_and_b32_e32 v3, 1, v2
	v_lshlrev_b32_e32 v4, 30, v2
	v_lshlrev_b32_e32 v5, 29, v2
	;; [unrolled: 1-line block ×4, first 2 shown]
	v_add_co_u32 v3, s16, v3, -1
	s_delay_alu instid0(VALU_DEP_1)
	v_cndmask_b32_e64 v45, 0, 1, s16
	v_not_b32_e32 v174, v4
	v_cmp_gt_i32_e64 s16, 0, v4
	v_not_b32_e32 v4, v5
	v_lshlrev_b32_e32 v172, 26, v2
	v_cmp_ne_u32_e32 vcc_lo, 0, v45
	v_ashrrev_i32_e32 v174, 31, v174
	v_lshlrev_b32_e32 v173, 25, v2
	v_ashrrev_i32_e32 v4, 31, v4
	v_lshlrev_b32_e32 v45, 24, v2
	v_xor_b32_e32 v3, vcc_lo, v3
	v_cmp_gt_i32_e32 vcc_lo, 0, v5
	v_not_b32_e32 v5, v6
	v_xor_b32_e32 v174, s16, v174
	v_cmp_gt_i32_e64 s16, 0, v6
	v_and_b32_e32 v3, exec_lo, v3
	v_not_b32_e32 v6, v46
	v_ashrrev_i32_e32 v5, 31, v5
	v_xor_b32_e32 v4, vcc_lo, v4
	v_cmp_gt_i32_e32 vcc_lo, 0, v46
	v_and_b32_e32 v3, v3, v174
	v_not_b32_e32 v46, v172
	v_ashrrev_i32_e32 v6, 31, v6
	v_xor_b32_e32 v5, s16, v5
	v_cmp_gt_i32_e64 s16, 0, v172
	v_and_b32_e32 v3, v3, v4
	v_not_b32_e32 v4, v173
	v_ashrrev_i32_e32 v46, 31, v46
	v_xor_b32_e32 v6, vcc_lo, v6
	v_cmp_gt_i32_e32 vcc_lo, 0, v173
	v_and_b32_e32 v3, v3, v5
	v_not_b32_e32 v5, v45
	v_ashrrev_i32_e32 v4, 31, v4
	v_xor_b32_e32 v46, s16, v46
	v_mul_u32_u24_e32 v2, 9, v2
	v_and_b32_e32 v3, v3, v6
	v_cmp_gt_i32_e64 s16, 0, v45
	v_ashrrev_i32_e32 v5, 31, v5
	v_xor_b32_e32 v4, vcc_lo, v4
	v_add_lshl_u32 v6, v2, v122, 2
	v_and_b32_e32 v3, v3, v46
	s_delay_alu instid0(VALU_DEP_4) | instskip(SKIP_3) | instid1(VALU_DEP_2)
	v_xor_b32_e32 v2, s16, v5
	ds_load_b32 v173, v6 offset:1056
	v_and_b32_e32 v3, v3, v4
	v_add_nc_u32_e32 v175, 0x420, v6
	; wave barrier
	v_and_b32_e32 v2, v3, v2
	s_delay_alu instid0(VALU_DEP_1) | instskip(SKIP_1) | instid1(VALU_DEP_2)
	v_mbcnt_lo_u32_b32 v174, v2, 0
	v_cmp_ne_u32_e64 s16, 0, v2
	v_cmp_eq_u32_e32 vcc_lo, 0, v174
	s_delay_alu instid0(VALU_DEP_2) | instskip(NEXT) | instid1(SALU_CYCLE_1)
	s_and_b32 s17, s16, vcc_lo
	s_and_saveexec_b32 s16, s17
	s_cbranch_execz .LBB1022_1022
; %bb.1021:                             ;   in Loop: Header=BB1022_982 Depth=2
	s_waitcnt lgkmcnt(0)
	v_bcnt_u32_b32 v2, v2, v173
	ds_store_b32 v175, v2
.LBB1022_1022:                          ;   in Loop: Header=BB1022_982 Depth=2
	s_or_b32 exec_lo, exec_lo, s16
	v_lshrrev_b32_e32 v172, 16, v168
	; wave barrier
	s_delay_alu instid0(VALU_DEP_1) | instskip(NEXT) | instid1(VALU_DEP_1)
	v_lshrrev_b32_e32 v2, s57, v172
	v_and_b32_e32 v2, s43, v2
	s_delay_alu instid0(VALU_DEP_1)
	v_and_b32_e32 v3, 1, v2
	v_lshlrev_b32_e32 v4, 30, v2
	v_lshlrev_b32_e32 v5, 29, v2
	;; [unrolled: 1-line block ×4, first 2 shown]
	v_add_co_u32 v3, s16, v3, -1
	s_delay_alu instid0(VALU_DEP_1)
	v_cndmask_b32_e64 v45, 0, 1, s16
	v_not_b32_e32 v178, v4
	v_cmp_gt_i32_e64 s16, 0, v4
	v_not_b32_e32 v4, v5
	v_lshlrev_b32_e32 v176, 26, v2
	v_cmp_ne_u32_e32 vcc_lo, 0, v45
	v_ashrrev_i32_e32 v178, 31, v178
	v_lshlrev_b32_e32 v177, 25, v2
	v_ashrrev_i32_e32 v4, 31, v4
	v_lshlrev_b32_e32 v45, 24, v2
	v_xor_b32_e32 v3, vcc_lo, v3
	v_cmp_gt_i32_e32 vcc_lo, 0, v5
	v_not_b32_e32 v5, v6
	v_xor_b32_e32 v178, s16, v178
	v_cmp_gt_i32_e64 s16, 0, v6
	v_and_b32_e32 v3, exec_lo, v3
	v_not_b32_e32 v6, v46
	v_ashrrev_i32_e32 v5, 31, v5
	v_xor_b32_e32 v4, vcc_lo, v4
	v_cmp_gt_i32_e32 vcc_lo, 0, v46
	v_and_b32_e32 v3, v3, v178
	v_not_b32_e32 v46, v176
	v_ashrrev_i32_e32 v6, 31, v6
	v_xor_b32_e32 v5, s16, v5
	v_cmp_gt_i32_e64 s16, 0, v176
	v_and_b32_e32 v3, v3, v4
	v_not_b32_e32 v4, v177
	v_ashrrev_i32_e32 v46, 31, v46
	v_xor_b32_e32 v6, vcc_lo, v6
	v_cmp_gt_i32_e32 vcc_lo, 0, v177
	v_and_b32_e32 v3, v3, v5
	v_not_b32_e32 v5, v45
	v_ashrrev_i32_e32 v4, 31, v4
	v_xor_b32_e32 v46, s16, v46
	v_mul_u32_u24_e32 v2, 9, v2
	v_and_b32_e32 v3, v3, v6
	v_cmp_gt_i32_e64 s16, 0, v45
	v_ashrrev_i32_e32 v5, 31, v5
	v_xor_b32_e32 v4, vcc_lo, v4
	v_add_lshl_u32 v6, v2, v122, 2
	v_and_b32_e32 v3, v3, v46
	s_delay_alu instid0(VALU_DEP_4) | instskip(SKIP_3) | instid1(VALU_DEP_2)
	v_xor_b32_e32 v2, s16, v5
	ds_load_b32 v177, v6 offset:1056
	v_and_b32_e32 v3, v3, v4
	v_add_nc_u32_e32 v179, 0x420, v6
	; wave barrier
	v_and_b32_e32 v2, v3, v2
	s_delay_alu instid0(VALU_DEP_1) | instskip(SKIP_1) | instid1(VALU_DEP_2)
	v_mbcnt_lo_u32_b32 v178, v2, 0
	v_cmp_ne_u32_e64 s16, 0, v2
	v_cmp_eq_u32_e32 vcc_lo, 0, v178
	s_delay_alu instid0(VALU_DEP_2) | instskip(NEXT) | instid1(SALU_CYCLE_1)
	s_and_b32 s17, s16, vcc_lo
	s_and_saveexec_b32 s16, s17
	s_cbranch_execz .LBB1022_1024
; %bb.1023:                             ;   in Loop: Header=BB1022_982 Depth=2
	s_waitcnt lgkmcnt(0)
	v_bcnt_u32_b32 v2, v2, v177
	ds_store_b32 v179, v2
.LBB1022_1024:                          ;   in Loop: Header=BB1022_982 Depth=2
	s_or_b32 exec_lo, exec_lo, s16
	v_xor_b32_e32 v176, 0x80008000, v7
	; wave barrier
	s_delay_alu instid0(VALU_DEP_1) | instskip(NEXT) | instid1(VALU_DEP_1)
	v_and_b32_e32 v2, 0xffff, v176
	v_lshrrev_b32_e32 v2, s57, v2
	s_delay_alu instid0(VALU_DEP_1) | instskip(NEXT) | instid1(VALU_DEP_1)
	v_and_b32_e32 v2, s43, v2
	v_and_b32_e32 v3, 1, v2
	v_lshlrev_b32_e32 v4, 30, v2
	v_lshlrev_b32_e32 v5, 29, v2
	;; [unrolled: 1-line block ×4, first 2 shown]
	v_add_co_u32 v3, s16, v3, -1
	s_delay_alu instid0(VALU_DEP_1)
	v_cndmask_b32_e64 v7, 0, 1, s16
	v_not_b32_e32 v181, v4
	v_cmp_gt_i32_e64 s16, 0, v4
	v_not_b32_e32 v4, v5
	v_lshlrev_b32_e32 v46, 26, v2
	v_cmp_ne_u32_e32 vcc_lo, 0, v7
	v_ashrrev_i32_e32 v181, 31, v181
	v_lshlrev_b32_e32 v180, 25, v2
	v_ashrrev_i32_e32 v4, 31, v4
	v_lshlrev_b32_e32 v7, 24, v2
	v_xor_b32_e32 v3, vcc_lo, v3
	v_cmp_gt_i32_e32 vcc_lo, 0, v5
	v_not_b32_e32 v5, v6
	v_xor_b32_e32 v181, s16, v181
	v_cmp_gt_i32_e64 s16, 0, v6
	v_and_b32_e32 v3, exec_lo, v3
	v_not_b32_e32 v6, v45
	v_ashrrev_i32_e32 v5, 31, v5
	v_xor_b32_e32 v4, vcc_lo, v4
	v_cmp_gt_i32_e32 vcc_lo, 0, v45
	v_and_b32_e32 v3, v3, v181
	v_not_b32_e32 v45, v46
	v_ashrrev_i32_e32 v6, 31, v6
	v_xor_b32_e32 v5, s16, v5
	v_cmp_gt_i32_e64 s16, 0, v46
	v_and_b32_e32 v3, v3, v4
	v_not_b32_e32 v4, v180
	v_ashrrev_i32_e32 v45, 31, v45
	v_xor_b32_e32 v6, vcc_lo, v6
	v_cmp_gt_i32_e32 vcc_lo, 0, v180
	v_and_b32_e32 v3, v3, v5
	v_not_b32_e32 v5, v7
	v_ashrrev_i32_e32 v4, 31, v4
	v_xor_b32_e32 v45, s16, v45
	v_mul_u32_u24_e32 v2, 9, v2
	v_and_b32_e32 v3, v3, v6
	v_cmp_gt_i32_e64 s16, 0, v7
	v_ashrrev_i32_e32 v5, 31, v5
	v_xor_b32_e32 v4, vcc_lo, v4
	v_add_lshl_u32 v6, v2, v122, 2
	v_and_b32_e32 v3, v3, v45
	s_delay_alu instid0(VALU_DEP_4) | instskip(SKIP_3) | instid1(VALU_DEP_2)
	v_xor_b32_e32 v2, s16, v5
	ds_load_b32 v181, v6 offset:1056
	v_and_b32_e32 v3, v3, v4
	v_add_nc_u32_e32 v183, 0x420, v6
	; wave barrier
	v_and_b32_e32 v2, v3, v2
	s_delay_alu instid0(VALU_DEP_1) | instskip(SKIP_1) | instid1(VALU_DEP_2)
	v_mbcnt_lo_u32_b32 v182, v2, 0
	v_cmp_ne_u32_e64 s16, 0, v2
	v_cmp_eq_u32_e32 vcc_lo, 0, v182
	s_delay_alu instid0(VALU_DEP_2) | instskip(NEXT) | instid1(SALU_CYCLE_1)
	s_and_b32 s17, s16, vcc_lo
	s_and_saveexec_b32 s16, s17
	s_cbranch_execz .LBB1022_1026
; %bb.1025:                             ;   in Loop: Header=BB1022_982 Depth=2
	s_waitcnt lgkmcnt(0)
	v_bcnt_u32_b32 v2, v2, v181
	ds_store_b32 v183, v2
.LBB1022_1026:                          ;   in Loop: Header=BB1022_982 Depth=2
	s_or_b32 exec_lo, exec_lo, s16
	v_lshrrev_b32_e32 v180, 16, v176
	; wave barrier
	s_delay_alu instid0(VALU_DEP_1) | instskip(NEXT) | instid1(VALU_DEP_1)
	v_lshrrev_b32_e32 v2, s57, v180
	v_and_b32_e32 v2, s43, v2
	s_delay_alu instid0(VALU_DEP_1)
	v_and_b32_e32 v3, 1, v2
	v_lshlrev_b32_e32 v4, 30, v2
	v_lshlrev_b32_e32 v5, 29, v2
	;; [unrolled: 1-line block ×4, first 2 shown]
	v_add_co_u32 v3, s16, v3, -1
	s_delay_alu instid0(VALU_DEP_1)
	v_cndmask_b32_e64 v7, 0, 1, s16
	v_not_b32_e32 v185, v4
	v_cmp_gt_i32_e64 s16, 0, v4
	v_not_b32_e32 v4, v5
	v_lshlrev_b32_e32 v46, 26, v2
	v_cmp_ne_u32_e32 vcc_lo, 0, v7
	v_ashrrev_i32_e32 v185, 31, v185
	v_lshlrev_b32_e32 v184, 25, v2
	v_ashrrev_i32_e32 v4, 31, v4
	v_lshlrev_b32_e32 v7, 24, v2
	v_xor_b32_e32 v3, vcc_lo, v3
	v_cmp_gt_i32_e32 vcc_lo, 0, v5
	v_not_b32_e32 v5, v6
	v_xor_b32_e32 v185, s16, v185
	v_cmp_gt_i32_e64 s16, 0, v6
	v_and_b32_e32 v3, exec_lo, v3
	v_not_b32_e32 v6, v45
	v_ashrrev_i32_e32 v5, 31, v5
	v_xor_b32_e32 v4, vcc_lo, v4
	v_cmp_gt_i32_e32 vcc_lo, 0, v45
	v_and_b32_e32 v3, v3, v185
	v_not_b32_e32 v45, v46
	v_ashrrev_i32_e32 v6, 31, v6
	v_xor_b32_e32 v5, s16, v5
	v_cmp_gt_i32_e64 s16, 0, v46
	v_and_b32_e32 v3, v3, v4
	v_not_b32_e32 v4, v184
	v_ashrrev_i32_e32 v45, 31, v45
	v_xor_b32_e32 v6, vcc_lo, v6
	v_cmp_gt_i32_e32 vcc_lo, 0, v184
	v_and_b32_e32 v3, v3, v5
	v_not_b32_e32 v5, v7
	v_ashrrev_i32_e32 v4, 31, v4
	v_xor_b32_e32 v45, s16, v45
	v_mul_u32_u24_e32 v2, 9, v2
	v_and_b32_e32 v3, v3, v6
	v_cmp_gt_i32_e64 s16, 0, v7
	v_ashrrev_i32_e32 v5, 31, v5
	v_xor_b32_e32 v4, vcc_lo, v4
	v_add_lshl_u32 v6, v2, v122, 2
	v_and_b32_e32 v3, v3, v45
	s_delay_alu instid0(VALU_DEP_4) | instskip(SKIP_3) | instid1(VALU_DEP_2)
	v_xor_b32_e32 v2, s16, v5
	ds_load_b32 v185, v6 offset:1056
	v_and_b32_e32 v3, v3, v4
	v_add_nc_u32_e32 v187, 0x420, v6
	; wave barrier
	v_and_b32_e32 v2, v3, v2
	s_delay_alu instid0(VALU_DEP_1) | instskip(SKIP_1) | instid1(VALU_DEP_2)
	v_mbcnt_lo_u32_b32 v186, v2, 0
	v_cmp_ne_u32_e64 s16, 0, v2
	v_cmp_eq_u32_e32 vcc_lo, 0, v186
	s_delay_alu instid0(VALU_DEP_2) | instskip(NEXT) | instid1(SALU_CYCLE_1)
	s_and_b32 s17, s16, vcc_lo
	s_and_saveexec_b32 s16, s17
	s_cbranch_execz .LBB1022_1028
; %bb.1027:                             ;   in Loop: Header=BB1022_982 Depth=2
	s_waitcnt lgkmcnt(0)
	v_bcnt_u32_b32 v2, v2, v185
	ds_store_b32 v187, v2
.LBB1022_1028:                          ;   in Loop: Header=BB1022_982 Depth=2
	s_or_b32 exec_lo, exec_lo, s16
	v_xor_b32_e32 v184, 0x80008000, v8
	; wave barrier
	s_delay_alu instid0(VALU_DEP_1) | instskip(NEXT) | instid1(VALU_DEP_1)
	v_and_b32_e32 v2, 0xffff, v184
	v_lshrrev_b32_e32 v2, s57, v2
	s_delay_alu instid0(VALU_DEP_1) | instskip(NEXT) | instid1(VALU_DEP_1)
	v_and_b32_e32 v2, s43, v2
	v_and_b32_e32 v3, 1, v2
	v_lshlrev_b32_e32 v4, 30, v2
	v_lshlrev_b32_e32 v5, 29, v2
	;; [unrolled: 1-line block ×4, first 2 shown]
	v_add_co_u32 v3, s16, v3, -1
	s_delay_alu instid0(VALU_DEP_1)
	v_cndmask_b32_e64 v7, 0, 1, s16
	v_not_b32_e32 v188, v4
	v_cmp_gt_i32_e64 s16, 0, v4
	v_not_b32_e32 v4, v5
	v_lshlrev_b32_e32 v45, 26, v2
	v_cmp_ne_u32_e32 vcc_lo, 0, v7
	v_ashrrev_i32_e32 v188, 31, v188
	v_lshlrev_b32_e32 v46, 25, v2
	v_ashrrev_i32_e32 v4, 31, v4
	v_lshlrev_b32_e32 v7, 24, v2
	v_xor_b32_e32 v3, vcc_lo, v3
	v_cmp_gt_i32_e32 vcc_lo, 0, v5
	v_not_b32_e32 v5, v6
	v_xor_b32_e32 v188, s16, v188
	v_cmp_gt_i32_e64 s16, 0, v6
	v_and_b32_e32 v3, exec_lo, v3
	v_not_b32_e32 v6, v8
	v_ashrrev_i32_e32 v5, 31, v5
	v_xor_b32_e32 v4, vcc_lo, v4
	v_cmp_gt_i32_e32 vcc_lo, 0, v8
	v_and_b32_e32 v3, v3, v188
	v_not_b32_e32 v8, v45
	v_ashrrev_i32_e32 v6, 31, v6
	v_xor_b32_e32 v5, s16, v5
	v_cmp_gt_i32_e64 s16, 0, v45
	v_and_b32_e32 v3, v3, v4
	v_not_b32_e32 v4, v46
	v_ashrrev_i32_e32 v8, 31, v8
	v_xor_b32_e32 v6, vcc_lo, v6
	v_cmp_gt_i32_e32 vcc_lo, 0, v46
	v_and_b32_e32 v3, v3, v5
	v_not_b32_e32 v5, v7
	v_ashrrev_i32_e32 v4, 31, v4
	v_xor_b32_e32 v8, s16, v8
	v_mul_u32_u24_e32 v2, 9, v2
	v_and_b32_e32 v3, v3, v6
	v_cmp_gt_i32_e64 s16, 0, v7
	v_ashrrev_i32_e32 v5, 31, v5
	v_xor_b32_e32 v4, vcc_lo, v4
	v_add_lshl_u32 v6, v2, v122, 2
	v_and_b32_e32 v3, v3, v8
	s_delay_alu instid0(VALU_DEP_4) | instskip(SKIP_3) | instid1(VALU_DEP_2)
	v_xor_b32_e32 v2, s16, v5
	ds_load_b32 v189, v6 offset:1056
	v_and_b32_e32 v3, v3, v4
	v_add_nc_u32_e32 v8, 0x420, v6
	; wave barrier
	v_and_b32_e32 v2, v3, v2
	s_delay_alu instid0(VALU_DEP_1) | instskip(SKIP_1) | instid1(VALU_DEP_2)
	v_mbcnt_lo_u32_b32 v190, v2, 0
	v_cmp_ne_u32_e64 s16, 0, v2
	v_cmp_eq_u32_e32 vcc_lo, 0, v190
	s_delay_alu instid0(VALU_DEP_2) | instskip(NEXT) | instid1(SALU_CYCLE_1)
	s_and_b32 s17, s16, vcc_lo
	s_and_saveexec_b32 s16, s17
	s_cbranch_execz .LBB1022_1030
; %bb.1029:                             ;   in Loop: Header=BB1022_982 Depth=2
	s_waitcnt lgkmcnt(0)
	v_bcnt_u32_b32 v2, v2, v189
	ds_store_b32 v8, v2
.LBB1022_1030:                          ;   in Loop: Header=BB1022_982 Depth=2
	s_or_b32 exec_lo, exec_lo, s16
	v_lshrrev_b32_e32 v188, 16, v184
	; wave barrier
	s_delay_alu instid0(VALU_DEP_1) | instskip(NEXT) | instid1(VALU_DEP_1)
	v_lshrrev_b32_e32 v2, s57, v188
	v_and_b32_e32 v2, s43, v2
	s_delay_alu instid0(VALU_DEP_1)
	v_and_b32_e32 v3, 1, v2
	v_lshlrev_b32_e32 v4, 30, v2
	v_lshlrev_b32_e32 v5, 29, v2
	;; [unrolled: 1-line block ×4, first 2 shown]
	v_add_co_u32 v3, s16, v3, -1
	s_delay_alu instid0(VALU_DEP_1)
	v_cndmask_b32_e64 v7, 0, 1, s16
	v_not_b32_e32 v192, v4
	v_cmp_gt_i32_e64 s16, 0, v4
	v_not_b32_e32 v4, v5
	v_lshlrev_b32_e32 v46, 26, v2
	v_cmp_ne_u32_e32 vcc_lo, 0, v7
	v_ashrrev_i32_e32 v192, 31, v192
	v_lshlrev_b32_e32 v191, 25, v2
	v_ashrrev_i32_e32 v4, 31, v4
	v_lshlrev_b32_e32 v7, 24, v2
	v_xor_b32_e32 v3, vcc_lo, v3
	v_cmp_gt_i32_e32 vcc_lo, 0, v5
	v_not_b32_e32 v5, v6
	v_xor_b32_e32 v192, s16, v192
	v_cmp_gt_i32_e64 s16, 0, v6
	v_and_b32_e32 v3, exec_lo, v3
	v_not_b32_e32 v6, v45
	v_ashrrev_i32_e32 v5, 31, v5
	v_xor_b32_e32 v4, vcc_lo, v4
	v_cmp_gt_i32_e32 vcc_lo, 0, v45
	v_and_b32_e32 v3, v3, v192
	v_not_b32_e32 v45, v46
	v_ashrrev_i32_e32 v6, 31, v6
	v_xor_b32_e32 v5, s16, v5
	v_cmp_gt_i32_e64 s16, 0, v46
	v_and_b32_e32 v3, v3, v4
	v_not_b32_e32 v4, v191
	v_ashrrev_i32_e32 v45, 31, v45
	v_xor_b32_e32 v6, vcc_lo, v6
	v_cmp_gt_i32_e32 vcc_lo, 0, v191
	v_and_b32_e32 v3, v3, v5
	v_not_b32_e32 v5, v7
	v_ashrrev_i32_e32 v4, 31, v4
	v_xor_b32_e32 v45, s16, v45
	v_mul_u32_u24_e32 v2, 9, v2
	v_and_b32_e32 v3, v3, v6
	v_cmp_gt_i32_e64 s16, 0, v7
	v_ashrrev_i32_e32 v5, 31, v5
	v_xor_b32_e32 v4, vcc_lo, v4
	v_add_lshl_u32 v6, v2, v122, 2
	v_and_b32_e32 v3, v3, v45
	s_delay_alu instid0(VALU_DEP_4) | instskip(SKIP_3) | instid1(VALU_DEP_2)
	v_xor_b32_e32 v2, s16, v5
	ds_load_b32 v191, v6 offset:1056
	v_and_b32_e32 v3, v3, v4
	v_add_nc_u32_e32 v193, 0x420, v6
	; wave barrier
	v_and_b32_e32 v2, v3, v2
	s_delay_alu instid0(VALU_DEP_1) | instskip(SKIP_1) | instid1(VALU_DEP_2)
	v_mbcnt_lo_u32_b32 v192, v2, 0
	v_cmp_ne_u32_e64 s16, 0, v2
	v_cmp_eq_u32_e32 vcc_lo, 0, v192
	s_delay_alu instid0(VALU_DEP_2) | instskip(NEXT) | instid1(SALU_CYCLE_1)
	s_and_b32 s17, s16, vcc_lo
	s_and_saveexec_b32 s16, s17
	s_cbranch_execz .LBB1022_1032
; %bb.1031:                             ;   in Loop: Header=BB1022_982 Depth=2
	s_waitcnt lgkmcnt(0)
	v_bcnt_u32_b32 v2, v2, v191
	ds_store_b32 v193, v2
.LBB1022_1032:                          ;   in Loop: Header=BB1022_982 Depth=2
	s_or_b32 exec_lo, exec_lo, s16
	v_xor_b32_e32 v9, 0x80008000, v9
	; wave barrier
	s_delay_alu instid0(VALU_DEP_1) | instskip(NEXT) | instid1(VALU_DEP_1)
	v_and_b32_e32 v2, 0xffff, v9
	v_lshrrev_b32_e32 v2, s57, v2
	s_delay_alu instid0(VALU_DEP_1) | instskip(NEXT) | instid1(VALU_DEP_1)
	v_and_b32_e32 v2, s43, v2
	v_and_b32_e32 v3, 1, v2
	v_lshlrev_b32_e32 v4, 30, v2
	v_lshlrev_b32_e32 v5, 29, v2
	;; [unrolled: 1-line block ×4, first 2 shown]
	v_add_co_u32 v3, s16, v3, -1
	s_delay_alu instid0(VALU_DEP_1)
	v_cndmask_b32_e64 v7, 0, 1, s16
	v_not_b32_e32 v195, v4
	v_cmp_gt_i32_e64 s16, 0, v4
	v_not_b32_e32 v4, v5
	v_lshlrev_b32_e32 v46, 26, v2
	v_cmp_ne_u32_e32 vcc_lo, 0, v7
	v_ashrrev_i32_e32 v195, 31, v195
	v_lshlrev_b32_e32 v194, 25, v2
	v_ashrrev_i32_e32 v4, 31, v4
	v_lshlrev_b32_e32 v7, 24, v2
	v_xor_b32_e32 v3, vcc_lo, v3
	v_cmp_gt_i32_e32 vcc_lo, 0, v5
	v_not_b32_e32 v5, v6
	v_xor_b32_e32 v195, s16, v195
	v_cmp_gt_i32_e64 s16, 0, v6
	v_and_b32_e32 v3, exec_lo, v3
	v_not_b32_e32 v6, v45
	v_ashrrev_i32_e32 v5, 31, v5
	v_xor_b32_e32 v4, vcc_lo, v4
	v_cmp_gt_i32_e32 vcc_lo, 0, v45
	v_and_b32_e32 v3, v3, v195
	v_not_b32_e32 v45, v46
	v_ashrrev_i32_e32 v6, 31, v6
	v_xor_b32_e32 v5, s16, v5
	v_cmp_gt_i32_e64 s16, 0, v46
	v_and_b32_e32 v3, v3, v4
	v_not_b32_e32 v4, v194
	v_ashrrev_i32_e32 v45, 31, v45
	v_xor_b32_e32 v6, vcc_lo, v6
	v_cmp_gt_i32_e32 vcc_lo, 0, v194
	v_and_b32_e32 v3, v3, v5
	v_not_b32_e32 v5, v7
	v_ashrrev_i32_e32 v4, 31, v4
	v_xor_b32_e32 v45, s16, v45
	v_mul_u32_u24_e32 v2, 9, v2
	v_and_b32_e32 v3, v3, v6
	v_cmp_gt_i32_e64 s16, 0, v7
	v_ashrrev_i32_e32 v5, 31, v5
	v_xor_b32_e32 v4, vcc_lo, v4
	v_add_lshl_u32 v6, v2, v122, 2
	v_and_b32_e32 v3, v3, v45
	s_delay_alu instid0(VALU_DEP_4) | instskip(SKIP_3) | instid1(VALU_DEP_2)
	v_xor_b32_e32 v2, s16, v5
	ds_load_b32 v195, v6 offset:1056
	v_and_b32_e32 v3, v3, v4
	v_add_nc_u32_e32 v197, 0x420, v6
	; wave barrier
	v_and_b32_e32 v2, v3, v2
	s_delay_alu instid0(VALU_DEP_1) | instskip(SKIP_1) | instid1(VALU_DEP_2)
	v_mbcnt_lo_u32_b32 v196, v2, 0
	v_cmp_ne_u32_e64 s16, 0, v2
	v_cmp_eq_u32_e32 vcc_lo, 0, v196
	s_delay_alu instid0(VALU_DEP_2) | instskip(NEXT) | instid1(SALU_CYCLE_1)
	s_and_b32 s17, s16, vcc_lo
	s_and_saveexec_b32 s16, s17
	s_cbranch_execz .LBB1022_1034
; %bb.1033:                             ;   in Loop: Header=BB1022_982 Depth=2
	s_waitcnt lgkmcnt(0)
	v_bcnt_u32_b32 v2, v2, v195
	ds_store_b32 v197, v2
.LBB1022_1034:                          ;   in Loop: Header=BB1022_982 Depth=2
	s_or_b32 exec_lo, exec_lo, s16
	v_lshrrev_b32_e32 v194, 16, v9
	; wave barrier
	s_delay_alu instid0(VALU_DEP_1) | instskip(NEXT) | instid1(VALU_DEP_1)
	v_lshrrev_b32_e32 v2, s57, v194
	v_and_b32_e32 v2, s43, v2
	s_delay_alu instid0(VALU_DEP_1)
	v_and_b32_e32 v3, 1, v2
	v_lshlrev_b32_e32 v4, 30, v2
	v_lshlrev_b32_e32 v5, 29, v2
	;; [unrolled: 1-line block ×4, first 2 shown]
	v_add_co_u32 v3, s16, v3, -1
	s_delay_alu instid0(VALU_DEP_1)
	v_cndmask_b32_e64 v7, 0, 1, s16
	v_not_b32_e32 v199, v4
	v_cmp_gt_i32_e64 s16, 0, v4
	v_not_b32_e32 v4, v5
	v_lshlrev_b32_e32 v46, 26, v2
	v_cmp_ne_u32_e32 vcc_lo, 0, v7
	v_ashrrev_i32_e32 v199, 31, v199
	v_lshlrev_b32_e32 v198, 25, v2
	v_ashrrev_i32_e32 v4, 31, v4
	v_lshlrev_b32_e32 v7, 24, v2
	v_xor_b32_e32 v3, vcc_lo, v3
	v_cmp_gt_i32_e32 vcc_lo, 0, v5
	v_not_b32_e32 v5, v6
	v_xor_b32_e32 v199, s16, v199
	v_cmp_gt_i32_e64 s16, 0, v6
	v_and_b32_e32 v3, exec_lo, v3
	v_not_b32_e32 v6, v45
	v_ashrrev_i32_e32 v5, 31, v5
	v_xor_b32_e32 v4, vcc_lo, v4
	v_cmp_gt_i32_e32 vcc_lo, 0, v45
	v_and_b32_e32 v3, v3, v199
	v_not_b32_e32 v45, v46
	v_ashrrev_i32_e32 v6, 31, v6
	v_xor_b32_e32 v5, s16, v5
	v_cmp_gt_i32_e64 s16, 0, v46
	v_and_b32_e32 v3, v3, v4
	v_not_b32_e32 v4, v198
	v_ashrrev_i32_e32 v45, 31, v45
	v_xor_b32_e32 v6, vcc_lo, v6
	v_cmp_gt_i32_e32 vcc_lo, 0, v198
	v_and_b32_e32 v3, v3, v5
	v_not_b32_e32 v5, v7
	v_ashrrev_i32_e32 v4, 31, v4
	v_xor_b32_e32 v45, s16, v45
	v_mul_u32_u24_e32 v2, 9, v2
	v_and_b32_e32 v3, v3, v6
	v_cmp_gt_i32_e64 s16, 0, v7
	v_ashrrev_i32_e32 v5, 31, v5
	v_xor_b32_e32 v4, vcc_lo, v4
	v_add_lshl_u32 v6, v2, v122, 2
	v_and_b32_e32 v3, v3, v45
	s_delay_alu instid0(VALU_DEP_4) | instskip(SKIP_3) | instid1(VALU_DEP_2)
	v_xor_b32_e32 v2, s16, v5
	ds_load_b32 v198, v6 offset:1056
	v_and_b32_e32 v3, v3, v4
	v_add_nc_u32_e32 v200, 0x420, v6
	; wave barrier
	v_and_b32_e32 v2, v3, v2
	s_delay_alu instid0(VALU_DEP_1) | instskip(SKIP_1) | instid1(VALU_DEP_2)
	v_mbcnt_lo_u32_b32 v199, v2, 0
	v_cmp_ne_u32_e64 s16, 0, v2
	v_cmp_eq_u32_e32 vcc_lo, 0, v199
	s_delay_alu instid0(VALU_DEP_2) | instskip(NEXT) | instid1(SALU_CYCLE_1)
	s_and_b32 s17, s16, vcc_lo
	s_and_saveexec_b32 s16, s17
	s_cbranch_execz .LBB1022_1036
; %bb.1035:                             ;   in Loop: Header=BB1022_982 Depth=2
	s_waitcnt lgkmcnt(0)
	v_bcnt_u32_b32 v2, v2, v198
	ds_store_b32 v200, v2
.LBB1022_1036:                          ;   in Loop: Header=BB1022_982 Depth=2
	s_or_b32 exec_lo, exec_lo, s16
	; wave barrier
	s_waitcnt lgkmcnt(0)
	s_barrier
	buffer_gl0_inv
	ds_load_b32 v201, v73 offset:1056
	ds_load_2addr_b32 v[45:46], v75 offset0:1 offset1:2
	ds_load_2addr_b32 v[6:7], v75 offset0:3 offset1:4
	;; [unrolled: 1-line block ×4, first 2 shown]
	s_waitcnt lgkmcnt(3)
	v_add3_u32 v202, v45, v201, v46
	s_waitcnt lgkmcnt(2)
	s_delay_alu instid0(VALU_DEP_1) | instskip(SKIP_1) | instid1(VALU_DEP_1)
	v_add3_u32 v202, v202, v6, v7
	s_waitcnt lgkmcnt(1)
	v_add3_u32 v202, v202, v2, v3
	s_waitcnt lgkmcnt(0)
	s_delay_alu instid0(VALU_DEP_1) | instskip(NEXT) | instid1(VALU_DEP_1)
	v_add3_u32 v5, v202, v4, v5
	v_mov_b32_dpp v202, v5 row_shr:1 row_mask:0xf bank_mask:0xf
	s_delay_alu instid0(VALU_DEP_1) | instskip(NEXT) | instid1(VALU_DEP_1)
	v_cndmask_b32_e64 v202, v202, 0, s1
	v_add_nc_u32_e32 v5, v202, v5
	s_delay_alu instid0(VALU_DEP_1) | instskip(NEXT) | instid1(VALU_DEP_1)
	v_mov_b32_dpp v202, v5 row_shr:2 row_mask:0xf bank_mask:0xf
	v_cndmask_b32_e64 v202, 0, v202, s7
	s_delay_alu instid0(VALU_DEP_1) | instskip(NEXT) | instid1(VALU_DEP_1)
	v_add_nc_u32_e32 v5, v5, v202
	v_mov_b32_dpp v202, v5 row_shr:4 row_mask:0xf bank_mask:0xf
	s_delay_alu instid0(VALU_DEP_1) | instskip(NEXT) | instid1(VALU_DEP_1)
	v_cndmask_b32_e64 v202, 0, v202, s8
	v_add_nc_u32_e32 v5, v5, v202
	s_delay_alu instid0(VALU_DEP_1) | instskip(NEXT) | instid1(VALU_DEP_1)
	v_mov_b32_dpp v202, v5 row_shr:8 row_mask:0xf bank_mask:0xf
	v_cndmask_b32_e64 v202, 0, v202, s9
	s_delay_alu instid0(VALU_DEP_1) | instskip(SKIP_3) | instid1(VALU_DEP_1)
	v_add_nc_u32_e32 v5, v5, v202
	ds_swizzle_b32 v202, v5 offset:swizzle(BROADCAST,32,15)
	s_waitcnt lgkmcnt(0)
	v_cndmask_b32_e64 v202, v202, 0, s10
	v_add_nc_u32_e32 v5, v5, v202
	s_and_saveexec_b32 s16, s3
	s_cbranch_execz .LBB1022_1038
; %bb.1037:                             ;   in Loop: Header=BB1022_982 Depth=2
	ds_store_b32 v65, v5 offset:1024
.LBB1022_1038:                          ;   in Loop: Header=BB1022_982 Depth=2
	s_or_b32 exec_lo, exec_lo, s16
	s_waitcnt lgkmcnt(0)
	s_barrier
	buffer_gl0_inv
	s_and_saveexec_b32 s16, s4
	s_cbranch_execz .LBB1022_1040
; %bb.1039:                             ;   in Loop: Header=BB1022_982 Depth=2
	ds_load_b32 v202, v76 offset:1024
	s_waitcnt lgkmcnt(0)
	v_mov_b32_dpp v203, v202 row_shr:1 row_mask:0xf bank_mask:0xf
	s_delay_alu instid0(VALU_DEP_1) | instskip(NEXT) | instid1(VALU_DEP_1)
	v_cndmask_b32_e64 v203, v203, 0, s12
	v_add_nc_u32_e32 v202, v203, v202
	s_delay_alu instid0(VALU_DEP_1) | instskip(NEXT) | instid1(VALU_DEP_1)
	v_mov_b32_dpp v203, v202 row_shr:2 row_mask:0xf bank_mask:0xf
	v_cndmask_b32_e64 v203, 0, v203, s13
	s_delay_alu instid0(VALU_DEP_1) | instskip(NEXT) | instid1(VALU_DEP_1)
	v_add_nc_u32_e32 v202, v202, v203
	v_mov_b32_dpp v203, v202 row_shr:4 row_mask:0xf bank_mask:0xf
	s_delay_alu instid0(VALU_DEP_1) | instskip(NEXT) | instid1(VALU_DEP_1)
	v_cndmask_b32_e64 v203, 0, v203, s14
	v_add_nc_u32_e32 v202, v202, v203
	ds_store_b32 v76, v202 offset:1024
.LBB1022_1040:                          ;   in Loop: Header=BB1022_982 Depth=2
	s_or_b32 exec_lo, exec_lo, s16
	v_mov_b32_e32 v202, 0
	s_waitcnt lgkmcnt(0)
	s_barrier
	buffer_gl0_inv
	s_and_saveexec_b32 s16, s5
	s_cbranch_execz .LBB1022_1042
; %bb.1041:                             ;   in Loop: Header=BB1022_982 Depth=2
	ds_load_b32 v202, v65 offset:1020
.LBB1022_1042:                          ;   in Loop: Header=BB1022_982 Depth=2
	s_or_b32 exec_lo, exec_lo, s16
	s_waitcnt lgkmcnt(0)
	v_add_nc_u32_e32 v5, v202, v5
	ds_bpermute_b32 v5, v101, v5
	s_waitcnt lgkmcnt(0)
	v_cndmask_b32_e64 v5, v5, v202, s11
	s_delay_alu instid0(VALU_DEP_1) | instskip(NEXT) | instid1(VALU_DEP_1)
	v_cndmask_b32_e64 v5, v5, 0, s0
	v_add_nc_u32_e32 v201, v5, v201
	s_delay_alu instid0(VALU_DEP_1) | instskip(NEXT) | instid1(VALU_DEP_1)
	v_add_nc_u32_e32 v45, v201, v45
	v_add_nc_u32_e32 v46, v45, v46
	s_delay_alu instid0(VALU_DEP_1) | instskip(NEXT) | instid1(VALU_DEP_1)
	v_add_nc_u32_e32 v6, v46, v6
	;; [unrolled: 3-line block ×3, first 2 shown]
	v_add_nc_u32_e32 v3, v2, v3
	s_delay_alu instid0(VALU_DEP_1)
	v_add_nc_u32_e32 v4, v3, v4
	ds_store_b32 v73, v5 offset:1056
	ds_store_2addr_b32 v75, v201, v45 offset0:1 offset1:2
	ds_store_2addr_b32 v75, v46, v6 offset0:3 offset1:4
	ds_store_2addr_b32 v75, v7, v2 offset0:5 offset1:6
	ds_store_2addr_b32 v75, v3, v4 offset0:7 offset1:8
	v_mov_b32_e32 v4, 0x1000
	s_waitcnt lgkmcnt(0)
	s_barrier
	buffer_gl0_inv
	ds_load_b32 v5, v147
	ds_load_b32 v6, v151
	;; [unrolled: 1-line block ×16, first 2 shown]
	ds_load_b32 v143, v73 offset:1056
	s_and_saveexec_b32 s16, s6
	s_cbranch_execz .LBB1022_1044
; %bb.1043:                             ;   in Loop: Header=BB1022_982 Depth=2
	ds_load_b32 v4, v77 offset:1056
.LBB1022_1044:                          ;   in Loop: Header=BB1022_982 Depth=2
	s_or_b32 exec_lo, exec_lo, s16
	s_waitcnt lgkmcnt(0)
	s_barrier
	buffer_gl0_inv
	s_and_saveexec_b32 s16, s2
	s_cbranch_execz .LBB1022_1046
; %bb.1045:                             ;   in Loop: Header=BB1022_982 Depth=2
	ds_load_b32 v147, v47
	s_waitcnt lgkmcnt(0)
	v_sub_nc_u32_e32 v143, v147, v143
	ds_store_b32 v47, v143
.LBB1022_1046:                          ;   in Loop: Header=BB1022_982 Depth=2
	s_or_b32 exec_lo, exec_lo, s16
	v_add_nc_u32_e32 v159, v8, v141
	v_add3_u32 v155, v146, v145, v5
	v_add3_u32 v151, v150, v149, v6
	;; [unrolled: 1-line block ×4, first 2 shown]
	v_lshlrev_b32_e32 v153, 1, v159
	v_add3_u32 v147, v162, v161, v46
	v_add3_u32 v146, v166, v165, v163
	;; [unrolled: 1-line block ×3, first 2 shown]
	v_lshlrev_b32_e32 v2, 1, v155
	v_add3_u32 v145, v170, v169, v167
	v_add3_u32 v7, v199, v198, v3
	v_lshlrev_b32_e32 v3, 1, v151
	ds_store_b16 v153, v19 offset:1024
	v_lshlrev_b32_e32 v19, 1, v150
	v_lshlrev_b32_e32 v153, 1, v149
	v_add3_u32 v143, v174, v173, v171
	v_add3_u32 v46, v182, v181, v179
	ds_store_b16 v2, v142 offset:1024
	ds_store_b16 v3, v144 offset:1024
	v_lshlrev_b32_e32 v2, 1, v147
	v_lshlrev_b32_e32 v3, 1, v146
	v_add3_u32 v141, v178, v177, v175
	ds_store_b16 v19, v148 offset:1024
	ds_store_b16 v153, v152 offset:1024
	v_lshlrev_b32_e32 v19, 1, v145
	v_add3_u32 v8, v186, v185, v183
	v_add3_u32 v5, v192, v191, v193
	ds_store_b16 v2, v156 offset:1024
	v_lshlrev_b32_e32 v2, 1, v143
	ds_store_b16 v3, v160 offset:1024
	ds_store_b16 v19, v164 offset:1024
	v_lshlrev_b32_e32 v3, 1, v46
	v_add3_u32 v6, v190, v189, v187
	v_lshlrev_b32_e32 v142, 1, v141
	ds_store_b16 v2, v168 offset:1024
	ds_store_b16 v142, v172 offset:1024
	v_lshlrev_b32_e32 v2, 1, v8
	ds_store_b16 v3, v176 offset:1024
	v_lshlrev_b32_e32 v3, 1, v5
	v_lshlrev_b32_e32 v19, 1, v6
	v_lshlrev_b32_e32 v142, 1, v45
	ds_store_b16 v2, v180 offset:1024
	ds_store_b16 v19, v184 offset:1024
	v_lshlrev_b32_e32 v2, 1, v7
	ds_store_b16 v3, v188 offset:1024
	ds_store_b16 v142, v9 offset:1024
	v_cmp_lt_u32_e32 vcc_lo, v18, v0
	v_add_nc_u32_e32 v142, v76, v82
	ds_store_b16 v2, v194 offset:1024
	s_waitcnt lgkmcnt(0)
	s_barrier
	buffer_gl0_inv
	s_and_saveexec_b32 s17, vcc_lo
	s_cbranch_execz .LBB1022_1062
; %bb.1047:                             ;   in Loop: Header=BB1022_982 Depth=2
	ds_load_u16 v144, v142 offset:1024
	s_waitcnt lgkmcnt(0)
	v_and_b32_e32 v2, 0xffff, v144
	s_delay_alu instid0(VALU_DEP_1) | instskip(NEXT) | instid1(VALU_DEP_1)
	v_lshrrev_b32_e32 v2, s57, v2
	v_and_b32_e32 v2, s43, v2
	s_delay_alu instid0(VALU_DEP_1) | instskip(SKIP_3) | instid1(VALU_DEP_1)
	v_lshlrev_b32_e32 v2, 2, v2
	ds_load_b32 v2, v2
	s_waitcnt lgkmcnt(0)
	v_add_nc_u32_e32 v19, v2, v18
	v_lshlrev_b64 v[2:3], 1, v[19:20]
	v_xor_b32_e32 v19, 0xffff8000, v144
	s_delay_alu instid0(VALU_DEP_2) | instskip(NEXT) | instid1(VALU_DEP_1)
	v_add_co_u32 v2, s16, s40, v2
	v_add_co_ci_u32_e64 v3, s16, s41, v3, s16
	global_store_b16 v[2:3], v19, off
	s_or_b32 exec_lo, exec_lo, s17
	v_cmp_lt_u32_e64 s16, v48, v0
	s_delay_alu instid0(VALU_DEP_1)
	s_and_saveexec_b32 s18, s16
	s_cbranch_execnz .LBB1022_1063
.LBB1022_1048:                          ;   in Loop: Header=BB1022_982 Depth=2
	s_or_b32 exec_lo, exec_lo, s18
	v_cmp_lt_u32_e64 s17, v49, v0
	s_delay_alu instid0(VALU_DEP_1)
	s_and_saveexec_b32 s19, s17
	s_cbranch_execz .LBB1022_1064
.LBB1022_1049:                          ;   in Loop: Header=BB1022_982 Depth=2
	ds_load_u16 v144, v83 offset:1024
	s_waitcnt lgkmcnt(0)
	v_and_b32_e32 v2, 0xffff, v144
	s_delay_alu instid0(VALU_DEP_1) | instskip(NEXT) | instid1(VALU_DEP_1)
	v_lshrrev_b32_e32 v2, s57, v2
	v_and_b32_e32 v2, s43, v2
	s_delay_alu instid0(VALU_DEP_1) | instskip(SKIP_3) | instid1(VALU_DEP_1)
	v_lshlrev_b32_e32 v2, 2, v2
	ds_load_b32 v2, v2
	s_waitcnt lgkmcnt(0)
	v_add_nc_u32_e32 v19, v2, v49
	v_lshlrev_b64 v[2:3], 1, v[19:20]
	v_xor_b32_e32 v19, 0xffff8000, v144
	s_delay_alu instid0(VALU_DEP_2) | instskip(NEXT) | instid1(VALU_DEP_1)
	v_add_co_u32 v2, s18, s40, v2
	v_add_co_ci_u32_e64 v3, s18, s41, v3, s18
	global_store_b16 v[2:3], v19, off
	s_or_b32 exec_lo, exec_lo, s19
	v_cmp_lt_u32_e64 s18, v50, v0
	s_delay_alu instid0(VALU_DEP_1)
	s_and_saveexec_b32 s20, s18
	s_cbranch_execnz .LBB1022_1065
.LBB1022_1050:                          ;   in Loop: Header=BB1022_982 Depth=2
	s_or_b32 exec_lo, exec_lo, s20
	v_cmp_lt_u32_e64 s19, v54, v0
	s_delay_alu instid0(VALU_DEP_1)
	s_and_saveexec_b32 s21, s19
	s_cbranch_execz .LBB1022_1066
.LBB1022_1051:                          ;   in Loop: Header=BB1022_982 Depth=2
	ds_load_u16 v144, v83 offset:2048
	s_waitcnt lgkmcnt(0)
	v_and_b32_e32 v2, 0xffff, v144
	s_delay_alu instid0(VALU_DEP_1) | instskip(NEXT) | instid1(VALU_DEP_1)
	v_lshrrev_b32_e32 v2, s57, v2
	v_and_b32_e32 v2, s43, v2
	s_delay_alu instid0(VALU_DEP_1) | instskip(SKIP_3) | instid1(VALU_DEP_1)
	v_lshlrev_b32_e32 v2, 2, v2
	ds_load_b32 v2, v2
	s_waitcnt lgkmcnt(0)
	v_add_nc_u32_e32 v19, v2, v54
	v_lshlrev_b64 v[2:3], 1, v[19:20]
	v_xor_b32_e32 v19, 0xffff8000, v144
	s_delay_alu instid0(VALU_DEP_2) | instskip(NEXT) | instid1(VALU_DEP_1)
	v_add_co_u32 v2, s20, s40, v2
	v_add_co_ci_u32_e64 v3, s20, s41, v3, s20
	global_store_b16 v[2:3], v19, off
	s_or_b32 exec_lo, exec_lo, s21
	v_cmp_lt_u32_e64 s20, v55, v0
	s_delay_alu instid0(VALU_DEP_1)
	s_and_saveexec_b32 s22, s20
	s_cbranch_execnz .LBB1022_1067
.LBB1022_1052:                          ;   in Loop: Header=BB1022_982 Depth=2
	s_or_b32 exec_lo, exec_lo, s22
	v_cmp_lt_u32_e64 s21, v56, v0
	s_delay_alu instid0(VALU_DEP_1)
	s_and_saveexec_b32 s23, s21
	s_cbranch_execz .LBB1022_1068
.LBB1022_1053:                          ;   in Loop: Header=BB1022_982 Depth=2
	ds_load_u16 v144, v83 offset:3072
	s_waitcnt lgkmcnt(0)
	v_and_b32_e32 v2, 0xffff, v144
	s_delay_alu instid0(VALU_DEP_1) | instskip(NEXT) | instid1(VALU_DEP_1)
	v_lshrrev_b32_e32 v2, s57, v2
	v_and_b32_e32 v2, s43, v2
	s_delay_alu instid0(VALU_DEP_1) | instskip(SKIP_3) | instid1(VALU_DEP_1)
	v_lshlrev_b32_e32 v2, 2, v2
	ds_load_b32 v2, v2
	s_waitcnt lgkmcnt(0)
	v_add_nc_u32_e32 v19, v2, v56
	v_lshlrev_b64 v[2:3], 1, v[19:20]
	v_xor_b32_e32 v19, 0xffff8000, v144
	s_delay_alu instid0(VALU_DEP_2) | instskip(NEXT) | instid1(VALU_DEP_1)
	v_add_co_u32 v2, s22, s40, v2
	v_add_co_ci_u32_e64 v3, s22, s41, v3, s22
	global_store_b16 v[2:3], v19, off
	s_or_b32 exec_lo, exec_lo, s23
	v_cmp_lt_u32_e64 s22, v57, v0
	s_delay_alu instid0(VALU_DEP_1)
	s_and_saveexec_b32 s24, s22
	s_cbranch_execnz .LBB1022_1069
.LBB1022_1054:                          ;   in Loop: Header=BB1022_982 Depth=2
	s_or_b32 exec_lo, exec_lo, s24
	v_cmp_lt_u32_e64 s23, v58, v0
	s_delay_alu instid0(VALU_DEP_1)
	s_and_saveexec_b32 s25, s23
	s_cbranch_execz .LBB1022_1070
.LBB1022_1055:                          ;   in Loop: Header=BB1022_982 Depth=2
	ds_load_u16 v144, v83 offset:4096
	s_waitcnt lgkmcnt(0)
	v_and_b32_e32 v2, 0xffff, v144
	s_delay_alu instid0(VALU_DEP_1) | instskip(NEXT) | instid1(VALU_DEP_1)
	v_lshrrev_b32_e32 v2, s57, v2
	v_and_b32_e32 v2, s43, v2
	s_delay_alu instid0(VALU_DEP_1) | instskip(SKIP_3) | instid1(VALU_DEP_1)
	v_lshlrev_b32_e32 v2, 2, v2
	ds_load_b32 v2, v2
	s_waitcnt lgkmcnt(0)
	v_add_nc_u32_e32 v19, v2, v58
	v_lshlrev_b64 v[2:3], 1, v[19:20]
	v_xor_b32_e32 v19, 0xffff8000, v144
	s_delay_alu instid0(VALU_DEP_2) | instskip(NEXT) | instid1(VALU_DEP_1)
	v_add_co_u32 v2, s24, s40, v2
	v_add_co_ci_u32_e64 v3, s24, s41, v3, s24
	global_store_b16 v[2:3], v19, off
	s_or_b32 exec_lo, exec_lo, s25
	v_cmp_lt_u32_e64 s24, v59, v0
	s_delay_alu instid0(VALU_DEP_1)
	s_and_saveexec_b32 s27, s24
	s_cbranch_execnz .LBB1022_1071
.LBB1022_1056:                          ;   in Loop: Header=BB1022_982 Depth=2
	s_or_b32 exec_lo, exec_lo, s27
	v_cmp_lt_u32_e64 s25, v60, v0
	s_delay_alu instid0(VALU_DEP_1)
	s_and_saveexec_b32 s28, s25
	s_cbranch_execz .LBB1022_1072
.LBB1022_1057:                          ;   in Loop: Header=BB1022_982 Depth=2
	ds_load_u16 v144, v83 offset:5120
	s_waitcnt lgkmcnt(0)
	v_and_b32_e32 v2, 0xffff, v144
	s_delay_alu instid0(VALU_DEP_1) | instskip(NEXT) | instid1(VALU_DEP_1)
	v_lshrrev_b32_e32 v2, s57, v2
	v_and_b32_e32 v2, s43, v2
	s_delay_alu instid0(VALU_DEP_1) | instskip(SKIP_3) | instid1(VALU_DEP_1)
	v_lshlrev_b32_e32 v2, 2, v2
	ds_load_b32 v2, v2
	s_waitcnt lgkmcnt(0)
	v_add_nc_u32_e32 v19, v2, v60
	v_lshlrev_b64 v[2:3], 1, v[19:20]
	v_xor_b32_e32 v19, 0xffff8000, v144
	s_delay_alu instid0(VALU_DEP_2) | instskip(NEXT) | instid1(VALU_DEP_1)
	v_add_co_u32 v2, s27, s40, v2
	v_add_co_ci_u32_e64 v3, s27, s41, v3, s27
	global_store_b16 v[2:3], v19, off
	s_or_b32 exec_lo, exec_lo, s28
	v_cmp_lt_u32_e64 s27, v61, v0
	s_delay_alu instid0(VALU_DEP_1)
	s_and_saveexec_b32 s29, s27
	s_cbranch_execnz .LBB1022_1073
.LBB1022_1058:                          ;   in Loop: Header=BB1022_982 Depth=2
	s_or_b32 exec_lo, exec_lo, s29
	v_cmp_lt_u32_e64 s28, v62, v0
	s_delay_alu instid0(VALU_DEP_1)
	s_and_saveexec_b32 s30, s28
	s_cbranch_execz .LBB1022_1074
.LBB1022_1059:                          ;   in Loop: Header=BB1022_982 Depth=2
	ds_load_u16 v144, v83 offset:6144
	s_waitcnt lgkmcnt(0)
	v_and_b32_e32 v2, 0xffff, v144
	s_delay_alu instid0(VALU_DEP_1) | instskip(NEXT) | instid1(VALU_DEP_1)
	v_lshrrev_b32_e32 v2, s57, v2
	v_and_b32_e32 v2, s43, v2
	s_delay_alu instid0(VALU_DEP_1) | instskip(SKIP_3) | instid1(VALU_DEP_1)
	v_lshlrev_b32_e32 v2, 2, v2
	ds_load_b32 v2, v2
	s_waitcnt lgkmcnt(0)
	v_add_nc_u32_e32 v19, v2, v62
	v_lshlrev_b64 v[2:3], 1, v[19:20]
	v_xor_b32_e32 v19, 0xffff8000, v144
	s_delay_alu instid0(VALU_DEP_2) | instskip(NEXT) | instid1(VALU_DEP_1)
	v_add_co_u32 v2, s29, s40, v2
	v_add_co_ci_u32_e64 v3, s29, s41, v3, s29
	global_store_b16 v[2:3], v19, off
	s_or_b32 exec_lo, exec_lo, s30
	v_cmp_lt_u32_e64 s29, v63, v0
	s_delay_alu instid0(VALU_DEP_1)
	s_and_saveexec_b32 s31, s29
	s_cbranch_execnz .LBB1022_1075
.LBB1022_1060:                          ;   in Loop: Header=BB1022_982 Depth=2
	s_or_b32 exec_lo, exec_lo, s31
	v_cmp_lt_u32_e64 s30, v64, v0
	s_delay_alu instid0(VALU_DEP_1)
	s_and_saveexec_b32 s33, s30
	s_cbranch_execz .LBB1022_1076
.LBB1022_1061:                          ;   in Loop: Header=BB1022_982 Depth=2
	ds_load_u16 v144, v83 offset:7168
	s_waitcnt lgkmcnt(0)
	v_and_b32_e32 v2, 0xffff, v144
	s_delay_alu instid0(VALU_DEP_1) | instskip(NEXT) | instid1(VALU_DEP_1)
	v_lshrrev_b32_e32 v2, s57, v2
	v_and_b32_e32 v2, s43, v2
	s_delay_alu instid0(VALU_DEP_1) | instskip(SKIP_3) | instid1(VALU_DEP_1)
	v_lshlrev_b32_e32 v2, 2, v2
	ds_load_b32 v2, v2
	s_waitcnt lgkmcnt(0)
	v_add_nc_u32_e32 v19, v2, v64
	v_lshlrev_b64 v[2:3], 1, v[19:20]
	v_xor_b32_e32 v19, 0xffff8000, v144
	s_delay_alu instid0(VALU_DEP_2) | instskip(NEXT) | instid1(VALU_DEP_1)
	v_add_co_u32 v2, s31, s40, v2
	v_add_co_ci_u32_e64 v3, s31, s41, v3, s31
	global_store_b16 v[2:3], v19, off
	s_or_b32 exec_lo, exec_lo, s33
	v_cmp_lt_u32_e64 s31, v66, v0
	s_delay_alu instid0(VALU_DEP_1)
	s_and_saveexec_b32 s45, s31
	s_cbranch_execnz .LBB1022_1077
	s_branch .LBB1022_1078
.LBB1022_1062:                          ;   in Loop: Header=BB1022_982 Depth=2
	s_or_b32 exec_lo, exec_lo, s17
	v_cmp_lt_u32_e64 s16, v48, v0
	s_delay_alu instid0(VALU_DEP_1)
	s_and_saveexec_b32 s18, s16
	s_cbranch_execz .LBB1022_1048
.LBB1022_1063:                          ;   in Loop: Header=BB1022_982 Depth=2
	ds_load_u16 v144, v83 offset:512
	s_waitcnt lgkmcnt(0)
	v_and_b32_e32 v2, 0xffff, v144
	s_delay_alu instid0(VALU_DEP_1) | instskip(NEXT) | instid1(VALU_DEP_1)
	v_lshrrev_b32_e32 v2, s57, v2
	v_and_b32_e32 v2, s43, v2
	s_delay_alu instid0(VALU_DEP_1) | instskip(SKIP_3) | instid1(VALU_DEP_1)
	v_lshlrev_b32_e32 v2, 2, v2
	ds_load_b32 v2, v2
	s_waitcnt lgkmcnt(0)
	v_add_nc_u32_e32 v19, v2, v48
	v_lshlrev_b64 v[2:3], 1, v[19:20]
	v_xor_b32_e32 v19, 0xffff8000, v144
	s_delay_alu instid0(VALU_DEP_2) | instskip(NEXT) | instid1(VALU_DEP_1)
	v_add_co_u32 v2, s17, s40, v2
	v_add_co_ci_u32_e64 v3, s17, s41, v3, s17
	global_store_b16 v[2:3], v19, off
	s_or_b32 exec_lo, exec_lo, s18
	v_cmp_lt_u32_e64 s17, v49, v0
	s_delay_alu instid0(VALU_DEP_1)
	s_and_saveexec_b32 s19, s17
	s_cbranch_execnz .LBB1022_1049
.LBB1022_1064:                          ;   in Loop: Header=BB1022_982 Depth=2
	s_or_b32 exec_lo, exec_lo, s19
	v_cmp_lt_u32_e64 s18, v50, v0
	s_delay_alu instid0(VALU_DEP_1)
	s_and_saveexec_b32 s20, s18
	s_cbranch_execz .LBB1022_1050
.LBB1022_1065:                          ;   in Loop: Header=BB1022_982 Depth=2
	ds_load_u16 v144, v83 offset:1536
	s_waitcnt lgkmcnt(0)
	v_and_b32_e32 v2, 0xffff, v144
	s_delay_alu instid0(VALU_DEP_1) | instskip(NEXT) | instid1(VALU_DEP_1)
	v_lshrrev_b32_e32 v2, s57, v2
	v_and_b32_e32 v2, s43, v2
	s_delay_alu instid0(VALU_DEP_1) | instskip(SKIP_3) | instid1(VALU_DEP_1)
	v_lshlrev_b32_e32 v2, 2, v2
	ds_load_b32 v2, v2
	s_waitcnt lgkmcnt(0)
	v_add_nc_u32_e32 v19, v2, v50
	v_lshlrev_b64 v[2:3], 1, v[19:20]
	v_xor_b32_e32 v19, 0xffff8000, v144
	s_delay_alu instid0(VALU_DEP_2) | instskip(NEXT) | instid1(VALU_DEP_1)
	v_add_co_u32 v2, s19, s40, v2
	v_add_co_ci_u32_e64 v3, s19, s41, v3, s19
	global_store_b16 v[2:3], v19, off
	s_or_b32 exec_lo, exec_lo, s20
	v_cmp_lt_u32_e64 s19, v54, v0
	s_delay_alu instid0(VALU_DEP_1)
	s_and_saveexec_b32 s21, s19
	s_cbranch_execnz .LBB1022_1051
.LBB1022_1066:                          ;   in Loop: Header=BB1022_982 Depth=2
	s_or_b32 exec_lo, exec_lo, s21
	v_cmp_lt_u32_e64 s20, v55, v0
	s_delay_alu instid0(VALU_DEP_1)
	s_and_saveexec_b32 s22, s20
	s_cbranch_execz .LBB1022_1052
.LBB1022_1067:                          ;   in Loop: Header=BB1022_982 Depth=2
	ds_load_u16 v144, v83 offset:2560
	s_waitcnt lgkmcnt(0)
	v_and_b32_e32 v2, 0xffff, v144
	s_delay_alu instid0(VALU_DEP_1) | instskip(NEXT) | instid1(VALU_DEP_1)
	v_lshrrev_b32_e32 v2, s57, v2
	v_and_b32_e32 v2, s43, v2
	s_delay_alu instid0(VALU_DEP_1) | instskip(SKIP_3) | instid1(VALU_DEP_1)
	v_lshlrev_b32_e32 v2, 2, v2
	ds_load_b32 v2, v2
	s_waitcnt lgkmcnt(0)
	v_add_nc_u32_e32 v19, v2, v55
	v_lshlrev_b64 v[2:3], 1, v[19:20]
	v_xor_b32_e32 v19, 0xffff8000, v144
	s_delay_alu instid0(VALU_DEP_2) | instskip(NEXT) | instid1(VALU_DEP_1)
	v_add_co_u32 v2, s21, s40, v2
	v_add_co_ci_u32_e64 v3, s21, s41, v3, s21
	global_store_b16 v[2:3], v19, off
	s_or_b32 exec_lo, exec_lo, s22
	v_cmp_lt_u32_e64 s21, v56, v0
	s_delay_alu instid0(VALU_DEP_1)
	s_and_saveexec_b32 s23, s21
	s_cbranch_execnz .LBB1022_1053
.LBB1022_1068:                          ;   in Loop: Header=BB1022_982 Depth=2
	s_or_b32 exec_lo, exec_lo, s23
	v_cmp_lt_u32_e64 s22, v57, v0
	s_delay_alu instid0(VALU_DEP_1)
	s_and_saveexec_b32 s24, s22
	s_cbranch_execz .LBB1022_1054
.LBB1022_1069:                          ;   in Loop: Header=BB1022_982 Depth=2
	ds_load_u16 v144, v83 offset:3584
	s_waitcnt lgkmcnt(0)
	v_and_b32_e32 v2, 0xffff, v144
	s_delay_alu instid0(VALU_DEP_1) | instskip(NEXT) | instid1(VALU_DEP_1)
	v_lshrrev_b32_e32 v2, s57, v2
	v_and_b32_e32 v2, s43, v2
	s_delay_alu instid0(VALU_DEP_1) | instskip(SKIP_3) | instid1(VALU_DEP_1)
	v_lshlrev_b32_e32 v2, 2, v2
	ds_load_b32 v2, v2
	s_waitcnt lgkmcnt(0)
	v_add_nc_u32_e32 v19, v2, v57
	v_lshlrev_b64 v[2:3], 1, v[19:20]
	v_xor_b32_e32 v19, 0xffff8000, v144
	s_delay_alu instid0(VALU_DEP_2) | instskip(NEXT) | instid1(VALU_DEP_1)
	v_add_co_u32 v2, s23, s40, v2
	v_add_co_ci_u32_e64 v3, s23, s41, v3, s23
	global_store_b16 v[2:3], v19, off
	s_or_b32 exec_lo, exec_lo, s24
	v_cmp_lt_u32_e64 s23, v58, v0
	s_delay_alu instid0(VALU_DEP_1)
	s_and_saveexec_b32 s25, s23
	s_cbranch_execnz .LBB1022_1055
.LBB1022_1070:                          ;   in Loop: Header=BB1022_982 Depth=2
	s_or_b32 exec_lo, exec_lo, s25
	v_cmp_lt_u32_e64 s24, v59, v0
	s_delay_alu instid0(VALU_DEP_1)
	s_and_saveexec_b32 s27, s24
	s_cbranch_execz .LBB1022_1056
.LBB1022_1071:                          ;   in Loop: Header=BB1022_982 Depth=2
	ds_load_u16 v144, v83 offset:4608
	s_waitcnt lgkmcnt(0)
	v_and_b32_e32 v2, 0xffff, v144
	s_delay_alu instid0(VALU_DEP_1) | instskip(NEXT) | instid1(VALU_DEP_1)
	v_lshrrev_b32_e32 v2, s57, v2
	v_and_b32_e32 v2, s43, v2
	s_delay_alu instid0(VALU_DEP_1) | instskip(SKIP_3) | instid1(VALU_DEP_1)
	v_lshlrev_b32_e32 v2, 2, v2
	ds_load_b32 v2, v2
	s_waitcnt lgkmcnt(0)
	v_add_nc_u32_e32 v19, v2, v59
	v_lshlrev_b64 v[2:3], 1, v[19:20]
	v_xor_b32_e32 v19, 0xffff8000, v144
	s_delay_alu instid0(VALU_DEP_2) | instskip(NEXT) | instid1(VALU_DEP_1)
	v_add_co_u32 v2, s25, s40, v2
	v_add_co_ci_u32_e64 v3, s25, s41, v3, s25
	global_store_b16 v[2:3], v19, off
	s_or_b32 exec_lo, exec_lo, s27
	v_cmp_lt_u32_e64 s25, v60, v0
	s_delay_alu instid0(VALU_DEP_1)
	s_and_saveexec_b32 s28, s25
	s_cbranch_execnz .LBB1022_1057
.LBB1022_1072:                          ;   in Loop: Header=BB1022_982 Depth=2
	s_or_b32 exec_lo, exec_lo, s28
	v_cmp_lt_u32_e64 s27, v61, v0
	s_delay_alu instid0(VALU_DEP_1)
	s_and_saveexec_b32 s29, s27
	s_cbranch_execz .LBB1022_1058
.LBB1022_1073:                          ;   in Loop: Header=BB1022_982 Depth=2
	ds_load_u16 v144, v83 offset:5632
	s_waitcnt lgkmcnt(0)
	v_and_b32_e32 v2, 0xffff, v144
	s_delay_alu instid0(VALU_DEP_1) | instskip(NEXT) | instid1(VALU_DEP_1)
	v_lshrrev_b32_e32 v2, s57, v2
	v_and_b32_e32 v2, s43, v2
	s_delay_alu instid0(VALU_DEP_1) | instskip(SKIP_3) | instid1(VALU_DEP_1)
	v_lshlrev_b32_e32 v2, 2, v2
	ds_load_b32 v2, v2
	s_waitcnt lgkmcnt(0)
	v_add_nc_u32_e32 v19, v2, v61
	v_lshlrev_b64 v[2:3], 1, v[19:20]
	v_xor_b32_e32 v19, 0xffff8000, v144
	s_delay_alu instid0(VALU_DEP_2) | instskip(NEXT) | instid1(VALU_DEP_1)
	v_add_co_u32 v2, s28, s40, v2
	v_add_co_ci_u32_e64 v3, s28, s41, v3, s28
	global_store_b16 v[2:3], v19, off
	s_or_b32 exec_lo, exec_lo, s29
	v_cmp_lt_u32_e64 s28, v62, v0
	s_delay_alu instid0(VALU_DEP_1)
	s_and_saveexec_b32 s30, s28
	s_cbranch_execnz .LBB1022_1059
.LBB1022_1074:                          ;   in Loop: Header=BB1022_982 Depth=2
	s_or_b32 exec_lo, exec_lo, s30
	v_cmp_lt_u32_e64 s29, v63, v0
	s_delay_alu instid0(VALU_DEP_1)
	s_and_saveexec_b32 s31, s29
	s_cbranch_execz .LBB1022_1060
.LBB1022_1075:                          ;   in Loop: Header=BB1022_982 Depth=2
	ds_load_u16 v144, v83 offset:6656
	s_waitcnt lgkmcnt(0)
	v_and_b32_e32 v2, 0xffff, v144
	s_delay_alu instid0(VALU_DEP_1) | instskip(NEXT) | instid1(VALU_DEP_1)
	v_lshrrev_b32_e32 v2, s57, v2
	v_and_b32_e32 v2, s43, v2
	s_delay_alu instid0(VALU_DEP_1) | instskip(SKIP_3) | instid1(VALU_DEP_1)
	v_lshlrev_b32_e32 v2, 2, v2
	ds_load_b32 v2, v2
	s_waitcnt lgkmcnt(0)
	v_add_nc_u32_e32 v19, v2, v63
	v_lshlrev_b64 v[2:3], 1, v[19:20]
	v_xor_b32_e32 v19, 0xffff8000, v144
	s_delay_alu instid0(VALU_DEP_2) | instskip(NEXT) | instid1(VALU_DEP_1)
	v_add_co_u32 v2, s30, s40, v2
	v_add_co_ci_u32_e64 v3, s30, s41, v3, s30
	global_store_b16 v[2:3], v19, off
	s_or_b32 exec_lo, exec_lo, s31
	v_cmp_lt_u32_e64 s30, v64, v0
	s_delay_alu instid0(VALU_DEP_1)
	s_and_saveexec_b32 s33, s30
	s_cbranch_execnz .LBB1022_1061
.LBB1022_1076:                          ;   in Loop: Header=BB1022_982 Depth=2
	s_or_b32 exec_lo, exec_lo, s33
	v_cmp_lt_u32_e64 s31, v66, v0
	s_delay_alu instid0(VALU_DEP_1)
	s_and_saveexec_b32 s45, s31
	s_cbranch_execz .LBB1022_1078
.LBB1022_1077:                          ;   in Loop: Header=BB1022_982 Depth=2
	ds_load_u16 v144, v83 offset:7680
	s_waitcnt lgkmcnt(0)
	v_and_b32_e32 v2, 0xffff, v144
	s_delay_alu instid0(VALU_DEP_1) | instskip(NEXT) | instid1(VALU_DEP_1)
	v_lshrrev_b32_e32 v2, s57, v2
	v_and_b32_e32 v2, s43, v2
	s_delay_alu instid0(VALU_DEP_1) | instskip(SKIP_3) | instid1(VALU_DEP_1)
	v_lshlrev_b32_e32 v2, 2, v2
	ds_load_b32 v2, v2
	s_waitcnt lgkmcnt(0)
	v_add_nc_u32_e32 v19, v2, v66
	v_lshlrev_b64 v[2:3], 1, v[19:20]
	v_xor_b32_e32 v19, 0xffff8000, v144
	s_delay_alu instid0(VALU_DEP_2) | instskip(NEXT) | instid1(VALU_DEP_1)
	v_add_co_u32 v2, s33, s40, v2
	v_add_co_ci_u32_e64 v3, s33, s41, v3, s33
	global_store_b16 v[2:3], v19, off
.LBB1022_1078:                          ;   in Loop: Header=BB1022_982 Depth=2
	s_or_b32 exec_lo, exec_lo, s45
	s_lshl_b64 s[46:47], s[34:35], 3
	s_delay_alu instid0(SALU_CYCLE_1) | instskip(NEXT) | instid1(VALU_DEP_1)
	v_add_co_u32 v2, s33, v103, s46
	v_add_co_ci_u32_e64 v3, s33, s47, v104, s33
	v_cmp_lt_u32_e64 s33, v102, v0
	s_delay_alu instid0(VALU_DEP_1) | instskip(NEXT) | instid1(SALU_CYCLE_1)
	s_and_saveexec_b32 s34, s33
	s_xor_b32 s33, exec_lo, s34
	s_cbranch_execz .LBB1022_1110
; %bb.1079:                             ;   in Loop: Header=BB1022_982 Depth=2
	global_load_b64 v[43:44], v[2:3], off
	s_or_b32 exec_lo, exec_lo, s33
	s_delay_alu instid0(SALU_CYCLE_1)
	s_mov_b32 s34, exec_lo
	v_cmpx_lt_u32_e64 v105, v0
	s_cbranch_execnz .LBB1022_1111
.LBB1022_1080:                          ;   in Loop: Header=BB1022_982 Depth=2
	s_or_b32 exec_lo, exec_lo, s34
	s_delay_alu instid0(SALU_CYCLE_1)
	s_mov_b32 s34, exec_lo
	v_cmpx_lt_u32_e64 v106, v0
	s_cbranch_execz .LBB1022_1112
.LBB1022_1081:                          ;   in Loop: Header=BB1022_982 Depth=2
	global_load_b64 v[39:40], v[2:3], off offset:512
	s_or_b32 exec_lo, exec_lo, s34
	s_delay_alu instid0(SALU_CYCLE_1)
	s_mov_b32 s34, exec_lo
	v_cmpx_lt_u32_e64 v107, v0
	s_cbranch_execnz .LBB1022_1113
.LBB1022_1082:                          ;   in Loop: Header=BB1022_982 Depth=2
	s_or_b32 exec_lo, exec_lo, s34
	s_delay_alu instid0(SALU_CYCLE_1)
	s_mov_b32 s34, exec_lo
	v_cmpx_lt_u32_e64 v108, v0
	s_cbranch_execz .LBB1022_1114
.LBB1022_1083:                          ;   in Loop: Header=BB1022_982 Depth=2
	global_load_b64 v[35:36], v[2:3], off offset:1024
	s_or_b32 exec_lo, exec_lo, s34
	s_delay_alu instid0(SALU_CYCLE_1)
	s_mov_b32 s34, exec_lo
	v_cmpx_lt_u32_e64 v109, v0
	s_cbranch_execnz .LBB1022_1115
.LBB1022_1084:                          ;   in Loop: Header=BB1022_982 Depth=2
	s_or_b32 exec_lo, exec_lo, s34
	s_delay_alu instid0(SALU_CYCLE_1)
	s_mov_b32 s34, exec_lo
	v_cmpx_lt_u32_e64 v110, v0
	s_cbranch_execz .LBB1022_1116
.LBB1022_1085:                          ;   in Loop: Header=BB1022_982 Depth=2
	global_load_b64 v[31:32], v[2:3], off offset:1536
	s_or_b32 exec_lo, exec_lo, s34
	s_delay_alu instid0(SALU_CYCLE_1)
	s_mov_b32 s34, exec_lo
	v_cmpx_lt_u32_e64 v111, v0
	s_cbranch_execnz .LBB1022_1117
.LBB1022_1086:                          ;   in Loop: Header=BB1022_982 Depth=2
	s_or_b32 exec_lo, exec_lo, s34
	s_delay_alu instid0(SALU_CYCLE_1)
	s_mov_b32 s34, exec_lo
	v_cmpx_lt_u32_e64 v112, v0
	s_cbranch_execz .LBB1022_1118
.LBB1022_1087:                          ;   in Loop: Header=BB1022_982 Depth=2
	global_load_b64 v[27:28], v[2:3], off offset:2048
	s_or_b32 exec_lo, exec_lo, s34
	s_delay_alu instid0(SALU_CYCLE_1)
	s_mov_b32 s34, exec_lo
	v_cmpx_lt_u32_e64 v113, v0
	s_cbranch_execnz .LBB1022_1119
.LBB1022_1088:                          ;   in Loop: Header=BB1022_982 Depth=2
	s_or_b32 exec_lo, exec_lo, s34
	s_delay_alu instid0(SALU_CYCLE_1)
	s_mov_b32 s34, exec_lo
	v_cmpx_lt_u32_e64 v114, v0
	s_cbranch_execz .LBB1022_1120
.LBB1022_1089:                          ;   in Loop: Header=BB1022_982 Depth=2
	global_load_b64 v[23:24], v[2:3], off offset:2560
	s_or_b32 exec_lo, exec_lo, s34
	s_delay_alu instid0(SALU_CYCLE_1)
	s_mov_b32 s34, exec_lo
	v_cmpx_lt_u32_e64 v115, v0
	s_cbranch_execnz .LBB1022_1121
.LBB1022_1090:                          ;   in Loop: Header=BB1022_982 Depth=2
	s_or_b32 exec_lo, exec_lo, s34
	s_delay_alu instid0(SALU_CYCLE_1)
	s_mov_b32 s34, exec_lo
	v_cmpx_lt_u32_e64 v116, v0
	s_cbranch_execz .LBB1022_1122
.LBB1022_1091:                          ;   in Loop: Header=BB1022_982 Depth=2
	global_load_b64 v[16:17], v[2:3], off offset:3072
	s_or_b32 exec_lo, exec_lo, s34
	s_delay_alu instid0(SALU_CYCLE_1)
	s_mov_b32 s34, exec_lo
	v_cmpx_lt_u32_e64 v117, v0
	s_cbranch_execnz .LBB1022_1123
.LBB1022_1092:                          ;   in Loop: Header=BB1022_982 Depth=2
	s_or_b32 exec_lo, exec_lo, s34
	s_delay_alu instid0(SALU_CYCLE_1)
	s_mov_b32 s34, exec_lo
	v_cmpx_lt_u32_e64 v118, v0
	s_cbranch_execz .LBB1022_1124
.LBB1022_1093:                          ;   in Loop: Header=BB1022_982 Depth=2
	global_load_b64 v[12:13], v[2:3], off offset:3584
	s_or_b32 exec_lo, exec_lo, s34
	s_delay_alu instid0(SALU_CYCLE_1)
	s_mov_b32 s34, exec_lo
	v_cmpx_lt_u32_e64 v119, v0
	s_cbranch_execnz .LBB1022_1125
.LBB1022_1094:                          ;   in Loop: Header=BB1022_982 Depth=2
	s_or_b32 exec_lo, exec_lo, s34
	s_and_saveexec_b32 s33, vcc_lo
	s_cbranch_execz .LBB1022_1126
.LBB1022_1095:                          ;   in Loop: Header=BB1022_982 Depth=2
	ds_load_u16 v0, v142 offset:1024
	s_waitcnt lgkmcnt(0)
	v_lshrrev_b32_e32 v0, s57, v0
	s_delay_alu instid0(VALU_DEP_1)
	v_and_b32_e32 v140, s43, v0
	s_or_b32 exec_lo, exec_lo, s33
	s_and_saveexec_b32 s33, s16
	s_cbranch_execnz .LBB1022_1127
.LBB1022_1096:                          ;   in Loop: Header=BB1022_982 Depth=2
	s_or_b32 exec_lo, exec_lo, s33
	s_and_saveexec_b32 s33, s17
	s_cbranch_execz .LBB1022_1128
.LBB1022_1097:                          ;   in Loop: Header=BB1022_982 Depth=2
	ds_load_u16 v0, v83 offset:1024
	s_waitcnt lgkmcnt(0)
	v_lshrrev_b32_e32 v0, s57, v0
	s_delay_alu instid0(VALU_DEP_1)
	v_and_b32_e32 v138, s43, v0
	s_or_b32 exec_lo, exec_lo, s33
	s_and_saveexec_b32 s33, s18
	s_cbranch_execnz .LBB1022_1129
.LBB1022_1098:                          ;   in Loop: Header=BB1022_982 Depth=2
	s_or_b32 exec_lo, exec_lo, s33
	s_and_saveexec_b32 s33, s19
	s_cbranch_execz .LBB1022_1130
.LBB1022_1099:                          ;   in Loop: Header=BB1022_982 Depth=2
	ds_load_u16 v0, v83 offset:2048
	s_waitcnt lgkmcnt(0)
	v_lshrrev_b32_e32 v0, s57, v0
	s_delay_alu instid0(VALU_DEP_1)
	v_and_b32_e32 v136, s43, v0
	s_or_b32 exec_lo, exec_lo, s33
	s_and_saveexec_b32 s33, s20
	s_cbranch_execnz .LBB1022_1131
.LBB1022_1100:                          ;   in Loop: Header=BB1022_982 Depth=2
	s_or_b32 exec_lo, exec_lo, s33
	s_and_saveexec_b32 s33, s21
	s_cbranch_execz .LBB1022_1132
.LBB1022_1101:                          ;   in Loop: Header=BB1022_982 Depth=2
	ds_load_u16 v0, v83 offset:3072
	s_waitcnt lgkmcnt(0)
	v_lshrrev_b32_e32 v0, s57, v0
	s_delay_alu instid0(VALU_DEP_1)
	v_and_b32_e32 v134, s43, v0
	s_or_b32 exec_lo, exec_lo, s33
	s_and_saveexec_b32 s33, s22
	s_cbranch_execnz .LBB1022_1133
.LBB1022_1102:                          ;   in Loop: Header=BB1022_982 Depth=2
	s_or_b32 exec_lo, exec_lo, s33
	s_and_saveexec_b32 s33, s23
	s_cbranch_execz .LBB1022_1134
.LBB1022_1103:                          ;   in Loop: Header=BB1022_982 Depth=2
	ds_load_u16 v0, v83 offset:4096
	s_waitcnt lgkmcnt(0)
	v_lshrrev_b32_e32 v0, s57, v0
	s_delay_alu instid0(VALU_DEP_1)
	v_and_b32_e32 v132, s43, v0
	s_or_b32 exec_lo, exec_lo, s33
	s_and_saveexec_b32 s33, s24
	s_cbranch_execnz .LBB1022_1135
.LBB1022_1104:                          ;   in Loop: Header=BB1022_982 Depth=2
	s_or_b32 exec_lo, exec_lo, s33
	s_and_saveexec_b32 s33, s25
	s_cbranch_execz .LBB1022_1136
.LBB1022_1105:                          ;   in Loop: Header=BB1022_982 Depth=2
	ds_load_u16 v0, v83 offset:5120
	s_waitcnt lgkmcnt(0)
	v_lshrrev_b32_e32 v0, s57, v0
	s_delay_alu instid0(VALU_DEP_1)
	v_and_b32_e32 v130, s43, v0
	s_or_b32 exec_lo, exec_lo, s33
	s_and_saveexec_b32 s33, s27
	s_cbranch_execnz .LBB1022_1137
.LBB1022_1106:                          ;   in Loop: Header=BB1022_982 Depth=2
	s_or_b32 exec_lo, exec_lo, s33
	s_and_saveexec_b32 s33, s28
	s_cbranch_execz .LBB1022_1138
.LBB1022_1107:                          ;   in Loop: Header=BB1022_982 Depth=2
	ds_load_u16 v0, v83 offset:6144
	s_waitcnt lgkmcnt(0)
	v_lshrrev_b32_e32 v0, s57, v0
	s_delay_alu instid0(VALU_DEP_1)
	v_and_b32_e32 v128, s43, v0
	s_or_b32 exec_lo, exec_lo, s33
	s_and_saveexec_b32 s33, s29
	s_cbranch_execnz .LBB1022_1139
.LBB1022_1108:                          ;   in Loop: Header=BB1022_982 Depth=2
	s_or_b32 exec_lo, exec_lo, s33
	s_and_saveexec_b32 s33, s30
	s_cbranch_execz .LBB1022_1140
.LBB1022_1109:                          ;   in Loop: Header=BB1022_982 Depth=2
	ds_load_u16 v0, v83 offset:7168
	s_waitcnt lgkmcnt(0)
	v_lshrrev_b32_e32 v0, s57, v0
	s_delay_alu instid0(VALU_DEP_1)
	v_and_b32_e32 v126, s43, v0
	s_or_b32 exec_lo, exec_lo, s33
	s_and_saveexec_b32 s33, s31
	s_cbranch_execnz .LBB1022_1141
	s_branch .LBB1022_1142
.LBB1022_1110:                          ;   in Loop: Header=BB1022_982 Depth=2
	s_or_b32 exec_lo, exec_lo, s33
	s_delay_alu instid0(SALU_CYCLE_1)
	s_mov_b32 s34, exec_lo
	v_cmpx_lt_u32_e64 v105, v0
	s_cbranch_execz .LBB1022_1080
.LBB1022_1111:                          ;   in Loop: Header=BB1022_982 Depth=2
	global_load_b64 v[41:42], v[2:3], off offset:256
	s_or_b32 exec_lo, exec_lo, s34
	s_delay_alu instid0(SALU_CYCLE_1)
	s_mov_b32 s34, exec_lo
	v_cmpx_lt_u32_e64 v106, v0
	s_cbranch_execnz .LBB1022_1081
.LBB1022_1112:                          ;   in Loop: Header=BB1022_982 Depth=2
	s_or_b32 exec_lo, exec_lo, s34
	s_delay_alu instid0(SALU_CYCLE_1)
	s_mov_b32 s34, exec_lo
	v_cmpx_lt_u32_e64 v107, v0
	s_cbranch_execz .LBB1022_1082
.LBB1022_1113:                          ;   in Loop: Header=BB1022_982 Depth=2
	global_load_b64 v[37:38], v[2:3], off offset:768
	s_or_b32 exec_lo, exec_lo, s34
	s_delay_alu instid0(SALU_CYCLE_1)
	s_mov_b32 s34, exec_lo
	v_cmpx_lt_u32_e64 v108, v0
	s_cbranch_execnz .LBB1022_1083
.LBB1022_1114:                          ;   in Loop: Header=BB1022_982 Depth=2
	s_or_b32 exec_lo, exec_lo, s34
	s_delay_alu instid0(SALU_CYCLE_1)
	s_mov_b32 s34, exec_lo
	v_cmpx_lt_u32_e64 v109, v0
	s_cbranch_execz .LBB1022_1084
.LBB1022_1115:                          ;   in Loop: Header=BB1022_982 Depth=2
	global_load_b64 v[33:34], v[2:3], off offset:1280
	s_or_b32 exec_lo, exec_lo, s34
	s_delay_alu instid0(SALU_CYCLE_1)
	s_mov_b32 s34, exec_lo
	v_cmpx_lt_u32_e64 v110, v0
	s_cbranch_execnz .LBB1022_1085
.LBB1022_1116:                          ;   in Loop: Header=BB1022_982 Depth=2
	s_or_b32 exec_lo, exec_lo, s34
	s_delay_alu instid0(SALU_CYCLE_1)
	s_mov_b32 s34, exec_lo
	v_cmpx_lt_u32_e64 v111, v0
	s_cbranch_execz .LBB1022_1086
.LBB1022_1117:                          ;   in Loop: Header=BB1022_982 Depth=2
	global_load_b64 v[29:30], v[2:3], off offset:1792
	s_or_b32 exec_lo, exec_lo, s34
	s_delay_alu instid0(SALU_CYCLE_1)
	s_mov_b32 s34, exec_lo
	v_cmpx_lt_u32_e64 v112, v0
	s_cbranch_execnz .LBB1022_1087
.LBB1022_1118:                          ;   in Loop: Header=BB1022_982 Depth=2
	s_or_b32 exec_lo, exec_lo, s34
	s_delay_alu instid0(SALU_CYCLE_1)
	s_mov_b32 s34, exec_lo
	v_cmpx_lt_u32_e64 v113, v0
	s_cbranch_execz .LBB1022_1088
.LBB1022_1119:                          ;   in Loop: Header=BB1022_982 Depth=2
	global_load_b64 v[25:26], v[2:3], off offset:2304
	s_or_b32 exec_lo, exec_lo, s34
	s_delay_alu instid0(SALU_CYCLE_1)
	s_mov_b32 s34, exec_lo
	v_cmpx_lt_u32_e64 v114, v0
	s_cbranch_execnz .LBB1022_1089
.LBB1022_1120:                          ;   in Loop: Header=BB1022_982 Depth=2
	s_or_b32 exec_lo, exec_lo, s34
	s_delay_alu instid0(SALU_CYCLE_1)
	s_mov_b32 s34, exec_lo
	v_cmpx_lt_u32_e64 v115, v0
	s_cbranch_execz .LBB1022_1090
.LBB1022_1121:                          ;   in Loop: Header=BB1022_982 Depth=2
	global_load_b64 v[21:22], v[2:3], off offset:2816
	s_or_b32 exec_lo, exec_lo, s34
	s_delay_alu instid0(SALU_CYCLE_1)
	s_mov_b32 s34, exec_lo
	v_cmpx_lt_u32_e64 v116, v0
	s_cbranch_execnz .LBB1022_1091
.LBB1022_1122:                          ;   in Loop: Header=BB1022_982 Depth=2
	s_or_b32 exec_lo, exec_lo, s34
	s_delay_alu instid0(SALU_CYCLE_1)
	s_mov_b32 s34, exec_lo
	v_cmpx_lt_u32_e64 v117, v0
	s_cbranch_execz .LBB1022_1092
.LBB1022_1123:                          ;   in Loop: Header=BB1022_982 Depth=2
	global_load_b64 v[14:15], v[2:3], off offset:3328
	s_or_b32 exec_lo, exec_lo, s34
	s_delay_alu instid0(SALU_CYCLE_1)
	s_mov_b32 s34, exec_lo
	v_cmpx_lt_u32_e64 v118, v0
	s_cbranch_execnz .LBB1022_1093
.LBB1022_1124:                          ;   in Loop: Header=BB1022_982 Depth=2
	s_or_b32 exec_lo, exec_lo, s34
	s_delay_alu instid0(SALU_CYCLE_1)
	s_mov_b32 s34, exec_lo
	v_cmpx_lt_u32_e64 v119, v0
	s_cbranch_execz .LBB1022_1094
.LBB1022_1125:                          ;   in Loop: Header=BB1022_982 Depth=2
	global_load_b64 v[10:11], v[2:3], off offset:3840
	s_or_b32 exec_lo, exec_lo, s34
	s_and_saveexec_b32 s33, vcc_lo
	s_cbranch_execnz .LBB1022_1095
.LBB1022_1126:                          ;   in Loop: Header=BB1022_982 Depth=2
	s_or_b32 exec_lo, exec_lo, s33
	s_and_saveexec_b32 s33, s16
	s_cbranch_execz .LBB1022_1096
.LBB1022_1127:                          ;   in Loop: Header=BB1022_982 Depth=2
	ds_load_u16 v0, v83 offset:512
	s_waitcnt lgkmcnt(0)
	v_lshrrev_b32_e32 v0, s57, v0
	s_delay_alu instid0(VALU_DEP_1)
	v_and_b32_e32 v139, s43, v0
	s_or_b32 exec_lo, exec_lo, s33
	s_and_saveexec_b32 s33, s17
	s_cbranch_execnz .LBB1022_1097
.LBB1022_1128:                          ;   in Loop: Header=BB1022_982 Depth=2
	s_or_b32 exec_lo, exec_lo, s33
	s_and_saveexec_b32 s33, s18
	s_cbranch_execz .LBB1022_1098
.LBB1022_1129:                          ;   in Loop: Header=BB1022_982 Depth=2
	ds_load_u16 v0, v83 offset:1536
	s_waitcnt lgkmcnt(0)
	v_lshrrev_b32_e32 v0, s57, v0
	s_delay_alu instid0(VALU_DEP_1)
	v_and_b32_e32 v137, s43, v0
	s_or_b32 exec_lo, exec_lo, s33
	s_and_saveexec_b32 s33, s19
	s_cbranch_execnz .LBB1022_1099
.LBB1022_1130:                          ;   in Loop: Header=BB1022_982 Depth=2
	s_or_b32 exec_lo, exec_lo, s33
	s_and_saveexec_b32 s33, s20
	s_cbranch_execz .LBB1022_1100
.LBB1022_1131:                          ;   in Loop: Header=BB1022_982 Depth=2
	ds_load_u16 v0, v83 offset:2560
	s_waitcnt lgkmcnt(0)
	v_lshrrev_b32_e32 v0, s57, v0
	s_delay_alu instid0(VALU_DEP_1)
	v_and_b32_e32 v135, s43, v0
	s_or_b32 exec_lo, exec_lo, s33
	s_and_saveexec_b32 s33, s21
	s_cbranch_execnz .LBB1022_1101
.LBB1022_1132:                          ;   in Loop: Header=BB1022_982 Depth=2
	s_or_b32 exec_lo, exec_lo, s33
	s_and_saveexec_b32 s33, s22
	s_cbranch_execz .LBB1022_1102
.LBB1022_1133:                          ;   in Loop: Header=BB1022_982 Depth=2
	ds_load_u16 v0, v83 offset:3584
	s_waitcnt lgkmcnt(0)
	v_lshrrev_b32_e32 v0, s57, v0
	s_delay_alu instid0(VALU_DEP_1)
	v_and_b32_e32 v133, s43, v0
	s_or_b32 exec_lo, exec_lo, s33
	s_and_saveexec_b32 s33, s23
	s_cbranch_execnz .LBB1022_1103
.LBB1022_1134:                          ;   in Loop: Header=BB1022_982 Depth=2
	s_or_b32 exec_lo, exec_lo, s33
	s_and_saveexec_b32 s33, s24
	s_cbranch_execz .LBB1022_1104
.LBB1022_1135:                          ;   in Loop: Header=BB1022_982 Depth=2
	ds_load_u16 v0, v83 offset:4608
	s_waitcnt lgkmcnt(0)
	v_lshrrev_b32_e32 v0, s57, v0
	s_delay_alu instid0(VALU_DEP_1)
	v_and_b32_e32 v131, s43, v0
	s_or_b32 exec_lo, exec_lo, s33
	s_and_saveexec_b32 s33, s25
	s_cbranch_execnz .LBB1022_1105
.LBB1022_1136:                          ;   in Loop: Header=BB1022_982 Depth=2
	s_or_b32 exec_lo, exec_lo, s33
	s_and_saveexec_b32 s33, s27
	s_cbranch_execz .LBB1022_1106
.LBB1022_1137:                          ;   in Loop: Header=BB1022_982 Depth=2
	ds_load_u16 v0, v83 offset:5632
	s_waitcnt lgkmcnt(0)
	v_lshrrev_b32_e32 v0, s57, v0
	s_delay_alu instid0(VALU_DEP_1)
	v_and_b32_e32 v129, s43, v0
	s_or_b32 exec_lo, exec_lo, s33
	s_and_saveexec_b32 s33, s28
	s_cbranch_execnz .LBB1022_1107
.LBB1022_1138:                          ;   in Loop: Header=BB1022_982 Depth=2
	s_or_b32 exec_lo, exec_lo, s33
	s_and_saveexec_b32 s33, s29
	s_cbranch_execz .LBB1022_1108
.LBB1022_1139:                          ;   in Loop: Header=BB1022_982 Depth=2
	ds_load_u16 v0, v83 offset:6656
	s_waitcnt lgkmcnt(0)
	v_lshrrev_b32_e32 v0, s57, v0
	s_delay_alu instid0(VALU_DEP_1)
	v_and_b32_e32 v127, s43, v0
	s_or_b32 exec_lo, exec_lo, s33
	s_and_saveexec_b32 s33, s30
	s_cbranch_execnz .LBB1022_1109
.LBB1022_1140:                          ;   in Loop: Header=BB1022_982 Depth=2
	s_or_b32 exec_lo, exec_lo, s33
	s_and_saveexec_b32 s33, s31
	s_cbranch_execz .LBB1022_1142
.LBB1022_1141:                          ;   in Loop: Header=BB1022_982 Depth=2
	ds_load_u16 v0, v83 offset:7680
	s_waitcnt lgkmcnt(0)
	v_lshrrev_b32_e32 v0, s57, v0
	s_delay_alu instid0(VALU_DEP_1)
	v_and_b32_e32 v125, s43, v0
.LBB1022_1142:                          ;   in Loop: Header=BB1022_982 Depth=2
	s_or_b32 exec_lo, exec_lo, s33
	v_lshlrev_b32_e32 v0, 3, v159
	v_lshlrev_b32_e32 v2, 3, v155
	s_waitcnt vmcnt(0)
	s_waitcnt_vscnt null, 0x0
	s_barrier
	buffer_gl0_inv
	ds_store_b64 v0, v[43:44] offset:1024
	v_lshlrev_b32_e32 v0, 3, v151
	v_lshlrev_b32_e32 v3, 3, v150
	;; [unrolled: 1-line block ×4, first 2 shown]
	ds_store_b64 v2, v[41:42] offset:1024
	ds_store_b64 v0, v[39:40] offset:1024
	;; [unrolled: 1-line block ×5, first 2 shown]
	v_lshlrev_b32_e32 v0, 3, v146
	v_lshlrev_b32_e32 v2, 3, v145
	v_lshlrev_b32_e32 v3, 3, v143
	v_lshlrev_b32_e32 v19, 3, v141
	v_lshlrev_b32_e32 v46, 3, v46
	ds_store_b64 v0, v[31:32] offset:1024
	ds_store_b64 v2, v[29:30] offset:1024
	;; [unrolled: 1-line block ×5, first 2 shown]
	v_lshlrev_b32_e32 v0, 3, v8
	v_lshlrev_b32_e32 v2, 3, v6
	;; [unrolled: 1-line block ×5, first 2 shown]
	ds_store_b64 v0, v[21:22] offset:1024
	ds_store_b64 v2, v[16:17] offset:1024
	;; [unrolled: 1-line block ×5, first 2 shown]
	s_waitcnt lgkmcnt(0)
	s_barrier
	buffer_gl0_inv
	s_and_saveexec_b32 s33, vcc_lo
	s_cbranch_execz .LBB1022_1158
; %bb.1143:                             ;   in Loop: Header=BB1022_982 Depth=2
	v_lshlrev_b32_e32 v0, 2, v140
	ds_load_b32 v0, v0
	ds_load_b64 v[2:3], v84 offset:1024
	s_waitcnt lgkmcnt(1)
	v_add_nc_u32_e32 v19, v0, v18
	s_delay_alu instid0(VALU_DEP_1) | instskip(NEXT) | instid1(VALU_DEP_1)
	v_lshlrev_b64 v[5:6], 3, v[19:20]
	v_add_co_u32 v5, vcc_lo, s54, v5
	s_delay_alu instid0(VALU_DEP_2)
	v_add_co_ci_u32_e32 v6, vcc_lo, s55, v6, vcc_lo
	s_waitcnt lgkmcnt(0)
	global_store_b64 v[5:6], v[2:3], off
	s_or_b32 exec_lo, exec_lo, s33
	v_add_nc_u32_e32 v0, v83, v85
	s_and_saveexec_b32 s33, s16
	s_cbranch_execnz .LBB1022_1159
.LBB1022_1144:                          ;   in Loop: Header=BB1022_982 Depth=2
	s_or_b32 exec_lo, exec_lo, s33
	s_and_saveexec_b32 s16, s17
	s_cbranch_execz .LBB1022_1160
.LBB1022_1145:                          ;   in Loop: Header=BB1022_982 Depth=2
	v_lshlrev_b32_e32 v2, 2, v138
	ds_load_b32 v5, v2
	ds_load_b64 v[2:3], v0 offset:4096
	s_waitcnt lgkmcnt(1)
	v_add_nc_u32_e32 v19, v5, v49
	s_delay_alu instid0(VALU_DEP_1) | instskip(NEXT) | instid1(VALU_DEP_1)
	v_lshlrev_b64 v[5:6], 3, v[19:20]
	v_add_co_u32 v5, vcc_lo, s54, v5
	s_delay_alu instid0(VALU_DEP_2)
	v_add_co_ci_u32_e32 v6, vcc_lo, s55, v6, vcc_lo
	s_waitcnt lgkmcnt(0)
	global_store_b64 v[5:6], v[2:3], off
	s_or_b32 exec_lo, exec_lo, s16
	s_and_saveexec_b32 s16, s18
	s_cbranch_execnz .LBB1022_1161
.LBB1022_1146:                          ;   in Loop: Header=BB1022_982 Depth=2
	s_or_b32 exec_lo, exec_lo, s16
	s_and_saveexec_b32 s16, s19
	s_cbranch_execz .LBB1022_1162
.LBB1022_1147:                          ;   in Loop: Header=BB1022_982 Depth=2
	v_lshlrev_b32_e32 v2, 2, v136
	ds_load_b32 v5, v2
	ds_load_b64 v[2:3], v0 offset:8192
	s_waitcnt lgkmcnt(1)
	v_add_nc_u32_e32 v19, v5, v54
	s_delay_alu instid0(VALU_DEP_1) | instskip(NEXT) | instid1(VALU_DEP_1)
	v_lshlrev_b64 v[5:6], 3, v[19:20]
	v_add_co_u32 v5, vcc_lo, s54, v5
	s_delay_alu instid0(VALU_DEP_2)
	v_add_co_ci_u32_e32 v6, vcc_lo, s55, v6, vcc_lo
	s_waitcnt lgkmcnt(0)
	global_store_b64 v[5:6], v[2:3], off
	s_or_b32 exec_lo, exec_lo, s16
	s_and_saveexec_b32 s16, s20
	s_cbranch_execnz .LBB1022_1163
.LBB1022_1148:                          ;   in Loop: Header=BB1022_982 Depth=2
	s_or_b32 exec_lo, exec_lo, s16
	s_and_saveexec_b32 s16, s21
	s_cbranch_execz .LBB1022_1164
.LBB1022_1149:                          ;   in Loop: Header=BB1022_982 Depth=2
	v_lshlrev_b32_e32 v2, 2, v134
	ds_load_b32 v5, v2
	ds_load_b64 v[2:3], v0 offset:12288
	s_waitcnt lgkmcnt(1)
	v_add_nc_u32_e32 v19, v5, v56
	s_delay_alu instid0(VALU_DEP_1) | instskip(NEXT) | instid1(VALU_DEP_1)
	v_lshlrev_b64 v[5:6], 3, v[19:20]
	v_add_co_u32 v5, vcc_lo, s54, v5
	s_delay_alu instid0(VALU_DEP_2)
	v_add_co_ci_u32_e32 v6, vcc_lo, s55, v6, vcc_lo
	s_waitcnt lgkmcnt(0)
	global_store_b64 v[5:6], v[2:3], off
	s_or_b32 exec_lo, exec_lo, s16
	s_and_saveexec_b32 s16, s22
	s_cbranch_execnz .LBB1022_1165
.LBB1022_1150:                          ;   in Loop: Header=BB1022_982 Depth=2
	s_or_b32 exec_lo, exec_lo, s16
	s_and_saveexec_b32 s16, s23
	s_cbranch_execz .LBB1022_1166
.LBB1022_1151:                          ;   in Loop: Header=BB1022_982 Depth=2
	v_lshlrev_b32_e32 v2, 2, v132
	ds_load_b32 v5, v2
	ds_load_b64 v[2:3], v0 offset:16384
	s_waitcnt lgkmcnt(1)
	v_add_nc_u32_e32 v19, v5, v58
	s_delay_alu instid0(VALU_DEP_1) | instskip(NEXT) | instid1(VALU_DEP_1)
	v_lshlrev_b64 v[5:6], 3, v[19:20]
	v_add_co_u32 v5, vcc_lo, s54, v5
	s_delay_alu instid0(VALU_DEP_2)
	v_add_co_ci_u32_e32 v6, vcc_lo, s55, v6, vcc_lo
	s_waitcnt lgkmcnt(0)
	global_store_b64 v[5:6], v[2:3], off
	s_or_b32 exec_lo, exec_lo, s16
	s_and_saveexec_b32 s16, s24
	s_cbranch_execnz .LBB1022_1167
.LBB1022_1152:                          ;   in Loop: Header=BB1022_982 Depth=2
	s_or_b32 exec_lo, exec_lo, s16
	s_and_saveexec_b32 s16, s25
	s_cbranch_execz .LBB1022_1168
.LBB1022_1153:                          ;   in Loop: Header=BB1022_982 Depth=2
	v_lshlrev_b32_e32 v2, 2, v130
	ds_load_b32 v5, v2
	ds_load_b64 v[2:3], v0 offset:20480
	s_waitcnt lgkmcnt(1)
	v_add_nc_u32_e32 v19, v5, v60
	s_delay_alu instid0(VALU_DEP_1) | instskip(NEXT) | instid1(VALU_DEP_1)
	v_lshlrev_b64 v[5:6], 3, v[19:20]
	v_add_co_u32 v5, vcc_lo, s54, v5
	s_delay_alu instid0(VALU_DEP_2)
	v_add_co_ci_u32_e32 v6, vcc_lo, s55, v6, vcc_lo
	s_waitcnt lgkmcnt(0)
	global_store_b64 v[5:6], v[2:3], off
	s_or_b32 exec_lo, exec_lo, s16
	s_and_saveexec_b32 s16, s27
	s_cbranch_execnz .LBB1022_1169
.LBB1022_1154:                          ;   in Loop: Header=BB1022_982 Depth=2
	s_or_b32 exec_lo, exec_lo, s16
	s_and_saveexec_b32 s16, s28
	s_cbranch_execz .LBB1022_1170
.LBB1022_1155:                          ;   in Loop: Header=BB1022_982 Depth=2
	v_lshlrev_b32_e32 v2, 2, v128
	ds_load_b32 v5, v2
	ds_load_b64 v[2:3], v0 offset:24576
	s_waitcnt lgkmcnt(1)
	v_add_nc_u32_e32 v19, v5, v62
	s_delay_alu instid0(VALU_DEP_1) | instskip(NEXT) | instid1(VALU_DEP_1)
	v_lshlrev_b64 v[5:6], 3, v[19:20]
	v_add_co_u32 v5, vcc_lo, s54, v5
	s_delay_alu instid0(VALU_DEP_2)
	v_add_co_ci_u32_e32 v6, vcc_lo, s55, v6, vcc_lo
	s_waitcnt lgkmcnt(0)
	global_store_b64 v[5:6], v[2:3], off
	s_or_b32 exec_lo, exec_lo, s16
	s_and_saveexec_b32 s16, s29
	s_cbranch_execnz .LBB1022_1171
.LBB1022_1156:                          ;   in Loop: Header=BB1022_982 Depth=2
	s_or_b32 exec_lo, exec_lo, s16
	s_and_saveexec_b32 s16, s30
	s_cbranch_execz .LBB1022_1172
.LBB1022_1157:                          ;   in Loop: Header=BB1022_982 Depth=2
	v_lshlrev_b32_e32 v2, 2, v126
	ds_load_b32 v5, v2
	ds_load_b64 v[2:3], v0 offset:28672
	s_waitcnt lgkmcnt(1)
	v_add_nc_u32_e32 v19, v5, v64
	s_delay_alu instid0(VALU_DEP_1) | instskip(NEXT) | instid1(VALU_DEP_1)
	v_lshlrev_b64 v[5:6], 3, v[19:20]
	v_add_co_u32 v5, vcc_lo, s54, v5
	s_delay_alu instid0(VALU_DEP_2)
	v_add_co_ci_u32_e32 v6, vcc_lo, s55, v6, vcc_lo
	s_waitcnt lgkmcnt(0)
	global_store_b64 v[5:6], v[2:3], off
	s_or_b32 exec_lo, exec_lo, s16
	s_and_saveexec_b32 s16, s31
	s_cbranch_execnz .LBB1022_1173
	s_branch .LBB1022_1174
.LBB1022_1158:                          ;   in Loop: Header=BB1022_982 Depth=2
	s_or_b32 exec_lo, exec_lo, s33
	v_add_nc_u32_e32 v0, v83, v85
	s_and_saveexec_b32 s33, s16
	s_cbranch_execz .LBB1022_1144
.LBB1022_1159:                          ;   in Loop: Header=BB1022_982 Depth=2
	v_lshlrev_b32_e32 v2, 2, v139
	ds_load_b32 v5, v2
	ds_load_b64 v[2:3], v0 offset:2048
	s_waitcnt lgkmcnt(1)
	v_add_nc_u32_e32 v19, v5, v48
	s_delay_alu instid0(VALU_DEP_1) | instskip(NEXT) | instid1(VALU_DEP_1)
	v_lshlrev_b64 v[5:6], 3, v[19:20]
	v_add_co_u32 v5, vcc_lo, s54, v5
	s_delay_alu instid0(VALU_DEP_2)
	v_add_co_ci_u32_e32 v6, vcc_lo, s55, v6, vcc_lo
	s_waitcnt lgkmcnt(0)
	global_store_b64 v[5:6], v[2:3], off
	s_or_b32 exec_lo, exec_lo, s33
	s_and_saveexec_b32 s16, s17
	s_cbranch_execnz .LBB1022_1145
.LBB1022_1160:                          ;   in Loop: Header=BB1022_982 Depth=2
	s_or_b32 exec_lo, exec_lo, s16
	s_and_saveexec_b32 s16, s18
	s_cbranch_execz .LBB1022_1146
.LBB1022_1161:                          ;   in Loop: Header=BB1022_982 Depth=2
	v_lshlrev_b32_e32 v2, 2, v137
	ds_load_b32 v5, v2
	ds_load_b64 v[2:3], v0 offset:6144
	s_waitcnt lgkmcnt(1)
	v_add_nc_u32_e32 v19, v5, v50
	s_delay_alu instid0(VALU_DEP_1) | instskip(NEXT) | instid1(VALU_DEP_1)
	v_lshlrev_b64 v[5:6], 3, v[19:20]
	v_add_co_u32 v5, vcc_lo, s54, v5
	s_delay_alu instid0(VALU_DEP_2)
	v_add_co_ci_u32_e32 v6, vcc_lo, s55, v6, vcc_lo
	s_waitcnt lgkmcnt(0)
	global_store_b64 v[5:6], v[2:3], off
	s_or_b32 exec_lo, exec_lo, s16
	s_and_saveexec_b32 s16, s19
	s_cbranch_execnz .LBB1022_1147
.LBB1022_1162:                          ;   in Loop: Header=BB1022_982 Depth=2
	s_or_b32 exec_lo, exec_lo, s16
	s_and_saveexec_b32 s16, s20
	s_cbranch_execz .LBB1022_1148
.LBB1022_1163:                          ;   in Loop: Header=BB1022_982 Depth=2
	v_lshlrev_b32_e32 v2, 2, v135
	ds_load_b32 v5, v2
	ds_load_b64 v[2:3], v0 offset:10240
	s_waitcnt lgkmcnt(1)
	v_add_nc_u32_e32 v19, v5, v55
	s_delay_alu instid0(VALU_DEP_1) | instskip(NEXT) | instid1(VALU_DEP_1)
	v_lshlrev_b64 v[5:6], 3, v[19:20]
	v_add_co_u32 v5, vcc_lo, s54, v5
	s_delay_alu instid0(VALU_DEP_2)
	v_add_co_ci_u32_e32 v6, vcc_lo, s55, v6, vcc_lo
	s_waitcnt lgkmcnt(0)
	global_store_b64 v[5:6], v[2:3], off
	s_or_b32 exec_lo, exec_lo, s16
	s_and_saveexec_b32 s16, s21
	s_cbranch_execnz .LBB1022_1149
.LBB1022_1164:                          ;   in Loop: Header=BB1022_982 Depth=2
	s_or_b32 exec_lo, exec_lo, s16
	s_and_saveexec_b32 s16, s22
	s_cbranch_execz .LBB1022_1150
.LBB1022_1165:                          ;   in Loop: Header=BB1022_982 Depth=2
	v_lshlrev_b32_e32 v2, 2, v133
	ds_load_b32 v5, v2
	ds_load_b64 v[2:3], v0 offset:14336
	s_waitcnt lgkmcnt(1)
	v_add_nc_u32_e32 v19, v5, v57
	s_delay_alu instid0(VALU_DEP_1) | instskip(NEXT) | instid1(VALU_DEP_1)
	v_lshlrev_b64 v[5:6], 3, v[19:20]
	v_add_co_u32 v5, vcc_lo, s54, v5
	s_delay_alu instid0(VALU_DEP_2)
	v_add_co_ci_u32_e32 v6, vcc_lo, s55, v6, vcc_lo
	s_waitcnt lgkmcnt(0)
	global_store_b64 v[5:6], v[2:3], off
	s_or_b32 exec_lo, exec_lo, s16
	s_and_saveexec_b32 s16, s23
	s_cbranch_execnz .LBB1022_1151
.LBB1022_1166:                          ;   in Loop: Header=BB1022_982 Depth=2
	s_or_b32 exec_lo, exec_lo, s16
	s_and_saveexec_b32 s16, s24
	s_cbranch_execz .LBB1022_1152
.LBB1022_1167:                          ;   in Loop: Header=BB1022_982 Depth=2
	v_lshlrev_b32_e32 v2, 2, v131
	ds_load_b32 v5, v2
	ds_load_b64 v[2:3], v0 offset:18432
	s_waitcnt lgkmcnt(1)
	v_add_nc_u32_e32 v19, v5, v59
	s_delay_alu instid0(VALU_DEP_1) | instskip(NEXT) | instid1(VALU_DEP_1)
	v_lshlrev_b64 v[5:6], 3, v[19:20]
	v_add_co_u32 v5, vcc_lo, s54, v5
	s_delay_alu instid0(VALU_DEP_2)
	v_add_co_ci_u32_e32 v6, vcc_lo, s55, v6, vcc_lo
	s_waitcnt lgkmcnt(0)
	global_store_b64 v[5:6], v[2:3], off
	s_or_b32 exec_lo, exec_lo, s16
	s_and_saveexec_b32 s16, s25
	s_cbranch_execnz .LBB1022_1153
.LBB1022_1168:                          ;   in Loop: Header=BB1022_982 Depth=2
	s_or_b32 exec_lo, exec_lo, s16
	s_and_saveexec_b32 s16, s27
	s_cbranch_execz .LBB1022_1154
.LBB1022_1169:                          ;   in Loop: Header=BB1022_982 Depth=2
	v_lshlrev_b32_e32 v2, 2, v129
	ds_load_b32 v5, v2
	ds_load_b64 v[2:3], v0 offset:22528
	s_waitcnt lgkmcnt(1)
	v_add_nc_u32_e32 v19, v5, v61
	s_delay_alu instid0(VALU_DEP_1) | instskip(NEXT) | instid1(VALU_DEP_1)
	v_lshlrev_b64 v[5:6], 3, v[19:20]
	v_add_co_u32 v5, vcc_lo, s54, v5
	s_delay_alu instid0(VALU_DEP_2)
	v_add_co_ci_u32_e32 v6, vcc_lo, s55, v6, vcc_lo
	s_waitcnt lgkmcnt(0)
	global_store_b64 v[5:6], v[2:3], off
	s_or_b32 exec_lo, exec_lo, s16
	s_and_saveexec_b32 s16, s28
	s_cbranch_execnz .LBB1022_1155
.LBB1022_1170:                          ;   in Loop: Header=BB1022_982 Depth=2
	s_or_b32 exec_lo, exec_lo, s16
	s_and_saveexec_b32 s16, s29
	s_cbranch_execz .LBB1022_1156
.LBB1022_1171:                          ;   in Loop: Header=BB1022_982 Depth=2
	v_lshlrev_b32_e32 v2, 2, v127
	ds_load_b32 v5, v2
	ds_load_b64 v[2:3], v0 offset:26624
	s_waitcnt lgkmcnt(1)
	v_add_nc_u32_e32 v19, v5, v63
	s_delay_alu instid0(VALU_DEP_1) | instskip(NEXT) | instid1(VALU_DEP_1)
	v_lshlrev_b64 v[5:6], 3, v[19:20]
	v_add_co_u32 v5, vcc_lo, s54, v5
	s_delay_alu instid0(VALU_DEP_2)
	v_add_co_ci_u32_e32 v6, vcc_lo, s55, v6, vcc_lo
	s_waitcnt lgkmcnt(0)
	global_store_b64 v[5:6], v[2:3], off
	s_or_b32 exec_lo, exec_lo, s16
	s_and_saveexec_b32 s16, s30
	s_cbranch_execnz .LBB1022_1157
.LBB1022_1172:                          ;   in Loop: Header=BB1022_982 Depth=2
	s_or_b32 exec_lo, exec_lo, s16
	s_and_saveexec_b32 s16, s31
	s_cbranch_execz .LBB1022_1174
.LBB1022_1173:                          ;   in Loop: Header=BB1022_982 Depth=2
	v_lshlrev_b32_e32 v2, 2, v125
	ds_load_b32 v5, v2
	ds_load_b64 v[2:3], v0 offset:30720
	s_waitcnt lgkmcnt(1)
	v_add_nc_u32_e32 v19, v5, v66
	s_delay_alu instid0(VALU_DEP_1) | instskip(NEXT) | instid1(VALU_DEP_1)
	v_lshlrev_b64 v[5:6], 3, v[19:20]
	v_add_co_u32 v5, vcc_lo, s54, v5
	s_delay_alu instid0(VALU_DEP_2)
	v_add_co_ci_u32_e32 v6, vcc_lo, s55, v6, vcc_lo
	s_waitcnt lgkmcnt(0)
	global_store_b64 v[5:6], v[2:3], off
.LBB1022_1174:                          ;   in Loop: Header=BB1022_982 Depth=2
	s_or_b32 exec_lo, exec_lo, s16
	s_waitcnt_vscnt null, 0x0
	s_barrier
	buffer_gl0_inv
	s_and_saveexec_b32 s16, s2
	s_cbranch_execz .LBB1022_981
; %bb.1175:                             ;   in Loop: Header=BB1022_982 Depth=2
	ds_load_b32 v0, v47
	s_waitcnt lgkmcnt(0)
	v_add_nc_u32_e32 v0, v0, v4
	ds_store_b32 v47, v0
	s_branch .LBB1022_981
.LBB1022_1176:                          ;   in Loop: Header=BB1022_982 Depth=2
	s_or_b32 exec_lo, exec_lo, s16
	s_delay_alu instid0(SALU_CYCLE_1)
	s_mov_b32 s16, exec_lo
	v_cmpx_gt_u32_e64 s56, v105
	s_cbranch_execz .LBB1022_987
.LBB1022_1177:                          ;   in Loop: Header=BB1022_982 Depth=2
	global_load_d16_hi_b16 v2, v[45:46], off offset:64
	s_or_b32 exec_lo, exec_lo, s16
	s_delay_alu instid0(SALU_CYCLE_1)
	s_mov_b32 s16, exec_lo
	v_cmpx_gt_u32_e64 s56, v106
	s_cbranch_execnz .LBB1022_988
.LBB1022_1178:                          ;   in Loop: Header=BB1022_982 Depth=2
	s_or_b32 exec_lo, exec_lo, s16
	s_delay_alu instid0(SALU_CYCLE_1)
	s_mov_b32 s16, exec_lo
	v_cmpx_gt_u32_e64 s56, v107
	s_cbranch_execz .LBB1022_989
.LBB1022_1179:                          ;   in Loop: Header=BB1022_982 Depth=2
	global_load_d16_hi_b16 v3, v[45:46], off offset:192
	s_or_b32 exec_lo, exec_lo, s16
	s_delay_alu instid0(SALU_CYCLE_1)
	s_mov_b32 s16, exec_lo
	v_cmpx_gt_u32_e64 s56, v108
	s_cbranch_execnz .LBB1022_990
.LBB1022_1180:                          ;   in Loop: Header=BB1022_982 Depth=2
	s_or_b32 exec_lo, exec_lo, s16
	s_delay_alu instid0(SALU_CYCLE_1)
	s_mov_b32 s16, exec_lo
	v_cmpx_gt_u32_e64 s56, v109
	s_cbranch_execz .LBB1022_991
.LBB1022_1181:                          ;   in Loop: Header=BB1022_982 Depth=2
	global_load_d16_hi_b16 v4, v[45:46], off offset:320
	s_or_b32 exec_lo, exec_lo, s16
	s_delay_alu instid0(SALU_CYCLE_1)
	s_mov_b32 s16, exec_lo
	v_cmpx_gt_u32_e64 s56, v110
	s_cbranch_execnz .LBB1022_992
.LBB1022_1182:                          ;   in Loop: Header=BB1022_982 Depth=2
	s_or_b32 exec_lo, exec_lo, s16
	s_delay_alu instid0(SALU_CYCLE_1)
	s_mov_b32 s16, exec_lo
	v_cmpx_gt_u32_e64 s56, v111
	s_cbranch_execz .LBB1022_993
.LBB1022_1183:                          ;   in Loop: Header=BB1022_982 Depth=2
	global_load_d16_hi_b16 v5, v[45:46], off offset:448
	s_or_b32 exec_lo, exec_lo, s16
	s_delay_alu instid0(SALU_CYCLE_1)
	s_mov_b32 s16, exec_lo
	v_cmpx_gt_u32_e64 s56, v112
	s_cbranch_execnz .LBB1022_994
.LBB1022_1184:                          ;   in Loop: Header=BB1022_982 Depth=2
	s_or_b32 exec_lo, exec_lo, s16
	s_delay_alu instid0(SALU_CYCLE_1)
	s_mov_b32 s16, exec_lo
	v_cmpx_gt_u32_e64 s56, v113
	s_cbranch_execz .LBB1022_995
.LBB1022_1185:                          ;   in Loop: Header=BB1022_982 Depth=2
	global_load_d16_hi_b16 v6, v[45:46], off offset:576
	s_or_b32 exec_lo, exec_lo, s16
	s_delay_alu instid0(SALU_CYCLE_1)
	s_mov_b32 s16, exec_lo
	v_cmpx_gt_u32_e64 s56, v114
	s_cbranch_execnz .LBB1022_996
.LBB1022_1186:                          ;   in Loop: Header=BB1022_982 Depth=2
	s_or_b32 exec_lo, exec_lo, s16
	s_delay_alu instid0(SALU_CYCLE_1)
	s_mov_b32 s16, exec_lo
	v_cmpx_gt_u32_e64 s56, v115
	s_cbranch_execz .LBB1022_997
.LBB1022_1187:                          ;   in Loop: Header=BB1022_982 Depth=2
	global_load_d16_hi_b16 v7, v[45:46], off offset:704
	s_or_b32 exec_lo, exec_lo, s16
	s_delay_alu instid0(SALU_CYCLE_1)
	s_mov_b32 s16, exec_lo
	v_cmpx_gt_u32_e64 s56, v116
	s_cbranch_execnz .LBB1022_998
.LBB1022_1188:                          ;   in Loop: Header=BB1022_982 Depth=2
	s_or_b32 exec_lo, exec_lo, s16
	s_delay_alu instid0(SALU_CYCLE_1)
	s_mov_b32 s16, exec_lo
	v_cmpx_gt_u32_e64 s56, v117
	s_cbranch_execz .LBB1022_999
.LBB1022_1189:                          ;   in Loop: Header=BB1022_982 Depth=2
	global_load_d16_hi_b16 v8, v[45:46], off offset:832
	s_or_b32 exec_lo, exec_lo, s16
	s_delay_alu instid0(SALU_CYCLE_1)
	s_mov_b32 s16, exec_lo
	v_cmpx_gt_u32_e64 s56, v118
	s_cbranch_execnz .LBB1022_1000
	s_branch .LBB1022_1001
.LBB1022_1190:
	s_endpgm
	.section	.rodata,"a",@progbits
	.p2align	6, 0x0
	.amdhsa_kernel _ZN7rocprim17ROCPRIM_400000_NS6detail17trampoline_kernelINS0_14default_configENS1_36segmented_radix_sort_config_selectorIslEEZNS1_25segmented_radix_sort_implIS3_Lb0EPKsPsPKlPlN2at6native12_GLOBAL__N_18offset_tEEE10hipError_tPvRmT1_PNSt15iterator_traitsISK_E10value_typeET2_T3_PNSL_ISQ_E10value_typeET4_jRbjT5_SW_jjP12ihipStream_tbEUlT_E_NS1_11comp_targetILNS1_3genE9ELNS1_11target_archE1100ELNS1_3gpuE3ELNS1_3repE0EEENS1_30default_config_static_selectorELNS0_4arch9wavefront6targetE0EEEvSK_
		.amdhsa_group_segment_fixed_size 33824
		.amdhsa_private_segment_fixed_size 188
		.amdhsa_kernarg_size 352
		.amdhsa_user_sgpr_count 14
		.amdhsa_user_sgpr_dispatch_ptr 0
		.amdhsa_user_sgpr_queue_ptr 0
		.amdhsa_user_sgpr_kernarg_segment_ptr 1
		.amdhsa_user_sgpr_dispatch_id 0
		.amdhsa_user_sgpr_private_segment_size 0
		.amdhsa_wavefront_size32 1
		.amdhsa_uses_dynamic_stack 0
		.amdhsa_enable_private_segment 1
		.amdhsa_system_sgpr_workgroup_id_x 1
		.amdhsa_system_sgpr_workgroup_id_y 1
		.amdhsa_system_sgpr_workgroup_id_z 0
		.amdhsa_system_sgpr_workgroup_info 0
		.amdhsa_system_vgpr_workitem_id 2
		.amdhsa_next_free_vgpr 248
		.amdhsa_next_free_sgpr 66
		.amdhsa_reserve_vcc 1
		.amdhsa_float_round_mode_32 0
		.amdhsa_float_round_mode_16_64 0
		.amdhsa_float_denorm_mode_32 3
		.amdhsa_float_denorm_mode_16_64 3
		.amdhsa_dx10_clamp 1
		.amdhsa_ieee_mode 1
		.amdhsa_fp16_overflow 0
		.amdhsa_workgroup_processor_mode 1
		.amdhsa_memory_ordered 1
		.amdhsa_forward_progress 0
		.amdhsa_shared_vgpr_count 0
		.amdhsa_exception_fp_ieee_invalid_op 0
		.amdhsa_exception_fp_denorm_src 0
		.amdhsa_exception_fp_ieee_div_zero 0
		.amdhsa_exception_fp_ieee_overflow 0
		.amdhsa_exception_fp_ieee_underflow 0
		.amdhsa_exception_fp_ieee_inexact 0
		.amdhsa_exception_int_div_zero 0
	.end_amdhsa_kernel
	.section	.text._ZN7rocprim17ROCPRIM_400000_NS6detail17trampoline_kernelINS0_14default_configENS1_36segmented_radix_sort_config_selectorIslEEZNS1_25segmented_radix_sort_implIS3_Lb0EPKsPsPKlPlN2at6native12_GLOBAL__N_18offset_tEEE10hipError_tPvRmT1_PNSt15iterator_traitsISK_E10value_typeET2_T3_PNSL_ISQ_E10value_typeET4_jRbjT5_SW_jjP12ihipStream_tbEUlT_E_NS1_11comp_targetILNS1_3genE9ELNS1_11target_archE1100ELNS1_3gpuE3ELNS1_3repE0EEENS1_30default_config_static_selectorELNS0_4arch9wavefront6targetE0EEEvSK_,"axG",@progbits,_ZN7rocprim17ROCPRIM_400000_NS6detail17trampoline_kernelINS0_14default_configENS1_36segmented_radix_sort_config_selectorIslEEZNS1_25segmented_radix_sort_implIS3_Lb0EPKsPsPKlPlN2at6native12_GLOBAL__N_18offset_tEEE10hipError_tPvRmT1_PNSt15iterator_traitsISK_E10value_typeET2_T3_PNSL_ISQ_E10value_typeET4_jRbjT5_SW_jjP12ihipStream_tbEUlT_E_NS1_11comp_targetILNS1_3genE9ELNS1_11target_archE1100ELNS1_3gpuE3ELNS1_3repE0EEENS1_30default_config_static_selectorELNS0_4arch9wavefront6targetE0EEEvSK_,comdat
.Lfunc_end1022:
	.size	_ZN7rocprim17ROCPRIM_400000_NS6detail17trampoline_kernelINS0_14default_configENS1_36segmented_radix_sort_config_selectorIslEEZNS1_25segmented_radix_sort_implIS3_Lb0EPKsPsPKlPlN2at6native12_GLOBAL__N_18offset_tEEE10hipError_tPvRmT1_PNSt15iterator_traitsISK_E10value_typeET2_T3_PNSL_ISQ_E10value_typeET4_jRbjT5_SW_jjP12ihipStream_tbEUlT_E_NS1_11comp_targetILNS1_3genE9ELNS1_11target_archE1100ELNS1_3gpuE3ELNS1_3repE0EEENS1_30default_config_static_selectorELNS0_4arch9wavefront6targetE0EEEvSK_, .Lfunc_end1022-_ZN7rocprim17ROCPRIM_400000_NS6detail17trampoline_kernelINS0_14default_configENS1_36segmented_radix_sort_config_selectorIslEEZNS1_25segmented_radix_sort_implIS3_Lb0EPKsPsPKlPlN2at6native12_GLOBAL__N_18offset_tEEE10hipError_tPvRmT1_PNSt15iterator_traitsISK_E10value_typeET2_T3_PNSL_ISQ_E10value_typeET4_jRbjT5_SW_jjP12ihipStream_tbEUlT_E_NS1_11comp_targetILNS1_3genE9ELNS1_11target_archE1100ELNS1_3gpuE3ELNS1_3repE0EEENS1_30default_config_static_selectorELNS0_4arch9wavefront6targetE0EEEvSK_
                                        ; -- End function
	.section	.AMDGPU.csdata,"",@progbits
; Kernel info:
; codeLenInByte = 71384
; NumSgprs: 68
; NumVgprs: 248
; ScratchSize: 188
; MemoryBound: 0
; FloatMode: 240
; IeeeMode: 1
; LDSByteSize: 33824 bytes/workgroup (compile time only)
; SGPRBlocks: 8
; VGPRBlocks: 30
; NumSGPRsForWavesPerEU: 68
; NumVGPRsForWavesPerEU: 248
; Occupancy: 5
; WaveLimiterHint : 1
; COMPUTE_PGM_RSRC2:SCRATCH_EN: 1
; COMPUTE_PGM_RSRC2:USER_SGPR: 14
; COMPUTE_PGM_RSRC2:TRAP_HANDLER: 0
; COMPUTE_PGM_RSRC2:TGID_X_EN: 1
; COMPUTE_PGM_RSRC2:TGID_Y_EN: 1
; COMPUTE_PGM_RSRC2:TGID_Z_EN: 0
; COMPUTE_PGM_RSRC2:TIDIG_COMP_CNT: 2
	.section	.text._ZN7rocprim17ROCPRIM_400000_NS6detail17trampoline_kernelINS0_14default_configENS1_36segmented_radix_sort_config_selectorIslEEZNS1_25segmented_radix_sort_implIS3_Lb0EPKsPsPKlPlN2at6native12_GLOBAL__N_18offset_tEEE10hipError_tPvRmT1_PNSt15iterator_traitsISK_E10value_typeET2_T3_PNSL_ISQ_E10value_typeET4_jRbjT5_SW_jjP12ihipStream_tbEUlT_E_NS1_11comp_targetILNS1_3genE8ELNS1_11target_archE1030ELNS1_3gpuE2ELNS1_3repE0EEENS1_30default_config_static_selectorELNS0_4arch9wavefront6targetE0EEEvSK_,"axG",@progbits,_ZN7rocprim17ROCPRIM_400000_NS6detail17trampoline_kernelINS0_14default_configENS1_36segmented_radix_sort_config_selectorIslEEZNS1_25segmented_radix_sort_implIS3_Lb0EPKsPsPKlPlN2at6native12_GLOBAL__N_18offset_tEEE10hipError_tPvRmT1_PNSt15iterator_traitsISK_E10value_typeET2_T3_PNSL_ISQ_E10value_typeET4_jRbjT5_SW_jjP12ihipStream_tbEUlT_E_NS1_11comp_targetILNS1_3genE8ELNS1_11target_archE1030ELNS1_3gpuE2ELNS1_3repE0EEENS1_30default_config_static_selectorELNS0_4arch9wavefront6targetE0EEEvSK_,comdat
	.globl	_ZN7rocprim17ROCPRIM_400000_NS6detail17trampoline_kernelINS0_14default_configENS1_36segmented_radix_sort_config_selectorIslEEZNS1_25segmented_radix_sort_implIS3_Lb0EPKsPsPKlPlN2at6native12_GLOBAL__N_18offset_tEEE10hipError_tPvRmT1_PNSt15iterator_traitsISK_E10value_typeET2_T3_PNSL_ISQ_E10value_typeET4_jRbjT5_SW_jjP12ihipStream_tbEUlT_E_NS1_11comp_targetILNS1_3genE8ELNS1_11target_archE1030ELNS1_3gpuE2ELNS1_3repE0EEENS1_30default_config_static_selectorELNS0_4arch9wavefront6targetE0EEEvSK_ ; -- Begin function _ZN7rocprim17ROCPRIM_400000_NS6detail17trampoline_kernelINS0_14default_configENS1_36segmented_radix_sort_config_selectorIslEEZNS1_25segmented_radix_sort_implIS3_Lb0EPKsPsPKlPlN2at6native12_GLOBAL__N_18offset_tEEE10hipError_tPvRmT1_PNSt15iterator_traitsISK_E10value_typeET2_T3_PNSL_ISQ_E10value_typeET4_jRbjT5_SW_jjP12ihipStream_tbEUlT_E_NS1_11comp_targetILNS1_3genE8ELNS1_11target_archE1030ELNS1_3gpuE2ELNS1_3repE0EEENS1_30default_config_static_selectorELNS0_4arch9wavefront6targetE0EEEvSK_
	.p2align	8
	.type	_ZN7rocprim17ROCPRIM_400000_NS6detail17trampoline_kernelINS0_14default_configENS1_36segmented_radix_sort_config_selectorIslEEZNS1_25segmented_radix_sort_implIS3_Lb0EPKsPsPKlPlN2at6native12_GLOBAL__N_18offset_tEEE10hipError_tPvRmT1_PNSt15iterator_traitsISK_E10value_typeET2_T3_PNSL_ISQ_E10value_typeET4_jRbjT5_SW_jjP12ihipStream_tbEUlT_E_NS1_11comp_targetILNS1_3genE8ELNS1_11target_archE1030ELNS1_3gpuE2ELNS1_3repE0EEENS1_30default_config_static_selectorELNS0_4arch9wavefront6targetE0EEEvSK_,@function
_ZN7rocprim17ROCPRIM_400000_NS6detail17trampoline_kernelINS0_14default_configENS1_36segmented_radix_sort_config_selectorIslEEZNS1_25segmented_radix_sort_implIS3_Lb0EPKsPsPKlPlN2at6native12_GLOBAL__N_18offset_tEEE10hipError_tPvRmT1_PNSt15iterator_traitsISK_E10value_typeET2_T3_PNSL_ISQ_E10value_typeET4_jRbjT5_SW_jjP12ihipStream_tbEUlT_E_NS1_11comp_targetILNS1_3genE8ELNS1_11target_archE1030ELNS1_3gpuE2ELNS1_3repE0EEENS1_30default_config_static_selectorELNS0_4arch9wavefront6targetE0EEEvSK_: ; @_ZN7rocprim17ROCPRIM_400000_NS6detail17trampoline_kernelINS0_14default_configENS1_36segmented_radix_sort_config_selectorIslEEZNS1_25segmented_radix_sort_implIS3_Lb0EPKsPsPKlPlN2at6native12_GLOBAL__N_18offset_tEEE10hipError_tPvRmT1_PNSt15iterator_traitsISK_E10value_typeET2_T3_PNSL_ISQ_E10value_typeET4_jRbjT5_SW_jjP12ihipStream_tbEUlT_E_NS1_11comp_targetILNS1_3genE8ELNS1_11target_archE1030ELNS1_3gpuE2ELNS1_3repE0EEENS1_30default_config_static_selectorELNS0_4arch9wavefront6targetE0EEEvSK_
; %bb.0:
	.section	.rodata,"a",@progbits
	.p2align	6, 0x0
	.amdhsa_kernel _ZN7rocprim17ROCPRIM_400000_NS6detail17trampoline_kernelINS0_14default_configENS1_36segmented_radix_sort_config_selectorIslEEZNS1_25segmented_radix_sort_implIS3_Lb0EPKsPsPKlPlN2at6native12_GLOBAL__N_18offset_tEEE10hipError_tPvRmT1_PNSt15iterator_traitsISK_E10value_typeET2_T3_PNSL_ISQ_E10value_typeET4_jRbjT5_SW_jjP12ihipStream_tbEUlT_E_NS1_11comp_targetILNS1_3genE8ELNS1_11target_archE1030ELNS1_3gpuE2ELNS1_3repE0EEENS1_30default_config_static_selectorELNS0_4arch9wavefront6targetE0EEEvSK_
		.amdhsa_group_segment_fixed_size 0
		.amdhsa_private_segment_fixed_size 0
		.amdhsa_kernarg_size 96
		.amdhsa_user_sgpr_count 15
		.amdhsa_user_sgpr_dispatch_ptr 0
		.amdhsa_user_sgpr_queue_ptr 0
		.amdhsa_user_sgpr_kernarg_segment_ptr 1
		.amdhsa_user_sgpr_dispatch_id 0
		.amdhsa_user_sgpr_private_segment_size 0
		.amdhsa_wavefront_size32 1
		.amdhsa_uses_dynamic_stack 0
		.amdhsa_enable_private_segment 0
		.amdhsa_system_sgpr_workgroup_id_x 1
		.amdhsa_system_sgpr_workgroup_id_y 0
		.amdhsa_system_sgpr_workgroup_id_z 0
		.amdhsa_system_sgpr_workgroup_info 0
		.amdhsa_system_vgpr_workitem_id 0
		.amdhsa_next_free_vgpr 1
		.amdhsa_next_free_sgpr 1
		.amdhsa_reserve_vcc 0
		.amdhsa_float_round_mode_32 0
		.amdhsa_float_round_mode_16_64 0
		.amdhsa_float_denorm_mode_32 3
		.amdhsa_float_denorm_mode_16_64 3
		.amdhsa_dx10_clamp 1
		.amdhsa_ieee_mode 1
		.amdhsa_fp16_overflow 0
		.amdhsa_workgroup_processor_mode 1
		.amdhsa_memory_ordered 1
		.amdhsa_forward_progress 0
		.amdhsa_shared_vgpr_count 0
		.amdhsa_exception_fp_ieee_invalid_op 0
		.amdhsa_exception_fp_denorm_src 0
		.amdhsa_exception_fp_ieee_div_zero 0
		.amdhsa_exception_fp_ieee_overflow 0
		.amdhsa_exception_fp_ieee_underflow 0
		.amdhsa_exception_fp_ieee_inexact 0
		.amdhsa_exception_int_div_zero 0
	.end_amdhsa_kernel
	.section	.text._ZN7rocprim17ROCPRIM_400000_NS6detail17trampoline_kernelINS0_14default_configENS1_36segmented_radix_sort_config_selectorIslEEZNS1_25segmented_radix_sort_implIS3_Lb0EPKsPsPKlPlN2at6native12_GLOBAL__N_18offset_tEEE10hipError_tPvRmT1_PNSt15iterator_traitsISK_E10value_typeET2_T3_PNSL_ISQ_E10value_typeET4_jRbjT5_SW_jjP12ihipStream_tbEUlT_E_NS1_11comp_targetILNS1_3genE8ELNS1_11target_archE1030ELNS1_3gpuE2ELNS1_3repE0EEENS1_30default_config_static_selectorELNS0_4arch9wavefront6targetE0EEEvSK_,"axG",@progbits,_ZN7rocprim17ROCPRIM_400000_NS6detail17trampoline_kernelINS0_14default_configENS1_36segmented_radix_sort_config_selectorIslEEZNS1_25segmented_radix_sort_implIS3_Lb0EPKsPsPKlPlN2at6native12_GLOBAL__N_18offset_tEEE10hipError_tPvRmT1_PNSt15iterator_traitsISK_E10value_typeET2_T3_PNSL_ISQ_E10value_typeET4_jRbjT5_SW_jjP12ihipStream_tbEUlT_E_NS1_11comp_targetILNS1_3genE8ELNS1_11target_archE1030ELNS1_3gpuE2ELNS1_3repE0EEENS1_30default_config_static_selectorELNS0_4arch9wavefront6targetE0EEEvSK_,comdat
.Lfunc_end1023:
	.size	_ZN7rocprim17ROCPRIM_400000_NS6detail17trampoline_kernelINS0_14default_configENS1_36segmented_radix_sort_config_selectorIslEEZNS1_25segmented_radix_sort_implIS3_Lb0EPKsPsPKlPlN2at6native12_GLOBAL__N_18offset_tEEE10hipError_tPvRmT1_PNSt15iterator_traitsISK_E10value_typeET2_T3_PNSL_ISQ_E10value_typeET4_jRbjT5_SW_jjP12ihipStream_tbEUlT_E_NS1_11comp_targetILNS1_3genE8ELNS1_11target_archE1030ELNS1_3gpuE2ELNS1_3repE0EEENS1_30default_config_static_selectorELNS0_4arch9wavefront6targetE0EEEvSK_, .Lfunc_end1023-_ZN7rocprim17ROCPRIM_400000_NS6detail17trampoline_kernelINS0_14default_configENS1_36segmented_radix_sort_config_selectorIslEEZNS1_25segmented_radix_sort_implIS3_Lb0EPKsPsPKlPlN2at6native12_GLOBAL__N_18offset_tEEE10hipError_tPvRmT1_PNSt15iterator_traitsISK_E10value_typeET2_T3_PNSL_ISQ_E10value_typeET4_jRbjT5_SW_jjP12ihipStream_tbEUlT_E_NS1_11comp_targetILNS1_3genE8ELNS1_11target_archE1030ELNS1_3gpuE2ELNS1_3repE0EEENS1_30default_config_static_selectorELNS0_4arch9wavefront6targetE0EEEvSK_
                                        ; -- End function
	.section	.AMDGPU.csdata,"",@progbits
; Kernel info:
; codeLenInByte = 0
; NumSgprs: 0
; NumVgprs: 0
; ScratchSize: 0
; MemoryBound: 0
; FloatMode: 240
; IeeeMode: 1
; LDSByteSize: 0 bytes/workgroup (compile time only)
; SGPRBlocks: 0
; VGPRBlocks: 0
; NumSGPRsForWavesPerEU: 1
; NumVGPRsForWavesPerEU: 1
; Occupancy: 16
; WaveLimiterHint : 0
; COMPUTE_PGM_RSRC2:SCRATCH_EN: 0
; COMPUTE_PGM_RSRC2:USER_SGPR: 15
; COMPUTE_PGM_RSRC2:TRAP_HANDLER: 0
; COMPUTE_PGM_RSRC2:TGID_X_EN: 1
; COMPUTE_PGM_RSRC2:TGID_Y_EN: 0
; COMPUTE_PGM_RSRC2:TGID_Z_EN: 0
; COMPUTE_PGM_RSRC2:TIDIG_COMP_CNT: 0
	.section	.text._ZN7rocprim17ROCPRIM_400000_NS6detail17trampoline_kernelINS0_14default_configENS1_36segmented_radix_sort_config_selectorIslEEZNS1_25segmented_radix_sort_implIS3_Lb0EPKsPsPKlPlN2at6native12_GLOBAL__N_18offset_tEEE10hipError_tPvRmT1_PNSt15iterator_traitsISK_E10value_typeET2_T3_PNSL_ISQ_E10value_typeET4_jRbjT5_SW_jjP12ihipStream_tbEUlT_E0_NS1_11comp_targetILNS1_3genE0ELNS1_11target_archE4294967295ELNS1_3gpuE0ELNS1_3repE0EEENS1_60segmented_radix_sort_warp_sort_medium_config_static_selectorELNS0_4arch9wavefront6targetE0EEEvSK_,"axG",@progbits,_ZN7rocprim17ROCPRIM_400000_NS6detail17trampoline_kernelINS0_14default_configENS1_36segmented_radix_sort_config_selectorIslEEZNS1_25segmented_radix_sort_implIS3_Lb0EPKsPsPKlPlN2at6native12_GLOBAL__N_18offset_tEEE10hipError_tPvRmT1_PNSt15iterator_traitsISK_E10value_typeET2_T3_PNSL_ISQ_E10value_typeET4_jRbjT5_SW_jjP12ihipStream_tbEUlT_E0_NS1_11comp_targetILNS1_3genE0ELNS1_11target_archE4294967295ELNS1_3gpuE0ELNS1_3repE0EEENS1_60segmented_radix_sort_warp_sort_medium_config_static_selectorELNS0_4arch9wavefront6targetE0EEEvSK_,comdat
	.globl	_ZN7rocprim17ROCPRIM_400000_NS6detail17trampoline_kernelINS0_14default_configENS1_36segmented_radix_sort_config_selectorIslEEZNS1_25segmented_radix_sort_implIS3_Lb0EPKsPsPKlPlN2at6native12_GLOBAL__N_18offset_tEEE10hipError_tPvRmT1_PNSt15iterator_traitsISK_E10value_typeET2_T3_PNSL_ISQ_E10value_typeET4_jRbjT5_SW_jjP12ihipStream_tbEUlT_E0_NS1_11comp_targetILNS1_3genE0ELNS1_11target_archE4294967295ELNS1_3gpuE0ELNS1_3repE0EEENS1_60segmented_radix_sort_warp_sort_medium_config_static_selectorELNS0_4arch9wavefront6targetE0EEEvSK_ ; -- Begin function _ZN7rocprim17ROCPRIM_400000_NS6detail17trampoline_kernelINS0_14default_configENS1_36segmented_radix_sort_config_selectorIslEEZNS1_25segmented_radix_sort_implIS3_Lb0EPKsPsPKlPlN2at6native12_GLOBAL__N_18offset_tEEE10hipError_tPvRmT1_PNSt15iterator_traitsISK_E10value_typeET2_T3_PNSL_ISQ_E10value_typeET4_jRbjT5_SW_jjP12ihipStream_tbEUlT_E0_NS1_11comp_targetILNS1_3genE0ELNS1_11target_archE4294967295ELNS1_3gpuE0ELNS1_3repE0EEENS1_60segmented_radix_sort_warp_sort_medium_config_static_selectorELNS0_4arch9wavefront6targetE0EEEvSK_
	.p2align	8
	.type	_ZN7rocprim17ROCPRIM_400000_NS6detail17trampoline_kernelINS0_14default_configENS1_36segmented_radix_sort_config_selectorIslEEZNS1_25segmented_radix_sort_implIS3_Lb0EPKsPsPKlPlN2at6native12_GLOBAL__N_18offset_tEEE10hipError_tPvRmT1_PNSt15iterator_traitsISK_E10value_typeET2_T3_PNSL_ISQ_E10value_typeET4_jRbjT5_SW_jjP12ihipStream_tbEUlT_E0_NS1_11comp_targetILNS1_3genE0ELNS1_11target_archE4294967295ELNS1_3gpuE0ELNS1_3repE0EEENS1_60segmented_radix_sort_warp_sort_medium_config_static_selectorELNS0_4arch9wavefront6targetE0EEEvSK_,@function
_ZN7rocprim17ROCPRIM_400000_NS6detail17trampoline_kernelINS0_14default_configENS1_36segmented_radix_sort_config_selectorIslEEZNS1_25segmented_radix_sort_implIS3_Lb0EPKsPsPKlPlN2at6native12_GLOBAL__N_18offset_tEEE10hipError_tPvRmT1_PNSt15iterator_traitsISK_E10value_typeET2_T3_PNSL_ISQ_E10value_typeET4_jRbjT5_SW_jjP12ihipStream_tbEUlT_E0_NS1_11comp_targetILNS1_3genE0ELNS1_11target_archE4294967295ELNS1_3gpuE0ELNS1_3repE0EEENS1_60segmented_radix_sort_warp_sort_medium_config_static_selectorELNS0_4arch9wavefront6targetE0EEEvSK_: ; @_ZN7rocprim17ROCPRIM_400000_NS6detail17trampoline_kernelINS0_14default_configENS1_36segmented_radix_sort_config_selectorIslEEZNS1_25segmented_radix_sort_implIS3_Lb0EPKsPsPKlPlN2at6native12_GLOBAL__N_18offset_tEEE10hipError_tPvRmT1_PNSt15iterator_traitsISK_E10value_typeET2_T3_PNSL_ISQ_E10value_typeET4_jRbjT5_SW_jjP12ihipStream_tbEUlT_E0_NS1_11comp_targetILNS1_3genE0ELNS1_11target_archE4294967295ELNS1_3gpuE0ELNS1_3repE0EEENS1_60segmented_radix_sort_warp_sort_medium_config_static_selectorELNS0_4arch9wavefront6targetE0EEEvSK_
; %bb.0:
	.section	.rodata,"a",@progbits
	.p2align	6, 0x0
	.amdhsa_kernel _ZN7rocprim17ROCPRIM_400000_NS6detail17trampoline_kernelINS0_14default_configENS1_36segmented_radix_sort_config_selectorIslEEZNS1_25segmented_radix_sort_implIS3_Lb0EPKsPsPKlPlN2at6native12_GLOBAL__N_18offset_tEEE10hipError_tPvRmT1_PNSt15iterator_traitsISK_E10value_typeET2_T3_PNSL_ISQ_E10value_typeET4_jRbjT5_SW_jjP12ihipStream_tbEUlT_E0_NS1_11comp_targetILNS1_3genE0ELNS1_11target_archE4294967295ELNS1_3gpuE0ELNS1_3repE0EEENS1_60segmented_radix_sort_warp_sort_medium_config_static_selectorELNS0_4arch9wavefront6targetE0EEEvSK_
		.amdhsa_group_segment_fixed_size 0
		.amdhsa_private_segment_fixed_size 0
		.amdhsa_kernarg_size 88
		.amdhsa_user_sgpr_count 15
		.amdhsa_user_sgpr_dispatch_ptr 0
		.amdhsa_user_sgpr_queue_ptr 0
		.amdhsa_user_sgpr_kernarg_segment_ptr 1
		.amdhsa_user_sgpr_dispatch_id 0
		.amdhsa_user_sgpr_private_segment_size 0
		.amdhsa_wavefront_size32 1
		.amdhsa_uses_dynamic_stack 0
		.amdhsa_enable_private_segment 0
		.amdhsa_system_sgpr_workgroup_id_x 1
		.amdhsa_system_sgpr_workgroup_id_y 0
		.amdhsa_system_sgpr_workgroup_id_z 0
		.amdhsa_system_sgpr_workgroup_info 0
		.amdhsa_system_vgpr_workitem_id 0
		.amdhsa_next_free_vgpr 1
		.amdhsa_next_free_sgpr 1
		.amdhsa_reserve_vcc 0
		.amdhsa_float_round_mode_32 0
		.amdhsa_float_round_mode_16_64 0
		.amdhsa_float_denorm_mode_32 3
		.amdhsa_float_denorm_mode_16_64 3
		.amdhsa_dx10_clamp 1
		.amdhsa_ieee_mode 1
		.amdhsa_fp16_overflow 0
		.amdhsa_workgroup_processor_mode 1
		.amdhsa_memory_ordered 1
		.amdhsa_forward_progress 0
		.amdhsa_shared_vgpr_count 0
		.amdhsa_exception_fp_ieee_invalid_op 0
		.amdhsa_exception_fp_denorm_src 0
		.amdhsa_exception_fp_ieee_div_zero 0
		.amdhsa_exception_fp_ieee_overflow 0
		.amdhsa_exception_fp_ieee_underflow 0
		.amdhsa_exception_fp_ieee_inexact 0
		.amdhsa_exception_int_div_zero 0
	.end_amdhsa_kernel
	.section	.text._ZN7rocprim17ROCPRIM_400000_NS6detail17trampoline_kernelINS0_14default_configENS1_36segmented_radix_sort_config_selectorIslEEZNS1_25segmented_radix_sort_implIS3_Lb0EPKsPsPKlPlN2at6native12_GLOBAL__N_18offset_tEEE10hipError_tPvRmT1_PNSt15iterator_traitsISK_E10value_typeET2_T3_PNSL_ISQ_E10value_typeET4_jRbjT5_SW_jjP12ihipStream_tbEUlT_E0_NS1_11comp_targetILNS1_3genE0ELNS1_11target_archE4294967295ELNS1_3gpuE0ELNS1_3repE0EEENS1_60segmented_radix_sort_warp_sort_medium_config_static_selectorELNS0_4arch9wavefront6targetE0EEEvSK_,"axG",@progbits,_ZN7rocprim17ROCPRIM_400000_NS6detail17trampoline_kernelINS0_14default_configENS1_36segmented_radix_sort_config_selectorIslEEZNS1_25segmented_radix_sort_implIS3_Lb0EPKsPsPKlPlN2at6native12_GLOBAL__N_18offset_tEEE10hipError_tPvRmT1_PNSt15iterator_traitsISK_E10value_typeET2_T3_PNSL_ISQ_E10value_typeET4_jRbjT5_SW_jjP12ihipStream_tbEUlT_E0_NS1_11comp_targetILNS1_3genE0ELNS1_11target_archE4294967295ELNS1_3gpuE0ELNS1_3repE0EEENS1_60segmented_radix_sort_warp_sort_medium_config_static_selectorELNS0_4arch9wavefront6targetE0EEEvSK_,comdat
.Lfunc_end1024:
	.size	_ZN7rocprim17ROCPRIM_400000_NS6detail17trampoline_kernelINS0_14default_configENS1_36segmented_radix_sort_config_selectorIslEEZNS1_25segmented_radix_sort_implIS3_Lb0EPKsPsPKlPlN2at6native12_GLOBAL__N_18offset_tEEE10hipError_tPvRmT1_PNSt15iterator_traitsISK_E10value_typeET2_T3_PNSL_ISQ_E10value_typeET4_jRbjT5_SW_jjP12ihipStream_tbEUlT_E0_NS1_11comp_targetILNS1_3genE0ELNS1_11target_archE4294967295ELNS1_3gpuE0ELNS1_3repE0EEENS1_60segmented_radix_sort_warp_sort_medium_config_static_selectorELNS0_4arch9wavefront6targetE0EEEvSK_, .Lfunc_end1024-_ZN7rocprim17ROCPRIM_400000_NS6detail17trampoline_kernelINS0_14default_configENS1_36segmented_radix_sort_config_selectorIslEEZNS1_25segmented_radix_sort_implIS3_Lb0EPKsPsPKlPlN2at6native12_GLOBAL__N_18offset_tEEE10hipError_tPvRmT1_PNSt15iterator_traitsISK_E10value_typeET2_T3_PNSL_ISQ_E10value_typeET4_jRbjT5_SW_jjP12ihipStream_tbEUlT_E0_NS1_11comp_targetILNS1_3genE0ELNS1_11target_archE4294967295ELNS1_3gpuE0ELNS1_3repE0EEENS1_60segmented_radix_sort_warp_sort_medium_config_static_selectorELNS0_4arch9wavefront6targetE0EEEvSK_
                                        ; -- End function
	.section	.AMDGPU.csdata,"",@progbits
; Kernel info:
; codeLenInByte = 0
; NumSgprs: 0
; NumVgprs: 0
; ScratchSize: 0
; MemoryBound: 0
; FloatMode: 240
; IeeeMode: 1
; LDSByteSize: 0 bytes/workgroup (compile time only)
; SGPRBlocks: 0
; VGPRBlocks: 0
; NumSGPRsForWavesPerEU: 1
; NumVGPRsForWavesPerEU: 1
; Occupancy: 16
; WaveLimiterHint : 0
; COMPUTE_PGM_RSRC2:SCRATCH_EN: 0
; COMPUTE_PGM_RSRC2:USER_SGPR: 15
; COMPUTE_PGM_RSRC2:TRAP_HANDLER: 0
; COMPUTE_PGM_RSRC2:TGID_X_EN: 1
; COMPUTE_PGM_RSRC2:TGID_Y_EN: 0
; COMPUTE_PGM_RSRC2:TGID_Z_EN: 0
; COMPUTE_PGM_RSRC2:TIDIG_COMP_CNT: 0
	.section	.text._ZN7rocprim17ROCPRIM_400000_NS6detail17trampoline_kernelINS0_14default_configENS1_36segmented_radix_sort_config_selectorIslEEZNS1_25segmented_radix_sort_implIS3_Lb0EPKsPsPKlPlN2at6native12_GLOBAL__N_18offset_tEEE10hipError_tPvRmT1_PNSt15iterator_traitsISK_E10value_typeET2_T3_PNSL_ISQ_E10value_typeET4_jRbjT5_SW_jjP12ihipStream_tbEUlT_E0_NS1_11comp_targetILNS1_3genE5ELNS1_11target_archE942ELNS1_3gpuE9ELNS1_3repE0EEENS1_60segmented_radix_sort_warp_sort_medium_config_static_selectorELNS0_4arch9wavefront6targetE0EEEvSK_,"axG",@progbits,_ZN7rocprim17ROCPRIM_400000_NS6detail17trampoline_kernelINS0_14default_configENS1_36segmented_radix_sort_config_selectorIslEEZNS1_25segmented_radix_sort_implIS3_Lb0EPKsPsPKlPlN2at6native12_GLOBAL__N_18offset_tEEE10hipError_tPvRmT1_PNSt15iterator_traitsISK_E10value_typeET2_T3_PNSL_ISQ_E10value_typeET4_jRbjT5_SW_jjP12ihipStream_tbEUlT_E0_NS1_11comp_targetILNS1_3genE5ELNS1_11target_archE942ELNS1_3gpuE9ELNS1_3repE0EEENS1_60segmented_radix_sort_warp_sort_medium_config_static_selectorELNS0_4arch9wavefront6targetE0EEEvSK_,comdat
	.globl	_ZN7rocprim17ROCPRIM_400000_NS6detail17trampoline_kernelINS0_14default_configENS1_36segmented_radix_sort_config_selectorIslEEZNS1_25segmented_radix_sort_implIS3_Lb0EPKsPsPKlPlN2at6native12_GLOBAL__N_18offset_tEEE10hipError_tPvRmT1_PNSt15iterator_traitsISK_E10value_typeET2_T3_PNSL_ISQ_E10value_typeET4_jRbjT5_SW_jjP12ihipStream_tbEUlT_E0_NS1_11comp_targetILNS1_3genE5ELNS1_11target_archE942ELNS1_3gpuE9ELNS1_3repE0EEENS1_60segmented_radix_sort_warp_sort_medium_config_static_selectorELNS0_4arch9wavefront6targetE0EEEvSK_ ; -- Begin function _ZN7rocprim17ROCPRIM_400000_NS6detail17trampoline_kernelINS0_14default_configENS1_36segmented_radix_sort_config_selectorIslEEZNS1_25segmented_radix_sort_implIS3_Lb0EPKsPsPKlPlN2at6native12_GLOBAL__N_18offset_tEEE10hipError_tPvRmT1_PNSt15iterator_traitsISK_E10value_typeET2_T3_PNSL_ISQ_E10value_typeET4_jRbjT5_SW_jjP12ihipStream_tbEUlT_E0_NS1_11comp_targetILNS1_3genE5ELNS1_11target_archE942ELNS1_3gpuE9ELNS1_3repE0EEENS1_60segmented_radix_sort_warp_sort_medium_config_static_selectorELNS0_4arch9wavefront6targetE0EEEvSK_
	.p2align	8
	.type	_ZN7rocprim17ROCPRIM_400000_NS6detail17trampoline_kernelINS0_14default_configENS1_36segmented_radix_sort_config_selectorIslEEZNS1_25segmented_radix_sort_implIS3_Lb0EPKsPsPKlPlN2at6native12_GLOBAL__N_18offset_tEEE10hipError_tPvRmT1_PNSt15iterator_traitsISK_E10value_typeET2_T3_PNSL_ISQ_E10value_typeET4_jRbjT5_SW_jjP12ihipStream_tbEUlT_E0_NS1_11comp_targetILNS1_3genE5ELNS1_11target_archE942ELNS1_3gpuE9ELNS1_3repE0EEENS1_60segmented_radix_sort_warp_sort_medium_config_static_selectorELNS0_4arch9wavefront6targetE0EEEvSK_,@function
_ZN7rocprim17ROCPRIM_400000_NS6detail17trampoline_kernelINS0_14default_configENS1_36segmented_radix_sort_config_selectorIslEEZNS1_25segmented_radix_sort_implIS3_Lb0EPKsPsPKlPlN2at6native12_GLOBAL__N_18offset_tEEE10hipError_tPvRmT1_PNSt15iterator_traitsISK_E10value_typeET2_T3_PNSL_ISQ_E10value_typeET4_jRbjT5_SW_jjP12ihipStream_tbEUlT_E0_NS1_11comp_targetILNS1_3genE5ELNS1_11target_archE942ELNS1_3gpuE9ELNS1_3repE0EEENS1_60segmented_radix_sort_warp_sort_medium_config_static_selectorELNS0_4arch9wavefront6targetE0EEEvSK_: ; @_ZN7rocprim17ROCPRIM_400000_NS6detail17trampoline_kernelINS0_14default_configENS1_36segmented_radix_sort_config_selectorIslEEZNS1_25segmented_radix_sort_implIS3_Lb0EPKsPsPKlPlN2at6native12_GLOBAL__N_18offset_tEEE10hipError_tPvRmT1_PNSt15iterator_traitsISK_E10value_typeET2_T3_PNSL_ISQ_E10value_typeET4_jRbjT5_SW_jjP12ihipStream_tbEUlT_E0_NS1_11comp_targetILNS1_3genE5ELNS1_11target_archE942ELNS1_3gpuE9ELNS1_3repE0EEENS1_60segmented_radix_sort_warp_sort_medium_config_static_selectorELNS0_4arch9wavefront6targetE0EEEvSK_
; %bb.0:
	.section	.rodata,"a",@progbits
	.p2align	6, 0x0
	.amdhsa_kernel _ZN7rocprim17ROCPRIM_400000_NS6detail17trampoline_kernelINS0_14default_configENS1_36segmented_radix_sort_config_selectorIslEEZNS1_25segmented_radix_sort_implIS3_Lb0EPKsPsPKlPlN2at6native12_GLOBAL__N_18offset_tEEE10hipError_tPvRmT1_PNSt15iterator_traitsISK_E10value_typeET2_T3_PNSL_ISQ_E10value_typeET4_jRbjT5_SW_jjP12ihipStream_tbEUlT_E0_NS1_11comp_targetILNS1_3genE5ELNS1_11target_archE942ELNS1_3gpuE9ELNS1_3repE0EEENS1_60segmented_radix_sort_warp_sort_medium_config_static_selectorELNS0_4arch9wavefront6targetE0EEEvSK_
		.amdhsa_group_segment_fixed_size 0
		.amdhsa_private_segment_fixed_size 0
		.amdhsa_kernarg_size 88
		.amdhsa_user_sgpr_count 15
		.amdhsa_user_sgpr_dispatch_ptr 0
		.amdhsa_user_sgpr_queue_ptr 0
		.amdhsa_user_sgpr_kernarg_segment_ptr 1
		.amdhsa_user_sgpr_dispatch_id 0
		.amdhsa_user_sgpr_private_segment_size 0
		.amdhsa_wavefront_size32 1
		.amdhsa_uses_dynamic_stack 0
		.amdhsa_enable_private_segment 0
		.amdhsa_system_sgpr_workgroup_id_x 1
		.amdhsa_system_sgpr_workgroup_id_y 0
		.amdhsa_system_sgpr_workgroup_id_z 0
		.amdhsa_system_sgpr_workgroup_info 0
		.amdhsa_system_vgpr_workitem_id 0
		.amdhsa_next_free_vgpr 1
		.amdhsa_next_free_sgpr 1
		.amdhsa_reserve_vcc 0
		.amdhsa_float_round_mode_32 0
		.amdhsa_float_round_mode_16_64 0
		.amdhsa_float_denorm_mode_32 3
		.amdhsa_float_denorm_mode_16_64 3
		.amdhsa_dx10_clamp 1
		.amdhsa_ieee_mode 1
		.amdhsa_fp16_overflow 0
		.amdhsa_workgroup_processor_mode 1
		.amdhsa_memory_ordered 1
		.amdhsa_forward_progress 0
		.amdhsa_shared_vgpr_count 0
		.amdhsa_exception_fp_ieee_invalid_op 0
		.amdhsa_exception_fp_denorm_src 0
		.amdhsa_exception_fp_ieee_div_zero 0
		.amdhsa_exception_fp_ieee_overflow 0
		.amdhsa_exception_fp_ieee_underflow 0
		.amdhsa_exception_fp_ieee_inexact 0
		.amdhsa_exception_int_div_zero 0
	.end_amdhsa_kernel
	.section	.text._ZN7rocprim17ROCPRIM_400000_NS6detail17trampoline_kernelINS0_14default_configENS1_36segmented_radix_sort_config_selectorIslEEZNS1_25segmented_radix_sort_implIS3_Lb0EPKsPsPKlPlN2at6native12_GLOBAL__N_18offset_tEEE10hipError_tPvRmT1_PNSt15iterator_traitsISK_E10value_typeET2_T3_PNSL_ISQ_E10value_typeET4_jRbjT5_SW_jjP12ihipStream_tbEUlT_E0_NS1_11comp_targetILNS1_3genE5ELNS1_11target_archE942ELNS1_3gpuE9ELNS1_3repE0EEENS1_60segmented_radix_sort_warp_sort_medium_config_static_selectorELNS0_4arch9wavefront6targetE0EEEvSK_,"axG",@progbits,_ZN7rocprim17ROCPRIM_400000_NS6detail17trampoline_kernelINS0_14default_configENS1_36segmented_radix_sort_config_selectorIslEEZNS1_25segmented_radix_sort_implIS3_Lb0EPKsPsPKlPlN2at6native12_GLOBAL__N_18offset_tEEE10hipError_tPvRmT1_PNSt15iterator_traitsISK_E10value_typeET2_T3_PNSL_ISQ_E10value_typeET4_jRbjT5_SW_jjP12ihipStream_tbEUlT_E0_NS1_11comp_targetILNS1_3genE5ELNS1_11target_archE942ELNS1_3gpuE9ELNS1_3repE0EEENS1_60segmented_radix_sort_warp_sort_medium_config_static_selectorELNS0_4arch9wavefront6targetE0EEEvSK_,comdat
.Lfunc_end1025:
	.size	_ZN7rocprim17ROCPRIM_400000_NS6detail17trampoline_kernelINS0_14default_configENS1_36segmented_radix_sort_config_selectorIslEEZNS1_25segmented_radix_sort_implIS3_Lb0EPKsPsPKlPlN2at6native12_GLOBAL__N_18offset_tEEE10hipError_tPvRmT1_PNSt15iterator_traitsISK_E10value_typeET2_T3_PNSL_ISQ_E10value_typeET4_jRbjT5_SW_jjP12ihipStream_tbEUlT_E0_NS1_11comp_targetILNS1_3genE5ELNS1_11target_archE942ELNS1_3gpuE9ELNS1_3repE0EEENS1_60segmented_radix_sort_warp_sort_medium_config_static_selectorELNS0_4arch9wavefront6targetE0EEEvSK_, .Lfunc_end1025-_ZN7rocprim17ROCPRIM_400000_NS6detail17trampoline_kernelINS0_14default_configENS1_36segmented_radix_sort_config_selectorIslEEZNS1_25segmented_radix_sort_implIS3_Lb0EPKsPsPKlPlN2at6native12_GLOBAL__N_18offset_tEEE10hipError_tPvRmT1_PNSt15iterator_traitsISK_E10value_typeET2_T3_PNSL_ISQ_E10value_typeET4_jRbjT5_SW_jjP12ihipStream_tbEUlT_E0_NS1_11comp_targetILNS1_3genE5ELNS1_11target_archE942ELNS1_3gpuE9ELNS1_3repE0EEENS1_60segmented_radix_sort_warp_sort_medium_config_static_selectorELNS0_4arch9wavefront6targetE0EEEvSK_
                                        ; -- End function
	.section	.AMDGPU.csdata,"",@progbits
; Kernel info:
; codeLenInByte = 0
; NumSgprs: 0
; NumVgprs: 0
; ScratchSize: 0
; MemoryBound: 0
; FloatMode: 240
; IeeeMode: 1
; LDSByteSize: 0 bytes/workgroup (compile time only)
; SGPRBlocks: 0
; VGPRBlocks: 0
; NumSGPRsForWavesPerEU: 1
; NumVGPRsForWavesPerEU: 1
; Occupancy: 16
; WaveLimiterHint : 0
; COMPUTE_PGM_RSRC2:SCRATCH_EN: 0
; COMPUTE_PGM_RSRC2:USER_SGPR: 15
; COMPUTE_PGM_RSRC2:TRAP_HANDLER: 0
; COMPUTE_PGM_RSRC2:TGID_X_EN: 1
; COMPUTE_PGM_RSRC2:TGID_Y_EN: 0
; COMPUTE_PGM_RSRC2:TGID_Z_EN: 0
; COMPUTE_PGM_RSRC2:TIDIG_COMP_CNT: 0
	.section	.text._ZN7rocprim17ROCPRIM_400000_NS6detail17trampoline_kernelINS0_14default_configENS1_36segmented_radix_sort_config_selectorIslEEZNS1_25segmented_radix_sort_implIS3_Lb0EPKsPsPKlPlN2at6native12_GLOBAL__N_18offset_tEEE10hipError_tPvRmT1_PNSt15iterator_traitsISK_E10value_typeET2_T3_PNSL_ISQ_E10value_typeET4_jRbjT5_SW_jjP12ihipStream_tbEUlT_E0_NS1_11comp_targetILNS1_3genE4ELNS1_11target_archE910ELNS1_3gpuE8ELNS1_3repE0EEENS1_60segmented_radix_sort_warp_sort_medium_config_static_selectorELNS0_4arch9wavefront6targetE0EEEvSK_,"axG",@progbits,_ZN7rocprim17ROCPRIM_400000_NS6detail17trampoline_kernelINS0_14default_configENS1_36segmented_radix_sort_config_selectorIslEEZNS1_25segmented_radix_sort_implIS3_Lb0EPKsPsPKlPlN2at6native12_GLOBAL__N_18offset_tEEE10hipError_tPvRmT1_PNSt15iterator_traitsISK_E10value_typeET2_T3_PNSL_ISQ_E10value_typeET4_jRbjT5_SW_jjP12ihipStream_tbEUlT_E0_NS1_11comp_targetILNS1_3genE4ELNS1_11target_archE910ELNS1_3gpuE8ELNS1_3repE0EEENS1_60segmented_radix_sort_warp_sort_medium_config_static_selectorELNS0_4arch9wavefront6targetE0EEEvSK_,comdat
	.globl	_ZN7rocprim17ROCPRIM_400000_NS6detail17trampoline_kernelINS0_14default_configENS1_36segmented_radix_sort_config_selectorIslEEZNS1_25segmented_radix_sort_implIS3_Lb0EPKsPsPKlPlN2at6native12_GLOBAL__N_18offset_tEEE10hipError_tPvRmT1_PNSt15iterator_traitsISK_E10value_typeET2_T3_PNSL_ISQ_E10value_typeET4_jRbjT5_SW_jjP12ihipStream_tbEUlT_E0_NS1_11comp_targetILNS1_3genE4ELNS1_11target_archE910ELNS1_3gpuE8ELNS1_3repE0EEENS1_60segmented_radix_sort_warp_sort_medium_config_static_selectorELNS0_4arch9wavefront6targetE0EEEvSK_ ; -- Begin function _ZN7rocprim17ROCPRIM_400000_NS6detail17trampoline_kernelINS0_14default_configENS1_36segmented_radix_sort_config_selectorIslEEZNS1_25segmented_radix_sort_implIS3_Lb0EPKsPsPKlPlN2at6native12_GLOBAL__N_18offset_tEEE10hipError_tPvRmT1_PNSt15iterator_traitsISK_E10value_typeET2_T3_PNSL_ISQ_E10value_typeET4_jRbjT5_SW_jjP12ihipStream_tbEUlT_E0_NS1_11comp_targetILNS1_3genE4ELNS1_11target_archE910ELNS1_3gpuE8ELNS1_3repE0EEENS1_60segmented_radix_sort_warp_sort_medium_config_static_selectorELNS0_4arch9wavefront6targetE0EEEvSK_
	.p2align	8
	.type	_ZN7rocprim17ROCPRIM_400000_NS6detail17trampoline_kernelINS0_14default_configENS1_36segmented_radix_sort_config_selectorIslEEZNS1_25segmented_radix_sort_implIS3_Lb0EPKsPsPKlPlN2at6native12_GLOBAL__N_18offset_tEEE10hipError_tPvRmT1_PNSt15iterator_traitsISK_E10value_typeET2_T3_PNSL_ISQ_E10value_typeET4_jRbjT5_SW_jjP12ihipStream_tbEUlT_E0_NS1_11comp_targetILNS1_3genE4ELNS1_11target_archE910ELNS1_3gpuE8ELNS1_3repE0EEENS1_60segmented_radix_sort_warp_sort_medium_config_static_selectorELNS0_4arch9wavefront6targetE0EEEvSK_,@function
_ZN7rocprim17ROCPRIM_400000_NS6detail17trampoline_kernelINS0_14default_configENS1_36segmented_radix_sort_config_selectorIslEEZNS1_25segmented_radix_sort_implIS3_Lb0EPKsPsPKlPlN2at6native12_GLOBAL__N_18offset_tEEE10hipError_tPvRmT1_PNSt15iterator_traitsISK_E10value_typeET2_T3_PNSL_ISQ_E10value_typeET4_jRbjT5_SW_jjP12ihipStream_tbEUlT_E0_NS1_11comp_targetILNS1_3genE4ELNS1_11target_archE910ELNS1_3gpuE8ELNS1_3repE0EEENS1_60segmented_radix_sort_warp_sort_medium_config_static_selectorELNS0_4arch9wavefront6targetE0EEEvSK_: ; @_ZN7rocprim17ROCPRIM_400000_NS6detail17trampoline_kernelINS0_14default_configENS1_36segmented_radix_sort_config_selectorIslEEZNS1_25segmented_radix_sort_implIS3_Lb0EPKsPsPKlPlN2at6native12_GLOBAL__N_18offset_tEEE10hipError_tPvRmT1_PNSt15iterator_traitsISK_E10value_typeET2_T3_PNSL_ISQ_E10value_typeET4_jRbjT5_SW_jjP12ihipStream_tbEUlT_E0_NS1_11comp_targetILNS1_3genE4ELNS1_11target_archE910ELNS1_3gpuE8ELNS1_3repE0EEENS1_60segmented_radix_sort_warp_sort_medium_config_static_selectorELNS0_4arch9wavefront6targetE0EEEvSK_
; %bb.0:
	.section	.rodata,"a",@progbits
	.p2align	6, 0x0
	.amdhsa_kernel _ZN7rocprim17ROCPRIM_400000_NS6detail17trampoline_kernelINS0_14default_configENS1_36segmented_radix_sort_config_selectorIslEEZNS1_25segmented_radix_sort_implIS3_Lb0EPKsPsPKlPlN2at6native12_GLOBAL__N_18offset_tEEE10hipError_tPvRmT1_PNSt15iterator_traitsISK_E10value_typeET2_T3_PNSL_ISQ_E10value_typeET4_jRbjT5_SW_jjP12ihipStream_tbEUlT_E0_NS1_11comp_targetILNS1_3genE4ELNS1_11target_archE910ELNS1_3gpuE8ELNS1_3repE0EEENS1_60segmented_radix_sort_warp_sort_medium_config_static_selectorELNS0_4arch9wavefront6targetE0EEEvSK_
		.amdhsa_group_segment_fixed_size 0
		.amdhsa_private_segment_fixed_size 0
		.amdhsa_kernarg_size 88
		.amdhsa_user_sgpr_count 15
		.amdhsa_user_sgpr_dispatch_ptr 0
		.amdhsa_user_sgpr_queue_ptr 0
		.amdhsa_user_sgpr_kernarg_segment_ptr 1
		.amdhsa_user_sgpr_dispatch_id 0
		.amdhsa_user_sgpr_private_segment_size 0
		.amdhsa_wavefront_size32 1
		.amdhsa_uses_dynamic_stack 0
		.amdhsa_enable_private_segment 0
		.amdhsa_system_sgpr_workgroup_id_x 1
		.amdhsa_system_sgpr_workgroup_id_y 0
		.amdhsa_system_sgpr_workgroup_id_z 0
		.amdhsa_system_sgpr_workgroup_info 0
		.amdhsa_system_vgpr_workitem_id 0
		.amdhsa_next_free_vgpr 1
		.amdhsa_next_free_sgpr 1
		.amdhsa_reserve_vcc 0
		.amdhsa_float_round_mode_32 0
		.amdhsa_float_round_mode_16_64 0
		.amdhsa_float_denorm_mode_32 3
		.amdhsa_float_denorm_mode_16_64 3
		.amdhsa_dx10_clamp 1
		.amdhsa_ieee_mode 1
		.amdhsa_fp16_overflow 0
		.amdhsa_workgroup_processor_mode 1
		.amdhsa_memory_ordered 1
		.amdhsa_forward_progress 0
		.amdhsa_shared_vgpr_count 0
		.amdhsa_exception_fp_ieee_invalid_op 0
		.amdhsa_exception_fp_denorm_src 0
		.amdhsa_exception_fp_ieee_div_zero 0
		.amdhsa_exception_fp_ieee_overflow 0
		.amdhsa_exception_fp_ieee_underflow 0
		.amdhsa_exception_fp_ieee_inexact 0
		.amdhsa_exception_int_div_zero 0
	.end_amdhsa_kernel
	.section	.text._ZN7rocprim17ROCPRIM_400000_NS6detail17trampoline_kernelINS0_14default_configENS1_36segmented_radix_sort_config_selectorIslEEZNS1_25segmented_radix_sort_implIS3_Lb0EPKsPsPKlPlN2at6native12_GLOBAL__N_18offset_tEEE10hipError_tPvRmT1_PNSt15iterator_traitsISK_E10value_typeET2_T3_PNSL_ISQ_E10value_typeET4_jRbjT5_SW_jjP12ihipStream_tbEUlT_E0_NS1_11comp_targetILNS1_3genE4ELNS1_11target_archE910ELNS1_3gpuE8ELNS1_3repE0EEENS1_60segmented_radix_sort_warp_sort_medium_config_static_selectorELNS0_4arch9wavefront6targetE0EEEvSK_,"axG",@progbits,_ZN7rocprim17ROCPRIM_400000_NS6detail17trampoline_kernelINS0_14default_configENS1_36segmented_radix_sort_config_selectorIslEEZNS1_25segmented_radix_sort_implIS3_Lb0EPKsPsPKlPlN2at6native12_GLOBAL__N_18offset_tEEE10hipError_tPvRmT1_PNSt15iterator_traitsISK_E10value_typeET2_T3_PNSL_ISQ_E10value_typeET4_jRbjT5_SW_jjP12ihipStream_tbEUlT_E0_NS1_11comp_targetILNS1_3genE4ELNS1_11target_archE910ELNS1_3gpuE8ELNS1_3repE0EEENS1_60segmented_radix_sort_warp_sort_medium_config_static_selectorELNS0_4arch9wavefront6targetE0EEEvSK_,comdat
.Lfunc_end1026:
	.size	_ZN7rocprim17ROCPRIM_400000_NS6detail17trampoline_kernelINS0_14default_configENS1_36segmented_radix_sort_config_selectorIslEEZNS1_25segmented_radix_sort_implIS3_Lb0EPKsPsPKlPlN2at6native12_GLOBAL__N_18offset_tEEE10hipError_tPvRmT1_PNSt15iterator_traitsISK_E10value_typeET2_T3_PNSL_ISQ_E10value_typeET4_jRbjT5_SW_jjP12ihipStream_tbEUlT_E0_NS1_11comp_targetILNS1_3genE4ELNS1_11target_archE910ELNS1_3gpuE8ELNS1_3repE0EEENS1_60segmented_radix_sort_warp_sort_medium_config_static_selectorELNS0_4arch9wavefront6targetE0EEEvSK_, .Lfunc_end1026-_ZN7rocprim17ROCPRIM_400000_NS6detail17trampoline_kernelINS0_14default_configENS1_36segmented_radix_sort_config_selectorIslEEZNS1_25segmented_radix_sort_implIS3_Lb0EPKsPsPKlPlN2at6native12_GLOBAL__N_18offset_tEEE10hipError_tPvRmT1_PNSt15iterator_traitsISK_E10value_typeET2_T3_PNSL_ISQ_E10value_typeET4_jRbjT5_SW_jjP12ihipStream_tbEUlT_E0_NS1_11comp_targetILNS1_3genE4ELNS1_11target_archE910ELNS1_3gpuE8ELNS1_3repE0EEENS1_60segmented_radix_sort_warp_sort_medium_config_static_selectorELNS0_4arch9wavefront6targetE0EEEvSK_
                                        ; -- End function
	.section	.AMDGPU.csdata,"",@progbits
; Kernel info:
; codeLenInByte = 0
; NumSgprs: 0
; NumVgprs: 0
; ScratchSize: 0
; MemoryBound: 0
; FloatMode: 240
; IeeeMode: 1
; LDSByteSize: 0 bytes/workgroup (compile time only)
; SGPRBlocks: 0
; VGPRBlocks: 0
; NumSGPRsForWavesPerEU: 1
; NumVGPRsForWavesPerEU: 1
; Occupancy: 16
; WaveLimiterHint : 0
; COMPUTE_PGM_RSRC2:SCRATCH_EN: 0
; COMPUTE_PGM_RSRC2:USER_SGPR: 15
; COMPUTE_PGM_RSRC2:TRAP_HANDLER: 0
; COMPUTE_PGM_RSRC2:TGID_X_EN: 1
; COMPUTE_PGM_RSRC2:TGID_Y_EN: 0
; COMPUTE_PGM_RSRC2:TGID_Z_EN: 0
; COMPUTE_PGM_RSRC2:TIDIG_COMP_CNT: 0
	.section	.text._ZN7rocprim17ROCPRIM_400000_NS6detail17trampoline_kernelINS0_14default_configENS1_36segmented_radix_sort_config_selectorIslEEZNS1_25segmented_radix_sort_implIS3_Lb0EPKsPsPKlPlN2at6native12_GLOBAL__N_18offset_tEEE10hipError_tPvRmT1_PNSt15iterator_traitsISK_E10value_typeET2_T3_PNSL_ISQ_E10value_typeET4_jRbjT5_SW_jjP12ihipStream_tbEUlT_E0_NS1_11comp_targetILNS1_3genE3ELNS1_11target_archE908ELNS1_3gpuE7ELNS1_3repE0EEENS1_60segmented_radix_sort_warp_sort_medium_config_static_selectorELNS0_4arch9wavefront6targetE0EEEvSK_,"axG",@progbits,_ZN7rocprim17ROCPRIM_400000_NS6detail17trampoline_kernelINS0_14default_configENS1_36segmented_radix_sort_config_selectorIslEEZNS1_25segmented_radix_sort_implIS3_Lb0EPKsPsPKlPlN2at6native12_GLOBAL__N_18offset_tEEE10hipError_tPvRmT1_PNSt15iterator_traitsISK_E10value_typeET2_T3_PNSL_ISQ_E10value_typeET4_jRbjT5_SW_jjP12ihipStream_tbEUlT_E0_NS1_11comp_targetILNS1_3genE3ELNS1_11target_archE908ELNS1_3gpuE7ELNS1_3repE0EEENS1_60segmented_radix_sort_warp_sort_medium_config_static_selectorELNS0_4arch9wavefront6targetE0EEEvSK_,comdat
	.globl	_ZN7rocprim17ROCPRIM_400000_NS6detail17trampoline_kernelINS0_14default_configENS1_36segmented_radix_sort_config_selectorIslEEZNS1_25segmented_radix_sort_implIS3_Lb0EPKsPsPKlPlN2at6native12_GLOBAL__N_18offset_tEEE10hipError_tPvRmT1_PNSt15iterator_traitsISK_E10value_typeET2_T3_PNSL_ISQ_E10value_typeET4_jRbjT5_SW_jjP12ihipStream_tbEUlT_E0_NS1_11comp_targetILNS1_3genE3ELNS1_11target_archE908ELNS1_3gpuE7ELNS1_3repE0EEENS1_60segmented_radix_sort_warp_sort_medium_config_static_selectorELNS0_4arch9wavefront6targetE0EEEvSK_ ; -- Begin function _ZN7rocprim17ROCPRIM_400000_NS6detail17trampoline_kernelINS0_14default_configENS1_36segmented_radix_sort_config_selectorIslEEZNS1_25segmented_radix_sort_implIS3_Lb0EPKsPsPKlPlN2at6native12_GLOBAL__N_18offset_tEEE10hipError_tPvRmT1_PNSt15iterator_traitsISK_E10value_typeET2_T3_PNSL_ISQ_E10value_typeET4_jRbjT5_SW_jjP12ihipStream_tbEUlT_E0_NS1_11comp_targetILNS1_3genE3ELNS1_11target_archE908ELNS1_3gpuE7ELNS1_3repE0EEENS1_60segmented_radix_sort_warp_sort_medium_config_static_selectorELNS0_4arch9wavefront6targetE0EEEvSK_
	.p2align	8
	.type	_ZN7rocprim17ROCPRIM_400000_NS6detail17trampoline_kernelINS0_14default_configENS1_36segmented_radix_sort_config_selectorIslEEZNS1_25segmented_radix_sort_implIS3_Lb0EPKsPsPKlPlN2at6native12_GLOBAL__N_18offset_tEEE10hipError_tPvRmT1_PNSt15iterator_traitsISK_E10value_typeET2_T3_PNSL_ISQ_E10value_typeET4_jRbjT5_SW_jjP12ihipStream_tbEUlT_E0_NS1_11comp_targetILNS1_3genE3ELNS1_11target_archE908ELNS1_3gpuE7ELNS1_3repE0EEENS1_60segmented_radix_sort_warp_sort_medium_config_static_selectorELNS0_4arch9wavefront6targetE0EEEvSK_,@function
_ZN7rocprim17ROCPRIM_400000_NS6detail17trampoline_kernelINS0_14default_configENS1_36segmented_radix_sort_config_selectorIslEEZNS1_25segmented_radix_sort_implIS3_Lb0EPKsPsPKlPlN2at6native12_GLOBAL__N_18offset_tEEE10hipError_tPvRmT1_PNSt15iterator_traitsISK_E10value_typeET2_T3_PNSL_ISQ_E10value_typeET4_jRbjT5_SW_jjP12ihipStream_tbEUlT_E0_NS1_11comp_targetILNS1_3genE3ELNS1_11target_archE908ELNS1_3gpuE7ELNS1_3repE0EEENS1_60segmented_radix_sort_warp_sort_medium_config_static_selectorELNS0_4arch9wavefront6targetE0EEEvSK_: ; @_ZN7rocprim17ROCPRIM_400000_NS6detail17trampoline_kernelINS0_14default_configENS1_36segmented_radix_sort_config_selectorIslEEZNS1_25segmented_radix_sort_implIS3_Lb0EPKsPsPKlPlN2at6native12_GLOBAL__N_18offset_tEEE10hipError_tPvRmT1_PNSt15iterator_traitsISK_E10value_typeET2_T3_PNSL_ISQ_E10value_typeET4_jRbjT5_SW_jjP12ihipStream_tbEUlT_E0_NS1_11comp_targetILNS1_3genE3ELNS1_11target_archE908ELNS1_3gpuE7ELNS1_3repE0EEENS1_60segmented_radix_sort_warp_sort_medium_config_static_selectorELNS0_4arch9wavefront6targetE0EEEvSK_
; %bb.0:
	.section	.rodata,"a",@progbits
	.p2align	6, 0x0
	.amdhsa_kernel _ZN7rocprim17ROCPRIM_400000_NS6detail17trampoline_kernelINS0_14default_configENS1_36segmented_radix_sort_config_selectorIslEEZNS1_25segmented_radix_sort_implIS3_Lb0EPKsPsPKlPlN2at6native12_GLOBAL__N_18offset_tEEE10hipError_tPvRmT1_PNSt15iterator_traitsISK_E10value_typeET2_T3_PNSL_ISQ_E10value_typeET4_jRbjT5_SW_jjP12ihipStream_tbEUlT_E0_NS1_11comp_targetILNS1_3genE3ELNS1_11target_archE908ELNS1_3gpuE7ELNS1_3repE0EEENS1_60segmented_radix_sort_warp_sort_medium_config_static_selectorELNS0_4arch9wavefront6targetE0EEEvSK_
		.amdhsa_group_segment_fixed_size 0
		.amdhsa_private_segment_fixed_size 0
		.amdhsa_kernarg_size 88
		.amdhsa_user_sgpr_count 15
		.amdhsa_user_sgpr_dispatch_ptr 0
		.amdhsa_user_sgpr_queue_ptr 0
		.amdhsa_user_sgpr_kernarg_segment_ptr 1
		.amdhsa_user_sgpr_dispatch_id 0
		.amdhsa_user_sgpr_private_segment_size 0
		.amdhsa_wavefront_size32 1
		.amdhsa_uses_dynamic_stack 0
		.amdhsa_enable_private_segment 0
		.amdhsa_system_sgpr_workgroup_id_x 1
		.amdhsa_system_sgpr_workgroup_id_y 0
		.amdhsa_system_sgpr_workgroup_id_z 0
		.amdhsa_system_sgpr_workgroup_info 0
		.amdhsa_system_vgpr_workitem_id 0
		.amdhsa_next_free_vgpr 1
		.amdhsa_next_free_sgpr 1
		.amdhsa_reserve_vcc 0
		.amdhsa_float_round_mode_32 0
		.amdhsa_float_round_mode_16_64 0
		.amdhsa_float_denorm_mode_32 3
		.amdhsa_float_denorm_mode_16_64 3
		.amdhsa_dx10_clamp 1
		.amdhsa_ieee_mode 1
		.amdhsa_fp16_overflow 0
		.amdhsa_workgroup_processor_mode 1
		.amdhsa_memory_ordered 1
		.amdhsa_forward_progress 0
		.amdhsa_shared_vgpr_count 0
		.amdhsa_exception_fp_ieee_invalid_op 0
		.amdhsa_exception_fp_denorm_src 0
		.amdhsa_exception_fp_ieee_div_zero 0
		.amdhsa_exception_fp_ieee_overflow 0
		.amdhsa_exception_fp_ieee_underflow 0
		.amdhsa_exception_fp_ieee_inexact 0
		.amdhsa_exception_int_div_zero 0
	.end_amdhsa_kernel
	.section	.text._ZN7rocprim17ROCPRIM_400000_NS6detail17trampoline_kernelINS0_14default_configENS1_36segmented_radix_sort_config_selectorIslEEZNS1_25segmented_radix_sort_implIS3_Lb0EPKsPsPKlPlN2at6native12_GLOBAL__N_18offset_tEEE10hipError_tPvRmT1_PNSt15iterator_traitsISK_E10value_typeET2_T3_PNSL_ISQ_E10value_typeET4_jRbjT5_SW_jjP12ihipStream_tbEUlT_E0_NS1_11comp_targetILNS1_3genE3ELNS1_11target_archE908ELNS1_3gpuE7ELNS1_3repE0EEENS1_60segmented_radix_sort_warp_sort_medium_config_static_selectorELNS0_4arch9wavefront6targetE0EEEvSK_,"axG",@progbits,_ZN7rocprim17ROCPRIM_400000_NS6detail17trampoline_kernelINS0_14default_configENS1_36segmented_radix_sort_config_selectorIslEEZNS1_25segmented_radix_sort_implIS3_Lb0EPKsPsPKlPlN2at6native12_GLOBAL__N_18offset_tEEE10hipError_tPvRmT1_PNSt15iterator_traitsISK_E10value_typeET2_T3_PNSL_ISQ_E10value_typeET4_jRbjT5_SW_jjP12ihipStream_tbEUlT_E0_NS1_11comp_targetILNS1_3genE3ELNS1_11target_archE908ELNS1_3gpuE7ELNS1_3repE0EEENS1_60segmented_radix_sort_warp_sort_medium_config_static_selectorELNS0_4arch9wavefront6targetE0EEEvSK_,comdat
.Lfunc_end1027:
	.size	_ZN7rocprim17ROCPRIM_400000_NS6detail17trampoline_kernelINS0_14default_configENS1_36segmented_radix_sort_config_selectorIslEEZNS1_25segmented_radix_sort_implIS3_Lb0EPKsPsPKlPlN2at6native12_GLOBAL__N_18offset_tEEE10hipError_tPvRmT1_PNSt15iterator_traitsISK_E10value_typeET2_T3_PNSL_ISQ_E10value_typeET4_jRbjT5_SW_jjP12ihipStream_tbEUlT_E0_NS1_11comp_targetILNS1_3genE3ELNS1_11target_archE908ELNS1_3gpuE7ELNS1_3repE0EEENS1_60segmented_radix_sort_warp_sort_medium_config_static_selectorELNS0_4arch9wavefront6targetE0EEEvSK_, .Lfunc_end1027-_ZN7rocprim17ROCPRIM_400000_NS6detail17trampoline_kernelINS0_14default_configENS1_36segmented_radix_sort_config_selectorIslEEZNS1_25segmented_radix_sort_implIS3_Lb0EPKsPsPKlPlN2at6native12_GLOBAL__N_18offset_tEEE10hipError_tPvRmT1_PNSt15iterator_traitsISK_E10value_typeET2_T3_PNSL_ISQ_E10value_typeET4_jRbjT5_SW_jjP12ihipStream_tbEUlT_E0_NS1_11comp_targetILNS1_3genE3ELNS1_11target_archE908ELNS1_3gpuE7ELNS1_3repE0EEENS1_60segmented_radix_sort_warp_sort_medium_config_static_selectorELNS0_4arch9wavefront6targetE0EEEvSK_
                                        ; -- End function
	.section	.AMDGPU.csdata,"",@progbits
; Kernel info:
; codeLenInByte = 0
; NumSgprs: 0
; NumVgprs: 0
; ScratchSize: 0
; MemoryBound: 0
; FloatMode: 240
; IeeeMode: 1
; LDSByteSize: 0 bytes/workgroup (compile time only)
; SGPRBlocks: 0
; VGPRBlocks: 0
; NumSGPRsForWavesPerEU: 1
; NumVGPRsForWavesPerEU: 1
; Occupancy: 16
; WaveLimiterHint : 0
; COMPUTE_PGM_RSRC2:SCRATCH_EN: 0
; COMPUTE_PGM_RSRC2:USER_SGPR: 15
; COMPUTE_PGM_RSRC2:TRAP_HANDLER: 0
; COMPUTE_PGM_RSRC2:TGID_X_EN: 1
; COMPUTE_PGM_RSRC2:TGID_Y_EN: 0
; COMPUTE_PGM_RSRC2:TGID_Z_EN: 0
; COMPUTE_PGM_RSRC2:TIDIG_COMP_CNT: 0
	.section	.text._ZN7rocprim17ROCPRIM_400000_NS6detail17trampoline_kernelINS0_14default_configENS1_36segmented_radix_sort_config_selectorIslEEZNS1_25segmented_radix_sort_implIS3_Lb0EPKsPsPKlPlN2at6native12_GLOBAL__N_18offset_tEEE10hipError_tPvRmT1_PNSt15iterator_traitsISK_E10value_typeET2_T3_PNSL_ISQ_E10value_typeET4_jRbjT5_SW_jjP12ihipStream_tbEUlT_E0_NS1_11comp_targetILNS1_3genE2ELNS1_11target_archE906ELNS1_3gpuE6ELNS1_3repE0EEENS1_60segmented_radix_sort_warp_sort_medium_config_static_selectorELNS0_4arch9wavefront6targetE0EEEvSK_,"axG",@progbits,_ZN7rocprim17ROCPRIM_400000_NS6detail17trampoline_kernelINS0_14default_configENS1_36segmented_radix_sort_config_selectorIslEEZNS1_25segmented_radix_sort_implIS3_Lb0EPKsPsPKlPlN2at6native12_GLOBAL__N_18offset_tEEE10hipError_tPvRmT1_PNSt15iterator_traitsISK_E10value_typeET2_T3_PNSL_ISQ_E10value_typeET4_jRbjT5_SW_jjP12ihipStream_tbEUlT_E0_NS1_11comp_targetILNS1_3genE2ELNS1_11target_archE906ELNS1_3gpuE6ELNS1_3repE0EEENS1_60segmented_radix_sort_warp_sort_medium_config_static_selectorELNS0_4arch9wavefront6targetE0EEEvSK_,comdat
	.globl	_ZN7rocprim17ROCPRIM_400000_NS6detail17trampoline_kernelINS0_14default_configENS1_36segmented_radix_sort_config_selectorIslEEZNS1_25segmented_radix_sort_implIS3_Lb0EPKsPsPKlPlN2at6native12_GLOBAL__N_18offset_tEEE10hipError_tPvRmT1_PNSt15iterator_traitsISK_E10value_typeET2_T3_PNSL_ISQ_E10value_typeET4_jRbjT5_SW_jjP12ihipStream_tbEUlT_E0_NS1_11comp_targetILNS1_3genE2ELNS1_11target_archE906ELNS1_3gpuE6ELNS1_3repE0EEENS1_60segmented_radix_sort_warp_sort_medium_config_static_selectorELNS0_4arch9wavefront6targetE0EEEvSK_ ; -- Begin function _ZN7rocprim17ROCPRIM_400000_NS6detail17trampoline_kernelINS0_14default_configENS1_36segmented_radix_sort_config_selectorIslEEZNS1_25segmented_radix_sort_implIS3_Lb0EPKsPsPKlPlN2at6native12_GLOBAL__N_18offset_tEEE10hipError_tPvRmT1_PNSt15iterator_traitsISK_E10value_typeET2_T3_PNSL_ISQ_E10value_typeET4_jRbjT5_SW_jjP12ihipStream_tbEUlT_E0_NS1_11comp_targetILNS1_3genE2ELNS1_11target_archE906ELNS1_3gpuE6ELNS1_3repE0EEENS1_60segmented_radix_sort_warp_sort_medium_config_static_selectorELNS0_4arch9wavefront6targetE0EEEvSK_
	.p2align	8
	.type	_ZN7rocprim17ROCPRIM_400000_NS6detail17trampoline_kernelINS0_14default_configENS1_36segmented_radix_sort_config_selectorIslEEZNS1_25segmented_radix_sort_implIS3_Lb0EPKsPsPKlPlN2at6native12_GLOBAL__N_18offset_tEEE10hipError_tPvRmT1_PNSt15iterator_traitsISK_E10value_typeET2_T3_PNSL_ISQ_E10value_typeET4_jRbjT5_SW_jjP12ihipStream_tbEUlT_E0_NS1_11comp_targetILNS1_3genE2ELNS1_11target_archE906ELNS1_3gpuE6ELNS1_3repE0EEENS1_60segmented_radix_sort_warp_sort_medium_config_static_selectorELNS0_4arch9wavefront6targetE0EEEvSK_,@function
_ZN7rocprim17ROCPRIM_400000_NS6detail17trampoline_kernelINS0_14default_configENS1_36segmented_radix_sort_config_selectorIslEEZNS1_25segmented_radix_sort_implIS3_Lb0EPKsPsPKlPlN2at6native12_GLOBAL__N_18offset_tEEE10hipError_tPvRmT1_PNSt15iterator_traitsISK_E10value_typeET2_T3_PNSL_ISQ_E10value_typeET4_jRbjT5_SW_jjP12ihipStream_tbEUlT_E0_NS1_11comp_targetILNS1_3genE2ELNS1_11target_archE906ELNS1_3gpuE6ELNS1_3repE0EEENS1_60segmented_radix_sort_warp_sort_medium_config_static_selectorELNS0_4arch9wavefront6targetE0EEEvSK_: ; @_ZN7rocprim17ROCPRIM_400000_NS6detail17trampoline_kernelINS0_14default_configENS1_36segmented_radix_sort_config_selectorIslEEZNS1_25segmented_radix_sort_implIS3_Lb0EPKsPsPKlPlN2at6native12_GLOBAL__N_18offset_tEEE10hipError_tPvRmT1_PNSt15iterator_traitsISK_E10value_typeET2_T3_PNSL_ISQ_E10value_typeET4_jRbjT5_SW_jjP12ihipStream_tbEUlT_E0_NS1_11comp_targetILNS1_3genE2ELNS1_11target_archE906ELNS1_3gpuE6ELNS1_3repE0EEENS1_60segmented_radix_sort_warp_sort_medium_config_static_selectorELNS0_4arch9wavefront6targetE0EEEvSK_
; %bb.0:
	.section	.rodata,"a",@progbits
	.p2align	6, 0x0
	.amdhsa_kernel _ZN7rocprim17ROCPRIM_400000_NS6detail17trampoline_kernelINS0_14default_configENS1_36segmented_radix_sort_config_selectorIslEEZNS1_25segmented_radix_sort_implIS3_Lb0EPKsPsPKlPlN2at6native12_GLOBAL__N_18offset_tEEE10hipError_tPvRmT1_PNSt15iterator_traitsISK_E10value_typeET2_T3_PNSL_ISQ_E10value_typeET4_jRbjT5_SW_jjP12ihipStream_tbEUlT_E0_NS1_11comp_targetILNS1_3genE2ELNS1_11target_archE906ELNS1_3gpuE6ELNS1_3repE0EEENS1_60segmented_radix_sort_warp_sort_medium_config_static_selectorELNS0_4arch9wavefront6targetE0EEEvSK_
		.amdhsa_group_segment_fixed_size 0
		.amdhsa_private_segment_fixed_size 0
		.amdhsa_kernarg_size 88
		.amdhsa_user_sgpr_count 15
		.amdhsa_user_sgpr_dispatch_ptr 0
		.amdhsa_user_sgpr_queue_ptr 0
		.amdhsa_user_sgpr_kernarg_segment_ptr 1
		.amdhsa_user_sgpr_dispatch_id 0
		.amdhsa_user_sgpr_private_segment_size 0
		.amdhsa_wavefront_size32 1
		.amdhsa_uses_dynamic_stack 0
		.amdhsa_enable_private_segment 0
		.amdhsa_system_sgpr_workgroup_id_x 1
		.amdhsa_system_sgpr_workgroup_id_y 0
		.amdhsa_system_sgpr_workgroup_id_z 0
		.amdhsa_system_sgpr_workgroup_info 0
		.amdhsa_system_vgpr_workitem_id 0
		.amdhsa_next_free_vgpr 1
		.amdhsa_next_free_sgpr 1
		.amdhsa_reserve_vcc 0
		.amdhsa_float_round_mode_32 0
		.amdhsa_float_round_mode_16_64 0
		.amdhsa_float_denorm_mode_32 3
		.amdhsa_float_denorm_mode_16_64 3
		.amdhsa_dx10_clamp 1
		.amdhsa_ieee_mode 1
		.amdhsa_fp16_overflow 0
		.amdhsa_workgroup_processor_mode 1
		.amdhsa_memory_ordered 1
		.amdhsa_forward_progress 0
		.amdhsa_shared_vgpr_count 0
		.amdhsa_exception_fp_ieee_invalid_op 0
		.amdhsa_exception_fp_denorm_src 0
		.amdhsa_exception_fp_ieee_div_zero 0
		.amdhsa_exception_fp_ieee_overflow 0
		.amdhsa_exception_fp_ieee_underflow 0
		.amdhsa_exception_fp_ieee_inexact 0
		.amdhsa_exception_int_div_zero 0
	.end_amdhsa_kernel
	.section	.text._ZN7rocprim17ROCPRIM_400000_NS6detail17trampoline_kernelINS0_14default_configENS1_36segmented_radix_sort_config_selectorIslEEZNS1_25segmented_radix_sort_implIS3_Lb0EPKsPsPKlPlN2at6native12_GLOBAL__N_18offset_tEEE10hipError_tPvRmT1_PNSt15iterator_traitsISK_E10value_typeET2_T3_PNSL_ISQ_E10value_typeET4_jRbjT5_SW_jjP12ihipStream_tbEUlT_E0_NS1_11comp_targetILNS1_3genE2ELNS1_11target_archE906ELNS1_3gpuE6ELNS1_3repE0EEENS1_60segmented_radix_sort_warp_sort_medium_config_static_selectorELNS0_4arch9wavefront6targetE0EEEvSK_,"axG",@progbits,_ZN7rocprim17ROCPRIM_400000_NS6detail17trampoline_kernelINS0_14default_configENS1_36segmented_radix_sort_config_selectorIslEEZNS1_25segmented_radix_sort_implIS3_Lb0EPKsPsPKlPlN2at6native12_GLOBAL__N_18offset_tEEE10hipError_tPvRmT1_PNSt15iterator_traitsISK_E10value_typeET2_T3_PNSL_ISQ_E10value_typeET4_jRbjT5_SW_jjP12ihipStream_tbEUlT_E0_NS1_11comp_targetILNS1_3genE2ELNS1_11target_archE906ELNS1_3gpuE6ELNS1_3repE0EEENS1_60segmented_radix_sort_warp_sort_medium_config_static_selectorELNS0_4arch9wavefront6targetE0EEEvSK_,comdat
.Lfunc_end1028:
	.size	_ZN7rocprim17ROCPRIM_400000_NS6detail17trampoline_kernelINS0_14default_configENS1_36segmented_radix_sort_config_selectorIslEEZNS1_25segmented_radix_sort_implIS3_Lb0EPKsPsPKlPlN2at6native12_GLOBAL__N_18offset_tEEE10hipError_tPvRmT1_PNSt15iterator_traitsISK_E10value_typeET2_T3_PNSL_ISQ_E10value_typeET4_jRbjT5_SW_jjP12ihipStream_tbEUlT_E0_NS1_11comp_targetILNS1_3genE2ELNS1_11target_archE906ELNS1_3gpuE6ELNS1_3repE0EEENS1_60segmented_radix_sort_warp_sort_medium_config_static_selectorELNS0_4arch9wavefront6targetE0EEEvSK_, .Lfunc_end1028-_ZN7rocprim17ROCPRIM_400000_NS6detail17trampoline_kernelINS0_14default_configENS1_36segmented_radix_sort_config_selectorIslEEZNS1_25segmented_radix_sort_implIS3_Lb0EPKsPsPKlPlN2at6native12_GLOBAL__N_18offset_tEEE10hipError_tPvRmT1_PNSt15iterator_traitsISK_E10value_typeET2_T3_PNSL_ISQ_E10value_typeET4_jRbjT5_SW_jjP12ihipStream_tbEUlT_E0_NS1_11comp_targetILNS1_3genE2ELNS1_11target_archE906ELNS1_3gpuE6ELNS1_3repE0EEENS1_60segmented_radix_sort_warp_sort_medium_config_static_selectorELNS0_4arch9wavefront6targetE0EEEvSK_
                                        ; -- End function
	.section	.AMDGPU.csdata,"",@progbits
; Kernel info:
; codeLenInByte = 0
; NumSgprs: 0
; NumVgprs: 0
; ScratchSize: 0
; MemoryBound: 0
; FloatMode: 240
; IeeeMode: 1
; LDSByteSize: 0 bytes/workgroup (compile time only)
; SGPRBlocks: 0
; VGPRBlocks: 0
; NumSGPRsForWavesPerEU: 1
; NumVGPRsForWavesPerEU: 1
; Occupancy: 16
; WaveLimiterHint : 0
; COMPUTE_PGM_RSRC2:SCRATCH_EN: 0
; COMPUTE_PGM_RSRC2:USER_SGPR: 15
; COMPUTE_PGM_RSRC2:TRAP_HANDLER: 0
; COMPUTE_PGM_RSRC2:TGID_X_EN: 1
; COMPUTE_PGM_RSRC2:TGID_Y_EN: 0
; COMPUTE_PGM_RSRC2:TGID_Z_EN: 0
; COMPUTE_PGM_RSRC2:TIDIG_COMP_CNT: 0
	.section	.text._ZN7rocprim17ROCPRIM_400000_NS6detail17trampoline_kernelINS0_14default_configENS1_36segmented_radix_sort_config_selectorIslEEZNS1_25segmented_radix_sort_implIS3_Lb0EPKsPsPKlPlN2at6native12_GLOBAL__N_18offset_tEEE10hipError_tPvRmT1_PNSt15iterator_traitsISK_E10value_typeET2_T3_PNSL_ISQ_E10value_typeET4_jRbjT5_SW_jjP12ihipStream_tbEUlT_E0_NS1_11comp_targetILNS1_3genE10ELNS1_11target_archE1201ELNS1_3gpuE5ELNS1_3repE0EEENS1_60segmented_radix_sort_warp_sort_medium_config_static_selectorELNS0_4arch9wavefront6targetE0EEEvSK_,"axG",@progbits,_ZN7rocprim17ROCPRIM_400000_NS6detail17trampoline_kernelINS0_14default_configENS1_36segmented_radix_sort_config_selectorIslEEZNS1_25segmented_radix_sort_implIS3_Lb0EPKsPsPKlPlN2at6native12_GLOBAL__N_18offset_tEEE10hipError_tPvRmT1_PNSt15iterator_traitsISK_E10value_typeET2_T3_PNSL_ISQ_E10value_typeET4_jRbjT5_SW_jjP12ihipStream_tbEUlT_E0_NS1_11comp_targetILNS1_3genE10ELNS1_11target_archE1201ELNS1_3gpuE5ELNS1_3repE0EEENS1_60segmented_radix_sort_warp_sort_medium_config_static_selectorELNS0_4arch9wavefront6targetE0EEEvSK_,comdat
	.globl	_ZN7rocprim17ROCPRIM_400000_NS6detail17trampoline_kernelINS0_14default_configENS1_36segmented_radix_sort_config_selectorIslEEZNS1_25segmented_radix_sort_implIS3_Lb0EPKsPsPKlPlN2at6native12_GLOBAL__N_18offset_tEEE10hipError_tPvRmT1_PNSt15iterator_traitsISK_E10value_typeET2_T3_PNSL_ISQ_E10value_typeET4_jRbjT5_SW_jjP12ihipStream_tbEUlT_E0_NS1_11comp_targetILNS1_3genE10ELNS1_11target_archE1201ELNS1_3gpuE5ELNS1_3repE0EEENS1_60segmented_radix_sort_warp_sort_medium_config_static_selectorELNS0_4arch9wavefront6targetE0EEEvSK_ ; -- Begin function _ZN7rocprim17ROCPRIM_400000_NS6detail17trampoline_kernelINS0_14default_configENS1_36segmented_radix_sort_config_selectorIslEEZNS1_25segmented_radix_sort_implIS3_Lb0EPKsPsPKlPlN2at6native12_GLOBAL__N_18offset_tEEE10hipError_tPvRmT1_PNSt15iterator_traitsISK_E10value_typeET2_T3_PNSL_ISQ_E10value_typeET4_jRbjT5_SW_jjP12ihipStream_tbEUlT_E0_NS1_11comp_targetILNS1_3genE10ELNS1_11target_archE1201ELNS1_3gpuE5ELNS1_3repE0EEENS1_60segmented_radix_sort_warp_sort_medium_config_static_selectorELNS0_4arch9wavefront6targetE0EEEvSK_
	.p2align	8
	.type	_ZN7rocprim17ROCPRIM_400000_NS6detail17trampoline_kernelINS0_14default_configENS1_36segmented_radix_sort_config_selectorIslEEZNS1_25segmented_radix_sort_implIS3_Lb0EPKsPsPKlPlN2at6native12_GLOBAL__N_18offset_tEEE10hipError_tPvRmT1_PNSt15iterator_traitsISK_E10value_typeET2_T3_PNSL_ISQ_E10value_typeET4_jRbjT5_SW_jjP12ihipStream_tbEUlT_E0_NS1_11comp_targetILNS1_3genE10ELNS1_11target_archE1201ELNS1_3gpuE5ELNS1_3repE0EEENS1_60segmented_radix_sort_warp_sort_medium_config_static_selectorELNS0_4arch9wavefront6targetE0EEEvSK_,@function
_ZN7rocprim17ROCPRIM_400000_NS6detail17trampoline_kernelINS0_14default_configENS1_36segmented_radix_sort_config_selectorIslEEZNS1_25segmented_radix_sort_implIS3_Lb0EPKsPsPKlPlN2at6native12_GLOBAL__N_18offset_tEEE10hipError_tPvRmT1_PNSt15iterator_traitsISK_E10value_typeET2_T3_PNSL_ISQ_E10value_typeET4_jRbjT5_SW_jjP12ihipStream_tbEUlT_E0_NS1_11comp_targetILNS1_3genE10ELNS1_11target_archE1201ELNS1_3gpuE5ELNS1_3repE0EEENS1_60segmented_radix_sort_warp_sort_medium_config_static_selectorELNS0_4arch9wavefront6targetE0EEEvSK_: ; @_ZN7rocprim17ROCPRIM_400000_NS6detail17trampoline_kernelINS0_14default_configENS1_36segmented_radix_sort_config_selectorIslEEZNS1_25segmented_radix_sort_implIS3_Lb0EPKsPsPKlPlN2at6native12_GLOBAL__N_18offset_tEEE10hipError_tPvRmT1_PNSt15iterator_traitsISK_E10value_typeET2_T3_PNSL_ISQ_E10value_typeET4_jRbjT5_SW_jjP12ihipStream_tbEUlT_E0_NS1_11comp_targetILNS1_3genE10ELNS1_11target_archE1201ELNS1_3gpuE5ELNS1_3repE0EEENS1_60segmented_radix_sort_warp_sort_medium_config_static_selectorELNS0_4arch9wavefront6targetE0EEEvSK_
; %bb.0:
	.section	.rodata,"a",@progbits
	.p2align	6, 0x0
	.amdhsa_kernel _ZN7rocprim17ROCPRIM_400000_NS6detail17trampoline_kernelINS0_14default_configENS1_36segmented_radix_sort_config_selectorIslEEZNS1_25segmented_radix_sort_implIS3_Lb0EPKsPsPKlPlN2at6native12_GLOBAL__N_18offset_tEEE10hipError_tPvRmT1_PNSt15iterator_traitsISK_E10value_typeET2_T3_PNSL_ISQ_E10value_typeET4_jRbjT5_SW_jjP12ihipStream_tbEUlT_E0_NS1_11comp_targetILNS1_3genE10ELNS1_11target_archE1201ELNS1_3gpuE5ELNS1_3repE0EEENS1_60segmented_radix_sort_warp_sort_medium_config_static_selectorELNS0_4arch9wavefront6targetE0EEEvSK_
		.amdhsa_group_segment_fixed_size 0
		.amdhsa_private_segment_fixed_size 0
		.amdhsa_kernarg_size 88
		.amdhsa_user_sgpr_count 15
		.amdhsa_user_sgpr_dispatch_ptr 0
		.amdhsa_user_sgpr_queue_ptr 0
		.amdhsa_user_sgpr_kernarg_segment_ptr 1
		.amdhsa_user_sgpr_dispatch_id 0
		.amdhsa_user_sgpr_private_segment_size 0
		.amdhsa_wavefront_size32 1
		.amdhsa_uses_dynamic_stack 0
		.amdhsa_enable_private_segment 0
		.amdhsa_system_sgpr_workgroup_id_x 1
		.amdhsa_system_sgpr_workgroup_id_y 0
		.amdhsa_system_sgpr_workgroup_id_z 0
		.amdhsa_system_sgpr_workgroup_info 0
		.amdhsa_system_vgpr_workitem_id 0
		.amdhsa_next_free_vgpr 1
		.amdhsa_next_free_sgpr 1
		.amdhsa_reserve_vcc 0
		.amdhsa_float_round_mode_32 0
		.amdhsa_float_round_mode_16_64 0
		.amdhsa_float_denorm_mode_32 3
		.amdhsa_float_denorm_mode_16_64 3
		.amdhsa_dx10_clamp 1
		.amdhsa_ieee_mode 1
		.amdhsa_fp16_overflow 0
		.amdhsa_workgroup_processor_mode 1
		.amdhsa_memory_ordered 1
		.amdhsa_forward_progress 0
		.amdhsa_shared_vgpr_count 0
		.amdhsa_exception_fp_ieee_invalid_op 0
		.amdhsa_exception_fp_denorm_src 0
		.amdhsa_exception_fp_ieee_div_zero 0
		.amdhsa_exception_fp_ieee_overflow 0
		.amdhsa_exception_fp_ieee_underflow 0
		.amdhsa_exception_fp_ieee_inexact 0
		.amdhsa_exception_int_div_zero 0
	.end_amdhsa_kernel
	.section	.text._ZN7rocprim17ROCPRIM_400000_NS6detail17trampoline_kernelINS0_14default_configENS1_36segmented_radix_sort_config_selectorIslEEZNS1_25segmented_radix_sort_implIS3_Lb0EPKsPsPKlPlN2at6native12_GLOBAL__N_18offset_tEEE10hipError_tPvRmT1_PNSt15iterator_traitsISK_E10value_typeET2_T3_PNSL_ISQ_E10value_typeET4_jRbjT5_SW_jjP12ihipStream_tbEUlT_E0_NS1_11comp_targetILNS1_3genE10ELNS1_11target_archE1201ELNS1_3gpuE5ELNS1_3repE0EEENS1_60segmented_radix_sort_warp_sort_medium_config_static_selectorELNS0_4arch9wavefront6targetE0EEEvSK_,"axG",@progbits,_ZN7rocprim17ROCPRIM_400000_NS6detail17trampoline_kernelINS0_14default_configENS1_36segmented_radix_sort_config_selectorIslEEZNS1_25segmented_radix_sort_implIS3_Lb0EPKsPsPKlPlN2at6native12_GLOBAL__N_18offset_tEEE10hipError_tPvRmT1_PNSt15iterator_traitsISK_E10value_typeET2_T3_PNSL_ISQ_E10value_typeET4_jRbjT5_SW_jjP12ihipStream_tbEUlT_E0_NS1_11comp_targetILNS1_3genE10ELNS1_11target_archE1201ELNS1_3gpuE5ELNS1_3repE0EEENS1_60segmented_radix_sort_warp_sort_medium_config_static_selectorELNS0_4arch9wavefront6targetE0EEEvSK_,comdat
.Lfunc_end1029:
	.size	_ZN7rocprim17ROCPRIM_400000_NS6detail17trampoline_kernelINS0_14default_configENS1_36segmented_radix_sort_config_selectorIslEEZNS1_25segmented_radix_sort_implIS3_Lb0EPKsPsPKlPlN2at6native12_GLOBAL__N_18offset_tEEE10hipError_tPvRmT1_PNSt15iterator_traitsISK_E10value_typeET2_T3_PNSL_ISQ_E10value_typeET4_jRbjT5_SW_jjP12ihipStream_tbEUlT_E0_NS1_11comp_targetILNS1_3genE10ELNS1_11target_archE1201ELNS1_3gpuE5ELNS1_3repE0EEENS1_60segmented_radix_sort_warp_sort_medium_config_static_selectorELNS0_4arch9wavefront6targetE0EEEvSK_, .Lfunc_end1029-_ZN7rocprim17ROCPRIM_400000_NS6detail17trampoline_kernelINS0_14default_configENS1_36segmented_radix_sort_config_selectorIslEEZNS1_25segmented_radix_sort_implIS3_Lb0EPKsPsPKlPlN2at6native12_GLOBAL__N_18offset_tEEE10hipError_tPvRmT1_PNSt15iterator_traitsISK_E10value_typeET2_T3_PNSL_ISQ_E10value_typeET4_jRbjT5_SW_jjP12ihipStream_tbEUlT_E0_NS1_11comp_targetILNS1_3genE10ELNS1_11target_archE1201ELNS1_3gpuE5ELNS1_3repE0EEENS1_60segmented_radix_sort_warp_sort_medium_config_static_selectorELNS0_4arch9wavefront6targetE0EEEvSK_
                                        ; -- End function
	.section	.AMDGPU.csdata,"",@progbits
; Kernel info:
; codeLenInByte = 0
; NumSgprs: 0
; NumVgprs: 0
; ScratchSize: 0
; MemoryBound: 0
; FloatMode: 240
; IeeeMode: 1
; LDSByteSize: 0 bytes/workgroup (compile time only)
; SGPRBlocks: 0
; VGPRBlocks: 0
; NumSGPRsForWavesPerEU: 1
; NumVGPRsForWavesPerEU: 1
; Occupancy: 16
; WaveLimiterHint : 0
; COMPUTE_PGM_RSRC2:SCRATCH_EN: 0
; COMPUTE_PGM_RSRC2:USER_SGPR: 15
; COMPUTE_PGM_RSRC2:TRAP_HANDLER: 0
; COMPUTE_PGM_RSRC2:TGID_X_EN: 1
; COMPUTE_PGM_RSRC2:TGID_Y_EN: 0
; COMPUTE_PGM_RSRC2:TGID_Z_EN: 0
; COMPUTE_PGM_RSRC2:TIDIG_COMP_CNT: 0
	.section	.text._ZN7rocprim17ROCPRIM_400000_NS6detail17trampoline_kernelINS0_14default_configENS1_36segmented_radix_sort_config_selectorIslEEZNS1_25segmented_radix_sort_implIS3_Lb0EPKsPsPKlPlN2at6native12_GLOBAL__N_18offset_tEEE10hipError_tPvRmT1_PNSt15iterator_traitsISK_E10value_typeET2_T3_PNSL_ISQ_E10value_typeET4_jRbjT5_SW_jjP12ihipStream_tbEUlT_E0_NS1_11comp_targetILNS1_3genE10ELNS1_11target_archE1200ELNS1_3gpuE4ELNS1_3repE0EEENS1_60segmented_radix_sort_warp_sort_medium_config_static_selectorELNS0_4arch9wavefront6targetE0EEEvSK_,"axG",@progbits,_ZN7rocprim17ROCPRIM_400000_NS6detail17trampoline_kernelINS0_14default_configENS1_36segmented_radix_sort_config_selectorIslEEZNS1_25segmented_radix_sort_implIS3_Lb0EPKsPsPKlPlN2at6native12_GLOBAL__N_18offset_tEEE10hipError_tPvRmT1_PNSt15iterator_traitsISK_E10value_typeET2_T3_PNSL_ISQ_E10value_typeET4_jRbjT5_SW_jjP12ihipStream_tbEUlT_E0_NS1_11comp_targetILNS1_3genE10ELNS1_11target_archE1200ELNS1_3gpuE4ELNS1_3repE0EEENS1_60segmented_radix_sort_warp_sort_medium_config_static_selectorELNS0_4arch9wavefront6targetE0EEEvSK_,comdat
	.globl	_ZN7rocprim17ROCPRIM_400000_NS6detail17trampoline_kernelINS0_14default_configENS1_36segmented_radix_sort_config_selectorIslEEZNS1_25segmented_radix_sort_implIS3_Lb0EPKsPsPKlPlN2at6native12_GLOBAL__N_18offset_tEEE10hipError_tPvRmT1_PNSt15iterator_traitsISK_E10value_typeET2_T3_PNSL_ISQ_E10value_typeET4_jRbjT5_SW_jjP12ihipStream_tbEUlT_E0_NS1_11comp_targetILNS1_3genE10ELNS1_11target_archE1200ELNS1_3gpuE4ELNS1_3repE0EEENS1_60segmented_radix_sort_warp_sort_medium_config_static_selectorELNS0_4arch9wavefront6targetE0EEEvSK_ ; -- Begin function _ZN7rocprim17ROCPRIM_400000_NS6detail17trampoline_kernelINS0_14default_configENS1_36segmented_radix_sort_config_selectorIslEEZNS1_25segmented_radix_sort_implIS3_Lb0EPKsPsPKlPlN2at6native12_GLOBAL__N_18offset_tEEE10hipError_tPvRmT1_PNSt15iterator_traitsISK_E10value_typeET2_T3_PNSL_ISQ_E10value_typeET4_jRbjT5_SW_jjP12ihipStream_tbEUlT_E0_NS1_11comp_targetILNS1_3genE10ELNS1_11target_archE1200ELNS1_3gpuE4ELNS1_3repE0EEENS1_60segmented_radix_sort_warp_sort_medium_config_static_selectorELNS0_4arch9wavefront6targetE0EEEvSK_
	.p2align	8
	.type	_ZN7rocprim17ROCPRIM_400000_NS6detail17trampoline_kernelINS0_14default_configENS1_36segmented_radix_sort_config_selectorIslEEZNS1_25segmented_radix_sort_implIS3_Lb0EPKsPsPKlPlN2at6native12_GLOBAL__N_18offset_tEEE10hipError_tPvRmT1_PNSt15iterator_traitsISK_E10value_typeET2_T3_PNSL_ISQ_E10value_typeET4_jRbjT5_SW_jjP12ihipStream_tbEUlT_E0_NS1_11comp_targetILNS1_3genE10ELNS1_11target_archE1200ELNS1_3gpuE4ELNS1_3repE0EEENS1_60segmented_radix_sort_warp_sort_medium_config_static_selectorELNS0_4arch9wavefront6targetE0EEEvSK_,@function
_ZN7rocprim17ROCPRIM_400000_NS6detail17trampoline_kernelINS0_14default_configENS1_36segmented_radix_sort_config_selectorIslEEZNS1_25segmented_radix_sort_implIS3_Lb0EPKsPsPKlPlN2at6native12_GLOBAL__N_18offset_tEEE10hipError_tPvRmT1_PNSt15iterator_traitsISK_E10value_typeET2_T3_PNSL_ISQ_E10value_typeET4_jRbjT5_SW_jjP12ihipStream_tbEUlT_E0_NS1_11comp_targetILNS1_3genE10ELNS1_11target_archE1200ELNS1_3gpuE4ELNS1_3repE0EEENS1_60segmented_radix_sort_warp_sort_medium_config_static_selectorELNS0_4arch9wavefront6targetE0EEEvSK_: ; @_ZN7rocprim17ROCPRIM_400000_NS6detail17trampoline_kernelINS0_14default_configENS1_36segmented_radix_sort_config_selectorIslEEZNS1_25segmented_radix_sort_implIS3_Lb0EPKsPsPKlPlN2at6native12_GLOBAL__N_18offset_tEEE10hipError_tPvRmT1_PNSt15iterator_traitsISK_E10value_typeET2_T3_PNSL_ISQ_E10value_typeET4_jRbjT5_SW_jjP12ihipStream_tbEUlT_E0_NS1_11comp_targetILNS1_3genE10ELNS1_11target_archE1200ELNS1_3gpuE4ELNS1_3repE0EEENS1_60segmented_radix_sort_warp_sort_medium_config_static_selectorELNS0_4arch9wavefront6targetE0EEEvSK_
; %bb.0:
	.section	.rodata,"a",@progbits
	.p2align	6, 0x0
	.amdhsa_kernel _ZN7rocprim17ROCPRIM_400000_NS6detail17trampoline_kernelINS0_14default_configENS1_36segmented_radix_sort_config_selectorIslEEZNS1_25segmented_radix_sort_implIS3_Lb0EPKsPsPKlPlN2at6native12_GLOBAL__N_18offset_tEEE10hipError_tPvRmT1_PNSt15iterator_traitsISK_E10value_typeET2_T3_PNSL_ISQ_E10value_typeET4_jRbjT5_SW_jjP12ihipStream_tbEUlT_E0_NS1_11comp_targetILNS1_3genE10ELNS1_11target_archE1200ELNS1_3gpuE4ELNS1_3repE0EEENS1_60segmented_radix_sort_warp_sort_medium_config_static_selectorELNS0_4arch9wavefront6targetE0EEEvSK_
		.amdhsa_group_segment_fixed_size 0
		.amdhsa_private_segment_fixed_size 0
		.amdhsa_kernarg_size 88
		.amdhsa_user_sgpr_count 15
		.amdhsa_user_sgpr_dispatch_ptr 0
		.amdhsa_user_sgpr_queue_ptr 0
		.amdhsa_user_sgpr_kernarg_segment_ptr 1
		.amdhsa_user_sgpr_dispatch_id 0
		.amdhsa_user_sgpr_private_segment_size 0
		.amdhsa_wavefront_size32 1
		.amdhsa_uses_dynamic_stack 0
		.amdhsa_enable_private_segment 0
		.amdhsa_system_sgpr_workgroup_id_x 1
		.amdhsa_system_sgpr_workgroup_id_y 0
		.amdhsa_system_sgpr_workgroup_id_z 0
		.amdhsa_system_sgpr_workgroup_info 0
		.amdhsa_system_vgpr_workitem_id 0
		.amdhsa_next_free_vgpr 1
		.amdhsa_next_free_sgpr 1
		.amdhsa_reserve_vcc 0
		.amdhsa_float_round_mode_32 0
		.amdhsa_float_round_mode_16_64 0
		.amdhsa_float_denorm_mode_32 3
		.amdhsa_float_denorm_mode_16_64 3
		.amdhsa_dx10_clamp 1
		.amdhsa_ieee_mode 1
		.amdhsa_fp16_overflow 0
		.amdhsa_workgroup_processor_mode 1
		.amdhsa_memory_ordered 1
		.amdhsa_forward_progress 0
		.amdhsa_shared_vgpr_count 0
		.amdhsa_exception_fp_ieee_invalid_op 0
		.amdhsa_exception_fp_denorm_src 0
		.amdhsa_exception_fp_ieee_div_zero 0
		.amdhsa_exception_fp_ieee_overflow 0
		.amdhsa_exception_fp_ieee_underflow 0
		.amdhsa_exception_fp_ieee_inexact 0
		.amdhsa_exception_int_div_zero 0
	.end_amdhsa_kernel
	.section	.text._ZN7rocprim17ROCPRIM_400000_NS6detail17trampoline_kernelINS0_14default_configENS1_36segmented_radix_sort_config_selectorIslEEZNS1_25segmented_radix_sort_implIS3_Lb0EPKsPsPKlPlN2at6native12_GLOBAL__N_18offset_tEEE10hipError_tPvRmT1_PNSt15iterator_traitsISK_E10value_typeET2_T3_PNSL_ISQ_E10value_typeET4_jRbjT5_SW_jjP12ihipStream_tbEUlT_E0_NS1_11comp_targetILNS1_3genE10ELNS1_11target_archE1200ELNS1_3gpuE4ELNS1_3repE0EEENS1_60segmented_radix_sort_warp_sort_medium_config_static_selectorELNS0_4arch9wavefront6targetE0EEEvSK_,"axG",@progbits,_ZN7rocprim17ROCPRIM_400000_NS6detail17trampoline_kernelINS0_14default_configENS1_36segmented_radix_sort_config_selectorIslEEZNS1_25segmented_radix_sort_implIS3_Lb0EPKsPsPKlPlN2at6native12_GLOBAL__N_18offset_tEEE10hipError_tPvRmT1_PNSt15iterator_traitsISK_E10value_typeET2_T3_PNSL_ISQ_E10value_typeET4_jRbjT5_SW_jjP12ihipStream_tbEUlT_E0_NS1_11comp_targetILNS1_3genE10ELNS1_11target_archE1200ELNS1_3gpuE4ELNS1_3repE0EEENS1_60segmented_radix_sort_warp_sort_medium_config_static_selectorELNS0_4arch9wavefront6targetE0EEEvSK_,comdat
.Lfunc_end1030:
	.size	_ZN7rocprim17ROCPRIM_400000_NS6detail17trampoline_kernelINS0_14default_configENS1_36segmented_radix_sort_config_selectorIslEEZNS1_25segmented_radix_sort_implIS3_Lb0EPKsPsPKlPlN2at6native12_GLOBAL__N_18offset_tEEE10hipError_tPvRmT1_PNSt15iterator_traitsISK_E10value_typeET2_T3_PNSL_ISQ_E10value_typeET4_jRbjT5_SW_jjP12ihipStream_tbEUlT_E0_NS1_11comp_targetILNS1_3genE10ELNS1_11target_archE1200ELNS1_3gpuE4ELNS1_3repE0EEENS1_60segmented_radix_sort_warp_sort_medium_config_static_selectorELNS0_4arch9wavefront6targetE0EEEvSK_, .Lfunc_end1030-_ZN7rocprim17ROCPRIM_400000_NS6detail17trampoline_kernelINS0_14default_configENS1_36segmented_radix_sort_config_selectorIslEEZNS1_25segmented_radix_sort_implIS3_Lb0EPKsPsPKlPlN2at6native12_GLOBAL__N_18offset_tEEE10hipError_tPvRmT1_PNSt15iterator_traitsISK_E10value_typeET2_T3_PNSL_ISQ_E10value_typeET4_jRbjT5_SW_jjP12ihipStream_tbEUlT_E0_NS1_11comp_targetILNS1_3genE10ELNS1_11target_archE1200ELNS1_3gpuE4ELNS1_3repE0EEENS1_60segmented_radix_sort_warp_sort_medium_config_static_selectorELNS0_4arch9wavefront6targetE0EEEvSK_
                                        ; -- End function
	.section	.AMDGPU.csdata,"",@progbits
; Kernel info:
; codeLenInByte = 0
; NumSgprs: 0
; NumVgprs: 0
; ScratchSize: 0
; MemoryBound: 0
; FloatMode: 240
; IeeeMode: 1
; LDSByteSize: 0 bytes/workgroup (compile time only)
; SGPRBlocks: 0
; VGPRBlocks: 0
; NumSGPRsForWavesPerEU: 1
; NumVGPRsForWavesPerEU: 1
; Occupancy: 16
; WaveLimiterHint : 0
; COMPUTE_PGM_RSRC2:SCRATCH_EN: 0
; COMPUTE_PGM_RSRC2:USER_SGPR: 15
; COMPUTE_PGM_RSRC2:TRAP_HANDLER: 0
; COMPUTE_PGM_RSRC2:TGID_X_EN: 1
; COMPUTE_PGM_RSRC2:TGID_Y_EN: 0
; COMPUTE_PGM_RSRC2:TGID_Z_EN: 0
; COMPUTE_PGM_RSRC2:TIDIG_COMP_CNT: 0
	.text
	.p2align	2                               ; -- Begin function _ZN7rocprim17ROCPRIM_400000_NS6detail26segmented_warp_sort_helperINS1_20WarpSortHelperConfigILj16ELj8ELj256EEEslLi256ELb0EvE4sortIPKsPsPKlPlEEvT_T0_T1_T2_jjjjRNS5_12storage_typeE
	.type	_ZN7rocprim17ROCPRIM_400000_NS6detail26segmented_warp_sort_helperINS1_20WarpSortHelperConfigILj16ELj8ELj256EEEslLi256ELb0EvE4sortIPKsPsPKlPlEEvT_T0_T1_T2_jjjjRNS5_12storage_typeE,@function
_ZN7rocprim17ROCPRIM_400000_NS6detail26segmented_warp_sort_helperINS1_20WarpSortHelperConfigILj16ELj8ELj256EEEslLi256ELb0EvE4sortIPKsPsPKlPlEEvT_T0_T1_T2_jjjjRNS5_12storage_typeE: ; @_ZN7rocprim17ROCPRIM_400000_NS6detail26segmented_warp_sort_helperINS1_20WarpSortHelperConfigILj16ELj8ELj256EEEslLi256ELb0EvE4sortIPKsPsPKlPlEEvT_T0_T1_T2_jjjjRNS5_12storage_typeE
; %bb.0:
	s_waitcnt vmcnt(0) expcnt(0) lgkmcnt(0)
	v_mov_b32_e32 v12, v9
	v_mbcnt_lo_u32_b32 v9, -1, 0
	s_mov_b32 s0, 0x7fff7fff
	s_delay_alu instid0(SALU_CYCLE_1) | instskip(SKIP_1) | instid1(VALU_DEP_1)
	s_mov_b32 s1, s0
	s_mov_b32 s2, s0
	v_lshlrev_b32_e32 v53, 3, v9
	v_mov_b32_e32 v9, 0
	s_mov_b32 s3, s0
	v_sub_nc_u32_e32 v12, v12, v8
	s_delay_alu instid0(VALU_DEP_3) | instskip(NEXT) | instid1(VALU_DEP_3)
	v_dual_mov_b32 v35, s3 :: v_dual_and_b32 v52, 0x78, v53
	v_lshlrev_b64 v[28:29], 1, v[8:9]
	v_dual_mov_b32 v34, s2 :: v_dual_mov_b32 v33, s1
	v_mov_b32_e32 v32, s0
	s_delay_alu instid0(VALU_DEP_4) | instskip(NEXT) | instid1(VALU_DEP_4)
	v_lshlrev_b32_e32 v50, 1, v52
	v_add_co_u32 v0, vcc_lo, v0, v28
	v_add_co_ci_u32_e32 v1, vcc_lo, v1, v29, vcc_lo
	s_delay_alu instid0(VALU_DEP_2) | instskip(NEXT) | instid1(VALU_DEP_2)
	v_add_co_u32 v0, vcc_lo, v0, v50
	v_add_co_ci_u32_e32 v1, vcc_lo, 0, v1, vcc_lo
	v_cmp_lt_u32_e32 vcc_lo, v52, v12
	s_and_saveexec_b32 s0, vcc_lo
	s_cbranch_execz .LBB1031_2
; %bb.1:
	v_mov_b32_e32 v33, 0x7fff7fff
	s_delay_alu instid0(VALU_DEP_1)
	v_dual_mov_b32 v32, 0x7fff0000 :: v_dual_mov_b32 v35, v33
	flat_load_d16_b16 v32, v[0:1]
	v_mov_b32_e32 v34, v33
.LBB1031_2:
	s_or_b32 exec_lo, exec_lo, s0
	v_or_b32_e32 v13, 1, v52
	s_delay_alu instid0(VALU_DEP_1) | instskip(NEXT) | instid1(VALU_DEP_1)
	v_cmp_lt_u32_e64 s0, v13, v12
	s_and_saveexec_b32 s1, s0
	s_cbranch_execz .LBB1031_4
; %bb.3:
	s_waitcnt vmcnt(0) lgkmcnt(0)
	flat_load_d16_hi_b16 v32, v[0:1] offset:2
.LBB1031_4:
	s_or_b32 exec_lo, exec_lo, s1
	v_or_b32_e32 v13, 2, v52
	s_delay_alu instid0(VALU_DEP_1) | instskip(NEXT) | instid1(VALU_DEP_1)
	v_cmp_lt_u32_e64 s1, v13, v12
	s_and_saveexec_b32 s2, s1
	s_cbranch_execz .LBB1031_6
; %bb.5:
	flat_load_d16_b16 v33, v[0:1] offset:4
.LBB1031_6:
	s_or_b32 exec_lo, exec_lo, s2
	v_or_b32_e32 v13, 3, v52
	s_delay_alu instid0(VALU_DEP_1) | instskip(NEXT) | instid1(VALU_DEP_1)
	v_cmp_lt_u32_e64 s2, v13, v12
	s_and_saveexec_b32 s3, s2
	s_cbranch_execz .LBB1031_8
; %bb.7:
	s_waitcnt vmcnt(0) lgkmcnt(0)
	flat_load_d16_hi_b16 v33, v[0:1] offset:6
.LBB1031_8:
	s_or_b32 exec_lo, exec_lo, s3
	v_or_b32_e32 v13, 4, v52
	s_delay_alu instid0(VALU_DEP_1) | instskip(NEXT) | instid1(VALU_DEP_1)
	v_cmp_lt_u32_e64 s3, v13, v12
	s_and_saveexec_b32 s4, s3
	s_cbranch_execz .LBB1031_10
; %bb.9:
	flat_load_d16_b16 v34, v[0:1] offset:8
.LBB1031_10:
	;; [unrolled: 19-line block ×3, first 2 shown]
	s_or_b32 exec_lo, exec_lo, s6
	v_or_b32_e32 v13, 7, v52
	s_delay_alu instid0(VALU_DEP_1) | instskip(NEXT) | instid1(VALU_DEP_1)
	v_cmp_lt_u32_e64 s6, v13, v12
	s_and_saveexec_b32 s7, s6
	s_cbranch_execz .LBB1031_16
; %bb.15:
	s_waitcnt vmcnt(0) lgkmcnt(0)
	flat_load_d16_hi_b16 v35, v[0:1] offset:14
.LBB1031_16:
	s_or_b32 exec_lo, exec_lo, s7
	v_lshlrev_b64 v[0:1], 3, v[8:9]
	v_lshlrev_b32_e32 v51, 3, v52
	; wave barrier
	s_delay_alu instid0(VALU_DEP_2) | instskip(NEXT) | instid1(VALU_DEP_1)
	v_add_co_u32 v4, s7, v4, v0
	v_add_co_ci_u32_e64 v5, s7, v5, v1, s7
	s_delay_alu instid0(VALU_DEP_2) | instskip(NEXT) | instid1(VALU_DEP_1)
	v_add_co_u32 v8, s7, v4, v51
	v_add_co_ci_u32_e64 v9, s7, 0, v5, s7
                                        ; implicit-def: $vgpr4_vgpr5
	s_and_saveexec_b32 s7, vcc_lo
	s_cbranch_execnz .LBB1031_235
; %bb.17:
	s_or_b32 exec_lo, exec_lo, s7
	s_and_saveexec_b32 s7, s0
                                        ; implicit-def: $vgpr20_vgpr21_vgpr22_vgpr23
	s_cbranch_execnz .LBB1031_236
.LBB1031_18:
	s_or_b32 exec_lo, exec_lo, s7
                                        ; implicit-def: $vgpr36_vgpr37
	s_and_saveexec_b32 s7, s1
	s_cbranch_execnz .LBB1031_237
.LBB1031_19:
	s_or_b32 exec_lo, exec_lo, s7
	s_and_saveexec_b32 s7, s2
                                        ; implicit-def: $vgpr24_vgpr25_vgpr26_vgpr27
	s_cbranch_execnz .LBB1031_238
.LBB1031_20:
	s_or_b32 exec_lo, exec_lo, s7
                                        ; implicit-def: $vgpr48_vgpr49
	s_and_saveexec_b32 s7, s3
	s_cbranch_execnz .LBB1031_239
.LBB1031_21:
	s_or_b32 exec_lo, exec_lo, s7
	s_and_saveexec_b32 s7, s4
                                        ; implicit-def: $vgpr18_vgpr19_vgpr20_vgpr21
	s_cbranch_execnz .LBB1031_240
.LBB1031_22:
	s_or_b32 exec_lo, exec_lo, s7
                                        ; implicit-def: $vgpr38_vgpr39
	s_and_saveexec_b32 s7, s5
	s_cbranch_execnz .LBB1031_241
.LBB1031_23:
	s_or_b32 exec_lo, exec_lo, s7
	s_and_saveexec_b32 s7, s6
                                        ; implicit-def: $vgpr12_vgpr13_vgpr14_vgpr15
	s_cbranch_execz .LBB1031_25
.LBB1031_24:
	flat_load_b64 v[14:15], v[8:9] offset:56
.LBB1031_25:
	s_or_b32 exec_lo, exec_lo, s7
	v_cmp_ne_u32_e64 s7, 0, v10
	v_cmp_ne_u32_e64 s10, 16, v11
	v_bfe_u32 v9, v31, 10, 10
	v_bfe_u32 v12, v31, 20, 10
	v_and_b32_e32 v8, 0x3ff, v31
	s_delay_alu instid0(VALU_DEP_4) | instskip(NEXT) | instid1(SALU_CYCLE_1)
	s_or_b32 s7, s7, s10
	; wave barrier
                                        ; implicit-def: $vgpr16_vgpr17_vgpr18_vgpr19
	s_and_saveexec_b32 s10, s7
	s_delay_alu instid0(SALU_CYCLE_1)
	s_xor_b32 s21, exec_lo, s10
	s_cbranch_execz .LBB1031_121
; %bb.26:
	s_load_b64 s[10:11], s[8:9], 0x0
	v_mov_b32_e32 v13, 0
	v_lshlrev_b32_e64 v11, v11, -1
	v_lshlrev_b32_e64 v10, v10, -1
	s_delay_alu instid0(VALU_DEP_1) | instskip(SKIP_3) | instid1(SALU_CYCLE_1)
	v_xor_b32_e32 v54, v11, v10
	s_waitcnt lgkmcnt(0)
	s_cmp_lt_u32 s13, s11
	s_cselect_b32 s7, 14, 20
	s_add_u32 s14, s8, s7
	s_addc_u32 s15, s9, 0
	s_cmp_lt_u32 s12, s10
	global_load_u16 v16, v13, s[14:15]
	s_cselect_b32 s7, 12, 18
	s_delay_alu instid0(SALU_CYCLE_1)
	s_add_u32 s10, s8, s7
	s_addc_u32 s11, s9, 0
	s_waitcnt vmcnt(0)
	v_mad_u32_u24 v9, v12, v16, v9
	v_mov_b32_e32 v16, v32
	global_load_u16 v13, v13, s[10:11]
	v_dual_mov_b32 v17, v33 :: v_dual_mov_b32 v18, v34
	v_mov_b32_e32 v19, v35
	s_mov_b32 s11, exec_lo
	s_waitcnt vmcnt(0)
	v_mul_lo_u32 v9, v9, v13
	s_delay_alu instid0(VALU_DEP_1) | instskip(NEXT) | instid1(VALU_DEP_1)
	v_add_lshl_u32 v55, v9, v8, 3
	v_cmpx_gt_u32_e32 0x800, v55
	s_cbranch_execz .LBB1031_80
; %bb.27:
	v_lshrrev_b32_e32 v64, 16, v32
	v_dual_mov_b32 v31, v23 :: v_dual_and_b32 v12, v32, v54
	v_dual_mov_b32 v8, v32 :: v_dual_mov_b32 v9, v33
	s_delay_alu instid0(VALU_DEP_3) | instskip(SKIP_3) | instid1(VALU_DEP_3)
	v_dual_mov_b32 v30, v22 :: v_dual_and_b32 v13, v64, v54
	v_dual_mov_b32 v10, v34 :: v_dual_mov_b32 v11, v35
	v_mov_b32_e32 v65, v32
	s_mov_b32 s10, exec_lo
	v_cmpx_gt_i16_e64 v12, v13
; %bb.28:
	v_mov_b32_e32 v31, v5
	v_dual_mov_b32 v11, v35 :: v_dual_mov_b32 v30, v4
	v_mov_b32_e32 v4, v22
	v_alignbit_b32 v8, v32, v32, 16
	v_dual_mov_b32 v9, v33 :: v_dual_mov_b32 v10, v34
	v_mov_b32_e32 v5, v23
	v_mov_b32_e32 v65, v64
	;; [unrolled: 1-line block ×3, first 2 shown]
; %bb.29:
	s_or_b32 exec_lo, exec_lo, s10
	v_lshrrev_b32_e32 v12, 16, v9
	v_dual_mov_b32 v25, v11 :: v_dual_mov_b32 v24, v10
	v_and_b32_e32 v13, v9, v54
	v_dual_mov_b32 v23, v9 :: v_dual_mov_b32 v22, v8
	s_delay_alu instid0(VALU_DEP_4) | instskip(SKIP_3) | instid1(VALU_DEP_3)
	v_dual_mov_b32 v33, v27 :: v_dual_and_b32 v16, v12, v54
	v_mov_b32_e32 v32, v26
	v_mov_b32_e32 v66, v12
	s_mov_b32 s10, exec_lo
	v_cmpx_gt_i16_e64 v13, v16
; %bb.30:
	v_mov_b32_e32 v32, v36
	v_dual_mov_b32 v24, v10 :: v_dual_mov_b32 v33, v37
	v_mov_b32_e32 v37, v27
	v_alignbit_b32 v23, v9, v9, 16
	v_dual_mov_b32 v22, v8 :: v_dual_mov_b32 v25, v11
	v_mov_b32_e32 v36, v26
	v_dual_mov_b32 v66, v9 :: v_dual_mov_b32 v9, v12
; %bb.31:
	s_or_b32 exec_lo, exec_lo, s10
	v_lshrrev_b32_e32 v8, 16, v24
	v_mov_b32_e32 v26, v48
	v_dual_mov_b32 v27, v49 :: v_dual_and_b32 v16, v24, v54
	s_mov_b32 s10, exec_lo
	s_delay_alu instid0(VALU_DEP_3) | instskip(SKIP_3) | instid1(VALU_DEP_4)
	v_dual_mov_b32 v10, v22 :: v_dual_and_b32 v17, v8, v54
	v_dual_mov_b32 v11, v23 :: v_dual_mov_b32 v12, v24
	v_mov_b32_e32 v13, v25
	v_mov_b32_e32 v67, v8
	v_cmpx_gt_i16_e64 v16, v17
; %bb.32:
	v_mov_b32_e32 v27, v21
	v_dual_mov_b32 v13, v25 :: v_dual_mov_b32 v26, v20
	v_mov_b32_e32 v20, v48
	v_alignbit_b32 v12, v24, v24, 16
	v_dual_mov_b32 v10, v22 :: v_dual_mov_b32 v11, v23
	v_mov_b32_e32 v21, v49
	v_mov_b32_e32 v67, v24
	;; [unrolled: 1-line block ×3, first 2 shown]
; %bb.33:
	s_or_b32 exec_lo, exec_lo, s10
	v_lshrrev_b32_e32 v8, 16, v13
	v_dual_mov_b32 v22, v38 :: v_dual_and_b32 v25, v13, v54
	v_dual_mov_b32 v19, v13 :: v_dual_mov_b32 v18, v12
	s_delay_alu instid0(VALU_DEP_3) | instskip(SKIP_3) | instid1(VALU_DEP_3)
	v_dual_mov_b32 v23, v39 :: v_dual_and_b32 v34, v8, v54
	v_dual_mov_b32 v17, v11 :: v_dual_mov_b32 v16, v10
	v_mov_b32_e32 v48, v8
	s_mov_b32 s10, exec_lo
	v_cmpx_gt_i16_e64 v25, v34
; %bb.34:
	v_dual_mov_b32 v18, v12 :: v_dual_mov_b32 v23, v15
	v_mov_b32_e32 v22, v14
	v_mov_b32_e32 v14, v38
	v_alignbit_b32 v19, v13, v13, 16
	v_dual_mov_b32 v16, v10 :: v_dual_mov_b32 v17, v11
	v_dual_mov_b32 v15, v39 :: v_dual_mov_b32 v48, v13
	v_mov_b32_e32 v13, v8
; %bb.35:
	s_or_b32 exec_lo, exec_lo, s10
	v_and_b32_e32 v8, v9, v54
	v_and_b32_e32 v12, v64, v54
	v_dual_mov_b32 v10, v36 :: v_dual_mov_b32 v11, v37
	v_mov_b32_e32 v38, v9
	s_delay_alu instid0(VALU_DEP_3) | instskip(NEXT) | instid1(VALU_DEP_1)
	v_cmp_gt_i16_e64 s7, v12, v8
	s_and_saveexec_b32 s10, s7
	s_delay_alu instid0(SALU_CYCLE_1)
	s_xor_b32 s7, exec_lo, s10
; %bb.36:
	v_perm_b32 v16, v9, v16, 0x5040100
	v_bfi_b32 v17, 0xffff, v64, v17
	v_dual_mov_b32 v10, v30 :: v_dual_mov_b32 v11, v31
	v_dual_mov_b32 v30, v36 :: v_dual_mov_b32 v31, v37
	v_mov_b32_e32 v38, v64
	v_mov_b32_e32 v64, v9
; %bb.37:
	s_or_b32 exec_lo, exec_lo, s7
	v_dual_mov_b32 v35, v33 :: v_dual_and_b32 v8, v24, v54
	v_dual_mov_b32 v34, v32 :: v_dual_and_b32 v9, v66, v54
	v_mov_b32_e32 v36, v24
	s_mov_b32 s10, exec_lo
	s_delay_alu instid0(VALU_DEP_2)
	v_cmpx_gt_i16_e64 v9, v8
; %bb.38:
	v_perm_b32 v17, v24, v17, 0x5040100
	v_bfi_b32 v18, 0xffff, v66, v18
	v_dual_mov_b32 v35, v27 :: v_dual_mov_b32 v34, v26
	v_dual_mov_b32 v26, v32 :: v_dual_mov_b32 v27, v33
	v_mov_b32_e32 v36, v66
	v_mov_b32_e32 v66, v24
; %bb.39:
	s_or_b32 exec_lo, exec_lo, s10
	v_dual_mov_b32 v8, v20 :: v_dual_mov_b32 v37, v13
	v_and_b32_e32 v12, v13, v54
	v_dual_mov_b32 v9, v21 :: v_dual_and_b32 v24, v67, v54
	s_mov_b32 s10, exec_lo
	s_delay_alu instid0(VALU_DEP_1)
	v_cmpx_gt_i16_e64 v24, v12
; %bb.40:
	v_perm_b32 v18, v13, v18, 0x5040100
	v_bfi_b32 v19, 0xffff, v67, v19
	v_dual_mov_b32 v8, v22 :: v_dual_mov_b32 v9, v23
	v_dual_mov_b32 v23, v21 :: v_dual_mov_b32 v22, v20
	v_mov_b32_e32 v37, v67
	v_mov_b32_e32 v67, v13
; %bb.41:
	s_or_b32 exec_lo, exec_lo, s10
	v_dual_mov_b32 v12, v30 :: v_dual_and_b32 v21, v65, v54
	v_dual_mov_b32 v13, v31 :: v_dual_and_b32 v20, v64, v54
	v_mov_b32_e32 v32, v65
	s_mov_b32 s10, exec_lo
	s_delay_alu instid0(VALU_DEP_2)
	v_cmpx_gt_i16_e64 v21, v20
; %bb.42:
	v_perm_b32 v16, v65, v64, 0x5040100
	v_dual_mov_b32 v13, v5 :: v_dual_mov_b32 v12, v4
	v_dual_mov_b32 v4, v30 :: v_dual_mov_b32 v5, v31
	v_mov_b32_e32 v32, v64
	v_mov_b32_e32 v64, v65
; %bb.43:
	s_or_b32 exec_lo, exec_lo, s10
	v_mov_b32_e32 v30, v34
	v_dual_mov_b32 v31, v35 :: v_dual_and_b32 v20, v66, v54
	v_and_b32_e32 v21, v38, v54
	v_mov_b32_e32 v39, v66
	s_mov_b32 s10, exec_lo
	s_delay_alu instid0(VALU_DEP_2)
	v_cmpx_gt_i16_e64 v21, v20
; %bb.44:
	v_perm_b32 v17, v38, v66, 0x5040100
	v_dual_mov_b32 v31, v11 :: v_dual_mov_b32 v30, v10
	v_dual_mov_b32 v10, v34 :: v_dual_mov_b32 v11, v35
	v_mov_b32_e32 v39, v38
	v_mov_b32_e32 v38, v66
; %bb.45:
	s_or_b32 exec_lo, exec_lo, s10
	v_dual_mov_b32 v20, v26 :: v_dual_and_b32 v25, v36, v54
	v_and_b32_e32 v24, v67, v54
	v_mov_b32_e32 v21, v27
	v_mov_b32_e32 v35, v67
	s_mov_b32 s10, exec_lo
	s_delay_alu instid0(VALU_DEP_3)
	v_cmpx_gt_i16_e64 v25, v24
; %bb.46:
	v_perm_b32 v18, v36, v67, 0x5040100
	v_dual_mov_b32 v21, v9 :: v_dual_mov_b32 v20, v8
	v_dual_mov_b32 v8, v26 :: v_dual_mov_b32 v9, v27
	;; [unrolled: 1-line block ×3, first 2 shown]
; %bb.47:
	s_or_b32 exec_lo, exec_lo, s10
	v_dual_mov_b32 v25, v23 :: v_dual_and_b32 v26, v48, v54
	v_dual_mov_b32 v24, v22 :: v_dual_and_b32 v27, v37, v54
	v_mov_b32_e32 v33, v48
	s_mov_b32 s10, exec_lo
	s_delay_alu instid0(VALU_DEP_2)
	v_cmpx_gt_i16_e64 v27, v26
; %bb.48:
	v_perm_b32 v19, v37, v48, 0x5040100
	v_dual_mov_b32 v25, v15 :: v_dual_mov_b32 v24, v14
	v_dual_mov_b32 v14, v22 :: v_dual_mov_b32 v15, v23
	v_mov_b32_e32 v33, v37
	v_mov_b32_e32 v37, v48
; %bb.49:
	s_or_b32 exec_lo, exec_lo, s10
	v_dual_mov_b32 v23, v11 :: v_dual_and_b32 v26, v38, v54
	v_dual_mov_b32 v22, v10 :: v_dual_and_b32 v27, v64, v54
	v_mov_b32_e32 v48, v38
	s_mov_b32 s10, exec_lo
	s_delay_alu instid0(VALU_DEP_2)
	v_cmpx_gt_i16_e64 v27, v26
; %bb.50:
	v_perm_b32 v16, v38, v16, 0x5040100
	v_bfi_b32 v17, 0xffff, v64, v17
	v_dual_mov_b32 v23, v13 :: v_dual_mov_b32 v22, v12
	v_dual_mov_b32 v13, v11 :: v_dual_mov_b32 v12, v10
	v_mov_b32_e32 v48, v64
	v_mov_b32_e32 v64, v38
; %bb.51:
	s_or_b32 exec_lo, exec_lo, s10
	v_dual_mov_b32 v26, v30 :: v_dual_and_b32 v11, v39, v54
	v_dual_mov_b32 v27, v31 :: v_dual_and_b32 v10, v36, v54
	v_mov_b32_e32 v38, v36
	s_mov_b32 s10, exec_lo
	s_delay_alu instid0(VALU_DEP_2)
	v_cmpx_gt_i16_e64 v11, v10
; %bb.52:
	v_perm_b32 v17, v36, v17, 0x5040100
	v_bfi_b32 v18, 0xffff, v39, v18
	v_dual_mov_b32 v27, v21 :: v_dual_mov_b32 v26, v20
	v_dual_mov_b32 v20, v30 :: v_dual_mov_b32 v21, v31
	;; [unrolled: 1-line block ×3, first 2 shown]
; %bb.53:
	s_or_b32 exec_lo, exec_lo, s10
	v_mov_b32_e32 v11, v9
	v_and_b32_e32 v30, v37, v54
	v_dual_mov_b32 v10, v8 :: v_dual_and_b32 v31, v35, v54
	v_mov_b32_e32 v36, v37
	s_mov_b32 s10, exec_lo
	s_delay_alu instid0(VALU_DEP_2)
	v_cmpx_gt_i16_e64 v31, v30
; %bb.54:
	v_perm_b32 v18, v37, v18, 0x5040100
	v_bfi_b32 v19, 0xffff, v35, v19
	v_dual_mov_b32 v10, v24 :: v_dual_mov_b32 v11, v25
	v_dual_mov_b32 v25, v9 :: v_dual_mov_b32 v24, v8
	;; [unrolled: 1-line block ×3, first 2 shown]
; %bb.55:
	s_or_b32 exec_lo, exec_lo, s10
	v_mov_b32_e32 v8, v12
	v_dual_mov_b32 v9, v13 :: v_dual_and_b32 v30, v64, v54
	v_and_b32_e32 v31, v32, v54
	v_mov_b32_e32 v34, v32
	s_mov_b32 s10, exec_lo
	s_delay_alu instid0(VALU_DEP_2)
	v_cmpx_gt_i16_e64 v31, v30
; %bb.56:
	v_perm_b32 v16, v32, v64, 0x5040100
	v_dual_mov_b32 v9, v5 :: v_dual_mov_b32 v8, v4
	v_dual_mov_b32 v4, v12 :: v_dual_mov_b32 v5, v13
	v_mov_b32_e32 v34, v64
	v_mov_b32_e32 v64, v32
; %bb.57:
	s_or_b32 exec_lo, exec_lo, s10
	v_mov_b32_e32 v31, v27
	v_and_b32_e32 v12, v39, v54
	v_dual_mov_b32 v30, v26 :: v_dual_and_b32 v13, v48, v54
	v_mov_b32_e32 v37, v39
	s_mov_b32 s10, exec_lo
	s_delay_alu instid0(VALU_DEP_2)
	v_cmpx_gt_i16_e64 v13, v12
; %bb.58:
	v_perm_b32 v17, v48, v39, 0x5040100
	v_dual_mov_b32 v31, v23 :: v_dual_mov_b32 v30, v22
	v_dual_mov_b32 v22, v26 :: v_dual_mov_b32 v23, v27
	;; [unrolled: 1-line block ×3, first 2 shown]
; %bb.59:
	s_or_b32 exec_lo, exec_lo, s10
	v_dual_mov_b32 v12, v20 :: v_dual_and_b32 v27, v38, v54
	v_dual_mov_b32 v13, v21 :: v_dual_and_b32 v26, v35, v54
	v_mov_b32_e32 v39, v35
	s_mov_b32 s10, exec_lo
	s_delay_alu instid0(VALU_DEP_2)
	v_cmpx_gt_i16_e64 v27, v26
; %bb.60:
	v_perm_b32 v18, v38, v35, 0x5040100
	v_dual_mov_b32 v13, v11 :: v_dual_mov_b32 v12, v10
	v_dual_mov_b32 v10, v20 :: v_dual_mov_b32 v11, v21
	;; [unrolled: 1-line block ×3, first 2 shown]
; %bb.61:
	s_or_b32 exec_lo, exec_lo, s10
	v_and_b32_e32 v20, v33, v54
	v_and_b32_e32 v21, v36, v54
	v_dual_mov_b32 v27, v25 :: v_dual_mov_b32 v26, v24
	v_mov_b32_e32 v35, v33
	s_mov_b32 s10, exec_lo
	s_delay_alu instid0(VALU_DEP_3)
	v_cmpx_gt_i16_e64 v21, v20
; %bb.62:
	v_perm_b32 v19, v36, v33, 0x5040100
	v_dual_mov_b32 v27, v15 :: v_dual_mov_b32 v26, v14
	v_dual_mov_b32 v14, v24 :: v_dual_mov_b32 v15, v25
	;; [unrolled: 1-line block ×3, first 2 shown]
; %bb.63:
	s_or_b32 exec_lo, exec_lo, s10
	v_dual_mov_b32 v25, v23 :: v_dual_and_b32 v20, v48, v54
	v_dual_mov_b32 v24, v22 :: v_dual_and_b32 v21, v64, v54
	v_mov_b32_e32 v33, v48
	s_mov_b32 s10, exec_lo
	s_delay_alu instid0(VALU_DEP_2)
	v_cmpx_gt_i16_e64 v21, v20
; %bb.64:
	v_perm_b32 v16, v48, v16, 0x5040100
	v_bfi_b32 v17, 0xffff, v64, v17
	v_dual_mov_b32 v25, v9 :: v_dual_mov_b32 v24, v8
	v_dual_mov_b32 v8, v22 :: v_dual_mov_b32 v9, v23
	v_mov_b32_e32 v33, v64
	v_mov_b32_e32 v64, v48
; %bb.65:
	s_or_b32 exec_lo, exec_lo, s10
	v_dual_mov_b32 v22, v30 :: v_dual_and_b32 v21, v37, v54
	v_dual_mov_b32 v23, v31 :: v_dual_and_b32 v20, v38, v54
	v_mov_b32_e32 v48, v38
	s_mov_b32 s10, exec_lo
	s_delay_alu instid0(VALU_DEP_2)
	v_cmpx_gt_i16_e64 v21, v20
; %bb.66:
	v_perm_b32 v17, v38, v17, 0x5040100
	v_bfi_b32 v18, 0xffff, v37, v18
	v_dual_mov_b32 v23, v13 :: v_dual_mov_b32 v22, v12
	v_dual_mov_b32 v12, v30 :: v_dual_mov_b32 v13, v31
	;; [unrolled: 1-line block ×3, first 2 shown]
; %bb.67:
	s_or_b32 exec_lo, exec_lo, s10
	v_dual_mov_b32 v21, v11 :: v_dual_and_b32 v30, v36, v54
	v_dual_mov_b32 v20, v10 :: v_dual_and_b32 v31, v39, v54
	v_mov_b32_e32 v65, v36
	s_mov_b32 s10, exec_lo
	s_delay_alu instid0(VALU_DEP_2)
	v_cmpx_gt_i16_e64 v31, v30
; %bb.68:
	v_perm_b32 v18, v36, v18, 0x5040100
	v_bfi_b32 v19, 0xffff, v39, v19
	v_dual_mov_b32 v20, v26 :: v_dual_mov_b32 v21, v27
	v_dual_mov_b32 v27, v11 :: v_dual_mov_b32 v26, v10
	v_mov_b32_e32 v65, v39
	v_mov_b32_e32 v39, v36
; %bb.69:
	s_or_b32 exec_lo, exec_lo, s10
	v_dual_mov_b32 v11, v9 :: v_dual_and_b32 v30, v64, v54
	v_dual_mov_b32 v10, v8 :: v_dual_and_b32 v31, v34, v54
	v_mov_b32_e32 v32, v34
	s_mov_b32 s10, exec_lo
	s_delay_alu instid0(VALU_DEP_2)
	v_cmpx_gt_i16_e64 v31, v30
; %bb.70:
	v_perm_b32 v16, v34, v64, 0x5040100
	v_dual_mov_b32 v11, v5 :: v_dual_mov_b32 v10, v4
	v_dual_mov_b32 v4, v8 :: v_dual_mov_b32 v5, v9
	v_mov_b32_e32 v32, v64
	v_mov_b32_e32 v64, v34
; %bb.71:
	s_or_b32 exec_lo, exec_lo, s10
	v_dual_mov_b32 v8, v22 :: v_dual_and_b32 v31, v33, v54
	v_dual_mov_b32 v9, v23 :: v_dual_and_b32 v30, v37, v54
	v_mov_b32_e32 v36, v37
	s_mov_b32 s10, exec_lo
	s_delay_alu instid0(VALU_DEP_2)
	v_cmpx_gt_i16_e64 v31, v30
; %bb.72:
	v_perm_b32 v17, v33, v37, 0x5040100
	;; [unrolled: 14-line block ×3, first 2 shown]
	v_dual_mov_b32 v31, v21 :: v_dual_mov_b32 v30, v20
	v_dual_mov_b32 v21, v13 :: v_dual_mov_b32 v20, v12
	v_mov_b32_e32 v34, v48
	v_mov_b32_e32 v48, v39
; %bb.75:
	s_or_b32 exec_lo, exec_lo, s10
	v_mov_b32_e32 v12, v26
	v_and_b32_e32 v22, v35, v54
	v_dual_mov_b32 v13, v27 :: v_dual_and_b32 v38, v65, v54
	s_mov_b32 s10, exec_lo
	s_delay_alu instid0(VALU_DEP_1)
	v_cmpx_gt_i16_e64 v38, v22
; %bb.76:
	v_mov_b32_e32 v12, v14
	v_dual_mov_b32 v38, v22 :: v_dual_mov_b32 v13, v15
	v_mov_b32_e32 v14, v26
	v_perm_b32 v19, v65, v35, 0x5040100
	v_mov_b32_e32 v65, v35
	v_mov_b32_e32 v15, v27
; %bb.77:
	s_or_b32 exec_lo, exec_lo, s10
	v_and_b32_e32 v22, v33, v54
	v_and_b32_e32 v23, v64, v54
	v_bfi_b32 v27, 0xffff, v64, v17
	v_perm_b32 v26, v33, v16, 0x5040100
	v_and_b32_e32 v33, v36, v54
	v_bfi_b32 v35, 0xffff, v36, v18
	v_cmp_gt_i16_e64 s7, v23, v22
	v_and_b32_e32 v22, v48, v54
	s_delay_alu instid0(VALU_DEP_2)
	v_cndmask_b32_e64 v17, v17, v27, s7
	v_cndmask_b32_e64 v37, v25, v11, s7
	;; [unrolled: 1-line block ×3, first 2 shown]
	v_and_b32_e32 v11, v34, v54
	v_cndmask_b32_e64 v36, v24, v10, s7
	v_cmp_gt_i16_e64 s10, v33, v22
	v_cndmask_b32_e64 v22, v10, v24, s7
	v_perm_b32 v10, v48, v17, 0x5040100
	v_cndmask_b32_e64 v16, v16, v26, s7
	v_cmp_gt_i16_e64 s7, v11, v38
	v_dual_mov_b32 v39, v13 :: v_dual_mov_b32 v38, v12
	v_cndmask_b32_e64 v27, v9, v31, s10
	v_cndmask_b32_e64 v26, v8, v30, s10
	;; [unrolled: 1-line block ×6, first 2 shown]
	s_and_saveexec_b32 s10, s7
; %bb.78:
	s_delay_alu instid0(VALU_DEP_1)
	v_perm_b32 v18, v65, v18, 0x5040100
	v_bfi_b32 v19, 0xffff, v34, v19
	v_dual_mov_b32 v39, v21 :: v_dual_mov_b32 v38, v20
	v_dual_mov_b32 v21, v13 :: v_dual_mov_b32 v20, v12
; %bb.79:
	s_or_b32 exec_lo, exec_lo, s10
.LBB1031_80:
	s_delay_alu instid0(SALU_CYCLE_1) | instskip(SKIP_4) | instid1(VALU_DEP_4)
	s_or_b32 exec_lo, exec_lo, s11
	v_dual_mov_b32 v31, v17 :: v_dual_and_b32 v12, 0xffffff00, v55
	v_or_b32_e32 v8, 8, v53
	v_bfi_b32 v30, 0xffff, v32, v16
	v_and_b32_e32 v24, 0xf0, v53
	v_sub_nc_u32_e64 v11, 0x800, v12 clamp
	v_dual_mov_b32 v33, v19 :: v_dual_lshlrev_b32 v10, 1, v12
	s_mov_b32 s10, exec_lo
	v_mov_b32_e32 v32, v18
	s_delay_alu instid0(VALU_DEP_3) | instskip(NEXT) | instid1(VALU_DEP_3)
	v_min_u32_e32 v34, v11, v8
	v_mad_u64_u32 v[8:9], null, v12, 6, v[10:11]
	v_and_b32_e32 v12, 8, v53
	v_lshl_or_b32 v55, v24, 1, v10
	s_delay_alu instid0(VALU_DEP_4) | instskip(NEXT) | instid1(VALU_DEP_3)
	v_add_nc_u32_e32 v9, 8, v34
	v_min_u32_e32 v25, v11, v12
	v_sub_nc_u32_e32 v12, v34, v24
	s_delay_alu instid0(VALU_DEP_3) | instskip(SKIP_2) | instid1(VALU_DEP_4)
	v_min_u32_e32 v35, v11, v9
	v_lshl_add_u32 v65, v53, 3, v8
	v_lshl_or_b32 v9, v53, 1, v10
	v_min_u32_e32 v13, v25, v12
	s_delay_alu instid0(VALU_DEP_4) | instskip(NEXT) | instid1(VALU_DEP_4)
	v_sub_nc_u32_e32 v64, v35, v34
	v_add_nc_u32_e32 v66, 0x1010, v65
	v_add_nc_u32_e32 v12, 0x1000, v65
	;; [unrolled: 1-line block ×4, first 2 shown]
	v_sub_nc_u32_e64 v64, v25, v64 clamp
	ds_store_2addr_b64 v66, v[36:37], v[26:27] offset1:1
	ds_store_2addr_b64 v67, v[48:49], v[20:21] offset1:1
	;; [unrolled: 1-line block ×5, first 2 shown]
	; wave barrier
	v_cmpx_lt_u32_e64 v64, v13
	s_cbranch_execz .LBB1031_84
; %bb.81:
	v_lshlrev_b32_e32 v30, 1, v34
	v_lshlrev_b32_e32 v31, 1, v25
	s_mov_b32 s11, 0
	s_delay_alu instid0(VALU_DEP_1)
	v_add3_u32 v30, v10, v30, v31
	.p2align	6
.LBB1031_82:                            ; =>This Inner Loop Header: Depth=1
	v_add_nc_u32_e32 v31, v13, v64
	s_delay_alu instid0(VALU_DEP_1) | instskip(SKIP_1) | instid1(VALU_DEP_2)
	v_lshrrev_b32_e32 v32, 1, v31
	v_and_b32_e32 v31, -2, v31
	v_not_b32_e32 v33, v32
	s_delay_alu instid0(VALU_DEP_2) | instskip(SKIP_1) | instid1(VALU_DEP_3)
	v_add_nc_u32_e32 v31, v55, v31
	v_add_nc_u32_e32 v65, 1, v32
	v_lshl_add_u32 v33, v33, 1, v30
	ds_load_u16 v31, v31
	ds_load_u16 v33, v33
	s_waitcnt lgkmcnt(1)
	v_and_b32_e32 v31, v31, v54
	s_waitcnt lgkmcnt(0)
	v_and_b32_e32 v33, v33, v54
	s_delay_alu instid0(VALU_DEP_1) | instskip(NEXT) | instid1(VALU_DEP_1)
	v_cmp_gt_i16_e64 s7, v31, v33
	v_cndmask_b32_e64 v13, v13, v32, s7
	v_cndmask_b32_e64 v64, v65, v64, s7
	s_delay_alu instid0(VALU_DEP_1) | instskip(NEXT) | instid1(VALU_DEP_1)
	v_cmp_ge_u32_e64 s7, v64, v13
	s_or_b32 s11, s7, s11
	s_delay_alu instid0(SALU_CYCLE_1)
	s_and_not1_b32 exec_lo, exec_lo, s11
	s_cbranch_execnz .LBB1031_82
; %bb.83:
	s_or_b32 exec_lo, exec_lo, s11
.LBB1031_84:
	s_delay_alu instid0(SALU_CYCLE_1) | instskip(SKIP_4) | instid1(VALU_DEP_4)
	s_or_b32 exec_lo, exec_lo, s10
	v_add_nc_u32_e32 v25, v34, v25
	v_dual_mov_b32 v31, v17 :: v_dual_add_nc_u32 v66, v64, v24
	v_lshrrev_b32_e32 v13, 16, v16
	v_lshrrev_b32_e32 v30, 16, v17
	v_sub_nc_u32_e32 v65, v25, v64
	s_delay_alu instid0(VALU_DEP_4) | instskip(SKIP_4) | instid1(VALU_DEP_1)
	v_cmp_le_u32_e64 s7, v66, v34
	v_lshrrev_b32_e32 v25, 16, v18
	v_lshrrev_b32_e32 v24, 16, v19
	v_dual_mov_b32 v32, v18 :: v_dual_mov_b32 v33, v19
	v_cmp_le_u32_e64 s10, v65, v35
	s_or_b32 s7, s7, s10
	s_delay_alu instid0(SALU_CYCLE_1)
	s_and_saveexec_b32 s22, s7
	s_cbranch_execz .LBB1031_90
; %bb.85:
	v_cmp_lt_u32_e64 s7, v66, v34
                                        ; implicit-def: $vgpr13
	s_delay_alu instid0(VALU_DEP_1)
	s_and_saveexec_b32 s10, s7
	s_cbranch_execz .LBB1031_87
; %bb.86:
	v_lshl_add_u32 v4, v64, 1, v55
	ds_load_u16 v13, v4
.LBB1031_87:
	s_or_b32 exec_lo, exec_lo, s10
	v_cmp_ge_u32_e64 s10, v65, v35
	s_mov_b32 s14, exec_lo
                                        ; implicit-def: $vgpr16
	v_cmpx_lt_u32_e64 v65, v35
	s_cbranch_execz .LBB1031_89
; %bb.88:
	v_lshl_add_u32 v4, v65, 1, v10
	ds_load_u16 v16, v4
.LBB1031_89:
	s_or_b32 exec_lo, exec_lo, s14
	s_waitcnt lgkmcnt(0)
	v_and_b32_e32 v4, v16, v54
	v_and_b32_e32 v5, v13, v54
	s_delay_alu instid0(VALU_DEP_1) | instskip(NEXT) | instid1(VALU_DEP_1)
	v_cmp_le_i16_e64 s11, v5, v4
	s_and_b32 s7, s7, s11
	s_delay_alu instid0(SALU_CYCLE_1) | instskip(NEXT) | instid1(SALU_CYCLE_1)
	s_or_b32 s7, s10, s7
	v_cndmask_b32_e64 v4, v65, v66, s7
	v_cndmask_b32_e64 v5, v35, v34, s7
	s_delay_alu instid0(VALU_DEP_2) | instskip(NEXT) | instid1(VALU_DEP_2)
	v_add_nc_u32_e32 v14, 1, v4
	v_add_nc_u32_e32 v5, -1, v5
	v_lshl_add_u32 v4, v4, 3, v8
	s_delay_alu instid0(VALU_DEP_2) | instskip(NEXT) | instid1(VALU_DEP_1)
	v_min_u32_e32 v5, v14, v5
	v_lshl_add_u32 v5, v5, 1, v10
	ds_load_u16 v5, v5
	s_waitcnt lgkmcnt(0)
	v_cndmask_b32_e64 v17, v5, v16, s7
	v_cndmask_b32_e64 v18, v13, v5, s7
	;; [unrolled: 1-line block ×5, first 2 shown]
	v_and_b32_e32 v15, v17, v54
	v_and_b32_e32 v19, v18, v54
	v_cmp_lt_u32_e64 s10, v5, v34
	v_cmp_ge_u32_e64 s14, v14, v35
	s_delay_alu instid0(VALU_DEP_3) | instskip(NEXT) | instid1(VALU_DEP_1)
	v_cmp_le_i16_e64 s11, v19, v15
	s_and_b32 s10, s10, s11
	s_delay_alu instid0(VALU_DEP_2) | instid1(SALU_CYCLE_1)
	s_or_b32 s10, s14, s10
	s_delay_alu instid0(SALU_CYCLE_1) | instskip(SKIP_2) | instid1(VALU_DEP_3)
	v_cndmask_b32_e64 v15, v14, v5, s10
	v_cndmask_b32_e64 v19, v35, v34, s10
	;; [unrolled: 1-line block ×3, first 2 shown]
	v_add_nc_u32_e32 v20, 1, v15
	s_delay_alu instid0(VALU_DEP_3) | instskip(SKIP_1) | instid1(VALU_DEP_4)
	v_add_nc_u32_e32 v19, -1, v19
	v_lshl_add_u32 v15, v15, 3, v8
	v_perm_b32 v16, v13, v16, 0x5040100
	s_delay_alu instid0(VALU_DEP_4) | instskip(NEXT) | instid1(VALU_DEP_4)
	v_cndmask_b32_e64 v5, v5, v20, s10
	v_min_u32_e32 v19, v20, v19
	v_cndmask_b32_e64 v14, v20, v14, s10
	s_delay_alu instid0(VALU_DEP_3) | instskip(NEXT) | instid1(VALU_DEP_3)
	v_cmp_lt_u32_e64 s11, v5, v34
	v_lshl_add_u32 v19, v19, 1, v10
	s_delay_alu instid0(VALU_DEP_3) | instskip(SKIP_4) | instid1(VALU_DEP_2)
	v_cmp_ge_u32_e64 s15, v14, v35
	ds_load_u16 v19, v19
	s_waitcnt lgkmcnt(0)
	v_cndmask_b32_e64 v24, v19, v17, s10
	v_cndmask_b32_e64 v19, v18, v19, s10
	v_and_b32_e32 v21, v24, v54
	s_delay_alu instid0(VALU_DEP_2) | instskip(NEXT) | instid1(VALU_DEP_1)
	v_and_b32_e32 v22, v19, v54
	v_cmp_le_i16_e64 s14, v22, v21
	s_delay_alu instid0(VALU_DEP_1) | instskip(NEXT) | instid1(SALU_CYCLE_1)
	s_and_b32 s11, s11, s14
	s_or_b32 s11, s15, s11
	s_delay_alu instid0(SALU_CYCLE_1) | instskip(SKIP_1) | instid1(VALU_DEP_2)
	v_cndmask_b32_e64 v20, v14, v5, s11
	v_cndmask_b32_e64 v21, v35, v34, s11
	v_add_nc_u32_e32 v22, 1, v20
	s_delay_alu instid0(VALU_DEP_2) | instskip(SKIP_1) | instid1(VALU_DEP_3)
	v_add_nc_u32_e32 v21, -1, v21
	v_lshl_add_u32 v20, v20, 3, v8
	v_cndmask_b32_e64 v5, v5, v22, s11
	s_delay_alu instid0(VALU_DEP_3) | instskip(SKIP_1) | instid1(VALU_DEP_3)
	v_min_u32_e32 v21, v22, v21
	v_cndmask_b32_e64 v14, v22, v14, s11
	v_cmp_lt_u32_e64 s14, v5, v34
	s_delay_alu instid0(VALU_DEP_3) | instskip(NEXT) | instid1(VALU_DEP_3)
	v_lshl_add_u32 v21, v21, 1, v10
	v_cmp_ge_u32_e64 s16, v14, v35
	ds_load_u16 v21, v21
	s_waitcnt lgkmcnt(0)
	v_cndmask_b32_e64 v30, v21, v24, s11
	v_cndmask_b32_e64 v55, v19, v21, s11
	s_delay_alu instid0(VALU_DEP_2) | instskip(NEXT) | instid1(VALU_DEP_2)
	v_and_b32_e32 v21, v30, v54
	v_and_b32_e32 v23, v55, v54
	s_delay_alu instid0(VALU_DEP_1) | instskip(NEXT) | instid1(VALU_DEP_1)
	v_cmp_le_i16_e64 s15, v23, v21
	s_and_b32 s14, s14, s15
	s_delay_alu instid0(SALU_CYCLE_1) | instskip(NEXT) | instid1(SALU_CYCLE_1)
	s_or_b32 s14, s16, s14
	v_cndmask_b32_e64 v21, v14, v5, s14
	v_cndmask_b32_e64 v22, v35, v34, s14
	s_delay_alu instid0(VALU_DEP_2) | instskip(NEXT) | instid1(VALU_DEP_2)
	v_add_nc_u32_e32 v23, 1, v21
	v_add_nc_u32_e32 v22, -1, v22
	s_delay_alu instid0(VALU_DEP_2) | instskip(NEXT) | instid1(VALU_DEP_2)
	v_cndmask_b32_e64 v5, v5, v23, s14
	v_min_u32_e32 v22, v23, v22
	v_cndmask_b32_e64 v14, v23, v14, s14
	s_delay_alu instid0(VALU_DEP_3) | instskip(NEXT) | instid1(VALU_DEP_3)
	v_cmp_lt_u32_e64 s15, v5, v34
	v_lshl_add_u32 v22, v22, 1, v10
	s_delay_alu instid0(VALU_DEP_3)
	v_cmp_ge_u32_e64 s17, v14, v35
	ds_load_u16 v22, v22
	s_waitcnt lgkmcnt(0)
	v_cndmask_b32_e64 v25, v22, v30, s14
	v_cndmask_b32_e64 v32, v55, v22, s14
	;; [unrolled: 1-line block ×3, first 2 shown]
	s_delay_alu instid0(VALU_DEP_3) | instskip(NEXT) | instid1(VALU_DEP_3)
	v_and_b32_e32 v22, v25, v54
	v_and_b32_e32 v26, v32, v54
	s_delay_alu instid0(VALU_DEP_1) | instskip(NEXT) | instid1(VALU_DEP_1)
	v_cmp_le_i16_e64 s16, v26, v22
	s_and_b32 s15, s15, s16
	s_delay_alu instid0(SALU_CYCLE_1) | instskip(NEXT) | instid1(SALU_CYCLE_1)
	s_or_b32 s15, s17, s15
	v_cndmask_b32_e64 v26, v14, v5, s15
	v_cndmask_b32_e64 v22, v35, v34, s15
	s_delay_alu instid0(VALU_DEP_2) | instskip(NEXT) | instid1(VALU_DEP_2)
	v_add_nc_u32_e32 v23, 1, v26
	v_add_nc_u32_e32 v22, -1, v22
	s_delay_alu instid0(VALU_DEP_2) | instskip(NEXT) | instid1(VALU_DEP_2)
	v_cndmask_b32_e64 v5, v5, v23, s15
	v_min_u32_e32 v22, v23, v22
	v_cndmask_b32_e64 v14, v23, v14, s15
	s_delay_alu instid0(VALU_DEP_3) | instskip(NEXT) | instid1(VALU_DEP_3)
	v_cmp_lt_u32_e64 s16, v5, v34
	v_lshl_add_u32 v22, v22, 1, v10
	s_delay_alu instid0(VALU_DEP_3)
	v_cmp_ge_u32_e64 s18, v14, v35
	ds_load_u16 v22, v22
	s_waitcnt lgkmcnt(0)
	v_cndmask_b32_e64 v64, v22, v25, s15
	v_cndmask_b32_e64 v65, v32, v22, s15
	;; [unrolled: 1-line block ×3, first 2 shown]
	s_delay_alu instid0(VALU_DEP_3) | instskip(NEXT) | instid1(VALU_DEP_3)
	v_and_b32_e32 v22, v64, v54
	v_and_b32_e32 v27, v65, v54
	s_delay_alu instid0(VALU_DEP_1) | instskip(NEXT) | instid1(VALU_DEP_1)
	v_cmp_le_i16_e64 s17, v27, v22
	s_and_b32 s16, s16, s17
	s_delay_alu instid0(SALU_CYCLE_1) | instskip(NEXT) | instid1(SALU_CYCLE_1)
	s_or_b32 s16, s18, s16
	v_cndmask_b32_e64 v27, v14, v5, s16
	v_cndmask_b32_e64 v22, v35, v34, s16
	;; [unrolled: 1-line block ×3, first 2 shown]
	s_delay_alu instid0(VALU_DEP_3) | instskip(NEXT) | instid1(VALU_DEP_3)
	v_add_nc_u32_e32 v23, 1, v27
	v_add_nc_u32_e32 v22, -1, v22
	s_delay_alu instid0(VALU_DEP_3) | instskip(NEXT) | instid1(VALU_DEP_3)
	v_perm_b32 v18, v25, v32, 0x5040100
	v_cndmask_b32_e64 v5, v5, v23, s16
	s_delay_alu instid0(VALU_DEP_3) | instskip(SKIP_1) | instid1(VALU_DEP_3)
	v_min_u32_e32 v22, v23, v22
	v_cndmask_b32_e64 v14, v23, v14, s16
	v_cmp_lt_u32_e64 s17, v5, v34
	s_delay_alu instid0(VALU_DEP_3) | instskip(NEXT) | instid1(VALU_DEP_3)
	v_lshl_add_u32 v22, v22, 1, v10
	v_cmp_ge_u32_e64 s19, v14, v35
	ds_load_u16 v22, v22
	s_waitcnt lgkmcnt(0)
	v_cndmask_b32_e64 v33, v22, v64, s16
	v_cndmask_b32_e64 v66, v65, v22, s16
	s_delay_alu instid0(VALU_DEP_2) | instskip(NEXT) | instid1(VALU_DEP_2)
	v_and_b32_e32 v22, v33, v54
	v_and_b32_e32 v31, v66, v54
	s_delay_alu instid0(VALU_DEP_1) | instskip(NEXT) | instid1(VALU_DEP_1)
	v_cmp_le_i16_e64 s18, v31, v22
	s_and_b32 s17, s17, s18
	s_delay_alu instid0(SALU_CYCLE_1) | instskip(NEXT) | instid1(SALU_CYCLE_1)
	s_or_b32 s17, s19, s17
	v_cndmask_b32_e64 v31, v14, v5, s17
	v_cndmask_b32_e64 v22, v35, v34, s17
	s_delay_alu instid0(VALU_DEP_2) | instskip(NEXT) | instid1(VALU_DEP_2)
	v_add_nc_u32_e32 v23, 1, v31
	v_add_nc_u32_e32 v22, -1, v22
	v_lshl_add_u32 v31, v31, 3, v8
	s_delay_alu instid0(VALU_DEP_3) | instskip(NEXT) | instid1(VALU_DEP_3)
	v_cndmask_b32_e64 v38, v5, v23, s17
	v_min_u32_e32 v22, v23, v22
	v_cndmask_b32_e64 v14, v23, v14, s17
	s_delay_alu instid0(VALU_DEP_3) | instskip(NEXT) | instid1(VALU_DEP_3)
	v_cmp_lt_u32_e64 s18, v38, v34
	v_lshl_add_u32 v22, v22, 1, v10
	s_delay_alu instid0(VALU_DEP_3)
	v_cmp_ge_u32_e64 s20, v14, v35
	ds_load_u16 v22, v22
	s_waitcnt lgkmcnt(0)
	v_cndmask_b32_e64 v67, v22, v33, s17
	v_cndmask_b32_e64 v68, v66, v22, s17
	;; [unrolled: 1-line block ×3, first 2 shown]
	s_delay_alu instid0(VALU_DEP_3) | instskip(NEXT) | instid1(VALU_DEP_3)
	v_and_b32_e32 v5, v67, v54
	v_and_b32_e32 v22, v68, v54
	s_delay_alu instid0(VALU_DEP_1)
	v_cmp_le_i16_e64 s19, v22, v5
	ds_load_b64 v[4:5], v4 offset:4096
	ds_load_b64 v[22:23], v15 offset:4096
	v_lshl_add_u32 v15, v21, 3, v8
	ds_load_b64 v[36:37], v20 offset:4096
	v_lshl_add_u32 v20, v26, 3, v8
	s_and_b32 s18, s18, s19
	v_lshl_add_u32 v21, v27, 3, v8
	s_or_b32 s18, s20, s18
	s_delay_alu instid0(SALU_CYCLE_1) | instskip(NEXT) | instid1(VALU_DEP_1)
	v_cndmask_b32_e64 v14, v14, v38, s18
	v_lshl_add_u32 v14, v14, 3, v8
	ds_load_b64 v[26:27], v15 offset:4096
	ds_load_b64 v[48:49], v20 offset:4096
	;; [unrolled: 1-line block ×5, first 2 shown]
	v_cndmask_b32_e64 v31, v24, v19, s11
	v_cndmask_b32_e64 v24, v67, v68, s18
	s_delay_alu instid0(VALU_DEP_2) | instskip(NEXT) | instid1(VALU_DEP_2)
	v_perm_b32 v17, v30, v31, 0x5040100
	v_perm_b32 v19, v24, v33, 0x5040100
.LBB1031_90:
	s_or_b32 exec_lo, exec_lo, s22
	v_and_b32_e32 v34, 0xe0, v53
	v_and_b32_e32 v64, 24, v53
	v_perm_b32 v69, v24, v33, 0x5040100
	v_perm_b32 v68, v25, v32, 0x5040100
	;; [unrolled: 1-line block ×3, first 2 shown]
	v_or_b32_e32 v35, 16, v34
	v_min_u32_e32 v66, v11, v64
	v_perm_b32 v70, v13, v16, 0x5040100
	s_mov_b32 s10, exec_lo
	s_delay_alu instid0(VALU_DEP_3)
	v_min_u32_e32 v35, v11, v35
	; wave barrier
	s_waitcnt lgkmcnt(4)
	ds_store_2addr_b64 v12, v[36:37], v[26:27] offset0:2 offset1:3
	s_waitcnt lgkmcnt(3)
	ds_store_2addr_b64 v12, v[48:49], v[20:21] offset0:4 offset1:5
	ds_store_2addr_b64 v12, v[4:5], v[22:23] offset1:1
	ds_store_2addr_b64 v9, v[70:71], v[68:69] offset1:1
	s_waitcnt lgkmcnt(4)
	ds_store_2addr_b64 v12, v[38:39], v[14:15] offset0:6 offset1:7
	v_add_nc_u32_e32 v55, 16, v35
	v_sub_nc_u32_e32 v64, v35, v34
	; wave barrier
	s_delay_alu instid0(VALU_DEP_2) | instskip(NEXT) | instid1(VALU_DEP_2)
	v_min_u32_e32 v55, v11, v55
	v_min_u32_e32 v67, v66, v64
	s_delay_alu instid0(VALU_DEP_2) | instskip(NEXT) | instid1(VALU_DEP_1)
	v_sub_nc_u32_e32 v65, v55, v35
	v_sub_nc_u32_e64 v64, v66, v65 clamp
	v_lshl_add_u32 v65, v34, 1, v10
	s_delay_alu instid0(VALU_DEP_2)
	v_cmpx_lt_u32_e64 v64, v67
	s_cbranch_execz .LBB1031_94
; %bb.91:
	v_lshlrev_b32_e32 v68, 1, v35
	v_lshlrev_b32_e32 v69, 1, v66
	s_mov_b32 s11, 0
	s_delay_alu instid0(VALU_DEP_1)
	v_add3_u32 v68, v10, v68, v69
	.p2align	6
.LBB1031_92:                            ; =>This Inner Loop Header: Depth=1
	v_add_nc_u32_e32 v69, v67, v64
	s_delay_alu instid0(VALU_DEP_1) | instskip(SKIP_1) | instid1(VALU_DEP_2)
	v_lshrrev_b32_e32 v70, 1, v69
	v_and_b32_e32 v69, -2, v69
	v_not_b32_e32 v71, v70
	s_delay_alu instid0(VALU_DEP_2) | instskip(SKIP_1) | instid1(VALU_DEP_3)
	v_add_nc_u32_e32 v69, v65, v69
	v_add_nc_u32_e32 v80, 1, v70
	v_lshl_add_u32 v71, v71, 1, v68
	ds_load_u16 v69, v69
	ds_load_u16 v71, v71
	s_waitcnt lgkmcnt(1)
	v_and_b32_e32 v69, v69, v54
	s_waitcnt lgkmcnt(0)
	v_and_b32_e32 v71, v71, v54
	s_delay_alu instid0(VALU_DEP_1) | instskip(NEXT) | instid1(VALU_DEP_1)
	v_cmp_gt_i16_e64 s7, v69, v71
	v_cndmask_b32_e64 v67, v67, v70, s7
	v_cndmask_b32_e64 v64, v80, v64, s7
	s_delay_alu instid0(VALU_DEP_1) | instskip(NEXT) | instid1(VALU_DEP_1)
	v_cmp_ge_u32_e64 s7, v64, v67
	s_or_b32 s11, s7, s11
	s_delay_alu instid0(SALU_CYCLE_1)
	s_and_not1_b32 exec_lo, exec_lo, s11
	s_cbranch_execnz .LBB1031_92
; %bb.93:
	s_or_b32 exec_lo, exec_lo, s11
.LBB1031_94:
	s_delay_alu instid0(SALU_CYCLE_1) | instskip(SKIP_3) | instid1(VALU_DEP_3)
	s_or_b32 exec_lo, exec_lo, s10
	v_add_nc_u32_e32 v66, v35, v66
	v_add_nc_u32_e32 v67, v64, v34
	v_mov_b32_e32 v34, v16
	v_sub_nc_u32_e32 v66, v66, v64
	s_delay_alu instid0(VALU_DEP_3) | instskip(NEXT) | instid1(VALU_DEP_2)
	v_cmp_le_u32_e64 s7, v67, v35
	v_cmp_le_u32_e64 s10, v66, v55
	s_delay_alu instid0(VALU_DEP_1) | instskip(NEXT) | instid1(SALU_CYCLE_1)
	s_or_b32 s7, s7, s10
	s_and_saveexec_b32 s22, s7
	s_cbranch_execz .LBB1031_100
; %bb.95:
	v_cmp_lt_u32_e64 s7, v67, v35
                                        ; implicit-def: $vgpr13
	s_delay_alu instid0(VALU_DEP_1)
	s_and_saveexec_b32 s10, s7
	s_cbranch_execz .LBB1031_97
; %bb.96:
	v_lshl_add_u32 v4, v64, 1, v65
	ds_load_u16 v13, v4
.LBB1031_97:
	s_or_b32 exec_lo, exec_lo, s10
	v_cmp_ge_u32_e64 s10, v66, v55
	s_mov_b32 s14, exec_lo
                                        ; implicit-def: $vgpr16
	v_cmpx_lt_u32_e64 v66, v55
	s_cbranch_execz .LBB1031_99
; %bb.98:
	v_lshl_add_u32 v4, v66, 1, v10
	ds_load_u16 v16, v4
.LBB1031_99:
	s_or_b32 exec_lo, exec_lo, s14
	s_waitcnt lgkmcnt(0)
	v_and_b32_e32 v4, v16, v54
	v_and_b32_e32 v5, v13, v54
	s_delay_alu instid0(VALU_DEP_1) | instskip(NEXT) | instid1(VALU_DEP_1)
	v_cmp_le_i16_e64 s11, v5, v4
	s_and_b32 s7, s7, s11
	s_delay_alu instid0(SALU_CYCLE_1) | instskip(NEXT) | instid1(SALU_CYCLE_1)
	s_or_b32 s7, s10, s7
	v_cndmask_b32_e64 v4, v66, v67, s7
	v_cndmask_b32_e64 v5, v55, v35, s7
	s_delay_alu instid0(VALU_DEP_2) | instskip(NEXT) | instid1(VALU_DEP_2)
	v_add_nc_u32_e32 v14, 1, v4
	v_add_nc_u32_e32 v5, -1, v5
	v_lshl_add_u32 v4, v4, 3, v8
	s_delay_alu instid0(VALU_DEP_2) | instskip(NEXT) | instid1(VALU_DEP_1)
	v_min_u32_e32 v5, v14, v5
	v_lshl_add_u32 v5, v5, 1, v10
	ds_load_u16 v5, v5
	s_waitcnt lgkmcnt(0)
	v_cndmask_b32_e64 v17, v5, v16, s7
	v_cndmask_b32_e64 v18, v13, v5, s7
	;; [unrolled: 1-line block ×4, first 2 shown]
	s_delay_alu instid0(VALU_DEP_4) | instskip(NEXT) | instid1(VALU_DEP_4)
	v_and_b32_e32 v15, v17, v54
	v_and_b32_e32 v19, v18, v54
	s_delay_alu instid0(VALU_DEP_4) | instskip(NEXT) | instid1(VALU_DEP_4)
	v_cmp_lt_u32_e64 s10, v5, v35
	v_cmp_ge_u32_e64 s14, v14, v55
	s_delay_alu instid0(VALU_DEP_3) | instskip(NEXT) | instid1(VALU_DEP_1)
	v_cmp_le_i16_e64 s11, v19, v15
	s_and_b32 s10, s10, s11
	s_delay_alu instid0(VALU_DEP_2) | instid1(SALU_CYCLE_1)
	s_or_b32 s10, s14, s10
	s_delay_alu instid0(SALU_CYCLE_1) | instskip(SKIP_1) | instid1(VALU_DEP_2)
	v_cndmask_b32_e64 v15, v14, v5, s10
	v_cndmask_b32_e64 v19, v55, v35, s10
	v_add_nc_u32_e32 v20, 1, v15
	s_delay_alu instid0(VALU_DEP_2) | instskip(SKIP_1) | instid1(VALU_DEP_3)
	v_add_nc_u32_e32 v19, -1, v19
	v_lshl_add_u32 v15, v15, 3, v8
	v_cndmask_b32_e64 v5, v5, v20, s10
	s_delay_alu instid0(VALU_DEP_3) | instskip(SKIP_1) | instid1(VALU_DEP_3)
	v_min_u32_e32 v19, v20, v19
	v_cndmask_b32_e64 v14, v20, v14, s10
	v_cmp_lt_u32_e64 s11, v5, v35
	s_delay_alu instid0(VALU_DEP_3) | instskip(NEXT) | instid1(VALU_DEP_3)
	v_lshl_add_u32 v19, v19, 1, v10
	v_cmp_ge_u32_e64 s15, v14, v55
	ds_load_u16 v19, v19
	s_waitcnt lgkmcnt(0)
	v_cndmask_b32_e64 v24, v19, v17, s10
	v_cndmask_b32_e64 v19, v18, v19, s10
	s_delay_alu instid0(VALU_DEP_2) | instskip(NEXT) | instid1(VALU_DEP_2)
	v_and_b32_e32 v21, v24, v54
	v_and_b32_e32 v22, v19, v54
	s_delay_alu instid0(VALU_DEP_1) | instskip(NEXT) | instid1(VALU_DEP_1)
	v_cmp_le_i16_e64 s14, v22, v21
	s_and_b32 s11, s11, s14
	s_delay_alu instid0(SALU_CYCLE_1) | instskip(NEXT) | instid1(SALU_CYCLE_1)
	s_or_b32 s11, s15, s11
	v_cndmask_b32_e64 v20, v14, v5, s11
	v_cndmask_b32_e64 v21, v55, v35, s11
	s_delay_alu instid0(VALU_DEP_2) | instskip(NEXT) | instid1(VALU_DEP_2)
	v_add_nc_u32_e32 v22, 1, v20
	v_add_nc_u32_e32 v21, -1, v21
	v_lshl_add_u32 v20, v20, 3, v8
	s_delay_alu instid0(VALU_DEP_3) | instskip(NEXT) | instid1(VALU_DEP_3)
	v_cndmask_b32_e64 v5, v5, v22, s11
	v_min_u32_e32 v21, v22, v21
	v_cndmask_b32_e64 v14, v22, v14, s11
	s_delay_alu instid0(VALU_DEP_3) | instskip(NEXT) | instid1(VALU_DEP_3)
	v_cmp_lt_u32_e64 s14, v5, v35
	v_lshl_add_u32 v21, v21, 1, v10
	s_delay_alu instid0(VALU_DEP_3) | instskip(SKIP_4) | instid1(VALU_DEP_2)
	v_cmp_ge_u32_e64 s16, v14, v55
	ds_load_u16 v21, v21
	s_waitcnt lgkmcnt(0)
	v_cndmask_b32_e64 v30, v21, v24, s11
	v_cndmask_b32_e64 v64, v19, v21, s11
	v_and_b32_e32 v21, v30, v54
	s_delay_alu instid0(VALU_DEP_2) | instskip(NEXT) | instid1(VALU_DEP_1)
	v_and_b32_e32 v23, v64, v54
	v_cmp_le_i16_e64 s15, v23, v21
	s_delay_alu instid0(VALU_DEP_1) | instskip(NEXT) | instid1(SALU_CYCLE_1)
	s_and_b32 s14, s14, s15
	s_or_b32 s14, s16, s14
	s_delay_alu instid0(SALU_CYCLE_1) | instskip(SKIP_1) | instid1(VALU_DEP_2)
	v_cndmask_b32_e64 v21, v14, v5, s14
	v_cndmask_b32_e64 v22, v55, v35, s14
	v_add_nc_u32_e32 v23, 1, v21
	s_delay_alu instid0(VALU_DEP_2) | instskip(NEXT) | instid1(VALU_DEP_2)
	v_add_nc_u32_e32 v22, -1, v22
	v_cndmask_b32_e64 v5, v5, v23, s14
	s_delay_alu instid0(VALU_DEP_2) | instskip(SKIP_1) | instid1(VALU_DEP_3)
	v_min_u32_e32 v22, v23, v22
	v_cndmask_b32_e64 v14, v23, v14, s14
	v_cmp_lt_u32_e64 s15, v5, v35
	s_delay_alu instid0(VALU_DEP_3) | instskip(NEXT) | instid1(VALU_DEP_3)
	v_lshl_add_u32 v22, v22, 1, v10
	v_cmp_ge_u32_e64 s17, v14, v55
	ds_load_u16 v22, v22
	s_waitcnt lgkmcnt(0)
	v_cndmask_b32_e64 v25, v22, v30, s14
	v_cndmask_b32_e64 v32, v64, v22, s14
	;; [unrolled: 1-line block ×3, first 2 shown]
	s_delay_alu instid0(VALU_DEP_3) | instskip(NEXT) | instid1(VALU_DEP_3)
	v_and_b32_e32 v22, v25, v54
	v_and_b32_e32 v26, v32, v54
	s_delay_alu instid0(VALU_DEP_1) | instskip(NEXT) | instid1(VALU_DEP_1)
	v_cmp_le_i16_e64 s16, v26, v22
	s_and_b32 s15, s15, s16
	s_delay_alu instid0(SALU_CYCLE_1) | instskip(NEXT) | instid1(SALU_CYCLE_1)
	s_or_b32 s15, s17, s15
	v_cndmask_b32_e64 v26, v14, v5, s15
	v_cndmask_b32_e64 v22, v55, v35, s15
	s_delay_alu instid0(VALU_DEP_2) | instskip(NEXT) | instid1(VALU_DEP_2)
	v_add_nc_u32_e32 v23, 1, v26
	v_add_nc_u32_e32 v22, -1, v22
	s_delay_alu instid0(VALU_DEP_2) | instskip(NEXT) | instid1(VALU_DEP_2)
	v_cndmask_b32_e64 v5, v5, v23, s15
	v_min_u32_e32 v22, v23, v22
	v_cndmask_b32_e64 v14, v23, v14, s15
	s_delay_alu instid0(VALU_DEP_3) | instskip(NEXT) | instid1(VALU_DEP_3)
	v_cmp_lt_u32_e64 s16, v5, v35
	v_lshl_add_u32 v22, v22, 1, v10
	s_delay_alu instid0(VALU_DEP_3)
	v_cmp_ge_u32_e64 s18, v14, v55
	ds_load_u16 v22, v22
	s_waitcnt lgkmcnt(0)
	v_cndmask_b32_e64 v65, v22, v25, s15
	v_cndmask_b32_e64 v66, v32, v22, s15
	;; [unrolled: 1-line block ×3, first 2 shown]
	s_delay_alu instid0(VALU_DEP_3) | instskip(NEXT) | instid1(VALU_DEP_3)
	v_and_b32_e32 v22, v65, v54
	v_and_b32_e32 v27, v66, v54
	s_delay_alu instid0(VALU_DEP_1) | instskip(NEXT) | instid1(VALU_DEP_1)
	v_cmp_le_i16_e64 s17, v27, v22
	s_and_b32 s16, s16, s17
	s_delay_alu instid0(SALU_CYCLE_1) | instskip(NEXT) | instid1(SALU_CYCLE_1)
	s_or_b32 s16, s18, s16
	v_cndmask_b32_e64 v27, v14, v5, s16
	v_cndmask_b32_e64 v22, v55, v35, s16
	;; [unrolled: 1-line block ×3, first 2 shown]
	s_delay_alu instid0(VALU_DEP_3) | instskip(NEXT) | instid1(VALU_DEP_3)
	v_add_nc_u32_e32 v23, 1, v27
	v_add_nc_u32_e32 v22, -1, v22
	s_delay_alu instid0(VALU_DEP_2) | instskip(NEXT) | instid1(VALU_DEP_2)
	v_cndmask_b32_e64 v5, v5, v23, s16
	v_min_u32_e32 v22, v23, v22
	v_cndmask_b32_e64 v14, v23, v14, s16
	s_delay_alu instid0(VALU_DEP_3) | instskip(NEXT) | instid1(VALU_DEP_3)
	v_cmp_lt_u32_e64 s17, v5, v35
	v_lshl_add_u32 v22, v22, 1, v10
	s_delay_alu instid0(VALU_DEP_3) | instskip(SKIP_4) | instid1(VALU_DEP_2)
	v_cmp_ge_u32_e64 s19, v14, v55
	ds_load_u16 v22, v22
	s_waitcnt lgkmcnt(0)
	v_cndmask_b32_e64 v33, v22, v65, s16
	v_cndmask_b32_e64 v67, v66, v22, s16
	v_and_b32_e32 v22, v33, v54
	s_delay_alu instid0(VALU_DEP_2) | instskip(NEXT) | instid1(VALU_DEP_1)
	v_and_b32_e32 v31, v67, v54
	v_cmp_le_i16_e64 s18, v31, v22
	s_delay_alu instid0(VALU_DEP_1) | instskip(NEXT) | instid1(SALU_CYCLE_1)
	s_and_b32 s17, s17, s18
	s_or_b32 s17, s19, s17
	s_delay_alu instid0(SALU_CYCLE_1) | instskip(SKIP_1) | instid1(VALU_DEP_2)
	v_cndmask_b32_e64 v31, v14, v5, s17
	v_cndmask_b32_e64 v22, v55, v35, s17
	v_add_nc_u32_e32 v23, 1, v31
	s_delay_alu instid0(VALU_DEP_2) | instskip(SKIP_1) | instid1(VALU_DEP_3)
	v_add_nc_u32_e32 v22, -1, v22
	v_lshl_add_u32 v31, v31, 3, v8
	v_cndmask_b32_e64 v34, v5, v23, s17
	s_delay_alu instid0(VALU_DEP_3) | instskip(SKIP_1) | instid1(VALU_DEP_3)
	v_min_u32_e32 v22, v23, v22
	v_cndmask_b32_e64 v14, v23, v14, s17
	v_cmp_lt_u32_e64 s18, v34, v35
	s_delay_alu instid0(VALU_DEP_3) | instskip(NEXT) | instid1(VALU_DEP_3)
	v_lshl_add_u32 v22, v22, 1, v10
	v_cmp_ge_u32_e64 s20, v14, v55
	ds_load_u16 v22, v22
	s_waitcnt lgkmcnt(0)
	v_cndmask_b32_e64 v68, v22, v33, s17
	v_cndmask_b32_e64 v69, v67, v22, s17
	;; [unrolled: 1-line block ×3, first 2 shown]
	s_delay_alu instid0(VALU_DEP_3) | instskip(NEXT) | instid1(VALU_DEP_3)
	v_and_b32_e32 v5, v68, v54
	v_and_b32_e32 v22, v69, v54
	s_delay_alu instid0(VALU_DEP_1)
	v_cmp_le_i16_e64 s19, v22, v5
	ds_load_b64 v[4:5], v4 offset:4096
	ds_load_b64 v[22:23], v15 offset:4096
	v_lshl_add_u32 v15, v21, 3, v8
	ds_load_b64 v[36:37], v20 offset:4096
	v_lshl_add_u32 v20, v26, 3, v8
	s_and_b32 s18, s18, s19
	v_lshl_add_u32 v21, v27, 3, v8
	s_or_b32 s18, s20, s18
	s_delay_alu instid0(SALU_CYCLE_1) | instskip(SKIP_3) | instid1(VALU_DEP_4)
	v_cndmask_b32_e64 v14, v14, v34, s18
	v_cndmask_b32_e64 v34, v16, v13, s7
	;; [unrolled: 1-line block ×3, first 2 shown]
	v_perm_b32 v18, v25, v32, 0x5040100
	v_lshl_add_u32 v14, v14, 3, v8
	ds_load_b64 v[26:27], v15 offset:4096
	ds_load_b64 v[48:49], v20 offset:4096
	;; [unrolled: 1-line block ×5, first 2 shown]
	v_cndmask_b32_e64 v31, v24, v19, s11
	v_cndmask_b32_e64 v24, v68, v69, s18
	v_perm_b32 v16, v13, v34, 0x5040100
	s_delay_alu instid0(VALU_DEP_3) | instskip(NEXT) | instid1(VALU_DEP_3)
	v_perm_b32 v17, v30, v31, 0x5040100
	v_perm_b32 v19, v24, v33, 0x5040100
.LBB1031_100:
	s_or_b32 exec_lo, exec_lo, s22
	v_and_b32_e32 v66, 0xc0, v53
	v_and_b32_e32 v64, 56, v53
	v_perm_b32 v70, v24, v33, 0x5040100
	v_perm_b32 v69, v25, v32, 0x5040100
	;; [unrolled: 1-line block ×3, first 2 shown]
	v_or_b32_e32 v35, 32, v66
	v_min_u32_e32 v67, v11, v64
	v_perm_b32 v80, v13, v34, 0x5040100
	s_mov_b32 s10, exec_lo
	s_delay_alu instid0(VALU_DEP_3)
	v_min_u32_e32 v35, v11, v35
	; wave barrier
	s_waitcnt lgkmcnt(4)
	ds_store_2addr_b64 v12, v[36:37], v[26:27] offset0:2 offset1:3
	s_waitcnt lgkmcnt(3)
	ds_store_2addr_b64 v12, v[48:49], v[20:21] offset0:4 offset1:5
	ds_store_2addr_b64 v12, v[4:5], v[22:23] offset1:1
	ds_store_2addr_b64 v9, v[80:81], v[69:70] offset1:1
	s_waitcnt lgkmcnt(4)
	ds_store_2addr_b64 v12, v[38:39], v[14:15] offset0:6 offset1:7
	v_add_nc_u32_e32 v55, 32, v35
	v_sub_nc_u32_e32 v64, v35, v66
	; wave barrier
	s_delay_alu instid0(VALU_DEP_2) | instskip(NEXT) | instid1(VALU_DEP_2)
	v_min_u32_e32 v55, v11, v55
	v_min_u32_e32 v68, v67, v64
	s_delay_alu instid0(VALU_DEP_2) | instskip(NEXT) | instid1(VALU_DEP_1)
	v_sub_nc_u32_e32 v65, v55, v35
	v_sub_nc_u32_e64 v64, v67, v65 clamp
	v_lshl_add_u32 v65, v66, 1, v10
	s_delay_alu instid0(VALU_DEP_2)
	v_cmpx_lt_u32_e64 v64, v68
	s_cbranch_execz .LBB1031_104
; %bb.101:
	v_lshlrev_b32_e32 v69, 1, v35
	v_lshlrev_b32_e32 v70, 1, v67
	s_mov_b32 s11, 0
	s_delay_alu instid0(VALU_DEP_1)
	v_add3_u32 v69, v10, v69, v70
	.p2align	6
.LBB1031_102:                           ; =>This Inner Loop Header: Depth=1
	v_add_nc_u32_e32 v70, v68, v64
	s_delay_alu instid0(VALU_DEP_1) | instskip(SKIP_1) | instid1(VALU_DEP_2)
	v_lshrrev_b32_e32 v71, 1, v70
	v_and_b32_e32 v70, -2, v70
	v_not_b32_e32 v80, v71
	s_delay_alu instid0(VALU_DEP_2) | instskip(SKIP_1) | instid1(VALU_DEP_3)
	v_add_nc_u32_e32 v70, v65, v70
	v_add_nc_u32_e32 v81, 1, v71
	v_lshl_add_u32 v80, v80, 1, v69
	ds_load_u16 v70, v70
	ds_load_u16 v80, v80
	s_waitcnt lgkmcnt(1)
	v_and_b32_e32 v70, v70, v54
	s_waitcnt lgkmcnt(0)
	v_and_b32_e32 v80, v80, v54
	s_delay_alu instid0(VALU_DEP_1) | instskip(NEXT) | instid1(VALU_DEP_1)
	v_cmp_gt_i16_e64 s7, v70, v80
	v_cndmask_b32_e64 v68, v68, v71, s7
	v_cndmask_b32_e64 v64, v81, v64, s7
	s_delay_alu instid0(VALU_DEP_1) | instskip(NEXT) | instid1(VALU_DEP_1)
	v_cmp_ge_u32_e64 s7, v64, v68
	s_or_b32 s11, s7, s11
	s_delay_alu instid0(SALU_CYCLE_1)
	s_and_not1_b32 exec_lo, exec_lo, s11
	s_cbranch_execnz .LBB1031_102
; %bb.103:
	s_or_b32 exec_lo, exec_lo, s11
.LBB1031_104:
	s_delay_alu instid0(SALU_CYCLE_1) | instskip(SKIP_2) | instid1(VALU_DEP_2)
	s_or_b32 exec_lo, exec_lo, s10
	v_add_nc_u32_e32 v68, v35, v67
	v_add_nc_u32_e32 v67, v64, v66
	v_sub_nc_u32_e32 v66, v68, v64
	s_delay_alu instid0(VALU_DEP_2) | instskip(NEXT) | instid1(VALU_DEP_2)
	v_cmp_le_u32_e64 s7, v67, v35
	v_cmp_le_u32_e64 s10, v66, v55
	s_delay_alu instid0(VALU_DEP_1) | instskip(NEXT) | instid1(SALU_CYCLE_1)
	s_or_b32 s7, s7, s10
	s_and_saveexec_b32 s22, s7
	s_cbranch_execz .LBB1031_110
; %bb.105:
	v_cmp_lt_u32_e64 s7, v67, v35
                                        ; implicit-def: $vgpr13
	s_delay_alu instid0(VALU_DEP_1)
	s_and_saveexec_b32 s10, s7
	s_cbranch_execz .LBB1031_107
; %bb.106:
	v_lshl_add_u32 v4, v64, 1, v65
	ds_load_u16 v13, v4
.LBB1031_107:
	s_or_b32 exec_lo, exec_lo, s10
	v_cmp_ge_u32_e64 s10, v66, v55
	s_mov_b32 s14, exec_lo
                                        ; implicit-def: $vgpr16
	v_cmpx_lt_u32_e64 v66, v55
	s_cbranch_execz .LBB1031_109
; %bb.108:
	v_lshl_add_u32 v4, v66, 1, v10
	ds_load_u16 v16, v4
.LBB1031_109:
	s_or_b32 exec_lo, exec_lo, s14
	s_waitcnt lgkmcnt(0)
	v_and_b32_e32 v4, v16, v54
	v_and_b32_e32 v5, v13, v54
	s_delay_alu instid0(VALU_DEP_1) | instskip(NEXT) | instid1(VALU_DEP_1)
	v_cmp_le_i16_e64 s11, v5, v4
	s_and_b32 s7, s7, s11
	s_delay_alu instid0(SALU_CYCLE_1) | instskip(NEXT) | instid1(SALU_CYCLE_1)
	s_or_b32 s7, s10, s7
	v_cndmask_b32_e64 v4, v66, v67, s7
	v_cndmask_b32_e64 v5, v55, v35, s7
	s_delay_alu instid0(VALU_DEP_2) | instskip(NEXT) | instid1(VALU_DEP_2)
	v_add_nc_u32_e32 v14, 1, v4
	v_add_nc_u32_e32 v5, -1, v5
	v_lshl_add_u32 v4, v4, 3, v8
	s_delay_alu instid0(VALU_DEP_2) | instskip(NEXT) | instid1(VALU_DEP_1)
	v_min_u32_e32 v5, v14, v5
	v_lshl_add_u32 v5, v5, 1, v10
	ds_load_u16 v5, v5
	s_waitcnt lgkmcnt(0)
	v_cndmask_b32_e64 v17, v5, v16, s7
	v_cndmask_b32_e64 v18, v13, v5, s7
	;; [unrolled: 1-line block ×4, first 2 shown]
	s_delay_alu instid0(VALU_DEP_4) | instskip(NEXT) | instid1(VALU_DEP_4)
	v_and_b32_e32 v15, v17, v54
	v_and_b32_e32 v19, v18, v54
	s_delay_alu instid0(VALU_DEP_4) | instskip(NEXT) | instid1(VALU_DEP_4)
	v_cmp_lt_u32_e64 s10, v5, v35
	v_cmp_ge_u32_e64 s14, v14, v55
	s_delay_alu instid0(VALU_DEP_3) | instskip(NEXT) | instid1(VALU_DEP_1)
	v_cmp_le_i16_e64 s11, v19, v15
	s_and_b32 s10, s10, s11
	s_delay_alu instid0(VALU_DEP_2) | instid1(SALU_CYCLE_1)
	s_or_b32 s10, s14, s10
	s_delay_alu instid0(SALU_CYCLE_1) | instskip(SKIP_1) | instid1(VALU_DEP_2)
	v_cndmask_b32_e64 v15, v14, v5, s10
	v_cndmask_b32_e64 v19, v55, v35, s10
	v_add_nc_u32_e32 v20, 1, v15
	s_delay_alu instid0(VALU_DEP_2) | instskip(SKIP_1) | instid1(VALU_DEP_3)
	v_add_nc_u32_e32 v19, -1, v19
	v_lshl_add_u32 v15, v15, 3, v8
	v_cndmask_b32_e64 v5, v5, v20, s10
	s_delay_alu instid0(VALU_DEP_3) | instskip(SKIP_1) | instid1(VALU_DEP_3)
	v_min_u32_e32 v19, v20, v19
	v_cndmask_b32_e64 v14, v20, v14, s10
	v_cmp_lt_u32_e64 s11, v5, v35
	s_delay_alu instid0(VALU_DEP_3) | instskip(NEXT) | instid1(VALU_DEP_3)
	v_lshl_add_u32 v19, v19, 1, v10
	v_cmp_ge_u32_e64 s15, v14, v55
	ds_load_u16 v19, v19
	s_waitcnt lgkmcnt(0)
	v_cndmask_b32_e64 v24, v19, v17, s10
	v_cndmask_b32_e64 v19, v18, v19, s10
	s_delay_alu instid0(VALU_DEP_2) | instskip(NEXT) | instid1(VALU_DEP_2)
	v_and_b32_e32 v21, v24, v54
	v_and_b32_e32 v22, v19, v54
	s_delay_alu instid0(VALU_DEP_1) | instskip(NEXT) | instid1(VALU_DEP_1)
	v_cmp_le_i16_e64 s14, v22, v21
	s_and_b32 s11, s11, s14
	s_delay_alu instid0(SALU_CYCLE_1) | instskip(NEXT) | instid1(SALU_CYCLE_1)
	s_or_b32 s11, s15, s11
	v_cndmask_b32_e64 v20, v14, v5, s11
	v_cndmask_b32_e64 v21, v55, v35, s11
	s_delay_alu instid0(VALU_DEP_2) | instskip(NEXT) | instid1(VALU_DEP_2)
	v_add_nc_u32_e32 v22, 1, v20
	v_add_nc_u32_e32 v21, -1, v21
	v_lshl_add_u32 v20, v20, 3, v8
	s_delay_alu instid0(VALU_DEP_3) | instskip(NEXT) | instid1(VALU_DEP_3)
	v_cndmask_b32_e64 v5, v5, v22, s11
	v_min_u32_e32 v21, v22, v21
	v_cndmask_b32_e64 v14, v22, v14, s11
	s_delay_alu instid0(VALU_DEP_3) | instskip(NEXT) | instid1(VALU_DEP_3)
	v_cmp_lt_u32_e64 s14, v5, v35
	v_lshl_add_u32 v21, v21, 1, v10
	s_delay_alu instid0(VALU_DEP_3) | instskip(SKIP_4) | instid1(VALU_DEP_2)
	v_cmp_ge_u32_e64 s16, v14, v55
	ds_load_u16 v21, v21
	s_waitcnt lgkmcnt(0)
	v_cndmask_b32_e64 v30, v21, v24, s11
	v_cndmask_b32_e64 v64, v19, v21, s11
	v_and_b32_e32 v21, v30, v54
	s_delay_alu instid0(VALU_DEP_2) | instskip(NEXT) | instid1(VALU_DEP_1)
	v_and_b32_e32 v23, v64, v54
	v_cmp_le_i16_e64 s15, v23, v21
	s_delay_alu instid0(VALU_DEP_1) | instskip(NEXT) | instid1(SALU_CYCLE_1)
	s_and_b32 s14, s14, s15
	s_or_b32 s14, s16, s14
	s_delay_alu instid0(SALU_CYCLE_1) | instskip(SKIP_1) | instid1(VALU_DEP_2)
	v_cndmask_b32_e64 v21, v14, v5, s14
	v_cndmask_b32_e64 v22, v55, v35, s14
	v_add_nc_u32_e32 v23, 1, v21
	s_delay_alu instid0(VALU_DEP_2) | instskip(NEXT) | instid1(VALU_DEP_2)
	v_add_nc_u32_e32 v22, -1, v22
	v_cndmask_b32_e64 v5, v5, v23, s14
	s_delay_alu instid0(VALU_DEP_2) | instskip(SKIP_1) | instid1(VALU_DEP_3)
	v_min_u32_e32 v22, v23, v22
	v_cndmask_b32_e64 v14, v23, v14, s14
	v_cmp_lt_u32_e64 s15, v5, v35
	s_delay_alu instid0(VALU_DEP_3) | instskip(NEXT) | instid1(VALU_DEP_3)
	v_lshl_add_u32 v22, v22, 1, v10
	v_cmp_ge_u32_e64 s17, v14, v55
	ds_load_u16 v22, v22
	s_waitcnt lgkmcnt(0)
	v_cndmask_b32_e64 v25, v22, v30, s14
	v_cndmask_b32_e64 v32, v64, v22, s14
	;; [unrolled: 1-line block ×3, first 2 shown]
	s_delay_alu instid0(VALU_DEP_3) | instskip(NEXT) | instid1(VALU_DEP_3)
	v_and_b32_e32 v22, v25, v54
	v_and_b32_e32 v26, v32, v54
	s_delay_alu instid0(VALU_DEP_1) | instskip(NEXT) | instid1(VALU_DEP_1)
	v_cmp_le_i16_e64 s16, v26, v22
	s_and_b32 s15, s15, s16
	s_delay_alu instid0(SALU_CYCLE_1) | instskip(NEXT) | instid1(SALU_CYCLE_1)
	s_or_b32 s15, s17, s15
	v_cndmask_b32_e64 v26, v14, v5, s15
	v_cndmask_b32_e64 v22, v55, v35, s15
	s_delay_alu instid0(VALU_DEP_2) | instskip(NEXT) | instid1(VALU_DEP_2)
	v_add_nc_u32_e32 v23, 1, v26
	v_add_nc_u32_e32 v22, -1, v22
	s_delay_alu instid0(VALU_DEP_2) | instskip(NEXT) | instid1(VALU_DEP_2)
	v_cndmask_b32_e64 v5, v5, v23, s15
	v_min_u32_e32 v22, v23, v22
	v_cndmask_b32_e64 v14, v23, v14, s15
	s_delay_alu instid0(VALU_DEP_3) | instskip(NEXT) | instid1(VALU_DEP_3)
	v_cmp_lt_u32_e64 s16, v5, v35
	v_lshl_add_u32 v22, v22, 1, v10
	s_delay_alu instid0(VALU_DEP_3)
	v_cmp_ge_u32_e64 s18, v14, v55
	ds_load_u16 v22, v22
	s_waitcnt lgkmcnt(0)
	v_cndmask_b32_e64 v65, v22, v25, s15
	v_cndmask_b32_e64 v66, v32, v22, s15
	;; [unrolled: 1-line block ×3, first 2 shown]
	s_delay_alu instid0(VALU_DEP_3) | instskip(NEXT) | instid1(VALU_DEP_3)
	v_and_b32_e32 v22, v65, v54
	v_and_b32_e32 v27, v66, v54
	s_delay_alu instid0(VALU_DEP_1) | instskip(NEXT) | instid1(VALU_DEP_1)
	v_cmp_le_i16_e64 s17, v27, v22
	s_and_b32 s16, s16, s17
	s_delay_alu instid0(SALU_CYCLE_1) | instskip(NEXT) | instid1(SALU_CYCLE_1)
	s_or_b32 s16, s18, s16
	v_cndmask_b32_e64 v27, v14, v5, s16
	v_cndmask_b32_e64 v22, v55, v35, s16
	;; [unrolled: 1-line block ×3, first 2 shown]
	s_delay_alu instid0(VALU_DEP_3) | instskip(NEXT) | instid1(VALU_DEP_3)
	v_add_nc_u32_e32 v23, 1, v27
	v_add_nc_u32_e32 v22, -1, v22
	s_delay_alu instid0(VALU_DEP_2) | instskip(NEXT) | instid1(VALU_DEP_2)
	v_cndmask_b32_e64 v5, v5, v23, s16
	v_min_u32_e32 v22, v23, v22
	v_cndmask_b32_e64 v14, v23, v14, s16
	s_delay_alu instid0(VALU_DEP_3) | instskip(NEXT) | instid1(VALU_DEP_3)
	v_cmp_lt_u32_e64 s17, v5, v35
	v_lshl_add_u32 v22, v22, 1, v10
	s_delay_alu instid0(VALU_DEP_3) | instskip(SKIP_4) | instid1(VALU_DEP_2)
	v_cmp_ge_u32_e64 s19, v14, v55
	ds_load_u16 v22, v22
	s_waitcnt lgkmcnt(0)
	v_cndmask_b32_e64 v33, v22, v65, s16
	v_cndmask_b32_e64 v67, v66, v22, s16
	v_and_b32_e32 v22, v33, v54
	s_delay_alu instid0(VALU_DEP_2) | instskip(NEXT) | instid1(VALU_DEP_1)
	v_and_b32_e32 v31, v67, v54
	v_cmp_le_i16_e64 s18, v31, v22
	s_delay_alu instid0(VALU_DEP_1) | instskip(NEXT) | instid1(SALU_CYCLE_1)
	s_and_b32 s17, s17, s18
	s_or_b32 s17, s19, s17
	s_delay_alu instid0(SALU_CYCLE_1) | instskip(SKIP_1) | instid1(VALU_DEP_2)
	v_cndmask_b32_e64 v31, v14, v5, s17
	v_cndmask_b32_e64 v22, v55, v35, s17
	v_add_nc_u32_e32 v23, 1, v31
	s_delay_alu instid0(VALU_DEP_2) | instskip(SKIP_1) | instid1(VALU_DEP_3)
	v_add_nc_u32_e32 v22, -1, v22
	v_lshl_add_u32 v31, v31, 3, v8
	v_cndmask_b32_e64 v34, v5, v23, s17
	s_delay_alu instid0(VALU_DEP_3) | instskip(SKIP_1) | instid1(VALU_DEP_3)
	v_min_u32_e32 v22, v23, v22
	v_cndmask_b32_e64 v14, v23, v14, s17
	v_cmp_lt_u32_e64 s18, v34, v35
	s_delay_alu instid0(VALU_DEP_3) | instskip(NEXT) | instid1(VALU_DEP_3)
	v_lshl_add_u32 v22, v22, 1, v10
	v_cmp_ge_u32_e64 s20, v14, v55
	ds_load_u16 v22, v22
	s_waitcnt lgkmcnt(0)
	v_cndmask_b32_e64 v68, v22, v33, s17
	v_cndmask_b32_e64 v69, v67, v22, s17
	;; [unrolled: 1-line block ×3, first 2 shown]
	s_delay_alu instid0(VALU_DEP_3) | instskip(NEXT) | instid1(VALU_DEP_3)
	v_and_b32_e32 v5, v68, v54
	v_and_b32_e32 v22, v69, v54
	s_delay_alu instid0(VALU_DEP_1)
	v_cmp_le_i16_e64 s19, v22, v5
	ds_load_b64 v[4:5], v4 offset:4096
	ds_load_b64 v[22:23], v15 offset:4096
	v_lshl_add_u32 v15, v21, 3, v8
	ds_load_b64 v[36:37], v20 offset:4096
	v_lshl_add_u32 v20, v26, 3, v8
	s_and_b32 s18, s18, s19
	v_lshl_add_u32 v21, v27, 3, v8
	s_or_b32 s18, s20, s18
	s_delay_alu instid0(SALU_CYCLE_1) | instskip(SKIP_3) | instid1(VALU_DEP_4)
	v_cndmask_b32_e64 v14, v14, v34, s18
	v_cndmask_b32_e64 v34, v16, v13, s7
	v_cndmask_b32_e64 v13, v17, v18, s10
	v_perm_b32 v18, v25, v32, 0x5040100
	v_lshl_add_u32 v14, v14, 3, v8
	ds_load_b64 v[26:27], v15 offset:4096
	ds_load_b64 v[48:49], v20 offset:4096
	;; [unrolled: 1-line block ×5, first 2 shown]
	v_cndmask_b32_e64 v31, v24, v19, s11
	v_cndmask_b32_e64 v24, v68, v69, s18
	v_perm_b32 v16, v13, v34, 0x5040100
	s_delay_alu instid0(VALU_DEP_3) | instskip(NEXT) | instid1(VALU_DEP_3)
	v_perm_b32 v17, v30, v31, 0x5040100
	v_perm_b32 v19, v24, v33, 0x5040100
.LBB1031_110:
	s_or_b32 exec_lo, exec_lo, s22
	v_and_b32_e32 v55, 0x80, v53
	v_min_u32_e32 v52, v11, v52
	v_perm_b32 v33, v24, v33, 0x5040100
	v_perm_b32 v31, v30, v31, 0x5040100
	;; [unrolled: 1-line block ×3, first 2 shown]
	v_or_b32_e32 v35, 64, v55
	v_lshl_add_u32 v13, v55, 1, v10
	v_perm_b32 v32, v25, v32, 0x5040100
	s_mov_b32 s10, exec_lo
	s_delay_alu instid0(VALU_DEP_3)
	v_min_u32_e32 v53, v11, v35
	; wave barrier
	s_waitcnt lgkmcnt(4)
	ds_store_2addr_b64 v12, v[36:37], v[26:27] offset0:2 offset1:3
	s_waitcnt lgkmcnt(3)
	ds_store_2addr_b64 v12, v[48:49], v[20:21] offset0:4 offset1:5
	ds_store_2addr_b64 v12, v[4:5], v[22:23] offset1:1
	ds_store_2addr_b64 v9, v[30:31], v[32:33] offset1:1
	s_waitcnt lgkmcnt(4)
	ds_store_2addr_b64 v12, v[38:39], v[14:15] offset0:6 offset1:7
	v_add_nc_u32_e32 v35, 64, v53
	; wave barrier
	s_delay_alu instid0(VALU_DEP_1) | instskip(SKIP_1) | instid1(VALU_DEP_2)
	v_min_u32_e32 v35, v11, v35
	v_sub_nc_u32_e32 v11, v53, v55
	v_sub_nc_u32_e32 v64, v35, v53
	s_delay_alu instid0(VALU_DEP_2) | instskip(NEXT) | instid1(VALU_DEP_2)
	v_min_u32_e32 v24, v52, v11
	v_sub_nc_u32_e64 v11, v52, v64 clamp
	s_delay_alu instid0(VALU_DEP_1)
	v_cmpx_lt_u32_e64 v11, v24
	s_cbranch_execz .LBB1031_114
; %bb.111:
	v_lshlrev_b32_e32 v9, 1, v53
	v_lshlrev_b32_e32 v12, 1, v52
	s_mov_b32 s11, 0
	s_delay_alu instid0(VALU_DEP_1)
	v_add3_u32 v9, v10, v9, v12
	.p2align	6
.LBB1031_112:                           ; =>This Inner Loop Header: Depth=1
	v_add_nc_u32_e32 v12, v24, v11
	s_delay_alu instid0(VALU_DEP_1) | instskip(SKIP_1) | instid1(VALU_DEP_2)
	v_lshrrev_b32_e32 v25, 1, v12
	v_and_b32_e32 v12, -2, v12
	v_not_b32_e32 v30, v25
	s_delay_alu instid0(VALU_DEP_2) | instskip(SKIP_1) | instid1(VALU_DEP_3)
	v_add_nc_u32_e32 v12, v13, v12
	v_add_nc_u32_e32 v31, 1, v25
	v_lshl_add_u32 v30, v30, 1, v9
	ds_load_u16 v12, v12
	ds_load_u16 v30, v30
	s_waitcnt lgkmcnt(1)
	v_and_b32_e32 v12, v12, v54
	s_waitcnt lgkmcnt(0)
	v_and_b32_e32 v30, v30, v54
	s_delay_alu instid0(VALU_DEP_1) | instskip(NEXT) | instid1(VALU_DEP_1)
	v_cmp_gt_i16_e64 s7, v12, v30
	v_cndmask_b32_e64 v24, v24, v25, s7
	v_cndmask_b32_e64 v11, v31, v11, s7
	s_delay_alu instid0(VALU_DEP_1) | instskip(NEXT) | instid1(VALU_DEP_1)
	v_cmp_ge_u32_e64 s7, v11, v24
	s_or_b32 s11, s7, s11
	s_delay_alu instid0(SALU_CYCLE_1)
	s_and_not1_b32 exec_lo, exec_lo, s11
	s_cbranch_execnz .LBB1031_112
; %bb.113:
	s_or_b32 exec_lo, exec_lo, s11
.LBB1031_114:
	s_delay_alu instid0(SALU_CYCLE_1) | instskip(SKIP_2) | instid1(VALU_DEP_2)
	s_or_b32 exec_lo, exec_lo, s10
	v_add_nc_u32_e32 v9, v53, v52
	v_add_nc_u32_e32 v24, v11, v55
	v_sub_nc_u32_e32 v12, v9, v11
	s_delay_alu instid0(VALU_DEP_2) | instskip(NEXT) | instid1(VALU_DEP_2)
	v_cmp_le_u32_e64 s7, v24, v53
	v_cmp_le_u32_e64 s10, v12, v35
	s_delay_alu instid0(VALU_DEP_1) | instskip(NEXT) | instid1(SALU_CYCLE_1)
	s_or_b32 s7, s7, s10
	s_and_saveexec_b32 s22, s7
	s_cbranch_execz .LBB1031_120
; %bb.115:
	v_cmp_lt_u32_e64 s7, v24, v53
                                        ; implicit-def: $vgpr9
	s_delay_alu instid0(VALU_DEP_1)
	s_and_saveexec_b32 s10, s7
	s_cbranch_execz .LBB1031_117
; %bb.116:
	v_lshl_add_u32 v4, v11, 1, v13
	ds_load_u16 v9, v4
.LBB1031_117:
	s_or_b32 exec_lo, exec_lo, s10
	v_cmp_ge_u32_e64 s10, v12, v35
	s_mov_b32 s14, exec_lo
                                        ; implicit-def: $vgpr11
	v_cmpx_lt_u32_e64 v12, v35
	s_cbranch_execz .LBB1031_119
; %bb.118:
	v_lshl_add_u32 v4, v12, 1, v10
	ds_load_u16 v11, v4
.LBB1031_119:
	s_or_b32 exec_lo, exec_lo, s14
	s_waitcnt lgkmcnt(0)
	v_and_b32_e32 v4, v11, v54
	v_and_b32_e32 v5, v9, v54
	s_delay_alu instid0(VALU_DEP_1) | instskip(NEXT) | instid1(VALU_DEP_1)
	v_cmp_le_i16_e64 s11, v5, v4
	s_and_b32 s7, s7, s11
	s_delay_alu instid0(SALU_CYCLE_1) | instskip(NEXT) | instid1(SALU_CYCLE_1)
	s_or_b32 s7, s10, s7
	v_cndmask_b32_e64 v4, v12, v24, s7
	v_cndmask_b32_e64 v5, v35, v53, s7
	s_delay_alu instid0(VALU_DEP_2) | instskip(NEXT) | instid1(VALU_DEP_2)
	v_add_nc_u32_e32 v13, 1, v4
	v_add_nc_u32_e32 v5, -1, v5
	v_lshl_add_u32 v4, v4, 3, v8
	s_delay_alu instid0(VALU_DEP_3) | instskip(NEXT) | instid1(VALU_DEP_3)
	v_cndmask_b32_e64 v12, v13, v12, s7
	v_min_u32_e32 v5, v13, v5
	s_delay_alu instid0(VALU_DEP_2) | instskip(NEXT) | instid1(VALU_DEP_2)
	v_cmp_ge_u32_e64 s14, v12, v35
	v_lshl_add_u32 v5, v5, 1, v10
	ds_load_u16 v5, v5
	s_waitcnt lgkmcnt(0)
	v_cndmask_b32_e64 v16, v5, v11, s7
	v_cndmask_b32_e64 v17, v9, v5, s7
	;; [unrolled: 1-line block ×3, first 2 shown]
	s_delay_alu instid0(VALU_DEP_3) | instskip(NEXT) | instid1(VALU_DEP_3)
	v_and_b32_e32 v14, v16, v54
	v_and_b32_e32 v15, v17, v54
	s_delay_alu instid0(VALU_DEP_3) | instskip(NEXT) | instid1(VALU_DEP_2)
	v_cmp_lt_u32_e64 s10, v5, v53
	v_cmp_le_i16_e64 s11, v15, v14
	s_delay_alu instid0(VALU_DEP_1) | instskip(NEXT) | instid1(SALU_CYCLE_1)
	s_and_b32 s10, s10, s11
	s_or_b32 s10, s14, s10
	s_delay_alu instid0(SALU_CYCLE_1) | instskip(SKIP_1) | instid1(VALU_DEP_2)
	v_cndmask_b32_e64 v13, v12, v5, s10
	v_cndmask_b32_e64 v14, v35, v53, s10
	v_add_nc_u32_e32 v15, 1, v13
	s_delay_alu instid0(VALU_DEP_2) | instskip(SKIP_1) | instid1(VALU_DEP_3)
	v_add_nc_u32_e32 v14, -1, v14
	v_lshl_add_u32 v13, v13, 3, v8
	v_cndmask_b32_e64 v5, v5, v15, s10
	s_delay_alu instid0(VALU_DEP_3) | instskip(SKIP_1) | instid1(VALU_DEP_3)
	v_min_u32_e32 v14, v15, v14
	v_cndmask_b32_e64 v12, v15, v12, s10
	v_cmp_lt_u32_e64 s11, v5, v53
	s_delay_alu instid0(VALU_DEP_3) | instskip(NEXT) | instid1(VALU_DEP_3)
	v_lshl_add_u32 v14, v14, 1, v10
	v_cmp_ge_u32_e64 s15, v12, v35
	ds_load_u16 v14, v14
	s_waitcnt lgkmcnt(0)
	v_cndmask_b32_e64 v18, v14, v16, s10
	v_cndmask_b32_e64 v19, v17, v14, s10
	;; [unrolled: 1-line block ×3, first 2 shown]
	s_delay_alu instid0(VALU_DEP_3) | instskip(NEXT) | instid1(VALU_DEP_3)
	v_and_b32_e32 v14, v18, v54
	v_and_b32_e32 v20, v19, v54
	s_delay_alu instid0(VALU_DEP_1) | instskip(NEXT) | instid1(VALU_DEP_1)
	v_cmp_le_i16_e64 s14, v20, v14
	s_and_b32 s11, s11, s14
	s_delay_alu instid0(SALU_CYCLE_1) | instskip(NEXT) | instid1(SALU_CYCLE_1)
	s_or_b32 s11, s15, s11
	v_cndmask_b32_e64 v14, v12, v5, s11
	v_cndmask_b32_e64 v15, v35, v53, s11
	s_delay_alu instid0(VALU_DEP_2) | instskip(NEXT) | instid1(VALU_DEP_2)
	v_add_nc_u32_e32 v20, 1, v14
	v_add_nc_u32_e32 v15, -1, v15
	v_lshl_add_u32 v14, v14, 3, v8
	s_delay_alu instid0(VALU_DEP_3) | instskip(NEXT) | instid1(VALU_DEP_3)
	v_cndmask_b32_e64 v5, v5, v20, s11
	v_min_u32_e32 v15, v20, v15
	v_cndmask_b32_e64 v12, v20, v12, s11
	s_delay_alu instid0(VALU_DEP_3) | instskip(NEXT) | instid1(VALU_DEP_3)
	v_cmp_lt_u32_e64 s14, v5, v53
	v_lshl_add_u32 v15, v15, 1, v10
	s_delay_alu instid0(VALU_DEP_3) | instskip(SKIP_4) | instid1(VALU_DEP_2)
	v_cmp_ge_u32_e64 s16, v12, v35
	ds_load_u16 v15, v15
	s_waitcnt lgkmcnt(0)
	v_cndmask_b32_e64 v24, v15, v18, s11
	v_cndmask_b32_e64 v25, v19, v15, s11
	v_and_b32_e32 v15, v24, v54
	s_delay_alu instid0(VALU_DEP_2) | instskip(NEXT) | instid1(VALU_DEP_1)
	v_and_b32_e32 v21, v25, v54
	v_cmp_le_i16_e64 s15, v21, v15
	s_delay_alu instid0(VALU_DEP_1) | instskip(NEXT) | instid1(SALU_CYCLE_1)
	s_and_b32 s14, s14, s15
	s_or_b32 s14, s16, s14
	s_delay_alu instid0(SALU_CYCLE_1) | instskip(SKIP_1) | instid1(VALU_DEP_2)
	v_cndmask_b32_e64 v15, v12, v5, s14
	v_cndmask_b32_e64 v20, v35, v53, s14
	v_add_nc_u32_e32 v21, 1, v15
	s_delay_alu instid0(VALU_DEP_2) | instskip(NEXT) | instid1(VALU_DEP_2)
	v_add_nc_u32_e32 v20, -1, v20
	v_cndmask_b32_e64 v5, v5, v21, s14
	s_delay_alu instid0(VALU_DEP_2) | instskip(SKIP_1) | instid1(VALU_DEP_3)
	v_min_u32_e32 v20, v21, v20
	v_cndmask_b32_e64 v12, v21, v12, s14
	v_cmp_lt_u32_e64 s15, v5, v53
	s_delay_alu instid0(VALU_DEP_3) | instskip(NEXT) | instid1(VALU_DEP_3)
	v_lshl_add_u32 v20, v20, 1, v10
	v_cmp_ge_u32_e64 s17, v12, v35
	ds_load_u16 v20, v20
	s_waitcnt lgkmcnt(0)
	v_cndmask_b32_e64 v30, v20, v24, s14
	v_cndmask_b32_e64 v31, v25, v20, s14
	;; [unrolled: 1-line block ×3, first 2 shown]
	s_delay_alu instid0(VALU_DEP_3) | instskip(NEXT) | instid1(VALU_DEP_3)
	v_and_b32_e32 v20, v30, v54
	v_and_b32_e32 v22, v31, v54
	s_delay_alu instid0(VALU_DEP_1) | instskip(NEXT) | instid1(VALU_DEP_1)
	v_cmp_le_i16_e64 s16, v22, v20
	s_and_b32 s15, s15, s16
	s_delay_alu instid0(SALU_CYCLE_1) | instskip(NEXT) | instid1(SALU_CYCLE_1)
	s_or_b32 s15, s17, s15
	v_cndmask_b32_e64 v20, v12, v5, s15
	v_cndmask_b32_e64 v21, v35, v53, s15
	s_delay_alu instid0(VALU_DEP_2) | instskip(NEXT) | instid1(VALU_DEP_2)
	v_add_nc_u32_e32 v22, 1, v20
	v_add_nc_u32_e32 v21, -1, v21
	s_delay_alu instid0(VALU_DEP_2) | instskip(NEXT) | instid1(VALU_DEP_2)
	v_cndmask_b32_e64 v5, v5, v22, s15
	v_min_u32_e32 v21, v22, v21
	v_cndmask_b32_e64 v12, v22, v12, s15
	s_delay_alu instid0(VALU_DEP_3) | instskip(NEXT) | instid1(VALU_DEP_3)
	v_cmp_lt_u32_e64 s16, v5, v53
	v_lshl_add_u32 v21, v21, 1, v10
	s_delay_alu instid0(VALU_DEP_3) | instskip(SKIP_4) | instid1(VALU_DEP_2)
	v_cmp_ge_u32_e64 s18, v12, v35
	ds_load_u16 v21, v21
	s_waitcnt lgkmcnt(0)
	v_cndmask_b32_e64 v32, v21, v30, s15
	v_cndmask_b32_e64 v33, v31, v21, s15
	v_and_b32_e32 v21, v32, v54
	s_delay_alu instid0(VALU_DEP_2) | instskip(NEXT) | instid1(VALU_DEP_1)
	v_and_b32_e32 v23, v33, v54
	v_cmp_le_i16_e64 s17, v23, v21
	s_delay_alu instid0(VALU_DEP_1) | instskip(NEXT) | instid1(SALU_CYCLE_1)
	s_and_b32 s16, s16, s17
	s_or_b32 s16, s18, s16
	s_delay_alu instid0(SALU_CYCLE_1) | instskip(SKIP_1) | instid1(VALU_DEP_2)
	v_cndmask_b32_e64 v21, v12, v5, s16
	v_cndmask_b32_e64 v22, v35, v53, s16
	v_add_nc_u32_e32 v23, 1, v21
	s_delay_alu instid0(VALU_DEP_2) | instskip(NEXT) | instid1(VALU_DEP_2)
	v_add_nc_u32_e32 v22, -1, v22
	v_cndmask_b32_e64 v5, v5, v23, s16
	s_delay_alu instid0(VALU_DEP_2) | instskip(SKIP_1) | instid1(VALU_DEP_3)
	v_min_u32_e32 v22, v23, v22
	v_cndmask_b32_e64 v12, v23, v12, s16
	v_cmp_lt_u32_e64 s17, v5, v53
	s_delay_alu instid0(VALU_DEP_3) | instskip(NEXT) | instid1(VALU_DEP_3)
	v_lshl_add_u32 v22, v22, 1, v10
	v_cmp_ge_u32_e64 s19, v12, v35
	ds_load_u16 v22, v22
	s_waitcnt lgkmcnt(0)
	v_cndmask_b32_e64 v34, v22, v32, s16
	v_cndmask_b32_e64 v52, v33, v22, s16
	s_delay_alu instid0(VALU_DEP_2) | instskip(NEXT) | instid1(VALU_DEP_2)
	v_and_b32_e32 v22, v34, v54
	v_and_b32_e32 v26, v52, v54
	s_delay_alu instid0(VALU_DEP_1) | instskip(NEXT) | instid1(VALU_DEP_1)
	v_cmp_le_i16_e64 s18, v26, v22
	s_and_b32 s17, s17, s18
	s_delay_alu instid0(SALU_CYCLE_1) | instskip(NEXT) | instid1(SALU_CYCLE_1)
	s_or_b32 s17, s19, s17
	v_cndmask_b32_e64 v26, v12, v5, s17
	v_cndmask_b32_e64 v22, v35, v53, s17
	s_delay_alu instid0(VALU_DEP_2) | instskip(NEXT) | instid1(VALU_DEP_2)
	v_add_nc_u32_e32 v23, 1, v26
	v_add_nc_u32_e32 v22, -1, v22
	s_delay_alu instid0(VALU_DEP_2) | instskip(NEXT) | instid1(VALU_DEP_2)
	v_cndmask_b32_e64 v27, v5, v23, s17
	v_min_u32_e32 v22, v23, v22
	v_cndmask_b32_e64 v12, v23, v12, s17
	s_delay_alu instid0(VALU_DEP_3) | instskip(NEXT) | instid1(VALU_DEP_3)
	v_cmp_lt_u32_e64 s18, v27, v53
	v_lshl_add_u32 v10, v22, 1, v10
	s_delay_alu instid0(VALU_DEP_3)
	v_cmp_ge_u32_e64 s20, v12, v35
	v_lshl_add_u32 v35, v26, 3, v8
	ds_load_u16 v10, v10
	s_waitcnt lgkmcnt(0)
	v_cndmask_b32_e64 v55, v10, v34, s17
	v_cndmask_b32_e64 v10, v52, v10, s17
	s_delay_alu instid0(VALU_DEP_2) | instskip(NEXT) | instid1(VALU_DEP_2)
	v_and_b32_e32 v5, v55, v54
	v_and_b32_e32 v22, v10, v54
	s_delay_alu instid0(VALU_DEP_1)
	v_cmp_le_i16_e64 s19, v22, v5
	ds_load_b64 v[4:5], v4 offset:4096
	ds_load_b64 v[22:23], v13 offset:4096
	v_lshl_add_u32 v13, v15, 3, v8
	ds_load_b64 v[36:37], v14 offset:4096
	v_lshl_add_u32 v14, v20, 3, v8
	s_and_b32 s18, s18, s19
	v_lshl_add_u32 v15, v21, 3, v8
	s_or_b32 s18, s20, s18
	s_delay_alu instid0(SALU_CYCLE_1) | instskip(SKIP_1) | instid1(VALU_DEP_2)
	v_cndmask_b32_e64 v12, v12, v27, s18
	v_cndmask_b32_e64 v10, v55, v10, s18
	v_lshl_add_u32 v8, v12, 3, v8
	ds_load_b64 v[26:27], v13 offset:4096
	ds_load_b64 v[48:49], v14 offset:4096
	;; [unrolled: 1-line block ×5, first 2 shown]
	v_cndmask_b32_e64 v8, v11, v9, s7
	v_cndmask_b32_e64 v9, v18, v19, s11
	;; [unrolled: 1-line block ×5, first 2 shown]
	v_perm_b32 v16, v16, v8, 0x5040100
	v_perm_b32 v17, v24, v9, 0x5040100
	s_delay_alu instid0(VALU_DEP_4) | instskip(NEXT) | instid1(VALU_DEP_4)
	v_perm_b32 v19, v10, v12, 0x5040100
	v_perm_b32 v18, v13, v11, 0x5040100
.LBB1031_120:
	s_or_b32 exec_lo, exec_lo, s22
	; wave barrier
	s_waitcnt lgkmcnt(0)
	s_waitcnt_vscnt null, 0x0
	s_barrier
                                        ; implicit-def: $vgpr53
                                        ; implicit-def: $vgpr32_vgpr33_vgpr34_vgpr35
                                        ; implicit-def: $vgpr52
                                        ; implicit-def: $vgpr9
                                        ; implicit-def: $vgpr12
                                        ; implicit-def: $vgpr8
.LBB1031_121:
	s_and_not1_saveexec_b32 s17, s21
	s_cbranch_execz .LBB1031_217
; %bb.122:
	s_load_b64 s[10:11], s[8:9], 0x0
	v_mov_b32_e32 v10, 0
	s_waitcnt vmcnt(0) lgkmcnt(0)
	v_dual_mov_b32 v16, v32 :: v_dual_mov_b32 v19, v35
	v_dual_mov_b32 v17, v33 :: v_dual_mov_b32 v18, v34
	s_cmp_lt_u32 s13, s11
	s_cselect_b32 s7, 14, 20
	s_delay_alu instid0(SALU_CYCLE_1) | instskip(SKIP_4) | instid1(SALU_CYCLE_1)
	s_add_u32 s14, s8, s7
	s_addc_u32 s15, s9, 0
	s_cmp_lt_u32 s12, s10
	global_load_u16 v11, v10, s[14:15]
	s_cselect_b32 s7, 12, 18
	s_add_u32 s8, s8, s7
	s_addc_u32 s9, s9, 0
	global_load_u16 v10, v10, s[8:9]
	s_mov_b32 s9, exec_lo
	s_waitcnt vmcnt(1)
	v_mad_u32_u24 v9, v12, v11, v9
	s_waitcnt vmcnt(0)
	s_delay_alu instid0(VALU_DEP_1) | instskip(NEXT) | instid1(VALU_DEP_1)
	v_mul_lo_u32 v9, v9, v10
	v_add_lshl_u32 v54, v9, v8, 3
	s_delay_alu instid0(VALU_DEP_1)
	v_cmpx_gt_u32_e32 0x800, v54
	s_cbranch_execz .LBB1031_176
; %bb.123:
	v_dual_mov_b32 v8, v32 :: v_dual_mov_b32 v9, v33
	v_lshrrev_b32_e32 v55, 16, v32
	v_dual_mov_b32 v31, v23 :: v_dual_mov_b32 v30, v22
	v_dual_mov_b32 v10, v34 :: v_dual_mov_b32 v11, v35
	v_mov_b32_e32 v64, v32
	s_mov_b32 s8, exec_lo
	v_cmpx_gt_i16_e64 v32, v55
; %bb.124:
	v_mov_b32_e32 v31, v5
	v_dual_mov_b32 v11, v35 :: v_dual_mov_b32 v30, v4
	v_mov_b32_e32 v4, v22
	v_alignbit_b32 v8, v32, v32, 16
	v_dual_mov_b32 v9, v33 :: v_dual_mov_b32 v10, v34
	v_mov_b32_e32 v5, v23
	v_dual_mov_b32 v64, v55 :: v_dual_mov_b32 v55, v32
; %bb.125:
	s_or_b32 exec_lo, exec_lo, s8
	s_delay_alu instid0(VALU_DEP_3) | instskip(SKIP_3) | instid1(VALU_DEP_4)
	v_lshrrev_b32_e32 v12, 16, v9
	v_dual_mov_b32 v25, v11 :: v_dual_mov_b32 v24, v10
	v_dual_mov_b32 v33, v27 :: v_dual_mov_b32 v32, v26
	;; [unrolled: 1-line block ×3, first 2 shown]
	v_mov_b32_e32 v65, v12
	s_mov_b32 s8, exec_lo
	v_cmpx_gt_i16_e64 v9, v12
; %bb.126:
	v_mov_b32_e32 v32, v36
	v_dual_mov_b32 v24, v10 :: v_dual_mov_b32 v33, v37
	v_mov_b32_e32 v37, v27
	v_alignbit_b32 v23, v9, v9, 16
	v_dual_mov_b32 v22, v8 :: v_dual_mov_b32 v25, v11
	v_dual_mov_b32 v36, v26 :: v_dual_mov_b32 v65, v9
	v_mov_b32_e32 v9, v12
; %bb.127:
	s_or_b32 exec_lo, exec_lo, s8
	v_lshrrev_b32_e32 v8, 16, v24
	v_dual_mov_b32 v10, v22 :: v_dual_mov_b32 v11, v23
	v_dual_mov_b32 v26, v48 :: v_dual_mov_b32 v27, v49
	;; [unrolled: 1-line block ×3, first 2 shown]
	s_delay_alu instid0(VALU_DEP_4)
	v_mov_b32_e32 v66, v8
	s_mov_b32 s8, exec_lo
	v_cmpx_gt_i16_e64 v24, v8
; %bb.128:
	v_mov_b32_e32 v27, v21
	v_dual_mov_b32 v13, v25 :: v_dual_mov_b32 v26, v20
	v_mov_b32_e32 v20, v48
	v_alignbit_b32 v12, v24, v24, 16
	v_dual_mov_b32 v10, v22 :: v_dual_mov_b32 v11, v23
	v_dual_mov_b32 v21, v49 :: v_dual_mov_b32 v66, v24
	v_mov_b32_e32 v24, v8
; %bb.129:
	s_or_b32 exec_lo, exec_lo, s8
	v_lshrrev_b32_e32 v8, 16, v13
	v_dual_mov_b32 v19, v13 :: v_dual_mov_b32 v18, v12
	v_dual_mov_b32 v22, v38 :: v_dual_mov_b32 v23, v39
	;; [unrolled: 1-line block ×3, first 2 shown]
	s_delay_alu instid0(VALU_DEP_4)
	v_mov_b32_e32 v48, v8
	s_mov_b32 s8, exec_lo
	v_cmpx_gt_i16_e64 v13, v8
; %bb.130:
	v_dual_mov_b32 v18, v12 :: v_dual_mov_b32 v23, v15
	v_mov_b32_e32 v22, v14
	v_mov_b32_e32 v14, v38
	v_alignbit_b32 v19, v13, v13, 16
	v_dual_mov_b32 v16, v10 :: v_dual_mov_b32 v17, v11
	v_dual_mov_b32 v15, v39 :: v_dual_mov_b32 v48, v13
	v_mov_b32_e32 v13, v8
; %bb.131:
	s_or_b32 exec_lo, exec_lo, s8
	v_cmp_gt_i16_e64 s7, v55, v9
	v_dual_mov_b32 v10, v36 :: v_dual_mov_b32 v11, v37
	v_mov_b32_e32 v38, v9
	s_delay_alu instid0(VALU_DEP_3) | instskip(NEXT) | instid1(SALU_CYCLE_1)
	s_and_saveexec_b32 s8, s7
	s_xor_b32 s7, exec_lo, s8
; %bb.132:
	v_perm_b32 v16, v9, v16, 0x5040100
	v_bfi_b32 v17, 0xffff, v55, v17
	v_dual_mov_b32 v10, v30 :: v_dual_mov_b32 v11, v31
	v_dual_mov_b32 v30, v36 :: v_dual_mov_b32 v31, v37
	v_dual_mov_b32 v38, v55 :: v_dual_mov_b32 v55, v9
; %bb.133:
	s_or_b32 exec_lo, exec_lo, s7
	v_dual_mov_b32 v35, v33 :: v_dual_mov_b32 v34, v32
	v_mov_b32_e32 v36, v24
	s_mov_b32 s8, exec_lo
	v_cmpx_gt_i16_e64 v65, v24
; %bb.134:
	v_perm_b32 v17, v24, v17, 0x5040100
	v_bfi_b32 v18, 0xffff, v65, v18
	v_dual_mov_b32 v35, v27 :: v_dual_mov_b32 v34, v26
	v_dual_mov_b32 v26, v32 :: v_dual_mov_b32 v27, v33
	v_dual_mov_b32 v36, v65 :: v_dual_mov_b32 v65, v24
; %bb.135:
	s_or_b32 exec_lo, exec_lo, s8
	v_dual_mov_b32 v8, v20 :: v_dual_mov_b32 v9, v21
	v_mov_b32_e32 v37, v13
	s_mov_b32 s8, exec_lo
	v_cmpx_gt_i16_e64 v66, v13
	;; [unrolled: 12-line block ×3, first 2 shown]
; %bb.138:
	v_perm_b32 v16, v64, v55, 0x5040100
	v_dual_mov_b32 v13, v5 :: v_dual_mov_b32 v12, v4
	v_dual_mov_b32 v4, v30 :: v_dual_mov_b32 v5, v31
	v_dual_mov_b32 v32, v55 :: v_dual_mov_b32 v55, v64
; %bb.139:
	s_or_b32 exec_lo, exec_lo, s8
	v_dual_mov_b32 v30, v34 :: v_dual_mov_b32 v31, v35
	v_mov_b32_e32 v39, v65
	s_mov_b32 s8, exec_lo
	v_cmpx_gt_i16_e64 v38, v65
; %bb.140:
	v_perm_b32 v17, v38, v65, 0x5040100
	v_dual_mov_b32 v31, v11 :: v_dual_mov_b32 v30, v10
	v_dual_mov_b32 v10, v34 :: v_dual_mov_b32 v11, v35
	v_dual_mov_b32 v39, v38 :: v_dual_mov_b32 v38, v65
; %bb.141:
	s_or_b32 exec_lo, exec_lo, s8
	v_dual_mov_b32 v20, v26 :: v_dual_mov_b32 v21, v27
	v_mov_b32_e32 v35, v66
	s_mov_b32 s8, exec_lo
	v_cmpx_gt_i16_e64 v36, v66
	;; [unrolled: 11-line block ×3, first 2 shown]
; %bb.144:
	v_perm_b32 v19, v37, v48, 0x5040100
	v_dual_mov_b32 v25, v15 :: v_dual_mov_b32 v24, v14
	v_dual_mov_b32 v14, v22 :: v_dual_mov_b32 v15, v23
	v_mov_b32_e32 v33, v37
	v_mov_b32_e32 v37, v48
; %bb.145:
	s_or_b32 exec_lo, exec_lo, s8
	v_dual_mov_b32 v23, v11 :: v_dual_mov_b32 v22, v10
	v_mov_b32_e32 v48, v38
	s_mov_b32 s8, exec_lo
	v_cmpx_gt_i16_e64 v55, v38
; %bb.146:
	v_perm_b32 v16, v38, v16, 0x5040100
	v_bfi_b32 v17, 0xffff, v55, v17
	v_dual_mov_b32 v23, v13 :: v_dual_mov_b32 v22, v12
	v_dual_mov_b32 v13, v11 :: v_dual_mov_b32 v12, v10
	v_dual_mov_b32 v48, v55 :: v_dual_mov_b32 v55, v38
; %bb.147:
	s_or_b32 exec_lo, exec_lo, s8
	v_dual_mov_b32 v26, v30 :: v_dual_mov_b32 v27, v31
	v_mov_b32_e32 v38, v36
	s_mov_b32 s8, exec_lo
	v_cmpx_gt_i16_e64 v39, v36
; %bb.148:
	v_perm_b32 v17, v36, v17, 0x5040100
	v_bfi_b32 v18, 0xffff, v39, v18
	v_dual_mov_b32 v27, v21 :: v_dual_mov_b32 v26, v20
	v_dual_mov_b32 v20, v30 :: v_dual_mov_b32 v21, v31
	v_dual_mov_b32 v38, v39 :: v_dual_mov_b32 v39, v36
; %bb.149:
	s_or_b32 exec_lo, exec_lo, s8
	v_dual_mov_b32 v11, v9 :: v_dual_mov_b32 v10, v8
	v_mov_b32_e32 v36, v37
	s_mov_b32 s8, exec_lo
	v_cmpx_gt_i16_e64 v35, v37
; %bb.150:
	v_perm_b32 v18, v37, v18, 0x5040100
	v_bfi_b32 v19, 0xffff, v35, v19
	v_dual_mov_b32 v10, v24 :: v_dual_mov_b32 v11, v25
	v_dual_mov_b32 v25, v9 :: v_dual_mov_b32 v24, v8
	v_dual_mov_b32 v36, v35 :: v_dual_mov_b32 v35, v37
; %bb.151:
	s_or_b32 exec_lo, exec_lo, s8
	v_dual_mov_b32 v8, v12 :: v_dual_mov_b32 v9, v13
	v_mov_b32_e32 v34, v32
	s_mov_b32 s8, exec_lo
	v_cmpx_gt_i16_e64 v32, v55
; %bb.152:
	v_perm_b32 v16, v32, v55, 0x5040100
	v_dual_mov_b32 v9, v5 :: v_dual_mov_b32 v8, v4
	v_dual_mov_b32 v4, v12 :: v_dual_mov_b32 v5, v13
	v_dual_mov_b32 v34, v55 :: v_dual_mov_b32 v55, v32
; %bb.153:
	s_or_b32 exec_lo, exec_lo, s8
	v_dual_mov_b32 v31, v27 :: v_dual_mov_b32 v30, v26
	v_mov_b32_e32 v37, v39
	s_mov_b32 s8, exec_lo
	v_cmpx_gt_i16_e64 v48, v39
; %bb.154:
	v_perm_b32 v17, v48, v39, 0x5040100
	v_dual_mov_b32 v31, v23 :: v_dual_mov_b32 v30, v22
	v_dual_mov_b32 v22, v26 :: v_dual_mov_b32 v23, v27
	v_dual_mov_b32 v37, v48 :: v_dual_mov_b32 v48, v39
	;; [unrolled: 11-line block ×4, first 2 shown]
; %bb.159:
	s_or_b32 exec_lo, exec_lo, s8
	v_dual_mov_b32 v25, v23 :: v_dual_mov_b32 v24, v22
	v_mov_b32_e32 v33, v48
	s_mov_b32 s8, exec_lo
	v_cmpx_gt_i16_e64 v55, v48
; %bb.160:
	v_perm_b32 v16, v48, v16, 0x5040100
	v_bfi_b32 v17, 0xffff, v55, v17
	v_dual_mov_b32 v25, v9 :: v_dual_mov_b32 v24, v8
	v_dual_mov_b32 v8, v22 :: v_dual_mov_b32 v9, v23
	v_mov_b32_e32 v33, v55
	v_mov_b32_e32 v55, v48
; %bb.161:
	s_or_b32 exec_lo, exec_lo, s8
	v_dual_mov_b32 v22, v30 :: v_dual_mov_b32 v23, v31
	v_mov_b32_e32 v48, v38
	s_mov_b32 s8, exec_lo
	v_cmpx_gt_i16_e64 v37, v38
; %bb.162:
	v_perm_b32 v17, v38, v17, 0x5040100
	v_bfi_b32 v18, 0xffff, v37, v18
	v_dual_mov_b32 v23, v13 :: v_dual_mov_b32 v22, v12
	v_dual_mov_b32 v12, v30 :: v_dual_mov_b32 v13, v31
	;; [unrolled: 1-line block ×3, first 2 shown]
; %bb.163:
	s_or_b32 exec_lo, exec_lo, s8
	v_dual_mov_b32 v21, v11 :: v_dual_mov_b32 v20, v10
	v_mov_b32_e32 v64, v36
	s_mov_b32 s8, exec_lo
	v_cmpx_gt_i16_e64 v39, v36
; %bb.164:
	v_perm_b32 v18, v36, v18, 0x5040100
	v_bfi_b32 v19, 0xffff, v39, v19
	v_dual_mov_b32 v20, v26 :: v_dual_mov_b32 v21, v27
	v_dual_mov_b32 v27, v11 :: v_dual_mov_b32 v26, v10
	;; [unrolled: 1-line block ×3, first 2 shown]
; %bb.165:
	s_or_b32 exec_lo, exec_lo, s8
	v_dual_mov_b32 v11, v9 :: v_dual_mov_b32 v10, v8
	v_mov_b32_e32 v32, v34
	s_mov_b32 s8, exec_lo
	v_cmpx_gt_i16_e64 v34, v55
; %bb.166:
	v_perm_b32 v16, v34, v55, 0x5040100
	v_dual_mov_b32 v11, v5 :: v_dual_mov_b32 v10, v4
	v_dual_mov_b32 v4, v8 :: v_dual_mov_b32 v5, v9
	;; [unrolled: 1-line block ×3, first 2 shown]
; %bb.167:
	s_or_b32 exec_lo, exec_lo, s8
	v_dual_mov_b32 v8, v22 :: v_dual_mov_b32 v9, v23
	v_mov_b32_e32 v34, v37
	s_mov_b32 s8, exec_lo
	v_cmpx_gt_i16_e64 v33, v37
; %bb.168:
	v_perm_b32 v17, v33, v37, 0x5040100
	v_dual_mov_b32 v8, v24 :: v_dual_mov_b32 v9, v25
	v_dual_mov_b32 v25, v23 :: v_dual_mov_b32 v24, v22
	v_mov_b32_e32 v34, v33
	v_mov_b32_e32 v33, v37
; %bb.169:
	s_or_b32 exec_lo, exec_lo, s8
	v_dual_mov_b32 v31, v13 :: v_dual_mov_b32 v30, v12
	v_mov_b32_e32 v65, v39
	s_mov_b32 s8, exec_lo
	v_cmpx_gt_i16_e64 v48, v39
; %bb.170:
	v_perm_b32 v18, v48, v39, 0x5040100
	v_dual_mov_b32 v31, v21 :: v_dual_mov_b32 v30, v20
	v_dual_mov_b32 v21, v13 :: v_dual_mov_b32 v20, v12
	;; [unrolled: 1-line block ×3, first 2 shown]
; %bb.171:
	s_or_b32 exec_lo, exec_lo, s8
	v_dual_mov_b32 v12, v26 :: v_dual_mov_b32 v13, v27
	s_mov_b32 s8, exec_lo
	v_cmpx_gt_i16_e64 v64, v35
; %bb.172:
	v_perm_b32 v19, v64, v35, 0x5040100
	v_dual_mov_b32 v12, v14 :: v_dual_mov_b32 v13, v15
	v_dual_mov_b32 v14, v26 :: v_dual_mov_b32 v15, v27
	v_mov_b32_e32 v64, v35
; %bb.173:
	s_or_b32 exec_lo, exec_lo, s8
	v_cmp_gt_i16_e64 s7, v55, v33
	v_bfi_b32 v22, 0xffff, v55, v17
	v_perm_b32 v26, v33, v16, 0x5040100
	v_cmp_gt_i16_e64 s8, v34, v48
	v_dual_mov_b32 v39, v13 :: v_dual_mov_b32 v38, v12
	s_delay_alu instid0(VALU_DEP_4)
	v_cndmask_b32_e64 v17, v17, v22, s7
	v_cndmask_b32_e64 v37, v25, v11, s7
	;; [unrolled: 1-line block ×5, first 2 shown]
	v_perm_b32 v10, v48, v17, 0x5040100
	v_bfi_b32 v11, 0xffff, v34, v18
	v_cndmask_b32_e64 v16, v16, v26, s7
	v_cndmask_b32_e64 v27, v9, v31, s8
	;; [unrolled: 1-line block ×7, first 2 shown]
	s_mov_b32 s8, exec_lo
	v_cmpx_gt_i16_e64 v65, v64
; %bb.174:
	s_delay_alu instid0(VALU_DEP_2)
	v_perm_b32 v18, v64, v18, 0x5040100
	v_bfi_b32 v19, 0xffff, v65, v19
	v_dual_mov_b32 v39, v21 :: v_dual_mov_b32 v38, v20
	v_dual_mov_b32 v21, v13 :: v_dual_mov_b32 v20, v12
; %bb.175:
	s_or_b32 exec_lo, exec_lo, s8
.LBB1031_176:
	s_delay_alu instid0(SALU_CYCLE_1) | instskip(SKIP_4) | instid1(VALU_DEP_4)
	s_or_b32 exec_lo, exec_lo, s9
	v_dual_mov_b32 v31, v17 :: v_dual_and_b32 v12, 0xffffff00, v54
	v_or_b32_e32 v8, 8, v53
	v_bfi_b32 v30, 0xffff, v32, v16
	v_and_b32_e32 v24, 0xf0, v53
	v_sub_nc_u32_e64 v11, 0x800, v12 clamp
	v_dual_mov_b32 v33, v19 :: v_dual_lshlrev_b32 v10, 1, v12
	s_mov_b32 s8, exec_lo
	v_mov_b32_e32 v32, v18
	s_delay_alu instid0(VALU_DEP_3) | instskip(NEXT) | instid1(VALU_DEP_3)
	v_min_u32_e32 v34, v11, v8
	v_mad_u64_u32 v[8:9], null, v12, 6, v[10:11]
	v_and_b32_e32 v12, 8, v53
	v_lshl_or_b32 v54, v24, 1, v10
	s_delay_alu instid0(VALU_DEP_4) | instskip(NEXT) | instid1(VALU_DEP_3)
	v_add_nc_u32_e32 v9, 8, v34
	v_min_u32_e32 v25, v11, v12
	v_sub_nc_u32_e32 v12, v34, v24
	s_delay_alu instid0(VALU_DEP_3) | instskip(SKIP_2) | instid1(VALU_DEP_4)
	v_min_u32_e32 v35, v11, v9
	v_lshl_add_u32 v64, v53, 3, v8
	v_lshl_or_b32 v9, v53, 1, v10
	v_min_u32_e32 v13, v25, v12
	s_delay_alu instid0(VALU_DEP_4) | instskip(NEXT) | instid1(VALU_DEP_4)
	v_sub_nc_u32_e32 v55, v35, v34
	v_add_nc_u32_e32 v65, 0x1010, v64
	v_add_nc_u32_e32 v12, 0x1000, v64
	;; [unrolled: 1-line block ×4, first 2 shown]
	v_sub_nc_u32_e64 v55, v25, v55 clamp
	ds_store_2addr_b64 v65, v[36:37], v[26:27] offset1:1
	ds_store_2addr_b64 v66, v[48:49], v[20:21] offset1:1
	;; [unrolled: 1-line block ×5, first 2 shown]
	; wave barrier
	v_cmpx_lt_u32_e64 v55, v13
	s_cbranch_execz .LBB1031_180
; %bb.177:
	v_lshlrev_b32_e32 v30, 1, v34
	v_lshlrev_b32_e32 v31, 1, v25
	s_mov_b32 s9, 0
	s_delay_alu instid0(VALU_DEP_1)
	v_add3_u32 v30, v10, v30, v31
	.p2align	6
.LBB1031_178:                           ; =>This Inner Loop Header: Depth=1
	v_add_nc_u32_e32 v31, v13, v55
	s_delay_alu instid0(VALU_DEP_1) | instskip(SKIP_1) | instid1(VALU_DEP_2)
	v_lshrrev_b32_e32 v32, 1, v31
	v_and_b32_e32 v31, -2, v31
	v_not_b32_e32 v33, v32
	s_delay_alu instid0(VALU_DEP_2) | instskip(SKIP_1) | instid1(VALU_DEP_3)
	v_add_nc_u32_e32 v31, v54, v31
	v_add_nc_u32_e32 v64, 1, v32
	v_lshl_add_u32 v33, v33, 1, v30
	ds_load_u16 v31, v31
	ds_load_u16 v33, v33
	s_waitcnt lgkmcnt(0)
	v_cmp_gt_i16_e64 s7, v31, v33
	s_delay_alu instid0(VALU_DEP_1) | instskip(SKIP_1) | instid1(VALU_DEP_1)
	v_cndmask_b32_e64 v13, v13, v32, s7
	v_cndmask_b32_e64 v55, v64, v55, s7
	v_cmp_ge_u32_e64 s7, v55, v13
	s_delay_alu instid0(VALU_DEP_1) | instskip(NEXT) | instid1(SALU_CYCLE_1)
	s_or_b32 s9, s7, s9
	s_and_not1_b32 exec_lo, exec_lo, s9
	s_cbranch_execnz .LBB1031_178
; %bb.179:
	s_or_b32 exec_lo, exec_lo, s9
.LBB1031_180:
	s_delay_alu instid0(SALU_CYCLE_1) | instskip(SKIP_4) | instid1(VALU_DEP_4)
	s_or_b32 exec_lo, exec_lo, s8
	v_add_nc_u32_e32 v25, v34, v25
	v_dual_mov_b32 v32, v18 :: v_dual_add_nc_u32 v65, v55, v24
	v_lshrrev_b32_e32 v13, 16, v16
	v_lshrrev_b32_e32 v30, 16, v17
	v_sub_nc_u32_e32 v64, v25, v55
	s_delay_alu instid0(VALU_DEP_4)
	v_cmp_le_u32_e64 s7, v65, v34
	v_lshrrev_b32_e32 v25, 16, v18
	v_lshrrev_b32_e32 v24, 16, v19
	v_mov_b32_e32 v31, v17
	v_cmp_le_u32_e64 s8, v64, v35
	v_mov_b32_e32 v33, v19
	s_delay_alu instid0(VALU_DEP_2) | instskip(NEXT) | instid1(SALU_CYCLE_1)
	s_or_b32 s7, s7, s8
	s_and_saveexec_b32 s18, s7
	s_cbranch_execz .LBB1031_186
; %bb.181:
	v_cmp_lt_u32_e64 s7, v65, v34
                                        ; implicit-def: $vgpr13
	s_delay_alu instid0(VALU_DEP_1)
	s_and_saveexec_b32 s8, s7
	s_cbranch_execz .LBB1031_183
; %bb.182:
	v_lshl_add_u32 v4, v55, 1, v54
	ds_load_u16 v13, v4
.LBB1031_183:
	s_or_b32 exec_lo, exec_lo, s8
	v_cmp_ge_u32_e64 s8, v64, v35
	s_mov_b32 s10, exec_lo
                                        ; implicit-def: $vgpr16
	v_cmpx_lt_u32_e64 v64, v35
	s_cbranch_execz .LBB1031_185
; %bb.184:
	v_lshl_add_u32 v4, v64, 1, v10
	ds_load_u16 v16, v4
.LBB1031_185:
	s_or_b32 exec_lo, exec_lo, s10
	s_waitcnt lgkmcnt(0)
	v_cmp_le_i16_e64 s9, v13, v16
	s_delay_alu instid0(VALU_DEP_1) | instskip(NEXT) | instid1(SALU_CYCLE_1)
	s_and_b32 s7, s7, s9
	s_or_b32 s7, s8, s7
	s_delay_alu instid0(SALU_CYCLE_1) | instskip(SKIP_1) | instid1(VALU_DEP_2)
	v_cndmask_b32_e64 v4, v64, v65, s7
	v_cndmask_b32_e64 v5, v35, v34, s7
	v_add_nc_u32_e32 v14, 1, v4
	s_delay_alu instid0(VALU_DEP_2) | instskip(SKIP_1) | instid1(VALU_DEP_3)
	v_add_nc_u32_e32 v5, -1, v5
	v_lshl_add_u32 v4, v4, 3, v8
	v_cndmask_b32_e64 v15, v65, v14, s7
	s_delay_alu instid0(VALU_DEP_3) | instskip(NEXT) | instid1(VALU_DEP_2)
	v_min_u32_e32 v5, v14, v5
	v_cmp_lt_u32_e64 s8, v15, v34
	s_delay_alu instid0(VALU_DEP_2)
	v_lshl_add_u32 v5, v5, 1, v10
	ds_load_u16 v5, v5
	s_waitcnt lgkmcnt(0)
	v_cndmask_b32_e64 v17, v5, v16, s7
	v_cndmask_b32_e64 v18, v13, v5, s7
	;; [unrolled: 1-line block ×4, first 2 shown]
	s_delay_alu instid0(VALU_DEP_3) | instskip(NEXT) | instid1(VALU_DEP_3)
	v_cmp_le_i16_e64 s9, v18, v17
	v_cmp_ge_u32_e64 s10, v5, v35
	s_delay_alu instid0(VALU_DEP_2)
	s_and_b32 s8, s8, s9
	s_delay_alu instid0(VALU_DEP_1) | instid1(SALU_CYCLE_1)
	s_or_b32 s8, s10, s8
	s_delay_alu instid0(SALU_CYCLE_1) | instskip(SKIP_2) | instid1(VALU_DEP_3)
	v_cndmask_b32_e64 v14, v5, v15, s8
	v_cndmask_b32_e64 v19, v35, v34, s8
	;; [unrolled: 1-line block ×3, first 2 shown]
	v_add_nc_u32_e32 v20, 1, v14
	s_delay_alu instid0(VALU_DEP_3) | instskip(SKIP_1) | instid1(VALU_DEP_4)
	v_add_nc_u32_e32 v19, -1, v19
	v_lshl_add_u32 v14, v14, 3, v8
	v_perm_b32 v16, v13, v16, 0x5040100
	s_delay_alu instid0(VALU_DEP_4) | instskip(NEXT) | instid1(VALU_DEP_4)
	v_cndmask_b32_e64 v15, v15, v20, s8
	v_min_u32_e32 v19, v20, v19
	v_cndmask_b32_e64 v5, v20, v5, s8
	s_delay_alu instid0(VALU_DEP_3) | instskip(NEXT) | instid1(VALU_DEP_3)
	v_cmp_lt_u32_e64 s9, v15, v34
	v_lshl_add_u32 v19, v19, 1, v10
	s_delay_alu instid0(VALU_DEP_3) | instskip(SKIP_4) | instid1(VALU_DEP_1)
	v_cmp_ge_u32_e64 s11, v5, v35
	ds_load_u16 v19, v19
	s_waitcnt lgkmcnt(0)
	v_cndmask_b32_e64 v24, v19, v17, s8
	v_cndmask_b32_e64 v19, v18, v19, s8
	v_cmp_le_i16_e64 s10, v19, v24
	s_delay_alu instid0(VALU_DEP_1) | instskip(NEXT) | instid1(SALU_CYCLE_1)
	s_and_b32 s9, s9, s10
	s_or_b32 s9, s11, s9
	s_delay_alu instid0(SALU_CYCLE_1) | instskip(SKIP_1) | instid1(VALU_DEP_2)
	v_cndmask_b32_e64 v20, v5, v15, s9
	v_cndmask_b32_e64 v21, v35, v34, s9
	v_add_nc_u32_e32 v22, 1, v20
	s_delay_alu instid0(VALU_DEP_2) | instskip(SKIP_1) | instid1(VALU_DEP_3)
	v_add_nc_u32_e32 v21, -1, v21
	v_lshl_add_u32 v20, v20, 3, v8
	v_cndmask_b32_e64 v15, v15, v22, s9
	s_delay_alu instid0(VALU_DEP_3) | instskip(SKIP_1) | instid1(VALU_DEP_3)
	v_min_u32_e32 v21, v22, v21
	v_cndmask_b32_e64 v5, v22, v5, s9
	v_cmp_lt_u32_e64 s10, v15, v34
	s_delay_alu instid0(VALU_DEP_3) | instskip(NEXT) | instid1(VALU_DEP_3)
	v_lshl_add_u32 v21, v21, 1, v10
	v_cmp_ge_u32_e64 s12, v5, v35
	ds_load_u16 v21, v21
	s_waitcnt lgkmcnt(0)
	v_cndmask_b32_e64 v30, v21, v24, s9
	v_cndmask_b32_e64 v54, v19, v21, s9
	s_delay_alu instid0(VALU_DEP_1) | instskip(NEXT) | instid1(VALU_DEP_1)
	v_cmp_le_i16_e64 s11, v54, v30
	s_and_b32 s10, s10, s11
	s_delay_alu instid0(SALU_CYCLE_1) | instskip(NEXT) | instid1(SALU_CYCLE_1)
	s_or_b32 s10, s12, s10
	v_cndmask_b32_e64 v21, v5, v15, s10
	v_cndmask_b32_e64 v22, v35, v34, s10
	s_delay_alu instid0(VALU_DEP_2) | instskip(NEXT) | instid1(VALU_DEP_2)
	v_add_nc_u32_e32 v23, 1, v21
	v_add_nc_u32_e32 v22, -1, v22
	s_delay_alu instid0(VALU_DEP_2) | instskip(NEXT) | instid1(VALU_DEP_2)
	v_cndmask_b32_e64 v15, v15, v23, s10
	v_min_u32_e32 v22, v23, v22
	v_cndmask_b32_e64 v5, v23, v5, s10
	s_delay_alu instid0(VALU_DEP_3) | instskip(NEXT) | instid1(VALU_DEP_3)
	v_cmp_lt_u32_e64 s11, v15, v34
	v_lshl_add_u32 v22, v22, 1, v10
	s_delay_alu instid0(VALU_DEP_3)
	v_cmp_ge_u32_e64 s13, v5, v35
	ds_load_u16 v22, v22
	s_waitcnt lgkmcnt(0)
	v_cndmask_b32_e64 v25, v22, v30, s10
	v_cndmask_b32_e64 v32, v54, v22, s10
	;; [unrolled: 1-line block ×3, first 2 shown]
	s_delay_alu instid0(VALU_DEP_2) | instskip(NEXT) | instid1(VALU_DEP_1)
	v_cmp_le_i16_e64 s12, v32, v25
	s_and_b32 s11, s11, s12
	s_delay_alu instid0(SALU_CYCLE_1) | instskip(NEXT) | instid1(SALU_CYCLE_1)
	s_or_b32 s11, s13, s11
	v_cndmask_b32_e64 v26, v5, v15, s11
	v_cndmask_b32_e64 v22, v35, v34, s11
	s_delay_alu instid0(VALU_DEP_2) | instskip(NEXT) | instid1(VALU_DEP_2)
	v_add_nc_u32_e32 v23, 1, v26
	v_add_nc_u32_e32 v22, -1, v22
	s_delay_alu instid0(VALU_DEP_2) | instskip(NEXT) | instid1(VALU_DEP_2)
	v_cndmask_b32_e64 v15, v15, v23, s11
	v_min_u32_e32 v22, v23, v22
	v_cndmask_b32_e64 v5, v23, v5, s11
	s_delay_alu instid0(VALU_DEP_3) | instskip(NEXT) | instid1(VALU_DEP_3)
	v_cmp_lt_u32_e64 s12, v15, v34
	v_lshl_add_u32 v22, v22, 1, v10
	s_delay_alu instid0(VALU_DEP_3)
	v_cmp_ge_u32_e64 s14, v5, v35
	ds_load_u16 v22, v22
	s_waitcnt lgkmcnt(0)
	v_cndmask_b32_e64 v55, v22, v25, s11
	v_cndmask_b32_e64 v64, v32, v22, s11
	;; [unrolled: 1-line block ×3, first 2 shown]
	s_delay_alu instid0(VALU_DEP_2) | instskip(NEXT) | instid1(VALU_DEP_1)
	v_cmp_le_i16_e64 s13, v64, v55
	s_and_b32 s12, s12, s13
	s_delay_alu instid0(SALU_CYCLE_1) | instskip(NEXT) | instid1(SALU_CYCLE_1)
	s_or_b32 s12, s14, s12
	v_cndmask_b32_e64 v27, v5, v15, s12
	v_cndmask_b32_e64 v22, v35, v34, s12
	;; [unrolled: 1-line block ×3, first 2 shown]
	s_delay_alu instid0(VALU_DEP_3) | instskip(NEXT) | instid1(VALU_DEP_3)
	v_add_nc_u32_e32 v23, 1, v27
	v_add_nc_u32_e32 v22, -1, v22
	s_delay_alu instid0(VALU_DEP_3) | instskip(NEXT) | instid1(VALU_DEP_3)
	v_perm_b32 v18, v25, v32, 0x5040100
	v_cndmask_b32_e64 v15, v15, v23, s12
	s_delay_alu instid0(VALU_DEP_3) | instskip(SKIP_1) | instid1(VALU_DEP_3)
	v_min_u32_e32 v22, v23, v22
	v_cndmask_b32_e64 v5, v23, v5, s12
	v_cmp_lt_u32_e64 s13, v15, v34
	s_delay_alu instid0(VALU_DEP_3) | instskip(NEXT) | instid1(VALU_DEP_3)
	v_lshl_add_u32 v22, v22, 1, v10
	v_cmp_ge_u32_e64 s15, v5, v35
	ds_load_u16 v22, v22
	s_waitcnt lgkmcnt(0)
	v_cndmask_b32_e64 v33, v22, v55, s12
	v_cndmask_b32_e64 v65, v64, v22, s12
	s_delay_alu instid0(VALU_DEP_1) | instskip(NEXT) | instid1(VALU_DEP_1)
	v_cmp_le_i16_e64 s14, v65, v33
	s_and_b32 s13, s13, s14
	s_delay_alu instid0(SALU_CYCLE_1) | instskip(NEXT) | instid1(SALU_CYCLE_1)
	s_or_b32 s13, s15, s13
	v_cndmask_b32_e64 v31, v5, v15, s13
	v_cndmask_b32_e64 v22, v35, v34, s13
	s_delay_alu instid0(VALU_DEP_2) | instskip(NEXT) | instid1(VALU_DEP_2)
	v_add_nc_u32_e32 v23, 1, v31
	v_add_nc_u32_e32 v22, -1, v22
	v_lshl_add_u32 v31, v31, 3, v8
	s_delay_alu instid0(VALU_DEP_3) | instskip(NEXT) | instid1(VALU_DEP_3)
	v_cndmask_b32_e64 v15, v15, v23, s13
	v_min_u32_e32 v22, v23, v22
	v_cndmask_b32_e64 v38, v23, v5, s13
	s_delay_alu instid0(VALU_DEP_3) | instskip(NEXT) | instid1(VALU_DEP_3)
	v_cmp_lt_u32_e64 s14, v15, v34
	v_lshl_add_u32 v22, v22, 1, v10
	s_delay_alu instid0(VALU_DEP_3)
	v_cmp_ge_u32_e64 s16, v38, v35
	ds_load_u16 v22, v22
	s_waitcnt lgkmcnt(0)
	v_cndmask_b32_e64 v66, v22, v33, s13
	v_cndmask_b32_e64 v67, v65, v22, s13
	ds_load_b64 v[4:5], v4 offset:4096
	ds_load_b64 v[22:23], v14 offset:4096
	;; [unrolled: 1-line block ×3, first 2 shown]
	v_lshl_add_u32 v20, v26, 3, v8
	v_cndmask_b32_e64 v33, v33, v65, s13
	v_cmp_le_i16_e64 s15, v67, v66
	s_delay_alu instid0(VALU_DEP_1) | instskip(NEXT) | instid1(SALU_CYCLE_1)
	s_and_b32 s14, s14, s15
	s_or_b32 s14, s16, s14
	s_delay_alu instid0(SALU_CYCLE_1) | instskip(SKIP_2) | instid1(VALU_DEP_3)
	v_cndmask_b32_e64 v14, v38, v15, s14
	v_lshl_add_u32 v15, v21, 3, v8
	v_lshl_add_u32 v21, v27, 3, v8
	;; [unrolled: 1-line block ×3, first 2 shown]
	ds_load_b64 v[26:27], v15 offset:4096
	ds_load_b64 v[48:49], v20 offset:4096
	;; [unrolled: 1-line block ×5, first 2 shown]
	v_cndmask_b32_e64 v31, v24, v19, s9
	v_cndmask_b32_e64 v24, v66, v67, s14
	s_delay_alu instid0(VALU_DEP_2) | instskip(NEXT) | instid1(VALU_DEP_2)
	v_perm_b32 v17, v30, v31, 0x5040100
	v_perm_b32 v19, v24, v33, 0x5040100
.LBB1031_186:
	s_or_b32 exec_lo, exec_lo, s18
	v_and_b32_e32 v34, 0xe0, v53
	v_and_b32_e32 v55, 24, v53
	v_perm_b32 v68, v24, v33, 0x5040100
	v_perm_b32 v67, v25, v32, 0x5040100
	;; [unrolled: 1-line block ×3, first 2 shown]
	v_or_b32_e32 v35, 16, v34
	v_min_u32_e32 v65, v11, v55
	v_perm_b32 v69, v13, v16, 0x5040100
	s_mov_b32 s8, exec_lo
	s_delay_alu instid0(VALU_DEP_3)
	v_min_u32_e32 v35, v11, v35
	; wave barrier
	s_waitcnt lgkmcnt(4)
	ds_store_2addr_b64 v12, v[36:37], v[26:27] offset0:2 offset1:3
	s_waitcnt lgkmcnt(3)
	ds_store_2addr_b64 v12, v[48:49], v[20:21] offset0:4 offset1:5
	ds_store_2addr_b64 v12, v[4:5], v[22:23] offset1:1
	ds_store_2addr_b64 v9, v[69:70], v[67:68] offset1:1
	s_waitcnt lgkmcnt(4)
	ds_store_2addr_b64 v12, v[38:39], v[14:15] offset0:6 offset1:7
	v_add_nc_u32_e32 v54, 16, v35
	v_sub_nc_u32_e32 v55, v35, v34
	; wave barrier
	s_delay_alu instid0(VALU_DEP_2) | instskip(NEXT) | instid1(VALU_DEP_2)
	v_min_u32_e32 v54, v11, v54
	v_min_u32_e32 v66, v65, v55
	s_delay_alu instid0(VALU_DEP_2) | instskip(NEXT) | instid1(VALU_DEP_1)
	v_sub_nc_u32_e32 v64, v54, v35
	v_sub_nc_u32_e64 v55, v65, v64 clamp
	v_lshl_add_u32 v64, v34, 1, v10
	s_delay_alu instid0(VALU_DEP_2)
	v_cmpx_lt_u32_e64 v55, v66
	s_cbranch_execz .LBB1031_190
; %bb.187:
	v_lshlrev_b32_e32 v67, 1, v35
	v_lshlrev_b32_e32 v68, 1, v65
	s_mov_b32 s9, 0
	s_delay_alu instid0(VALU_DEP_1)
	v_add3_u32 v67, v10, v67, v68
	.p2align	6
.LBB1031_188:                           ; =>This Inner Loop Header: Depth=1
	v_add_nc_u32_e32 v68, v66, v55
	s_delay_alu instid0(VALU_DEP_1) | instskip(SKIP_1) | instid1(VALU_DEP_2)
	v_lshrrev_b32_e32 v69, 1, v68
	v_and_b32_e32 v68, -2, v68
	v_not_b32_e32 v70, v69
	s_delay_alu instid0(VALU_DEP_2) | instskip(SKIP_1) | instid1(VALU_DEP_3)
	v_add_nc_u32_e32 v68, v64, v68
	v_add_nc_u32_e32 v71, 1, v69
	v_lshl_add_u32 v70, v70, 1, v67
	ds_load_u16 v68, v68
	ds_load_u16 v70, v70
	s_waitcnt lgkmcnt(0)
	v_cmp_gt_i16_e64 s7, v68, v70
	s_delay_alu instid0(VALU_DEP_1) | instskip(SKIP_1) | instid1(VALU_DEP_1)
	v_cndmask_b32_e64 v66, v66, v69, s7
	v_cndmask_b32_e64 v55, v71, v55, s7
	v_cmp_ge_u32_e64 s7, v55, v66
	s_delay_alu instid0(VALU_DEP_1) | instskip(NEXT) | instid1(SALU_CYCLE_1)
	s_or_b32 s9, s7, s9
	s_and_not1_b32 exec_lo, exec_lo, s9
	s_cbranch_execnz .LBB1031_188
; %bb.189:
	s_or_b32 exec_lo, exec_lo, s9
.LBB1031_190:
	s_delay_alu instid0(SALU_CYCLE_1) | instskip(SKIP_3) | instid1(VALU_DEP_3)
	s_or_b32 exec_lo, exec_lo, s8
	v_add_nc_u32_e32 v65, v35, v65
	v_add_nc_u32_e32 v66, v55, v34
	v_mov_b32_e32 v34, v16
	v_sub_nc_u32_e32 v65, v65, v55
	s_delay_alu instid0(VALU_DEP_3) | instskip(NEXT) | instid1(VALU_DEP_2)
	v_cmp_le_u32_e64 s7, v66, v35
	v_cmp_le_u32_e64 s8, v65, v54
	s_delay_alu instid0(VALU_DEP_1) | instskip(NEXT) | instid1(SALU_CYCLE_1)
	s_or_b32 s7, s7, s8
	s_and_saveexec_b32 s18, s7
	s_cbranch_execz .LBB1031_196
; %bb.191:
	v_cmp_lt_u32_e64 s7, v66, v35
                                        ; implicit-def: $vgpr13
	s_delay_alu instid0(VALU_DEP_1)
	s_and_saveexec_b32 s8, s7
	s_cbranch_execz .LBB1031_193
; %bb.192:
	v_lshl_add_u32 v4, v55, 1, v64
	ds_load_u16 v13, v4
.LBB1031_193:
	s_or_b32 exec_lo, exec_lo, s8
	v_cmp_ge_u32_e64 s8, v65, v54
	s_mov_b32 s10, exec_lo
                                        ; implicit-def: $vgpr16
	v_cmpx_lt_u32_e64 v65, v54
	s_cbranch_execz .LBB1031_195
; %bb.194:
	v_lshl_add_u32 v4, v65, 1, v10
	ds_load_u16 v16, v4
.LBB1031_195:
	s_or_b32 exec_lo, exec_lo, s10
	s_waitcnt lgkmcnt(0)
	v_cmp_le_i16_e64 s9, v13, v16
	s_delay_alu instid0(VALU_DEP_1) | instskip(NEXT) | instid1(SALU_CYCLE_1)
	s_and_b32 s7, s7, s9
	s_or_b32 s7, s8, s7
	s_delay_alu instid0(SALU_CYCLE_1) | instskip(SKIP_1) | instid1(VALU_DEP_2)
	v_cndmask_b32_e64 v4, v65, v66, s7
	v_cndmask_b32_e64 v5, v54, v35, s7
	v_add_nc_u32_e32 v14, 1, v4
	s_delay_alu instid0(VALU_DEP_2) | instskip(SKIP_1) | instid1(VALU_DEP_3)
	v_add_nc_u32_e32 v5, -1, v5
	v_lshl_add_u32 v4, v4, 3, v8
	v_cndmask_b32_e64 v15, v66, v14, s7
	s_delay_alu instid0(VALU_DEP_3) | instskip(NEXT) | instid1(VALU_DEP_2)
	v_min_u32_e32 v5, v14, v5
	v_cmp_lt_u32_e64 s8, v15, v35
	s_delay_alu instid0(VALU_DEP_2)
	v_lshl_add_u32 v5, v5, 1, v10
	ds_load_u16 v5, v5
	s_waitcnt lgkmcnt(0)
	v_cndmask_b32_e64 v17, v5, v16, s7
	v_cndmask_b32_e64 v18, v13, v5, s7
	;; [unrolled: 1-line block ×3, first 2 shown]
	s_delay_alu instid0(VALU_DEP_2) | instskip(NEXT) | instid1(VALU_DEP_2)
	v_cmp_le_i16_e64 s9, v18, v17
	v_cmp_ge_u32_e64 s10, v5, v54
	s_delay_alu instid0(VALU_DEP_2)
	s_and_b32 s8, s8, s9
	s_delay_alu instid0(VALU_DEP_1) | instid1(SALU_CYCLE_1)
	s_or_b32 s8, s10, s8
	s_delay_alu instid0(SALU_CYCLE_1) | instskip(SKIP_1) | instid1(VALU_DEP_2)
	v_cndmask_b32_e64 v14, v5, v15, s8
	v_cndmask_b32_e64 v19, v54, v35, s8
	v_add_nc_u32_e32 v20, 1, v14
	s_delay_alu instid0(VALU_DEP_2) | instskip(SKIP_1) | instid1(VALU_DEP_3)
	v_add_nc_u32_e32 v19, -1, v19
	v_lshl_add_u32 v14, v14, 3, v8
	v_cndmask_b32_e64 v15, v15, v20, s8
	s_delay_alu instid0(VALU_DEP_3) | instskip(SKIP_1) | instid1(VALU_DEP_3)
	v_min_u32_e32 v19, v20, v19
	v_cndmask_b32_e64 v5, v20, v5, s8
	v_cmp_lt_u32_e64 s9, v15, v35
	s_delay_alu instid0(VALU_DEP_3) | instskip(NEXT) | instid1(VALU_DEP_3)
	v_lshl_add_u32 v19, v19, 1, v10
	v_cmp_ge_u32_e64 s11, v5, v54
	ds_load_u16 v19, v19
	s_waitcnt lgkmcnt(0)
	v_cndmask_b32_e64 v24, v19, v17, s8
	v_cndmask_b32_e64 v19, v18, v19, s8
	s_delay_alu instid0(VALU_DEP_1) | instskip(NEXT) | instid1(VALU_DEP_1)
	v_cmp_le_i16_e64 s10, v19, v24
	s_and_b32 s9, s9, s10
	s_delay_alu instid0(SALU_CYCLE_1) | instskip(NEXT) | instid1(SALU_CYCLE_1)
	s_or_b32 s9, s11, s9
	v_cndmask_b32_e64 v20, v5, v15, s9
	v_cndmask_b32_e64 v21, v54, v35, s9
	s_delay_alu instid0(VALU_DEP_2) | instskip(NEXT) | instid1(VALU_DEP_2)
	v_add_nc_u32_e32 v22, 1, v20
	v_add_nc_u32_e32 v21, -1, v21
	v_lshl_add_u32 v20, v20, 3, v8
	s_delay_alu instid0(VALU_DEP_3) | instskip(NEXT) | instid1(VALU_DEP_3)
	v_cndmask_b32_e64 v15, v15, v22, s9
	v_min_u32_e32 v21, v22, v21
	v_cndmask_b32_e64 v5, v22, v5, s9
	s_delay_alu instid0(VALU_DEP_3) | instskip(NEXT) | instid1(VALU_DEP_3)
	v_cmp_lt_u32_e64 s10, v15, v35
	v_lshl_add_u32 v21, v21, 1, v10
	s_delay_alu instid0(VALU_DEP_3) | instskip(SKIP_4) | instid1(VALU_DEP_1)
	v_cmp_ge_u32_e64 s12, v5, v54
	ds_load_u16 v21, v21
	s_waitcnt lgkmcnt(0)
	v_cndmask_b32_e64 v30, v21, v24, s9
	v_cndmask_b32_e64 v55, v19, v21, s9
	v_cmp_le_i16_e64 s11, v55, v30
	s_delay_alu instid0(VALU_DEP_1) | instskip(NEXT) | instid1(SALU_CYCLE_1)
	s_and_b32 s10, s10, s11
	s_or_b32 s10, s12, s10
	s_delay_alu instid0(SALU_CYCLE_1) | instskip(SKIP_1) | instid1(VALU_DEP_2)
	v_cndmask_b32_e64 v21, v5, v15, s10
	v_cndmask_b32_e64 v22, v54, v35, s10
	v_add_nc_u32_e32 v23, 1, v21
	s_delay_alu instid0(VALU_DEP_2) | instskip(NEXT) | instid1(VALU_DEP_2)
	v_add_nc_u32_e32 v22, -1, v22
	v_cndmask_b32_e64 v15, v15, v23, s10
	s_delay_alu instid0(VALU_DEP_2) | instskip(SKIP_1) | instid1(VALU_DEP_3)
	v_min_u32_e32 v22, v23, v22
	v_cndmask_b32_e64 v5, v23, v5, s10
	v_cmp_lt_u32_e64 s11, v15, v35
	s_delay_alu instid0(VALU_DEP_3) | instskip(NEXT) | instid1(VALU_DEP_3)
	v_lshl_add_u32 v22, v22, 1, v10
	v_cmp_ge_u32_e64 s13, v5, v54
	ds_load_u16 v22, v22
	s_waitcnt lgkmcnt(0)
	v_cndmask_b32_e64 v25, v22, v30, s10
	v_cndmask_b32_e64 v32, v55, v22, s10
	;; [unrolled: 1-line block ×3, first 2 shown]
	s_delay_alu instid0(VALU_DEP_2) | instskip(NEXT) | instid1(VALU_DEP_1)
	v_cmp_le_i16_e64 s12, v32, v25
	s_and_b32 s11, s11, s12
	s_delay_alu instid0(SALU_CYCLE_1) | instskip(NEXT) | instid1(SALU_CYCLE_1)
	s_or_b32 s11, s13, s11
	v_cndmask_b32_e64 v26, v5, v15, s11
	v_cndmask_b32_e64 v22, v54, v35, s11
	s_delay_alu instid0(VALU_DEP_2) | instskip(NEXT) | instid1(VALU_DEP_2)
	v_add_nc_u32_e32 v23, 1, v26
	v_add_nc_u32_e32 v22, -1, v22
	s_delay_alu instid0(VALU_DEP_2) | instskip(NEXT) | instid1(VALU_DEP_2)
	v_cndmask_b32_e64 v15, v15, v23, s11
	v_min_u32_e32 v22, v23, v22
	v_cndmask_b32_e64 v5, v23, v5, s11
	s_delay_alu instid0(VALU_DEP_3) | instskip(NEXT) | instid1(VALU_DEP_3)
	v_cmp_lt_u32_e64 s12, v15, v35
	v_lshl_add_u32 v22, v22, 1, v10
	s_delay_alu instid0(VALU_DEP_3)
	v_cmp_ge_u32_e64 s14, v5, v54
	ds_load_u16 v22, v22
	s_waitcnt lgkmcnt(0)
	v_cndmask_b32_e64 v64, v22, v25, s11
	v_cndmask_b32_e64 v65, v32, v22, s11
	;; [unrolled: 1-line block ×3, first 2 shown]
	s_delay_alu instid0(VALU_DEP_2) | instskip(NEXT) | instid1(VALU_DEP_1)
	v_cmp_le_i16_e64 s13, v65, v64
	s_and_b32 s12, s12, s13
	s_delay_alu instid0(SALU_CYCLE_1) | instskip(NEXT) | instid1(SALU_CYCLE_1)
	s_or_b32 s12, s14, s12
	v_cndmask_b32_e64 v27, v5, v15, s12
	v_cndmask_b32_e64 v22, v54, v35, s12
	;; [unrolled: 1-line block ×3, first 2 shown]
	s_delay_alu instid0(VALU_DEP_3) | instskip(NEXT) | instid1(VALU_DEP_3)
	v_add_nc_u32_e32 v23, 1, v27
	v_add_nc_u32_e32 v22, -1, v22
	s_delay_alu instid0(VALU_DEP_2) | instskip(NEXT) | instid1(VALU_DEP_2)
	v_cndmask_b32_e64 v15, v15, v23, s12
	v_min_u32_e32 v22, v23, v22
	v_cndmask_b32_e64 v5, v23, v5, s12
	s_delay_alu instid0(VALU_DEP_3) | instskip(NEXT) | instid1(VALU_DEP_3)
	v_cmp_lt_u32_e64 s13, v15, v35
	v_lshl_add_u32 v22, v22, 1, v10
	s_delay_alu instid0(VALU_DEP_3) | instskip(SKIP_4) | instid1(VALU_DEP_1)
	v_cmp_ge_u32_e64 s15, v5, v54
	ds_load_u16 v22, v22
	s_waitcnt lgkmcnt(0)
	v_cndmask_b32_e64 v33, v22, v64, s12
	v_cndmask_b32_e64 v66, v65, v22, s12
	v_cmp_le_i16_e64 s14, v66, v33
	s_delay_alu instid0(VALU_DEP_1) | instskip(NEXT) | instid1(SALU_CYCLE_1)
	s_and_b32 s13, s13, s14
	s_or_b32 s13, s15, s13
	s_delay_alu instid0(SALU_CYCLE_1) | instskip(SKIP_1) | instid1(VALU_DEP_2)
	v_cndmask_b32_e64 v31, v5, v15, s13
	v_cndmask_b32_e64 v22, v54, v35, s13
	v_add_nc_u32_e32 v23, 1, v31
	s_delay_alu instid0(VALU_DEP_2) | instskip(SKIP_1) | instid1(VALU_DEP_3)
	v_add_nc_u32_e32 v22, -1, v22
	v_lshl_add_u32 v31, v31, 3, v8
	v_cndmask_b32_e64 v15, v15, v23, s13
	s_delay_alu instid0(VALU_DEP_3) | instskip(SKIP_1) | instid1(VALU_DEP_3)
	v_min_u32_e32 v22, v23, v22
	v_cndmask_b32_e64 v34, v23, v5, s13
	v_cmp_lt_u32_e64 s14, v15, v35
	s_delay_alu instid0(VALU_DEP_3) | instskip(NEXT) | instid1(VALU_DEP_3)
	v_lshl_add_u32 v22, v22, 1, v10
	v_cmp_ge_u32_e64 s16, v34, v54
	ds_load_u16 v22, v22
	s_waitcnt lgkmcnt(0)
	v_cndmask_b32_e64 v67, v22, v33, s13
	v_cndmask_b32_e64 v68, v66, v22, s13
	ds_load_b64 v[4:5], v4 offset:4096
	ds_load_b64 v[22:23], v14 offset:4096
	;; [unrolled: 1-line block ×3, first 2 shown]
	v_lshl_add_u32 v20, v26, 3, v8
	v_cndmask_b32_e64 v33, v33, v66, s13
	v_cmp_le_i16_e64 s15, v68, v67
	s_delay_alu instid0(VALU_DEP_1) | instskip(NEXT) | instid1(SALU_CYCLE_1)
	s_and_b32 s14, s14, s15
	s_or_b32 s14, s16, s14
	s_delay_alu instid0(SALU_CYCLE_1)
	v_cndmask_b32_e64 v14, v34, v15, s14
	v_lshl_add_u32 v15, v21, 3, v8
	v_lshl_add_u32 v21, v27, 3, v8
	v_cndmask_b32_e64 v34, v16, v13, s7
	v_cndmask_b32_e64 v13, v17, v18, s8
	v_lshl_add_u32 v14, v14, 3, v8
	ds_load_b64 v[26:27], v15 offset:4096
	ds_load_b64 v[48:49], v20 offset:4096
	;; [unrolled: 1-line block ×5, first 2 shown]
	v_cndmask_b32_e64 v31, v24, v19, s9
	v_cndmask_b32_e64 v24, v67, v68, s14
	v_perm_b32 v18, v25, v32, 0x5040100
	v_perm_b32 v16, v13, v34, 0x5040100
	s_delay_alu instid0(VALU_DEP_4) | instskip(NEXT) | instid1(VALU_DEP_4)
	v_perm_b32 v17, v30, v31, 0x5040100
	v_perm_b32 v19, v24, v33, 0x5040100
.LBB1031_196:
	s_or_b32 exec_lo, exec_lo, s18
	v_and_b32_e32 v65, 0xc0, v53
	v_and_b32_e32 v55, 56, v53
	v_perm_b32 v69, v24, v33, 0x5040100
	v_perm_b32 v68, v25, v32, 0x5040100
	;; [unrolled: 1-line block ×3, first 2 shown]
	v_or_b32_e32 v35, 32, v65
	v_min_u32_e32 v66, v11, v55
	v_perm_b32 v70, v13, v34, 0x5040100
	s_mov_b32 s8, exec_lo
	s_delay_alu instid0(VALU_DEP_3)
	v_min_u32_e32 v35, v11, v35
	; wave barrier
	s_waitcnt lgkmcnt(4)
	ds_store_2addr_b64 v12, v[36:37], v[26:27] offset0:2 offset1:3
	s_waitcnt lgkmcnt(3)
	ds_store_2addr_b64 v12, v[48:49], v[20:21] offset0:4 offset1:5
	ds_store_2addr_b64 v12, v[4:5], v[22:23] offset1:1
	ds_store_2addr_b64 v9, v[70:71], v[68:69] offset1:1
	s_waitcnt lgkmcnt(4)
	ds_store_2addr_b64 v12, v[38:39], v[14:15] offset0:6 offset1:7
	v_add_nc_u32_e32 v54, 32, v35
	v_sub_nc_u32_e32 v55, v35, v65
	; wave barrier
	s_delay_alu instid0(VALU_DEP_2) | instskip(NEXT) | instid1(VALU_DEP_2)
	v_min_u32_e32 v54, v11, v54
	v_min_u32_e32 v67, v66, v55
	s_delay_alu instid0(VALU_DEP_2) | instskip(NEXT) | instid1(VALU_DEP_1)
	v_sub_nc_u32_e32 v64, v54, v35
	v_sub_nc_u32_e64 v55, v66, v64 clamp
	v_lshl_add_u32 v64, v65, 1, v10
	s_delay_alu instid0(VALU_DEP_2)
	v_cmpx_lt_u32_e64 v55, v67
	s_cbranch_execz .LBB1031_200
; %bb.197:
	v_lshlrev_b32_e32 v68, 1, v35
	v_lshlrev_b32_e32 v69, 1, v66
	s_mov_b32 s9, 0
	s_delay_alu instid0(VALU_DEP_1)
	v_add3_u32 v68, v10, v68, v69
	.p2align	6
.LBB1031_198:                           ; =>This Inner Loop Header: Depth=1
	v_add_nc_u32_e32 v69, v67, v55
	s_delay_alu instid0(VALU_DEP_1) | instskip(SKIP_1) | instid1(VALU_DEP_2)
	v_lshrrev_b32_e32 v70, 1, v69
	v_and_b32_e32 v69, -2, v69
	v_not_b32_e32 v71, v70
	s_delay_alu instid0(VALU_DEP_2) | instskip(SKIP_1) | instid1(VALU_DEP_3)
	v_add_nc_u32_e32 v69, v64, v69
	v_add_nc_u32_e32 v80, 1, v70
	v_lshl_add_u32 v71, v71, 1, v68
	ds_load_u16 v69, v69
	ds_load_u16 v71, v71
	s_waitcnt lgkmcnt(0)
	v_cmp_gt_i16_e64 s7, v69, v71
	s_delay_alu instid0(VALU_DEP_1) | instskip(SKIP_1) | instid1(VALU_DEP_1)
	v_cndmask_b32_e64 v67, v67, v70, s7
	v_cndmask_b32_e64 v55, v80, v55, s7
	v_cmp_ge_u32_e64 s7, v55, v67
	s_delay_alu instid0(VALU_DEP_1) | instskip(NEXT) | instid1(SALU_CYCLE_1)
	s_or_b32 s9, s7, s9
	s_and_not1_b32 exec_lo, exec_lo, s9
	s_cbranch_execnz .LBB1031_198
; %bb.199:
	s_or_b32 exec_lo, exec_lo, s9
.LBB1031_200:
	s_delay_alu instid0(SALU_CYCLE_1) | instskip(SKIP_2) | instid1(VALU_DEP_2)
	s_or_b32 exec_lo, exec_lo, s8
	v_add_nc_u32_e32 v67, v35, v66
	v_add_nc_u32_e32 v66, v55, v65
	v_sub_nc_u32_e32 v65, v67, v55
	s_delay_alu instid0(VALU_DEP_2) | instskip(NEXT) | instid1(VALU_DEP_2)
	v_cmp_le_u32_e64 s7, v66, v35
	v_cmp_le_u32_e64 s8, v65, v54
	s_delay_alu instid0(VALU_DEP_1) | instskip(NEXT) | instid1(SALU_CYCLE_1)
	s_or_b32 s7, s7, s8
	s_and_saveexec_b32 s18, s7
	s_cbranch_execz .LBB1031_206
; %bb.201:
	v_cmp_lt_u32_e64 s7, v66, v35
                                        ; implicit-def: $vgpr13
	s_delay_alu instid0(VALU_DEP_1)
	s_and_saveexec_b32 s8, s7
	s_cbranch_execz .LBB1031_203
; %bb.202:
	v_lshl_add_u32 v4, v55, 1, v64
	ds_load_u16 v13, v4
.LBB1031_203:
	s_or_b32 exec_lo, exec_lo, s8
	v_cmp_ge_u32_e64 s8, v65, v54
	s_mov_b32 s10, exec_lo
                                        ; implicit-def: $vgpr16
	v_cmpx_lt_u32_e64 v65, v54
	s_cbranch_execz .LBB1031_205
; %bb.204:
	v_lshl_add_u32 v4, v65, 1, v10
	ds_load_u16 v16, v4
.LBB1031_205:
	s_or_b32 exec_lo, exec_lo, s10
	s_waitcnt lgkmcnt(0)
	v_cmp_le_i16_e64 s9, v13, v16
	s_delay_alu instid0(VALU_DEP_1) | instskip(NEXT) | instid1(SALU_CYCLE_1)
	s_and_b32 s7, s7, s9
	s_or_b32 s7, s8, s7
	s_delay_alu instid0(SALU_CYCLE_1) | instskip(SKIP_1) | instid1(VALU_DEP_2)
	v_cndmask_b32_e64 v4, v65, v66, s7
	v_cndmask_b32_e64 v5, v54, v35, s7
	v_add_nc_u32_e32 v14, 1, v4
	s_delay_alu instid0(VALU_DEP_2) | instskip(SKIP_1) | instid1(VALU_DEP_3)
	v_add_nc_u32_e32 v5, -1, v5
	v_lshl_add_u32 v4, v4, 3, v8
	v_cndmask_b32_e64 v15, v66, v14, s7
	s_delay_alu instid0(VALU_DEP_3) | instskip(NEXT) | instid1(VALU_DEP_2)
	v_min_u32_e32 v5, v14, v5
	v_cmp_lt_u32_e64 s8, v15, v35
	s_delay_alu instid0(VALU_DEP_2)
	v_lshl_add_u32 v5, v5, 1, v10
	ds_load_u16 v5, v5
	s_waitcnt lgkmcnt(0)
	v_cndmask_b32_e64 v17, v5, v16, s7
	v_cndmask_b32_e64 v18, v13, v5, s7
	v_cndmask_b32_e64 v5, v14, v65, s7
	s_delay_alu instid0(VALU_DEP_2) | instskip(NEXT) | instid1(VALU_DEP_2)
	v_cmp_le_i16_e64 s9, v18, v17
	v_cmp_ge_u32_e64 s10, v5, v54
	s_delay_alu instid0(VALU_DEP_2)
	s_and_b32 s8, s8, s9
	s_delay_alu instid0(VALU_DEP_1) | instid1(SALU_CYCLE_1)
	s_or_b32 s8, s10, s8
	s_delay_alu instid0(SALU_CYCLE_1) | instskip(SKIP_1) | instid1(VALU_DEP_2)
	v_cndmask_b32_e64 v14, v5, v15, s8
	v_cndmask_b32_e64 v19, v54, v35, s8
	v_add_nc_u32_e32 v20, 1, v14
	s_delay_alu instid0(VALU_DEP_2) | instskip(SKIP_1) | instid1(VALU_DEP_3)
	v_add_nc_u32_e32 v19, -1, v19
	v_lshl_add_u32 v14, v14, 3, v8
	v_cndmask_b32_e64 v15, v15, v20, s8
	s_delay_alu instid0(VALU_DEP_3) | instskip(SKIP_1) | instid1(VALU_DEP_3)
	v_min_u32_e32 v19, v20, v19
	v_cndmask_b32_e64 v5, v20, v5, s8
	v_cmp_lt_u32_e64 s9, v15, v35
	s_delay_alu instid0(VALU_DEP_3) | instskip(NEXT) | instid1(VALU_DEP_3)
	v_lshl_add_u32 v19, v19, 1, v10
	v_cmp_ge_u32_e64 s11, v5, v54
	ds_load_u16 v19, v19
	s_waitcnt lgkmcnt(0)
	v_cndmask_b32_e64 v24, v19, v17, s8
	v_cndmask_b32_e64 v19, v18, v19, s8
	s_delay_alu instid0(VALU_DEP_1) | instskip(NEXT) | instid1(VALU_DEP_1)
	v_cmp_le_i16_e64 s10, v19, v24
	s_and_b32 s9, s9, s10
	s_delay_alu instid0(SALU_CYCLE_1) | instskip(NEXT) | instid1(SALU_CYCLE_1)
	s_or_b32 s9, s11, s9
	v_cndmask_b32_e64 v20, v5, v15, s9
	v_cndmask_b32_e64 v21, v54, v35, s9
	s_delay_alu instid0(VALU_DEP_2) | instskip(NEXT) | instid1(VALU_DEP_2)
	v_add_nc_u32_e32 v22, 1, v20
	v_add_nc_u32_e32 v21, -1, v21
	v_lshl_add_u32 v20, v20, 3, v8
	s_delay_alu instid0(VALU_DEP_3) | instskip(NEXT) | instid1(VALU_DEP_3)
	v_cndmask_b32_e64 v15, v15, v22, s9
	v_min_u32_e32 v21, v22, v21
	v_cndmask_b32_e64 v5, v22, v5, s9
	s_delay_alu instid0(VALU_DEP_3) | instskip(NEXT) | instid1(VALU_DEP_3)
	v_cmp_lt_u32_e64 s10, v15, v35
	v_lshl_add_u32 v21, v21, 1, v10
	s_delay_alu instid0(VALU_DEP_3) | instskip(SKIP_4) | instid1(VALU_DEP_1)
	v_cmp_ge_u32_e64 s12, v5, v54
	ds_load_u16 v21, v21
	s_waitcnt lgkmcnt(0)
	v_cndmask_b32_e64 v30, v21, v24, s9
	v_cndmask_b32_e64 v55, v19, v21, s9
	v_cmp_le_i16_e64 s11, v55, v30
	s_delay_alu instid0(VALU_DEP_1) | instskip(NEXT) | instid1(SALU_CYCLE_1)
	s_and_b32 s10, s10, s11
	s_or_b32 s10, s12, s10
	s_delay_alu instid0(SALU_CYCLE_1) | instskip(SKIP_1) | instid1(VALU_DEP_2)
	v_cndmask_b32_e64 v21, v5, v15, s10
	v_cndmask_b32_e64 v22, v54, v35, s10
	v_add_nc_u32_e32 v23, 1, v21
	s_delay_alu instid0(VALU_DEP_2) | instskip(NEXT) | instid1(VALU_DEP_2)
	v_add_nc_u32_e32 v22, -1, v22
	v_cndmask_b32_e64 v15, v15, v23, s10
	s_delay_alu instid0(VALU_DEP_2) | instskip(SKIP_1) | instid1(VALU_DEP_3)
	v_min_u32_e32 v22, v23, v22
	v_cndmask_b32_e64 v5, v23, v5, s10
	v_cmp_lt_u32_e64 s11, v15, v35
	s_delay_alu instid0(VALU_DEP_3) | instskip(NEXT) | instid1(VALU_DEP_3)
	v_lshl_add_u32 v22, v22, 1, v10
	v_cmp_ge_u32_e64 s13, v5, v54
	ds_load_u16 v22, v22
	s_waitcnt lgkmcnt(0)
	v_cndmask_b32_e64 v25, v22, v30, s10
	v_cndmask_b32_e64 v32, v55, v22, s10
	;; [unrolled: 1-line block ×3, first 2 shown]
	s_delay_alu instid0(VALU_DEP_2) | instskip(NEXT) | instid1(VALU_DEP_1)
	v_cmp_le_i16_e64 s12, v32, v25
	s_and_b32 s11, s11, s12
	s_delay_alu instid0(SALU_CYCLE_1) | instskip(NEXT) | instid1(SALU_CYCLE_1)
	s_or_b32 s11, s13, s11
	v_cndmask_b32_e64 v26, v5, v15, s11
	v_cndmask_b32_e64 v22, v54, v35, s11
	s_delay_alu instid0(VALU_DEP_2) | instskip(NEXT) | instid1(VALU_DEP_2)
	v_add_nc_u32_e32 v23, 1, v26
	v_add_nc_u32_e32 v22, -1, v22
	s_delay_alu instid0(VALU_DEP_2) | instskip(NEXT) | instid1(VALU_DEP_2)
	v_cndmask_b32_e64 v15, v15, v23, s11
	v_min_u32_e32 v22, v23, v22
	v_cndmask_b32_e64 v5, v23, v5, s11
	s_delay_alu instid0(VALU_DEP_3) | instskip(NEXT) | instid1(VALU_DEP_3)
	v_cmp_lt_u32_e64 s12, v15, v35
	v_lshl_add_u32 v22, v22, 1, v10
	s_delay_alu instid0(VALU_DEP_3)
	v_cmp_ge_u32_e64 s14, v5, v54
	ds_load_u16 v22, v22
	s_waitcnt lgkmcnt(0)
	v_cndmask_b32_e64 v64, v22, v25, s11
	v_cndmask_b32_e64 v65, v32, v22, s11
	;; [unrolled: 1-line block ×3, first 2 shown]
	s_delay_alu instid0(VALU_DEP_2) | instskip(NEXT) | instid1(VALU_DEP_1)
	v_cmp_le_i16_e64 s13, v65, v64
	s_and_b32 s12, s12, s13
	s_delay_alu instid0(SALU_CYCLE_1) | instskip(NEXT) | instid1(SALU_CYCLE_1)
	s_or_b32 s12, s14, s12
	v_cndmask_b32_e64 v27, v5, v15, s12
	v_cndmask_b32_e64 v22, v54, v35, s12
	v_cndmask_b32_e64 v25, v64, v65, s12
	s_delay_alu instid0(VALU_DEP_3) | instskip(NEXT) | instid1(VALU_DEP_3)
	v_add_nc_u32_e32 v23, 1, v27
	v_add_nc_u32_e32 v22, -1, v22
	s_delay_alu instid0(VALU_DEP_2) | instskip(NEXT) | instid1(VALU_DEP_2)
	v_cndmask_b32_e64 v15, v15, v23, s12
	v_min_u32_e32 v22, v23, v22
	v_cndmask_b32_e64 v5, v23, v5, s12
	s_delay_alu instid0(VALU_DEP_3) | instskip(NEXT) | instid1(VALU_DEP_3)
	v_cmp_lt_u32_e64 s13, v15, v35
	v_lshl_add_u32 v22, v22, 1, v10
	s_delay_alu instid0(VALU_DEP_3) | instskip(SKIP_4) | instid1(VALU_DEP_1)
	v_cmp_ge_u32_e64 s15, v5, v54
	ds_load_u16 v22, v22
	s_waitcnt lgkmcnt(0)
	v_cndmask_b32_e64 v33, v22, v64, s12
	v_cndmask_b32_e64 v66, v65, v22, s12
	v_cmp_le_i16_e64 s14, v66, v33
	s_delay_alu instid0(VALU_DEP_1) | instskip(NEXT) | instid1(SALU_CYCLE_1)
	s_and_b32 s13, s13, s14
	s_or_b32 s13, s15, s13
	s_delay_alu instid0(SALU_CYCLE_1) | instskip(SKIP_1) | instid1(VALU_DEP_2)
	v_cndmask_b32_e64 v31, v5, v15, s13
	v_cndmask_b32_e64 v22, v54, v35, s13
	v_add_nc_u32_e32 v23, 1, v31
	s_delay_alu instid0(VALU_DEP_2) | instskip(SKIP_1) | instid1(VALU_DEP_3)
	v_add_nc_u32_e32 v22, -1, v22
	v_lshl_add_u32 v31, v31, 3, v8
	v_cndmask_b32_e64 v15, v15, v23, s13
	s_delay_alu instid0(VALU_DEP_3) | instskip(SKIP_1) | instid1(VALU_DEP_3)
	v_min_u32_e32 v22, v23, v22
	v_cndmask_b32_e64 v34, v23, v5, s13
	v_cmp_lt_u32_e64 s14, v15, v35
	s_delay_alu instid0(VALU_DEP_3) | instskip(NEXT) | instid1(VALU_DEP_3)
	v_lshl_add_u32 v22, v22, 1, v10
	v_cmp_ge_u32_e64 s16, v34, v54
	ds_load_u16 v22, v22
	s_waitcnt lgkmcnt(0)
	v_cndmask_b32_e64 v67, v22, v33, s13
	v_cndmask_b32_e64 v68, v66, v22, s13
	ds_load_b64 v[4:5], v4 offset:4096
	ds_load_b64 v[22:23], v14 offset:4096
	;; [unrolled: 1-line block ×3, first 2 shown]
	v_lshl_add_u32 v20, v26, 3, v8
	v_cndmask_b32_e64 v33, v33, v66, s13
	v_cmp_le_i16_e64 s15, v68, v67
	s_delay_alu instid0(VALU_DEP_1) | instskip(NEXT) | instid1(SALU_CYCLE_1)
	s_and_b32 s14, s14, s15
	s_or_b32 s14, s16, s14
	s_delay_alu instid0(SALU_CYCLE_1)
	v_cndmask_b32_e64 v14, v34, v15, s14
	v_lshl_add_u32 v15, v21, 3, v8
	v_lshl_add_u32 v21, v27, 3, v8
	v_cndmask_b32_e64 v34, v16, v13, s7
	v_cndmask_b32_e64 v13, v17, v18, s8
	v_lshl_add_u32 v14, v14, 3, v8
	ds_load_b64 v[26:27], v15 offset:4096
	ds_load_b64 v[48:49], v20 offset:4096
	;; [unrolled: 1-line block ×5, first 2 shown]
	v_cndmask_b32_e64 v31, v24, v19, s9
	v_cndmask_b32_e64 v24, v67, v68, s14
	v_perm_b32 v18, v25, v32, 0x5040100
	v_perm_b32 v16, v13, v34, 0x5040100
	s_delay_alu instid0(VALU_DEP_4) | instskip(NEXT) | instid1(VALU_DEP_4)
	v_perm_b32 v17, v30, v31, 0x5040100
	v_perm_b32 v19, v24, v33, 0x5040100
.LBB1031_206:
	s_or_b32 exec_lo, exec_lo, s18
	v_and_b32_e32 v54, 0x80, v53
	v_min_u32_e32 v52, v11, v52
	v_perm_b32 v33, v24, v33, 0x5040100
	v_perm_b32 v31, v30, v31, 0x5040100
	;; [unrolled: 1-line block ×3, first 2 shown]
	v_or_b32_e32 v35, 64, v54
	v_lshl_add_u32 v13, v54, 1, v10
	v_perm_b32 v32, v25, v32, 0x5040100
	s_mov_b32 s8, exec_lo
	s_delay_alu instid0(VALU_DEP_3)
	v_min_u32_e32 v53, v11, v35
	; wave barrier
	s_waitcnt lgkmcnt(4)
	ds_store_2addr_b64 v12, v[36:37], v[26:27] offset0:2 offset1:3
	s_waitcnt lgkmcnt(3)
	ds_store_2addr_b64 v12, v[48:49], v[20:21] offset0:4 offset1:5
	ds_store_2addr_b64 v12, v[4:5], v[22:23] offset1:1
	ds_store_2addr_b64 v9, v[30:31], v[32:33] offset1:1
	s_waitcnt lgkmcnt(4)
	ds_store_2addr_b64 v12, v[38:39], v[14:15] offset0:6 offset1:7
	v_add_nc_u32_e32 v35, 64, v53
	; wave barrier
	s_delay_alu instid0(VALU_DEP_1) | instskip(SKIP_1) | instid1(VALU_DEP_2)
	v_min_u32_e32 v35, v11, v35
	v_sub_nc_u32_e32 v11, v53, v54
	v_sub_nc_u32_e32 v55, v35, v53
	s_delay_alu instid0(VALU_DEP_2) | instskip(NEXT) | instid1(VALU_DEP_2)
	v_min_u32_e32 v24, v52, v11
	v_sub_nc_u32_e64 v11, v52, v55 clamp
	s_delay_alu instid0(VALU_DEP_1)
	v_cmpx_lt_u32_e64 v11, v24
	s_cbranch_execz .LBB1031_210
; %bb.207:
	v_lshlrev_b32_e32 v9, 1, v53
	v_lshlrev_b32_e32 v12, 1, v52
	s_mov_b32 s9, 0
	s_delay_alu instid0(VALU_DEP_1)
	v_add3_u32 v9, v10, v9, v12
	.p2align	6
.LBB1031_208:                           ; =>This Inner Loop Header: Depth=1
	v_add_nc_u32_e32 v12, v24, v11
	s_delay_alu instid0(VALU_DEP_1) | instskip(SKIP_1) | instid1(VALU_DEP_2)
	v_lshrrev_b32_e32 v25, 1, v12
	v_and_b32_e32 v12, -2, v12
	v_not_b32_e32 v30, v25
	s_delay_alu instid0(VALU_DEP_2) | instskip(SKIP_1) | instid1(VALU_DEP_3)
	v_add_nc_u32_e32 v12, v13, v12
	v_add_nc_u32_e32 v31, 1, v25
	v_lshl_add_u32 v30, v30, 1, v9
	ds_load_u16 v12, v12
	ds_load_u16 v30, v30
	s_waitcnt lgkmcnt(0)
	v_cmp_gt_i16_e64 s7, v12, v30
	s_delay_alu instid0(VALU_DEP_1) | instskip(SKIP_1) | instid1(VALU_DEP_1)
	v_cndmask_b32_e64 v24, v24, v25, s7
	v_cndmask_b32_e64 v11, v31, v11, s7
	v_cmp_ge_u32_e64 s7, v11, v24
	s_delay_alu instid0(VALU_DEP_1) | instskip(NEXT) | instid1(SALU_CYCLE_1)
	s_or_b32 s9, s7, s9
	s_and_not1_b32 exec_lo, exec_lo, s9
	s_cbranch_execnz .LBB1031_208
; %bb.209:
	s_or_b32 exec_lo, exec_lo, s9
.LBB1031_210:
	s_delay_alu instid0(SALU_CYCLE_1) | instskip(SKIP_2) | instid1(VALU_DEP_2)
	s_or_b32 exec_lo, exec_lo, s8
	v_add_nc_u32_e32 v9, v53, v52
	v_add_nc_u32_e32 v24, v11, v54
	v_sub_nc_u32_e32 v12, v9, v11
	s_delay_alu instid0(VALU_DEP_2) | instskip(NEXT) | instid1(VALU_DEP_2)
	v_cmp_le_u32_e64 s7, v24, v53
	v_cmp_le_u32_e64 s8, v12, v35
	s_delay_alu instid0(VALU_DEP_1) | instskip(NEXT) | instid1(SALU_CYCLE_1)
	s_or_b32 s7, s7, s8
	s_and_saveexec_b32 s18, s7
	s_cbranch_execz .LBB1031_216
; %bb.211:
	v_cmp_lt_u32_e64 s7, v24, v53
                                        ; implicit-def: $vgpr9
	s_delay_alu instid0(VALU_DEP_1)
	s_and_saveexec_b32 s8, s7
	s_cbranch_execz .LBB1031_213
; %bb.212:
	v_lshl_add_u32 v4, v11, 1, v13
	ds_load_u16 v9, v4
.LBB1031_213:
	s_or_b32 exec_lo, exec_lo, s8
	v_cmp_ge_u32_e64 s8, v12, v35
	s_mov_b32 s10, exec_lo
                                        ; implicit-def: $vgpr11
	v_cmpx_lt_u32_e64 v12, v35
	s_cbranch_execz .LBB1031_215
; %bb.214:
	v_lshl_add_u32 v4, v12, 1, v10
	ds_load_u16 v11, v4
.LBB1031_215:
	s_or_b32 exec_lo, exec_lo, s10
	s_waitcnt lgkmcnt(0)
	v_cmp_le_i16_e64 s9, v9, v11
	s_delay_alu instid0(VALU_DEP_1) | instskip(NEXT) | instid1(SALU_CYCLE_1)
	s_and_b32 s7, s7, s9
	s_or_b32 s7, s8, s7
	s_delay_alu instid0(SALU_CYCLE_1) | instskip(SKIP_1) | instid1(VALU_DEP_2)
	v_cndmask_b32_e64 v4, v12, v24, s7
	v_cndmask_b32_e64 v5, v35, v53, s7
	v_add_nc_u32_e32 v13, 1, v4
	s_delay_alu instid0(VALU_DEP_2) | instskip(SKIP_1) | instid1(VALU_DEP_3)
	v_add_nc_u32_e32 v5, -1, v5
	v_lshl_add_u32 v4, v4, 3, v8
	v_cndmask_b32_e64 v14, v24, v13, s7
	s_delay_alu instid0(VALU_DEP_3) | instskip(NEXT) | instid1(VALU_DEP_2)
	v_min_u32_e32 v5, v13, v5
	v_cmp_lt_u32_e64 s8, v14, v53
	s_delay_alu instid0(VALU_DEP_2)
	v_lshl_add_u32 v5, v5, 1, v10
	ds_load_u16 v5, v5
	s_waitcnt lgkmcnt(0)
	v_cndmask_b32_e64 v16, v5, v11, s7
	v_cndmask_b32_e64 v17, v9, v5, s7
	v_cndmask_b32_e64 v5, v13, v12, s7
	s_delay_alu instid0(VALU_DEP_2) | instskip(NEXT) | instid1(VALU_DEP_2)
	v_cmp_le_i16_e64 s9, v17, v16
	v_cmp_ge_u32_e64 s10, v5, v35
	s_delay_alu instid0(VALU_DEP_2)
	s_and_b32 s8, s8, s9
	s_delay_alu instid0(VALU_DEP_1) | instid1(SALU_CYCLE_1)
	s_or_b32 s8, s10, s8
	s_delay_alu instid0(SALU_CYCLE_1) | instskip(SKIP_1) | instid1(VALU_DEP_2)
	v_cndmask_b32_e64 v12, v5, v14, s8
	v_cndmask_b32_e64 v13, v35, v53, s8
	v_add_nc_u32_e32 v15, 1, v12
	s_delay_alu instid0(VALU_DEP_2) | instskip(SKIP_1) | instid1(VALU_DEP_3)
	v_add_nc_u32_e32 v13, -1, v13
	v_lshl_add_u32 v12, v12, 3, v8
	v_cndmask_b32_e64 v14, v14, v15, s8
	s_delay_alu instid0(VALU_DEP_3) | instskip(SKIP_1) | instid1(VALU_DEP_3)
	v_min_u32_e32 v13, v15, v13
	v_cndmask_b32_e64 v5, v15, v5, s8
	v_cmp_lt_u32_e64 s9, v14, v53
	s_delay_alu instid0(VALU_DEP_3) | instskip(NEXT) | instid1(VALU_DEP_3)
	v_lshl_add_u32 v13, v13, 1, v10
	v_cmp_ge_u32_e64 s11, v5, v35
	ds_load_u16 v13, v13
	s_waitcnt lgkmcnt(0)
	v_cndmask_b32_e64 v18, v13, v16, s8
	v_cndmask_b32_e64 v13, v17, v13, s8
	;; [unrolled: 1-line block ×3, first 2 shown]
	s_delay_alu instid0(VALU_DEP_2) | instskip(NEXT) | instid1(VALU_DEP_1)
	v_cmp_le_i16_e64 s10, v13, v18
	s_and_b32 s9, s9, s10
	s_delay_alu instid0(SALU_CYCLE_1) | instskip(NEXT) | instid1(SALU_CYCLE_1)
	s_or_b32 s9, s11, s9
	v_cndmask_b32_e64 v15, v5, v14, s9
	v_cndmask_b32_e64 v19, v35, v53, s9
	s_delay_alu instid0(VALU_DEP_2) | instskip(NEXT) | instid1(VALU_DEP_2)
	v_add_nc_u32_e32 v20, 1, v15
	v_add_nc_u32_e32 v19, -1, v19
	v_lshl_add_u32 v15, v15, 3, v8
	s_delay_alu instid0(VALU_DEP_3) | instskip(NEXT) | instid1(VALU_DEP_3)
	v_cndmask_b32_e64 v14, v14, v20, s9
	v_min_u32_e32 v19, v20, v19
	v_cndmask_b32_e64 v5, v20, v5, s9
	s_delay_alu instid0(VALU_DEP_3) | instskip(NEXT) | instid1(VALU_DEP_3)
	v_cmp_lt_u32_e64 s10, v14, v53
	v_lshl_add_u32 v19, v19, 1, v10
	s_delay_alu instid0(VALU_DEP_3) | instskip(SKIP_4) | instid1(VALU_DEP_1)
	v_cmp_ge_u32_e64 s12, v5, v35
	ds_load_u16 v19, v19
	s_waitcnt lgkmcnt(0)
	v_cndmask_b32_e64 v24, v19, v18, s9
	v_cndmask_b32_e64 v19, v13, v19, s9
	v_cmp_le_i16_e64 s11, v19, v24
	s_delay_alu instid0(VALU_DEP_1) | instskip(NEXT) | instid1(SALU_CYCLE_1)
	s_and_b32 s10, s10, s11
	s_or_b32 s10, s12, s10
	s_delay_alu instid0(SALU_CYCLE_1) | instskip(SKIP_1) | instid1(VALU_DEP_2)
	v_cndmask_b32_e64 v20, v5, v14, s10
	v_cndmask_b32_e64 v21, v35, v53, s10
	v_add_nc_u32_e32 v22, 1, v20
	s_delay_alu instid0(VALU_DEP_2) | instskip(NEXT) | instid1(VALU_DEP_2)
	v_add_nc_u32_e32 v21, -1, v21
	v_cndmask_b32_e64 v14, v14, v22, s10
	s_delay_alu instid0(VALU_DEP_2) | instskip(SKIP_1) | instid1(VALU_DEP_3)
	v_min_u32_e32 v21, v22, v21
	v_cndmask_b32_e64 v5, v22, v5, s10
	v_cmp_lt_u32_e64 s11, v14, v53
	s_delay_alu instid0(VALU_DEP_3) | instskip(NEXT) | instid1(VALU_DEP_3)
	v_lshl_add_u32 v21, v21, 1, v10
	v_cmp_ge_u32_e64 s13, v5, v35
	ds_load_u16 v21, v21
	s_waitcnt lgkmcnt(0)
	v_cndmask_b32_e64 v25, v21, v24, s10
	v_cndmask_b32_e64 v30, v19, v21, s10
	;; [unrolled: 1-line block ×3, first 2 shown]
	s_delay_alu instid0(VALU_DEP_2) | instskip(NEXT) | instid1(VALU_DEP_1)
	v_cmp_le_i16_e64 s12, v30, v25
	s_and_b32 s11, s11, s12
	s_delay_alu instid0(SALU_CYCLE_1) | instskip(NEXT) | instid1(SALU_CYCLE_1)
	s_or_b32 s11, s13, s11
	v_cndmask_b32_e64 v21, v5, v14, s11
	v_cndmask_b32_e64 v22, v35, v53, s11
	s_delay_alu instid0(VALU_DEP_2) | instskip(NEXT) | instid1(VALU_DEP_2)
	v_add_nc_u32_e32 v23, 1, v21
	v_add_nc_u32_e32 v22, -1, v22
	s_delay_alu instid0(VALU_DEP_2) | instskip(NEXT) | instid1(VALU_DEP_2)
	v_cndmask_b32_e64 v14, v14, v23, s11
	v_min_u32_e32 v22, v23, v22
	v_cndmask_b32_e64 v5, v23, v5, s11
	s_delay_alu instid0(VALU_DEP_3) | instskip(NEXT) | instid1(VALU_DEP_3)
	v_cmp_lt_u32_e64 s12, v14, v53
	v_lshl_add_u32 v22, v22, 1, v10
	s_delay_alu instid0(VALU_DEP_3) | instskip(SKIP_4) | instid1(VALU_DEP_1)
	v_cmp_ge_u32_e64 s14, v5, v35
	ds_load_u16 v22, v22
	s_waitcnt lgkmcnt(0)
	v_cndmask_b32_e64 v31, v22, v25, s11
	v_cndmask_b32_e64 v32, v30, v22, s11
	v_cmp_le_i16_e64 s13, v32, v31
	s_delay_alu instid0(VALU_DEP_1) | instskip(NEXT) | instid1(SALU_CYCLE_1)
	s_and_b32 s12, s12, s13
	s_or_b32 s12, s14, s12
	s_delay_alu instid0(SALU_CYCLE_1) | instskip(SKIP_1) | instid1(VALU_DEP_2)
	v_cndmask_b32_e64 v26, v5, v14, s12
	v_cndmask_b32_e64 v22, v35, v53, s12
	v_add_nc_u32_e32 v23, 1, v26
	s_delay_alu instid0(VALU_DEP_2) | instskip(NEXT) | instid1(VALU_DEP_2)
	v_add_nc_u32_e32 v22, -1, v22
	v_cndmask_b32_e64 v14, v14, v23, s12
	s_delay_alu instid0(VALU_DEP_2) | instskip(SKIP_1) | instid1(VALU_DEP_3)
	v_min_u32_e32 v22, v23, v22
	v_cndmask_b32_e64 v5, v23, v5, s12
	v_cmp_lt_u32_e64 s13, v14, v53
	s_delay_alu instid0(VALU_DEP_3) | instskip(NEXT) | instid1(VALU_DEP_3)
	v_lshl_add_u32 v22, v22, 1, v10
	v_cmp_ge_u32_e64 s15, v5, v35
	ds_load_u16 v22, v22
	s_waitcnt lgkmcnt(0)
	v_cndmask_b32_e64 v33, v22, v31, s12
	v_cndmask_b32_e64 v34, v32, v22, s12
	s_delay_alu instid0(VALU_DEP_1) | instskip(NEXT) | instid1(VALU_DEP_1)
	v_cmp_le_i16_e64 s14, v34, v33
	s_and_b32 s13, s13, s14
	s_delay_alu instid0(SALU_CYCLE_1) | instskip(NEXT) | instid1(SALU_CYCLE_1)
	s_or_b32 s13, s15, s13
	v_cndmask_b32_e64 v27, v5, v14, s13
	v_cndmask_b32_e64 v22, v35, v53, s13
	s_delay_alu instid0(VALU_DEP_2) | instskip(NEXT) | instid1(VALU_DEP_2)
	v_add_nc_u32_e32 v23, 1, v27
	v_add_nc_u32_e32 v22, -1, v22
	s_delay_alu instid0(VALU_DEP_2) | instskip(NEXT) | instid1(VALU_DEP_2)
	v_cndmask_b32_e64 v14, v14, v23, s13
	v_min_u32_e32 v22, v23, v22
	v_cndmask_b32_e64 v38, v23, v5, s13
	s_delay_alu instid0(VALU_DEP_3) | instskip(NEXT) | instid1(VALU_DEP_3)
	v_cmp_lt_u32_e64 s14, v14, v53
	v_lshl_add_u32 v10, v22, 1, v10
	s_delay_alu instid0(VALU_DEP_3)
	v_cmp_ge_u32_e64 s16, v38, v35
	v_lshl_add_u32 v35, v27, 3, v8
	ds_load_u16 v10, v10
	ds_load_b64 v[4:5], v4 offset:4096
	ds_load_b64 v[22:23], v12 offset:4096
	;; [unrolled: 1-line block ×3, first 2 shown]
	v_lshl_add_u32 v15, v21, 3, v8
	s_waitcnt lgkmcnt(3)
	v_cndmask_b32_e64 v52, v10, v33, s13
	v_cndmask_b32_e64 v10, v34, v10, s13
	s_delay_alu instid0(VALU_DEP_1) | instskip(NEXT) | instid1(VALU_DEP_1)
	v_cmp_le_i16_e64 s15, v10, v52
	s_and_b32 s14, s14, s15
	s_delay_alu instid0(SALU_CYCLE_1) | instskip(NEXT) | instid1(SALU_CYCLE_1)
	s_or_b32 s14, s16, s14
	v_cndmask_b32_e64 v12, v38, v14, s14
	v_lshl_add_u32 v14, v20, 3, v8
	v_lshl_add_u32 v20, v26, 3, v8
	v_cndmask_b32_e64 v10, v52, v10, s14
	s_delay_alu instid0(VALU_DEP_4)
	v_lshl_add_u32 v8, v12, 3, v8
	ds_load_b64 v[26:27], v14 offset:4096
	ds_load_b64 v[48:49], v15 offset:4096
	;; [unrolled: 1-line block ×5, first 2 shown]
	v_cndmask_b32_e64 v8, v11, v9, s7
	v_cndmask_b32_e64 v9, v18, v13, s9
	;; [unrolled: 1-line block ×5, first 2 shown]
	v_perm_b32 v16, v16, v8, 0x5040100
	v_perm_b32 v17, v24, v9, 0x5040100
	s_delay_alu instid0(VALU_DEP_4) | instskip(NEXT) | instid1(VALU_DEP_4)
	v_perm_b32 v19, v10, v12, 0x5040100
	v_perm_b32 v18, v13, v11, 0x5040100
.LBB1031_216:
	s_or_b32 exec_lo, exec_lo, s18
	; wave barrier
	s_waitcnt lgkmcnt(0)
	s_waitcnt_vscnt null, 0x0
	s_barrier
.LBB1031_217:
	s_or_b32 exec_lo, exec_lo, s17
	v_add_co_u32 v2, s7, v2, v28
	s_delay_alu instid0(VALU_DEP_1) | instskip(SKIP_4) | instid1(VALU_DEP_1)
	v_add_co_ci_u32_e64 v3, s7, v3, v29, s7
	s_waitcnt vmcnt(0) lgkmcnt(0)
	s_waitcnt_vscnt null, 0x0
	buffer_gl0_inv
	v_add_co_u32 v2, s7, v2, v50
	v_add_co_ci_u32_e64 v3, s7, 0, v3, s7
	; wave barrier
	s_and_saveexec_b32 s7, vcc_lo
	s_cbranch_execnz .LBB1031_242
; %bb.218:
	s_or_b32 exec_lo, exec_lo, s7
	s_and_saveexec_b32 s7, s0
	s_cbranch_execnz .LBB1031_243
.LBB1031_219:
	s_or_b32 exec_lo, exec_lo, s7
	s_and_saveexec_b32 s7, s1
	s_cbranch_execnz .LBB1031_244
.LBB1031_220:
	s_or_b32 exec_lo, exec_lo, s7
	s_and_saveexec_b32 s7, s2
	s_cbranch_execnz .LBB1031_245
.LBB1031_221:
	s_or_b32 exec_lo, exec_lo, s7
	s_and_saveexec_b32 s7, s3
	s_cbranch_execnz .LBB1031_246
.LBB1031_222:
	s_or_b32 exec_lo, exec_lo, s7
	s_and_saveexec_b32 s7, s4
	s_cbranch_execnz .LBB1031_247
.LBB1031_223:
	s_or_b32 exec_lo, exec_lo, s7
	s_and_saveexec_b32 s7, s5
	s_cbranch_execnz .LBB1031_248
.LBB1031_224:
	s_or_b32 exec_lo, exec_lo, s7
	s_and_saveexec_b32 s7, s6
	s_cbranch_execz .LBB1031_226
.LBB1031_225:
	flat_store_d16_hi_b16 v[2:3], v19 offset:14
.LBB1031_226:
	s_or_b32 exec_lo, exec_lo, s7
	v_add_co_u32 v0, s7, v6, v0
	s_delay_alu instid0(VALU_DEP_1) | instskip(NEXT) | instid1(VALU_DEP_2)
	v_add_co_ci_u32_e64 v1, s7, v7, v1, s7
	v_add_co_u32 v0, s7, v0, v51
	s_delay_alu instid0(VALU_DEP_1)
	v_add_co_ci_u32_e64 v1, s7, 0, v1, s7
	; wave barrier
	s_and_saveexec_b32 s7, vcc_lo
	s_cbranch_execnz .LBB1031_249
; %bb.227:
	s_or_b32 exec_lo, exec_lo, s7
	s_and_saveexec_b32 s7, s0
	s_cbranch_execnz .LBB1031_250
.LBB1031_228:
	s_or_b32 exec_lo, exec_lo, s7
	s_and_saveexec_b32 s0, s1
	s_cbranch_execnz .LBB1031_251
.LBB1031_229:
	s_or_b32 exec_lo, exec_lo, s0
	s_and_saveexec_b32 s0, s2
	s_cbranch_execnz .LBB1031_252
.LBB1031_230:
	s_or_b32 exec_lo, exec_lo, s0
	s_and_saveexec_b32 s0, s3
	s_cbranch_execnz .LBB1031_253
.LBB1031_231:
	s_or_b32 exec_lo, exec_lo, s0
	s_and_saveexec_b32 s0, s4
	s_cbranch_execnz .LBB1031_254
.LBB1031_232:
	s_or_b32 exec_lo, exec_lo, s0
	s_and_saveexec_b32 s0, s5
	s_cbranch_execnz .LBB1031_255
.LBB1031_233:
	s_or_b32 exec_lo, exec_lo, s0
	s_and_saveexec_b32 s0, s6
	s_cbranch_execnz .LBB1031_256
.LBB1031_234:
	s_or_b32 exec_lo, exec_lo, s0
	s_waitcnt lgkmcnt(0)
	s_setpc_b64 s[30:31]
.LBB1031_235:
	flat_load_b64 v[4:5], v[8:9]
	s_or_b32 exec_lo, exec_lo, s7
	s_and_saveexec_b32 s7, s0
                                        ; implicit-def: $vgpr20_vgpr21_vgpr22_vgpr23
	s_cbranch_execz .LBB1031_18
.LBB1031_236:
	flat_load_b64 v[22:23], v[8:9] offset:8
	s_or_b32 exec_lo, exec_lo, s7
                                        ; implicit-def: $vgpr36_vgpr37
	s_and_saveexec_b32 s7, s1
	s_cbranch_execz .LBB1031_19
.LBB1031_237:
	flat_load_b64 v[36:37], v[8:9] offset:16
	s_or_b32 exec_lo, exec_lo, s7
	s_and_saveexec_b32 s7, s2
                                        ; implicit-def: $vgpr24_vgpr25_vgpr26_vgpr27
	s_cbranch_execz .LBB1031_20
.LBB1031_238:
	flat_load_b64 v[26:27], v[8:9] offset:24
	s_or_b32 exec_lo, exec_lo, s7
                                        ; implicit-def: $vgpr48_vgpr49
	s_and_saveexec_b32 s7, s3
	s_cbranch_execz .LBB1031_21
.LBB1031_239:
	flat_load_b64 v[48:49], v[8:9] offset:32
	s_or_b32 exec_lo, exec_lo, s7
	s_and_saveexec_b32 s7, s4
                                        ; implicit-def: $vgpr18_vgpr19_vgpr20_vgpr21
	s_cbranch_execz .LBB1031_22
.LBB1031_240:
	flat_load_b64 v[20:21], v[8:9] offset:40
	s_or_b32 exec_lo, exec_lo, s7
                                        ; implicit-def: $vgpr38_vgpr39
	s_and_saveexec_b32 s7, s5
	s_cbranch_execz .LBB1031_23
.LBB1031_241:
	flat_load_b64 v[38:39], v[8:9] offset:48
	s_or_b32 exec_lo, exec_lo, s7
	s_and_saveexec_b32 s7, s6
                                        ; implicit-def: $vgpr12_vgpr13_vgpr14_vgpr15
	s_cbranch_execnz .LBB1031_24
	s_branch .LBB1031_25
.LBB1031_242:
	flat_store_b16 v[2:3], v16
	s_or_b32 exec_lo, exec_lo, s7
	s_and_saveexec_b32 s7, s0
	s_cbranch_execz .LBB1031_219
.LBB1031_243:
	flat_store_d16_hi_b16 v[2:3], v16 offset:2
	s_or_b32 exec_lo, exec_lo, s7
	s_and_saveexec_b32 s7, s1
	s_cbranch_execz .LBB1031_220
.LBB1031_244:
	flat_store_b16 v[2:3], v17 offset:4
	s_or_b32 exec_lo, exec_lo, s7
	s_and_saveexec_b32 s7, s2
	s_cbranch_execz .LBB1031_221
.LBB1031_245:
	flat_store_d16_hi_b16 v[2:3], v17 offset:6
	s_or_b32 exec_lo, exec_lo, s7
	s_and_saveexec_b32 s7, s3
	s_cbranch_execz .LBB1031_222
.LBB1031_246:
	flat_store_b16 v[2:3], v18 offset:8
	s_or_b32 exec_lo, exec_lo, s7
	s_and_saveexec_b32 s7, s4
	s_cbranch_execz .LBB1031_223
.LBB1031_247:
	flat_store_d16_hi_b16 v[2:3], v18 offset:10
	s_or_b32 exec_lo, exec_lo, s7
	s_and_saveexec_b32 s7, s5
	s_cbranch_execz .LBB1031_224
.LBB1031_248:
	flat_store_b16 v[2:3], v19 offset:12
	s_or_b32 exec_lo, exec_lo, s7
	s_and_saveexec_b32 s7, s6
	s_cbranch_execnz .LBB1031_225
	s_branch .LBB1031_226
.LBB1031_249:
	flat_store_b64 v[0:1], v[4:5]
	s_or_b32 exec_lo, exec_lo, s7
	s_and_saveexec_b32 s7, s0
	s_cbranch_execz .LBB1031_228
.LBB1031_250:
	flat_store_b64 v[0:1], v[22:23] offset:8
	s_or_b32 exec_lo, exec_lo, s7
	s_and_saveexec_b32 s0, s1
	s_cbranch_execz .LBB1031_229
.LBB1031_251:
	flat_store_b64 v[0:1], v[36:37] offset:16
	s_or_b32 exec_lo, exec_lo, s0
	s_and_saveexec_b32 s0, s2
	s_cbranch_execz .LBB1031_230
.LBB1031_252:
	flat_store_b64 v[0:1], v[26:27] offset:24
	s_or_b32 exec_lo, exec_lo, s0
	s_and_saveexec_b32 s0, s3
	s_cbranch_execz .LBB1031_231
.LBB1031_253:
	flat_store_b64 v[0:1], v[48:49] offset:32
	s_or_b32 exec_lo, exec_lo, s0
	s_and_saveexec_b32 s0, s4
	s_cbranch_execz .LBB1031_232
.LBB1031_254:
	flat_store_b64 v[0:1], v[20:21] offset:40
	s_or_b32 exec_lo, exec_lo, s0
	s_and_saveexec_b32 s0, s5
	s_cbranch_execz .LBB1031_233
.LBB1031_255:
	flat_store_b64 v[0:1], v[38:39] offset:48
	s_or_b32 exec_lo, exec_lo, s0
	s_and_saveexec_b32 s0, s6
	s_cbranch_execz .LBB1031_234
.LBB1031_256:
	flat_store_b64 v[0:1], v[14:15] offset:56
	s_or_b32 exec_lo, exec_lo, s0
	s_waitcnt lgkmcnt(0)
	s_setpc_b64 s[30:31]
.Lfunc_end1031:
	.size	_ZN7rocprim17ROCPRIM_400000_NS6detail26segmented_warp_sort_helperINS1_20WarpSortHelperConfigILj16ELj8ELj256EEEslLi256ELb0EvE4sortIPKsPsPKlPlEEvT_T0_T1_T2_jjjjRNS5_12storage_typeE, .Lfunc_end1031-_ZN7rocprim17ROCPRIM_400000_NS6detail26segmented_warp_sort_helperINS1_20WarpSortHelperConfigILj16ELj8ELj256EEEslLi256ELb0EvE4sortIPKsPsPKlPlEEvT_T0_T1_T2_jjjjRNS5_12storage_typeE
                                        ; -- End function
	.section	.AMDGPU.csdata,"",@progbits
; Function info:
; codeLenInByte = 20376
; NumSgprs: 34
; NumVgprs: 82
; ScratchSize: 0
; MemoryBound: 0
	.section	.text._ZN7rocprim17ROCPRIM_400000_NS6detail17trampoline_kernelINS0_14default_configENS1_36segmented_radix_sort_config_selectorIslEEZNS1_25segmented_radix_sort_implIS3_Lb0EPKsPsPKlPlN2at6native12_GLOBAL__N_18offset_tEEE10hipError_tPvRmT1_PNSt15iterator_traitsISK_E10value_typeET2_T3_PNSL_ISQ_E10value_typeET4_jRbjT5_SW_jjP12ihipStream_tbEUlT_E0_NS1_11comp_targetILNS1_3genE9ELNS1_11target_archE1100ELNS1_3gpuE3ELNS1_3repE0EEENS1_60segmented_radix_sort_warp_sort_medium_config_static_selectorELNS0_4arch9wavefront6targetE0EEEvSK_,"axG",@progbits,_ZN7rocprim17ROCPRIM_400000_NS6detail17trampoline_kernelINS0_14default_configENS1_36segmented_radix_sort_config_selectorIslEEZNS1_25segmented_radix_sort_implIS3_Lb0EPKsPsPKlPlN2at6native12_GLOBAL__N_18offset_tEEE10hipError_tPvRmT1_PNSt15iterator_traitsISK_E10value_typeET2_T3_PNSL_ISQ_E10value_typeET4_jRbjT5_SW_jjP12ihipStream_tbEUlT_E0_NS1_11comp_targetILNS1_3genE9ELNS1_11target_archE1100ELNS1_3gpuE3ELNS1_3repE0EEENS1_60segmented_radix_sort_warp_sort_medium_config_static_selectorELNS0_4arch9wavefront6targetE0EEEvSK_,comdat
	.globl	_ZN7rocprim17ROCPRIM_400000_NS6detail17trampoline_kernelINS0_14default_configENS1_36segmented_radix_sort_config_selectorIslEEZNS1_25segmented_radix_sort_implIS3_Lb0EPKsPsPKlPlN2at6native12_GLOBAL__N_18offset_tEEE10hipError_tPvRmT1_PNSt15iterator_traitsISK_E10value_typeET2_T3_PNSL_ISQ_E10value_typeET4_jRbjT5_SW_jjP12ihipStream_tbEUlT_E0_NS1_11comp_targetILNS1_3genE9ELNS1_11target_archE1100ELNS1_3gpuE3ELNS1_3repE0EEENS1_60segmented_radix_sort_warp_sort_medium_config_static_selectorELNS0_4arch9wavefront6targetE0EEEvSK_ ; -- Begin function _ZN7rocprim17ROCPRIM_400000_NS6detail17trampoline_kernelINS0_14default_configENS1_36segmented_radix_sort_config_selectorIslEEZNS1_25segmented_radix_sort_implIS3_Lb0EPKsPsPKlPlN2at6native12_GLOBAL__N_18offset_tEEE10hipError_tPvRmT1_PNSt15iterator_traitsISK_E10value_typeET2_T3_PNSL_ISQ_E10value_typeET4_jRbjT5_SW_jjP12ihipStream_tbEUlT_E0_NS1_11comp_targetILNS1_3genE9ELNS1_11target_archE1100ELNS1_3gpuE3ELNS1_3repE0EEENS1_60segmented_radix_sort_warp_sort_medium_config_static_selectorELNS0_4arch9wavefront6targetE0EEEvSK_
	.p2align	8
	.type	_ZN7rocprim17ROCPRIM_400000_NS6detail17trampoline_kernelINS0_14default_configENS1_36segmented_radix_sort_config_selectorIslEEZNS1_25segmented_radix_sort_implIS3_Lb0EPKsPsPKlPlN2at6native12_GLOBAL__N_18offset_tEEE10hipError_tPvRmT1_PNSt15iterator_traitsISK_E10value_typeET2_T3_PNSL_ISQ_E10value_typeET4_jRbjT5_SW_jjP12ihipStream_tbEUlT_E0_NS1_11comp_targetILNS1_3genE9ELNS1_11target_archE1100ELNS1_3gpuE3ELNS1_3repE0EEENS1_60segmented_radix_sort_warp_sort_medium_config_static_selectorELNS0_4arch9wavefront6targetE0EEEvSK_,@function
_ZN7rocprim17ROCPRIM_400000_NS6detail17trampoline_kernelINS0_14default_configENS1_36segmented_radix_sort_config_selectorIslEEZNS1_25segmented_radix_sort_implIS3_Lb0EPKsPsPKlPlN2at6native12_GLOBAL__N_18offset_tEEE10hipError_tPvRmT1_PNSt15iterator_traitsISK_E10value_typeET2_T3_PNSL_ISQ_E10value_typeET4_jRbjT5_SW_jjP12ihipStream_tbEUlT_E0_NS1_11comp_targetILNS1_3genE9ELNS1_11target_archE1100ELNS1_3gpuE3ELNS1_3repE0EEENS1_60segmented_radix_sort_warp_sort_medium_config_static_selectorELNS0_4arch9wavefront6targetE0EEEvSK_: ; @_ZN7rocprim17ROCPRIM_400000_NS6detail17trampoline_kernelINS0_14default_configENS1_36segmented_radix_sort_config_selectorIslEEZNS1_25segmented_radix_sort_implIS3_Lb0EPKsPsPKlPlN2at6native12_GLOBAL__N_18offset_tEEE10hipError_tPvRmT1_PNSt15iterator_traitsISK_E10value_typeET2_T3_PNSL_ISQ_E10value_typeET4_jRbjT5_SW_jjP12ihipStream_tbEUlT_E0_NS1_11comp_targetILNS1_3genE9ELNS1_11target_archE1100ELNS1_3gpuE3ELNS1_3repE0EEENS1_60segmented_radix_sort_warp_sort_medium_config_static_selectorELNS0_4arch9wavefront6targetE0EEEvSK_
; %bb.0:
	s_load_b32 s2, s[0:1], 0x64
	v_bfe_u32 v1, v0, 10, 10
	v_bfe_u32 v2, v0, 20, 10
	s_mov_b32 s32, 0
	s_waitcnt lgkmcnt(0)
	s_lshr_b32 s3, s2, 16
	s_and_b32 s2, s2, 0xffff
	v_mad_u32_u24 v4, v2, s3, v1
	v_and_b32_e32 v1, 0x3ff, v0
	s_load_b32 s3, s[0:1], 0x34
	s_delay_alu instid0(VALU_DEP_1) | instskip(SKIP_1) | instid1(VALU_DEP_1)
	v_mad_u64_u32 v[2:3], null, v4, s2, v[1:2]
	s_mov_b32 s2, exec_lo
	v_lshrrev_b32_e32 v1, 4, v2
	s_delay_alu instid0(VALU_DEP_1) | instskip(SKIP_1) | instid1(VALU_DEP_1)
	v_lshl_add_u32 v1, s14, 4, v1
	s_waitcnt lgkmcnt(0)
	v_cmpx_gt_u32_e64 s3, v1
	s_cbranch_execz .LBB1032_6
; %bb.1:
	s_clause 0x1
	s_load_b64 s[2:3], s[0:1], 0x38
	s_load_b128 s[4:7], s[0:1], 0x40
	v_mov_b32_e32 v2, 0
	s_delay_alu instid0(VALU_DEP_1) | instskip(SKIP_1) | instid1(VALU_DEP_1)
	v_lshlrev_b64 v[1:2], 2, v[1:2]
	s_waitcnt lgkmcnt(0)
	v_add_co_u32 v1, vcc_lo, s2, v1
	s_delay_alu instid0(VALU_DEP_2) | instskip(SKIP_4) | instid1(VALU_DEP_2)
	v_add_co_ci_u32_e32 v2, vcc_lo, s3, v2, vcc_lo
	global_load_b32 v1, v[1:2], off
	s_waitcnt vmcnt(0)
	v_add_nc_u32_e32 v2, s5, v1
	v_add_nc_u32_e32 v1, s7, v1
	v_mul_lo_u32 v40, v2, s4
	s_delay_alu instid0(VALU_DEP_2) | instskip(NEXT) | instid1(VALU_DEP_1)
	v_mul_lo_u32 v41, v1, s6
	v_cmp_gt_u32_e32 vcc_lo, v41, v40
	s_and_b32 exec_lo, exec_lo, vcc_lo
	s_cbranch_execz .LBB1032_6
; %bb.2:
	s_clause 0x3
	s_load_b32 s2, s[0:1], 0x30
	s_load_b128 s[24:27], s[0:1], 0x20
	s_load_b256 s[36:43], s[0:1], 0x0
	s_load_b64 s[28:29], s[0:1], 0x50
	s_waitcnt lgkmcnt(0)
	s_bitcmp0_b32 s2, 0
	s_mov_b32 s2, -1
	s_cbranch_scc0 .LBB1032_4
; %bb.3:
	v_mov_b32_e32 v31, v0
	v_dual_mov_b32 v42, v0 :: v_dual_mov_b32 v1, s37
	v_mov_b32_e32 v0, s36
	v_dual_mov_b32 v2, s38 :: v_dual_mov_b32 v3, s39
	v_dual_mov_b32 v4, s42 :: v_dual_mov_b32 v5, s43
	;; [unrolled: 1-line block ×5, first 2 shown]
	s_add_u32 s8, s0, 0x58
	s_addc_u32 s9, s1, 0
	s_mov_b32 s12, s14
	s_mov_b32 s13, s15
	s_getpc_b64 s[2:3]
	s_add_u32 s2, s2, _ZN7rocprim17ROCPRIM_400000_NS6detail26segmented_warp_sort_helperINS1_20WarpSortHelperConfigILj16ELj8ELj256EEEslLi256ELb0EvE4sortIPKsPsPKlPlEEvT_T0_T1_T2_jjjjRNS5_12storage_typeE@rel32@lo+4
	s_addc_u32 s3, s3, _ZN7rocprim17ROCPRIM_400000_NS6detail26segmented_warp_sort_helperINS1_20WarpSortHelperConfigILj16ELj8ELj256EEEslLi256ELb0EvE4sortIPKsPsPKlPlEEvT_T0_T1_T2_jjjjRNS5_12storage_typeE@rel32@hi+12
	s_mov_b64 s[24:25], s[0:1]
	s_mov_b32 s23, s15
	s_mov_b32 s33, s14
	s_swappc_b64 s[30:31], s[2:3]
	v_mov_b32_e32 v0, v42
	s_mov_b32 s14, s33
	s_mov_b32 s15, s23
	s_mov_b64 s[0:1], s[24:25]
	s_mov_b32 s2, 0
.LBB1032_4:
	s_delay_alu instid0(SALU_CYCLE_1)
	s_and_not1_b32 vcc_lo, exec_lo, s2
	s_cbranch_vccnz .LBB1032_6
; %bb.5:
	v_dual_mov_b32 v31, v0 :: v_dual_mov_b32 v0, s36
	v_dual_mov_b32 v1, s37 :: v_dual_mov_b32 v2, s40
	;; [unrolled: 1-line block ×6, first 2 shown]
	v_mov_b32_e32 v11, s29
	s_add_u32 s8, s0, 0x58
	s_addc_u32 s9, s1, 0
	s_mov_b32 s12, s14
	s_mov_b32 s13, s15
	s_getpc_b64 s[0:1]
	s_add_u32 s0, s0, _ZN7rocprim17ROCPRIM_400000_NS6detail26segmented_warp_sort_helperINS1_20WarpSortHelperConfigILj16ELj8ELj256EEEslLi256ELb0EvE4sortIPKsPsPKlPlEEvT_T0_T1_T2_jjjjRNS5_12storage_typeE@rel32@lo+4
	s_addc_u32 s1, s1, _ZN7rocprim17ROCPRIM_400000_NS6detail26segmented_warp_sort_helperINS1_20WarpSortHelperConfigILj16ELj8ELj256EEEslLi256ELb0EvE4sortIPKsPsPKlPlEEvT_T0_T1_T2_jjjjRNS5_12storage_typeE@rel32@hi+12
	s_delay_alu instid0(SALU_CYCLE_1)
	s_swappc_b64 s[30:31], s[0:1]
.LBB1032_6:
	s_endpgm
	.section	.rodata,"a",@progbits
	.p2align	6, 0x0
	.amdhsa_kernel _ZN7rocprim17ROCPRIM_400000_NS6detail17trampoline_kernelINS0_14default_configENS1_36segmented_radix_sort_config_selectorIslEEZNS1_25segmented_radix_sort_implIS3_Lb0EPKsPsPKlPlN2at6native12_GLOBAL__N_18offset_tEEE10hipError_tPvRmT1_PNSt15iterator_traitsISK_E10value_typeET2_T3_PNSL_ISQ_E10value_typeET4_jRbjT5_SW_jjP12ihipStream_tbEUlT_E0_NS1_11comp_targetILNS1_3genE9ELNS1_11target_archE1100ELNS1_3gpuE3ELNS1_3repE0EEENS1_60segmented_radix_sort_warp_sort_medium_config_static_selectorELNS0_4arch9wavefront6targetE0EEEvSK_
		.amdhsa_group_segment_fixed_size 20480
		.amdhsa_private_segment_fixed_size 0
		.amdhsa_kernarg_size 344
		.amdhsa_user_sgpr_count 14
		.amdhsa_user_sgpr_dispatch_ptr 0
		.amdhsa_user_sgpr_queue_ptr 0
		.amdhsa_user_sgpr_kernarg_segment_ptr 1
		.amdhsa_user_sgpr_dispatch_id 0
		.amdhsa_user_sgpr_private_segment_size 0
		.amdhsa_wavefront_size32 1
		.amdhsa_uses_dynamic_stack 0
		.amdhsa_enable_private_segment 0
		.amdhsa_system_sgpr_workgroup_id_x 1
		.amdhsa_system_sgpr_workgroup_id_y 1
		.amdhsa_system_sgpr_workgroup_id_z 0
		.amdhsa_system_sgpr_workgroup_info 0
		.amdhsa_system_vgpr_workitem_id 2
		.amdhsa_next_free_vgpr 82
		.amdhsa_next_free_sgpr 44
		.amdhsa_reserve_vcc 1
		.amdhsa_float_round_mode_32 0
		.amdhsa_float_round_mode_16_64 0
		.amdhsa_float_denorm_mode_32 3
		.amdhsa_float_denorm_mode_16_64 3
		.amdhsa_dx10_clamp 1
		.amdhsa_ieee_mode 1
		.amdhsa_fp16_overflow 0
		.amdhsa_workgroup_processor_mode 1
		.amdhsa_memory_ordered 1
		.amdhsa_forward_progress 0
		.amdhsa_shared_vgpr_count 0
		.amdhsa_exception_fp_ieee_invalid_op 0
		.amdhsa_exception_fp_denorm_src 0
		.amdhsa_exception_fp_ieee_div_zero 0
		.amdhsa_exception_fp_ieee_overflow 0
		.amdhsa_exception_fp_ieee_underflow 0
		.amdhsa_exception_fp_ieee_inexact 0
		.amdhsa_exception_int_div_zero 0
	.end_amdhsa_kernel
	.section	.text._ZN7rocprim17ROCPRIM_400000_NS6detail17trampoline_kernelINS0_14default_configENS1_36segmented_radix_sort_config_selectorIslEEZNS1_25segmented_radix_sort_implIS3_Lb0EPKsPsPKlPlN2at6native12_GLOBAL__N_18offset_tEEE10hipError_tPvRmT1_PNSt15iterator_traitsISK_E10value_typeET2_T3_PNSL_ISQ_E10value_typeET4_jRbjT5_SW_jjP12ihipStream_tbEUlT_E0_NS1_11comp_targetILNS1_3genE9ELNS1_11target_archE1100ELNS1_3gpuE3ELNS1_3repE0EEENS1_60segmented_radix_sort_warp_sort_medium_config_static_selectorELNS0_4arch9wavefront6targetE0EEEvSK_,"axG",@progbits,_ZN7rocprim17ROCPRIM_400000_NS6detail17trampoline_kernelINS0_14default_configENS1_36segmented_radix_sort_config_selectorIslEEZNS1_25segmented_radix_sort_implIS3_Lb0EPKsPsPKlPlN2at6native12_GLOBAL__N_18offset_tEEE10hipError_tPvRmT1_PNSt15iterator_traitsISK_E10value_typeET2_T3_PNSL_ISQ_E10value_typeET4_jRbjT5_SW_jjP12ihipStream_tbEUlT_E0_NS1_11comp_targetILNS1_3genE9ELNS1_11target_archE1100ELNS1_3gpuE3ELNS1_3repE0EEENS1_60segmented_radix_sort_warp_sort_medium_config_static_selectorELNS0_4arch9wavefront6targetE0EEEvSK_,comdat
.Lfunc_end1032:
	.size	_ZN7rocprim17ROCPRIM_400000_NS6detail17trampoline_kernelINS0_14default_configENS1_36segmented_radix_sort_config_selectorIslEEZNS1_25segmented_radix_sort_implIS3_Lb0EPKsPsPKlPlN2at6native12_GLOBAL__N_18offset_tEEE10hipError_tPvRmT1_PNSt15iterator_traitsISK_E10value_typeET2_T3_PNSL_ISQ_E10value_typeET4_jRbjT5_SW_jjP12ihipStream_tbEUlT_E0_NS1_11comp_targetILNS1_3genE9ELNS1_11target_archE1100ELNS1_3gpuE3ELNS1_3repE0EEENS1_60segmented_radix_sort_warp_sort_medium_config_static_selectorELNS0_4arch9wavefront6targetE0EEEvSK_, .Lfunc_end1032-_ZN7rocprim17ROCPRIM_400000_NS6detail17trampoline_kernelINS0_14default_configENS1_36segmented_radix_sort_config_selectorIslEEZNS1_25segmented_radix_sort_implIS3_Lb0EPKsPsPKlPlN2at6native12_GLOBAL__N_18offset_tEEE10hipError_tPvRmT1_PNSt15iterator_traitsISK_E10value_typeET2_T3_PNSL_ISQ_E10value_typeET4_jRbjT5_SW_jjP12ihipStream_tbEUlT_E0_NS1_11comp_targetILNS1_3genE9ELNS1_11target_archE1100ELNS1_3gpuE3ELNS1_3repE0EEENS1_60segmented_radix_sort_warp_sort_medium_config_static_selectorELNS0_4arch9wavefront6targetE0EEEvSK_
                                        ; -- End function
	.section	.AMDGPU.csdata,"",@progbits
; Kernel info:
; codeLenInByte = 524
; NumSgprs: 46
; NumVgprs: 82
; ScratchSize: 0
; MemoryBound: 0
; FloatMode: 240
; IeeeMode: 1
; LDSByteSize: 20480 bytes/workgroup (compile time only)
; SGPRBlocks: 5
; VGPRBlocks: 10
; NumSGPRsForWavesPerEU: 46
; NumVGPRsForWavesPerEU: 82
; Occupancy: 12
; WaveLimiterHint : 0
; COMPUTE_PGM_RSRC2:SCRATCH_EN: 0
; COMPUTE_PGM_RSRC2:USER_SGPR: 14
; COMPUTE_PGM_RSRC2:TRAP_HANDLER: 0
; COMPUTE_PGM_RSRC2:TGID_X_EN: 1
; COMPUTE_PGM_RSRC2:TGID_Y_EN: 1
; COMPUTE_PGM_RSRC2:TGID_Z_EN: 0
; COMPUTE_PGM_RSRC2:TIDIG_COMP_CNT: 2
	.section	.text._ZN7rocprim17ROCPRIM_400000_NS6detail17trampoline_kernelINS0_14default_configENS1_36segmented_radix_sort_config_selectorIslEEZNS1_25segmented_radix_sort_implIS3_Lb0EPKsPsPKlPlN2at6native12_GLOBAL__N_18offset_tEEE10hipError_tPvRmT1_PNSt15iterator_traitsISK_E10value_typeET2_T3_PNSL_ISQ_E10value_typeET4_jRbjT5_SW_jjP12ihipStream_tbEUlT_E0_NS1_11comp_targetILNS1_3genE8ELNS1_11target_archE1030ELNS1_3gpuE2ELNS1_3repE0EEENS1_60segmented_radix_sort_warp_sort_medium_config_static_selectorELNS0_4arch9wavefront6targetE0EEEvSK_,"axG",@progbits,_ZN7rocprim17ROCPRIM_400000_NS6detail17trampoline_kernelINS0_14default_configENS1_36segmented_radix_sort_config_selectorIslEEZNS1_25segmented_radix_sort_implIS3_Lb0EPKsPsPKlPlN2at6native12_GLOBAL__N_18offset_tEEE10hipError_tPvRmT1_PNSt15iterator_traitsISK_E10value_typeET2_T3_PNSL_ISQ_E10value_typeET4_jRbjT5_SW_jjP12ihipStream_tbEUlT_E0_NS1_11comp_targetILNS1_3genE8ELNS1_11target_archE1030ELNS1_3gpuE2ELNS1_3repE0EEENS1_60segmented_radix_sort_warp_sort_medium_config_static_selectorELNS0_4arch9wavefront6targetE0EEEvSK_,comdat
	.globl	_ZN7rocprim17ROCPRIM_400000_NS6detail17trampoline_kernelINS0_14default_configENS1_36segmented_radix_sort_config_selectorIslEEZNS1_25segmented_radix_sort_implIS3_Lb0EPKsPsPKlPlN2at6native12_GLOBAL__N_18offset_tEEE10hipError_tPvRmT1_PNSt15iterator_traitsISK_E10value_typeET2_T3_PNSL_ISQ_E10value_typeET4_jRbjT5_SW_jjP12ihipStream_tbEUlT_E0_NS1_11comp_targetILNS1_3genE8ELNS1_11target_archE1030ELNS1_3gpuE2ELNS1_3repE0EEENS1_60segmented_radix_sort_warp_sort_medium_config_static_selectorELNS0_4arch9wavefront6targetE0EEEvSK_ ; -- Begin function _ZN7rocprim17ROCPRIM_400000_NS6detail17trampoline_kernelINS0_14default_configENS1_36segmented_radix_sort_config_selectorIslEEZNS1_25segmented_radix_sort_implIS3_Lb0EPKsPsPKlPlN2at6native12_GLOBAL__N_18offset_tEEE10hipError_tPvRmT1_PNSt15iterator_traitsISK_E10value_typeET2_T3_PNSL_ISQ_E10value_typeET4_jRbjT5_SW_jjP12ihipStream_tbEUlT_E0_NS1_11comp_targetILNS1_3genE8ELNS1_11target_archE1030ELNS1_3gpuE2ELNS1_3repE0EEENS1_60segmented_radix_sort_warp_sort_medium_config_static_selectorELNS0_4arch9wavefront6targetE0EEEvSK_
	.p2align	8
	.type	_ZN7rocprim17ROCPRIM_400000_NS6detail17trampoline_kernelINS0_14default_configENS1_36segmented_radix_sort_config_selectorIslEEZNS1_25segmented_radix_sort_implIS3_Lb0EPKsPsPKlPlN2at6native12_GLOBAL__N_18offset_tEEE10hipError_tPvRmT1_PNSt15iterator_traitsISK_E10value_typeET2_T3_PNSL_ISQ_E10value_typeET4_jRbjT5_SW_jjP12ihipStream_tbEUlT_E0_NS1_11comp_targetILNS1_3genE8ELNS1_11target_archE1030ELNS1_3gpuE2ELNS1_3repE0EEENS1_60segmented_radix_sort_warp_sort_medium_config_static_selectorELNS0_4arch9wavefront6targetE0EEEvSK_,@function
_ZN7rocprim17ROCPRIM_400000_NS6detail17trampoline_kernelINS0_14default_configENS1_36segmented_radix_sort_config_selectorIslEEZNS1_25segmented_radix_sort_implIS3_Lb0EPKsPsPKlPlN2at6native12_GLOBAL__N_18offset_tEEE10hipError_tPvRmT1_PNSt15iterator_traitsISK_E10value_typeET2_T3_PNSL_ISQ_E10value_typeET4_jRbjT5_SW_jjP12ihipStream_tbEUlT_E0_NS1_11comp_targetILNS1_3genE8ELNS1_11target_archE1030ELNS1_3gpuE2ELNS1_3repE0EEENS1_60segmented_radix_sort_warp_sort_medium_config_static_selectorELNS0_4arch9wavefront6targetE0EEEvSK_: ; @_ZN7rocprim17ROCPRIM_400000_NS6detail17trampoline_kernelINS0_14default_configENS1_36segmented_radix_sort_config_selectorIslEEZNS1_25segmented_radix_sort_implIS3_Lb0EPKsPsPKlPlN2at6native12_GLOBAL__N_18offset_tEEE10hipError_tPvRmT1_PNSt15iterator_traitsISK_E10value_typeET2_T3_PNSL_ISQ_E10value_typeET4_jRbjT5_SW_jjP12ihipStream_tbEUlT_E0_NS1_11comp_targetILNS1_3genE8ELNS1_11target_archE1030ELNS1_3gpuE2ELNS1_3repE0EEENS1_60segmented_radix_sort_warp_sort_medium_config_static_selectorELNS0_4arch9wavefront6targetE0EEEvSK_
; %bb.0:
	.section	.rodata,"a",@progbits
	.p2align	6, 0x0
	.amdhsa_kernel _ZN7rocprim17ROCPRIM_400000_NS6detail17trampoline_kernelINS0_14default_configENS1_36segmented_radix_sort_config_selectorIslEEZNS1_25segmented_radix_sort_implIS3_Lb0EPKsPsPKlPlN2at6native12_GLOBAL__N_18offset_tEEE10hipError_tPvRmT1_PNSt15iterator_traitsISK_E10value_typeET2_T3_PNSL_ISQ_E10value_typeET4_jRbjT5_SW_jjP12ihipStream_tbEUlT_E0_NS1_11comp_targetILNS1_3genE8ELNS1_11target_archE1030ELNS1_3gpuE2ELNS1_3repE0EEENS1_60segmented_radix_sort_warp_sort_medium_config_static_selectorELNS0_4arch9wavefront6targetE0EEEvSK_
		.amdhsa_group_segment_fixed_size 0
		.amdhsa_private_segment_fixed_size 0
		.amdhsa_kernarg_size 88
		.amdhsa_user_sgpr_count 15
		.amdhsa_user_sgpr_dispatch_ptr 0
		.amdhsa_user_sgpr_queue_ptr 0
		.amdhsa_user_sgpr_kernarg_segment_ptr 1
		.amdhsa_user_sgpr_dispatch_id 0
		.amdhsa_user_sgpr_private_segment_size 0
		.amdhsa_wavefront_size32 1
		.amdhsa_uses_dynamic_stack 0
		.amdhsa_enable_private_segment 0
		.amdhsa_system_sgpr_workgroup_id_x 1
		.amdhsa_system_sgpr_workgroup_id_y 0
		.amdhsa_system_sgpr_workgroup_id_z 0
		.amdhsa_system_sgpr_workgroup_info 0
		.amdhsa_system_vgpr_workitem_id 0
		.amdhsa_next_free_vgpr 1
		.amdhsa_next_free_sgpr 1
		.amdhsa_reserve_vcc 0
		.amdhsa_float_round_mode_32 0
		.amdhsa_float_round_mode_16_64 0
		.amdhsa_float_denorm_mode_32 3
		.amdhsa_float_denorm_mode_16_64 3
		.amdhsa_dx10_clamp 1
		.amdhsa_ieee_mode 1
		.amdhsa_fp16_overflow 0
		.amdhsa_workgroup_processor_mode 1
		.amdhsa_memory_ordered 1
		.amdhsa_forward_progress 0
		.amdhsa_shared_vgpr_count 0
		.amdhsa_exception_fp_ieee_invalid_op 0
		.amdhsa_exception_fp_denorm_src 0
		.amdhsa_exception_fp_ieee_div_zero 0
		.amdhsa_exception_fp_ieee_overflow 0
		.amdhsa_exception_fp_ieee_underflow 0
		.amdhsa_exception_fp_ieee_inexact 0
		.amdhsa_exception_int_div_zero 0
	.end_amdhsa_kernel
	.section	.text._ZN7rocprim17ROCPRIM_400000_NS6detail17trampoline_kernelINS0_14default_configENS1_36segmented_radix_sort_config_selectorIslEEZNS1_25segmented_radix_sort_implIS3_Lb0EPKsPsPKlPlN2at6native12_GLOBAL__N_18offset_tEEE10hipError_tPvRmT1_PNSt15iterator_traitsISK_E10value_typeET2_T3_PNSL_ISQ_E10value_typeET4_jRbjT5_SW_jjP12ihipStream_tbEUlT_E0_NS1_11comp_targetILNS1_3genE8ELNS1_11target_archE1030ELNS1_3gpuE2ELNS1_3repE0EEENS1_60segmented_radix_sort_warp_sort_medium_config_static_selectorELNS0_4arch9wavefront6targetE0EEEvSK_,"axG",@progbits,_ZN7rocprim17ROCPRIM_400000_NS6detail17trampoline_kernelINS0_14default_configENS1_36segmented_radix_sort_config_selectorIslEEZNS1_25segmented_radix_sort_implIS3_Lb0EPKsPsPKlPlN2at6native12_GLOBAL__N_18offset_tEEE10hipError_tPvRmT1_PNSt15iterator_traitsISK_E10value_typeET2_T3_PNSL_ISQ_E10value_typeET4_jRbjT5_SW_jjP12ihipStream_tbEUlT_E0_NS1_11comp_targetILNS1_3genE8ELNS1_11target_archE1030ELNS1_3gpuE2ELNS1_3repE0EEENS1_60segmented_radix_sort_warp_sort_medium_config_static_selectorELNS0_4arch9wavefront6targetE0EEEvSK_,comdat
.Lfunc_end1033:
	.size	_ZN7rocprim17ROCPRIM_400000_NS6detail17trampoline_kernelINS0_14default_configENS1_36segmented_radix_sort_config_selectorIslEEZNS1_25segmented_radix_sort_implIS3_Lb0EPKsPsPKlPlN2at6native12_GLOBAL__N_18offset_tEEE10hipError_tPvRmT1_PNSt15iterator_traitsISK_E10value_typeET2_T3_PNSL_ISQ_E10value_typeET4_jRbjT5_SW_jjP12ihipStream_tbEUlT_E0_NS1_11comp_targetILNS1_3genE8ELNS1_11target_archE1030ELNS1_3gpuE2ELNS1_3repE0EEENS1_60segmented_radix_sort_warp_sort_medium_config_static_selectorELNS0_4arch9wavefront6targetE0EEEvSK_, .Lfunc_end1033-_ZN7rocprim17ROCPRIM_400000_NS6detail17trampoline_kernelINS0_14default_configENS1_36segmented_radix_sort_config_selectorIslEEZNS1_25segmented_radix_sort_implIS3_Lb0EPKsPsPKlPlN2at6native12_GLOBAL__N_18offset_tEEE10hipError_tPvRmT1_PNSt15iterator_traitsISK_E10value_typeET2_T3_PNSL_ISQ_E10value_typeET4_jRbjT5_SW_jjP12ihipStream_tbEUlT_E0_NS1_11comp_targetILNS1_3genE8ELNS1_11target_archE1030ELNS1_3gpuE2ELNS1_3repE0EEENS1_60segmented_radix_sort_warp_sort_medium_config_static_selectorELNS0_4arch9wavefront6targetE0EEEvSK_
                                        ; -- End function
	.section	.AMDGPU.csdata,"",@progbits
; Kernel info:
; codeLenInByte = 0
; NumSgprs: 0
; NumVgprs: 0
; ScratchSize: 0
; MemoryBound: 0
; FloatMode: 240
; IeeeMode: 1
; LDSByteSize: 0 bytes/workgroup (compile time only)
; SGPRBlocks: 0
; VGPRBlocks: 0
; NumSGPRsForWavesPerEU: 1
; NumVGPRsForWavesPerEU: 1
; Occupancy: 16
; WaveLimiterHint : 0
; COMPUTE_PGM_RSRC2:SCRATCH_EN: 0
; COMPUTE_PGM_RSRC2:USER_SGPR: 15
; COMPUTE_PGM_RSRC2:TRAP_HANDLER: 0
; COMPUTE_PGM_RSRC2:TGID_X_EN: 1
; COMPUTE_PGM_RSRC2:TGID_Y_EN: 0
; COMPUTE_PGM_RSRC2:TGID_Z_EN: 0
; COMPUTE_PGM_RSRC2:TIDIG_COMP_CNT: 0
	.section	.text._ZN7rocprim17ROCPRIM_400000_NS6detail17trampoline_kernelINS0_14default_configENS1_36segmented_radix_sort_config_selectorIslEEZNS1_25segmented_radix_sort_implIS3_Lb0EPKsPsPKlPlN2at6native12_GLOBAL__N_18offset_tEEE10hipError_tPvRmT1_PNSt15iterator_traitsISK_E10value_typeET2_T3_PNSL_ISQ_E10value_typeET4_jRbjT5_SW_jjP12ihipStream_tbEUlT_E1_NS1_11comp_targetILNS1_3genE0ELNS1_11target_archE4294967295ELNS1_3gpuE0ELNS1_3repE0EEENS1_59segmented_radix_sort_warp_sort_small_config_static_selectorELNS0_4arch9wavefront6targetE0EEEvSK_,"axG",@progbits,_ZN7rocprim17ROCPRIM_400000_NS6detail17trampoline_kernelINS0_14default_configENS1_36segmented_radix_sort_config_selectorIslEEZNS1_25segmented_radix_sort_implIS3_Lb0EPKsPsPKlPlN2at6native12_GLOBAL__N_18offset_tEEE10hipError_tPvRmT1_PNSt15iterator_traitsISK_E10value_typeET2_T3_PNSL_ISQ_E10value_typeET4_jRbjT5_SW_jjP12ihipStream_tbEUlT_E1_NS1_11comp_targetILNS1_3genE0ELNS1_11target_archE4294967295ELNS1_3gpuE0ELNS1_3repE0EEENS1_59segmented_radix_sort_warp_sort_small_config_static_selectorELNS0_4arch9wavefront6targetE0EEEvSK_,comdat
	.globl	_ZN7rocprim17ROCPRIM_400000_NS6detail17trampoline_kernelINS0_14default_configENS1_36segmented_radix_sort_config_selectorIslEEZNS1_25segmented_radix_sort_implIS3_Lb0EPKsPsPKlPlN2at6native12_GLOBAL__N_18offset_tEEE10hipError_tPvRmT1_PNSt15iterator_traitsISK_E10value_typeET2_T3_PNSL_ISQ_E10value_typeET4_jRbjT5_SW_jjP12ihipStream_tbEUlT_E1_NS1_11comp_targetILNS1_3genE0ELNS1_11target_archE4294967295ELNS1_3gpuE0ELNS1_3repE0EEENS1_59segmented_radix_sort_warp_sort_small_config_static_selectorELNS0_4arch9wavefront6targetE0EEEvSK_ ; -- Begin function _ZN7rocprim17ROCPRIM_400000_NS6detail17trampoline_kernelINS0_14default_configENS1_36segmented_radix_sort_config_selectorIslEEZNS1_25segmented_radix_sort_implIS3_Lb0EPKsPsPKlPlN2at6native12_GLOBAL__N_18offset_tEEE10hipError_tPvRmT1_PNSt15iterator_traitsISK_E10value_typeET2_T3_PNSL_ISQ_E10value_typeET4_jRbjT5_SW_jjP12ihipStream_tbEUlT_E1_NS1_11comp_targetILNS1_3genE0ELNS1_11target_archE4294967295ELNS1_3gpuE0ELNS1_3repE0EEENS1_59segmented_radix_sort_warp_sort_small_config_static_selectorELNS0_4arch9wavefront6targetE0EEEvSK_
	.p2align	8
	.type	_ZN7rocprim17ROCPRIM_400000_NS6detail17trampoline_kernelINS0_14default_configENS1_36segmented_radix_sort_config_selectorIslEEZNS1_25segmented_radix_sort_implIS3_Lb0EPKsPsPKlPlN2at6native12_GLOBAL__N_18offset_tEEE10hipError_tPvRmT1_PNSt15iterator_traitsISK_E10value_typeET2_T3_PNSL_ISQ_E10value_typeET4_jRbjT5_SW_jjP12ihipStream_tbEUlT_E1_NS1_11comp_targetILNS1_3genE0ELNS1_11target_archE4294967295ELNS1_3gpuE0ELNS1_3repE0EEENS1_59segmented_radix_sort_warp_sort_small_config_static_selectorELNS0_4arch9wavefront6targetE0EEEvSK_,@function
_ZN7rocprim17ROCPRIM_400000_NS6detail17trampoline_kernelINS0_14default_configENS1_36segmented_radix_sort_config_selectorIslEEZNS1_25segmented_radix_sort_implIS3_Lb0EPKsPsPKlPlN2at6native12_GLOBAL__N_18offset_tEEE10hipError_tPvRmT1_PNSt15iterator_traitsISK_E10value_typeET2_T3_PNSL_ISQ_E10value_typeET4_jRbjT5_SW_jjP12ihipStream_tbEUlT_E1_NS1_11comp_targetILNS1_3genE0ELNS1_11target_archE4294967295ELNS1_3gpuE0ELNS1_3repE0EEENS1_59segmented_radix_sort_warp_sort_small_config_static_selectorELNS0_4arch9wavefront6targetE0EEEvSK_: ; @_ZN7rocprim17ROCPRIM_400000_NS6detail17trampoline_kernelINS0_14default_configENS1_36segmented_radix_sort_config_selectorIslEEZNS1_25segmented_radix_sort_implIS3_Lb0EPKsPsPKlPlN2at6native12_GLOBAL__N_18offset_tEEE10hipError_tPvRmT1_PNSt15iterator_traitsISK_E10value_typeET2_T3_PNSL_ISQ_E10value_typeET4_jRbjT5_SW_jjP12ihipStream_tbEUlT_E1_NS1_11comp_targetILNS1_3genE0ELNS1_11target_archE4294967295ELNS1_3gpuE0ELNS1_3repE0EEENS1_59segmented_radix_sort_warp_sort_small_config_static_selectorELNS0_4arch9wavefront6targetE0EEEvSK_
; %bb.0:
	.section	.rodata,"a",@progbits
	.p2align	6, 0x0
	.amdhsa_kernel _ZN7rocprim17ROCPRIM_400000_NS6detail17trampoline_kernelINS0_14default_configENS1_36segmented_radix_sort_config_selectorIslEEZNS1_25segmented_radix_sort_implIS3_Lb0EPKsPsPKlPlN2at6native12_GLOBAL__N_18offset_tEEE10hipError_tPvRmT1_PNSt15iterator_traitsISK_E10value_typeET2_T3_PNSL_ISQ_E10value_typeET4_jRbjT5_SW_jjP12ihipStream_tbEUlT_E1_NS1_11comp_targetILNS1_3genE0ELNS1_11target_archE4294967295ELNS1_3gpuE0ELNS1_3repE0EEENS1_59segmented_radix_sort_warp_sort_small_config_static_selectorELNS0_4arch9wavefront6targetE0EEEvSK_
		.amdhsa_group_segment_fixed_size 0
		.amdhsa_private_segment_fixed_size 0
		.amdhsa_kernarg_size 88
		.amdhsa_user_sgpr_count 15
		.amdhsa_user_sgpr_dispatch_ptr 0
		.amdhsa_user_sgpr_queue_ptr 0
		.amdhsa_user_sgpr_kernarg_segment_ptr 1
		.amdhsa_user_sgpr_dispatch_id 0
		.amdhsa_user_sgpr_private_segment_size 0
		.amdhsa_wavefront_size32 1
		.amdhsa_uses_dynamic_stack 0
		.amdhsa_enable_private_segment 0
		.amdhsa_system_sgpr_workgroup_id_x 1
		.amdhsa_system_sgpr_workgroup_id_y 0
		.amdhsa_system_sgpr_workgroup_id_z 0
		.amdhsa_system_sgpr_workgroup_info 0
		.amdhsa_system_vgpr_workitem_id 0
		.amdhsa_next_free_vgpr 1
		.amdhsa_next_free_sgpr 1
		.amdhsa_reserve_vcc 0
		.amdhsa_float_round_mode_32 0
		.amdhsa_float_round_mode_16_64 0
		.amdhsa_float_denorm_mode_32 3
		.amdhsa_float_denorm_mode_16_64 3
		.amdhsa_dx10_clamp 1
		.amdhsa_ieee_mode 1
		.amdhsa_fp16_overflow 0
		.amdhsa_workgroup_processor_mode 1
		.amdhsa_memory_ordered 1
		.amdhsa_forward_progress 0
		.amdhsa_shared_vgpr_count 0
		.amdhsa_exception_fp_ieee_invalid_op 0
		.amdhsa_exception_fp_denorm_src 0
		.amdhsa_exception_fp_ieee_div_zero 0
		.amdhsa_exception_fp_ieee_overflow 0
		.amdhsa_exception_fp_ieee_underflow 0
		.amdhsa_exception_fp_ieee_inexact 0
		.amdhsa_exception_int_div_zero 0
	.end_amdhsa_kernel
	.section	.text._ZN7rocprim17ROCPRIM_400000_NS6detail17trampoline_kernelINS0_14default_configENS1_36segmented_radix_sort_config_selectorIslEEZNS1_25segmented_radix_sort_implIS3_Lb0EPKsPsPKlPlN2at6native12_GLOBAL__N_18offset_tEEE10hipError_tPvRmT1_PNSt15iterator_traitsISK_E10value_typeET2_T3_PNSL_ISQ_E10value_typeET4_jRbjT5_SW_jjP12ihipStream_tbEUlT_E1_NS1_11comp_targetILNS1_3genE0ELNS1_11target_archE4294967295ELNS1_3gpuE0ELNS1_3repE0EEENS1_59segmented_radix_sort_warp_sort_small_config_static_selectorELNS0_4arch9wavefront6targetE0EEEvSK_,"axG",@progbits,_ZN7rocprim17ROCPRIM_400000_NS6detail17trampoline_kernelINS0_14default_configENS1_36segmented_radix_sort_config_selectorIslEEZNS1_25segmented_radix_sort_implIS3_Lb0EPKsPsPKlPlN2at6native12_GLOBAL__N_18offset_tEEE10hipError_tPvRmT1_PNSt15iterator_traitsISK_E10value_typeET2_T3_PNSL_ISQ_E10value_typeET4_jRbjT5_SW_jjP12ihipStream_tbEUlT_E1_NS1_11comp_targetILNS1_3genE0ELNS1_11target_archE4294967295ELNS1_3gpuE0ELNS1_3repE0EEENS1_59segmented_radix_sort_warp_sort_small_config_static_selectorELNS0_4arch9wavefront6targetE0EEEvSK_,comdat
.Lfunc_end1034:
	.size	_ZN7rocprim17ROCPRIM_400000_NS6detail17trampoline_kernelINS0_14default_configENS1_36segmented_radix_sort_config_selectorIslEEZNS1_25segmented_radix_sort_implIS3_Lb0EPKsPsPKlPlN2at6native12_GLOBAL__N_18offset_tEEE10hipError_tPvRmT1_PNSt15iterator_traitsISK_E10value_typeET2_T3_PNSL_ISQ_E10value_typeET4_jRbjT5_SW_jjP12ihipStream_tbEUlT_E1_NS1_11comp_targetILNS1_3genE0ELNS1_11target_archE4294967295ELNS1_3gpuE0ELNS1_3repE0EEENS1_59segmented_radix_sort_warp_sort_small_config_static_selectorELNS0_4arch9wavefront6targetE0EEEvSK_, .Lfunc_end1034-_ZN7rocprim17ROCPRIM_400000_NS6detail17trampoline_kernelINS0_14default_configENS1_36segmented_radix_sort_config_selectorIslEEZNS1_25segmented_radix_sort_implIS3_Lb0EPKsPsPKlPlN2at6native12_GLOBAL__N_18offset_tEEE10hipError_tPvRmT1_PNSt15iterator_traitsISK_E10value_typeET2_T3_PNSL_ISQ_E10value_typeET4_jRbjT5_SW_jjP12ihipStream_tbEUlT_E1_NS1_11comp_targetILNS1_3genE0ELNS1_11target_archE4294967295ELNS1_3gpuE0ELNS1_3repE0EEENS1_59segmented_radix_sort_warp_sort_small_config_static_selectorELNS0_4arch9wavefront6targetE0EEEvSK_
                                        ; -- End function
	.section	.AMDGPU.csdata,"",@progbits
; Kernel info:
; codeLenInByte = 0
; NumSgprs: 0
; NumVgprs: 0
; ScratchSize: 0
; MemoryBound: 0
; FloatMode: 240
; IeeeMode: 1
; LDSByteSize: 0 bytes/workgroup (compile time only)
; SGPRBlocks: 0
; VGPRBlocks: 0
; NumSGPRsForWavesPerEU: 1
; NumVGPRsForWavesPerEU: 1
; Occupancy: 16
; WaveLimiterHint : 0
; COMPUTE_PGM_RSRC2:SCRATCH_EN: 0
; COMPUTE_PGM_RSRC2:USER_SGPR: 15
; COMPUTE_PGM_RSRC2:TRAP_HANDLER: 0
; COMPUTE_PGM_RSRC2:TGID_X_EN: 1
; COMPUTE_PGM_RSRC2:TGID_Y_EN: 0
; COMPUTE_PGM_RSRC2:TGID_Z_EN: 0
; COMPUTE_PGM_RSRC2:TIDIG_COMP_CNT: 0
	.section	.text._ZN7rocprim17ROCPRIM_400000_NS6detail17trampoline_kernelINS0_14default_configENS1_36segmented_radix_sort_config_selectorIslEEZNS1_25segmented_radix_sort_implIS3_Lb0EPKsPsPKlPlN2at6native12_GLOBAL__N_18offset_tEEE10hipError_tPvRmT1_PNSt15iterator_traitsISK_E10value_typeET2_T3_PNSL_ISQ_E10value_typeET4_jRbjT5_SW_jjP12ihipStream_tbEUlT_E1_NS1_11comp_targetILNS1_3genE5ELNS1_11target_archE942ELNS1_3gpuE9ELNS1_3repE0EEENS1_59segmented_radix_sort_warp_sort_small_config_static_selectorELNS0_4arch9wavefront6targetE0EEEvSK_,"axG",@progbits,_ZN7rocprim17ROCPRIM_400000_NS6detail17trampoline_kernelINS0_14default_configENS1_36segmented_radix_sort_config_selectorIslEEZNS1_25segmented_radix_sort_implIS3_Lb0EPKsPsPKlPlN2at6native12_GLOBAL__N_18offset_tEEE10hipError_tPvRmT1_PNSt15iterator_traitsISK_E10value_typeET2_T3_PNSL_ISQ_E10value_typeET4_jRbjT5_SW_jjP12ihipStream_tbEUlT_E1_NS1_11comp_targetILNS1_3genE5ELNS1_11target_archE942ELNS1_3gpuE9ELNS1_3repE0EEENS1_59segmented_radix_sort_warp_sort_small_config_static_selectorELNS0_4arch9wavefront6targetE0EEEvSK_,comdat
	.globl	_ZN7rocprim17ROCPRIM_400000_NS6detail17trampoline_kernelINS0_14default_configENS1_36segmented_radix_sort_config_selectorIslEEZNS1_25segmented_radix_sort_implIS3_Lb0EPKsPsPKlPlN2at6native12_GLOBAL__N_18offset_tEEE10hipError_tPvRmT1_PNSt15iterator_traitsISK_E10value_typeET2_T3_PNSL_ISQ_E10value_typeET4_jRbjT5_SW_jjP12ihipStream_tbEUlT_E1_NS1_11comp_targetILNS1_3genE5ELNS1_11target_archE942ELNS1_3gpuE9ELNS1_3repE0EEENS1_59segmented_radix_sort_warp_sort_small_config_static_selectorELNS0_4arch9wavefront6targetE0EEEvSK_ ; -- Begin function _ZN7rocprim17ROCPRIM_400000_NS6detail17trampoline_kernelINS0_14default_configENS1_36segmented_radix_sort_config_selectorIslEEZNS1_25segmented_radix_sort_implIS3_Lb0EPKsPsPKlPlN2at6native12_GLOBAL__N_18offset_tEEE10hipError_tPvRmT1_PNSt15iterator_traitsISK_E10value_typeET2_T3_PNSL_ISQ_E10value_typeET4_jRbjT5_SW_jjP12ihipStream_tbEUlT_E1_NS1_11comp_targetILNS1_3genE5ELNS1_11target_archE942ELNS1_3gpuE9ELNS1_3repE0EEENS1_59segmented_radix_sort_warp_sort_small_config_static_selectorELNS0_4arch9wavefront6targetE0EEEvSK_
	.p2align	8
	.type	_ZN7rocprim17ROCPRIM_400000_NS6detail17trampoline_kernelINS0_14default_configENS1_36segmented_radix_sort_config_selectorIslEEZNS1_25segmented_radix_sort_implIS3_Lb0EPKsPsPKlPlN2at6native12_GLOBAL__N_18offset_tEEE10hipError_tPvRmT1_PNSt15iterator_traitsISK_E10value_typeET2_T3_PNSL_ISQ_E10value_typeET4_jRbjT5_SW_jjP12ihipStream_tbEUlT_E1_NS1_11comp_targetILNS1_3genE5ELNS1_11target_archE942ELNS1_3gpuE9ELNS1_3repE0EEENS1_59segmented_radix_sort_warp_sort_small_config_static_selectorELNS0_4arch9wavefront6targetE0EEEvSK_,@function
_ZN7rocprim17ROCPRIM_400000_NS6detail17trampoline_kernelINS0_14default_configENS1_36segmented_radix_sort_config_selectorIslEEZNS1_25segmented_radix_sort_implIS3_Lb0EPKsPsPKlPlN2at6native12_GLOBAL__N_18offset_tEEE10hipError_tPvRmT1_PNSt15iterator_traitsISK_E10value_typeET2_T3_PNSL_ISQ_E10value_typeET4_jRbjT5_SW_jjP12ihipStream_tbEUlT_E1_NS1_11comp_targetILNS1_3genE5ELNS1_11target_archE942ELNS1_3gpuE9ELNS1_3repE0EEENS1_59segmented_radix_sort_warp_sort_small_config_static_selectorELNS0_4arch9wavefront6targetE0EEEvSK_: ; @_ZN7rocprim17ROCPRIM_400000_NS6detail17trampoline_kernelINS0_14default_configENS1_36segmented_radix_sort_config_selectorIslEEZNS1_25segmented_radix_sort_implIS3_Lb0EPKsPsPKlPlN2at6native12_GLOBAL__N_18offset_tEEE10hipError_tPvRmT1_PNSt15iterator_traitsISK_E10value_typeET2_T3_PNSL_ISQ_E10value_typeET4_jRbjT5_SW_jjP12ihipStream_tbEUlT_E1_NS1_11comp_targetILNS1_3genE5ELNS1_11target_archE942ELNS1_3gpuE9ELNS1_3repE0EEENS1_59segmented_radix_sort_warp_sort_small_config_static_selectorELNS0_4arch9wavefront6targetE0EEEvSK_
; %bb.0:
	.section	.rodata,"a",@progbits
	.p2align	6, 0x0
	.amdhsa_kernel _ZN7rocprim17ROCPRIM_400000_NS6detail17trampoline_kernelINS0_14default_configENS1_36segmented_radix_sort_config_selectorIslEEZNS1_25segmented_radix_sort_implIS3_Lb0EPKsPsPKlPlN2at6native12_GLOBAL__N_18offset_tEEE10hipError_tPvRmT1_PNSt15iterator_traitsISK_E10value_typeET2_T3_PNSL_ISQ_E10value_typeET4_jRbjT5_SW_jjP12ihipStream_tbEUlT_E1_NS1_11comp_targetILNS1_3genE5ELNS1_11target_archE942ELNS1_3gpuE9ELNS1_3repE0EEENS1_59segmented_radix_sort_warp_sort_small_config_static_selectorELNS0_4arch9wavefront6targetE0EEEvSK_
		.amdhsa_group_segment_fixed_size 0
		.amdhsa_private_segment_fixed_size 0
		.amdhsa_kernarg_size 88
		.amdhsa_user_sgpr_count 15
		.amdhsa_user_sgpr_dispatch_ptr 0
		.amdhsa_user_sgpr_queue_ptr 0
		.amdhsa_user_sgpr_kernarg_segment_ptr 1
		.amdhsa_user_sgpr_dispatch_id 0
		.amdhsa_user_sgpr_private_segment_size 0
		.amdhsa_wavefront_size32 1
		.amdhsa_uses_dynamic_stack 0
		.amdhsa_enable_private_segment 0
		.amdhsa_system_sgpr_workgroup_id_x 1
		.amdhsa_system_sgpr_workgroup_id_y 0
		.amdhsa_system_sgpr_workgroup_id_z 0
		.amdhsa_system_sgpr_workgroup_info 0
		.amdhsa_system_vgpr_workitem_id 0
		.amdhsa_next_free_vgpr 1
		.amdhsa_next_free_sgpr 1
		.amdhsa_reserve_vcc 0
		.amdhsa_float_round_mode_32 0
		.amdhsa_float_round_mode_16_64 0
		.amdhsa_float_denorm_mode_32 3
		.amdhsa_float_denorm_mode_16_64 3
		.amdhsa_dx10_clamp 1
		.amdhsa_ieee_mode 1
		.amdhsa_fp16_overflow 0
		.amdhsa_workgroup_processor_mode 1
		.amdhsa_memory_ordered 1
		.amdhsa_forward_progress 0
		.amdhsa_shared_vgpr_count 0
		.amdhsa_exception_fp_ieee_invalid_op 0
		.amdhsa_exception_fp_denorm_src 0
		.amdhsa_exception_fp_ieee_div_zero 0
		.amdhsa_exception_fp_ieee_overflow 0
		.amdhsa_exception_fp_ieee_underflow 0
		.amdhsa_exception_fp_ieee_inexact 0
		.amdhsa_exception_int_div_zero 0
	.end_amdhsa_kernel
	.section	.text._ZN7rocprim17ROCPRIM_400000_NS6detail17trampoline_kernelINS0_14default_configENS1_36segmented_radix_sort_config_selectorIslEEZNS1_25segmented_radix_sort_implIS3_Lb0EPKsPsPKlPlN2at6native12_GLOBAL__N_18offset_tEEE10hipError_tPvRmT1_PNSt15iterator_traitsISK_E10value_typeET2_T3_PNSL_ISQ_E10value_typeET4_jRbjT5_SW_jjP12ihipStream_tbEUlT_E1_NS1_11comp_targetILNS1_3genE5ELNS1_11target_archE942ELNS1_3gpuE9ELNS1_3repE0EEENS1_59segmented_radix_sort_warp_sort_small_config_static_selectorELNS0_4arch9wavefront6targetE0EEEvSK_,"axG",@progbits,_ZN7rocprim17ROCPRIM_400000_NS6detail17trampoline_kernelINS0_14default_configENS1_36segmented_radix_sort_config_selectorIslEEZNS1_25segmented_radix_sort_implIS3_Lb0EPKsPsPKlPlN2at6native12_GLOBAL__N_18offset_tEEE10hipError_tPvRmT1_PNSt15iterator_traitsISK_E10value_typeET2_T3_PNSL_ISQ_E10value_typeET4_jRbjT5_SW_jjP12ihipStream_tbEUlT_E1_NS1_11comp_targetILNS1_3genE5ELNS1_11target_archE942ELNS1_3gpuE9ELNS1_3repE0EEENS1_59segmented_radix_sort_warp_sort_small_config_static_selectorELNS0_4arch9wavefront6targetE0EEEvSK_,comdat
.Lfunc_end1035:
	.size	_ZN7rocprim17ROCPRIM_400000_NS6detail17trampoline_kernelINS0_14default_configENS1_36segmented_radix_sort_config_selectorIslEEZNS1_25segmented_radix_sort_implIS3_Lb0EPKsPsPKlPlN2at6native12_GLOBAL__N_18offset_tEEE10hipError_tPvRmT1_PNSt15iterator_traitsISK_E10value_typeET2_T3_PNSL_ISQ_E10value_typeET4_jRbjT5_SW_jjP12ihipStream_tbEUlT_E1_NS1_11comp_targetILNS1_3genE5ELNS1_11target_archE942ELNS1_3gpuE9ELNS1_3repE0EEENS1_59segmented_radix_sort_warp_sort_small_config_static_selectorELNS0_4arch9wavefront6targetE0EEEvSK_, .Lfunc_end1035-_ZN7rocprim17ROCPRIM_400000_NS6detail17trampoline_kernelINS0_14default_configENS1_36segmented_radix_sort_config_selectorIslEEZNS1_25segmented_radix_sort_implIS3_Lb0EPKsPsPKlPlN2at6native12_GLOBAL__N_18offset_tEEE10hipError_tPvRmT1_PNSt15iterator_traitsISK_E10value_typeET2_T3_PNSL_ISQ_E10value_typeET4_jRbjT5_SW_jjP12ihipStream_tbEUlT_E1_NS1_11comp_targetILNS1_3genE5ELNS1_11target_archE942ELNS1_3gpuE9ELNS1_3repE0EEENS1_59segmented_radix_sort_warp_sort_small_config_static_selectorELNS0_4arch9wavefront6targetE0EEEvSK_
                                        ; -- End function
	.section	.AMDGPU.csdata,"",@progbits
; Kernel info:
; codeLenInByte = 0
; NumSgprs: 0
; NumVgprs: 0
; ScratchSize: 0
; MemoryBound: 0
; FloatMode: 240
; IeeeMode: 1
; LDSByteSize: 0 bytes/workgroup (compile time only)
; SGPRBlocks: 0
; VGPRBlocks: 0
; NumSGPRsForWavesPerEU: 1
; NumVGPRsForWavesPerEU: 1
; Occupancy: 16
; WaveLimiterHint : 0
; COMPUTE_PGM_RSRC2:SCRATCH_EN: 0
; COMPUTE_PGM_RSRC2:USER_SGPR: 15
; COMPUTE_PGM_RSRC2:TRAP_HANDLER: 0
; COMPUTE_PGM_RSRC2:TGID_X_EN: 1
; COMPUTE_PGM_RSRC2:TGID_Y_EN: 0
; COMPUTE_PGM_RSRC2:TGID_Z_EN: 0
; COMPUTE_PGM_RSRC2:TIDIG_COMP_CNT: 0
	.section	.text._ZN7rocprim17ROCPRIM_400000_NS6detail17trampoline_kernelINS0_14default_configENS1_36segmented_radix_sort_config_selectorIslEEZNS1_25segmented_radix_sort_implIS3_Lb0EPKsPsPKlPlN2at6native12_GLOBAL__N_18offset_tEEE10hipError_tPvRmT1_PNSt15iterator_traitsISK_E10value_typeET2_T3_PNSL_ISQ_E10value_typeET4_jRbjT5_SW_jjP12ihipStream_tbEUlT_E1_NS1_11comp_targetILNS1_3genE4ELNS1_11target_archE910ELNS1_3gpuE8ELNS1_3repE0EEENS1_59segmented_radix_sort_warp_sort_small_config_static_selectorELNS0_4arch9wavefront6targetE0EEEvSK_,"axG",@progbits,_ZN7rocprim17ROCPRIM_400000_NS6detail17trampoline_kernelINS0_14default_configENS1_36segmented_radix_sort_config_selectorIslEEZNS1_25segmented_radix_sort_implIS3_Lb0EPKsPsPKlPlN2at6native12_GLOBAL__N_18offset_tEEE10hipError_tPvRmT1_PNSt15iterator_traitsISK_E10value_typeET2_T3_PNSL_ISQ_E10value_typeET4_jRbjT5_SW_jjP12ihipStream_tbEUlT_E1_NS1_11comp_targetILNS1_3genE4ELNS1_11target_archE910ELNS1_3gpuE8ELNS1_3repE0EEENS1_59segmented_radix_sort_warp_sort_small_config_static_selectorELNS0_4arch9wavefront6targetE0EEEvSK_,comdat
	.globl	_ZN7rocprim17ROCPRIM_400000_NS6detail17trampoline_kernelINS0_14default_configENS1_36segmented_radix_sort_config_selectorIslEEZNS1_25segmented_radix_sort_implIS3_Lb0EPKsPsPKlPlN2at6native12_GLOBAL__N_18offset_tEEE10hipError_tPvRmT1_PNSt15iterator_traitsISK_E10value_typeET2_T3_PNSL_ISQ_E10value_typeET4_jRbjT5_SW_jjP12ihipStream_tbEUlT_E1_NS1_11comp_targetILNS1_3genE4ELNS1_11target_archE910ELNS1_3gpuE8ELNS1_3repE0EEENS1_59segmented_radix_sort_warp_sort_small_config_static_selectorELNS0_4arch9wavefront6targetE0EEEvSK_ ; -- Begin function _ZN7rocprim17ROCPRIM_400000_NS6detail17trampoline_kernelINS0_14default_configENS1_36segmented_radix_sort_config_selectorIslEEZNS1_25segmented_radix_sort_implIS3_Lb0EPKsPsPKlPlN2at6native12_GLOBAL__N_18offset_tEEE10hipError_tPvRmT1_PNSt15iterator_traitsISK_E10value_typeET2_T3_PNSL_ISQ_E10value_typeET4_jRbjT5_SW_jjP12ihipStream_tbEUlT_E1_NS1_11comp_targetILNS1_3genE4ELNS1_11target_archE910ELNS1_3gpuE8ELNS1_3repE0EEENS1_59segmented_radix_sort_warp_sort_small_config_static_selectorELNS0_4arch9wavefront6targetE0EEEvSK_
	.p2align	8
	.type	_ZN7rocprim17ROCPRIM_400000_NS6detail17trampoline_kernelINS0_14default_configENS1_36segmented_radix_sort_config_selectorIslEEZNS1_25segmented_radix_sort_implIS3_Lb0EPKsPsPKlPlN2at6native12_GLOBAL__N_18offset_tEEE10hipError_tPvRmT1_PNSt15iterator_traitsISK_E10value_typeET2_T3_PNSL_ISQ_E10value_typeET4_jRbjT5_SW_jjP12ihipStream_tbEUlT_E1_NS1_11comp_targetILNS1_3genE4ELNS1_11target_archE910ELNS1_3gpuE8ELNS1_3repE0EEENS1_59segmented_radix_sort_warp_sort_small_config_static_selectorELNS0_4arch9wavefront6targetE0EEEvSK_,@function
_ZN7rocprim17ROCPRIM_400000_NS6detail17trampoline_kernelINS0_14default_configENS1_36segmented_radix_sort_config_selectorIslEEZNS1_25segmented_radix_sort_implIS3_Lb0EPKsPsPKlPlN2at6native12_GLOBAL__N_18offset_tEEE10hipError_tPvRmT1_PNSt15iterator_traitsISK_E10value_typeET2_T3_PNSL_ISQ_E10value_typeET4_jRbjT5_SW_jjP12ihipStream_tbEUlT_E1_NS1_11comp_targetILNS1_3genE4ELNS1_11target_archE910ELNS1_3gpuE8ELNS1_3repE0EEENS1_59segmented_radix_sort_warp_sort_small_config_static_selectorELNS0_4arch9wavefront6targetE0EEEvSK_: ; @_ZN7rocprim17ROCPRIM_400000_NS6detail17trampoline_kernelINS0_14default_configENS1_36segmented_radix_sort_config_selectorIslEEZNS1_25segmented_radix_sort_implIS3_Lb0EPKsPsPKlPlN2at6native12_GLOBAL__N_18offset_tEEE10hipError_tPvRmT1_PNSt15iterator_traitsISK_E10value_typeET2_T3_PNSL_ISQ_E10value_typeET4_jRbjT5_SW_jjP12ihipStream_tbEUlT_E1_NS1_11comp_targetILNS1_3genE4ELNS1_11target_archE910ELNS1_3gpuE8ELNS1_3repE0EEENS1_59segmented_radix_sort_warp_sort_small_config_static_selectorELNS0_4arch9wavefront6targetE0EEEvSK_
; %bb.0:
	.section	.rodata,"a",@progbits
	.p2align	6, 0x0
	.amdhsa_kernel _ZN7rocprim17ROCPRIM_400000_NS6detail17trampoline_kernelINS0_14default_configENS1_36segmented_radix_sort_config_selectorIslEEZNS1_25segmented_radix_sort_implIS3_Lb0EPKsPsPKlPlN2at6native12_GLOBAL__N_18offset_tEEE10hipError_tPvRmT1_PNSt15iterator_traitsISK_E10value_typeET2_T3_PNSL_ISQ_E10value_typeET4_jRbjT5_SW_jjP12ihipStream_tbEUlT_E1_NS1_11comp_targetILNS1_3genE4ELNS1_11target_archE910ELNS1_3gpuE8ELNS1_3repE0EEENS1_59segmented_radix_sort_warp_sort_small_config_static_selectorELNS0_4arch9wavefront6targetE0EEEvSK_
		.amdhsa_group_segment_fixed_size 0
		.amdhsa_private_segment_fixed_size 0
		.amdhsa_kernarg_size 88
		.amdhsa_user_sgpr_count 15
		.amdhsa_user_sgpr_dispatch_ptr 0
		.amdhsa_user_sgpr_queue_ptr 0
		.amdhsa_user_sgpr_kernarg_segment_ptr 1
		.amdhsa_user_sgpr_dispatch_id 0
		.amdhsa_user_sgpr_private_segment_size 0
		.amdhsa_wavefront_size32 1
		.amdhsa_uses_dynamic_stack 0
		.amdhsa_enable_private_segment 0
		.amdhsa_system_sgpr_workgroup_id_x 1
		.amdhsa_system_sgpr_workgroup_id_y 0
		.amdhsa_system_sgpr_workgroup_id_z 0
		.amdhsa_system_sgpr_workgroup_info 0
		.amdhsa_system_vgpr_workitem_id 0
		.amdhsa_next_free_vgpr 1
		.amdhsa_next_free_sgpr 1
		.amdhsa_reserve_vcc 0
		.amdhsa_float_round_mode_32 0
		.amdhsa_float_round_mode_16_64 0
		.amdhsa_float_denorm_mode_32 3
		.amdhsa_float_denorm_mode_16_64 3
		.amdhsa_dx10_clamp 1
		.amdhsa_ieee_mode 1
		.amdhsa_fp16_overflow 0
		.amdhsa_workgroup_processor_mode 1
		.amdhsa_memory_ordered 1
		.amdhsa_forward_progress 0
		.amdhsa_shared_vgpr_count 0
		.amdhsa_exception_fp_ieee_invalid_op 0
		.amdhsa_exception_fp_denorm_src 0
		.amdhsa_exception_fp_ieee_div_zero 0
		.amdhsa_exception_fp_ieee_overflow 0
		.amdhsa_exception_fp_ieee_underflow 0
		.amdhsa_exception_fp_ieee_inexact 0
		.amdhsa_exception_int_div_zero 0
	.end_amdhsa_kernel
	.section	.text._ZN7rocprim17ROCPRIM_400000_NS6detail17trampoline_kernelINS0_14default_configENS1_36segmented_radix_sort_config_selectorIslEEZNS1_25segmented_radix_sort_implIS3_Lb0EPKsPsPKlPlN2at6native12_GLOBAL__N_18offset_tEEE10hipError_tPvRmT1_PNSt15iterator_traitsISK_E10value_typeET2_T3_PNSL_ISQ_E10value_typeET4_jRbjT5_SW_jjP12ihipStream_tbEUlT_E1_NS1_11comp_targetILNS1_3genE4ELNS1_11target_archE910ELNS1_3gpuE8ELNS1_3repE0EEENS1_59segmented_radix_sort_warp_sort_small_config_static_selectorELNS0_4arch9wavefront6targetE0EEEvSK_,"axG",@progbits,_ZN7rocprim17ROCPRIM_400000_NS6detail17trampoline_kernelINS0_14default_configENS1_36segmented_radix_sort_config_selectorIslEEZNS1_25segmented_radix_sort_implIS3_Lb0EPKsPsPKlPlN2at6native12_GLOBAL__N_18offset_tEEE10hipError_tPvRmT1_PNSt15iterator_traitsISK_E10value_typeET2_T3_PNSL_ISQ_E10value_typeET4_jRbjT5_SW_jjP12ihipStream_tbEUlT_E1_NS1_11comp_targetILNS1_3genE4ELNS1_11target_archE910ELNS1_3gpuE8ELNS1_3repE0EEENS1_59segmented_radix_sort_warp_sort_small_config_static_selectorELNS0_4arch9wavefront6targetE0EEEvSK_,comdat
.Lfunc_end1036:
	.size	_ZN7rocprim17ROCPRIM_400000_NS6detail17trampoline_kernelINS0_14default_configENS1_36segmented_radix_sort_config_selectorIslEEZNS1_25segmented_radix_sort_implIS3_Lb0EPKsPsPKlPlN2at6native12_GLOBAL__N_18offset_tEEE10hipError_tPvRmT1_PNSt15iterator_traitsISK_E10value_typeET2_T3_PNSL_ISQ_E10value_typeET4_jRbjT5_SW_jjP12ihipStream_tbEUlT_E1_NS1_11comp_targetILNS1_3genE4ELNS1_11target_archE910ELNS1_3gpuE8ELNS1_3repE0EEENS1_59segmented_radix_sort_warp_sort_small_config_static_selectorELNS0_4arch9wavefront6targetE0EEEvSK_, .Lfunc_end1036-_ZN7rocprim17ROCPRIM_400000_NS6detail17trampoline_kernelINS0_14default_configENS1_36segmented_radix_sort_config_selectorIslEEZNS1_25segmented_radix_sort_implIS3_Lb0EPKsPsPKlPlN2at6native12_GLOBAL__N_18offset_tEEE10hipError_tPvRmT1_PNSt15iterator_traitsISK_E10value_typeET2_T3_PNSL_ISQ_E10value_typeET4_jRbjT5_SW_jjP12ihipStream_tbEUlT_E1_NS1_11comp_targetILNS1_3genE4ELNS1_11target_archE910ELNS1_3gpuE8ELNS1_3repE0EEENS1_59segmented_radix_sort_warp_sort_small_config_static_selectorELNS0_4arch9wavefront6targetE0EEEvSK_
                                        ; -- End function
	.section	.AMDGPU.csdata,"",@progbits
; Kernel info:
; codeLenInByte = 0
; NumSgprs: 0
; NumVgprs: 0
; ScratchSize: 0
; MemoryBound: 0
; FloatMode: 240
; IeeeMode: 1
; LDSByteSize: 0 bytes/workgroup (compile time only)
; SGPRBlocks: 0
; VGPRBlocks: 0
; NumSGPRsForWavesPerEU: 1
; NumVGPRsForWavesPerEU: 1
; Occupancy: 16
; WaveLimiterHint : 0
; COMPUTE_PGM_RSRC2:SCRATCH_EN: 0
; COMPUTE_PGM_RSRC2:USER_SGPR: 15
; COMPUTE_PGM_RSRC2:TRAP_HANDLER: 0
; COMPUTE_PGM_RSRC2:TGID_X_EN: 1
; COMPUTE_PGM_RSRC2:TGID_Y_EN: 0
; COMPUTE_PGM_RSRC2:TGID_Z_EN: 0
; COMPUTE_PGM_RSRC2:TIDIG_COMP_CNT: 0
	.section	.text._ZN7rocprim17ROCPRIM_400000_NS6detail17trampoline_kernelINS0_14default_configENS1_36segmented_radix_sort_config_selectorIslEEZNS1_25segmented_radix_sort_implIS3_Lb0EPKsPsPKlPlN2at6native12_GLOBAL__N_18offset_tEEE10hipError_tPvRmT1_PNSt15iterator_traitsISK_E10value_typeET2_T3_PNSL_ISQ_E10value_typeET4_jRbjT5_SW_jjP12ihipStream_tbEUlT_E1_NS1_11comp_targetILNS1_3genE3ELNS1_11target_archE908ELNS1_3gpuE7ELNS1_3repE0EEENS1_59segmented_radix_sort_warp_sort_small_config_static_selectorELNS0_4arch9wavefront6targetE0EEEvSK_,"axG",@progbits,_ZN7rocprim17ROCPRIM_400000_NS6detail17trampoline_kernelINS0_14default_configENS1_36segmented_radix_sort_config_selectorIslEEZNS1_25segmented_radix_sort_implIS3_Lb0EPKsPsPKlPlN2at6native12_GLOBAL__N_18offset_tEEE10hipError_tPvRmT1_PNSt15iterator_traitsISK_E10value_typeET2_T3_PNSL_ISQ_E10value_typeET4_jRbjT5_SW_jjP12ihipStream_tbEUlT_E1_NS1_11comp_targetILNS1_3genE3ELNS1_11target_archE908ELNS1_3gpuE7ELNS1_3repE0EEENS1_59segmented_radix_sort_warp_sort_small_config_static_selectorELNS0_4arch9wavefront6targetE0EEEvSK_,comdat
	.globl	_ZN7rocprim17ROCPRIM_400000_NS6detail17trampoline_kernelINS0_14default_configENS1_36segmented_radix_sort_config_selectorIslEEZNS1_25segmented_radix_sort_implIS3_Lb0EPKsPsPKlPlN2at6native12_GLOBAL__N_18offset_tEEE10hipError_tPvRmT1_PNSt15iterator_traitsISK_E10value_typeET2_T3_PNSL_ISQ_E10value_typeET4_jRbjT5_SW_jjP12ihipStream_tbEUlT_E1_NS1_11comp_targetILNS1_3genE3ELNS1_11target_archE908ELNS1_3gpuE7ELNS1_3repE0EEENS1_59segmented_radix_sort_warp_sort_small_config_static_selectorELNS0_4arch9wavefront6targetE0EEEvSK_ ; -- Begin function _ZN7rocprim17ROCPRIM_400000_NS6detail17trampoline_kernelINS0_14default_configENS1_36segmented_radix_sort_config_selectorIslEEZNS1_25segmented_radix_sort_implIS3_Lb0EPKsPsPKlPlN2at6native12_GLOBAL__N_18offset_tEEE10hipError_tPvRmT1_PNSt15iterator_traitsISK_E10value_typeET2_T3_PNSL_ISQ_E10value_typeET4_jRbjT5_SW_jjP12ihipStream_tbEUlT_E1_NS1_11comp_targetILNS1_3genE3ELNS1_11target_archE908ELNS1_3gpuE7ELNS1_3repE0EEENS1_59segmented_radix_sort_warp_sort_small_config_static_selectorELNS0_4arch9wavefront6targetE0EEEvSK_
	.p2align	8
	.type	_ZN7rocprim17ROCPRIM_400000_NS6detail17trampoline_kernelINS0_14default_configENS1_36segmented_radix_sort_config_selectorIslEEZNS1_25segmented_radix_sort_implIS3_Lb0EPKsPsPKlPlN2at6native12_GLOBAL__N_18offset_tEEE10hipError_tPvRmT1_PNSt15iterator_traitsISK_E10value_typeET2_T3_PNSL_ISQ_E10value_typeET4_jRbjT5_SW_jjP12ihipStream_tbEUlT_E1_NS1_11comp_targetILNS1_3genE3ELNS1_11target_archE908ELNS1_3gpuE7ELNS1_3repE0EEENS1_59segmented_radix_sort_warp_sort_small_config_static_selectorELNS0_4arch9wavefront6targetE0EEEvSK_,@function
_ZN7rocprim17ROCPRIM_400000_NS6detail17trampoline_kernelINS0_14default_configENS1_36segmented_radix_sort_config_selectorIslEEZNS1_25segmented_radix_sort_implIS3_Lb0EPKsPsPKlPlN2at6native12_GLOBAL__N_18offset_tEEE10hipError_tPvRmT1_PNSt15iterator_traitsISK_E10value_typeET2_T3_PNSL_ISQ_E10value_typeET4_jRbjT5_SW_jjP12ihipStream_tbEUlT_E1_NS1_11comp_targetILNS1_3genE3ELNS1_11target_archE908ELNS1_3gpuE7ELNS1_3repE0EEENS1_59segmented_radix_sort_warp_sort_small_config_static_selectorELNS0_4arch9wavefront6targetE0EEEvSK_: ; @_ZN7rocprim17ROCPRIM_400000_NS6detail17trampoline_kernelINS0_14default_configENS1_36segmented_radix_sort_config_selectorIslEEZNS1_25segmented_radix_sort_implIS3_Lb0EPKsPsPKlPlN2at6native12_GLOBAL__N_18offset_tEEE10hipError_tPvRmT1_PNSt15iterator_traitsISK_E10value_typeET2_T3_PNSL_ISQ_E10value_typeET4_jRbjT5_SW_jjP12ihipStream_tbEUlT_E1_NS1_11comp_targetILNS1_3genE3ELNS1_11target_archE908ELNS1_3gpuE7ELNS1_3repE0EEENS1_59segmented_radix_sort_warp_sort_small_config_static_selectorELNS0_4arch9wavefront6targetE0EEEvSK_
; %bb.0:
	.section	.rodata,"a",@progbits
	.p2align	6, 0x0
	.amdhsa_kernel _ZN7rocprim17ROCPRIM_400000_NS6detail17trampoline_kernelINS0_14default_configENS1_36segmented_radix_sort_config_selectorIslEEZNS1_25segmented_radix_sort_implIS3_Lb0EPKsPsPKlPlN2at6native12_GLOBAL__N_18offset_tEEE10hipError_tPvRmT1_PNSt15iterator_traitsISK_E10value_typeET2_T3_PNSL_ISQ_E10value_typeET4_jRbjT5_SW_jjP12ihipStream_tbEUlT_E1_NS1_11comp_targetILNS1_3genE3ELNS1_11target_archE908ELNS1_3gpuE7ELNS1_3repE0EEENS1_59segmented_radix_sort_warp_sort_small_config_static_selectorELNS0_4arch9wavefront6targetE0EEEvSK_
		.amdhsa_group_segment_fixed_size 0
		.amdhsa_private_segment_fixed_size 0
		.amdhsa_kernarg_size 88
		.amdhsa_user_sgpr_count 15
		.amdhsa_user_sgpr_dispatch_ptr 0
		.amdhsa_user_sgpr_queue_ptr 0
		.amdhsa_user_sgpr_kernarg_segment_ptr 1
		.amdhsa_user_sgpr_dispatch_id 0
		.amdhsa_user_sgpr_private_segment_size 0
		.amdhsa_wavefront_size32 1
		.amdhsa_uses_dynamic_stack 0
		.amdhsa_enable_private_segment 0
		.amdhsa_system_sgpr_workgroup_id_x 1
		.amdhsa_system_sgpr_workgroup_id_y 0
		.amdhsa_system_sgpr_workgroup_id_z 0
		.amdhsa_system_sgpr_workgroup_info 0
		.amdhsa_system_vgpr_workitem_id 0
		.amdhsa_next_free_vgpr 1
		.amdhsa_next_free_sgpr 1
		.amdhsa_reserve_vcc 0
		.amdhsa_float_round_mode_32 0
		.amdhsa_float_round_mode_16_64 0
		.amdhsa_float_denorm_mode_32 3
		.amdhsa_float_denorm_mode_16_64 3
		.amdhsa_dx10_clamp 1
		.amdhsa_ieee_mode 1
		.amdhsa_fp16_overflow 0
		.amdhsa_workgroup_processor_mode 1
		.amdhsa_memory_ordered 1
		.amdhsa_forward_progress 0
		.amdhsa_shared_vgpr_count 0
		.amdhsa_exception_fp_ieee_invalid_op 0
		.amdhsa_exception_fp_denorm_src 0
		.amdhsa_exception_fp_ieee_div_zero 0
		.amdhsa_exception_fp_ieee_overflow 0
		.amdhsa_exception_fp_ieee_underflow 0
		.amdhsa_exception_fp_ieee_inexact 0
		.amdhsa_exception_int_div_zero 0
	.end_amdhsa_kernel
	.section	.text._ZN7rocprim17ROCPRIM_400000_NS6detail17trampoline_kernelINS0_14default_configENS1_36segmented_radix_sort_config_selectorIslEEZNS1_25segmented_radix_sort_implIS3_Lb0EPKsPsPKlPlN2at6native12_GLOBAL__N_18offset_tEEE10hipError_tPvRmT1_PNSt15iterator_traitsISK_E10value_typeET2_T3_PNSL_ISQ_E10value_typeET4_jRbjT5_SW_jjP12ihipStream_tbEUlT_E1_NS1_11comp_targetILNS1_3genE3ELNS1_11target_archE908ELNS1_3gpuE7ELNS1_3repE0EEENS1_59segmented_radix_sort_warp_sort_small_config_static_selectorELNS0_4arch9wavefront6targetE0EEEvSK_,"axG",@progbits,_ZN7rocprim17ROCPRIM_400000_NS6detail17trampoline_kernelINS0_14default_configENS1_36segmented_radix_sort_config_selectorIslEEZNS1_25segmented_radix_sort_implIS3_Lb0EPKsPsPKlPlN2at6native12_GLOBAL__N_18offset_tEEE10hipError_tPvRmT1_PNSt15iterator_traitsISK_E10value_typeET2_T3_PNSL_ISQ_E10value_typeET4_jRbjT5_SW_jjP12ihipStream_tbEUlT_E1_NS1_11comp_targetILNS1_3genE3ELNS1_11target_archE908ELNS1_3gpuE7ELNS1_3repE0EEENS1_59segmented_radix_sort_warp_sort_small_config_static_selectorELNS0_4arch9wavefront6targetE0EEEvSK_,comdat
.Lfunc_end1037:
	.size	_ZN7rocprim17ROCPRIM_400000_NS6detail17trampoline_kernelINS0_14default_configENS1_36segmented_radix_sort_config_selectorIslEEZNS1_25segmented_radix_sort_implIS3_Lb0EPKsPsPKlPlN2at6native12_GLOBAL__N_18offset_tEEE10hipError_tPvRmT1_PNSt15iterator_traitsISK_E10value_typeET2_T3_PNSL_ISQ_E10value_typeET4_jRbjT5_SW_jjP12ihipStream_tbEUlT_E1_NS1_11comp_targetILNS1_3genE3ELNS1_11target_archE908ELNS1_3gpuE7ELNS1_3repE0EEENS1_59segmented_radix_sort_warp_sort_small_config_static_selectorELNS0_4arch9wavefront6targetE0EEEvSK_, .Lfunc_end1037-_ZN7rocprim17ROCPRIM_400000_NS6detail17trampoline_kernelINS0_14default_configENS1_36segmented_radix_sort_config_selectorIslEEZNS1_25segmented_radix_sort_implIS3_Lb0EPKsPsPKlPlN2at6native12_GLOBAL__N_18offset_tEEE10hipError_tPvRmT1_PNSt15iterator_traitsISK_E10value_typeET2_T3_PNSL_ISQ_E10value_typeET4_jRbjT5_SW_jjP12ihipStream_tbEUlT_E1_NS1_11comp_targetILNS1_3genE3ELNS1_11target_archE908ELNS1_3gpuE7ELNS1_3repE0EEENS1_59segmented_radix_sort_warp_sort_small_config_static_selectorELNS0_4arch9wavefront6targetE0EEEvSK_
                                        ; -- End function
	.section	.AMDGPU.csdata,"",@progbits
; Kernel info:
; codeLenInByte = 0
; NumSgprs: 0
; NumVgprs: 0
; ScratchSize: 0
; MemoryBound: 0
; FloatMode: 240
; IeeeMode: 1
; LDSByteSize: 0 bytes/workgroup (compile time only)
; SGPRBlocks: 0
; VGPRBlocks: 0
; NumSGPRsForWavesPerEU: 1
; NumVGPRsForWavesPerEU: 1
; Occupancy: 16
; WaveLimiterHint : 0
; COMPUTE_PGM_RSRC2:SCRATCH_EN: 0
; COMPUTE_PGM_RSRC2:USER_SGPR: 15
; COMPUTE_PGM_RSRC2:TRAP_HANDLER: 0
; COMPUTE_PGM_RSRC2:TGID_X_EN: 1
; COMPUTE_PGM_RSRC2:TGID_Y_EN: 0
; COMPUTE_PGM_RSRC2:TGID_Z_EN: 0
; COMPUTE_PGM_RSRC2:TIDIG_COMP_CNT: 0
	.section	.text._ZN7rocprim17ROCPRIM_400000_NS6detail17trampoline_kernelINS0_14default_configENS1_36segmented_radix_sort_config_selectorIslEEZNS1_25segmented_radix_sort_implIS3_Lb0EPKsPsPKlPlN2at6native12_GLOBAL__N_18offset_tEEE10hipError_tPvRmT1_PNSt15iterator_traitsISK_E10value_typeET2_T3_PNSL_ISQ_E10value_typeET4_jRbjT5_SW_jjP12ihipStream_tbEUlT_E1_NS1_11comp_targetILNS1_3genE2ELNS1_11target_archE906ELNS1_3gpuE6ELNS1_3repE0EEENS1_59segmented_radix_sort_warp_sort_small_config_static_selectorELNS0_4arch9wavefront6targetE0EEEvSK_,"axG",@progbits,_ZN7rocprim17ROCPRIM_400000_NS6detail17trampoline_kernelINS0_14default_configENS1_36segmented_radix_sort_config_selectorIslEEZNS1_25segmented_radix_sort_implIS3_Lb0EPKsPsPKlPlN2at6native12_GLOBAL__N_18offset_tEEE10hipError_tPvRmT1_PNSt15iterator_traitsISK_E10value_typeET2_T3_PNSL_ISQ_E10value_typeET4_jRbjT5_SW_jjP12ihipStream_tbEUlT_E1_NS1_11comp_targetILNS1_3genE2ELNS1_11target_archE906ELNS1_3gpuE6ELNS1_3repE0EEENS1_59segmented_radix_sort_warp_sort_small_config_static_selectorELNS0_4arch9wavefront6targetE0EEEvSK_,comdat
	.globl	_ZN7rocprim17ROCPRIM_400000_NS6detail17trampoline_kernelINS0_14default_configENS1_36segmented_radix_sort_config_selectorIslEEZNS1_25segmented_radix_sort_implIS3_Lb0EPKsPsPKlPlN2at6native12_GLOBAL__N_18offset_tEEE10hipError_tPvRmT1_PNSt15iterator_traitsISK_E10value_typeET2_T3_PNSL_ISQ_E10value_typeET4_jRbjT5_SW_jjP12ihipStream_tbEUlT_E1_NS1_11comp_targetILNS1_3genE2ELNS1_11target_archE906ELNS1_3gpuE6ELNS1_3repE0EEENS1_59segmented_radix_sort_warp_sort_small_config_static_selectorELNS0_4arch9wavefront6targetE0EEEvSK_ ; -- Begin function _ZN7rocprim17ROCPRIM_400000_NS6detail17trampoline_kernelINS0_14default_configENS1_36segmented_radix_sort_config_selectorIslEEZNS1_25segmented_radix_sort_implIS3_Lb0EPKsPsPKlPlN2at6native12_GLOBAL__N_18offset_tEEE10hipError_tPvRmT1_PNSt15iterator_traitsISK_E10value_typeET2_T3_PNSL_ISQ_E10value_typeET4_jRbjT5_SW_jjP12ihipStream_tbEUlT_E1_NS1_11comp_targetILNS1_3genE2ELNS1_11target_archE906ELNS1_3gpuE6ELNS1_3repE0EEENS1_59segmented_radix_sort_warp_sort_small_config_static_selectorELNS0_4arch9wavefront6targetE0EEEvSK_
	.p2align	8
	.type	_ZN7rocprim17ROCPRIM_400000_NS6detail17trampoline_kernelINS0_14default_configENS1_36segmented_radix_sort_config_selectorIslEEZNS1_25segmented_radix_sort_implIS3_Lb0EPKsPsPKlPlN2at6native12_GLOBAL__N_18offset_tEEE10hipError_tPvRmT1_PNSt15iterator_traitsISK_E10value_typeET2_T3_PNSL_ISQ_E10value_typeET4_jRbjT5_SW_jjP12ihipStream_tbEUlT_E1_NS1_11comp_targetILNS1_3genE2ELNS1_11target_archE906ELNS1_3gpuE6ELNS1_3repE0EEENS1_59segmented_radix_sort_warp_sort_small_config_static_selectorELNS0_4arch9wavefront6targetE0EEEvSK_,@function
_ZN7rocprim17ROCPRIM_400000_NS6detail17trampoline_kernelINS0_14default_configENS1_36segmented_radix_sort_config_selectorIslEEZNS1_25segmented_radix_sort_implIS3_Lb0EPKsPsPKlPlN2at6native12_GLOBAL__N_18offset_tEEE10hipError_tPvRmT1_PNSt15iterator_traitsISK_E10value_typeET2_T3_PNSL_ISQ_E10value_typeET4_jRbjT5_SW_jjP12ihipStream_tbEUlT_E1_NS1_11comp_targetILNS1_3genE2ELNS1_11target_archE906ELNS1_3gpuE6ELNS1_3repE0EEENS1_59segmented_radix_sort_warp_sort_small_config_static_selectorELNS0_4arch9wavefront6targetE0EEEvSK_: ; @_ZN7rocprim17ROCPRIM_400000_NS6detail17trampoline_kernelINS0_14default_configENS1_36segmented_radix_sort_config_selectorIslEEZNS1_25segmented_radix_sort_implIS3_Lb0EPKsPsPKlPlN2at6native12_GLOBAL__N_18offset_tEEE10hipError_tPvRmT1_PNSt15iterator_traitsISK_E10value_typeET2_T3_PNSL_ISQ_E10value_typeET4_jRbjT5_SW_jjP12ihipStream_tbEUlT_E1_NS1_11comp_targetILNS1_3genE2ELNS1_11target_archE906ELNS1_3gpuE6ELNS1_3repE0EEENS1_59segmented_radix_sort_warp_sort_small_config_static_selectorELNS0_4arch9wavefront6targetE0EEEvSK_
; %bb.0:
	.section	.rodata,"a",@progbits
	.p2align	6, 0x0
	.amdhsa_kernel _ZN7rocprim17ROCPRIM_400000_NS6detail17trampoline_kernelINS0_14default_configENS1_36segmented_radix_sort_config_selectorIslEEZNS1_25segmented_radix_sort_implIS3_Lb0EPKsPsPKlPlN2at6native12_GLOBAL__N_18offset_tEEE10hipError_tPvRmT1_PNSt15iterator_traitsISK_E10value_typeET2_T3_PNSL_ISQ_E10value_typeET4_jRbjT5_SW_jjP12ihipStream_tbEUlT_E1_NS1_11comp_targetILNS1_3genE2ELNS1_11target_archE906ELNS1_3gpuE6ELNS1_3repE0EEENS1_59segmented_radix_sort_warp_sort_small_config_static_selectorELNS0_4arch9wavefront6targetE0EEEvSK_
		.amdhsa_group_segment_fixed_size 0
		.amdhsa_private_segment_fixed_size 0
		.amdhsa_kernarg_size 88
		.amdhsa_user_sgpr_count 15
		.amdhsa_user_sgpr_dispatch_ptr 0
		.amdhsa_user_sgpr_queue_ptr 0
		.amdhsa_user_sgpr_kernarg_segment_ptr 1
		.amdhsa_user_sgpr_dispatch_id 0
		.amdhsa_user_sgpr_private_segment_size 0
		.amdhsa_wavefront_size32 1
		.amdhsa_uses_dynamic_stack 0
		.amdhsa_enable_private_segment 0
		.amdhsa_system_sgpr_workgroup_id_x 1
		.amdhsa_system_sgpr_workgroup_id_y 0
		.amdhsa_system_sgpr_workgroup_id_z 0
		.amdhsa_system_sgpr_workgroup_info 0
		.amdhsa_system_vgpr_workitem_id 0
		.amdhsa_next_free_vgpr 1
		.amdhsa_next_free_sgpr 1
		.amdhsa_reserve_vcc 0
		.amdhsa_float_round_mode_32 0
		.amdhsa_float_round_mode_16_64 0
		.amdhsa_float_denorm_mode_32 3
		.amdhsa_float_denorm_mode_16_64 3
		.amdhsa_dx10_clamp 1
		.amdhsa_ieee_mode 1
		.amdhsa_fp16_overflow 0
		.amdhsa_workgroup_processor_mode 1
		.amdhsa_memory_ordered 1
		.amdhsa_forward_progress 0
		.amdhsa_shared_vgpr_count 0
		.amdhsa_exception_fp_ieee_invalid_op 0
		.amdhsa_exception_fp_denorm_src 0
		.amdhsa_exception_fp_ieee_div_zero 0
		.amdhsa_exception_fp_ieee_overflow 0
		.amdhsa_exception_fp_ieee_underflow 0
		.amdhsa_exception_fp_ieee_inexact 0
		.amdhsa_exception_int_div_zero 0
	.end_amdhsa_kernel
	.section	.text._ZN7rocprim17ROCPRIM_400000_NS6detail17trampoline_kernelINS0_14default_configENS1_36segmented_radix_sort_config_selectorIslEEZNS1_25segmented_radix_sort_implIS3_Lb0EPKsPsPKlPlN2at6native12_GLOBAL__N_18offset_tEEE10hipError_tPvRmT1_PNSt15iterator_traitsISK_E10value_typeET2_T3_PNSL_ISQ_E10value_typeET4_jRbjT5_SW_jjP12ihipStream_tbEUlT_E1_NS1_11comp_targetILNS1_3genE2ELNS1_11target_archE906ELNS1_3gpuE6ELNS1_3repE0EEENS1_59segmented_radix_sort_warp_sort_small_config_static_selectorELNS0_4arch9wavefront6targetE0EEEvSK_,"axG",@progbits,_ZN7rocprim17ROCPRIM_400000_NS6detail17trampoline_kernelINS0_14default_configENS1_36segmented_radix_sort_config_selectorIslEEZNS1_25segmented_radix_sort_implIS3_Lb0EPKsPsPKlPlN2at6native12_GLOBAL__N_18offset_tEEE10hipError_tPvRmT1_PNSt15iterator_traitsISK_E10value_typeET2_T3_PNSL_ISQ_E10value_typeET4_jRbjT5_SW_jjP12ihipStream_tbEUlT_E1_NS1_11comp_targetILNS1_3genE2ELNS1_11target_archE906ELNS1_3gpuE6ELNS1_3repE0EEENS1_59segmented_radix_sort_warp_sort_small_config_static_selectorELNS0_4arch9wavefront6targetE0EEEvSK_,comdat
.Lfunc_end1038:
	.size	_ZN7rocprim17ROCPRIM_400000_NS6detail17trampoline_kernelINS0_14default_configENS1_36segmented_radix_sort_config_selectorIslEEZNS1_25segmented_radix_sort_implIS3_Lb0EPKsPsPKlPlN2at6native12_GLOBAL__N_18offset_tEEE10hipError_tPvRmT1_PNSt15iterator_traitsISK_E10value_typeET2_T3_PNSL_ISQ_E10value_typeET4_jRbjT5_SW_jjP12ihipStream_tbEUlT_E1_NS1_11comp_targetILNS1_3genE2ELNS1_11target_archE906ELNS1_3gpuE6ELNS1_3repE0EEENS1_59segmented_radix_sort_warp_sort_small_config_static_selectorELNS0_4arch9wavefront6targetE0EEEvSK_, .Lfunc_end1038-_ZN7rocprim17ROCPRIM_400000_NS6detail17trampoline_kernelINS0_14default_configENS1_36segmented_radix_sort_config_selectorIslEEZNS1_25segmented_radix_sort_implIS3_Lb0EPKsPsPKlPlN2at6native12_GLOBAL__N_18offset_tEEE10hipError_tPvRmT1_PNSt15iterator_traitsISK_E10value_typeET2_T3_PNSL_ISQ_E10value_typeET4_jRbjT5_SW_jjP12ihipStream_tbEUlT_E1_NS1_11comp_targetILNS1_3genE2ELNS1_11target_archE906ELNS1_3gpuE6ELNS1_3repE0EEENS1_59segmented_radix_sort_warp_sort_small_config_static_selectorELNS0_4arch9wavefront6targetE0EEEvSK_
                                        ; -- End function
	.section	.AMDGPU.csdata,"",@progbits
; Kernel info:
; codeLenInByte = 0
; NumSgprs: 0
; NumVgprs: 0
; ScratchSize: 0
; MemoryBound: 0
; FloatMode: 240
; IeeeMode: 1
; LDSByteSize: 0 bytes/workgroup (compile time only)
; SGPRBlocks: 0
; VGPRBlocks: 0
; NumSGPRsForWavesPerEU: 1
; NumVGPRsForWavesPerEU: 1
; Occupancy: 16
; WaveLimiterHint : 0
; COMPUTE_PGM_RSRC2:SCRATCH_EN: 0
; COMPUTE_PGM_RSRC2:USER_SGPR: 15
; COMPUTE_PGM_RSRC2:TRAP_HANDLER: 0
; COMPUTE_PGM_RSRC2:TGID_X_EN: 1
; COMPUTE_PGM_RSRC2:TGID_Y_EN: 0
; COMPUTE_PGM_RSRC2:TGID_Z_EN: 0
; COMPUTE_PGM_RSRC2:TIDIG_COMP_CNT: 0
	.section	.text._ZN7rocprim17ROCPRIM_400000_NS6detail17trampoline_kernelINS0_14default_configENS1_36segmented_radix_sort_config_selectorIslEEZNS1_25segmented_radix_sort_implIS3_Lb0EPKsPsPKlPlN2at6native12_GLOBAL__N_18offset_tEEE10hipError_tPvRmT1_PNSt15iterator_traitsISK_E10value_typeET2_T3_PNSL_ISQ_E10value_typeET4_jRbjT5_SW_jjP12ihipStream_tbEUlT_E1_NS1_11comp_targetILNS1_3genE10ELNS1_11target_archE1201ELNS1_3gpuE5ELNS1_3repE0EEENS1_59segmented_radix_sort_warp_sort_small_config_static_selectorELNS0_4arch9wavefront6targetE0EEEvSK_,"axG",@progbits,_ZN7rocprim17ROCPRIM_400000_NS6detail17trampoline_kernelINS0_14default_configENS1_36segmented_radix_sort_config_selectorIslEEZNS1_25segmented_radix_sort_implIS3_Lb0EPKsPsPKlPlN2at6native12_GLOBAL__N_18offset_tEEE10hipError_tPvRmT1_PNSt15iterator_traitsISK_E10value_typeET2_T3_PNSL_ISQ_E10value_typeET4_jRbjT5_SW_jjP12ihipStream_tbEUlT_E1_NS1_11comp_targetILNS1_3genE10ELNS1_11target_archE1201ELNS1_3gpuE5ELNS1_3repE0EEENS1_59segmented_radix_sort_warp_sort_small_config_static_selectorELNS0_4arch9wavefront6targetE0EEEvSK_,comdat
	.globl	_ZN7rocprim17ROCPRIM_400000_NS6detail17trampoline_kernelINS0_14default_configENS1_36segmented_radix_sort_config_selectorIslEEZNS1_25segmented_radix_sort_implIS3_Lb0EPKsPsPKlPlN2at6native12_GLOBAL__N_18offset_tEEE10hipError_tPvRmT1_PNSt15iterator_traitsISK_E10value_typeET2_T3_PNSL_ISQ_E10value_typeET4_jRbjT5_SW_jjP12ihipStream_tbEUlT_E1_NS1_11comp_targetILNS1_3genE10ELNS1_11target_archE1201ELNS1_3gpuE5ELNS1_3repE0EEENS1_59segmented_radix_sort_warp_sort_small_config_static_selectorELNS0_4arch9wavefront6targetE0EEEvSK_ ; -- Begin function _ZN7rocprim17ROCPRIM_400000_NS6detail17trampoline_kernelINS0_14default_configENS1_36segmented_radix_sort_config_selectorIslEEZNS1_25segmented_radix_sort_implIS3_Lb0EPKsPsPKlPlN2at6native12_GLOBAL__N_18offset_tEEE10hipError_tPvRmT1_PNSt15iterator_traitsISK_E10value_typeET2_T3_PNSL_ISQ_E10value_typeET4_jRbjT5_SW_jjP12ihipStream_tbEUlT_E1_NS1_11comp_targetILNS1_3genE10ELNS1_11target_archE1201ELNS1_3gpuE5ELNS1_3repE0EEENS1_59segmented_radix_sort_warp_sort_small_config_static_selectorELNS0_4arch9wavefront6targetE0EEEvSK_
	.p2align	8
	.type	_ZN7rocprim17ROCPRIM_400000_NS6detail17trampoline_kernelINS0_14default_configENS1_36segmented_radix_sort_config_selectorIslEEZNS1_25segmented_radix_sort_implIS3_Lb0EPKsPsPKlPlN2at6native12_GLOBAL__N_18offset_tEEE10hipError_tPvRmT1_PNSt15iterator_traitsISK_E10value_typeET2_T3_PNSL_ISQ_E10value_typeET4_jRbjT5_SW_jjP12ihipStream_tbEUlT_E1_NS1_11comp_targetILNS1_3genE10ELNS1_11target_archE1201ELNS1_3gpuE5ELNS1_3repE0EEENS1_59segmented_radix_sort_warp_sort_small_config_static_selectorELNS0_4arch9wavefront6targetE0EEEvSK_,@function
_ZN7rocprim17ROCPRIM_400000_NS6detail17trampoline_kernelINS0_14default_configENS1_36segmented_radix_sort_config_selectorIslEEZNS1_25segmented_radix_sort_implIS3_Lb0EPKsPsPKlPlN2at6native12_GLOBAL__N_18offset_tEEE10hipError_tPvRmT1_PNSt15iterator_traitsISK_E10value_typeET2_T3_PNSL_ISQ_E10value_typeET4_jRbjT5_SW_jjP12ihipStream_tbEUlT_E1_NS1_11comp_targetILNS1_3genE10ELNS1_11target_archE1201ELNS1_3gpuE5ELNS1_3repE0EEENS1_59segmented_radix_sort_warp_sort_small_config_static_selectorELNS0_4arch9wavefront6targetE0EEEvSK_: ; @_ZN7rocprim17ROCPRIM_400000_NS6detail17trampoline_kernelINS0_14default_configENS1_36segmented_radix_sort_config_selectorIslEEZNS1_25segmented_radix_sort_implIS3_Lb0EPKsPsPKlPlN2at6native12_GLOBAL__N_18offset_tEEE10hipError_tPvRmT1_PNSt15iterator_traitsISK_E10value_typeET2_T3_PNSL_ISQ_E10value_typeET4_jRbjT5_SW_jjP12ihipStream_tbEUlT_E1_NS1_11comp_targetILNS1_3genE10ELNS1_11target_archE1201ELNS1_3gpuE5ELNS1_3repE0EEENS1_59segmented_radix_sort_warp_sort_small_config_static_selectorELNS0_4arch9wavefront6targetE0EEEvSK_
; %bb.0:
	.section	.rodata,"a",@progbits
	.p2align	6, 0x0
	.amdhsa_kernel _ZN7rocprim17ROCPRIM_400000_NS6detail17trampoline_kernelINS0_14default_configENS1_36segmented_radix_sort_config_selectorIslEEZNS1_25segmented_radix_sort_implIS3_Lb0EPKsPsPKlPlN2at6native12_GLOBAL__N_18offset_tEEE10hipError_tPvRmT1_PNSt15iterator_traitsISK_E10value_typeET2_T3_PNSL_ISQ_E10value_typeET4_jRbjT5_SW_jjP12ihipStream_tbEUlT_E1_NS1_11comp_targetILNS1_3genE10ELNS1_11target_archE1201ELNS1_3gpuE5ELNS1_3repE0EEENS1_59segmented_radix_sort_warp_sort_small_config_static_selectorELNS0_4arch9wavefront6targetE0EEEvSK_
		.amdhsa_group_segment_fixed_size 0
		.amdhsa_private_segment_fixed_size 0
		.amdhsa_kernarg_size 88
		.amdhsa_user_sgpr_count 15
		.amdhsa_user_sgpr_dispatch_ptr 0
		.amdhsa_user_sgpr_queue_ptr 0
		.amdhsa_user_sgpr_kernarg_segment_ptr 1
		.amdhsa_user_sgpr_dispatch_id 0
		.amdhsa_user_sgpr_private_segment_size 0
		.amdhsa_wavefront_size32 1
		.amdhsa_uses_dynamic_stack 0
		.amdhsa_enable_private_segment 0
		.amdhsa_system_sgpr_workgroup_id_x 1
		.amdhsa_system_sgpr_workgroup_id_y 0
		.amdhsa_system_sgpr_workgroup_id_z 0
		.amdhsa_system_sgpr_workgroup_info 0
		.amdhsa_system_vgpr_workitem_id 0
		.amdhsa_next_free_vgpr 1
		.amdhsa_next_free_sgpr 1
		.amdhsa_reserve_vcc 0
		.amdhsa_float_round_mode_32 0
		.amdhsa_float_round_mode_16_64 0
		.amdhsa_float_denorm_mode_32 3
		.amdhsa_float_denorm_mode_16_64 3
		.amdhsa_dx10_clamp 1
		.amdhsa_ieee_mode 1
		.amdhsa_fp16_overflow 0
		.amdhsa_workgroup_processor_mode 1
		.amdhsa_memory_ordered 1
		.amdhsa_forward_progress 0
		.amdhsa_shared_vgpr_count 0
		.amdhsa_exception_fp_ieee_invalid_op 0
		.amdhsa_exception_fp_denorm_src 0
		.amdhsa_exception_fp_ieee_div_zero 0
		.amdhsa_exception_fp_ieee_overflow 0
		.amdhsa_exception_fp_ieee_underflow 0
		.amdhsa_exception_fp_ieee_inexact 0
		.amdhsa_exception_int_div_zero 0
	.end_amdhsa_kernel
	.section	.text._ZN7rocprim17ROCPRIM_400000_NS6detail17trampoline_kernelINS0_14default_configENS1_36segmented_radix_sort_config_selectorIslEEZNS1_25segmented_radix_sort_implIS3_Lb0EPKsPsPKlPlN2at6native12_GLOBAL__N_18offset_tEEE10hipError_tPvRmT1_PNSt15iterator_traitsISK_E10value_typeET2_T3_PNSL_ISQ_E10value_typeET4_jRbjT5_SW_jjP12ihipStream_tbEUlT_E1_NS1_11comp_targetILNS1_3genE10ELNS1_11target_archE1201ELNS1_3gpuE5ELNS1_3repE0EEENS1_59segmented_radix_sort_warp_sort_small_config_static_selectorELNS0_4arch9wavefront6targetE0EEEvSK_,"axG",@progbits,_ZN7rocprim17ROCPRIM_400000_NS6detail17trampoline_kernelINS0_14default_configENS1_36segmented_radix_sort_config_selectorIslEEZNS1_25segmented_radix_sort_implIS3_Lb0EPKsPsPKlPlN2at6native12_GLOBAL__N_18offset_tEEE10hipError_tPvRmT1_PNSt15iterator_traitsISK_E10value_typeET2_T3_PNSL_ISQ_E10value_typeET4_jRbjT5_SW_jjP12ihipStream_tbEUlT_E1_NS1_11comp_targetILNS1_3genE10ELNS1_11target_archE1201ELNS1_3gpuE5ELNS1_3repE0EEENS1_59segmented_radix_sort_warp_sort_small_config_static_selectorELNS0_4arch9wavefront6targetE0EEEvSK_,comdat
.Lfunc_end1039:
	.size	_ZN7rocprim17ROCPRIM_400000_NS6detail17trampoline_kernelINS0_14default_configENS1_36segmented_radix_sort_config_selectorIslEEZNS1_25segmented_radix_sort_implIS3_Lb0EPKsPsPKlPlN2at6native12_GLOBAL__N_18offset_tEEE10hipError_tPvRmT1_PNSt15iterator_traitsISK_E10value_typeET2_T3_PNSL_ISQ_E10value_typeET4_jRbjT5_SW_jjP12ihipStream_tbEUlT_E1_NS1_11comp_targetILNS1_3genE10ELNS1_11target_archE1201ELNS1_3gpuE5ELNS1_3repE0EEENS1_59segmented_radix_sort_warp_sort_small_config_static_selectorELNS0_4arch9wavefront6targetE0EEEvSK_, .Lfunc_end1039-_ZN7rocprim17ROCPRIM_400000_NS6detail17trampoline_kernelINS0_14default_configENS1_36segmented_radix_sort_config_selectorIslEEZNS1_25segmented_radix_sort_implIS3_Lb0EPKsPsPKlPlN2at6native12_GLOBAL__N_18offset_tEEE10hipError_tPvRmT1_PNSt15iterator_traitsISK_E10value_typeET2_T3_PNSL_ISQ_E10value_typeET4_jRbjT5_SW_jjP12ihipStream_tbEUlT_E1_NS1_11comp_targetILNS1_3genE10ELNS1_11target_archE1201ELNS1_3gpuE5ELNS1_3repE0EEENS1_59segmented_radix_sort_warp_sort_small_config_static_selectorELNS0_4arch9wavefront6targetE0EEEvSK_
                                        ; -- End function
	.section	.AMDGPU.csdata,"",@progbits
; Kernel info:
; codeLenInByte = 0
; NumSgprs: 0
; NumVgprs: 0
; ScratchSize: 0
; MemoryBound: 0
; FloatMode: 240
; IeeeMode: 1
; LDSByteSize: 0 bytes/workgroup (compile time only)
; SGPRBlocks: 0
; VGPRBlocks: 0
; NumSGPRsForWavesPerEU: 1
; NumVGPRsForWavesPerEU: 1
; Occupancy: 16
; WaveLimiterHint : 0
; COMPUTE_PGM_RSRC2:SCRATCH_EN: 0
; COMPUTE_PGM_RSRC2:USER_SGPR: 15
; COMPUTE_PGM_RSRC2:TRAP_HANDLER: 0
; COMPUTE_PGM_RSRC2:TGID_X_EN: 1
; COMPUTE_PGM_RSRC2:TGID_Y_EN: 0
; COMPUTE_PGM_RSRC2:TGID_Z_EN: 0
; COMPUTE_PGM_RSRC2:TIDIG_COMP_CNT: 0
	.section	.text._ZN7rocprim17ROCPRIM_400000_NS6detail17trampoline_kernelINS0_14default_configENS1_36segmented_radix_sort_config_selectorIslEEZNS1_25segmented_radix_sort_implIS3_Lb0EPKsPsPKlPlN2at6native12_GLOBAL__N_18offset_tEEE10hipError_tPvRmT1_PNSt15iterator_traitsISK_E10value_typeET2_T3_PNSL_ISQ_E10value_typeET4_jRbjT5_SW_jjP12ihipStream_tbEUlT_E1_NS1_11comp_targetILNS1_3genE10ELNS1_11target_archE1200ELNS1_3gpuE4ELNS1_3repE0EEENS1_59segmented_radix_sort_warp_sort_small_config_static_selectorELNS0_4arch9wavefront6targetE0EEEvSK_,"axG",@progbits,_ZN7rocprim17ROCPRIM_400000_NS6detail17trampoline_kernelINS0_14default_configENS1_36segmented_radix_sort_config_selectorIslEEZNS1_25segmented_radix_sort_implIS3_Lb0EPKsPsPKlPlN2at6native12_GLOBAL__N_18offset_tEEE10hipError_tPvRmT1_PNSt15iterator_traitsISK_E10value_typeET2_T3_PNSL_ISQ_E10value_typeET4_jRbjT5_SW_jjP12ihipStream_tbEUlT_E1_NS1_11comp_targetILNS1_3genE10ELNS1_11target_archE1200ELNS1_3gpuE4ELNS1_3repE0EEENS1_59segmented_radix_sort_warp_sort_small_config_static_selectorELNS0_4arch9wavefront6targetE0EEEvSK_,comdat
	.globl	_ZN7rocprim17ROCPRIM_400000_NS6detail17trampoline_kernelINS0_14default_configENS1_36segmented_radix_sort_config_selectorIslEEZNS1_25segmented_radix_sort_implIS3_Lb0EPKsPsPKlPlN2at6native12_GLOBAL__N_18offset_tEEE10hipError_tPvRmT1_PNSt15iterator_traitsISK_E10value_typeET2_T3_PNSL_ISQ_E10value_typeET4_jRbjT5_SW_jjP12ihipStream_tbEUlT_E1_NS1_11comp_targetILNS1_3genE10ELNS1_11target_archE1200ELNS1_3gpuE4ELNS1_3repE0EEENS1_59segmented_radix_sort_warp_sort_small_config_static_selectorELNS0_4arch9wavefront6targetE0EEEvSK_ ; -- Begin function _ZN7rocprim17ROCPRIM_400000_NS6detail17trampoline_kernelINS0_14default_configENS1_36segmented_radix_sort_config_selectorIslEEZNS1_25segmented_radix_sort_implIS3_Lb0EPKsPsPKlPlN2at6native12_GLOBAL__N_18offset_tEEE10hipError_tPvRmT1_PNSt15iterator_traitsISK_E10value_typeET2_T3_PNSL_ISQ_E10value_typeET4_jRbjT5_SW_jjP12ihipStream_tbEUlT_E1_NS1_11comp_targetILNS1_3genE10ELNS1_11target_archE1200ELNS1_3gpuE4ELNS1_3repE0EEENS1_59segmented_radix_sort_warp_sort_small_config_static_selectorELNS0_4arch9wavefront6targetE0EEEvSK_
	.p2align	8
	.type	_ZN7rocprim17ROCPRIM_400000_NS6detail17trampoline_kernelINS0_14default_configENS1_36segmented_radix_sort_config_selectorIslEEZNS1_25segmented_radix_sort_implIS3_Lb0EPKsPsPKlPlN2at6native12_GLOBAL__N_18offset_tEEE10hipError_tPvRmT1_PNSt15iterator_traitsISK_E10value_typeET2_T3_PNSL_ISQ_E10value_typeET4_jRbjT5_SW_jjP12ihipStream_tbEUlT_E1_NS1_11comp_targetILNS1_3genE10ELNS1_11target_archE1200ELNS1_3gpuE4ELNS1_3repE0EEENS1_59segmented_radix_sort_warp_sort_small_config_static_selectorELNS0_4arch9wavefront6targetE0EEEvSK_,@function
_ZN7rocprim17ROCPRIM_400000_NS6detail17trampoline_kernelINS0_14default_configENS1_36segmented_radix_sort_config_selectorIslEEZNS1_25segmented_radix_sort_implIS3_Lb0EPKsPsPKlPlN2at6native12_GLOBAL__N_18offset_tEEE10hipError_tPvRmT1_PNSt15iterator_traitsISK_E10value_typeET2_T3_PNSL_ISQ_E10value_typeET4_jRbjT5_SW_jjP12ihipStream_tbEUlT_E1_NS1_11comp_targetILNS1_3genE10ELNS1_11target_archE1200ELNS1_3gpuE4ELNS1_3repE0EEENS1_59segmented_radix_sort_warp_sort_small_config_static_selectorELNS0_4arch9wavefront6targetE0EEEvSK_: ; @_ZN7rocprim17ROCPRIM_400000_NS6detail17trampoline_kernelINS0_14default_configENS1_36segmented_radix_sort_config_selectorIslEEZNS1_25segmented_radix_sort_implIS3_Lb0EPKsPsPKlPlN2at6native12_GLOBAL__N_18offset_tEEE10hipError_tPvRmT1_PNSt15iterator_traitsISK_E10value_typeET2_T3_PNSL_ISQ_E10value_typeET4_jRbjT5_SW_jjP12ihipStream_tbEUlT_E1_NS1_11comp_targetILNS1_3genE10ELNS1_11target_archE1200ELNS1_3gpuE4ELNS1_3repE0EEENS1_59segmented_radix_sort_warp_sort_small_config_static_selectorELNS0_4arch9wavefront6targetE0EEEvSK_
; %bb.0:
	.section	.rodata,"a",@progbits
	.p2align	6, 0x0
	.amdhsa_kernel _ZN7rocprim17ROCPRIM_400000_NS6detail17trampoline_kernelINS0_14default_configENS1_36segmented_radix_sort_config_selectorIslEEZNS1_25segmented_radix_sort_implIS3_Lb0EPKsPsPKlPlN2at6native12_GLOBAL__N_18offset_tEEE10hipError_tPvRmT1_PNSt15iterator_traitsISK_E10value_typeET2_T3_PNSL_ISQ_E10value_typeET4_jRbjT5_SW_jjP12ihipStream_tbEUlT_E1_NS1_11comp_targetILNS1_3genE10ELNS1_11target_archE1200ELNS1_3gpuE4ELNS1_3repE0EEENS1_59segmented_radix_sort_warp_sort_small_config_static_selectorELNS0_4arch9wavefront6targetE0EEEvSK_
		.amdhsa_group_segment_fixed_size 0
		.amdhsa_private_segment_fixed_size 0
		.amdhsa_kernarg_size 88
		.amdhsa_user_sgpr_count 15
		.amdhsa_user_sgpr_dispatch_ptr 0
		.amdhsa_user_sgpr_queue_ptr 0
		.amdhsa_user_sgpr_kernarg_segment_ptr 1
		.amdhsa_user_sgpr_dispatch_id 0
		.amdhsa_user_sgpr_private_segment_size 0
		.amdhsa_wavefront_size32 1
		.amdhsa_uses_dynamic_stack 0
		.amdhsa_enable_private_segment 0
		.amdhsa_system_sgpr_workgroup_id_x 1
		.amdhsa_system_sgpr_workgroup_id_y 0
		.amdhsa_system_sgpr_workgroup_id_z 0
		.amdhsa_system_sgpr_workgroup_info 0
		.amdhsa_system_vgpr_workitem_id 0
		.amdhsa_next_free_vgpr 1
		.amdhsa_next_free_sgpr 1
		.amdhsa_reserve_vcc 0
		.amdhsa_float_round_mode_32 0
		.amdhsa_float_round_mode_16_64 0
		.amdhsa_float_denorm_mode_32 3
		.amdhsa_float_denorm_mode_16_64 3
		.amdhsa_dx10_clamp 1
		.amdhsa_ieee_mode 1
		.amdhsa_fp16_overflow 0
		.amdhsa_workgroup_processor_mode 1
		.amdhsa_memory_ordered 1
		.amdhsa_forward_progress 0
		.amdhsa_shared_vgpr_count 0
		.amdhsa_exception_fp_ieee_invalid_op 0
		.amdhsa_exception_fp_denorm_src 0
		.amdhsa_exception_fp_ieee_div_zero 0
		.amdhsa_exception_fp_ieee_overflow 0
		.amdhsa_exception_fp_ieee_underflow 0
		.amdhsa_exception_fp_ieee_inexact 0
		.amdhsa_exception_int_div_zero 0
	.end_amdhsa_kernel
	.section	.text._ZN7rocprim17ROCPRIM_400000_NS6detail17trampoline_kernelINS0_14default_configENS1_36segmented_radix_sort_config_selectorIslEEZNS1_25segmented_radix_sort_implIS3_Lb0EPKsPsPKlPlN2at6native12_GLOBAL__N_18offset_tEEE10hipError_tPvRmT1_PNSt15iterator_traitsISK_E10value_typeET2_T3_PNSL_ISQ_E10value_typeET4_jRbjT5_SW_jjP12ihipStream_tbEUlT_E1_NS1_11comp_targetILNS1_3genE10ELNS1_11target_archE1200ELNS1_3gpuE4ELNS1_3repE0EEENS1_59segmented_radix_sort_warp_sort_small_config_static_selectorELNS0_4arch9wavefront6targetE0EEEvSK_,"axG",@progbits,_ZN7rocprim17ROCPRIM_400000_NS6detail17trampoline_kernelINS0_14default_configENS1_36segmented_radix_sort_config_selectorIslEEZNS1_25segmented_radix_sort_implIS3_Lb0EPKsPsPKlPlN2at6native12_GLOBAL__N_18offset_tEEE10hipError_tPvRmT1_PNSt15iterator_traitsISK_E10value_typeET2_T3_PNSL_ISQ_E10value_typeET4_jRbjT5_SW_jjP12ihipStream_tbEUlT_E1_NS1_11comp_targetILNS1_3genE10ELNS1_11target_archE1200ELNS1_3gpuE4ELNS1_3repE0EEENS1_59segmented_radix_sort_warp_sort_small_config_static_selectorELNS0_4arch9wavefront6targetE0EEEvSK_,comdat
.Lfunc_end1040:
	.size	_ZN7rocprim17ROCPRIM_400000_NS6detail17trampoline_kernelINS0_14default_configENS1_36segmented_radix_sort_config_selectorIslEEZNS1_25segmented_radix_sort_implIS3_Lb0EPKsPsPKlPlN2at6native12_GLOBAL__N_18offset_tEEE10hipError_tPvRmT1_PNSt15iterator_traitsISK_E10value_typeET2_T3_PNSL_ISQ_E10value_typeET4_jRbjT5_SW_jjP12ihipStream_tbEUlT_E1_NS1_11comp_targetILNS1_3genE10ELNS1_11target_archE1200ELNS1_3gpuE4ELNS1_3repE0EEENS1_59segmented_radix_sort_warp_sort_small_config_static_selectorELNS0_4arch9wavefront6targetE0EEEvSK_, .Lfunc_end1040-_ZN7rocprim17ROCPRIM_400000_NS6detail17trampoline_kernelINS0_14default_configENS1_36segmented_radix_sort_config_selectorIslEEZNS1_25segmented_radix_sort_implIS3_Lb0EPKsPsPKlPlN2at6native12_GLOBAL__N_18offset_tEEE10hipError_tPvRmT1_PNSt15iterator_traitsISK_E10value_typeET2_T3_PNSL_ISQ_E10value_typeET4_jRbjT5_SW_jjP12ihipStream_tbEUlT_E1_NS1_11comp_targetILNS1_3genE10ELNS1_11target_archE1200ELNS1_3gpuE4ELNS1_3repE0EEENS1_59segmented_radix_sort_warp_sort_small_config_static_selectorELNS0_4arch9wavefront6targetE0EEEvSK_
                                        ; -- End function
	.section	.AMDGPU.csdata,"",@progbits
; Kernel info:
; codeLenInByte = 0
; NumSgprs: 0
; NumVgprs: 0
; ScratchSize: 0
; MemoryBound: 0
; FloatMode: 240
; IeeeMode: 1
; LDSByteSize: 0 bytes/workgroup (compile time only)
; SGPRBlocks: 0
; VGPRBlocks: 0
; NumSGPRsForWavesPerEU: 1
; NumVGPRsForWavesPerEU: 1
; Occupancy: 16
; WaveLimiterHint : 0
; COMPUTE_PGM_RSRC2:SCRATCH_EN: 0
; COMPUTE_PGM_RSRC2:USER_SGPR: 15
; COMPUTE_PGM_RSRC2:TRAP_HANDLER: 0
; COMPUTE_PGM_RSRC2:TGID_X_EN: 1
; COMPUTE_PGM_RSRC2:TGID_Y_EN: 0
; COMPUTE_PGM_RSRC2:TGID_Z_EN: 0
; COMPUTE_PGM_RSRC2:TIDIG_COMP_CNT: 0
	.text
	.p2align	2                               ; -- Begin function _ZN7rocprim17ROCPRIM_400000_NS6detail26segmented_warp_sort_helperINS1_20WarpSortHelperConfigILj8ELj4ELj256EEEslLi256ELb0EvE4sortIPKsPsPKlPlEEvT_T0_T1_T2_jjjjRNS5_12storage_typeE
	.type	_ZN7rocprim17ROCPRIM_400000_NS6detail26segmented_warp_sort_helperINS1_20WarpSortHelperConfigILj8ELj4ELj256EEEslLi256ELb0EvE4sortIPKsPsPKlPlEEvT_T0_T1_T2_jjjjRNS5_12storage_typeE,@function
_ZN7rocprim17ROCPRIM_400000_NS6detail26segmented_warp_sort_helperINS1_20WarpSortHelperConfigILj8ELj4ELj256EEEslLi256ELb0EvE4sortIPKsPsPKlPlEEvT_T0_T1_T2_jjjjRNS5_12storage_typeE: ; @_ZN7rocprim17ROCPRIM_400000_NS6detail26segmented_warp_sort_helperINS1_20WarpSortHelperConfigILj8ELj4ELj256EEEslLi256ELb0EvE4sortIPKsPsPKlPlEEvT_T0_T1_T2_jjjjRNS5_12storage_typeE
; %bb.0:
	s_waitcnt vmcnt(0) expcnt(0) lgkmcnt(0)
	v_mov_b32_e32 v14, v9
	v_mbcnt_lo_u32_b32 v9, -1, 0
	v_dual_mov_b32 v86, 0x7fff :: v_dual_mov_b32 v87, 0x7fff
	s_delay_alu instid0(VALU_DEP_2) | instskip(SKIP_2) | instid1(VALU_DEP_3)
	v_lshlrev_b32_e32 v83, 2, v9
	v_mov_b32_e32 v9, 0
	v_sub_nc_u32_e32 v14, v14, v8
	v_and_b32_e32 v84, 28, v83
	s_delay_alu instid0(VALU_DEP_3) | instskip(NEXT) | instid1(VALU_DEP_2)
	v_lshlrev_b64 v[80:81], 1, v[8:9]
	v_lshlrev_b32_e32 v30, 1, v84
	s_delay_alu instid0(VALU_DEP_2) | instskip(NEXT) | instid1(VALU_DEP_3)
	v_add_co_u32 v0, vcc_lo, v0, v80
	v_add_co_ci_u32_e32 v1, vcc_lo, v1, v81, vcc_lo
	s_delay_alu instid0(VALU_DEP_2) | instskip(NEXT) | instid1(VALU_DEP_2)
	v_add_co_u32 v0, vcc_lo, v0, v30
	v_add_co_ci_u32_e32 v1, vcc_lo, 0, v1, vcc_lo
	v_cmp_lt_u32_e32 vcc_lo, v84, v14
	s_and_saveexec_b32 s0, vcc_lo
	s_cbranch_execz .LBB1041_2
; %bb.1:
	flat_load_u16 v87, v[0:1]
.LBB1041_2:
	s_or_b32 exec_lo, exec_lo, s0
	v_or_b32_e32 v15, 1, v84
	s_delay_alu instid0(VALU_DEP_1) | instskip(NEXT) | instid1(VALU_DEP_1)
	v_cmp_lt_u32_e64 s0, v15, v14
	s_and_saveexec_b32 s1, s0
	s_cbranch_execz .LBB1041_4
; %bb.3:
	flat_load_u16 v86, v[0:1] offset:2
.LBB1041_4:
	s_or_b32 exec_lo, exec_lo, s1
	v_or_b32_e32 v15, 2, v84
	v_dual_mov_b32 v85, 0x7fff :: v_dual_mov_b32 v48, 0x7fff
	s_delay_alu instid0(VALU_DEP_2) | instskip(NEXT) | instid1(VALU_DEP_1)
	v_cmp_lt_u32_e64 s1, v15, v14
	s_and_saveexec_b32 s2, s1
	s_cbranch_execz .LBB1041_6
; %bb.5:
	flat_load_u16 v48, v[0:1] offset:4
.LBB1041_6:
	s_or_b32 exec_lo, exec_lo, s2
	v_or_b32_e32 v15, 3, v84
	s_delay_alu instid0(VALU_DEP_1) | instskip(NEXT) | instid1(VALU_DEP_1)
	v_cmp_lt_u32_e64 s2, v15, v14
	s_and_saveexec_b32 s3, s2
	s_cbranch_execz .LBB1041_8
; %bb.7:
	flat_load_u16 v85, v[0:1] offset:6
.LBB1041_8:
	s_or_b32 exec_lo, exec_lo, s3
	v_lshlrev_b64 v[0:1], 3, v[8:9]
	v_lshlrev_b32_e32 v82, 3, v84
	; wave barrier
                                        ; implicit-def: $vgpr14_vgpr15
	s_delay_alu instid0(VALU_DEP_2) | instskip(NEXT) | instid1(VALU_DEP_1)
	v_add_co_u32 v4, s3, v4, v0
	v_add_co_ci_u32_e64 v5, s3, v5, v1, s3
	s_delay_alu instid0(VALU_DEP_2) | instskip(NEXT) | instid1(VALU_DEP_1)
	v_add_co_u32 v4, s3, v4, v82
	v_add_co_ci_u32_e64 v5, s3, 0, v5, s3
	s_and_saveexec_b32 s3, vcc_lo
	s_cbranch_execz .LBB1041_10
; %bb.9:
	flat_load_b64 v[14:15], v[4:5]
.LBB1041_10:
	s_or_b32 exec_lo, exec_lo, s3
	s_and_saveexec_b32 s3, s0
                                        ; implicit-def: $vgpr32_vgpr33_vgpr34_vgpr35_vgpr36_vgpr37_vgpr38_vgpr39
                                        ; implicit-def: $vgpr22_vgpr23_vgpr24_vgpr25_vgpr26_vgpr27_vgpr28_vgpr29
	s_cbranch_execz .LBB1041_98
; %bb.11:
	flat_load_b64 v[16:17], v[4:5] offset:8
                                        ; implicit-def: $vgpr32_vgpr33_vgpr34_vgpr35_vgpr36_vgpr37_vgpr38_vgpr39
                                        ; implicit-def: $vgpr22_vgpr23_vgpr24_vgpr25_vgpr26_vgpr27_vgpr28_vgpr29
	s_or_b32 exec_lo, exec_lo, s3
                                        ; implicit-def: $vgpr18_vgpr19
	s_and_saveexec_b32 s3, s1
	s_cbranch_execnz .LBB1041_99
.LBB1041_12:
	s_or_b32 exec_lo, exec_lo, s3
	s_and_saveexec_b32 s3, s2
	s_cbranch_execz .LBB1041_14
.LBB1041_13:
	flat_load_b64 v[28:29], v[4:5] offset:24
	s_waitcnt vmcnt(0) lgkmcnt(0)
	v_dual_mov_b32 v20, v28 :: v_dual_mov_b32 v21, v29
.LBB1041_14:
	s_or_b32 exec_lo, exec_lo, s3
	v_cmp_ne_u32_e64 s3, 0, v10
	v_cmp_ne_u32_e64 s4, 16, v11
	v_bfe_u32 v5, v31, 10, 10
	v_bfe_u32 v8, v31, 20, 10
	v_and_b32_e32 v4, 0x3ff, v31
	s_delay_alu instid0(VALU_DEP_4) | instskip(NEXT) | instid1(SALU_CYCLE_1)
	s_or_b32 s3, s3, s4
	; wave barrier
	s_and_saveexec_b32 s4, s3
	s_delay_alu instid0(SALU_CYCLE_1)
	s_xor_b32 s11, exec_lo, s4
	s_cbranch_execz .LBB1041_58
; %bb.15:
	s_load_b64 s[4:5], s[8:9], 0x0
	v_mov_b32_e32 v9, 0
	s_waitcnt lgkmcnt(0)
	s_cmp_lt_u32 s13, s5
	s_cselect_b32 s3, 14, 20
	s_delay_alu instid0(SALU_CYCLE_1) | instskip(SKIP_4) | instid1(SALU_CYCLE_1)
	s_add_u32 s6, s8, s3
	s_addc_u32 s7, s9, 0
	s_cmp_lt_u32 s12, s4
	global_load_u16 v22, v9, s[6:7]
	s_cselect_b32 s3, 12, 18
	s_add_u32 s4, s8, s3
	s_addc_u32 s5, s9, 0
	global_load_u16 v9, v9, s[4:5]
	s_mov_b32 s5, exec_lo
	s_waitcnt vmcnt(1)
	v_mad_u32_u24 v5, v8, v22, v5
	v_lshlrev_b32_e64 v8, v11, -1
	s_waitcnt vmcnt(0)
	s_delay_alu instid0(VALU_DEP_2) | instskip(SKIP_1) | instid1(VALU_DEP_1)
	v_mul_lo_u32 v5, v5, v9
	v_lshlrev_b32_e64 v9, v10, -1
	v_xor_b32_e32 v31, v8, v9
	s_delay_alu instid0(VALU_DEP_3) | instskip(NEXT) | instid1(VALU_DEP_1)
	v_add_lshl_u32 v10, v5, v4, 2
	v_cmpx_gt_u32_e32 0x400, v10
	s_cbranch_execz .LBB1041_27
; %bb.16:
	s_delay_alu instid0(VALU_DEP_3) | instskip(SKIP_4) | instid1(VALU_DEP_3)
	v_and_b32_e32 v4, v86, v31
	v_dual_mov_b32 v8, v48 :: v_dual_and_b32 v5, v87, v31
	v_and_b32_e32 v18, v85, v31
	v_and_b32_e32 v34, v48, v31
	s_mov_b32 s6, exec_lo
	v_cmp_gt_i16_e64 s3, v5, v4
	s_delay_alu instid0(VALU_DEP_1)
	v_cndmask_b32_e64 v5, v17, v15, s3
	v_cndmask_b32_e64 v4, v16, v14, s3
	;; [unrolled: 1-line block ×4, first 2 shown]
	v_cmpx_gt_i16_e64 v34, v18
; %bb.17:
	v_dual_mov_b32 v14, v36 :: v_dual_mov_b32 v15, v37
	v_dual_mov_b32 v34, v18 :: v_dual_mov_b32 v37, v29
	v_mov_b32_e32 v36, v28
	v_dual_mov_b32 v8, v85 :: v_dual_mov_b32 v85, v48
	s_delay_alu instid0(VALU_DEP_4)
	v_dual_mov_b32 v29, v15 :: v_dual_mov_b32 v28, v14
; %bb.18:
	s_or_b32 exec_lo, exec_lo, s6
	v_cndmask_b32_e64 v35, v86, v87, s3
                                        ; implicit-def: $vgpr33
	s_delay_alu instid0(VALU_DEP_1) | instskip(NEXT) | instid1(VALU_DEP_1)
	v_and_b32_e32 v32, v35, v31
	v_cmp_le_i16_e64 s4, v32, v34
	s_delay_alu instid0(VALU_DEP_1) | instskip(NEXT) | instid1(SALU_CYCLE_1)
	s_and_saveexec_b32 s6, s4
	s_xor_b32 s4, exec_lo, s6
                                        ; implicit-def: $vgpr48_vgpr49_vgpr50_vgpr51_vgpr52_vgpr53_vgpr54_vgpr55
                                        ; implicit-def: $vgpr64_vgpr65_vgpr66_vgpr67_vgpr68_vgpr69_vgpr70_vgpr71
                                        ; implicit-def: $vgpr14_vgpr15_vgpr16_vgpr17_vgpr18_vgpr19_vgpr20_vgpr21
; %bb.19:
	v_dual_mov_b32 v50, v4 :: v_dual_mov_b32 v67, v5
	v_dual_mov_b32 v4, v36 :: v_dual_mov_b32 v5, v37
	;; [unrolled: 1-line block ×3, first 2 shown]
	v_and_b32_e32 v33, v8, v31
                                        ; implicit-def: $vgpr36_vgpr37
                                        ; implicit-def: $vgpr34
                                        ; implicit-def: $vgpr22_vgpr23_vgpr24_vgpr25_vgpr26_vgpr27_vgpr28_vgpr29
; %bb.20:
	s_or_saveexec_b32 s4, s4
	v_mov_b32_e32 v18, v35
	s_xor_b32 exec_lo, exec_lo, s4
; %bb.21:
	v_dual_mov_b32 v50, v36 :: v_dual_mov_b32 v67, v37
	v_dual_mov_b32 v20, v28 :: v_dual_mov_b32 v21, v29
	v_mov_b32_e32 v33, v32
	v_mov_b32_e32 v18, v8
	;; [unrolled: 1-line block ×4, first 2 shown]
; %bb.22:
	s_or_b32 exec_lo, exec_lo, s4
	v_cndmask_b32_e64 v19, v87, v86, s3
	v_and_b32_e32 v22, v85, v31
	s_mov_b32 s6, exec_lo
	s_delay_alu instid0(VALU_DEP_2) | instskip(NEXT) | instid1(VALU_DEP_1)
	v_and_b32_e32 v14, v19, v31
	v_cmp_gt_i16_e64 s3, v14, v32
	s_delay_alu instid0(VALU_DEP_1)
	v_cndmask_b32_e64 v17, v67, v11, s3
	v_cndmask_b32_e64 v16, v50, v9, s3
	;; [unrolled: 1-line block ×3, first 2 shown]
	v_mov_b32_e32 v11, v8
	v_cndmask_b32_e64 v14, v9, v50, s3
	v_cmpx_gt_i16_e64 v33, v22
; %bb.23:
	v_dual_mov_b32 v24, v5 :: v_dual_mov_b32 v23, v4
	v_dual_mov_b32 v11, v85 :: v_dual_mov_b32 v4, v20
	v_mov_b32_e32 v85, v8
	s_delay_alu instid0(VALU_DEP_3)
	v_dual_mov_b32 v5, v21 :: v_dual_mov_b32 v20, v23
	v_mov_b32_e32 v33, v22
	v_mov_b32_e32 v21, v24
; %bb.24:
	s_or_b32 exec_lo, exec_lo, s6
	v_cndmask_b32_e64 v86, v18, v19, s3
	v_mov_b32_e32 v48, v11
	s_mov_b32 s6, exec_lo
	v_dual_mov_b32 v9, v5 :: v_dual_mov_b32 v8, v4
	s_delay_alu instid0(VALU_DEP_3) | instskip(NEXT) | instid1(VALU_DEP_1)
	v_and_b32_e32 v22, v86, v31
	v_cmpx_gt_i16_e64 v22, v33
; %bb.25:
	v_dual_mov_b32 v8, v16 :: v_dual_mov_b32 v9, v17
	v_dual_mov_b32 v17, v5 :: v_dual_mov_b32 v16, v4
	v_mov_b32_e32 v48, v86
	v_mov_b32_e32 v86, v11
; %bb.26:
	s_or_b32 exec_lo, exec_lo, s6
	v_cndmask_b32_e64 v87, v19, v18, s3
	v_dual_mov_b32 v19, v9 :: v_dual_mov_b32 v18, v8
.LBB1041_27:
	s_or_b32 exec_lo, exec_lo, s5
	v_dual_mov_b32 v25, 0 :: v_dual_and_b32 v24, 0xffffff80, v10
	v_or_b32_e32 v8, 4, v83
	v_lshlrev_b32_e32 v10, 1, v83
	v_and_b32_e32 v11, 4, v83
	s_delay_alu instid0(VALU_DEP_4)
	v_sub_nc_u32_e64 v28, 0x400, v24 clamp
	v_lshlrev_b64 v[4:5], 1, v[24:25]
	v_lshlrev_b32_e32 v22, 3, v83
	v_and_b32_e32 v26, 0x78, v83
	v_perm_b32 v36, v85, v48, 0x5040100
	v_min_u32_e32 v29, v28, v8
	v_min_u32_e32 v27, v28, v11
	v_add_co_u32 v8, s3, v12, v4
	s_delay_alu instid0(VALU_DEP_1) | instskip(NEXT) | instid1(VALU_DEP_4)
	v_add_co_ci_u32_e64 v9, s3, v13, v5, s3
	v_add_nc_u32_e32 v12, 4, v29
	s_delay_alu instid0(VALU_DEP_3) | instskip(NEXT) | instid1(VALU_DEP_3)
	v_add_co_u32 v10, s3, v8, v10
	v_mad_u64_u32 v[4:5], null, v24, 6, v[8:9]
	s_delay_alu instid0(VALU_DEP_3) | instskip(SKIP_3) | instid1(VALU_DEP_4)
	v_min_u32_e32 v32, v28, v12
	v_add_co_ci_u32_e64 v11, s3, 0, v9, s3
	v_sub_nc_u32_e32 v23, v29, v26
	v_perm_b32 v35, v86, v87, 0x5040100
	v_sub_nc_u32_e32 v24, v32, v29
	v_add_co_u32 v12, s3, v4, v22
	s_delay_alu instid0(VALU_DEP_1) | instskip(NEXT) | instid1(VALU_DEP_3)
	v_add_co_ci_u32_e64 v13, s3, 0, v5, s3
	v_sub_nc_u32_e64 v33, v27, v24 clamp
	s_delay_alu instid0(VALU_DEP_3) | instskip(SKIP_1) | instid1(VALU_DEP_4)
	v_add_co_u32 v22, s3, 0x800, v12
	v_min_u32_e32 v34, v27, v23
	v_add_co_ci_u32_e64 v23, s3, 0, v13, s3
	s_mov_b32 s4, exec_lo
	s_clause 0x2
	flat_store_b128 v[12:13], v[14:17] offset:2048
	flat_store_b64 v[10:11], v[35:36]
	flat_store_b128 v[12:13], v[18:21] offset:2064
	; wave barrier
	v_cmpx_lt_u32_e64 v33, v34
	s_cbranch_execz .LBB1041_31
; %bb.28:
	v_lshlrev_b32_e32 v24, 1, v26
	v_lshlrev_b32_e32 v37, 1, v29
	s_mov_b32 s5, 0
	s_delay_alu instid0(VALU_DEP_2) | instskip(NEXT) | instid1(VALU_DEP_1)
	v_add_co_u32 v35, s3, v8, v24
	v_add_co_ci_u32_e64 v36, s3, 0, v9, s3
	s_delay_alu instid0(VALU_DEP_3) | instskip(NEXT) | instid1(VALU_DEP_1)
	v_add_co_u32 v37, s3, v8, v37
	v_add_co_ci_u32_e64 v38, s3, 0, v9, s3
	s_set_inst_prefetch_distance 0x1
	.p2align	6
.LBB1041_29:                            ; =>This Inner Loop Header: Depth=1
	v_add_nc_u32_e32 v24, v34, v33
	s_delay_alu instid0(VALU_DEP_1) | instskip(SKIP_1) | instid1(VALU_DEP_2)
	v_lshrrev_b32_e32 v39, 1, v24
	v_and_b32_e32 v49, -2, v24
	v_xad_u32 v24, v39, -1, v27
	s_delay_alu instid0(VALU_DEP_2) | instskip(NEXT) | instid1(VALU_DEP_1)
	v_add_co_u32 v49, s3, v35, v49
	v_add_co_ci_u32_e64 v50, s3, 0, v36, s3
	s_delay_alu instid0(VALU_DEP_3) | instskip(NEXT) | instid1(VALU_DEP_1)
	v_lshlrev_b64 v[51:52], 1, v[24:25]
	v_add_co_u32 v51, s3, v37, v51
	s_delay_alu instid0(VALU_DEP_1)
	v_add_co_ci_u32_e64 v52, s3, v38, v52, s3
	s_clause 0x1
	flat_load_u16 v24, v[49:50]
	flat_load_u16 v49, v[51:52]
	v_add_nc_u32_e32 v50, 1, v39
	s_waitcnt vmcnt(1) lgkmcnt(1)
	v_and_b32_e32 v24, v24, v31
	s_waitcnt vmcnt(0) lgkmcnt(0)
	v_and_b32_e32 v49, v49, v31
	s_delay_alu instid0(VALU_DEP_1) | instskip(NEXT) | instid1(VALU_DEP_1)
	v_cmp_gt_i16_e64 s3, v24, v49
	v_cndmask_b32_e64 v34, v34, v39, s3
	v_cndmask_b32_e64 v33, v50, v33, s3
	s_delay_alu instid0(VALU_DEP_1) | instskip(NEXT) | instid1(VALU_DEP_1)
	v_cmp_ge_u32_e64 s3, v33, v34
	s_or_b32 s5, s3, s5
	s_delay_alu instid0(SALU_CYCLE_1)
	s_and_not1_b32 exec_lo, exec_lo, s5
	s_cbranch_execnz .LBB1041_29
; %bb.30:
	s_set_inst_prefetch_distance 0x2
	s_or_b32 exec_lo, exec_lo, s5
.LBB1041_31:
	s_delay_alu instid0(SALU_CYCLE_1) | instskip(SKIP_2) | instid1(VALU_DEP_2)
	s_or_b32 exec_lo, exec_lo, s4
	v_add_nc_u32_e32 v24, v29, v27
	v_add_nc_u32_e32 v26, v33, v26
	v_sub_nc_u32_e32 v24, v24, v33
	s_delay_alu instid0(VALU_DEP_2) | instskip(NEXT) | instid1(VALU_DEP_2)
	v_cmp_le_u32_e64 s3, v26, v29
	v_cmp_le_u32_e64 s4, v24, v32
	s_delay_alu instid0(VALU_DEP_1) | instskip(NEXT) | instid1(SALU_CYCLE_1)
	s_or_b32 s3, s3, s4
	s_and_saveexec_b32 s14, s3
	s_cbranch_execz .LBB1041_37
; %bb.32:
	v_cmp_lt_u32_e64 s3, v26, v29
                                        ; implicit-def: $vgpr27
	s_delay_alu instid0(VALU_DEP_1)
	s_and_saveexec_b32 s5, s3
	s_cbranch_execz .LBB1041_34
; %bb.33:
	v_mov_b32_e32 v27, 0
	s_delay_alu instid0(VALU_DEP_1) | instskip(NEXT) | instid1(VALU_DEP_1)
	v_lshlrev_b64 v[14:15], 1, v[26:27]
	v_add_co_u32 v14, s4, v8, v14
	s_delay_alu instid0(VALU_DEP_1)
	v_add_co_ci_u32_e64 v15, s4, v9, v15, s4
	flat_load_u16 v27, v[14:15]
.LBB1041_34:
	s_or_b32 exec_lo, exec_lo, s5
	v_cmp_ge_u32_e64 s4, v24, v32
	s_mov_b32 s6, exec_lo
                                        ; implicit-def: $vgpr25
	v_cmpx_lt_u32_e64 v24, v32
	s_cbranch_execz .LBB1041_36
; %bb.35:
	v_mov_b32_e32 v25, 0
	s_delay_alu instid0(VALU_DEP_1) | instskip(NEXT) | instid1(VALU_DEP_1)
	v_lshlrev_b64 v[14:15], 1, v[24:25]
	v_add_co_u32 v14, s5, v8, v14
	s_delay_alu instid0(VALU_DEP_1)
	v_add_co_ci_u32_e64 v15, s5, v9, v15, s5
	flat_load_u16 v25, v[14:15]
.LBB1041_36:
	s_or_b32 exec_lo, exec_lo, s6
	s_waitcnt vmcnt(0) lgkmcnt(0)
	v_and_b32_e32 v14, v25, v31
	v_and_b32_e32 v15, v27, v31
	s_delay_alu instid0(VALU_DEP_1) | instskip(SKIP_1) | instid1(VALU_DEP_2)
	v_cmp_le_i16_e64 s5, v15, v14
	v_mov_b32_e32 v15, 0
	s_and_b32 s3, s3, s5
	s_delay_alu instid0(SALU_CYCLE_1) | instskip(NEXT) | instid1(SALU_CYCLE_1)
	s_or_b32 s3, s4, s3
	v_cndmask_b32_e64 v14, v24, v26, s3
	v_cndmask_b32_e64 v16, v32, v29, s3
	;; [unrolled: 1-line block ×3, first 2 shown]
	s_delay_alu instid0(VALU_DEP_3) | instskip(NEXT) | instid1(VALU_DEP_3)
	v_add_nc_u32_e32 v20, 1, v14
	v_add_nc_u32_e32 v18, -1, v16
	v_lshlrev_b64 v[16:17], 3, v[14:15]
	s_delay_alu instid0(VALU_DEP_3) | instskip(NEXT) | instid1(VALU_DEP_3)
	v_cndmask_b32_e64 v26, v26, v20, s3
	v_min_u32_e32 v14, v20, v18
	v_cndmask_b32_e64 v24, v20, v24, s3
	s_delay_alu instid0(VALU_DEP_2) | instskip(NEXT) | instid1(VALU_DEP_2)
	v_lshlrev_b64 v[18:19], 1, v[14:15]
	v_cmp_ge_u32_e64 s6, v24, v32
	s_delay_alu instid0(VALU_DEP_2) | instskip(NEXT) | instid1(VALU_DEP_1)
	v_add_co_u32 v18, s4, v8, v18
	v_add_co_ci_u32_e64 v19, s4, v9, v19, s4
	v_cmp_lt_u32_e64 s4, v26, v29
	flat_load_u16 v14, v[18:19]
	s_waitcnt vmcnt(0) lgkmcnt(0)
	v_cndmask_b32_e64 v35, v14, v25, s3
	v_cndmask_b32_e64 v36, v27, v14, s3
	s_delay_alu instid0(VALU_DEP_2) | instskip(NEXT) | instid1(VALU_DEP_2)
	v_and_b32_e32 v14, v35, v31
	v_and_b32_e32 v18, v36, v31
	s_delay_alu instid0(VALU_DEP_1) | instskip(NEXT) | instid1(VALU_DEP_1)
	v_cmp_le_i16_e64 s5, v18, v14
	s_and_b32 s4, s4, s5
	s_delay_alu instid0(SALU_CYCLE_1) | instskip(NEXT) | instid1(SALU_CYCLE_1)
	s_or_b32 s4, s6, s4
	v_cndmask_b32_e64 v14, v24, v26, s4
	v_cndmask_b32_e64 v18, v32, v29, s4
	;; [unrolled: 1-line block ×3, first 2 shown]
	s_delay_alu instid0(VALU_DEP_3) | instskip(NEXT) | instid1(VALU_DEP_3)
	v_add_nc_u32_e32 v33, 1, v14
	v_add_nc_u32_e32 v20, -1, v18
	v_lshlrev_b64 v[18:19], 3, v[14:15]
	s_delay_alu instid0(VALU_DEP_3) | instskip(NEXT) | instid1(VALU_DEP_3)
	v_cndmask_b32_e64 v26, v26, v33, s4
	v_min_u32_e32 v14, v33, v20
	v_cndmask_b32_e64 v24, v33, v24, s4
	s_delay_alu instid0(VALU_DEP_2) | instskip(NEXT) | instid1(VALU_DEP_2)
	v_lshlrev_b64 v[20:21], 1, v[14:15]
	v_cmp_ge_u32_e64 s7, v24, v32
	s_delay_alu instid0(VALU_DEP_2) | instskip(NEXT) | instid1(VALU_DEP_1)
	v_add_co_u32 v20, s5, v8, v20
	v_add_co_ci_u32_e64 v21, s5, v9, v21, s5
	v_cmp_lt_u32_e64 s5, v26, v29
	flat_load_u16 v14, v[20:21]
	s_waitcnt vmcnt(0) lgkmcnt(0)
	v_cndmask_b32_e64 v37, v14, v35, s4
	v_cndmask_b32_e64 v38, v36, v14, s4
	s_delay_alu instid0(VALU_DEP_2) | instskip(NEXT) | instid1(VALU_DEP_2)
	v_and_b32_e32 v14, v37, v31
	v_and_b32_e32 v20, v38, v31
	s_delay_alu instid0(VALU_DEP_1) | instskip(NEXT) | instid1(VALU_DEP_1)
	v_cmp_le_i16_e64 s6, v20, v14
	s_and_b32 s5, s5, s6
	s_delay_alu instid0(SALU_CYCLE_1) | instskip(NEXT) | instid1(SALU_CYCLE_1)
	s_or_b32 s5, s7, s5
	v_cndmask_b32_e64 v14, v24, v26, s5
	v_cndmask_b32_e64 v20, v32, v29, s5
	;; [unrolled: 1-line block ×3, first 2 shown]
	s_delay_alu instid0(VALU_DEP_3) | instskip(NEXT) | instid1(VALU_DEP_3)
	v_add_nc_u32_e32 v39, 1, v14
	v_add_nc_u32_e32 v33, -1, v20
	v_lshlrev_b64 v[20:21], 3, v[14:15]
	s_delay_alu instid0(VALU_DEP_3) | instskip(NEXT) | instid1(VALU_DEP_3)
	v_cndmask_b32_e64 v24, v39, v24, s5
	v_min_u32_e32 v14, v39, v33
	s_delay_alu instid0(VALU_DEP_2) | instskip(NEXT) | instid1(VALU_DEP_2)
	v_cmp_ge_u32_e64 s10, v24, v32
	v_lshlrev_b64 v[33:34], 1, v[14:15]
	s_delay_alu instid0(VALU_DEP_1) | instskip(NEXT) | instid1(VALU_DEP_1)
	v_add_co_u32 v33, s6, v8, v33
	v_add_co_ci_u32_e64 v34, s6, v9, v34, s6
	flat_load_u16 v14, v[33:34]
	s_waitcnt vmcnt(0) lgkmcnt(0)
	v_cndmask_b32_e64 v34, v14, v37, s5
	v_cndmask_b32_e64 v49, v38, v14, s5
	v_cndmask_b32_e64 v14, v26, v39, s5
	s_delay_alu instid0(VALU_DEP_3) | instskip(NEXT) | instid1(VALU_DEP_3)
	v_and_b32_e32 v26, v34, v31
	v_and_b32_e32 v33, v49, v31
	s_delay_alu instid0(VALU_DEP_3) | instskip(NEXT) | instid1(VALU_DEP_2)
	v_cmp_lt_u32_e64 s6, v14, v29
	v_cmp_le_i16_e64 s7, v33, v26
	s_delay_alu instid0(VALU_DEP_1) | instskip(SKIP_1) | instid1(VALU_DEP_1)
	s_and_b32 s7, s6, s7
	v_add_co_u32 v16, s6, v4, v16
	v_add_co_ci_u32_e64 v17, s6, v5, v17, s6
	s_or_b32 s6, s10, s7
	v_add_co_u32 v18, s7, v4, v18
	v_cndmask_b32_e64 v14, v24, v14, s6
	v_add_co_ci_u32_e64 v19, s7, v5, v19, s7
	v_add_co_u32 v20, s7, v4, v20
	s_delay_alu instid0(VALU_DEP_3) | instskip(SKIP_2) | instid1(VALU_DEP_3)
	v_lshlrev_b64 v[14:15], 3, v[14:15]
	v_add_co_ci_u32_e64 v21, s7, v5, v21, s7
	v_cndmask_b32_e64 v85, v34, v49, s6
	v_add_co_u32 v32, s7, v4, v14
	s_delay_alu instid0(VALU_DEP_1)
	v_add_co_ci_u32_e64 v33, s7, v5, v15, s7
	s_clause 0x3
	flat_load_b64 v[14:15], v[16:17] offset:2048
	flat_load_b64 v[16:17], v[18:19] offset:2048
	;; [unrolled: 1-line block ×4, first 2 shown]
.LBB1041_37:
	s_or_b32 exec_lo, exec_lo, s14
	v_and_b32_e32 v26, 0x70, v83
	v_and_b32_e32 v25, 12, v83
	s_mov_b32 s4, exec_lo
	; wave barrier
	s_delay_alu instid0(VALU_DEP_2) | instskip(NEXT) | instid1(VALU_DEP_2)
	v_or_b32_e32 v24, 8, v26
	v_min_u32_e32 v27, v28, v25
	s_delay_alu instid0(VALU_DEP_2) | instskip(NEXT) | instid1(VALU_DEP_1)
	v_min_u32_e32 v29, v28, v24
	v_add_nc_u32_e32 v24, 8, v29
	s_delay_alu instid0(VALU_DEP_1) | instskip(SKIP_1) | instid1(VALU_DEP_2)
	v_min_u32_e32 v32, v28, v24
	v_sub_nc_u32_e32 v24, v29, v26
	v_sub_nc_u32_e32 v25, v32, v29
	s_delay_alu instid0(VALU_DEP_2) | instskip(SKIP_1) | instid1(VALU_DEP_3)
	v_min_u32_e32 v34, v27, v24
	v_perm_b32 v24, v86, v87, 0x5040100
	v_sub_nc_u32_e64 v33, v27, v25 clamp
	v_perm_b32 v25, v85, v48, 0x5040100
	s_waitcnt vmcnt(2) lgkmcnt(2)
	s_clause 0x1
	flat_store_b128 v[12:13], v[14:17] offset:2048
	flat_store_b64 v[10:11], v[24:25]
	s_waitcnt vmcnt(0) lgkmcnt(2)
	flat_store_b128 v[22:23], v[18:21] offset:16
	; wave barrier
	v_cmpx_lt_u32_e64 v33, v34
	s_cbranch_execz .LBB1041_41
; %bb.38:
	v_lshlrev_b32_e32 v24, 1, v26
	v_lshlrev_b32_e32 v25, 1, v29
	s_mov_b32 s5, 0
	s_delay_alu instid0(VALU_DEP_2) | instskip(NEXT) | instid1(VALU_DEP_1)
	v_add_co_u32 v35, s3, v8, v24
	v_add_co_ci_u32_e64 v36, s3, 0, v9, s3
	s_delay_alu instid0(VALU_DEP_3)
	v_add_co_u32 v37, s3, v8, v25
	v_mov_b32_e32 v25, 0
	v_add_co_ci_u32_e64 v38, s3, 0, v9, s3
	s_set_inst_prefetch_distance 0x1
	.p2align	6
.LBB1041_39:                            ; =>This Inner Loop Header: Depth=1
	v_add_nc_u32_e32 v24, v34, v33
	s_delay_alu instid0(VALU_DEP_1) | instskip(SKIP_1) | instid1(VALU_DEP_2)
	v_lshrrev_b32_e32 v39, 1, v24
	v_and_b32_e32 v49, -2, v24
	v_xad_u32 v24, v39, -1, v27
	s_delay_alu instid0(VALU_DEP_2) | instskip(NEXT) | instid1(VALU_DEP_1)
	v_add_co_u32 v49, s3, v35, v49
	v_add_co_ci_u32_e64 v50, s3, 0, v36, s3
	s_delay_alu instid0(VALU_DEP_3) | instskip(NEXT) | instid1(VALU_DEP_1)
	v_lshlrev_b64 v[51:52], 1, v[24:25]
	v_add_co_u32 v51, s3, v37, v51
	s_delay_alu instid0(VALU_DEP_1)
	v_add_co_ci_u32_e64 v52, s3, v38, v52, s3
	s_clause 0x1
	flat_load_u16 v24, v[49:50]
	flat_load_u16 v49, v[51:52]
	v_add_nc_u32_e32 v50, 1, v39
	s_waitcnt vmcnt(1) lgkmcnt(1)
	v_and_b32_e32 v24, v24, v31
	s_waitcnt vmcnt(0) lgkmcnt(0)
	v_and_b32_e32 v49, v49, v31
	s_delay_alu instid0(VALU_DEP_1) | instskip(NEXT) | instid1(VALU_DEP_1)
	v_cmp_gt_i16_e64 s3, v24, v49
	v_cndmask_b32_e64 v34, v34, v39, s3
	v_cndmask_b32_e64 v33, v50, v33, s3
	s_delay_alu instid0(VALU_DEP_1) | instskip(NEXT) | instid1(VALU_DEP_1)
	v_cmp_ge_u32_e64 s3, v33, v34
	s_or_b32 s5, s3, s5
	s_delay_alu instid0(SALU_CYCLE_1)
	s_and_not1_b32 exec_lo, exec_lo, s5
	s_cbranch_execnz .LBB1041_39
; %bb.40:
	s_set_inst_prefetch_distance 0x2
	s_or_b32 exec_lo, exec_lo, s5
.LBB1041_41:
	s_delay_alu instid0(SALU_CYCLE_1) | instskip(SKIP_2) | instid1(VALU_DEP_2)
	s_or_b32 exec_lo, exec_lo, s4
	v_add_nc_u32_e32 v24, v29, v27
	v_add_nc_u32_e32 v26, v33, v26
	v_sub_nc_u32_e32 v24, v24, v33
	s_delay_alu instid0(VALU_DEP_2) | instskip(NEXT) | instid1(VALU_DEP_2)
	v_cmp_le_u32_e64 s3, v26, v29
	v_cmp_le_u32_e64 s4, v24, v32
	s_delay_alu instid0(VALU_DEP_1) | instskip(NEXT) | instid1(SALU_CYCLE_1)
	s_or_b32 s3, s3, s4
	s_and_saveexec_b32 s14, s3
	s_cbranch_execz .LBB1041_47
; %bb.42:
	v_cmp_lt_u32_e64 s3, v26, v29
                                        ; implicit-def: $vgpr27
	s_delay_alu instid0(VALU_DEP_1)
	s_and_saveexec_b32 s5, s3
	s_cbranch_execz .LBB1041_44
; %bb.43:
	v_mov_b32_e32 v27, 0
	s_delay_alu instid0(VALU_DEP_1) | instskip(NEXT) | instid1(VALU_DEP_1)
	v_lshlrev_b64 v[14:15], 1, v[26:27]
	v_add_co_u32 v14, s4, v8, v14
	s_delay_alu instid0(VALU_DEP_1)
	v_add_co_ci_u32_e64 v15, s4, v9, v15, s4
	flat_load_u16 v27, v[14:15]
.LBB1041_44:
	s_or_b32 exec_lo, exec_lo, s5
	v_cmp_ge_u32_e64 s4, v24, v32
	s_mov_b32 s6, exec_lo
                                        ; implicit-def: $vgpr25
	v_cmpx_lt_u32_e64 v24, v32
	s_cbranch_execz .LBB1041_46
; %bb.45:
	v_mov_b32_e32 v25, 0
	s_delay_alu instid0(VALU_DEP_1) | instskip(NEXT) | instid1(VALU_DEP_1)
	v_lshlrev_b64 v[14:15], 1, v[24:25]
	v_add_co_u32 v14, s5, v8, v14
	s_delay_alu instid0(VALU_DEP_1)
	v_add_co_ci_u32_e64 v15, s5, v9, v15, s5
	flat_load_u16 v25, v[14:15]
.LBB1041_46:
	s_or_b32 exec_lo, exec_lo, s6
	s_waitcnt vmcnt(0) lgkmcnt(0)
	v_and_b32_e32 v14, v25, v31
	v_and_b32_e32 v15, v27, v31
	s_delay_alu instid0(VALU_DEP_1) | instskip(SKIP_1) | instid1(VALU_DEP_2)
	v_cmp_le_i16_e64 s5, v15, v14
	v_mov_b32_e32 v15, 0
	s_and_b32 s3, s3, s5
	s_delay_alu instid0(SALU_CYCLE_1) | instskip(NEXT) | instid1(SALU_CYCLE_1)
	s_or_b32 s3, s4, s3
	v_cndmask_b32_e64 v14, v24, v26, s3
	v_cndmask_b32_e64 v16, v32, v29, s3
	;; [unrolled: 1-line block ×3, first 2 shown]
	s_delay_alu instid0(VALU_DEP_3) | instskip(NEXT) | instid1(VALU_DEP_3)
	v_add_nc_u32_e32 v20, 1, v14
	v_add_nc_u32_e32 v18, -1, v16
	v_lshlrev_b64 v[16:17], 3, v[14:15]
	s_delay_alu instid0(VALU_DEP_3) | instskip(NEXT) | instid1(VALU_DEP_3)
	v_cndmask_b32_e64 v26, v26, v20, s3
	v_min_u32_e32 v14, v20, v18
	v_cndmask_b32_e64 v24, v20, v24, s3
	s_delay_alu instid0(VALU_DEP_2) | instskip(NEXT) | instid1(VALU_DEP_2)
	v_lshlrev_b64 v[18:19], 1, v[14:15]
	v_cmp_ge_u32_e64 s6, v24, v32
	s_delay_alu instid0(VALU_DEP_2) | instskip(NEXT) | instid1(VALU_DEP_1)
	v_add_co_u32 v18, s4, v8, v18
	v_add_co_ci_u32_e64 v19, s4, v9, v19, s4
	v_cmp_lt_u32_e64 s4, v26, v29
	flat_load_u16 v14, v[18:19]
	s_waitcnt vmcnt(0) lgkmcnt(0)
	v_cndmask_b32_e64 v35, v14, v25, s3
	v_cndmask_b32_e64 v36, v27, v14, s3
	s_delay_alu instid0(VALU_DEP_2) | instskip(NEXT) | instid1(VALU_DEP_2)
	v_and_b32_e32 v14, v35, v31
	v_and_b32_e32 v18, v36, v31
	s_delay_alu instid0(VALU_DEP_1) | instskip(NEXT) | instid1(VALU_DEP_1)
	v_cmp_le_i16_e64 s5, v18, v14
	s_and_b32 s4, s4, s5
	s_delay_alu instid0(SALU_CYCLE_1) | instskip(NEXT) | instid1(SALU_CYCLE_1)
	s_or_b32 s4, s6, s4
	v_cndmask_b32_e64 v14, v24, v26, s4
	v_cndmask_b32_e64 v18, v32, v29, s4
	;; [unrolled: 1-line block ×3, first 2 shown]
	s_delay_alu instid0(VALU_DEP_3) | instskip(NEXT) | instid1(VALU_DEP_3)
	v_add_nc_u32_e32 v33, 1, v14
	v_add_nc_u32_e32 v20, -1, v18
	v_lshlrev_b64 v[18:19], 3, v[14:15]
	s_delay_alu instid0(VALU_DEP_3) | instskip(NEXT) | instid1(VALU_DEP_3)
	v_cndmask_b32_e64 v26, v26, v33, s4
	v_min_u32_e32 v14, v33, v20
	v_cndmask_b32_e64 v24, v33, v24, s4
	s_delay_alu instid0(VALU_DEP_2) | instskip(NEXT) | instid1(VALU_DEP_2)
	v_lshlrev_b64 v[20:21], 1, v[14:15]
	v_cmp_ge_u32_e64 s7, v24, v32
	s_delay_alu instid0(VALU_DEP_2) | instskip(NEXT) | instid1(VALU_DEP_1)
	v_add_co_u32 v20, s5, v8, v20
	v_add_co_ci_u32_e64 v21, s5, v9, v21, s5
	v_cmp_lt_u32_e64 s5, v26, v29
	flat_load_u16 v14, v[20:21]
	s_waitcnt vmcnt(0) lgkmcnt(0)
	v_cndmask_b32_e64 v37, v14, v35, s4
	v_cndmask_b32_e64 v38, v36, v14, s4
	s_delay_alu instid0(VALU_DEP_2) | instskip(NEXT) | instid1(VALU_DEP_2)
	v_and_b32_e32 v14, v37, v31
	v_and_b32_e32 v20, v38, v31
	s_delay_alu instid0(VALU_DEP_1) | instskip(NEXT) | instid1(VALU_DEP_1)
	v_cmp_le_i16_e64 s6, v20, v14
	s_and_b32 s5, s5, s6
	s_delay_alu instid0(SALU_CYCLE_1) | instskip(NEXT) | instid1(SALU_CYCLE_1)
	s_or_b32 s5, s7, s5
	v_cndmask_b32_e64 v14, v24, v26, s5
	v_cndmask_b32_e64 v20, v32, v29, s5
	;; [unrolled: 1-line block ×3, first 2 shown]
	s_delay_alu instid0(VALU_DEP_3) | instskip(NEXT) | instid1(VALU_DEP_3)
	v_add_nc_u32_e32 v39, 1, v14
	v_add_nc_u32_e32 v33, -1, v20
	v_lshlrev_b64 v[20:21], 3, v[14:15]
	s_delay_alu instid0(VALU_DEP_3) | instskip(NEXT) | instid1(VALU_DEP_3)
	v_cndmask_b32_e64 v24, v39, v24, s5
	v_min_u32_e32 v14, v39, v33
	s_delay_alu instid0(VALU_DEP_2) | instskip(NEXT) | instid1(VALU_DEP_2)
	v_cmp_ge_u32_e64 s10, v24, v32
	v_lshlrev_b64 v[33:34], 1, v[14:15]
	s_delay_alu instid0(VALU_DEP_1) | instskip(NEXT) | instid1(VALU_DEP_1)
	v_add_co_u32 v33, s6, v8, v33
	v_add_co_ci_u32_e64 v34, s6, v9, v34, s6
	flat_load_u16 v14, v[33:34]
	s_waitcnt vmcnt(0) lgkmcnt(0)
	v_cndmask_b32_e64 v34, v14, v37, s5
	v_cndmask_b32_e64 v49, v38, v14, s5
	;; [unrolled: 1-line block ×3, first 2 shown]
	s_delay_alu instid0(VALU_DEP_3) | instskip(NEXT) | instid1(VALU_DEP_3)
	v_and_b32_e32 v26, v34, v31
	v_and_b32_e32 v33, v49, v31
	s_delay_alu instid0(VALU_DEP_3) | instskip(NEXT) | instid1(VALU_DEP_2)
	v_cmp_lt_u32_e64 s6, v14, v29
	v_cmp_le_i16_e64 s7, v33, v26
	s_delay_alu instid0(VALU_DEP_1) | instskip(SKIP_1) | instid1(VALU_DEP_1)
	s_and_b32 s7, s6, s7
	v_add_co_u32 v16, s6, v4, v16
	v_add_co_ci_u32_e64 v17, s6, v5, v17, s6
	s_or_b32 s6, s10, s7
	v_add_co_u32 v18, s7, v4, v18
	v_cndmask_b32_e64 v14, v24, v14, s6
	v_add_co_ci_u32_e64 v19, s7, v5, v19, s7
	v_add_co_u32 v20, s7, v4, v20
	s_delay_alu instid0(VALU_DEP_3) | instskip(SKIP_2) | instid1(VALU_DEP_3)
	v_lshlrev_b64 v[14:15], 3, v[14:15]
	v_add_co_ci_u32_e64 v21, s7, v5, v21, s7
	v_cndmask_b32_e64 v85, v34, v49, s6
	v_add_co_u32 v32, s7, v4, v14
	s_delay_alu instid0(VALU_DEP_1)
	v_add_co_ci_u32_e64 v33, s7, v5, v15, s7
	s_clause 0x3
	flat_load_b64 v[14:15], v[16:17] offset:2048
	flat_load_b64 v[16:17], v[18:19] offset:2048
	;; [unrolled: 1-line block ×4, first 2 shown]
.LBB1041_47:
	s_or_b32 exec_lo, exec_lo, s14
	v_and_b32_e32 v26, 0x60, v83
	v_min_u32_e32 v27, v28, v84
	v_perm_b32 v33, v85, v48, 0x5040100
	s_mov_b32 s4, exec_lo
	s_delay_alu instid0(VALU_DEP_3) | instskip(NEXT) | instid1(VALU_DEP_1)
	v_or_b32_e32 v24, 16, v26
	; wave barrier
	v_min_u32_e32 v24, v28, v24
	s_delay_alu instid0(VALU_DEP_1) | instskip(NEXT) | instid1(VALU_DEP_1)
	v_add_nc_u32_e32 v25, 16, v24
	v_min_u32_e32 v25, v28, v25
	v_sub_nc_u32_e32 v28, v24, v26
	s_delay_alu instid0(VALU_DEP_2) | instskip(NEXT) | instid1(VALU_DEP_2)
	v_sub_nc_u32_e32 v32, v25, v24
	v_min_u32_e32 v29, v27, v28
	s_delay_alu instid0(VALU_DEP_2)
	v_sub_nc_u32_e64 v28, v27, v32 clamp
	v_perm_b32 v32, v86, v87, 0x5040100
	s_waitcnt vmcnt(2) lgkmcnt(2)
	s_clause 0x1
	flat_store_b128 v[12:13], v[14:17] offset:2048
	flat_store_b64 v[10:11], v[32:33]
	s_waitcnt vmcnt(0) lgkmcnt(2)
	flat_store_b128 v[22:23], v[18:21] offset:16
	; wave barrier
	v_cmpx_lt_u32_e64 v28, v29
	s_cbranch_execz .LBB1041_51
; %bb.48:
	v_lshlrev_b32_e32 v10, 1, v26
	v_lshlrev_b32_e32 v11, 1, v24
	s_mov_b32 s5, 0
	s_delay_alu instid0(VALU_DEP_2) | instskip(NEXT) | instid1(VALU_DEP_1)
	v_add_co_u32 v12, s3, v8, v10
	v_add_co_ci_u32_e64 v13, s3, 0, v9, s3
	s_delay_alu instid0(VALU_DEP_3)
	v_add_co_u32 v22, s3, v8, v11
	v_mov_b32_e32 v11, 0
	v_add_co_ci_u32_e64 v23, s3, 0, v9, s3
	s_set_inst_prefetch_distance 0x1
	.p2align	6
.LBB1041_49:                            ; =>This Inner Loop Header: Depth=1
	v_add_nc_u32_e32 v10, v29, v28
	s_delay_alu instid0(VALU_DEP_1) | instskip(SKIP_1) | instid1(VALU_DEP_2)
	v_lshrrev_b32_e32 v36, 1, v10
	v_and_b32_e32 v32, -2, v10
	v_xad_u32 v10, v36, -1, v27
	s_delay_alu instid0(VALU_DEP_2) | instskip(NEXT) | instid1(VALU_DEP_1)
	v_add_co_u32 v32, s3, v12, v32
	v_add_co_ci_u32_e64 v33, s3, 0, v13, s3
	s_delay_alu instid0(VALU_DEP_3) | instskip(NEXT) | instid1(VALU_DEP_1)
	v_lshlrev_b64 v[34:35], 1, v[10:11]
	v_add_co_u32 v34, s3, v22, v34
	s_delay_alu instid0(VALU_DEP_1)
	v_add_co_ci_u32_e64 v35, s3, v23, v35, s3
	s_clause 0x1
	flat_load_u16 v10, v[32:33]
	flat_load_u16 v32, v[34:35]
	v_add_nc_u32_e32 v33, 1, v36
	s_waitcnt vmcnt(1) lgkmcnt(1)
	v_and_b32_e32 v10, v10, v31
	s_waitcnt vmcnt(0) lgkmcnt(0)
	v_and_b32_e32 v32, v32, v31
	s_delay_alu instid0(VALU_DEP_1) | instskip(NEXT) | instid1(VALU_DEP_1)
	v_cmp_gt_i16_e64 s3, v10, v32
	v_cndmask_b32_e64 v29, v29, v36, s3
	v_cndmask_b32_e64 v28, v33, v28, s3
	s_delay_alu instid0(VALU_DEP_1) | instskip(NEXT) | instid1(VALU_DEP_1)
	v_cmp_ge_u32_e64 s3, v28, v29
	s_or_b32 s5, s3, s5
	s_delay_alu instid0(SALU_CYCLE_1)
	s_and_not1_b32 exec_lo, exec_lo, s5
	s_cbranch_execnz .LBB1041_49
; %bb.50:
	s_set_inst_prefetch_distance 0x2
	s_or_b32 exec_lo, exec_lo, s5
.LBB1041_51:
	s_delay_alu instid0(SALU_CYCLE_1) | instskip(SKIP_2) | instid1(VALU_DEP_2)
	s_or_b32 exec_lo, exec_lo, s4
	v_add_nc_u32_e32 v10, v24, v27
	v_add_nc_u32_e32 v12, v28, v26
	v_sub_nc_u32_e32 v10, v10, v28
	s_delay_alu instid0(VALU_DEP_2) | instskip(NEXT) | instid1(VALU_DEP_2)
	v_cmp_le_u32_e64 s3, v12, v24
	v_cmp_le_u32_e64 s4, v10, v25
	s_delay_alu instid0(VALU_DEP_1) | instskip(NEXT) | instid1(SALU_CYCLE_1)
	s_or_b32 s3, s3, s4
	s_and_saveexec_b32 s14, s3
	s_cbranch_execz .LBB1041_57
; %bb.52:
	v_cmp_lt_u32_e64 s3, v12, v24
                                        ; implicit-def: $vgpr13
	s_delay_alu instid0(VALU_DEP_1)
	s_and_saveexec_b32 s5, s3
	s_cbranch_execz .LBB1041_54
; %bb.53:
	v_mov_b32_e32 v13, 0
	s_delay_alu instid0(VALU_DEP_1) | instskip(NEXT) | instid1(VALU_DEP_1)
	v_lshlrev_b64 v[13:14], 1, v[12:13]
	v_add_co_u32 v13, s4, v8, v13
	s_delay_alu instid0(VALU_DEP_1)
	v_add_co_ci_u32_e64 v14, s4, v9, v14, s4
	flat_load_u16 v13, v[13:14]
.LBB1041_54:
	s_or_b32 exec_lo, exec_lo, s5
	v_cmp_ge_u32_e64 s4, v10, v25
	s_mov_b32 s6, exec_lo
                                        ; implicit-def: $vgpr11
	v_cmpx_lt_u32_e64 v10, v25
	s_cbranch_execz .LBB1041_56
; %bb.55:
	v_mov_b32_e32 v11, 0
	s_delay_alu instid0(VALU_DEP_1) | instskip(NEXT) | instid1(VALU_DEP_1)
	v_lshlrev_b64 v[14:15], 1, v[10:11]
	v_add_co_u32 v14, s5, v8, v14
	s_delay_alu instid0(VALU_DEP_1)
	v_add_co_ci_u32_e64 v15, s5, v9, v15, s5
	flat_load_u16 v11, v[14:15]
.LBB1041_56:
	s_or_b32 exec_lo, exec_lo, s6
	s_waitcnt vmcnt(0) lgkmcnt(0)
	v_and_b32_e32 v14, v11, v31
	v_and_b32_e32 v15, v13, v31
	s_delay_alu instid0(VALU_DEP_1) | instskip(SKIP_1) | instid1(VALU_DEP_2)
	v_cmp_le_i16_e64 s5, v15, v14
	v_mov_b32_e32 v15, 0
	s_and_b32 s3, s3, s5
	s_delay_alu instid0(SALU_CYCLE_1) | instskip(NEXT) | instid1(SALU_CYCLE_1)
	s_or_b32 s3, s4, s3
	v_cndmask_b32_e64 v14, v10, v12, s3
	v_cndmask_b32_e64 v16, v25, v24, s3
	v_cndmask_b32_e64 v87, v11, v13, s3
	s_delay_alu instid0(VALU_DEP_3) | instskip(NEXT) | instid1(VALU_DEP_3)
	v_add_nc_u32_e32 v20, 1, v14
	v_add_nc_u32_e32 v18, -1, v16
	v_lshlrev_b64 v[16:17], 3, v[14:15]
	s_delay_alu instid0(VALU_DEP_3) | instskip(NEXT) | instid1(VALU_DEP_3)
	v_cndmask_b32_e64 v12, v12, v20, s3
	v_min_u32_e32 v14, v20, v18
	v_cndmask_b32_e64 v10, v20, v10, s3
	s_delay_alu instid0(VALU_DEP_2) | instskip(NEXT) | instid1(VALU_DEP_2)
	v_lshlrev_b64 v[18:19], 1, v[14:15]
	v_cmp_ge_u32_e64 s6, v10, v25
	s_delay_alu instid0(VALU_DEP_2) | instskip(NEXT) | instid1(VALU_DEP_1)
	v_add_co_u32 v18, s4, v8, v18
	v_add_co_ci_u32_e64 v19, s4, v9, v19, s4
	v_cmp_lt_u32_e64 s4, v12, v24
	flat_load_u16 v14, v[18:19]
	s_waitcnt vmcnt(0) lgkmcnt(0)
	v_cndmask_b32_e64 v26, v14, v11, s3
	v_cndmask_b32_e64 v27, v13, v14, s3
	s_delay_alu instid0(VALU_DEP_2) | instskip(NEXT) | instid1(VALU_DEP_2)
	v_and_b32_e32 v14, v26, v31
	v_and_b32_e32 v18, v27, v31
	s_delay_alu instid0(VALU_DEP_1) | instskip(NEXT) | instid1(VALU_DEP_1)
	v_cmp_le_i16_e64 s5, v18, v14
	s_and_b32 s4, s4, s5
	s_delay_alu instid0(SALU_CYCLE_1) | instskip(NEXT) | instid1(SALU_CYCLE_1)
	s_or_b32 s4, s6, s4
	v_cndmask_b32_e64 v14, v10, v12, s4
	v_cndmask_b32_e64 v18, v25, v24, s4
	v_cndmask_b32_e64 v86, v26, v27, s4
	s_delay_alu instid0(VALU_DEP_3) | instskip(NEXT) | instid1(VALU_DEP_3)
	v_add_nc_u32_e32 v22, 1, v14
	v_add_nc_u32_e32 v20, -1, v18
	v_lshlrev_b64 v[18:19], 3, v[14:15]
	s_delay_alu instid0(VALU_DEP_3) | instskip(NEXT) | instid1(VALU_DEP_3)
	v_cndmask_b32_e64 v12, v12, v22, s4
	v_min_u32_e32 v14, v22, v20
	v_cndmask_b32_e64 v10, v22, v10, s4
	s_delay_alu instid0(VALU_DEP_2) | instskip(NEXT) | instid1(VALU_DEP_2)
	v_lshlrev_b64 v[20:21], 1, v[14:15]
	v_cmp_ge_u32_e64 s7, v10, v25
	s_delay_alu instid0(VALU_DEP_2) | instskip(NEXT) | instid1(VALU_DEP_1)
	v_add_co_u32 v20, s5, v8, v20
	v_add_co_ci_u32_e64 v21, s5, v9, v21, s5
	v_cmp_lt_u32_e64 s5, v12, v24
	flat_load_u16 v14, v[20:21]
	s_waitcnt vmcnt(0) lgkmcnt(0)
	v_cndmask_b32_e64 v28, v14, v26, s4
	v_cndmask_b32_e64 v29, v27, v14, s4
	s_delay_alu instid0(VALU_DEP_2) | instskip(NEXT) | instid1(VALU_DEP_2)
	v_and_b32_e32 v14, v28, v31
	v_and_b32_e32 v20, v29, v31
	s_delay_alu instid0(VALU_DEP_1) | instskip(NEXT) | instid1(VALU_DEP_1)
	v_cmp_le_i16_e64 s6, v20, v14
	;; [unrolled: 30-line block ×3, first 2 shown]
	s_and_b32 s7, s6, s7
	v_add_co_u32 v8, s6, v4, v16
	s_delay_alu instid0(VALU_DEP_1)
	v_add_co_ci_u32_e64 v9, s6, v5, v17, s6
	s_or_b32 s6, s10, s7
	v_add_co_u32 v16, s7, v4, v18
	v_cndmask_b32_e64 v14, v10, v12, s6
	v_add_co_ci_u32_e64 v17, s7, v5, v19, s7
	v_add_co_u32 v18, s7, v4, v20
	s_delay_alu instid0(VALU_DEP_3) | instskip(SKIP_2) | instid1(VALU_DEP_3)
	v_lshlrev_b64 v[14:15], 3, v[14:15]
	v_add_co_ci_u32_e64 v19, s7, v5, v21, s7
	v_cndmask_b32_e64 v85, v22, v23, s6
	v_add_co_u32 v4, s7, v4, v14
	s_delay_alu instid0(VALU_DEP_1)
	v_add_co_ci_u32_e64 v5, s7, v5, v15, s7
	s_clause 0x3
	flat_load_b64 v[14:15], v[8:9] offset:2048
	flat_load_b64 v[16:17], v[16:17] offset:2048
	;; [unrolled: 1-line block ×4, first 2 shown]
.LBB1041_57:
	s_or_b32 exec_lo, exec_lo, s14
	; wave barrier
	s_waitcnt vmcnt(0) lgkmcnt(0)
	s_waitcnt_vscnt null, 0x0
	s_barrier
                                        ; implicit-def: $vgpr83
                                        ; implicit-def: $vgpr12
                                        ; implicit-def: $vgpr13
                                        ; implicit-def: $vgpr84
                                        ; implicit-def: $vgpr5
                                        ; implicit-def: $vgpr8
                                        ; implicit-def: $vgpr4
                                        ; implicit-def: $vgpr32_vgpr33_vgpr34_vgpr35_vgpr36_vgpr37_vgpr38_vgpr39
                                        ; implicit-def: $vgpr22_vgpr23_vgpr24_vgpr25_vgpr26_vgpr27_vgpr28_vgpr29
.LBB1041_58:
	s_and_not1_saveexec_b32 s10, s11
	s_cbranch_execz .LBB1041_94
; %bb.59:
	s_load_b64 s[4:5], s[8:9], 0x0
	v_mov_b32_e32 v11, 0
	s_waitcnt lgkmcnt(0)
	s_cmp_lt_u32 s13, s5
	s_cselect_b32 s3, 14, 20
	s_delay_alu instid0(SALU_CYCLE_1) | instskip(SKIP_4) | instid1(SALU_CYCLE_1)
	s_add_u32 s6, s8, s3
	s_addc_u32 s7, s9, 0
	s_cmp_lt_u32 s12, s4
	global_load_u16 v9, v11, s[6:7]
	s_cselect_b32 s3, 12, 18
	s_add_u32 s4, s8, s3
	s_addc_u32 s5, s9, 0
	global_load_u16 v10, v11, s[4:5]
	s_mov_b32 s6, exec_lo
	s_waitcnt vmcnt(1)
	v_mad_u32_u24 v5, v8, v9, v5
	s_waitcnt vmcnt(0)
	s_delay_alu instid0(VALU_DEP_1) | instskip(NEXT) | instid1(VALU_DEP_1)
	v_mul_lo_u32 v5, v5, v10
	v_add_lshl_u32 v4, v5, v4, 2
	s_delay_alu instid0(VALU_DEP_1)
	v_cmpx_gt_u32_e32 0x400, v4
	s_cbranch_execz .LBB1041_63
; %bb.60:
	v_cmp_gt_i16_e64 s3, v87, v86
	v_max_i16 v18, v87, v86
	v_cmp_gt_i16_e64 s4, v48, v85
	v_min_i16 v10, v48, v85
	v_min_i16 v5, v87, v86
	v_cndmask_b32_e64 v19, v14, v16, s3
	v_cndmask_b32_e64 v20, v15, v17, s3
	;; [unrolled: 1-line block ×5, first 2 shown]
	v_cmp_gt_i16_e64 s5, v18, v10
	v_max_i16 v8, v48, v85
	v_cndmask_b32_e64 v23, v28, v36, s4
	v_cndmask_b32_e64 v16, v37, v29, s4
	;; [unrolled: 1-line block ×3, first 2 shown]
	v_min_i16 v9, v18, v10
	v_cmp_lt_i16_e64 s3, v10, v5
	v_max_i16 v10, v18, v10
	v_cndmask_b32_e64 v22, v14, v17, s5
	v_cmp_gt_i16_e64 s4, v18, v8
	v_cndmask_b32_e64 v25, v17, v14, s5
	v_cndmask_b32_e64 v21, v15, v16, s5
	;; [unrolled: 1-line block ×13, first 2 shown]
	v_mov_b32_e32 v48, v22
	s_mov_b32 s7, exec_lo
	v_cmpx_gt_i16_e64 v86, v22
; %bb.61:
	s_delay_alu instid0(VALU_DEP_3) | instskip(SKIP_3) | instid1(VALU_DEP_4)
	v_dual_mov_b32 v24, v19 :: v_dual_mov_b32 v23, v18
	v_dual_mov_b32 v19, v17 :: v_dual_mov_b32 v18, v16
	v_mov_b32_e32 v48, v86
	v_mov_b32_e32 v86, v22
	v_dual_mov_b32 v16, v23 :: v_dual_mov_b32 v17, v24
; %bb.62:
	s_or_b32 exec_lo, exec_lo, s7
	v_cndmask_b32_e64 v87, v5, v9, s3
	v_cndmask_b32_e64 v85, v8, v10, s4
.LBB1041_63:
	s_or_b32 exec_lo, exec_lo, s6
	v_and_b32_e32 v10, 0xffffff80, v4
	v_or_b32_e32 v8, 4, v83
	v_lshlrev_b32_e32 v22, 1, v83
	v_lshlrev_b32_e32 v23, 3, v83
	v_and_b32_e32 v26, 0x78, v83
	v_lshlrev_b64 v[4:5], 1, v[10:11]
	v_sub_nc_u32_e64 v28, 0x400, v10 clamp
	v_and_b32_e32 v11, 4, v83
	v_perm_b32 v25, v85, v48, 0x5040100
	v_perm_b32 v24, v86, v87, 0x5040100
	s_mov_b32 s4, exec_lo
	v_min_u32_e32 v29, v28, v8
	v_add_co_u32 v8, s3, v12, v4
	s_delay_alu instid0(VALU_DEP_1) | instskip(NEXT) | instid1(VALU_DEP_3)
	v_add_co_ci_u32_e64 v9, s3, v13, v5, s3
	v_add_nc_u32_e32 v12, 4, v29
	v_min_u32_e32 v27, v28, v11
	v_sub_nc_u32_e32 v33, v29, v26
	s_delay_alu instid0(VALU_DEP_4) | instskip(NEXT) | instid1(VALU_DEP_4)
	v_mad_u64_u32 v[4:5], null, v10, 6, v[8:9]
	v_min_u32_e32 v31, v28, v12
	v_add_co_u32 v10, s3, v8, v22
	s_delay_alu instid0(VALU_DEP_1) | instskip(NEXT) | instid1(VALU_DEP_3)
	v_add_co_ci_u32_e64 v11, s3, 0, v9, s3
	v_sub_nc_u32_e32 v22, v31, v29
	v_add_co_u32 v12, s3, v4, v23
	s_delay_alu instid0(VALU_DEP_1) | instskip(NEXT) | instid1(VALU_DEP_3)
	v_add_co_ci_u32_e64 v13, s3, 0, v5, s3
	v_sub_nc_u32_e64 v32, v27, v22 clamp
	s_delay_alu instid0(VALU_DEP_3) | instskip(SKIP_1) | instid1(VALU_DEP_4)
	v_add_co_u32 v22, s3, 0x800, v12
	v_min_u32_e32 v33, v27, v33
	v_add_co_ci_u32_e64 v23, s3, 0, v13, s3
	s_clause 0x2
	flat_store_b128 v[12:13], v[14:17] offset:2048
	flat_store_b64 v[10:11], v[24:25]
	flat_store_b128 v[12:13], v[18:21] offset:2064
	; wave barrier
	v_cmpx_lt_u32_e64 v32, v33
	s_cbranch_execz .LBB1041_67
; %bb.64:
	v_lshlrev_b32_e32 v24, 1, v26
	v_lshlrev_b32_e32 v25, 1, v29
	s_mov_b32 s5, 0
	s_delay_alu instid0(VALU_DEP_2) | instskip(NEXT) | instid1(VALU_DEP_1)
	v_add_co_u32 v34, s3, v8, v24
	v_add_co_ci_u32_e64 v35, s3, 0, v9, s3
	s_delay_alu instid0(VALU_DEP_3)
	v_add_co_u32 v36, s3, v8, v25
	v_mov_b32_e32 v25, 0
	v_add_co_ci_u32_e64 v37, s3, 0, v9, s3
	.p2align	6
.LBB1041_65:                            ; =>This Inner Loop Header: Depth=1
	v_add_nc_u32_e32 v24, v33, v32
	s_delay_alu instid0(VALU_DEP_1) | instskip(SKIP_1) | instid1(VALU_DEP_2)
	v_lshrrev_b32_e32 v51, 1, v24
	v_and_b32_e32 v38, -2, v24
	v_xad_u32 v24, v51, -1, v27
	s_delay_alu instid0(VALU_DEP_2) | instskip(NEXT) | instid1(VALU_DEP_1)
	v_add_co_u32 v38, s3, v34, v38
	v_add_co_ci_u32_e64 v39, s3, 0, v35, s3
	s_delay_alu instid0(VALU_DEP_3) | instskip(NEXT) | instid1(VALU_DEP_1)
	v_lshlrev_b64 v[49:50], 1, v[24:25]
	v_add_co_u32 v49, s3, v36, v49
	s_delay_alu instid0(VALU_DEP_1)
	v_add_co_ci_u32_e64 v50, s3, v37, v50, s3
	s_clause 0x1
	flat_load_u16 v24, v[38:39]
	flat_load_u16 v38, v[49:50]
	v_add_nc_u32_e32 v39, 1, v51
	s_waitcnt vmcnt(0) lgkmcnt(0)
	v_cmp_gt_i16_e64 s3, v24, v38
	s_delay_alu instid0(VALU_DEP_1) | instskip(NEXT) | instid1(VALU_DEP_3)
	v_cndmask_b32_e64 v33, v33, v51, s3
	v_cndmask_b32_e64 v32, v39, v32, s3
	s_delay_alu instid0(VALU_DEP_1) | instskip(NEXT) | instid1(VALU_DEP_1)
	v_cmp_ge_u32_e64 s3, v32, v33
	s_or_b32 s5, s3, s5
	s_delay_alu instid0(SALU_CYCLE_1)
	s_and_not1_b32 exec_lo, exec_lo, s5
	s_cbranch_execnz .LBB1041_65
; %bb.66:
	s_or_b32 exec_lo, exec_lo, s5
.LBB1041_67:
	s_delay_alu instid0(SALU_CYCLE_1) | instskip(SKIP_2) | instid1(VALU_DEP_2)
	s_or_b32 exec_lo, exec_lo, s4
	v_add_nc_u32_e32 v24, v29, v27
	v_add_nc_u32_e32 v26, v32, v26
	v_sub_nc_u32_e32 v24, v24, v32
	s_delay_alu instid0(VALU_DEP_2) | instskip(NEXT) | instid1(VALU_DEP_2)
	v_cmp_le_u32_e64 s3, v26, v29
	v_cmp_le_u32_e64 s4, v24, v31
	s_delay_alu instid0(VALU_DEP_1) | instskip(NEXT) | instid1(SALU_CYCLE_1)
	s_or_b32 s3, s3, s4
	s_and_saveexec_b32 s9, s3
	s_cbranch_execz .LBB1041_73
; %bb.68:
	v_cmp_lt_u32_e64 s3, v26, v29
                                        ; implicit-def: $vgpr27
	s_delay_alu instid0(VALU_DEP_1)
	s_and_saveexec_b32 s5, s3
	s_cbranch_execz .LBB1041_70
; %bb.69:
	v_mov_b32_e32 v27, 0
	s_delay_alu instid0(VALU_DEP_1) | instskip(NEXT) | instid1(VALU_DEP_1)
	v_lshlrev_b64 v[14:15], 1, v[26:27]
	v_add_co_u32 v14, s4, v8, v14
	s_delay_alu instid0(VALU_DEP_1)
	v_add_co_ci_u32_e64 v15, s4, v9, v15, s4
	flat_load_u16 v27, v[14:15]
.LBB1041_70:
	s_or_b32 exec_lo, exec_lo, s5
	v_cmp_ge_u32_e64 s4, v24, v31
	s_mov_b32 s6, exec_lo
                                        ; implicit-def: $vgpr25
	v_cmpx_lt_u32_e64 v24, v31
	s_cbranch_execz .LBB1041_72
; %bb.71:
	v_mov_b32_e32 v25, 0
	s_delay_alu instid0(VALU_DEP_1) | instskip(NEXT) | instid1(VALU_DEP_1)
	v_lshlrev_b64 v[14:15], 1, v[24:25]
	v_add_co_u32 v14, s5, v8, v14
	s_delay_alu instid0(VALU_DEP_1)
	v_add_co_ci_u32_e64 v15, s5, v9, v15, s5
	flat_load_u16 v25, v[14:15]
.LBB1041_72:
	s_or_b32 exec_lo, exec_lo, s6
	s_waitcnt vmcnt(0) lgkmcnt(0)
	v_cmp_le_i16_e64 s5, v27, v25
	s_delay_alu instid0(VALU_DEP_1) | instskip(NEXT) | instid1(SALU_CYCLE_1)
	s_and_b32 s3, s3, s5
	s_or_b32 s3, s4, s3
	s_delay_alu instid0(SALU_CYCLE_1) | instskip(SKIP_3) | instid1(VALU_DEP_4)
	v_cndmask_b32_e64 v14, v24, v26, s3
	v_cndmask_b32_e64 v16, v31, v29, s3
	v_mov_b32_e32 v15, 0
	v_cndmask_b32_e64 v87, v25, v27, s3
	v_add_nc_u32_e32 v20, 1, v14
	s_delay_alu instid0(VALU_DEP_4) | instskip(NEXT) | instid1(VALU_DEP_4)
	v_add_nc_u32_e32 v18, -1, v16
	v_lshlrev_b64 v[16:17], 3, v[14:15]
	s_delay_alu instid0(VALU_DEP_3) | instskip(NEXT) | instid1(VALU_DEP_3)
	v_cndmask_b32_e64 v26, v26, v20, s3
	v_min_u32_e32 v14, v20, v18
	v_cndmask_b32_e64 v24, v20, v24, s3
	s_delay_alu instid0(VALU_DEP_2) | instskip(NEXT) | instid1(VALU_DEP_2)
	v_lshlrev_b64 v[18:19], 1, v[14:15]
	v_cmp_ge_u32_e64 s6, v24, v31
	s_delay_alu instid0(VALU_DEP_2) | instskip(NEXT) | instid1(VALU_DEP_1)
	v_add_co_u32 v18, s4, v8, v18
	v_add_co_ci_u32_e64 v19, s4, v9, v19, s4
	v_cmp_lt_u32_e64 s4, v26, v29
	flat_load_u16 v14, v[18:19]
	s_waitcnt vmcnt(0) lgkmcnt(0)
	v_cndmask_b32_e64 v34, v14, v25, s3
	v_cndmask_b32_e64 v35, v27, v14, s3
	s_delay_alu instid0(VALU_DEP_1) | instskip(NEXT) | instid1(VALU_DEP_1)
	v_cmp_le_i16_e64 s5, v35, v34
	s_and_b32 s4, s4, s5
	s_delay_alu instid0(SALU_CYCLE_1) | instskip(NEXT) | instid1(SALU_CYCLE_1)
	s_or_b32 s4, s6, s4
	v_cndmask_b32_e64 v14, v24, v26, s4
	v_cndmask_b32_e64 v18, v31, v29, s4
	;; [unrolled: 1-line block ×3, first 2 shown]
	s_delay_alu instid0(VALU_DEP_3) | instskip(NEXT) | instid1(VALU_DEP_3)
	v_add_nc_u32_e32 v32, 1, v14
	v_add_nc_u32_e32 v20, -1, v18
	v_lshlrev_b64 v[18:19], 3, v[14:15]
	s_delay_alu instid0(VALU_DEP_3) | instskip(NEXT) | instid1(VALU_DEP_3)
	v_cndmask_b32_e64 v26, v26, v32, s4
	v_min_u32_e32 v14, v32, v20
	v_cndmask_b32_e64 v24, v32, v24, s4
	s_delay_alu instid0(VALU_DEP_2) | instskip(NEXT) | instid1(VALU_DEP_2)
	v_lshlrev_b64 v[20:21], 1, v[14:15]
	v_cmp_ge_u32_e64 s7, v24, v31
	s_delay_alu instid0(VALU_DEP_2) | instskip(NEXT) | instid1(VALU_DEP_1)
	v_add_co_u32 v20, s5, v8, v20
	v_add_co_ci_u32_e64 v21, s5, v9, v21, s5
	v_cmp_lt_u32_e64 s5, v26, v29
	flat_load_u16 v14, v[20:21]
	s_waitcnt vmcnt(0) lgkmcnt(0)
	v_cndmask_b32_e64 v36, v14, v34, s4
	v_cndmask_b32_e64 v37, v35, v14, s4
	s_delay_alu instid0(VALU_DEP_1) | instskip(NEXT) | instid1(VALU_DEP_1)
	v_cmp_le_i16_e64 s6, v37, v36
	s_and_b32 s5, s5, s6
	s_delay_alu instid0(SALU_CYCLE_1) | instskip(NEXT) | instid1(SALU_CYCLE_1)
	s_or_b32 s5, s7, s5
	v_cndmask_b32_e64 v14, v24, v26, s5
	v_cndmask_b32_e64 v20, v31, v29, s5
	;; [unrolled: 1-line block ×3, first 2 shown]
	s_delay_alu instid0(VALU_DEP_3) | instskip(NEXT) | instid1(VALU_DEP_3)
	v_add_nc_u32_e32 v38, 1, v14
	v_add_nc_u32_e32 v32, -1, v20
	v_lshlrev_b64 v[20:21], 3, v[14:15]
	s_delay_alu instid0(VALU_DEP_3) | instskip(NEXT) | instid1(VALU_DEP_3)
	v_cndmask_b32_e64 v26, v26, v38, s5
	v_min_u32_e32 v14, v38, v32
	s_delay_alu instid0(VALU_DEP_1) | instskip(NEXT) | instid1(VALU_DEP_1)
	v_lshlrev_b64 v[32:33], 1, v[14:15]
	v_add_co_u32 v32, s6, v8, v32
	s_delay_alu instid0(VALU_DEP_1)
	v_add_co_ci_u32_e64 v33, s6, v9, v33, s6
	v_cmp_lt_u32_e64 s6, v26, v29
	flat_load_u16 v14, v[32:33]
	s_waitcnt vmcnt(0) lgkmcnt(0)
	v_cndmask_b32_e64 v33, v14, v36, s5
	v_cndmask_b32_e64 v39, v37, v14, s5
	;; [unrolled: 1-line block ×3, first 2 shown]
	s_delay_alu instid0(VALU_DEP_2) | instskip(NEXT) | instid1(VALU_DEP_2)
	v_cmp_le_i16_e64 s7, v39, v33
	v_cmp_ge_u32_e64 s8, v14, v31
	s_delay_alu instid0(VALU_DEP_2) | instskip(SKIP_1) | instid1(VALU_DEP_1)
	s_and_b32 s7, s6, s7
	v_add_co_u32 v16, s6, v4, v16
	v_add_co_ci_u32_e64 v17, s6, v5, v17, s6
	s_delay_alu instid0(VALU_DEP_3) | instskip(SKIP_4) | instid1(VALU_DEP_3)
	s_or_b32 s6, s8, s7
	v_add_co_u32 v18, s7, v4, v18
	v_cndmask_b32_e64 v14, v14, v26, s6
	v_add_co_ci_u32_e64 v19, s7, v5, v19, s7
	v_add_co_u32 v20, s7, v4, v20
	v_lshlrev_b64 v[14:15], 3, v[14:15]
	v_add_co_ci_u32_e64 v21, s7, v5, v21, s7
	v_cndmask_b32_e64 v85, v33, v39, s6
	s_delay_alu instid0(VALU_DEP_3) | instskip(NEXT) | instid1(VALU_DEP_1)
	v_add_co_u32 v31, s7, v4, v14
	v_add_co_ci_u32_e64 v32, s7, v5, v15, s7
	s_clause 0x3
	flat_load_b64 v[14:15], v[16:17] offset:2048
	flat_load_b64 v[16:17], v[18:19] offset:2048
	;; [unrolled: 1-line block ×4, first 2 shown]
.LBB1041_73:
	s_or_b32 exec_lo, exec_lo, s9
	v_and_b32_e32 v26, 0x70, v83
	v_and_b32_e32 v25, 12, v83
	s_mov_b32 s4, exec_lo
	; wave barrier
	s_delay_alu instid0(VALU_DEP_2) | instskip(NEXT) | instid1(VALU_DEP_2)
	v_or_b32_e32 v24, 8, v26
	v_min_u32_e32 v27, v28, v25
	s_delay_alu instid0(VALU_DEP_2) | instskip(NEXT) | instid1(VALU_DEP_1)
	v_min_u32_e32 v29, v28, v24
	v_add_nc_u32_e32 v24, 8, v29
	s_delay_alu instid0(VALU_DEP_1) | instskip(SKIP_1) | instid1(VALU_DEP_2)
	v_min_u32_e32 v31, v28, v24
	v_sub_nc_u32_e32 v24, v29, v26
	v_sub_nc_u32_e32 v25, v31, v29
	s_delay_alu instid0(VALU_DEP_2) | instskip(SKIP_1) | instid1(VALU_DEP_3)
	v_min_u32_e32 v33, v27, v24
	v_perm_b32 v24, v86, v87, 0x5040100
	v_sub_nc_u32_e64 v32, v27, v25 clamp
	v_perm_b32 v25, v85, v48, 0x5040100
	s_waitcnt vmcnt(2) lgkmcnt(2)
	s_clause 0x1
	flat_store_b128 v[12:13], v[14:17] offset:2048
	flat_store_b64 v[10:11], v[24:25]
	s_waitcnt vmcnt(0) lgkmcnt(2)
	flat_store_b128 v[22:23], v[18:21] offset:16
	; wave barrier
	v_cmpx_lt_u32_e64 v32, v33
	s_cbranch_execz .LBB1041_77
; %bb.74:
	v_lshlrev_b32_e32 v24, 1, v26
	v_lshlrev_b32_e32 v25, 1, v29
	s_mov_b32 s5, 0
	s_delay_alu instid0(VALU_DEP_2) | instskip(NEXT) | instid1(VALU_DEP_1)
	v_add_co_u32 v34, s3, v8, v24
	v_add_co_ci_u32_e64 v35, s3, 0, v9, s3
	s_delay_alu instid0(VALU_DEP_3)
	v_add_co_u32 v36, s3, v8, v25
	v_mov_b32_e32 v25, 0
	v_add_co_ci_u32_e64 v37, s3, 0, v9, s3
	.p2align	6
.LBB1041_75:                            ; =>This Inner Loop Header: Depth=1
	v_add_nc_u32_e32 v24, v33, v32
	s_delay_alu instid0(VALU_DEP_1) | instskip(SKIP_1) | instid1(VALU_DEP_2)
	v_lshrrev_b32_e32 v51, 1, v24
	v_and_b32_e32 v38, -2, v24
	v_xad_u32 v24, v51, -1, v27
	s_delay_alu instid0(VALU_DEP_2) | instskip(NEXT) | instid1(VALU_DEP_1)
	v_add_co_u32 v38, s3, v34, v38
	v_add_co_ci_u32_e64 v39, s3, 0, v35, s3
	s_delay_alu instid0(VALU_DEP_3) | instskip(NEXT) | instid1(VALU_DEP_1)
	v_lshlrev_b64 v[49:50], 1, v[24:25]
	v_add_co_u32 v49, s3, v36, v49
	s_delay_alu instid0(VALU_DEP_1)
	v_add_co_ci_u32_e64 v50, s3, v37, v50, s3
	s_clause 0x1
	flat_load_u16 v24, v[38:39]
	flat_load_u16 v38, v[49:50]
	v_add_nc_u32_e32 v39, 1, v51
	s_waitcnt vmcnt(0) lgkmcnt(0)
	v_cmp_gt_i16_e64 s3, v24, v38
	s_delay_alu instid0(VALU_DEP_1) | instskip(NEXT) | instid1(VALU_DEP_3)
	v_cndmask_b32_e64 v33, v33, v51, s3
	v_cndmask_b32_e64 v32, v39, v32, s3
	s_delay_alu instid0(VALU_DEP_1) | instskip(NEXT) | instid1(VALU_DEP_1)
	v_cmp_ge_u32_e64 s3, v32, v33
	s_or_b32 s5, s3, s5
	s_delay_alu instid0(SALU_CYCLE_1)
	s_and_not1_b32 exec_lo, exec_lo, s5
	s_cbranch_execnz .LBB1041_75
; %bb.76:
	s_or_b32 exec_lo, exec_lo, s5
.LBB1041_77:
	s_delay_alu instid0(SALU_CYCLE_1) | instskip(SKIP_2) | instid1(VALU_DEP_2)
	s_or_b32 exec_lo, exec_lo, s4
	v_add_nc_u32_e32 v24, v29, v27
	v_add_nc_u32_e32 v26, v32, v26
	v_sub_nc_u32_e32 v24, v24, v32
	s_delay_alu instid0(VALU_DEP_2) | instskip(NEXT) | instid1(VALU_DEP_2)
	v_cmp_le_u32_e64 s3, v26, v29
	v_cmp_le_u32_e64 s4, v24, v31
	s_delay_alu instid0(VALU_DEP_1) | instskip(NEXT) | instid1(SALU_CYCLE_1)
	s_or_b32 s3, s3, s4
	s_and_saveexec_b32 s9, s3
	s_cbranch_execz .LBB1041_83
; %bb.78:
	v_cmp_lt_u32_e64 s3, v26, v29
                                        ; implicit-def: $vgpr27
	s_delay_alu instid0(VALU_DEP_1)
	s_and_saveexec_b32 s5, s3
	s_cbranch_execz .LBB1041_80
; %bb.79:
	v_mov_b32_e32 v27, 0
	s_delay_alu instid0(VALU_DEP_1) | instskip(NEXT) | instid1(VALU_DEP_1)
	v_lshlrev_b64 v[14:15], 1, v[26:27]
	v_add_co_u32 v14, s4, v8, v14
	s_delay_alu instid0(VALU_DEP_1)
	v_add_co_ci_u32_e64 v15, s4, v9, v15, s4
	flat_load_u16 v27, v[14:15]
.LBB1041_80:
	s_or_b32 exec_lo, exec_lo, s5
	v_cmp_ge_u32_e64 s4, v24, v31
	s_mov_b32 s6, exec_lo
                                        ; implicit-def: $vgpr25
	v_cmpx_lt_u32_e64 v24, v31
	s_cbranch_execz .LBB1041_82
; %bb.81:
	v_mov_b32_e32 v25, 0
	s_delay_alu instid0(VALU_DEP_1) | instskip(NEXT) | instid1(VALU_DEP_1)
	v_lshlrev_b64 v[14:15], 1, v[24:25]
	v_add_co_u32 v14, s5, v8, v14
	s_delay_alu instid0(VALU_DEP_1)
	v_add_co_ci_u32_e64 v15, s5, v9, v15, s5
	flat_load_u16 v25, v[14:15]
.LBB1041_82:
	s_or_b32 exec_lo, exec_lo, s6
	s_waitcnt vmcnt(0) lgkmcnt(0)
	v_cmp_le_i16_e64 s5, v27, v25
	s_delay_alu instid0(VALU_DEP_1) | instskip(NEXT) | instid1(SALU_CYCLE_1)
	s_and_b32 s3, s3, s5
	s_or_b32 s3, s4, s3
	s_delay_alu instid0(SALU_CYCLE_1) | instskip(SKIP_3) | instid1(VALU_DEP_4)
	v_cndmask_b32_e64 v14, v24, v26, s3
	v_cndmask_b32_e64 v16, v31, v29, s3
	v_mov_b32_e32 v15, 0
	v_cndmask_b32_e64 v87, v25, v27, s3
	v_add_nc_u32_e32 v20, 1, v14
	s_delay_alu instid0(VALU_DEP_4) | instskip(NEXT) | instid1(VALU_DEP_4)
	v_add_nc_u32_e32 v18, -1, v16
	v_lshlrev_b64 v[16:17], 3, v[14:15]
	s_delay_alu instid0(VALU_DEP_3) | instskip(NEXT) | instid1(VALU_DEP_3)
	v_cndmask_b32_e64 v26, v26, v20, s3
	v_min_u32_e32 v14, v20, v18
	v_cndmask_b32_e64 v24, v20, v24, s3
	s_delay_alu instid0(VALU_DEP_2) | instskip(NEXT) | instid1(VALU_DEP_2)
	v_lshlrev_b64 v[18:19], 1, v[14:15]
	v_cmp_ge_u32_e64 s6, v24, v31
	s_delay_alu instid0(VALU_DEP_2) | instskip(NEXT) | instid1(VALU_DEP_1)
	v_add_co_u32 v18, s4, v8, v18
	v_add_co_ci_u32_e64 v19, s4, v9, v19, s4
	v_cmp_lt_u32_e64 s4, v26, v29
	flat_load_u16 v14, v[18:19]
	s_waitcnt vmcnt(0) lgkmcnt(0)
	v_cndmask_b32_e64 v34, v14, v25, s3
	v_cndmask_b32_e64 v35, v27, v14, s3
	s_delay_alu instid0(VALU_DEP_1) | instskip(NEXT) | instid1(VALU_DEP_1)
	v_cmp_le_i16_e64 s5, v35, v34
	s_and_b32 s4, s4, s5
	s_delay_alu instid0(SALU_CYCLE_1) | instskip(NEXT) | instid1(SALU_CYCLE_1)
	s_or_b32 s4, s6, s4
	v_cndmask_b32_e64 v14, v24, v26, s4
	v_cndmask_b32_e64 v18, v31, v29, s4
	;; [unrolled: 1-line block ×3, first 2 shown]
	s_delay_alu instid0(VALU_DEP_3) | instskip(NEXT) | instid1(VALU_DEP_3)
	v_add_nc_u32_e32 v32, 1, v14
	v_add_nc_u32_e32 v20, -1, v18
	v_lshlrev_b64 v[18:19], 3, v[14:15]
	s_delay_alu instid0(VALU_DEP_3) | instskip(NEXT) | instid1(VALU_DEP_3)
	v_cndmask_b32_e64 v26, v26, v32, s4
	v_min_u32_e32 v14, v32, v20
	v_cndmask_b32_e64 v24, v32, v24, s4
	s_delay_alu instid0(VALU_DEP_2) | instskip(NEXT) | instid1(VALU_DEP_2)
	v_lshlrev_b64 v[20:21], 1, v[14:15]
	v_cmp_ge_u32_e64 s7, v24, v31
	s_delay_alu instid0(VALU_DEP_2) | instskip(NEXT) | instid1(VALU_DEP_1)
	v_add_co_u32 v20, s5, v8, v20
	v_add_co_ci_u32_e64 v21, s5, v9, v21, s5
	v_cmp_lt_u32_e64 s5, v26, v29
	flat_load_u16 v14, v[20:21]
	s_waitcnt vmcnt(0) lgkmcnt(0)
	v_cndmask_b32_e64 v36, v14, v34, s4
	v_cndmask_b32_e64 v37, v35, v14, s4
	s_delay_alu instid0(VALU_DEP_1) | instskip(NEXT) | instid1(VALU_DEP_1)
	v_cmp_le_i16_e64 s6, v37, v36
	s_and_b32 s5, s5, s6
	s_delay_alu instid0(SALU_CYCLE_1) | instskip(NEXT) | instid1(SALU_CYCLE_1)
	s_or_b32 s5, s7, s5
	v_cndmask_b32_e64 v14, v24, v26, s5
	v_cndmask_b32_e64 v20, v31, v29, s5
	;; [unrolled: 1-line block ×3, first 2 shown]
	s_delay_alu instid0(VALU_DEP_3) | instskip(NEXT) | instid1(VALU_DEP_3)
	v_add_nc_u32_e32 v38, 1, v14
	v_add_nc_u32_e32 v32, -1, v20
	v_lshlrev_b64 v[20:21], 3, v[14:15]
	s_delay_alu instid0(VALU_DEP_3) | instskip(NEXT) | instid1(VALU_DEP_3)
	v_cndmask_b32_e64 v26, v26, v38, s5
	v_min_u32_e32 v14, v38, v32
	s_delay_alu instid0(VALU_DEP_1) | instskip(NEXT) | instid1(VALU_DEP_1)
	v_lshlrev_b64 v[32:33], 1, v[14:15]
	v_add_co_u32 v32, s6, v8, v32
	s_delay_alu instid0(VALU_DEP_1)
	v_add_co_ci_u32_e64 v33, s6, v9, v33, s6
	v_cmp_lt_u32_e64 s6, v26, v29
	flat_load_u16 v14, v[32:33]
	s_waitcnt vmcnt(0) lgkmcnt(0)
	v_cndmask_b32_e64 v33, v14, v36, s5
	v_cndmask_b32_e64 v39, v37, v14, s5
	;; [unrolled: 1-line block ×3, first 2 shown]
	s_delay_alu instid0(VALU_DEP_2) | instskip(NEXT) | instid1(VALU_DEP_2)
	v_cmp_le_i16_e64 s7, v39, v33
	v_cmp_ge_u32_e64 s8, v14, v31
	s_delay_alu instid0(VALU_DEP_2) | instskip(SKIP_1) | instid1(VALU_DEP_1)
	s_and_b32 s7, s6, s7
	v_add_co_u32 v16, s6, v4, v16
	v_add_co_ci_u32_e64 v17, s6, v5, v17, s6
	s_delay_alu instid0(VALU_DEP_3) | instskip(SKIP_4) | instid1(VALU_DEP_3)
	s_or_b32 s6, s8, s7
	v_add_co_u32 v18, s7, v4, v18
	v_cndmask_b32_e64 v14, v14, v26, s6
	v_add_co_ci_u32_e64 v19, s7, v5, v19, s7
	v_add_co_u32 v20, s7, v4, v20
	v_lshlrev_b64 v[14:15], 3, v[14:15]
	v_add_co_ci_u32_e64 v21, s7, v5, v21, s7
	v_cndmask_b32_e64 v85, v33, v39, s6
	s_delay_alu instid0(VALU_DEP_3) | instskip(NEXT) | instid1(VALU_DEP_1)
	v_add_co_u32 v31, s7, v4, v14
	v_add_co_ci_u32_e64 v32, s7, v5, v15, s7
	s_clause 0x3
	flat_load_b64 v[14:15], v[16:17] offset:2048
	flat_load_b64 v[16:17], v[18:19] offset:2048
	;; [unrolled: 1-line block ×4, first 2 shown]
.LBB1041_83:
	s_or_b32 exec_lo, exec_lo, s9
	v_and_b32_e32 v26, 0x60, v83
	v_min_u32_e32 v27, v28, v84
	v_perm_b32 v32, v85, v48, 0x5040100
	s_mov_b32 s4, exec_lo
	s_delay_alu instid0(VALU_DEP_3) | instskip(NEXT) | instid1(VALU_DEP_1)
	v_or_b32_e32 v24, 16, v26
	; wave barrier
	v_min_u32_e32 v24, v28, v24
	s_delay_alu instid0(VALU_DEP_1) | instskip(NEXT) | instid1(VALU_DEP_1)
	v_add_nc_u32_e32 v25, 16, v24
	v_min_u32_e32 v25, v28, v25
	v_sub_nc_u32_e32 v28, v24, v26
	s_delay_alu instid0(VALU_DEP_2) | instskip(NEXT) | instid1(VALU_DEP_2)
	v_sub_nc_u32_e32 v31, v25, v24
	v_min_u32_e32 v29, v27, v28
	s_delay_alu instid0(VALU_DEP_2)
	v_sub_nc_u32_e64 v28, v27, v31 clamp
	v_perm_b32 v31, v86, v87, 0x5040100
	s_waitcnt vmcnt(2) lgkmcnt(2)
	s_clause 0x1
	flat_store_b128 v[12:13], v[14:17] offset:2048
	flat_store_b64 v[10:11], v[31:32]
	s_waitcnt vmcnt(0) lgkmcnt(2)
	flat_store_b128 v[22:23], v[18:21] offset:16
	; wave barrier
	v_cmpx_lt_u32_e64 v28, v29
	s_cbranch_execz .LBB1041_87
; %bb.84:
	v_lshlrev_b32_e32 v10, 1, v26
	v_lshlrev_b32_e32 v11, 1, v24
	s_mov_b32 s5, 0
	s_delay_alu instid0(VALU_DEP_2) | instskip(NEXT) | instid1(VALU_DEP_1)
	v_add_co_u32 v12, s3, v8, v10
	v_add_co_ci_u32_e64 v13, s3, 0, v9, s3
	s_delay_alu instid0(VALU_DEP_3)
	v_add_co_u32 v22, s3, v8, v11
	v_mov_b32_e32 v11, 0
	v_add_co_ci_u32_e64 v23, s3, 0, v9, s3
	.p2align	6
.LBB1041_85:                            ; =>This Inner Loop Header: Depth=1
	v_add_nc_u32_e32 v10, v29, v28
	s_delay_alu instid0(VALU_DEP_1) | instskip(SKIP_1) | instid1(VALU_DEP_2)
	v_lshrrev_b32_e32 v35, 1, v10
	v_and_b32_e32 v31, -2, v10
	v_xad_u32 v10, v35, -1, v27
	s_delay_alu instid0(VALU_DEP_2) | instskip(NEXT) | instid1(VALU_DEP_1)
	v_add_co_u32 v31, s3, v12, v31
	v_add_co_ci_u32_e64 v32, s3, 0, v13, s3
	s_delay_alu instid0(VALU_DEP_3) | instskip(NEXT) | instid1(VALU_DEP_1)
	v_lshlrev_b64 v[33:34], 1, v[10:11]
	v_add_co_u32 v33, s3, v22, v33
	s_delay_alu instid0(VALU_DEP_1)
	v_add_co_ci_u32_e64 v34, s3, v23, v34, s3
	s_clause 0x1
	flat_load_u16 v10, v[31:32]
	flat_load_u16 v31, v[33:34]
	v_add_nc_u32_e32 v32, 1, v35
	s_waitcnt vmcnt(0) lgkmcnt(0)
	v_cmp_gt_i16_e64 s3, v10, v31
	s_delay_alu instid0(VALU_DEP_1) | instskip(NEXT) | instid1(VALU_DEP_3)
	v_cndmask_b32_e64 v29, v29, v35, s3
	v_cndmask_b32_e64 v28, v32, v28, s3
	s_delay_alu instid0(VALU_DEP_1) | instskip(NEXT) | instid1(VALU_DEP_1)
	v_cmp_ge_u32_e64 s3, v28, v29
	s_or_b32 s5, s3, s5
	s_delay_alu instid0(SALU_CYCLE_1)
	s_and_not1_b32 exec_lo, exec_lo, s5
	s_cbranch_execnz .LBB1041_85
; %bb.86:
	s_or_b32 exec_lo, exec_lo, s5
.LBB1041_87:
	s_delay_alu instid0(SALU_CYCLE_1) | instskip(SKIP_2) | instid1(VALU_DEP_2)
	s_or_b32 exec_lo, exec_lo, s4
	v_add_nc_u32_e32 v10, v24, v27
	v_add_nc_u32_e32 v12, v28, v26
	v_sub_nc_u32_e32 v10, v10, v28
	s_delay_alu instid0(VALU_DEP_2) | instskip(NEXT) | instid1(VALU_DEP_2)
	v_cmp_le_u32_e64 s3, v12, v24
	v_cmp_le_u32_e64 s4, v10, v25
	s_delay_alu instid0(VALU_DEP_1) | instskip(NEXT) | instid1(SALU_CYCLE_1)
	s_or_b32 s3, s3, s4
	s_and_saveexec_b32 s9, s3
	s_cbranch_execz .LBB1041_93
; %bb.88:
	v_cmp_lt_u32_e64 s3, v12, v24
                                        ; implicit-def: $vgpr13
	s_delay_alu instid0(VALU_DEP_1)
	s_and_saveexec_b32 s5, s3
	s_cbranch_execz .LBB1041_90
; %bb.89:
	v_mov_b32_e32 v13, 0
	s_delay_alu instid0(VALU_DEP_1) | instskip(NEXT) | instid1(VALU_DEP_1)
	v_lshlrev_b64 v[13:14], 1, v[12:13]
	v_add_co_u32 v13, s4, v8, v13
	s_delay_alu instid0(VALU_DEP_1)
	v_add_co_ci_u32_e64 v14, s4, v9, v14, s4
	flat_load_u16 v13, v[13:14]
.LBB1041_90:
	s_or_b32 exec_lo, exec_lo, s5
	v_cmp_ge_u32_e64 s4, v10, v25
	s_mov_b32 s6, exec_lo
                                        ; implicit-def: $vgpr11
	v_cmpx_lt_u32_e64 v10, v25
	s_cbranch_execz .LBB1041_92
; %bb.91:
	v_mov_b32_e32 v11, 0
	s_delay_alu instid0(VALU_DEP_1) | instskip(NEXT) | instid1(VALU_DEP_1)
	v_lshlrev_b64 v[14:15], 1, v[10:11]
	v_add_co_u32 v14, s5, v8, v14
	s_delay_alu instid0(VALU_DEP_1)
	v_add_co_ci_u32_e64 v15, s5, v9, v15, s5
	flat_load_u16 v11, v[14:15]
.LBB1041_92:
	s_or_b32 exec_lo, exec_lo, s6
	s_waitcnt vmcnt(0) lgkmcnt(0)
	v_cmp_le_i16_e64 s5, v13, v11
	s_delay_alu instid0(VALU_DEP_1) | instskip(NEXT) | instid1(SALU_CYCLE_1)
	s_and_b32 s3, s3, s5
	s_or_b32 s3, s4, s3
	s_delay_alu instid0(SALU_CYCLE_1) | instskip(SKIP_3) | instid1(VALU_DEP_4)
	v_cndmask_b32_e64 v14, v10, v12, s3
	v_cndmask_b32_e64 v16, v25, v24, s3
	v_mov_b32_e32 v15, 0
	v_cndmask_b32_e64 v87, v11, v13, s3
	v_add_nc_u32_e32 v20, 1, v14
	s_delay_alu instid0(VALU_DEP_4) | instskip(NEXT) | instid1(VALU_DEP_4)
	v_add_nc_u32_e32 v18, -1, v16
	v_lshlrev_b64 v[16:17], 3, v[14:15]
	s_delay_alu instid0(VALU_DEP_3) | instskip(NEXT) | instid1(VALU_DEP_3)
	v_cndmask_b32_e64 v12, v12, v20, s3
	v_min_u32_e32 v14, v20, v18
	v_cndmask_b32_e64 v10, v20, v10, s3
	s_delay_alu instid0(VALU_DEP_2) | instskip(NEXT) | instid1(VALU_DEP_2)
	v_lshlrev_b64 v[18:19], 1, v[14:15]
	v_cmp_ge_u32_e64 s6, v10, v25
	s_delay_alu instid0(VALU_DEP_2) | instskip(NEXT) | instid1(VALU_DEP_1)
	v_add_co_u32 v18, s4, v8, v18
	v_add_co_ci_u32_e64 v19, s4, v9, v19, s4
	v_cmp_lt_u32_e64 s4, v12, v24
	flat_load_u16 v14, v[18:19]
	s_waitcnt vmcnt(0) lgkmcnt(0)
	v_cndmask_b32_e64 v26, v14, v11, s3
	v_cndmask_b32_e64 v27, v13, v14, s3
	s_delay_alu instid0(VALU_DEP_1) | instskip(NEXT) | instid1(VALU_DEP_1)
	v_cmp_le_i16_e64 s5, v27, v26
	s_and_b32 s4, s4, s5
	s_delay_alu instid0(SALU_CYCLE_1) | instskip(NEXT) | instid1(SALU_CYCLE_1)
	s_or_b32 s4, s6, s4
	v_cndmask_b32_e64 v14, v10, v12, s4
	v_cndmask_b32_e64 v18, v25, v24, s4
	;; [unrolled: 1-line block ×3, first 2 shown]
	s_delay_alu instid0(VALU_DEP_3) | instskip(NEXT) | instid1(VALU_DEP_3)
	v_add_nc_u32_e32 v22, 1, v14
	v_add_nc_u32_e32 v20, -1, v18
	v_lshlrev_b64 v[18:19], 3, v[14:15]
	s_delay_alu instid0(VALU_DEP_3) | instskip(NEXT) | instid1(VALU_DEP_3)
	v_cndmask_b32_e64 v12, v12, v22, s4
	v_min_u32_e32 v14, v22, v20
	v_cndmask_b32_e64 v10, v22, v10, s4
	s_delay_alu instid0(VALU_DEP_2) | instskip(NEXT) | instid1(VALU_DEP_2)
	v_lshlrev_b64 v[20:21], 1, v[14:15]
	v_cmp_ge_u32_e64 s7, v10, v25
	s_delay_alu instid0(VALU_DEP_2) | instskip(NEXT) | instid1(VALU_DEP_1)
	v_add_co_u32 v20, s5, v8, v20
	v_add_co_ci_u32_e64 v21, s5, v9, v21, s5
	v_cmp_lt_u32_e64 s5, v12, v24
	flat_load_u16 v14, v[20:21]
	s_waitcnt vmcnt(0) lgkmcnt(0)
	v_cndmask_b32_e64 v28, v14, v26, s4
	v_cndmask_b32_e64 v29, v27, v14, s4
	s_delay_alu instid0(VALU_DEP_1) | instskip(NEXT) | instid1(VALU_DEP_1)
	v_cmp_le_i16_e64 s6, v29, v28
	s_and_b32 s5, s5, s6
	s_delay_alu instid0(SALU_CYCLE_1) | instskip(NEXT) | instid1(SALU_CYCLE_1)
	s_or_b32 s5, s7, s5
	v_cndmask_b32_e64 v14, v10, v12, s5
	v_cndmask_b32_e64 v20, v25, v24, s5
	;; [unrolled: 1-line block ×3, first 2 shown]
	s_delay_alu instid0(VALU_DEP_3) | instskip(NEXT) | instid1(VALU_DEP_3)
	v_add_nc_u32_e32 v31, 1, v14
	v_add_nc_u32_e32 v22, -1, v20
	v_lshlrev_b64 v[20:21], 3, v[14:15]
	s_delay_alu instid0(VALU_DEP_3) | instskip(NEXT) | instid1(VALU_DEP_3)
	v_cndmask_b32_e64 v12, v12, v31, s5
	v_min_u32_e32 v14, v31, v22
	v_cndmask_b32_e64 v10, v31, v10, s5
	s_delay_alu instid0(VALU_DEP_2) | instskip(NEXT) | instid1(VALU_DEP_2)
	v_lshlrev_b64 v[22:23], 1, v[14:15]
	v_cmp_ge_u32_e64 s8, v10, v25
	s_delay_alu instid0(VALU_DEP_2) | instskip(NEXT) | instid1(VALU_DEP_1)
	v_add_co_u32 v8, s6, v8, v22
	v_add_co_ci_u32_e64 v9, s6, v9, v23, s6
	v_cmp_lt_u32_e64 s6, v12, v24
	flat_load_u16 v8, v[8:9]
	s_waitcnt vmcnt(0) lgkmcnt(0)
	v_cndmask_b32_e64 v22, v8, v28, s5
	v_cndmask_b32_e64 v23, v29, v8, s5
	s_delay_alu instid0(VALU_DEP_1) | instskip(NEXT) | instid1(VALU_DEP_1)
	v_cmp_le_i16_e64 s7, v23, v22
	s_and_b32 s7, s6, s7
	v_add_co_u32 v8, s6, v4, v16
	s_delay_alu instid0(VALU_DEP_1)
	v_add_co_ci_u32_e64 v9, s6, v5, v17, s6
	s_or_b32 s6, s8, s7
	v_add_co_u32 v16, s7, v4, v18
	v_cndmask_b32_e64 v14, v10, v12, s6
	v_add_co_ci_u32_e64 v17, s7, v5, v19, s7
	v_add_co_u32 v18, s7, v4, v20
	s_delay_alu instid0(VALU_DEP_3) | instskip(SKIP_2) | instid1(VALU_DEP_3)
	v_lshlrev_b64 v[14:15], 3, v[14:15]
	v_add_co_ci_u32_e64 v19, s7, v5, v21, s7
	v_cndmask_b32_e64 v85, v22, v23, s6
	v_add_co_u32 v4, s7, v4, v14
	s_delay_alu instid0(VALU_DEP_1)
	v_add_co_ci_u32_e64 v5, s7, v5, v15, s7
	s_clause 0x3
	flat_load_b64 v[14:15], v[8:9] offset:2048
	flat_load_b64 v[16:17], v[16:17] offset:2048
	;; [unrolled: 1-line block ×4, first 2 shown]
.LBB1041_93:
	s_or_b32 exec_lo, exec_lo, s9
	; wave barrier
	s_waitcnt vmcnt(0) lgkmcnt(0)
	s_waitcnt_vscnt null, 0x0
	s_barrier
.LBB1041_94:
	s_or_b32 exec_lo, exec_lo, s10
	v_add_co_u32 v2, s3, v2, v80
	s_delay_alu instid0(VALU_DEP_1) | instskip(SKIP_4) | instid1(VALU_DEP_1)
	v_add_co_ci_u32_e64 v3, s3, v3, v81, s3
	s_waitcnt vmcnt(0) lgkmcnt(0)
	s_waitcnt_vscnt null, 0x0
	buffer_gl0_inv
	v_add_co_u32 v2, s3, v2, v30
	v_add_co_ci_u32_e64 v3, s3, 0, v3, s3
	; wave barrier
	s_and_saveexec_b32 s3, vcc_lo
	s_cbranch_execz .LBB1041_100
; %bb.95:
	flat_store_b16 v[2:3], v87
	s_or_b32 exec_lo, exec_lo, s3
	s_and_saveexec_b32 s3, s0
	s_cbranch_execnz .LBB1041_101
.LBB1041_96:
	s_or_b32 exec_lo, exec_lo, s3
	s_and_saveexec_b32 s3, s1
	s_cbranch_execz .LBB1041_102
.LBB1041_97:
	flat_store_b16 v[2:3], v48 offset:4
	s_or_b32 exec_lo, exec_lo, s3
	s_and_saveexec_b32 s3, s2
	s_cbranch_execnz .LBB1041_103
	s_branch .LBB1041_104
.LBB1041_98:
	s_or_b32 exec_lo, exec_lo, s3
                                        ; implicit-def: $vgpr18_vgpr19
	s_and_saveexec_b32 s3, s1
	s_cbranch_execz .LBB1041_12
.LBB1041_99:
	flat_load_b64 v[36:37], v[4:5] offset:16
	s_waitcnt vmcnt(0) lgkmcnt(0)
	v_dual_mov_b32 v18, v36 :: v_dual_mov_b32 v19, v37
	s_or_b32 exec_lo, exec_lo, s3
	s_and_saveexec_b32 s3, s2
	s_cbranch_execnz .LBB1041_13
	s_branch .LBB1041_14
.LBB1041_100:
	s_or_b32 exec_lo, exec_lo, s3
	s_and_saveexec_b32 s3, s0
	s_cbranch_execz .LBB1041_96
.LBB1041_101:
	flat_store_b16 v[2:3], v86 offset:2
	s_or_b32 exec_lo, exec_lo, s3
	s_and_saveexec_b32 s3, s1
	s_cbranch_execnz .LBB1041_97
.LBB1041_102:
	s_or_b32 exec_lo, exec_lo, s3
	s_and_saveexec_b32 s3, s2
	s_cbranch_execz .LBB1041_104
.LBB1041_103:
	flat_store_b16 v[2:3], v85 offset:6
.LBB1041_104:
	s_or_b32 exec_lo, exec_lo, s3
	v_add_co_u32 v0, s3, v6, v0
	s_delay_alu instid0(VALU_DEP_1) | instskip(NEXT) | instid1(VALU_DEP_2)
	v_add_co_ci_u32_e64 v1, s3, v7, v1, s3
	v_add_co_u32 v0, s3, v0, v82
	s_delay_alu instid0(VALU_DEP_1)
	v_add_co_ci_u32_e64 v1, s3, 0, v1, s3
	; wave barrier
	s_and_saveexec_b32 s3, vcc_lo
	s_cbranch_execz .LBB1041_109
; %bb.105:
	flat_store_b64 v[0:1], v[14:15]
	s_or_b32 exec_lo, exec_lo, s3
	s_and_saveexec_b32 s3, s0
	s_cbranch_execnz .LBB1041_110
.LBB1041_106:
	s_or_b32 exec_lo, exec_lo, s3
	s_and_saveexec_b32 s0, s1
	s_cbranch_execz .LBB1041_111
.LBB1041_107:
	flat_store_b64 v[0:1], v[18:19] offset:16
	s_or_b32 exec_lo, exec_lo, s0
	s_and_saveexec_b32 s0, s2
	s_cbranch_execnz .LBB1041_112
.LBB1041_108:
	s_or_b32 exec_lo, exec_lo, s0
	s_waitcnt lgkmcnt(0)
	s_setpc_b64 s[30:31]
.LBB1041_109:
	s_or_b32 exec_lo, exec_lo, s3
	s_and_saveexec_b32 s3, s0
	s_cbranch_execz .LBB1041_106
.LBB1041_110:
	flat_store_b64 v[0:1], v[16:17] offset:8
	s_or_b32 exec_lo, exec_lo, s3
	s_and_saveexec_b32 s0, s1
	s_cbranch_execnz .LBB1041_107
.LBB1041_111:
	s_or_b32 exec_lo, exec_lo, s0
	s_and_saveexec_b32 s0, s2
	s_cbranch_execz .LBB1041_108
.LBB1041_112:
	flat_store_b64 v[0:1], v[20:21] offset:24
	s_or_b32 exec_lo, exec_lo, s0
	s_waitcnt lgkmcnt(0)
	s_setpc_b64 s[30:31]
.Lfunc_end1041:
	.size	_ZN7rocprim17ROCPRIM_400000_NS6detail26segmented_warp_sort_helperINS1_20WarpSortHelperConfigILj8ELj4ELj256EEEslLi256ELb0EvE4sortIPKsPsPKlPlEEvT_T0_T1_T2_jjjjRNS5_12storage_typeE, .Lfunc_end1041-_ZN7rocprim17ROCPRIM_400000_NS6detail26segmented_warp_sort_helperINS1_20WarpSortHelperConfigILj8ELj4ELj256EEEslLi256ELb0EvE4sortIPKsPsPKlPlEEvT_T0_T1_T2_jjjjRNS5_12storage_typeE
                                        ; -- End function
	.section	.AMDGPU.csdata,"",@progbits
; Function info:
; codeLenInByte = 9724
; NumSgprs: 34
; NumVgprs: 88
; ScratchSize: 0
; MemoryBound: 1
	.section	.text._ZN7rocprim17ROCPRIM_400000_NS6detail17trampoline_kernelINS0_14default_configENS1_36segmented_radix_sort_config_selectorIslEEZNS1_25segmented_radix_sort_implIS3_Lb0EPKsPsPKlPlN2at6native12_GLOBAL__N_18offset_tEEE10hipError_tPvRmT1_PNSt15iterator_traitsISK_E10value_typeET2_T3_PNSL_ISQ_E10value_typeET4_jRbjT5_SW_jjP12ihipStream_tbEUlT_E1_NS1_11comp_targetILNS1_3genE9ELNS1_11target_archE1100ELNS1_3gpuE3ELNS1_3repE0EEENS1_59segmented_radix_sort_warp_sort_small_config_static_selectorELNS0_4arch9wavefront6targetE0EEEvSK_,"axG",@progbits,_ZN7rocprim17ROCPRIM_400000_NS6detail17trampoline_kernelINS0_14default_configENS1_36segmented_radix_sort_config_selectorIslEEZNS1_25segmented_radix_sort_implIS3_Lb0EPKsPsPKlPlN2at6native12_GLOBAL__N_18offset_tEEE10hipError_tPvRmT1_PNSt15iterator_traitsISK_E10value_typeET2_T3_PNSL_ISQ_E10value_typeET4_jRbjT5_SW_jjP12ihipStream_tbEUlT_E1_NS1_11comp_targetILNS1_3genE9ELNS1_11target_archE1100ELNS1_3gpuE3ELNS1_3repE0EEENS1_59segmented_radix_sort_warp_sort_small_config_static_selectorELNS0_4arch9wavefront6targetE0EEEvSK_,comdat
	.globl	_ZN7rocprim17ROCPRIM_400000_NS6detail17trampoline_kernelINS0_14default_configENS1_36segmented_radix_sort_config_selectorIslEEZNS1_25segmented_radix_sort_implIS3_Lb0EPKsPsPKlPlN2at6native12_GLOBAL__N_18offset_tEEE10hipError_tPvRmT1_PNSt15iterator_traitsISK_E10value_typeET2_T3_PNSL_ISQ_E10value_typeET4_jRbjT5_SW_jjP12ihipStream_tbEUlT_E1_NS1_11comp_targetILNS1_3genE9ELNS1_11target_archE1100ELNS1_3gpuE3ELNS1_3repE0EEENS1_59segmented_radix_sort_warp_sort_small_config_static_selectorELNS0_4arch9wavefront6targetE0EEEvSK_ ; -- Begin function _ZN7rocprim17ROCPRIM_400000_NS6detail17trampoline_kernelINS0_14default_configENS1_36segmented_radix_sort_config_selectorIslEEZNS1_25segmented_radix_sort_implIS3_Lb0EPKsPsPKlPlN2at6native12_GLOBAL__N_18offset_tEEE10hipError_tPvRmT1_PNSt15iterator_traitsISK_E10value_typeET2_T3_PNSL_ISQ_E10value_typeET4_jRbjT5_SW_jjP12ihipStream_tbEUlT_E1_NS1_11comp_targetILNS1_3genE9ELNS1_11target_archE1100ELNS1_3gpuE3ELNS1_3repE0EEENS1_59segmented_radix_sort_warp_sort_small_config_static_selectorELNS0_4arch9wavefront6targetE0EEEvSK_
	.p2align	8
	.type	_ZN7rocprim17ROCPRIM_400000_NS6detail17trampoline_kernelINS0_14default_configENS1_36segmented_radix_sort_config_selectorIslEEZNS1_25segmented_radix_sort_implIS3_Lb0EPKsPsPKlPlN2at6native12_GLOBAL__N_18offset_tEEE10hipError_tPvRmT1_PNSt15iterator_traitsISK_E10value_typeET2_T3_PNSL_ISQ_E10value_typeET4_jRbjT5_SW_jjP12ihipStream_tbEUlT_E1_NS1_11comp_targetILNS1_3genE9ELNS1_11target_archE1100ELNS1_3gpuE3ELNS1_3repE0EEENS1_59segmented_radix_sort_warp_sort_small_config_static_selectorELNS0_4arch9wavefront6targetE0EEEvSK_,@function
_ZN7rocprim17ROCPRIM_400000_NS6detail17trampoline_kernelINS0_14default_configENS1_36segmented_radix_sort_config_selectorIslEEZNS1_25segmented_radix_sort_implIS3_Lb0EPKsPsPKlPlN2at6native12_GLOBAL__N_18offset_tEEE10hipError_tPvRmT1_PNSt15iterator_traitsISK_E10value_typeET2_T3_PNSL_ISQ_E10value_typeET4_jRbjT5_SW_jjP12ihipStream_tbEUlT_E1_NS1_11comp_targetILNS1_3genE9ELNS1_11target_archE1100ELNS1_3gpuE3ELNS1_3repE0EEENS1_59segmented_radix_sort_warp_sort_small_config_static_selectorELNS0_4arch9wavefront6targetE0EEEvSK_: ; @_ZN7rocprim17ROCPRIM_400000_NS6detail17trampoline_kernelINS0_14default_configENS1_36segmented_radix_sort_config_selectorIslEEZNS1_25segmented_radix_sort_implIS3_Lb0EPKsPsPKlPlN2at6native12_GLOBAL__N_18offset_tEEE10hipError_tPvRmT1_PNSt15iterator_traitsISK_E10value_typeET2_T3_PNSL_ISQ_E10value_typeET4_jRbjT5_SW_jjP12ihipStream_tbEUlT_E1_NS1_11comp_targetILNS1_3genE9ELNS1_11target_archE1100ELNS1_3gpuE3ELNS1_3repE0EEENS1_59segmented_radix_sort_warp_sort_small_config_static_selectorELNS0_4arch9wavefront6targetE0EEEvSK_
; %bb.0:
	s_load_b32 s2, s[0:1], 0x64
	v_bfe_u32 v1, v0, 10, 10
	v_bfe_u32 v2, v0, 20, 10
	s_mov_b32 s12, s14
	s_mov_b32 s32, 0
	s_waitcnt lgkmcnt(0)
	s_lshr_b32 s3, s2, 16
	s_and_b32 s2, s2, 0xffff
	v_mad_u32_u24 v4, v2, s3, v1
	v_and_b32_e32 v1, 0x3ff, v0
	s_load_b32 s3, s[0:1], 0x34
	s_delay_alu instid0(VALU_DEP_1) | instskip(SKIP_1) | instid1(VALU_DEP_1)
	v_mad_u64_u32 v[2:3], null, v4, s2, v[1:2]
	s_mov_b32 s2, exec_lo
	v_lshrrev_b32_e32 v1, 3, v2
	s_delay_alu instid0(VALU_DEP_1) | instskip(SKIP_1) | instid1(VALU_DEP_1)
	v_lshl_add_u32 v1, s12, 5, v1
	s_waitcnt lgkmcnt(0)
	v_cmpx_gt_u32_e64 s3, v1
	s_cbranch_execz .LBB1042_6
; %bb.1:
	s_clause 0x1
	s_load_b64 s[2:3], s[0:1], 0x38
	s_load_b128 s[4:7], s[0:1], 0x40
	v_mov_b32_e32 v2, 0
	s_delay_alu instid0(VALU_DEP_1) | instskip(SKIP_1) | instid1(VALU_DEP_1)
	v_lshlrev_b64 v[1:2], 2, v[1:2]
	s_waitcnt lgkmcnt(0)
	v_sub_co_u32 v1, vcc_lo, s2, v1
	s_delay_alu instid0(VALU_DEP_2) | instskip(SKIP_4) | instid1(VALU_DEP_2)
	v_sub_co_ci_u32_e32 v2, vcc_lo, s3, v2, vcc_lo
	global_load_b32 v1, v[1:2], off offset:-4
	s_waitcnt vmcnt(0)
	v_add_nc_u32_e32 v2, s5, v1
	v_add_nc_u32_e32 v1, s7, v1
	v_mul_lo_u32 v40, v2, s4
	s_delay_alu instid0(VALU_DEP_2) | instskip(NEXT) | instid1(VALU_DEP_1)
	v_mul_lo_u32 v41, v1, s6
	v_cmp_gt_u32_e32 vcc_lo, v41, v40
	s_and_b32 exec_lo, exec_lo, vcc_lo
	s_cbranch_execz .LBB1042_6
; %bb.2:
	s_clause 0x3
	s_load_b32 s2, s[0:1], 0x30
	s_load_b128 s[24:27], s[0:1], 0x20
	s_load_b256 s[16:23], s[0:1], 0x0
	s_load_b64 s[28:29], s[0:1], 0x50
	s_waitcnt lgkmcnt(0)
	s_bitcmp0_b32 s2, 0
	s_mov_b32 s2, -1
	s_cbranch_scc0 .LBB1042_4
; %bb.3:
	s_mov_b64 s[2:3], src_shared_base
	v_mov_b32_e32 v31, v0
	v_dual_mov_b32 v42, v0 :: v_dual_mov_b32 v1, s17
	v_mov_b32_e32 v0, s16
	v_dual_mov_b32 v2, s18 :: v_dual_mov_b32 v3, s19
	v_dual_mov_b32 v4, s22 :: v_dual_mov_b32 v5, s23
	;; [unrolled: 1-line block ×6, first 2 shown]
	s_add_u32 s8, s0, 0x58
	s_addc_u32 s9, s1, 0
	s_mov_b32 s13, s15
	s_getpc_b64 s[4:5]
	s_add_u32 s4, s4, _ZN7rocprim17ROCPRIM_400000_NS6detail26segmented_warp_sort_helperINS1_20WarpSortHelperConfigILj8ELj4ELj256EEEslLi256ELb0EvE4sortIPKsPsPKlPlEEvT_T0_T1_T2_jjjjRNS5_12storage_typeE@rel32@lo+4
	s_addc_u32 s5, s5, _ZN7rocprim17ROCPRIM_400000_NS6detail26segmented_warp_sort_helperINS1_20WarpSortHelperConfigILj8ELj4ELj256EEEslLi256ELb0EvE4sortIPKsPsPKlPlEEvT_T0_T1_T2_jjjjRNS5_12storage_typeE@rel32@hi+12
	s_mov_b64 s[18:19], s[0:1]
	s_swappc_b64 s[30:31], s[4:5]
	v_mov_b32_e32 v0, v42
	s_mov_b64 s[0:1], s[18:19]
	s_mov_b32 s2, 0
.LBB1042_4:
	s_delay_alu instid0(SALU_CYCLE_1)
	s_and_not1_b32 vcc_lo, exec_lo, s2
	s_cbranch_vccnz .LBB1042_6
; %bb.5:
	s_add_u32 s8, s0, 0x58
	s_addc_u32 s9, s1, 0
	s_mov_b64 s[0:1], src_shared_base
	v_dual_mov_b32 v31, v0 :: v_dual_mov_b32 v0, s16
	v_dual_mov_b32 v1, s17 :: v_dual_mov_b32 v2, s20
	;; [unrolled: 1-line block ×7, first 2 shown]
	v_mov_b32_e32 v13, s1
	s_mov_b32 s13, s15
	s_getpc_b64 s[2:3]
	s_add_u32 s2, s2, _ZN7rocprim17ROCPRIM_400000_NS6detail26segmented_warp_sort_helperINS1_20WarpSortHelperConfigILj8ELj4ELj256EEEslLi256ELb0EvE4sortIPKsPsPKlPlEEvT_T0_T1_T2_jjjjRNS5_12storage_typeE@rel32@lo+4
	s_addc_u32 s3, s3, _ZN7rocprim17ROCPRIM_400000_NS6detail26segmented_warp_sort_helperINS1_20WarpSortHelperConfigILj8ELj4ELj256EEEslLi256ELb0EvE4sortIPKsPsPKlPlEEvT_T0_T1_T2_jjjjRNS5_12storage_typeE@rel32@hi+12
	s_delay_alu instid0(SALU_CYCLE_1)
	s_swappc_b64 s[30:31], s[2:3]
.LBB1042_6:
	s_endpgm
	.section	.rodata,"a",@progbits
	.p2align	6, 0x0
	.amdhsa_kernel _ZN7rocprim17ROCPRIM_400000_NS6detail17trampoline_kernelINS0_14default_configENS1_36segmented_radix_sort_config_selectorIslEEZNS1_25segmented_radix_sort_implIS3_Lb0EPKsPsPKlPlN2at6native12_GLOBAL__N_18offset_tEEE10hipError_tPvRmT1_PNSt15iterator_traitsISK_E10value_typeET2_T3_PNSL_ISQ_E10value_typeET4_jRbjT5_SW_jjP12ihipStream_tbEUlT_E1_NS1_11comp_targetILNS1_3genE9ELNS1_11target_archE1100ELNS1_3gpuE3ELNS1_3repE0EEENS1_59segmented_radix_sort_warp_sort_small_config_static_selectorELNS0_4arch9wavefront6targetE0EEEvSK_
		.amdhsa_group_segment_fixed_size 10240
		.amdhsa_private_segment_fixed_size 0
		.amdhsa_kernarg_size 344
		.amdhsa_user_sgpr_count 14
		.amdhsa_user_sgpr_dispatch_ptr 0
		.amdhsa_user_sgpr_queue_ptr 0
		.amdhsa_user_sgpr_kernarg_segment_ptr 1
		.amdhsa_user_sgpr_dispatch_id 0
		.amdhsa_user_sgpr_private_segment_size 0
		.amdhsa_wavefront_size32 1
		.amdhsa_uses_dynamic_stack 0
		.amdhsa_enable_private_segment 0
		.amdhsa_system_sgpr_workgroup_id_x 1
		.amdhsa_system_sgpr_workgroup_id_y 1
		.amdhsa_system_sgpr_workgroup_id_z 0
		.amdhsa_system_sgpr_workgroup_info 0
		.amdhsa_system_vgpr_workitem_id 2
		.amdhsa_next_free_vgpr 88
		.amdhsa_next_free_sgpr 33
		.amdhsa_reserve_vcc 1
		.amdhsa_float_round_mode_32 0
		.amdhsa_float_round_mode_16_64 0
		.amdhsa_float_denorm_mode_32 3
		.amdhsa_float_denorm_mode_16_64 3
		.amdhsa_dx10_clamp 1
		.amdhsa_ieee_mode 1
		.amdhsa_fp16_overflow 0
		.amdhsa_workgroup_processor_mode 1
		.amdhsa_memory_ordered 1
		.amdhsa_forward_progress 0
		.amdhsa_shared_vgpr_count 0
		.amdhsa_exception_fp_ieee_invalid_op 0
		.amdhsa_exception_fp_denorm_src 0
		.amdhsa_exception_fp_ieee_div_zero 0
		.amdhsa_exception_fp_ieee_overflow 0
		.amdhsa_exception_fp_ieee_underflow 0
		.amdhsa_exception_fp_ieee_inexact 0
		.amdhsa_exception_int_div_zero 0
	.end_amdhsa_kernel
	.section	.text._ZN7rocprim17ROCPRIM_400000_NS6detail17trampoline_kernelINS0_14default_configENS1_36segmented_radix_sort_config_selectorIslEEZNS1_25segmented_radix_sort_implIS3_Lb0EPKsPsPKlPlN2at6native12_GLOBAL__N_18offset_tEEE10hipError_tPvRmT1_PNSt15iterator_traitsISK_E10value_typeET2_T3_PNSL_ISQ_E10value_typeET4_jRbjT5_SW_jjP12ihipStream_tbEUlT_E1_NS1_11comp_targetILNS1_3genE9ELNS1_11target_archE1100ELNS1_3gpuE3ELNS1_3repE0EEENS1_59segmented_radix_sort_warp_sort_small_config_static_selectorELNS0_4arch9wavefront6targetE0EEEvSK_,"axG",@progbits,_ZN7rocprim17ROCPRIM_400000_NS6detail17trampoline_kernelINS0_14default_configENS1_36segmented_radix_sort_config_selectorIslEEZNS1_25segmented_radix_sort_implIS3_Lb0EPKsPsPKlPlN2at6native12_GLOBAL__N_18offset_tEEE10hipError_tPvRmT1_PNSt15iterator_traitsISK_E10value_typeET2_T3_PNSL_ISQ_E10value_typeET4_jRbjT5_SW_jjP12ihipStream_tbEUlT_E1_NS1_11comp_targetILNS1_3genE9ELNS1_11target_archE1100ELNS1_3gpuE3ELNS1_3repE0EEENS1_59segmented_radix_sort_warp_sort_small_config_static_selectorELNS0_4arch9wavefront6targetE0EEEvSK_,comdat
.Lfunc_end1042:
	.size	_ZN7rocprim17ROCPRIM_400000_NS6detail17trampoline_kernelINS0_14default_configENS1_36segmented_radix_sort_config_selectorIslEEZNS1_25segmented_radix_sort_implIS3_Lb0EPKsPsPKlPlN2at6native12_GLOBAL__N_18offset_tEEE10hipError_tPvRmT1_PNSt15iterator_traitsISK_E10value_typeET2_T3_PNSL_ISQ_E10value_typeET4_jRbjT5_SW_jjP12ihipStream_tbEUlT_E1_NS1_11comp_targetILNS1_3genE9ELNS1_11target_archE1100ELNS1_3gpuE3ELNS1_3repE0EEENS1_59segmented_radix_sort_warp_sort_small_config_static_selectorELNS0_4arch9wavefront6targetE0EEEvSK_, .Lfunc_end1042-_ZN7rocprim17ROCPRIM_400000_NS6detail17trampoline_kernelINS0_14default_configENS1_36segmented_radix_sort_config_selectorIslEEZNS1_25segmented_radix_sort_implIS3_Lb0EPKsPsPKlPlN2at6native12_GLOBAL__N_18offset_tEEE10hipError_tPvRmT1_PNSt15iterator_traitsISK_E10value_typeET2_T3_PNSL_ISQ_E10value_typeET4_jRbjT5_SW_jjP12ihipStream_tbEUlT_E1_NS1_11comp_targetILNS1_3genE9ELNS1_11target_archE1100ELNS1_3gpuE3ELNS1_3repE0EEENS1_59segmented_radix_sort_warp_sort_small_config_static_selectorELNS0_4arch9wavefront6targetE0EEEvSK_
                                        ; -- End function
	.section	.AMDGPU.csdata,"",@progbits
; Kernel info:
; codeLenInByte = 528
; NumSgprs: 35
; NumVgprs: 88
; ScratchSize: 0
; MemoryBound: 0
; FloatMode: 240
; IeeeMode: 1
; LDSByteSize: 10240 bytes/workgroup (compile time only)
; SGPRBlocks: 4
; VGPRBlocks: 10
; NumSGPRsForWavesPerEU: 35
; NumVGPRsForWavesPerEU: 88
; Occupancy: 16
; WaveLimiterHint : 0
; COMPUTE_PGM_RSRC2:SCRATCH_EN: 0
; COMPUTE_PGM_RSRC2:USER_SGPR: 14
; COMPUTE_PGM_RSRC2:TRAP_HANDLER: 0
; COMPUTE_PGM_RSRC2:TGID_X_EN: 1
; COMPUTE_PGM_RSRC2:TGID_Y_EN: 1
; COMPUTE_PGM_RSRC2:TGID_Z_EN: 0
; COMPUTE_PGM_RSRC2:TIDIG_COMP_CNT: 2
	.section	.text._ZN7rocprim17ROCPRIM_400000_NS6detail17trampoline_kernelINS0_14default_configENS1_36segmented_radix_sort_config_selectorIslEEZNS1_25segmented_radix_sort_implIS3_Lb0EPKsPsPKlPlN2at6native12_GLOBAL__N_18offset_tEEE10hipError_tPvRmT1_PNSt15iterator_traitsISK_E10value_typeET2_T3_PNSL_ISQ_E10value_typeET4_jRbjT5_SW_jjP12ihipStream_tbEUlT_E1_NS1_11comp_targetILNS1_3genE8ELNS1_11target_archE1030ELNS1_3gpuE2ELNS1_3repE0EEENS1_59segmented_radix_sort_warp_sort_small_config_static_selectorELNS0_4arch9wavefront6targetE0EEEvSK_,"axG",@progbits,_ZN7rocprim17ROCPRIM_400000_NS6detail17trampoline_kernelINS0_14default_configENS1_36segmented_radix_sort_config_selectorIslEEZNS1_25segmented_radix_sort_implIS3_Lb0EPKsPsPKlPlN2at6native12_GLOBAL__N_18offset_tEEE10hipError_tPvRmT1_PNSt15iterator_traitsISK_E10value_typeET2_T3_PNSL_ISQ_E10value_typeET4_jRbjT5_SW_jjP12ihipStream_tbEUlT_E1_NS1_11comp_targetILNS1_3genE8ELNS1_11target_archE1030ELNS1_3gpuE2ELNS1_3repE0EEENS1_59segmented_radix_sort_warp_sort_small_config_static_selectorELNS0_4arch9wavefront6targetE0EEEvSK_,comdat
	.globl	_ZN7rocprim17ROCPRIM_400000_NS6detail17trampoline_kernelINS0_14default_configENS1_36segmented_radix_sort_config_selectorIslEEZNS1_25segmented_radix_sort_implIS3_Lb0EPKsPsPKlPlN2at6native12_GLOBAL__N_18offset_tEEE10hipError_tPvRmT1_PNSt15iterator_traitsISK_E10value_typeET2_T3_PNSL_ISQ_E10value_typeET4_jRbjT5_SW_jjP12ihipStream_tbEUlT_E1_NS1_11comp_targetILNS1_3genE8ELNS1_11target_archE1030ELNS1_3gpuE2ELNS1_3repE0EEENS1_59segmented_radix_sort_warp_sort_small_config_static_selectorELNS0_4arch9wavefront6targetE0EEEvSK_ ; -- Begin function _ZN7rocprim17ROCPRIM_400000_NS6detail17trampoline_kernelINS0_14default_configENS1_36segmented_radix_sort_config_selectorIslEEZNS1_25segmented_radix_sort_implIS3_Lb0EPKsPsPKlPlN2at6native12_GLOBAL__N_18offset_tEEE10hipError_tPvRmT1_PNSt15iterator_traitsISK_E10value_typeET2_T3_PNSL_ISQ_E10value_typeET4_jRbjT5_SW_jjP12ihipStream_tbEUlT_E1_NS1_11comp_targetILNS1_3genE8ELNS1_11target_archE1030ELNS1_3gpuE2ELNS1_3repE0EEENS1_59segmented_radix_sort_warp_sort_small_config_static_selectorELNS0_4arch9wavefront6targetE0EEEvSK_
	.p2align	8
	.type	_ZN7rocprim17ROCPRIM_400000_NS6detail17trampoline_kernelINS0_14default_configENS1_36segmented_radix_sort_config_selectorIslEEZNS1_25segmented_radix_sort_implIS3_Lb0EPKsPsPKlPlN2at6native12_GLOBAL__N_18offset_tEEE10hipError_tPvRmT1_PNSt15iterator_traitsISK_E10value_typeET2_T3_PNSL_ISQ_E10value_typeET4_jRbjT5_SW_jjP12ihipStream_tbEUlT_E1_NS1_11comp_targetILNS1_3genE8ELNS1_11target_archE1030ELNS1_3gpuE2ELNS1_3repE0EEENS1_59segmented_radix_sort_warp_sort_small_config_static_selectorELNS0_4arch9wavefront6targetE0EEEvSK_,@function
_ZN7rocprim17ROCPRIM_400000_NS6detail17trampoline_kernelINS0_14default_configENS1_36segmented_radix_sort_config_selectorIslEEZNS1_25segmented_radix_sort_implIS3_Lb0EPKsPsPKlPlN2at6native12_GLOBAL__N_18offset_tEEE10hipError_tPvRmT1_PNSt15iterator_traitsISK_E10value_typeET2_T3_PNSL_ISQ_E10value_typeET4_jRbjT5_SW_jjP12ihipStream_tbEUlT_E1_NS1_11comp_targetILNS1_3genE8ELNS1_11target_archE1030ELNS1_3gpuE2ELNS1_3repE0EEENS1_59segmented_radix_sort_warp_sort_small_config_static_selectorELNS0_4arch9wavefront6targetE0EEEvSK_: ; @_ZN7rocprim17ROCPRIM_400000_NS6detail17trampoline_kernelINS0_14default_configENS1_36segmented_radix_sort_config_selectorIslEEZNS1_25segmented_radix_sort_implIS3_Lb0EPKsPsPKlPlN2at6native12_GLOBAL__N_18offset_tEEE10hipError_tPvRmT1_PNSt15iterator_traitsISK_E10value_typeET2_T3_PNSL_ISQ_E10value_typeET4_jRbjT5_SW_jjP12ihipStream_tbEUlT_E1_NS1_11comp_targetILNS1_3genE8ELNS1_11target_archE1030ELNS1_3gpuE2ELNS1_3repE0EEENS1_59segmented_radix_sort_warp_sort_small_config_static_selectorELNS0_4arch9wavefront6targetE0EEEvSK_
; %bb.0:
	.section	.rodata,"a",@progbits
	.p2align	6, 0x0
	.amdhsa_kernel _ZN7rocprim17ROCPRIM_400000_NS6detail17trampoline_kernelINS0_14default_configENS1_36segmented_radix_sort_config_selectorIslEEZNS1_25segmented_radix_sort_implIS3_Lb0EPKsPsPKlPlN2at6native12_GLOBAL__N_18offset_tEEE10hipError_tPvRmT1_PNSt15iterator_traitsISK_E10value_typeET2_T3_PNSL_ISQ_E10value_typeET4_jRbjT5_SW_jjP12ihipStream_tbEUlT_E1_NS1_11comp_targetILNS1_3genE8ELNS1_11target_archE1030ELNS1_3gpuE2ELNS1_3repE0EEENS1_59segmented_radix_sort_warp_sort_small_config_static_selectorELNS0_4arch9wavefront6targetE0EEEvSK_
		.amdhsa_group_segment_fixed_size 0
		.amdhsa_private_segment_fixed_size 0
		.amdhsa_kernarg_size 88
		.amdhsa_user_sgpr_count 15
		.amdhsa_user_sgpr_dispatch_ptr 0
		.amdhsa_user_sgpr_queue_ptr 0
		.amdhsa_user_sgpr_kernarg_segment_ptr 1
		.amdhsa_user_sgpr_dispatch_id 0
		.amdhsa_user_sgpr_private_segment_size 0
		.amdhsa_wavefront_size32 1
		.amdhsa_uses_dynamic_stack 0
		.amdhsa_enable_private_segment 0
		.amdhsa_system_sgpr_workgroup_id_x 1
		.amdhsa_system_sgpr_workgroup_id_y 0
		.amdhsa_system_sgpr_workgroup_id_z 0
		.amdhsa_system_sgpr_workgroup_info 0
		.amdhsa_system_vgpr_workitem_id 0
		.amdhsa_next_free_vgpr 1
		.amdhsa_next_free_sgpr 1
		.amdhsa_reserve_vcc 0
		.amdhsa_float_round_mode_32 0
		.amdhsa_float_round_mode_16_64 0
		.amdhsa_float_denorm_mode_32 3
		.amdhsa_float_denorm_mode_16_64 3
		.amdhsa_dx10_clamp 1
		.amdhsa_ieee_mode 1
		.amdhsa_fp16_overflow 0
		.amdhsa_workgroup_processor_mode 1
		.amdhsa_memory_ordered 1
		.amdhsa_forward_progress 0
		.amdhsa_shared_vgpr_count 0
		.amdhsa_exception_fp_ieee_invalid_op 0
		.amdhsa_exception_fp_denorm_src 0
		.amdhsa_exception_fp_ieee_div_zero 0
		.amdhsa_exception_fp_ieee_overflow 0
		.amdhsa_exception_fp_ieee_underflow 0
		.amdhsa_exception_fp_ieee_inexact 0
		.amdhsa_exception_int_div_zero 0
	.end_amdhsa_kernel
	.section	.text._ZN7rocprim17ROCPRIM_400000_NS6detail17trampoline_kernelINS0_14default_configENS1_36segmented_radix_sort_config_selectorIslEEZNS1_25segmented_radix_sort_implIS3_Lb0EPKsPsPKlPlN2at6native12_GLOBAL__N_18offset_tEEE10hipError_tPvRmT1_PNSt15iterator_traitsISK_E10value_typeET2_T3_PNSL_ISQ_E10value_typeET4_jRbjT5_SW_jjP12ihipStream_tbEUlT_E1_NS1_11comp_targetILNS1_3genE8ELNS1_11target_archE1030ELNS1_3gpuE2ELNS1_3repE0EEENS1_59segmented_radix_sort_warp_sort_small_config_static_selectorELNS0_4arch9wavefront6targetE0EEEvSK_,"axG",@progbits,_ZN7rocprim17ROCPRIM_400000_NS6detail17trampoline_kernelINS0_14default_configENS1_36segmented_radix_sort_config_selectorIslEEZNS1_25segmented_radix_sort_implIS3_Lb0EPKsPsPKlPlN2at6native12_GLOBAL__N_18offset_tEEE10hipError_tPvRmT1_PNSt15iterator_traitsISK_E10value_typeET2_T3_PNSL_ISQ_E10value_typeET4_jRbjT5_SW_jjP12ihipStream_tbEUlT_E1_NS1_11comp_targetILNS1_3genE8ELNS1_11target_archE1030ELNS1_3gpuE2ELNS1_3repE0EEENS1_59segmented_radix_sort_warp_sort_small_config_static_selectorELNS0_4arch9wavefront6targetE0EEEvSK_,comdat
.Lfunc_end1043:
	.size	_ZN7rocprim17ROCPRIM_400000_NS6detail17trampoline_kernelINS0_14default_configENS1_36segmented_radix_sort_config_selectorIslEEZNS1_25segmented_radix_sort_implIS3_Lb0EPKsPsPKlPlN2at6native12_GLOBAL__N_18offset_tEEE10hipError_tPvRmT1_PNSt15iterator_traitsISK_E10value_typeET2_T3_PNSL_ISQ_E10value_typeET4_jRbjT5_SW_jjP12ihipStream_tbEUlT_E1_NS1_11comp_targetILNS1_3genE8ELNS1_11target_archE1030ELNS1_3gpuE2ELNS1_3repE0EEENS1_59segmented_radix_sort_warp_sort_small_config_static_selectorELNS0_4arch9wavefront6targetE0EEEvSK_, .Lfunc_end1043-_ZN7rocprim17ROCPRIM_400000_NS6detail17trampoline_kernelINS0_14default_configENS1_36segmented_radix_sort_config_selectorIslEEZNS1_25segmented_radix_sort_implIS3_Lb0EPKsPsPKlPlN2at6native12_GLOBAL__N_18offset_tEEE10hipError_tPvRmT1_PNSt15iterator_traitsISK_E10value_typeET2_T3_PNSL_ISQ_E10value_typeET4_jRbjT5_SW_jjP12ihipStream_tbEUlT_E1_NS1_11comp_targetILNS1_3genE8ELNS1_11target_archE1030ELNS1_3gpuE2ELNS1_3repE0EEENS1_59segmented_radix_sort_warp_sort_small_config_static_selectorELNS0_4arch9wavefront6targetE0EEEvSK_
                                        ; -- End function
	.section	.AMDGPU.csdata,"",@progbits
; Kernel info:
; codeLenInByte = 0
; NumSgprs: 0
; NumVgprs: 0
; ScratchSize: 0
; MemoryBound: 0
; FloatMode: 240
; IeeeMode: 1
; LDSByteSize: 0 bytes/workgroup (compile time only)
; SGPRBlocks: 0
; VGPRBlocks: 0
; NumSGPRsForWavesPerEU: 1
; NumVGPRsForWavesPerEU: 1
; Occupancy: 16
; WaveLimiterHint : 0
; COMPUTE_PGM_RSRC2:SCRATCH_EN: 0
; COMPUTE_PGM_RSRC2:USER_SGPR: 15
; COMPUTE_PGM_RSRC2:TRAP_HANDLER: 0
; COMPUTE_PGM_RSRC2:TGID_X_EN: 1
; COMPUTE_PGM_RSRC2:TGID_Y_EN: 0
; COMPUTE_PGM_RSRC2:TGID_Z_EN: 0
; COMPUTE_PGM_RSRC2:TIDIG_COMP_CNT: 0
	.section	.text._ZN7rocprim17ROCPRIM_400000_NS6detail17trampoline_kernelINS0_14default_configENS1_36segmented_radix_sort_config_selectorIslEEZNS1_25segmented_radix_sort_implIS3_Lb0EPKsPsPKlPlN2at6native12_GLOBAL__N_18offset_tEEE10hipError_tPvRmT1_PNSt15iterator_traitsISK_E10value_typeET2_T3_PNSL_ISQ_E10value_typeET4_jRbjT5_SW_jjP12ihipStream_tbEUlT_E2_NS1_11comp_targetILNS1_3genE0ELNS1_11target_archE4294967295ELNS1_3gpuE0ELNS1_3repE0EEENS1_30default_config_static_selectorELNS0_4arch9wavefront6targetE0EEEvSK_,"axG",@progbits,_ZN7rocprim17ROCPRIM_400000_NS6detail17trampoline_kernelINS0_14default_configENS1_36segmented_radix_sort_config_selectorIslEEZNS1_25segmented_radix_sort_implIS3_Lb0EPKsPsPKlPlN2at6native12_GLOBAL__N_18offset_tEEE10hipError_tPvRmT1_PNSt15iterator_traitsISK_E10value_typeET2_T3_PNSL_ISQ_E10value_typeET4_jRbjT5_SW_jjP12ihipStream_tbEUlT_E2_NS1_11comp_targetILNS1_3genE0ELNS1_11target_archE4294967295ELNS1_3gpuE0ELNS1_3repE0EEENS1_30default_config_static_selectorELNS0_4arch9wavefront6targetE0EEEvSK_,comdat
	.globl	_ZN7rocprim17ROCPRIM_400000_NS6detail17trampoline_kernelINS0_14default_configENS1_36segmented_radix_sort_config_selectorIslEEZNS1_25segmented_radix_sort_implIS3_Lb0EPKsPsPKlPlN2at6native12_GLOBAL__N_18offset_tEEE10hipError_tPvRmT1_PNSt15iterator_traitsISK_E10value_typeET2_T3_PNSL_ISQ_E10value_typeET4_jRbjT5_SW_jjP12ihipStream_tbEUlT_E2_NS1_11comp_targetILNS1_3genE0ELNS1_11target_archE4294967295ELNS1_3gpuE0ELNS1_3repE0EEENS1_30default_config_static_selectorELNS0_4arch9wavefront6targetE0EEEvSK_ ; -- Begin function _ZN7rocprim17ROCPRIM_400000_NS6detail17trampoline_kernelINS0_14default_configENS1_36segmented_radix_sort_config_selectorIslEEZNS1_25segmented_radix_sort_implIS3_Lb0EPKsPsPKlPlN2at6native12_GLOBAL__N_18offset_tEEE10hipError_tPvRmT1_PNSt15iterator_traitsISK_E10value_typeET2_T3_PNSL_ISQ_E10value_typeET4_jRbjT5_SW_jjP12ihipStream_tbEUlT_E2_NS1_11comp_targetILNS1_3genE0ELNS1_11target_archE4294967295ELNS1_3gpuE0ELNS1_3repE0EEENS1_30default_config_static_selectorELNS0_4arch9wavefront6targetE0EEEvSK_
	.p2align	8
	.type	_ZN7rocprim17ROCPRIM_400000_NS6detail17trampoline_kernelINS0_14default_configENS1_36segmented_radix_sort_config_selectorIslEEZNS1_25segmented_radix_sort_implIS3_Lb0EPKsPsPKlPlN2at6native12_GLOBAL__N_18offset_tEEE10hipError_tPvRmT1_PNSt15iterator_traitsISK_E10value_typeET2_T3_PNSL_ISQ_E10value_typeET4_jRbjT5_SW_jjP12ihipStream_tbEUlT_E2_NS1_11comp_targetILNS1_3genE0ELNS1_11target_archE4294967295ELNS1_3gpuE0ELNS1_3repE0EEENS1_30default_config_static_selectorELNS0_4arch9wavefront6targetE0EEEvSK_,@function
_ZN7rocprim17ROCPRIM_400000_NS6detail17trampoline_kernelINS0_14default_configENS1_36segmented_radix_sort_config_selectorIslEEZNS1_25segmented_radix_sort_implIS3_Lb0EPKsPsPKlPlN2at6native12_GLOBAL__N_18offset_tEEE10hipError_tPvRmT1_PNSt15iterator_traitsISK_E10value_typeET2_T3_PNSL_ISQ_E10value_typeET4_jRbjT5_SW_jjP12ihipStream_tbEUlT_E2_NS1_11comp_targetILNS1_3genE0ELNS1_11target_archE4294967295ELNS1_3gpuE0ELNS1_3repE0EEENS1_30default_config_static_selectorELNS0_4arch9wavefront6targetE0EEEvSK_: ; @_ZN7rocprim17ROCPRIM_400000_NS6detail17trampoline_kernelINS0_14default_configENS1_36segmented_radix_sort_config_selectorIslEEZNS1_25segmented_radix_sort_implIS3_Lb0EPKsPsPKlPlN2at6native12_GLOBAL__N_18offset_tEEE10hipError_tPvRmT1_PNSt15iterator_traitsISK_E10value_typeET2_T3_PNSL_ISQ_E10value_typeET4_jRbjT5_SW_jjP12ihipStream_tbEUlT_E2_NS1_11comp_targetILNS1_3genE0ELNS1_11target_archE4294967295ELNS1_3gpuE0ELNS1_3repE0EEENS1_30default_config_static_selectorELNS0_4arch9wavefront6targetE0EEEvSK_
; %bb.0:
	.section	.rodata,"a",@progbits
	.p2align	6, 0x0
	.amdhsa_kernel _ZN7rocprim17ROCPRIM_400000_NS6detail17trampoline_kernelINS0_14default_configENS1_36segmented_radix_sort_config_selectorIslEEZNS1_25segmented_radix_sort_implIS3_Lb0EPKsPsPKlPlN2at6native12_GLOBAL__N_18offset_tEEE10hipError_tPvRmT1_PNSt15iterator_traitsISK_E10value_typeET2_T3_PNSL_ISQ_E10value_typeET4_jRbjT5_SW_jjP12ihipStream_tbEUlT_E2_NS1_11comp_targetILNS1_3genE0ELNS1_11target_archE4294967295ELNS1_3gpuE0ELNS1_3repE0EEENS1_30default_config_static_selectorELNS0_4arch9wavefront6targetE0EEEvSK_
		.amdhsa_group_segment_fixed_size 0
		.amdhsa_private_segment_fixed_size 0
		.amdhsa_kernarg_size 80
		.amdhsa_user_sgpr_count 15
		.amdhsa_user_sgpr_dispatch_ptr 0
		.amdhsa_user_sgpr_queue_ptr 0
		.amdhsa_user_sgpr_kernarg_segment_ptr 1
		.amdhsa_user_sgpr_dispatch_id 0
		.amdhsa_user_sgpr_private_segment_size 0
		.amdhsa_wavefront_size32 1
		.amdhsa_uses_dynamic_stack 0
		.amdhsa_enable_private_segment 0
		.amdhsa_system_sgpr_workgroup_id_x 1
		.amdhsa_system_sgpr_workgroup_id_y 0
		.amdhsa_system_sgpr_workgroup_id_z 0
		.amdhsa_system_sgpr_workgroup_info 0
		.amdhsa_system_vgpr_workitem_id 0
		.amdhsa_next_free_vgpr 1
		.amdhsa_next_free_sgpr 1
		.amdhsa_reserve_vcc 0
		.amdhsa_float_round_mode_32 0
		.amdhsa_float_round_mode_16_64 0
		.amdhsa_float_denorm_mode_32 3
		.amdhsa_float_denorm_mode_16_64 3
		.amdhsa_dx10_clamp 1
		.amdhsa_ieee_mode 1
		.amdhsa_fp16_overflow 0
		.amdhsa_workgroup_processor_mode 1
		.amdhsa_memory_ordered 1
		.amdhsa_forward_progress 0
		.amdhsa_shared_vgpr_count 0
		.amdhsa_exception_fp_ieee_invalid_op 0
		.amdhsa_exception_fp_denorm_src 0
		.amdhsa_exception_fp_ieee_div_zero 0
		.amdhsa_exception_fp_ieee_overflow 0
		.amdhsa_exception_fp_ieee_underflow 0
		.amdhsa_exception_fp_ieee_inexact 0
		.amdhsa_exception_int_div_zero 0
	.end_amdhsa_kernel
	.section	.text._ZN7rocprim17ROCPRIM_400000_NS6detail17trampoline_kernelINS0_14default_configENS1_36segmented_radix_sort_config_selectorIslEEZNS1_25segmented_radix_sort_implIS3_Lb0EPKsPsPKlPlN2at6native12_GLOBAL__N_18offset_tEEE10hipError_tPvRmT1_PNSt15iterator_traitsISK_E10value_typeET2_T3_PNSL_ISQ_E10value_typeET4_jRbjT5_SW_jjP12ihipStream_tbEUlT_E2_NS1_11comp_targetILNS1_3genE0ELNS1_11target_archE4294967295ELNS1_3gpuE0ELNS1_3repE0EEENS1_30default_config_static_selectorELNS0_4arch9wavefront6targetE0EEEvSK_,"axG",@progbits,_ZN7rocprim17ROCPRIM_400000_NS6detail17trampoline_kernelINS0_14default_configENS1_36segmented_radix_sort_config_selectorIslEEZNS1_25segmented_radix_sort_implIS3_Lb0EPKsPsPKlPlN2at6native12_GLOBAL__N_18offset_tEEE10hipError_tPvRmT1_PNSt15iterator_traitsISK_E10value_typeET2_T3_PNSL_ISQ_E10value_typeET4_jRbjT5_SW_jjP12ihipStream_tbEUlT_E2_NS1_11comp_targetILNS1_3genE0ELNS1_11target_archE4294967295ELNS1_3gpuE0ELNS1_3repE0EEENS1_30default_config_static_selectorELNS0_4arch9wavefront6targetE0EEEvSK_,comdat
.Lfunc_end1044:
	.size	_ZN7rocprim17ROCPRIM_400000_NS6detail17trampoline_kernelINS0_14default_configENS1_36segmented_radix_sort_config_selectorIslEEZNS1_25segmented_radix_sort_implIS3_Lb0EPKsPsPKlPlN2at6native12_GLOBAL__N_18offset_tEEE10hipError_tPvRmT1_PNSt15iterator_traitsISK_E10value_typeET2_T3_PNSL_ISQ_E10value_typeET4_jRbjT5_SW_jjP12ihipStream_tbEUlT_E2_NS1_11comp_targetILNS1_3genE0ELNS1_11target_archE4294967295ELNS1_3gpuE0ELNS1_3repE0EEENS1_30default_config_static_selectorELNS0_4arch9wavefront6targetE0EEEvSK_, .Lfunc_end1044-_ZN7rocprim17ROCPRIM_400000_NS6detail17trampoline_kernelINS0_14default_configENS1_36segmented_radix_sort_config_selectorIslEEZNS1_25segmented_radix_sort_implIS3_Lb0EPKsPsPKlPlN2at6native12_GLOBAL__N_18offset_tEEE10hipError_tPvRmT1_PNSt15iterator_traitsISK_E10value_typeET2_T3_PNSL_ISQ_E10value_typeET4_jRbjT5_SW_jjP12ihipStream_tbEUlT_E2_NS1_11comp_targetILNS1_3genE0ELNS1_11target_archE4294967295ELNS1_3gpuE0ELNS1_3repE0EEENS1_30default_config_static_selectorELNS0_4arch9wavefront6targetE0EEEvSK_
                                        ; -- End function
	.section	.AMDGPU.csdata,"",@progbits
; Kernel info:
; codeLenInByte = 0
; NumSgprs: 0
; NumVgprs: 0
; ScratchSize: 0
; MemoryBound: 0
; FloatMode: 240
; IeeeMode: 1
; LDSByteSize: 0 bytes/workgroup (compile time only)
; SGPRBlocks: 0
; VGPRBlocks: 0
; NumSGPRsForWavesPerEU: 1
; NumVGPRsForWavesPerEU: 1
; Occupancy: 16
; WaveLimiterHint : 0
; COMPUTE_PGM_RSRC2:SCRATCH_EN: 0
; COMPUTE_PGM_RSRC2:USER_SGPR: 15
; COMPUTE_PGM_RSRC2:TRAP_HANDLER: 0
; COMPUTE_PGM_RSRC2:TGID_X_EN: 1
; COMPUTE_PGM_RSRC2:TGID_Y_EN: 0
; COMPUTE_PGM_RSRC2:TGID_Z_EN: 0
; COMPUTE_PGM_RSRC2:TIDIG_COMP_CNT: 0
	.section	.text._ZN7rocprim17ROCPRIM_400000_NS6detail17trampoline_kernelINS0_14default_configENS1_36segmented_radix_sort_config_selectorIslEEZNS1_25segmented_radix_sort_implIS3_Lb0EPKsPsPKlPlN2at6native12_GLOBAL__N_18offset_tEEE10hipError_tPvRmT1_PNSt15iterator_traitsISK_E10value_typeET2_T3_PNSL_ISQ_E10value_typeET4_jRbjT5_SW_jjP12ihipStream_tbEUlT_E2_NS1_11comp_targetILNS1_3genE5ELNS1_11target_archE942ELNS1_3gpuE9ELNS1_3repE0EEENS1_30default_config_static_selectorELNS0_4arch9wavefront6targetE0EEEvSK_,"axG",@progbits,_ZN7rocprim17ROCPRIM_400000_NS6detail17trampoline_kernelINS0_14default_configENS1_36segmented_radix_sort_config_selectorIslEEZNS1_25segmented_radix_sort_implIS3_Lb0EPKsPsPKlPlN2at6native12_GLOBAL__N_18offset_tEEE10hipError_tPvRmT1_PNSt15iterator_traitsISK_E10value_typeET2_T3_PNSL_ISQ_E10value_typeET4_jRbjT5_SW_jjP12ihipStream_tbEUlT_E2_NS1_11comp_targetILNS1_3genE5ELNS1_11target_archE942ELNS1_3gpuE9ELNS1_3repE0EEENS1_30default_config_static_selectorELNS0_4arch9wavefront6targetE0EEEvSK_,comdat
	.globl	_ZN7rocprim17ROCPRIM_400000_NS6detail17trampoline_kernelINS0_14default_configENS1_36segmented_radix_sort_config_selectorIslEEZNS1_25segmented_radix_sort_implIS3_Lb0EPKsPsPKlPlN2at6native12_GLOBAL__N_18offset_tEEE10hipError_tPvRmT1_PNSt15iterator_traitsISK_E10value_typeET2_T3_PNSL_ISQ_E10value_typeET4_jRbjT5_SW_jjP12ihipStream_tbEUlT_E2_NS1_11comp_targetILNS1_3genE5ELNS1_11target_archE942ELNS1_3gpuE9ELNS1_3repE0EEENS1_30default_config_static_selectorELNS0_4arch9wavefront6targetE0EEEvSK_ ; -- Begin function _ZN7rocprim17ROCPRIM_400000_NS6detail17trampoline_kernelINS0_14default_configENS1_36segmented_radix_sort_config_selectorIslEEZNS1_25segmented_radix_sort_implIS3_Lb0EPKsPsPKlPlN2at6native12_GLOBAL__N_18offset_tEEE10hipError_tPvRmT1_PNSt15iterator_traitsISK_E10value_typeET2_T3_PNSL_ISQ_E10value_typeET4_jRbjT5_SW_jjP12ihipStream_tbEUlT_E2_NS1_11comp_targetILNS1_3genE5ELNS1_11target_archE942ELNS1_3gpuE9ELNS1_3repE0EEENS1_30default_config_static_selectorELNS0_4arch9wavefront6targetE0EEEvSK_
	.p2align	8
	.type	_ZN7rocprim17ROCPRIM_400000_NS6detail17trampoline_kernelINS0_14default_configENS1_36segmented_radix_sort_config_selectorIslEEZNS1_25segmented_radix_sort_implIS3_Lb0EPKsPsPKlPlN2at6native12_GLOBAL__N_18offset_tEEE10hipError_tPvRmT1_PNSt15iterator_traitsISK_E10value_typeET2_T3_PNSL_ISQ_E10value_typeET4_jRbjT5_SW_jjP12ihipStream_tbEUlT_E2_NS1_11comp_targetILNS1_3genE5ELNS1_11target_archE942ELNS1_3gpuE9ELNS1_3repE0EEENS1_30default_config_static_selectorELNS0_4arch9wavefront6targetE0EEEvSK_,@function
_ZN7rocprim17ROCPRIM_400000_NS6detail17trampoline_kernelINS0_14default_configENS1_36segmented_radix_sort_config_selectorIslEEZNS1_25segmented_radix_sort_implIS3_Lb0EPKsPsPKlPlN2at6native12_GLOBAL__N_18offset_tEEE10hipError_tPvRmT1_PNSt15iterator_traitsISK_E10value_typeET2_T3_PNSL_ISQ_E10value_typeET4_jRbjT5_SW_jjP12ihipStream_tbEUlT_E2_NS1_11comp_targetILNS1_3genE5ELNS1_11target_archE942ELNS1_3gpuE9ELNS1_3repE0EEENS1_30default_config_static_selectorELNS0_4arch9wavefront6targetE0EEEvSK_: ; @_ZN7rocprim17ROCPRIM_400000_NS6detail17trampoline_kernelINS0_14default_configENS1_36segmented_radix_sort_config_selectorIslEEZNS1_25segmented_radix_sort_implIS3_Lb0EPKsPsPKlPlN2at6native12_GLOBAL__N_18offset_tEEE10hipError_tPvRmT1_PNSt15iterator_traitsISK_E10value_typeET2_T3_PNSL_ISQ_E10value_typeET4_jRbjT5_SW_jjP12ihipStream_tbEUlT_E2_NS1_11comp_targetILNS1_3genE5ELNS1_11target_archE942ELNS1_3gpuE9ELNS1_3repE0EEENS1_30default_config_static_selectorELNS0_4arch9wavefront6targetE0EEEvSK_
; %bb.0:
	.section	.rodata,"a",@progbits
	.p2align	6, 0x0
	.amdhsa_kernel _ZN7rocprim17ROCPRIM_400000_NS6detail17trampoline_kernelINS0_14default_configENS1_36segmented_radix_sort_config_selectorIslEEZNS1_25segmented_radix_sort_implIS3_Lb0EPKsPsPKlPlN2at6native12_GLOBAL__N_18offset_tEEE10hipError_tPvRmT1_PNSt15iterator_traitsISK_E10value_typeET2_T3_PNSL_ISQ_E10value_typeET4_jRbjT5_SW_jjP12ihipStream_tbEUlT_E2_NS1_11comp_targetILNS1_3genE5ELNS1_11target_archE942ELNS1_3gpuE9ELNS1_3repE0EEENS1_30default_config_static_selectorELNS0_4arch9wavefront6targetE0EEEvSK_
		.amdhsa_group_segment_fixed_size 0
		.amdhsa_private_segment_fixed_size 0
		.amdhsa_kernarg_size 80
		.amdhsa_user_sgpr_count 15
		.amdhsa_user_sgpr_dispatch_ptr 0
		.amdhsa_user_sgpr_queue_ptr 0
		.amdhsa_user_sgpr_kernarg_segment_ptr 1
		.amdhsa_user_sgpr_dispatch_id 0
		.amdhsa_user_sgpr_private_segment_size 0
		.amdhsa_wavefront_size32 1
		.amdhsa_uses_dynamic_stack 0
		.amdhsa_enable_private_segment 0
		.amdhsa_system_sgpr_workgroup_id_x 1
		.amdhsa_system_sgpr_workgroup_id_y 0
		.amdhsa_system_sgpr_workgroup_id_z 0
		.amdhsa_system_sgpr_workgroup_info 0
		.amdhsa_system_vgpr_workitem_id 0
		.amdhsa_next_free_vgpr 1
		.amdhsa_next_free_sgpr 1
		.amdhsa_reserve_vcc 0
		.amdhsa_float_round_mode_32 0
		.amdhsa_float_round_mode_16_64 0
		.amdhsa_float_denorm_mode_32 3
		.amdhsa_float_denorm_mode_16_64 3
		.amdhsa_dx10_clamp 1
		.amdhsa_ieee_mode 1
		.amdhsa_fp16_overflow 0
		.amdhsa_workgroup_processor_mode 1
		.amdhsa_memory_ordered 1
		.amdhsa_forward_progress 0
		.amdhsa_shared_vgpr_count 0
		.amdhsa_exception_fp_ieee_invalid_op 0
		.amdhsa_exception_fp_denorm_src 0
		.amdhsa_exception_fp_ieee_div_zero 0
		.amdhsa_exception_fp_ieee_overflow 0
		.amdhsa_exception_fp_ieee_underflow 0
		.amdhsa_exception_fp_ieee_inexact 0
		.amdhsa_exception_int_div_zero 0
	.end_amdhsa_kernel
	.section	.text._ZN7rocprim17ROCPRIM_400000_NS6detail17trampoline_kernelINS0_14default_configENS1_36segmented_radix_sort_config_selectorIslEEZNS1_25segmented_radix_sort_implIS3_Lb0EPKsPsPKlPlN2at6native12_GLOBAL__N_18offset_tEEE10hipError_tPvRmT1_PNSt15iterator_traitsISK_E10value_typeET2_T3_PNSL_ISQ_E10value_typeET4_jRbjT5_SW_jjP12ihipStream_tbEUlT_E2_NS1_11comp_targetILNS1_3genE5ELNS1_11target_archE942ELNS1_3gpuE9ELNS1_3repE0EEENS1_30default_config_static_selectorELNS0_4arch9wavefront6targetE0EEEvSK_,"axG",@progbits,_ZN7rocprim17ROCPRIM_400000_NS6detail17trampoline_kernelINS0_14default_configENS1_36segmented_radix_sort_config_selectorIslEEZNS1_25segmented_radix_sort_implIS3_Lb0EPKsPsPKlPlN2at6native12_GLOBAL__N_18offset_tEEE10hipError_tPvRmT1_PNSt15iterator_traitsISK_E10value_typeET2_T3_PNSL_ISQ_E10value_typeET4_jRbjT5_SW_jjP12ihipStream_tbEUlT_E2_NS1_11comp_targetILNS1_3genE5ELNS1_11target_archE942ELNS1_3gpuE9ELNS1_3repE0EEENS1_30default_config_static_selectorELNS0_4arch9wavefront6targetE0EEEvSK_,comdat
.Lfunc_end1045:
	.size	_ZN7rocprim17ROCPRIM_400000_NS6detail17trampoline_kernelINS0_14default_configENS1_36segmented_radix_sort_config_selectorIslEEZNS1_25segmented_radix_sort_implIS3_Lb0EPKsPsPKlPlN2at6native12_GLOBAL__N_18offset_tEEE10hipError_tPvRmT1_PNSt15iterator_traitsISK_E10value_typeET2_T3_PNSL_ISQ_E10value_typeET4_jRbjT5_SW_jjP12ihipStream_tbEUlT_E2_NS1_11comp_targetILNS1_3genE5ELNS1_11target_archE942ELNS1_3gpuE9ELNS1_3repE0EEENS1_30default_config_static_selectorELNS0_4arch9wavefront6targetE0EEEvSK_, .Lfunc_end1045-_ZN7rocprim17ROCPRIM_400000_NS6detail17trampoline_kernelINS0_14default_configENS1_36segmented_radix_sort_config_selectorIslEEZNS1_25segmented_radix_sort_implIS3_Lb0EPKsPsPKlPlN2at6native12_GLOBAL__N_18offset_tEEE10hipError_tPvRmT1_PNSt15iterator_traitsISK_E10value_typeET2_T3_PNSL_ISQ_E10value_typeET4_jRbjT5_SW_jjP12ihipStream_tbEUlT_E2_NS1_11comp_targetILNS1_3genE5ELNS1_11target_archE942ELNS1_3gpuE9ELNS1_3repE0EEENS1_30default_config_static_selectorELNS0_4arch9wavefront6targetE0EEEvSK_
                                        ; -- End function
	.section	.AMDGPU.csdata,"",@progbits
; Kernel info:
; codeLenInByte = 0
; NumSgprs: 0
; NumVgprs: 0
; ScratchSize: 0
; MemoryBound: 0
; FloatMode: 240
; IeeeMode: 1
; LDSByteSize: 0 bytes/workgroup (compile time only)
; SGPRBlocks: 0
; VGPRBlocks: 0
; NumSGPRsForWavesPerEU: 1
; NumVGPRsForWavesPerEU: 1
; Occupancy: 16
; WaveLimiterHint : 0
; COMPUTE_PGM_RSRC2:SCRATCH_EN: 0
; COMPUTE_PGM_RSRC2:USER_SGPR: 15
; COMPUTE_PGM_RSRC2:TRAP_HANDLER: 0
; COMPUTE_PGM_RSRC2:TGID_X_EN: 1
; COMPUTE_PGM_RSRC2:TGID_Y_EN: 0
; COMPUTE_PGM_RSRC2:TGID_Z_EN: 0
; COMPUTE_PGM_RSRC2:TIDIG_COMP_CNT: 0
	.section	.text._ZN7rocprim17ROCPRIM_400000_NS6detail17trampoline_kernelINS0_14default_configENS1_36segmented_radix_sort_config_selectorIslEEZNS1_25segmented_radix_sort_implIS3_Lb0EPKsPsPKlPlN2at6native12_GLOBAL__N_18offset_tEEE10hipError_tPvRmT1_PNSt15iterator_traitsISK_E10value_typeET2_T3_PNSL_ISQ_E10value_typeET4_jRbjT5_SW_jjP12ihipStream_tbEUlT_E2_NS1_11comp_targetILNS1_3genE4ELNS1_11target_archE910ELNS1_3gpuE8ELNS1_3repE0EEENS1_30default_config_static_selectorELNS0_4arch9wavefront6targetE0EEEvSK_,"axG",@progbits,_ZN7rocprim17ROCPRIM_400000_NS6detail17trampoline_kernelINS0_14default_configENS1_36segmented_radix_sort_config_selectorIslEEZNS1_25segmented_radix_sort_implIS3_Lb0EPKsPsPKlPlN2at6native12_GLOBAL__N_18offset_tEEE10hipError_tPvRmT1_PNSt15iterator_traitsISK_E10value_typeET2_T3_PNSL_ISQ_E10value_typeET4_jRbjT5_SW_jjP12ihipStream_tbEUlT_E2_NS1_11comp_targetILNS1_3genE4ELNS1_11target_archE910ELNS1_3gpuE8ELNS1_3repE0EEENS1_30default_config_static_selectorELNS0_4arch9wavefront6targetE0EEEvSK_,comdat
	.globl	_ZN7rocprim17ROCPRIM_400000_NS6detail17trampoline_kernelINS0_14default_configENS1_36segmented_radix_sort_config_selectorIslEEZNS1_25segmented_radix_sort_implIS3_Lb0EPKsPsPKlPlN2at6native12_GLOBAL__N_18offset_tEEE10hipError_tPvRmT1_PNSt15iterator_traitsISK_E10value_typeET2_T3_PNSL_ISQ_E10value_typeET4_jRbjT5_SW_jjP12ihipStream_tbEUlT_E2_NS1_11comp_targetILNS1_3genE4ELNS1_11target_archE910ELNS1_3gpuE8ELNS1_3repE0EEENS1_30default_config_static_selectorELNS0_4arch9wavefront6targetE0EEEvSK_ ; -- Begin function _ZN7rocprim17ROCPRIM_400000_NS6detail17trampoline_kernelINS0_14default_configENS1_36segmented_radix_sort_config_selectorIslEEZNS1_25segmented_radix_sort_implIS3_Lb0EPKsPsPKlPlN2at6native12_GLOBAL__N_18offset_tEEE10hipError_tPvRmT1_PNSt15iterator_traitsISK_E10value_typeET2_T3_PNSL_ISQ_E10value_typeET4_jRbjT5_SW_jjP12ihipStream_tbEUlT_E2_NS1_11comp_targetILNS1_3genE4ELNS1_11target_archE910ELNS1_3gpuE8ELNS1_3repE0EEENS1_30default_config_static_selectorELNS0_4arch9wavefront6targetE0EEEvSK_
	.p2align	8
	.type	_ZN7rocprim17ROCPRIM_400000_NS6detail17trampoline_kernelINS0_14default_configENS1_36segmented_radix_sort_config_selectorIslEEZNS1_25segmented_radix_sort_implIS3_Lb0EPKsPsPKlPlN2at6native12_GLOBAL__N_18offset_tEEE10hipError_tPvRmT1_PNSt15iterator_traitsISK_E10value_typeET2_T3_PNSL_ISQ_E10value_typeET4_jRbjT5_SW_jjP12ihipStream_tbEUlT_E2_NS1_11comp_targetILNS1_3genE4ELNS1_11target_archE910ELNS1_3gpuE8ELNS1_3repE0EEENS1_30default_config_static_selectorELNS0_4arch9wavefront6targetE0EEEvSK_,@function
_ZN7rocprim17ROCPRIM_400000_NS6detail17trampoline_kernelINS0_14default_configENS1_36segmented_radix_sort_config_selectorIslEEZNS1_25segmented_radix_sort_implIS3_Lb0EPKsPsPKlPlN2at6native12_GLOBAL__N_18offset_tEEE10hipError_tPvRmT1_PNSt15iterator_traitsISK_E10value_typeET2_T3_PNSL_ISQ_E10value_typeET4_jRbjT5_SW_jjP12ihipStream_tbEUlT_E2_NS1_11comp_targetILNS1_3genE4ELNS1_11target_archE910ELNS1_3gpuE8ELNS1_3repE0EEENS1_30default_config_static_selectorELNS0_4arch9wavefront6targetE0EEEvSK_: ; @_ZN7rocprim17ROCPRIM_400000_NS6detail17trampoline_kernelINS0_14default_configENS1_36segmented_radix_sort_config_selectorIslEEZNS1_25segmented_radix_sort_implIS3_Lb0EPKsPsPKlPlN2at6native12_GLOBAL__N_18offset_tEEE10hipError_tPvRmT1_PNSt15iterator_traitsISK_E10value_typeET2_T3_PNSL_ISQ_E10value_typeET4_jRbjT5_SW_jjP12ihipStream_tbEUlT_E2_NS1_11comp_targetILNS1_3genE4ELNS1_11target_archE910ELNS1_3gpuE8ELNS1_3repE0EEENS1_30default_config_static_selectorELNS0_4arch9wavefront6targetE0EEEvSK_
; %bb.0:
	.section	.rodata,"a",@progbits
	.p2align	6, 0x0
	.amdhsa_kernel _ZN7rocprim17ROCPRIM_400000_NS6detail17trampoline_kernelINS0_14default_configENS1_36segmented_radix_sort_config_selectorIslEEZNS1_25segmented_radix_sort_implIS3_Lb0EPKsPsPKlPlN2at6native12_GLOBAL__N_18offset_tEEE10hipError_tPvRmT1_PNSt15iterator_traitsISK_E10value_typeET2_T3_PNSL_ISQ_E10value_typeET4_jRbjT5_SW_jjP12ihipStream_tbEUlT_E2_NS1_11comp_targetILNS1_3genE4ELNS1_11target_archE910ELNS1_3gpuE8ELNS1_3repE0EEENS1_30default_config_static_selectorELNS0_4arch9wavefront6targetE0EEEvSK_
		.amdhsa_group_segment_fixed_size 0
		.amdhsa_private_segment_fixed_size 0
		.amdhsa_kernarg_size 80
		.amdhsa_user_sgpr_count 15
		.amdhsa_user_sgpr_dispatch_ptr 0
		.amdhsa_user_sgpr_queue_ptr 0
		.amdhsa_user_sgpr_kernarg_segment_ptr 1
		.amdhsa_user_sgpr_dispatch_id 0
		.amdhsa_user_sgpr_private_segment_size 0
		.amdhsa_wavefront_size32 1
		.amdhsa_uses_dynamic_stack 0
		.amdhsa_enable_private_segment 0
		.amdhsa_system_sgpr_workgroup_id_x 1
		.amdhsa_system_sgpr_workgroup_id_y 0
		.amdhsa_system_sgpr_workgroup_id_z 0
		.amdhsa_system_sgpr_workgroup_info 0
		.amdhsa_system_vgpr_workitem_id 0
		.amdhsa_next_free_vgpr 1
		.amdhsa_next_free_sgpr 1
		.amdhsa_reserve_vcc 0
		.amdhsa_float_round_mode_32 0
		.amdhsa_float_round_mode_16_64 0
		.amdhsa_float_denorm_mode_32 3
		.amdhsa_float_denorm_mode_16_64 3
		.amdhsa_dx10_clamp 1
		.amdhsa_ieee_mode 1
		.amdhsa_fp16_overflow 0
		.amdhsa_workgroup_processor_mode 1
		.amdhsa_memory_ordered 1
		.amdhsa_forward_progress 0
		.amdhsa_shared_vgpr_count 0
		.amdhsa_exception_fp_ieee_invalid_op 0
		.amdhsa_exception_fp_denorm_src 0
		.amdhsa_exception_fp_ieee_div_zero 0
		.amdhsa_exception_fp_ieee_overflow 0
		.amdhsa_exception_fp_ieee_underflow 0
		.amdhsa_exception_fp_ieee_inexact 0
		.amdhsa_exception_int_div_zero 0
	.end_amdhsa_kernel
	.section	.text._ZN7rocprim17ROCPRIM_400000_NS6detail17trampoline_kernelINS0_14default_configENS1_36segmented_radix_sort_config_selectorIslEEZNS1_25segmented_radix_sort_implIS3_Lb0EPKsPsPKlPlN2at6native12_GLOBAL__N_18offset_tEEE10hipError_tPvRmT1_PNSt15iterator_traitsISK_E10value_typeET2_T3_PNSL_ISQ_E10value_typeET4_jRbjT5_SW_jjP12ihipStream_tbEUlT_E2_NS1_11comp_targetILNS1_3genE4ELNS1_11target_archE910ELNS1_3gpuE8ELNS1_3repE0EEENS1_30default_config_static_selectorELNS0_4arch9wavefront6targetE0EEEvSK_,"axG",@progbits,_ZN7rocprim17ROCPRIM_400000_NS6detail17trampoline_kernelINS0_14default_configENS1_36segmented_radix_sort_config_selectorIslEEZNS1_25segmented_radix_sort_implIS3_Lb0EPKsPsPKlPlN2at6native12_GLOBAL__N_18offset_tEEE10hipError_tPvRmT1_PNSt15iterator_traitsISK_E10value_typeET2_T3_PNSL_ISQ_E10value_typeET4_jRbjT5_SW_jjP12ihipStream_tbEUlT_E2_NS1_11comp_targetILNS1_3genE4ELNS1_11target_archE910ELNS1_3gpuE8ELNS1_3repE0EEENS1_30default_config_static_selectorELNS0_4arch9wavefront6targetE0EEEvSK_,comdat
.Lfunc_end1046:
	.size	_ZN7rocprim17ROCPRIM_400000_NS6detail17trampoline_kernelINS0_14default_configENS1_36segmented_radix_sort_config_selectorIslEEZNS1_25segmented_radix_sort_implIS3_Lb0EPKsPsPKlPlN2at6native12_GLOBAL__N_18offset_tEEE10hipError_tPvRmT1_PNSt15iterator_traitsISK_E10value_typeET2_T3_PNSL_ISQ_E10value_typeET4_jRbjT5_SW_jjP12ihipStream_tbEUlT_E2_NS1_11comp_targetILNS1_3genE4ELNS1_11target_archE910ELNS1_3gpuE8ELNS1_3repE0EEENS1_30default_config_static_selectorELNS0_4arch9wavefront6targetE0EEEvSK_, .Lfunc_end1046-_ZN7rocprim17ROCPRIM_400000_NS6detail17trampoline_kernelINS0_14default_configENS1_36segmented_radix_sort_config_selectorIslEEZNS1_25segmented_radix_sort_implIS3_Lb0EPKsPsPKlPlN2at6native12_GLOBAL__N_18offset_tEEE10hipError_tPvRmT1_PNSt15iterator_traitsISK_E10value_typeET2_T3_PNSL_ISQ_E10value_typeET4_jRbjT5_SW_jjP12ihipStream_tbEUlT_E2_NS1_11comp_targetILNS1_3genE4ELNS1_11target_archE910ELNS1_3gpuE8ELNS1_3repE0EEENS1_30default_config_static_selectorELNS0_4arch9wavefront6targetE0EEEvSK_
                                        ; -- End function
	.section	.AMDGPU.csdata,"",@progbits
; Kernel info:
; codeLenInByte = 0
; NumSgprs: 0
; NumVgprs: 0
; ScratchSize: 0
; MemoryBound: 0
; FloatMode: 240
; IeeeMode: 1
; LDSByteSize: 0 bytes/workgroup (compile time only)
; SGPRBlocks: 0
; VGPRBlocks: 0
; NumSGPRsForWavesPerEU: 1
; NumVGPRsForWavesPerEU: 1
; Occupancy: 16
; WaveLimiterHint : 0
; COMPUTE_PGM_RSRC2:SCRATCH_EN: 0
; COMPUTE_PGM_RSRC2:USER_SGPR: 15
; COMPUTE_PGM_RSRC2:TRAP_HANDLER: 0
; COMPUTE_PGM_RSRC2:TGID_X_EN: 1
; COMPUTE_PGM_RSRC2:TGID_Y_EN: 0
; COMPUTE_PGM_RSRC2:TGID_Z_EN: 0
; COMPUTE_PGM_RSRC2:TIDIG_COMP_CNT: 0
	.section	.text._ZN7rocprim17ROCPRIM_400000_NS6detail17trampoline_kernelINS0_14default_configENS1_36segmented_radix_sort_config_selectorIslEEZNS1_25segmented_radix_sort_implIS3_Lb0EPKsPsPKlPlN2at6native12_GLOBAL__N_18offset_tEEE10hipError_tPvRmT1_PNSt15iterator_traitsISK_E10value_typeET2_T3_PNSL_ISQ_E10value_typeET4_jRbjT5_SW_jjP12ihipStream_tbEUlT_E2_NS1_11comp_targetILNS1_3genE3ELNS1_11target_archE908ELNS1_3gpuE7ELNS1_3repE0EEENS1_30default_config_static_selectorELNS0_4arch9wavefront6targetE0EEEvSK_,"axG",@progbits,_ZN7rocprim17ROCPRIM_400000_NS6detail17trampoline_kernelINS0_14default_configENS1_36segmented_radix_sort_config_selectorIslEEZNS1_25segmented_radix_sort_implIS3_Lb0EPKsPsPKlPlN2at6native12_GLOBAL__N_18offset_tEEE10hipError_tPvRmT1_PNSt15iterator_traitsISK_E10value_typeET2_T3_PNSL_ISQ_E10value_typeET4_jRbjT5_SW_jjP12ihipStream_tbEUlT_E2_NS1_11comp_targetILNS1_3genE3ELNS1_11target_archE908ELNS1_3gpuE7ELNS1_3repE0EEENS1_30default_config_static_selectorELNS0_4arch9wavefront6targetE0EEEvSK_,comdat
	.globl	_ZN7rocprim17ROCPRIM_400000_NS6detail17trampoline_kernelINS0_14default_configENS1_36segmented_radix_sort_config_selectorIslEEZNS1_25segmented_radix_sort_implIS3_Lb0EPKsPsPKlPlN2at6native12_GLOBAL__N_18offset_tEEE10hipError_tPvRmT1_PNSt15iterator_traitsISK_E10value_typeET2_T3_PNSL_ISQ_E10value_typeET4_jRbjT5_SW_jjP12ihipStream_tbEUlT_E2_NS1_11comp_targetILNS1_3genE3ELNS1_11target_archE908ELNS1_3gpuE7ELNS1_3repE0EEENS1_30default_config_static_selectorELNS0_4arch9wavefront6targetE0EEEvSK_ ; -- Begin function _ZN7rocprim17ROCPRIM_400000_NS6detail17trampoline_kernelINS0_14default_configENS1_36segmented_radix_sort_config_selectorIslEEZNS1_25segmented_radix_sort_implIS3_Lb0EPKsPsPKlPlN2at6native12_GLOBAL__N_18offset_tEEE10hipError_tPvRmT1_PNSt15iterator_traitsISK_E10value_typeET2_T3_PNSL_ISQ_E10value_typeET4_jRbjT5_SW_jjP12ihipStream_tbEUlT_E2_NS1_11comp_targetILNS1_3genE3ELNS1_11target_archE908ELNS1_3gpuE7ELNS1_3repE0EEENS1_30default_config_static_selectorELNS0_4arch9wavefront6targetE0EEEvSK_
	.p2align	8
	.type	_ZN7rocprim17ROCPRIM_400000_NS6detail17trampoline_kernelINS0_14default_configENS1_36segmented_radix_sort_config_selectorIslEEZNS1_25segmented_radix_sort_implIS3_Lb0EPKsPsPKlPlN2at6native12_GLOBAL__N_18offset_tEEE10hipError_tPvRmT1_PNSt15iterator_traitsISK_E10value_typeET2_T3_PNSL_ISQ_E10value_typeET4_jRbjT5_SW_jjP12ihipStream_tbEUlT_E2_NS1_11comp_targetILNS1_3genE3ELNS1_11target_archE908ELNS1_3gpuE7ELNS1_3repE0EEENS1_30default_config_static_selectorELNS0_4arch9wavefront6targetE0EEEvSK_,@function
_ZN7rocprim17ROCPRIM_400000_NS6detail17trampoline_kernelINS0_14default_configENS1_36segmented_radix_sort_config_selectorIslEEZNS1_25segmented_radix_sort_implIS3_Lb0EPKsPsPKlPlN2at6native12_GLOBAL__N_18offset_tEEE10hipError_tPvRmT1_PNSt15iterator_traitsISK_E10value_typeET2_T3_PNSL_ISQ_E10value_typeET4_jRbjT5_SW_jjP12ihipStream_tbEUlT_E2_NS1_11comp_targetILNS1_3genE3ELNS1_11target_archE908ELNS1_3gpuE7ELNS1_3repE0EEENS1_30default_config_static_selectorELNS0_4arch9wavefront6targetE0EEEvSK_: ; @_ZN7rocprim17ROCPRIM_400000_NS6detail17trampoline_kernelINS0_14default_configENS1_36segmented_radix_sort_config_selectorIslEEZNS1_25segmented_radix_sort_implIS3_Lb0EPKsPsPKlPlN2at6native12_GLOBAL__N_18offset_tEEE10hipError_tPvRmT1_PNSt15iterator_traitsISK_E10value_typeET2_T3_PNSL_ISQ_E10value_typeET4_jRbjT5_SW_jjP12ihipStream_tbEUlT_E2_NS1_11comp_targetILNS1_3genE3ELNS1_11target_archE908ELNS1_3gpuE7ELNS1_3repE0EEENS1_30default_config_static_selectorELNS0_4arch9wavefront6targetE0EEEvSK_
; %bb.0:
	.section	.rodata,"a",@progbits
	.p2align	6, 0x0
	.amdhsa_kernel _ZN7rocprim17ROCPRIM_400000_NS6detail17trampoline_kernelINS0_14default_configENS1_36segmented_radix_sort_config_selectorIslEEZNS1_25segmented_radix_sort_implIS3_Lb0EPKsPsPKlPlN2at6native12_GLOBAL__N_18offset_tEEE10hipError_tPvRmT1_PNSt15iterator_traitsISK_E10value_typeET2_T3_PNSL_ISQ_E10value_typeET4_jRbjT5_SW_jjP12ihipStream_tbEUlT_E2_NS1_11comp_targetILNS1_3genE3ELNS1_11target_archE908ELNS1_3gpuE7ELNS1_3repE0EEENS1_30default_config_static_selectorELNS0_4arch9wavefront6targetE0EEEvSK_
		.amdhsa_group_segment_fixed_size 0
		.amdhsa_private_segment_fixed_size 0
		.amdhsa_kernarg_size 80
		.amdhsa_user_sgpr_count 15
		.amdhsa_user_sgpr_dispatch_ptr 0
		.amdhsa_user_sgpr_queue_ptr 0
		.amdhsa_user_sgpr_kernarg_segment_ptr 1
		.amdhsa_user_sgpr_dispatch_id 0
		.amdhsa_user_sgpr_private_segment_size 0
		.amdhsa_wavefront_size32 1
		.amdhsa_uses_dynamic_stack 0
		.amdhsa_enable_private_segment 0
		.amdhsa_system_sgpr_workgroup_id_x 1
		.amdhsa_system_sgpr_workgroup_id_y 0
		.amdhsa_system_sgpr_workgroup_id_z 0
		.amdhsa_system_sgpr_workgroup_info 0
		.amdhsa_system_vgpr_workitem_id 0
		.amdhsa_next_free_vgpr 1
		.amdhsa_next_free_sgpr 1
		.amdhsa_reserve_vcc 0
		.amdhsa_float_round_mode_32 0
		.amdhsa_float_round_mode_16_64 0
		.amdhsa_float_denorm_mode_32 3
		.amdhsa_float_denorm_mode_16_64 3
		.amdhsa_dx10_clamp 1
		.amdhsa_ieee_mode 1
		.amdhsa_fp16_overflow 0
		.amdhsa_workgroup_processor_mode 1
		.amdhsa_memory_ordered 1
		.amdhsa_forward_progress 0
		.amdhsa_shared_vgpr_count 0
		.amdhsa_exception_fp_ieee_invalid_op 0
		.amdhsa_exception_fp_denorm_src 0
		.amdhsa_exception_fp_ieee_div_zero 0
		.amdhsa_exception_fp_ieee_overflow 0
		.amdhsa_exception_fp_ieee_underflow 0
		.amdhsa_exception_fp_ieee_inexact 0
		.amdhsa_exception_int_div_zero 0
	.end_amdhsa_kernel
	.section	.text._ZN7rocprim17ROCPRIM_400000_NS6detail17trampoline_kernelINS0_14default_configENS1_36segmented_radix_sort_config_selectorIslEEZNS1_25segmented_radix_sort_implIS3_Lb0EPKsPsPKlPlN2at6native12_GLOBAL__N_18offset_tEEE10hipError_tPvRmT1_PNSt15iterator_traitsISK_E10value_typeET2_T3_PNSL_ISQ_E10value_typeET4_jRbjT5_SW_jjP12ihipStream_tbEUlT_E2_NS1_11comp_targetILNS1_3genE3ELNS1_11target_archE908ELNS1_3gpuE7ELNS1_3repE0EEENS1_30default_config_static_selectorELNS0_4arch9wavefront6targetE0EEEvSK_,"axG",@progbits,_ZN7rocprim17ROCPRIM_400000_NS6detail17trampoline_kernelINS0_14default_configENS1_36segmented_radix_sort_config_selectorIslEEZNS1_25segmented_radix_sort_implIS3_Lb0EPKsPsPKlPlN2at6native12_GLOBAL__N_18offset_tEEE10hipError_tPvRmT1_PNSt15iterator_traitsISK_E10value_typeET2_T3_PNSL_ISQ_E10value_typeET4_jRbjT5_SW_jjP12ihipStream_tbEUlT_E2_NS1_11comp_targetILNS1_3genE3ELNS1_11target_archE908ELNS1_3gpuE7ELNS1_3repE0EEENS1_30default_config_static_selectorELNS0_4arch9wavefront6targetE0EEEvSK_,comdat
.Lfunc_end1047:
	.size	_ZN7rocprim17ROCPRIM_400000_NS6detail17trampoline_kernelINS0_14default_configENS1_36segmented_radix_sort_config_selectorIslEEZNS1_25segmented_radix_sort_implIS3_Lb0EPKsPsPKlPlN2at6native12_GLOBAL__N_18offset_tEEE10hipError_tPvRmT1_PNSt15iterator_traitsISK_E10value_typeET2_T3_PNSL_ISQ_E10value_typeET4_jRbjT5_SW_jjP12ihipStream_tbEUlT_E2_NS1_11comp_targetILNS1_3genE3ELNS1_11target_archE908ELNS1_3gpuE7ELNS1_3repE0EEENS1_30default_config_static_selectorELNS0_4arch9wavefront6targetE0EEEvSK_, .Lfunc_end1047-_ZN7rocprim17ROCPRIM_400000_NS6detail17trampoline_kernelINS0_14default_configENS1_36segmented_radix_sort_config_selectorIslEEZNS1_25segmented_radix_sort_implIS3_Lb0EPKsPsPKlPlN2at6native12_GLOBAL__N_18offset_tEEE10hipError_tPvRmT1_PNSt15iterator_traitsISK_E10value_typeET2_T3_PNSL_ISQ_E10value_typeET4_jRbjT5_SW_jjP12ihipStream_tbEUlT_E2_NS1_11comp_targetILNS1_3genE3ELNS1_11target_archE908ELNS1_3gpuE7ELNS1_3repE0EEENS1_30default_config_static_selectorELNS0_4arch9wavefront6targetE0EEEvSK_
                                        ; -- End function
	.section	.AMDGPU.csdata,"",@progbits
; Kernel info:
; codeLenInByte = 0
; NumSgprs: 0
; NumVgprs: 0
; ScratchSize: 0
; MemoryBound: 0
; FloatMode: 240
; IeeeMode: 1
; LDSByteSize: 0 bytes/workgroup (compile time only)
; SGPRBlocks: 0
; VGPRBlocks: 0
; NumSGPRsForWavesPerEU: 1
; NumVGPRsForWavesPerEU: 1
; Occupancy: 16
; WaveLimiterHint : 0
; COMPUTE_PGM_RSRC2:SCRATCH_EN: 0
; COMPUTE_PGM_RSRC2:USER_SGPR: 15
; COMPUTE_PGM_RSRC2:TRAP_HANDLER: 0
; COMPUTE_PGM_RSRC2:TGID_X_EN: 1
; COMPUTE_PGM_RSRC2:TGID_Y_EN: 0
; COMPUTE_PGM_RSRC2:TGID_Z_EN: 0
; COMPUTE_PGM_RSRC2:TIDIG_COMP_CNT: 0
	.section	.text._ZN7rocprim17ROCPRIM_400000_NS6detail17trampoline_kernelINS0_14default_configENS1_36segmented_radix_sort_config_selectorIslEEZNS1_25segmented_radix_sort_implIS3_Lb0EPKsPsPKlPlN2at6native12_GLOBAL__N_18offset_tEEE10hipError_tPvRmT1_PNSt15iterator_traitsISK_E10value_typeET2_T3_PNSL_ISQ_E10value_typeET4_jRbjT5_SW_jjP12ihipStream_tbEUlT_E2_NS1_11comp_targetILNS1_3genE2ELNS1_11target_archE906ELNS1_3gpuE6ELNS1_3repE0EEENS1_30default_config_static_selectorELNS0_4arch9wavefront6targetE0EEEvSK_,"axG",@progbits,_ZN7rocprim17ROCPRIM_400000_NS6detail17trampoline_kernelINS0_14default_configENS1_36segmented_radix_sort_config_selectorIslEEZNS1_25segmented_radix_sort_implIS3_Lb0EPKsPsPKlPlN2at6native12_GLOBAL__N_18offset_tEEE10hipError_tPvRmT1_PNSt15iterator_traitsISK_E10value_typeET2_T3_PNSL_ISQ_E10value_typeET4_jRbjT5_SW_jjP12ihipStream_tbEUlT_E2_NS1_11comp_targetILNS1_3genE2ELNS1_11target_archE906ELNS1_3gpuE6ELNS1_3repE0EEENS1_30default_config_static_selectorELNS0_4arch9wavefront6targetE0EEEvSK_,comdat
	.globl	_ZN7rocprim17ROCPRIM_400000_NS6detail17trampoline_kernelINS0_14default_configENS1_36segmented_radix_sort_config_selectorIslEEZNS1_25segmented_radix_sort_implIS3_Lb0EPKsPsPKlPlN2at6native12_GLOBAL__N_18offset_tEEE10hipError_tPvRmT1_PNSt15iterator_traitsISK_E10value_typeET2_T3_PNSL_ISQ_E10value_typeET4_jRbjT5_SW_jjP12ihipStream_tbEUlT_E2_NS1_11comp_targetILNS1_3genE2ELNS1_11target_archE906ELNS1_3gpuE6ELNS1_3repE0EEENS1_30default_config_static_selectorELNS0_4arch9wavefront6targetE0EEEvSK_ ; -- Begin function _ZN7rocprim17ROCPRIM_400000_NS6detail17trampoline_kernelINS0_14default_configENS1_36segmented_radix_sort_config_selectorIslEEZNS1_25segmented_radix_sort_implIS3_Lb0EPKsPsPKlPlN2at6native12_GLOBAL__N_18offset_tEEE10hipError_tPvRmT1_PNSt15iterator_traitsISK_E10value_typeET2_T3_PNSL_ISQ_E10value_typeET4_jRbjT5_SW_jjP12ihipStream_tbEUlT_E2_NS1_11comp_targetILNS1_3genE2ELNS1_11target_archE906ELNS1_3gpuE6ELNS1_3repE0EEENS1_30default_config_static_selectorELNS0_4arch9wavefront6targetE0EEEvSK_
	.p2align	8
	.type	_ZN7rocprim17ROCPRIM_400000_NS6detail17trampoline_kernelINS0_14default_configENS1_36segmented_radix_sort_config_selectorIslEEZNS1_25segmented_radix_sort_implIS3_Lb0EPKsPsPKlPlN2at6native12_GLOBAL__N_18offset_tEEE10hipError_tPvRmT1_PNSt15iterator_traitsISK_E10value_typeET2_T3_PNSL_ISQ_E10value_typeET4_jRbjT5_SW_jjP12ihipStream_tbEUlT_E2_NS1_11comp_targetILNS1_3genE2ELNS1_11target_archE906ELNS1_3gpuE6ELNS1_3repE0EEENS1_30default_config_static_selectorELNS0_4arch9wavefront6targetE0EEEvSK_,@function
_ZN7rocprim17ROCPRIM_400000_NS6detail17trampoline_kernelINS0_14default_configENS1_36segmented_radix_sort_config_selectorIslEEZNS1_25segmented_radix_sort_implIS3_Lb0EPKsPsPKlPlN2at6native12_GLOBAL__N_18offset_tEEE10hipError_tPvRmT1_PNSt15iterator_traitsISK_E10value_typeET2_T3_PNSL_ISQ_E10value_typeET4_jRbjT5_SW_jjP12ihipStream_tbEUlT_E2_NS1_11comp_targetILNS1_3genE2ELNS1_11target_archE906ELNS1_3gpuE6ELNS1_3repE0EEENS1_30default_config_static_selectorELNS0_4arch9wavefront6targetE0EEEvSK_: ; @_ZN7rocprim17ROCPRIM_400000_NS6detail17trampoline_kernelINS0_14default_configENS1_36segmented_radix_sort_config_selectorIslEEZNS1_25segmented_radix_sort_implIS3_Lb0EPKsPsPKlPlN2at6native12_GLOBAL__N_18offset_tEEE10hipError_tPvRmT1_PNSt15iterator_traitsISK_E10value_typeET2_T3_PNSL_ISQ_E10value_typeET4_jRbjT5_SW_jjP12ihipStream_tbEUlT_E2_NS1_11comp_targetILNS1_3genE2ELNS1_11target_archE906ELNS1_3gpuE6ELNS1_3repE0EEENS1_30default_config_static_selectorELNS0_4arch9wavefront6targetE0EEEvSK_
; %bb.0:
	.section	.rodata,"a",@progbits
	.p2align	6, 0x0
	.amdhsa_kernel _ZN7rocprim17ROCPRIM_400000_NS6detail17trampoline_kernelINS0_14default_configENS1_36segmented_radix_sort_config_selectorIslEEZNS1_25segmented_radix_sort_implIS3_Lb0EPKsPsPKlPlN2at6native12_GLOBAL__N_18offset_tEEE10hipError_tPvRmT1_PNSt15iterator_traitsISK_E10value_typeET2_T3_PNSL_ISQ_E10value_typeET4_jRbjT5_SW_jjP12ihipStream_tbEUlT_E2_NS1_11comp_targetILNS1_3genE2ELNS1_11target_archE906ELNS1_3gpuE6ELNS1_3repE0EEENS1_30default_config_static_selectorELNS0_4arch9wavefront6targetE0EEEvSK_
		.amdhsa_group_segment_fixed_size 0
		.amdhsa_private_segment_fixed_size 0
		.amdhsa_kernarg_size 80
		.amdhsa_user_sgpr_count 15
		.amdhsa_user_sgpr_dispatch_ptr 0
		.amdhsa_user_sgpr_queue_ptr 0
		.amdhsa_user_sgpr_kernarg_segment_ptr 1
		.amdhsa_user_sgpr_dispatch_id 0
		.amdhsa_user_sgpr_private_segment_size 0
		.amdhsa_wavefront_size32 1
		.amdhsa_uses_dynamic_stack 0
		.amdhsa_enable_private_segment 0
		.amdhsa_system_sgpr_workgroup_id_x 1
		.amdhsa_system_sgpr_workgroup_id_y 0
		.amdhsa_system_sgpr_workgroup_id_z 0
		.amdhsa_system_sgpr_workgroup_info 0
		.amdhsa_system_vgpr_workitem_id 0
		.amdhsa_next_free_vgpr 1
		.amdhsa_next_free_sgpr 1
		.amdhsa_reserve_vcc 0
		.amdhsa_float_round_mode_32 0
		.amdhsa_float_round_mode_16_64 0
		.amdhsa_float_denorm_mode_32 3
		.amdhsa_float_denorm_mode_16_64 3
		.amdhsa_dx10_clamp 1
		.amdhsa_ieee_mode 1
		.amdhsa_fp16_overflow 0
		.amdhsa_workgroup_processor_mode 1
		.amdhsa_memory_ordered 1
		.amdhsa_forward_progress 0
		.amdhsa_shared_vgpr_count 0
		.amdhsa_exception_fp_ieee_invalid_op 0
		.amdhsa_exception_fp_denorm_src 0
		.amdhsa_exception_fp_ieee_div_zero 0
		.amdhsa_exception_fp_ieee_overflow 0
		.amdhsa_exception_fp_ieee_underflow 0
		.amdhsa_exception_fp_ieee_inexact 0
		.amdhsa_exception_int_div_zero 0
	.end_amdhsa_kernel
	.section	.text._ZN7rocprim17ROCPRIM_400000_NS6detail17trampoline_kernelINS0_14default_configENS1_36segmented_radix_sort_config_selectorIslEEZNS1_25segmented_radix_sort_implIS3_Lb0EPKsPsPKlPlN2at6native12_GLOBAL__N_18offset_tEEE10hipError_tPvRmT1_PNSt15iterator_traitsISK_E10value_typeET2_T3_PNSL_ISQ_E10value_typeET4_jRbjT5_SW_jjP12ihipStream_tbEUlT_E2_NS1_11comp_targetILNS1_3genE2ELNS1_11target_archE906ELNS1_3gpuE6ELNS1_3repE0EEENS1_30default_config_static_selectorELNS0_4arch9wavefront6targetE0EEEvSK_,"axG",@progbits,_ZN7rocprim17ROCPRIM_400000_NS6detail17trampoline_kernelINS0_14default_configENS1_36segmented_radix_sort_config_selectorIslEEZNS1_25segmented_radix_sort_implIS3_Lb0EPKsPsPKlPlN2at6native12_GLOBAL__N_18offset_tEEE10hipError_tPvRmT1_PNSt15iterator_traitsISK_E10value_typeET2_T3_PNSL_ISQ_E10value_typeET4_jRbjT5_SW_jjP12ihipStream_tbEUlT_E2_NS1_11comp_targetILNS1_3genE2ELNS1_11target_archE906ELNS1_3gpuE6ELNS1_3repE0EEENS1_30default_config_static_selectorELNS0_4arch9wavefront6targetE0EEEvSK_,comdat
.Lfunc_end1048:
	.size	_ZN7rocprim17ROCPRIM_400000_NS6detail17trampoline_kernelINS0_14default_configENS1_36segmented_radix_sort_config_selectorIslEEZNS1_25segmented_radix_sort_implIS3_Lb0EPKsPsPKlPlN2at6native12_GLOBAL__N_18offset_tEEE10hipError_tPvRmT1_PNSt15iterator_traitsISK_E10value_typeET2_T3_PNSL_ISQ_E10value_typeET4_jRbjT5_SW_jjP12ihipStream_tbEUlT_E2_NS1_11comp_targetILNS1_3genE2ELNS1_11target_archE906ELNS1_3gpuE6ELNS1_3repE0EEENS1_30default_config_static_selectorELNS0_4arch9wavefront6targetE0EEEvSK_, .Lfunc_end1048-_ZN7rocprim17ROCPRIM_400000_NS6detail17trampoline_kernelINS0_14default_configENS1_36segmented_radix_sort_config_selectorIslEEZNS1_25segmented_radix_sort_implIS3_Lb0EPKsPsPKlPlN2at6native12_GLOBAL__N_18offset_tEEE10hipError_tPvRmT1_PNSt15iterator_traitsISK_E10value_typeET2_T3_PNSL_ISQ_E10value_typeET4_jRbjT5_SW_jjP12ihipStream_tbEUlT_E2_NS1_11comp_targetILNS1_3genE2ELNS1_11target_archE906ELNS1_3gpuE6ELNS1_3repE0EEENS1_30default_config_static_selectorELNS0_4arch9wavefront6targetE0EEEvSK_
                                        ; -- End function
	.section	.AMDGPU.csdata,"",@progbits
; Kernel info:
; codeLenInByte = 0
; NumSgprs: 0
; NumVgprs: 0
; ScratchSize: 0
; MemoryBound: 0
; FloatMode: 240
; IeeeMode: 1
; LDSByteSize: 0 bytes/workgroup (compile time only)
; SGPRBlocks: 0
; VGPRBlocks: 0
; NumSGPRsForWavesPerEU: 1
; NumVGPRsForWavesPerEU: 1
; Occupancy: 16
; WaveLimiterHint : 0
; COMPUTE_PGM_RSRC2:SCRATCH_EN: 0
; COMPUTE_PGM_RSRC2:USER_SGPR: 15
; COMPUTE_PGM_RSRC2:TRAP_HANDLER: 0
; COMPUTE_PGM_RSRC2:TGID_X_EN: 1
; COMPUTE_PGM_RSRC2:TGID_Y_EN: 0
; COMPUTE_PGM_RSRC2:TGID_Z_EN: 0
; COMPUTE_PGM_RSRC2:TIDIG_COMP_CNT: 0
	.section	.text._ZN7rocprim17ROCPRIM_400000_NS6detail17trampoline_kernelINS0_14default_configENS1_36segmented_radix_sort_config_selectorIslEEZNS1_25segmented_radix_sort_implIS3_Lb0EPKsPsPKlPlN2at6native12_GLOBAL__N_18offset_tEEE10hipError_tPvRmT1_PNSt15iterator_traitsISK_E10value_typeET2_T3_PNSL_ISQ_E10value_typeET4_jRbjT5_SW_jjP12ihipStream_tbEUlT_E2_NS1_11comp_targetILNS1_3genE10ELNS1_11target_archE1201ELNS1_3gpuE5ELNS1_3repE0EEENS1_30default_config_static_selectorELNS0_4arch9wavefront6targetE0EEEvSK_,"axG",@progbits,_ZN7rocprim17ROCPRIM_400000_NS6detail17trampoline_kernelINS0_14default_configENS1_36segmented_radix_sort_config_selectorIslEEZNS1_25segmented_radix_sort_implIS3_Lb0EPKsPsPKlPlN2at6native12_GLOBAL__N_18offset_tEEE10hipError_tPvRmT1_PNSt15iterator_traitsISK_E10value_typeET2_T3_PNSL_ISQ_E10value_typeET4_jRbjT5_SW_jjP12ihipStream_tbEUlT_E2_NS1_11comp_targetILNS1_3genE10ELNS1_11target_archE1201ELNS1_3gpuE5ELNS1_3repE0EEENS1_30default_config_static_selectorELNS0_4arch9wavefront6targetE0EEEvSK_,comdat
	.globl	_ZN7rocprim17ROCPRIM_400000_NS6detail17trampoline_kernelINS0_14default_configENS1_36segmented_radix_sort_config_selectorIslEEZNS1_25segmented_radix_sort_implIS3_Lb0EPKsPsPKlPlN2at6native12_GLOBAL__N_18offset_tEEE10hipError_tPvRmT1_PNSt15iterator_traitsISK_E10value_typeET2_T3_PNSL_ISQ_E10value_typeET4_jRbjT5_SW_jjP12ihipStream_tbEUlT_E2_NS1_11comp_targetILNS1_3genE10ELNS1_11target_archE1201ELNS1_3gpuE5ELNS1_3repE0EEENS1_30default_config_static_selectorELNS0_4arch9wavefront6targetE0EEEvSK_ ; -- Begin function _ZN7rocprim17ROCPRIM_400000_NS6detail17trampoline_kernelINS0_14default_configENS1_36segmented_radix_sort_config_selectorIslEEZNS1_25segmented_radix_sort_implIS3_Lb0EPKsPsPKlPlN2at6native12_GLOBAL__N_18offset_tEEE10hipError_tPvRmT1_PNSt15iterator_traitsISK_E10value_typeET2_T3_PNSL_ISQ_E10value_typeET4_jRbjT5_SW_jjP12ihipStream_tbEUlT_E2_NS1_11comp_targetILNS1_3genE10ELNS1_11target_archE1201ELNS1_3gpuE5ELNS1_3repE0EEENS1_30default_config_static_selectorELNS0_4arch9wavefront6targetE0EEEvSK_
	.p2align	8
	.type	_ZN7rocprim17ROCPRIM_400000_NS6detail17trampoline_kernelINS0_14default_configENS1_36segmented_radix_sort_config_selectorIslEEZNS1_25segmented_radix_sort_implIS3_Lb0EPKsPsPKlPlN2at6native12_GLOBAL__N_18offset_tEEE10hipError_tPvRmT1_PNSt15iterator_traitsISK_E10value_typeET2_T3_PNSL_ISQ_E10value_typeET4_jRbjT5_SW_jjP12ihipStream_tbEUlT_E2_NS1_11comp_targetILNS1_3genE10ELNS1_11target_archE1201ELNS1_3gpuE5ELNS1_3repE0EEENS1_30default_config_static_selectorELNS0_4arch9wavefront6targetE0EEEvSK_,@function
_ZN7rocprim17ROCPRIM_400000_NS6detail17trampoline_kernelINS0_14default_configENS1_36segmented_radix_sort_config_selectorIslEEZNS1_25segmented_radix_sort_implIS3_Lb0EPKsPsPKlPlN2at6native12_GLOBAL__N_18offset_tEEE10hipError_tPvRmT1_PNSt15iterator_traitsISK_E10value_typeET2_T3_PNSL_ISQ_E10value_typeET4_jRbjT5_SW_jjP12ihipStream_tbEUlT_E2_NS1_11comp_targetILNS1_3genE10ELNS1_11target_archE1201ELNS1_3gpuE5ELNS1_3repE0EEENS1_30default_config_static_selectorELNS0_4arch9wavefront6targetE0EEEvSK_: ; @_ZN7rocprim17ROCPRIM_400000_NS6detail17trampoline_kernelINS0_14default_configENS1_36segmented_radix_sort_config_selectorIslEEZNS1_25segmented_radix_sort_implIS3_Lb0EPKsPsPKlPlN2at6native12_GLOBAL__N_18offset_tEEE10hipError_tPvRmT1_PNSt15iterator_traitsISK_E10value_typeET2_T3_PNSL_ISQ_E10value_typeET4_jRbjT5_SW_jjP12ihipStream_tbEUlT_E2_NS1_11comp_targetILNS1_3genE10ELNS1_11target_archE1201ELNS1_3gpuE5ELNS1_3repE0EEENS1_30default_config_static_selectorELNS0_4arch9wavefront6targetE0EEEvSK_
; %bb.0:
	.section	.rodata,"a",@progbits
	.p2align	6, 0x0
	.amdhsa_kernel _ZN7rocprim17ROCPRIM_400000_NS6detail17trampoline_kernelINS0_14default_configENS1_36segmented_radix_sort_config_selectorIslEEZNS1_25segmented_radix_sort_implIS3_Lb0EPKsPsPKlPlN2at6native12_GLOBAL__N_18offset_tEEE10hipError_tPvRmT1_PNSt15iterator_traitsISK_E10value_typeET2_T3_PNSL_ISQ_E10value_typeET4_jRbjT5_SW_jjP12ihipStream_tbEUlT_E2_NS1_11comp_targetILNS1_3genE10ELNS1_11target_archE1201ELNS1_3gpuE5ELNS1_3repE0EEENS1_30default_config_static_selectorELNS0_4arch9wavefront6targetE0EEEvSK_
		.amdhsa_group_segment_fixed_size 0
		.amdhsa_private_segment_fixed_size 0
		.amdhsa_kernarg_size 80
		.amdhsa_user_sgpr_count 15
		.amdhsa_user_sgpr_dispatch_ptr 0
		.amdhsa_user_sgpr_queue_ptr 0
		.amdhsa_user_sgpr_kernarg_segment_ptr 1
		.amdhsa_user_sgpr_dispatch_id 0
		.amdhsa_user_sgpr_private_segment_size 0
		.amdhsa_wavefront_size32 1
		.amdhsa_uses_dynamic_stack 0
		.amdhsa_enable_private_segment 0
		.amdhsa_system_sgpr_workgroup_id_x 1
		.amdhsa_system_sgpr_workgroup_id_y 0
		.amdhsa_system_sgpr_workgroup_id_z 0
		.amdhsa_system_sgpr_workgroup_info 0
		.amdhsa_system_vgpr_workitem_id 0
		.amdhsa_next_free_vgpr 1
		.amdhsa_next_free_sgpr 1
		.amdhsa_reserve_vcc 0
		.amdhsa_float_round_mode_32 0
		.amdhsa_float_round_mode_16_64 0
		.amdhsa_float_denorm_mode_32 3
		.amdhsa_float_denorm_mode_16_64 3
		.amdhsa_dx10_clamp 1
		.amdhsa_ieee_mode 1
		.amdhsa_fp16_overflow 0
		.amdhsa_workgroup_processor_mode 1
		.amdhsa_memory_ordered 1
		.amdhsa_forward_progress 0
		.amdhsa_shared_vgpr_count 0
		.amdhsa_exception_fp_ieee_invalid_op 0
		.amdhsa_exception_fp_denorm_src 0
		.amdhsa_exception_fp_ieee_div_zero 0
		.amdhsa_exception_fp_ieee_overflow 0
		.amdhsa_exception_fp_ieee_underflow 0
		.amdhsa_exception_fp_ieee_inexact 0
		.amdhsa_exception_int_div_zero 0
	.end_amdhsa_kernel
	.section	.text._ZN7rocprim17ROCPRIM_400000_NS6detail17trampoline_kernelINS0_14default_configENS1_36segmented_radix_sort_config_selectorIslEEZNS1_25segmented_radix_sort_implIS3_Lb0EPKsPsPKlPlN2at6native12_GLOBAL__N_18offset_tEEE10hipError_tPvRmT1_PNSt15iterator_traitsISK_E10value_typeET2_T3_PNSL_ISQ_E10value_typeET4_jRbjT5_SW_jjP12ihipStream_tbEUlT_E2_NS1_11comp_targetILNS1_3genE10ELNS1_11target_archE1201ELNS1_3gpuE5ELNS1_3repE0EEENS1_30default_config_static_selectorELNS0_4arch9wavefront6targetE0EEEvSK_,"axG",@progbits,_ZN7rocprim17ROCPRIM_400000_NS6detail17trampoline_kernelINS0_14default_configENS1_36segmented_radix_sort_config_selectorIslEEZNS1_25segmented_radix_sort_implIS3_Lb0EPKsPsPKlPlN2at6native12_GLOBAL__N_18offset_tEEE10hipError_tPvRmT1_PNSt15iterator_traitsISK_E10value_typeET2_T3_PNSL_ISQ_E10value_typeET4_jRbjT5_SW_jjP12ihipStream_tbEUlT_E2_NS1_11comp_targetILNS1_3genE10ELNS1_11target_archE1201ELNS1_3gpuE5ELNS1_3repE0EEENS1_30default_config_static_selectorELNS0_4arch9wavefront6targetE0EEEvSK_,comdat
.Lfunc_end1049:
	.size	_ZN7rocprim17ROCPRIM_400000_NS6detail17trampoline_kernelINS0_14default_configENS1_36segmented_radix_sort_config_selectorIslEEZNS1_25segmented_radix_sort_implIS3_Lb0EPKsPsPKlPlN2at6native12_GLOBAL__N_18offset_tEEE10hipError_tPvRmT1_PNSt15iterator_traitsISK_E10value_typeET2_T3_PNSL_ISQ_E10value_typeET4_jRbjT5_SW_jjP12ihipStream_tbEUlT_E2_NS1_11comp_targetILNS1_3genE10ELNS1_11target_archE1201ELNS1_3gpuE5ELNS1_3repE0EEENS1_30default_config_static_selectorELNS0_4arch9wavefront6targetE0EEEvSK_, .Lfunc_end1049-_ZN7rocprim17ROCPRIM_400000_NS6detail17trampoline_kernelINS0_14default_configENS1_36segmented_radix_sort_config_selectorIslEEZNS1_25segmented_radix_sort_implIS3_Lb0EPKsPsPKlPlN2at6native12_GLOBAL__N_18offset_tEEE10hipError_tPvRmT1_PNSt15iterator_traitsISK_E10value_typeET2_T3_PNSL_ISQ_E10value_typeET4_jRbjT5_SW_jjP12ihipStream_tbEUlT_E2_NS1_11comp_targetILNS1_3genE10ELNS1_11target_archE1201ELNS1_3gpuE5ELNS1_3repE0EEENS1_30default_config_static_selectorELNS0_4arch9wavefront6targetE0EEEvSK_
                                        ; -- End function
	.section	.AMDGPU.csdata,"",@progbits
; Kernel info:
; codeLenInByte = 0
; NumSgprs: 0
; NumVgprs: 0
; ScratchSize: 0
; MemoryBound: 0
; FloatMode: 240
; IeeeMode: 1
; LDSByteSize: 0 bytes/workgroup (compile time only)
; SGPRBlocks: 0
; VGPRBlocks: 0
; NumSGPRsForWavesPerEU: 1
; NumVGPRsForWavesPerEU: 1
; Occupancy: 16
; WaveLimiterHint : 0
; COMPUTE_PGM_RSRC2:SCRATCH_EN: 0
; COMPUTE_PGM_RSRC2:USER_SGPR: 15
; COMPUTE_PGM_RSRC2:TRAP_HANDLER: 0
; COMPUTE_PGM_RSRC2:TGID_X_EN: 1
; COMPUTE_PGM_RSRC2:TGID_Y_EN: 0
; COMPUTE_PGM_RSRC2:TGID_Z_EN: 0
; COMPUTE_PGM_RSRC2:TIDIG_COMP_CNT: 0
	.section	.text._ZN7rocprim17ROCPRIM_400000_NS6detail17trampoline_kernelINS0_14default_configENS1_36segmented_radix_sort_config_selectorIslEEZNS1_25segmented_radix_sort_implIS3_Lb0EPKsPsPKlPlN2at6native12_GLOBAL__N_18offset_tEEE10hipError_tPvRmT1_PNSt15iterator_traitsISK_E10value_typeET2_T3_PNSL_ISQ_E10value_typeET4_jRbjT5_SW_jjP12ihipStream_tbEUlT_E2_NS1_11comp_targetILNS1_3genE10ELNS1_11target_archE1200ELNS1_3gpuE4ELNS1_3repE0EEENS1_30default_config_static_selectorELNS0_4arch9wavefront6targetE0EEEvSK_,"axG",@progbits,_ZN7rocprim17ROCPRIM_400000_NS6detail17trampoline_kernelINS0_14default_configENS1_36segmented_radix_sort_config_selectorIslEEZNS1_25segmented_radix_sort_implIS3_Lb0EPKsPsPKlPlN2at6native12_GLOBAL__N_18offset_tEEE10hipError_tPvRmT1_PNSt15iterator_traitsISK_E10value_typeET2_T3_PNSL_ISQ_E10value_typeET4_jRbjT5_SW_jjP12ihipStream_tbEUlT_E2_NS1_11comp_targetILNS1_3genE10ELNS1_11target_archE1200ELNS1_3gpuE4ELNS1_3repE0EEENS1_30default_config_static_selectorELNS0_4arch9wavefront6targetE0EEEvSK_,comdat
	.globl	_ZN7rocprim17ROCPRIM_400000_NS6detail17trampoline_kernelINS0_14default_configENS1_36segmented_radix_sort_config_selectorIslEEZNS1_25segmented_radix_sort_implIS3_Lb0EPKsPsPKlPlN2at6native12_GLOBAL__N_18offset_tEEE10hipError_tPvRmT1_PNSt15iterator_traitsISK_E10value_typeET2_T3_PNSL_ISQ_E10value_typeET4_jRbjT5_SW_jjP12ihipStream_tbEUlT_E2_NS1_11comp_targetILNS1_3genE10ELNS1_11target_archE1200ELNS1_3gpuE4ELNS1_3repE0EEENS1_30default_config_static_selectorELNS0_4arch9wavefront6targetE0EEEvSK_ ; -- Begin function _ZN7rocprim17ROCPRIM_400000_NS6detail17trampoline_kernelINS0_14default_configENS1_36segmented_radix_sort_config_selectorIslEEZNS1_25segmented_radix_sort_implIS3_Lb0EPKsPsPKlPlN2at6native12_GLOBAL__N_18offset_tEEE10hipError_tPvRmT1_PNSt15iterator_traitsISK_E10value_typeET2_T3_PNSL_ISQ_E10value_typeET4_jRbjT5_SW_jjP12ihipStream_tbEUlT_E2_NS1_11comp_targetILNS1_3genE10ELNS1_11target_archE1200ELNS1_3gpuE4ELNS1_3repE0EEENS1_30default_config_static_selectorELNS0_4arch9wavefront6targetE0EEEvSK_
	.p2align	8
	.type	_ZN7rocprim17ROCPRIM_400000_NS6detail17trampoline_kernelINS0_14default_configENS1_36segmented_radix_sort_config_selectorIslEEZNS1_25segmented_radix_sort_implIS3_Lb0EPKsPsPKlPlN2at6native12_GLOBAL__N_18offset_tEEE10hipError_tPvRmT1_PNSt15iterator_traitsISK_E10value_typeET2_T3_PNSL_ISQ_E10value_typeET4_jRbjT5_SW_jjP12ihipStream_tbEUlT_E2_NS1_11comp_targetILNS1_3genE10ELNS1_11target_archE1200ELNS1_3gpuE4ELNS1_3repE0EEENS1_30default_config_static_selectorELNS0_4arch9wavefront6targetE0EEEvSK_,@function
_ZN7rocprim17ROCPRIM_400000_NS6detail17trampoline_kernelINS0_14default_configENS1_36segmented_radix_sort_config_selectorIslEEZNS1_25segmented_radix_sort_implIS3_Lb0EPKsPsPKlPlN2at6native12_GLOBAL__N_18offset_tEEE10hipError_tPvRmT1_PNSt15iterator_traitsISK_E10value_typeET2_T3_PNSL_ISQ_E10value_typeET4_jRbjT5_SW_jjP12ihipStream_tbEUlT_E2_NS1_11comp_targetILNS1_3genE10ELNS1_11target_archE1200ELNS1_3gpuE4ELNS1_3repE0EEENS1_30default_config_static_selectorELNS0_4arch9wavefront6targetE0EEEvSK_: ; @_ZN7rocprim17ROCPRIM_400000_NS6detail17trampoline_kernelINS0_14default_configENS1_36segmented_radix_sort_config_selectorIslEEZNS1_25segmented_radix_sort_implIS3_Lb0EPKsPsPKlPlN2at6native12_GLOBAL__N_18offset_tEEE10hipError_tPvRmT1_PNSt15iterator_traitsISK_E10value_typeET2_T3_PNSL_ISQ_E10value_typeET4_jRbjT5_SW_jjP12ihipStream_tbEUlT_E2_NS1_11comp_targetILNS1_3genE10ELNS1_11target_archE1200ELNS1_3gpuE4ELNS1_3repE0EEENS1_30default_config_static_selectorELNS0_4arch9wavefront6targetE0EEEvSK_
; %bb.0:
	.section	.rodata,"a",@progbits
	.p2align	6, 0x0
	.amdhsa_kernel _ZN7rocprim17ROCPRIM_400000_NS6detail17trampoline_kernelINS0_14default_configENS1_36segmented_radix_sort_config_selectorIslEEZNS1_25segmented_radix_sort_implIS3_Lb0EPKsPsPKlPlN2at6native12_GLOBAL__N_18offset_tEEE10hipError_tPvRmT1_PNSt15iterator_traitsISK_E10value_typeET2_T3_PNSL_ISQ_E10value_typeET4_jRbjT5_SW_jjP12ihipStream_tbEUlT_E2_NS1_11comp_targetILNS1_3genE10ELNS1_11target_archE1200ELNS1_3gpuE4ELNS1_3repE0EEENS1_30default_config_static_selectorELNS0_4arch9wavefront6targetE0EEEvSK_
		.amdhsa_group_segment_fixed_size 0
		.amdhsa_private_segment_fixed_size 0
		.amdhsa_kernarg_size 80
		.amdhsa_user_sgpr_count 15
		.amdhsa_user_sgpr_dispatch_ptr 0
		.amdhsa_user_sgpr_queue_ptr 0
		.amdhsa_user_sgpr_kernarg_segment_ptr 1
		.amdhsa_user_sgpr_dispatch_id 0
		.amdhsa_user_sgpr_private_segment_size 0
		.amdhsa_wavefront_size32 1
		.amdhsa_uses_dynamic_stack 0
		.amdhsa_enable_private_segment 0
		.amdhsa_system_sgpr_workgroup_id_x 1
		.amdhsa_system_sgpr_workgroup_id_y 0
		.amdhsa_system_sgpr_workgroup_id_z 0
		.amdhsa_system_sgpr_workgroup_info 0
		.amdhsa_system_vgpr_workitem_id 0
		.amdhsa_next_free_vgpr 1
		.amdhsa_next_free_sgpr 1
		.amdhsa_reserve_vcc 0
		.amdhsa_float_round_mode_32 0
		.amdhsa_float_round_mode_16_64 0
		.amdhsa_float_denorm_mode_32 3
		.amdhsa_float_denorm_mode_16_64 3
		.amdhsa_dx10_clamp 1
		.amdhsa_ieee_mode 1
		.amdhsa_fp16_overflow 0
		.amdhsa_workgroup_processor_mode 1
		.amdhsa_memory_ordered 1
		.amdhsa_forward_progress 0
		.amdhsa_shared_vgpr_count 0
		.amdhsa_exception_fp_ieee_invalid_op 0
		.amdhsa_exception_fp_denorm_src 0
		.amdhsa_exception_fp_ieee_div_zero 0
		.amdhsa_exception_fp_ieee_overflow 0
		.amdhsa_exception_fp_ieee_underflow 0
		.amdhsa_exception_fp_ieee_inexact 0
		.amdhsa_exception_int_div_zero 0
	.end_amdhsa_kernel
	.section	.text._ZN7rocprim17ROCPRIM_400000_NS6detail17trampoline_kernelINS0_14default_configENS1_36segmented_radix_sort_config_selectorIslEEZNS1_25segmented_radix_sort_implIS3_Lb0EPKsPsPKlPlN2at6native12_GLOBAL__N_18offset_tEEE10hipError_tPvRmT1_PNSt15iterator_traitsISK_E10value_typeET2_T3_PNSL_ISQ_E10value_typeET4_jRbjT5_SW_jjP12ihipStream_tbEUlT_E2_NS1_11comp_targetILNS1_3genE10ELNS1_11target_archE1200ELNS1_3gpuE4ELNS1_3repE0EEENS1_30default_config_static_selectorELNS0_4arch9wavefront6targetE0EEEvSK_,"axG",@progbits,_ZN7rocprim17ROCPRIM_400000_NS6detail17trampoline_kernelINS0_14default_configENS1_36segmented_radix_sort_config_selectorIslEEZNS1_25segmented_radix_sort_implIS3_Lb0EPKsPsPKlPlN2at6native12_GLOBAL__N_18offset_tEEE10hipError_tPvRmT1_PNSt15iterator_traitsISK_E10value_typeET2_T3_PNSL_ISQ_E10value_typeET4_jRbjT5_SW_jjP12ihipStream_tbEUlT_E2_NS1_11comp_targetILNS1_3genE10ELNS1_11target_archE1200ELNS1_3gpuE4ELNS1_3repE0EEENS1_30default_config_static_selectorELNS0_4arch9wavefront6targetE0EEEvSK_,comdat
.Lfunc_end1050:
	.size	_ZN7rocprim17ROCPRIM_400000_NS6detail17trampoline_kernelINS0_14default_configENS1_36segmented_radix_sort_config_selectorIslEEZNS1_25segmented_radix_sort_implIS3_Lb0EPKsPsPKlPlN2at6native12_GLOBAL__N_18offset_tEEE10hipError_tPvRmT1_PNSt15iterator_traitsISK_E10value_typeET2_T3_PNSL_ISQ_E10value_typeET4_jRbjT5_SW_jjP12ihipStream_tbEUlT_E2_NS1_11comp_targetILNS1_3genE10ELNS1_11target_archE1200ELNS1_3gpuE4ELNS1_3repE0EEENS1_30default_config_static_selectorELNS0_4arch9wavefront6targetE0EEEvSK_, .Lfunc_end1050-_ZN7rocprim17ROCPRIM_400000_NS6detail17trampoline_kernelINS0_14default_configENS1_36segmented_radix_sort_config_selectorIslEEZNS1_25segmented_radix_sort_implIS3_Lb0EPKsPsPKlPlN2at6native12_GLOBAL__N_18offset_tEEE10hipError_tPvRmT1_PNSt15iterator_traitsISK_E10value_typeET2_T3_PNSL_ISQ_E10value_typeET4_jRbjT5_SW_jjP12ihipStream_tbEUlT_E2_NS1_11comp_targetILNS1_3genE10ELNS1_11target_archE1200ELNS1_3gpuE4ELNS1_3repE0EEENS1_30default_config_static_selectorELNS0_4arch9wavefront6targetE0EEEvSK_
                                        ; -- End function
	.section	.AMDGPU.csdata,"",@progbits
; Kernel info:
; codeLenInByte = 0
; NumSgprs: 0
; NumVgprs: 0
; ScratchSize: 0
; MemoryBound: 0
; FloatMode: 240
; IeeeMode: 1
; LDSByteSize: 0 bytes/workgroup (compile time only)
; SGPRBlocks: 0
; VGPRBlocks: 0
; NumSGPRsForWavesPerEU: 1
; NumVGPRsForWavesPerEU: 1
; Occupancy: 16
; WaveLimiterHint : 0
; COMPUTE_PGM_RSRC2:SCRATCH_EN: 0
; COMPUTE_PGM_RSRC2:USER_SGPR: 15
; COMPUTE_PGM_RSRC2:TRAP_HANDLER: 0
; COMPUTE_PGM_RSRC2:TGID_X_EN: 1
; COMPUTE_PGM_RSRC2:TGID_Y_EN: 0
; COMPUTE_PGM_RSRC2:TGID_Z_EN: 0
; COMPUTE_PGM_RSRC2:TIDIG_COMP_CNT: 0
	.section	.text._ZN7rocprim17ROCPRIM_400000_NS6detail17trampoline_kernelINS0_14default_configENS1_36segmented_radix_sort_config_selectorIslEEZNS1_25segmented_radix_sort_implIS3_Lb0EPKsPsPKlPlN2at6native12_GLOBAL__N_18offset_tEEE10hipError_tPvRmT1_PNSt15iterator_traitsISK_E10value_typeET2_T3_PNSL_ISQ_E10value_typeET4_jRbjT5_SW_jjP12ihipStream_tbEUlT_E2_NS1_11comp_targetILNS1_3genE9ELNS1_11target_archE1100ELNS1_3gpuE3ELNS1_3repE0EEENS1_30default_config_static_selectorELNS0_4arch9wavefront6targetE0EEEvSK_,"axG",@progbits,_ZN7rocprim17ROCPRIM_400000_NS6detail17trampoline_kernelINS0_14default_configENS1_36segmented_radix_sort_config_selectorIslEEZNS1_25segmented_radix_sort_implIS3_Lb0EPKsPsPKlPlN2at6native12_GLOBAL__N_18offset_tEEE10hipError_tPvRmT1_PNSt15iterator_traitsISK_E10value_typeET2_T3_PNSL_ISQ_E10value_typeET4_jRbjT5_SW_jjP12ihipStream_tbEUlT_E2_NS1_11comp_targetILNS1_3genE9ELNS1_11target_archE1100ELNS1_3gpuE3ELNS1_3repE0EEENS1_30default_config_static_selectorELNS0_4arch9wavefront6targetE0EEEvSK_,comdat
	.globl	_ZN7rocprim17ROCPRIM_400000_NS6detail17trampoline_kernelINS0_14default_configENS1_36segmented_radix_sort_config_selectorIslEEZNS1_25segmented_radix_sort_implIS3_Lb0EPKsPsPKlPlN2at6native12_GLOBAL__N_18offset_tEEE10hipError_tPvRmT1_PNSt15iterator_traitsISK_E10value_typeET2_T3_PNSL_ISQ_E10value_typeET4_jRbjT5_SW_jjP12ihipStream_tbEUlT_E2_NS1_11comp_targetILNS1_3genE9ELNS1_11target_archE1100ELNS1_3gpuE3ELNS1_3repE0EEENS1_30default_config_static_selectorELNS0_4arch9wavefront6targetE0EEEvSK_ ; -- Begin function _ZN7rocprim17ROCPRIM_400000_NS6detail17trampoline_kernelINS0_14default_configENS1_36segmented_radix_sort_config_selectorIslEEZNS1_25segmented_radix_sort_implIS3_Lb0EPKsPsPKlPlN2at6native12_GLOBAL__N_18offset_tEEE10hipError_tPvRmT1_PNSt15iterator_traitsISK_E10value_typeET2_T3_PNSL_ISQ_E10value_typeET4_jRbjT5_SW_jjP12ihipStream_tbEUlT_E2_NS1_11comp_targetILNS1_3genE9ELNS1_11target_archE1100ELNS1_3gpuE3ELNS1_3repE0EEENS1_30default_config_static_selectorELNS0_4arch9wavefront6targetE0EEEvSK_
	.p2align	8
	.type	_ZN7rocprim17ROCPRIM_400000_NS6detail17trampoline_kernelINS0_14default_configENS1_36segmented_radix_sort_config_selectorIslEEZNS1_25segmented_radix_sort_implIS3_Lb0EPKsPsPKlPlN2at6native12_GLOBAL__N_18offset_tEEE10hipError_tPvRmT1_PNSt15iterator_traitsISK_E10value_typeET2_T3_PNSL_ISQ_E10value_typeET4_jRbjT5_SW_jjP12ihipStream_tbEUlT_E2_NS1_11comp_targetILNS1_3genE9ELNS1_11target_archE1100ELNS1_3gpuE3ELNS1_3repE0EEENS1_30default_config_static_selectorELNS0_4arch9wavefront6targetE0EEEvSK_,@function
_ZN7rocprim17ROCPRIM_400000_NS6detail17trampoline_kernelINS0_14default_configENS1_36segmented_radix_sort_config_selectorIslEEZNS1_25segmented_radix_sort_implIS3_Lb0EPKsPsPKlPlN2at6native12_GLOBAL__N_18offset_tEEE10hipError_tPvRmT1_PNSt15iterator_traitsISK_E10value_typeET2_T3_PNSL_ISQ_E10value_typeET4_jRbjT5_SW_jjP12ihipStream_tbEUlT_E2_NS1_11comp_targetILNS1_3genE9ELNS1_11target_archE1100ELNS1_3gpuE3ELNS1_3repE0EEENS1_30default_config_static_selectorELNS0_4arch9wavefront6targetE0EEEvSK_: ; @_ZN7rocprim17ROCPRIM_400000_NS6detail17trampoline_kernelINS0_14default_configENS1_36segmented_radix_sort_config_selectorIslEEZNS1_25segmented_radix_sort_implIS3_Lb0EPKsPsPKlPlN2at6native12_GLOBAL__N_18offset_tEEE10hipError_tPvRmT1_PNSt15iterator_traitsISK_E10value_typeET2_T3_PNSL_ISQ_E10value_typeET4_jRbjT5_SW_jjP12ihipStream_tbEUlT_E2_NS1_11comp_targetILNS1_3genE9ELNS1_11target_archE1100ELNS1_3gpuE3ELNS1_3repE0EEENS1_30default_config_static_selectorELNS0_4arch9wavefront6targetE0EEEvSK_
; %bb.0:
	s_load_b128 s[4:7], s[0:1], 0x34
	s_mov_b32 s32, 0
	s_waitcnt lgkmcnt(0)
	s_add_i32 s62, s5, s14
	s_add_i32 s63, s7, s14
	s_mul_i32 s62, s62, s4
	s_mul_i32 s63, s63, s6
	s_delay_alu instid0(SALU_CYCLE_1)
	s_cmp_le_u32 s63, s62
	s_cbranch_scc1 .LBB1051_1198
; %bb.1:
	s_clause 0x3
	s_load_b32 s2, s[0:1], 0x30
	s_load_b128 s[52:55], s[0:1], 0x20
	s_load_b128 s[56:59], s[0:1], 0x44
	s_load_b256 s[36:43], s[0:1], 0x0
	s_waitcnt lgkmcnt(0)
	s_bitcmp1_b32 s2, 0
	s_mov_b32 s2, -1
	s_cselect_b32 s59, -1, 0
	s_sub_i32 s64, s63, s62
	s_delay_alu instid0(SALU_CYCLE_1)
	s_cmpk_lt_u32 s64, 0x1001
	s_cbranch_scc0 .LBB1051_15
; %bb.2:
	s_cmp_lt_u32 s64, 33
	s_cbranch_scc0 .LBB1051_9
; %bb.3:
	s_load_b32 s2, s[0:1], 0x5c
	v_bfe_u32 v1, v0, 10, 10
	v_bfe_u32 v2, v0, 20, 10
	s_mov_b32 s18, exec_lo
	s_waitcnt lgkmcnt(0)
	s_lshr_b32 s3, s2, 16
	s_and_b32 s2, s2, 0xffff
	v_mad_u32_u24 v4, v2, s3, v1
	v_and_b32_e32 v1, 0x3ff, v0
	s_delay_alu instid0(VALU_DEP_1) | instskip(NEXT) | instid1(VALU_DEP_1)
	v_mad_u64_u32 v[2:3], null, v4, s2, v[1:2]
	v_cmpx_gt_u32_e32 8, v2
	s_cbranch_execz .LBB1051_8
; %bb.4:
	v_cndmask_b32_e64 v1, 0, 1, s59
	s_and_b32 s2, s56, 1
	s_delay_alu instid0(VALU_DEP_1) | instid1(SALU_CYCLE_1)
	v_cmp_ne_u32_e32 vcc_lo, s2, v1
	s_mov_b32 s2, -1
	s_cbranch_vccnz .LBB1051_6
; %bb.5:
	s_mov_b64 s[2:3], src_shared_base
	v_mov_b32_e32 v31, v0
	v_dual_mov_b32 v40, v0 :: v_dual_mov_b32 v1, s37
	v_mov_b32_e32 v0, s36
	v_dual_mov_b32 v2, s40 :: v_dual_mov_b32 v3, s41
	v_dual_mov_b32 v4, s42 :: v_dual_mov_b32 v5, s43
	;; [unrolled: 1-line block ×6, first 2 shown]
	s_add_u32 s8, s0, 0x50
	s_addc_u32 s9, s1, 0
	s_mov_b32 s12, s14
	s_mov_b32 s13, s15
	s_getpc_b64 s[4:5]
	s_add_u32 s4, s4, _ZN7rocprim17ROCPRIM_400000_NS6detail26segmented_warp_sort_helperINS1_20WarpSortHelperConfigILj8ELj4ELj256EEEslLi256ELb0EvE4sortIPKsPsPKlPlEEvT_T0_T1_T2_jjjjRNS5_12storage_typeE@rel32@lo+4
	s_addc_u32 s5, s5, _ZN7rocprim17ROCPRIM_400000_NS6detail26segmented_warp_sort_helperINS1_20WarpSortHelperConfigILj8ELj4ELj256EEEslLi256ELb0EvE4sortIPKsPsPKlPlEEvT_T0_T1_T2_jjjjRNS5_12storage_typeE@rel32@hi+12
	s_mov_b64 s[16:17], s[0:1]
	s_mov_b32 s19, s14
	s_swappc_b64 s[30:31], s[4:5]
	v_mov_b32_e32 v0, v40
	s_mov_b32 s14, s19
	s_mov_b64 s[0:1], s[16:17]
	s_mov_b32 s2, 0
.LBB1051_6:
	s_delay_alu instid0(SALU_CYCLE_1)
	s_and_not1_b32 vcc_lo, exec_lo, s2
	s_cbranch_vccnz .LBB1051_8
; %bb.7:
	s_mov_b64 s[2:3], src_shared_base
	v_mov_b32_e32 v31, v0
	v_dual_mov_b32 v40, v0 :: v_dual_mov_b32 v1, s37
	v_mov_b32_e32 v0, s36
	v_dual_mov_b32 v2, s38 :: v_dual_mov_b32 v3, s39
	v_dual_mov_b32 v4, s42 :: v_dual_mov_b32 v5, s43
	;; [unrolled: 1-line block ×6, first 2 shown]
	s_add_u32 s8, s0, 0x50
	s_addc_u32 s9, s1, 0
	s_mov_b32 s12, s14
	s_mov_b32 s13, s15
	s_getpc_b64 s[4:5]
	s_add_u32 s4, s4, _ZN7rocprim17ROCPRIM_400000_NS6detail26segmented_warp_sort_helperINS1_20WarpSortHelperConfigILj8ELj4ELj256EEEslLi256ELb0EvE4sortIPKsPsPKlPlEEvT_T0_T1_T2_jjjjRNS5_12storage_typeE@rel32@lo+4
	s_addc_u32 s5, s5, _ZN7rocprim17ROCPRIM_400000_NS6detail26segmented_warp_sort_helperINS1_20WarpSortHelperConfigILj8ELj4ELj256EEEslLi256ELb0EvE4sortIPKsPsPKlPlEEvT_T0_T1_T2_jjjjRNS5_12storage_typeE@rel32@hi+12
	s_mov_b64 s[16:17], s[0:1]
	s_mov_b32 s19, s14
	s_swappc_b64 s[30:31], s[4:5]
	v_mov_b32_e32 v0, v40
	s_mov_b32 s14, s19
	s_mov_b64 s[0:1], s[16:17]
.LBB1051_8:
	s_or_b32 exec_lo, exec_lo, s18
	s_mov_b32 s2, 0
.LBB1051_9:
	s_delay_alu instid0(SALU_CYCLE_1)
	s_and_not1_b32 vcc_lo, exec_lo, s2
	s_cbranch_vccnz .LBB1051_14
; %bb.10:
	v_cndmask_b32_e64 v1, 0, 1, s59
	s_and_b32 s2, s56, 1
	s_delay_alu instid0(VALU_DEP_1) | instid1(SALU_CYCLE_1)
	v_cmp_ne_u32_e32 vcc_lo, s2, v1
	s_mov_b32 s2, -1
	s_cbranch_vccnz .LBB1051_12
; %bb.11:
	s_mov_b64 s[2:3], src_shared_base
	v_mov_b32_e32 v31, v0
	v_dual_mov_b32 v40, v0 :: v_dual_mov_b32 v1, s37
	v_mov_b32_e32 v0, s36
	v_dual_mov_b32 v2, s40 :: v_dual_mov_b32 v3, s41
	v_dual_mov_b32 v4, s42 :: v_dual_mov_b32 v5, s43
	;; [unrolled: 1-line block ×6, first 2 shown]
	s_add_u32 s8, s0, 0x50
	s_addc_u32 s9, s1, 0
	s_mov_b32 s12, s14
	s_mov_b32 s13, s15
	s_getpc_b64 s[4:5]
	s_add_u32 s4, s4, _ZN7rocprim17ROCPRIM_400000_NS6detail40segmented_radix_sort_single_block_helperIslLj256ELj16ELb0EE4sortIPKsPsPKlPlEEbT_T0_T1_T2_jjjjRNS3_12storage_typeE@rel32@lo+4
	s_addc_u32 s5, s5, _ZN7rocprim17ROCPRIM_400000_NS6detail40segmented_radix_sort_single_block_helperIslLj256ELj16ELb0EE4sortIPKsPsPKlPlEEbT_T0_T1_T2_jjjjRNS3_12storage_typeE@rel32@hi+12
	s_mov_b64 s[26:27], s[0:1]
	s_mov_b32 s28, s15
	s_mov_b32 s29, s14
	s_swappc_b64 s[30:31], s[4:5]
	v_mov_b32_e32 v0, v40
	s_mov_b32 s14, s29
	s_mov_b32 s15, s28
	s_mov_b64 s[0:1], s[26:27]
	s_mov_b32 s2, 0
.LBB1051_12:
	s_delay_alu instid0(SALU_CYCLE_1)
	s_and_not1_b32 vcc_lo, exec_lo, s2
	s_cbranch_vccnz .LBB1051_14
; %bb.13:
	s_mov_b64 s[2:3], src_shared_base
	v_mov_b32_e32 v31, v0
	v_dual_mov_b32 v40, v0 :: v_dual_mov_b32 v1, s37
	v_mov_b32_e32 v0, s36
	v_dual_mov_b32 v2, s38 :: v_dual_mov_b32 v3, s39
	v_dual_mov_b32 v4, s42 :: v_dual_mov_b32 v5, s43
	;; [unrolled: 1-line block ×6, first 2 shown]
	s_add_u32 s8, s0, 0x50
	s_addc_u32 s9, s1, 0
	s_mov_b32 s12, s14
	s_mov_b32 s13, s15
	s_getpc_b64 s[4:5]
	s_add_u32 s4, s4, _ZN7rocprim17ROCPRIM_400000_NS6detail40segmented_radix_sort_single_block_helperIslLj256ELj16ELb0EE4sortIPKsPsPKlPlEEbT_T0_T1_T2_jjjjRNS3_12storage_typeE@rel32@lo+4
	s_addc_u32 s5, s5, _ZN7rocprim17ROCPRIM_400000_NS6detail40segmented_radix_sort_single_block_helperIslLj256ELj16ELb0EE4sortIPKsPsPKlPlEEbT_T0_T1_T2_jjjjRNS3_12storage_typeE@rel32@hi+12
	s_mov_b64 s[26:27], s[0:1]
	s_mov_b32 s29, s15
	s_mov_b32 s28, s14
	s_swappc_b64 s[30:31], s[4:5]
	v_mov_b32_e32 v0, v40
	s_mov_b32 s14, s28
	s_mov_b32 s15, s29
	s_mov_b64 s[0:1], s[26:27]
.LBB1051_14:
	s_mov_b32 s2, 0
.LBB1051_15:
	s_delay_alu instid0(SALU_CYCLE_1)
	s_and_not1_b32 vcc_lo, exec_lo, s2
	s_cbranch_vccnz .LBB1051_1198
; %bb.16:
	s_cmp_ge_u32 s57, s58
	s_cbranch_scc1 .LBB1051_1198
; %bb.17:
	v_and_b32_e32 v18, 0x3ff, v0
	v_bfe_u32 v72, v0, 20, 10
	v_bfe_u32 v74, v0, 10, 10
	v_mov_b32_e32 v20, 0
	s_add_u32 s60, s0, 0x50
	v_lshlrev_b32_e32 v47, 2, v18
	v_lshrrev_b32_e32 v2, 3, v18
	v_or_b32_e32 v3, 31, v18
	v_dual_mov_b32 v98, 1 :: v_dual_lshlrev_b32 v1, 1, v18
	s_delay_alu instid0(VALU_DEP_4) | instskip(NEXT) | instid1(VALU_DEP_4)
	v_mad_u32_u24 v67, v18, 12, v47
	v_and_b32_e32 v65, 28, v2
	v_lshlrev_b32_e32 v2, 4, v18
	v_cmp_eq_u32_e64 s3, v3, v18
	v_add_nc_u32_e32 v3, 1, v18
	v_mad_u32_u24 v73, v18, 20, v67
	v_lshlrev_b32_e32 v4, 5, v18
	v_and_b32_e32 v71, 0xe00, v2
	v_mul_u32_u24_e32 v2, 9, v18
	v_mul_u32_u24_e32 v0, 9, v3
	v_add_co_u32 v52, s2, s40, v1
	v_or_b32_e32 v48, 0x100, v18
	s_delay_alu instid0(VALU_DEP_4)
	v_lshl_add_u32 v75, v2, 2, 0x420
	v_lshlrev_b32_e32 v2, 3, v71
	v_lshlrev_b32_e32 v77, 2, v0
	v_lshlrev_b32_e32 v0, 1, v71
	v_or_b32_e32 v49, 0x200, v18
	v_or_b32_e32 v50, 0x300, v18
	v_add_co_u32 v78, s7, s54, v2
	s_delay_alu instid0(VALU_DEP_1) | instskip(SKIP_1) | instid1(VALU_DEP_1)
	v_add_co_ci_u32_e64 v79, null, s55, 0, s7
	v_add_co_u32 v80, s7, s40, v0
	v_add_co_ci_u32_e64 v81, null, s41, 0, s7
	v_add_co_u32 v86, s7, s38, v1
	s_delay_alu instid0(VALU_DEP_1) | instskip(SKIP_1) | instid1(VALU_DEP_1)
	v_add_co_ci_u32_e64 v87, null, s39, 0, s7
	v_add_co_u32 v88, s7, s52, v2
	v_add_co_ci_u32_e64 v89, null, s53, 0, s7
	;; [unrolled: 5-line block ×3, first 2 shown]
	v_add_co_u32 v94, s7, s42, v2
	s_delay_alu instid0(VALU_DEP_1)
	v_add_co_ci_u32_e64 v95, null, s43, 0, s7
	v_add_co_u32 v96, s7, s36, v0
	v_and_b32_e32 v51, 3, v18
	v_add_co_ci_u32_e64 v53, null, s41, 0, s2
	v_or_b32_e32 v54, 0x400, v18
	v_or_b32_e32 v55, 0x500, v18
	;; [unrolled: 1-line block ×12, first 2 shown]
	v_cmp_gt_u32_e64 s2, 0x100, v18
	v_or_b32_e32 v68, 0x8400, v65
	v_cmp_gt_u32_e64 s4, 8, v18
	v_add_nc_u32_e32 v69, 0x8400, v47
	v_cmp_lt_u32_e64 s5, 31, v18
	v_add_nc_u32_e32 v70, 0x83fc, v65
	v_sub_nc_u32_e32 v76, v73, v4
	v_cmp_eq_u32_e64 s0, 0, v18
	v_cmp_ne_u32_e64 s6, 0x100, v3
	v_sub_nc_u32_e32 v82, 0, v1
	v_add_nc_u32_e32 v83, 0x400, v1
	v_dual_mov_b32 v1, 0x7fff7fff :: v_dual_lshlrev_b32 v84, 3, v18
	v_mul_u32_u24_e32 v85, 6, v18
	v_add_co_ci_u32_e64 v97, null, s37, 0, s7
	v_lshlrev_b32_e32 v99, 1, v18
	v_mbcnt_lo_u32_b32 v100, -1, 0
	s_mov_b32 s35, 0
	s_addc_u32 s61, s1, 0
	s_mov_b32 s44, 0x7fff7fff
	s_mov_b32 s42, s57
	s_branch .LBB1051_20
.LBB1051_18:                            ;   in Loop: Header=BB1051_20 Depth=1
	s_waitcnt lgkmcnt(0)
	s_barrier
.LBB1051_19:                            ;   in Loop: Header=BB1051_20 Depth=1
	s_add_i32 s42, s42, 8
	buffer_gl0_inv
	s_cmp_ge_u32 s42, s58
	s_cbranch_scc1 .LBB1051_1198
.LBB1051_20:                            ; =>This Loop Header: Depth=1
                                        ;     Child Loop BB1051_24 Depth 2
                                        ;     Child Loop BB1051_106 Depth 2
	;; [unrolled: 1-line block ×8, first 2 shown]
	s_sub_i32 s1, s58, s42
	s_xor_b32 s59, s59, -1
	s_min_u32 s1, s1, 8
	ds_store_2addr_stride64_b32 v47, v20, v20 offset1:4
	s_lshl_b32 s1, -1, s1
	ds_store_2addr_stride64_b32 v47, v20, v20 offset0:8 offset1:12
	s_not_b32 s43, s1
	s_cmp_lg_u32 s42, s57
	s_mov_b32 s1, -1
	s_waitcnt lgkmcnt(0)
	s_waitcnt_vscnt null, 0x0
	s_cbranch_scc0 .LBB1051_610
; %bb.21:                               ;   in Loop: Header=BB1051_20 Depth=1
	s_and_b32 vcc_lo, exec_lo, s59
	s_cbranch_vccz .LBB1051_315
; %bb.22:                               ;   in Loop: Header=BB1051_20 Depth=1
	s_mov_b32 s1, s64
	s_mov_b32 s34, s62
	s_barrier
	buffer_gl0_inv
                                        ; implicit-def: $vgpr2_vgpr3_vgpr4_vgpr5_vgpr6_vgpr7_vgpr8_vgpr9
	s_branch .LBB1051_24
.LBB1051_23:                            ;   in Loop: Header=BB1051_24 Depth=2
	s_or_b32 exec_lo, exec_lo, s8
	s_addk_i32 s1, 0xf000
	s_cmp_ge_u32 s7, s63
	s_mov_b32 s34, s7
	s_cbranch_scc1 .LBB1051_94
.LBB1051_24:                            ;   Parent Loop BB1051_20 Depth=1
                                        ; =>  This Inner Loop Header: Depth=2
	s_add_i32 s7, s34, 0x1000
	s_delay_alu instid0(SALU_CYCLE_1)
	s_cmp_gt_u32 s7, s63
	s_cbranch_scc1 .LBB1051_27
; %bb.25:                               ;   in Loop: Header=BB1051_24 Depth=2
	s_mov_b32 s9, 0
	s_mov_b32 s8, s34
	s_waitcnt vmcnt(7)
	v_mov_b32_e32 v17, v9
	s_lshl_b64 s[10:11], s[8:9], 1
	s_delay_alu instid0(SALU_CYCLE_1) | instskip(SKIP_2) | instid1(VALU_DEP_2)
	v_add_co_u32 v21, vcc_lo, v52, s10
	v_add_co_ci_u32_e32 v22, vcc_lo, s11, v53, vcc_lo
	s_movk_i32 s11, 0x1000
	v_add_co_u32 v23, vcc_lo, 0x1000, v21
	s_delay_alu instid0(VALU_DEP_2)
	v_add_co_ci_u32_e32 v24, vcc_lo, 0, v22, vcc_lo
	s_clause 0x6
	global_load_u16 v10, v[21:22], off
	global_load_u16 v11, v[21:22], off offset:1024
	global_load_u16 v12, v[21:22], off offset:2048
	;; [unrolled: 1-line block ×3, first 2 shown]
	global_load_u16 v14, v[23:24], off
	global_load_u16 v15, v[23:24], off offset:1024
	global_load_u16 v16, v[23:24], off offset:2048
	s_mov_b32 s10, -1
	s_clause 0x7
	global_load_d16_b16 v17, v[23:24], off offset:3072
	global_load_d16_hi_b16 v10, v[21:22], off offset:512
	global_load_d16_hi_b16 v11, v[21:22], off offset:1536
	;; [unrolled: 1-line block ×7, first 2 shown]
	v_add_co_u32 v21, vcc_lo, 0x1e00, v21
	v_add_co_ci_u32_e32 v22, vcc_lo, 0, v22, vcc_lo
	s_cbranch_execz .LBB1051_28
; %bb.26:                               ;   in Loop: Header=BB1051_24 Depth=2
                                        ; implicit-def: $vgpr2_vgpr3_vgpr4_vgpr5_vgpr6_vgpr7_vgpr8_vgpr9
	v_mov_b32_e32 v0, s1
	s_and_saveexec_b32 s8, s10
	s_cbranch_execnz .LBB1051_47
	s_branch .LBB1051_48
.LBB1051_27:                            ;   in Loop: Header=BB1051_24 Depth=2
	s_mov_b32 s10, 0
                                        ; implicit-def: $sgpr11
                                        ; implicit-def: $vgpr10_vgpr11_vgpr12_vgpr13_vgpr14_vgpr15_vgpr16_vgpr17
                                        ; implicit-def: $vgpr21_vgpr22
.LBB1051_28:                            ;   in Loop: Header=BB1051_24 Depth=2
	s_lshl_b64 s[8:9], s[34:35], 1
	s_mov_b32 s11, exec_lo
	s_add_u32 s8, s40, s8
	s_addc_u32 s9, s41, s9
	v_cmpx_gt_u32_e64 s1, v18
	s_cbranch_execz .LBB1051_80
; %bb.29:                               ;   in Loop: Header=BB1051_24 Depth=2
	global_load_d16_b16 v2, v99, s[8:9]
	s_or_b32 exec_lo, exec_lo, s11
	s_delay_alu instid0(SALU_CYCLE_1)
	s_mov_b32 s11, exec_lo
	v_cmpx_gt_u32_e64 s1, v48
	s_cbranch_execnz .LBB1051_81
.LBB1051_30:                            ;   in Loop: Header=BB1051_24 Depth=2
	s_or_b32 exec_lo, exec_lo, s11
	s_delay_alu instid0(SALU_CYCLE_1)
	s_mov_b32 s11, exec_lo
	v_cmpx_gt_u32_e64 s1, v49
	s_cbranch_execz .LBB1051_82
.LBB1051_31:                            ;   in Loop: Header=BB1051_24 Depth=2
	global_load_d16_b16 v3, v99, s[8:9] offset:1024
	s_or_b32 exec_lo, exec_lo, s11
	s_delay_alu instid0(SALU_CYCLE_1)
	s_mov_b32 s11, exec_lo
	v_cmpx_gt_u32_e64 s1, v50
	s_cbranch_execnz .LBB1051_83
.LBB1051_32:                            ;   in Loop: Header=BB1051_24 Depth=2
	s_or_b32 exec_lo, exec_lo, s11
	s_delay_alu instid0(SALU_CYCLE_1)
	s_mov_b32 s11, exec_lo
	v_cmpx_gt_u32_e64 s1, v54
	s_cbranch_execz .LBB1051_84
.LBB1051_33:                            ;   in Loop: Header=BB1051_24 Depth=2
	global_load_d16_b16 v4, v99, s[8:9] offset:2048
	s_or_b32 exec_lo, exec_lo, s11
	s_delay_alu instid0(SALU_CYCLE_1)
	s_mov_b32 s11, exec_lo
	v_cmpx_gt_u32_e64 s1, v55
	s_cbranch_execnz .LBB1051_85
.LBB1051_34:                            ;   in Loop: Header=BB1051_24 Depth=2
	s_or_b32 exec_lo, exec_lo, s11
	s_delay_alu instid0(SALU_CYCLE_1)
	s_mov_b32 s11, exec_lo
	v_cmpx_gt_u32_e64 s1, v56
	s_cbranch_execz .LBB1051_86
.LBB1051_35:                            ;   in Loop: Header=BB1051_24 Depth=2
	global_load_d16_b16 v5, v99, s[8:9] offset:3072
	s_or_b32 exec_lo, exec_lo, s11
	s_delay_alu instid0(SALU_CYCLE_1)
	s_mov_b32 s11, exec_lo
	v_cmpx_gt_u32_e64 s1, v57
	s_cbranch_execnz .LBB1051_87
.LBB1051_36:                            ;   in Loop: Header=BB1051_24 Depth=2
	s_or_b32 exec_lo, exec_lo, s11
	s_delay_alu instid0(SALU_CYCLE_1)
	s_mov_b32 s11, exec_lo
	v_cmpx_gt_u32_e64 s1, v58
	s_cbranch_execz .LBB1051_88
.LBB1051_37:                            ;   in Loop: Header=BB1051_24 Depth=2
	v_lshlrev_b32_e32 v0, 1, v58
	global_load_d16_b16 v6, v0, s[8:9]
	s_or_b32 exec_lo, exec_lo, s11
	s_delay_alu instid0(SALU_CYCLE_1)
	s_mov_b32 s11, exec_lo
	v_cmpx_gt_u32_e64 s1, v59
	s_cbranch_execnz .LBB1051_89
.LBB1051_38:                            ;   in Loop: Header=BB1051_24 Depth=2
	s_or_b32 exec_lo, exec_lo, s11
	s_delay_alu instid0(SALU_CYCLE_1)
	s_mov_b32 s11, exec_lo
	v_cmpx_gt_u32_e64 s1, v60
	s_cbranch_execz .LBB1051_90
.LBB1051_39:                            ;   in Loop: Header=BB1051_24 Depth=2
	v_lshlrev_b32_e32 v0, 1, v60
	global_load_d16_b16 v7, v0, s[8:9]
	s_or_b32 exec_lo, exec_lo, s11
	s_delay_alu instid0(SALU_CYCLE_1)
	s_mov_b32 s11, exec_lo
	v_cmpx_gt_u32_e64 s1, v61
	s_cbranch_execnz .LBB1051_91
.LBB1051_40:                            ;   in Loop: Header=BB1051_24 Depth=2
	s_or_b32 exec_lo, exec_lo, s11
	s_delay_alu instid0(SALU_CYCLE_1)
	s_mov_b32 s11, exec_lo
	v_cmpx_gt_u32_e64 s1, v62
	s_cbranch_execz .LBB1051_92
.LBB1051_41:                            ;   in Loop: Header=BB1051_24 Depth=2
	v_lshlrev_b32_e32 v0, 1, v62
	global_load_d16_b16 v8, v0, s[8:9]
	s_or_b32 exec_lo, exec_lo, s11
	s_delay_alu instid0(SALU_CYCLE_1)
	s_mov_b32 s11, exec_lo
	v_cmpx_gt_u32_e64 s1, v63
	s_cbranch_execnz .LBB1051_93
.LBB1051_42:                            ;   in Loop: Header=BB1051_24 Depth=2
	s_or_b32 exec_lo, exec_lo, s11
	s_delay_alu instid0(SALU_CYCLE_1)
	s_mov_b32 s11, exec_lo
	v_cmpx_gt_u32_e64 s1, v64
	s_cbranch_execz .LBB1051_44
.LBB1051_43:                            ;   in Loop: Header=BB1051_24 Depth=2
	v_lshlrev_b32_e32 v0, 1, v64
	global_load_d16_b16 v9, v0, s[8:9]
.LBB1051_44:                            ;   in Loop: Header=BB1051_24 Depth=2
	s_or_b32 exec_lo, exec_lo, s11
	s_delay_alu instid0(SALU_CYCLE_1)
	s_mov_b32 s12, exec_lo
                                        ; implicit-def: $sgpr11
                                        ; implicit-def: $vgpr21_vgpr22
	v_cmpx_gt_u32_e64 s1, v66
; %bb.45:                               ;   in Loop: Header=BB1051_24 Depth=2
	v_lshlrev_b32_e32 v0, 1, v66
	s_sub_i32 s11, s63, s34
	s_or_b32 s10, s10, exec_lo
	s_delay_alu instid0(VALU_DEP_1) | instskip(NEXT) | instid1(VALU_DEP_1)
	v_add_co_u32 v21, s8, s8, v0
	v_add_co_ci_u32_e64 v22, null, s9, 0, s8
; %bb.46:                               ;   in Loop: Header=BB1051_24 Depth=2
	s_or_b32 exec_lo, exec_lo, s12
	s_waitcnt vmcnt(0)
	v_dual_mov_b32 v17, v9 :: v_dual_mov_b32 v16, v8
	v_dual_mov_b32 v15, v7 :: v_dual_mov_b32 v14, v6
	;; [unrolled: 1-line block ×4, first 2 shown]
	v_mov_b32_e32 v0, s1
	s_and_saveexec_b32 s8, s10
	s_cbranch_execz .LBB1051_48
.LBB1051_47:                            ;   in Loop: Header=BB1051_24 Depth=2
	global_load_d16_hi_b16 v17, v[21:22], off
	s_waitcnt vmcnt(0)
	v_dual_mov_b32 v2, v10 :: v_dual_mov_b32 v5, v13
	v_dual_mov_b32 v0, s11 :: v_dual_mov_b32 v3, v11
	;; [unrolled: 1-line block ×3, first 2 shown]
	v_mov_b32_e32 v6, v14
	v_dual_mov_b32 v8, v16 :: v_dual_mov_b32 v9, v17
.LBB1051_48:                            ;   in Loop: Header=BB1051_24 Depth=2
	s_or_b32 exec_lo, exec_lo, s8
	s_delay_alu instid0(SALU_CYCLE_1)
	s_mov_b32 s8, exec_lo
	v_cmpx_lt_u32_e64 v18, v0
	s_cbranch_execz .LBB1051_64
; %bb.49:                               ;   in Loop: Header=BB1051_24 Depth=2
	s_waitcnt vmcnt(6)
	v_xor_b32_e32 v10, 0xffff8000, v2
	s_waitcnt vmcnt(5)
	v_lshlrev_b32_e32 v11, 2, v51
	s_delay_alu instid0(VALU_DEP_2) | instskip(NEXT) | instid1(VALU_DEP_1)
	v_and_b32_e32 v10, 0xffff, v10
	v_lshrrev_b32_e32 v10, s42, v10
	s_delay_alu instid0(VALU_DEP_1) | instskip(NEXT) | instid1(VALU_DEP_1)
	v_and_b32_e32 v10, s43, v10
	v_lshl_or_b32 v10, v10, 4, v11
	ds_add_u32 v10, v98
	s_or_b32 exec_lo, exec_lo, s8
	s_delay_alu instid0(SALU_CYCLE_1)
	s_mov_b32 s8, exec_lo
	v_cmpx_lt_u32_e64 v48, v0
	s_cbranch_execnz .LBB1051_65
.LBB1051_50:                            ;   in Loop: Header=BB1051_24 Depth=2
	s_or_b32 exec_lo, exec_lo, s8
	s_delay_alu instid0(SALU_CYCLE_1)
	s_mov_b32 s8, exec_lo
	v_cmpx_lt_u32_e64 v49, v0
	s_cbranch_execz .LBB1051_66
.LBB1051_51:                            ;   in Loop: Header=BB1051_24 Depth=2
	s_waitcnt vmcnt(6)
	v_xor_b32_e32 v10, 0xffff8000, v3
	s_waitcnt vmcnt(5)
	v_lshlrev_b32_e32 v11, 2, v51
	s_delay_alu instid0(VALU_DEP_2) | instskip(NEXT) | instid1(VALU_DEP_1)
	v_and_b32_e32 v10, 0xffff, v10
	v_lshrrev_b32_e32 v10, s42, v10
	s_delay_alu instid0(VALU_DEP_1) | instskip(NEXT) | instid1(VALU_DEP_1)
	v_and_b32_e32 v10, s43, v10
	v_lshl_or_b32 v10, v10, 4, v11
	ds_add_u32 v10, v98
	s_or_b32 exec_lo, exec_lo, s8
	s_delay_alu instid0(SALU_CYCLE_1)
	s_mov_b32 s8, exec_lo
	v_cmpx_lt_u32_e64 v50, v0
	s_cbranch_execnz .LBB1051_67
.LBB1051_52:                            ;   in Loop: Header=BB1051_24 Depth=2
	s_or_b32 exec_lo, exec_lo, s8
	s_delay_alu instid0(SALU_CYCLE_1)
	s_mov_b32 s8, exec_lo
	v_cmpx_lt_u32_e64 v54, v0
	s_cbranch_execz .LBB1051_68
.LBB1051_53:                            ;   in Loop: Header=BB1051_24 Depth=2
	s_waitcnt vmcnt(6)
	v_xor_b32_e32 v10, 0xffff8000, v4
	s_waitcnt vmcnt(5)
	v_lshlrev_b32_e32 v11, 2, v51
	s_delay_alu instid0(VALU_DEP_2) | instskip(NEXT) | instid1(VALU_DEP_1)
	v_and_b32_e32 v10, 0xffff, v10
	v_lshrrev_b32_e32 v10, s42, v10
	s_delay_alu instid0(VALU_DEP_1) | instskip(NEXT) | instid1(VALU_DEP_1)
	v_and_b32_e32 v10, s43, v10
	v_lshl_or_b32 v10, v10, 4, v11
	ds_add_u32 v10, v98
	s_or_b32 exec_lo, exec_lo, s8
	s_delay_alu instid0(SALU_CYCLE_1)
	s_mov_b32 s8, exec_lo
	v_cmpx_lt_u32_e64 v55, v0
	s_cbranch_execnz .LBB1051_69
.LBB1051_54:                            ;   in Loop: Header=BB1051_24 Depth=2
	s_or_b32 exec_lo, exec_lo, s8
	s_delay_alu instid0(SALU_CYCLE_1)
	s_mov_b32 s8, exec_lo
	v_cmpx_lt_u32_e64 v56, v0
	s_cbranch_execz .LBB1051_70
.LBB1051_55:                            ;   in Loop: Header=BB1051_24 Depth=2
	s_waitcnt vmcnt(6)
	v_xor_b32_e32 v10, 0xffff8000, v5
	s_waitcnt vmcnt(5)
	v_lshlrev_b32_e32 v11, 2, v51
	s_delay_alu instid0(VALU_DEP_2) | instskip(NEXT) | instid1(VALU_DEP_1)
	v_and_b32_e32 v10, 0xffff, v10
	v_lshrrev_b32_e32 v10, s42, v10
	s_delay_alu instid0(VALU_DEP_1) | instskip(NEXT) | instid1(VALU_DEP_1)
	v_and_b32_e32 v10, s43, v10
	v_lshl_or_b32 v10, v10, 4, v11
	ds_add_u32 v10, v98
	s_or_b32 exec_lo, exec_lo, s8
	s_delay_alu instid0(SALU_CYCLE_1)
	s_mov_b32 s8, exec_lo
	v_cmpx_lt_u32_e64 v57, v0
	s_cbranch_execnz .LBB1051_71
.LBB1051_56:                            ;   in Loop: Header=BB1051_24 Depth=2
	s_or_b32 exec_lo, exec_lo, s8
	s_delay_alu instid0(SALU_CYCLE_1)
	s_mov_b32 s8, exec_lo
	v_cmpx_lt_u32_e64 v58, v0
	s_cbranch_execz .LBB1051_72
.LBB1051_57:                            ;   in Loop: Header=BB1051_24 Depth=2
	s_waitcnt vmcnt(6)
	v_xor_b32_e32 v10, 0xffff8000, v6
	s_waitcnt vmcnt(5)
	v_lshlrev_b32_e32 v11, 2, v51
	s_delay_alu instid0(VALU_DEP_2) | instskip(NEXT) | instid1(VALU_DEP_1)
	v_and_b32_e32 v10, 0xffff, v10
	v_lshrrev_b32_e32 v10, s42, v10
	s_delay_alu instid0(VALU_DEP_1) | instskip(NEXT) | instid1(VALU_DEP_1)
	v_and_b32_e32 v10, s43, v10
	v_lshl_or_b32 v10, v10, 4, v11
	ds_add_u32 v10, v98
	s_or_b32 exec_lo, exec_lo, s8
	s_delay_alu instid0(SALU_CYCLE_1)
	s_mov_b32 s8, exec_lo
	v_cmpx_lt_u32_e64 v59, v0
	s_cbranch_execnz .LBB1051_73
.LBB1051_58:                            ;   in Loop: Header=BB1051_24 Depth=2
	s_or_b32 exec_lo, exec_lo, s8
	s_delay_alu instid0(SALU_CYCLE_1)
	s_mov_b32 s8, exec_lo
	v_cmpx_lt_u32_e64 v60, v0
	s_cbranch_execz .LBB1051_74
.LBB1051_59:                            ;   in Loop: Header=BB1051_24 Depth=2
	s_waitcnt vmcnt(6)
	v_xor_b32_e32 v10, 0xffff8000, v7
	s_waitcnt vmcnt(5)
	v_lshlrev_b32_e32 v11, 2, v51
	s_delay_alu instid0(VALU_DEP_2) | instskip(NEXT) | instid1(VALU_DEP_1)
	v_and_b32_e32 v10, 0xffff, v10
	v_lshrrev_b32_e32 v10, s42, v10
	s_delay_alu instid0(VALU_DEP_1) | instskip(NEXT) | instid1(VALU_DEP_1)
	v_and_b32_e32 v10, s43, v10
	v_lshl_or_b32 v10, v10, 4, v11
	ds_add_u32 v10, v98
	s_or_b32 exec_lo, exec_lo, s8
	s_delay_alu instid0(SALU_CYCLE_1)
	s_mov_b32 s8, exec_lo
	v_cmpx_lt_u32_e64 v61, v0
	s_cbranch_execnz .LBB1051_75
.LBB1051_60:                            ;   in Loop: Header=BB1051_24 Depth=2
	s_or_b32 exec_lo, exec_lo, s8
	s_delay_alu instid0(SALU_CYCLE_1)
	s_mov_b32 s8, exec_lo
	v_cmpx_lt_u32_e64 v62, v0
	s_cbranch_execz .LBB1051_76
.LBB1051_61:                            ;   in Loop: Header=BB1051_24 Depth=2
	s_waitcnt vmcnt(6)
	v_xor_b32_e32 v10, 0xffff8000, v8
	s_waitcnt vmcnt(5)
	v_lshlrev_b32_e32 v11, 2, v51
	s_delay_alu instid0(VALU_DEP_2) | instskip(NEXT) | instid1(VALU_DEP_1)
	v_and_b32_e32 v10, 0xffff, v10
	v_lshrrev_b32_e32 v10, s42, v10
	s_delay_alu instid0(VALU_DEP_1) | instskip(NEXT) | instid1(VALU_DEP_1)
	v_and_b32_e32 v10, s43, v10
	v_lshl_or_b32 v10, v10, 4, v11
	ds_add_u32 v10, v98
	s_or_b32 exec_lo, exec_lo, s8
	s_delay_alu instid0(SALU_CYCLE_1)
	s_mov_b32 s8, exec_lo
	v_cmpx_lt_u32_e64 v63, v0
	s_cbranch_execnz .LBB1051_77
.LBB1051_62:                            ;   in Loop: Header=BB1051_24 Depth=2
	s_or_b32 exec_lo, exec_lo, s8
	s_delay_alu instid0(SALU_CYCLE_1)
	s_mov_b32 s8, exec_lo
	v_cmpx_lt_u32_e64 v64, v0
	s_cbranch_execz .LBB1051_78
.LBB1051_63:                            ;   in Loop: Header=BB1051_24 Depth=2
	s_waitcnt vmcnt(6)
	v_xor_b32_e32 v10, 0xffff8000, v9
	s_waitcnt vmcnt(5)
	v_lshlrev_b32_e32 v11, 2, v51
	s_delay_alu instid0(VALU_DEP_2) | instskip(NEXT) | instid1(VALU_DEP_1)
	v_and_b32_e32 v10, 0xffff, v10
	v_lshrrev_b32_e32 v10, s42, v10
	s_delay_alu instid0(VALU_DEP_1) | instskip(NEXT) | instid1(VALU_DEP_1)
	v_and_b32_e32 v10, s43, v10
	v_lshl_or_b32 v10, v10, 4, v11
	ds_add_u32 v10, v98
	s_or_b32 exec_lo, exec_lo, s8
	s_delay_alu instid0(SALU_CYCLE_1)
	s_mov_b32 s8, exec_lo
	v_cmpx_lt_u32_e64 v66, v0
	s_cbranch_execz .LBB1051_23
	s_branch .LBB1051_79
.LBB1051_64:                            ;   in Loop: Header=BB1051_24 Depth=2
	s_or_b32 exec_lo, exec_lo, s8
	s_delay_alu instid0(SALU_CYCLE_1)
	s_mov_b32 s8, exec_lo
	v_cmpx_lt_u32_e64 v48, v0
	s_cbranch_execz .LBB1051_50
.LBB1051_65:                            ;   in Loop: Header=BB1051_24 Depth=2
	s_waitcnt vmcnt(6)
	v_lshrrev_b32_e32 v10, 16, v2
	s_waitcnt vmcnt(5)
	v_lshlrev_b32_e32 v11, 2, v51
	s_delay_alu instid0(VALU_DEP_2) | instskip(NEXT) | instid1(VALU_DEP_1)
	v_xor_b32_e32 v10, 0xffff8000, v10
	v_and_b32_e32 v10, 0xffff, v10
	s_delay_alu instid0(VALU_DEP_1) | instskip(NEXT) | instid1(VALU_DEP_1)
	v_lshrrev_b32_e32 v10, s42, v10
	v_and_b32_e32 v10, s43, v10
	s_delay_alu instid0(VALU_DEP_1) | instskip(SKIP_2) | instid1(SALU_CYCLE_1)
	v_lshl_or_b32 v10, v10, 4, v11
	ds_add_u32 v10, v98
	s_or_b32 exec_lo, exec_lo, s8
	s_mov_b32 s8, exec_lo
	v_cmpx_lt_u32_e64 v49, v0
	s_cbranch_execnz .LBB1051_51
.LBB1051_66:                            ;   in Loop: Header=BB1051_24 Depth=2
	s_or_b32 exec_lo, exec_lo, s8
	s_delay_alu instid0(SALU_CYCLE_1)
	s_mov_b32 s8, exec_lo
	v_cmpx_lt_u32_e64 v50, v0
	s_cbranch_execz .LBB1051_52
.LBB1051_67:                            ;   in Loop: Header=BB1051_24 Depth=2
	s_waitcnt vmcnt(6)
	v_lshrrev_b32_e32 v10, 16, v3
	s_waitcnt vmcnt(5)
	v_lshlrev_b32_e32 v11, 2, v51
	s_delay_alu instid0(VALU_DEP_2) | instskip(NEXT) | instid1(VALU_DEP_1)
	v_xor_b32_e32 v10, 0xffff8000, v10
	v_and_b32_e32 v10, 0xffff, v10
	s_delay_alu instid0(VALU_DEP_1) | instskip(NEXT) | instid1(VALU_DEP_1)
	v_lshrrev_b32_e32 v10, s42, v10
	v_and_b32_e32 v10, s43, v10
	s_delay_alu instid0(VALU_DEP_1) | instskip(SKIP_2) | instid1(SALU_CYCLE_1)
	v_lshl_or_b32 v10, v10, 4, v11
	ds_add_u32 v10, v98
	s_or_b32 exec_lo, exec_lo, s8
	s_mov_b32 s8, exec_lo
	v_cmpx_lt_u32_e64 v54, v0
	s_cbranch_execnz .LBB1051_53
.LBB1051_68:                            ;   in Loop: Header=BB1051_24 Depth=2
	s_or_b32 exec_lo, exec_lo, s8
	s_delay_alu instid0(SALU_CYCLE_1)
	s_mov_b32 s8, exec_lo
	v_cmpx_lt_u32_e64 v55, v0
	s_cbranch_execz .LBB1051_54
.LBB1051_69:                            ;   in Loop: Header=BB1051_24 Depth=2
	s_waitcnt vmcnt(6)
	v_lshrrev_b32_e32 v10, 16, v4
	s_waitcnt vmcnt(5)
	v_lshlrev_b32_e32 v11, 2, v51
	s_delay_alu instid0(VALU_DEP_2) | instskip(NEXT) | instid1(VALU_DEP_1)
	v_xor_b32_e32 v10, 0xffff8000, v10
	v_and_b32_e32 v10, 0xffff, v10
	s_delay_alu instid0(VALU_DEP_1) | instskip(NEXT) | instid1(VALU_DEP_1)
	v_lshrrev_b32_e32 v10, s42, v10
	v_and_b32_e32 v10, s43, v10
	s_delay_alu instid0(VALU_DEP_1) | instskip(SKIP_2) | instid1(SALU_CYCLE_1)
	v_lshl_or_b32 v10, v10, 4, v11
	ds_add_u32 v10, v98
	s_or_b32 exec_lo, exec_lo, s8
	s_mov_b32 s8, exec_lo
	v_cmpx_lt_u32_e64 v56, v0
	s_cbranch_execnz .LBB1051_55
.LBB1051_70:                            ;   in Loop: Header=BB1051_24 Depth=2
	s_or_b32 exec_lo, exec_lo, s8
	s_delay_alu instid0(SALU_CYCLE_1)
	s_mov_b32 s8, exec_lo
	v_cmpx_lt_u32_e64 v57, v0
	s_cbranch_execz .LBB1051_56
.LBB1051_71:                            ;   in Loop: Header=BB1051_24 Depth=2
	s_waitcnt vmcnt(6)
	v_lshrrev_b32_e32 v10, 16, v5
	s_waitcnt vmcnt(5)
	v_lshlrev_b32_e32 v11, 2, v51
	s_delay_alu instid0(VALU_DEP_2) | instskip(NEXT) | instid1(VALU_DEP_1)
	v_xor_b32_e32 v10, 0xffff8000, v10
	v_and_b32_e32 v10, 0xffff, v10
	s_delay_alu instid0(VALU_DEP_1) | instskip(NEXT) | instid1(VALU_DEP_1)
	v_lshrrev_b32_e32 v10, s42, v10
	v_and_b32_e32 v10, s43, v10
	s_delay_alu instid0(VALU_DEP_1) | instskip(SKIP_2) | instid1(SALU_CYCLE_1)
	v_lshl_or_b32 v10, v10, 4, v11
	ds_add_u32 v10, v98
	s_or_b32 exec_lo, exec_lo, s8
	s_mov_b32 s8, exec_lo
	v_cmpx_lt_u32_e64 v58, v0
	s_cbranch_execnz .LBB1051_57
.LBB1051_72:                            ;   in Loop: Header=BB1051_24 Depth=2
	s_or_b32 exec_lo, exec_lo, s8
	s_delay_alu instid0(SALU_CYCLE_1)
	s_mov_b32 s8, exec_lo
	v_cmpx_lt_u32_e64 v59, v0
	s_cbranch_execz .LBB1051_58
.LBB1051_73:                            ;   in Loop: Header=BB1051_24 Depth=2
	s_waitcnt vmcnt(6)
	v_lshrrev_b32_e32 v10, 16, v6
	s_waitcnt vmcnt(5)
	v_lshlrev_b32_e32 v11, 2, v51
	s_delay_alu instid0(VALU_DEP_2) | instskip(NEXT) | instid1(VALU_DEP_1)
	v_xor_b32_e32 v10, 0xffff8000, v10
	v_and_b32_e32 v10, 0xffff, v10
	s_delay_alu instid0(VALU_DEP_1) | instskip(NEXT) | instid1(VALU_DEP_1)
	v_lshrrev_b32_e32 v10, s42, v10
	v_and_b32_e32 v10, s43, v10
	s_delay_alu instid0(VALU_DEP_1) | instskip(SKIP_2) | instid1(SALU_CYCLE_1)
	v_lshl_or_b32 v10, v10, 4, v11
	ds_add_u32 v10, v98
	s_or_b32 exec_lo, exec_lo, s8
	s_mov_b32 s8, exec_lo
	v_cmpx_lt_u32_e64 v60, v0
	s_cbranch_execnz .LBB1051_59
.LBB1051_74:                            ;   in Loop: Header=BB1051_24 Depth=2
	s_or_b32 exec_lo, exec_lo, s8
	s_delay_alu instid0(SALU_CYCLE_1)
	s_mov_b32 s8, exec_lo
	v_cmpx_lt_u32_e64 v61, v0
	s_cbranch_execz .LBB1051_60
.LBB1051_75:                            ;   in Loop: Header=BB1051_24 Depth=2
	s_waitcnt vmcnt(6)
	v_lshrrev_b32_e32 v10, 16, v7
	s_waitcnt vmcnt(5)
	v_lshlrev_b32_e32 v11, 2, v51
	s_delay_alu instid0(VALU_DEP_2) | instskip(NEXT) | instid1(VALU_DEP_1)
	v_xor_b32_e32 v10, 0xffff8000, v10
	v_and_b32_e32 v10, 0xffff, v10
	s_delay_alu instid0(VALU_DEP_1) | instskip(NEXT) | instid1(VALU_DEP_1)
	v_lshrrev_b32_e32 v10, s42, v10
	v_and_b32_e32 v10, s43, v10
	s_delay_alu instid0(VALU_DEP_1) | instskip(SKIP_2) | instid1(SALU_CYCLE_1)
	v_lshl_or_b32 v10, v10, 4, v11
	ds_add_u32 v10, v98
	s_or_b32 exec_lo, exec_lo, s8
	s_mov_b32 s8, exec_lo
	v_cmpx_lt_u32_e64 v62, v0
	s_cbranch_execnz .LBB1051_61
.LBB1051_76:                            ;   in Loop: Header=BB1051_24 Depth=2
	s_or_b32 exec_lo, exec_lo, s8
	s_delay_alu instid0(SALU_CYCLE_1)
	s_mov_b32 s8, exec_lo
	v_cmpx_lt_u32_e64 v63, v0
	s_cbranch_execz .LBB1051_62
.LBB1051_77:                            ;   in Loop: Header=BB1051_24 Depth=2
	s_waitcnt vmcnt(6)
	v_lshrrev_b32_e32 v10, 16, v8
	s_waitcnt vmcnt(5)
	v_lshlrev_b32_e32 v11, 2, v51
	s_delay_alu instid0(VALU_DEP_2) | instskip(NEXT) | instid1(VALU_DEP_1)
	v_xor_b32_e32 v10, 0xffff8000, v10
	v_and_b32_e32 v10, 0xffff, v10
	s_delay_alu instid0(VALU_DEP_1) | instskip(NEXT) | instid1(VALU_DEP_1)
	v_lshrrev_b32_e32 v10, s42, v10
	v_and_b32_e32 v10, s43, v10
	s_delay_alu instid0(VALU_DEP_1) | instskip(SKIP_2) | instid1(SALU_CYCLE_1)
	v_lshl_or_b32 v10, v10, 4, v11
	ds_add_u32 v10, v98
	s_or_b32 exec_lo, exec_lo, s8
	s_mov_b32 s8, exec_lo
	v_cmpx_lt_u32_e64 v64, v0
	s_cbranch_execnz .LBB1051_63
.LBB1051_78:                            ;   in Loop: Header=BB1051_24 Depth=2
	s_or_b32 exec_lo, exec_lo, s8
	s_delay_alu instid0(SALU_CYCLE_1)
	s_mov_b32 s8, exec_lo
	v_cmpx_lt_u32_e64 v66, v0
	s_cbranch_execz .LBB1051_23
.LBB1051_79:                            ;   in Loop: Header=BB1051_24 Depth=2
	v_lshrrev_b32_e32 v0, 16, v9
	s_waitcnt vmcnt(6)
	v_lshlrev_b32_e32 v10, 2, v51
	s_delay_alu instid0(VALU_DEP_2) | instskip(NEXT) | instid1(VALU_DEP_1)
	v_xor_b32_e32 v0, 0xffff8000, v0
	v_and_b32_e32 v0, 0xffff, v0
	s_delay_alu instid0(VALU_DEP_1) | instskip(NEXT) | instid1(VALU_DEP_1)
	v_lshrrev_b32_e32 v0, s42, v0
	v_and_b32_e32 v0, s43, v0
	s_delay_alu instid0(VALU_DEP_1)
	v_lshl_or_b32 v0, v0, 4, v10
	ds_add_u32 v0, v98
	s_branch .LBB1051_23
.LBB1051_80:                            ;   in Loop: Header=BB1051_24 Depth=2
	s_or_b32 exec_lo, exec_lo, s11
	s_delay_alu instid0(SALU_CYCLE_1)
	s_mov_b32 s11, exec_lo
	v_cmpx_gt_u32_e64 s1, v48
	s_cbranch_execz .LBB1051_30
.LBB1051_81:                            ;   in Loop: Header=BB1051_24 Depth=2
	global_load_d16_hi_b16 v2, v99, s[8:9] offset:512
	s_or_b32 exec_lo, exec_lo, s11
	s_delay_alu instid0(SALU_CYCLE_1)
	s_mov_b32 s11, exec_lo
	v_cmpx_gt_u32_e64 s1, v49
	s_cbranch_execnz .LBB1051_31
.LBB1051_82:                            ;   in Loop: Header=BB1051_24 Depth=2
	s_or_b32 exec_lo, exec_lo, s11
	s_delay_alu instid0(SALU_CYCLE_1)
	s_mov_b32 s11, exec_lo
	v_cmpx_gt_u32_e64 s1, v50
	s_cbranch_execz .LBB1051_32
.LBB1051_83:                            ;   in Loop: Header=BB1051_24 Depth=2
	global_load_d16_hi_b16 v3, v99, s[8:9] offset:1536
	s_or_b32 exec_lo, exec_lo, s11
	s_delay_alu instid0(SALU_CYCLE_1)
	s_mov_b32 s11, exec_lo
	v_cmpx_gt_u32_e64 s1, v54
	s_cbranch_execnz .LBB1051_33
.LBB1051_84:                            ;   in Loop: Header=BB1051_24 Depth=2
	s_or_b32 exec_lo, exec_lo, s11
	s_delay_alu instid0(SALU_CYCLE_1)
	s_mov_b32 s11, exec_lo
	v_cmpx_gt_u32_e64 s1, v55
	s_cbranch_execz .LBB1051_34
.LBB1051_85:                            ;   in Loop: Header=BB1051_24 Depth=2
	global_load_d16_hi_b16 v4, v99, s[8:9] offset:2560
	s_or_b32 exec_lo, exec_lo, s11
	s_delay_alu instid0(SALU_CYCLE_1)
	s_mov_b32 s11, exec_lo
	v_cmpx_gt_u32_e64 s1, v56
	s_cbranch_execnz .LBB1051_35
.LBB1051_86:                            ;   in Loop: Header=BB1051_24 Depth=2
	s_or_b32 exec_lo, exec_lo, s11
	s_delay_alu instid0(SALU_CYCLE_1)
	s_mov_b32 s11, exec_lo
	v_cmpx_gt_u32_e64 s1, v57
	s_cbranch_execz .LBB1051_36
.LBB1051_87:                            ;   in Loop: Header=BB1051_24 Depth=2
	global_load_d16_hi_b16 v5, v99, s[8:9] offset:3584
	s_or_b32 exec_lo, exec_lo, s11
	s_delay_alu instid0(SALU_CYCLE_1)
	s_mov_b32 s11, exec_lo
	v_cmpx_gt_u32_e64 s1, v58
	s_cbranch_execnz .LBB1051_37
.LBB1051_88:                            ;   in Loop: Header=BB1051_24 Depth=2
	s_or_b32 exec_lo, exec_lo, s11
	s_delay_alu instid0(SALU_CYCLE_1)
	s_mov_b32 s11, exec_lo
	v_cmpx_gt_u32_e64 s1, v59
	s_cbranch_execz .LBB1051_38
.LBB1051_89:                            ;   in Loop: Header=BB1051_24 Depth=2
	v_lshlrev_b32_e32 v0, 1, v59
	global_load_d16_hi_b16 v6, v0, s[8:9]
	s_or_b32 exec_lo, exec_lo, s11
	s_delay_alu instid0(SALU_CYCLE_1)
	s_mov_b32 s11, exec_lo
	v_cmpx_gt_u32_e64 s1, v60
	s_cbranch_execnz .LBB1051_39
.LBB1051_90:                            ;   in Loop: Header=BB1051_24 Depth=2
	s_or_b32 exec_lo, exec_lo, s11
	s_delay_alu instid0(SALU_CYCLE_1)
	s_mov_b32 s11, exec_lo
	v_cmpx_gt_u32_e64 s1, v61
	s_cbranch_execz .LBB1051_40
.LBB1051_91:                            ;   in Loop: Header=BB1051_24 Depth=2
	v_lshlrev_b32_e32 v0, 1, v61
	global_load_d16_hi_b16 v7, v0, s[8:9]
	s_or_b32 exec_lo, exec_lo, s11
	s_delay_alu instid0(SALU_CYCLE_1)
	s_mov_b32 s11, exec_lo
	v_cmpx_gt_u32_e64 s1, v62
	s_cbranch_execnz .LBB1051_41
.LBB1051_92:                            ;   in Loop: Header=BB1051_24 Depth=2
	s_or_b32 exec_lo, exec_lo, s11
	s_delay_alu instid0(SALU_CYCLE_1)
	s_mov_b32 s11, exec_lo
	v_cmpx_gt_u32_e64 s1, v63
	s_cbranch_execz .LBB1051_42
.LBB1051_93:                            ;   in Loop: Header=BB1051_24 Depth=2
	v_lshlrev_b32_e32 v0, 1, v63
	global_load_d16_hi_b16 v8, v0, s[8:9]
	s_or_b32 exec_lo, exec_lo, s11
	s_delay_alu instid0(SALU_CYCLE_1)
	s_mov_b32 s11, exec_lo
	v_cmpx_gt_u32_e64 s1, v64
	s_cbranch_execz .LBB1051_44
	s_branch .LBB1051_43
.LBB1051_94:                            ;   in Loop: Header=BB1051_20 Depth=1
	v_mov_b32_e32 v0, 0
	s_waitcnt vmcnt(0) lgkmcnt(0)
	s_barrier
	buffer_gl0_inv
	s_and_saveexec_b32 s1, s2
	s_cbranch_execz .LBB1051_96
; %bb.95:                               ;   in Loop: Header=BB1051_20 Depth=1
	ds_load_2addr_b64 v[2:5], v67 offset1:1
	s_waitcnt lgkmcnt(0)
	v_add_nc_u32_e32 v0, v3, v2
	s_delay_alu instid0(VALU_DEP_1)
	v_add3_u32 v0, v0, v4, v5
.LBB1051_96:                            ;   in Loop: Header=BB1051_20 Depth=1
	s_or_b32 exec_lo, exec_lo, s1
	v_and_b32_e32 v2, 15, v100
	s_delay_alu instid0(VALU_DEP_2) | instskip(SKIP_1) | instid1(VALU_DEP_3)
	v_mov_b32_dpp v3, v0 row_shr:1 row_mask:0xf bank_mask:0xf
	v_and_b32_e32 v4, 16, v100
	v_cmp_eq_u32_e64 s1, 0, v2
	v_cmp_lt_u32_e64 s7, 1, v2
	v_cmp_lt_u32_e64 s8, 3, v2
	;; [unrolled: 1-line block ×3, first 2 shown]
	v_cmp_eq_u32_e64 s10, 0, v4
	v_cndmask_b32_e64 v3, v3, 0, s1
	s_delay_alu instid0(VALU_DEP_1) | instskip(NEXT) | instid1(VALU_DEP_1)
	v_add_nc_u32_e32 v0, v3, v0
	v_mov_b32_dpp v3, v0 row_shr:2 row_mask:0xf bank_mask:0xf
	s_delay_alu instid0(VALU_DEP_1) | instskip(NEXT) | instid1(VALU_DEP_1)
	v_cndmask_b32_e64 v3, 0, v3, s7
	v_add_nc_u32_e32 v0, v0, v3
	s_delay_alu instid0(VALU_DEP_1) | instskip(NEXT) | instid1(VALU_DEP_1)
	v_mov_b32_dpp v3, v0 row_shr:4 row_mask:0xf bank_mask:0xf
	v_cndmask_b32_e64 v3, 0, v3, s8
	s_delay_alu instid0(VALU_DEP_1) | instskip(NEXT) | instid1(VALU_DEP_1)
	v_add_nc_u32_e32 v0, v0, v3
	v_mov_b32_dpp v3, v0 row_shr:8 row_mask:0xf bank_mask:0xf
	s_delay_alu instid0(VALU_DEP_1) | instskip(SKIP_1) | instid1(VALU_DEP_2)
	v_cndmask_b32_e64 v2, 0, v3, s9
	v_bfe_i32 v3, v100, 4, 1
	v_add_nc_u32_e32 v0, v0, v2
	ds_swizzle_b32 v2, v0 offset:swizzle(BROADCAST,32,15)
	s_waitcnt lgkmcnt(0)
	v_and_b32_e32 v2, v3, v2
	s_delay_alu instid0(VALU_DEP_1)
	v_add_nc_u32_e32 v2, v0, v2
	s_and_saveexec_b32 s11, s3
	s_cbranch_execz .LBB1051_98
; %bb.97:                               ;   in Loop: Header=BB1051_20 Depth=1
	ds_store_b32 v68, v2
.LBB1051_98:                            ;   in Loop: Header=BB1051_20 Depth=1
	s_or_b32 exec_lo, exec_lo, s11
	v_and_b32_e32 v0, 7, v100
	s_waitcnt lgkmcnt(0)
	s_barrier
	buffer_gl0_inv
	s_and_saveexec_b32 s11, s4
	s_cbranch_execz .LBB1051_100
; %bb.99:                               ;   in Loop: Header=BB1051_20 Depth=1
	ds_load_b32 v3, v69
	v_cmp_ne_u32_e32 vcc_lo, 0, v0
	s_waitcnt lgkmcnt(0)
	v_mov_b32_dpp v4, v3 row_shr:1 row_mask:0xf bank_mask:0xf
	s_delay_alu instid0(VALU_DEP_1) | instskip(SKIP_1) | instid1(VALU_DEP_2)
	v_cndmask_b32_e32 v4, 0, v4, vcc_lo
	v_cmp_lt_u32_e32 vcc_lo, 1, v0
	v_add_nc_u32_e32 v3, v4, v3
	s_delay_alu instid0(VALU_DEP_1) | instskip(NEXT) | instid1(VALU_DEP_1)
	v_mov_b32_dpp v4, v3 row_shr:2 row_mask:0xf bank_mask:0xf
	v_cndmask_b32_e32 v4, 0, v4, vcc_lo
	v_cmp_lt_u32_e32 vcc_lo, 3, v0
	s_delay_alu instid0(VALU_DEP_2) | instskip(NEXT) | instid1(VALU_DEP_1)
	v_add_nc_u32_e32 v3, v3, v4
	v_mov_b32_dpp v4, v3 row_shr:4 row_mask:0xf bank_mask:0xf
	s_delay_alu instid0(VALU_DEP_1) | instskip(NEXT) | instid1(VALU_DEP_1)
	v_cndmask_b32_e32 v4, 0, v4, vcc_lo
	v_add_nc_u32_e32 v3, v3, v4
	ds_store_b32 v69, v3
.LBB1051_100:                           ;   in Loop: Header=BB1051_20 Depth=1
	s_or_b32 exec_lo, exec_lo, s11
	v_mov_b32_e32 v3, 0
	s_waitcnt lgkmcnt(0)
	s_barrier
	buffer_gl0_inv
	s_and_saveexec_b32 s11, s5
	s_cbranch_execz .LBB1051_102
; %bb.101:                              ;   in Loop: Header=BB1051_20 Depth=1
	ds_load_b32 v3, v70
.LBB1051_102:                           ;   in Loop: Header=BB1051_20 Depth=1
	s_or_b32 exec_lo, exec_lo, s11
	v_add_nc_u32_e32 v4, -1, v100
	s_waitcnt lgkmcnt(0)
	v_add_nc_u32_e32 v2, v3, v2
	v_cmp_eq_u32_e64 s11, 0, v100
	s_barrier
	v_cmp_gt_i32_e32 vcc_lo, 0, v4
	buffer_gl0_inv
	v_cndmask_b32_e32 v4, v4, v100, vcc_lo
	s_delay_alu instid0(VALU_DEP_1)
	v_lshlrev_b32_e32 v101, 2, v4
	ds_bpermute_b32 v2, v101, v2
	s_and_saveexec_b32 s12, s2
	s_cbranch_execz .LBB1051_104
; %bb.103:                              ;   in Loop: Header=BB1051_20 Depth=1
	s_waitcnt lgkmcnt(0)
	v_cndmask_b32_e64 v2, v2, v3, s11
	s_delay_alu instid0(VALU_DEP_1)
	v_add_nc_u32_e32 v2, s62, v2
	ds_store_b32 v47, v2
.LBB1051_104:                           ;   in Loop: Header=BB1051_20 Depth=1
	s_or_b32 exec_lo, exec_lo, s12
	s_clause 0x1
	s_load_b32 s12, s[60:61], 0x4
	s_load_b32 s17, s[60:61], 0xc
	v_lshlrev_b32_e32 v3, 3, v100
	v_cmp_lt_u32_e64 s16, 3, v0
	v_or_b32_e32 v102, v100, v71
	s_mov_b32 s56, s64
	s_mov_b32 s34, s62
	v_add_co_u32 v103, vcc_lo, v78, v3
	v_add_co_ci_u32_e32 v104, vcc_lo, 0, v79, vcc_lo
	v_or_b32_e32 v105, 32, v102
	v_or_b32_e32 v106, 64, v102
	;; [unrolled: 1-line block ×9, first 2 shown]
	s_waitcnt lgkmcnt(0)
	s_cmp_lt_u32 s15, s12
	v_or_b32_e32 v114, 0x140, v102
	s_cselect_b32 s12, 14, 20
	v_or_b32_e32 v115, 0x160, v102
	s_add_u32 s12, s60, s12
	s_addc_u32 s13, s61, 0
	s_and_b32 s17, s17, 0xffff
	global_load_u16 v2, v20, s[12:13]
	v_cmp_eq_u32_e64 s12, 0, v0
	v_cmp_lt_u32_e64 s13, 1, v0
	v_lshlrev_b32_e32 v0, 1, v100
	v_or_b32_e32 v116, 0x180, v102
	v_or_b32_e32 v117, 0x1a0, v102
	;; [unrolled: 1-line block ×4, first 2 shown]
	v_add_co_u32 v120, vcc_lo, v80, v0
	v_add_co_ci_u32_e32 v121, vcc_lo, 0, v81, vcc_lo
                                        ; implicit-def: $vgpr10_vgpr11
                                        ; implicit-def: $vgpr12_vgpr13
                                        ; implicit-def: $vgpr14_vgpr15
                                        ; implicit-def: $vgpr16_vgpr17
                                        ; implicit-def: $vgpr21_vgpr22
                                        ; implicit-def: $vgpr23_vgpr24
                                        ; implicit-def: $vgpr25_vgpr26
                                        ; implicit-def: $vgpr27_vgpr28
                                        ; implicit-def: $vgpr29_vgpr30
                                        ; implicit-def: $vgpr31_vgpr32
                                        ; implicit-def: $vgpr33_vgpr34
                                        ; implicit-def: $vgpr35_vgpr36
                                        ; implicit-def: $vgpr37_vgpr38
                                        ; implicit-def: $vgpr39_vgpr40
                                        ; implicit-def: $vgpr41_vgpr42
                                        ; implicit-def: $vgpr43_vgpr44
                                        ; implicit-def: $vgpr125
                                        ; implicit-def: $vgpr126
                                        ; implicit-def: $vgpr127
                                        ; implicit-def: $vgpr128
                                        ; implicit-def: $vgpr129
                                        ; implicit-def: $vgpr130
                                        ; implicit-def: $vgpr131
                                        ; implicit-def: $vgpr132
                                        ; implicit-def: $vgpr133
                                        ; implicit-def: $vgpr134
                                        ; implicit-def: $vgpr135
                                        ; implicit-def: $vgpr136
                                        ; implicit-def: $vgpr137
                                        ; implicit-def: $vgpr138
                                        ; implicit-def: $vgpr139
                                        ; implicit-def: $vgpr140
                                        ; implicit-def: $vgpr9
	s_delay_alu instid0(VALU_DEP_2) | instskip(NEXT) | instid1(VALU_DEP_2)
	v_add_co_u32 v123, vcc_lo, 0x3c0, v120
	v_add_co_ci_u32_e32 v124, vcc_lo, 0, v121, vcc_lo
	s_waitcnt vmcnt(0)
	v_mad_u32_u24 v4, v72, v2, v74
	s_delay_alu instid0(VALU_DEP_1) | instskip(NEXT) | instid1(VALU_DEP_1)
	v_mad_u64_u32 v[2:3], null, v4, s17, v[18:19]
	v_lshrrev_b32_e32 v122, 5, v2
	s_branch .LBB1051_106
.LBB1051_105:                           ;   in Loop: Header=BB1051_106 Depth=2
	s_or_b32 exec_lo, exec_lo, s17
	s_addk_i32 s56, 0xf000
	s_cmp_lt_u32 s65, s63
	s_mov_b32 s34, s65
	s_cbranch_scc0 .LBB1051_314
.LBB1051_106:                           ;   Parent Loop BB1051_20 Depth=1
                                        ; =>  This Inner Loop Header: Depth=2
	s_add_i32 s65, s34, 0x1000
	s_delay_alu instid0(SALU_CYCLE_1)
	s_cmp_gt_u32 s65, s63
	s_cbranch_scc1 .LBB1051_108
; %bb.107:                              ;   in Loop: Header=BB1051_106 Depth=2
	s_mov_b32 s19, 0
	s_mov_b32 s18, s34
	s_movk_i32 s17, 0x1000
	s_lshl_b64 s[20:21], s[18:19], 1
	s_delay_alu instid0(SALU_CYCLE_1)
	v_add_co_u32 v45, vcc_lo, v120, s20
	v_add_co_ci_u32_e32 v46, vcc_lo, s21, v121, vcc_lo
	s_mov_b32 s20, -1
	s_clause 0xe
	global_load_u16 v2, v[45:46], off
	global_load_u16 v3, v[45:46], off offset:128
	global_load_u16 v4, v[45:46], off offset:256
	;; [unrolled: 1-line block ×6, first 2 shown]
	global_load_d16_b16 v9, v[45:46], off offset:896
	global_load_d16_hi_b16 v2, v[45:46], off offset:64
	global_load_d16_hi_b16 v3, v[45:46], off offset:192
	;; [unrolled: 1-line block ×7, first 2 shown]
	s_cbranch_execz .LBB1051_109
	s_branch .LBB1051_126
.LBB1051_108:                           ;   in Loop: Header=BB1051_106 Depth=2
	s_mov_b32 s19, -1
	s_mov_b32 s20, 0
                                        ; implicit-def: $sgpr17
                                        ; implicit-def: $vgpr2_vgpr3_vgpr4_vgpr5_vgpr6_vgpr7_vgpr8_vgpr9
.LBB1051_109:                           ;   in Loop: Header=BB1051_106 Depth=2
	s_lshl_b64 s[18:19], s[34:35], 1
	s_mov_b32 s45, s44
	v_add_co_u32 v45, vcc_lo, v120, s18
	s_mov_b32 s46, s44
	s_mov_b32 s47, s44
	;; [unrolled: 1-line block ×6, first 2 shown]
	s_waitcnt vmcnt(0)
	v_dual_mov_b32 v2, s44 :: v_dual_mov_b32 v3, s45
	v_add_co_ci_u32_e32 v46, vcc_lo, s19, v121, vcc_lo
	v_dual_mov_b32 v4, s46 :: v_dual_mov_b32 v5, s47
	v_dual_mov_b32 v6, s48 :: v_dual_mov_b32 v7, s49
	v_dual_mov_b32 v8, s50 :: v_dual_mov_b32 v9, s51
	s_mov_b32 s17, exec_lo
	v_cmpx_gt_u32_e64 s56, v102
	s_cbranch_execz .LBB1051_300
; %bb.110:                              ;   in Loop: Header=BB1051_106 Depth=2
	v_dual_mov_b32 v0, 0x7fff0000 :: v_dual_mov_b32 v3, v1
	v_mov_b32_e32 v7, v1
	v_mov_b32_e32 v2, v1
	;; [unrolled: 1-line block ×3, first 2 shown]
	global_load_d16_b16 v0, v[45:46], off
	v_mov_b32_e32 v5, v1
	v_mov_b32_e32 v6, v1
	s_waitcnt vmcnt(0)
	v_mov_b32_e32 v9, v7
	s_delay_alu instid0(VALU_DEP_2)
	v_dual_mov_b32 v8, v6 :: v_dual_mov_b32 v7, v5
	v_mov_b32_e32 v6, v4
	v_mov_b32_e32 v5, v3
	;; [unrolled: 1-line block ×5, first 2 shown]
	s_or_b32 exec_lo, exec_lo, s17
	s_delay_alu instid0(SALU_CYCLE_1)
	s_mov_b32 s17, exec_lo
	v_cmpx_gt_u32_e64 s56, v105
	s_cbranch_execnz .LBB1051_301
.LBB1051_111:                           ;   in Loop: Header=BB1051_106 Depth=2
	s_or_b32 exec_lo, exec_lo, s17
	s_delay_alu instid0(SALU_CYCLE_1)
	s_mov_b32 s17, exec_lo
	v_cmpx_gt_u32_e64 s56, v106
	s_cbranch_execz .LBB1051_302
.LBB1051_112:                           ;   in Loop: Header=BB1051_106 Depth=2
	global_load_d16_b16 v3, v[45:46], off offset:128
	s_or_b32 exec_lo, exec_lo, s17
	s_delay_alu instid0(SALU_CYCLE_1)
	s_mov_b32 s17, exec_lo
	v_cmpx_gt_u32_e64 s56, v107
	s_cbranch_execnz .LBB1051_303
.LBB1051_113:                           ;   in Loop: Header=BB1051_106 Depth=2
	s_or_b32 exec_lo, exec_lo, s17
	s_delay_alu instid0(SALU_CYCLE_1)
	s_mov_b32 s17, exec_lo
	v_cmpx_gt_u32_e64 s56, v108
	s_cbranch_execz .LBB1051_304
.LBB1051_114:                           ;   in Loop: Header=BB1051_106 Depth=2
	global_load_d16_b16 v4, v[45:46], off offset:256
	s_or_b32 exec_lo, exec_lo, s17
	s_delay_alu instid0(SALU_CYCLE_1)
	s_mov_b32 s17, exec_lo
	v_cmpx_gt_u32_e64 s56, v109
	s_cbranch_execnz .LBB1051_305
.LBB1051_115:                           ;   in Loop: Header=BB1051_106 Depth=2
	s_or_b32 exec_lo, exec_lo, s17
	s_delay_alu instid0(SALU_CYCLE_1)
	s_mov_b32 s17, exec_lo
	v_cmpx_gt_u32_e64 s56, v110
	s_cbranch_execz .LBB1051_306
.LBB1051_116:                           ;   in Loop: Header=BB1051_106 Depth=2
	global_load_d16_b16 v5, v[45:46], off offset:384
	s_or_b32 exec_lo, exec_lo, s17
	s_delay_alu instid0(SALU_CYCLE_1)
	s_mov_b32 s17, exec_lo
	v_cmpx_gt_u32_e64 s56, v111
	s_cbranch_execnz .LBB1051_307
.LBB1051_117:                           ;   in Loop: Header=BB1051_106 Depth=2
	s_or_b32 exec_lo, exec_lo, s17
	s_delay_alu instid0(SALU_CYCLE_1)
	s_mov_b32 s17, exec_lo
	v_cmpx_gt_u32_e64 s56, v112
	s_cbranch_execz .LBB1051_308
.LBB1051_118:                           ;   in Loop: Header=BB1051_106 Depth=2
	global_load_d16_b16 v6, v[45:46], off offset:512
	s_or_b32 exec_lo, exec_lo, s17
	s_delay_alu instid0(SALU_CYCLE_1)
	s_mov_b32 s17, exec_lo
	v_cmpx_gt_u32_e64 s56, v113
	s_cbranch_execnz .LBB1051_309
.LBB1051_119:                           ;   in Loop: Header=BB1051_106 Depth=2
	s_or_b32 exec_lo, exec_lo, s17
	s_delay_alu instid0(SALU_CYCLE_1)
	s_mov_b32 s17, exec_lo
	v_cmpx_gt_u32_e64 s56, v114
	s_cbranch_execz .LBB1051_310
.LBB1051_120:                           ;   in Loop: Header=BB1051_106 Depth=2
	global_load_d16_b16 v7, v[45:46], off offset:640
	s_or_b32 exec_lo, exec_lo, s17
	s_delay_alu instid0(SALU_CYCLE_1)
	s_mov_b32 s17, exec_lo
	v_cmpx_gt_u32_e64 s56, v115
	s_cbranch_execnz .LBB1051_311
.LBB1051_121:                           ;   in Loop: Header=BB1051_106 Depth=2
	s_or_b32 exec_lo, exec_lo, s17
	s_delay_alu instid0(SALU_CYCLE_1)
	s_mov_b32 s17, exec_lo
	v_cmpx_gt_u32_e64 s56, v116
	s_cbranch_execz .LBB1051_312
.LBB1051_122:                           ;   in Loop: Header=BB1051_106 Depth=2
	global_load_d16_b16 v8, v[45:46], off offset:768
	s_or_b32 exec_lo, exec_lo, s17
	s_delay_alu instid0(SALU_CYCLE_1)
	s_mov_b32 s17, exec_lo
	v_cmpx_gt_u32_e64 s56, v117
	s_cbranch_execnz .LBB1051_313
.LBB1051_123:                           ;   in Loop: Header=BB1051_106 Depth=2
	s_or_b32 exec_lo, exec_lo, s17
	s_delay_alu instid0(SALU_CYCLE_1)
	s_mov_b32 s17, exec_lo
	v_cmpx_gt_u32_e64 s56, v118
	s_cbranch_execz .LBB1051_125
.LBB1051_124:                           ;   in Loop: Header=BB1051_106 Depth=2
	global_load_d16_b16 v9, v[45:46], off offset:896
.LBB1051_125:                           ;   in Loop: Header=BB1051_106 Depth=2
	s_or_b32 exec_lo, exec_lo, s17
	v_cmp_gt_u32_e64 s20, s56, v119
	s_sub_i32 s17, s63, s34
	s_mov_b64 s[18:19], s[34:35]
.LBB1051_126:                           ;   in Loop: Header=BB1051_106 Depth=2
	v_mov_b32_e32 v0, s56
	s_delay_alu instid0(VALU_DEP_2)
	s_and_saveexec_b32 s21, s20
	s_cbranch_execz .LBB1051_128
; %bb.127:                              ;   in Loop: Header=BB1051_106 Depth=2
	s_lshl_b64 s[18:19], s[18:19], 1
	v_mov_b32_e32 v0, s17
	v_add_co_u32 v45, vcc_lo, v123, s18
	v_add_co_ci_u32_e32 v46, vcc_lo, s19, v124, vcc_lo
	global_load_d16_hi_b16 v9, v[45:46], off
.LBB1051_128:                           ;   in Loop: Header=BB1051_106 Depth=2
	s_or_b32 exec_lo, exec_lo, s21
	s_waitcnt vmcnt(0)
	v_xor_b32_e32 v19, 0x80008000, v2
	ds_store_b32 v73, v20 offset:1056
	ds_store_2addr_b32 v75, v20, v20 offset0:1 offset1:2
	ds_store_2addr_b32 v75, v20, v20 offset0:3 offset1:4
	;; [unrolled: 1-line block ×4, first 2 shown]
	s_waitcnt lgkmcnt(0)
	s_barrier
	v_and_b32_e32 v2, 0xffff, v19
	buffer_gl0_inv
	; wave barrier
	v_lshrrev_b32_e32 v2, s42, v2
	s_delay_alu instid0(VALU_DEP_1) | instskip(NEXT) | instid1(VALU_DEP_1)
	v_and_b32_e32 v45, s43, v2
	v_and_b32_e32 v2, 1, v45
	v_lshlrev_b32_e32 v46, 30, v45
	v_lshlrev_b32_e32 v141, 29, v45
	v_lshlrev_b32_e32 v142, 28, v45
	v_lshlrev_b32_e32 v144, 27, v45
	v_add_co_u32 v2, s17, v2, -1
	s_delay_alu instid0(VALU_DEP_1)
	v_cndmask_b32_e64 v143, 0, 1, s17
	v_not_b32_e32 v147, v46
	v_cmp_gt_i32_e64 s17, 0, v46
	v_not_b32_e32 v46, v141
	v_lshlrev_b32_e32 v145, 26, v45
	v_cmp_ne_u32_e32 vcc_lo, 0, v143
	v_ashrrev_i32_e32 v147, 31, v147
	v_lshlrev_b32_e32 v146, 25, v45
	v_ashrrev_i32_e32 v46, 31, v46
	v_lshlrev_b32_e32 v143, 24, v45
	v_xor_b32_e32 v2, vcc_lo, v2
	v_cmp_gt_i32_e32 vcc_lo, 0, v141
	v_not_b32_e32 v141, v142
	v_xor_b32_e32 v147, s17, v147
	v_cmp_gt_i32_e64 s17, 0, v142
	v_and_b32_e32 v2, exec_lo, v2
	v_not_b32_e32 v142, v144
	v_ashrrev_i32_e32 v141, 31, v141
	v_xor_b32_e32 v46, vcc_lo, v46
	v_cmp_gt_i32_e32 vcc_lo, 0, v144
	v_and_b32_e32 v2, v2, v147
	v_not_b32_e32 v144, v145
	v_ashrrev_i32_e32 v142, 31, v142
	v_xor_b32_e32 v141, s17, v141
	v_cmp_gt_i32_e64 s17, 0, v145
	v_and_b32_e32 v2, v2, v46
	v_not_b32_e32 v46, v146
	v_ashrrev_i32_e32 v144, 31, v144
	v_xor_b32_e32 v142, vcc_lo, v142
	v_cmp_gt_i32_e32 vcc_lo, 0, v146
	v_and_b32_e32 v2, v2, v141
	v_not_b32_e32 v141, v143
	v_ashrrev_i32_e32 v46, 31, v46
	v_xor_b32_e32 v144, s17, v144
	v_cmp_gt_i32_e64 s17, 0, v143
	v_and_b32_e32 v2, v2, v142
	v_ashrrev_i32_e32 v141, 31, v141
	v_xor_b32_e32 v46, vcc_lo, v46
	v_mad_u32_u24 v45, v45, 9, v122
	s_delay_alu instid0(VALU_DEP_4) | instskip(NEXT) | instid1(VALU_DEP_4)
	v_and_b32_e32 v2, v2, v144
	v_xor_b32_e32 v141, s17, v141
	s_delay_alu instid0(VALU_DEP_3) | instskip(NEXT) | instid1(VALU_DEP_3)
	v_lshl_add_u32 v143, v45, 2, 0x420
	v_and_b32_e32 v2, v2, v46
	s_delay_alu instid0(VALU_DEP_1) | instskip(NEXT) | instid1(VALU_DEP_1)
	v_and_b32_e32 v2, v2, v141
	v_mbcnt_lo_u32_b32 v141, v2, 0
	v_cmp_ne_u32_e64 s17, 0, v2
	s_delay_alu instid0(VALU_DEP_2) | instskip(NEXT) | instid1(VALU_DEP_2)
	v_cmp_eq_u32_e32 vcc_lo, 0, v141
	s_and_b32 s18, s17, vcc_lo
	s_delay_alu instid0(SALU_CYCLE_1)
	s_and_saveexec_b32 s17, s18
	s_cbranch_execz .LBB1051_130
; %bb.129:                              ;   in Loop: Header=BB1051_106 Depth=2
	v_bcnt_u32_b32 v2, v2, 0
	ds_store_b32 v143, v2
.LBB1051_130:                           ;   in Loop: Header=BB1051_106 Depth=2
	s_or_b32 exec_lo, exec_lo, s17
	v_lshrrev_b32_e32 v142, 16, v19
	; wave barrier
	s_delay_alu instid0(VALU_DEP_1) | instskip(NEXT) | instid1(VALU_DEP_1)
	v_lshrrev_b32_e32 v2, s42, v142
	v_and_b32_e32 v2, s43, v2
	s_delay_alu instid0(VALU_DEP_1)
	v_and_b32_e32 v45, 1, v2
	v_lshlrev_b32_e32 v46, 30, v2
	v_lshlrev_b32_e32 v144, 29, v2
	;; [unrolled: 1-line block ×4, first 2 shown]
	v_add_co_u32 v45, s17, v45, -1
	s_delay_alu instid0(VALU_DEP_1)
	v_cndmask_b32_e64 v146, 0, 1, s17
	v_not_b32_e32 v150, v46
	v_cmp_gt_i32_e64 s17, 0, v46
	v_not_b32_e32 v46, v144
	v_lshlrev_b32_e32 v148, 26, v2
	v_cmp_ne_u32_e32 vcc_lo, 0, v146
	v_ashrrev_i32_e32 v150, 31, v150
	v_lshlrev_b32_e32 v149, 25, v2
	v_ashrrev_i32_e32 v46, 31, v46
	v_lshlrev_b32_e32 v146, 24, v2
	v_xor_b32_e32 v45, vcc_lo, v45
	v_cmp_gt_i32_e32 vcc_lo, 0, v144
	v_not_b32_e32 v144, v145
	v_xor_b32_e32 v150, s17, v150
	v_cmp_gt_i32_e64 s17, 0, v145
	v_and_b32_e32 v45, exec_lo, v45
	v_not_b32_e32 v145, v147
	v_ashrrev_i32_e32 v144, 31, v144
	v_xor_b32_e32 v46, vcc_lo, v46
	v_cmp_gt_i32_e32 vcc_lo, 0, v147
	v_and_b32_e32 v45, v45, v150
	v_not_b32_e32 v147, v148
	v_ashrrev_i32_e32 v145, 31, v145
	v_xor_b32_e32 v144, s17, v144
	v_cmp_gt_i32_e64 s17, 0, v148
	v_and_b32_e32 v45, v45, v46
	v_not_b32_e32 v46, v149
	v_ashrrev_i32_e32 v147, 31, v147
	v_xor_b32_e32 v145, vcc_lo, v145
	v_cmp_gt_i32_e32 vcc_lo, 0, v149
	v_and_b32_e32 v45, v45, v144
	v_not_b32_e32 v144, v146
	v_ashrrev_i32_e32 v46, 31, v46
	v_xor_b32_e32 v147, s17, v147
	v_mul_u32_u24_e32 v2, 9, v2
	v_and_b32_e32 v45, v45, v145
	v_cmp_gt_i32_e64 s17, 0, v146
	v_ashrrev_i32_e32 v144, 31, v144
	v_xor_b32_e32 v46, vcc_lo, v46
	s_delay_alu instid0(VALU_DEP_4) | instskip(SKIP_1) | instid1(VALU_DEP_4)
	v_and_b32_e32 v45, v45, v147
	v_add_lshl_u32 v147, v2, v122, 2
	v_xor_b32_e32 v2, s17, v144
	s_delay_alu instid0(VALU_DEP_3) | instskip(SKIP_3) | instid1(VALU_DEP_1)
	v_and_b32_e32 v45, v45, v46
	ds_load_b32 v145, v147 offset:1056
	v_add_nc_u32_e32 v147, 0x420, v147
	; wave barrier
	v_and_b32_e32 v2, v45, v2
	v_mbcnt_lo_u32_b32 v146, v2, 0
	v_cmp_ne_u32_e64 s17, 0, v2
	s_delay_alu instid0(VALU_DEP_2) | instskip(NEXT) | instid1(VALU_DEP_2)
	v_cmp_eq_u32_e32 vcc_lo, 0, v146
	s_and_b32 s18, s17, vcc_lo
	s_delay_alu instid0(SALU_CYCLE_1)
	s_and_saveexec_b32 s17, s18
	s_cbranch_execz .LBB1051_132
; %bb.131:                              ;   in Loop: Header=BB1051_106 Depth=2
	s_waitcnt lgkmcnt(0)
	v_bcnt_u32_b32 v2, v2, v145
	ds_store_b32 v147, v2
.LBB1051_132:                           ;   in Loop: Header=BB1051_106 Depth=2
	s_or_b32 exec_lo, exec_lo, s17
	v_xor_b32_e32 v144, 0x80008000, v3
	; wave barrier
	s_delay_alu instid0(VALU_DEP_1) | instskip(NEXT) | instid1(VALU_DEP_1)
	v_and_b32_e32 v2, 0xffff, v144
	v_lshrrev_b32_e32 v2, s42, v2
	s_delay_alu instid0(VALU_DEP_1) | instskip(NEXT) | instid1(VALU_DEP_1)
	v_and_b32_e32 v2, s43, v2
	v_and_b32_e32 v3, 1, v2
	v_lshlrev_b32_e32 v45, 30, v2
	v_lshlrev_b32_e32 v46, 29, v2
	v_lshlrev_b32_e32 v148, 28, v2
	v_lshlrev_b32_e32 v150, 27, v2
	v_add_co_u32 v3, s17, v3, -1
	s_delay_alu instid0(VALU_DEP_1)
	v_cndmask_b32_e64 v149, 0, 1, s17
	v_not_b32_e32 v153, v45
	v_cmp_gt_i32_e64 s17, 0, v45
	v_not_b32_e32 v45, v46
	v_lshlrev_b32_e32 v151, 26, v2
	v_cmp_ne_u32_e32 vcc_lo, 0, v149
	v_ashrrev_i32_e32 v153, 31, v153
	v_lshlrev_b32_e32 v152, 25, v2
	v_ashrrev_i32_e32 v45, 31, v45
	v_lshlrev_b32_e32 v149, 24, v2
	v_xor_b32_e32 v3, vcc_lo, v3
	v_cmp_gt_i32_e32 vcc_lo, 0, v46
	v_not_b32_e32 v46, v148
	v_xor_b32_e32 v153, s17, v153
	v_cmp_gt_i32_e64 s17, 0, v148
	v_and_b32_e32 v3, exec_lo, v3
	v_not_b32_e32 v148, v150
	v_ashrrev_i32_e32 v46, 31, v46
	v_xor_b32_e32 v45, vcc_lo, v45
	v_cmp_gt_i32_e32 vcc_lo, 0, v150
	v_and_b32_e32 v3, v3, v153
	v_not_b32_e32 v150, v151
	v_ashrrev_i32_e32 v148, 31, v148
	v_xor_b32_e32 v46, s17, v46
	v_cmp_gt_i32_e64 s17, 0, v151
	v_and_b32_e32 v3, v3, v45
	v_not_b32_e32 v45, v152
	v_ashrrev_i32_e32 v150, 31, v150
	v_xor_b32_e32 v148, vcc_lo, v148
	v_cmp_gt_i32_e32 vcc_lo, 0, v152
	v_and_b32_e32 v3, v3, v46
	v_not_b32_e32 v46, v149
	v_ashrrev_i32_e32 v45, 31, v45
	v_xor_b32_e32 v150, s17, v150
	v_mul_u32_u24_e32 v2, 9, v2
	v_and_b32_e32 v3, v3, v148
	v_cmp_gt_i32_e64 s17, 0, v149
	v_ashrrev_i32_e32 v46, 31, v46
	v_xor_b32_e32 v45, vcc_lo, v45
	v_add_lshl_u32 v148, v2, v122, 2
	v_and_b32_e32 v3, v3, v150
	s_delay_alu instid0(VALU_DEP_4) | instskip(SKIP_3) | instid1(VALU_DEP_2)
	v_xor_b32_e32 v2, s17, v46
	ds_load_b32 v149, v148 offset:1056
	v_and_b32_e32 v3, v3, v45
	v_add_nc_u32_e32 v151, 0x420, v148
	; wave barrier
	v_and_b32_e32 v2, v3, v2
	s_delay_alu instid0(VALU_DEP_1) | instskip(SKIP_1) | instid1(VALU_DEP_2)
	v_mbcnt_lo_u32_b32 v150, v2, 0
	v_cmp_ne_u32_e64 s17, 0, v2
	v_cmp_eq_u32_e32 vcc_lo, 0, v150
	s_delay_alu instid0(VALU_DEP_2) | instskip(NEXT) | instid1(SALU_CYCLE_1)
	s_and_b32 s18, s17, vcc_lo
	s_and_saveexec_b32 s17, s18
	s_cbranch_execz .LBB1051_134
; %bb.133:                              ;   in Loop: Header=BB1051_106 Depth=2
	s_waitcnt lgkmcnt(0)
	v_bcnt_u32_b32 v2, v2, v149
	ds_store_b32 v151, v2
.LBB1051_134:                           ;   in Loop: Header=BB1051_106 Depth=2
	s_or_b32 exec_lo, exec_lo, s17
	v_lshrrev_b32_e32 v148, 16, v144
	; wave barrier
	s_delay_alu instid0(VALU_DEP_1) | instskip(NEXT) | instid1(VALU_DEP_1)
	v_lshrrev_b32_e32 v2, s42, v148
	v_and_b32_e32 v2, s43, v2
	s_delay_alu instid0(VALU_DEP_1)
	v_and_b32_e32 v3, 1, v2
	v_lshlrev_b32_e32 v45, 30, v2
	v_lshlrev_b32_e32 v46, 29, v2
	;; [unrolled: 1-line block ×4, first 2 shown]
	v_add_co_u32 v3, s17, v3, -1
	s_delay_alu instid0(VALU_DEP_1)
	v_cndmask_b32_e64 v153, 0, 1, s17
	v_not_b32_e32 v157, v45
	v_cmp_gt_i32_e64 s17, 0, v45
	v_not_b32_e32 v45, v46
	v_lshlrev_b32_e32 v155, 26, v2
	v_cmp_ne_u32_e32 vcc_lo, 0, v153
	v_ashrrev_i32_e32 v157, 31, v157
	v_lshlrev_b32_e32 v156, 25, v2
	v_ashrrev_i32_e32 v45, 31, v45
	v_lshlrev_b32_e32 v153, 24, v2
	v_xor_b32_e32 v3, vcc_lo, v3
	v_cmp_gt_i32_e32 vcc_lo, 0, v46
	v_not_b32_e32 v46, v152
	v_xor_b32_e32 v157, s17, v157
	v_cmp_gt_i32_e64 s17, 0, v152
	v_and_b32_e32 v3, exec_lo, v3
	v_not_b32_e32 v152, v154
	v_ashrrev_i32_e32 v46, 31, v46
	v_xor_b32_e32 v45, vcc_lo, v45
	v_cmp_gt_i32_e32 vcc_lo, 0, v154
	v_and_b32_e32 v3, v3, v157
	v_not_b32_e32 v154, v155
	v_ashrrev_i32_e32 v152, 31, v152
	v_xor_b32_e32 v46, s17, v46
	v_cmp_gt_i32_e64 s17, 0, v155
	v_and_b32_e32 v3, v3, v45
	v_not_b32_e32 v45, v156
	v_ashrrev_i32_e32 v154, 31, v154
	v_xor_b32_e32 v152, vcc_lo, v152
	v_cmp_gt_i32_e32 vcc_lo, 0, v156
	v_and_b32_e32 v3, v3, v46
	v_not_b32_e32 v46, v153
	v_ashrrev_i32_e32 v45, 31, v45
	v_xor_b32_e32 v154, s17, v154
	v_mul_u32_u24_e32 v2, 9, v2
	v_and_b32_e32 v3, v3, v152
	v_cmp_gt_i32_e64 s17, 0, v153
	v_ashrrev_i32_e32 v46, 31, v46
	v_xor_b32_e32 v45, vcc_lo, v45
	v_add_lshl_u32 v152, v2, v122, 2
	v_and_b32_e32 v3, v3, v154
	s_delay_alu instid0(VALU_DEP_4) | instskip(SKIP_3) | instid1(VALU_DEP_2)
	v_xor_b32_e32 v2, s17, v46
	ds_load_b32 v153, v152 offset:1056
	v_and_b32_e32 v3, v3, v45
	v_add_nc_u32_e32 v155, 0x420, v152
	; wave barrier
	v_and_b32_e32 v2, v3, v2
	s_delay_alu instid0(VALU_DEP_1) | instskip(SKIP_1) | instid1(VALU_DEP_2)
	v_mbcnt_lo_u32_b32 v154, v2, 0
	v_cmp_ne_u32_e64 s17, 0, v2
	v_cmp_eq_u32_e32 vcc_lo, 0, v154
	s_delay_alu instid0(VALU_DEP_2) | instskip(NEXT) | instid1(SALU_CYCLE_1)
	s_and_b32 s18, s17, vcc_lo
	s_and_saveexec_b32 s17, s18
	s_cbranch_execz .LBB1051_136
; %bb.135:                              ;   in Loop: Header=BB1051_106 Depth=2
	s_waitcnt lgkmcnt(0)
	v_bcnt_u32_b32 v2, v2, v153
	ds_store_b32 v155, v2
.LBB1051_136:                           ;   in Loop: Header=BB1051_106 Depth=2
	s_or_b32 exec_lo, exec_lo, s17
	v_xor_b32_e32 v152, 0x80008000, v4
	; wave barrier
	s_delay_alu instid0(VALU_DEP_1) | instskip(NEXT) | instid1(VALU_DEP_1)
	v_and_b32_e32 v2, 0xffff, v152
	v_lshrrev_b32_e32 v2, s42, v2
	s_delay_alu instid0(VALU_DEP_1) | instskip(NEXT) | instid1(VALU_DEP_1)
	v_and_b32_e32 v2, s43, v2
	v_and_b32_e32 v3, 1, v2
	v_lshlrev_b32_e32 v4, 30, v2
	v_lshlrev_b32_e32 v45, 29, v2
	;; [unrolled: 1-line block ×4, first 2 shown]
	v_add_co_u32 v3, s17, v3, -1
	s_delay_alu instid0(VALU_DEP_1)
	v_cndmask_b32_e64 v156, 0, 1, s17
	v_not_b32_e32 v160, v4
	v_cmp_gt_i32_e64 s17, 0, v4
	v_not_b32_e32 v4, v45
	v_lshlrev_b32_e32 v158, 26, v2
	v_cmp_ne_u32_e32 vcc_lo, 0, v156
	v_ashrrev_i32_e32 v160, 31, v160
	v_lshlrev_b32_e32 v159, 25, v2
	v_ashrrev_i32_e32 v4, 31, v4
	v_lshlrev_b32_e32 v156, 24, v2
	v_xor_b32_e32 v3, vcc_lo, v3
	v_cmp_gt_i32_e32 vcc_lo, 0, v45
	v_not_b32_e32 v45, v46
	v_xor_b32_e32 v160, s17, v160
	v_cmp_gt_i32_e64 s17, 0, v46
	v_and_b32_e32 v3, exec_lo, v3
	v_not_b32_e32 v46, v157
	v_ashrrev_i32_e32 v45, 31, v45
	v_xor_b32_e32 v4, vcc_lo, v4
	v_cmp_gt_i32_e32 vcc_lo, 0, v157
	v_and_b32_e32 v3, v3, v160
	v_not_b32_e32 v157, v158
	v_ashrrev_i32_e32 v46, 31, v46
	v_xor_b32_e32 v45, s17, v45
	v_cmp_gt_i32_e64 s17, 0, v158
	v_and_b32_e32 v3, v3, v4
	v_not_b32_e32 v4, v159
	v_ashrrev_i32_e32 v157, 31, v157
	v_xor_b32_e32 v46, vcc_lo, v46
	v_cmp_gt_i32_e32 vcc_lo, 0, v159
	v_and_b32_e32 v3, v3, v45
	v_not_b32_e32 v45, v156
	v_ashrrev_i32_e32 v4, 31, v4
	v_xor_b32_e32 v157, s17, v157
	v_mul_u32_u24_e32 v2, 9, v2
	v_and_b32_e32 v3, v3, v46
	v_cmp_gt_i32_e64 s17, 0, v156
	v_ashrrev_i32_e32 v45, 31, v45
	v_xor_b32_e32 v4, vcc_lo, v4
	v_add_lshl_u32 v46, v2, v122, 2
	v_and_b32_e32 v3, v3, v157
	s_delay_alu instid0(VALU_DEP_4) | instskip(SKIP_3) | instid1(VALU_DEP_2)
	v_xor_b32_e32 v2, s17, v45
	ds_load_b32 v157, v46 offset:1056
	v_and_b32_e32 v3, v3, v4
	v_add_nc_u32_e32 v159, 0x420, v46
	; wave barrier
	v_and_b32_e32 v2, v3, v2
	s_delay_alu instid0(VALU_DEP_1) | instskip(SKIP_1) | instid1(VALU_DEP_2)
	v_mbcnt_lo_u32_b32 v158, v2, 0
	v_cmp_ne_u32_e64 s17, 0, v2
	v_cmp_eq_u32_e32 vcc_lo, 0, v158
	s_delay_alu instid0(VALU_DEP_2) | instskip(NEXT) | instid1(SALU_CYCLE_1)
	s_and_b32 s18, s17, vcc_lo
	s_and_saveexec_b32 s17, s18
	s_cbranch_execz .LBB1051_138
; %bb.137:                              ;   in Loop: Header=BB1051_106 Depth=2
	s_waitcnt lgkmcnt(0)
	v_bcnt_u32_b32 v2, v2, v157
	ds_store_b32 v159, v2
.LBB1051_138:                           ;   in Loop: Header=BB1051_106 Depth=2
	s_or_b32 exec_lo, exec_lo, s17
	v_lshrrev_b32_e32 v156, 16, v152
	; wave barrier
	s_delay_alu instid0(VALU_DEP_1) | instskip(NEXT) | instid1(VALU_DEP_1)
	v_lshrrev_b32_e32 v2, s42, v156
	v_and_b32_e32 v2, s43, v2
	s_delay_alu instid0(VALU_DEP_1)
	v_and_b32_e32 v3, 1, v2
	v_lshlrev_b32_e32 v4, 30, v2
	v_lshlrev_b32_e32 v45, 29, v2
	;; [unrolled: 1-line block ×4, first 2 shown]
	v_add_co_u32 v3, s17, v3, -1
	s_delay_alu instid0(VALU_DEP_1)
	v_cndmask_b32_e64 v160, 0, 1, s17
	v_not_b32_e32 v164, v4
	v_cmp_gt_i32_e64 s17, 0, v4
	v_not_b32_e32 v4, v45
	v_lshlrev_b32_e32 v162, 26, v2
	v_cmp_ne_u32_e32 vcc_lo, 0, v160
	v_ashrrev_i32_e32 v164, 31, v164
	v_lshlrev_b32_e32 v163, 25, v2
	v_ashrrev_i32_e32 v4, 31, v4
	v_lshlrev_b32_e32 v160, 24, v2
	v_xor_b32_e32 v3, vcc_lo, v3
	v_cmp_gt_i32_e32 vcc_lo, 0, v45
	v_not_b32_e32 v45, v46
	v_xor_b32_e32 v164, s17, v164
	v_cmp_gt_i32_e64 s17, 0, v46
	v_and_b32_e32 v3, exec_lo, v3
	v_not_b32_e32 v46, v161
	v_ashrrev_i32_e32 v45, 31, v45
	v_xor_b32_e32 v4, vcc_lo, v4
	v_cmp_gt_i32_e32 vcc_lo, 0, v161
	v_and_b32_e32 v3, v3, v164
	v_not_b32_e32 v161, v162
	v_ashrrev_i32_e32 v46, 31, v46
	v_xor_b32_e32 v45, s17, v45
	v_cmp_gt_i32_e64 s17, 0, v162
	v_and_b32_e32 v3, v3, v4
	v_not_b32_e32 v4, v163
	v_ashrrev_i32_e32 v161, 31, v161
	v_xor_b32_e32 v46, vcc_lo, v46
	v_cmp_gt_i32_e32 vcc_lo, 0, v163
	v_and_b32_e32 v3, v3, v45
	v_not_b32_e32 v45, v160
	v_ashrrev_i32_e32 v4, 31, v4
	v_xor_b32_e32 v161, s17, v161
	v_mul_u32_u24_e32 v2, 9, v2
	v_and_b32_e32 v3, v3, v46
	v_cmp_gt_i32_e64 s17, 0, v160
	v_ashrrev_i32_e32 v45, 31, v45
	v_xor_b32_e32 v4, vcc_lo, v4
	v_add_lshl_u32 v46, v2, v122, 2
	v_and_b32_e32 v3, v3, v161
	s_delay_alu instid0(VALU_DEP_4) | instskip(SKIP_3) | instid1(VALU_DEP_2)
	v_xor_b32_e32 v2, s17, v45
	ds_load_b32 v161, v46 offset:1056
	v_and_b32_e32 v3, v3, v4
	v_add_nc_u32_e32 v163, 0x420, v46
	; wave barrier
	v_and_b32_e32 v2, v3, v2
	s_delay_alu instid0(VALU_DEP_1) | instskip(SKIP_1) | instid1(VALU_DEP_2)
	v_mbcnt_lo_u32_b32 v162, v2, 0
	v_cmp_ne_u32_e64 s17, 0, v2
	v_cmp_eq_u32_e32 vcc_lo, 0, v162
	s_delay_alu instid0(VALU_DEP_2) | instskip(NEXT) | instid1(SALU_CYCLE_1)
	s_and_b32 s18, s17, vcc_lo
	s_and_saveexec_b32 s17, s18
	s_cbranch_execz .LBB1051_140
; %bb.139:                              ;   in Loop: Header=BB1051_106 Depth=2
	s_waitcnt lgkmcnt(0)
	v_bcnt_u32_b32 v2, v2, v161
	ds_store_b32 v163, v2
.LBB1051_140:                           ;   in Loop: Header=BB1051_106 Depth=2
	s_or_b32 exec_lo, exec_lo, s17
	v_xor_b32_e32 v160, 0x80008000, v5
	; wave barrier
	s_delay_alu instid0(VALU_DEP_1) | instskip(NEXT) | instid1(VALU_DEP_1)
	v_and_b32_e32 v2, 0xffff, v160
	v_lshrrev_b32_e32 v2, s42, v2
	s_delay_alu instid0(VALU_DEP_1) | instskip(NEXT) | instid1(VALU_DEP_1)
	v_and_b32_e32 v2, s43, v2
	v_and_b32_e32 v3, 1, v2
	v_lshlrev_b32_e32 v4, 30, v2
	v_lshlrev_b32_e32 v5, 29, v2
	;; [unrolled: 1-line block ×4, first 2 shown]
	v_add_co_u32 v3, s17, v3, -1
	s_delay_alu instid0(VALU_DEP_1)
	v_cndmask_b32_e64 v46, 0, 1, s17
	v_not_b32_e32 v167, v4
	v_cmp_gt_i32_e64 s17, 0, v4
	v_not_b32_e32 v4, v5
	v_lshlrev_b32_e32 v165, 26, v2
	v_cmp_ne_u32_e32 vcc_lo, 0, v46
	v_ashrrev_i32_e32 v167, 31, v167
	v_lshlrev_b32_e32 v166, 25, v2
	v_ashrrev_i32_e32 v4, 31, v4
	v_lshlrev_b32_e32 v46, 24, v2
	v_xor_b32_e32 v3, vcc_lo, v3
	v_cmp_gt_i32_e32 vcc_lo, 0, v5
	v_not_b32_e32 v5, v45
	v_xor_b32_e32 v167, s17, v167
	v_cmp_gt_i32_e64 s17, 0, v45
	v_and_b32_e32 v3, exec_lo, v3
	v_not_b32_e32 v45, v164
	v_ashrrev_i32_e32 v5, 31, v5
	v_xor_b32_e32 v4, vcc_lo, v4
	v_cmp_gt_i32_e32 vcc_lo, 0, v164
	v_and_b32_e32 v3, v3, v167
	v_not_b32_e32 v164, v165
	v_ashrrev_i32_e32 v45, 31, v45
	v_xor_b32_e32 v5, s17, v5
	v_cmp_gt_i32_e64 s17, 0, v165
	v_and_b32_e32 v3, v3, v4
	v_not_b32_e32 v4, v166
	v_ashrrev_i32_e32 v164, 31, v164
	v_xor_b32_e32 v45, vcc_lo, v45
	v_cmp_gt_i32_e32 vcc_lo, 0, v166
	v_and_b32_e32 v3, v3, v5
	v_not_b32_e32 v5, v46
	v_ashrrev_i32_e32 v4, 31, v4
	v_xor_b32_e32 v164, s17, v164
	v_mul_u32_u24_e32 v2, 9, v2
	v_and_b32_e32 v3, v3, v45
	v_cmp_gt_i32_e64 s17, 0, v46
	v_ashrrev_i32_e32 v5, 31, v5
	v_xor_b32_e32 v4, vcc_lo, v4
	v_add_lshl_u32 v45, v2, v122, 2
	v_and_b32_e32 v3, v3, v164
	s_delay_alu instid0(VALU_DEP_4) | instskip(SKIP_3) | instid1(VALU_DEP_2)
	v_xor_b32_e32 v2, s17, v5
	ds_load_b32 v165, v45 offset:1056
	v_and_b32_e32 v3, v3, v4
	v_add_nc_u32_e32 v167, 0x420, v45
	; wave barrier
	v_and_b32_e32 v2, v3, v2
	s_delay_alu instid0(VALU_DEP_1) | instskip(SKIP_1) | instid1(VALU_DEP_2)
	v_mbcnt_lo_u32_b32 v166, v2, 0
	v_cmp_ne_u32_e64 s17, 0, v2
	v_cmp_eq_u32_e32 vcc_lo, 0, v166
	s_delay_alu instid0(VALU_DEP_2) | instskip(NEXT) | instid1(SALU_CYCLE_1)
	s_and_b32 s18, s17, vcc_lo
	s_and_saveexec_b32 s17, s18
	s_cbranch_execz .LBB1051_142
; %bb.141:                              ;   in Loop: Header=BB1051_106 Depth=2
	s_waitcnt lgkmcnt(0)
	v_bcnt_u32_b32 v2, v2, v165
	ds_store_b32 v167, v2
.LBB1051_142:                           ;   in Loop: Header=BB1051_106 Depth=2
	s_or_b32 exec_lo, exec_lo, s17
	v_lshrrev_b32_e32 v164, 16, v160
	; wave barrier
	s_delay_alu instid0(VALU_DEP_1) | instskip(NEXT) | instid1(VALU_DEP_1)
	v_lshrrev_b32_e32 v2, s42, v164
	v_and_b32_e32 v2, s43, v2
	s_delay_alu instid0(VALU_DEP_1)
	v_and_b32_e32 v3, 1, v2
	v_lshlrev_b32_e32 v4, 30, v2
	v_lshlrev_b32_e32 v5, 29, v2
	;; [unrolled: 1-line block ×4, first 2 shown]
	v_add_co_u32 v3, s17, v3, -1
	s_delay_alu instid0(VALU_DEP_1)
	v_cndmask_b32_e64 v46, 0, 1, s17
	v_not_b32_e32 v171, v4
	v_cmp_gt_i32_e64 s17, 0, v4
	v_not_b32_e32 v4, v5
	v_lshlrev_b32_e32 v169, 26, v2
	v_cmp_ne_u32_e32 vcc_lo, 0, v46
	v_ashrrev_i32_e32 v171, 31, v171
	v_lshlrev_b32_e32 v170, 25, v2
	v_ashrrev_i32_e32 v4, 31, v4
	v_lshlrev_b32_e32 v46, 24, v2
	v_xor_b32_e32 v3, vcc_lo, v3
	v_cmp_gt_i32_e32 vcc_lo, 0, v5
	v_not_b32_e32 v5, v45
	v_xor_b32_e32 v171, s17, v171
	v_cmp_gt_i32_e64 s17, 0, v45
	v_and_b32_e32 v3, exec_lo, v3
	v_not_b32_e32 v45, v168
	v_ashrrev_i32_e32 v5, 31, v5
	v_xor_b32_e32 v4, vcc_lo, v4
	v_cmp_gt_i32_e32 vcc_lo, 0, v168
	v_and_b32_e32 v3, v3, v171
	v_not_b32_e32 v168, v169
	v_ashrrev_i32_e32 v45, 31, v45
	v_xor_b32_e32 v5, s17, v5
	v_cmp_gt_i32_e64 s17, 0, v169
	v_and_b32_e32 v3, v3, v4
	v_not_b32_e32 v4, v170
	v_ashrrev_i32_e32 v168, 31, v168
	v_xor_b32_e32 v45, vcc_lo, v45
	v_cmp_gt_i32_e32 vcc_lo, 0, v170
	v_and_b32_e32 v3, v3, v5
	v_not_b32_e32 v5, v46
	v_ashrrev_i32_e32 v4, 31, v4
	v_xor_b32_e32 v168, s17, v168
	v_mul_u32_u24_e32 v2, 9, v2
	v_and_b32_e32 v3, v3, v45
	v_cmp_gt_i32_e64 s17, 0, v46
	v_ashrrev_i32_e32 v5, 31, v5
	v_xor_b32_e32 v4, vcc_lo, v4
	v_add_lshl_u32 v45, v2, v122, 2
	v_and_b32_e32 v3, v3, v168
	s_delay_alu instid0(VALU_DEP_4) | instskip(SKIP_3) | instid1(VALU_DEP_2)
	v_xor_b32_e32 v2, s17, v5
	ds_load_b32 v169, v45 offset:1056
	v_and_b32_e32 v3, v3, v4
	v_add_nc_u32_e32 v171, 0x420, v45
	; wave barrier
	v_and_b32_e32 v2, v3, v2
	s_delay_alu instid0(VALU_DEP_1) | instskip(SKIP_1) | instid1(VALU_DEP_2)
	v_mbcnt_lo_u32_b32 v170, v2, 0
	v_cmp_ne_u32_e64 s17, 0, v2
	v_cmp_eq_u32_e32 vcc_lo, 0, v170
	s_delay_alu instid0(VALU_DEP_2) | instskip(NEXT) | instid1(SALU_CYCLE_1)
	s_and_b32 s18, s17, vcc_lo
	s_and_saveexec_b32 s17, s18
	s_cbranch_execz .LBB1051_144
; %bb.143:                              ;   in Loop: Header=BB1051_106 Depth=2
	s_waitcnt lgkmcnt(0)
	v_bcnt_u32_b32 v2, v2, v169
	ds_store_b32 v171, v2
.LBB1051_144:                           ;   in Loop: Header=BB1051_106 Depth=2
	s_or_b32 exec_lo, exec_lo, s17
	v_xor_b32_e32 v168, 0x80008000, v6
	; wave barrier
	s_delay_alu instid0(VALU_DEP_1) | instskip(NEXT) | instid1(VALU_DEP_1)
	v_and_b32_e32 v2, 0xffff, v168
	v_lshrrev_b32_e32 v2, s42, v2
	s_delay_alu instid0(VALU_DEP_1) | instskip(NEXT) | instid1(VALU_DEP_1)
	v_and_b32_e32 v2, s43, v2
	v_and_b32_e32 v3, 1, v2
	v_lshlrev_b32_e32 v4, 30, v2
	v_lshlrev_b32_e32 v5, 29, v2
	;; [unrolled: 1-line block ×4, first 2 shown]
	v_add_co_u32 v3, s17, v3, -1
	s_delay_alu instid0(VALU_DEP_1)
	v_cndmask_b32_e64 v45, 0, 1, s17
	v_not_b32_e32 v174, v4
	v_cmp_gt_i32_e64 s17, 0, v4
	v_not_b32_e32 v4, v5
	v_lshlrev_b32_e32 v172, 26, v2
	v_cmp_ne_u32_e32 vcc_lo, 0, v45
	v_ashrrev_i32_e32 v174, 31, v174
	v_lshlrev_b32_e32 v173, 25, v2
	v_ashrrev_i32_e32 v4, 31, v4
	v_lshlrev_b32_e32 v45, 24, v2
	v_xor_b32_e32 v3, vcc_lo, v3
	v_cmp_gt_i32_e32 vcc_lo, 0, v5
	v_not_b32_e32 v5, v6
	v_xor_b32_e32 v174, s17, v174
	v_cmp_gt_i32_e64 s17, 0, v6
	v_and_b32_e32 v3, exec_lo, v3
	v_not_b32_e32 v6, v46
	v_ashrrev_i32_e32 v5, 31, v5
	v_xor_b32_e32 v4, vcc_lo, v4
	v_cmp_gt_i32_e32 vcc_lo, 0, v46
	v_and_b32_e32 v3, v3, v174
	v_not_b32_e32 v46, v172
	v_ashrrev_i32_e32 v6, 31, v6
	v_xor_b32_e32 v5, s17, v5
	v_cmp_gt_i32_e64 s17, 0, v172
	v_and_b32_e32 v3, v3, v4
	v_not_b32_e32 v4, v173
	v_ashrrev_i32_e32 v46, 31, v46
	v_xor_b32_e32 v6, vcc_lo, v6
	v_cmp_gt_i32_e32 vcc_lo, 0, v173
	v_and_b32_e32 v3, v3, v5
	v_not_b32_e32 v5, v45
	v_ashrrev_i32_e32 v4, 31, v4
	v_xor_b32_e32 v46, s17, v46
	v_mul_u32_u24_e32 v2, 9, v2
	v_and_b32_e32 v3, v3, v6
	v_cmp_gt_i32_e64 s17, 0, v45
	v_ashrrev_i32_e32 v5, 31, v5
	v_xor_b32_e32 v4, vcc_lo, v4
	v_add_lshl_u32 v6, v2, v122, 2
	v_and_b32_e32 v3, v3, v46
	s_delay_alu instid0(VALU_DEP_4) | instskip(SKIP_3) | instid1(VALU_DEP_2)
	v_xor_b32_e32 v2, s17, v5
	ds_load_b32 v173, v6 offset:1056
	v_and_b32_e32 v3, v3, v4
	v_add_nc_u32_e32 v175, 0x420, v6
	; wave barrier
	v_and_b32_e32 v2, v3, v2
	s_delay_alu instid0(VALU_DEP_1) | instskip(SKIP_1) | instid1(VALU_DEP_2)
	v_mbcnt_lo_u32_b32 v174, v2, 0
	v_cmp_ne_u32_e64 s17, 0, v2
	v_cmp_eq_u32_e32 vcc_lo, 0, v174
	s_delay_alu instid0(VALU_DEP_2) | instskip(NEXT) | instid1(SALU_CYCLE_1)
	s_and_b32 s18, s17, vcc_lo
	s_and_saveexec_b32 s17, s18
	s_cbranch_execz .LBB1051_146
; %bb.145:                              ;   in Loop: Header=BB1051_106 Depth=2
	s_waitcnt lgkmcnt(0)
	v_bcnt_u32_b32 v2, v2, v173
	ds_store_b32 v175, v2
.LBB1051_146:                           ;   in Loop: Header=BB1051_106 Depth=2
	s_or_b32 exec_lo, exec_lo, s17
	v_lshrrev_b32_e32 v172, 16, v168
	; wave barrier
	s_delay_alu instid0(VALU_DEP_1) | instskip(NEXT) | instid1(VALU_DEP_1)
	v_lshrrev_b32_e32 v2, s42, v172
	v_and_b32_e32 v2, s43, v2
	s_delay_alu instid0(VALU_DEP_1)
	v_and_b32_e32 v3, 1, v2
	v_lshlrev_b32_e32 v4, 30, v2
	v_lshlrev_b32_e32 v5, 29, v2
	;; [unrolled: 1-line block ×4, first 2 shown]
	v_add_co_u32 v3, s17, v3, -1
	s_delay_alu instid0(VALU_DEP_1)
	v_cndmask_b32_e64 v45, 0, 1, s17
	v_not_b32_e32 v178, v4
	v_cmp_gt_i32_e64 s17, 0, v4
	v_not_b32_e32 v4, v5
	v_lshlrev_b32_e32 v176, 26, v2
	v_cmp_ne_u32_e32 vcc_lo, 0, v45
	v_ashrrev_i32_e32 v178, 31, v178
	v_lshlrev_b32_e32 v177, 25, v2
	v_ashrrev_i32_e32 v4, 31, v4
	v_lshlrev_b32_e32 v45, 24, v2
	v_xor_b32_e32 v3, vcc_lo, v3
	v_cmp_gt_i32_e32 vcc_lo, 0, v5
	v_not_b32_e32 v5, v6
	v_xor_b32_e32 v178, s17, v178
	v_cmp_gt_i32_e64 s17, 0, v6
	v_and_b32_e32 v3, exec_lo, v3
	v_not_b32_e32 v6, v46
	v_ashrrev_i32_e32 v5, 31, v5
	v_xor_b32_e32 v4, vcc_lo, v4
	v_cmp_gt_i32_e32 vcc_lo, 0, v46
	v_and_b32_e32 v3, v3, v178
	v_not_b32_e32 v46, v176
	v_ashrrev_i32_e32 v6, 31, v6
	v_xor_b32_e32 v5, s17, v5
	v_cmp_gt_i32_e64 s17, 0, v176
	v_and_b32_e32 v3, v3, v4
	v_not_b32_e32 v4, v177
	v_ashrrev_i32_e32 v46, 31, v46
	v_xor_b32_e32 v6, vcc_lo, v6
	v_cmp_gt_i32_e32 vcc_lo, 0, v177
	v_and_b32_e32 v3, v3, v5
	v_not_b32_e32 v5, v45
	v_ashrrev_i32_e32 v4, 31, v4
	v_xor_b32_e32 v46, s17, v46
	v_mul_u32_u24_e32 v2, 9, v2
	v_and_b32_e32 v3, v3, v6
	v_cmp_gt_i32_e64 s17, 0, v45
	v_ashrrev_i32_e32 v5, 31, v5
	v_xor_b32_e32 v4, vcc_lo, v4
	v_add_lshl_u32 v6, v2, v122, 2
	v_and_b32_e32 v3, v3, v46
	s_delay_alu instid0(VALU_DEP_4) | instskip(SKIP_3) | instid1(VALU_DEP_2)
	v_xor_b32_e32 v2, s17, v5
	ds_load_b32 v177, v6 offset:1056
	v_and_b32_e32 v3, v3, v4
	v_add_nc_u32_e32 v179, 0x420, v6
	; wave barrier
	v_and_b32_e32 v2, v3, v2
	s_delay_alu instid0(VALU_DEP_1) | instskip(SKIP_1) | instid1(VALU_DEP_2)
	v_mbcnt_lo_u32_b32 v178, v2, 0
	v_cmp_ne_u32_e64 s17, 0, v2
	v_cmp_eq_u32_e32 vcc_lo, 0, v178
	s_delay_alu instid0(VALU_DEP_2) | instskip(NEXT) | instid1(SALU_CYCLE_1)
	s_and_b32 s18, s17, vcc_lo
	s_and_saveexec_b32 s17, s18
	s_cbranch_execz .LBB1051_148
; %bb.147:                              ;   in Loop: Header=BB1051_106 Depth=2
	s_waitcnt lgkmcnt(0)
	v_bcnt_u32_b32 v2, v2, v177
	ds_store_b32 v179, v2
.LBB1051_148:                           ;   in Loop: Header=BB1051_106 Depth=2
	s_or_b32 exec_lo, exec_lo, s17
	v_xor_b32_e32 v176, 0x80008000, v7
	; wave barrier
	s_delay_alu instid0(VALU_DEP_1) | instskip(NEXT) | instid1(VALU_DEP_1)
	v_and_b32_e32 v2, 0xffff, v176
	v_lshrrev_b32_e32 v2, s42, v2
	s_delay_alu instid0(VALU_DEP_1) | instskip(NEXT) | instid1(VALU_DEP_1)
	v_and_b32_e32 v2, s43, v2
	v_and_b32_e32 v3, 1, v2
	v_lshlrev_b32_e32 v4, 30, v2
	v_lshlrev_b32_e32 v5, 29, v2
	v_lshlrev_b32_e32 v6, 28, v2
	v_lshlrev_b32_e32 v45, 27, v2
	v_add_co_u32 v3, s17, v3, -1
	s_delay_alu instid0(VALU_DEP_1)
	v_cndmask_b32_e64 v7, 0, 1, s17
	v_not_b32_e32 v181, v4
	v_cmp_gt_i32_e64 s17, 0, v4
	v_not_b32_e32 v4, v5
	v_lshlrev_b32_e32 v46, 26, v2
	v_cmp_ne_u32_e32 vcc_lo, 0, v7
	v_ashrrev_i32_e32 v181, 31, v181
	v_lshlrev_b32_e32 v180, 25, v2
	v_ashrrev_i32_e32 v4, 31, v4
	v_lshlrev_b32_e32 v7, 24, v2
	v_xor_b32_e32 v3, vcc_lo, v3
	v_cmp_gt_i32_e32 vcc_lo, 0, v5
	v_not_b32_e32 v5, v6
	v_xor_b32_e32 v181, s17, v181
	v_cmp_gt_i32_e64 s17, 0, v6
	v_and_b32_e32 v3, exec_lo, v3
	v_not_b32_e32 v6, v45
	v_ashrrev_i32_e32 v5, 31, v5
	v_xor_b32_e32 v4, vcc_lo, v4
	v_cmp_gt_i32_e32 vcc_lo, 0, v45
	v_and_b32_e32 v3, v3, v181
	v_not_b32_e32 v45, v46
	v_ashrrev_i32_e32 v6, 31, v6
	v_xor_b32_e32 v5, s17, v5
	v_cmp_gt_i32_e64 s17, 0, v46
	v_and_b32_e32 v3, v3, v4
	v_not_b32_e32 v4, v180
	v_ashrrev_i32_e32 v45, 31, v45
	v_xor_b32_e32 v6, vcc_lo, v6
	v_cmp_gt_i32_e32 vcc_lo, 0, v180
	v_and_b32_e32 v3, v3, v5
	v_not_b32_e32 v5, v7
	v_ashrrev_i32_e32 v4, 31, v4
	v_xor_b32_e32 v45, s17, v45
	v_mul_u32_u24_e32 v2, 9, v2
	v_and_b32_e32 v3, v3, v6
	v_cmp_gt_i32_e64 s17, 0, v7
	v_ashrrev_i32_e32 v5, 31, v5
	v_xor_b32_e32 v4, vcc_lo, v4
	v_add_lshl_u32 v6, v2, v122, 2
	v_and_b32_e32 v3, v3, v45
	s_delay_alu instid0(VALU_DEP_4) | instskip(SKIP_3) | instid1(VALU_DEP_2)
	v_xor_b32_e32 v2, s17, v5
	ds_load_b32 v181, v6 offset:1056
	v_and_b32_e32 v3, v3, v4
	v_add_nc_u32_e32 v183, 0x420, v6
	; wave barrier
	v_and_b32_e32 v2, v3, v2
	s_delay_alu instid0(VALU_DEP_1) | instskip(SKIP_1) | instid1(VALU_DEP_2)
	v_mbcnt_lo_u32_b32 v182, v2, 0
	v_cmp_ne_u32_e64 s17, 0, v2
	v_cmp_eq_u32_e32 vcc_lo, 0, v182
	s_delay_alu instid0(VALU_DEP_2) | instskip(NEXT) | instid1(SALU_CYCLE_1)
	s_and_b32 s18, s17, vcc_lo
	s_and_saveexec_b32 s17, s18
	s_cbranch_execz .LBB1051_150
; %bb.149:                              ;   in Loop: Header=BB1051_106 Depth=2
	s_waitcnt lgkmcnt(0)
	v_bcnt_u32_b32 v2, v2, v181
	ds_store_b32 v183, v2
.LBB1051_150:                           ;   in Loop: Header=BB1051_106 Depth=2
	s_or_b32 exec_lo, exec_lo, s17
	v_lshrrev_b32_e32 v180, 16, v176
	; wave barrier
	s_delay_alu instid0(VALU_DEP_1) | instskip(NEXT) | instid1(VALU_DEP_1)
	v_lshrrev_b32_e32 v2, s42, v180
	v_and_b32_e32 v2, s43, v2
	s_delay_alu instid0(VALU_DEP_1)
	v_and_b32_e32 v3, 1, v2
	v_lshlrev_b32_e32 v4, 30, v2
	v_lshlrev_b32_e32 v5, 29, v2
	;; [unrolled: 1-line block ×4, first 2 shown]
	v_add_co_u32 v3, s17, v3, -1
	s_delay_alu instid0(VALU_DEP_1)
	v_cndmask_b32_e64 v7, 0, 1, s17
	v_not_b32_e32 v185, v4
	v_cmp_gt_i32_e64 s17, 0, v4
	v_not_b32_e32 v4, v5
	v_lshlrev_b32_e32 v46, 26, v2
	v_cmp_ne_u32_e32 vcc_lo, 0, v7
	v_ashrrev_i32_e32 v185, 31, v185
	v_lshlrev_b32_e32 v184, 25, v2
	v_ashrrev_i32_e32 v4, 31, v4
	v_lshlrev_b32_e32 v7, 24, v2
	v_xor_b32_e32 v3, vcc_lo, v3
	v_cmp_gt_i32_e32 vcc_lo, 0, v5
	v_not_b32_e32 v5, v6
	v_xor_b32_e32 v185, s17, v185
	v_cmp_gt_i32_e64 s17, 0, v6
	v_and_b32_e32 v3, exec_lo, v3
	v_not_b32_e32 v6, v45
	v_ashrrev_i32_e32 v5, 31, v5
	v_xor_b32_e32 v4, vcc_lo, v4
	v_cmp_gt_i32_e32 vcc_lo, 0, v45
	v_and_b32_e32 v3, v3, v185
	v_not_b32_e32 v45, v46
	v_ashrrev_i32_e32 v6, 31, v6
	v_xor_b32_e32 v5, s17, v5
	v_cmp_gt_i32_e64 s17, 0, v46
	v_and_b32_e32 v3, v3, v4
	v_not_b32_e32 v4, v184
	v_ashrrev_i32_e32 v45, 31, v45
	v_xor_b32_e32 v6, vcc_lo, v6
	v_cmp_gt_i32_e32 vcc_lo, 0, v184
	v_and_b32_e32 v3, v3, v5
	v_not_b32_e32 v5, v7
	v_ashrrev_i32_e32 v4, 31, v4
	v_xor_b32_e32 v45, s17, v45
	v_mul_u32_u24_e32 v2, 9, v2
	v_and_b32_e32 v3, v3, v6
	v_cmp_gt_i32_e64 s17, 0, v7
	v_ashrrev_i32_e32 v5, 31, v5
	v_xor_b32_e32 v4, vcc_lo, v4
	v_add_lshl_u32 v6, v2, v122, 2
	v_and_b32_e32 v3, v3, v45
	s_delay_alu instid0(VALU_DEP_4) | instskip(SKIP_3) | instid1(VALU_DEP_2)
	v_xor_b32_e32 v2, s17, v5
	ds_load_b32 v185, v6 offset:1056
	v_and_b32_e32 v3, v3, v4
	v_add_nc_u32_e32 v187, 0x420, v6
	; wave barrier
	v_and_b32_e32 v2, v3, v2
	s_delay_alu instid0(VALU_DEP_1) | instskip(SKIP_1) | instid1(VALU_DEP_2)
	v_mbcnt_lo_u32_b32 v186, v2, 0
	v_cmp_ne_u32_e64 s17, 0, v2
	v_cmp_eq_u32_e32 vcc_lo, 0, v186
	s_delay_alu instid0(VALU_DEP_2) | instskip(NEXT) | instid1(SALU_CYCLE_1)
	s_and_b32 s18, s17, vcc_lo
	s_and_saveexec_b32 s17, s18
	s_cbranch_execz .LBB1051_152
; %bb.151:                              ;   in Loop: Header=BB1051_106 Depth=2
	s_waitcnt lgkmcnt(0)
	v_bcnt_u32_b32 v2, v2, v185
	ds_store_b32 v187, v2
.LBB1051_152:                           ;   in Loop: Header=BB1051_106 Depth=2
	s_or_b32 exec_lo, exec_lo, s17
	v_xor_b32_e32 v184, 0x80008000, v8
	; wave barrier
	s_delay_alu instid0(VALU_DEP_1) | instskip(NEXT) | instid1(VALU_DEP_1)
	v_and_b32_e32 v2, 0xffff, v184
	v_lshrrev_b32_e32 v2, s42, v2
	s_delay_alu instid0(VALU_DEP_1) | instskip(NEXT) | instid1(VALU_DEP_1)
	v_and_b32_e32 v2, s43, v2
	v_and_b32_e32 v3, 1, v2
	v_lshlrev_b32_e32 v4, 30, v2
	v_lshlrev_b32_e32 v5, 29, v2
	v_lshlrev_b32_e32 v6, 28, v2
	v_lshlrev_b32_e32 v8, 27, v2
	v_add_co_u32 v3, s17, v3, -1
	s_delay_alu instid0(VALU_DEP_1)
	v_cndmask_b32_e64 v7, 0, 1, s17
	v_not_b32_e32 v188, v4
	v_cmp_gt_i32_e64 s17, 0, v4
	v_not_b32_e32 v4, v5
	v_lshlrev_b32_e32 v45, 26, v2
	v_cmp_ne_u32_e32 vcc_lo, 0, v7
	v_ashrrev_i32_e32 v188, 31, v188
	v_lshlrev_b32_e32 v46, 25, v2
	v_ashrrev_i32_e32 v4, 31, v4
	v_lshlrev_b32_e32 v7, 24, v2
	v_xor_b32_e32 v3, vcc_lo, v3
	v_cmp_gt_i32_e32 vcc_lo, 0, v5
	v_not_b32_e32 v5, v6
	v_xor_b32_e32 v188, s17, v188
	v_cmp_gt_i32_e64 s17, 0, v6
	v_and_b32_e32 v3, exec_lo, v3
	v_not_b32_e32 v6, v8
	v_ashrrev_i32_e32 v5, 31, v5
	v_xor_b32_e32 v4, vcc_lo, v4
	v_cmp_gt_i32_e32 vcc_lo, 0, v8
	v_and_b32_e32 v3, v3, v188
	v_not_b32_e32 v8, v45
	v_ashrrev_i32_e32 v6, 31, v6
	v_xor_b32_e32 v5, s17, v5
	v_cmp_gt_i32_e64 s17, 0, v45
	v_and_b32_e32 v3, v3, v4
	v_not_b32_e32 v4, v46
	v_ashrrev_i32_e32 v8, 31, v8
	v_xor_b32_e32 v6, vcc_lo, v6
	v_cmp_gt_i32_e32 vcc_lo, 0, v46
	v_and_b32_e32 v3, v3, v5
	v_not_b32_e32 v5, v7
	v_ashrrev_i32_e32 v4, 31, v4
	v_xor_b32_e32 v8, s17, v8
	v_mul_u32_u24_e32 v2, 9, v2
	v_and_b32_e32 v3, v3, v6
	v_cmp_gt_i32_e64 s17, 0, v7
	v_ashrrev_i32_e32 v5, 31, v5
	v_xor_b32_e32 v4, vcc_lo, v4
	v_add_lshl_u32 v6, v2, v122, 2
	v_and_b32_e32 v3, v3, v8
	s_delay_alu instid0(VALU_DEP_4) | instskip(SKIP_3) | instid1(VALU_DEP_2)
	v_xor_b32_e32 v2, s17, v5
	ds_load_b32 v8, v6 offset:1056
	v_and_b32_e32 v3, v3, v4
	v_add_nc_u32_e32 v190, 0x420, v6
	; wave barrier
	v_and_b32_e32 v2, v3, v2
	s_delay_alu instid0(VALU_DEP_1) | instskip(SKIP_1) | instid1(VALU_DEP_2)
	v_mbcnt_lo_u32_b32 v189, v2, 0
	v_cmp_ne_u32_e64 s17, 0, v2
	v_cmp_eq_u32_e32 vcc_lo, 0, v189
	s_delay_alu instid0(VALU_DEP_2) | instskip(NEXT) | instid1(SALU_CYCLE_1)
	s_and_b32 s18, s17, vcc_lo
	s_and_saveexec_b32 s17, s18
	s_cbranch_execz .LBB1051_154
; %bb.153:                              ;   in Loop: Header=BB1051_106 Depth=2
	s_waitcnt lgkmcnt(0)
	v_bcnt_u32_b32 v2, v2, v8
	ds_store_b32 v190, v2
.LBB1051_154:                           ;   in Loop: Header=BB1051_106 Depth=2
	s_or_b32 exec_lo, exec_lo, s17
	v_lshrrev_b32_e32 v188, 16, v184
	; wave barrier
	s_delay_alu instid0(VALU_DEP_1) | instskip(NEXT) | instid1(VALU_DEP_1)
	v_lshrrev_b32_e32 v2, s42, v188
	v_and_b32_e32 v2, s43, v2
	s_delay_alu instid0(VALU_DEP_1)
	v_and_b32_e32 v3, 1, v2
	v_lshlrev_b32_e32 v4, 30, v2
	v_lshlrev_b32_e32 v5, 29, v2
	;; [unrolled: 1-line block ×4, first 2 shown]
	v_add_co_u32 v3, s17, v3, -1
	s_delay_alu instid0(VALU_DEP_1)
	v_cndmask_b32_e64 v7, 0, 1, s17
	v_not_b32_e32 v192, v4
	v_cmp_gt_i32_e64 s17, 0, v4
	v_not_b32_e32 v4, v5
	v_lshlrev_b32_e32 v46, 26, v2
	v_cmp_ne_u32_e32 vcc_lo, 0, v7
	v_ashrrev_i32_e32 v192, 31, v192
	v_lshlrev_b32_e32 v191, 25, v2
	v_ashrrev_i32_e32 v4, 31, v4
	v_lshlrev_b32_e32 v7, 24, v2
	v_xor_b32_e32 v3, vcc_lo, v3
	v_cmp_gt_i32_e32 vcc_lo, 0, v5
	v_not_b32_e32 v5, v6
	v_xor_b32_e32 v192, s17, v192
	v_cmp_gt_i32_e64 s17, 0, v6
	v_and_b32_e32 v3, exec_lo, v3
	v_not_b32_e32 v6, v45
	v_ashrrev_i32_e32 v5, 31, v5
	v_xor_b32_e32 v4, vcc_lo, v4
	v_cmp_gt_i32_e32 vcc_lo, 0, v45
	v_and_b32_e32 v3, v3, v192
	v_not_b32_e32 v45, v46
	v_ashrrev_i32_e32 v6, 31, v6
	v_xor_b32_e32 v5, s17, v5
	v_cmp_gt_i32_e64 s17, 0, v46
	v_and_b32_e32 v3, v3, v4
	v_not_b32_e32 v4, v191
	v_ashrrev_i32_e32 v45, 31, v45
	v_xor_b32_e32 v6, vcc_lo, v6
	v_cmp_gt_i32_e32 vcc_lo, 0, v191
	v_and_b32_e32 v3, v3, v5
	v_not_b32_e32 v5, v7
	v_ashrrev_i32_e32 v4, 31, v4
	v_xor_b32_e32 v45, s17, v45
	v_mul_u32_u24_e32 v2, 9, v2
	v_and_b32_e32 v3, v3, v6
	v_cmp_gt_i32_e64 s17, 0, v7
	v_ashrrev_i32_e32 v5, 31, v5
	v_xor_b32_e32 v4, vcc_lo, v4
	v_add_lshl_u32 v6, v2, v122, 2
	v_and_b32_e32 v3, v3, v45
	s_delay_alu instid0(VALU_DEP_4) | instskip(SKIP_3) | instid1(VALU_DEP_2)
	v_xor_b32_e32 v2, s17, v5
	ds_load_b32 v191, v6 offset:1056
	v_and_b32_e32 v3, v3, v4
	v_add_nc_u32_e32 v193, 0x420, v6
	; wave barrier
	v_and_b32_e32 v2, v3, v2
	s_delay_alu instid0(VALU_DEP_1) | instskip(SKIP_1) | instid1(VALU_DEP_2)
	v_mbcnt_lo_u32_b32 v192, v2, 0
	v_cmp_ne_u32_e64 s17, 0, v2
	v_cmp_eq_u32_e32 vcc_lo, 0, v192
	s_delay_alu instid0(VALU_DEP_2) | instskip(NEXT) | instid1(SALU_CYCLE_1)
	s_and_b32 s18, s17, vcc_lo
	s_and_saveexec_b32 s17, s18
	s_cbranch_execz .LBB1051_156
; %bb.155:                              ;   in Loop: Header=BB1051_106 Depth=2
	s_waitcnt lgkmcnt(0)
	v_bcnt_u32_b32 v2, v2, v191
	ds_store_b32 v193, v2
.LBB1051_156:                           ;   in Loop: Header=BB1051_106 Depth=2
	s_or_b32 exec_lo, exec_lo, s17
	v_xor_b32_e32 v9, 0x80008000, v9
	; wave barrier
	s_delay_alu instid0(VALU_DEP_1) | instskip(NEXT) | instid1(VALU_DEP_1)
	v_and_b32_e32 v2, 0xffff, v9
	v_lshrrev_b32_e32 v2, s42, v2
	s_delay_alu instid0(VALU_DEP_1) | instskip(NEXT) | instid1(VALU_DEP_1)
	v_and_b32_e32 v2, s43, v2
	v_and_b32_e32 v3, 1, v2
	v_lshlrev_b32_e32 v4, 30, v2
	v_lshlrev_b32_e32 v5, 29, v2
	;; [unrolled: 1-line block ×4, first 2 shown]
	v_add_co_u32 v3, s17, v3, -1
	s_delay_alu instid0(VALU_DEP_1)
	v_cndmask_b32_e64 v7, 0, 1, s17
	v_not_b32_e32 v195, v4
	v_cmp_gt_i32_e64 s17, 0, v4
	v_not_b32_e32 v4, v5
	v_lshlrev_b32_e32 v46, 26, v2
	v_cmp_ne_u32_e32 vcc_lo, 0, v7
	v_ashrrev_i32_e32 v195, 31, v195
	v_lshlrev_b32_e32 v194, 25, v2
	v_ashrrev_i32_e32 v4, 31, v4
	v_lshlrev_b32_e32 v7, 24, v2
	v_xor_b32_e32 v3, vcc_lo, v3
	v_cmp_gt_i32_e32 vcc_lo, 0, v5
	v_not_b32_e32 v5, v6
	v_xor_b32_e32 v195, s17, v195
	v_cmp_gt_i32_e64 s17, 0, v6
	v_and_b32_e32 v3, exec_lo, v3
	v_not_b32_e32 v6, v45
	v_ashrrev_i32_e32 v5, 31, v5
	v_xor_b32_e32 v4, vcc_lo, v4
	v_cmp_gt_i32_e32 vcc_lo, 0, v45
	v_and_b32_e32 v3, v3, v195
	v_not_b32_e32 v45, v46
	v_ashrrev_i32_e32 v6, 31, v6
	v_xor_b32_e32 v5, s17, v5
	v_cmp_gt_i32_e64 s17, 0, v46
	v_and_b32_e32 v3, v3, v4
	v_not_b32_e32 v4, v194
	v_ashrrev_i32_e32 v45, 31, v45
	v_xor_b32_e32 v6, vcc_lo, v6
	v_cmp_gt_i32_e32 vcc_lo, 0, v194
	v_and_b32_e32 v3, v3, v5
	v_not_b32_e32 v5, v7
	v_ashrrev_i32_e32 v4, 31, v4
	v_xor_b32_e32 v45, s17, v45
	v_mul_u32_u24_e32 v2, 9, v2
	v_and_b32_e32 v3, v3, v6
	v_cmp_gt_i32_e64 s17, 0, v7
	v_ashrrev_i32_e32 v5, 31, v5
	v_xor_b32_e32 v4, vcc_lo, v4
	v_add_lshl_u32 v6, v2, v122, 2
	v_and_b32_e32 v3, v3, v45
	s_delay_alu instid0(VALU_DEP_4) | instskip(SKIP_3) | instid1(VALU_DEP_2)
	v_xor_b32_e32 v2, s17, v5
	ds_load_b32 v195, v6 offset:1056
	v_and_b32_e32 v3, v3, v4
	v_add_nc_u32_e32 v197, 0x420, v6
	; wave barrier
	v_and_b32_e32 v2, v3, v2
	s_delay_alu instid0(VALU_DEP_1) | instskip(SKIP_1) | instid1(VALU_DEP_2)
	v_mbcnt_lo_u32_b32 v196, v2, 0
	v_cmp_ne_u32_e64 s17, 0, v2
	v_cmp_eq_u32_e32 vcc_lo, 0, v196
	s_delay_alu instid0(VALU_DEP_2) | instskip(NEXT) | instid1(SALU_CYCLE_1)
	s_and_b32 s18, s17, vcc_lo
	s_and_saveexec_b32 s17, s18
	s_cbranch_execz .LBB1051_158
; %bb.157:                              ;   in Loop: Header=BB1051_106 Depth=2
	s_waitcnt lgkmcnt(0)
	v_bcnt_u32_b32 v2, v2, v195
	ds_store_b32 v197, v2
.LBB1051_158:                           ;   in Loop: Header=BB1051_106 Depth=2
	s_or_b32 exec_lo, exec_lo, s17
	v_lshrrev_b32_e32 v194, 16, v9
	; wave barrier
	s_delay_alu instid0(VALU_DEP_1) | instskip(NEXT) | instid1(VALU_DEP_1)
	v_lshrrev_b32_e32 v2, s42, v194
	v_and_b32_e32 v2, s43, v2
	s_delay_alu instid0(VALU_DEP_1)
	v_and_b32_e32 v3, 1, v2
	v_lshlrev_b32_e32 v4, 30, v2
	v_lshlrev_b32_e32 v5, 29, v2
	;; [unrolled: 1-line block ×4, first 2 shown]
	v_add_co_u32 v3, s17, v3, -1
	s_delay_alu instid0(VALU_DEP_1)
	v_cndmask_b32_e64 v7, 0, 1, s17
	v_not_b32_e32 v199, v4
	v_cmp_gt_i32_e64 s17, 0, v4
	v_not_b32_e32 v4, v5
	v_lshlrev_b32_e32 v46, 26, v2
	v_cmp_ne_u32_e32 vcc_lo, 0, v7
	v_ashrrev_i32_e32 v199, 31, v199
	v_lshlrev_b32_e32 v198, 25, v2
	v_ashrrev_i32_e32 v4, 31, v4
	v_lshlrev_b32_e32 v7, 24, v2
	v_xor_b32_e32 v3, vcc_lo, v3
	v_cmp_gt_i32_e32 vcc_lo, 0, v5
	v_not_b32_e32 v5, v6
	v_xor_b32_e32 v199, s17, v199
	v_cmp_gt_i32_e64 s17, 0, v6
	v_and_b32_e32 v3, exec_lo, v3
	v_not_b32_e32 v6, v45
	v_ashrrev_i32_e32 v5, 31, v5
	v_xor_b32_e32 v4, vcc_lo, v4
	v_cmp_gt_i32_e32 vcc_lo, 0, v45
	v_and_b32_e32 v3, v3, v199
	v_not_b32_e32 v45, v46
	v_ashrrev_i32_e32 v6, 31, v6
	v_xor_b32_e32 v5, s17, v5
	v_cmp_gt_i32_e64 s17, 0, v46
	v_and_b32_e32 v3, v3, v4
	v_not_b32_e32 v4, v198
	v_ashrrev_i32_e32 v45, 31, v45
	v_xor_b32_e32 v6, vcc_lo, v6
	v_cmp_gt_i32_e32 vcc_lo, 0, v198
	v_and_b32_e32 v3, v3, v5
	v_not_b32_e32 v5, v7
	v_ashrrev_i32_e32 v4, 31, v4
	v_xor_b32_e32 v45, s17, v45
	v_mul_u32_u24_e32 v2, 9, v2
	v_and_b32_e32 v3, v3, v6
	v_cmp_gt_i32_e64 s17, 0, v7
	v_ashrrev_i32_e32 v5, 31, v5
	v_xor_b32_e32 v4, vcc_lo, v4
	v_add_lshl_u32 v6, v2, v122, 2
	v_and_b32_e32 v3, v3, v45
	s_delay_alu instid0(VALU_DEP_4) | instskip(SKIP_3) | instid1(VALU_DEP_2)
	v_xor_b32_e32 v2, s17, v5
	ds_load_b32 v198, v6 offset:1056
	v_and_b32_e32 v3, v3, v4
	v_add_nc_u32_e32 v200, 0x420, v6
	; wave barrier
	v_and_b32_e32 v2, v3, v2
	s_delay_alu instid0(VALU_DEP_1) | instskip(SKIP_1) | instid1(VALU_DEP_2)
	v_mbcnt_lo_u32_b32 v199, v2, 0
	v_cmp_ne_u32_e64 s17, 0, v2
	v_cmp_eq_u32_e32 vcc_lo, 0, v199
	s_delay_alu instid0(VALU_DEP_2) | instskip(NEXT) | instid1(SALU_CYCLE_1)
	s_and_b32 s18, s17, vcc_lo
	s_and_saveexec_b32 s17, s18
	s_cbranch_execz .LBB1051_160
; %bb.159:                              ;   in Loop: Header=BB1051_106 Depth=2
	s_waitcnt lgkmcnt(0)
	v_bcnt_u32_b32 v2, v2, v198
	ds_store_b32 v200, v2
.LBB1051_160:                           ;   in Loop: Header=BB1051_106 Depth=2
	s_or_b32 exec_lo, exec_lo, s17
	; wave barrier
	s_waitcnt lgkmcnt(0)
	s_barrier
	buffer_gl0_inv
	ds_load_b32 v201, v73 offset:1056
	ds_load_2addr_b32 v[45:46], v75 offset0:1 offset1:2
	ds_load_2addr_b32 v[6:7], v75 offset0:3 offset1:4
	;; [unrolled: 1-line block ×4, first 2 shown]
	s_waitcnt lgkmcnt(3)
	v_add3_u32 v202, v45, v201, v46
	s_waitcnt lgkmcnt(2)
	s_delay_alu instid0(VALU_DEP_1) | instskip(SKIP_1) | instid1(VALU_DEP_1)
	v_add3_u32 v202, v202, v6, v7
	s_waitcnt lgkmcnt(1)
	v_add3_u32 v202, v202, v2, v3
	s_waitcnt lgkmcnt(0)
	s_delay_alu instid0(VALU_DEP_1) | instskip(NEXT) | instid1(VALU_DEP_1)
	v_add3_u32 v5, v202, v4, v5
	v_mov_b32_dpp v202, v5 row_shr:1 row_mask:0xf bank_mask:0xf
	s_delay_alu instid0(VALU_DEP_1) | instskip(NEXT) | instid1(VALU_DEP_1)
	v_cndmask_b32_e64 v202, v202, 0, s1
	v_add_nc_u32_e32 v5, v202, v5
	s_delay_alu instid0(VALU_DEP_1) | instskip(NEXT) | instid1(VALU_DEP_1)
	v_mov_b32_dpp v202, v5 row_shr:2 row_mask:0xf bank_mask:0xf
	v_cndmask_b32_e64 v202, 0, v202, s7
	s_delay_alu instid0(VALU_DEP_1) | instskip(NEXT) | instid1(VALU_DEP_1)
	v_add_nc_u32_e32 v5, v5, v202
	v_mov_b32_dpp v202, v5 row_shr:4 row_mask:0xf bank_mask:0xf
	s_delay_alu instid0(VALU_DEP_1) | instskip(NEXT) | instid1(VALU_DEP_1)
	v_cndmask_b32_e64 v202, 0, v202, s8
	v_add_nc_u32_e32 v5, v5, v202
	s_delay_alu instid0(VALU_DEP_1) | instskip(NEXT) | instid1(VALU_DEP_1)
	v_mov_b32_dpp v202, v5 row_shr:8 row_mask:0xf bank_mask:0xf
	v_cndmask_b32_e64 v202, 0, v202, s9
	s_delay_alu instid0(VALU_DEP_1) | instskip(SKIP_3) | instid1(VALU_DEP_1)
	v_add_nc_u32_e32 v5, v5, v202
	ds_swizzle_b32 v202, v5 offset:swizzle(BROADCAST,32,15)
	s_waitcnt lgkmcnt(0)
	v_cndmask_b32_e64 v202, v202, 0, s10
	v_add_nc_u32_e32 v5, v5, v202
	s_and_saveexec_b32 s17, s3
	s_cbranch_execz .LBB1051_162
; %bb.161:                              ;   in Loop: Header=BB1051_106 Depth=2
	ds_store_b32 v65, v5 offset:1024
.LBB1051_162:                           ;   in Loop: Header=BB1051_106 Depth=2
	s_or_b32 exec_lo, exec_lo, s17
	s_waitcnt lgkmcnt(0)
	s_barrier
	buffer_gl0_inv
	s_and_saveexec_b32 s17, s4
	s_cbranch_execz .LBB1051_164
; %bb.163:                              ;   in Loop: Header=BB1051_106 Depth=2
	ds_load_b32 v202, v76 offset:1024
	s_waitcnt lgkmcnt(0)
	v_mov_b32_dpp v203, v202 row_shr:1 row_mask:0xf bank_mask:0xf
	s_delay_alu instid0(VALU_DEP_1) | instskip(NEXT) | instid1(VALU_DEP_1)
	v_cndmask_b32_e64 v203, v203, 0, s12
	v_add_nc_u32_e32 v202, v203, v202
	s_delay_alu instid0(VALU_DEP_1) | instskip(NEXT) | instid1(VALU_DEP_1)
	v_mov_b32_dpp v203, v202 row_shr:2 row_mask:0xf bank_mask:0xf
	v_cndmask_b32_e64 v203, 0, v203, s13
	s_delay_alu instid0(VALU_DEP_1) | instskip(NEXT) | instid1(VALU_DEP_1)
	v_add_nc_u32_e32 v202, v202, v203
	v_mov_b32_dpp v203, v202 row_shr:4 row_mask:0xf bank_mask:0xf
	s_delay_alu instid0(VALU_DEP_1) | instskip(NEXT) | instid1(VALU_DEP_1)
	v_cndmask_b32_e64 v203, 0, v203, s16
	v_add_nc_u32_e32 v202, v202, v203
	ds_store_b32 v76, v202 offset:1024
.LBB1051_164:                           ;   in Loop: Header=BB1051_106 Depth=2
	s_or_b32 exec_lo, exec_lo, s17
	v_mov_b32_e32 v202, 0
	s_waitcnt lgkmcnt(0)
	s_barrier
	buffer_gl0_inv
	s_and_saveexec_b32 s17, s5
	s_cbranch_execz .LBB1051_166
; %bb.165:                              ;   in Loop: Header=BB1051_106 Depth=2
	ds_load_b32 v202, v65 offset:1020
.LBB1051_166:                           ;   in Loop: Header=BB1051_106 Depth=2
	s_or_b32 exec_lo, exec_lo, s17
	s_waitcnt lgkmcnt(0)
	v_add_nc_u32_e32 v5, v202, v5
	ds_bpermute_b32 v5, v101, v5
	s_waitcnt lgkmcnt(0)
	v_cndmask_b32_e64 v5, v5, v202, s11
	s_delay_alu instid0(VALU_DEP_1) | instskip(NEXT) | instid1(VALU_DEP_1)
	v_cndmask_b32_e64 v5, v5, 0, s0
	v_add_nc_u32_e32 v201, v5, v201
	s_delay_alu instid0(VALU_DEP_1) | instskip(NEXT) | instid1(VALU_DEP_1)
	v_add_nc_u32_e32 v45, v201, v45
	v_add_nc_u32_e32 v46, v45, v46
	s_delay_alu instid0(VALU_DEP_1) | instskip(NEXT) | instid1(VALU_DEP_1)
	v_add_nc_u32_e32 v6, v46, v6
	;; [unrolled: 3-line block ×3, first 2 shown]
	v_add_nc_u32_e32 v3, v2, v3
	s_delay_alu instid0(VALU_DEP_1)
	v_add_nc_u32_e32 v4, v3, v4
	ds_store_b32 v73, v5 offset:1056
	ds_store_2addr_b32 v75, v201, v45 offset0:1 offset1:2
	ds_store_2addr_b32 v75, v46, v6 offset0:3 offset1:4
	;; [unrolled: 1-line block ×4, first 2 shown]
	v_mov_b32_e32 v4, 0x1000
	s_waitcnt lgkmcnt(0)
	s_barrier
	buffer_gl0_inv
	ds_load_b32 v5, v147
	ds_load_b32 v6, v151
	;; [unrolled: 1-line block ×16, first 2 shown]
	ds_load_b32 v151, v73 offset:1056
	s_and_saveexec_b32 s17, s6
	s_cbranch_execz .LBB1051_168
; %bb.167:                              ;   in Loop: Header=BB1051_106 Depth=2
	ds_load_b32 v4, v77 offset:1056
.LBB1051_168:                           ;   in Loop: Header=BB1051_106 Depth=2
	s_or_b32 exec_lo, exec_lo, s17
	s_waitcnt lgkmcnt(0)
	s_barrier
	buffer_gl0_inv
	s_and_saveexec_b32 s17, s2
	s_cbranch_execz .LBB1051_170
; %bb.169:                              ;   in Loop: Header=BB1051_106 Depth=2
	ds_load_b32 v155, v47
	s_waitcnt lgkmcnt(0)
	v_sub_nc_u32_e32 v151, v155, v151
	ds_store_b32 v47, v151
.LBB1051_170:                           ;   in Loop: Header=BB1051_106 Depth=2
	s_or_b32 exec_lo, exec_lo, s17
	v_add_nc_u32_e32 v159, v143, v141
	v_add3_u32 v155, v146, v145, v5
	v_add3_u32 v151, v150, v149, v6
	;; [unrolled: 1-line block ×4, first 2 shown]
	v_lshlrev_b32_e32 v153, 1, v159
	v_add3_u32 v45, v192, v191, v2
	v_lshlrev_b32_e32 v2, 1, v155
	v_add3_u32 v149, v158, v157, v46
	v_add3_u32 v146, v166, v165, v163
	v_add3_u32 v145, v170, v169, v167
	v_add3_u32 v5, v189, v8, v187
	v_add3_u32 v8, v196, v195, v3
	ds_store_b16 v153, v19 offset:1024
	v_lshlrev_b32_e32 v3, 1, v151
	ds_store_b16 v2, v142 offset:1024
	v_lshlrev_b32_e32 v2, 1, v147
	v_add3_u32 v143, v174, v173, v171
	v_lshlrev_b32_e32 v19, 1, v150
	v_add3_u32 v141, v178, v177, v175
	;; [unrolled: 2-line block ×3, first 2 shown]
	v_add3_u32 v6, v186, v185, v183
	ds_store_b16 v3, v144 offset:1024
	ds_store_b16 v19, v148 offset:1024
	;; [unrolled: 1-line block ×3, first 2 shown]
	v_lshlrev_b32_e32 v3, 1, v146
	ds_store_b16 v2, v156 offset:1024
	v_lshlrev_b32_e32 v2, 1, v145
	v_lshlrev_b32_e32 v19, 1, v143
	;; [unrolled: 1-line block ×3, first 2 shown]
	v_add3_u32 v7, v199, v198, v7
	ds_store_b16 v3, v160 offset:1024
	v_lshlrev_b32_e32 v3, 1, v46
	ds_store_b16 v2, v164 offset:1024
	ds_store_b16 v19, v168 offset:1024
	;; [unrolled: 1-line block ×3, first 2 shown]
	v_lshlrev_b32_e32 v2, 1, v6
	v_cmp_lt_u32_e32 vcc_lo, v18, v0
	v_lshlrev_b32_e32 v19, 1, v45
	ds_store_b16 v3, v176 offset:1024
	v_lshlrev_b32_e32 v3, 1, v5
	ds_store_b16 v2, v180 offset:1024
	v_lshlrev_b32_e32 v2, 1, v7
	v_lshlrev_b32_e32 v142, 1, v8
	ds_store_b16 v3, v184 offset:1024
	ds_store_b16 v19, v188 offset:1024
	;; [unrolled: 1-line block ×4, first 2 shown]
	s_waitcnt lgkmcnt(0)
	s_barrier
	buffer_gl0_inv
	s_and_saveexec_b32 s18, vcc_lo
	s_cbranch_execz .LBB1051_186
; %bb.171:                              ;   in Loop: Header=BB1051_106 Depth=2
	v_add_nc_u32_e32 v2, v76, v82
	ds_load_u16 v142, v2 offset:1024
	s_waitcnt lgkmcnt(0)
	v_and_b32_e32 v2, 0xffff, v142
	s_delay_alu instid0(VALU_DEP_1) | instskip(NEXT) | instid1(VALU_DEP_1)
	v_lshrrev_b32_e32 v2, s42, v2
	v_and_b32_e32 v2, s43, v2
	s_delay_alu instid0(VALU_DEP_1) | instskip(SKIP_3) | instid1(VALU_DEP_1)
	v_lshlrev_b32_e32 v2, 2, v2
	ds_load_b32 v2, v2
	s_waitcnt lgkmcnt(0)
	v_add_nc_u32_e32 v19, v2, v18
	v_lshlrev_b64 v[2:3], 1, v[19:20]
	v_xor_b32_e32 v19, 0xffff8000, v142
	s_delay_alu instid0(VALU_DEP_2) | instskip(NEXT) | instid1(VALU_DEP_1)
	v_add_co_u32 v2, s17, s38, v2
	v_add_co_ci_u32_e64 v3, s17, s39, v3, s17
	global_store_b16 v[2:3], v19, off
	s_or_b32 exec_lo, exec_lo, s18
	v_cmp_lt_u32_e64 s17, v48, v0
	s_delay_alu instid0(VALU_DEP_1)
	s_and_saveexec_b32 s19, s17
	s_cbranch_execnz .LBB1051_187
.LBB1051_172:                           ;   in Loop: Header=BB1051_106 Depth=2
	s_or_b32 exec_lo, exec_lo, s19
	v_cmp_lt_u32_e64 s18, v49, v0
	s_delay_alu instid0(VALU_DEP_1)
	s_and_saveexec_b32 s20, s18
	s_cbranch_execz .LBB1051_188
.LBB1051_173:                           ;   in Loop: Header=BB1051_106 Depth=2
	ds_load_u16 v142, v83 offset:1024
	s_waitcnt lgkmcnt(0)
	v_and_b32_e32 v2, 0xffff, v142
	s_delay_alu instid0(VALU_DEP_1) | instskip(NEXT) | instid1(VALU_DEP_1)
	v_lshrrev_b32_e32 v2, s42, v2
	v_and_b32_e32 v2, s43, v2
	s_delay_alu instid0(VALU_DEP_1) | instskip(SKIP_3) | instid1(VALU_DEP_1)
	v_lshlrev_b32_e32 v2, 2, v2
	ds_load_b32 v2, v2
	s_waitcnt lgkmcnt(0)
	v_add_nc_u32_e32 v19, v2, v49
	v_lshlrev_b64 v[2:3], 1, v[19:20]
	v_xor_b32_e32 v19, 0xffff8000, v142
	s_delay_alu instid0(VALU_DEP_2) | instskip(NEXT) | instid1(VALU_DEP_1)
	v_add_co_u32 v2, s19, s38, v2
	v_add_co_ci_u32_e64 v3, s19, s39, v3, s19
	global_store_b16 v[2:3], v19, off
	s_or_b32 exec_lo, exec_lo, s20
	v_cmp_lt_u32_e64 s19, v50, v0
	s_delay_alu instid0(VALU_DEP_1)
	s_and_saveexec_b32 s21, s19
	s_cbranch_execnz .LBB1051_189
.LBB1051_174:                           ;   in Loop: Header=BB1051_106 Depth=2
	s_or_b32 exec_lo, exec_lo, s21
	v_cmp_lt_u32_e64 s20, v54, v0
	s_delay_alu instid0(VALU_DEP_1)
	s_and_saveexec_b32 s22, s20
	s_cbranch_execz .LBB1051_190
.LBB1051_175:                           ;   in Loop: Header=BB1051_106 Depth=2
	ds_load_u16 v142, v83 offset:2048
	s_waitcnt lgkmcnt(0)
	v_and_b32_e32 v2, 0xffff, v142
	s_delay_alu instid0(VALU_DEP_1) | instskip(NEXT) | instid1(VALU_DEP_1)
	v_lshrrev_b32_e32 v2, s42, v2
	v_and_b32_e32 v2, s43, v2
	s_delay_alu instid0(VALU_DEP_1) | instskip(SKIP_3) | instid1(VALU_DEP_1)
	v_lshlrev_b32_e32 v2, 2, v2
	ds_load_b32 v2, v2
	s_waitcnt lgkmcnt(0)
	v_add_nc_u32_e32 v19, v2, v54
	v_lshlrev_b64 v[2:3], 1, v[19:20]
	v_xor_b32_e32 v19, 0xffff8000, v142
	s_delay_alu instid0(VALU_DEP_2) | instskip(NEXT) | instid1(VALU_DEP_1)
	v_add_co_u32 v2, s21, s38, v2
	v_add_co_ci_u32_e64 v3, s21, s39, v3, s21
	global_store_b16 v[2:3], v19, off
	s_or_b32 exec_lo, exec_lo, s22
	v_cmp_lt_u32_e64 s21, v55, v0
	s_delay_alu instid0(VALU_DEP_1)
	s_and_saveexec_b32 s23, s21
	s_cbranch_execnz .LBB1051_191
.LBB1051_176:                           ;   in Loop: Header=BB1051_106 Depth=2
	s_or_b32 exec_lo, exec_lo, s23
	v_cmp_lt_u32_e64 s22, v56, v0
	s_delay_alu instid0(VALU_DEP_1)
	s_and_saveexec_b32 s24, s22
	s_cbranch_execz .LBB1051_192
.LBB1051_177:                           ;   in Loop: Header=BB1051_106 Depth=2
	ds_load_u16 v142, v83 offset:3072
	s_waitcnt lgkmcnt(0)
	v_and_b32_e32 v2, 0xffff, v142
	s_delay_alu instid0(VALU_DEP_1) | instskip(NEXT) | instid1(VALU_DEP_1)
	v_lshrrev_b32_e32 v2, s42, v2
	v_and_b32_e32 v2, s43, v2
	s_delay_alu instid0(VALU_DEP_1) | instskip(SKIP_3) | instid1(VALU_DEP_1)
	v_lshlrev_b32_e32 v2, 2, v2
	ds_load_b32 v2, v2
	s_waitcnt lgkmcnt(0)
	v_add_nc_u32_e32 v19, v2, v56
	v_lshlrev_b64 v[2:3], 1, v[19:20]
	v_xor_b32_e32 v19, 0xffff8000, v142
	s_delay_alu instid0(VALU_DEP_2) | instskip(NEXT) | instid1(VALU_DEP_1)
	v_add_co_u32 v2, s23, s38, v2
	v_add_co_ci_u32_e64 v3, s23, s39, v3, s23
	global_store_b16 v[2:3], v19, off
	s_or_b32 exec_lo, exec_lo, s24
	v_cmp_lt_u32_e64 s23, v57, v0
	s_delay_alu instid0(VALU_DEP_1)
	s_and_saveexec_b32 s25, s23
	s_cbranch_execnz .LBB1051_193
.LBB1051_178:                           ;   in Loop: Header=BB1051_106 Depth=2
	s_or_b32 exec_lo, exec_lo, s25
	v_cmp_lt_u32_e64 s24, v58, v0
	s_delay_alu instid0(VALU_DEP_1)
	s_and_saveexec_b32 s26, s24
	s_cbranch_execz .LBB1051_194
.LBB1051_179:                           ;   in Loop: Header=BB1051_106 Depth=2
	ds_load_u16 v142, v83 offset:4096
	s_waitcnt lgkmcnt(0)
	v_and_b32_e32 v2, 0xffff, v142
	s_delay_alu instid0(VALU_DEP_1) | instskip(NEXT) | instid1(VALU_DEP_1)
	v_lshrrev_b32_e32 v2, s42, v2
	v_and_b32_e32 v2, s43, v2
	s_delay_alu instid0(VALU_DEP_1) | instskip(SKIP_3) | instid1(VALU_DEP_1)
	v_lshlrev_b32_e32 v2, 2, v2
	ds_load_b32 v2, v2
	s_waitcnt lgkmcnt(0)
	v_add_nc_u32_e32 v19, v2, v58
	v_lshlrev_b64 v[2:3], 1, v[19:20]
	v_xor_b32_e32 v19, 0xffff8000, v142
	s_delay_alu instid0(VALU_DEP_2) | instskip(NEXT) | instid1(VALU_DEP_1)
	v_add_co_u32 v2, s25, s38, v2
	v_add_co_ci_u32_e64 v3, s25, s39, v3, s25
	global_store_b16 v[2:3], v19, off
	s_or_b32 exec_lo, exec_lo, s26
	v_cmp_lt_u32_e64 s25, v59, v0
	s_delay_alu instid0(VALU_DEP_1)
	s_and_saveexec_b32 s27, s25
	s_cbranch_execnz .LBB1051_195
.LBB1051_180:                           ;   in Loop: Header=BB1051_106 Depth=2
	s_or_b32 exec_lo, exec_lo, s27
	v_cmp_lt_u32_e64 s26, v60, v0
	s_delay_alu instid0(VALU_DEP_1)
	s_and_saveexec_b32 s28, s26
	s_cbranch_execz .LBB1051_196
.LBB1051_181:                           ;   in Loop: Header=BB1051_106 Depth=2
	ds_load_u16 v142, v83 offset:5120
	s_waitcnt lgkmcnt(0)
	v_and_b32_e32 v2, 0xffff, v142
	s_delay_alu instid0(VALU_DEP_1) | instskip(NEXT) | instid1(VALU_DEP_1)
	v_lshrrev_b32_e32 v2, s42, v2
	v_and_b32_e32 v2, s43, v2
	s_delay_alu instid0(VALU_DEP_1) | instskip(SKIP_3) | instid1(VALU_DEP_1)
	v_lshlrev_b32_e32 v2, 2, v2
	ds_load_b32 v2, v2
	s_waitcnt lgkmcnt(0)
	v_add_nc_u32_e32 v19, v2, v60
	v_lshlrev_b64 v[2:3], 1, v[19:20]
	v_xor_b32_e32 v19, 0xffff8000, v142
	s_delay_alu instid0(VALU_DEP_2) | instskip(NEXT) | instid1(VALU_DEP_1)
	v_add_co_u32 v2, s27, s38, v2
	v_add_co_ci_u32_e64 v3, s27, s39, v3, s27
	global_store_b16 v[2:3], v19, off
	s_or_b32 exec_lo, exec_lo, s28
	v_cmp_lt_u32_e64 s27, v61, v0
	s_delay_alu instid0(VALU_DEP_1)
	s_and_saveexec_b32 s29, s27
	s_cbranch_execnz .LBB1051_197
.LBB1051_182:                           ;   in Loop: Header=BB1051_106 Depth=2
	s_or_b32 exec_lo, exec_lo, s29
	v_cmp_lt_u32_e64 s28, v62, v0
	s_delay_alu instid0(VALU_DEP_1)
	s_and_saveexec_b32 s30, s28
	s_cbranch_execz .LBB1051_198
.LBB1051_183:                           ;   in Loop: Header=BB1051_106 Depth=2
	ds_load_u16 v142, v83 offset:6144
	s_waitcnt lgkmcnt(0)
	v_and_b32_e32 v2, 0xffff, v142
	s_delay_alu instid0(VALU_DEP_1) | instskip(NEXT) | instid1(VALU_DEP_1)
	v_lshrrev_b32_e32 v2, s42, v2
	v_and_b32_e32 v2, s43, v2
	s_delay_alu instid0(VALU_DEP_1) | instskip(SKIP_3) | instid1(VALU_DEP_1)
	v_lshlrev_b32_e32 v2, 2, v2
	ds_load_b32 v2, v2
	s_waitcnt lgkmcnt(0)
	v_add_nc_u32_e32 v19, v2, v62
	v_lshlrev_b64 v[2:3], 1, v[19:20]
	v_xor_b32_e32 v19, 0xffff8000, v142
	s_delay_alu instid0(VALU_DEP_2) | instskip(NEXT) | instid1(VALU_DEP_1)
	v_add_co_u32 v2, s29, s38, v2
	v_add_co_ci_u32_e64 v3, s29, s39, v3, s29
	global_store_b16 v[2:3], v19, off
	s_or_b32 exec_lo, exec_lo, s30
	v_cmp_lt_u32_e64 s29, v63, v0
	s_delay_alu instid0(VALU_DEP_1)
	s_and_saveexec_b32 s31, s29
	s_cbranch_execnz .LBB1051_199
.LBB1051_184:                           ;   in Loop: Header=BB1051_106 Depth=2
	s_or_b32 exec_lo, exec_lo, s31
	v_cmp_lt_u32_e64 s30, v64, v0
	s_delay_alu instid0(VALU_DEP_1)
	s_and_saveexec_b32 s33, s30
	s_cbranch_execz .LBB1051_200
.LBB1051_185:                           ;   in Loop: Header=BB1051_106 Depth=2
	ds_load_u16 v142, v83 offset:7168
	s_waitcnt lgkmcnt(0)
	v_and_b32_e32 v2, 0xffff, v142
	s_delay_alu instid0(VALU_DEP_1) | instskip(NEXT) | instid1(VALU_DEP_1)
	v_lshrrev_b32_e32 v2, s42, v2
	v_and_b32_e32 v2, s43, v2
	s_delay_alu instid0(VALU_DEP_1) | instskip(SKIP_3) | instid1(VALU_DEP_1)
	v_lshlrev_b32_e32 v2, 2, v2
	ds_load_b32 v2, v2
	s_waitcnt lgkmcnt(0)
	v_add_nc_u32_e32 v19, v2, v64
	v_lshlrev_b64 v[2:3], 1, v[19:20]
	v_xor_b32_e32 v19, 0xffff8000, v142
	s_delay_alu instid0(VALU_DEP_2) | instskip(NEXT) | instid1(VALU_DEP_1)
	v_add_co_u32 v2, s31, s38, v2
	v_add_co_ci_u32_e64 v3, s31, s39, v3, s31
	global_store_b16 v[2:3], v19, off
	s_or_b32 exec_lo, exec_lo, s33
	v_cmp_lt_u32_e64 s31, v66, v0
	s_delay_alu instid0(VALU_DEP_1)
	s_and_saveexec_b32 s45, s31
	s_cbranch_execnz .LBB1051_201
	s_branch .LBB1051_202
.LBB1051_186:                           ;   in Loop: Header=BB1051_106 Depth=2
	s_or_b32 exec_lo, exec_lo, s18
	v_cmp_lt_u32_e64 s17, v48, v0
	s_delay_alu instid0(VALU_DEP_1)
	s_and_saveexec_b32 s19, s17
	s_cbranch_execz .LBB1051_172
.LBB1051_187:                           ;   in Loop: Header=BB1051_106 Depth=2
	ds_load_u16 v142, v83 offset:512
	s_waitcnt lgkmcnt(0)
	v_and_b32_e32 v2, 0xffff, v142
	s_delay_alu instid0(VALU_DEP_1) | instskip(NEXT) | instid1(VALU_DEP_1)
	v_lshrrev_b32_e32 v2, s42, v2
	v_and_b32_e32 v2, s43, v2
	s_delay_alu instid0(VALU_DEP_1) | instskip(SKIP_3) | instid1(VALU_DEP_1)
	v_lshlrev_b32_e32 v2, 2, v2
	ds_load_b32 v2, v2
	s_waitcnt lgkmcnt(0)
	v_add_nc_u32_e32 v19, v2, v48
	v_lshlrev_b64 v[2:3], 1, v[19:20]
	v_xor_b32_e32 v19, 0xffff8000, v142
	s_delay_alu instid0(VALU_DEP_2) | instskip(NEXT) | instid1(VALU_DEP_1)
	v_add_co_u32 v2, s18, s38, v2
	v_add_co_ci_u32_e64 v3, s18, s39, v3, s18
	global_store_b16 v[2:3], v19, off
	s_or_b32 exec_lo, exec_lo, s19
	v_cmp_lt_u32_e64 s18, v49, v0
	s_delay_alu instid0(VALU_DEP_1)
	s_and_saveexec_b32 s20, s18
	s_cbranch_execnz .LBB1051_173
.LBB1051_188:                           ;   in Loop: Header=BB1051_106 Depth=2
	s_or_b32 exec_lo, exec_lo, s20
	v_cmp_lt_u32_e64 s19, v50, v0
	s_delay_alu instid0(VALU_DEP_1)
	s_and_saveexec_b32 s21, s19
	s_cbranch_execz .LBB1051_174
.LBB1051_189:                           ;   in Loop: Header=BB1051_106 Depth=2
	ds_load_u16 v142, v83 offset:1536
	s_waitcnt lgkmcnt(0)
	v_and_b32_e32 v2, 0xffff, v142
	s_delay_alu instid0(VALU_DEP_1) | instskip(NEXT) | instid1(VALU_DEP_1)
	v_lshrrev_b32_e32 v2, s42, v2
	v_and_b32_e32 v2, s43, v2
	s_delay_alu instid0(VALU_DEP_1) | instskip(SKIP_3) | instid1(VALU_DEP_1)
	v_lshlrev_b32_e32 v2, 2, v2
	ds_load_b32 v2, v2
	s_waitcnt lgkmcnt(0)
	v_add_nc_u32_e32 v19, v2, v50
	v_lshlrev_b64 v[2:3], 1, v[19:20]
	v_xor_b32_e32 v19, 0xffff8000, v142
	s_delay_alu instid0(VALU_DEP_2) | instskip(NEXT) | instid1(VALU_DEP_1)
	v_add_co_u32 v2, s20, s38, v2
	v_add_co_ci_u32_e64 v3, s20, s39, v3, s20
	global_store_b16 v[2:3], v19, off
	s_or_b32 exec_lo, exec_lo, s21
	v_cmp_lt_u32_e64 s20, v54, v0
	s_delay_alu instid0(VALU_DEP_1)
	s_and_saveexec_b32 s22, s20
	s_cbranch_execnz .LBB1051_175
.LBB1051_190:                           ;   in Loop: Header=BB1051_106 Depth=2
	s_or_b32 exec_lo, exec_lo, s22
	v_cmp_lt_u32_e64 s21, v55, v0
	s_delay_alu instid0(VALU_DEP_1)
	s_and_saveexec_b32 s23, s21
	s_cbranch_execz .LBB1051_176
.LBB1051_191:                           ;   in Loop: Header=BB1051_106 Depth=2
	ds_load_u16 v142, v83 offset:2560
	s_waitcnt lgkmcnt(0)
	v_and_b32_e32 v2, 0xffff, v142
	s_delay_alu instid0(VALU_DEP_1) | instskip(NEXT) | instid1(VALU_DEP_1)
	v_lshrrev_b32_e32 v2, s42, v2
	v_and_b32_e32 v2, s43, v2
	s_delay_alu instid0(VALU_DEP_1) | instskip(SKIP_3) | instid1(VALU_DEP_1)
	v_lshlrev_b32_e32 v2, 2, v2
	ds_load_b32 v2, v2
	s_waitcnt lgkmcnt(0)
	v_add_nc_u32_e32 v19, v2, v55
	v_lshlrev_b64 v[2:3], 1, v[19:20]
	v_xor_b32_e32 v19, 0xffff8000, v142
	s_delay_alu instid0(VALU_DEP_2) | instskip(NEXT) | instid1(VALU_DEP_1)
	v_add_co_u32 v2, s22, s38, v2
	v_add_co_ci_u32_e64 v3, s22, s39, v3, s22
	global_store_b16 v[2:3], v19, off
	s_or_b32 exec_lo, exec_lo, s23
	v_cmp_lt_u32_e64 s22, v56, v0
	s_delay_alu instid0(VALU_DEP_1)
	s_and_saveexec_b32 s24, s22
	s_cbranch_execnz .LBB1051_177
.LBB1051_192:                           ;   in Loop: Header=BB1051_106 Depth=2
	s_or_b32 exec_lo, exec_lo, s24
	v_cmp_lt_u32_e64 s23, v57, v0
	s_delay_alu instid0(VALU_DEP_1)
	s_and_saveexec_b32 s25, s23
	s_cbranch_execz .LBB1051_178
.LBB1051_193:                           ;   in Loop: Header=BB1051_106 Depth=2
	ds_load_u16 v142, v83 offset:3584
	s_waitcnt lgkmcnt(0)
	v_and_b32_e32 v2, 0xffff, v142
	s_delay_alu instid0(VALU_DEP_1) | instskip(NEXT) | instid1(VALU_DEP_1)
	v_lshrrev_b32_e32 v2, s42, v2
	v_and_b32_e32 v2, s43, v2
	s_delay_alu instid0(VALU_DEP_1) | instskip(SKIP_3) | instid1(VALU_DEP_1)
	v_lshlrev_b32_e32 v2, 2, v2
	ds_load_b32 v2, v2
	s_waitcnt lgkmcnt(0)
	v_add_nc_u32_e32 v19, v2, v57
	v_lshlrev_b64 v[2:3], 1, v[19:20]
	v_xor_b32_e32 v19, 0xffff8000, v142
	s_delay_alu instid0(VALU_DEP_2) | instskip(NEXT) | instid1(VALU_DEP_1)
	v_add_co_u32 v2, s24, s38, v2
	v_add_co_ci_u32_e64 v3, s24, s39, v3, s24
	global_store_b16 v[2:3], v19, off
	s_or_b32 exec_lo, exec_lo, s25
	v_cmp_lt_u32_e64 s24, v58, v0
	s_delay_alu instid0(VALU_DEP_1)
	s_and_saveexec_b32 s26, s24
	s_cbranch_execnz .LBB1051_179
.LBB1051_194:                           ;   in Loop: Header=BB1051_106 Depth=2
	s_or_b32 exec_lo, exec_lo, s26
	v_cmp_lt_u32_e64 s25, v59, v0
	s_delay_alu instid0(VALU_DEP_1)
	s_and_saveexec_b32 s27, s25
	s_cbranch_execz .LBB1051_180
.LBB1051_195:                           ;   in Loop: Header=BB1051_106 Depth=2
	ds_load_u16 v142, v83 offset:4608
	s_waitcnt lgkmcnt(0)
	v_and_b32_e32 v2, 0xffff, v142
	s_delay_alu instid0(VALU_DEP_1) | instskip(NEXT) | instid1(VALU_DEP_1)
	v_lshrrev_b32_e32 v2, s42, v2
	v_and_b32_e32 v2, s43, v2
	s_delay_alu instid0(VALU_DEP_1) | instskip(SKIP_3) | instid1(VALU_DEP_1)
	v_lshlrev_b32_e32 v2, 2, v2
	ds_load_b32 v2, v2
	s_waitcnt lgkmcnt(0)
	v_add_nc_u32_e32 v19, v2, v59
	v_lshlrev_b64 v[2:3], 1, v[19:20]
	v_xor_b32_e32 v19, 0xffff8000, v142
	s_delay_alu instid0(VALU_DEP_2) | instskip(NEXT) | instid1(VALU_DEP_1)
	v_add_co_u32 v2, s26, s38, v2
	v_add_co_ci_u32_e64 v3, s26, s39, v3, s26
	global_store_b16 v[2:3], v19, off
	s_or_b32 exec_lo, exec_lo, s27
	v_cmp_lt_u32_e64 s26, v60, v0
	s_delay_alu instid0(VALU_DEP_1)
	s_and_saveexec_b32 s28, s26
	s_cbranch_execnz .LBB1051_181
.LBB1051_196:                           ;   in Loop: Header=BB1051_106 Depth=2
	s_or_b32 exec_lo, exec_lo, s28
	v_cmp_lt_u32_e64 s27, v61, v0
	s_delay_alu instid0(VALU_DEP_1)
	s_and_saveexec_b32 s29, s27
	s_cbranch_execz .LBB1051_182
.LBB1051_197:                           ;   in Loop: Header=BB1051_106 Depth=2
	ds_load_u16 v142, v83 offset:5632
	s_waitcnt lgkmcnt(0)
	v_and_b32_e32 v2, 0xffff, v142
	s_delay_alu instid0(VALU_DEP_1) | instskip(NEXT) | instid1(VALU_DEP_1)
	v_lshrrev_b32_e32 v2, s42, v2
	v_and_b32_e32 v2, s43, v2
	s_delay_alu instid0(VALU_DEP_1) | instskip(SKIP_3) | instid1(VALU_DEP_1)
	v_lshlrev_b32_e32 v2, 2, v2
	ds_load_b32 v2, v2
	s_waitcnt lgkmcnt(0)
	v_add_nc_u32_e32 v19, v2, v61
	v_lshlrev_b64 v[2:3], 1, v[19:20]
	v_xor_b32_e32 v19, 0xffff8000, v142
	s_delay_alu instid0(VALU_DEP_2) | instskip(NEXT) | instid1(VALU_DEP_1)
	v_add_co_u32 v2, s28, s38, v2
	v_add_co_ci_u32_e64 v3, s28, s39, v3, s28
	global_store_b16 v[2:3], v19, off
	s_or_b32 exec_lo, exec_lo, s29
	v_cmp_lt_u32_e64 s28, v62, v0
	s_delay_alu instid0(VALU_DEP_1)
	s_and_saveexec_b32 s30, s28
	s_cbranch_execnz .LBB1051_183
.LBB1051_198:                           ;   in Loop: Header=BB1051_106 Depth=2
	s_or_b32 exec_lo, exec_lo, s30
	v_cmp_lt_u32_e64 s29, v63, v0
	s_delay_alu instid0(VALU_DEP_1)
	s_and_saveexec_b32 s31, s29
	s_cbranch_execz .LBB1051_184
.LBB1051_199:                           ;   in Loop: Header=BB1051_106 Depth=2
	ds_load_u16 v142, v83 offset:6656
	s_waitcnt lgkmcnt(0)
	v_and_b32_e32 v2, 0xffff, v142
	s_delay_alu instid0(VALU_DEP_1) | instskip(NEXT) | instid1(VALU_DEP_1)
	v_lshrrev_b32_e32 v2, s42, v2
	v_and_b32_e32 v2, s43, v2
	s_delay_alu instid0(VALU_DEP_1) | instskip(SKIP_3) | instid1(VALU_DEP_1)
	v_lshlrev_b32_e32 v2, 2, v2
	ds_load_b32 v2, v2
	s_waitcnt lgkmcnt(0)
	v_add_nc_u32_e32 v19, v2, v63
	v_lshlrev_b64 v[2:3], 1, v[19:20]
	v_xor_b32_e32 v19, 0xffff8000, v142
	s_delay_alu instid0(VALU_DEP_2) | instskip(NEXT) | instid1(VALU_DEP_1)
	v_add_co_u32 v2, s30, s38, v2
	v_add_co_ci_u32_e64 v3, s30, s39, v3, s30
	global_store_b16 v[2:3], v19, off
	s_or_b32 exec_lo, exec_lo, s31
	v_cmp_lt_u32_e64 s30, v64, v0
	s_delay_alu instid0(VALU_DEP_1)
	s_and_saveexec_b32 s33, s30
	s_cbranch_execnz .LBB1051_185
.LBB1051_200:                           ;   in Loop: Header=BB1051_106 Depth=2
	s_or_b32 exec_lo, exec_lo, s33
	v_cmp_lt_u32_e64 s31, v66, v0
	s_delay_alu instid0(VALU_DEP_1)
	s_and_saveexec_b32 s45, s31
	s_cbranch_execz .LBB1051_202
.LBB1051_201:                           ;   in Loop: Header=BB1051_106 Depth=2
	ds_load_u16 v142, v83 offset:7680
	s_waitcnt lgkmcnt(0)
	v_and_b32_e32 v2, 0xffff, v142
	s_delay_alu instid0(VALU_DEP_1) | instskip(NEXT) | instid1(VALU_DEP_1)
	v_lshrrev_b32_e32 v2, s42, v2
	v_and_b32_e32 v2, s43, v2
	s_delay_alu instid0(VALU_DEP_1) | instskip(SKIP_3) | instid1(VALU_DEP_1)
	v_lshlrev_b32_e32 v2, 2, v2
	ds_load_b32 v2, v2
	s_waitcnt lgkmcnt(0)
	v_add_nc_u32_e32 v19, v2, v66
	v_lshlrev_b64 v[2:3], 1, v[19:20]
	v_xor_b32_e32 v19, 0xffff8000, v142
	s_delay_alu instid0(VALU_DEP_2) | instskip(NEXT) | instid1(VALU_DEP_1)
	v_add_co_u32 v2, s33, s38, v2
	v_add_co_ci_u32_e64 v3, s33, s39, v3, s33
	global_store_b16 v[2:3], v19, off
.LBB1051_202:                           ;   in Loop: Header=BB1051_106 Depth=2
	s_or_b32 exec_lo, exec_lo, s45
	s_lshl_b64 s[46:47], s[34:35], 3
	s_delay_alu instid0(SALU_CYCLE_1) | instskip(NEXT) | instid1(VALU_DEP_1)
	v_add_co_u32 v2, s33, v103, s46
	v_add_co_ci_u32_e64 v3, s33, s47, v104, s33
	v_cmp_lt_u32_e64 s33, v102, v0
	s_delay_alu instid0(VALU_DEP_1) | instskip(NEXT) | instid1(SALU_CYCLE_1)
	s_and_saveexec_b32 s34, s33
	s_xor_b32 s33, exec_lo, s34
	s_cbranch_execz .LBB1051_234
; %bb.203:                              ;   in Loop: Header=BB1051_106 Depth=2
	global_load_b64 v[43:44], v[2:3], off
	s_or_b32 exec_lo, exec_lo, s33
	s_delay_alu instid0(SALU_CYCLE_1)
	s_mov_b32 s34, exec_lo
	v_cmpx_lt_u32_e64 v105, v0
	s_cbranch_execnz .LBB1051_235
.LBB1051_204:                           ;   in Loop: Header=BB1051_106 Depth=2
	s_or_b32 exec_lo, exec_lo, s34
	s_delay_alu instid0(SALU_CYCLE_1)
	s_mov_b32 s34, exec_lo
	v_cmpx_lt_u32_e64 v106, v0
	s_cbranch_execz .LBB1051_236
.LBB1051_205:                           ;   in Loop: Header=BB1051_106 Depth=2
	global_load_b64 v[39:40], v[2:3], off offset:512
	s_or_b32 exec_lo, exec_lo, s34
	s_delay_alu instid0(SALU_CYCLE_1)
	s_mov_b32 s34, exec_lo
	v_cmpx_lt_u32_e64 v107, v0
	s_cbranch_execnz .LBB1051_237
.LBB1051_206:                           ;   in Loop: Header=BB1051_106 Depth=2
	s_or_b32 exec_lo, exec_lo, s34
	s_delay_alu instid0(SALU_CYCLE_1)
	s_mov_b32 s34, exec_lo
	v_cmpx_lt_u32_e64 v108, v0
	s_cbranch_execz .LBB1051_238
.LBB1051_207:                           ;   in Loop: Header=BB1051_106 Depth=2
	global_load_b64 v[35:36], v[2:3], off offset:1024
	s_or_b32 exec_lo, exec_lo, s34
	s_delay_alu instid0(SALU_CYCLE_1)
	s_mov_b32 s34, exec_lo
	v_cmpx_lt_u32_e64 v109, v0
	s_cbranch_execnz .LBB1051_239
.LBB1051_208:                           ;   in Loop: Header=BB1051_106 Depth=2
	s_or_b32 exec_lo, exec_lo, s34
	s_delay_alu instid0(SALU_CYCLE_1)
	s_mov_b32 s34, exec_lo
	v_cmpx_lt_u32_e64 v110, v0
	s_cbranch_execz .LBB1051_240
.LBB1051_209:                           ;   in Loop: Header=BB1051_106 Depth=2
	global_load_b64 v[31:32], v[2:3], off offset:1536
	s_or_b32 exec_lo, exec_lo, s34
	s_delay_alu instid0(SALU_CYCLE_1)
	s_mov_b32 s34, exec_lo
	v_cmpx_lt_u32_e64 v111, v0
	s_cbranch_execnz .LBB1051_241
.LBB1051_210:                           ;   in Loop: Header=BB1051_106 Depth=2
	s_or_b32 exec_lo, exec_lo, s34
	s_delay_alu instid0(SALU_CYCLE_1)
	s_mov_b32 s34, exec_lo
	v_cmpx_lt_u32_e64 v112, v0
	s_cbranch_execz .LBB1051_242
.LBB1051_211:                           ;   in Loop: Header=BB1051_106 Depth=2
	global_load_b64 v[27:28], v[2:3], off offset:2048
	s_or_b32 exec_lo, exec_lo, s34
	s_delay_alu instid0(SALU_CYCLE_1)
	s_mov_b32 s34, exec_lo
	v_cmpx_lt_u32_e64 v113, v0
	s_cbranch_execnz .LBB1051_243
.LBB1051_212:                           ;   in Loop: Header=BB1051_106 Depth=2
	s_or_b32 exec_lo, exec_lo, s34
	s_delay_alu instid0(SALU_CYCLE_1)
	s_mov_b32 s34, exec_lo
	v_cmpx_lt_u32_e64 v114, v0
	s_cbranch_execz .LBB1051_244
.LBB1051_213:                           ;   in Loop: Header=BB1051_106 Depth=2
	global_load_b64 v[23:24], v[2:3], off offset:2560
	s_or_b32 exec_lo, exec_lo, s34
	s_delay_alu instid0(SALU_CYCLE_1)
	s_mov_b32 s34, exec_lo
	v_cmpx_lt_u32_e64 v115, v0
	s_cbranch_execnz .LBB1051_245
.LBB1051_214:                           ;   in Loop: Header=BB1051_106 Depth=2
	s_or_b32 exec_lo, exec_lo, s34
	s_delay_alu instid0(SALU_CYCLE_1)
	s_mov_b32 s34, exec_lo
	v_cmpx_lt_u32_e64 v116, v0
	s_cbranch_execz .LBB1051_246
.LBB1051_215:                           ;   in Loop: Header=BB1051_106 Depth=2
	global_load_b64 v[16:17], v[2:3], off offset:3072
	s_or_b32 exec_lo, exec_lo, s34
	s_delay_alu instid0(SALU_CYCLE_1)
	s_mov_b32 s34, exec_lo
	v_cmpx_lt_u32_e64 v117, v0
	s_cbranch_execnz .LBB1051_247
.LBB1051_216:                           ;   in Loop: Header=BB1051_106 Depth=2
	s_or_b32 exec_lo, exec_lo, s34
	s_delay_alu instid0(SALU_CYCLE_1)
	s_mov_b32 s34, exec_lo
	v_cmpx_lt_u32_e64 v118, v0
	s_cbranch_execz .LBB1051_248
.LBB1051_217:                           ;   in Loop: Header=BB1051_106 Depth=2
	global_load_b64 v[12:13], v[2:3], off offset:3584
	s_or_b32 exec_lo, exec_lo, s34
	s_delay_alu instid0(SALU_CYCLE_1)
	s_mov_b32 s34, exec_lo
	v_cmpx_lt_u32_e64 v119, v0
	s_cbranch_execnz .LBB1051_249
.LBB1051_218:                           ;   in Loop: Header=BB1051_106 Depth=2
	s_or_b32 exec_lo, exec_lo, s34
	s_and_saveexec_b32 s33, vcc_lo
	s_cbranch_execz .LBB1051_250
.LBB1051_219:                           ;   in Loop: Header=BB1051_106 Depth=2
	v_add_nc_u32_e32 v0, v76, v82
	ds_load_u16 v0, v0 offset:1024
	s_waitcnt lgkmcnt(0)
	v_lshrrev_b32_e32 v0, s42, v0
	s_delay_alu instid0(VALU_DEP_1)
	v_and_b32_e32 v140, s43, v0
	s_or_b32 exec_lo, exec_lo, s33
	s_and_saveexec_b32 s33, s17
	s_cbranch_execnz .LBB1051_251
.LBB1051_220:                           ;   in Loop: Header=BB1051_106 Depth=2
	s_or_b32 exec_lo, exec_lo, s33
	s_and_saveexec_b32 s33, s18
	s_cbranch_execz .LBB1051_252
.LBB1051_221:                           ;   in Loop: Header=BB1051_106 Depth=2
	ds_load_u16 v0, v83 offset:1024
	s_waitcnt lgkmcnt(0)
	v_lshrrev_b32_e32 v0, s42, v0
	s_delay_alu instid0(VALU_DEP_1)
	v_and_b32_e32 v138, s43, v0
	s_or_b32 exec_lo, exec_lo, s33
	s_and_saveexec_b32 s33, s19
	s_cbranch_execnz .LBB1051_253
.LBB1051_222:                           ;   in Loop: Header=BB1051_106 Depth=2
	s_or_b32 exec_lo, exec_lo, s33
	s_and_saveexec_b32 s33, s20
	s_cbranch_execz .LBB1051_254
.LBB1051_223:                           ;   in Loop: Header=BB1051_106 Depth=2
	ds_load_u16 v0, v83 offset:2048
	s_waitcnt lgkmcnt(0)
	v_lshrrev_b32_e32 v0, s42, v0
	s_delay_alu instid0(VALU_DEP_1)
	v_and_b32_e32 v136, s43, v0
	s_or_b32 exec_lo, exec_lo, s33
	s_and_saveexec_b32 s33, s21
	s_cbranch_execnz .LBB1051_255
.LBB1051_224:                           ;   in Loop: Header=BB1051_106 Depth=2
	s_or_b32 exec_lo, exec_lo, s33
	s_and_saveexec_b32 s33, s22
	s_cbranch_execz .LBB1051_256
.LBB1051_225:                           ;   in Loop: Header=BB1051_106 Depth=2
	ds_load_u16 v0, v83 offset:3072
	s_waitcnt lgkmcnt(0)
	v_lshrrev_b32_e32 v0, s42, v0
	s_delay_alu instid0(VALU_DEP_1)
	v_and_b32_e32 v134, s43, v0
	s_or_b32 exec_lo, exec_lo, s33
	s_and_saveexec_b32 s33, s23
	s_cbranch_execnz .LBB1051_257
.LBB1051_226:                           ;   in Loop: Header=BB1051_106 Depth=2
	s_or_b32 exec_lo, exec_lo, s33
	s_and_saveexec_b32 s33, s24
	s_cbranch_execz .LBB1051_258
.LBB1051_227:                           ;   in Loop: Header=BB1051_106 Depth=2
	ds_load_u16 v0, v83 offset:4096
	s_waitcnt lgkmcnt(0)
	v_lshrrev_b32_e32 v0, s42, v0
	s_delay_alu instid0(VALU_DEP_1)
	v_and_b32_e32 v132, s43, v0
	s_or_b32 exec_lo, exec_lo, s33
	s_and_saveexec_b32 s33, s25
	s_cbranch_execnz .LBB1051_259
.LBB1051_228:                           ;   in Loop: Header=BB1051_106 Depth=2
	s_or_b32 exec_lo, exec_lo, s33
	s_and_saveexec_b32 s33, s26
	s_cbranch_execz .LBB1051_260
.LBB1051_229:                           ;   in Loop: Header=BB1051_106 Depth=2
	ds_load_u16 v0, v83 offset:5120
	s_waitcnt lgkmcnt(0)
	v_lshrrev_b32_e32 v0, s42, v0
	s_delay_alu instid0(VALU_DEP_1)
	v_and_b32_e32 v130, s43, v0
	s_or_b32 exec_lo, exec_lo, s33
	s_and_saveexec_b32 s33, s27
	s_cbranch_execnz .LBB1051_261
.LBB1051_230:                           ;   in Loop: Header=BB1051_106 Depth=2
	s_or_b32 exec_lo, exec_lo, s33
	s_and_saveexec_b32 s33, s28
	s_cbranch_execz .LBB1051_262
.LBB1051_231:                           ;   in Loop: Header=BB1051_106 Depth=2
	ds_load_u16 v0, v83 offset:6144
	s_waitcnt lgkmcnt(0)
	v_lshrrev_b32_e32 v0, s42, v0
	s_delay_alu instid0(VALU_DEP_1)
	v_and_b32_e32 v128, s43, v0
	s_or_b32 exec_lo, exec_lo, s33
	s_and_saveexec_b32 s33, s29
	s_cbranch_execnz .LBB1051_263
.LBB1051_232:                           ;   in Loop: Header=BB1051_106 Depth=2
	s_or_b32 exec_lo, exec_lo, s33
	s_and_saveexec_b32 s33, s30
	s_cbranch_execz .LBB1051_264
.LBB1051_233:                           ;   in Loop: Header=BB1051_106 Depth=2
	ds_load_u16 v0, v83 offset:7168
	s_waitcnt lgkmcnt(0)
	v_lshrrev_b32_e32 v0, s42, v0
	s_delay_alu instid0(VALU_DEP_1)
	v_and_b32_e32 v126, s43, v0
	s_or_b32 exec_lo, exec_lo, s33
	s_and_saveexec_b32 s33, s31
	s_cbranch_execnz .LBB1051_265
	s_branch .LBB1051_266
.LBB1051_234:                           ;   in Loop: Header=BB1051_106 Depth=2
	s_or_b32 exec_lo, exec_lo, s33
	s_delay_alu instid0(SALU_CYCLE_1)
	s_mov_b32 s34, exec_lo
	v_cmpx_lt_u32_e64 v105, v0
	s_cbranch_execz .LBB1051_204
.LBB1051_235:                           ;   in Loop: Header=BB1051_106 Depth=2
	global_load_b64 v[41:42], v[2:3], off offset:256
	s_or_b32 exec_lo, exec_lo, s34
	s_delay_alu instid0(SALU_CYCLE_1)
	s_mov_b32 s34, exec_lo
	v_cmpx_lt_u32_e64 v106, v0
	s_cbranch_execnz .LBB1051_205
.LBB1051_236:                           ;   in Loop: Header=BB1051_106 Depth=2
	s_or_b32 exec_lo, exec_lo, s34
	s_delay_alu instid0(SALU_CYCLE_1)
	s_mov_b32 s34, exec_lo
	v_cmpx_lt_u32_e64 v107, v0
	s_cbranch_execz .LBB1051_206
.LBB1051_237:                           ;   in Loop: Header=BB1051_106 Depth=2
	global_load_b64 v[37:38], v[2:3], off offset:768
	s_or_b32 exec_lo, exec_lo, s34
	s_delay_alu instid0(SALU_CYCLE_1)
	s_mov_b32 s34, exec_lo
	v_cmpx_lt_u32_e64 v108, v0
	s_cbranch_execnz .LBB1051_207
.LBB1051_238:                           ;   in Loop: Header=BB1051_106 Depth=2
	s_or_b32 exec_lo, exec_lo, s34
	s_delay_alu instid0(SALU_CYCLE_1)
	s_mov_b32 s34, exec_lo
	v_cmpx_lt_u32_e64 v109, v0
	s_cbranch_execz .LBB1051_208
.LBB1051_239:                           ;   in Loop: Header=BB1051_106 Depth=2
	global_load_b64 v[33:34], v[2:3], off offset:1280
	s_or_b32 exec_lo, exec_lo, s34
	s_delay_alu instid0(SALU_CYCLE_1)
	s_mov_b32 s34, exec_lo
	v_cmpx_lt_u32_e64 v110, v0
	s_cbranch_execnz .LBB1051_209
.LBB1051_240:                           ;   in Loop: Header=BB1051_106 Depth=2
	s_or_b32 exec_lo, exec_lo, s34
	s_delay_alu instid0(SALU_CYCLE_1)
	s_mov_b32 s34, exec_lo
	v_cmpx_lt_u32_e64 v111, v0
	s_cbranch_execz .LBB1051_210
.LBB1051_241:                           ;   in Loop: Header=BB1051_106 Depth=2
	global_load_b64 v[29:30], v[2:3], off offset:1792
	s_or_b32 exec_lo, exec_lo, s34
	s_delay_alu instid0(SALU_CYCLE_1)
	s_mov_b32 s34, exec_lo
	v_cmpx_lt_u32_e64 v112, v0
	s_cbranch_execnz .LBB1051_211
.LBB1051_242:                           ;   in Loop: Header=BB1051_106 Depth=2
	s_or_b32 exec_lo, exec_lo, s34
	s_delay_alu instid0(SALU_CYCLE_1)
	s_mov_b32 s34, exec_lo
	v_cmpx_lt_u32_e64 v113, v0
	s_cbranch_execz .LBB1051_212
.LBB1051_243:                           ;   in Loop: Header=BB1051_106 Depth=2
	global_load_b64 v[25:26], v[2:3], off offset:2304
	s_or_b32 exec_lo, exec_lo, s34
	s_delay_alu instid0(SALU_CYCLE_1)
	s_mov_b32 s34, exec_lo
	v_cmpx_lt_u32_e64 v114, v0
	s_cbranch_execnz .LBB1051_213
.LBB1051_244:                           ;   in Loop: Header=BB1051_106 Depth=2
	s_or_b32 exec_lo, exec_lo, s34
	s_delay_alu instid0(SALU_CYCLE_1)
	s_mov_b32 s34, exec_lo
	v_cmpx_lt_u32_e64 v115, v0
	s_cbranch_execz .LBB1051_214
.LBB1051_245:                           ;   in Loop: Header=BB1051_106 Depth=2
	global_load_b64 v[21:22], v[2:3], off offset:2816
	s_or_b32 exec_lo, exec_lo, s34
	s_delay_alu instid0(SALU_CYCLE_1)
	s_mov_b32 s34, exec_lo
	v_cmpx_lt_u32_e64 v116, v0
	s_cbranch_execnz .LBB1051_215
.LBB1051_246:                           ;   in Loop: Header=BB1051_106 Depth=2
	s_or_b32 exec_lo, exec_lo, s34
	s_delay_alu instid0(SALU_CYCLE_1)
	s_mov_b32 s34, exec_lo
	v_cmpx_lt_u32_e64 v117, v0
	s_cbranch_execz .LBB1051_216
.LBB1051_247:                           ;   in Loop: Header=BB1051_106 Depth=2
	global_load_b64 v[14:15], v[2:3], off offset:3328
	s_or_b32 exec_lo, exec_lo, s34
	s_delay_alu instid0(SALU_CYCLE_1)
	s_mov_b32 s34, exec_lo
	v_cmpx_lt_u32_e64 v118, v0
	s_cbranch_execnz .LBB1051_217
.LBB1051_248:                           ;   in Loop: Header=BB1051_106 Depth=2
	s_or_b32 exec_lo, exec_lo, s34
	s_delay_alu instid0(SALU_CYCLE_1)
	s_mov_b32 s34, exec_lo
	v_cmpx_lt_u32_e64 v119, v0
	s_cbranch_execz .LBB1051_218
.LBB1051_249:                           ;   in Loop: Header=BB1051_106 Depth=2
	global_load_b64 v[10:11], v[2:3], off offset:3840
	s_or_b32 exec_lo, exec_lo, s34
	s_and_saveexec_b32 s33, vcc_lo
	s_cbranch_execnz .LBB1051_219
.LBB1051_250:                           ;   in Loop: Header=BB1051_106 Depth=2
	s_or_b32 exec_lo, exec_lo, s33
	s_and_saveexec_b32 s33, s17
	s_cbranch_execz .LBB1051_220
.LBB1051_251:                           ;   in Loop: Header=BB1051_106 Depth=2
	ds_load_u16 v0, v83 offset:512
	s_waitcnt lgkmcnt(0)
	v_lshrrev_b32_e32 v0, s42, v0
	s_delay_alu instid0(VALU_DEP_1)
	v_and_b32_e32 v139, s43, v0
	s_or_b32 exec_lo, exec_lo, s33
	s_and_saveexec_b32 s33, s18
	s_cbranch_execnz .LBB1051_221
.LBB1051_252:                           ;   in Loop: Header=BB1051_106 Depth=2
	s_or_b32 exec_lo, exec_lo, s33
	s_and_saveexec_b32 s33, s19
	s_cbranch_execz .LBB1051_222
.LBB1051_253:                           ;   in Loop: Header=BB1051_106 Depth=2
	ds_load_u16 v0, v83 offset:1536
	s_waitcnt lgkmcnt(0)
	v_lshrrev_b32_e32 v0, s42, v0
	s_delay_alu instid0(VALU_DEP_1)
	v_and_b32_e32 v137, s43, v0
	s_or_b32 exec_lo, exec_lo, s33
	s_and_saveexec_b32 s33, s20
	s_cbranch_execnz .LBB1051_223
.LBB1051_254:                           ;   in Loop: Header=BB1051_106 Depth=2
	s_or_b32 exec_lo, exec_lo, s33
	s_and_saveexec_b32 s33, s21
	s_cbranch_execz .LBB1051_224
.LBB1051_255:                           ;   in Loop: Header=BB1051_106 Depth=2
	ds_load_u16 v0, v83 offset:2560
	s_waitcnt lgkmcnt(0)
	v_lshrrev_b32_e32 v0, s42, v0
	s_delay_alu instid0(VALU_DEP_1)
	v_and_b32_e32 v135, s43, v0
	s_or_b32 exec_lo, exec_lo, s33
	s_and_saveexec_b32 s33, s22
	s_cbranch_execnz .LBB1051_225
.LBB1051_256:                           ;   in Loop: Header=BB1051_106 Depth=2
	s_or_b32 exec_lo, exec_lo, s33
	s_and_saveexec_b32 s33, s23
	s_cbranch_execz .LBB1051_226
.LBB1051_257:                           ;   in Loop: Header=BB1051_106 Depth=2
	ds_load_u16 v0, v83 offset:3584
	s_waitcnt lgkmcnt(0)
	v_lshrrev_b32_e32 v0, s42, v0
	s_delay_alu instid0(VALU_DEP_1)
	v_and_b32_e32 v133, s43, v0
	s_or_b32 exec_lo, exec_lo, s33
	s_and_saveexec_b32 s33, s24
	s_cbranch_execnz .LBB1051_227
.LBB1051_258:                           ;   in Loop: Header=BB1051_106 Depth=2
	s_or_b32 exec_lo, exec_lo, s33
	s_and_saveexec_b32 s33, s25
	s_cbranch_execz .LBB1051_228
.LBB1051_259:                           ;   in Loop: Header=BB1051_106 Depth=2
	ds_load_u16 v0, v83 offset:4608
	s_waitcnt lgkmcnt(0)
	v_lshrrev_b32_e32 v0, s42, v0
	s_delay_alu instid0(VALU_DEP_1)
	v_and_b32_e32 v131, s43, v0
	s_or_b32 exec_lo, exec_lo, s33
	s_and_saveexec_b32 s33, s26
	s_cbranch_execnz .LBB1051_229
.LBB1051_260:                           ;   in Loop: Header=BB1051_106 Depth=2
	s_or_b32 exec_lo, exec_lo, s33
	s_and_saveexec_b32 s33, s27
	s_cbranch_execz .LBB1051_230
.LBB1051_261:                           ;   in Loop: Header=BB1051_106 Depth=2
	ds_load_u16 v0, v83 offset:5632
	s_waitcnt lgkmcnt(0)
	v_lshrrev_b32_e32 v0, s42, v0
	s_delay_alu instid0(VALU_DEP_1)
	v_and_b32_e32 v129, s43, v0
	s_or_b32 exec_lo, exec_lo, s33
	s_and_saveexec_b32 s33, s28
	s_cbranch_execnz .LBB1051_231
.LBB1051_262:                           ;   in Loop: Header=BB1051_106 Depth=2
	s_or_b32 exec_lo, exec_lo, s33
	s_and_saveexec_b32 s33, s29
	s_cbranch_execz .LBB1051_232
.LBB1051_263:                           ;   in Loop: Header=BB1051_106 Depth=2
	ds_load_u16 v0, v83 offset:6656
	s_waitcnt lgkmcnt(0)
	v_lshrrev_b32_e32 v0, s42, v0
	s_delay_alu instid0(VALU_DEP_1)
	v_and_b32_e32 v127, s43, v0
	s_or_b32 exec_lo, exec_lo, s33
	s_and_saveexec_b32 s33, s30
	s_cbranch_execnz .LBB1051_233
.LBB1051_264:                           ;   in Loop: Header=BB1051_106 Depth=2
	s_or_b32 exec_lo, exec_lo, s33
	s_and_saveexec_b32 s33, s31
	s_cbranch_execz .LBB1051_266
.LBB1051_265:                           ;   in Loop: Header=BB1051_106 Depth=2
	ds_load_u16 v0, v83 offset:7680
	s_waitcnt lgkmcnt(0)
	v_lshrrev_b32_e32 v0, s42, v0
	s_delay_alu instid0(VALU_DEP_1)
	v_and_b32_e32 v125, s43, v0
.LBB1051_266:                           ;   in Loop: Header=BB1051_106 Depth=2
	s_or_b32 exec_lo, exec_lo, s33
	v_lshlrev_b32_e32 v0, 3, v159
	v_lshlrev_b32_e32 v2, 3, v155
	s_waitcnt vmcnt(0)
	s_waitcnt_vscnt null, 0x0
	s_barrier
	buffer_gl0_inv
	ds_store_b64 v0, v[43:44] offset:1024
	v_lshlrev_b32_e32 v0, 3, v151
	v_lshlrev_b32_e32 v3, 3, v150
	;; [unrolled: 1-line block ×4, first 2 shown]
	ds_store_b64 v2, v[41:42] offset:1024
	ds_store_b64 v0, v[39:40] offset:1024
	;; [unrolled: 1-line block ×5, first 2 shown]
	v_lshlrev_b32_e32 v0, 3, v146
	v_lshlrev_b32_e32 v2, 3, v145
	v_lshlrev_b32_e32 v3, 3, v143
	v_lshlrev_b32_e32 v19, 3, v141
	v_lshlrev_b32_e32 v46, 3, v46
	ds_store_b64 v0, v[31:32] offset:1024
	ds_store_b64 v2, v[29:30] offset:1024
	;; [unrolled: 1-line block ×5, first 2 shown]
	v_lshlrev_b32_e32 v0, 3, v6
	v_lshlrev_b32_e32 v2, 3, v5
	;; [unrolled: 1-line block ×5, first 2 shown]
	ds_store_b64 v0, v[21:22] offset:1024
	ds_store_b64 v2, v[16:17] offset:1024
	;; [unrolled: 1-line block ×5, first 2 shown]
	s_waitcnt lgkmcnt(0)
	s_barrier
	buffer_gl0_inv
	s_and_saveexec_b32 s33, vcc_lo
	s_cbranch_execz .LBB1051_282
; %bb.267:                              ;   in Loop: Header=BB1051_106 Depth=2
	v_lshlrev_b32_e32 v0, 2, v140
	ds_load_b32 v0, v0
	ds_load_b64 v[2:3], v84 offset:1024
	s_waitcnt lgkmcnt(1)
	v_add_nc_u32_e32 v19, v0, v18
	s_delay_alu instid0(VALU_DEP_1) | instskip(NEXT) | instid1(VALU_DEP_1)
	v_lshlrev_b64 v[5:6], 3, v[19:20]
	v_add_co_u32 v5, vcc_lo, s52, v5
	s_delay_alu instid0(VALU_DEP_2)
	v_add_co_ci_u32_e32 v6, vcc_lo, s53, v6, vcc_lo
	s_waitcnt lgkmcnt(0)
	global_store_b64 v[5:6], v[2:3], off
	s_or_b32 exec_lo, exec_lo, s33
	s_and_saveexec_b32 s33, s17
	s_cbranch_execnz .LBB1051_283
.LBB1051_268:                           ;   in Loop: Header=BB1051_106 Depth=2
	s_or_b32 exec_lo, exec_lo, s33
	s_and_saveexec_b32 s17, s18
	s_cbranch_execz .LBB1051_284
.LBB1051_269:                           ;   in Loop: Header=BB1051_106 Depth=2
	v_lshlrev_b32_e32 v0, 2, v138
	v_add_nc_u32_e32 v2, v83, v85
	ds_load_b32 v0, v0
	ds_load_b64 v[2:3], v2 offset:4096
	s_waitcnt lgkmcnt(1)
	v_add_nc_u32_e32 v19, v0, v49
	s_delay_alu instid0(VALU_DEP_1) | instskip(NEXT) | instid1(VALU_DEP_1)
	v_lshlrev_b64 v[5:6], 3, v[19:20]
	v_add_co_u32 v5, vcc_lo, s52, v5
	s_delay_alu instid0(VALU_DEP_2)
	v_add_co_ci_u32_e32 v6, vcc_lo, s53, v6, vcc_lo
	s_waitcnt lgkmcnt(0)
	global_store_b64 v[5:6], v[2:3], off
	s_or_b32 exec_lo, exec_lo, s17
	s_and_saveexec_b32 s17, s19
	s_cbranch_execnz .LBB1051_285
.LBB1051_270:                           ;   in Loop: Header=BB1051_106 Depth=2
	s_or_b32 exec_lo, exec_lo, s17
	s_and_saveexec_b32 s17, s20
	s_cbranch_execz .LBB1051_286
.LBB1051_271:                           ;   in Loop: Header=BB1051_106 Depth=2
	v_lshlrev_b32_e32 v0, 2, v136
	v_add_nc_u32_e32 v2, v83, v85
	ds_load_b32 v0, v0
	ds_load_b64 v[2:3], v2 offset:8192
	s_waitcnt lgkmcnt(1)
	v_add_nc_u32_e32 v19, v0, v54
	s_delay_alu instid0(VALU_DEP_1) | instskip(NEXT) | instid1(VALU_DEP_1)
	v_lshlrev_b64 v[5:6], 3, v[19:20]
	v_add_co_u32 v5, vcc_lo, s52, v5
	s_delay_alu instid0(VALU_DEP_2)
	v_add_co_ci_u32_e32 v6, vcc_lo, s53, v6, vcc_lo
	s_waitcnt lgkmcnt(0)
	global_store_b64 v[5:6], v[2:3], off
	s_or_b32 exec_lo, exec_lo, s17
	s_and_saveexec_b32 s17, s21
	s_cbranch_execnz .LBB1051_287
.LBB1051_272:                           ;   in Loop: Header=BB1051_106 Depth=2
	s_or_b32 exec_lo, exec_lo, s17
	s_and_saveexec_b32 s17, s22
	s_cbranch_execz .LBB1051_288
.LBB1051_273:                           ;   in Loop: Header=BB1051_106 Depth=2
	v_lshlrev_b32_e32 v0, 2, v134
	v_add_nc_u32_e32 v2, v83, v85
	ds_load_b32 v0, v0
	ds_load_b64 v[2:3], v2 offset:12288
	s_waitcnt lgkmcnt(1)
	v_add_nc_u32_e32 v19, v0, v56
	s_delay_alu instid0(VALU_DEP_1) | instskip(NEXT) | instid1(VALU_DEP_1)
	v_lshlrev_b64 v[5:6], 3, v[19:20]
	v_add_co_u32 v5, vcc_lo, s52, v5
	s_delay_alu instid0(VALU_DEP_2)
	v_add_co_ci_u32_e32 v6, vcc_lo, s53, v6, vcc_lo
	s_waitcnt lgkmcnt(0)
	global_store_b64 v[5:6], v[2:3], off
	s_or_b32 exec_lo, exec_lo, s17
	s_and_saveexec_b32 s17, s23
	s_cbranch_execnz .LBB1051_289
.LBB1051_274:                           ;   in Loop: Header=BB1051_106 Depth=2
	s_or_b32 exec_lo, exec_lo, s17
	s_and_saveexec_b32 s17, s24
	s_cbranch_execz .LBB1051_290
.LBB1051_275:                           ;   in Loop: Header=BB1051_106 Depth=2
	v_lshlrev_b32_e32 v0, 2, v132
	v_add_nc_u32_e32 v2, v83, v85
	ds_load_b32 v0, v0
	ds_load_b64 v[2:3], v2 offset:16384
	s_waitcnt lgkmcnt(1)
	v_add_nc_u32_e32 v19, v0, v58
	s_delay_alu instid0(VALU_DEP_1) | instskip(NEXT) | instid1(VALU_DEP_1)
	v_lshlrev_b64 v[5:6], 3, v[19:20]
	v_add_co_u32 v5, vcc_lo, s52, v5
	s_delay_alu instid0(VALU_DEP_2)
	v_add_co_ci_u32_e32 v6, vcc_lo, s53, v6, vcc_lo
	s_waitcnt lgkmcnt(0)
	global_store_b64 v[5:6], v[2:3], off
	s_or_b32 exec_lo, exec_lo, s17
	s_and_saveexec_b32 s17, s25
	s_cbranch_execnz .LBB1051_291
.LBB1051_276:                           ;   in Loop: Header=BB1051_106 Depth=2
	s_or_b32 exec_lo, exec_lo, s17
	s_and_saveexec_b32 s17, s26
	s_cbranch_execz .LBB1051_292
.LBB1051_277:                           ;   in Loop: Header=BB1051_106 Depth=2
	v_lshlrev_b32_e32 v0, 2, v130
	v_add_nc_u32_e32 v2, v83, v85
	ds_load_b32 v0, v0
	ds_load_b64 v[2:3], v2 offset:20480
	s_waitcnt lgkmcnt(1)
	v_add_nc_u32_e32 v19, v0, v60
	s_delay_alu instid0(VALU_DEP_1) | instskip(NEXT) | instid1(VALU_DEP_1)
	v_lshlrev_b64 v[5:6], 3, v[19:20]
	v_add_co_u32 v5, vcc_lo, s52, v5
	s_delay_alu instid0(VALU_DEP_2)
	v_add_co_ci_u32_e32 v6, vcc_lo, s53, v6, vcc_lo
	s_waitcnt lgkmcnt(0)
	global_store_b64 v[5:6], v[2:3], off
	s_or_b32 exec_lo, exec_lo, s17
	s_and_saveexec_b32 s17, s27
	s_cbranch_execnz .LBB1051_293
.LBB1051_278:                           ;   in Loop: Header=BB1051_106 Depth=2
	s_or_b32 exec_lo, exec_lo, s17
	s_and_saveexec_b32 s17, s28
	s_cbranch_execz .LBB1051_294
.LBB1051_279:                           ;   in Loop: Header=BB1051_106 Depth=2
	v_lshlrev_b32_e32 v0, 2, v128
	v_add_nc_u32_e32 v2, v83, v85
	ds_load_b32 v0, v0
	ds_load_b64 v[2:3], v2 offset:24576
	s_waitcnt lgkmcnt(1)
	v_add_nc_u32_e32 v19, v0, v62
	s_delay_alu instid0(VALU_DEP_1) | instskip(NEXT) | instid1(VALU_DEP_1)
	v_lshlrev_b64 v[5:6], 3, v[19:20]
	v_add_co_u32 v5, vcc_lo, s52, v5
	s_delay_alu instid0(VALU_DEP_2)
	v_add_co_ci_u32_e32 v6, vcc_lo, s53, v6, vcc_lo
	s_waitcnt lgkmcnt(0)
	global_store_b64 v[5:6], v[2:3], off
	s_or_b32 exec_lo, exec_lo, s17
	s_and_saveexec_b32 s17, s29
	s_cbranch_execnz .LBB1051_295
.LBB1051_280:                           ;   in Loop: Header=BB1051_106 Depth=2
	s_or_b32 exec_lo, exec_lo, s17
	s_and_saveexec_b32 s17, s30
	s_cbranch_execz .LBB1051_296
.LBB1051_281:                           ;   in Loop: Header=BB1051_106 Depth=2
	v_lshlrev_b32_e32 v0, 2, v126
	v_add_nc_u32_e32 v2, v83, v85
	ds_load_b32 v0, v0
	ds_load_b64 v[2:3], v2 offset:28672
	s_waitcnt lgkmcnt(1)
	v_add_nc_u32_e32 v19, v0, v64
	s_delay_alu instid0(VALU_DEP_1) | instskip(NEXT) | instid1(VALU_DEP_1)
	v_lshlrev_b64 v[5:6], 3, v[19:20]
	v_add_co_u32 v5, vcc_lo, s52, v5
	s_delay_alu instid0(VALU_DEP_2)
	v_add_co_ci_u32_e32 v6, vcc_lo, s53, v6, vcc_lo
	s_waitcnt lgkmcnt(0)
	global_store_b64 v[5:6], v[2:3], off
	s_or_b32 exec_lo, exec_lo, s17
	s_and_saveexec_b32 s17, s31
	s_cbranch_execnz .LBB1051_297
	s_branch .LBB1051_298
.LBB1051_282:                           ;   in Loop: Header=BB1051_106 Depth=2
	s_or_b32 exec_lo, exec_lo, s33
	s_and_saveexec_b32 s33, s17
	s_cbranch_execz .LBB1051_268
.LBB1051_283:                           ;   in Loop: Header=BB1051_106 Depth=2
	v_lshlrev_b32_e32 v0, 2, v139
	v_add_nc_u32_e32 v2, v83, v85
	ds_load_b32 v0, v0
	ds_load_b64 v[2:3], v2 offset:2048
	s_waitcnt lgkmcnt(1)
	v_add_nc_u32_e32 v19, v0, v48
	s_delay_alu instid0(VALU_DEP_1) | instskip(NEXT) | instid1(VALU_DEP_1)
	v_lshlrev_b64 v[5:6], 3, v[19:20]
	v_add_co_u32 v5, vcc_lo, s52, v5
	s_delay_alu instid0(VALU_DEP_2)
	v_add_co_ci_u32_e32 v6, vcc_lo, s53, v6, vcc_lo
	s_waitcnt lgkmcnt(0)
	global_store_b64 v[5:6], v[2:3], off
	s_or_b32 exec_lo, exec_lo, s33
	s_and_saveexec_b32 s17, s18
	s_cbranch_execnz .LBB1051_269
.LBB1051_284:                           ;   in Loop: Header=BB1051_106 Depth=2
	s_or_b32 exec_lo, exec_lo, s17
	s_and_saveexec_b32 s17, s19
	s_cbranch_execz .LBB1051_270
.LBB1051_285:                           ;   in Loop: Header=BB1051_106 Depth=2
	v_lshlrev_b32_e32 v0, 2, v137
	v_add_nc_u32_e32 v2, v83, v85
	ds_load_b32 v0, v0
	ds_load_b64 v[2:3], v2 offset:6144
	s_waitcnt lgkmcnt(1)
	v_add_nc_u32_e32 v19, v0, v50
	s_delay_alu instid0(VALU_DEP_1) | instskip(NEXT) | instid1(VALU_DEP_1)
	v_lshlrev_b64 v[5:6], 3, v[19:20]
	v_add_co_u32 v5, vcc_lo, s52, v5
	s_delay_alu instid0(VALU_DEP_2)
	v_add_co_ci_u32_e32 v6, vcc_lo, s53, v6, vcc_lo
	s_waitcnt lgkmcnt(0)
	global_store_b64 v[5:6], v[2:3], off
	s_or_b32 exec_lo, exec_lo, s17
	s_and_saveexec_b32 s17, s20
	s_cbranch_execnz .LBB1051_271
.LBB1051_286:                           ;   in Loop: Header=BB1051_106 Depth=2
	s_or_b32 exec_lo, exec_lo, s17
	s_and_saveexec_b32 s17, s21
	s_cbranch_execz .LBB1051_272
.LBB1051_287:                           ;   in Loop: Header=BB1051_106 Depth=2
	v_lshlrev_b32_e32 v0, 2, v135
	v_add_nc_u32_e32 v2, v83, v85
	ds_load_b32 v0, v0
	ds_load_b64 v[2:3], v2 offset:10240
	s_waitcnt lgkmcnt(1)
	v_add_nc_u32_e32 v19, v0, v55
	s_delay_alu instid0(VALU_DEP_1) | instskip(NEXT) | instid1(VALU_DEP_1)
	v_lshlrev_b64 v[5:6], 3, v[19:20]
	v_add_co_u32 v5, vcc_lo, s52, v5
	s_delay_alu instid0(VALU_DEP_2)
	v_add_co_ci_u32_e32 v6, vcc_lo, s53, v6, vcc_lo
	s_waitcnt lgkmcnt(0)
	global_store_b64 v[5:6], v[2:3], off
	s_or_b32 exec_lo, exec_lo, s17
	s_and_saveexec_b32 s17, s22
	s_cbranch_execnz .LBB1051_273
.LBB1051_288:                           ;   in Loop: Header=BB1051_106 Depth=2
	s_or_b32 exec_lo, exec_lo, s17
	s_and_saveexec_b32 s17, s23
	s_cbranch_execz .LBB1051_274
.LBB1051_289:                           ;   in Loop: Header=BB1051_106 Depth=2
	v_lshlrev_b32_e32 v0, 2, v133
	v_add_nc_u32_e32 v2, v83, v85
	ds_load_b32 v0, v0
	ds_load_b64 v[2:3], v2 offset:14336
	s_waitcnt lgkmcnt(1)
	v_add_nc_u32_e32 v19, v0, v57
	s_delay_alu instid0(VALU_DEP_1) | instskip(NEXT) | instid1(VALU_DEP_1)
	v_lshlrev_b64 v[5:6], 3, v[19:20]
	v_add_co_u32 v5, vcc_lo, s52, v5
	s_delay_alu instid0(VALU_DEP_2)
	v_add_co_ci_u32_e32 v6, vcc_lo, s53, v6, vcc_lo
	s_waitcnt lgkmcnt(0)
	global_store_b64 v[5:6], v[2:3], off
	s_or_b32 exec_lo, exec_lo, s17
	s_and_saveexec_b32 s17, s24
	s_cbranch_execnz .LBB1051_275
.LBB1051_290:                           ;   in Loop: Header=BB1051_106 Depth=2
	s_or_b32 exec_lo, exec_lo, s17
	s_and_saveexec_b32 s17, s25
	s_cbranch_execz .LBB1051_276
.LBB1051_291:                           ;   in Loop: Header=BB1051_106 Depth=2
	v_lshlrev_b32_e32 v0, 2, v131
	v_add_nc_u32_e32 v2, v83, v85
	ds_load_b32 v0, v0
	ds_load_b64 v[2:3], v2 offset:18432
	s_waitcnt lgkmcnt(1)
	v_add_nc_u32_e32 v19, v0, v59
	s_delay_alu instid0(VALU_DEP_1) | instskip(NEXT) | instid1(VALU_DEP_1)
	v_lshlrev_b64 v[5:6], 3, v[19:20]
	v_add_co_u32 v5, vcc_lo, s52, v5
	s_delay_alu instid0(VALU_DEP_2)
	v_add_co_ci_u32_e32 v6, vcc_lo, s53, v6, vcc_lo
	s_waitcnt lgkmcnt(0)
	global_store_b64 v[5:6], v[2:3], off
	s_or_b32 exec_lo, exec_lo, s17
	s_and_saveexec_b32 s17, s26
	s_cbranch_execnz .LBB1051_277
.LBB1051_292:                           ;   in Loop: Header=BB1051_106 Depth=2
	s_or_b32 exec_lo, exec_lo, s17
	s_and_saveexec_b32 s17, s27
	s_cbranch_execz .LBB1051_278
.LBB1051_293:                           ;   in Loop: Header=BB1051_106 Depth=2
	v_lshlrev_b32_e32 v0, 2, v129
	v_add_nc_u32_e32 v2, v83, v85
	ds_load_b32 v0, v0
	ds_load_b64 v[2:3], v2 offset:22528
	s_waitcnt lgkmcnt(1)
	v_add_nc_u32_e32 v19, v0, v61
	s_delay_alu instid0(VALU_DEP_1) | instskip(NEXT) | instid1(VALU_DEP_1)
	v_lshlrev_b64 v[5:6], 3, v[19:20]
	v_add_co_u32 v5, vcc_lo, s52, v5
	s_delay_alu instid0(VALU_DEP_2)
	v_add_co_ci_u32_e32 v6, vcc_lo, s53, v6, vcc_lo
	s_waitcnt lgkmcnt(0)
	global_store_b64 v[5:6], v[2:3], off
	s_or_b32 exec_lo, exec_lo, s17
	s_and_saveexec_b32 s17, s28
	s_cbranch_execnz .LBB1051_279
.LBB1051_294:                           ;   in Loop: Header=BB1051_106 Depth=2
	s_or_b32 exec_lo, exec_lo, s17
	s_and_saveexec_b32 s17, s29
	s_cbranch_execz .LBB1051_280
.LBB1051_295:                           ;   in Loop: Header=BB1051_106 Depth=2
	v_lshlrev_b32_e32 v0, 2, v127
	v_add_nc_u32_e32 v2, v83, v85
	ds_load_b32 v0, v0
	ds_load_b64 v[2:3], v2 offset:26624
	s_waitcnt lgkmcnt(1)
	v_add_nc_u32_e32 v19, v0, v63
	s_delay_alu instid0(VALU_DEP_1) | instskip(NEXT) | instid1(VALU_DEP_1)
	v_lshlrev_b64 v[5:6], 3, v[19:20]
	v_add_co_u32 v5, vcc_lo, s52, v5
	s_delay_alu instid0(VALU_DEP_2)
	v_add_co_ci_u32_e32 v6, vcc_lo, s53, v6, vcc_lo
	s_waitcnt lgkmcnt(0)
	global_store_b64 v[5:6], v[2:3], off
	s_or_b32 exec_lo, exec_lo, s17
	s_and_saveexec_b32 s17, s30
	s_cbranch_execnz .LBB1051_281
.LBB1051_296:                           ;   in Loop: Header=BB1051_106 Depth=2
	s_or_b32 exec_lo, exec_lo, s17
	s_and_saveexec_b32 s17, s31
	s_cbranch_execz .LBB1051_298
.LBB1051_297:                           ;   in Loop: Header=BB1051_106 Depth=2
	v_lshlrev_b32_e32 v0, 2, v125
	v_add_nc_u32_e32 v2, v83, v85
	ds_load_b32 v0, v0
	ds_load_b64 v[2:3], v2 offset:30720
	s_waitcnt lgkmcnt(1)
	v_add_nc_u32_e32 v19, v0, v66
	s_delay_alu instid0(VALU_DEP_1) | instskip(NEXT) | instid1(VALU_DEP_1)
	v_lshlrev_b64 v[5:6], 3, v[19:20]
	v_add_co_u32 v5, vcc_lo, s52, v5
	s_delay_alu instid0(VALU_DEP_2)
	v_add_co_ci_u32_e32 v6, vcc_lo, s53, v6, vcc_lo
	s_waitcnt lgkmcnt(0)
	global_store_b64 v[5:6], v[2:3], off
.LBB1051_298:                           ;   in Loop: Header=BB1051_106 Depth=2
	s_or_b32 exec_lo, exec_lo, s17
	s_waitcnt_vscnt null, 0x0
	s_barrier
	buffer_gl0_inv
	s_and_saveexec_b32 s17, s2
	s_cbranch_execz .LBB1051_105
; %bb.299:                              ;   in Loop: Header=BB1051_106 Depth=2
	ds_load_b32 v0, v47
	s_waitcnt lgkmcnt(0)
	v_add_nc_u32_e32 v0, v0, v4
	ds_store_b32 v47, v0
	s_branch .LBB1051_105
.LBB1051_300:                           ;   in Loop: Header=BB1051_106 Depth=2
	s_or_b32 exec_lo, exec_lo, s17
	s_delay_alu instid0(SALU_CYCLE_1)
	s_mov_b32 s17, exec_lo
	v_cmpx_gt_u32_e64 s56, v105
	s_cbranch_execz .LBB1051_111
.LBB1051_301:                           ;   in Loop: Header=BB1051_106 Depth=2
	global_load_d16_hi_b16 v2, v[45:46], off offset:64
	s_or_b32 exec_lo, exec_lo, s17
	s_delay_alu instid0(SALU_CYCLE_1)
	s_mov_b32 s17, exec_lo
	v_cmpx_gt_u32_e64 s56, v106
	s_cbranch_execnz .LBB1051_112
.LBB1051_302:                           ;   in Loop: Header=BB1051_106 Depth=2
	s_or_b32 exec_lo, exec_lo, s17
	s_delay_alu instid0(SALU_CYCLE_1)
	s_mov_b32 s17, exec_lo
	v_cmpx_gt_u32_e64 s56, v107
	s_cbranch_execz .LBB1051_113
.LBB1051_303:                           ;   in Loop: Header=BB1051_106 Depth=2
	global_load_d16_hi_b16 v3, v[45:46], off offset:192
	s_or_b32 exec_lo, exec_lo, s17
	s_delay_alu instid0(SALU_CYCLE_1)
	s_mov_b32 s17, exec_lo
	v_cmpx_gt_u32_e64 s56, v108
	s_cbranch_execnz .LBB1051_114
.LBB1051_304:                           ;   in Loop: Header=BB1051_106 Depth=2
	s_or_b32 exec_lo, exec_lo, s17
	s_delay_alu instid0(SALU_CYCLE_1)
	s_mov_b32 s17, exec_lo
	v_cmpx_gt_u32_e64 s56, v109
	s_cbranch_execz .LBB1051_115
.LBB1051_305:                           ;   in Loop: Header=BB1051_106 Depth=2
	global_load_d16_hi_b16 v4, v[45:46], off offset:320
	s_or_b32 exec_lo, exec_lo, s17
	s_delay_alu instid0(SALU_CYCLE_1)
	s_mov_b32 s17, exec_lo
	v_cmpx_gt_u32_e64 s56, v110
	s_cbranch_execnz .LBB1051_116
.LBB1051_306:                           ;   in Loop: Header=BB1051_106 Depth=2
	s_or_b32 exec_lo, exec_lo, s17
	s_delay_alu instid0(SALU_CYCLE_1)
	s_mov_b32 s17, exec_lo
	v_cmpx_gt_u32_e64 s56, v111
	s_cbranch_execz .LBB1051_117
.LBB1051_307:                           ;   in Loop: Header=BB1051_106 Depth=2
	global_load_d16_hi_b16 v5, v[45:46], off offset:448
	s_or_b32 exec_lo, exec_lo, s17
	s_delay_alu instid0(SALU_CYCLE_1)
	s_mov_b32 s17, exec_lo
	v_cmpx_gt_u32_e64 s56, v112
	s_cbranch_execnz .LBB1051_118
.LBB1051_308:                           ;   in Loop: Header=BB1051_106 Depth=2
	s_or_b32 exec_lo, exec_lo, s17
	s_delay_alu instid0(SALU_CYCLE_1)
	s_mov_b32 s17, exec_lo
	v_cmpx_gt_u32_e64 s56, v113
	s_cbranch_execz .LBB1051_119
.LBB1051_309:                           ;   in Loop: Header=BB1051_106 Depth=2
	global_load_d16_hi_b16 v6, v[45:46], off offset:576
	s_or_b32 exec_lo, exec_lo, s17
	s_delay_alu instid0(SALU_CYCLE_1)
	s_mov_b32 s17, exec_lo
	v_cmpx_gt_u32_e64 s56, v114
	s_cbranch_execnz .LBB1051_120
.LBB1051_310:                           ;   in Loop: Header=BB1051_106 Depth=2
	s_or_b32 exec_lo, exec_lo, s17
	s_delay_alu instid0(SALU_CYCLE_1)
	s_mov_b32 s17, exec_lo
	v_cmpx_gt_u32_e64 s56, v115
	s_cbranch_execz .LBB1051_121
.LBB1051_311:                           ;   in Loop: Header=BB1051_106 Depth=2
	global_load_d16_hi_b16 v7, v[45:46], off offset:704
	s_or_b32 exec_lo, exec_lo, s17
	s_delay_alu instid0(SALU_CYCLE_1)
	s_mov_b32 s17, exec_lo
	v_cmpx_gt_u32_e64 s56, v116
	s_cbranch_execnz .LBB1051_122
.LBB1051_312:                           ;   in Loop: Header=BB1051_106 Depth=2
	s_or_b32 exec_lo, exec_lo, s17
	s_delay_alu instid0(SALU_CYCLE_1)
	s_mov_b32 s17, exec_lo
	v_cmpx_gt_u32_e64 s56, v117
	s_cbranch_execz .LBB1051_123
.LBB1051_313:                           ;   in Loop: Header=BB1051_106 Depth=2
	global_load_d16_hi_b16 v8, v[45:46], off offset:832
	s_or_b32 exec_lo, exec_lo, s17
	s_delay_alu instid0(SALU_CYCLE_1)
	s_mov_b32 s17, exec_lo
	v_cmpx_gt_u32_e64 s56, v118
	s_cbranch_execnz .LBB1051_124
	s_branch .LBB1051_125
.LBB1051_314:                           ;   in Loop: Header=BB1051_20 Depth=1
	s_waitcnt lgkmcnt(0)
	s_mov_b32 s1, 0
	s_barrier
.LBB1051_315:                           ;   in Loop: Header=BB1051_20 Depth=1
	s_and_b32 vcc_lo, exec_lo, s1
	s_cbranch_vccz .LBB1051_609
; %bb.316:                              ;   in Loop: Header=BB1051_20 Depth=1
	s_mov_b32 s1, s64
	s_mov_b32 s34, s62
	s_barrier
	buffer_gl0_inv
                                        ; implicit-def: $vgpr2_vgpr3_vgpr4_vgpr5_vgpr6_vgpr7_vgpr8_vgpr9
	s_branch .LBB1051_318
.LBB1051_317:                           ;   in Loop: Header=BB1051_318 Depth=2
	s_or_b32 exec_lo, exec_lo, s8
	s_addk_i32 s1, 0xf000
	s_cmp_ge_u32 s7, s63
	s_mov_b32 s34, s7
	s_cbranch_scc1 .LBB1051_388
.LBB1051_318:                           ;   Parent Loop BB1051_20 Depth=1
                                        ; =>  This Inner Loop Header: Depth=2
	s_add_i32 s7, s34, 0x1000
	s_delay_alu instid0(SALU_CYCLE_1)
	s_cmp_gt_u32 s7, s63
	s_cbranch_scc1 .LBB1051_321
; %bb.319:                              ;   in Loop: Header=BB1051_318 Depth=2
	s_mov_b32 s9, 0
	s_mov_b32 s8, s34
	s_waitcnt vmcnt(7)
	v_mov_b32_e32 v17, v9
	s_lshl_b64 s[10:11], s[8:9], 1
	s_delay_alu instid0(SALU_CYCLE_1) | instskip(SKIP_2) | instid1(VALU_DEP_2)
	v_add_co_u32 v21, vcc_lo, v86, s10
	v_add_co_ci_u32_e32 v22, vcc_lo, s11, v87, vcc_lo
	s_movk_i32 s11, 0x1000
	v_add_co_u32 v23, vcc_lo, 0x1000, v21
	s_delay_alu instid0(VALU_DEP_2)
	v_add_co_ci_u32_e32 v24, vcc_lo, 0, v22, vcc_lo
	s_clause 0x6
	global_load_u16 v10, v[21:22], off
	global_load_u16 v11, v[21:22], off offset:1024
	global_load_u16 v12, v[21:22], off offset:2048
	;; [unrolled: 1-line block ×3, first 2 shown]
	global_load_u16 v14, v[23:24], off
	global_load_u16 v15, v[23:24], off offset:1024
	global_load_u16 v16, v[23:24], off offset:2048
	s_mov_b32 s10, -1
	s_clause 0x7
	global_load_d16_b16 v17, v[23:24], off offset:3072
	global_load_d16_hi_b16 v10, v[21:22], off offset:512
	global_load_d16_hi_b16 v11, v[21:22], off offset:1536
	;; [unrolled: 1-line block ×7, first 2 shown]
	v_add_co_u32 v21, vcc_lo, 0x1e00, v21
	v_add_co_ci_u32_e32 v22, vcc_lo, 0, v22, vcc_lo
	s_cbranch_execz .LBB1051_322
; %bb.320:                              ;   in Loop: Header=BB1051_318 Depth=2
                                        ; implicit-def: $vgpr2_vgpr3_vgpr4_vgpr5_vgpr6_vgpr7_vgpr8_vgpr9
	v_mov_b32_e32 v0, s1
	s_and_saveexec_b32 s8, s10
	s_cbranch_execnz .LBB1051_341
	s_branch .LBB1051_342
.LBB1051_321:                           ;   in Loop: Header=BB1051_318 Depth=2
	s_mov_b32 s10, 0
                                        ; implicit-def: $sgpr11
                                        ; implicit-def: $vgpr10_vgpr11_vgpr12_vgpr13_vgpr14_vgpr15_vgpr16_vgpr17
                                        ; implicit-def: $vgpr21_vgpr22
.LBB1051_322:                           ;   in Loop: Header=BB1051_318 Depth=2
	s_lshl_b64 s[8:9], s[34:35], 1
	s_mov_b32 s11, exec_lo
	s_add_u32 s8, s38, s8
	s_addc_u32 s9, s39, s9
	v_cmpx_gt_u32_e64 s1, v18
	s_cbranch_execz .LBB1051_374
; %bb.323:                              ;   in Loop: Header=BB1051_318 Depth=2
	global_load_d16_b16 v2, v99, s[8:9]
	s_or_b32 exec_lo, exec_lo, s11
	s_delay_alu instid0(SALU_CYCLE_1)
	s_mov_b32 s11, exec_lo
	v_cmpx_gt_u32_e64 s1, v48
	s_cbranch_execnz .LBB1051_375
.LBB1051_324:                           ;   in Loop: Header=BB1051_318 Depth=2
	s_or_b32 exec_lo, exec_lo, s11
	s_delay_alu instid0(SALU_CYCLE_1)
	s_mov_b32 s11, exec_lo
	v_cmpx_gt_u32_e64 s1, v49
	s_cbranch_execz .LBB1051_376
.LBB1051_325:                           ;   in Loop: Header=BB1051_318 Depth=2
	global_load_d16_b16 v3, v99, s[8:9] offset:1024
	s_or_b32 exec_lo, exec_lo, s11
	s_delay_alu instid0(SALU_CYCLE_1)
	s_mov_b32 s11, exec_lo
	v_cmpx_gt_u32_e64 s1, v50
	s_cbranch_execnz .LBB1051_377
.LBB1051_326:                           ;   in Loop: Header=BB1051_318 Depth=2
	s_or_b32 exec_lo, exec_lo, s11
	s_delay_alu instid0(SALU_CYCLE_1)
	s_mov_b32 s11, exec_lo
	v_cmpx_gt_u32_e64 s1, v54
	s_cbranch_execz .LBB1051_378
.LBB1051_327:                           ;   in Loop: Header=BB1051_318 Depth=2
	global_load_d16_b16 v4, v99, s[8:9] offset:2048
	s_or_b32 exec_lo, exec_lo, s11
	s_delay_alu instid0(SALU_CYCLE_1)
	s_mov_b32 s11, exec_lo
	v_cmpx_gt_u32_e64 s1, v55
	s_cbranch_execnz .LBB1051_379
.LBB1051_328:                           ;   in Loop: Header=BB1051_318 Depth=2
	s_or_b32 exec_lo, exec_lo, s11
	s_delay_alu instid0(SALU_CYCLE_1)
	s_mov_b32 s11, exec_lo
	v_cmpx_gt_u32_e64 s1, v56
	s_cbranch_execz .LBB1051_380
.LBB1051_329:                           ;   in Loop: Header=BB1051_318 Depth=2
	global_load_d16_b16 v5, v99, s[8:9] offset:3072
	s_or_b32 exec_lo, exec_lo, s11
	s_delay_alu instid0(SALU_CYCLE_1)
	s_mov_b32 s11, exec_lo
	v_cmpx_gt_u32_e64 s1, v57
	s_cbranch_execnz .LBB1051_381
.LBB1051_330:                           ;   in Loop: Header=BB1051_318 Depth=2
	s_or_b32 exec_lo, exec_lo, s11
	s_delay_alu instid0(SALU_CYCLE_1)
	s_mov_b32 s11, exec_lo
	v_cmpx_gt_u32_e64 s1, v58
	s_cbranch_execz .LBB1051_382
.LBB1051_331:                           ;   in Loop: Header=BB1051_318 Depth=2
	v_lshlrev_b32_e32 v0, 1, v58
	global_load_d16_b16 v6, v0, s[8:9]
	s_or_b32 exec_lo, exec_lo, s11
	s_delay_alu instid0(SALU_CYCLE_1)
	s_mov_b32 s11, exec_lo
	v_cmpx_gt_u32_e64 s1, v59
	s_cbranch_execnz .LBB1051_383
.LBB1051_332:                           ;   in Loop: Header=BB1051_318 Depth=2
	s_or_b32 exec_lo, exec_lo, s11
	s_delay_alu instid0(SALU_CYCLE_1)
	s_mov_b32 s11, exec_lo
	v_cmpx_gt_u32_e64 s1, v60
	s_cbranch_execz .LBB1051_384
.LBB1051_333:                           ;   in Loop: Header=BB1051_318 Depth=2
	v_lshlrev_b32_e32 v0, 1, v60
	global_load_d16_b16 v7, v0, s[8:9]
	s_or_b32 exec_lo, exec_lo, s11
	s_delay_alu instid0(SALU_CYCLE_1)
	s_mov_b32 s11, exec_lo
	v_cmpx_gt_u32_e64 s1, v61
	s_cbranch_execnz .LBB1051_385
.LBB1051_334:                           ;   in Loop: Header=BB1051_318 Depth=2
	s_or_b32 exec_lo, exec_lo, s11
	s_delay_alu instid0(SALU_CYCLE_1)
	s_mov_b32 s11, exec_lo
	v_cmpx_gt_u32_e64 s1, v62
	s_cbranch_execz .LBB1051_386
.LBB1051_335:                           ;   in Loop: Header=BB1051_318 Depth=2
	v_lshlrev_b32_e32 v0, 1, v62
	global_load_d16_b16 v8, v0, s[8:9]
	s_or_b32 exec_lo, exec_lo, s11
	s_delay_alu instid0(SALU_CYCLE_1)
	s_mov_b32 s11, exec_lo
	v_cmpx_gt_u32_e64 s1, v63
	s_cbranch_execnz .LBB1051_387
.LBB1051_336:                           ;   in Loop: Header=BB1051_318 Depth=2
	s_or_b32 exec_lo, exec_lo, s11
	s_delay_alu instid0(SALU_CYCLE_1)
	s_mov_b32 s11, exec_lo
	v_cmpx_gt_u32_e64 s1, v64
	s_cbranch_execz .LBB1051_338
.LBB1051_337:                           ;   in Loop: Header=BB1051_318 Depth=2
	v_lshlrev_b32_e32 v0, 1, v64
	global_load_d16_b16 v9, v0, s[8:9]
.LBB1051_338:                           ;   in Loop: Header=BB1051_318 Depth=2
	s_or_b32 exec_lo, exec_lo, s11
	s_delay_alu instid0(SALU_CYCLE_1)
	s_mov_b32 s12, exec_lo
                                        ; implicit-def: $sgpr11
                                        ; implicit-def: $vgpr21_vgpr22
	v_cmpx_gt_u32_e64 s1, v66
; %bb.339:                              ;   in Loop: Header=BB1051_318 Depth=2
	v_lshlrev_b32_e32 v0, 1, v66
	s_sub_i32 s11, s63, s34
	s_or_b32 s10, s10, exec_lo
	s_delay_alu instid0(VALU_DEP_1) | instskip(NEXT) | instid1(VALU_DEP_1)
	v_add_co_u32 v21, s8, s8, v0
	v_add_co_ci_u32_e64 v22, null, s9, 0, s8
; %bb.340:                              ;   in Loop: Header=BB1051_318 Depth=2
	s_or_b32 exec_lo, exec_lo, s12
	s_waitcnt vmcnt(0)
	v_dual_mov_b32 v17, v9 :: v_dual_mov_b32 v16, v8
	v_dual_mov_b32 v15, v7 :: v_dual_mov_b32 v14, v6
	;; [unrolled: 1-line block ×4, first 2 shown]
	v_mov_b32_e32 v0, s1
	s_and_saveexec_b32 s8, s10
	s_cbranch_execz .LBB1051_342
.LBB1051_341:                           ;   in Loop: Header=BB1051_318 Depth=2
	global_load_d16_hi_b16 v17, v[21:22], off
	s_waitcnt vmcnt(0)
	v_dual_mov_b32 v2, v10 :: v_dual_mov_b32 v5, v13
	v_dual_mov_b32 v0, s11 :: v_dual_mov_b32 v3, v11
	;; [unrolled: 1-line block ×3, first 2 shown]
	v_mov_b32_e32 v6, v14
	v_dual_mov_b32 v8, v16 :: v_dual_mov_b32 v9, v17
.LBB1051_342:                           ;   in Loop: Header=BB1051_318 Depth=2
	s_or_b32 exec_lo, exec_lo, s8
	s_delay_alu instid0(SALU_CYCLE_1)
	s_mov_b32 s8, exec_lo
	v_cmpx_lt_u32_e64 v18, v0
	s_cbranch_execz .LBB1051_358
; %bb.343:                              ;   in Loop: Header=BB1051_318 Depth=2
	s_waitcnt vmcnt(6)
	v_xor_b32_e32 v10, 0xffff8000, v2
	s_waitcnt vmcnt(5)
	v_lshlrev_b32_e32 v11, 2, v51
	s_delay_alu instid0(VALU_DEP_2) | instskip(NEXT) | instid1(VALU_DEP_1)
	v_and_b32_e32 v10, 0xffff, v10
	v_lshrrev_b32_e32 v10, s42, v10
	s_delay_alu instid0(VALU_DEP_1) | instskip(NEXT) | instid1(VALU_DEP_1)
	v_and_b32_e32 v10, s43, v10
	v_lshl_or_b32 v10, v10, 4, v11
	ds_add_u32 v10, v98
	s_or_b32 exec_lo, exec_lo, s8
	s_delay_alu instid0(SALU_CYCLE_1)
	s_mov_b32 s8, exec_lo
	v_cmpx_lt_u32_e64 v48, v0
	s_cbranch_execnz .LBB1051_359
.LBB1051_344:                           ;   in Loop: Header=BB1051_318 Depth=2
	s_or_b32 exec_lo, exec_lo, s8
	s_delay_alu instid0(SALU_CYCLE_1)
	s_mov_b32 s8, exec_lo
	v_cmpx_lt_u32_e64 v49, v0
	s_cbranch_execz .LBB1051_360
.LBB1051_345:                           ;   in Loop: Header=BB1051_318 Depth=2
	s_waitcnt vmcnt(6)
	v_xor_b32_e32 v10, 0xffff8000, v3
	s_waitcnt vmcnt(5)
	v_lshlrev_b32_e32 v11, 2, v51
	s_delay_alu instid0(VALU_DEP_2) | instskip(NEXT) | instid1(VALU_DEP_1)
	v_and_b32_e32 v10, 0xffff, v10
	v_lshrrev_b32_e32 v10, s42, v10
	s_delay_alu instid0(VALU_DEP_1) | instskip(NEXT) | instid1(VALU_DEP_1)
	v_and_b32_e32 v10, s43, v10
	v_lshl_or_b32 v10, v10, 4, v11
	ds_add_u32 v10, v98
	s_or_b32 exec_lo, exec_lo, s8
	s_delay_alu instid0(SALU_CYCLE_1)
	s_mov_b32 s8, exec_lo
	v_cmpx_lt_u32_e64 v50, v0
	s_cbranch_execnz .LBB1051_361
.LBB1051_346:                           ;   in Loop: Header=BB1051_318 Depth=2
	s_or_b32 exec_lo, exec_lo, s8
	s_delay_alu instid0(SALU_CYCLE_1)
	s_mov_b32 s8, exec_lo
	v_cmpx_lt_u32_e64 v54, v0
	s_cbranch_execz .LBB1051_362
.LBB1051_347:                           ;   in Loop: Header=BB1051_318 Depth=2
	s_waitcnt vmcnt(6)
	v_xor_b32_e32 v10, 0xffff8000, v4
	s_waitcnt vmcnt(5)
	v_lshlrev_b32_e32 v11, 2, v51
	s_delay_alu instid0(VALU_DEP_2) | instskip(NEXT) | instid1(VALU_DEP_1)
	v_and_b32_e32 v10, 0xffff, v10
	v_lshrrev_b32_e32 v10, s42, v10
	s_delay_alu instid0(VALU_DEP_1) | instskip(NEXT) | instid1(VALU_DEP_1)
	v_and_b32_e32 v10, s43, v10
	v_lshl_or_b32 v10, v10, 4, v11
	ds_add_u32 v10, v98
	s_or_b32 exec_lo, exec_lo, s8
	s_delay_alu instid0(SALU_CYCLE_1)
	s_mov_b32 s8, exec_lo
	v_cmpx_lt_u32_e64 v55, v0
	s_cbranch_execnz .LBB1051_363
.LBB1051_348:                           ;   in Loop: Header=BB1051_318 Depth=2
	s_or_b32 exec_lo, exec_lo, s8
	s_delay_alu instid0(SALU_CYCLE_1)
	s_mov_b32 s8, exec_lo
	v_cmpx_lt_u32_e64 v56, v0
	s_cbranch_execz .LBB1051_364
.LBB1051_349:                           ;   in Loop: Header=BB1051_318 Depth=2
	s_waitcnt vmcnt(6)
	v_xor_b32_e32 v10, 0xffff8000, v5
	s_waitcnt vmcnt(5)
	v_lshlrev_b32_e32 v11, 2, v51
	s_delay_alu instid0(VALU_DEP_2) | instskip(NEXT) | instid1(VALU_DEP_1)
	v_and_b32_e32 v10, 0xffff, v10
	v_lshrrev_b32_e32 v10, s42, v10
	s_delay_alu instid0(VALU_DEP_1) | instskip(NEXT) | instid1(VALU_DEP_1)
	v_and_b32_e32 v10, s43, v10
	v_lshl_or_b32 v10, v10, 4, v11
	ds_add_u32 v10, v98
	s_or_b32 exec_lo, exec_lo, s8
	s_delay_alu instid0(SALU_CYCLE_1)
	s_mov_b32 s8, exec_lo
	v_cmpx_lt_u32_e64 v57, v0
	s_cbranch_execnz .LBB1051_365
.LBB1051_350:                           ;   in Loop: Header=BB1051_318 Depth=2
	s_or_b32 exec_lo, exec_lo, s8
	s_delay_alu instid0(SALU_CYCLE_1)
	s_mov_b32 s8, exec_lo
	v_cmpx_lt_u32_e64 v58, v0
	s_cbranch_execz .LBB1051_366
.LBB1051_351:                           ;   in Loop: Header=BB1051_318 Depth=2
	s_waitcnt vmcnt(6)
	v_xor_b32_e32 v10, 0xffff8000, v6
	s_waitcnt vmcnt(5)
	v_lshlrev_b32_e32 v11, 2, v51
	s_delay_alu instid0(VALU_DEP_2) | instskip(NEXT) | instid1(VALU_DEP_1)
	v_and_b32_e32 v10, 0xffff, v10
	v_lshrrev_b32_e32 v10, s42, v10
	s_delay_alu instid0(VALU_DEP_1) | instskip(NEXT) | instid1(VALU_DEP_1)
	v_and_b32_e32 v10, s43, v10
	v_lshl_or_b32 v10, v10, 4, v11
	ds_add_u32 v10, v98
	s_or_b32 exec_lo, exec_lo, s8
	s_delay_alu instid0(SALU_CYCLE_1)
	s_mov_b32 s8, exec_lo
	v_cmpx_lt_u32_e64 v59, v0
	s_cbranch_execnz .LBB1051_367
.LBB1051_352:                           ;   in Loop: Header=BB1051_318 Depth=2
	s_or_b32 exec_lo, exec_lo, s8
	s_delay_alu instid0(SALU_CYCLE_1)
	s_mov_b32 s8, exec_lo
	v_cmpx_lt_u32_e64 v60, v0
	s_cbranch_execz .LBB1051_368
.LBB1051_353:                           ;   in Loop: Header=BB1051_318 Depth=2
	s_waitcnt vmcnt(6)
	v_xor_b32_e32 v10, 0xffff8000, v7
	s_waitcnt vmcnt(5)
	v_lshlrev_b32_e32 v11, 2, v51
	s_delay_alu instid0(VALU_DEP_2) | instskip(NEXT) | instid1(VALU_DEP_1)
	v_and_b32_e32 v10, 0xffff, v10
	v_lshrrev_b32_e32 v10, s42, v10
	s_delay_alu instid0(VALU_DEP_1) | instskip(NEXT) | instid1(VALU_DEP_1)
	v_and_b32_e32 v10, s43, v10
	v_lshl_or_b32 v10, v10, 4, v11
	ds_add_u32 v10, v98
	s_or_b32 exec_lo, exec_lo, s8
	s_delay_alu instid0(SALU_CYCLE_1)
	s_mov_b32 s8, exec_lo
	v_cmpx_lt_u32_e64 v61, v0
	s_cbranch_execnz .LBB1051_369
.LBB1051_354:                           ;   in Loop: Header=BB1051_318 Depth=2
	s_or_b32 exec_lo, exec_lo, s8
	s_delay_alu instid0(SALU_CYCLE_1)
	s_mov_b32 s8, exec_lo
	v_cmpx_lt_u32_e64 v62, v0
	s_cbranch_execz .LBB1051_370
.LBB1051_355:                           ;   in Loop: Header=BB1051_318 Depth=2
	s_waitcnt vmcnt(6)
	v_xor_b32_e32 v10, 0xffff8000, v8
	s_waitcnt vmcnt(5)
	v_lshlrev_b32_e32 v11, 2, v51
	s_delay_alu instid0(VALU_DEP_2) | instskip(NEXT) | instid1(VALU_DEP_1)
	v_and_b32_e32 v10, 0xffff, v10
	v_lshrrev_b32_e32 v10, s42, v10
	s_delay_alu instid0(VALU_DEP_1) | instskip(NEXT) | instid1(VALU_DEP_1)
	v_and_b32_e32 v10, s43, v10
	v_lshl_or_b32 v10, v10, 4, v11
	ds_add_u32 v10, v98
	s_or_b32 exec_lo, exec_lo, s8
	s_delay_alu instid0(SALU_CYCLE_1)
	s_mov_b32 s8, exec_lo
	v_cmpx_lt_u32_e64 v63, v0
	s_cbranch_execnz .LBB1051_371
.LBB1051_356:                           ;   in Loop: Header=BB1051_318 Depth=2
	s_or_b32 exec_lo, exec_lo, s8
	s_delay_alu instid0(SALU_CYCLE_1)
	s_mov_b32 s8, exec_lo
	v_cmpx_lt_u32_e64 v64, v0
	s_cbranch_execz .LBB1051_372
.LBB1051_357:                           ;   in Loop: Header=BB1051_318 Depth=2
	s_waitcnt vmcnt(6)
	v_xor_b32_e32 v10, 0xffff8000, v9
	s_waitcnt vmcnt(5)
	v_lshlrev_b32_e32 v11, 2, v51
	s_delay_alu instid0(VALU_DEP_2) | instskip(NEXT) | instid1(VALU_DEP_1)
	v_and_b32_e32 v10, 0xffff, v10
	v_lshrrev_b32_e32 v10, s42, v10
	s_delay_alu instid0(VALU_DEP_1) | instskip(NEXT) | instid1(VALU_DEP_1)
	v_and_b32_e32 v10, s43, v10
	v_lshl_or_b32 v10, v10, 4, v11
	ds_add_u32 v10, v98
	s_or_b32 exec_lo, exec_lo, s8
	s_delay_alu instid0(SALU_CYCLE_1)
	s_mov_b32 s8, exec_lo
	v_cmpx_lt_u32_e64 v66, v0
	s_cbranch_execz .LBB1051_317
	s_branch .LBB1051_373
.LBB1051_358:                           ;   in Loop: Header=BB1051_318 Depth=2
	s_or_b32 exec_lo, exec_lo, s8
	s_delay_alu instid0(SALU_CYCLE_1)
	s_mov_b32 s8, exec_lo
	v_cmpx_lt_u32_e64 v48, v0
	s_cbranch_execz .LBB1051_344
.LBB1051_359:                           ;   in Loop: Header=BB1051_318 Depth=2
	s_waitcnt vmcnt(6)
	v_lshrrev_b32_e32 v10, 16, v2
	s_waitcnt vmcnt(5)
	v_lshlrev_b32_e32 v11, 2, v51
	s_delay_alu instid0(VALU_DEP_2) | instskip(NEXT) | instid1(VALU_DEP_1)
	v_xor_b32_e32 v10, 0xffff8000, v10
	v_and_b32_e32 v10, 0xffff, v10
	s_delay_alu instid0(VALU_DEP_1) | instskip(NEXT) | instid1(VALU_DEP_1)
	v_lshrrev_b32_e32 v10, s42, v10
	v_and_b32_e32 v10, s43, v10
	s_delay_alu instid0(VALU_DEP_1) | instskip(SKIP_2) | instid1(SALU_CYCLE_1)
	v_lshl_or_b32 v10, v10, 4, v11
	ds_add_u32 v10, v98
	s_or_b32 exec_lo, exec_lo, s8
	s_mov_b32 s8, exec_lo
	v_cmpx_lt_u32_e64 v49, v0
	s_cbranch_execnz .LBB1051_345
.LBB1051_360:                           ;   in Loop: Header=BB1051_318 Depth=2
	s_or_b32 exec_lo, exec_lo, s8
	s_delay_alu instid0(SALU_CYCLE_1)
	s_mov_b32 s8, exec_lo
	v_cmpx_lt_u32_e64 v50, v0
	s_cbranch_execz .LBB1051_346
.LBB1051_361:                           ;   in Loop: Header=BB1051_318 Depth=2
	s_waitcnt vmcnt(6)
	v_lshrrev_b32_e32 v10, 16, v3
	s_waitcnt vmcnt(5)
	v_lshlrev_b32_e32 v11, 2, v51
	s_delay_alu instid0(VALU_DEP_2) | instskip(NEXT) | instid1(VALU_DEP_1)
	v_xor_b32_e32 v10, 0xffff8000, v10
	v_and_b32_e32 v10, 0xffff, v10
	s_delay_alu instid0(VALU_DEP_1) | instskip(NEXT) | instid1(VALU_DEP_1)
	v_lshrrev_b32_e32 v10, s42, v10
	v_and_b32_e32 v10, s43, v10
	s_delay_alu instid0(VALU_DEP_1) | instskip(SKIP_2) | instid1(SALU_CYCLE_1)
	v_lshl_or_b32 v10, v10, 4, v11
	ds_add_u32 v10, v98
	s_or_b32 exec_lo, exec_lo, s8
	s_mov_b32 s8, exec_lo
	v_cmpx_lt_u32_e64 v54, v0
	s_cbranch_execnz .LBB1051_347
.LBB1051_362:                           ;   in Loop: Header=BB1051_318 Depth=2
	s_or_b32 exec_lo, exec_lo, s8
	s_delay_alu instid0(SALU_CYCLE_1)
	s_mov_b32 s8, exec_lo
	v_cmpx_lt_u32_e64 v55, v0
	s_cbranch_execz .LBB1051_348
.LBB1051_363:                           ;   in Loop: Header=BB1051_318 Depth=2
	s_waitcnt vmcnt(6)
	v_lshrrev_b32_e32 v10, 16, v4
	s_waitcnt vmcnt(5)
	v_lshlrev_b32_e32 v11, 2, v51
	s_delay_alu instid0(VALU_DEP_2) | instskip(NEXT) | instid1(VALU_DEP_1)
	v_xor_b32_e32 v10, 0xffff8000, v10
	v_and_b32_e32 v10, 0xffff, v10
	s_delay_alu instid0(VALU_DEP_1) | instskip(NEXT) | instid1(VALU_DEP_1)
	v_lshrrev_b32_e32 v10, s42, v10
	v_and_b32_e32 v10, s43, v10
	s_delay_alu instid0(VALU_DEP_1) | instskip(SKIP_2) | instid1(SALU_CYCLE_1)
	v_lshl_or_b32 v10, v10, 4, v11
	ds_add_u32 v10, v98
	s_or_b32 exec_lo, exec_lo, s8
	s_mov_b32 s8, exec_lo
	v_cmpx_lt_u32_e64 v56, v0
	s_cbranch_execnz .LBB1051_349
.LBB1051_364:                           ;   in Loop: Header=BB1051_318 Depth=2
	s_or_b32 exec_lo, exec_lo, s8
	s_delay_alu instid0(SALU_CYCLE_1)
	s_mov_b32 s8, exec_lo
	v_cmpx_lt_u32_e64 v57, v0
	s_cbranch_execz .LBB1051_350
.LBB1051_365:                           ;   in Loop: Header=BB1051_318 Depth=2
	s_waitcnt vmcnt(6)
	v_lshrrev_b32_e32 v10, 16, v5
	s_waitcnt vmcnt(5)
	v_lshlrev_b32_e32 v11, 2, v51
	s_delay_alu instid0(VALU_DEP_2) | instskip(NEXT) | instid1(VALU_DEP_1)
	v_xor_b32_e32 v10, 0xffff8000, v10
	v_and_b32_e32 v10, 0xffff, v10
	s_delay_alu instid0(VALU_DEP_1) | instskip(NEXT) | instid1(VALU_DEP_1)
	v_lshrrev_b32_e32 v10, s42, v10
	v_and_b32_e32 v10, s43, v10
	s_delay_alu instid0(VALU_DEP_1) | instskip(SKIP_2) | instid1(SALU_CYCLE_1)
	v_lshl_or_b32 v10, v10, 4, v11
	ds_add_u32 v10, v98
	s_or_b32 exec_lo, exec_lo, s8
	s_mov_b32 s8, exec_lo
	v_cmpx_lt_u32_e64 v58, v0
	s_cbranch_execnz .LBB1051_351
.LBB1051_366:                           ;   in Loop: Header=BB1051_318 Depth=2
	s_or_b32 exec_lo, exec_lo, s8
	s_delay_alu instid0(SALU_CYCLE_1)
	s_mov_b32 s8, exec_lo
	v_cmpx_lt_u32_e64 v59, v0
	s_cbranch_execz .LBB1051_352
.LBB1051_367:                           ;   in Loop: Header=BB1051_318 Depth=2
	s_waitcnt vmcnt(6)
	v_lshrrev_b32_e32 v10, 16, v6
	s_waitcnt vmcnt(5)
	v_lshlrev_b32_e32 v11, 2, v51
	s_delay_alu instid0(VALU_DEP_2) | instskip(NEXT) | instid1(VALU_DEP_1)
	v_xor_b32_e32 v10, 0xffff8000, v10
	v_and_b32_e32 v10, 0xffff, v10
	s_delay_alu instid0(VALU_DEP_1) | instskip(NEXT) | instid1(VALU_DEP_1)
	v_lshrrev_b32_e32 v10, s42, v10
	v_and_b32_e32 v10, s43, v10
	s_delay_alu instid0(VALU_DEP_1) | instskip(SKIP_2) | instid1(SALU_CYCLE_1)
	v_lshl_or_b32 v10, v10, 4, v11
	ds_add_u32 v10, v98
	s_or_b32 exec_lo, exec_lo, s8
	s_mov_b32 s8, exec_lo
	v_cmpx_lt_u32_e64 v60, v0
	s_cbranch_execnz .LBB1051_353
.LBB1051_368:                           ;   in Loop: Header=BB1051_318 Depth=2
	s_or_b32 exec_lo, exec_lo, s8
	s_delay_alu instid0(SALU_CYCLE_1)
	s_mov_b32 s8, exec_lo
	v_cmpx_lt_u32_e64 v61, v0
	s_cbranch_execz .LBB1051_354
.LBB1051_369:                           ;   in Loop: Header=BB1051_318 Depth=2
	s_waitcnt vmcnt(6)
	v_lshrrev_b32_e32 v10, 16, v7
	s_waitcnt vmcnt(5)
	v_lshlrev_b32_e32 v11, 2, v51
	s_delay_alu instid0(VALU_DEP_2) | instskip(NEXT) | instid1(VALU_DEP_1)
	v_xor_b32_e32 v10, 0xffff8000, v10
	v_and_b32_e32 v10, 0xffff, v10
	s_delay_alu instid0(VALU_DEP_1) | instskip(NEXT) | instid1(VALU_DEP_1)
	v_lshrrev_b32_e32 v10, s42, v10
	v_and_b32_e32 v10, s43, v10
	s_delay_alu instid0(VALU_DEP_1) | instskip(SKIP_2) | instid1(SALU_CYCLE_1)
	v_lshl_or_b32 v10, v10, 4, v11
	ds_add_u32 v10, v98
	s_or_b32 exec_lo, exec_lo, s8
	s_mov_b32 s8, exec_lo
	v_cmpx_lt_u32_e64 v62, v0
	s_cbranch_execnz .LBB1051_355
.LBB1051_370:                           ;   in Loop: Header=BB1051_318 Depth=2
	s_or_b32 exec_lo, exec_lo, s8
	s_delay_alu instid0(SALU_CYCLE_1)
	s_mov_b32 s8, exec_lo
	v_cmpx_lt_u32_e64 v63, v0
	s_cbranch_execz .LBB1051_356
.LBB1051_371:                           ;   in Loop: Header=BB1051_318 Depth=2
	s_waitcnt vmcnt(6)
	v_lshrrev_b32_e32 v10, 16, v8
	s_waitcnt vmcnt(5)
	v_lshlrev_b32_e32 v11, 2, v51
	s_delay_alu instid0(VALU_DEP_2) | instskip(NEXT) | instid1(VALU_DEP_1)
	v_xor_b32_e32 v10, 0xffff8000, v10
	v_and_b32_e32 v10, 0xffff, v10
	s_delay_alu instid0(VALU_DEP_1) | instskip(NEXT) | instid1(VALU_DEP_1)
	v_lshrrev_b32_e32 v10, s42, v10
	v_and_b32_e32 v10, s43, v10
	s_delay_alu instid0(VALU_DEP_1) | instskip(SKIP_2) | instid1(SALU_CYCLE_1)
	v_lshl_or_b32 v10, v10, 4, v11
	ds_add_u32 v10, v98
	s_or_b32 exec_lo, exec_lo, s8
	s_mov_b32 s8, exec_lo
	v_cmpx_lt_u32_e64 v64, v0
	s_cbranch_execnz .LBB1051_357
.LBB1051_372:                           ;   in Loop: Header=BB1051_318 Depth=2
	s_or_b32 exec_lo, exec_lo, s8
	s_delay_alu instid0(SALU_CYCLE_1)
	s_mov_b32 s8, exec_lo
	v_cmpx_lt_u32_e64 v66, v0
	s_cbranch_execz .LBB1051_317
.LBB1051_373:                           ;   in Loop: Header=BB1051_318 Depth=2
	v_lshrrev_b32_e32 v0, 16, v9
	s_waitcnt vmcnt(6)
	v_lshlrev_b32_e32 v10, 2, v51
	s_delay_alu instid0(VALU_DEP_2) | instskip(NEXT) | instid1(VALU_DEP_1)
	v_xor_b32_e32 v0, 0xffff8000, v0
	v_and_b32_e32 v0, 0xffff, v0
	s_delay_alu instid0(VALU_DEP_1) | instskip(NEXT) | instid1(VALU_DEP_1)
	v_lshrrev_b32_e32 v0, s42, v0
	v_and_b32_e32 v0, s43, v0
	s_delay_alu instid0(VALU_DEP_1)
	v_lshl_or_b32 v0, v0, 4, v10
	ds_add_u32 v0, v98
	s_branch .LBB1051_317
.LBB1051_374:                           ;   in Loop: Header=BB1051_318 Depth=2
	s_or_b32 exec_lo, exec_lo, s11
	s_delay_alu instid0(SALU_CYCLE_1)
	s_mov_b32 s11, exec_lo
	v_cmpx_gt_u32_e64 s1, v48
	s_cbranch_execz .LBB1051_324
.LBB1051_375:                           ;   in Loop: Header=BB1051_318 Depth=2
	global_load_d16_hi_b16 v2, v99, s[8:9] offset:512
	s_or_b32 exec_lo, exec_lo, s11
	s_delay_alu instid0(SALU_CYCLE_1)
	s_mov_b32 s11, exec_lo
	v_cmpx_gt_u32_e64 s1, v49
	s_cbranch_execnz .LBB1051_325
.LBB1051_376:                           ;   in Loop: Header=BB1051_318 Depth=2
	s_or_b32 exec_lo, exec_lo, s11
	s_delay_alu instid0(SALU_CYCLE_1)
	s_mov_b32 s11, exec_lo
	v_cmpx_gt_u32_e64 s1, v50
	s_cbranch_execz .LBB1051_326
.LBB1051_377:                           ;   in Loop: Header=BB1051_318 Depth=2
	global_load_d16_hi_b16 v3, v99, s[8:9] offset:1536
	s_or_b32 exec_lo, exec_lo, s11
	s_delay_alu instid0(SALU_CYCLE_1)
	s_mov_b32 s11, exec_lo
	v_cmpx_gt_u32_e64 s1, v54
	s_cbranch_execnz .LBB1051_327
.LBB1051_378:                           ;   in Loop: Header=BB1051_318 Depth=2
	s_or_b32 exec_lo, exec_lo, s11
	s_delay_alu instid0(SALU_CYCLE_1)
	s_mov_b32 s11, exec_lo
	v_cmpx_gt_u32_e64 s1, v55
	s_cbranch_execz .LBB1051_328
.LBB1051_379:                           ;   in Loop: Header=BB1051_318 Depth=2
	global_load_d16_hi_b16 v4, v99, s[8:9] offset:2560
	s_or_b32 exec_lo, exec_lo, s11
	s_delay_alu instid0(SALU_CYCLE_1)
	s_mov_b32 s11, exec_lo
	v_cmpx_gt_u32_e64 s1, v56
	s_cbranch_execnz .LBB1051_329
.LBB1051_380:                           ;   in Loop: Header=BB1051_318 Depth=2
	s_or_b32 exec_lo, exec_lo, s11
	s_delay_alu instid0(SALU_CYCLE_1)
	s_mov_b32 s11, exec_lo
	v_cmpx_gt_u32_e64 s1, v57
	s_cbranch_execz .LBB1051_330
.LBB1051_381:                           ;   in Loop: Header=BB1051_318 Depth=2
	global_load_d16_hi_b16 v5, v99, s[8:9] offset:3584
	s_or_b32 exec_lo, exec_lo, s11
	s_delay_alu instid0(SALU_CYCLE_1)
	s_mov_b32 s11, exec_lo
	v_cmpx_gt_u32_e64 s1, v58
	s_cbranch_execnz .LBB1051_331
.LBB1051_382:                           ;   in Loop: Header=BB1051_318 Depth=2
	s_or_b32 exec_lo, exec_lo, s11
	s_delay_alu instid0(SALU_CYCLE_1)
	s_mov_b32 s11, exec_lo
	v_cmpx_gt_u32_e64 s1, v59
	s_cbranch_execz .LBB1051_332
.LBB1051_383:                           ;   in Loop: Header=BB1051_318 Depth=2
	v_lshlrev_b32_e32 v0, 1, v59
	global_load_d16_hi_b16 v6, v0, s[8:9]
	s_or_b32 exec_lo, exec_lo, s11
	s_delay_alu instid0(SALU_CYCLE_1)
	s_mov_b32 s11, exec_lo
	v_cmpx_gt_u32_e64 s1, v60
	s_cbranch_execnz .LBB1051_333
.LBB1051_384:                           ;   in Loop: Header=BB1051_318 Depth=2
	s_or_b32 exec_lo, exec_lo, s11
	s_delay_alu instid0(SALU_CYCLE_1)
	s_mov_b32 s11, exec_lo
	v_cmpx_gt_u32_e64 s1, v61
	s_cbranch_execz .LBB1051_334
.LBB1051_385:                           ;   in Loop: Header=BB1051_318 Depth=2
	v_lshlrev_b32_e32 v0, 1, v61
	global_load_d16_hi_b16 v7, v0, s[8:9]
	s_or_b32 exec_lo, exec_lo, s11
	s_delay_alu instid0(SALU_CYCLE_1)
	s_mov_b32 s11, exec_lo
	v_cmpx_gt_u32_e64 s1, v62
	s_cbranch_execnz .LBB1051_335
.LBB1051_386:                           ;   in Loop: Header=BB1051_318 Depth=2
	s_or_b32 exec_lo, exec_lo, s11
	s_delay_alu instid0(SALU_CYCLE_1)
	s_mov_b32 s11, exec_lo
	v_cmpx_gt_u32_e64 s1, v63
	s_cbranch_execz .LBB1051_336
.LBB1051_387:                           ;   in Loop: Header=BB1051_318 Depth=2
	v_lshlrev_b32_e32 v0, 1, v63
	global_load_d16_hi_b16 v8, v0, s[8:9]
	s_or_b32 exec_lo, exec_lo, s11
	s_delay_alu instid0(SALU_CYCLE_1)
	s_mov_b32 s11, exec_lo
	v_cmpx_gt_u32_e64 s1, v64
	s_cbranch_execz .LBB1051_338
	s_branch .LBB1051_337
.LBB1051_388:                           ;   in Loop: Header=BB1051_20 Depth=1
	v_mov_b32_e32 v0, 0
	s_waitcnt vmcnt(0) lgkmcnt(0)
	s_barrier
	buffer_gl0_inv
	s_and_saveexec_b32 s1, s2
	s_cbranch_execz .LBB1051_390
; %bb.389:                              ;   in Loop: Header=BB1051_20 Depth=1
	ds_load_2addr_b64 v[2:5], v67 offset1:1
	s_waitcnt lgkmcnt(0)
	v_add_nc_u32_e32 v0, v3, v2
	s_delay_alu instid0(VALU_DEP_1)
	v_add3_u32 v0, v0, v4, v5
.LBB1051_390:                           ;   in Loop: Header=BB1051_20 Depth=1
	s_or_b32 exec_lo, exec_lo, s1
	v_and_b32_e32 v2, 15, v100
	s_delay_alu instid0(VALU_DEP_2) | instskip(SKIP_1) | instid1(VALU_DEP_3)
	v_mov_b32_dpp v3, v0 row_shr:1 row_mask:0xf bank_mask:0xf
	v_and_b32_e32 v4, 16, v100
	v_cmp_eq_u32_e64 s1, 0, v2
	v_cmp_lt_u32_e64 s7, 1, v2
	v_cmp_lt_u32_e64 s8, 3, v2
	v_cmp_lt_u32_e64 s9, 7, v2
	v_cmp_eq_u32_e64 s10, 0, v4
	v_cndmask_b32_e64 v3, v3, 0, s1
	s_delay_alu instid0(VALU_DEP_1) | instskip(NEXT) | instid1(VALU_DEP_1)
	v_add_nc_u32_e32 v0, v3, v0
	v_mov_b32_dpp v3, v0 row_shr:2 row_mask:0xf bank_mask:0xf
	s_delay_alu instid0(VALU_DEP_1) | instskip(NEXT) | instid1(VALU_DEP_1)
	v_cndmask_b32_e64 v3, 0, v3, s7
	v_add_nc_u32_e32 v0, v0, v3
	s_delay_alu instid0(VALU_DEP_1) | instskip(NEXT) | instid1(VALU_DEP_1)
	v_mov_b32_dpp v3, v0 row_shr:4 row_mask:0xf bank_mask:0xf
	v_cndmask_b32_e64 v3, 0, v3, s8
	s_delay_alu instid0(VALU_DEP_1) | instskip(NEXT) | instid1(VALU_DEP_1)
	v_add_nc_u32_e32 v0, v0, v3
	v_mov_b32_dpp v3, v0 row_shr:8 row_mask:0xf bank_mask:0xf
	s_delay_alu instid0(VALU_DEP_1) | instskip(SKIP_1) | instid1(VALU_DEP_2)
	v_cndmask_b32_e64 v2, 0, v3, s9
	v_bfe_i32 v3, v100, 4, 1
	v_add_nc_u32_e32 v0, v0, v2
	ds_swizzle_b32 v2, v0 offset:swizzle(BROADCAST,32,15)
	s_waitcnt lgkmcnt(0)
	v_and_b32_e32 v2, v3, v2
	s_delay_alu instid0(VALU_DEP_1)
	v_add_nc_u32_e32 v2, v0, v2
	s_and_saveexec_b32 s11, s3
	s_cbranch_execz .LBB1051_392
; %bb.391:                              ;   in Loop: Header=BB1051_20 Depth=1
	ds_store_b32 v68, v2
.LBB1051_392:                           ;   in Loop: Header=BB1051_20 Depth=1
	s_or_b32 exec_lo, exec_lo, s11
	v_and_b32_e32 v0, 7, v100
	s_waitcnt lgkmcnt(0)
	s_barrier
	buffer_gl0_inv
	s_and_saveexec_b32 s11, s4
	s_cbranch_execz .LBB1051_394
; %bb.393:                              ;   in Loop: Header=BB1051_20 Depth=1
	ds_load_b32 v3, v69
	v_cmp_ne_u32_e32 vcc_lo, 0, v0
	s_waitcnt lgkmcnt(0)
	v_mov_b32_dpp v4, v3 row_shr:1 row_mask:0xf bank_mask:0xf
	s_delay_alu instid0(VALU_DEP_1) | instskip(SKIP_1) | instid1(VALU_DEP_2)
	v_cndmask_b32_e32 v4, 0, v4, vcc_lo
	v_cmp_lt_u32_e32 vcc_lo, 1, v0
	v_add_nc_u32_e32 v3, v4, v3
	s_delay_alu instid0(VALU_DEP_1) | instskip(NEXT) | instid1(VALU_DEP_1)
	v_mov_b32_dpp v4, v3 row_shr:2 row_mask:0xf bank_mask:0xf
	v_cndmask_b32_e32 v4, 0, v4, vcc_lo
	v_cmp_lt_u32_e32 vcc_lo, 3, v0
	s_delay_alu instid0(VALU_DEP_2) | instskip(NEXT) | instid1(VALU_DEP_1)
	v_add_nc_u32_e32 v3, v3, v4
	v_mov_b32_dpp v4, v3 row_shr:4 row_mask:0xf bank_mask:0xf
	s_delay_alu instid0(VALU_DEP_1) | instskip(NEXT) | instid1(VALU_DEP_1)
	v_cndmask_b32_e32 v4, 0, v4, vcc_lo
	v_add_nc_u32_e32 v3, v3, v4
	ds_store_b32 v69, v3
.LBB1051_394:                           ;   in Loop: Header=BB1051_20 Depth=1
	s_or_b32 exec_lo, exec_lo, s11
	v_mov_b32_e32 v3, 0
	s_waitcnt lgkmcnt(0)
	s_barrier
	buffer_gl0_inv
	s_and_saveexec_b32 s11, s5
	s_cbranch_execz .LBB1051_396
; %bb.395:                              ;   in Loop: Header=BB1051_20 Depth=1
	ds_load_b32 v3, v70
.LBB1051_396:                           ;   in Loop: Header=BB1051_20 Depth=1
	s_or_b32 exec_lo, exec_lo, s11
	v_add_nc_u32_e32 v4, -1, v100
	s_waitcnt lgkmcnt(0)
	v_add_nc_u32_e32 v2, v3, v2
	v_cmp_eq_u32_e64 s11, 0, v100
	s_barrier
	v_cmp_gt_i32_e32 vcc_lo, 0, v4
	buffer_gl0_inv
	v_cndmask_b32_e32 v4, v4, v100, vcc_lo
	s_delay_alu instid0(VALU_DEP_1)
	v_lshlrev_b32_e32 v101, 2, v4
	ds_bpermute_b32 v2, v101, v2
	s_and_saveexec_b32 s12, s2
	s_cbranch_execz .LBB1051_398
; %bb.397:                              ;   in Loop: Header=BB1051_20 Depth=1
	s_waitcnt lgkmcnt(0)
	v_cndmask_b32_e64 v2, v2, v3, s11
	s_delay_alu instid0(VALU_DEP_1)
	v_add_nc_u32_e32 v2, s62, v2
	ds_store_b32 v47, v2
.LBB1051_398:                           ;   in Loop: Header=BB1051_20 Depth=1
	s_or_b32 exec_lo, exec_lo, s12
	s_load_b64 s[12:13], s[60:61], 0x0
	v_lshlrev_b32_e32 v3, 3, v100
	v_or_b32_e32 v102, v100, v71
	s_mov_b32 s56, s64
	s_mov_b32 s34, s62
                                        ; implicit-def: $vgpr10_vgpr11
                                        ; implicit-def: $vgpr12_vgpr13
                                        ; implicit-def: $vgpr14_vgpr15
                                        ; implicit-def: $vgpr16_vgpr17
                                        ; implicit-def: $vgpr21_vgpr22
                                        ; implicit-def: $vgpr23_vgpr24
                                        ; implicit-def: $vgpr25_vgpr26
                                        ; implicit-def: $vgpr27_vgpr28
                                        ; implicit-def: $vgpr29_vgpr30
                                        ; implicit-def: $vgpr31_vgpr32
                                        ; implicit-def: $vgpr33_vgpr34
                                        ; implicit-def: $vgpr35_vgpr36
                                        ; implicit-def: $vgpr37_vgpr38
                                        ; implicit-def: $vgpr39_vgpr40
                                        ; implicit-def: $vgpr41_vgpr42
                                        ; implicit-def: $vgpr43_vgpr44
                                        ; implicit-def: $vgpr125
                                        ; implicit-def: $vgpr126
                                        ; implicit-def: $vgpr127
                                        ; implicit-def: $vgpr128
                                        ; implicit-def: $vgpr129
                                        ; implicit-def: $vgpr130
                                        ; implicit-def: $vgpr131
                                        ; implicit-def: $vgpr132
                                        ; implicit-def: $vgpr133
                                        ; implicit-def: $vgpr134
                                        ; implicit-def: $vgpr135
                                        ; implicit-def: $vgpr136
                                        ; implicit-def: $vgpr137
                                        ; implicit-def: $vgpr138
                                        ; implicit-def: $vgpr139
                                        ; implicit-def: $vgpr140
                                        ; implicit-def: $vgpr9
	s_delay_alu instid0(VALU_DEP_2)
	v_add_co_u32 v103, vcc_lo, v88, v3
	v_add_co_ci_u32_e32 v104, vcc_lo, 0, v89, vcc_lo
	v_or_b32_e32 v105, 32, v102
	v_or_b32_e32 v106, 64, v102
	;; [unrolled: 1-line block ×10, first 2 shown]
	s_waitcnt lgkmcnt(0)
	s_cmp_lt_u32 s15, s13
	v_or_b32_e32 v115, 0x160, v102
	s_cselect_b32 s13, 14, 20
	v_or_b32_e32 v116, 0x180, v102
	s_add_u32 s16, s60, s13
	s_addc_u32 s17, s61, 0
	s_cmp_lt_u32 s14, s12
	global_load_u16 v2, v20, s[16:17]
	s_cselect_b32 s12, 12, 18
	v_or_b32_e32 v117, 0x1a0, v102
	s_add_u32 s12, s60, s12
	s_addc_u32 s13, s61, 0
	v_or_b32_e32 v118, 0x1c0, v102
	global_load_u16 v4, v20, s[12:13]
	v_cmp_eq_u32_e64 s12, 0, v0
	v_cmp_lt_u32_e64 s13, 1, v0
	v_cmp_lt_u32_e64 s16, 3, v0
	v_lshlrev_b32_e32 v0, 1, v100
	v_or_b32_e32 v119, 0x1e0, v102
	s_delay_alu instid0(VALU_DEP_2) | instskip(SKIP_1) | instid1(VALU_DEP_2)
	v_add_co_u32 v120, vcc_lo, v90, v0
	v_add_co_ci_u32_e32 v121, vcc_lo, 0, v91, vcc_lo
	v_add_co_u32 v123, vcc_lo, 0x3c0, v120
	s_delay_alu instid0(VALU_DEP_2) | instskip(SKIP_3) | instid1(VALU_DEP_1)
	v_add_co_ci_u32_e32 v124, vcc_lo, 0, v121, vcc_lo
	s_waitcnt vmcnt(1)
	v_mad_u32_u24 v5, v72, v2, v74
	s_waitcnt vmcnt(0)
	v_mad_u64_u32 v[2:3], null, v5, v4, v[18:19]
	s_delay_alu instid0(VALU_DEP_1)
	v_lshrrev_b32_e32 v122, 5, v2
	s_branch .LBB1051_400
.LBB1051_399:                           ;   in Loop: Header=BB1051_400 Depth=2
	s_or_b32 exec_lo, exec_lo, s17
	s_addk_i32 s56, 0xf000
	s_cmp_lt_u32 s65, s63
	s_mov_b32 s34, s65
	s_cbranch_scc0 .LBB1051_608
.LBB1051_400:                           ;   Parent Loop BB1051_20 Depth=1
                                        ; =>  This Inner Loop Header: Depth=2
	s_add_i32 s65, s34, 0x1000
	s_delay_alu instid0(SALU_CYCLE_1)
	s_cmp_gt_u32 s65, s63
	s_cbranch_scc1 .LBB1051_402
; %bb.401:                              ;   in Loop: Header=BB1051_400 Depth=2
	s_mov_b32 s19, 0
	s_mov_b32 s18, s34
	s_movk_i32 s17, 0x1000
	s_lshl_b64 s[20:21], s[18:19], 1
	s_delay_alu instid0(SALU_CYCLE_1)
	v_add_co_u32 v45, vcc_lo, v120, s20
	v_add_co_ci_u32_e32 v46, vcc_lo, s21, v121, vcc_lo
	s_mov_b32 s20, -1
	s_clause 0xe
	global_load_u16 v2, v[45:46], off
	global_load_u16 v3, v[45:46], off offset:128
	global_load_u16 v4, v[45:46], off offset:256
	;; [unrolled: 1-line block ×6, first 2 shown]
	global_load_d16_b16 v9, v[45:46], off offset:896
	global_load_d16_hi_b16 v2, v[45:46], off offset:64
	global_load_d16_hi_b16 v3, v[45:46], off offset:192
	;; [unrolled: 1-line block ×7, first 2 shown]
	s_cbranch_execz .LBB1051_403
	s_branch .LBB1051_420
.LBB1051_402:                           ;   in Loop: Header=BB1051_400 Depth=2
	s_mov_b32 s19, -1
	s_mov_b32 s20, 0
                                        ; implicit-def: $sgpr17
                                        ; implicit-def: $vgpr2_vgpr3_vgpr4_vgpr5_vgpr6_vgpr7_vgpr8_vgpr9
.LBB1051_403:                           ;   in Loop: Header=BB1051_400 Depth=2
	s_lshl_b64 s[18:19], s[34:35], 1
	s_mov_b32 s45, s44
	v_add_co_u32 v45, vcc_lo, v120, s18
	s_mov_b32 s46, s44
	s_mov_b32 s47, s44
	;; [unrolled: 1-line block ×6, first 2 shown]
	s_waitcnt vmcnt(0)
	v_dual_mov_b32 v2, s44 :: v_dual_mov_b32 v3, s45
	v_add_co_ci_u32_e32 v46, vcc_lo, s19, v121, vcc_lo
	v_dual_mov_b32 v4, s46 :: v_dual_mov_b32 v5, s47
	v_dual_mov_b32 v6, s48 :: v_dual_mov_b32 v7, s49
	;; [unrolled: 1-line block ×3, first 2 shown]
	s_mov_b32 s17, exec_lo
	v_cmpx_gt_u32_e64 s56, v102
	s_cbranch_execz .LBB1051_594
; %bb.404:                              ;   in Loop: Header=BB1051_400 Depth=2
	v_dual_mov_b32 v0, 0x7fff0000 :: v_dual_mov_b32 v3, v1
	v_mov_b32_e32 v7, v1
	v_mov_b32_e32 v2, v1
	;; [unrolled: 1-line block ×3, first 2 shown]
	global_load_d16_b16 v0, v[45:46], off
	v_mov_b32_e32 v5, v1
	v_mov_b32_e32 v6, v1
	s_waitcnt vmcnt(0)
	v_mov_b32_e32 v9, v7
	s_delay_alu instid0(VALU_DEP_2)
	v_dual_mov_b32 v8, v6 :: v_dual_mov_b32 v7, v5
	v_mov_b32_e32 v6, v4
	v_mov_b32_e32 v5, v3
	;; [unrolled: 1-line block ×5, first 2 shown]
	s_or_b32 exec_lo, exec_lo, s17
	s_delay_alu instid0(SALU_CYCLE_1)
	s_mov_b32 s17, exec_lo
	v_cmpx_gt_u32_e64 s56, v105
	s_cbranch_execnz .LBB1051_595
.LBB1051_405:                           ;   in Loop: Header=BB1051_400 Depth=2
	s_or_b32 exec_lo, exec_lo, s17
	s_delay_alu instid0(SALU_CYCLE_1)
	s_mov_b32 s17, exec_lo
	v_cmpx_gt_u32_e64 s56, v106
	s_cbranch_execz .LBB1051_596
.LBB1051_406:                           ;   in Loop: Header=BB1051_400 Depth=2
	global_load_d16_b16 v3, v[45:46], off offset:128
	s_or_b32 exec_lo, exec_lo, s17
	s_delay_alu instid0(SALU_CYCLE_1)
	s_mov_b32 s17, exec_lo
	v_cmpx_gt_u32_e64 s56, v107
	s_cbranch_execnz .LBB1051_597
.LBB1051_407:                           ;   in Loop: Header=BB1051_400 Depth=2
	s_or_b32 exec_lo, exec_lo, s17
	s_delay_alu instid0(SALU_CYCLE_1)
	s_mov_b32 s17, exec_lo
	v_cmpx_gt_u32_e64 s56, v108
	s_cbranch_execz .LBB1051_598
.LBB1051_408:                           ;   in Loop: Header=BB1051_400 Depth=2
	global_load_d16_b16 v4, v[45:46], off offset:256
	s_or_b32 exec_lo, exec_lo, s17
	s_delay_alu instid0(SALU_CYCLE_1)
	s_mov_b32 s17, exec_lo
	v_cmpx_gt_u32_e64 s56, v109
	s_cbranch_execnz .LBB1051_599
.LBB1051_409:                           ;   in Loop: Header=BB1051_400 Depth=2
	s_or_b32 exec_lo, exec_lo, s17
	s_delay_alu instid0(SALU_CYCLE_1)
	s_mov_b32 s17, exec_lo
	v_cmpx_gt_u32_e64 s56, v110
	s_cbranch_execz .LBB1051_600
.LBB1051_410:                           ;   in Loop: Header=BB1051_400 Depth=2
	global_load_d16_b16 v5, v[45:46], off offset:384
	s_or_b32 exec_lo, exec_lo, s17
	s_delay_alu instid0(SALU_CYCLE_1)
	s_mov_b32 s17, exec_lo
	v_cmpx_gt_u32_e64 s56, v111
	s_cbranch_execnz .LBB1051_601
.LBB1051_411:                           ;   in Loop: Header=BB1051_400 Depth=2
	s_or_b32 exec_lo, exec_lo, s17
	s_delay_alu instid0(SALU_CYCLE_1)
	s_mov_b32 s17, exec_lo
	v_cmpx_gt_u32_e64 s56, v112
	s_cbranch_execz .LBB1051_602
.LBB1051_412:                           ;   in Loop: Header=BB1051_400 Depth=2
	global_load_d16_b16 v6, v[45:46], off offset:512
	s_or_b32 exec_lo, exec_lo, s17
	s_delay_alu instid0(SALU_CYCLE_1)
	s_mov_b32 s17, exec_lo
	v_cmpx_gt_u32_e64 s56, v113
	s_cbranch_execnz .LBB1051_603
.LBB1051_413:                           ;   in Loop: Header=BB1051_400 Depth=2
	s_or_b32 exec_lo, exec_lo, s17
	s_delay_alu instid0(SALU_CYCLE_1)
	s_mov_b32 s17, exec_lo
	v_cmpx_gt_u32_e64 s56, v114
	s_cbranch_execz .LBB1051_604
.LBB1051_414:                           ;   in Loop: Header=BB1051_400 Depth=2
	global_load_d16_b16 v7, v[45:46], off offset:640
	s_or_b32 exec_lo, exec_lo, s17
	s_delay_alu instid0(SALU_CYCLE_1)
	s_mov_b32 s17, exec_lo
	v_cmpx_gt_u32_e64 s56, v115
	s_cbranch_execnz .LBB1051_605
.LBB1051_415:                           ;   in Loop: Header=BB1051_400 Depth=2
	s_or_b32 exec_lo, exec_lo, s17
	s_delay_alu instid0(SALU_CYCLE_1)
	s_mov_b32 s17, exec_lo
	v_cmpx_gt_u32_e64 s56, v116
	s_cbranch_execz .LBB1051_606
.LBB1051_416:                           ;   in Loop: Header=BB1051_400 Depth=2
	global_load_d16_b16 v8, v[45:46], off offset:768
	s_or_b32 exec_lo, exec_lo, s17
	s_delay_alu instid0(SALU_CYCLE_1)
	s_mov_b32 s17, exec_lo
	v_cmpx_gt_u32_e64 s56, v117
	s_cbranch_execnz .LBB1051_607
.LBB1051_417:                           ;   in Loop: Header=BB1051_400 Depth=2
	s_or_b32 exec_lo, exec_lo, s17
	s_delay_alu instid0(SALU_CYCLE_1)
	s_mov_b32 s17, exec_lo
	v_cmpx_gt_u32_e64 s56, v118
	s_cbranch_execz .LBB1051_419
.LBB1051_418:                           ;   in Loop: Header=BB1051_400 Depth=2
	global_load_d16_b16 v9, v[45:46], off offset:896
.LBB1051_419:                           ;   in Loop: Header=BB1051_400 Depth=2
	s_or_b32 exec_lo, exec_lo, s17
	v_cmp_gt_u32_e64 s20, s56, v119
	s_sub_i32 s17, s63, s34
	s_mov_b64 s[18:19], s[34:35]
.LBB1051_420:                           ;   in Loop: Header=BB1051_400 Depth=2
	v_mov_b32_e32 v0, s56
	s_delay_alu instid0(VALU_DEP_2)
	s_and_saveexec_b32 s21, s20
	s_cbranch_execz .LBB1051_422
; %bb.421:                              ;   in Loop: Header=BB1051_400 Depth=2
	s_lshl_b64 s[18:19], s[18:19], 1
	v_mov_b32_e32 v0, s17
	v_add_co_u32 v45, vcc_lo, v123, s18
	v_add_co_ci_u32_e32 v46, vcc_lo, s19, v124, vcc_lo
	global_load_d16_hi_b16 v9, v[45:46], off
.LBB1051_422:                           ;   in Loop: Header=BB1051_400 Depth=2
	s_or_b32 exec_lo, exec_lo, s21
	s_waitcnt vmcnt(0)
	v_xor_b32_e32 v19, 0x80008000, v2
	ds_store_b32 v73, v20 offset:1056
	ds_store_2addr_b32 v75, v20, v20 offset0:1 offset1:2
	ds_store_2addr_b32 v75, v20, v20 offset0:3 offset1:4
	;; [unrolled: 1-line block ×4, first 2 shown]
	s_waitcnt lgkmcnt(0)
	s_barrier
	v_and_b32_e32 v2, 0xffff, v19
	buffer_gl0_inv
	; wave barrier
	v_lshrrev_b32_e32 v2, s42, v2
	s_delay_alu instid0(VALU_DEP_1) | instskip(NEXT) | instid1(VALU_DEP_1)
	v_and_b32_e32 v45, s43, v2
	v_and_b32_e32 v2, 1, v45
	v_lshlrev_b32_e32 v46, 30, v45
	v_lshlrev_b32_e32 v141, 29, v45
	v_lshlrev_b32_e32 v142, 28, v45
	v_lshlrev_b32_e32 v144, 27, v45
	v_add_co_u32 v2, s17, v2, -1
	s_delay_alu instid0(VALU_DEP_1)
	v_cndmask_b32_e64 v143, 0, 1, s17
	v_not_b32_e32 v147, v46
	v_cmp_gt_i32_e64 s17, 0, v46
	v_not_b32_e32 v46, v141
	v_lshlrev_b32_e32 v145, 26, v45
	v_cmp_ne_u32_e32 vcc_lo, 0, v143
	v_ashrrev_i32_e32 v147, 31, v147
	v_lshlrev_b32_e32 v146, 25, v45
	v_ashrrev_i32_e32 v46, 31, v46
	v_lshlrev_b32_e32 v143, 24, v45
	v_xor_b32_e32 v2, vcc_lo, v2
	v_cmp_gt_i32_e32 vcc_lo, 0, v141
	v_not_b32_e32 v141, v142
	v_xor_b32_e32 v147, s17, v147
	v_cmp_gt_i32_e64 s17, 0, v142
	v_and_b32_e32 v2, exec_lo, v2
	v_not_b32_e32 v142, v144
	v_ashrrev_i32_e32 v141, 31, v141
	v_xor_b32_e32 v46, vcc_lo, v46
	v_cmp_gt_i32_e32 vcc_lo, 0, v144
	v_and_b32_e32 v2, v2, v147
	v_not_b32_e32 v144, v145
	v_ashrrev_i32_e32 v142, 31, v142
	v_xor_b32_e32 v141, s17, v141
	v_cmp_gt_i32_e64 s17, 0, v145
	v_and_b32_e32 v2, v2, v46
	v_not_b32_e32 v46, v146
	v_ashrrev_i32_e32 v144, 31, v144
	v_xor_b32_e32 v142, vcc_lo, v142
	v_cmp_gt_i32_e32 vcc_lo, 0, v146
	v_and_b32_e32 v2, v2, v141
	v_not_b32_e32 v141, v143
	v_ashrrev_i32_e32 v46, 31, v46
	v_xor_b32_e32 v144, s17, v144
	v_cmp_gt_i32_e64 s17, 0, v143
	v_and_b32_e32 v2, v2, v142
	v_ashrrev_i32_e32 v141, 31, v141
	v_xor_b32_e32 v46, vcc_lo, v46
	v_mad_u32_u24 v45, v45, 9, v122
	s_delay_alu instid0(VALU_DEP_4) | instskip(NEXT) | instid1(VALU_DEP_4)
	v_and_b32_e32 v2, v2, v144
	v_xor_b32_e32 v141, s17, v141
	s_delay_alu instid0(VALU_DEP_3) | instskip(NEXT) | instid1(VALU_DEP_3)
	v_lshl_add_u32 v143, v45, 2, 0x420
	v_and_b32_e32 v2, v2, v46
	s_delay_alu instid0(VALU_DEP_1) | instskip(NEXT) | instid1(VALU_DEP_1)
	v_and_b32_e32 v2, v2, v141
	v_mbcnt_lo_u32_b32 v141, v2, 0
	v_cmp_ne_u32_e64 s17, 0, v2
	s_delay_alu instid0(VALU_DEP_2) | instskip(NEXT) | instid1(VALU_DEP_2)
	v_cmp_eq_u32_e32 vcc_lo, 0, v141
	s_and_b32 s18, s17, vcc_lo
	s_delay_alu instid0(SALU_CYCLE_1)
	s_and_saveexec_b32 s17, s18
	s_cbranch_execz .LBB1051_424
; %bb.423:                              ;   in Loop: Header=BB1051_400 Depth=2
	v_bcnt_u32_b32 v2, v2, 0
	ds_store_b32 v143, v2
.LBB1051_424:                           ;   in Loop: Header=BB1051_400 Depth=2
	s_or_b32 exec_lo, exec_lo, s17
	v_lshrrev_b32_e32 v142, 16, v19
	; wave barrier
	s_delay_alu instid0(VALU_DEP_1) | instskip(NEXT) | instid1(VALU_DEP_1)
	v_lshrrev_b32_e32 v2, s42, v142
	v_and_b32_e32 v2, s43, v2
	s_delay_alu instid0(VALU_DEP_1)
	v_and_b32_e32 v45, 1, v2
	v_lshlrev_b32_e32 v46, 30, v2
	v_lshlrev_b32_e32 v144, 29, v2
	;; [unrolled: 1-line block ×4, first 2 shown]
	v_add_co_u32 v45, s17, v45, -1
	s_delay_alu instid0(VALU_DEP_1)
	v_cndmask_b32_e64 v146, 0, 1, s17
	v_not_b32_e32 v150, v46
	v_cmp_gt_i32_e64 s17, 0, v46
	v_not_b32_e32 v46, v144
	v_lshlrev_b32_e32 v148, 26, v2
	v_cmp_ne_u32_e32 vcc_lo, 0, v146
	v_ashrrev_i32_e32 v150, 31, v150
	v_lshlrev_b32_e32 v149, 25, v2
	v_ashrrev_i32_e32 v46, 31, v46
	v_lshlrev_b32_e32 v146, 24, v2
	v_xor_b32_e32 v45, vcc_lo, v45
	v_cmp_gt_i32_e32 vcc_lo, 0, v144
	v_not_b32_e32 v144, v145
	v_xor_b32_e32 v150, s17, v150
	v_cmp_gt_i32_e64 s17, 0, v145
	v_and_b32_e32 v45, exec_lo, v45
	v_not_b32_e32 v145, v147
	v_ashrrev_i32_e32 v144, 31, v144
	v_xor_b32_e32 v46, vcc_lo, v46
	v_cmp_gt_i32_e32 vcc_lo, 0, v147
	v_and_b32_e32 v45, v45, v150
	v_not_b32_e32 v147, v148
	v_ashrrev_i32_e32 v145, 31, v145
	v_xor_b32_e32 v144, s17, v144
	v_cmp_gt_i32_e64 s17, 0, v148
	v_and_b32_e32 v45, v45, v46
	v_not_b32_e32 v46, v149
	v_ashrrev_i32_e32 v147, 31, v147
	v_xor_b32_e32 v145, vcc_lo, v145
	v_cmp_gt_i32_e32 vcc_lo, 0, v149
	v_and_b32_e32 v45, v45, v144
	v_not_b32_e32 v144, v146
	v_ashrrev_i32_e32 v46, 31, v46
	v_xor_b32_e32 v147, s17, v147
	v_mul_u32_u24_e32 v2, 9, v2
	v_and_b32_e32 v45, v45, v145
	v_cmp_gt_i32_e64 s17, 0, v146
	v_ashrrev_i32_e32 v144, 31, v144
	v_xor_b32_e32 v46, vcc_lo, v46
	s_delay_alu instid0(VALU_DEP_4) | instskip(SKIP_1) | instid1(VALU_DEP_4)
	v_and_b32_e32 v45, v45, v147
	v_add_lshl_u32 v147, v2, v122, 2
	v_xor_b32_e32 v2, s17, v144
	s_delay_alu instid0(VALU_DEP_3) | instskip(SKIP_3) | instid1(VALU_DEP_1)
	v_and_b32_e32 v45, v45, v46
	ds_load_b32 v145, v147 offset:1056
	v_add_nc_u32_e32 v147, 0x420, v147
	; wave barrier
	v_and_b32_e32 v2, v45, v2
	v_mbcnt_lo_u32_b32 v146, v2, 0
	v_cmp_ne_u32_e64 s17, 0, v2
	s_delay_alu instid0(VALU_DEP_2) | instskip(NEXT) | instid1(VALU_DEP_2)
	v_cmp_eq_u32_e32 vcc_lo, 0, v146
	s_and_b32 s18, s17, vcc_lo
	s_delay_alu instid0(SALU_CYCLE_1)
	s_and_saveexec_b32 s17, s18
	s_cbranch_execz .LBB1051_426
; %bb.425:                              ;   in Loop: Header=BB1051_400 Depth=2
	s_waitcnt lgkmcnt(0)
	v_bcnt_u32_b32 v2, v2, v145
	ds_store_b32 v147, v2
.LBB1051_426:                           ;   in Loop: Header=BB1051_400 Depth=2
	s_or_b32 exec_lo, exec_lo, s17
	v_xor_b32_e32 v144, 0x80008000, v3
	; wave barrier
	s_delay_alu instid0(VALU_DEP_1) | instskip(NEXT) | instid1(VALU_DEP_1)
	v_and_b32_e32 v2, 0xffff, v144
	v_lshrrev_b32_e32 v2, s42, v2
	s_delay_alu instid0(VALU_DEP_1) | instskip(NEXT) | instid1(VALU_DEP_1)
	v_and_b32_e32 v2, s43, v2
	v_and_b32_e32 v3, 1, v2
	v_lshlrev_b32_e32 v45, 30, v2
	v_lshlrev_b32_e32 v46, 29, v2
	;; [unrolled: 1-line block ×4, first 2 shown]
	v_add_co_u32 v3, s17, v3, -1
	s_delay_alu instid0(VALU_DEP_1)
	v_cndmask_b32_e64 v149, 0, 1, s17
	v_not_b32_e32 v153, v45
	v_cmp_gt_i32_e64 s17, 0, v45
	v_not_b32_e32 v45, v46
	v_lshlrev_b32_e32 v151, 26, v2
	v_cmp_ne_u32_e32 vcc_lo, 0, v149
	v_ashrrev_i32_e32 v153, 31, v153
	v_lshlrev_b32_e32 v152, 25, v2
	v_ashrrev_i32_e32 v45, 31, v45
	v_lshlrev_b32_e32 v149, 24, v2
	v_xor_b32_e32 v3, vcc_lo, v3
	v_cmp_gt_i32_e32 vcc_lo, 0, v46
	v_not_b32_e32 v46, v148
	v_xor_b32_e32 v153, s17, v153
	v_cmp_gt_i32_e64 s17, 0, v148
	v_and_b32_e32 v3, exec_lo, v3
	v_not_b32_e32 v148, v150
	v_ashrrev_i32_e32 v46, 31, v46
	v_xor_b32_e32 v45, vcc_lo, v45
	v_cmp_gt_i32_e32 vcc_lo, 0, v150
	v_and_b32_e32 v3, v3, v153
	v_not_b32_e32 v150, v151
	v_ashrrev_i32_e32 v148, 31, v148
	v_xor_b32_e32 v46, s17, v46
	v_cmp_gt_i32_e64 s17, 0, v151
	v_and_b32_e32 v3, v3, v45
	v_not_b32_e32 v45, v152
	v_ashrrev_i32_e32 v150, 31, v150
	v_xor_b32_e32 v148, vcc_lo, v148
	v_cmp_gt_i32_e32 vcc_lo, 0, v152
	v_and_b32_e32 v3, v3, v46
	v_not_b32_e32 v46, v149
	v_ashrrev_i32_e32 v45, 31, v45
	v_xor_b32_e32 v150, s17, v150
	v_mul_u32_u24_e32 v2, 9, v2
	v_and_b32_e32 v3, v3, v148
	v_cmp_gt_i32_e64 s17, 0, v149
	v_ashrrev_i32_e32 v46, 31, v46
	v_xor_b32_e32 v45, vcc_lo, v45
	v_add_lshl_u32 v148, v2, v122, 2
	v_and_b32_e32 v3, v3, v150
	s_delay_alu instid0(VALU_DEP_4) | instskip(SKIP_3) | instid1(VALU_DEP_2)
	v_xor_b32_e32 v2, s17, v46
	ds_load_b32 v149, v148 offset:1056
	v_and_b32_e32 v3, v3, v45
	v_add_nc_u32_e32 v151, 0x420, v148
	; wave barrier
	v_and_b32_e32 v2, v3, v2
	s_delay_alu instid0(VALU_DEP_1) | instskip(SKIP_1) | instid1(VALU_DEP_2)
	v_mbcnt_lo_u32_b32 v150, v2, 0
	v_cmp_ne_u32_e64 s17, 0, v2
	v_cmp_eq_u32_e32 vcc_lo, 0, v150
	s_delay_alu instid0(VALU_DEP_2) | instskip(NEXT) | instid1(SALU_CYCLE_1)
	s_and_b32 s18, s17, vcc_lo
	s_and_saveexec_b32 s17, s18
	s_cbranch_execz .LBB1051_428
; %bb.427:                              ;   in Loop: Header=BB1051_400 Depth=2
	s_waitcnt lgkmcnt(0)
	v_bcnt_u32_b32 v2, v2, v149
	ds_store_b32 v151, v2
.LBB1051_428:                           ;   in Loop: Header=BB1051_400 Depth=2
	s_or_b32 exec_lo, exec_lo, s17
	v_lshrrev_b32_e32 v148, 16, v144
	; wave barrier
	s_delay_alu instid0(VALU_DEP_1) | instskip(NEXT) | instid1(VALU_DEP_1)
	v_lshrrev_b32_e32 v2, s42, v148
	v_and_b32_e32 v2, s43, v2
	s_delay_alu instid0(VALU_DEP_1)
	v_and_b32_e32 v3, 1, v2
	v_lshlrev_b32_e32 v45, 30, v2
	v_lshlrev_b32_e32 v46, 29, v2
	;; [unrolled: 1-line block ×4, first 2 shown]
	v_add_co_u32 v3, s17, v3, -1
	s_delay_alu instid0(VALU_DEP_1)
	v_cndmask_b32_e64 v153, 0, 1, s17
	v_not_b32_e32 v157, v45
	v_cmp_gt_i32_e64 s17, 0, v45
	v_not_b32_e32 v45, v46
	v_lshlrev_b32_e32 v155, 26, v2
	v_cmp_ne_u32_e32 vcc_lo, 0, v153
	v_ashrrev_i32_e32 v157, 31, v157
	v_lshlrev_b32_e32 v156, 25, v2
	v_ashrrev_i32_e32 v45, 31, v45
	v_lshlrev_b32_e32 v153, 24, v2
	v_xor_b32_e32 v3, vcc_lo, v3
	v_cmp_gt_i32_e32 vcc_lo, 0, v46
	v_not_b32_e32 v46, v152
	v_xor_b32_e32 v157, s17, v157
	v_cmp_gt_i32_e64 s17, 0, v152
	v_and_b32_e32 v3, exec_lo, v3
	v_not_b32_e32 v152, v154
	v_ashrrev_i32_e32 v46, 31, v46
	v_xor_b32_e32 v45, vcc_lo, v45
	v_cmp_gt_i32_e32 vcc_lo, 0, v154
	v_and_b32_e32 v3, v3, v157
	v_not_b32_e32 v154, v155
	v_ashrrev_i32_e32 v152, 31, v152
	v_xor_b32_e32 v46, s17, v46
	v_cmp_gt_i32_e64 s17, 0, v155
	v_and_b32_e32 v3, v3, v45
	v_not_b32_e32 v45, v156
	v_ashrrev_i32_e32 v154, 31, v154
	v_xor_b32_e32 v152, vcc_lo, v152
	v_cmp_gt_i32_e32 vcc_lo, 0, v156
	v_and_b32_e32 v3, v3, v46
	v_not_b32_e32 v46, v153
	v_ashrrev_i32_e32 v45, 31, v45
	v_xor_b32_e32 v154, s17, v154
	v_mul_u32_u24_e32 v2, 9, v2
	v_and_b32_e32 v3, v3, v152
	v_cmp_gt_i32_e64 s17, 0, v153
	v_ashrrev_i32_e32 v46, 31, v46
	v_xor_b32_e32 v45, vcc_lo, v45
	v_add_lshl_u32 v152, v2, v122, 2
	v_and_b32_e32 v3, v3, v154
	s_delay_alu instid0(VALU_DEP_4) | instskip(SKIP_3) | instid1(VALU_DEP_2)
	v_xor_b32_e32 v2, s17, v46
	ds_load_b32 v153, v152 offset:1056
	v_and_b32_e32 v3, v3, v45
	v_add_nc_u32_e32 v155, 0x420, v152
	; wave barrier
	v_and_b32_e32 v2, v3, v2
	s_delay_alu instid0(VALU_DEP_1) | instskip(SKIP_1) | instid1(VALU_DEP_2)
	v_mbcnt_lo_u32_b32 v154, v2, 0
	v_cmp_ne_u32_e64 s17, 0, v2
	v_cmp_eq_u32_e32 vcc_lo, 0, v154
	s_delay_alu instid0(VALU_DEP_2) | instskip(NEXT) | instid1(SALU_CYCLE_1)
	s_and_b32 s18, s17, vcc_lo
	s_and_saveexec_b32 s17, s18
	s_cbranch_execz .LBB1051_430
; %bb.429:                              ;   in Loop: Header=BB1051_400 Depth=2
	s_waitcnt lgkmcnt(0)
	v_bcnt_u32_b32 v2, v2, v153
	ds_store_b32 v155, v2
.LBB1051_430:                           ;   in Loop: Header=BB1051_400 Depth=2
	s_or_b32 exec_lo, exec_lo, s17
	v_xor_b32_e32 v152, 0x80008000, v4
	; wave barrier
	s_delay_alu instid0(VALU_DEP_1) | instskip(NEXT) | instid1(VALU_DEP_1)
	v_and_b32_e32 v2, 0xffff, v152
	v_lshrrev_b32_e32 v2, s42, v2
	s_delay_alu instid0(VALU_DEP_1) | instskip(NEXT) | instid1(VALU_DEP_1)
	v_and_b32_e32 v2, s43, v2
	v_and_b32_e32 v3, 1, v2
	v_lshlrev_b32_e32 v4, 30, v2
	v_lshlrev_b32_e32 v45, 29, v2
	;; [unrolled: 1-line block ×4, first 2 shown]
	v_add_co_u32 v3, s17, v3, -1
	s_delay_alu instid0(VALU_DEP_1)
	v_cndmask_b32_e64 v156, 0, 1, s17
	v_not_b32_e32 v160, v4
	v_cmp_gt_i32_e64 s17, 0, v4
	v_not_b32_e32 v4, v45
	v_lshlrev_b32_e32 v158, 26, v2
	v_cmp_ne_u32_e32 vcc_lo, 0, v156
	v_ashrrev_i32_e32 v160, 31, v160
	v_lshlrev_b32_e32 v159, 25, v2
	v_ashrrev_i32_e32 v4, 31, v4
	v_lshlrev_b32_e32 v156, 24, v2
	v_xor_b32_e32 v3, vcc_lo, v3
	v_cmp_gt_i32_e32 vcc_lo, 0, v45
	v_not_b32_e32 v45, v46
	v_xor_b32_e32 v160, s17, v160
	v_cmp_gt_i32_e64 s17, 0, v46
	v_and_b32_e32 v3, exec_lo, v3
	v_not_b32_e32 v46, v157
	v_ashrrev_i32_e32 v45, 31, v45
	v_xor_b32_e32 v4, vcc_lo, v4
	v_cmp_gt_i32_e32 vcc_lo, 0, v157
	v_and_b32_e32 v3, v3, v160
	v_not_b32_e32 v157, v158
	v_ashrrev_i32_e32 v46, 31, v46
	v_xor_b32_e32 v45, s17, v45
	v_cmp_gt_i32_e64 s17, 0, v158
	v_and_b32_e32 v3, v3, v4
	v_not_b32_e32 v4, v159
	v_ashrrev_i32_e32 v157, 31, v157
	v_xor_b32_e32 v46, vcc_lo, v46
	v_cmp_gt_i32_e32 vcc_lo, 0, v159
	v_and_b32_e32 v3, v3, v45
	v_not_b32_e32 v45, v156
	v_ashrrev_i32_e32 v4, 31, v4
	v_xor_b32_e32 v157, s17, v157
	v_mul_u32_u24_e32 v2, 9, v2
	v_and_b32_e32 v3, v3, v46
	v_cmp_gt_i32_e64 s17, 0, v156
	v_ashrrev_i32_e32 v45, 31, v45
	v_xor_b32_e32 v4, vcc_lo, v4
	v_add_lshl_u32 v46, v2, v122, 2
	v_and_b32_e32 v3, v3, v157
	s_delay_alu instid0(VALU_DEP_4) | instskip(SKIP_3) | instid1(VALU_DEP_2)
	v_xor_b32_e32 v2, s17, v45
	ds_load_b32 v157, v46 offset:1056
	v_and_b32_e32 v3, v3, v4
	v_add_nc_u32_e32 v159, 0x420, v46
	; wave barrier
	v_and_b32_e32 v2, v3, v2
	s_delay_alu instid0(VALU_DEP_1) | instskip(SKIP_1) | instid1(VALU_DEP_2)
	v_mbcnt_lo_u32_b32 v158, v2, 0
	v_cmp_ne_u32_e64 s17, 0, v2
	v_cmp_eq_u32_e32 vcc_lo, 0, v158
	s_delay_alu instid0(VALU_DEP_2) | instskip(NEXT) | instid1(SALU_CYCLE_1)
	s_and_b32 s18, s17, vcc_lo
	s_and_saveexec_b32 s17, s18
	s_cbranch_execz .LBB1051_432
; %bb.431:                              ;   in Loop: Header=BB1051_400 Depth=2
	s_waitcnt lgkmcnt(0)
	v_bcnt_u32_b32 v2, v2, v157
	ds_store_b32 v159, v2
.LBB1051_432:                           ;   in Loop: Header=BB1051_400 Depth=2
	s_or_b32 exec_lo, exec_lo, s17
	v_lshrrev_b32_e32 v156, 16, v152
	; wave barrier
	s_delay_alu instid0(VALU_DEP_1) | instskip(NEXT) | instid1(VALU_DEP_1)
	v_lshrrev_b32_e32 v2, s42, v156
	v_and_b32_e32 v2, s43, v2
	s_delay_alu instid0(VALU_DEP_1)
	v_and_b32_e32 v3, 1, v2
	v_lshlrev_b32_e32 v4, 30, v2
	v_lshlrev_b32_e32 v45, 29, v2
	;; [unrolled: 1-line block ×4, first 2 shown]
	v_add_co_u32 v3, s17, v3, -1
	s_delay_alu instid0(VALU_DEP_1)
	v_cndmask_b32_e64 v160, 0, 1, s17
	v_not_b32_e32 v164, v4
	v_cmp_gt_i32_e64 s17, 0, v4
	v_not_b32_e32 v4, v45
	v_lshlrev_b32_e32 v162, 26, v2
	v_cmp_ne_u32_e32 vcc_lo, 0, v160
	v_ashrrev_i32_e32 v164, 31, v164
	v_lshlrev_b32_e32 v163, 25, v2
	v_ashrrev_i32_e32 v4, 31, v4
	v_lshlrev_b32_e32 v160, 24, v2
	v_xor_b32_e32 v3, vcc_lo, v3
	v_cmp_gt_i32_e32 vcc_lo, 0, v45
	v_not_b32_e32 v45, v46
	v_xor_b32_e32 v164, s17, v164
	v_cmp_gt_i32_e64 s17, 0, v46
	v_and_b32_e32 v3, exec_lo, v3
	v_not_b32_e32 v46, v161
	v_ashrrev_i32_e32 v45, 31, v45
	v_xor_b32_e32 v4, vcc_lo, v4
	v_cmp_gt_i32_e32 vcc_lo, 0, v161
	v_and_b32_e32 v3, v3, v164
	v_not_b32_e32 v161, v162
	v_ashrrev_i32_e32 v46, 31, v46
	v_xor_b32_e32 v45, s17, v45
	v_cmp_gt_i32_e64 s17, 0, v162
	v_and_b32_e32 v3, v3, v4
	v_not_b32_e32 v4, v163
	v_ashrrev_i32_e32 v161, 31, v161
	v_xor_b32_e32 v46, vcc_lo, v46
	v_cmp_gt_i32_e32 vcc_lo, 0, v163
	v_and_b32_e32 v3, v3, v45
	v_not_b32_e32 v45, v160
	v_ashrrev_i32_e32 v4, 31, v4
	v_xor_b32_e32 v161, s17, v161
	v_mul_u32_u24_e32 v2, 9, v2
	v_and_b32_e32 v3, v3, v46
	v_cmp_gt_i32_e64 s17, 0, v160
	v_ashrrev_i32_e32 v45, 31, v45
	v_xor_b32_e32 v4, vcc_lo, v4
	v_add_lshl_u32 v46, v2, v122, 2
	v_and_b32_e32 v3, v3, v161
	s_delay_alu instid0(VALU_DEP_4) | instskip(SKIP_3) | instid1(VALU_DEP_2)
	v_xor_b32_e32 v2, s17, v45
	ds_load_b32 v161, v46 offset:1056
	v_and_b32_e32 v3, v3, v4
	v_add_nc_u32_e32 v163, 0x420, v46
	; wave barrier
	v_and_b32_e32 v2, v3, v2
	s_delay_alu instid0(VALU_DEP_1) | instskip(SKIP_1) | instid1(VALU_DEP_2)
	v_mbcnt_lo_u32_b32 v162, v2, 0
	v_cmp_ne_u32_e64 s17, 0, v2
	v_cmp_eq_u32_e32 vcc_lo, 0, v162
	s_delay_alu instid0(VALU_DEP_2) | instskip(NEXT) | instid1(SALU_CYCLE_1)
	s_and_b32 s18, s17, vcc_lo
	s_and_saveexec_b32 s17, s18
	s_cbranch_execz .LBB1051_434
; %bb.433:                              ;   in Loop: Header=BB1051_400 Depth=2
	s_waitcnt lgkmcnt(0)
	v_bcnt_u32_b32 v2, v2, v161
	ds_store_b32 v163, v2
.LBB1051_434:                           ;   in Loop: Header=BB1051_400 Depth=2
	s_or_b32 exec_lo, exec_lo, s17
	v_xor_b32_e32 v160, 0x80008000, v5
	; wave barrier
	s_delay_alu instid0(VALU_DEP_1) | instskip(NEXT) | instid1(VALU_DEP_1)
	v_and_b32_e32 v2, 0xffff, v160
	v_lshrrev_b32_e32 v2, s42, v2
	s_delay_alu instid0(VALU_DEP_1) | instskip(NEXT) | instid1(VALU_DEP_1)
	v_and_b32_e32 v2, s43, v2
	v_and_b32_e32 v3, 1, v2
	v_lshlrev_b32_e32 v4, 30, v2
	v_lshlrev_b32_e32 v5, 29, v2
	;; [unrolled: 1-line block ×4, first 2 shown]
	v_add_co_u32 v3, s17, v3, -1
	s_delay_alu instid0(VALU_DEP_1)
	v_cndmask_b32_e64 v46, 0, 1, s17
	v_not_b32_e32 v167, v4
	v_cmp_gt_i32_e64 s17, 0, v4
	v_not_b32_e32 v4, v5
	v_lshlrev_b32_e32 v165, 26, v2
	v_cmp_ne_u32_e32 vcc_lo, 0, v46
	v_ashrrev_i32_e32 v167, 31, v167
	v_lshlrev_b32_e32 v166, 25, v2
	v_ashrrev_i32_e32 v4, 31, v4
	v_lshlrev_b32_e32 v46, 24, v2
	v_xor_b32_e32 v3, vcc_lo, v3
	v_cmp_gt_i32_e32 vcc_lo, 0, v5
	v_not_b32_e32 v5, v45
	v_xor_b32_e32 v167, s17, v167
	v_cmp_gt_i32_e64 s17, 0, v45
	v_and_b32_e32 v3, exec_lo, v3
	v_not_b32_e32 v45, v164
	v_ashrrev_i32_e32 v5, 31, v5
	v_xor_b32_e32 v4, vcc_lo, v4
	v_cmp_gt_i32_e32 vcc_lo, 0, v164
	v_and_b32_e32 v3, v3, v167
	v_not_b32_e32 v164, v165
	v_ashrrev_i32_e32 v45, 31, v45
	v_xor_b32_e32 v5, s17, v5
	v_cmp_gt_i32_e64 s17, 0, v165
	v_and_b32_e32 v3, v3, v4
	v_not_b32_e32 v4, v166
	v_ashrrev_i32_e32 v164, 31, v164
	v_xor_b32_e32 v45, vcc_lo, v45
	v_cmp_gt_i32_e32 vcc_lo, 0, v166
	v_and_b32_e32 v3, v3, v5
	v_not_b32_e32 v5, v46
	v_ashrrev_i32_e32 v4, 31, v4
	v_xor_b32_e32 v164, s17, v164
	v_mul_u32_u24_e32 v2, 9, v2
	v_and_b32_e32 v3, v3, v45
	v_cmp_gt_i32_e64 s17, 0, v46
	v_ashrrev_i32_e32 v5, 31, v5
	v_xor_b32_e32 v4, vcc_lo, v4
	v_add_lshl_u32 v45, v2, v122, 2
	v_and_b32_e32 v3, v3, v164
	s_delay_alu instid0(VALU_DEP_4) | instskip(SKIP_3) | instid1(VALU_DEP_2)
	v_xor_b32_e32 v2, s17, v5
	ds_load_b32 v165, v45 offset:1056
	v_and_b32_e32 v3, v3, v4
	v_add_nc_u32_e32 v167, 0x420, v45
	; wave barrier
	v_and_b32_e32 v2, v3, v2
	s_delay_alu instid0(VALU_DEP_1) | instskip(SKIP_1) | instid1(VALU_DEP_2)
	v_mbcnt_lo_u32_b32 v166, v2, 0
	v_cmp_ne_u32_e64 s17, 0, v2
	v_cmp_eq_u32_e32 vcc_lo, 0, v166
	s_delay_alu instid0(VALU_DEP_2) | instskip(NEXT) | instid1(SALU_CYCLE_1)
	s_and_b32 s18, s17, vcc_lo
	s_and_saveexec_b32 s17, s18
	s_cbranch_execz .LBB1051_436
; %bb.435:                              ;   in Loop: Header=BB1051_400 Depth=2
	s_waitcnt lgkmcnt(0)
	v_bcnt_u32_b32 v2, v2, v165
	ds_store_b32 v167, v2
.LBB1051_436:                           ;   in Loop: Header=BB1051_400 Depth=2
	s_or_b32 exec_lo, exec_lo, s17
	v_lshrrev_b32_e32 v164, 16, v160
	; wave barrier
	s_delay_alu instid0(VALU_DEP_1) | instskip(NEXT) | instid1(VALU_DEP_1)
	v_lshrrev_b32_e32 v2, s42, v164
	v_and_b32_e32 v2, s43, v2
	s_delay_alu instid0(VALU_DEP_1)
	v_and_b32_e32 v3, 1, v2
	v_lshlrev_b32_e32 v4, 30, v2
	v_lshlrev_b32_e32 v5, 29, v2
	;; [unrolled: 1-line block ×4, first 2 shown]
	v_add_co_u32 v3, s17, v3, -1
	s_delay_alu instid0(VALU_DEP_1)
	v_cndmask_b32_e64 v46, 0, 1, s17
	v_not_b32_e32 v171, v4
	v_cmp_gt_i32_e64 s17, 0, v4
	v_not_b32_e32 v4, v5
	v_lshlrev_b32_e32 v169, 26, v2
	v_cmp_ne_u32_e32 vcc_lo, 0, v46
	v_ashrrev_i32_e32 v171, 31, v171
	v_lshlrev_b32_e32 v170, 25, v2
	v_ashrrev_i32_e32 v4, 31, v4
	v_lshlrev_b32_e32 v46, 24, v2
	v_xor_b32_e32 v3, vcc_lo, v3
	v_cmp_gt_i32_e32 vcc_lo, 0, v5
	v_not_b32_e32 v5, v45
	v_xor_b32_e32 v171, s17, v171
	v_cmp_gt_i32_e64 s17, 0, v45
	v_and_b32_e32 v3, exec_lo, v3
	v_not_b32_e32 v45, v168
	v_ashrrev_i32_e32 v5, 31, v5
	v_xor_b32_e32 v4, vcc_lo, v4
	v_cmp_gt_i32_e32 vcc_lo, 0, v168
	v_and_b32_e32 v3, v3, v171
	v_not_b32_e32 v168, v169
	v_ashrrev_i32_e32 v45, 31, v45
	v_xor_b32_e32 v5, s17, v5
	v_cmp_gt_i32_e64 s17, 0, v169
	v_and_b32_e32 v3, v3, v4
	v_not_b32_e32 v4, v170
	v_ashrrev_i32_e32 v168, 31, v168
	v_xor_b32_e32 v45, vcc_lo, v45
	v_cmp_gt_i32_e32 vcc_lo, 0, v170
	v_and_b32_e32 v3, v3, v5
	v_not_b32_e32 v5, v46
	v_ashrrev_i32_e32 v4, 31, v4
	v_xor_b32_e32 v168, s17, v168
	v_mul_u32_u24_e32 v2, 9, v2
	v_and_b32_e32 v3, v3, v45
	v_cmp_gt_i32_e64 s17, 0, v46
	v_ashrrev_i32_e32 v5, 31, v5
	v_xor_b32_e32 v4, vcc_lo, v4
	v_add_lshl_u32 v45, v2, v122, 2
	v_and_b32_e32 v3, v3, v168
	s_delay_alu instid0(VALU_DEP_4) | instskip(SKIP_3) | instid1(VALU_DEP_2)
	v_xor_b32_e32 v2, s17, v5
	ds_load_b32 v169, v45 offset:1056
	v_and_b32_e32 v3, v3, v4
	v_add_nc_u32_e32 v171, 0x420, v45
	; wave barrier
	v_and_b32_e32 v2, v3, v2
	s_delay_alu instid0(VALU_DEP_1) | instskip(SKIP_1) | instid1(VALU_DEP_2)
	v_mbcnt_lo_u32_b32 v170, v2, 0
	v_cmp_ne_u32_e64 s17, 0, v2
	v_cmp_eq_u32_e32 vcc_lo, 0, v170
	s_delay_alu instid0(VALU_DEP_2) | instskip(NEXT) | instid1(SALU_CYCLE_1)
	s_and_b32 s18, s17, vcc_lo
	s_and_saveexec_b32 s17, s18
	s_cbranch_execz .LBB1051_438
; %bb.437:                              ;   in Loop: Header=BB1051_400 Depth=2
	s_waitcnt lgkmcnt(0)
	v_bcnt_u32_b32 v2, v2, v169
	ds_store_b32 v171, v2
.LBB1051_438:                           ;   in Loop: Header=BB1051_400 Depth=2
	s_or_b32 exec_lo, exec_lo, s17
	v_xor_b32_e32 v168, 0x80008000, v6
	; wave barrier
	s_delay_alu instid0(VALU_DEP_1) | instskip(NEXT) | instid1(VALU_DEP_1)
	v_and_b32_e32 v2, 0xffff, v168
	v_lshrrev_b32_e32 v2, s42, v2
	s_delay_alu instid0(VALU_DEP_1) | instskip(NEXT) | instid1(VALU_DEP_1)
	v_and_b32_e32 v2, s43, v2
	v_and_b32_e32 v3, 1, v2
	v_lshlrev_b32_e32 v4, 30, v2
	v_lshlrev_b32_e32 v5, 29, v2
	;; [unrolled: 1-line block ×4, first 2 shown]
	v_add_co_u32 v3, s17, v3, -1
	s_delay_alu instid0(VALU_DEP_1)
	v_cndmask_b32_e64 v45, 0, 1, s17
	v_not_b32_e32 v174, v4
	v_cmp_gt_i32_e64 s17, 0, v4
	v_not_b32_e32 v4, v5
	v_lshlrev_b32_e32 v172, 26, v2
	v_cmp_ne_u32_e32 vcc_lo, 0, v45
	v_ashrrev_i32_e32 v174, 31, v174
	v_lshlrev_b32_e32 v173, 25, v2
	v_ashrrev_i32_e32 v4, 31, v4
	v_lshlrev_b32_e32 v45, 24, v2
	v_xor_b32_e32 v3, vcc_lo, v3
	v_cmp_gt_i32_e32 vcc_lo, 0, v5
	v_not_b32_e32 v5, v6
	v_xor_b32_e32 v174, s17, v174
	v_cmp_gt_i32_e64 s17, 0, v6
	v_and_b32_e32 v3, exec_lo, v3
	v_not_b32_e32 v6, v46
	v_ashrrev_i32_e32 v5, 31, v5
	v_xor_b32_e32 v4, vcc_lo, v4
	v_cmp_gt_i32_e32 vcc_lo, 0, v46
	v_and_b32_e32 v3, v3, v174
	v_not_b32_e32 v46, v172
	v_ashrrev_i32_e32 v6, 31, v6
	v_xor_b32_e32 v5, s17, v5
	v_cmp_gt_i32_e64 s17, 0, v172
	v_and_b32_e32 v3, v3, v4
	v_not_b32_e32 v4, v173
	v_ashrrev_i32_e32 v46, 31, v46
	v_xor_b32_e32 v6, vcc_lo, v6
	v_cmp_gt_i32_e32 vcc_lo, 0, v173
	v_and_b32_e32 v3, v3, v5
	v_not_b32_e32 v5, v45
	v_ashrrev_i32_e32 v4, 31, v4
	v_xor_b32_e32 v46, s17, v46
	v_mul_u32_u24_e32 v2, 9, v2
	v_and_b32_e32 v3, v3, v6
	v_cmp_gt_i32_e64 s17, 0, v45
	v_ashrrev_i32_e32 v5, 31, v5
	v_xor_b32_e32 v4, vcc_lo, v4
	v_add_lshl_u32 v6, v2, v122, 2
	v_and_b32_e32 v3, v3, v46
	s_delay_alu instid0(VALU_DEP_4) | instskip(SKIP_3) | instid1(VALU_DEP_2)
	v_xor_b32_e32 v2, s17, v5
	ds_load_b32 v173, v6 offset:1056
	v_and_b32_e32 v3, v3, v4
	v_add_nc_u32_e32 v175, 0x420, v6
	; wave barrier
	v_and_b32_e32 v2, v3, v2
	s_delay_alu instid0(VALU_DEP_1) | instskip(SKIP_1) | instid1(VALU_DEP_2)
	v_mbcnt_lo_u32_b32 v174, v2, 0
	v_cmp_ne_u32_e64 s17, 0, v2
	v_cmp_eq_u32_e32 vcc_lo, 0, v174
	s_delay_alu instid0(VALU_DEP_2) | instskip(NEXT) | instid1(SALU_CYCLE_1)
	s_and_b32 s18, s17, vcc_lo
	s_and_saveexec_b32 s17, s18
	s_cbranch_execz .LBB1051_440
; %bb.439:                              ;   in Loop: Header=BB1051_400 Depth=2
	s_waitcnt lgkmcnt(0)
	v_bcnt_u32_b32 v2, v2, v173
	ds_store_b32 v175, v2
.LBB1051_440:                           ;   in Loop: Header=BB1051_400 Depth=2
	s_or_b32 exec_lo, exec_lo, s17
	v_lshrrev_b32_e32 v172, 16, v168
	; wave barrier
	s_delay_alu instid0(VALU_DEP_1) | instskip(NEXT) | instid1(VALU_DEP_1)
	v_lshrrev_b32_e32 v2, s42, v172
	v_and_b32_e32 v2, s43, v2
	s_delay_alu instid0(VALU_DEP_1)
	v_and_b32_e32 v3, 1, v2
	v_lshlrev_b32_e32 v4, 30, v2
	v_lshlrev_b32_e32 v5, 29, v2
	;; [unrolled: 1-line block ×4, first 2 shown]
	v_add_co_u32 v3, s17, v3, -1
	s_delay_alu instid0(VALU_DEP_1)
	v_cndmask_b32_e64 v45, 0, 1, s17
	v_not_b32_e32 v178, v4
	v_cmp_gt_i32_e64 s17, 0, v4
	v_not_b32_e32 v4, v5
	v_lshlrev_b32_e32 v176, 26, v2
	v_cmp_ne_u32_e32 vcc_lo, 0, v45
	v_ashrrev_i32_e32 v178, 31, v178
	v_lshlrev_b32_e32 v177, 25, v2
	v_ashrrev_i32_e32 v4, 31, v4
	v_lshlrev_b32_e32 v45, 24, v2
	v_xor_b32_e32 v3, vcc_lo, v3
	v_cmp_gt_i32_e32 vcc_lo, 0, v5
	v_not_b32_e32 v5, v6
	v_xor_b32_e32 v178, s17, v178
	v_cmp_gt_i32_e64 s17, 0, v6
	v_and_b32_e32 v3, exec_lo, v3
	v_not_b32_e32 v6, v46
	v_ashrrev_i32_e32 v5, 31, v5
	v_xor_b32_e32 v4, vcc_lo, v4
	v_cmp_gt_i32_e32 vcc_lo, 0, v46
	v_and_b32_e32 v3, v3, v178
	v_not_b32_e32 v46, v176
	v_ashrrev_i32_e32 v6, 31, v6
	v_xor_b32_e32 v5, s17, v5
	v_cmp_gt_i32_e64 s17, 0, v176
	v_and_b32_e32 v3, v3, v4
	v_not_b32_e32 v4, v177
	v_ashrrev_i32_e32 v46, 31, v46
	v_xor_b32_e32 v6, vcc_lo, v6
	v_cmp_gt_i32_e32 vcc_lo, 0, v177
	v_and_b32_e32 v3, v3, v5
	v_not_b32_e32 v5, v45
	v_ashrrev_i32_e32 v4, 31, v4
	v_xor_b32_e32 v46, s17, v46
	v_mul_u32_u24_e32 v2, 9, v2
	v_and_b32_e32 v3, v3, v6
	v_cmp_gt_i32_e64 s17, 0, v45
	v_ashrrev_i32_e32 v5, 31, v5
	v_xor_b32_e32 v4, vcc_lo, v4
	v_add_lshl_u32 v6, v2, v122, 2
	v_and_b32_e32 v3, v3, v46
	s_delay_alu instid0(VALU_DEP_4) | instskip(SKIP_3) | instid1(VALU_DEP_2)
	v_xor_b32_e32 v2, s17, v5
	ds_load_b32 v177, v6 offset:1056
	v_and_b32_e32 v3, v3, v4
	v_add_nc_u32_e32 v179, 0x420, v6
	; wave barrier
	v_and_b32_e32 v2, v3, v2
	s_delay_alu instid0(VALU_DEP_1) | instskip(SKIP_1) | instid1(VALU_DEP_2)
	v_mbcnt_lo_u32_b32 v178, v2, 0
	v_cmp_ne_u32_e64 s17, 0, v2
	v_cmp_eq_u32_e32 vcc_lo, 0, v178
	s_delay_alu instid0(VALU_DEP_2) | instskip(NEXT) | instid1(SALU_CYCLE_1)
	s_and_b32 s18, s17, vcc_lo
	s_and_saveexec_b32 s17, s18
	s_cbranch_execz .LBB1051_442
; %bb.441:                              ;   in Loop: Header=BB1051_400 Depth=2
	s_waitcnt lgkmcnt(0)
	v_bcnt_u32_b32 v2, v2, v177
	ds_store_b32 v179, v2
.LBB1051_442:                           ;   in Loop: Header=BB1051_400 Depth=2
	s_or_b32 exec_lo, exec_lo, s17
	v_xor_b32_e32 v176, 0x80008000, v7
	; wave barrier
	s_delay_alu instid0(VALU_DEP_1) | instskip(NEXT) | instid1(VALU_DEP_1)
	v_and_b32_e32 v2, 0xffff, v176
	v_lshrrev_b32_e32 v2, s42, v2
	s_delay_alu instid0(VALU_DEP_1) | instskip(NEXT) | instid1(VALU_DEP_1)
	v_and_b32_e32 v2, s43, v2
	v_and_b32_e32 v3, 1, v2
	v_lshlrev_b32_e32 v4, 30, v2
	v_lshlrev_b32_e32 v5, 29, v2
	;; [unrolled: 1-line block ×4, first 2 shown]
	v_add_co_u32 v3, s17, v3, -1
	s_delay_alu instid0(VALU_DEP_1)
	v_cndmask_b32_e64 v7, 0, 1, s17
	v_not_b32_e32 v181, v4
	v_cmp_gt_i32_e64 s17, 0, v4
	v_not_b32_e32 v4, v5
	v_lshlrev_b32_e32 v46, 26, v2
	v_cmp_ne_u32_e32 vcc_lo, 0, v7
	v_ashrrev_i32_e32 v181, 31, v181
	v_lshlrev_b32_e32 v180, 25, v2
	v_ashrrev_i32_e32 v4, 31, v4
	v_lshlrev_b32_e32 v7, 24, v2
	v_xor_b32_e32 v3, vcc_lo, v3
	v_cmp_gt_i32_e32 vcc_lo, 0, v5
	v_not_b32_e32 v5, v6
	v_xor_b32_e32 v181, s17, v181
	v_cmp_gt_i32_e64 s17, 0, v6
	v_and_b32_e32 v3, exec_lo, v3
	v_not_b32_e32 v6, v45
	v_ashrrev_i32_e32 v5, 31, v5
	v_xor_b32_e32 v4, vcc_lo, v4
	v_cmp_gt_i32_e32 vcc_lo, 0, v45
	v_and_b32_e32 v3, v3, v181
	v_not_b32_e32 v45, v46
	v_ashrrev_i32_e32 v6, 31, v6
	v_xor_b32_e32 v5, s17, v5
	v_cmp_gt_i32_e64 s17, 0, v46
	v_and_b32_e32 v3, v3, v4
	v_not_b32_e32 v4, v180
	v_ashrrev_i32_e32 v45, 31, v45
	v_xor_b32_e32 v6, vcc_lo, v6
	v_cmp_gt_i32_e32 vcc_lo, 0, v180
	v_and_b32_e32 v3, v3, v5
	v_not_b32_e32 v5, v7
	v_ashrrev_i32_e32 v4, 31, v4
	v_xor_b32_e32 v45, s17, v45
	v_mul_u32_u24_e32 v2, 9, v2
	v_and_b32_e32 v3, v3, v6
	v_cmp_gt_i32_e64 s17, 0, v7
	v_ashrrev_i32_e32 v5, 31, v5
	v_xor_b32_e32 v4, vcc_lo, v4
	v_add_lshl_u32 v6, v2, v122, 2
	v_and_b32_e32 v3, v3, v45
	s_delay_alu instid0(VALU_DEP_4) | instskip(SKIP_3) | instid1(VALU_DEP_2)
	v_xor_b32_e32 v2, s17, v5
	ds_load_b32 v181, v6 offset:1056
	v_and_b32_e32 v3, v3, v4
	v_add_nc_u32_e32 v183, 0x420, v6
	; wave barrier
	v_and_b32_e32 v2, v3, v2
	s_delay_alu instid0(VALU_DEP_1) | instskip(SKIP_1) | instid1(VALU_DEP_2)
	v_mbcnt_lo_u32_b32 v182, v2, 0
	v_cmp_ne_u32_e64 s17, 0, v2
	v_cmp_eq_u32_e32 vcc_lo, 0, v182
	s_delay_alu instid0(VALU_DEP_2) | instskip(NEXT) | instid1(SALU_CYCLE_1)
	s_and_b32 s18, s17, vcc_lo
	s_and_saveexec_b32 s17, s18
	s_cbranch_execz .LBB1051_444
; %bb.443:                              ;   in Loop: Header=BB1051_400 Depth=2
	s_waitcnt lgkmcnt(0)
	v_bcnt_u32_b32 v2, v2, v181
	ds_store_b32 v183, v2
.LBB1051_444:                           ;   in Loop: Header=BB1051_400 Depth=2
	s_or_b32 exec_lo, exec_lo, s17
	v_lshrrev_b32_e32 v180, 16, v176
	; wave barrier
	s_delay_alu instid0(VALU_DEP_1) | instskip(NEXT) | instid1(VALU_DEP_1)
	v_lshrrev_b32_e32 v2, s42, v180
	v_and_b32_e32 v2, s43, v2
	s_delay_alu instid0(VALU_DEP_1)
	v_and_b32_e32 v3, 1, v2
	v_lshlrev_b32_e32 v4, 30, v2
	v_lshlrev_b32_e32 v5, 29, v2
	;; [unrolled: 1-line block ×4, first 2 shown]
	v_add_co_u32 v3, s17, v3, -1
	s_delay_alu instid0(VALU_DEP_1)
	v_cndmask_b32_e64 v7, 0, 1, s17
	v_not_b32_e32 v185, v4
	v_cmp_gt_i32_e64 s17, 0, v4
	v_not_b32_e32 v4, v5
	v_lshlrev_b32_e32 v46, 26, v2
	v_cmp_ne_u32_e32 vcc_lo, 0, v7
	v_ashrrev_i32_e32 v185, 31, v185
	v_lshlrev_b32_e32 v184, 25, v2
	v_ashrrev_i32_e32 v4, 31, v4
	v_lshlrev_b32_e32 v7, 24, v2
	v_xor_b32_e32 v3, vcc_lo, v3
	v_cmp_gt_i32_e32 vcc_lo, 0, v5
	v_not_b32_e32 v5, v6
	v_xor_b32_e32 v185, s17, v185
	v_cmp_gt_i32_e64 s17, 0, v6
	v_and_b32_e32 v3, exec_lo, v3
	v_not_b32_e32 v6, v45
	v_ashrrev_i32_e32 v5, 31, v5
	v_xor_b32_e32 v4, vcc_lo, v4
	v_cmp_gt_i32_e32 vcc_lo, 0, v45
	v_and_b32_e32 v3, v3, v185
	v_not_b32_e32 v45, v46
	v_ashrrev_i32_e32 v6, 31, v6
	v_xor_b32_e32 v5, s17, v5
	v_cmp_gt_i32_e64 s17, 0, v46
	v_and_b32_e32 v3, v3, v4
	v_not_b32_e32 v4, v184
	v_ashrrev_i32_e32 v45, 31, v45
	v_xor_b32_e32 v6, vcc_lo, v6
	v_cmp_gt_i32_e32 vcc_lo, 0, v184
	v_and_b32_e32 v3, v3, v5
	v_not_b32_e32 v5, v7
	v_ashrrev_i32_e32 v4, 31, v4
	v_xor_b32_e32 v45, s17, v45
	v_mul_u32_u24_e32 v2, 9, v2
	v_and_b32_e32 v3, v3, v6
	v_cmp_gt_i32_e64 s17, 0, v7
	v_ashrrev_i32_e32 v5, 31, v5
	v_xor_b32_e32 v4, vcc_lo, v4
	v_add_lshl_u32 v6, v2, v122, 2
	v_and_b32_e32 v3, v3, v45
	s_delay_alu instid0(VALU_DEP_4) | instskip(SKIP_3) | instid1(VALU_DEP_2)
	v_xor_b32_e32 v2, s17, v5
	ds_load_b32 v185, v6 offset:1056
	v_and_b32_e32 v3, v3, v4
	v_add_nc_u32_e32 v187, 0x420, v6
	; wave barrier
	v_and_b32_e32 v2, v3, v2
	s_delay_alu instid0(VALU_DEP_1) | instskip(SKIP_1) | instid1(VALU_DEP_2)
	v_mbcnt_lo_u32_b32 v186, v2, 0
	v_cmp_ne_u32_e64 s17, 0, v2
	v_cmp_eq_u32_e32 vcc_lo, 0, v186
	s_delay_alu instid0(VALU_DEP_2) | instskip(NEXT) | instid1(SALU_CYCLE_1)
	s_and_b32 s18, s17, vcc_lo
	s_and_saveexec_b32 s17, s18
	s_cbranch_execz .LBB1051_446
; %bb.445:                              ;   in Loop: Header=BB1051_400 Depth=2
	s_waitcnt lgkmcnt(0)
	v_bcnt_u32_b32 v2, v2, v185
	ds_store_b32 v187, v2
.LBB1051_446:                           ;   in Loop: Header=BB1051_400 Depth=2
	s_or_b32 exec_lo, exec_lo, s17
	v_xor_b32_e32 v184, 0x80008000, v8
	; wave barrier
	s_delay_alu instid0(VALU_DEP_1) | instskip(NEXT) | instid1(VALU_DEP_1)
	v_and_b32_e32 v2, 0xffff, v184
	v_lshrrev_b32_e32 v2, s42, v2
	s_delay_alu instid0(VALU_DEP_1) | instskip(NEXT) | instid1(VALU_DEP_1)
	v_and_b32_e32 v2, s43, v2
	v_and_b32_e32 v3, 1, v2
	v_lshlrev_b32_e32 v4, 30, v2
	v_lshlrev_b32_e32 v5, 29, v2
	;; [unrolled: 1-line block ×4, first 2 shown]
	v_add_co_u32 v3, s17, v3, -1
	s_delay_alu instid0(VALU_DEP_1)
	v_cndmask_b32_e64 v7, 0, 1, s17
	v_not_b32_e32 v188, v4
	v_cmp_gt_i32_e64 s17, 0, v4
	v_not_b32_e32 v4, v5
	v_lshlrev_b32_e32 v45, 26, v2
	v_cmp_ne_u32_e32 vcc_lo, 0, v7
	v_ashrrev_i32_e32 v188, 31, v188
	v_lshlrev_b32_e32 v46, 25, v2
	v_ashrrev_i32_e32 v4, 31, v4
	v_lshlrev_b32_e32 v7, 24, v2
	v_xor_b32_e32 v3, vcc_lo, v3
	v_cmp_gt_i32_e32 vcc_lo, 0, v5
	v_not_b32_e32 v5, v6
	v_xor_b32_e32 v188, s17, v188
	v_cmp_gt_i32_e64 s17, 0, v6
	v_and_b32_e32 v3, exec_lo, v3
	v_not_b32_e32 v6, v8
	v_ashrrev_i32_e32 v5, 31, v5
	v_xor_b32_e32 v4, vcc_lo, v4
	v_cmp_gt_i32_e32 vcc_lo, 0, v8
	v_and_b32_e32 v3, v3, v188
	v_not_b32_e32 v8, v45
	v_ashrrev_i32_e32 v6, 31, v6
	v_xor_b32_e32 v5, s17, v5
	v_cmp_gt_i32_e64 s17, 0, v45
	v_and_b32_e32 v3, v3, v4
	v_not_b32_e32 v4, v46
	v_ashrrev_i32_e32 v8, 31, v8
	v_xor_b32_e32 v6, vcc_lo, v6
	v_cmp_gt_i32_e32 vcc_lo, 0, v46
	v_and_b32_e32 v3, v3, v5
	v_not_b32_e32 v5, v7
	v_ashrrev_i32_e32 v4, 31, v4
	v_xor_b32_e32 v8, s17, v8
	v_mul_u32_u24_e32 v2, 9, v2
	v_and_b32_e32 v3, v3, v6
	v_cmp_gt_i32_e64 s17, 0, v7
	v_ashrrev_i32_e32 v5, 31, v5
	v_xor_b32_e32 v4, vcc_lo, v4
	v_add_lshl_u32 v6, v2, v122, 2
	v_and_b32_e32 v3, v3, v8
	s_delay_alu instid0(VALU_DEP_4) | instskip(SKIP_3) | instid1(VALU_DEP_2)
	v_xor_b32_e32 v2, s17, v5
	ds_load_b32 v8, v6 offset:1056
	v_and_b32_e32 v3, v3, v4
	v_add_nc_u32_e32 v190, 0x420, v6
	; wave barrier
	v_and_b32_e32 v2, v3, v2
	s_delay_alu instid0(VALU_DEP_1) | instskip(SKIP_1) | instid1(VALU_DEP_2)
	v_mbcnt_lo_u32_b32 v189, v2, 0
	v_cmp_ne_u32_e64 s17, 0, v2
	v_cmp_eq_u32_e32 vcc_lo, 0, v189
	s_delay_alu instid0(VALU_DEP_2) | instskip(NEXT) | instid1(SALU_CYCLE_1)
	s_and_b32 s18, s17, vcc_lo
	s_and_saveexec_b32 s17, s18
	s_cbranch_execz .LBB1051_448
; %bb.447:                              ;   in Loop: Header=BB1051_400 Depth=2
	s_waitcnt lgkmcnt(0)
	v_bcnt_u32_b32 v2, v2, v8
	ds_store_b32 v190, v2
.LBB1051_448:                           ;   in Loop: Header=BB1051_400 Depth=2
	s_or_b32 exec_lo, exec_lo, s17
	v_lshrrev_b32_e32 v188, 16, v184
	; wave barrier
	s_delay_alu instid0(VALU_DEP_1) | instskip(NEXT) | instid1(VALU_DEP_1)
	v_lshrrev_b32_e32 v2, s42, v188
	v_and_b32_e32 v2, s43, v2
	s_delay_alu instid0(VALU_DEP_1)
	v_and_b32_e32 v3, 1, v2
	v_lshlrev_b32_e32 v4, 30, v2
	v_lshlrev_b32_e32 v5, 29, v2
	;; [unrolled: 1-line block ×4, first 2 shown]
	v_add_co_u32 v3, s17, v3, -1
	s_delay_alu instid0(VALU_DEP_1)
	v_cndmask_b32_e64 v7, 0, 1, s17
	v_not_b32_e32 v192, v4
	v_cmp_gt_i32_e64 s17, 0, v4
	v_not_b32_e32 v4, v5
	v_lshlrev_b32_e32 v46, 26, v2
	v_cmp_ne_u32_e32 vcc_lo, 0, v7
	v_ashrrev_i32_e32 v192, 31, v192
	v_lshlrev_b32_e32 v191, 25, v2
	v_ashrrev_i32_e32 v4, 31, v4
	v_lshlrev_b32_e32 v7, 24, v2
	v_xor_b32_e32 v3, vcc_lo, v3
	v_cmp_gt_i32_e32 vcc_lo, 0, v5
	v_not_b32_e32 v5, v6
	v_xor_b32_e32 v192, s17, v192
	v_cmp_gt_i32_e64 s17, 0, v6
	v_and_b32_e32 v3, exec_lo, v3
	v_not_b32_e32 v6, v45
	v_ashrrev_i32_e32 v5, 31, v5
	v_xor_b32_e32 v4, vcc_lo, v4
	v_cmp_gt_i32_e32 vcc_lo, 0, v45
	v_and_b32_e32 v3, v3, v192
	v_not_b32_e32 v45, v46
	v_ashrrev_i32_e32 v6, 31, v6
	v_xor_b32_e32 v5, s17, v5
	v_cmp_gt_i32_e64 s17, 0, v46
	v_and_b32_e32 v3, v3, v4
	v_not_b32_e32 v4, v191
	v_ashrrev_i32_e32 v45, 31, v45
	v_xor_b32_e32 v6, vcc_lo, v6
	v_cmp_gt_i32_e32 vcc_lo, 0, v191
	v_and_b32_e32 v3, v3, v5
	v_not_b32_e32 v5, v7
	v_ashrrev_i32_e32 v4, 31, v4
	v_xor_b32_e32 v45, s17, v45
	v_mul_u32_u24_e32 v2, 9, v2
	v_and_b32_e32 v3, v3, v6
	v_cmp_gt_i32_e64 s17, 0, v7
	v_ashrrev_i32_e32 v5, 31, v5
	v_xor_b32_e32 v4, vcc_lo, v4
	v_add_lshl_u32 v6, v2, v122, 2
	v_and_b32_e32 v3, v3, v45
	s_delay_alu instid0(VALU_DEP_4) | instskip(SKIP_3) | instid1(VALU_DEP_2)
	v_xor_b32_e32 v2, s17, v5
	ds_load_b32 v191, v6 offset:1056
	v_and_b32_e32 v3, v3, v4
	v_add_nc_u32_e32 v193, 0x420, v6
	; wave barrier
	v_and_b32_e32 v2, v3, v2
	s_delay_alu instid0(VALU_DEP_1) | instskip(SKIP_1) | instid1(VALU_DEP_2)
	v_mbcnt_lo_u32_b32 v192, v2, 0
	v_cmp_ne_u32_e64 s17, 0, v2
	v_cmp_eq_u32_e32 vcc_lo, 0, v192
	s_delay_alu instid0(VALU_DEP_2) | instskip(NEXT) | instid1(SALU_CYCLE_1)
	s_and_b32 s18, s17, vcc_lo
	s_and_saveexec_b32 s17, s18
	s_cbranch_execz .LBB1051_450
; %bb.449:                              ;   in Loop: Header=BB1051_400 Depth=2
	s_waitcnt lgkmcnt(0)
	v_bcnt_u32_b32 v2, v2, v191
	ds_store_b32 v193, v2
.LBB1051_450:                           ;   in Loop: Header=BB1051_400 Depth=2
	s_or_b32 exec_lo, exec_lo, s17
	v_xor_b32_e32 v9, 0x80008000, v9
	; wave barrier
	s_delay_alu instid0(VALU_DEP_1) | instskip(NEXT) | instid1(VALU_DEP_1)
	v_and_b32_e32 v2, 0xffff, v9
	v_lshrrev_b32_e32 v2, s42, v2
	s_delay_alu instid0(VALU_DEP_1) | instskip(NEXT) | instid1(VALU_DEP_1)
	v_and_b32_e32 v2, s43, v2
	v_and_b32_e32 v3, 1, v2
	v_lshlrev_b32_e32 v4, 30, v2
	v_lshlrev_b32_e32 v5, 29, v2
	;; [unrolled: 1-line block ×4, first 2 shown]
	v_add_co_u32 v3, s17, v3, -1
	s_delay_alu instid0(VALU_DEP_1)
	v_cndmask_b32_e64 v7, 0, 1, s17
	v_not_b32_e32 v195, v4
	v_cmp_gt_i32_e64 s17, 0, v4
	v_not_b32_e32 v4, v5
	v_lshlrev_b32_e32 v46, 26, v2
	v_cmp_ne_u32_e32 vcc_lo, 0, v7
	v_ashrrev_i32_e32 v195, 31, v195
	v_lshlrev_b32_e32 v194, 25, v2
	v_ashrrev_i32_e32 v4, 31, v4
	v_lshlrev_b32_e32 v7, 24, v2
	v_xor_b32_e32 v3, vcc_lo, v3
	v_cmp_gt_i32_e32 vcc_lo, 0, v5
	v_not_b32_e32 v5, v6
	v_xor_b32_e32 v195, s17, v195
	v_cmp_gt_i32_e64 s17, 0, v6
	v_and_b32_e32 v3, exec_lo, v3
	v_not_b32_e32 v6, v45
	v_ashrrev_i32_e32 v5, 31, v5
	v_xor_b32_e32 v4, vcc_lo, v4
	v_cmp_gt_i32_e32 vcc_lo, 0, v45
	v_and_b32_e32 v3, v3, v195
	v_not_b32_e32 v45, v46
	v_ashrrev_i32_e32 v6, 31, v6
	v_xor_b32_e32 v5, s17, v5
	v_cmp_gt_i32_e64 s17, 0, v46
	v_and_b32_e32 v3, v3, v4
	v_not_b32_e32 v4, v194
	v_ashrrev_i32_e32 v45, 31, v45
	v_xor_b32_e32 v6, vcc_lo, v6
	v_cmp_gt_i32_e32 vcc_lo, 0, v194
	v_and_b32_e32 v3, v3, v5
	v_not_b32_e32 v5, v7
	v_ashrrev_i32_e32 v4, 31, v4
	v_xor_b32_e32 v45, s17, v45
	v_mul_u32_u24_e32 v2, 9, v2
	v_and_b32_e32 v3, v3, v6
	v_cmp_gt_i32_e64 s17, 0, v7
	v_ashrrev_i32_e32 v5, 31, v5
	v_xor_b32_e32 v4, vcc_lo, v4
	v_add_lshl_u32 v6, v2, v122, 2
	v_and_b32_e32 v3, v3, v45
	s_delay_alu instid0(VALU_DEP_4) | instskip(SKIP_3) | instid1(VALU_DEP_2)
	v_xor_b32_e32 v2, s17, v5
	ds_load_b32 v195, v6 offset:1056
	v_and_b32_e32 v3, v3, v4
	v_add_nc_u32_e32 v197, 0x420, v6
	; wave barrier
	v_and_b32_e32 v2, v3, v2
	s_delay_alu instid0(VALU_DEP_1) | instskip(SKIP_1) | instid1(VALU_DEP_2)
	v_mbcnt_lo_u32_b32 v196, v2, 0
	v_cmp_ne_u32_e64 s17, 0, v2
	v_cmp_eq_u32_e32 vcc_lo, 0, v196
	s_delay_alu instid0(VALU_DEP_2) | instskip(NEXT) | instid1(SALU_CYCLE_1)
	s_and_b32 s18, s17, vcc_lo
	s_and_saveexec_b32 s17, s18
	s_cbranch_execz .LBB1051_452
; %bb.451:                              ;   in Loop: Header=BB1051_400 Depth=2
	s_waitcnt lgkmcnt(0)
	v_bcnt_u32_b32 v2, v2, v195
	ds_store_b32 v197, v2
.LBB1051_452:                           ;   in Loop: Header=BB1051_400 Depth=2
	s_or_b32 exec_lo, exec_lo, s17
	v_lshrrev_b32_e32 v194, 16, v9
	; wave barrier
	s_delay_alu instid0(VALU_DEP_1) | instskip(NEXT) | instid1(VALU_DEP_1)
	v_lshrrev_b32_e32 v2, s42, v194
	v_and_b32_e32 v2, s43, v2
	s_delay_alu instid0(VALU_DEP_1)
	v_and_b32_e32 v3, 1, v2
	v_lshlrev_b32_e32 v4, 30, v2
	v_lshlrev_b32_e32 v5, 29, v2
	;; [unrolled: 1-line block ×4, first 2 shown]
	v_add_co_u32 v3, s17, v3, -1
	s_delay_alu instid0(VALU_DEP_1)
	v_cndmask_b32_e64 v7, 0, 1, s17
	v_not_b32_e32 v199, v4
	v_cmp_gt_i32_e64 s17, 0, v4
	v_not_b32_e32 v4, v5
	v_lshlrev_b32_e32 v46, 26, v2
	v_cmp_ne_u32_e32 vcc_lo, 0, v7
	v_ashrrev_i32_e32 v199, 31, v199
	v_lshlrev_b32_e32 v198, 25, v2
	v_ashrrev_i32_e32 v4, 31, v4
	v_lshlrev_b32_e32 v7, 24, v2
	v_xor_b32_e32 v3, vcc_lo, v3
	v_cmp_gt_i32_e32 vcc_lo, 0, v5
	v_not_b32_e32 v5, v6
	v_xor_b32_e32 v199, s17, v199
	v_cmp_gt_i32_e64 s17, 0, v6
	v_and_b32_e32 v3, exec_lo, v3
	v_not_b32_e32 v6, v45
	v_ashrrev_i32_e32 v5, 31, v5
	v_xor_b32_e32 v4, vcc_lo, v4
	v_cmp_gt_i32_e32 vcc_lo, 0, v45
	v_and_b32_e32 v3, v3, v199
	v_not_b32_e32 v45, v46
	v_ashrrev_i32_e32 v6, 31, v6
	v_xor_b32_e32 v5, s17, v5
	v_cmp_gt_i32_e64 s17, 0, v46
	v_and_b32_e32 v3, v3, v4
	v_not_b32_e32 v4, v198
	v_ashrrev_i32_e32 v45, 31, v45
	v_xor_b32_e32 v6, vcc_lo, v6
	v_cmp_gt_i32_e32 vcc_lo, 0, v198
	v_and_b32_e32 v3, v3, v5
	v_not_b32_e32 v5, v7
	v_ashrrev_i32_e32 v4, 31, v4
	v_xor_b32_e32 v45, s17, v45
	v_mul_u32_u24_e32 v2, 9, v2
	v_and_b32_e32 v3, v3, v6
	v_cmp_gt_i32_e64 s17, 0, v7
	v_ashrrev_i32_e32 v5, 31, v5
	v_xor_b32_e32 v4, vcc_lo, v4
	v_add_lshl_u32 v6, v2, v122, 2
	v_and_b32_e32 v3, v3, v45
	s_delay_alu instid0(VALU_DEP_4) | instskip(SKIP_3) | instid1(VALU_DEP_2)
	v_xor_b32_e32 v2, s17, v5
	ds_load_b32 v198, v6 offset:1056
	v_and_b32_e32 v3, v3, v4
	v_add_nc_u32_e32 v200, 0x420, v6
	; wave barrier
	v_and_b32_e32 v2, v3, v2
	s_delay_alu instid0(VALU_DEP_1) | instskip(SKIP_1) | instid1(VALU_DEP_2)
	v_mbcnt_lo_u32_b32 v199, v2, 0
	v_cmp_ne_u32_e64 s17, 0, v2
	v_cmp_eq_u32_e32 vcc_lo, 0, v199
	s_delay_alu instid0(VALU_DEP_2) | instskip(NEXT) | instid1(SALU_CYCLE_1)
	s_and_b32 s18, s17, vcc_lo
	s_and_saveexec_b32 s17, s18
	s_cbranch_execz .LBB1051_454
; %bb.453:                              ;   in Loop: Header=BB1051_400 Depth=2
	s_waitcnt lgkmcnt(0)
	v_bcnt_u32_b32 v2, v2, v198
	ds_store_b32 v200, v2
.LBB1051_454:                           ;   in Loop: Header=BB1051_400 Depth=2
	s_or_b32 exec_lo, exec_lo, s17
	; wave barrier
	s_waitcnt lgkmcnt(0)
	s_barrier
	buffer_gl0_inv
	ds_load_b32 v201, v73 offset:1056
	ds_load_2addr_b32 v[45:46], v75 offset0:1 offset1:2
	ds_load_2addr_b32 v[6:7], v75 offset0:3 offset1:4
	;; [unrolled: 1-line block ×4, first 2 shown]
	s_waitcnt lgkmcnt(3)
	v_add3_u32 v202, v45, v201, v46
	s_waitcnt lgkmcnt(2)
	s_delay_alu instid0(VALU_DEP_1) | instskip(SKIP_1) | instid1(VALU_DEP_1)
	v_add3_u32 v202, v202, v6, v7
	s_waitcnt lgkmcnt(1)
	v_add3_u32 v202, v202, v2, v3
	s_waitcnt lgkmcnt(0)
	s_delay_alu instid0(VALU_DEP_1) | instskip(NEXT) | instid1(VALU_DEP_1)
	v_add3_u32 v5, v202, v4, v5
	v_mov_b32_dpp v202, v5 row_shr:1 row_mask:0xf bank_mask:0xf
	s_delay_alu instid0(VALU_DEP_1) | instskip(NEXT) | instid1(VALU_DEP_1)
	v_cndmask_b32_e64 v202, v202, 0, s1
	v_add_nc_u32_e32 v5, v202, v5
	s_delay_alu instid0(VALU_DEP_1) | instskip(NEXT) | instid1(VALU_DEP_1)
	v_mov_b32_dpp v202, v5 row_shr:2 row_mask:0xf bank_mask:0xf
	v_cndmask_b32_e64 v202, 0, v202, s7
	s_delay_alu instid0(VALU_DEP_1) | instskip(NEXT) | instid1(VALU_DEP_1)
	v_add_nc_u32_e32 v5, v5, v202
	v_mov_b32_dpp v202, v5 row_shr:4 row_mask:0xf bank_mask:0xf
	s_delay_alu instid0(VALU_DEP_1) | instskip(NEXT) | instid1(VALU_DEP_1)
	v_cndmask_b32_e64 v202, 0, v202, s8
	v_add_nc_u32_e32 v5, v5, v202
	s_delay_alu instid0(VALU_DEP_1) | instskip(NEXT) | instid1(VALU_DEP_1)
	v_mov_b32_dpp v202, v5 row_shr:8 row_mask:0xf bank_mask:0xf
	v_cndmask_b32_e64 v202, 0, v202, s9
	s_delay_alu instid0(VALU_DEP_1) | instskip(SKIP_3) | instid1(VALU_DEP_1)
	v_add_nc_u32_e32 v5, v5, v202
	ds_swizzle_b32 v202, v5 offset:swizzle(BROADCAST,32,15)
	s_waitcnt lgkmcnt(0)
	v_cndmask_b32_e64 v202, v202, 0, s10
	v_add_nc_u32_e32 v5, v5, v202
	s_and_saveexec_b32 s17, s3
	s_cbranch_execz .LBB1051_456
; %bb.455:                              ;   in Loop: Header=BB1051_400 Depth=2
	ds_store_b32 v65, v5 offset:1024
.LBB1051_456:                           ;   in Loop: Header=BB1051_400 Depth=2
	s_or_b32 exec_lo, exec_lo, s17
	s_waitcnt lgkmcnt(0)
	s_barrier
	buffer_gl0_inv
	s_and_saveexec_b32 s17, s4
	s_cbranch_execz .LBB1051_458
; %bb.457:                              ;   in Loop: Header=BB1051_400 Depth=2
	ds_load_b32 v202, v76 offset:1024
	s_waitcnt lgkmcnt(0)
	v_mov_b32_dpp v203, v202 row_shr:1 row_mask:0xf bank_mask:0xf
	s_delay_alu instid0(VALU_DEP_1) | instskip(NEXT) | instid1(VALU_DEP_1)
	v_cndmask_b32_e64 v203, v203, 0, s12
	v_add_nc_u32_e32 v202, v203, v202
	s_delay_alu instid0(VALU_DEP_1) | instskip(NEXT) | instid1(VALU_DEP_1)
	v_mov_b32_dpp v203, v202 row_shr:2 row_mask:0xf bank_mask:0xf
	v_cndmask_b32_e64 v203, 0, v203, s13
	s_delay_alu instid0(VALU_DEP_1) | instskip(NEXT) | instid1(VALU_DEP_1)
	v_add_nc_u32_e32 v202, v202, v203
	v_mov_b32_dpp v203, v202 row_shr:4 row_mask:0xf bank_mask:0xf
	s_delay_alu instid0(VALU_DEP_1) | instskip(NEXT) | instid1(VALU_DEP_1)
	v_cndmask_b32_e64 v203, 0, v203, s16
	v_add_nc_u32_e32 v202, v202, v203
	ds_store_b32 v76, v202 offset:1024
.LBB1051_458:                           ;   in Loop: Header=BB1051_400 Depth=2
	s_or_b32 exec_lo, exec_lo, s17
	v_mov_b32_e32 v202, 0
	s_waitcnt lgkmcnt(0)
	s_barrier
	buffer_gl0_inv
	s_and_saveexec_b32 s17, s5
	s_cbranch_execz .LBB1051_460
; %bb.459:                              ;   in Loop: Header=BB1051_400 Depth=2
	ds_load_b32 v202, v65 offset:1020
.LBB1051_460:                           ;   in Loop: Header=BB1051_400 Depth=2
	s_or_b32 exec_lo, exec_lo, s17
	s_waitcnt lgkmcnt(0)
	v_add_nc_u32_e32 v5, v202, v5
	ds_bpermute_b32 v5, v101, v5
	s_waitcnt lgkmcnt(0)
	v_cndmask_b32_e64 v5, v5, v202, s11
	s_delay_alu instid0(VALU_DEP_1) | instskip(NEXT) | instid1(VALU_DEP_1)
	v_cndmask_b32_e64 v5, v5, 0, s0
	v_add_nc_u32_e32 v201, v5, v201
	s_delay_alu instid0(VALU_DEP_1) | instskip(NEXT) | instid1(VALU_DEP_1)
	v_add_nc_u32_e32 v45, v201, v45
	v_add_nc_u32_e32 v46, v45, v46
	s_delay_alu instid0(VALU_DEP_1) | instskip(NEXT) | instid1(VALU_DEP_1)
	v_add_nc_u32_e32 v6, v46, v6
	;; [unrolled: 3-line block ×3, first 2 shown]
	v_add_nc_u32_e32 v3, v2, v3
	s_delay_alu instid0(VALU_DEP_1)
	v_add_nc_u32_e32 v4, v3, v4
	ds_store_b32 v73, v5 offset:1056
	ds_store_2addr_b32 v75, v201, v45 offset0:1 offset1:2
	ds_store_2addr_b32 v75, v46, v6 offset0:3 offset1:4
	;; [unrolled: 1-line block ×4, first 2 shown]
	v_mov_b32_e32 v4, 0x1000
	s_waitcnt lgkmcnt(0)
	s_barrier
	buffer_gl0_inv
	ds_load_b32 v5, v147
	ds_load_b32 v6, v151
	;; [unrolled: 1-line block ×16, first 2 shown]
	ds_load_b32 v151, v73 offset:1056
	s_and_saveexec_b32 s17, s6
	s_cbranch_execz .LBB1051_462
; %bb.461:                              ;   in Loop: Header=BB1051_400 Depth=2
	ds_load_b32 v4, v77 offset:1056
.LBB1051_462:                           ;   in Loop: Header=BB1051_400 Depth=2
	s_or_b32 exec_lo, exec_lo, s17
	s_waitcnt lgkmcnt(0)
	s_barrier
	buffer_gl0_inv
	s_and_saveexec_b32 s17, s2
	s_cbranch_execz .LBB1051_464
; %bb.463:                              ;   in Loop: Header=BB1051_400 Depth=2
	ds_load_b32 v155, v47
	s_waitcnt lgkmcnt(0)
	v_sub_nc_u32_e32 v151, v155, v151
	ds_store_b32 v47, v151
.LBB1051_464:                           ;   in Loop: Header=BB1051_400 Depth=2
	s_or_b32 exec_lo, exec_lo, s17
	v_add_nc_u32_e32 v159, v143, v141
	v_add3_u32 v155, v146, v145, v5
	v_add3_u32 v151, v150, v149, v6
	;; [unrolled: 1-line block ×4, first 2 shown]
	v_lshlrev_b32_e32 v153, 1, v159
	v_add3_u32 v45, v192, v191, v2
	v_lshlrev_b32_e32 v2, 1, v155
	v_add3_u32 v149, v158, v157, v46
	v_add3_u32 v146, v166, v165, v163
	;; [unrolled: 1-line block ×5, first 2 shown]
	ds_store_b16 v153, v19 offset:1024
	v_lshlrev_b32_e32 v3, 1, v151
	ds_store_b16 v2, v142 offset:1024
	v_lshlrev_b32_e32 v2, 1, v147
	v_add3_u32 v143, v174, v173, v171
	v_lshlrev_b32_e32 v19, 1, v150
	v_add3_u32 v141, v178, v177, v175
	;; [unrolled: 2-line block ×3, first 2 shown]
	v_add3_u32 v6, v186, v185, v183
	ds_store_b16 v3, v144 offset:1024
	ds_store_b16 v19, v148 offset:1024
	;; [unrolled: 1-line block ×3, first 2 shown]
	v_lshlrev_b32_e32 v3, 1, v146
	ds_store_b16 v2, v156 offset:1024
	v_lshlrev_b32_e32 v2, 1, v145
	v_lshlrev_b32_e32 v19, 1, v143
	;; [unrolled: 1-line block ×3, first 2 shown]
	v_add3_u32 v7, v199, v198, v7
	ds_store_b16 v3, v160 offset:1024
	v_lshlrev_b32_e32 v3, 1, v46
	ds_store_b16 v2, v164 offset:1024
	ds_store_b16 v19, v168 offset:1024
	;; [unrolled: 1-line block ×3, first 2 shown]
	v_lshlrev_b32_e32 v2, 1, v6
	v_cmp_lt_u32_e32 vcc_lo, v18, v0
	v_lshlrev_b32_e32 v19, 1, v45
	ds_store_b16 v3, v176 offset:1024
	v_lshlrev_b32_e32 v3, 1, v5
	ds_store_b16 v2, v180 offset:1024
	v_lshlrev_b32_e32 v2, 1, v7
	v_lshlrev_b32_e32 v142, 1, v8
	ds_store_b16 v3, v184 offset:1024
	ds_store_b16 v19, v188 offset:1024
	;; [unrolled: 1-line block ×4, first 2 shown]
	s_waitcnt lgkmcnt(0)
	s_barrier
	buffer_gl0_inv
	s_and_saveexec_b32 s18, vcc_lo
	s_cbranch_execz .LBB1051_480
; %bb.465:                              ;   in Loop: Header=BB1051_400 Depth=2
	v_add_nc_u32_e32 v2, v76, v82
	ds_load_u16 v142, v2 offset:1024
	s_waitcnt lgkmcnt(0)
	v_and_b32_e32 v2, 0xffff, v142
	s_delay_alu instid0(VALU_DEP_1) | instskip(NEXT) | instid1(VALU_DEP_1)
	v_lshrrev_b32_e32 v2, s42, v2
	v_and_b32_e32 v2, s43, v2
	s_delay_alu instid0(VALU_DEP_1) | instskip(SKIP_3) | instid1(VALU_DEP_1)
	v_lshlrev_b32_e32 v2, 2, v2
	ds_load_b32 v2, v2
	s_waitcnt lgkmcnt(0)
	v_add_nc_u32_e32 v19, v2, v18
	v_lshlrev_b64 v[2:3], 1, v[19:20]
	v_xor_b32_e32 v19, 0xffff8000, v142
	s_delay_alu instid0(VALU_DEP_2) | instskip(NEXT) | instid1(VALU_DEP_1)
	v_add_co_u32 v2, s17, s40, v2
	v_add_co_ci_u32_e64 v3, s17, s41, v3, s17
	global_store_b16 v[2:3], v19, off
	s_or_b32 exec_lo, exec_lo, s18
	v_cmp_lt_u32_e64 s17, v48, v0
	s_delay_alu instid0(VALU_DEP_1)
	s_and_saveexec_b32 s19, s17
	s_cbranch_execnz .LBB1051_481
.LBB1051_466:                           ;   in Loop: Header=BB1051_400 Depth=2
	s_or_b32 exec_lo, exec_lo, s19
	v_cmp_lt_u32_e64 s18, v49, v0
	s_delay_alu instid0(VALU_DEP_1)
	s_and_saveexec_b32 s20, s18
	s_cbranch_execz .LBB1051_482
.LBB1051_467:                           ;   in Loop: Header=BB1051_400 Depth=2
	ds_load_u16 v142, v83 offset:1024
	s_waitcnt lgkmcnt(0)
	v_and_b32_e32 v2, 0xffff, v142
	s_delay_alu instid0(VALU_DEP_1) | instskip(NEXT) | instid1(VALU_DEP_1)
	v_lshrrev_b32_e32 v2, s42, v2
	v_and_b32_e32 v2, s43, v2
	s_delay_alu instid0(VALU_DEP_1) | instskip(SKIP_3) | instid1(VALU_DEP_1)
	v_lshlrev_b32_e32 v2, 2, v2
	ds_load_b32 v2, v2
	s_waitcnt lgkmcnt(0)
	v_add_nc_u32_e32 v19, v2, v49
	v_lshlrev_b64 v[2:3], 1, v[19:20]
	v_xor_b32_e32 v19, 0xffff8000, v142
	s_delay_alu instid0(VALU_DEP_2) | instskip(NEXT) | instid1(VALU_DEP_1)
	v_add_co_u32 v2, s19, s40, v2
	v_add_co_ci_u32_e64 v3, s19, s41, v3, s19
	global_store_b16 v[2:3], v19, off
	s_or_b32 exec_lo, exec_lo, s20
	v_cmp_lt_u32_e64 s19, v50, v0
	s_delay_alu instid0(VALU_DEP_1)
	s_and_saveexec_b32 s21, s19
	s_cbranch_execnz .LBB1051_483
.LBB1051_468:                           ;   in Loop: Header=BB1051_400 Depth=2
	s_or_b32 exec_lo, exec_lo, s21
	v_cmp_lt_u32_e64 s20, v54, v0
	s_delay_alu instid0(VALU_DEP_1)
	s_and_saveexec_b32 s22, s20
	s_cbranch_execz .LBB1051_484
.LBB1051_469:                           ;   in Loop: Header=BB1051_400 Depth=2
	ds_load_u16 v142, v83 offset:2048
	s_waitcnt lgkmcnt(0)
	v_and_b32_e32 v2, 0xffff, v142
	s_delay_alu instid0(VALU_DEP_1) | instskip(NEXT) | instid1(VALU_DEP_1)
	v_lshrrev_b32_e32 v2, s42, v2
	v_and_b32_e32 v2, s43, v2
	s_delay_alu instid0(VALU_DEP_1) | instskip(SKIP_3) | instid1(VALU_DEP_1)
	v_lshlrev_b32_e32 v2, 2, v2
	ds_load_b32 v2, v2
	s_waitcnt lgkmcnt(0)
	v_add_nc_u32_e32 v19, v2, v54
	v_lshlrev_b64 v[2:3], 1, v[19:20]
	v_xor_b32_e32 v19, 0xffff8000, v142
	s_delay_alu instid0(VALU_DEP_2) | instskip(NEXT) | instid1(VALU_DEP_1)
	v_add_co_u32 v2, s21, s40, v2
	v_add_co_ci_u32_e64 v3, s21, s41, v3, s21
	global_store_b16 v[2:3], v19, off
	s_or_b32 exec_lo, exec_lo, s22
	v_cmp_lt_u32_e64 s21, v55, v0
	s_delay_alu instid0(VALU_DEP_1)
	s_and_saveexec_b32 s23, s21
	s_cbranch_execnz .LBB1051_485
.LBB1051_470:                           ;   in Loop: Header=BB1051_400 Depth=2
	s_or_b32 exec_lo, exec_lo, s23
	v_cmp_lt_u32_e64 s22, v56, v0
	s_delay_alu instid0(VALU_DEP_1)
	s_and_saveexec_b32 s24, s22
	s_cbranch_execz .LBB1051_486
.LBB1051_471:                           ;   in Loop: Header=BB1051_400 Depth=2
	ds_load_u16 v142, v83 offset:3072
	s_waitcnt lgkmcnt(0)
	v_and_b32_e32 v2, 0xffff, v142
	s_delay_alu instid0(VALU_DEP_1) | instskip(NEXT) | instid1(VALU_DEP_1)
	v_lshrrev_b32_e32 v2, s42, v2
	v_and_b32_e32 v2, s43, v2
	s_delay_alu instid0(VALU_DEP_1) | instskip(SKIP_3) | instid1(VALU_DEP_1)
	v_lshlrev_b32_e32 v2, 2, v2
	ds_load_b32 v2, v2
	s_waitcnt lgkmcnt(0)
	v_add_nc_u32_e32 v19, v2, v56
	v_lshlrev_b64 v[2:3], 1, v[19:20]
	v_xor_b32_e32 v19, 0xffff8000, v142
	s_delay_alu instid0(VALU_DEP_2) | instskip(NEXT) | instid1(VALU_DEP_1)
	v_add_co_u32 v2, s23, s40, v2
	v_add_co_ci_u32_e64 v3, s23, s41, v3, s23
	global_store_b16 v[2:3], v19, off
	s_or_b32 exec_lo, exec_lo, s24
	v_cmp_lt_u32_e64 s23, v57, v0
	s_delay_alu instid0(VALU_DEP_1)
	s_and_saveexec_b32 s25, s23
	s_cbranch_execnz .LBB1051_487
.LBB1051_472:                           ;   in Loop: Header=BB1051_400 Depth=2
	s_or_b32 exec_lo, exec_lo, s25
	v_cmp_lt_u32_e64 s24, v58, v0
	s_delay_alu instid0(VALU_DEP_1)
	s_and_saveexec_b32 s26, s24
	s_cbranch_execz .LBB1051_488
.LBB1051_473:                           ;   in Loop: Header=BB1051_400 Depth=2
	ds_load_u16 v142, v83 offset:4096
	s_waitcnt lgkmcnt(0)
	v_and_b32_e32 v2, 0xffff, v142
	s_delay_alu instid0(VALU_DEP_1) | instskip(NEXT) | instid1(VALU_DEP_1)
	v_lshrrev_b32_e32 v2, s42, v2
	v_and_b32_e32 v2, s43, v2
	s_delay_alu instid0(VALU_DEP_1) | instskip(SKIP_3) | instid1(VALU_DEP_1)
	v_lshlrev_b32_e32 v2, 2, v2
	ds_load_b32 v2, v2
	s_waitcnt lgkmcnt(0)
	v_add_nc_u32_e32 v19, v2, v58
	v_lshlrev_b64 v[2:3], 1, v[19:20]
	v_xor_b32_e32 v19, 0xffff8000, v142
	s_delay_alu instid0(VALU_DEP_2) | instskip(NEXT) | instid1(VALU_DEP_1)
	v_add_co_u32 v2, s25, s40, v2
	v_add_co_ci_u32_e64 v3, s25, s41, v3, s25
	global_store_b16 v[2:3], v19, off
	s_or_b32 exec_lo, exec_lo, s26
	v_cmp_lt_u32_e64 s25, v59, v0
	s_delay_alu instid0(VALU_DEP_1)
	s_and_saveexec_b32 s27, s25
	s_cbranch_execnz .LBB1051_489
.LBB1051_474:                           ;   in Loop: Header=BB1051_400 Depth=2
	s_or_b32 exec_lo, exec_lo, s27
	v_cmp_lt_u32_e64 s26, v60, v0
	s_delay_alu instid0(VALU_DEP_1)
	s_and_saveexec_b32 s28, s26
	s_cbranch_execz .LBB1051_490
.LBB1051_475:                           ;   in Loop: Header=BB1051_400 Depth=2
	ds_load_u16 v142, v83 offset:5120
	s_waitcnt lgkmcnt(0)
	v_and_b32_e32 v2, 0xffff, v142
	s_delay_alu instid0(VALU_DEP_1) | instskip(NEXT) | instid1(VALU_DEP_1)
	v_lshrrev_b32_e32 v2, s42, v2
	v_and_b32_e32 v2, s43, v2
	s_delay_alu instid0(VALU_DEP_1) | instskip(SKIP_3) | instid1(VALU_DEP_1)
	v_lshlrev_b32_e32 v2, 2, v2
	ds_load_b32 v2, v2
	s_waitcnt lgkmcnt(0)
	v_add_nc_u32_e32 v19, v2, v60
	v_lshlrev_b64 v[2:3], 1, v[19:20]
	v_xor_b32_e32 v19, 0xffff8000, v142
	s_delay_alu instid0(VALU_DEP_2) | instskip(NEXT) | instid1(VALU_DEP_1)
	v_add_co_u32 v2, s27, s40, v2
	v_add_co_ci_u32_e64 v3, s27, s41, v3, s27
	global_store_b16 v[2:3], v19, off
	s_or_b32 exec_lo, exec_lo, s28
	v_cmp_lt_u32_e64 s27, v61, v0
	s_delay_alu instid0(VALU_DEP_1)
	s_and_saveexec_b32 s29, s27
	s_cbranch_execnz .LBB1051_491
.LBB1051_476:                           ;   in Loop: Header=BB1051_400 Depth=2
	s_or_b32 exec_lo, exec_lo, s29
	v_cmp_lt_u32_e64 s28, v62, v0
	s_delay_alu instid0(VALU_DEP_1)
	s_and_saveexec_b32 s30, s28
	s_cbranch_execz .LBB1051_492
.LBB1051_477:                           ;   in Loop: Header=BB1051_400 Depth=2
	ds_load_u16 v142, v83 offset:6144
	s_waitcnt lgkmcnt(0)
	v_and_b32_e32 v2, 0xffff, v142
	s_delay_alu instid0(VALU_DEP_1) | instskip(NEXT) | instid1(VALU_DEP_1)
	v_lshrrev_b32_e32 v2, s42, v2
	v_and_b32_e32 v2, s43, v2
	s_delay_alu instid0(VALU_DEP_1) | instskip(SKIP_3) | instid1(VALU_DEP_1)
	v_lshlrev_b32_e32 v2, 2, v2
	ds_load_b32 v2, v2
	s_waitcnt lgkmcnt(0)
	v_add_nc_u32_e32 v19, v2, v62
	v_lshlrev_b64 v[2:3], 1, v[19:20]
	v_xor_b32_e32 v19, 0xffff8000, v142
	s_delay_alu instid0(VALU_DEP_2) | instskip(NEXT) | instid1(VALU_DEP_1)
	v_add_co_u32 v2, s29, s40, v2
	v_add_co_ci_u32_e64 v3, s29, s41, v3, s29
	global_store_b16 v[2:3], v19, off
	s_or_b32 exec_lo, exec_lo, s30
	v_cmp_lt_u32_e64 s29, v63, v0
	s_delay_alu instid0(VALU_DEP_1)
	s_and_saveexec_b32 s31, s29
	s_cbranch_execnz .LBB1051_493
.LBB1051_478:                           ;   in Loop: Header=BB1051_400 Depth=2
	s_or_b32 exec_lo, exec_lo, s31
	v_cmp_lt_u32_e64 s30, v64, v0
	s_delay_alu instid0(VALU_DEP_1)
	s_and_saveexec_b32 s33, s30
	s_cbranch_execz .LBB1051_494
.LBB1051_479:                           ;   in Loop: Header=BB1051_400 Depth=2
	ds_load_u16 v142, v83 offset:7168
	s_waitcnt lgkmcnt(0)
	v_and_b32_e32 v2, 0xffff, v142
	s_delay_alu instid0(VALU_DEP_1) | instskip(NEXT) | instid1(VALU_DEP_1)
	v_lshrrev_b32_e32 v2, s42, v2
	v_and_b32_e32 v2, s43, v2
	s_delay_alu instid0(VALU_DEP_1) | instskip(SKIP_3) | instid1(VALU_DEP_1)
	v_lshlrev_b32_e32 v2, 2, v2
	ds_load_b32 v2, v2
	s_waitcnt lgkmcnt(0)
	v_add_nc_u32_e32 v19, v2, v64
	v_lshlrev_b64 v[2:3], 1, v[19:20]
	v_xor_b32_e32 v19, 0xffff8000, v142
	s_delay_alu instid0(VALU_DEP_2) | instskip(NEXT) | instid1(VALU_DEP_1)
	v_add_co_u32 v2, s31, s40, v2
	v_add_co_ci_u32_e64 v3, s31, s41, v3, s31
	global_store_b16 v[2:3], v19, off
	s_or_b32 exec_lo, exec_lo, s33
	v_cmp_lt_u32_e64 s31, v66, v0
	s_delay_alu instid0(VALU_DEP_1)
	s_and_saveexec_b32 s45, s31
	s_cbranch_execnz .LBB1051_495
	s_branch .LBB1051_496
.LBB1051_480:                           ;   in Loop: Header=BB1051_400 Depth=2
	s_or_b32 exec_lo, exec_lo, s18
	v_cmp_lt_u32_e64 s17, v48, v0
	s_delay_alu instid0(VALU_DEP_1)
	s_and_saveexec_b32 s19, s17
	s_cbranch_execz .LBB1051_466
.LBB1051_481:                           ;   in Loop: Header=BB1051_400 Depth=2
	ds_load_u16 v142, v83 offset:512
	s_waitcnt lgkmcnt(0)
	v_and_b32_e32 v2, 0xffff, v142
	s_delay_alu instid0(VALU_DEP_1) | instskip(NEXT) | instid1(VALU_DEP_1)
	v_lshrrev_b32_e32 v2, s42, v2
	v_and_b32_e32 v2, s43, v2
	s_delay_alu instid0(VALU_DEP_1) | instskip(SKIP_3) | instid1(VALU_DEP_1)
	v_lshlrev_b32_e32 v2, 2, v2
	ds_load_b32 v2, v2
	s_waitcnt lgkmcnt(0)
	v_add_nc_u32_e32 v19, v2, v48
	v_lshlrev_b64 v[2:3], 1, v[19:20]
	v_xor_b32_e32 v19, 0xffff8000, v142
	s_delay_alu instid0(VALU_DEP_2) | instskip(NEXT) | instid1(VALU_DEP_1)
	v_add_co_u32 v2, s18, s40, v2
	v_add_co_ci_u32_e64 v3, s18, s41, v3, s18
	global_store_b16 v[2:3], v19, off
	s_or_b32 exec_lo, exec_lo, s19
	v_cmp_lt_u32_e64 s18, v49, v0
	s_delay_alu instid0(VALU_DEP_1)
	s_and_saveexec_b32 s20, s18
	s_cbranch_execnz .LBB1051_467
.LBB1051_482:                           ;   in Loop: Header=BB1051_400 Depth=2
	s_or_b32 exec_lo, exec_lo, s20
	v_cmp_lt_u32_e64 s19, v50, v0
	s_delay_alu instid0(VALU_DEP_1)
	s_and_saveexec_b32 s21, s19
	s_cbranch_execz .LBB1051_468
.LBB1051_483:                           ;   in Loop: Header=BB1051_400 Depth=2
	ds_load_u16 v142, v83 offset:1536
	s_waitcnt lgkmcnt(0)
	v_and_b32_e32 v2, 0xffff, v142
	s_delay_alu instid0(VALU_DEP_1) | instskip(NEXT) | instid1(VALU_DEP_1)
	v_lshrrev_b32_e32 v2, s42, v2
	v_and_b32_e32 v2, s43, v2
	s_delay_alu instid0(VALU_DEP_1) | instskip(SKIP_3) | instid1(VALU_DEP_1)
	v_lshlrev_b32_e32 v2, 2, v2
	ds_load_b32 v2, v2
	s_waitcnt lgkmcnt(0)
	v_add_nc_u32_e32 v19, v2, v50
	v_lshlrev_b64 v[2:3], 1, v[19:20]
	v_xor_b32_e32 v19, 0xffff8000, v142
	s_delay_alu instid0(VALU_DEP_2) | instskip(NEXT) | instid1(VALU_DEP_1)
	v_add_co_u32 v2, s20, s40, v2
	v_add_co_ci_u32_e64 v3, s20, s41, v3, s20
	global_store_b16 v[2:3], v19, off
	s_or_b32 exec_lo, exec_lo, s21
	v_cmp_lt_u32_e64 s20, v54, v0
	s_delay_alu instid0(VALU_DEP_1)
	s_and_saveexec_b32 s22, s20
	s_cbranch_execnz .LBB1051_469
.LBB1051_484:                           ;   in Loop: Header=BB1051_400 Depth=2
	s_or_b32 exec_lo, exec_lo, s22
	v_cmp_lt_u32_e64 s21, v55, v0
	s_delay_alu instid0(VALU_DEP_1)
	s_and_saveexec_b32 s23, s21
	s_cbranch_execz .LBB1051_470
.LBB1051_485:                           ;   in Loop: Header=BB1051_400 Depth=2
	ds_load_u16 v142, v83 offset:2560
	s_waitcnt lgkmcnt(0)
	v_and_b32_e32 v2, 0xffff, v142
	s_delay_alu instid0(VALU_DEP_1) | instskip(NEXT) | instid1(VALU_DEP_1)
	v_lshrrev_b32_e32 v2, s42, v2
	v_and_b32_e32 v2, s43, v2
	s_delay_alu instid0(VALU_DEP_1) | instskip(SKIP_3) | instid1(VALU_DEP_1)
	v_lshlrev_b32_e32 v2, 2, v2
	ds_load_b32 v2, v2
	s_waitcnt lgkmcnt(0)
	v_add_nc_u32_e32 v19, v2, v55
	v_lshlrev_b64 v[2:3], 1, v[19:20]
	v_xor_b32_e32 v19, 0xffff8000, v142
	s_delay_alu instid0(VALU_DEP_2) | instskip(NEXT) | instid1(VALU_DEP_1)
	v_add_co_u32 v2, s22, s40, v2
	v_add_co_ci_u32_e64 v3, s22, s41, v3, s22
	global_store_b16 v[2:3], v19, off
	s_or_b32 exec_lo, exec_lo, s23
	v_cmp_lt_u32_e64 s22, v56, v0
	s_delay_alu instid0(VALU_DEP_1)
	s_and_saveexec_b32 s24, s22
	s_cbranch_execnz .LBB1051_471
.LBB1051_486:                           ;   in Loop: Header=BB1051_400 Depth=2
	s_or_b32 exec_lo, exec_lo, s24
	v_cmp_lt_u32_e64 s23, v57, v0
	s_delay_alu instid0(VALU_DEP_1)
	s_and_saveexec_b32 s25, s23
	s_cbranch_execz .LBB1051_472
.LBB1051_487:                           ;   in Loop: Header=BB1051_400 Depth=2
	ds_load_u16 v142, v83 offset:3584
	s_waitcnt lgkmcnt(0)
	v_and_b32_e32 v2, 0xffff, v142
	s_delay_alu instid0(VALU_DEP_1) | instskip(NEXT) | instid1(VALU_DEP_1)
	v_lshrrev_b32_e32 v2, s42, v2
	v_and_b32_e32 v2, s43, v2
	s_delay_alu instid0(VALU_DEP_1) | instskip(SKIP_3) | instid1(VALU_DEP_1)
	v_lshlrev_b32_e32 v2, 2, v2
	ds_load_b32 v2, v2
	s_waitcnt lgkmcnt(0)
	v_add_nc_u32_e32 v19, v2, v57
	v_lshlrev_b64 v[2:3], 1, v[19:20]
	v_xor_b32_e32 v19, 0xffff8000, v142
	s_delay_alu instid0(VALU_DEP_2) | instskip(NEXT) | instid1(VALU_DEP_1)
	v_add_co_u32 v2, s24, s40, v2
	v_add_co_ci_u32_e64 v3, s24, s41, v3, s24
	global_store_b16 v[2:3], v19, off
	s_or_b32 exec_lo, exec_lo, s25
	v_cmp_lt_u32_e64 s24, v58, v0
	s_delay_alu instid0(VALU_DEP_1)
	s_and_saveexec_b32 s26, s24
	s_cbranch_execnz .LBB1051_473
.LBB1051_488:                           ;   in Loop: Header=BB1051_400 Depth=2
	s_or_b32 exec_lo, exec_lo, s26
	v_cmp_lt_u32_e64 s25, v59, v0
	s_delay_alu instid0(VALU_DEP_1)
	s_and_saveexec_b32 s27, s25
	s_cbranch_execz .LBB1051_474
.LBB1051_489:                           ;   in Loop: Header=BB1051_400 Depth=2
	ds_load_u16 v142, v83 offset:4608
	s_waitcnt lgkmcnt(0)
	v_and_b32_e32 v2, 0xffff, v142
	s_delay_alu instid0(VALU_DEP_1) | instskip(NEXT) | instid1(VALU_DEP_1)
	v_lshrrev_b32_e32 v2, s42, v2
	v_and_b32_e32 v2, s43, v2
	s_delay_alu instid0(VALU_DEP_1) | instskip(SKIP_3) | instid1(VALU_DEP_1)
	v_lshlrev_b32_e32 v2, 2, v2
	ds_load_b32 v2, v2
	s_waitcnt lgkmcnt(0)
	v_add_nc_u32_e32 v19, v2, v59
	v_lshlrev_b64 v[2:3], 1, v[19:20]
	v_xor_b32_e32 v19, 0xffff8000, v142
	s_delay_alu instid0(VALU_DEP_2) | instskip(NEXT) | instid1(VALU_DEP_1)
	v_add_co_u32 v2, s26, s40, v2
	v_add_co_ci_u32_e64 v3, s26, s41, v3, s26
	global_store_b16 v[2:3], v19, off
	s_or_b32 exec_lo, exec_lo, s27
	v_cmp_lt_u32_e64 s26, v60, v0
	s_delay_alu instid0(VALU_DEP_1)
	s_and_saveexec_b32 s28, s26
	s_cbranch_execnz .LBB1051_475
.LBB1051_490:                           ;   in Loop: Header=BB1051_400 Depth=2
	s_or_b32 exec_lo, exec_lo, s28
	v_cmp_lt_u32_e64 s27, v61, v0
	s_delay_alu instid0(VALU_DEP_1)
	s_and_saveexec_b32 s29, s27
	s_cbranch_execz .LBB1051_476
.LBB1051_491:                           ;   in Loop: Header=BB1051_400 Depth=2
	ds_load_u16 v142, v83 offset:5632
	s_waitcnt lgkmcnt(0)
	v_and_b32_e32 v2, 0xffff, v142
	s_delay_alu instid0(VALU_DEP_1) | instskip(NEXT) | instid1(VALU_DEP_1)
	v_lshrrev_b32_e32 v2, s42, v2
	v_and_b32_e32 v2, s43, v2
	s_delay_alu instid0(VALU_DEP_1) | instskip(SKIP_3) | instid1(VALU_DEP_1)
	v_lshlrev_b32_e32 v2, 2, v2
	ds_load_b32 v2, v2
	s_waitcnt lgkmcnt(0)
	v_add_nc_u32_e32 v19, v2, v61
	v_lshlrev_b64 v[2:3], 1, v[19:20]
	v_xor_b32_e32 v19, 0xffff8000, v142
	s_delay_alu instid0(VALU_DEP_2) | instskip(NEXT) | instid1(VALU_DEP_1)
	v_add_co_u32 v2, s28, s40, v2
	v_add_co_ci_u32_e64 v3, s28, s41, v3, s28
	global_store_b16 v[2:3], v19, off
	s_or_b32 exec_lo, exec_lo, s29
	v_cmp_lt_u32_e64 s28, v62, v0
	s_delay_alu instid0(VALU_DEP_1)
	s_and_saveexec_b32 s30, s28
	s_cbranch_execnz .LBB1051_477
.LBB1051_492:                           ;   in Loop: Header=BB1051_400 Depth=2
	s_or_b32 exec_lo, exec_lo, s30
	v_cmp_lt_u32_e64 s29, v63, v0
	s_delay_alu instid0(VALU_DEP_1)
	s_and_saveexec_b32 s31, s29
	s_cbranch_execz .LBB1051_478
.LBB1051_493:                           ;   in Loop: Header=BB1051_400 Depth=2
	ds_load_u16 v142, v83 offset:6656
	s_waitcnt lgkmcnt(0)
	v_and_b32_e32 v2, 0xffff, v142
	s_delay_alu instid0(VALU_DEP_1) | instskip(NEXT) | instid1(VALU_DEP_1)
	v_lshrrev_b32_e32 v2, s42, v2
	v_and_b32_e32 v2, s43, v2
	s_delay_alu instid0(VALU_DEP_1) | instskip(SKIP_3) | instid1(VALU_DEP_1)
	v_lshlrev_b32_e32 v2, 2, v2
	ds_load_b32 v2, v2
	s_waitcnt lgkmcnt(0)
	v_add_nc_u32_e32 v19, v2, v63
	v_lshlrev_b64 v[2:3], 1, v[19:20]
	v_xor_b32_e32 v19, 0xffff8000, v142
	s_delay_alu instid0(VALU_DEP_2) | instskip(NEXT) | instid1(VALU_DEP_1)
	v_add_co_u32 v2, s30, s40, v2
	v_add_co_ci_u32_e64 v3, s30, s41, v3, s30
	global_store_b16 v[2:3], v19, off
	s_or_b32 exec_lo, exec_lo, s31
	v_cmp_lt_u32_e64 s30, v64, v0
	s_delay_alu instid0(VALU_DEP_1)
	s_and_saveexec_b32 s33, s30
	s_cbranch_execnz .LBB1051_479
.LBB1051_494:                           ;   in Loop: Header=BB1051_400 Depth=2
	s_or_b32 exec_lo, exec_lo, s33
	v_cmp_lt_u32_e64 s31, v66, v0
	s_delay_alu instid0(VALU_DEP_1)
	s_and_saveexec_b32 s45, s31
	s_cbranch_execz .LBB1051_496
.LBB1051_495:                           ;   in Loop: Header=BB1051_400 Depth=2
	ds_load_u16 v142, v83 offset:7680
	s_waitcnt lgkmcnt(0)
	v_and_b32_e32 v2, 0xffff, v142
	s_delay_alu instid0(VALU_DEP_1) | instskip(NEXT) | instid1(VALU_DEP_1)
	v_lshrrev_b32_e32 v2, s42, v2
	v_and_b32_e32 v2, s43, v2
	s_delay_alu instid0(VALU_DEP_1) | instskip(SKIP_3) | instid1(VALU_DEP_1)
	v_lshlrev_b32_e32 v2, 2, v2
	ds_load_b32 v2, v2
	s_waitcnt lgkmcnt(0)
	v_add_nc_u32_e32 v19, v2, v66
	v_lshlrev_b64 v[2:3], 1, v[19:20]
	v_xor_b32_e32 v19, 0xffff8000, v142
	s_delay_alu instid0(VALU_DEP_2) | instskip(NEXT) | instid1(VALU_DEP_1)
	v_add_co_u32 v2, s33, s40, v2
	v_add_co_ci_u32_e64 v3, s33, s41, v3, s33
	global_store_b16 v[2:3], v19, off
.LBB1051_496:                           ;   in Loop: Header=BB1051_400 Depth=2
	s_or_b32 exec_lo, exec_lo, s45
	s_lshl_b64 s[46:47], s[34:35], 3
	s_delay_alu instid0(SALU_CYCLE_1) | instskip(NEXT) | instid1(VALU_DEP_1)
	v_add_co_u32 v2, s33, v103, s46
	v_add_co_ci_u32_e64 v3, s33, s47, v104, s33
	v_cmp_lt_u32_e64 s33, v102, v0
	s_delay_alu instid0(VALU_DEP_1) | instskip(NEXT) | instid1(SALU_CYCLE_1)
	s_and_saveexec_b32 s34, s33
	s_xor_b32 s33, exec_lo, s34
	s_cbranch_execz .LBB1051_528
; %bb.497:                              ;   in Loop: Header=BB1051_400 Depth=2
	global_load_b64 v[43:44], v[2:3], off
	s_or_b32 exec_lo, exec_lo, s33
	s_delay_alu instid0(SALU_CYCLE_1)
	s_mov_b32 s34, exec_lo
	v_cmpx_lt_u32_e64 v105, v0
	s_cbranch_execnz .LBB1051_529
.LBB1051_498:                           ;   in Loop: Header=BB1051_400 Depth=2
	s_or_b32 exec_lo, exec_lo, s34
	s_delay_alu instid0(SALU_CYCLE_1)
	s_mov_b32 s34, exec_lo
	v_cmpx_lt_u32_e64 v106, v0
	s_cbranch_execz .LBB1051_530
.LBB1051_499:                           ;   in Loop: Header=BB1051_400 Depth=2
	global_load_b64 v[39:40], v[2:3], off offset:512
	s_or_b32 exec_lo, exec_lo, s34
	s_delay_alu instid0(SALU_CYCLE_1)
	s_mov_b32 s34, exec_lo
	v_cmpx_lt_u32_e64 v107, v0
	s_cbranch_execnz .LBB1051_531
.LBB1051_500:                           ;   in Loop: Header=BB1051_400 Depth=2
	s_or_b32 exec_lo, exec_lo, s34
	s_delay_alu instid0(SALU_CYCLE_1)
	s_mov_b32 s34, exec_lo
	v_cmpx_lt_u32_e64 v108, v0
	s_cbranch_execz .LBB1051_532
.LBB1051_501:                           ;   in Loop: Header=BB1051_400 Depth=2
	global_load_b64 v[35:36], v[2:3], off offset:1024
	s_or_b32 exec_lo, exec_lo, s34
	s_delay_alu instid0(SALU_CYCLE_1)
	s_mov_b32 s34, exec_lo
	v_cmpx_lt_u32_e64 v109, v0
	s_cbranch_execnz .LBB1051_533
.LBB1051_502:                           ;   in Loop: Header=BB1051_400 Depth=2
	s_or_b32 exec_lo, exec_lo, s34
	s_delay_alu instid0(SALU_CYCLE_1)
	s_mov_b32 s34, exec_lo
	v_cmpx_lt_u32_e64 v110, v0
	s_cbranch_execz .LBB1051_534
.LBB1051_503:                           ;   in Loop: Header=BB1051_400 Depth=2
	global_load_b64 v[31:32], v[2:3], off offset:1536
	s_or_b32 exec_lo, exec_lo, s34
	s_delay_alu instid0(SALU_CYCLE_1)
	s_mov_b32 s34, exec_lo
	v_cmpx_lt_u32_e64 v111, v0
	s_cbranch_execnz .LBB1051_535
.LBB1051_504:                           ;   in Loop: Header=BB1051_400 Depth=2
	s_or_b32 exec_lo, exec_lo, s34
	s_delay_alu instid0(SALU_CYCLE_1)
	s_mov_b32 s34, exec_lo
	v_cmpx_lt_u32_e64 v112, v0
	s_cbranch_execz .LBB1051_536
.LBB1051_505:                           ;   in Loop: Header=BB1051_400 Depth=2
	global_load_b64 v[27:28], v[2:3], off offset:2048
	s_or_b32 exec_lo, exec_lo, s34
	s_delay_alu instid0(SALU_CYCLE_1)
	s_mov_b32 s34, exec_lo
	v_cmpx_lt_u32_e64 v113, v0
	s_cbranch_execnz .LBB1051_537
.LBB1051_506:                           ;   in Loop: Header=BB1051_400 Depth=2
	s_or_b32 exec_lo, exec_lo, s34
	s_delay_alu instid0(SALU_CYCLE_1)
	s_mov_b32 s34, exec_lo
	v_cmpx_lt_u32_e64 v114, v0
	s_cbranch_execz .LBB1051_538
.LBB1051_507:                           ;   in Loop: Header=BB1051_400 Depth=2
	global_load_b64 v[23:24], v[2:3], off offset:2560
	s_or_b32 exec_lo, exec_lo, s34
	s_delay_alu instid0(SALU_CYCLE_1)
	s_mov_b32 s34, exec_lo
	v_cmpx_lt_u32_e64 v115, v0
	s_cbranch_execnz .LBB1051_539
.LBB1051_508:                           ;   in Loop: Header=BB1051_400 Depth=2
	s_or_b32 exec_lo, exec_lo, s34
	s_delay_alu instid0(SALU_CYCLE_1)
	s_mov_b32 s34, exec_lo
	v_cmpx_lt_u32_e64 v116, v0
	s_cbranch_execz .LBB1051_540
.LBB1051_509:                           ;   in Loop: Header=BB1051_400 Depth=2
	global_load_b64 v[16:17], v[2:3], off offset:3072
	s_or_b32 exec_lo, exec_lo, s34
	s_delay_alu instid0(SALU_CYCLE_1)
	s_mov_b32 s34, exec_lo
	v_cmpx_lt_u32_e64 v117, v0
	s_cbranch_execnz .LBB1051_541
.LBB1051_510:                           ;   in Loop: Header=BB1051_400 Depth=2
	s_or_b32 exec_lo, exec_lo, s34
	s_delay_alu instid0(SALU_CYCLE_1)
	s_mov_b32 s34, exec_lo
	v_cmpx_lt_u32_e64 v118, v0
	s_cbranch_execz .LBB1051_542
.LBB1051_511:                           ;   in Loop: Header=BB1051_400 Depth=2
	global_load_b64 v[12:13], v[2:3], off offset:3584
	s_or_b32 exec_lo, exec_lo, s34
	s_delay_alu instid0(SALU_CYCLE_1)
	s_mov_b32 s34, exec_lo
	v_cmpx_lt_u32_e64 v119, v0
	s_cbranch_execnz .LBB1051_543
.LBB1051_512:                           ;   in Loop: Header=BB1051_400 Depth=2
	s_or_b32 exec_lo, exec_lo, s34
	s_and_saveexec_b32 s33, vcc_lo
	s_cbranch_execz .LBB1051_544
.LBB1051_513:                           ;   in Loop: Header=BB1051_400 Depth=2
	v_add_nc_u32_e32 v0, v76, v82
	ds_load_u16 v0, v0 offset:1024
	s_waitcnt lgkmcnt(0)
	v_lshrrev_b32_e32 v0, s42, v0
	s_delay_alu instid0(VALU_DEP_1)
	v_and_b32_e32 v140, s43, v0
	s_or_b32 exec_lo, exec_lo, s33
	s_and_saveexec_b32 s33, s17
	s_cbranch_execnz .LBB1051_545
.LBB1051_514:                           ;   in Loop: Header=BB1051_400 Depth=2
	s_or_b32 exec_lo, exec_lo, s33
	s_and_saveexec_b32 s33, s18
	s_cbranch_execz .LBB1051_546
.LBB1051_515:                           ;   in Loop: Header=BB1051_400 Depth=2
	ds_load_u16 v0, v83 offset:1024
	s_waitcnt lgkmcnt(0)
	v_lshrrev_b32_e32 v0, s42, v0
	s_delay_alu instid0(VALU_DEP_1)
	v_and_b32_e32 v138, s43, v0
	s_or_b32 exec_lo, exec_lo, s33
	s_and_saveexec_b32 s33, s19
	s_cbranch_execnz .LBB1051_547
.LBB1051_516:                           ;   in Loop: Header=BB1051_400 Depth=2
	s_or_b32 exec_lo, exec_lo, s33
	s_and_saveexec_b32 s33, s20
	s_cbranch_execz .LBB1051_548
.LBB1051_517:                           ;   in Loop: Header=BB1051_400 Depth=2
	ds_load_u16 v0, v83 offset:2048
	s_waitcnt lgkmcnt(0)
	v_lshrrev_b32_e32 v0, s42, v0
	s_delay_alu instid0(VALU_DEP_1)
	v_and_b32_e32 v136, s43, v0
	s_or_b32 exec_lo, exec_lo, s33
	s_and_saveexec_b32 s33, s21
	s_cbranch_execnz .LBB1051_549
.LBB1051_518:                           ;   in Loop: Header=BB1051_400 Depth=2
	s_or_b32 exec_lo, exec_lo, s33
	s_and_saveexec_b32 s33, s22
	s_cbranch_execz .LBB1051_550
.LBB1051_519:                           ;   in Loop: Header=BB1051_400 Depth=2
	ds_load_u16 v0, v83 offset:3072
	s_waitcnt lgkmcnt(0)
	v_lshrrev_b32_e32 v0, s42, v0
	s_delay_alu instid0(VALU_DEP_1)
	v_and_b32_e32 v134, s43, v0
	s_or_b32 exec_lo, exec_lo, s33
	s_and_saveexec_b32 s33, s23
	s_cbranch_execnz .LBB1051_551
.LBB1051_520:                           ;   in Loop: Header=BB1051_400 Depth=2
	s_or_b32 exec_lo, exec_lo, s33
	s_and_saveexec_b32 s33, s24
	s_cbranch_execz .LBB1051_552
.LBB1051_521:                           ;   in Loop: Header=BB1051_400 Depth=2
	ds_load_u16 v0, v83 offset:4096
	s_waitcnt lgkmcnt(0)
	v_lshrrev_b32_e32 v0, s42, v0
	s_delay_alu instid0(VALU_DEP_1)
	v_and_b32_e32 v132, s43, v0
	s_or_b32 exec_lo, exec_lo, s33
	s_and_saveexec_b32 s33, s25
	s_cbranch_execnz .LBB1051_553
.LBB1051_522:                           ;   in Loop: Header=BB1051_400 Depth=2
	s_or_b32 exec_lo, exec_lo, s33
	s_and_saveexec_b32 s33, s26
	s_cbranch_execz .LBB1051_554
.LBB1051_523:                           ;   in Loop: Header=BB1051_400 Depth=2
	ds_load_u16 v0, v83 offset:5120
	s_waitcnt lgkmcnt(0)
	v_lshrrev_b32_e32 v0, s42, v0
	s_delay_alu instid0(VALU_DEP_1)
	v_and_b32_e32 v130, s43, v0
	s_or_b32 exec_lo, exec_lo, s33
	s_and_saveexec_b32 s33, s27
	s_cbranch_execnz .LBB1051_555
.LBB1051_524:                           ;   in Loop: Header=BB1051_400 Depth=2
	s_or_b32 exec_lo, exec_lo, s33
	s_and_saveexec_b32 s33, s28
	s_cbranch_execz .LBB1051_556
.LBB1051_525:                           ;   in Loop: Header=BB1051_400 Depth=2
	ds_load_u16 v0, v83 offset:6144
	s_waitcnt lgkmcnt(0)
	v_lshrrev_b32_e32 v0, s42, v0
	s_delay_alu instid0(VALU_DEP_1)
	v_and_b32_e32 v128, s43, v0
	s_or_b32 exec_lo, exec_lo, s33
	s_and_saveexec_b32 s33, s29
	s_cbranch_execnz .LBB1051_557
.LBB1051_526:                           ;   in Loop: Header=BB1051_400 Depth=2
	s_or_b32 exec_lo, exec_lo, s33
	s_and_saveexec_b32 s33, s30
	s_cbranch_execz .LBB1051_558
.LBB1051_527:                           ;   in Loop: Header=BB1051_400 Depth=2
	ds_load_u16 v0, v83 offset:7168
	s_waitcnt lgkmcnt(0)
	v_lshrrev_b32_e32 v0, s42, v0
	s_delay_alu instid0(VALU_DEP_1)
	v_and_b32_e32 v126, s43, v0
	s_or_b32 exec_lo, exec_lo, s33
	s_and_saveexec_b32 s33, s31
	s_cbranch_execnz .LBB1051_559
	s_branch .LBB1051_560
.LBB1051_528:                           ;   in Loop: Header=BB1051_400 Depth=2
	s_or_b32 exec_lo, exec_lo, s33
	s_delay_alu instid0(SALU_CYCLE_1)
	s_mov_b32 s34, exec_lo
	v_cmpx_lt_u32_e64 v105, v0
	s_cbranch_execz .LBB1051_498
.LBB1051_529:                           ;   in Loop: Header=BB1051_400 Depth=2
	global_load_b64 v[41:42], v[2:3], off offset:256
	s_or_b32 exec_lo, exec_lo, s34
	s_delay_alu instid0(SALU_CYCLE_1)
	s_mov_b32 s34, exec_lo
	v_cmpx_lt_u32_e64 v106, v0
	s_cbranch_execnz .LBB1051_499
.LBB1051_530:                           ;   in Loop: Header=BB1051_400 Depth=2
	s_or_b32 exec_lo, exec_lo, s34
	s_delay_alu instid0(SALU_CYCLE_1)
	s_mov_b32 s34, exec_lo
	v_cmpx_lt_u32_e64 v107, v0
	s_cbranch_execz .LBB1051_500
.LBB1051_531:                           ;   in Loop: Header=BB1051_400 Depth=2
	global_load_b64 v[37:38], v[2:3], off offset:768
	s_or_b32 exec_lo, exec_lo, s34
	s_delay_alu instid0(SALU_CYCLE_1)
	s_mov_b32 s34, exec_lo
	v_cmpx_lt_u32_e64 v108, v0
	s_cbranch_execnz .LBB1051_501
.LBB1051_532:                           ;   in Loop: Header=BB1051_400 Depth=2
	s_or_b32 exec_lo, exec_lo, s34
	s_delay_alu instid0(SALU_CYCLE_1)
	s_mov_b32 s34, exec_lo
	v_cmpx_lt_u32_e64 v109, v0
	s_cbranch_execz .LBB1051_502
.LBB1051_533:                           ;   in Loop: Header=BB1051_400 Depth=2
	global_load_b64 v[33:34], v[2:3], off offset:1280
	s_or_b32 exec_lo, exec_lo, s34
	s_delay_alu instid0(SALU_CYCLE_1)
	s_mov_b32 s34, exec_lo
	v_cmpx_lt_u32_e64 v110, v0
	s_cbranch_execnz .LBB1051_503
.LBB1051_534:                           ;   in Loop: Header=BB1051_400 Depth=2
	s_or_b32 exec_lo, exec_lo, s34
	s_delay_alu instid0(SALU_CYCLE_1)
	s_mov_b32 s34, exec_lo
	v_cmpx_lt_u32_e64 v111, v0
	s_cbranch_execz .LBB1051_504
.LBB1051_535:                           ;   in Loop: Header=BB1051_400 Depth=2
	global_load_b64 v[29:30], v[2:3], off offset:1792
	s_or_b32 exec_lo, exec_lo, s34
	s_delay_alu instid0(SALU_CYCLE_1)
	s_mov_b32 s34, exec_lo
	v_cmpx_lt_u32_e64 v112, v0
	s_cbranch_execnz .LBB1051_505
.LBB1051_536:                           ;   in Loop: Header=BB1051_400 Depth=2
	s_or_b32 exec_lo, exec_lo, s34
	s_delay_alu instid0(SALU_CYCLE_1)
	s_mov_b32 s34, exec_lo
	v_cmpx_lt_u32_e64 v113, v0
	s_cbranch_execz .LBB1051_506
.LBB1051_537:                           ;   in Loop: Header=BB1051_400 Depth=2
	global_load_b64 v[25:26], v[2:3], off offset:2304
	s_or_b32 exec_lo, exec_lo, s34
	s_delay_alu instid0(SALU_CYCLE_1)
	s_mov_b32 s34, exec_lo
	v_cmpx_lt_u32_e64 v114, v0
	s_cbranch_execnz .LBB1051_507
.LBB1051_538:                           ;   in Loop: Header=BB1051_400 Depth=2
	s_or_b32 exec_lo, exec_lo, s34
	s_delay_alu instid0(SALU_CYCLE_1)
	s_mov_b32 s34, exec_lo
	v_cmpx_lt_u32_e64 v115, v0
	s_cbranch_execz .LBB1051_508
.LBB1051_539:                           ;   in Loop: Header=BB1051_400 Depth=2
	global_load_b64 v[21:22], v[2:3], off offset:2816
	s_or_b32 exec_lo, exec_lo, s34
	s_delay_alu instid0(SALU_CYCLE_1)
	s_mov_b32 s34, exec_lo
	v_cmpx_lt_u32_e64 v116, v0
	s_cbranch_execnz .LBB1051_509
.LBB1051_540:                           ;   in Loop: Header=BB1051_400 Depth=2
	s_or_b32 exec_lo, exec_lo, s34
	s_delay_alu instid0(SALU_CYCLE_1)
	s_mov_b32 s34, exec_lo
	v_cmpx_lt_u32_e64 v117, v0
	s_cbranch_execz .LBB1051_510
.LBB1051_541:                           ;   in Loop: Header=BB1051_400 Depth=2
	global_load_b64 v[14:15], v[2:3], off offset:3328
	s_or_b32 exec_lo, exec_lo, s34
	s_delay_alu instid0(SALU_CYCLE_1)
	s_mov_b32 s34, exec_lo
	v_cmpx_lt_u32_e64 v118, v0
	s_cbranch_execnz .LBB1051_511
.LBB1051_542:                           ;   in Loop: Header=BB1051_400 Depth=2
	s_or_b32 exec_lo, exec_lo, s34
	s_delay_alu instid0(SALU_CYCLE_1)
	s_mov_b32 s34, exec_lo
	v_cmpx_lt_u32_e64 v119, v0
	s_cbranch_execz .LBB1051_512
.LBB1051_543:                           ;   in Loop: Header=BB1051_400 Depth=2
	global_load_b64 v[10:11], v[2:3], off offset:3840
	s_or_b32 exec_lo, exec_lo, s34
	s_and_saveexec_b32 s33, vcc_lo
	s_cbranch_execnz .LBB1051_513
.LBB1051_544:                           ;   in Loop: Header=BB1051_400 Depth=2
	s_or_b32 exec_lo, exec_lo, s33
	s_and_saveexec_b32 s33, s17
	s_cbranch_execz .LBB1051_514
.LBB1051_545:                           ;   in Loop: Header=BB1051_400 Depth=2
	ds_load_u16 v0, v83 offset:512
	s_waitcnt lgkmcnt(0)
	v_lshrrev_b32_e32 v0, s42, v0
	s_delay_alu instid0(VALU_DEP_1)
	v_and_b32_e32 v139, s43, v0
	s_or_b32 exec_lo, exec_lo, s33
	s_and_saveexec_b32 s33, s18
	s_cbranch_execnz .LBB1051_515
.LBB1051_546:                           ;   in Loop: Header=BB1051_400 Depth=2
	s_or_b32 exec_lo, exec_lo, s33
	s_and_saveexec_b32 s33, s19
	s_cbranch_execz .LBB1051_516
.LBB1051_547:                           ;   in Loop: Header=BB1051_400 Depth=2
	ds_load_u16 v0, v83 offset:1536
	s_waitcnt lgkmcnt(0)
	v_lshrrev_b32_e32 v0, s42, v0
	s_delay_alu instid0(VALU_DEP_1)
	v_and_b32_e32 v137, s43, v0
	s_or_b32 exec_lo, exec_lo, s33
	s_and_saveexec_b32 s33, s20
	s_cbranch_execnz .LBB1051_517
.LBB1051_548:                           ;   in Loop: Header=BB1051_400 Depth=2
	s_or_b32 exec_lo, exec_lo, s33
	s_and_saveexec_b32 s33, s21
	s_cbranch_execz .LBB1051_518
.LBB1051_549:                           ;   in Loop: Header=BB1051_400 Depth=2
	ds_load_u16 v0, v83 offset:2560
	s_waitcnt lgkmcnt(0)
	v_lshrrev_b32_e32 v0, s42, v0
	s_delay_alu instid0(VALU_DEP_1)
	v_and_b32_e32 v135, s43, v0
	s_or_b32 exec_lo, exec_lo, s33
	s_and_saveexec_b32 s33, s22
	s_cbranch_execnz .LBB1051_519
.LBB1051_550:                           ;   in Loop: Header=BB1051_400 Depth=2
	s_or_b32 exec_lo, exec_lo, s33
	s_and_saveexec_b32 s33, s23
	s_cbranch_execz .LBB1051_520
.LBB1051_551:                           ;   in Loop: Header=BB1051_400 Depth=2
	ds_load_u16 v0, v83 offset:3584
	s_waitcnt lgkmcnt(0)
	v_lshrrev_b32_e32 v0, s42, v0
	s_delay_alu instid0(VALU_DEP_1)
	v_and_b32_e32 v133, s43, v0
	s_or_b32 exec_lo, exec_lo, s33
	s_and_saveexec_b32 s33, s24
	s_cbranch_execnz .LBB1051_521
.LBB1051_552:                           ;   in Loop: Header=BB1051_400 Depth=2
	s_or_b32 exec_lo, exec_lo, s33
	s_and_saveexec_b32 s33, s25
	s_cbranch_execz .LBB1051_522
.LBB1051_553:                           ;   in Loop: Header=BB1051_400 Depth=2
	ds_load_u16 v0, v83 offset:4608
	s_waitcnt lgkmcnt(0)
	v_lshrrev_b32_e32 v0, s42, v0
	s_delay_alu instid0(VALU_DEP_1)
	v_and_b32_e32 v131, s43, v0
	s_or_b32 exec_lo, exec_lo, s33
	s_and_saveexec_b32 s33, s26
	s_cbranch_execnz .LBB1051_523
.LBB1051_554:                           ;   in Loop: Header=BB1051_400 Depth=2
	s_or_b32 exec_lo, exec_lo, s33
	s_and_saveexec_b32 s33, s27
	s_cbranch_execz .LBB1051_524
.LBB1051_555:                           ;   in Loop: Header=BB1051_400 Depth=2
	ds_load_u16 v0, v83 offset:5632
	s_waitcnt lgkmcnt(0)
	v_lshrrev_b32_e32 v0, s42, v0
	s_delay_alu instid0(VALU_DEP_1)
	v_and_b32_e32 v129, s43, v0
	s_or_b32 exec_lo, exec_lo, s33
	s_and_saveexec_b32 s33, s28
	s_cbranch_execnz .LBB1051_525
.LBB1051_556:                           ;   in Loop: Header=BB1051_400 Depth=2
	s_or_b32 exec_lo, exec_lo, s33
	s_and_saveexec_b32 s33, s29
	s_cbranch_execz .LBB1051_526
.LBB1051_557:                           ;   in Loop: Header=BB1051_400 Depth=2
	ds_load_u16 v0, v83 offset:6656
	s_waitcnt lgkmcnt(0)
	v_lshrrev_b32_e32 v0, s42, v0
	s_delay_alu instid0(VALU_DEP_1)
	v_and_b32_e32 v127, s43, v0
	s_or_b32 exec_lo, exec_lo, s33
	s_and_saveexec_b32 s33, s30
	s_cbranch_execnz .LBB1051_527
.LBB1051_558:                           ;   in Loop: Header=BB1051_400 Depth=2
	s_or_b32 exec_lo, exec_lo, s33
	s_and_saveexec_b32 s33, s31
	s_cbranch_execz .LBB1051_560
.LBB1051_559:                           ;   in Loop: Header=BB1051_400 Depth=2
	ds_load_u16 v0, v83 offset:7680
	s_waitcnt lgkmcnt(0)
	v_lshrrev_b32_e32 v0, s42, v0
	s_delay_alu instid0(VALU_DEP_1)
	v_and_b32_e32 v125, s43, v0
.LBB1051_560:                           ;   in Loop: Header=BB1051_400 Depth=2
	s_or_b32 exec_lo, exec_lo, s33
	v_lshlrev_b32_e32 v0, 3, v159
	v_lshlrev_b32_e32 v2, 3, v155
	s_waitcnt vmcnt(0)
	s_waitcnt_vscnt null, 0x0
	s_barrier
	buffer_gl0_inv
	ds_store_b64 v0, v[43:44] offset:1024
	v_lshlrev_b32_e32 v0, 3, v151
	v_lshlrev_b32_e32 v3, 3, v150
	v_lshlrev_b32_e32 v19, 3, v149
	v_lshlrev_b32_e32 v142, 3, v147
	ds_store_b64 v2, v[41:42] offset:1024
	ds_store_b64 v0, v[39:40] offset:1024
	;; [unrolled: 1-line block ×5, first 2 shown]
	v_lshlrev_b32_e32 v0, 3, v146
	v_lshlrev_b32_e32 v2, 3, v145
	;; [unrolled: 1-line block ×5, first 2 shown]
	ds_store_b64 v0, v[31:32] offset:1024
	ds_store_b64 v2, v[29:30] offset:1024
	;; [unrolled: 1-line block ×5, first 2 shown]
	v_lshlrev_b32_e32 v0, 3, v6
	v_lshlrev_b32_e32 v2, 3, v5
	;; [unrolled: 1-line block ×5, first 2 shown]
	ds_store_b64 v0, v[21:22] offset:1024
	ds_store_b64 v2, v[16:17] offset:1024
	ds_store_b64 v3, v[14:15] offset:1024
	ds_store_b64 v5, v[12:13] offset:1024
	ds_store_b64 v6, v[10:11] offset:1024
	s_waitcnt lgkmcnt(0)
	s_barrier
	buffer_gl0_inv
	s_and_saveexec_b32 s33, vcc_lo
	s_cbranch_execz .LBB1051_576
; %bb.561:                              ;   in Loop: Header=BB1051_400 Depth=2
	v_lshlrev_b32_e32 v0, 2, v140
	ds_load_b32 v0, v0
	ds_load_b64 v[2:3], v84 offset:1024
	s_waitcnt lgkmcnt(1)
	v_add_nc_u32_e32 v19, v0, v18
	s_delay_alu instid0(VALU_DEP_1) | instskip(NEXT) | instid1(VALU_DEP_1)
	v_lshlrev_b64 v[5:6], 3, v[19:20]
	v_add_co_u32 v5, vcc_lo, s54, v5
	s_delay_alu instid0(VALU_DEP_2)
	v_add_co_ci_u32_e32 v6, vcc_lo, s55, v6, vcc_lo
	s_waitcnt lgkmcnt(0)
	global_store_b64 v[5:6], v[2:3], off
	s_or_b32 exec_lo, exec_lo, s33
	s_and_saveexec_b32 s33, s17
	s_cbranch_execnz .LBB1051_577
.LBB1051_562:                           ;   in Loop: Header=BB1051_400 Depth=2
	s_or_b32 exec_lo, exec_lo, s33
	s_and_saveexec_b32 s17, s18
	s_cbranch_execz .LBB1051_578
.LBB1051_563:                           ;   in Loop: Header=BB1051_400 Depth=2
	v_lshlrev_b32_e32 v0, 2, v138
	v_add_nc_u32_e32 v2, v83, v85
	ds_load_b32 v0, v0
	ds_load_b64 v[2:3], v2 offset:4096
	s_waitcnt lgkmcnt(1)
	v_add_nc_u32_e32 v19, v0, v49
	s_delay_alu instid0(VALU_DEP_1) | instskip(NEXT) | instid1(VALU_DEP_1)
	v_lshlrev_b64 v[5:6], 3, v[19:20]
	v_add_co_u32 v5, vcc_lo, s54, v5
	s_delay_alu instid0(VALU_DEP_2)
	v_add_co_ci_u32_e32 v6, vcc_lo, s55, v6, vcc_lo
	s_waitcnt lgkmcnt(0)
	global_store_b64 v[5:6], v[2:3], off
	s_or_b32 exec_lo, exec_lo, s17
	s_and_saveexec_b32 s17, s19
	s_cbranch_execnz .LBB1051_579
.LBB1051_564:                           ;   in Loop: Header=BB1051_400 Depth=2
	s_or_b32 exec_lo, exec_lo, s17
	s_and_saveexec_b32 s17, s20
	s_cbranch_execz .LBB1051_580
.LBB1051_565:                           ;   in Loop: Header=BB1051_400 Depth=2
	v_lshlrev_b32_e32 v0, 2, v136
	v_add_nc_u32_e32 v2, v83, v85
	ds_load_b32 v0, v0
	ds_load_b64 v[2:3], v2 offset:8192
	s_waitcnt lgkmcnt(1)
	v_add_nc_u32_e32 v19, v0, v54
	s_delay_alu instid0(VALU_DEP_1) | instskip(NEXT) | instid1(VALU_DEP_1)
	v_lshlrev_b64 v[5:6], 3, v[19:20]
	v_add_co_u32 v5, vcc_lo, s54, v5
	s_delay_alu instid0(VALU_DEP_2)
	v_add_co_ci_u32_e32 v6, vcc_lo, s55, v6, vcc_lo
	s_waitcnt lgkmcnt(0)
	global_store_b64 v[5:6], v[2:3], off
	s_or_b32 exec_lo, exec_lo, s17
	s_and_saveexec_b32 s17, s21
	s_cbranch_execnz .LBB1051_581
.LBB1051_566:                           ;   in Loop: Header=BB1051_400 Depth=2
	s_or_b32 exec_lo, exec_lo, s17
	s_and_saveexec_b32 s17, s22
	s_cbranch_execz .LBB1051_582
.LBB1051_567:                           ;   in Loop: Header=BB1051_400 Depth=2
	v_lshlrev_b32_e32 v0, 2, v134
	v_add_nc_u32_e32 v2, v83, v85
	ds_load_b32 v0, v0
	ds_load_b64 v[2:3], v2 offset:12288
	s_waitcnt lgkmcnt(1)
	v_add_nc_u32_e32 v19, v0, v56
	s_delay_alu instid0(VALU_DEP_1) | instskip(NEXT) | instid1(VALU_DEP_1)
	v_lshlrev_b64 v[5:6], 3, v[19:20]
	v_add_co_u32 v5, vcc_lo, s54, v5
	s_delay_alu instid0(VALU_DEP_2)
	v_add_co_ci_u32_e32 v6, vcc_lo, s55, v6, vcc_lo
	s_waitcnt lgkmcnt(0)
	global_store_b64 v[5:6], v[2:3], off
	s_or_b32 exec_lo, exec_lo, s17
	s_and_saveexec_b32 s17, s23
	s_cbranch_execnz .LBB1051_583
.LBB1051_568:                           ;   in Loop: Header=BB1051_400 Depth=2
	s_or_b32 exec_lo, exec_lo, s17
	s_and_saveexec_b32 s17, s24
	s_cbranch_execz .LBB1051_584
.LBB1051_569:                           ;   in Loop: Header=BB1051_400 Depth=2
	v_lshlrev_b32_e32 v0, 2, v132
	v_add_nc_u32_e32 v2, v83, v85
	ds_load_b32 v0, v0
	ds_load_b64 v[2:3], v2 offset:16384
	s_waitcnt lgkmcnt(1)
	v_add_nc_u32_e32 v19, v0, v58
	s_delay_alu instid0(VALU_DEP_1) | instskip(NEXT) | instid1(VALU_DEP_1)
	v_lshlrev_b64 v[5:6], 3, v[19:20]
	v_add_co_u32 v5, vcc_lo, s54, v5
	s_delay_alu instid0(VALU_DEP_2)
	v_add_co_ci_u32_e32 v6, vcc_lo, s55, v6, vcc_lo
	s_waitcnt lgkmcnt(0)
	global_store_b64 v[5:6], v[2:3], off
	s_or_b32 exec_lo, exec_lo, s17
	s_and_saveexec_b32 s17, s25
	s_cbranch_execnz .LBB1051_585
.LBB1051_570:                           ;   in Loop: Header=BB1051_400 Depth=2
	s_or_b32 exec_lo, exec_lo, s17
	s_and_saveexec_b32 s17, s26
	s_cbranch_execz .LBB1051_586
.LBB1051_571:                           ;   in Loop: Header=BB1051_400 Depth=2
	v_lshlrev_b32_e32 v0, 2, v130
	v_add_nc_u32_e32 v2, v83, v85
	ds_load_b32 v0, v0
	ds_load_b64 v[2:3], v2 offset:20480
	s_waitcnt lgkmcnt(1)
	v_add_nc_u32_e32 v19, v0, v60
	s_delay_alu instid0(VALU_DEP_1) | instskip(NEXT) | instid1(VALU_DEP_1)
	v_lshlrev_b64 v[5:6], 3, v[19:20]
	v_add_co_u32 v5, vcc_lo, s54, v5
	s_delay_alu instid0(VALU_DEP_2)
	v_add_co_ci_u32_e32 v6, vcc_lo, s55, v6, vcc_lo
	s_waitcnt lgkmcnt(0)
	global_store_b64 v[5:6], v[2:3], off
	s_or_b32 exec_lo, exec_lo, s17
	s_and_saveexec_b32 s17, s27
	s_cbranch_execnz .LBB1051_587
.LBB1051_572:                           ;   in Loop: Header=BB1051_400 Depth=2
	s_or_b32 exec_lo, exec_lo, s17
	s_and_saveexec_b32 s17, s28
	s_cbranch_execz .LBB1051_588
.LBB1051_573:                           ;   in Loop: Header=BB1051_400 Depth=2
	v_lshlrev_b32_e32 v0, 2, v128
	v_add_nc_u32_e32 v2, v83, v85
	ds_load_b32 v0, v0
	ds_load_b64 v[2:3], v2 offset:24576
	s_waitcnt lgkmcnt(1)
	v_add_nc_u32_e32 v19, v0, v62
	s_delay_alu instid0(VALU_DEP_1) | instskip(NEXT) | instid1(VALU_DEP_1)
	v_lshlrev_b64 v[5:6], 3, v[19:20]
	v_add_co_u32 v5, vcc_lo, s54, v5
	s_delay_alu instid0(VALU_DEP_2)
	v_add_co_ci_u32_e32 v6, vcc_lo, s55, v6, vcc_lo
	s_waitcnt lgkmcnt(0)
	global_store_b64 v[5:6], v[2:3], off
	s_or_b32 exec_lo, exec_lo, s17
	s_and_saveexec_b32 s17, s29
	s_cbranch_execnz .LBB1051_589
.LBB1051_574:                           ;   in Loop: Header=BB1051_400 Depth=2
	s_or_b32 exec_lo, exec_lo, s17
	s_and_saveexec_b32 s17, s30
	s_cbranch_execz .LBB1051_590
.LBB1051_575:                           ;   in Loop: Header=BB1051_400 Depth=2
	v_lshlrev_b32_e32 v0, 2, v126
	v_add_nc_u32_e32 v2, v83, v85
	ds_load_b32 v0, v0
	ds_load_b64 v[2:3], v2 offset:28672
	s_waitcnt lgkmcnt(1)
	v_add_nc_u32_e32 v19, v0, v64
	s_delay_alu instid0(VALU_DEP_1) | instskip(NEXT) | instid1(VALU_DEP_1)
	v_lshlrev_b64 v[5:6], 3, v[19:20]
	v_add_co_u32 v5, vcc_lo, s54, v5
	s_delay_alu instid0(VALU_DEP_2)
	v_add_co_ci_u32_e32 v6, vcc_lo, s55, v6, vcc_lo
	s_waitcnt lgkmcnt(0)
	global_store_b64 v[5:6], v[2:3], off
	s_or_b32 exec_lo, exec_lo, s17
	s_and_saveexec_b32 s17, s31
	s_cbranch_execnz .LBB1051_591
	s_branch .LBB1051_592
.LBB1051_576:                           ;   in Loop: Header=BB1051_400 Depth=2
	s_or_b32 exec_lo, exec_lo, s33
	s_and_saveexec_b32 s33, s17
	s_cbranch_execz .LBB1051_562
.LBB1051_577:                           ;   in Loop: Header=BB1051_400 Depth=2
	v_lshlrev_b32_e32 v0, 2, v139
	v_add_nc_u32_e32 v2, v83, v85
	ds_load_b32 v0, v0
	ds_load_b64 v[2:3], v2 offset:2048
	s_waitcnt lgkmcnt(1)
	v_add_nc_u32_e32 v19, v0, v48
	s_delay_alu instid0(VALU_DEP_1) | instskip(NEXT) | instid1(VALU_DEP_1)
	v_lshlrev_b64 v[5:6], 3, v[19:20]
	v_add_co_u32 v5, vcc_lo, s54, v5
	s_delay_alu instid0(VALU_DEP_2)
	v_add_co_ci_u32_e32 v6, vcc_lo, s55, v6, vcc_lo
	s_waitcnt lgkmcnt(0)
	global_store_b64 v[5:6], v[2:3], off
	s_or_b32 exec_lo, exec_lo, s33
	s_and_saveexec_b32 s17, s18
	s_cbranch_execnz .LBB1051_563
.LBB1051_578:                           ;   in Loop: Header=BB1051_400 Depth=2
	s_or_b32 exec_lo, exec_lo, s17
	s_and_saveexec_b32 s17, s19
	s_cbranch_execz .LBB1051_564
.LBB1051_579:                           ;   in Loop: Header=BB1051_400 Depth=2
	v_lshlrev_b32_e32 v0, 2, v137
	v_add_nc_u32_e32 v2, v83, v85
	ds_load_b32 v0, v0
	ds_load_b64 v[2:3], v2 offset:6144
	s_waitcnt lgkmcnt(1)
	v_add_nc_u32_e32 v19, v0, v50
	s_delay_alu instid0(VALU_DEP_1) | instskip(NEXT) | instid1(VALU_DEP_1)
	v_lshlrev_b64 v[5:6], 3, v[19:20]
	v_add_co_u32 v5, vcc_lo, s54, v5
	s_delay_alu instid0(VALU_DEP_2)
	v_add_co_ci_u32_e32 v6, vcc_lo, s55, v6, vcc_lo
	s_waitcnt lgkmcnt(0)
	global_store_b64 v[5:6], v[2:3], off
	s_or_b32 exec_lo, exec_lo, s17
	s_and_saveexec_b32 s17, s20
	s_cbranch_execnz .LBB1051_565
.LBB1051_580:                           ;   in Loop: Header=BB1051_400 Depth=2
	s_or_b32 exec_lo, exec_lo, s17
	s_and_saveexec_b32 s17, s21
	s_cbranch_execz .LBB1051_566
.LBB1051_581:                           ;   in Loop: Header=BB1051_400 Depth=2
	v_lshlrev_b32_e32 v0, 2, v135
	v_add_nc_u32_e32 v2, v83, v85
	ds_load_b32 v0, v0
	ds_load_b64 v[2:3], v2 offset:10240
	s_waitcnt lgkmcnt(1)
	v_add_nc_u32_e32 v19, v0, v55
	s_delay_alu instid0(VALU_DEP_1) | instskip(NEXT) | instid1(VALU_DEP_1)
	v_lshlrev_b64 v[5:6], 3, v[19:20]
	v_add_co_u32 v5, vcc_lo, s54, v5
	s_delay_alu instid0(VALU_DEP_2)
	v_add_co_ci_u32_e32 v6, vcc_lo, s55, v6, vcc_lo
	s_waitcnt lgkmcnt(0)
	global_store_b64 v[5:6], v[2:3], off
	s_or_b32 exec_lo, exec_lo, s17
	s_and_saveexec_b32 s17, s22
	s_cbranch_execnz .LBB1051_567
.LBB1051_582:                           ;   in Loop: Header=BB1051_400 Depth=2
	s_or_b32 exec_lo, exec_lo, s17
	s_and_saveexec_b32 s17, s23
	s_cbranch_execz .LBB1051_568
.LBB1051_583:                           ;   in Loop: Header=BB1051_400 Depth=2
	v_lshlrev_b32_e32 v0, 2, v133
	v_add_nc_u32_e32 v2, v83, v85
	ds_load_b32 v0, v0
	ds_load_b64 v[2:3], v2 offset:14336
	s_waitcnt lgkmcnt(1)
	v_add_nc_u32_e32 v19, v0, v57
	s_delay_alu instid0(VALU_DEP_1) | instskip(NEXT) | instid1(VALU_DEP_1)
	v_lshlrev_b64 v[5:6], 3, v[19:20]
	v_add_co_u32 v5, vcc_lo, s54, v5
	s_delay_alu instid0(VALU_DEP_2)
	v_add_co_ci_u32_e32 v6, vcc_lo, s55, v6, vcc_lo
	s_waitcnt lgkmcnt(0)
	global_store_b64 v[5:6], v[2:3], off
	s_or_b32 exec_lo, exec_lo, s17
	s_and_saveexec_b32 s17, s24
	s_cbranch_execnz .LBB1051_569
.LBB1051_584:                           ;   in Loop: Header=BB1051_400 Depth=2
	s_or_b32 exec_lo, exec_lo, s17
	s_and_saveexec_b32 s17, s25
	s_cbranch_execz .LBB1051_570
.LBB1051_585:                           ;   in Loop: Header=BB1051_400 Depth=2
	v_lshlrev_b32_e32 v0, 2, v131
	v_add_nc_u32_e32 v2, v83, v85
	ds_load_b32 v0, v0
	ds_load_b64 v[2:3], v2 offset:18432
	s_waitcnt lgkmcnt(1)
	v_add_nc_u32_e32 v19, v0, v59
	s_delay_alu instid0(VALU_DEP_1) | instskip(NEXT) | instid1(VALU_DEP_1)
	v_lshlrev_b64 v[5:6], 3, v[19:20]
	v_add_co_u32 v5, vcc_lo, s54, v5
	s_delay_alu instid0(VALU_DEP_2)
	v_add_co_ci_u32_e32 v6, vcc_lo, s55, v6, vcc_lo
	s_waitcnt lgkmcnt(0)
	global_store_b64 v[5:6], v[2:3], off
	s_or_b32 exec_lo, exec_lo, s17
	s_and_saveexec_b32 s17, s26
	s_cbranch_execnz .LBB1051_571
.LBB1051_586:                           ;   in Loop: Header=BB1051_400 Depth=2
	s_or_b32 exec_lo, exec_lo, s17
	s_and_saveexec_b32 s17, s27
	s_cbranch_execz .LBB1051_572
.LBB1051_587:                           ;   in Loop: Header=BB1051_400 Depth=2
	v_lshlrev_b32_e32 v0, 2, v129
	v_add_nc_u32_e32 v2, v83, v85
	ds_load_b32 v0, v0
	ds_load_b64 v[2:3], v2 offset:22528
	s_waitcnt lgkmcnt(1)
	v_add_nc_u32_e32 v19, v0, v61
	s_delay_alu instid0(VALU_DEP_1) | instskip(NEXT) | instid1(VALU_DEP_1)
	v_lshlrev_b64 v[5:6], 3, v[19:20]
	v_add_co_u32 v5, vcc_lo, s54, v5
	s_delay_alu instid0(VALU_DEP_2)
	v_add_co_ci_u32_e32 v6, vcc_lo, s55, v6, vcc_lo
	s_waitcnt lgkmcnt(0)
	global_store_b64 v[5:6], v[2:3], off
	s_or_b32 exec_lo, exec_lo, s17
	s_and_saveexec_b32 s17, s28
	s_cbranch_execnz .LBB1051_573
.LBB1051_588:                           ;   in Loop: Header=BB1051_400 Depth=2
	s_or_b32 exec_lo, exec_lo, s17
	s_and_saveexec_b32 s17, s29
	s_cbranch_execz .LBB1051_574
.LBB1051_589:                           ;   in Loop: Header=BB1051_400 Depth=2
	v_lshlrev_b32_e32 v0, 2, v127
	v_add_nc_u32_e32 v2, v83, v85
	ds_load_b32 v0, v0
	ds_load_b64 v[2:3], v2 offset:26624
	s_waitcnt lgkmcnt(1)
	v_add_nc_u32_e32 v19, v0, v63
	s_delay_alu instid0(VALU_DEP_1) | instskip(NEXT) | instid1(VALU_DEP_1)
	v_lshlrev_b64 v[5:6], 3, v[19:20]
	v_add_co_u32 v5, vcc_lo, s54, v5
	s_delay_alu instid0(VALU_DEP_2)
	v_add_co_ci_u32_e32 v6, vcc_lo, s55, v6, vcc_lo
	s_waitcnt lgkmcnt(0)
	global_store_b64 v[5:6], v[2:3], off
	s_or_b32 exec_lo, exec_lo, s17
	s_and_saveexec_b32 s17, s30
	s_cbranch_execnz .LBB1051_575
.LBB1051_590:                           ;   in Loop: Header=BB1051_400 Depth=2
	s_or_b32 exec_lo, exec_lo, s17
	s_and_saveexec_b32 s17, s31
	s_cbranch_execz .LBB1051_592
.LBB1051_591:                           ;   in Loop: Header=BB1051_400 Depth=2
	v_lshlrev_b32_e32 v0, 2, v125
	v_add_nc_u32_e32 v2, v83, v85
	ds_load_b32 v0, v0
	ds_load_b64 v[2:3], v2 offset:30720
	s_waitcnt lgkmcnt(1)
	v_add_nc_u32_e32 v19, v0, v66
	s_delay_alu instid0(VALU_DEP_1) | instskip(NEXT) | instid1(VALU_DEP_1)
	v_lshlrev_b64 v[5:6], 3, v[19:20]
	v_add_co_u32 v5, vcc_lo, s54, v5
	s_delay_alu instid0(VALU_DEP_2)
	v_add_co_ci_u32_e32 v6, vcc_lo, s55, v6, vcc_lo
	s_waitcnt lgkmcnt(0)
	global_store_b64 v[5:6], v[2:3], off
.LBB1051_592:                           ;   in Loop: Header=BB1051_400 Depth=2
	s_or_b32 exec_lo, exec_lo, s17
	s_waitcnt_vscnt null, 0x0
	s_barrier
	buffer_gl0_inv
	s_and_saveexec_b32 s17, s2
	s_cbranch_execz .LBB1051_399
; %bb.593:                              ;   in Loop: Header=BB1051_400 Depth=2
	ds_load_b32 v0, v47
	s_waitcnt lgkmcnt(0)
	v_add_nc_u32_e32 v0, v0, v4
	ds_store_b32 v47, v0
	s_branch .LBB1051_399
.LBB1051_594:                           ;   in Loop: Header=BB1051_400 Depth=2
	s_or_b32 exec_lo, exec_lo, s17
	s_delay_alu instid0(SALU_CYCLE_1)
	s_mov_b32 s17, exec_lo
	v_cmpx_gt_u32_e64 s56, v105
	s_cbranch_execz .LBB1051_405
.LBB1051_595:                           ;   in Loop: Header=BB1051_400 Depth=2
	global_load_d16_hi_b16 v2, v[45:46], off offset:64
	s_or_b32 exec_lo, exec_lo, s17
	s_delay_alu instid0(SALU_CYCLE_1)
	s_mov_b32 s17, exec_lo
	v_cmpx_gt_u32_e64 s56, v106
	s_cbranch_execnz .LBB1051_406
.LBB1051_596:                           ;   in Loop: Header=BB1051_400 Depth=2
	s_or_b32 exec_lo, exec_lo, s17
	s_delay_alu instid0(SALU_CYCLE_1)
	s_mov_b32 s17, exec_lo
	v_cmpx_gt_u32_e64 s56, v107
	s_cbranch_execz .LBB1051_407
.LBB1051_597:                           ;   in Loop: Header=BB1051_400 Depth=2
	global_load_d16_hi_b16 v3, v[45:46], off offset:192
	s_or_b32 exec_lo, exec_lo, s17
	s_delay_alu instid0(SALU_CYCLE_1)
	s_mov_b32 s17, exec_lo
	v_cmpx_gt_u32_e64 s56, v108
	s_cbranch_execnz .LBB1051_408
.LBB1051_598:                           ;   in Loop: Header=BB1051_400 Depth=2
	s_or_b32 exec_lo, exec_lo, s17
	s_delay_alu instid0(SALU_CYCLE_1)
	s_mov_b32 s17, exec_lo
	v_cmpx_gt_u32_e64 s56, v109
	s_cbranch_execz .LBB1051_409
.LBB1051_599:                           ;   in Loop: Header=BB1051_400 Depth=2
	global_load_d16_hi_b16 v4, v[45:46], off offset:320
	s_or_b32 exec_lo, exec_lo, s17
	s_delay_alu instid0(SALU_CYCLE_1)
	s_mov_b32 s17, exec_lo
	v_cmpx_gt_u32_e64 s56, v110
	s_cbranch_execnz .LBB1051_410
.LBB1051_600:                           ;   in Loop: Header=BB1051_400 Depth=2
	s_or_b32 exec_lo, exec_lo, s17
	s_delay_alu instid0(SALU_CYCLE_1)
	s_mov_b32 s17, exec_lo
	v_cmpx_gt_u32_e64 s56, v111
	s_cbranch_execz .LBB1051_411
.LBB1051_601:                           ;   in Loop: Header=BB1051_400 Depth=2
	global_load_d16_hi_b16 v5, v[45:46], off offset:448
	s_or_b32 exec_lo, exec_lo, s17
	s_delay_alu instid0(SALU_CYCLE_1)
	s_mov_b32 s17, exec_lo
	v_cmpx_gt_u32_e64 s56, v112
	s_cbranch_execnz .LBB1051_412
.LBB1051_602:                           ;   in Loop: Header=BB1051_400 Depth=2
	s_or_b32 exec_lo, exec_lo, s17
	s_delay_alu instid0(SALU_CYCLE_1)
	s_mov_b32 s17, exec_lo
	v_cmpx_gt_u32_e64 s56, v113
	s_cbranch_execz .LBB1051_413
.LBB1051_603:                           ;   in Loop: Header=BB1051_400 Depth=2
	global_load_d16_hi_b16 v6, v[45:46], off offset:576
	s_or_b32 exec_lo, exec_lo, s17
	s_delay_alu instid0(SALU_CYCLE_1)
	s_mov_b32 s17, exec_lo
	v_cmpx_gt_u32_e64 s56, v114
	s_cbranch_execnz .LBB1051_414
.LBB1051_604:                           ;   in Loop: Header=BB1051_400 Depth=2
	s_or_b32 exec_lo, exec_lo, s17
	s_delay_alu instid0(SALU_CYCLE_1)
	s_mov_b32 s17, exec_lo
	v_cmpx_gt_u32_e64 s56, v115
	s_cbranch_execz .LBB1051_415
.LBB1051_605:                           ;   in Loop: Header=BB1051_400 Depth=2
	global_load_d16_hi_b16 v7, v[45:46], off offset:704
	s_or_b32 exec_lo, exec_lo, s17
	s_delay_alu instid0(SALU_CYCLE_1)
	s_mov_b32 s17, exec_lo
	v_cmpx_gt_u32_e64 s56, v116
	s_cbranch_execnz .LBB1051_416
.LBB1051_606:                           ;   in Loop: Header=BB1051_400 Depth=2
	s_or_b32 exec_lo, exec_lo, s17
	s_delay_alu instid0(SALU_CYCLE_1)
	s_mov_b32 s17, exec_lo
	v_cmpx_gt_u32_e64 s56, v117
	s_cbranch_execz .LBB1051_417
.LBB1051_607:                           ;   in Loop: Header=BB1051_400 Depth=2
	global_load_d16_hi_b16 v8, v[45:46], off offset:832
	s_or_b32 exec_lo, exec_lo, s17
	s_delay_alu instid0(SALU_CYCLE_1)
	s_mov_b32 s17, exec_lo
	v_cmpx_gt_u32_e64 s56, v118
	s_cbranch_execnz .LBB1051_418
	s_branch .LBB1051_419
.LBB1051_608:                           ;   in Loop: Header=BB1051_20 Depth=1
	s_waitcnt lgkmcnt(0)
	s_barrier
.LBB1051_609:                           ;   in Loop: Header=BB1051_20 Depth=1
	s_mov_b32 s1, 0
.LBB1051_610:                           ;   in Loop: Header=BB1051_20 Depth=1
	s_delay_alu instid0(SALU_CYCLE_1)
	s_and_not1_b32 vcc_lo, exec_lo, s1
	s_cbranch_vccnz .LBB1051_19
; %bb.611:                              ;   in Loop: Header=BB1051_20 Depth=1
	s_and_b32 vcc_lo, exec_lo, s59
	s_mov_b32 s1, -1
	s_cbranch_vccz .LBB1051_905
; %bb.612:                              ;   in Loop: Header=BB1051_20 Depth=1
	s_mov_b32 s1, s64
	s_mov_b32 s34, s62
	s_barrier
	buffer_gl0_inv
                                        ; implicit-def: $vgpr2_vgpr3_vgpr4_vgpr5_vgpr6_vgpr7_vgpr8_vgpr9
	s_branch .LBB1051_614
.LBB1051_613:                           ;   in Loop: Header=BB1051_614 Depth=2
	s_or_b32 exec_lo, exec_lo, s8
	s_addk_i32 s1, 0xf000
	s_cmp_ge_u32 s7, s63
	s_mov_b32 s34, s7
	s_cbranch_scc1 .LBB1051_684
.LBB1051_614:                           ;   Parent Loop BB1051_20 Depth=1
                                        ; =>  This Inner Loop Header: Depth=2
	s_add_i32 s7, s34, 0x1000
	s_delay_alu instid0(SALU_CYCLE_1)
	s_cmp_gt_u32 s7, s63
	s_cbranch_scc1 .LBB1051_617
; %bb.615:                              ;   in Loop: Header=BB1051_614 Depth=2
	s_mov_b32 s9, 0
	s_mov_b32 s8, s34
	s_waitcnt vmcnt(7)
	v_mov_b32_e32 v17, v9
	s_lshl_b64 s[10:11], s[8:9], 1
	s_delay_alu instid0(SALU_CYCLE_1) | instskip(SKIP_2) | instid1(VALU_DEP_2)
	v_add_co_u32 v21, vcc_lo, v92, s10
	v_add_co_ci_u32_e32 v22, vcc_lo, s11, v93, vcc_lo
	s_movk_i32 s11, 0x1000
	v_add_co_u32 v23, vcc_lo, 0x1000, v21
	s_delay_alu instid0(VALU_DEP_2)
	v_add_co_ci_u32_e32 v24, vcc_lo, 0, v22, vcc_lo
	s_clause 0x6
	global_load_u16 v10, v[21:22], off
	global_load_u16 v11, v[21:22], off offset:1024
	global_load_u16 v12, v[21:22], off offset:2048
	global_load_u16 v13, v[21:22], off offset:3072
	global_load_u16 v14, v[23:24], off
	global_load_u16 v15, v[23:24], off offset:1024
	global_load_u16 v16, v[23:24], off offset:2048
	s_mov_b32 s10, -1
	s_clause 0x7
	global_load_d16_b16 v17, v[23:24], off offset:3072
	global_load_d16_hi_b16 v10, v[21:22], off offset:512
	global_load_d16_hi_b16 v11, v[21:22], off offset:1536
	;; [unrolled: 1-line block ×7, first 2 shown]
	v_add_co_u32 v21, vcc_lo, 0x1e00, v21
	v_add_co_ci_u32_e32 v22, vcc_lo, 0, v22, vcc_lo
	s_cbranch_execz .LBB1051_618
; %bb.616:                              ;   in Loop: Header=BB1051_614 Depth=2
                                        ; implicit-def: $vgpr2_vgpr3_vgpr4_vgpr5_vgpr6_vgpr7_vgpr8_vgpr9
	v_mov_b32_e32 v0, s1
	s_and_saveexec_b32 s8, s10
	s_cbranch_execnz .LBB1051_637
	s_branch .LBB1051_638
.LBB1051_617:                           ;   in Loop: Header=BB1051_614 Depth=2
	s_mov_b32 s10, 0
                                        ; implicit-def: $sgpr11
                                        ; implicit-def: $vgpr10_vgpr11_vgpr12_vgpr13_vgpr14_vgpr15_vgpr16_vgpr17
                                        ; implicit-def: $vgpr21_vgpr22
.LBB1051_618:                           ;   in Loop: Header=BB1051_614 Depth=2
	s_lshl_b64 s[8:9], s[34:35], 1
	s_mov_b32 s11, exec_lo
	s_add_u32 s8, s36, s8
	s_addc_u32 s9, s37, s9
	v_cmpx_gt_u32_e64 s1, v18
	s_cbranch_execz .LBB1051_670
; %bb.619:                              ;   in Loop: Header=BB1051_614 Depth=2
	global_load_d16_b16 v2, v99, s[8:9]
	s_or_b32 exec_lo, exec_lo, s11
	s_delay_alu instid0(SALU_CYCLE_1)
	s_mov_b32 s11, exec_lo
	v_cmpx_gt_u32_e64 s1, v48
	s_cbranch_execnz .LBB1051_671
.LBB1051_620:                           ;   in Loop: Header=BB1051_614 Depth=2
	s_or_b32 exec_lo, exec_lo, s11
	s_delay_alu instid0(SALU_CYCLE_1)
	s_mov_b32 s11, exec_lo
	v_cmpx_gt_u32_e64 s1, v49
	s_cbranch_execz .LBB1051_672
.LBB1051_621:                           ;   in Loop: Header=BB1051_614 Depth=2
	global_load_d16_b16 v3, v99, s[8:9] offset:1024
	s_or_b32 exec_lo, exec_lo, s11
	s_delay_alu instid0(SALU_CYCLE_1)
	s_mov_b32 s11, exec_lo
	v_cmpx_gt_u32_e64 s1, v50
	s_cbranch_execnz .LBB1051_673
.LBB1051_622:                           ;   in Loop: Header=BB1051_614 Depth=2
	s_or_b32 exec_lo, exec_lo, s11
	s_delay_alu instid0(SALU_CYCLE_1)
	s_mov_b32 s11, exec_lo
	v_cmpx_gt_u32_e64 s1, v54
	s_cbranch_execz .LBB1051_674
.LBB1051_623:                           ;   in Loop: Header=BB1051_614 Depth=2
	global_load_d16_b16 v4, v99, s[8:9] offset:2048
	s_or_b32 exec_lo, exec_lo, s11
	s_delay_alu instid0(SALU_CYCLE_1)
	s_mov_b32 s11, exec_lo
	v_cmpx_gt_u32_e64 s1, v55
	s_cbranch_execnz .LBB1051_675
.LBB1051_624:                           ;   in Loop: Header=BB1051_614 Depth=2
	s_or_b32 exec_lo, exec_lo, s11
	s_delay_alu instid0(SALU_CYCLE_1)
	s_mov_b32 s11, exec_lo
	v_cmpx_gt_u32_e64 s1, v56
	s_cbranch_execz .LBB1051_676
.LBB1051_625:                           ;   in Loop: Header=BB1051_614 Depth=2
	global_load_d16_b16 v5, v99, s[8:9] offset:3072
	s_or_b32 exec_lo, exec_lo, s11
	s_delay_alu instid0(SALU_CYCLE_1)
	s_mov_b32 s11, exec_lo
	v_cmpx_gt_u32_e64 s1, v57
	s_cbranch_execnz .LBB1051_677
.LBB1051_626:                           ;   in Loop: Header=BB1051_614 Depth=2
	s_or_b32 exec_lo, exec_lo, s11
	s_delay_alu instid0(SALU_CYCLE_1)
	s_mov_b32 s11, exec_lo
	v_cmpx_gt_u32_e64 s1, v58
	s_cbranch_execz .LBB1051_678
.LBB1051_627:                           ;   in Loop: Header=BB1051_614 Depth=2
	v_lshlrev_b32_e32 v0, 1, v58
	global_load_d16_b16 v6, v0, s[8:9]
	s_or_b32 exec_lo, exec_lo, s11
	s_delay_alu instid0(SALU_CYCLE_1)
	s_mov_b32 s11, exec_lo
	v_cmpx_gt_u32_e64 s1, v59
	s_cbranch_execnz .LBB1051_679
.LBB1051_628:                           ;   in Loop: Header=BB1051_614 Depth=2
	s_or_b32 exec_lo, exec_lo, s11
	s_delay_alu instid0(SALU_CYCLE_1)
	s_mov_b32 s11, exec_lo
	v_cmpx_gt_u32_e64 s1, v60
	s_cbranch_execz .LBB1051_680
.LBB1051_629:                           ;   in Loop: Header=BB1051_614 Depth=2
	v_lshlrev_b32_e32 v0, 1, v60
	global_load_d16_b16 v7, v0, s[8:9]
	s_or_b32 exec_lo, exec_lo, s11
	s_delay_alu instid0(SALU_CYCLE_1)
	s_mov_b32 s11, exec_lo
	v_cmpx_gt_u32_e64 s1, v61
	s_cbranch_execnz .LBB1051_681
.LBB1051_630:                           ;   in Loop: Header=BB1051_614 Depth=2
	s_or_b32 exec_lo, exec_lo, s11
	s_delay_alu instid0(SALU_CYCLE_1)
	s_mov_b32 s11, exec_lo
	v_cmpx_gt_u32_e64 s1, v62
	s_cbranch_execz .LBB1051_682
.LBB1051_631:                           ;   in Loop: Header=BB1051_614 Depth=2
	v_lshlrev_b32_e32 v0, 1, v62
	global_load_d16_b16 v8, v0, s[8:9]
	s_or_b32 exec_lo, exec_lo, s11
	s_delay_alu instid0(SALU_CYCLE_1)
	s_mov_b32 s11, exec_lo
	v_cmpx_gt_u32_e64 s1, v63
	s_cbranch_execnz .LBB1051_683
.LBB1051_632:                           ;   in Loop: Header=BB1051_614 Depth=2
	s_or_b32 exec_lo, exec_lo, s11
	s_delay_alu instid0(SALU_CYCLE_1)
	s_mov_b32 s11, exec_lo
	v_cmpx_gt_u32_e64 s1, v64
	s_cbranch_execz .LBB1051_634
.LBB1051_633:                           ;   in Loop: Header=BB1051_614 Depth=2
	v_lshlrev_b32_e32 v0, 1, v64
	global_load_d16_b16 v9, v0, s[8:9]
.LBB1051_634:                           ;   in Loop: Header=BB1051_614 Depth=2
	s_or_b32 exec_lo, exec_lo, s11
	s_delay_alu instid0(SALU_CYCLE_1)
	s_mov_b32 s12, exec_lo
                                        ; implicit-def: $sgpr11
                                        ; implicit-def: $vgpr21_vgpr22
	v_cmpx_gt_u32_e64 s1, v66
; %bb.635:                              ;   in Loop: Header=BB1051_614 Depth=2
	v_lshlrev_b32_e32 v0, 1, v66
	s_sub_i32 s11, s63, s34
	s_or_b32 s10, s10, exec_lo
	s_delay_alu instid0(VALU_DEP_1) | instskip(NEXT) | instid1(VALU_DEP_1)
	v_add_co_u32 v21, s8, s8, v0
	v_add_co_ci_u32_e64 v22, null, s9, 0, s8
; %bb.636:                              ;   in Loop: Header=BB1051_614 Depth=2
	s_or_b32 exec_lo, exec_lo, s12
	s_waitcnt vmcnt(0)
	v_dual_mov_b32 v17, v9 :: v_dual_mov_b32 v16, v8
	v_dual_mov_b32 v15, v7 :: v_dual_mov_b32 v14, v6
	;; [unrolled: 1-line block ×4, first 2 shown]
	v_mov_b32_e32 v0, s1
	s_and_saveexec_b32 s8, s10
	s_cbranch_execz .LBB1051_638
.LBB1051_637:                           ;   in Loop: Header=BB1051_614 Depth=2
	global_load_d16_hi_b16 v17, v[21:22], off
	s_waitcnt vmcnt(0)
	v_dual_mov_b32 v2, v10 :: v_dual_mov_b32 v5, v13
	v_dual_mov_b32 v0, s11 :: v_dual_mov_b32 v3, v11
	;; [unrolled: 1-line block ×3, first 2 shown]
	v_mov_b32_e32 v6, v14
	v_dual_mov_b32 v8, v16 :: v_dual_mov_b32 v9, v17
.LBB1051_638:                           ;   in Loop: Header=BB1051_614 Depth=2
	s_or_b32 exec_lo, exec_lo, s8
	s_delay_alu instid0(SALU_CYCLE_1)
	s_mov_b32 s8, exec_lo
	v_cmpx_lt_u32_e64 v18, v0
	s_cbranch_execz .LBB1051_654
; %bb.639:                              ;   in Loop: Header=BB1051_614 Depth=2
	s_waitcnt vmcnt(6)
	v_xor_b32_e32 v10, 0xffff8000, v2
	s_waitcnt vmcnt(5)
	v_lshlrev_b32_e32 v11, 2, v51
	s_delay_alu instid0(VALU_DEP_2) | instskip(NEXT) | instid1(VALU_DEP_1)
	v_and_b32_e32 v10, 0xffff, v10
	v_lshrrev_b32_e32 v10, s57, v10
	s_delay_alu instid0(VALU_DEP_1) | instskip(NEXT) | instid1(VALU_DEP_1)
	v_and_b32_e32 v10, s43, v10
	v_lshl_or_b32 v10, v10, 4, v11
	ds_add_u32 v10, v98
	s_or_b32 exec_lo, exec_lo, s8
	s_delay_alu instid0(SALU_CYCLE_1)
	s_mov_b32 s8, exec_lo
	v_cmpx_lt_u32_e64 v48, v0
	s_cbranch_execnz .LBB1051_655
.LBB1051_640:                           ;   in Loop: Header=BB1051_614 Depth=2
	s_or_b32 exec_lo, exec_lo, s8
	s_delay_alu instid0(SALU_CYCLE_1)
	s_mov_b32 s8, exec_lo
	v_cmpx_lt_u32_e64 v49, v0
	s_cbranch_execz .LBB1051_656
.LBB1051_641:                           ;   in Loop: Header=BB1051_614 Depth=2
	s_waitcnt vmcnt(6)
	v_xor_b32_e32 v10, 0xffff8000, v3
	s_waitcnt vmcnt(5)
	v_lshlrev_b32_e32 v11, 2, v51
	s_delay_alu instid0(VALU_DEP_2) | instskip(NEXT) | instid1(VALU_DEP_1)
	v_and_b32_e32 v10, 0xffff, v10
	v_lshrrev_b32_e32 v10, s57, v10
	s_delay_alu instid0(VALU_DEP_1) | instskip(NEXT) | instid1(VALU_DEP_1)
	v_and_b32_e32 v10, s43, v10
	v_lshl_or_b32 v10, v10, 4, v11
	ds_add_u32 v10, v98
	s_or_b32 exec_lo, exec_lo, s8
	s_delay_alu instid0(SALU_CYCLE_1)
	s_mov_b32 s8, exec_lo
	v_cmpx_lt_u32_e64 v50, v0
	s_cbranch_execnz .LBB1051_657
.LBB1051_642:                           ;   in Loop: Header=BB1051_614 Depth=2
	s_or_b32 exec_lo, exec_lo, s8
	s_delay_alu instid0(SALU_CYCLE_1)
	s_mov_b32 s8, exec_lo
	v_cmpx_lt_u32_e64 v54, v0
	s_cbranch_execz .LBB1051_658
.LBB1051_643:                           ;   in Loop: Header=BB1051_614 Depth=2
	s_waitcnt vmcnt(6)
	v_xor_b32_e32 v10, 0xffff8000, v4
	s_waitcnt vmcnt(5)
	v_lshlrev_b32_e32 v11, 2, v51
	s_delay_alu instid0(VALU_DEP_2) | instskip(NEXT) | instid1(VALU_DEP_1)
	v_and_b32_e32 v10, 0xffff, v10
	v_lshrrev_b32_e32 v10, s57, v10
	s_delay_alu instid0(VALU_DEP_1) | instskip(NEXT) | instid1(VALU_DEP_1)
	v_and_b32_e32 v10, s43, v10
	v_lshl_or_b32 v10, v10, 4, v11
	ds_add_u32 v10, v98
	s_or_b32 exec_lo, exec_lo, s8
	s_delay_alu instid0(SALU_CYCLE_1)
	s_mov_b32 s8, exec_lo
	v_cmpx_lt_u32_e64 v55, v0
	s_cbranch_execnz .LBB1051_659
.LBB1051_644:                           ;   in Loop: Header=BB1051_614 Depth=2
	s_or_b32 exec_lo, exec_lo, s8
	s_delay_alu instid0(SALU_CYCLE_1)
	s_mov_b32 s8, exec_lo
	v_cmpx_lt_u32_e64 v56, v0
	s_cbranch_execz .LBB1051_660
.LBB1051_645:                           ;   in Loop: Header=BB1051_614 Depth=2
	s_waitcnt vmcnt(6)
	v_xor_b32_e32 v10, 0xffff8000, v5
	s_waitcnt vmcnt(5)
	v_lshlrev_b32_e32 v11, 2, v51
	s_delay_alu instid0(VALU_DEP_2) | instskip(NEXT) | instid1(VALU_DEP_1)
	v_and_b32_e32 v10, 0xffff, v10
	v_lshrrev_b32_e32 v10, s57, v10
	s_delay_alu instid0(VALU_DEP_1) | instskip(NEXT) | instid1(VALU_DEP_1)
	v_and_b32_e32 v10, s43, v10
	v_lshl_or_b32 v10, v10, 4, v11
	ds_add_u32 v10, v98
	s_or_b32 exec_lo, exec_lo, s8
	s_delay_alu instid0(SALU_CYCLE_1)
	s_mov_b32 s8, exec_lo
	v_cmpx_lt_u32_e64 v57, v0
	s_cbranch_execnz .LBB1051_661
.LBB1051_646:                           ;   in Loop: Header=BB1051_614 Depth=2
	s_or_b32 exec_lo, exec_lo, s8
	s_delay_alu instid0(SALU_CYCLE_1)
	s_mov_b32 s8, exec_lo
	v_cmpx_lt_u32_e64 v58, v0
	s_cbranch_execz .LBB1051_662
.LBB1051_647:                           ;   in Loop: Header=BB1051_614 Depth=2
	s_waitcnt vmcnt(6)
	v_xor_b32_e32 v10, 0xffff8000, v6
	s_waitcnt vmcnt(5)
	v_lshlrev_b32_e32 v11, 2, v51
	s_delay_alu instid0(VALU_DEP_2) | instskip(NEXT) | instid1(VALU_DEP_1)
	v_and_b32_e32 v10, 0xffff, v10
	v_lshrrev_b32_e32 v10, s57, v10
	s_delay_alu instid0(VALU_DEP_1) | instskip(NEXT) | instid1(VALU_DEP_1)
	v_and_b32_e32 v10, s43, v10
	v_lshl_or_b32 v10, v10, 4, v11
	ds_add_u32 v10, v98
	s_or_b32 exec_lo, exec_lo, s8
	s_delay_alu instid0(SALU_CYCLE_1)
	s_mov_b32 s8, exec_lo
	v_cmpx_lt_u32_e64 v59, v0
	s_cbranch_execnz .LBB1051_663
.LBB1051_648:                           ;   in Loop: Header=BB1051_614 Depth=2
	s_or_b32 exec_lo, exec_lo, s8
	s_delay_alu instid0(SALU_CYCLE_1)
	s_mov_b32 s8, exec_lo
	v_cmpx_lt_u32_e64 v60, v0
	s_cbranch_execz .LBB1051_664
.LBB1051_649:                           ;   in Loop: Header=BB1051_614 Depth=2
	s_waitcnt vmcnt(6)
	v_xor_b32_e32 v10, 0xffff8000, v7
	s_waitcnt vmcnt(5)
	v_lshlrev_b32_e32 v11, 2, v51
	s_delay_alu instid0(VALU_DEP_2) | instskip(NEXT) | instid1(VALU_DEP_1)
	v_and_b32_e32 v10, 0xffff, v10
	v_lshrrev_b32_e32 v10, s57, v10
	s_delay_alu instid0(VALU_DEP_1) | instskip(NEXT) | instid1(VALU_DEP_1)
	v_and_b32_e32 v10, s43, v10
	v_lshl_or_b32 v10, v10, 4, v11
	ds_add_u32 v10, v98
	s_or_b32 exec_lo, exec_lo, s8
	s_delay_alu instid0(SALU_CYCLE_1)
	s_mov_b32 s8, exec_lo
	v_cmpx_lt_u32_e64 v61, v0
	s_cbranch_execnz .LBB1051_665
.LBB1051_650:                           ;   in Loop: Header=BB1051_614 Depth=2
	s_or_b32 exec_lo, exec_lo, s8
	s_delay_alu instid0(SALU_CYCLE_1)
	s_mov_b32 s8, exec_lo
	v_cmpx_lt_u32_e64 v62, v0
	s_cbranch_execz .LBB1051_666
.LBB1051_651:                           ;   in Loop: Header=BB1051_614 Depth=2
	s_waitcnt vmcnt(6)
	v_xor_b32_e32 v10, 0xffff8000, v8
	s_waitcnt vmcnt(5)
	v_lshlrev_b32_e32 v11, 2, v51
	s_delay_alu instid0(VALU_DEP_2) | instskip(NEXT) | instid1(VALU_DEP_1)
	v_and_b32_e32 v10, 0xffff, v10
	v_lshrrev_b32_e32 v10, s57, v10
	s_delay_alu instid0(VALU_DEP_1) | instskip(NEXT) | instid1(VALU_DEP_1)
	v_and_b32_e32 v10, s43, v10
	v_lshl_or_b32 v10, v10, 4, v11
	ds_add_u32 v10, v98
	s_or_b32 exec_lo, exec_lo, s8
	s_delay_alu instid0(SALU_CYCLE_1)
	s_mov_b32 s8, exec_lo
	v_cmpx_lt_u32_e64 v63, v0
	s_cbranch_execnz .LBB1051_667
.LBB1051_652:                           ;   in Loop: Header=BB1051_614 Depth=2
	s_or_b32 exec_lo, exec_lo, s8
	s_delay_alu instid0(SALU_CYCLE_1)
	s_mov_b32 s8, exec_lo
	v_cmpx_lt_u32_e64 v64, v0
	s_cbranch_execz .LBB1051_668
.LBB1051_653:                           ;   in Loop: Header=BB1051_614 Depth=2
	s_waitcnt vmcnt(6)
	v_xor_b32_e32 v10, 0xffff8000, v9
	s_waitcnt vmcnt(5)
	v_lshlrev_b32_e32 v11, 2, v51
	s_delay_alu instid0(VALU_DEP_2) | instskip(NEXT) | instid1(VALU_DEP_1)
	v_and_b32_e32 v10, 0xffff, v10
	v_lshrrev_b32_e32 v10, s57, v10
	s_delay_alu instid0(VALU_DEP_1) | instskip(NEXT) | instid1(VALU_DEP_1)
	v_and_b32_e32 v10, s43, v10
	v_lshl_or_b32 v10, v10, 4, v11
	ds_add_u32 v10, v98
	s_or_b32 exec_lo, exec_lo, s8
	s_delay_alu instid0(SALU_CYCLE_1)
	s_mov_b32 s8, exec_lo
	v_cmpx_lt_u32_e64 v66, v0
	s_cbranch_execz .LBB1051_613
	s_branch .LBB1051_669
.LBB1051_654:                           ;   in Loop: Header=BB1051_614 Depth=2
	s_or_b32 exec_lo, exec_lo, s8
	s_delay_alu instid0(SALU_CYCLE_1)
	s_mov_b32 s8, exec_lo
	v_cmpx_lt_u32_e64 v48, v0
	s_cbranch_execz .LBB1051_640
.LBB1051_655:                           ;   in Loop: Header=BB1051_614 Depth=2
	s_waitcnt vmcnt(6)
	v_lshrrev_b32_e32 v10, 16, v2
	s_waitcnt vmcnt(5)
	v_lshlrev_b32_e32 v11, 2, v51
	s_delay_alu instid0(VALU_DEP_2) | instskip(NEXT) | instid1(VALU_DEP_1)
	v_xor_b32_e32 v10, 0xffff8000, v10
	v_and_b32_e32 v10, 0xffff, v10
	s_delay_alu instid0(VALU_DEP_1) | instskip(NEXT) | instid1(VALU_DEP_1)
	v_lshrrev_b32_e32 v10, s57, v10
	v_and_b32_e32 v10, s43, v10
	s_delay_alu instid0(VALU_DEP_1) | instskip(SKIP_2) | instid1(SALU_CYCLE_1)
	v_lshl_or_b32 v10, v10, 4, v11
	ds_add_u32 v10, v98
	s_or_b32 exec_lo, exec_lo, s8
	s_mov_b32 s8, exec_lo
	v_cmpx_lt_u32_e64 v49, v0
	s_cbranch_execnz .LBB1051_641
.LBB1051_656:                           ;   in Loop: Header=BB1051_614 Depth=2
	s_or_b32 exec_lo, exec_lo, s8
	s_delay_alu instid0(SALU_CYCLE_1)
	s_mov_b32 s8, exec_lo
	v_cmpx_lt_u32_e64 v50, v0
	s_cbranch_execz .LBB1051_642
.LBB1051_657:                           ;   in Loop: Header=BB1051_614 Depth=2
	s_waitcnt vmcnt(6)
	v_lshrrev_b32_e32 v10, 16, v3
	s_waitcnt vmcnt(5)
	v_lshlrev_b32_e32 v11, 2, v51
	s_delay_alu instid0(VALU_DEP_2) | instskip(NEXT) | instid1(VALU_DEP_1)
	v_xor_b32_e32 v10, 0xffff8000, v10
	v_and_b32_e32 v10, 0xffff, v10
	s_delay_alu instid0(VALU_DEP_1) | instskip(NEXT) | instid1(VALU_DEP_1)
	v_lshrrev_b32_e32 v10, s57, v10
	v_and_b32_e32 v10, s43, v10
	s_delay_alu instid0(VALU_DEP_1) | instskip(SKIP_2) | instid1(SALU_CYCLE_1)
	v_lshl_or_b32 v10, v10, 4, v11
	ds_add_u32 v10, v98
	s_or_b32 exec_lo, exec_lo, s8
	s_mov_b32 s8, exec_lo
	v_cmpx_lt_u32_e64 v54, v0
	s_cbranch_execnz .LBB1051_643
.LBB1051_658:                           ;   in Loop: Header=BB1051_614 Depth=2
	s_or_b32 exec_lo, exec_lo, s8
	s_delay_alu instid0(SALU_CYCLE_1)
	s_mov_b32 s8, exec_lo
	v_cmpx_lt_u32_e64 v55, v0
	s_cbranch_execz .LBB1051_644
.LBB1051_659:                           ;   in Loop: Header=BB1051_614 Depth=2
	s_waitcnt vmcnt(6)
	v_lshrrev_b32_e32 v10, 16, v4
	s_waitcnt vmcnt(5)
	v_lshlrev_b32_e32 v11, 2, v51
	s_delay_alu instid0(VALU_DEP_2) | instskip(NEXT) | instid1(VALU_DEP_1)
	v_xor_b32_e32 v10, 0xffff8000, v10
	v_and_b32_e32 v10, 0xffff, v10
	s_delay_alu instid0(VALU_DEP_1) | instskip(NEXT) | instid1(VALU_DEP_1)
	v_lshrrev_b32_e32 v10, s57, v10
	v_and_b32_e32 v10, s43, v10
	s_delay_alu instid0(VALU_DEP_1) | instskip(SKIP_2) | instid1(SALU_CYCLE_1)
	v_lshl_or_b32 v10, v10, 4, v11
	ds_add_u32 v10, v98
	s_or_b32 exec_lo, exec_lo, s8
	s_mov_b32 s8, exec_lo
	v_cmpx_lt_u32_e64 v56, v0
	s_cbranch_execnz .LBB1051_645
.LBB1051_660:                           ;   in Loop: Header=BB1051_614 Depth=2
	s_or_b32 exec_lo, exec_lo, s8
	s_delay_alu instid0(SALU_CYCLE_1)
	s_mov_b32 s8, exec_lo
	v_cmpx_lt_u32_e64 v57, v0
	s_cbranch_execz .LBB1051_646
.LBB1051_661:                           ;   in Loop: Header=BB1051_614 Depth=2
	s_waitcnt vmcnt(6)
	v_lshrrev_b32_e32 v10, 16, v5
	s_waitcnt vmcnt(5)
	v_lshlrev_b32_e32 v11, 2, v51
	s_delay_alu instid0(VALU_DEP_2) | instskip(NEXT) | instid1(VALU_DEP_1)
	v_xor_b32_e32 v10, 0xffff8000, v10
	v_and_b32_e32 v10, 0xffff, v10
	s_delay_alu instid0(VALU_DEP_1) | instskip(NEXT) | instid1(VALU_DEP_1)
	v_lshrrev_b32_e32 v10, s57, v10
	v_and_b32_e32 v10, s43, v10
	s_delay_alu instid0(VALU_DEP_1) | instskip(SKIP_2) | instid1(SALU_CYCLE_1)
	v_lshl_or_b32 v10, v10, 4, v11
	ds_add_u32 v10, v98
	s_or_b32 exec_lo, exec_lo, s8
	s_mov_b32 s8, exec_lo
	v_cmpx_lt_u32_e64 v58, v0
	s_cbranch_execnz .LBB1051_647
.LBB1051_662:                           ;   in Loop: Header=BB1051_614 Depth=2
	s_or_b32 exec_lo, exec_lo, s8
	s_delay_alu instid0(SALU_CYCLE_1)
	s_mov_b32 s8, exec_lo
	v_cmpx_lt_u32_e64 v59, v0
	s_cbranch_execz .LBB1051_648
.LBB1051_663:                           ;   in Loop: Header=BB1051_614 Depth=2
	s_waitcnt vmcnt(6)
	v_lshrrev_b32_e32 v10, 16, v6
	s_waitcnt vmcnt(5)
	v_lshlrev_b32_e32 v11, 2, v51
	s_delay_alu instid0(VALU_DEP_2) | instskip(NEXT) | instid1(VALU_DEP_1)
	v_xor_b32_e32 v10, 0xffff8000, v10
	v_and_b32_e32 v10, 0xffff, v10
	s_delay_alu instid0(VALU_DEP_1) | instskip(NEXT) | instid1(VALU_DEP_1)
	v_lshrrev_b32_e32 v10, s57, v10
	v_and_b32_e32 v10, s43, v10
	s_delay_alu instid0(VALU_DEP_1) | instskip(SKIP_2) | instid1(SALU_CYCLE_1)
	v_lshl_or_b32 v10, v10, 4, v11
	ds_add_u32 v10, v98
	s_or_b32 exec_lo, exec_lo, s8
	s_mov_b32 s8, exec_lo
	v_cmpx_lt_u32_e64 v60, v0
	s_cbranch_execnz .LBB1051_649
.LBB1051_664:                           ;   in Loop: Header=BB1051_614 Depth=2
	s_or_b32 exec_lo, exec_lo, s8
	s_delay_alu instid0(SALU_CYCLE_1)
	s_mov_b32 s8, exec_lo
	v_cmpx_lt_u32_e64 v61, v0
	s_cbranch_execz .LBB1051_650
.LBB1051_665:                           ;   in Loop: Header=BB1051_614 Depth=2
	s_waitcnt vmcnt(6)
	v_lshrrev_b32_e32 v10, 16, v7
	s_waitcnt vmcnt(5)
	v_lshlrev_b32_e32 v11, 2, v51
	s_delay_alu instid0(VALU_DEP_2) | instskip(NEXT) | instid1(VALU_DEP_1)
	v_xor_b32_e32 v10, 0xffff8000, v10
	v_and_b32_e32 v10, 0xffff, v10
	s_delay_alu instid0(VALU_DEP_1) | instskip(NEXT) | instid1(VALU_DEP_1)
	v_lshrrev_b32_e32 v10, s57, v10
	v_and_b32_e32 v10, s43, v10
	s_delay_alu instid0(VALU_DEP_1) | instskip(SKIP_2) | instid1(SALU_CYCLE_1)
	v_lshl_or_b32 v10, v10, 4, v11
	ds_add_u32 v10, v98
	s_or_b32 exec_lo, exec_lo, s8
	s_mov_b32 s8, exec_lo
	v_cmpx_lt_u32_e64 v62, v0
	s_cbranch_execnz .LBB1051_651
.LBB1051_666:                           ;   in Loop: Header=BB1051_614 Depth=2
	s_or_b32 exec_lo, exec_lo, s8
	s_delay_alu instid0(SALU_CYCLE_1)
	s_mov_b32 s8, exec_lo
	v_cmpx_lt_u32_e64 v63, v0
	s_cbranch_execz .LBB1051_652
.LBB1051_667:                           ;   in Loop: Header=BB1051_614 Depth=2
	s_waitcnt vmcnt(6)
	v_lshrrev_b32_e32 v10, 16, v8
	s_waitcnt vmcnt(5)
	v_lshlrev_b32_e32 v11, 2, v51
	s_delay_alu instid0(VALU_DEP_2) | instskip(NEXT) | instid1(VALU_DEP_1)
	v_xor_b32_e32 v10, 0xffff8000, v10
	v_and_b32_e32 v10, 0xffff, v10
	s_delay_alu instid0(VALU_DEP_1) | instskip(NEXT) | instid1(VALU_DEP_1)
	v_lshrrev_b32_e32 v10, s57, v10
	v_and_b32_e32 v10, s43, v10
	s_delay_alu instid0(VALU_DEP_1) | instskip(SKIP_2) | instid1(SALU_CYCLE_1)
	v_lshl_or_b32 v10, v10, 4, v11
	ds_add_u32 v10, v98
	s_or_b32 exec_lo, exec_lo, s8
	s_mov_b32 s8, exec_lo
	v_cmpx_lt_u32_e64 v64, v0
	s_cbranch_execnz .LBB1051_653
.LBB1051_668:                           ;   in Loop: Header=BB1051_614 Depth=2
	s_or_b32 exec_lo, exec_lo, s8
	s_delay_alu instid0(SALU_CYCLE_1)
	s_mov_b32 s8, exec_lo
	v_cmpx_lt_u32_e64 v66, v0
	s_cbranch_execz .LBB1051_613
.LBB1051_669:                           ;   in Loop: Header=BB1051_614 Depth=2
	v_lshrrev_b32_e32 v0, 16, v9
	s_waitcnt vmcnt(6)
	v_lshlrev_b32_e32 v10, 2, v51
	s_delay_alu instid0(VALU_DEP_2) | instskip(NEXT) | instid1(VALU_DEP_1)
	v_xor_b32_e32 v0, 0xffff8000, v0
	v_and_b32_e32 v0, 0xffff, v0
	s_delay_alu instid0(VALU_DEP_1) | instskip(NEXT) | instid1(VALU_DEP_1)
	v_lshrrev_b32_e32 v0, s57, v0
	v_and_b32_e32 v0, s43, v0
	s_delay_alu instid0(VALU_DEP_1)
	v_lshl_or_b32 v0, v0, 4, v10
	ds_add_u32 v0, v98
	s_branch .LBB1051_613
.LBB1051_670:                           ;   in Loop: Header=BB1051_614 Depth=2
	s_or_b32 exec_lo, exec_lo, s11
	s_delay_alu instid0(SALU_CYCLE_1)
	s_mov_b32 s11, exec_lo
	v_cmpx_gt_u32_e64 s1, v48
	s_cbranch_execz .LBB1051_620
.LBB1051_671:                           ;   in Loop: Header=BB1051_614 Depth=2
	global_load_d16_hi_b16 v2, v99, s[8:9] offset:512
	s_or_b32 exec_lo, exec_lo, s11
	s_delay_alu instid0(SALU_CYCLE_1)
	s_mov_b32 s11, exec_lo
	v_cmpx_gt_u32_e64 s1, v49
	s_cbranch_execnz .LBB1051_621
.LBB1051_672:                           ;   in Loop: Header=BB1051_614 Depth=2
	s_or_b32 exec_lo, exec_lo, s11
	s_delay_alu instid0(SALU_CYCLE_1)
	s_mov_b32 s11, exec_lo
	v_cmpx_gt_u32_e64 s1, v50
	s_cbranch_execz .LBB1051_622
.LBB1051_673:                           ;   in Loop: Header=BB1051_614 Depth=2
	global_load_d16_hi_b16 v3, v99, s[8:9] offset:1536
	s_or_b32 exec_lo, exec_lo, s11
	s_delay_alu instid0(SALU_CYCLE_1)
	s_mov_b32 s11, exec_lo
	v_cmpx_gt_u32_e64 s1, v54
	s_cbranch_execnz .LBB1051_623
.LBB1051_674:                           ;   in Loop: Header=BB1051_614 Depth=2
	s_or_b32 exec_lo, exec_lo, s11
	s_delay_alu instid0(SALU_CYCLE_1)
	s_mov_b32 s11, exec_lo
	v_cmpx_gt_u32_e64 s1, v55
	s_cbranch_execz .LBB1051_624
.LBB1051_675:                           ;   in Loop: Header=BB1051_614 Depth=2
	global_load_d16_hi_b16 v4, v99, s[8:9] offset:2560
	s_or_b32 exec_lo, exec_lo, s11
	s_delay_alu instid0(SALU_CYCLE_1)
	s_mov_b32 s11, exec_lo
	v_cmpx_gt_u32_e64 s1, v56
	s_cbranch_execnz .LBB1051_625
.LBB1051_676:                           ;   in Loop: Header=BB1051_614 Depth=2
	s_or_b32 exec_lo, exec_lo, s11
	s_delay_alu instid0(SALU_CYCLE_1)
	s_mov_b32 s11, exec_lo
	v_cmpx_gt_u32_e64 s1, v57
	s_cbranch_execz .LBB1051_626
.LBB1051_677:                           ;   in Loop: Header=BB1051_614 Depth=2
	global_load_d16_hi_b16 v5, v99, s[8:9] offset:3584
	s_or_b32 exec_lo, exec_lo, s11
	s_delay_alu instid0(SALU_CYCLE_1)
	s_mov_b32 s11, exec_lo
	v_cmpx_gt_u32_e64 s1, v58
	s_cbranch_execnz .LBB1051_627
.LBB1051_678:                           ;   in Loop: Header=BB1051_614 Depth=2
	s_or_b32 exec_lo, exec_lo, s11
	s_delay_alu instid0(SALU_CYCLE_1)
	s_mov_b32 s11, exec_lo
	v_cmpx_gt_u32_e64 s1, v59
	s_cbranch_execz .LBB1051_628
.LBB1051_679:                           ;   in Loop: Header=BB1051_614 Depth=2
	v_lshlrev_b32_e32 v0, 1, v59
	global_load_d16_hi_b16 v6, v0, s[8:9]
	s_or_b32 exec_lo, exec_lo, s11
	s_delay_alu instid0(SALU_CYCLE_1)
	s_mov_b32 s11, exec_lo
	v_cmpx_gt_u32_e64 s1, v60
	s_cbranch_execnz .LBB1051_629
.LBB1051_680:                           ;   in Loop: Header=BB1051_614 Depth=2
	s_or_b32 exec_lo, exec_lo, s11
	s_delay_alu instid0(SALU_CYCLE_1)
	s_mov_b32 s11, exec_lo
	v_cmpx_gt_u32_e64 s1, v61
	s_cbranch_execz .LBB1051_630
.LBB1051_681:                           ;   in Loop: Header=BB1051_614 Depth=2
	v_lshlrev_b32_e32 v0, 1, v61
	global_load_d16_hi_b16 v7, v0, s[8:9]
	s_or_b32 exec_lo, exec_lo, s11
	s_delay_alu instid0(SALU_CYCLE_1)
	s_mov_b32 s11, exec_lo
	v_cmpx_gt_u32_e64 s1, v62
	s_cbranch_execnz .LBB1051_631
.LBB1051_682:                           ;   in Loop: Header=BB1051_614 Depth=2
	s_or_b32 exec_lo, exec_lo, s11
	s_delay_alu instid0(SALU_CYCLE_1)
	s_mov_b32 s11, exec_lo
	v_cmpx_gt_u32_e64 s1, v63
	s_cbranch_execz .LBB1051_632
.LBB1051_683:                           ;   in Loop: Header=BB1051_614 Depth=2
	v_lshlrev_b32_e32 v0, 1, v63
	global_load_d16_hi_b16 v8, v0, s[8:9]
	s_or_b32 exec_lo, exec_lo, s11
	s_delay_alu instid0(SALU_CYCLE_1)
	s_mov_b32 s11, exec_lo
	v_cmpx_gt_u32_e64 s1, v64
	s_cbranch_execz .LBB1051_634
	s_branch .LBB1051_633
.LBB1051_684:                           ;   in Loop: Header=BB1051_20 Depth=1
	v_mov_b32_e32 v0, 0
	s_waitcnt vmcnt(0) lgkmcnt(0)
	s_barrier
	buffer_gl0_inv
	s_and_saveexec_b32 s1, s2
	s_cbranch_execz .LBB1051_686
; %bb.685:                              ;   in Loop: Header=BB1051_20 Depth=1
	ds_load_2addr_b64 v[2:5], v67 offset1:1
	s_waitcnt lgkmcnt(0)
	v_add_nc_u32_e32 v0, v3, v2
	s_delay_alu instid0(VALU_DEP_1)
	v_add3_u32 v0, v0, v4, v5
.LBB1051_686:                           ;   in Loop: Header=BB1051_20 Depth=1
	s_or_b32 exec_lo, exec_lo, s1
	v_and_b32_e32 v2, 15, v100
	s_delay_alu instid0(VALU_DEP_2) | instskip(SKIP_1) | instid1(VALU_DEP_3)
	v_mov_b32_dpp v3, v0 row_shr:1 row_mask:0xf bank_mask:0xf
	v_and_b32_e32 v4, 16, v100
	v_cmp_eq_u32_e64 s1, 0, v2
	v_cmp_lt_u32_e64 s7, 1, v2
	v_cmp_lt_u32_e64 s8, 3, v2
	;; [unrolled: 1-line block ×3, first 2 shown]
	v_cmp_eq_u32_e64 s10, 0, v4
	v_cndmask_b32_e64 v3, v3, 0, s1
	s_delay_alu instid0(VALU_DEP_1) | instskip(NEXT) | instid1(VALU_DEP_1)
	v_add_nc_u32_e32 v0, v3, v0
	v_mov_b32_dpp v3, v0 row_shr:2 row_mask:0xf bank_mask:0xf
	s_delay_alu instid0(VALU_DEP_1) | instskip(NEXT) | instid1(VALU_DEP_1)
	v_cndmask_b32_e64 v3, 0, v3, s7
	v_add_nc_u32_e32 v0, v0, v3
	s_delay_alu instid0(VALU_DEP_1) | instskip(NEXT) | instid1(VALU_DEP_1)
	v_mov_b32_dpp v3, v0 row_shr:4 row_mask:0xf bank_mask:0xf
	v_cndmask_b32_e64 v3, 0, v3, s8
	s_delay_alu instid0(VALU_DEP_1) | instskip(NEXT) | instid1(VALU_DEP_1)
	v_add_nc_u32_e32 v0, v0, v3
	v_mov_b32_dpp v3, v0 row_shr:8 row_mask:0xf bank_mask:0xf
	s_delay_alu instid0(VALU_DEP_1) | instskip(SKIP_1) | instid1(VALU_DEP_2)
	v_cndmask_b32_e64 v2, 0, v3, s9
	v_bfe_i32 v3, v100, 4, 1
	v_add_nc_u32_e32 v0, v0, v2
	ds_swizzle_b32 v2, v0 offset:swizzle(BROADCAST,32,15)
	s_waitcnt lgkmcnt(0)
	v_and_b32_e32 v2, v3, v2
	s_delay_alu instid0(VALU_DEP_1)
	v_add_nc_u32_e32 v2, v0, v2
	s_and_saveexec_b32 s11, s3
	s_cbranch_execz .LBB1051_688
; %bb.687:                              ;   in Loop: Header=BB1051_20 Depth=1
	ds_store_b32 v68, v2
.LBB1051_688:                           ;   in Loop: Header=BB1051_20 Depth=1
	s_or_b32 exec_lo, exec_lo, s11
	v_and_b32_e32 v0, 7, v100
	s_waitcnt lgkmcnt(0)
	s_barrier
	buffer_gl0_inv
	s_and_saveexec_b32 s11, s4
	s_cbranch_execz .LBB1051_690
; %bb.689:                              ;   in Loop: Header=BB1051_20 Depth=1
	ds_load_b32 v3, v69
	v_cmp_ne_u32_e32 vcc_lo, 0, v0
	s_waitcnt lgkmcnt(0)
	v_mov_b32_dpp v4, v3 row_shr:1 row_mask:0xf bank_mask:0xf
	s_delay_alu instid0(VALU_DEP_1) | instskip(SKIP_1) | instid1(VALU_DEP_2)
	v_cndmask_b32_e32 v4, 0, v4, vcc_lo
	v_cmp_lt_u32_e32 vcc_lo, 1, v0
	v_add_nc_u32_e32 v3, v4, v3
	s_delay_alu instid0(VALU_DEP_1) | instskip(NEXT) | instid1(VALU_DEP_1)
	v_mov_b32_dpp v4, v3 row_shr:2 row_mask:0xf bank_mask:0xf
	v_cndmask_b32_e32 v4, 0, v4, vcc_lo
	v_cmp_lt_u32_e32 vcc_lo, 3, v0
	s_delay_alu instid0(VALU_DEP_2) | instskip(NEXT) | instid1(VALU_DEP_1)
	v_add_nc_u32_e32 v3, v3, v4
	v_mov_b32_dpp v4, v3 row_shr:4 row_mask:0xf bank_mask:0xf
	s_delay_alu instid0(VALU_DEP_1) | instskip(NEXT) | instid1(VALU_DEP_1)
	v_cndmask_b32_e32 v4, 0, v4, vcc_lo
	v_add_nc_u32_e32 v3, v3, v4
	ds_store_b32 v69, v3
.LBB1051_690:                           ;   in Loop: Header=BB1051_20 Depth=1
	s_or_b32 exec_lo, exec_lo, s11
	v_mov_b32_e32 v3, 0
	s_waitcnt lgkmcnt(0)
	s_barrier
	buffer_gl0_inv
	s_and_saveexec_b32 s11, s5
	s_cbranch_execz .LBB1051_692
; %bb.691:                              ;   in Loop: Header=BB1051_20 Depth=1
	ds_load_b32 v3, v70
.LBB1051_692:                           ;   in Loop: Header=BB1051_20 Depth=1
	s_or_b32 exec_lo, exec_lo, s11
	v_add_nc_u32_e32 v4, -1, v100
	s_waitcnt lgkmcnt(0)
	v_add_nc_u32_e32 v2, v3, v2
	v_cmp_eq_u32_e64 s11, 0, v100
	s_barrier
	v_cmp_gt_i32_e32 vcc_lo, 0, v4
	buffer_gl0_inv
	v_cndmask_b32_e32 v4, v4, v100, vcc_lo
	s_delay_alu instid0(VALU_DEP_1)
	v_lshlrev_b32_e32 v101, 2, v4
	ds_bpermute_b32 v2, v101, v2
	s_and_saveexec_b32 s12, s2
	s_cbranch_execz .LBB1051_694
; %bb.693:                              ;   in Loop: Header=BB1051_20 Depth=1
	s_waitcnt lgkmcnt(0)
	v_cndmask_b32_e64 v2, v2, v3, s11
	s_delay_alu instid0(VALU_DEP_1)
	v_add_nc_u32_e32 v2, s62, v2
	ds_store_b32 v47, v2
.LBB1051_694:                           ;   in Loop: Header=BB1051_20 Depth=1
	s_or_b32 exec_lo, exec_lo, s12
	s_load_b64 s[12:13], s[60:61], 0x0
	v_lshlrev_b32_e32 v3, 3, v100
	v_or_b32_e32 v102, v100, v71
	s_mov_b32 s56, s64
	s_mov_b32 s34, s62
                                        ; implicit-def: $vgpr10_vgpr11
                                        ; implicit-def: $vgpr12_vgpr13
                                        ; implicit-def: $vgpr14_vgpr15
                                        ; implicit-def: $vgpr16_vgpr17
                                        ; implicit-def: $vgpr21_vgpr22
                                        ; implicit-def: $vgpr23_vgpr24
                                        ; implicit-def: $vgpr25_vgpr26
                                        ; implicit-def: $vgpr27_vgpr28
                                        ; implicit-def: $vgpr29_vgpr30
                                        ; implicit-def: $vgpr31_vgpr32
                                        ; implicit-def: $vgpr33_vgpr34
                                        ; implicit-def: $vgpr35_vgpr36
                                        ; implicit-def: $vgpr37_vgpr38
                                        ; implicit-def: $vgpr39_vgpr40
                                        ; implicit-def: $vgpr41_vgpr42
                                        ; implicit-def: $vgpr43_vgpr44
                                        ; implicit-def: $vgpr125
                                        ; implicit-def: $vgpr126
                                        ; implicit-def: $vgpr127
                                        ; implicit-def: $vgpr128
                                        ; implicit-def: $vgpr129
                                        ; implicit-def: $vgpr130
                                        ; implicit-def: $vgpr131
                                        ; implicit-def: $vgpr132
                                        ; implicit-def: $vgpr133
                                        ; implicit-def: $vgpr134
                                        ; implicit-def: $vgpr135
                                        ; implicit-def: $vgpr136
                                        ; implicit-def: $vgpr137
                                        ; implicit-def: $vgpr138
                                        ; implicit-def: $vgpr139
                                        ; implicit-def: $vgpr140
                                        ; implicit-def: $vgpr9
	s_delay_alu instid0(VALU_DEP_2)
	v_add_co_u32 v103, vcc_lo, v94, v3
	v_add_co_ci_u32_e32 v104, vcc_lo, 0, v95, vcc_lo
	v_or_b32_e32 v105, 32, v102
	v_or_b32_e32 v106, 64, v102
	;; [unrolled: 1-line block ×10, first 2 shown]
	s_waitcnt lgkmcnt(0)
	s_cmp_lt_u32 s15, s13
	v_or_b32_e32 v115, 0x160, v102
	s_cselect_b32 s13, 14, 20
	v_or_b32_e32 v116, 0x180, v102
	s_add_u32 s16, s60, s13
	s_addc_u32 s17, s61, 0
	s_cmp_lt_u32 s14, s12
	global_load_u16 v2, v20, s[16:17]
	s_cselect_b32 s12, 12, 18
	v_or_b32_e32 v117, 0x1a0, v102
	s_add_u32 s12, s60, s12
	s_addc_u32 s13, s61, 0
	v_or_b32_e32 v118, 0x1c0, v102
	global_load_u16 v4, v20, s[12:13]
	v_cmp_eq_u32_e64 s12, 0, v0
	v_cmp_lt_u32_e64 s13, 1, v0
	v_cmp_lt_u32_e64 s16, 3, v0
	v_lshlrev_b32_e32 v0, 1, v100
	v_or_b32_e32 v119, 0x1e0, v102
	s_delay_alu instid0(VALU_DEP_2) | instskip(SKIP_1) | instid1(VALU_DEP_2)
	v_add_co_u32 v120, vcc_lo, v96, v0
	v_add_co_ci_u32_e32 v121, vcc_lo, 0, v97, vcc_lo
	v_add_co_u32 v123, vcc_lo, 0x3c0, v120
	s_delay_alu instid0(VALU_DEP_2) | instskip(SKIP_3) | instid1(VALU_DEP_1)
	v_add_co_ci_u32_e32 v124, vcc_lo, 0, v121, vcc_lo
	s_waitcnt vmcnt(1)
	v_mad_u32_u24 v5, v72, v2, v74
	s_waitcnt vmcnt(0)
	v_mad_u64_u32 v[2:3], null, v5, v4, v[18:19]
	s_delay_alu instid0(VALU_DEP_1)
	v_lshrrev_b32_e32 v122, 5, v2
	s_branch .LBB1051_696
.LBB1051_695:                           ;   in Loop: Header=BB1051_696 Depth=2
	s_or_b32 exec_lo, exec_lo, s17
	s_addk_i32 s56, 0xf000
	s_cmp_lt_u32 s65, s63
	s_mov_b32 s34, s65
	s_cbranch_scc0 .LBB1051_904
.LBB1051_696:                           ;   Parent Loop BB1051_20 Depth=1
                                        ; =>  This Inner Loop Header: Depth=2
	s_add_i32 s65, s34, 0x1000
	s_delay_alu instid0(SALU_CYCLE_1)
	s_cmp_gt_u32 s65, s63
	s_cbranch_scc1 .LBB1051_698
; %bb.697:                              ;   in Loop: Header=BB1051_696 Depth=2
	s_mov_b32 s19, 0
	s_mov_b32 s18, s34
	s_movk_i32 s17, 0x1000
	s_lshl_b64 s[20:21], s[18:19], 1
	s_delay_alu instid0(SALU_CYCLE_1)
	v_add_co_u32 v45, vcc_lo, v120, s20
	v_add_co_ci_u32_e32 v46, vcc_lo, s21, v121, vcc_lo
	s_mov_b32 s20, -1
	s_clause 0xe
	global_load_u16 v2, v[45:46], off
	global_load_u16 v3, v[45:46], off offset:128
	global_load_u16 v4, v[45:46], off offset:256
	;; [unrolled: 1-line block ×6, first 2 shown]
	global_load_d16_b16 v9, v[45:46], off offset:896
	global_load_d16_hi_b16 v2, v[45:46], off offset:64
	global_load_d16_hi_b16 v3, v[45:46], off offset:192
	;; [unrolled: 1-line block ×7, first 2 shown]
	s_cbranch_execz .LBB1051_699
	s_branch .LBB1051_716
.LBB1051_698:                           ;   in Loop: Header=BB1051_696 Depth=2
	s_mov_b32 s19, -1
	s_mov_b32 s20, 0
                                        ; implicit-def: $sgpr17
                                        ; implicit-def: $vgpr2_vgpr3_vgpr4_vgpr5_vgpr6_vgpr7_vgpr8_vgpr9
.LBB1051_699:                           ;   in Loop: Header=BB1051_696 Depth=2
	s_lshl_b64 s[18:19], s[34:35], 1
	s_mov_b32 s45, s44
	v_add_co_u32 v45, vcc_lo, v120, s18
	s_mov_b32 s46, s44
	s_mov_b32 s47, s44
	;; [unrolled: 1-line block ×6, first 2 shown]
	s_waitcnt vmcnt(0)
	v_dual_mov_b32 v2, s44 :: v_dual_mov_b32 v3, s45
	v_add_co_ci_u32_e32 v46, vcc_lo, s19, v121, vcc_lo
	v_dual_mov_b32 v4, s46 :: v_dual_mov_b32 v5, s47
	v_dual_mov_b32 v6, s48 :: v_dual_mov_b32 v7, s49
	;; [unrolled: 1-line block ×3, first 2 shown]
	s_mov_b32 s17, exec_lo
	v_cmpx_gt_u32_e64 s56, v102
	s_cbranch_execz .LBB1051_890
; %bb.700:                              ;   in Loop: Header=BB1051_696 Depth=2
	v_dual_mov_b32 v0, 0x7fff0000 :: v_dual_mov_b32 v3, v1
	v_mov_b32_e32 v7, v1
	v_mov_b32_e32 v2, v1
	;; [unrolled: 1-line block ×3, first 2 shown]
	global_load_d16_b16 v0, v[45:46], off
	v_mov_b32_e32 v5, v1
	v_mov_b32_e32 v6, v1
	s_waitcnt vmcnt(0)
	v_mov_b32_e32 v9, v7
	s_delay_alu instid0(VALU_DEP_2)
	v_dual_mov_b32 v8, v6 :: v_dual_mov_b32 v7, v5
	v_mov_b32_e32 v6, v4
	v_mov_b32_e32 v5, v3
	;; [unrolled: 1-line block ×5, first 2 shown]
	s_or_b32 exec_lo, exec_lo, s17
	s_delay_alu instid0(SALU_CYCLE_1)
	s_mov_b32 s17, exec_lo
	v_cmpx_gt_u32_e64 s56, v105
	s_cbranch_execnz .LBB1051_891
.LBB1051_701:                           ;   in Loop: Header=BB1051_696 Depth=2
	s_or_b32 exec_lo, exec_lo, s17
	s_delay_alu instid0(SALU_CYCLE_1)
	s_mov_b32 s17, exec_lo
	v_cmpx_gt_u32_e64 s56, v106
	s_cbranch_execz .LBB1051_892
.LBB1051_702:                           ;   in Loop: Header=BB1051_696 Depth=2
	global_load_d16_b16 v3, v[45:46], off offset:128
	s_or_b32 exec_lo, exec_lo, s17
	s_delay_alu instid0(SALU_CYCLE_1)
	s_mov_b32 s17, exec_lo
	v_cmpx_gt_u32_e64 s56, v107
	s_cbranch_execnz .LBB1051_893
.LBB1051_703:                           ;   in Loop: Header=BB1051_696 Depth=2
	s_or_b32 exec_lo, exec_lo, s17
	s_delay_alu instid0(SALU_CYCLE_1)
	s_mov_b32 s17, exec_lo
	v_cmpx_gt_u32_e64 s56, v108
	s_cbranch_execz .LBB1051_894
.LBB1051_704:                           ;   in Loop: Header=BB1051_696 Depth=2
	global_load_d16_b16 v4, v[45:46], off offset:256
	s_or_b32 exec_lo, exec_lo, s17
	s_delay_alu instid0(SALU_CYCLE_1)
	s_mov_b32 s17, exec_lo
	v_cmpx_gt_u32_e64 s56, v109
	s_cbranch_execnz .LBB1051_895
.LBB1051_705:                           ;   in Loop: Header=BB1051_696 Depth=2
	s_or_b32 exec_lo, exec_lo, s17
	s_delay_alu instid0(SALU_CYCLE_1)
	s_mov_b32 s17, exec_lo
	v_cmpx_gt_u32_e64 s56, v110
	s_cbranch_execz .LBB1051_896
.LBB1051_706:                           ;   in Loop: Header=BB1051_696 Depth=2
	global_load_d16_b16 v5, v[45:46], off offset:384
	s_or_b32 exec_lo, exec_lo, s17
	s_delay_alu instid0(SALU_CYCLE_1)
	s_mov_b32 s17, exec_lo
	v_cmpx_gt_u32_e64 s56, v111
	s_cbranch_execnz .LBB1051_897
.LBB1051_707:                           ;   in Loop: Header=BB1051_696 Depth=2
	s_or_b32 exec_lo, exec_lo, s17
	s_delay_alu instid0(SALU_CYCLE_1)
	s_mov_b32 s17, exec_lo
	v_cmpx_gt_u32_e64 s56, v112
	s_cbranch_execz .LBB1051_898
.LBB1051_708:                           ;   in Loop: Header=BB1051_696 Depth=2
	global_load_d16_b16 v6, v[45:46], off offset:512
	s_or_b32 exec_lo, exec_lo, s17
	s_delay_alu instid0(SALU_CYCLE_1)
	s_mov_b32 s17, exec_lo
	v_cmpx_gt_u32_e64 s56, v113
	s_cbranch_execnz .LBB1051_899
.LBB1051_709:                           ;   in Loop: Header=BB1051_696 Depth=2
	s_or_b32 exec_lo, exec_lo, s17
	s_delay_alu instid0(SALU_CYCLE_1)
	s_mov_b32 s17, exec_lo
	v_cmpx_gt_u32_e64 s56, v114
	s_cbranch_execz .LBB1051_900
.LBB1051_710:                           ;   in Loop: Header=BB1051_696 Depth=2
	global_load_d16_b16 v7, v[45:46], off offset:640
	s_or_b32 exec_lo, exec_lo, s17
	s_delay_alu instid0(SALU_CYCLE_1)
	s_mov_b32 s17, exec_lo
	v_cmpx_gt_u32_e64 s56, v115
	s_cbranch_execnz .LBB1051_901
.LBB1051_711:                           ;   in Loop: Header=BB1051_696 Depth=2
	s_or_b32 exec_lo, exec_lo, s17
	s_delay_alu instid0(SALU_CYCLE_1)
	s_mov_b32 s17, exec_lo
	v_cmpx_gt_u32_e64 s56, v116
	s_cbranch_execz .LBB1051_902
.LBB1051_712:                           ;   in Loop: Header=BB1051_696 Depth=2
	global_load_d16_b16 v8, v[45:46], off offset:768
	s_or_b32 exec_lo, exec_lo, s17
	s_delay_alu instid0(SALU_CYCLE_1)
	s_mov_b32 s17, exec_lo
	v_cmpx_gt_u32_e64 s56, v117
	s_cbranch_execnz .LBB1051_903
.LBB1051_713:                           ;   in Loop: Header=BB1051_696 Depth=2
	s_or_b32 exec_lo, exec_lo, s17
	s_delay_alu instid0(SALU_CYCLE_1)
	s_mov_b32 s17, exec_lo
	v_cmpx_gt_u32_e64 s56, v118
	s_cbranch_execz .LBB1051_715
.LBB1051_714:                           ;   in Loop: Header=BB1051_696 Depth=2
	global_load_d16_b16 v9, v[45:46], off offset:896
.LBB1051_715:                           ;   in Loop: Header=BB1051_696 Depth=2
	s_or_b32 exec_lo, exec_lo, s17
	v_cmp_gt_u32_e64 s20, s56, v119
	s_sub_i32 s17, s63, s34
	s_mov_b64 s[18:19], s[34:35]
.LBB1051_716:                           ;   in Loop: Header=BB1051_696 Depth=2
	v_mov_b32_e32 v0, s56
	s_delay_alu instid0(VALU_DEP_2)
	s_and_saveexec_b32 s21, s20
	s_cbranch_execz .LBB1051_718
; %bb.717:                              ;   in Loop: Header=BB1051_696 Depth=2
	s_lshl_b64 s[18:19], s[18:19], 1
	v_mov_b32_e32 v0, s17
	v_add_co_u32 v45, vcc_lo, v123, s18
	v_add_co_ci_u32_e32 v46, vcc_lo, s19, v124, vcc_lo
	global_load_d16_hi_b16 v9, v[45:46], off
.LBB1051_718:                           ;   in Loop: Header=BB1051_696 Depth=2
	s_or_b32 exec_lo, exec_lo, s21
	s_waitcnt vmcnt(0)
	v_xor_b32_e32 v19, 0x80008000, v2
	ds_store_b32 v73, v20 offset:1056
	ds_store_2addr_b32 v75, v20, v20 offset0:1 offset1:2
	ds_store_2addr_b32 v75, v20, v20 offset0:3 offset1:4
	;; [unrolled: 1-line block ×4, first 2 shown]
	s_waitcnt lgkmcnt(0)
	s_barrier
	v_and_b32_e32 v2, 0xffff, v19
	buffer_gl0_inv
	; wave barrier
	v_lshrrev_b32_e32 v2, s57, v2
	s_delay_alu instid0(VALU_DEP_1) | instskip(NEXT) | instid1(VALU_DEP_1)
	v_and_b32_e32 v45, s43, v2
	v_and_b32_e32 v2, 1, v45
	v_lshlrev_b32_e32 v46, 30, v45
	v_lshlrev_b32_e32 v141, 29, v45
	v_lshlrev_b32_e32 v142, 28, v45
	v_lshlrev_b32_e32 v144, 27, v45
	v_add_co_u32 v2, s17, v2, -1
	s_delay_alu instid0(VALU_DEP_1)
	v_cndmask_b32_e64 v143, 0, 1, s17
	v_not_b32_e32 v147, v46
	v_cmp_gt_i32_e64 s17, 0, v46
	v_not_b32_e32 v46, v141
	v_lshlrev_b32_e32 v145, 26, v45
	v_cmp_ne_u32_e32 vcc_lo, 0, v143
	v_ashrrev_i32_e32 v147, 31, v147
	v_lshlrev_b32_e32 v146, 25, v45
	v_ashrrev_i32_e32 v46, 31, v46
	v_lshlrev_b32_e32 v143, 24, v45
	v_xor_b32_e32 v2, vcc_lo, v2
	v_cmp_gt_i32_e32 vcc_lo, 0, v141
	v_not_b32_e32 v141, v142
	v_xor_b32_e32 v147, s17, v147
	v_cmp_gt_i32_e64 s17, 0, v142
	v_and_b32_e32 v2, exec_lo, v2
	v_not_b32_e32 v142, v144
	v_ashrrev_i32_e32 v141, 31, v141
	v_xor_b32_e32 v46, vcc_lo, v46
	v_cmp_gt_i32_e32 vcc_lo, 0, v144
	v_and_b32_e32 v2, v2, v147
	v_not_b32_e32 v144, v145
	v_ashrrev_i32_e32 v142, 31, v142
	v_xor_b32_e32 v141, s17, v141
	v_cmp_gt_i32_e64 s17, 0, v145
	v_and_b32_e32 v2, v2, v46
	v_not_b32_e32 v46, v146
	v_ashrrev_i32_e32 v144, 31, v144
	v_xor_b32_e32 v142, vcc_lo, v142
	v_cmp_gt_i32_e32 vcc_lo, 0, v146
	v_and_b32_e32 v2, v2, v141
	v_not_b32_e32 v141, v143
	v_ashrrev_i32_e32 v46, 31, v46
	v_xor_b32_e32 v144, s17, v144
	v_cmp_gt_i32_e64 s17, 0, v143
	v_and_b32_e32 v2, v2, v142
	v_ashrrev_i32_e32 v141, 31, v141
	v_xor_b32_e32 v46, vcc_lo, v46
	v_mad_u32_u24 v45, v45, 9, v122
	s_delay_alu instid0(VALU_DEP_4) | instskip(NEXT) | instid1(VALU_DEP_4)
	v_and_b32_e32 v2, v2, v144
	v_xor_b32_e32 v141, s17, v141
	s_delay_alu instid0(VALU_DEP_3) | instskip(NEXT) | instid1(VALU_DEP_3)
	v_lshl_add_u32 v143, v45, 2, 0x420
	v_and_b32_e32 v2, v2, v46
	s_delay_alu instid0(VALU_DEP_1) | instskip(NEXT) | instid1(VALU_DEP_1)
	v_and_b32_e32 v2, v2, v141
	v_mbcnt_lo_u32_b32 v141, v2, 0
	v_cmp_ne_u32_e64 s17, 0, v2
	s_delay_alu instid0(VALU_DEP_2) | instskip(NEXT) | instid1(VALU_DEP_2)
	v_cmp_eq_u32_e32 vcc_lo, 0, v141
	s_and_b32 s18, s17, vcc_lo
	s_delay_alu instid0(SALU_CYCLE_1)
	s_and_saveexec_b32 s17, s18
	s_cbranch_execz .LBB1051_720
; %bb.719:                              ;   in Loop: Header=BB1051_696 Depth=2
	v_bcnt_u32_b32 v2, v2, 0
	ds_store_b32 v143, v2
.LBB1051_720:                           ;   in Loop: Header=BB1051_696 Depth=2
	s_or_b32 exec_lo, exec_lo, s17
	v_lshrrev_b32_e32 v142, 16, v19
	; wave barrier
	s_delay_alu instid0(VALU_DEP_1) | instskip(NEXT) | instid1(VALU_DEP_1)
	v_lshrrev_b32_e32 v2, s57, v142
	v_and_b32_e32 v2, s43, v2
	s_delay_alu instid0(VALU_DEP_1)
	v_and_b32_e32 v45, 1, v2
	v_lshlrev_b32_e32 v46, 30, v2
	v_lshlrev_b32_e32 v144, 29, v2
	;; [unrolled: 1-line block ×4, first 2 shown]
	v_add_co_u32 v45, s17, v45, -1
	s_delay_alu instid0(VALU_DEP_1)
	v_cndmask_b32_e64 v146, 0, 1, s17
	v_not_b32_e32 v150, v46
	v_cmp_gt_i32_e64 s17, 0, v46
	v_not_b32_e32 v46, v144
	v_lshlrev_b32_e32 v148, 26, v2
	v_cmp_ne_u32_e32 vcc_lo, 0, v146
	v_ashrrev_i32_e32 v150, 31, v150
	v_lshlrev_b32_e32 v149, 25, v2
	v_ashrrev_i32_e32 v46, 31, v46
	v_lshlrev_b32_e32 v146, 24, v2
	v_xor_b32_e32 v45, vcc_lo, v45
	v_cmp_gt_i32_e32 vcc_lo, 0, v144
	v_not_b32_e32 v144, v145
	v_xor_b32_e32 v150, s17, v150
	v_cmp_gt_i32_e64 s17, 0, v145
	v_and_b32_e32 v45, exec_lo, v45
	v_not_b32_e32 v145, v147
	v_ashrrev_i32_e32 v144, 31, v144
	v_xor_b32_e32 v46, vcc_lo, v46
	v_cmp_gt_i32_e32 vcc_lo, 0, v147
	v_and_b32_e32 v45, v45, v150
	v_not_b32_e32 v147, v148
	v_ashrrev_i32_e32 v145, 31, v145
	v_xor_b32_e32 v144, s17, v144
	v_cmp_gt_i32_e64 s17, 0, v148
	v_and_b32_e32 v45, v45, v46
	v_not_b32_e32 v46, v149
	v_ashrrev_i32_e32 v147, 31, v147
	v_xor_b32_e32 v145, vcc_lo, v145
	v_cmp_gt_i32_e32 vcc_lo, 0, v149
	v_and_b32_e32 v45, v45, v144
	v_not_b32_e32 v144, v146
	v_ashrrev_i32_e32 v46, 31, v46
	v_xor_b32_e32 v147, s17, v147
	v_mul_u32_u24_e32 v2, 9, v2
	v_and_b32_e32 v45, v45, v145
	v_cmp_gt_i32_e64 s17, 0, v146
	v_ashrrev_i32_e32 v144, 31, v144
	v_xor_b32_e32 v46, vcc_lo, v46
	s_delay_alu instid0(VALU_DEP_4) | instskip(SKIP_1) | instid1(VALU_DEP_4)
	v_and_b32_e32 v45, v45, v147
	v_add_lshl_u32 v147, v2, v122, 2
	v_xor_b32_e32 v2, s17, v144
	s_delay_alu instid0(VALU_DEP_3) | instskip(SKIP_3) | instid1(VALU_DEP_1)
	v_and_b32_e32 v45, v45, v46
	ds_load_b32 v145, v147 offset:1056
	v_add_nc_u32_e32 v147, 0x420, v147
	; wave barrier
	v_and_b32_e32 v2, v45, v2
	v_mbcnt_lo_u32_b32 v146, v2, 0
	v_cmp_ne_u32_e64 s17, 0, v2
	s_delay_alu instid0(VALU_DEP_2) | instskip(NEXT) | instid1(VALU_DEP_2)
	v_cmp_eq_u32_e32 vcc_lo, 0, v146
	s_and_b32 s18, s17, vcc_lo
	s_delay_alu instid0(SALU_CYCLE_1)
	s_and_saveexec_b32 s17, s18
	s_cbranch_execz .LBB1051_722
; %bb.721:                              ;   in Loop: Header=BB1051_696 Depth=2
	s_waitcnt lgkmcnt(0)
	v_bcnt_u32_b32 v2, v2, v145
	ds_store_b32 v147, v2
.LBB1051_722:                           ;   in Loop: Header=BB1051_696 Depth=2
	s_or_b32 exec_lo, exec_lo, s17
	v_xor_b32_e32 v144, 0x80008000, v3
	; wave barrier
	s_delay_alu instid0(VALU_DEP_1) | instskip(NEXT) | instid1(VALU_DEP_1)
	v_and_b32_e32 v2, 0xffff, v144
	v_lshrrev_b32_e32 v2, s57, v2
	s_delay_alu instid0(VALU_DEP_1) | instskip(NEXT) | instid1(VALU_DEP_1)
	v_and_b32_e32 v2, s43, v2
	v_and_b32_e32 v3, 1, v2
	v_lshlrev_b32_e32 v45, 30, v2
	v_lshlrev_b32_e32 v46, 29, v2
	;; [unrolled: 1-line block ×4, first 2 shown]
	v_add_co_u32 v3, s17, v3, -1
	s_delay_alu instid0(VALU_DEP_1)
	v_cndmask_b32_e64 v149, 0, 1, s17
	v_not_b32_e32 v153, v45
	v_cmp_gt_i32_e64 s17, 0, v45
	v_not_b32_e32 v45, v46
	v_lshlrev_b32_e32 v151, 26, v2
	v_cmp_ne_u32_e32 vcc_lo, 0, v149
	v_ashrrev_i32_e32 v153, 31, v153
	v_lshlrev_b32_e32 v152, 25, v2
	v_ashrrev_i32_e32 v45, 31, v45
	v_lshlrev_b32_e32 v149, 24, v2
	v_xor_b32_e32 v3, vcc_lo, v3
	v_cmp_gt_i32_e32 vcc_lo, 0, v46
	v_not_b32_e32 v46, v148
	v_xor_b32_e32 v153, s17, v153
	v_cmp_gt_i32_e64 s17, 0, v148
	v_and_b32_e32 v3, exec_lo, v3
	v_not_b32_e32 v148, v150
	v_ashrrev_i32_e32 v46, 31, v46
	v_xor_b32_e32 v45, vcc_lo, v45
	v_cmp_gt_i32_e32 vcc_lo, 0, v150
	v_and_b32_e32 v3, v3, v153
	v_not_b32_e32 v150, v151
	v_ashrrev_i32_e32 v148, 31, v148
	v_xor_b32_e32 v46, s17, v46
	v_cmp_gt_i32_e64 s17, 0, v151
	v_and_b32_e32 v3, v3, v45
	v_not_b32_e32 v45, v152
	v_ashrrev_i32_e32 v150, 31, v150
	v_xor_b32_e32 v148, vcc_lo, v148
	v_cmp_gt_i32_e32 vcc_lo, 0, v152
	v_and_b32_e32 v3, v3, v46
	v_not_b32_e32 v46, v149
	v_ashrrev_i32_e32 v45, 31, v45
	v_xor_b32_e32 v150, s17, v150
	v_mul_u32_u24_e32 v2, 9, v2
	v_and_b32_e32 v3, v3, v148
	v_cmp_gt_i32_e64 s17, 0, v149
	v_ashrrev_i32_e32 v46, 31, v46
	v_xor_b32_e32 v45, vcc_lo, v45
	v_add_lshl_u32 v148, v2, v122, 2
	v_and_b32_e32 v3, v3, v150
	s_delay_alu instid0(VALU_DEP_4) | instskip(SKIP_3) | instid1(VALU_DEP_2)
	v_xor_b32_e32 v2, s17, v46
	ds_load_b32 v149, v148 offset:1056
	v_and_b32_e32 v3, v3, v45
	v_add_nc_u32_e32 v151, 0x420, v148
	; wave barrier
	v_and_b32_e32 v2, v3, v2
	s_delay_alu instid0(VALU_DEP_1) | instskip(SKIP_1) | instid1(VALU_DEP_2)
	v_mbcnt_lo_u32_b32 v150, v2, 0
	v_cmp_ne_u32_e64 s17, 0, v2
	v_cmp_eq_u32_e32 vcc_lo, 0, v150
	s_delay_alu instid0(VALU_DEP_2) | instskip(NEXT) | instid1(SALU_CYCLE_1)
	s_and_b32 s18, s17, vcc_lo
	s_and_saveexec_b32 s17, s18
	s_cbranch_execz .LBB1051_724
; %bb.723:                              ;   in Loop: Header=BB1051_696 Depth=2
	s_waitcnt lgkmcnt(0)
	v_bcnt_u32_b32 v2, v2, v149
	ds_store_b32 v151, v2
.LBB1051_724:                           ;   in Loop: Header=BB1051_696 Depth=2
	s_or_b32 exec_lo, exec_lo, s17
	v_lshrrev_b32_e32 v148, 16, v144
	; wave barrier
	s_delay_alu instid0(VALU_DEP_1) | instskip(NEXT) | instid1(VALU_DEP_1)
	v_lshrrev_b32_e32 v2, s57, v148
	v_and_b32_e32 v2, s43, v2
	s_delay_alu instid0(VALU_DEP_1)
	v_and_b32_e32 v3, 1, v2
	v_lshlrev_b32_e32 v45, 30, v2
	v_lshlrev_b32_e32 v46, 29, v2
	;; [unrolled: 1-line block ×4, first 2 shown]
	v_add_co_u32 v3, s17, v3, -1
	s_delay_alu instid0(VALU_DEP_1)
	v_cndmask_b32_e64 v153, 0, 1, s17
	v_not_b32_e32 v157, v45
	v_cmp_gt_i32_e64 s17, 0, v45
	v_not_b32_e32 v45, v46
	v_lshlrev_b32_e32 v155, 26, v2
	v_cmp_ne_u32_e32 vcc_lo, 0, v153
	v_ashrrev_i32_e32 v157, 31, v157
	v_lshlrev_b32_e32 v156, 25, v2
	v_ashrrev_i32_e32 v45, 31, v45
	v_lshlrev_b32_e32 v153, 24, v2
	v_xor_b32_e32 v3, vcc_lo, v3
	v_cmp_gt_i32_e32 vcc_lo, 0, v46
	v_not_b32_e32 v46, v152
	v_xor_b32_e32 v157, s17, v157
	v_cmp_gt_i32_e64 s17, 0, v152
	v_and_b32_e32 v3, exec_lo, v3
	v_not_b32_e32 v152, v154
	v_ashrrev_i32_e32 v46, 31, v46
	v_xor_b32_e32 v45, vcc_lo, v45
	v_cmp_gt_i32_e32 vcc_lo, 0, v154
	v_and_b32_e32 v3, v3, v157
	v_not_b32_e32 v154, v155
	v_ashrrev_i32_e32 v152, 31, v152
	v_xor_b32_e32 v46, s17, v46
	v_cmp_gt_i32_e64 s17, 0, v155
	v_and_b32_e32 v3, v3, v45
	v_not_b32_e32 v45, v156
	v_ashrrev_i32_e32 v154, 31, v154
	v_xor_b32_e32 v152, vcc_lo, v152
	v_cmp_gt_i32_e32 vcc_lo, 0, v156
	v_and_b32_e32 v3, v3, v46
	v_not_b32_e32 v46, v153
	v_ashrrev_i32_e32 v45, 31, v45
	v_xor_b32_e32 v154, s17, v154
	v_mul_u32_u24_e32 v2, 9, v2
	v_and_b32_e32 v3, v3, v152
	v_cmp_gt_i32_e64 s17, 0, v153
	v_ashrrev_i32_e32 v46, 31, v46
	v_xor_b32_e32 v45, vcc_lo, v45
	v_add_lshl_u32 v152, v2, v122, 2
	v_and_b32_e32 v3, v3, v154
	s_delay_alu instid0(VALU_DEP_4) | instskip(SKIP_3) | instid1(VALU_DEP_2)
	v_xor_b32_e32 v2, s17, v46
	ds_load_b32 v153, v152 offset:1056
	v_and_b32_e32 v3, v3, v45
	v_add_nc_u32_e32 v155, 0x420, v152
	; wave barrier
	v_and_b32_e32 v2, v3, v2
	s_delay_alu instid0(VALU_DEP_1) | instskip(SKIP_1) | instid1(VALU_DEP_2)
	v_mbcnt_lo_u32_b32 v154, v2, 0
	v_cmp_ne_u32_e64 s17, 0, v2
	v_cmp_eq_u32_e32 vcc_lo, 0, v154
	s_delay_alu instid0(VALU_DEP_2) | instskip(NEXT) | instid1(SALU_CYCLE_1)
	s_and_b32 s18, s17, vcc_lo
	s_and_saveexec_b32 s17, s18
	s_cbranch_execz .LBB1051_726
; %bb.725:                              ;   in Loop: Header=BB1051_696 Depth=2
	s_waitcnt lgkmcnt(0)
	v_bcnt_u32_b32 v2, v2, v153
	ds_store_b32 v155, v2
.LBB1051_726:                           ;   in Loop: Header=BB1051_696 Depth=2
	s_or_b32 exec_lo, exec_lo, s17
	v_xor_b32_e32 v152, 0x80008000, v4
	; wave barrier
	s_delay_alu instid0(VALU_DEP_1) | instskip(NEXT) | instid1(VALU_DEP_1)
	v_and_b32_e32 v2, 0xffff, v152
	v_lshrrev_b32_e32 v2, s57, v2
	s_delay_alu instid0(VALU_DEP_1) | instskip(NEXT) | instid1(VALU_DEP_1)
	v_and_b32_e32 v2, s43, v2
	v_and_b32_e32 v3, 1, v2
	v_lshlrev_b32_e32 v4, 30, v2
	v_lshlrev_b32_e32 v45, 29, v2
	;; [unrolled: 1-line block ×4, first 2 shown]
	v_add_co_u32 v3, s17, v3, -1
	s_delay_alu instid0(VALU_DEP_1)
	v_cndmask_b32_e64 v156, 0, 1, s17
	v_not_b32_e32 v160, v4
	v_cmp_gt_i32_e64 s17, 0, v4
	v_not_b32_e32 v4, v45
	v_lshlrev_b32_e32 v158, 26, v2
	v_cmp_ne_u32_e32 vcc_lo, 0, v156
	v_ashrrev_i32_e32 v160, 31, v160
	v_lshlrev_b32_e32 v159, 25, v2
	v_ashrrev_i32_e32 v4, 31, v4
	v_lshlrev_b32_e32 v156, 24, v2
	v_xor_b32_e32 v3, vcc_lo, v3
	v_cmp_gt_i32_e32 vcc_lo, 0, v45
	v_not_b32_e32 v45, v46
	v_xor_b32_e32 v160, s17, v160
	v_cmp_gt_i32_e64 s17, 0, v46
	v_and_b32_e32 v3, exec_lo, v3
	v_not_b32_e32 v46, v157
	v_ashrrev_i32_e32 v45, 31, v45
	v_xor_b32_e32 v4, vcc_lo, v4
	v_cmp_gt_i32_e32 vcc_lo, 0, v157
	v_and_b32_e32 v3, v3, v160
	v_not_b32_e32 v157, v158
	v_ashrrev_i32_e32 v46, 31, v46
	v_xor_b32_e32 v45, s17, v45
	v_cmp_gt_i32_e64 s17, 0, v158
	v_and_b32_e32 v3, v3, v4
	v_not_b32_e32 v4, v159
	v_ashrrev_i32_e32 v157, 31, v157
	v_xor_b32_e32 v46, vcc_lo, v46
	v_cmp_gt_i32_e32 vcc_lo, 0, v159
	v_and_b32_e32 v3, v3, v45
	v_not_b32_e32 v45, v156
	v_ashrrev_i32_e32 v4, 31, v4
	v_xor_b32_e32 v157, s17, v157
	v_mul_u32_u24_e32 v2, 9, v2
	v_and_b32_e32 v3, v3, v46
	v_cmp_gt_i32_e64 s17, 0, v156
	v_ashrrev_i32_e32 v45, 31, v45
	v_xor_b32_e32 v4, vcc_lo, v4
	v_add_lshl_u32 v46, v2, v122, 2
	v_and_b32_e32 v3, v3, v157
	s_delay_alu instid0(VALU_DEP_4) | instskip(SKIP_3) | instid1(VALU_DEP_2)
	v_xor_b32_e32 v2, s17, v45
	ds_load_b32 v157, v46 offset:1056
	v_and_b32_e32 v3, v3, v4
	v_add_nc_u32_e32 v159, 0x420, v46
	; wave barrier
	v_and_b32_e32 v2, v3, v2
	s_delay_alu instid0(VALU_DEP_1) | instskip(SKIP_1) | instid1(VALU_DEP_2)
	v_mbcnt_lo_u32_b32 v158, v2, 0
	v_cmp_ne_u32_e64 s17, 0, v2
	v_cmp_eq_u32_e32 vcc_lo, 0, v158
	s_delay_alu instid0(VALU_DEP_2) | instskip(NEXT) | instid1(SALU_CYCLE_1)
	s_and_b32 s18, s17, vcc_lo
	s_and_saveexec_b32 s17, s18
	s_cbranch_execz .LBB1051_728
; %bb.727:                              ;   in Loop: Header=BB1051_696 Depth=2
	s_waitcnt lgkmcnt(0)
	v_bcnt_u32_b32 v2, v2, v157
	ds_store_b32 v159, v2
.LBB1051_728:                           ;   in Loop: Header=BB1051_696 Depth=2
	s_or_b32 exec_lo, exec_lo, s17
	v_lshrrev_b32_e32 v156, 16, v152
	; wave barrier
	s_delay_alu instid0(VALU_DEP_1) | instskip(NEXT) | instid1(VALU_DEP_1)
	v_lshrrev_b32_e32 v2, s57, v156
	v_and_b32_e32 v2, s43, v2
	s_delay_alu instid0(VALU_DEP_1)
	v_and_b32_e32 v3, 1, v2
	v_lshlrev_b32_e32 v4, 30, v2
	v_lshlrev_b32_e32 v45, 29, v2
	;; [unrolled: 1-line block ×4, first 2 shown]
	v_add_co_u32 v3, s17, v3, -1
	s_delay_alu instid0(VALU_DEP_1)
	v_cndmask_b32_e64 v160, 0, 1, s17
	v_not_b32_e32 v164, v4
	v_cmp_gt_i32_e64 s17, 0, v4
	v_not_b32_e32 v4, v45
	v_lshlrev_b32_e32 v162, 26, v2
	v_cmp_ne_u32_e32 vcc_lo, 0, v160
	v_ashrrev_i32_e32 v164, 31, v164
	v_lshlrev_b32_e32 v163, 25, v2
	v_ashrrev_i32_e32 v4, 31, v4
	v_lshlrev_b32_e32 v160, 24, v2
	v_xor_b32_e32 v3, vcc_lo, v3
	v_cmp_gt_i32_e32 vcc_lo, 0, v45
	v_not_b32_e32 v45, v46
	v_xor_b32_e32 v164, s17, v164
	v_cmp_gt_i32_e64 s17, 0, v46
	v_and_b32_e32 v3, exec_lo, v3
	v_not_b32_e32 v46, v161
	v_ashrrev_i32_e32 v45, 31, v45
	v_xor_b32_e32 v4, vcc_lo, v4
	v_cmp_gt_i32_e32 vcc_lo, 0, v161
	v_and_b32_e32 v3, v3, v164
	v_not_b32_e32 v161, v162
	v_ashrrev_i32_e32 v46, 31, v46
	v_xor_b32_e32 v45, s17, v45
	v_cmp_gt_i32_e64 s17, 0, v162
	v_and_b32_e32 v3, v3, v4
	v_not_b32_e32 v4, v163
	v_ashrrev_i32_e32 v161, 31, v161
	v_xor_b32_e32 v46, vcc_lo, v46
	v_cmp_gt_i32_e32 vcc_lo, 0, v163
	v_and_b32_e32 v3, v3, v45
	v_not_b32_e32 v45, v160
	v_ashrrev_i32_e32 v4, 31, v4
	v_xor_b32_e32 v161, s17, v161
	v_mul_u32_u24_e32 v2, 9, v2
	v_and_b32_e32 v3, v3, v46
	v_cmp_gt_i32_e64 s17, 0, v160
	v_ashrrev_i32_e32 v45, 31, v45
	v_xor_b32_e32 v4, vcc_lo, v4
	v_add_lshl_u32 v46, v2, v122, 2
	v_and_b32_e32 v3, v3, v161
	s_delay_alu instid0(VALU_DEP_4) | instskip(SKIP_3) | instid1(VALU_DEP_2)
	v_xor_b32_e32 v2, s17, v45
	ds_load_b32 v161, v46 offset:1056
	v_and_b32_e32 v3, v3, v4
	v_add_nc_u32_e32 v163, 0x420, v46
	; wave barrier
	v_and_b32_e32 v2, v3, v2
	s_delay_alu instid0(VALU_DEP_1) | instskip(SKIP_1) | instid1(VALU_DEP_2)
	v_mbcnt_lo_u32_b32 v162, v2, 0
	v_cmp_ne_u32_e64 s17, 0, v2
	v_cmp_eq_u32_e32 vcc_lo, 0, v162
	s_delay_alu instid0(VALU_DEP_2) | instskip(NEXT) | instid1(SALU_CYCLE_1)
	s_and_b32 s18, s17, vcc_lo
	s_and_saveexec_b32 s17, s18
	s_cbranch_execz .LBB1051_730
; %bb.729:                              ;   in Loop: Header=BB1051_696 Depth=2
	s_waitcnt lgkmcnt(0)
	v_bcnt_u32_b32 v2, v2, v161
	ds_store_b32 v163, v2
.LBB1051_730:                           ;   in Loop: Header=BB1051_696 Depth=2
	s_or_b32 exec_lo, exec_lo, s17
	v_xor_b32_e32 v160, 0x80008000, v5
	; wave barrier
	s_delay_alu instid0(VALU_DEP_1) | instskip(NEXT) | instid1(VALU_DEP_1)
	v_and_b32_e32 v2, 0xffff, v160
	v_lshrrev_b32_e32 v2, s57, v2
	s_delay_alu instid0(VALU_DEP_1) | instskip(NEXT) | instid1(VALU_DEP_1)
	v_and_b32_e32 v2, s43, v2
	v_and_b32_e32 v3, 1, v2
	v_lshlrev_b32_e32 v4, 30, v2
	v_lshlrev_b32_e32 v5, 29, v2
	;; [unrolled: 1-line block ×4, first 2 shown]
	v_add_co_u32 v3, s17, v3, -1
	s_delay_alu instid0(VALU_DEP_1)
	v_cndmask_b32_e64 v46, 0, 1, s17
	v_not_b32_e32 v167, v4
	v_cmp_gt_i32_e64 s17, 0, v4
	v_not_b32_e32 v4, v5
	v_lshlrev_b32_e32 v165, 26, v2
	v_cmp_ne_u32_e32 vcc_lo, 0, v46
	v_ashrrev_i32_e32 v167, 31, v167
	v_lshlrev_b32_e32 v166, 25, v2
	v_ashrrev_i32_e32 v4, 31, v4
	v_lshlrev_b32_e32 v46, 24, v2
	v_xor_b32_e32 v3, vcc_lo, v3
	v_cmp_gt_i32_e32 vcc_lo, 0, v5
	v_not_b32_e32 v5, v45
	v_xor_b32_e32 v167, s17, v167
	v_cmp_gt_i32_e64 s17, 0, v45
	v_and_b32_e32 v3, exec_lo, v3
	v_not_b32_e32 v45, v164
	v_ashrrev_i32_e32 v5, 31, v5
	v_xor_b32_e32 v4, vcc_lo, v4
	v_cmp_gt_i32_e32 vcc_lo, 0, v164
	v_and_b32_e32 v3, v3, v167
	v_not_b32_e32 v164, v165
	v_ashrrev_i32_e32 v45, 31, v45
	v_xor_b32_e32 v5, s17, v5
	v_cmp_gt_i32_e64 s17, 0, v165
	v_and_b32_e32 v3, v3, v4
	v_not_b32_e32 v4, v166
	v_ashrrev_i32_e32 v164, 31, v164
	v_xor_b32_e32 v45, vcc_lo, v45
	v_cmp_gt_i32_e32 vcc_lo, 0, v166
	v_and_b32_e32 v3, v3, v5
	v_not_b32_e32 v5, v46
	v_ashrrev_i32_e32 v4, 31, v4
	v_xor_b32_e32 v164, s17, v164
	v_mul_u32_u24_e32 v2, 9, v2
	v_and_b32_e32 v3, v3, v45
	v_cmp_gt_i32_e64 s17, 0, v46
	v_ashrrev_i32_e32 v5, 31, v5
	v_xor_b32_e32 v4, vcc_lo, v4
	v_add_lshl_u32 v45, v2, v122, 2
	v_and_b32_e32 v3, v3, v164
	s_delay_alu instid0(VALU_DEP_4) | instskip(SKIP_3) | instid1(VALU_DEP_2)
	v_xor_b32_e32 v2, s17, v5
	ds_load_b32 v165, v45 offset:1056
	v_and_b32_e32 v3, v3, v4
	v_add_nc_u32_e32 v167, 0x420, v45
	; wave barrier
	v_and_b32_e32 v2, v3, v2
	s_delay_alu instid0(VALU_DEP_1) | instskip(SKIP_1) | instid1(VALU_DEP_2)
	v_mbcnt_lo_u32_b32 v166, v2, 0
	v_cmp_ne_u32_e64 s17, 0, v2
	v_cmp_eq_u32_e32 vcc_lo, 0, v166
	s_delay_alu instid0(VALU_DEP_2) | instskip(NEXT) | instid1(SALU_CYCLE_1)
	s_and_b32 s18, s17, vcc_lo
	s_and_saveexec_b32 s17, s18
	s_cbranch_execz .LBB1051_732
; %bb.731:                              ;   in Loop: Header=BB1051_696 Depth=2
	s_waitcnt lgkmcnt(0)
	v_bcnt_u32_b32 v2, v2, v165
	ds_store_b32 v167, v2
.LBB1051_732:                           ;   in Loop: Header=BB1051_696 Depth=2
	s_or_b32 exec_lo, exec_lo, s17
	v_lshrrev_b32_e32 v164, 16, v160
	; wave barrier
	s_delay_alu instid0(VALU_DEP_1) | instskip(NEXT) | instid1(VALU_DEP_1)
	v_lshrrev_b32_e32 v2, s57, v164
	v_and_b32_e32 v2, s43, v2
	s_delay_alu instid0(VALU_DEP_1)
	v_and_b32_e32 v3, 1, v2
	v_lshlrev_b32_e32 v4, 30, v2
	v_lshlrev_b32_e32 v5, 29, v2
	;; [unrolled: 1-line block ×4, first 2 shown]
	v_add_co_u32 v3, s17, v3, -1
	s_delay_alu instid0(VALU_DEP_1)
	v_cndmask_b32_e64 v46, 0, 1, s17
	v_not_b32_e32 v171, v4
	v_cmp_gt_i32_e64 s17, 0, v4
	v_not_b32_e32 v4, v5
	v_lshlrev_b32_e32 v169, 26, v2
	v_cmp_ne_u32_e32 vcc_lo, 0, v46
	v_ashrrev_i32_e32 v171, 31, v171
	v_lshlrev_b32_e32 v170, 25, v2
	v_ashrrev_i32_e32 v4, 31, v4
	v_lshlrev_b32_e32 v46, 24, v2
	v_xor_b32_e32 v3, vcc_lo, v3
	v_cmp_gt_i32_e32 vcc_lo, 0, v5
	v_not_b32_e32 v5, v45
	v_xor_b32_e32 v171, s17, v171
	v_cmp_gt_i32_e64 s17, 0, v45
	v_and_b32_e32 v3, exec_lo, v3
	v_not_b32_e32 v45, v168
	v_ashrrev_i32_e32 v5, 31, v5
	v_xor_b32_e32 v4, vcc_lo, v4
	v_cmp_gt_i32_e32 vcc_lo, 0, v168
	v_and_b32_e32 v3, v3, v171
	v_not_b32_e32 v168, v169
	v_ashrrev_i32_e32 v45, 31, v45
	v_xor_b32_e32 v5, s17, v5
	v_cmp_gt_i32_e64 s17, 0, v169
	v_and_b32_e32 v3, v3, v4
	v_not_b32_e32 v4, v170
	v_ashrrev_i32_e32 v168, 31, v168
	v_xor_b32_e32 v45, vcc_lo, v45
	v_cmp_gt_i32_e32 vcc_lo, 0, v170
	v_and_b32_e32 v3, v3, v5
	v_not_b32_e32 v5, v46
	v_ashrrev_i32_e32 v4, 31, v4
	v_xor_b32_e32 v168, s17, v168
	v_mul_u32_u24_e32 v2, 9, v2
	v_and_b32_e32 v3, v3, v45
	v_cmp_gt_i32_e64 s17, 0, v46
	v_ashrrev_i32_e32 v5, 31, v5
	v_xor_b32_e32 v4, vcc_lo, v4
	v_add_lshl_u32 v45, v2, v122, 2
	v_and_b32_e32 v3, v3, v168
	s_delay_alu instid0(VALU_DEP_4) | instskip(SKIP_3) | instid1(VALU_DEP_2)
	v_xor_b32_e32 v2, s17, v5
	ds_load_b32 v169, v45 offset:1056
	v_and_b32_e32 v3, v3, v4
	v_add_nc_u32_e32 v171, 0x420, v45
	; wave barrier
	v_and_b32_e32 v2, v3, v2
	s_delay_alu instid0(VALU_DEP_1) | instskip(SKIP_1) | instid1(VALU_DEP_2)
	v_mbcnt_lo_u32_b32 v170, v2, 0
	v_cmp_ne_u32_e64 s17, 0, v2
	v_cmp_eq_u32_e32 vcc_lo, 0, v170
	s_delay_alu instid0(VALU_DEP_2) | instskip(NEXT) | instid1(SALU_CYCLE_1)
	s_and_b32 s18, s17, vcc_lo
	s_and_saveexec_b32 s17, s18
	s_cbranch_execz .LBB1051_734
; %bb.733:                              ;   in Loop: Header=BB1051_696 Depth=2
	s_waitcnt lgkmcnt(0)
	v_bcnt_u32_b32 v2, v2, v169
	ds_store_b32 v171, v2
.LBB1051_734:                           ;   in Loop: Header=BB1051_696 Depth=2
	s_or_b32 exec_lo, exec_lo, s17
	v_xor_b32_e32 v168, 0x80008000, v6
	; wave barrier
	s_delay_alu instid0(VALU_DEP_1) | instskip(NEXT) | instid1(VALU_DEP_1)
	v_and_b32_e32 v2, 0xffff, v168
	v_lshrrev_b32_e32 v2, s57, v2
	s_delay_alu instid0(VALU_DEP_1) | instskip(NEXT) | instid1(VALU_DEP_1)
	v_and_b32_e32 v2, s43, v2
	v_and_b32_e32 v3, 1, v2
	v_lshlrev_b32_e32 v4, 30, v2
	v_lshlrev_b32_e32 v5, 29, v2
	;; [unrolled: 1-line block ×4, first 2 shown]
	v_add_co_u32 v3, s17, v3, -1
	s_delay_alu instid0(VALU_DEP_1)
	v_cndmask_b32_e64 v45, 0, 1, s17
	v_not_b32_e32 v174, v4
	v_cmp_gt_i32_e64 s17, 0, v4
	v_not_b32_e32 v4, v5
	v_lshlrev_b32_e32 v172, 26, v2
	v_cmp_ne_u32_e32 vcc_lo, 0, v45
	v_ashrrev_i32_e32 v174, 31, v174
	v_lshlrev_b32_e32 v173, 25, v2
	v_ashrrev_i32_e32 v4, 31, v4
	v_lshlrev_b32_e32 v45, 24, v2
	v_xor_b32_e32 v3, vcc_lo, v3
	v_cmp_gt_i32_e32 vcc_lo, 0, v5
	v_not_b32_e32 v5, v6
	v_xor_b32_e32 v174, s17, v174
	v_cmp_gt_i32_e64 s17, 0, v6
	v_and_b32_e32 v3, exec_lo, v3
	v_not_b32_e32 v6, v46
	v_ashrrev_i32_e32 v5, 31, v5
	v_xor_b32_e32 v4, vcc_lo, v4
	v_cmp_gt_i32_e32 vcc_lo, 0, v46
	v_and_b32_e32 v3, v3, v174
	v_not_b32_e32 v46, v172
	v_ashrrev_i32_e32 v6, 31, v6
	v_xor_b32_e32 v5, s17, v5
	v_cmp_gt_i32_e64 s17, 0, v172
	v_and_b32_e32 v3, v3, v4
	v_not_b32_e32 v4, v173
	v_ashrrev_i32_e32 v46, 31, v46
	v_xor_b32_e32 v6, vcc_lo, v6
	v_cmp_gt_i32_e32 vcc_lo, 0, v173
	v_and_b32_e32 v3, v3, v5
	v_not_b32_e32 v5, v45
	v_ashrrev_i32_e32 v4, 31, v4
	v_xor_b32_e32 v46, s17, v46
	v_mul_u32_u24_e32 v2, 9, v2
	v_and_b32_e32 v3, v3, v6
	v_cmp_gt_i32_e64 s17, 0, v45
	v_ashrrev_i32_e32 v5, 31, v5
	v_xor_b32_e32 v4, vcc_lo, v4
	v_add_lshl_u32 v6, v2, v122, 2
	v_and_b32_e32 v3, v3, v46
	s_delay_alu instid0(VALU_DEP_4) | instskip(SKIP_3) | instid1(VALU_DEP_2)
	v_xor_b32_e32 v2, s17, v5
	ds_load_b32 v173, v6 offset:1056
	v_and_b32_e32 v3, v3, v4
	v_add_nc_u32_e32 v175, 0x420, v6
	; wave barrier
	v_and_b32_e32 v2, v3, v2
	s_delay_alu instid0(VALU_DEP_1) | instskip(SKIP_1) | instid1(VALU_DEP_2)
	v_mbcnt_lo_u32_b32 v174, v2, 0
	v_cmp_ne_u32_e64 s17, 0, v2
	v_cmp_eq_u32_e32 vcc_lo, 0, v174
	s_delay_alu instid0(VALU_DEP_2) | instskip(NEXT) | instid1(SALU_CYCLE_1)
	s_and_b32 s18, s17, vcc_lo
	s_and_saveexec_b32 s17, s18
	s_cbranch_execz .LBB1051_736
; %bb.735:                              ;   in Loop: Header=BB1051_696 Depth=2
	s_waitcnt lgkmcnt(0)
	v_bcnt_u32_b32 v2, v2, v173
	ds_store_b32 v175, v2
.LBB1051_736:                           ;   in Loop: Header=BB1051_696 Depth=2
	s_or_b32 exec_lo, exec_lo, s17
	v_lshrrev_b32_e32 v172, 16, v168
	; wave barrier
	s_delay_alu instid0(VALU_DEP_1) | instskip(NEXT) | instid1(VALU_DEP_1)
	v_lshrrev_b32_e32 v2, s57, v172
	v_and_b32_e32 v2, s43, v2
	s_delay_alu instid0(VALU_DEP_1)
	v_and_b32_e32 v3, 1, v2
	v_lshlrev_b32_e32 v4, 30, v2
	v_lshlrev_b32_e32 v5, 29, v2
	;; [unrolled: 1-line block ×4, first 2 shown]
	v_add_co_u32 v3, s17, v3, -1
	s_delay_alu instid0(VALU_DEP_1)
	v_cndmask_b32_e64 v45, 0, 1, s17
	v_not_b32_e32 v178, v4
	v_cmp_gt_i32_e64 s17, 0, v4
	v_not_b32_e32 v4, v5
	v_lshlrev_b32_e32 v176, 26, v2
	v_cmp_ne_u32_e32 vcc_lo, 0, v45
	v_ashrrev_i32_e32 v178, 31, v178
	v_lshlrev_b32_e32 v177, 25, v2
	v_ashrrev_i32_e32 v4, 31, v4
	v_lshlrev_b32_e32 v45, 24, v2
	v_xor_b32_e32 v3, vcc_lo, v3
	v_cmp_gt_i32_e32 vcc_lo, 0, v5
	v_not_b32_e32 v5, v6
	v_xor_b32_e32 v178, s17, v178
	v_cmp_gt_i32_e64 s17, 0, v6
	v_and_b32_e32 v3, exec_lo, v3
	v_not_b32_e32 v6, v46
	v_ashrrev_i32_e32 v5, 31, v5
	v_xor_b32_e32 v4, vcc_lo, v4
	v_cmp_gt_i32_e32 vcc_lo, 0, v46
	v_and_b32_e32 v3, v3, v178
	v_not_b32_e32 v46, v176
	v_ashrrev_i32_e32 v6, 31, v6
	v_xor_b32_e32 v5, s17, v5
	v_cmp_gt_i32_e64 s17, 0, v176
	v_and_b32_e32 v3, v3, v4
	v_not_b32_e32 v4, v177
	v_ashrrev_i32_e32 v46, 31, v46
	v_xor_b32_e32 v6, vcc_lo, v6
	v_cmp_gt_i32_e32 vcc_lo, 0, v177
	v_and_b32_e32 v3, v3, v5
	v_not_b32_e32 v5, v45
	v_ashrrev_i32_e32 v4, 31, v4
	v_xor_b32_e32 v46, s17, v46
	v_mul_u32_u24_e32 v2, 9, v2
	v_and_b32_e32 v3, v3, v6
	v_cmp_gt_i32_e64 s17, 0, v45
	v_ashrrev_i32_e32 v5, 31, v5
	v_xor_b32_e32 v4, vcc_lo, v4
	v_add_lshl_u32 v6, v2, v122, 2
	v_and_b32_e32 v3, v3, v46
	s_delay_alu instid0(VALU_DEP_4) | instskip(SKIP_3) | instid1(VALU_DEP_2)
	v_xor_b32_e32 v2, s17, v5
	ds_load_b32 v177, v6 offset:1056
	v_and_b32_e32 v3, v3, v4
	v_add_nc_u32_e32 v179, 0x420, v6
	; wave barrier
	v_and_b32_e32 v2, v3, v2
	s_delay_alu instid0(VALU_DEP_1) | instskip(SKIP_1) | instid1(VALU_DEP_2)
	v_mbcnt_lo_u32_b32 v178, v2, 0
	v_cmp_ne_u32_e64 s17, 0, v2
	v_cmp_eq_u32_e32 vcc_lo, 0, v178
	s_delay_alu instid0(VALU_DEP_2) | instskip(NEXT) | instid1(SALU_CYCLE_1)
	s_and_b32 s18, s17, vcc_lo
	s_and_saveexec_b32 s17, s18
	s_cbranch_execz .LBB1051_738
; %bb.737:                              ;   in Loop: Header=BB1051_696 Depth=2
	s_waitcnt lgkmcnt(0)
	v_bcnt_u32_b32 v2, v2, v177
	ds_store_b32 v179, v2
.LBB1051_738:                           ;   in Loop: Header=BB1051_696 Depth=2
	s_or_b32 exec_lo, exec_lo, s17
	v_xor_b32_e32 v176, 0x80008000, v7
	; wave barrier
	s_delay_alu instid0(VALU_DEP_1) | instskip(NEXT) | instid1(VALU_DEP_1)
	v_and_b32_e32 v2, 0xffff, v176
	v_lshrrev_b32_e32 v2, s57, v2
	s_delay_alu instid0(VALU_DEP_1) | instskip(NEXT) | instid1(VALU_DEP_1)
	v_and_b32_e32 v2, s43, v2
	v_and_b32_e32 v3, 1, v2
	v_lshlrev_b32_e32 v4, 30, v2
	v_lshlrev_b32_e32 v5, 29, v2
	;; [unrolled: 1-line block ×4, first 2 shown]
	v_add_co_u32 v3, s17, v3, -1
	s_delay_alu instid0(VALU_DEP_1)
	v_cndmask_b32_e64 v7, 0, 1, s17
	v_not_b32_e32 v181, v4
	v_cmp_gt_i32_e64 s17, 0, v4
	v_not_b32_e32 v4, v5
	v_lshlrev_b32_e32 v46, 26, v2
	v_cmp_ne_u32_e32 vcc_lo, 0, v7
	v_ashrrev_i32_e32 v181, 31, v181
	v_lshlrev_b32_e32 v180, 25, v2
	v_ashrrev_i32_e32 v4, 31, v4
	v_lshlrev_b32_e32 v7, 24, v2
	v_xor_b32_e32 v3, vcc_lo, v3
	v_cmp_gt_i32_e32 vcc_lo, 0, v5
	v_not_b32_e32 v5, v6
	v_xor_b32_e32 v181, s17, v181
	v_cmp_gt_i32_e64 s17, 0, v6
	v_and_b32_e32 v3, exec_lo, v3
	v_not_b32_e32 v6, v45
	v_ashrrev_i32_e32 v5, 31, v5
	v_xor_b32_e32 v4, vcc_lo, v4
	v_cmp_gt_i32_e32 vcc_lo, 0, v45
	v_and_b32_e32 v3, v3, v181
	v_not_b32_e32 v45, v46
	v_ashrrev_i32_e32 v6, 31, v6
	v_xor_b32_e32 v5, s17, v5
	v_cmp_gt_i32_e64 s17, 0, v46
	v_and_b32_e32 v3, v3, v4
	v_not_b32_e32 v4, v180
	v_ashrrev_i32_e32 v45, 31, v45
	v_xor_b32_e32 v6, vcc_lo, v6
	v_cmp_gt_i32_e32 vcc_lo, 0, v180
	v_and_b32_e32 v3, v3, v5
	v_not_b32_e32 v5, v7
	v_ashrrev_i32_e32 v4, 31, v4
	v_xor_b32_e32 v45, s17, v45
	v_mul_u32_u24_e32 v2, 9, v2
	v_and_b32_e32 v3, v3, v6
	v_cmp_gt_i32_e64 s17, 0, v7
	v_ashrrev_i32_e32 v5, 31, v5
	v_xor_b32_e32 v4, vcc_lo, v4
	v_add_lshl_u32 v6, v2, v122, 2
	v_and_b32_e32 v3, v3, v45
	s_delay_alu instid0(VALU_DEP_4) | instskip(SKIP_3) | instid1(VALU_DEP_2)
	v_xor_b32_e32 v2, s17, v5
	ds_load_b32 v181, v6 offset:1056
	v_and_b32_e32 v3, v3, v4
	v_add_nc_u32_e32 v183, 0x420, v6
	; wave barrier
	v_and_b32_e32 v2, v3, v2
	s_delay_alu instid0(VALU_DEP_1) | instskip(SKIP_1) | instid1(VALU_DEP_2)
	v_mbcnt_lo_u32_b32 v182, v2, 0
	v_cmp_ne_u32_e64 s17, 0, v2
	v_cmp_eq_u32_e32 vcc_lo, 0, v182
	s_delay_alu instid0(VALU_DEP_2) | instskip(NEXT) | instid1(SALU_CYCLE_1)
	s_and_b32 s18, s17, vcc_lo
	s_and_saveexec_b32 s17, s18
	s_cbranch_execz .LBB1051_740
; %bb.739:                              ;   in Loop: Header=BB1051_696 Depth=2
	s_waitcnt lgkmcnt(0)
	v_bcnt_u32_b32 v2, v2, v181
	ds_store_b32 v183, v2
.LBB1051_740:                           ;   in Loop: Header=BB1051_696 Depth=2
	s_or_b32 exec_lo, exec_lo, s17
	v_lshrrev_b32_e32 v180, 16, v176
	; wave barrier
	s_delay_alu instid0(VALU_DEP_1) | instskip(NEXT) | instid1(VALU_DEP_1)
	v_lshrrev_b32_e32 v2, s57, v180
	v_and_b32_e32 v2, s43, v2
	s_delay_alu instid0(VALU_DEP_1)
	v_and_b32_e32 v3, 1, v2
	v_lshlrev_b32_e32 v4, 30, v2
	v_lshlrev_b32_e32 v5, 29, v2
	;; [unrolled: 1-line block ×4, first 2 shown]
	v_add_co_u32 v3, s17, v3, -1
	s_delay_alu instid0(VALU_DEP_1)
	v_cndmask_b32_e64 v7, 0, 1, s17
	v_not_b32_e32 v185, v4
	v_cmp_gt_i32_e64 s17, 0, v4
	v_not_b32_e32 v4, v5
	v_lshlrev_b32_e32 v46, 26, v2
	v_cmp_ne_u32_e32 vcc_lo, 0, v7
	v_ashrrev_i32_e32 v185, 31, v185
	v_lshlrev_b32_e32 v184, 25, v2
	v_ashrrev_i32_e32 v4, 31, v4
	v_lshlrev_b32_e32 v7, 24, v2
	v_xor_b32_e32 v3, vcc_lo, v3
	v_cmp_gt_i32_e32 vcc_lo, 0, v5
	v_not_b32_e32 v5, v6
	v_xor_b32_e32 v185, s17, v185
	v_cmp_gt_i32_e64 s17, 0, v6
	v_and_b32_e32 v3, exec_lo, v3
	v_not_b32_e32 v6, v45
	v_ashrrev_i32_e32 v5, 31, v5
	v_xor_b32_e32 v4, vcc_lo, v4
	v_cmp_gt_i32_e32 vcc_lo, 0, v45
	v_and_b32_e32 v3, v3, v185
	v_not_b32_e32 v45, v46
	v_ashrrev_i32_e32 v6, 31, v6
	v_xor_b32_e32 v5, s17, v5
	v_cmp_gt_i32_e64 s17, 0, v46
	v_and_b32_e32 v3, v3, v4
	v_not_b32_e32 v4, v184
	v_ashrrev_i32_e32 v45, 31, v45
	v_xor_b32_e32 v6, vcc_lo, v6
	v_cmp_gt_i32_e32 vcc_lo, 0, v184
	v_and_b32_e32 v3, v3, v5
	v_not_b32_e32 v5, v7
	v_ashrrev_i32_e32 v4, 31, v4
	v_xor_b32_e32 v45, s17, v45
	v_mul_u32_u24_e32 v2, 9, v2
	v_and_b32_e32 v3, v3, v6
	v_cmp_gt_i32_e64 s17, 0, v7
	v_ashrrev_i32_e32 v5, 31, v5
	v_xor_b32_e32 v4, vcc_lo, v4
	v_add_lshl_u32 v6, v2, v122, 2
	v_and_b32_e32 v3, v3, v45
	s_delay_alu instid0(VALU_DEP_4) | instskip(SKIP_3) | instid1(VALU_DEP_2)
	v_xor_b32_e32 v2, s17, v5
	ds_load_b32 v185, v6 offset:1056
	v_and_b32_e32 v3, v3, v4
	v_add_nc_u32_e32 v187, 0x420, v6
	; wave barrier
	v_and_b32_e32 v2, v3, v2
	s_delay_alu instid0(VALU_DEP_1) | instskip(SKIP_1) | instid1(VALU_DEP_2)
	v_mbcnt_lo_u32_b32 v186, v2, 0
	v_cmp_ne_u32_e64 s17, 0, v2
	v_cmp_eq_u32_e32 vcc_lo, 0, v186
	s_delay_alu instid0(VALU_DEP_2) | instskip(NEXT) | instid1(SALU_CYCLE_1)
	s_and_b32 s18, s17, vcc_lo
	s_and_saveexec_b32 s17, s18
	s_cbranch_execz .LBB1051_742
; %bb.741:                              ;   in Loop: Header=BB1051_696 Depth=2
	s_waitcnt lgkmcnt(0)
	v_bcnt_u32_b32 v2, v2, v185
	ds_store_b32 v187, v2
.LBB1051_742:                           ;   in Loop: Header=BB1051_696 Depth=2
	s_or_b32 exec_lo, exec_lo, s17
	v_xor_b32_e32 v184, 0x80008000, v8
	; wave barrier
	s_delay_alu instid0(VALU_DEP_1) | instskip(NEXT) | instid1(VALU_DEP_1)
	v_and_b32_e32 v2, 0xffff, v184
	v_lshrrev_b32_e32 v2, s57, v2
	s_delay_alu instid0(VALU_DEP_1) | instskip(NEXT) | instid1(VALU_DEP_1)
	v_and_b32_e32 v2, s43, v2
	v_and_b32_e32 v3, 1, v2
	v_lshlrev_b32_e32 v4, 30, v2
	v_lshlrev_b32_e32 v5, 29, v2
	;; [unrolled: 1-line block ×4, first 2 shown]
	v_add_co_u32 v3, s17, v3, -1
	s_delay_alu instid0(VALU_DEP_1)
	v_cndmask_b32_e64 v7, 0, 1, s17
	v_not_b32_e32 v188, v4
	v_cmp_gt_i32_e64 s17, 0, v4
	v_not_b32_e32 v4, v5
	v_lshlrev_b32_e32 v45, 26, v2
	v_cmp_ne_u32_e32 vcc_lo, 0, v7
	v_ashrrev_i32_e32 v188, 31, v188
	v_lshlrev_b32_e32 v46, 25, v2
	v_ashrrev_i32_e32 v4, 31, v4
	v_lshlrev_b32_e32 v7, 24, v2
	v_xor_b32_e32 v3, vcc_lo, v3
	v_cmp_gt_i32_e32 vcc_lo, 0, v5
	v_not_b32_e32 v5, v6
	v_xor_b32_e32 v188, s17, v188
	v_cmp_gt_i32_e64 s17, 0, v6
	v_and_b32_e32 v3, exec_lo, v3
	v_not_b32_e32 v6, v8
	v_ashrrev_i32_e32 v5, 31, v5
	v_xor_b32_e32 v4, vcc_lo, v4
	v_cmp_gt_i32_e32 vcc_lo, 0, v8
	v_and_b32_e32 v3, v3, v188
	v_not_b32_e32 v8, v45
	v_ashrrev_i32_e32 v6, 31, v6
	v_xor_b32_e32 v5, s17, v5
	v_cmp_gt_i32_e64 s17, 0, v45
	v_and_b32_e32 v3, v3, v4
	v_not_b32_e32 v4, v46
	v_ashrrev_i32_e32 v8, 31, v8
	v_xor_b32_e32 v6, vcc_lo, v6
	v_cmp_gt_i32_e32 vcc_lo, 0, v46
	v_and_b32_e32 v3, v3, v5
	v_not_b32_e32 v5, v7
	v_ashrrev_i32_e32 v4, 31, v4
	v_xor_b32_e32 v8, s17, v8
	v_mul_u32_u24_e32 v2, 9, v2
	v_and_b32_e32 v3, v3, v6
	v_cmp_gt_i32_e64 s17, 0, v7
	v_ashrrev_i32_e32 v5, 31, v5
	v_xor_b32_e32 v4, vcc_lo, v4
	v_add_lshl_u32 v6, v2, v122, 2
	v_and_b32_e32 v3, v3, v8
	s_delay_alu instid0(VALU_DEP_4) | instskip(SKIP_3) | instid1(VALU_DEP_2)
	v_xor_b32_e32 v2, s17, v5
	ds_load_b32 v8, v6 offset:1056
	v_and_b32_e32 v3, v3, v4
	v_add_nc_u32_e32 v190, 0x420, v6
	; wave barrier
	v_and_b32_e32 v2, v3, v2
	s_delay_alu instid0(VALU_DEP_1) | instskip(SKIP_1) | instid1(VALU_DEP_2)
	v_mbcnt_lo_u32_b32 v189, v2, 0
	v_cmp_ne_u32_e64 s17, 0, v2
	v_cmp_eq_u32_e32 vcc_lo, 0, v189
	s_delay_alu instid0(VALU_DEP_2) | instskip(NEXT) | instid1(SALU_CYCLE_1)
	s_and_b32 s18, s17, vcc_lo
	s_and_saveexec_b32 s17, s18
	s_cbranch_execz .LBB1051_744
; %bb.743:                              ;   in Loop: Header=BB1051_696 Depth=2
	s_waitcnt lgkmcnt(0)
	v_bcnt_u32_b32 v2, v2, v8
	ds_store_b32 v190, v2
.LBB1051_744:                           ;   in Loop: Header=BB1051_696 Depth=2
	s_or_b32 exec_lo, exec_lo, s17
	v_lshrrev_b32_e32 v188, 16, v184
	; wave barrier
	s_delay_alu instid0(VALU_DEP_1) | instskip(NEXT) | instid1(VALU_DEP_1)
	v_lshrrev_b32_e32 v2, s57, v188
	v_and_b32_e32 v2, s43, v2
	s_delay_alu instid0(VALU_DEP_1)
	v_and_b32_e32 v3, 1, v2
	v_lshlrev_b32_e32 v4, 30, v2
	v_lshlrev_b32_e32 v5, 29, v2
	;; [unrolled: 1-line block ×4, first 2 shown]
	v_add_co_u32 v3, s17, v3, -1
	s_delay_alu instid0(VALU_DEP_1)
	v_cndmask_b32_e64 v7, 0, 1, s17
	v_not_b32_e32 v192, v4
	v_cmp_gt_i32_e64 s17, 0, v4
	v_not_b32_e32 v4, v5
	v_lshlrev_b32_e32 v46, 26, v2
	v_cmp_ne_u32_e32 vcc_lo, 0, v7
	v_ashrrev_i32_e32 v192, 31, v192
	v_lshlrev_b32_e32 v191, 25, v2
	v_ashrrev_i32_e32 v4, 31, v4
	v_lshlrev_b32_e32 v7, 24, v2
	v_xor_b32_e32 v3, vcc_lo, v3
	v_cmp_gt_i32_e32 vcc_lo, 0, v5
	v_not_b32_e32 v5, v6
	v_xor_b32_e32 v192, s17, v192
	v_cmp_gt_i32_e64 s17, 0, v6
	v_and_b32_e32 v3, exec_lo, v3
	v_not_b32_e32 v6, v45
	v_ashrrev_i32_e32 v5, 31, v5
	v_xor_b32_e32 v4, vcc_lo, v4
	v_cmp_gt_i32_e32 vcc_lo, 0, v45
	v_and_b32_e32 v3, v3, v192
	v_not_b32_e32 v45, v46
	v_ashrrev_i32_e32 v6, 31, v6
	v_xor_b32_e32 v5, s17, v5
	v_cmp_gt_i32_e64 s17, 0, v46
	v_and_b32_e32 v3, v3, v4
	v_not_b32_e32 v4, v191
	v_ashrrev_i32_e32 v45, 31, v45
	v_xor_b32_e32 v6, vcc_lo, v6
	v_cmp_gt_i32_e32 vcc_lo, 0, v191
	v_and_b32_e32 v3, v3, v5
	v_not_b32_e32 v5, v7
	v_ashrrev_i32_e32 v4, 31, v4
	v_xor_b32_e32 v45, s17, v45
	v_mul_u32_u24_e32 v2, 9, v2
	v_and_b32_e32 v3, v3, v6
	v_cmp_gt_i32_e64 s17, 0, v7
	v_ashrrev_i32_e32 v5, 31, v5
	v_xor_b32_e32 v4, vcc_lo, v4
	v_add_lshl_u32 v6, v2, v122, 2
	v_and_b32_e32 v3, v3, v45
	s_delay_alu instid0(VALU_DEP_4) | instskip(SKIP_3) | instid1(VALU_DEP_2)
	v_xor_b32_e32 v2, s17, v5
	ds_load_b32 v191, v6 offset:1056
	v_and_b32_e32 v3, v3, v4
	v_add_nc_u32_e32 v193, 0x420, v6
	; wave barrier
	v_and_b32_e32 v2, v3, v2
	s_delay_alu instid0(VALU_DEP_1) | instskip(SKIP_1) | instid1(VALU_DEP_2)
	v_mbcnt_lo_u32_b32 v192, v2, 0
	v_cmp_ne_u32_e64 s17, 0, v2
	v_cmp_eq_u32_e32 vcc_lo, 0, v192
	s_delay_alu instid0(VALU_DEP_2) | instskip(NEXT) | instid1(SALU_CYCLE_1)
	s_and_b32 s18, s17, vcc_lo
	s_and_saveexec_b32 s17, s18
	s_cbranch_execz .LBB1051_746
; %bb.745:                              ;   in Loop: Header=BB1051_696 Depth=2
	s_waitcnt lgkmcnt(0)
	v_bcnt_u32_b32 v2, v2, v191
	ds_store_b32 v193, v2
.LBB1051_746:                           ;   in Loop: Header=BB1051_696 Depth=2
	s_or_b32 exec_lo, exec_lo, s17
	v_xor_b32_e32 v9, 0x80008000, v9
	; wave barrier
	s_delay_alu instid0(VALU_DEP_1) | instskip(NEXT) | instid1(VALU_DEP_1)
	v_and_b32_e32 v2, 0xffff, v9
	v_lshrrev_b32_e32 v2, s57, v2
	s_delay_alu instid0(VALU_DEP_1) | instskip(NEXT) | instid1(VALU_DEP_1)
	v_and_b32_e32 v2, s43, v2
	v_and_b32_e32 v3, 1, v2
	v_lshlrev_b32_e32 v4, 30, v2
	v_lshlrev_b32_e32 v5, 29, v2
	;; [unrolled: 1-line block ×4, first 2 shown]
	v_add_co_u32 v3, s17, v3, -1
	s_delay_alu instid0(VALU_DEP_1)
	v_cndmask_b32_e64 v7, 0, 1, s17
	v_not_b32_e32 v195, v4
	v_cmp_gt_i32_e64 s17, 0, v4
	v_not_b32_e32 v4, v5
	v_lshlrev_b32_e32 v46, 26, v2
	v_cmp_ne_u32_e32 vcc_lo, 0, v7
	v_ashrrev_i32_e32 v195, 31, v195
	v_lshlrev_b32_e32 v194, 25, v2
	v_ashrrev_i32_e32 v4, 31, v4
	v_lshlrev_b32_e32 v7, 24, v2
	v_xor_b32_e32 v3, vcc_lo, v3
	v_cmp_gt_i32_e32 vcc_lo, 0, v5
	v_not_b32_e32 v5, v6
	v_xor_b32_e32 v195, s17, v195
	v_cmp_gt_i32_e64 s17, 0, v6
	v_and_b32_e32 v3, exec_lo, v3
	v_not_b32_e32 v6, v45
	v_ashrrev_i32_e32 v5, 31, v5
	v_xor_b32_e32 v4, vcc_lo, v4
	v_cmp_gt_i32_e32 vcc_lo, 0, v45
	v_and_b32_e32 v3, v3, v195
	v_not_b32_e32 v45, v46
	v_ashrrev_i32_e32 v6, 31, v6
	v_xor_b32_e32 v5, s17, v5
	v_cmp_gt_i32_e64 s17, 0, v46
	v_and_b32_e32 v3, v3, v4
	v_not_b32_e32 v4, v194
	v_ashrrev_i32_e32 v45, 31, v45
	v_xor_b32_e32 v6, vcc_lo, v6
	v_cmp_gt_i32_e32 vcc_lo, 0, v194
	v_and_b32_e32 v3, v3, v5
	v_not_b32_e32 v5, v7
	v_ashrrev_i32_e32 v4, 31, v4
	v_xor_b32_e32 v45, s17, v45
	v_mul_u32_u24_e32 v2, 9, v2
	v_and_b32_e32 v3, v3, v6
	v_cmp_gt_i32_e64 s17, 0, v7
	v_ashrrev_i32_e32 v5, 31, v5
	v_xor_b32_e32 v4, vcc_lo, v4
	v_add_lshl_u32 v6, v2, v122, 2
	v_and_b32_e32 v3, v3, v45
	s_delay_alu instid0(VALU_DEP_4) | instskip(SKIP_3) | instid1(VALU_DEP_2)
	v_xor_b32_e32 v2, s17, v5
	ds_load_b32 v195, v6 offset:1056
	v_and_b32_e32 v3, v3, v4
	v_add_nc_u32_e32 v197, 0x420, v6
	; wave barrier
	v_and_b32_e32 v2, v3, v2
	s_delay_alu instid0(VALU_DEP_1) | instskip(SKIP_1) | instid1(VALU_DEP_2)
	v_mbcnt_lo_u32_b32 v196, v2, 0
	v_cmp_ne_u32_e64 s17, 0, v2
	v_cmp_eq_u32_e32 vcc_lo, 0, v196
	s_delay_alu instid0(VALU_DEP_2) | instskip(NEXT) | instid1(SALU_CYCLE_1)
	s_and_b32 s18, s17, vcc_lo
	s_and_saveexec_b32 s17, s18
	s_cbranch_execz .LBB1051_748
; %bb.747:                              ;   in Loop: Header=BB1051_696 Depth=2
	s_waitcnt lgkmcnt(0)
	v_bcnt_u32_b32 v2, v2, v195
	ds_store_b32 v197, v2
.LBB1051_748:                           ;   in Loop: Header=BB1051_696 Depth=2
	s_or_b32 exec_lo, exec_lo, s17
	v_lshrrev_b32_e32 v194, 16, v9
	; wave barrier
	s_delay_alu instid0(VALU_DEP_1) | instskip(NEXT) | instid1(VALU_DEP_1)
	v_lshrrev_b32_e32 v2, s57, v194
	v_and_b32_e32 v2, s43, v2
	s_delay_alu instid0(VALU_DEP_1)
	v_and_b32_e32 v3, 1, v2
	v_lshlrev_b32_e32 v4, 30, v2
	v_lshlrev_b32_e32 v5, 29, v2
	;; [unrolled: 1-line block ×4, first 2 shown]
	v_add_co_u32 v3, s17, v3, -1
	s_delay_alu instid0(VALU_DEP_1)
	v_cndmask_b32_e64 v7, 0, 1, s17
	v_not_b32_e32 v199, v4
	v_cmp_gt_i32_e64 s17, 0, v4
	v_not_b32_e32 v4, v5
	v_lshlrev_b32_e32 v46, 26, v2
	v_cmp_ne_u32_e32 vcc_lo, 0, v7
	v_ashrrev_i32_e32 v199, 31, v199
	v_lshlrev_b32_e32 v198, 25, v2
	v_ashrrev_i32_e32 v4, 31, v4
	v_lshlrev_b32_e32 v7, 24, v2
	v_xor_b32_e32 v3, vcc_lo, v3
	v_cmp_gt_i32_e32 vcc_lo, 0, v5
	v_not_b32_e32 v5, v6
	v_xor_b32_e32 v199, s17, v199
	v_cmp_gt_i32_e64 s17, 0, v6
	v_and_b32_e32 v3, exec_lo, v3
	v_not_b32_e32 v6, v45
	v_ashrrev_i32_e32 v5, 31, v5
	v_xor_b32_e32 v4, vcc_lo, v4
	v_cmp_gt_i32_e32 vcc_lo, 0, v45
	v_and_b32_e32 v3, v3, v199
	v_not_b32_e32 v45, v46
	v_ashrrev_i32_e32 v6, 31, v6
	v_xor_b32_e32 v5, s17, v5
	v_cmp_gt_i32_e64 s17, 0, v46
	v_and_b32_e32 v3, v3, v4
	v_not_b32_e32 v4, v198
	v_ashrrev_i32_e32 v45, 31, v45
	v_xor_b32_e32 v6, vcc_lo, v6
	v_cmp_gt_i32_e32 vcc_lo, 0, v198
	v_and_b32_e32 v3, v3, v5
	v_not_b32_e32 v5, v7
	v_ashrrev_i32_e32 v4, 31, v4
	v_xor_b32_e32 v45, s17, v45
	v_mul_u32_u24_e32 v2, 9, v2
	v_and_b32_e32 v3, v3, v6
	v_cmp_gt_i32_e64 s17, 0, v7
	v_ashrrev_i32_e32 v5, 31, v5
	v_xor_b32_e32 v4, vcc_lo, v4
	v_add_lshl_u32 v6, v2, v122, 2
	v_and_b32_e32 v3, v3, v45
	s_delay_alu instid0(VALU_DEP_4) | instskip(SKIP_3) | instid1(VALU_DEP_2)
	v_xor_b32_e32 v2, s17, v5
	ds_load_b32 v198, v6 offset:1056
	v_and_b32_e32 v3, v3, v4
	v_add_nc_u32_e32 v200, 0x420, v6
	; wave barrier
	v_and_b32_e32 v2, v3, v2
	s_delay_alu instid0(VALU_DEP_1) | instskip(SKIP_1) | instid1(VALU_DEP_2)
	v_mbcnt_lo_u32_b32 v199, v2, 0
	v_cmp_ne_u32_e64 s17, 0, v2
	v_cmp_eq_u32_e32 vcc_lo, 0, v199
	s_delay_alu instid0(VALU_DEP_2) | instskip(NEXT) | instid1(SALU_CYCLE_1)
	s_and_b32 s18, s17, vcc_lo
	s_and_saveexec_b32 s17, s18
	s_cbranch_execz .LBB1051_750
; %bb.749:                              ;   in Loop: Header=BB1051_696 Depth=2
	s_waitcnt lgkmcnt(0)
	v_bcnt_u32_b32 v2, v2, v198
	ds_store_b32 v200, v2
.LBB1051_750:                           ;   in Loop: Header=BB1051_696 Depth=2
	s_or_b32 exec_lo, exec_lo, s17
	; wave barrier
	s_waitcnt lgkmcnt(0)
	s_barrier
	buffer_gl0_inv
	ds_load_b32 v201, v73 offset:1056
	ds_load_2addr_b32 v[45:46], v75 offset0:1 offset1:2
	ds_load_2addr_b32 v[6:7], v75 offset0:3 offset1:4
	;; [unrolled: 1-line block ×4, first 2 shown]
	s_waitcnt lgkmcnt(3)
	v_add3_u32 v202, v45, v201, v46
	s_waitcnt lgkmcnt(2)
	s_delay_alu instid0(VALU_DEP_1) | instskip(SKIP_1) | instid1(VALU_DEP_1)
	v_add3_u32 v202, v202, v6, v7
	s_waitcnt lgkmcnt(1)
	v_add3_u32 v202, v202, v2, v3
	s_waitcnt lgkmcnt(0)
	s_delay_alu instid0(VALU_DEP_1) | instskip(NEXT) | instid1(VALU_DEP_1)
	v_add3_u32 v5, v202, v4, v5
	v_mov_b32_dpp v202, v5 row_shr:1 row_mask:0xf bank_mask:0xf
	s_delay_alu instid0(VALU_DEP_1) | instskip(NEXT) | instid1(VALU_DEP_1)
	v_cndmask_b32_e64 v202, v202, 0, s1
	v_add_nc_u32_e32 v5, v202, v5
	s_delay_alu instid0(VALU_DEP_1) | instskip(NEXT) | instid1(VALU_DEP_1)
	v_mov_b32_dpp v202, v5 row_shr:2 row_mask:0xf bank_mask:0xf
	v_cndmask_b32_e64 v202, 0, v202, s7
	s_delay_alu instid0(VALU_DEP_1) | instskip(NEXT) | instid1(VALU_DEP_1)
	v_add_nc_u32_e32 v5, v5, v202
	v_mov_b32_dpp v202, v5 row_shr:4 row_mask:0xf bank_mask:0xf
	s_delay_alu instid0(VALU_DEP_1) | instskip(NEXT) | instid1(VALU_DEP_1)
	v_cndmask_b32_e64 v202, 0, v202, s8
	v_add_nc_u32_e32 v5, v5, v202
	s_delay_alu instid0(VALU_DEP_1) | instskip(NEXT) | instid1(VALU_DEP_1)
	v_mov_b32_dpp v202, v5 row_shr:8 row_mask:0xf bank_mask:0xf
	v_cndmask_b32_e64 v202, 0, v202, s9
	s_delay_alu instid0(VALU_DEP_1) | instskip(SKIP_3) | instid1(VALU_DEP_1)
	v_add_nc_u32_e32 v5, v5, v202
	ds_swizzle_b32 v202, v5 offset:swizzle(BROADCAST,32,15)
	s_waitcnt lgkmcnt(0)
	v_cndmask_b32_e64 v202, v202, 0, s10
	v_add_nc_u32_e32 v5, v5, v202
	s_and_saveexec_b32 s17, s3
	s_cbranch_execz .LBB1051_752
; %bb.751:                              ;   in Loop: Header=BB1051_696 Depth=2
	ds_store_b32 v65, v5 offset:1024
.LBB1051_752:                           ;   in Loop: Header=BB1051_696 Depth=2
	s_or_b32 exec_lo, exec_lo, s17
	s_waitcnt lgkmcnt(0)
	s_barrier
	buffer_gl0_inv
	s_and_saveexec_b32 s17, s4
	s_cbranch_execz .LBB1051_754
; %bb.753:                              ;   in Loop: Header=BB1051_696 Depth=2
	ds_load_b32 v202, v76 offset:1024
	s_waitcnt lgkmcnt(0)
	v_mov_b32_dpp v203, v202 row_shr:1 row_mask:0xf bank_mask:0xf
	s_delay_alu instid0(VALU_DEP_1) | instskip(NEXT) | instid1(VALU_DEP_1)
	v_cndmask_b32_e64 v203, v203, 0, s12
	v_add_nc_u32_e32 v202, v203, v202
	s_delay_alu instid0(VALU_DEP_1) | instskip(NEXT) | instid1(VALU_DEP_1)
	v_mov_b32_dpp v203, v202 row_shr:2 row_mask:0xf bank_mask:0xf
	v_cndmask_b32_e64 v203, 0, v203, s13
	s_delay_alu instid0(VALU_DEP_1) | instskip(NEXT) | instid1(VALU_DEP_1)
	v_add_nc_u32_e32 v202, v202, v203
	v_mov_b32_dpp v203, v202 row_shr:4 row_mask:0xf bank_mask:0xf
	s_delay_alu instid0(VALU_DEP_1) | instskip(NEXT) | instid1(VALU_DEP_1)
	v_cndmask_b32_e64 v203, 0, v203, s16
	v_add_nc_u32_e32 v202, v202, v203
	ds_store_b32 v76, v202 offset:1024
.LBB1051_754:                           ;   in Loop: Header=BB1051_696 Depth=2
	s_or_b32 exec_lo, exec_lo, s17
	v_mov_b32_e32 v202, 0
	s_waitcnt lgkmcnt(0)
	s_barrier
	buffer_gl0_inv
	s_and_saveexec_b32 s17, s5
	s_cbranch_execz .LBB1051_756
; %bb.755:                              ;   in Loop: Header=BB1051_696 Depth=2
	ds_load_b32 v202, v65 offset:1020
.LBB1051_756:                           ;   in Loop: Header=BB1051_696 Depth=2
	s_or_b32 exec_lo, exec_lo, s17
	s_waitcnt lgkmcnt(0)
	v_add_nc_u32_e32 v5, v202, v5
	ds_bpermute_b32 v5, v101, v5
	s_waitcnt lgkmcnt(0)
	v_cndmask_b32_e64 v5, v5, v202, s11
	s_delay_alu instid0(VALU_DEP_1) | instskip(NEXT) | instid1(VALU_DEP_1)
	v_cndmask_b32_e64 v5, v5, 0, s0
	v_add_nc_u32_e32 v201, v5, v201
	s_delay_alu instid0(VALU_DEP_1) | instskip(NEXT) | instid1(VALU_DEP_1)
	v_add_nc_u32_e32 v45, v201, v45
	v_add_nc_u32_e32 v46, v45, v46
	s_delay_alu instid0(VALU_DEP_1) | instskip(NEXT) | instid1(VALU_DEP_1)
	v_add_nc_u32_e32 v6, v46, v6
	;; [unrolled: 3-line block ×3, first 2 shown]
	v_add_nc_u32_e32 v3, v2, v3
	s_delay_alu instid0(VALU_DEP_1)
	v_add_nc_u32_e32 v4, v3, v4
	ds_store_b32 v73, v5 offset:1056
	ds_store_2addr_b32 v75, v201, v45 offset0:1 offset1:2
	ds_store_2addr_b32 v75, v46, v6 offset0:3 offset1:4
	;; [unrolled: 1-line block ×4, first 2 shown]
	v_mov_b32_e32 v4, 0x1000
	s_waitcnt lgkmcnt(0)
	s_barrier
	buffer_gl0_inv
	ds_load_b32 v5, v147
	ds_load_b32 v6, v151
	;; [unrolled: 1-line block ×16, first 2 shown]
	ds_load_b32 v151, v73 offset:1056
	s_and_saveexec_b32 s17, s6
	s_cbranch_execz .LBB1051_758
; %bb.757:                              ;   in Loop: Header=BB1051_696 Depth=2
	ds_load_b32 v4, v77 offset:1056
.LBB1051_758:                           ;   in Loop: Header=BB1051_696 Depth=2
	s_or_b32 exec_lo, exec_lo, s17
	s_waitcnt lgkmcnt(0)
	s_barrier
	buffer_gl0_inv
	s_and_saveexec_b32 s17, s2
	s_cbranch_execz .LBB1051_760
; %bb.759:                              ;   in Loop: Header=BB1051_696 Depth=2
	ds_load_b32 v155, v47
	s_waitcnt lgkmcnt(0)
	v_sub_nc_u32_e32 v151, v155, v151
	ds_store_b32 v47, v151
.LBB1051_760:                           ;   in Loop: Header=BB1051_696 Depth=2
	s_or_b32 exec_lo, exec_lo, s17
	v_add_nc_u32_e32 v159, v143, v141
	v_add3_u32 v155, v146, v145, v5
	v_add3_u32 v151, v150, v149, v6
	;; [unrolled: 1-line block ×4, first 2 shown]
	v_lshlrev_b32_e32 v153, 1, v159
	v_add3_u32 v45, v192, v191, v2
	v_lshlrev_b32_e32 v2, 1, v155
	v_add3_u32 v149, v158, v157, v46
	v_add3_u32 v146, v166, v165, v163
	;; [unrolled: 1-line block ×5, first 2 shown]
	ds_store_b16 v153, v19 offset:1024
	v_lshlrev_b32_e32 v3, 1, v151
	ds_store_b16 v2, v142 offset:1024
	v_lshlrev_b32_e32 v2, 1, v147
	v_add3_u32 v143, v174, v173, v171
	v_lshlrev_b32_e32 v19, 1, v150
	v_add3_u32 v141, v178, v177, v175
	;; [unrolled: 2-line block ×3, first 2 shown]
	v_add3_u32 v6, v186, v185, v183
	ds_store_b16 v3, v144 offset:1024
	ds_store_b16 v19, v148 offset:1024
	;; [unrolled: 1-line block ×3, first 2 shown]
	v_lshlrev_b32_e32 v3, 1, v146
	ds_store_b16 v2, v156 offset:1024
	v_lshlrev_b32_e32 v2, 1, v145
	v_lshlrev_b32_e32 v19, 1, v143
	;; [unrolled: 1-line block ×3, first 2 shown]
	v_add3_u32 v7, v199, v198, v7
	ds_store_b16 v3, v160 offset:1024
	v_lshlrev_b32_e32 v3, 1, v46
	ds_store_b16 v2, v164 offset:1024
	ds_store_b16 v19, v168 offset:1024
	;; [unrolled: 1-line block ×3, first 2 shown]
	v_lshlrev_b32_e32 v2, 1, v6
	v_cmp_lt_u32_e32 vcc_lo, v18, v0
	v_lshlrev_b32_e32 v19, 1, v45
	ds_store_b16 v3, v176 offset:1024
	v_lshlrev_b32_e32 v3, 1, v5
	ds_store_b16 v2, v180 offset:1024
	v_lshlrev_b32_e32 v2, 1, v7
	v_lshlrev_b32_e32 v142, 1, v8
	ds_store_b16 v3, v184 offset:1024
	ds_store_b16 v19, v188 offset:1024
	;; [unrolled: 1-line block ×4, first 2 shown]
	s_waitcnt lgkmcnt(0)
	s_barrier
	buffer_gl0_inv
	s_and_saveexec_b32 s18, vcc_lo
	s_cbranch_execz .LBB1051_776
; %bb.761:                              ;   in Loop: Header=BB1051_696 Depth=2
	v_add_nc_u32_e32 v2, v76, v82
	ds_load_u16 v142, v2 offset:1024
	s_waitcnt lgkmcnt(0)
	v_and_b32_e32 v2, 0xffff, v142
	s_delay_alu instid0(VALU_DEP_1) | instskip(NEXT) | instid1(VALU_DEP_1)
	v_lshrrev_b32_e32 v2, s57, v2
	v_and_b32_e32 v2, s43, v2
	s_delay_alu instid0(VALU_DEP_1) | instskip(SKIP_3) | instid1(VALU_DEP_1)
	v_lshlrev_b32_e32 v2, 2, v2
	ds_load_b32 v2, v2
	s_waitcnt lgkmcnt(0)
	v_add_nc_u32_e32 v19, v2, v18
	v_lshlrev_b64 v[2:3], 1, v[19:20]
	v_xor_b32_e32 v19, 0xffff8000, v142
	s_delay_alu instid0(VALU_DEP_2) | instskip(NEXT) | instid1(VALU_DEP_1)
	v_add_co_u32 v2, s17, s38, v2
	v_add_co_ci_u32_e64 v3, s17, s39, v3, s17
	global_store_b16 v[2:3], v19, off
	s_or_b32 exec_lo, exec_lo, s18
	v_cmp_lt_u32_e64 s17, v48, v0
	s_delay_alu instid0(VALU_DEP_1)
	s_and_saveexec_b32 s19, s17
	s_cbranch_execnz .LBB1051_777
.LBB1051_762:                           ;   in Loop: Header=BB1051_696 Depth=2
	s_or_b32 exec_lo, exec_lo, s19
	v_cmp_lt_u32_e64 s18, v49, v0
	s_delay_alu instid0(VALU_DEP_1)
	s_and_saveexec_b32 s20, s18
	s_cbranch_execz .LBB1051_778
.LBB1051_763:                           ;   in Loop: Header=BB1051_696 Depth=2
	ds_load_u16 v142, v83 offset:1024
	s_waitcnt lgkmcnt(0)
	v_and_b32_e32 v2, 0xffff, v142
	s_delay_alu instid0(VALU_DEP_1) | instskip(NEXT) | instid1(VALU_DEP_1)
	v_lshrrev_b32_e32 v2, s57, v2
	v_and_b32_e32 v2, s43, v2
	s_delay_alu instid0(VALU_DEP_1) | instskip(SKIP_3) | instid1(VALU_DEP_1)
	v_lshlrev_b32_e32 v2, 2, v2
	ds_load_b32 v2, v2
	s_waitcnt lgkmcnt(0)
	v_add_nc_u32_e32 v19, v2, v49
	v_lshlrev_b64 v[2:3], 1, v[19:20]
	v_xor_b32_e32 v19, 0xffff8000, v142
	s_delay_alu instid0(VALU_DEP_2) | instskip(NEXT) | instid1(VALU_DEP_1)
	v_add_co_u32 v2, s19, s38, v2
	v_add_co_ci_u32_e64 v3, s19, s39, v3, s19
	global_store_b16 v[2:3], v19, off
	s_or_b32 exec_lo, exec_lo, s20
	v_cmp_lt_u32_e64 s19, v50, v0
	s_delay_alu instid0(VALU_DEP_1)
	s_and_saveexec_b32 s21, s19
	s_cbranch_execnz .LBB1051_779
.LBB1051_764:                           ;   in Loop: Header=BB1051_696 Depth=2
	s_or_b32 exec_lo, exec_lo, s21
	v_cmp_lt_u32_e64 s20, v54, v0
	s_delay_alu instid0(VALU_DEP_1)
	s_and_saveexec_b32 s22, s20
	s_cbranch_execz .LBB1051_780
.LBB1051_765:                           ;   in Loop: Header=BB1051_696 Depth=2
	ds_load_u16 v142, v83 offset:2048
	s_waitcnt lgkmcnt(0)
	v_and_b32_e32 v2, 0xffff, v142
	s_delay_alu instid0(VALU_DEP_1) | instskip(NEXT) | instid1(VALU_DEP_1)
	v_lshrrev_b32_e32 v2, s57, v2
	v_and_b32_e32 v2, s43, v2
	s_delay_alu instid0(VALU_DEP_1) | instskip(SKIP_3) | instid1(VALU_DEP_1)
	v_lshlrev_b32_e32 v2, 2, v2
	ds_load_b32 v2, v2
	s_waitcnt lgkmcnt(0)
	v_add_nc_u32_e32 v19, v2, v54
	v_lshlrev_b64 v[2:3], 1, v[19:20]
	v_xor_b32_e32 v19, 0xffff8000, v142
	s_delay_alu instid0(VALU_DEP_2) | instskip(NEXT) | instid1(VALU_DEP_1)
	v_add_co_u32 v2, s21, s38, v2
	v_add_co_ci_u32_e64 v3, s21, s39, v3, s21
	global_store_b16 v[2:3], v19, off
	s_or_b32 exec_lo, exec_lo, s22
	v_cmp_lt_u32_e64 s21, v55, v0
	s_delay_alu instid0(VALU_DEP_1)
	s_and_saveexec_b32 s23, s21
	s_cbranch_execnz .LBB1051_781
.LBB1051_766:                           ;   in Loop: Header=BB1051_696 Depth=2
	s_or_b32 exec_lo, exec_lo, s23
	v_cmp_lt_u32_e64 s22, v56, v0
	s_delay_alu instid0(VALU_DEP_1)
	s_and_saveexec_b32 s24, s22
	s_cbranch_execz .LBB1051_782
.LBB1051_767:                           ;   in Loop: Header=BB1051_696 Depth=2
	ds_load_u16 v142, v83 offset:3072
	s_waitcnt lgkmcnt(0)
	v_and_b32_e32 v2, 0xffff, v142
	s_delay_alu instid0(VALU_DEP_1) | instskip(NEXT) | instid1(VALU_DEP_1)
	v_lshrrev_b32_e32 v2, s57, v2
	v_and_b32_e32 v2, s43, v2
	s_delay_alu instid0(VALU_DEP_1) | instskip(SKIP_3) | instid1(VALU_DEP_1)
	v_lshlrev_b32_e32 v2, 2, v2
	ds_load_b32 v2, v2
	s_waitcnt lgkmcnt(0)
	v_add_nc_u32_e32 v19, v2, v56
	v_lshlrev_b64 v[2:3], 1, v[19:20]
	v_xor_b32_e32 v19, 0xffff8000, v142
	s_delay_alu instid0(VALU_DEP_2) | instskip(NEXT) | instid1(VALU_DEP_1)
	v_add_co_u32 v2, s23, s38, v2
	v_add_co_ci_u32_e64 v3, s23, s39, v3, s23
	global_store_b16 v[2:3], v19, off
	s_or_b32 exec_lo, exec_lo, s24
	v_cmp_lt_u32_e64 s23, v57, v0
	s_delay_alu instid0(VALU_DEP_1)
	s_and_saveexec_b32 s25, s23
	s_cbranch_execnz .LBB1051_783
.LBB1051_768:                           ;   in Loop: Header=BB1051_696 Depth=2
	s_or_b32 exec_lo, exec_lo, s25
	v_cmp_lt_u32_e64 s24, v58, v0
	s_delay_alu instid0(VALU_DEP_1)
	s_and_saveexec_b32 s26, s24
	s_cbranch_execz .LBB1051_784
.LBB1051_769:                           ;   in Loop: Header=BB1051_696 Depth=2
	ds_load_u16 v142, v83 offset:4096
	s_waitcnt lgkmcnt(0)
	v_and_b32_e32 v2, 0xffff, v142
	s_delay_alu instid0(VALU_DEP_1) | instskip(NEXT) | instid1(VALU_DEP_1)
	v_lshrrev_b32_e32 v2, s57, v2
	v_and_b32_e32 v2, s43, v2
	s_delay_alu instid0(VALU_DEP_1) | instskip(SKIP_3) | instid1(VALU_DEP_1)
	v_lshlrev_b32_e32 v2, 2, v2
	ds_load_b32 v2, v2
	s_waitcnt lgkmcnt(0)
	v_add_nc_u32_e32 v19, v2, v58
	v_lshlrev_b64 v[2:3], 1, v[19:20]
	v_xor_b32_e32 v19, 0xffff8000, v142
	s_delay_alu instid0(VALU_DEP_2) | instskip(NEXT) | instid1(VALU_DEP_1)
	v_add_co_u32 v2, s25, s38, v2
	v_add_co_ci_u32_e64 v3, s25, s39, v3, s25
	global_store_b16 v[2:3], v19, off
	s_or_b32 exec_lo, exec_lo, s26
	v_cmp_lt_u32_e64 s25, v59, v0
	s_delay_alu instid0(VALU_DEP_1)
	s_and_saveexec_b32 s27, s25
	s_cbranch_execnz .LBB1051_785
.LBB1051_770:                           ;   in Loop: Header=BB1051_696 Depth=2
	s_or_b32 exec_lo, exec_lo, s27
	v_cmp_lt_u32_e64 s26, v60, v0
	s_delay_alu instid0(VALU_DEP_1)
	s_and_saveexec_b32 s28, s26
	s_cbranch_execz .LBB1051_786
.LBB1051_771:                           ;   in Loop: Header=BB1051_696 Depth=2
	ds_load_u16 v142, v83 offset:5120
	s_waitcnt lgkmcnt(0)
	v_and_b32_e32 v2, 0xffff, v142
	s_delay_alu instid0(VALU_DEP_1) | instskip(NEXT) | instid1(VALU_DEP_1)
	v_lshrrev_b32_e32 v2, s57, v2
	v_and_b32_e32 v2, s43, v2
	s_delay_alu instid0(VALU_DEP_1) | instskip(SKIP_3) | instid1(VALU_DEP_1)
	v_lshlrev_b32_e32 v2, 2, v2
	ds_load_b32 v2, v2
	s_waitcnt lgkmcnt(0)
	v_add_nc_u32_e32 v19, v2, v60
	v_lshlrev_b64 v[2:3], 1, v[19:20]
	v_xor_b32_e32 v19, 0xffff8000, v142
	s_delay_alu instid0(VALU_DEP_2) | instskip(NEXT) | instid1(VALU_DEP_1)
	v_add_co_u32 v2, s27, s38, v2
	v_add_co_ci_u32_e64 v3, s27, s39, v3, s27
	global_store_b16 v[2:3], v19, off
	s_or_b32 exec_lo, exec_lo, s28
	v_cmp_lt_u32_e64 s27, v61, v0
	s_delay_alu instid0(VALU_DEP_1)
	s_and_saveexec_b32 s29, s27
	s_cbranch_execnz .LBB1051_787
.LBB1051_772:                           ;   in Loop: Header=BB1051_696 Depth=2
	s_or_b32 exec_lo, exec_lo, s29
	v_cmp_lt_u32_e64 s28, v62, v0
	s_delay_alu instid0(VALU_DEP_1)
	s_and_saveexec_b32 s30, s28
	s_cbranch_execz .LBB1051_788
.LBB1051_773:                           ;   in Loop: Header=BB1051_696 Depth=2
	ds_load_u16 v142, v83 offset:6144
	s_waitcnt lgkmcnt(0)
	v_and_b32_e32 v2, 0xffff, v142
	s_delay_alu instid0(VALU_DEP_1) | instskip(NEXT) | instid1(VALU_DEP_1)
	v_lshrrev_b32_e32 v2, s57, v2
	v_and_b32_e32 v2, s43, v2
	s_delay_alu instid0(VALU_DEP_1) | instskip(SKIP_3) | instid1(VALU_DEP_1)
	v_lshlrev_b32_e32 v2, 2, v2
	ds_load_b32 v2, v2
	s_waitcnt lgkmcnt(0)
	v_add_nc_u32_e32 v19, v2, v62
	v_lshlrev_b64 v[2:3], 1, v[19:20]
	v_xor_b32_e32 v19, 0xffff8000, v142
	s_delay_alu instid0(VALU_DEP_2) | instskip(NEXT) | instid1(VALU_DEP_1)
	v_add_co_u32 v2, s29, s38, v2
	v_add_co_ci_u32_e64 v3, s29, s39, v3, s29
	global_store_b16 v[2:3], v19, off
	s_or_b32 exec_lo, exec_lo, s30
	v_cmp_lt_u32_e64 s29, v63, v0
	s_delay_alu instid0(VALU_DEP_1)
	s_and_saveexec_b32 s31, s29
	s_cbranch_execnz .LBB1051_789
.LBB1051_774:                           ;   in Loop: Header=BB1051_696 Depth=2
	s_or_b32 exec_lo, exec_lo, s31
	v_cmp_lt_u32_e64 s30, v64, v0
	s_delay_alu instid0(VALU_DEP_1)
	s_and_saveexec_b32 s33, s30
	s_cbranch_execz .LBB1051_790
.LBB1051_775:                           ;   in Loop: Header=BB1051_696 Depth=2
	ds_load_u16 v142, v83 offset:7168
	s_waitcnt lgkmcnt(0)
	v_and_b32_e32 v2, 0xffff, v142
	s_delay_alu instid0(VALU_DEP_1) | instskip(NEXT) | instid1(VALU_DEP_1)
	v_lshrrev_b32_e32 v2, s57, v2
	v_and_b32_e32 v2, s43, v2
	s_delay_alu instid0(VALU_DEP_1) | instskip(SKIP_3) | instid1(VALU_DEP_1)
	v_lshlrev_b32_e32 v2, 2, v2
	ds_load_b32 v2, v2
	s_waitcnt lgkmcnt(0)
	v_add_nc_u32_e32 v19, v2, v64
	v_lshlrev_b64 v[2:3], 1, v[19:20]
	v_xor_b32_e32 v19, 0xffff8000, v142
	s_delay_alu instid0(VALU_DEP_2) | instskip(NEXT) | instid1(VALU_DEP_1)
	v_add_co_u32 v2, s31, s38, v2
	v_add_co_ci_u32_e64 v3, s31, s39, v3, s31
	global_store_b16 v[2:3], v19, off
	s_or_b32 exec_lo, exec_lo, s33
	v_cmp_lt_u32_e64 s31, v66, v0
	s_delay_alu instid0(VALU_DEP_1)
	s_and_saveexec_b32 s45, s31
	s_cbranch_execnz .LBB1051_791
	s_branch .LBB1051_792
.LBB1051_776:                           ;   in Loop: Header=BB1051_696 Depth=2
	s_or_b32 exec_lo, exec_lo, s18
	v_cmp_lt_u32_e64 s17, v48, v0
	s_delay_alu instid0(VALU_DEP_1)
	s_and_saveexec_b32 s19, s17
	s_cbranch_execz .LBB1051_762
.LBB1051_777:                           ;   in Loop: Header=BB1051_696 Depth=2
	ds_load_u16 v142, v83 offset:512
	s_waitcnt lgkmcnt(0)
	v_and_b32_e32 v2, 0xffff, v142
	s_delay_alu instid0(VALU_DEP_1) | instskip(NEXT) | instid1(VALU_DEP_1)
	v_lshrrev_b32_e32 v2, s57, v2
	v_and_b32_e32 v2, s43, v2
	s_delay_alu instid0(VALU_DEP_1) | instskip(SKIP_3) | instid1(VALU_DEP_1)
	v_lshlrev_b32_e32 v2, 2, v2
	ds_load_b32 v2, v2
	s_waitcnt lgkmcnt(0)
	v_add_nc_u32_e32 v19, v2, v48
	v_lshlrev_b64 v[2:3], 1, v[19:20]
	v_xor_b32_e32 v19, 0xffff8000, v142
	s_delay_alu instid0(VALU_DEP_2) | instskip(NEXT) | instid1(VALU_DEP_1)
	v_add_co_u32 v2, s18, s38, v2
	v_add_co_ci_u32_e64 v3, s18, s39, v3, s18
	global_store_b16 v[2:3], v19, off
	s_or_b32 exec_lo, exec_lo, s19
	v_cmp_lt_u32_e64 s18, v49, v0
	s_delay_alu instid0(VALU_DEP_1)
	s_and_saveexec_b32 s20, s18
	s_cbranch_execnz .LBB1051_763
.LBB1051_778:                           ;   in Loop: Header=BB1051_696 Depth=2
	s_or_b32 exec_lo, exec_lo, s20
	v_cmp_lt_u32_e64 s19, v50, v0
	s_delay_alu instid0(VALU_DEP_1)
	s_and_saveexec_b32 s21, s19
	s_cbranch_execz .LBB1051_764
.LBB1051_779:                           ;   in Loop: Header=BB1051_696 Depth=2
	ds_load_u16 v142, v83 offset:1536
	s_waitcnt lgkmcnt(0)
	v_and_b32_e32 v2, 0xffff, v142
	s_delay_alu instid0(VALU_DEP_1) | instskip(NEXT) | instid1(VALU_DEP_1)
	v_lshrrev_b32_e32 v2, s57, v2
	v_and_b32_e32 v2, s43, v2
	s_delay_alu instid0(VALU_DEP_1) | instskip(SKIP_3) | instid1(VALU_DEP_1)
	v_lshlrev_b32_e32 v2, 2, v2
	ds_load_b32 v2, v2
	s_waitcnt lgkmcnt(0)
	v_add_nc_u32_e32 v19, v2, v50
	v_lshlrev_b64 v[2:3], 1, v[19:20]
	v_xor_b32_e32 v19, 0xffff8000, v142
	s_delay_alu instid0(VALU_DEP_2) | instskip(NEXT) | instid1(VALU_DEP_1)
	v_add_co_u32 v2, s20, s38, v2
	v_add_co_ci_u32_e64 v3, s20, s39, v3, s20
	global_store_b16 v[2:3], v19, off
	s_or_b32 exec_lo, exec_lo, s21
	v_cmp_lt_u32_e64 s20, v54, v0
	s_delay_alu instid0(VALU_DEP_1)
	s_and_saveexec_b32 s22, s20
	s_cbranch_execnz .LBB1051_765
.LBB1051_780:                           ;   in Loop: Header=BB1051_696 Depth=2
	s_or_b32 exec_lo, exec_lo, s22
	v_cmp_lt_u32_e64 s21, v55, v0
	s_delay_alu instid0(VALU_DEP_1)
	s_and_saveexec_b32 s23, s21
	s_cbranch_execz .LBB1051_766
.LBB1051_781:                           ;   in Loop: Header=BB1051_696 Depth=2
	ds_load_u16 v142, v83 offset:2560
	s_waitcnt lgkmcnt(0)
	v_and_b32_e32 v2, 0xffff, v142
	s_delay_alu instid0(VALU_DEP_1) | instskip(NEXT) | instid1(VALU_DEP_1)
	v_lshrrev_b32_e32 v2, s57, v2
	v_and_b32_e32 v2, s43, v2
	s_delay_alu instid0(VALU_DEP_1) | instskip(SKIP_3) | instid1(VALU_DEP_1)
	v_lshlrev_b32_e32 v2, 2, v2
	ds_load_b32 v2, v2
	s_waitcnt lgkmcnt(0)
	v_add_nc_u32_e32 v19, v2, v55
	v_lshlrev_b64 v[2:3], 1, v[19:20]
	v_xor_b32_e32 v19, 0xffff8000, v142
	s_delay_alu instid0(VALU_DEP_2) | instskip(NEXT) | instid1(VALU_DEP_1)
	v_add_co_u32 v2, s22, s38, v2
	v_add_co_ci_u32_e64 v3, s22, s39, v3, s22
	global_store_b16 v[2:3], v19, off
	s_or_b32 exec_lo, exec_lo, s23
	v_cmp_lt_u32_e64 s22, v56, v0
	s_delay_alu instid0(VALU_DEP_1)
	s_and_saveexec_b32 s24, s22
	s_cbranch_execnz .LBB1051_767
.LBB1051_782:                           ;   in Loop: Header=BB1051_696 Depth=2
	s_or_b32 exec_lo, exec_lo, s24
	v_cmp_lt_u32_e64 s23, v57, v0
	s_delay_alu instid0(VALU_DEP_1)
	s_and_saveexec_b32 s25, s23
	s_cbranch_execz .LBB1051_768
.LBB1051_783:                           ;   in Loop: Header=BB1051_696 Depth=2
	ds_load_u16 v142, v83 offset:3584
	s_waitcnt lgkmcnt(0)
	v_and_b32_e32 v2, 0xffff, v142
	s_delay_alu instid0(VALU_DEP_1) | instskip(NEXT) | instid1(VALU_DEP_1)
	v_lshrrev_b32_e32 v2, s57, v2
	v_and_b32_e32 v2, s43, v2
	s_delay_alu instid0(VALU_DEP_1) | instskip(SKIP_3) | instid1(VALU_DEP_1)
	v_lshlrev_b32_e32 v2, 2, v2
	ds_load_b32 v2, v2
	s_waitcnt lgkmcnt(0)
	v_add_nc_u32_e32 v19, v2, v57
	v_lshlrev_b64 v[2:3], 1, v[19:20]
	v_xor_b32_e32 v19, 0xffff8000, v142
	s_delay_alu instid0(VALU_DEP_2) | instskip(NEXT) | instid1(VALU_DEP_1)
	v_add_co_u32 v2, s24, s38, v2
	v_add_co_ci_u32_e64 v3, s24, s39, v3, s24
	global_store_b16 v[2:3], v19, off
	s_or_b32 exec_lo, exec_lo, s25
	v_cmp_lt_u32_e64 s24, v58, v0
	s_delay_alu instid0(VALU_DEP_1)
	s_and_saveexec_b32 s26, s24
	s_cbranch_execnz .LBB1051_769
.LBB1051_784:                           ;   in Loop: Header=BB1051_696 Depth=2
	s_or_b32 exec_lo, exec_lo, s26
	v_cmp_lt_u32_e64 s25, v59, v0
	s_delay_alu instid0(VALU_DEP_1)
	s_and_saveexec_b32 s27, s25
	s_cbranch_execz .LBB1051_770
.LBB1051_785:                           ;   in Loop: Header=BB1051_696 Depth=2
	ds_load_u16 v142, v83 offset:4608
	s_waitcnt lgkmcnt(0)
	v_and_b32_e32 v2, 0xffff, v142
	s_delay_alu instid0(VALU_DEP_1) | instskip(NEXT) | instid1(VALU_DEP_1)
	v_lshrrev_b32_e32 v2, s57, v2
	v_and_b32_e32 v2, s43, v2
	s_delay_alu instid0(VALU_DEP_1) | instskip(SKIP_3) | instid1(VALU_DEP_1)
	v_lshlrev_b32_e32 v2, 2, v2
	ds_load_b32 v2, v2
	s_waitcnt lgkmcnt(0)
	v_add_nc_u32_e32 v19, v2, v59
	v_lshlrev_b64 v[2:3], 1, v[19:20]
	v_xor_b32_e32 v19, 0xffff8000, v142
	s_delay_alu instid0(VALU_DEP_2) | instskip(NEXT) | instid1(VALU_DEP_1)
	v_add_co_u32 v2, s26, s38, v2
	v_add_co_ci_u32_e64 v3, s26, s39, v3, s26
	global_store_b16 v[2:3], v19, off
	s_or_b32 exec_lo, exec_lo, s27
	v_cmp_lt_u32_e64 s26, v60, v0
	s_delay_alu instid0(VALU_DEP_1)
	s_and_saveexec_b32 s28, s26
	s_cbranch_execnz .LBB1051_771
.LBB1051_786:                           ;   in Loop: Header=BB1051_696 Depth=2
	s_or_b32 exec_lo, exec_lo, s28
	v_cmp_lt_u32_e64 s27, v61, v0
	s_delay_alu instid0(VALU_DEP_1)
	s_and_saveexec_b32 s29, s27
	s_cbranch_execz .LBB1051_772
.LBB1051_787:                           ;   in Loop: Header=BB1051_696 Depth=2
	ds_load_u16 v142, v83 offset:5632
	s_waitcnt lgkmcnt(0)
	v_and_b32_e32 v2, 0xffff, v142
	s_delay_alu instid0(VALU_DEP_1) | instskip(NEXT) | instid1(VALU_DEP_1)
	v_lshrrev_b32_e32 v2, s57, v2
	v_and_b32_e32 v2, s43, v2
	s_delay_alu instid0(VALU_DEP_1) | instskip(SKIP_3) | instid1(VALU_DEP_1)
	v_lshlrev_b32_e32 v2, 2, v2
	ds_load_b32 v2, v2
	s_waitcnt lgkmcnt(0)
	v_add_nc_u32_e32 v19, v2, v61
	v_lshlrev_b64 v[2:3], 1, v[19:20]
	v_xor_b32_e32 v19, 0xffff8000, v142
	s_delay_alu instid0(VALU_DEP_2) | instskip(NEXT) | instid1(VALU_DEP_1)
	v_add_co_u32 v2, s28, s38, v2
	v_add_co_ci_u32_e64 v3, s28, s39, v3, s28
	global_store_b16 v[2:3], v19, off
	s_or_b32 exec_lo, exec_lo, s29
	v_cmp_lt_u32_e64 s28, v62, v0
	s_delay_alu instid0(VALU_DEP_1)
	s_and_saveexec_b32 s30, s28
	s_cbranch_execnz .LBB1051_773
.LBB1051_788:                           ;   in Loop: Header=BB1051_696 Depth=2
	s_or_b32 exec_lo, exec_lo, s30
	v_cmp_lt_u32_e64 s29, v63, v0
	s_delay_alu instid0(VALU_DEP_1)
	s_and_saveexec_b32 s31, s29
	s_cbranch_execz .LBB1051_774
.LBB1051_789:                           ;   in Loop: Header=BB1051_696 Depth=2
	ds_load_u16 v142, v83 offset:6656
	s_waitcnt lgkmcnt(0)
	v_and_b32_e32 v2, 0xffff, v142
	s_delay_alu instid0(VALU_DEP_1) | instskip(NEXT) | instid1(VALU_DEP_1)
	v_lshrrev_b32_e32 v2, s57, v2
	v_and_b32_e32 v2, s43, v2
	s_delay_alu instid0(VALU_DEP_1) | instskip(SKIP_3) | instid1(VALU_DEP_1)
	v_lshlrev_b32_e32 v2, 2, v2
	ds_load_b32 v2, v2
	s_waitcnt lgkmcnt(0)
	v_add_nc_u32_e32 v19, v2, v63
	v_lshlrev_b64 v[2:3], 1, v[19:20]
	v_xor_b32_e32 v19, 0xffff8000, v142
	s_delay_alu instid0(VALU_DEP_2) | instskip(NEXT) | instid1(VALU_DEP_1)
	v_add_co_u32 v2, s30, s38, v2
	v_add_co_ci_u32_e64 v3, s30, s39, v3, s30
	global_store_b16 v[2:3], v19, off
	s_or_b32 exec_lo, exec_lo, s31
	v_cmp_lt_u32_e64 s30, v64, v0
	s_delay_alu instid0(VALU_DEP_1)
	s_and_saveexec_b32 s33, s30
	s_cbranch_execnz .LBB1051_775
.LBB1051_790:                           ;   in Loop: Header=BB1051_696 Depth=2
	s_or_b32 exec_lo, exec_lo, s33
	v_cmp_lt_u32_e64 s31, v66, v0
	s_delay_alu instid0(VALU_DEP_1)
	s_and_saveexec_b32 s45, s31
	s_cbranch_execz .LBB1051_792
.LBB1051_791:                           ;   in Loop: Header=BB1051_696 Depth=2
	ds_load_u16 v142, v83 offset:7680
	s_waitcnt lgkmcnt(0)
	v_and_b32_e32 v2, 0xffff, v142
	s_delay_alu instid0(VALU_DEP_1) | instskip(NEXT) | instid1(VALU_DEP_1)
	v_lshrrev_b32_e32 v2, s57, v2
	v_and_b32_e32 v2, s43, v2
	s_delay_alu instid0(VALU_DEP_1) | instskip(SKIP_3) | instid1(VALU_DEP_1)
	v_lshlrev_b32_e32 v2, 2, v2
	ds_load_b32 v2, v2
	s_waitcnt lgkmcnt(0)
	v_add_nc_u32_e32 v19, v2, v66
	v_lshlrev_b64 v[2:3], 1, v[19:20]
	v_xor_b32_e32 v19, 0xffff8000, v142
	s_delay_alu instid0(VALU_DEP_2) | instskip(NEXT) | instid1(VALU_DEP_1)
	v_add_co_u32 v2, s33, s38, v2
	v_add_co_ci_u32_e64 v3, s33, s39, v3, s33
	global_store_b16 v[2:3], v19, off
.LBB1051_792:                           ;   in Loop: Header=BB1051_696 Depth=2
	s_or_b32 exec_lo, exec_lo, s45
	s_lshl_b64 s[46:47], s[34:35], 3
	s_delay_alu instid0(SALU_CYCLE_1) | instskip(NEXT) | instid1(VALU_DEP_1)
	v_add_co_u32 v2, s33, v103, s46
	v_add_co_ci_u32_e64 v3, s33, s47, v104, s33
	v_cmp_lt_u32_e64 s33, v102, v0
	s_delay_alu instid0(VALU_DEP_1) | instskip(NEXT) | instid1(SALU_CYCLE_1)
	s_and_saveexec_b32 s34, s33
	s_xor_b32 s33, exec_lo, s34
	s_cbranch_execz .LBB1051_824
; %bb.793:                              ;   in Loop: Header=BB1051_696 Depth=2
	global_load_b64 v[43:44], v[2:3], off
	s_or_b32 exec_lo, exec_lo, s33
	s_delay_alu instid0(SALU_CYCLE_1)
	s_mov_b32 s34, exec_lo
	v_cmpx_lt_u32_e64 v105, v0
	s_cbranch_execnz .LBB1051_825
.LBB1051_794:                           ;   in Loop: Header=BB1051_696 Depth=2
	s_or_b32 exec_lo, exec_lo, s34
	s_delay_alu instid0(SALU_CYCLE_1)
	s_mov_b32 s34, exec_lo
	v_cmpx_lt_u32_e64 v106, v0
	s_cbranch_execz .LBB1051_826
.LBB1051_795:                           ;   in Loop: Header=BB1051_696 Depth=2
	global_load_b64 v[39:40], v[2:3], off offset:512
	s_or_b32 exec_lo, exec_lo, s34
	s_delay_alu instid0(SALU_CYCLE_1)
	s_mov_b32 s34, exec_lo
	v_cmpx_lt_u32_e64 v107, v0
	s_cbranch_execnz .LBB1051_827
.LBB1051_796:                           ;   in Loop: Header=BB1051_696 Depth=2
	s_or_b32 exec_lo, exec_lo, s34
	s_delay_alu instid0(SALU_CYCLE_1)
	s_mov_b32 s34, exec_lo
	v_cmpx_lt_u32_e64 v108, v0
	s_cbranch_execz .LBB1051_828
.LBB1051_797:                           ;   in Loop: Header=BB1051_696 Depth=2
	global_load_b64 v[35:36], v[2:3], off offset:1024
	s_or_b32 exec_lo, exec_lo, s34
	s_delay_alu instid0(SALU_CYCLE_1)
	s_mov_b32 s34, exec_lo
	v_cmpx_lt_u32_e64 v109, v0
	s_cbranch_execnz .LBB1051_829
.LBB1051_798:                           ;   in Loop: Header=BB1051_696 Depth=2
	s_or_b32 exec_lo, exec_lo, s34
	s_delay_alu instid0(SALU_CYCLE_1)
	s_mov_b32 s34, exec_lo
	v_cmpx_lt_u32_e64 v110, v0
	s_cbranch_execz .LBB1051_830
.LBB1051_799:                           ;   in Loop: Header=BB1051_696 Depth=2
	global_load_b64 v[31:32], v[2:3], off offset:1536
	s_or_b32 exec_lo, exec_lo, s34
	s_delay_alu instid0(SALU_CYCLE_1)
	s_mov_b32 s34, exec_lo
	v_cmpx_lt_u32_e64 v111, v0
	s_cbranch_execnz .LBB1051_831
.LBB1051_800:                           ;   in Loop: Header=BB1051_696 Depth=2
	s_or_b32 exec_lo, exec_lo, s34
	s_delay_alu instid0(SALU_CYCLE_1)
	s_mov_b32 s34, exec_lo
	v_cmpx_lt_u32_e64 v112, v0
	s_cbranch_execz .LBB1051_832
.LBB1051_801:                           ;   in Loop: Header=BB1051_696 Depth=2
	global_load_b64 v[27:28], v[2:3], off offset:2048
	s_or_b32 exec_lo, exec_lo, s34
	s_delay_alu instid0(SALU_CYCLE_1)
	s_mov_b32 s34, exec_lo
	v_cmpx_lt_u32_e64 v113, v0
	s_cbranch_execnz .LBB1051_833
.LBB1051_802:                           ;   in Loop: Header=BB1051_696 Depth=2
	s_or_b32 exec_lo, exec_lo, s34
	s_delay_alu instid0(SALU_CYCLE_1)
	s_mov_b32 s34, exec_lo
	v_cmpx_lt_u32_e64 v114, v0
	s_cbranch_execz .LBB1051_834
.LBB1051_803:                           ;   in Loop: Header=BB1051_696 Depth=2
	global_load_b64 v[23:24], v[2:3], off offset:2560
	s_or_b32 exec_lo, exec_lo, s34
	s_delay_alu instid0(SALU_CYCLE_1)
	s_mov_b32 s34, exec_lo
	v_cmpx_lt_u32_e64 v115, v0
	s_cbranch_execnz .LBB1051_835
.LBB1051_804:                           ;   in Loop: Header=BB1051_696 Depth=2
	s_or_b32 exec_lo, exec_lo, s34
	s_delay_alu instid0(SALU_CYCLE_1)
	s_mov_b32 s34, exec_lo
	v_cmpx_lt_u32_e64 v116, v0
	s_cbranch_execz .LBB1051_836
.LBB1051_805:                           ;   in Loop: Header=BB1051_696 Depth=2
	global_load_b64 v[16:17], v[2:3], off offset:3072
	s_or_b32 exec_lo, exec_lo, s34
	s_delay_alu instid0(SALU_CYCLE_1)
	s_mov_b32 s34, exec_lo
	v_cmpx_lt_u32_e64 v117, v0
	s_cbranch_execnz .LBB1051_837
.LBB1051_806:                           ;   in Loop: Header=BB1051_696 Depth=2
	s_or_b32 exec_lo, exec_lo, s34
	s_delay_alu instid0(SALU_CYCLE_1)
	s_mov_b32 s34, exec_lo
	v_cmpx_lt_u32_e64 v118, v0
	s_cbranch_execz .LBB1051_838
.LBB1051_807:                           ;   in Loop: Header=BB1051_696 Depth=2
	global_load_b64 v[12:13], v[2:3], off offset:3584
	s_or_b32 exec_lo, exec_lo, s34
	s_delay_alu instid0(SALU_CYCLE_1)
	s_mov_b32 s34, exec_lo
	v_cmpx_lt_u32_e64 v119, v0
	s_cbranch_execnz .LBB1051_839
.LBB1051_808:                           ;   in Loop: Header=BB1051_696 Depth=2
	s_or_b32 exec_lo, exec_lo, s34
	s_and_saveexec_b32 s33, vcc_lo
	s_cbranch_execz .LBB1051_840
.LBB1051_809:                           ;   in Loop: Header=BB1051_696 Depth=2
	v_add_nc_u32_e32 v0, v76, v82
	ds_load_u16 v0, v0 offset:1024
	s_waitcnt lgkmcnt(0)
	v_lshrrev_b32_e32 v0, s57, v0
	s_delay_alu instid0(VALU_DEP_1)
	v_and_b32_e32 v140, s43, v0
	s_or_b32 exec_lo, exec_lo, s33
	s_and_saveexec_b32 s33, s17
	s_cbranch_execnz .LBB1051_841
.LBB1051_810:                           ;   in Loop: Header=BB1051_696 Depth=2
	s_or_b32 exec_lo, exec_lo, s33
	s_and_saveexec_b32 s33, s18
	s_cbranch_execz .LBB1051_842
.LBB1051_811:                           ;   in Loop: Header=BB1051_696 Depth=2
	ds_load_u16 v0, v83 offset:1024
	s_waitcnt lgkmcnt(0)
	v_lshrrev_b32_e32 v0, s57, v0
	s_delay_alu instid0(VALU_DEP_1)
	v_and_b32_e32 v138, s43, v0
	s_or_b32 exec_lo, exec_lo, s33
	s_and_saveexec_b32 s33, s19
	s_cbranch_execnz .LBB1051_843
.LBB1051_812:                           ;   in Loop: Header=BB1051_696 Depth=2
	s_or_b32 exec_lo, exec_lo, s33
	s_and_saveexec_b32 s33, s20
	s_cbranch_execz .LBB1051_844
.LBB1051_813:                           ;   in Loop: Header=BB1051_696 Depth=2
	ds_load_u16 v0, v83 offset:2048
	s_waitcnt lgkmcnt(0)
	v_lshrrev_b32_e32 v0, s57, v0
	s_delay_alu instid0(VALU_DEP_1)
	v_and_b32_e32 v136, s43, v0
	s_or_b32 exec_lo, exec_lo, s33
	s_and_saveexec_b32 s33, s21
	s_cbranch_execnz .LBB1051_845
.LBB1051_814:                           ;   in Loop: Header=BB1051_696 Depth=2
	s_or_b32 exec_lo, exec_lo, s33
	s_and_saveexec_b32 s33, s22
	s_cbranch_execz .LBB1051_846
.LBB1051_815:                           ;   in Loop: Header=BB1051_696 Depth=2
	ds_load_u16 v0, v83 offset:3072
	s_waitcnt lgkmcnt(0)
	v_lshrrev_b32_e32 v0, s57, v0
	s_delay_alu instid0(VALU_DEP_1)
	v_and_b32_e32 v134, s43, v0
	s_or_b32 exec_lo, exec_lo, s33
	s_and_saveexec_b32 s33, s23
	s_cbranch_execnz .LBB1051_847
.LBB1051_816:                           ;   in Loop: Header=BB1051_696 Depth=2
	s_or_b32 exec_lo, exec_lo, s33
	s_and_saveexec_b32 s33, s24
	s_cbranch_execz .LBB1051_848
.LBB1051_817:                           ;   in Loop: Header=BB1051_696 Depth=2
	ds_load_u16 v0, v83 offset:4096
	s_waitcnt lgkmcnt(0)
	v_lshrrev_b32_e32 v0, s57, v0
	s_delay_alu instid0(VALU_DEP_1)
	v_and_b32_e32 v132, s43, v0
	s_or_b32 exec_lo, exec_lo, s33
	s_and_saveexec_b32 s33, s25
	s_cbranch_execnz .LBB1051_849
.LBB1051_818:                           ;   in Loop: Header=BB1051_696 Depth=2
	s_or_b32 exec_lo, exec_lo, s33
	s_and_saveexec_b32 s33, s26
	s_cbranch_execz .LBB1051_850
.LBB1051_819:                           ;   in Loop: Header=BB1051_696 Depth=2
	ds_load_u16 v0, v83 offset:5120
	s_waitcnt lgkmcnt(0)
	v_lshrrev_b32_e32 v0, s57, v0
	s_delay_alu instid0(VALU_DEP_1)
	v_and_b32_e32 v130, s43, v0
	s_or_b32 exec_lo, exec_lo, s33
	s_and_saveexec_b32 s33, s27
	s_cbranch_execnz .LBB1051_851
.LBB1051_820:                           ;   in Loop: Header=BB1051_696 Depth=2
	s_or_b32 exec_lo, exec_lo, s33
	s_and_saveexec_b32 s33, s28
	s_cbranch_execz .LBB1051_852
.LBB1051_821:                           ;   in Loop: Header=BB1051_696 Depth=2
	ds_load_u16 v0, v83 offset:6144
	s_waitcnt lgkmcnt(0)
	v_lshrrev_b32_e32 v0, s57, v0
	s_delay_alu instid0(VALU_DEP_1)
	v_and_b32_e32 v128, s43, v0
	s_or_b32 exec_lo, exec_lo, s33
	s_and_saveexec_b32 s33, s29
	s_cbranch_execnz .LBB1051_853
.LBB1051_822:                           ;   in Loop: Header=BB1051_696 Depth=2
	s_or_b32 exec_lo, exec_lo, s33
	s_and_saveexec_b32 s33, s30
	s_cbranch_execz .LBB1051_854
.LBB1051_823:                           ;   in Loop: Header=BB1051_696 Depth=2
	ds_load_u16 v0, v83 offset:7168
	s_waitcnt lgkmcnt(0)
	v_lshrrev_b32_e32 v0, s57, v0
	s_delay_alu instid0(VALU_DEP_1)
	v_and_b32_e32 v126, s43, v0
	s_or_b32 exec_lo, exec_lo, s33
	s_and_saveexec_b32 s33, s31
	s_cbranch_execnz .LBB1051_855
	s_branch .LBB1051_856
.LBB1051_824:                           ;   in Loop: Header=BB1051_696 Depth=2
	s_or_b32 exec_lo, exec_lo, s33
	s_delay_alu instid0(SALU_CYCLE_1)
	s_mov_b32 s34, exec_lo
	v_cmpx_lt_u32_e64 v105, v0
	s_cbranch_execz .LBB1051_794
.LBB1051_825:                           ;   in Loop: Header=BB1051_696 Depth=2
	global_load_b64 v[41:42], v[2:3], off offset:256
	s_or_b32 exec_lo, exec_lo, s34
	s_delay_alu instid0(SALU_CYCLE_1)
	s_mov_b32 s34, exec_lo
	v_cmpx_lt_u32_e64 v106, v0
	s_cbranch_execnz .LBB1051_795
.LBB1051_826:                           ;   in Loop: Header=BB1051_696 Depth=2
	s_or_b32 exec_lo, exec_lo, s34
	s_delay_alu instid0(SALU_CYCLE_1)
	s_mov_b32 s34, exec_lo
	v_cmpx_lt_u32_e64 v107, v0
	s_cbranch_execz .LBB1051_796
.LBB1051_827:                           ;   in Loop: Header=BB1051_696 Depth=2
	global_load_b64 v[37:38], v[2:3], off offset:768
	s_or_b32 exec_lo, exec_lo, s34
	s_delay_alu instid0(SALU_CYCLE_1)
	s_mov_b32 s34, exec_lo
	v_cmpx_lt_u32_e64 v108, v0
	s_cbranch_execnz .LBB1051_797
.LBB1051_828:                           ;   in Loop: Header=BB1051_696 Depth=2
	s_or_b32 exec_lo, exec_lo, s34
	s_delay_alu instid0(SALU_CYCLE_1)
	s_mov_b32 s34, exec_lo
	v_cmpx_lt_u32_e64 v109, v0
	s_cbranch_execz .LBB1051_798
.LBB1051_829:                           ;   in Loop: Header=BB1051_696 Depth=2
	global_load_b64 v[33:34], v[2:3], off offset:1280
	s_or_b32 exec_lo, exec_lo, s34
	s_delay_alu instid0(SALU_CYCLE_1)
	s_mov_b32 s34, exec_lo
	v_cmpx_lt_u32_e64 v110, v0
	s_cbranch_execnz .LBB1051_799
.LBB1051_830:                           ;   in Loop: Header=BB1051_696 Depth=2
	s_or_b32 exec_lo, exec_lo, s34
	s_delay_alu instid0(SALU_CYCLE_1)
	s_mov_b32 s34, exec_lo
	v_cmpx_lt_u32_e64 v111, v0
	s_cbranch_execz .LBB1051_800
.LBB1051_831:                           ;   in Loop: Header=BB1051_696 Depth=2
	global_load_b64 v[29:30], v[2:3], off offset:1792
	s_or_b32 exec_lo, exec_lo, s34
	s_delay_alu instid0(SALU_CYCLE_1)
	s_mov_b32 s34, exec_lo
	v_cmpx_lt_u32_e64 v112, v0
	s_cbranch_execnz .LBB1051_801
.LBB1051_832:                           ;   in Loop: Header=BB1051_696 Depth=2
	s_or_b32 exec_lo, exec_lo, s34
	s_delay_alu instid0(SALU_CYCLE_1)
	s_mov_b32 s34, exec_lo
	v_cmpx_lt_u32_e64 v113, v0
	s_cbranch_execz .LBB1051_802
.LBB1051_833:                           ;   in Loop: Header=BB1051_696 Depth=2
	global_load_b64 v[25:26], v[2:3], off offset:2304
	s_or_b32 exec_lo, exec_lo, s34
	s_delay_alu instid0(SALU_CYCLE_1)
	s_mov_b32 s34, exec_lo
	v_cmpx_lt_u32_e64 v114, v0
	s_cbranch_execnz .LBB1051_803
.LBB1051_834:                           ;   in Loop: Header=BB1051_696 Depth=2
	s_or_b32 exec_lo, exec_lo, s34
	s_delay_alu instid0(SALU_CYCLE_1)
	s_mov_b32 s34, exec_lo
	v_cmpx_lt_u32_e64 v115, v0
	s_cbranch_execz .LBB1051_804
.LBB1051_835:                           ;   in Loop: Header=BB1051_696 Depth=2
	global_load_b64 v[21:22], v[2:3], off offset:2816
	s_or_b32 exec_lo, exec_lo, s34
	s_delay_alu instid0(SALU_CYCLE_1)
	s_mov_b32 s34, exec_lo
	v_cmpx_lt_u32_e64 v116, v0
	s_cbranch_execnz .LBB1051_805
.LBB1051_836:                           ;   in Loop: Header=BB1051_696 Depth=2
	s_or_b32 exec_lo, exec_lo, s34
	s_delay_alu instid0(SALU_CYCLE_1)
	s_mov_b32 s34, exec_lo
	v_cmpx_lt_u32_e64 v117, v0
	s_cbranch_execz .LBB1051_806
.LBB1051_837:                           ;   in Loop: Header=BB1051_696 Depth=2
	global_load_b64 v[14:15], v[2:3], off offset:3328
	s_or_b32 exec_lo, exec_lo, s34
	s_delay_alu instid0(SALU_CYCLE_1)
	s_mov_b32 s34, exec_lo
	v_cmpx_lt_u32_e64 v118, v0
	s_cbranch_execnz .LBB1051_807
.LBB1051_838:                           ;   in Loop: Header=BB1051_696 Depth=2
	s_or_b32 exec_lo, exec_lo, s34
	s_delay_alu instid0(SALU_CYCLE_1)
	s_mov_b32 s34, exec_lo
	v_cmpx_lt_u32_e64 v119, v0
	s_cbranch_execz .LBB1051_808
.LBB1051_839:                           ;   in Loop: Header=BB1051_696 Depth=2
	global_load_b64 v[10:11], v[2:3], off offset:3840
	s_or_b32 exec_lo, exec_lo, s34
	s_and_saveexec_b32 s33, vcc_lo
	s_cbranch_execnz .LBB1051_809
.LBB1051_840:                           ;   in Loop: Header=BB1051_696 Depth=2
	s_or_b32 exec_lo, exec_lo, s33
	s_and_saveexec_b32 s33, s17
	s_cbranch_execz .LBB1051_810
.LBB1051_841:                           ;   in Loop: Header=BB1051_696 Depth=2
	ds_load_u16 v0, v83 offset:512
	s_waitcnt lgkmcnt(0)
	v_lshrrev_b32_e32 v0, s57, v0
	s_delay_alu instid0(VALU_DEP_1)
	v_and_b32_e32 v139, s43, v0
	s_or_b32 exec_lo, exec_lo, s33
	s_and_saveexec_b32 s33, s18
	s_cbranch_execnz .LBB1051_811
.LBB1051_842:                           ;   in Loop: Header=BB1051_696 Depth=2
	s_or_b32 exec_lo, exec_lo, s33
	s_and_saveexec_b32 s33, s19
	s_cbranch_execz .LBB1051_812
.LBB1051_843:                           ;   in Loop: Header=BB1051_696 Depth=2
	ds_load_u16 v0, v83 offset:1536
	s_waitcnt lgkmcnt(0)
	v_lshrrev_b32_e32 v0, s57, v0
	s_delay_alu instid0(VALU_DEP_1)
	v_and_b32_e32 v137, s43, v0
	s_or_b32 exec_lo, exec_lo, s33
	s_and_saveexec_b32 s33, s20
	s_cbranch_execnz .LBB1051_813
.LBB1051_844:                           ;   in Loop: Header=BB1051_696 Depth=2
	s_or_b32 exec_lo, exec_lo, s33
	s_and_saveexec_b32 s33, s21
	s_cbranch_execz .LBB1051_814
.LBB1051_845:                           ;   in Loop: Header=BB1051_696 Depth=2
	ds_load_u16 v0, v83 offset:2560
	s_waitcnt lgkmcnt(0)
	v_lshrrev_b32_e32 v0, s57, v0
	s_delay_alu instid0(VALU_DEP_1)
	v_and_b32_e32 v135, s43, v0
	s_or_b32 exec_lo, exec_lo, s33
	s_and_saveexec_b32 s33, s22
	s_cbranch_execnz .LBB1051_815
.LBB1051_846:                           ;   in Loop: Header=BB1051_696 Depth=2
	s_or_b32 exec_lo, exec_lo, s33
	s_and_saveexec_b32 s33, s23
	s_cbranch_execz .LBB1051_816
.LBB1051_847:                           ;   in Loop: Header=BB1051_696 Depth=2
	ds_load_u16 v0, v83 offset:3584
	s_waitcnt lgkmcnt(0)
	v_lshrrev_b32_e32 v0, s57, v0
	s_delay_alu instid0(VALU_DEP_1)
	v_and_b32_e32 v133, s43, v0
	s_or_b32 exec_lo, exec_lo, s33
	s_and_saveexec_b32 s33, s24
	s_cbranch_execnz .LBB1051_817
.LBB1051_848:                           ;   in Loop: Header=BB1051_696 Depth=2
	s_or_b32 exec_lo, exec_lo, s33
	s_and_saveexec_b32 s33, s25
	s_cbranch_execz .LBB1051_818
.LBB1051_849:                           ;   in Loop: Header=BB1051_696 Depth=2
	ds_load_u16 v0, v83 offset:4608
	s_waitcnt lgkmcnt(0)
	v_lshrrev_b32_e32 v0, s57, v0
	s_delay_alu instid0(VALU_DEP_1)
	v_and_b32_e32 v131, s43, v0
	s_or_b32 exec_lo, exec_lo, s33
	s_and_saveexec_b32 s33, s26
	s_cbranch_execnz .LBB1051_819
.LBB1051_850:                           ;   in Loop: Header=BB1051_696 Depth=2
	s_or_b32 exec_lo, exec_lo, s33
	s_and_saveexec_b32 s33, s27
	s_cbranch_execz .LBB1051_820
.LBB1051_851:                           ;   in Loop: Header=BB1051_696 Depth=2
	ds_load_u16 v0, v83 offset:5632
	s_waitcnt lgkmcnt(0)
	v_lshrrev_b32_e32 v0, s57, v0
	s_delay_alu instid0(VALU_DEP_1)
	v_and_b32_e32 v129, s43, v0
	s_or_b32 exec_lo, exec_lo, s33
	s_and_saveexec_b32 s33, s28
	s_cbranch_execnz .LBB1051_821
.LBB1051_852:                           ;   in Loop: Header=BB1051_696 Depth=2
	s_or_b32 exec_lo, exec_lo, s33
	s_and_saveexec_b32 s33, s29
	s_cbranch_execz .LBB1051_822
.LBB1051_853:                           ;   in Loop: Header=BB1051_696 Depth=2
	ds_load_u16 v0, v83 offset:6656
	s_waitcnt lgkmcnt(0)
	v_lshrrev_b32_e32 v0, s57, v0
	s_delay_alu instid0(VALU_DEP_1)
	v_and_b32_e32 v127, s43, v0
	s_or_b32 exec_lo, exec_lo, s33
	s_and_saveexec_b32 s33, s30
	s_cbranch_execnz .LBB1051_823
.LBB1051_854:                           ;   in Loop: Header=BB1051_696 Depth=2
	s_or_b32 exec_lo, exec_lo, s33
	s_and_saveexec_b32 s33, s31
	s_cbranch_execz .LBB1051_856
.LBB1051_855:                           ;   in Loop: Header=BB1051_696 Depth=2
	ds_load_u16 v0, v83 offset:7680
	s_waitcnt lgkmcnt(0)
	v_lshrrev_b32_e32 v0, s57, v0
	s_delay_alu instid0(VALU_DEP_1)
	v_and_b32_e32 v125, s43, v0
.LBB1051_856:                           ;   in Loop: Header=BB1051_696 Depth=2
	s_or_b32 exec_lo, exec_lo, s33
	v_lshlrev_b32_e32 v0, 3, v159
	v_lshlrev_b32_e32 v2, 3, v155
	s_waitcnt vmcnt(0)
	s_waitcnt_vscnt null, 0x0
	s_barrier
	buffer_gl0_inv
	ds_store_b64 v0, v[43:44] offset:1024
	v_lshlrev_b32_e32 v0, 3, v151
	v_lshlrev_b32_e32 v3, 3, v150
	;; [unrolled: 1-line block ×4, first 2 shown]
	ds_store_b64 v2, v[41:42] offset:1024
	ds_store_b64 v0, v[39:40] offset:1024
	;; [unrolled: 1-line block ×5, first 2 shown]
	v_lshlrev_b32_e32 v0, 3, v146
	v_lshlrev_b32_e32 v2, 3, v145
	;; [unrolled: 1-line block ×5, first 2 shown]
	ds_store_b64 v0, v[31:32] offset:1024
	ds_store_b64 v2, v[29:30] offset:1024
	ds_store_b64 v3, v[27:28] offset:1024
	ds_store_b64 v19, v[25:26] offset:1024
	ds_store_b64 v46, v[23:24] offset:1024
	v_lshlrev_b32_e32 v0, 3, v6
	v_lshlrev_b32_e32 v2, 3, v5
	;; [unrolled: 1-line block ×5, first 2 shown]
	ds_store_b64 v0, v[21:22] offset:1024
	ds_store_b64 v2, v[16:17] offset:1024
	;; [unrolled: 1-line block ×5, first 2 shown]
	s_waitcnt lgkmcnt(0)
	s_barrier
	buffer_gl0_inv
	s_and_saveexec_b32 s33, vcc_lo
	s_cbranch_execz .LBB1051_872
; %bb.857:                              ;   in Loop: Header=BB1051_696 Depth=2
	v_lshlrev_b32_e32 v0, 2, v140
	ds_load_b32 v0, v0
	ds_load_b64 v[2:3], v84 offset:1024
	s_waitcnt lgkmcnt(1)
	v_add_nc_u32_e32 v19, v0, v18
	s_delay_alu instid0(VALU_DEP_1) | instskip(NEXT) | instid1(VALU_DEP_1)
	v_lshlrev_b64 v[5:6], 3, v[19:20]
	v_add_co_u32 v5, vcc_lo, s52, v5
	s_delay_alu instid0(VALU_DEP_2)
	v_add_co_ci_u32_e32 v6, vcc_lo, s53, v6, vcc_lo
	s_waitcnt lgkmcnt(0)
	global_store_b64 v[5:6], v[2:3], off
	s_or_b32 exec_lo, exec_lo, s33
	s_and_saveexec_b32 s33, s17
	s_cbranch_execnz .LBB1051_873
.LBB1051_858:                           ;   in Loop: Header=BB1051_696 Depth=2
	s_or_b32 exec_lo, exec_lo, s33
	s_and_saveexec_b32 s17, s18
	s_cbranch_execz .LBB1051_874
.LBB1051_859:                           ;   in Loop: Header=BB1051_696 Depth=2
	v_lshlrev_b32_e32 v0, 2, v138
	v_add_nc_u32_e32 v2, v83, v85
	ds_load_b32 v0, v0
	ds_load_b64 v[2:3], v2 offset:4096
	s_waitcnt lgkmcnt(1)
	v_add_nc_u32_e32 v19, v0, v49
	s_delay_alu instid0(VALU_DEP_1) | instskip(NEXT) | instid1(VALU_DEP_1)
	v_lshlrev_b64 v[5:6], 3, v[19:20]
	v_add_co_u32 v5, vcc_lo, s52, v5
	s_delay_alu instid0(VALU_DEP_2)
	v_add_co_ci_u32_e32 v6, vcc_lo, s53, v6, vcc_lo
	s_waitcnt lgkmcnt(0)
	global_store_b64 v[5:6], v[2:3], off
	s_or_b32 exec_lo, exec_lo, s17
	s_and_saveexec_b32 s17, s19
	s_cbranch_execnz .LBB1051_875
.LBB1051_860:                           ;   in Loop: Header=BB1051_696 Depth=2
	s_or_b32 exec_lo, exec_lo, s17
	s_and_saveexec_b32 s17, s20
	s_cbranch_execz .LBB1051_876
.LBB1051_861:                           ;   in Loop: Header=BB1051_696 Depth=2
	v_lshlrev_b32_e32 v0, 2, v136
	v_add_nc_u32_e32 v2, v83, v85
	ds_load_b32 v0, v0
	ds_load_b64 v[2:3], v2 offset:8192
	s_waitcnt lgkmcnt(1)
	v_add_nc_u32_e32 v19, v0, v54
	s_delay_alu instid0(VALU_DEP_1) | instskip(NEXT) | instid1(VALU_DEP_1)
	v_lshlrev_b64 v[5:6], 3, v[19:20]
	v_add_co_u32 v5, vcc_lo, s52, v5
	s_delay_alu instid0(VALU_DEP_2)
	v_add_co_ci_u32_e32 v6, vcc_lo, s53, v6, vcc_lo
	s_waitcnt lgkmcnt(0)
	global_store_b64 v[5:6], v[2:3], off
	s_or_b32 exec_lo, exec_lo, s17
	s_and_saveexec_b32 s17, s21
	s_cbranch_execnz .LBB1051_877
.LBB1051_862:                           ;   in Loop: Header=BB1051_696 Depth=2
	s_or_b32 exec_lo, exec_lo, s17
	s_and_saveexec_b32 s17, s22
	s_cbranch_execz .LBB1051_878
.LBB1051_863:                           ;   in Loop: Header=BB1051_696 Depth=2
	v_lshlrev_b32_e32 v0, 2, v134
	v_add_nc_u32_e32 v2, v83, v85
	ds_load_b32 v0, v0
	ds_load_b64 v[2:3], v2 offset:12288
	s_waitcnt lgkmcnt(1)
	v_add_nc_u32_e32 v19, v0, v56
	s_delay_alu instid0(VALU_DEP_1) | instskip(NEXT) | instid1(VALU_DEP_1)
	v_lshlrev_b64 v[5:6], 3, v[19:20]
	v_add_co_u32 v5, vcc_lo, s52, v5
	s_delay_alu instid0(VALU_DEP_2)
	v_add_co_ci_u32_e32 v6, vcc_lo, s53, v6, vcc_lo
	s_waitcnt lgkmcnt(0)
	global_store_b64 v[5:6], v[2:3], off
	s_or_b32 exec_lo, exec_lo, s17
	s_and_saveexec_b32 s17, s23
	s_cbranch_execnz .LBB1051_879
.LBB1051_864:                           ;   in Loop: Header=BB1051_696 Depth=2
	s_or_b32 exec_lo, exec_lo, s17
	s_and_saveexec_b32 s17, s24
	s_cbranch_execz .LBB1051_880
.LBB1051_865:                           ;   in Loop: Header=BB1051_696 Depth=2
	v_lshlrev_b32_e32 v0, 2, v132
	v_add_nc_u32_e32 v2, v83, v85
	ds_load_b32 v0, v0
	ds_load_b64 v[2:3], v2 offset:16384
	s_waitcnt lgkmcnt(1)
	v_add_nc_u32_e32 v19, v0, v58
	s_delay_alu instid0(VALU_DEP_1) | instskip(NEXT) | instid1(VALU_DEP_1)
	v_lshlrev_b64 v[5:6], 3, v[19:20]
	v_add_co_u32 v5, vcc_lo, s52, v5
	s_delay_alu instid0(VALU_DEP_2)
	v_add_co_ci_u32_e32 v6, vcc_lo, s53, v6, vcc_lo
	s_waitcnt lgkmcnt(0)
	global_store_b64 v[5:6], v[2:3], off
	s_or_b32 exec_lo, exec_lo, s17
	s_and_saveexec_b32 s17, s25
	s_cbranch_execnz .LBB1051_881
.LBB1051_866:                           ;   in Loop: Header=BB1051_696 Depth=2
	s_or_b32 exec_lo, exec_lo, s17
	s_and_saveexec_b32 s17, s26
	s_cbranch_execz .LBB1051_882
.LBB1051_867:                           ;   in Loop: Header=BB1051_696 Depth=2
	v_lshlrev_b32_e32 v0, 2, v130
	v_add_nc_u32_e32 v2, v83, v85
	ds_load_b32 v0, v0
	ds_load_b64 v[2:3], v2 offset:20480
	s_waitcnt lgkmcnt(1)
	v_add_nc_u32_e32 v19, v0, v60
	s_delay_alu instid0(VALU_DEP_1) | instskip(NEXT) | instid1(VALU_DEP_1)
	v_lshlrev_b64 v[5:6], 3, v[19:20]
	v_add_co_u32 v5, vcc_lo, s52, v5
	s_delay_alu instid0(VALU_DEP_2)
	v_add_co_ci_u32_e32 v6, vcc_lo, s53, v6, vcc_lo
	s_waitcnt lgkmcnt(0)
	global_store_b64 v[5:6], v[2:3], off
	s_or_b32 exec_lo, exec_lo, s17
	s_and_saveexec_b32 s17, s27
	s_cbranch_execnz .LBB1051_883
.LBB1051_868:                           ;   in Loop: Header=BB1051_696 Depth=2
	s_or_b32 exec_lo, exec_lo, s17
	s_and_saveexec_b32 s17, s28
	s_cbranch_execz .LBB1051_884
.LBB1051_869:                           ;   in Loop: Header=BB1051_696 Depth=2
	v_lshlrev_b32_e32 v0, 2, v128
	v_add_nc_u32_e32 v2, v83, v85
	ds_load_b32 v0, v0
	ds_load_b64 v[2:3], v2 offset:24576
	s_waitcnt lgkmcnt(1)
	v_add_nc_u32_e32 v19, v0, v62
	s_delay_alu instid0(VALU_DEP_1) | instskip(NEXT) | instid1(VALU_DEP_1)
	v_lshlrev_b64 v[5:6], 3, v[19:20]
	v_add_co_u32 v5, vcc_lo, s52, v5
	s_delay_alu instid0(VALU_DEP_2)
	v_add_co_ci_u32_e32 v6, vcc_lo, s53, v6, vcc_lo
	s_waitcnt lgkmcnt(0)
	global_store_b64 v[5:6], v[2:3], off
	s_or_b32 exec_lo, exec_lo, s17
	s_and_saveexec_b32 s17, s29
	s_cbranch_execnz .LBB1051_885
.LBB1051_870:                           ;   in Loop: Header=BB1051_696 Depth=2
	s_or_b32 exec_lo, exec_lo, s17
	s_and_saveexec_b32 s17, s30
	s_cbranch_execz .LBB1051_886
.LBB1051_871:                           ;   in Loop: Header=BB1051_696 Depth=2
	v_lshlrev_b32_e32 v0, 2, v126
	v_add_nc_u32_e32 v2, v83, v85
	ds_load_b32 v0, v0
	ds_load_b64 v[2:3], v2 offset:28672
	s_waitcnt lgkmcnt(1)
	v_add_nc_u32_e32 v19, v0, v64
	s_delay_alu instid0(VALU_DEP_1) | instskip(NEXT) | instid1(VALU_DEP_1)
	v_lshlrev_b64 v[5:6], 3, v[19:20]
	v_add_co_u32 v5, vcc_lo, s52, v5
	s_delay_alu instid0(VALU_DEP_2)
	v_add_co_ci_u32_e32 v6, vcc_lo, s53, v6, vcc_lo
	s_waitcnt lgkmcnt(0)
	global_store_b64 v[5:6], v[2:3], off
	s_or_b32 exec_lo, exec_lo, s17
	s_and_saveexec_b32 s17, s31
	s_cbranch_execnz .LBB1051_887
	s_branch .LBB1051_888
.LBB1051_872:                           ;   in Loop: Header=BB1051_696 Depth=2
	s_or_b32 exec_lo, exec_lo, s33
	s_and_saveexec_b32 s33, s17
	s_cbranch_execz .LBB1051_858
.LBB1051_873:                           ;   in Loop: Header=BB1051_696 Depth=2
	v_lshlrev_b32_e32 v0, 2, v139
	v_add_nc_u32_e32 v2, v83, v85
	ds_load_b32 v0, v0
	ds_load_b64 v[2:3], v2 offset:2048
	s_waitcnt lgkmcnt(1)
	v_add_nc_u32_e32 v19, v0, v48
	s_delay_alu instid0(VALU_DEP_1) | instskip(NEXT) | instid1(VALU_DEP_1)
	v_lshlrev_b64 v[5:6], 3, v[19:20]
	v_add_co_u32 v5, vcc_lo, s52, v5
	s_delay_alu instid0(VALU_DEP_2)
	v_add_co_ci_u32_e32 v6, vcc_lo, s53, v6, vcc_lo
	s_waitcnt lgkmcnt(0)
	global_store_b64 v[5:6], v[2:3], off
	s_or_b32 exec_lo, exec_lo, s33
	s_and_saveexec_b32 s17, s18
	s_cbranch_execnz .LBB1051_859
.LBB1051_874:                           ;   in Loop: Header=BB1051_696 Depth=2
	s_or_b32 exec_lo, exec_lo, s17
	s_and_saveexec_b32 s17, s19
	s_cbranch_execz .LBB1051_860
.LBB1051_875:                           ;   in Loop: Header=BB1051_696 Depth=2
	v_lshlrev_b32_e32 v0, 2, v137
	v_add_nc_u32_e32 v2, v83, v85
	ds_load_b32 v0, v0
	ds_load_b64 v[2:3], v2 offset:6144
	s_waitcnt lgkmcnt(1)
	v_add_nc_u32_e32 v19, v0, v50
	s_delay_alu instid0(VALU_DEP_1) | instskip(NEXT) | instid1(VALU_DEP_1)
	v_lshlrev_b64 v[5:6], 3, v[19:20]
	v_add_co_u32 v5, vcc_lo, s52, v5
	s_delay_alu instid0(VALU_DEP_2)
	v_add_co_ci_u32_e32 v6, vcc_lo, s53, v6, vcc_lo
	s_waitcnt lgkmcnt(0)
	global_store_b64 v[5:6], v[2:3], off
	s_or_b32 exec_lo, exec_lo, s17
	s_and_saveexec_b32 s17, s20
	s_cbranch_execnz .LBB1051_861
.LBB1051_876:                           ;   in Loop: Header=BB1051_696 Depth=2
	s_or_b32 exec_lo, exec_lo, s17
	s_and_saveexec_b32 s17, s21
	s_cbranch_execz .LBB1051_862
.LBB1051_877:                           ;   in Loop: Header=BB1051_696 Depth=2
	v_lshlrev_b32_e32 v0, 2, v135
	v_add_nc_u32_e32 v2, v83, v85
	ds_load_b32 v0, v0
	ds_load_b64 v[2:3], v2 offset:10240
	s_waitcnt lgkmcnt(1)
	v_add_nc_u32_e32 v19, v0, v55
	s_delay_alu instid0(VALU_DEP_1) | instskip(NEXT) | instid1(VALU_DEP_1)
	v_lshlrev_b64 v[5:6], 3, v[19:20]
	v_add_co_u32 v5, vcc_lo, s52, v5
	s_delay_alu instid0(VALU_DEP_2)
	v_add_co_ci_u32_e32 v6, vcc_lo, s53, v6, vcc_lo
	s_waitcnt lgkmcnt(0)
	global_store_b64 v[5:6], v[2:3], off
	s_or_b32 exec_lo, exec_lo, s17
	s_and_saveexec_b32 s17, s22
	s_cbranch_execnz .LBB1051_863
.LBB1051_878:                           ;   in Loop: Header=BB1051_696 Depth=2
	s_or_b32 exec_lo, exec_lo, s17
	s_and_saveexec_b32 s17, s23
	s_cbranch_execz .LBB1051_864
.LBB1051_879:                           ;   in Loop: Header=BB1051_696 Depth=2
	v_lshlrev_b32_e32 v0, 2, v133
	v_add_nc_u32_e32 v2, v83, v85
	ds_load_b32 v0, v0
	ds_load_b64 v[2:3], v2 offset:14336
	s_waitcnt lgkmcnt(1)
	v_add_nc_u32_e32 v19, v0, v57
	s_delay_alu instid0(VALU_DEP_1) | instskip(NEXT) | instid1(VALU_DEP_1)
	v_lshlrev_b64 v[5:6], 3, v[19:20]
	v_add_co_u32 v5, vcc_lo, s52, v5
	s_delay_alu instid0(VALU_DEP_2)
	v_add_co_ci_u32_e32 v6, vcc_lo, s53, v6, vcc_lo
	s_waitcnt lgkmcnt(0)
	global_store_b64 v[5:6], v[2:3], off
	s_or_b32 exec_lo, exec_lo, s17
	s_and_saveexec_b32 s17, s24
	s_cbranch_execnz .LBB1051_865
.LBB1051_880:                           ;   in Loop: Header=BB1051_696 Depth=2
	s_or_b32 exec_lo, exec_lo, s17
	s_and_saveexec_b32 s17, s25
	s_cbranch_execz .LBB1051_866
.LBB1051_881:                           ;   in Loop: Header=BB1051_696 Depth=2
	v_lshlrev_b32_e32 v0, 2, v131
	v_add_nc_u32_e32 v2, v83, v85
	ds_load_b32 v0, v0
	ds_load_b64 v[2:3], v2 offset:18432
	s_waitcnt lgkmcnt(1)
	v_add_nc_u32_e32 v19, v0, v59
	s_delay_alu instid0(VALU_DEP_1) | instskip(NEXT) | instid1(VALU_DEP_1)
	v_lshlrev_b64 v[5:6], 3, v[19:20]
	v_add_co_u32 v5, vcc_lo, s52, v5
	s_delay_alu instid0(VALU_DEP_2)
	v_add_co_ci_u32_e32 v6, vcc_lo, s53, v6, vcc_lo
	s_waitcnt lgkmcnt(0)
	global_store_b64 v[5:6], v[2:3], off
	s_or_b32 exec_lo, exec_lo, s17
	s_and_saveexec_b32 s17, s26
	s_cbranch_execnz .LBB1051_867
.LBB1051_882:                           ;   in Loop: Header=BB1051_696 Depth=2
	s_or_b32 exec_lo, exec_lo, s17
	s_and_saveexec_b32 s17, s27
	s_cbranch_execz .LBB1051_868
.LBB1051_883:                           ;   in Loop: Header=BB1051_696 Depth=2
	v_lshlrev_b32_e32 v0, 2, v129
	v_add_nc_u32_e32 v2, v83, v85
	ds_load_b32 v0, v0
	ds_load_b64 v[2:3], v2 offset:22528
	s_waitcnt lgkmcnt(1)
	v_add_nc_u32_e32 v19, v0, v61
	s_delay_alu instid0(VALU_DEP_1) | instskip(NEXT) | instid1(VALU_DEP_1)
	v_lshlrev_b64 v[5:6], 3, v[19:20]
	v_add_co_u32 v5, vcc_lo, s52, v5
	s_delay_alu instid0(VALU_DEP_2)
	v_add_co_ci_u32_e32 v6, vcc_lo, s53, v6, vcc_lo
	s_waitcnt lgkmcnt(0)
	global_store_b64 v[5:6], v[2:3], off
	s_or_b32 exec_lo, exec_lo, s17
	s_and_saveexec_b32 s17, s28
	s_cbranch_execnz .LBB1051_869
.LBB1051_884:                           ;   in Loop: Header=BB1051_696 Depth=2
	s_or_b32 exec_lo, exec_lo, s17
	s_and_saveexec_b32 s17, s29
	s_cbranch_execz .LBB1051_870
.LBB1051_885:                           ;   in Loop: Header=BB1051_696 Depth=2
	v_lshlrev_b32_e32 v0, 2, v127
	v_add_nc_u32_e32 v2, v83, v85
	ds_load_b32 v0, v0
	ds_load_b64 v[2:3], v2 offset:26624
	s_waitcnt lgkmcnt(1)
	v_add_nc_u32_e32 v19, v0, v63
	s_delay_alu instid0(VALU_DEP_1) | instskip(NEXT) | instid1(VALU_DEP_1)
	v_lshlrev_b64 v[5:6], 3, v[19:20]
	v_add_co_u32 v5, vcc_lo, s52, v5
	s_delay_alu instid0(VALU_DEP_2)
	v_add_co_ci_u32_e32 v6, vcc_lo, s53, v6, vcc_lo
	s_waitcnt lgkmcnt(0)
	global_store_b64 v[5:6], v[2:3], off
	s_or_b32 exec_lo, exec_lo, s17
	s_and_saveexec_b32 s17, s30
	s_cbranch_execnz .LBB1051_871
.LBB1051_886:                           ;   in Loop: Header=BB1051_696 Depth=2
	s_or_b32 exec_lo, exec_lo, s17
	s_and_saveexec_b32 s17, s31
	s_cbranch_execz .LBB1051_888
.LBB1051_887:                           ;   in Loop: Header=BB1051_696 Depth=2
	v_lshlrev_b32_e32 v0, 2, v125
	v_add_nc_u32_e32 v2, v83, v85
	ds_load_b32 v0, v0
	ds_load_b64 v[2:3], v2 offset:30720
	s_waitcnt lgkmcnt(1)
	v_add_nc_u32_e32 v19, v0, v66
	s_delay_alu instid0(VALU_DEP_1) | instskip(NEXT) | instid1(VALU_DEP_1)
	v_lshlrev_b64 v[5:6], 3, v[19:20]
	v_add_co_u32 v5, vcc_lo, s52, v5
	s_delay_alu instid0(VALU_DEP_2)
	v_add_co_ci_u32_e32 v6, vcc_lo, s53, v6, vcc_lo
	s_waitcnt lgkmcnt(0)
	global_store_b64 v[5:6], v[2:3], off
.LBB1051_888:                           ;   in Loop: Header=BB1051_696 Depth=2
	s_or_b32 exec_lo, exec_lo, s17
	s_waitcnt_vscnt null, 0x0
	s_barrier
	buffer_gl0_inv
	s_and_saveexec_b32 s17, s2
	s_cbranch_execz .LBB1051_695
; %bb.889:                              ;   in Loop: Header=BB1051_696 Depth=2
	ds_load_b32 v0, v47
	s_waitcnt lgkmcnt(0)
	v_add_nc_u32_e32 v0, v0, v4
	ds_store_b32 v47, v0
	s_branch .LBB1051_695
.LBB1051_890:                           ;   in Loop: Header=BB1051_696 Depth=2
	s_or_b32 exec_lo, exec_lo, s17
	s_delay_alu instid0(SALU_CYCLE_1)
	s_mov_b32 s17, exec_lo
	v_cmpx_gt_u32_e64 s56, v105
	s_cbranch_execz .LBB1051_701
.LBB1051_891:                           ;   in Loop: Header=BB1051_696 Depth=2
	global_load_d16_hi_b16 v2, v[45:46], off offset:64
	s_or_b32 exec_lo, exec_lo, s17
	s_delay_alu instid0(SALU_CYCLE_1)
	s_mov_b32 s17, exec_lo
	v_cmpx_gt_u32_e64 s56, v106
	s_cbranch_execnz .LBB1051_702
.LBB1051_892:                           ;   in Loop: Header=BB1051_696 Depth=2
	s_or_b32 exec_lo, exec_lo, s17
	s_delay_alu instid0(SALU_CYCLE_1)
	s_mov_b32 s17, exec_lo
	v_cmpx_gt_u32_e64 s56, v107
	s_cbranch_execz .LBB1051_703
.LBB1051_893:                           ;   in Loop: Header=BB1051_696 Depth=2
	global_load_d16_hi_b16 v3, v[45:46], off offset:192
	s_or_b32 exec_lo, exec_lo, s17
	s_delay_alu instid0(SALU_CYCLE_1)
	s_mov_b32 s17, exec_lo
	v_cmpx_gt_u32_e64 s56, v108
	s_cbranch_execnz .LBB1051_704
.LBB1051_894:                           ;   in Loop: Header=BB1051_696 Depth=2
	s_or_b32 exec_lo, exec_lo, s17
	s_delay_alu instid0(SALU_CYCLE_1)
	s_mov_b32 s17, exec_lo
	v_cmpx_gt_u32_e64 s56, v109
	s_cbranch_execz .LBB1051_705
.LBB1051_895:                           ;   in Loop: Header=BB1051_696 Depth=2
	global_load_d16_hi_b16 v4, v[45:46], off offset:320
	s_or_b32 exec_lo, exec_lo, s17
	s_delay_alu instid0(SALU_CYCLE_1)
	s_mov_b32 s17, exec_lo
	v_cmpx_gt_u32_e64 s56, v110
	s_cbranch_execnz .LBB1051_706
.LBB1051_896:                           ;   in Loop: Header=BB1051_696 Depth=2
	s_or_b32 exec_lo, exec_lo, s17
	s_delay_alu instid0(SALU_CYCLE_1)
	s_mov_b32 s17, exec_lo
	v_cmpx_gt_u32_e64 s56, v111
	s_cbranch_execz .LBB1051_707
.LBB1051_897:                           ;   in Loop: Header=BB1051_696 Depth=2
	global_load_d16_hi_b16 v5, v[45:46], off offset:448
	s_or_b32 exec_lo, exec_lo, s17
	s_delay_alu instid0(SALU_CYCLE_1)
	s_mov_b32 s17, exec_lo
	v_cmpx_gt_u32_e64 s56, v112
	s_cbranch_execnz .LBB1051_708
.LBB1051_898:                           ;   in Loop: Header=BB1051_696 Depth=2
	s_or_b32 exec_lo, exec_lo, s17
	s_delay_alu instid0(SALU_CYCLE_1)
	s_mov_b32 s17, exec_lo
	v_cmpx_gt_u32_e64 s56, v113
	s_cbranch_execz .LBB1051_709
.LBB1051_899:                           ;   in Loop: Header=BB1051_696 Depth=2
	global_load_d16_hi_b16 v6, v[45:46], off offset:576
	s_or_b32 exec_lo, exec_lo, s17
	s_delay_alu instid0(SALU_CYCLE_1)
	s_mov_b32 s17, exec_lo
	v_cmpx_gt_u32_e64 s56, v114
	s_cbranch_execnz .LBB1051_710
.LBB1051_900:                           ;   in Loop: Header=BB1051_696 Depth=2
	s_or_b32 exec_lo, exec_lo, s17
	s_delay_alu instid0(SALU_CYCLE_1)
	s_mov_b32 s17, exec_lo
	v_cmpx_gt_u32_e64 s56, v115
	s_cbranch_execz .LBB1051_711
.LBB1051_901:                           ;   in Loop: Header=BB1051_696 Depth=2
	global_load_d16_hi_b16 v7, v[45:46], off offset:704
	s_or_b32 exec_lo, exec_lo, s17
	s_delay_alu instid0(SALU_CYCLE_1)
	s_mov_b32 s17, exec_lo
	v_cmpx_gt_u32_e64 s56, v116
	s_cbranch_execnz .LBB1051_712
.LBB1051_902:                           ;   in Loop: Header=BB1051_696 Depth=2
	s_or_b32 exec_lo, exec_lo, s17
	s_delay_alu instid0(SALU_CYCLE_1)
	s_mov_b32 s17, exec_lo
	v_cmpx_gt_u32_e64 s56, v117
	s_cbranch_execz .LBB1051_713
.LBB1051_903:                           ;   in Loop: Header=BB1051_696 Depth=2
	global_load_d16_hi_b16 v8, v[45:46], off offset:832
	s_or_b32 exec_lo, exec_lo, s17
	s_delay_alu instid0(SALU_CYCLE_1)
	s_mov_b32 s17, exec_lo
	v_cmpx_gt_u32_e64 s56, v118
	s_cbranch_execnz .LBB1051_714
	s_branch .LBB1051_715
.LBB1051_904:                           ;   in Loop: Header=BB1051_20 Depth=1
	s_waitcnt lgkmcnt(0)
	s_mov_b32 s1, 0
	s_barrier
.LBB1051_905:                           ;   in Loop: Header=BB1051_20 Depth=1
	s_and_b32 vcc_lo, exec_lo, s1
	s_cbranch_vccz .LBB1051_19
; %bb.906:                              ;   in Loop: Header=BB1051_20 Depth=1
	s_mov_b32 s1, s64
	s_mov_b32 s34, s62
	s_barrier
	buffer_gl0_inv
                                        ; implicit-def: $vgpr2_vgpr3_vgpr4_vgpr5_vgpr6_vgpr7_vgpr8_vgpr9
	s_branch .LBB1051_908
.LBB1051_907:                           ;   in Loop: Header=BB1051_908 Depth=2
	s_or_b32 exec_lo, exec_lo, s8
	s_addk_i32 s1, 0xf000
	s_cmp_ge_u32 s7, s63
	s_mov_b32 s34, s7
	s_cbranch_scc1 .LBB1051_978
.LBB1051_908:                           ;   Parent Loop BB1051_20 Depth=1
                                        ; =>  This Inner Loop Header: Depth=2
	s_add_i32 s7, s34, 0x1000
	s_delay_alu instid0(SALU_CYCLE_1)
	s_cmp_gt_u32 s7, s63
	s_cbranch_scc1 .LBB1051_911
; %bb.909:                              ;   in Loop: Header=BB1051_908 Depth=2
	s_mov_b32 s9, 0
	s_mov_b32 s8, s34
	v_mov_b32_e32 v17, v9
	s_lshl_b64 s[10:11], s[8:9], 1
	s_delay_alu instid0(SALU_CYCLE_1) | instskip(SKIP_2) | instid1(VALU_DEP_2)
	v_add_co_u32 v21, vcc_lo, v92, s10
	v_add_co_ci_u32_e32 v22, vcc_lo, s11, v93, vcc_lo
	s_movk_i32 s11, 0x1000
	v_add_co_u32 v23, vcc_lo, 0x1000, v21
	s_delay_alu instid0(VALU_DEP_2)
	v_add_co_ci_u32_e32 v24, vcc_lo, 0, v22, vcc_lo
	s_clause 0x6
	global_load_u16 v10, v[21:22], off
	global_load_u16 v11, v[21:22], off offset:1024
	global_load_u16 v12, v[21:22], off offset:2048
	;; [unrolled: 1-line block ×3, first 2 shown]
	global_load_u16 v14, v[23:24], off
	global_load_u16 v15, v[23:24], off offset:1024
	global_load_u16 v16, v[23:24], off offset:2048
	s_mov_b32 s10, -1
	s_clause 0x7
	global_load_d16_b16 v17, v[23:24], off offset:3072
	global_load_d16_hi_b16 v10, v[21:22], off offset:512
	global_load_d16_hi_b16 v11, v[21:22], off offset:1536
	;; [unrolled: 1-line block ×7, first 2 shown]
	v_add_co_u32 v21, vcc_lo, 0x1e00, v21
	v_add_co_ci_u32_e32 v22, vcc_lo, 0, v22, vcc_lo
	s_cbranch_execz .LBB1051_912
; %bb.910:                              ;   in Loop: Header=BB1051_908 Depth=2
                                        ; implicit-def: $vgpr2_vgpr3_vgpr4_vgpr5_vgpr6_vgpr7_vgpr8_vgpr9
	v_mov_b32_e32 v0, s1
	s_and_saveexec_b32 s8, s10
	s_cbranch_execnz .LBB1051_931
	s_branch .LBB1051_932
.LBB1051_911:                           ;   in Loop: Header=BB1051_908 Depth=2
	s_mov_b32 s10, 0
                                        ; implicit-def: $sgpr11
                                        ; implicit-def: $vgpr10_vgpr11_vgpr12_vgpr13_vgpr14_vgpr15_vgpr16_vgpr17
                                        ; implicit-def: $vgpr21_vgpr22
.LBB1051_912:                           ;   in Loop: Header=BB1051_908 Depth=2
	s_lshl_b64 s[8:9], s[34:35], 1
	s_mov_b32 s11, exec_lo
	s_add_u32 s8, s36, s8
	s_addc_u32 s9, s37, s9
	v_cmpx_gt_u32_e64 s1, v18
	s_cbranch_execz .LBB1051_964
; %bb.913:                              ;   in Loop: Header=BB1051_908 Depth=2
	global_load_d16_b16 v2, v99, s[8:9]
	s_or_b32 exec_lo, exec_lo, s11
	s_delay_alu instid0(SALU_CYCLE_1)
	s_mov_b32 s11, exec_lo
	v_cmpx_gt_u32_e64 s1, v48
	s_cbranch_execnz .LBB1051_965
.LBB1051_914:                           ;   in Loop: Header=BB1051_908 Depth=2
	s_or_b32 exec_lo, exec_lo, s11
	s_delay_alu instid0(SALU_CYCLE_1)
	s_mov_b32 s11, exec_lo
	v_cmpx_gt_u32_e64 s1, v49
	s_cbranch_execz .LBB1051_966
.LBB1051_915:                           ;   in Loop: Header=BB1051_908 Depth=2
	global_load_d16_b16 v3, v99, s[8:9] offset:1024
	s_or_b32 exec_lo, exec_lo, s11
	s_delay_alu instid0(SALU_CYCLE_1)
	s_mov_b32 s11, exec_lo
	v_cmpx_gt_u32_e64 s1, v50
	s_cbranch_execnz .LBB1051_967
.LBB1051_916:                           ;   in Loop: Header=BB1051_908 Depth=2
	s_or_b32 exec_lo, exec_lo, s11
	s_delay_alu instid0(SALU_CYCLE_1)
	s_mov_b32 s11, exec_lo
	v_cmpx_gt_u32_e64 s1, v54
	s_cbranch_execz .LBB1051_968
.LBB1051_917:                           ;   in Loop: Header=BB1051_908 Depth=2
	global_load_d16_b16 v4, v99, s[8:9] offset:2048
	s_or_b32 exec_lo, exec_lo, s11
	s_delay_alu instid0(SALU_CYCLE_1)
	s_mov_b32 s11, exec_lo
	v_cmpx_gt_u32_e64 s1, v55
	s_cbranch_execnz .LBB1051_969
.LBB1051_918:                           ;   in Loop: Header=BB1051_908 Depth=2
	s_or_b32 exec_lo, exec_lo, s11
	s_delay_alu instid0(SALU_CYCLE_1)
	s_mov_b32 s11, exec_lo
	v_cmpx_gt_u32_e64 s1, v56
	s_cbranch_execz .LBB1051_970
.LBB1051_919:                           ;   in Loop: Header=BB1051_908 Depth=2
	global_load_d16_b16 v5, v99, s[8:9] offset:3072
	s_or_b32 exec_lo, exec_lo, s11
	s_delay_alu instid0(SALU_CYCLE_1)
	s_mov_b32 s11, exec_lo
	v_cmpx_gt_u32_e64 s1, v57
	s_cbranch_execnz .LBB1051_971
.LBB1051_920:                           ;   in Loop: Header=BB1051_908 Depth=2
	s_or_b32 exec_lo, exec_lo, s11
	s_delay_alu instid0(SALU_CYCLE_1)
	s_mov_b32 s11, exec_lo
	v_cmpx_gt_u32_e64 s1, v58
	s_cbranch_execz .LBB1051_972
.LBB1051_921:                           ;   in Loop: Header=BB1051_908 Depth=2
	v_lshlrev_b32_e32 v0, 1, v58
	global_load_d16_b16 v6, v0, s[8:9]
	s_or_b32 exec_lo, exec_lo, s11
	s_delay_alu instid0(SALU_CYCLE_1)
	s_mov_b32 s11, exec_lo
	v_cmpx_gt_u32_e64 s1, v59
	s_cbranch_execnz .LBB1051_973
.LBB1051_922:                           ;   in Loop: Header=BB1051_908 Depth=2
	s_or_b32 exec_lo, exec_lo, s11
	s_delay_alu instid0(SALU_CYCLE_1)
	s_mov_b32 s11, exec_lo
	v_cmpx_gt_u32_e64 s1, v60
	s_cbranch_execz .LBB1051_974
.LBB1051_923:                           ;   in Loop: Header=BB1051_908 Depth=2
	v_lshlrev_b32_e32 v0, 1, v60
	global_load_d16_b16 v7, v0, s[8:9]
	s_or_b32 exec_lo, exec_lo, s11
	s_delay_alu instid0(SALU_CYCLE_1)
	s_mov_b32 s11, exec_lo
	v_cmpx_gt_u32_e64 s1, v61
	s_cbranch_execnz .LBB1051_975
.LBB1051_924:                           ;   in Loop: Header=BB1051_908 Depth=2
	s_or_b32 exec_lo, exec_lo, s11
	s_delay_alu instid0(SALU_CYCLE_1)
	s_mov_b32 s11, exec_lo
	v_cmpx_gt_u32_e64 s1, v62
	s_cbranch_execz .LBB1051_976
.LBB1051_925:                           ;   in Loop: Header=BB1051_908 Depth=2
	v_lshlrev_b32_e32 v0, 1, v62
	global_load_d16_b16 v8, v0, s[8:9]
	s_or_b32 exec_lo, exec_lo, s11
	s_delay_alu instid0(SALU_CYCLE_1)
	s_mov_b32 s11, exec_lo
	v_cmpx_gt_u32_e64 s1, v63
	s_cbranch_execnz .LBB1051_977
.LBB1051_926:                           ;   in Loop: Header=BB1051_908 Depth=2
	s_or_b32 exec_lo, exec_lo, s11
	s_delay_alu instid0(SALU_CYCLE_1)
	s_mov_b32 s11, exec_lo
	v_cmpx_gt_u32_e64 s1, v64
	s_cbranch_execz .LBB1051_928
.LBB1051_927:                           ;   in Loop: Header=BB1051_908 Depth=2
	v_lshlrev_b32_e32 v0, 1, v64
	global_load_d16_b16 v9, v0, s[8:9]
.LBB1051_928:                           ;   in Loop: Header=BB1051_908 Depth=2
	s_or_b32 exec_lo, exec_lo, s11
	s_delay_alu instid0(SALU_CYCLE_1)
	s_mov_b32 s12, exec_lo
                                        ; implicit-def: $sgpr11
                                        ; implicit-def: $vgpr21_vgpr22
	v_cmpx_gt_u32_e64 s1, v66
; %bb.929:                              ;   in Loop: Header=BB1051_908 Depth=2
	v_lshlrev_b32_e32 v0, 1, v66
	s_sub_i32 s11, s63, s34
	s_or_b32 s10, s10, exec_lo
	s_delay_alu instid0(VALU_DEP_1) | instskip(NEXT) | instid1(VALU_DEP_1)
	v_add_co_u32 v21, s8, s8, v0
	v_add_co_ci_u32_e64 v22, null, s9, 0, s8
; %bb.930:                              ;   in Loop: Header=BB1051_908 Depth=2
	s_or_b32 exec_lo, exec_lo, s12
	s_waitcnt vmcnt(0)
	v_dual_mov_b32 v17, v9 :: v_dual_mov_b32 v16, v8
	v_dual_mov_b32 v15, v7 :: v_dual_mov_b32 v14, v6
	;; [unrolled: 1-line block ×4, first 2 shown]
	v_mov_b32_e32 v0, s1
	s_and_saveexec_b32 s8, s10
	s_cbranch_execz .LBB1051_932
.LBB1051_931:                           ;   in Loop: Header=BB1051_908 Depth=2
	global_load_d16_hi_b16 v17, v[21:22], off
	s_waitcnt vmcnt(0)
	v_dual_mov_b32 v2, v10 :: v_dual_mov_b32 v5, v13
	v_dual_mov_b32 v0, s11 :: v_dual_mov_b32 v3, v11
	;; [unrolled: 1-line block ×3, first 2 shown]
	v_mov_b32_e32 v6, v14
	v_dual_mov_b32 v8, v16 :: v_dual_mov_b32 v9, v17
.LBB1051_932:                           ;   in Loop: Header=BB1051_908 Depth=2
	s_or_b32 exec_lo, exec_lo, s8
	s_waitcnt vmcnt(6)
	v_lshlrev_b32_e32 v10, 2, v51
	s_mov_b32 s8, exec_lo
	v_cmpx_lt_u32_e64 v18, v0
	s_cbranch_execz .LBB1051_948
; %bb.933:                              ;   in Loop: Header=BB1051_908 Depth=2
	s_waitcnt vmcnt(5)
	v_xor_b32_e32 v11, 0xffff8000, v2
	s_delay_alu instid0(VALU_DEP_1) | instskip(NEXT) | instid1(VALU_DEP_1)
	v_and_b32_e32 v11, 0xffff, v11
	v_lshrrev_b32_e32 v11, s57, v11
	s_delay_alu instid0(VALU_DEP_1) | instskip(NEXT) | instid1(VALU_DEP_1)
	v_and_b32_e32 v11, s43, v11
	v_lshl_or_b32 v11, v11, 4, v10
	ds_add_u32 v11, v98
	s_or_b32 exec_lo, exec_lo, s8
	s_delay_alu instid0(SALU_CYCLE_1)
	s_mov_b32 s8, exec_lo
	v_cmpx_lt_u32_e64 v48, v0
	s_cbranch_execnz .LBB1051_949
.LBB1051_934:                           ;   in Loop: Header=BB1051_908 Depth=2
	s_or_b32 exec_lo, exec_lo, s8
	s_delay_alu instid0(SALU_CYCLE_1)
	s_mov_b32 s8, exec_lo
	v_cmpx_lt_u32_e64 v49, v0
	s_cbranch_execz .LBB1051_950
.LBB1051_935:                           ;   in Loop: Header=BB1051_908 Depth=2
	s_waitcnt vmcnt(5)
	v_xor_b32_e32 v11, 0xffff8000, v3
	s_delay_alu instid0(VALU_DEP_1) | instskip(NEXT) | instid1(VALU_DEP_1)
	v_and_b32_e32 v11, 0xffff, v11
	v_lshrrev_b32_e32 v11, s57, v11
	s_delay_alu instid0(VALU_DEP_1) | instskip(NEXT) | instid1(VALU_DEP_1)
	v_and_b32_e32 v11, s43, v11
	v_lshl_or_b32 v11, v11, 4, v10
	ds_add_u32 v11, v98
	s_or_b32 exec_lo, exec_lo, s8
	s_delay_alu instid0(SALU_CYCLE_1)
	s_mov_b32 s8, exec_lo
	v_cmpx_lt_u32_e64 v50, v0
	s_cbranch_execnz .LBB1051_951
.LBB1051_936:                           ;   in Loop: Header=BB1051_908 Depth=2
	s_or_b32 exec_lo, exec_lo, s8
	s_delay_alu instid0(SALU_CYCLE_1)
	s_mov_b32 s8, exec_lo
	v_cmpx_lt_u32_e64 v54, v0
	s_cbranch_execz .LBB1051_952
.LBB1051_937:                           ;   in Loop: Header=BB1051_908 Depth=2
	s_waitcnt vmcnt(5)
	v_xor_b32_e32 v11, 0xffff8000, v4
	s_delay_alu instid0(VALU_DEP_1) | instskip(NEXT) | instid1(VALU_DEP_1)
	v_and_b32_e32 v11, 0xffff, v11
	v_lshrrev_b32_e32 v11, s57, v11
	s_delay_alu instid0(VALU_DEP_1) | instskip(NEXT) | instid1(VALU_DEP_1)
	v_and_b32_e32 v11, s43, v11
	v_lshl_or_b32 v11, v11, 4, v10
	ds_add_u32 v11, v98
	s_or_b32 exec_lo, exec_lo, s8
	s_delay_alu instid0(SALU_CYCLE_1)
	s_mov_b32 s8, exec_lo
	v_cmpx_lt_u32_e64 v55, v0
	s_cbranch_execnz .LBB1051_953
.LBB1051_938:                           ;   in Loop: Header=BB1051_908 Depth=2
	s_or_b32 exec_lo, exec_lo, s8
	s_delay_alu instid0(SALU_CYCLE_1)
	s_mov_b32 s8, exec_lo
	v_cmpx_lt_u32_e64 v56, v0
	s_cbranch_execz .LBB1051_954
.LBB1051_939:                           ;   in Loop: Header=BB1051_908 Depth=2
	s_waitcnt vmcnt(5)
	v_xor_b32_e32 v11, 0xffff8000, v5
	s_delay_alu instid0(VALU_DEP_1) | instskip(NEXT) | instid1(VALU_DEP_1)
	v_and_b32_e32 v11, 0xffff, v11
	v_lshrrev_b32_e32 v11, s57, v11
	s_delay_alu instid0(VALU_DEP_1) | instskip(NEXT) | instid1(VALU_DEP_1)
	v_and_b32_e32 v11, s43, v11
	v_lshl_or_b32 v11, v11, 4, v10
	ds_add_u32 v11, v98
	s_or_b32 exec_lo, exec_lo, s8
	s_delay_alu instid0(SALU_CYCLE_1)
	s_mov_b32 s8, exec_lo
	v_cmpx_lt_u32_e64 v57, v0
	s_cbranch_execnz .LBB1051_955
.LBB1051_940:                           ;   in Loop: Header=BB1051_908 Depth=2
	s_or_b32 exec_lo, exec_lo, s8
	s_delay_alu instid0(SALU_CYCLE_1)
	s_mov_b32 s8, exec_lo
	v_cmpx_lt_u32_e64 v58, v0
	s_cbranch_execz .LBB1051_956
.LBB1051_941:                           ;   in Loop: Header=BB1051_908 Depth=2
	s_waitcnt vmcnt(5)
	v_xor_b32_e32 v11, 0xffff8000, v6
	s_delay_alu instid0(VALU_DEP_1) | instskip(NEXT) | instid1(VALU_DEP_1)
	v_and_b32_e32 v11, 0xffff, v11
	v_lshrrev_b32_e32 v11, s57, v11
	s_delay_alu instid0(VALU_DEP_1) | instskip(NEXT) | instid1(VALU_DEP_1)
	v_and_b32_e32 v11, s43, v11
	v_lshl_or_b32 v11, v11, 4, v10
	ds_add_u32 v11, v98
	s_or_b32 exec_lo, exec_lo, s8
	s_delay_alu instid0(SALU_CYCLE_1)
	s_mov_b32 s8, exec_lo
	v_cmpx_lt_u32_e64 v59, v0
	s_cbranch_execnz .LBB1051_957
.LBB1051_942:                           ;   in Loop: Header=BB1051_908 Depth=2
	s_or_b32 exec_lo, exec_lo, s8
	s_delay_alu instid0(SALU_CYCLE_1)
	s_mov_b32 s8, exec_lo
	v_cmpx_lt_u32_e64 v60, v0
	s_cbranch_execz .LBB1051_958
.LBB1051_943:                           ;   in Loop: Header=BB1051_908 Depth=2
	s_waitcnt vmcnt(5)
	v_xor_b32_e32 v11, 0xffff8000, v7
	s_delay_alu instid0(VALU_DEP_1) | instskip(NEXT) | instid1(VALU_DEP_1)
	v_and_b32_e32 v11, 0xffff, v11
	v_lshrrev_b32_e32 v11, s57, v11
	s_delay_alu instid0(VALU_DEP_1) | instskip(NEXT) | instid1(VALU_DEP_1)
	v_and_b32_e32 v11, s43, v11
	v_lshl_or_b32 v11, v11, 4, v10
	ds_add_u32 v11, v98
	s_or_b32 exec_lo, exec_lo, s8
	s_delay_alu instid0(SALU_CYCLE_1)
	s_mov_b32 s8, exec_lo
	v_cmpx_lt_u32_e64 v61, v0
	s_cbranch_execnz .LBB1051_959
.LBB1051_944:                           ;   in Loop: Header=BB1051_908 Depth=2
	s_or_b32 exec_lo, exec_lo, s8
	s_delay_alu instid0(SALU_CYCLE_1)
	s_mov_b32 s8, exec_lo
	v_cmpx_lt_u32_e64 v62, v0
	s_cbranch_execz .LBB1051_960
.LBB1051_945:                           ;   in Loop: Header=BB1051_908 Depth=2
	s_waitcnt vmcnt(5)
	v_xor_b32_e32 v11, 0xffff8000, v8
	s_delay_alu instid0(VALU_DEP_1) | instskip(NEXT) | instid1(VALU_DEP_1)
	v_and_b32_e32 v11, 0xffff, v11
	v_lshrrev_b32_e32 v11, s57, v11
	s_delay_alu instid0(VALU_DEP_1) | instskip(NEXT) | instid1(VALU_DEP_1)
	v_and_b32_e32 v11, s43, v11
	v_lshl_or_b32 v11, v11, 4, v10
	ds_add_u32 v11, v98
	s_or_b32 exec_lo, exec_lo, s8
	s_delay_alu instid0(SALU_CYCLE_1)
	s_mov_b32 s8, exec_lo
	v_cmpx_lt_u32_e64 v63, v0
	s_cbranch_execnz .LBB1051_961
.LBB1051_946:                           ;   in Loop: Header=BB1051_908 Depth=2
	s_or_b32 exec_lo, exec_lo, s8
	s_delay_alu instid0(SALU_CYCLE_1)
	s_mov_b32 s8, exec_lo
	v_cmpx_lt_u32_e64 v64, v0
	s_cbranch_execz .LBB1051_962
.LBB1051_947:                           ;   in Loop: Header=BB1051_908 Depth=2
	s_waitcnt vmcnt(5)
	v_xor_b32_e32 v11, 0xffff8000, v9
	s_delay_alu instid0(VALU_DEP_1) | instskip(NEXT) | instid1(VALU_DEP_1)
	v_and_b32_e32 v11, 0xffff, v11
	v_lshrrev_b32_e32 v11, s57, v11
	s_delay_alu instid0(VALU_DEP_1) | instskip(NEXT) | instid1(VALU_DEP_1)
	v_and_b32_e32 v11, s43, v11
	v_lshl_or_b32 v11, v11, 4, v10
	ds_add_u32 v11, v98
	s_or_b32 exec_lo, exec_lo, s8
	s_delay_alu instid0(SALU_CYCLE_1)
	s_mov_b32 s8, exec_lo
	v_cmpx_lt_u32_e64 v66, v0
	s_cbranch_execz .LBB1051_907
	s_branch .LBB1051_963
.LBB1051_948:                           ;   in Loop: Header=BB1051_908 Depth=2
	s_or_b32 exec_lo, exec_lo, s8
	s_delay_alu instid0(SALU_CYCLE_1)
	s_mov_b32 s8, exec_lo
	v_cmpx_lt_u32_e64 v48, v0
	s_cbranch_execz .LBB1051_934
.LBB1051_949:                           ;   in Loop: Header=BB1051_908 Depth=2
	s_waitcnt vmcnt(5)
	v_lshrrev_b32_e32 v11, 16, v2
	s_delay_alu instid0(VALU_DEP_1) | instskip(NEXT) | instid1(VALU_DEP_1)
	v_xor_b32_e32 v11, 0xffff8000, v11
	v_and_b32_e32 v11, 0xffff, v11
	s_delay_alu instid0(VALU_DEP_1) | instskip(NEXT) | instid1(VALU_DEP_1)
	v_lshrrev_b32_e32 v11, s57, v11
	v_and_b32_e32 v11, s43, v11
	s_delay_alu instid0(VALU_DEP_1) | instskip(SKIP_2) | instid1(SALU_CYCLE_1)
	v_lshl_or_b32 v11, v11, 4, v10
	ds_add_u32 v11, v98
	s_or_b32 exec_lo, exec_lo, s8
	s_mov_b32 s8, exec_lo
	v_cmpx_lt_u32_e64 v49, v0
	s_cbranch_execnz .LBB1051_935
.LBB1051_950:                           ;   in Loop: Header=BB1051_908 Depth=2
	s_or_b32 exec_lo, exec_lo, s8
	s_delay_alu instid0(SALU_CYCLE_1)
	s_mov_b32 s8, exec_lo
	v_cmpx_lt_u32_e64 v50, v0
	s_cbranch_execz .LBB1051_936
.LBB1051_951:                           ;   in Loop: Header=BB1051_908 Depth=2
	s_waitcnt vmcnt(5)
	v_lshrrev_b32_e32 v11, 16, v3
	s_delay_alu instid0(VALU_DEP_1) | instskip(NEXT) | instid1(VALU_DEP_1)
	v_xor_b32_e32 v11, 0xffff8000, v11
	v_and_b32_e32 v11, 0xffff, v11
	s_delay_alu instid0(VALU_DEP_1) | instskip(NEXT) | instid1(VALU_DEP_1)
	v_lshrrev_b32_e32 v11, s57, v11
	v_and_b32_e32 v11, s43, v11
	s_delay_alu instid0(VALU_DEP_1) | instskip(SKIP_2) | instid1(SALU_CYCLE_1)
	v_lshl_or_b32 v11, v11, 4, v10
	ds_add_u32 v11, v98
	s_or_b32 exec_lo, exec_lo, s8
	s_mov_b32 s8, exec_lo
	v_cmpx_lt_u32_e64 v54, v0
	s_cbranch_execnz .LBB1051_937
.LBB1051_952:                           ;   in Loop: Header=BB1051_908 Depth=2
	s_or_b32 exec_lo, exec_lo, s8
	s_delay_alu instid0(SALU_CYCLE_1)
	s_mov_b32 s8, exec_lo
	v_cmpx_lt_u32_e64 v55, v0
	s_cbranch_execz .LBB1051_938
.LBB1051_953:                           ;   in Loop: Header=BB1051_908 Depth=2
	s_waitcnt vmcnt(5)
	v_lshrrev_b32_e32 v11, 16, v4
	s_delay_alu instid0(VALU_DEP_1) | instskip(NEXT) | instid1(VALU_DEP_1)
	v_xor_b32_e32 v11, 0xffff8000, v11
	v_and_b32_e32 v11, 0xffff, v11
	s_delay_alu instid0(VALU_DEP_1) | instskip(NEXT) | instid1(VALU_DEP_1)
	v_lshrrev_b32_e32 v11, s57, v11
	v_and_b32_e32 v11, s43, v11
	s_delay_alu instid0(VALU_DEP_1) | instskip(SKIP_2) | instid1(SALU_CYCLE_1)
	v_lshl_or_b32 v11, v11, 4, v10
	ds_add_u32 v11, v98
	s_or_b32 exec_lo, exec_lo, s8
	s_mov_b32 s8, exec_lo
	v_cmpx_lt_u32_e64 v56, v0
	s_cbranch_execnz .LBB1051_939
.LBB1051_954:                           ;   in Loop: Header=BB1051_908 Depth=2
	s_or_b32 exec_lo, exec_lo, s8
	s_delay_alu instid0(SALU_CYCLE_1)
	s_mov_b32 s8, exec_lo
	v_cmpx_lt_u32_e64 v57, v0
	s_cbranch_execz .LBB1051_940
.LBB1051_955:                           ;   in Loop: Header=BB1051_908 Depth=2
	s_waitcnt vmcnt(5)
	v_lshrrev_b32_e32 v11, 16, v5
	s_delay_alu instid0(VALU_DEP_1) | instskip(NEXT) | instid1(VALU_DEP_1)
	v_xor_b32_e32 v11, 0xffff8000, v11
	v_and_b32_e32 v11, 0xffff, v11
	s_delay_alu instid0(VALU_DEP_1) | instskip(NEXT) | instid1(VALU_DEP_1)
	v_lshrrev_b32_e32 v11, s57, v11
	v_and_b32_e32 v11, s43, v11
	s_delay_alu instid0(VALU_DEP_1) | instskip(SKIP_2) | instid1(SALU_CYCLE_1)
	v_lshl_or_b32 v11, v11, 4, v10
	ds_add_u32 v11, v98
	s_or_b32 exec_lo, exec_lo, s8
	s_mov_b32 s8, exec_lo
	v_cmpx_lt_u32_e64 v58, v0
	s_cbranch_execnz .LBB1051_941
.LBB1051_956:                           ;   in Loop: Header=BB1051_908 Depth=2
	s_or_b32 exec_lo, exec_lo, s8
	s_delay_alu instid0(SALU_CYCLE_1)
	s_mov_b32 s8, exec_lo
	v_cmpx_lt_u32_e64 v59, v0
	s_cbranch_execz .LBB1051_942
.LBB1051_957:                           ;   in Loop: Header=BB1051_908 Depth=2
	s_waitcnt vmcnt(5)
	v_lshrrev_b32_e32 v11, 16, v6
	s_delay_alu instid0(VALU_DEP_1) | instskip(NEXT) | instid1(VALU_DEP_1)
	v_xor_b32_e32 v11, 0xffff8000, v11
	v_and_b32_e32 v11, 0xffff, v11
	s_delay_alu instid0(VALU_DEP_1) | instskip(NEXT) | instid1(VALU_DEP_1)
	v_lshrrev_b32_e32 v11, s57, v11
	v_and_b32_e32 v11, s43, v11
	s_delay_alu instid0(VALU_DEP_1) | instskip(SKIP_2) | instid1(SALU_CYCLE_1)
	v_lshl_or_b32 v11, v11, 4, v10
	ds_add_u32 v11, v98
	s_or_b32 exec_lo, exec_lo, s8
	s_mov_b32 s8, exec_lo
	v_cmpx_lt_u32_e64 v60, v0
	s_cbranch_execnz .LBB1051_943
.LBB1051_958:                           ;   in Loop: Header=BB1051_908 Depth=2
	s_or_b32 exec_lo, exec_lo, s8
	s_delay_alu instid0(SALU_CYCLE_1)
	s_mov_b32 s8, exec_lo
	v_cmpx_lt_u32_e64 v61, v0
	s_cbranch_execz .LBB1051_944
.LBB1051_959:                           ;   in Loop: Header=BB1051_908 Depth=2
	s_waitcnt vmcnt(5)
	v_lshrrev_b32_e32 v11, 16, v7
	s_delay_alu instid0(VALU_DEP_1) | instskip(NEXT) | instid1(VALU_DEP_1)
	v_xor_b32_e32 v11, 0xffff8000, v11
	v_and_b32_e32 v11, 0xffff, v11
	s_delay_alu instid0(VALU_DEP_1) | instskip(NEXT) | instid1(VALU_DEP_1)
	v_lshrrev_b32_e32 v11, s57, v11
	v_and_b32_e32 v11, s43, v11
	s_delay_alu instid0(VALU_DEP_1) | instskip(SKIP_2) | instid1(SALU_CYCLE_1)
	v_lshl_or_b32 v11, v11, 4, v10
	ds_add_u32 v11, v98
	s_or_b32 exec_lo, exec_lo, s8
	s_mov_b32 s8, exec_lo
	v_cmpx_lt_u32_e64 v62, v0
	s_cbranch_execnz .LBB1051_945
.LBB1051_960:                           ;   in Loop: Header=BB1051_908 Depth=2
	s_or_b32 exec_lo, exec_lo, s8
	s_delay_alu instid0(SALU_CYCLE_1)
	s_mov_b32 s8, exec_lo
	v_cmpx_lt_u32_e64 v63, v0
	s_cbranch_execz .LBB1051_946
.LBB1051_961:                           ;   in Loop: Header=BB1051_908 Depth=2
	s_waitcnt vmcnt(5)
	v_lshrrev_b32_e32 v11, 16, v8
	s_delay_alu instid0(VALU_DEP_1) | instskip(NEXT) | instid1(VALU_DEP_1)
	v_xor_b32_e32 v11, 0xffff8000, v11
	v_and_b32_e32 v11, 0xffff, v11
	s_delay_alu instid0(VALU_DEP_1) | instskip(NEXT) | instid1(VALU_DEP_1)
	v_lshrrev_b32_e32 v11, s57, v11
	v_and_b32_e32 v11, s43, v11
	s_delay_alu instid0(VALU_DEP_1) | instskip(SKIP_2) | instid1(SALU_CYCLE_1)
	v_lshl_or_b32 v11, v11, 4, v10
	ds_add_u32 v11, v98
	s_or_b32 exec_lo, exec_lo, s8
	s_mov_b32 s8, exec_lo
	v_cmpx_lt_u32_e64 v64, v0
	s_cbranch_execnz .LBB1051_947
.LBB1051_962:                           ;   in Loop: Header=BB1051_908 Depth=2
	s_or_b32 exec_lo, exec_lo, s8
	s_delay_alu instid0(SALU_CYCLE_1)
	s_mov_b32 s8, exec_lo
	v_cmpx_lt_u32_e64 v66, v0
	s_cbranch_execz .LBB1051_907
.LBB1051_963:                           ;   in Loop: Header=BB1051_908 Depth=2
	v_lshrrev_b32_e32 v0, 16, v9
	s_delay_alu instid0(VALU_DEP_1) | instskip(NEXT) | instid1(VALU_DEP_1)
	v_xor_b32_e32 v0, 0xffff8000, v0
	v_and_b32_e32 v0, 0xffff, v0
	s_delay_alu instid0(VALU_DEP_1) | instskip(NEXT) | instid1(VALU_DEP_1)
	v_lshrrev_b32_e32 v0, s57, v0
	v_and_b32_e32 v0, s43, v0
	s_delay_alu instid0(VALU_DEP_1)
	v_lshl_or_b32 v0, v0, 4, v10
	ds_add_u32 v0, v98
	s_branch .LBB1051_907
.LBB1051_964:                           ;   in Loop: Header=BB1051_908 Depth=2
	s_or_b32 exec_lo, exec_lo, s11
	s_delay_alu instid0(SALU_CYCLE_1)
	s_mov_b32 s11, exec_lo
	v_cmpx_gt_u32_e64 s1, v48
	s_cbranch_execz .LBB1051_914
.LBB1051_965:                           ;   in Loop: Header=BB1051_908 Depth=2
	global_load_d16_hi_b16 v2, v99, s[8:9] offset:512
	s_or_b32 exec_lo, exec_lo, s11
	s_delay_alu instid0(SALU_CYCLE_1)
	s_mov_b32 s11, exec_lo
	v_cmpx_gt_u32_e64 s1, v49
	s_cbranch_execnz .LBB1051_915
.LBB1051_966:                           ;   in Loop: Header=BB1051_908 Depth=2
	s_or_b32 exec_lo, exec_lo, s11
	s_delay_alu instid0(SALU_CYCLE_1)
	s_mov_b32 s11, exec_lo
	v_cmpx_gt_u32_e64 s1, v50
	s_cbranch_execz .LBB1051_916
.LBB1051_967:                           ;   in Loop: Header=BB1051_908 Depth=2
	global_load_d16_hi_b16 v3, v99, s[8:9] offset:1536
	s_or_b32 exec_lo, exec_lo, s11
	s_delay_alu instid0(SALU_CYCLE_1)
	s_mov_b32 s11, exec_lo
	v_cmpx_gt_u32_e64 s1, v54
	s_cbranch_execnz .LBB1051_917
.LBB1051_968:                           ;   in Loop: Header=BB1051_908 Depth=2
	s_or_b32 exec_lo, exec_lo, s11
	s_delay_alu instid0(SALU_CYCLE_1)
	s_mov_b32 s11, exec_lo
	v_cmpx_gt_u32_e64 s1, v55
	s_cbranch_execz .LBB1051_918
.LBB1051_969:                           ;   in Loop: Header=BB1051_908 Depth=2
	global_load_d16_hi_b16 v4, v99, s[8:9] offset:2560
	s_or_b32 exec_lo, exec_lo, s11
	s_delay_alu instid0(SALU_CYCLE_1)
	s_mov_b32 s11, exec_lo
	v_cmpx_gt_u32_e64 s1, v56
	s_cbranch_execnz .LBB1051_919
.LBB1051_970:                           ;   in Loop: Header=BB1051_908 Depth=2
	s_or_b32 exec_lo, exec_lo, s11
	s_delay_alu instid0(SALU_CYCLE_1)
	s_mov_b32 s11, exec_lo
	v_cmpx_gt_u32_e64 s1, v57
	s_cbranch_execz .LBB1051_920
.LBB1051_971:                           ;   in Loop: Header=BB1051_908 Depth=2
	global_load_d16_hi_b16 v5, v99, s[8:9] offset:3584
	s_or_b32 exec_lo, exec_lo, s11
	s_delay_alu instid0(SALU_CYCLE_1)
	s_mov_b32 s11, exec_lo
	v_cmpx_gt_u32_e64 s1, v58
	s_cbranch_execnz .LBB1051_921
.LBB1051_972:                           ;   in Loop: Header=BB1051_908 Depth=2
	s_or_b32 exec_lo, exec_lo, s11
	s_delay_alu instid0(SALU_CYCLE_1)
	s_mov_b32 s11, exec_lo
	v_cmpx_gt_u32_e64 s1, v59
	s_cbranch_execz .LBB1051_922
.LBB1051_973:                           ;   in Loop: Header=BB1051_908 Depth=2
	v_lshlrev_b32_e32 v0, 1, v59
	global_load_d16_hi_b16 v6, v0, s[8:9]
	s_or_b32 exec_lo, exec_lo, s11
	s_delay_alu instid0(SALU_CYCLE_1)
	s_mov_b32 s11, exec_lo
	v_cmpx_gt_u32_e64 s1, v60
	s_cbranch_execnz .LBB1051_923
.LBB1051_974:                           ;   in Loop: Header=BB1051_908 Depth=2
	s_or_b32 exec_lo, exec_lo, s11
	s_delay_alu instid0(SALU_CYCLE_1)
	s_mov_b32 s11, exec_lo
	v_cmpx_gt_u32_e64 s1, v61
	s_cbranch_execz .LBB1051_924
.LBB1051_975:                           ;   in Loop: Header=BB1051_908 Depth=2
	v_lshlrev_b32_e32 v0, 1, v61
	global_load_d16_hi_b16 v7, v0, s[8:9]
	s_or_b32 exec_lo, exec_lo, s11
	s_delay_alu instid0(SALU_CYCLE_1)
	s_mov_b32 s11, exec_lo
	v_cmpx_gt_u32_e64 s1, v62
	s_cbranch_execnz .LBB1051_925
.LBB1051_976:                           ;   in Loop: Header=BB1051_908 Depth=2
	s_or_b32 exec_lo, exec_lo, s11
	s_delay_alu instid0(SALU_CYCLE_1)
	s_mov_b32 s11, exec_lo
	v_cmpx_gt_u32_e64 s1, v63
	s_cbranch_execz .LBB1051_926
.LBB1051_977:                           ;   in Loop: Header=BB1051_908 Depth=2
	v_lshlrev_b32_e32 v0, 1, v63
	global_load_d16_hi_b16 v8, v0, s[8:9]
	s_or_b32 exec_lo, exec_lo, s11
	s_delay_alu instid0(SALU_CYCLE_1)
	s_mov_b32 s11, exec_lo
	v_cmpx_gt_u32_e64 s1, v64
	s_cbranch_execz .LBB1051_928
	s_branch .LBB1051_927
.LBB1051_978:                           ;   in Loop: Header=BB1051_20 Depth=1
	v_mov_b32_e32 v0, 0
	s_waitcnt vmcnt(0) lgkmcnt(0)
	s_barrier
	buffer_gl0_inv
	s_and_saveexec_b32 s1, s2
	s_cbranch_execz .LBB1051_980
; %bb.979:                              ;   in Loop: Header=BB1051_20 Depth=1
	ds_load_2addr_b64 v[2:5], v67 offset1:1
	s_waitcnt lgkmcnt(0)
	v_add_nc_u32_e32 v0, v3, v2
	s_delay_alu instid0(VALU_DEP_1)
	v_add3_u32 v0, v0, v4, v5
.LBB1051_980:                           ;   in Loop: Header=BB1051_20 Depth=1
	s_or_b32 exec_lo, exec_lo, s1
	v_and_b32_e32 v2, 15, v100
	s_delay_alu instid0(VALU_DEP_2) | instskip(SKIP_1) | instid1(VALU_DEP_3)
	v_mov_b32_dpp v3, v0 row_shr:1 row_mask:0xf bank_mask:0xf
	v_and_b32_e32 v4, 16, v100
	v_cmp_eq_u32_e64 s1, 0, v2
	v_cmp_lt_u32_e64 s7, 1, v2
	v_cmp_lt_u32_e64 s8, 3, v2
	;; [unrolled: 1-line block ×3, first 2 shown]
	v_cmp_eq_u32_e64 s10, 0, v4
	v_cndmask_b32_e64 v3, v3, 0, s1
	s_delay_alu instid0(VALU_DEP_1) | instskip(NEXT) | instid1(VALU_DEP_1)
	v_add_nc_u32_e32 v0, v3, v0
	v_mov_b32_dpp v3, v0 row_shr:2 row_mask:0xf bank_mask:0xf
	s_delay_alu instid0(VALU_DEP_1) | instskip(NEXT) | instid1(VALU_DEP_1)
	v_cndmask_b32_e64 v3, 0, v3, s7
	v_add_nc_u32_e32 v0, v0, v3
	s_delay_alu instid0(VALU_DEP_1) | instskip(NEXT) | instid1(VALU_DEP_1)
	v_mov_b32_dpp v3, v0 row_shr:4 row_mask:0xf bank_mask:0xf
	v_cndmask_b32_e64 v3, 0, v3, s8
	s_delay_alu instid0(VALU_DEP_1) | instskip(NEXT) | instid1(VALU_DEP_1)
	v_add_nc_u32_e32 v0, v0, v3
	v_mov_b32_dpp v3, v0 row_shr:8 row_mask:0xf bank_mask:0xf
	s_delay_alu instid0(VALU_DEP_1) | instskip(SKIP_1) | instid1(VALU_DEP_2)
	v_cndmask_b32_e64 v2, 0, v3, s9
	v_bfe_i32 v3, v100, 4, 1
	v_add_nc_u32_e32 v0, v0, v2
	ds_swizzle_b32 v2, v0 offset:swizzle(BROADCAST,32,15)
	s_waitcnt lgkmcnt(0)
	v_and_b32_e32 v2, v3, v2
	s_delay_alu instid0(VALU_DEP_1)
	v_add_nc_u32_e32 v2, v0, v2
	s_and_saveexec_b32 s11, s3
	s_cbranch_execz .LBB1051_982
; %bb.981:                              ;   in Loop: Header=BB1051_20 Depth=1
	ds_store_b32 v68, v2
.LBB1051_982:                           ;   in Loop: Header=BB1051_20 Depth=1
	s_or_b32 exec_lo, exec_lo, s11
	v_and_b32_e32 v0, 7, v100
	s_waitcnt lgkmcnt(0)
	s_barrier
	buffer_gl0_inv
	s_and_saveexec_b32 s11, s4
	s_cbranch_execz .LBB1051_984
; %bb.983:                              ;   in Loop: Header=BB1051_20 Depth=1
	ds_load_b32 v3, v69
	v_cmp_ne_u32_e32 vcc_lo, 0, v0
	s_waitcnt lgkmcnt(0)
	v_mov_b32_dpp v4, v3 row_shr:1 row_mask:0xf bank_mask:0xf
	s_delay_alu instid0(VALU_DEP_1) | instskip(SKIP_1) | instid1(VALU_DEP_2)
	v_cndmask_b32_e32 v4, 0, v4, vcc_lo
	v_cmp_lt_u32_e32 vcc_lo, 1, v0
	v_add_nc_u32_e32 v3, v4, v3
	s_delay_alu instid0(VALU_DEP_1) | instskip(NEXT) | instid1(VALU_DEP_1)
	v_mov_b32_dpp v4, v3 row_shr:2 row_mask:0xf bank_mask:0xf
	v_cndmask_b32_e32 v4, 0, v4, vcc_lo
	v_cmp_lt_u32_e32 vcc_lo, 3, v0
	s_delay_alu instid0(VALU_DEP_2) | instskip(NEXT) | instid1(VALU_DEP_1)
	v_add_nc_u32_e32 v3, v3, v4
	v_mov_b32_dpp v4, v3 row_shr:4 row_mask:0xf bank_mask:0xf
	s_delay_alu instid0(VALU_DEP_1) | instskip(NEXT) | instid1(VALU_DEP_1)
	v_cndmask_b32_e32 v4, 0, v4, vcc_lo
	v_add_nc_u32_e32 v3, v3, v4
	ds_store_b32 v69, v3
.LBB1051_984:                           ;   in Loop: Header=BB1051_20 Depth=1
	s_or_b32 exec_lo, exec_lo, s11
	v_mov_b32_e32 v3, 0
	s_waitcnt lgkmcnt(0)
	s_barrier
	buffer_gl0_inv
	s_and_saveexec_b32 s11, s5
	s_cbranch_execz .LBB1051_986
; %bb.985:                              ;   in Loop: Header=BB1051_20 Depth=1
	ds_load_b32 v3, v70
.LBB1051_986:                           ;   in Loop: Header=BB1051_20 Depth=1
	s_or_b32 exec_lo, exec_lo, s11
	v_add_nc_u32_e32 v4, -1, v100
	s_waitcnt lgkmcnt(0)
	v_add_nc_u32_e32 v2, v3, v2
	v_cmp_eq_u32_e64 s11, 0, v100
	s_barrier
	v_cmp_gt_i32_e32 vcc_lo, 0, v4
	buffer_gl0_inv
	v_cndmask_b32_e32 v4, v4, v100, vcc_lo
	s_delay_alu instid0(VALU_DEP_1)
	v_lshlrev_b32_e32 v101, 2, v4
	ds_bpermute_b32 v2, v101, v2
	s_and_saveexec_b32 s12, s2
	s_cbranch_execz .LBB1051_988
; %bb.987:                              ;   in Loop: Header=BB1051_20 Depth=1
	s_waitcnt lgkmcnt(0)
	v_cndmask_b32_e64 v2, v2, v3, s11
	s_delay_alu instid0(VALU_DEP_1)
	v_add_nc_u32_e32 v2, s62, v2
	ds_store_b32 v47, v2
.LBB1051_988:                           ;   in Loop: Header=BB1051_20 Depth=1
	s_or_b32 exec_lo, exec_lo, s12
	s_load_b64 s[12:13], s[60:61], 0x0
	v_lshlrev_b32_e32 v3, 3, v100
	v_or_b32_e32 v102, v100, v71
	s_mov_b32 s56, s64
	s_mov_b32 s34, s62
                                        ; implicit-def: $vgpr10_vgpr11
                                        ; implicit-def: $vgpr12_vgpr13
                                        ; implicit-def: $vgpr14_vgpr15
                                        ; implicit-def: $vgpr16_vgpr17
                                        ; implicit-def: $vgpr21_vgpr22
                                        ; implicit-def: $vgpr23_vgpr24
                                        ; implicit-def: $vgpr25_vgpr26
                                        ; implicit-def: $vgpr27_vgpr28
                                        ; implicit-def: $vgpr29_vgpr30
                                        ; implicit-def: $vgpr31_vgpr32
                                        ; implicit-def: $vgpr33_vgpr34
                                        ; implicit-def: $vgpr35_vgpr36
                                        ; implicit-def: $vgpr37_vgpr38
                                        ; implicit-def: $vgpr39_vgpr40
                                        ; implicit-def: $vgpr41_vgpr42
                                        ; implicit-def: $vgpr43_vgpr44
                                        ; implicit-def: $vgpr125
                                        ; implicit-def: $vgpr126
                                        ; implicit-def: $vgpr127
                                        ; implicit-def: $vgpr128
                                        ; implicit-def: $vgpr129
                                        ; implicit-def: $vgpr130
                                        ; implicit-def: $vgpr131
                                        ; implicit-def: $vgpr132
                                        ; implicit-def: $vgpr133
                                        ; implicit-def: $vgpr134
                                        ; implicit-def: $vgpr135
                                        ; implicit-def: $vgpr136
                                        ; implicit-def: $vgpr137
                                        ; implicit-def: $vgpr138
                                        ; implicit-def: $vgpr139
                                        ; implicit-def: $vgpr140
                                        ; implicit-def: $vgpr9
	s_delay_alu instid0(VALU_DEP_2)
	v_add_co_u32 v103, vcc_lo, v94, v3
	v_add_co_ci_u32_e32 v104, vcc_lo, 0, v95, vcc_lo
	v_or_b32_e32 v105, 32, v102
	v_or_b32_e32 v106, 64, v102
	;; [unrolled: 1-line block ×10, first 2 shown]
	s_waitcnt lgkmcnt(0)
	s_cmp_lt_u32 s15, s13
	v_or_b32_e32 v115, 0x160, v102
	s_cselect_b32 s13, 14, 20
	v_or_b32_e32 v116, 0x180, v102
	s_add_u32 s16, s60, s13
	s_addc_u32 s17, s61, 0
	s_cmp_lt_u32 s14, s12
	global_load_u16 v2, v20, s[16:17]
	s_cselect_b32 s12, 12, 18
	v_or_b32_e32 v117, 0x1a0, v102
	s_add_u32 s12, s60, s12
	s_addc_u32 s13, s61, 0
	v_or_b32_e32 v118, 0x1c0, v102
	global_load_u16 v4, v20, s[12:13]
	v_cmp_eq_u32_e64 s12, 0, v0
	v_cmp_lt_u32_e64 s13, 1, v0
	v_cmp_lt_u32_e64 s16, 3, v0
	v_lshlrev_b32_e32 v0, 1, v100
	v_or_b32_e32 v119, 0x1e0, v102
	s_delay_alu instid0(VALU_DEP_2) | instskip(SKIP_1) | instid1(VALU_DEP_2)
	v_add_co_u32 v120, vcc_lo, v96, v0
	v_add_co_ci_u32_e32 v121, vcc_lo, 0, v97, vcc_lo
	v_add_co_u32 v123, vcc_lo, 0x3c0, v120
	s_delay_alu instid0(VALU_DEP_2) | instskip(SKIP_3) | instid1(VALU_DEP_1)
	v_add_co_ci_u32_e32 v124, vcc_lo, 0, v121, vcc_lo
	s_waitcnt vmcnt(1)
	v_mad_u32_u24 v5, v72, v2, v74
	s_waitcnt vmcnt(0)
	v_mad_u64_u32 v[2:3], null, v5, v4, v[18:19]
	s_delay_alu instid0(VALU_DEP_1)
	v_lshrrev_b32_e32 v122, 5, v2
	s_branch .LBB1051_990
.LBB1051_989:                           ;   in Loop: Header=BB1051_990 Depth=2
	s_or_b32 exec_lo, exec_lo, s17
	s_addk_i32 s56, 0xf000
	s_cmp_lt_u32 s65, s63
	s_mov_b32 s34, s65
	s_cbranch_scc0 .LBB1051_18
.LBB1051_990:                           ;   Parent Loop BB1051_20 Depth=1
                                        ; =>  This Inner Loop Header: Depth=2
	s_add_i32 s65, s34, 0x1000
	s_delay_alu instid0(SALU_CYCLE_1)
	s_cmp_gt_u32 s65, s63
	s_cbranch_scc1 .LBB1051_992
; %bb.991:                              ;   in Loop: Header=BB1051_990 Depth=2
	s_mov_b32 s19, 0
	s_mov_b32 s18, s34
	s_movk_i32 s17, 0x1000
	s_lshl_b64 s[20:21], s[18:19], 1
	s_delay_alu instid0(SALU_CYCLE_1)
	v_add_co_u32 v45, vcc_lo, v120, s20
	v_add_co_ci_u32_e32 v46, vcc_lo, s21, v121, vcc_lo
	s_mov_b32 s20, -1
	s_clause 0xe
	global_load_u16 v2, v[45:46], off
	global_load_u16 v3, v[45:46], off offset:128
	global_load_u16 v4, v[45:46], off offset:256
	;; [unrolled: 1-line block ×6, first 2 shown]
	global_load_d16_b16 v9, v[45:46], off offset:896
	global_load_d16_hi_b16 v2, v[45:46], off offset:64
	global_load_d16_hi_b16 v3, v[45:46], off offset:192
	;; [unrolled: 1-line block ×7, first 2 shown]
	s_cbranch_execz .LBB1051_993
	s_branch .LBB1051_1010
.LBB1051_992:                           ;   in Loop: Header=BB1051_990 Depth=2
	s_mov_b32 s19, -1
	s_mov_b32 s20, 0
                                        ; implicit-def: $sgpr17
                                        ; implicit-def: $vgpr2_vgpr3_vgpr4_vgpr5_vgpr6_vgpr7_vgpr8_vgpr9
.LBB1051_993:                           ;   in Loop: Header=BB1051_990 Depth=2
	s_lshl_b64 s[18:19], s[34:35], 1
	s_mov_b32 s45, s44
	v_add_co_u32 v45, vcc_lo, v120, s18
	s_mov_b32 s46, s44
	s_mov_b32 s47, s44
	;; [unrolled: 1-line block ×6, first 2 shown]
	s_waitcnt vmcnt(0)
	v_dual_mov_b32 v2, s44 :: v_dual_mov_b32 v3, s45
	v_add_co_ci_u32_e32 v46, vcc_lo, s19, v121, vcc_lo
	v_dual_mov_b32 v4, s46 :: v_dual_mov_b32 v5, s47
	v_dual_mov_b32 v6, s48 :: v_dual_mov_b32 v7, s49
	;; [unrolled: 1-line block ×3, first 2 shown]
	s_mov_b32 s17, exec_lo
	v_cmpx_gt_u32_e64 s56, v102
	s_cbranch_execz .LBB1051_1184
; %bb.994:                              ;   in Loop: Header=BB1051_990 Depth=2
	v_dual_mov_b32 v0, 0x7fff0000 :: v_dual_mov_b32 v3, v1
	v_mov_b32_e32 v7, v1
	v_mov_b32_e32 v2, v1
	;; [unrolled: 1-line block ×3, first 2 shown]
	global_load_d16_b16 v0, v[45:46], off
	v_mov_b32_e32 v5, v1
	v_mov_b32_e32 v6, v1
	s_waitcnt vmcnt(0)
	v_mov_b32_e32 v9, v7
	s_delay_alu instid0(VALU_DEP_2)
	v_dual_mov_b32 v8, v6 :: v_dual_mov_b32 v7, v5
	v_mov_b32_e32 v6, v4
	v_mov_b32_e32 v5, v3
	;; [unrolled: 1-line block ×5, first 2 shown]
	s_or_b32 exec_lo, exec_lo, s17
	s_delay_alu instid0(SALU_CYCLE_1)
	s_mov_b32 s17, exec_lo
	v_cmpx_gt_u32_e64 s56, v105
	s_cbranch_execnz .LBB1051_1185
.LBB1051_995:                           ;   in Loop: Header=BB1051_990 Depth=2
	s_or_b32 exec_lo, exec_lo, s17
	s_delay_alu instid0(SALU_CYCLE_1)
	s_mov_b32 s17, exec_lo
	v_cmpx_gt_u32_e64 s56, v106
	s_cbranch_execz .LBB1051_1186
.LBB1051_996:                           ;   in Loop: Header=BB1051_990 Depth=2
	global_load_d16_b16 v3, v[45:46], off offset:128
	s_or_b32 exec_lo, exec_lo, s17
	s_delay_alu instid0(SALU_CYCLE_1)
	s_mov_b32 s17, exec_lo
	v_cmpx_gt_u32_e64 s56, v107
	s_cbranch_execnz .LBB1051_1187
.LBB1051_997:                           ;   in Loop: Header=BB1051_990 Depth=2
	s_or_b32 exec_lo, exec_lo, s17
	s_delay_alu instid0(SALU_CYCLE_1)
	s_mov_b32 s17, exec_lo
	v_cmpx_gt_u32_e64 s56, v108
	s_cbranch_execz .LBB1051_1188
.LBB1051_998:                           ;   in Loop: Header=BB1051_990 Depth=2
	global_load_d16_b16 v4, v[45:46], off offset:256
	s_or_b32 exec_lo, exec_lo, s17
	s_delay_alu instid0(SALU_CYCLE_1)
	s_mov_b32 s17, exec_lo
	v_cmpx_gt_u32_e64 s56, v109
	s_cbranch_execnz .LBB1051_1189
.LBB1051_999:                           ;   in Loop: Header=BB1051_990 Depth=2
	s_or_b32 exec_lo, exec_lo, s17
	s_delay_alu instid0(SALU_CYCLE_1)
	s_mov_b32 s17, exec_lo
	v_cmpx_gt_u32_e64 s56, v110
	s_cbranch_execz .LBB1051_1190
.LBB1051_1000:                          ;   in Loop: Header=BB1051_990 Depth=2
	global_load_d16_b16 v5, v[45:46], off offset:384
	s_or_b32 exec_lo, exec_lo, s17
	s_delay_alu instid0(SALU_CYCLE_1)
	s_mov_b32 s17, exec_lo
	v_cmpx_gt_u32_e64 s56, v111
	s_cbranch_execnz .LBB1051_1191
.LBB1051_1001:                          ;   in Loop: Header=BB1051_990 Depth=2
	s_or_b32 exec_lo, exec_lo, s17
	s_delay_alu instid0(SALU_CYCLE_1)
	s_mov_b32 s17, exec_lo
	v_cmpx_gt_u32_e64 s56, v112
	s_cbranch_execz .LBB1051_1192
.LBB1051_1002:                          ;   in Loop: Header=BB1051_990 Depth=2
	global_load_d16_b16 v6, v[45:46], off offset:512
	s_or_b32 exec_lo, exec_lo, s17
	s_delay_alu instid0(SALU_CYCLE_1)
	s_mov_b32 s17, exec_lo
	v_cmpx_gt_u32_e64 s56, v113
	s_cbranch_execnz .LBB1051_1193
.LBB1051_1003:                          ;   in Loop: Header=BB1051_990 Depth=2
	s_or_b32 exec_lo, exec_lo, s17
	s_delay_alu instid0(SALU_CYCLE_1)
	s_mov_b32 s17, exec_lo
	v_cmpx_gt_u32_e64 s56, v114
	s_cbranch_execz .LBB1051_1194
.LBB1051_1004:                          ;   in Loop: Header=BB1051_990 Depth=2
	global_load_d16_b16 v7, v[45:46], off offset:640
	s_or_b32 exec_lo, exec_lo, s17
	s_delay_alu instid0(SALU_CYCLE_1)
	s_mov_b32 s17, exec_lo
	v_cmpx_gt_u32_e64 s56, v115
	s_cbranch_execnz .LBB1051_1195
.LBB1051_1005:                          ;   in Loop: Header=BB1051_990 Depth=2
	s_or_b32 exec_lo, exec_lo, s17
	s_delay_alu instid0(SALU_CYCLE_1)
	s_mov_b32 s17, exec_lo
	v_cmpx_gt_u32_e64 s56, v116
	s_cbranch_execz .LBB1051_1196
.LBB1051_1006:                          ;   in Loop: Header=BB1051_990 Depth=2
	global_load_d16_b16 v8, v[45:46], off offset:768
	s_or_b32 exec_lo, exec_lo, s17
	s_delay_alu instid0(SALU_CYCLE_1)
	s_mov_b32 s17, exec_lo
	v_cmpx_gt_u32_e64 s56, v117
	s_cbranch_execnz .LBB1051_1197
.LBB1051_1007:                          ;   in Loop: Header=BB1051_990 Depth=2
	s_or_b32 exec_lo, exec_lo, s17
	s_delay_alu instid0(SALU_CYCLE_1)
	s_mov_b32 s17, exec_lo
	v_cmpx_gt_u32_e64 s56, v118
	s_cbranch_execz .LBB1051_1009
.LBB1051_1008:                          ;   in Loop: Header=BB1051_990 Depth=2
	global_load_d16_b16 v9, v[45:46], off offset:896
.LBB1051_1009:                          ;   in Loop: Header=BB1051_990 Depth=2
	s_or_b32 exec_lo, exec_lo, s17
	v_cmp_gt_u32_e64 s20, s56, v119
	s_sub_i32 s17, s63, s34
	s_mov_b64 s[18:19], s[34:35]
.LBB1051_1010:                          ;   in Loop: Header=BB1051_990 Depth=2
	v_mov_b32_e32 v0, s56
	s_delay_alu instid0(VALU_DEP_2)
	s_and_saveexec_b32 s21, s20
	s_cbranch_execz .LBB1051_1012
; %bb.1011:                             ;   in Loop: Header=BB1051_990 Depth=2
	s_lshl_b64 s[18:19], s[18:19], 1
	v_mov_b32_e32 v0, s17
	v_add_co_u32 v45, vcc_lo, v123, s18
	v_add_co_ci_u32_e32 v46, vcc_lo, s19, v124, vcc_lo
	global_load_d16_hi_b16 v9, v[45:46], off
.LBB1051_1012:                          ;   in Loop: Header=BB1051_990 Depth=2
	s_or_b32 exec_lo, exec_lo, s21
	s_waitcnt vmcnt(0)
	v_xor_b32_e32 v19, 0x80008000, v2
	ds_store_b32 v73, v20 offset:1056
	ds_store_2addr_b32 v75, v20, v20 offset0:1 offset1:2
	ds_store_2addr_b32 v75, v20, v20 offset0:3 offset1:4
	;; [unrolled: 1-line block ×4, first 2 shown]
	s_waitcnt lgkmcnt(0)
	s_barrier
	v_and_b32_e32 v2, 0xffff, v19
	buffer_gl0_inv
	; wave barrier
	v_lshrrev_b32_e32 v2, s57, v2
	s_delay_alu instid0(VALU_DEP_1) | instskip(NEXT) | instid1(VALU_DEP_1)
	v_and_b32_e32 v45, s43, v2
	v_and_b32_e32 v2, 1, v45
	v_lshlrev_b32_e32 v46, 30, v45
	v_lshlrev_b32_e32 v141, 29, v45
	;; [unrolled: 1-line block ×4, first 2 shown]
	v_add_co_u32 v2, s17, v2, -1
	s_delay_alu instid0(VALU_DEP_1)
	v_cndmask_b32_e64 v143, 0, 1, s17
	v_not_b32_e32 v147, v46
	v_cmp_gt_i32_e64 s17, 0, v46
	v_not_b32_e32 v46, v141
	v_lshlrev_b32_e32 v145, 26, v45
	v_cmp_ne_u32_e32 vcc_lo, 0, v143
	v_ashrrev_i32_e32 v147, 31, v147
	v_lshlrev_b32_e32 v146, 25, v45
	v_ashrrev_i32_e32 v46, 31, v46
	v_lshlrev_b32_e32 v143, 24, v45
	v_xor_b32_e32 v2, vcc_lo, v2
	v_cmp_gt_i32_e32 vcc_lo, 0, v141
	v_not_b32_e32 v141, v142
	v_xor_b32_e32 v147, s17, v147
	v_cmp_gt_i32_e64 s17, 0, v142
	v_and_b32_e32 v2, exec_lo, v2
	v_not_b32_e32 v142, v144
	v_ashrrev_i32_e32 v141, 31, v141
	v_xor_b32_e32 v46, vcc_lo, v46
	v_cmp_gt_i32_e32 vcc_lo, 0, v144
	v_and_b32_e32 v2, v2, v147
	v_not_b32_e32 v144, v145
	v_ashrrev_i32_e32 v142, 31, v142
	v_xor_b32_e32 v141, s17, v141
	v_cmp_gt_i32_e64 s17, 0, v145
	v_and_b32_e32 v2, v2, v46
	v_not_b32_e32 v46, v146
	v_ashrrev_i32_e32 v144, 31, v144
	v_xor_b32_e32 v142, vcc_lo, v142
	v_cmp_gt_i32_e32 vcc_lo, 0, v146
	v_and_b32_e32 v2, v2, v141
	v_not_b32_e32 v141, v143
	v_ashrrev_i32_e32 v46, 31, v46
	v_xor_b32_e32 v144, s17, v144
	v_cmp_gt_i32_e64 s17, 0, v143
	v_and_b32_e32 v2, v2, v142
	v_ashrrev_i32_e32 v141, 31, v141
	v_xor_b32_e32 v46, vcc_lo, v46
	v_mad_u32_u24 v45, v45, 9, v122
	s_delay_alu instid0(VALU_DEP_4) | instskip(NEXT) | instid1(VALU_DEP_4)
	v_and_b32_e32 v2, v2, v144
	v_xor_b32_e32 v141, s17, v141
	s_delay_alu instid0(VALU_DEP_3) | instskip(NEXT) | instid1(VALU_DEP_3)
	v_lshl_add_u32 v143, v45, 2, 0x420
	v_and_b32_e32 v2, v2, v46
	s_delay_alu instid0(VALU_DEP_1) | instskip(NEXT) | instid1(VALU_DEP_1)
	v_and_b32_e32 v2, v2, v141
	v_mbcnt_lo_u32_b32 v141, v2, 0
	v_cmp_ne_u32_e64 s17, 0, v2
	s_delay_alu instid0(VALU_DEP_2) | instskip(NEXT) | instid1(VALU_DEP_2)
	v_cmp_eq_u32_e32 vcc_lo, 0, v141
	s_and_b32 s18, s17, vcc_lo
	s_delay_alu instid0(SALU_CYCLE_1)
	s_and_saveexec_b32 s17, s18
	s_cbranch_execz .LBB1051_1014
; %bb.1013:                             ;   in Loop: Header=BB1051_990 Depth=2
	v_bcnt_u32_b32 v2, v2, 0
	ds_store_b32 v143, v2
.LBB1051_1014:                          ;   in Loop: Header=BB1051_990 Depth=2
	s_or_b32 exec_lo, exec_lo, s17
	v_lshrrev_b32_e32 v142, 16, v19
	; wave barrier
	s_delay_alu instid0(VALU_DEP_1) | instskip(NEXT) | instid1(VALU_DEP_1)
	v_lshrrev_b32_e32 v2, s57, v142
	v_and_b32_e32 v2, s43, v2
	s_delay_alu instid0(VALU_DEP_1)
	v_and_b32_e32 v45, 1, v2
	v_lshlrev_b32_e32 v46, 30, v2
	v_lshlrev_b32_e32 v144, 29, v2
	;; [unrolled: 1-line block ×4, first 2 shown]
	v_add_co_u32 v45, s17, v45, -1
	s_delay_alu instid0(VALU_DEP_1)
	v_cndmask_b32_e64 v146, 0, 1, s17
	v_not_b32_e32 v150, v46
	v_cmp_gt_i32_e64 s17, 0, v46
	v_not_b32_e32 v46, v144
	v_lshlrev_b32_e32 v148, 26, v2
	v_cmp_ne_u32_e32 vcc_lo, 0, v146
	v_ashrrev_i32_e32 v150, 31, v150
	v_lshlrev_b32_e32 v149, 25, v2
	v_ashrrev_i32_e32 v46, 31, v46
	v_lshlrev_b32_e32 v146, 24, v2
	v_xor_b32_e32 v45, vcc_lo, v45
	v_cmp_gt_i32_e32 vcc_lo, 0, v144
	v_not_b32_e32 v144, v145
	v_xor_b32_e32 v150, s17, v150
	v_cmp_gt_i32_e64 s17, 0, v145
	v_and_b32_e32 v45, exec_lo, v45
	v_not_b32_e32 v145, v147
	v_ashrrev_i32_e32 v144, 31, v144
	v_xor_b32_e32 v46, vcc_lo, v46
	v_cmp_gt_i32_e32 vcc_lo, 0, v147
	v_and_b32_e32 v45, v45, v150
	v_not_b32_e32 v147, v148
	v_ashrrev_i32_e32 v145, 31, v145
	v_xor_b32_e32 v144, s17, v144
	v_cmp_gt_i32_e64 s17, 0, v148
	v_and_b32_e32 v45, v45, v46
	v_not_b32_e32 v46, v149
	v_ashrrev_i32_e32 v147, 31, v147
	v_xor_b32_e32 v145, vcc_lo, v145
	v_cmp_gt_i32_e32 vcc_lo, 0, v149
	v_and_b32_e32 v45, v45, v144
	v_not_b32_e32 v144, v146
	v_ashrrev_i32_e32 v46, 31, v46
	v_xor_b32_e32 v147, s17, v147
	v_mul_u32_u24_e32 v2, 9, v2
	v_and_b32_e32 v45, v45, v145
	v_cmp_gt_i32_e64 s17, 0, v146
	v_ashrrev_i32_e32 v144, 31, v144
	v_xor_b32_e32 v46, vcc_lo, v46
	s_delay_alu instid0(VALU_DEP_4) | instskip(SKIP_1) | instid1(VALU_DEP_4)
	v_and_b32_e32 v45, v45, v147
	v_add_lshl_u32 v147, v2, v122, 2
	v_xor_b32_e32 v2, s17, v144
	s_delay_alu instid0(VALU_DEP_3) | instskip(SKIP_3) | instid1(VALU_DEP_1)
	v_and_b32_e32 v45, v45, v46
	ds_load_b32 v145, v147 offset:1056
	v_add_nc_u32_e32 v147, 0x420, v147
	; wave barrier
	v_and_b32_e32 v2, v45, v2
	v_mbcnt_lo_u32_b32 v146, v2, 0
	v_cmp_ne_u32_e64 s17, 0, v2
	s_delay_alu instid0(VALU_DEP_2) | instskip(NEXT) | instid1(VALU_DEP_2)
	v_cmp_eq_u32_e32 vcc_lo, 0, v146
	s_and_b32 s18, s17, vcc_lo
	s_delay_alu instid0(SALU_CYCLE_1)
	s_and_saveexec_b32 s17, s18
	s_cbranch_execz .LBB1051_1016
; %bb.1015:                             ;   in Loop: Header=BB1051_990 Depth=2
	s_waitcnt lgkmcnt(0)
	v_bcnt_u32_b32 v2, v2, v145
	ds_store_b32 v147, v2
.LBB1051_1016:                          ;   in Loop: Header=BB1051_990 Depth=2
	s_or_b32 exec_lo, exec_lo, s17
	v_xor_b32_e32 v144, 0x80008000, v3
	; wave barrier
	s_delay_alu instid0(VALU_DEP_1) | instskip(NEXT) | instid1(VALU_DEP_1)
	v_and_b32_e32 v2, 0xffff, v144
	v_lshrrev_b32_e32 v2, s57, v2
	s_delay_alu instid0(VALU_DEP_1) | instskip(NEXT) | instid1(VALU_DEP_1)
	v_and_b32_e32 v2, s43, v2
	v_and_b32_e32 v3, 1, v2
	v_lshlrev_b32_e32 v45, 30, v2
	v_lshlrev_b32_e32 v46, 29, v2
	v_lshlrev_b32_e32 v148, 28, v2
	v_lshlrev_b32_e32 v150, 27, v2
	v_add_co_u32 v3, s17, v3, -1
	s_delay_alu instid0(VALU_DEP_1)
	v_cndmask_b32_e64 v149, 0, 1, s17
	v_not_b32_e32 v153, v45
	v_cmp_gt_i32_e64 s17, 0, v45
	v_not_b32_e32 v45, v46
	v_lshlrev_b32_e32 v151, 26, v2
	v_cmp_ne_u32_e32 vcc_lo, 0, v149
	v_ashrrev_i32_e32 v153, 31, v153
	v_lshlrev_b32_e32 v152, 25, v2
	v_ashrrev_i32_e32 v45, 31, v45
	v_lshlrev_b32_e32 v149, 24, v2
	v_xor_b32_e32 v3, vcc_lo, v3
	v_cmp_gt_i32_e32 vcc_lo, 0, v46
	v_not_b32_e32 v46, v148
	v_xor_b32_e32 v153, s17, v153
	v_cmp_gt_i32_e64 s17, 0, v148
	v_and_b32_e32 v3, exec_lo, v3
	v_not_b32_e32 v148, v150
	v_ashrrev_i32_e32 v46, 31, v46
	v_xor_b32_e32 v45, vcc_lo, v45
	v_cmp_gt_i32_e32 vcc_lo, 0, v150
	v_and_b32_e32 v3, v3, v153
	v_not_b32_e32 v150, v151
	v_ashrrev_i32_e32 v148, 31, v148
	v_xor_b32_e32 v46, s17, v46
	v_cmp_gt_i32_e64 s17, 0, v151
	v_and_b32_e32 v3, v3, v45
	v_not_b32_e32 v45, v152
	v_ashrrev_i32_e32 v150, 31, v150
	v_xor_b32_e32 v148, vcc_lo, v148
	v_cmp_gt_i32_e32 vcc_lo, 0, v152
	v_and_b32_e32 v3, v3, v46
	v_not_b32_e32 v46, v149
	v_ashrrev_i32_e32 v45, 31, v45
	v_xor_b32_e32 v150, s17, v150
	v_mul_u32_u24_e32 v2, 9, v2
	v_and_b32_e32 v3, v3, v148
	v_cmp_gt_i32_e64 s17, 0, v149
	v_ashrrev_i32_e32 v46, 31, v46
	v_xor_b32_e32 v45, vcc_lo, v45
	v_add_lshl_u32 v148, v2, v122, 2
	v_and_b32_e32 v3, v3, v150
	s_delay_alu instid0(VALU_DEP_4) | instskip(SKIP_3) | instid1(VALU_DEP_2)
	v_xor_b32_e32 v2, s17, v46
	ds_load_b32 v149, v148 offset:1056
	v_and_b32_e32 v3, v3, v45
	v_add_nc_u32_e32 v151, 0x420, v148
	; wave barrier
	v_and_b32_e32 v2, v3, v2
	s_delay_alu instid0(VALU_DEP_1) | instskip(SKIP_1) | instid1(VALU_DEP_2)
	v_mbcnt_lo_u32_b32 v150, v2, 0
	v_cmp_ne_u32_e64 s17, 0, v2
	v_cmp_eq_u32_e32 vcc_lo, 0, v150
	s_delay_alu instid0(VALU_DEP_2) | instskip(NEXT) | instid1(SALU_CYCLE_1)
	s_and_b32 s18, s17, vcc_lo
	s_and_saveexec_b32 s17, s18
	s_cbranch_execz .LBB1051_1018
; %bb.1017:                             ;   in Loop: Header=BB1051_990 Depth=2
	s_waitcnt lgkmcnt(0)
	v_bcnt_u32_b32 v2, v2, v149
	ds_store_b32 v151, v2
.LBB1051_1018:                          ;   in Loop: Header=BB1051_990 Depth=2
	s_or_b32 exec_lo, exec_lo, s17
	v_lshrrev_b32_e32 v148, 16, v144
	; wave barrier
	s_delay_alu instid0(VALU_DEP_1) | instskip(NEXT) | instid1(VALU_DEP_1)
	v_lshrrev_b32_e32 v2, s57, v148
	v_and_b32_e32 v2, s43, v2
	s_delay_alu instid0(VALU_DEP_1)
	v_and_b32_e32 v3, 1, v2
	v_lshlrev_b32_e32 v45, 30, v2
	v_lshlrev_b32_e32 v46, 29, v2
	;; [unrolled: 1-line block ×4, first 2 shown]
	v_add_co_u32 v3, s17, v3, -1
	s_delay_alu instid0(VALU_DEP_1)
	v_cndmask_b32_e64 v153, 0, 1, s17
	v_not_b32_e32 v157, v45
	v_cmp_gt_i32_e64 s17, 0, v45
	v_not_b32_e32 v45, v46
	v_lshlrev_b32_e32 v155, 26, v2
	v_cmp_ne_u32_e32 vcc_lo, 0, v153
	v_ashrrev_i32_e32 v157, 31, v157
	v_lshlrev_b32_e32 v156, 25, v2
	v_ashrrev_i32_e32 v45, 31, v45
	v_lshlrev_b32_e32 v153, 24, v2
	v_xor_b32_e32 v3, vcc_lo, v3
	v_cmp_gt_i32_e32 vcc_lo, 0, v46
	v_not_b32_e32 v46, v152
	v_xor_b32_e32 v157, s17, v157
	v_cmp_gt_i32_e64 s17, 0, v152
	v_and_b32_e32 v3, exec_lo, v3
	v_not_b32_e32 v152, v154
	v_ashrrev_i32_e32 v46, 31, v46
	v_xor_b32_e32 v45, vcc_lo, v45
	v_cmp_gt_i32_e32 vcc_lo, 0, v154
	v_and_b32_e32 v3, v3, v157
	v_not_b32_e32 v154, v155
	v_ashrrev_i32_e32 v152, 31, v152
	v_xor_b32_e32 v46, s17, v46
	v_cmp_gt_i32_e64 s17, 0, v155
	v_and_b32_e32 v3, v3, v45
	v_not_b32_e32 v45, v156
	v_ashrrev_i32_e32 v154, 31, v154
	v_xor_b32_e32 v152, vcc_lo, v152
	v_cmp_gt_i32_e32 vcc_lo, 0, v156
	v_and_b32_e32 v3, v3, v46
	v_not_b32_e32 v46, v153
	v_ashrrev_i32_e32 v45, 31, v45
	v_xor_b32_e32 v154, s17, v154
	v_mul_u32_u24_e32 v2, 9, v2
	v_and_b32_e32 v3, v3, v152
	v_cmp_gt_i32_e64 s17, 0, v153
	v_ashrrev_i32_e32 v46, 31, v46
	v_xor_b32_e32 v45, vcc_lo, v45
	v_add_lshl_u32 v152, v2, v122, 2
	v_and_b32_e32 v3, v3, v154
	s_delay_alu instid0(VALU_DEP_4) | instskip(SKIP_3) | instid1(VALU_DEP_2)
	v_xor_b32_e32 v2, s17, v46
	ds_load_b32 v153, v152 offset:1056
	v_and_b32_e32 v3, v3, v45
	v_add_nc_u32_e32 v155, 0x420, v152
	; wave barrier
	v_and_b32_e32 v2, v3, v2
	s_delay_alu instid0(VALU_DEP_1) | instskip(SKIP_1) | instid1(VALU_DEP_2)
	v_mbcnt_lo_u32_b32 v154, v2, 0
	v_cmp_ne_u32_e64 s17, 0, v2
	v_cmp_eq_u32_e32 vcc_lo, 0, v154
	s_delay_alu instid0(VALU_DEP_2) | instskip(NEXT) | instid1(SALU_CYCLE_1)
	s_and_b32 s18, s17, vcc_lo
	s_and_saveexec_b32 s17, s18
	s_cbranch_execz .LBB1051_1020
; %bb.1019:                             ;   in Loop: Header=BB1051_990 Depth=2
	s_waitcnt lgkmcnt(0)
	v_bcnt_u32_b32 v2, v2, v153
	ds_store_b32 v155, v2
.LBB1051_1020:                          ;   in Loop: Header=BB1051_990 Depth=2
	s_or_b32 exec_lo, exec_lo, s17
	v_xor_b32_e32 v152, 0x80008000, v4
	; wave barrier
	s_delay_alu instid0(VALU_DEP_1) | instskip(NEXT) | instid1(VALU_DEP_1)
	v_and_b32_e32 v2, 0xffff, v152
	v_lshrrev_b32_e32 v2, s57, v2
	s_delay_alu instid0(VALU_DEP_1) | instskip(NEXT) | instid1(VALU_DEP_1)
	v_and_b32_e32 v2, s43, v2
	v_and_b32_e32 v3, 1, v2
	v_lshlrev_b32_e32 v4, 30, v2
	v_lshlrev_b32_e32 v45, 29, v2
	;; [unrolled: 1-line block ×4, first 2 shown]
	v_add_co_u32 v3, s17, v3, -1
	s_delay_alu instid0(VALU_DEP_1)
	v_cndmask_b32_e64 v156, 0, 1, s17
	v_not_b32_e32 v160, v4
	v_cmp_gt_i32_e64 s17, 0, v4
	v_not_b32_e32 v4, v45
	v_lshlrev_b32_e32 v158, 26, v2
	v_cmp_ne_u32_e32 vcc_lo, 0, v156
	v_ashrrev_i32_e32 v160, 31, v160
	v_lshlrev_b32_e32 v159, 25, v2
	v_ashrrev_i32_e32 v4, 31, v4
	v_lshlrev_b32_e32 v156, 24, v2
	v_xor_b32_e32 v3, vcc_lo, v3
	v_cmp_gt_i32_e32 vcc_lo, 0, v45
	v_not_b32_e32 v45, v46
	v_xor_b32_e32 v160, s17, v160
	v_cmp_gt_i32_e64 s17, 0, v46
	v_and_b32_e32 v3, exec_lo, v3
	v_not_b32_e32 v46, v157
	v_ashrrev_i32_e32 v45, 31, v45
	v_xor_b32_e32 v4, vcc_lo, v4
	v_cmp_gt_i32_e32 vcc_lo, 0, v157
	v_and_b32_e32 v3, v3, v160
	v_not_b32_e32 v157, v158
	v_ashrrev_i32_e32 v46, 31, v46
	v_xor_b32_e32 v45, s17, v45
	v_cmp_gt_i32_e64 s17, 0, v158
	v_and_b32_e32 v3, v3, v4
	v_not_b32_e32 v4, v159
	v_ashrrev_i32_e32 v157, 31, v157
	v_xor_b32_e32 v46, vcc_lo, v46
	v_cmp_gt_i32_e32 vcc_lo, 0, v159
	v_and_b32_e32 v3, v3, v45
	v_not_b32_e32 v45, v156
	v_ashrrev_i32_e32 v4, 31, v4
	v_xor_b32_e32 v157, s17, v157
	v_mul_u32_u24_e32 v2, 9, v2
	v_and_b32_e32 v3, v3, v46
	v_cmp_gt_i32_e64 s17, 0, v156
	v_ashrrev_i32_e32 v45, 31, v45
	v_xor_b32_e32 v4, vcc_lo, v4
	v_add_lshl_u32 v46, v2, v122, 2
	v_and_b32_e32 v3, v3, v157
	s_delay_alu instid0(VALU_DEP_4) | instskip(SKIP_3) | instid1(VALU_DEP_2)
	v_xor_b32_e32 v2, s17, v45
	ds_load_b32 v157, v46 offset:1056
	v_and_b32_e32 v3, v3, v4
	v_add_nc_u32_e32 v159, 0x420, v46
	; wave barrier
	v_and_b32_e32 v2, v3, v2
	s_delay_alu instid0(VALU_DEP_1) | instskip(SKIP_1) | instid1(VALU_DEP_2)
	v_mbcnt_lo_u32_b32 v158, v2, 0
	v_cmp_ne_u32_e64 s17, 0, v2
	v_cmp_eq_u32_e32 vcc_lo, 0, v158
	s_delay_alu instid0(VALU_DEP_2) | instskip(NEXT) | instid1(SALU_CYCLE_1)
	s_and_b32 s18, s17, vcc_lo
	s_and_saveexec_b32 s17, s18
	s_cbranch_execz .LBB1051_1022
; %bb.1021:                             ;   in Loop: Header=BB1051_990 Depth=2
	s_waitcnt lgkmcnt(0)
	v_bcnt_u32_b32 v2, v2, v157
	ds_store_b32 v159, v2
.LBB1051_1022:                          ;   in Loop: Header=BB1051_990 Depth=2
	s_or_b32 exec_lo, exec_lo, s17
	v_lshrrev_b32_e32 v156, 16, v152
	; wave barrier
	s_delay_alu instid0(VALU_DEP_1) | instskip(NEXT) | instid1(VALU_DEP_1)
	v_lshrrev_b32_e32 v2, s57, v156
	v_and_b32_e32 v2, s43, v2
	s_delay_alu instid0(VALU_DEP_1)
	v_and_b32_e32 v3, 1, v2
	v_lshlrev_b32_e32 v4, 30, v2
	v_lshlrev_b32_e32 v45, 29, v2
	v_lshlrev_b32_e32 v46, 28, v2
	v_lshlrev_b32_e32 v161, 27, v2
	v_add_co_u32 v3, s17, v3, -1
	s_delay_alu instid0(VALU_DEP_1)
	v_cndmask_b32_e64 v160, 0, 1, s17
	v_not_b32_e32 v164, v4
	v_cmp_gt_i32_e64 s17, 0, v4
	v_not_b32_e32 v4, v45
	v_lshlrev_b32_e32 v162, 26, v2
	v_cmp_ne_u32_e32 vcc_lo, 0, v160
	v_ashrrev_i32_e32 v164, 31, v164
	v_lshlrev_b32_e32 v163, 25, v2
	v_ashrrev_i32_e32 v4, 31, v4
	v_lshlrev_b32_e32 v160, 24, v2
	v_xor_b32_e32 v3, vcc_lo, v3
	v_cmp_gt_i32_e32 vcc_lo, 0, v45
	v_not_b32_e32 v45, v46
	v_xor_b32_e32 v164, s17, v164
	v_cmp_gt_i32_e64 s17, 0, v46
	v_and_b32_e32 v3, exec_lo, v3
	v_not_b32_e32 v46, v161
	v_ashrrev_i32_e32 v45, 31, v45
	v_xor_b32_e32 v4, vcc_lo, v4
	v_cmp_gt_i32_e32 vcc_lo, 0, v161
	v_and_b32_e32 v3, v3, v164
	v_not_b32_e32 v161, v162
	v_ashrrev_i32_e32 v46, 31, v46
	v_xor_b32_e32 v45, s17, v45
	v_cmp_gt_i32_e64 s17, 0, v162
	v_and_b32_e32 v3, v3, v4
	v_not_b32_e32 v4, v163
	v_ashrrev_i32_e32 v161, 31, v161
	v_xor_b32_e32 v46, vcc_lo, v46
	v_cmp_gt_i32_e32 vcc_lo, 0, v163
	v_and_b32_e32 v3, v3, v45
	v_not_b32_e32 v45, v160
	v_ashrrev_i32_e32 v4, 31, v4
	v_xor_b32_e32 v161, s17, v161
	v_mul_u32_u24_e32 v2, 9, v2
	v_and_b32_e32 v3, v3, v46
	v_cmp_gt_i32_e64 s17, 0, v160
	v_ashrrev_i32_e32 v45, 31, v45
	v_xor_b32_e32 v4, vcc_lo, v4
	v_add_lshl_u32 v46, v2, v122, 2
	v_and_b32_e32 v3, v3, v161
	s_delay_alu instid0(VALU_DEP_4) | instskip(SKIP_3) | instid1(VALU_DEP_2)
	v_xor_b32_e32 v2, s17, v45
	ds_load_b32 v161, v46 offset:1056
	v_and_b32_e32 v3, v3, v4
	v_add_nc_u32_e32 v163, 0x420, v46
	; wave barrier
	v_and_b32_e32 v2, v3, v2
	s_delay_alu instid0(VALU_DEP_1) | instskip(SKIP_1) | instid1(VALU_DEP_2)
	v_mbcnt_lo_u32_b32 v162, v2, 0
	v_cmp_ne_u32_e64 s17, 0, v2
	v_cmp_eq_u32_e32 vcc_lo, 0, v162
	s_delay_alu instid0(VALU_DEP_2) | instskip(NEXT) | instid1(SALU_CYCLE_1)
	s_and_b32 s18, s17, vcc_lo
	s_and_saveexec_b32 s17, s18
	s_cbranch_execz .LBB1051_1024
; %bb.1023:                             ;   in Loop: Header=BB1051_990 Depth=2
	s_waitcnt lgkmcnt(0)
	v_bcnt_u32_b32 v2, v2, v161
	ds_store_b32 v163, v2
.LBB1051_1024:                          ;   in Loop: Header=BB1051_990 Depth=2
	s_or_b32 exec_lo, exec_lo, s17
	v_xor_b32_e32 v160, 0x80008000, v5
	; wave barrier
	s_delay_alu instid0(VALU_DEP_1) | instskip(NEXT) | instid1(VALU_DEP_1)
	v_and_b32_e32 v2, 0xffff, v160
	v_lshrrev_b32_e32 v2, s57, v2
	s_delay_alu instid0(VALU_DEP_1) | instskip(NEXT) | instid1(VALU_DEP_1)
	v_and_b32_e32 v2, s43, v2
	v_and_b32_e32 v3, 1, v2
	v_lshlrev_b32_e32 v4, 30, v2
	v_lshlrev_b32_e32 v5, 29, v2
	;; [unrolled: 1-line block ×4, first 2 shown]
	v_add_co_u32 v3, s17, v3, -1
	s_delay_alu instid0(VALU_DEP_1)
	v_cndmask_b32_e64 v46, 0, 1, s17
	v_not_b32_e32 v167, v4
	v_cmp_gt_i32_e64 s17, 0, v4
	v_not_b32_e32 v4, v5
	v_lshlrev_b32_e32 v165, 26, v2
	v_cmp_ne_u32_e32 vcc_lo, 0, v46
	v_ashrrev_i32_e32 v167, 31, v167
	v_lshlrev_b32_e32 v166, 25, v2
	v_ashrrev_i32_e32 v4, 31, v4
	v_lshlrev_b32_e32 v46, 24, v2
	v_xor_b32_e32 v3, vcc_lo, v3
	v_cmp_gt_i32_e32 vcc_lo, 0, v5
	v_not_b32_e32 v5, v45
	v_xor_b32_e32 v167, s17, v167
	v_cmp_gt_i32_e64 s17, 0, v45
	v_and_b32_e32 v3, exec_lo, v3
	v_not_b32_e32 v45, v164
	v_ashrrev_i32_e32 v5, 31, v5
	v_xor_b32_e32 v4, vcc_lo, v4
	v_cmp_gt_i32_e32 vcc_lo, 0, v164
	v_and_b32_e32 v3, v3, v167
	v_not_b32_e32 v164, v165
	v_ashrrev_i32_e32 v45, 31, v45
	v_xor_b32_e32 v5, s17, v5
	v_cmp_gt_i32_e64 s17, 0, v165
	v_and_b32_e32 v3, v3, v4
	v_not_b32_e32 v4, v166
	v_ashrrev_i32_e32 v164, 31, v164
	v_xor_b32_e32 v45, vcc_lo, v45
	v_cmp_gt_i32_e32 vcc_lo, 0, v166
	v_and_b32_e32 v3, v3, v5
	v_not_b32_e32 v5, v46
	v_ashrrev_i32_e32 v4, 31, v4
	v_xor_b32_e32 v164, s17, v164
	v_mul_u32_u24_e32 v2, 9, v2
	v_and_b32_e32 v3, v3, v45
	v_cmp_gt_i32_e64 s17, 0, v46
	v_ashrrev_i32_e32 v5, 31, v5
	v_xor_b32_e32 v4, vcc_lo, v4
	v_add_lshl_u32 v45, v2, v122, 2
	v_and_b32_e32 v3, v3, v164
	s_delay_alu instid0(VALU_DEP_4) | instskip(SKIP_3) | instid1(VALU_DEP_2)
	v_xor_b32_e32 v2, s17, v5
	ds_load_b32 v165, v45 offset:1056
	v_and_b32_e32 v3, v3, v4
	v_add_nc_u32_e32 v167, 0x420, v45
	; wave barrier
	v_and_b32_e32 v2, v3, v2
	s_delay_alu instid0(VALU_DEP_1) | instskip(SKIP_1) | instid1(VALU_DEP_2)
	v_mbcnt_lo_u32_b32 v166, v2, 0
	v_cmp_ne_u32_e64 s17, 0, v2
	v_cmp_eq_u32_e32 vcc_lo, 0, v166
	s_delay_alu instid0(VALU_DEP_2) | instskip(NEXT) | instid1(SALU_CYCLE_1)
	s_and_b32 s18, s17, vcc_lo
	s_and_saveexec_b32 s17, s18
	s_cbranch_execz .LBB1051_1026
; %bb.1025:                             ;   in Loop: Header=BB1051_990 Depth=2
	s_waitcnt lgkmcnt(0)
	v_bcnt_u32_b32 v2, v2, v165
	ds_store_b32 v167, v2
.LBB1051_1026:                          ;   in Loop: Header=BB1051_990 Depth=2
	s_or_b32 exec_lo, exec_lo, s17
	v_lshrrev_b32_e32 v164, 16, v160
	; wave barrier
	s_delay_alu instid0(VALU_DEP_1) | instskip(NEXT) | instid1(VALU_DEP_1)
	v_lshrrev_b32_e32 v2, s57, v164
	v_and_b32_e32 v2, s43, v2
	s_delay_alu instid0(VALU_DEP_1)
	v_and_b32_e32 v3, 1, v2
	v_lshlrev_b32_e32 v4, 30, v2
	v_lshlrev_b32_e32 v5, 29, v2
	;; [unrolled: 1-line block ×4, first 2 shown]
	v_add_co_u32 v3, s17, v3, -1
	s_delay_alu instid0(VALU_DEP_1)
	v_cndmask_b32_e64 v46, 0, 1, s17
	v_not_b32_e32 v171, v4
	v_cmp_gt_i32_e64 s17, 0, v4
	v_not_b32_e32 v4, v5
	v_lshlrev_b32_e32 v169, 26, v2
	v_cmp_ne_u32_e32 vcc_lo, 0, v46
	v_ashrrev_i32_e32 v171, 31, v171
	v_lshlrev_b32_e32 v170, 25, v2
	v_ashrrev_i32_e32 v4, 31, v4
	v_lshlrev_b32_e32 v46, 24, v2
	v_xor_b32_e32 v3, vcc_lo, v3
	v_cmp_gt_i32_e32 vcc_lo, 0, v5
	v_not_b32_e32 v5, v45
	v_xor_b32_e32 v171, s17, v171
	v_cmp_gt_i32_e64 s17, 0, v45
	v_and_b32_e32 v3, exec_lo, v3
	v_not_b32_e32 v45, v168
	v_ashrrev_i32_e32 v5, 31, v5
	v_xor_b32_e32 v4, vcc_lo, v4
	v_cmp_gt_i32_e32 vcc_lo, 0, v168
	v_and_b32_e32 v3, v3, v171
	v_not_b32_e32 v168, v169
	v_ashrrev_i32_e32 v45, 31, v45
	v_xor_b32_e32 v5, s17, v5
	v_cmp_gt_i32_e64 s17, 0, v169
	v_and_b32_e32 v3, v3, v4
	v_not_b32_e32 v4, v170
	v_ashrrev_i32_e32 v168, 31, v168
	v_xor_b32_e32 v45, vcc_lo, v45
	v_cmp_gt_i32_e32 vcc_lo, 0, v170
	v_and_b32_e32 v3, v3, v5
	v_not_b32_e32 v5, v46
	v_ashrrev_i32_e32 v4, 31, v4
	v_xor_b32_e32 v168, s17, v168
	v_mul_u32_u24_e32 v2, 9, v2
	v_and_b32_e32 v3, v3, v45
	v_cmp_gt_i32_e64 s17, 0, v46
	v_ashrrev_i32_e32 v5, 31, v5
	v_xor_b32_e32 v4, vcc_lo, v4
	v_add_lshl_u32 v45, v2, v122, 2
	v_and_b32_e32 v3, v3, v168
	s_delay_alu instid0(VALU_DEP_4) | instskip(SKIP_3) | instid1(VALU_DEP_2)
	v_xor_b32_e32 v2, s17, v5
	ds_load_b32 v169, v45 offset:1056
	v_and_b32_e32 v3, v3, v4
	v_add_nc_u32_e32 v171, 0x420, v45
	; wave barrier
	v_and_b32_e32 v2, v3, v2
	s_delay_alu instid0(VALU_DEP_1) | instskip(SKIP_1) | instid1(VALU_DEP_2)
	v_mbcnt_lo_u32_b32 v170, v2, 0
	v_cmp_ne_u32_e64 s17, 0, v2
	v_cmp_eq_u32_e32 vcc_lo, 0, v170
	s_delay_alu instid0(VALU_DEP_2) | instskip(NEXT) | instid1(SALU_CYCLE_1)
	s_and_b32 s18, s17, vcc_lo
	s_and_saveexec_b32 s17, s18
	s_cbranch_execz .LBB1051_1028
; %bb.1027:                             ;   in Loop: Header=BB1051_990 Depth=2
	s_waitcnt lgkmcnt(0)
	v_bcnt_u32_b32 v2, v2, v169
	ds_store_b32 v171, v2
.LBB1051_1028:                          ;   in Loop: Header=BB1051_990 Depth=2
	s_or_b32 exec_lo, exec_lo, s17
	v_xor_b32_e32 v168, 0x80008000, v6
	; wave barrier
	s_delay_alu instid0(VALU_DEP_1) | instskip(NEXT) | instid1(VALU_DEP_1)
	v_and_b32_e32 v2, 0xffff, v168
	v_lshrrev_b32_e32 v2, s57, v2
	s_delay_alu instid0(VALU_DEP_1) | instskip(NEXT) | instid1(VALU_DEP_1)
	v_and_b32_e32 v2, s43, v2
	v_and_b32_e32 v3, 1, v2
	v_lshlrev_b32_e32 v4, 30, v2
	v_lshlrev_b32_e32 v5, 29, v2
	v_lshlrev_b32_e32 v6, 28, v2
	v_lshlrev_b32_e32 v46, 27, v2
	v_add_co_u32 v3, s17, v3, -1
	s_delay_alu instid0(VALU_DEP_1)
	v_cndmask_b32_e64 v45, 0, 1, s17
	v_not_b32_e32 v174, v4
	v_cmp_gt_i32_e64 s17, 0, v4
	v_not_b32_e32 v4, v5
	v_lshlrev_b32_e32 v172, 26, v2
	v_cmp_ne_u32_e32 vcc_lo, 0, v45
	v_ashrrev_i32_e32 v174, 31, v174
	v_lshlrev_b32_e32 v173, 25, v2
	v_ashrrev_i32_e32 v4, 31, v4
	v_lshlrev_b32_e32 v45, 24, v2
	v_xor_b32_e32 v3, vcc_lo, v3
	v_cmp_gt_i32_e32 vcc_lo, 0, v5
	v_not_b32_e32 v5, v6
	v_xor_b32_e32 v174, s17, v174
	v_cmp_gt_i32_e64 s17, 0, v6
	v_and_b32_e32 v3, exec_lo, v3
	v_not_b32_e32 v6, v46
	v_ashrrev_i32_e32 v5, 31, v5
	v_xor_b32_e32 v4, vcc_lo, v4
	v_cmp_gt_i32_e32 vcc_lo, 0, v46
	v_and_b32_e32 v3, v3, v174
	v_not_b32_e32 v46, v172
	v_ashrrev_i32_e32 v6, 31, v6
	v_xor_b32_e32 v5, s17, v5
	v_cmp_gt_i32_e64 s17, 0, v172
	v_and_b32_e32 v3, v3, v4
	v_not_b32_e32 v4, v173
	v_ashrrev_i32_e32 v46, 31, v46
	v_xor_b32_e32 v6, vcc_lo, v6
	v_cmp_gt_i32_e32 vcc_lo, 0, v173
	v_and_b32_e32 v3, v3, v5
	v_not_b32_e32 v5, v45
	v_ashrrev_i32_e32 v4, 31, v4
	v_xor_b32_e32 v46, s17, v46
	v_mul_u32_u24_e32 v2, 9, v2
	v_and_b32_e32 v3, v3, v6
	v_cmp_gt_i32_e64 s17, 0, v45
	v_ashrrev_i32_e32 v5, 31, v5
	v_xor_b32_e32 v4, vcc_lo, v4
	v_add_lshl_u32 v6, v2, v122, 2
	v_and_b32_e32 v3, v3, v46
	s_delay_alu instid0(VALU_DEP_4) | instskip(SKIP_3) | instid1(VALU_DEP_2)
	v_xor_b32_e32 v2, s17, v5
	ds_load_b32 v173, v6 offset:1056
	v_and_b32_e32 v3, v3, v4
	v_add_nc_u32_e32 v175, 0x420, v6
	; wave barrier
	v_and_b32_e32 v2, v3, v2
	s_delay_alu instid0(VALU_DEP_1) | instskip(SKIP_1) | instid1(VALU_DEP_2)
	v_mbcnt_lo_u32_b32 v174, v2, 0
	v_cmp_ne_u32_e64 s17, 0, v2
	v_cmp_eq_u32_e32 vcc_lo, 0, v174
	s_delay_alu instid0(VALU_DEP_2) | instskip(NEXT) | instid1(SALU_CYCLE_1)
	s_and_b32 s18, s17, vcc_lo
	s_and_saveexec_b32 s17, s18
	s_cbranch_execz .LBB1051_1030
; %bb.1029:                             ;   in Loop: Header=BB1051_990 Depth=2
	s_waitcnt lgkmcnt(0)
	v_bcnt_u32_b32 v2, v2, v173
	ds_store_b32 v175, v2
.LBB1051_1030:                          ;   in Loop: Header=BB1051_990 Depth=2
	s_or_b32 exec_lo, exec_lo, s17
	v_lshrrev_b32_e32 v172, 16, v168
	; wave barrier
	s_delay_alu instid0(VALU_DEP_1) | instskip(NEXT) | instid1(VALU_DEP_1)
	v_lshrrev_b32_e32 v2, s57, v172
	v_and_b32_e32 v2, s43, v2
	s_delay_alu instid0(VALU_DEP_1)
	v_and_b32_e32 v3, 1, v2
	v_lshlrev_b32_e32 v4, 30, v2
	v_lshlrev_b32_e32 v5, 29, v2
	;; [unrolled: 1-line block ×4, first 2 shown]
	v_add_co_u32 v3, s17, v3, -1
	s_delay_alu instid0(VALU_DEP_1)
	v_cndmask_b32_e64 v45, 0, 1, s17
	v_not_b32_e32 v178, v4
	v_cmp_gt_i32_e64 s17, 0, v4
	v_not_b32_e32 v4, v5
	v_lshlrev_b32_e32 v176, 26, v2
	v_cmp_ne_u32_e32 vcc_lo, 0, v45
	v_ashrrev_i32_e32 v178, 31, v178
	v_lshlrev_b32_e32 v177, 25, v2
	v_ashrrev_i32_e32 v4, 31, v4
	v_lshlrev_b32_e32 v45, 24, v2
	v_xor_b32_e32 v3, vcc_lo, v3
	v_cmp_gt_i32_e32 vcc_lo, 0, v5
	v_not_b32_e32 v5, v6
	v_xor_b32_e32 v178, s17, v178
	v_cmp_gt_i32_e64 s17, 0, v6
	v_and_b32_e32 v3, exec_lo, v3
	v_not_b32_e32 v6, v46
	v_ashrrev_i32_e32 v5, 31, v5
	v_xor_b32_e32 v4, vcc_lo, v4
	v_cmp_gt_i32_e32 vcc_lo, 0, v46
	v_and_b32_e32 v3, v3, v178
	v_not_b32_e32 v46, v176
	v_ashrrev_i32_e32 v6, 31, v6
	v_xor_b32_e32 v5, s17, v5
	v_cmp_gt_i32_e64 s17, 0, v176
	v_and_b32_e32 v3, v3, v4
	v_not_b32_e32 v4, v177
	v_ashrrev_i32_e32 v46, 31, v46
	v_xor_b32_e32 v6, vcc_lo, v6
	v_cmp_gt_i32_e32 vcc_lo, 0, v177
	v_and_b32_e32 v3, v3, v5
	v_not_b32_e32 v5, v45
	v_ashrrev_i32_e32 v4, 31, v4
	v_xor_b32_e32 v46, s17, v46
	v_mul_u32_u24_e32 v2, 9, v2
	v_and_b32_e32 v3, v3, v6
	v_cmp_gt_i32_e64 s17, 0, v45
	v_ashrrev_i32_e32 v5, 31, v5
	v_xor_b32_e32 v4, vcc_lo, v4
	v_add_lshl_u32 v6, v2, v122, 2
	v_and_b32_e32 v3, v3, v46
	s_delay_alu instid0(VALU_DEP_4) | instskip(SKIP_3) | instid1(VALU_DEP_2)
	v_xor_b32_e32 v2, s17, v5
	ds_load_b32 v177, v6 offset:1056
	v_and_b32_e32 v3, v3, v4
	v_add_nc_u32_e32 v179, 0x420, v6
	; wave barrier
	v_and_b32_e32 v2, v3, v2
	s_delay_alu instid0(VALU_DEP_1) | instskip(SKIP_1) | instid1(VALU_DEP_2)
	v_mbcnt_lo_u32_b32 v178, v2, 0
	v_cmp_ne_u32_e64 s17, 0, v2
	v_cmp_eq_u32_e32 vcc_lo, 0, v178
	s_delay_alu instid0(VALU_DEP_2) | instskip(NEXT) | instid1(SALU_CYCLE_1)
	s_and_b32 s18, s17, vcc_lo
	s_and_saveexec_b32 s17, s18
	s_cbranch_execz .LBB1051_1032
; %bb.1031:                             ;   in Loop: Header=BB1051_990 Depth=2
	s_waitcnt lgkmcnt(0)
	v_bcnt_u32_b32 v2, v2, v177
	ds_store_b32 v179, v2
.LBB1051_1032:                          ;   in Loop: Header=BB1051_990 Depth=2
	s_or_b32 exec_lo, exec_lo, s17
	v_xor_b32_e32 v176, 0x80008000, v7
	; wave barrier
	s_delay_alu instid0(VALU_DEP_1) | instskip(NEXT) | instid1(VALU_DEP_1)
	v_and_b32_e32 v2, 0xffff, v176
	v_lshrrev_b32_e32 v2, s57, v2
	s_delay_alu instid0(VALU_DEP_1) | instskip(NEXT) | instid1(VALU_DEP_1)
	v_and_b32_e32 v2, s43, v2
	v_and_b32_e32 v3, 1, v2
	v_lshlrev_b32_e32 v4, 30, v2
	v_lshlrev_b32_e32 v5, 29, v2
	;; [unrolled: 1-line block ×4, first 2 shown]
	v_add_co_u32 v3, s17, v3, -1
	s_delay_alu instid0(VALU_DEP_1)
	v_cndmask_b32_e64 v7, 0, 1, s17
	v_not_b32_e32 v181, v4
	v_cmp_gt_i32_e64 s17, 0, v4
	v_not_b32_e32 v4, v5
	v_lshlrev_b32_e32 v46, 26, v2
	v_cmp_ne_u32_e32 vcc_lo, 0, v7
	v_ashrrev_i32_e32 v181, 31, v181
	v_lshlrev_b32_e32 v180, 25, v2
	v_ashrrev_i32_e32 v4, 31, v4
	v_lshlrev_b32_e32 v7, 24, v2
	v_xor_b32_e32 v3, vcc_lo, v3
	v_cmp_gt_i32_e32 vcc_lo, 0, v5
	v_not_b32_e32 v5, v6
	v_xor_b32_e32 v181, s17, v181
	v_cmp_gt_i32_e64 s17, 0, v6
	v_and_b32_e32 v3, exec_lo, v3
	v_not_b32_e32 v6, v45
	v_ashrrev_i32_e32 v5, 31, v5
	v_xor_b32_e32 v4, vcc_lo, v4
	v_cmp_gt_i32_e32 vcc_lo, 0, v45
	v_and_b32_e32 v3, v3, v181
	v_not_b32_e32 v45, v46
	v_ashrrev_i32_e32 v6, 31, v6
	v_xor_b32_e32 v5, s17, v5
	v_cmp_gt_i32_e64 s17, 0, v46
	v_and_b32_e32 v3, v3, v4
	v_not_b32_e32 v4, v180
	v_ashrrev_i32_e32 v45, 31, v45
	v_xor_b32_e32 v6, vcc_lo, v6
	v_cmp_gt_i32_e32 vcc_lo, 0, v180
	v_and_b32_e32 v3, v3, v5
	v_not_b32_e32 v5, v7
	v_ashrrev_i32_e32 v4, 31, v4
	v_xor_b32_e32 v45, s17, v45
	v_mul_u32_u24_e32 v2, 9, v2
	v_and_b32_e32 v3, v3, v6
	v_cmp_gt_i32_e64 s17, 0, v7
	v_ashrrev_i32_e32 v5, 31, v5
	v_xor_b32_e32 v4, vcc_lo, v4
	v_add_lshl_u32 v6, v2, v122, 2
	v_and_b32_e32 v3, v3, v45
	s_delay_alu instid0(VALU_DEP_4) | instskip(SKIP_3) | instid1(VALU_DEP_2)
	v_xor_b32_e32 v2, s17, v5
	ds_load_b32 v181, v6 offset:1056
	v_and_b32_e32 v3, v3, v4
	v_add_nc_u32_e32 v183, 0x420, v6
	; wave barrier
	v_and_b32_e32 v2, v3, v2
	s_delay_alu instid0(VALU_DEP_1) | instskip(SKIP_1) | instid1(VALU_DEP_2)
	v_mbcnt_lo_u32_b32 v182, v2, 0
	v_cmp_ne_u32_e64 s17, 0, v2
	v_cmp_eq_u32_e32 vcc_lo, 0, v182
	s_delay_alu instid0(VALU_DEP_2) | instskip(NEXT) | instid1(SALU_CYCLE_1)
	s_and_b32 s18, s17, vcc_lo
	s_and_saveexec_b32 s17, s18
	s_cbranch_execz .LBB1051_1034
; %bb.1033:                             ;   in Loop: Header=BB1051_990 Depth=2
	s_waitcnt lgkmcnt(0)
	v_bcnt_u32_b32 v2, v2, v181
	ds_store_b32 v183, v2
.LBB1051_1034:                          ;   in Loop: Header=BB1051_990 Depth=2
	s_or_b32 exec_lo, exec_lo, s17
	v_lshrrev_b32_e32 v180, 16, v176
	; wave barrier
	s_delay_alu instid0(VALU_DEP_1) | instskip(NEXT) | instid1(VALU_DEP_1)
	v_lshrrev_b32_e32 v2, s57, v180
	v_and_b32_e32 v2, s43, v2
	s_delay_alu instid0(VALU_DEP_1)
	v_and_b32_e32 v3, 1, v2
	v_lshlrev_b32_e32 v4, 30, v2
	v_lshlrev_b32_e32 v5, 29, v2
	;; [unrolled: 1-line block ×4, first 2 shown]
	v_add_co_u32 v3, s17, v3, -1
	s_delay_alu instid0(VALU_DEP_1)
	v_cndmask_b32_e64 v7, 0, 1, s17
	v_not_b32_e32 v185, v4
	v_cmp_gt_i32_e64 s17, 0, v4
	v_not_b32_e32 v4, v5
	v_lshlrev_b32_e32 v46, 26, v2
	v_cmp_ne_u32_e32 vcc_lo, 0, v7
	v_ashrrev_i32_e32 v185, 31, v185
	v_lshlrev_b32_e32 v184, 25, v2
	v_ashrrev_i32_e32 v4, 31, v4
	v_lshlrev_b32_e32 v7, 24, v2
	v_xor_b32_e32 v3, vcc_lo, v3
	v_cmp_gt_i32_e32 vcc_lo, 0, v5
	v_not_b32_e32 v5, v6
	v_xor_b32_e32 v185, s17, v185
	v_cmp_gt_i32_e64 s17, 0, v6
	v_and_b32_e32 v3, exec_lo, v3
	v_not_b32_e32 v6, v45
	v_ashrrev_i32_e32 v5, 31, v5
	v_xor_b32_e32 v4, vcc_lo, v4
	v_cmp_gt_i32_e32 vcc_lo, 0, v45
	v_and_b32_e32 v3, v3, v185
	v_not_b32_e32 v45, v46
	v_ashrrev_i32_e32 v6, 31, v6
	v_xor_b32_e32 v5, s17, v5
	v_cmp_gt_i32_e64 s17, 0, v46
	v_and_b32_e32 v3, v3, v4
	v_not_b32_e32 v4, v184
	v_ashrrev_i32_e32 v45, 31, v45
	v_xor_b32_e32 v6, vcc_lo, v6
	v_cmp_gt_i32_e32 vcc_lo, 0, v184
	v_and_b32_e32 v3, v3, v5
	v_not_b32_e32 v5, v7
	v_ashrrev_i32_e32 v4, 31, v4
	v_xor_b32_e32 v45, s17, v45
	v_mul_u32_u24_e32 v2, 9, v2
	v_and_b32_e32 v3, v3, v6
	v_cmp_gt_i32_e64 s17, 0, v7
	v_ashrrev_i32_e32 v5, 31, v5
	v_xor_b32_e32 v4, vcc_lo, v4
	v_add_lshl_u32 v6, v2, v122, 2
	v_and_b32_e32 v3, v3, v45
	s_delay_alu instid0(VALU_DEP_4) | instskip(SKIP_3) | instid1(VALU_DEP_2)
	v_xor_b32_e32 v2, s17, v5
	ds_load_b32 v185, v6 offset:1056
	v_and_b32_e32 v3, v3, v4
	v_add_nc_u32_e32 v187, 0x420, v6
	; wave barrier
	v_and_b32_e32 v2, v3, v2
	s_delay_alu instid0(VALU_DEP_1) | instskip(SKIP_1) | instid1(VALU_DEP_2)
	v_mbcnt_lo_u32_b32 v186, v2, 0
	v_cmp_ne_u32_e64 s17, 0, v2
	v_cmp_eq_u32_e32 vcc_lo, 0, v186
	s_delay_alu instid0(VALU_DEP_2) | instskip(NEXT) | instid1(SALU_CYCLE_1)
	s_and_b32 s18, s17, vcc_lo
	s_and_saveexec_b32 s17, s18
	s_cbranch_execz .LBB1051_1036
; %bb.1035:                             ;   in Loop: Header=BB1051_990 Depth=2
	s_waitcnt lgkmcnt(0)
	v_bcnt_u32_b32 v2, v2, v185
	ds_store_b32 v187, v2
.LBB1051_1036:                          ;   in Loop: Header=BB1051_990 Depth=2
	s_or_b32 exec_lo, exec_lo, s17
	v_xor_b32_e32 v184, 0x80008000, v8
	; wave barrier
	s_delay_alu instid0(VALU_DEP_1) | instskip(NEXT) | instid1(VALU_DEP_1)
	v_and_b32_e32 v2, 0xffff, v184
	v_lshrrev_b32_e32 v2, s57, v2
	s_delay_alu instid0(VALU_DEP_1) | instskip(NEXT) | instid1(VALU_DEP_1)
	v_and_b32_e32 v2, s43, v2
	v_and_b32_e32 v3, 1, v2
	v_lshlrev_b32_e32 v4, 30, v2
	v_lshlrev_b32_e32 v5, 29, v2
	;; [unrolled: 1-line block ×4, first 2 shown]
	v_add_co_u32 v3, s17, v3, -1
	s_delay_alu instid0(VALU_DEP_1)
	v_cndmask_b32_e64 v7, 0, 1, s17
	v_not_b32_e32 v188, v4
	v_cmp_gt_i32_e64 s17, 0, v4
	v_not_b32_e32 v4, v5
	v_lshlrev_b32_e32 v45, 26, v2
	v_cmp_ne_u32_e32 vcc_lo, 0, v7
	v_ashrrev_i32_e32 v188, 31, v188
	v_lshlrev_b32_e32 v46, 25, v2
	v_ashrrev_i32_e32 v4, 31, v4
	v_lshlrev_b32_e32 v7, 24, v2
	v_xor_b32_e32 v3, vcc_lo, v3
	v_cmp_gt_i32_e32 vcc_lo, 0, v5
	v_not_b32_e32 v5, v6
	v_xor_b32_e32 v188, s17, v188
	v_cmp_gt_i32_e64 s17, 0, v6
	v_and_b32_e32 v3, exec_lo, v3
	v_not_b32_e32 v6, v8
	v_ashrrev_i32_e32 v5, 31, v5
	v_xor_b32_e32 v4, vcc_lo, v4
	v_cmp_gt_i32_e32 vcc_lo, 0, v8
	v_and_b32_e32 v3, v3, v188
	v_not_b32_e32 v8, v45
	v_ashrrev_i32_e32 v6, 31, v6
	v_xor_b32_e32 v5, s17, v5
	v_cmp_gt_i32_e64 s17, 0, v45
	v_and_b32_e32 v3, v3, v4
	v_not_b32_e32 v4, v46
	v_ashrrev_i32_e32 v8, 31, v8
	v_xor_b32_e32 v6, vcc_lo, v6
	v_cmp_gt_i32_e32 vcc_lo, 0, v46
	v_and_b32_e32 v3, v3, v5
	v_not_b32_e32 v5, v7
	v_ashrrev_i32_e32 v4, 31, v4
	v_xor_b32_e32 v8, s17, v8
	v_mul_u32_u24_e32 v2, 9, v2
	v_and_b32_e32 v3, v3, v6
	v_cmp_gt_i32_e64 s17, 0, v7
	v_ashrrev_i32_e32 v5, 31, v5
	v_xor_b32_e32 v4, vcc_lo, v4
	v_add_lshl_u32 v6, v2, v122, 2
	v_and_b32_e32 v3, v3, v8
	s_delay_alu instid0(VALU_DEP_4) | instskip(SKIP_3) | instid1(VALU_DEP_2)
	v_xor_b32_e32 v2, s17, v5
	ds_load_b32 v189, v6 offset:1056
	v_and_b32_e32 v3, v3, v4
	v_add_nc_u32_e32 v8, 0x420, v6
	; wave barrier
	v_and_b32_e32 v2, v3, v2
	s_delay_alu instid0(VALU_DEP_1) | instskip(SKIP_1) | instid1(VALU_DEP_2)
	v_mbcnt_lo_u32_b32 v190, v2, 0
	v_cmp_ne_u32_e64 s17, 0, v2
	v_cmp_eq_u32_e32 vcc_lo, 0, v190
	s_delay_alu instid0(VALU_DEP_2) | instskip(NEXT) | instid1(SALU_CYCLE_1)
	s_and_b32 s18, s17, vcc_lo
	s_and_saveexec_b32 s17, s18
	s_cbranch_execz .LBB1051_1038
; %bb.1037:                             ;   in Loop: Header=BB1051_990 Depth=2
	s_waitcnt lgkmcnt(0)
	v_bcnt_u32_b32 v2, v2, v189
	ds_store_b32 v8, v2
.LBB1051_1038:                          ;   in Loop: Header=BB1051_990 Depth=2
	s_or_b32 exec_lo, exec_lo, s17
	v_lshrrev_b32_e32 v188, 16, v184
	; wave barrier
	s_delay_alu instid0(VALU_DEP_1) | instskip(NEXT) | instid1(VALU_DEP_1)
	v_lshrrev_b32_e32 v2, s57, v188
	v_and_b32_e32 v2, s43, v2
	s_delay_alu instid0(VALU_DEP_1)
	v_and_b32_e32 v3, 1, v2
	v_lshlrev_b32_e32 v4, 30, v2
	v_lshlrev_b32_e32 v5, 29, v2
	v_lshlrev_b32_e32 v6, 28, v2
	v_lshlrev_b32_e32 v45, 27, v2
	v_add_co_u32 v3, s17, v3, -1
	s_delay_alu instid0(VALU_DEP_1)
	v_cndmask_b32_e64 v7, 0, 1, s17
	v_not_b32_e32 v192, v4
	v_cmp_gt_i32_e64 s17, 0, v4
	v_not_b32_e32 v4, v5
	v_lshlrev_b32_e32 v46, 26, v2
	v_cmp_ne_u32_e32 vcc_lo, 0, v7
	v_ashrrev_i32_e32 v192, 31, v192
	v_lshlrev_b32_e32 v191, 25, v2
	v_ashrrev_i32_e32 v4, 31, v4
	v_lshlrev_b32_e32 v7, 24, v2
	v_xor_b32_e32 v3, vcc_lo, v3
	v_cmp_gt_i32_e32 vcc_lo, 0, v5
	v_not_b32_e32 v5, v6
	v_xor_b32_e32 v192, s17, v192
	v_cmp_gt_i32_e64 s17, 0, v6
	v_and_b32_e32 v3, exec_lo, v3
	v_not_b32_e32 v6, v45
	v_ashrrev_i32_e32 v5, 31, v5
	v_xor_b32_e32 v4, vcc_lo, v4
	v_cmp_gt_i32_e32 vcc_lo, 0, v45
	v_and_b32_e32 v3, v3, v192
	v_not_b32_e32 v45, v46
	v_ashrrev_i32_e32 v6, 31, v6
	v_xor_b32_e32 v5, s17, v5
	v_cmp_gt_i32_e64 s17, 0, v46
	v_and_b32_e32 v3, v3, v4
	v_not_b32_e32 v4, v191
	v_ashrrev_i32_e32 v45, 31, v45
	v_xor_b32_e32 v6, vcc_lo, v6
	v_cmp_gt_i32_e32 vcc_lo, 0, v191
	v_and_b32_e32 v3, v3, v5
	v_not_b32_e32 v5, v7
	v_ashrrev_i32_e32 v4, 31, v4
	v_xor_b32_e32 v45, s17, v45
	v_mul_u32_u24_e32 v2, 9, v2
	v_and_b32_e32 v3, v3, v6
	v_cmp_gt_i32_e64 s17, 0, v7
	v_ashrrev_i32_e32 v5, 31, v5
	v_xor_b32_e32 v4, vcc_lo, v4
	v_add_lshl_u32 v6, v2, v122, 2
	v_and_b32_e32 v3, v3, v45
	s_delay_alu instid0(VALU_DEP_4) | instskip(SKIP_3) | instid1(VALU_DEP_2)
	v_xor_b32_e32 v2, s17, v5
	ds_load_b32 v191, v6 offset:1056
	v_and_b32_e32 v3, v3, v4
	v_add_nc_u32_e32 v193, 0x420, v6
	; wave barrier
	v_and_b32_e32 v2, v3, v2
	s_delay_alu instid0(VALU_DEP_1) | instskip(SKIP_1) | instid1(VALU_DEP_2)
	v_mbcnt_lo_u32_b32 v192, v2, 0
	v_cmp_ne_u32_e64 s17, 0, v2
	v_cmp_eq_u32_e32 vcc_lo, 0, v192
	s_delay_alu instid0(VALU_DEP_2) | instskip(NEXT) | instid1(SALU_CYCLE_1)
	s_and_b32 s18, s17, vcc_lo
	s_and_saveexec_b32 s17, s18
	s_cbranch_execz .LBB1051_1040
; %bb.1039:                             ;   in Loop: Header=BB1051_990 Depth=2
	s_waitcnt lgkmcnt(0)
	v_bcnt_u32_b32 v2, v2, v191
	ds_store_b32 v193, v2
.LBB1051_1040:                          ;   in Loop: Header=BB1051_990 Depth=2
	s_or_b32 exec_lo, exec_lo, s17
	v_xor_b32_e32 v9, 0x80008000, v9
	; wave barrier
	s_delay_alu instid0(VALU_DEP_1) | instskip(NEXT) | instid1(VALU_DEP_1)
	v_and_b32_e32 v2, 0xffff, v9
	v_lshrrev_b32_e32 v2, s57, v2
	s_delay_alu instid0(VALU_DEP_1) | instskip(NEXT) | instid1(VALU_DEP_1)
	v_and_b32_e32 v2, s43, v2
	v_and_b32_e32 v3, 1, v2
	v_lshlrev_b32_e32 v4, 30, v2
	v_lshlrev_b32_e32 v5, 29, v2
	;; [unrolled: 1-line block ×4, first 2 shown]
	v_add_co_u32 v3, s17, v3, -1
	s_delay_alu instid0(VALU_DEP_1)
	v_cndmask_b32_e64 v7, 0, 1, s17
	v_not_b32_e32 v195, v4
	v_cmp_gt_i32_e64 s17, 0, v4
	v_not_b32_e32 v4, v5
	v_lshlrev_b32_e32 v46, 26, v2
	v_cmp_ne_u32_e32 vcc_lo, 0, v7
	v_ashrrev_i32_e32 v195, 31, v195
	v_lshlrev_b32_e32 v194, 25, v2
	v_ashrrev_i32_e32 v4, 31, v4
	v_lshlrev_b32_e32 v7, 24, v2
	v_xor_b32_e32 v3, vcc_lo, v3
	v_cmp_gt_i32_e32 vcc_lo, 0, v5
	v_not_b32_e32 v5, v6
	v_xor_b32_e32 v195, s17, v195
	v_cmp_gt_i32_e64 s17, 0, v6
	v_and_b32_e32 v3, exec_lo, v3
	v_not_b32_e32 v6, v45
	v_ashrrev_i32_e32 v5, 31, v5
	v_xor_b32_e32 v4, vcc_lo, v4
	v_cmp_gt_i32_e32 vcc_lo, 0, v45
	v_and_b32_e32 v3, v3, v195
	v_not_b32_e32 v45, v46
	v_ashrrev_i32_e32 v6, 31, v6
	v_xor_b32_e32 v5, s17, v5
	v_cmp_gt_i32_e64 s17, 0, v46
	v_and_b32_e32 v3, v3, v4
	v_not_b32_e32 v4, v194
	v_ashrrev_i32_e32 v45, 31, v45
	v_xor_b32_e32 v6, vcc_lo, v6
	v_cmp_gt_i32_e32 vcc_lo, 0, v194
	v_and_b32_e32 v3, v3, v5
	v_not_b32_e32 v5, v7
	v_ashrrev_i32_e32 v4, 31, v4
	v_xor_b32_e32 v45, s17, v45
	v_mul_u32_u24_e32 v2, 9, v2
	v_and_b32_e32 v3, v3, v6
	v_cmp_gt_i32_e64 s17, 0, v7
	v_ashrrev_i32_e32 v5, 31, v5
	v_xor_b32_e32 v4, vcc_lo, v4
	v_add_lshl_u32 v6, v2, v122, 2
	v_and_b32_e32 v3, v3, v45
	s_delay_alu instid0(VALU_DEP_4) | instskip(SKIP_3) | instid1(VALU_DEP_2)
	v_xor_b32_e32 v2, s17, v5
	ds_load_b32 v195, v6 offset:1056
	v_and_b32_e32 v3, v3, v4
	v_add_nc_u32_e32 v197, 0x420, v6
	; wave barrier
	v_and_b32_e32 v2, v3, v2
	s_delay_alu instid0(VALU_DEP_1) | instskip(SKIP_1) | instid1(VALU_DEP_2)
	v_mbcnt_lo_u32_b32 v196, v2, 0
	v_cmp_ne_u32_e64 s17, 0, v2
	v_cmp_eq_u32_e32 vcc_lo, 0, v196
	s_delay_alu instid0(VALU_DEP_2) | instskip(NEXT) | instid1(SALU_CYCLE_1)
	s_and_b32 s18, s17, vcc_lo
	s_and_saveexec_b32 s17, s18
	s_cbranch_execz .LBB1051_1042
; %bb.1041:                             ;   in Loop: Header=BB1051_990 Depth=2
	s_waitcnt lgkmcnt(0)
	v_bcnt_u32_b32 v2, v2, v195
	ds_store_b32 v197, v2
.LBB1051_1042:                          ;   in Loop: Header=BB1051_990 Depth=2
	s_or_b32 exec_lo, exec_lo, s17
	v_lshrrev_b32_e32 v194, 16, v9
	; wave barrier
	s_delay_alu instid0(VALU_DEP_1) | instskip(NEXT) | instid1(VALU_DEP_1)
	v_lshrrev_b32_e32 v2, s57, v194
	v_and_b32_e32 v2, s43, v2
	s_delay_alu instid0(VALU_DEP_1)
	v_and_b32_e32 v3, 1, v2
	v_lshlrev_b32_e32 v4, 30, v2
	v_lshlrev_b32_e32 v5, 29, v2
	;; [unrolled: 1-line block ×4, first 2 shown]
	v_add_co_u32 v3, s17, v3, -1
	s_delay_alu instid0(VALU_DEP_1)
	v_cndmask_b32_e64 v7, 0, 1, s17
	v_not_b32_e32 v199, v4
	v_cmp_gt_i32_e64 s17, 0, v4
	v_not_b32_e32 v4, v5
	v_lshlrev_b32_e32 v46, 26, v2
	v_cmp_ne_u32_e32 vcc_lo, 0, v7
	v_ashrrev_i32_e32 v199, 31, v199
	v_lshlrev_b32_e32 v198, 25, v2
	v_ashrrev_i32_e32 v4, 31, v4
	v_lshlrev_b32_e32 v7, 24, v2
	v_xor_b32_e32 v3, vcc_lo, v3
	v_cmp_gt_i32_e32 vcc_lo, 0, v5
	v_not_b32_e32 v5, v6
	v_xor_b32_e32 v199, s17, v199
	v_cmp_gt_i32_e64 s17, 0, v6
	v_and_b32_e32 v3, exec_lo, v3
	v_not_b32_e32 v6, v45
	v_ashrrev_i32_e32 v5, 31, v5
	v_xor_b32_e32 v4, vcc_lo, v4
	v_cmp_gt_i32_e32 vcc_lo, 0, v45
	v_and_b32_e32 v3, v3, v199
	v_not_b32_e32 v45, v46
	v_ashrrev_i32_e32 v6, 31, v6
	v_xor_b32_e32 v5, s17, v5
	v_cmp_gt_i32_e64 s17, 0, v46
	v_and_b32_e32 v3, v3, v4
	v_not_b32_e32 v4, v198
	v_ashrrev_i32_e32 v45, 31, v45
	v_xor_b32_e32 v6, vcc_lo, v6
	v_cmp_gt_i32_e32 vcc_lo, 0, v198
	v_and_b32_e32 v3, v3, v5
	v_not_b32_e32 v5, v7
	v_ashrrev_i32_e32 v4, 31, v4
	v_xor_b32_e32 v45, s17, v45
	v_mul_u32_u24_e32 v2, 9, v2
	v_and_b32_e32 v3, v3, v6
	v_cmp_gt_i32_e64 s17, 0, v7
	v_ashrrev_i32_e32 v5, 31, v5
	v_xor_b32_e32 v4, vcc_lo, v4
	v_add_lshl_u32 v6, v2, v122, 2
	v_and_b32_e32 v3, v3, v45
	s_delay_alu instid0(VALU_DEP_4) | instskip(SKIP_3) | instid1(VALU_DEP_2)
	v_xor_b32_e32 v2, s17, v5
	ds_load_b32 v198, v6 offset:1056
	v_and_b32_e32 v3, v3, v4
	v_add_nc_u32_e32 v200, 0x420, v6
	; wave barrier
	v_and_b32_e32 v2, v3, v2
	s_delay_alu instid0(VALU_DEP_1) | instskip(SKIP_1) | instid1(VALU_DEP_2)
	v_mbcnt_lo_u32_b32 v199, v2, 0
	v_cmp_ne_u32_e64 s17, 0, v2
	v_cmp_eq_u32_e32 vcc_lo, 0, v199
	s_delay_alu instid0(VALU_DEP_2) | instskip(NEXT) | instid1(SALU_CYCLE_1)
	s_and_b32 s18, s17, vcc_lo
	s_and_saveexec_b32 s17, s18
	s_cbranch_execz .LBB1051_1044
; %bb.1043:                             ;   in Loop: Header=BB1051_990 Depth=2
	s_waitcnt lgkmcnt(0)
	v_bcnt_u32_b32 v2, v2, v198
	ds_store_b32 v200, v2
.LBB1051_1044:                          ;   in Loop: Header=BB1051_990 Depth=2
	s_or_b32 exec_lo, exec_lo, s17
	; wave barrier
	s_waitcnt lgkmcnt(0)
	s_barrier
	buffer_gl0_inv
	ds_load_b32 v201, v73 offset:1056
	ds_load_2addr_b32 v[45:46], v75 offset0:1 offset1:2
	ds_load_2addr_b32 v[6:7], v75 offset0:3 offset1:4
	;; [unrolled: 1-line block ×4, first 2 shown]
	s_waitcnt lgkmcnt(3)
	v_add3_u32 v202, v45, v201, v46
	s_waitcnt lgkmcnt(2)
	s_delay_alu instid0(VALU_DEP_1) | instskip(SKIP_1) | instid1(VALU_DEP_1)
	v_add3_u32 v202, v202, v6, v7
	s_waitcnt lgkmcnt(1)
	v_add3_u32 v202, v202, v2, v3
	s_waitcnt lgkmcnt(0)
	s_delay_alu instid0(VALU_DEP_1) | instskip(NEXT) | instid1(VALU_DEP_1)
	v_add3_u32 v5, v202, v4, v5
	v_mov_b32_dpp v202, v5 row_shr:1 row_mask:0xf bank_mask:0xf
	s_delay_alu instid0(VALU_DEP_1) | instskip(NEXT) | instid1(VALU_DEP_1)
	v_cndmask_b32_e64 v202, v202, 0, s1
	v_add_nc_u32_e32 v5, v202, v5
	s_delay_alu instid0(VALU_DEP_1) | instskip(NEXT) | instid1(VALU_DEP_1)
	v_mov_b32_dpp v202, v5 row_shr:2 row_mask:0xf bank_mask:0xf
	v_cndmask_b32_e64 v202, 0, v202, s7
	s_delay_alu instid0(VALU_DEP_1) | instskip(NEXT) | instid1(VALU_DEP_1)
	v_add_nc_u32_e32 v5, v5, v202
	v_mov_b32_dpp v202, v5 row_shr:4 row_mask:0xf bank_mask:0xf
	s_delay_alu instid0(VALU_DEP_1) | instskip(NEXT) | instid1(VALU_DEP_1)
	v_cndmask_b32_e64 v202, 0, v202, s8
	v_add_nc_u32_e32 v5, v5, v202
	s_delay_alu instid0(VALU_DEP_1) | instskip(NEXT) | instid1(VALU_DEP_1)
	v_mov_b32_dpp v202, v5 row_shr:8 row_mask:0xf bank_mask:0xf
	v_cndmask_b32_e64 v202, 0, v202, s9
	s_delay_alu instid0(VALU_DEP_1) | instskip(SKIP_3) | instid1(VALU_DEP_1)
	v_add_nc_u32_e32 v5, v5, v202
	ds_swizzle_b32 v202, v5 offset:swizzle(BROADCAST,32,15)
	s_waitcnt lgkmcnt(0)
	v_cndmask_b32_e64 v202, v202, 0, s10
	v_add_nc_u32_e32 v5, v5, v202
	s_and_saveexec_b32 s17, s3
	s_cbranch_execz .LBB1051_1046
; %bb.1045:                             ;   in Loop: Header=BB1051_990 Depth=2
	ds_store_b32 v65, v5 offset:1024
.LBB1051_1046:                          ;   in Loop: Header=BB1051_990 Depth=2
	s_or_b32 exec_lo, exec_lo, s17
	s_waitcnt lgkmcnt(0)
	s_barrier
	buffer_gl0_inv
	s_and_saveexec_b32 s17, s4
	s_cbranch_execz .LBB1051_1048
; %bb.1047:                             ;   in Loop: Header=BB1051_990 Depth=2
	ds_load_b32 v202, v76 offset:1024
	s_waitcnt lgkmcnt(0)
	v_mov_b32_dpp v203, v202 row_shr:1 row_mask:0xf bank_mask:0xf
	s_delay_alu instid0(VALU_DEP_1) | instskip(NEXT) | instid1(VALU_DEP_1)
	v_cndmask_b32_e64 v203, v203, 0, s12
	v_add_nc_u32_e32 v202, v203, v202
	s_delay_alu instid0(VALU_DEP_1) | instskip(NEXT) | instid1(VALU_DEP_1)
	v_mov_b32_dpp v203, v202 row_shr:2 row_mask:0xf bank_mask:0xf
	v_cndmask_b32_e64 v203, 0, v203, s13
	s_delay_alu instid0(VALU_DEP_1) | instskip(NEXT) | instid1(VALU_DEP_1)
	v_add_nc_u32_e32 v202, v202, v203
	v_mov_b32_dpp v203, v202 row_shr:4 row_mask:0xf bank_mask:0xf
	s_delay_alu instid0(VALU_DEP_1) | instskip(NEXT) | instid1(VALU_DEP_1)
	v_cndmask_b32_e64 v203, 0, v203, s16
	v_add_nc_u32_e32 v202, v202, v203
	ds_store_b32 v76, v202 offset:1024
.LBB1051_1048:                          ;   in Loop: Header=BB1051_990 Depth=2
	s_or_b32 exec_lo, exec_lo, s17
	v_mov_b32_e32 v202, 0
	s_waitcnt lgkmcnt(0)
	s_barrier
	buffer_gl0_inv
	s_and_saveexec_b32 s17, s5
	s_cbranch_execz .LBB1051_1050
; %bb.1049:                             ;   in Loop: Header=BB1051_990 Depth=2
	ds_load_b32 v202, v65 offset:1020
.LBB1051_1050:                          ;   in Loop: Header=BB1051_990 Depth=2
	s_or_b32 exec_lo, exec_lo, s17
	s_waitcnt lgkmcnt(0)
	v_add_nc_u32_e32 v5, v202, v5
	ds_bpermute_b32 v5, v101, v5
	s_waitcnt lgkmcnt(0)
	v_cndmask_b32_e64 v5, v5, v202, s11
	s_delay_alu instid0(VALU_DEP_1) | instskip(NEXT) | instid1(VALU_DEP_1)
	v_cndmask_b32_e64 v5, v5, 0, s0
	v_add_nc_u32_e32 v201, v5, v201
	s_delay_alu instid0(VALU_DEP_1) | instskip(NEXT) | instid1(VALU_DEP_1)
	v_add_nc_u32_e32 v45, v201, v45
	v_add_nc_u32_e32 v46, v45, v46
	s_delay_alu instid0(VALU_DEP_1) | instskip(NEXT) | instid1(VALU_DEP_1)
	v_add_nc_u32_e32 v6, v46, v6
	;; [unrolled: 3-line block ×3, first 2 shown]
	v_add_nc_u32_e32 v3, v2, v3
	s_delay_alu instid0(VALU_DEP_1)
	v_add_nc_u32_e32 v4, v3, v4
	ds_store_b32 v73, v5 offset:1056
	ds_store_2addr_b32 v75, v201, v45 offset0:1 offset1:2
	ds_store_2addr_b32 v75, v46, v6 offset0:3 offset1:4
	;; [unrolled: 1-line block ×4, first 2 shown]
	v_mov_b32_e32 v4, 0x1000
	s_waitcnt lgkmcnt(0)
	s_barrier
	buffer_gl0_inv
	ds_load_b32 v5, v147
	ds_load_b32 v6, v151
	;; [unrolled: 1-line block ×16, first 2 shown]
	ds_load_b32 v143, v73 offset:1056
	s_and_saveexec_b32 s17, s6
	s_cbranch_execz .LBB1051_1052
; %bb.1051:                             ;   in Loop: Header=BB1051_990 Depth=2
	ds_load_b32 v4, v77 offset:1056
.LBB1051_1052:                          ;   in Loop: Header=BB1051_990 Depth=2
	s_or_b32 exec_lo, exec_lo, s17
	s_waitcnt lgkmcnt(0)
	s_barrier
	buffer_gl0_inv
	s_and_saveexec_b32 s17, s2
	s_cbranch_execz .LBB1051_1054
; %bb.1053:                             ;   in Loop: Header=BB1051_990 Depth=2
	ds_load_b32 v147, v47
	s_waitcnt lgkmcnt(0)
	v_sub_nc_u32_e32 v143, v147, v143
	ds_store_b32 v47, v143
.LBB1051_1054:                          ;   in Loop: Header=BB1051_990 Depth=2
	s_or_b32 exec_lo, exec_lo, s17
	v_add_nc_u32_e32 v159, v8, v141
	v_add3_u32 v155, v146, v145, v5
	v_add3_u32 v151, v150, v149, v6
	;; [unrolled: 1-line block ×4, first 2 shown]
	v_lshlrev_b32_e32 v153, 1, v159
	v_add3_u32 v147, v162, v161, v46
	v_add3_u32 v146, v166, v165, v163
	;; [unrolled: 1-line block ×3, first 2 shown]
	v_lshlrev_b32_e32 v2, 1, v155
	v_add3_u32 v145, v170, v169, v167
	v_add3_u32 v7, v199, v198, v3
	v_lshlrev_b32_e32 v3, 1, v151
	ds_store_b16 v153, v19 offset:1024
	v_lshlrev_b32_e32 v19, 1, v150
	v_lshlrev_b32_e32 v153, 1, v149
	v_add3_u32 v143, v174, v173, v171
	v_add3_u32 v46, v182, v181, v179
	ds_store_b16 v2, v142 offset:1024
	ds_store_b16 v3, v144 offset:1024
	v_lshlrev_b32_e32 v2, 1, v147
	v_lshlrev_b32_e32 v3, 1, v146
	v_add3_u32 v141, v178, v177, v175
	ds_store_b16 v19, v148 offset:1024
	ds_store_b16 v153, v152 offset:1024
	v_lshlrev_b32_e32 v19, 1, v145
	v_add3_u32 v8, v186, v185, v183
	v_add3_u32 v5, v192, v191, v193
	ds_store_b16 v2, v156 offset:1024
	v_lshlrev_b32_e32 v2, 1, v143
	ds_store_b16 v3, v160 offset:1024
	ds_store_b16 v19, v164 offset:1024
	v_lshlrev_b32_e32 v3, 1, v46
	v_add3_u32 v6, v190, v189, v187
	v_lshlrev_b32_e32 v142, 1, v141
	ds_store_b16 v2, v168 offset:1024
	ds_store_b16 v142, v172 offset:1024
	v_lshlrev_b32_e32 v2, 1, v8
	ds_store_b16 v3, v176 offset:1024
	v_lshlrev_b32_e32 v3, 1, v5
	v_lshlrev_b32_e32 v19, 1, v6
	;; [unrolled: 1-line block ×3, first 2 shown]
	ds_store_b16 v2, v180 offset:1024
	ds_store_b16 v19, v184 offset:1024
	v_lshlrev_b32_e32 v2, 1, v7
	ds_store_b16 v3, v188 offset:1024
	ds_store_b16 v142, v9 offset:1024
	v_cmp_lt_u32_e32 vcc_lo, v18, v0
	v_add_nc_u32_e32 v142, v76, v82
	ds_store_b16 v2, v194 offset:1024
	s_waitcnt lgkmcnt(0)
	s_barrier
	buffer_gl0_inv
	s_and_saveexec_b32 s18, vcc_lo
	s_cbranch_execz .LBB1051_1070
; %bb.1055:                             ;   in Loop: Header=BB1051_990 Depth=2
	ds_load_u16 v144, v142 offset:1024
	s_waitcnt lgkmcnt(0)
	v_and_b32_e32 v2, 0xffff, v144
	s_delay_alu instid0(VALU_DEP_1) | instskip(NEXT) | instid1(VALU_DEP_1)
	v_lshrrev_b32_e32 v2, s57, v2
	v_and_b32_e32 v2, s43, v2
	s_delay_alu instid0(VALU_DEP_1) | instskip(SKIP_3) | instid1(VALU_DEP_1)
	v_lshlrev_b32_e32 v2, 2, v2
	ds_load_b32 v2, v2
	s_waitcnt lgkmcnt(0)
	v_add_nc_u32_e32 v19, v2, v18
	v_lshlrev_b64 v[2:3], 1, v[19:20]
	v_xor_b32_e32 v19, 0xffff8000, v144
	s_delay_alu instid0(VALU_DEP_2) | instskip(NEXT) | instid1(VALU_DEP_1)
	v_add_co_u32 v2, s17, s40, v2
	v_add_co_ci_u32_e64 v3, s17, s41, v3, s17
	global_store_b16 v[2:3], v19, off
	s_or_b32 exec_lo, exec_lo, s18
	v_cmp_lt_u32_e64 s17, v48, v0
	s_delay_alu instid0(VALU_DEP_1)
	s_and_saveexec_b32 s19, s17
	s_cbranch_execnz .LBB1051_1071
.LBB1051_1056:                          ;   in Loop: Header=BB1051_990 Depth=2
	s_or_b32 exec_lo, exec_lo, s19
	v_cmp_lt_u32_e64 s18, v49, v0
	s_delay_alu instid0(VALU_DEP_1)
	s_and_saveexec_b32 s20, s18
	s_cbranch_execz .LBB1051_1072
.LBB1051_1057:                          ;   in Loop: Header=BB1051_990 Depth=2
	ds_load_u16 v144, v83 offset:1024
	s_waitcnt lgkmcnt(0)
	v_and_b32_e32 v2, 0xffff, v144
	s_delay_alu instid0(VALU_DEP_1) | instskip(NEXT) | instid1(VALU_DEP_1)
	v_lshrrev_b32_e32 v2, s57, v2
	v_and_b32_e32 v2, s43, v2
	s_delay_alu instid0(VALU_DEP_1) | instskip(SKIP_3) | instid1(VALU_DEP_1)
	v_lshlrev_b32_e32 v2, 2, v2
	ds_load_b32 v2, v2
	s_waitcnt lgkmcnt(0)
	v_add_nc_u32_e32 v19, v2, v49
	v_lshlrev_b64 v[2:3], 1, v[19:20]
	v_xor_b32_e32 v19, 0xffff8000, v144
	s_delay_alu instid0(VALU_DEP_2) | instskip(NEXT) | instid1(VALU_DEP_1)
	v_add_co_u32 v2, s19, s40, v2
	v_add_co_ci_u32_e64 v3, s19, s41, v3, s19
	global_store_b16 v[2:3], v19, off
	s_or_b32 exec_lo, exec_lo, s20
	v_cmp_lt_u32_e64 s19, v50, v0
	s_delay_alu instid0(VALU_DEP_1)
	s_and_saveexec_b32 s21, s19
	s_cbranch_execnz .LBB1051_1073
.LBB1051_1058:                          ;   in Loop: Header=BB1051_990 Depth=2
	s_or_b32 exec_lo, exec_lo, s21
	v_cmp_lt_u32_e64 s20, v54, v0
	s_delay_alu instid0(VALU_DEP_1)
	s_and_saveexec_b32 s22, s20
	s_cbranch_execz .LBB1051_1074
.LBB1051_1059:                          ;   in Loop: Header=BB1051_990 Depth=2
	ds_load_u16 v144, v83 offset:2048
	s_waitcnt lgkmcnt(0)
	v_and_b32_e32 v2, 0xffff, v144
	s_delay_alu instid0(VALU_DEP_1) | instskip(NEXT) | instid1(VALU_DEP_1)
	v_lshrrev_b32_e32 v2, s57, v2
	v_and_b32_e32 v2, s43, v2
	s_delay_alu instid0(VALU_DEP_1) | instskip(SKIP_3) | instid1(VALU_DEP_1)
	v_lshlrev_b32_e32 v2, 2, v2
	ds_load_b32 v2, v2
	s_waitcnt lgkmcnt(0)
	v_add_nc_u32_e32 v19, v2, v54
	v_lshlrev_b64 v[2:3], 1, v[19:20]
	v_xor_b32_e32 v19, 0xffff8000, v144
	s_delay_alu instid0(VALU_DEP_2) | instskip(NEXT) | instid1(VALU_DEP_1)
	v_add_co_u32 v2, s21, s40, v2
	v_add_co_ci_u32_e64 v3, s21, s41, v3, s21
	global_store_b16 v[2:3], v19, off
	s_or_b32 exec_lo, exec_lo, s22
	v_cmp_lt_u32_e64 s21, v55, v0
	s_delay_alu instid0(VALU_DEP_1)
	s_and_saveexec_b32 s23, s21
	s_cbranch_execnz .LBB1051_1075
.LBB1051_1060:                          ;   in Loop: Header=BB1051_990 Depth=2
	s_or_b32 exec_lo, exec_lo, s23
	v_cmp_lt_u32_e64 s22, v56, v0
	s_delay_alu instid0(VALU_DEP_1)
	s_and_saveexec_b32 s24, s22
	s_cbranch_execz .LBB1051_1076
.LBB1051_1061:                          ;   in Loop: Header=BB1051_990 Depth=2
	ds_load_u16 v144, v83 offset:3072
	s_waitcnt lgkmcnt(0)
	v_and_b32_e32 v2, 0xffff, v144
	s_delay_alu instid0(VALU_DEP_1) | instskip(NEXT) | instid1(VALU_DEP_1)
	v_lshrrev_b32_e32 v2, s57, v2
	v_and_b32_e32 v2, s43, v2
	s_delay_alu instid0(VALU_DEP_1) | instskip(SKIP_3) | instid1(VALU_DEP_1)
	v_lshlrev_b32_e32 v2, 2, v2
	ds_load_b32 v2, v2
	s_waitcnt lgkmcnt(0)
	v_add_nc_u32_e32 v19, v2, v56
	v_lshlrev_b64 v[2:3], 1, v[19:20]
	v_xor_b32_e32 v19, 0xffff8000, v144
	s_delay_alu instid0(VALU_DEP_2) | instskip(NEXT) | instid1(VALU_DEP_1)
	v_add_co_u32 v2, s23, s40, v2
	v_add_co_ci_u32_e64 v3, s23, s41, v3, s23
	global_store_b16 v[2:3], v19, off
	s_or_b32 exec_lo, exec_lo, s24
	v_cmp_lt_u32_e64 s23, v57, v0
	s_delay_alu instid0(VALU_DEP_1)
	s_and_saveexec_b32 s25, s23
	s_cbranch_execnz .LBB1051_1077
.LBB1051_1062:                          ;   in Loop: Header=BB1051_990 Depth=2
	s_or_b32 exec_lo, exec_lo, s25
	v_cmp_lt_u32_e64 s24, v58, v0
	s_delay_alu instid0(VALU_DEP_1)
	s_and_saveexec_b32 s26, s24
	s_cbranch_execz .LBB1051_1078
.LBB1051_1063:                          ;   in Loop: Header=BB1051_990 Depth=2
	ds_load_u16 v144, v83 offset:4096
	s_waitcnt lgkmcnt(0)
	v_and_b32_e32 v2, 0xffff, v144
	s_delay_alu instid0(VALU_DEP_1) | instskip(NEXT) | instid1(VALU_DEP_1)
	v_lshrrev_b32_e32 v2, s57, v2
	v_and_b32_e32 v2, s43, v2
	s_delay_alu instid0(VALU_DEP_1) | instskip(SKIP_3) | instid1(VALU_DEP_1)
	v_lshlrev_b32_e32 v2, 2, v2
	ds_load_b32 v2, v2
	s_waitcnt lgkmcnt(0)
	v_add_nc_u32_e32 v19, v2, v58
	v_lshlrev_b64 v[2:3], 1, v[19:20]
	v_xor_b32_e32 v19, 0xffff8000, v144
	s_delay_alu instid0(VALU_DEP_2) | instskip(NEXT) | instid1(VALU_DEP_1)
	v_add_co_u32 v2, s25, s40, v2
	v_add_co_ci_u32_e64 v3, s25, s41, v3, s25
	global_store_b16 v[2:3], v19, off
	s_or_b32 exec_lo, exec_lo, s26
	v_cmp_lt_u32_e64 s25, v59, v0
	s_delay_alu instid0(VALU_DEP_1)
	s_and_saveexec_b32 s27, s25
	s_cbranch_execnz .LBB1051_1079
.LBB1051_1064:                          ;   in Loop: Header=BB1051_990 Depth=2
	s_or_b32 exec_lo, exec_lo, s27
	v_cmp_lt_u32_e64 s26, v60, v0
	s_delay_alu instid0(VALU_DEP_1)
	s_and_saveexec_b32 s28, s26
	s_cbranch_execz .LBB1051_1080
.LBB1051_1065:                          ;   in Loop: Header=BB1051_990 Depth=2
	ds_load_u16 v144, v83 offset:5120
	s_waitcnt lgkmcnt(0)
	v_and_b32_e32 v2, 0xffff, v144
	s_delay_alu instid0(VALU_DEP_1) | instskip(NEXT) | instid1(VALU_DEP_1)
	v_lshrrev_b32_e32 v2, s57, v2
	v_and_b32_e32 v2, s43, v2
	s_delay_alu instid0(VALU_DEP_1) | instskip(SKIP_3) | instid1(VALU_DEP_1)
	v_lshlrev_b32_e32 v2, 2, v2
	ds_load_b32 v2, v2
	s_waitcnt lgkmcnt(0)
	v_add_nc_u32_e32 v19, v2, v60
	v_lshlrev_b64 v[2:3], 1, v[19:20]
	v_xor_b32_e32 v19, 0xffff8000, v144
	s_delay_alu instid0(VALU_DEP_2) | instskip(NEXT) | instid1(VALU_DEP_1)
	v_add_co_u32 v2, s27, s40, v2
	v_add_co_ci_u32_e64 v3, s27, s41, v3, s27
	global_store_b16 v[2:3], v19, off
	s_or_b32 exec_lo, exec_lo, s28
	v_cmp_lt_u32_e64 s27, v61, v0
	s_delay_alu instid0(VALU_DEP_1)
	s_and_saveexec_b32 s29, s27
	s_cbranch_execnz .LBB1051_1081
.LBB1051_1066:                          ;   in Loop: Header=BB1051_990 Depth=2
	s_or_b32 exec_lo, exec_lo, s29
	v_cmp_lt_u32_e64 s28, v62, v0
	s_delay_alu instid0(VALU_DEP_1)
	s_and_saveexec_b32 s30, s28
	s_cbranch_execz .LBB1051_1082
.LBB1051_1067:                          ;   in Loop: Header=BB1051_990 Depth=2
	ds_load_u16 v144, v83 offset:6144
	s_waitcnt lgkmcnt(0)
	v_and_b32_e32 v2, 0xffff, v144
	s_delay_alu instid0(VALU_DEP_1) | instskip(NEXT) | instid1(VALU_DEP_1)
	v_lshrrev_b32_e32 v2, s57, v2
	v_and_b32_e32 v2, s43, v2
	s_delay_alu instid0(VALU_DEP_1) | instskip(SKIP_3) | instid1(VALU_DEP_1)
	v_lshlrev_b32_e32 v2, 2, v2
	ds_load_b32 v2, v2
	s_waitcnt lgkmcnt(0)
	v_add_nc_u32_e32 v19, v2, v62
	v_lshlrev_b64 v[2:3], 1, v[19:20]
	v_xor_b32_e32 v19, 0xffff8000, v144
	s_delay_alu instid0(VALU_DEP_2) | instskip(NEXT) | instid1(VALU_DEP_1)
	v_add_co_u32 v2, s29, s40, v2
	v_add_co_ci_u32_e64 v3, s29, s41, v3, s29
	global_store_b16 v[2:3], v19, off
	s_or_b32 exec_lo, exec_lo, s30
	v_cmp_lt_u32_e64 s29, v63, v0
	s_delay_alu instid0(VALU_DEP_1)
	s_and_saveexec_b32 s31, s29
	s_cbranch_execnz .LBB1051_1083
.LBB1051_1068:                          ;   in Loop: Header=BB1051_990 Depth=2
	s_or_b32 exec_lo, exec_lo, s31
	v_cmp_lt_u32_e64 s30, v64, v0
	s_delay_alu instid0(VALU_DEP_1)
	s_and_saveexec_b32 s33, s30
	s_cbranch_execz .LBB1051_1084
.LBB1051_1069:                          ;   in Loop: Header=BB1051_990 Depth=2
	ds_load_u16 v144, v83 offset:7168
	s_waitcnt lgkmcnt(0)
	v_and_b32_e32 v2, 0xffff, v144
	s_delay_alu instid0(VALU_DEP_1) | instskip(NEXT) | instid1(VALU_DEP_1)
	v_lshrrev_b32_e32 v2, s57, v2
	v_and_b32_e32 v2, s43, v2
	s_delay_alu instid0(VALU_DEP_1) | instskip(SKIP_3) | instid1(VALU_DEP_1)
	v_lshlrev_b32_e32 v2, 2, v2
	ds_load_b32 v2, v2
	s_waitcnt lgkmcnt(0)
	v_add_nc_u32_e32 v19, v2, v64
	v_lshlrev_b64 v[2:3], 1, v[19:20]
	v_xor_b32_e32 v19, 0xffff8000, v144
	s_delay_alu instid0(VALU_DEP_2) | instskip(NEXT) | instid1(VALU_DEP_1)
	v_add_co_u32 v2, s31, s40, v2
	v_add_co_ci_u32_e64 v3, s31, s41, v3, s31
	global_store_b16 v[2:3], v19, off
	s_or_b32 exec_lo, exec_lo, s33
	v_cmp_lt_u32_e64 s31, v66, v0
	s_delay_alu instid0(VALU_DEP_1)
	s_and_saveexec_b32 s45, s31
	s_cbranch_execnz .LBB1051_1085
	s_branch .LBB1051_1086
.LBB1051_1070:                          ;   in Loop: Header=BB1051_990 Depth=2
	s_or_b32 exec_lo, exec_lo, s18
	v_cmp_lt_u32_e64 s17, v48, v0
	s_delay_alu instid0(VALU_DEP_1)
	s_and_saveexec_b32 s19, s17
	s_cbranch_execz .LBB1051_1056
.LBB1051_1071:                          ;   in Loop: Header=BB1051_990 Depth=2
	ds_load_u16 v144, v83 offset:512
	s_waitcnt lgkmcnt(0)
	v_and_b32_e32 v2, 0xffff, v144
	s_delay_alu instid0(VALU_DEP_1) | instskip(NEXT) | instid1(VALU_DEP_1)
	v_lshrrev_b32_e32 v2, s57, v2
	v_and_b32_e32 v2, s43, v2
	s_delay_alu instid0(VALU_DEP_1) | instskip(SKIP_3) | instid1(VALU_DEP_1)
	v_lshlrev_b32_e32 v2, 2, v2
	ds_load_b32 v2, v2
	s_waitcnt lgkmcnt(0)
	v_add_nc_u32_e32 v19, v2, v48
	v_lshlrev_b64 v[2:3], 1, v[19:20]
	v_xor_b32_e32 v19, 0xffff8000, v144
	s_delay_alu instid0(VALU_DEP_2) | instskip(NEXT) | instid1(VALU_DEP_1)
	v_add_co_u32 v2, s18, s40, v2
	v_add_co_ci_u32_e64 v3, s18, s41, v3, s18
	global_store_b16 v[2:3], v19, off
	s_or_b32 exec_lo, exec_lo, s19
	v_cmp_lt_u32_e64 s18, v49, v0
	s_delay_alu instid0(VALU_DEP_1)
	s_and_saveexec_b32 s20, s18
	s_cbranch_execnz .LBB1051_1057
.LBB1051_1072:                          ;   in Loop: Header=BB1051_990 Depth=2
	s_or_b32 exec_lo, exec_lo, s20
	v_cmp_lt_u32_e64 s19, v50, v0
	s_delay_alu instid0(VALU_DEP_1)
	s_and_saveexec_b32 s21, s19
	s_cbranch_execz .LBB1051_1058
.LBB1051_1073:                          ;   in Loop: Header=BB1051_990 Depth=2
	ds_load_u16 v144, v83 offset:1536
	s_waitcnt lgkmcnt(0)
	v_and_b32_e32 v2, 0xffff, v144
	s_delay_alu instid0(VALU_DEP_1) | instskip(NEXT) | instid1(VALU_DEP_1)
	v_lshrrev_b32_e32 v2, s57, v2
	v_and_b32_e32 v2, s43, v2
	s_delay_alu instid0(VALU_DEP_1) | instskip(SKIP_3) | instid1(VALU_DEP_1)
	v_lshlrev_b32_e32 v2, 2, v2
	ds_load_b32 v2, v2
	s_waitcnt lgkmcnt(0)
	v_add_nc_u32_e32 v19, v2, v50
	v_lshlrev_b64 v[2:3], 1, v[19:20]
	v_xor_b32_e32 v19, 0xffff8000, v144
	s_delay_alu instid0(VALU_DEP_2) | instskip(NEXT) | instid1(VALU_DEP_1)
	v_add_co_u32 v2, s20, s40, v2
	v_add_co_ci_u32_e64 v3, s20, s41, v3, s20
	global_store_b16 v[2:3], v19, off
	s_or_b32 exec_lo, exec_lo, s21
	v_cmp_lt_u32_e64 s20, v54, v0
	s_delay_alu instid0(VALU_DEP_1)
	s_and_saveexec_b32 s22, s20
	s_cbranch_execnz .LBB1051_1059
.LBB1051_1074:                          ;   in Loop: Header=BB1051_990 Depth=2
	s_or_b32 exec_lo, exec_lo, s22
	v_cmp_lt_u32_e64 s21, v55, v0
	s_delay_alu instid0(VALU_DEP_1)
	s_and_saveexec_b32 s23, s21
	s_cbranch_execz .LBB1051_1060
.LBB1051_1075:                          ;   in Loop: Header=BB1051_990 Depth=2
	ds_load_u16 v144, v83 offset:2560
	s_waitcnt lgkmcnt(0)
	v_and_b32_e32 v2, 0xffff, v144
	s_delay_alu instid0(VALU_DEP_1) | instskip(NEXT) | instid1(VALU_DEP_1)
	v_lshrrev_b32_e32 v2, s57, v2
	v_and_b32_e32 v2, s43, v2
	s_delay_alu instid0(VALU_DEP_1) | instskip(SKIP_3) | instid1(VALU_DEP_1)
	v_lshlrev_b32_e32 v2, 2, v2
	ds_load_b32 v2, v2
	s_waitcnt lgkmcnt(0)
	v_add_nc_u32_e32 v19, v2, v55
	v_lshlrev_b64 v[2:3], 1, v[19:20]
	v_xor_b32_e32 v19, 0xffff8000, v144
	s_delay_alu instid0(VALU_DEP_2) | instskip(NEXT) | instid1(VALU_DEP_1)
	v_add_co_u32 v2, s22, s40, v2
	v_add_co_ci_u32_e64 v3, s22, s41, v3, s22
	global_store_b16 v[2:3], v19, off
	s_or_b32 exec_lo, exec_lo, s23
	v_cmp_lt_u32_e64 s22, v56, v0
	s_delay_alu instid0(VALU_DEP_1)
	s_and_saveexec_b32 s24, s22
	s_cbranch_execnz .LBB1051_1061
.LBB1051_1076:                          ;   in Loop: Header=BB1051_990 Depth=2
	s_or_b32 exec_lo, exec_lo, s24
	v_cmp_lt_u32_e64 s23, v57, v0
	s_delay_alu instid0(VALU_DEP_1)
	s_and_saveexec_b32 s25, s23
	s_cbranch_execz .LBB1051_1062
.LBB1051_1077:                          ;   in Loop: Header=BB1051_990 Depth=2
	ds_load_u16 v144, v83 offset:3584
	s_waitcnt lgkmcnt(0)
	v_and_b32_e32 v2, 0xffff, v144
	s_delay_alu instid0(VALU_DEP_1) | instskip(NEXT) | instid1(VALU_DEP_1)
	v_lshrrev_b32_e32 v2, s57, v2
	v_and_b32_e32 v2, s43, v2
	s_delay_alu instid0(VALU_DEP_1) | instskip(SKIP_3) | instid1(VALU_DEP_1)
	v_lshlrev_b32_e32 v2, 2, v2
	ds_load_b32 v2, v2
	s_waitcnt lgkmcnt(0)
	v_add_nc_u32_e32 v19, v2, v57
	v_lshlrev_b64 v[2:3], 1, v[19:20]
	v_xor_b32_e32 v19, 0xffff8000, v144
	s_delay_alu instid0(VALU_DEP_2) | instskip(NEXT) | instid1(VALU_DEP_1)
	v_add_co_u32 v2, s24, s40, v2
	v_add_co_ci_u32_e64 v3, s24, s41, v3, s24
	global_store_b16 v[2:3], v19, off
	s_or_b32 exec_lo, exec_lo, s25
	v_cmp_lt_u32_e64 s24, v58, v0
	s_delay_alu instid0(VALU_DEP_1)
	s_and_saveexec_b32 s26, s24
	s_cbranch_execnz .LBB1051_1063
.LBB1051_1078:                          ;   in Loop: Header=BB1051_990 Depth=2
	s_or_b32 exec_lo, exec_lo, s26
	v_cmp_lt_u32_e64 s25, v59, v0
	s_delay_alu instid0(VALU_DEP_1)
	s_and_saveexec_b32 s27, s25
	s_cbranch_execz .LBB1051_1064
.LBB1051_1079:                          ;   in Loop: Header=BB1051_990 Depth=2
	ds_load_u16 v144, v83 offset:4608
	s_waitcnt lgkmcnt(0)
	v_and_b32_e32 v2, 0xffff, v144
	s_delay_alu instid0(VALU_DEP_1) | instskip(NEXT) | instid1(VALU_DEP_1)
	v_lshrrev_b32_e32 v2, s57, v2
	v_and_b32_e32 v2, s43, v2
	s_delay_alu instid0(VALU_DEP_1) | instskip(SKIP_3) | instid1(VALU_DEP_1)
	v_lshlrev_b32_e32 v2, 2, v2
	ds_load_b32 v2, v2
	s_waitcnt lgkmcnt(0)
	v_add_nc_u32_e32 v19, v2, v59
	v_lshlrev_b64 v[2:3], 1, v[19:20]
	v_xor_b32_e32 v19, 0xffff8000, v144
	s_delay_alu instid0(VALU_DEP_2) | instskip(NEXT) | instid1(VALU_DEP_1)
	v_add_co_u32 v2, s26, s40, v2
	v_add_co_ci_u32_e64 v3, s26, s41, v3, s26
	global_store_b16 v[2:3], v19, off
	s_or_b32 exec_lo, exec_lo, s27
	v_cmp_lt_u32_e64 s26, v60, v0
	s_delay_alu instid0(VALU_DEP_1)
	s_and_saveexec_b32 s28, s26
	s_cbranch_execnz .LBB1051_1065
.LBB1051_1080:                          ;   in Loop: Header=BB1051_990 Depth=2
	s_or_b32 exec_lo, exec_lo, s28
	v_cmp_lt_u32_e64 s27, v61, v0
	s_delay_alu instid0(VALU_DEP_1)
	s_and_saveexec_b32 s29, s27
	s_cbranch_execz .LBB1051_1066
.LBB1051_1081:                          ;   in Loop: Header=BB1051_990 Depth=2
	ds_load_u16 v144, v83 offset:5632
	s_waitcnt lgkmcnt(0)
	v_and_b32_e32 v2, 0xffff, v144
	s_delay_alu instid0(VALU_DEP_1) | instskip(NEXT) | instid1(VALU_DEP_1)
	v_lshrrev_b32_e32 v2, s57, v2
	v_and_b32_e32 v2, s43, v2
	s_delay_alu instid0(VALU_DEP_1) | instskip(SKIP_3) | instid1(VALU_DEP_1)
	v_lshlrev_b32_e32 v2, 2, v2
	ds_load_b32 v2, v2
	s_waitcnt lgkmcnt(0)
	v_add_nc_u32_e32 v19, v2, v61
	v_lshlrev_b64 v[2:3], 1, v[19:20]
	v_xor_b32_e32 v19, 0xffff8000, v144
	s_delay_alu instid0(VALU_DEP_2) | instskip(NEXT) | instid1(VALU_DEP_1)
	v_add_co_u32 v2, s28, s40, v2
	v_add_co_ci_u32_e64 v3, s28, s41, v3, s28
	global_store_b16 v[2:3], v19, off
	s_or_b32 exec_lo, exec_lo, s29
	v_cmp_lt_u32_e64 s28, v62, v0
	s_delay_alu instid0(VALU_DEP_1)
	s_and_saveexec_b32 s30, s28
	s_cbranch_execnz .LBB1051_1067
.LBB1051_1082:                          ;   in Loop: Header=BB1051_990 Depth=2
	s_or_b32 exec_lo, exec_lo, s30
	v_cmp_lt_u32_e64 s29, v63, v0
	s_delay_alu instid0(VALU_DEP_1)
	s_and_saveexec_b32 s31, s29
	s_cbranch_execz .LBB1051_1068
.LBB1051_1083:                          ;   in Loop: Header=BB1051_990 Depth=2
	ds_load_u16 v144, v83 offset:6656
	s_waitcnt lgkmcnt(0)
	v_and_b32_e32 v2, 0xffff, v144
	s_delay_alu instid0(VALU_DEP_1) | instskip(NEXT) | instid1(VALU_DEP_1)
	v_lshrrev_b32_e32 v2, s57, v2
	v_and_b32_e32 v2, s43, v2
	s_delay_alu instid0(VALU_DEP_1) | instskip(SKIP_3) | instid1(VALU_DEP_1)
	v_lshlrev_b32_e32 v2, 2, v2
	ds_load_b32 v2, v2
	s_waitcnt lgkmcnt(0)
	v_add_nc_u32_e32 v19, v2, v63
	v_lshlrev_b64 v[2:3], 1, v[19:20]
	v_xor_b32_e32 v19, 0xffff8000, v144
	s_delay_alu instid0(VALU_DEP_2) | instskip(NEXT) | instid1(VALU_DEP_1)
	v_add_co_u32 v2, s30, s40, v2
	v_add_co_ci_u32_e64 v3, s30, s41, v3, s30
	global_store_b16 v[2:3], v19, off
	s_or_b32 exec_lo, exec_lo, s31
	v_cmp_lt_u32_e64 s30, v64, v0
	s_delay_alu instid0(VALU_DEP_1)
	s_and_saveexec_b32 s33, s30
	s_cbranch_execnz .LBB1051_1069
.LBB1051_1084:                          ;   in Loop: Header=BB1051_990 Depth=2
	s_or_b32 exec_lo, exec_lo, s33
	v_cmp_lt_u32_e64 s31, v66, v0
	s_delay_alu instid0(VALU_DEP_1)
	s_and_saveexec_b32 s45, s31
	s_cbranch_execz .LBB1051_1086
.LBB1051_1085:                          ;   in Loop: Header=BB1051_990 Depth=2
	ds_load_u16 v144, v83 offset:7680
	s_waitcnt lgkmcnt(0)
	v_and_b32_e32 v2, 0xffff, v144
	s_delay_alu instid0(VALU_DEP_1) | instskip(NEXT) | instid1(VALU_DEP_1)
	v_lshrrev_b32_e32 v2, s57, v2
	v_and_b32_e32 v2, s43, v2
	s_delay_alu instid0(VALU_DEP_1) | instskip(SKIP_3) | instid1(VALU_DEP_1)
	v_lshlrev_b32_e32 v2, 2, v2
	ds_load_b32 v2, v2
	s_waitcnt lgkmcnt(0)
	v_add_nc_u32_e32 v19, v2, v66
	v_lshlrev_b64 v[2:3], 1, v[19:20]
	v_xor_b32_e32 v19, 0xffff8000, v144
	s_delay_alu instid0(VALU_DEP_2) | instskip(NEXT) | instid1(VALU_DEP_1)
	v_add_co_u32 v2, s33, s40, v2
	v_add_co_ci_u32_e64 v3, s33, s41, v3, s33
	global_store_b16 v[2:3], v19, off
.LBB1051_1086:                          ;   in Loop: Header=BB1051_990 Depth=2
	s_or_b32 exec_lo, exec_lo, s45
	s_lshl_b64 s[46:47], s[34:35], 3
	s_delay_alu instid0(SALU_CYCLE_1) | instskip(NEXT) | instid1(VALU_DEP_1)
	v_add_co_u32 v2, s33, v103, s46
	v_add_co_ci_u32_e64 v3, s33, s47, v104, s33
	v_cmp_lt_u32_e64 s33, v102, v0
	s_delay_alu instid0(VALU_DEP_1) | instskip(NEXT) | instid1(SALU_CYCLE_1)
	s_and_saveexec_b32 s34, s33
	s_xor_b32 s33, exec_lo, s34
	s_cbranch_execz .LBB1051_1118
; %bb.1087:                             ;   in Loop: Header=BB1051_990 Depth=2
	global_load_b64 v[43:44], v[2:3], off
	s_or_b32 exec_lo, exec_lo, s33
	s_delay_alu instid0(SALU_CYCLE_1)
	s_mov_b32 s34, exec_lo
	v_cmpx_lt_u32_e64 v105, v0
	s_cbranch_execnz .LBB1051_1119
.LBB1051_1088:                          ;   in Loop: Header=BB1051_990 Depth=2
	s_or_b32 exec_lo, exec_lo, s34
	s_delay_alu instid0(SALU_CYCLE_1)
	s_mov_b32 s34, exec_lo
	v_cmpx_lt_u32_e64 v106, v0
	s_cbranch_execz .LBB1051_1120
.LBB1051_1089:                          ;   in Loop: Header=BB1051_990 Depth=2
	global_load_b64 v[39:40], v[2:3], off offset:512
	s_or_b32 exec_lo, exec_lo, s34
	s_delay_alu instid0(SALU_CYCLE_1)
	s_mov_b32 s34, exec_lo
	v_cmpx_lt_u32_e64 v107, v0
	s_cbranch_execnz .LBB1051_1121
.LBB1051_1090:                          ;   in Loop: Header=BB1051_990 Depth=2
	s_or_b32 exec_lo, exec_lo, s34
	s_delay_alu instid0(SALU_CYCLE_1)
	s_mov_b32 s34, exec_lo
	v_cmpx_lt_u32_e64 v108, v0
	s_cbranch_execz .LBB1051_1122
.LBB1051_1091:                          ;   in Loop: Header=BB1051_990 Depth=2
	global_load_b64 v[35:36], v[2:3], off offset:1024
	s_or_b32 exec_lo, exec_lo, s34
	s_delay_alu instid0(SALU_CYCLE_1)
	s_mov_b32 s34, exec_lo
	v_cmpx_lt_u32_e64 v109, v0
	s_cbranch_execnz .LBB1051_1123
.LBB1051_1092:                          ;   in Loop: Header=BB1051_990 Depth=2
	s_or_b32 exec_lo, exec_lo, s34
	s_delay_alu instid0(SALU_CYCLE_1)
	s_mov_b32 s34, exec_lo
	v_cmpx_lt_u32_e64 v110, v0
	s_cbranch_execz .LBB1051_1124
.LBB1051_1093:                          ;   in Loop: Header=BB1051_990 Depth=2
	global_load_b64 v[31:32], v[2:3], off offset:1536
	s_or_b32 exec_lo, exec_lo, s34
	s_delay_alu instid0(SALU_CYCLE_1)
	s_mov_b32 s34, exec_lo
	v_cmpx_lt_u32_e64 v111, v0
	s_cbranch_execnz .LBB1051_1125
.LBB1051_1094:                          ;   in Loop: Header=BB1051_990 Depth=2
	s_or_b32 exec_lo, exec_lo, s34
	s_delay_alu instid0(SALU_CYCLE_1)
	s_mov_b32 s34, exec_lo
	v_cmpx_lt_u32_e64 v112, v0
	s_cbranch_execz .LBB1051_1126
.LBB1051_1095:                          ;   in Loop: Header=BB1051_990 Depth=2
	global_load_b64 v[27:28], v[2:3], off offset:2048
	s_or_b32 exec_lo, exec_lo, s34
	s_delay_alu instid0(SALU_CYCLE_1)
	s_mov_b32 s34, exec_lo
	v_cmpx_lt_u32_e64 v113, v0
	s_cbranch_execnz .LBB1051_1127
.LBB1051_1096:                          ;   in Loop: Header=BB1051_990 Depth=2
	s_or_b32 exec_lo, exec_lo, s34
	s_delay_alu instid0(SALU_CYCLE_1)
	s_mov_b32 s34, exec_lo
	v_cmpx_lt_u32_e64 v114, v0
	s_cbranch_execz .LBB1051_1128
.LBB1051_1097:                          ;   in Loop: Header=BB1051_990 Depth=2
	global_load_b64 v[23:24], v[2:3], off offset:2560
	s_or_b32 exec_lo, exec_lo, s34
	s_delay_alu instid0(SALU_CYCLE_1)
	s_mov_b32 s34, exec_lo
	v_cmpx_lt_u32_e64 v115, v0
	s_cbranch_execnz .LBB1051_1129
.LBB1051_1098:                          ;   in Loop: Header=BB1051_990 Depth=2
	s_or_b32 exec_lo, exec_lo, s34
	s_delay_alu instid0(SALU_CYCLE_1)
	s_mov_b32 s34, exec_lo
	v_cmpx_lt_u32_e64 v116, v0
	s_cbranch_execz .LBB1051_1130
.LBB1051_1099:                          ;   in Loop: Header=BB1051_990 Depth=2
	global_load_b64 v[16:17], v[2:3], off offset:3072
	s_or_b32 exec_lo, exec_lo, s34
	s_delay_alu instid0(SALU_CYCLE_1)
	s_mov_b32 s34, exec_lo
	v_cmpx_lt_u32_e64 v117, v0
	s_cbranch_execnz .LBB1051_1131
.LBB1051_1100:                          ;   in Loop: Header=BB1051_990 Depth=2
	s_or_b32 exec_lo, exec_lo, s34
	s_delay_alu instid0(SALU_CYCLE_1)
	s_mov_b32 s34, exec_lo
	v_cmpx_lt_u32_e64 v118, v0
	s_cbranch_execz .LBB1051_1132
.LBB1051_1101:                          ;   in Loop: Header=BB1051_990 Depth=2
	global_load_b64 v[12:13], v[2:3], off offset:3584
	s_or_b32 exec_lo, exec_lo, s34
	s_delay_alu instid0(SALU_CYCLE_1)
	s_mov_b32 s34, exec_lo
	v_cmpx_lt_u32_e64 v119, v0
	s_cbranch_execnz .LBB1051_1133
.LBB1051_1102:                          ;   in Loop: Header=BB1051_990 Depth=2
	s_or_b32 exec_lo, exec_lo, s34
	s_and_saveexec_b32 s33, vcc_lo
	s_cbranch_execz .LBB1051_1134
.LBB1051_1103:                          ;   in Loop: Header=BB1051_990 Depth=2
	ds_load_u16 v0, v142 offset:1024
	s_waitcnt lgkmcnt(0)
	v_lshrrev_b32_e32 v0, s57, v0
	s_delay_alu instid0(VALU_DEP_1)
	v_and_b32_e32 v140, s43, v0
	s_or_b32 exec_lo, exec_lo, s33
	s_and_saveexec_b32 s33, s17
	s_cbranch_execnz .LBB1051_1135
.LBB1051_1104:                          ;   in Loop: Header=BB1051_990 Depth=2
	s_or_b32 exec_lo, exec_lo, s33
	s_and_saveexec_b32 s33, s18
	s_cbranch_execz .LBB1051_1136
.LBB1051_1105:                          ;   in Loop: Header=BB1051_990 Depth=2
	ds_load_u16 v0, v83 offset:1024
	s_waitcnt lgkmcnt(0)
	v_lshrrev_b32_e32 v0, s57, v0
	s_delay_alu instid0(VALU_DEP_1)
	v_and_b32_e32 v138, s43, v0
	s_or_b32 exec_lo, exec_lo, s33
	s_and_saveexec_b32 s33, s19
	s_cbranch_execnz .LBB1051_1137
.LBB1051_1106:                          ;   in Loop: Header=BB1051_990 Depth=2
	s_or_b32 exec_lo, exec_lo, s33
	s_and_saveexec_b32 s33, s20
	s_cbranch_execz .LBB1051_1138
.LBB1051_1107:                          ;   in Loop: Header=BB1051_990 Depth=2
	ds_load_u16 v0, v83 offset:2048
	s_waitcnt lgkmcnt(0)
	v_lshrrev_b32_e32 v0, s57, v0
	s_delay_alu instid0(VALU_DEP_1)
	v_and_b32_e32 v136, s43, v0
	s_or_b32 exec_lo, exec_lo, s33
	s_and_saveexec_b32 s33, s21
	s_cbranch_execnz .LBB1051_1139
.LBB1051_1108:                          ;   in Loop: Header=BB1051_990 Depth=2
	s_or_b32 exec_lo, exec_lo, s33
	s_and_saveexec_b32 s33, s22
	s_cbranch_execz .LBB1051_1140
.LBB1051_1109:                          ;   in Loop: Header=BB1051_990 Depth=2
	ds_load_u16 v0, v83 offset:3072
	s_waitcnt lgkmcnt(0)
	v_lshrrev_b32_e32 v0, s57, v0
	s_delay_alu instid0(VALU_DEP_1)
	v_and_b32_e32 v134, s43, v0
	s_or_b32 exec_lo, exec_lo, s33
	s_and_saveexec_b32 s33, s23
	s_cbranch_execnz .LBB1051_1141
.LBB1051_1110:                          ;   in Loop: Header=BB1051_990 Depth=2
	s_or_b32 exec_lo, exec_lo, s33
	s_and_saveexec_b32 s33, s24
	s_cbranch_execz .LBB1051_1142
.LBB1051_1111:                          ;   in Loop: Header=BB1051_990 Depth=2
	ds_load_u16 v0, v83 offset:4096
	s_waitcnt lgkmcnt(0)
	v_lshrrev_b32_e32 v0, s57, v0
	s_delay_alu instid0(VALU_DEP_1)
	v_and_b32_e32 v132, s43, v0
	s_or_b32 exec_lo, exec_lo, s33
	s_and_saveexec_b32 s33, s25
	s_cbranch_execnz .LBB1051_1143
.LBB1051_1112:                          ;   in Loop: Header=BB1051_990 Depth=2
	s_or_b32 exec_lo, exec_lo, s33
	s_and_saveexec_b32 s33, s26
	s_cbranch_execz .LBB1051_1144
.LBB1051_1113:                          ;   in Loop: Header=BB1051_990 Depth=2
	ds_load_u16 v0, v83 offset:5120
	s_waitcnt lgkmcnt(0)
	v_lshrrev_b32_e32 v0, s57, v0
	s_delay_alu instid0(VALU_DEP_1)
	v_and_b32_e32 v130, s43, v0
	s_or_b32 exec_lo, exec_lo, s33
	s_and_saveexec_b32 s33, s27
	s_cbranch_execnz .LBB1051_1145
.LBB1051_1114:                          ;   in Loop: Header=BB1051_990 Depth=2
	s_or_b32 exec_lo, exec_lo, s33
	s_and_saveexec_b32 s33, s28
	s_cbranch_execz .LBB1051_1146
.LBB1051_1115:                          ;   in Loop: Header=BB1051_990 Depth=2
	ds_load_u16 v0, v83 offset:6144
	s_waitcnt lgkmcnt(0)
	v_lshrrev_b32_e32 v0, s57, v0
	s_delay_alu instid0(VALU_DEP_1)
	v_and_b32_e32 v128, s43, v0
	s_or_b32 exec_lo, exec_lo, s33
	s_and_saveexec_b32 s33, s29
	s_cbranch_execnz .LBB1051_1147
.LBB1051_1116:                          ;   in Loop: Header=BB1051_990 Depth=2
	s_or_b32 exec_lo, exec_lo, s33
	s_and_saveexec_b32 s33, s30
	s_cbranch_execz .LBB1051_1148
.LBB1051_1117:                          ;   in Loop: Header=BB1051_990 Depth=2
	ds_load_u16 v0, v83 offset:7168
	s_waitcnt lgkmcnt(0)
	v_lshrrev_b32_e32 v0, s57, v0
	s_delay_alu instid0(VALU_DEP_1)
	v_and_b32_e32 v126, s43, v0
	s_or_b32 exec_lo, exec_lo, s33
	s_and_saveexec_b32 s33, s31
	s_cbranch_execnz .LBB1051_1149
	s_branch .LBB1051_1150
.LBB1051_1118:                          ;   in Loop: Header=BB1051_990 Depth=2
	s_or_b32 exec_lo, exec_lo, s33
	s_delay_alu instid0(SALU_CYCLE_1)
	s_mov_b32 s34, exec_lo
	v_cmpx_lt_u32_e64 v105, v0
	s_cbranch_execz .LBB1051_1088
.LBB1051_1119:                          ;   in Loop: Header=BB1051_990 Depth=2
	global_load_b64 v[41:42], v[2:3], off offset:256
	s_or_b32 exec_lo, exec_lo, s34
	s_delay_alu instid0(SALU_CYCLE_1)
	s_mov_b32 s34, exec_lo
	v_cmpx_lt_u32_e64 v106, v0
	s_cbranch_execnz .LBB1051_1089
.LBB1051_1120:                          ;   in Loop: Header=BB1051_990 Depth=2
	s_or_b32 exec_lo, exec_lo, s34
	s_delay_alu instid0(SALU_CYCLE_1)
	s_mov_b32 s34, exec_lo
	v_cmpx_lt_u32_e64 v107, v0
	s_cbranch_execz .LBB1051_1090
.LBB1051_1121:                          ;   in Loop: Header=BB1051_990 Depth=2
	global_load_b64 v[37:38], v[2:3], off offset:768
	s_or_b32 exec_lo, exec_lo, s34
	s_delay_alu instid0(SALU_CYCLE_1)
	s_mov_b32 s34, exec_lo
	v_cmpx_lt_u32_e64 v108, v0
	s_cbranch_execnz .LBB1051_1091
.LBB1051_1122:                          ;   in Loop: Header=BB1051_990 Depth=2
	s_or_b32 exec_lo, exec_lo, s34
	s_delay_alu instid0(SALU_CYCLE_1)
	s_mov_b32 s34, exec_lo
	v_cmpx_lt_u32_e64 v109, v0
	s_cbranch_execz .LBB1051_1092
.LBB1051_1123:                          ;   in Loop: Header=BB1051_990 Depth=2
	global_load_b64 v[33:34], v[2:3], off offset:1280
	s_or_b32 exec_lo, exec_lo, s34
	s_delay_alu instid0(SALU_CYCLE_1)
	s_mov_b32 s34, exec_lo
	v_cmpx_lt_u32_e64 v110, v0
	s_cbranch_execnz .LBB1051_1093
.LBB1051_1124:                          ;   in Loop: Header=BB1051_990 Depth=2
	s_or_b32 exec_lo, exec_lo, s34
	s_delay_alu instid0(SALU_CYCLE_1)
	s_mov_b32 s34, exec_lo
	v_cmpx_lt_u32_e64 v111, v0
	s_cbranch_execz .LBB1051_1094
.LBB1051_1125:                          ;   in Loop: Header=BB1051_990 Depth=2
	global_load_b64 v[29:30], v[2:3], off offset:1792
	s_or_b32 exec_lo, exec_lo, s34
	s_delay_alu instid0(SALU_CYCLE_1)
	s_mov_b32 s34, exec_lo
	v_cmpx_lt_u32_e64 v112, v0
	s_cbranch_execnz .LBB1051_1095
.LBB1051_1126:                          ;   in Loop: Header=BB1051_990 Depth=2
	s_or_b32 exec_lo, exec_lo, s34
	s_delay_alu instid0(SALU_CYCLE_1)
	s_mov_b32 s34, exec_lo
	v_cmpx_lt_u32_e64 v113, v0
	s_cbranch_execz .LBB1051_1096
.LBB1051_1127:                          ;   in Loop: Header=BB1051_990 Depth=2
	global_load_b64 v[25:26], v[2:3], off offset:2304
	s_or_b32 exec_lo, exec_lo, s34
	s_delay_alu instid0(SALU_CYCLE_1)
	s_mov_b32 s34, exec_lo
	v_cmpx_lt_u32_e64 v114, v0
	s_cbranch_execnz .LBB1051_1097
.LBB1051_1128:                          ;   in Loop: Header=BB1051_990 Depth=2
	s_or_b32 exec_lo, exec_lo, s34
	s_delay_alu instid0(SALU_CYCLE_1)
	s_mov_b32 s34, exec_lo
	v_cmpx_lt_u32_e64 v115, v0
	s_cbranch_execz .LBB1051_1098
.LBB1051_1129:                          ;   in Loop: Header=BB1051_990 Depth=2
	global_load_b64 v[21:22], v[2:3], off offset:2816
	s_or_b32 exec_lo, exec_lo, s34
	s_delay_alu instid0(SALU_CYCLE_1)
	s_mov_b32 s34, exec_lo
	v_cmpx_lt_u32_e64 v116, v0
	s_cbranch_execnz .LBB1051_1099
.LBB1051_1130:                          ;   in Loop: Header=BB1051_990 Depth=2
	s_or_b32 exec_lo, exec_lo, s34
	s_delay_alu instid0(SALU_CYCLE_1)
	s_mov_b32 s34, exec_lo
	v_cmpx_lt_u32_e64 v117, v0
	s_cbranch_execz .LBB1051_1100
.LBB1051_1131:                          ;   in Loop: Header=BB1051_990 Depth=2
	global_load_b64 v[14:15], v[2:3], off offset:3328
	s_or_b32 exec_lo, exec_lo, s34
	s_delay_alu instid0(SALU_CYCLE_1)
	s_mov_b32 s34, exec_lo
	v_cmpx_lt_u32_e64 v118, v0
	s_cbranch_execnz .LBB1051_1101
.LBB1051_1132:                          ;   in Loop: Header=BB1051_990 Depth=2
	s_or_b32 exec_lo, exec_lo, s34
	s_delay_alu instid0(SALU_CYCLE_1)
	s_mov_b32 s34, exec_lo
	v_cmpx_lt_u32_e64 v119, v0
	s_cbranch_execz .LBB1051_1102
.LBB1051_1133:                          ;   in Loop: Header=BB1051_990 Depth=2
	global_load_b64 v[10:11], v[2:3], off offset:3840
	s_or_b32 exec_lo, exec_lo, s34
	s_and_saveexec_b32 s33, vcc_lo
	s_cbranch_execnz .LBB1051_1103
.LBB1051_1134:                          ;   in Loop: Header=BB1051_990 Depth=2
	s_or_b32 exec_lo, exec_lo, s33
	s_and_saveexec_b32 s33, s17
	s_cbranch_execz .LBB1051_1104
.LBB1051_1135:                          ;   in Loop: Header=BB1051_990 Depth=2
	ds_load_u16 v0, v83 offset:512
	s_waitcnt lgkmcnt(0)
	v_lshrrev_b32_e32 v0, s57, v0
	s_delay_alu instid0(VALU_DEP_1)
	v_and_b32_e32 v139, s43, v0
	s_or_b32 exec_lo, exec_lo, s33
	s_and_saveexec_b32 s33, s18
	s_cbranch_execnz .LBB1051_1105
.LBB1051_1136:                          ;   in Loop: Header=BB1051_990 Depth=2
	s_or_b32 exec_lo, exec_lo, s33
	s_and_saveexec_b32 s33, s19
	s_cbranch_execz .LBB1051_1106
.LBB1051_1137:                          ;   in Loop: Header=BB1051_990 Depth=2
	ds_load_u16 v0, v83 offset:1536
	s_waitcnt lgkmcnt(0)
	v_lshrrev_b32_e32 v0, s57, v0
	s_delay_alu instid0(VALU_DEP_1)
	v_and_b32_e32 v137, s43, v0
	s_or_b32 exec_lo, exec_lo, s33
	s_and_saveexec_b32 s33, s20
	s_cbranch_execnz .LBB1051_1107
.LBB1051_1138:                          ;   in Loop: Header=BB1051_990 Depth=2
	s_or_b32 exec_lo, exec_lo, s33
	s_and_saveexec_b32 s33, s21
	s_cbranch_execz .LBB1051_1108
.LBB1051_1139:                          ;   in Loop: Header=BB1051_990 Depth=2
	ds_load_u16 v0, v83 offset:2560
	s_waitcnt lgkmcnt(0)
	v_lshrrev_b32_e32 v0, s57, v0
	s_delay_alu instid0(VALU_DEP_1)
	v_and_b32_e32 v135, s43, v0
	s_or_b32 exec_lo, exec_lo, s33
	s_and_saveexec_b32 s33, s22
	s_cbranch_execnz .LBB1051_1109
.LBB1051_1140:                          ;   in Loop: Header=BB1051_990 Depth=2
	s_or_b32 exec_lo, exec_lo, s33
	s_and_saveexec_b32 s33, s23
	s_cbranch_execz .LBB1051_1110
.LBB1051_1141:                          ;   in Loop: Header=BB1051_990 Depth=2
	ds_load_u16 v0, v83 offset:3584
	s_waitcnt lgkmcnt(0)
	v_lshrrev_b32_e32 v0, s57, v0
	s_delay_alu instid0(VALU_DEP_1)
	v_and_b32_e32 v133, s43, v0
	s_or_b32 exec_lo, exec_lo, s33
	s_and_saveexec_b32 s33, s24
	s_cbranch_execnz .LBB1051_1111
.LBB1051_1142:                          ;   in Loop: Header=BB1051_990 Depth=2
	s_or_b32 exec_lo, exec_lo, s33
	s_and_saveexec_b32 s33, s25
	s_cbranch_execz .LBB1051_1112
.LBB1051_1143:                          ;   in Loop: Header=BB1051_990 Depth=2
	ds_load_u16 v0, v83 offset:4608
	s_waitcnt lgkmcnt(0)
	v_lshrrev_b32_e32 v0, s57, v0
	s_delay_alu instid0(VALU_DEP_1)
	v_and_b32_e32 v131, s43, v0
	s_or_b32 exec_lo, exec_lo, s33
	s_and_saveexec_b32 s33, s26
	s_cbranch_execnz .LBB1051_1113
.LBB1051_1144:                          ;   in Loop: Header=BB1051_990 Depth=2
	s_or_b32 exec_lo, exec_lo, s33
	s_and_saveexec_b32 s33, s27
	s_cbranch_execz .LBB1051_1114
.LBB1051_1145:                          ;   in Loop: Header=BB1051_990 Depth=2
	ds_load_u16 v0, v83 offset:5632
	s_waitcnt lgkmcnt(0)
	v_lshrrev_b32_e32 v0, s57, v0
	s_delay_alu instid0(VALU_DEP_1)
	v_and_b32_e32 v129, s43, v0
	s_or_b32 exec_lo, exec_lo, s33
	s_and_saveexec_b32 s33, s28
	s_cbranch_execnz .LBB1051_1115
.LBB1051_1146:                          ;   in Loop: Header=BB1051_990 Depth=2
	s_or_b32 exec_lo, exec_lo, s33
	s_and_saveexec_b32 s33, s29
	s_cbranch_execz .LBB1051_1116
.LBB1051_1147:                          ;   in Loop: Header=BB1051_990 Depth=2
	ds_load_u16 v0, v83 offset:6656
	s_waitcnt lgkmcnt(0)
	v_lshrrev_b32_e32 v0, s57, v0
	s_delay_alu instid0(VALU_DEP_1)
	v_and_b32_e32 v127, s43, v0
	s_or_b32 exec_lo, exec_lo, s33
	s_and_saveexec_b32 s33, s30
	s_cbranch_execnz .LBB1051_1117
.LBB1051_1148:                          ;   in Loop: Header=BB1051_990 Depth=2
	s_or_b32 exec_lo, exec_lo, s33
	s_and_saveexec_b32 s33, s31
	s_cbranch_execz .LBB1051_1150
.LBB1051_1149:                          ;   in Loop: Header=BB1051_990 Depth=2
	ds_load_u16 v0, v83 offset:7680
	s_waitcnt lgkmcnt(0)
	v_lshrrev_b32_e32 v0, s57, v0
	s_delay_alu instid0(VALU_DEP_1)
	v_and_b32_e32 v125, s43, v0
.LBB1051_1150:                          ;   in Loop: Header=BB1051_990 Depth=2
	s_or_b32 exec_lo, exec_lo, s33
	v_lshlrev_b32_e32 v0, 3, v159
	v_lshlrev_b32_e32 v2, 3, v155
	s_waitcnt vmcnt(0)
	s_waitcnt_vscnt null, 0x0
	s_barrier
	buffer_gl0_inv
	ds_store_b64 v0, v[43:44] offset:1024
	v_lshlrev_b32_e32 v0, 3, v151
	v_lshlrev_b32_e32 v3, 3, v150
	;; [unrolled: 1-line block ×4, first 2 shown]
	ds_store_b64 v2, v[41:42] offset:1024
	ds_store_b64 v0, v[39:40] offset:1024
	;; [unrolled: 1-line block ×5, first 2 shown]
	v_lshlrev_b32_e32 v0, 3, v146
	v_lshlrev_b32_e32 v2, 3, v145
	;; [unrolled: 1-line block ×5, first 2 shown]
	ds_store_b64 v0, v[31:32] offset:1024
	ds_store_b64 v2, v[29:30] offset:1024
	;; [unrolled: 1-line block ×5, first 2 shown]
	v_lshlrev_b32_e32 v0, 3, v8
	v_lshlrev_b32_e32 v2, 3, v6
	;; [unrolled: 1-line block ×5, first 2 shown]
	ds_store_b64 v0, v[21:22] offset:1024
	ds_store_b64 v2, v[16:17] offset:1024
	;; [unrolled: 1-line block ×5, first 2 shown]
	s_waitcnt lgkmcnt(0)
	s_barrier
	buffer_gl0_inv
	s_and_saveexec_b32 s33, vcc_lo
	s_cbranch_execz .LBB1051_1166
; %bb.1151:                             ;   in Loop: Header=BB1051_990 Depth=2
	v_lshlrev_b32_e32 v0, 2, v140
	ds_load_b32 v0, v0
	ds_load_b64 v[2:3], v84 offset:1024
	s_waitcnt lgkmcnt(1)
	v_add_nc_u32_e32 v19, v0, v18
	s_delay_alu instid0(VALU_DEP_1) | instskip(NEXT) | instid1(VALU_DEP_1)
	v_lshlrev_b64 v[5:6], 3, v[19:20]
	v_add_co_u32 v5, vcc_lo, s54, v5
	s_delay_alu instid0(VALU_DEP_2)
	v_add_co_ci_u32_e32 v6, vcc_lo, s55, v6, vcc_lo
	s_waitcnt lgkmcnt(0)
	global_store_b64 v[5:6], v[2:3], off
	s_or_b32 exec_lo, exec_lo, s33
	v_add_nc_u32_e32 v0, v83, v85
	s_and_saveexec_b32 s33, s17
	s_cbranch_execnz .LBB1051_1167
.LBB1051_1152:                          ;   in Loop: Header=BB1051_990 Depth=2
	s_or_b32 exec_lo, exec_lo, s33
	s_and_saveexec_b32 s17, s18
	s_cbranch_execz .LBB1051_1168
.LBB1051_1153:                          ;   in Loop: Header=BB1051_990 Depth=2
	v_lshlrev_b32_e32 v2, 2, v138
	ds_load_b32 v5, v2
	ds_load_b64 v[2:3], v0 offset:4096
	s_waitcnt lgkmcnt(1)
	v_add_nc_u32_e32 v19, v5, v49
	s_delay_alu instid0(VALU_DEP_1) | instskip(NEXT) | instid1(VALU_DEP_1)
	v_lshlrev_b64 v[5:6], 3, v[19:20]
	v_add_co_u32 v5, vcc_lo, s54, v5
	s_delay_alu instid0(VALU_DEP_2)
	v_add_co_ci_u32_e32 v6, vcc_lo, s55, v6, vcc_lo
	s_waitcnt lgkmcnt(0)
	global_store_b64 v[5:6], v[2:3], off
	s_or_b32 exec_lo, exec_lo, s17
	s_and_saveexec_b32 s17, s19
	s_cbranch_execnz .LBB1051_1169
.LBB1051_1154:                          ;   in Loop: Header=BB1051_990 Depth=2
	s_or_b32 exec_lo, exec_lo, s17
	s_and_saveexec_b32 s17, s20
	s_cbranch_execz .LBB1051_1170
.LBB1051_1155:                          ;   in Loop: Header=BB1051_990 Depth=2
	v_lshlrev_b32_e32 v2, 2, v136
	ds_load_b32 v5, v2
	ds_load_b64 v[2:3], v0 offset:8192
	s_waitcnt lgkmcnt(1)
	v_add_nc_u32_e32 v19, v5, v54
	s_delay_alu instid0(VALU_DEP_1) | instskip(NEXT) | instid1(VALU_DEP_1)
	v_lshlrev_b64 v[5:6], 3, v[19:20]
	v_add_co_u32 v5, vcc_lo, s54, v5
	s_delay_alu instid0(VALU_DEP_2)
	v_add_co_ci_u32_e32 v6, vcc_lo, s55, v6, vcc_lo
	s_waitcnt lgkmcnt(0)
	global_store_b64 v[5:6], v[2:3], off
	s_or_b32 exec_lo, exec_lo, s17
	s_and_saveexec_b32 s17, s21
	s_cbranch_execnz .LBB1051_1171
.LBB1051_1156:                          ;   in Loop: Header=BB1051_990 Depth=2
	s_or_b32 exec_lo, exec_lo, s17
	s_and_saveexec_b32 s17, s22
	s_cbranch_execz .LBB1051_1172
.LBB1051_1157:                          ;   in Loop: Header=BB1051_990 Depth=2
	v_lshlrev_b32_e32 v2, 2, v134
	ds_load_b32 v5, v2
	ds_load_b64 v[2:3], v0 offset:12288
	s_waitcnt lgkmcnt(1)
	v_add_nc_u32_e32 v19, v5, v56
	s_delay_alu instid0(VALU_DEP_1) | instskip(NEXT) | instid1(VALU_DEP_1)
	v_lshlrev_b64 v[5:6], 3, v[19:20]
	v_add_co_u32 v5, vcc_lo, s54, v5
	s_delay_alu instid0(VALU_DEP_2)
	v_add_co_ci_u32_e32 v6, vcc_lo, s55, v6, vcc_lo
	s_waitcnt lgkmcnt(0)
	global_store_b64 v[5:6], v[2:3], off
	s_or_b32 exec_lo, exec_lo, s17
	s_and_saveexec_b32 s17, s23
	s_cbranch_execnz .LBB1051_1173
.LBB1051_1158:                          ;   in Loop: Header=BB1051_990 Depth=2
	s_or_b32 exec_lo, exec_lo, s17
	s_and_saveexec_b32 s17, s24
	s_cbranch_execz .LBB1051_1174
.LBB1051_1159:                          ;   in Loop: Header=BB1051_990 Depth=2
	v_lshlrev_b32_e32 v2, 2, v132
	ds_load_b32 v5, v2
	ds_load_b64 v[2:3], v0 offset:16384
	s_waitcnt lgkmcnt(1)
	v_add_nc_u32_e32 v19, v5, v58
	s_delay_alu instid0(VALU_DEP_1) | instskip(NEXT) | instid1(VALU_DEP_1)
	v_lshlrev_b64 v[5:6], 3, v[19:20]
	v_add_co_u32 v5, vcc_lo, s54, v5
	s_delay_alu instid0(VALU_DEP_2)
	v_add_co_ci_u32_e32 v6, vcc_lo, s55, v6, vcc_lo
	s_waitcnt lgkmcnt(0)
	global_store_b64 v[5:6], v[2:3], off
	s_or_b32 exec_lo, exec_lo, s17
	s_and_saveexec_b32 s17, s25
	s_cbranch_execnz .LBB1051_1175
.LBB1051_1160:                          ;   in Loop: Header=BB1051_990 Depth=2
	s_or_b32 exec_lo, exec_lo, s17
	s_and_saveexec_b32 s17, s26
	s_cbranch_execz .LBB1051_1176
.LBB1051_1161:                          ;   in Loop: Header=BB1051_990 Depth=2
	v_lshlrev_b32_e32 v2, 2, v130
	ds_load_b32 v5, v2
	ds_load_b64 v[2:3], v0 offset:20480
	s_waitcnt lgkmcnt(1)
	v_add_nc_u32_e32 v19, v5, v60
	s_delay_alu instid0(VALU_DEP_1) | instskip(NEXT) | instid1(VALU_DEP_1)
	v_lshlrev_b64 v[5:6], 3, v[19:20]
	v_add_co_u32 v5, vcc_lo, s54, v5
	s_delay_alu instid0(VALU_DEP_2)
	v_add_co_ci_u32_e32 v6, vcc_lo, s55, v6, vcc_lo
	s_waitcnt lgkmcnt(0)
	global_store_b64 v[5:6], v[2:3], off
	s_or_b32 exec_lo, exec_lo, s17
	s_and_saveexec_b32 s17, s27
	s_cbranch_execnz .LBB1051_1177
.LBB1051_1162:                          ;   in Loop: Header=BB1051_990 Depth=2
	s_or_b32 exec_lo, exec_lo, s17
	s_and_saveexec_b32 s17, s28
	s_cbranch_execz .LBB1051_1178
.LBB1051_1163:                          ;   in Loop: Header=BB1051_990 Depth=2
	v_lshlrev_b32_e32 v2, 2, v128
	ds_load_b32 v5, v2
	ds_load_b64 v[2:3], v0 offset:24576
	s_waitcnt lgkmcnt(1)
	v_add_nc_u32_e32 v19, v5, v62
	s_delay_alu instid0(VALU_DEP_1) | instskip(NEXT) | instid1(VALU_DEP_1)
	v_lshlrev_b64 v[5:6], 3, v[19:20]
	v_add_co_u32 v5, vcc_lo, s54, v5
	s_delay_alu instid0(VALU_DEP_2)
	v_add_co_ci_u32_e32 v6, vcc_lo, s55, v6, vcc_lo
	s_waitcnt lgkmcnt(0)
	global_store_b64 v[5:6], v[2:3], off
	s_or_b32 exec_lo, exec_lo, s17
	s_and_saveexec_b32 s17, s29
	s_cbranch_execnz .LBB1051_1179
.LBB1051_1164:                          ;   in Loop: Header=BB1051_990 Depth=2
	s_or_b32 exec_lo, exec_lo, s17
	s_and_saveexec_b32 s17, s30
	s_cbranch_execz .LBB1051_1180
.LBB1051_1165:                          ;   in Loop: Header=BB1051_990 Depth=2
	v_lshlrev_b32_e32 v2, 2, v126
	ds_load_b32 v5, v2
	ds_load_b64 v[2:3], v0 offset:28672
	s_waitcnt lgkmcnt(1)
	v_add_nc_u32_e32 v19, v5, v64
	s_delay_alu instid0(VALU_DEP_1) | instskip(NEXT) | instid1(VALU_DEP_1)
	v_lshlrev_b64 v[5:6], 3, v[19:20]
	v_add_co_u32 v5, vcc_lo, s54, v5
	s_delay_alu instid0(VALU_DEP_2)
	v_add_co_ci_u32_e32 v6, vcc_lo, s55, v6, vcc_lo
	s_waitcnt lgkmcnt(0)
	global_store_b64 v[5:6], v[2:3], off
	s_or_b32 exec_lo, exec_lo, s17
	s_and_saveexec_b32 s17, s31
	s_cbranch_execnz .LBB1051_1181
	s_branch .LBB1051_1182
.LBB1051_1166:                          ;   in Loop: Header=BB1051_990 Depth=2
	s_or_b32 exec_lo, exec_lo, s33
	v_add_nc_u32_e32 v0, v83, v85
	s_and_saveexec_b32 s33, s17
	s_cbranch_execz .LBB1051_1152
.LBB1051_1167:                          ;   in Loop: Header=BB1051_990 Depth=2
	v_lshlrev_b32_e32 v2, 2, v139
	ds_load_b32 v5, v2
	ds_load_b64 v[2:3], v0 offset:2048
	s_waitcnt lgkmcnt(1)
	v_add_nc_u32_e32 v19, v5, v48
	s_delay_alu instid0(VALU_DEP_1) | instskip(NEXT) | instid1(VALU_DEP_1)
	v_lshlrev_b64 v[5:6], 3, v[19:20]
	v_add_co_u32 v5, vcc_lo, s54, v5
	s_delay_alu instid0(VALU_DEP_2)
	v_add_co_ci_u32_e32 v6, vcc_lo, s55, v6, vcc_lo
	s_waitcnt lgkmcnt(0)
	global_store_b64 v[5:6], v[2:3], off
	s_or_b32 exec_lo, exec_lo, s33
	s_and_saveexec_b32 s17, s18
	s_cbranch_execnz .LBB1051_1153
.LBB1051_1168:                          ;   in Loop: Header=BB1051_990 Depth=2
	s_or_b32 exec_lo, exec_lo, s17
	s_and_saveexec_b32 s17, s19
	s_cbranch_execz .LBB1051_1154
.LBB1051_1169:                          ;   in Loop: Header=BB1051_990 Depth=2
	v_lshlrev_b32_e32 v2, 2, v137
	ds_load_b32 v5, v2
	ds_load_b64 v[2:3], v0 offset:6144
	s_waitcnt lgkmcnt(1)
	v_add_nc_u32_e32 v19, v5, v50
	s_delay_alu instid0(VALU_DEP_1) | instskip(NEXT) | instid1(VALU_DEP_1)
	v_lshlrev_b64 v[5:6], 3, v[19:20]
	v_add_co_u32 v5, vcc_lo, s54, v5
	s_delay_alu instid0(VALU_DEP_2)
	v_add_co_ci_u32_e32 v6, vcc_lo, s55, v6, vcc_lo
	s_waitcnt lgkmcnt(0)
	global_store_b64 v[5:6], v[2:3], off
	s_or_b32 exec_lo, exec_lo, s17
	s_and_saveexec_b32 s17, s20
	s_cbranch_execnz .LBB1051_1155
.LBB1051_1170:                          ;   in Loop: Header=BB1051_990 Depth=2
	s_or_b32 exec_lo, exec_lo, s17
	s_and_saveexec_b32 s17, s21
	s_cbranch_execz .LBB1051_1156
.LBB1051_1171:                          ;   in Loop: Header=BB1051_990 Depth=2
	v_lshlrev_b32_e32 v2, 2, v135
	ds_load_b32 v5, v2
	ds_load_b64 v[2:3], v0 offset:10240
	s_waitcnt lgkmcnt(1)
	v_add_nc_u32_e32 v19, v5, v55
	s_delay_alu instid0(VALU_DEP_1) | instskip(NEXT) | instid1(VALU_DEP_1)
	v_lshlrev_b64 v[5:6], 3, v[19:20]
	v_add_co_u32 v5, vcc_lo, s54, v5
	s_delay_alu instid0(VALU_DEP_2)
	v_add_co_ci_u32_e32 v6, vcc_lo, s55, v6, vcc_lo
	s_waitcnt lgkmcnt(0)
	global_store_b64 v[5:6], v[2:3], off
	s_or_b32 exec_lo, exec_lo, s17
	s_and_saveexec_b32 s17, s22
	s_cbranch_execnz .LBB1051_1157
.LBB1051_1172:                          ;   in Loop: Header=BB1051_990 Depth=2
	s_or_b32 exec_lo, exec_lo, s17
	s_and_saveexec_b32 s17, s23
	s_cbranch_execz .LBB1051_1158
.LBB1051_1173:                          ;   in Loop: Header=BB1051_990 Depth=2
	v_lshlrev_b32_e32 v2, 2, v133
	ds_load_b32 v5, v2
	ds_load_b64 v[2:3], v0 offset:14336
	s_waitcnt lgkmcnt(1)
	v_add_nc_u32_e32 v19, v5, v57
	s_delay_alu instid0(VALU_DEP_1) | instskip(NEXT) | instid1(VALU_DEP_1)
	v_lshlrev_b64 v[5:6], 3, v[19:20]
	v_add_co_u32 v5, vcc_lo, s54, v5
	s_delay_alu instid0(VALU_DEP_2)
	v_add_co_ci_u32_e32 v6, vcc_lo, s55, v6, vcc_lo
	s_waitcnt lgkmcnt(0)
	global_store_b64 v[5:6], v[2:3], off
	s_or_b32 exec_lo, exec_lo, s17
	s_and_saveexec_b32 s17, s24
	s_cbranch_execnz .LBB1051_1159
.LBB1051_1174:                          ;   in Loop: Header=BB1051_990 Depth=2
	s_or_b32 exec_lo, exec_lo, s17
	s_and_saveexec_b32 s17, s25
	s_cbranch_execz .LBB1051_1160
.LBB1051_1175:                          ;   in Loop: Header=BB1051_990 Depth=2
	v_lshlrev_b32_e32 v2, 2, v131
	ds_load_b32 v5, v2
	ds_load_b64 v[2:3], v0 offset:18432
	s_waitcnt lgkmcnt(1)
	v_add_nc_u32_e32 v19, v5, v59
	s_delay_alu instid0(VALU_DEP_1) | instskip(NEXT) | instid1(VALU_DEP_1)
	v_lshlrev_b64 v[5:6], 3, v[19:20]
	v_add_co_u32 v5, vcc_lo, s54, v5
	s_delay_alu instid0(VALU_DEP_2)
	v_add_co_ci_u32_e32 v6, vcc_lo, s55, v6, vcc_lo
	s_waitcnt lgkmcnt(0)
	global_store_b64 v[5:6], v[2:3], off
	s_or_b32 exec_lo, exec_lo, s17
	s_and_saveexec_b32 s17, s26
	s_cbranch_execnz .LBB1051_1161
.LBB1051_1176:                          ;   in Loop: Header=BB1051_990 Depth=2
	s_or_b32 exec_lo, exec_lo, s17
	s_and_saveexec_b32 s17, s27
	s_cbranch_execz .LBB1051_1162
.LBB1051_1177:                          ;   in Loop: Header=BB1051_990 Depth=2
	v_lshlrev_b32_e32 v2, 2, v129
	ds_load_b32 v5, v2
	ds_load_b64 v[2:3], v0 offset:22528
	s_waitcnt lgkmcnt(1)
	v_add_nc_u32_e32 v19, v5, v61
	s_delay_alu instid0(VALU_DEP_1) | instskip(NEXT) | instid1(VALU_DEP_1)
	v_lshlrev_b64 v[5:6], 3, v[19:20]
	v_add_co_u32 v5, vcc_lo, s54, v5
	s_delay_alu instid0(VALU_DEP_2)
	v_add_co_ci_u32_e32 v6, vcc_lo, s55, v6, vcc_lo
	s_waitcnt lgkmcnt(0)
	global_store_b64 v[5:6], v[2:3], off
	s_or_b32 exec_lo, exec_lo, s17
	s_and_saveexec_b32 s17, s28
	s_cbranch_execnz .LBB1051_1163
.LBB1051_1178:                          ;   in Loop: Header=BB1051_990 Depth=2
	s_or_b32 exec_lo, exec_lo, s17
	s_and_saveexec_b32 s17, s29
	s_cbranch_execz .LBB1051_1164
.LBB1051_1179:                          ;   in Loop: Header=BB1051_990 Depth=2
	v_lshlrev_b32_e32 v2, 2, v127
	ds_load_b32 v5, v2
	ds_load_b64 v[2:3], v0 offset:26624
	s_waitcnt lgkmcnt(1)
	v_add_nc_u32_e32 v19, v5, v63
	s_delay_alu instid0(VALU_DEP_1) | instskip(NEXT) | instid1(VALU_DEP_1)
	v_lshlrev_b64 v[5:6], 3, v[19:20]
	v_add_co_u32 v5, vcc_lo, s54, v5
	s_delay_alu instid0(VALU_DEP_2)
	v_add_co_ci_u32_e32 v6, vcc_lo, s55, v6, vcc_lo
	s_waitcnt lgkmcnt(0)
	global_store_b64 v[5:6], v[2:3], off
	s_or_b32 exec_lo, exec_lo, s17
	s_and_saveexec_b32 s17, s30
	s_cbranch_execnz .LBB1051_1165
.LBB1051_1180:                          ;   in Loop: Header=BB1051_990 Depth=2
	s_or_b32 exec_lo, exec_lo, s17
	s_and_saveexec_b32 s17, s31
	s_cbranch_execz .LBB1051_1182
.LBB1051_1181:                          ;   in Loop: Header=BB1051_990 Depth=2
	v_lshlrev_b32_e32 v2, 2, v125
	ds_load_b32 v5, v2
	ds_load_b64 v[2:3], v0 offset:30720
	s_waitcnt lgkmcnt(1)
	v_add_nc_u32_e32 v19, v5, v66
	s_delay_alu instid0(VALU_DEP_1) | instskip(NEXT) | instid1(VALU_DEP_1)
	v_lshlrev_b64 v[5:6], 3, v[19:20]
	v_add_co_u32 v5, vcc_lo, s54, v5
	s_delay_alu instid0(VALU_DEP_2)
	v_add_co_ci_u32_e32 v6, vcc_lo, s55, v6, vcc_lo
	s_waitcnt lgkmcnt(0)
	global_store_b64 v[5:6], v[2:3], off
.LBB1051_1182:                          ;   in Loop: Header=BB1051_990 Depth=2
	s_or_b32 exec_lo, exec_lo, s17
	s_waitcnt_vscnt null, 0x0
	s_barrier
	buffer_gl0_inv
	s_and_saveexec_b32 s17, s2
	s_cbranch_execz .LBB1051_989
; %bb.1183:                             ;   in Loop: Header=BB1051_990 Depth=2
	ds_load_b32 v0, v47
	s_waitcnt lgkmcnt(0)
	v_add_nc_u32_e32 v0, v0, v4
	ds_store_b32 v47, v0
	s_branch .LBB1051_989
.LBB1051_1184:                          ;   in Loop: Header=BB1051_990 Depth=2
	s_or_b32 exec_lo, exec_lo, s17
	s_delay_alu instid0(SALU_CYCLE_1)
	s_mov_b32 s17, exec_lo
	v_cmpx_gt_u32_e64 s56, v105
	s_cbranch_execz .LBB1051_995
.LBB1051_1185:                          ;   in Loop: Header=BB1051_990 Depth=2
	global_load_d16_hi_b16 v2, v[45:46], off offset:64
	s_or_b32 exec_lo, exec_lo, s17
	s_delay_alu instid0(SALU_CYCLE_1)
	s_mov_b32 s17, exec_lo
	v_cmpx_gt_u32_e64 s56, v106
	s_cbranch_execnz .LBB1051_996
.LBB1051_1186:                          ;   in Loop: Header=BB1051_990 Depth=2
	s_or_b32 exec_lo, exec_lo, s17
	s_delay_alu instid0(SALU_CYCLE_1)
	s_mov_b32 s17, exec_lo
	v_cmpx_gt_u32_e64 s56, v107
	s_cbranch_execz .LBB1051_997
.LBB1051_1187:                          ;   in Loop: Header=BB1051_990 Depth=2
	global_load_d16_hi_b16 v3, v[45:46], off offset:192
	s_or_b32 exec_lo, exec_lo, s17
	s_delay_alu instid0(SALU_CYCLE_1)
	s_mov_b32 s17, exec_lo
	v_cmpx_gt_u32_e64 s56, v108
	s_cbranch_execnz .LBB1051_998
.LBB1051_1188:                          ;   in Loop: Header=BB1051_990 Depth=2
	s_or_b32 exec_lo, exec_lo, s17
	s_delay_alu instid0(SALU_CYCLE_1)
	s_mov_b32 s17, exec_lo
	v_cmpx_gt_u32_e64 s56, v109
	s_cbranch_execz .LBB1051_999
.LBB1051_1189:                          ;   in Loop: Header=BB1051_990 Depth=2
	global_load_d16_hi_b16 v4, v[45:46], off offset:320
	s_or_b32 exec_lo, exec_lo, s17
	s_delay_alu instid0(SALU_CYCLE_1)
	s_mov_b32 s17, exec_lo
	v_cmpx_gt_u32_e64 s56, v110
	s_cbranch_execnz .LBB1051_1000
.LBB1051_1190:                          ;   in Loop: Header=BB1051_990 Depth=2
	s_or_b32 exec_lo, exec_lo, s17
	s_delay_alu instid0(SALU_CYCLE_1)
	s_mov_b32 s17, exec_lo
	v_cmpx_gt_u32_e64 s56, v111
	s_cbranch_execz .LBB1051_1001
.LBB1051_1191:                          ;   in Loop: Header=BB1051_990 Depth=2
	global_load_d16_hi_b16 v5, v[45:46], off offset:448
	s_or_b32 exec_lo, exec_lo, s17
	s_delay_alu instid0(SALU_CYCLE_1)
	s_mov_b32 s17, exec_lo
	v_cmpx_gt_u32_e64 s56, v112
	s_cbranch_execnz .LBB1051_1002
.LBB1051_1192:                          ;   in Loop: Header=BB1051_990 Depth=2
	s_or_b32 exec_lo, exec_lo, s17
	s_delay_alu instid0(SALU_CYCLE_1)
	s_mov_b32 s17, exec_lo
	v_cmpx_gt_u32_e64 s56, v113
	s_cbranch_execz .LBB1051_1003
.LBB1051_1193:                          ;   in Loop: Header=BB1051_990 Depth=2
	global_load_d16_hi_b16 v6, v[45:46], off offset:576
	s_or_b32 exec_lo, exec_lo, s17
	s_delay_alu instid0(SALU_CYCLE_1)
	s_mov_b32 s17, exec_lo
	v_cmpx_gt_u32_e64 s56, v114
	s_cbranch_execnz .LBB1051_1004
.LBB1051_1194:                          ;   in Loop: Header=BB1051_990 Depth=2
	s_or_b32 exec_lo, exec_lo, s17
	s_delay_alu instid0(SALU_CYCLE_1)
	s_mov_b32 s17, exec_lo
	v_cmpx_gt_u32_e64 s56, v115
	s_cbranch_execz .LBB1051_1005
.LBB1051_1195:                          ;   in Loop: Header=BB1051_990 Depth=2
	global_load_d16_hi_b16 v7, v[45:46], off offset:704
	s_or_b32 exec_lo, exec_lo, s17
	s_delay_alu instid0(SALU_CYCLE_1)
	s_mov_b32 s17, exec_lo
	v_cmpx_gt_u32_e64 s56, v116
	s_cbranch_execnz .LBB1051_1006
.LBB1051_1196:                          ;   in Loop: Header=BB1051_990 Depth=2
	s_or_b32 exec_lo, exec_lo, s17
	s_delay_alu instid0(SALU_CYCLE_1)
	s_mov_b32 s17, exec_lo
	v_cmpx_gt_u32_e64 s56, v117
	s_cbranch_execz .LBB1051_1007
.LBB1051_1197:                          ;   in Loop: Header=BB1051_990 Depth=2
	global_load_d16_hi_b16 v8, v[45:46], off offset:832
	s_or_b32 exec_lo, exec_lo, s17
	s_delay_alu instid0(SALU_CYCLE_1)
	s_mov_b32 s17, exec_lo
	v_cmpx_gt_u32_e64 s56, v118
	s_cbranch_execnz .LBB1051_1008
	s_branch .LBB1051_1009
.LBB1051_1198:
	s_endpgm
	.section	.rodata,"a",@progbits
	.p2align	6, 0x0
	.amdhsa_kernel _ZN7rocprim17ROCPRIM_400000_NS6detail17trampoline_kernelINS0_14default_configENS1_36segmented_radix_sort_config_selectorIslEEZNS1_25segmented_radix_sort_implIS3_Lb0EPKsPsPKlPlN2at6native12_GLOBAL__N_18offset_tEEE10hipError_tPvRmT1_PNSt15iterator_traitsISK_E10value_typeET2_T3_PNSL_ISQ_E10value_typeET4_jRbjT5_SW_jjP12ihipStream_tbEUlT_E2_NS1_11comp_targetILNS1_3genE9ELNS1_11target_archE1100ELNS1_3gpuE3ELNS1_3repE0EEENS1_30default_config_static_selectorELNS0_4arch9wavefront6targetE0EEEvSK_
		.amdhsa_group_segment_fixed_size 33824
		.amdhsa_private_segment_fixed_size 188
		.amdhsa_kernarg_size 336
		.amdhsa_user_sgpr_count 14
		.amdhsa_user_sgpr_dispatch_ptr 0
		.amdhsa_user_sgpr_queue_ptr 0
		.amdhsa_user_sgpr_kernarg_segment_ptr 1
		.amdhsa_user_sgpr_dispatch_id 0
		.amdhsa_user_sgpr_private_segment_size 0
		.amdhsa_wavefront_size32 1
		.amdhsa_uses_dynamic_stack 0
		.amdhsa_enable_private_segment 1
		.amdhsa_system_sgpr_workgroup_id_x 1
		.amdhsa_system_sgpr_workgroup_id_y 1
		.amdhsa_system_sgpr_workgroup_id_z 0
		.amdhsa_system_sgpr_workgroup_info 0
		.amdhsa_system_vgpr_workitem_id 2
		.amdhsa_next_free_vgpr 248
		.amdhsa_next_free_sgpr 66
		.amdhsa_reserve_vcc 1
		.amdhsa_float_round_mode_32 0
		.amdhsa_float_round_mode_16_64 0
		.amdhsa_float_denorm_mode_32 3
		.amdhsa_float_denorm_mode_16_64 3
		.amdhsa_dx10_clamp 1
		.amdhsa_ieee_mode 1
		.amdhsa_fp16_overflow 0
		.amdhsa_workgroup_processor_mode 1
		.amdhsa_memory_ordered 1
		.amdhsa_forward_progress 0
		.amdhsa_shared_vgpr_count 0
		.amdhsa_exception_fp_ieee_invalid_op 0
		.amdhsa_exception_fp_denorm_src 0
		.amdhsa_exception_fp_ieee_div_zero 0
		.amdhsa_exception_fp_ieee_overflow 0
		.amdhsa_exception_fp_ieee_underflow 0
		.amdhsa_exception_fp_ieee_inexact 0
		.amdhsa_exception_int_div_zero 0
	.end_amdhsa_kernel
	.section	.text._ZN7rocprim17ROCPRIM_400000_NS6detail17trampoline_kernelINS0_14default_configENS1_36segmented_radix_sort_config_selectorIslEEZNS1_25segmented_radix_sort_implIS3_Lb0EPKsPsPKlPlN2at6native12_GLOBAL__N_18offset_tEEE10hipError_tPvRmT1_PNSt15iterator_traitsISK_E10value_typeET2_T3_PNSL_ISQ_E10value_typeET4_jRbjT5_SW_jjP12ihipStream_tbEUlT_E2_NS1_11comp_targetILNS1_3genE9ELNS1_11target_archE1100ELNS1_3gpuE3ELNS1_3repE0EEENS1_30default_config_static_selectorELNS0_4arch9wavefront6targetE0EEEvSK_,"axG",@progbits,_ZN7rocprim17ROCPRIM_400000_NS6detail17trampoline_kernelINS0_14default_configENS1_36segmented_radix_sort_config_selectorIslEEZNS1_25segmented_radix_sort_implIS3_Lb0EPKsPsPKlPlN2at6native12_GLOBAL__N_18offset_tEEE10hipError_tPvRmT1_PNSt15iterator_traitsISK_E10value_typeET2_T3_PNSL_ISQ_E10value_typeET4_jRbjT5_SW_jjP12ihipStream_tbEUlT_E2_NS1_11comp_targetILNS1_3genE9ELNS1_11target_archE1100ELNS1_3gpuE3ELNS1_3repE0EEENS1_30default_config_static_selectorELNS0_4arch9wavefront6targetE0EEEvSK_,comdat
.Lfunc_end1051:
	.size	_ZN7rocprim17ROCPRIM_400000_NS6detail17trampoline_kernelINS0_14default_configENS1_36segmented_radix_sort_config_selectorIslEEZNS1_25segmented_radix_sort_implIS3_Lb0EPKsPsPKlPlN2at6native12_GLOBAL__N_18offset_tEEE10hipError_tPvRmT1_PNSt15iterator_traitsISK_E10value_typeET2_T3_PNSL_ISQ_E10value_typeET4_jRbjT5_SW_jjP12ihipStream_tbEUlT_E2_NS1_11comp_targetILNS1_3genE9ELNS1_11target_archE1100ELNS1_3gpuE3ELNS1_3repE0EEENS1_30default_config_static_selectorELNS0_4arch9wavefront6targetE0EEEvSK_, .Lfunc_end1051-_ZN7rocprim17ROCPRIM_400000_NS6detail17trampoline_kernelINS0_14default_configENS1_36segmented_radix_sort_config_selectorIslEEZNS1_25segmented_radix_sort_implIS3_Lb0EPKsPsPKlPlN2at6native12_GLOBAL__N_18offset_tEEE10hipError_tPvRmT1_PNSt15iterator_traitsISK_E10value_typeET2_T3_PNSL_ISQ_E10value_typeET4_jRbjT5_SW_jjP12ihipStream_tbEUlT_E2_NS1_11comp_targetILNS1_3genE9ELNS1_11target_archE1100ELNS1_3gpuE3ELNS1_3repE0EEENS1_30default_config_static_selectorELNS0_4arch9wavefront6targetE0EEEvSK_
                                        ; -- End function
	.section	.AMDGPU.csdata,"",@progbits
; Kernel info:
; codeLenInByte = 71784
; NumSgprs: 68
; NumVgprs: 248
; ScratchSize: 188
; MemoryBound: 0
; FloatMode: 240
; IeeeMode: 1
; LDSByteSize: 33824 bytes/workgroup (compile time only)
; SGPRBlocks: 8
; VGPRBlocks: 30
; NumSGPRsForWavesPerEU: 68
; NumVGPRsForWavesPerEU: 248
; Occupancy: 5
; WaveLimiterHint : 1
; COMPUTE_PGM_RSRC2:SCRATCH_EN: 1
; COMPUTE_PGM_RSRC2:USER_SGPR: 14
; COMPUTE_PGM_RSRC2:TRAP_HANDLER: 0
; COMPUTE_PGM_RSRC2:TGID_X_EN: 1
; COMPUTE_PGM_RSRC2:TGID_Y_EN: 1
; COMPUTE_PGM_RSRC2:TGID_Z_EN: 0
; COMPUTE_PGM_RSRC2:TIDIG_COMP_CNT: 2
	.section	.text._ZN7rocprim17ROCPRIM_400000_NS6detail17trampoline_kernelINS0_14default_configENS1_36segmented_radix_sort_config_selectorIslEEZNS1_25segmented_radix_sort_implIS3_Lb0EPKsPsPKlPlN2at6native12_GLOBAL__N_18offset_tEEE10hipError_tPvRmT1_PNSt15iterator_traitsISK_E10value_typeET2_T3_PNSL_ISQ_E10value_typeET4_jRbjT5_SW_jjP12ihipStream_tbEUlT_E2_NS1_11comp_targetILNS1_3genE8ELNS1_11target_archE1030ELNS1_3gpuE2ELNS1_3repE0EEENS1_30default_config_static_selectorELNS0_4arch9wavefront6targetE0EEEvSK_,"axG",@progbits,_ZN7rocprim17ROCPRIM_400000_NS6detail17trampoline_kernelINS0_14default_configENS1_36segmented_radix_sort_config_selectorIslEEZNS1_25segmented_radix_sort_implIS3_Lb0EPKsPsPKlPlN2at6native12_GLOBAL__N_18offset_tEEE10hipError_tPvRmT1_PNSt15iterator_traitsISK_E10value_typeET2_T3_PNSL_ISQ_E10value_typeET4_jRbjT5_SW_jjP12ihipStream_tbEUlT_E2_NS1_11comp_targetILNS1_3genE8ELNS1_11target_archE1030ELNS1_3gpuE2ELNS1_3repE0EEENS1_30default_config_static_selectorELNS0_4arch9wavefront6targetE0EEEvSK_,comdat
	.globl	_ZN7rocprim17ROCPRIM_400000_NS6detail17trampoline_kernelINS0_14default_configENS1_36segmented_radix_sort_config_selectorIslEEZNS1_25segmented_radix_sort_implIS3_Lb0EPKsPsPKlPlN2at6native12_GLOBAL__N_18offset_tEEE10hipError_tPvRmT1_PNSt15iterator_traitsISK_E10value_typeET2_T3_PNSL_ISQ_E10value_typeET4_jRbjT5_SW_jjP12ihipStream_tbEUlT_E2_NS1_11comp_targetILNS1_3genE8ELNS1_11target_archE1030ELNS1_3gpuE2ELNS1_3repE0EEENS1_30default_config_static_selectorELNS0_4arch9wavefront6targetE0EEEvSK_ ; -- Begin function _ZN7rocprim17ROCPRIM_400000_NS6detail17trampoline_kernelINS0_14default_configENS1_36segmented_radix_sort_config_selectorIslEEZNS1_25segmented_radix_sort_implIS3_Lb0EPKsPsPKlPlN2at6native12_GLOBAL__N_18offset_tEEE10hipError_tPvRmT1_PNSt15iterator_traitsISK_E10value_typeET2_T3_PNSL_ISQ_E10value_typeET4_jRbjT5_SW_jjP12ihipStream_tbEUlT_E2_NS1_11comp_targetILNS1_3genE8ELNS1_11target_archE1030ELNS1_3gpuE2ELNS1_3repE0EEENS1_30default_config_static_selectorELNS0_4arch9wavefront6targetE0EEEvSK_
	.p2align	8
	.type	_ZN7rocprim17ROCPRIM_400000_NS6detail17trampoline_kernelINS0_14default_configENS1_36segmented_radix_sort_config_selectorIslEEZNS1_25segmented_radix_sort_implIS3_Lb0EPKsPsPKlPlN2at6native12_GLOBAL__N_18offset_tEEE10hipError_tPvRmT1_PNSt15iterator_traitsISK_E10value_typeET2_T3_PNSL_ISQ_E10value_typeET4_jRbjT5_SW_jjP12ihipStream_tbEUlT_E2_NS1_11comp_targetILNS1_3genE8ELNS1_11target_archE1030ELNS1_3gpuE2ELNS1_3repE0EEENS1_30default_config_static_selectorELNS0_4arch9wavefront6targetE0EEEvSK_,@function
_ZN7rocprim17ROCPRIM_400000_NS6detail17trampoline_kernelINS0_14default_configENS1_36segmented_radix_sort_config_selectorIslEEZNS1_25segmented_radix_sort_implIS3_Lb0EPKsPsPKlPlN2at6native12_GLOBAL__N_18offset_tEEE10hipError_tPvRmT1_PNSt15iterator_traitsISK_E10value_typeET2_T3_PNSL_ISQ_E10value_typeET4_jRbjT5_SW_jjP12ihipStream_tbEUlT_E2_NS1_11comp_targetILNS1_3genE8ELNS1_11target_archE1030ELNS1_3gpuE2ELNS1_3repE0EEENS1_30default_config_static_selectorELNS0_4arch9wavefront6targetE0EEEvSK_: ; @_ZN7rocprim17ROCPRIM_400000_NS6detail17trampoline_kernelINS0_14default_configENS1_36segmented_radix_sort_config_selectorIslEEZNS1_25segmented_radix_sort_implIS3_Lb0EPKsPsPKlPlN2at6native12_GLOBAL__N_18offset_tEEE10hipError_tPvRmT1_PNSt15iterator_traitsISK_E10value_typeET2_T3_PNSL_ISQ_E10value_typeET4_jRbjT5_SW_jjP12ihipStream_tbEUlT_E2_NS1_11comp_targetILNS1_3genE8ELNS1_11target_archE1030ELNS1_3gpuE2ELNS1_3repE0EEENS1_30default_config_static_selectorELNS0_4arch9wavefront6targetE0EEEvSK_
; %bb.0:
	.section	.rodata,"a",@progbits
	.p2align	6, 0x0
	.amdhsa_kernel _ZN7rocprim17ROCPRIM_400000_NS6detail17trampoline_kernelINS0_14default_configENS1_36segmented_radix_sort_config_selectorIslEEZNS1_25segmented_radix_sort_implIS3_Lb0EPKsPsPKlPlN2at6native12_GLOBAL__N_18offset_tEEE10hipError_tPvRmT1_PNSt15iterator_traitsISK_E10value_typeET2_T3_PNSL_ISQ_E10value_typeET4_jRbjT5_SW_jjP12ihipStream_tbEUlT_E2_NS1_11comp_targetILNS1_3genE8ELNS1_11target_archE1030ELNS1_3gpuE2ELNS1_3repE0EEENS1_30default_config_static_selectorELNS0_4arch9wavefront6targetE0EEEvSK_
		.amdhsa_group_segment_fixed_size 0
		.amdhsa_private_segment_fixed_size 0
		.amdhsa_kernarg_size 80
		.amdhsa_user_sgpr_count 15
		.amdhsa_user_sgpr_dispatch_ptr 0
		.amdhsa_user_sgpr_queue_ptr 0
		.amdhsa_user_sgpr_kernarg_segment_ptr 1
		.amdhsa_user_sgpr_dispatch_id 0
		.amdhsa_user_sgpr_private_segment_size 0
		.amdhsa_wavefront_size32 1
		.amdhsa_uses_dynamic_stack 0
		.amdhsa_enable_private_segment 0
		.amdhsa_system_sgpr_workgroup_id_x 1
		.amdhsa_system_sgpr_workgroup_id_y 0
		.amdhsa_system_sgpr_workgroup_id_z 0
		.amdhsa_system_sgpr_workgroup_info 0
		.amdhsa_system_vgpr_workitem_id 0
		.amdhsa_next_free_vgpr 1
		.amdhsa_next_free_sgpr 1
		.amdhsa_reserve_vcc 0
		.amdhsa_float_round_mode_32 0
		.amdhsa_float_round_mode_16_64 0
		.amdhsa_float_denorm_mode_32 3
		.amdhsa_float_denorm_mode_16_64 3
		.amdhsa_dx10_clamp 1
		.amdhsa_ieee_mode 1
		.amdhsa_fp16_overflow 0
		.amdhsa_workgroup_processor_mode 1
		.amdhsa_memory_ordered 1
		.amdhsa_forward_progress 0
		.amdhsa_shared_vgpr_count 0
		.amdhsa_exception_fp_ieee_invalid_op 0
		.amdhsa_exception_fp_denorm_src 0
		.amdhsa_exception_fp_ieee_div_zero 0
		.amdhsa_exception_fp_ieee_overflow 0
		.amdhsa_exception_fp_ieee_underflow 0
		.amdhsa_exception_fp_ieee_inexact 0
		.amdhsa_exception_int_div_zero 0
	.end_amdhsa_kernel
	.section	.text._ZN7rocprim17ROCPRIM_400000_NS6detail17trampoline_kernelINS0_14default_configENS1_36segmented_radix_sort_config_selectorIslEEZNS1_25segmented_radix_sort_implIS3_Lb0EPKsPsPKlPlN2at6native12_GLOBAL__N_18offset_tEEE10hipError_tPvRmT1_PNSt15iterator_traitsISK_E10value_typeET2_T3_PNSL_ISQ_E10value_typeET4_jRbjT5_SW_jjP12ihipStream_tbEUlT_E2_NS1_11comp_targetILNS1_3genE8ELNS1_11target_archE1030ELNS1_3gpuE2ELNS1_3repE0EEENS1_30default_config_static_selectorELNS0_4arch9wavefront6targetE0EEEvSK_,"axG",@progbits,_ZN7rocprim17ROCPRIM_400000_NS6detail17trampoline_kernelINS0_14default_configENS1_36segmented_radix_sort_config_selectorIslEEZNS1_25segmented_radix_sort_implIS3_Lb0EPKsPsPKlPlN2at6native12_GLOBAL__N_18offset_tEEE10hipError_tPvRmT1_PNSt15iterator_traitsISK_E10value_typeET2_T3_PNSL_ISQ_E10value_typeET4_jRbjT5_SW_jjP12ihipStream_tbEUlT_E2_NS1_11comp_targetILNS1_3genE8ELNS1_11target_archE1030ELNS1_3gpuE2ELNS1_3repE0EEENS1_30default_config_static_selectorELNS0_4arch9wavefront6targetE0EEEvSK_,comdat
.Lfunc_end1052:
	.size	_ZN7rocprim17ROCPRIM_400000_NS6detail17trampoline_kernelINS0_14default_configENS1_36segmented_radix_sort_config_selectorIslEEZNS1_25segmented_radix_sort_implIS3_Lb0EPKsPsPKlPlN2at6native12_GLOBAL__N_18offset_tEEE10hipError_tPvRmT1_PNSt15iterator_traitsISK_E10value_typeET2_T3_PNSL_ISQ_E10value_typeET4_jRbjT5_SW_jjP12ihipStream_tbEUlT_E2_NS1_11comp_targetILNS1_3genE8ELNS1_11target_archE1030ELNS1_3gpuE2ELNS1_3repE0EEENS1_30default_config_static_selectorELNS0_4arch9wavefront6targetE0EEEvSK_, .Lfunc_end1052-_ZN7rocprim17ROCPRIM_400000_NS6detail17trampoline_kernelINS0_14default_configENS1_36segmented_radix_sort_config_selectorIslEEZNS1_25segmented_radix_sort_implIS3_Lb0EPKsPsPKlPlN2at6native12_GLOBAL__N_18offset_tEEE10hipError_tPvRmT1_PNSt15iterator_traitsISK_E10value_typeET2_T3_PNSL_ISQ_E10value_typeET4_jRbjT5_SW_jjP12ihipStream_tbEUlT_E2_NS1_11comp_targetILNS1_3genE8ELNS1_11target_archE1030ELNS1_3gpuE2ELNS1_3repE0EEENS1_30default_config_static_selectorELNS0_4arch9wavefront6targetE0EEEvSK_
                                        ; -- End function
	.section	.AMDGPU.csdata,"",@progbits
; Kernel info:
; codeLenInByte = 0
; NumSgprs: 0
; NumVgprs: 0
; ScratchSize: 0
; MemoryBound: 0
; FloatMode: 240
; IeeeMode: 1
; LDSByteSize: 0 bytes/workgroup (compile time only)
; SGPRBlocks: 0
; VGPRBlocks: 0
; NumSGPRsForWavesPerEU: 1
; NumVGPRsForWavesPerEU: 1
; Occupancy: 16
; WaveLimiterHint : 0
; COMPUTE_PGM_RSRC2:SCRATCH_EN: 0
; COMPUTE_PGM_RSRC2:USER_SGPR: 15
; COMPUTE_PGM_RSRC2:TRAP_HANDLER: 0
; COMPUTE_PGM_RSRC2:TGID_X_EN: 1
; COMPUTE_PGM_RSRC2:TGID_Y_EN: 0
; COMPUTE_PGM_RSRC2:TGID_Z_EN: 0
; COMPUTE_PGM_RSRC2:TIDIG_COMP_CNT: 0
	.section	.text._ZN2at6native12_GLOBAL__N_123sort_postprocess_kernelIdEEvPKT_PS3_PlPK15HIP_vector_typeIiLj2EEii,"axG",@progbits,_ZN2at6native12_GLOBAL__N_123sort_postprocess_kernelIdEEvPKT_PS3_PlPK15HIP_vector_typeIiLj2EEii,comdat
	.globl	_ZN2at6native12_GLOBAL__N_123sort_postprocess_kernelIdEEvPKT_PS3_PlPK15HIP_vector_typeIiLj2EEii ; -- Begin function _ZN2at6native12_GLOBAL__N_123sort_postprocess_kernelIdEEvPKT_PS3_PlPK15HIP_vector_typeIiLj2EEii
	.p2align	8
	.type	_ZN2at6native12_GLOBAL__N_123sort_postprocess_kernelIdEEvPKT_PS3_PlPK15HIP_vector_typeIiLj2EEii,@function
_ZN2at6native12_GLOBAL__N_123sort_postprocess_kernelIdEEvPKT_PS3_PlPK15HIP_vector_typeIiLj2EEii: ; @_ZN2at6native12_GLOBAL__N_123sort_postprocess_kernelIdEEvPKT_PS3_PlPK15HIP_vector_typeIiLj2EEii
; %bb.0:
	s_clause 0x1
	s_load_b32 s2, s[0:1], 0x34
	s_load_b64 s[6:7], s[0:1], 0x20
	v_mov_b32_e32 v1, 0
	s_add_u32 s4, s0, 40
	s_addc_u32 s5, s1, 0
	s_waitcnt lgkmcnt(0)
	s_and_b32 s13, s2, 0xffff
	s_mul_i32 s2, s7, s6
	v_mad_u64_u32 v[2:3], null, s13, s15, v[0:1]
	s_ashr_i32 s3, s2, 31
	s_mov_b32 s6, exec_lo
	s_delay_alu instid0(VALU_DEP_1)
	v_cmpx_gt_i64_e64 s[2:3], v[2:3]
	s_cbranch_execz .LBB1053_3
; %bb.1:
	s_abs_i32 s12, s7
	s_load_b32 s14, s[4:5], 0x0
	v_cvt_f32_u32_e32 v0, s12
	s_sub_i32 s4, 0, s12
	s_delay_alu instid0(VALU_DEP_1) | instskip(SKIP_2) | instid1(VALU_DEP_1)
	v_rcp_iflag_f32_e32 v0, v0
	s_waitcnt_depctr 0xfff
	v_mul_f32_e32 v0, 0x4f7ffffe, v0
	v_cvt_u32_f32_e32 v0, v0
	s_delay_alu instid0(VALU_DEP_1) | instskip(SKIP_4) | instid1(VALU_DEP_1)
	v_mul_lo_u32 v1, s4, v0
	s_load_b256 s[4:11], s[0:1], 0x0
	s_waitcnt lgkmcnt(0)
	s_mul_i32 s1, s14, s13
	s_mov_b32 s13, 0
	v_mul_hi_u32 v1, v0, v1
	s_delay_alu instid0(VALU_DEP_1)
	v_add_nc_u32_e32 v0, v0, v1
.LBB1053_2:                             ; =>This Inner Loop Header: Depth=1
	v_sub_nc_u32_e32 v1, 0, v2
	v_ashrrev_i32_e32 v5, 31, v2
	s_delay_alu instid0(VALU_DEP_2) | instskip(NEXT) | instid1(VALU_DEP_1)
	v_max_i32_e32 v1, v2, v1
	v_mul_hi_u32 v4, v1, v0
	s_delay_alu instid0(VALU_DEP_1) | instskip(NEXT) | instid1(VALU_DEP_1)
	v_mul_lo_u32 v4, v4, s12
	v_sub_nc_u32_e32 v1, v1, v4
	s_delay_alu instid0(VALU_DEP_1) | instskip(SKIP_1) | instid1(VALU_DEP_2)
	v_subrev_nc_u32_e32 v4, s12, v1
	v_cmp_le_u32_e32 vcc_lo, s12, v1
	v_dual_cndmask_b32 v1, v1, v4 :: v_dual_add_nc_u32 v6, v2, v5
	s_delay_alu instid0(VALU_DEP_1) | instskip(SKIP_1) | instid1(VALU_DEP_2)
	v_subrev_nc_u32_e32 v4, s12, v1
	v_cmp_le_u32_e32 vcc_lo, s12, v1
	v_cndmask_b32_e32 v1, v1, v4, vcc_lo
	s_delay_alu instid0(VALU_DEP_1) | instskip(NEXT) | instid1(VALU_DEP_1)
	v_xor_b32_e32 v1, v1, v5
	v_sub_nc_u32_e32 v4, v6, v1
	v_sub_nc_u32_e32 v6, v1, v5
	s_delay_alu instid0(VALU_DEP_2) | instskip(NEXT) | instid1(VALU_DEP_2)
	v_ashrrev_i32_e32 v5, 31, v4
	v_ashrrev_i32_e32 v7, 31, v6
	s_delay_alu instid0(VALU_DEP_2) | instskip(NEXT) | instid1(VALU_DEP_2)
	v_lshlrev_b64 v[4:5], 3, v[4:5]
	v_lshlrev_b64 v[6:7], 3, v[6:7]
	s_delay_alu instid0(VALU_DEP_2) | instskip(NEXT) | instid1(VALU_DEP_3)
	v_add_co_u32 v1, vcc_lo, s10, v4
	v_add_co_ci_u32_e32 v9, vcc_lo, s11, v5, vcc_lo
	s_delay_alu instid0(VALU_DEP_2) | instskip(NEXT) | instid1(VALU_DEP_2)
	v_add_co_u32 v8, vcc_lo, v1, v6
	v_add_co_ci_u32_e32 v9, vcc_lo, v9, v7, vcc_lo
	v_add_co_u32 v1, vcc_lo, s4, v4
	v_add_co_ci_u32_e32 v12, vcc_lo, s5, v5, vcc_lo
	global_load_b32 v8, v[8:9], off offset:4
	s_waitcnt vmcnt(0)
	v_ashrrev_i32_e32 v9, 31, v8
	s_delay_alu instid0(VALU_DEP_1) | instskip(NEXT) | instid1(VALU_DEP_1)
	v_lshlrev_b64 v[10:11], 3, v[8:9]
	v_add_co_u32 v10, vcc_lo, v1, v10
	s_delay_alu instid0(VALU_DEP_2)
	v_add_co_ci_u32_e32 v11, vcc_lo, v12, v11, vcc_lo
	v_add_co_u32 v2, vcc_lo, v2, s1
	v_add_co_u32 v1, s0, s8, v4
	global_load_b64 v[10:11], v[10:11], off
	v_add_co_ci_u32_e32 v3, vcc_lo, 0, v3, vcc_lo
	v_add_co_ci_u32_e64 v12, s0, s9, v5, s0
	v_add_co_u32 v13, s0, s6, v4
	s_delay_alu instid0(VALU_DEP_1) | instskip(SKIP_4) | instid1(VALU_DEP_1)
	v_add_co_ci_u32_e64 v14, s0, s7, v5, s0
	v_add_co_u32 v4, s0, v1, v6
	v_cmp_le_i64_e32 vcc_lo, s[2:3], v[2:3]
	v_add_co_ci_u32_e64 v5, s0, v12, v7, s0
	v_add_co_u32 v6, s0, v13, v6
	v_add_co_ci_u32_e64 v7, s0, v14, v7, s0
	s_or_b32 s13, vcc_lo, s13
	global_store_b64 v[4:5], v[8:9], off
	s_waitcnt vmcnt(0)
	global_store_b64 v[6:7], v[10:11], off
	s_and_not1_b32 exec_lo, exec_lo, s13
	s_cbranch_execnz .LBB1053_2
.LBB1053_3:
	s_nop 0
	s_sendmsg sendmsg(MSG_DEALLOC_VGPRS)
	s_endpgm
	.section	.rodata,"a",@progbits
	.p2align	6, 0x0
	.amdhsa_kernel _ZN2at6native12_GLOBAL__N_123sort_postprocess_kernelIdEEvPKT_PS3_PlPK15HIP_vector_typeIiLj2EEii
		.amdhsa_group_segment_fixed_size 0
		.amdhsa_private_segment_fixed_size 0
		.amdhsa_kernarg_size 296
		.amdhsa_user_sgpr_count 15
		.amdhsa_user_sgpr_dispatch_ptr 0
		.amdhsa_user_sgpr_queue_ptr 0
		.amdhsa_user_sgpr_kernarg_segment_ptr 1
		.amdhsa_user_sgpr_dispatch_id 0
		.amdhsa_user_sgpr_private_segment_size 0
		.amdhsa_wavefront_size32 1
		.amdhsa_uses_dynamic_stack 0
		.amdhsa_enable_private_segment 0
		.amdhsa_system_sgpr_workgroup_id_x 1
		.amdhsa_system_sgpr_workgroup_id_y 0
		.amdhsa_system_sgpr_workgroup_id_z 0
		.amdhsa_system_sgpr_workgroup_info 0
		.amdhsa_system_vgpr_workitem_id 0
		.amdhsa_next_free_vgpr 15
		.amdhsa_next_free_sgpr 16
		.amdhsa_reserve_vcc 1
		.amdhsa_float_round_mode_32 0
		.amdhsa_float_round_mode_16_64 0
		.amdhsa_float_denorm_mode_32 3
		.amdhsa_float_denorm_mode_16_64 3
		.amdhsa_dx10_clamp 1
		.amdhsa_ieee_mode 1
		.amdhsa_fp16_overflow 0
		.amdhsa_workgroup_processor_mode 1
		.amdhsa_memory_ordered 1
		.amdhsa_forward_progress 0
		.amdhsa_shared_vgpr_count 0
		.amdhsa_exception_fp_ieee_invalid_op 0
		.amdhsa_exception_fp_denorm_src 0
		.amdhsa_exception_fp_ieee_div_zero 0
		.amdhsa_exception_fp_ieee_overflow 0
		.amdhsa_exception_fp_ieee_underflow 0
		.amdhsa_exception_fp_ieee_inexact 0
		.amdhsa_exception_int_div_zero 0
	.end_amdhsa_kernel
	.section	.text._ZN2at6native12_GLOBAL__N_123sort_postprocess_kernelIdEEvPKT_PS3_PlPK15HIP_vector_typeIiLj2EEii,"axG",@progbits,_ZN2at6native12_GLOBAL__N_123sort_postprocess_kernelIdEEvPKT_PS3_PlPK15HIP_vector_typeIiLj2EEii,comdat
.Lfunc_end1053:
	.size	_ZN2at6native12_GLOBAL__N_123sort_postprocess_kernelIdEEvPKT_PS3_PlPK15HIP_vector_typeIiLj2EEii, .Lfunc_end1053-_ZN2at6native12_GLOBAL__N_123sort_postprocess_kernelIdEEvPKT_PS3_PlPK15HIP_vector_typeIiLj2EEii
                                        ; -- End function
	.section	.AMDGPU.csdata,"",@progbits
; Kernel info:
; codeLenInByte = 520
; NumSgprs: 18
; NumVgprs: 15
; ScratchSize: 0
; MemoryBound: 0
; FloatMode: 240
; IeeeMode: 1
; LDSByteSize: 0 bytes/workgroup (compile time only)
; SGPRBlocks: 2
; VGPRBlocks: 1
; NumSGPRsForWavesPerEU: 18
; NumVGPRsForWavesPerEU: 15
; Occupancy: 16
; WaveLimiterHint : 1
; COMPUTE_PGM_RSRC2:SCRATCH_EN: 0
; COMPUTE_PGM_RSRC2:USER_SGPR: 15
; COMPUTE_PGM_RSRC2:TRAP_HANDLER: 0
; COMPUTE_PGM_RSRC2:TGID_X_EN: 1
; COMPUTE_PGM_RSRC2:TGID_Y_EN: 0
; COMPUTE_PGM_RSRC2:TGID_Z_EN: 0
; COMPUTE_PGM_RSRC2:TIDIG_COMP_CNT: 0
	.section	.text._ZN7rocprim17ROCPRIM_400000_NS6detail17trampoline_kernelINS0_13select_configILj256ELj13ELNS0_17block_load_methodE3ELS4_3ELS4_3ELNS0_20block_scan_algorithmE0ELj4294967295EEENS1_25partition_config_selectorILNS1_17partition_subalgoE4EjNS0_10empty_typeEbEEZZNS1_14partition_implILS8_4ELb0ES6_15HIP_vector_typeIjLj2EENS0_17counting_iteratorIjlEEPS9_SG_NS0_5tupleIJPjSI_NS0_16reverse_iteratorISI_EEEEENSH_IJSG_SG_SG_EEES9_SI_JZNS1_25segmented_radix_sort_implINS0_14default_configELb1EPKdPdPKlPlN2at6native12_GLOBAL__N_18offset_tEEE10hipError_tPvRmT1_PNSt15iterator_traitsIS12_E10value_typeET2_T3_PNS13_IS18_E10value_typeET4_jRbjT5_S1E_jjP12ihipStream_tbEUljE_ZNSN_ISO_Lb1ESQ_SR_ST_SU_SY_EESZ_S10_S11_S12_S16_S17_S18_S1B_S1C_jS1D_jS1E_S1E_jjS1G_bEUljE0_EEESZ_S10_S11_S18_S1C_S1E_T6_T7_T9_mT8_S1G_bDpT10_ENKUlT_T0_E_clISt17integral_constantIbLb0EES1U_EEDaS1P_S1Q_EUlS1P_E_NS1_11comp_targetILNS1_3genE0ELNS1_11target_archE4294967295ELNS1_3gpuE0ELNS1_3repE0EEENS1_30default_config_static_selectorELNS0_4arch9wavefront6targetE0EEEvS12_,"axG",@progbits,_ZN7rocprim17ROCPRIM_400000_NS6detail17trampoline_kernelINS0_13select_configILj256ELj13ELNS0_17block_load_methodE3ELS4_3ELS4_3ELNS0_20block_scan_algorithmE0ELj4294967295EEENS1_25partition_config_selectorILNS1_17partition_subalgoE4EjNS0_10empty_typeEbEEZZNS1_14partition_implILS8_4ELb0ES6_15HIP_vector_typeIjLj2EENS0_17counting_iteratorIjlEEPS9_SG_NS0_5tupleIJPjSI_NS0_16reverse_iteratorISI_EEEEENSH_IJSG_SG_SG_EEES9_SI_JZNS1_25segmented_radix_sort_implINS0_14default_configELb1EPKdPdPKlPlN2at6native12_GLOBAL__N_18offset_tEEE10hipError_tPvRmT1_PNSt15iterator_traitsIS12_E10value_typeET2_T3_PNS13_IS18_E10value_typeET4_jRbjT5_S1E_jjP12ihipStream_tbEUljE_ZNSN_ISO_Lb1ESQ_SR_ST_SU_SY_EESZ_S10_S11_S12_S16_S17_S18_S1B_S1C_jS1D_jS1E_S1E_jjS1G_bEUljE0_EEESZ_S10_S11_S18_S1C_S1E_T6_T7_T9_mT8_S1G_bDpT10_ENKUlT_T0_E_clISt17integral_constantIbLb0EES1U_EEDaS1P_S1Q_EUlS1P_E_NS1_11comp_targetILNS1_3genE0ELNS1_11target_archE4294967295ELNS1_3gpuE0ELNS1_3repE0EEENS1_30default_config_static_selectorELNS0_4arch9wavefront6targetE0EEEvS12_,comdat
	.globl	_ZN7rocprim17ROCPRIM_400000_NS6detail17trampoline_kernelINS0_13select_configILj256ELj13ELNS0_17block_load_methodE3ELS4_3ELS4_3ELNS0_20block_scan_algorithmE0ELj4294967295EEENS1_25partition_config_selectorILNS1_17partition_subalgoE4EjNS0_10empty_typeEbEEZZNS1_14partition_implILS8_4ELb0ES6_15HIP_vector_typeIjLj2EENS0_17counting_iteratorIjlEEPS9_SG_NS0_5tupleIJPjSI_NS0_16reverse_iteratorISI_EEEEENSH_IJSG_SG_SG_EEES9_SI_JZNS1_25segmented_radix_sort_implINS0_14default_configELb1EPKdPdPKlPlN2at6native12_GLOBAL__N_18offset_tEEE10hipError_tPvRmT1_PNSt15iterator_traitsIS12_E10value_typeET2_T3_PNS13_IS18_E10value_typeET4_jRbjT5_S1E_jjP12ihipStream_tbEUljE_ZNSN_ISO_Lb1ESQ_SR_ST_SU_SY_EESZ_S10_S11_S12_S16_S17_S18_S1B_S1C_jS1D_jS1E_S1E_jjS1G_bEUljE0_EEESZ_S10_S11_S18_S1C_S1E_T6_T7_T9_mT8_S1G_bDpT10_ENKUlT_T0_E_clISt17integral_constantIbLb0EES1U_EEDaS1P_S1Q_EUlS1P_E_NS1_11comp_targetILNS1_3genE0ELNS1_11target_archE4294967295ELNS1_3gpuE0ELNS1_3repE0EEENS1_30default_config_static_selectorELNS0_4arch9wavefront6targetE0EEEvS12_ ; -- Begin function _ZN7rocprim17ROCPRIM_400000_NS6detail17trampoline_kernelINS0_13select_configILj256ELj13ELNS0_17block_load_methodE3ELS4_3ELS4_3ELNS0_20block_scan_algorithmE0ELj4294967295EEENS1_25partition_config_selectorILNS1_17partition_subalgoE4EjNS0_10empty_typeEbEEZZNS1_14partition_implILS8_4ELb0ES6_15HIP_vector_typeIjLj2EENS0_17counting_iteratorIjlEEPS9_SG_NS0_5tupleIJPjSI_NS0_16reverse_iteratorISI_EEEEENSH_IJSG_SG_SG_EEES9_SI_JZNS1_25segmented_radix_sort_implINS0_14default_configELb1EPKdPdPKlPlN2at6native12_GLOBAL__N_18offset_tEEE10hipError_tPvRmT1_PNSt15iterator_traitsIS12_E10value_typeET2_T3_PNS13_IS18_E10value_typeET4_jRbjT5_S1E_jjP12ihipStream_tbEUljE_ZNSN_ISO_Lb1ESQ_SR_ST_SU_SY_EESZ_S10_S11_S12_S16_S17_S18_S1B_S1C_jS1D_jS1E_S1E_jjS1G_bEUljE0_EEESZ_S10_S11_S18_S1C_S1E_T6_T7_T9_mT8_S1G_bDpT10_ENKUlT_T0_E_clISt17integral_constantIbLb0EES1U_EEDaS1P_S1Q_EUlS1P_E_NS1_11comp_targetILNS1_3genE0ELNS1_11target_archE4294967295ELNS1_3gpuE0ELNS1_3repE0EEENS1_30default_config_static_selectorELNS0_4arch9wavefront6targetE0EEEvS12_
	.p2align	8
	.type	_ZN7rocprim17ROCPRIM_400000_NS6detail17trampoline_kernelINS0_13select_configILj256ELj13ELNS0_17block_load_methodE3ELS4_3ELS4_3ELNS0_20block_scan_algorithmE0ELj4294967295EEENS1_25partition_config_selectorILNS1_17partition_subalgoE4EjNS0_10empty_typeEbEEZZNS1_14partition_implILS8_4ELb0ES6_15HIP_vector_typeIjLj2EENS0_17counting_iteratorIjlEEPS9_SG_NS0_5tupleIJPjSI_NS0_16reverse_iteratorISI_EEEEENSH_IJSG_SG_SG_EEES9_SI_JZNS1_25segmented_radix_sort_implINS0_14default_configELb1EPKdPdPKlPlN2at6native12_GLOBAL__N_18offset_tEEE10hipError_tPvRmT1_PNSt15iterator_traitsIS12_E10value_typeET2_T3_PNS13_IS18_E10value_typeET4_jRbjT5_S1E_jjP12ihipStream_tbEUljE_ZNSN_ISO_Lb1ESQ_SR_ST_SU_SY_EESZ_S10_S11_S12_S16_S17_S18_S1B_S1C_jS1D_jS1E_S1E_jjS1G_bEUljE0_EEESZ_S10_S11_S18_S1C_S1E_T6_T7_T9_mT8_S1G_bDpT10_ENKUlT_T0_E_clISt17integral_constantIbLb0EES1U_EEDaS1P_S1Q_EUlS1P_E_NS1_11comp_targetILNS1_3genE0ELNS1_11target_archE4294967295ELNS1_3gpuE0ELNS1_3repE0EEENS1_30default_config_static_selectorELNS0_4arch9wavefront6targetE0EEEvS12_,@function
_ZN7rocprim17ROCPRIM_400000_NS6detail17trampoline_kernelINS0_13select_configILj256ELj13ELNS0_17block_load_methodE3ELS4_3ELS4_3ELNS0_20block_scan_algorithmE0ELj4294967295EEENS1_25partition_config_selectorILNS1_17partition_subalgoE4EjNS0_10empty_typeEbEEZZNS1_14partition_implILS8_4ELb0ES6_15HIP_vector_typeIjLj2EENS0_17counting_iteratorIjlEEPS9_SG_NS0_5tupleIJPjSI_NS0_16reverse_iteratorISI_EEEEENSH_IJSG_SG_SG_EEES9_SI_JZNS1_25segmented_radix_sort_implINS0_14default_configELb1EPKdPdPKlPlN2at6native12_GLOBAL__N_18offset_tEEE10hipError_tPvRmT1_PNSt15iterator_traitsIS12_E10value_typeET2_T3_PNS13_IS18_E10value_typeET4_jRbjT5_S1E_jjP12ihipStream_tbEUljE_ZNSN_ISO_Lb1ESQ_SR_ST_SU_SY_EESZ_S10_S11_S12_S16_S17_S18_S1B_S1C_jS1D_jS1E_S1E_jjS1G_bEUljE0_EEESZ_S10_S11_S18_S1C_S1E_T6_T7_T9_mT8_S1G_bDpT10_ENKUlT_T0_E_clISt17integral_constantIbLb0EES1U_EEDaS1P_S1Q_EUlS1P_E_NS1_11comp_targetILNS1_3genE0ELNS1_11target_archE4294967295ELNS1_3gpuE0ELNS1_3repE0EEENS1_30default_config_static_selectorELNS0_4arch9wavefront6targetE0EEEvS12_: ; @_ZN7rocprim17ROCPRIM_400000_NS6detail17trampoline_kernelINS0_13select_configILj256ELj13ELNS0_17block_load_methodE3ELS4_3ELS4_3ELNS0_20block_scan_algorithmE0ELj4294967295EEENS1_25partition_config_selectorILNS1_17partition_subalgoE4EjNS0_10empty_typeEbEEZZNS1_14partition_implILS8_4ELb0ES6_15HIP_vector_typeIjLj2EENS0_17counting_iteratorIjlEEPS9_SG_NS0_5tupleIJPjSI_NS0_16reverse_iteratorISI_EEEEENSH_IJSG_SG_SG_EEES9_SI_JZNS1_25segmented_radix_sort_implINS0_14default_configELb1EPKdPdPKlPlN2at6native12_GLOBAL__N_18offset_tEEE10hipError_tPvRmT1_PNSt15iterator_traitsIS12_E10value_typeET2_T3_PNS13_IS18_E10value_typeET4_jRbjT5_S1E_jjP12ihipStream_tbEUljE_ZNSN_ISO_Lb1ESQ_SR_ST_SU_SY_EESZ_S10_S11_S12_S16_S17_S18_S1B_S1C_jS1D_jS1E_S1E_jjS1G_bEUljE0_EEESZ_S10_S11_S18_S1C_S1E_T6_T7_T9_mT8_S1G_bDpT10_ENKUlT_T0_E_clISt17integral_constantIbLb0EES1U_EEDaS1P_S1Q_EUlS1P_E_NS1_11comp_targetILNS1_3genE0ELNS1_11target_archE4294967295ELNS1_3gpuE0ELNS1_3repE0EEENS1_30default_config_static_selectorELNS0_4arch9wavefront6targetE0EEEvS12_
; %bb.0:
	.section	.rodata,"a",@progbits
	.p2align	6, 0x0
	.amdhsa_kernel _ZN7rocprim17ROCPRIM_400000_NS6detail17trampoline_kernelINS0_13select_configILj256ELj13ELNS0_17block_load_methodE3ELS4_3ELS4_3ELNS0_20block_scan_algorithmE0ELj4294967295EEENS1_25partition_config_selectorILNS1_17partition_subalgoE4EjNS0_10empty_typeEbEEZZNS1_14partition_implILS8_4ELb0ES6_15HIP_vector_typeIjLj2EENS0_17counting_iteratorIjlEEPS9_SG_NS0_5tupleIJPjSI_NS0_16reverse_iteratorISI_EEEEENSH_IJSG_SG_SG_EEES9_SI_JZNS1_25segmented_radix_sort_implINS0_14default_configELb1EPKdPdPKlPlN2at6native12_GLOBAL__N_18offset_tEEE10hipError_tPvRmT1_PNSt15iterator_traitsIS12_E10value_typeET2_T3_PNS13_IS18_E10value_typeET4_jRbjT5_S1E_jjP12ihipStream_tbEUljE_ZNSN_ISO_Lb1ESQ_SR_ST_SU_SY_EESZ_S10_S11_S12_S16_S17_S18_S1B_S1C_jS1D_jS1E_S1E_jjS1G_bEUljE0_EEESZ_S10_S11_S18_S1C_S1E_T6_T7_T9_mT8_S1G_bDpT10_ENKUlT_T0_E_clISt17integral_constantIbLb0EES1U_EEDaS1P_S1Q_EUlS1P_E_NS1_11comp_targetILNS1_3genE0ELNS1_11target_archE4294967295ELNS1_3gpuE0ELNS1_3repE0EEENS1_30default_config_static_selectorELNS0_4arch9wavefront6targetE0EEEvS12_
		.amdhsa_group_segment_fixed_size 0
		.amdhsa_private_segment_fixed_size 0
		.amdhsa_kernarg_size 176
		.amdhsa_user_sgpr_count 15
		.amdhsa_user_sgpr_dispatch_ptr 0
		.amdhsa_user_sgpr_queue_ptr 0
		.amdhsa_user_sgpr_kernarg_segment_ptr 1
		.amdhsa_user_sgpr_dispatch_id 0
		.amdhsa_user_sgpr_private_segment_size 0
		.amdhsa_wavefront_size32 1
		.amdhsa_uses_dynamic_stack 0
		.amdhsa_enable_private_segment 0
		.amdhsa_system_sgpr_workgroup_id_x 1
		.amdhsa_system_sgpr_workgroup_id_y 0
		.amdhsa_system_sgpr_workgroup_id_z 0
		.amdhsa_system_sgpr_workgroup_info 0
		.amdhsa_system_vgpr_workitem_id 0
		.amdhsa_next_free_vgpr 1
		.amdhsa_next_free_sgpr 1
		.amdhsa_reserve_vcc 0
		.amdhsa_float_round_mode_32 0
		.amdhsa_float_round_mode_16_64 0
		.amdhsa_float_denorm_mode_32 3
		.amdhsa_float_denorm_mode_16_64 3
		.amdhsa_dx10_clamp 1
		.amdhsa_ieee_mode 1
		.amdhsa_fp16_overflow 0
		.amdhsa_workgroup_processor_mode 1
		.amdhsa_memory_ordered 1
		.amdhsa_forward_progress 0
		.amdhsa_shared_vgpr_count 0
		.amdhsa_exception_fp_ieee_invalid_op 0
		.amdhsa_exception_fp_denorm_src 0
		.amdhsa_exception_fp_ieee_div_zero 0
		.amdhsa_exception_fp_ieee_overflow 0
		.amdhsa_exception_fp_ieee_underflow 0
		.amdhsa_exception_fp_ieee_inexact 0
		.amdhsa_exception_int_div_zero 0
	.end_amdhsa_kernel
	.section	.text._ZN7rocprim17ROCPRIM_400000_NS6detail17trampoline_kernelINS0_13select_configILj256ELj13ELNS0_17block_load_methodE3ELS4_3ELS4_3ELNS0_20block_scan_algorithmE0ELj4294967295EEENS1_25partition_config_selectorILNS1_17partition_subalgoE4EjNS0_10empty_typeEbEEZZNS1_14partition_implILS8_4ELb0ES6_15HIP_vector_typeIjLj2EENS0_17counting_iteratorIjlEEPS9_SG_NS0_5tupleIJPjSI_NS0_16reverse_iteratorISI_EEEEENSH_IJSG_SG_SG_EEES9_SI_JZNS1_25segmented_radix_sort_implINS0_14default_configELb1EPKdPdPKlPlN2at6native12_GLOBAL__N_18offset_tEEE10hipError_tPvRmT1_PNSt15iterator_traitsIS12_E10value_typeET2_T3_PNS13_IS18_E10value_typeET4_jRbjT5_S1E_jjP12ihipStream_tbEUljE_ZNSN_ISO_Lb1ESQ_SR_ST_SU_SY_EESZ_S10_S11_S12_S16_S17_S18_S1B_S1C_jS1D_jS1E_S1E_jjS1G_bEUljE0_EEESZ_S10_S11_S18_S1C_S1E_T6_T7_T9_mT8_S1G_bDpT10_ENKUlT_T0_E_clISt17integral_constantIbLb0EES1U_EEDaS1P_S1Q_EUlS1P_E_NS1_11comp_targetILNS1_3genE0ELNS1_11target_archE4294967295ELNS1_3gpuE0ELNS1_3repE0EEENS1_30default_config_static_selectorELNS0_4arch9wavefront6targetE0EEEvS12_,"axG",@progbits,_ZN7rocprim17ROCPRIM_400000_NS6detail17trampoline_kernelINS0_13select_configILj256ELj13ELNS0_17block_load_methodE3ELS4_3ELS4_3ELNS0_20block_scan_algorithmE0ELj4294967295EEENS1_25partition_config_selectorILNS1_17partition_subalgoE4EjNS0_10empty_typeEbEEZZNS1_14partition_implILS8_4ELb0ES6_15HIP_vector_typeIjLj2EENS0_17counting_iteratorIjlEEPS9_SG_NS0_5tupleIJPjSI_NS0_16reverse_iteratorISI_EEEEENSH_IJSG_SG_SG_EEES9_SI_JZNS1_25segmented_radix_sort_implINS0_14default_configELb1EPKdPdPKlPlN2at6native12_GLOBAL__N_18offset_tEEE10hipError_tPvRmT1_PNSt15iterator_traitsIS12_E10value_typeET2_T3_PNS13_IS18_E10value_typeET4_jRbjT5_S1E_jjP12ihipStream_tbEUljE_ZNSN_ISO_Lb1ESQ_SR_ST_SU_SY_EESZ_S10_S11_S12_S16_S17_S18_S1B_S1C_jS1D_jS1E_S1E_jjS1G_bEUljE0_EEESZ_S10_S11_S18_S1C_S1E_T6_T7_T9_mT8_S1G_bDpT10_ENKUlT_T0_E_clISt17integral_constantIbLb0EES1U_EEDaS1P_S1Q_EUlS1P_E_NS1_11comp_targetILNS1_3genE0ELNS1_11target_archE4294967295ELNS1_3gpuE0ELNS1_3repE0EEENS1_30default_config_static_selectorELNS0_4arch9wavefront6targetE0EEEvS12_,comdat
.Lfunc_end1054:
	.size	_ZN7rocprim17ROCPRIM_400000_NS6detail17trampoline_kernelINS0_13select_configILj256ELj13ELNS0_17block_load_methodE3ELS4_3ELS4_3ELNS0_20block_scan_algorithmE0ELj4294967295EEENS1_25partition_config_selectorILNS1_17partition_subalgoE4EjNS0_10empty_typeEbEEZZNS1_14partition_implILS8_4ELb0ES6_15HIP_vector_typeIjLj2EENS0_17counting_iteratorIjlEEPS9_SG_NS0_5tupleIJPjSI_NS0_16reverse_iteratorISI_EEEEENSH_IJSG_SG_SG_EEES9_SI_JZNS1_25segmented_radix_sort_implINS0_14default_configELb1EPKdPdPKlPlN2at6native12_GLOBAL__N_18offset_tEEE10hipError_tPvRmT1_PNSt15iterator_traitsIS12_E10value_typeET2_T3_PNS13_IS18_E10value_typeET4_jRbjT5_S1E_jjP12ihipStream_tbEUljE_ZNSN_ISO_Lb1ESQ_SR_ST_SU_SY_EESZ_S10_S11_S12_S16_S17_S18_S1B_S1C_jS1D_jS1E_S1E_jjS1G_bEUljE0_EEESZ_S10_S11_S18_S1C_S1E_T6_T7_T9_mT8_S1G_bDpT10_ENKUlT_T0_E_clISt17integral_constantIbLb0EES1U_EEDaS1P_S1Q_EUlS1P_E_NS1_11comp_targetILNS1_3genE0ELNS1_11target_archE4294967295ELNS1_3gpuE0ELNS1_3repE0EEENS1_30default_config_static_selectorELNS0_4arch9wavefront6targetE0EEEvS12_, .Lfunc_end1054-_ZN7rocprim17ROCPRIM_400000_NS6detail17trampoline_kernelINS0_13select_configILj256ELj13ELNS0_17block_load_methodE3ELS4_3ELS4_3ELNS0_20block_scan_algorithmE0ELj4294967295EEENS1_25partition_config_selectorILNS1_17partition_subalgoE4EjNS0_10empty_typeEbEEZZNS1_14partition_implILS8_4ELb0ES6_15HIP_vector_typeIjLj2EENS0_17counting_iteratorIjlEEPS9_SG_NS0_5tupleIJPjSI_NS0_16reverse_iteratorISI_EEEEENSH_IJSG_SG_SG_EEES9_SI_JZNS1_25segmented_radix_sort_implINS0_14default_configELb1EPKdPdPKlPlN2at6native12_GLOBAL__N_18offset_tEEE10hipError_tPvRmT1_PNSt15iterator_traitsIS12_E10value_typeET2_T3_PNS13_IS18_E10value_typeET4_jRbjT5_S1E_jjP12ihipStream_tbEUljE_ZNSN_ISO_Lb1ESQ_SR_ST_SU_SY_EESZ_S10_S11_S12_S16_S17_S18_S1B_S1C_jS1D_jS1E_S1E_jjS1G_bEUljE0_EEESZ_S10_S11_S18_S1C_S1E_T6_T7_T9_mT8_S1G_bDpT10_ENKUlT_T0_E_clISt17integral_constantIbLb0EES1U_EEDaS1P_S1Q_EUlS1P_E_NS1_11comp_targetILNS1_3genE0ELNS1_11target_archE4294967295ELNS1_3gpuE0ELNS1_3repE0EEENS1_30default_config_static_selectorELNS0_4arch9wavefront6targetE0EEEvS12_
                                        ; -- End function
	.section	.AMDGPU.csdata,"",@progbits
; Kernel info:
; codeLenInByte = 0
; NumSgprs: 0
; NumVgprs: 0
; ScratchSize: 0
; MemoryBound: 0
; FloatMode: 240
; IeeeMode: 1
; LDSByteSize: 0 bytes/workgroup (compile time only)
; SGPRBlocks: 0
; VGPRBlocks: 0
; NumSGPRsForWavesPerEU: 1
; NumVGPRsForWavesPerEU: 1
; Occupancy: 16
; WaveLimiterHint : 0
; COMPUTE_PGM_RSRC2:SCRATCH_EN: 0
; COMPUTE_PGM_RSRC2:USER_SGPR: 15
; COMPUTE_PGM_RSRC2:TRAP_HANDLER: 0
; COMPUTE_PGM_RSRC2:TGID_X_EN: 1
; COMPUTE_PGM_RSRC2:TGID_Y_EN: 0
; COMPUTE_PGM_RSRC2:TGID_Z_EN: 0
; COMPUTE_PGM_RSRC2:TIDIG_COMP_CNT: 0
	.section	.text._ZN7rocprim17ROCPRIM_400000_NS6detail17trampoline_kernelINS0_13select_configILj256ELj13ELNS0_17block_load_methodE3ELS4_3ELS4_3ELNS0_20block_scan_algorithmE0ELj4294967295EEENS1_25partition_config_selectorILNS1_17partition_subalgoE4EjNS0_10empty_typeEbEEZZNS1_14partition_implILS8_4ELb0ES6_15HIP_vector_typeIjLj2EENS0_17counting_iteratorIjlEEPS9_SG_NS0_5tupleIJPjSI_NS0_16reverse_iteratorISI_EEEEENSH_IJSG_SG_SG_EEES9_SI_JZNS1_25segmented_radix_sort_implINS0_14default_configELb1EPKdPdPKlPlN2at6native12_GLOBAL__N_18offset_tEEE10hipError_tPvRmT1_PNSt15iterator_traitsIS12_E10value_typeET2_T3_PNS13_IS18_E10value_typeET4_jRbjT5_S1E_jjP12ihipStream_tbEUljE_ZNSN_ISO_Lb1ESQ_SR_ST_SU_SY_EESZ_S10_S11_S12_S16_S17_S18_S1B_S1C_jS1D_jS1E_S1E_jjS1G_bEUljE0_EEESZ_S10_S11_S18_S1C_S1E_T6_T7_T9_mT8_S1G_bDpT10_ENKUlT_T0_E_clISt17integral_constantIbLb0EES1U_EEDaS1P_S1Q_EUlS1P_E_NS1_11comp_targetILNS1_3genE5ELNS1_11target_archE942ELNS1_3gpuE9ELNS1_3repE0EEENS1_30default_config_static_selectorELNS0_4arch9wavefront6targetE0EEEvS12_,"axG",@progbits,_ZN7rocprim17ROCPRIM_400000_NS6detail17trampoline_kernelINS0_13select_configILj256ELj13ELNS0_17block_load_methodE3ELS4_3ELS4_3ELNS0_20block_scan_algorithmE0ELj4294967295EEENS1_25partition_config_selectorILNS1_17partition_subalgoE4EjNS0_10empty_typeEbEEZZNS1_14partition_implILS8_4ELb0ES6_15HIP_vector_typeIjLj2EENS0_17counting_iteratorIjlEEPS9_SG_NS0_5tupleIJPjSI_NS0_16reverse_iteratorISI_EEEEENSH_IJSG_SG_SG_EEES9_SI_JZNS1_25segmented_radix_sort_implINS0_14default_configELb1EPKdPdPKlPlN2at6native12_GLOBAL__N_18offset_tEEE10hipError_tPvRmT1_PNSt15iterator_traitsIS12_E10value_typeET2_T3_PNS13_IS18_E10value_typeET4_jRbjT5_S1E_jjP12ihipStream_tbEUljE_ZNSN_ISO_Lb1ESQ_SR_ST_SU_SY_EESZ_S10_S11_S12_S16_S17_S18_S1B_S1C_jS1D_jS1E_S1E_jjS1G_bEUljE0_EEESZ_S10_S11_S18_S1C_S1E_T6_T7_T9_mT8_S1G_bDpT10_ENKUlT_T0_E_clISt17integral_constantIbLb0EES1U_EEDaS1P_S1Q_EUlS1P_E_NS1_11comp_targetILNS1_3genE5ELNS1_11target_archE942ELNS1_3gpuE9ELNS1_3repE0EEENS1_30default_config_static_selectorELNS0_4arch9wavefront6targetE0EEEvS12_,comdat
	.globl	_ZN7rocprim17ROCPRIM_400000_NS6detail17trampoline_kernelINS0_13select_configILj256ELj13ELNS0_17block_load_methodE3ELS4_3ELS4_3ELNS0_20block_scan_algorithmE0ELj4294967295EEENS1_25partition_config_selectorILNS1_17partition_subalgoE4EjNS0_10empty_typeEbEEZZNS1_14partition_implILS8_4ELb0ES6_15HIP_vector_typeIjLj2EENS0_17counting_iteratorIjlEEPS9_SG_NS0_5tupleIJPjSI_NS0_16reverse_iteratorISI_EEEEENSH_IJSG_SG_SG_EEES9_SI_JZNS1_25segmented_radix_sort_implINS0_14default_configELb1EPKdPdPKlPlN2at6native12_GLOBAL__N_18offset_tEEE10hipError_tPvRmT1_PNSt15iterator_traitsIS12_E10value_typeET2_T3_PNS13_IS18_E10value_typeET4_jRbjT5_S1E_jjP12ihipStream_tbEUljE_ZNSN_ISO_Lb1ESQ_SR_ST_SU_SY_EESZ_S10_S11_S12_S16_S17_S18_S1B_S1C_jS1D_jS1E_S1E_jjS1G_bEUljE0_EEESZ_S10_S11_S18_S1C_S1E_T6_T7_T9_mT8_S1G_bDpT10_ENKUlT_T0_E_clISt17integral_constantIbLb0EES1U_EEDaS1P_S1Q_EUlS1P_E_NS1_11comp_targetILNS1_3genE5ELNS1_11target_archE942ELNS1_3gpuE9ELNS1_3repE0EEENS1_30default_config_static_selectorELNS0_4arch9wavefront6targetE0EEEvS12_ ; -- Begin function _ZN7rocprim17ROCPRIM_400000_NS6detail17trampoline_kernelINS0_13select_configILj256ELj13ELNS0_17block_load_methodE3ELS4_3ELS4_3ELNS0_20block_scan_algorithmE0ELj4294967295EEENS1_25partition_config_selectorILNS1_17partition_subalgoE4EjNS0_10empty_typeEbEEZZNS1_14partition_implILS8_4ELb0ES6_15HIP_vector_typeIjLj2EENS0_17counting_iteratorIjlEEPS9_SG_NS0_5tupleIJPjSI_NS0_16reverse_iteratorISI_EEEEENSH_IJSG_SG_SG_EEES9_SI_JZNS1_25segmented_radix_sort_implINS0_14default_configELb1EPKdPdPKlPlN2at6native12_GLOBAL__N_18offset_tEEE10hipError_tPvRmT1_PNSt15iterator_traitsIS12_E10value_typeET2_T3_PNS13_IS18_E10value_typeET4_jRbjT5_S1E_jjP12ihipStream_tbEUljE_ZNSN_ISO_Lb1ESQ_SR_ST_SU_SY_EESZ_S10_S11_S12_S16_S17_S18_S1B_S1C_jS1D_jS1E_S1E_jjS1G_bEUljE0_EEESZ_S10_S11_S18_S1C_S1E_T6_T7_T9_mT8_S1G_bDpT10_ENKUlT_T0_E_clISt17integral_constantIbLb0EES1U_EEDaS1P_S1Q_EUlS1P_E_NS1_11comp_targetILNS1_3genE5ELNS1_11target_archE942ELNS1_3gpuE9ELNS1_3repE0EEENS1_30default_config_static_selectorELNS0_4arch9wavefront6targetE0EEEvS12_
	.p2align	8
	.type	_ZN7rocprim17ROCPRIM_400000_NS6detail17trampoline_kernelINS0_13select_configILj256ELj13ELNS0_17block_load_methodE3ELS4_3ELS4_3ELNS0_20block_scan_algorithmE0ELj4294967295EEENS1_25partition_config_selectorILNS1_17partition_subalgoE4EjNS0_10empty_typeEbEEZZNS1_14partition_implILS8_4ELb0ES6_15HIP_vector_typeIjLj2EENS0_17counting_iteratorIjlEEPS9_SG_NS0_5tupleIJPjSI_NS0_16reverse_iteratorISI_EEEEENSH_IJSG_SG_SG_EEES9_SI_JZNS1_25segmented_radix_sort_implINS0_14default_configELb1EPKdPdPKlPlN2at6native12_GLOBAL__N_18offset_tEEE10hipError_tPvRmT1_PNSt15iterator_traitsIS12_E10value_typeET2_T3_PNS13_IS18_E10value_typeET4_jRbjT5_S1E_jjP12ihipStream_tbEUljE_ZNSN_ISO_Lb1ESQ_SR_ST_SU_SY_EESZ_S10_S11_S12_S16_S17_S18_S1B_S1C_jS1D_jS1E_S1E_jjS1G_bEUljE0_EEESZ_S10_S11_S18_S1C_S1E_T6_T7_T9_mT8_S1G_bDpT10_ENKUlT_T0_E_clISt17integral_constantIbLb0EES1U_EEDaS1P_S1Q_EUlS1P_E_NS1_11comp_targetILNS1_3genE5ELNS1_11target_archE942ELNS1_3gpuE9ELNS1_3repE0EEENS1_30default_config_static_selectorELNS0_4arch9wavefront6targetE0EEEvS12_,@function
_ZN7rocprim17ROCPRIM_400000_NS6detail17trampoline_kernelINS0_13select_configILj256ELj13ELNS0_17block_load_methodE3ELS4_3ELS4_3ELNS0_20block_scan_algorithmE0ELj4294967295EEENS1_25partition_config_selectorILNS1_17partition_subalgoE4EjNS0_10empty_typeEbEEZZNS1_14partition_implILS8_4ELb0ES6_15HIP_vector_typeIjLj2EENS0_17counting_iteratorIjlEEPS9_SG_NS0_5tupleIJPjSI_NS0_16reverse_iteratorISI_EEEEENSH_IJSG_SG_SG_EEES9_SI_JZNS1_25segmented_radix_sort_implINS0_14default_configELb1EPKdPdPKlPlN2at6native12_GLOBAL__N_18offset_tEEE10hipError_tPvRmT1_PNSt15iterator_traitsIS12_E10value_typeET2_T3_PNS13_IS18_E10value_typeET4_jRbjT5_S1E_jjP12ihipStream_tbEUljE_ZNSN_ISO_Lb1ESQ_SR_ST_SU_SY_EESZ_S10_S11_S12_S16_S17_S18_S1B_S1C_jS1D_jS1E_S1E_jjS1G_bEUljE0_EEESZ_S10_S11_S18_S1C_S1E_T6_T7_T9_mT8_S1G_bDpT10_ENKUlT_T0_E_clISt17integral_constantIbLb0EES1U_EEDaS1P_S1Q_EUlS1P_E_NS1_11comp_targetILNS1_3genE5ELNS1_11target_archE942ELNS1_3gpuE9ELNS1_3repE0EEENS1_30default_config_static_selectorELNS0_4arch9wavefront6targetE0EEEvS12_: ; @_ZN7rocprim17ROCPRIM_400000_NS6detail17trampoline_kernelINS0_13select_configILj256ELj13ELNS0_17block_load_methodE3ELS4_3ELS4_3ELNS0_20block_scan_algorithmE0ELj4294967295EEENS1_25partition_config_selectorILNS1_17partition_subalgoE4EjNS0_10empty_typeEbEEZZNS1_14partition_implILS8_4ELb0ES6_15HIP_vector_typeIjLj2EENS0_17counting_iteratorIjlEEPS9_SG_NS0_5tupleIJPjSI_NS0_16reverse_iteratorISI_EEEEENSH_IJSG_SG_SG_EEES9_SI_JZNS1_25segmented_radix_sort_implINS0_14default_configELb1EPKdPdPKlPlN2at6native12_GLOBAL__N_18offset_tEEE10hipError_tPvRmT1_PNSt15iterator_traitsIS12_E10value_typeET2_T3_PNS13_IS18_E10value_typeET4_jRbjT5_S1E_jjP12ihipStream_tbEUljE_ZNSN_ISO_Lb1ESQ_SR_ST_SU_SY_EESZ_S10_S11_S12_S16_S17_S18_S1B_S1C_jS1D_jS1E_S1E_jjS1G_bEUljE0_EEESZ_S10_S11_S18_S1C_S1E_T6_T7_T9_mT8_S1G_bDpT10_ENKUlT_T0_E_clISt17integral_constantIbLb0EES1U_EEDaS1P_S1Q_EUlS1P_E_NS1_11comp_targetILNS1_3genE5ELNS1_11target_archE942ELNS1_3gpuE9ELNS1_3repE0EEENS1_30default_config_static_selectorELNS0_4arch9wavefront6targetE0EEEvS12_
; %bb.0:
	.section	.rodata,"a",@progbits
	.p2align	6, 0x0
	.amdhsa_kernel _ZN7rocprim17ROCPRIM_400000_NS6detail17trampoline_kernelINS0_13select_configILj256ELj13ELNS0_17block_load_methodE3ELS4_3ELS4_3ELNS0_20block_scan_algorithmE0ELj4294967295EEENS1_25partition_config_selectorILNS1_17partition_subalgoE4EjNS0_10empty_typeEbEEZZNS1_14partition_implILS8_4ELb0ES6_15HIP_vector_typeIjLj2EENS0_17counting_iteratorIjlEEPS9_SG_NS0_5tupleIJPjSI_NS0_16reverse_iteratorISI_EEEEENSH_IJSG_SG_SG_EEES9_SI_JZNS1_25segmented_radix_sort_implINS0_14default_configELb1EPKdPdPKlPlN2at6native12_GLOBAL__N_18offset_tEEE10hipError_tPvRmT1_PNSt15iterator_traitsIS12_E10value_typeET2_T3_PNS13_IS18_E10value_typeET4_jRbjT5_S1E_jjP12ihipStream_tbEUljE_ZNSN_ISO_Lb1ESQ_SR_ST_SU_SY_EESZ_S10_S11_S12_S16_S17_S18_S1B_S1C_jS1D_jS1E_S1E_jjS1G_bEUljE0_EEESZ_S10_S11_S18_S1C_S1E_T6_T7_T9_mT8_S1G_bDpT10_ENKUlT_T0_E_clISt17integral_constantIbLb0EES1U_EEDaS1P_S1Q_EUlS1P_E_NS1_11comp_targetILNS1_3genE5ELNS1_11target_archE942ELNS1_3gpuE9ELNS1_3repE0EEENS1_30default_config_static_selectorELNS0_4arch9wavefront6targetE0EEEvS12_
		.amdhsa_group_segment_fixed_size 0
		.amdhsa_private_segment_fixed_size 0
		.amdhsa_kernarg_size 176
		.amdhsa_user_sgpr_count 15
		.amdhsa_user_sgpr_dispatch_ptr 0
		.amdhsa_user_sgpr_queue_ptr 0
		.amdhsa_user_sgpr_kernarg_segment_ptr 1
		.amdhsa_user_sgpr_dispatch_id 0
		.amdhsa_user_sgpr_private_segment_size 0
		.amdhsa_wavefront_size32 1
		.amdhsa_uses_dynamic_stack 0
		.amdhsa_enable_private_segment 0
		.amdhsa_system_sgpr_workgroup_id_x 1
		.amdhsa_system_sgpr_workgroup_id_y 0
		.amdhsa_system_sgpr_workgroup_id_z 0
		.amdhsa_system_sgpr_workgroup_info 0
		.amdhsa_system_vgpr_workitem_id 0
		.amdhsa_next_free_vgpr 1
		.amdhsa_next_free_sgpr 1
		.amdhsa_reserve_vcc 0
		.amdhsa_float_round_mode_32 0
		.amdhsa_float_round_mode_16_64 0
		.amdhsa_float_denorm_mode_32 3
		.amdhsa_float_denorm_mode_16_64 3
		.amdhsa_dx10_clamp 1
		.amdhsa_ieee_mode 1
		.amdhsa_fp16_overflow 0
		.amdhsa_workgroup_processor_mode 1
		.amdhsa_memory_ordered 1
		.amdhsa_forward_progress 0
		.amdhsa_shared_vgpr_count 0
		.amdhsa_exception_fp_ieee_invalid_op 0
		.amdhsa_exception_fp_denorm_src 0
		.amdhsa_exception_fp_ieee_div_zero 0
		.amdhsa_exception_fp_ieee_overflow 0
		.amdhsa_exception_fp_ieee_underflow 0
		.amdhsa_exception_fp_ieee_inexact 0
		.amdhsa_exception_int_div_zero 0
	.end_amdhsa_kernel
	.section	.text._ZN7rocprim17ROCPRIM_400000_NS6detail17trampoline_kernelINS0_13select_configILj256ELj13ELNS0_17block_load_methodE3ELS4_3ELS4_3ELNS0_20block_scan_algorithmE0ELj4294967295EEENS1_25partition_config_selectorILNS1_17partition_subalgoE4EjNS0_10empty_typeEbEEZZNS1_14partition_implILS8_4ELb0ES6_15HIP_vector_typeIjLj2EENS0_17counting_iteratorIjlEEPS9_SG_NS0_5tupleIJPjSI_NS0_16reverse_iteratorISI_EEEEENSH_IJSG_SG_SG_EEES9_SI_JZNS1_25segmented_radix_sort_implINS0_14default_configELb1EPKdPdPKlPlN2at6native12_GLOBAL__N_18offset_tEEE10hipError_tPvRmT1_PNSt15iterator_traitsIS12_E10value_typeET2_T3_PNS13_IS18_E10value_typeET4_jRbjT5_S1E_jjP12ihipStream_tbEUljE_ZNSN_ISO_Lb1ESQ_SR_ST_SU_SY_EESZ_S10_S11_S12_S16_S17_S18_S1B_S1C_jS1D_jS1E_S1E_jjS1G_bEUljE0_EEESZ_S10_S11_S18_S1C_S1E_T6_T7_T9_mT8_S1G_bDpT10_ENKUlT_T0_E_clISt17integral_constantIbLb0EES1U_EEDaS1P_S1Q_EUlS1P_E_NS1_11comp_targetILNS1_3genE5ELNS1_11target_archE942ELNS1_3gpuE9ELNS1_3repE0EEENS1_30default_config_static_selectorELNS0_4arch9wavefront6targetE0EEEvS12_,"axG",@progbits,_ZN7rocprim17ROCPRIM_400000_NS6detail17trampoline_kernelINS0_13select_configILj256ELj13ELNS0_17block_load_methodE3ELS4_3ELS4_3ELNS0_20block_scan_algorithmE0ELj4294967295EEENS1_25partition_config_selectorILNS1_17partition_subalgoE4EjNS0_10empty_typeEbEEZZNS1_14partition_implILS8_4ELb0ES6_15HIP_vector_typeIjLj2EENS0_17counting_iteratorIjlEEPS9_SG_NS0_5tupleIJPjSI_NS0_16reverse_iteratorISI_EEEEENSH_IJSG_SG_SG_EEES9_SI_JZNS1_25segmented_radix_sort_implINS0_14default_configELb1EPKdPdPKlPlN2at6native12_GLOBAL__N_18offset_tEEE10hipError_tPvRmT1_PNSt15iterator_traitsIS12_E10value_typeET2_T3_PNS13_IS18_E10value_typeET4_jRbjT5_S1E_jjP12ihipStream_tbEUljE_ZNSN_ISO_Lb1ESQ_SR_ST_SU_SY_EESZ_S10_S11_S12_S16_S17_S18_S1B_S1C_jS1D_jS1E_S1E_jjS1G_bEUljE0_EEESZ_S10_S11_S18_S1C_S1E_T6_T7_T9_mT8_S1G_bDpT10_ENKUlT_T0_E_clISt17integral_constantIbLb0EES1U_EEDaS1P_S1Q_EUlS1P_E_NS1_11comp_targetILNS1_3genE5ELNS1_11target_archE942ELNS1_3gpuE9ELNS1_3repE0EEENS1_30default_config_static_selectorELNS0_4arch9wavefront6targetE0EEEvS12_,comdat
.Lfunc_end1055:
	.size	_ZN7rocprim17ROCPRIM_400000_NS6detail17trampoline_kernelINS0_13select_configILj256ELj13ELNS0_17block_load_methodE3ELS4_3ELS4_3ELNS0_20block_scan_algorithmE0ELj4294967295EEENS1_25partition_config_selectorILNS1_17partition_subalgoE4EjNS0_10empty_typeEbEEZZNS1_14partition_implILS8_4ELb0ES6_15HIP_vector_typeIjLj2EENS0_17counting_iteratorIjlEEPS9_SG_NS0_5tupleIJPjSI_NS0_16reverse_iteratorISI_EEEEENSH_IJSG_SG_SG_EEES9_SI_JZNS1_25segmented_radix_sort_implINS0_14default_configELb1EPKdPdPKlPlN2at6native12_GLOBAL__N_18offset_tEEE10hipError_tPvRmT1_PNSt15iterator_traitsIS12_E10value_typeET2_T3_PNS13_IS18_E10value_typeET4_jRbjT5_S1E_jjP12ihipStream_tbEUljE_ZNSN_ISO_Lb1ESQ_SR_ST_SU_SY_EESZ_S10_S11_S12_S16_S17_S18_S1B_S1C_jS1D_jS1E_S1E_jjS1G_bEUljE0_EEESZ_S10_S11_S18_S1C_S1E_T6_T7_T9_mT8_S1G_bDpT10_ENKUlT_T0_E_clISt17integral_constantIbLb0EES1U_EEDaS1P_S1Q_EUlS1P_E_NS1_11comp_targetILNS1_3genE5ELNS1_11target_archE942ELNS1_3gpuE9ELNS1_3repE0EEENS1_30default_config_static_selectorELNS0_4arch9wavefront6targetE0EEEvS12_, .Lfunc_end1055-_ZN7rocprim17ROCPRIM_400000_NS6detail17trampoline_kernelINS0_13select_configILj256ELj13ELNS0_17block_load_methodE3ELS4_3ELS4_3ELNS0_20block_scan_algorithmE0ELj4294967295EEENS1_25partition_config_selectorILNS1_17partition_subalgoE4EjNS0_10empty_typeEbEEZZNS1_14partition_implILS8_4ELb0ES6_15HIP_vector_typeIjLj2EENS0_17counting_iteratorIjlEEPS9_SG_NS0_5tupleIJPjSI_NS0_16reverse_iteratorISI_EEEEENSH_IJSG_SG_SG_EEES9_SI_JZNS1_25segmented_radix_sort_implINS0_14default_configELb1EPKdPdPKlPlN2at6native12_GLOBAL__N_18offset_tEEE10hipError_tPvRmT1_PNSt15iterator_traitsIS12_E10value_typeET2_T3_PNS13_IS18_E10value_typeET4_jRbjT5_S1E_jjP12ihipStream_tbEUljE_ZNSN_ISO_Lb1ESQ_SR_ST_SU_SY_EESZ_S10_S11_S12_S16_S17_S18_S1B_S1C_jS1D_jS1E_S1E_jjS1G_bEUljE0_EEESZ_S10_S11_S18_S1C_S1E_T6_T7_T9_mT8_S1G_bDpT10_ENKUlT_T0_E_clISt17integral_constantIbLb0EES1U_EEDaS1P_S1Q_EUlS1P_E_NS1_11comp_targetILNS1_3genE5ELNS1_11target_archE942ELNS1_3gpuE9ELNS1_3repE0EEENS1_30default_config_static_selectorELNS0_4arch9wavefront6targetE0EEEvS12_
                                        ; -- End function
	.section	.AMDGPU.csdata,"",@progbits
; Kernel info:
; codeLenInByte = 0
; NumSgprs: 0
; NumVgprs: 0
; ScratchSize: 0
; MemoryBound: 0
; FloatMode: 240
; IeeeMode: 1
; LDSByteSize: 0 bytes/workgroup (compile time only)
; SGPRBlocks: 0
; VGPRBlocks: 0
; NumSGPRsForWavesPerEU: 1
; NumVGPRsForWavesPerEU: 1
; Occupancy: 16
; WaveLimiterHint : 0
; COMPUTE_PGM_RSRC2:SCRATCH_EN: 0
; COMPUTE_PGM_RSRC2:USER_SGPR: 15
; COMPUTE_PGM_RSRC2:TRAP_HANDLER: 0
; COMPUTE_PGM_RSRC2:TGID_X_EN: 1
; COMPUTE_PGM_RSRC2:TGID_Y_EN: 0
; COMPUTE_PGM_RSRC2:TGID_Z_EN: 0
; COMPUTE_PGM_RSRC2:TIDIG_COMP_CNT: 0
	.section	.text._ZN7rocprim17ROCPRIM_400000_NS6detail17trampoline_kernelINS0_13select_configILj256ELj13ELNS0_17block_load_methodE3ELS4_3ELS4_3ELNS0_20block_scan_algorithmE0ELj4294967295EEENS1_25partition_config_selectorILNS1_17partition_subalgoE4EjNS0_10empty_typeEbEEZZNS1_14partition_implILS8_4ELb0ES6_15HIP_vector_typeIjLj2EENS0_17counting_iteratorIjlEEPS9_SG_NS0_5tupleIJPjSI_NS0_16reverse_iteratorISI_EEEEENSH_IJSG_SG_SG_EEES9_SI_JZNS1_25segmented_radix_sort_implINS0_14default_configELb1EPKdPdPKlPlN2at6native12_GLOBAL__N_18offset_tEEE10hipError_tPvRmT1_PNSt15iterator_traitsIS12_E10value_typeET2_T3_PNS13_IS18_E10value_typeET4_jRbjT5_S1E_jjP12ihipStream_tbEUljE_ZNSN_ISO_Lb1ESQ_SR_ST_SU_SY_EESZ_S10_S11_S12_S16_S17_S18_S1B_S1C_jS1D_jS1E_S1E_jjS1G_bEUljE0_EEESZ_S10_S11_S18_S1C_S1E_T6_T7_T9_mT8_S1G_bDpT10_ENKUlT_T0_E_clISt17integral_constantIbLb0EES1U_EEDaS1P_S1Q_EUlS1P_E_NS1_11comp_targetILNS1_3genE4ELNS1_11target_archE910ELNS1_3gpuE8ELNS1_3repE0EEENS1_30default_config_static_selectorELNS0_4arch9wavefront6targetE0EEEvS12_,"axG",@progbits,_ZN7rocprim17ROCPRIM_400000_NS6detail17trampoline_kernelINS0_13select_configILj256ELj13ELNS0_17block_load_methodE3ELS4_3ELS4_3ELNS0_20block_scan_algorithmE0ELj4294967295EEENS1_25partition_config_selectorILNS1_17partition_subalgoE4EjNS0_10empty_typeEbEEZZNS1_14partition_implILS8_4ELb0ES6_15HIP_vector_typeIjLj2EENS0_17counting_iteratorIjlEEPS9_SG_NS0_5tupleIJPjSI_NS0_16reverse_iteratorISI_EEEEENSH_IJSG_SG_SG_EEES9_SI_JZNS1_25segmented_radix_sort_implINS0_14default_configELb1EPKdPdPKlPlN2at6native12_GLOBAL__N_18offset_tEEE10hipError_tPvRmT1_PNSt15iterator_traitsIS12_E10value_typeET2_T3_PNS13_IS18_E10value_typeET4_jRbjT5_S1E_jjP12ihipStream_tbEUljE_ZNSN_ISO_Lb1ESQ_SR_ST_SU_SY_EESZ_S10_S11_S12_S16_S17_S18_S1B_S1C_jS1D_jS1E_S1E_jjS1G_bEUljE0_EEESZ_S10_S11_S18_S1C_S1E_T6_T7_T9_mT8_S1G_bDpT10_ENKUlT_T0_E_clISt17integral_constantIbLb0EES1U_EEDaS1P_S1Q_EUlS1P_E_NS1_11comp_targetILNS1_3genE4ELNS1_11target_archE910ELNS1_3gpuE8ELNS1_3repE0EEENS1_30default_config_static_selectorELNS0_4arch9wavefront6targetE0EEEvS12_,comdat
	.globl	_ZN7rocprim17ROCPRIM_400000_NS6detail17trampoline_kernelINS0_13select_configILj256ELj13ELNS0_17block_load_methodE3ELS4_3ELS4_3ELNS0_20block_scan_algorithmE0ELj4294967295EEENS1_25partition_config_selectorILNS1_17partition_subalgoE4EjNS0_10empty_typeEbEEZZNS1_14partition_implILS8_4ELb0ES6_15HIP_vector_typeIjLj2EENS0_17counting_iteratorIjlEEPS9_SG_NS0_5tupleIJPjSI_NS0_16reverse_iteratorISI_EEEEENSH_IJSG_SG_SG_EEES9_SI_JZNS1_25segmented_radix_sort_implINS0_14default_configELb1EPKdPdPKlPlN2at6native12_GLOBAL__N_18offset_tEEE10hipError_tPvRmT1_PNSt15iterator_traitsIS12_E10value_typeET2_T3_PNS13_IS18_E10value_typeET4_jRbjT5_S1E_jjP12ihipStream_tbEUljE_ZNSN_ISO_Lb1ESQ_SR_ST_SU_SY_EESZ_S10_S11_S12_S16_S17_S18_S1B_S1C_jS1D_jS1E_S1E_jjS1G_bEUljE0_EEESZ_S10_S11_S18_S1C_S1E_T6_T7_T9_mT8_S1G_bDpT10_ENKUlT_T0_E_clISt17integral_constantIbLb0EES1U_EEDaS1P_S1Q_EUlS1P_E_NS1_11comp_targetILNS1_3genE4ELNS1_11target_archE910ELNS1_3gpuE8ELNS1_3repE0EEENS1_30default_config_static_selectorELNS0_4arch9wavefront6targetE0EEEvS12_ ; -- Begin function _ZN7rocprim17ROCPRIM_400000_NS6detail17trampoline_kernelINS0_13select_configILj256ELj13ELNS0_17block_load_methodE3ELS4_3ELS4_3ELNS0_20block_scan_algorithmE0ELj4294967295EEENS1_25partition_config_selectorILNS1_17partition_subalgoE4EjNS0_10empty_typeEbEEZZNS1_14partition_implILS8_4ELb0ES6_15HIP_vector_typeIjLj2EENS0_17counting_iteratorIjlEEPS9_SG_NS0_5tupleIJPjSI_NS0_16reverse_iteratorISI_EEEEENSH_IJSG_SG_SG_EEES9_SI_JZNS1_25segmented_radix_sort_implINS0_14default_configELb1EPKdPdPKlPlN2at6native12_GLOBAL__N_18offset_tEEE10hipError_tPvRmT1_PNSt15iterator_traitsIS12_E10value_typeET2_T3_PNS13_IS18_E10value_typeET4_jRbjT5_S1E_jjP12ihipStream_tbEUljE_ZNSN_ISO_Lb1ESQ_SR_ST_SU_SY_EESZ_S10_S11_S12_S16_S17_S18_S1B_S1C_jS1D_jS1E_S1E_jjS1G_bEUljE0_EEESZ_S10_S11_S18_S1C_S1E_T6_T7_T9_mT8_S1G_bDpT10_ENKUlT_T0_E_clISt17integral_constantIbLb0EES1U_EEDaS1P_S1Q_EUlS1P_E_NS1_11comp_targetILNS1_3genE4ELNS1_11target_archE910ELNS1_3gpuE8ELNS1_3repE0EEENS1_30default_config_static_selectorELNS0_4arch9wavefront6targetE0EEEvS12_
	.p2align	8
	.type	_ZN7rocprim17ROCPRIM_400000_NS6detail17trampoline_kernelINS0_13select_configILj256ELj13ELNS0_17block_load_methodE3ELS4_3ELS4_3ELNS0_20block_scan_algorithmE0ELj4294967295EEENS1_25partition_config_selectorILNS1_17partition_subalgoE4EjNS0_10empty_typeEbEEZZNS1_14partition_implILS8_4ELb0ES6_15HIP_vector_typeIjLj2EENS0_17counting_iteratorIjlEEPS9_SG_NS0_5tupleIJPjSI_NS0_16reverse_iteratorISI_EEEEENSH_IJSG_SG_SG_EEES9_SI_JZNS1_25segmented_radix_sort_implINS0_14default_configELb1EPKdPdPKlPlN2at6native12_GLOBAL__N_18offset_tEEE10hipError_tPvRmT1_PNSt15iterator_traitsIS12_E10value_typeET2_T3_PNS13_IS18_E10value_typeET4_jRbjT5_S1E_jjP12ihipStream_tbEUljE_ZNSN_ISO_Lb1ESQ_SR_ST_SU_SY_EESZ_S10_S11_S12_S16_S17_S18_S1B_S1C_jS1D_jS1E_S1E_jjS1G_bEUljE0_EEESZ_S10_S11_S18_S1C_S1E_T6_T7_T9_mT8_S1G_bDpT10_ENKUlT_T0_E_clISt17integral_constantIbLb0EES1U_EEDaS1P_S1Q_EUlS1P_E_NS1_11comp_targetILNS1_3genE4ELNS1_11target_archE910ELNS1_3gpuE8ELNS1_3repE0EEENS1_30default_config_static_selectorELNS0_4arch9wavefront6targetE0EEEvS12_,@function
_ZN7rocprim17ROCPRIM_400000_NS6detail17trampoline_kernelINS0_13select_configILj256ELj13ELNS0_17block_load_methodE3ELS4_3ELS4_3ELNS0_20block_scan_algorithmE0ELj4294967295EEENS1_25partition_config_selectorILNS1_17partition_subalgoE4EjNS0_10empty_typeEbEEZZNS1_14partition_implILS8_4ELb0ES6_15HIP_vector_typeIjLj2EENS0_17counting_iteratorIjlEEPS9_SG_NS0_5tupleIJPjSI_NS0_16reverse_iteratorISI_EEEEENSH_IJSG_SG_SG_EEES9_SI_JZNS1_25segmented_radix_sort_implINS0_14default_configELb1EPKdPdPKlPlN2at6native12_GLOBAL__N_18offset_tEEE10hipError_tPvRmT1_PNSt15iterator_traitsIS12_E10value_typeET2_T3_PNS13_IS18_E10value_typeET4_jRbjT5_S1E_jjP12ihipStream_tbEUljE_ZNSN_ISO_Lb1ESQ_SR_ST_SU_SY_EESZ_S10_S11_S12_S16_S17_S18_S1B_S1C_jS1D_jS1E_S1E_jjS1G_bEUljE0_EEESZ_S10_S11_S18_S1C_S1E_T6_T7_T9_mT8_S1G_bDpT10_ENKUlT_T0_E_clISt17integral_constantIbLb0EES1U_EEDaS1P_S1Q_EUlS1P_E_NS1_11comp_targetILNS1_3genE4ELNS1_11target_archE910ELNS1_3gpuE8ELNS1_3repE0EEENS1_30default_config_static_selectorELNS0_4arch9wavefront6targetE0EEEvS12_: ; @_ZN7rocprim17ROCPRIM_400000_NS6detail17trampoline_kernelINS0_13select_configILj256ELj13ELNS0_17block_load_methodE3ELS4_3ELS4_3ELNS0_20block_scan_algorithmE0ELj4294967295EEENS1_25partition_config_selectorILNS1_17partition_subalgoE4EjNS0_10empty_typeEbEEZZNS1_14partition_implILS8_4ELb0ES6_15HIP_vector_typeIjLj2EENS0_17counting_iteratorIjlEEPS9_SG_NS0_5tupleIJPjSI_NS0_16reverse_iteratorISI_EEEEENSH_IJSG_SG_SG_EEES9_SI_JZNS1_25segmented_radix_sort_implINS0_14default_configELb1EPKdPdPKlPlN2at6native12_GLOBAL__N_18offset_tEEE10hipError_tPvRmT1_PNSt15iterator_traitsIS12_E10value_typeET2_T3_PNS13_IS18_E10value_typeET4_jRbjT5_S1E_jjP12ihipStream_tbEUljE_ZNSN_ISO_Lb1ESQ_SR_ST_SU_SY_EESZ_S10_S11_S12_S16_S17_S18_S1B_S1C_jS1D_jS1E_S1E_jjS1G_bEUljE0_EEESZ_S10_S11_S18_S1C_S1E_T6_T7_T9_mT8_S1G_bDpT10_ENKUlT_T0_E_clISt17integral_constantIbLb0EES1U_EEDaS1P_S1Q_EUlS1P_E_NS1_11comp_targetILNS1_3genE4ELNS1_11target_archE910ELNS1_3gpuE8ELNS1_3repE0EEENS1_30default_config_static_selectorELNS0_4arch9wavefront6targetE0EEEvS12_
; %bb.0:
	.section	.rodata,"a",@progbits
	.p2align	6, 0x0
	.amdhsa_kernel _ZN7rocprim17ROCPRIM_400000_NS6detail17trampoline_kernelINS0_13select_configILj256ELj13ELNS0_17block_load_methodE3ELS4_3ELS4_3ELNS0_20block_scan_algorithmE0ELj4294967295EEENS1_25partition_config_selectorILNS1_17partition_subalgoE4EjNS0_10empty_typeEbEEZZNS1_14partition_implILS8_4ELb0ES6_15HIP_vector_typeIjLj2EENS0_17counting_iteratorIjlEEPS9_SG_NS0_5tupleIJPjSI_NS0_16reverse_iteratorISI_EEEEENSH_IJSG_SG_SG_EEES9_SI_JZNS1_25segmented_radix_sort_implINS0_14default_configELb1EPKdPdPKlPlN2at6native12_GLOBAL__N_18offset_tEEE10hipError_tPvRmT1_PNSt15iterator_traitsIS12_E10value_typeET2_T3_PNS13_IS18_E10value_typeET4_jRbjT5_S1E_jjP12ihipStream_tbEUljE_ZNSN_ISO_Lb1ESQ_SR_ST_SU_SY_EESZ_S10_S11_S12_S16_S17_S18_S1B_S1C_jS1D_jS1E_S1E_jjS1G_bEUljE0_EEESZ_S10_S11_S18_S1C_S1E_T6_T7_T9_mT8_S1G_bDpT10_ENKUlT_T0_E_clISt17integral_constantIbLb0EES1U_EEDaS1P_S1Q_EUlS1P_E_NS1_11comp_targetILNS1_3genE4ELNS1_11target_archE910ELNS1_3gpuE8ELNS1_3repE0EEENS1_30default_config_static_selectorELNS0_4arch9wavefront6targetE0EEEvS12_
		.amdhsa_group_segment_fixed_size 0
		.amdhsa_private_segment_fixed_size 0
		.amdhsa_kernarg_size 176
		.amdhsa_user_sgpr_count 15
		.amdhsa_user_sgpr_dispatch_ptr 0
		.amdhsa_user_sgpr_queue_ptr 0
		.amdhsa_user_sgpr_kernarg_segment_ptr 1
		.amdhsa_user_sgpr_dispatch_id 0
		.amdhsa_user_sgpr_private_segment_size 0
		.amdhsa_wavefront_size32 1
		.amdhsa_uses_dynamic_stack 0
		.amdhsa_enable_private_segment 0
		.amdhsa_system_sgpr_workgroup_id_x 1
		.amdhsa_system_sgpr_workgroup_id_y 0
		.amdhsa_system_sgpr_workgroup_id_z 0
		.amdhsa_system_sgpr_workgroup_info 0
		.amdhsa_system_vgpr_workitem_id 0
		.amdhsa_next_free_vgpr 1
		.amdhsa_next_free_sgpr 1
		.amdhsa_reserve_vcc 0
		.amdhsa_float_round_mode_32 0
		.amdhsa_float_round_mode_16_64 0
		.amdhsa_float_denorm_mode_32 3
		.amdhsa_float_denorm_mode_16_64 3
		.amdhsa_dx10_clamp 1
		.amdhsa_ieee_mode 1
		.amdhsa_fp16_overflow 0
		.amdhsa_workgroup_processor_mode 1
		.amdhsa_memory_ordered 1
		.amdhsa_forward_progress 0
		.amdhsa_shared_vgpr_count 0
		.amdhsa_exception_fp_ieee_invalid_op 0
		.amdhsa_exception_fp_denorm_src 0
		.amdhsa_exception_fp_ieee_div_zero 0
		.amdhsa_exception_fp_ieee_overflow 0
		.amdhsa_exception_fp_ieee_underflow 0
		.amdhsa_exception_fp_ieee_inexact 0
		.amdhsa_exception_int_div_zero 0
	.end_amdhsa_kernel
	.section	.text._ZN7rocprim17ROCPRIM_400000_NS6detail17trampoline_kernelINS0_13select_configILj256ELj13ELNS0_17block_load_methodE3ELS4_3ELS4_3ELNS0_20block_scan_algorithmE0ELj4294967295EEENS1_25partition_config_selectorILNS1_17partition_subalgoE4EjNS0_10empty_typeEbEEZZNS1_14partition_implILS8_4ELb0ES6_15HIP_vector_typeIjLj2EENS0_17counting_iteratorIjlEEPS9_SG_NS0_5tupleIJPjSI_NS0_16reverse_iteratorISI_EEEEENSH_IJSG_SG_SG_EEES9_SI_JZNS1_25segmented_radix_sort_implINS0_14default_configELb1EPKdPdPKlPlN2at6native12_GLOBAL__N_18offset_tEEE10hipError_tPvRmT1_PNSt15iterator_traitsIS12_E10value_typeET2_T3_PNS13_IS18_E10value_typeET4_jRbjT5_S1E_jjP12ihipStream_tbEUljE_ZNSN_ISO_Lb1ESQ_SR_ST_SU_SY_EESZ_S10_S11_S12_S16_S17_S18_S1B_S1C_jS1D_jS1E_S1E_jjS1G_bEUljE0_EEESZ_S10_S11_S18_S1C_S1E_T6_T7_T9_mT8_S1G_bDpT10_ENKUlT_T0_E_clISt17integral_constantIbLb0EES1U_EEDaS1P_S1Q_EUlS1P_E_NS1_11comp_targetILNS1_3genE4ELNS1_11target_archE910ELNS1_3gpuE8ELNS1_3repE0EEENS1_30default_config_static_selectorELNS0_4arch9wavefront6targetE0EEEvS12_,"axG",@progbits,_ZN7rocprim17ROCPRIM_400000_NS6detail17trampoline_kernelINS0_13select_configILj256ELj13ELNS0_17block_load_methodE3ELS4_3ELS4_3ELNS0_20block_scan_algorithmE0ELj4294967295EEENS1_25partition_config_selectorILNS1_17partition_subalgoE4EjNS0_10empty_typeEbEEZZNS1_14partition_implILS8_4ELb0ES6_15HIP_vector_typeIjLj2EENS0_17counting_iteratorIjlEEPS9_SG_NS0_5tupleIJPjSI_NS0_16reverse_iteratorISI_EEEEENSH_IJSG_SG_SG_EEES9_SI_JZNS1_25segmented_radix_sort_implINS0_14default_configELb1EPKdPdPKlPlN2at6native12_GLOBAL__N_18offset_tEEE10hipError_tPvRmT1_PNSt15iterator_traitsIS12_E10value_typeET2_T3_PNS13_IS18_E10value_typeET4_jRbjT5_S1E_jjP12ihipStream_tbEUljE_ZNSN_ISO_Lb1ESQ_SR_ST_SU_SY_EESZ_S10_S11_S12_S16_S17_S18_S1B_S1C_jS1D_jS1E_S1E_jjS1G_bEUljE0_EEESZ_S10_S11_S18_S1C_S1E_T6_T7_T9_mT8_S1G_bDpT10_ENKUlT_T0_E_clISt17integral_constantIbLb0EES1U_EEDaS1P_S1Q_EUlS1P_E_NS1_11comp_targetILNS1_3genE4ELNS1_11target_archE910ELNS1_3gpuE8ELNS1_3repE0EEENS1_30default_config_static_selectorELNS0_4arch9wavefront6targetE0EEEvS12_,comdat
.Lfunc_end1056:
	.size	_ZN7rocprim17ROCPRIM_400000_NS6detail17trampoline_kernelINS0_13select_configILj256ELj13ELNS0_17block_load_methodE3ELS4_3ELS4_3ELNS0_20block_scan_algorithmE0ELj4294967295EEENS1_25partition_config_selectorILNS1_17partition_subalgoE4EjNS0_10empty_typeEbEEZZNS1_14partition_implILS8_4ELb0ES6_15HIP_vector_typeIjLj2EENS0_17counting_iteratorIjlEEPS9_SG_NS0_5tupleIJPjSI_NS0_16reverse_iteratorISI_EEEEENSH_IJSG_SG_SG_EEES9_SI_JZNS1_25segmented_radix_sort_implINS0_14default_configELb1EPKdPdPKlPlN2at6native12_GLOBAL__N_18offset_tEEE10hipError_tPvRmT1_PNSt15iterator_traitsIS12_E10value_typeET2_T3_PNS13_IS18_E10value_typeET4_jRbjT5_S1E_jjP12ihipStream_tbEUljE_ZNSN_ISO_Lb1ESQ_SR_ST_SU_SY_EESZ_S10_S11_S12_S16_S17_S18_S1B_S1C_jS1D_jS1E_S1E_jjS1G_bEUljE0_EEESZ_S10_S11_S18_S1C_S1E_T6_T7_T9_mT8_S1G_bDpT10_ENKUlT_T0_E_clISt17integral_constantIbLb0EES1U_EEDaS1P_S1Q_EUlS1P_E_NS1_11comp_targetILNS1_3genE4ELNS1_11target_archE910ELNS1_3gpuE8ELNS1_3repE0EEENS1_30default_config_static_selectorELNS0_4arch9wavefront6targetE0EEEvS12_, .Lfunc_end1056-_ZN7rocprim17ROCPRIM_400000_NS6detail17trampoline_kernelINS0_13select_configILj256ELj13ELNS0_17block_load_methodE3ELS4_3ELS4_3ELNS0_20block_scan_algorithmE0ELj4294967295EEENS1_25partition_config_selectorILNS1_17partition_subalgoE4EjNS0_10empty_typeEbEEZZNS1_14partition_implILS8_4ELb0ES6_15HIP_vector_typeIjLj2EENS0_17counting_iteratorIjlEEPS9_SG_NS0_5tupleIJPjSI_NS0_16reverse_iteratorISI_EEEEENSH_IJSG_SG_SG_EEES9_SI_JZNS1_25segmented_radix_sort_implINS0_14default_configELb1EPKdPdPKlPlN2at6native12_GLOBAL__N_18offset_tEEE10hipError_tPvRmT1_PNSt15iterator_traitsIS12_E10value_typeET2_T3_PNS13_IS18_E10value_typeET4_jRbjT5_S1E_jjP12ihipStream_tbEUljE_ZNSN_ISO_Lb1ESQ_SR_ST_SU_SY_EESZ_S10_S11_S12_S16_S17_S18_S1B_S1C_jS1D_jS1E_S1E_jjS1G_bEUljE0_EEESZ_S10_S11_S18_S1C_S1E_T6_T7_T9_mT8_S1G_bDpT10_ENKUlT_T0_E_clISt17integral_constantIbLb0EES1U_EEDaS1P_S1Q_EUlS1P_E_NS1_11comp_targetILNS1_3genE4ELNS1_11target_archE910ELNS1_3gpuE8ELNS1_3repE0EEENS1_30default_config_static_selectorELNS0_4arch9wavefront6targetE0EEEvS12_
                                        ; -- End function
	.section	.AMDGPU.csdata,"",@progbits
; Kernel info:
; codeLenInByte = 0
; NumSgprs: 0
; NumVgprs: 0
; ScratchSize: 0
; MemoryBound: 0
; FloatMode: 240
; IeeeMode: 1
; LDSByteSize: 0 bytes/workgroup (compile time only)
; SGPRBlocks: 0
; VGPRBlocks: 0
; NumSGPRsForWavesPerEU: 1
; NumVGPRsForWavesPerEU: 1
; Occupancy: 16
; WaveLimiterHint : 0
; COMPUTE_PGM_RSRC2:SCRATCH_EN: 0
; COMPUTE_PGM_RSRC2:USER_SGPR: 15
; COMPUTE_PGM_RSRC2:TRAP_HANDLER: 0
; COMPUTE_PGM_RSRC2:TGID_X_EN: 1
; COMPUTE_PGM_RSRC2:TGID_Y_EN: 0
; COMPUTE_PGM_RSRC2:TGID_Z_EN: 0
; COMPUTE_PGM_RSRC2:TIDIG_COMP_CNT: 0
	.section	.text._ZN7rocprim17ROCPRIM_400000_NS6detail17trampoline_kernelINS0_13select_configILj256ELj13ELNS0_17block_load_methodE3ELS4_3ELS4_3ELNS0_20block_scan_algorithmE0ELj4294967295EEENS1_25partition_config_selectorILNS1_17partition_subalgoE4EjNS0_10empty_typeEbEEZZNS1_14partition_implILS8_4ELb0ES6_15HIP_vector_typeIjLj2EENS0_17counting_iteratorIjlEEPS9_SG_NS0_5tupleIJPjSI_NS0_16reverse_iteratorISI_EEEEENSH_IJSG_SG_SG_EEES9_SI_JZNS1_25segmented_radix_sort_implINS0_14default_configELb1EPKdPdPKlPlN2at6native12_GLOBAL__N_18offset_tEEE10hipError_tPvRmT1_PNSt15iterator_traitsIS12_E10value_typeET2_T3_PNS13_IS18_E10value_typeET4_jRbjT5_S1E_jjP12ihipStream_tbEUljE_ZNSN_ISO_Lb1ESQ_SR_ST_SU_SY_EESZ_S10_S11_S12_S16_S17_S18_S1B_S1C_jS1D_jS1E_S1E_jjS1G_bEUljE0_EEESZ_S10_S11_S18_S1C_S1E_T6_T7_T9_mT8_S1G_bDpT10_ENKUlT_T0_E_clISt17integral_constantIbLb0EES1U_EEDaS1P_S1Q_EUlS1P_E_NS1_11comp_targetILNS1_3genE3ELNS1_11target_archE908ELNS1_3gpuE7ELNS1_3repE0EEENS1_30default_config_static_selectorELNS0_4arch9wavefront6targetE0EEEvS12_,"axG",@progbits,_ZN7rocprim17ROCPRIM_400000_NS6detail17trampoline_kernelINS0_13select_configILj256ELj13ELNS0_17block_load_methodE3ELS4_3ELS4_3ELNS0_20block_scan_algorithmE0ELj4294967295EEENS1_25partition_config_selectorILNS1_17partition_subalgoE4EjNS0_10empty_typeEbEEZZNS1_14partition_implILS8_4ELb0ES6_15HIP_vector_typeIjLj2EENS0_17counting_iteratorIjlEEPS9_SG_NS0_5tupleIJPjSI_NS0_16reverse_iteratorISI_EEEEENSH_IJSG_SG_SG_EEES9_SI_JZNS1_25segmented_radix_sort_implINS0_14default_configELb1EPKdPdPKlPlN2at6native12_GLOBAL__N_18offset_tEEE10hipError_tPvRmT1_PNSt15iterator_traitsIS12_E10value_typeET2_T3_PNS13_IS18_E10value_typeET4_jRbjT5_S1E_jjP12ihipStream_tbEUljE_ZNSN_ISO_Lb1ESQ_SR_ST_SU_SY_EESZ_S10_S11_S12_S16_S17_S18_S1B_S1C_jS1D_jS1E_S1E_jjS1G_bEUljE0_EEESZ_S10_S11_S18_S1C_S1E_T6_T7_T9_mT8_S1G_bDpT10_ENKUlT_T0_E_clISt17integral_constantIbLb0EES1U_EEDaS1P_S1Q_EUlS1P_E_NS1_11comp_targetILNS1_3genE3ELNS1_11target_archE908ELNS1_3gpuE7ELNS1_3repE0EEENS1_30default_config_static_selectorELNS0_4arch9wavefront6targetE0EEEvS12_,comdat
	.globl	_ZN7rocprim17ROCPRIM_400000_NS6detail17trampoline_kernelINS0_13select_configILj256ELj13ELNS0_17block_load_methodE3ELS4_3ELS4_3ELNS0_20block_scan_algorithmE0ELj4294967295EEENS1_25partition_config_selectorILNS1_17partition_subalgoE4EjNS0_10empty_typeEbEEZZNS1_14partition_implILS8_4ELb0ES6_15HIP_vector_typeIjLj2EENS0_17counting_iteratorIjlEEPS9_SG_NS0_5tupleIJPjSI_NS0_16reverse_iteratorISI_EEEEENSH_IJSG_SG_SG_EEES9_SI_JZNS1_25segmented_radix_sort_implINS0_14default_configELb1EPKdPdPKlPlN2at6native12_GLOBAL__N_18offset_tEEE10hipError_tPvRmT1_PNSt15iterator_traitsIS12_E10value_typeET2_T3_PNS13_IS18_E10value_typeET4_jRbjT5_S1E_jjP12ihipStream_tbEUljE_ZNSN_ISO_Lb1ESQ_SR_ST_SU_SY_EESZ_S10_S11_S12_S16_S17_S18_S1B_S1C_jS1D_jS1E_S1E_jjS1G_bEUljE0_EEESZ_S10_S11_S18_S1C_S1E_T6_T7_T9_mT8_S1G_bDpT10_ENKUlT_T0_E_clISt17integral_constantIbLb0EES1U_EEDaS1P_S1Q_EUlS1P_E_NS1_11comp_targetILNS1_3genE3ELNS1_11target_archE908ELNS1_3gpuE7ELNS1_3repE0EEENS1_30default_config_static_selectorELNS0_4arch9wavefront6targetE0EEEvS12_ ; -- Begin function _ZN7rocprim17ROCPRIM_400000_NS6detail17trampoline_kernelINS0_13select_configILj256ELj13ELNS0_17block_load_methodE3ELS4_3ELS4_3ELNS0_20block_scan_algorithmE0ELj4294967295EEENS1_25partition_config_selectorILNS1_17partition_subalgoE4EjNS0_10empty_typeEbEEZZNS1_14partition_implILS8_4ELb0ES6_15HIP_vector_typeIjLj2EENS0_17counting_iteratorIjlEEPS9_SG_NS0_5tupleIJPjSI_NS0_16reverse_iteratorISI_EEEEENSH_IJSG_SG_SG_EEES9_SI_JZNS1_25segmented_radix_sort_implINS0_14default_configELb1EPKdPdPKlPlN2at6native12_GLOBAL__N_18offset_tEEE10hipError_tPvRmT1_PNSt15iterator_traitsIS12_E10value_typeET2_T3_PNS13_IS18_E10value_typeET4_jRbjT5_S1E_jjP12ihipStream_tbEUljE_ZNSN_ISO_Lb1ESQ_SR_ST_SU_SY_EESZ_S10_S11_S12_S16_S17_S18_S1B_S1C_jS1D_jS1E_S1E_jjS1G_bEUljE0_EEESZ_S10_S11_S18_S1C_S1E_T6_T7_T9_mT8_S1G_bDpT10_ENKUlT_T0_E_clISt17integral_constantIbLb0EES1U_EEDaS1P_S1Q_EUlS1P_E_NS1_11comp_targetILNS1_3genE3ELNS1_11target_archE908ELNS1_3gpuE7ELNS1_3repE0EEENS1_30default_config_static_selectorELNS0_4arch9wavefront6targetE0EEEvS12_
	.p2align	8
	.type	_ZN7rocprim17ROCPRIM_400000_NS6detail17trampoline_kernelINS0_13select_configILj256ELj13ELNS0_17block_load_methodE3ELS4_3ELS4_3ELNS0_20block_scan_algorithmE0ELj4294967295EEENS1_25partition_config_selectorILNS1_17partition_subalgoE4EjNS0_10empty_typeEbEEZZNS1_14partition_implILS8_4ELb0ES6_15HIP_vector_typeIjLj2EENS0_17counting_iteratorIjlEEPS9_SG_NS0_5tupleIJPjSI_NS0_16reverse_iteratorISI_EEEEENSH_IJSG_SG_SG_EEES9_SI_JZNS1_25segmented_radix_sort_implINS0_14default_configELb1EPKdPdPKlPlN2at6native12_GLOBAL__N_18offset_tEEE10hipError_tPvRmT1_PNSt15iterator_traitsIS12_E10value_typeET2_T3_PNS13_IS18_E10value_typeET4_jRbjT5_S1E_jjP12ihipStream_tbEUljE_ZNSN_ISO_Lb1ESQ_SR_ST_SU_SY_EESZ_S10_S11_S12_S16_S17_S18_S1B_S1C_jS1D_jS1E_S1E_jjS1G_bEUljE0_EEESZ_S10_S11_S18_S1C_S1E_T6_T7_T9_mT8_S1G_bDpT10_ENKUlT_T0_E_clISt17integral_constantIbLb0EES1U_EEDaS1P_S1Q_EUlS1P_E_NS1_11comp_targetILNS1_3genE3ELNS1_11target_archE908ELNS1_3gpuE7ELNS1_3repE0EEENS1_30default_config_static_selectorELNS0_4arch9wavefront6targetE0EEEvS12_,@function
_ZN7rocprim17ROCPRIM_400000_NS6detail17trampoline_kernelINS0_13select_configILj256ELj13ELNS0_17block_load_methodE3ELS4_3ELS4_3ELNS0_20block_scan_algorithmE0ELj4294967295EEENS1_25partition_config_selectorILNS1_17partition_subalgoE4EjNS0_10empty_typeEbEEZZNS1_14partition_implILS8_4ELb0ES6_15HIP_vector_typeIjLj2EENS0_17counting_iteratorIjlEEPS9_SG_NS0_5tupleIJPjSI_NS0_16reverse_iteratorISI_EEEEENSH_IJSG_SG_SG_EEES9_SI_JZNS1_25segmented_radix_sort_implINS0_14default_configELb1EPKdPdPKlPlN2at6native12_GLOBAL__N_18offset_tEEE10hipError_tPvRmT1_PNSt15iterator_traitsIS12_E10value_typeET2_T3_PNS13_IS18_E10value_typeET4_jRbjT5_S1E_jjP12ihipStream_tbEUljE_ZNSN_ISO_Lb1ESQ_SR_ST_SU_SY_EESZ_S10_S11_S12_S16_S17_S18_S1B_S1C_jS1D_jS1E_S1E_jjS1G_bEUljE0_EEESZ_S10_S11_S18_S1C_S1E_T6_T7_T9_mT8_S1G_bDpT10_ENKUlT_T0_E_clISt17integral_constantIbLb0EES1U_EEDaS1P_S1Q_EUlS1P_E_NS1_11comp_targetILNS1_3genE3ELNS1_11target_archE908ELNS1_3gpuE7ELNS1_3repE0EEENS1_30default_config_static_selectorELNS0_4arch9wavefront6targetE0EEEvS12_: ; @_ZN7rocprim17ROCPRIM_400000_NS6detail17trampoline_kernelINS0_13select_configILj256ELj13ELNS0_17block_load_methodE3ELS4_3ELS4_3ELNS0_20block_scan_algorithmE0ELj4294967295EEENS1_25partition_config_selectorILNS1_17partition_subalgoE4EjNS0_10empty_typeEbEEZZNS1_14partition_implILS8_4ELb0ES6_15HIP_vector_typeIjLj2EENS0_17counting_iteratorIjlEEPS9_SG_NS0_5tupleIJPjSI_NS0_16reverse_iteratorISI_EEEEENSH_IJSG_SG_SG_EEES9_SI_JZNS1_25segmented_radix_sort_implINS0_14default_configELb1EPKdPdPKlPlN2at6native12_GLOBAL__N_18offset_tEEE10hipError_tPvRmT1_PNSt15iterator_traitsIS12_E10value_typeET2_T3_PNS13_IS18_E10value_typeET4_jRbjT5_S1E_jjP12ihipStream_tbEUljE_ZNSN_ISO_Lb1ESQ_SR_ST_SU_SY_EESZ_S10_S11_S12_S16_S17_S18_S1B_S1C_jS1D_jS1E_S1E_jjS1G_bEUljE0_EEESZ_S10_S11_S18_S1C_S1E_T6_T7_T9_mT8_S1G_bDpT10_ENKUlT_T0_E_clISt17integral_constantIbLb0EES1U_EEDaS1P_S1Q_EUlS1P_E_NS1_11comp_targetILNS1_3genE3ELNS1_11target_archE908ELNS1_3gpuE7ELNS1_3repE0EEENS1_30default_config_static_selectorELNS0_4arch9wavefront6targetE0EEEvS12_
; %bb.0:
	.section	.rodata,"a",@progbits
	.p2align	6, 0x0
	.amdhsa_kernel _ZN7rocprim17ROCPRIM_400000_NS6detail17trampoline_kernelINS0_13select_configILj256ELj13ELNS0_17block_load_methodE3ELS4_3ELS4_3ELNS0_20block_scan_algorithmE0ELj4294967295EEENS1_25partition_config_selectorILNS1_17partition_subalgoE4EjNS0_10empty_typeEbEEZZNS1_14partition_implILS8_4ELb0ES6_15HIP_vector_typeIjLj2EENS0_17counting_iteratorIjlEEPS9_SG_NS0_5tupleIJPjSI_NS0_16reverse_iteratorISI_EEEEENSH_IJSG_SG_SG_EEES9_SI_JZNS1_25segmented_radix_sort_implINS0_14default_configELb1EPKdPdPKlPlN2at6native12_GLOBAL__N_18offset_tEEE10hipError_tPvRmT1_PNSt15iterator_traitsIS12_E10value_typeET2_T3_PNS13_IS18_E10value_typeET4_jRbjT5_S1E_jjP12ihipStream_tbEUljE_ZNSN_ISO_Lb1ESQ_SR_ST_SU_SY_EESZ_S10_S11_S12_S16_S17_S18_S1B_S1C_jS1D_jS1E_S1E_jjS1G_bEUljE0_EEESZ_S10_S11_S18_S1C_S1E_T6_T7_T9_mT8_S1G_bDpT10_ENKUlT_T0_E_clISt17integral_constantIbLb0EES1U_EEDaS1P_S1Q_EUlS1P_E_NS1_11comp_targetILNS1_3genE3ELNS1_11target_archE908ELNS1_3gpuE7ELNS1_3repE0EEENS1_30default_config_static_selectorELNS0_4arch9wavefront6targetE0EEEvS12_
		.amdhsa_group_segment_fixed_size 0
		.amdhsa_private_segment_fixed_size 0
		.amdhsa_kernarg_size 176
		.amdhsa_user_sgpr_count 15
		.amdhsa_user_sgpr_dispatch_ptr 0
		.amdhsa_user_sgpr_queue_ptr 0
		.amdhsa_user_sgpr_kernarg_segment_ptr 1
		.amdhsa_user_sgpr_dispatch_id 0
		.amdhsa_user_sgpr_private_segment_size 0
		.amdhsa_wavefront_size32 1
		.amdhsa_uses_dynamic_stack 0
		.amdhsa_enable_private_segment 0
		.amdhsa_system_sgpr_workgroup_id_x 1
		.amdhsa_system_sgpr_workgroup_id_y 0
		.amdhsa_system_sgpr_workgroup_id_z 0
		.amdhsa_system_sgpr_workgroup_info 0
		.amdhsa_system_vgpr_workitem_id 0
		.amdhsa_next_free_vgpr 1
		.amdhsa_next_free_sgpr 1
		.amdhsa_reserve_vcc 0
		.amdhsa_float_round_mode_32 0
		.amdhsa_float_round_mode_16_64 0
		.amdhsa_float_denorm_mode_32 3
		.amdhsa_float_denorm_mode_16_64 3
		.amdhsa_dx10_clamp 1
		.amdhsa_ieee_mode 1
		.amdhsa_fp16_overflow 0
		.amdhsa_workgroup_processor_mode 1
		.amdhsa_memory_ordered 1
		.amdhsa_forward_progress 0
		.amdhsa_shared_vgpr_count 0
		.amdhsa_exception_fp_ieee_invalid_op 0
		.amdhsa_exception_fp_denorm_src 0
		.amdhsa_exception_fp_ieee_div_zero 0
		.amdhsa_exception_fp_ieee_overflow 0
		.amdhsa_exception_fp_ieee_underflow 0
		.amdhsa_exception_fp_ieee_inexact 0
		.amdhsa_exception_int_div_zero 0
	.end_amdhsa_kernel
	.section	.text._ZN7rocprim17ROCPRIM_400000_NS6detail17trampoline_kernelINS0_13select_configILj256ELj13ELNS0_17block_load_methodE3ELS4_3ELS4_3ELNS0_20block_scan_algorithmE0ELj4294967295EEENS1_25partition_config_selectorILNS1_17partition_subalgoE4EjNS0_10empty_typeEbEEZZNS1_14partition_implILS8_4ELb0ES6_15HIP_vector_typeIjLj2EENS0_17counting_iteratorIjlEEPS9_SG_NS0_5tupleIJPjSI_NS0_16reverse_iteratorISI_EEEEENSH_IJSG_SG_SG_EEES9_SI_JZNS1_25segmented_radix_sort_implINS0_14default_configELb1EPKdPdPKlPlN2at6native12_GLOBAL__N_18offset_tEEE10hipError_tPvRmT1_PNSt15iterator_traitsIS12_E10value_typeET2_T3_PNS13_IS18_E10value_typeET4_jRbjT5_S1E_jjP12ihipStream_tbEUljE_ZNSN_ISO_Lb1ESQ_SR_ST_SU_SY_EESZ_S10_S11_S12_S16_S17_S18_S1B_S1C_jS1D_jS1E_S1E_jjS1G_bEUljE0_EEESZ_S10_S11_S18_S1C_S1E_T6_T7_T9_mT8_S1G_bDpT10_ENKUlT_T0_E_clISt17integral_constantIbLb0EES1U_EEDaS1P_S1Q_EUlS1P_E_NS1_11comp_targetILNS1_3genE3ELNS1_11target_archE908ELNS1_3gpuE7ELNS1_3repE0EEENS1_30default_config_static_selectorELNS0_4arch9wavefront6targetE0EEEvS12_,"axG",@progbits,_ZN7rocprim17ROCPRIM_400000_NS6detail17trampoline_kernelINS0_13select_configILj256ELj13ELNS0_17block_load_methodE3ELS4_3ELS4_3ELNS0_20block_scan_algorithmE0ELj4294967295EEENS1_25partition_config_selectorILNS1_17partition_subalgoE4EjNS0_10empty_typeEbEEZZNS1_14partition_implILS8_4ELb0ES6_15HIP_vector_typeIjLj2EENS0_17counting_iteratorIjlEEPS9_SG_NS0_5tupleIJPjSI_NS0_16reverse_iteratorISI_EEEEENSH_IJSG_SG_SG_EEES9_SI_JZNS1_25segmented_radix_sort_implINS0_14default_configELb1EPKdPdPKlPlN2at6native12_GLOBAL__N_18offset_tEEE10hipError_tPvRmT1_PNSt15iterator_traitsIS12_E10value_typeET2_T3_PNS13_IS18_E10value_typeET4_jRbjT5_S1E_jjP12ihipStream_tbEUljE_ZNSN_ISO_Lb1ESQ_SR_ST_SU_SY_EESZ_S10_S11_S12_S16_S17_S18_S1B_S1C_jS1D_jS1E_S1E_jjS1G_bEUljE0_EEESZ_S10_S11_S18_S1C_S1E_T6_T7_T9_mT8_S1G_bDpT10_ENKUlT_T0_E_clISt17integral_constantIbLb0EES1U_EEDaS1P_S1Q_EUlS1P_E_NS1_11comp_targetILNS1_3genE3ELNS1_11target_archE908ELNS1_3gpuE7ELNS1_3repE0EEENS1_30default_config_static_selectorELNS0_4arch9wavefront6targetE0EEEvS12_,comdat
.Lfunc_end1057:
	.size	_ZN7rocprim17ROCPRIM_400000_NS6detail17trampoline_kernelINS0_13select_configILj256ELj13ELNS0_17block_load_methodE3ELS4_3ELS4_3ELNS0_20block_scan_algorithmE0ELj4294967295EEENS1_25partition_config_selectorILNS1_17partition_subalgoE4EjNS0_10empty_typeEbEEZZNS1_14partition_implILS8_4ELb0ES6_15HIP_vector_typeIjLj2EENS0_17counting_iteratorIjlEEPS9_SG_NS0_5tupleIJPjSI_NS0_16reverse_iteratorISI_EEEEENSH_IJSG_SG_SG_EEES9_SI_JZNS1_25segmented_radix_sort_implINS0_14default_configELb1EPKdPdPKlPlN2at6native12_GLOBAL__N_18offset_tEEE10hipError_tPvRmT1_PNSt15iterator_traitsIS12_E10value_typeET2_T3_PNS13_IS18_E10value_typeET4_jRbjT5_S1E_jjP12ihipStream_tbEUljE_ZNSN_ISO_Lb1ESQ_SR_ST_SU_SY_EESZ_S10_S11_S12_S16_S17_S18_S1B_S1C_jS1D_jS1E_S1E_jjS1G_bEUljE0_EEESZ_S10_S11_S18_S1C_S1E_T6_T7_T9_mT8_S1G_bDpT10_ENKUlT_T0_E_clISt17integral_constantIbLb0EES1U_EEDaS1P_S1Q_EUlS1P_E_NS1_11comp_targetILNS1_3genE3ELNS1_11target_archE908ELNS1_3gpuE7ELNS1_3repE0EEENS1_30default_config_static_selectorELNS0_4arch9wavefront6targetE0EEEvS12_, .Lfunc_end1057-_ZN7rocprim17ROCPRIM_400000_NS6detail17trampoline_kernelINS0_13select_configILj256ELj13ELNS0_17block_load_methodE3ELS4_3ELS4_3ELNS0_20block_scan_algorithmE0ELj4294967295EEENS1_25partition_config_selectorILNS1_17partition_subalgoE4EjNS0_10empty_typeEbEEZZNS1_14partition_implILS8_4ELb0ES6_15HIP_vector_typeIjLj2EENS0_17counting_iteratorIjlEEPS9_SG_NS0_5tupleIJPjSI_NS0_16reverse_iteratorISI_EEEEENSH_IJSG_SG_SG_EEES9_SI_JZNS1_25segmented_radix_sort_implINS0_14default_configELb1EPKdPdPKlPlN2at6native12_GLOBAL__N_18offset_tEEE10hipError_tPvRmT1_PNSt15iterator_traitsIS12_E10value_typeET2_T3_PNS13_IS18_E10value_typeET4_jRbjT5_S1E_jjP12ihipStream_tbEUljE_ZNSN_ISO_Lb1ESQ_SR_ST_SU_SY_EESZ_S10_S11_S12_S16_S17_S18_S1B_S1C_jS1D_jS1E_S1E_jjS1G_bEUljE0_EEESZ_S10_S11_S18_S1C_S1E_T6_T7_T9_mT8_S1G_bDpT10_ENKUlT_T0_E_clISt17integral_constantIbLb0EES1U_EEDaS1P_S1Q_EUlS1P_E_NS1_11comp_targetILNS1_3genE3ELNS1_11target_archE908ELNS1_3gpuE7ELNS1_3repE0EEENS1_30default_config_static_selectorELNS0_4arch9wavefront6targetE0EEEvS12_
                                        ; -- End function
	.section	.AMDGPU.csdata,"",@progbits
; Kernel info:
; codeLenInByte = 0
; NumSgprs: 0
; NumVgprs: 0
; ScratchSize: 0
; MemoryBound: 0
; FloatMode: 240
; IeeeMode: 1
; LDSByteSize: 0 bytes/workgroup (compile time only)
; SGPRBlocks: 0
; VGPRBlocks: 0
; NumSGPRsForWavesPerEU: 1
; NumVGPRsForWavesPerEU: 1
; Occupancy: 16
; WaveLimiterHint : 0
; COMPUTE_PGM_RSRC2:SCRATCH_EN: 0
; COMPUTE_PGM_RSRC2:USER_SGPR: 15
; COMPUTE_PGM_RSRC2:TRAP_HANDLER: 0
; COMPUTE_PGM_RSRC2:TGID_X_EN: 1
; COMPUTE_PGM_RSRC2:TGID_Y_EN: 0
; COMPUTE_PGM_RSRC2:TGID_Z_EN: 0
; COMPUTE_PGM_RSRC2:TIDIG_COMP_CNT: 0
	.section	.text._ZN7rocprim17ROCPRIM_400000_NS6detail17trampoline_kernelINS0_13select_configILj256ELj13ELNS0_17block_load_methodE3ELS4_3ELS4_3ELNS0_20block_scan_algorithmE0ELj4294967295EEENS1_25partition_config_selectorILNS1_17partition_subalgoE4EjNS0_10empty_typeEbEEZZNS1_14partition_implILS8_4ELb0ES6_15HIP_vector_typeIjLj2EENS0_17counting_iteratorIjlEEPS9_SG_NS0_5tupleIJPjSI_NS0_16reverse_iteratorISI_EEEEENSH_IJSG_SG_SG_EEES9_SI_JZNS1_25segmented_radix_sort_implINS0_14default_configELb1EPKdPdPKlPlN2at6native12_GLOBAL__N_18offset_tEEE10hipError_tPvRmT1_PNSt15iterator_traitsIS12_E10value_typeET2_T3_PNS13_IS18_E10value_typeET4_jRbjT5_S1E_jjP12ihipStream_tbEUljE_ZNSN_ISO_Lb1ESQ_SR_ST_SU_SY_EESZ_S10_S11_S12_S16_S17_S18_S1B_S1C_jS1D_jS1E_S1E_jjS1G_bEUljE0_EEESZ_S10_S11_S18_S1C_S1E_T6_T7_T9_mT8_S1G_bDpT10_ENKUlT_T0_E_clISt17integral_constantIbLb0EES1U_EEDaS1P_S1Q_EUlS1P_E_NS1_11comp_targetILNS1_3genE2ELNS1_11target_archE906ELNS1_3gpuE6ELNS1_3repE0EEENS1_30default_config_static_selectorELNS0_4arch9wavefront6targetE0EEEvS12_,"axG",@progbits,_ZN7rocprim17ROCPRIM_400000_NS6detail17trampoline_kernelINS0_13select_configILj256ELj13ELNS0_17block_load_methodE3ELS4_3ELS4_3ELNS0_20block_scan_algorithmE0ELj4294967295EEENS1_25partition_config_selectorILNS1_17partition_subalgoE4EjNS0_10empty_typeEbEEZZNS1_14partition_implILS8_4ELb0ES6_15HIP_vector_typeIjLj2EENS0_17counting_iteratorIjlEEPS9_SG_NS0_5tupleIJPjSI_NS0_16reverse_iteratorISI_EEEEENSH_IJSG_SG_SG_EEES9_SI_JZNS1_25segmented_radix_sort_implINS0_14default_configELb1EPKdPdPKlPlN2at6native12_GLOBAL__N_18offset_tEEE10hipError_tPvRmT1_PNSt15iterator_traitsIS12_E10value_typeET2_T3_PNS13_IS18_E10value_typeET4_jRbjT5_S1E_jjP12ihipStream_tbEUljE_ZNSN_ISO_Lb1ESQ_SR_ST_SU_SY_EESZ_S10_S11_S12_S16_S17_S18_S1B_S1C_jS1D_jS1E_S1E_jjS1G_bEUljE0_EEESZ_S10_S11_S18_S1C_S1E_T6_T7_T9_mT8_S1G_bDpT10_ENKUlT_T0_E_clISt17integral_constantIbLb0EES1U_EEDaS1P_S1Q_EUlS1P_E_NS1_11comp_targetILNS1_3genE2ELNS1_11target_archE906ELNS1_3gpuE6ELNS1_3repE0EEENS1_30default_config_static_selectorELNS0_4arch9wavefront6targetE0EEEvS12_,comdat
	.globl	_ZN7rocprim17ROCPRIM_400000_NS6detail17trampoline_kernelINS0_13select_configILj256ELj13ELNS0_17block_load_methodE3ELS4_3ELS4_3ELNS0_20block_scan_algorithmE0ELj4294967295EEENS1_25partition_config_selectorILNS1_17partition_subalgoE4EjNS0_10empty_typeEbEEZZNS1_14partition_implILS8_4ELb0ES6_15HIP_vector_typeIjLj2EENS0_17counting_iteratorIjlEEPS9_SG_NS0_5tupleIJPjSI_NS0_16reverse_iteratorISI_EEEEENSH_IJSG_SG_SG_EEES9_SI_JZNS1_25segmented_radix_sort_implINS0_14default_configELb1EPKdPdPKlPlN2at6native12_GLOBAL__N_18offset_tEEE10hipError_tPvRmT1_PNSt15iterator_traitsIS12_E10value_typeET2_T3_PNS13_IS18_E10value_typeET4_jRbjT5_S1E_jjP12ihipStream_tbEUljE_ZNSN_ISO_Lb1ESQ_SR_ST_SU_SY_EESZ_S10_S11_S12_S16_S17_S18_S1B_S1C_jS1D_jS1E_S1E_jjS1G_bEUljE0_EEESZ_S10_S11_S18_S1C_S1E_T6_T7_T9_mT8_S1G_bDpT10_ENKUlT_T0_E_clISt17integral_constantIbLb0EES1U_EEDaS1P_S1Q_EUlS1P_E_NS1_11comp_targetILNS1_3genE2ELNS1_11target_archE906ELNS1_3gpuE6ELNS1_3repE0EEENS1_30default_config_static_selectorELNS0_4arch9wavefront6targetE0EEEvS12_ ; -- Begin function _ZN7rocprim17ROCPRIM_400000_NS6detail17trampoline_kernelINS0_13select_configILj256ELj13ELNS0_17block_load_methodE3ELS4_3ELS4_3ELNS0_20block_scan_algorithmE0ELj4294967295EEENS1_25partition_config_selectorILNS1_17partition_subalgoE4EjNS0_10empty_typeEbEEZZNS1_14partition_implILS8_4ELb0ES6_15HIP_vector_typeIjLj2EENS0_17counting_iteratorIjlEEPS9_SG_NS0_5tupleIJPjSI_NS0_16reverse_iteratorISI_EEEEENSH_IJSG_SG_SG_EEES9_SI_JZNS1_25segmented_radix_sort_implINS0_14default_configELb1EPKdPdPKlPlN2at6native12_GLOBAL__N_18offset_tEEE10hipError_tPvRmT1_PNSt15iterator_traitsIS12_E10value_typeET2_T3_PNS13_IS18_E10value_typeET4_jRbjT5_S1E_jjP12ihipStream_tbEUljE_ZNSN_ISO_Lb1ESQ_SR_ST_SU_SY_EESZ_S10_S11_S12_S16_S17_S18_S1B_S1C_jS1D_jS1E_S1E_jjS1G_bEUljE0_EEESZ_S10_S11_S18_S1C_S1E_T6_T7_T9_mT8_S1G_bDpT10_ENKUlT_T0_E_clISt17integral_constantIbLb0EES1U_EEDaS1P_S1Q_EUlS1P_E_NS1_11comp_targetILNS1_3genE2ELNS1_11target_archE906ELNS1_3gpuE6ELNS1_3repE0EEENS1_30default_config_static_selectorELNS0_4arch9wavefront6targetE0EEEvS12_
	.p2align	8
	.type	_ZN7rocprim17ROCPRIM_400000_NS6detail17trampoline_kernelINS0_13select_configILj256ELj13ELNS0_17block_load_methodE3ELS4_3ELS4_3ELNS0_20block_scan_algorithmE0ELj4294967295EEENS1_25partition_config_selectorILNS1_17partition_subalgoE4EjNS0_10empty_typeEbEEZZNS1_14partition_implILS8_4ELb0ES6_15HIP_vector_typeIjLj2EENS0_17counting_iteratorIjlEEPS9_SG_NS0_5tupleIJPjSI_NS0_16reverse_iteratorISI_EEEEENSH_IJSG_SG_SG_EEES9_SI_JZNS1_25segmented_radix_sort_implINS0_14default_configELb1EPKdPdPKlPlN2at6native12_GLOBAL__N_18offset_tEEE10hipError_tPvRmT1_PNSt15iterator_traitsIS12_E10value_typeET2_T3_PNS13_IS18_E10value_typeET4_jRbjT5_S1E_jjP12ihipStream_tbEUljE_ZNSN_ISO_Lb1ESQ_SR_ST_SU_SY_EESZ_S10_S11_S12_S16_S17_S18_S1B_S1C_jS1D_jS1E_S1E_jjS1G_bEUljE0_EEESZ_S10_S11_S18_S1C_S1E_T6_T7_T9_mT8_S1G_bDpT10_ENKUlT_T0_E_clISt17integral_constantIbLb0EES1U_EEDaS1P_S1Q_EUlS1P_E_NS1_11comp_targetILNS1_3genE2ELNS1_11target_archE906ELNS1_3gpuE6ELNS1_3repE0EEENS1_30default_config_static_selectorELNS0_4arch9wavefront6targetE0EEEvS12_,@function
_ZN7rocprim17ROCPRIM_400000_NS6detail17trampoline_kernelINS0_13select_configILj256ELj13ELNS0_17block_load_methodE3ELS4_3ELS4_3ELNS0_20block_scan_algorithmE0ELj4294967295EEENS1_25partition_config_selectorILNS1_17partition_subalgoE4EjNS0_10empty_typeEbEEZZNS1_14partition_implILS8_4ELb0ES6_15HIP_vector_typeIjLj2EENS0_17counting_iteratorIjlEEPS9_SG_NS0_5tupleIJPjSI_NS0_16reverse_iteratorISI_EEEEENSH_IJSG_SG_SG_EEES9_SI_JZNS1_25segmented_radix_sort_implINS0_14default_configELb1EPKdPdPKlPlN2at6native12_GLOBAL__N_18offset_tEEE10hipError_tPvRmT1_PNSt15iterator_traitsIS12_E10value_typeET2_T3_PNS13_IS18_E10value_typeET4_jRbjT5_S1E_jjP12ihipStream_tbEUljE_ZNSN_ISO_Lb1ESQ_SR_ST_SU_SY_EESZ_S10_S11_S12_S16_S17_S18_S1B_S1C_jS1D_jS1E_S1E_jjS1G_bEUljE0_EEESZ_S10_S11_S18_S1C_S1E_T6_T7_T9_mT8_S1G_bDpT10_ENKUlT_T0_E_clISt17integral_constantIbLb0EES1U_EEDaS1P_S1Q_EUlS1P_E_NS1_11comp_targetILNS1_3genE2ELNS1_11target_archE906ELNS1_3gpuE6ELNS1_3repE0EEENS1_30default_config_static_selectorELNS0_4arch9wavefront6targetE0EEEvS12_: ; @_ZN7rocprim17ROCPRIM_400000_NS6detail17trampoline_kernelINS0_13select_configILj256ELj13ELNS0_17block_load_methodE3ELS4_3ELS4_3ELNS0_20block_scan_algorithmE0ELj4294967295EEENS1_25partition_config_selectorILNS1_17partition_subalgoE4EjNS0_10empty_typeEbEEZZNS1_14partition_implILS8_4ELb0ES6_15HIP_vector_typeIjLj2EENS0_17counting_iteratorIjlEEPS9_SG_NS0_5tupleIJPjSI_NS0_16reverse_iteratorISI_EEEEENSH_IJSG_SG_SG_EEES9_SI_JZNS1_25segmented_radix_sort_implINS0_14default_configELb1EPKdPdPKlPlN2at6native12_GLOBAL__N_18offset_tEEE10hipError_tPvRmT1_PNSt15iterator_traitsIS12_E10value_typeET2_T3_PNS13_IS18_E10value_typeET4_jRbjT5_S1E_jjP12ihipStream_tbEUljE_ZNSN_ISO_Lb1ESQ_SR_ST_SU_SY_EESZ_S10_S11_S12_S16_S17_S18_S1B_S1C_jS1D_jS1E_S1E_jjS1G_bEUljE0_EEESZ_S10_S11_S18_S1C_S1E_T6_T7_T9_mT8_S1G_bDpT10_ENKUlT_T0_E_clISt17integral_constantIbLb0EES1U_EEDaS1P_S1Q_EUlS1P_E_NS1_11comp_targetILNS1_3genE2ELNS1_11target_archE906ELNS1_3gpuE6ELNS1_3repE0EEENS1_30default_config_static_selectorELNS0_4arch9wavefront6targetE0EEEvS12_
; %bb.0:
	.section	.rodata,"a",@progbits
	.p2align	6, 0x0
	.amdhsa_kernel _ZN7rocprim17ROCPRIM_400000_NS6detail17trampoline_kernelINS0_13select_configILj256ELj13ELNS0_17block_load_methodE3ELS4_3ELS4_3ELNS0_20block_scan_algorithmE0ELj4294967295EEENS1_25partition_config_selectorILNS1_17partition_subalgoE4EjNS0_10empty_typeEbEEZZNS1_14partition_implILS8_4ELb0ES6_15HIP_vector_typeIjLj2EENS0_17counting_iteratorIjlEEPS9_SG_NS0_5tupleIJPjSI_NS0_16reverse_iteratorISI_EEEEENSH_IJSG_SG_SG_EEES9_SI_JZNS1_25segmented_radix_sort_implINS0_14default_configELb1EPKdPdPKlPlN2at6native12_GLOBAL__N_18offset_tEEE10hipError_tPvRmT1_PNSt15iterator_traitsIS12_E10value_typeET2_T3_PNS13_IS18_E10value_typeET4_jRbjT5_S1E_jjP12ihipStream_tbEUljE_ZNSN_ISO_Lb1ESQ_SR_ST_SU_SY_EESZ_S10_S11_S12_S16_S17_S18_S1B_S1C_jS1D_jS1E_S1E_jjS1G_bEUljE0_EEESZ_S10_S11_S18_S1C_S1E_T6_T7_T9_mT8_S1G_bDpT10_ENKUlT_T0_E_clISt17integral_constantIbLb0EES1U_EEDaS1P_S1Q_EUlS1P_E_NS1_11comp_targetILNS1_3genE2ELNS1_11target_archE906ELNS1_3gpuE6ELNS1_3repE0EEENS1_30default_config_static_selectorELNS0_4arch9wavefront6targetE0EEEvS12_
		.amdhsa_group_segment_fixed_size 0
		.amdhsa_private_segment_fixed_size 0
		.amdhsa_kernarg_size 176
		.amdhsa_user_sgpr_count 15
		.amdhsa_user_sgpr_dispatch_ptr 0
		.amdhsa_user_sgpr_queue_ptr 0
		.amdhsa_user_sgpr_kernarg_segment_ptr 1
		.amdhsa_user_sgpr_dispatch_id 0
		.amdhsa_user_sgpr_private_segment_size 0
		.amdhsa_wavefront_size32 1
		.amdhsa_uses_dynamic_stack 0
		.amdhsa_enable_private_segment 0
		.amdhsa_system_sgpr_workgroup_id_x 1
		.amdhsa_system_sgpr_workgroup_id_y 0
		.amdhsa_system_sgpr_workgroup_id_z 0
		.amdhsa_system_sgpr_workgroup_info 0
		.amdhsa_system_vgpr_workitem_id 0
		.amdhsa_next_free_vgpr 1
		.amdhsa_next_free_sgpr 1
		.amdhsa_reserve_vcc 0
		.amdhsa_float_round_mode_32 0
		.amdhsa_float_round_mode_16_64 0
		.amdhsa_float_denorm_mode_32 3
		.amdhsa_float_denorm_mode_16_64 3
		.amdhsa_dx10_clamp 1
		.amdhsa_ieee_mode 1
		.amdhsa_fp16_overflow 0
		.amdhsa_workgroup_processor_mode 1
		.amdhsa_memory_ordered 1
		.amdhsa_forward_progress 0
		.amdhsa_shared_vgpr_count 0
		.amdhsa_exception_fp_ieee_invalid_op 0
		.amdhsa_exception_fp_denorm_src 0
		.amdhsa_exception_fp_ieee_div_zero 0
		.amdhsa_exception_fp_ieee_overflow 0
		.amdhsa_exception_fp_ieee_underflow 0
		.amdhsa_exception_fp_ieee_inexact 0
		.amdhsa_exception_int_div_zero 0
	.end_amdhsa_kernel
	.section	.text._ZN7rocprim17ROCPRIM_400000_NS6detail17trampoline_kernelINS0_13select_configILj256ELj13ELNS0_17block_load_methodE3ELS4_3ELS4_3ELNS0_20block_scan_algorithmE0ELj4294967295EEENS1_25partition_config_selectorILNS1_17partition_subalgoE4EjNS0_10empty_typeEbEEZZNS1_14partition_implILS8_4ELb0ES6_15HIP_vector_typeIjLj2EENS0_17counting_iteratorIjlEEPS9_SG_NS0_5tupleIJPjSI_NS0_16reverse_iteratorISI_EEEEENSH_IJSG_SG_SG_EEES9_SI_JZNS1_25segmented_radix_sort_implINS0_14default_configELb1EPKdPdPKlPlN2at6native12_GLOBAL__N_18offset_tEEE10hipError_tPvRmT1_PNSt15iterator_traitsIS12_E10value_typeET2_T3_PNS13_IS18_E10value_typeET4_jRbjT5_S1E_jjP12ihipStream_tbEUljE_ZNSN_ISO_Lb1ESQ_SR_ST_SU_SY_EESZ_S10_S11_S12_S16_S17_S18_S1B_S1C_jS1D_jS1E_S1E_jjS1G_bEUljE0_EEESZ_S10_S11_S18_S1C_S1E_T6_T7_T9_mT8_S1G_bDpT10_ENKUlT_T0_E_clISt17integral_constantIbLb0EES1U_EEDaS1P_S1Q_EUlS1P_E_NS1_11comp_targetILNS1_3genE2ELNS1_11target_archE906ELNS1_3gpuE6ELNS1_3repE0EEENS1_30default_config_static_selectorELNS0_4arch9wavefront6targetE0EEEvS12_,"axG",@progbits,_ZN7rocprim17ROCPRIM_400000_NS6detail17trampoline_kernelINS0_13select_configILj256ELj13ELNS0_17block_load_methodE3ELS4_3ELS4_3ELNS0_20block_scan_algorithmE0ELj4294967295EEENS1_25partition_config_selectorILNS1_17partition_subalgoE4EjNS0_10empty_typeEbEEZZNS1_14partition_implILS8_4ELb0ES6_15HIP_vector_typeIjLj2EENS0_17counting_iteratorIjlEEPS9_SG_NS0_5tupleIJPjSI_NS0_16reverse_iteratorISI_EEEEENSH_IJSG_SG_SG_EEES9_SI_JZNS1_25segmented_radix_sort_implINS0_14default_configELb1EPKdPdPKlPlN2at6native12_GLOBAL__N_18offset_tEEE10hipError_tPvRmT1_PNSt15iterator_traitsIS12_E10value_typeET2_T3_PNS13_IS18_E10value_typeET4_jRbjT5_S1E_jjP12ihipStream_tbEUljE_ZNSN_ISO_Lb1ESQ_SR_ST_SU_SY_EESZ_S10_S11_S12_S16_S17_S18_S1B_S1C_jS1D_jS1E_S1E_jjS1G_bEUljE0_EEESZ_S10_S11_S18_S1C_S1E_T6_T7_T9_mT8_S1G_bDpT10_ENKUlT_T0_E_clISt17integral_constantIbLb0EES1U_EEDaS1P_S1Q_EUlS1P_E_NS1_11comp_targetILNS1_3genE2ELNS1_11target_archE906ELNS1_3gpuE6ELNS1_3repE0EEENS1_30default_config_static_selectorELNS0_4arch9wavefront6targetE0EEEvS12_,comdat
.Lfunc_end1058:
	.size	_ZN7rocprim17ROCPRIM_400000_NS6detail17trampoline_kernelINS0_13select_configILj256ELj13ELNS0_17block_load_methodE3ELS4_3ELS4_3ELNS0_20block_scan_algorithmE0ELj4294967295EEENS1_25partition_config_selectorILNS1_17partition_subalgoE4EjNS0_10empty_typeEbEEZZNS1_14partition_implILS8_4ELb0ES6_15HIP_vector_typeIjLj2EENS0_17counting_iteratorIjlEEPS9_SG_NS0_5tupleIJPjSI_NS0_16reverse_iteratorISI_EEEEENSH_IJSG_SG_SG_EEES9_SI_JZNS1_25segmented_radix_sort_implINS0_14default_configELb1EPKdPdPKlPlN2at6native12_GLOBAL__N_18offset_tEEE10hipError_tPvRmT1_PNSt15iterator_traitsIS12_E10value_typeET2_T3_PNS13_IS18_E10value_typeET4_jRbjT5_S1E_jjP12ihipStream_tbEUljE_ZNSN_ISO_Lb1ESQ_SR_ST_SU_SY_EESZ_S10_S11_S12_S16_S17_S18_S1B_S1C_jS1D_jS1E_S1E_jjS1G_bEUljE0_EEESZ_S10_S11_S18_S1C_S1E_T6_T7_T9_mT8_S1G_bDpT10_ENKUlT_T0_E_clISt17integral_constantIbLb0EES1U_EEDaS1P_S1Q_EUlS1P_E_NS1_11comp_targetILNS1_3genE2ELNS1_11target_archE906ELNS1_3gpuE6ELNS1_3repE0EEENS1_30default_config_static_selectorELNS0_4arch9wavefront6targetE0EEEvS12_, .Lfunc_end1058-_ZN7rocprim17ROCPRIM_400000_NS6detail17trampoline_kernelINS0_13select_configILj256ELj13ELNS0_17block_load_methodE3ELS4_3ELS4_3ELNS0_20block_scan_algorithmE0ELj4294967295EEENS1_25partition_config_selectorILNS1_17partition_subalgoE4EjNS0_10empty_typeEbEEZZNS1_14partition_implILS8_4ELb0ES6_15HIP_vector_typeIjLj2EENS0_17counting_iteratorIjlEEPS9_SG_NS0_5tupleIJPjSI_NS0_16reverse_iteratorISI_EEEEENSH_IJSG_SG_SG_EEES9_SI_JZNS1_25segmented_radix_sort_implINS0_14default_configELb1EPKdPdPKlPlN2at6native12_GLOBAL__N_18offset_tEEE10hipError_tPvRmT1_PNSt15iterator_traitsIS12_E10value_typeET2_T3_PNS13_IS18_E10value_typeET4_jRbjT5_S1E_jjP12ihipStream_tbEUljE_ZNSN_ISO_Lb1ESQ_SR_ST_SU_SY_EESZ_S10_S11_S12_S16_S17_S18_S1B_S1C_jS1D_jS1E_S1E_jjS1G_bEUljE0_EEESZ_S10_S11_S18_S1C_S1E_T6_T7_T9_mT8_S1G_bDpT10_ENKUlT_T0_E_clISt17integral_constantIbLb0EES1U_EEDaS1P_S1Q_EUlS1P_E_NS1_11comp_targetILNS1_3genE2ELNS1_11target_archE906ELNS1_3gpuE6ELNS1_3repE0EEENS1_30default_config_static_selectorELNS0_4arch9wavefront6targetE0EEEvS12_
                                        ; -- End function
	.section	.AMDGPU.csdata,"",@progbits
; Kernel info:
; codeLenInByte = 0
; NumSgprs: 0
; NumVgprs: 0
; ScratchSize: 0
; MemoryBound: 0
; FloatMode: 240
; IeeeMode: 1
; LDSByteSize: 0 bytes/workgroup (compile time only)
; SGPRBlocks: 0
; VGPRBlocks: 0
; NumSGPRsForWavesPerEU: 1
; NumVGPRsForWavesPerEU: 1
; Occupancy: 16
; WaveLimiterHint : 0
; COMPUTE_PGM_RSRC2:SCRATCH_EN: 0
; COMPUTE_PGM_RSRC2:USER_SGPR: 15
; COMPUTE_PGM_RSRC2:TRAP_HANDLER: 0
; COMPUTE_PGM_RSRC2:TGID_X_EN: 1
; COMPUTE_PGM_RSRC2:TGID_Y_EN: 0
; COMPUTE_PGM_RSRC2:TGID_Z_EN: 0
; COMPUTE_PGM_RSRC2:TIDIG_COMP_CNT: 0
	.section	.text._ZN7rocprim17ROCPRIM_400000_NS6detail17trampoline_kernelINS0_13select_configILj256ELj13ELNS0_17block_load_methodE3ELS4_3ELS4_3ELNS0_20block_scan_algorithmE0ELj4294967295EEENS1_25partition_config_selectorILNS1_17partition_subalgoE4EjNS0_10empty_typeEbEEZZNS1_14partition_implILS8_4ELb0ES6_15HIP_vector_typeIjLj2EENS0_17counting_iteratorIjlEEPS9_SG_NS0_5tupleIJPjSI_NS0_16reverse_iteratorISI_EEEEENSH_IJSG_SG_SG_EEES9_SI_JZNS1_25segmented_radix_sort_implINS0_14default_configELb1EPKdPdPKlPlN2at6native12_GLOBAL__N_18offset_tEEE10hipError_tPvRmT1_PNSt15iterator_traitsIS12_E10value_typeET2_T3_PNS13_IS18_E10value_typeET4_jRbjT5_S1E_jjP12ihipStream_tbEUljE_ZNSN_ISO_Lb1ESQ_SR_ST_SU_SY_EESZ_S10_S11_S12_S16_S17_S18_S1B_S1C_jS1D_jS1E_S1E_jjS1G_bEUljE0_EEESZ_S10_S11_S18_S1C_S1E_T6_T7_T9_mT8_S1G_bDpT10_ENKUlT_T0_E_clISt17integral_constantIbLb0EES1U_EEDaS1P_S1Q_EUlS1P_E_NS1_11comp_targetILNS1_3genE10ELNS1_11target_archE1200ELNS1_3gpuE4ELNS1_3repE0EEENS1_30default_config_static_selectorELNS0_4arch9wavefront6targetE0EEEvS12_,"axG",@progbits,_ZN7rocprim17ROCPRIM_400000_NS6detail17trampoline_kernelINS0_13select_configILj256ELj13ELNS0_17block_load_methodE3ELS4_3ELS4_3ELNS0_20block_scan_algorithmE0ELj4294967295EEENS1_25partition_config_selectorILNS1_17partition_subalgoE4EjNS0_10empty_typeEbEEZZNS1_14partition_implILS8_4ELb0ES6_15HIP_vector_typeIjLj2EENS0_17counting_iteratorIjlEEPS9_SG_NS0_5tupleIJPjSI_NS0_16reverse_iteratorISI_EEEEENSH_IJSG_SG_SG_EEES9_SI_JZNS1_25segmented_radix_sort_implINS0_14default_configELb1EPKdPdPKlPlN2at6native12_GLOBAL__N_18offset_tEEE10hipError_tPvRmT1_PNSt15iterator_traitsIS12_E10value_typeET2_T3_PNS13_IS18_E10value_typeET4_jRbjT5_S1E_jjP12ihipStream_tbEUljE_ZNSN_ISO_Lb1ESQ_SR_ST_SU_SY_EESZ_S10_S11_S12_S16_S17_S18_S1B_S1C_jS1D_jS1E_S1E_jjS1G_bEUljE0_EEESZ_S10_S11_S18_S1C_S1E_T6_T7_T9_mT8_S1G_bDpT10_ENKUlT_T0_E_clISt17integral_constantIbLb0EES1U_EEDaS1P_S1Q_EUlS1P_E_NS1_11comp_targetILNS1_3genE10ELNS1_11target_archE1200ELNS1_3gpuE4ELNS1_3repE0EEENS1_30default_config_static_selectorELNS0_4arch9wavefront6targetE0EEEvS12_,comdat
	.globl	_ZN7rocprim17ROCPRIM_400000_NS6detail17trampoline_kernelINS0_13select_configILj256ELj13ELNS0_17block_load_methodE3ELS4_3ELS4_3ELNS0_20block_scan_algorithmE0ELj4294967295EEENS1_25partition_config_selectorILNS1_17partition_subalgoE4EjNS0_10empty_typeEbEEZZNS1_14partition_implILS8_4ELb0ES6_15HIP_vector_typeIjLj2EENS0_17counting_iteratorIjlEEPS9_SG_NS0_5tupleIJPjSI_NS0_16reverse_iteratorISI_EEEEENSH_IJSG_SG_SG_EEES9_SI_JZNS1_25segmented_radix_sort_implINS0_14default_configELb1EPKdPdPKlPlN2at6native12_GLOBAL__N_18offset_tEEE10hipError_tPvRmT1_PNSt15iterator_traitsIS12_E10value_typeET2_T3_PNS13_IS18_E10value_typeET4_jRbjT5_S1E_jjP12ihipStream_tbEUljE_ZNSN_ISO_Lb1ESQ_SR_ST_SU_SY_EESZ_S10_S11_S12_S16_S17_S18_S1B_S1C_jS1D_jS1E_S1E_jjS1G_bEUljE0_EEESZ_S10_S11_S18_S1C_S1E_T6_T7_T9_mT8_S1G_bDpT10_ENKUlT_T0_E_clISt17integral_constantIbLb0EES1U_EEDaS1P_S1Q_EUlS1P_E_NS1_11comp_targetILNS1_3genE10ELNS1_11target_archE1200ELNS1_3gpuE4ELNS1_3repE0EEENS1_30default_config_static_selectorELNS0_4arch9wavefront6targetE0EEEvS12_ ; -- Begin function _ZN7rocprim17ROCPRIM_400000_NS6detail17trampoline_kernelINS0_13select_configILj256ELj13ELNS0_17block_load_methodE3ELS4_3ELS4_3ELNS0_20block_scan_algorithmE0ELj4294967295EEENS1_25partition_config_selectorILNS1_17partition_subalgoE4EjNS0_10empty_typeEbEEZZNS1_14partition_implILS8_4ELb0ES6_15HIP_vector_typeIjLj2EENS0_17counting_iteratorIjlEEPS9_SG_NS0_5tupleIJPjSI_NS0_16reverse_iteratorISI_EEEEENSH_IJSG_SG_SG_EEES9_SI_JZNS1_25segmented_radix_sort_implINS0_14default_configELb1EPKdPdPKlPlN2at6native12_GLOBAL__N_18offset_tEEE10hipError_tPvRmT1_PNSt15iterator_traitsIS12_E10value_typeET2_T3_PNS13_IS18_E10value_typeET4_jRbjT5_S1E_jjP12ihipStream_tbEUljE_ZNSN_ISO_Lb1ESQ_SR_ST_SU_SY_EESZ_S10_S11_S12_S16_S17_S18_S1B_S1C_jS1D_jS1E_S1E_jjS1G_bEUljE0_EEESZ_S10_S11_S18_S1C_S1E_T6_T7_T9_mT8_S1G_bDpT10_ENKUlT_T0_E_clISt17integral_constantIbLb0EES1U_EEDaS1P_S1Q_EUlS1P_E_NS1_11comp_targetILNS1_3genE10ELNS1_11target_archE1200ELNS1_3gpuE4ELNS1_3repE0EEENS1_30default_config_static_selectorELNS0_4arch9wavefront6targetE0EEEvS12_
	.p2align	8
	.type	_ZN7rocprim17ROCPRIM_400000_NS6detail17trampoline_kernelINS0_13select_configILj256ELj13ELNS0_17block_load_methodE3ELS4_3ELS4_3ELNS0_20block_scan_algorithmE0ELj4294967295EEENS1_25partition_config_selectorILNS1_17partition_subalgoE4EjNS0_10empty_typeEbEEZZNS1_14partition_implILS8_4ELb0ES6_15HIP_vector_typeIjLj2EENS0_17counting_iteratorIjlEEPS9_SG_NS0_5tupleIJPjSI_NS0_16reverse_iteratorISI_EEEEENSH_IJSG_SG_SG_EEES9_SI_JZNS1_25segmented_radix_sort_implINS0_14default_configELb1EPKdPdPKlPlN2at6native12_GLOBAL__N_18offset_tEEE10hipError_tPvRmT1_PNSt15iterator_traitsIS12_E10value_typeET2_T3_PNS13_IS18_E10value_typeET4_jRbjT5_S1E_jjP12ihipStream_tbEUljE_ZNSN_ISO_Lb1ESQ_SR_ST_SU_SY_EESZ_S10_S11_S12_S16_S17_S18_S1B_S1C_jS1D_jS1E_S1E_jjS1G_bEUljE0_EEESZ_S10_S11_S18_S1C_S1E_T6_T7_T9_mT8_S1G_bDpT10_ENKUlT_T0_E_clISt17integral_constantIbLb0EES1U_EEDaS1P_S1Q_EUlS1P_E_NS1_11comp_targetILNS1_3genE10ELNS1_11target_archE1200ELNS1_3gpuE4ELNS1_3repE0EEENS1_30default_config_static_selectorELNS0_4arch9wavefront6targetE0EEEvS12_,@function
_ZN7rocprim17ROCPRIM_400000_NS6detail17trampoline_kernelINS0_13select_configILj256ELj13ELNS0_17block_load_methodE3ELS4_3ELS4_3ELNS0_20block_scan_algorithmE0ELj4294967295EEENS1_25partition_config_selectorILNS1_17partition_subalgoE4EjNS0_10empty_typeEbEEZZNS1_14partition_implILS8_4ELb0ES6_15HIP_vector_typeIjLj2EENS0_17counting_iteratorIjlEEPS9_SG_NS0_5tupleIJPjSI_NS0_16reverse_iteratorISI_EEEEENSH_IJSG_SG_SG_EEES9_SI_JZNS1_25segmented_radix_sort_implINS0_14default_configELb1EPKdPdPKlPlN2at6native12_GLOBAL__N_18offset_tEEE10hipError_tPvRmT1_PNSt15iterator_traitsIS12_E10value_typeET2_T3_PNS13_IS18_E10value_typeET4_jRbjT5_S1E_jjP12ihipStream_tbEUljE_ZNSN_ISO_Lb1ESQ_SR_ST_SU_SY_EESZ_S10_S11_S12_S16_S17_S18_S1B_S1C_jS1D_jS1E_S1E_jjS1G_bEUljE0_EEESZ_S10_S11_S18_S1C_S1E_T6_T7_T9_mT8_S1G_bDpT10_ENKUlT_T0_E_clISt17integral_constantIbLb0EES1U_EEDaS1P_S1Q_EUlS1P_E_NS1_11comp_targetILNS1_3genE10ELNS1_11target_archE1200ELNS1_3gpuE4ELNS1_3repE0EEENS1_30default_config_static_selectorELNS0_4arch9wavefront6targetE0EEEvS12_: ; @_ZN7rocprim17ROCPRIM_400000_NS6detail17trampoline_kernelINS0_13select_configILj256ELj13ELNS0_17block_load_methodE3ELS4_3ELS4_3ELNS0_20block_scan_algorithmE0ELj4294967295EEENS1_25partition_config_selectorILNS1_17partition_subalgoE4EjNS0_10empty_typeEbEEZZNS1_14partition_implILS8_4ELb0ES6_15HIP_vector_typeIjLj2EENS0_17counting_iteratorIjlEEPS9_SG_NS0_5tupleIJPjSI_NS0_16reverse_iteratorISI_EEEEENSH_IJSG_SG_SG_EEES9_SI_JZNS1_25segmented_radix_sort_implINS0_14default_configELb1EPKdPdPKlPlN2at6native12_GLOBAL__N_18offset_tEEE10hipError_tPvRmT1_PNSt15iterator_traitsIS12_E10value_typeET2_T3_PNS13_IS18_E10value_typeET4_jRbjT5_S1E_jjP12ihipStream_tbEUljE_ZNSN_ISO_Lb1ESQ_SR_ST_SU_SY_EESZ_S10_S11_S12_S16_S17_S18_S1B_S1C_jS1D_jS1E_S1E_jjS1G_bEUljE0_EEESZ_S10_S11_S18_S1C_S1E_T6_T7_T9_mT8_S1G_bDpT10_ENKUlT_T0_E_clISt17integral_constantIbLb0EES1U_EEDaS1P_S1Q_EUlS1P_E_NS1_11comp_targetILNS1_3genE10ELNS1_11target_archE1200ELNS1_3gpuE4ELNS1_3repE0EEENS1_30default_config_static_selectorELNS0_4arch9wavefront6targetE0EEEvS12_
; %bb.0:
	.section	.rodata,"a",@progbits
	.p2align	6, 0x0
	.amdhsa_kernel _ZN7rocprim17ROCPRIM_400000_NS6detail17trampoline_kernelINS0_13select_configILj256ELj13ELNS0_17block_load_methodE3ELS4_3ELS4_3ELNS0_20block_scan_algorithmE0ELj4294967295EEENS1_25partition_config_selectorILNS1_17partition_subalgoE4EjNS0_10empty_typeEbEEZZNS1_14partition_implILS8_4ELb0ES6_15HIP_vector_typeIjLj2EENS0_17counting_iteratorIjlEEPS9_SG_NS0_5tupleIJPjSI_NS0_16reverse_iteratorISI_EEEEENSH_IJSG_SG_SG_EEES9_SI_JZNS1_25segmented_radix_sort_implINS0_14default_configELb1EPKdPdPKlPlN2at6native12_GLOBAL__N_18offset_tEEE10hipError_tPvRmT1_PNSt15iterator_traitsIS12_E10value_typeET2_T3_PNS13_IS18_E10value_typeET4_jRbjT5_S1E_jjP12ihipStream_tbEUljE_ZNSN_ISO_Lb1ESQ_SR_ST_SU_SY_EESZ_S10_S11_S12_S16_S17_S18_S1B_S1C_jS1D_jS1E_S1E_jjS1G_bEUljE0_EEESZ_S10_S11_S18_S1C_S1E_T6_T7_T9_mT8_S1G_bDpT10_ENKUlT_T0_E_clISt17integral_constantIbLb0EES1U_EEDaS1P_S1Q_EUlS1P_E_NS1_11comp_targetILNS1_3genE10ELNS1_11target_archE1200ELNS1_3gpuE4ELNS1_3repE0EEENS1_30default_config_static_selectorELNS0_4arch9wavefront6targetE0EEEvS12_
		.amdhsa_group_segment_fixed_size 0
		.amdhsa_private_segment_fixed_size 0
		.amdhsa_kernarg_size 176
		.amdhsa_user_sgpr_count 15
		.amdhsa_user_sgpr_dispatch_ptr 0
		.amdhsa_user_sgpr_queue_ptr 0
		.amdhsa_user_sgpr_kernarg_segment_ptr 1
		.amdhsa_user_sgpr_dispatch_id 0
		.amdhsa_user_sgpr_private_segment_size 0
		.amdhsa_wavefront_size32 1
		.amdhsa_uses_dynamic_stack 0
		.amdhsa_enable_private_segment 0
		.amdhsa_system_sgpr_workgroup_id_x 1
		.amdhsa_system_sgpr_workgroup_id_y 0
		.amdhsa_system_sgpr_workgroup_id_z 0
		.amdhsa_system_sgpr_workgroup_info 0
		.amdhsa_system_vgpr_workitem_id 0
		.amdhsa_next_free_vgpr 1
		.amdhsa_next_free_sgpr 1
		.amdhsa_reserve_vcc 0
		.amdhsa_float_round_mode_32 0
		.amdhsa_float_round_mode_16_64 0
		.amdhsa_float_denorm_mode_32 3
		.amdhsa_float_denorm_mode_16_64 3
		.amdhsa_dx10_clamp 1
		.amdhsa_ieee_mode 1
		.amdhsa_fp16_overflow 0
		.amdhsa_workgroup_processor_mode 1
		.amdhsa_memory_ordered 1
		.amdhsa_forward_progress 0
		.amdhsa_shared_vgpr_count 0
		.amdhsa_exception_fp_ieee_invalid_op 0
		.amdhsa_exception_fp_denorm_src 0
		.amdhsa_exception_fp_ieee_div_zero 0
		.amdhsa_exception_fp_ieee_overflow 0
		.amdhsa_exception_fp_ieee_underflow 0
		.amdhsa_exception_fp_ieee_inexact 0
		.amdhsa_exception_int_div_zero 0
	.end_amdhsa_kernel
	.section	.text._ZN7rocprim17ROCPRIM_400000_NS6detail17trampoline_kernelINS0_13select_configILj256ELj13ELNS0_17block_load_methodE3ELS4_3ELS4_3ELNS0_20block_scan_algorithmE0ELj4294967295EEENS1_25partition_config_selectorILNS1_17partition_subalgoE4EjNS0_10empty_typeEbEEZZNS1_14partition_implILS8_4ELb0ES6_15HIP_vector_typeIjLj2EENS0_17counting_iteratorIjlEEPS9_SG_NS0_5tupleIJPjSI_NS0_16reverse_iteratorISI_EEEEENSH_IJSG_SG_SG_EEES9_SI_JZNS1_25segmented_radix_sort_implINS0_14default_configELb1EPKdPdPKlPlN2at6native12_GLOBAL__N_18offset_tEEE10hipError_tPvRmT1_PNSt15iterator_traitsIS12_E10value_typeET2_T3_PNS13_IS18_E10value_typeET4_jRbjT5_S1E_jjP12ihipStream_tbEUljE_ZNSN_ISO_Lb1ESQ_SR_ST_SU_SY_EESZ_S10_S11_S12_S16_S17_S18_S1B_S1C_jS1D_jS1E_S1E_jjS1G_bEUljE0_EEESZ_S10_S11_S18_S1C_S1E_T6_T7_T9_mT8_S1G_bDpT10_ENKUlT_T0_E_clISt17integral_constantIbLb0EES1U_EEDaS1P_S1Q_EUlS1P_E_NS1_11comp_targetILNS1_3genE10ELNS1_11target_archE1200ELNS1_3gpuE4ELNS1_3repE0EEENS1_30default_config_static_selectorELNS0_4arch9wavefront6targetE0EEEvS12_,"axG",@progbits,_ZN7rocprim17ROCPRIM_400000_NS6detail17trampoline_kernelINS0_13select_configILj256ELj13ELNS0_17block_load_methodE3ELS4_3ELS4_3ELNS0_20block_scan_algorithmE0ELj4294967295EEENS1_25partition_config_selectorILNS1_17partition_subalgoE4EjNS0_10empty_typeEbEEZZNS1_14partition_implILS8_4ELb0ES6_15HIP_vector_typeIjLj2EENS0_17counting_iteratorIjlEEPS9_SG_NS0_5tupleIJPjSI_NS0_16reverse_iteratorISI_EEEEENSH_IJSG_SG_SG_EEES9_SI_JZNS1_25segmented_radix_sort_implINS0_14default_configELb1EPKdPdPKlPlN2at6native12_GLOBAL__N_18offset_tEEE10hipError_tPvRmT1_PNSt15iterator_traitsIS12_E10value_typeET2_T3_PNS13_IS18_E10value_typeET4_jRbjT5_S1E_jjP12ihipStream_tbEUljE_ZNSN_ISO_Lb1ESQ_SR_ST_SU_SY_EESZ_S10_S11_S12_S16_S17_S18_S1B_S1C_jS1D_jS1E_S1E_jjS1G_bEUljE0_EEESZ_S10_S11_S18_S1C_S1E_T6_T7_T9_mT8_S1G_bDpT10_ENKUlT_T0_E_clISt17integral_constantIbLb0EES1U_EEDaS1P_S1Q_EUlS1P_E_NS1_11comp_targetILNS1_3genE10ELNS1_11target_archE1200ELNS1_3gpuE4ELNS1_3repE0EEENS1_30default_config_static_selectorELNS0_4arch9wavefront6targetE0EEEvS12_,comdat
.Lfunc_end1059:
	.size	_ZN7rocprim17ROCPRIM_400000_NS6detail17trampoline_kernelINS0_13select_configILj256ELj13ELNS0_17block_load_methodE3ELS4_3ELS4_3ELNS0_20block_scan_algorithmE0ELj4294967295EEENS1_25partition_config_selectorILNS1_17partition_subalgoE4EjNS0_10empty_typeEbEEZZNS1_14partition_implILS8_4ELb0ES6_15HIP_vector_typeIjLj2EENS0_17counting_iteratorIjlEEPS9_SG_NS0_5tupleIJPjSI_NS0_16reverse_iteratorISI_EEEEENSH_IJSG_SG_SG_EEES9_SI_JZNS1_25segmented_radix_sort_implINS0_14default_configELb1EPKdPdPKlPlN2at6native12_GLOBAL__N_18offset_tEEE10hipError_tPvRmT1_PNSt15iterator_traitsIS12_E10value_typeET2_T3_PNS13_IS18_E10value_typeET4_jRbjT5_S1E_jjP12ihipStream_tbEUljE_ZNSN_ISO_Lb1ESQ_SR_ST_SU_SY_EESZ_S10_S11_S12_S16_S17_S18_S1B_S1C_jS1D_jS1E_S1E_jjS1G_bEUljE0_EEESZ_S10_S11_S18_S1C_S1E_T6_T7_T9_mT8_S1G_bDpT10_ENKUlT_T0_E_clISt17integral_constantIbLb0EES1U_EEDaS1P_S1Q_EUlS1P_E_NS1_11comp_targetILNS1_3genE10ELNS1_11target_archE1200ELNS1_3gpuE4ELNS1_3repE0EEENS1_30default_config_static_selectorELNS0_4arch9wavefront6targetE0EEEvS12_, .Lfunc_end1059-_ZN7rocprim17ROCPRIM_400000_NS6detail17trampoline_kernelINS0_13select_configILj256ELj13ELNS0_17block_load_methodE3ELS4_3ELS4_3ELNS0_20block_scan_algorithmE0ELj4294967295EEENS1_25partition_config_selectorILNS1_17partition_subalgoE4EjNS0_10empty_typeEbEEZZNS1_14partition_implILS8_4ELb0ES6_15HIP_vector_typeIjLj2EENS0_17counting_iteratorIjlEEPS9_SG_NS0_5tupleIJPjSI_NS0_16reverse_iteratorISI_EEEEENSH_IJSG_SG_SG_EEES9_SI_JZNS1_25segmented_radix_sort_implINS0_14default_configELb1EPKdPdPKlPlN2at6native12_GLOBAL__N_18offset_tEEE10hipError_tPvRmT1_PNSt15iterator_traitsIS12_E10value_typeET2_T3_PNS13_IS18_E10value_typeET4_jRbjT5_S1E_jjP12ihipStream_tbEUljE_ZNSN_ISO_Lb1ESQ_SR_ST_SU_SY_EESZ_S10_S11_S12_S16_S17_S18_S1B_S1C_jS1D_jS1E_S1E_jjS1G_bEUljE0_EEESZ_S10_S11_S18_S1C_S1E_T6_T7_T9_mT8_S1G_bDpT10_ENKUlT_T0_E_clISt17integral_constantIbLb0EES1U_EEDaS1P_S1Q_EUlS1P_E_NS1_11comp_targetILNS1_3genE10ELNS1_11target_archE1200ELNS1_3gpuE4ELNS1_3repE0EEENS1_30default_config_static_selectorELNS0_4arch9wavefront6targetE0EEEvS12_
                                        ; -- End function
	.section	.AMDGPU.csdata,"",@progbits
; Kernel info:
; codeLenInByte = 0
; NumSgprs: 0
; NumVgprs: 0
; ScratchSize: 0
; MemoryBound: 0
; FloatMode: 240
; IeeeMode: 1
; LDSByteSize: 0 bytes/workgroup (compile time only)
; SGPRBlocks: 0
; VGPRBlocks: 0
; NumSGPRsForWavesPerEU: 1
; NumVGPRsForWavesPerEU: 1
; Occupancy: 16
; WaveLimiterHint : 0
; COMPUTE_PGM_RSRC2:SCRATCH_EN: 0
; COMPUTE_PGM_RSRC2:USER_SGPR: 15
; COMPUTE_PGM_RSRC2:TRAP_HANDLER: 0
; COMPUTE_PGM_RSRC2:TGID_X_EN: 1
; COMPUTE_PGM_RSRC2:TGID_Y_EN: 0
; COMPUTE_PGM_RSRC2:TGID_Z_EN: 0
; COMPUTE_PGM_RSRC2:TIDIG_COMP_CNT: 0
	.section	.text._ZN7rocprim17ROCPRIM_400000_NS6detail17trampoline_kernelINS0_13select_configILj256ELj13ELNS0_17block_load_methodE3ELS4_3ELS4_3ELNS0_20block_scan_algorithmE0ELj4294967295EEENS1_25partition_config_selectorILNS1_17partition_subalgoE4EjNS0_10empty_typeEbEEZZNS1_14partition_implILS8_4ELb0ES6_15HIP_vector_typeIjLj2EENS0_17counting_iteratorIjlEEPS9_SG_NS0_5tupleIJPjSI_NS0_16reverse_iteratorISI_EEEEENSH_IJSG_SG_SG_EEES9_SI_JZNS1_25segmented_radix_sort_implINS0_14default_configELb1EPKdPdPKlPlN2at6native12_GLOBAL__N_18offset_tEEE10hipError_tPvRmT1_PNSt15iterator_traitsIS12_E10value_typeET2_T3_PNS13_IS18_E10value_typeET4_jRbjT5_S1E_jjP12ihipStream_tbEUljE_ZNSN_ISO_Lb1ESQ_SR_ST_SU_SY_EESZ_S10_S11_S12_S16_S17_S18_S1B_S1C_jS1D_jS1E_S1E_jjS1G_bEUljE0_EEESZ_S10_S11_S18_S1C_S1E_T6_T7_T9_mT8_S1G_bDpT10_ENKUlT_T0_E_clISt17integral_constantIbLb0EES1U_EEDaS1P_S1Q_EUlS1P_E_NS1_11comp_targetILNS1_3genE9ELNS1_11target_archE1100ELNS1_3gpuE3ELNS1_3repE0EEENS1_30default_config_static_selectorELNS0_4arch9wavefront6targetE0EEEvS12_,"axG",@progbits,_ZN7rocprim17ROCPRIM_400000_NS6detail17trampoline_kernelINS0_13select_configILj256ELj13ELNS0_17block_load_methodE3ELS4_3ELS4_3ELNS0_20block_scan_algorithmE0ELj4294967295EEENS1_25partition_config_selectorILNS1_17partition_subalgoE4EjNS0_10empty_typeEbEEZZNS1_14partition_implILS8_4ELb0ES6_15HIP_vector_typeIjLj2EENS0_17counting_iteratorIjlEEPS9_SG_NS0_5tupleIJPjSI_NS0_16reverse_iteratorISI_EEEEENSH_IJSG_SG_SG_EEES9_SI_JZNS1_25segmented_radix_sort_implINS0_14default_configELb1EPKdPdPKlPlN2at6native12_GLOBAL__N_18offset_tEEE10hipError_tPvRmT1_PNSt15iterator_traitsIS12_E10value_typeET2_T3_PNS13_IS18_E10value_typeET4_jRbjT5_S1E_jjP12ihipStream_tbEUljE_ZNSN_ISO_Lb1ESQ_SR_ST_SU_SY_EESZ_S10_S11_S12_S16_S17_S18_S1B_S1C_jS1D_jS1E_S1E_jjS1G_bEUljE0_EEESZ_S10_S11_S18_S1C_S1E_T6_T7_T9_mT8_S1G_bDpT10_ENKUlT_T0_E_clISt17integral_constantIbLb0EES1U_EEDaS1P_S1Q_EUlS1P_E_NS1_11comp_targetILNS1_3genE9ELNS1_11target_archE1100ELNS1_3gpuE3ELNS1_3repE0EEENS1_30default_config_static_selectorELNS0_4arch9wavefront6targetE0EEEvS12_,comdat
	.globl	_ZN7rocprim17ROCPRIM_400000_NS6detail17trampoline_kernelINS0_13select_configILj256ELj13ELNS0_17block_load_methodE3ELS4_3ELS4_3ELNS0_20block_scan_algorithmE0ELj4294967295EEENS1_25partition_config_selectorILNS1_17partition_subalgoE4EjNS0_10empty_typeEbEEZZNS1_14partition_implILS8_4ELb0ES6_15HIP_vector_typeIjLj2EENS0_17counting_iteratorIjlEEPS9_SG_NS0_5tupleIJPjSI_NS0_16reverse_iteratorISI_EEEEENSH_IJSG_SG_SG_EEES9_SI_JZNS1_25segmented_radix_sort_implINS0_14default_configELb1EPKdPdPKlPlN2at6native12_GLOBAL__N_18offset_tEEE10hipError_tPvRmT1_PNSt15iterator_traitsIS12_E10value_typeET2_T3_PNS13_IS18_E10value_typeET4_jRbjT5_S1E_jjP12ihipStream_tbEUljE_ZNSN_ISO_Lb1ESQ_SR_ST_SU_SY_EESZ_S10_S11_S12_S16_S17_S18_S1B_S1C_jS1D_jS1E_S1E_jjS1G_bEUljE0_EEESZ_S10_S11_S18_S1C_S1E_T6_T7_T9_mT8_S1G_bDpT10_ENKUlT_T0_E_clISt17integral_constantIbLb0EES1U_EEDaS1P_S1Q_EUlS1P_E_NS1_11comp_targetILNS1_3genE9ELNS1_11target_archE1100ELNS1_3gpuE3ELNS1_3repE0EEENS1_30default_config_static_selectorELNS0_4arch9wavefront6targetE0EEEvS12_ ; -- Begin function _ZN7rocprim17ROCPRIM_400000_NS6detail17trampoline_kernelINS0_13select_configILj256ELj13ELNS0_17block_load_methodE3ELS4_3ELS4_3ELNS0_20block_scan_algorithmE0ELj4294967295EEENS1_25partition_config_selectorILNS1_17partition_subalgoE4EjNS0_10empty_typeEbEEZZNS1_14partition_implILS8_4ELb0ES6_15HIP_vector_typeIjLj2EENS0_17counting_iteratorIjlEEPS9_SG_NS0_5tupleIJPjSI_NS0_16reverse_iteratorISI_EEEEENSH_IJSG_SG_SG_EEES9_SI_JZNS1_25segmented_radix_sort_implINS0_14default_configELb1EPKdPdPKlPlN2at6native12_GLOBAL__N_18offset_tEEE10hipError_tPvRmT1_PNSt15iterator_traitsIS12_E10value_typeET2_T3_PNS13_IS18_E10value_typeET4_jRbjT5_S1E_jjP12ihipStream_tbEUljE_ZNSN_ISO_Lb1ESQ_SR_ST_SU_SY_EESZ_S10_S11_S12_S16_S17_S18_S1B_S1C_jS1D_jS1E_S1E_jjS1G_bEUljE0_EEESZ_S10_S11_S18_S1C_S1E_T6_T7_T9_mT8_S1G_bDpT10_ENKUlT_T0_E_clISt17integral_constantIbLb0EES1U_EEDaS1P_S1Q_EUlS1P_E_NS1_11comp_targetILNS1_3genE9ELNS1_11target_archE1100ELNS1_3gpuE3ELNS1_3repE0EEENS1_30default_config_static_selectorELNS0_4arch9wavefront6targetE0EEEvS12_
	.p2align	8
	.type	_ZN7rocprim17ROCPRIM_400000_NS6detail17trampoline_kernelINS0_13select_configILj256ELj13ELNS0_17block_load_methodE3ELS4_3ELS4_3ELNS0_20block_scan_algorithmE0ELj4294967295EEENS1_25partition_config_selectorILNS1_17partition_subalgoE4EjNS0_10empty_typeEbEEZZNS1_14partition_implILS8_4ELb0ES6_15HIP_vector_typeIjLj2EENS0_17counting_iteratorIjlEEPS9_SG_NS0_5tupleIJPjSI_NS0_16reverse_iteratorISI_EEEEENSH_IJSG_SG_SG_EEES9_SI_JZNS1_25segmented_radix_sort_implINS0_14default_configELb1EPKdPdPKlPlN2at6native12_GLOBAL__N_18offset_tEEE10hipError_tPvRmT1_PNSt15iterator_traitsIS12_E10value_typeET2_T3_PNS13_IS18_E10value_typeET4_jRbjT5_S1E_jjP12ihipStream_tbEUljE_ZNSN_ISO_Lb1ESQ_SR_ST_SU_SY_EESZ_S10_S11_S12_S16_S17_S18_S1B_S1C_jS1D_jS1E_S1E_jjS1G_bEUljE0_EEESZ_S10_S11_S18_S1C_S1E_T6_T7_T9_mT8_S1G_bDpT10_ENKUlT_T0_E_clISt17integral_constantIbLb0EES1U_EEDaS1P_S1Q_EUlS1P_E_NS1_11comp_targetILNS1_3genE9ELNS1_11target_archE1100ELNS1_3gpuE3ELNS1_3repE0EEENS1_30default_config_static_selectorELNS0_4arch9wavefront6targetE0EEEvS12_,@function
_ZN7rocprim17ROCPRIM_400000_NS6detail17trampoline_kernelINS0_13select_configILj256ELj13ELNS0_17block_load_methodE3ELS4_3ELS4_3ELNS0_20block_scan_algorithmE0ELj4294967295EEENS1_25partition_config_selectorILNS1_17partition_subalgoE4EjNS0_10empty_typeEbEEZZNS1_14partition_implILS8_4ELb0ES6_15HIP_vector_typeIjLj2EENS0_17counting_iteratorIjlEEPS9_SG_NS0_5tupleIJPjSI_NS0_16reverse_iteratorISI_EEEEENSH_IJSG_SG_SG_EEES9_SI_JZNS1_25segmented_radix_sort_implINS0_14default_configELb1EPKdPdPKlPlN2at6native12_GLOBAL__N_18offset_tEEE10hipError_tPvRmT1_PNSt15iterator_traitsIS12_E10value_typeET2_T3_PNS13_IS18_E10value_typeET4_jRbjT5_S1E_jjP12ihipStream_tbEUljE_ZNSN_ISO_Lb1ESQ_SR_ST_SU_SY_EESZ_S10_S11_S12_S16_S17_S18_S1B_S1C_jS1D_jS1E_S1E_jjS1G_bEUljE0_EEESZ_S10_S11_S18_S1C_S1E_T6_T7_T9_mT8_S1G_bDpT10_ENKUlT_T0_E_clISt17integral_constantIbLb0EES1U_EEDaS1P_S1Q_EUlS1P_E_NS1_11comp_targetILNS1_3genE9ELNS1_11target_archE1100ELNS1_3gpuE3ELNS1_3repE0EEENS1_30default_config_static_selectorELNS0_4arch9wavefront6targetE0EEEvS12_: ; @_ZN7rocprim17ROCPRIM_400000_NS6detail17trampoline_kernelINS0_13select_configILj256ELj13ELNS0_17block_load_methodE3ELS4_3ELS4_3ELNS0_20block_scan_algorithmE0ELj4294967295EEENS1_25partition_config_selectorILNS1_17partition_subalgoE4EjNS0_10empty_typeEbEEZZNS1_14partition_implILS8_4ELb0ES6_15HIP_vector_typeIjLj2EENS0_17counting_iteratorIjlEEPS9_SG_NS0_5tupleIJPjSI_NS0_16reverse_iteratorISI_EEEEENSH_IJSG_SG_SG_EEES9_SI_JZNS1_25segmented_radix_sort_implINS0_14default_configELb1EPKdPdPKlPlN2at6native12_GLOBAL__N_18offset_tEEE10hipError_tPvRmT1_PNSt15iterator_traitsIS12_E10value_typeET2_T3_PNS13_IS18_E10value_typeET4_jRbjT5_S1E_jjP12ihipStream_tbEUljE_ZNSN_ISO_Lb1ESQ_SR_ST_SU_SY_EESZ_S10_S11_S12_S16_S17_S18_S1B_S1C_jS1D_jS1E_S1E_jjS1G_bEUljE0_EEESZ_S10_S11_S18_S1C_S1E_T6_T7_T9_mT8_S1G_bDpT10_ENKUlT_T0_E_clISt17integral_constantIbLb0EES1U_EEDaS1P_S1Q_EUlS1P_E_NS1_11comp_targetILNS1_3genE9ELNS1_11target_archE1100ELNS1_3gpuE3ELNS1_3repE0EEENS1_30default_config_static_selectorELNS0_4arch9wavefront6targetE0EEEvS12_
; %bb.0:
	s_clause 0x6
	s_load_b32 s5, s[0:1], 0x80
	s_load_b64 s[34:35], s[0:1], 0x10
	s_load_b64 s[2:3], s[0:1], 0x68
	s_load_b32 s8, s[0:1], 0x8
	s_load_b128 s[24:27], s[0:1], 0x58
	s_load_b64 s[40:41], s[0:1], 0xa8
	s_load_b256 s[16:23], s[0:1], 0x88
	s_mul_i32 s33, s15, 0xd00
	s_waitcnt lgkmcnt(0)
	s_mul_i32 s4, s5, 0xd00
	s_add_i32 s5, s5, -1
	s_add_u32 s6, s34, s4
	s_addc_u32 s7, s35, 0
	s_load_b128 s[28:31], s[26:27], 0x0
	s_cmp_eq_u32 s15, s5
	v_cmp_lt_u64_e64 s3, s[6:7], s[2:3]
	s_cselect_b32 s14, -1, 0
	s_cmp_lg_u32 s15, s5
	s_cselect_b32 s5, -1, 0
	s_add_i32 s6, s8, s33
	s_delay_alu instid0(VALU_DEP_1) | instskip(SKIP_4) | instid1(VALU_DEP_1)
	s_or_b32 s3, s5, s3
	s_add_i32 s6, s6, s34
	s_and_b32 vcc_lo, exec_lo, s3
	v_add_nc_u32_e32 v1, s6, v0
	s_mov_b32 s5, -1
	v_add_nc_u32_e32 v2, 0x100, v1
	v_add_nc_u32_e32 v3, 0x200, v1
	;; [unrolled: 1-line block ×12, first 2 shown]
	s_cbranch_vccz .LBB1060_2
; %bb.1:
	v_lshlrev_b32_e32 v14, 2, v0
	s_mov_b32 s5, 0
	ds_store_2addr_stride64_b32 v14, v1, v2 offset1:4
	ds_store_2addr_stride64_b32 v14, v3, v4 offset0:8 offset1:12
	ds_store_2addr_stride64_b32 v14, v5, v6 offset0:16 offset1:20
	;; [unrolled: 1-line block ×5, first 2 shown]
	ds_store_b32 v14, v13 offset:12288
	s_waitcnt lgkmcnt(0)
	s_barrier
.LBB1060_2:
	s_and_not1_b32 vcc_lo, exec_lo, s5
	s_add_i32 s4, s4, s34
	s_cbranch_vccnz .LBB1060_4
; %bb.3:
	v_lshlrev_b32_e32 v14, 2, v0
	ds_store_2addr_stride64_b32 v14, v1, v2 offset1:4
	ds_store_2addr_stride64_b32 v14, v3, v4 offset0:8 offset1:12
	ds_store_2addr_stride64_b32 v14, v5, v6 offset0:16 offset1:20
	;; [unrolled: 1-line block ×5, first 2 shown]
	ds_store_b32 v14, v13 offset:12288
	s_waitcnt lgkmcnt(0)
	s_barrier
.LBB1060_4:
	v_mul_u32_u24_e32 v28, 13, v0
	s_clause 0x1
	s_load_b128 s[36:39], s[0:1], 0x28
	s_load_b64 s[26:27], s[0:1], 0x38
	s_waitcnt lgkmcnt(0)
	buffer_gl0_inv
	v_cndmask_b32_e64 v26, 0, 1, s3
	s_sub_i32 s44, s2, s4
	v_lshlrev_b32_e32 v1, 2, v28
	s_and_not1_b32 vcc_lo, exec_lo, s3
	ds_load_2addr_b32 v[16:17], v1 offset1:1
	ds_load_2addr_b32 v[14:15], v1 offset0:2 offset1:3
	ds_load_2addr_b32 v[12:13], v1 offset0:4 offset1:5
	;; [unrolled: 1-line block ×5, first 2 shown]
	ds_load_b32 v27, v1 offset:48
	s_waitcnt lgkmcnt(0)
	s_barrier
	buffer_gl0_inv
	s_cbranch_vccnz .LBB1060_32
; %bb.5:
	v_add_nc_u32_e32 v1, s17, v16
	v_add_nc_u32_e32 v2, s19, v16
	s_mov_b32 s46, 0
	s_mov_b32 s45, 0
	s_mov_b32 s3, exec_lo
	v_mul_lo_u32 v1, v1, s16
	v_mul_lo_u32 v2, v2, s18
	s_delay_alu instid0(VALU_DEP_1) | instskip(NEXT) | instid1(VALU_DEP_1)
	v_sub_nc_u32_e32 v1, v1, v2
	v_cmp_lt_u32_e32 vcc_lo, s20, v1
	v_cmpx_ge_u32_e64 s20, v1
; %bb.6:
	v_add_nc_u32_e32 v1, s22, v16
	v_add_nc_u32_e32 v2, s40, v16
	s_delay_alu instid0(VALU_DEP_2) | instskip(NEXT) | instid1(VALU_DEP_2)
	v_mul_lo_u32 v1, v1, s21
	v_mul_lo_u32 v2, v2, s23
	s_delay_alu instid0(VALU_DEP_1) | instskip(NEXT) | instid1(VALU_DEP_1)
	v_sub_nc_u32_e32 v1, v1, v2
	v_cmp_lt_u32_e64 s2, s41, v1
	s_delay_alu instid0(VALU_DEP_1)
	s_and_b32 s45, s2, exec_lo
; %bb.7:
	s_or_b32 exec_lo, exec_lo, s3
	v_add_nc_u32_e32 v1, s17, v17
	v_add_nc_u32_e32 v2, s19, v17
	s_mov_b32 s4, exec_lo
	s_delay_alu instid0(VALU_DEP_2) | instskip(NEXT) | instid1(VALU_DEP_2)
	v_mul_lo_u32 v1, v1, s16
	v_mul_lo_u32 v2, v2, s18
	s_delay_alu instid0(VALU_DEP_1) | instskip(NEXT) | instid1(VALU_DEP_1)
	v_sub_nc_u32_e32 v1, v1, v2
	v_cmp_lt_u32_e64 s2, s20, v1
	v_cmpx_ge_u32_e64 s20, v1
; %bb.8:
	v_add_nc_u32_e32 v1, s22, v17
	v_add_nc_u32_e32 v2, s40, v17
	s_delay_alu instid0(VALU_DEP_2) | instskip(NEXT) | instid1(VALU_DEP_2)
	v_mul_lo_u32 v1, v1, s21
	v_mul_lo_u32 v2, v2, s23
	s_delay_alu instid0(VALU_DEP_1) | instskip(NEXT) | instid1(VALU_DEP_1)
	v_sub_nc_u32_e32 v1, v1, v2
	v_cmp_lt_u32_e64 s3, s41, v1
	s_delay_alu instid0(VALU_DEP_1)
	s_and_b32 s46, s3, exec_lo
; %bb.9:
	s_or_b32 exec_lo, exec_lo, s4
	v_add_nc_u32_e32 v1, s17, v14
	v_add_nc_u32_e32 v2, s19, v14
	s_mov_b32 s48, 0
	s_mov_b32 s47, 0
	s_mov_b32 s5, exec_lo
	v_mul_lo_u32 v1, v1, s16
	v_mul_lo_u32 v2, v2, s18
	s_delay_alu instid0(VALU_DEP_1) | instskip(NEXT) | instid1(VALU_DEP_1)
	v_sub_nc_u32_e32 v1, v1, v2
	v_cmp_lt_u32_e64 s3, s20, v1
	v_cmpx_ge_u32_e64 s20, v1
; %bb.10:
	v_add_nc_u32_e32 v1, s22, v14
	v_add_nc_u32_e32 v2, s40, v14
	s_delay_alu instid0(VALU_DEP_2) | instskip(NEXT) | instid1(VALU_DEP_2)
	v_mul_lo_u32 v1, v1, s21
	v_mul_lo_u32 v2, v2, s23
	s_delay_alu instid0(VALU_DEP_1) | instskip(NEXT) | instid1(VALU_DEP_1)
	v_sub_nc_u32_e32 v1, v1, v2
	v_cmp_lt_u32_e64 s4, s41, v1
	s_delay_alu instid0(VALU_DEP_1)
	s_and_b32 s47, s4, exec_lo
; %bb.11:
	s_or_b32 exec_lo, exec_lo, s5
	v_add_nc_u32_e32 v1, s17, v15
	v_add_nc_u32_e32 v2, s19, v15
	s_mov_b32 s6, exec_lo
	s_delay_alu instid0(VALU_DEP_2) | instskip(NEXT) | instid1(VALU_DEP_2)
	v_mul_lo_u32 v1, v1, s16
	v_mul_lo_u32 v2, v2, s18
	s_delay_alu instid0(VALU_DEP_1) | instskip(NEXT) | instid1(VALU_DEP_1)
	v_sub_nc_u32_e32 v1, v1, v2
	v_cmp_lt_u32_e64 s4, s20, v1
	v_cmpx_ge_u32_e64 s20, v1
; %bb.12:
	v_add_nc_u32_e32 v1, s22, v15
	v_add_nc_u32_e32 v2, s40, v15
	s_delay_alu instid0(VALU_DEP_2) | instskip(NEXT) | instid1(VALU_DEP_2)
	v_mul_lo_u32 v1, v1, s21
	v_mul_lo_u32 v2, v2, s23
	s_delay_alu instid0(VALU_DEP_1) | instskip(NEXT) | instid1(VALU_DEP_1)
	v_sub_nc_u32_e32 v1, v1, v2
	v_cmp_lt_u32_e64 s5, s41, v1
	s_delay_alu instid0(VALU_DEP_1)
	s_and_b32 s48, s5, exec_lo
; %bb.13:
	s_or_b32 exec_lo, exec_lo, s6
	v_add_nc_u32_e32 v1, s17, v12
	v_add_nc_u32_e32 v2, s19, v12
	s_mov_b32 s50, 0
	s_mov_b32 s49, 0
	s_mov_b32 s7, exec_lo
	v_mul_lo_u32 v1, v1, s16
	v_mul_lo_u32 v2, v2, s18
	s_delay_alu instid0(VALU_DEP_1) | instskip(NEXT) | instid1(VALU_DEP_1)
	v_sub_nc_u32_e32 v1, v1, v2
	v_cmp_lt_u32_e64 s5, s20, v1
	;; [unrolled: 47-line block ×5, first 2 shown]
	v_cmpx_ge_u32_e64 s20, v1
; %bb.26:
	v_add_nc_u32_e32 v1, s22, v6
	v_add_nc_u32_e32 v2, s40, v6
	s_delay_alu instid0(VALU_DEP_2) | instskip(NEXT) | instid1(VALU_DEP_2)
	v_mul_lo_u32 v1, v1, s21
	v_mul_lo_u32 v2, v2, s23
	s_delay_alu instid0(VALU_DEP_1) | instskip(NEXT) | instid1(VALU_DEP_1)
	v_sub_nc_u32_e32 v1, v1, v2
	v_cmp_lt_u32_e64 s12, s41, v1
	s_delay_alu instid0(VALU_DEP_1)
	s_and_b32 s57, s12, exec_lo
; %bb.27:
	s_or_b32 exec_lo, exec_lo, s13
	v_add_nc_u32_e32 v1, s17, v7
	v_add_nc_u32_e32 v2, s19, v7
	s_mov_b32 s42, exec_lo
	s_delay_alu instid0(VALU_DEP_2) | instskip(NEXT) | instid1(VALU_DEP_2)
	v_mul_lo_u32 v1, v1, s16
	v_mul_lo_u32 v2, v2, s18
	s_delay_alu instid0(VALU_DEP_1) | instskip(NEXT) | instid1(VALU_DEP_1)
	v_sub_nc_u32_e32 v1, v1, v2
	v_cmp_lt_u32_e64 s12, s20, v1
	v_cmpx_ge_u32_e64 s20, v1
; %bb.28:
	v_add_nc_u32_e32 v1, s22, v7
	v_add_nc_u32_e32 v2, s40, v7
	s_delay_alu instid0(VALU_DEP_2) | instskip(NEXT) | instid1(VALU_DEP_2)
	v_mul_lo_u32 v1, v1, s21
	v_mul_lo_u32 v2, v2, s23
	s_delay_alu instid0(VALU_DEP_1) | instskip(NEXT) | instid1(VALU_DEP_1)
	v_sub_nc_u32_e32 v1, v1, v2
	v_cmp_lt_u32_e64 s13, s41, v1
	s_delay_alu instid0(VALU_DEP_1)
	s_and_b32 s56, s13, exec_lo
; %bb.29:
	s_or_b32 exec_lo, exec_lo, s42
	v_add_nc_u32_e32 v1, s17, v27
	v_add_nc_u32_e32 v2, s19, v27
	s_mov_b32 s42, -1
	s_mov_b32 s53, 0
	s_mov_b32 s43, 0
	v_mul_lo_u32 v1, v1, s16
	v_mul_lo_u32 v2, v2, s18
	s_mov_b32 s58, exec_lo
	s_delay_alu instid0(VALU_DEP_1) | instskip(NEXT) | instid1(VALU_DEP_1)
	v_sub_nc_u32_e32 v1, v1, v2
	v_cmpx_ge_u32_e64 s20, v1
; %bb.30:
	v_add_nc_u32_e32 v1, s22, v27
	v_add_nc_u32_e32 v2, s40, v27
	s_xor_b32 s42, exec_lo, -1
	s_delay_alu instid0(VALU_DEP_2) | instskip(NEXT) | instid1(VALU_DEP_2)
	v_mul_lo_u32 v1, v1, s21
	v_mul_lo_u32 v2, v2, s23
	s_delay_alu instid0(VALU_DEP_1) | instskip(NEXT) | instid1(VALU_DEP_1)
	v_sub_nc_u32_e32 v1, v1, v2
	v_cmp_lt_u32_e64 s13, s41, v1
	s_delay_alu instid0(VALU_DEP_1)
	s_and_b32 s43, s13, exec_lo
; %bb.31:
	s_or_b32 exec_lo, exec_lo, s58
	v_cndmask_b32_e64 v48, 0, 1, s57
	v_cndmask_b32_e64 v51, 0, 1, s12
	;; [unrolled: 1-line block ×22, first 2 shown]
	v_cndmask_b32_e64 v29, 0, 1, vcc_lo
	v_cndmask_b32_e64 v52, 0, 1, s56
	s_load_b64 s[4:5], s[0:1], 0x78
	s_and_b32 vcc_lo, exec_lo, s53
	s_add_i32 s3, s44, 0xd00
	s_cbranch_vccnz .LBB1060_33
	s_branch .LBB1060_86
.LBB1060_32:
                                        ; implicit-def: $sgpr42
                                        ; implicit-def: $sgpr43
                                        ; implicit-def: $vgpr52
                                        ; implicit-def: $vgpr48
                                        ; implicit-def: $vgpr47
                                        ; implicit-def: $vgpr45
                                        ; implicit-def: $vgpr43
                                        ; implicit-def: $vgpr40
                                        ; implicit-def: $vgpr39
                                        ; implicit-def: $vgpr37
                                        ; implicit-def: $vgpr35
                                        ; implicit-def: $vgpr29
                                        ; implicit-def: $vgpr33
                                        ; implicit-def: $vgpr31
                                        ; implicit-def: $vgpr32
                                        ; implicit-def: $vgpr38
                                        ; implicit-def: $vgpr41
                                        ; implicit-def: $vgpr42
                                        ; implicit-def: $vgpr44
                                        ; implicit-def: $vgpr46
                                        ; implicit-def: $vgpr49
                                        ; implicit-def: $vgpr50
                                        ; implicit-def: $vgpr51
                                        ; implicit-def: $vgpr30
                                        ; implicit-def: $vgpr34
                                        ; implicit-def: $vgpr36
	s_load_b64 s[4:5], s[0:1], 0x78
	s_add_i32 s3, s44, 0xd00
	s_cbranch_execz .LBB1060_86
.LBB1060_33:
	v_dual_mov_b32 v30, 0 :: v_dual_mov_b32 v29, 0
	s_mov_b32 s2, 0
	s_mov_b32 s1, exec_lo
	v_cmpx_gt_u32_e64 s3, v28
	s_cbranch_execz .LBB1060_37
; %bb.34:
	v_add_nc_u32_e32 v1, s17, v16
	v_add_nc_u32_e32 v2, s19, v16
	s_mov_b32 s6, exec_lo
	s_delay_alu instid0(VALU_DEP_2) | instskip(NEXT) | instid1(VALU_DEP_2)
	v_mul_lo_u32 v1, v1, s16
	v_mul_lo_u32 v2, v2, s18
	s_delay_alu instid0(VALU_DEP_1) | instskip(NEXT) | instid1(VALU_DEP_1)
	v_sub_nc_u32_e32 v1, v1, v2
	v_cmp_lt_u32_e32 vcc_lo, s20, v1
	v_cmpx_ge_u32_e64 s20, v1
; %bb.35:
	v_add_nc_u32_e32 v1, s22, v16
	v_add_nc_u32_e32 v2, s40, v16
	s_delay_alu instid0(VALU_DEP_2) | instskip(NEXT) | instid1(VALU_DEP_2)
	v_mul_lo_u32 v1, v1, s21
	v_mul_lo_u32 v2, v2, s23
	s_delay_alu instid0(VALU_DEP_1) | instskip(NEXT) | instid1(VALU_DEP_1)
	v_sub_nc_u32_e32 v1, v1, v2
	v_cmp_lt_u32_e64 s0, s41, v1
	s_delay_alu instid0(VALU_DEP_1)
	s_and_b32 s2, s0, exec_lo
; %bb.36:
	s_or_b32 exec_lo, exec_lo, s6
	v_cndmask_b32_e64 v29, 0, 1, vcc_lo
	v_cndmask_b32_e64 v30, 0, 1, s2
.LBB1060_37:
	s_or_b32 exec_lo, exec_lo, s1
	v_dual_mov_b32 v34, 0 :: v_dual_add_nc_u32 v1, 1, v28
	v_mov_b32_e32 v33, 0
	s_mov_b32 s2, 0
	s_mov_b32 s1, exec_lo
	s_delay_alu instid0(VALU_DEP_2)
	v_cmpx_gt_u32_e64 s3, v1
	s_cbranch_execz .LBB1060_41
; %bb.38:
	v_add_nc_u32_e32 v1, s17, v17
	v_add_nc_u32_e32 v2, s19, v17
	s_mov_b32 s6, exec_lo
	s_delay_alu instid0(VALU_DEP_2) | instskip(NEXT) | instid1(VALU_DEP_2)
	v_mul_lo_u32 v1, v1, s16
	v_mul_lo_u32 v2, v2, s18
	s_delay_alu instid0(VALU_DEP_1) | instskip(NEXT) | instid1(VALU_DEP_1)
	v_sub_nc_u32_e32 v1, v1, v2
	v_cmp_lt_u32_e32 vcc_lo, s20, v1
	v_cmpx_ge_u32_e64 s20, v1
; %bb.39:
	v_add_nc_u32_e32 v1, s22, v17
	v_add_nc_u32_e32 v2, s40, v17
	s_delay_alu instid0(VALU_DEP_2) | instskip(NEXT) | instid1(VALU_DEP_2)
	v_mul_lo_u32 v1, v1, s21
	v_mul_lo_u32 v2, v2, s23
	s_delay_alu instid0(VALU_DEP_1) | instskip(NEXT) | instid1(VALU_DEP_1)
	v_sub_nc_u32_e32 v1, v1, v2
	v_cmp_lt_u32_e64 s0, s41, v1
	s_delay_alu instid0(VALU_DEP_1)
	s_and_b32 s2, s0, exec_lo
; %bb.40:
	s_or_b32 exec_lo, exec_lo, s6
	v_cndmask_b32_e64 v33, 0, 1, vcc_lo
	v_cndmask_b32_e64 v34, 0, 1, s2
.LBB1060_41:
	s_or_b32 exec_lo, exec_lo, s1
	v_dual_mov_b32 v36, 0 :: v_dual_add_nc_u32 v1, 2, v28
	v_mov_b32_e32 v31, 0
	s_mov_b32 s2, 0
	s_mov_b32 s1, exec_lo
	s_delay_alu instid0(VALU_DEP_2)
	v_cmpx_gt_u32_e64 s3, v1
	s_cbranch_execz .LBB1060_45
; %bb.42:
	v_add_nc_u32_e32 v1, s17, v14
	v_add_nc_u32_e32 v2, s19, v14
	s_mov_b32 s6, exec_lo
	s_delay_alu instid0(VALU_DEP_2) | instskip(NEXT) | instid1(VALU_DEP_2)
	v_mul_lo_u32 v1, v1, s16
	v_mul_lo_u32 v2, v2, s18
	s_delay_alu instid0(VALU_DEP_1) | instskip(NEXT) | instid1(VALU_DEP_1)
	v_sub_nc_u32_e32 v1, v1, v2
	v_cmp_lt_u32_e32 vcc_lo, s20, v1
	v_cmpx_ge_u32_e64 s20, v1
; %bb.43:
	v_add_nc_u32_e32 v1, s22, v14
	v_add_nc_u32_e32 v2, s40, v14
	s_delay_alu instid0(VALU_DEP_2) | instskip(NEXT) | instid1(VALU_DEP_2)
	v_mul_lo_u32 v1, v1, s21
	v_mul_lo_u32 v2, v2, s23
	s_delay_alu instid0(VALU_DEP_1) | instskip(NEXT) | instid1(VALU_DEP_1)
	v_sub_nc_u32_e32 v1, v1, v2
	v_cmp_lt_u32_e64 s0, s41, v1
	s_delay_alu instid0(VALU_DEP_1)
	s_and_b32 s2, s0, exec_lo
; %bb.44:
	s_or_b32 exec_lo, exec_lo, s6
	v_cndmask_b32_e64 v31, 0, 1, vcc_lo
	v_cndmask_b32_e64 v36, 0, 1, s2
.LBB1060_45:
	s_or_b32 exec_lo, exec_lo, s1
	v_dual_mov_b32 v32, 0 :: v_dual_add_nc_u32 v1, 3, v28
	v_mov_b32_e32 v35, 0
	s_mov_b32 s2, 0
	s_mov_b32 s1, exec_lo
	s_delay_alu instid0(VALU_DEP_2)
	v_cmpx_gt_u32_e64 s3, v1
	s_cbranch_execz .LBB1060_49
; %bb.46:
	v_add_nc_u32_e32 v1, s17, v15
	v_add_nc_u32_e32 v2, s19, v15
	s_mov_b32 s6, exec_lo
	s_delay_alu instid0(VALU_DEP_2) | instskip(NEXT) | instid1(VALU_DEP_2)
	v_mul_lo_u32 v1, v1, s16
	v_mul_lo_u32 v2, v2, s18
	s_delay_alu instid0(VALU_DEP_1) | instskip(NEXT) | instid1(VALU_DEP_1)
	v_sub_nc_u32_e32 v1, v1, v2
	v_cmp_lt_u32_e32 vcc_lo, s20, v1
	v_cmpx_ge_u32_e64 s20, v1
; %bb.47:
	v_add_nc_u32_e32 v1, s22, v15
	v_add_nc_u32_e32 v2, s40, v15
	s_delay_alu instid0(VALU_DEP_2) | instskip(NEXT) | instid1(VALU_DEP_2)
	v_mul_lo_u32 v1, v1, s21
	v_mul_lo_u32 v2, v2, s23
	s_delay_alu instid0(VALU_DEP_1) | instskip(NEXT) | instid1(VALU_DEP_1)
	v_sub_nc_u32_e32 v1, v1, v2
	v_cmp_lt_u32_e64 s0, s41, v1
	s_delay_alu instid0(VALU_DEP_1)
	s_and_b32 s2, s0, exec_lo
; %bb.48:
	s_or_b32 exec_lo, exec_lo, s6
	v_cndmask_b32_e64 v32, 0, 1, vcc_lo
	v_cndmask_b32_e64 v35, 0, 1, s2
.LBB1060_49:
	s_or_b32 exec_lo, exec_lo, s1
	v_dual_mov_b32 v38, 0 :: v_dual_add_nc_u32 v1, 4, v28
	v_mov_b32_e32 v37, 0
	s_mov_b32 s2, 0
	s_mov_b32 s1, exec_lo
	s_delay_alu instid0(VALU_DEP_2)
	v_cmpx_gt_u32_e64 s3, v1
	s_cbranch_execz .LBB1060_53
; %bb.50:
	v_add_nc_u32_e32 v1, s17, v12
	v_add_nc_u32_e32 v2, s19, v12
	s_mov_b32 s6, exec_lo
	s_delay_alu instid0(VALU_DEP_2) | instskip(NEXT) | instid1(VALU_DEP_2)
	v_mul_lo_u32 v1, v1, s16
	v_mul_lo_u32 v2, v2, s18
	s_delay_alu instid0(VALU_DEP_1) | instskip(NEXT) | instid1(VALU_DEP_1)
	v_sub_nc_u32_e32 v1, v1, v2
	v_cmp_lt_u32_e32 vcc_lo, s20, v1
	v_cmpx_ge_u32_e64 s20, v1
; %bb.51:
	v_add_nc_u32_e32 v1, s22, v12
	v_add_nc_u32_e32 v2, s40, v12
	s_delay_alu instid0(VALU_DEP_2) | instskip(NEXT) | instid1(VALU_DEP_2)
	v_mul_lo_u32 v1, v1, s21
	v_mul_lo_u32 v2, v2, s23
	s_delay_alu instid0(VALU_DEP_1) | instskip(NEXT) | instid1(VALU_DEP_1)
	v_sub_nc_u32_e32 v1, v1, v2
	v_cmp_lt_u32_e64 s0, s41, v1
	s_delay_alu instid0(VALU_DEP_1)
	s_and_b32 s2, s0, exec_lo
; %bb.52:
	s_or_b32 exec_lo, exec_lo, s6
	v_cndmask_b32_e64 v38, 0, 1, vcc_lo
	v_cndmask_b32_e64 v37, 0, 1, s2
.LBB1060_53:
	s_or_b32 exec_lo, exec_lo, s1
	v_add_nc_u32_e32 v1, 5, v28
	v_mov_b32_e32 v39, 0
	v_mov_b32_e32 v41, 0
	s_mov_b32 s2, 0
	s_mov_b32 s1, exec_lo
	v_cmpx_gt_u32_e64 s3, v1
	s_cbranch_execz .LBB1060_57
; %bb.54:
	v_add_nc_u32_e32 v1, s17, v13
	v_add_nc_u32_e32 v2, s19, v13
	s_mov_b32 s6, exec_lo
	s_delay_alu instid0(VALU_DEP_2) | instskip(NEXT) | instid1(VALU_DEP_2)
	v_mul_lo_u32 v1, v1, s16
	v_mul_lo_u32 v2, v2, s18
	s_delay_alu instid0(VALU_DEP_1) | instskip(NEXT) | instid1(VALU_DEP_1)
	v_sub_nc_u32_e32 v1, v1, v2
	v_cmp_lt_u32_e32 vcc_lo, s20, v1
	v_cmpx_ge_u32_e64 s20, v1
; %bb.55:
	v_add_nc_u32_e32 v1, s22, v13
	v_add_nc_u32_e32 v2, s40, v13
	s_delay_alu instid0(VALU_DEP_2) | instskip(NEXT) | instid1(VALU_DEP_2)
	v_mul_lo_u32 v1, v1, s21
	v_mul_lo_u32 v2, v2, s23
	s_delay_alu instid0(VALU_DEP_1) | instskip(NEXT) | instid1(VALU_DEP_1)
	v_sub_nc_u32_e32 v1, v1, v2
	v_cmp_lt_u32_e64 s0, s41, v1
	s_delay_alu instid0(VALU_DEP_1)
	s_and_b32 s2, s0, exec_lo
; %bb.56:
	s_or_b32 exec_lo, exec_lo, s6
	v_cndmask_b32_e64 v41, 0, 1, vcc_lo
	v_cndmask_b32_e64 v39, 0, 1, s2
.LBB1060_57:
	s_or_b32 exec_lo, exec_lo, s1
	v_dual_mov_b32 v40, 0 :: v_dual_add_nc_u32 v1, 6, v28
	v_mov_b32_e32 v42, 0
	s_mov_b32 s2, 0
	s_mov_b32 s1, exec_lo
	s_delay_alu instid0(VALU_DEP_2)
	v_cmpx_gt_u32_e64 s3, v1
	s_cbranch_execz .LBB1060_61
; %bb.58:
	v_add_nc_u32_e32 v1, s17, v10
	v_add_nc_u32_e32 v2, s19, v10
	s_mov_b32 s6, exec_lo
	s_delay_alu instid0(VALU_DEP_2) | instskip(NEXT) | instid1(VALU_DEP_2)
	v_mul_lo_u32 v1, v1, s16
	v_mul_lo_u32 v2, v2, s18
	s_delay_alu instid0(VALU_DEP_1) | instskip(NEXT) | instid1(VALU_DEP_1)
	v_sub_nc_u32_e32 v1, v1, v2
	v_cmp_lt_u32_e32 vcc_lo, s20, v1
	v_cmpx_ge_u32_e64 s20, v1
; %bb.59:
	v_add_nc_u32_e32 v1, s22, v10
	v_add_nc_u32_e32 v2, s40, v10
	s_delay_alu instid0(VALU_DEP_2) | instskip(NEXT) | instid1(VALU_DEP_2)
	v_mul_lo_u32 v1, v1, s21
	v_mul_lo_u32 v2, v2, s23
	s_delay_alu instid0(VALU_DEP_1) | instskip(NEXT) | instid1(VALU_DEP_1)
	v_sub_nc_u32_e32 v1, v1, v2
	v_cmp_lt_u32_e64 s0, s41, v1
	s_delay_alu instid0(VALU_DEP_1)
	s_and_b32 s2, s0, exec_lo
; %bb.60:
	s_or_b32 exec_lo, exec_lo, s6
	v_cndmask_b32_e64 v42, 0, 1, vcc_lo
	v_cndmask_b32_e64 v40, 0, 1, s2
.LBB1060_61:
	s_or_b32 exec_lo, exec_lo, s1
	v_dual_mov_b32 v44, 0 :: v_dual_add_nc_u32 v1, 7, v28
	v_mov_b32_e32 v43, 0
	s_mov_b32 s2, 0
	s_mov_b32 s1, exec_lo
	s_delay_alu instid0(VALU_DEP_2)
	;; [unrolled: 35-line block ×3, first 2 shown]
	v_cmpx_gt_u32_e64 s3, v1
	s_cbranch_execz .LBB1060_69
; %bb.66:
	v_add_nc_u32_e32 v1, s17, v8
	v_add_nc_u32_e32 v2, s19, v8
	s_mov_b32 s6, exec_lo
	s_delay_alu instid0(VALU_DEP_2) | instskip(NEXT) | instid1(VALU_DEP_2)
	v_mul_lo_u32 v1, v1, s16
	v_mul_lo_u32 v2, v2, s18
	s_delay_alu instid0(VALU_DEP_1) | instskip(NEXT) | instid1(VALU_DEP_1)
	v_sub_nc_u32_e32 v1, v1, v2
	v_cmp_lt_u32_e32 vcc_lo, s20, v1
	v_cmpx_ge_u32_e64 s20, v1
; %bb.67:
	v_add_nc_u32_e32 v1, s22, v8
	v_add_nc_u32_e32 v2, s40, v8
	s_delay_alu instid0(VALU_DEP_2) | instskip(NEXT) | instid1(VALU_DEP_2)
	v_mul_lo_u32 v1, v1, s21
	v_mul_lo_u32 v2, v2, s23
	s_delay_alu instid0(VALU_DEP_1) | instskip(NEXT) | instid1(VALU_DEP_1)
	v_sub_nc_u32_e32 v1, v1, v2
	v_cmp_lt_u32_e64 s0, s41, v1
	s_delay_alu instid0(VALU_DEP_1)
	s_and_b32 s2, s0, exec_lo
; %bb.68:
	s_or_b32 exec_lo, exec_lo, s6
	v_cndmask_b32_e64 v46, 0, 1, vcc_lo
	v_cndmask_b32_e64 v45, 0, 1, s2
.LBB1060_69:
	s_or_b32 exec_lo, exec_lo, s1
	v_add_nc_u32_e32 v1, 9, v28
	v_mov_b32_e32 v47, 0
	v_mov_b32_e32 v49, 0
	s_mov_b32 s2, 0
	s_mov_b32 s1, exec_lo
	v_cmpx_gt_u32_e64 s3, v1
	s_cbranch_execz .LBB1060_73
; %bb.70:
	v_add_nc_u32_e32 v1, s17, v9
	v_add_nc_u32_e32 v2, s19, v9
	s_mov_b32 s6, exec_lo
	s_delay_alu instid0(VALU_DEP_2) | instskip(NEXT) | instid1(VALU_DEP_2)
	v_mul_lo_u32 v1, v1, s16
	v_mul_lo_u32 v2, v2, s18
	s_delay_alu instid0(VALU_DEP_1) | instskip(NEXT) | instid1(VALU_DEP_1)
	v_sub_nc_u32_e32 v1, v1, v2
	v_cmp_lt_u32_e32 vcc_lo, s20, v1
	v_cmpx_ge_u32_e64 s20, v1
; %bb.71:
	v_add_nc_u32_e32 v1, s22, v9
	v_add_nc_u32_e32 v2, s40, v9
	s_delay_alu instid0(VALU_DEP_2) | instskip(NEXT) | instid1(VALU_DEP_2)
	v_mul_lo_u32 v1, v1, s21
	v_mul_lo_u32 v2, v2, s23
	s_delay_alu instid0(VALU_DEP_1) | instskip(NEXT) | instid1(VALU_DEP_1)
	v_sub_nc_u32_e32 v1, v1, v2
	v_cmp_lt_u32_e64 s0, s41, v1
	s_delay_alu instid0(VALU_DEP_1)
	s_and_b32 s2, s0, exec_lo
; %bb.72:
	s_or_b32 exec_lo, exec_lo, s6
	v_cndmask_b32_e64 v49, 0, 1, vcc_lo
	v_cndmask_b32_e64 v47, 0, 1, s2
.LBB1060_73:
	s_or_b32 exec_lo, exec_lo, s1
	v_dual_mov_b32 v48, 0 :: v_dual_add_nc_u32 v1, 10, v28
	v_mov_b32_e32 v50, 0
	s_mov_b32 s2, 0
	s_mov_b32 s1, exec_lo
	s_delay_alu instid0(VALU_DEP_2)
	v_cmpx_gt_u32_e64 s3, v1
	s_cbranch_execz .LBB1060_77
; %bb.74:
	v_add_nc_u32_e32 v1, s17, v6
	v_add_nc_u32_e32 v2, s19, v6
	s_mov_b32 s6, exec_lo
	s_delay_alu instid0(VALU_DEP_2) | instskip(NEXT) | instid1(VALU_DEP_2)
	v_mul_lo_u32 v1, v1, s16
	v_mul_lo_u32 v2, v2, s18
	s_delay_alu instid0(VALU_DEP_1) | instskip(NEXT) | instid1(VALU_DEP_1)
	v_sub_nc_u32_e32 v1, v1, v2
	v_cmp_lt_u32_e32 vcc_lo, s20, v1
	v_cmpx_ge_u32_e64 s20, v1
; %bb.75:
	v_add_nc_u32_e32 v1, s22, v6
	v_add_nc_u32_e32 v2, s40, v6
	s_delay_alu instid0(VALU_DEP_2) | instskip(NEXT) | instid1(VALU_DEP_2)
	v_mul_lo_u32 v1, v1, s21
	v_mul_lo_u32 v2, v2, s23
	s_delay_alu instid0(VALU_DEP_1) | instskip(NEXT) | instid1(VALU_DEP_1)
	v_sub_nc_u32_e32 v1, v1, v2
	v_cmp_lt_u32_e64 s0, s41, v1
	s_delay_alu instid0(VALU_DEP_1)
	s_and_b32 s2, s0, exec_lo
; %bb.76:
	s_or_b32 exec_lo, exec_lo, s6
	v_cndmask_b32_e64 v50, 0, 1, vcc_lo
	v_cndmask_b32_e64 v48, 0, 1, s2
.LBB1060_77:
	s_or_b32 exec_lo, exec_lo, s1
	v_dual_mov_b32 v52, 0 :: v_dual_add_nc_u32 v1, 11, v28
	v_mov_b32_e32 v51, 0
	s_mov_b32 s2, 0
	s_mov_b32 s1, exec_lo
	s_delay_alu instid0(VALU_DEP_2)
	v_cmpx_gt_u32_e64 s3, v1
	s_cbranch_execz .LBB1060_81
; %bb.78:
	v_add_nc_u32_e32 v1, s17, v7
	v_add_nc_u32_e32 v2, s19, v7
	s_mov_b32 s6, exec_lo
	s_delay_alu instid0(VALU_DEP_2) | instskip(NEXT) | instid1(VALU_DEP_2)
	v_mul_lo_u32 v1, v1, s16
	v_mul_lo_u32 v2, v2, s18
	s_delay_alu instid0(VALU_DEP_1) | instskip(NEXT) | instid1(VALU_DEP_1)
	v_sub_nc_u32_e32 v1, v1, v2
	v_cmp_lt_u32_e32 vcc_lo, s20, v1
	v_cmpx_ge_u32_e64 s20, v1
; %bb.79:
	v_add_nc_u32_e32 v1, s22, v7
	v_add_nc_u32_e32 v2, s40, v7
	s_delay_alu instid0(VALU_DEP_2) | instskip(NEXT) | instid1(VALU_DEP_2)
	v_mul_lo_u32 v1, v1, s21
	v_mul_lo_u32 v2, v2, s23
	s_delay_alu instid0(VALU_DEP_1) | instskip(NEXT) | instid1(VALU_DEP_1)
	v_sub_nc_u32_e32 v1, v1, v2
	v_cmp_lt_u32_e64 s0, s41, v1
	s_delay_alu instid0(VALU_DEP_1)
	s_and_b32 s2, s0, exec_lo
; %bb.80:
	s_or_b32 exec_lo, exec_lo, s6
	v_cndmask_b32_e64 v51, 0, 1, vcc_lo
	v_cndmask_b32_e64 v52, 0, 1, s2
.LBB1060_81:
	s_or_b32 exec_lo, exec_lo, s1
	v_add_nc_u32_e32 v1, 12, v28
	s_mov_b32 s42, 0
	s_mov_b32 s43, 0
	s_mov_b32 s0, exec_lo
	s_delay_alu instid0(VALU_DEP_1)
	v_cmpx_gt_u32_e64 s3, v1
	s_cbranch_execz .LBB1060_85
; %bb.82:
	v_add_nc_u32_e32 v1, s17, v27
	v_add_nc_u32_e32 v2, s19, v27
	s_mov_b32 s2, -1
	s_mov_b32 s6, 0
	s_mov_b32 s1, exec_lo
	v_mul_lo_u32 v1, v1, s16
	v_mul_lo_u32 v2, v2, s18
	s_delay_alu instid0(VALU_DEP_1) | instskip(NEXT) | instid1(VALU_DEP_1)
	v_sub_nc_u32_e32 v1, v1, v2
	v_cmpx_ge_u32_e64 s20, v1
; %bb.83:
	v_add_nc_u32_e32 v1, s22, v27
	v_add_nc_u32_e32 v2, s40, v27
	s_xor_b32 s2, exec_lo, -1
	s_delay_alu instid0(VALU_DEP_2) | instskip(NEXT) | instid1(VALU_DEP_2)
	v_mul_lo_u32 v1, v1, s21
	v_mul_lo_u32 v2, v2, s23
	s_delay_alu instid0(VALU_DEP_1) | instskip(NEXT) | instid1(VALU_DEP_1)
	v_sub_nc_u32_e32 v1, v1, v2
	v_cmp_lt_u32_e32 vcc_lo, s41, v1
	s_and_b32 s6, vcc_lo, exec_lo
; %bb.84:
	s_or_b32 exec_lo, exec_lo, s1
	s_delay_alu instid0(SALU_CYCLE_1)
	s_and_b32 s43, s6, exec_lo
	s_and_b32 s42, s2, exec_lo
.LBB1060_85:
	s_or_b32 exec_lo, exec_lo, s0
.LBB1060_86:
	v_and_b32_e32 v75, 0xff, v29
	v_and_b32_e32 v76, 0xff, v30
	;; [unrolled: 1-line block ×10, first 2 shown]
	v_add3_u32 v1, v71, v73, v75
	v_add3_u32 v2, v72, v74, v76
	v_and_b32_e32 v65, 0xff, v41
	v_and_b32_e32 v66, 0xff, v39
	v_and_b32_e32 v61, 0xff, v42
	v_and_b32_e32 v62, 0xff, v40
	v_add3_u32 v1, v1, v69, v67
	v_add3_u32 v2, v2, v70, v68
	v_and_b32_e32 v63, 0xff, v44
	v_and_b32_e32 v64, 0xff, v43
	v_and_b32_e32 v59, 0xff, v46
	v_and_b32_e32 v60, 0xff, v45
	;; [unrolled: 6-line block ×3, first 2 shown]
	v_add3_u32 v1, v1, v63, v59
	v_add3_u32 v2, v2, v64, v60
	v_mbcnt_lo_u32_b32 v77, -1, 0
	v_and_b32_e32 v53, 0xff, v51
	v_and_b32_e32 v54, 0xff, v52
	v_cndmask_b32_e64 v3, 0, 1, s43
	v_add3_u32 v1, v1, v57, v55
	v_cndmask_b32_e64 v4, 0, 1, s42
	v_add3_u32 v2, v2, v58, v56
	v_and_b32_e32 v81, 15, v77
	v_and_b32_e32 v80, 16, v77
	v_lshrrev_b32_e32 v78, 5, v0
	v_add3_u32 v82, v1, v53, v4
	v_add3_u32 v83, v2, v54, v3
	v_cmp_eq_u32_e64 s1, 0, v81
	v_cmp_lt_u32_e64 s0, 1, v81
	v_cmp_lt_u32_e64 s2, 3, v81
	v_cmp_lt_u32_e32 vcc_lo, 7, v81
	v_or_b32_e32 v79, 31, v0
	s_cmp_lg_u32 s15, 0
	s_mov_b32 s6, -1
	s_cbranch_scc0 .LBB1060_114
; %bb.87:
	v_mov_b32_dpp v1, v83 row_shr:1 row_mask:0xf bank_mask:0xf
	v_mov_b32_dpp v2, v82 row_shr:1 row_mask:0xf bank_mask:0xf
	s_delay_alu instid0(VALU_DEP_2) | instskip(NEXT) | instid1(VALU_DEP_1)
	v_add_nc_u32_e32 v1, v1, v83
	v_cndmask_b32_e64 v1, v1, v83, s1
	s_delay_alu instid0(VALU_DEP_1) | instskip(NEXT) | instid1(VALU_DEP_1)
	v_mov_b32_dpp v3, v1 row_shr:2 row_mask:0xf bank_mask:0xf
	v_add_nc_u32_e32 v3, v1, v3
	s_delay_alu instid0(VALU_DEP_1) | instskip(NEXT) | instid1(VALU_DEP_1)
	v_cndmask_b32_e64 v1, v1, v3, s0
	v_mov_b32_dpp v3, v1 row_shr:4 row_mask:0xf bank_mask:0xf
	s_delay_alu instid0(VALU_DEP_1) | instskip(NEXT) | instid1(VALU_DEP_1)
	v_add_nc_u32_e32 v3, v1, v3
	v_cndmask_b32_e64 v1, v1, v3, s2
	s_delay_alu instid0(VALU_DEP_1) | instskip(NEXT) | instid1(VALU_DEP_1)
	v_mov_b32_dpp v3, v1 row_shr:8 row_mask:0xf bank_mask:0xf
	v_add_nc_u32_e32 v3, v1, v3
	s_delay_alu instid0(VALU_DEP_1) | instskip(NEXT) | instid1(VALU_DEP_1)
	v_dual_cndmask_b32 v1, v1, v3 :: v_dual_add_nc_u32 v2, v2, v82
	v_cndmask_b32_e64 v2, v2, v82, s1
	s_delay_alu instid0(VALU_DEP_1) | instskip(NEXT) | instid1(VALU_DEP_1)
	v_mov_b32_dpp v4, v2 row_shr:2 row_mask:0xf bank_mask:0xf
	v_add_nc_u32_e32 v4, v2, v4
	s_delay_alu instid0(VALU_DEP_1) | instskip(NEXT) | instid1(VALU_DEP_1)
	v_cndmask_b32_e64 v2, v2, v4, s0
	v_mov_b32_dpp v4, v2 row_shr:4 row_mask:0xf bank_mask:0xf
	s_delay_alu instid0(VALU_DEP_1) | instskip(NEXT) | instid1(VALU_DEP_1)
	v_add_nc_u32_e32 v4, v2, v4
	v_cndmask_b32_e64 v2, v2, v4, s2
	s_mov_b32 s2, exec_lo
	s_delay_alu instid0(VALU_DEP_1) | instskip(NEXT) | instid1(VALU_DEP_1)
	v_mov_b32_dpp v4, v2 row_shr:8 row_mask:0xf bank_mask:0xf
	v_add_nc_u32_e32 v4, v2, v4
	s_delay_alu instid0(VALU_DEP_1)
	v_cndmask_b32_e32 v3, v2, v4, vcc_lo
	ds_swizzle_b32 v2, v1 offset:swizzle(BROADCAST,32,15)
	v_cmp_eq_u32_e32 vcc_lo, 0, v80
	s_waitcnt lgkmcnt(0)
	v_add_nc_u32_e32 v2, v1, v2
	ds_swizzle_b32 v4, v3 offset:swizzle(BROADCAST,32,15)
	v_cndmask_b32_e32 v2, v2, v1, vcc_lo
	s_waitcnt lgkmcnt(0)
	v_add_nc_u32_e32 v4, v3, v4
	s_delay_alu instid0(VALU_DEP_1)
	v_cndmask_b32_e32 v1, v4, v3, vcc_lo
	v_cmpx_eq_u32_e64 v79, v0
	s_cbranch_execz .LBB1060_89
; %bb.88:
	v_lshlrev_b32_e32 v3, 3, v78
	ds_store_b64 v3, v[1:2]
.LBB1060_89:
	s_or_b32 exec_lo, exec_lo, s2
	s_delay_alu instid0(SALU_CYCLE_1)
	s_mov_b32 s2, exec_lo
	s_waitcnt lgkmcnt(0)
	s_barrier
	buffer_gl0_inv
	v_cmpx_gt_u32_e32 8, v0
	s_cbranch_execz .LBB1060_91
; %bb.90:
	v_lshlrev_b32_e32 v5, 3, v0
	ds_load_b64 v[3:4], v5
	s_waitcnt lgkmcnt(0)
	v_mov_b32_dpp v18, v3 row_shr:1 row_mask:0xf bank_mask:0xf
	v_mov_b32_dpp v19, v4 row_shr:1 row_mask:0xf bank_mask:0xf
	s_delay_alu instid0(VALU_DEP_2) | instskip(SKIP_1) | instid1(VALU_DEP_3)
	v_add_nc_u32_e32 v18, v18, v3
	v_and_b32_e32 v20, 7, v77
	v_add_nc_u32_e32 v19, v19, v4
	s_delay_alu instid0(VALU_DEP_2) | instskip(NEXT) | instid1(VALU_DEP_2)
	v_cmp_eq_u32_e32 vcc_lo, 0, v20
	v_dual_cndmask_b32 v4, v19, v4 :: v_dual_cndmask_b32 v3, v18, v3
	v_cmp_lt_u32_e32 vcc_lo, 1, v20
	s_delay_alu instid0(VALU_DEP_2) | instskip(NEXT) | instid1(VALU_DEP_3)
	v_mov_b32_dpp v19, v4 row_shr:2 row_mask:0xf bank_mask:0xf
	v_mov_b32_dpp v18, v3 row_shr:2 row_mask:0xf bank_mask:0xf
	s_delay_alu instid0(VALU_DEP_2) | instskip(NEXT) | instid1(VALU_DEP_2)
	v_add_nc_u32_e32 v19, v4, v19
	v_add_nc_u32_e32 v18, v3, v18
	s_delay_alu instid0(VALU_DEP_1) | instskip(SKIP_1) | instid1(VALU_DEP_2)
	v_dual_cndmask_b32 v4, v4, v19 :: v_dual_cndmask_b32 v3, v3, v18
	v_cmp_lt_u32_e32 vcc_lo, 3, v20
	v_mov_b32_dpp v19, v4 row_shr:4 row_mask:0xf bank_mask:0xf
	s_delay_alu instid0(VALU_DEP_3) | instskip(NEXT) | instid1(VALU_DEP_1)
	v_mov_b32_dpp v18, v3 row_shr:4 row_mask:0xf bank_mask:0xf
	v_dual_cndmask_b32 v19, 0, v19 :: v_dual_cndmask_b32 v18, 0, v18
	s_delay_alu instid0(VALU_DEP_1) | instskip(NEXT) | instid1(VALU_DEP_2)
	v_add_nc_u32_e32 v4, v19, v4
	v_add_nc_u32_e32 v3, v18, v3
	ds_store_b64 v5, v[3:4]
.LBB1060_91:
	s_or_b32 exec_lo, exec_lo, s2
	v_cmp_gt_u32_e32 vcc_lo, 32, v0
	v_cmp_lt_u32_e64 s2, 31, v0
	s_waitcnt lgkmcnt(0)
	s_barrier
	buffer_gl0_inv
                                        ; implicit-def: $vgpr19
	s_and_saveexec_b32 s6, s2
	s_delay_alu instid0(SALU_CYCLE_1)
	s_xor_b32 s2, exec_lo, s6
	s_cbranch_execz .LBB1060_93
; %bb.92:
	v_lshl_add_u32 v3, v78, 3, -8
	ds_load_b64 v[18:19], v3
	s_waitcnt lgkmcnt(0)
	v_add_nc_u32_e32 v2, v19, v2
	v_add_nc_u32_e32 v1, v18, v1
.LBB1060_93:
	s_and_not1_saveexec_b32 s2, s2
; %bb.94:
                                        ; implicit-def: $vgpr18
; %bb.95:
	s_delay_alu instid0(SALU_CYCLE_1) | instskip(SKIP_1) | instid1(VALU_DEP_1)
	s_or_b32 exec_lo, exec_lo, s2
	v_add_nc_u32_e32 v3, -1, v77
	v_cmp_gt_i32_e64 s2, 0, v3
	s_delay_alu instid0(VALU_DEP_1) | instskip(SKIP_1) | instid1(VALU_DEP_2)
	v_cndmask_b32_e64 v3, v3, v77, s2
	v_cmp_eq_u32_e64 s2, 0, v77
	v_lshlrev_b32_e32 v3, 2, v3
	ds_bpermute_b32 v84, v3, v1
	ds_bpermute_b32 v85, v3, v2
	s_and_saveexec_b32 s6, vcc_lo
	s_cbranch_execz .LBB1060_113
; %bb.96:
	v_mov_b32_e32 v4, 0
	ds_load_b64 v[1:2], v4 offset:56
	s_waitcnt lgkmcnt(0)
	v_readfirstlane_b32 s7, v2
	s_and_saveexec_b32 s8, s2
	s_cbranch_execz .LBB1060_98
; %bb.97:
	s_add_i32 s10, s15, 32
	s_mov_b32 s11, 0
	v_mov_b32_e32 v3, 1
	s_lshl_b64 s[12:13], s[10:11], 4
	s_mov_b32 s16, s11
	s_add_u32 s12, s4, s12
	s_addc_u32 s13, s5, s13
	s_and_b32 s17, s7, 0xff000000
	s_and_b32 s19, s7, 0xff0000
	s_mov_b32 s18, s11
	v_dual_mov_b32 v21, s13 :: v_dual_mov_b32 v20, s12
	s_or_b64 s[16:17], s[18:19], s[16:17]
	s_and_b32 s19, s7, 0xff00
	s_delay_alu instid0(SALU_CYCLE_1) | instskip(SKIP_1) | instid1(SALU_CYCLE_1)
	s_or_b64 s[16:17], s[16:17], s[18:19]
	s_and_b32 s19, s7, 0xff
	s_or_b64 s[10:11], s[16:17], s[18:19]
	s_delay_alu instid0(SALU_CYCLE_1)
	v_mov_b32_e32 v2, s11
	;;#ASMSTART
	global_store_dwordx4 v[20:21], v[1:4] off	
s_waitcnt vmcnt(0)
	;;#ASMEND
.LBB1060_98:
	s_or_b32 exec_lo, exec_lo, s8
	v_xad_u32 v20, v77, -1, s15
	s_mov_b32 s9, 0
	s_mov_b32 s8, exec_lo
	s_delay_alu instid0(VALU_DEP_1) | instskip(NEXT) | instid1(VALU_DEP_1)
	v_add_nc_u32_e32 v3, 32, v20
	v_lshlrev_b64 v[2:3], 4, v[3:4]
	s_delay_alu instid0(VALU_DEP_1) | instskip(NEXT) | instid1(VALU_DEP_2)
	v_add_co_u32 v21, vcc_lo, s4, v2
	v_add_co_ci_u32_e32 v22, vcc_lo, s5, v3, vcc_lo
	;;#ASMSTART
	global_load_dwordx4 v[2:5], v[21:22] off glc	
s_waitcnt vmcnt(0)
	;;#ASMEND
	v_and_b32_e32 v5, 0xff, v3
	v_and_b32_e32 v23, 0xff00, v3
	v_or3_b32 v2, v2, 0, 0
	v_and_b32_e32 v24, 0xff000000, v3
	v_and_b32_e32 v3, 0xff0000, v3
	s_delay_alu instid0(VALU_DEP_4) | instskip(SKIP_2) | instid1(VALU_DEP_3)
	v_or3_b32 v5, 0, v5, v23
	v_and_b32_e32 v23, 0xff, v4
	v_or3_b32 v2, v2, 0, 0
	v_or3_b32 v3, v5, v3, v24
	s_delay_alu instid0(VALU_DEP_3)
	v_cmpx_eq_u16_e32 0, v23
	s_cbranch_execz .LBB1060_101
.LBB1060_99:                            ; =>This Inner Loop Header: Depth=1
	;;#ASMSTART
	global_load_dwordx4 v[2:5], v[21:22] off glc	
s_waitcnt vmcnt(0)
	;;#ASMEND
	v_and_b32_e32 v5, 0xff, v4
	s_delay_alu instid0(VALU_DEP_1) | instskip(SKIP_1) | instid1(SALU_CYCLE_1)
	v_cmp_ne_u16_e32 vcc_lo, 0, v5
	s_or_b32 s9, vcc_lo, s9
	s_and_not1_b32 exec_lo, exec_lo, s9
	s_cbranch_execnz .LBB1060_99
; %bb.100:
	s_or_b32 exec_lo, exec_lo, s9
.LBB1060_101:
	s_delay_alu instid0(SALU_CYCLE_1)
	s_or_b32 exec_lo, exec_lo, s8
	v_cmp_ne_u32_e32 vcc_lo, 31, v77
	v_lshlrev_b32_e64 v87, v77, -1
	v_add_nc_u32_e32 v91, 4, v77
	v_add_nc_u32_e32 v93, 8, v77
	;; [unrolled: 1-line block ×3, first 2 shown]
	v_add_co_ci_u32_e32 v5, vcc_lo, 0, v77, vcc_lo
	s_delay_alu instid0(VALU_DEP_1)
	v_lshlrev_b32_e32 v86, 2, v5
	ds_bpermute_b32 v21, v86, v3
	ds_bpermute_b32 v5, v86, v2
	s_waitcnt lgkmcnt(1)
	v_add_nc_u32_e32 v21, v21, v3
	v_and_b32_e32 v22, 0xff, v4
	s_waitcnt lgkmcnt(0)
	v_add_nc_u32_e32 v5, v5, v2
	s_delay_alu instid0(VALU_DEP_2) | instskip(SKIP_2) | instid1(VALU_DEP_2)
	v_cmp_eq_u16_e32 vcc_lo, 2, v22
	v_and_or_b32 v22, vcc_lo, v87, 0x80000000
	v_cmp_gt_u32_e32 vcc_lo, 30, v77
	v_ctz_i32_b32_e32 v22, v22
	v_cndmask_b32_e64 v23, 0, 1, vcc_lo
	s_delay_alu instid0(VALU_DEP_2) | instskip(NEXT) | instid1(VALU_DEP_2)
	v_cmp_lt_u32_e32 vcc_lo, v77, v22
	v_dual_cndmask_b32 v2, v2, v5 :: v_dual_lshlrev_b32 v23, 1, v23
	s_delay_alu instid0(VALU_DEP_1)
	v_add_lshl_u32 v88, v23, v77, 2
	v_cndmask_b32_e32 v3, v3, v21, vcc_lo
	v_cmp_gt_u32_e32 vcc_lo, 28, v77
	ds_bpermute_b32 v5, v88, v2
	ds_bpermute_b32 v21, v88, v3
	v_cndmask_b32_e64 v23, 0, 1, vcc_lo
	s_waitcnt lgkmcnt(1)
	v_add_nc_u32_e32 v5, v2, v5
	v_add_nc_u32_e32 v89, 2, v77
	s_waitcnt lgkmcnt(0)
	v_add_nc_u32_e32 v21, v3, v21
	s_delay_alu instid0(VALU_DEP_2) | instskip(SKIP_1) | instid1(VALU_DEP_3)
	v_cmp_gt_u32_e32 vcc_lo, v89, v22
	v_dual_cndmask_b32 v2, v5, v2 :: v_dual_lshlrev_b32 v23, 2, v23
	v_cndmask_b32_e32 v3, v21, v3, vcc_lo
	v_cmp_gt_u32_e32 vcc_lo, 24, v77
	s_delay_alu instid0(VALU_DEP_3)
	v_add_lshl_u32 v90, v23, v77, 2
	v_cndmask_b32_e64 v23, 0, 1, vcc_lo
	v_cmp_gt_u32_e32 vcc_lo, v91, v22
	ds_bpermute_b32 v5, v90, v2
	ds_bpermute_b32 v21, v90, v3
	v_lshlrev_b32_e32 v23, 3, v23
	s_delay_alu instid0(VALU_DEP_1) | instskip(SKIP_3) | instid1(VALU_DEP_1)
	v_add_lshl_u32 v92, v23, v77, 2
	s_waitcnt lgkmcnt(1)
	v_add_nc_u32_e32 v5, v2, v5
	s_waitcnt lgkmcnt(0)
	v_dual_cndmask_b32 v2, v5, v2 :: v_dual_add_nc_u32 v21, v3, v21
	s_delay_alu instid0(VALU_DEP_1)
	v_cndmask_b32_e32 v3, v21, v3, vcc_lo
	v_cmp_gt_u32_e32 vcc_lo, 16, v77
	ds_bpermute_b32 v5, v92, v2
	ds_bpermute_b32 v21, v92, v3
	v_cndmask_b32_e64 v23, 0, 1, vcc_lo
	v_cmp_gt_u32_e32 vcc_lo, v93, v22
	s_delay_alu instid0(VALU_DEP_2) | instskip(NEXT) | instid1(VALU_DEP_1)
	v_lshlrev_b32_e32 v23, 4, v23
	v_add_lshl_u32 v94, v23, v77, 2
	s_waitcnt lgkmcnt(1)
	v_add_nc_u32_e32 v5, v2, v5
	s_waitcnt lgkmcnt(0)
	s_delay_alu instid0(VALU_DEP_1) | instskip(NEXT) | instid1(VALU_DEP_1)
	v_dual_cndmask_b32 v2, v5, v2 :: v_dual_add_nc_u32 v21, v3, v21
	v_cndmask_b32_e32 v3, v21, v3, vcc_lo
	v_cmp_le_u32_e32 vcc_lo, v95, v22
	ds_bpermute_b32 v5, v94, v2
	ds_bpermute_b32 v21, v94, v3
	s_waitcnt lgkmcnt(1)
	v_cndmask_b32_e32 v5, 0, v5, vcc_lo
	s_waitcnt lgkmcnt(0)
	s_delay_alu instid0(VALU_DEP_1) | instskip(NEXT) | instid1(VALU_DEP_1)
	v_dual_cndmask_b32 v21, 0, v21 :: v_dual_add_nc_u32 v2, v5, v2
	v_add_nc_u32_e32 v3, v21, v3
	v_mov_b32_e32 v21, 0
	s_branch .LBB1060_103
.LBB1060_102:                           ;   in Loop: Header=BB1060_103 Depth=1
	s_or_b32 exec_lo, exec_lo, s8
	ds_bpermute_b32 v5, v86, v2
	ds_bpermute_b32 v24, v86, v3
	v_subrev_nc_u32_e32 v20, 32, v20
	s_waitcnt lgkmcnt(1)
	v_add_nc_u32_e32 v5, v5, v2
	v_and_b32_e32 v25, 0xff, v4
	s_waitcnt lgkmcnt(0)
	v_add_nc_u32_e32 v24, v24, v3
	s_delay_alu instid0(VALU_DEP_2) | instskip(SKIP_1) | instid1(VALU_DEP_1)
	v_cmp_eq_u16_e32 vcc_lo, 2, v25
	v_and_or_b32 v25, vcc_lo, v87, 0x80000000
	v_ctz_i32_b32_e32 v25, v25
	s_delay_alu instid0(VALU_DEP_1)
	v_cmp_lt_u32_e32 vcc_lo, v77, v25
	v_cndmask_b32_e32 v2, v2, v5, vcc_lo
	ds_bpermute_b32 v5, v88, v2
	s_waitcnt lgkmcnt(0)
	v_add_nc_u32_e32 v5, v2, v5
	v_cndmask_b32_e32 v3, v3, v24, vcc_lo
	v_cmp_gt_u32_e32 vcc_lo, v89, v25
	s_delay_alu instid0(VALU_DEP_3)
	v_cndmask_b32_e32 v2, v5, v2, vcc_lo
	ds_bpermute_b32 v24, v88, v3
	ds_bpermute_b32 v5, v90, v2
	s_waitcnt lgkmcnt(1)
	v_add_nc_u32_e32 v24, v3, v24
	s_waitcnt lgkmcnt(0)
	v_add_nc_u32_e32 v5, v2, v5
	s_delay_alu instid0(VALU_DEP_2) | instskip(SKIP_1) | instid1(VALU_DEP_3)
	v_cndmask_b32_e32 v3, v24, v3, vcc_lo
	v_cmp_gt_u32_e32 vcc_lo, v91, v25
	v_cndmask_b32_e32 v2, v5, v2, vcc_lo
	ds_bpermute_b32 v24, v90, v3
	ds_bpermute_b32 v5, v92, v2
	s_waitcnt lgkmcnt(1)
	v_add_nc_u32_e32 v24, v3, v24
	s_waitcnt lgkmcnt(0)
	v_add_nc_u32_e32 v5, v2, v5
	s_delay_alu instid0(VALU_DEP_2) | instskip(SKIP_1) | instid1(VALU_DEP_3)
	v_cndmask_b32_e32 v3, v24, v3, vcc_lo
	v_cmp_gt_u32_e32 vcc_lo, v93, v25
	v_cndmask_b32_e32 v2, v5, v2, vcc_lo
	ds_bpermute_b32 v24, v92, v3
	ds_bpermute_b32 v5, v94, v2
	s_waitcnt lgkmcnt(1)
	v_add_nc_u32_e32 v24, v3, v24
	s_delay_alu instid0(VALU_DEP_1) | instskip(SKIP_4) | instid1(VALU_DEP_1)
	v_cndmask_b32_e32 v3, v24, v3, vcc_lo
	v_cmp_le_u32_e32 vcc_lo, v95, v25
	ds_bpermute_b32 v24, v94, v3
	s_waitcnt lgkmcnt(1)
	v_cndmask_b32_e32 v5, 0, v5, vcc_lo
	v_add3_u32 v2, v2, v22, v5
	s_waitcnt lgkmcnt(0)
	v_cndmask_b32_e32 v24, 0, v24, vcc_lo
	s_delay_alu instid0(VALU_DEP_1)
	v_add3_u32 v3, v3, v23, v24
.LBB1060_103:                           ; =>This Loop Header: Depth=1
                                        ;     Child Loop BB1060_106 Depth 2
	s_delay_alu instid0(VALU_DEP_1) | instskip(SKIP_1) | instid1(VALU_DEP_2)
	v_dual_mov_b32 v23, v3 :: v_dual_and_b32 v4, 0xff, v4
	v_mov_b32_e32 v22, v2
	v_cmp_ne_u16_e32 vcc_lo, 2, v4
	v_cndmask_b32_e64 v4, 0, 1, vcc_lo
	;;#ASMSTART
	;;#ASMEND
	s_delay_alu instid0(VALU_DEP_1)
	v_cmp_ne_u32_e32 vcc_lo, 0, v4
	s_cmp_lg_u32 vcc_lo, exec_lo
	s_cbranch_scc1 .LBB1060_108
; %bb.104:                              ;   in Loop: Header=BB1060_103 Depth=1
	v_lshlrev_b64 v[2:3], 4, v[20:21]
	s_mov_b32 s8, exec_lo
	s_delay_alu instid0(VALU_DEP_1) | instskip(NEXT) | instid1(VALU_DEP_2)
	v_add_co_u32 v24, vcc_lo, s4, v2
	v_add_co_ci_u32_e32 v25, vcc_lo, s5, v3, vcc_lo
	;;#ASMSTART
	global_load_dwordx4 v[2:5], v[24:25] off glc	
s_waitcnt vmcnt(0)
	;;#ASMEND
	v_and_b32_e32 v5, 0xff, v3
	v_and_b32_e32 v96, 0xff00, v3
	v_or3_b32 v2, v2, 0, 0
	v_and_b32_e32 v97, 0xff000000, v3
	v_and_b32_e32 v3, 0xff0000, v3
	s_delay_alu instid0(VALU_DEP_4) | instskip(SKIP_2) | instid1(VALU_DEP_3)
	v_or3_b32 v5, 0, v5, v96
	v_and_b32_e32 v96, 0xff, v4
	v_or3_b32 v2, v2, 0, 0
	v_or3_b32 v3, v5, v3, v97
	s_delay_alu instid0(VALU_DEP_3)
	v_cmpx_eq_u16_e32 0, v96
	s_cbranch_execz .LBB1060_102
; %bb.105:                              ;   in Loop: Header=BB1060_103 Depth=1
	s_mov_b32 s9, 0
.LBB1060_106:                           ;   Parent Loop BB1060_103 Depth=1
                                        ; =>  This Inner Loop Header: Depth=2
	;;#ASMSTART
	global_load_dwordx4 v[2:5], v[24:25] off glc	
s_waitcnt vmcnt(0)
	;;#ASMEND
	v_and_b32_e32 v5, 0xff, v4
	s_delay_alu instid0(VALU_DEP_1) | instskip(SKIP_1) | instid1(SALU_CYCLE_1)
	v_cmp_ne_u16_e32 vcc_lo, 0, v5
	s_or_b32 s9, vcc_lo, s9
	s_and_not1_b32 exec_lo, exec_lo, s9
	s_cbranch_execnz .LBB1060_106
; %bb.107:                              ;   in Loop: Header=BB1060_103 Depth=1
	s_or_b32 exec_lo, exec_lo, s9
	s_branch .LBB1060_102
.LBB1060_108:                           ;   in Loop: Header=BB1060_103 Depth=1
                                        ; implicit-def: $vgpr4
                                        ; implicit-def: $vgpr2_vgpr3
	s_cbranch_execz .LBB1060_103
; %bb.109:
	s_and_saveexec_b32 s8, s2
	s_cbranch_execnz .LBB1060_352
; %bb.110:
	s_or_b32 exec_lo, exec_lo, s8
	s_and_saveexec_b32 s8, s2
	s_cbranch_execnz .LBB1060_353
.LBB1060_111:
	s_or_b32 exec_lo, exec_lo, s8
	v_cmp_eq_u32_e32 vcc_lo, 0, v0
	s_and_b32 exec_lo, exec_lo, vcc_lo
	s_cbranch_execz .LBB1060_113
.LBB1060_112:
	v_mov_b32_e32 v1, 0
	ds_store_b64 v1, v[22:23] offset:56
.LBB1060_113:
	s_or_b32 exec_lo, exec_lo, s6
	v_cmp_eq_u32_e32 vcc_lo, 0, v0
	v_mov_b32_e32 v1, 0
	s_waitcnt lgkmcnt(0)
	s_barrier
	buffer_gl0_inv
	v_add_nc_u32_e64 v3, 0x3400, 0
	ds_load_b64 v[20:21], v1 offset:56
	s_waitcnt lgkmcnt(0)
	s_barrier
	buffer_gl0_inv
	ds_load_2addr_b32 v[1:2], v3 offset1:2
	ds_load_2addr_b32 v[3:4], v3 offset0:4 offset1:6
	v_cndmask_b32_e64 v5, v84, v18, s2
	v_cndmask_b32_e64 v18, v85, v19, s2
	s_delay_alu instid0(VALU_DEP_2) | instskip(NEXT) | instid1(VALU_DEP_1)
	v_add_nc_u32_e32 v19, v20, v5
	v_dual_cndmask_b32 v20, v19, v20 :: v_dual_add_nc_u32 v5, v21, v18
	s_delay_alu instid0(VALU_DEP_1)
	v_cndmask_b32_e32 v5, v5, v21, vcc_lo
	s_branch .LBB1060_124
.LBB1060_114:
                                        ; implicit-def: $vgpr5
                                        ; implicit-def: $vgpr3
                                        ; implicit-def: $vgpr1
                                        ; implicit-def: $vgpr20_vgpr21
	s_and_b32 vcc_lo, exec_lo, s6
	s_cbranch_vccz .LBB1060_124
; %bb.115:
	s_waitcnt lgkmcnt(0)
	v_mov_b32_dpp v2, v83 row_shr:1 row_mask:0xf bank_mask:0xf
	v_cmp_lt_u32_e32 vcc_lo, 3, v81
	v_mov_b32_dpp v1, v82 row_shr:1 row_mask:0xf bank_mask:0xf
	s_delay_alu instid0(VALU_DEP_3) | instskip(NEXT) | instid1(VALU_DEP_1)
	v_add_nc_u32_e32 v2, v2, v83
	v_cndmask_b32_e64 v2, v2, v83, s1
	s_delay_alu instid0(VALU_DEP_1) | instskip(NEXT) | instid1(VALU_DEP_1)
	v_mov_b32_dpp v4, v2 row_shr:2 row_mask:0xf bank_mask:0xf
	v_add_nc_u32_e32 v4, v2, v4
	s_delay_alu instid0(VALU_DEP_1) | instskip(NEXT) | instid1(VALU_DEP_1)
	v_cndmask_b32_e64 v2, v2, v4, s0
	v_mov_b32_dpp v4, v2 row_shr:4 row_mask:0xf bank_mask:0xf
	s_delay_alu instid0(VALU_DEP_1) | instskip(NEXT) | instid1(VALU_DEP_1)
	v_add_nc_u32_e32 v4, v2, v4
	v_dual_cndmask_b32 v2, v2, v4 :: v_dual_add_nc_u32 v1, v1, v82
	s_delay_alu instid0(VALU_DEP_1) | instskip(NEXT) | instid1(VALU_DEP_2)
	v_cndmask_b32_e64 v1, v1, v82, s1
	v_mov_b32_dpp v4, v2 row_shr:8 row_mask:0xf bank_mask:0xf
	s_delay_alu instid0(VALU_DEP_2) | instskip(NEXT) | instid1(VALU_DEP_2)
	v_mov_b32_dpp v3, v1 row_shr:2 row_mask:0xf bank_mask:0xf
	v_add_nc_u32_e32 v4, v2, v4
	s_delay_alu instid0(VALU_DEP_2) | instskip(NEXT) | instid1(VALU_DEP_1)
	v_add_nc_u32_e32 v3, v1, v3
	v_cndmask_b32_e64 v1, v1, v3, s0
	s_mov_b32 s0, exec_lo
	s_delay_alu instid0(VALU_DEP_1) | instskip(NEXT) | instid1(VALU_DEP_1)
	v_mov_b32_dpp v3, v1 row_shr:4 row_mask:0xf bank_mask:0xf
	v_add_nc_u32_e32 v3, v1, v3
	s_delay_alu instid0(VALU_DEP_1) | instskip(SKIP_1) | instid1(VALU_DEP_2)
	v_cndmask_b32_e32 v1, v1, v3, vcc_lo
	v_cmp_lt_u32_e32 vcc_lo, 7, v81
	v_mov_b32_dpp v3, v1 row_shr:8 row_mask:0xf bank_mask:0xf
	s_delay_alu instid0(VALU_DEP_1) | instskip(NEXT) | instid1(VALU_DEP_1)
	v_dual_cndmask_b32 v2, v2, v4 :: v_dual_add_nc_u32 v3, v1, v3
	v_cndmask_b32_e32 v1, v1, v3, vcc_lo
	ds_swizzle_b32 v3, v2 offset:swizzle(BROADCAST,32,15)
	v_cmp_eq_u32_e32 vcc_lo, 0, v80
	ds_swizzle_b32 v4, v1 offset:swizzle(BROADCAST,32,15)
	s_waitcnt lgkmcnt(1)
	v_add_nc_u32_e32 v3, v2, v3
	s_waitcnt lgkmcnt(0)
	v_add_nc_u32_e32 v4, v1, v4
	s_delay_alu instid0(VALU_DEP_1)
	v_dual_cndmask_b32 v2, v3, v2 :: v_dual_cndmask_b32 v1, v4, v1
	v_cmpx_eq_u32_e64 v79, v0
	s_cbranch_execz .LBB1060_117
; %bb.116:
	v_lshlrev_b32_e32 v3, 3, v78
	ds_store_b64 v3, v[1:2]
.LBB1060_117:
	s_or_b32 exec_lo, exec_lo, s0
	s_delay_alu instid0(SALU_CYCLE_1)
	s_mov_b32 s0, exec_lo
	s_waitcnt lgkmcnt(0)
	s_barrier
	buffer_gl0_inv
	v_cmpx_gt_u32_e32 8, v0
	s_cbranch_execz .LBB1060_119
; %bb.118:
	v_lshlrev_b32_e32 v5, 3, v0
	ds_load_b64 v[3:4], v5
	s_waitcnt lgkmcnt(0)
	v_mov_b32_dpp v18, v3 row_shr:1 row_mask:0xf bank_mask:0xf
	v_mov_b32_dpp v19, v4 row_shr:1 row_mask:0xf bank_mask:0xf
	s_delay_alu instid0(VALU_DEP_2) | instskip(SKIP_1) | instid1(VALU_DEP_3)
	v_add_nc_u32_e32 v18, v18, v3
	v_and_b32_e32 v20, 7, v77
	v_add_nc_u32_e32 v19, v19, v4
	s_delay_alu instid0(VALU_DEP_2) | instskip(NEXT) | instid1(VALU_DEP_2)
	v_cmp_eq_u32_e32 vcc_lo, 0, v20
	v_dual_cndmask_b32 v4, v19, v4 :: v_dual_cndmask_b32 v3, v18, v3
	v_cmp_lt_u32_e32 vcc_lo, 1, v20
	s_delay_alu instid0(VALU_DEP_2) | instskip(NEXT) | instid1(VALU_DEP_3)
	v_mov_b32_dpp v19, v4 row_shr:2 row_mask:0xf bank_mask:0xf
	v_mov_b32_dpp v18, v3 row_shr:2 row_mask:0xf bank_mask:0xf
	s_delay_alu instid0(VALU_DEP_2) | instskip(NEXT) | instid1(VALU_DEP_2)
	v_add_nc_u32_e32 v19, v4, v19
	v_add_nc_u32_e32 v18, v3, v18
	s_delay_alu instid0(VALU_DEP_1) | instskip(SKIP_1) | instid1(VALU_DEP_2)
	v_dual_cndmask_b32 v4, v4, v19 :: v_dual_cndmask_b32 v3, v3, v18
	v_cmp_lt_u32_e32 vcc_lo, 3, v20
	v_mov_b32_dpp v19, v4 row_shr:4 row_mask:0xf bank_mask:0xf
	s_delay_alu instid0(VALU_DEP_3) | instskip(NEXT) | instid1(VALU_DEP_1)
	v_mov_b32_dpp v18, v3 row_shr:4 row_mask:0xf bank_mask:0xf
	v_dual_cndmask_b32 v19, 0, v19 :: v_dual_cndmask_b32 v18, 0, v18
	s_delay_alu instid0(VALU_DEP_1) | instskip(NEXT) | instid1(VALU_DEP_2)
	v_add_nc_u32_e32 v4, v19, v4
	v_add_nc_u32_e32 v3, v18, v3
	ds_store_b64 v5, v[3:4]
.LBB1060_119:
	s_or_b32 exec_lo, exec_lo, s0
	v_dual_mov_b32 v3, 0 :: v_dual_mov_b32 v18, 0
	v_mov_b32_e32 v19, 0
	s_mov_b32 s0, exec_lo
	s_waitcnt lgkmcnt(0)
	s_barrier
	buffer_gl0_inv
	v_cmpx_lt_u32_e32 31, v0
	s_cbranch_execz .LBB1060_121
; %bb.120:
	v_lshl_add_u32 v4, v78, 3, -8
	ds_load_b64 v[18:19], v4
.LBB1060_121:
	s_or_b32 exec_lo, exec_lo, s0
	v_add_nc_u32_e32 v4, -1, v77
	s_waitcnt lgkmcnt(0)
	v_add_nc_u32_e32 v20, v19, v2
	v_add_nc_u32_e32 v5, v18, v1
	ds_load_b64 v[1:2], v3 offset:56
	v_cmp_gt_i32_e32 vcc_lo, 0, v4
	v_cndmask_b32_e32 v4, v4, v77, vcc_lo
	v_cmp_eq_u32_e32 vcc_lo, 0, v0
	s_delay_alu instid0(VALU_DEP_2)
	v_lshlrev_b32_e32 v4, 2, v4
	ds_bpermute_b32 v5, v4, v5
	ds_bpermute_b32 v20, v4, v20
	s_waitcnt lgkmcnt(2)
	v_readfirstlane_b32 s1, v2
	s_and_saveexec_b32 s0, vcc_lo
	s_cbranch_execz .LBB1060_123
; %bb.122:
	s_mov_b32 s6, 0
	s_add_u32 s4, s4, 0x200
	s_addc_u32 s5, s5, 0
	s_and_b32 s7, s1, 0xff000000
	s_and_b32 s9, s1, 0xff0000
	s_mov_b32 s8, s6
	v_mov_b32_e32 v22, s5
	s_or_b64 s[8:9], s[8:9], s[6:7]
	s_and_b32 s7, s1, 0xff00
	v_dual_mov_b32 v4, 0 :: v_dual_mov_b32 v21, s4
	s_or_b64 s[8:9], s[8:9], s[6:7]
	s_and_b32 s7, s1, 0xff
	v_mov_b32_e32 v3, 2
	s_or_b64 s[6:7], s[8:9], s[6:7]
	s_delay_alu instid0(SALU_CYCLE_1)
	v_mov_b32_e32 v2, s7
	;;#ASMSTART
	global_store_dwordx4 v[21:22], v[1:4] off	
s_waitcnt vmcnt(0)
	;;#ASMEND
.LBB1060_123:
	s_or_b32 exec_lo, exec_lo, s0
	v_cmp_eq_u32_e64 s0, 0, v77
	v_dual_mov_b32 v3, 0 :: v_dual_mov_b32 v2, s1
	s_waitcnt lgkmcnt(0)
	s_barrier
	s_delay_alu instid0(VALU_DEP_2)
	v_cndmask_b32_e64 v4, v5, v18, s0
	v_cndmask_b32_e64 v5, v20, v19, s0
	buffer_gl0_inv
	v_cndmask_b32_e64 v20, v4, 0, vcc_lo
	v_cndmask_b32_e64 v5, v5, 0, vcc_lo
	v_mov_b32_e32 v4, 0
.LBB1060_124:
	v_and_b32_e32 v30, 1, v30
	v_and_b32_e32 v34, 1, v34
	;; [unrolled: 1-line block ×4, first 2 shown]
	s_waitcnt lgkmcnt(0)
	v_add_co_u32 v18, s0, s28, v3
	v_cmp_eq_u32_e32 vcc_lo, 1, v30
	v_add_nc_u32_e32 v22, v5, v76
	v_sub_nc_u32_e32 v5, v5, v4
	v_add_co_ci_u32_e64 v19, null, s29, 0, s0
	s_mov_b32 s2, -1
	s_delay_alu instid0(VALU_DEP_3) | instskip(SKIP_3) | instid1(VALU_DEP_3)
	v_add_nc_u32_e32 v24, v22, v72
	v_sub_nc_u32_e32 v22, v22, v4
	v_add_nc_u32_e32 v5, v5, v1
	v_sub_co_u32 v72, s0, s30, v1
	v_add_nc_u32_e32 v22, v22, v1
	v_add_nc_u32_e32 v21, v20, v75
	v_sub_nc_u32_e32 v20, v20, v3
	s_delay_alu instid0(VALU_DEP_2)
	v_add_nc_u32_e32 v23, v21, v71
	v_add_nc_u32_e32 v71, v24, v74
	v_lshlrev_b32_e32 v74, 1, v1
	v_sub_nc_u32_e32 v21, v21, v3
	v_add_nc_u32_e32 v75, v20, v5
	v_sub_nc_u32_e32 v24, v24, v4
	s_delay_alu instid0(VALU_DEP_4) | instskip(NEXT) | instid1(VALU_DEP_4)
	v_add3_u32 v28, v74, v2, v28
	v_add_nc_u32_e32 v76, v22, v21
	s_delay_alu instid0(VALU_DEP_3) | instskip(NEXT) | instid1(VALU_DEP_3)
	v_add_nc_u32_e32 v24, v24, v1
	v_sub_nc_u32_e32 v75, v28, v75
	s_delay_alu instid0(VALU_DEP_3) | instskip(NEXT) | instid1(VALU_DEP_1)
	v_sub_nc_u32_e32 v76, v28, v76
	v_dual_cndmask_b32 v5, v75, v5 :: v_dual_add_nc_u32 v30, 1, v76
	v_cmp_eq_u32_e32 vcc_lo, 1, v34
	s_delay_alu instid0(VALU_DEP_2) | instskip(SKIP_1) | instid1(VALU_DEP_4)
	v_cndmask_b32_e32 v22, v30, v22, vcc_lo
	v_cmp_eq_u32_e32 vcc_lo, 1, v29
	v_cndmask_b32_e32 v5, v5, v20, vcc_lo
	v_and_b32_e32 v20, 1, v36
	v_cmp_eq_u32_e32 vcc_lo, 1, v33
	s_delay_alu instid0(VALU_DEP_3) | instskip(SKIP_1) | instid1(VALU_DEP_4)
	v_lshlrev_b32_e32 v5, 2, v5
	v_cndmask_b32_e32 v21, v22, v21, vcc_lo
	v_cmp_eq_u32_e32 vcc_lo, 1, v20
	v_add_nc_u32_e32 v25, v23, v73
	v_sub_nc_u32_e32 v23, v23, v3
	v_and_b32_e32 v22, 1, v31
	v_sub_co_ci_u32_e64 v73, null, s31, 0, s0
	v_and_b32_e32 v31, 1, v32
	s_delay_alu instid0(VALU_DEP_4) | instskip(NEXT) | instid1(VALU_DEP_1)
	v_add_nc_u32_e32 v77, v24, v23
	v_sub_nc_u32_e32 v75, v28, v77
	s_delay_alu instid0(VALU_DEP_1) | instskip(NEXT) | instid1(VALU_DEP_1)
	v_add_nc_u32_e32 v29, 2, v75
	v_cndmask_b32_e32 v20, v29, v24, vcc_lo
	v_sub_nc_u32_e32 v24, v71, v4
	v_cmp_eq_u32_e32 vcc_lo, 1, v22
	v_add_nc_u32_e32 v69, v25, v69
	v_lshlrev_b32_e32 v29, 2, v21
	ds_store_b32 v5, v16
	ds_store_b32 v29, v17
	v_cndmask_b32_e32 v22, v20, v23, vcc_lo
	v_sub_nc_u32_e32 v23, v25, v3
	v_add_nc_u32_e32 v24, v24, v1
	v_add_co_u32 v20, vcc_lo, v72, v4
	s_delay_alu instid0(VALU_DEP_4) | instskip(SKIP_1) | instid1(VALU_DEP_4)
	v_lshlrev_b32_e32 v5, 2, v22
	v_and_b32_e32 v22, 1, v35
	v_add_nc_u32_e32 v25, v23, v24
	v_add_co_ci_u32_e32 v21, vcc_lo, 0, v73, vcc_lo
	ds_store_b32 v5, v14
	v_cmp_eq_u32_e32 vcc_lo, 1, v22
	v_sub_nc_u32_e32 v17, v28, v25
	v_sub_nc_u32_e32 v29, v69, v3
	v_add_nc_u32_e32 v67, v69, v67
	s_delay_alu instid0(VALU_DEP_3) | instskip(NEXT) | instid1(VALU_DEP_2)
	v_add_nc_u32_e32 v17, 3, v17
	v_sub_nc_u32_e32 v30, v67, v3
	s_delay_alu instid0(VALU_DEP_2) | instskip(SKIP_2) | instid1(VALU_DEP_3)
	v_cndmask_b32_e32 v17, v17, v24, vcc_lo
	v_cmp_eq_u32_e32 vcc_lo, 1, v31
	v_and_b32_e32 v24, 1, v39
	v_cndmask_b32_e32 v14, v17, v23, vcc_lo
	v_add_nc_u32_e32 v70, v71, v70
	v_and_b32_e32 v23, 1, v38
	s_delay_alu instid0(VALU_DEP_3) | instskip(NEXT) | instid1(VALU_DEP_3)
	v_lshlrev_b32_e32 v14, 2, v14
	v_add_nc_u32_e32 v68, v70, v68
	v_sub_nc_u32_e32 v16, v70, v4
	ds_store_b32 v14, v15
	v_sub_nc_u32_e32 v25, v68, v4
	v_add_nc_u32_e32 v16, v16, v1
	s_delay_alu instid0(VALU_DEP_2) | instskip(NEXT) | instid1(VALU_DEP_2)
	v_add_nc_u32_e32 v25, v25, v1
	v_add_nc_u32_e32 v32, v29, v16
	s_delay_alu instid0(VALU_DEP_2) | instskip(NEXT) | instid1(VALU_DEP_2)
	v_add_nc_u32_e32 v22, v30, v25
	v_sub_nc_u32_e32 v5, v28, v32
	s_delay_alu instid0(VALU_DEP_2) | instskip(SKIP_1) | instid1(VALU_DEP_3)
	v_sub_nc_u32_e32 v17, v28, v22
	v_and_b32_e32 v22, 1, v37
	v_add_nc_u32_e32 v5, 4, v5
	s_delay_alu instid0(VALU_DEP_3) | instskip(NEXT) | instid1(VALU_DEP_3)
	v_add_nc_u32_e32 v17, 5, v17
	v_cmp_eq_u32_e32 vcc_lo, 1, v22
	s_delay_alu instid0(VALU_DEP_3)
	v_cndmask_b32_e32 v5, v5, v16, vcc_lo
	v_cmp_eq_u32_e32 vcc_lo, 1, v24
	v_and_b32_e32 v16, 1, v41
	v_cndmask_b32_e32 v17, v17, v25, vcc_lo
	v_cmp_eq_u32_e32 vcc_lo, 1, v23
	v_cndmask_b32_e32 v5, v5, v29, vcc_lo
	s_delay_alu instid0(VALU_DEP_4) | instskip(SKIP_1) | instid1(VALU_DEP_3)
	v_cmp_eq_u32_e32 vcc_lo, 1, v16
	v_add_nc_u32_e32 v66, v68, v66
	v_dual_cndmask_b32 v16, v17, v30 :: v_dual_lshlrev_b32 v5, 2, v5
	s_delay_alu instid0(VALU_DEP_2) | instskip(SKIP_1) | instid1(VALU_DEP_3)
	v_sub_nc_u32_e32 v22, v66, v4
	v_add_nc_u32_e32 v62, v66, v62
	v_lshlrev_b32_e32 v16, 2, v16
	ds_store_b32 v5, v12
	ds_store_b32 v16, v13
	v_and_b32_e32 v12, 1, v40
	v_add_nc_u32_e32 v22, v22, v1
	v_add_nc_u32_e32 v64, v62, v64
	v_sub_nc_u32_e32 v17, v62, v4
	v_and_b32_e32 v16, 1, v43
	v_cmp_eq_u32_e32 vcc_lo, 1, v12
	v_add_nc_u32_e32 v65, v67, v65
	v_sub_nc_u32_e32 v15, v64, v4
	v_add_nc_u32_e32 v17, v17, v1
	s_delay_alu instid0(VALU_DEP_3) | instskip(NEXT) | instid1(VALU_DEP_3)
	v_sub_nc_u32_e32 v23, v65, v3
	v_add_nc_u32_e32 v15, v15, v1
	s_delay_alu instid0(VALU_DEP_2) | instskip(NEXT) | instid1(VALU_DEP_1)
	v_add_nc_u32_e32 v24, v23, v22
	v_sub_nc_u32_e32 v14, v28, v24
	v_and_b32_e32 v24, 1, v48
	s_delay_alu instid0(VALU_DEP_2) | instskip(SKIP_1) | instid1(VALU_DEP_2)
	v_add_nc_u32_e32 v13, 6, v14
	v_and_b32_e32 v14, 1, v42
	v_cndmask_b32_e32 v12, v13, v22, vcc_lo
	v_add_nc_u32_e32 v61, v65, v61
	s_delay_alu instid0(VALU_DEP_3) | instskip(SKIP_1) | instid1(VALU_DEP_3)
	v_cmp_eq_u32_e32 vcc_lo, 1, v14
	v_and_b32_e32 v22, 1, v44
	v_sub_nc_u32_e32 v25, v61, v3
	v_add_nc_u32_e32 v63, v61, v63
	v_cndmask_b32_e32 v12, v12, v23, vcc_lo
	v_cmp_eq_u32_e32 vcc_lo, 1, v16
	v_and_b32_e32 v23, 1, v46
	v_add_nc_u32_e32 v5, v25, v17
	v_sub_nc_u32_e32 v13, v63, v3
	v_lshlrev_b32_e32 v12, 2, v12
	v_add_nc_u32_e32 v59, v63, v59
	s_delay_alu instid0(VALU_DEP_4) | instskip(NEXT) | instid1(VALU_DEP_4)
	v_sub_nc_u32_e32 v5, v28, v5
	v_add_nc_u32_e32 v14, v13, v15
	s_delay_alu instid0(VALU_DEP_3) | instskip(NEXT) | instid1(VALU_DEP_3)
	v_add_nc_u32_e32 v57, v59, v57
	v_add_nc_u32_e32 v5, 7, v5
	s_delay_alu instid0(VALU_DEP_3) | instskip(NEXT) | instid1(VALU_DEP_3)
	v_sub_nc_u32_e32 v14, v28, v14
	v_add_nc_u32_e32 v55, v57, v55
	s_delay_alu instid0(VALU_DEP_3)
	v_cndmask_b32_e32 v5, v5, v17, vcc_lo
	v_cmp_eq_u32_e32 vcc_lo, 1, v22
	v_and_b32_e32 v17, 1, v45
	v_add_nc_u32_e32 v14, 8, v14
	v_sub_nc_u32_e32 v22, v59, v3
	v_add_nc_u32_e32 v53, v55, v53
	v_cndmask_b32_e32 v5, v5, v25, vcc_lo
	v_cmp_eq_u32_e32 vcc_lo, 1, v17
	v_sub_nc_u32_e32 v17, v55, v3
	v_and_b32_e32 v25, 1, v52
	s_delay_alu instid0(VALU_DEP_4)
	v_dual_cndmask_b32 v14, v14, v15 :: v_dual_lshlrev_b32 v5, 2, v5
	v_cmp_eq_u32_e32 vcc_lo, 1, v23
	v_add_nc_u32_e32 v60, v64, v60
	ds_store_b32 v12, v10
	ds_store_b32 v5, v11
	v_and_b32_e32 v11, 1, v49
	v_cndmask_b32_e32 v5, v14, v13, vcc_lo
	v_sub_nc_u32_e32 v16, v60, v4
	v_add_nc_u32_e32 v58, v60, v58
	v_and_b32_e32 v13, 1, v47
	s_delay_alu instid0(VALU_DEP_4) | instskip(NEXT) | instid1(VALU_DEP_4)
	v_lshlrev_b32_e32 v5, 2, v5
	v_add_nc_u32_e32 v16, v16, v1
	s_delay_alu instid0(VALU_DEP_4) | instskip(SKIP_2) | instid1(VALU_DEP_4)
	v_add_nc_u32_e32 v56, v58, v56
	v_sub_nc_u32_e32 v12, v58, v4
	v_cmp_eq_u32_e32 vcc_lo, 1, v13
	v_add_nc_u32_e32 v15, v22, v16
	s_delay_alu instid0(VALU_DEP_4) | instskip(NEXT) | instid1(VALU_DEP_4)
	v_sub_nc_u32_e32 v14, v56, v4
	v_add_nc_u32_e32 v12, v12, v1
	v_add_nc_u32_e32 v54, v56, v54
	s_delay_alu instid0(VALU_DEP_4) | instskip(SKIP_2) | instid1(VALU_DEP_4)
	v_sub_nc_u32_e32 v10, v28, v15
	v_sub_nc_u32_e32 v15, v57, v3
	v_add_nc_u32_e32 v14, v14, v1
	v_sub_nc_u32_e32 v23, v54, v4
	v_sub_nc_u32_e32 v3, v53, v3
	v_add_nc_u32_e32 v10, 9, v10
	v_add_nc_u32_e32 v13, v15, v12
	s_delay_alu instid0(VALU_DEP_2) | instskip(SKIP_2) | instid1(VALU_DEP_4)
	v_dual_cndmask_b32 v10, v10, v16 :: v_dual_add_nc_u32 v23, v23, v1
	v_add_nc_u32_e32 v16, v17, v14
	v_cmp_eq_u32_e32 vcc_lo, 1, v11
	v_sub_nc_u32_e32 v11, v28, v13
	v_and_b32_e32 v13, 1, v50
	s_delay_alu instid0(VALU_DEP_4) | instskip(NEXT) | instid1(VALU_DEP_3)
	v_sub_nc_u32_e32 v16, v28, v16
	v_dual_cndmask_b32 v10, v10, v22 :: v_dual_add_nc_u32 v11, 10, v11
	v_cmp_eq_u32_e32 vcc_lo, 1, v24
	v_add_nc_u32_e32 v22, v3, v23
	s_delay_alu instid0(VALU_DEP_4) | instskip(NEXT) | instid1(VALU_DEP_4)
	v_add_nc_u32_e32 v16, 11, v16
	v_dual_cndmask_b32 v11, v11, v12 :: v_dual_lshlrev_b32 v10, 2, v10
	v_cmp_eq_u32_e32 vcc_lo, 1, v25
	s_delay_alu instid0(VALU_DEP_4) | instskip(SKIP_3) | instid1(VALU_DEP_4)
	v_sub_nc_u32_e32 v22, v28, v22
	v_and_b32_e32 v12, 1, v51
	v_cndmask_b32_e32 v14, v16, v14, vcc_lo
	v_cmp_eq_u32_e32 vcc_lo, 1, v13
	v_dual_cndmask_b32 v11, v11, v15 :: v_dual_add_nc_u32 v16, 12, v22
	s_delay_alu instid0(VALU_DEP_4) | instskip(NEXT) | instid1(VALU_DEP_2)
	v_cmp_eq_u32_e32 vcc_lo, 1, v12
	v_cndmask_b32_e64 v13, v16, v23, s43
	s_delay_alu instid0(VALU_DEP_3) | instskip(NEXT) | instid1(VALU_DEP_2)
	v_dual_cndmask_b32 v12, v14, v17 :: v_dual_lshlrev_b32 v11, 2, v11
	v_cndmask_b32_e64 v3, v13, v3, s42
	s_delay_alu instid0(VALU_DEP_2)
	v_lshlrev_b32_e32 v12, 2, v12
	ds_store_b32 v5, v8
	ds_store_b32 v10, v9
	;; [unrolled: 1-line block ×4, first 2 shown]
	v_lshlrev_b32_e32 v3, 2, v3
	v_add_co_u32 v5, s0, v2, v74
	s_delay_alu instid0(VALU_DEP_1) | instskip(SKIP_4) | instid1(VALU_DEP_2)
	v_add_co_ci_u32_e64 v6, null, 0, 0, s0
	ds_store_b32 v3, v27
	v_add_co_u32 v3, vcc_lo, v5, v20
	v_add_co_ci_u32_e32 v5, vcc_lo, v6, v21, vcc_lo
	s_add_u32 s0, s34, s33
	v_add_co_u32 v3, vcc_lo, v3, v18
	s_delay_alu instid0(VALU_DEP_2) | instskip(SKIP_1) | instid1(VALU_DEP_2)
	v_add_co_ci_u32_e32 v5, vcc_lo, v5, v19, vcc_lo
	s_addc_u32 s1, s35, 0
	v_sub_co_u32 v3, vcc_lo, s0, v3
	s_delay_alu instid0(VALU_DEP_2)
	v_sub_co_ci_u32_e32 v9, vcc_lo, s1, v5, vcc_lo
	v_lshlrev_b64 v[5:6], 2, v[20:21]
	v_lshlrev_b64 v[7:8], 2, v[18:19]
	v_add_nc_u32_e32 v10, v1, v2
	s_add_u32 s1, s26, -4
	s_waitcnt lgkmcnt(0)
	s_barrier
	v_add_co_u32 v5, vcc_lo, s38, v5
	v_add_co_ci_u32_e32 v6, vcc_lo, s39, v6, vcc_lo
	v_cmp_ne_u32_e32 vcc_lo, 1, v26
	v_add_co_u32 v7, s0, s36, v7
	s_delay_alu instid0(VALU_DEP_1)
	v_add_co_ci_u32_e64 v8, s0, s37, v8, s0
	s_addc_u32 s0, s27, -1
	buffer_gl0_inv
	s_cbranch_vccz .LBB1060_128
; %bb.125:
	s_and_b32 vcc_lo, exec_lo, s2
	s_cbranch_vccnz .LBB1060_233
.LBB1060_126:
	v_cmp_eq_u32_e32 vcc_lo, 0, v0
	s_and_b32 s0, vcc_lo, s14
	s_delay_alu instid0(SALU_CYCLE_1)
	s_and_saveexec_b32 s1, s0
	s_cbranch_execnz .LBB1060_351
.LBB1060_127:
	s_nop 0
	s_sendmsg sendmsg(MSG_DEALLOC_VGPRS)
	s_endpgm
.LBB1060_128:
	s_mov_b32 s2, exec_lo
	v_cmpx_le_u32_e64 v1, v0
	s_xor_b32 s2, exec_lo, s2
	s_cbranch_execz .LBB1060_134
; %bb.129:
	s_mov_b32 s4, exec_lo
	v_cmpx_le_u32_e64 v10, v0
	s_xor_b32 s4, exec_lo, s4
	s_cbranch_execz .LBB1060_131
; %bb.130:
	v_lshlrev_b32_e32 v11, 2, v0
	ds_load_b32 v13, v11
	v_add_co_u32 v11, vcc_lo, v3, v0
	v_add_co_ci_u32_e32 v12, vcc_lo, 0, v9, vcc_lo
	s_delay_alu instid0(VALU_DEP_1) | instskip(NEXT) | instid1(VALU_DEP_1)
	v_lshlrev_b64 v[11:12], 2, v[11:12]
	v_sub_co_u32 v11, vcc_lo, s26, v11
	s_delay_alu instid0(VALU_DEP_2)
	v_sub_co_ci_u32_e32 v12, vcc_lo, s27, v12, vcc_lo
	s_waitcnt lgkmcnt(0)
	global_store_b32 v[11:12], v13, off offset:-4
.LBB1060_131:
	s_and_not1_saveexec_b32 s4, s4
	s_cbranch_execz .LBB1060_133
; %bb.132:
	v_lshlrev_b32_e32 v11, 2, v0
	v_readfirstlane_b32 s6, v5
	v_readfirstlane_b32 s7, v6
	ds_load_b32 v12, v11
	s_waitcnt lgkmcnt(0)
	global_store_b32 v11, v12, s[6:7]
.LBB1060_133:
	s_or_b32 exec_lo, exec_lo, s4
.LBB1060_134:
	s_and_not1_saveexec_b32 s2, s2
	s_cbranch_execz .LBB1060_136
; %bb.135:
	v_lshlrev_b32_e32 v11, 2, v0
	v_readfirstlane_b32 s4, v7
	v_readfirstlane_b32 s5, v8
	ds_load_b32 v12, v11
	s_waitcnt lgkmcnt(0)
	global_store_b32 v11, v12, s[4:5]
.LBB1060_136:
	s_or_b32 exec_lo, exec_lo, s2
	v_or_b32_e32 v11, 0x100, v0
	s_mov_b32 s2, exec_lo
	s_delay_alu instid0(VALU_DEP_1)
	v_cmpx_le_u32_e64 v1, v11
	s_xor_b32 s2, exec_lo, s2
	s_cbranch_execz .LBB1060_142
; %bb.137:
	s_mov_b32 s4, exec_lo
	v_cmpx_le_u32_e64 v10, v11
	s_xor_b32 s4, exec_lo, s4
	s_cbranch_execz .LBB1060_139
; %bb.138:
	v_lshlrev_b32_e32 v11, 2, v0
	ds_load_b32 v13, v11 offset:1024
	v_add_co_u32 v11, vcc_lo, v3, v0
	v_add_co_ci_u32_e32 v12, vcc_lo, 0, v9, vcc_lo
	s_delay_alu instid0(VALU_DEP_1) | instskip(NEXT) | instid1(VALU_DEP_1)
	v_lshlrev_b64 v[11:12], 2, v[11:12]
	v_sub_co_u32 v11, vcc_lo, s1, v11
	s_delay_alu instid0(VALU_DEP_2)
	v_sub_co_ci_u32_e32 v12, vcc_lo, s0, v12, vcc_lo
	s_waitcnt lgkmcnt(0)
	global_store_b32 v[11:12], v13, off offset:-1024
.LBB1060_139:
	s_and_not1_saveexec_b32 s4, s4
	s_cbranch_execz .LBB1060_141
; %bb.140:
	v_lshlrev_b32_e32 v11, 2, v0
	v_readfirstlane_b32 s6, v5
	v_readfirstlane_b32 s7, v6
	ds_load_b32 v12, v11 offset:1024
	s_waitcnt lgkmcnt(0)
	global_store_b32 v11, v12, s[6:7] offset:1024
.LBB1060_141:
	s_or_b32 exec_lo, exec_lo, s4
.LBB1060_142:
	s_and_not1_saveexec_b32 s2, s2
	s_cbranch_execz .LBB1060_144
; %bb.143:
	v_lshlrev_b32_e32 v11, 2, v0
	v_readfirstlane_b32 s4, v7
	v_readfirstlane_b32 s5, v8
	ds_load_b32 v12, v11 offset:1024
	s_waitcnt lgkmcnt(0)
	global_store_b32 v11, v12, s[4:5] offset:1024
.LBB1060_144:
	s_or_b32 exec_lo, exec_lo, s2
	v_or_b32_e32 v11, 0x200, v0
	s_mov_b32 s2, exec_lo
	s_delay_alu instid0(VALU_DEP_1)
	v_cmpx_le_u32_e64 v1, v11
	s_xor_b32 s2, exec_lo, s2
	s_cbranch_execz .LBB1060_150
; %bb.145:
	s_mov_b32 s4, exec_lo
	v_cmpx_le_u32_e64 v10, v11
	s_xor_b32 s4, exec_lo, s4
	s_cbranch_execz .LBB1060_147
; %bb.146:
	v_lshlrev_b32_e32 v11, 2, v0
	ds_load_b32 v13, v11 offset:2048
	v_add_co_u32 v11, vcc_lo, v3, v0
	v_add_co_ci_u32_e32 v12, vcc_lo, 0, v9, vcc_lo
	s_delay_alu instid0(VALU_DEP_1) | instskip(NEXT) | instid1(VALU_DEP_1)
	v_lshlrev_b64 v[11:12], 2, v[11:12]
	v_sub_co_u32 v11, vcc_lo, s1, v11
	s_delay_alu instid0(VALU_DEP_2)
	v_sub_co_ci_u32_e32 v12, vcc_lo, s0, v12, vcc_lo
	s_waitcnt lgkmcnt(0)
	global_store_b32 v[11:12], v13, off offset:-2048
.LBB1060_147:
	s_and_not1_saveexec_b32 s4, s4
	s_cbranch_execz .LBB1060_149
; %bb.148:
	v_lshlrev_b32_e32 v11, 2, v0
	v_readfirstlane_b32 s6, v5
	v_readfirstlane_b32 s7, v6
	ds_load_b32 v12, v11 offset:2048
	s_waitcnt lgkmcnt(0)
	global_store_b32 v11, v12, s[6:7] offset:2048
.LBB1060_149:
	s_or_b32 exec_lo, exec_lo, s4
.LBB1060_150:
	s_and_not1_saveexec_b32 s2, s2
	s_cbranch_execz .LBB1060_152
; %bb.151:
	v_lshlrev_b32_e32 v11, 2, v0
	v_readfirstlane_b32 s4, v7
	v_readfirstlane_b32 s5, v8
	ds_load_b32 v12, v11 offset:2048
	s_waitcnt lgkmcnt(0)
	global_store_b32 v11, v12, s[4:5] offset:2048
.LBB1060_152:
	;; [unrolled: 47-line block ×3, first 2 shown]
	s_or_b32 exec_lo, exec_lo, s2
	v_or_b32_e32 v11, 0x400, v0
	s_mov_b32 s2, exec_lo
	s_delay_alu instid0(VALU_DEP_1)
	v_cmpx_le_u32_e64 v1, v11
	s_xor_b32 s2, exec_lo, s2
	s_cbranch_execz .LBB1060_166
; %bb.161:
	s_mov_b32 s4, exec_lo
	v_cmpx_le_u32_e64 v10, v11
	s_xor_b32 s4, exec_lo, s4
	s_cbranch_execz .LBB1060_163
; %bb.162:
	v_lshlrev_b32_e32 v11, 2, v0
	ds_load_b32 v13, v11 offset:4096
	v_add_co_u32 v11, vcc_lo, v3, v0
	v_add_co_ci_u32_e32 v12, vcc_lo, 0, v9, vcc_lo
	s_delay_alu instid0(VALU_DEP_1) | instskip(NEXT) | instid1(VALU_DEP_1)
	v_lshlrev_b64 v[11:12], 2, v[11:12]
	v_sub_co_u32 v11, vcc_lo, s1, v11
	s_delay_alu instid0(VALU_DEP_2)
	v_sub_co_ci_u32_e32 v12, vcc_lo, s0, v12, vcc_lo
	s_waitcnt lgkmcnt(0)
	global_store_b32 v[11:12], v13, off offset:-4096
                                        ; implicit-def: $vgpr11
.LBB1060_163:
	s_and_not1_saveexec_b32 s4, s4
	s_cbranch_execz .LBB1060_165
; %bb.164:
	v_lshlrev_b32_e32 v12, 2, v0
	v_lshlrev_b32_e32 v11, 2, v11
	v_readfirstlane_b32 s6, v5
	v_readfirstlane_b32 s7, v6
	ds_load_b32 v12, v12 offset:4096
	s_waitcnt lgkmcnt(0)
	global_store_b32 v11, v12, s[6:7]
.LBB1060_165:
	s_or_b32 exec_lo, exec_lo, s4
                                        ; implicit-def: $vgpr11
.LBB1060_166:
	s_and_not1_saveexec_b32 s2, s2
	s_cbranch_execz .LBB1060_168
; %bb.167:
	v_lshlrev_b32_e32 v12, 2, v0
	v_lshlrev_b32_e32 v11, 2, v11
	v_readfirstlane_b32 s4, v7
	v_readfirstlane_b32 s5, v8
	ds_load_b32 v12, v12 offset:4096
	s_waitcnt lgkmcnt(0)
	global_store_b32 v11, v12, s[4:5]
.LBB1060_168:
	s_or_b32 exec_lo, exec_lo, s2
	v_or_b32_e32 v11, 0x500, v0
	s_mov_b32 s2, exec_lo
	s_delay_alu instid0(VALU_DEP_1)
	v_cmpx_le_u32_e64 v1, v11
	s_xor_b32 s2, exec_lo, s2
	s_cbranch_execz .LBB1060_174
; %bb.169:
	s_mov_b32 s4, exec_lo
	v_cmpx_le_u32_e64 v10, v11
	s_xor_b32 s4, exec_lo, s4
	s_cbranch_execz .LBB1060_171
; %bb.170:
	v_lshlrev_b32_e32 v12, 2, v0
	v_add_co_u32 v11, vcc_lo, v3, v11
	ds_load_b32 v13, v12 offset:5120
	v_add_co_ci_u32_e32 v12, vcc_lo, 0, v9, vcc_lo
	s_delay_alu instid0(VALU_DEP_1) | instskip(NEXT) | instid1(VALU_DEP_1)
	v_lshlrev_b64 v[11:12], 2, v[11:12]
	v_sub_co_u32 v11, vcc_lo, s1, v11
	s_delay_alu instid0(VALU_DEP_2)
	v_sub_co_ci_u32_e32 v12, vcc_lo, s0, v12, vcc_lo
	s_waitcnt lgkmcnt(0)
	global_store_b32 v[11:12], v13, off
                                        ; implicit-def: $vgpr11
.LBB1060_171:
	s_and_not1_saveexec_b32 s4, s4
	s_cbranch_execz .LBB1060_173
; %bb.172:
	v_lshlrev_b32_e32 v12, 2, v0
	v_lshlrev_b32_e32 v11, 2, v11
	v_readfirstlane_b32 s6, v5
	v_readfirstlane_b32 s7, v6
	ds_load_b32 v12, v12 offset:5120
	s_waitcnt lgkmcnt(0)
	global_store_b32 v11, v12, s[6:7]
.LBB1060_173:
	s_or_b32 exec_lo, exec_lo, s4
                                        ; implicit-def: $vgpr11
.LBB1060_174:
	s_and_not1_saveexec_b32 s2, s2
	s_cbranch_execz .LBB1060_176
; %bb.175:
	v_lshlrev_b32_e32 v12, 2, v0
	v_lshlrev_b32_e32 v11, 2, v11
	v_readfirstlane_b32 s4, v7
	v_readfirstlane_b32 s5, v8
	ds_load_b32 v12, v12 offset:5120
	s_waitcnt lgkmcnt(0)
	global_store_b32 v11, v12, s[4:5]
.LBB1060_176:
	s_or_b32 exec_lo, exec_lo, s2
	v_or_b32_e32 v11, 0x600, v0
	s_mov_b32 s2, exec_lo
	s_delay_alu instid0(VALU_DEP_1)
	v_cmpx_le_u32_e64 v1, v11
	s_xor_b32 s2, exec_lo, s2
	s_cbranch_execz .LBB1060_182
; %bb.177:
	s_mov_b32 s4, exec_lo
	v_cmpx_le_u32_e64 v10, v11
	s_xor_b32 s4, exec_lo, s4
	s_cbranch_execz .LBB1060_179
; %bb.178:
	v_lshlrev_b32_e32 v12, 2, v0
	v_add_co_u32 v11, vcc_lo, v3, v11
	ds_load_b32 v13, v12 offset:6144
	v_add_co_ci_u32_e32 v12, vcc_lo, 0, v9, vcc_lo
	s_delay_alu instid0(VALU_DEP_1) | instskip(NEXT) | instid1(VALU_DEP_1)
	v_lshlrev_b64 v[11:12], 2, v[11:12]
	v_sub_co_u32 v11, vcc_lo, s1, v11
	s_delay_alu instid0(VALU_DEP_2)
	v_sub_co_ci_u32_e32 v12, vcc_lo, s0, v12, vcc_lo
	s_waitcnt lgkmcnt(0)
	global_store_b32 v[11:12], v13, off
                                        ; implicit-def: $vgpr11
.LBB1060_179:
	s_and_not1_saveexec_b32 s4, s4
	s_cbranch_execz .LBB1060_181
; %bb.180:
	v_lshlrev_b32_e32 v12, 2, v0
	v_lshlrev_b32_e32 v11, 2, v11
	v_readfirstlane_b32 s6, v5
	v_readfirstlane_b32 s7, v6
	ds_load_b32 v12, v12 offset:6144
	s_waitcnt lgkmcnt(0)
	global_store_b32 v11, v12, s[6:7]
.LBB1060_181:
	s_or_b32 exec_lo, exec_lo, s4
                                        ; implicit-def: $vgpr11
.LBB1060_182:
	s_and_not1_saveexec_b32 s2, s2
	s_cbranch_execz .LBB1060_184
; %bb.183:
	v_lshlrev_b32_e32 v12, 2, v0
	v_lshlrev_b32_e32 v11, 2, v11
	v_readfirstlane_b32 s4, v7
	v_readfirstlane_b32 s5, v8
	ds_load_b32 v12, v12 offset:6144
	s_waitcnt lgkmcnt(0)
	global_store_b32 v11, v12, s[4:5]
.LBB1060_184:
	s_or_b32 exec_lo, exec_lo, s2
	v_or_b32_e32 v11, 0x700, v0
	s_mov_b32 s2, exec_lo
	s_delay_alu instid0(VALU_DEP_1)
	v_cmpx_le_u32_e64 v1, v11
	s_xor_b32 s2, exec_lo, s2
	s_cbranch_execz .LBB1060_190
; %bb.185:
	s_mov_b32 s4, exec_lo
	v_cmpx_le_u32_e64 v10, v11
	s_xor_b32 s4, exec_lo, s4
	s_cbranch_execz .LBB1060_187
; %bb.186:
	v_lshlrev_b32_e32 v12, 2, v0
	v_add_co_u32 v11, vcc_lo, v3, v11
	ds_load_b32 v13, v12 offset:7168
	v_add_co_ci_u32_e32 v12, vcc_lo, 0, v9, vcc_lo
	s_delay_alu instid0(VALU_DEP_1) | instskip(NEXT) | instid1(VALU_DEP_1)
	v_lshlrev_b64 v[11:12], 2, v[11:12]
	v_sub_co_u32 v11, vcc_lo, s1, v11
	s_delay_alu instid0(VALU_DEP_2)
	v_sub_co_ci_u32_e32 v12, vcc_lo, s0, v12, vcc_lo
	s_waitcnt lgkmcnt(0)
	global_store_b32 v[11:12], v13, off
                                        ; implicit-def: $vgpr11
.LBB1060_187:
	s_and_not1_saveexec_b32 s4, s4
	s_cbranch_execz .LBB1060_189
; %bb.188:
	v_lshlrev_b32_e32 v12, 2, v0
	v_lshlrev_b32_e32 v11, 2, v11
	v_readfirstlane_b32 s6, v5
	v_readfirstlane_b32 s7, v6
	ds_load_b32 v12, v12 offset:7168
	s_waitcnt lgkmcnt(0)
	global_store_b32 v11, v12, s[6:7]
.LBB1060_189:
	s_or_b32 exec_lo, exec_lo, s4
                                        ; implicit-def: $vgpr11
.LBB1060_190:
	s_and_not1_saveexec_b32 s2, s2
	s_cbranch_execz .LBB1060_192
; %bb.191:
	v_lshlrev_b32_e32 v12, 2, v0
	v_lshlrev_b32_e32 v11, 2, v11
	v_readfirstlane_b32 s4, v7
	v_readfirstlane_b32 s5, v8
	ds_load_b32 v12, v12 offset:7168
	s_waitcnt lgkmcnt(0)
	global_store_b32 v11, v12, s[4:5]
.LBB1060_192:
	s_or_b32 exec_lo, exec_lo, s2
	v_or_b32_e32 v11, 0x800, v0
	s_mov_b32 s2, exec_lo
	s_delay_alu instid0(VALU_DEP_1)
	v_cmpx_le_u32_e64 v1, v11
	s_xor_b32 s2, exec_lo, s2
	s_cbranch_execz .LBB1060_198
; %bb.193:
	s_mov_b32 s4, exec_lo
	v_cmpx_le_u32_e64 v10, v11
	s_xor_b32 s4, exec_lo, s4
	s_cbranch_execz .LBB1060_195
; %bb.194:
	v_lshlrev_b32_e32 v12, 2, v0
	v_add_co_u32 v11, vcc_lo, v3, v11
	ds_load_b32 v13, v12 offset:8192
	v_add_co_ci_u32_e32 v12, vcc_lo, 0, v9, vcc_lo
	s_delay_alu instid0(VALU_DEP_1) | instskip(NEXT) | instid1(VALU_DEP_1)
	v_lshlrev_b64 v[11:12], 2, v[11:12]
	v_sub_co_u32 v11, vcc_lo, s1, v11
	s_delay_alu instid0(VALU_DEP_2)
	v_sub_co_ci_u32_e32 v12, vcc_lo, s0, v12, vcc_lo
	s_waitcnt lgkmcnt(0)
	global_store_b32 v[11:12], v13, off
                                        ; implicit-def: $vgpr11
.LBB1060_195:
	s_and_not1_saveexec_b32 s4, s4
	s_cbranch_execz .LBB1060_197
; %bb.196:
	v_lshlrev_b32_e32 v12, 2, v0
	v_lshlrev_b32_e32 v11, 2, v11
	v_readfirstlane_b32 s6, v5
	v_readfirstlane_b32 s7, v6
	ds_load_b32 v12, v12 offset:8192
	s_waitcnt lgkmcnt(0)
	global_store_b32 v11, v12, s[6:7]
.LBB1060_197:
	s_or_b32 exec_lo, exec_lo, s4
                                        ; implicit-def: $vgpr11
.LBB1060_198:
	s_and_not1_saveexec_b32 s2, s2
	s_cbranch_execz .LBB1060_200
; %bb.199:
	v_lshlrev_b32_e32 v12, 2, v0
	v_lshlrev_b32_e32 v11, 2, v11
	v_readfirstlane_b32 s4, v7
	v_readfirstlane_b32 s5, v8
	ds_load_b32 v12, v12 offset:8192
	s_waitcnt lgkmcnt(0)
	global_store_b32 v11, v12, s[4:5]
.LBB1060_200:
	s_or_b32 exec_lo, exec_lo, s2
	v_or_b32_e32 v11, 0x900, v0
	s_mov_b32 s2, exec_lo
	s_delay_alu instid0(VALU_DEP_1)
	v_cmpx_le_u32_e64 v1, v11
	s_xor_b32 s2, exec_lo, s2
	s_cbranch_execz .LBB1060_206
; %bb.201:
	s_mov_b32 s4, exec_lo
	v_cmpx_le_u32_e64 v10, v11
	s_xor_b32 s4, exec_lo, s4
	s_cbranch_execz .LBB1060_203
; %bb.202:
	v_lshlrev_b32_e32 v12, 2, v0
	v_add_co_u32 v11, vcc_lo, v3, v11
	ds_load_b32 v13, v12 offset:9216
	v_add_co_ci_u32_e32 v12, vcc_lo, 0, v9, vcc_lo
	s_delay_alu instid0(VALU_DEP_1) | instskip(NEXT) | instid1(VALU_DEP_1)
	v_lshlrev_b64 v[11:12], 2, v[11:12]
	v_sub_co_u32 v11, vcc_lo, s1, v11
	s_delay_alu instid0(VALU_DEP_2)
	v_sub_co_ci_u32_e32 v12, vcc_lo, s0, v12, vcc_lo
	s_waitcnt lgkmcnt(0)
	global_store_b32 v[11:12], v13, off
                                        ; implicit-def: $vgpr11
.LBB1060_203:
	s_and_not1_saveexec_b32 s4, s4
	s_cbranch_execz .LBB1060_205
; %bb.204:
	v_lshlrev_b32_e32 v12, 2, v0
	v_lshlrev_b32_e32 v11, 2, v11
	v_readfirstlane_b32 s6, v5
	v_readfirstlane_b32 s7, v6
	ds_load_b32 v12, v12 offset:9216
	s_waitcnt lgkmcnt(0)
	global_store_b32 v11, v12, s[6:7]
.LBB1060_205:
	s_or_b32 exec_lo, exec_lo, s4
                                        ; implicit-def: $vgpr11
.LBB1060_206:
	s_and_not1_saveexec_b32 s2, s2
	s_cbranch_execz .LBB1060_208
; %bb.207:
	v_lshlrev_b32_e32 v12, 2, v0
	v_lshlrev_b32_e32 v11, 2, v11
	v_readfirstlane_b32 s4, v7
	v_readfirstlane_b32 s5, v8
	ds_load_b32 v12, v12 offset:9216
	s_waitcnt lgkmcnt(0)
	global_store_b32 v11, v12, s[4:5]
.LBB1060_208:
	s_or_b32 exec_lo, exec_lo, s2
	v_or_b32_e32 v11, 0xa00, v0
	s_mov_b32 s2, exec_lo
	s_delay_alu instid0(VALU_DEP_1)
	v_cmpx_le_u32_e64 v1, v11
	s_xor_b32 s2, exec_lo, s2
	s_cbranch_execz .LBB1060_214
; %bb.209:
	s_mov_b32 s4, exec_lo
	v_cmpx_le_u32_e64 v10, v11
	s_xor_b32 s4, exec_lo, s4
	s_cbranch_execz .LBB1060_211
; %bb.210:
	v_lshlrev_b32_e32 v12, 2, v0
	v_add_co_u32 v11, vcc_lo, v3, v11
	ds_load_b32 v13, v12 offset:10240
	v_add_co_ci_u32_e32 v12, vcc_lo, 0, v9, vcc_lo
	s_delay_alu instid0(VALU_DEP_1) | instskip(NEXT) | instid1(VALU_DEP_1)
	v_lshlrev_b64 v[11:12], 2, v[11:12]
	v_sub_co_u32 v11, vcc_lo, s1, v11
	s_delay_alu instid0(VALU_DEP_2)
	v_sub_co_ci_u32_e32 v12, vcc_lo, s0, v12, vcc_lo
	s_waitcnt lgkmcnt(0)
	global_store_b32 v[11:12], v13, off
                                        ; implicit-def: $vgpr11
.LBB1060_211:
	s_and_not1_saveexec_b32 s4, s4
	s_cbranch_execz .LBB1060_213
; %bb.212:
	v_lshlrev_b32_e32 v12, 2, v0
	v_lshlrev_b32_e32 v11, 2, v11
	v_readfirstlane_b32 s6, v5
	v_readfirstlane_b32 s7, v6
	ds_load_b32 v12, v12 offset:10240
	s_waitcnt lgkmcnt(0)
	global_store_b32 v11, v12, s[6:7]
.LBB1060_213:
	s_or_b32 exec_lo, exec_lo, s4
                                        ; implicit-def: $vgpr11
.LBB1060_214:
	s_and_not1_saveexec_b32 s2, s2
	s_cbranch_execz .LBB1060_216
; %bb.215:
	v_lshlrev_b32_e32 v12, 2, v0
	v_lshlrev_b32_e32 v11, 2, v11
	v_readfirstlane_b32 s4, v7
	v_readfirstlane_b32 s5, v8
	ds_load_b32 v12, v12 offset:10240
	s_waitcnt lgkmcnt(0)
	global_store_b32 v11, v12, s[4:5]
.LBB1060_216:
	s_or_b32 exec_lo, exec_lo, s2
	v_or_b32_e32 v11, 0xb00, v0
	s_mov_b32 s2, exec_lo
	s_delay_alu instid0(VALU_DEP_1)
	v_cmpx_le_u32_e64 v1, v11
	s_xor_b32 s2, exec_lo, s2
	s_cbranch_execz .LBB1060_222
; %bb.217:
	s_mov_b32 s4, exec_lo
	v_cmpx_le_u32_e64 v10, v11
	s_xor_b32 s4, exec_lo, s4
	s_cbranch_execz .LBB1060_219
; %bb.218:
	v_lshlrev_b32_e32 v12, 2, v0
	v_add_co_u32 v11, vcc_lo, v3, v11
	ds_load_b32 v13, v12 offset:11264
	v_add_co_ci_u32_e32 v12, vcc_lo, 0, v9, vcc_lo
	s_delay_alu instid0(VALU_DEP_1) | instskip(NEXT) | instid1(VALU_DEP_1)
	v_lshlrev_b64 v[11:12], 2, v[11:12]
	v_sub_co_u32 v11, vcc_lo, s1, v11
	s_delay_alu instid0(VALU_DEP_2)
	v_sub_co_ci_u32_e32 v12, vcc_lo, s0, v12, vcc_lo
	s_waitcnt lgkmcnt(0)
	global_store_b32 v[11:12], v13, off
                                        ; implicit-def: $vgpr11
.LBB1060_219:
	s_and_not1_saveexec_b32 s4, s4
	s_cbranch_execz .LBB1060_221
; %bb.220:
	v_lshlrev_b32_e32 v12, 2, v0
	v_lshlrev_b32_e32 v11, 2, v11
	v_readfirstlane_b32 s6, v5
	v_readfirstlane_b32 s7, v6
	ds_load_b32 v12, v12 offset:11264
	s_waitcnt lgkmcnt(0)
	global_store_b32 v11, v12, s[6:7]
.LBB1060_221:
	s_or_b32 exec_lo, exec_lo, s4
                                        ; implicit-def: $vgpr11
.LBB1060_222:
	s_and_not1_saveexec_b32 s2, s2
	s_cbranch_execz .LBB1060_224
; %bb.223:
	v_lshlrev_b32_e32 v12, 2, v0
	v_lshlrev_b32_e32 v11, 2, v11
	v_readfirstlane_b32 s4, v7
	v_readfirstlane_b32 s5, v8
	ds_load_b32 v12, v12 offset:11264
	s_waitcnt lgkmcnt(0)
	global_store_b32 v11, v12, s[4:5]
.LBB1060_224:
	s_or_b32 exec_lo, exec_lo, s2
	v_or_b32_e32 v11, 0xc00, v0
	s_mov_b32 s2, exec_lo
	s_delay_alu instid0(VALU_DEP_1)
	v_cmpx_le_u32_e64 v1, v11
	s_xor_b32 s2, exec_lo, s2
	s_cbranch_execz .LBB1060_230
; %bb.225:
	s_mov_b32 s4, exec_lo
	v_cmpx_le_u32_e64 v10, v11
	s_xor_b32 s4, exec_lo, s4
	s_cbranch_execz .LBB1060_227
; %bb.226:
	v_lshlrev_b32_e32 v12, 2, v0
	v_add_co_u32 v11, vcc_lo, v3, v11
	ds_load_b32 v13, v12 offset:12288
	v_add_co_ci_u32_e32 v12, vcc_lo, 0, v9, vcc_lo
	s_delay_alu instid0(VALU_DEP_1) | instskip(NEXT) | instid1(VALU_DEP_1)
	v_lshlrev_b64 v[11:12], 2, v[11:12]
	v_sub_co_u32 v11, vcc_lo, s1, v11
	s_delay_alu instid0(VALU_DEP_2)
	v_sub_co_ci_u32_e32 v12, vcc_lo, s0, v12, vcc_lo
	s_waitcnt lgkmcnt(0)
	global_store_b32 v[11:12], v13, off
                                        ; implicit-def: $vgpr11
.LBB1060_227:
	s_and_not1_saveexec_b32 s4, s4
	s_cbranch_execz .LBB1060_229
; %bb.228:
	v_lshlrev_b32_e32 v12, 2, v0
	v_lshlrev_b32_e32 v11, 2, v11
	v_readfirstlane_b32 s6, v5
	v_readfirstlane_b32 s7, v6
	ds_load_b32 v12, v12 offset:12288
	s_waitcnt lgkmcnt(0)
	global_store_b32 v11, v12, s[6:7]
.LBB1060_229:
	s_or_b32 exec_lo, exec_lo, s4
                                        ; implicit-def: $vgpr11
.LBB1060_230:
	s_and_not1_saveexec_b32 s2, s2
	s_cbranch_execz .LBB1060_232
; %bb.231:
	v_lshlrev_b32_e32 v12, 2, v0
	v_lshlrev_b32_e32 v11, 2, v11
	v_readfirstlane_b32 s4, v7
	v_readfirstlane_b32 s5, v8
	ds_load_b32 v12, v12 offset:12288
	s_waitcnt lgkmcnt(0)
	global_store_b32 v11, v12, s[4:5]
.LBB1060_232:
	s_or_b32 exec_lo, exec_lo, s2
	s_branch .LBB1060_126
.LBB1060_233:
	s_mov_b32 s2, exec_lo
	v_cmpx_gt_u32_e64 s3, v0
	s_cbranch_execz .LBB1060_242
; %bb.234:
	s_mov_b32 s4, exec_lo
	v_cmpx_le_u32_e64 v1, v0
	s_xor_b32 s4, exec_lo, s4
	s_cbranch_execz .LBB1060_240
; %bb.235:
	s_mov_b32 s5, exec_lo
	v_cmpx_le_u32_e64 v10, v0
	s_xor_b32 s5, exec_lo, s5
	s_cbranch_execz .LBB1060_237
; %bb.236:
	v_lshlrev_b32_e32 v11, 2, v0
	ds_load_b32 v13, v11
	v_add_co_u32 v11, vcc_lo, v3, v0
	v_add_co_ci_u32_e32 v12, vcc_lo, 0, v9, vcc_lo
	s_delay_alu instid0(VALU_DEP_1) | instskip(NEXT) | instid1(VALU_DEP_1)
	v_lshlrev_b64 v[11:12], 2, v[11:12]
	v_sub_co_u32 v11, vcc_lo, s26, v11
	s_delay_alu instid0(VALU_DEP_2)
	v_sub_co_ci_u32_e32 v12, vcc_lo, s27, v12, vcc_lo
	s_waitcnt lgkmcnt(0)
	global_store_b32 v[11:12], v13, off offset:-4
.LBB1060_237:
	s_and_not1_saveexec_b32 s5, s5
	s_cbranch_execz .LBB1060_239
; %bb.238:
	v_lshlrev_b32_e32 v11, 2, v0
	v_readfirstlane_b32 s6, v5
	v_readfirstlane_b32 s7, v6
	ds_load_b32 v12, v11
	s_waitcnt lgkmcnt(0)
	global_store_b32 v11, v12, s[6:7]
.LBB1060_239:
	s_or_b32 exec_lo, exec_lo, s5
.LBB1060_240:
	s_and_not1_saveexec_b32 s4, s4
	s_cbranch_execz .LBB1060_242
; %bb.241:
	v_lshlrev_b32_e32 v11, 2, v0
	v_readfirstlane_b32 s4, v7
	v_readfirstlane_b32 s5, v8
	ds_load_b32 v12, v11
	s_waitcnt lgkmcnt(0)
	global_store_b32 v11, v12, s[4:5]
.LBB1060_242:
	s_or_b32 exec_lo, exec_lo, s2
	v_or_b32_e32 v11, 0x100, v0
	s_mov_b32 s2, exec_lo
	s_delay_alu instid0(VALU_DEP_1)
	v_cmpx_gt_u32_e64 s3, v11
	s_cbranch_execz .LBB1060_251
; %bb.243:
	s_mov_b32 s4, exec_lo
	v_cmpx_le_u32_e64 v1, v11
	s_xor_b32 s4, exec_lo, s4
	s_cbranch_execz .LBB1060_249
; %bb.244:
	s_mov_b32 s5, exec_lo
	v_cmpx_le_u32_e64 v10, v11
	s_xor_b32 s5, exec_lo, s5
	s_cbranch_execz .LBB1060_246
; %bb.245:
	v_lshlrev_b32_e32 v11, 2, v0
	ds_load_b32 v13, v11 offset:1024
	v_add_co_u32 v11, vcc_lo, v3, v0
	v_add_co_ci_u32_e32 v12, vcc_lo, 0, v9, vcc_lo
	s_delay_alu instid0(VALU_DEP_1) | instskip(NEXT) | instid1(VALU_DEP_1)
	v_lshlrev_b64 v[11:12], 2, v[11:12]
	v_sub_co_u32 v11, vcc_lo, s1, v11
	s_delay_alu instid0(VALU_DEP_2)
	v_sub_co_ci_u32_e32 v12, vcc_lo, s0, v12, vcc_lo
	s_waitcnt lgkmcnt(0)
	global_store_b32 v[11:12], v13, off offset:-1024
.LBB1060_246:
	s_and_not1_saveexec_b32 s5, s5
	s_cbranch_execz .LBB1060_248
; %bb.247:
	v_lshlrev_b32_e32 v11, 2, v0
	v_readfirstlane_b32 s6, v5
	v_readfirstlane_b32 s7, v6
	ds_load_b32 v12, v11 offset:1024
	s_waitcnt lgkmcnt(0)
	global_store_b32 v11, v12, s[6:7] offset:1024
.LBB1060_248:
	s_or_b32 exec_lo, exec_lo, s5
.LBB1060_249:
	s_and_not1_saveexec_b32 s4, s4
	s_cbranch_execz .LBB1060_251
; %bb.250:
	v_lshlrev_b32_e32 v11, 2, v0
	v_readfirstlane_b32 s4, v7
	v_readfirstlane_b32 s5, v8
	ds_load_b32 v12, v11 offset:1024
	s_waitcnt lgkmcnt(0)
	global_store_b32 v11, v12, s[4:5] offset:1024
.LBB1060_251:
	s_or_b32 exec_lo, exec_lo, s2
	v_or_b32_e32 v11, 0x200, v0
	s_mov_b32 s2, exec_lo
	s_delay_alu instid0(VALU_DEP_1)
	v_cmpx_gt_u32_e64 s3, v11
	s_cbranch_execz .LBB1060_260
; %bb.252:
	s_mov_b32 s4, exec_lo
	v_cmpx_le_u32_e64 v1, v11
	s_xor_b32 s4, exec_lo, s4
	s_cbranch_execz .LBB1060_258
; %bb.253:
	s_mov_b32 s5, exec_lo
	v_cmpx_le_u32_e64 v10, v11
	s_xor_b32 s5, exec_lo, s5
	s_cbranch_execz .LBB1060_255
; %bb.254:
	v_lshlrev_b32_e32 v11, 2, v0
	ds_load_b32 v13, v11 offset:2048
	v_add_co_u32 v11, vcc_lo, v3, v0
	v_add_co_ci_u32_e32 v12, vcc_lo, 0, v9, vcc_lo
	s_delay_alu instid0(VALU_DEP_1) | instskip(NEXT) | instid1(VALU_DEP_1)
	v_lshlrev_b64 v[11:12], 2, v[11:12]
	v_sub_co_u32 v11, vcc_lo, s1, v11
	s_delay_alu instid0(VALU_DEP_2)
	v_sub_co_ci_u32_e32 v12, vcc_lo, s0, v12, vcc_lo
	s_waitcnt lgkmcnt(0)
	global_store_b32 v[11:12], v13, off offset:-2048
.LBB1060_255:
	s_and_not1_saveexec_b32 s5, s5
	s_cbranch_execz .LBB1060_257
; %bb.256:
	v_lshlrev_b32_e32 v11, 2, v0
	v_readfirstlane_b32 s6, v5
	v_readfirstlane_b32 s7, v6
	ds_load_b32 v12, v11 offset:2048
	s_waitcnt lgkmcnt(0)
	global_store_b32 v11, v12, s[6:7] offset:2048
.LBB1060_257:
	s_or_b32 exec_lo, exec_lo, s5
.LBB1060_258:
	s_and_not1_saveexec_b32 s4, s4
	s_cbranch_execz .LBB1060_260
; %bb.259:
	v_lshlrev_b32_e32 v11, 2, v0
	v_readfirstlane_b32 s4, v7
	v_readfirstlane_b32 s5, v8
	ds_load_b32 v12, v11 offset:2048
	s_waitcnt lgkmcnt(0)
	global_store_b32 v11, v12, s[4:5] offset:2048
.LBB1060_260:
	;; [unrolled: 51-line block ×3, first 2 shown]
	s_or_b32 exec_lo, exec_lo, s2
	v_or_b32_e32 v11, 0x400, v0
	s_mov_b32 s2, exec_lo
	s_delay_alu instid0(VALU_DEP_1)
	v_cmpx_gt_u32_e64 s3, v11
	s_cbranch_execz .LBB1060_278
; %bb.270:
	s_mov_b32 s4, exec_lo
	v_cmpx_le_u32_e64 v1, v11
	s_xor_b32 s4, exec_lo, s4
	s_cbranch_execz .LBB1060_276
; %bb.271:
	s_mov_b32 s5, exec_lo
	v_cmpx_le_u32_e64 v10, v11
	s_xor_b32 s5, exec_lo, s5
	s_cbranch_execz .LBB1060_273
; %bb.272:
	v_lshlrev_b32_e32 v11, 2, v0
	ds_load_b32 v13, v11 offset:4096
	v_add_co_u32 v11, vcc_lo, v3, v0
	v_add_co_ci_u32_e32 v12, vcc_lo, 0, v9, vcc_lo
	s_delay_alu instid0(VALU_DEP_1) | instskip(NEXT) | instid1(VALU_DEP_1)
	v_lshlrev_b64 v[11:12], 2, v[11:12]
	v_sub_co_u32 v11, vcc_lo, s1, v11
	s_delay_alu instid0(VALU_DEP_2)
	v_sub_co_ci_u32_e32 v12, vcc_lo, s0, v12, vcc_lo
	s_waitcnt lgkmcnt(0)
	global_store_b32 v[11:12], v13, off offset:-4096
                                        ; implicit-def: $vgpr11
.LBB1060_273:
	s_and_not1_saveexec_b32 s5, s5
	s_cbranch_execz .LBB1060_275
; %bb.274:
	v_lshlrev_b32_e32 v12, 2, v0
	v_lshlrev_b32_e32 v11, 2, v11
	v_readfirstlane_b32 s6, v5
	v_readfirstlane_b32 s7, v6
	ds_load_b32 v12, v12 offset:4096
	s_waitcnt lgkmcnt(0)
	global_store_b32 v11, v12, s[6:7]
.LBB1060_275:
	s_or_b32 exec_lo, exec_lo, s5
                                        ; implicit-def: $vgpr11
.LBB1060_276:
	s_and_not1_saveexec_b32 s4, s4
	s_cbranch_execz .LBB1060_278
; %bb.277:
	v_lshlrev_b32_e32 v12, 2, v0
	v_lshlrev_b32_e32 v11, 2, v11
	v_readfirstlane_b32 s4, v7
	v_readfirstlane_b32 s5, v8
	ds_load_b32 v12, v12 offset:4096
	s_waitcnt lgkmcnt(0)
	global_store_b32 v11, v12, s[4:5]
.LBB1060_278:
	s_or_b32 exec_lo, exec_lo, s2
	v_or_b32_e32 v11, 0x500, v0
	s_mov_b32 s2, exec_lo
	s_delay_alu instid0(VALU_DEP_1)
	v_cmpx_gt_u32_e64 s3, v11
	s_cbranch_execz .LBB1060_287
; %bb.279:
	s_mov_b32 s4, exec_lo
	v_cmpx_le_u32_e64 v1, v11
	s_xor_b32 s4, exec_lo, s4
	s_cbranch_execz .LBB1060_285
; %bb.280:
	s_mov_b32 s5, exec_lo
	v_cmpx_le_u32_e64 v10, v11
	s_xor_b32 s5, exec_lo, s5
	s_cbranch_execz .LBB1060_282
; %bb.281:
	v_lshlrev_b32_e32 v12, 2, v0
	v_add_co_u32 v11, vcc_lo, v3, v11
	ds_load_b32 v13, v12 offset:5120
	v_add_co_ci_u32_e32 v12, vcc_lo, 0, v9, vcc_lo
	s_delay_alu instid0(VALU_DEP_1) | instskip(NEXT) | instid1(VALU_DEP_1)
	v_lshlrev_b64 v[11:12], 2, v[11:12]
	v_sub_co_u32 v11, vcc_lo, s1, v11
	s_delay_alu instid0(VALU_DEP_2)
	v_sub_co_ci_u32_e32 v12, vcc_lo, s0, v12, vcc_lo
	s_waitcnt lgkmcnt(0)
	global_store_b32 v[11:12], v13, off
                                        ; implicit-def: $vgpr11
.LBB1060_282:
	s_and_not1_saveexec_b32 s5, s5
	s_cbranch_execz .LBB1060_284
; %bb.283:
	v_lshlrev_b32_e32 v12, 2, v0
	v_lshlrev_b32_e32 v11, 2, v11
	v_readfirstlane_b32 s6, v5
	v_readfirstlane_b32 s7, v6
	ds_load_b32 v12, v12 offset:5120
	s_waitcnt lgkmcnt(0)
	global_store_b32 v11, v12, s[6:7]
.LBB1060_284:
	s_or_b32 exec_lo, exec_lo, s5
                                        ; implicit-def: $vgpr11
.LBB1060_285:
	s_and_not1_saveexec_b32 s4, s4
	s_cbranch_execz .LBB1060_287
; %bb.286:
	v_lshlrev_b32_e32 v12, 2, v0
	v_lshlrev_b32_e32 v11, 2, v11
	v_readfirstlane_b32 s4, v7
	v_readfirstlane_b32 s5, v8
	ds_load_b32 v12, v12 offset:5120
	s_waitcnt lgkmcnt(0)
	global_store_b32 v11, v12, s[4:5]
.LBB1060_287:
	s_or_b32 exec_lo, exec_lo, s2
	v_or_b32_e32 v11, 0x600, v0
	s_mov_b32 s2, exec_lo
	s_delay_alu instid0(VALU_DEP_1)
	v_cmpx_gt_u32_e64 s3, v11
	s_cbranch_execz .LBB1060_296
; %bb.288:
	s_mov_b32 s4, exec_lo
	v_cmpx_le_u32_e64 v1, v11
	s_xor_b32 s4, exec_lo, s4
	s_cbranch_execz .LBB1060_294
; %bb.289:
	s_mov_b32 s5, exec_lo
	v_cmpx_le_u32_e64 v10, v11
	s_xor_b32 s5, exec_lo, s5
	s_cbranch_execz .LBB1060_291
; %bb.290:
	v_lshlrev_b32_e32 v12, 2, v0
	v_add_co_u32 v11, vcc_lo, v3, v11
	ds_load_b32 v13, v12 offset:6144
	v_add_co_ci_u32_e32 v12, vcc_lo, 0, v9, vcc_lo
	s_delay_alu instid0(VALU_DEP_1) | instskip(NEXT) | instid1(VALU_DEP_1)
	v_lshlrev_b64 v[11:12], 2, v[11:12]
	v_sub_co_u32 v11, vcc_lo, s1, v11
	s_delay_alu instid0(VALU_DEP_2)
	v_sub_co_ci_u32_e32 v12, vcc_lo, s0, v12, vcc_lo
	s_waitcnt lgkmcnt(0)
	global_store_b32 v[11:12], v13, off
                                        ; implicit-def: $vgpr11
.LBB1060_291:
	s_and_not1_saveexec_b32 s5, s5
	s_cbranch_execz .LBB1060_293
; %bb.292:
	v_lshlrev_b32_e32 v12, 2, v0
	v_lshlrev_b32_e32 v11, 2, v11
	v_readfirstlane_b32 s6, v5
	v_readfirstlane_b32 s7, v6
	ds_load_b32 v12, v12 offset:6144
	s_waitcnt lgkmcnt(0)
	global_store_b32 v11, v12, s[6:7]
.LBB1060_293:
	s_or_b32 exec_lo, exec_lo, s5
                                        ; implicit-def: $vgpr11
.LBB1060_294:
	s_and_not1_saveexec_b32 s4, s4
	s_cbranch_execz .LBB1060_296
; %bb.295:
	v_lshlrev_b32_e32 v12, 2, v0
	v_lshlrev_b32_e32 v11, 2, v11
	v_readfirstlane_b32 s4, v7
	v_readfirstlane_b32 s5, v8
	ds_load_b32 v12, v12 offset:6144
	s_waitcnt lgkmcnt(0)
	global_store_b32 v11, v12, s[4:5]
.LBB1060_296:
	;; [unrolled: 55-line block ×7, first 2 shown]
	s_or_b32 exec_lo, exec_lo, s2
	v_or_b32_e32 v11, 0xc00, v0
	s_mov_b32 s2, exec_lo
	s_delay_alu instid0(VALU_DEP_1)
	v_cmpx_gt_u32_e64 s3, v11
	s_cbranch_execz .LBB1060_350
; %bb.342:
	s_mov_b32 s3, exec_lo
	v_cmpx_le_u32_e64 v1, v11
	s_xor_b32 s3, exec_lo, s3
	s_cbranch_execz .LBB1060_348
; %bb.343:
	s_mov_b32 s4, exec_lo
	v_cmpx_le_u32_e64 v10, v11
	s_xor_b32 s4, exec_lo, s4
	s_cbranch_execz .LBB1060_345
; %bb.344:
	v_lshlrev_b32_e32 v5, 2, v0
	ds_load_b32 v7, v5 offset:12288
	v_add_co_u32 v5, vcc_lo, v3, v11
	v_add_co_ci_u32_e32 v6, vcc_lo, 0, v9, vcc_lo
                                        ; implicit-def: $vgpr11
	s_delay_alu instid0(VALU_DEP_1) | instskip(NEXT) | instid1(VALU_DEP_1)
	v_lshlrev_b64 v[5:6], 2, v[5:6]
	v_sub_co_u32 v5, vcc_lo, s1, v5
	s_delay_alu instid0(VALU_DEP_2)
	v_sub_co_ci_u32_e32 v6, vcc_lo, s0, v6, vcc_lo
	s_waitcnt lgkmcnt(0)
	global_store_b32 v[5:6], v7, off
                                        ; implicit-def: $vgpr5_vgpr6
.LBB1060_345:
	s_and_not1_saveexec_b32 s0, s4
	s_cbranch_execz .LBB1060_347
; %bb.346:
	v_lshlrev_b32_e32 v3, 2, v0
	v_lshlrev_b32_e32 v7, 2, v11
	v_readfirstlane_b32 s4, v5
	v_readfirstlane_b32 s5, v6
	ds_load_b32 v3, v3 offset:12288
	s_waitcnt lgkmcnt(0)
	global_store_b32 v7, v3, s[4:5]
.LBB1060_347:
	s_or_b32 exec_lo, exec_lo, s0
                                        ; implicit-def: $vgpr11
                                        ; implicit-def: $vgpr7_vgpr8
.LBB1060_348:
	s_and_not1_saveexec_b32 s0, s3
	s_cbranch_execz .LBB1060_350
; %bb.349:
	v_lshlrev_b32_e32 v3, 2, v0
	v_lshlrev_b32_e32 v5, 2, v11
	v_readfirstlane_b32 s0, v7
	v_readfirstlane_b32 s1, v8
	ds_load_b32 v3, v3 offset:12288
	s_waitcnt lgkmcnt(0)
	global_store_b32 v5, v3, s[0:1]
.LBB1060_350:
	s_or_b32 exec_lo, exec_lo, s2
	v_cmp_eq_u32_e32 vcc_lo, 0, v0
	s_and_b32 s0, vcc_lo, s14
	s_delay_alu instid0(SALU_CYCLE_1)
	s_and_saveexec_b32 s1, s0
	s_cbranch_execz .LBB1060_127
.LBB1060_351:
	v_add_co_u32 v2, s0, s30, v2
	s_delay_alu instid0(VALU_DEP_1) | instskip(SKIP_2) | instid1(VALU_DEP_4)
	v_add_co_ci_u32_e64 v3, null, s31, 0, s0
	v_add_co_u32 v0, vcc_lo, v18, v1
	v_add_co_ci_u32_e32 v1, vcc_lo, 0, v19, vcc_lo
	v_add_co_u32 v2, vcc_lo, v2, v4
	v_mov_b32_e32 v5, 0
	v_add_co_ci_u32_e32 v3, vcc_lo, 0, v3, vcc_lo
	global_store_b128 v5, v[0:3], s[24:25]
	s_nop 0
	s_sendmsg sendmsg(MSG_DEALLOC_VGPRS)
	s_endpgm
.LBB1060_352:
	v_add_nc_u32_e32 v3, s7, v23
	s_add_i32 s10, s15, 32
	s_mov_b32 s11, 0
	v_dual_mov_b32 v5, 0 :: v_dual_add_nc_u32 v2, v22, v1
	s_lshl_b64 s[10:11], s[10:11], 4
	v_and_b32_e32 v20, 0xff0000, v3
	s_add_u32 s10, s4, s10
	s_addc_u32 s11, s5, s11
	v_and_b32_e32 v4, 0xff000000, v3
	s_delay_alu instid0(VALU_DEP_1) | instskip(SKIP_2) | instid1(VALU_DEP_1)
	v_or_b32_e32 v20, v20, v4
	v_dual_mov_b32 v4, 2 :: v_dual_and_b32 v21, 0xff00, v3
	v_and_b32_e32 v3, 0xff, v3
	v_or3_b32 v3, v20, v21, v3
	v_dual_mov_b32 v21, s11 :: v_dual_mov_b32 v20, s10
	;;#ASMSTART
	global_store_dwordx4 v[20:21], v[2:5] off	
s_waitcnt vmcnt(0)
	;;#ASMEND
	s_or_b32 exec_lo, exec_lo, s8
	s_and_saveexec_b32 s8, s2
	s_cbranch_execz .LBB1060_111
.LBB1060_353:
	v_mov_b32_e32 v2, s7
	v_add_nc_u32_e64 v3, 0x3400, 0
	ds_store_2addr_b32 v3, v1, v2 offset1:2
	ds_store_2addr_b32 v3, v22, v23 offset0:4 offset1:6
	s_or_b32 exec_lo, exec_lo, s8
	v_cmp_eq_u32_e32 vcc_lo, 0, v0
	s_and_b32 exec_lo, exec_lo, vcc_lo
	s_cbranch_execnz .LBB1060_112
	s_branch .LBB1060_113
	.section	.rodata,"a",@progbits
	.p2align	6, 0x0
	.amdhsa_kernel _ZN7rocprim17ROCPRIM_400000_NS6detail17trampoline_kernelINS0_13select_configILj256ELj13ELNS0_17block_load_methodE3ELS4_3ELS4_3ELNS0_20block_scan_algorithmE0ELj4294967295EEENS1_25partition_config_selectorILNS1_17partition_subalgoE4EjNS0_10empty_typeEbEEZZNS1_14partition_implILS8_4ELb0ES6_15HIP_vector_typeIjLj2EENS0_17counting_iteratorIjlEEPS9_SG_NS0_5tupleIJPjSI_NS0_16reverse_iteratorISI_EEEEENSH_IJSG_SG_SG_EEES9_SI_JZNS1_25segmented_radix_sort_implINS0_14default_configELb1EPKdPdPKlPlN2at6native12_GLOBAL__N_18offset_tEEE10hipError_tPvRmT1_PNSt15iterator_traitsIS12_E10value_typeET2_T3_PNS13_IS18_E10value_typeET4_jRbjT5_S1E_jjP12ihipStream_tbEUljE_ZNSN_ISO_Lb1ESQ_SR_ST_SU_SY_EESZ_S10_S11_S12_S16_S17_S18_S1B_S1C_jS1D_jS1E_S1E_jjS1G_bEUljE0_EEESZ_S10_S11_S18_S1C_S1E_T6_T7_T9_mT8_S1G_bDpT10_ENKUlT_T0_E_clISt17integral_constantIbLb0EES1U_EEDaS1P_S1Q_EUlS1P_E_NS1_11comp_targetILNS1_3genE9ELNS1_11target_archE1100ELNS1_3gpuE3ELNS1_3repE0EEENS1_30default_config_static_selectorELNS0_4arch9wavefront6targetE0EEEvS12_
		.amdhsa_group_segment_fixed_size 13340
		.amdhsa_private_segment_fixed_size 0
		.amdhsa_kernarg_size 176
		.amdhsa_user_sgpr_count 15
		.amdhsa_user_sgpr_dispatch_ptr 0
		.amdhsa_user_sgpr_queue_ptr 0
		.amdhsa_user_sgpr_kernarg_segment_ptr 1
		.amdhsa_user_sgpr_dispatch_id 0
		.amdhsa_user_sgpr_private_segment_size 0
		.amdhsa_wavefront_size32 1
		.amdhsa_uses_dynamic_stack 0
		.amdhsa_enable_private_segment 0
		.amdhsa_system_sgpr_workgroup_id_x 1
		.amdhsa_system_sgpr_workgroup_id_y 0
		.amdhsa_system_sgpr_workgroup_id_z 0
		.amdhsa_system_sgpr_workgroup_info 0
		.amdhsa_system_vgpr_workitem_id 0
		.amdhsa_next_free_vgpr 98
		.amdhsa_next_free_sgpr 59
		.amdhsa_reserve_vcc 1
		.amdhsa_float_round_mode_32 0
		.amdhsa_float_round_mode_16_64 0
		.amdhsa_float_denorm_mode_32 3
		.amdhsa_float_denorm_mode_16_64 3
		.amdhsa_dx10_clamp 1
		.amdhsa_ieee_mode 1
		.amdhsa_fp16_overflow 0
		.amdhsa_workgroup_processor_mode 1
		.amdhsa_memory_ordered 1
		.amdhsa_forward_progress 0
		.amdhsa_shared_vgpr_count 0
		.amdhsa_exception_fp_ieee_invalid_op 0
		.amdhsa_exception_fp_denorm_src 0
		.amdhsa_exception_fp_ieee_div_zero 0
		.amdhsa_exception_fp_ieee_overflow 0
		.amdhsa_exception_fp_ieee_underflow 0
		.amdhsa_exception_fp_ieee_inexact 0
		.amdhsa_exception_int_div_zero 0
	.end_amdhsa_kernel
	.section	.text._ZN7rocprim17ROCPRIM_400000_NS6detail17trampoline_kernelINS0_13select_configILj256ELj13ELNS0_17block_load_methodE3ELS4_3ELS4_3ELNS0_20block_scan_algorithmE0ELj4294967295EEENS1_25partition_config_selectorILNS1_17partition_subalgoE4EjNS0_10empty_typeEbEEZZNS1_14partition_implILS8_4ELb0ES6_15HIP_vector_typeIjLj2EENS0_17counting_iteratorIjlEEPS9_SG_NS0_5tupleIJPjSI_NS0_16reverse_iteratorISI_EEEEENSH_IJSG_SG_SG_EEES9_SI_JZNS1_25segmented_radix_sort_implINS0_14default_configELb1EPKdPdPKlPlN2at6native12_GLOBAL__N_18offset_tEEE10hipError_tPvRmT1_PNSt15iterator_traitsIS12_E10value_typeET2_T3_PNS13_IS18_E10value_typeET4_jRbjT5_S1E_jjP12ihipStream_tbEUljE_ZNSN_ISO_Lb1ESQ_SR_ST_SU_SY_EESZ_S10_S11_S12_S16_S17_S18_S1B_S1C_jS1D_jS1E_S1E_jjS1G_bEUljE0_EEESZ_S10_S11_S18_S1C_S1E_T6_T7_T9_mT8_S1G_bDpT10_ENKUlT_T0_E_clISt17integral_constantIbLb0EES1U_EEDaS1P_S1Q_EUlS1P_E_NS1_11comp_targetILNS1_3genE9ELNS1_11target_archE1100ELNS1_3gpuE3ELNS1_3repE0EEENS1_30default_config_static_selectorELNS0_4arch9wavefront6targetE0EEEvS12_,"axG",@progbits,_ZN7rocprim17ROCPRIM_400000_NS6detail17trampoline_kernelINS0_13select_configILj256ELj13ELNS0_17block_load_methodE3ELS4_3ELS4_3ELNS0_20block_scan_algorithmE0ELj4294967295EEENS1_25partition_config_selectorILNS1_17partition_subalgoE4EjNS0_10empty_typeEbEEZZNS1_14partition_implILS8_4ELb0ES6_15HIP_vector_typeIjLj2EENS0_17counting_iteratorIjlEEPS9_SG_NS0_5tupleIJPjSI_NS0_16reverse_iteratorISI_EEEEENSH_IJSG_SG_SG_EEES9_SI_JZNS1_25segmented_radix_sort_implINS0_14default_configELb1EPKdPdPKlPlN2at6native12_GLOBAL__N_18offset_tEEE10hipError_tPvRmT1_PNSt15iterator_traitsIS12_E10value_typeET2_T3_PNS13_IS18_E10value_typeET4_jRbjT5_S1E_jjP12ihipStream_tbEUljE_ZNSN_ISO_Lb1ESQ_SR_ST_SU_SY_EESZ_S10_S11_S12_S16_S17_S18_S1B_S1C_jS1D_jS1E_S1E_jjS1G_bEUljE0_EEESZ_S10_S11_S18_S1C_S1E_T6_T7_T9_mT8_S1G_bDpT10_ENKUlT_T0_E_clISt17integral_constantIbLb0EES1U_EEDaS1P_S1Q_EUlS1P_E_NS1_11comp_targetILNS1_3genE9ELNS1_11target_archE1100ELNS1_3gpuE3ELNS1_3repE0EEENS1_30default_config_static_selectorELNS0_4arch9wavefront6targetE0EEEvS12_,comdat
.Lfunc_end1060:
	.size	_ZN7rocprim17ROCPRIM_400000_NS6detail17trampoline_kernelINS0_13select_configILj256ELj13ELNS0_17block_load_methodE3ELS4_3ELS4_3ELNS0_20block_scan_algorithmE0ELj4294967295EEENS1_25partition_config_selectorILNS1_17partition_subalgoE4EjNS0_10empty_typeEbEEZZNS1_14partition_implILS8_4ELb0ES6_15HIP_vector_typeIjLj2EENS0_17counting_iteratorIjlEEPS9_SG_NS0_5tupleIJPjSI_NS0_16reverse_iteratorISI_EEEEENSH_IJSG_SG_SG_EEES9_SI_JZNS1_25segmented_radix_sort_implINS0_14default_configELb1EPKdPdPKlPlN2at6native12_GLOBAL__N_18offset_tEEE10hipError_tPvRmT1_PNSt15iterator_traitsIS12_E10value_typeET2_T3_PNS13_IS18_E10value_typeET4_jRbjT5_S1E_jjP12ihipStream_tbEUljE_ZNSN_ISO_Lb1ESQ_SR_ST_SU_SY_EESZ_S10_S11_S12_S16_S17_S18_S1B_S1C_jS1D_jS1E_S1E_jjS1G_bEUljE0_EEESZ_S10_S11_S18_S1C_S1E_T6_T7_T9_mT8_S1G_bDpT10_ENKUlT_T0_E_clISt17integral_constantIbLb0EES1U_EEDaS1P_S1Q_EUlS1P_E_NS1_11comp_targetILNS1_3genE9ELNS1_11target_archE1100ELNS1_3gpuE3ELNS1_3repE0EEENS1_30default_config_static_selectorELNS0_4arch9wavefront6targetE0EEEvS12_, .Lfunc_end1060-_ZN7rocprim17ROCPRIM_400000_NS6detail17trampoline_kernelINS0_13select_configILj256ELj13ELNS0_17block_load_methodE3ELS4_3ELS4_3ELNS0_20block_scan_algorithmE0ELj4294967295EEENS1_25partition_config_selectorILNS1_17partition_subalgoE4EjNS0_10empty_typeEbEEZZNS1_14partition_implILS8_4ELb0ES6_15HIP_vector_typeIjLj2EENS0_17counting_iteratorIjlEEPS9_SG_NS0_5tupleIJPjSI_NS0_16reverse_iteratorISI_EEEEENSH_IJSG_SG_SG_EEES9_SI_JZNS1_25segmented_radix_sort_implINS0_14default_configELb1EPKdPdPKlPlN2at6native12_GLOBAL__N_18offset_tEEE10hipError_tPvRmT1_PNSt15iterator_traitsIS12_E10value_typeET2_T3_PNS13_IS18_E10value_typeET4_jRbjT5_S1E_jjP12ihipStream_tbEUljE_ZNSN_ISO_Lb1ESQ_SR_ST_SU_SY_EESZ_S10_S11_S12_S16_S17_S18_S1B_S1C_jS1D_jS1E_S1E_jjS1G_bEUljE0_EEESZ_S10_S11_S18_S1C_S1E_T6_T7_T9_mT8_S1G_bDpT10_ENKUlT_T0_E_clISt17integral_constantIbLb0EES1U_EEDaS1P_S1Q_EUlS1P_E_NS1_11comp_targetILNS1_3genE9ELNS1_11target_archE1100ELNS1_3gpuE3ELNS1_3repE0EEENS1_30default_config_static_selectorELNS0_4arch9wavefront6targetE0EEEvS12_
                                        ; -- End function
	.section	.AMDGPU.csdata,"",@progbits
; Kernel info:
; codeLenInByte = 14984
; NumSgprs: 61
; NumVgprs: 98
; ScratchSize: 0
; MemoryBound: 0
; FloatMode: 240
; IeeeMode: 1
; LDSByteSize: 13340 bytes/workgroup (compile time only)
; SGPRBlocks: 7
; VGPRBlocks: 12
; NumSGPRsForWavesPerEU: 61
; NumVGPRsForWavesPerEU: 98
; Occupancy: 12
; WaveLimiterHint : 1
; COMPUTE_PGM_RSRC2:SCRATCH_EN: 0
; COMPUTE_PGM_RSRC2:USER_SGPR: 15
; COMPUTE_PGM_RSRC2:TRAP_HANDLER: 0
; COMPUTE_PGM_RSRC2:TGID_X_EN: 1
; COMPUTE_PGM_RSRC2:TGID_Y_EN: 0
; COMPUTE_PGM_RSRC2:TGID_Z_EN: 0
; COMPUTE_PGM_RSRC2:TIDIG_COMP_CNT: 0
	.section	.text._ZN7rocprim17ROCPRIM_400000_NS6detail17trampoline_kernelINS0_13select_configILj256ELj13ELNS0_17block_load_methodE3ELS4_3ELS4_3ELNS0_20block_scan_algorithmE0ELj4294967295EEENS1_25partition_config_selectorILNS1_17partition_subalgoE4EjNS0_10empty_typeEbEEZZNS1_14partition_implILS8_4ELb0ES6_15HIP_vector_typeIjLj2EENS0_17counting_iteratorIjlEEPS9_SG_NS0_5tupleIJPjSI_NS0_16reverse_iteratorISI_EEEEENSH_IJSG_SG_SG_EEES9_SI_JZNS1_25segmented_radix_sort_implINS0_14default_configELb1EPKdPdPKlPlN2at6native12_GLOBAL__N_18offset_tEEE10hipError_tPvRmT1_PNSt15iterator_traitsIS12_E10value_typeET2_T3_PNS13_IS18_E10value_typeET4_jRbjT5_S1E_jjP12ihipStream_tbEUljE_ZNSN_ISO_Lb1ESQ_SR_ST_SU_SY_EESZ_S10_S11_S12_S16_S17_S18_S1B_S1C_jS1D_jS1E_S1E_jjS1G_bEUljE0_EEESZ_S10_S11_S18_S1C_S1E_T6_T7_T9_mT8_S1G_bDpT10_ENKUlT_T0_E_clISt17integral_constantIbLb0EES1U_EEDaS1P_S1Q_EUlS1P_E_NS1_11comp_targetILNS1_3genE8ELNS1_11target_archE1030ELNS1_3gpuE2ELNS1_3repE0EEENS1_30default_config_static_selectorELNS0_4arch9wavefront6targetE0EEEvS12_,"axG",@progbits,_ZN7rocprim17ROCPRIM_400000_NS6detail17trampoline_kernelINS0_13select_configILj256ELj13ELNS0_17block_load_methodE3ELS4_3ELS4_3ELNS0_20block_scan_algorithmE0ELj4294967295EEENS1_25partition_config_selectorILNS1_17partition_subalgoE4EjNS0_10empty_typeEbEEZZNS1_14partition_implILS8_4ELb0ES6_15HIP_vector_typeIjLj2EENS0_17counting_iteratorIjlEEPS9_SG_NS0_5tupleIJPjSI_NS0_16reverse_iteratorISI_EEEEENSH_IJSG_SG_SG_EEES9_SI_JZNS1_25segmented_radix_sort_implINS0_14default_configELb1EPKdPdPKlPlN2at6native12_GLOBAL__N_18offset_tEEE10hipError_tPvRmT1_PNSt15iterator_traitsIS12_E10value_typeET2_T3_PNS13_IS18_E10value_typeET4_jRbjT5_S1E_jjP12ihipStream_tbEUljE_ZNSN_ISO_Lb1ESQ_SR_ST_SU_SY_EESZ_S10_S11_S12_S16_S17_S18_S1B_S1C_jS1D_jS1E_S1E_jjS1G_bEUljE0_EEESZ_S10_S11_S18_S1C_S1E_T6_T7_T9_mT8_S1G_bDpT10_ENKUlT_T0_E_clISt17integral_constantIbLb0EES1U_EEDaS1P_S1Q_EUlS1P_E_NS1_11comp_targetILNS1_3genE8ELNS1_11target_archE1030ELNS1_3gpuE2ELNS1_3repE0EEENS1_30default_config_static_selectorELNS0_4arch9wavefront6targetE0EEEvS12_,comdat
	.globl	_ZN7rocprim17ROCPRIM_400000_NS6detail17trampoline_kernelINS0_13select_configILj256ELj13ELNS0_17block_load_methodE3ELS4_3ELS4_3ELNS0_20block_scan_algorithmE0ELj4294967295EEENS1_25partition_config_selectorILNS1_17partition_subalgoE4EjNS0_10empty_typeEbEEZZNS1_14partition_implILS8_4ELb0ES6_15HIP_vector_typeIjLj2EENS0_17counting_iteratorIjlEEPS9_SG_NS0_5tupleIJPjSI_NS0_16reverse_iteratorISI_EEEEENSH_IJSG_SG_SG_EEES9_SI_JZNS1_25segmented_radix_sort_implINS0_14default_configELb1EPKdPdPKlPlN2at6native12_GLOBAL__N_18offset_tEEE10hipError_tPvRmT1_PNSt15iterator_traitsIS12_E10value_typeET2_T3_PNS13_IS18_E10value_typeET4_jRbjT5_S1E_jjP12ihipStream_tbEUljE_ZNSN_ISO_Lb1ESQ_SR_ST_SU_SY_EESZ_S10_S11_S12_S16_S17_S18_S1B_S1C_jS1D_jS1E_S1E_jjS1G_bEUljE0_EEESZ_S10_S11_S18_S1C_S1E_T6_T7_T9_mT8_S1G_bDpT10_ENKUlT_T0_E_clISt17integral_constantIbLb0EES1U_EEDaS1P_S1Q_EUlS1P_E_NS1_11comp_targetILNS1_3genE8ELNS1_11target_archE1030ELNS1_3gpuE2ELNS1_3repE0EEENS1_30default_config_static_selectorELNS0_4arch9wavefront6targetE0EEEvS12_ ; -- Begin function _ZN7rocprim17ROCPRIM_400000_NS6detail17trampoline_kernelINS0_13select_configILj256ELj13ELNS0_17block_load_methodE3ELS4_3ELS4_3ELNS0_20block_scan_algorithmE0ELj4294967295EEENS1_25partition_config_selectorILNS1_17partition_subalgoE4EjNS0_10empty_typeEbEEZZNS1_14partition_implILS8_4ELb0ES6_15HIP_vector_typeIjLj2EENS0_17counting_iteratorIjlEEPS9_SG_NS0_5tupleIJPjSI_NS0_16reverse_iteratorISI_EEEEENSH_IJSG_SG_SG_EEES9_SI_JZNS1_25segmented_radix_sort_implINS0_14default_configELb1EPKdPdPKlPlN2at6native12_GLOBAL__N_18offset_tEEE10hipError_tPvRmT1_PNSt15iterator_traitsIS12_E10value_typeET2_T3_PNS13_IS18_E10value_typeET4_jRbjT5_S1E_jjP12ihipStream_tbEUljE_ZNSN_ISO_Lb1ESQ_SR_ST_SU_SY_EESZ_S10_S11_S12_S16_S17_S18_S1B_S1C_jS1D_jS1E_S1E_jjS1G_bEUljE0_EEESZ_S10_S11_S18_S1C_S1E_T6_T7_T9_mT8_S1G_bDpT10_ENKUlT_T0_E_clISt17integral_constantIbLb0EES1U_EEDaS1P_S1Q_EUlS1P_E_NS1_11comp_targetILNS1_3genE8ELNS1_11target_archE1030ELNS1_3gpuE2ELNS1_3repE0EEENS1_30default_config_static_selectorELNS0_4arch9wavefront6targetE0EEEvS12_
	.p2align	8
	.type	_ZN7rocprim17ROCPRIM_400000_NS6detail17trampoline_kernelINS0_13select_configILj256ELj13ELNS0_17block_load_methodE3ELS4_3ELS4_3ELNS0_20block_scan_algorithmE0ELj4294967295EEENS1_25partition_config_selectorILNS1_17partition_subalgoE4EjNS0_10empty_typeEbEEZZNS1_14partition_implILS8_4ELb0ES6_15HIP_vector_typeIjLj2EENS0_17counting_iteratorIjlEEPS9_SG_NS0_5tupleIJPjSI_NS0_16reverse_iteratorISI_EEEEENSH_IJSG_SG_SG_EEES9_SI_JZNS1_25segmented_radix_sort_implINS0_14default_configELb1EPKdPdPKlPlN2at6native12_GLOBAL__N_18offset_tEEE10hipError_tPvRmT1_PNSt15iterator_traitsIS12_E10value_typeET2_T3_PNS13_IS18_E10value_typeET4_jRbjT5_S1E_jjP12ihipStream_tbEUljE_ZNSN_ISO_Lb1ESQ_SR_ST_SU_SY_EESZ_S10_S11_S12_S16_S17_S18_S1B_S1C_jS1D_jS1E_S1E_jjS1G_bEUljE0_EEESZ_S10_S11_S18_S1C_S1E_T6_T7_T9_mT8_S1G_bDpT10_ENKUlT_T0_E_clISt17integral_constantIbLb0EES1U_EEDaS1P_S1Q_EUlS1P_E_NS1_11comp_targetILNS1_3genE8ELNS1_11target_archE1030ELNS1_3gpuE2ELNS1_3repE0EEENS1_30default_config_static_selectorELNS0_4arch9wavefront6targetE0EEEvS12_,@function
_ZN7rocprim17ROCPRIM_400000_NS6detail17trampoline_kernelINS0_13select_configILj256ELj13ELNS0_17block_load_methodE3ELS4_3ELS4_3ELNS0_20block_scan_algorithmE0ELj4294967295EEENS1_25partition_config_selectorILNS1_17partition_subalgoE4EjNS0_10empty_typeEbEEZZNS1_14partition_implILS8_4ELb0ES6_15HIP_vector_typeIjLj2EENS0_17counting_iteratorIjlEEPS9_SG_NS0_5tupleIJPjSI_NS0_16reverse_iteratorISI_EEEEENSH_IJSG_SG_SG_EEES9_SI_JZNS1_25segmented_radix_sort_implINS0_14default_configELb1EPKdPdPKlPlN2at6native12_GLOBAL__N_18offset_tEEE10hipError_tPvRmT1_PNSt15iterator_traitsIS12_E10value_typeET2_T3_PNS13_IS18_E10value_typeET4_jRbjT5_S1E_jjP12ihipStream_tbEUljE_ZNSN_ISO_Lb1ESQ_SR_ST_SU_SY_EESZ_S10_S11_S12_S16_S17_S18_S1B_S1C_jS1D_jS1E_S1E_jjS1G_bEUljE0_EEESZ_S10_S11_S18_S1C_S1E_T6_T7_T9_mT8_S1G_bDpT10_ENKUlT_T0_E_clISt17integral_constantIbLb0EES1U_EEDaS1P_S1Q_EUlS1P_E_NS1_11comp_targetILNS1_3genE8ELNS1_11target_archE1030ELNS1_3gpuE2ELNS1_3repE0EEENS1_30default_config_static_selectorELNS0_4arch9wavefront6targetE0EEEvS12_: ; @_ZN7rocprim17ROCPRIM_400000_NS6detail17trampoline_kernelINS0_13select_configILj256ELj13ELNS0_17block_load_methodE3ELS4_3ELS4_3ELNS0_20block_scan_algorithmE0ELj4294967295EEENS1_25partition_config_selectorILNS1_17partition_subalgoE4EjNS0_10empty_typeEbEEZZNS1_14partition_implILS8_4ELb0ES6_15HIP_vector_typeIjLj2EENS0_17counting_iteratorIjlEEPS9_SG_NS0_5tupleIJPjSI_NS0_16reverse_iteratorISI_EEEEENSH_IJSG_SG_SG_EEES9_SI_JZNS1_25segmented_radix_sort_implINS0_14default_configELb1EPKdPdPKlPlN2at6native12_GLOBAL__N_18offset_tEEE10hipError_tPvRmT1_PNSt15iterator_traitsIS12_E10value_typeET2_T3_PNS13_IS18_E10value_typeET4_jRbjT5_S1E_jjP12ihipStream_tbEUljE_ZNSN_ISO_Lb1ESQ_SR_ST_SU_SY_EESZ_S10_S11_S12_S16_S17_S18_S1B_S1C_jS1D_jS1E_S1E_jjS1G_bEUljE0_EEESZ_S10_S11_S18_S1C_S1E_T6_T7_T9_mT8_S1G_bDpT10_ENKUlT_T0_E_clISt17integral_constantIbLb0EES1U_EEDaS1P_S1Q_EUlS1P_E_NS1_11comp_targetILNS1_3genE8ELNS1_11target_archE1030ELNS1_3gpuE2ELNS1_3repE0EEENS1_30default_config_static_selectorELNS0_4arch9wavefront6targetE0EEEvS12_
; %bb.0:
	.section	.rodata,"a",@progbits
	.p2align	6, 0x0
	.amdhsa_kernel _ZN7rocprim17ROCPRIM_400000_NS6detail17trampoline_kernelINS0_13select_configILj256ELj13ELNS0_17block_load_methodE3ELS4_3ELS4_3ELNS0_20block_scan_algorithmE0ELj4294967295EEENS1_25partition_config_selectorILNS1_17partition_subalgoE4EjNS0_10empty_typeEbEEZZNS1_14partition_implILS8_4ELb0ES6_15HIP_vector_typeIjLj2EENS0_17counting_iteratorIjlEEPS9_SG_NS0_5tupleIJPjSI_NS0_16reverse_iteratorISI_EEEEENSH_IJSG_SG_SG_EEES9_SI_JZNS1_25segmented_radix_sort_implINS0_14default_configELb1EPKdPdPKlPlN2at6native12_GLOBAL__N_18offset_tEEE10hipError_tPvRmT1_PNSt15iterator_traitsIS12_E10value_typeET2_T3_PNS13_IS18_E10value_typeET4_jRbjT5_S1E_jjP12ihipStream_tbEUljE_ZNSN_ISO_Lb1ESQ_SR_ST_SU_SY_EESZ_S10_S11_S12_S16_S17_S18_S1B_S1C_jS1D_jS1E_S1E_jjS1G_bEUljE0_EEESZ_S10_S11_S18_S1C_S1E_T6_T7_T9_mT8_S1G_bDpT10_ENKUlT_T0_E_clISt17integral_constantIbLb0EES1U_EEDaS1P_S1Q_EUlS1P_E_NS1_11comp_targetILNS1_3genE8ELNS1_11target_archE1030ELNS1_3gpuE2ELNS1_3repE0EEENS1_30default_config_static_selectorELNS0_4arch9wavefront6targetE0EEEvS12_
		.amdhsa_group_segment_fixed_size 0
		.amdhsa_private_segment_fixed_size 0
		.amdhsa_kernarg_size 176
		.amdhsa_user_sgpr_count 15
		.amdhsa_user_sgpr_dispatch_ptr 0
		.amdhsa_user_sgpr_queue_ptr 0
		.amdhsa_user_sgpr_kernarg_segment_ptr 1
		.amdhsa_user_sgpr_dispatch_id 0
		.amdhsa_user_sgpr_private_segment_size 0
		.amdhsa_wavefront_size32 1
		.amdhsa_uses_dynamic_stack 0
		.amdhsa_enable_private_segment 0
		.amdhsa_system_sgpr_workgroup_id_x 1
		.amdhsa_system_sgpr_workgroup_id_y 0
		.amdhsa_system_sgpr_workgroup_id_z 0
		.amdhsa_system_sgpr_workgroup_info 0
		.amdhsa_system_vgpr_workitem_id 0
		.amdhsa_next_free_vgpr 1
		.amdhsa_next_free_sgpr 1
		.amdhsa_reserve_vcc 0
		.amdhsa_float_round_mode_32 0
		.amdhsa_float_round_mode_16_64 0
		.amdhsa_float_denorm_mode_32 3
		.amdhsa_float_denorm_mode_16_64 3
		.amdhsa_dx10_clamp 1
		.amdhsa_ieee_mode 1
		.amdhsa_fp16_overflow 0
		.amdhsa_workgroup_processor_mode 1
		.amdhsa_memory_ordered 1
		.amdhsa_forward_progress 0
		.amdhsa_shared_vgpr_count 0
		.amdhsa_exception_fp_ieee_invalid_op 0
		.amdhsa_exception_fp_denorm_src 0
		.amdhsa_exception_fp_ieee_div_zero 0
		.amdhsa_exception_fp_ieee_overflow 0
		.amdhsa_exception_fp_ieee_underflow 0
		.amdhsa_exception_fp_ieee_inexact 0
		.amdhsa_exception_int_div_zero 0
	.end_amdhsa_kernel
	.section	.text._ZN7rocprim17ROCPRIM_400000_NS6detail17trampoline_kernelINS0_13select_configILj256ELj13ELNS0_17block_load_methodE3ELS4_3ELS4_3ELNS0_20block_scan_algorithmE0ELj4294967295EEENS1_25partition_config_selectorILNS1_17partition_subalgoE4EjNS0_10empty_typeEbEEZZNS1_14partition_implILS8_4ELb0ES6_15HIP_vector_typeIjLj2EENS0_17counting_iteratorIjlEEPS9_SG_NS0_5tupleIJPjSI_NS0_16reverse_iteratorISI_EEEEENSH_IJSG_SG_SG_EEES9_SI_JZNS1_25segmented_radix_sort_implINS0_14default_configELb1EPKdPdPKlPlN2at6native12_GLOBAL__N_18offset_tEEE10hipError_tPvRmT1_PNSt15iterator_traitsIS12_E10value_typeET2_T3_PNS13_IS18_E10value_typeET4_jRbjT5_S1E_jjP12ihipStream_tbEUljE_ZNSN_ISO_Lb1ESQ_SR_ST_SU_SY_EESZ_S10_S11_S12_S16_S17_S18_S1B_S1C_jS1D_jS1E_S1E_jjS1G_bEUljE0_EEESZ_S10_S11_S18_S1C_S1E_T6_T7_T9_mT8_S1G_bDpT10_ENKUlT_T0_E_clISt17integral_constantIbLb0EES1U_EEDaS1P_S1Q_EUlS1P_E_NS1_11comp_targetILNS1_3genE8ELNS1_11target_archE1030ELNS1_3gpuE2ELNS1_3repE0EEENS1_30default_config_static_selectorELNS0_4arch9wavefront6targetE0EEEvS12_,"axG",@progbits,_ZN7rocprim17ROCPRIM_400000_NS6detail17trampoline_kernelINS0_13select_configILj256ELj13ELNS0_17block_load_methodE3ELS4_3ELS4_3ELNS0_20block_scan_algorithmE0ELj4294967295EEENS1_25partition_config_selectorILNS1_17partition_subalgoE4EjNS0_10empty_typeEbEEZZNS1_14partition_implILS8_4ELb0ES6_15HIP_vector_typeIjLj2EENS0_17counting_iteratorIjlEEPS9_SG_NS0_5tupleIJPjSI_NS0_16reverse_iteratorISI_EEEEENSH_IJSG_SG_SG_EEES9_SI_JZNS1_25segmented_radix_sort_implINS0_14default_configELb1EPKdPdPKlPlN2at6native12_GLOBAL__N_18offset_tEEE10hipError_tPvRmT1_PNSt15iterator_traitsIS12_E10value_typeET2_T3_PNS13_IS18_E10value_typeET4_jRbjT5_S1E_jjP12ihipStream_tbEUljE_ZNSN_ISO_Lb1ESQ_SR_ST_SU_SY_EESZ_S10_S11_S12_S16_S17_S18_S1B_S1C_jS1D_jS1E_S1E_jjS1G_bEUljE0_EEESZ_S10_S11_S18_S1C_S1E_T6_T7_T9_mT8_S1G_bDpT10_ENKUlT_T0_E_clISt17integral_constantIbLb0EES1U_EEDaS1P_S1Q_EUlS1P_E_NS1_11comp_targetILNS1_3genE8ELNS1_11target_archE1030ELNS1_3gpuE2ELNS1_3repE0EEENS1_30default_config_static_selectorELNS0_4arch9wavefront6targetE0EEEvS12_,comdat
.Lfunc_end1061:
	.size	_ZN7rocprim17ROCPRIM_400000_NS6detail17trampoline_kernelINS0_13select_configILj256ELj13ELNS0_17block_load_methodE3ELS4_3ELS4_3ELNS0_20block_scan_algorithmE0ELj4294967295EEENS1_25partition_config_selectorILNS1_17partition_subalgoE4EjNS0_10empty_typeEbEEZZNS1_14partition_implILS8_4ELb0ES6_15HIP_vector_typeIjLj2EENS0_17counting_iteratorIjlEEPS9_SG_NS0_5tupleIJPjSI_NS0_16reverse_iteratorISI_EEEEENSH_IJSG_SG_SG_EEES9_SI_JZNS1_25segmented_radix_sort_implINS0_14default_configELb1EPKdPdPKlPlN2at6native12_GLOBAL__N_18offset_tEEE10hipError_tPvRmT1_PNSt15iterator_traitsIS12_E10value_typeET2_T3_PNS13_IS18_E10value_typeET4_jRbjT5_S1E_jjP12ihipStream_tbEUljE_ZNSN_ISO_Lb1ESQ_SR_ST_SU_SY_EESZ_S10_S11_S12_S16_S17_S18_S1B_S1C_jS1D_jS1E_S1E_jjS1G_bEUljE0_EEESZ_S10_S11_S18_S1C_S1E_T6_T7_T9_mT8_S1G_bDpT10_ENKUlT_T0_E_clISt17integral_constantIbLb0EES1U_EEDaS1P_S1Q_EUlS1P_E_NS1_11comp_targetILNS1_3genE8ELNS1_11target_archE1030ELNS1_3gpuE2ELNS1_3repE0EEENS1_30default_config_static_selectorELNS0_4arch9wavefront6targetE0EEEvS12_, .Lfunc_end1061-_ZN7rocprim17ROCPRIM_400000_NS6detail17trampoline_kernelINS0_13select_configILj256ELj13ELNS0_17block_load_methodE3ELS4_3ELS4_3ELNS0_20block_scan_algorithmE0ELj4294967295EEENS1_25partition_config_selectorILNS1_17partition_subalgoE4EjNS0_10empty_typeEbEEZZNS1_14partition_implILS8_4ELb0ES6_15HIP_vector_typeIjLj2EENS0_17counting_iteratorIjlEEPS9_SG_NS0_5tupleIJPjSI_NS0_16reverse_iteratorISI_EEEEENSH_IJSG_SG_SG_EEES9_SI_JZNS1_25segmented_radix_sort_implINS0_14default_configELb1EPKdPdPKlPlN2at6native12_GLOBAL__N_18offset_tEEE10hipError_tPvRmT1_PNSt15iterator_traitsIS12_E10value_typeET2_T3_PNS13_IS18_E10value_typeET4_jRbjT5_S1E_jjP12ihipStream_tbEUljE_ZNSN_ISO_Lb1ESQ_SR_ST_SU_SY_EESZ_S10_S11_S12_S16_S17_S18_S1B_S1C_jS1D_jS1E_S1E_jjS1G_bEUljE0_EEESZ_S10_S11_S18_S1C_S1E_T6_T7_T9_mT8_S1G_bDpT10_ENKUlT_T0_E_clISt17integral_constantIbLb0EES1U_EEDaS1P_S1Q_EUlS1P_E_NS1_11comp_targetILNS1_3genE8ELNS1_11target_archE1030ELNS1_3gpuE2ELNS1_3repE0EEENS1_30default_config_static_selectorELNS0_4arch9wavefront6targetE0EEEvS12_
                                        ; -- End function
	.section	.AMDGPU.csdata,"",@progbits
; Kernel info:
; codeLenInByte = 0
; NumSgprs: 0
; NumVgprs: 0
; ScratchSize: 0
; MemoryBound: 0
; FloatMode: 240
; IeeeMode: 1
; LDSByteSize: 0 bytes/workgroup (compile time only)
; SGPRBlocks: 0
; VGPRBlocks: 0
; NumSGPRsForWavesPerEU: 1
; NumVGPRsForWavesPerEU: 1
; Occupancy: 16
; WaveLimiterHint : 0
; COMPUTE_PGM_RSRC2:SCRATCH_EN: 0
; COMPUTE_PGM_RSRC2:USER_SGPR: 15
; COMPUTE_PGM_RSRC2:TRAP_HANDLER: 0
; COMPUTE_PGM_RSRC2:TGID_X_EN: 1
; COMPUTE_PGM_RSRC2:TGID_Y_EN: 0
; COMPUTE_PGM_RSRC2:TGID_Z_EN: 0
; COMPUTE_PGM_RSRC2:TIDIG_COMP_CNT: 0
	.section	.text._ZN7rocprim17ROCPRIM_400000_NS6detail17trampoline_kernelINS0_13select_configILj256ELj13ELNS0_17block_load_methodE3ELS4_3ELS4_3ELNS0_20block_scan_algorithmE0ELj4294967295EEENS1_25partition_config_selectorILNS1_17partition_subalgoE4EjNS0_10empty_typeEbEEZZNS1_14partition_implILS8_4ELb0ES6_15HIP_vector_typeIjLj2EENS0_17counting_iteratorIjlEEPS9_SG_NS0_5tupleIJPjSI_NS0_16reverse_iteratorISI_EEEEENSH_IJSG_SG_SG_EEES9_SI_JZNS1_25segmented_radix_sort_implINS0_14default_configELb1EPKdPdPKlPlN2at6native12_GLOBAL__N_18offset_tEEE10hipError_tPvRmT1_PNSt15iterator_traitsIS12_E10value_typeET2_T3_PNS13_IS18_E10value_typeET4_jRbjT5_S1E_jjP12ihipStream_tbEUljE_ZNSN_ISO_Lb1ESQ_SR_ST_SU_SY_EESZ_S10_S11_S12_S16_S17_S18_S1B_S1C_jS1D_jS1E_S1E_jjS1G_bEUljE0_EEESZ_S10_S11_S18_S1C_S1E_T6_T7_T9_mT8_S1G_bDpT10_ENKUlT_T0_E_clISt17integral_constantIbLb1EES1U_EEDaS1P_S1Q_EUlS1P_E_NS1_11comp_targetILNS1_3genE0ELNS1_11target_archE4294967295ELNS1_3gpuE0ELNS1_3repE0EEENS1_30default_config_static_selectorELNS0_4arch9wavefront6targetE0EEEvS12_,"axG",@progbits,_ZN7rocprim17ROCPRIM_400000_NS6detail17trampoline_kernelINS0_13select_configILj256ELj13ELNS0_17block_load_methodE3ELS4_3ELS4_3ELNS0_20block_scan_algorithmE0ELj4294967295EEENS1_25partition_config_selectorILNS1_17partition_subalgoE4EjNS0_10empty_typeEbEEZZNS1_14partition_implILS8_4ELb0ES6_15HIP_vector_typeIjLj2EENS0_17counting_iteratorIjlEEPS9_SG_NS0_5tupleIJPjSI_NS0_16reverse_iteratorISI_EEEEENSH_IJSG_SG_SG_EEES9_SI_JZNS1_25segmented_radix_sort_implINS0_14default_configELb1EPKdPdPKlPlN2at6native12_GLOBAL__N_18offset_tEEE10hipError_tPvRmT1_PNSt15iterator_traitsIS12_E10value_typeET2_T3_PNS13_IS18_E10value_typeET4_jRbjT5_S1E_jjP12ihipStream_tbEUljE_ZNSN_ISO_Lb1ESQ_SR_ST_SU_SY_EESZ_S10_S11_S12_S16_S17_S18_S1B_S1C_jS1D_jS1E_S1E_jjS1G_bEUljE0_EEESZ_S10_S11_S18_S1C_S1E_T6_T7_T9_mT8_S1G_bDpT10_ENKUlT_T0_E_clISt17integral_constantIbLb1EES1U_EEDaS1P_S1Q_EUlS1P_E_NS1_11comp_targetILNS1_3genE0ELNS1_11target_archE4294967295ELNS1_3gpuE0ELNS1_3repE0EEENS1_30default_config_static_selectorELNS0_4arch9wavefront6targetE0EEEvS12_,comdat
	.globl	_ZN7rocprim17ROCPRIM_400000_NS6detail17trampoline_kernelINS0_13select_configILj256ELj13ELNS0_17block_load_methodE3ELS4_3ELS4_3ELNS0_20block_scan_algorithmE0ELj4294967295EEENS1_25partition_config_selectorILNS1_17partition_subalgoE4EjNS0_10empty_typeEbEEZZNS1_14partition_implILS8_4ELb0ES6_15HIP_vector_typeIjLj2EENS0_17counting_iteratorIjlEEPS9_SG_NS0_5tupleIJPjSI_NS0_16reverse_iteratorISI_EEEEENSH_IJSG_SG_SG_EEES9_SI_JZNS1_25segmented_radix_sort_implINS0_14default_configELb1EPKdPdPKlPlN2at6native12_GLOBAL__N_18offset_tEEE10hipError_tPvRmT1_PNSt15iterator_traitsIS12_E10value_typeET2_T3_PNS13_IS18_E10value_typeET4_jRbjT5_S1E_jjP12ihipStream_tbEUljE_ZNSN_ISO_Lb1ESQ_SR_ST_SU_SY_EESZ_S10_S11_S12_S16_S17_S18_S1B_S1C_jS1D_jS1E_S1E_jjS1G_bEUljE0_EEESZ_S10_S11_S18_S1C_S1E_T6_T7_T9_mT8_S1G_bDpT10_ENKUlT_T0_E_clISt17integral_constantIbLb1EES1U_EEDaS1P_S1Q_EUlS1P_E_NS1_11comp_targetILNS1_3genE0ELNS1_11target_archE4294967295ELNS1_3gpuE0ELNS1_3repE0EEENS1_30default_config_static_selectorELNS0_4arch9wavefront6targetE0EEEvS12_ ; -- Begin function _ZN7rocprim17ROCPRIM_400000_NS6detail17trampoline_kernelINS0_13select_configILj256ELj13ELNS0_17block_load_methodE3ELS4_3ELS4_3ELNS0_20block_scan_algorithmE0ELj4294967295EEENS1_25partition_config_selectorILNS1_17partition_subalgoE4EjNS0_10empty_typeEbEEZZNS1_14partition_implILS8_4ELb0ES6_15HIP_vector_typeIjLj2EENS0_17counting_iteratorIjlEEPS9_SG_NS0_5tupleIJPjSI_NS0_16reverse_iteratorISI_EEEEENSH_IJSG_SG_SG_EEES9_SI_JZNS1_25segmented_radix_sort_implINS0_14default_configELb1EPKdPdPKlPlN2at6native12_GLOBAL__N_18offset_tEEE10hipError_tPvRmT1_PNSt15iterator_traitsIS12_E10value_typeET2_T3_PNS13_IS18_E10value_typeET4_jRbjT5_S1E_jjP12ihipStream_tbEUljE_ZNSN_ISO_Lb1ESQ_SR_ST_SU_SY_EESZ_S10_S11_S12_S16_S17_S18_S1B_S1C_jS1D_jS1E_S1E_jjS1G_bEUljE0_EEESZ_S10_S11_S18_S1C_S1E_T6_T7_T9_mT8_S1G_bDpT10_ENKUlT_T0_E_clISt17integral_constantIbLb1EES1U_EEDaS1P_S1Q_EUlS1P_E_NS1_11comp_targetILNS1_3genE0ELNS1_11target_archE4294967295ELNS1_3gpuE0ELNS1_3repE0EEENS1_30default_config_static_selectorELNS0_4arch9wavefront6targetE0EEEvS12_
	.p2align	8
	.type	_ZN7rocprim17ROCPRIM_400000_NS6detail17trampoline_kernelINS0_13select_configILj256ELj13ELNS0_17block_load_methodE3ELS4_3ELS4_3ELNS0_20block_scan_algorithmE0ELj4294967295EEENS1_25partition_config_selectorILNS1_17partition_subalgoE4EjNS0_10empty_typeEbEEZZNS1_14partition_implILS8_4ELb0ES6_15HIP_vector_typeIjLj2EENS0_17counting_iteratorIjlEEPS9_SG_NS0_5tupleIJPjSI_NS0_16reverse_iteratorISI_EEEEENSH_IJSG_SG_SG_EEES9_SI_JZNS1_25segmented_radix_sort_implINS0_14default_configELb1EPKdPdPKlPlN2at6native12_GLOBAL__N_18offset_tEEE10hipError_tPvRmT1_PNSt15iterator_traitsIS12_E10value_typeET2_T3_PNS13_IS18_E10value_typeET4_jRbjT5_S1E_jjP12ihipStream_tbEUljE_ZNSN_ISO_Lb1ESQ_SR_ST_SU_SY_EESZ_S10_S11_S12_S16_S17_S18_S1B_S1C_jS1D_jS1E_S1E_jjS1G_bEUljE0_EEESZ_S10_S11_S18_S1C_S1E_T6_T7_T9_mT8_S1G_bDpT10_ENKUlT_T0_E_clISt17integral_constantIbLb1EES1U_EEDaS1P_S1Q_EUlS1P_E_NS1_11comp_targetILNS1_3genE0ELNS1_11target_archE4294967295ELNS1_3gpuE0ELNS1_3repE0EEENS1_30default_config_static_selectorELNS0_4arch9wavefront6targetE0EEEvS12_,@function
_ZN7rocprim17ROCPRIM_400000_NS6detail17trampoline_kernelINS0_13select_configILj256ELj13ELNS0_17block_load_methodE3ELS4_3ELS4_3ELNS0_20block_scan_algorithmE0ELj4294967295EEENS1_25partition_config_selectorILNS1_17partition_subalgoE4EjNS0_10empty_typeEbEEZZNS1_14partition_implILS8_4ELb0ES6_15HIP_vector_typeIjLj2EENS0_17counting_iteratorIjlEEPS9_SG_NS0_5tupleIJPjSI_NS0_16reverse_iteratorISI_EEEEENSH_IJSG_SG_SG_EEES9_SI_JZNS1_25segmented_radix_sort_implINS0_14default_configELb1EPKdPdPKlPlN2at6native12_GLOBAL__N_18offset_tEEE10hipError_tPvRmT1_PNSt15iterator_traitsIS12_E10value_typeET2_T3_PNS13_IS18_E10value_typeET4_jRbjT5_S1E_jjP12ihipStream_tbEUljE_ZNSN_ISO_Lb1ESQ_SR_ST_SU_SY_EESZ_S10_S11_S12_S16_S17_S18_S1B_S1C_jS1D_jS1E_S1E_jjS1G_bEUljE0_EEESZ_S10_S11_S18_S1C_S1E_T6_T7_T9_mT8_S1G_bDpT10_ENKUlT_T0_E_clISt17integral_constantIbLb1EES1U_EEDaS1P_S1Q_EUlS1P_E_NS1_11comp_targetILNS1_3genE0ELNS1_11target_archE4294967295ELNS1_3gpuE0ELNS1_3repE0EEENS1_30default_config_static_selectorELNS0_4arch9wavefront6targetE0EEEvS12_: ; @_ZN7rocprim17ROCPRIM_400000_NS6detail17trampoline_kernelINS0_13select_configILj256ELj13ELNS0_17block_load_methodE3ELS4_3ELS4_3ELNS0_20block_scan_algorithmE0ELj4294967295EEENS1_25partition_config_selectorILNS1_17partition_subalgoE4EjNS0_10empty_typeEbEEZZNS1_14partition_implILS8_4ELb0ES6_15HIP_vector_typeIjLj2EENS0_17counting_iteratorIjlEEPS9_SG_NS0_5tupleIJPjSI_NS0_16reverse_iteratorISI_EEEEENSH_IJSG_SG_SG_EEES9_SI_JZNS1_25segmented_radix_sort_implINS0_14default_configELb1EPKdPdPKlPlN2at6native12_GLOBAL__N_18offset_tEEE10hipError_tPvRmT1_PNSt15iterator_traitsIS12_E10value_typeET2_T3_PNS13_IS18_E10value_typeET4_jRbjT5_S1E_jjP12ihipStream_tbEUljE_ZNSN_ISO_Lb1ESQ_SR_ST_SU_SY_EESZ_S10_S11_S12_S16_S17_S18_S1B_S1C_jS1D_jS1E_S1E_jjS1G_bEUljE0_EEESZ_S10_S11_S18_S1C_S1E_T6_T7_T9_mT8_S1G_bDpT10_ENKUlT_T0_E_clISt17integral_constantIbLb1EES1U_EEDaS1P_S1Q_EUlS1P_E_NS1_11comp_targetILNS1_3genE0ELNS1_11target_archE4294967295ELNS1_3gpuE0ELNS1_3repE0EEENS1_30default_config_static_selectorELNS0_4arch9wavefront6targetE0EEEvS12_
; %bb.0:
	.section	.rodata,"a",@progbits
	.p2align	6, 0x0
	.amdhsa_kernel _ZN7rocprim17ROCPRIM_400000_NS6detail17trampoline_kernelINS0_13select_configILj256ELj13ELNS0_17block_load_methodE3ELS4_3ELS4_3ELNS0_20block_scan_algorithmE0ELj4294967295EEENS1_25partition_config_selectorILNS1_17partition_subalgoE4EjNS0_10empty_typeEbEEZZNS1_14partition_implILS8_4ELb0ES6_15HIP_vector_typeIjLj2EENS0_17counting_iteratorIjlEEPS9_SG_NS0_5tupleIJPjSI_NS0_16reverse_iteratorISI_EEEEENSH_IJSG_SG_SG_EEES9_SI_JZNS1_25segmented_radix_sort_implINS0_14default_configELb1EPKdPdPKlPlN2at6native12_GLOBAL__N_18offset_tEEE10hipError_tPvRmT1_PNSt15iterator_traitsIS12_E10value_typeET2_T3_PNS13_IS18_E10value_typeET4_jRbjT5_S1E_jjP12ihipStream_tbEUljE_ZNSN_ISO_Lb1ESQ_SR_ST_SU_SY_EESZ_S10_S11_S12_S16_S17_S18_S1B_S1C_jS1D_jS1E_S1E_jjS1G_bEUljE0_EEESZ_S10_S11_S18_S1C_S1E_T6_T7_T9_mT8_S1G_bDpT10_ENKUlT_T0_E_clISt17integral_constantIbLb1EES1U_EEDaS1P_S1Q_EUlS1P_E_NS1_11comp_targetILNS1_3genE0ELNS1_11target_archE4294967295ELNS1_3gpuE0ELNS1_3repE0EEENS1_30default_config_static_selectorELNS0_4arch9wavefront6targetE0EEEvS12_
		.amdhsa_group_segment_fixed_size 0
		.amdhsa_private_segment_fixed_size 0
		.amdhsa_kernarg_size 184
		.amdhsa_user_sgpr_count 15
		.amdhsa_user_sgpr_dispatch_ptr 0
		.amdhsa_user_sgpr_queue_ptr 0
		.amdhsa_user_sgpr_kernarg_segment_ptr 1
		.amdhsa_user_sgpr_dispatch_id 0
		.amdhsa_user_sgpr_private_segment_size 0
		.amdhsa_wavefront_size32 1
		.amdhsa_uses_dynamic_stack 0
		.amdhsa_enable_private_segment 0
		.amdhsa_system_sgpr_workgroup_id_x 1
		.amdhsa_system_sgpr_workgroup_id_y 0
		.amdhsa_system_sgpr_workgroup_id_z 0
		.amdhsa_system_sgpr_workgroup_info 0
		.amdhsa_system_vgpr_workitem_id 0
		.amdhsa_next_free_vgpr 1
		.amdhsa_next_free_sgpr 1
		.amdhsa_reserve_vcc 0
		.amdhsa_float_round_mode_32 0
		.amdhsa_float_round_mode_16_64 0
		.amdhsa_float_denorm_mode_32 3
		.amdhsa_float_denorm_mode_16_64 3
		.amdhsa_dx10_clamp 1
		.amdhsa_ieee_mode 1
		.amdhsa_fp16_overflow 0
		.amdhsa_workgroup_processor_mode 1
		.amdhsa_memory_ordered 1
		.amdhsa_forward_progress 0
		.amdhsa_shared_vgpr_count 0
		.amdhsa_exception_fp_ieee_invalid_op 0
		.amdhsa_exception_fp_denorm_src 0
		.amdhsa_exception_fp_ieee_div_zero 0
		.amdhsa_exception_fp_ieee_overflow 0
		.amdhsa_exception_fp_ieee_underflow 0
		.amdhsa_exception_fp_ieee_inexact 0
		.amdhsa_exception_int_div_zero 0
	.end_amdhsa_kernel
	.section	.text._ZN7rocprim17ROCPRIM_400000_NS6detail17trampoline_kernelINS0_13select_configILj256ELj13ELNS0_17block_load_methodE3ELS4_3ELS4_3ELNS0_20block_scan_algorithmE0ELj4294967295EEENS1_25partition_config_selectorILNS1_17partition_subalgoE4EjNS0_10empty_typeEbEEZZNS1_14partition_implILS8_4ELb0ES6_15HIP_vector_typeIjLj2EENS0_17counting_iteratorIjlEEPS9_SG_NS0_5tupleIJPjSI_NS0_16reverse_iteratorISI_EEEEENSH_IJSG_SG_SG_EEES9_SI_JZNS1_25segmented_radix_sort_implINS0_14default_configELb1EPKdPdPKlPlN2at6native12_GLOBAL__N_18offset_tEEE10hipError_tPvRmT1_PNSt15iterator_traitsIS12_E10value_typeET2_T3_PNS13_IS18_E10value_typeET4_jRbjT5_S1E_jjP12ihipStream_tbEUljE_ZNSN_ISO_Lb1ESQ_SR_ST_SU_SY_EESZ_S10_S11_S12_S16_S17_S18_S1B_S1C_jS1D_jS1E_S1E_jjS1G_bEUljE0_EEESZ_S10_S11_S18_S1C_S1E_T6_T7_T9_mT8_S1G_bDpT10_ENKUlT_T0_E_clISt17integral_constantIbLb1EES1U_EEDaS1P_S1Q_EUlS1P_E_NS1_11comp_targetILNS1_3genE0ELNS1_11target_archE4294967295ELNS1_3gpuE0ELNS1_3repE0EEENS1_30default_config_static_selectorELNS0_4arch9wavefront6targetE0EEEvS12_,"axG",@progbits,_ZN7rocprim17ROCPRIM_400000_NS6detail17trampoline_kernelINS0_13select_configILj256ELj13ELNS0_17block_load_methodE3ELS4_3ELS4_3ELNS0_20block_scan_algorithmE0ELj4294967295EEENS1_25partition_config_selectorILNS1_17partition_subalgoE4EjNS0_10empty_typeEbEEZZNS1_14partition_implILS8_4ELb0ES6_15HIP_vector_typeIjLj2EENS0_17counting_iteratorIjlEEPS9_SG_NS0_5tupleIJPjSI_NS0_16reverse_iteratorISI_EEEEENSH_IJSG_SG_SG_EEES9_SI_JZNS1_25segmented_radix_sort_implINS0_14default_configELb1EPKdPdPKlPlN2at6native12_GLOBAL__N_18offset_tEEE10hipError_tPvRmT1_PNSt15iterator_traitsIS12_E10value_typeET2_T3_PNS13_IS18_E10value_typeET4_jRbjT5_S1E_jjP12ihipStream_tbEUljE_ZNSN_ISO_Lb1ESQ_SR_ST_SU_SY_EESZ_S10_S11_S12_S16_S17_S18_S1B_S1C_jS1D_jS1E_S1E_jjS1G_bEUljE0_EEESZ_S10_S11_S18_S1C_S1E_T6_T7_T9_mT8_S1G_bDpT10_ENKUlT_T0_E_clISt17integral_constantIbLb1EES1U_EEDaS1P_S1Q_EUlS1P_E_NS1_11comp_targetILNS1_3genE0ELNS1_11target_archE4294967295ELNS1_3gpuE0ELNS1_3repE0EEENS1_30default_config_static_selectorELNS0_4arch9wavefront6targetE0EEEvS12_,comdat
.Lfunc_end1062:
	.size	_ZN7rocprim17ROCPRIM_400000_NS6detail17trampoline_kernelINS0_13select_configILj256ELj13ELNS0_17block_load_methodE3ELS4_3ELS4_3ELNS0_20block_scan_algorithmE0ELj4294967295EEENS1_25partition_config_selectorILNS1_17partition_subalgoE4EjNS0_10empty_typeEbEEZZNS1_14partition_implILS8_4ELb0ES6_15HIP_vector_typeIjLj2EENS0_17counting_iteratorIjlEEPS9_SG_NS0_5tupleIJPjSI_NS0_16reverse_iteratorISI_EEEEENSH_IJSG_SG_SG_EEES9_SI_JZNS1_25segmented_radix_sort_implINS0_14default_configELb1EPKdPdPKlPlN2at6native12_GLOBAL__N_18offset_tEEE10hipError_tPvRmT1_PNSt15iterator_traitsIS12_E10value_typeET2_T3_PNS13_IS18_E10value_typeET4_jRbjT5_S1E_jjP12ihipStream_tbEUljE_ZNSN_ISO_Lb1ESQ_SR_ST_SU_SY_EESZ_S10_S11_S12_S16_S17_S18_S1B_S1C_jS1D_jS1E_S1E_jjS1G_bEUljE0_EEESZ_S10_S11_S18_S1C_S1E_T6_T7_T9_mT8_S1G_bDpT10_ENKUlT_T0_E_clISt17integral_constantIbLb1EES1U_EEDaS1P_S1Q_EUlS1P_E_NS1_11comp_targetILNS1_3genE0ELNS1_11target_archE4294967295ELNS1_3gpuE0ELNS1_3repE0EEENS1_30default_config_static_selectorELNS0_4arch9wavefront6targetE0EEEvS12_, .Lfunc_end1062-_ZN7rocprim17ROCPRIM_400000_NS6detail17trampoline_kernelINS0_13select_configILj256ELj13ELNS0_17block_load_methodE3ELS4_3ELS4_3ELNS0_20block_scan_algorithmE0ELj4294967295EEENS1_25partition_config_selectorILNS1_17partition_subalgoE4EjNS0_10empty_typeEbEEZZNS1_14partition_implILS8_4ELb0ES6_15HIP_vector_typeIjLj2EENS0_17counting_iteratorIjlEEPS9_SG_NS0_5tupleIJPjSI_NS0_16reverse_iteratorISI_EEEEENSH_IJSG_SG_SG_EEES9_SI_JZNS1_25segmented_radix_sort_implINS0_14default_configELb1EPKdPdPKlPlN2at6native12_GLOBAL__N_18offset_tEEE10hipError_tPvRmT1_PNSt15iterator_traitsIS12_E10value_typeET2_T3_PNS13_IS18_E10value_typeET4_jRbjT5_S1E_jjP12ihipStream_tbEUljE_ZNSN_ISO_Lb1ESQ_SR_ST_SU_SY_EESZ_S10_S11_S12_S16_S17_S18_S1B_S1C_jS1D_jS1E_S1E_jjS1G_bEUljE0_EEESZ_S10_S11_S18_S1C_S1E_T6_T7_T9_mT8_S1G_bDpT10_ENKUlT_T0_E_clISt17integral_constantIbLb1EES1U_EEDaS1P_S1Q_EUlS1P_E_NS1_11comp_targetILNS1_3genE0ELNS1_11target_archE4294967295ELNS1_3gpuE0ELNS1_3repE0EEENS1_30default_config_static_selectorELNS0_4arch9wavefront6targetE0EEEvS12_
                                        ; -- End function
	.section	.AMDGPU.csdata,"",@progbits
; Kernel info:
; codeLenInByte = 0
; NumSgprs: 0
; NumVgprs: 0
; ScratchSize: 0
; MemoryBound: 0
; FloatMode: 240
; IeeeMode: 1
; LDSByteSize: 0 bytes/workgroup (compile time only)
; SGPRBlocks: 0
; VGPRBlocks: 0
; NumSGPRsForWavesPerEU: 1
; NumVGPRsForWavesPerEU: 1
; Occupancy: 16
; WaveLimiterHint : 0
; COMPUTE_PGM_RSRC2:SCRATCH_EN: 0
; COMPUTE_PGM_RSRC2:USER_SGPR: 15
; COMPUTE_PGM_RSRC2:TRAP_HANDLER: 0
; COMPUTE_PGM_RSRC2:TGID_X_EN: 1
; COMPUTE_PGM_RSRC2:TGID_Y_EN: 0
; COMPUTE_PGM_RSRC2:TGID_Z_EN: 0
; COMPUTE_PGM_RSRC2:TIDIG_COMP_CNT: 0
	.section	.text._ZN7rocprim17ROCPRIM_400000_NS6detail17trampoline_kernelINS0_13select_configILj256ELj13ELNS0_17block_load_methodE3ELS4_3ELS4_3ELNS0_20block_scan_algorithmE0ELj4294967295EEENS1_25partition_config_selectorILNS1_17partition_subalgoE4EjNS0_10empty_typeEbEEZZNS1_14partition_implILS8_4ELb0ES6_15HIP_vector_typeIjLj2EENS0_17counting_iteratorIjlEEPS9_SG_NS0_5tupleIJPjSI_NS0_16reverse_iteratorISI_EEEEENSH_IJSG_SG_SG_EEES9_SI_JZNS1_25segmented_radix_sort_implINS0_14default_configELb1EPKdPdPKlPlN2at6native12_GLOBAL__N_18offset_tEEE10hipError_tPvRmT1_PNSt15iterator_traitsIS12_E10value_typeET2_T3_PNS13_IS18_E10value_typeET4_jRbjT5_S1E_jjP12ihipStream_tbEUljE_ZNSN_ISO_Lb1ESQ_SR_ST_SU_SY_EESZ_S10_S11_S12_S16_S17_S18_S1B_S1C_jS1D_jS1E_S1E_jjS1G_bEUljE0_EEESZ_S10_S11_S18_S1C_S1E_T6_T7_T9_mT8_S1G_bDpT10_ENKUlT_T0_E_clISt17integral_constantIbLb1EES1U_EEDaS1P_S1Q_EUlS1P_E_NS1_11comp_targetILNS1_3genE5ELNS1_11target_archE942ELNS1_3gpuE9ELNS1_3repE0EEENS1_30default_config_static_selectorELNS0_4arch9wavefront6targetE0EEEvS12_,"axG",@progbits,_ZN7rocprim17ROCPRIM_400000_NS6detail17trampoline_kernelINS0_13select_configILj256ELj13ELNS0_17block_load_methodE3ELS4_3ELS4_3ELNS0_20block_scan_algorithmE0ELj4294967295EEENS1_25partition_config_selectorILNS1_17partition_subalgoE4EjNS0_10empty_typeEbEEZZNS1_14partition_implILS8_4ELb0ES6_15HIP_vector_typeIjLj2EENS0_17counting_iteratorIjlEEPS9_SG_NS0_5tupleIJPjSI_NS0_16reverse_iteratorISI_EEEEENSH_IJSG_SG_SG_EEES9_SI_JZNS1_25segmented_radix_sort_implINS0_14default_configELb1EPKdPdPKlPlN2at6native12_GLOBAL__N_18offset_tEEE10hipError_tPvRmT1_PNSt15iterator_traitsIS12_E10value_typeET2_T3_PNS13_IS18_E10value_typeET4_jRbjT5_S1E_jjP12ihipStream_tbEUljE_ZNSN_ISO_Lb1ESQ_SR_ST_SU_SY_EESZ_S10_S11_S12_S16_S17_S18_S1B_S1C_jS1D_jS1E_S1E_jjS1G_bEUljE0_EEESZ_S10_S11_S18_S1C_S1E_T6_T7_T9_mT8_S1G_bDpT10_ENKUlT_T0_E_clISt17integral_constantIbLb1EES1U_EEDaS1P_S1Q_EUlS1P_E_NS1_11comp_targetILNS1_3genE5ELNS1_11target_archE942ELNS1_3gpuE9ELNS1_3repE0EEENS1_30default_config_static_selectorELNS0_4arch9wavefront6targetE0EEEvS12_,comdat
	.globl	_ZN7rocprim17ROCPRIM_400000_NS6detail17trampoline_kernelINS0_13select_configILj256ELj13ELNS0_17block_load_methodE3ELS4_3ELS4_3ELNS0_20block_scan_algorithmE0ELj4294967295EEENS1_25partition_config_selectorILNS1_17partition_subalgoE4EjNS0_10empty_typeEbEEZZNS1_14partition_implILS8_4ELb0ES6_15HIP_vector_typeIjLj2EENS0_17counting_iteratorIjlEEPS9_SG_NS0_5tupleIJPjSI_NS0_16reverse_iteratorISI_EEEEENSH_IJSG_SG_SG_EEES9_SI_JZNS1_25segmented_radix_sort_implINS0_14default_configELb1EPKdPdPKlPlN2at6native12_GLOBAL__N_18offset_tEEE10hipError_tPvRmT1_PNSt15iterator_traitsIS12_E10value_typeET2_T3_PNS13_IS18_E10value_typeET4_jRbjT5_S1E_jjP12ihipStream_tbEUljE_ZNSN_ISO_Lb1ESQ_SR_ST_SU_SY_EESZ_S10_S11_S12_S16_S17_S18_S1B_S1C_jS1D_jS1E_S1E_jjS1G_bEUljE0_EEESZ_S10_S11_S18_S1C_S1E_T6_T7_T9_mT8_S1G_bDpT10_ENKUlT_T0_E_clISt17integral_constantIbLb1EES1U_EEDaS1P_S1Q_EUlS1P_E_NS1_11comp_targetILNS1_3genE5ELNS1_11target_archE942ELNS1_3gpuE9ELNS1_3repE0EEENS1_30default_config_static_selectorELNS0_4arch9wavefront6targetE0EEEvS12_ ; -- Begin function _ZN7rocprim17ROCPRIM_400000_NS6detail17trampoline_kernelINS0_13select_configILj256ELj13ELNS0_17block_load_methodE3ELS4_3ELS4_3ELNS0_20block_scan_algorithmE0ELj4294967295EEENS1_25partition_config_selectorILNS1_17partition_subalgoE4EjNS0_10empty_typeEbEEZZNS1_14partition_implILS8_4ELb0ES6_15HIP_vector_typeIjLj2EENS0_17counting_iteratorIjlEEPS9_SG_NS0_5tupleIJPjSI_NS0_16reverse_iteratorISI_EEEEENSH_IJSG_SG_SG_EEES9_SI_JZNS1_25segmented_radix_sort_implINS0_14default_configELb1EPKdPdPKlPlN2at6native12_GLOBAL__N_18offset_tEEE10hipError_tPvRmT1_PNSt15iterator_traitsIS12_E10value_typeET2_T3_PNS13_IS18_E10value_typeET4_jRbjT5_S1E_jjP12ihipStream_tbEUljE_ZNSN_ISO_Lb1ESQ_SR_ST_SU_SY_EESZ_S10_S11_S12_S16_S17_S18_S1B_S1C_jS1D_jS1E_S1E_jjS1G_bEUljE0_EEESZ_S10_S11_S18_S1C_S1E_T6_T7_T9_mT8_S1G_bDpT10_ENKUlT_T0_E_clISt17integral_constantIbLb1EES1U_EEDaS1P_S1Q_EUlS1P_E_NS1_11comp_targetILNS1_3genE5ELNS1_11target_archE942ELNS1_3gpuE9ELNS1_3repE0EEENS1_30default_config_static_selectorELNS0_4arch9wavefront6targetE0EEEvS12_
	.p2align	8
	.type	_ZN7rocprim17ROCPRIM_400000_NS6detail17trampoline_kernelINS0_13select_configILj256ELj13ELNS0_17block_load_methodE3ELS4_3ELS4_3ELNS0_20block_scan_algorithmE0ELj4294967295EEENS1_25partition_config_selectorILNS1_17partition_subalgoE4EjNS0_10empty_typeEbEEZZNS1_14partition_implILS8_4ELb0ES6_15HIP_vector_typeIjLj2EENS0_17counting_iteratorIjlEEPS9_SG_NS0_5tupleIJPjSI_NS0_16reverse_iteratorISI_EEEEENSH_IJSG_SG_SG_EEES9_SI_JZNS1_25segmented_radix_sort_implINS0_14default_configELb1EPKdPdPKlPlN2at6native12_GLOBAL__N_18offset_tEEE10hipError_tPvRmT1_PNSt15iterator_traitsIS12_E10value_typeET2_T3_PNS13_IS18_E10value_typeET4_jRbjT5_S1E_jjP12ihipStream_tbEUljE_ZNSN_ISO_Lb1ESQ_SR_ST_SU_SY_EESZ_S10_S11_S12_S16_S17_S18_S1B_S1C_jS1D_jS1E_S1E_jjS1G_bEUljE0_EEESZ_S10_S11_S18_S1C_S1E_T6_T7_T9_mT8_S1G_bDpT10_ENKUlT_T0_E_clISt17integral_constantIbLb1EES1U_EEDaS1P_S1Q_EUlS1P_E_NS1_11comp_targetILNS1_3genE5ELNS1_11target_archE942ELNS1_3gpuE9ELNS1_3repE0EEENS1_30default_config_static_selectorELNS0_4arch9wavefront6targetE0EEEvS12_,@function
_ZN7rocprim17ROCPRIM_400000_NS6detail17trampoline_kernelINS0_13select_configILj256ELj13ELNS0_17block_load_methodE3ELS4_3ELS4_3ELNS0_20block_scan_algorithmE0ELj4294967295EEENS1_25partition_config_selectorILNS1_17partition_subalgoE4EjNS0_10empty_typeEbEEZZNS1_14partition_implILS8_4ELb0ES6_15HIP_vector_typeIjLj2EENS0_17counting_iteratorIjlEEPS9_SG_NS0_5tupleIJPjSI_NS0_16reverse_iteratorISI_EEEEENSH_IJSG_SG_SG_EEES9_SI_JZNS1_25segmented_radix_sort_implINS0_14default_configELb1EPKdPdPKlPlN2at6native12_GLOBAL__N_18offset_tEEE10hipError_tPvRmT1_PNSt15iterator_traitsIS12_E10value_typeET2_T3_PNS13_IS18_E10value_typeET4_jRbjT5_S1E_jjP12ihipStream_tbEUljE_ZNSN_ISO_Lb1ESQ_SR_ST_SU_SY_EESZ_S10_S11_S12_S16_S17_S18_S1B_S1C_jS1D_jS1E_S1E_jjS1G_bEUljE0_EEESZ_S10_S11_S18_S1C_S1E_T6_T7_T9_mT8_S1G_bDpT10_ENKUlT_T0_E_clISt17integral_constantIbLb1EES1U_EEDaS1P_S1Q_EUlS1P_E_NS1_11comp_targetILNS1_3genE5ELNS1_11target_archE942ELNS1_3gpuE9ELNS1_3repE0EEENS1_30default_config_static_selectorELNS0_4arch9wavefront6targetE0EEEvS12_: ; @_ZN7rocprim17ROCPRIM_400000_NS6detail17trampoline_kernelINS0_13select_configILj256ELj13ELNS0_17block_load_methodE3ELS4_3ELS4_3ELNS0_20block_scan_algorithmE0ELj4294967295EEENS1_25partition_config_selectorILNS1_17partition_subalgoE4EjNS0_10empty_typeEbEEZZNS1_14partition_implILS8_4ELb0ES6_15HIP_vector_typeIjLj2EENS0_17counting_iteratorIjlEEPS9_SG_NS0_5tupleIJPjSI_NS0_16reverse_iteratorISI_EEEEENSH_IJSG_SG_SG_EEES9_SI_JZNS1_25segmented_radix_sort_implINS0_14default_configELb1EPKdPdPKlPlN2at6native12_GLOBAL__N_18offset_tEEE10hipError_tPvRmT1_PNSt15iterator_traitsIS12_E10value_typeET2_T3_PNS13_IS18_E10value_typeET4_jRbjT5_S1E_jjP12ihipStream_tbEUljE_ZNSN_ISO_Lb1ESQ_SR_ST_SU_SY_EESZ_S10_S11_S12_S16_S17_S18_S1B_S1C_jS1D_jS1E_S1E_jjS1G_bEUljE0_EEESZ_S10_S11_S18_S1C_S1E_T6_T7_T9_mT8_S1G_bDpT10_ENKUlT_T0_E_clISt17integral_constantIbLb1EES1U_EEDaS1P_S1Q_EUlS1P_E_NS1_11comp_targetILNS1_3genE5ELNS1_11target_archE942ELNS1_3gpuE9ELNS1_3repE0EEENS1_30default_config_static_selectorELNS0_4arch9wavefront6targetE0EEEvS12_
; %bb.0:
	.section	.rodata,"a",@progbits
	.p2align	6, 0x0
	.amdhsa_kernel _ZN7rocprim17ROCPRIM_400000_NS6detail17trampoline_kernelINS0_13select_configILj256ELj13ELNS0_17block_load_methodE3ELS4_3ELS4_3ELNS0_20block_scan_algorithmE0ELj4294967295EEENS1_25partition_config_selectorILNS1_17partition_subalgoE4EjNS0_10empty_typeEbEEZZNS1_14partition_implILS8_4ELb0ES6_15HIP_vector_typeIjLj2EENS0_17counting_iteratorIjlEEPS9_SG_NS0_5tupleIJPjSI_NS0_16reverse_iteratorISI_EEEEENSH_IJSG_SG_SG_EEES9_SI_JZNS1_25segmented_radix_sort_implINS0_14default_configELb1EPKdPdPKlPlN2at6native12_GLOBAL__N_18offset_tEEE10hipError_tPvRmT1_PNSt15iterator_traitsIS12_E10value_typeET2_T3_PNS13_IS18_E10value_typeET4_jRbjT5_S1E_jjP12ihipStream_tbEUljE_ZNSN_ISO_Lb1ESQ_SR_ST_SU_SY_EESZ_S10_S11_S12_S16_S17_S18_S1B_S1C_jS1D_jS1E_S1E_jjS1G_bEUljE0_EEESZ_S10_S11_S18_S1C_S1E_T6_T7_T9_mT8_S1G_bDpT10_ENKUlT_T0_E_clISt17integral_constantIbLb1EES1U_EEDaS1P_S1Q_EUlS1P_E_NS1_11comp_targetILNS1_3genE5ELNS1_11target_archE942ELNS1_3gpuE9ELNS1_3repE0EEENS1_30default_config_static_selectorELNS0_4arch9wavefront6targetE0EEEvS12_
		.amdhsa_group_segment_fixed_size 0
		.amdhsa_private_segment_fixed_size 0
		.amdhsa_kernarg_size 184
		.amdhsa_user_sgpr_count 15
		.amdhsa_user_sgpr_dispatch_ptr 0
		.amdhsa_user_sgpr_queue_ptr 0
		.amdhsa_user_sgpr_kernarg_segment_ptr 1
		.amdhsa_user_sgpr_dispatch_id 0
		.amdhsa_user_sgpr_private_segment_size 0
		.amdhsa_wavefront_size32 1
		.amdhsa_uses_dynamic_stack 0
		.amdhsa_enable_private_segment 0
		.amdhsa_system_sgpr_workgroup_id_x 1
		.amdhsa_system_sgpr_workgroup_id_y 0
		.amdhsa_system_sgpr_workgroup_id_z 0
		.amdhsa_system_sgpr_workgroup_info 0
		.amdhsa_system_vgpr_workitem_id 0
		.amdhsa_next_free_vgpr 1
		.amdhsa_next_free_sgpr 1
		.amdhsa_reserve_vcc 0
		.amdhsa_float_round_mode_32 0
		.amdhsa_float_round_mode_16_64 0
		.amdhsa_float_denorm_mode_32 3
		.amdhsa_float_denorm_mode_16_64 3
		.amdhsa_dx10_clamp 1
		.amdhsa_ieee_mode 1
		.amdhsa_fp16_overflow 0
		.amdhsa_workgroup_processor_mode 1
		.amdhsa_memory_ordered 1
		.amdhsa_forward_progress 0
		.amdhsa_shared_vgpr_count 0
		.amdhsa_exception_fp_ieee_invalid_op 0
		.amdhsa_exception_fp_denorm_src 0
		.amdhsa_exception_fp_ieee_div_zero 0
		.amdhsa_exception_fp_ieee_overflow 0
		.amdhsa_exception_fp_ieee_underflow 0
		.amdhsa_exception_fp_ieee_inexact 0
		.amdhsa_exception_int_div_zero 0
	.end_amdhsa_kernel
	.section	.text._ZN7rocprim17ROCPRIM_400000_NS6detail17trampoline_kernelINS0_13select_configILj256ELj13ELNS0_17block_load_methodE3ELS4_3ELS4_3ELNS0_20block_scan_algorithmE0ELj4294967295EEENS1_25partition_config_selectorILNS1_17partition_subalgoE4EjNS0_10empty_typeEbEEZZNS1_14partition_implILS8_4ELb0ES6_15HIP_vector_typeIjLj2EENS0_17counting_iteratorIjlEEPS9_SG_NS0_5tupleIJPjSI_NS0_16reverse_iteratorISI_EEEEENSH_IJSG_SG_SG_EEES9_SI_JZNS1_25segmented_radix_sort_implINS0_14default_configELb1EPKdPdPKlPlN2at6native12_GLOBAL__N_18offset_tEEE10hipError_tPvRmT1_PNSt15iterator_traitsIS12_E10value_typeET2_T3_PNS13_IS18_E10value_typeET4_jRbjT5_S1E_jjP12ihipStream_tbEUljE_ZNSN_ISO_Lb1ESQ_SR_ST_SU_SY_EESZ_S10_S11_S12_S16_S17_S18_S1B_S1C_jS1D_jS1E_S1E_jjS1G_bEUljE0_EEESZ_S10_S11_S18_S1C_S1E_T6_T7_T9_mT8_S1G_bDpT10_ENKUlT_T0_E_clISt17integral_constantIbLb1EES1U_EEDaS1P_S1Q_EUlS1P_E_NS1_11comp_targetILNS1_3genE5ELNS1_11target_archE942ELNS1_3gpuE9ELNS1_3repE0EEENS1_30default_config_static_selectorELNS0_4arch9wavefront6targetE0EEEvS12_,"axG",@progbits,_ZN7rocprim17ROCPRIM_400000_NS6detail17trampoline_kernelINS0_13select_configILj256ELj13ELNS0_17block_load_methodE3ELS4_3ELS4_3ELNS0_20block_scan_algorithmE0ELj4294967295EEENS1_25partition_config_selectorILNS1_17partition_subalgoE4EjNS0_10empty_typeEbEEZZNS1_14partition_implILS8_4ELb0ES6_15HIP_vector_typeIjLj2EENS0_17counting_iteratorIjlEEPS9_SG_NS0_5tupleIJPjSI_NS0_16reverse_iteratorISI_EEEEENSH_IJSG_SG_SG_EEES9_SI_JZNS1_25segmented_radix_sort_implINS0_14default_configELb1EPKdPdPKlPlN2at6native12_GLOBAL__N_18offset_tEEE10hipError_tPvRmT1_PNSt15iterator_traitsIS12_E10value_typeET2_T3_PNS13_IS18_E10value_typeET4_jRbjT5_S1E_jjP12ihipStream_tbEUljE_ZNSN_ISO_Lb1ESQ_SR_ST_SU_SY_EESZ_S10_S11_S12_S16_S17_S18_S1B_S1C_jS1D_jS1E_S1E_jjS1G_bEUljE0_EEESZ_S10_S11_S18_S1C_S1E_T6_T7_T9_mT8_S1G_bDpT10_ENKUlT_T0_E_clISt17integral_constantIbLb1EES1U_EEDaS1P_S1Q_EUlS1P_E_NS1_11comp_targetILNS1_3genE5ELNS1_11target_archE942ELNS1_3gpuE9ELNS1_3repE0EEENS1_30default_config_static_selectorELNS0_4arch9wavefront6targetE0EEEvS12_,comdat
.Lfunc_end1063:
	.size	_ZN7rocprim17ROCPRIM_400000_NS6detail17trampoline_kernelINS0_13select_configILj256ELj13ELNS0_17block_load_methodE3ELS4_3ELS4_3ELNS0_20block_scan_algorithmE0ELj4294967295EEENS1_25partition_config_selectorILNS1_17partition_subalgoE4EjNS0_10empty_typeEbEEZZNS1_14partition_implILS8_4ELb0ES6_15HIP_vector_typeIjLj2EENS0_17counting_iteratorIjlEEPS9_SG_NS0_5tupleIJPjSI_NS0_16reverse_iteratorISI_EEEEENSH_IJSG_SG_SG_EEES9_SI_JZNS1_25segmented_radix_sort_implINS0_14default_configELb1EPKdPdPKlPlN2at6native12_GLOBAL__N_18offset_tEEE10hipError_tPvRmT1_PNSt15iterator_traitsIS12_E10value_typeET2_T3_PNS13_IS18_E10value_typeET4_jRbjT5_S1E_jjP12ihipStream_tbEUljE_ZNSN_ISO_Lb1ESQ_SR_ST_SU_SY_EESZ_S10_S11_S12_S16_S17_S18_S1B_S1C_jS1D_jS1E_S1E_jjS1G_bEUljE0_EEESZ_S10_S11_S18_S1C_S1E_T6_T7_T9_mT8_S1G_bDpT10_ENKUlT_T0_E_clISt17integral_constantIbLb1EES1U_EEDaS1P_S1Q_EUlS1P_E_NS1_11comp_targetILNS1_3genE5ELNS1_11target_archE942ELNS1_3gpuE9ELNS1_3repE0EEENS1_30default_config_static_selectorELNS0_4arch9wavefront6targetE0EEEvS12_, .Lfunc_end1063-_ZN7rocprim17ROCPRIM_400000_NS6detail17trampoline_kernelINS0_13select_configILj256ELj13ELNS0_17block_load_methodE3ELS4_3ELS4_3ELNS0_20block_scan_algorithmE0ELj4294967295EEENS1_25partition_config_selectorILNS1_17partition_subalgoE4EjNS0_10empty_typeEbEEZZNS1_14partition_implILS8_4ELb0ES6_15HIP_vector_typeIjLj2EENS0_17counting_iteratorIjlEEPS9_SG_NS0_5tupleIJPjSI_NS0_16reverse_iteratorISI_EEEEENSH_IJSG_SG_SG_EEES9_SI_JZNS1_25segmented_radix_sort_implINS0_14default_configELb1EPKdPdPKlPlN2at6native12_GLOBAL__N_18offset_tEEE10hipError_tPvRmT1_PNSt15iterator_traitsIS12_E10value_typeET2_T3_PNS13_IS18_E10value_typeET4_jRbjT5_S1E_jjP12ihipStream_tbEUljE_ZNSN_ISO_Lb1ESQ_SR_ST_SU_SY_EESZ_S10_S11_S12_S16_S17_S18_S1B_S1C_jS1D_jS1E_S1E_jjS1G_bEUljE0_EEESZ_S10_S11_S18_S1C_S1E_T6_T7_T9_mT8_S1G_bDpT10_ENKUlT_T0_E_clISt17integral_constantIbLb1EES1U_EEDaS1P_S1Q_EUlS1P_E_NS1_11comp_targetILNS1_3genE5ELNS1_11target_archE942ELNS1_3gpuE9ELNS1_3repE0EEENS1_30default_config_static_selectorELNS0_4arch9wavefront6targetE0EEEvS12_
                                        ; -- End function
	.section	.AMDGPU.csdata,"",@progbits
; Kernel info:
; codeLenInByte = 0
; NumSgprs: 0
; NumVgprs: 0
; ScratchSize: 0
; MemoryBound: 0
; FloatMode: 240
; IeeeMode: 1
; LDSByteSize: 0 bytes/workgroup (compile time only)
; SGPRBlocks: 0
; VGPRBlocks: 0
; NumSGPRsForWavesPerEU: 1
; NumVGPRsForWavesPerEU: 1
; Occupancy: 16
; WaveLimiterHint : 0
; COMPUTE_PGM_RSRC2:SCRATCH_EN: 0
; COMPUTE_PGM_RSRC2:USER_SGPR: 15
; COMPUTE_PGM_RSRC2:TRAP_HANDLER: 0
; COMPUTE_PGM_RSRC2:TGID_X_EN: 1
; COMPUTE_PGM_RSRC2:TGID_Y_EN: 0
; COMPUTE_PGM_RSRC2:TGID_Z_EN: 0
; COMPUTE_PGM_RSRC2:TIDIG_COMP_CNT: 0
	.section	.text._ZN7rocprim17ROCPRIM_400000_NS6detail17trampoline_kernelINS0_13select_configILj256ELj13ELNS0_17block_load_methodE3ELS4_3ELS4_3ELNS0_20block_scan_algorithmE0ELj4294967295EEENS1_25partition_config_selectorILNS1_17partition_subalgoE4EjNS0_10empty_typeEbEEZZNS1_14partition_implILS8_4ELb0ES6_15HIP_vector_typeIjLj2EENS0_17counting_iteratorIjlEEPS9_SG_NS0_5tupleIJPjSI_NS0_16reverse_iteratorISI_EEEEENSH_IJSG_SG_SG_EEES9_SI_JZNS1_25segmented_radix_sort_implINS0_14default_configELb1EPKdPdPKlPlN2at6native12_GLOBAL__N_18offset_tEEE10hipError_tPvRmT1_PNSt15iterator_traitsIS12_E10value_typeET2_T3_PNS13_IS18_E10value_typeET4_jRbjT5_S1E_jjP12ihipStream_tbEUljE_ZNSN_ISO_Lb1ESQ_SR_ST_SU_SY_EESZ_S10_S11_S12_S16_S17_S18_S1B_S1C_jS1D_jS1E_S1E_jjS1G_bEUljE0_EEESZ_S10_S11_S18_S1C_S1E_T6_T7_T9_mT8_S1G_bDpT10_ENKUlT_T0_E_clISt17integral_constantIbLb1EES1U_EEDaS1P_S1Q_EUlS1P_E_NS1_11comp_targetILNS1_3genE4ELNS1_11target_archE910ELNS1_3gpuE8ELNS1_3repE0EEENS1_30default_config_static_selectorELNS0_4arch9wavefront6targetE0EEEvS12_,"axG",@progbits,_ZN7rocprim17ROCPRIM_400000_NS6detail17trampoline_kernelINS0_13select_configILj256ELj13ELNS0_17block_load_methodE3ELS4_3ELS4_3ELNS0_20block_scan_algorithmE0ELj4294967295EEENS1_25partition_config_selectorILNS1_17partition_subalgoE4EjNS0_10empty_typeEbEEZZNS1_14partition_implILS8_4ELb0ES6_15HIP_vector_typeIjLj2EENS0_17counting_iteratorIjlEEPS9_SG_NS0_5tupleIJPjSI_NS0_16reverse_iteratorISI_EEEEENSH_IJSG_SG_SG_EEES9_SI_JZNS1_25segmented_radix_sort_implINS0_14default_configELb1EPKdPdPKlPlN2at6native12_GLOBAL__N_18offset_tEEE10hipError_tPvRmT1_PNSt15iterator_traitsIS12_E10value_typeET2_T3_PNS13_IS18_E10value_typeET4_jRbjT5_S1E_jjP12ihipStream_tbEUljE_ZNSN_ISO_Lb1ESQ_SR_ST_SU_SY_EESZ_S10_S11_S12_S16_S17_S18_S1B_S1C_jS1D_jS1E_S1E_jjS1G_bEUljE0_EEESZ_S10_S11_S18_S1C_S1E_T6_T7_T9_mT8_S1G_bDpT10_ENKUlT_T0_E_clISt17integral_constantIbLb1EES1U_EEDaS1P_S1Q_EUlS1P_E_NS1_11comp_targetILNS1_3genE4ELNS1_11target_archE910ELNS1_3gpuE8ELNS1_3repE0EEENS1_30default_config_static_selectorELNS0_4arch9wavefront6targetE0EEEvS12_,comdat
	.globl	_ZN7rocprim17ROCPRIM_400000_NS6detail17trampoline_kernelINS0_13select_configILj256ELj13ELNS0_17block_load_methodE3ELS4_3ELS4_3ELNS0_20block_scan_algorithmE0ELj4294967295EEENS1_25partition_config_selectorILNS1_17partition_subalgoE4EjNS0_10empty_typeEbEEZZNS1_14partition_implILS8_4ELb0ES6_15HIP_vector_typeIjLj2EENS0_17counting_iteratorIjlEEPS9_SG_NS0_5tupleIJPjSI_NS0_16reverse_iteratorISI_EEEEENSH_IJSG_SG_SG_EEES9_SI_JZNS1_25segmented_radix_sort_implINS0_14default_configELb1EPKdPdPKlPlN2at6native12_GLOBAL__N_18offset_tEEE10hipError_tPvRmT1_PNSt15iterator_traitsIS12_E10value_typeET2_T3_PNS13_IS18_E10value_typeET4_jRbjT5_S1E_jjP12ihipStream_tbEUljE_ZNSN_ISO_Lb1ESQ_SR_ST_SU_SY_EESZ_S10_S11_S12_S16_S17_S18_S1B_S1C_jS1D_jS1E_S1E_jjS1G_bEUljE0_EEESZ_S10_S11_S18_S1C_S1E_T6_T7_T9_mT8_S1G_bDpT10_ENKUlT_T0_E_clISt17integral_constantIbLb1EES1U_EEDaS1P_S1Q_EUlS1P_E_NS1_11comp_targetILNS1_3genE4ELNS1_11target_archE910ELNS1_3gpuE8ELNS1_3repE0EEENS1_30default_config_static_selectorELNS0_4arch9wavefront6targetE0EEEvS12_ ; -- Begin function _ZN7rocprim17ROCPRIM_400000_NS6detail17trampoline_kernelINS0_13select_configILj256ELj13ELNS0_17block_load_methodE3ELS4_3ELS4_3ELNS0_20block_scan_algorithmE0ELj4294967295EEENS1_25partition_config_selectorILNS1_17partition_subalgoE4EjNS0_10empty_typeEbEEZZNS1_14partition_implILS8_4ELb0ES6_15HIP_vector_typeIjLj2EENS0_17counting_iteratorIjlEEPS9_SG_NS0_5tupleIJPjSI_NS0_16reverse_iteratorISI_EEEEENSH_IJSG_SG_SG_EEES9_SI_JZNS1_25segmented_radix_sort_implINS0_14default_configELb1EPKdPdPKlPlN2at6native12_GLOBAL__N_18offset_tEEE10hipError_tPvRmT1_PNSt15iterator_traitsIS12_E10value_typeET2_T3_PNS13_IS18_E10value_typeET4_jRbjT5_S1E_jjP12ihipStream_tbEUljE_ZNSN_ISO_Lb1ESQ_SR_ST_SU_SY_EESZ_S10_S11_S12_S16_S17_S18_S1B_S1C_jS1D_jS1E_S1E_jjS1G_bEUljE0_EEESZ_S10_S11_S18_S1C_S1E_T6_T7_T9_mT8_S1G_bDpT10_ENKUlT_T0_E_clISt17integral_constantIbLb1EES1U_EEDaS1P_S1Q_EUlS1P_E_NS1_11comp_targetILNS1_3genE4ELNS1_11target_archE910ELNS1_3gpuE8ELNS1_3repE0EEENS1_30default_config_static_selectorELNS0_4arch9wavefront6targetE0EEEvS12_
	.p2align	8
	.type	_ZN7rocprim17ROCPRIM_400000_NS6detail17trampoline_kernelINS0_13select_configILj256ELj13ELNS0_17block_load_methodE3ELS4_3ELS4_3ELNS0_20block_scan_algorithmE0ELj4294967295EEENS1_25partition_config_selectorILNS1_17partition_subalgoE4EjNS0_10empty_typeEbEEZZNS1_14partition_implILS8_4ELb0ES6_15HIP_vector_typeIjLj2EENS0_17counting_iteratorIjlEEPS9_SG_NS0_5tupleIJPjSI_NS0_16reverse_iteratorISI_EEEEENSH_IJSG_SG_SG_EEES9_SI_JZNS1_25segmented_radix_sort_implINS0_14default_configELb1EPKdPdPKlPlN2at6native12_GLOBAL__N_18offset_tEEE10hipError_tPvRmT1_PNSt15iterator_traitsIS12_E10value_typeET2_T3_PNS13_IS18_E10value_typeET4_jRbjT5_S1E_jjP12ihipStream_tbEUljE_ZNSN_ISO_Lb1ESQ_SR_ST_SU_SY_EESZ_S10_S11_S12_S16_S17_S18_S1B_S1C_jS1D_jS1E_S1E_jjS1G_bEUljE0_EEESZ_S10_S11_S18_S1C_S1E_T6_T7_T9_mT8_S1G_bDpT10_ENKUlT_T0_E_clISt17integral_constantIbLb1EES1U_EEDaS1P_S1Q_EUlS1P_E_NS1_11comp_targetILNS1_3genE4ELNS1_11target_archE910ELNS1_3gpuE8ELNS1_3repE0EEENS1_30default_config_static_selectorELNS0_4arch9wavefront6targetE0EEEvS12_,@function
_ZN7rocprim17ROCPRIM_400000_NS6detail17trampoline_kernelINS0_13select_configILj256ELj13ELNS0_17block_load_methodE3ELS4_3ELS4_3ELNS0_20block_scan_algorithmE0ELj4294967295EEENS1_25partition_config_selectorILNS1_17partition_subalgoE4EjNS0_10empty_typeEbEEZZNS1_14partition_implILS8_4ELb0ES6_15HIP_vector_typeIjLj2EENS0_17counting_iteratorIjlEEPS9_SG_NS0_5tupleIJPjSI_NS0_16reverse_iteratorISI_EEEEENSH_IJSG_SG_SG_EEES9_SI_JZNS1_25segmented_radix_sort_implINS0_14default_configELb1EPKdPdPKlPlN2at6native12_GLOBAL__N_18offset_tEEE10hipError_tPvRmT1_PNSt15iterator_traitsIS12_E10value_typeET2_T3_PNS13_IS18_E10value_typeET4_jRbjT5_S1E_jjP12ihipStream_tbEUljE_ZNSN_ISO_Lb1ESQ_SR_ST_SU_SY_EESZ_S10_S11_S12_S16_S17_S18_S1B_S1C_jS1D_jS1E_S1E_jjS1G_bEUljE0_EEESZ_S10_S11_S18_S1C_S1E_T6_T7_T9_mT8_S1G_bDpT10_ENKUlT_T0_E_clISt17integral_constantIbLb1EES1U_EEDaS1P_S1Q_EUlS1P_E_NS1_11comp_targetILNS1_3genE4ELNS1_11target_archE910ELNS1_3gpuE8ELNS1_3repE0EEENS1_30default_config_static_selectorELNS0_4arch9wavefront6targetE0EEEvS12_: ; @_ZN7rocprim17ROCPRIM_400000_NS6detail17trampoline_kernelINS0_13select_configILj256ELj13ELNS0_17block_load_methodE3ELS4_3ELS4_3ELNS0_20block_scan_algorithmE0ELj4294967295EEENS1_25partition_config_selectorILNS1_17partition_subalgoE4EjNS0_10empty_typeEbEEZZNS1_14partition_implILS8_4ELb0ES6_15HIP_vector_typeIjLj2EENS0_17counting_iteratorIjlEEPS9_SG_NS0_5tupleIJPjSI_NS0_16reverse_iteratorISI_EEEEENSH_IJSG_SG_SG_EEES9_SI_JZNS1_25segmented_radix_sort_implINS0_14default_configELb1EPKdPdPKlPlN2at6native12_GLOBAL__N_18offset_tEEE10hipError_tPvRmT1_PNSt15iterator_traitsIS12_E10value_typeET2_T3_PNS13_IS18_E10value_typeET4_jRbjT5_S1E_jjP12ihipStream_tbEUljE_ZNSN_ISO_Lb1ESQ_SR_ST_SU_SY_EESZ_S10_S11_S12_S16_S17_S18_S1B_S1C_jS1D_jS1E_S1E_jjS1G_bEUljE0_EEESZ_S10_S11_S18_S1C_S1E_T6_T7_T9_mT8_S1G_bDpT10_ENKUlT_T0_E_clISt17integral_constantIbLb1EES1U_EEDaS1P_S1Q_EUlS1P_E_NS1_11comp_targetILNS1_3genE4ELNS1_11target_archE910ELNS1_3gpuE8ELNS1_3repE0EEENS1_30default_config_static_selectorELNS0_4arch9wavefront6targetE0EEEvS12_
; %bb.0:
	.section	.rodata,"a",@progbits
	.p2align	6, 0x0
	.amdhsa_kernel _ZN7rocprim17ROCPRIM_400000_NS6detail17trampoline_kernelINS0_13select_configILj256ELj13ELNS0_17block_load_methodE3ELS4_3ELS4_3ELNS0_20block_scan_algorithmE0ELj4294967295EEENS1_25partition_config_selectorILNS1_17partition_subalgoE4EjNS0_10empty_typeEbEEZZNS1_14partition_implILS8_4ELb0ES6_15HIP_vector_typeIjLj2EENS0_17counting_iteratorIjlEEPS9_SG_NS0_5tupleIJPjSI_NS0_16reverse_iteratorISI_EEEEENSH_IJSG_SG_SG_EEES9_SI_JZNS1_25segmented_radix_sort_implINS0_14default_configELb1EPKdPdPKlPlN2at6native12_GLOBAL__N_18offset_tEEE10hipError_tPvRmT1_PNSt15iterator_traitsIS12_E10value_typeET2_T3_PNS13_IS18_E10value_typeET4_jRbjT5_S1E_jjP12ihipStream_tbEUljE_ZNSN_ISO_Lb1ESQ_SR_ST_SU_SY_EESZ_S10_S11_S12_S16_S17_S18_S1B_S1C_jS1D_jS1E_S1E_jjS1G_bEUljE0_EEESZ_S10_S11_S18_S1C_S1E_T6_T7_T9_mT8_S1G_bDpT10_ENKUlT_T0_E_clISt17integral_constantIbLb1EES1U_EEDaS1P_S1Q_EUlS1P_E_NS1_11comp_targetILNS1_3genE4ELNS1_11target_archE910ELNS1_3gpuE8ELNS1_3repE0EEENS1_30default_config_static_selectorELNS0_4arch9wavefront6targetE0EEEvS12_
		.amdhsa_group_segment_fixed_size 0
		.amdhsa_private_segment_fixed_size 0
		.amdhsa_kernarg_size 184
		.amdhsa_user_sgpr_count 15
		.amdhsa_user_sgpr_dispatch_ptr 0
		.amdhsa_user_sgpr_queue_ptr 0
		.amdhsa_user_sgpr_kernarg_segment_ptr 1
		.amdhsa_user_sgpr_dispatch_id 0
		.amdhsa_user_sgpr_private_segment_size 0
		.amdhsa_wavefront_size32 1
		.amdhsa_uses_dynamic_stack 0
		.amdhsa_enable_private_segment 0
		.amdhsa_system_sgpr_workgroup_id_x 1
		.amdhsa_system_sgpr_workgroup_id_y 0
		.amdhsa_system_sgpr_workgroup_id_z 0
		.amdhsa_system_sgpr_workgroup_info 0
		.amdhsa_system_vgpr_workitem_id 0
		.amdhsa_next_free_vgpr 1
		.amdhsa_next_free_sgpr 1
		.amdhsa_reserve_vcc 0
		.amdhsa_float_round_mode_32 0
		.amdhsa_float_round_mode_16_64 0
		.amdhsa_float_denorm_mode_32 3
		.amdhsa_float_denorm_mode_16_64 3
		.amdhsa_dx10_clamp 1
		.amdhsa_ieee_mode 1
		.amdhsa_fp16_overflow 0
		.amdhsa_workgroup_processor_mode 1
		.amdhsa_memory_ordered 1
		.amdhsa_forward_progress 0
		.amdhsa_shared_vgpr_count 0
		.amdhsa_exception_fp_ieee_invalid_op 0
		.amdhsa_exception_fp_denorm_src 0
		.amdhsa_exception_fp_ieee_div_zero 0
		.amdhsa_exception_fp_ieee_overflow 0
		.amdhsa_exception_fp_ieee_underflow 0
		.amdhsa_exception_fp_ieee_inexact 0
		.amdhsa_exception_int_div_zero 0
	.end_amdhsa_kernel
	.section	.text._ZN7rocprim17ROCPRIM_400000_NS6detail17trampoline_kernelINS0_13select_configILj256ELj13ELNS0_17block_load_methodE3ELS4_3ELS4_3ELNS0_20block_scan_algorithmE0ELj4294967295EEENS1_25partition_config_selectorILNS1_17partition_subalgoE4EjNS0_10empty_typeEbEEZZNS1_14partition_implILS8_4ELb0ES6_15HIP_vector_typeIjLj2EENS0_17counting_iteratorIjlEEPS9_SG_NS0_5tupleIJPjSI_NS0_16reverse_iteratorISI_EEEEENSH_IJSG_SG_SG_EEES9_SI_JZNS1_25segmented_radix_sort_implINS0_14default_configELb1EPKdPdPKlPlN2at6native12_GLOBAL__N_18offset_tEEE10hipError_tPvRmT1_PNSt15iterator_traitsIS12_E10value_typeET2_T3_PNS13_IS18_E10value_typeET4_jRbjT5_S1E_jjP12ihipStream_tbEUljE_ZNSN_ISO_Lb1ESQ_SR_ST_SU_SY_EESZ_S10_S11_S12_S16_S17_S18_S1B_S1C_jS1D_jS1E_S1E_jjS1G_bEUljE0_EEESZ_S10_S11_S18_S1C_S1E_T6_T7_T9_mT8_S1G_bDpT10_ENKUlT_T0_E_clISt17integral_constantIbLb1EES1U_EEDaS1P_S1Q_EUlS1P_E_NS1_11comp_targetILNS1_3genE4ELNS1_11target_archE910ELNS1_3gpuE8ELNS1_3repE0EEENS1_30default_config_static_selectorELNS0_4arch9wavefront6targetE0EEEvS12_,"axG",@progbits,_ZN7rocprim17ROCPRIM_400000_NS6detail17trampoline_kernelINS0_13select_configILj256ELj13ELNS0_17block_load_methodE3ELS4_3ELS4_3ELNS0_20block_scan_algorithmE0ELj4294967295EEENS1_25partition_config_selectorILNS1_17partition_subalgoE4EjNS0_10empty_typeEbEEZZNS1_14partition_implILS8_4ELb0ES6_15HIP_vector_typeIjLj2EENS0_17counting_iteratorIjlEEPS9_SG_NS0_5tupleIJPjSI_NS0_16reverse_iteratorISI_EEEEENSH_IJSG_SG_SG_EEES9_SI_JZNS1_25segmented_radix_sort_implINS0_14default_configELb1EPKdPdPKlPlN2at6native12_GLOBAL__N_18offset_tEEE10hipError_tPvRmT1_PNSt15iterator_traitsIS12_E10value_typeET2_T3_PNS13_IS18_E10value_typeET4_jRbjT5_S1E_jjP12ihipStream_tbEUljE_ZNSN_ISO_Lb1ESQ_SR_ST_SU_SY_EESZ_S10_S11_S12_S16_S17_S18_S1B_S1C_jS1D_jS1E_S1E_jjS1G_bEUljE0_EEESZ_S10_S11_S18_S1C_S1E_T6_T7_T9_mT8_S1G_bDpT10_ENKUlT_T0_E_clISt17integral_constantIbLb1EES1U_EEDaS1P_S1Q_EUlS1P_E_NS1_11comp_targetILNS1_3genE4ELNS1_11target_archE910ELNS1_3gpuE8ELNS1_3repE0EEENS1_30default_config_static_selectorELNS0_4arch9wavefront6targetE0EEEvS12_,comdat
.Lfunc_end1064:
	.size	_ZN7rocprim17ROCPRIM_400000_NS6detail17trampoline_kernelINS0_13select_configILj256ELj13ELNS0_17block_load_methodE3ELS4_3ELS4_3ELNS0_20block_scan_algorithmE0ELj4294967295EEENS1_25partition_config_selectorILNS1_17partition_subalgoE4EjNS0_10empty_typeEbEEZZNS1_14partition_implILS8_4ELb0ES6_15HIP_vector_typeIjLj2EENS0_17counting_iteratorIjlEEPS9_SG_NS0_5tupleIJPjSI_NS0_16reverse_iteratorISI_EEEEENSH_IJSG_SG_SG_EEES9_SI_JZNS1_25segmented_radix_sort_implINS0_14default_configELb1EPKdPdPKlPlN2at6native12_GLOBAL__N_18offset_tEEE10hipError_tPvRmT1_PNSt15iterator_traitsIS12_E10value_typeET2_T3_PNS13_IS18_E10value_typeET4_jRbjT5_S1E_jjP12ihipStream_tbEUljE_ZNSN_ISO_Lb1ESQ_SR_ST_SU_SY_EESZ_S10_S11_S12_S16_S17_S18_S1B_S1C_jS1D_jS1E_S1E_jjS1G_bEUljE0_EEESZ_S10_S11_S18_S1C_S1E_T6_T7_T9_mT8_S1G_bDpT10_ENKUlT_T0_E_clISt17integral_constantIbLb1EES1U_EEDaS1P_S1Q_EUlS1P_E_NS1_11comp_targetILNS1_3genE4ELNS1_11target_archE910ELNS1_3gpuE8ELNS1_3repE0EEENS1_30default_config_static_selectorELNS0_4arch9wavefront6targetE0EEEvS12_, .Lfunc_end1064-_ZN7rocprim17ROCPRIM_400000_NS6detail17trampoline_kernelINS0_13select_configILj256ELj13ELNS0_17block_load_methodE3ELS4_3ELS4_3ELNS0_20block_scan_algorithmE0ELj4294967295EEENS1_25partition_config_selectorILNS1_17partition_subalgoE4EjNS0_10empty_typeEbEEZZNS1_14partition_implILS8_4ELb0ES6_15HIP_vector_typeIjLj2EENS0_17counting_iteratorIjlEEPS9_SG_NS0_5tupleIJPjSI_NS0_16reverse_iteratorISI_EEEEENSH_IJSG_SG_SG_EEES9_SI_JZNS1_25segmented_radix_sort_implINS0_14default_configELb1EPKdPdPKlPlN2at6native12_GLOBAL__N_18offset_tEEE10hipError_tPvRmT1_PNSt15iterator_traitsIS12_E10value_typeET2_T3_PNS13_IS18_E10value_typeET4_jRbjT5_S1E_jjP12ihipStream_tbEUljE_ZNSN_ISO_Lb1ESQ_SR_ST_SU_SY_EESZ_S10_S11_S12_S16_S17_S18_S1B_S1C_jS1D_jS1E_S1E_jjS1G_bEUljE0_EEESZ_S10_S11_S18_S1C_S1E_T6_T7_T9_mT8_S1G_bDpT10_ENKUlT_T0_E_clISt17integral_constantIbLb1EES1U_EEDaS1P_S1Q_EUlS1P_E_NS1_11comp_targetILNS1_3genE4ELNS1_11target_archE910ELNS1_3gpuE8ELNS1_3repE0EEENS1_30default_config_static_selectorELNS0_4arch9wavefront6targetE0EEEvS12_
                                        ; -- End function
	.section	.AMDGPU.csdata,"",@progbits
; Kernel info:
; codeLenInByte = 0
; NumSgprs: 0
; NumVgprs: 0
; ScratchSize: 0
; MemoryBound: 0
; FloatMode: 240
; IeeeMode: 1
; LDSByteSize: 0 bytes/workgroup (compile time only)
; SGPRBlocks: 0
; VGPRBlocks: 0
; NumSGPRsForWavesPerEU: 1
; NumVGPRsForWavesPerEU: 1
; Occupancy: 16
; WaveLimiterHint : 0
; COMPUTE_PGM_RSRC2:SCRATCH_EN: 0
; COMPUTE_PGM_RSRC2:USER_SGPR: 15
; COMPUTE_PGM_RSRC2:TRAP_HANDLER: 0
; COMPUTE_PGM_RSRC2:TGID_X_EN: 1
; COMPUTE_PGM_RSRC2:TGID_Y_EN: 0
; COMPUTE_PGM_RSRC2:TGID_Z_EN: 0
; COMPUTE_PGM_RSRC2:TIDIG_COMP_CNT: 0
	.section	.text._ZN7rocprim17ROCPRIM_400000_NS6detail17trampoline_kernelINS0_13select_configILj256ELj13ELNS0_17block_load_methodE3ELS4_3ELS4_3ELNS0_20block_scan_algorithmE0ELj4294967295EEENS1_25partition_config_selectorILNS1_17partition_subalgoE4EjNS0_10empty_typeEbEEZZNS1_14partition_implILS8_4ELb0ES6_15HIP_vector_typeIjLj2EENS0_17counting_iteratorIjlEEPS9_SG_NS0_5tupleIJPjSI_NS0_16reverse_iteratorISI_EEEEENSH_IJSG_SG_SG_EEES9_SI_JZNS1_25segmented_radix_sort_implINS0_14default_configELb1EPKdPdPKlPlN2at6native12_GLOBAL__N_18offset_tEEE10hipError_tPvRmT1_PNSt15iterator_traitsIS12_E10value_typeET2_T3_PNS13_IS18_E10value_typeET4_jRbjT5_S1E_jjP12ihipStream_tbEUljE_ZNSN_ISO_Lb1ESQ_SR_ST_SU_SY_EESZ_S10_S11_S12_S16_S17_S18_S1B_S1C_jS1D_jS1E_S1E_jjS1G_bEUljE0_EEESZ_S10_S11_S18_S1C_S1E_T6_T7_T9_mT8_S1G_bDpT10_ENKUlT_T0_E_clISt17integral_constantIbLb1EES1U_EEDaS1P_S1Q_EUlS1P_E_NS1_11comp_targetILNS1_3genE3ELNS1_11target_archE908ELNS1_3gpuE7ELNS1_3repE0EEENS1_30default_config_static_selectorELNS0_4arch9wavefront6targetE0EEEvS12_,"axG",@progbits,_ZN7rocprim17ROCPRIM_400000_NS6detail17trampoline_kernelINS0_13select_configILj256ELj13ELNS0_17block_load_methodE3ELS4_3ELS4_3ELNS0_20block_scan_algorithmE0ELj4294967295EEENS1_25partition_config_selectorILNS1_17partition_subalgoE4EjNS0_10empty_typeEbEEZZNS1_14partition_implILS8_4ELb0ES6_15HIP_vector_typeIjLj2EENS0_17counting_iteratorIjlEEPS9_SG_NS0_5tupleIJPjSI_NS0_16reverse_iteratorISI_EEEEENSH_IJSG_SG_SG_EEES9_SI_JZNS1_25segmented_radix_sort_implINS0_14default_configELb1EPKdPdPKlPlN2at6native12_GLOBAL__N_18offset_tEEE10hipError_tPvRmT1_PNSt15iterator_traitsIS12_E10value_typeET2_T3_PNS13_IS18_E10value_typeET4_jRbjT5_S1E_jjP12ihipStream_tbEUljE_ZNSN_ISO_Lb1ESQ_SR_ST_SU_SY_EESZ_S10_S11_S12_S16_S17_S18_S1B_S1C_jS1D_jS1E_S1E_jjS1G_bEUljE0_EEESZ_S10_S11_S18_S1C_S1E_T6_T7_T9_mT8_S1G_bDpT10_ENKUlT_T0_E_clISt17integral_constantIbLb1EES1U_EEDaS1P_S1Q_EUlS1P_E_NS1_11comp_targetILNS1_3genE3ELNS1_11target_archE908ELNS1_3gpuE7ELNS1_3repE0EEENS1_30default_config_static_selectorELNS0_4arch9wavefront6targetE0EEEvS12_,comdat
	.globl	_ZN7rocprim17ROCPRIM_400000_NS6detail17trampoline_kernelINS0_13select_configILj256ELj13ELNS0_17block_load_methodE3ELS4_3ELS4_3ELNS0_20block_scan_algorithmE0ELj4294967295EEENS1_25partition_config_selectorILNS1_17partition_subalgoE4EjNS0_10empty_typeEbEEZZNS1_14partition_implILS8_4ELb0ES6_15HIP_vector_typeIjLj2EENS0_17counting_iteratorIjlEEPS9_SG_NS0_5tupleIJPjSI_NS0_16reverse_iteratorISI_EEEEENSH_IJSG_SG_SG_EEES9_SI_JZNS1_25segmented_radix_sort_implINS0_14default_configELb1EPKdPdPKlPlN2at6native12_GLOBAL__N_18offset_tEEE10hipError_tPvRmT1_PNSt15iterator_traitsIS12_E10value_typeET2_T3_PNS13_IS18_E10value_typeET4_jRbjT5_S1E_jjP12ihipStream_tbEUljE_ZNSN_ISO_Lb1ESQ_SR_ST_SU_SY_EESZ_S10_S11_S12_S16_S17_S18_S1B_S1C_jS1D_jS1E_S1E_jjS1G_bEUljE0_EEESZ_S10_S11_S18_S1C_S1E_T6_T7_T9_mT8_S1G_bDpT10_ENKUlT_T0_E_clISt17integral_constantIbLb1EES1U_EEDaS1P_S1Q_EUlS1P_E_NS1_11comp_targetILNS1_3genE3ELNS1_11target_archE908ELNS1_3gpuE7ELNS1_3repE0EEENS1_30default_config_static_selectorELNS0_4arch9wavefront6targetE0EEEvS12_ ; -- Begin function _ZN7rocprim17ROCPRIM_400000_NS6detail17trampoline_kernelINS0_13select_configILj256ELj13ELNS0_17block_load_methodE3ELS4_3ELS4_3ELNS0_20block_scan_algorithmE0ELj4294967295EEENS1_25partition_config_selectorILNS1_17partition_subalgoE4EjNS0_10empty_typeEbEEZZNS1_14partition_implILS8_4ELb0ES6_15HIP_vector_typeIjLj2EENS0_17counting_iteratorIjlEEPS9_SG_NS0_5tupleIJPjSI_NS0_16reverse_iteratorISI_EEEEENSH_IJSG_SG_SG_EEES9_SI_JZNS1_25segmented_radix_sort_implINS0_14default_configELb1EPKdPdPKlPlN2at6native12_GLOBAL__N_18offset_tEEE10hipError_tPvRmT1_PNSt15iterator_traitsIS12_E10value_typeET2_T3_PNS13_IS18_E10value_typeET4_jRbjT5_S1E_jjP12ihipStream_tbEUljE_ZNSN_ISO_Lb1ESQ_SR_ST_SU_SY_EESZ_S10_S11_S12_S16_S17_S18_S1B_S1C_jS1D_jS1E_S1E_jjS1G_bEUljE0_EEESZ_S10_S11_S18_S1C_S1E_T6_T7_T9_mT8_S1G_bDpT10_ENKUlT_T0_E_clISt17integral_constantIbLb1EES1U_EEDaS1P_S1Q_EUlS1P_E_NS1_11comp_targetILNS1_3genE3ELNS1_11target_archE908ELNS1_3gpuE7ELNS1_3repE0EEENS1_30default_config_static_selectorELNS0_4arch9wavefront6targetE0EEEvS12_
	.p2align	8
	.type	_ZN7rocprim17ROCPRIM_400000_NS6detail17trampoline_kernelINS0_13select_configILj256ELj13ELNS0_17block_load_methodE3ELS4_3ELS4_3ELNS0_20block_scan_algorithmE0ELj4294967295EEENS1_25partition_config_selectorILNS1_17partition_subalgoE4EjNS0_10empty_typeEbEEZZNS1_14partition_implILS8_4ELb0ES6_15HIP_vector_typeIjLj2EENS0_17counting_iteratorIjlEEPS9_SG_NS0_5tupleIJPjSI_NS0_16reverse_iteratorISI_EEEEENSH_IJSG_SG_SG_EEES9_SI_JZNS1_25segmented_radix_sort_implINS0_14default_configELb1EPKdPdPKlPlN2at6native12_GLOBAL__N_18offset_tEEE10hipError_tPvRmT1_PNSt15iterator_traitsIS12_E10value_typeET2_T3_PNS13_IS18_E10value_typeET4_jRbjT5_S1E_jjP12ihipStream_tbEUljE_ZNSN_ISO_Lb1ESQ_SR_ST_SU_SY_EESZ_S10_S11_S12_S16_S17_S18_S1B_S1C_jS1D_jS1E_S1E_jjS1G_bEUljE0_EEESZ_S10_S11_S18_S1C_S1E_T6_T7_T9_mT8_S1G_bDpT10_ENKUlT_T0_E_clISt17integral_constantIbLb1EES1U_EEDaS1P_S1Q_EUlS1P_E_NS1_11comp_targetILNS1_3genE3ELNS1_11target_archE908ELNS1_3gpuE7ELNS1_3repE0EEENS1_30default_config_static_selectorELNS0_4arch9wavefront6targetE0EEEvS12_,@function
_ZN7rocprim17ROCPRIM_400000_NS6detail17trampoline_kernelINS0_13select_configILj256ELj13ELNS0_17block_load_methodE3ELS4_3ELS4_3ELNS0_20block_scan_algorithmE0ELj4294967295EEENS1_25partition_config_selectorILNS1_17partition_subalgoE4EjNS0_10empty_typeEbEEZZNS1_14partition_implILS8_4ELb0ES6_15HIP_vector_typeIjLj2EENS0_17counting_iteratorIjlEEPS9_SG_NS0_5tupleIJPjSI_NS0_16reverse_iteratorISI_EEEEENSH_IJSG_SG_SG_EEES9_SI_JZNS1_25segmented_radix_sort_implINS0_14default_configELb1EPKdPdPKlPlN2at6native12_GLOBAL__N_18offset_tEEE10hipError_tPvRmT1_PNSt15iterator_traitsIS12_E10value_typeET2_T3_PNS13_IS18_E10value_typeET4_jRbjT5_S1E_jjP12ihipStream_tbEUljE_ZNSN_ISO_Lb1ESQ_SR_ST_SU_SY_EESZ_S10_S11_S12_S16_S17_S18_S1B_S1C_jS1D_jS1E_S1E_jjS1G_bEUljE0_EEESZ_S10_S11_S18_S1C_S1E_T6_T7_T9_mT8_S1G_bDpT10_ENKUlT_T0_E_clISt17integral_constantIbLb1EES1U_EEDaS1P_S1Q_EUlS1P_E_NS1_11comp_targetILNS1_3genE3ELNS1_11target_archE908ELNS1_3gpuE7ELNS1_3repE0EEENS1_30default_config_static_selectorELNS0_4arch9wavefront6targetE0EEEvS12_: ; @_ZN7rocprim17ROCPRIM_400000_NS6detail17trampoline_kernelINS0_13select_configILj256ELj13ELNS0_17block_load_methodE3ELS4_3ELS4_3ELNS0_20block_scan_algorithmE0ELj4294967295EEENS1_25partition_config_selectorILNS1_17partition_subalgoE4EjNS0_10empty_typeEbEEZZNS1_14partition_implILS8_4ELb0ES6_15HIP_vector_typeIjLj2EENS0_17counting_iteratorIjlEEPS9_SG_NS0_5tupleIJPjSI_NS0_16reverse_iteratorISI_EEEEENSH_IJSG_SG_SG_EEES9_SI_JZNS1_25segmented_radix_sort_implINS0_14default_configELb1EPKdPdPKlPlN2at6native12_GLOBAL__N_18offset_tEEE10hipError_tPvRmT1_PNSt15iterator_traitsIS12_E10value_typeET2_T3_PNS13_IS18_E10value_typeET4_jRbjT5_S1E_jjP12ihipStream_tbEUljE_ZNSN_ISO_Lb1ESQ_SR_ST_SU_SY_EESZ_S10_S11_S12_S16_S17_S18_S1B_S1C_jS1D_jS1E_S1E_jjS1G_bEUljE0_EEESZ_S10_S11_S18_S1C_S1E_T6_T7_T9_mT8_S1G_bDpT10_ENKUlT_T0_E_clISt17integral_constantIbLb1EES1U_EEDaS1P_S1Q_EUlS1P_E_NS1_11comp_targetILNS1_3genE3ELNS1_11target_archE908ELNS1_3gpuE7ELNS1_3repE0EEENS1_30default_config_static_selectorELNS0_4arch9wavefront6targetE0EEEvS12_
; %bb.0:
	.section	.rodata,"a",@progbits
	.p2align	6, 0x0
	.amdhsa_kernel _ZN7rocprim17ROCPRIM_400000_NS6detail17trampoline_kernelINS0_13select_configILj256ELj13ELNS0_17block_load_methodE3ELS4_3ELS4_3ELNS0_20block_scan_algorithmE0ELj4294967295EEENS1_25partition_config_selectorILNS1_17partition_subalgoE4EjNS0_10empty_typeEbEEZZNS1_14partition_implILS8_4ELb0ES6_15HIP_vector_typeIjLj2EENS0_17counting_iteratorIjlEEPS9_SG_NS0_5tupleIJPjSI_NS0_16reverse_iteratorISI_EEEEENSH_IJSG_SG_SG_EEES9_SI_JZNS1_25segmented_radix_sort_implINS0_14default_configELb1EPKdPdPKlPlN2at6native12_GLOBAL__N_18offset_tEEE10hipError_tPvRmT1_PNSt15iterator_traitsIS12_E10value_typeET2_T3_PNS13_IS18_E10value_typeET4_jRbjT5_S1E_jjP12ihipStream_tbEUljE_ZNSN_ISO_Lb1ESQ_SR_ST_SU_SY_EESZ_S10_S11_S12_S16_S17_S18_S1B_S1C_jS1D_jS1E_S1E_jjS1G_bEUljE0_EEESZ_S10_S11_S18_S1C_S1E_T6_T7_T9_mT8_S1G_bDpT10_ENKUlT_T0_E_clISt17integral_constantIbLb1EES1U_EEDaS1P_S1Q_EUlS1P_E_NS1_11comp_targetILNS1_3genE3ELNS1_11target_archE908ELNS1_3gpuE7ELNS1_3repE0EEENS1_30default_config_static_selectorELNS0_4arch9wavefront6targetE0EEEvS12_
		.amdhsa_group_segment_fixed_size 0
		.amdhsa_private_segment_fixed_size 0
		.amdhsa_kernarg_size 184
		.amdhsa_user_sgpr_count 15
		.amdhsa_user_sgpr_dispatch_ptr 0
		.amdhsa_user_sgpr_queue_ptr 0
		.amdhsa_user_sgpr_kernarg_segment_ptr 1
		.amdhsa_user_sgpr_dispatch_id 0
		.amdhsa_user_sgpr_private_segment_size 0
		.amdhsa_wavefront_size32 1
		.amdhsa_uses_dynamic_stack 0
		.amdhsa_enable_private_segment 0
		.amdhsa_system_sgpr_workgroup_id_x 1
		.amdhsa_system_sgpr_workgroup_id_y 0
		.amdhsa_system_sgpr_workgroup_id_z 0
		.amdhsa_system_sgpr_workgroup_info 0
		.amdhsa_system_vgpr_workitem_id 0
		.amdhsa_next_free_vgpr 1
		.amdhsa_next_free_sgpr 1
		.amdhsa_reserve_vcc 0
		.amdhsa_float_round_mode_32 0
		.amdhsa_float_round_mode_16_64 0
		.amdhsa_float_denorm_mode_32 3
		.amdhsa_float_denorm_mode_16_64 3
		.amdhsa_dx10_clamp 1
		.amdhsa_ieee_mode 1
		.amdhsa_fp16_overflow 0
		.amdhsa_workgroup_processor_mode 1
		.amdhsa_memory_ordered 1
		.amdhsa_forward_progress 0
		.amdhsa_shared_vgpr_count 0
		.amdhsa_exception_fp_ieee_invalid_op 0
		.amdhsa_exception_fp_denorm_src 0
		.amdhsa_exception_fp_ieee_div_zero 0
		.amdhsa_exception_fp_ieee_overflow 0
		.amdhsa_exception_fp_ieee_underflow 0
		.amdhsa_exception_fp_ieee_inexact 0
		.amdhsa_exception_int_div_zero 0
	.end_amdhsa_kernel
	.section	.text._ZN7rocprim17ROCPRIM_400000_NS6detail17trampoline_kernelINS0_13select_configILj256ELj13ELNS0_17block_load_methodE3ELS4_3ELS4_3ELNS0_20block_scan_algorithmE0ELj4294967295EEENS1_25partition_config_selectorILNS1_17partition_subalgoE4EjNS0_10empty_typeEbEEZZNS1_14partition_implILS8_4ELb0ES6_15HIP_vector_typeIjLj2EENS0_17counting_iteratorIjlEEPS9_SG_NS0_5tupleIJPjSI_NS0_16reverse_iteratorISI_EEEEENSH_IJSG_SG_SG_EEES9_SI_JZNS1_25segmented_radix_sort_implINS0_14default_configELb1EPKdPdPKlPlN2at6native12_GLOBAL__N_18offset_tEEE10hipError_tPvRmT1_PNSt15iterator_traitsIS12_E10value_typeET2_T3_PNS13_IS18_E10value_typeET4_jRbjT5_S1E_jjP12ihipStream_tbEUljE_ZNSN_ISO_Lb1ESQ_SR_ST_SU_SY_EESZ_S10_S11_S12_S16_S17_S18_S1B_S1C_jS1D_jS1E_S1E_jjS1G_bEUljE0_EEESZ_S10_S11_S18_S1C_S1E_T6_T7_T9_mT8_S1G_bDpT10_ENKUlT_T0_E_clISt17integral_constantIbLb1EES1U_EEDaS1P_S1Q_EUlS1P_E_NS1_11comp_targetILNS1_3genE3ELNS1_11target_archE908ELNS1_3gpuE7ELNS1_3repE0EEENS1_30default_config_static_selectorELNS0_4arch9wavefront6targetE0EEEvS12_,"axG",@progbits,_ZN7rocprim17ROCPRIM_400000_NS6detail17trampoline_kernelINS0_13select_configILj256ELj13ELNS0_17block_load_methodE3ELS4_3ELS4_3ELNS0_20block_scan_algorithmE0ELj4294967295EEENS1_25partition_config_selectorILNS1_17partition_subalgoE4EjNS0_10empty_typeEbEEZZNS1_14partition_implILS8_4ELb0ES6_15HIP_vector_typeIjLj2EENS0_17counting_iteratorIjlEEPS9_SG_NS0_5tupleIJPjSI_NS0_16reverse_iteratorISI_EEEEENSH_IJSG_SG_SG_EEES9_SI_JZNS1_25segmented_radix_sort_implINS0_14default_configELb1EPKdPdPKlPlN2at6native12_GLOBAL__N_18offset_tEEE10hipError_tPvRmT1_PNSt15iterator_traitsIS12_E10value_typeET2_T3_PNS13_IS18_E10value_typeET4_jRbjT5_S1E_jjP12ihipStream_tbEUljE_ZNSN_ISO_Lb1ESQ_SR_ST_SU_SY_EESZ_S10_S11_S12_S16_S17_S18_S1B_S1C_jS1D_jS1E_S1E_jjS1G_bEUljE0_EEESZ_S10_S11_S18_S1C_S1E_T6_T7_T9_mT8_S1G_bDpT10_ENKUlT_T0_E_clISt17integral_constantIbLb1EES1U_EEDaS1P_S1Q_EUlS1P_E_NS1_11comp_targetILNS1_3genE3ELNS1_11target_archE908ELNS1_3gpuE7ELNS1_3repE0EEENS1_30default_config_static_selectorELNS0_4arch9wavefront6targetE0EEEvS12_,comdat
.Lfunc_end1065:
	.size	_ZN7rocprim17ROCPRIM_400000_NS6detail17trampoline_kernelINS0_13select_configILj256ELj13ELNS0_17block_load_methodE3ELS4_3ELS4_3ELNS0_20block_scan_algorithmE0ELj4294967295EEENS1_25partition_config_selectorILNS1_17partition_subalgoE4EjNS0_10empty_typeEbEEZZNS1_14partition_implILS8_4ELb0ES6_15HIP_vector_typeIjLj2EENS0_17counting_iteratorIjlEEPS9_SG_NS0_5tupleIJPjSI_NS0_16reverse_iteratorISI_EEEEENSH_IJSG_SG_SG_EEES9_SI_JZNS1_25segmented_radix_sort_implINS0_14default_configELb1EPKdPdPKlPlN2at6native12_GLOBAL__N_18offset_tEEE10hipError_tPvRmT1_PNSt15iterator_traitsIS12_E10value_typeET2_T3_PNS13_IS18_E10value_typeET4_jRbjT5_S1E_jjP12ihipStream_tbEUljE_ZNSN_ISO_Lb1ESQ_SR_ST_SU_SY_EESZ_S10_S11_S12_S16_S17_S18_S1B_S1C_jS1D_jS1E_S1E_jjS1G_bEUljE0_EEESZ_S10_S11_S18_S1C_S1E_T6_T7_T9_mT8_S1G_bDpT10_ENKUlT_T0_E_clISt17integral_constantIbLb1EES1U_EEDaS1P_S1Q_EUlS1P_E_NS1_11comp_targetILNS1_3genE3ELNS1_11target_archE908ELNS1_3gpuE7ELNS1_3repE0EEENS1_30default_config_static_selectorELNS0_4arch9wavefront6targetE0EEEvS12_, .Lfunc_end1065-_ZN7rocprim17ROCPRIM_400000_NS6detail17trampoline_kernelINS0_13select_configILj256ELj13ELNS0_17block_load_methodE3ELS4_3ELS4_3ELNS0_20block_scan_algorithmE0ELj4294967295EEENS1_25partition_config_selectorILNS1_17partition_subalgoE4EjNS0_10empty_typeEbEEZZNS1_14partition_implILS8_4ELb0ES6_15HIP_vector_typeIjLj2EENS0_17counting_iteratorIjlEEPS9_SG_NS0_5tupleIJPjSI_NS0_16reverse_iteratorISI_EEEEENSH_IJSG_SG_SG_EEES9_SI_JZNS1_25segmented_radix_sort_implINS0_14default_configELb1EPKdPdPKlPlN2at6native12_GLOBAL__N_18offset_tEEE10hipError_tPvRmT1_PNSt15iterator_traitsIS12_E10value_typeET2_T3_PNS13_IS18_E10value_typeET4_jRbjT5_S1E_jjP12ihipStream_tbEUljE_ZNSN_ISO_Lb1ESQ_SR_ST_SU_SY_EESZ_S10_S11_S12_S16_S17_S18_S1B_S1C_jS1D_jS1E_S1E_jjS1G_bEUljE0_EEESZ_S10_S11_S18_S1C_S1E_T6_T7_T9_mT8_S1G_bDpT10_ENKUlT_T0_E_clISt17integral_constantIbLb1EES1U_EEDaS1P_S1Q_EUlS1P_E_NS1_11comp_targetILNS1_3genE3ELNS1_11target_archE908ELNS1_3gpuE7ELNS1_3repE0EEENS1_30default_config_static_selectorELNS0_4arch9wavefront6targetE0EEEvS12_
                                        ; -- End function
	.section	.AMDGPU.csdata,"",@progbits
; Kernel info:
; codeLenInByte = 0
; NumSgprs: 0
; NumVgprs: 0
; ScratchSize: 0
; MemoryBound: 0
; FloatMode: 240
; IeeeMode: 1
; LDSByteSize: 0 bytes/workgroup (compile time only)
; SGPRBlocks: 0
; VGPRBlocks: 0
; NumSGPRsForWavesPerEU: 1
; NumVGPRsForWavesPerEU: 1
; Occupancy: 16
; WaveLimiterHint : 0
; COMPUTE_PGM_RSRC2:SCRATCH_EN: 0
; COMPUTE_PGM_RSRC2:USER_SGPR: 15
; COMPUTE_PGM_RSRC2:TRAP_HANDLER: 0
; COMPUTE_PGM_RSRC2:TGID_X_EN: 1
; COMPUTE_PGM_RSRC2:TGID_Y_EN: 0
; COMPUTE_PGM_RSRC2:TGID_Z_EN: 0
; COMPUTE_PGM_RSRC2:TIDIG_COMP_CNT: 0
	.section	.text._ZN7rocprim17ROCPRIM_400000_NS6detail17trampoline_kernelINS0_13select_configILj256ELj13ELNS0_17block_load_methodE3ELS4_3ELS4_3ELNS0_20block_scan_algorithmE0ELj4294967295EEENS1_25partition_config_selectorILNS1_17partition_subalgoE4EjNS0_10empty_typeEbEEZZNS1_14partition_implILS8_4ELb0ES6_15HIP_vector_typeIjLj2EENS0_17counting_iteratorIjlEEPS9_SG_NS0_5tupleIJPjSI_NS0_16reverse_iteratorISI_EEEEENSH_IJSG_SG_SG_EEES9_SI_JZNS1_25segmented_radix_sort_implINS0_14default_configELb1EPKdPdPKlPlN2at6native12_GLOBAL__N_18offset_tEEE10hipError_tPvRmT1_PNSt15iterator_traitsIS12_E10value_typeET2_T3_PNS13_IS18_E10value_typeET4_jRbjT5_S1E_jjP12ihipStream_tbEUljE_ZNSN_ISO_Lb1ESQ_SR_ST_SU_SY_EESZ_S10_S11_S12_S16_S17_S18_S1B_S1C_jS1D_jS1E_S1E_jjS1G_bEUljE0_EEESZ_S10_S11_S18_S1C_S1E_T6_T7_T9_mT8_S1G_bDpT10_ENKUlT_T0_E_clISt17integral_constantIbLb1EES1U_EEDaS1P_S1Q_EUlS1P_E_NS1_11comp_targetILNS1_3genE2ELNS1_11target_archE906ELNS1_3gpuE6ELNS1_3repE0EEENS1_30default_config_static_selectorELNS0_4arch9wavefront6targetE0EEEvS12_,"axG",@progbits,_ZN7rocprim17ROCPRIM_400000_NS6detail17trampoline_kernelINS0_13select_configILj256ELj13ELNS0_17block_load_methodE3ELS4_3ELS4_3ELNS0_20block_scan_algorithmE0ELj4294967295EEENS1_25partition_config_selectorILNS1_17partition_subalgoE4EjNS0_10empty_typeEbEEZZNS1_14partition_implILS8_4ELb0ES6_15HIP_vector_typeIjLj2EENS0_17counting_iteratorIjlEEPS9_SG_NS0_5tupleIJPjSI_NS0_16reverse_iteratorISI_EEEEENSH_IJSG_SG_SG_EEES9_SI_JZNS1_25segmented_radix_sort_implINS0_14default_configELb1EPKdPdPKlPlN2at6native12_GLOBAL__N_18offset_tEEE10hipError_tPvRmT1_PNSt15iterator_traitsIS12_E10value_typeET2_T3_PNS13_IS18_E10value_typeET4_jRbjT5_S1E_jjP12ihipStream_tbEUljE_ZNSN_ISO_Lb1ESQ_SR_ST_SU_SY_EESZ_S10_S11_S12_S16_S17_S18_S1B_S1C_jS1D_jS1E_S1E_jjS1G_bEUljE0_EEESZ_S10_S11_S18_S1C_S1E_T6_T7_T9_mT8_S1G_bDpT10_ENKUlT_T0_E_clISt17integral_constantIbLb1EES1U_EEDaS1P_S1Q_EUlS1P_E_NS1_11comp_targetILNS1_3genE2ELNS1_11target_archE906ELNS1_3gpuE6ELNS1_3repE0EEENS1_30default_config_static_selectorELNS0_4arch9wavefront6targetE0EEEvS12_,comdat
	.globl	_ZN7rocprim17ROCPRIM_400000_NS6detail17trampoline_kernelINS0_13select_configILj256ELj13ELNS0_17block_load_methodE3ELS4_3ELS4_3ELNS0_20block_scan_algorithmE0ELj4294967295EEENS1_25partition_config_selectorILNS1_17partition_subalgoE4EjNS0_10empty_typeEbEEZZNS1_14partition_implILS8_4ELb0ES6_15HIP_vector_typeIjLj2EENS0_17counting_iteratorIjlEEPS9_SG_NS0_5tupleIJPjSI_NS0_16reverse_iteratorISI_EEEEENSH_IJSG_SG_SG_EEES9_SI_JZNS1_25segmented_radix_sort_implINS0_14default_configELb1EPKdPdPKlPlN2at6native12_GLOBAL__N_18offset_tEEE10hipError_tPvRmT1_PNSt15iterator_traitsIS12_E10value_typeET2_T3_PNS13_IS18_E10value_typeET4_jRbjT5_S1E_jjP12ihipStream_tbEUljE_ZNSN_ISO_Lb1ESQ_SR_ST_SU_SY_EESZ_S10_S11_S12_S16_S17_S18_S1B_S1C_jS1D_jS1E_S1E_jjS1G_bEUljE0_EEESZ_S10_S11_S18_S1C_S1E_T6_T7_T9_mT8_S1G_bDpT10_ENKUlT_T0_E_clISt17integral_constantIbLb1EES1U_EEDaS1P_S1Q_EUlS1P_E_NS1_11comp_targetILNS1_3genE2ELNS1_11target_archE906ELNS1_3gpuE6ELNS1_3repE0EEENS1_30default_config_static_selectorELNS0_4arch9wavefront6targetE0EEEvS12_ ; -- Begin function _ZN7rocprim17ROCPRIM_400000_NS6detail17trampoline_kernelINS0_13select_configILj256ELj13ELNS0_17block_load_methodE3ELS4_3ELS4_3ELNS0_20block_scan_algorithmE0ELj4294967295EEENS1_25partition_config_selectorILNS1_17partition_subalgoE4EjNS0_10empty_typeEbEEZZNS1_14partition_implILS8_4ELb0ES6_15HIP_vector_typeIjLj2EENS0_17counting_iteratorIjlEEPS9_SG_NS0_5tupleIJPjSI_NS0_16reverse_iteratorISI_EEEEENSH_IJSG_SG_SG_EEES9_SI_JZNS1_25segmented_radix_sort_implINS0_14default_configELb1EPKdPdPKlPlN2at6native12_GLOBAL__N_18offset_tEEE10hipError_tPvRmT1_PNSt15iterator_traitsIS12_E10value_typeET2_T3_PNS13_IS18_E10value_typeET4_jRbjT5_S1E_jjP12ihipStream_tbEUljE_ZNSN_ISO_Lb1ESQ_SR_ST_SU_SY_EESZ_S10_S11_S12_S16_S17_S18_S1B_S1C_jS1D_jS1E_S1E_jjS1G_bEUljE0_EEESZ_S10_S11_S18_S1C_S1E_T6_T7_T9_mT8_S1G_bDpT10_ENKUlT_T0_E_clISt17integral_constantIbLb1EES1U_EEDaS1P_S1Q_EUlS1P_E_NS1_11comp_targetILNS1_3genE2ELNS1_11target_archE906ELNS1_3gpuE6ELNS1_3repE0EEENS1_30default_config_static_selectorELNS0_4arch9wavefront6targetE0EEEvS12_
	.p2align	8
	.type	_ZN7rocprim17ROCPRIM_400000_NS6detail17trampoline_kernelINS0_13select_configILj256ELj13ELNS0_17block_load_methodE3ELS4_3ELS4_3ELNS0_20block_scan_algorithmE0ELj4294967295EEENS1_25partition_config_selectorILNS1_17partition_subalgoE4EjNS0_10empty_typeEbEEZZNS1_14partition_implILS8_4ELb0ES6_15HIP_vector_typeIjLj2EENS0_17counting_iteratorIjlEEPS9_SG_NS0_5tupleIJPjSI_NS0_16reverse_iteratorISI_EEEEENSH_IJSG_SG_SG_EEES9_SI_JZNS1_25segmented_radix_sort_implINS0_14default_configELb1EPKdPdPKlPlN2at6native12_GLOBAL__N_18offset_tEEE10hipError_tPvRmT1_PNSt15iterator_traitsIS12_E10value_typeET2_T3_PNS13_IS18_E10value_typeET4_jRbjT5_S1E_jjP12ihipStream_tbEUljE_ZNSN_ISO_Lb1ESQ_SR_ST_SU_SY_EESZ_S10_S11_S12_S16_S17_S18_S1B_S1C_jS1D_jS1E_S1E_jjS1G_bEUljE0_EEESZ_S10_S11_S18_S1C_S1E_T6_T7_T9_mT8_S1G_bDpT10_ENKUlT_T0_E_clISt17integral_constantIbLb1EES1U_EEDaS1P_S1Q_EUlS1P_E_NS1_11comp_targetILNS1_3genE2ELNS1_11target_archE906ELNS1_3gpuE6ELNS1_3repE0EEENS1_30default_config_static_selectorELNS0_4arch9wavefront6targetE0EEEvS12_,@function
_ZN7rocprim17ROCPRIM_400000_NS6detail17trampoline_kernelINS0_13select_configILj256ELj13ELNS0_17block_load_methodE3ELS4_3ELS4_3ELNS0_20block_scan_algorithmE0ELj4294967295EEENS1_25partition_config_selectorILNS1_17partition_subalgoE4EjNS0_10empty_typeEbEEZZNS1_14partition_implILS8_4ELb0ES6_15HIP_vector_typeIjLj2EENS0_17counting_iteratorIjlEEPS9_SG_NS0_5tupleIJPjSI_NS0_16reverse_iteratorISI_EEEEENSH_IJSG_SG_SG_EEES9_SI_JZNS1_25segmented_radix_sort_implINS0_14default_configELb1EPKdPdPKlPlN2at6native12_GLOBAL__N_18offset_tEEE10hipError_tPvRmT1_PNSt15iterator_traitsIS12_E10value_typeET2_T3_PNS13_IS18_E10value_typeET4_jRbjT5_S1E_jjP12ihipStream_tbEUljE_ZNSN_ISO_Lb1ESQ_SR_ST_SU_SY_EESZ_S10_S11_S12_S16_S17_S18_S1B_S1C_jS1D_jS1E_S1E_jjS1G_bEUljE0_EEESZ_S10_S11_S18_S1C_S1E_T6_T7_T9_mT8_S1G_bDpT10_ENKUlT_T0_E_clISt17integral_constantIbLb1EES1U_EEDaS1P_S1Q_EUlS1P_E_NS1_11comp_targetILNS1_3genE2ELNS1_11target_archE906ELNS1_3gpuE6ELNS1_3repE0EEENS1_30default_config_static_selectorELNS0_4arch9wavefront6targetE0EEEvS12_: ; @_ZN7rocprim17ROCPRIM_400000_NS6detail17trampoline_kernelINS0_13select_configILj256ELj13ELNS0_17block_load_methodE3ELS4_3ELS4_3ELNS0_20block_scan_algorithmE0ELj4294967295EEENS1_25partition_config_selectorILNS1_17partition_subalgoE4EjNS0_10empty_typeEbEEZZNS1_14partition_implILS8_4ELb0ES6_15HIP_vector_typeIjLj2EENS0_17counting_iteratorIjlEEPS9_SG_NS0_5tupleIJPjSI_NS0_16reverse_iteratorISI_EEEEENSH_IJSG_SG_SG_EEES9_SI_JZNS1_25segmented_radix_sort_implINS0_14default_configELb1EPKdPdPKlPlN2at6native12_GLOBAL__N_18offset_tEEE10hipError_tPvRmT1_PNSt15iterator_traitsIS12_E10value_typeET2_T3_PNS13_IS18_E10value_typeET4_jRbjT5_S1E_jjP12ihipStream_tbEUljE_ZNSN_ISO_Lb1ESQ_SR_ST_SU_SY_EESZ_S10_S11_S12_S16_S17_S18_S1B_S1C_jS1D_jS1E_S1E_jjS1G_bEUljE0_EEESZ_S10_S11_S18_S1C_S1E_T6_T7_T9_mT8_S1G_bDpT10_ENKUlT_T0_E_clISt17integral_constantIbLb1EES1U_EEDaS1P_S1Q_EUlS1P_E_NS1_11comp_targetILNS1_3genE2ELNS1_11target_archE906ELNS1_3gpuE6ELNS1_3repE0EEENS1_30default_config_static_selectorELNS0_4arch9wavefront6targetE0EEEvS12_
; %bb.0:
	.section	.rodata,"a",@progbits
	.p2align	6, 0x0
	.amdhsa_kernel _ZN7rocprim17ROCPRIM_400000_NS6detail17trampoline_kernelINS0_13select_configILj256ELj13ELNS0_17block_load_methodE3ELS4_3ELS4_3ELNS0_20block_scan_algorithmE0ELj4294967295EEENS1_25partition_config_selectorILNS1_17partition_subalgoE4EjNS0_10empty_typeEbEEZZNS1_14partition_implILS8_4ELb0ES6_15HIP_vector_typeIjLj2EENS0_17counting_iteratorIjlEEPS9_SG_NS0_5tupleIJPjSI_NS0_16reverse_iteratorISI_EEEEENSH_IJSG_SG_SG_EEES9_SI_JZNS1_25segmented_radix_sort_implINS0_14default_configELb1EPKdPdPKlPlN2at6native12_GLOBAL__N_18offset_tEEE10hipError_tPvRmT1_PNSt15iterator_traitsIS12_E10value_typeET2_T3_PNS13_IS18_E10value_typeET4_jRbjT5_S1E_jjP12ihipStream_tbEUljE_ZNSN_ISO_Lb1ESQ_SR_ST_SU_SY_EESZ_S10_S11_S12_S16_S17_S18_S1B_S1C_jS1D_jS1E_S1E_jjS1G_bEUljE0_EEESZ_S10_S11_S18_S1C_S1E_T6_T7_T9_mT8_S1G_bDpT10_ENKUlT_T0_E_clISt17integral_constantIbLb1EES1U_EEDaS1P_S1Q_EUlS1P_E_NS1_11comp_targetILNS1_3genE2ELNS1_11target_archE906ELNS1_3gpuE6ELNS1_3repE0EEENS1_30default_config_static_selectorELNS0_4arch9wavefront6targetE0EEEvS12_
		.amdhsa_group_segment_fixed_size 0
		.amdhsa_private_segment_fixed_size 0
		.amdhsa_kernarg_size 184
		.amdhsa_user_sgpr_count 15
		.amdhsa_user_sgpr_dispatch_ptr 0
		.amdhsa_user_sgpr_queue_ptr 0
		.amdhsa_user_sgpr_kernarg_segment_ptr 1
		.amdhsa_user_sgpr_dispatch_id 0
		.amdhsa_user_sgpr_private_segment_size 0
		.amdhsa_wavefront_size32 1
		.amdhsa_uses_dynamic_stack 0
		.amdhsa_enable_private_segment 0
		.amdhsa_system_sgpr_workgroup_id_x 1
		.amdhsa_system_sgpr_workgroup_id_y 0
		.amdhsa_system_sgpr_workgroup_id_z 0
		.amdhsa_system_sgpr_workgroup_info 0
		.amdhsa_system_vgpr_workitem_id 0
		.amdhsa_next_free_vgpr 1
		.amdhsa_next_free_sgpr 1
		.amdhsa_reserve_vcc 0
		.amdhsa_float_round_mode_32 0
		.amdhsa_float_round_mode_16_64 0
		.amdhsa_float_denorm_mode_32 3
		.amdhsa_float_denorm_mode_16_64 3
		.amdhsa_dx10_clamp 1
		.amdhsa_ieee_mode 1
		.amdhsa_fp16_overflow 0
		.amdhsa_workgroup_processor_mode 1
		.amdhsa_memory_ordered 1
		.amdhsa_forward_progress 0
		.amdhsa_shared_vgpr_count 0
		.amdhsa_exception_fp_ieee_invalid_op 0
		.amdhsa_exception_fp_denorm_src 0
		.amdhsa_exception_fp_ieee_div_zero 0
		.amdhsa_exception_fp_ieee_overflow 0
		.amdhsa_exception_fp_ieee_underflow 0
		.amdhsa_exception_fp_ieee_inexact 0
		.amdhsa_exception_int_div_zero 0
	.end_amdhsa_kernel
	.section	.text._ZN7rocprim17ROCPRIM_400000_NS6detail17trampoline_kernelINS0_13select_configILj256ELj13ELNS0_17block_load_methodE3ELS4_3ELS4_3ELNS0_20block_scan_algorithmE0ELj4294967295EEENS1_25partition_config_selectorILNS1_17partition_subalgoE4EjNS0_10empty_typeEbEEZZNS1_14partition_implILS8_4ELb0ES6_15HIP_vector_typeIjLj2EENS0_17counting_iteratorIjlEEPS9_SG_NS0_5tupleIJPjSI_NS0_16reverse_iteratorISI_EEEEENSH_IJSG_SG_SG_EEES9_SI_JZNS1_25segmented_radix_sort_implINS0_14default_configELb1EPKdPdPKlPlN2at6native12_GLOBAL__N_18offset_tEEE10hipError_tPvRmT1_PNSt15iterator_traitsIS12_E10value_typeET2_T3_PNS13_IS18_E10value_typeET4_jRbjT5_S1E_jjP12ihipStream_tbEUljE_ZNSN_ISO_Lb1ESQ_SR_ST_SU_SY_EESZ_S10_S11_S12_S16_S17_S18_S1B_S1C_jS1D_jS1E_S1E_jjS1G_bEUljE0_EEESZ_S10_S11_S18_S1C_S1E_T6_T7_T9_mT8_S1G_bDpT10_ENKUlT_T0_E_clISt17integral_constantIbLb1EES1U_EEDaS1P_S1Q_EUlS1P_E_NS1_11comp_targetILNS1_3genE2ELNS1_11target_archE906ELNS1_3gpuE6ELNS1_3repE0EEENS1_30default_config_static_selectorELNS0_4arch9wavefront6targetE0EEEvS12_,"axG",@progbits,_ZN7rocprim17ROCPRIM_400000_NS6detail17trampoline_kernelINS0_13select_configILj256ELj13ELNS0_17block_load_methodE3ELS4_3ELS4_3ELNS0_20block_scan_algorithmE0ELj4294967295EEENS1_25partition_config_selectorILNS1_17partition_subalgoE4EjNS0_10empty_typeEbEEZZNS1_14partition_implILS8_4ELb0ES6_15HIP_vector_typeIjLj2EENS0_17counting_iteratorIjlEEPS9_SG_NS0_5tupleIJPjSI_NS0_16reverse_iteratorISI_EEEEENSH_IJSG_SG_SG_EEES9_SI_JZNS1_25segmented_radix_sort_implINS0_14default_configELb1EPKdPdPKlPlN2at6native12_GLOBAL__N_18offset_tEEE10hipError_tPvRmT1_PNSt15iterator_traitsIS12_E10value_typeET2_T3_PNS13_IS18_E10value_typeET4_jRbjT5_S1E_jjP12ihipStream_tbEUljE_ZNSN_ISO_Lb1ESQ_SR_ST_SU_SY_EESZ_S10_S11_S12_S16_S17_S18_S1B_S1C_jS1D_jS1E_S1E_jjS1G_bEUljE0_EEESZ_S10_S11_S18_S1C_S1E_T6_T7_T9_mT8_S1G_bDpT10_ENKUlT_T0_E_clISt17integral_constantIbLb1EES1U_EEDaS1P_S1Q_EUlS1P_E_NS1_11comp_targetILNS1_3genE2ELNS1_11target_archE906ELNS1_3gpuE6ELNS1_3repE0EEENS1_30default_config_static_selectorELNS0_4arch9wavefront6targetE0EEEvS12_,comdat
.Lfunc_end1066:
	.size	_ZN7rocprim17ROCPRIM_400000_NS6detail17trampoline_kernelINS0_13select_configILj256ELj13ELNS0_17block_load_methodE3ELS4_3ELS4_3ELNS0_20block_scan_algorithmE0ELj4294967295EEENS1_25partition_config_selectorILNS1_17partition_subalgoE4EjNS0_10empty_typeEbEEZZNS1_14partition_implILS8_4ELb0ES6_15HIP_vector_typeIjLj2EENS0_17counting_iteratorIjlEEPS9_SG_NS0_5tupleIJPjSI_NS0_16reverse_iteratorISI_EEEEENSH_IJSG_SG_SG_EEES9_SI_JZNS1_25segmented_radix_sort_implINS0_14default_configELb1EPKdPdPKlPlN2at6native12_GLOBAL__N_18offset_tEEE10hipError_tPvRmT1_PNSt15iterator_traitsIS12_E10value_typeET2_T3_PNS13_IS18_E10value_typeET4_jRbjT5_S1E_jjP12ihipStream_tbEUljE_ZNSN_ISO_Lb1ESQ_SR_ST_SU_SY_EESZ_S10_S11_S12_S16_S17_S18_S1B_S1C_jS1D_jS1E_S1E_jjS1G_bEUljE0_EEESZ_S10_S11_S18_S1C_S1E_T6_T7_T9_mT8_S1G_bDpT10_ENKUlT_T0_E_clISt17integral_constantIbLb1EES1U_EEDaS1P_S1Q_EUlS1P_E_NS1_11comp_targetILNS1_3genE2ELNS1_11target_archE906ELNS1_3gpuE6ELNS1_3repE0EEENS1_30default_config_static_selectorELNS0_4arch9wavefront6targetE0EEEvS12_, .Lfunc_end1066-_ZN7rocprim17ROCPRIM_400000_NS6detail17trampoline_kernelINS0_13select_configILj256ELj13ELNS0_17block_load_methodE3ELS4_3ELS4_3ELNS0_20block_scan_algorithmE0ELj4294967295EEENS1_25partition_config_selectorILNS1_17partition_subalgoE4EjNS0_10empty_typeEbEEZZNS1_14partition_implILS8_4ELb0ES6_15HIP_vector_typeIjLj2EENS0_17counting_iteratorIjlEEPS9_SG_NS0_5tupleIJPjSI_NS0_16reverse_iteratorISI_EEEEENSH_IJSG_SG_SG_EEES9_SI_JZNS1_25segmented_radix_sort_implINS0_14default_configELb1EPKdPdPKlPlN2at6native12_GLOBAL__N_18offset_tEEE10hipError_tPvRmT1_PNSt15iterator_traitsIS12_E10value_typeET2_T3_PNS13_IS18_E10value_typeET4_jRbjT5_S1E_jjP12ihipStream_tbEUljE_ZNSN_ISO_Lb1ESQ_SR_ST_SU_SY_EESZ_S10_S11_S12_S16_S17_S18_S1B_S1C_jS1D_jS1E_S1E_jjS1G_bEUljE0_EEESZ_S10_S11_S18_S1C_S1E_T6_T7_T9_mT8_S1G_bDpT10_ENKUlT_T0_E_clISt17integral_constantIbLb1EES1U_EEDaS1P_S1Q_EUlS1P_E_NS1_11comp_targetILNS1_3genE2ELNS1_11target_archE906ELNS1_3gpuE6ELNS1_3repE0EEENS1_30default_config_static_selectorELNS0_4arch9wavefront6targetE0EEEvS12_
                                        ; -- End function
	.section	.AMDGPU.csdata,"",@progbits
; Kernel info:
; codeLenInByte = 0
; NumSgprs: 0
; NumVgprs: 0
; ScratchSize: 0
; MemoryBound: 0
; FloatMode: 240
; IeeeMode: 1
; LDSByteSize: 0 bytes/workgroup (compile time only)
; SGPRBlocks: 0
; VGPRBlocks: 0
; NumSGPRsForWavesPerEU: 1
; NumVGPRsForWavesPerEU: 1
; Occupancy: 16
; WaveLimiterHint : 0
; COMPUTE_PGM_RSRC2:SCRATCH_EN: 0
; COMPUTE_PGM_RSRC2:USER_SGPR: 15
; COMPUTE_PGM_RSRC2:TRAP_HANDLER: 0
; COMPUTE_PGM_RSRC2:TGID_X_EN: 1
; COMPUTE_PGM_RSRC2:TGID_Y_EN: 0
; COMPUTE_PGM_RSRC2:TGID_Z_EN: 0
; COMPUTE_PGM_RSRC2:TIDIG_COMP_CNT: 0
	.section	.text._ZN7rocprim17ROCPRIM_400000_NS6detail17trampoline_kernelINS0_13select_configILj256ELj13ELNS0_17block_load_methodE3ELS4_3ELS4_3ELNS0_20block_scan_algorithmE0ELj4294967295EEENS1_25partition_config_selectorILNS1_17partition_subalgoE4EjNS0_10empty_typeEbEEZZNS1_14partition_implILS8_4ELb0ES6_15HIP_vector_typeIjLj2EENS0_17counting_iteratorIjlEEPS9_SG_NS0_5tupleIJPjSI_NS0_16reverse_iteratorISI_EEEEENSH_IJSG_SG_SG_EEES9_SI_JZNS1_25segmented_radix_sort_implINS0_14default_configELb1EPKdPdPKlPlN2at6native12_GLOBAL__N_18offset_tEEE10hipError_tPvRmT1_PNSt15iterator_traitsIS12_E10value_typeET2_T3_PNS13_IS18_E10value_typeET4_jRbjT5_S1E_jjP12ihipStream_tbEUljE_ZNSN_ISO_Lb1ESQ_SR_ST_SU_SY_EESZ_S10_S11_S12_S16_S17_S18_S1B_S1C_jS1D_jS1E_S1E_jjS1G_bEUljE0_EEESZ_S10_S11_S18_S1C_S1E_T6_T7_T9_mT8_S1G_bDpT10_ENKUlT_T0_E_clISt17integral_constantIbLb1EES1U_EEDaS1P_S1Q_EUlS1P_E_NS1_11comp_targetILNS1_3genE10ELNS1_11target_archE1200ELNS1_3gpuE4ELNS1_3repE0EEENS1_30default_config_static_selectorELNS0_4arch9wavefront6targetE0EEEvS12_,"axG",@progbits,_ZN7rocprim17ROCPRIM_400000_NS6detail17trampoline_kernelINS0_13select_configILj256ELj13ELNS0_17block_load_methodE3ELS4_3ELS4_3ELNS0_20block_scan_algorithmE0ELj4294967295EEENS1_25partition_config_selectorILNS1_17partition_subalgoE4EjNS0_10empty_typeEbEEZZNS1_14partition_implILS8_4ELb0ES6_15HIP_vector_typeIjLj2EENS0_17counting_iteratorIjlEEPS9_SG_NS0_5tupleIJPjSI_NS0_16reverse_iteratorISI_EEEEENSH_IJSG_SG_SG_EEES9_SI_JZNS1_25segmented_radix_sort_implINS0_14default_configELb1EPKdPdPKlPlN2at6native12_GLOBAL__N_18offset_tEEE10hipError_tPvRmT1_PNSt15iterator_traitsIS12_E10value_typeET2_T3_PNS13_IS18_E10value_typeET4_jRbjT5_S1E_jjP12ihipStream_tbEUljE_ZNSN_ISO_Lb1ESQ_SR_ST_SU_SY_EESZ_S10_S11_S12_S16_S17_S18_S1B_S1C_jS1D_jS1E_S1E_jjS1G_bEUljE0_EEESZ_S10_S11_S18_S1C_S1E_T6_T7_T9_mT8_S1G_bDpT10_ENKUlT_T0_E_clISt17integral_constantIbLb1EES1U_EEDaS1P_S1Q_EUlS1P_E_NS1_11comp_targetILNS1_3genE10ELNS1_11target_archE1200ELNS1_3gpuE4ELNS1_3repE0EEENS1_30default_config_static_selectorELNS0_4arch9wavefront6targetE0EEEvS12_,comdat
	.globl	_ZN7rocprim17ROCPRIM_400000_NS6detail17trampoline_kernelINS0_13select_configILj256ELj13ELNS0_17block_load_methodE3ELS4_3ELS4_3ELNS0_20block_scan_algorithmE0ELj4294967295EEENS1_25partition_config_selectorILNS1_17partition_subalgoE4EjNS0_10empty_typeEbEEZZNS1_14partition_implILS8_4ELb0ES6_15HIP_vector_typeIjLj2EENS0_17counting_iteratorIjlEEPS9_SG_NS0_5tupleIJPjSI_NS0_16reverse_iteratorISI_EEEEENSH_IJSG_SG_SG_EEES9_SI_JZNS1_25segmented_radix_sort_implINS0_14default_configELb1EPKdPdPKlPlN2at6native12_GLOBAL__N_18offset_tEEE10hipError_tPvRmT1_PNSt15iterator_traitsIS12_E10value_typeET2_T3_PNS13_IS18_E10value_typeET4_jRbjT5_S1E_jjP12ihipStream_tbEUljE_ZNSN_ISO_Lb1ESQ_SR_ST_SU_SY_EESZ_S10_S11_S12_S16_S17_S18_S1B_S1C_jS1D_jS1E_S1E_jjS1G_bEUljE0_EEESZ_S10_S11_S18_S1C_S1E_T6_T7_T9_mT8_S1G_bDpT10_ENKUlT_T0_E_clISt17integral_constantIbLb1EES1U_EEDaS1P_S1Q_EUlS1P_E_NS1_11comp_targetILNS1_3genE10ELNS1_11target_archE1200ELNS1_3gpuE4ELNS1_3repE0EEENS1_30default_config_static_selectorELNS0_4arch9wavefront6targetE0EEEvS12_ ; -- Begin function _ZN7rocprim17ROCPRIM_400000_NS6detail17trampoline_kernelINS0_13select_configILj256ELj13ELNS0_17block_load_methodE3ELS4_3ELS4_3ELNS0_20block_scan_algorithmE0ELj4294967295EEENS1_25partition_config_selectorILNS1_17partition_subalgoE4EjNS0_10empty_typeEbEEZZNS1_14partition_implILS8_4ELb0ES6_15HIP_vector_typeIjLj2EENS0_17counting_iteratorIjlEEPS9_SG_NS0_5tupleIJPjSI_NS0_16reverse_iteratorISI_EEEEENSH_IJSG_SG_SG_EEES9_SI_JZNS1_25segmented_radix_sort_implINS0_14default_configELb1EPKdPdPKlPlN2at6native12_GLOBAL__N_18offset_tEEE10hipError_tPvRmT1_PNSt15iterator_traitsIS12_E10value_typeET2_T3_PNS13_IS18_E10value_typeET4_jRbjT5_S1E_jjP12ihipStream_tbEUljE_ZNSN_ISO_Lb1ESQ_SR_ST_SU_SY_EESZ_S10_S11_S12_S16_S17_S18_S1B_S1C_jS1D_jS1E_S1E_jjS1G_bEUljE0_EEESZ_S10_S11_S18_S1C_S1E_T6_T7_T9_mT8_S1G_bDpT10_ENKUlT_T0_E_clISt17integral_constantIbLb1EES1U_EEDaS1P_S1Q_EUlS1P_E_NS1_11comp_targetILNS1_3genE10ELNS1_11target_archE1200ELNS1_3gpuE4ELNS1_3repE0EEENS1_30default_config_static_selectorELNS0_4arch9wavefront6targetE0EEEvS12_
	.p2align	8
	.type	_ZN7rocprim17ROCPRIM_400000_NS6detail17trampoline_kernelINS0_13select_configILj256ELj13ELNS0_17block_load_methodE3ELS4_3ELS4_3ELNS0_20block_scan_algorithmE0ELj4294967295EEENS1_25partition_config_selectorILNS1_17partition_subalgoE4EjNS0_10empty_typeEbEEZZNS1_14partition_implILS8_4ELb0ES6_15HIP_vector_typeIjLj2EENS0_17counting_iteratorIjlEEPS9_SG_NS0_5tupleIJPjSI_NS0_16reverse_iteratorISI_EEEEENSH_IJSG_SG_SG_EEES9_SI_JZNS1_25segmented_radix_sort_implINS0_14default_configELb1EPKdPdPKlPlN2at6native12_GLOBAL__N_18offset_tEEE10hipError_tPvRmT1_PNSt15iterator_traitsIS12_E10value_typeET2_T3_PNS13_IS18_E10value_typeET4_jRbjT5_S1E_jjP12ihipStream_tbEUljE_ZNSN_ISO_Lb1ESQ_SR_ST_SU_SY_EESZ_S10_S11_S12_S16_S17_S18_S1B_S1C_jS1D_jS1E_S1E_jjS1G_bEUljE0_EEESZ_S10_S11_S18_S1C_S1E_T6_T7_T9_mT8_S1G_bDpT10_ENKUlT_T0_E_clISt17integral_constantIbLb1EES1U_EEDaS1P_S1Q_EUlS1P_E_NS1_11comp_targetILNS1_3genE10ELNS1_11target_archE1200ELNS1_3gpuE4ELNS1_3repE0EEENS1_30default_config_static_selectorELNS0_4arch9wavefront6targetE0EEEvS12_,@function
_ZN7rocprim17ROCPRIM_400000_NS6detail17trampoline_kernelINS0_13select_configILj256ELj13ELNS0_17block_load_methodE3ELS4_3ELS4_3ELNS0_20block_scan_algorithmE0ELj4294967295EEENS1_25partition_config_selectorILNS1_17partition_subalgoE4EjNS0_10empty_typeEbEEZZNS1_14partition_implILS8_4ELb0ES6_15HIP_vector_typeIjLj2EENS0_17counting_iteratorIjlEEPS9_SG_NS0_5tupleIJPjSI_NS0_16reverse_iteratorISI_EEEEENSH_IJSG_SG_SG_EEES9_SI_JZNS1_25segmented_radix_sort_implINS0_14default_configELb1EPKdPdPKlPlN2at6native12_GLOBAL__N_18offset_tEEE10hipError_tPvRmT1_PNSt15iterator_traitsIS12_E10value_typeET2_T3_PNS13_IS18_E10value_typeET4_jRbjT5_S1E_jjP12ihipStream_tbEUljE_ZNSN_ISO_Lb1ESQ_SR_ST_SU_SY_EESZ_S10_S11_S12_S16_S17_S18_S1B_S1C_jS1D_jS1E_S1E_jjS1G_bEUljE0_EEESZ_S10_S11_S18_S1C_S1E_T6_T7_T9_mT8_S1G_bDpT10_ENKUlT_T0_E_clISt17integral_constantIbLb1EES1U_EEDaS1P_S1Q_EUlS1P_E_NS1_11comp_targetILNS1_3genE10ELNS1_11target_archE1200ELNS1_3gpuE4ELNS1_3repE0EEENS1_30default_config_static_selectorELNS0_4arch9wavefront6targetE0EEEvS12_: ; @_ZN7rocprim17ROCPRIM_400000_NS6detail17trampoline_kernelINS0_13select_configILj256ELj13ELNS0_17block_load_methodE3ELS4_3ELS4_3ELNS0_20block_scan_algorithmE0ELj4294967295EEENS1_25partition_config_selectorILNS1_17partition_subalgoE4EjNS0_10empty_typeEbEEZZNS1_14partition_implILS8_4ELb0ES6_15HIP_vector_typeIjLj2EENS0_17counting_iteratorIjlEEPS9_SG_NS0_5tupleIJPjSI_NS0_16reverse_iteratorISI_EEEEENSH_IJSG_SG_SG_EEES9_SI_JZNS1_25segmented_radix_sort_implINS0_14default_configELb1EPKdPdPKlPlN2at6native12_GLOBAL__N_18offset_tEEE10hipError_tPvRmT1_PNSt15iterator_traitsIS12_E10value_typeET2_T3_PNS13_IS18_E10value_typeET4_jRbjT5_S1E_jjP12ihipStream_tbEUljE_ZNSN_ISO_Lb1ESQ_SR_ST_SU_SY_EESZ_S10_S11_S12_S16_S17_S18_S1B_S1C_jS1D_jS1E_S1E_jjS1G_bEUljE0_EEESZ_S10_S11_S18_S1C_S1E_T6_T7_T9_mT8_S1G_bDpT10_ENKUlT_T0_E_clISt17integral_constantIbLb1EES1U_EEDaS1P_S1Q_EUlS1P_E_NS1_11comp_targetILNS1_3genE10ELNS1_11target_archE1200ELNS1_3gpuE4ELNS1_3repE0EEENS1_30default_config_static_selectorELNS0_4arch9wavefront6targetE0EEEvS12_
; %bb.0:
	.section	.rodata,"a",@progbits
	.p2align	6, 0x0
	.amdhsa_kernel _ZN7rocprim17ROCPRIM_400000_NS6detail17trampoline_kernelINS0_13select_configILj256ELj13ELNS0_17block_load_methodE3ELS4_3ELS4_3ELNS0_20block_scan_algorithmE0ELj4294967295EEENS1_25partition_config_selectorILNS1_17partition_subalgoE4EjNS0_10empty_typeEbEEZZNS1_14partition_implILS8_4ELb0ES6_15HIP_vector_typeIjLj2EENS0_17counting_iteratorIjlEEPS9_SG_NS0_5tupleIJPjSI_NS0_16reverse_iteratorISI_EEEEENSH_IJSG_SG_SG_EEES9_SI_JZNS1_25segmented_radix_sort_implINS0_14default_configELb1EPKdPdPKlPlN2at6native12_GLOBAL__N_18offset_tEEE10hipError_tPvRmT1_PNSt15iterator_traitsIS12_E10value_typeET2_T3_PNS13_IS18_E10value_typeET4_jRbjT5_S1E_jjP12ihipStream_tbEUljE_ZNSN_ISO_Lb1ESQ_SR_ST_SU_SY_EESZ_S10_S11_S12_S16_S17_S18_S1B_S1C_jS1D_jS1E_S1E_jjS1G_bEUljE0_EEESZ_S10_S11_S18_S1C_S1E_T6_T7_T9_mT8_S1G_bDpT10_ENKUlT_T0_E_clISt17integral_constantIbLb1EES1U_EEDaS1P_S1Q_EUlS1P_E_NS1_11comp_targetILNS1_3genE10ELNS1_11target_archE1200ELNS1_3gpuE4ELNS1_3repE0EEENS1_30default_config_static_selectorELNS0_4arch9wavefront6targetE0EEEvS12_
		.amdhsa_group_segment_fixed_size 0
		.amdhsa_private_segment_fixed_size 0
		.amdhsa_kernarg_size 184
		.amdhsa_user_sgpr_count 15
		.amdhsa_user_sgpr_dispatch_ptr 0
		.amdhsa_user_sgpr_queue_ptr 0
		.amdhsa_user_sgpr_kernarg_segment_ptr 1
		.amdhsa_user_sgpr_dispatch_id 0
		.amdhsa_user_sgpr_private_segment_size 0
		.amdhsa_wavefront_size32 1
		.amdhsa_uses_dynamic_stack 0
		.amdhsa_enable_private_segment 0
		.amdhsa_system_sgpr_workgroup_id_x 1
		.amdhsa_system_sgpr_workgroup_id_y 0
		.amdhsa_system_sgpr_workgroup_id_z 0
		.amdhsa_system_sgpr_workgroup_info 0
		.amdhsa_system_vgpr_workitem_id 0
		.amdhsa_next_free_vgpr 1
		.amdhsa_next_free_sgpr 1
		.amdhsa_reserve_vcc 0
		.amdhsa_float_round_mode_32 0
		.amdhsa_float_round_mode_16_64 0
		.amdhsa_float_denorm_mode_32 3
		.amdhsa_float_denorm_mode_16_64 3
		.amdhsa_dx10_clamp 1
		.amdhsa_ieee_mode 1
		.amdhsa_fp16_overflow 0
		.amdhsa_workgroup_processor_mode 1
		.amdhsa_memory_ordered 1
		.amdhsa_forward_progress 0
		.amdhsa_shared_vgpr_count 0
		.amdhsa_exception_fp_ieee_invalid_op 0
		.amdhsa_exception_fp_denorm_src 0
		.amdhsa_exception_fp_ieee_div_zero 0
		.amdhsa_exception_fp_ieee_overflow 0
		.amdhsa_exception_fp_ieee_underflow 0
		.amdhsa_exception_fp_ieee_inexact 0
		.amdhsa_exception_int_div_zero 0
	.end_amdhsa_kernel
	.section	.text._ZN7rocprim17ROCPRIM_400000_NS6detail17trampoline_kernelINS0_13select_configILj256ELj13ELNS0_17block_load_methodE3ELS4_3ELS4_3ELNS0_20block_scan_algorithmE0ELj4294967295EEENS1_25partition_config_selectorILNS1_17partition_subalgoE4EjNS0_10empty_typeEbEEZZNS1_14partition_implILS8_4ELb0ES6_15HIP_vector_typeIjLj2EENS0_17counting_iteratorIjlEEPS9_SG_NS0_5tupleIJPjSI_NS0_16reverse_iteratorISI_EEEEENSH_IJSG_SG_SG_EEES9_SI_JZNS1_25segmented_radix_sort_implINS0_14default_configELb1EPKdPdPKlPlN2at6native12_GLOBAL__N_18offset_tEEE10hipError_tPvRmT1_PNSt15iterator_traitsIS12_E10value_typeET2_T3_PNS13_IS18_E10value_typeET4_jRbjT5_S1E_jjP12ihipStream_tbEUljE_ZNSN_ISO_Lb1ESQ_SR_ST_SU_SY_EESZ_S10_S11_S12_S16_S17_S18_S1B_S1C_jS1D_jS1E_S1E_jjS1G_bEUljE0_EEESZ_S10_S11_S18_S1C_S1E_T6_T7_T9_mT8_S1G_bDpT10_ENKUlT_T0_E_clISt17integral_constantIbLb1EES1U_EEDaS1P_S1Q_EUlS1P_E_NS1_11comp_targetILNS1_3genE10ELNS1_11target_archE1200ELNS1_3gpuE4ELNS1_3repE0EEENS1_30default_config_static_selectorELNS0_4arch9wavefront6targetE0EEEvS12_,"axG",@progbits,_ZN7rocprim17ROCPRIM_400000_NS6detail17trampoline_kernelINS0_13select_configILj256ELj13ELNS0_17block_load_methodE3ELS4_3ELS4_3ELNS0_20block_scan_algorithmE0ELj4294967295EEENS1_25partition_config_selectorILNS1_17partition_subalgoE4EjNS0_10empty_typeEbEEZZNS1_14partition_implILS8_4ELb0ES6_15HIP_vector_typeIjLj2EENS0_17counting_iteratorIjlEEPS9_SG_NS0_5tupleIJPjSI_NS0_16reverse_iteratorISI_EEEEENSH_IJSG_SG_SG_EEES9_SI_JZNS1_25segmented_radix_sort_implINS0_14default_configELb1EPKdPdPKlPlN2at6native12_GLOBAL__N_18offset_tEEE10hipError_tPvRmT1_PNSt15iterator_traitsIS12_E10value_typeET2_T3_PNS13_IS18_E10value_typeET4_jRbjT5_S1E_jjP12ihipStream_tbEUljE_ZNSN_ISO_Lb1ESQ_SR_ST_SU_SY_EESZ_S10_S11_S12_S16_S17_S18_S1B_S1C_jS1D_jS1E_S1E_jjS1G_bEUljE0_EEESZ_S10_S11_S18_S1C_S1E_T6_T7_T9_mT8_S1G_bDpT10_ENKUlT_T0_E_clISt17integral_constantIbLb1EES1U_EEDaS1P_S1Q_EUlS1P_E_NS1_11comp_targetILNS1_3genE10ELNS1_11target_archE1200ELNS1_3gpuE4ELNS1_3repE0EEENS1_30default_config_static_selectorELNS0_4arch9wavefront6targetE0EEEvS12_,comdat
.Lfunc_end1067:
	.size	_ZN7rocprim17ROCPRIM_400000_NS6detail17trampoline_kernelINS0_13select_configILj256ELj13ELNS0_17block_load_methodE3ELS4_3ELS4_3ELNS0_20block_scan_algorithmE0ELj4294967295EEENS1_25partition_config_selectorILNS1_17partition_subalgoE4EjNS0_10empty_typeEbEEZZNS1_14partition_implILS8_4ELb0ES6_15HIP_vector_typeIjLj2EENS0_17counting_iteratorIjlEEPS9_SG_NS0_5tupleIJPjSI_NS0_16reverse_iteratorISI_EEEEENSH_IJSG_SG_SG_EEES9_SI_JZNS1_25segmented_radix_sort_implINS0_14default_configELb1EPKdPdPKlPlN2at6native12_GLOBAL__N_18offset_tEEE10hipError_tPvRmT1_PNSt15iterator_traitsIS12_E10value_typeET2_T3_PNS13_IS18_E10value_typeET4_jRbjT5_S1E_jjP12ihipStream_tbEUljE_ZNSN_ISO_Lb1ESQ_SR_ST_SU_SY_EESZ_S10_S11_S12_S16_S17_S18_S1B_S1C_jS1D_jS1E_S1E_jjS1G_bEUljE0_EEESZ_S10_S11_S18_S1C_S1E_T6_T7_T9_mT8_S1G_bDpT10_ENKUlT_T0_E_clISt17integral_constantIbLb1EES1U_EEDaS1P_S1Q_EUlS1P_E_NS1_11comp_targetILNS1_3genE10ELNS1_11target_archE1200ELNS1_3gpuE4ELNS1_3repE0EEENS1_30default_config_static_selectorELNS0_4arch9wavefront6targetE0EEEvS12_, .Lfunc_end1067-_ZN7rocprim17ROCPRIM_400000_NS6detail17trampoline_kernelINS0_13select_configILj256ELj13ELNS0_17block_load_methodE3ELS4_3ELS4_3ELNS0_20block_scan_algorithmE0ELj4294967295EEENS1_25partition_config_selectorILNS1_17partition_subalgoE4EjNS0_10empty_typeEbEEZZNS1_14partition_implILS8_4ELb0ES6_15HIP_vector_typeIjLj2EENS0_17counting_iteratorIjlEEPS9_SG_NS0_5tupleIJPjSI_NS0_16reverse_iteratorISI_EEEEENSH_IJSG_SG_SG_EEES9_SI_JZNS1_25segmented_radix_sort_implINS0_14default_configELb1EPKdPdPKlPlN2at6native12_GLOBAL__N_18offset_tEEE10hipError_tPvRmT1_PNSt15iterator_traitsIS12_E10value_typeET2_T3_PNS13_IS18_E10value_typeET4_jRbjT5_S1E_jjP12ihipStream_tbEUljE_ZNSN_ISO_Lb1ESQ_SR_ST_SU_SY_EESZ_S10_S11_S12_S16_S17_S18_S1B_S1C_jS1D_jS1E_S1E_jjS1G_bEUljE0_EEESZ_S10_S11_S18_S1C_S1E_T6_T7_T9_mT8_S1G_bDpT10_ENKUlT_T0_E_clISt17integral_constantIbLb1EES1U_EEDaS1P_S1Q_EUlS1P_E_NS1_11comp_targetILNS1_3genE10ELNS1_11target_archE1200ELNS1_3gpuE4ELNS1_3repE0EEENS1_30default_config_static_selectorELNS0_4arch9wavefront6targetE0EEEvS12_
                                        ; -- End function
	.section	.AMDGPU.csdata,"",@progbits
; Kernel info:
; codeLenInByte = 0
; NumSgprs: 0
; NumVgprs: 0
; ScratchSize: 0
; MemoryBound: 0
; FloatMode: 240
; IeeeMode: 1
; LDSByteSize: 0 bytes/workgroup (compile time only)
; SGPRBlocks: 0
; VGPRBlocks: 0
; NumSGPRsForWavesPerEU: 1
; NumVGPRsForWavesPerEU: 1
; Occupancy: 16
; WaveLimiterHint : 0
; COMPUTE_PGM_RSRC2:SCRATCH_EN: 0
; COMPUTE_PGM_RSRC2:USER_SGPR: 15
; COMPUTE_PGM_RSRC2:TRAP_HANDLER: 0
; COMPUTE_PGM_RSRC2:TGID_X_EN: 1
; COMPUTE_PGM_RSRC2:TGID_Y_EN: 0
; COMPUTE_PGM_RSRC2:TGID_Z_EN: 0
; COMPUTE_PGM_RSRC2:TIDIG_COMP_CNT: 0
	.section	.text._ZN7rocprim17ROCPRIM_400000_NS6detail17trampoline_kernelINS0_13select_configILj256ELj13ELNS0_17block_load_methodE3ELS4_3ELS4_3ELNS0_20block_scan_algorithmE0ELj4294967295EEENS1_25partition_config_selectorILNS1_17partition_subalgoE4EjNS0_10empty_typeEbEEZZNS1_14partition_implILS8_4ELb0ES6_15HIP_vector_typeIjLj2EENS0_17counting_iteratorIjlEEPS9_SG_NS0_5tupleIJPjSI_NS0_16reverse_iteratorISI_EEEEENSH_IJSG_SG_SG_EEES9_SI_JZNS1_25segmented_radix_sort_implINS0_14default_configELb1EPKdPdPKlPlN2at6native12_GLOBAL__N_18offset_tEEE10hipError_tPvRmT1_PNSt15iterator_traitsIS12_E10value_typeET2_T3_PNS13_IS18_E10value_typeET4_jRbjT5_S1E_jjP12ihipStream_tbEUljE_ZNSN_ISO_Lb1ESQ_SR_ST_SU_SY_EESZ_S10_S11_S12_S16_S17_S18_S1B_S1C_jS1D_jS1E_S1E_jjS1G_bEUljE0_EEESZ_S10_S11_S18_S1C_S1E_T6_T7_T9_mT8_S1G_bDpT10_ENKUlT_T0_E_clISt17integral_constantIbLb1EES1U_EEDaS1P_S1Q_EUlS1P_E_NS1_11comp_targetILNS1_3genE9ELNS1_11target_archE1100ELNS1_3gpuE3ELNS1_3repE0EEENS1_30default_config_static_selectorELNS0_4arch9wavefront6targetE0EEEvS12_,"axG",@progbits,_ZN7rocprim17ROCPRIM_400000_NS6detail17trampoline_kernelINS0_13select_configILj256ELj13ELNS0_17block_load_methodE3ELS4_3ELS4_3ELNS0_20block_scan_algorithmE0ELj4294967295EEENS1_25partition_config_selectorILNS1_17partition_subalgoE4EjNS0_10empty_typeEbEEZZNS1_14partition_implILS8_4ELb0ES6_15HIP_vector_typeIjLj2EENS0_17counting_iteratorIjlEEPS9_SG_NS0_5tupleIJPjSI_NS0_16reverse_iteratorISI_EEEEENSH_IJSG_SG_SG_EEES9_SI_JZNS1_25segmented_radix_sort_implINS0_14default_configELb1EPKdPdPKlPlN2at6native12_GLOBAL__N_18offset_tEEE10hipError_tPvRmT1_PNSt15iterator_traitsIS12_E10value_typeET2_T3_PNS13_IS18_E10value_typeET4_jRbjT5_S1E_jjP12ihipStream_tbEUljE_ZNSN_ISO_Lb1ESQ_SR_ST_SU_SY_EESZ_S10_S11_S12_S16_S17_S18_S1B_S1C_jS1D_jS1E_S1E_jjS1G_bEUljE0_EEESZ_S10_S11_S18_S1C_S1E_T6_T7_T9_mT8_S1G_bDpT10_ENKUlT_T0_E_clISt17integral_constantIbLb1EES1U_EEDaS1P_S1Q_EUlS1P_E_NS1_11comp_targetILNS1_3genE9ELNS1_11target_archE1100ELNS1_3gpuE3ELNS1_3repE0EEENS1_30default_config_static_selectorELNS0_4arch9wavefront6targetE0EEEvS12_,comdat
	.globl	_ZN7rocprim17ROCPRIM_400000_NS6detail17trampoline_kernelINS0_13select_configILj256ELj13ELNS0_17block_load_methodE3ELS4_3ELS4_3ELNS0_20block_scan_algorithmE0ELj4294967295EEENS1_25partition_config_selectorILNS1_17partition_subalgoE4EjNS0_10empty_typeEbEEZZNS1_14partition_implILS8_4ELb0ES6_15HIP_vector_typeIjLj2EENS0_17counting_iteratorIjlEEPS9_SG_NS0_5tupleIJPjSI_NS0_16reverse_iteratorISI_EEEEENSH_IJSG_SG_SG_EEES9_SI_JZNS1_25segmented_radix_sort_implINS0_14default_configELb1EPKdPdPKlPlN2at6native12_GLOBAL__N_18offset_tEEE10hipError_tPvRmT1_PNSt15iterator_traitsIS12_E10value_typeET2_T3_PNS13_IS18_E10value_typeET4_jRbjT5_S1E_jjP12ihipStream_tbEUljE_ZNSN_ISO_Lb1ESQ_SR_ST_SU_SY_EESZ_S10_S11_S12_S16_S17_S18_S1B_S1C_jS1D_jS1E_S1E_jjS1G_bEUljE0_EEESZ_S10_S11_S18_S1C_S1E_T6_T7_T9_mT8_S1G_bDpT10_ENKUlT_T0_E_clISt17integral_constantIbLb1EES1U_EEDaS1P_S1Q_EUlS1P_E_NS1_11comp_targetILNS1_3genE9ELNS1_11target_archE1100ELNS1_3gpuE3ELNS1_3repE0EEENS1_30default_config_static_selectorELNS0_4arch9wavefront6targetE0EEEvS12_ ; -- Begin function _ZN7rocprim17ROCPRIM_400000_NS6detail17trampoline_kernelINS0_13select_configILj256ELj13ELNS0_17block_load_methodE3ELS4_3ELS4_3ELNS0_20block_scan_algorithmE0ELj4294967295EEENS1_25partition_config_selectorILNS1_17partition_subalgoE4EjNS0_10empty_typeEbEEZZNS1_14partition_implILS8_4ELb0ES6_15HIP_vector_typeIjLj2EENS0_17counting_iteratorIjlEEPS9_SG_NS0_5tupleIJPjSI_NS0_16reverse_iteratorISI_EEEEENSH_IJSG_SG_SG_EEES9_SI_JZNS1_25segmented_radix_sort_implINS0_14default_configELb1EPKdPdPKlPlN2at6native12_GLOBAL__N_18offset_tEEE10hipError_tPvRmT1_PNSt15iterator_traitsIS12_E10value_typeET2_T3_PNS13_IS18_E10value_typeET4_jRbjT5_S1E_jjP12ihipStream_tbEUljE_ZNSN_ISO_Lb1ESQ_SR_ST_SU_SY_EESZ_S10_S11_S12_S16_S17_S18_S1B_S1C_jS1D_jS1E_S1E_jjS1G_bEUljE0_EEESZ_S10_S11_S18_S1C_S1E_T6_T7_T9_mT8_S1G_bDpT10_ENKUlT_T0_E_clISt17integral_constantIbLb1EES1U_EEDaS1P_S1Q_EUlS1P_E_NS1_11comp_targetILNS1_3genE9ELNS1_11target_archE1100ELNS1_3gpuE3ELNS1_3repE0EEENS1_30default_config_static_selectorELNS0_4arch9wavefront6targetE0EEEvS12_
	.p2align	8
	.type	_ZN7rocprim17ROCPRIM_400000_NS6detail17trampoline_kernelINS0_13select_configILj256ELj13ELNS0_17block_load_methodE3ELS4_3ELS4_3ELNS0_20block_scan_algorithmE0ELj4294967295EEENS1_25partition_config_selectorILNS1_17partition_subalgoE4EjNS0_10empty_typeEbEEZZNS1_14partition_implILS8_4ELb0ES6_15HIP_vector_typeIjLj2EENS0_17counting_iteratorIjlEEPS9_SG_NS0_5tupleIJPjSI_NS0_16reverse_iteratorISI_EEEEENSH_IJSG_SG_SG_EEES9_SI_JZNS1_25segmented_radix_sort_implINS0_14default_configELb1EPKdPdPKlPlN2at6native12_GLOBAL__N_18offset_tEEE10hipError_tPvRmT1_PNSt15iterator_traitsIS12_E10value_typeET2_T3_PNS13_IS18_E10value_typeET4_jRbjT5_S1E_jjP12ihipStream_tbEUljE_ZNSN_ISO_Lb1ESQ_SR_ST_SU_SY_EESZ_S10_S11_S12_S16_S17_S18_S1B_S1C_jS1D_jS1E_S1E_jjS1G_bEUljE0_EEESZ_S10_S11_S18_S1C_S1E_T6_T7_T9_mT8_S1G_bDpT10_ENKUlT_T0_E_clISt17integral_constantIbLb1EES1U_EEDaS1P_S1Q_EUlS1P_E_NS1_11comp_targetILNS1_3genE9ELNS1_11target_archE1100ELNS1_3gpuE3ELNS1_3repE0EEENS1_30default_config_static_selectorELNS0_4arch9wavefront6targetE0EEEvS12_,@function
_ZN7rocprim17ROCPRIM_400000_NS6detail17trampoline_kernelINS0_13select_configILj256ELj13ELNS0_17block_load_methodE3ELS4_3ELS4_3ELNS0_20block_scan_algorithmE0ELj4294967295EEENS1_25partition_config_selectorILNS1_17partition_subalgoE4EjNS0_10empty_typeEbEEZZNS1_14partition_implILS8_4ELb0ES6_15HIP_vector_typeIjLj2EENS0_17counting_iteratorIjlEEPS9_SG_NS0_5tupleIJPjSI_NS0_16reverse_iteratorISI_EEEEENSH_IJSG_SG_SG_EEES9_SI_JZNS1_25segmented_radix_sort_implINS0_14default_configELb1EPKdPdPKlPlN2at6native12_GLOBAL__N_18offset_tEEE10hipError_tPvRmT1_PNSt15iterator_traitsIS12_E10value_typeET2_T3_PNS13_IS18_E10value_typeET4_jRbjT5_S1E_jjP12ihipStream_tbEUljE_ZNSN_ISO_Lb1ESQ_SR_ST_SU_SY_EESZ_S10_S11_S12_S16_S17_S18_S1B_S1C_jS1D_jS1E_S1E_jjS1G_bEUljE0_EEESZ_S10_S11_S18_S1C_S1E_T6_T7_T9_mT8_S1G_bDpT10_ENKUlT_T0_E_clISt17integral_constantIbLb1EES1U_EEDaS1P_S1Q_EUlS1P_E_NS1_11comp_targetILNS1_3genE9ELNS1_11target_archE1100ELNS1_3gpuE3ELNS1_3repE0EEENS1_30default_config_static_selectorELNS0_4arch9wavefront6targetE0EEEvS12_: ; @_ZN7rocprim17ROCPRIM_400000_NS6detail17trampoline_kernelINS0_13select_configILj256ELj13ELNS0_17block_load_methodE3ELS4_3ELS4_3ELNS0_20block_scan_algorithmE0ELj4294967295EEENS1_25partition_config_selectorILNS1_17partition_subalgoE4EjNS0_10empty_typeEbEEZZNS1_14partition_implILS8_4ELb0ES6_15HIP_vector_typeIjLj2EENS0_17counting_iteratorIjlEEPS9_SG_NS0_5tupleIJPjSI_NS0_16reverse_iteratorISI_EEEEENSH_IJSG_SG_SG_EEES9_SI_JZNS1_25segmented_radix_sort_implINS0_14default_configELb1EPKdPdPKlPlN2at6native12_GLOBAL__N_18offset_tEEE10hipError_tPvRmT1_PNSt15iterator_traitsIS12_E10value_typeET2_T3_PNS13_IS18_E10value_typeET4_jRbjT5_S1E_jjP12ihipStream_tbEUljE_ZNSN_ISO_Lb1ESQ_SR_ST_SU_SY_EESZ_S10_S11_S12_S16_S17_S18_S1B_S1C_jS1D_jS1E_S1E_jjS1G_bEUljE0_EEESZ_S10_S11_S18_S1C_S1E_T6_T7_T9_mT8_S1G_bDpT10_ENKUlT_T0_E_clISt17integral_constantIbLb1EES1U_EEDaS1P_S1Q_EUlS1P_E_NS1_11comp_targetILNS1_3genE9ELNS1_11target_archE1100ELNS1_3gpuE3ELNS1_3repE0EEENS1_30default_config_static_selectorELNS0_4arch9wavefront6targetE0EEEvS12_
; %bb.0:
	s_clause 0x7
	s_load_b64 s[34:35], s[0:1], 0x10
	s_load_b128 s[28:31], s[0:1], 0x28
	s_load_b64 s[14:15], s[0:1], 0x38
	s_load_b128 s[24:27], s[0:1], 0x58
	s_load_b64 s[4:5], s[0:1], 0x68
	s_load_b64 s[36:37], s[0:1], 0x78
	;; [unrolled: 1-line block ×3, first 2 shown]
	s_load_b256 s[16:23], s[0:1], 0x90
	v_cmp_eq_u32_e64 s2, 0, v0
	s_delay_alu instid0(VALU_DEP_1)
	s_and_saveexec_b32 s3, s2
	s_cbranch_execz .LBB1068_4
; %bb.1:
	s_mov_b32 s7, exec_lo
	s_mov_b32 s6, exec_lo
	v_mbcnt_lo_u32_b32 v1, s7, 0
                                        ; implicit-def: $vgpr2
	s_delay_alu instid0(VALU_DEP_1)
	v_cmpx_eq_u32_e32 0, v1
	s_cbranch_execz .LBB1068_3
; %bb.2:
	s_load_b64 s[8:9], s[0:1], 0x88
	s_bcnt1_i32_b32 s7, s7
	s_delay_alu instid0(SALU_CYCLE_1)
	v_dual_mov_b32 v2, 0 :: v_dual_mov_b32 v3, s7
	s_waitcnt lgkmcnt(0)
	global_atomic_add_u32 v2, v2, v3, s[8:9] glc
.LBB1068_3:
	s_or_b32 exec_lo, exec_lo, s6
	s_waitcnt vmcnt(0)
	v_readfirstlane_b32 s6, v2
	s_delay_alu instid0(VALU_DEP_1)
	v_dual_mov_b32 v2, 0 :: v_dual_add_nc_u32 v1, s6, v1
	ds_store_b32 v2, v1
.LBB1068_4:
	s_or_b32 exec_lo, exec_lo, s3
	v_mov_b32_e32 v1, 0
	s_clause 0x1
	s_load_b32 s3, s[0:1], 0x8
	s_load_b32 s0, s[0:1], 0x80
	s_waitcnt lgkmcnt(0)
	s_barrier
	buffer_gl0_inv
	ds_load_b32 v5, v1
	s_waitcnt lgkmcnt(0)
	s_barrier
	buffer_gl0_inv
	global_load_b128 v[1:4], v1, s[26:27]
	s_add_i32 s3, s3, s34
	s_mul_i32 s1, s0, 0xd00
	s_add_i32 s0, s0, -1
	s_add_u32 s6, s34, s1
	s_addc_u32 s7, s35, 0
	v_mul_lo_u32 v30, 0xd00, v5
	v_readfirstlane_b32 s26, v5
	v_cmp_lt_u64_e64 s5, s[6:7], s[4:5]
	v_cmp_ne_u32_e32 vcc_lo, s0, v5
	s_delay_alu instid0(VALU_DEP_3) | instskip(SKIP_1) | instid1(VALU_DEP_4)
	s_cmp_eq_u32 s26, s0
	s_cselect_b32 s13, -1, 0
	v_add3_u32 v5, v30, s3, v0
	s_delay_alu instid0(VALU_DEP_3) | instskip(SKIP_2) | instid1(VALU_DEP_1)
	s_or_b32 s0, s5, vcc_lo
	s_mov_b32 s3, -1
	s_and_b32 vcc_lo, exec_lo, s0
	v_add_nc_u32_e32 v6, 0x100, v5
	v_add_nc_u32_e32 v7, 0x200, v5
	;; [unrolled: 1-line block ×12, first 2 shown]
	s_cbranch_vccz .LBB1068_6
; %bb.5:
	v_lshlrev_b32_e32 v18, 2, v0
	s_mov_b32 s3, 0
	ds_store_2addr_stride64_b32 v18, v5, v6 offset1:4
	ds_store_2addr_stride64_b32 v18, v7, v8 offset0:8 offset1:12
	ds_store_2addr_stride64_b32 v18, v9, v10 offset0:16 offset1:20
	;; [unrolled: 1-line block ×5, first 2 shown]
	ds_store_b32 v18, v17 offset:12288
	s_waitcnt vmcnt(0) lgkmcnt(0)
	s_barrier
.LBB1068_6:
	s_and_not1_b32 vcc_lo, exec_lo, s3
	s_add_i32 s1, s1, s34
	s_cbranch_vccnz .LBB1068_8
; %bb.7:
	v_lshlrev_b32_e32 v18, 2, v0
	ds_store_2addr_stride64_b32 v18, v5, v6 offset1:4
	ds_store_2addr_stride64_b32 v18, v7, v8 offset0:8 offset1:12
	ds_store_2addr_stride64_b32 v18, v9, v10 offset0:16 offset1:20
	ds_store_2addr_stride64_b32 v18, v11, v12 offset0:24 offset1:28
	ds_store_2addr_stride64_b32 v18, v13, v14 offset0:32 offset1:36
	ds_store_2addr_stride64_b32 v18, v15, v16 offset0:40 offset1:44
	ds_store_b32 v18, v17 offset:12288
	s_waitcnt vmcnt(0) lgkmcnt(0)
	s_barrier
.LBB1068_8:
	v_mul_u32_u24_e32 v33, 13, v0
	s_waitcnt vmcnt(0)
	buffer_gl0_inv
	v_cndmask_b32_e64 v31, 0, 1, s0
	s_sub_i32 s40, s4, s1
	s_and_not1_b32 vcc_lo, exec_lo, s0
	v_lshlrev_b32_e32 v5, 2, v33
	ds_load_2addr_b32 v[20:21], v5 offset1:1
	ds_load_2addr_b32 v[18:19], v5 offset0:2 offset1:3
	ds_load_2addr_b32 v[16:17], v5 offset0:4 offset1:5
	;; [unrolled: 1-line block ×5, first 2 shown]
	ds_load_b32 v32, v5 offset:48
	s_waitcnt lgkmcnt(0)
	s_barrier
	buffer_gl0_inv
	s_cbranch_vccnz .LBB1068_36
; %bb.9:
	v_add_nc_u32_e32 v5, s17, v20
	v_add_nc_u32_e32 v6, s19, v20
	s_mov_b32 s42, 0
	s_mov_b32 s41, 0
	s_mov_b32 s1, exec_lo
	v_mul_lo_u32 v5, v5, s16
	v_mul_lo_u32 v6, v6, s18
	s_delay_alu instid0(VALU_DEP_1) | instskip(NEXT) | instid1(VALU_DEP_1)
	v_sub_nc_u32_e32 v5, v5, v6
	v_cmp_lt_u32_e32 vcc_lo, s20, v5
	v_cmpx_ge_u32_e64 s20, v5
; %bb.10:
	v_add_nc_u32_e32 v5, s22, v20
	v_add_nc_u32_e32 v6, s38, v20
	s_delay_alu instid0(VALU_DEP_2) | instskip(NEXT) | instid1(VALU_DEP_2)
	v_mul_lo_u32 v5, v5, s21
	v_mul_lo_u32 v6, v6, s23
	s_delay_alu instid0(VALU_DEP_1) | instskip(NEXT) | instid1(VALU_DEP_1)
	v_sub_nc_u32_e32 v5, v5, v6
	v_cmp_lt_u32_e64 s0, s39, v5
	s_delay_alu instid0(VALU_DEP_1)
	s_and_b32 s41, s0, exec_lo
; %bb.11:
	s_or_b32 exec_lo, exec_lo, s1
	v_add_nc_u32_e32 v5, s17, v21
	v_add_nc_u32_e32 v6, s19, v21
	s_mov_b32 s3, exec_lo
	s_delay_alu instid0(VALU_DEP_2) | instskip(NEXT) | instid1(VALU_DEP_2)
	v_mul_lo_u32 v5, v5, s16
	v_mul_lo_u32 v6, v6, s18
	s_delay_alu instid0(VALU_DEP_1) | instskip(NEXT) | instid1(VALU_DEP_1)
	v_sub_nc_u32_e32 v5, v5, v6
	v_cmp_lt_u32_e64 s0, s20, v5
	v_cmpx_ge_u32_e64 s20, v5
; %bb.12:
	v_add_nc_u32_e32 v5, s22, v21
	v_add_nc_u32_e32 v6, s38, v21
	s_delay_alu instid0(VALU_DEP_2) | instskip(NEXT) | instid1(VALU_DEP_2)
	v_mul_lo_u32 v5, v5, s21
	v_mul_lo_u32 v6, v6, s23
	s_delay_alu instid0(VALU_DEP_1) | instskip(NEXT) | instid1(VALU_DEP_1)
	v_sub_nc_u32_e32 v5, v5, v6
	v_cmp_lt_u32_e64 s1, s39, v5
	s_delay_alu instid0(VALU_DEP_1)
	s_and_b32 s42, s1, exec_lo
; %bb.13:
	s_or_b32 exec_lo, exec_lo, s3
	v_add_nc_u32_e32 v5, s17, v18
	v_add_nc_u32_e32 v6, s19, v18
	s_mov_b32 s44, 0
	s_mov_b32 s43, 0
	s_mov_b32 s4, exec_lo
	v_mul_lo_u32 v5, v5, s16
	v_mul_lo_u32 v6, v6, s18
	s_delay_alu instid0(VALU_DEP_1) | instskip(NEXT) | instid1(VALU_DEP_1)
	v_sub_nc_u32_e32 v5, v5, v6
	v_cmp_lt_u32_e64 s1, s20, v5
	v_cmpx_ge_u32_e64 s20, v5
; %bb.14:
	v_add_nc_u32_e32 v5, s22, v18
	v_add_nc_u32_e32 v6, s38, v18
	s_delay_alu instid0(VALU_DEP_2) | instskip(NEXT) | instid1(VALU_DEP_2)
	v_mul_lo_u32 v5, v5, s21
	v_mul_lo_u32 v6, v6, s23
	s_delay_alu instid0(VALU_DEP_1) | instskip(NEXT) | instid1(VALU_DEP_1)
	v_sub_nc_u32_e32 v5, v5, v6
	v_cmp_lt_u32_e64 s3, s39, v5
	s_delay_alu instid0(VALU_DEP_1)
	s_and_b32 s43, s3, exec_lo
; %bb.15:
	s_or_b32 exec_lo, exec_lo, s4
	v_add_nc_u32_e32 v5, s17, v19
	v_add_nc_u32_e32 v6, s19, v19
	s_mov_b32 s5, exec_lo
	s_delay_alu instid0(VALU_DEP_2) | instskip(NEXT) | instid1(VALU_DEP_2)
	v_mul_lo_u32 v5, v5, s16
	v_mul_lo_u32 v6, v6, s18
	s_delay_alu instid0(VALU_DEP_1) | instskip(NEXT) | instid1(VALU_DEP_1)
	v_sub_nc_u32_e32 v5, v5, v6
	v_cmp_lt_u32_e64 s3, s20, v5
	v_cmpx_ge_u32_e64 s20, v5
; %bb.16:
	v_add_nc_u32_e32 v5, s22, v19
	v_add_nc_u32_e32 v6, s38, v19
	s_delay_alu instid0(VALU_DEP_2) | instskip(NEXT) | instid1(VALU_DEP_2)
	v_mul_lo_u32 v5, v5, s21
	v_mul_lo_u32 v6, v6, s23
	s_delay_alu instid0(VALU_DEP_1) | instskip(NEXT) | instid1(VALU_DEP_1)
	v_sub_nc_u32_e32 v5, v5, v6
	v_cmp_lt_u32_e64 s4, s39, v5
	s_delay_alu instid0(VALU_DEP_1)
	s_and_b32 s44, s4, exec_lo
; %bb.17:
	s_or_b32 exec_lo, exec_lo, s5
	v_add_nc_u32_e32 v5, s17, v16
	v_add_nc_u32_e32 v6, s19, v16
	s_mov_b32 s46, 0
	s_mov_b32 s45, 0
	s_mov_b32 s6, exec_lo
	v_mul_lo_u32 v5, v5, s16
	v_mul_lo_u32 v6, v6, s18
	s_delay_alu instid0(VALU_DEP_1) | instskip(NEXT) | instid1(VALU_DEP_1)
	v_sub_nc_u32_e32 v5, v5, v6
	v_cmp_lt_u32_e64 s4, s20, v5
	;; [unrolled: 47-line block ×5, first 2 shown]
	v_cmpx_ge_u32_e64 s20, v5
; %bb.30:
	v_add_nc_u32_e32 v5, s22, v10
	v_add_nc_u32_e32 v6, s38, v10
	s_delay_alu instid0(VALU_DEP_2) | instskip(NEXT) | instid1(VALU_DEP_2)
	v_mul_lo_u32 v5, v5, s21
	v_mul_lo_u32 v6, v6, s23
	s_delay_alu instid0(VALU_DEP_1) | instskip(NEXT) | instid1(VALU_DEP_1)
	v_sub_nc_u32_e32 v5, v5, v6
	v_cmp_lt_u32_e64 s11, s39, v5
	s_delay_alu instid0(VALU_DEP_1)
	s_and_b32 s53, s11, exec_lo
; %bb.31:
	s_or_b32 exec_lo, exec_lo, s12
	v_add_nc_u32_e32 v5, s17, v11
	v_add_nc_u32_e32 v6, s19, v11
	s_mov_b32 s27, exec_lo
	s_delay_alu instid0(VALU_DEP_2) | instskip(NEXT) | instid1(VALU_DEP_2)
	v_mul_lo_u32 v5, v5, s16
	v_mul_lo_u32 v6, v6, s18
	s_delay_alu instid0(VALU_DEP_1) | instskip(NEXT) | instid1(VALU_DEP_1)
	v_sub_nc_u32_e32 v5, v5, v6
	v_cmp_lt_u32_e64 s11, s20, v5
	v_cmpx_ge_u32_e64 s20, v5
; %bb.32:
	v_add_nc_u32_e32 v5, s22, v11
	v_add_nc_u32_e32 v6, s38, v11
	s_delay_alu instid0(VALU_DEP_2) | instskip(NEXT) | instid1(VALU_DEP_2)
	v_mul_lo_u32 v5, v5, s21
	v_mul_lo_u32 v6, v6, s23
	s_delay_alu instid0(VALU_DEP_1) | instskip(NEXT) | instid1(VALU_DEP_1)
	v_sub_nc_u32_e32 v5, v5, v6
	v_cmp_lt_u32_e64 s12, s39, v5
	s_delay_alu instid0(VALU_DEP_1)
	s_and_b32 s52, s12, exec_lo
; %bb.33:
	s_or_b32 exec_lo, exec_lo, s27
	v_add_nc_u32_e32 v5, s17, v32
	v_add_nc_u32_e32 v6, s19, v32
	s_mov_b32 s27, -1
	s_mov_b32 s49, 0
	s_mov_b32 s33, 0
	v_mul_lo_u32 v5, v5, s16
	v_mul_lo_u32 v6, v6, s18
	s_mov_b32 s54, exec_lo
	s_delay_alu instid0(VALU_DEP_1) | instskip(NEXT) | instid1(VALU_DEP_1)
	v_sub_nc_u32_e32 v5, v5, v6
	v_cmpx_ge_u32_e64 s20, v5
; %bb.34:
	v_add_nc_u32_e32 v5, s22, v32
	v_add_nc_u32_e32 v6, s38, v32
	s_xor_b32 s27, exec_lo, -1
	s_delay_alu instid0(VALU_DEP_2) | instskip(NEXT) | instid1(VALU_DEP_2)
	v_mul_lo_u32 v5, v5, s21
	v_mul_lo_u32 v6, v6, s23
	s_delay_alu instid0(VALU_DEP_1) | instskip(NEXT) | instid1(VALU_DEP_1)
	v_sub_nc_u32_e32 v5, v5, v6
	v_cmp_lt_u32_e64 s12, s39, v5
	s_delay_alu instid0(VALU_DEP_1)
	s_and_b32 s33, s12, exec_lo
; %bb.35:
	s_or_b32 exec_lo, exec_lo, s54
	v_cndmask_b32_e64 v53, 0, 1, s53
	v_cndmask_b32_e64 v56, 0, 1, s11
	v_cndmask_b32_e64 v52, 0, 1, s51
	v_cndmask_b32_e64 v55, 0, 1, s10
	v_cndmask_b32_e64 v50, 0, 1, s50
	v_cndmask_b32_e64 v54, 0, 1, s9
	v_cndmask_b32_e64 v48, 0, 1, s48
	v_cndmask_b32_e64 v51, 0, 1, s8
	v_cndmask_b32_e64 v46, 0, 1, s47
	v_cndmask_b32_e64 v49, 0, 1, s7
	v_cndmask_b32_e64 v44, 0, 1, s46
	v_cndmask_b32_e64 v47, 0, 1, s6
	v_cndmask_b32_e64 v42, 0, 1, s45
	v_cndmask_b32_e64 v45, 0, 1, s5
	v_cndmask_b32_e64 v39, 0, 1, s44
	v_cndmask_b32_e64 v43, 0, 1, s4
	v_cndmask_b32_e64 v38, 0, 1, s43
	v_cndmask_b32_e64 v41, 0, 1, s3
	v_cndmask_b32_e64 v40, 0, 1, s42
	v_cndmask_b32_e64 v36, 0, 1, s1
	v_cndmask_b32_e64 v35, 0, 1, s41
	v_cndmask_b32_e64 v37, 0, 1, s0
	v_cndmask_b32_e64 v34, 0, 1, vcc_lo
	v_cndmask_b32_e64 v57, 0, 1, s52
	s_and_b32 vcc_lo, exec_lo, s49
	s_add_i32 s4, s40, 0xd00
	s_cbranch_vccnz .LBB1068_37
	s_branch .LBB1068_90
.LBB1068_36:
                                        ; implicit-def: $sgpr27
                                        ; implicit-def: $sgpr33
                                        ; implicit-def: $vgpr57
                                        ; implicit-def: $vgpr53
                                        ; implicit-def: $vgpr52
                                        ; implicit-def: $vgpr50
                                        ; implicit-def: $vgpr48
                                        ; implicit-def: $vgpr46
                                        ; implicit-def: $vgpr44
                                        ; implicit-def: $vgpr42
                                        ; implicit-def: $vgpr39
                                        ; implicit-def: $vgpr34
                                        ; implicit-def: $vgpr37
                                        ; implicit-def: $vgpr36
                                        ; implicit-def: $vgpr41
                                        ; implicit-def: $vgpr43
                                        ; implicit-def: $vgpr45
                                        ; implicit-def: $vgpr47
                                        ; implicit-def: $vgpr49
                                        ; implicit-def: $vgpr51
                                        ; implicit-def: $vgpr54
                                        ; implicit-def: $vgpr55
                                        ; implicit-def: $vgpr56
                                        ; implicit-def: $vgpr35
                                        ; implicit-def: $vgpr40
                                        ; implicit-def: $vgpr38
	s_add_i32 s4, s40, 0xd00
	s_cbranch_execz .LBB1068_90
.LBB1068_37:
	v_dual_mov_b32 v35, 0 :: v_dual_mov_b32 v34, 0
	s_mov_b32 s3, 0
	s_mov_b32 s1, exec_lo
	v_cmpx_gt_u32_e64 s4, v33
	s_cbranch_execz .LBB1068_41
; %bb.38:
	v_add_nc_u32_e32 v5, s17, v20
	v_add_nc_u32_e32 v6, s19, v20
	s_mov_b32 s5, exec_lo
	s_delay_alu instid0(VALU_DEP_2) | instskip(NEXT) | instid1(VALU_DEP_2)
	v_mul_lo_u32 v5, v5, s16
	v_mul_lo_u32 v6, v6, s18
	s_delay_alu instid0(VALU_DEP_1) | instskip(NEXT) | instid1(VALU_DEP_1)
	v_sub_nc_u32_e32 v5, v5, v6
	v_cmp_lt_u32_e32 vcc_lo, s20, v5
	v_cmpx_ge_u32_e64 s20, v5
; %bb.39:
	v_add_nc_u32_e32 v5, s22, v20
	v_add_nc_u32_e32 v6, s38, v20
	s_delay_alu instid0(VALU_DEP_2) | instskip(NEXT) | instid1(VALU_DEP_2)
	v_mul_lo_u32 v5, v5, s21
	v_mul_lo_u32 v6, v6, s23
	s_delay_alu instid0(VALU_DEP_1) | instskip(NEXT) | instid1(VALU_DEP_1)
	v_sub_nc_u32_e32 v5, v5, v6
	v_cmp_lt_u32_e64 s0, s39, v5
	s_delay_alu instid0(VALU_DEP_1)
	s_and_b32 s3, s0, exec_lo
; %bb.40:
	s_or_b32 exec_lo, exec_lo, s5
	v_cndmask_b32_e64 v34, 0, 1, vcc_lo
	v_cndmask_b32_e64 v35, 0, 1, s3
.LBB1068_41:
	s_or_b32 exec_lo, exec_lo, s1
	v_dual_mov_b32 v40, 0 :: v_dual_add_nc_u32 v5, 1, v33
	v_mov_b32_e32 v37, 0
	s_mov_b32 s3, 0
	s_mov_b32 s1, exec_lo
	s_delay_alu instid0(VALU_DEP_2)
	v_cmpx_gt_u32_e64 s4, v5
	s_cbranch_execz .LBB1068_45
; %bb.42:
	v_add_nc_u32_e32 v5, s17, v21
	v_add_nc_u32_e32 v6, s19, v21
	s_mov_b32 s5, exec_lo
	s_delay_alu instid0(VALU_DEP_2) | instskip(NEXT) | instid1(VALU_DEP_2)
	v_mul_lo_u32 v5, v5, s16
	v_mul_lo_u32 v6, v6, s18
	s_delay_alu instid0(VALU_DEP_1) | instskip(NEXT) | instid1(VALU_DEP_1)
	v_sub_nc_u32_e32 v5, v5, v6
	v_cmp_lt_u32_e32 vcc_lo, s20, v5
	v_cmpx_ge_u32_e64 s20, v5
; %bb.43:
	v_add_nc_u32_e32 v5, s22, v21
	v_add_nc_u32_e32 v6, s38, v21
	s_delay_alu instid0(VALU_DEP_2) | instskip(NEXT) | instid1(VALU_DEP_2)
	v_mul_lo_u32 v5, v5, s21
	v_mul_lo_u32 v6, v6, s23
	s_delay_alu instid0(VALU_DEP_1) | instskip(NEXT) | instid1(VALU_DEP_1)
	v_sub_nc_u32_e32 v5, v5, v6
	v_cmp_lt_u32_e64 s0, s39, v5
	s_delay_alu instid0(VALU_DEP_1)
	s_and_b32 s3, s0, exec_lo
; %bb.44:
	s_or_b32 exec_lo, exec_lo, s5
	v_cndmask_b32_e64 v37, 0, 1, vcc_lo
	v_cndmask_b32_e64 v40, 0, 1, s3
.LBB1068_45:
	s_or_b32 exec_lo, exec_lo, s1
	v_dual_mov_b32 v36, 0 :: v_dual_add_nc_u32 v5, 2, v33
	v_mov_b32_e32 v38, 0
	s_mov_b32 s3, 0
	s_mov_b32 s1, exec_lo
	s_delay_alu instid0(VALU_DEP_2)
	v_cmpx_gt_u32_e64 s4, v5
	s_cbranch_execz .LBB1068_49
; %bb.46:
	v_add_nc_u32_e32 v5, s17, v18
	v_add_nc_u32_e32 v6, s19, v18
	s_mov_b32 s5, exec_lo
	s_delay_alu instid0(VALU_DEP_2) | instskip(NEXT) | instid1(VALU_DEP_2)
	v_mul_lo_u32 v5, v5, s16
	v_mul_lo_u32 v6, v6, s18
	s_delay_alu instid0(VALU_DEP_1) | instskip(NEXT) | instid1(VALU_DEP_1)
	v_sub_nc_u32_e32 v5, v5, v6
	v_cmp_lt_u32_e32 vcc_lo, s20, v5
	v_cmpx_ge_u32_e64 s20, v5
; %bb.47:
	v_add_nc_u32_e32 v5, s22, v18
	v_add_nc_u32_e32 v6, s38, v18
	s_delay_alu instid0(VALU_DEP_2) | instskip(NEXT) | instid1(VALU_DEP_2)
	v_mul_lo_u32 v5, v5, s21
	v_mul_lo_u32 v6, v6, s23
	s_delay_alu instid0(VALU_DEP_1) | instskip(NEXT) | instid1(VALU_DEP_1)
	v_sub_nc_u32_e32 v5, v5, v6
	v_cmp_lt_u32_e64 s0, s39, v5
	s_delay_alu instid0(VALU_DEP_1)
	s_and_b32 s3, s0, exec_lo
; %bb.48:
	s_or_b32 exec_lo, exec_lo, s5
	v_cndmask_b32_e64 v36, 0, 1, vcc_lo
	v_cndmask_b32_e64 v38, 0, 1, s3
.LBB1068_49:
	s_or_b32 exec_lo, exec_lo, s1
	v_add_nc_u32_e32 v5, 3, v33
	v_mov_b32_e32 v39, 0
	v_mov_b32_e32 v41, 0
	s_mov_b32 s3, 0
	s_mov_b32 s1, exec_lo
	v_cmpx_gt_u32_e64 s4, v5
	s_cbranch_execz .LBB1068_53
; %bb.50:
	v_add_nc_u32_e32 v5, s17, v19
	v_add_nc_u32_e32 v6, s19, v19
	s_mov_b32 s5, exec_lo
	s_delay_alu instid0(VALU_DEP_2) | instskip(NEXT) | instid1(VALU_DEP_2)
	v_mul_lo_u32 v5, v5, s16
	v_mul_lo_u32 v6, v6, s18
	s_delay_alu instid0(VALU_DEP_1) | instskip(NEXT) | instid1(VALU_DEP_1)
	v_sub_nc_u32_e32 v5, v5, v6
	v_cmp_lt_u32_e32 vcc_lo, s20, v5
	v_cmpx_ge_u32_e64 s20, v5
; %bb.51:
	v_add_nc_u32_e32 v5, s22, v19
	v_add_nc_u32_e32 v6, s38, v19
	s_delay_alu instid0(VALU_DEP_2) | instskip(NEXT) | instid1(VALU_DEP_2)
	v_mul_lo_u32 v5, v5, s21
	v_mul_lo_u32 v6, v6, s23
	s_delay_alu instid0(VALU_DEP_1) | instskip(NEXT) | instid1(VALU_DEP_1)
	v_sub_nc_u32_e32 v5, v5, v6
	v_cmp_lt_u32_e64 s0, s39, v5
	s_delay_alu instid0(VALU_DEP_1)
	s_and_b32 s3, s0, exec_lo
; %bb.52:
	s_or_b32 exec_lo, exec_lo, s5
	v_cndmask_b32_e64 v41, 0, 1, vcc_lo
	v_cndmask_b32_e64 v39, 0, 1, s3
.LBB1068_53:
	s_or_b32 exec_lo, exec_lo, s1
	v_dual_mov_b32 v42, 0 :: v_dual_add_nc_u32 v5, 4, v33
	v_mov_b32_e32 v43, 0
	s_mov_b32 s3, 0
	s_mov_b32 s1, exec_lo
	s_delay_alu instid0(VALU_DEP_2)
	v_cmpx_gt_u32_e64 s4, v5
	s_cbranch_execz .LBB1068_57
; %bb.54:
	v_add_nc_u32_e32 v5, s17, v16
	v_add_nc_u32_e32 v6, s19, v16
	s_mov_b32 s5, exec_lo
	s_delay_alu instid0(VALU_DEP_2) | instskip(NEXT) | instid1(VALU_DEP_2)
	v_mul_lo_u32 v5, v5, s16
	v_mul_lo_u32 v6, v6, s18
	s_delay_alu instid0(VALU_DEP_1) | instskip(NEXT) | instid1(VALU_DEP_1)
	v_sub_nc_u32_e32 v5, v5, v6
	v_cmp_lt_u32_e32 vcc_lo, s20, v5
	v_cmpx_ge_u32_e64 s20, v5
; %bb.55:
	v_add_nc_u32_e32 v5, s22, v16
	v_add_nc_u32_e32 v6, s38, v16
	s_delay_alu instid0(VALU_DEP_2) | instskip(NEXT) | instid1(VALU_DEP_2)
	v_mul_lo_u32 v5, v5, s21
	v_mul_lo_u32 v6, v6, s23
	s_delay_alu instid0(VALU_DEP_1) | instskip(NEXT) | instid1(VALU_DEP_1)
	v_sub_nc_u32_e32 v5, v5, v6
	v_cmp_lt_u32_e64 s0, s39, v5
	s_delay_alu instid0(VALU_DEP_1)
	s_and_b32 s3, s0, exec_lo
; %bb.56:
	s_or_b32 exec_lo, exec_lo, s5
	v_cndmask_b32_e64 v43, 0, 1, vcc_lo
	v_cndmask_b32_e64 v42, 0, 1, s3
.LBB1068_57:
	s_or_b32 exec_lo, exec_lo, s1
	v_dual_mov_b32 v44, 0 :: v_dual_add_nc_u32 v5, 5, v33
	v_mov_b32_e32 v45, 0
	s_mov_b32 s3, 0
	s_mov_b32 s1, exec_lo
	s_delay_alu instid0(VALU_DEP_2)
	;; [unrolled: 35-line block ×6, first 2 shown]
	v_cmpx_gt_u32_e64 s4, v5
	s_cbranch_execz .LBB1068_77
; %bb.74:
	v_add_nc_u32_e32 v5, s17, v13
	v_add_nc_u32_e32 v6, s19, v13
	s_mov_b32 s5, exec_lo
	s_delay_alu instid0(VALU_DEP_2) | instskip(NEXT) | instid1(VALU_DEP_2)
	v_mul_lo_u32 v5, v5, s16
	v_mul_lo_u32 v6, v6, s18
	s_delay_alu instid0(VALU_DEP_1) | instskip(NEXT) | instid1(VALU_DEP_1)
	v_sub_nc_u32_e32 v5, v5, v6
	v_cmp_lt_u32_e32 vcc_lo, s20, v5
	v_cmpx_ge_u32_e64 s20, v5
; %bb.75:
	v_add_nc_u32_e32 v5, s22, v13
	v_add_nc_u32_e32 v6, s38, v13
	s_delay_alu instid0(VALU_DEP_2) | instskip(NEXT) | instid1(VALU_DEP_2)
	v_mul_lo_u32 v5, v5, s21
	v_mul_lo_u32 v6, v6, s23
	s_delay_alu instid0(VALU_DEP_1) | instskip(NEXT) | instid1(VALU_DEP_1)
	v_sub_nc_u32_e32 v5, v5, v6
	v_cmp_lt_u32_e64 s0, s39, v5
	s_delay_alu instid0(VALU_DEP_1)
	s_and_b32 s3, s0, exec_lo
; %bb.76:
	s_or_b32 exec_lo, exec_lo, s5
	v_cndmask_b32_e64 v54, 0, 1, vcc_lo
	v_cndmask_b32_e64 v52, 0, 1, s3
.LBB1068_77:
	s_or_b32 exec_lo, exec_lo, s1
	v_add_nc_u32_e32 v5, 10, v33
	v_mov_b32_e32 v53, 0
	v_mov_b32_e32 v55, 0
	s_mov_b32 s3, 0
	s_mov_b32 s1, exec_lo
	v_cmpx_gt_u32_e64 s4, v5
	s_cbranch_execz .LBB1068_81
; %bb.78:
	v_add_nc_u32_e32 v5, s17, v10
	v_add_nc_u32_e32 v6, s19, v10
	s_mov_b32 s5, exec_lo
	s_delay_alu instid0(VALU_DEP_2) | instskip(NEXT) | instid1(VALU_DEP_2)
	v_mul_lo_u32 v5, v5, s16
	v_mul_lo_u32 v6, v6, s18
	s_delay_alu instid0(VALU_DEP_1) | instskip(NEXT) | instid1(VALU_DEP_1)
	v_sub_nc_u32_e32 v5, v5, v6
	v_cmp_lt_u32_e32 vcc_lo, s20, v5
	v_cmpx_ge_u32_e64 s20, v5
; %bb.79:
	v_add_nc_u32_e32 v5, s22, v10
	v_add_nc_u32_e32 v6, s38, v10
	s_delay_alu instid0(VALU_DEP_2) | instskip(NEXT) | instid1(VALU_DEP_2)
	v_mul_lo_u32 v5, v5, s21
	v_mul_lo_u32 v6, v6, s23
	s_delay_alu instid0(VALU_DEP_1) | instskip(NEXT) | instid1(VALU_DEP_1)
	v_sub_nc_u32_e32 v5, v5, v6
	v_cmp_lt_u32_e64 s0, s39, v5
	s_delay_alu instid0(VALU_DEP_1)
	s_and_b32 s3, s0, exec_lo
; %bb.80:
	s_or_b32 exec_lo, exec_lo, s5
	v_cndmask_b32_e64 v55, 0, 1, vcc_lo
	v_cndmask_b32_e64 v53, 0, 1, s3
.LBB1068_81:
	s_or_b32 exec_lo, exec_lo, s1
	v_dual_mov_b32 v56, 0 :: v_dual_add_nc_u32 v5, 11, v33
	v_mov_b32_e32 v57, 0
	s_mov_b32 s3, 0
	s_mov_b32 s1, exec_lo
	s_delay_alu instid0(VALU_DEP_2)
	v_cmpx_gt_u32_e64 s4, v5
	s_cbranch_execz .LBB1068_85
; %bb.82:
	v_add_nc_u32_e32 v5, s17, v11
	v_add_nc_u32_e32 v6, s19, v11
	s_mov_b32 s5, exec_lo
	s_delay_alu instid0(VALU_DEP_2) | instskip(NEXT) | instid1(VALU_DEP_2)
	v_mul_lo_u32 v5, v5, s16
	v_mul_lo_u32 v6, v6, s18
	s_delay_alu instid0(VALU_DEP_1) | instskip(NEXT) | instid1(VALU_DEP_1)
	v_sub_nc_u32_e32 v5, v5, v6
	v_cmp_lt_u32_e32 vcc_lo, s20, v5
	v_cmpx_ge_u32_e64 s20, v5
; %bb.83:
	v_add_nc_u32_e32 v5, s22, v11
	v_add_nc_u32_e32 v6, s38, v11
	s_delay_alu instid0(VALU_DEP_2) | instskip(NEXT) | instid1(VALU_DEP_2)
	v_mul_lo_u32 v5, v5, s21
	v_mul_lo_u32 v6, v6, s23
	s_delay_alu instid0(VALU_DEP_1) | instskip(NEXT) | instid1(VALU_DEP_1)
	v_sub_nc_u32_e32 v5, v5, v6
	v_cmp_lt_u32_e64 s0, s39, v5
	s_delay_alu instid0(VALU_DEP_1)
	s_and_b32 s3, s0, exec_lo
; %bb.84:
	s_or_b32 exec_lo, exec_lo, s5
	v_cndmask_b32_e64 v56, 0, 1, vcc_lo
	v_cndmask_b32_e64 v57, 0, 1, s3
.LBB1068_85:
	s_or_b32 exec_lo, exec_lo, s1
	v_add_nc_u32_e32 v5, 12, v33
	s_mov_b32 s27, 0
	s_mov_b32 s33, 0
	s_mov_b32 s0, exec_lo
	s_delay_alu instid0(VALU_DEP_1)
	v_cmpx_gt_u32_e64 s4, v5
	s_cbranch_execz .LBB1068_89
; %bb.86:
	v_add_nc_u32_e32 v5, s17, v32
	v_add_nc_u32_e32 v6, s19, v32
	s_mov_b32 s3, -1
	s_mov_b32 s5, 0
	s_mov_b32 s1, exec_lo
	v_mul_lo_u32 v5, v5, s16
	v_mul_lo_u32 v6, v6, s18
	s_delay_alu instid0(VALU_DEP_1) | instskip(NEXT) | instid1(VALU_DEP_1)
	v_sub_nc_u32_e32 v5, v5, v6
	v_cmpx_ge_u32_e64 s20, v5
; %bb.87:
	v_add_nc_u32_e32 v5, s22, v32
	v_add_nc_u32_e32 v6, s38, v32
	s_xor_b32 s3, exec_lo, -1
	s_delay_alu instid0(VALU_DEP_2) | instskip(NEXT) | instid1(VALU_DEP_2)
	v_mul_lo_u32 v5, v5, s21
	v_mul_lo_u32 v6, v6, s23
	s_delay_alu instid0(VALU_DEP_1) | instskip(NEXT) | instid1(VALU_DEP_1)
	v_sub_nc_u32_e32 v5, v5, v6
	v_cmp_lt_u32_e32 vcc_lo, s39, v5
	s_and_b32 s5, vcc_lo, exec_lo
; %bb.88:
	s_or_b32 exec_lo, exec_lo, s1
	s_delay_alu instid0(SALU_CYCLE_1)
	s_and_b32 s33, s5, exec_lo
	s_and_b32 s27, s3, exec_lo
.LBB1068_89:
	s_or_b32 exec_lo, exec_lo, s0
.LBB1068_90:
	v_and_b32_e32 v80, 0xff, v34
	v_and_b32_e32 v81, 0xff, v35
	;; [unrolled: 1-line block ×10, first 2 shown]
	v_add3_u32 v5, v76, v78, v80
	v_add3_u32 v6, v77, v79, v81
	v_and_b32_e32 v70, 0xff, v45
	v_and_b32_e32 v71, 0xff, v44
	v_and_b32_e32 v64, 0xff, v47
	v_and_b32_e32 v65, 0xff, v46
	v_add3_u32 v5, v5, v74, v72
	v_add3_u32 v6, v6, v75, v73
	v_and_b32_e32 v68, 0xff, v49
	v_and_b32_e32 v69, 0xff, v48
	v_and_b32_e32 v66, 0xff, v51
	v_and_b32_e32 v67, 0xff, v50
	;; [unrolled: 6-line block ×3, first 2 shown]
	v_add3_u32 v5, v5, v68, v66
	v_add3_u32 v6, v6, v69, v67
	v_mbcnt_lo_u32_b32 v82, -1, 0
	v_and_b32_e32 v58, 0xff, v56
	v_and_b32_e32 v59, 0xff, v57
	v_cndmask_b32_e64 v7, 0, 1, s33
	v_add3_u32 v5, v5, v61, v60
	v_cndmask_b32_e64 v8, 0, 1, s27
	v_add3_u32 v6, v6, v62, v63
	v_and_b32_e32 v86, 15, v82
	v_and_b32_e32 v85, 16, v82
	v_lshrrev_b32_e32 v83, 5, v0
	v_add3_u32 v87, v5, v58, v8
	v_add3_u32 v88, v6, v59, v7
	v_cmp_eq_u32_e64 s1, 0, v86
	v_cmp_lt_u32_e64 s0, 1, v86
	v_cmp_lt_u32_e64 s3, 3, v86
	v_cmp_lt_u32_e32 vcc_lo, 7, v86
	v_or_b32_e32 v84, 31, v0
	s_cmp_lg_u32 s26, 0
	s_mov_b32 s5, -1
	s_cbranch_scc0 .LBB1068_123
; %bb.91:
	v_mov_b32_dpp v5, v88 row_shr:1 row_mask:0xf bank_mask:0xf
	v_mov_b32_dpp v6, v87 row_shr:1 row_mask:0xf bank_mask:0xf
	s_delay_alu instid0(VALU_DEP_2) | instskip(NEXT) | instid1(VALU_DEP_2)
	v_add_nc_u32_e32 v5, v5, v88
	v_add_nc_u32_e32 v6, v6, v87
	s_delay_alu instid0(VALU_DEP_2) | instskip(NEXT) | instid1(VALU_DEP_2)
	v_cndmask_b32_e64 v5, v5, v88, s1
	v_cndmask_b32_e64 v6, v6, v87, s1
	s_delay_alu instid0(VALU_DEP_2) | instskip(NEXT) | instid1(VALU_DEP_2)
	v_mov_b32_dpp v7, v5 row_shr:2 row_mask:0xf bank_mask:0xf
	v_mov_b32_dpp v8, v6 row_shr:2 row_mask:0xf bank_mask:0xf
	s_delay_alu instid0(VALU_DEP_2) | instskip(NEXT) | instid1(VALU_DEP_1)
	v_add_nc_u32_e32 v7, v5, v7
	v_cndmask_b32_e64 v5, v5, v7, s0
	s_delay_alu instid0(VALU_DEP_1) | instskip(NEXT) | instid1(VALU_DEP_1)
	v_mov_b32_dpp v7, v5 row_shr:4 row_mask:0xf bank_mask:0xf
	v_add_nc_u32_e32 v7, v5, v7
	s_delay_alu instid0(VALU_DEP_1) | instskip(NEXT) | instid1(VALU_DEP_1)
	v_cndmask_b32_e64 v5, v5, v7, s3
	v_mov_b32_dpp v7, v5 row_shr:8 row_mask:0xf bank_mask:0xf
	s_delay_alu instid0(VALU_DEP_1) | instskip(NEXT) | instid1(VALU_DEP_1)
	v_add_nc_u32_e32 v7, v5, v7
	v_dual_cndmask_b32 v5, v5, v7 :: v_dual_add_nc_u32 v8, v6, v8
	s_delay_alu instid0(VALU_DEP_1) | instskip(NEXT) | instid1(VALU_DEP_1)
	v_cndmask_b32_e64 v6, v6, v8, s0
	v_mov_b32_dpp v8, v6 row_shr:4 row_mask:0xf bank_mask:0xf
	s_delay_alu instid0(VALU_DEP_1) | instskip(NEXT) | instid1(VALU_DEP_1)
	v_add_nc_u32_e32 v8, v6, v8
	v_cndmask_b32_e64 v6, v6, v8, s3
	s_mov_b32 s3, exec_lo
	s_delay_alu instid0(VALU_DEP_1) | instskip(NEXT) | instid1(VALU_DEP_1)
	v_mov_b32_dpp v8, v6 row_shr:8 row_mask:0xf bank_mask:0xf
	v_add_nc_u32_e32 v8, v6, v8
	s_delay_alu instid0(VALU_DEP_1)
	v_cndmask_b32_e32 v7, v6, v8, vcc_lo
	ds_swizzle_b32 v6, v5 offset:swizzle(BROADCAST,32,15)
	v_cmp_eq_u32_e32 vcc_lo, 0, v85
	s_waitcnt lgkmcnt(0)
	v_add_nc_u32_e32 v6, v5, v6
	ds_swizzle_b32 v8, v7 offset:swizzle(BROADCAST,32,15)
	v_cndmask_b32_e32 v6, v6, v5, vcc_lo
	s_waitcnt lgkmcnt(0)
	v_add_nc_u32_e32 v8, v7, v8
	s_delay_alu instid0(VALU_DEP_1)
	v_cndmask_b32_e32 v5, v8, v7, vcc_lo
	v_cmpx_eq_u32_e64 v84, v0
	s_cbranch_execz .LBB1068_93
; %bb.92:
	v_lshlrev_b32_e32 v7, 3, v83
	ds_store_b64 v7, v[5:6]
.LBB1068_93:
	s_or_b32 exec_lo, exec_lo, s3
	s_delay_alu instid0(SALU_CYCLE_1)
	s_mov_b32 s3, exec_lo
	s_waitcnt lgkmcnt(0)
	s_barrier
	buffer_gl0_inv
	v_cmpx_gt_u32_e32 8, v0
	s_cbranch_execz .LBB1068_95
; %bb.94:
	v_lshlrev_b32_e32 v9, 3, v0
	ds_load_b64 v[7:8], v9
	s_waitcnt lgkmcnt(0)
	v_mov_b32_dpp v22, v7 row_shr:1 row_mask:0xf bank_mask:0xf
	v_mov_b32_dpp v23, v8 row_shr:1 row_mask:0xf bank_mask:0xf
	s_delay_alu instid0(VALU_DEP_2) | instskip(SKIP_1) | instid1(VALU_DEP_3)
	v_add_nc_u32_e32 v22, v22, v7
	v_and_b32_e32 v24, 7, v82
	v_add_nc_u32_e32 v23, v23, v8
	s_delay_alu instid0(VALU_DEP_2) | instskip(NEXT) | instid1(VALU_DEP_2)
	v_cmp_eq_u32_e32 vcc_lo, 0, v24
	v_dual_cndmask_b32 v8, v23, v8 :: v_dual_cndmask_b32 v7, v22, v7
	v_cmp_lt_u32_e32 vcc_lo, 1, v24
	s_delay_alu instid0(VALU_DEP_2) | instskip(NEXT) | instid1(VALU_DEP_3)
	v_mov_b32_dpp v23, v8 row_shr:2 row_mask:0xf bank_mask:0xf
	v_mov_b32_dpp v22, v7 row_shr:2 row_mask:0xf bank_mask:0xf
	s_delay_alu instid0(VALU_DEP_2) | instskip(NEXT) | instid1(VALU_DEP_2)
	v_add_nc_u32_e32 v23, v8, v23
	v_add_nc_u32_e32 v22, v7, v22
	s_delay_alu instid0(VALU_DEP_1) | instskip(SKIP_1) | instid1(VALU_DEP_2)
	v_dual_cndmask_b32 v8, v8, v23 :: v_dual_cndmask_b32 v7, v7, v22
	v_cmp_lt_u32_e32 vcc_lo, 3, v24
	v_mov_b32_dpp v23, v8 row_shr:4 row_mask:0xf bank_mask:0xf
	s_delay_alu instid0(VALU_DEP_3) | instskip(NEXT) | instid1(VALU_DEP_1)
	v_mov_b32_dpp v22, v7 row_shr:4 row_mask:0xf bank_mask:0xf
	v_dual_cndmask_b32 v23, 0, v23 :: v_dual_cndmask_b32 v22, 0, v22
	s_delay_alu instid0(VALU_DEP_1) | instskip(NEXT) | instid1(VALU_DEP_2)
	v_add_nc_u32_e32 v8, v23, v8
	v_add_nc_u32_e32 v7, v22, v7
	ds_store_b64 v9, v[7:8]
.LBB1068_95:
	s_or_b32 exec_lo, exec_lo, s3
	v_cmp_gt_u32_e32 vcc_lo, 32, v0
	v_cmp_lt_u32_e64 s3, 31, v0
	s_waitcnt lgkmcnt(0)
	s_barrier
	buffer_gl0_inv
                                        ; implicit-def: $vgpr23
	s_and_saveexec_b32 s5, s3
	s_delay_alu instid0(SALU_CYCLE_1)
	s_xor_b32 s3, exec_lo, s5
	s_cbranch_execz .LBB1068_97
; %bb.96:
	v_lshl_add_u32 v7, v83, 3, -8
	ds_load_b64 v[22:23], v7
	s_waitcnt lgkmcnt(0)
	v_add_nc_u32_e32 v6, v23, v6
	v_add_nc_u32_e32 v5, v22, v5
.LBB1068_97:
	s_and_not1_saveexec_b32 s3, s3
; %bb.98:
                                        ; implicit-def: $vgpr22
; %bb.99:
	s_delay_alu instid0(SALU_CYCLE_1) | instskip(SKIP_1) | instid1(VALU_DEP_1)
	s_or_b32 exec_lo, exec_lo, s3
	v_add_nc_u32_e32 v7, -1, v82
	v_cmp_gt_i32_e64 s3, 0, v7
	s_delay_alu instid0(VALU_DEP_1) | instskip(SKIP_1) | instid1(VALU_DEP_2)
	v_cndmask_b32_e64 v7, v7, v82, s3
	v_cmp_eq_u32_e64 s3, 0, v82
	v_lshlrev_b32_e32 v7, 2, v7
	ds_bpermute_b32 v89, v7, v5
	ds_bpermute_b32 v90, v7, v6
	s_and_saveexec_b32 s5, vcc_lo
	s_cbranch_execz .LBB1068_122
; %bb.100:
	v_mov_b32_e32 v8, 0
	ds_load_b64 v[5:6], v8 offset:56
	s_waitcnt lgkmcnt(0)
	v_readfirstlane_b32 s6, v6
	s_and_saveexec_b32 s7, s3
	s_cbranch_execz .LBB1068_102
; %bb.101:
	s_add_i32 s8, s26, 32
	s_mov_b32 s9, 0
	v_mov_b32_e32 v7, 1
	s_lshl_b64 s[10:11], s[8:9], 4
	s_mov_b32 s16, s9
	s_add_u32 s10, s36, s10
	s_addc_u32 s11, s37, s11
	s_and_b32 s17, s6, 0xff000000
	s_and_b32 s19, s6, 0xff0000
	s_mov_b32 s18, s9
	v_dual_mov_b32 v25, s11 :: v_dual_mov_b32 v24, s10
	s_or_b64 s[16:17], s[18:19], s[16:17]
	s_and_b32 s19, s6, 0xff00
	s_delay_alu instid0(SALU_CYCLE_1) | instskip(SKIP_1) | instid1(SALU_CYCLE_1)
	s_or_b64 s[16:17], s[16:17], s[18:19]
	s_and_b32 s19, s6, 0xff
	s_or_b64 s[8:9], s[16:17], s[18:19]
	s_delay_alu instid0(SALU_CYCLE_1)
	v_mov_b32_e32 v6, s9
	;;#ASMSTART
	global_store_dwordx4 v[24:25], v[5:8] off	
s_waitcnt vmcnt(0)
	;;#ASMEND
.LBB1068_102:
	s_or_b32 exec_lo, exec_lo, s7
	v_xad_u32 v24, v82, -1, s26
	s_mov_b32 s8, 0
	s_mov_b32 s7, exec_lo
	s_delay_alu instid0(VALU_DEP_1) | instskip(NEXT) | instid1(VALU_DEP_1)
	v_add_nc_u32_e32 v7, 32, v24
	v_lshlrev_b64 v[6:7], 4, v[7:8]
	s_delay_alu instid0(VALU_DEP_1) | instskip(NEXT) | instid1(VALU_DEP_2)
	v_add_co_u32 v25, vcc_lo, s36, v6
	v_add_co_ci_u32_e32 v26, vcc_lo, s37, v7, vcc_lo
	;;#ASMSTART
	global_load_dwordx4 v[6:9], v[25:26] off glc	
s_waitcnt vmcnt(0)
	;;#ASMEND
	v_and_b32_e32 v9, 0xff, v7
	v_and_b32_e32 v27, 0xff00, v7
	v_or3_b32 v6, v6, 0, 0
	v_and_b32_e32 v28, 0xff000000, v7
	v_and_b32_e32 v7, 0xff0000, v7
	s_delay_alu instid0(VALU_DEP_4) | instskip(SKIP_2) | instid1(VALU_DEP_3)
	v_or3_b32 v9, 0, v9, v27
	v_and_b32_e32 v27, 0xff, v8
	v_or3_b32 v6, v6, 0, 0
	v_or3_b32 v7, v9, v7, v28
	s_delay_alu instid0(VALU_DEP_3)
	v_cmpx_eq_u16_e32 0, v27
	s_cbranch_execz .LBB1068_108
; %bb.103:
	s_mov_b32 s9, 1
	.p2align	6
.LBB1068_104:                           ; =>This Loop Header: Depth=1
                                        ;     Child Loop BB1068_105 Depth 2
	s_delay_alu instid0(SALU_CYCLE_1)
	s_max_u32 s10, s9, 1
.LBB1068_105:                           ;   Parent Loop BB1068_104 Depth=1
                                        ; =>  This Inner Loop Header: Depth=2
	s_delay_alu instid0(SALU_CYCLE_1)
	s_add_i32 s10, s10, -1
	s_sleep 1
	s_cmp_eq_u32 s10, 0
	s_cbranch_scc0 .LBB1068_105
; %bb.106:                              ;   in Loop: Header=BB1068_104 Depth=1
	;;#ASMSTART
	global_load_dwordx4 v[6:9], v[25:26] off glc	
s_waitcnt vmcnt(0)
	;;#ASMEND
	v_and_b32_e32 v9, 0xff, v8
	s_cmp_lt_u32 s9, 32
	s_cselect_b32 s10, -1, 0
	s_delay_alu instid0(SALU_CYCLE_1) | instskip(NEXT) | instid1(VALU_DEP_1)
	s_cmp_lg_u32 s10, 0
	v_cmp_ne_u16_e32 vcc_lo, 0, v9
	s_addc_u32 s9, s9, 0
	s_or_b32 s8, vcc_lo, s8
	s_delay_alu instid0(SALU_CYCLE_1)
	s_and_not1_b32 exec_lo, exec_lo, s8
	s_cbranch_execnz .LBB1068_104
; %bb.107:
	s_or_b32 exec_lo, exec_lo, s8
.LBB1068_108:
	s_delay_alu instid0(SALU_CYCLE_1) | instskip(SKIP_3) | instid1(VALU_DEP_1)
	s_or_b32 exec_lo, exec_lo, s7
	v_cmp_ne_u32_e32 vcc_lo, 31, v82
	v_lshlrev_b32_e64 v92, v82, -1
	v_add_co_ci_u32_e32 v9, vcc_lo, 0, v82, vcc_lo
	v_lshlrev_b32_e32 v91, 2, v9
	ds_bpermute_b32 v25, v91, v7
	ds_bpermute_b32 v9, v91, v6
	s_waitcnt lgkmcnt(1)
	v_add_nc_u32_e32 v25, v25, v7
	v_and_b32_e32 v26, 0xff, v8
	s_waitcnt lgkmcnt(0)
	v_add_nc_u32_e32 v9, v9, v6
	s_delay_alu instid0(VALU_DEP_2) | instskip(SKIP_2) | instid1(VALU_DEP_2)
	v_cmp_eq_u16_e32 vcc_lo, 2, v26
	v_and_or_b32 v26, vcc_lo, v92, 0x80000000
	v_cmp_gt_u32_e32 vcc_lo, 30, v82
	v_ctz_i32_b32_e32 v26, v26
	v_cndmask_b32_e64 v27, 0, 1, vcc_lo
	s_delay_alu instid0(VALU_DEP_2) | instskip(NEXT) | instid1(VALU_DEP_2)
	v_cmp_lt_u32_e32 vcc_lo, v82, v26
	v_dual_cndmask_b32 v6, v6, v9 :: v_dual_lshlrev_b32 v27, 1, v27
	s_delay_alu instid0(VALU_DEP_1)
	v_add_lshl_u32 v93, v27, v82, 2
	v_cndmask_b32_e32 v7, v7, v25, vcc_lo
	v_cmp_gt_u32_e32 vcc_lo, 28, v82
	ds_bpermute_b32 v9, v93, v6
	ds_bpermute_b32 v25, v93, v7
	v_cndmask_b32_e64 v27, 0, 1, vcc_lo
	s_waitcnt lgkmcnt(1)
	v_add_nc_u32_e32 v9, v6, v9
	s_waitcnt lgkmcnt(0)
	v_add_nc_u32_e32 v25, v7, v25
	v_add_nc_u32_e32 v94, 2, v82
	s_delay_alu instid0(VALU_DEP_1) | instskip(NEXT) | instid1(VALU_DEP_3)
	v_cmp_gt_u32_e32 vcc_lo, v94, v26
	v_cndmask_b32_e32 v7, v25, v7, vcc_lo
	v_dual_cndmask_b32 v6, v9, v6 :: v_dual_lshlrev_b32 v27, 2, v27
	v_cmp_gt_u32_e32 vcc_lo, 24, v82
	s_delay_alu instid0(VALU_DEP_2) | instskip(SKIP_4) | instid1(VALU_DEP_1)
	v_add_lshl_u32 v95, v27, v82, 2
	v_cndmask_b32_e64 v27, 0, 1, vcc_lo
	ds_bpermute_b32 v25, v95, v7
	ds_bpermute_b32 v9, v95, v6
	v_lshlrev_b32_e32 v27, 3, v27
	v_add_lshl_u32 v97, v27, v82, 2
	s_waitcnt lgkmcnt(1)
	v_add_nc_u32_e32 v25, v7, v25
	v_add_nc_u32_e32 v96, 4, v82
	s_waitcnt lgkmcnt(0)
	v_add_nc_u32_e32 v9, v6, v9
	s_delay_alu instid0(VALU_DEP_2) | instskip(SKIP_1) | instid1(VALU_DEP_3)
	v_cmp_gt_u32_e32 vcc_lo, v96, v26
	v_cndmask_b32_e32 v7, v25, v7, vcc_lo
	v_cndmask_b32_e32 v6, v9, v6, vcc_lo
	v_cmp_gt_u32_e32 vcc_lo, 16, v82
	ds_bpermute_b32 v25, v97, v7
	ds_bpermute_b32 v9, v97, v6
	v_cndmask_b32_e64 v27, 0, 1, vcc_lo
	s_delay_alu instid0(VALU_DEP_1) | instskip(NEXT) | instid1(VALU_DEP_1)
	v_lshlrev_b32_e32 v27, 4, v27
	v_add_lshl_u32 v99, v27, v82, 2
	s_waitcnt lgkmcnt(1)
	v_add_nc_u32_e32 v25, v7, v25
	v_add_nc_u32_e32 v98, 8, v82
	s_waitcnt lgkmcnt(0)
	v_add_nc_u32_e32 v9, v6, v9
	s_delay_alu instid0(VALU_DEP_2) | instskip(SKIP_1) | instid1(VALU_DEP_3)
	v_cmp_gt_u32_e32 vcc_lo, v98, v26
	v_cndmask_b32_e32 v7, v25, v7, vcc_lo
	v_cndmask_b32_e32 v6, v9, v6, vcc_lo
	ds_bpermute_b32 v25, v99, v7
	ds_bpermute_b32 v9, v99, v6
	v_add_nc_u32_e32 v100, 16, v82
	s_delay_alu instid0(VALU_DEP_1) | instskip(SKIP_2) | instid1(VALU_DEP_1)
	v_cmp_le_u32_e32 vcc_lo, v100, v26
	s_waitcnt lgkmcnt(0)
	v_cndmask_b32_e32 v9, 0, v9, vcc_lo
	v_dual_cndmask_b32 v25, 0, v25 :: v_dual_add_nc_u32 v6, v9, v6
	s_delay_alu instid0(VALU_DEP_1)
	v_add_nc_u32_e32 v7, v25, v7
	v_mov_b32_e32 v25, 0
	s_branch .LBB1068_110
.LBB1068_109:                           ;   in Loop: Header=BB1068_110 Depth=1
	s_or_b32 exec_lo, exec_lo, s7
	ds_bpermute_b32 v9, v91, v6
	ds_bpermute_b32 v28, v91, v7
	v_subrev_nc_u32_e32 v24, 32, v24
	s_waitcnt lgkmcnt(1)
	v_add_nc_u32_e32 v9, v9, v6
	v_and_b32_e32 v29, 0xff, v8
	s_waitcnt lgkmcnt(0)
	v_add_nc_u32_e32 v28, v28, v7
	s_delay_alu instid0(VALU_DEP_2) | instskip(SKIP_1) | instid1(VALU_DEP_1)
	v_cmp_eq_u16_e32 vcc_lo, 2, v29
	v_and_or_b32 v29, vcc_lo, v92, 0x80000000
	v_ctz_i32_b32_e32 v29, v29
	s_delay_alu instid0(VALU_DEP_1)
	v_cmp_lt_u32_e32 vcc_lo, v82, v29
	v_cndmask_b32_e32 v6, v6, v9, vcc_lo
	ds_bpermute_b32 v9, v93, v6
	s_waitcnt lgkmcnt(0)
	v_add_nc_u32_e32 v9, v6, v9
	v_cndmask_b32_e32 v7, v7, v28, vcc_lo
	v_cmp_gt_u32_e32 vcc_lo, v94, v29
	s_delay_alu instid0(VALU_DEP_3)
	v_cndmask_b32_e32 v6, v9, v6, vcc_lo
	ds_bpermute_b32 v28, v93, v7
	ds_bpermute_b32 v9, v95, v6
	s_waitcnt lgkmcnt(1)
	v_add_nc_u32_e32 v28, v7, v28
	s_waitcnt lgkmcnt(0)
	v_add_nc_u32_e32 v9, v6, v9
	s_delay_alu instid0(VALU_DEP_2) | instskip(SKIP_1) | instid1(VALU_DEP_3)
	v_cndmask_b32_e32 v7, v28, v7, vcc_lo
	v_cmp_gt_u32_e32 vcc_lo, v96, v29
	v_cndmask_b32_e32 v6, v9, v6, vcc_lo
	ds_bpermute_b32 v28, v95, v7
	ds_bpermute_b32 v9, v97, v6
	s_waitcnt lgkmcnt(1)
	v_add_nc_u32_e32 v28, v7, v28
	s_waitcnt lgkmcnt(0)
	v_add_nc_u32_e32 v9, v6, v9
	s_delay_alu instid0(VALU_DEP_2) | instskip(SKIP_1) | instid1(VALU_DEP_3)
	v_cndmask_b32_e32 v7, v28, v7, vcc_lo
	v_cmp_gt_u32_e32 vcc_lo, v98, v29
	v_cndmask_b32_e32 v6, v9, v6, vcc_lo
	ds_bpermute_b32 v28, v97, v7
	ds_bpermute_b32 v9, v99, v6
	s_waitcnt lgkmcnt(1)
	v_add_nc_u32_e32 v28, v7, v28
	s_delay_alu instid0(VALU_DEP_1) | instskip(SKIP_4) | instid1(VALU_DEP_1)
	v_cndmask_b32_e32 v7, v28, v7, vcc_lo
	v_cmp_le_u32_e32 vcc_lo, v100, v29
	ds_bpermute_b32 v28, v99, v7
	s_waitcnt lgkmcnt(1)
	v_cndmask_b32_e32 v9, 0, v9, vcc_lo
	v_add3_u32 v6, v6, v26, v9
	s_waitcnt lgkmcnt(0)
	v_cndmask_b32_e32 v28, 0, v28, vcc_lo
	s_delay_alu instid0(VALU_DEP_1)
	v_add3_u32 v7, v7, v27, v28
.LBB1068_110:                           ; =>This Loop Header: Depth=1
                                        ;     Child Loop BB1068_113 Depth 2
                                        ;       Child Loop BB1068_114 Depth 3
	s_delay_alu instid0(VALU_DEP_1) | instskip(SKIP_1) | instid1(VALU_DEP_2)
	v_dual_mov_b32 v27, v7 :: v_dual_and_b32 v8, 0xff, v8
	v_mov_b32_e32 v26, v6
	v_cmp_ne_u16_e32 vcc_lo, 2, v8
	v_cndmask_b32_e64 v8, 0, 1, vcc_lo
	;;#ASMSTART
	;;#ASMEND
	s_delay_alu instid0(VALU_DEP_1)
	v_cmp_ne_u32_e32 vcc_lo, 0, v8
	s_cmp_lg_u32 vcc_lo, exec_lo
	s_cbranch_scc1 .LBB1068_117
; %bb.111:                              ;   in Loop: Header=BB1068_110 Depth=1
	v_lshlrev_b64 v[6:7], 4, v[24:25]
	s_mov_b32 s7, exec_lo
	s_delay_alu instid0(VALU_DEP_1) | instskip(NEXT) | instid1(VALU_DEP_2)
	v_add_co_u32 v28, vcc_lo, s36, v6
	v_add_co_ci_u32_e32 v29, vcc_lo, s37, v7, vcc_lo
	;;#ASMSTART
	global_load_dwordx4 v[6:9], v[28:29] off glc	
s_waitcnt vmcnt(0)
	;;#ASMEND
	v_and_b32_e32 v9, 0xff, v7
	v_and_b32_e32 v101, 0xff00, v7
	v_or3_b32 v6, v6, 0, 0
	v_and_b32_e32 v102, 0xff000000, v7
	v_and_b32_e32 v7, 0xff0000, v7
	s_delay_alu instid0(VALU_DEP_4) | instskip(SKIP_2) | instid1(VALU_DEP_3)
	v_or3_b32 v9, 0, v9, v101
	v_and_b32_e32 v101, 0xff, v8
	v_or3_b32 v6, v6, 0, 0
	v_or3_b32 v7, v9, v7, v102
	s_delay_alu instid0(VALU_DEP_3)
	v_cmpx_eq_u16_e32 0, v101
	s_cbranch_execz .LBB1068_109
; %bb.112:                              ;   in Loop: Header=BB1068_110 Depth=1
	s_mov_b32 s9, 1
	s_mov_b32 s8, 0
	.p2align	6
.LBB1068_113:                           ;   Parent Loop BB1068_110 Depth=1
                                        ; =>  This Loop Header: Depth=2
                                        ;       Child Loop BB1068_114 Depth 3
	s_max_u32 s10, s9, 1
.LBB1068_114:                           ;   Parent Loop BB1068_110 Depth=1
                                        ;     Parent Loop BB1068_113 Depth=2
                                        ; =>    This Inner Loop Header: Depth=3
	s_delay_alu instid0(SALU_CYCLE_1)
	s_add_i32 s10, s10, -1
	s_sleep 1
	s_cmp_eq_u32 s10, 0
	s_cbranch_scc0 .LBB1068_114
; %bb.115:                              ;   in Loop: Header=BB1068_113 Depth=2
	;;#ASMSTART
	global_load_dwordx4 v[6:9], v[28:29] off glc	
s_waitcnt vmcnt(0)
	;;#ASMEND
	v_and_b32_e32 v9, 0xff, v8
	s_cmp_lt_u32 s9, 32
	s_cselect_b32 s10, -1, 0
	s_delay_alu instid0(SALU_CYCLE_1) | instskip(NEXT) | instid1(VALU_DEP_1)
	s_cmp_lg_u32 s10, 0
	v_cmp_ne_u16_e32 vcc_lo, 0, v9
	s_addc_u32 s9, s9, 0
	s_or_b32 s8, vcc_lo, s8
	s_delay_alu instid0(SALU_CYCLE_1)
	s_and_not1_b32 exec_lo, exec_lo, s8
	s_cbranch_execnz .LBB1068_113
; %bb.116:                              ;   in Loop: Header=BB1068_110 Depth=1
	s_or_b32 exec_lo, exec_lo, s8
	s_branch .LBB1068_109
.LBB1068_117:                           ;   in Loop: Header=BB1068_110 Depth=1
                                        ; implicit-def: $vgpr8
                                        ; implicit-def: $vgpr6_vgpr7
	s_cbranch_execz .LBB1068_110
; %bb.118:
	s_and_saveexec_b32 s7, s3
	s_cbranch_execnz .LBB1068_361
; %bb.119:
	s_or_b32 exec_lo, exec_lo, s7
	s_and_saveexec_b32 s7, s3
	s_cbranch_execnz .LBB1068_362
.LBB1068_120:
	s_or_b32 exec_lo, exec_lo, s7
	s_delay_alu instid0(SALU_CYCLE_1)
	s_and_b32 exec_lo, exec_lo, s2
	s_cbranch_execz .LBB1068_122
.LBB1068_121:
	v_mov_b32_e32 v5, 0
	ds_store_b64 v5, v[26:27] offset:56
.LBB1068_122:
	s_or_b32 exec_lo, exec_lo, s5
	s_waitcnt lgkmcnt(1)
	v_cndmask_b32_e64 v22, v89, v22, s3
	v_mov_b32_e32 v5, 0
	s_waitcnt lgkmcnt(0)
	s_barrier
	buffer_gl0_inv
	v_add_nc_u32_e64 v7, 0x3400, 0
	ds_load_b64 v[24:25], v5 offset:56
	s_waitcnt lgkmcnt(0)
	s_barrier
	buffer_gl0_inv
	ds_load_2addr_b32 v[5:6], v7 offset1:2
	ds_load_2addr_b32 v[7:8], v7 offset0:4 offset1:6
	v_cndmask_b32_e64 v9, v90, v23, s3
	v_add_nc_u32_e32 v22, v24, v22
	s_delay_alu instid0(VALU_DEP_2) | instskip(NEXT) | instid1(VALU_DEP_2)
	v_add_nc_u32_e32 v9, v25, v9
	v_cndmask_b32_e64 v22, v22, v24, s2
	s_delay_alu instid0(VALU_DEP_2)
	v_cndmask_b32_e64 v9, v9, v25, s2
	s_branch .LBB1068_133
.LBB1068_123:
                                        ; implicit-def: $vgpr9
                                        ; implicit-def: $vgpr7
                                        ; implicit-def: $vgpr5
                                        ; implicit-def: $vgpr22_vgpr23
	s_and_b32 vcc_lo, exec_lo, s5
	s_cbranch_vccz .LBB1068_133
; %bb.124:
	s_waitcnt lgkmcnt(1)
	v_mov_b32_dpp v6, v88 row_shr:1 row_mask:0xf bank_mask:0xf
	v_cmp_lt_u32_e32 vcc_lo, 3, v86
	v_mov_b32_dpp v5, v87 row_shr:1 row_mask:0xf bank_mask:0xf
	s_delay_alu instid0(VALU_DEP_3) | instskip(NEXT) | instid1(VALU_DEP_1)
	v_add_nc_u32_e32 v6, v6, v88
	v_cndmask_b32_e64 v6, v6, v88, s1
	s_waitcnt lgkmcnt(0)
	s_delay_alu instid0(VALU_DEP_1) | instskip(NEXT) | instid1(VALU_DEP_1)
	v_mov_b32_dpp v8, v6 row_shr:2 row_mask:0xf bank_mask:0xf
	v_add_nc_u32_e32 v8, v6, v8
	s_delay_alu instid0(VALU_DEP_1) | instskip(NEXT) | instid1(VALU_DEP_1)
	v_cndmask_b32_e64 v6, v6, v8, s0
	v_mov_b32_dpp v8, v6 row_shr:4 row_mask:0xf bank_mask:0xf
	s_delay_alu instid0(VALU_DEP_1) | instskip(NEXT) | instid1(VALU_DEP_1)
	v_add_nc_u32_e32 v8, v6, v8
	v_dual_cndmask_b32 v6, v6, v8 :: v_dual_add_nc_u32 v5, v5, v87
	s_delay_alu instid0(VALU_DEP_1) | instskip(NEXT) | instid1(VALU_DEP_2)
	v_cndmask_b32_e64 v5, v5, v87, s1
	v_mov_b32_dpp v8, v6 row_shr:8 row_mask:0xf bank_mask:0xf
	s_delay_alu instid0(VALU_DEP_2) | instskip(NEXT) | instid1(VALU_DEP_2)
	v_mov_b32_dpp v7, v5 row_shr:2 row_mask:0xf bank_mask:0xf
	v_add_nc_u32_e32 v8, v6, v8
	s_delay_alu instid0(VALU_DEP_2) | instskip(NEXT) | instid1(VALU_DEP_1)
	v_add_nc_u32_e32 v7, v5, v7
	v_cndmask_b32_e64 v5, v5, v7, s0
	s_mov_b32 s0, exec_lo
	s_delay_alu instid0(VALU_DEP_1) | instskip(NEXT) | instid1(VALU_DEP_1)
	v_mov_b32_dpp v7, v5 row_shr:4 row_mask:0xf bank_mask:0xf
	v_add_nc_u32_e32 v7, v5, v7
	s_delay_alu instid0(VALU_DEP_1) | instskip(SKIP_1) | instid1(VALU_DEP_2)
	v_cndmask_b32_e32 v5, v5, v7, vcc_lo
	v_cmp_lt_u32_e32 vcc_lo, 7, v86
	v_mov_b32_dpp v7, v5 row_shr:8 row_mask:0xf bank_mask:0xf
	s_delay_alu instid0(VALU_DEP_1) | instskip(NEXT) | instid1(VALU_DEP_1)
	v_dual_cndmask_b32 v6, v6, v8 :: v_dual_add_nc_u32 v7, v5, v7
	v_cndmask_b32_e32 v5, v5, v7, vcc_lo
	ds_swizzle_b32 v7, v6 offset:swizzle(BROADCAST,32,15)
	v_cmp_eq_u32_e32 vcc_lo, 0, v85
	ds_swizzle_b32 v8, v5 offset:swizzle(BROADCAST,32,15)
	s_waitcnt lgkmcnt(1)
	v_add_nc_u32_e32 v7, v6, v7
	s_waitcnt lgkmcnt(0)
	v_add_nc_u32_e32 v8, v5, v8
	s_delay_alu instid0(VALU_DEP_1)
	v_dual_cndmask_b32 v6, v7, v6 :: v_dual_cndmask_b32 v5, v8, v5
	v_cmpx_eq_u32_e64 v84, v0
	s_cbranch_execz .LBB1068_126
; %bb.125:
	v_lshlrev_b32_e32 v7, 3, v83
	ds_store_b64 v7, v[5:6]
.LBB1068_126:
	s_or_b32 exec_lo, exec_lo, s0
	s_delay_alu instid0(SALU_CYCLE_1)
	s_mov_b32 s0, exec_lo
	s_waitcnt lgkmcnt(0)
	s_barrier
	buffer_gl0_inv
	v_cmpx_gt_u32_e32 8, v0
	s_cbranch_execz .LBB1068_128
; %bb.127:
	v_lshlrev_b32_e32 v9, 3, v0
	ds_load_b64 v[7:8], v9
	s_waitcnt lgkmcnt(0)
	v_mov_b32_dpp v22, v7 row_shr:1 row_mask:0xf bank_mask:0xf
	v_mov_b32_dpp v23, v8 row_shr:1 row_mask:0xf bank_mask:0xf
	s_delay_alu instid0(VALU_DEP_2) | instskip(SKIP_1) | instid1(VALU_DEP_3)
	v_add_nc_u32_e32 v22, v22, v7
	v_and_b32_e32 v24, 7, v82
	v_add_nc_u32_e32 v23, v23, v8
	s_delay_alu instid0(VALU_DEP_2) | instskip(NEXT) | instid1(VALU_DEP_2)
	v_cmp_eq_u32_e32 vcc_lo, 0, v24
	v_dual_cndmask_b32 v8, v23, v8 :: v_dual_cndmask_b32 v7, v22, v7
	v_cmp_lt_u32_e32 vcc_lo, 1, v24
	s_delay_alu instid0(VALU_DEP_2) | instskip(NEXT) | instid1(VALU_DEP_3)
	v_mov_b32_dpp v23, v8 row_shr:2 row_mask:0xf bank_mask:0xf
	v_mov_b32_dpp v22, v7 row_shr:2 row_mask:0xf bank_mask:0xf
	s_delay_alu instid0(VALU_DEP_2) | instskip(NEXT) | instid1(VALU_DEP_2)
	v_add_nc_u32_e32 v23, v8, v23
	v_add_nc_u32_e32 v22, v7, v22
	s_delay_alu instid0(VALU_DEP_1) | instskip(SKIP_1) | instid1(VALU_DEP_2)
	v_dual_cndmask_b32 v8, v8, v23 :: v_dual_cndmask_b32 v7, v7, v22
	v_cmp_lt_u32_e32 vcc_lo, 3, v24
	v_mov_b32_dpp v23, v8 row_shr:4 row_mask:0xf bank_mask:0xf
	s_delay_alu instid0(VALU_DEP_3) | instskip(NEXT) | instid1(VALU_DEP_1)
	v_mov_b32_dpp v22, v7 row_shr:4 row_mask:0xf bank_mask:0xf
	v_dual_cndmask_b32 v23, 0, v23 :: v_dual_cndmask_b32 v22, 0, v22
	s_delay_alu instid0(VALU_DEP_1) | instskip(NEXT) | instid1(VALU_DEP_2)
	v_add_nc_u32_e32 v8, v23, v8
	v_add_nc_u32_e32 v7, v22, v7
	ds_store_b64 v9, v[7:8]
.LBB1068_128:
	s_or_b32 exec_lo, exec_lo, s0
	v_dual_mov_b32 v7, 0 :: v_dual_mov_b32 v22, 0
	v_mov_b32_e32 v23, 0
	s_mov_b32 s0, exec_lo
	s_waitcnt lgkmcnt(0)
	s_barrier
	buffer_gl0_inv
	v_cmpx_lt_u32_e32 31, v0
	s_cbranch_execz .LBB1068_130
; %bb.129:
	v_lshl_add_u32 v8, v83, 3, -8
	ds_load_b64 v[22:23], v8
.LBB1068_130:
	s_or_b32 exec_lo, exec_lo, s0
	v_add_nc_u32_e32 v8, -1, v82
	s_waitcnt lgkmcnt(0)
	v_add_nc_u32_e32 v24, v23, v6
	v_add_nc_u32_e32 v9, v22, v5
	ds_load_b64 v[5:6], v7 offset:56
	v_cmp_gt_i32_e32 vcc_lo, 0, v8
	v_cndmask_b32_e32 v8, v8, v82, vcc_lo
	s_delay_alu instid0(VALU_DEP_1)
	v_lshlrev_b32_e32 v8, 2, v8
	ds_bpermute_b32 v9, v8, v9
	ds_bpermute_b32 v24, v8, v24
	s_waitcnt lgkmcnt(2)
	v_readfirstlane_b32 s0, v6
	s_and_saveexec_b32 s1, s2
	s_cbranch_execz .LBB1068_132
; %bb.131:
	s_mov_b32 s8, 0
	s_add_u32 s6, s36, 0x200
	s_addc_u32 s7, s37, 0
	s_and_b32 s9, s0, 0xff000000
	s_and_b32 s11, s0, 0xff0000
	s_mov_b32 s10, s8
	v_mov_b32_e32 v26, s7
	s_or_b64 s[10:11], s[10:11], s[8:9]
	s_and_b32 s9, s0, 0xff00
	v_dual_mov_b32 v8, 0 :: v_dual_mov_b32 v25, s6
	s_or_b64 s[10:11], s[10:11], s[8:9]
	s_and_b32 s9, s0, 0xff
	v_mov_b32_e32 v7, 2
	s_or_b64 s[8:9], s[10:11], s[8:9]
	s_delay_alu instid0(SALU_CYCLE_1)
	v_mov_b32_e32 v6, s9
	;;#ASMSTART
	global_store_dwordx4 v[25:26], v[5:8] off	
s_waitcnt vmcnt(0)
	;;#ASMEND
.LBB1068_132:
	s_or_b32 exec_lo, exec_lo, s1
	v_cmp_eq_u32_e32 vcc_lo, 0, v82
	v_dual_mov_b32 v7, 0 :: v_dual_mov_b32 v6, s0
	s_waitcnt lgkmcnt(0)
	s_barrier
	v_dual_cndmask_b32 v8, v9, v22 :: v_dual_cndmask_b32 v9, v24, v23
	buffer_gl0_inv
	v_cndmask_b32_e64 v22, v8, 0, s2
	v_cndmask_b32_e64 v9, v9, 0, s2
	v_mov_b32_e32 v8, 0
.LBB1068_133:
	s_delay_alu instid0(VALU_DEP_1) | instskip(SKIP_1) | instid1(VALU_DEP_2)
	v_add_nc_u32_e32 v24, v9, v81
	s_waitcnt lgkmcnt(0)
	v_sub_nc_u32_e32 v9, v9, v8
	v_add_co_u32 v1, vcc_lo, v1, v7
	v_and_b32_e32 v35, 1, v35
	v_add_nc_u32_e32 v26, v24, v77
	v_sub_nc_u32_e32 v24, v24, v8
	v_lshlrev_b32_e32 v77, 1, v5
	v_add_nc_u32_e32 v9, v9, v5
	v_add_co_ci_u32_e32 v2, vcc_lo, 0, v2, vcc_lo
	v_add_nc_u32_e32 v28, v26, v79
	s_delay_alu instid0(VALU_DEP_4)
	v_add3_u32 v33, v77, v6, v33
	v_and_b32_e32 v40, 1, v40
	v_and_b32_e32 v37, 1, v37
	;; [unrolled: 1-line block ×3, first 2 shown]
	v_add_nc_u32_e32 v29, v28, v75
	v_sub_nc_u32_e32 v28, v28, v8
	v_sub_co_u32 v75, vcc_lo, v3, v5
	s_add_u32 s1, s14, -4
	s_delay_alu instid0(VALU_DEP_3) | instskip(SKIP_4) | instid1(VALU_DEP_3)
	v_add_nc_u32_e32 v73, v29, v73
	v_sub_nc_u32_e32 v29, v29, v8
	v_add_nc_u32_e32 v28, v28, v5
	v_add_nc_u32_e32 v24, v24, v5
	s_mov_b32 s3, -1
	v_add_nc_u32_e32 v29, v29, v5
	v_add_nc_u32_e32 v23, v22, v80
	v_sub_nc_u32_e32 v22, v22, v7
	s_delay_alu instid0(VALU_DEP_2) | instskip(SKIP_3) | instid1(VALU_DEP_3)
	v_add_nc_u32_e32 v25, v23, v76
	v_sub_nc_u32_e32 v23, v23, v7
	v_subrev_co_ci_u32_e32 v76, vcc_lo, 0, v4, vcc_lo
	v_cmp_eq_u32_e32 vcc_lo, 1, v35
	v_add_nc_u32_e32 v79, v24, v23
	s_delay_alu instid0(VALU_DEP_1) | instskip(NEXT) | instid1(VALU_DEP_1)
	v_sub_nc_u32_e32 v79, v33, v79
	v_add_nc_u32_e32 v79, 1, v79
	v_add_nc_u32_e32 v27, v25, v78
	;; [unrolled: 1-line block ×3, first 2 shown]
	s_delay_alu instid0(VALU_DEP_1) | instskip(NEXT) | instid1(VALU_DEP_1)
	v_sub_nc_u32_e32 v78, v33, v78
	v_dual_cndmask_b32 v9, v78, v9 :: v_dual_and_b32 v34, 1, v34
	v_cmp_eq_u32_e32 vcc_lo, 1, v40
	v_cndmask_b32_e32 v24, v79, v24, vcc_lo
	s_delay_alu instid0(VALU_DEP_3) | instskip(NEXT) | instid1(VALU_DEP_4)
	v_cmp_eq_u32_e32 vcc_lo, 1, v34
	v_cndmask_b32_e32 v9, v9, v22, vcc_lo
	v_sub_nc_u32_e32 v26, v26, v8
	v_cmp_eq_u32_e32 vcc_lo, 1, v37
	v_and_b32_e32 v37, 1, v38
	s_delay_alu instid0(VALU_DEP_4) | instskip(NEXT) | instid1(VALU_DEP_4)
	v_lshlrev_b32_e32 v9, 2, v9
	v_add_nc_u32_e32 v26, v26, v5
	v_cndmask_b32_e32 v24, v24, v23, vcc_lo
	v_sub_nc_u32_e32 v25, v25, v7
	v_add_co_u32 v22, vcc_lo, v75, v8
	v_add_co_ci_u32_e32 v23, vcc_lo, 0, v76, vcc_lo
	s_delay_alu instid0(VALU_DEP_3)
	v_add_nc_u32_e32 v34, v26, v25
	v_cmp_eq_u32_e32 vcc_lo, 1, v37
	v_lshlrev_b32_e32 v24, 2, v24
	ds_store_b32 v9, v20
	v_sub_nc_u32_e32 v34, v33, v34
	ds_store_b32 v24, v21
	v_and_b32_e32 v24, 1, v39
	v_add_nc_u32_e32 v34, 2, v34
	s_delay_alu instid0(VALU_DEP_1) | instskip(SKIP_3) | instid1(VALU_DEP_4)
	v_cndmask_b32_e32 v26, v34, v26, vcc_lo
	v_cmp_eq_u32_e32 vcc_lo, 1, v36
	v_add_nc_u32_e32 v74, v27, v74
	v_sub_nc_u32_e32 v27, v27, v7
	v_cndmask_b32_e32 v25, v26, v25, vcc_lo
	s_delay_alu instid0(VALU_DEP_3) | instskip(NEXT) | instid1(VALU_DEP_3)
	v_sub_nc_u32_e32 v37, v74, v7
	v_add_nc_u32_e32 v34, v27, v28
	v_cmp_eq_u32_e32 vcc_lo, 1, v24
	v_sub_nc_u32_e32 v26, v73, v8
	v_lshlrev_b32_e32 v21, 2, v25
	v_and_b32_e32 v25, 1, v41
	v_sub_nc_u32_e32 v9, v33, v34
	v_add_nc_u32_e32 v20, v37, v29
	v_and_b32_e32 v24, 1, v42
	v_add_nc_u32_e32 v26, v26, v5
	ds_store_b32 v21, v18
	v_add_nc_u32_e32 v9, 3, v9
	v_sub_nc_u32_e32 v20, v33, v20
	s_delay_alu instid0(VALU_DEP_2) | instskip(SKIP_2) | instid1(VALU_DEP_4)
	v_cndmask_b32_e32 v9, v9, v28, vcc_lo
	v_cmp_eq_u32_e32 vcc_lo, 1, v25
	v_add_nc_u32_e32 v72, v74, v72
	v_add_nc_u32_e32 v20, 4, v20
	v_and_b32_e32 v25, 1, v43
	v_cndmask_b32_e32 v9, v9, v27, vcc_lo
	s_delay_alu instid0(VALU_DEP_4)
	v_sub_nc_u32_e32 v28, v72, v7
	v_cmp_eq_u32_e32 vcc_lo, 1, v24
	v_and_b32_e32 v24, 1, v44
	v_add_nc_u32_e32 v70, v72, v70
	v_lshlrev_b32_e32 v9, 2, v9
	v_add_nc_u32_e32 v27, v28, v26
	v_cndmask_b32_e32 v20, v20, v29, vcc_lo
	v_cmp_eq_u32_e32 vcc_lo, 1, v25
	v_and_b32_e32 v25, 1, v45
	v_add_nc_u32_e32 v64, v70, v64
	v_sub_nc_u32_e32 v18, v33, v27
	v_sub_nc_u32_e32 v27, v70, v7
	v_cndmask_b32_e32 v20, v20, v37, vcc_lo
	v_cmp_eq_u32_e32 vcc_lo, 1, v24
	ds_store_b32 v9, v19
	v_add_nc_u32_e32 v18, 5, v18
	v_and_b32_e32 v19, 1, v46
	v_lshlrev_b32_e32 v20, 2, v20
	v_add_nc_u32_e32 v68, v64, v68
	s_delay_alu instid0(VALU_DEP_4)
	v_cndmask_b32_e32 v18, v18, v26, vcc_lo
	v_cmp_eq_u32_e32 vcc_lo, 1, v25
	v_sub_nc_u32_e32 v25, v64, v7
	ds_store_b32 v20, v16
	v_and_b32_e32 v20, 1, v49
	v_add_nc_u32_e32 v66, v68, v66
	v_dual_cndmask_b32 v18, v18, v28 :: v_dual_add_nc_u32 v71, v73, v71
	v_cmp_eq_u32_e32 vcc_lo, 1, v19
	v_and_b32_e32 v19, 1, v48
	s_delay_alu instid0(VALU_DEP_4) | instskip(NEXT) | instid1(VALU_DEP_4)
	v_add_nc_u32_e32 v61, v66, v61
	v_lshlrev_b32_e32 v18, 2, v18
	v_add_nc_u32_e32 v65, v71, v65
	v_sub_nc_u32_e32 v21, v71, v8
	s_delay_alu instid0(VALU_DEP_4)
	v_add_nc_u32_e32 v60, v61, v60
	ds_store_b32 v18, v17
	v_sub_nc_u32_e32 v24, v65, v8
	v_add_nc_u32_e32 v21, v21, v5
	v_add_nc_u32_e32 v69, v65, v69
	v_and_b32_e32 v17, 1, v47
	s_delay_alu instid0(VALU_DEP_4) | instskip(NEXT) | instid1(VALU_DEP_4)
	v_add_nc_u32_e32 v24, v24, v5
	v_add_nc_u32_e32 v26, v27, v21
	s_delay_alu instid0(VALU_DEP_4) | instskip(NEXT) | instid1(VALU_DEP_3)
	v_sub_nc_u32_e32 v18, v69, v8
	v_add_nc_u32_e32 v16, v25, v24
	s_delay_alu instid0(VALU_DEP_3) | instskip(NEXT) | instid1(VALU_DEP_3)
	v_sub_nc_u32_e32 v9, v33, v26
	v_add_nc_u32_e32 v18, v18, v5
	v_sub_nc_u32_e32 v26, v60, v7
	s_delay_alu instid0(VALU_DEP_4) | instskip(NEXT) | instid1(VALU_DEP_4)
	v_sub_nc_u32_e32 v16, v33, v16
	v_add_nc_u32_e32 v9, 6, v9
	s_delay_alu instid0(VALU_DEP_1) | instskip(SKIP_2) | instid1(VALU_DEP_3)
	v_dual_cndmask_b32 v9, v9, v21 :: v_dual_add_nc_u32 v16, 7, v16
	v_cmp_eq_u32_e32 vcc_lo, 1, v19
	v_sub_nc_u32_e32 v21, v68, v7
	v_cndmask_b32_e32 v16, v16, v24, vcc_lo
	v_cmp_eq_u32_e32 vcc_lo, 1, v17
	s_delay_alu instid0(VALU_DEP_3) | instskip(SKIP_3) | instid1(VALU_DEP_4)
	v_add_nc_u32_e32 v17, v21, v18
	v_cndmask_b32_e32 v9, v9, v27, vcc_lo
	v_cmp_eq_u32_e32 vcc_lo, 1, v20
	v_add_nc_u32_e32 v67, v69, v67
	v_sub_nc_u32_e32 v17, v33, v17
	v_sub_nc_u32_e32 v20, v66, v7
	v_lshlrev_b32_e32 v9, 2, v9
	v_cndmask_b32_e32 v16, v16, v25, vcc_lo
	v_sub_nc_u32_e32 v19, v67, v8
	v_add_nc_u32_e32 v62, v67, v62
	v_sub_nc_u32_e32 v25, v61, v7
	ds_store_b32 v9, v14
	v_and_b32_e32 v9, 1, v50
	v_add_nc_u32_e32 v19, v19, v5
	v_add_nc_u32_e32 v14, 8, v17
	v_lshlrev_b32_e32 v16, 2, v16
	v_add_nc_u32_e32 v63, v62, v63
	v_cmp_eq_u32_e32 vcc_lo, 1, v9
	v_add_nc_u32_e32 v17, v20, v19
	ds_store_b32 v16, v15
	v_and_b32_e32 v15, 1, v51
	v_cndmask_b32_e32 v9, v14, v18, vcc_lo
	v_sub_nc_u32_e32 v14, v33, v17
	v_and_b32_e32 v18, 1, v52
	v_sub_nc_u32_e32 v17, v62, v8
	v_and_b32_e32 v16, 1, v54
	v_sub_nc_u32_e32 v24, v63, v8
	v_add_nc_u32_e32 v14, 9, v14
	v_cmp_eq_u32_e32 vcc_lo, 1, v18
	v_add_nc_u32_e32 v17, v17, v5
	v_add_nc_u32_e32 v35, v63, v59
	;; [unrolled: 1-line block ×3, first 2 shown]
	v_cndmask_b32_e32 v14, v14, v19, vcc_lo
	v_cmp_eq_u32_e32 vcc_lo, 1, v15
	v_add_nc_u32_e32 v15, v25, v17
	s_delay_alu instid0(VALU_DEP_4)
	v_add_nc_u32_e32 v18, v26, v24
	v_and_b32_e32 v19, 1, v55
	v_cndmask_b32_e32 v9, v9, v21, vcc_lo
	v_cmp_eq_u32_e32 vcc_lo, 1, v16
	v_sub_nc_u32_e32 v15, v33, v15
	v_sub_nc_u32_e32 v18, v33, v18
	v_and_b32_e32 v21, 1, v57
	v_sub_nc_u32_e32 v16, v35, v8
	v_cndmask_b32_e32 v14, v14, v20, vcc_lo
	v_and_b32_e32 v20, 1, v53
	v_add_nc_u32_e32 v15, 10, v15
	v_add_nc_u32_e32 v18, 11, v18
	;; [unrolled: 1-line block ×3, first 2 shown]
	v_lshlrev_b32_e32 v9, 2, v9
	v_cmp_eq_u32_e32 vcc_lo, 1, v20
	v_dual_cndmask_b32 v15, v15, v17 :: v_dual_lshlrev_b32 v14, 2, v14
	v_cmp_eq_u32_e32 vcc_lo, 1, v21
	v_and_b32_e32 v17, 1, v56
	v_cndmask_b32_e32 v18, v18, v24, vcc_lo
	v_cmp_eq_u32_e32 vcc_lo, 1, v19
	v_cndmask_b32_e32 v15, v15, v25, vcc_lo
	s_delay_alu instid0(VALU_DEP_4) | instskip(NEXT) | instid1(VALU_DEP_2)
	v_cmp_eq_u32_e32 vcc_lo, 1, v17
	v_lshlrev_b32_e32 v15, 2, v15
	v_cndmask_b32_e32 v17, v18, v26, vcc_lo
	v_add_nc_u32_e32 v40, v60, v58
	s_delay_alu instid0(VALU_DEP_2) | instskip(NEXT) | instid1(VALU_DEP_2)
	v_lshlrev_b32_e32 v17, 2, v17
	v_sub_nc_u32_e32 v7, v40, v7
	ds_store_b32 v9, v12
	ds_store_b32 v14, v13
	;; [unrolled: 1-line block ×4, first 2 shown]
	v_add_co_u32 v9, s0, v6, v77
	s_delay_alu instid0(VALU_DEP_1) | instskip(SKIP_1) | instid1(VALU_DEP_3)
	v_add_co_ci_u32_e64 v10, null, 0, 0, s0
	v_add_nc_u32_e32 v27, v7, v16
	v_add_co_u32 v9, vcc_lo, v9, v22
	s_delay_alu instid0(VALU_DEP_3) | instskip(NEXT) | instid1(VALU_DEP_3)
	v_add_co_ci_u32_e32 v10, vcc_lo, v10, v23, vcc_lo
	v_sub_nc_u32_e32 v20, v33, v27
	v_add_co_u32 v11, s0, s34, v30
	s_delay_alu instid0(VALU_DEP_4) | instskip(NEXT) | instid1(VALU_DEP_3)
	v_add_co_u32 v9, vcc_lo, v9, v1
	v_add_nc_u32_e32 v18, 12, v20
	v_add_co_ci_u32_e64 v12, null, s35, 0, s0
	v_add_co_ci_u32_e32 v10, vcc_lo, v10, v2, vcc_lo
	s_delay_alu instid0(VALU_DEP_3) | instskip(SKIP_1) | instid1(VALU_DEP_2)
	v_cndmask_b32_e64 v16, v18, v16, s33
	v_add_nc_u32_e32 v14, v5, v6
	v_cndmask_b32_e64 v7, v16, v7, s27
	s_delay_alu instid0(VALU_DEP_1)
	v_lshlrev_b32_e32 v7, 2, v7
	ds_store_b32 v7, v32
	v_sub_co_u32 v7, vcc_lo, v11, v9
	v_sub_co_ci_u32_e32 v13, vcc_lo, v12, v10, vcc_lo
	v_lshlrev_b64 v[9:10], 2, v[22:23]
	v_lshlrev_b64 v[11:12], 2, v[1:2]
	s_waitcnt lgkmcnt(0)
	s_barrier
	buffer_gl0_inv
	v_add_co_u32 v9, vcc_lo, s30, v9
	v_add_co_ci_u32_e32 v10, vcc_lo, s31, v10, vcc_lo
	v_cmp_ne_u32_e32 vcc_lo, 1, v31
	v_add_co_u32 v11, s0, s28, v11
	s_delay_alu instid0(VALU_DEP_1)
	v_add_co_ci_u32_e64 v12, s0, s29, v12, s0
	s_addc_u32 s0, s15, -1
	s_cbranch_vccz .LBB1068_137
; %bb.134:
	s_and_b32 vcc_lo, exec_lo, s3
	s_cbranch_vccnz .LBB1068_242
.LBB1068_135:
	s_and_b32 s0, s2, s13
	s_delay_alu instid0(SALU_CYCLE_1)
	s_and_saveexec_b32 s1, s0
	s_cbranch_execnz .LBB1068_360
.LBB1068_136:
	s_nop 0
	s_sendmsg sendmsg(MSG_DEALLOC_VGPRS)
	s_endpgm
.LBB1068_137:
	s_mov_b32 s3, exec_lo
	v_cmpx_le_u32_e64 v5, v0
	s_xor_b32 s3, exec_lo, s3
	s_cbranch_execz .LBB1068_143
; %bb.138:
	s_mov_b32 s5, exec_lo
	v_cmpx_le_u32_e64 v14, v0
	s_xor_b32 s5, exec_lo, s5
	s_cbranch_execz .LBB1068_140
; %bb.139:
	v_lshlrev_b32_e32 v15, 2, v0
	ds_load_b32 v17, v15
	v_add_co_u32 v15, vcc_lo, v7, v0
	v_add_co_ci_u32_e32 v16, vcc_lo, 0, v13, vcc_lo
	s_delay_alu instid0(VALU_DEP_1) | instskip(NEXT) | instid1(VALU_DEP_1)
	v_lshlrev_b64 v[15:16], 2, v[15:16]
	v_sub_co_u32 v15, vcc_lo, s14, v15
	s_delay_alu instid0(VALU_DEP_2)
	v_sub_co_ci_u32_e32 v16, vcc_lo, s15, v16, vcc_lo
	s_waitcnt lgkmcnt(0)
	global_store_b32 v[15:16], v17, off offset:-4
.LBB1068_140:
	s_and_not1_saveexec_b32 s5, s5
	s_cbranch_execz .LBB1068_142
; %bb.141:
	v_lshlrev_b32_e32 v15, 2, v0
	v_readfirstlane_b32 s6, v9
	v_readfirstlane_b32 s7, v10
	ds_load_b32 v16, v15
	s_waitcnt lgkmcnt(0)
	global_store_b32 v15, v16, s[6:7]
.LBB1068_142:
	s_or_b32 exec_lo, exec_lo, s5
.LBB1068_143:
	s_and_not1_saveexec_b32 s3, s3
	s_cbranch_execz .LBB1068_145
; %bb.144:
	v_lshlrev_b32_e32 v15, 2, v0
	v_readfirstlane_b32 s6, v11
	v_readfirstlane_b32 s7, v12
	ds_load_b32 v16, v15
	s_waitcnt lgkmcnt(0)
	global_store_b32 v15, v16, s[6:7]
.LBB1068_145:
	s_or_b32 exec_lo, exec_lo, s3
	v_or_b32_e32 v15, 0x100, v0
	s_mov_b32 s3, exec_lo
	s_delay_alu instid0(VALU_DEP_1)
	v_cmpx_le_u32_e64 v5, v15
	s_xor_b32 s3, exec_lo, s3
	s_cbranch_execz .LBB1068_151
; %bb.146:
	s_mov_b32 s5, exec_lo
	v_cmpx_le_u32_e64 v14, v15
	s_xor_b32 s5, exec_lo, s5
	s_cbranch_execz .LBB1068_148
; %bb.147:
	v_lshlrev_b32_e32 v15, 2, v0
	ds_load_b32 v17, v15 offset:1024
	v_add_co_u32 v15, vcc_lo, v7, v0
	v_add_co_ci_u32_e32 v16, vcc_lo, 0, v13, vcc_lo
	s_delay_alu instid0(VALU_DEP_1) | instskip(NEXT) | instid1(VALU_DEP_1)
	v_lshlrev_b64 v[15:16], 2, v[15:16]
	v_sub_co_u32 v15, vcc_lo, s1, v15
	s_delay_alu instid0(VALU_DEP_2)
	v_sub_co_ci_u32_e32 v16, vcc_lo, s0, v16, vcc_lo
	s_waitcnt lgkmcnt(0)
	global_store_b32 v[15:16], v17, off offset:-1024
.LBB1068_148:
	s_and_not1_saveexec_b32 s5, s5
	s_cbranch_execz .LBB1068_150
; %bb.149:
	v_lshlrev_b32_e32 v15, 2, v0
	v_readfirstlane_b32 s6, v9
	v_readfirstlane_b32 s7, v10
	ds_load_b32 v16, v15 offset:1024
	s_waitcnt lgkmcnt(0)
	global_store_b32 v15, v16, s[6:7] offset:1024
.LBB1068_150:
	s_or_b32 exec_lo, exec_lo, s5
.LBB1068_151:
	s_and_not1_saveexec_b32 s3, s3
	s_cbranch_execz .LBB1068_153
; %bb.152:
	v_lshlrev_b32_e32 v15, 2, v0
	v_readfirstlane_b32 s6, v11
	v_readfirstlane_b32 s7, v12
	ds_load_b32 v16, v15 offset:1024
	s_waitcnt lgkmcnt(0)
	global_store_b32 v15, v16, s[6:7] offset:1024
.LBB1068_153:
	s_or_b32 exec_lo, exec_lo, s3
	v_or_b32_e32 v15, 0x200, v0
	s_mov_b32 s3, exec_lo
	s_delay_alu instid0(VALU_DEP_1)
	v_cmpx_le_u32_e64 v5, v15
	s_xor_b32 s3, exec_lo, s3
	s_cbranch_execz .LBB1068_159
; %bb.154:
	s_mov_b32 s5, exec_lo
	v_cmpx_le_u32_e64 v14, v15
	s_xor_b32 s5, exec_lo, s5
	s_cbranch_execz .LBB1068_156
; %bb.155:
	v_lshlrev_b32_e32 v15, 2, v0
	ds_load_b32 v17, v15 offset:2048
	v_add_co_u32 v15, vcc_lo, v7, v0
	v_add_co_ci_u32_e32 v16, vcc_lo, 0, v13, vcc_lo
	s_delay_alu instid0(VALU_DEP_1) | instskip(NEXT) | instid1(VALU_DEP_1)
	v_lshlrev_b64 v[15:16], 2, v[15:16]
	v_sub_co_u32 v15, vcc_lo, s1, v15
	s_delay_alu instid0(VALU_DEP_2)
	v_sub_co_ci_u32_e32 v16, vcc_lo, s0, v16, vcc_lo
	s_waitcnt lgkmcnt(0)
	global_store_b32 v[15:16], v17, off offset:-2048
.LBB1068_156:
	s_and_not1_saveexec_b32 s5, s5
	s_cbranch_execz .LBB1068_158
; %bb.157:
	v_lshlrev_b32_e32 v15, 2, v0
	v_readfirstlane_b32 s6, v9
	v_readfirstlane_b32 s7, v10
	ds_load_b32 v16, v15 offset:2048
	s_waitcnt lgkmcnt(0)
	global_store_b32 v15, v16, s[6:7] offset:2048
.LBB1068_158:
	s_or_b32 exec_lo, exec_lo, s5
.LBB1068_159:
	s_and_not1_saveexec_b32 s3, s3
	s_cbranch_execz .LBB1068_161
; %bb.160:
	v_lshlrev_b32_e32 v15, 2, v0
	v_readfirstlane_b32 s6, v11
	v_readfirstlane_b32 s7, v12
	ds_load_b32 v16, v15 offset:2048
	s_waitcnt lgkmcnt(0)
	global_store_b32 v15, v16, s[6:7] offset:2048
.LBB1068_161:
	s_or_b32 exec_lo, exec_lo, s3
	v_or_b32_e32 v15, 0x300, v0
	s_mov_b32 s3, exec_lo
	s_delay_alu instid0(VALU_DEP_1)
	v_cmpx_le_u32_e64 v5, v15
	s_xor_b32 s3, exec_lo, s3
	s_cbranch_execz .LBB1068_167
; %bb.162:
	s_mov_b32 s5, exec_lo
	v_cmpx_le_u32_e64 v14, v15
	s_xor_b32 s5, exec_lo, s5
	s_cbranch_execz .LBB1068_164
; %bb.163:
	v_lshlrev_b32_e32 v15, 2, v0
	ds_load_b32 v17, v15 offset:3072
	v_add_co_u32 v15, vcc_lo, v7, v0
	v_add_co_ci_u32_e32 v16, vcc_lo, 0, v13, vcc_lo
	s_delay_alu instid0(VALU_DEP_1) | instskip(NEXT) | instid1(VALU_DEP_1)
	v_lshlrev_b64 v[15:16], 2, v[15:16]
	v_sub_co_u32 v15, vcc_lo, s1, v15
	s_delay_alu instid0(VALU_DEP_2)
	v_sub_co_ci_u32_e32 v16, vcc_lo, s0, v16, vcc_lo
	s_waitcnt lgkmcnt(0)
	global_store_b32 v[15:16], v17, off offset:-3072
.LBB1068_164:
	s_and_not1_saveexec_b32 s5, s5
	s_cbranch_execz .LBB1068_166
; %bb.165:
	v_lshlrev_b32_e32 v15, 2, v0
	v_readfirstlane_b32 s6, v9
	v_readfirstlane_b32 s7, v10
	ds_load_b32 v16, v15 offset:3072
	s_waitcnt lgkmcnt(0)
	global_store_b32 v15, v16, s[6:7] offset:3072
.LBB1068_166:
	s_or_b32 exec_lo, exec_lo, s5
.LBB1068_167:
	s_and_not1_saveexec_b32 s3, s3
	s_cbranch_execz .LBB1068_169
; %bb.168:
	v_lshlrev_b32_e32 v15, 2, v0
	v_readfirstlane_b32 s6, v11
	v_readfirstlane_b32 s7, v12
	ds_load_b32 v16, v15 offset:3072
	s_waitcnt lgkmcnt(0)
	global_store_b32 v15, v16, s[6:7] offset:3072
.LBB1068_169:
	s_or_b32 exec_lo, exec_lo, s3
	v_or_b32_e32 v15, 0x400, v0
	s_mov_b32 s3, exec_lo
	s_delay_alu instid0(VALU_DEP_1)
	v_cmpx_le_u32_e64 v5, v15
	s_xor_b32 s3, exec_lo, s3
	s_cbranch_execz .LBB1068_175
; %bb.170:
	s_mov_b32 s5, exec_lo
	v_cmpx_le_u32_e64 v14, v15
	s_xor_b32 s5, exec_lo, s5
	s_cbranch_execz .LBB1068_172
; %bb.171:
	v_lshlrev_b32_e32 v15, 2, v0
	ds_load_b32 v17, v15 offset:4096
	v_add_co_u32 v15, vcc_lo, v7, v0
	v_add_co_ci_u32_e32 v16, vcc_lo, 0, v13, vcc_lo
	s_delay_alu instid0(VALU_DEP_1) | instskip(NEXT) | instid1(VALU_DEP_1)
	v_lshlrev_b64 v[15:16], 2, v[15:16]
	v_sub_co_u32 v15, vcc_lo, s1, v15
	s_delay_alu instid0(VALU_DEP_2)
	v_sub_co_ci_u32_e32 v16, vcc_lo, s0, v16, vcc_lo
	s_waitcnt lgkmcnt(0)
	global_store_b32 v[15:16], v17, off offset:-4096
                                        ; implicit-def: $vgpr15
.LBB1068_172:
	s_and_not1_saveexec_b32 s5, s5
	s_cbranch_execz .LBB1068_174
; %bb.173:
	v_lshlrev_b32_e32 v16, 2, v0
	v_lshlrev_b32_e32 v15, 2, v15
	v_readfirstlane_b32 s6, v9
	v_readfirstlane_b32 s7, v10
	ds_load_b32 v16, v16 offset:4096
	s_waitcnt lgkmcnt(0)
	global_store_b32 v15, v16, s[6:7]
.LBB1068_174:
	s_or_b32 exec_lo, exec_lo, s5
                                        ; implicit-def: $vgpr15
.LBB1068_175:
	s_and_not1_saveexec_b32 s3, s3
	s_cbranch_execz .LBB1068_177
; %bb.176:
	v_lshlrev_b32_e32 v16, 2, v0
	v_lshlrev_b32_e32 v15, 2, v15
	v_readfirstlane_b32 s6, v11
	v_readfirstlane_b32 s7, v12
	ds_load_b32 v16, v16 offset:4096
	s_waitcnt lgkmcnt(0)
	global_store_b32 v15, v16, s[6:7]
.LBB1068_177:
	s_or_b32 exec_lo, exec_lo, s3
	v_or_b32_e32 v15, 0x500, v0
	s_mov_b32 s3, exec_lo
	s_delay_alu instid0(VALU_DEP_1)
	v_cmpx_le_u32_e64 v5, v15
	s_xor_b32 s3, exec_lo, s3
	s_cbranch_execz .LBB1068_183
; %bb.178:
	s_mov_b32 s5, exec_lo
	v_cmpx_le_u32_e64 v14, v15
	s_xor_b32 s5, exec_lo, s5
	s_cbranch_execz .LBB1068_180
; %bb.179:
	v_lshlrev_b32_e32 v16, 2, v0
	v_add_co_u32 v15, vcc_lo, v7, v15
	ds_load_b32 v17, v16 offset:5120
	v_add_co_ci_u32_e32 v16, vcc_lo, 0, v13, vcc_lo
	s_delay_alu instid0(VALU_DEP_1) | instskip(NEXT) | instid1(VALU_DEP_1)
	v_lshlrev_b64 v[15:16], 2, v[15:16]
	v_sub_co_u32 v15, vcc_lo, s1, v15
	s_delay_alu instid0(VALU_DEP_2)
	v_sub_co_ci_u32_e32 v16, vcc_lo, s0, v16, vcc_lo
	s_waitcnt lgkmcnt(0)
	global_store_b32 v[15:16], v17, off
                                        ; implicit-def: $vgpr15
.LBB1068_180:
	s_and_not1_saveexec_b32 s5, s5
	s_cbranch_execz .LBB1068_182
; %bb.181:
	v_lshlrev_b32_e32 v16, 2, v0
	v_lshlrev_b32_e32 v15, 2, v15
	v_readfirstlane_b32 s6, v9
	v_readfirstlane_b32 s7, v10
	ds_load_b32 v16, v16 offset:5120
	s_waitcnt lgkmcnt(0)
	global_store_b32 v15, v16, s[6:7]
.LBB1068_182:
	s_or_b32 exec_lo, exec_lo, s5
                                        ; implicit-def: $vgpr15
.LBB1068_183:
	s_and_not1_saveexec_b32 s3, s3
	s_cbranch_execz .LBB1068_185
; %bb.184:
	v_lshlrev_b32_e32 v16, 2, v0
	v_lshlrev_b32_e32 v15, 2, v15
	v_readfirstlane_b32 s6, v11
	v_readfirstlane_b32 s7, v12
	ds_load_b32 v16, v16 offset:5120
	s_waitcnt lgkmcnt(0)
	global_store_b32 v15, v16, s[6:7]
.LBB1068_185:
	s_or_b32 exec_lo, exec_lo, s3
	v_or_b32_e32 v15, 0x600, v0
	s_mov_b32 s3, exec_lo
	s_delay_alu instid0(VALU_DEP_1)
	v_cmpx_le_u32_e64 v5, v15
	s_xor_b32 s3, exec_lo, s3
	s_cbranch_execz .LBB1068_191
; %bb.186:
	s_mov_b32 s5, exec_lo
	v_cmpx_le_u32_e64 v14, v15
	s_xor_b32 s5, exec_lo, s5
	s_cbranch_execz .LBB1068_188
; %bb.187:
	v_lshlrev_b32_e32 v16, 2, v0
	v_add_co_u32 v15, vcc_lo, v7, v15
	ds_load_b32 v17, v16 offset:6144
	v_add_co_ci_u32_e32 v16, vcc_lo, 0, v13, vcc_lo
	s_delay_alu instid0(VALU_DEP_1) | instskip(NEXT) | instid1(VALU_DEP_1)
	v_lshlrev_b64 v[15:16], 2, v[15:16]
	v_sub_co_u32 v15, vcc_lo, s1, v15
	s_delay_alu instid0(VALU_DEP_2)
	v_sub_co_ci_u32_e32 v16, vcc_lo, s0, v16, vcc_lo
	s_waitcnt lgkmcnt(0)
	global_store_b32 v[15:16], v17, off
                                        ; implicit-def: $vgpr15
.LBB1068_188:
	s_and_not1_saveexec_b32 s5, s5
	s_cbranch_execz .LBB1068_190
; %bb.189:
	v_lshlrev_b32_e32 v16, 2, v0
	v_lshlrev_b32_e32 v15, 2, v15
	v_readfirstlane_b32 s6, v9
	v_readfirstlane_b32 s7, v10
	ds_load_b32 v16, v16 offset:6144
	s_waitcnt lgkmcnt(0)
	global_store_b32 v15, v16, s[6:7]
.LBB1068_190:
	s_or_b32 exec_lo, exec_lo, s5
                                        ; implicit-def: $vgpr15
.LBB1068_191:
	;; [unrolled: 51-line block ×8, first 2 shown]
	s_and_not1_saveexec_b32 s3, s3
	s_cbranch_execz .LBB1068_241
; %bb.240:
	v_lshlrev_b32_e32 v16, 2, v0
	v_lshlrev_b32_e32 v15, 2, v15
	v_readfirstlane_b32 s6, v11
	v_readfirstlane_b32 s7, v12
	ds_load_b32 v16, v16 offset:12288
	s_waitcnt lgkmcnt(0)
	global_store_b32 v15, v16, s[6:7]
.LBB1068_241:
	s_or_b32 exec_lo, exec_lo, s3
	s_branch .LBB1068_135
.LBB1068_242:
	s_mov_b32 s3, exec_lo
	v_cmpx_gt_u32_e64 s4, v0
	s_cbranch_execz .LBB1068_251
; %bb.243:
	s_mov_b32 s5, exec_lo
	v_cmpx_le_u32_e64 v5, v0
	s_xor_b32 s5, exec_lo, s5
	s_cbranch_execz .LBB1068_249
; %bb.244:
	s_mov_b32 s6, exec_lo
	v_cmpx_le_u32_e64 v14, v0
	s_xor_b32 s6, exec_lo, s6
	s_cbranch_execz .LBB1068_246
; %bb.245:
	v_lshlrev_b32_e32 v15, 2, v0
	ds_load_b32 v17, v15
	v_add_co_u32 v15, vcc_lo, v7, v0
	v_add_co_ci_u32_e32 v16, vcc_lo, 0, v13, vcc_lo
	s_delay_alu instid0(VALU_DEP_1) | instskip(NEXT) | instid1(VALU_DEP_1)
	v_lshlrev_b64 v[15:16], 2, v[15:16]
	v_sub_co_u32 v15, vcc_lo, s14, v15
	s_delay_alu instid0(VALU_DEP_2)
	v_sub_co_ci_u32_e32 v16, vcc_lo, s15, v16, vcc_lo
	s_waitcnt lgkmcnt(0)
	global_store_b32 v[15:16], v17, off offset:-4
.LBB1068_246:
	s_and_not1_saveexec_b32 s6, s6
	s_cbranch_execz .LBB1068_248
; %bb.247:
	v_lshlrev_b32_e32 v15, 2, v0
	v_readfirstlane_b32 s8, v9
	v_readfirstlane_b32 s9, v10
	ds_load_b32 v16, v15
	s_waitcnt lgkmcnt(0)
	global_store_b32 v15, v16, s[8:9]
.LBB1068_248:
	s_or_b32 exec_lo, exec_lo, s6
.LBB1068_249:
	s_and_not1_saveexec_b32 s5, s5
	s_cbranch_execz .LBB1068_251
; %bb.250:
	v_lshlrev_b32_e32 v15, 2, v0
	v_readfirstlane_b32 s6, v11
	v_readfirstlane_b32 s7, v12
	ds_load_b32 v16, v15
	s_waitcnt lgkmcnt(0)
	global_store_b32 v15, v16, s[6:7]
.LBB1068_251:
	s_or_b32 exec_lo, exec_lo, s3
	v_or_b32_e32 v15, 0x100, v0
	s_mov_b32 s3, exec_lo
	s_delay_alu instid0(VALU_DEP_1)
	v_cmpx_gt_u32_e64 s4, v15
	s_cbranch_execz .LBB1068_260
; %bb.252:
	s_mov_b32 s5, exec_lo
	v_cmpx_le_u32_e64 v5, v15
	s_xor_b32 s5, exec_lo, s5
	s_cbranch_execz .LBB1068_258
; %bb.253:
	s_mov_b32 s6, exec_lo
	v_cmpx_le_u32_e64 v14, v15
	s_xor_b32 s6, exec_lo, s6
	s_cbranch_execz .LBB1068_255
; %bb.254:
	v_lshlrev_b32_e32 v15, 2, v0
	ds_load_b32 v17, v15 offset:1024
	v_add_co_u32 v15, vcc_lo, v7, v0
	v_add_co_ci_u32_e32 v16, vcc_lo, 0, v13, vcc_lo
	s_delay_alu instid0(VALU_DEP_1) | instskip(NEXT) | instid1(VALU_DEP_1)
	v_lshlrev_b64 v[15:16], 2, v[15:16]
	v_sub_co_u32 v15, vcc_lo, s1, v15
	s_delay_alu instid0(VALU_DEP_2)
	v_sub_co_ci_u32_e32 v16, vcc_lo, s0, v16, vcc_lo
	s_waitcnt lgkmcnt(0)
	global_store_b32 v[15:16], v17, off offset:-1024
.LBB1068_255:
	s_and_not1_saveexec_b32 s6, s6
	s_cbranch_execz .LBB1068_257
; %bb.256:
	v_lshlrev_b32_e32 v15, 2, v0
	v_readfirstlane_b32 s8, v9
	v_readfirstlane_b32 s9, v10
	ds_load_b32 v16, v15 offset:1024
	s_waitcnt lgkmcnt(0)
	global_store_b32 v15, v16, s[8:9] offset:1024
.LBB1068_257:
	s_or_b32 exec_lo, exec_lo, s6
.LBB1068_258:
	s_and_not1_saveexec_b32 s5, s5
	s_cbranch_execz .LBB1068_260
; %bb.259:
	v_lshlrev_b32_e32 v15, 2, v0
	v_readfirstlane_b32 s6, v11
	v_readfirstlane_b32 s7, v12
	ds_load_b32 v16, v15 offset:1024
	s_waitcnt lgkmcnt(0)
	global_store_b32 v15, v16, s[6:7] offset:1024
.LBB1068_260:
	s_or_b32 exec_lo, exec_lo, s3
	v_or_b32_e32 v15, 0x200, v0
	s_mov_b32 s3, exec_lo
	s_delay_alu instid0(VALU_DEP_1)
	v_cmpx_gt_u32_e64 s4, v15
	s_cbranch_execz .LBB1068_269
; %bb.261:
	s_mov_b32 s5, exec_lo
	v_cmpx_le_u32_e64 v5, v15
	s_xor_b32 s5, exec_lo, s5
	s_cbranch_execz .LBB1068_267
; %bb.262:
	s_mov_b32 s6, exec_lo
	v_cmpx_le_u32_e64 v14, v15
	s_xor_b32 s6, exec_lo, s6
	s_cbranch_execz .LBB1068_264
; %bb.263:
	v_lshlrev_b32_e32 v15, 2, v0
	ds_load_b32 v17, v15 offset:2048
	v_add_co_u32 v15, vcc_lo, v7, v0
	v_add_co_ci_u32_e32 v16, vcc_lo, 0, v13, vcc_lo
	s_delay_alu instid0(VALU_DEP_1) | instskip(NEXT) | instid1(VALU_DEP_1)
	v_lshlrev_b64 v[15:16], 2, v[15:16]
	v_sub_co_u32 v15, vcc_lo, s1, v15
	s_delay_alu instid0(VALU_DEP_2)
	v_sub_co_ci_u32_e32 v16, vcc_lo, s0, v16, vcc_lo
	s_waitcnt lgkmcnt(0)
	global_store_b32 v[15:16], v17, off offset:-2048
.LBB1068_264:
	s_and_not1_saveexec_b32 s6, s6
	s_cbranch_execz .LBB1068_266
; %bb.265:
	v_lshlrev_b32_e32 v15, 2, v0
	v_readfirstlane_b32 s8, v9
	v_readfirstlane_b32 s9, v10
	ds_load_b32 v16, v15 offset:2048
	s_waitcnt lgkmcnt(0)
	global_store_b32 v15, v16, s[8:9] offset:2048
.LBB1068_266:
	s_or_b32 exec_lo, exec_lo, s6
.LBB1068_267:
	s_and_not1_saveexec_b32 s5, s5
	s_cbranch_execz .LBB1068_269
; %bb.268:
	v_lshlrev_b32_e32 v15, 2, v0
	v_readfirstlane_b32 s6, v11
	v_readfirstlane_b32 s7, v12
	ds_load_b32 v16, v15 offset:2048
	s_waitcnt lgkmcnt(0)
	global_store_b32 v15, v16, s[6:7] offset:2048
.LBB1068_269:
	;; [unrolled: 51-line block ×3, first 2 shown]
	s_or_b32 exec_lo, exec_lo, s3
	v_or_b32_e32 v15, 0x400, v0
	s_mov_b32 s3, exec_lo
	s_delay_alu instid0(VALU_DEP_1)
	v_cmpx_gt_u32_e64 s4, v15
	s_cbranch_execz .LBB1068_287
; %bb.279:
	s_mov_b32 s5, exec_lo
	v_cmpx_le_u32_e64 v5, v15
	s_xor_b32 s5, exec_lo, s5
	s_cbranch_execz .LBB1068_285
; %bb.280:
	s_mov_b32 s6, exec_lo
	v_cmpx_le_u32_e64 v14, v15
	s_xor_b32 s6, exec_lo, s6
	s_cbranch_execz .LBB1068_282
; %bb.281:
	v_lshlrev_b32_e32 v15, 2, v0
	ds_load_b32 v17, v15 offset:4096
	v_add_co_u32 v15, vcc_lo, v7, v0
	v_add_co_ci_u32_e32 v16, vcc_lo, 0, v13, vcc_lo
	s_delay_alu instid0(VALU_DEP_1) | instskip(NEXT) | instid1(VALU_DEP_1)
	v_lshlrev_b64 v[15:16], 2, v[15:16]
	v_sub_co_u32 v15, vcc_lo, s1, v15
	s_delay_alu instid0(VALU_DEP_2)
	v_sub_co_ci_u32_e32 v16, vcc_lo, s0, v16, vcc_lo
	s_waitcnt lgkmcnt(0)
	global_store_b32 v[15:16], v17, off offset:-4096
                                        ; implicit-def: $vgpr15
.LBB1068_282:
	s_and_not1_saveexec_b32 s6, s6
	s_cbranch_execz .LBB1068_284
; %bb.283:
	v_lshlrev_b32_e32 v16, 2, v0
	v_lshlrev_b32_e32 v15, 2, v15
	v_readfirstlane_b32 s8, v9
	v_readfirstlane_b32 s9, v10
	ds_load_b32 v16, v16 offset:4096
	s_waitcnt lgkmcnt(0)
	global_store_b32 v15, v16, s[8:9]
.LBB1068_284:
	s_or_b32 exec_lo, exec_lo, s6
                                        ; implicit-def: $vgpr15
.LBB1068_285:
	s_and_not1_saveexec_b32 s5, s5
	s_cbranch_execz .LBB1068_287
; %bb.286:
	v_lshlrev_b32_e32 v16, 2, v0
	v_lshlrev_b32_e32 v15, 2, v15
	v_readfirstlane_b32 s6, v11
	v_readfirstlane_b32 s7, v12
	ds_load_b32 v16, v16 offset:4096
	s_waitcnt lgkmcnt(0)
	global_store_b32 v15, v16, s[6:7]
.LBB1068_287:
	s_or_b32 exec_lo, exec_lo, s3
	v_or_b32_e32 v15, 0x500, v0
	s_mov_b32 s3, exec_lo
	s_delay_alu instid0(VALU_DEP_1)
	v_cmpx_gt_u32_e64 s4, v15
	s_cbranch_execz .LBB1068_296
; %bb.288:
	s_mov_b32 s5, exec_lo
	v_cmpx_le_u32_e64 v5, v15
	s_xor_b32 s5, exec_lo, s5
	s_cbranch_execz .LBB1068_294
; %bb.289:
	s_mov_b32 s6, exec_lo
	v_cmpx_le_u32_e64 v14, v15
	s_xor_b32 s6, exec_lo, s6
	s_cbranch_execz .LBB1068_291
; %bb.290:
	v_lshlrev_b32_e32 v16, 2, v0
	v_add_co_u32 v15, vcc_lo, v7, v15
	ds_load_b32 v17, v16 offset:5120
	v_add_co_ci_u32_e32 v16, vcc_lo, 0, v13, vcc_lo
	s_delay_alu instid0(VALU_DEP_1) | instskip(NEXT) | instid1(VALU_DEP_1)
	v_lshlrev_b64 v[15:16], 2, v[15:16]
	v_sub_co_u32 v15, vcc_lo, s1, v15
	s_delay_alu instid0(VALU_DEP_2)
	v_sub_co_ci_u32_e32 v16, vcc_lo, s0, v16, vcc_lo
	s_waitcnt lgkmcnt(0)
	global_store_b32 v[15:16], v17, off
                                        ; implicit-def: $vgpr15
.LBB1068_291:
	s_and_not1_saveexec_b32 s6, s6
	s_cbranch_execz .LBB1068_293
; %bb.292:
	v_lshlrev_b32_e32 v16, 2, v0
	v_lshlrev_b32_e32 v15, 2, v15
	v_readfirstlane_b32 s8, v9
	v_readfirstlane_b32 s9, v10
	ds_load_b32 v16, v16 offset:5120
	s_waitcnt lgkmcnt(0)
	global_store_b32 v15, v16, s[8:9]
.LBB1068_293:
	s_or_b32 exec_lo, exec_lo, s6
                                        ; implicit-def: $vgpr15
.LBB1068_294:
	s_and_not1_saveexec_b32 s5, s5
	s_cbranch_execz .LBB1068_296
; %bb.295:
	v_lshlrev_b32_e32 v16, 2, v0
	v_lshlrev_b32_e32 v15, 2, v15
	v_readfirstlane_b32 s6, v11
	v_readfirstlane_b32 s7, v12
	ds_load_b32 v16, v16 offset:5120
	s_waitcnt lgkmcnt(0)
	global_store_b32 v15, v16, s[6:7]
.LBB1068_296:
	s_or_b32 exec_lo, exec_lo, s3
	v_or_b32_e32 v15, 0x600, v0
	s_mov_b32 s3, exec_lo
	s_delay_alu instid0(VALU_DEP_1)
	v_cmpx_gt_u32_e64 s4, v15
	s_cbranch_execz .LBB1068_305
; %bb.297:
	s_mov_b32 s5, exec_lo
	v_cmpx_le_u32_e64 v5, v15
	s_xor_b32 s5, exec_lo, s5
	s_cbranch_execz .LBB1068_303
; %bb.298:
	s_mov_b32 s6, exec_lo
	v_cmpx_le_u32_e64 v14, v15
	s_xor_b32 s6, exec_lo, s6
	s_cbranch_execz .LBB1068_300
; %bb.299:
	v_lshlrev_b32_e32 v16, 2, v0
	v_add_co_u32 v15, vcc_lo, v7, v15
	ds_load_b32 v17, v16 offset:6144
	v_add_co_ci_u32_e32 v16, vcc_lo, 0, v13, vcc_lo
	s_delay_alu instid0(VALU_DEP_1) | instskip(NEXT) | instid1(VALU_DEP_1)
	v_lshlrev_b64 v[15:16], 2, v[15:16]
	v_sub_co_u32 v15, vcc_lo, s1, v15
	s_delay_alu instid0(VALU_DEP_2)
	v_sub_co_ci_u32_e32 v16, vcc_lo, s0, v16, vcc_lo
	s_waitcnt lgkmcnt(0)
	global_store_b32 v[15:16], v17, off
                                        ; implicit-def: $vgpr15
.LBB1068_300:
	s_and_not1_saveexec_b32 s6, s6
	s_cbranch_execz .LBB1068_302
; %bb.301:
	v_lshlrev_b32_e32 v16, 2, v0
	v_lshlrev_b32_e32 v15, 2, v15
	v_readfirstlane_b32 s8, v9
	v_readfirstlane_b32 s9, v10
	ds_load_b32 v16, v16 offset:6144
	s_waitcnt lgkmcnt(0)
	global_store_b32 v15, v16, s[8:9]
.LBB1068_302:
	s_or_b32 exec_lo, exec_lo, s6
                                        ; implicit-def: $vgpr15
.LBB1068_303:
	s_and_not1_saveexec_b32 s5, s5
	s_cbranch_execz .LBB1068_305
; %bb.304:
	v_lshlrev_b32_e32 v16, 2, v0
	v_lshlrev_b32_e32 v15, 2, v15
	v_readfirstlane_b32 s6, v11
	v_readfirstlane_b32 s7, v12
	ds_load_b32 v16, v16 offset:6144
	s_waitcnt lgkmcnt(0)
	global_store_b32 v15, v16, s[6:7]
.LBB1068_305:
	;; [unrolled: 55-line block ×7, first 2 shown]
	s_or_b32 exec_lo, exec_lo, s3
	v_or_b32_e32 v15, 0xc00, v0
	s_mov_b32 s3, exec_lo
	s_delay_alu instid0(VALU_DEP_1)
	v_cmpx_gt_u32_e64 s4, v15
	s_cbranch_execz .LBB1068_359
; %bb.351:
	s_mov_b32 s4, exec_lo
	v_cmpx_le_u32_e64 v5, v15
	s_xor_b32 s4, exec_lo, s4
	s_cbranch_execz .LBB1068_357
; %bb.352:
	s_mov_b32 s5, exec_lo
	v_cmpx_le_u32_e64 v14, v15
	s_xor_b32 s5, exec_lo, s5
	s_cbranch_execz .LBB1068_354
; %bb.353:
	v_lshlrev_b32_e32 v0, 2, v0
	v_add_co_u32 v9, vcc_lo, v7, v15
	v_add_co_ci_u32_e32 v10, vcc_lo, 0, v13, vcc_lo
	ds_load_b32 v0, v0 offset:12288
                                        ; implicit-def: $vgpr15
	v_lshlrev_b64 v[9:10], 2, v[9:10]
	s_delay_alu instid0(VALU_DEP_1) | instskip(NEXT) | instid1(VALU_DEP_2)
	v_sub_co_u32 v9, vcc_lo, s1, v9
	v_sub_co_ci_u32_e32 v10, vcc_lo, s0, v10, vcc_lo
	s_waitcnt lgkmcnt(0)
	global_store_b32 v[9:10], v0, off
                                        ; implicit-def: $vgpr0
                                        ; implicit-def: $vgpr9_vgpr10
.LBB1068_354:
	s_and_not1_saveexec_b32 s0, s5
	s_cbranch_execz .LBB1068_356
; %bb.355:
	v_lshlrev_b32_e32 v0, 2, v0
	v_lshlrev_b32_e32 v7, 2, v15
	v_readfirstlane_b32 s6, v9
	v_readfirstlane_b32 s7, v10
	ds_load_b32 v0, v0 offset:12288
	s_waitcnt lgkmcnt(0)
	global_store_b32 v7, v0, s[6:7]
.LBB1068_356:
	s_or_b32 exec_lo, exec_lo, s0
                                        ; implicit-def: $vgpr0
                                        ; implicit-def: $vgpr15
                                        ; implicit-def: $vgpr11_vgpr12
.LBB1068_357:
	s_and_not1_saveexec_b32 s0, s4
	s_cbranch_execz .LBB1068_359
; %bb.358:
	v_lshlrev_b32_e32 v0, 2, v0
	v_lshlrev_b32_e32 v7, 2, v15
	v_readfirstlane_b32 s0, v11
	v_readfirstlane_b32 s1, v12
	ds_load_b32 v0, v0 offset:12288
	s_waitcnt lgkmcnt(0)
	global_store_b32 v7, v0, s[0:1]
.LBB1068_359:
	s_or_b32 exec_lo, exec_lo, s3
	s_and_b32 s0, s2, s13
	s_delay_alu instid0(SALU_CYCLE_1)
	s_and_saveexec_b32 s1, s0
	s_cbranch_execz .LBB1068_136
.LBB1068_360:
	v_add_co_u32 v3, vcc_lo, v3, v6
	v_add_co_ci_u32_e32 v4, vcc_lo, 0, v4, vcc_lo
	v_add_co_u32 v0, vcc_lo, v1, v5
	v_add_co_ci_u32_e32 v1, vcc_lo, 0, v2, vcc_lo
	s_delay_alu instid0(VALU_DEP_4)
	v_add_co_u32 v2, vcc_lo, v3, v8
	v_mov_b32_e32 v7, 0
	v_add_co_ci_u32_e32 v3, vcc_lo, 0, v4, vcc_lo
	global_store_b128 v7, v[0:3], s[24:25]
	s_nop 0
	s_sendmsg sendmsg(MSG_DEALLOC_VGPRS)
	s_endpgm
.LBB1068_361:
	v_add_nc_u32_e32 v7, s6, v27
	s_add_i32 s8, s26, 32
	s_mov_b32 s9, 0
	v_dual_mov_b32 v9, 0 :: v_dual_add_nc_u32 v6, v26, v5
	s_lshl_b64 s[8:9], s[8:9], 4
	v_and_b32_e32 v24, 0xff0000, v7
	s_add_u32 s8, s36, s8
	s_addc_u32 s9, s37, s9
	v_and_b32_e32 v8, 0xff000000, v7
	s_delay_alu instid0(VALU_DEP_1) | instskip(SKIP_2) | instid1(VALU_DEP_1)
	v_or_b32_e32 v24, v24, v8
	v_dual_mov_b32 v8, 2 :: v_dual_and_b32 v25, 0xff00, v7
	v_and_b32_e32 v7, 0xff, v7
	v_or3_b32 v7, v24, v25, v7
	v_dual_mov_b32 v25, s9 :: v_dual_mov_b32 v24, s8
	;;#ASMSTART
	global_store_dwordx4 v[24:25], v[6:9] off	
s_waitcnt vmcnt(0)
	;;#ASMEND
	s_or_b32 exec_lo, exec_lo, s7
	s_and_saveexec_b32 s7, s3
	s_cbranch_execz .LBB1068_120
.LBB1068_362:
	v_mov_b32_e32 v6, s6
	v_add_nc_u32_e64 v7, 0x3400, 0
	ds_store_2addr_b32 v7, v5, v6 offset1:2
	ds_store_2addr_b32 v7, v26, v27 offset0:4 offset1:6
	s_or_b32 exec_lo, exec_lo, s7
	s_delay_alu instid0(SALU_CYCLE_1)
	s_and_b32 exec_lo, exec_lo, s2
	s_cbranch_execnz .LBB1068_121
	s_branch .LBB1068_122
	.section	.rodata,"a",@progbits
	.p2align	6, 0x0
	.amdhsa_kernel _ZN7rocprim17ROCPRIM_400000_NS6detail17trampoline_kernelINS0_13select_configILj256ELj13ELNS0_17block_load_methodE3ELS4_3ELS4_3ELNS0_20block_scan_algorithmE0ELj4294967295EEENS1_25partition_config_selectorILNS1_17partition_subalgoE4EjNS0_10empty_typeEbEEZZNS1_14partition_implILS8_4ELb0ES6_15HIP_vector_typeIjLj2EENS0_17counting_iteratorIjlEEPS9_SG_NS0_5tupleIJPjSI_NS0_16reverse_iteratorISI_EEEEENSH_IJSG_SG_SG_EEES9_SI_JZNS1_25segmented_radix_sort_implINS0_14default_configELb1EPKdPdPKlPlN2at6native12_GLOBAL__N_18offset_tEEE10hipError_tPvRmT1_PNSt15iterator_traitsIS12_E10value_typeET2_T3_PNS13_IS18_E10value_typeET4_jRbjT5_S1E_jjP12ihipStream_tbEUljE_ZNSN_ISO_Lb1ESQ_SR_ST_SU_SY_EESZ_S10_S11_S12_S16_S17_S18_S1B_S1C_jS1D_jS1E_S1E_jjS1G_bEUljE0_EEESZ_S10_S11_S18_S1C_S1E_T6_T7_T9_mT8_S1G_bDpT10_ENKUlT_T0_E_clISt17integral_constantIbLb1EES1U_EEDaS1P_S1Q_EUlS1P_E_NS1_11comp_targetILNS1_3genE9ELNS1_11target_archE1100ELNS1_3gpuE3ELNS1_3repE0EEENS1_30default_config_static_selectorELNS0_4arch9wavefront6targetE0EEEvS12_
		.amdhsa_group_segment_fixed_size 13340
		.amdhsa_private_segment_fixed_size 0
		.amdhsa_kernarg_size 184
		.amdhsa_user_sgpr_count 15
		.amdhsa_user_sgpr_dispatch_ptr 0
		.amdhsa_user_sgpr_queue_ptr 0
		.amdhsa_user_sgpr_kernarg_segment_ptr 1
		.amdhsa_user_sgpr_dispatch_id 0
		.amdhsa_user_sgpr_private_segment_size 0
		.amdhsa_wavefront_size32 1
		.amdhsa_uses_dynamic_stack 0
		.amdhsa_enable_private_segment 0
		.amdhsa_system_sgpr_workgroup_id_x 1
		.amdhsa_system_sgpr_workgroup_id_y 0
		.amdhsa_system_sgpr_workgroup_id_z 0
		.amdhsa_system_sgpr_workgroup_info 0
		.amdhsa_system_vgpr_workitem_id 0
		.amdhsa_next_free_vgpr 103
		.amdhsa_next_free_sgpr 55
		.amdhsa_reserve_vcc 1
		.amdhsa_float_round_mode_32 0
		.amdhsa_float_round_mode_16_64 0
		.amdhsa_float_denorm_mode_32 3
		.amdhsa_float_denorm_mode_16_64 3
		.amdhsa_dx10_clamp 1
		.amdhsa_ieee_mode 1
		.amdhsa_fp16_overflow 0
		.amdhsa_workgroup_processor_mode 1
		.amdhsa_memory_ordered 1
		.amdhsa_forward_progress 0
		.amdhsa_shared_vgpr_count 0
		.amdhsa_exception_fp_ieee_invalid_op 0
		.amdhsa_exception_fp_denorm_src 0
		.amdhsa_exception_fp_ieee_div_zero 0
		.amdhsa_exception_fp_ieee_overflow 0
		.amdhsa_exception_fp_ieee_underflow 0
		.amdhsa_exception_fp_ieee_inexact 0
		.amdhsa_exception_int_div_zero 0
	.end_amdhsa_kernel
	.section	.text._ZN7rocprim17ROCPRIM_400000_NS6detail17trampoline_kernelINS0_13select_configILj256ELj13ELNS0_17block_load_methodE3ELS4_3ELS4_3ELNS0_20block_scan_algorithmE0ELj4294967295EEENS1_25partition_config_selectorILNS1_17partition_subalgoE4EjNS0_10empty_typeEbEEZZNS1_14partition_implILS8_4ELb0ES6_15HIP_vector_typeIjLj2EENS0_17counting_iteratorIjlEEPS9_SG_NS0_5tupleIJPjSI_NS0_16reverse_iteratorISI_EEEEENSH_IJSG_SG_SG_EEES9_SI_JZNS1_25segmented_radix_sort_implINS0_14default_configELb1EPKdPdPKlPlN2at6native12_GLOBAL__N_18offset_tEEE10hipError_tPvRmT1_PNSt15iterator_traitsIS12_E10value_typeET2_T3_PNS13_IS18_E10value_typeET4_jRbjT5_S1E_jjP12ihipStream_tbEUljE_ZNSN_ISO_Lb1ESQ_SR_ST_SU_SY_EESZ_S10_S11_S12_S16_S17_S18_S1B_S1C_jS1D_jS1E_S1E_jjS1G_bEUljE0_EEESZ_S10_S11_S18_S1C_S1E_T6_T7_T9_mT8_S1G_bDpT10_ENKUlT_T0_E_clISt17integral_constantIbLb1EES1U_EEDaS1P_S1Q_EUlS1P_E_NS1_11comp_targetILNS1_3genE9ELNS1_11target_archE1100ELNS1_3gpuE3ELNS1_3repE0EEENS1_30default_config_static_selectorELNS0_4arch9wavefront6targetE0EEEvS12_,"axG",@progbits,_ZN7rocprim17ROCPRIM_400000_NS6detail17trampoline_kernelINS0_13select_configILj256ELj13ELNS0_17block_load_methodE3ELS4_3ELS4_3ELNS0_20block_scan_algorithmE0ELj4294967295EEENS1_25partition_config_selectorILNS1_17partition_subalgoE4EjNS0_10empty_typeEbEEZZNS1_14partition_implILS8_4ELb0ES6_15HIP_vector_typeIjLj2EENS0_17counting_iteratorIjlEEPS9_SG_NS0_5tupleIJPjSI_NS0_16reverse_iteratorISI_EEEEENSH_IJSG_SG_SG_EEES9_SI_JZNS1_25segmented_radix_sort_implINS0_14default_configELb1EPKdPdPKlPlN2at6native12_GLOBAL__N_18offset_tEEE10hipError_tPvRmT1_PNSt15iterator_traitsIS12_E10value_typeET2_T3_PNS13_IS18_E10value_typeET4_jRbjT5_S1E_jjP12ihipStream_tbEUljE_ZNSN_ISO_Lb1ESQ_SR_ST_SU_SY_EESZ_S10_S11_S12_S16_S17_S18_S1B_S1C_jS1D_jS1E_S1E_jjS1G_bEUljE0_EEESZ_S10_S11_S18_S1C_S1E_T6_T7_T9_mT8_S1G_bDpT10_ENKUlT_T0_E_clISt17integral_constantIbLb1EES1U_EEDaS1P_S1Q_EUlS1P_E_NS1_11comp_targetILNS1_3genE9ELNS1_11target_archE1100ELNS1_3gpuE3ELNS1_3repE0EEENS1_30default_config_static_selectorELNS0_4arch9wavefront6targetE0EEEvS12_,comdat
.Lfunc_end1068:
	.size	_ZN7rocprim17ROCPRIM_400000_NS6detail17trampoline_kernelINS0_13select_configILj256ELj13ELNS0_17block_load_methodE3ELS4_3ELS4_3ELNS0_20block_scan_algorithmE0ELj4294967295EEENS1_25partition_config_selectorILNS1_17partition_subalgoE4EjNS0_10empty_typeEbEEZZNS1_14partition_implILS8_4ELb0ES6_15HIP_vector_typeIjLj2EENS0_17counting_iteratorIjlEEPS9_SG_NS0_5tupleIJPjSI_NS0_16reverse_iteratorISI_EEEEENSH_IJSG_SG_SG_EEES9_SI_JZNS1_25segmented_radix_sort_implINS0_14default_configELb1EPKdPdPKlPlN2at6native12_GLOBAL__N_18offset_tEEE10hipError_tPvRmT1_PNSt15iterator_traitsIS12_E10value_typeET2_T3_PNS13_IS18_E10value_typeET4_jRbjT5_S1E_jjP12ihipStream_tbEUljE_ZNSN_ISO_Lb1ESQ_SR_ST_SU_SY_EESZ_S10_S11_S12_S16_S17_S18_S1B_S1C_jS1D_jS1E_S1E_jjS1G_bEUljE0_EEESZ_S10_S11_S18_S1C_S1E_T6_T7_T9_mT8_S1G_bDpT10_ENKUlT_T0_E_clISt17integral_constantIbLb1EES1U_EEDaS1P_S1Q_EUlS1P_E_NS1_11comp_targetILNS1_3genE9ELNS1_11target_archE1100ELNS1_3gpuE3ELNS1_3repE0EEENS1_30default_config_static_selectorELNS0_4arch9wavefront6targetE0EEEvS12_, .Lfunc_end1068-_ZN7rocprim17ROCPRIM_400000_NS6detail17trampoline_kernelINS0_13select_configILj256ELj13ELNS0_17block_load_methodE3ELS4_3ELS4_3ELNS0_20block_scan_algorithmE0ELj4294967295EEENS1_25partition_config_selectorILNS1_17partition_subalgoE4EjNS0_10empty_typeEbEEZZNS1_14partition_implILS8_4ELb0ES6_15HIP_vector_typeIjLj2EENS0_17counting_iteratorIjlEEPS9_SG_NS0_5tupleIJPjSI_NS0_16reverse_iteratorISI_EEEEENSH_IJSG_SG_SG_EEES9_SI_JZNS1_25segmented_radix_sort_implINS0_14default_configELb1EPKdPdPKlPlN2at6native12_GLOBAL__N_18offset_tEEE10hipError_tPvRmT1_PNSt15iterator_traitsIS12_E10value_typeET2_T3_PNS13_IS18_E10value_typeET4_jRbjT5_S1E_jjP12ihipStream_tbEUljE_ZNSN_ISO_Lb1ESQ_SR_ST_SU_SY_EESZ_S10_S11_S12_S16_S17_S18_S1B_S1C_jS1D_jS1E_S1E_jjS1G_bEUljE0_EEESZ_S10_S11_S18_S1C_S1E_T6_T7_T9_mT8_S1G_bDpT10_ENKUlT_T0_E_clISt17integral_constantIbLb1EES1U_EEDaS1P_S1Q_EUlS1P_E_NS1_11comp_targetILNS1_3genE9ELNS1_11target_archE1100ELNS1_3gpuE3ELNS1_3repE0EEENS1_30default_config_static_selectorELNS0_4arch9wavefront6targetE0EEEvS12_
                                        ; -- End function
	.section	.AMDGPU.csdata,"",@progbits
; Kernel info:
; codeLenInByte = 15160
; NumSgprs: 57
; NumVgprs: 103
; ScratchSize: 0
; MemoryBound: 0
; FloatMode: 240
; IeeeMode: 1
; LDSByteSize: 13340 bytes/workgroup (compile time only)
; SGPRBlocks: 7
; VGPRBlocks: 12
; NumSGPRsForWavesPerEU: 57
; NumVGPRsForWavesPerEU: 103
; Occupancy: 12
; WaveLimiterHint : 1
; COMPUTE_PGM_RSRC2:SCRATCH_EN: 0
; COMPUTE_PGM_RSRC2:USER_SGPR: 15
; COMPUTE_PGM_RSRC2:TRAP_HANDLER: 0
; COMPUTE_PGM_RSRC2:TGID_X_EN: 1
; COMPUTE_PGM_RSRC2:TGID_Y_EN: 0
; COMPUTE_PGM_RSRC2:TGID_Z_EN: 0
; COMPUTE_PGM_RSRC2:TIDIG_COMP_CNT: 0
	.section	.text._ZN7rocprim17ROCPRIM_400000_NS6detail17trampoline_kernelINS0_13select_configILj256ELj13ELNS0_17block_load_methodE3ELS4_3ELS4_3ELNS0_20block_scan_algorithmE0ELj4294967295EEENS1_25partition_config_selectorILNS1_17partition_subalgoE4EjNS0_10empty_typeEbEEZZNS1_14partition_implILS8_4ELb0ES6_15HIP_vector_typeIjLj2EENS0_17counting_iteratorIjlEEPS9_SG_NS0_5tupleIJPjSI_NS0_16reverse_iteratorISI_EEEEENSH_IJSG_SG_SG_EEES9_SI_JZNS1_25segmented_radix_sort_implINS0_14default_configELb1EPKdPdPKlPlN2at6native12_GLOBAL__N_18offset_tEEE10hipError_tPvRmT1_PNSt15iterator_traitsIS12_E10value_typeET2_T3_PNS13_IS18_E10value_typeET4_jRbjT5_S1E_jjP12ihipStream_tbEUljE_ZNSN_ISO_Lb1ESQ_SR_ST_SU_SY_EESZ_S10_S11_S12_S16_S17_S18_S1B_S1C_jS1D_jS1E_S1E_jjS1G_bEUljE0_EEESZ_S10_S11_S18_S1C_S1E_T6_T7_T9_mT8_S1G_bDpT10_ENKUlT_T0_E_clISt17integral_constantIbLb1EES1U_EEDaS1P_S1Q_EUlS1P_E_NS1_11comp_targetILNS1_3genE8ELNS1_11target_archE1030ELNS1_3gpuE2ELNS1_3repE0EEENS1_30default_config_static_selectorELNS0_4arch9wavefront6targetE0EEEvS12_,"axG",@progbits,_ZN7rocprim17ROCPRIM_400000_NS6detail17trampoline_kernelINS0_13select_configILj256ELj13ELNS0_17block_load_methodE3ELS4_3ELS4_3ELNS0_20block_scan_algorithmE0ELj4294967295EEENS1_25partition_config_selectorILNS1_17partition_subalgoE4EjNS0_10empty_typeEbEEZZNS1_14partition_implILS8_4ELb0ES6_15HIP_vector_typeIjLj2EENS0_17counting_iteratorIjlEEPS9_SG_NS0_5tupleIJPjSI_NS0_16reverse_iteratorISI_EEEEENSH_IJSG_SG_SG_EEES9_SI_JZNS1_25segmented_radix_sort_implINS0_14default_configELb1EPKdPdPKlPlN2at6native12_GLOBAL__N_18offset_tEEE10hipError_tPvRmT1_PNSt15iterator_traitsIS12_E10value_typeET2_T3_PNS13_IS18_E10value_typeET4_jRbjT5_S1E_jjP12ihipStream_tbEUljE_ZNSN_ISO_Lb1ESQ_SR_ST_SU_SY_EESZ_S10_S11_S12_S16_S17_S18_S1B_S1C_jS1D_jS1E_S1E_jjS1G_bEUljE0_EEESZ_S10_S11_S18_S1C_S1E_T6_T7_T9_mT8_S1G_bDpT10_ENKUlT_T0_E_clISt17integral_constantIbLb1EES1U_EEDaS1P_S1Q_EUlS1P_E_NS1_11comp_targetILNS1_3genE8ELNS1_11target_archE1030ELNS1_3gpuE2ELNS1_3repE0EEENS1_30default_config_static_selectorELNS0_4arch9wavefront6targetE0EEEvS12_,comdat
	.globl	_ZN7rocprim17ROCPRIM_400000_NS6detail17trampoline_kernelINS0_13select_configILj256ELj13ELNS0_17block_load_methodE3ELS4_3ELS4_3ELNS0_20block_scan_algorithmE0ELj4294967295EEENS1_25partition_config_selectorILNS1_17partition_subalgoE4EjNS0_10empty_typeEbEEZZNS1_14partition_implILS8_4ELb0ES6_15HIP_vector_typeIjLj2EENS0_17counting_iteratorIjlEEPS9_SG_NS0_5tupleIJPjSI_NS0_16reverse_iteratorISI_EEEEENSH_IJSG_SG_SG_EEES9_SI_JZNS1_25segmented_radix_sort_implINS0_14default_configELb1EPKdPdPKlPlN2at6native12_GLOBAL__N_18offset_tEEE10hipError_tPvRmT1_PNSt15iterator_traitsIS12_E10value_typeET2_T3_PNS13_IS18_E10value_typeET4_jRbjT5_S1E_jjP12ihipStream_tbEUljE_ZNSN_ISO_Lb1ESQ_SR_ST_SU_SY_EESZ_S10_S11_S12_S16_S17_S18_S1B_S1C_jS1D_jS1E_S1E_jjS1G_bEUljE0_EEESZ_S10_S11_S18_S1C_S1E_T6_T7_T9_mT8_S1G_bDpT10_ENKUlT_T0_E_clISt17integral_constantIbLb1EES1U_EEDaS1P_S1Q_EUlS1P_E_NS1_11comp_targetILNS1_3genE8ELNS1_11target_archE1030ELNS1_3gpuE2ELNS1_3repE0EEENS1_30default_config_static_selectorELNS0_4arch9wavefront6targetE0EEEvS12_ ; -- Begin function _ZN7rocprim17ROCPRIM_400000_NS6detail17trampoline_kernelINS0_13select_configILj256ELj13ELNS0_17block_load_methodE3ELS4_3ELS4_3ELNS0_20block_scan_algorithmE0ELj4294967295EEENS1_25partition_config_selectorILNS1_17partition_subalgoE4EjNS0_10empty_typeEbEEZZNS1_14partition_implILS8_4ELb0ES6_15HIP_vector_typeIjLj2EENS0_17counting_iteratorIjlEEPS9_SG_NS0_5tupleIJPjSI_NS0_16reverse_iteratorISI_EEEEENSH_IJSG_SG_SG_EEES9_SI_JZNS1_25segmented_radix_sort_implINS0_14default_configELb1EPKdPdPKlPlN2at6native12_GLOBAL__N_18offset_tEEE10hipError_tPvRmT1_PNSt15iterator_traitsIS12_E10value_typeET2_T3_PNS13_IS18_E10value_typeET4_jRbjT5_S1E_jjP12ihipStream_tbEUljE_ZNSN_ISO_Lb1ESQ_SR_ST_SU_SY_EESZ_S10_S11_S12_S16_S17_S18_S1B_S1C_jS1D_jS1E_S1E_jjS1G_bEUljE0_EEESZ_S10_S11_S18_S1C_S1E_T6_T7_T9_mT8_S1G_bDpT10_ENKUlT_T0_E_clISt17integral_constantIbLb1EES1U_EEDaS1P_S1Q_EUlS1P_E_NS1_11comp_targetILNS1_3genE8ELNS1_11target_archE1030ELNS1_3gpuE2ELNS1_3repE0EEENS1_30default_config_static_selectorELNS0_4arch9wavefront6targetE0EEEvS12_
	.p2align	8
	.type	_ZN7rocprim17ROCPRIM_400000_NS6detail17trampoline_kernelINS0_13select_configILj256ELj13ELNS0_17block_load_methodE3ELS4_3ELS4_3ELNS0_20block_scan_algorithmE0ELj4294967295EEENS1_25partition_config_selectorILNS1_17partition_subalgoE4EjNS0_10empty_typeEbEEZZNS1_14partition_implILS8_4ELb0ES6_15HIP_vector_typeIjLj2EENS0_17counting_iteratorIjlEEPS9_SG_NS0_5tupleIJPjSI_NS0_16reverse_iteratorISI_EEEEENSH_IJSG_SG_SG_EEES9_SI_JZNS1_25segmented_radix_sort_implINS0_14default_configELb1EPKdPdPKlPlN2at6native12_GLOBAL__N_18offset_tEEE10hipError_tPvRmT1_PNSt15iterator_traitsIS12_E10value_typeET2_T3_PNS13_IS18_E10value_typeET4_jRbjT5_S1E_jjP12ihipStream_tbEUljE_ZNSN_ISO_Lb1ESQ_SR_ST_SU_SY_EESZ_S10_S11_S12_S16_S17_S18_S1B_S1C_jS1D_jS1E_S1E_jjS1G_bEUljE0_EEESZ_S10_S11_S18_S1C_S1E_T6_T7_T9_mT8_S1G_bDpT10_ENKUlT_T0_E_clISt17integral_constantIbLb1EES1U_EEDaS1P_S1Q_EUlS1P_E_NS1_11comp_targetILNS1_3genE8ELNS1_11target_archE1030ELNS1_3gpuE2ELNS1_3repE0EEENS1_30default_config_static_selectorELNS0_4arch9wavefront6targetE0EEEvS12_,@function
_ZN7rocprim17ROCPRIM_400000_NS6detail17trampoline_kernelINS0_13select_configILj256ELj13ELNS0_17block_load_methodE3ELS4_3ELS4_3ELNS0_20block_scan_algorithmE0ELj4294967295EEENS1_25partition_config_selectorILNS1_17partition_subalgoE4EjNS0_10empty_typeEbEEZZNS1_14partition_implILS8_4ELb0ES6_15HIP_vector_typeIjLj2EENS0_17counting_iteratorIjlEEPS9_SG_NS0_5tupleIJPjSI_NS0_16reverse_iteratorISI_EEEEENSH_IJSG_SG_SG_EEES9_SI_JZNS1_25segmented_radix_sort_implINS0_14default_configELb1EPKdPdPKlPlN2at6native12_GLOBAL__N_18offset_tEEE10hipError_tPvRmT1_PNSt15iterator_traitsIS12_E10value_typeET2_T3_PNS13_IS18_E10value_typeET4_jRbjT5_S1E_jjP12ihipStream_tbEUljE_ZNSN_ISO_Lb1ESQ_SR_ST_SU_SY_EESZ_S10_S11_S12_S16_S17_S18_S1B_S1C_jS1D_jS1E_S1E_jjS1G_bEUljE0_EEESZ_S10_S11_S18_S1C_S1E_T6_T7_T9_mT8_S1G_bDpT10_ENKUlT_T0_E_clISt17integral_constantIbLb1EES1U_EEDaS1P_S1Q_EUlS1P_E_NS1_11comp_targetILNS1_3genE8ELNS1_11target_archE1030ELNS1_3gpuE2ELNS1_3repE0EEENS1_30default_config_static_selectorELNS0_4arch9wavefront6targetE0EEEvS12_: ; @_ZN7rocprim17ROCPRIM_400000_NS6detail17trampoline_kernelINS0_13select_configILj256ELj13ELNS0_17block_load_methodE3ELS4_3ELS4_3ELNS0_20block_scan_algorithmE0ELj4294967295EEENS1_25partition_config_selectorILNS1_17partition_subalgoE4EjNS0_10empty_typeEbEEZZNS1_14partition_implILS8_4ELb0ES6_15HIP_vector_typeIjLj2EENS0_17counting_iteratorIjlEEPS9_SG_NS0_5tupleIJPjSI_NS0_16reverse_iteratorISI_EEEEENSH_IJSG_SG_SG_EEES9_SI_JZNS1_25segmented_radix_sort_implINS0_14default_configELb1EPKdPdPKlPlN2at6native12_GLOBAL__N_18offset_tEEE10hipError_tPvRmT1_PNSt15iterator_traitsIS12_E10value_typeET2_T3_PNS13_IS18_E10value_typeET4_jRbjT5_S1E_jjP12ihipStream_tbEUljE_ZNSN_ISO_Lb1ESQ_SR_ST_SU_SY_EESZ_S10_S11_S12_S16_S17_S18_S1B_S1C_jS1D_jS1E_S1E_jjS1G_bEUljE0_EEESZ_S10_S11_S18_S1C_S1E_T6_T7_T9_mT8_S1G_bDpT10_ENKUlT_T0_E_clISt17integral_constantIbLb1EES1U_EEDaS1P_S1Q_EUlS1P_E_NS1_11comp_targetILNS1_3genE8ELNS1_11target_archE1030ELNS1_3gpuE2ELNS1_3repE0EEENS1_30default_config_static_selectorELNS0_4arch9wavefront6targetE0EEEvS12_
; %bb.0:
	.section	.rodata,"a",@progbits
	.p2align	6, 0x0
	.amdhsa_kernel _ZN7rocprim17ROCPRIM_400000_NS6detail17trampoline_kernelINS0_13select_configILj256ELj13ELNS0_17block_load_methodE3ELS4_3ELS4_3ELNS0_20block_scan_algorithmE0ELj4294967295EEENS1_25partition_config_selectorILNS1_17partition_subalgoE4EjNS0_10empty_typeEbEEZZNS1_14partition_implILS8_4ELb0ES6_15HIP_vector_typeIjLj2EENS0_17counting_iteratorIjlEEPS9_SG_NS0_5tupleIJPjSI_NS0_16reverse_iteratorISI_EEEEENSH_IJSG_SG_SG_EEES9_SI_JZNS1_25segmented_radix_sort_implINS0_14default_configELb1EPKdPdPKlPlN2at6native12_GLOBAL__N_18offset_tEEE10hipError_tPvRmT1_PNSt15iterator_traitsIS12_E10value_typeET2_T3_PNS13_IS18_E10value_typeET4_jRbjT5_S1E_jjP12ihipStream_tbEUljE_ZNSN_ISO_Lb1ESQ_SR_ST_SU_SY_EESZ_S10_S11_S12_S16_S17_S18_S1B_S1C_jS1D_jS1E_S1E_jjS1G_bEUljE0_EEESZ_S10_S11_S18_S1C_S1E_T6_T7_T9_mT8_S1G_bDpT10_ENKUlT_T0_E_clISt17integral_constantIbLb1EES1U_EEDaS1P_S1Q_EUlS1P_E_NS1_11comp_targetILNS1_3genE8ELNS1_11target_archE1030ELNS1_3gpuE2ELNS1_3repE0EEENS1_30default_config_static_selectorELNS0_4arch9wavefront6targetE0EEEvS12_
		.amdhsa_group_segment_fixed_size 0
		.amdhsa_private_segment_fixed_size 0
		.amdhsa_kernarg_size 184
		.amdhsa_user_sgpr_count 15
		.amdhsa_user_sgpr_dispatch_ptr 0
		.amdhsa_user_sgpr_queue_ptr 0
		.amdhsa_user_sgpr_kernarg_segment_ptr 1
		.amdhsa_user_sgpr_dispatch_id 0
		.amdhsa_user_sgpr_private_segment_size 0
		.amdhsa_wavefront_size32 1
		.amdhsa_uses_dynamic_stack 0
		.amdhsa_enable_private_segment 0
		.amdhsa_system_sgpr_workgroup_id_x 1
		.amdhsa_system_sgpr_workgroup_id_y 0
		.amdhsa_system_sgpr_workgroup_id_z 0
		.amdhsa_system_sgpr_workgroup_info 0
		.amdhsa_system_vgpr_workitem_id 0
		.amdhsa_next_free_vgpr 1
		.amdhsa_next_free_sgpr 1
		.amdhsa_reserve_vcc 0
		.amdhsa_float_round_mode_32 0
		.amdhsa_float_round_mode_16_64 0
		.amdhsa_float_denorm_mode_32 3
		.amdhsa_float_denorm_mode_16_64 3
		.amdhsa_dx10_clamp 1
		.amdhsa_ieee_mode 1
		.amdhsa_fp16_overflow 0
		.amdhsa_workgroup_processor_mode 1
		.amdhsa_memory_ordered 1
		.amdhsa_forward_progress 0
		.amdhsa_shared_vgpr_count 0
		.amdhsa_exception_fp_ieee_invalid_op 0
		.amdhsa_exception_fp_denorm_src 0
		.amdhsa_exception_fp_ieee_div_zero 0
		.amdhsa_exception_fp_ieee_overflow 0
		.amdhsa_exception_fp_ieee_underflow 0
		.amdhsa_exception_fp_ieee_inexact 0
		.amdhsa_exception_int_div_zero 0
	.end_amdhsa_kernel
	.section	.text._ZN7rocprim17ROCPRIM_400000_NS6detail17trampoline_kernelINS0_13select_configILj256ELj13ELNS0_17block_load_methodE3ELS4_3ELS4_3ELNS0_20block_scan_algorithmE0ELj4294967295EEENS1_25partition_config_selectorILNS1_17partition_subalgoE4EjNS0_10empty_typeEbEEZZNS1_14partition_implILS8_4ELb0ES6_15HIP_vector_typeIjLj2EENS0_17counting_iteratorIjlEEPS9_SG_NS0_5tupleIJPjSI_NS0_16reverse_iteratorISI_EEEEENSH_IJSG_SG_SG_EEES9_SI_JZNS1_25segmented_radix_sort_implINS0_14default_configELb1EPKdPdPKlPlN2at6native12_GLOBAL__N_18offset_tEEE10hipError_tPvRmT1_PNSt15iterator_traitsIS12_E10value_typeET2_T3_PNS13_IS18_E10value_typeET4_jRbjT5_S1E_jjP12ihipStream_tbEUljE_ZNSN_ISO_Lb1ESQ_SR_ST_SU_SY_EESZ_S10_S11_S12_S16_S17_S18_S1B_S1C_jS1D_jS1E_S1E_jjS1G_bEUljE0_EEESZ_S10_S11_S18_S1C_S1E_T6_T7_T9_mT8_S1G_bDpT10_ENKUlT_T0_E_clISt17integral_constantIbLb1EES1U_EEDaS1P_S1Q_EUlS1P_E_NS1_11comp_targetILNS1_3genE8ELNS1_11target_archE1030ELNS1_3gpuE2ELNS1_3repE0EEENS1_30default_config_static_selectorELNS0_4arch9wavefront6targetE0EEEvS12_,"axG",@progbits,_ZN7rocprim17ROCPRIM_400000_NS6detail17trampoline_kernelINS0_13select_configILj256ELj13ELNS0_17block_load_methodE3ELS4_3ELS4_3ELNS0_20block_scan_algorithmE0ELj4294967295EEENS1_25partition_config_selectorILNS1_17partition_subalgoE4EjNS0_10empty_typeEbEEZZNS1_14partition_implILS8_4ELb0ES6_15HIP_vector_typeIjLj2EENS0_17counting_iteratorIjlEEPS9_SG_NS0_5tupleIJPjSI_NS0_16reverse_iteratorISI_EEEEENSH_IJSG_SG_SG_EEES9_SI_JZNS1_25segmented_radix_sort_implINS0_14default_configELb1EPKdPdPKlPlN2at6native12_GLOBAL__N_18offset_tEEE10hipError_tPvRmT1_PNSt15iterator_traitsIS12_E10value_typeET2_T3_PNS13_IS18_E10value_typeET4_jRbjT5_S1E_jjP12ihipStream_tbEUljE_ZNSN_ISO_Lb1ESQ_SR_ST_SU_SY_EESZ_S10_S11_S12_S16_S17_S18_S1B_S1C_jS1D_jS1E_S1E_jjS1G_bEUljE0_EEESZ_S10_S11_S18_S1C_S1E_T6_T7_T9_mT8_S1G_bDpT10_ENKUlT_T0_E_clISt17integral_constantIbLb1EES1U_EEDaS1P_S1Q_EUlS1P_E_NS1_11comp_targetILNS1_3genE8ELNS1_11target_archE1030ELNS1_3gpuE2ELNS1_3repE0EEENS1_30default_config_static_selectorELNS0_4arch9wavefront6targetE0EEEvS12_,comdat
.Lfunc_end1069:
	.size	_ZN7rocprim17ROCPRIM_400000_NS6detail17trampoline_kernelINS0_13select_configILj256ELj13ELNS0_17block_load_methodE3ELS4_3ELS4_3ELNS0_20block_scan_algorithmE0ELj4294967295EEENS1_25partition_config_selectorILNS1_17partition_subalgoE4EjNS0_10empty_typeEbEEZZNS1_14partition_implILS8_4ELb0ES6_15HIP_vector_typeIjLj2EENS0_17counting_iteratorIjlEEPS9_SG_NS0_5tupleIJPjSI_NS0_16reverse_iteratorISI_EEEEENSH_IJSG_SG_SG_EEES9_SI_JZNS1_25segmented_radix_sort_implINS0_14default_configELb1EPKdPdPKlPlN2at6native12_GLOBAL__N_18offset_tEEE10hipError_tPvRmT1_PNSt15iterator_traitsIS12_E10value_typeET2_T3_PNS13_IS18_E10value_typeET4_jRbjT5_S1E_jjP12ihipStream_tbEUljE_ZNSN_ISO_Lb1ESQ_SR_ST_SU_SY_EESZ_S10_S11_S12_S16_S17_S18_S1B_S1C_jS1D_jS1E_S1E_jjS1G_bEUljE0_EEESZ_S10_S11_S18_S1C_S1E_T6_T7_T9_mT8_S1G_bDpT10_ENKUlT_T0_E_clISt17integral_constantIbLb1EES1U_EEDaS1P_S1Q_EUlS1P_E_NS1_11comp_targetILNS1_3genE8ELNS1_11target_archE1030ELNS1_3gpuE2ELNS1_3repE0EEENS1_30default_config_static_selectorELNS0_4arch9wavefront6targetE0EEEvS12_, .Lfunc_end1069-_ZN7rocprim17ROCPRIM_400000_NS6detail17trampoline_kernelINS0_13select_configILj256ELj13ELNS0_17block_load_methodE3ELS4_3ELS4_3ELNS0_20block_scan_algorithmE0ELj4294967295EEENS1_25partition_config_selectorILNS1_17partition_subalgoE4EjNS0_10empty_typeEbEEZZNS1_14partition_implILS8_4ELb0ES6_15HIP_vector_typeIjLj2EENS0_17counting_iteratorIjlEEPS9_SG_NS0_5tupleIJPjSI_NS0_16reverse_iteratorISI_EEEEENSH_IJSG_SG_SG_EEES9_SI_JZNS1_25segmented_radix_sort_implINS0_14default_configELb1EPKdPdPKlPlN2at6native12_GLOBAL__N_18offset_tEEE10hipError_tPvRmT1_PNSt15iterator_traitsIS12_E10value_typeET2_T3_PNS13_IS18_E10value_typeET4_jRbjT5_S1E_jjP12ihipStream_tbEUljE_ZNSN_ISO_Lb1ESQ_SR_ST_SU_SY_EESZ_S10_S11_S12_S16_S17_S18_S1B_S1C_jS1D_jS1E_S1E_jjS1G_bEUljE0_EEESZ_S10_S11_S18_S1C_S1E_T6_T7_T9_mT8_S1G_bDpT10_ENKUlT_T0_E_clISt17integral_constantIbLb1EES1U_EEDaS1P_S1Q_EUlS1P_E_NS1_11comp_targetILNS1_3genE8ELNS1_11target_archE1030ELNS1_3gpuE2ELNS1_3repE0EEENS1_30default_config_static_selectorELNS0_4arch9wavefront6targetE0EEEvS12_
                                        ; -- End function
	.section	.AMDGPU.csdata,"",@progbits
; Kernel info:
; codeLenInByte = 0
; NumSgprs: 0
; NumVgprs: 0
; ScratchSize: 0
; MemoryBound: 0
; FloatMode: 240
; IeeeMode: 1
; LDSByteSize: 0 bytes/workgroup (compile time only)
; SGPRBlocks: 0
; VGPRBlocks: 0
; NumSGPRsForWavesPerEU: 1
; NumVGPRsForWavesPerEU: 1
; Occupancy: 16
; WaveLimiterHint : 0
; COMPUTE_PGM_RSRC2:SCRATCH_EN: 0
; COMPUTE_PGM_RSRC2:USER_SGPR: 15
; COMPUTE_PGM_RSRC2:TRAP_HANDLER: 0
; COMPUTE_PGM_RSRC2:TGID_X_EN: 1
; COMPUTE_PGM_RSRC2:TGID_Y_EN: 0
; COMPUTE_PGM_RSRC2:TGID_Z_EN: 0
; COMPUTE_PGM_RSRC2:TIDIG_COMP_CNT: 0
	.section	.text._ZN7rocprim17ROCPRIM_400000_NS6detail17trampoline_kernelINS0_13select_configILj256ELj13ELNS0_17block_load_methodE3ELS4_3ELS4_3ELNS0_20block_scan_algorithmE0ELj4294967295EEENS1_25partition_config_selectorILNS1_17partition_subalgoE4EjNS0_10empty_typeEbEEZZNS1_14partition_implILS8_4ELb0ES6_15HIP_vector_typeIjLj2EENS0_17counting_iteratorIjlEEPS9_SG_NS0_5tupleIJPjSI_NS0_16reverse_iteratorISI_EEEEENSH_IJSG_SG_SG_EEES9_SI_JZNS1_25segmented_radix_sort_implINS0_14default_configELb1EPKdPdPKlPlN2at6native12_GLOBAL__N_18offset_tEEE10hipError_tPvRmT1_PNSt15iterator_traitsIS12_E10value_typeET2_T3_PNS13_IS18_E10value_typeET4_jRbjT5_S1E_jjP12ihipStream_tbEUljE_ZNSN_ISO_Lb1ESQ_SR_ST_SU_SY_EESZ_S10_S11_S12_S16_S17_S18_S1B_S1C_jS1D_jS1E_S1E_jjS1G_bEUljE0_EEESZ_S10_S11_S18_S1C_S1E_T6_T7_T9_mT8_S1G_bDpT10_ENKUlT_T0_E_clISt17integral_constantIbLb1EES1T_IbLb0EEEEDaS1P_S1Q_EUlS1P_E_NS1_11comp_targetILNS1_3genE0ELNS1_11target_archE4294967295ELNS1_3gpuE0ELNS1_3repE0EEENS1_30default_config_static_selectorELNS0_4arch9wavefront6targetE0EEEvS12_,"axG",@progbits,_ZN7rocprim17ROCPRIM_400000_NS6detail17trampoline_kernelINS0_13select_configILj256ELj13ELNS0_17block_load_methodE3ELS4_3ELS4_3ELNS0_20block_scan_algorithmE0ELj4294967295EEENS1_25partition_config_selectorILNS1_17partition_subalgoE4EjNS0_10empty_typeEbEEZZNS1_14partition_implILS8_4ELb0ES6_15HIP_vector_typeIjLj2EENS0_17counting_iteratorIjlEEPS9_SG_NS0_5tupleIJPjSI_NS0_16reverse_iteratorISI_EEEEENSH_IJSG_SG_SG_EEES9_SI_JZNS1_25segmented_radix_sort_implINS0_14default_configELb1EPKdPdPKlPlN2at6native12_GLOBAL__N_18offset_tEEE10hipError_tPvRmT1_PNSt15iterator_traitsIS12_E10value_typeET2_T3_PNS13_IS18_E10value_typeET4_jRbjT5_S1E_jjP12ihipStream_tbEUljE_ZNSN_ISO_Lb1ESQ_SR_ST_SU_SY_EESZ_S10_S11_S12_S16_S17_S18_S1B_S1C_jS1D_jS1E_S1E_jjS1G_bEUljE0_EEESZ_S10_S11_S18_S1C_S1E_T6_T7_T9_mT8_S1G_bDpT10_ENKUlT_T0_E_clISt17integral_constantIbLb1EES1T_IbLb0EEEEDaS1P_S1Q_EUlS1P_E_NS1_11comp_targetILNS1_3genE0ELNS1_11target_archE4294967295ELNS1_3gpuE0ELNS1_3repE0EEENS1_30default_config_static_selectorELNS0_4arch9wavefront6targetE0EEEvS12_,comdat
	.globl	_ZN7rocprim17ROCPRIM_400000_NS6detail17trampoline_kernelINS0_13select_configILj256ELj13ELNS0_17block_load_methodE3ELS4_3ELS4_3ELNS0_20block_scan_algorithmE0ELj4294967295EEENS1_25partition_config_selectorILNS1_17partition_subalgoE4EjNS0_10empty_typeEbEEZZNS1_14partition_implILS8_4ELb0ES6_15HIP_vector_typeIjLj2EENS0_17counting_iteratorIjlEEPS9_SG_NS0_5tupleIJPjSI_NS0_16reverse_iteratorISI_EEEEENSH_IJSG_SG_SG_EEES9_SI_JZNS1_25segmented_radix_sort_implINS0_14default_configELb1EPKdPdPKlPlN2at6native12_GLOBAL__N_18offset_tEEE10hipError_tPvRmT1_PNSt15iterator_traitsIS12_E10value_typeET2_T3_PNS13_IS18_E10value_typeET4_jRbjT5_S1E_jjP12ihipStream_tbEUljE_ZNSN_ISO_Lb1ESQ_SR_ST_SU_SY_EESZ_S10_S11_S12_S16_S17_S18_S1B_S1C_jS1D_jS1E_S1E_jjS1G_bEUljE0_EEESZ_S10_S11_S18_S1C_S1E_T6_T7_T9_mT8_S1G_bDpT10_ENKUlT_T0_E_clISt17integral_constantIbLb1EES1T_IbLb0EEEEDaS1P_S1Q_EUlS1P_E_NS1_11comp_targetILNS1_3genE0ELNS1_11target_archE4294967295ELNS1_3gpuE0ELNS1_3repE0EEENS1_30default_config_static_selectorELNS0_4arch9wavefront6targetE0EEEvS12_ ; -- Begin function _ZN7rocprim17ROCPRIM_400000_NS6detail17trampoline_kernelINS0_13select_configILj256ELj13ELNS0_17block_load_methodE3ELS4_3ELS4_3ELNS0_20block_scan_algorithmE0ELj4294967295EEENS1_25partition_config_selectorILNS1_17partition_subalgoE4EjNS0_10empty_typeEbEEZZNS1_14partition_implILS8_4ELb0ES6_15HIP_vector_typeIjLj2EENS0_17counting_iteratorIjlEEPS9_SG_NS0_5tupleIJPjSI_NS0_16reverse_iteratorISI_EEEEENSH_IJSG_SG_SG_EEES9_SI_JZNS1_25segmented_radix_sort_implINS0_14default_configELb1EPKdPdPKlPlN2at6native12_GLOBAL__N_18offset_tEEE10hipError_tPvRmT1_PNSt15iterator_traitsIS12_E10value_typeET2_T3_PNS13_IS18_E10value_typeET4_jRbjT5_S1E_jjP12ihipStream_tbEUljE_ZNSN_ISO_Lb1ESQ_SR_ST_SU_SY_EESZ_S10_S11_S12_S16_S17_S18_S1B_S1C_jS1D_jS1E_S1E_jjS1G_bEUljE0_EEESZ_S10_S11_S18_S1C_S1E_T6_T7_T9_mT8_S1G_bDpT10_ENKUlT_T0_E_clISt17integral_constantIbLb1EES1T_IbLb0EEEEDaS1P_S1Q_EUlS1P_E_NS1_11comp_targetILNS1_3genE0ELNS1_11target_archE4294967295ELNS1_3gpuE0ELNS1_3repE0EEENS1_30default_config_static_selectorELNS0_4arch9wavefront6targetE0EEEvS12_
	.p2align	8
	.type	_ZN7rocprim17ROCPRIM_400000_NS6detail17trampoline_kernelINS0_13select_configILj256ELj13ELNS0_17block_load_methodE3ELS4_3ELS4_3ELNS0_20block_scan_algorithmE0ELj4294967295EEENS1_25partition_config_selectorILNS1_17partition_subalgoE4EjNS0_10empty_typeEbEEZZNS1_14partition_implILS8_4ELb0ES6_15HIP_vector_typeIjLj2EENS0_17counting_iteratorIjlEEPS9_SG_NS0_5tupleIJPjSI_NS0_16reverse_iteratorISI_EEEEENSH_IJSG_SG_SG_EEES9_SI_JZNS1_25segmented_radix_sort_implINS0_14default_configELb1EPKdPdPKlPlN2at6native12_GLOBAL__N_18offset_tEEE10hipError_tPvRmT1_PNSt15iterator_traitsIS12_E10value_typeET2_T3_PNS13_IS18_E10value_typeET4_jRbjT5_S1E_jjP12ihipStream_tbEUljE_ZNSN_ISO_Lb1ESQ_SR_ST_SU_SY_EESZ_S10_S11_S12_S16_S17_S18_S1B_S1C_jS1D_jS1E_S1E_jjS1G_bEUljE0_EEESZ_S10_S11_S18_S1C_S1E_T6_T7_T9_mT8_S1G_bDpT10_ENKUlT_T0_E_clISt17integral_constantIbLb1EES1T_IbLb0EEEEDaS1P_S1Q_EUlS1P_E_NS1_11comp_targetILNS1_3genE0ELNS1_11target_archE4294967295ELNS1_3gpuE0ELNS1_3repE0EEENS1_30default_config_static_selectorELNS0_4arch9wavefront6targetE0EEEvS12_,@function
_ZN7rocprim17ROCPRIM_400000_NS6detail17trampoline_kernelINS0_13select_configILj256ELj13ELNS0_17block_load_methodE3ELS4_3ELS4_3ELNS0_20block_scan_algorithmE0ELj4294967295EEENS1_25partition_config_selectorILNS1_17partition_subalgoE4EjNS0_10empty_typeEbEEZZNS1_14partition_implILS8_4ELb0ES6_15HIP_vector_typeIjLj2EENS0_17counting_iteratorIjlEEPS9_SG_NS0_5tupleIJPjSI_NS0_16reverse_iteratorISI_EEEEENSH_IJSG_SG_SG_EEES9_SI_JZNS1_25segmented_radix_sort_implINS0_14default_configELb1EPKdPdPKlPlN2at6native12_GLOBAL__N_18offset_tEEE10hipError_tPvRmT1_PNSt15iterator_traitsIS12_E10value_typeET2_T3_PNS13_IS18_E10value_typeET4_jRbjT5_S1E_jjP12ihipStream_tbEUljE_ZNSN_ISO_Lb1ESQ_SR_ST_SU_SY_EESZ_S10_S11_S12_S16_S17_S18_S1B_S1C_jS1D_jS1E_S1E_jjS1G_bEUljE0_EEESZ_S10_S11_S18_S1C_S1E_T6_T7_T9_mT8_S1G_bDpT10_ENKUlT_T0_E_clISt17integral_constantIbLb1EES1T_IbLb0EEEEDaS1P_S1Q_EUlS1P_E_NS1_11comp_targetILNS1_3genE0ELNS1_11target_archE4294967295ELNS1_3gpuE0ELNS1_3repE0EEENS1_30default_config_static_selectorELNS0_4arch9wavefront6targetE0EEEvS12_: ; @_ZN7rocprim17ROCPRIM_400000_NS6detail17trampoline_kernelINS0_13select_configILj256ELj13ELNS0_17block_load_methodE3ELS4_3ELS4_3ELNS0_20block_scan_algorithmE0ELj4294967295EEENS1_25partition_config_selectorILNS1_17partition_subalgoE4EjNS0_10empty_typeEbEEZZNS1_14partition_implILS8_4ELb0ES6_15HIP_vector_typeIjLj2EENS0_17counting_iteratorIjlEEPS9_SG_NS0_5tupleIJPjSI_NS0_16reverse_iteratorISI_EEEEENSH_IJSG_SG_SG_EEES9_SI_JZNS1_25segmented_radix_sort_implINS0_14default_configELb1EPKdPdPKlPlN2at6native12_GLOBAL__N_18offset_tEEE10hipError_tPvRmT1_PNSt15iterator_traitsIS12_E10value_typeET2_T3_PNS13_IS18_E10value_typeET4_jRbjT5_S1E_jjP12ihipStream_tbEUljE_ZNSN_ISO_Lb1ESQ_SR_ST_SU_SY_EESZ_S10_S11_S12_S16_S17_S18_S1B_S1C_jS1D_jS1E_S1E_jjS1G_bEUljE0_EEESZ_S10_S11_S18_S1C_S1E_T6_T7_T9_mT8_S1G_bDpT10_ENKUlT_T0_E_clISt17integral_constantIbLb1EES1T_IbLb0EEEEDaS1P_S1Q_EUlS1P_E_NS1_11comp_targetILNS1_3genE0ELNS1_11target_archE4294967295ELNS1_3gpuE0ELNS1_3repE0EEENS1_30default_config_static_selectorELNS0_4arch9wavefront6targetE0EEEvS12_
; %bb.0:
	.section	.rodata,"a",@progbits
	.p2align	6, 0x0
	.amdhsa_kernel _ZN7rocprim17ROCPRIM_400000_NS6detail17trampoline_kernelINS0_13select_configILj256ELj13ELNS0_17block_load_methodE3ELS4_3ELS4_3ELNS0_20block_scan_algorithmE0ELj4294967295EEENS1_25partition_config_selectorILNS1_17partition_subalgoE4EjNS0_10empty_typeEbEEZZNS1_14partition_implILS8_4ELb0ES6_15HIP_vector_typeIjLj2EENS0_17counting_iteratorIjlEEPS9_SG_NS0_5tupleIJPjSI_NS0_16reverse_iteratorISI_EEEEENSH_IJSG_SG_SG_EEES9_SI_JZNS1_25segmented_radix_sort_implINS0_14default_configELb1EPKdPdPKlPlN2at6native12_GLOBAL__N_18offset_tEEE10hipError_tPvRmT1_PNSt15iterator_traitsIS12_E10value_typeET2_T3_PNS13_IS18_E10value_typeET4_jRbjT5_S1E_jjP12ihipStream_tbEUljE_ZNSN_ISO_Lb1ESQ_SR_ST_SU_SY_EESZ_S10_S11_S12_S16_S17_S18_S1B_S1C_jS1D_jS1E_S1E_jjS1G_bEUljE0_EEESZ_S10_S11_S18_S1C_S1E_T6_T7_T9_mT8_S1G_bDpT10_ENKUlT_T0_E_clISt17integral_constantIbLb1EES1T_IbLb0EEEEDaS1P_S1Q_EUlS1P_E_NS1_11comp_targetILNS1_3genE0ELNS1_11target_archE4294967295ELNS1_3gpuE0ELNS1_3repE0EEENS1_30default_config_static_selectorELNS0_4arch9wavefront6targetE0EEEvS12_
		.amdhsa_group_segment_fixed_size 0
		.amdhsa_private_segment_fixed_size 0
		.amdhsa_kernarg_size 176
		.amdhsa_user_sgpr_count 15
		.amdhsa_user_sgpr_dispatch_ptr 0
		.amdhsa_user_sgpr_queue_ptr 0
		.amdhsa_user_sgpr_kernarg_segment_ptr 1
		.amdhsa_user_sgpr_dispatch_id 0
		.amdhsa_user_sgpr_private_segment_size 0
		.amdhsa_wavefront_size32 1
		.amdhsa_uses_dynamic_stack 0
		.amdhsa_enable_private_segment 0
		.amdhsa_system_sgpr_workgroup_id_x 1
		.amdhsa_system_sgpr_workgroup_id_y 0
		.amdhsa_system_sgpr_workgroup_id_z 0
		.amdhsa_system_sgpr_workgroup_info 0
		.amdhsa_system_vgpr_workitem_id 0
		.amdhsa_next_free_vgpr 1
		.amdhsa_next_free_sgpr 1
		.amdhsa_reserve_vcc 0
		.amdhsa_float_round_mode_32 0
		.amdhsa_float_round_mode_16_64 0
		.amdhsa_float_denorm_mode_32 3
		.amdhsa_float_denorm_mode_16_64 3
		.amdhsa_dx10_clamp 1
		.amdhsa_ieee_mode 1
		.amdhsa_fp16_overflow 0
		.amdhsa_workgroup_processor_mode 1
		.amdhsa_memory_ordered 1
		.amdhsa_forward_progress 0
		.amdhsa_shared_vgpr_count 0
		.amdhsa_exception_fp_ieee_invalid_op 0
		.amdhsa_exception_fp_denorm_src 0
		.amdhsa_exception_fp_ieee_div_zero 0
		.amdhsa_exception_fp_ieee_overflow 0
		.amdhsa_exception_fp_ieee_underflow 0
		.amdhsa_exception_fp_ieee_inexact 0
		.amdhsa_exception_int_div_zero 0
	.end_amdhsa_kernel
	.section	.text._ZN7rocprim17ROCPRIM_400000_NS6detail17trampoline_kernelINS0_13select_configILj256ELj13ELNS0_17block_load_methodE3ELS4_3ELS4_3ELNS0_20block_scan_algorithmE0ELj4294967295EEENS1_25partition_config_selectorILNS1_17partition_subalgoE4EjNS0_10empty_typeEbEEZZNS1_14partition_implILS8_4ELb0ES6_15HIP_vector_typeIjLj2EENS0_17counting_iteratorIjlEEPS9_SG_NS0_5tupleIJPjSI_NS0_16reverse_iteratorISI_EEEEENSH_IJSG_SG_SG_EEES9_SI_JZNS1_25segmented_radix_sort_implINS0_14default_configELb1EPKdPdPKlPlN2at6native12_GLOBAL__N_18offset_tEEE10hipError_tPvRmT1_PNSt15iterator_traitsIS12_E10value_typeET2_T3_PNS13_IS18_E10value_typeET4_jRbjT5_S1E_jjP12ihipStream_tbEUljE_ZNSN_ISO_Lb1ESQ_SR_ST_SU_SY_EESZ_S10_S11_S12_S16_S17_S18_S1B_S1C_jS1D_jS1E_S1E_jjS1G_bEUljE0_EEESZ_S10_S11_S18_S1C_S1E_T6_T7_T9_mT8_S1G_bDpT10_ENKUlT_T0_E_clISt17integral_constantIbLb1EES1T_IbLb0EEEEDaS1P_S1Q_EUlS1P_E_NS1_11comp_targetILNS1_3genE0ELNS1_11target_archE4294967295ELNS1_3gpuE0ELNS1_3repE0EEENS1_30default_config_static_selectorELNS0_4arch9wavefront6targetE0EEEvS12_,"axG",@progbits,_ZN7rocprim17ROCPRIM_400000_NS6detail17trampoline_kernelINS0_13select_configILj256ELj13ELNS0_17block_load_methodE3ELS4_3ELS4_3ELNS0_20block_scan_algorithmE0ELj4294967295EEENS1_25partition_config_selectorILNS1_17partition_subalgoE4EjNS0_10empty_typeEbEEZZNS1_14partition_implILS8_4ELb0ES6_15HIP_vector_typeIjLj2EENS0_17counting_iteratorIjlEEPS9_SG_NS0_5tupleIJPjSI_NS0_16reverse_iteratorISI_EEEEENSH_IJSG_SG_SG_EEES9_SI_JZNS1_25segmented_radix_sort_implINS0_14default_configELb1EPKdPdPKlPlN2at6native12_GLOBAL__N_18offset_tEEE10hipError_tPvRmT1_PNSt15iterator_traitsIS12_E10value_typeET2_T3_PNS13_IS18_E10value_typeET4_jRbjT5_S1E_jjP12ihipStream_tbEUljE_ZNSN_ISO_Lb1ESQ_SR_ST_SU_SY_EESZ_S10_S11_S12_S16_S17_S18_S1B_S1C_jS1D_jS1E_S1E_jjS1G_bEUljE0_EEESZ_S10_S11_S18_S1C_S1E_T6_T7_T9_mT8_S1G_bDpT10_ENKUlT_T0_E_clISt17integral_constantIbLb1EES1T_IbLb0EEEEDaS1P_S1Q_EUlS1P_E_NS1_11comp_targetILNS1_3genE0ELNS1_11target_archE4294967295ELNS1_3gpuE0ELNS1_3repE0EEENS1_30default_config_static_selectorELNS0_4arch9wavefront6targetE0EEEvS12_,comdat
.Lfunc_end1070:
	.size	_ZN7rocprim17ROCPRIM_400000_NS6detail17trampoline_kernelINS0_13select_configILj256ELj13ELNS0_17block_load_methodE3ELS4_3ELS4_3ELNS0_20block_scan_algorithmE0ELj4294967295EEENS1_25partition_config_selectorILNS1_17partition_subalgoE4EjNS0_10empty_typeEbEEZZNS1_14partition_implILS8_4ELb0ES6_15HIP_vector_typeIjLj2EENS0_17counting_iteratorIjlEEPS9_SG_NS0_5tupleIJPjSI_NS0_16reverse_iteratorISI_EEEEENSH_IJSG_SG_SG_EEES9_SI_JZNS1_25segmented_radix_sort_implINS0_14default_configELb1EPKdPdPKlPlN2at6native12_GLOBAL__N_18offset_tEEE10hipError_tPvRmT1_PNSt15iterator_traitsIS12_E10value_typeET2_T3_PNS13_IS18_E10value_typeET4_jRbjT5_S1E_jjP12ihipStream_tbEUljE_ZNSN_ISO_Lb1ESQ_SR_ST_SU_SY_EESZ_S10_S11_S12_S16_S17_S18_S1B_S1C_jS1D_jS1E_S1E_jjS1G_bEUljE0_EEESZ_S10_S11_S18_S1C_S1E_T6_T7_T9_mT8_S1G_bDpT10_ENKUlT_T0_E_clISt17integral_constantIbLb1EES1T_IbLb0EEEEDaS1P_S1Q_EUlS1P_E_NS1_11comp_targetILNS1_3genE0ELNS1_11target_archE4294967295ELNS1_3gpuE0ELNS1_3repE0EEENS1_30default_config_static_selectorELNS0_4arch9wavefront6targetE0EEEvS12_, .Lfunc_end1070-_ZN7rocprim17ROCPRIM_400000_NS6detail17trampoline_kernelINS0_13select_configILj256ELj13ELNS0_17block_load_methodE3ELS4_3ELS4_3ELNS0_20block_scan_algorithmE0ELj4294967295EEENS1_25partition_config_selectorILNS1_17partition_subalgoE4EjNS0_10empty_typeEbEEZZNS1_14partition_implILS8_4ELb0ES6_15HIP_vector_typeIjLj2EENS0_17counting_iteratorIjlEEPS9_SG_NS0_5tupleIJPjSI_NS0_16reverse_iteratorISI_EEEEENSH_IJSG_SG_SG_EEES9_SI_JZNS1_25segmented_radix_sort_implINS0_14default_configELb1EPKdPdPKlPlN2at6native12_GLOBAL__N_18offset_tEEE10hipError_tPvRmT1_PNSt15iterator_traitsIS12_E10value_typeET2_T3_PNS13_IS18_E10value_typeET4_jRbjT5_S1E_jjP12ihipStream_tbEUljE_ZNSN_ISO_Lb1ESQ_SR_ST_SU_SY_EESZ_S10_S11_S12_S16_S17_S18_S1B_S1C_jS1D_jS1E_S1E_jjS1G_bEUljE0_EEESZ_S10_S11_S18_S1C_S1E_T6_T7_T9_mT8_S1G_bDpT10_ENKUlT_T0_E_clISt17integral_constantIbLb1EES1T_IbLb0EEEEDaS1P_S1Q_EUlS1P_E_NS1_11comp_targetILNS1_3genE0ELNS1_11target_archE4294967295ELNS1_3gpuE0ELNS1_3repE0EEENS1_30default_config_static_selectorELNS0_4arch9wavefront6targetE0EEEvS12_
                                        ; -- End function
	.section	.AMDGPU.csdata,"",@progbits
; Kernel info:
; codeLenInByte = 0
; NumSgprs: 0
; NumVgprs: 0
; ScratchSize: 0
; MemoryBound: 0
; FloatMode: 240
; IeeeMode: 1
; LDSByteSize: 0 bytes/workgroup (compile time only)
; SGPRBlocks: 0
; VGPRBlocks: 0
; NumSGPRsForWavesPerEU: 1
; NumVGPRsForWavesPerEU: 1
; Occupancy: 16
; WaveLimiterHint : 0
; COMPUTE_PGM_RSRC2:SCRATCH_EN: 0
; COMPUTE_PGM_RSRC2:USER_SGPR: 15
; COMPUTE_PGM_RSRC2:TRAP_HANDLER: 0
; COMPUTE_PGM_RSRC2:TGID_X_EN: 1
; COMPUTE_PGM_RSRC2:TGID_Y_EN: 0
; COMPUTE_PGM_RSRC2:TGID_Z_EN: 0
; COMPUTE_PGM_RSRC2:TIDIG_COMP_CNT: 0
	.section	.text._ZN7rocprim17ROCPRIM_400000_NS6detail17trampoline_kernelINS0_13select_configILj256ELj13ELNS0_17block_load_methodE3ELS4_3ELS4_3ELNS0_20block_scan_algorithmE0ELj4294967295EEENS1_25partition_config_selectorILNS1_17partition_subalgoE4EjNS0_10empty_typeEbEEZZNS1_14partition_implILS8_4ELb0ES6_15HIP_vector_typeIjLj2EENS0_17counting_iteratorIjlEEPS9_SG_NS0_5tupleIJPjSI_NS0_16reverse_iteratorISI_EEEEENSH_IJSG_SG_SG_EEES9_SI_JZNS1_25segmented_radix_sort_implINS0_14default_configELb1EPKdPdPKlPlN2at6native12_GLOBAL__N_18offset_tEEE10hipError_tPvRmT1_PNSt15iterator_traitsIS12_E10value_typeET2_T3_PNS13_IS18_E10value_typeET4_jRbjT5_S1E_jjP12ihipStream_tbEUljE_ZNSN_ISO_Lb1ESQ_SR_ST_SU_SY_EESZ_S10_S11_S12_S16_S17_S18_S1B_S1C_jS1D_jS1E_S1E_jjS1G_bEUljE0_EEESZ_S10_S11_S18_S1C_S1E_T6_T7_T9_mT8_S1G_bDpT10_ENKUlT_T0_E_clISt17integral_constantIbLb1EES1T_IbLb0EEEEDaS1P_S1Q_EUlS1P_E_NS1_11comp_targetILNS1_3genE5ELNS1_11target_archE942ELNS1_3gpuE9ELNS1_3repE0EEENS1_30default_config_static_selectorELNS0_4arch9wavefront6targetE0EEEvS12_,"axG",@progbits,_ZN7rocprim17ROCPRIM_400000_NS6detail17trampoline_kernelINS0_13select_configILj256ELj13ELNS0_17block_load_methodE3ELS4_3ELS4_3ELNS0_20block_scan_algorithmE0ELj4294967295EEENS1_25partition_config_selectorILNS1_17partition_subalgoE4EjNS0_10empty_typeEbEEZZNS1_14partition_implILS8_4ELb0ES6_15HIP_vector_typeIjLj2EENS0_17counting_iteratorIjlEEPS9_SG_NS0_5tupleIJPjSI_NS0_16reverse_iteratorISI_EEEEENSH_IJSG_SG_SG_EEES9_SI_JZNS1_25segmented_radix_sort_implINS0_14default_configELb1EPKdPdPKlPlN2at6native12_GLOBAL__N_18offset_tEEE10hipError_tPvRmT1_PNSt15iterator_traitsIS12_E10value_typeET2_T3_PNS13_IS18_E10value_typeET4_jRbjT5_S1E_jjP12ihipStream_tbEUljE_ZNSN_ISO_Lb1ESQ_SR_ST_SU_SY_EESZ_S10_S11_S12_S16_S17_S18_S1B_S1C_jS1D_jS1E_S1E_jjS1G_bEUljE0_EEESZ_S10_S11_S18_S1C_S1E_T6_T7_T9_mT8_S1G_bDpT10_ENKUlT_T0_E_clISt17integral_constantIbLb1EES1T_IbLb0EEEEDaS1P_S1Q_EUlS1P_E_NS1_11comp_targetILNS1_3genE5ELNS1_11target_archE942ELNS1_3gpuE9ELNS1_3repE0EEENS1_30default_config_static_selectorELNS0_4arch9wavefront6targetE0EEEvS12_,comdat
	.globl	_ZN7rocprim17ROCPRIM_400000_NS6detail17trampoline_kernelINS0_13select_configILj256ELj13ELNS0_17block_load_methodE3ELS4_3ELS4_3ELNS0_20block_scan_algorithmE0ELj4294967295EEENS1_25partition_config_selectorILNS1_17partition_subalgoE4EjNS0_10empty_typeEbEEZZNS1_14partition_implILS8_4ELb0ES6_15HIP_vector_typeIjLj2EENS0_17counting_iteratorIjlEEPS9_SG_NS0_5tupleIJPjSI_NS0_16reverse_iteratorISI_EEEEENSH_IJSG_SG_SG_EEES9_SI_JZNS1_25segmented_radix_sort_implINS0_14default_configELb1EPKdPdPKlPlN2at6native12_GLOBAL__N_18offset_tEEE10hipError_tPvRmT1_PNSt15iterator_traitsIS12_E10value_typeET2_T3_PNS13_IS18_E10value_typeET4_jRbjT5_S1E_jjP12ihipStream_tbEUljE_ZNSN_ISO_Lb1ESQ_SR_ST_SU_SY_EESZ_S10_S11_S12_S16_S17_S18_S1B_S1C_jS1D_jS1E_S1E_jjS1G_bEUljE0_EEESZ_S10_S11_S18_S1C_S1E_T6_T7_T9_mT8_S1G_bDpT10_ENKUlT_T0_E_clISt17integral_constantIbLb1EES1T_IbLb0EEEEDaS1P_S1Q_EUlS1P_E_NS1_11comp_targetILNS1_3genE5ELNS1_11target_archE942ELNS1_3gpuE9ELNS1_3repE0EEENS1_30default_config_static_selectorELNS0_4arch9wavefront6targetE0EEEvS12_ ; -- Begin function _ZN7rocprim17ROCPRIM_400000_NS6detail17trampoline_kernelINS0_13select_configILj256ELj13ELNS0_17block_load_methodE3ELS4_3ELS4_3ELNS0_20block_scan_algorithmE0ELj4294967295EEENS1_25partition_config_selectorILNS1_17partition_subalgoE4EjNS0_10empty_typeEbEEZZNS1_14partition_implILS8_4ELb0ES6_15HIP_vector_typeIjLj2EENS0_17counting_iteratorIjlEEPS9_SG_NS0_5tupleIJPjSI_NS0_16reverse_iteratorISI_EEEEENSH_IJSG_SG_SG_EEES9_SI_JZNS1_25segmented_radix_sort_implINS0_14default_configELb1EPKdPdPKlPlN2at6native12_GLOBAL__N_18offset_tEEE10hipError_tPvRmT1_PNSt15iterator_traitsIS12_E10value_typeET2_T3_PNS13_IS18_E10value_typeET4_jRbjT5_S1E_jjP12ihipStream_tbEUljE_ZNSN_ISO_Lb1ESQ_SR_ST_SU_SY_EESZ_S10_S11_S12_S16_S17_S18_S1B_S1C_jS1D_jS1E_S1E_jjS1G_bEUljE0_EEESZ_S10_S11_S18_S1C_S1E_T6_T7_T9_mT8_S1G_bDpT10_ENKUlT_T0_E_clISt17integral_constantIbLb1EES1T_IbLb0EEEEDaS1P_S1Q_EUlS1P_E_NS1_11comp_targetILNS1_3genE5ELNS1_11target_archE942ELNS1_3gpuE9ELNS1_3repE0EEENS1_30default_config_static_selectorELNS0_4arch9wavefront6targetE0EEEvS12_
	.p2align	8
	.type	_ZN7rocprim17ROCPRIM_400000_NS6detail17trampoline_kernelINS0_13select_configILj256ELj13ELNS0_17block_load_methodE3ELS4_3ELS4_3ELNS0_20block_scan_algorithmE0ELj4294967295EEENS1_25partition_config_selectorILNS1_17partition_subalgoE4EjNS0_10empty_typeEbEEZZNS1_14partition_implILS8_4ELb0ES6_15HIP_vector_typeIjLj2EENS0_17counting_iteratorIjlEEPS9_SG_NS0_5tupleIJPjSI_NS0_16reverse_iteratorISI_EEEEENSH_IJSG_SG_SG_EEES9_SI_JZNS1_25segmented_radix_sort_implINS0_14default_configELb1EPKdPdPKlPlN2at6native12_GLOBAL__N_18offset_tEEE10hipError_tPvRmT1_PNSt15iterator_traitsIS12_E10value_typeET2_T3_PNS13_IS18_E10value_typeET4_jRbjT5_S1E_jjP12ihipStream_tbEUljE_ZNSN_ISO_Lb1ESQ_SR_ST_SU_SY_EESZ_S10_S11_S12_S16_S17_S18_S1B_S1C_jS1D_jS1E_S1E_jjS1G_bEUljE0_EEESZ_S10_S11_S18_S1C_S1E_T6_T7_T9_mT8_S1G_bDpT10_ENKUlT_T0_E_clISt17integral_constantIbLb1EES1T_IbLb0EEEEDaS1P_S1Q_EUlS1P_E_NS1_11comp_targetILNS1_3genE5ELNS1_11target_archE942ELNS1_3gpuE9ELNS1_3repE0EEENS1_30default_config_static_selectorELNS0_4arch9wavefront6targetE0EEEvS12_,@function
_ZN7rocprim17ROCPRIM_400000_NS6detail17trampoline_kernelINS0_13select_configILj256ELj13ELNS0_17block_load_methodE3ELS4_3ELS4_3ELNS0_20block_scan_algorithmE0ELj4294967295EEENS1_25partition_config_selectorILNS1_17partition_subalgoE4EjNS0_10empty_typeEbEEZZNS1_14partition_implILS8_4ELb0ES6_15HIP_vector_typeIjLj2EENS0_17counting_iteratorIjlEEPS9_SG_NS0_5tupleIJPjSI_NS0_16reverse_iteratorISI_EEEEENSH_IJSG_SG_SG_EEES9_SI_JZNS1_25segmented_radix_sort_implINS0_14default_configELb1EPKdPdPKlPlN2at6native12_GLOBAL__N_18offset_tEEE10hipError_tPvRmT1_PNSt15iterator_traitsIS12_E10value_typeET2_T3_PNS13_IS18_E10value_typeET4_jRbjT5_S1E_jjP12ihipStream_tbEUljE_ZNSN_ISO_Lb1ESQ_SR_ST_SU_SY_EESZ_S10_S11_S12_S16_S17_S18_S1B_S1C_jS1D_jS1E_S1E_jjS1G_bEUljE0_EEESZ_S10_S11_S18_S1C_S1E_T6_T7_T9_mT8_S1G_bDpT10_ENKUlT_T0_E_clISt17integral_constantIbLb1EES1T_IbLb0EEEEDaS1P_S1Q_EUlS1P_E_NS1_11comp_targetILNS1_3genE5ELNS1_11target_archE942ELNS1_3gpuE9ELNS1_3repE0EEENS1_30default_config_static_selectorELNS0_4arch9wavefront6targetE0EEEvS12_: ; @_ZN7rocprim17ROCPRIM_400000_NS6detail17trampoline_kernelINS0_13select_configILj256ELj13ELNS0_17block_load_methodE3ELS4_3ELS4_3ELNS0_20block_scan_algorithmE0ELj4294967295EEENS1_25partition_config_selectorILNS1_17partition_subalgoE4EjNS0_10empty_typeEbEEZZNS1_14partition_implILS8_4ELb0ES6_15HIP_vector_typeIjLj2EENS0_17counting_iteratorIjlEEPS9_SG_NS0_5tupleIJPjSI_NS0_16reverse_iteratorISI_EEEEENSH_IJSG_SG_SG_EEES9_SI_JZNS1_25segmented_radix_sort_implINS0_14default_configELb1EPKdPdPKlPlN2at6native12_GLOBAL__N_18offset_tEEE10hipError_tPvRmT1_PNSt15iterator_traitsIS12_E10value_typeET2_T3_PNS13_IS18_E10value_typeET4_jRbjT5_S1E_jjP12ihipStream_tbEUljE_ZNSN_ISO_Lb1ESQ_SR_ST_SU_SY_EESZ_S10_S11_S12_S16_S17_S18_S1B_S1C_jS1D_jS1E_S1E_jjS1G_bEUljE0_EEESZ_S10_S11_S18_S1C_S1E_T6_T7_T9_mT8_S1G_bDpT10_ENKUlT_T0_E_clISt17integral_constantIbLb1EES1T_IbLb0EEEEDaS1P_S1Q_EUlS1P_E_NS1_11comp_targetILNS1_3genE5ELNS1_11target_archE942ELNS1_3gpuE9ELNS1_3repE0EEENS1_30default_config_static_selectorELNS0_4arch9wavefront6targetE0EEEvS12_
; %bb.0:
	.section	.rodata,"a",@progbits
	.p2align	6, 0x0
	.amdhsa_kernel _ZN7rocprim17ROCPRIM_400000_NS6detail17trampoline_kernelINS0_13select_configILj256ELj13ELNS0_17block_load_methodE3ELS4_3ELS4_3ELNS0_20block_scan_algorithmE0ELj4294967295EEENS1_25partition_config_selectorILNS1_17partition_subalgoE4EjNS0_10empty_typeEbEEZZNS1_14partition_implILS8_4ELb0ES6_15HIP_vector_typeIjLj2EENS0_17counting_iteratorIjlEEPS9_SG_NS0_5tupleIJPjSI_NS0_16reverse_iteratorISI_EEEEENSH_IJSG_SG_SG_EEES9_SI_JZNS1_25segmented_radix_sort_implINS0_14default_configELb1EPKdPdPKlPlN2at6native12_GLOBAL__N_18offset_tEEE10hipError_tPvRmT1_PNSt15iterator_traitsIS12_E10value_typeET2_T3_PNS13_IS18_E10value_typeET4_jRbjT5_S1E_jjP12ihipStream_tbEUljE_ZNSN_ISO_Lb1ESQ_SR_ST_SU_SY_EESZ_S10_S11_S12_S16_S17_S18_S1B_S1C_jS1D_jS1E_S1E_jjS1G_bEUljE0_EEESZ_S10_S11_S18_S1C_S1E_T6_T7_T9_mT8_S1G_bDpT10_ENKUlT_T0_E_clISt17integral_constantIbLb1EES1T_IbLb0EEEEDaS1P_S1Q_EUlS1P_E_NS1_11comp_targetILNS1_3genE5ELNS1_11target_archE942ELNS1_3gpuE9ELNS1_3repE0EEENS1_30default_config_static_selectorELNS0_4arch9wavefront6targetE0EEEvS12_
		.amdhsa_group_segment_fixed_size 0
		.amdhsa_private_segment_fixed_size 0
		.amdhsa_kernarg_size 176
		.amdhsa_user_sgpr_count 15
		.amdhsa_user_sgpr_dispatch_ptr 0
		.amdhsa_user_sgpr_queue_ptr 0
		.amdhsa_user_sgpr_kernarg_segment_ptr 1
		.amdhsa_user_sgpr_dispatch_id 0
		.amdhsa_user_sgpr_private_segment_size 0
		.amdhsa_wavefront_size32 1
		.amdhsa_uses_dynamic_stack 0
		.amdhsa_enable_private_segment 0
		.amdhsa_system_sgpr_workgroup_id_x 1
		.amdhsa_system_sgpr_workgroup_id_y 0
		.amdhsa_system_sgpr_workgroup_id_z 0
		.amdhsa_system_sgpr_workgroup_info 0
		.amdhsa_system_vgpr_workitem_id 0
		.amdhsa_next_free_vgpr 1
		.amdhsa_next_free_sgpr 1
		.amdhsa_reserve_vcc 0
		.amdhsa_float_round_mode_32 0
		.amdhsa_float_round_mode_16_64 0
		.amdhsa_float_denorm_mode_32 3
		.amdhsa_float_denorm_mode_16_64 3
		.amdhsa_dx10_clamp 1
		.amdhsa_ieee_mode 1
		.amdhsa_fp16_overflow 0
		.amdhsa_workgroup_processor_mode 1
		.amdhsa_memory_ordered 1
		.amdhsa_forward_progress 0
		.amdhsa_shared_vgpr_count 0
		.amdhsa_exception_fp_ieee_invalid_op 0
		.amdhsa_exception_fp_denorm_src 0
		.amdhsa_exception_fp_ieee_div_zero 0
		.amdhsa_exception_fp_ieee_overflow 0
		.amdhsa_exception_fp_ieee_underflow 0
		.amdhsa_exception_fp_ieee_inexact 0
		.amdhsa_exception_int_div_zero 0
	.end_amdhsa_kernel
	.section	.text._ZN7rocprim17ROCPRIM_400000_NS6detail17trampoline_kernelINS0_13select_configILj256ELj13ELNS0_17block_load_methodE3ELS4_3ELS4_3ELNS0_20block_scan_algorithmE0ELj4294967295EEENS1_25partition_config_selectorILNS1_17partition_subalgoE4EjNS0_10empty_typeEbEEZZNS1_14partition_implILS8_4ELb0ES6_15HIP_vector_typeIjLj2EENS0_17counting_iteratorIjlEEPS9_SG_NS0_5tupleIJPjSI_NS0_16reverse_iteratorISI_EEEEENSH_IJSG_SG_SG_EEES9_SI_JZNS1_25segmented_radix_sort_implINS0_14default_configELb1EPKdPdPKlPlN2at6native12_GLOBAL__N_18offset_tEEE10hipError_tPvRmT1_PNSt15iterator_traitsIS12_E10value_typeET2_T3_PNS13_IS18_E10value_typeET4_jRbjT5_S1E_jjP12ihipStream_tbEUljE_ZNSN_ISO_Lb1ESQ_SR_ST_SU_SY_EESZ_S10_S11_S12_S16_S17_S18_S1B_S1C_jS1D_jS1E_S1E_jjS1G_bEUljE0_EEESZ_S10_S11_S18_S1C_S1E_T6_T7_T9_mT8_S1G_bDpT10_ENKUlT_T0_E_clISt17integral_constantIbLb1EES1T_IbLb0EEEEDaS1P_S1Q_EUlS1P_E_NS1_11comp_targetILNS1_3genE5ELNS1_11target_archE942ELNS1_3gpuE9ELNS1_3repE0EEENS1_30default_config_static_selectorELNS0_4arch9wavefront6targetE0EEEvS12_,"axG",@progbits,_ZN7rocprim17ROCPRIM_400000_NS6detail17trampoline_kernelINS0_13select_configILj256ELj13ELNS0_17block_load_methodE3ELS4_3ELS4_3ELNS0_20block_scan_algorithmE0ELj4294967295EEENS1_25partition_config_selectorILNS1_17partition_subalgoE4EjNS0_10empty_typeEbEEZZNS1_14partition_implILS8_4ELb0ES6_15HIP_vector_typeIjLj2EENS0_17counting_iteratorIjlEEPS9_SG_NS0_5tupleIJPjSI_NS0_16reverse_iteratorISI_EEEEENSH_IJSG_SG_SG_EEES9_SI_JZNS1_25segmented_radix_sort_implINS0_14default_configELb1EPKdPdPKlPlN2at6native12_GLOBAL__N_18offset_tEEE10hipError_tPvRmT1_PNSt15iterator_traitsIS12_E10value_typeET2_T3_PNS13_IS18_E10value_typeET4_jRbjT5_S1E_jjP12ihipStream_tbEUljE_ZNSN_ISO_Lb1ESQ_SR_ST_SU_SY_EESZ_S10_S11_S12_S16_S17_S18_S1B_S1C_jS1D_jS1E_S1E_jjS1G_bEUljE0_EEESZ_S10_S11_S18_S1C_S1E_T6_T7_T9_mT8_S1G_bDpT10_ENKUlT_T0_E_clISt17integral_constantIbLb1EES1T_IbLb0EEEEDaS1P_S1Q_EUlS1P_E_NS1_11comp_targetILNS1_3genE5ELNS1_11target_archE942ELNS1_3gpuE9ELNS1_3repE0EEENS1_30default_config_static_selectorELNS0_4arch9wavefront6targetE0EEEvS12_,comdat
.Lfunc_end1071:
	.size	_ZN7rocprim17ROCPRIM_400000_NS6detail17trampoline_kernelINS0_13select_configILj256ELj13ELNS0_17block_load_methodE3ELS4_3ELS4_3ELNS0_20block_scan_algorithmE0ELj4294967295EEENS1_25partition_config_selectorILNS1_17partition_subalgoE4EjNS0_10empty_typeEbEEZZNS1_14partition_implILS8_4ELb0ES6_15HIP_vector_typeIjLj2EENS0_17counting_iteratorIjlEEPS9_SG_NS0_5tupleIJPjSI_NS0_16reverse_iteratorISI_EEEEENSH_IJSG_SG_SG_EEES9_SI_JZNS1_25segmented_radix_sort_implINS0_14default_configELb1EPKdPdPKlPlN2at6native12_GLOBAL__N_18offset_tEEE10hipError_tPvRmT1_PNSt15iterator_traitsIS12_E10value_typeET2_T3_PNS13_IS18_E10value_typeET4_jRbjT5_S1E_jjP12ihipStream_tbEUljE_ZNSN_ISO_Lb1ESQ_SR_ST_SU_SY_EESZ_S10_S11_S12_S16_S17_S18_S1B_S1C_jS1D_jS1E_S1E_jjS1G_bEUljE0_EEESZ_S10_S11_S18_S1C_S1E_T6_T7_T9_mT8_S1G_bDpT10_ENKUlT_T0_E_clISt17integral_constantIbLb1EES1T_IbLb0EEEEDaS1P_S1Q_EUlS1P_E_NS1_11comp_targetILNS1_3genE5ELNS1_11target_archE942ELNS1_3gpuE9ELNS1_3repE0EEENS1_30default_config_static_selectorELNS0_4arch9wavefront6targetE0EEEvS12_, .Lfunc_end1071-_ZN7rocprim17ROCPRIM_400000_NS6detail17trampoline_kernelINS0_13select_configILj256ELj13ELNS0_17block_load_methodE3ELS4_3ELS4_3ELNS0_20block_scan_algorithmE0ELj4294967295EEENS1_25partition_config_selectorILNS1_17partition_subalgoE4EjNS0_10empty_typeEbEEZZNS1_14partition_implILS8_4ELb0ES6_15HIP_vector_typeIjLj2EENS0_17counting_iteratorIjlEEPS9_SG_NS0_5tupleIJPjSI_NS0_16reverse_iteratorISI_EEEEENSH_IJSG_SG_SG_EEES9_SI_JZNS1_25segmented_radix_sort_implINS0_14default_configELb1EPKdPdPKlPlN2at6native12_GLOBAL__N_18offset_tEEE10hipError_tPvRmT1_PNSt15iterator_traitsIS12_E10value_typeET2_T3_PNS13_IS18_E10value_typeET4_jRbjT5_S1E_jjP12ihipStream_tbEUljE_ZNSN_ISO_Lb1ESQ_SR_ST_SU_SY_EESZ_S10_S11_S12_S16_S17_S18_S1B_S1C_jS1D_jS1E_S1E_jjS1G_bEUljE0_EEESZ_S10_S11_S18_S1C_S1E_T6_T7_T9_mT8_S1G_bDpT10_ENKUlT_T0_E_clISt17integral_constantIbLb1EES1T_IbLb0EEEEDaS1P_S1Q_EUlS1P_E_NS1_11comp_targetILNS1_3genE5ELNS1_11target_archE942ELNS1_3gpuE9ELNS1_3repE0EEENS1_30default_config_static_selectorELNS0_4arch9wavefront6targetE0EEEvS12_
                                        ; -- End function
	.section	.AMDGPU.csdata,"",@progbits
; Kernel info:
; codeLenInByte = 0
; NumSgprs: 0
; NumVgprs: 0
; ScratchSize: 0
; MemoryBound: 0
; FloatMode: 240
; IeeeMode: 1
; LDSByteSize: 0 bytes/workgroup (compile time only)
; SGPRBlocks: 0
; VGPRBlocks: 0
; NumSGPRsForWavesPerEU: 1
; NumVGPRsForWavesPerEU: 1
; Occupancy: 16
; WaveLimiterHint : 0
; COMPUTE_PGM_RSRC2:SCRATCH_EN: 0
; COMPUTE_PGM_RSRC2:USER_SGPR: 15
; COMPUTE_PGM_RSRC2:TRAP_HANDLER: 0
; COMPUTE_PGM_RSRC2:TGID_X_EN: 1
; COMPUTE_PGM_RSRC2:TGID_Y_EN: 0
; COMPUTE_PGM_RSRC2:TGID_Z_EN: 0
; COMPUTE_PGM_RSRC2:TIDIG_COMP_CNT: 0
	.section	.text._ZN7rocprim17ROCPRIM_400000_NS6detail17trampoline_kernelINS0_13select_configILj256ELj13ELNS0_17block_load_methodE3ELS4_3ELS4_3ELNS0_20block_scan_algorithmE0ELj4294967295EEENS1_25partition_config_selectorILNS1_17partition_subalgoE4EjNS0_10empty_typeEbEEZZNS1_14partition_implILS8_4ELb0ES6_15HIP_vector_typeIjLj2EENS0_17counting_iteratorIjlEEPS9_SG_NS0_5tupleIJPjSI_NS0_16reverse_iteratorISI_EEEEENSH_IJSG_SG_SG_EEES9_SI_JZNS1_25segmented_radix_sort_implINS0_14default_configELb1EPKdPdPKlPlN2at6native12_GLOBAL__N_18offset_tEEE10hipError_tPvRmT1_PNSt15iterator_traitsIS12_E10value_typeET2_T3_PNS13_IS18_E10value_typeET4_jRbjT5_S1E_jjP12ihipStream_tbEUljE_ZNSN_ISO_Lb1ESQ_SR_ST_SU_SY_EESZ_S10_S11_S12_S16_S17_S18_S1B_S1C_jS1D_jS1E_S1E_jjS1G_bEUljE0_EEESZ_S10_S11_S18_S1C_S1E_T6_T7_T9_mT8_S1G_bDpT10_ENKUlT_T0_E_clISt17integral_constantIbLb1EES1T_IbLb0EEEEDaS1P_S1Q_EUlS1P_E_NS1_11comp_targetILNS1_3genE4ELNS1_11target_archE910ELNS1_3gpuE8ELNS1_3repE0EEENS1_30default_config_static_selectorELNS0_4arch9wavefront6targetE0EEEvS12_,"axG",@progbits,_ZN7rocprim17ROCPRIM_400000_NS6detail17trampoline_kernelINS0_13select_configILj256ELj13ELNS0_17block_load_methodE3ELS4_3ELS4_3ELNS0_20block_scan_algorithmE0ELj4294967295EEENS1_25partition_config_selectorILNS1_17partition_subalgoE4EjNS0_10empty_typeEbEEZZNS1_14partition_implILS8_4ELb0ES6_15HIP_vector_typeIjLj2EENS0_17counting_iteratorIjlEEPS9_SG_NS0_5tupleIJPjSI_NS0_16reverse_iteratorISI_EEEEENSH_IJSG_SG_SG_EEES9_SI_JZNS1_25segmented_radix_sort_implINS0_14default_configELb1EPKdPdPKlPlN2at6native12_GLOBAL__N_18offset_tEEE10hipError_tPvRmT1_PNSt15iterator_traitsIS12_E10value_typeET2_T3_PNS13_IS18_E10value_typeET4_jRbjT5_S1E_jjP12ihipStream_tbEUljE_ZNSN_ISO_Lb1ESQ_SR_ST_SU_SY_EESZ_S10_S11_S12_S16_S17_S18_S1B_S1C_jS1D_jS1E_S1E_jjS1G_bEUljE0_EEESZ_S10_S11_S18_S1C_S1E_T6_T7_T9_mT8_S1G_bDpT10_ENKUlT_T0_E_clISt17integral_constantIbLb1EES1T_IbLb0EEEEDaS1P_S1Q_EUlS1P_E_NS1_11comp_targetILNS1_3genE4ELNS1_11target_archE910ELNS1_3gpuE8ELNS1_3repE0EEENS1_30default_config_static_selectorELNS0_4arch9wavefront6targetE0EEEvS12_,comdat
	.globl	_ZN7rocprim17ROCPRIM_400000_NS6detail17trampoline_kernelINS0_13select_configILj256ELj13ELNS0_17block_load_methodE3ELS4_3ELS4_3ELNS0_20block_scan_algorithmE0ELj4294967295EEENS1_25partition_config_selectorILNS1_17partition_subalgoE4EjNS0_10empty_typeEbEEZZNS1_14partition_implILS8_4ELb0ES6_15HIP_vector_typeIjLj2EENS0_17counting_iteratorIjlEEPS9_SG_NS0_5tupleIJPjSI_NS0_16reverse_iteratorISI_EEEEENSH_IJSG_SG_SG_EEES9_SI_JZNS1_25segmented_radix_sort_implINS0_14default_configELb1EPKdPdPKlPlN2at6native12_GLOBAL__N_18offset_tEEE10hipError_tPvRmT1_PNSt15iterator_traitsIS12_E10value_typeET2_T3_PNS13_IS18_E10value_typeET4_jRbjT5_S1E_jjP12ihipStream_tbEUljE_ZNSN_ISO_Lb1ESQ_SR_ST_SU_SY_EESZ_S10_S11_S12_S16_S17_S18_S1B_S1C_jS1D_jS1E_S1E_jjS1G_bEUljE0_EEESZ_S10_S11_S18_S1C_S1E_T6_T7_T9_mT8_S1G_bDpT10_ENKUlT_T0_E_clISt17integral_constantIbLb1EES1T_IbLb0EEEEDaS1P_S1Q_EUlS1P_E_NS1_11comp_targetILNS1_3genE4ELNS1_11target_archE910ELNS1_3gpuE8ELNS1_3repE0EEENS1_30default_config_static_selectorELNS0_4arch9wavefront6targetE0EEEvS12_ ; -- Begin function _ZN7rocprim17ROCPRIM_400000_NS6detail17trampoline_kernelINS0_13select_configILj256ELj13ELNS0_17block_load_methodE3ELS4_3ELS4_3ELNS0_20block_scan_algorithmE0ELj4294967295EEENS1_25partition_config_selectorILNS1_17partition_subalgoE4EjNS0_10empty_typeEbEEZZNS1_14partition_implILS8_4ELb0ES6_15HIP_vector_typeIjLj2EENS0_17counting_iteratorIjlEEPS9_SG_NS0_5tupleIJPjSI_NS0_16reverse_iteratorISI_EEEEENSH_IJSG_SG_SG_EEES9_SI_JZNS1_25segmented_radix_sort_implINS0_14default_configELb1EPKdPdPKlPlN2at6native12_GLOBAL__N_18offset_tEEE10hipError_tPvRmT1_PNSt15iterator_traitsIS12_E10value_typeET2_T3_PNS13_IS18_E10value_typeET4_jRbjT5_S1E_jjP12ihipStream_tbEUljE_ZNSN_ISO_Lb1ESQ_SR_ST_SU_SY_EESZ_S10_S11_S12_S16_S17_S18_S1B_S1C_jS1D_jS1E_S1E_jjS1G_bEUljE0_EEESZ_S10_S11_S18_S1C_S1E_T6_T7_T9_mT8_S1G_bDpT10_ENKUlT_T0_E_clISt17integral_constantIbLb1EES1T_IbLb0EEEEDaS1P_S1Q_EUlS1P_E_NS1_11comp_targetILNS1_3genE4ELNS1_11target_archE910ELNS1_3gpuE8ELNS1_3repE0EEENS1_30default_config_static_selectorELNS0_4arch9wavefront6targetE0EEEvS12_
	.p2align	8
	.type	_ZN7rocprim17ROCPRIM_400000_NS6detail17trampoline_kernelINS0_13select_configILj256ELj13ELNS0_17block_load_methodE3ELS4_3ELS4_3ELNS0_20block_scan_algorithmE0ELj4294967295EEENS1_25partition_config_selectorILNS1_17partition_subalgoE4EjNS0_10empty_typeEbEEZZNS1_14partition_implILS8_4ELb0ES6_15HIP_vector_typeIjLj2EENS0_17counting_iteratorIjlEEPS9_SG_NS0_5tupleIJPjSI_NS0_16reverse_iteratorISI_EEEEENSH_IJSG_SG_SG_EEES9_SI_JZNS1_25segmented_radix_sort_implINS0_14default_configELb1EPKdPdPKlPlN2at6native12_GLOBAL__N_18offset_tEEE10hipError_tPvRmT1_PNSt15iterator_traitsIS12_E10value_typeET2_T3_PNS13_IS18_E10value_typeET4_jRbjT5_S1E_jjP12ihipStream_tbEUljE_ZNSN_ISO_Lb1ESQ_SR_ST_SU_SY_EESZ_S10_S11_S12_S16_S17_S18_S1B_S1C_jS1D_jS1E_S1E_jjS1G_bEUljE0_EEESZ_S10_S11_S18_S1C_S1E_T6_T7_T9_mT8_S1G_bDpT10_ENKUlT_T0_E_clISt17integral_constantIbLb1EES1T_IbLb0EEEEDaS1P_S1Q_EUlS1P_E_NS1_11comp_targetILNS1_3genE4ELNS1_11target_archE910ELNS1_3gpuE8ELNS1_3repE0EEENS1_30default_config_static_selectorELNS0_4arch9wavefront6targetE0EEEvS12_,@function
_ZN7rocprim17ROCPRIM_400000_NS6detail17trampoline_kernelINS0_13select_configILj256ELj13ELNS0_17block_load_methodE3ELS4_3ELS4_3ELNS0_20block_scan_algorithmE0ELj4294967295EEENS1_25partition_config_selectorILNS1_17partition_subalgoE4EjNS0_10empty_typeEbEEZZNS1_14partition_implILS8_4ELb0ES6_15HIP_vector_typeIjLj2EENS0_17counting_iteratorIjlEEPS9_SG_NS0_5tupleIJPjSI_NS0_16reverse_iteratorISI_EEEEENSH_IJSG_SG_SG_EEES9_SI_JZNS1_25segmented_radix_sort_implINS0_14default_configELb1EPKdPdPKlPlN2at6native12_GLOBAL__N_18offset_tEEE10hipError_tPvRmT1_PNSt15iterator_traitsIS12_E10value_typeET2_T3_PNS13_IS18_E10value_typeET4_jRbjT5_S1E_jjP12ihipStream_tbEUljE_ZNSN_ISO_Lb1ESQ_SR_ST_SU_SY_EESZ_S10_S11_S12_S16_S17_S18_S1B_S1C_jS1D_jS1E_S1E_jjS1G_bEUljE0_EEESZ_S10_S11_S18_S1C_S1E_T6_T7_T9_mT8_S1G_bDpT10_ENKUlT_T0_E_clISt17integral_constantIbLb1EES1T_IbLb0EEEEDaS1P_S1Q_EUlS1P_E_NS1_11comp_targetILNS1_3genE4ELNS1_11target_archE910ELNS1_3gpuE8ELNS1_3repE0EEENS1_30default_config_static_selectorELNS0_4arch9wavefront6targetE0EEEvS12_: ; @_ZN7rocprim17ROCPRIM_400000_NS6detail17trampoline_kernelINS0_13select_configILj256ELj13ELNS0_17block_load_methodE3ELS4_3ELS4_3ELNS0_20block_scan_algorithmE0ELj4294967295EEENS1_25partition_config_selectorILNS1_17partition_subalgoE4EjNS0_10empty_typeEbEEZZNS1_14partition_implILS8_4ELb0ES6_15HIP_vector_typeIjLj2EENS0_17counting_iteratorIjlEEPS9_SG_NS0_5tupleIJPjSI_NS0_16reverse_iteratorISI_EEEEENSH_IJSG_SG_SG_EEES9_SI_JZNS1_25segmented_radix_sort_implINS0_14default_configELb1EPKdPdPKlPlN2at6native12_GLOBAL__N_18offset_tEEE10hipError_tPvRmT1_PNSt15iterator_traitsIS12_E10value_typeET2_T3_PNS13_IS18_E10value_typeET4_jRbjT5_S1E_jjP12ihipStream_tbEUljE_ZNSN_ISO_Lb1ESQ_SR_ST_SU_SY_EESZ_S10_S11_S12_S16_S17_S18_S1B_S1C_jS1D_jS1E_S1E_jjS1G_bEUljE0_EEESZ_S10_S11_S18_S1C_S1E_T6_T7_T9_mT8_S1G_bDpT10_ENKUlT_T0_E_clISt17integral_constantIbLb1EES1T_IbLb0EEEEDaS1P_S1Q_EUlS1P_E_NS1_11comp_targetILNS1_3genE4ELNS1_11target_archE910ELNS1_3gpuE8ELNS1_3repE0EEENS1_30default_config_static_selectorELNS0_4arch9wavefront6targetE0EEEvS12_
; %bb.0:
	.section	.rodata,"a",@progbits
	.p2align	6, 0x0
	.amdhsa_kernel _ZN7rocprim17ROCPRIM_400000_NS6detail17trampoline_kernelINS0_13select_configILj256ELj13ELNS0_17block_load_methodE3ELS4_3ELS4_3ELNS0_20block_scan_algorithmE0ELj4294967295EEENS1_25partition_config_selectorILNS1_17partition_subalgoE4EjNS0_10empty_typeEbEEZZNS1_14partition_implILS8_4ELb0ES6_15HIP_vector_typeIjLj2EENS0_17counting_iteratorIjlEEPS9_SG_NS0_5tupleIJPjSI_NS0_16reverse_iteratorISI_EEEEENSH_IJSG_SG_SG_EEES9_SI_JZNS1_25segmented_radix_sort_implINS0_14default_configELb1EPKdPdPKlPlN2at6native12_GLOBAL__N_18offset_tEEE10hipError_tPvRmT1_PNSt15iterator_traitsIS12_E10value_typeET2_T3_PNS13_IS18_E10value_typeET4_jRbjT5_S1E_jjP12ihipStream_tbEUljE_ZNSN_ISO_Lb1ESQ_SR_ST_SU_SY_EESZ_S10_S11_S12_S16_S17_S18_S1B_S1C_jS1D_jS1E_S1E_jjS1G_bEUljE0_EEESZ_S10_S11_S18_S1C_S1E_T6_T7_T9_mT8_S1G_bDpT10_ENKUlT_T0_E_clISt17integral_constantIbLb1EES1T_IbLb0EEEEDaS1P_S1Q_EUlS1P_E_NS1_11comp_targetILNS1_3genE4ELNS1_11target_archE910ELNS1_3gpuE8ELNS1_3repE0EEENS1_30default_config_static_selectorELNS0_4arch9wavefront6targetE0EEEvS12_
		.amdhsa_group_segment_fixed_size 0
		.amdhsa_private_segment_fixed_size 0
		.amdhsa_kernarg_size 176
		.amdhsa_user_sgpr_count 15
		.amdhsa_user_sgpr_dispatch_ptr 0
		.amdhsa_user_sgpr_queue_ptr 0
		.amdhsa_user_sgpr_kernarg_segment_ptr 1
		.amdhsa_user_sgpr_dispatch_id 0
		.amdhsa_user_sgpr_private_segment_size 0
		.amdhsa_wavefront_size32 1
		.amdhsa_uses_dynamic_stack 0
		.amdhsa_enable_private_segment 0
		.amdhsa_system_sgpr_workgroup_id_x 1
		.amdhsa_system_sgpr_workgroup_id_y 0
		.amdhsa_system_sgpr_workgroup_id_z 0
		.amdhsa_system_sgpr_workgroup_info 0
		.amdhsa_system_vgpr_workitem_id 0
		.amdhsa_next_free_vgpr 1
		.amdhsa_next_free_sgpr 1
		.amdhsa_reserve_vcc 0
		.amdhsa_float_round_mode_32 0
		.amdhsa_float_round_mode_16_64 0
		.amdhsa_float_denorm_mode_32 3
		.amdhsa_float_denorm_mode_16_64 3
		.amdhsa_dx10_clamp 1
		.amdhsa_ieee_mode 1
		.amdhsa_fp16_overflow 0
		.amdhsa_workgroup_processor_mode 1
		.amdhsa_memory_ordered 1
		.amdhsa_forward_progress 0
		.amdhsa_shared_vgpr_count 0
		.amdhsa_exception_fp_ieee_invalid_op 0
		.amdhsa_exception_fp_denorm_src 0
		.amdhsa_exception_fp_ieee_div_zero 0
		.amdhsa_exception_fp_ieee_overflow 0
		.amdhsa_exception_fp_ieee_underflow 0
		.amdhsa_exception_fp_ieee_inexact 0
		.amdhsa_exception_int_div_zero 0
	.end_amdhsa_kernel
	.section	.text._ZN7rocprim17ROCPRIM_400000_NS6detail17trampoline_kernelINS0_13select_configILj256ELj13ELNS0_17block_load_methodE3ELS4_3ELS4_3ELNS0_20block_scan_algorithmE0ELj4294967295EEENS1_25partition_config_selectorILNS1_17partition_subalgoE4EjNS0_10empty_typeEbEEZZNS1_14partition_implILS8_4ELb0ES6_15HIP_vector_typeIjLj2EENS0_17counting_iteratorIjlEEPS9_SG_NS0_5tupleIJPjSI_NS0_16reverse_iteratorISI_EEEEENSH_IJSG_SG_SG_EEES9_SI_JZNS1_25segmented_radix_sort_implINS0_14default_configELb1EPKdPdPKlPlN2at6native12_GLOBAL__N_18offset_tEEE10hipError_tPvRmT1_PNSt15iterator_traitsIS12_E10value_typeET2_T3_PNS13_IS18_E10value_typeET4_jRbjT5_S1E_jjP12ihipStream_tbEUljE_ZNSN_ISO_Lb1ESQ_SR_ST_SU_SY_EESZ_S10_S11_S12_S16_S17_S18_S1B_S1C_jS1D_jS1E_S1E_jjS1G_bEUljE0_EEESZ_S10_S11_S18_S1C_S1E_T6_T7_T9_mT8_S1G_bDpT10_ENKUlT_T0_E_clISt17integral_constantIbLb1EES1T_IbLb0EEEEDaS1P_S1Q_EUlS1P_E_NS1_11comp_targetILNS1_3genE4ELNS1_11target_archE910ELNS1_3gpuE8ELNS1_3repE0EEENS1_30default_config_static_selectorELNS0_4arch9wavefront6targetE0EEEvS12_,"axG",@progbits,_ZN7rocprim17ROCPRIM_400000_NS6detail17trampoline_kernelINS0_13select_configILj256ELj13ELNS0_17block_load_methodE3ELS4_3ELS4_3ELNS0_20block_scan_algorithmE0ELj4294967295EEENS1_25partition_config_selectorILNS1_17partition_subalgoE4EjNS0_10empty_typeEbEEZZNS1_14partition_implILS8_4ELb0ES6_15HIP_vector_typeIjLj2EENS0_17counting_iteratorIjlEEPS9_SG_NS0_5tupleIJPjSI_NS0_16reverse_iteratorISI_EEEEENSH_IJSG_SG_SG_EEES9_SI_JZNS1_25segmented_radix_sort_implINS0_14default_configELb1EPKdPdPKlPlN2at6native12_GLOBAL__N_18offset_tEEE10hipError_tPvRmT1_PNSt15iterator_traitsIS12_E10value_typeET2_T3_PNS13_IS18_E10value_typeET4_jRbjT5_S1E_jjP12ihipStream_tbEUljE_ZNSN_ISO_Lb1ESQ_SR_ST_SU_SY_EESZ_S10_S11_S12_S16_S17_S18_S1B_S1C_jS1D_jS1E_S1E_jjS1G_bEUljE0_EEESZ_S10_S11_S18_S1C_S1E_T6_T7_T9_mT8_S1G_bDpT10_ENKUlT_T0_E_clISt17integral_constantIbLb1EES1T_IbLb0EEEEDaS1P_S1Q_EUlS1P_E_NS1_11comp_targetILNS1_3genE4ELNS1_11target_archE910ELNS1_3gpuE8ELNS1_3repE0EEENS1_30default_config_static_selectorELNS0_4arch9wavefront6targetE0EEEvS12_,comdat
.Lfunc_end1072:
	.size	_ZN7rocprim17ROCPRIM_400000_NS6detail17trampoline_kernelINS0_13select_configILj256ELj13ELNS0_17block_load_methodE3ELS4_3ELS4_3ELNS0_20block_scan_algorithmE0ELj4294967295EEENS1_25partition_config_selectorILNS1_17partition_subalgoE4EjNS0_10empty_typeEbEEZZNS1_14partition_implILS8_4ELb0ES6_15HIP_vector_typeIjLj2EENS0_17counting_iteratorIjlEEPS9_SG_NS0_5tupleIJPjSI_NS0_16reverse_iteratorISI_EEEEENSH_IJSG_SG_SG_EEES9_SI_JZNS1_25segmented_radix_sort_implINS0_14default_configELb1EPKdPdPKlPlN2at6native12_GLOBAL__N_18offset_tEEE10hipError_tPvRmT1_PNSt15iterator_traitsIS12_E10value_typeET2_T3_PNS13_IS18_E10value_typeET4_jRbjT5_S1E_jjP12ihipStream_tbEUljE_ZNSN_ISO_Lb1ESQ_SR_ST_SU_SY_EESZ_S10_S11_S12_S16_S17_S18_S1B_S1C_jS1D_jS1E_S1E_jjS1G_bEUljE0_EEESZ_S10_S11_S18_S1C_S1E_T6_T7_T9_mT8_S1G_bDpT10_ENKUlT_T0_E_clISt17integral_constantIbLb1EES1T_IbLb0EEEEDaS1P_S1Q_EUlS1P_E_NS1_11comp_targetILNS1_3genE4ELNS1_11target_archE910ELNS1_3gpuE8ELNS1_3repE0EEENS1_30default_config_static_selectorELNS0_4arch9wavefront6targetE0EEEvS12_, .Lfunc_end1072-_ZN7rocprim17ROCPRIM_400000_NS6detail17trampoline_kernelINS0_13select_configILj256ELj13ELNS0_17block_load_methodE3ELS4_3ELS4_3ELNS0_20block_scan_algorithmE0ELj4294967295EEENS1_25partition_config_selectorILNS1_17partition_subalgoE4EjNS0_10empty_typeEbEEZZNS1_14partition_implILS8_4ELb0ES6_15HIP_vector_typeIjLj2EENS0_17counting_iteratorIjlEEPS9_SG_NS0_5tupleIJPjSI_NS0_16reverse_iteratorISI_EEEEENSH_IJSG_SG_SG_EEES9_SI_JZNS1_25segmented_radix_sort_implINS0_14default_configELb1EPKdPdPKlPlN2at6native12_GLOBAL__N_18offset_tEEE10hipError_tPvRmT1_PNSt15iterator_traitsIS12_E10value_typeET2_T3_PNS13_IS18_E10value_typeET4_jRbjT5_S1E_jjP12ihipStream_tbEUljE_ZNSN_ISO_Lb1ESQ_SR_ST_SU_SY_EESZ_S10_S11_S12_S16_S17_S18_S1B_S1C_jS1D_jS1E_S1E_jjS1G_bEUljE0_EEESZ_S10_S11_S18_S1C_S1E_T6_T7_T9_mT8_S1G_bDpT10_ENKUlT_T0_E_clISt17integral_constantIbLb1EES1T_IbLb0EEEEDaS1P_S1Q_EUlS1P_E_NS1_11comp_targetILNS1_3genE4ELNS1_11target_archE910ELNS1_3gpuE8ELNS1_3repE0EEENS1_30default_config_static_selectorELNS0_4arch9wavefront6targetE0EEEvS12_
                                        ; -- End function
	.section	.AMDGPU.csdata,"",@progbits
; Kernel info:
; codeLenInByte = 0
; NumSgprs: 0
; NumVgprs: 0
; ScratchSize: 0
; MemoryBound: 0
; FloatMode: 240
; IeeeMode: 1
; LDSByteSize: 0 bytes/workgroup (compile time only)
; SGPRBlocks: 0
; VGPRBlocks: 0
; NumSGPRsForWavesPerEU: 1
; NumVGPRsForWavesPerEU: 1
; Occupancy: 16
; WaveLimiterHint : 0
; COMPUTE_PGM_RSRC2:SCRATCH_EN: 0
; COMPUTE_PGM_RSRC2:USER_SGPR: 15
; COMPUTE_PGM_RSRC2:TRAP_HANDLER: 0
; COMPUTE_PGM_RSRC2:TGID_X_EN: 1
; COMPUTE_PGM_RSRC2:TGID_Y_EN: 0
; COMPUTE_PGM_RSRC2:TGID_Z_EN: 0
; COMPUTE_PGM_RSRC2:TIDIG_COMP_CNT: 0
	.section	.text._ZN7rocprim17ROCPRIM_400000_NS6detail17trampoline_kernelINS0_13select_configILj256ELj13ELNS0_17block_load_methodE3ELS4_3ELS4_3ELNS0_20block_scan_algorithmE0ELj4294967295EEENS1_25partition_config_selectorILNS1_17partition_subalgoE4EjNS0_10empty_typeEbEEZZNS1_14partition_implILS8_4ELb0ES6_15HIP_vector_typeIjLj2EENS0_17counting_iteratorIjlEEPS9_SG_NS0_5tupleIJPjSI_NS0_16reverse_iteratorISI_EEEEENSH_IJSG_SG_SG_EEES9_SI_JZNS1_25segmented_radix_sort_implINS0_14default_configELb1EPKdPdPKlPlN2at6native12_GLOBAL__N_18offset_tEEE10hipError_tPvRmT1_PNSt15iterator_traitsIS12_E10value_typeET2_T3_PNS13_IS18_E10value_typeET4_jRbjT5_S1E_jjP12ihipStream_tbEUljE_ZNSN_ISO_Lb1ESQ_SR_ST_SU_SY_EESZ_S10_S11_S12_S16_S17_S18_S1B_S1C_jS1D_jS1E_S1E_jjS1G_bEUljE0_EEESZ_S10_S11_S18_S1C_S1E_T6_T7_T9_mT8_S1G_bDpT10_ENKUlT_T0_E_clISt17integral_constantIbLb1EES1T_IbLb0EEEEDaS1P_S1Q_EUlS1P_E_NS1_11comp_targetILNS1_3genE3ELNS1_11target_archE908ELNS1_3gpuE7ELNS1_3repE0EEENS1_30default_config_static_selectorELNS0_4arch9wavefront6targetE0EEEvS12_,"axG",@progbits,_ZN7rocprim17ROCPRIM_400000_NS6detail17trampoline_kernelINS0_13select_configILj256ELj13ELNS0_17block_load_methodE3ELS4_3ELS4_3ELNS0_20block_scan_algorithmE0ELj4294967295EEENS1_25partition_config_selectorILNS1_17partition_subalgoE4EjNS0_10empty_typeEbEEZZNS1_14partition_implILS8_4ELb0ES6_15HIP_vector_typeIjLj2EENS0_17counting_iteratorIjlEEPS9_SG_NS0_5tupleIJPjSI_NS0_16reverse_iteratorISI_EEEEENSH_IJSG_SG_SG_EEES9_SI_JZNS1_25segmented_radix_sort_implINS0_14default_configELb1EPKdPdPKlPlN2at6native12_GLOBAL__N_18offset_tEEE10hipError_tPvRmT1_PNSt15iterator_traitsIS12_E10value_typeET2_T3_PNS13_IS18_E10value_typeET4_jRbjT5_S1E_jjP12ihipStream_tbEUljE_ZNSN_ISO_Lb1ESQ_SR_ST_SU_SY_EESZ_S10_S11_S12_S16_S17_S18_S1B_S1C_jS1D_jS1E_S1E_jjS1G_bEUljE0_EEESZ_S10_S11_S18_S1C_S1E_T6_T7_T9_mT8_S1G_bDpT10_ENKUlT_T0_E_clISt17integral_constantIbLb1EES1T_IbLb0EEEEDaS1P_S1Q_EUlS1P_E_NS1_11comp_targetILNS1_3genE3ELNS1_11target_archE908ELNS1_3gpuE7ELNS1_3repE0EEENS1_30default_config_static_selectorELNS0_4arch9wavefront6targetE0EEEvS12_,comdat
	.globl	_ZN7rocprim17ROCPRIM_400000_NS6detail17trampoline_kernelINS0_13select_configILj256ELj13ELNS0_17block_load_methodE3ELS4_3ELS4_3ELNS0_20block_scan_algorithmE0ELj4294967295EEENS1_25partition_config_selectorILNS1_17partition_subalgoE4EjNS0_10empty_typeEbEEZZNS1_14partition_implILS8_4ELb0ES6_15HIP_vector_typeIjLj2EENS0_17counting_iteratorIjlEEPS9_SG_NS0_5tupleIJPjSI_NS0_16reverse_iteratorISI_EEEEENSH_IJSG_SG_SG_EEES9_SI_JZNS1_25segmented_radix_sort_implINS0_14default_configELb1EPKdPdPKlPlN2at6native12_GLOBAL__N_18offset_tEEE10hipError_tPvRmT1_PNSt15iterator_traitsIS12_E10value_typeET2_T3_PNS13_IS18_E10value_typeET4_jRbjT5_S1E_jjP12ihipStream_tbEUljE_ZNSN_ISO_Lb1ESQ_SR_ST_SU_SY_EESZ_S10_S11_S12_S16_S17_S18_S1B_S1C_jS1D_jS1E_S1E_jjS1G_bEUljE0_EEESZ_S10_S11_S18_S1C_S1E_T6_T7_T9_mT8_S1G_bDpT10_ENKUlT_T0_E_clISt17integral_constantIbLb1EES1T_IbLb0EEEEDaS1P_S1Q_EUlS1P_E_NS1_11comp_targetILNS1_3genE3ELNS1_11target_archE908ELNS1_3gpuE7ELNS1_3repE0EEENS1_30default_config_static_selectorELNS0_4arch9wavefront6targetE0EEEvS12_ ; -- Begin function _ZN7rocprim17ROCPRIM_400000_NS6detail17trampoline_kernelINS0_13select_configILj256ELj13ELNS0_17block_load_methodE3ELS4_3ELS4_3ELNS0_20block_scan_algorithmE0ELj4294967295EEENS1_25partition_config_selectorILNS1_17partition_subalgoE4EjNS0_10empty_typeEbEEZZNS1_14partition_implILS8_4ELb0ES6_15HIP_vector_typeIjLj2EENS0_17counting_iteratorIjlEEPS9_SG_NS0_5tupleIJPjSI_NS0_16reverse_iteratorISI_EEEEENSH_IJSG_SG_SG_EEES9_SI_JZNS1_25segmented_radix_sort_implINS0_14default_configELb1EPKdPdPKlPlN2at6native12_GLOBAL__N_18offset_tEEE10hipError_tPvRmT1_PNSt15iterator_traitsIS12_E10value_typeET2_T3_PNS13_IS18_E10value_typeET4_jRbjT5_S1E_jjP12ihipStream_tbEUljE_ZNSN_ISO_Lb1ESQ_SR_ST_SU_SY_EESZ_S10_S11_S12_S16_S17_S18_S1B_S1C_jS1D_jS1E_S1E_jjS1G_bEUljE0_EEESZ_S10_S11_S18_S1C_S1E_T6_T7_T9_mT8_S1G_bDpT10_ENKUlT_T0_E_clISt17integral_constantIbLb1EES1T_IbLb0EEEEDaS1P_S1Q_EUlS1P_E_NS1_11comp_targetILNS1_3genE3ELNS1_11target_archE908ELNS1_3gpuE7ELNS1_3repE0EEENS1_30default_config_static_selectorELNS0_4arch9wavefront6targetE0EEEvS12_
	.p2align	8
	.type	_ZN7rocprim17ROCPRIM_400000_NS6detail17trampoline_kernelINS0_13select_configILj256ELj13ELNS0_17block_load_methodE3ELS4_3ELS4_3ELNS0_20block_scan_algorithmE0ELj4294967295EEENS1_25partition_config_selectorILNS1_17partition_subalgoE4EjNS0_10empty_typeEbEEZZNS1_14partition_implILS8_4ELb0ES6_15HIP_vector_typeIjLj2EENS0_17counting_iteratorIjlEEPS9_SG_NS0_5tupleIJPjSI_NS0_16reverse_iteratorISI_EEEEENSH_IJSG_SG_SG_EEES9_SI_JZNS1_25segmented_radix_sort_implINS0_14default_configELb1EPKdPdPKlPlN2at6native12_GLOBAL__N_18offset_tEEE10hipError_tPvRmT1_PNSt15iterator_traitsIS12_E10value_typeET2_T3_PNS13_IS18_E10value_typeET4_jRbjT5_S1E_jjP12ihipStream_tbEUljE_ZNSN_ISO_Lb1ESQ_SR_ST_SU_SY_EESZ_S10_S11_S12_S16_S17_S18_S1B_S1C_jS1D_jS1E_S1E_jjS1G_bEUljE0_EEESZ_S10_S11_S18_S1C_S1E_T6_T7_T9_mT8_S1G_bDpT10_ENKUlT_T0_E_clISt17integral_constantIbLb1EES1T_IbLb0EEEEDaS1P_S1Q_EUlS1P_E_NS1_11comp_targetILNS1_3genE3ELNS1_11target_archE908ELNS1_3gpuE7ELNS1_3repE0EEENS1_30default_config_static_selectorELNS0_4arch9wavefront6targetE0EEEvS12_,@function
_ZN7rocprim17ROCPRIM_400000_NS6detail17trampoline_kernelINS0_13select_configILj256ELj13ELNS0_17block_load_methodE3ELS4_3ELS4_3ELNS0_20block_scan_algorithmE0ELj4294967295EEENS1_25partition_config_selectorILNS1_17partition_subalgoE4EjNS0_10empty_typeEbEEZZNS1_14partition_implILS8_4ELb0ES6_15HIP_vector_typeIjLj2EENS0_17counting_iteratorIjlEEPS9_SG_NS0_5tupleIJPjSI_NS0_16reverse_iteratorISI_EEEEENSH_IJSG_SG_SG_EEES9_SI_JZNS1_25segmented_radix_sort_implINS0_14default_configELb1EPKdPdPKlPlN2at6native12_GLOBAL__N_18offset_tEEE10hipError_tPvRmT1_PNSt15iterator_traitsIS12_E10value_typeET2_T3_PNS13_IS18_E10value_typeET4_jRbjT5_S1E_jjP12ihipStream_tbEUljE_ZNSN_ISO_Lb1ESQ_SR_ST_SU_SY_EESZ_S10_S11_S12_S16_S17_S18_S1B_S1C_jS1D_jS1E_S1E_jjS1G_bEUljE0_EEESZ_S10_S11_S18_S1C_S1E_T6_T7_T9_mT8_S1G_bDpT10_ENKUlT_T0_E_clISt17integral_constantIbLb1EES1T_IbLb0EEEEDaS1P_S1Q_EUlS1P_E_NS1_11comp_targetILNS1_3genE3ELNS1_11target_archE908ELNS1_3gpuE7ELNS1_3repE0EEENS1_30default_config_static_selectorELNS0_4arch9wavefront6targetE0EEEvS12_: ; @_ZN7rocprim17ROCPRIM_400000_NS6detail17trampoline_kernelINS0_13select_configILj256ELj13ELNS0_17block_load_methodE3ELS4_3ELS4_3ELNS0_20block_scan_algorithmE0ELj4294967295EEENS1_25partition_config_selectorILNS1_17partition_subalgoE4EjNS0_10empty_typeEbEEZZNS1_14partition_implILS8_4ELb0ES6_15HIP_vector_typeIjLj2EENS0_17counting_iteratorIjlEEPS9_SG_NS0_5tupleIJPjSI_NS0_16reverse_iteratorISI_EEEEENSH_IJSG_SG_SG_EEES9_SI_JZNS1_25segmented_radix_sort_implINS0_14default_configELb1EPKdPdPKlPlN2at6native12_GLOBAL__N_18offset_tEEE10hipError_tPvRmT1_PNSt15iterator_traitsIS12_E10value_typeET2_T3_PNS13_IS18_E10value_typeET4_jRbjT5_S1E_jjP12ihipStream_tbEUljE_ZNSN_ISO_Lb1ESQ_SR_ST_SU_SY_EESZ_S10_S11_S12_S16_S17_S18_S1B_S1C_jS1D_jS1E_S1E_jjS1G_bEUljE0_EEESZ_S10_S11_S18_S1C_S1E_T6_T7_T9_mT8_S1G_bDpT10_ENKUlT_T0_E_clISt17integral_constantIbLb1EES1T_IbLb0EEEEDaS1P_S1Q_EUlS1P_E_NS1_11comp_targetILNS1_3genE3ELNS1_11target_archE908ELNS1_3gpuE7ELNS1_3repE0EEENS1_30default_config_static_selectorELNS0_4arch9wavefront6targetE0EEEvS12_
; %bb.0:
	.section	.rodata,"a",@progbits
	.p2align	6, 0x0
	.amdhsa_kernel _ZN7rocprim17ROCPRIM_400000_NS6detail17trampoline_kernelINS0_13select_configILj256ELj13ELNS0_17block_load_methodE3ELS4_3ELS4_3ELNS0_20block_scan_algorithmE0ELj4294967295EEENS1_25partition_config_selectorILNS1_17partition_subalgoE4EjNS0_10empty_typeEbEEZZNS1_14partition_implILS8_4ELb0ES6_15HIP_vector_typeIjLj2EENS0_17counting_iteratorIjlEEPS9_SG_NS0_5tupleIJPjSI_NS0_16reverse_iteratorISI_EEEEENSH_IJSG_SG_SG_EEES9_SI_JZNS1_25segmented_radix_sort_implINS0_14default_configELb1EPKdPdPKlPlN2at6native12_GLOBAL__N_18offset_tEEE10hipError_tPvRmT1_PNSt15iterator_traitsIS12_E10value_typeET2_T3_PNS13_IS18_E10value_typeET4_jRbjT5_S1E_jjP12ihipStream_tbEUljE_ZNSN_ISO_Lb1ESQ_SR_ST_SU_SY_EESZ_S10_S11_S12_S16_S17_S18_S1B_S1C_jS1D_jS1E_S1E_jjS1G_bEUljE0_EEESZ_S10_S11_S18_S1C_S1E_T6_T7_T9_mT8_S1G_bDpT10_ENKUlT_T0_E_clISt17integral_constantIbLb1EES1T_IbLb0EEEEDaS1P_S1Q_EUlS1P_E_NS1_11comp_targetILNS1_3genE3ELNS1_11target_archE908ELNS1_3gpuE7ELNS1_3repE0EEENS1_30default_config_static_selectorELNS0_4arch9wavefront6targetE0EEEvS12_
		.amdhsa_group_segment_fixed_size 0
		.amdhsa_private_segment_fixed_size 0
		.amdhsa_kernarg_size 176
		.amdhsa_user_sgpr_count 15
		.amdhsa_user_sgpr_dispatch_ptr 0
		.amdhsa_user_sgpr_queue_ptr 0
		.amdhsa_user_sgpr_kernarg_segment_ptr 1
		.amdhsa_user_sgpr_dispatch_id 0
		.amdhsa_user_sgpr_private_segment_size 0
		.amdhsa_wavefront_size32 1
		.amdhsa_uses_dynamic_stack 0
		.amdhsa_enable_private_segment 0
		.amdhsa_system_sgpr_workgroup_id_x 1
		.amdhsa_system_sgpr_workgroup_id_y 0
		.amdhsa_system_sgpr_workgroup_id_z 0
		.amdhsa_system_sgpr_workgroup_info 0
		.amdhsa_system_vgpr_workitem_id 0
		.amdhsa_next_free_vgpr 1
		.amdhsa_next_free_sgpr 1
		.amdhsa_reserve_vcc 0
		.amdhsa_float_round_mode_32 0
		.amdhsa_float_round_mode_16_64 0
		.amdhsa_float_denorm_mode_32 3
		.amdhsa_float_denorm_mode_16_64 3
		.amdhsa_dx10_clamp 1
		.amdhsa_ieee_mode 1
		.amdhsa_fp16_overflow 0
		.amdhsa_workgroup_processor_mode 1
		.amdhsa_memory_ordered 1
		.amdhsa_forward_progress 0
		.amdhsa_shared_vgpr_count 0
		.amdhsa_exception_fp_ieee_invalid_op 0
		.amdhsa_exception_fp_denorm_src 0
		.amdhsa_exception_fp_ieee_div_zero 0
		.amdhsa_exception_fp_ieee_overflow 0
		.amdhsa_exception_fp_ieee_underflow 0
		.amdhsa_exception_fp_ieee_inexact 0
		.amdhsa_exception_int_div_zero 0
	.end_amdhsa_kernel
	.section	.text._ZN7rocprim17ROCPRIM_400000_NS6detail17trampoline_kernelINS0_13select_configILj256ELj13ELNS0_17block_load_methodE3ELS4_3ELS4_3ELNS0_20block_scan_algorithmE0ELj4294967295EEENS1_25partition_config_selectorILNS1_17partition_subalgoE4EjNS0_10empty_typeEbEEZZNS1_14partition_implILS8_4ELb0ES6_15HIP_vector_typeIjLj2EENS0_17counting_iteratorIjlEEPS9_SG_NS0_5tupleIJPjSI_NS0_16reverse_iteratorISI_EEEEENSH_IJSG_SG_SG_EEES9_SI_JZNS1_25segmented_radix_sort_implINS0_14default_configELb1EPKdPdPKlPlN2at6native12_GLOBAL__N_18offset_tEEE10hipError_tPvRmT1_PNSt15iterator_traitsIS12_E10value_typeET2_T3_PNS13_IS18_E10value_typeET4_jRbjT5_S1E_jjP12ihipStream_tbEUljE_ZNSN_ISO_Lb1ESQ_SR_ST_SU_SY_EESZ_S10_S11_S12_S16_S17_S18_S1B_S1C_jS1D_jS1E_S1E_jjS1G_bEUljE0_EEESZ_S10_S11_S18_S1C_S1E_T6_T7_T9_mT8_S1G_bDpT10_ENKUlT_T0_E_clISt17integral_constantIbLb1EES1T_IbLb0EEEEDaS1P_S1Q_EUlS1P_E_NS1_11comp_targetILNS1_3genE3ELNS1_11target_archE908ELNS1_3gpuE7ELNS1_3repE0EEENS1_30default_config_static_selectorELNS0_4arch9wavefront6targetE0EEEvS12_,"axG",@progbits,_ZN7rocprim17ROCPRIM_400000_NS6detail17trampoline_kernelINS0_13select_configILj256ELj13ELNS0_17block_load_methodE3ELS4_3ELS4_3ELNS0_20block_scan_algorithmE0ELj4294967295EEENS1_25partition_config_selectorILNS1_17partition_subalgoE4EjNS0_10empty_typeEbEEZZNS1_14partition_implILS8_4ELb0ES6_15HIP_vector_typeIjLj2EENS0_17counting_iteratorIjlEEPS9_SG_NS0_5tupleIJPjSI_NS0_16reverse_iteratorISI_EEEEENSH_IJSG_SG_SG_EEES9_SI_JZNS1_25segmented_radix_sort_implINS0_14default_configELb1EPKdPdPKlPlN2at6native12_GLOBAL__N_18offset_tEEE10hipError_tPvRmT1_PNSt15iterator_traitsIS12_E10value_typeET2_T3_PNS13_IS18_E10value_typeET4_jRbjT5_S1E_jjP12ihipStream_tbEUljE_ZNSN_ISO_Lb1ESQ_SR_ST_SU_SY_EESZ_S10_S11_S12_S16_S17_S18_S1B_S1C_jS1D_jS1E_S1E_jjS1G_bEUljE0_EEESZ_S10_S11_S18_S1C_S1E_T6_T7_T9_mT8_S1G_bDpT10_ENKUlT_T0_E_clISt17integral_constantIbLb1EES1T_IbLb0EEEEDaS1P_S1Q_EUlS1P_E_NS1_11comp_targetILNS1_3genE3ELNS1_11target_archE908ELNS1_3gpuE7ELNS1_3repE0EEENS1_30default_config_static_selectorELNS0_4arch9wavefront6targetE0EEEvS12_,comdat
.Lfunc_end1073:
	.size	_ZN7rocprim17ROCPRIM_400000_NS6detail17trampoline_kernelINS0_13select_configILj256ELj13ELNS0_17block_load_methodE3ELS4_3ELS4_3ELNS0_20block_scan_algorithmE0ELj4294967295EEENS1_25partition_config_selectorILNS1_17partition_subalgoE4EjNS0_10empty_typeEbEEZZNS1_14partition_implILS8_4ELb0ES6_15HIP_vector_typeIjLj2EENS0_17counting_iteratorIjlEEPS9_SG_NS0_5tupleIJPjSI_NS0_16reverse_iteratorISI_EEEEENSH_IJSG_SG_SG_EEES9_SI_JZNS1_25segmented_radix_sort_implINS0_14default_configELb1EPKdPdPKlPlN2at6native12_GLOBAL__N_18offset_tEEE10hipError_tPvRmT1_PNSt15iterator_traitsIS12_E10value_typeET2_T3_PNS13_IS18_E10value_typeET4_jRbjT5_S1E_jjP12ihipStream_tbEUljE_ZNSN_ISO_Lb1ESQ_SR_ST_SU_SY_EESZ_S10_S11_S12_S16_S17_S18_S1B_S1C_jS1D_jS1E_S1E_jjS1G_bEUljE0_EEESZ_S10_S11_S18_S1C_S1E_T6_T7_T9_mT8_S1G_bDpT10_ENKUlT_T0_E_clISt17integral_constantIbLb1EES1T_IbLb0EEEEDaS1P_S1Q_EUlS1P_E_NS1_11comp_targetILNS1_3genE3ELNS1_11target_archE908ELNS1_3gpuE7ELNS1_3repE0EEENS1_30default_config_static_selectorELNS0_4arch9wavefront6targetE0EEEvS12_, .Lfunc_end1073-_ZN7rocprim17ROCPRIM_400000_NS6detail17trampoline_kernelINS0_13select_configILj256ELj13ELNS0_17block_load_methodE3ELS4_3ELS4_3ELNS0_20block_scan_algorithmE0ELj4294967295EEENS1_25partition_config_selectorILNS1_17partition_subalgoE4EjNS0_10empty_typeEbEEZZNS1_14partition_implILS8_4ELb0ES6_15HIP_vector_typeIjLj2EENS0_17counting_iteratorIjlEEPS9_SG_NS0_5tupleIJPjSI_NS0_16reverse_iteratorISI_EEEEENSH_IJSG_SG_SG_EEES9_SI_JZNS1_25segmented_radix_sort_implINS0_14default_configELb1EPKdPdPKlPlN2at6native12_GLOBAL__N_18offset_tEEE10hipError_tPvRmT1_PNSt15iterator_traitsIS12_E10value_typeET2_T3_PNS13_IS18_E10value_typeET4_jRbjT5_S1E_jjP12ihipStream_tbEUljE_ZNSN_ISO_Lb1ESQ_SR_ST_SU_SY_EESZ_S10_S11_S12_S16_S17_S18_S1B_S1C_jS1D_jS1E_S1E_jjS1G_bEUljE0_EEESZ_S10_S11_S18_S1C_S1E_T6_T7_T9_mT8_S1G_bDpT10_ENKUlT_T0_E_clISt17integral_constantIbLb1EES1T_IbLb0EEEEDaS1P_S1Q_EUlS1P_E_NS1_11comp_targetILNS1_3genE3ELNS1_11target_archE908ELNS1_3gpuE7ELNS1_3repE0EEENS1_30default_config_static_selectorELNS0_4arch9wavefront6targetE0EEEvS12_
                                        ; -- End function
	.section	.AMDGPU.csdata,"",@progbits
; Kernel info:
; codeLenInByte = 0
; NumSgprs: 0
; NumVgprs: 0
; ScratchSize: 0
; MemoryBound: 0
; FloatMode: 240
; IeeeMode: 1
; LDSByteSize: 0 bytes/workgroup (compile time only)
; SGPRBlocks: 0
; VGPRBlocks: 0
; NumSGPRsForWavesPerEU: 1
; NumVGPRsForWavesPerEU: 1
; Occupancy: 16
; WaveLimiterHint : 0
; COMPUTE_PGM_RSRC2:SCRATCH_EN: 0
; COMPUTE_PGM_RSRC2:USER_SGPR: 15
; COMPUTE_PGM_RSRC2:TRAP_HANDLER: 0
; COMPUTE_PGM_RSRC2:TGID_X_EN: 1
; COMPUTE_PGM_RSRC2:TGID_Y_EN: 0
; COMPUTE_PGM_RSRC2:TGID_Z_EN: 0
; COMPUTE_PGM_RSRC2:TIDIG_COMP_CNT: 0
	.section	.text._ZN7rocprim17ROCPRIM_400000_NS6detail17trampoline_kernelINS0_13select_configILj256ELj13ELNS0_17block_load_methodE3ELS4_3ELS4_3ELNS0_20block_scan_algorithmE0ELj4294967295EEENS1_25partition_config_selectorILNS1_17partition_subalgoE4EjNS0_10empty_typeEbEEZZNS1_14partition_implILS8_4ELb0ES6_15HIP_vector_typeIjLj2EENS0_17counting_iteratorIjlEEPS9_SG_NS0_5tupleIJPjSI_NS0_16reverse_iteratorISI_EEEEENSH_IJSG_SG_SG_EEES9_SI_JZNS1_25segmented_radix_sort_implINS0_14default_configELb1EPKdPdPKlPlN2at6native12_GLOBAL__N_18offset_tEEE10hipError_tPvRmT1_PNSt15iterator_traitsIS12_E10value_typeET2_T3_PNS13_IS18_E10value_typeET4_jRbjT5_S1E_jjP12ihipStream_tbEUljE_ZNSN_ISO_Lb1ESQ_SR_ST_SU_SY_EESZ_S10_S11_S12_S16_S17_S18_S1B_S1C_jS1D_jS1E_S1E_jjS1G_bEUljE0_EEESZ_S10_S11_S18_S1C_S1E_T6_T7_T9_mT8_S1G_bDpT10_ENKUlT_T0_E_clISt17integral_constantIbLb1EES1T_IbLb0EEEEDaS1P_S1Q_EUlS1P_E_NS1_11comp_targetILNS1_3genE2ELNS1_11target_archE906ELNS1_3gpuE6ELNS1_3repE0EEENS1_30default_config_static_selectorELNS0_4arch9wavefront6targetE0EEEvS12_,"axG",@progbits,_ZN7rocprim17ROCPRIM_400000_NS6detail17trampoline_kernelINS0_13select_configILj256ELj13ELNS0_17block_load_methodE3ELS4_3ELS4_3ELNS0_20block_scan_algorithmE0ELj4294967295EEENS1_25partition_config_selectorILNS1_17partition_subalgoE4EjNS0_10empty_typeEbEEZZNS1_14partition_implILS8_4ELb0ES6_15HIP_vector_typeIjLj2EENS0_17counting_iteratorIjlEEPS9_SG_NS0_5tupleIJPjSI_NS0_16reverse_iteratorISI_EEEEENSH_IJSG_SG_SG_EEES9_SI_JZNS1_25segmented_radix_sort_implINS0_14default_configELb1EPKdPdPKlPlN2at6native12_GLOBAL__N_18offset_tEEE10hipError_tPvRmT1_PNSt15iterator_traitsIS12_E10value_typeET2_T3_PNS13_IS18_E10value_typeET4_jRbjT5_S1E_jjP12ihipStream_tbEUljE_ZNSN_ISO_Lb1ESQ_SR_ST_SU_SY_EESZ_S10_S11_S12_S16_S17_S18_S1B_S1C_jS1D_jS1E_S1E_jjS1G_bEUljE0_EEESZ_S10_S11_S18_S1C_S1E_T6_T7_T9_mT8_S1G_bDpT10_ENKUlT_T0_E_clISt17integral_constantIbLb1EES1T_IbLb0EEEEDaS1P_S1Q_EUlS1P_E_NS1_11comp_targetILNS1_3genE2ELNS1_11target_archE906ELNS1_3gpuE6ELNS1_3repE0EEENS1_30default_config_static_selectorELNS0_4arch9wavefront6targetE0EEEvS12_,comdat
	.globl	_ZN7rocprim17ROCPRIM_400000_NS6detail17trampoline_kernelINS0_13select_configILj256ELj13ELNS0_17block_load_methodE3ELS4_3ELS4_3ELNS0_20block_scan_algorithmE0ELj4294967295EEENS1_25partition_config_selectorILNS1_17partition_subalgoE4EjNS0_10empty_typeEbEEZZNS1_14partition_implILS8_4ELb0ES6_15HIP_vector_typeIjLj2EENS0_17counting_iteratorIjlEEPS9_SG_NS0_5tupleIJPjSI_NS0_16reverse_iteratorISI_EEEEENSH_IJSG_SG_SG_EEES9_SI_JZNS1_25segmented_radix_sort_implINS0_14default_configELb1EPKdPdPKlPlN2at6native12_GLOBAL__N_18offset_tEEE10hipError_tPvRmT1_PNSt15iterator_traitsIS12_E10value_typeET2_T3_PNS13_IS18_E10value_typeET4_jRbjT5_S1E_jjP12ihipStream_tbEUljE_ZNSN_ISO_Lb1ESQ_SR_ST_SU_SY_EESZ_S10_S11_S12_S16_S17_S18_S1B_S1C_jS1D_jS1E_S1E_jjS1G_bEUljE0_EEESZ_S10_S11_S18_S1C_S1E_T6_T7_T9_mT8_S1G_bDpT10_ENKUlT_T0_E_clISt17integral_constantIbLb1EES1T_IbLb0EEEEDaS1P_S1Q_EUlS1P_E_NS1_11comp_targetILNS1_3genE2ELNS1_11target_archE906ELNS1_3gpuE6ELNS1_3repE0EEENS1_30default_config_static_selectorELNS0_4arch9wavefront6targetE0EEEvS12_ ; -- Begin function _ZN7rocprim17ROCPRIM_400000_NS6detail17trampoline_kernelINS0_13select_configILj256ELj13ELNS0_17block_load_methodE3ELS4_3ELS4_3ELNS0_20block_scan_algorithmE0ELj4294967295EEENS1_25partition_config_selectorILNS1_17partition_subalgoE4EjNS0_10empty_typeEbEEZZNS1_14partition_implILS8_4ELb0ES6_15HIP_vector_typeIjLj2EENS0_17counting_iteratorIjlEEPS9_SG_NS0_5tupleIJPjSI_NS0_16reverse_iteratorISI_EEEEENSH_IJSG_SG_SG_EEES9_SI_JZNS1_25segmented_radix_sort_implINS0_14default_configELb1EPKdPdPKlPlN2at6native12_GLOBAL__N_18offset_tEEE10hipError_tPvRmT1_PNSt15iterator_traitsIS12_E10value_typeET2_T3_PNS13_IS18_E10value_typeET4_jRbjT5_S1E_jjP12ihipStream_tbEUljE_ZNSN_ISO_Lb1ESQ_SR_ST_SU_SY_EESZ_S10_S11_S12_S16_S17_S18_S1B_S1C_jS1D_jS1E_S1E_jjS1G_bEUljE0_EEESZ_S10_S11_S18_S1C_S1E_T6_T7_T9_mT8_S1G_bDpT10_ENKUlT_T0_E_clISt17integral_constantIbLb1EES1T_IbLb0EEEEDaS1P_S1Q_EUlS1P_E_NS1_11comp_targetILNS1_3genE2ELNS1_11target_archE906ELNS1_3gpuE6ELNS1_3repE0EEENS1_30default_config_static_selectorELNS0_4arch9wavefront6targetE0EEEvS12_
	.p2align	8
	.type	_ZN7rocprim17ROCPRIM_400000_NS6detail17trampoline_kernelINS0_13select_configILj256ELj13ELNS0_17block_load_methodE3ELS4_3ELS4_3ELNS0_20block_scan_algorithmE0ELj4294967295EEENS1_25partition_config_selectorILNS1_17partition_subalgoE4EjNS0_10empty_typeEbEEZZNS1_14partition_implILS8_4ELb0ES6_15HIP_vector_typeIjLj2EENS0_17counting_iteratorIjlEEPS9_SG_NS0_5tupleIJPjSI_NS0_16reverse_iteratorISI_EEEEENSH_IJSG_SG_SG_EEES9_SI_JZNS1_25segmented_radix_sort_implINS0_14default_configELb1EPKdPdPKlPlN2at6native12_GLOBAL__N_18offset_tEEE10hipError_tPvRmT1_PNSt15iterator_traitsIS12_E10value_typeET2_T3_PNS13_IS18_E10value_typeET4_jRbjT5_S1E_jjP12ihipStream_tbEUljE_ZNSN_ISO_Lb1ESQ_SR_ST_SU_SY_EESZ_S10_S11_S12_S16_S17_S18_S1B_S1C_jS1D_jS1E_S1E_jjS1G_bEUljE0_EEESZ_S10_S11_S18_S1C_S1E_T6_T7_T9_mT8_S1G_bDpT10_ENKUlT_T0_E_clISt17integral_constantIbLb1EES1T_IbLb0EEEEDaS1P_S1Q_EUlS1P_E_NS1_11comp_targetILNS1_3genE2ELNS1_11target_archE906ELNS1_3gpuE6ELNS1_3repE0EEENS1_30default_config_static_selectorELNS0_4arch9wavefront6targetE0EEEvS12_,@function
_ZN7rocprim17ROCPRIM_400000_NS6detail17trampoline_kernelINS0_13select_configILj256ELj13ELNS0_17block_load_methodE3ELS4_3ELS4_3ELNS0_20block_scan_algorithmE0ELj4294967295EEENS1_25partition_config_selectorILNS1_17partition_subalgoE4EjNS0_10empty_typeEbEEZZNS1_14partition_implILS8_4ELb0ES6_15HIP_vector_typeIjLj2EENS0_17counting_iteratorIjlEEPS9_SG_NS0_5tupleIJPjSI_NS0_16reverse_iteratorISI_EEEEENSH_IJSG_SG_SG_EEES9_SI_JZNS1_25segmented_radix_sort_implINS0_14default_configELb1EPKdPdPKlPlN2at6native12_GLOBAL__N_18offset_tEEE10hipError_tPvRmT1_PNSt15iterator_traitsIS12_E10value_typeET2_T3_PNS13_IS18_E10value_typeET4_jRbjT5_S1E_jjP12ihipStream_tbEUljE_ZNSN_ISO_Lb1ESQ_SR_ST_SU_SY_EESZ_S10_S11_S12_S16_S17_S18_S1B_S1C_jS1D_jS1E_S1E_jjS1G_bEUljE0_EEESZ_S10_S11_S18_S1C_S1E_T6_T7_T9_mT8_S1G_bDpT10_ENKUlT_T0_E_clISt17integral_constantIbLb1EES1T_IbLb0EEEEDaS1P_S1Q_EUlS1P_E_NS1_11comp_targetILNS1_3genE2ELNS1_11target_archE906ELNS1_3gpuE6ELNS1_3repE0EEENS1_30default_config_static_selectorELNS0_4arch9wavefront6targetE0EEEvS12_: ; @_ZN7rocprim17ROCPRIM_400000_NS6detail17trampoline_kernelINS0_13select_configILj256ELj13ELNS0_17block_load_methodE3ELS4_3ELS4_3ELNS0_20block_scan_algorithmE0ELj4294967295EEENS1_25partition_config_selectorILNS1_17partition_subalgoE4EjNS0_10empty_typeEbEEZZNS1_14partition_implILS8_4ELb0ES6_15HIP_vector_typeIjLj2EENS0_17counting_iteratorIjlEEPS9_SG_NS0_5tupleIJPjSI_NS0_16reverse_iteratorISI_EEEEENSH_IJSG_SG_SG_EEES9_SI_JZNS1_25segmented_radix_sort_implINS0_14default_configELb1EPKdPdPKlPlN2at6native12_GLOBAL__N_18offset_tEEE10hipError_tPvRmT1_PNSt15iterator_traitsIS12_E10value_typeET2_T3_PNS13_IS18_E10value_typeET4_jRbjT5_S1E_jjP12ihipStream_tbEUljE_ZNSN_ISO_Lb1ESQ_SR_ST_SU_SY_EESZ_S10_S11_S12_S16_S17_S18_S1B_S1C_jS1D_jS1E_S1E_jjS1G_bEUljE0_EEESZ_S10_S11_S18_S1C_S1E_T6_T7_T9_mT8_S1G_bDpT10_ENKUlT_T0_E_clISt17integral_constantIbLb1EES1T_IbLb0EEEEDaS1P_S1Q_EUlS1P_E_NS1_11comp_targetILNS1_3genE2ELNS1_11target_archE906ELNS1_3gpuE6ELNS1_3repE0EEENS1_30default_config_static_selectorELNS0_4arch9wavefront6targetE0EEEvS12_
; %bb.0:
	.section	.rodata,"a",@progbits
	.p2align	6, 0x0
	.amdhsa_kernel _ZN7rocprim17ROCPRIM_400000_NS6detail17trampoline_kernelINS0_13select_configILj256ELj13ELNS0_17block_load_methodE3ELS4_3ELS4_3ELNS0_20block_scan_algorithmE0ELj4294967295EEENS1_25partition_config_selectorILNS1_17partition_subalgoE4EjNS0_10empty_typeEbEEZZNS1_14partition_implILS8_4ELb0ES6_15HIP_vector_typeIjLj2EENS0_17counting_iteratorIjlEEPS9_SG_NS0_5tupleIJPjSI_NS0_16reverse_iteratorISI_EEEEENSH_IJSG_SG_SG_EEES9_SI_JZNS1_25segmented_radix_sort_implINS0_14default_configELb1EPKdPdPKlPlN2at6native12_GLOBAL__N_18offset_tEEE10hipError_tPvRmT1_PNSt15iterator_traitsIS12_E10value_typeET2_T3_PNS13_IS18_E10value_typeET4_jRbjT5_S1E_jjP12ihipStream_tbEUljE_ZNSN_ISO_Lb1ESQ_SR_ST_SU_SY_EESZ_S10_S11_S12_S16_S17_S18_S1B_S1C_jS1D_jS1E_S1E_jjS1G_bEUljE0_EEESZ_S10_S11_S18_S1C_S1E_T6_T7_T9_mT8_S1G_bDpT10_ENKUlT_T0_E_clISt17integral_constantIbLb1EES1T_IbLb0EEEEDaS1P_S1Q_EUlS1P_E_NS1_11comp_targetILNS1_3genE2ELNS1_11target_archE906ELNS1_3gpuE6ELNS1_3repE0EEENS1_30default_config_static_selectorELNS0_4arch9wavefront6targetE0EEEvS12_
		.amdhsa_group_segment_fixed_size 0
		.amdhsa_private_segment_fixed_size 0
		.amdhsa_kernarg_size 176
		.amdhsa_user_sgpr_count 15
		.amdhsa_user_sgpr_dispatch_ptr 0
		.amdhsa_user_sgpr_queue_ptr 0
		.amdhsa_user_sgpr_kernarg_segment_ptr 1
		.amdhsa_user_sgpr_dispatch_id 0
		.amdhsa_user_sgpr_private_segment_size 0
		.amdhsa_wavefront_size32 1
		.amdhsa_uses_dynamic_stack 0
		.amdhsa_enable_private_segment 0
		.amdhsa_system_sgpr_workgroup_id_x 1
		.amdhsa_system_sgpr_workgroup_id_y 0
		.amdhsa_system_sgpr_workgroup_id_z 0
		.amdhsa_system_sgpr_workgroup_info 0
		.amdhsa_system_vgpr_workitem_id 0
		.amdhsa_next_free_vgpr 1
		.amdhsa_next_free_sgpr 1
		.amdhsa_reserve_vcc 0
		.amdhsa_float_round_mode_32 0
		.amdhsa_float_round_mode_16_64 0
		.amdhsa_float_denorm_mode_32 3
		.amdhsa_float_denorm_mode_16_64 3
		.amdhsa_dx10_clamp 1
		.amdhsa_ieee_mode 1
		.amdhsa_fp16_overflow 0
		.amdhsa_workgroup_processor_mode 1
		.amdhsa_memory_ordered 1
		.amdhsa_forward_progress 0
		.amdhsa_shared_vgpr_count 0
		.amdhsa_exception_fp_ieee_invalid_op 0
		.amdhsa_exception_fp_denorm_src 0
		.amdhsa_exception_fp_ieee_div_zero 0
		.amdhsa_exception_fp_ieee_overflow 0
		.amdhsa_exception_fp_ieee_underflow 0
		.amdhsa_exception_fp_ieee_inexact 0
		.amdhsa_exception_int_div_zero 0
	.end_amdhsa_kernel
	.section	.text._ZN7rocprim17ROCPRIM_400000_NS6detail17trampoline_kernelINS0_13select_configILj256ELj13ELNS0_17block_load_methodE3ELS4_3ELS4_3ELNS0_20block_scan_algorithmE0ELj4294967295EEENS1_25partition_config_selectorILNS1_17partition_subalgoE4EjNS0_10empty_typeEbEEZZNS1_14partition_implILS8_4ELb0ES6_15HIP_vector_typeIjLj2EENS0_17counting_iteratorIjlEEPS9_SG_NS0_5tupleIJPjSI_NS0_16reverse_iteratorISI_EEEEENSH_IJSG_SG_SG_EEES9_SI_JZNS1_25segmented_radix_sort_implINS0_14default_configELb1EPKdPdPKlPlN2at6native12_GLOBAL__N_18offset_tEEE10hipError_tPvRmT1_PNSt15iterator_traitsIS12_E10value_typeET2_T3_PNS13_IS18_E10value_typeET4_jRbjT5_S1E_jjP12ihipStream_tbEUljE_ZNSN_ISO_Lb1ESQ_SR_ST_SU_SY_EESZ_S10_S11_S12_S16_S17_S18_S1B_S1C_jS1D_jS1E_S1E_jjS1G_bEUljE0_EEESZ_S10_S11_S18_S1C_S1E_T6_T7_T9_mT8_S1G_bDpT10_ENKUlT_T0_E_clISt17integral_constantIbLb1EES1T_IbLb0EEEEDaS1P_S1Q_EUlS1P_E_NS1_11comp_targetILNS1_3genE2ELNS1_11target_archE906ELNS1_3gpuE6ELNS1_3repE0EEENS1_30default_config_static_selectorELNS0_4arch9wavefront6targetE0EEEvS12_,"axG",@progbits,_ZN7rocprim17ROCPRIM_400000_NS6detail17trampoline_kernelINS0_13select_configILj256ELj13ELNS0_17block_load_methodE3ELS4_3ELS4_3ELNS0_20block_scan_algorithmE0ELj4294967295EEENS1_25partition_config_selectorILNS1_17partition_subalgoE4EjNS0_10empty_typeEbEEZZNS1_14partition_implILS8_4ELb0ES6_15HIP_vector_typeIjLj2EENS0_17counting_iteratorIjlEEPS9_SG_NS0_5tupleIJPjSI_NS0_16reverse_iteratorISI_EEEEENSH_IJSG_SG_SG_EEES9_SI_JZNS1_25segmented_radix_sort_implINS0_14default_configELb1EPKdPdPKlPlN2at6native12_GLOBAL__N_18offset_tEEE10hipError_tPvRmT1_PNSt15iterator_traitsIS12_E10value_typeET2_T3_PNS13_IS18_E10value_typeET4_jRbjT5_S1E_jjP12ihipStream_tbEUljE_ZNSN_ISO_Lb1ESQ_SR_ST_SU_SY_EESZ_S10_S11_S12_S16_S17_S18_S1B_S1C_jS1D_jS1E_S1E_jjS1G_bEUljE0_EEESZ_S10_S11_S18_S1C_S1E_T6_T7_T9_mT8_S1G_bDpT10_ENKUlT_T0_E_clISt17integral_constantIbLb1EES1T_IbLb0EEEEDaS1P_S1Q_EUlS1P_E_NS1_11comp_targetILNS1_3genE2ELNS1_11target_archE906ELNS1_3gpuE6ELNS1_3repE0EEENS1_30default_config_static_selectorELNS0_4arch9wavefront6targetE0EEEvS12_,comdat
.Lfunc_end1074:
	.size	_ZN7rocprim17ROCPRIM_400000_NS6detail17trampoline_kernelINS0_13select_configILj256ELj13ELNS0_17block_load_methodE3ELS4_3ELS4_3ELNS0_20block_scan_algorithmE0ELj4294967295EEENS1_25partition_config_selectorILNS1_17partition_subalgoE4EjNS0_10empty_typeEbEEZZNS1_14partition_implILS8_4ELb0ES6_15HIP_vector_typeIjLj2EENS0_17counting_iteratorIjlEEPS9_SG_NS0_5tupleIJPjSI_NS0_16reverse_iteratorISI_EEEEENSH_IJSG_SG_SG_EEES9_SI_JZNS1_25segmented_radix_sort_implINS0_14default_configELb1EPKdPdPKlPlN2at6native12_GLOBAL__N_18offset_tEEE10hipError_tPvRmT1_PNSt15iterator_traitsIS12_E10value_typeET2_T3_PNS13_IS18_E10value_typeET4_jRbjT5_S1E_jjP12ihipStream_tbEUljE_ZNSN_ISO_Lb1ESQ_SR_ST_SU_SY_EESZ_S10_S11_S12_S16_S17_S18_S1B_S1C_jS1D_jS1E_S1E_jjS1G_bEUljE0_EEESZ_S10_S11_S18_S1C_S1E_T6_T7_T9_mT8_S1G_bDpT10_ENKUlT_T0_E_clISt17integral_constantIbLb1EES1T_IbLb0EEEEDaS1P_S1Q_EUlS1P_E_NS1_11comp_targetILNS1_3genE2ELNS1_11target_archE906ELNS1_3gpuE6ELNS1_3repE0EEENS1_30default_config_static_selectorELNS0_4arch9wavefront6targetE0EEEvS12_, .Lfunc_end1074-_ZN7rocprim17ROCPRIM_400000_NS6detail17trampoline_kernelINS0_13select_configILj256ELj13ELNS0_17block_load_methodE3ELS4_3ELS4_3ELNS0_20block_scan_algorithmE0ELj4294967295EEENS1_25partition_config_selectorILNS1_17partition_subalgoE4EjNS0_10empty_typeEbEEZZNS1_14partition_implILS8_4ELb0ES6_15HIP_vector_typeIjLj2EENS0_17counting_iteratorIjlEEPS9_SG_NS0_5tupleIJPjSI_NS0_16reverse_iteratorISI_EEEEENSH_IJSG_SG_SG_EEES9_SI_JZNS1_25segmented_radix_sort_implINS0_14default_configELb1EPKdPdPKlPlN2at6native12_GLOBAL__N_18offset_tEEE10hipError_tPvRmT1_PNSt15iterator_traitsIS12_E10value_typeET2_T3_PNS13_IS18_E10value_typeET4_jRbjT5_S1E_jjP12ihipStream_tbEUljE_ZNSN_ISO_Lb1ESQ_SR_ST_SU_SY_EESZ_S10_S11_S12_S16_S17_S18_S1B_S1C_jS1D_jS1E_S1E_jjS1G_bEUljE0_EEESZ_S10_S11_S18_S1C_S1E_T6_T7_T9_mT8_S1G_bDpT10_ENKUlT_T0_E_clISt17integral_constantIbLb1EES1T_IbLb0EEEEDaS1P_S1Q_EUlS1P_E_NS1_11comp_targetILNS1_3genE2ELNS1_11target_archE906ELNS1_3gpuE6ELNS1_3repE0EEENS1_30default_config_static_selectorELNS0_4arch9wavefront6targetE0EEEvS12_
                                        ; -- End function
	.section	.AMDGPU.csdata,"",@progbits
; Kernel info:
; codeLenInByte = 0
; NumSgprs: 0
; NumVgprs: 0
; ScratchSize: 0
; MemoryBound: 0
; FloatMode: 240
; IeeeMode: 1
; LDSByteSize: 0 bytes/workgroup (compile time only)
; SGPRBlocks: 0
; VGPRBlocks: 0
; NumSGPRsForWavesPerEU: 1
; NumVGPRsForWavesPerEU: 1
; Occupancy: 16
; WaveLimiterHint : 0
; COMPUTE_PGM_RSRC2:SCRATCH_EN: 0
; COMPUTE_PGM_RSRC2:USER_SGPR: 15
; COMPUTE_PGM_RSRC2:TRAP_HANDLER: 0
; COMPUTE_PGM_RSRC2:TGID_X_EN: 1
; COMPUTE_PGM_RSRC2:TGID_Y_EN: 0
; COMPUTE_PGM_RSRC2:TGID_Z_EN: 0
; COMPUTE_PGM_RSRC2:TIDIG_COMP_CNT: 0
	.section	.text._ZN7rocprim17ROCPRIM_400000_NS6detail17trampoline_kernelINS0_13select_configILj256ELj13ELNS0_17block_load_methodE3ELS4_3ELS4_3ELNS0_20block_scan_algorithmE0ELj4294967295EEENS1_25partition_config_selectorILNS1_17partition_subalgoE4EjNS0_10empty_typeEbEEZZNS1_14partition_implILS8_4ELb0ES6_15HIP_vector_typeIjLj2EENS0_17counting_iteratorIjlEEPS9_SG_NS0_5tupleIJPjSI_NS0_16reverse_iteratorISI_EEEEENSH_IJSG_SG_SG_EEES9_SI_JZNS1_25segmented_radix_sort_implINS0_14default_configELb1EPKdPdPKlPlN2at6native12_GLOBAL__N_18offset_tEEE10hipError_tPvRmT1_PNSt15iterator_traitsIS12_E10value_typeET2_T3_PNS13_IS18_E10value_typeET4_jRbjT5_S1E_jjP12ihipStream_tbEUljE_ZNSN_ISO_Lb1ESQ_SR_ST_SU_SY_EESZ_S10_S11_S12_S16_S17_S18_S1B_S1C_jS1D_jS1E_S1E_jjS1G_bEUljE0_EEESZ_S10_S11_S18_S1C_S1E_T6_T7_T9_mT8_S1G_bDpT10_ENKUlT_T0_E_clISt17integral_constantIbLb1EES1T_IbLb0EEEEDaS1P_S1Q_EUlS1P_E_NS1_11comp_targetILNS1_3genE10ELNS1_11target_archE1200ELNS1_3gpuE4ELNS1_3repE0EEENS1_30default_config_static_selectorELNS0_4arch9wavefront6targetE0EEEvS12_,"axG",@progbits,_ZN7rocprim17ROCPRIM_400000_NS6detail17trampoline_kernelINS0_13select_configILj256ELj13ELNS0_17block_load_methodE3ELS4_3ELS4_3ELNS0_20block_scan_algorithmE0ELj4294967295EEENS1_25partition_config_selectorILNS1_17partition_subalgoE4EjNS0_10empty_typeEbEEZZNS1_14partition_implILS8_4ELb0ES6_15HIP_vector_typeIjLj2EENS0_17counting_iteratorIjlEEPS9_SG_NS0_5tupleIJPjSI_NS0_16reverse_iteratorISI_EEEEENSH_IJSG_SG_SG_EEES9_SI_JZNS1_25segmented_radix_sort_implINS0_14default_configELb1EPKdPdPKlPlN2at6native12_GLOBAL__N_18offset_tEEE10hipError_tPvRmT1_PNSt15iterator_traitsIS12_E10value_typeET2_T3_PNS13_IS18_E10value_typeET4_jRbjT5_S1E_jjP12ihipStream_tbEUljE_ZNSN_ISO_Lb1ESQ_SR_ST_SU_SY_EESZ_S10_S11_S12_S16_S17_S18_S1B_S1C_jS1D_jS1E_S1E_jjS1G_bEUljE0_EEESZ_S10_S11_S18_S1C_S1E_T6_T7_T9_mT8_S1G_bDpT10_ENKUlT_T0_E_clISt17integral_constantIbLb1EES1T_IbLb0EEEEDaS1P_S1Q_EUlS1P_E_NS1_11comp_targetILNS1_3genE10ELNS1_11target_archE1200ELNS1_3gpuE4ELNS1_3repE0EEENS1_30default_config_static_selectorELNS0_4arch9wavefront6targetE0EEEvS12_,comdat
	.globl	_ZN7rocprim17ROCPRIM_400000_NS6detail17trampoline_kernelINS0_13select_configILj256ELj13ELNS0_17block_load_methodE3ELS4_3ELS4_3ELNS0_20block_scan_algorithmE0ELj4294967295EEENS1_25partition_config_selectorILNS1_17partition_subalgoE4EjNS0_10empty_typeEbEEZZNS1_14partition_implILS8_4ELb0ES6_15HIP_vector_typeIjLj2EENS0_17counting_iteratorIjlEEPS9_SG_NS0_5tupleIJPjSI_NS0_16reverse_iteratorISI_EEEEENSH_IJSG_SG_SG_EEES9_SI_JZNS1_25segmented_radix_sort_implINS0_14default_configELb1EPKdPdPKlPlN2at6native12_GLOBAL__N_18offset_tEEE10hipError_tPvRmT1_PNSt15iterator_traitsIS12_E10value_typeET2_T3_PNS13_IS18_E10value_typeET4_jRbjT5_S1E_jjP12ihipStream_tbEUljE_ZNSN_ISO_Lb1ESQ_SR_ST_SU_SY_EESZ_S10_S11_S12_S16_S17_S18_S1B_S1C_jS1D_jS1E_S1E_jjS1G_bEUljE0_EEESZ_S10_S11_S18_S1C_S1E_T6_T7_T9_mT8_S1G_bDpT10_ENKUlT_T0_E_clISt17integral_constantIbLb1EES1T_IbLb0EEEEDaS1P_S1Q_EUlS1P_E_NS1_11comp_targetILNS1_3genE10ELNS1_11target_archE1200ELNS1_3gpuE4ELNS1_3repE0EEENS1_30default_config_static_selectorELNS0_4arch9wavefront6targetE0EEEvS12_ ; -- Begin function _ZN7rocprim17ROCPRIM_400000_NS6detail17trampoline_kernelINS0_13select_configILj256ELj13ELNS0_17block_load_methodE3ELS4_3ELS4_3ELNS0_20block_scan_algorithmE0ELj4294967295EEENS1_25partition_config_selectorILNS1_17partition_subalgoE4EjNS0_10empty_typeEbEEZZNS1_14partition_implILS8_4ELb0ES6_15HIP_vector_typeIjLj2EENS0_17counting_iteratorIjlEEPS9_SG_NS0_5tupleIJPjSI_NS0_16reverse_iteratorISI_EEEEENSH_IJSG_SG_SG_EEES9_SI_JZNS1_25segmented_radix_sort_implINS0_14default_configELb1EPKdPdPKlPlN2at6native12_GLOBAL__N_18offset_tEEE10hipError_tPvRmT1_PNSt15iterator_traitsIS12_E10value_typeET2_T3_PNS13_IS18_E10value_typeET4_jRbjT5_S1E_jjP12ihipStream_tbEUljE_ZNSN_ISO_Lb1ESQ_SR_ST_SU_SY_EESZ_S10_S11_S12_S16_S17_S18_S1B_S1C_jS1D_jS1E_S1E_jjS1G_bEUljE0_EEESZ_S10_S11_S18_S1C_S1E_T6_T7_T9_mT8_S1G_bDpT10_ENKUlT_T0_E_clISt17integral_constantIbLb1EES1T_IbLb0EEEEDaS1P_S1Q_EUlS1P_E_NS1_11comp_targetILNS1_3genE10ELNS1_11target_archE1200ELNS1_3gpuE4ELNS1_3repE0EEENS1_30default_config_static_selectorELNS0_4arch9wavefront6targetE0EEEvS12_
	.p2align	8
	.type	_ZN7rocprim17ROCPRIM_400000_NS6detail17trampoline_kernelINS0_13select_configILj256ELj13ELNS0_17block_load_methodE3ELS4_3ELS4_3ELNS0_20block_scan_algorithmE0ELj4294967295EEENS1_25partition_config_selectorILNS1_17partition_subalgoE4EjNS0_10empty_typeEbEEZZNS1_14partition_implILS8_4ELb0ES6_15HIP_vector_typeIjLj2EENS0_17counting_iteratorIjlEEPS9_SG_NS0_5tupleIJPjSI_NS0_16reverse_iteratorISI_EEEEENSH_IJSG_SG_SG_EEES9_SI_JZNS1_25segmented_radix_sort_implINS0_14default_configELb1EPKdPdPKlPlN2at6native12_GLOBAL__N_18offset_tEEE10hipError_tPvRmT1_PNSt15iterator_traitsIS12_E10value_typeET2_T3_PNS13_IS18_E10value_typeET4_jRbjT5_S1E_jjP12ihipStream_tbEUljE_ZNSN_ISO_Lb1ESQ_SR_ST_SU_SY_EESZ_S10_S11_S12_S16_S17_S18_S1B_S1C_jS1D_jS1E_S1E_jjS1G_bEUljE0_EEESZ_S10_S11_S18_S1C_S1E_T6_T7_T9_mT8_S1G_bDpT10_ENKUlT_T0_E_clISt17integral_constantIbLb1EES1T_IbLb0EEEEDaS1P_S1Q_EUlS1P_E_NS1_11comp_targetILNS1_3genE10ELNS1_11target_archE1200ELNS1_3gpuE4ELNS1_3repE0EEENS1_30default_config_static_selectorELNS0_4arch9wavefront6targetE0EEEvS12_,@function
_ZN7rocprim17ROCPRIM_400000_NS6detail17trampoline_kernelINS0_13select_configILj256ELj13ELNS0_17block_load_methodE3ELS4_3ELS4_3ELNS0_20block_scan_algorithmE0ELj4294967295EEENS1_25partition_config_selectorILNS1_17partition_subalgoE4EjNS0_10empty_typeEbEEZZNS1_14partition_implILS8_4ELb0ES6_15HIP_vector_typeIjLj2EENS0_17counting_iteratorIjlEEPS9_SG_NS0_5tupleIJPjSI_NS0_16reverse_iteratorISI_EEEEENSH_IJSG_SG_SG_EEES9_SI_JZNS1_25segmented_radix_sort_implINS0_14default_configELb1EPKdPdPKlPlN2at6native12_GLOBAL__N_18offset_tEEE10hipError_tPvRmT1_PNSt15iterator_traitsIS12_E10value_typeET2_T3_PNS13_IS18_E10value_typeET4_jRbjT5_S1E_jjP12ihipStream_tbEUljE_ZNSN_ISO_Lb1ESQ_SR_ST_SU_SY_EESZ_S10_S11_S12_S16_S17_S18_S1B_S1C_jS1D_jS1E_S1E_jjS1G_bEUljE0_EEESZ_S10_S11_S18_S1C_S1E_T6_T7_T9_mT8_S1G_bDpT10_ENKUlT_T0_E_clISt17integral_constantIbLb1EES1T_IbLb0EEEEDaS1P_S1Q_EUlS1P_E_NS1_11comp_targetILNS1_3genE10ELNS1_11target_archE1200ELNS1_3gpuE4ELNS1_3repE0EEENS1_30default_config_static_selectorELNS0_4arch9wavefront6targetE0EEEvS12_: ; @_ZN7rocprim17ROCPRIM_400000_NS6detail17trampoline_kernelINS0_13select_configILj256ELj13ELNS0_17block_load_methodE3ELS4_3ELS4_3ELNS0_20block_scan_algorithmE0ELj4294967295EEENS1_25partition_config_selectorILNS1_17partition_subalgoE4EjNS0_10empty_typeEbEEZZNS1_14partition_implILS8_4ELb0ES6_15HIP_vector_typeIjLj2EENS0_17counting_iteratorIjlEEPS9_SG_NS0_5tupleIJPjSI_NS0_16reverse_iteratorISI_EEEEENSH_IJSG_SG_SG_EEES9_SI_JZNS1_25segmented_radix_sort_implINS0_14default_configELb1EPKdPdPKlPlN2at6native12_GLOBAL__N_18offset_tEEE10hipError_tPvRmT1_PNSt15iterator_traitsIS12_E10value_typeET2_T3_PNS13_IS18_E10value_typeET4_jRbjT5_S1E_jjP12ihipStream_tbEUljE_ZNSN_ISO_Lb1ESQ_SR_ST_SU_SY_EESZ_S10_S11_S12_S16_S17_S18_S1B_S1C_jS1D_jS1E_S1E_jjS1G_bEUljE0_EEESZ_S10_S11_S18_S1C_S1E_T6_T7_T9_mT8_S1G_bDpT10_ENKUlT_T0_E_clISt17integral_constantIbLb1EES1T_IbLb0EEEEDaS1P_S1Q_EUlS1P_E_NS1_11comp_targetILNS1_3genE10ELNS1_11target_archE1200ELNS1_3gpuE4ELNS1_3repE0EEENS1_30default_config_static_selectorELNS0_4arch9wavefront6targetE0EEEvS12_
; %bb.0:
	.section	.rodata,"a",@progbits
	.p2align	6, 0x0
	.amdhsa_kernel _ZN7rocprim17ROCPRIM_400000_NS6detail17trampoline_kernelINS0_13select_configILj256ELj13ELNS0_17block_load_methodE3ELS4_3ELS4_3ELNS0_20block_scan_algorithmE0ELj4294967295EEENS1_25partition_config_selectorILNS1_17partition_subalgoE4EjNS0_10empty_typeEbEEZZNS1_14partition_implILS8_4ELb0ES6_15HIP_vector_typeIjLj2EENS0_17counting_iteratorIjlEEPS9_SG_NS0_5tupleIJPjSI_NS0_16reverse_iteratorISI_EEEEENSH_IJSG_SG_SG_EEES9_SI_JZNS1_25segmented_radix_sort_implINS0_14default_configELb1EPKdPdPKlPlN2at6native12_GLOBAL__N_18offset_tEEE10hipError_tPvRmT1_PNSt15iterator_traitsIS12_E10value_typeET2_T3_PNS13_IS18_E10value_typeET4_jRbjT5_S1E_jjP12ihipStream_tbEUljE_ZNSN_ISO_Lb1ESQ_SR_ST_SU_SY_EESZ_S10_S11_S12_S16_S17_S18_S1B_S1C_jS1D_jS1E_S1E_jjS1G_bEUljE0_EEESZ_S10_S11_S18_S1C_S1E_T6_T7_T9_mT8_S1G_bDpT10_ENKUlT_T0_E_clISt17integral_constantIbLb1EES1T_IbLb0EEEEDaS1P_S1Q_EUlS1P_E_NS1_11comp_targetILNS1_3genE10ELNS1_11target_archE1200ELNS1_3gpuE4ELNS1_3repE0EEENS1_30default_config_static_selectorELNS0_4arch9wavefront6targetE0EEEvS12_
		.amdhsa_group_segment_fixed_size 0
		.amdhsa_private_segment_fixed_size 0
		.amdhsa_kernarg_size 176
		.amdhsa_user_sgpr_count 15
		.amdhsa_user_sgpr_dispatch_ptr 0
		.amdhsa_user_sgpr_queue_ptr 0
		.amdhsa_user_sgpr_kernarg_segment_ptr 1
		.amdhsa_user_sgpr_dispatch_id 0
		.amdhsa_user_sgpr_private_segment_size 0
		.amdhsa_wavefront_size32 1
		.amdhsa_uses_dynamic_stack 0
		.amdhsa_enable_private_segment 0
		.amdhsa_system_sgpr_workgroup_id_x 1
		.amdhsa_system_sgpr_workgroup_id_y 0
		.amdhsa_system_sgpr_workgroup_id_z 0
		.amdhsa_system_sgpr_workgroup_info 0
		.amdhsa_system_vgpr_workitem_id 0
		.amdhsa_next_free_vgpr 1
		.amdhsa_next_free_sgpr 1
		.amdhsa_reserve_vcc 0
		.amdhsa_float_round_mode_32 0
		.amdhsa_float_round_mode_16_64 0
		.amdhsa_float_denorm_mode_32 3
		.amdhsa_float_denorm_mode_16_64 3
		.amdhsa_dx10_clamp 1
		.amdhsa_ieee_mode 1
		.amdhsa_fp16_overflow 0
		.amdhsa_workgroup_processor_mode 1
		.amdhsa_memory_ordered 1
		.amdhsa_forward_progress 0
		.amdhsa_shared_vgpr_count 0
		.amdhsa_exception_fp_ieee_invalid_op 0
		.amdhsa_exception_fp_denorm_src 0
		.amdhsa_exception_fp_ieee_div_zero 0
		.amdhsa_exception_fp_ieee_overflow 0
		.amdhsa_exception_fp_ieee_underflow 0
		.amdhsa_exception_fp_ieee_inexact 0
		.amdhsa_exception_int_div_zero 0
	.end_amdhsa_kernel
	.section	.text._ZN7rocprim17ROCPRIM_400000_NS6detail17trampoline_kernelINS0_13select_configILj256ELj13ELNS0_17block_load_methodE3ELS4_3ELS4_3ELNS0_20block_scan_algorithmE0ELj4294967295EEENS1_25partition_config_selectorILNS1_17partition_subalgoE4EjNS0_10empty_typeEbEEZZNS1_14partition_implILS8_4ELb0ES6_15HIP_vector_typeIjLj2EENS0_17counting_iteratorIjlEEPS9_SG_NS0_5tupleIJPjSI_NS0_16reverse_iteratorISI_EEEEENSH_IJSG_SG_SG_EEES9_SI_JZNS1_25segmented_radix_sort_implINS0_14default_configELb1EPKdPdPKlPlN2at6native12_GLOBAL__N_18offset_tEEE10hipError_tPvRmT1_PNSt15iterator_traitsIS12_E10value_typeET2_T3_PNS13_IS18_E10value_typeET4_jRbjT5_S1E_jjP12ihipStream_tbEUljE_ZNSN_ISO_Lb1ESQ_SR_ST_SU_SY_EESZ_S10_S11_S12_S16_S17_S18_S1B_S1C_jS1D_jS1E_S1E_jjS1G_bEUljE0_EEESZ_S10_S11_S18_S1C_S1E_T6_T7_T9_mT8_S1G_bDpT10_ENKUlT_T0_E_clISt17integral_constantIbLb1EES1T_IbLb0EEEEDaS1P_S1Q_EUlS1P_E_NS1_11comp_targetILNS1_3genE10ELNS1_11target_archE1200ELNS1_3gpuE4ELNS1_3repE0EEENS1_30default_config_static_selectorELNS0_4arch9wavefront6targetE0EEEvS12_,"axG",@progbits,_ZN7rocprim17ROCPRIM_400000_NS6detail17trampoline_kernelINS0_13select_configILj256ELj13ELNS0_17block_load_methodE3ELS4_3ELS4_3ELNS0_20block_scan_algorithmE0ELj4294967295EEENS1_25partition_config_selectorILNS1_17partition_subalgoE4EjNS0_10empty_typeEbEEZZNS1_14partition_implILS8_4ELb0ES6_15HIP_vector_typeIjLj2EENS0_17counting_iteratorIjlEEPS9_SG_NS0_5tupleIJPjSI_NS0_16reverse_iteratorISI_EEEEENSH_IJSG_SG_SG_EEES9_SI_JZNS1_25segmented_radix_sort_implINS0_14default_configELb1EPKdPdPKlPlN2at6native12_GLOBAL__N_18offset_tEEE10hipError_tPvRmT1_PNSt15iterator_traitsIS12_E10value_typeET2_T3_PNS13_IS18_E10value_typeET4_jRbjT5_S1E_jjP12ihipStream_tbEUljE_ZNSN_ISO_Lb1ESQ_SR_ST_SU_SY_EESZ_S10_S11_S12_S16_S17_S18_S1B_S1C_jS1D_jS1E_S1E_jjS1G_bEUljE0_EEESZ_S10_S11_S18_S1C_S1E_T6_T7_T9_mT8_S1G_bDpT10_ENKUlT_T0_E_clISt17integral_constantIbLb1EES1T_IbLb0EEEEDaS1P_S1Q_EUlS1P_E_NS1_11comp_targetILNS1_3genE10ELNS1_11target_archE1200ELNS1_3gpuE4ELNS1_3repE0EEENS1_30default_config_static_selectorELNS0_4arch9wavefront6targetE0EEEvS12_,comdat
.Lfunc_end1075:
	.size	_ZN7rocprim17ROCPRIM_400000_NS6detail17trampoline_kernelINS0_13select_configILj256ELj13ELNS0_17block_load_methodE3ELS4_3ELS4_3ELNS0_20block_scan_algorithmE0ELj4294967295EEENS1_25partition_config_selectorILNS1_17partition_subalgoE4EjNS0_10empty_typeEbEEZZNS1_14partition_implILS8_4ELb0ES6_15HIP_vector_typeIjLj2EENS0_17counting_iteratorIjlEEPS9_SG_NS0_5tupleIJPjSI_NS0_16reverse_iteratorISI_EEEEENSH_IJSG_SG_SG_EEES9_SI_JZNS1_25segmented_radix_sort_implINS0_14default_configELb1EPKdPdPKlPlN2at6native12_GLOBAL__N_18offset_tEEE10hipError_tPvRmT1_PNSt15iterator_traitsIS12_E10value_typeET2_T3_PNS13_IS18_E10value_typeET4_jRbjT5_S1E_jjP12ihipStream_tbEUljE_ZNSN_ISO_Lb1ESQ_SR_ST_SU_SY_EESZ_S10_S11_S12_S16_S17_S18_S1B_S1C_jS1D_jS1E_S1E_jjS1G_bEUljE0_EEESZ_S10_S11_S18_S1C_S1E_T6_T7_T9_mT8_S1G_bDpT10_ENKUlT_T0_E_clISt17integral_constantIbLb1EES1T_IbLb0EEEEDaS1P_S1Q_EUlS1P_E_NS1_11comp_targetILNS1_3genE10ELNS1_11target_archE1200ELNS1_3gpuE4ELNS1_3repE0EEENS1_30default_config_static_selectorELNS0_4arch9wavefront6targetE0EEEvS12_, .Lfunc_end1075-_ZN7rocprim17ROCPRIM_400000_NS6detail17trampoline_kernelINS0_13select_configILj256ELj13ELNS0_17block_load_methodE3ELS4_3ELS4_3ELNS0_20block_scan_algorithmE0ELj4294967295EEENS1_25partition_config_selectorILNS1_17partition_subalgoE4EjNS0_10empty_typeEbEEZZNS1_14partition_implILS8_4ELb0ES6_15HIP_vector_typeIjLj2EENS0_17counting_iteratorIjlEEPS9_SG_NS0_5tupleIJPjSI_NS0_16reverse_iteratorISI_EEEEENSH_IJSG_SG_SG_EEES9_SI_JZNS1_25segmented_radix_sort_implINS0_14default_configELb1EPKdPdPKlPlN2at6native12_GLOBAL__N_18offset_tEEE10hipError_tPvRmT1_PNSt15iterator_traitsIS12_E10value_typeET2_T3_PNS13_IS18_E10value_typeET4_jRbjT5_S1E_jjP12ihipStream_tbEUljE_ZNSN_ISO_Lb1ESQ_SR_ST_SU_SY_EESZ_S10_S11_S12_S16_S17_S18_S1B_S1C_jS1D_jS1E_S1E_jjS1G_bEUljE0_EEESZ_S10_S11_S18_S1C_S1E_T6_T7_T9_mT8_S1G_bDpT10_ENKUlT_T0_E_clISt17integral_constantIbLb1EES1T_IbLb0EEEEDaS1P_S1Q_EUlS1P_E_NS1_11comp_targetILNS1_3genE10ELNS1_11target_archE1200ELNS1_3gpuE4ELNS1_3repE0EEENS1_30default_config_static_selectorELNS0_4arch9wavefront6targetE0EEEvS12_
                                        ; -- End function
	.section	.AMDGPU.csdata,"",@progbits
; Kernel info:
; codeLenInByte = 0
; NumSgprs: 0
; NumVgprs: 0
; ScratchSize: 0
; MemoryBound: 0
; FloatMode: 240
; IeeeMode: 1
; LDSByteSize: 0 bytes/workgroup (compile time only)
; SGPRBlocks: 0
; VGPRBlocks: 0
; NumSGPRsForWavesPerEU: 1
; NumVGPRsForWavesPerEU: 1
; Occupancy: 16
; WaveLimiterHint : 0
; COMPUTE_PGM_RSRC2:SCRATCH_EN: 0
; COMPUTE_PGM_RSRC2:USER_SGPR: 15
; COMPUTE_PGM_RSRC2:TRAP_HANDLER: 0
; COMPUTE_PGM_RSRC2:TGID_X_EN: 1
; COMPUTE_PGM_RSRC2:TGID_Y_EN: 0
; COMPUTE_PGM_RSRC2:TGID_Z_EN: 0
; COMPUTE_PGM_RSRC2:TIDIG_COMP_CNT: 0
	.section	.text._ZN7rocprim17ROCPRIM_400000_NS6detail17trampoline_kernelINS0_13select_configILj256ELj13ELNS0_17block_load_methodE3ELS4_3ELS4_3ELNS0_20block_scan_algorithmE0ELj4294967295EEENS1_25partition_config_selectorILNS1_17partition_subalgoE4EjNS0_10empty_typeEbEEZZNS1_14partition_implILS8_4ELb0ES6_15HIP_vector_typeIjLj2EENS0_17counting_iteratorIjlEEPS9_SG_NS0_5tupleIJPjSI_NS0_16reverse_iteratorISI_EEEEENSH_IJSG_SG_SG_EEES9_SI_JZNS1_25segmented_radix_sort_implINS0_14default_configELb1EPKdPdPKlPlN2at6native12_GLOBAL__N_18offset_tEEE10hipError_tPvRmT1_PNSt15iterator_traitsIS12_E10value_typeET2_T3_PNS13_IS18_E10value_typeET4_jRbjT5_S1E_jjP12ihipStream_tbEUljE_ZNSN_ISO_Lb1ESQ_SR_ST_SU_SY_EESZ_S10_S11_S12_S16_S17_S18_S1B_S1C_jS1D_jS1E_S1E_jjS1G_bEUljE0_EEESZ_S10_S11_S18_S1C_S1E_T6_T7_T9_mT8_S1G_bDpT10_ENKUlT_T0_E_clISt17integral_constantIbLb1EES1T_IbLb0EEEEDaS1P_S1Q_EUlS1P_E_NS1_11comp_targetILNS1_3genE9ELNS1_11target_archE1100ELNS1_3gpuE3ELNS1_3repE0EEENS1_30default_config_static_selectorELNS0_4arch9wavefront6targetE0EEEvS12_,"axG",@progbits,_ZN7rocprim17ROCPRIM_400000_NS6detail17trampoline_kernelINS0_13select_configILj256ELj13ELNS0_17block_load_methodE3ELS4_3ELS4_3ELNS0_20block_scan_algorithmE0ELj4294967295EEENS1_25partition_config_selectorILNS1_17partition_subalgoE4EjNS0_10empty_typeEbEEZZNS1_14partition_implILS8_4ELb0ES6_15HIP_vector_typeIjLj2EENS0_17counting_iteratorIjlEEPS9_SG_NS0_5tupleIJPjSI_NS0_16reverse_iteratorISI_EEEEENSH_IJSG_SG_SG_EEES9_SI_JZNS1_25segmented_radix_sort_implINS0_14default_configELb1EPKdPdPKlPlN2at6native12_GLOBAL__N_18offset_tEEE10hipError_tPvRmT1_PNSt15iterator_traitsIS12_E10value_typeET2_T3_PNS13_IS18_E10value_typeET4_jRbjT5_S1E_jjP12ihipStream_tbEUljE_ZNSN_ISO_Lb1ESQ_SR_ST_SU_SY_EESZ_S10_S11_S12_S16_S17_S18_S1B_S1C_jS1D_jS1E_S1E_jjS1G_bEUljE0_EEESZ_S10_S11_S18_S1C_S1E_T6_T7_T9_mT8_S1G_bDpT10_ENKUlT_T0_E_clISt17integral_constantIbLb1EES1T_IbLb0EEEEDaS1P_S1Q_EUlS1P_E_NS1_11comp_targetILNS1_3genE9ELNS1_11target_archE1100ELNS1_3gpuE3ELNS1_3repE0EEENS1_30default_config_static_selectorELNS0_4arch9wavefront6targetE0EEEvS12_,comdat
	.globl	_ZN7rocprim17ROCPRIM_400000_NS6detail17trampoline_kernelINS0_13select_configILj256ELj13ELNS0_17block_load_methodE3ELS4_3ELS4_3ELNS0_20block_scan_algorithmE0ELj4294967295EEENS1_25partition_config_selectorILNS1_17partition_subalgoE4EjNS0_10empty_typeEbEEZZNS1_14partition_implILS8_4ELb0ES6_15HIP_vector_typeIjLj2EENS0_17counting_iteratorIjlEEPS9_SG_NS0_5tupleIJPjSI_NS0_16reverse_iteratorISI_EEEEENSH_IJSG_SG_SG_EEES9_SI_JZNS1_25segmented_radix_sort_implINS0_14default_configELb1EPKdPdPKlPlN2at6native12_GLOBAL__N_18offset_tEEE10hipError_tPvRmT1_PNSt15iterator_traitsIS12_E10value_typeET2_T3_PNS13_IS18_E10value_typeET4_jRbjT5_S1E_jjP12ihipStream_tbEUljE_ZNSN_ISO_Lb1ESQ_SR_ST_SU_SY_EESZ_S10_S11_S12_S16_S17_S18_S1B_S1C_jS1D_jS1E_S1E_jjS1G_bEUljE0_EEESZ_S10_S11_S18_S1C_S1E_T6_T7_T9_mT8_S1G_bDpT10_ENKUlT_T0_E_clISt17integral_constantIbLb1EES1T_IbLb0EEEEDaS1P_S1Q_EUlS1P_E_NS1_11comp_targetILNS1_3genE9ELNS1_11target_archE1100ELNS1_3gpuE3ELNS1_3repE0EEENS1_30default_config_static_selectorELNS0_4arch9wavefront6targetE0EEEvS12_ ; -- Begin function _ZN7rocprim17ROCPRIM_400000_NS6detail17trampoline_kernelINS0_13select_configILj256ELj13ELNS0_17block_load_methodE3ELS4_3ELS4_3ELNS0_20block_scan_algorithmE0ELj4294967295EEENS1_25partition_config_selectorILNS1_17partition_subalgoE4EjNS0_10empty_typeEbEEZZNS1_14partition_implILS8_4ELb0ES6_15HIP_vector_typeIjLj2EENS0_17counting_iteratorIjlEEPS9_SG_NS0_5tupleIJPjSI_NS0_16reverse_iteratorISI_EEEEENSH_IJSG_SG_SG_EEES9_SI_JZNS1_25segmented_radix_sort_implINS0_14default_configELb1EPKdPdPKlPlN2at6native12_GLOBAL__N_18offset_tEEE10hipError_tPvRmT1_PNSt15iterator_traitsIS12_E10value_typeET2_T3_PNS13_IS18_E10value_typeET4_jRbjT5_S1E_jjP12ihipStream_tbEUljE_ZNSN_ISO_Lb1ESQ_SR_ST_SU_SY_EESZ_S10_S11_S12_S16_S17_S18_S1B_S1C_jS1D_jS1E_S1E_jjS1G_bEUljE0_EEESZ_S10_S11_S18_S1C_S1E_T6_T7_T9_mT8_S1G_bDpT10_ENKUlT_T0_E_clISt17integral_constantIbLb1EES1T_IbLb0EEEEDaS1P_S1Q_EUlS1P_E_NS1_11comp_targetILNS1_3genE9ELNS1_11target_archE1100ELNS1_3gpuE3ELNS1_3repE0EEENS1_30default_config_static_selectorELNS0_4arch9wavefront6targetE0EEEvS12_
	.p2align	8
	.type	_ZN7rocprim17ROCPRIM_400000_NS6detail17trampoline_kernelINS0_13select_configILj256ELj13ELNS0_17block_load_methodE3ELS4_3ELS4_3ELNS0_20block_scan_algorithmE0ELj4294967295EEENS1_25partition_config_selectorILNS1_17partition_subalgoE4EjNS0_10empty_typeEbEEZZNS1_14partition_implILS8_4ELb0ES6_15HIP_vector_typeIjLj2EENS0_17counting_iteratorIjlEEPS9_SG_NS0_5tupleIJPjSI_NS0_16reverse_iteratorISI_EEEEENSH_IJSG_SG_SG_EEES9_SI_JZNS1_25segmented_radix_sort_implINS0_14default_configELb1EPKdPdPKlPlN2at6native12_GLOBAL__N_18offset_tEEE10hipError_tPvRmT1_PNSt15iterator_traitsIS12_E10value_typeET2_T3_PNS13_IS18_E10value_typeET4_jRbjT5_S1E_jjP12ihipStream_tbEUljE_ZNSN_ISO_Lb1ESQ_SR_ST_SU_SY_EESZ_S10_S11_S12_S16_S17_S18_S1B_S1C_jS1D_jS1E_S1E_jjS1G_bEUljE0_EEESZ_S10_S11_S18_S1C_S1E_T6_T7_T9_mT8_S1G_bDpT10_ENKUlT_T0_E_clISt17integral_constantIbLb1EES1T_IbLb0EEEEDaS1P_S1Q_EUlS1P_E_NS1_11comp_targetILNS1_3genE9ELNS1_11target_archE1100ELNS1_3gpuE3ELNS1_3repE0EEENS1_30default_config_static_selectorELNS0_4arch9wavefront6targetE0EEEvS12_,@function
_ZN7rocprim17ROCPRIM_400000_NS6detail17trampoline_kernelINS0_13select_configILj256ELj13ELNS0_17block_load_methodE3ELS4_3ELS4_3ELNS0_20block_scan_algorithmE0ELj4294967295EEENS1_25partition_config_selectorILNS1_17partition_subalgoE4EjNS0_10empty_typeEbEEZZNS1_14partition_implILS8_4ELb0ES6_15HIP_vector_typeIjLj2EENS0_17counting_iteratorIjlEEPS9_SG_NS0_5tupleIJPjSI_NS0_16reverse_iteratorISI_EEEEENSH_IJSG_SG_SG_EEES9_SI_JZNS1_25segmented_radix_sort_implINS0_14default_configELb1EPKdPdPKlPlN2at6native12_GLOBAL__N_18offset_tEEE10hipError_tPvRmT1_PNSt15iterator_traitsIS12_E10value_typeET2_T3_PNS13_IS18_E10value_typeET4_jRbjT5_S1E_jjP12ihipStream_tbEUljE_ZNSN_ISO_Lb1ESQ_SR_ST_SU_SY_EESZ_S10_S11_S12_S16_S17_S18_S1B_S1C_jS1D_jS1E_S1E_jjS1G_bEUljE0_EEESZ_S10_S11_S18_S1C_S1E_T6_T7_T9_mT8_S1G_bDpT10_ENKUlT_T0_E_clISt17integral_constantIbLb1EES1T_IbLb0EEEEDaS1P_S1Q_EUlS1P_E_NS1_11comp_targetILNS1_3genE9ELNS1_11target_archE1100ELNS1_3gpuE3ELNS1_3repE0EEENS1_30default_config_static_selectorELNS0_4arch9wavefront6targetE0EEEvS12_: ; @_ZN7rocprim17ROCPRIM_400000_NS6detail17trampoline_kernelINS0_13select_configILj256ELj13ELNS0_17block_load_methodE3ELS4_3ELS4_3ELNS0_20block_scan_algorithmE0ELj4294967295EEENS1_25partition_config_selectorILNS1_17partition_subalgoE4EjNS0_10empty_typeEbEEZZNS1_14partition_implILS8_4ELb0ES6_15HIP_vector_typeIjLj2EENS0_17counting_iteratorIjlEEPS9_SG_NS0_5tupleIJPjSI_NS0_16reverse_iteratorISI_EEEEENSH_IJSG_SG_SG_EEES9_SI_JZNS1_25segmented_radix_sort_implINS0_14default_configELb1EPKdPdPKlPlN2at6native12_GLOBAL__N_18offset_tEEE10hipError_tPvRmT1_PNSt15iterator_traitsIS12_E10value_typeET2_T3_PNS13_IS18_E10value_typeET4_jRbjT5_S1E_jjP12ihipStream_tbEUljE_ZNSN_ISO_Lb1ESQ_SR_ST_SU_SY_EESZ_S10_S11_S12_S16_S17_S18_S1B_S1C_jS1D_jS1E_S1E_jjS1G_bEUljE0_EEESZ_S10_S11_S18_S1C_S1E_T6_T7_T9_mT8_S1G_bDpT10_ENKUlT_T0_E_clISt17integral_constantIbLb1EES1T_IbLb0EEEEDaS1P_S1Q_EUlS1P_E_NS1_11comp_targetILNS1_3genE9ELNS1_11target_archE1100ELNS1_3gpuE3ELNS1_3repE0EEENS1_30default_config_static_selectorELNS0_4arch9wavefront6targetE0EEEvS12_
; %bb.0:
	s_clause 0x6
	s_load_b32 s5, s[0:1], 0x80
	s_load_b64 s[34:35], s[0:1], 0x10
	s_load_b64 s[2:3], s[0:1], 0x68
	s_load_b32 s8, s[0:1], 0x8
	s_load_b128 s[24:27], s[0:1], 0x58
	s_load_b64 s[40:41], s[0:1], 0xa8
	s_load_b256 s[16:23], s[0:1], 0x88
	s_mul_i32 s33, s15, 0xd00
	s_waitcnt lgkmcnt(0)
	s_mul_i32 s4, s5, 0xd00
	s_add_i32 s5, s5, -1
	s_add_u32 s6, s34, s4
	s_addc_u32 s7, s35, 0
	s_load_b128 s[28:31], s[26:27], 0x0
	s_cmp_eq_u32 s15, s5
	v_cmp_lt_u64_e64 s3, s[6:7], s[2:3]
	s_cselect_b32 s14, -1, 0
	s_cmp_lg_u32 s15, s5
	s_cselect_b32 s5, -1, 0
	s_add_i32 s6, s8, s33
	s_delay_alu instid0(VALU_DEP_1) | instskip(SKIP_4) | instid1(VALU_DEP_1)
	s_or_b32 s3, s5, s3
	s_add_i32 s6, s6, s34
	s_and_b32 vcc_lo, exec_lo, s3
	v_add_nc_u32_e32 v1, s6, v0
	s_mov_b32 s5, -1
	v_add_nc_u32_e32 v2, 0x100, v1
	v_add_nc_u32_e32 v3, 0x200, v1
	v_add_nc_u32_e32 v4, 0x300, v1
	v_add_nc_u32_e32 v5, 0x400, v1
	v_add_nc_u32_e32 v6, 0x500, v1
	v_add_nc_u32_e32 v7, 0x600, v1
	v_add_nc_u32_e32 v8, 0x700, v1
	v_add_nc_u32_e32 v9, 0x800, v1
	v_add_nc_u32_e32 v10, 0x900, v1
	v_add_nc_u32_e32 v11, 0xa00, v1
	v_add_nc_u32_e32 v12, 0xb00, v1
	v_add_nc_u32_e32 v13, 0xc00, v1
	s_cbranch_vccz .LBB1076_2
; %bb.1:
	v_lshlrev_b32_e32 v14, 2, v0
	s_mov_b32 s5, 0
	ds_store_2addr_stride64_b32 v14, v1, v2 offset1:4
	ds_store_2addr_stride64_b32 v14, v3, v4 offset0:8 offset1:12
	ds_store_2addr_stride64_b32 v14, v5, v6 offset0:16 offset1:20
	;; [unrolled: 1-line block ×5, first 2 shown]
	ds_store_b32 v14, v13 offset:12288
	s_waitcnt lgkmcnt(0)
	s_barrier
.LBB1076_2:
	s_and_not1_b32 vcc_lo, exec_lo, s5
	s_add_i32 s4, s4, s34
	s_cbranch_vccnz .LBB1076_4
; %bb.3:
	v_lshlrev_b32_e32 v14, 2, v0
	ds_store_2addr_stride64_b32 v14, v1, v2 offset1:4
	ds_store_2addr_stride64_b32 v14, v3, v4 offset0:8 offset1:12
	ds_store_2addr_stride64_b32 v14, v5, v6 offset0:16 offset1:20
	ds_store_2addr_stride64_b32 v14, v7, v8 offset0:24 offset1:28
	ds_store_2addr_stride64_b32 v14, v9, v10 offset0:32 offset1:36
	ds_store_2addr_stride64_b32 v14, v11, v12 offset0:40 offset1:44
	ds_store_b32 v14, v13 offset:12288
	s_waitcnt lgkmcnt(0)
	s_barrier
.LBB1076_4:
	v_mul_u32_u24_e32 v28, 13, v0
	s_clause 0x1
	s_load_b128 s[36:39], s[0:1], 0x28
	s_load_b64 s[26:27], s[0:1], 0x38
	s_waitcnt lgkmcnt(0)
	buffer_gl0_inv
	v_cndmask_b32_e64 v26, 0, 1, s3
	s_sub_i32 s44, s2, s4
	v_lshlrev_b32_e32 v1, 2, v28
	s_and_not1_b32 vcc_lo, exec_lo, s3
	ds_load_2addr_b32 v[16:17], v1 offset1:1
	ds_load_2addr_b32 v[14:15], v1 offset0:2 offset1:3
	ds_load_2addr_b32 v[12:13], v1 offset0:4 offset1:5
	;; [unrolled: 1-line block ×5, first 2 shown]
	ds_load_b32 v27, v1 offset:48
	s_waitcnt lgkmcnt(0)
	s_barrier
	buffer_gl0_inv
	s_cbranch_vccnz .LBB1076_32
; %bb.5:
	v_add_nc_u32_e32 v1, s17, v16
	v_add_nc_u32_e32 v2, s19, v16
	s_mov_b32 s46, 0
	s_mov_b32 s45, 0
	s_mov_b32 s3, exec_lo
	v_mul_lo_u32 v1, v1, s16
	v_mul_lo_u32 v2, v2, s18
	s_delay_alu instid0(VALU_DEP_1) | instskip(NEXT) | instid1(VALU_DEP_1)
	v_sub_nc_u32_e32 v1, v1, v2
	v_cmp_lt_u32_e32 vcc_lo, s20, v1
	v_cmpx_ge_u32_e64 s20, v1
; %bb.6:
	v_add_nc_u32_e32 v1, s22, v16
	v_add_nc_u32_e32 v2, s40, v16
	s_delay_alu instid0(VALU_DEP_2) | instskip(NEXT) | instid1(VALU_DEP_2)
	v_mul_lo_u32 v1, v1, s21
	v_mul_lo_u32 v2, v2, s23
	s_delay_alu instid0(VALU_DEP_1) | instskip(NEXT) | instid1(VALU_DEP_1)
	v_sub_nc_u32_e32 v1, v1, v2
	v_cmp_lt_u32_e64 s2, s41, v1
	s_delay_alu instid0(VALU_DEP_1)
	s_and_b32 s45, s2, exec_lo
; %bb.7:
	s_or_b32 exec_lo, exec_lo, s3
	v_add_nc_u32_e32 v1, s17, v17
	v_add_nc_u32_e32 v2, s19, v17
	s_mov_b32 s4, exec_lo
	s_delay_alu instid0(VALU_DEP_2) | instskip(NEXT) | instid1(VALU_DEP_2)
	v_mul_lo_u32 v1, v1, s16
	v_mul_lo_u32 v2, v2, s18
	s_delay_alu instid0(VALU_DEP_1) | instskip(NEXT) | instid1(VALU_DEP_1)
	v_sub_nc_u32_e32 v1, v1, v2
	v_cmp_lt_u32_e64 s2, s20, v1
	v_cmpx_ge_u32_e64 s20, v1
; %bb.8:
	v_add_nc_u32_e32 v1, s22, v17
	v_add_nc_u32_e32 v2, s40, v17
	s_delay_alu instid0(VALU_DEP_2) | instskip(NEXT) | instid1(VALU_DEP_2)
	v_mul_lo_u32 v1, v1, s21
	v_mul_lo_u32 v2, v2, s23
	s_delay_alu instid0(VALU_DEP_1) | instskip(NEXT) | instid1(VALU_DEP_1)
	v_sub_nc_u32_e32 v1, v1, v2
	v_cmp_lt_u32_e64 s3, s41, v1
	s_delay_alu instid0(VALU_DEP_1)
	s_and_b32 s46, s3, exec_lo
; %bb.9:
	s_or_b32 exec_lo, exec_lo, s4
	v_add_nc_u32_e32 v1, s17, v14
	v_add_nc_u32_e32 v2, s19, v14
	s_mov_b32 s48, 0
	s_mov_b32 s47, 0
	s_mov_b32 s5, exec_lo
	v_mul_lo_u32 v1, v1, s16
	v_mul_lo_u32 v2, v2, s18
	s_delay_alu instid0(VALU_DEP_1) | instskip(NEXT) | instid1(VALU_DEP_1)
	v_sub_nc_u32_e32 v1, v1, v2
	v_cmp_lt_u32_e64 s3, s20, v1
	v_cmpx_ge_u32_e64 s20, v1
; %bb.10:
	v_add_nc_u32_e32 v1, s22, v14
	v_add_nc_u32_e32 v2, s40, v14
	s_delay_alu instid0(VALU_DEP_2) | instskip(NEXT) | instid1(VALU_DEP_2)
	v_mul_lo_u32 v1, v1, s21
	v_mul_lo_u32 v2, v2, s23
	s_delay_alu instid0(VALU_DEP_1) | instskip(NEXT) | instid1(VALU_DEP_1)
	v_sub_nc_u32_e32 v1, v1, v2
	v_cmp_lt_u32_e64 s4, s41, v1
	s_delay_alu instid0(VALU_DEP_1)
	s_and_b32 s47, s4, exec_lo
; %bb.11:
	s_or_b32 exec_lo, exec_lo, s5
	v_add_nc_u32_e32 v1, s17, v15
	v_add_nc_u32_e32 v2, s19, v15
	s_mov_b32 s6, exec_lo
	s_delay_alu instid0(VALU_DEP_2) | instskip(NEXT) | instid1(VALU_DEP_2)
	v_mul_lo_u32 v1, v1, s16
	v_mul_lo_u32 v2, v2, s18
	s_delay_alu instid0(VALU_DEP_1) | instskip(NEXT) | instid1(VALU_DEP_1)
	v_sub_nc_u32_e32 v1, v1, v2
	v_cmp_lt_u32_e64 s4, s20, v1
	v_cmpx_ge_u32_e64 s20, v1
; %bb.12:
	v_add_nc_u32_e32 v1, s22, v15
	v_add_nc_u32_e32 v2, s40, v15
	s_delay_alu instid0(VALU_DEP_2) | instskip(NEXT) | instid1(VALU_DEP_2)
	v_mul_lo_u32 v1, v1, s21
	v_mul_lo_u32 v2, v2, s23
	s_delay_alu instid0(VALU_DEP_1) | instskip(NEXT) | instid1(VALU_DEP_1)
	v_sub_nc_u32_e32 v1, v1, v2
	v_cmp_lt_u32_e64 s5, s41, v1
	s_delay_alu instid0(VALU_DEP_1)
	s_and_b32 s48, s5, exec_lo
; %bb.13:
	s_or_b32 exec_lo, exec_lo, s6
	v_add_nc_u32_e32 v1, s17, v12
	v_add_nc_u32_e32 v2, s19, v12
	s_mov_b32 s50, 0
	s_mov_b32 s49, 0
	s_mov_b32 s7, exec_lo
	v_mul_lo_u32 v1, v1, s16
	v_mul_lo_u32 v2, v2, s18
	s_delay_alu instid0(VALU_DEP_1) | instskip(NEXT) | instid1(VALU_DEP_1)
	v_sub_nc_u32_e32 v1, v1, v2
	v_cmp_lt_u32_e64 s5, s20, v1
	;; [unrolled: 47-line block ×5, first 2 shown]
	v_cmpx_ge_u32_e64 s20, v1
; %bb.26:
	v_add_nc_u32_e32 v1, s22, v6
	v_add_nc_u32_e32 v2, s40, v6
	s_delay_alu instid0(VALU_DEP_2) | instskip(NEXT) | instid1(VALU_DEP_2)
	v_mul_lo_u32 v1, v1, s21
	v_mul_lo_u32 v2, v2, s23
	s_delay_alu instid0(VALU_DEP_1) | instskip(NEXT) | instid1(VALU_DEP_1)
	v_sub_nc_u32_e32 v1, v1, v2
	v_cmp_lt_u32_e64 s12, s41, v1
	s_delay_alu instid0(VALU_DEP_1)
	s_and_b32 s57, s12, exec_lo
; %bb.27:
	s_or_b32 exec_lo, exec_lo, s13
	v_add_nc_u32_e32 v1, s17, v7
	v_add_nc_u32_e32 v2, s19, v7
	s_mov_b32 s42, exec_lo
	s_delay_alu instid0(VALU_DEP_2) | instskip(NEXT) | instid1(VALU_DEP_2)
	v_mul_lo_u32 v1, v1, s16
	v_mul_lo_u32 v2, v2, s18
	s_delay_alu instid0(VALU_DEP_1) | instskip(NEXT) | instid1(VALU_DEP_1)
	v_sub_nc_u32_e32 v1, v1, v2
	v_cmp_lt_u32_e64 s12, s20, v1
	v_cmpx_ge_u32_e64 s20, v1
; %bb.28:
	v_add_nc_u32_e32 v1, s22, v7
	v_add_nc_u32_e32 v2, s40, v7
	s_delay_alu instid0(VALU_DEP_2) | instskip(NEXT) | instid1(VALU_DEP_2)
	v_mul_lo_u32 v1, v1, s21
	v_mul_lo_u32 v2, v2, s23
	s_delay_alu instid0(VALU_DEP_1) | instskip(NEXT) | instid1(VALU_DEP_1)
	v_sub_nc_u32_e32 v1, v1, v2
	v_cmp_lt_u32_e64 s13, s41, v1
	s_delay_alu instid0(VALU_DEP_1)
	s_and_b32 s56, s13, exec_lo
; %bb.29:
	s_or_b32 exec_lo, exec_lo, s42
	v_add_nc_u32_e32 v1, s17, v27
	v_add_nc_u32_e32 v2, s19, v27
	s_mov_b32 s42, -1
	s_mov_b32 s53, 0
	s_mov_b32 s43, 0
	v_mul_lo_u32 v1, v1, s16
	v_mul_lo_u32 v2, v2, s18
	s_mov_b32 s58, exec_lo
	s_delay_alu instid0(VALU_DEP_1) | instskip(NEXT) | instid1(VALU_DEP_1)
	v_sub_nc_u32_e32 v1, v1, v2
	v_cmpx_ge_u32_e64 s20, v1
; %bb.30:
	v_add_nc_u32_e32 v1, s22, v27
	v_add_nc_u32_e32 v2, s40, v27
	s_xor_b32 s42, exec_lo, -1
	s_delay_alu instid0(VALU_DEP_2) | instskip(NEXT) | instid1(VALU_DEP_2)
	v_mul_lo_u32 v1, v1, s21
	v_mul_lo_u32 v2, v2, s23
	s_delay_alu instid0(VALU_DEP_1) | instskip(NEXT) | instid1(VALU_DEP_1)
	v_sub_nc_u32_e32 v1, v1, v2
	v_cmp_lt_u32_e64 s13, s41, v1
	s_delay_alu instid0(VALU_DEP_1)
	s_and_b32 s43, s13, exec_lo
; %bb.31:
	s_or_b32 exec_lo, exec_lo, s58
	v_cndmask_b32_e64 v48, 0, 1, s57
	v_cndmask_b32_e64 v51, 0, 1, s12
	;; [unrolled: 1-line block ×22, first 2 shown]
	v_cndmask_b32_e64 v29, 0, 1, vcc_lo
	v_cndmask_b32_e64 v52, 0, 1, s56
	s_load_b64 s[4:5], s[0:1], 0x78
	s_and_b32 vcc_lo, exec_lo, s53
	s_add_i32 s3, s44, 0xd00
	s_cbranch_vccnz .LBB1076_33
	s_branch .LBB1076_86
.LBB1076_32:
                                        ; implicit-def: $sgpr42
                                        ; implicit-def: $sgpr43
                                        ; implicit-def: $vgpr52
                                        ; implicit-def: $vgpr48
                                        ; implicit-def: $vgpr47
                                        ; implicit-def: $vgpr45
                                        ; implicit-def: $vgpr43
                                        ; implicit-def: $vgpr40
                                        ; implicit-def: $vgpr39
                                        ; implicit-def: $vgpr37
                                        ; implicit-def: $vgpr35
                                        ; implicit-def: $vgpr29
                                        ; implicit-def: $vgpr33
                                        ; implicit-def: $vgpr31
                                        ; implicit-def: $vgpr32
                                        ; implicit-def: $vgpr38
                                        ; implicit-def: $vgpr41
                                        ; implicit-def: $vgpr42
                                        ; implicit-def: $vgpr44
                                        ; implicit-def: $vgpr46
                                        ; implicit-def: $vgpr49
                                        ; implicit-def: $vgpr50
                                        ; implicit-def: $vgpr51
                                        ; implicit-def: $vgpr30
                                        ; implicit-def: $vgpr34
                                        ; implicit-def: $vgpr36
	s_load_b64 s[4:5], s[0:1], 0x78
	s_add_i32 s3, s44, 0xd00
	s_cbranch_execz .LBB1076_86
.LBB1076_33:
	v_dual_mov_b32 v30, 0 :: v_dual_mov_b32 v29, 0
	s_mov_b32 s2, 0
	s_mov_b32 s1, exec_lo
	v_cmpx_gt_u32_e64 s3, v28
	s_cbranch_execz .LBB1076_37
; %bb.34:
	v_add_nc_u32_e32 v1, s17, v16
	v_add_nc_u32_e32 v2, s19, v16
	s_mov_b32 s6, exec_lo
	s_delay_alu instid0(VALU_DEP_2) | instskip(NEXT) | instid1(VALU_DEP_2)
	v_mul_lo_u32 v1, v1, s16
	v_mul_lo_u32 v2, v2, s18
	s_delay_alu instid0(VALU_DEP_1) | instskip(NEXT) | instid1(VALU_DEP_1)
	v_sub_nc_u32_e32 v1, v1, v2
	v_cmp_lt_u32_e32 vcc_lo, s20, v1
	v_cmpx_ge_u32_e64 s20, v1
; %bb.35:
	v_add_nc_u32_e32 v1, s22, v16
	v_add_nc_u32_e32 v2, s40, v16
	s_delay_alu instid0(VALU_DEP_2) | instskip(NEXT) | instid1(VALU_DEP_2)
	v_mul_lo_u32 v1, v1, s21
	v_mul_lo_u32 v2, v2, s23
	s_delay_alu instid0(VALU_DEP_1) | instskip(NEXT) | instid1(VALU_DEP_1)
	v_sub_nc_u32_e32 v1, v1, v2
	v_cmp_lt_u32_e64 s0, s41, v1
	s_delay_alu instid0(VALU_DEP_1)
	s_and_b32 s2, s0, exec_lo
; %bb.36:
	s_or_b32 exec_lo, exec_lo, s6
	v_cndmask_b32_e64 v29, 0, 1, vcc_lo
	v_cndmask_b32_e64 v30, 0, 1, s2
.LBB1076_37:
	s_or_b32 exec_lo, exec_lo, s1
	v_dual_mov_b32 v34, 0 :: v_dual_add_nc_u32 v1, 1, v28
	v_mov_b32_e32 v33, 0
	s_mov_b32 s2, 0
	s_mov_b32 s1, exec_lo
	s_delay_alu instid0(VALU_DEP_2)
	v_cmpx_gt_u32_e64 s3, v1
	s_cbranch_execz .LBB1076_41
; %bb.38:
	v_add_nc_u32_e32 v1, s17, v17
	v_add_nc_u32_e32 v2, s19, v17
	s_mov_b32 s6, exec_lo
	s_delay_alu instid0(VALU_DEP_2) | instskip(NEXT) | instid1(VALU_DEP_2)
	v_mul_lo_u32 v1, v1, s16
	v_mul_lo_u32 v2, v2, s18
	s_delay_alu instid0(VALU_DEP_1) | instskip(NEXT) | instid1(VALU_DEP_1)
	v_sub_nc_u32_e32 v1, v1, v2
	v_cmp_lt_u32_e32 vcc_lo, s20, v1
	v_cmpx_ge_u32_e64 s20, v1
; %bb.39:
	v_add_nc_u32_e32 v1, s22, v17
	v_add_nc_u32_e32 v2, s40, v17
	s_delay_alu instid0(VALU_DEP_2) | instskip(NEXT) | instid1(VALU_DEP_2)
	v_mul_lo_u32 v1, v1, s21
	v_mul_lo_u32 v2, v2, s23
	s_delay_alu instid0(VALU_DEP_1) | instskip(NEXT) | instid1(VALU_DEP_1)
	v_sub_nc_u32_e32 v1, v1, v2
	v_cmp_lt_u32_e64 s0, s41, v1
	s_delay_alu instid0(VALU_DEP_1)
	s_and_b32 s2, s0, exec_lo
; %bb.40:
	s_or_b32 exec_lo, exec_lo, s6
	v_cndmask_b32_e64 v33, 0, 1, vcc_lo
	v_cndmask_b32_e64 v34, 0, 1, s2
.LBB1076_41:
	s_or_b32 exec_lo, exec_lo, s1
	v_dual_mov_b32 v36, 0 :: v_dual_add_nc_u32 v1, 2, v28
	v_mov_b32_e32 v31, 0
	s_mov_b32 s2, 0
	s_mov_b32 s1, exec_lo
	s_delay_alu instid0(VALU_DEP_2)
	;; [unrolled: 35-line block ×4, first 2 shown]
	v_cmpx_gt_u32_e64 s3, v1
	s_cbranch_execz .LBB1076_53
; %bb.50:
	v_add_nc_u32_e32 v1, s17, v12
	v_add_nc_u32_e32 v2, s19, v12
	s_mov_b32 s6, exec_lo
	s_delay_alu instid0(VALU_DEP_2) | instskip(NEXT) | instid1(VALU_DEP_2)
	v_mul_lo_u32 v1, v1, s16
	v_mul_lo_u32 v2, v2, s18
	s_delay_alu instid0(VALU_DEP_1) | instskip(NEXT) | instid1(VALU_DEP_1)
	v_sub_nc_u32_e32 v1, v1, v2
	v_cmp_lt_u32_e32 vcc_lo, s20, v1
	v_cmpx_ge_u32_e64 s20, v1
; %bb.51:
	v_add_nc_u32_e32 v1, s22, v12
	v_add_nc_u32_e32 v2, s40, v12
	s_delay_alu instid0(VALU_DEP_2) | instskip(NEXT) | instid1(VALU_DEP_2)
	v_mul_lo_u32 v1, v1, s21
	v_mul_lo_u32 v2, v2, s23
	s_delay_alu instid0(VALU_DEP_1) | instskip(NEXT) | instid1(VALU_DEP_1)
	v_sub_nc_u32_e32 v1, v1, v2
	v_cmp_lt_u32_e64 s0, s41, v1
	s_delay_alu instid0(VALU_DEP_1)
	s_and_b32 s2, s0, exec_lo
; %bb.52:
	s_or_b32 exec_lo, exec_lo, s6
	v_cndmask_b32_e64 v38, 0, 1, vcc_lo
	v_cndmask_b32_e64 v37, 0, 1, s2
.LBB1076_53:
	s_or_b32 exec_lo, exec_lo, s1
	v_add_nc_u32_e32 v1, 5, v28
	v_mov_b32_e32 v39, 0
	v_mov_b32_e32 v41, 0
	s_mov_b32 s2, 0
	s_mov_b32 s1, exec_lo
	v_cmpx_gt_u32_e64 s3, v1
	s_cbranch_execz .LBB1076_57
; %bb.54:
	v_add_nc_u32_e32 v1, s17, v13
	v_add_nc_u32_e32 v2, s19, v13
	s_mov_b32 s6, exec_lo
	s_delay_alu instid0(VALU_DEP_2) | instskip(NEXT) | instid1(VALU_DEP_2)
	v_mul_lo_u32 v1, v1, s16
	v_mul_lo_u32 v2, v2, s18
	s_delay_alu instid0(VALU_DEP_1) | instskip(NEXT) | instid1(VALU_DEP_1)
	v_sub_nc_u32_e32 v1, v1, v2
	v_cmp_lt_u32_e32 vcc_lo, s20, v1
	v_cmpx_ge_u32_e64 s20, v1
; %bb.55:
	v_add_nc_u32_e32 v1, s22, v13
	v_add_nc_u32_e32 v2, s40, v13
	s_delay_alu instid0(VALU_DEP_2) | instskip(NEXT) | instid1(VALU_DEP_2)
	v_mul_lo_u32 v1, v1, s21
	v_mul_lo_u32 v2, v2, s23
	s_delay_alu instid0(VALU_DEP_1) | instskip(NEXT) | instid1(VALU_DEP_1)
	v_sub_nc_u32_e32 v1, v1, v2
	v_cmp_lt_u32_e64 s0, s41, v1
	s_delay_alu instid0(VALU_DEP_1)
	s_and_b32 s2, s0, exec_lo
; %bb.56:
	s_or_b32 exec_lo, exec_lo, s6
	v_cndmask_b32_e64 v41, 0, 1, vcc_lo
	v_cndmask_b32_e64 v39, 0, 1, s2
.LBB1076_57:
	s_or_b32 exec_lo, exec_lo, s1
	v_dual_mov_b32 v40, 0 :: v_dual_add_nc_u32 v1, 6, v28
	v_mov_b32_e32 v42, 0
	s_mov_b32 s2, 0
	s_mov_b32 s1, exec_lo
	s_delay_alu instid0(VALU_DEP_2)
	v_cmpx_gt_u32_e64 s3, v1
	s_cbranch_execz .LBB1076_61
; %bb.58:
	v_add_nc_u32_e32 v1, s17, v10
	v_add_nc_u32_e32 v2, s19, v10
	s_mov_b32 s6, exec_lo
	s_delay_alu instid0(VALU_DEP_2) | instskip(NEXT) | instid1(VALU_DEP_2)
	v_mul_lo_u32 v1, v1, s16
	v_mul_lo_u32 v2, v2, s18
	s_delay_alu instid0(VALU_DEP_1) | instskip(NEXT) | instid1(VALU_DEP_1)
	v_sub_nc_u32_e32 v1, v1, v2
	v_cmp_lt_u32_e32 vcc_lo, s20, v1
	v_cmpx_ge_u32_e64 s20, v1
; %bb.59:
	v_add_nc_u32_e32 v1, s22, v10
	v_add_nc_u32_e32 v2, s40, v10
	s_delay_alu instid0(VALU_DEP_2) | instskip(NEXT) | instid1(VALU_DEP_2)
	v_mul_lo_u32 v1, v1, s21
	v_mul_lo_u32 v2, v2, s23
	s_delay_alu instid0(VALU_DEP_1) | instskip(NEXT) | instid1(VALU_DEP_1)
	v_sub_nc_u32_e32 v1, v1, v2
	v_cmp_lt_u32_e64 s0, s41, v1
	s_delay_alu instid0(VALU_DEP_1)
	s_and_b32 s2, s0, exec_lo
; %bb.60:
	s_or_b32 exec_lo, exec_lo, s6
	v_cndmask_b32_e64 v42, 0, 1, vcc_lo
	v_cndmask_b32_e64 v40, 0, 1, s2
.LBB1076_61:
	s_or_b32 exec_lo, exec_lo, s1
	v_dual_mov_b32 v44, 0 :: v_dual_add_nc_u32 v1, 7, v28
	v_mov_b32_e32 v43, 0
	s_mov_b32 s2, 0
	s_mov_b32 s1, exec_lo
	s_delay_alu instid0(VALU_DEP_2)
	;; [unrolled: 35-line block ×3, first 2 shown]
	v_cmpx_gt_u32_e64 s3, v1
	s_cbranch_execz .LBB1076_69
; %bb.66:
	v_add_nc_u32_e32 v1, s17, v8
	v_add_nc_u32_e32 v2, s19, v8
	s_mov_b32 s6, exec_lo
	s_delay_alu instid0(VALU_DEP_2) | instskip(NEXT) | instid1(VALU_DEP_2)
	v_mul_lo_u32 v1, v1, s16
	v_mul_lo_u32 v2, v2, s18
	s_delay_alu instid0(VALU_DEP_1) | instskip(NEXT) | instid1(VALU_DEP_1)
	v_sub_nc_u32_e32 v1, v1, v2
	v_cmp_lt_u32_e32 vcc_lo, s20, v1
	v_cmpx_ge_u32_e64 s20, v1
; %bb.67:
	v_add_nc_u32_e32 v1, s22, v8
	v_add_nc_u32_e32 v2, s40, v8
	s_delay_alu instid0(VALU_DEP_2) | instskip(NEXT) | instid1(VALU_DEP_2)
	v_mul_lo_u32 v1, v1, s21
	v_mul_lo_u32 v2, v2, s23
	s_delay_alu instid0(VALU_DEP_1) | instskip(NEXT) | instid1(VALU_DEP_1)
	v_sub_nc_u32_e32 v1, v1, v2
	v_cmp_lt_u32_e64 s0, s41, v1
	s_delay_alu instid0(VALU_DEP_1)
	s_and_b32 s2, s0, exec_lo
; %bb.68:
	s_or_b32 exec_lo, exec_lo, s6
	v_cndmask_b32_e64 v46, 0, 1, vcc_lo
	v_cndmask_b32_e64 v45, 0, 1, s2
.LBB1076_69:
	s_or_b32 exec_lo, exec_lo, s1
	v_add_nc_u32_e32 v1, 9, v28
	v_mov_b32_e32 v47, 0
	v_mov_b32_e32 v49, 0
	s_mov_b32 s2, 0
	s_mov_b32 s1, exec_lo
	v_cmpx_gt_u32_e64 s3, v1
	s_cbranch_execz .LBB1076_73
; %bb.70:
	v_add_nc_u32_e32 v1, s17, v9
	v_add_nc_u32_e32 v2, s19, v9
	s_mov_b32 s6, exec_lo
	s_delay_alu instid0(VALU_DEP_2) | instskip(NEXT) | instid1(VALU_DEP_2)
	v_mul_lo_u32 v1, v1, s16
	v_mul_lo_u32 v2, v2, s18
	s_delay_alu instid0(VALU_DEP_1) | instskip(NEXT) | instid1(VALU_DEP_1)
	v_sub_nc_u32_e32 v1, v1, v2
	v_cmp_lt_u32_e32 vcc_lo, s20, v1
	v_cmpx_ge_u32_e64 s20, v1
; %bb.71:
	v_add_nc_u32_e32 v1, s22, v9
	v_add_nc_u32_e32 v2, s40, v9
	s_delay_alu instid0(VALU_DEP_2) | instskip(NEXT) | instid1(VALU_DEP_2)
	v_mul_lo_u32 v1, v1, s21
	v_mul_lo_u32 v2, v2, s23
	s_delay_alu instid0(VALU_DEP_1) | instskip(NEXT) | instid1(VALU_DEP_1)
	v_sub_nc_u32_e32 v1, v1, v2
	v_cmp_lt_u32_e64 s0, s41, v1
	s_delay_alu instid0(VALU_DEP_1)
	s_and_b32 s2, s0, exec_lo
; %bb.72:
	s_or_b32 exec_lo, exec_lo, s6
	v_cndmask_b32_e64 v49, 0, 1, vcc_lo
	v_cndmask_b32_e64 v47, 0, 1, s2
.LBB1076_73:
	s_or_b32 exec_lo, exec_lo, s1
	v_dual_mov_b32 v48, 0 :: v_dual_add_nc_u32 v1, 10, v28
	v_mov_b32_e32 v50, 0
	s_mov_b32 s2, 0
	s_mov_b32 s1, exec_lo
	s_delay_alu instid0(VALU_DEP_2)
	v_cmpx_gt_u32_e64 s3, v1
	s_cbranch_execz .LBB1076_77
; %bb.74:
	v_add_nc_u32_e32 v1, s17, v6
	v_add_nc_u32_e32 v2, s19, v6
	s_mov_b32 s6, exec_lo
	s_delay_alu instid0(VALU_DEP_2) | instskip(NEXT) | instid1(VALU_DEP_2)
	v_mul_lo_u32 v1, v1, s16
	v_mul_lo_u32 v2, v2, s18
	s_delay_alu instid0(VALU_DEP_1) | instskip(NEXT) | instid1(VALU_DEP_1)
	v_sub_nc_u32_e32 v1, v1, v2
	v_cmp_lt_u32_e32 vcc_lo, s20, v1
	v_cmpx_ge_u32_e64 s20, v1
; %bb.75:
	v_add_nc_u32_e32 v1, s22, v6
	v_add_nc_u32_e32 v2, s40, v6
	s_delay_alu instid0(VALU_DEP_2) | instskip(NEXT) | instid1(VALU_DEP_2)
	v_mul_lo_u32 v1, v1, s21
	v_mul_lo_u32 v2, v2, s23
	s_delay_alu instid0(VALU_DEP_1) | instskip(NEXT) | instid1(VALU_DEP_1)
	v_sub_nc_u32_e32 v1, v1, v2
	v_cmp_lt_u32_e64 s0, s41, v1
	s_delay_alu instid0(VALU_DEP_1)
	s_and_b32 s2, s0, exec_lo
; %bb.76:
	s_or_b32 exec_lo, exec_lo, s6
	v_cndmask_b32_e64 v50, 0, 1, vcc_lo
	v_cndmask_b32_e64 v48, 0, 1, s2
.LBB1076_77:
	s_or_b32 exec_lo, exec_lo, s1
	v_dual_mov_b32 v52, 0 :: v_dual_add_nc_u32 v1, 11, v28
	v_mov_b32_e32 v51, 0
	s_mov_b32 s2, 0
	s_mov_b32 s1, exec_lo
	s_delay_alu instid0(VALU_DEP_2)
	v_cmpx_gt_u32_e64 s3, v1
	s_cbranch_execz .LBB1076_81
; %bb.78:
	v_add_nc_u32_e32 v1, s17, v7
	v_add_nc_u32_e32 v2, s19, v7
	s_mov_b32 s6, exec_lo
	s_delay_alu instid0(VALU_DEP_2) | instskip(NEXT) | instid1(VALU_DEP_2)
	v_mul_lo_u32 v1, v1, s16
	v_mul_lo_u32 v2, v2, s18
	s_delay_alu instid0(VALU_DEP_1) | instskip(NEXT) | instid1(VALU_DEP_1)
	v_sub_nc_u32_e32 v1, v1, v2
	v_cmp_lt_u32_e32 vcc_lo, s20, v1
	v_cmpx_ge_u32_e64 s20, v1
; %bb.79:
	v_add_nc_u32_e32 v1, s22, v7
	v_add_nc_u32_e32 v2, s40, v7
	s_delay_alu instid0(VALU_DEP_2) | instskip(NEXT) | instid1(VALU_DEP_2)
	v_mul_lo_u32 v1, v1, s21
	v_mul_lo_u32 v2, v2, s23
	s_delay_alu instid0(VALU_DEP_1) | instskip(NEXT) | instid1(VALU_DEP_1)
	v_sub_nc_u32_e32 v1, v1, v2
	v_cmp_lt_u32_e64 s0, s41, v1
	s_delay_alu instid0(VALU_DEP_1)
	s_and_b32 s2, s0, exec_lo
; %bb.80:
	s_or_b32 exec_lo, exec_lo, s6
	v_cndmask_b32_e64 v51, 0, 1, vcc_lo
	v_cndmask_b32_e64 v52, 0, 1, s2
.LBB1076_81:
	s_or_b32 exec_lo, exec_lo, s1
	v_add_nc_u32_e32 v1, 12, v28
	s_mov_b32 s42, 0
	s_mov_b32 s43, 0
	s_mov_b32 s0, exec_lo
	s_delay_alu instid0(VALU_DEP_1)
	v_cmpx_gt_u32_e64 s3, v1
	s_cbranch_execz .LBB1076_85
; %bb.82:
	v_add_nc_u32_e32 v1, s17, v27
	v_add_nc_u32_e32 v2, s19, v27
	s_mov_b32 s2, -1
	s_mov_b32 s6, 0
	s_mov_b32 s1, exec_lo
	v_mul_lo_u32 v1, v1, s16
	v_mul_lo_u32 v2, v2, s18
	s_delay_alu instid0(VALU_DEP_1) | instskip(NEXT) | instid1(VALU_DEP_1)
	v_sub_nc_u32_e32 v1, v1, v2
	v_cmpx_ge_u32_e64 s20, v1
; %bb.83:
	v_add_nc_u32_e32 v1, s22, v27
	v_add_nc_u32_e32 v2, s40, v27
	s_xor_b32 s2, exec_lo, -1
	s_delay_alu instid0(VALU_DEP_2) | instskip(NEXT) | instid1(VALU_DEP_2)
	v_mul_lo_u32 v1, v1, s21
	v_mul_lo_u32 v2, v2, s23
	s_delay_alu instid0(VALU_DEP_1) | instskip(NEXT) | instid1(VALU_DEP_1)
	v_sub_nc_u32_e32 v1, v1, v2
	v_cmp_lt_u32_e32 vcc_lo, s41, v1
	s_and_b32 s6, vcc_lo, exec_lo
; %bb.84:
	s_or_b32 exec_lo, exec_lo, s1
	s_delay_alu instid0(SALU_CYCLE_1)
	s_and_b32 s43, s6, exec_lo
	s_and_b32 s42, s2, exec_lo
.LBB1076_85:
	s_or_b32 exec_lo, exec_lo, s0
.LBB1076_86:
	v_and_b32_e32 v75, 0xff, v29
	v_and_b32_e32 v76, 0xff, v30
	;; [unrolled: 1-line block ×10, first 2 shown]
	v_add3_u32 v1, v71, v73, v75
	v_add3_u32 v2, v72, v74, v76
	v_and_b32_e32 v65, 0xff, v41
	v_and_b32_e32 v66, 0xff, v39
	v_and_b32_e32 v61, 0xff, v42
	v_and_b32_e32 v62, 0xff, v40
	v_add3_u32 v1, v1, v69, v67
	v_add3_u32 v2, v2, v70, v68
	v_and_b32_e32 v63, 0xff, v44
	v_and_b32_e32 v64, 0xff, v43
	v_and_b32_e32 v59, 0xff, v46
	v_and_b32_e32 v60, 0xff, v45
	;; [unrolled: 6-line block ×3, first 2 shown]
	v_add3_u32 v1, v1, v63, v59
	v_add3_u32 v2, v2, v64, v60
	v_mbcnt_lo_u32_b32 v77, -1, 0
	v_and_b32_e32 v53, 0xff, v51
	v_and_b32_e32 v54, 0xff, v52
	v_cndmask_b32_e64 v3, 0, 1, s43
	v_add3_u32 v1, v1, v57, v55
	v_cndmask_b32_e64 v4, 0, 1, s42
	v_add3_u32 v2, v2, v58, v56
	v_and_b32_e32 v81, 15, v77
	v_and_b32_e32 v80, 16, v77
	v_lshrrev_b32_e32 v78, 5, v0
	v_add3_u32 v82, v1, v53, v4
	v_add3_u32 v83, v2, v54, v3
	v_cmp_eq_u32_e64 s1, 0, v81
	v_cmp_lt_u32_e64 s0, 1, v81
	v_cmp_lt_u32_e64 s2, 3, v81
	v_cmp_lt_u32_e32 vcc_lo, 7, v81
	v_or_b32_e32 v79, 31, v0
	s_cmp_lg_u32 s15, 0
	s_mov_b32 s6, -1
	s_cbranch_scc0 .LBB1076_119
; %bb.87:
	v_mov_b32_dpp v1, v83 row_shr:1 row_mask:0xf bank_mask:0xf
	v_mov_b32_dpp v2, v82 row_shr:1 row_mask:0xf bank_mask:0xf
	s_delay_alu instid0(VALU_DEP_2) | instskip(NEXT) | instid1(VALU_DEP_1)
	v_add_nc_u32_e32 v1, v1, v83
	v_cndmask_b32_e64 v1, v1, v83, s1
	s_delay_alu instid0(VALU_DEP_1) | instskip(NEXT) | instid1(VALU_DEP_1)
	v_mov_b32_dpp v3, v1 row_shr:2 row_mask:0xf bank_mask:0xf
	v_add_nc_u32_e32 v3, v1, v3
	s_delay_alu instid0(VALU_DEP_1) | instskip(NEXT) | instid1(VALU_DEP_1)
	v_cndmask_b32_e64 v1, v1, v3, s0
	v_mov_b32_dpp v3, v1 row_shr:4 row_mask:0xf bank_mask:0xf
	s_delay_alu instid0(VALU_DEP_1) | instskip(NEXT) | instid1(VALU_DEP_1)
	v_add_nc_u32_e32 v3, v1, v3
	v_cndmask_b32_e64 v1, v1, v3, s2
	s_delay_alu instid0(VALU_DEP_1) | instskip(NEXT) | instid1(VALU_DEP_1)
	v_mov_b32_dpp v3, v1 row_shr:8 row_mask:0xf bank_mask:0xf
	v_add_nc_u32_e32 v3, v1, v3
	s_delay_alu instid0(VALU_DEP_1) | instskip(NEXT) | instid1(VALU_DEP_1)
	v_dual_cndmask_b32 v1, v1, v3 :: v_dual_add_nc_u32 v2, v2, v82
	v_cndmask_b32_e64 v2, v2, v82, s1
	s_delay_alu instid0(VALU_DEP_1) | instskip(NEXT) | instid1(VALU_DEP_1)
	v_mov_b32_dpp v4, v2 row_shr:2 row_mask:0xf bank_mask:0xf
	v_add_nc_u32_e32 v4, v2, v4
	s_delay_alu instid0(VALU_DEP_1) | instskip(NEXT) | instid1(VALU_DEP_1)
	v_cndmask_b32_e64 v2, v2, v4, s0
	v_mov_b32_dpp v4, v2 row_shr:4 row_mask:0xf bank_mask:0xf
	s_delay_alu instid0(VALU_DEP_1) | instskip(NEXT) | instid1(VALU_DEP_1)
	v_add_nc_u32_e32 v4, v2, v4
	v_cndmask_b32_e64 v2, v2, v4, s2
	s_mov_b32 s2, exec_lo
	s_delay_alu instid0(VALU_DEP_1) | instskip(NEXT) | instid1(VALU_DEP_1)
	v_mov_b32_dpp v4, v2 row_shr:8 row_mask:0xf bank_mask:0xf
	v_add_nc_u32_e32 v4, v2, v4
	s_delay_alu instid0(VALU_DEP_1)
	v_cndmask_b32_e32 v3, v2, v4, vcc_lo
	ds_swizzle_b32 v2, v1 offset:swizzle(BROADCAST,32,15)
	v_cmp_eq_u32_e32 vcc_lo, 0, v80
	s_waitcnt lgkmcnt(0)
	v_add_nc_u32_e32 v2, v1, v2
	ds_swizzle_b32 v4, v3 offset:swizzle(BROADCAST,32,15)
	v_cndmask_b32_e32 v2, v2, v1, vcc_lo
	s_waitcnt lgkmcnt(0)
	v_add_nc_u32_e32 v4, v3, v4
	s_delay_alu instid0(VALU_DEP_1)
	v_cndmask_b32_e32 v1, v4, v3, vcc_lo
	v_cmpx_eq_u32_e64 v79, v0
	s_cbranch_execz .LBB1076_89
; %bb.88:
	v_lshlrev_b32_e32 v3, 3, v78
	ds_store_b64 v3, v[1:2]
.LBB1076_89:
	s_or_b32 exec_lo, exec_lo, s2
	s_delay_alu instid0(SALU_CYCLE_1)
	s_mov_b32 s2, exec_lo
	s_waitcnt lgkmcnt(0)
	s_barrier
	buffer_gl0_inv
	v_cmpx_gt_u32_e32 8, v0
	s_cbranch_execz .LBB1076_91
; %bb.90:
	v_lshlrev_b32_e32 v5, 3, v0
	ds_load_b64 v[3:4], v5
	s_waitcnt lgkmcnt(0)
	v_mov_b32_dpp v18, v3 row_shr:1 row_mask:0xf bank_mask:0xf
	v_mov_b32_dpp v19, v4 row_shr:1 row_mask:0xf bank_mask:0xf
	s_delay_alu instid0(VALU_DEP_2) | instskip(SKIP_1) | instid1(VALU_DEP_3)
	v_add_nc_u32_e32 v18, v18, v3
	v_and_b32_e32 v20, 7, v77
	v_add_nc_u32_e32 v19, v19, v4
	s_delay_alu instid0(VALU_DEP_2) | instskip(NEXT) | instid1(VALU_DEP_2)
	v_cmp_eq_u32_e32 vcc_lo, 0, v20
	v_dual_cndmask_b32 v4, v19, v4 :: v_dual_cndmask_b32 v3, v18, v3
	v_cmp_lt_u32_e32 vcc_lo, 1, v20
	s_delay_alu instid0(VALU_DEP_2) | instskip(NEXT) | instid1(VALU_DEP_3)
	v_mov_b32_dpp v19, v4 row_shr:2 row_mask:0xf bank_mask:0xf
	v_mov_b32_dpp v18, v3 row_shr:2 row_mask:0xf bank_mask:0xf
	s_delay_alu instid0(VALU_DEP_2) | instskip(NEXT) | instid1(VALU_DEP_2)
	v_add_nc_u32_e32 v19, v4, v19
	v_add_nc_u32_e32 v18, v3, v18
	s_delay_alu instid0(VALU_DEP_1) | instskip(SKIP_1) | instid1(VALU_DEP_2)
	v_dual_cndmask_b32 v4, v4, v19 :: v_dual_cndmask_b32 v3, v3, v18
	v_cmp_lt_u32_e32 vcc_lo, 3, v20
	v_mov_b32_dpp v19, v4 row_shr:4 row_mask:0xf bank_mask:0xf
	s_delay_alu instid0(VALU_DEP_3) | instskip(NEXT) | instid1(VALU_DEP_1)
	v_mov_b32_dpp v18, v3 row_shr:4 row_mask:0xf bank_mask:0xf
	v_dual_cndmask_b32 v19, 0, v19 :: v_dual_cndmask_b32 v18, 0, v18
	s_delay_alu instid0(VALU_DEP_1) | instskip(NEXT) | instid1(VALU_DEP_2)
	v_add_nc_u32_e32 v4, v19, v4
	v_add_nc_u32_e32 v3, v18, v3
	ds_store_b64 v5, v[3:4]
.LBB1076_91:
	s_or_b32 exec_lo, exec_lo, s2
	v_cmp_gt_u32_e32 vcc_lo, 32, v0
	v_cmp_lt_u32_e64 s2, 31, v0
	s_waitcnt lgkmcnt(0)
	s_barrier
	buffer_gl0_inv
                                        ; implicit-def: $vgpr19
	s_and_saveexec_b32 s6, s2
	s_delay_alu instid0(SALU_CYCLE_1)
	s_xor_b32 s2, exec_lo, s6
	s_cbranch_execz .LBB1076_93
; %bb.92:
	v_lshl_add_u32 v3, v78, 3, -8
	ds_load_b64 v[18:19], v3
	s_waitcnt lgkmcnt(0)
	v_add_nc_u32_e32 v2, v19, v2
	v_add_nc_u32_e32 v1, v18, v1
.LBB1076_93:
	s_and_not1_saveexec_b32 s2, s2
; %bb.94:
                                        ; implicit-def: $vgpr18
; %bb.95:
	s_delay_alu instid0(SALU_CYCLE_1) | instskip(SKIP_1) | instid1(VALU_DEP_1)
	s_or_b32 exec_lo, exec_lo, s2
	v_add_nc_u32_e32 v3, -1, v77
	v_cmp_gt_i32_e64 s2, 0, v3
	s_delay_alu instid0(VALU_DEP_1) | instskip(SKIP_1) | instid1(VALU_DEP_2)
	v_cndmask_b32_e64 v3, v3, v77, s2
	v_cmp_eq_u32_e64 s2, 0, v77
	v_lshlrev_b32_e32 v3, 2, v3
	ds_bpermute_b32 v84, v3, v1
	ds_bpermute_b32 v85, v3, v2
	s_and_saveexec_b32 s6, vcc_lo
	s_cbranch_execz .LBB1076_118
; %bb.96:
	v_mov_b32_e32 v4, 0
	ds_load_b64 v[1:2], v4 offset:56
	s_waitcnt lgkmcnt(0)
	v_readfirstlane_b32 s7, v2
	s_and_saveexec_b32 s8, s2
	s_cbranch_execz .LBB1076_98
; %bb.97:
	s_add_i32 s10, s15, 32
	s_mov_b32 s11, 0
	v_mov_b32_e32 v3, 1
	s_lshl_b64 s[12:13], s[10:11], 4
	s_mov_b32 s16, s11
	s_add_u32 s12, s4, s12
	s_addc_u32 s13, s5, s13
	s_and_b32 s17, s7, 0xff000000
	s_and_b32 s19, s7, 0xff0000
	s_mov_b32 s18, s11
	v_dual_mov_b32 v21, s13 :: v_dual_mov_b32 v20, s12
	s_or_b64 s[16:17], s[18:19], s[16:17]
	s_and_b32 s19, s7, 0xff00
	s_delay_alu instid0(SALU_CYCLE_1) | instskip(SKIP_1) | instid1(SALU_CYCLE_1)
	s_or_b64 s[16:17], s[16:17], s[18:19]
	s_and_b32 s19, s7, 0xff
	s_or_b64 s[10:11], s[16:17], s[18:19]
	s_delay_alu instid0(SALU_CYCLE_1)
	v_mov_b32_e32 v2, s11
	;;#ASMSTART
	global_store_dwordx4 v[20:21], v[1:4] off	
s_waitcnt vmcnt(0)
	;;#ASMEND
.LBB1076_98:
	s_or_b32 exec_lo, exec_lo, s8
	v_xad_u32 v20, v77, -1, s15
	s_mov_b32 s9, 0
	s_mov_b32 s8, exec_lo
	s_delay_alu instid0(VALU_DEP_1) | instskip(NEXT) | instid1(VALU_DEP_1)
	v_add_nc_u32_e32 v3, 32, v20
	v_lshlrev_b64 v[2:3], 4, v[3:4]
	s_delay_alu instid0(VALU_DEP_1) | instskip(NEXT) | instid1(VALU_DEP_2)
	v_add_co_u32 v21, vcc_lo, s4, v2
	v_add_co_ci_u32_e32 v22, vcc_lo, s5, v3, vcc_lo
	;;#ASMSTART
	global_load_dwordx4 v[2:5], v[21:22] off glc	
s_waitcnt vmcnt(0)
	;;#ASMEND
	v_and_b32_e32 v5, 0xff, v3
	v_and_b32_e32 v23, 0xff00, v3
	v_or3_b32 v2, v2, 0, 0
	v_and_b32_e32 v24, 0xff000000, v3
	v_and_b32_e32 v3, 0xff0000, v3
	s_delay_alu instid0(VALU_DEP_4) | instskip(SKIP_2) | instid1(VALU_DEP_3)
	v_or3_b32 v5, 0, v5, v23
	v_and_b32_e32 v23, 0xff, v4
	v_or3_b32 v2, v2, 0, 0
	v_or3_b32 v3, v5, v3, v24
	s_delay_alu instid0(VALU_DEP_3)
	v_cmpx_eq_u16_e32 0, v23
	s_cbranch_execz .LBB1076_104
; %bb.99:
	s_mov_b32 s10, 1
	.p2align	6
.LBB1076_100:                           ; =>This Loop Header: Depth=1
                                        ;     Child Loop BB1076_101 Depth 2
	s_delay_alu instid0(SALU_CYCLE_1)
	s_max_u32 s11, s10, 1
.LBB1076_101:                           ;   Parent Loop BB1076_100 Depth=1
                                        ; =>  This Inner Loop Header: Depth=2
	s_delay_alu instid0(SALU_CYCLE_1)
	s_add_i32 s11, s11, -1
	s_sleep 1
	s_cmp_eq_u32 s11, 0
	s_cbranch_scc0 .LBB1076_101
; %bb.102:                              ;   in Loop: Header=BB1076_100 Depth=1
	;;#ASMSTART
	global_load_dwordx4 v[2:5], v[21:22] off glc	
s_waitcnt vmcnt(0)
	;;#ASMEND
	v_and_b32_e32 v5, 0xff, v4
	s_cmp_lt_u32 s10, 32
	s_cselect_b32 s11, -1, 0
	s_delay_alu instid0(SALU_CYCLE_1) | instskip(NEXT) | instid1(VALU_DEP_1)
	s_cmp_lg_u32 s11, 0
	v_cmp_ne_u16_e32 vcc_lo, 0, v5
	s_addc_u32 s10, s10, 0
	s_or_b32 s9, vcc_lo, s9
	s_delay_alu instid0(SALU_CYCLE_1)
	s_and_not1_b32 exec_lo, exec_lo, s9
	s_cbranch_execnz .LBB1076_100
; %bb.103:
	s_or_b32 exec_lo, exec_lo, s9
.LBB1076_104:
	s_delay_alu instid0(SALU_CYCLE_1)
	s_or_b32 exec_lo, exec_lo, s8
	v_cmp_ne_u32_e32 vcc_lo, 31, v77
	v_lshlrev_b32_e64 v87, v77, -1
	v_add_nc_u32_e32 v91, 4, v77
	v_add_nc_u32_e32 v93, 8, v77
	;; [unrolled: 1-line block ×3, first 2 shown]
	v_add_co_ci_u32_e32 v5, vcc_lo, 0, v77, vcc_lo
	s_delay_alu instid0(VALU_DEP_1)
	v_lshlrev_b32_e32 v86, 2, v5
	ds_bpermute_b32 v21, v86, v3
	ds_bpermute_b32 v5, v86, v2
	s_waitcnt lgkmcnt(1)
	v_add_nc_u32_e32 v21, v21, v3
	v_and_b32_e32 v22, 0xff, v4
	s_waitcnt lgkmcnt(0)
	v_add_nc_u32_e32 v5, v5, v2
	s_delay_alu instid0(VALU_DEP_2) | instskip(SKIP_2) | instid1(VALU_DEP_2)
	v_cmp_eq_u16_e32 vcc_lo, 2, v22
	v_and_or_b32 v22, vcc_lo, v87, 0x80000000
	v_cmp_gt_u32_e32 vcc_lo, 30, v77
	v_ctz_i32_b32_e32 v22, v22
	v_cndmask_b32_e64 v23, 0, 1, vcc_lo
	s_delay_alu instid0(VALU_DEP_2) | instskip(NEXT) | instid1(VALU_DEP_2)
	v_cmp_lt_u32_e32 vcc_lo, v77, v22
	v_dual_cndmask_b32 v2, v2, v5 :: v_dual_lshlrev_b32 v23, 1, v23
	s_delay_alu instid0(VALU_DEP_1)
	v_add_lshl_u32 v88, v23, v77, 2
	v_cndmask_b32_e32 v3, v3, v21, vcc_lo
	v_cmp_gt_u32_e32 vcc_lo, 28, v77
	ds_bpermute_b32 v5, v88, v2
	ds_bpermute_b32 v21, v88, v3
	v_cndmask_b32_e64 v23, 0, 1, vcc_lo
	s_waitcnt lgkmcnt(1)
	v_add_nc_u32_e32 v5, v2, v5
	v_add_nc_u32_e32 v89, 2, v77
	s_waitcnt lgkmcnt(0)
	v_add_nc_u32_e32 v21, v3, v21
	s_delay_alu instid0(VALU_DEP_2) | instskip(SKIP_1) | instid1(VALU_DEP_3)
	v_cmp_gt_u32_e32 vcc_lo, v89, v22
	v_dual_cndmask_b32 v2, v5, v2 :: v_dual_lshlrev_b32 v23, 2, v23
	v_cndmask_b32_e32 v3, v21, v3, vcc_lo
	v_cmp_gt_u32_e32 vcc_lo, 24, v77
	s_delay_alu instid0(VALU_DEP_3)
	v_add_lshl_u32 v90, v23, v77, 2
	v_cndmask_b32_e64 v23, 0, 1, vcc_lo
	v_cmp_gt_u32_e32 vcc_lo, v91, v22
	ds_bpermute_b32 v5, v90, v2
	ds_bpermute_b32 v21, v90, v3
	v_lshlrev_b32_e32 v23, 3, v23
	s_delay_alu instid0(VALU_DEP_1) | instskip(SKIP_3) | instid1(VALU_DEP_1)
	v_add_lshl_u32 v92, v23, v77, 2
	s_waitcnt lgkmcnt(1)
	v_add_nc_u32_e32 v5, v2, v5
	s_waitcnt lgkmcnt(0)
	v_dual_cndmask_b32 v2, v5, v2 :: v_dual_add_nc_u32 v21, v3, v21
	s_delay_alu instid0(VALU_DEP_1)
	v_cndmask_b32_e32 v3, v21, v3, vcc_lo
	v_cmp_gt_u32_e32 vcc_lo, 16, v77
	ds_bpermute_b32 v5, v92, v2
	ds_bpermute_b32 v21, v92, v3
	v_cndmask_b32_e64 v23, 0, 1, vcc_lo
	v_cmp_gt_u32_e32 vcc_lo, v93, v22
	s_delay_alu instid0(VALU_DEP_2) | instskip(NEXT) | instid1(VALU_DEP_1)
	v_lshlrev_b32_e32 v23, 4, v23
	v_add_lshl_u32 v94, v23, v77, 2
	s_waitcnt lgkmcnt(1)
	v_add_nc_u32_e32 v5, v2, v5
	s_waitcnt lgkmcnt(0)
	s_delay_alu instid0(VALU_DEP_1) | instskip(NEXT) | instid1(VALU_DEP_1)
	v_dual_cndmask_b32 v2, v5, v2 :: v_dual_add_nc_u32 v21, v3, v21
	v_cndmask_b32_e32 v3, v21, v3, vcc_lo
	v_cmp_le_u32_e32 vcc_lo, v95, v22
	ds_bpermute_b32 v5, v94, v2
	ds_bpermute_b32 v21, v94, v3
	s_waitcnt lgkmcnt(1)
	v_cndmask_b32_e32 v5, 0, v5, vcc_lo
	s_waitcnt lgkmcnt(0)
	s_delay_alu instid0(VALU_DEP_1) | instskip(NEXT) | instid1(VALU_DEP_1)
	v_dual_cndmask_b32 v21, 0, v21 :: v_dual_add_nc_u32 v2, v5, v2
	v_add_nc_u32_e32 v3, v21, v3
	v_mov_b32_e32 v21, 0
	s_branch .LBB1076_106
.LBB1076_105:                           ;   in Loop: Header=BB1076_106 Depth=1
	s_or_b32 exec_lo, exec_lo, s8
	ds_bpermute_b32 v5, v86, v2
	ds_bpermute_b32 v24, v86, v3
	v_subrev_nc_u32_e32 v20, 32, v20
	s_waitcnt lgkmcnt(1)
	v_add_nc_u32_e32 v5, v5, v2
	v_and_b32_e32 v25, 0xff, v4
	s_waitcnt lgkmcnt(0)
	v_add_nc_u32_e32 v24, v24, v3
	s_delay_alu instid0(VALU_DEP_2) | instskip(SKIP_1) | instid1(VALU_DEP_1)
	v_cmp_eq_u16_e32 vcc_lo, 2, v25
	v_and_or_b32 v25, vcc_lo, v87, 0x80000000
	v_ctz_i32_b32_e32 v25, v25
	s_delay_alu instid0(VALU_DEP_1)
	v_cmp_lt_u32_e32 vcc_lo, v77, v25
	v_cndmask_b32_e32 v2, v2, v5, vcc_lo
	ds_bpermute_b32 v5, v88, v2
	s_waitcnt lgkmcnt(0)
	v_add_nc_u32_e32 v5, v2, v5
	v_cndmask_b32_e32 v3, v3, v24, vcc_lo
	v_cmp_gt_u32_e32 vcc_lo, v89, v25
	s_delay_alu instid0(VALU_DEP_3)
	v_cndmask_b32_e32 v2, v5, v2, vcc_lo
	ds_bpermute_b32 v24, v88, v3
	ds_bpermute_b32 v5, v90, v2
	s_waitcnt lgkmcnt(1)
	v_add_nc_u32_e32 v24, v3, v24
	s_waitcnt lgkmcnt(0)
	v_add_nc_u32_e32 v5, v2, v5
	s_delay_alu instid0(VALU_DEP_2) | instskip(SKIP_1) | instid1(VALU_DEP_3)
	v_cndmask_b32_e32 v3, v24, v3, vcc_lo
	v_cmp_gt_u32_e32 vcc_lo, v91, v25
	v_cndmask_b32_e32 v2, v5, v2, vcc_lo
	ds_bpermute_b32 v24, v90, v3
	ds_bpermute_b32 v5, v92, v2
	s_waitcnt lgkmcnt(1)
	v_add_nc_u32_e32 v24, v3, v24
	s_waitcnt lgkmcnt(0)
	v_add_nc_u32_e32 v5, v2, v5
	s_delay_alu instid0(VALU_DEP_2) | instskip(SKIP_1) | instid1(VALU_DEP_3)
	v_cndmask_b32_e32 v3, v24, v3, vcc_lo
	v_cmp_gt_u32_e32 vcc_lo, v93, v25
	v_cndmask_b32_e32 v2, v5, v2, vcc_lo
	ds_bpermute_b32 v24, v92, v3
	ds_bpermute_b32 v5, v94, v2
	s_waitcnt lgkmcnt(1)
	v_add_nc_u32_e32 v24, v3, v24
	s_delay_alu instid0(VALU_DEP_1) | instskip(SKIP_4) | instid1(VALU_DEP_1)
	v_cndmask_b32_e32 v3, v24, v3, vcc_lo
	v_cmp_le_u32_e32 vcc_lo, v95, v25
	ds_bpermute_b32 v24, v94, v3
	s_waitcnt lgkmcnt(1)
	v_cndmask_b32_e32 v5, 0, v5, vcc_lo
	v_add3_u32 v2, v2, v22, v5
	s_waitcnt lgkmcnt(0)
	v_cndmask_b32_e32 v24, 0, v24, vcc_lo
	s_delay_alu instid0(VALU_DEP_1)
	v_add3_u32 v3, v3, v23, v24
.LBB1076_106:                           ; =>This Loop Header: Depth=1
                                        ;     Child Loop BB1076_109 Depth 2
                                        ;       Child Loop BB1076_110 Depth 3
	s_delay_alu instid0(VALU_DEP_1) | instskip(SKIP_1) | instid1(VALU_DEP_2)
	v_dual_mov_b32 v23, v3 :: v_dual_and_b32 v4, 0xff, v4
	v_mov_b32_e32 v22, v2
	v_cmp_ne_u16_e32 vcc_lo, 2, v4
	v_cndmask_b32_e64 v4, 0, 1, vcc_lo
	;;#ASMSTART
	;;#ASMEND
	s_delay_alu instid0(VALU_DEP_1)
	v_cmp_ne_u32_e32 vcc_lo, 0, v4
	s_cmp_lg_u32 vcc_lo, exec_lo
	s_cbranch_scc1 .LBB1076_113
; %bb.107:                              ;   in Loop: Header=BB1076_106 Depth=1
	v_lshlrev_b64 v[2:3], 4, v[20:21]
	s_mov_b32 s8, exec_lo
	s_delay_alu instid0(VALU_DEP_1) | instskip(NEXT) | instid1(VALU_DEP_2)
	v_add_co_u32 v24, vcc_lo, s4, v2
	v_add_co_ci_u32_e32 v25, vcc_lo, s5, v3, vcc_lo
	;;#ASMSTART
	global_load_dwordx4 v[2:5], v[24:25] off glc	
s_waitcnt vmcnt(0)
	;;#ASMEND
	v_and_b32_e32 v5, 0xff, v3
	v_and_b32_e32 v96, 0xff00, v3
	v_or3_b32 v2, v2, 0, 0
	v_and_b32_e32 v97, 0xff000000, v3
	v_and_b32_e32 v3, 0xff0000, v3
	s_delay_alu instid0(VALU_DEP_4) | instskip(SKIP_2) | instid1(VALU_DEP_3)
	v_or3_b32 v5, 0, v5, v96
	v_and_b32_e32 v96, 0xff, v4
	v_or3_b32 v2, v2, 0, 0
	v_or3_b32 v3, v5, v3, v97
	s_delay_alu instid0(VALU_DEP_3)
	v_cmpx_eq_u16_e32 0, v96
	s_cbranch_execz .LBB1076_105
; %bb.108:                              ;   in Loop: Header=BB1076_106 Depth=1
	s_mov_b32 s10, 1
	s_mov_b32 s9, 0
	.p2align	6
.LBB1076_109:                           ;   Parent Loop BB1076_106 Depth=1
                                        ; =>  This Loop Header: Depth=2
                                        ;       Child Loop BB1076_110 Depth 3
	s_max_u32 s11, s10, 1
.LBB1076_110:                           ;   Parent Loop BB1076_106 Depth=1
                                        ;     Parent Loop BB1076_109 Depth=2
                                        ; =>    This Inner Loop Header: Depth=3
	s_delay_alu instid0(SALU_CYCLE_1)
	s_add_i32 s11, s11, -1
	s_sleep 1
	s_cmp_eq_u32 s11, 0
	s_cbranch_scc0 .LBB1076_110
; %bb.111:                              ;   in Loop: Header=BB1076_109 Depth=2
	;;#ASMSTART
	global_load_dwordx4 v[2:5], v[24:25] off glc	
s_waitcnt vmcnt(0)
	;;#ASMEND
	v_and_b32_e32 v5, 0xff, v4
	s_cmp_lt_u32 s10, 32
	s_cselect_b32 s11, -1, 0
	s_delay_alu instid0(SALU_CYCLE_1) | instskip(NEXT) | instid1(VALU_DEP_1)
	s_cmp_lg_u32 s11, 0
	v_cmp_ne_u16_e32 vcc_lo, 0, v5
	s_addc_u32 s10, s10, 0
	s_or_b32 s9, vcc_lo, s9
	s_delay_alu instid0(SALU_CYCLE_1)
	s_and_not1_b32 exec_lo, exec_lo, s9
	s_cbranch_execnz .LBB1076_109
; %bb.112:                              ;   in Loop: Header=BB1076_106 Depth=1
	s_or_b32 exec_lo, exec_lo, s9
	s_branch .LBB1076_105
.LBB1076_113:                           ;   in Loop: Header=BB1076_106 Depth=1
                                        ; implicit-def: $vgpr4
                                        ; implicit-def: $vgpr2_vgpr3
	s_cbranch_execz .LBB1076_106
; %bb.114:
	s_and_saveexec_b32 s8, s2
	s_cbranch_execnz .LBB1076_357
; %bb.115:
	s_or_b32 exec_lo, exec_lo, s8
	s_and_saveexec_b32 s8, s2
	s_cbranch_execnz .LBB1076_358
.LBB1076_116:
	s_or_b32 exec_lo, exec_lo, s8
	v_cmp_eq_u32_e32 vcc_lo, 0, v0
	s_and_b32 exec_lo, exec_lo, vcc_lo
	s_cbranch_execz .LBB1076_118
.LBB1076_117:
	v_mov_b32_e32 v1, 0
	ds_store_b64 v1, v[22:23] offset:56
.LBB1076_118:
	s_or_b32 exec_lo, exec_lo, s6
	v_cmp_eq_u32_e32 vcc_lo, 0, v0
	v_mov_b32_e32 v1, 0
	s_waitcnt lgkmcnt(0)
	s_barrier
	buffer_gl0_inv
	v_add_nc_u32_e64 v3, 0x3400, 0
	ds_load_b64 v[20:21], v1 offset:56
	s_waitcnt lgkmcnt(0)
	s_barrier
	buffer_gl0_inv
	ds_load_2addr_b32 v[1:2], v3 offset1:2
	ds_load_2addr_b32 v[3:4], v3 offset0:4 offset1:6
	v_cndmask_b32_e64 v5, v84, v18, s2
	v_cndmask_b32_e64 v18, v85, v19, s2
	s_delay_alu instid0(VALU_DEP_2) | instskip(NEXT) | instid1(VALU_DEP_1)
	v_add_nc_u32_e32 v19, v20, v5
	v_dual_cndmask_b32 v20, v19, v20 :: v_dual_add_nc_u32 v5, v21, v18
	s_delay_alu instid0(VALU_DEP_1)
	v_cndmask_b32_e32 v5, v5, v21, vcc_lo
	s_branch .LBB1076_129
.LBB1076_119:
                                        ; implicit-def: $vgpr5
                                        ; implicit-def: $vgpr3
                                        ; implicit-def: $vgpr1
                                        ; implicit-def: $vgpr20_vgpr21
	s_and_b32 vcc_lo, exec_lo, s6
	s_cbranch_vccz .LBB1076_129
; %bb.120:
	s_waitcnt lgkmcnt(0)
	v_mov_b32_dpp v2, v83 row_shr:1 row_mask:0xf bank_mask:0xf
	v_cmp_lt_u32_e32 vcc_lo, 3, v81
	v_mov_b32_dpp v1, v82 row_shr:1 row_mask:0xf bank_mask:0xf
	s_delay_alu instid0(VALU_DEP_3) | instskip(NEXT) | instid1(VALU_DEP_1)
	v_add_nc_u32_e32 v2, v2, v83
	v_cndmask_b32_e64 v2, v2, v83, s1
	s_delay_alu instid0(VALU_DEP_1) | instskip(NEXT) | instid1(VALU_DEP_1)
	v_mov_b32_dpp v4, v2 row_shr:2 row_mask:0xf bank_mask:0xf
	v_add_nc_u32_e32 v4, v2, v4
	s_delay_alu instid0(VALU_DEP_1) | instskip(NEXT) | instid1(VALU_DEP_1)
	v_cndmask_b32_e64 v2, v2, v4, s0
	v_mov_b32_dpp v4, v2 row_shr:4 row_mask:0xf bank_mask:0xf
	s_delay_alu instid0(VALU_DEP_1) | instskip(NEXT) | instid1(VALU_DEP_1)
	v_add_nc_u32_e32 v4, v2, v4
	v_dual_cndmask_b32 v2, v2, v4 :: v_dual_add_nc_u32 v1, v1, v82
	s_delay_alu instid0(VALU_DEP_1) | instskip(NEXT) | instid1(VALU_DEP_2)
	v_cndmask_b32_e64 v1, v1, v82, s1
	v_mov_b32_dpp v4, v2 row_shr:8 row_mask:0xf bank_mask:0xf
	s_delay_alu instid0(VALU_DEP_2) | instskip(NEXT) | instid1(VALU_DEP_2)
	v_mov_b32_dpp v3, v1 row_shr:2 row_mask:0xf bank_mask:0xf
	v_add_nc_u32_e32 v4, v2, v4
	s_delay_alu instid0(VALU_DEP_2) | instskip(NEXT) | instid1(VALU_DEP_1)
	v_add_nc_u32_e32 v3, v1, v3
	v_cndmask_b32_e64 v1, v1, v3, s0
	s_mov_b32 s0, exec_lo
	s_delay_alu instid0(VALU_DEP_1) | instskip(NEXT) | instid1(VALU_DEP_1)
	v_mov_b32_dpp v3, v1 row_shr:4 row_mask:0xf bank_mask:0xf
	v_add_nc_u32_e32 v3, v1, v3
	s_delay_alu instid0(VALU_DEP_1) | instskip(SKIP_1) | instid1(VALU_DEP_2)
	v_cndmask_b32_e32 v1, v1, v3, vcc_lo
	v_cmp_lt_u32_e32 vcc_lo, 7, v81
	v_mov_b32_dpp v3, v1 row_shr:8 row_mask:0xf bank_mask:0xf
	s_delay_alu instid0(VALU_DEP_1) | instskip(NEXT) | instid1(VALU_DEP_1)
	v_dual_cndmask_b32 v2, v2, v4 :: v_dual_add_nc_u32 v3, v1, v3
	v_cndmask_b32_e32 v1, v1, v3, vcc_lo
	ds_swizzle_b32 v3, v2 offset:swizzle(BROADCAST,32,15)
	v_cmp_eq_u32_e32 vcc_lo, 0, v80
	ds_swizzle_b32 v4, v1 offset:swizzle(BROADCAST,32,15)
	s_waitcnt lgkmcnt(1)
	v_add_nc_u32_e32 v3, v2, v3
	s_waitcnt lgkmcnt(0)
	v_add_nc_u32_e32 v4, v1, v4
	s_delay_alu instid0(VALU_DEP_1)
	v_dual_cndmask_b32 v2, v3, v2 :: v_dual_cndmask_b32 v1, v4, v1
	v_cmpx_eq_u32_e64 v79, v0
	s_cbranch_execz .LBB1076_122
; %bb.121:
	v_lshlrev_b32_e32 v3, 3, v78
	ds_store_b64 v3, v[1:2]
.LBB1076_122:
	s_or_b32 exec_lo, exec_lo, s0
	s_delay_alu instid0(SALU_CYCLE_1)
	s_mov_b32 s0, exec_lo
	s_waitcnt lgkmcnt(0)
	s_barrier
	buffer_gl0_inv
	v_cmpx_gt_u32_e32 8, v0
	s_cbranch_execz .LBB1076_124
; %bb.123:
	v_lshlrev_b32_e32 v5, 3, v0
	ds_load_b64 v[3:4], v5
	s_waitcnt lgkmcnt(0)
	v_mov_b32_dpp v18, v3 row_shr:1 row_mask:0xf bank_mask:0xf
	v_mov_b32_dpp v19, v4 row_shr:1 row_mask:0xf bank_mask:0xf
	s_delay_alu instid0(VALU_DEP_2) | instskip(SKIP_1) | instid1(VALU_DEP_3)
	v_add_nc_u32_e32 v18, v18, v3
	v_and_b32_e32 v20, 7, v77
	v_add_nc_u32_e32 v19, v19, v4
	s_delay_alu instid0(VALU_DEP_2) | instskip(NEXT) | instid1(VALU_DEP_2)
	v_cmp_eq_u32_e32 vcc_lo, 0, v20
	v_dual_cndmask_b32 v4, v19, v4 :: v_dual_cndmask_b32 v3, v18, v3
	v_cmp_lt_u32_e32 vcc_lo, 1, v20
	s_delay_alu instid0(VALU_DEP_2) | instskip(NEXT) | instid1(VALU_DEP_3)
	v_mov_b32_dpp v19, v4 row_shr:2 row_mask:0xf bank_mask:0xf
	v_mov_b32_dpp v18, v3 row_shr:2 row_mask:0xf bank_mask:0xf
	s_delay_alu instid0(VALU_DEP_2) | instskip(NEXT) | instid1(VALU_DEP_2)
	v_add_nc_u32_e32 v19, v4, v19
	v_add_nc_u32_e32 v18, v3, v18
	s_delay_alu instid0(VALU_DEP_1) | instskip(SKIP_1) | instid1(VALU_DEP_2)
	v_dual_cndmask_b32 v4, v4, v19 :: v_dual_cndmask_b32 v3, v3, v18
	v_cmp_lt_u32_e32 vcc_lo, 3, v20
	v_mov_b32_dpp v19, v4 row_shr:4 row_mask:0xf bank_mask:0xf
	s_delay_alu instid0(VALU_DEP_3) | instskip(NEXT) | instid1(VALU_DEP_1)
	v_mov_b32_dpp v18, v3 row_shr:4 row_mask:0xf bank_mask:0xf
	v_dual_cndmask_b32 v19, 0, v19 :: v_dual_cndmask_b32 v18, 0, v18
	s_delay_alu instid0(VALU_DEP_1) | instskip(NEXT) | instid1(VALU_DEP_2)
	v_add_nc_u32_e32 v4, v19, v4
	v_add_nc_u32_e32 v3, v18, v3
	ds_store_b64 v5, v[3:4]
.LBB1076_124:
	s_or_b32 exec_lo, exec_lo, s0
	v_dual_mov_b32 v3, 0 :: v_dual_mov_b32 v18, 0
	v_mov_b32_e32 v19, 0
	s_mov_b32 s0, exec_lo
	s_waitcnt lgkmcnt(0)
	s_barrier
	buffer_gl0_inv
	v_cmpx_lt_u32_e32 31, v0
	s_cbranch_execz .LBB1076_126
; %bb.125:
	v_lshl_add_u32 v4, v78, 3, -8
	ds_load_b64 v[18:19], v4
.LBB1076_126:
	s_or_b32 exec_lo, exec_lo, s0
	v_add_nc_u32_e32 v4, -1, v77
	s_waitcnt lgkmcnt(0)
	v_add_nc_u32_e32 v20, v19, v2
	v_add_nc_u32_e32 v5, v18, v1
	ds_load_b64 v[1:2], v3 offset:56
	v_cmp_gt_i32_e32 vcc_lo, 0, v4
	v_cndmask_b32_e32 v4, v4, v77, vcc_lo
	v_cmp_eq_u32_e32 vcc_lo, 0, v0
	s_delay_alu instid0(VALU_DEP_2)
	v_lshlrev_b32_e32 v4, 2, v4
	ds_bpermute_b32 v5, v4, v5
	ds_bpermute_b32 v20, v4, v20
	s_waitcnt lgkmcnt(2)
	v_readfirstlane_b32 s1, v2
	s_and_saveexec_b32 s0, vcc_lo
	s_cbranch_execz .LBB1076_128
; %bb.127:
	s_mov_b32 s6, 0
	s_add_u32 s4, s4, 0x200
	s_addc_u32 s5, s5, 0
	s_and_b32 s7, s1, 0xff000000
	s_and_b32 s9, s1, 0xff0000
	s_mov_b32 s8, s6
	v_mov_b32_e32 v22, s5
	s_or_b64 s[8:9], s[8:9], s[6:7]
	s_and_b32 s7, s1, 0xff00
	v_dual_mov_b32 v4, 0 :: v_dual_mov_b32 v21, s4
	s_or_b64 s[8:9], s[8:9], s[6:7]
	s_and_b32 s7, s1, 0xff
	v_mov_b32_e32 v3, 2
	s_or_b64 s[6:7], s[8:9], s[6:7]
	s_delay_alu instid0(SALU_CYCLE_1)
	v_mov_b32_e32 v2, s7
	;;#ASMSTART
	global_store_dwordx4 v[21:22], v[1:4] off	
s_waitcnt vmcnt(0)
	;;#ASMEND
.LBB1076_128:
	s_or_b32 exec_lo, exec_lo, s0
	v_cmp_eq_u32_e64 s0, 0, v77
	v_dual_mov_b32 v3, 0 :: v_dual_mov_b32 v2, s1
	s_waitcnt lgkmcnt(0)
	s_barrier
	s_delay_alu instid0(VALU_DEP_2)
	v_cndmask_b32_e64 v4, v5, v18, s0
	v_cndmask_b32_e64 v5, v20, v19, s0
	buffer_gl0_inv
	v_cndmask_b32_e64 v20, v4, 0, vcc_lo
	v_cndmask_b32_e64 v5, v5, 0, vcc_lo
	v_mov_b32_e32 v4, 0
.LBB1076_129:
	v_and_b32_e32 v30, 1, v30
	v_and_b32_e32 v34, 1, v34
	;; [unrolled: 1-line block ×4, first 2 shown]
	s_waitcnt lgkmcnt(0)
	v_add_co_u32 v18, s0, s28, v3
	v_cmp_eq_u32_e32 vcc_lo, 1, v30
	v_add_nc_u32_e32 v22, v5, v76
	v_sub_nc_u32_e32 v5, v5, v4
	v_add_co_ci_u32_e64 v19, null, s29, 0, s0
	s_mov_b32 s2, -1
	s_delay_alu instid0(VALU_DEP_3) | instskip(SKIP_3) | instid1(VALU_DEP_3)
	v_add_nc_u32_e32 v24, v22, v72
	v_sub_nc_u32_e32 v22, v22, v4
	v_add_nc_u32_e32 v5, v5, v1
	v_sub_co_u32 v72, s0, s30, v1
	v_add_nc_u32_e32 v22, v22, v1
	v_add_nc_u32_e32 v21, v20, v75
	v_sub_nc_u32_e32 v20, v20, v3
	s_delay_alu instid0(VALU_DEP_2)
	v_add_nc_u32_e32 v23, v21, v71
	v_add_nc_u32_e32 v71, v24, v74
	v_lshlrev_b32_e32 v74, 1, v1
	v_sub_nc_u32_e32 v21, v21, v3
	v_add_nc_u32_e32 v75, v20, v5
	v_sub_nc_u32_e32 v24, v24, v4
	s_delay_alu instid0(VALU_DEP_4) | instskip(NEXT) | instid1(VALU_DEP_4)
	v_add3_u32 v28, v74, v2, v28
	v_add_nc_u32_e32 v76, v22, v21
	s_delay_alu instid0(VALU_DEP_3) | instskip(NEXT) | instid1(VALU_DEP_3)
	v_add_nc_u32_e32 v24, v24, v1
	v_sub_nc_u32_e32 v75, v28, v75
	s_delay_alu instid0(VALU_DEP_3) | instskip(NEXT) | instid1(VALU_DEP_1)
	v_sub_nc_u32_e32 v76, v28, v76
	v_dual_cndmask_b32 v5, v75, v5 :: v_dual_add_nc_u32 v30, 1, v76
	v_cmp_eq_u32_e32 vcc_lo, 1, v34
	s_delay_alu instid0(VALU_DEP_2) | instskip(SKIP_1) | instid1(VALU_DEP_4)
	v_cndmask_b32_e32 v22, v30, v22, vcc_lo
	v_cmp_eq_u32_e32 vcc_lo, 1, v29
	v_cndmask_b32_e32 v5, v5, v20, vcc_lo
	v_and_b32_e32 v20, 1, v36
	v_cmp_eq_u32_e32 vcc_lo, 1, v33
	s_delay_alu instid0(VALU_DEP_3) | instskip(SKIP_1) | instid1(VALU_DEP_4)
	v_lshlrev_b32_e32 v5, 2, v5
	v_cndmask_b32_e32 v21, v22, v21, vcc_lo
	v_cmp_eq_u32_e32 vcc_lo, 1, v20
	v_add_nc_u32_e32 v25, v23, v73
	v_sub_nc_u32_e32 v23, v23, v3
	v_and_b32_e32 v22, 1, v31
	v_sub_co_ci_u32_e64 v73, null, s31, 0, s0
	v_and_b32_e32 v31, 1, v32
	s_delay_alu instid0(VALU_DEP_4) | instskip(NEXT) | instid1(VALU_DEP_1)
	v_add_nc_u32_e32 v77, v24, v23
	v_sub_nc_u32_e32 v75, v28, v77
	s_delay_alu instid0(VALU_DEP_1) | instskip(NEXT) | instid1(VALU_DEP_1)
	v_add_nc_u32_e32 v29, 2, v75
	v_cndmask_b32_e32 v20, v29, v24, vcc_lo
	v_sub_nc_u32_e32 v24, v71, v4
	v_cmp_eq_u32_e32 vcc_lo, 1, v22
	v_add_nc_u32_e32 v69, v25, v69
	v_lshlrev_b32_e32 v29, 2, v21
	ds_store_b32 v5, v16
	ds_store_b32 v29, v17
	v_cndmask_b32_e32 v22, v20, v23, vcc_lo
	v_sub_nc_u32_e32 v23, v25, v3
	v_add_nc_u32_e32 v24, v24, v1
	v_add_co_u32 v20, vcc_lo, v72, v4
	s_delay_alu instid0(VALU_DEP_4) | instskip(SKIP_1) | instid1(VALU_DEP_4)
	v_lshlrev_b32_e32 v5, 2, v22
	v_and_b32_e32 v22, 1, v35
	v_add_nc_u32_e32 v25, v23, v24
	v_add_co_ci_u32_e32 v21, vcc_lo, 0, v73, vcc_lo
	ds_store_b32 v5, v14
	v_cmp_eq_u32_e32 vcc_lo, 1, v22
	v_sub_nc_u32_e32 v17, v28, v25
	v_sub_nc_u32_e32 v29, v69, v3
	v_add_nc_u32_e32 v67, v69, v67
	s_delay_alu instid0(VALU_DEP_3) | instskip(NEXT) | instid1(VALU_DEP_2)
	v_add_nc_u32_e32 v17, 3, v17
	v_sub_nc_u32_e32 v30, v67, v3
	s_delay_alu instid0(VALU_DEP_2) | instskip(SKIP_2) | instid1(VALU_DEP_3)
	v_cndmask_b32_e32 v17, v17, v24, vcc_lo
	v_cmp_eq_u32_e32 vcc_lo, 1, v31
	v_and_b32_e32 v24, 1, v39
	v_cndmask_b32_e32 v14, v17, v23, vcc_lo
	v_add_nc_u32_e32 v70, v71, v70
	v_and_b32_e32 v23, 1, v38
	s_delay_alu instid0(VALU_DEP_3) | instskip(NEXT) | instid1(VALU_DEP_3)
	v_lshlrev_b32_e32 v14, 2, v14
	v_add_nc_u32_e32 v68, v70, v68
	v_sub_nc_u32_e32 v16, v70, v4
	ds_store_b32 v14, v15
	v_sub_nc_u32_e32 v25, v68, v4
	v_add_nc_u32_e32 v16, v16, v1
	s_delay_alu instid0(VALU_DEP_2) | instskip(NEXT) | instid1(VALU_DEP_2)
	v_add_nc_u32_e32 v25, v25, v1
	v_add_nc_u32_e32 v32, v29, v16
	s_delay_alu instid0(VALU_DEP_2) | instskip(NEXT) | instid1(VALU_DEP_2)
	v_add_nc_u32_e32 v22, v30, v25
	v_sub_nc_u32_e32 v5, v28, v32
	s_delay_alu instid0(VALU_DEP_2) | instskip(SKIP_1) | instid1(VALU_DEP_3)
	v_sub_nc_u32_e32 v17, v28, v22
	v_and_b32_e32 v22, 1, v37
	v_add_nc_u32_e32 v5, 4, v5
	s_delay_alu instid0(VALU_DEP_3) | instskip(NEXT) | instid1(VALU_DEP_3)
	v_add_nc_u32_e32 v17, 5, v17
	v_cmp_eq_u32_e32 vcc_lo, 1, v22
	s_delay_alu instid0(VALU_DEP_3)
	v_cndmask_b32_e32 v5, v5, v16, vcc_lo
	v_cmp_eq_u32_e32 vcc_lo, 1, v24
	v_and_b32_e32 v16, 1, v41
	v_cndmask_b32_e32 v17, v17, v25, vcc_lo
	v_cmp_eq_u32_e32 vcc_lo, 1, v23
	v_cndmask_b32_e32 v5, v5, v29, vcc_lo
	s_delay_alu instid0(VALU_DEP_4) | instskip(SKIP_1) | instid1(VALU_DEP_3)
	v_cmp_eq_u32_e32 vcc_lo, 1, v16
	v_add_nc_u32_e32 v66, v68, v66
	v_dual_cndmask_b32 v16, v17, v30 :: v_dual_lshlrev_b32 v5, 2, v5
	s_delay_alu instid0(VALU_DEP_2) | instskip(SKIP_1) | instid1(VALU_DEP_3)
	v_sub_nc_u32_e32 v22, v66, v4
	v_add_nc_u32_e32 v62, v66, v62
	v_lshlrev_b32_e32 v16, 2, v16
	ds_store_b32 v5, v12
	ds_store_b32 v16, v13
	v_and_b32_e32 v12, 1, v40
	v_add_nc_u32_e32 v22, v22, v1
	v_add_nc_u32_e32 v64, v62, v64
	v_sub_nc_u32_e32 v17, v62, v4
	v_and_b32_e32 v16, 1, v43
	v_cmp_eq_u32_e32 vcc_lo, 1, v12
	v_add_nc_u32_e32 v65, v67, v65
	v_sub_nc_u32_e32 v15, v64, v4
	v_add_nc_u32_e32 v17, v17, v1
	s_delay_alu instid0(VALU_DEP_3) | instskip(NEXT) | instid1(VALU_DEP_3)
	v_sub_nc_u32_e32 v23, v65, v3
	v_add_nc_u32_e32 v15, v15, v1
	s_delay_alu instid0(VALU_DEP_2) | instskip(NEXT) | instid1(VALU_DEP_1)
	v_add_nc_u32_e32 v24, v23, v22
	v_sub_nc_u32_e32 v14, v28, v24
	v_and_b32_e32 v24, 1, v48
	s_delay_alu instid0(VALU_DEP_2) | instskip(SKIP_1) | instid1(VALU_DEP_2)
	v_add_nc_u32_e32 v13, 6, v14
	v_and_b32_e32 v14, 1, v42
	v_cndmask_b32_e32 v12, v13, v22, vcc_lo
	v_add_nc_u32_e32 v61, v65, v61
	s_delay_alu instid0(VALU_DEP_3) | instskip(SKIP_1) | instid1(VALU_DEP_3)
	v_cmp_eq_u32_e32 vcc_lo, 1, v14
	v_and_b32_e32 v22, 1, v44
	v_sub_nc_u32_e32 v25, v61, v3
	v_add_nc_u32_e32 v63, v61, v63
	v_cndmask_b32_e32 v12, v12, v23, vcc_lo
	v_cmp_eq_u32_e32 vcc_lo, 1, v16
	v_and_b32_e32 v23, 1, v46
	v_add_nc_u32_e32 v5, v25, v17
	v_sub_nc_u32_e32 v13, v63, v3
	v_lshlrev_b32_e32 v12, 2, v12
	v_add_nc_u32_e32 v59, v63, v59
	s_delay_alu instid0(VALU_DEP_4) | instskip(NEXT) | instid1(VALU_DEP_4)
	v_sub_nc_u32_e32 v5, v28, v5
	v_add_nc_u32_e32 v14, v13, v15
	s_delay_alu instid0(VALU_DEP_3) | instskip(NEXT) | instid1(VALU_DEP_3)
	v_add_nc_u32_e32 v57, v59, v57
	v_add_nc_u32_e32 v5, 7, v5
	s_delay_alu instid0(VALU_DEP_3) | instskip(NEXT) | instid1(VALU_DEP_3)
	v_sub_nc_u32_e32 v14, v28, v14
	v_add_nc_u32_e32 v55, v57, v55
	s_delay_alu instid0(VALU_DEP_3)
	v_cndmask_b32_e32 v5, v5, v17, vcc_lo
	v_cmp_eq_u32_e32 vcc_lo, 1, v22
	v_and_b32_e32 v17, 1, v45
	v_add_nc_u32_e32 v14, 8, v14
	v_sub_nc_u32_e32 v22, v59, v3
	v_add_nc_u32_e32 v53, v55, v53
	v_cndmask_b32_e32 v5, v5, v25, vcc_lo
	v_cmp_eq_u32_e32 vcc_lo, 1, v17
	v_sub_nc_u32_e32 v17, v55, v3
	v_and_b32_e32 v25, 1, v52
	s_delay_alu instid0(VALU_DEP_4)
	v_dual_cndmask_b32 v14, v14, v15 :: v_dual_lshlrev_b32 v5, 2, v5
	v_cmp_eq_u32_e32 vcc_lo, 1, v23
	v_add_nc_u32_e32 v60, v64, v60
	ds_store_b32 v12, v10
	ds_store_b32 v5, v11
	v_and_b32_e32 v11, 1, v49
	v_cndmask_b32_e32 v5, v14, v13, vcc_lo
	v_sub_nc_u32_e32 v16, v60, v4
	v_add_nc_u32_e32 v58, v60, v58
	v_and_b32_e32 v13, 1, v47
	s_delay_alu instid0(VALU_DEP_4) | instskip(NEXT) | instid1(VALU_DEP_4)
	v_lshlrev_b32_e32 v5, 2, v5
	v_add_nc_u32_e32 v16, v16, v1
	s_delay_alu instid0(VALU_DEP_4) | instskip(SKIP_2) | instid1(VALU_DEP_4)
	v_add_nc_u32_e32 v56, v58, v56
	v_sub_nc_u32_e32 v12, v58, v4
	v_cmp_eq_u32_e32 vcc_lo, 1, v13
	v_add_nc_u32_e32 v15, v22, v16
	s_delay_alu instid0(VALU_DEP_4) | instskip(NEXT) | instid1(VALU_DEP_4)
	v_sub_nc_u32_e32 v14, v56, v4
	v_add_nc_u32_e32 v12, v12, v1
	v_add_nc_u32_e32 v54, v56, v54
	s_delay_alu instid0(VALU_DEP_4) | instskip(SKIP_2) | instid1(VALU_DEP_4)
	v_sub_nc_u32_e32 v10, v28, v15
	v_sub_nc_u32_e32 v15, v57, v3
	v_add_nc_u32_e32 v14, v14, v1
	v_sub_nc_u32_e32 v23, v54, v4
	v_sub_nc_u32_e32 v3, v53, v3
	v_add_nc_u32_e32 v10, 9, v10
	v_add_nc_u32_e32 v13, v15, v12
	s_delay_alu instid0(VALU_DEP_2) | instskip(SKIP_2) | instid1(VALU_DEP_4)
	v_dual_cndmask_b32 v10, v10, v16 :: v_dual_add_nc_u32 v23, v23, v1
	v_add_nc_u32_e32 v16, v17, v14
	v_cmp_eq_u32_e32 vcc_lo, 1, v11
	v_sub_nc_u32_e32 v11, v28, v13
	v_and_b32_e32 v13, 1, v50
	s_delay_alu instid0(VALU_DEP_4) | instskip(NEXT) | instid1(VALU_DEP_3)
	v_sub_nc_u32_e32 v16, v28, v16
	v_dual_cndmask_b32 v10, v10, v22 :: v_dual_add_nc_u32 v11, 10, v11
	v_cmp_eq_u32_e32 vcc_lo, 1, v24
	v_add_nc_u32_e32 v22, v3, v23
	s_delay_alu instid0(VALU_DEP_4) | instskip(NEXT) | instid1(VALU_DEP_4)
	v_add_nc_u32_e32 v16, 11, v16
	v_dual_cndmask_b32 v11, v11, v12 :: v_dual_lshlrev_b32 v10, 2, v10
	v_cmp_eq_u32_e32 vcc_lo, 1, v25
	s_delay_alu instid0(VALU_DEP_4) | instskip(SKIP_3) | instid1(VALU_DEP_4)
	v_sub_nc_u32_e32 v22, v28, v22
	v_and_b32_e32 v12, 1, v51
	v_cndmask_b32_e32 v14, v16, v14, vcc_lo
	v_cmp_eq_u32_e32 vcc_lo, 1, v13
	v_dual_cndmask_b32 v11, v11, v15 :: v_dual_add_nc_u32 v16, 12, v22
	s_delay_alu instid0(VALU_DEP_4) | instskip(NEXT) | instid1(VALU_DEP_2)
	v_cmp_eq_u32_e32 vcc_lo, 1, v12
	v_cndmask_b32_e64 v13, v16, v23, s43
	s_delay_alu instid0(VALU_DEP_3) | instskip(NEXT) | instid1(VALU_DEP_2)
	v_dual_cndmask_b32 v12, v14, v17 :: v_dual_lshlrev_b32 v11, 2, v11
	v_cndmask_b32_e64 v3, v13, v3, s42
	s_delay_alu instid0(VALU_DEP_2)
	v_lshlrev_b32_e32 v12, 2, v12
	ds_store_b32 v5, v8
	ds_store_b32 v10, v9
	;; [unrolled: 1-line block ×4, first 2 shown]
	v_lshlrev_b32_e32 v3, 2, v3
	v_add_co_u32 v5, s0, v2, v74
	s_delay_alu instid0(VALU_DEP_1) | instskip(SKIP_4) | instid1(VALU_DEP_2)
	v_add_co_ci_u32_e64 v6, null, 0, 0, s0
	ds_store_b32 v3, v27
	v_add_co_u32 v3, vcc_lo, v5, v20
	v_add_co_ci_u32_e32 v5, vcc_lo, v6, v21, vcc_lo
	s_add_u32 s0, s34, s33
	v_add_co_u32 v3, vcc_lo, v3, v18
	s_delay_alu instid0(VALU_DEP_2) | instskip(SKIP_1) | instid1(VALU_DEP_2)
	v_add_co_ci_u32_e32 v5, vcc_lo, v5, v19, vcc_lo
	s_addc_u32 s1, s35, 0
	v_sub_co_u32 v3, vcc_lo, s0, v3
	s_delay_alu instid0(VALU_DEP_2)
	v_sub_co_ci_u32_e32 v9, vcc_lo, s1, v5, vcc_lo
	v_lshlrev_b64 v[5:6], 2, v[20:21]
	v_lshlrev_b64 v[7:8], 2, v[18:19]
	v_add_nc_u32_e32 v10, v1, v2
	s_add_u32 s1, s26, -4
	s_waitcnt lgkmcnt(0)
	s_barrier
	v_add_co_u32 v5, vcc_lo, s38, v5
	v_add_co_ci_u32_e32 v6, vcc_lo, s39, v6, vcc_lo
	v_cmp_ne_u32_e32 vcc_lo, 1, v26
	v_add_co_u32 v7, s0, s36, v7
	s_delay_alu instid0(VALU_DEP_1)
	v_add_co_ci_u32_e64 v8, s0, s37, v8, s0
	s_addc_u32 s0, s27, -1
	buffer_gl0_inv
	s_cbranch_vccz .LBB1076_133
; %bb.130:
	s_and_b32 vcc_lo, exec_lo, s2
	s_cbranch_vccnz .LBB1076_238
.LBB1076_131:
	v_cmp_eq_u32_e32 vcc_lo, 0, v0
	s_and_b32 s0, vcc_lo, s14
	s_delay_alu instid0(SALU_CYCLE_1)
	s_and_saveexec_b32 s1, s0
	s_cbranch_execnz .LBB1076_356
.LBB1076_132:
	s_nop 0
	s_sendmsg sendmsg(MSG_DEALLOC_VGPRS)
	s_endpgm
.LBB1076_133:
	s_mov_b32 s2, exec_lo
	v_cmpx_le_u32_e64 v1, v0
	s_xor_b32 s2, exec_lo, s2
	s_cbranch_execz .LBB1076_139
; %bb.134:
	s_mov_b32 s4, exec_lo
	v_cmpx_le_u32_e64 v10, v0
	s_xor_b32 s4, exec_lo, s4
	s_cbranch_execz .LBB1076_136
; %bb.135:
	v_lshlrev_b32_e32 v11, 2, v0
	ds_load_b32 v13, v11
	v_add_co_u32 v11, vcc_lo, v3, v0
	v_add_co_ci_u32_e32 v12, vcc_lo, 0, v9, vcc_lo
	s_delay_alu instid0(VALU_DEP_1) | instskip(NEXT) | instid1(VALU_DEP_1)
	v_lshlrev_b64 v[11:12], 2, v[11:12]
	v_sub_co_u32 v11, vcc_lo, s26, v11
	s_delay_alu instid0(VALU_DEP_2)
	v_sub_co_ci_u32_e32 v12, vcc_lo, s27, v12, vcc_lo
	s_waitcnt lgkmcnt(0)
	global_store_b32 v[11:12], v13, off offset:-4
.LBB1076_136:
	s_and_not1_saveexec_b32 s4, s4
	s_cbranch_execz .LBB1076_138
; %bb.137:
	v_lshlrev_b32_e32 v11, 2, v0
	v_readfirstlane_b32 s6, v5
	v_readfirstlane_b32 s7, v6
	ds_load_b32 v12, v11
	s_waitcnt lgkmcnt(0)
	global_store_b32 v11, v12, s[6:7]
.LBB1076_138:
	s_or_b32 exec_lo, exec_lo, s4
.LBB1076_139:
	s_and_not1_saveexec_b32 s2, s2
	s_cbranch_execz .LBB1076_141
; %bb.140:
	v_lshlrev_b32_e32 v11, 2, v0
	v_readfirstlane_b32 s4, v7
	v_readfirstlane_b32 s5, v8
	ds_load_b32 v12, v11
	s_waitcnt lgkmcnt(0)
	global_store_b32 v11, v12, s[4:5]
.LBB1076_141:
	s_or_b32 exec_lo, exec_lo, s2
	v_or_b32_e32 v11, 0x100, v0
	s_mov_b32 s2, exec_lo
	s_delay_alu instid0(VALU_DEP_1)
	v_cmpx_le_u32_e64 v1, v11
	s_xor_b32 s2, exec_lo, s2
	s_cbranch_execz .LBB1076_147
; %bb.142:
	s_mov_b32 s4, exec_lo
	v_cmpx_le_u32_e64 v10, v11
	s_xor_b32 s4, exec_lo, s4
	s_cbranch_execz .LBB1076_144
; %bb.143:
	v_lshlrev_b32_e32 v11, 2, v0
	ds_load_b32 v13, v11 offset:1024
	v_add_co_u32 v11, vcc_lo, v3, v0
	v_add_co_ci_u32_e32 v12, vcc_lo, 0, v9, vcc_lo
	s_delay_alu instid0(VALU_DEP_1) | instskip(NEXT) | instid1(VALU_DEP_1)
	v_lshlrev_b64 v[11:12], 2, v[11:12]
	v_sub_co_u32 v11, vcc_lo, s1, v11
	s_delay_alu instid0(VALU_DEP_2)
	v_sub_co_ci_u32_e32 v12, vcc_lo, s0, v12, vcc_lo
	s_waitcnt lgkmcnt(0)
	global_store_b32 v[11:12], v13, off offset:-1024
.LBB1076_144:
	s_and_not1_saveexec_b32 s4, s4
	s_cbranch_execz .LBB1076_146
; %bb.145:
	v_lshlrev_b32_e32 v11, 2, v0
	v_readfirstlane_b32 s6, v5
	v_readfirstlane_b32 s7, v6
	ds_load_b32 v12, v11 offset:1024
	s_waitcnt lgkmcnt(0)
	global_store_b32 v11, v12, s[6:7] offset:1024
.LBB1076_146:
	s_or_b32 exec_lo, exec_lo, s4
.LBB1076_147:
	s_and_not1_saveexec_b32 s2, s2
	s_cbranch_execz .LBB1076_149
; %bb.148:
	v_lshlrev_b32_e32 v11, 2, v0
	v_readfirstlane_b32 s4, v7
	v_readfirstlane_b32 s5, v8
	ds_load_b32 v12, v11 offset:1024
	s_waitcnt lgkmcnt(0)
	global_store_b32 v11, v12, s[4:5] offset:1024
.LBB1076_149:
	s_or_b32 exec_lo, exec_lo, s2
	v_or_b32_e32 v11, 0x200, v0
	s_mov_b32 s2, exec_lo
	s_delay_alu instid0(VALU_DEP_1)
	v_cmpx_le_u32_e64 v1, v11
	s_xor_b32 s2, exec_lo, s2
	s_cbranch_execz .LBB1076_155
; %bb.150:
	s_mov_b32 s4, exec_lo
	v_cmpx_le_u32_e64 v10, v11
	s_xor_b32 s4, exec_lo, s4
	s_cbranch_execz .LBB1076_152
; %bb.151:
	v_lshlrev_b32_e32 v11, 2, v0
	ds_load_b32 v13, v11 offset:2048
	v_add_co_u32 v11, vcc_lo, v3, v0
	v_add_co_ci_u32_e32 v12, vcc_lo, 0, v9, vcc_lo
	s_delay_alu instid0(VALU_DEP_1) | instskip(NEXT) | instid1(VALU_DEP_1)
	v_lshlrev_b64 v[11:12], 2, v[11:12]
	v_sub_co_u32 v11, vcc_lo, s1, v11
	s_delay_alu instid0(VALU_DEP_2)
	v_sub_co_ci_u32_e32 v12, vcc_lo, s0, v12, vcc_lo
	s_waitcnt lgkmcnt(0)
	global_store_b32 v[11:12], v13, off offset:-2048
.LBB1076_152:
	s_and_not1_saveexec_b32 s4, s4
	s_cbranch_execz .LBB1076_154
; %bb.153:
	v_lshlrev_b32_e32 v11, 2, v0
	v_readfirstlane_b32 s6, v5
	v_readfirstlane_b32 s7, v6
	ds_load_b32 v12, v11 offset:2048
	s_waitcnt lgkmcnt(0)
	global_store_b32 v11, v12, s[6:7] offset:2048
.LBB1076_154:
	s_or_b32 exec_lo, exec_lo, s4
.LBB1076_155:
	s_and_not1_saveexec_b32 s2, s2
	s_cbranch_execz .LBB1076_157
; %bb.156:
	v_lshlrev_b32_e32 v11, 2, v0
	v_readfirstlane_b32 s4, v7
	v_readfirstlane_b32 s5, v8
	ds_load_b32 v12, v11 offset:2048
	s_waitcnt lgkmcnt(0)
	global_store_b32 v11, v12, s[4:5] offset:2048
.LBB1076_157:
	;; [unrolled: 47-line block ×3, first 2 shown]
	s_or_b32 exec_lo, exec_lo, s2
	v_or_b32_e32 v11, 0x400, v0
	s_mov_b32 s2, exec_lo
	s_delay_alu instid0(VALU_DEP_1)
	v_cmpx_le_u32_e64 v1, v11
	s_xor_b32 s2, exec_lo, s2
	s_cbranch_execz .LBB1076_171
; %bb.166:
	s_mov_b32 s4, exec_lo
	v_cmpx_le_u32_e64 v10, v11
	s_xor_b32 s4, exec_lo, s4
	s_cbranch_execz .LBB1076_168
; %bb.167:
	v_lshlrev_b32_e32 v11, 2, v0
	ds_load_b32 v13, v11 offset:4096
	v_add_co_u32 v11, vcc_lo, v3, v0
	v_add_co_ci_u32_e32 v12, vcc_lo, 0, v9, vcc_lo
	s_delay_alu instid0(VALU_DEP_1) | instskip(NEXT) | instid1(VALU_DEP_1)
	v_lshlrev_b64 v[11:12], 2, v[11:12]
	v_sub_co_u32 v11, vcc_lo, s1, v11
	s_delay_alu instid0(VALU_DEP_2)
	v_sub_co_ci_u32_e32 v12, vcc_lo, s0, v12, vcc_lo
	s_waitcnt lgkmcnt(0)
	global_store_b32 v[11:12], v13, off offset:-4096
                                        ; implicit-def: $vgpr11
.LBB1076_168:
	s_and_not1_saveexec_b32 s4, s4
	s_cbranch_execz .LBB1076_170
; %bb.169:
	v_lshlrev_b32_e32 v12, 2, v0
	v_lshlrev_b32_e32 v11, 2, v11
	v_readfirstlane_b32 s6, v5
	v_readfirstlane_b32 s7, v6
	ds_load_b32 v12, v12 offset:4096
	s_waitcnt lgkmcnt(0)
	global_store_b32 v11, v12, s[6:7]
.LBB1076_170:
	s_or_b32 exec_lo, exec_lo, s4
                                        ; implicit-def: $vgpr11
.LBB1076_171:
	s_and_not1_saveexec_b32 s2, s2
	s_cbranch_execz .LBB1076_173
; %bb.172:
	v_lshlrev_b32_e32 v12, 2, v0
	v_lshlrev_b32_e32 v11, 2, v11
	v_readfirstlane_b32 s4, v7
	v_readfirstlane_b32 s5, v8
	ds_load_b32 v12, v12 offset:4096
	s_waitcnt lgkmcnt(0)
	global_store_b32 v11, v12, s[4:5]
.LBB1076_173:
	s_or_b32 exec_lo, exec_lo, s2
	v_or_b32_e32 v11, 0x500, v0
	s_mov_b32 s2, exec_lo
	s_delay_alu instid0(VALU_DEP_1)
	v_cmpx_le_u32_e64 v1, v11
	s_xor_b32 s2, exec_lo, s2
	s_cbranch_execz .LBB1076_179
; %bb.174:
	s_mov_b32 s4, exec_lo
	v_cmpx_le_u32_e64 v10, v11
	s_xor_b32 s4, exec_lo, s4
	s_cbranch_execz .LBB1076_176
; %bb.175:
	v_lshlrev_b32_e32 v12, 2, v0
	v_add_co_u32 v11, vcc_lo, v3, v11
	ds_load_b32 v13, v12 offset:5120
	v_add_co_ci_u32_e32 v12, vcc_lo, 0, v9, vcc_lo
	s_delay_alu instid0(VALU_DEP_1) | instskip(NEXT) | instid1(VALU_DEP_1)
	v_lshlrev_b64 v[11:12], 2, v[11:12]
	v_sub_co_u32 v11, vcc_lo, s1, v11
	s_delay_alu instid0(VALU_DEP_2)
	v_sub_co_ci_u32_e32 v12, vcc_lo, s0, v12, vcc_lo
	s_waitcnt lgkmcnt(0)
	global_store_b32 v[11:12], v13, off
                                        ; implicit-def: $vgpr11
.LBB1076_176:
	s_and_not1_saveexec_b32 s4, s4
	s_cbranch_execz .LBB1076_178
; %bb.177:
	v_lshlrev_b32_e32 v12, 2, v0
	v_lshlrev_b32_e32 v11, 2, v11
	v_readfirstlane_b32 s6, v5
	v_readfirstlane_b32 s7, v6
	ds_load_b32 v12, v12 offset:5120
	s_waitcnt lgkmcnt(0)
	global_store_b32 v11, v12, s[6:7]
.LBB1076_178:
	s_or_b32 exec_lo, exec_lo, s4
                                        ; implicit-def: $vgpr11
.LBB1076_179:
	s_and_not1_saveexec_b32 s2, s2
	s_cbranch_execz .LBB1076_181
; %bb.180:
	v_lshlrev_b32_e32 v12, 2, v0
	v_lshlrev_b32_e32 v11, 2, v11
	v_readfirstlane_b32 s4, v7
	v_readfirstlane_b32 s5, v8
	ds_load_b32 v12, v12 offset:5120
	s_waitcnt lgkmcnt(0)
	global_store_b32 v11, v12, s[4:5]
.LBB1076_181:
	s_or_b32 exec_lo, exec_lo, s2
	v_or_b32_e32 v11, 0x600, v0
	s_mov_b32 s2, exec_lo
	s_delay_alu instid0(VALU_DEP_1)
	v_cmpx_le_u32_e64 v1, v11
	s_xor_b32 s2, exec_lo, s2
	s_cbranch_execz .LBB1076_187
; %bb.182:
	s_mov_b32 s4, exec_lo
	v_cmpx_le_u32_e64 v10, v11
	s_xor_b32 s4, exec_lo, s4
	s_cbranch_execz .LBB1076_184
; %bb.183:
	v_lshlrev_b32_e32 v12, 2, v0
	v_add_co_u32 v11, vcc_lo, v3, v11
	ds_load_b32 v13, v12 offset:6144
	v_add_co_ci_u32_e32 v12, vcc_lo, 0, v9, vcc_lo
	s_delay_alu instid0(VALU_DEP_1) | instskip(NEXT) | instid1(VALU_DEP_1)
	v_lshlrev_b64 v[11:12], 2, v[11:12]
	v_sub_co_u32 v11, vcc_lo, s1, v11
	s_delay_alu instid0(VALU_DEP_2)
	v_sub_co_ci_u32_e32 v12, vcc_lo, s0, v12, vcc_lo
	s_waitcnt lgkmcnt(0)
	global_store_b32 v[11:12], v13, off
                                        ; implicit-def: $vgpr11
.LBB1076_184:
	s_and_not1_saveexec_b32 s4, s4
	s_cbranch_execz .LBB1076_186
; %bb.185:
	v_lshlrev_b32_e32 v12, 2, v0
	v_lshlrev_b32_e32 v11, 2, v11
	v_readfirstlane_b32 s6, v5
	v_readfirstlane_b32 s7, v6
	ds_load_b32 v12, v12 offset:6144
	s_waitcnt lgkmcnt(0)
	global_store_b32 v11, v12, s[6:7]
.LBB1076_186:
	s_or_b32 exec_lo, exec_lo, s4
                                        ; implicit-def: $vgpr11
.LBB1076_187:
	s_and_not1_saveexec_b32 s2, s2
	s_cbranch_execz .LBB1076_189
; %bb.188:
	v_lshlrev_b32_e32 v12, 2, v0
	v_lshlrev_b32_e32 v11, 2, v11
	v_readfirstlane_b32 s4, v7
	v_readfirstlane_b32 s5, v8
	ds_load_b32 v12, v12 offset:6144
	s_waitcnt lgkmcnt(0)
	global_store_b32 v11, v12, s[4:5]
.LBB1076_189:
	s_or_b32 exec_lo, exec_lo, s2
	v_or_b32_e32 v11, 0x700, v0
	s_mov_b32 s2, exec_lo
	s_delay_alu instid0(VALU_DEP_1)
	v_cmpx_le_u32_e64 v1, v11
	s_xor_b32 s2, exec_lo, s2
	s_cbranch_execz .LBB1076_195
; %bb.190:
	s_mov_b32 s4, exec_lo
	v_cmpx_le_u32_e64 v10, v11
	s_xor_b32 s4, exec_lo, s4
	s_cbranch_execz .LBB1076_192
; %bb.191:
	v_lshlrev_b32_e32 v12, 2, v0
	v_add_co_u32 v11, vcc_lo, v3, v11
	ds_load_b32 v13, v12 offset:7168
	v_add_co_ci_u32_e32 v12, vcc_lo, 0, v9, vcc_lo
	s_delay_alu instid0(VALU_DEP_1) | instskip(NEXT) | instid1(VALU_DEP_1)
	v_lshlrev_b64 v[11:12], 2, v[11:12]
	v_sub_co_u32 v11, vcc_lo, s1, v11
	s_delay_alu instid0(VALU_DEP_2)
	v_sub_co_ci_u32_e32 v12, vcc_lo, s0, v12, vcc_lo
	s_waitcnt lgkmcnt(0)
	global_store_b32 v[11:12], v13, off
                                        ; implicit-def: $vgpr11
.LBB1076_192:
	s_and_not1_saveexec_b32 s4, s4
	s_cbranch_execz .LBB1076_194
; %bb.193:
	v_lshlrev_b32_e32 v12, 2, v0
	v_lshlrev_b32_e32 v11, 2, v11
	v_readfirstlane_b32 s6, v5
	v_readfirstlane_b32 s7, v6
	ds_load_b32 v12, v12 offset:7168
	s_waitcnt lgkmcnt(0)
	global_store_b32 v11, v12, s[6:7]
.LBB1076_194:
	s_or_b32 exec_lo, exec_lo, s4
                                        ; implicit-def: $vgpr11
.LBB1076_195:
	s_and_not1_saveexec_b32 s2, s2
	s_cbranch_execz .LBB1076_197
; %bb.196:
	v_lshlrev_b32_e32 v12, 2, v0
	v_lshlrev_b32_e32 v11, 2, v11
	v_readfirstlane_b32 s4, v7
	v_readfirstlane_b32 s5, v8
	ds_load_b32 v12, v12 offset:7168
	s_waitcnt lgkmcnt(0)
	global_store_b32 v11, v12, s[4:5]
.LBB1076_197:
	s_or_b32 exec_lo, exec_lo, s2
	v_or_b32_e32 v11, 0x800, v0
	s_mov_b32 s2, exec_lo
	s_delay_alu instid0(VALU_DEP_1)
	v_cmpx_le_u32_e64 v1, v11
	s_xor_b32 s2, exec_lo, s2
	s_cbranch_execz .LBB1076_203
; %bb.198:
	s_mov_b32 s4, exec_lo
	v_cmpx_le_u32_e64 v10, v11
	s_xor_b32 s4, exec_lo, s4
	s_cbranch_execz .LBB1076_200
; %bb.199:
	v_lshlrev_b32_e32 v12, 2, v0
	v_add_co_u32 v11, vcc_lo, v3, v11
	ds_load_b32 v13, v12 offset:8192
	v_add_co_ci_u32_e32 v12, vcc_lo, 0, v9, vcc_lo
	s_delay_alu instid0(VALU_DEP_1) | instskip(NEXT) | instid1(VALU_DEP_1)
	v_lshlrev_b64 v[11:12], 2, v[11:12]
	v_sub_co_u32 v11, vcc_lo, s1, v11
	s_delay_alu instid0(VALU_DEP_2)
	v_sub_co_ci_u32_e32 v12, vcc_lo, s0, v12, vcc_lo
	s_waitcnt lgkmcnt(0)
	global_store_b32 v[11:12], v13, off
                                        ; implicit-def: $vgpr11
.LBB1076_200:
	s_and_not1_saveexec_b32 s4, s4
	s_cbranch_execz .LBB1076_202
; %bb.201:
	v_lshlrev_b32_e32 v12, 2, v0
	v_lshlrev_b32_e32 v11, 2, v11
	v_readfirstlane_b32 s6, v5
	v_readfirstlane_b32 s7, v6
	ds_load_b32 v12, v12 offset:8192
	s_waitcnt lgkmcnt(0)
	global_store_b32 v11, v12, s[6:7]
.LBB1076_202:
	s_or_b32 exec_lo, exec_lo, s4
                                        ; implicit-def: $vgpr11
.LBB1076_203:
	s_and_not1_saveexec_b32 s2, s2
	s_cbranch_execz .LBB1076_205
; %bb.204:
	v_lshlrev_b32_e32 v12, 2, v0
	v_lshlrev_b32_e32 v11, 2, v11
	v_readfirstlane_b32 s4, v7
	v_readfirstlane_b32 s5, v8
	ds_load_b32 v12, v12 offset:8192
	s_waitcnt lgkmcnt(0)
	global_store_b32 v11, v12, s[4:5]
.LBB1076_205:
	s_or_b32 exec_lo, exec_lo, s2
	v_or_b32_e32 v11, 0x900, v0
	s_mov_b32 s2, exec_lo
	s_delay_alu instid0(VALU_DEP_1)
	v_cmpx_le_u32_e64 v1, v11
	s_xor_b32 s2, exec_lo, s2
	s_cbranch_execz .LBB1076_211
; %bb.206:
	s_mov_b32 s4, exec_lo
	v_cmpx_le_u32_e64 v10, v11
	s_xor_b32 s4, exec_lo, s4
	s_cbranch_execz .LBB1076_208
; %bb.207:
	v_lshlrev_b32_e32 v12, 2, v0
	v_add_co_u32 v11, vcc_lo, v3, v11
	ds_load_b32 v13, v12 offset:9216
	v_add_co_ci_u32_e32 v12, vcc_lo, 0, v9, vcc_lo
	s_delay_alu instid0(VALU_DEP_1) | instskip(NEXT) | instid1(VALU_DEP_1)
	v_lshlrev_b64 v[11:12], 2, v[11:12]
	v_sub_co_u32 v11, vcc_lo, s1, v11
	s_delay_alu instid0(VALU_DEP_2)
	v_sub_co_ci_u32_e32 v12, vcc_lo, s0, v12, vcc_lo
	s_waitcnt lgkmcnt(0)
	global_store_b32 v[11:12], v13, off
                                        ; implicit-def: $vgpr11
.LBB1076_208:
	s_and_not1_saveexec_b32 s4, s4
	s_cbranch_execz .LBB1076_210
; %bb.209:
	v_lshlrev_b32_e32 v12, 2, v0
	v_lshlrev_b32_e32 v11, 2, v11
	v_readfirstlane_b32 s6, v5
	v_readfirstlane_b32 s7, v6
	ds_load_b32 v12, v12 offset:9216
	s_waitcnt lgkmcnt(0)
	global_store_b32 v11, v12, s[6:7]
.LBB1076_210:
	s_or_b32 exec_lo, exec_lo, s4
                                        ; implicit-def: $vgpr11
.LBB1076_211:
	s_and_not1_saveexec_b32 s2, s2
	s_cbranch_execz .LBB1076_213
; %bb.212:
	v_lshlrev_b32_e32 v12, 2, v0
	v_lshlrev_b32_e32 v11, 2, v11
	v_readfirstlane_b32 s4, v7
	v_readfirstlane_b32 s5, v8
	ds_load_b32 v12, v12 offset:9216
	s_waitcnt lgkmcnt(0)
	global_store_b32 v11, v12, s[4:5]
.LBB1076_213:
	s_or_b32 exec_lo, exec_lo, s2
	v_or_b32_e32 v11, 0xa00, v0
	s_mov_b32 s2, exec_lo
	s_delay_alu instid0(VALU_DEP_1)
	v_cmpx_le_u32_e64 v1, v11
	s_xor_b32 s2, exec_lo, s2
	s_cbranch_execz .LBB1076_219
; %bb.214:
	s_mov_b32 s4, exec_lo
	v_cmpx_le_u32_e64 v10, v11
	s_xor_b32 s4, exec_lo, s4
	s_cbranch_execz .LBB1076_216
; %bb.215:
	v_lshlrev_b32_e32 v12, 2, v0
	v_add_co_u32 v11, vcc_lo, v3, v11
	ds_load_b32 v13, v12 offset:10240
	v_add_co_ci_u32_e32 v12, vcc_lo, 0, v9, vcc_lo
	s_delay_alu instid0(VALU_DEP_1) | instskip(NEXT) | instid1(VALU_DEP_1)
	v_lshlrev_b64 v[11:12], 2, v[11:12]
	v_sub_co_u32 v11, vcc_lo, s1, v11
	s_delay_alu instid0(VALU_DEP_2)
	v_sub_co_ci_u32_e32 v12, vcc_lo, s0, v12, vcc_lo
	s_waitcnt lgkmcnt(0)
	global_store_b32 v[11:12], v13, off
                                        ; implicit-def: $vgpr11
.LBB1076_216:
	s_and_not1_saveexec_b32 s4, s4
	s_cbranch_execz .LBB1076_218
; %bb.217:
	v_lshlrev_b32_e32 v12, 2, v0
	v_lshlrev_b32_e32 v11, 2, v11
	v_readfirstlane_b32 s6, v5
	v_readfirstlane_b32 s7, v6
	ds_load_b32 v12, v12 offset:10240
	s_waitcnt lgkmcnt(0)
	global_store_b32 v11, v12, s[6:7]
.LBB1076_218:
	s_or_b32 exec_lo, exec_lo, s4
                                        ; implicit-def: $vgpr11
.LBB1076_219:
	s_and_not1_saveexec_b32 s2, s2
	s_cbranch_execz .LBB1076_221
; %bb.220:
	v_lshlrev_b32_e32 v12, 2, v0
	v_lshlrev_b32_e32 v11, 2, v11
	v_readfirstlane_b32 s4, v7
	v_readfirstlane_b32 s5, v8
	ds_load_b32 v12, v12 offset:10240
	s_waitcnt lgkmcnt(0)
	global_store_b32 v11, v12, s[4:5]
.LBB1076_221:
	s_or_b32 exec_lo, exec_lo, s2
	v_or_b32_e32 v11, 0xb00, v0
	s_mov_b32 s2, exec_lo
	s_delay_alu instid0(VALU_DEP_1)
	v_cmpx_le_u32_e64 v1, v11
	s_xor_b32 s2, exec_lo, s2
	s_cbranch_execz .LBB1076_227
; %bb.222:
	s_mov_b32 s4, exec_lo
	v_cmpx_le_u32_e64 v10, v11
	s_xor_b32 s4, exec_lo, s4
	s_cbranch_execz .LBB1076_224
; %bb.223:
	v_lshlrev_b32_e32 v12, 2, v0
	v_add_co_u32 v11, vcc_lo, v3, v11
	ds_load_b32 v13, v12 offset:11264
	v_add_co_ci_u32_e32 v12, vcc_lo, 0, v9, vcc_lo
	s_delay_alu instid0(VALU_DEP_1) | instskip(NEXT) | instid1(VALU_DEP_1)
	v_lshlrev_b64 v[11:12], 2, v[11:12]
	v_sub_co_u32 v11, vcc_lo, s1, v11
	s_delay_alu instid0(VALU_DEP_2)
	v_sub_co_ci_u32_e32 v12, vcc_lo, s0, v12, vcc_lo
	s_waitcnt lgkmcnt(0)
	global_store_b32 v[11:12], v13, off
                                        ; implicit-def: $vgpr11
.LBB1076_224:
	s_and_not1_saveexec_b32 s4, s4
	s_cbranch_execz .LBB1076_226
; %bb.225:
	v_lshlrev_b32_e32 v12, 2, v0
	v_lshlrev_b32_e32 v11, 2, v11
	v_readfirstlane_b32 s6, v5
	v_readfirstlane_b32 s7, v6
	ds_load_b32 v12, v12 offset:11264
	s_waitcnt lgkmcnt(0)
	global_store_b32 v11, v12, s[6:7]
.LBB1076_226:
	s_or_b32 exec_lo, exec_lo, s4
                                        ; implicit-def: $vgpr11
.LBB1076_227:
	s_and_not1_saveexec_b32 s2, s2
	s_cbranch_execz .LBB1076_229
; %bb.228:
	v_lshlrev_b32_e32 v12, 2, v0
	v_lshlrev_b32_e32 v11, 2, v11
	v_readfirstlane_b32 s4, v7
	v_readfirstlane_b32 s5, v8
	ds_load_b32 v12, v12 offset:11264
	s_waitcnt lgkmcnt(0)
	global_store_b32 v11, v12, s[4:5]
.LBB1076_229:
	s_or_b32 exec_lo, exec_lo, s2
	v_or_b32_e32 v11, 0xc00, v0
	s_mov_b32 s2, exec_lo
	s_delay_alu instid0(VALU_DEP_1)
	v_cmpx_le_u32_e64 v1, v11
	s_xor_b32 s2, exec_lo, s2
	s_cbranch_execz .LBB1076_235
; %bb.230:
	s_mov_b32 s4, exec_lo
	v_cmpx_le_u32_e64 v10, v11
	s_xor_b32 s4, exec_lo, s4
	s_cbranch_execz .LBB1076_232
; %bb.231:
	v_lshlrev_b32_e32 v12, 2, v0
	v_add_co_u32 v11, vcc_lo, v3, v11
	ds_load_b32 v13, v12 offset:12288
	v_add_co_ci_u32_e32 v12, vcc_lo, 0, v9, vcc_lo
	s_delay_alu instid0(VALU_DEP_1) | instskip(NEXT) | instid1(VALU_DEP_1)
	v_lshlrev_b64 v[11:12], 2, v[11:12]
	v_sub_co_u32 v11, vcc_lo, s1, v11
	s_delay_alu instid0(VALU_DEP_2)
	v_sub_co_ci_u32_e32 v12, vcc_lo, s0, v12, vcc_lo
	s_waitcnt lgkmcnt(0)
	global_store_b32 v[11:12], v13, off
                                        ; implicit-def: $vgpr11
.LBB1076_232:
	s_and_not1_saveexec_b32 s4, s4
	s_cbranch_execz .LBB1076_234
; %bb.233:
	v_lshlrev_b32_e32 v12, 2, v0
	v_lshlrev_b32_e32 v11, 2, v11
	v_readfirstlane_b32 s6, v5
	v_readfirstlane_b32 s7, v6
	ds_load_b32 v12, v12 offset:12288
	s_waitcnt lgkmcnt(0)
	global_store_b32 v11, v12, s[6:7]
.LBB1076_234:
	s_or_b32 exec_lo, exec_lo, s4
                                        ; implicit-def: $vgpr11
.LBB1076_235:
	s_and_not1_saveexec_b32 s2, s2
	s_cbranch_execz .LBB1076_237
; %bb.236:
	v_lshlrev_b32_e32 v12, 2, v0
	v_lshlrev_b32_e32 v11, 2, v11
	v_readfirstlane_b32 s4, v7
	v_readfirstlane_b32 s5, v8
	ds_load_b32 v12, v12 offset:12288
	s_waitcnt lgkmcnt(0)
	global_store_b32 v11, v12, s[4:5]
.LBB1076_237:
	s_or_b32 exec_lo, exec_lo, s2
	s_branch .LBB1076_131
.LBB1076_238:
	s_mov_b32 s2, exec_lo
	v_cmpx_gt_u32_e64 s3, v0
	s_cbranch_execz .LBB1076_247
; %bb.239:
	s_mov_b32 s4, exec_lo
	v_cmpx_le_u32_e64 v1, v0
	s_xor_b32 s4, exec_lo, s4
	s_cbranch_execz .LBB1076_245
; %bb.240:
	s_mov_b32 s5, exec_lo
	v_cmpx_le_u32_e64 v10, v0
	s_xor_b32 s5, exec_lo, s5
	s_cbranch_execz .LBB1076_242
; %bb.241:
	v_lshlrev_b32_e32 v11, 2, v0
	ds_load_b32 v13, v11
	v_add_co_u32 v11, vcc_lo, v3, v0
	v_add_co_ci_u32_e32 v12, vcc_lo, 0, v9, vcc_lo
	s_delay_alu instid0(VALU_DEP_1) | instskip(NEXT) | instid1(VALU_DEP_1)
	v_lshlrev_b64 v[11:12], 2, v[11:12]
	v_sub_co_u32 v11, vcc_lo, s26, v11
	s_delay_alu instid0(VALU_DEP_2)
	v_sub_co_ci_u32_e32 v12, vcc_lo, s27, v12, vcc_lo
	s_waitcnt lgkmcnt(0)
	global_store_b32 v[11:12], v13, off offset:-4
.LBB1076_242:
	s_and_not1_saveexec_b32 s5, s5
	s_cbranch_execz .LBB1076_244
; %bb.243:
	v_lshlrev_b32_e32 v11, 2, v0
	v_readfirstlane_b32 s6, v5
	v_readfirstlane_b32 s7, v6
	ds_load_b32 v12, v11
	s_waitcnt lgkmcnt(0)
	global_store_b32 v11, v12, s[6:7]
.LBB1076_244:
	s_or_b32 exec_lo, exec_lo, s5
.LBB1076_245:
	s_and_not1_saveexec_b32 s4, s4
	s_cbranch_execz .LBB1076_247
; %bb.246:
	v_lshlrev_b32_e32 v11, 2, v0
	v_readfirstlane_b32 s4, v7
	v_readfirstlane_b32 s5, v8
	ds_load_b32 v12, v11
	s_waitcnt lgkmcnt(0)
	global_store_b32 v11, v12, s[4:5]
.LBB1076_247:
	s_or_b32 exec_lo, exec_lo, s2
	v_or_b32_e32 v11, 0x100, v0
	s_mov_b32 s2, exec_lo
	s_delay_alu instid0(VALU_DEP_1)
	v_cmpx_gt_u32_e64 s3, v11
	s_cbranch_execz .LBB1076_256
; %bb.248:
	s_mov_b32 s4, exec_lo
	v_cmpx_le_u32_e64 v1, v11
	s_xor_b32 s4, exec_lo, s4
	s_cbranch_execz .LBB1076_254
; %bb.249:
	s_mov_b32 s5, exec_lo
	v_cmpx_le_u32_e64 v10, v11
	s_xor_b32 s5, exec_lo, s5
	s_cbranch_execz .LBB1076_251
; %bb.250:
	v_lshlrev_b32_e32 v11, 2, v0
	ds_load_b32 v13, v11 offset:1024
	v_add_co_u32 v11, vcc_lo, v3, v0
	v_add_co_ci_u32_e32 v12, vcc_lo, 0, v9, vcc_lo
	s_delay_alu instid0(VALU_DEP_1) | instskip(NEXT) | instid1(VALU_DEP_1)
	v_lshlrev_b64 v[11:12], 2, v[11:12]
	v_sub_co_u32 v11, vcc_lo, s1, v11
	s_delay_alu instid0(VALU_DEP_2)
	v_sub_co_ci_u32_e32 v12, vcc_lo, s0, v12, vcc_lo
	s_waitcnt lgkmcnt(0)
	global_store_b32 v[11:12], v13, off offset:-1024
.LBB1076_251:
	s_and_not1_saveexec_b32 s5, s5
	s_cbranch_execz .LBB1076_253
; %bb.252:
	v_lshlrev_b32_e32 v11, 2, v0
	v_readfirstlane_b32 s6, v5
	v_readfirstlane_b32 s7, v6
	ds_load_b32 v12, v11 offset:1024
	s_waitcnt lgkmcnt(0)
	global_store_b32 v11, v12, s[6:7] offset:1024
.LBB1076_253:
	s_or_b32 exec_lo, exec_lo, s5
.LBB1076_254:
	s_and_not1_saveexec_b32 s4, s4
	s_cbranch_execz .LBB1076_256
; %bb.255:
	v_lshlrev_b32_e32 v11, 2, v0
	v_readfirstlane_b32 s4, v7
	v_readfirstlane_b32 s5, v8
	ds_load_b32 v12, v11 offset:1024
	s_waitcnt lgkmcnt(0)
	global_store_b32 v11, v12, s[4:5] offset:1024
.LBB1076_256:
	s_or_b32 exec_lo, exec_lo, s2
	v_or_b32_e32 v11, 0x200, v0
	s_mov_b32 s2, exec_lo
	s_delay_alu instid0(VALU_DEP_1)
	v_cmpx_gt_u32_e64 s3, v11
	s_cbranch_execz .LBB1076_265
; %bb.257:
	s_mov_b32 s4, exec_lo
	v_cmpx_le_u32_e64 v1, v11
	s_xor_b32 s4, exec_lo, s4
	s_cbranch_execz .LBB1076_263
; %bb.258:
	s_mov_b32 s5, exec_lo
	v_cmpx_le_u32_e64 v10, v11
	s_xor_b32 s5, exec_lo, s5
	s_cbranch_execz .LBB1076_260
; %bb.259:
	v_lshlrev_b32_e32 v11, 2, v0
	ds_load_b32 v13, v11 offset:2048
	v_add_co_u32 v11, vcc_lo, v3, v0
	v_add_co_ci_u32_e32 v12, vcc_lo, 0, v9, vcc_lo
	s_delay_alu instid0(VALU_DEP_1) | instskip(NEXT) | instid1(VALU_DEP_1)
	v_lshlrev_b64 v[11:12], 2, v[11:12]
	v_sub_co_u32 v11, vcc_lo, s1, v11
	s_delay_alu instid0(VALU_DEP_2)
	v_sub_co_ci_u32_e32 v12, vcc_lo, s0, v12, vcc_lo
	s_waitcnt lgkmcnt(0)
	global_store_b32 v[11:12], v13, off offset:-2048
.LBB1076_260:
	s_and_not1_saveexec_b32 s5, s5
	s_cbranch_execz .LBB1076_262
; %bb.261:
	v_lshlrev_b32_e32 v11, 2, v0
	v_readfirstlane_b32 s6, v5
	v_readfirstlane_b32 s7, v6
	ds_load_b32 v12, v11 offset:2048
	s_waitcnt lgkmcnt(0)
	global_store_b32 v11, v12, s[6:7] offset:2048
.LBB1076_262:
	s_or_b32 exec_lo, exec_lo, s5
.LBB1076_263:
	s_and_not1_saveexec_b32 s4, s4
	s_cbranch_execz .LBB1076_265
; %bb.264:
	v_lshlrev_b32_e32 v11, 2, v0
	v_readfirstlane_b32 s4, v7
	v_readfirstlane_b32 s5, v8
	ds_load_b32 v12, v11 offset:2048
	s_waitcnt lgkmcnt(0)
	global_store_b32 v11, v12, s[4:5] offset:2048
.LBB1076_265:
	;; [unrolled: 51-line block ×3, first 2 shown]
	s_or_b32 exec_lo, exec_lo, s2
	v_or_b32_e32 v11, 0x400, v0
	s_mov_b32 s2, exec_lo
	s_delay_alu instid0(VALU_DEP_1)
	v_cmpx_gt_u32_e64 s3, v11
	s_cbranch_execz .LBB1076_283
; %bb.275:
	s_mov_b32 s4, exec_lo
	v_cmpx_le_u32_e64 v1, v11
	s_xor_b32 s4, exec_lo, s4
	s_cbranch_execz .LBB1076_281
; %bb.276:
	s_mov_b32 s5, exec_lo
	v_cmpx_le_u32_e64 v10, v11
	s_xor_b32 s5, exec_lo, s5
	s_cbranch_execz .LBB1076_278
; %bb.277:
	v_lshlrev_b32_e32 v11, 2, v0
	ds_load_b32 v13, v11 offset:4096
	v_add_co_u32 v11, vcc_lo, v3, v0
	v_add_co_ci_u32_e32 v12, vcc_lo, 0, v9, vcc_lo
	s_delay_alu instid0(VALU_DEP_1) | instskip(NEXT) | instid1(VALU_DEP_1)
	v_lshlrev_b64 v[11:12], 2, v[11:12]
	v_sub_co_u32 v11, vcc_lo, s1, v11
	s_delay_alu instid0(VALU_DEP_2)
	v_sub_co_ci_u32_e32 v12, vcc_lo, s0, v12, vcc_lo
	s_waitcnt lgkmcnt(0)
	global_store_b32 v[11:12], v13, off offset:-4096
                                        ; implicit-def: $vgpr11
.LBB1076_278:
	s_and_not1_saveexec_b32 s5, s5
	s_cbranch_execz .LBB1076_280
; %bb.279:
	v_lshlrev_b32_e32 v12, 2, v0
	v_lshlrev_b32_e32 v11, 2, v11
	v_readfirstlane_b32 s6, v5
	v_readfirstlane_b32 s7, v6
	ds_load_b32 v12, v12 offset:4096
	s_waitcnt lgkmcnt(0)
	global_store_b32 v11, v12, s[6:7]
.LBB1076_280:
	s_or_b32 exec_lo, exec_lo, s5
                                        ; implicit-def: $vgpr11
.LBB1076_281:
	s_and_not1_saveexec_b32 s4, s4
	s_cbranch_execz .LBB1076_283
; %bb.282:
	v_lshlrev_b32_e32 v12, 2, v0
	v_lshlrev_b32_e32 v11, 2, v11
	v_readfirstlane_b32 s4, v7
	v_readfirstlane_b32 s5, v8
	ds_load_b32 v12, v12 offset:4096
	s_waitcnt lgkmcnt(0)
	global_store_b32 v11, v12, s[4:5]
.LBB1076_283:
	s_or_b32 exec_lo, exec_lo, s2
	v_or_b32_e32 v11, 0x500, v0
	s_mov_b32 s2, exec_lo
	s_delay_alu instid0(VALU_DEP_1)
	v_cmpx_gt_u32_e64 s3, v11
	s_cbranch_execz .LBB1076_292
; %bb.284:
	s_mov_b32 s4, exec_lo
	v_cmpx_le_u32_e64 v1, v11
	s_xor_b32 s4, exec_lo, s4
	s_cbranch_execz .LBB1076_290
; %bb.285:
	s_mov_b32 s5, exec_lo
	v_cmpx_le_u32_e64 v10, v11
	s_xor_b32 s5, exec_lo, s5
	s_cbranch_execz .LBB1076_287
; %bb.286:
	v_lshlrev_b32_e32 v12, 2, v0
	v_add_co_u32 v11, vcc_lo, v3, v11
	ds_load_b32 v13, v12 offset:5120
	v_add_co_ci_u32_e32 v12, vcc_lo, 0, v9, vcc_lo
	s_delay_alu instid0(VALU_DEP_1) | instskip(NEXT) | instid1(VALU_DEP_1)
	v_lshlrev_b64 v[11:12], 2, v[11:12]
	v_sub_co_u32 v11, vcc_lo, s1, v11
	s_delay_alu instid0(VALU_DEP_2)
	v_sub_co_ci_u32_e32 v12, vcc_lo, s0, v12, vcc_lo
	s_waitcnt lgkmcnt(0)
	global_store_b32 v[11:12], v13, off
                                        ; implicit-def: $vgpr11
.LBB1076_287:
	s_and_not1_saveexec_b32 s5, s5
	s_cbranch_execz .LBB1076_289
; %bb.288:
	v_lshlrev_b32_e32 v12, 2, v0
	v_lshlrev_b32_e32 v11, 2, v11
	v_readfirstlane_b32 s6, v5
	v_readfirstlane_b32 s7, v6
	ds_load_b32 v12, v12 offset:5120
	s_waitcnt lgkmcnt(0)
	global_store_b32 v11, v12, s[6:7]
.LBB1076_289:
	s_or_b32 exec_lo, exec_lo, s5
                                        ; implicit-def: $vgpr11
.LBB1076_290:
	s_and_not1_saveexec_b32 s4, s4
	s_cbranch_execz .LBB1076_292
; %bb.291:
	v_lshlrev_b32_e32 v12, 2, v0
	v_lshlrev_b32_e32 v11, 2, v11
	v_readfirstlane_b32 s4, v7
	v_readfirstlane_b32 s5, v8
	ds_load_b32 v12, v12 offset:5120
	s_waitcnt lgkmcnt(0)
	global_store_b32 v11, v12, s[4:5]
.LBB1076_292:
	s_or_b32 exec_lo, exec_lo, s2
	v_or_b32_e32 v11, 0x600, v0
	s_mov_b32 s2, exec_lo
	s_delay_alu instid0(VALU_DEP_1)
	v_cmpx_gt_u32_e64 s3, v11
	s_cbranch_execz .LBB1076_301
; %bb.293:
	s_mov_b32 s4, exec_lo
	v_cmpx_le_u32_e64 v1, v11
	s_xor_b32 s4, exec_lo, s4
	s_cbranch_execz .LBB1076_299
; %bb.294:
	s_mov_b32 s5, exec_lo
	v_cmpx_le_u32_e64 v10, v11
	s_xor_b32 s5, exec_lo, s5
	s_cbranch_execz .LBB1076_296
; %bb.295:
	v_lshlrev_b32_e32 v12, 2, v0
	v_add_co_u32 v11, vcc_lo, v3, v11
	ds_load_b32 v13, v12 offset:6144
	v_add_co_ci_u32_e32 v12, vcc_lo, 0, v9, vcc_lo
	s_delay_alu instid0(VALU_DEP_1) | instskip(NEXT) | instid1(VALU_DEP_1)
	v_lshlrev_b64 v[11:12], 2, v[11:12]
	v_sub_co_u32 v11, vcc_lo, s1, v11
	s_delay_alu instid0(VALU_DEP_2)
	v_sub_co_ci_u32_e32 v12, vcc_lo, s0, v12, vcc_lo
	s_waitcnt lgkmcnt(0)
	global_store_b32 v[11:12], v13, off
                                        ; implicit-def: $vgpr11
.LBB1076_296:
	s_and_not1_saveexec_b32 s5, s5
	s_cbranch_execz .LBB1076_298
; %bb.297:
	v_lshlrev_b32_e32 v12, 2, v0
	v_lshlrev_b32_e32 v11, 2, v11
	v_readfirstlane_b32 s6, v5
	v_readfirstlane_b32 s7, v6
	ds_load_b32 v12, v12 offset:6144
	s_waitcnt lgkmcnt(0)
	global_store_b32 v11, v12, s[6:7]
.LBB1076_298:
	s_or_b32 exec_lo, exec_lo, s5
                                        ; implicit-def: $vgpr11
.LBB1076_299:
	s_and_not1_saveexec_b32 s4, s4
	s_cbranch_execz .LBB1076_301
; %bb.300:
	v_lshlrev_b32_e32 v12, 2, v0
	v_lshlrev_b32_e32 v11, 2, v11
	v_readfirstlane_b32 s4, v7
	v_readfirstlane_b32 s5, v8
	ds_load_b32 v12, v12 offset:6144
	s_waitcnt lgkmcnt(0)
	global_store_b32 v11, v12, s[4:5]
.LBB1076_301:
	;; [unrolled: 55-line block ×7, first 2 shown]
	s_or_b32 exec_lo, exec_lo, s2
	v_or_b32_e32 v11, 0xc00, v0
	s_mov_b32 s2, exec_lo
	s_delay_alu instid0(VALU_DEP_1)
	v_cmpx_gt_u32_e64 s3, v11
	s_cbranch_execz .LBB1076_355
; %bb.347:
	s_mov_b32 s3, exec_lo
	v_cmpx_le_u32_e64 v1, v11
	s_xor_b32 s3, exec_lo, s3
	s_cbranch_execz .LBB1076_353
; %bb.348:
	s_mov_b32 s4, exec_lo
	v_cmpx_le_u32_e64 v10, v11
	s_xor_b32 s4, exec_lo, s4
	s_cbranch_execz .LBB1076_350
; %bb.349:
	v_lshlrev_b32_e32 v5, 2, v0
	ds_load_b32 v7, v5 offset:12288
	v_add_co_u32 v5, vcc_lo, v3, v11
	v_add_co_ci_u32_e32 v6, vcc_lo, 0, v9, vcc_lo
                                        ; implicit-def: $vgpr11
	s_delay_alu instid0(VALU_DEP_1) | instskip(NEXT) | instid1(VALU_DEP_1)
	v_lshlrev_b64 v[5:6], 2, v[5:6]
	v_sub_co_u32 v5, vcc_lo, s1, v5
	s_delay_alu instid0(VALU_DEP_2)
	v_sub_co_ci_u32_e32 v6, vcc_lo, s0, v6, vcc_lo
	s_waitcnt lgkmcnt(0)
	global_store_b32 v[5:6], v7, off
                                        ; implicit-def: $vgpr5_vgpr6
.LBB1076_350:
	s_and_not1_saveexec_b32 s0, s4
	s_cbranch_execz .LBB1076_352
; %bb.351:
	v_lshlrev_b32_e32 v3, 2, v0
	v_lshlrev_b32_e32 v7, 2, v11
	v_readfirstlane_b32 s4, v5
	v_readfirstlane_b32 s5, v6
	ds_load_b32 v3, v3 offset:12288
	s_waitcnt lgkmcnt(0)
	global_store_b32 v7, v3, s[4:5]
.LBB1076_352:
	s_or_b32 exec_lo, exec_lo, s0
                                        ; implicit-def: $vgpr11
                                        ; implicit-def: $vgpr7_vgpr8
.LBB1076_353:
	s_and_not1_saveexec_b32 s0, s3
	s_cbranch_execz .LBB1076_355
; %bb.354:
	v_lshlrev_b32_e32 v3, 2, v0
	v_lshlrev_b32_e32 v5, 2, v11
	v_readfirstlane_b32 s0, v7
	v_readfirstlane_b32 s1, v8
	ds_load_b32 v3, v3 offset:12288
	s_waitcnt lgkmcnt(0)
	global_store_b32 v5, v3, s[0:1]
.LBB1076_355:
	s_or_b32 exec_lo, exec_lo, s2
	v_cmp_eq_u32_e32 vcc_lo, 0, v0
	s_and_b32 s0, vcc_lo, s14
	s_delay_alu instid0(SALU_CYCLE_1)
	s_and_saveexec_b32 s1, s0
	s_cbranch_execz .LBB1076_132
.LBB1076_356:
	v_add_co_u32 v2, s0, s30, v2
	s_delay_alu instid0(VALU_DEP_1) | instskip(SKIP_2) | instid1(VALU_DEP_4)
	v_add_co_ci_u32_e64 v3, null, s31, 0, s0
	v_add_co_u32 v0, vcc_lo, v18, v1
	v_add_co_ci_u32_e32 v1, vcc_lo, 0, v19, vcc_lo
	v_add_co_u32 v2, vcc_lo, v2, v4
	v_mov_b32_e32 v5, 0
	v_add_co_ci_u32_e32 v3, vcc_lo, 0, v3, vcc_lo
	global_store_b128 v5, v[0:3], s[24:25]
	s_nop 0
	s_sendmsg sendmsg(MSG_DEALLOC_VGPRS)
	s_endpgm
.LBB1076_357:
	v_add_nc_u32_e32 v3, s7, v23
	s_add_i32 s10, s15, 32
	s_mov_b32 s11, 0
	v_dual_mov_b32 v5, 0 :: v_dual_add_nc_u32 v2, v22, v1
	s_lshl_b64 s[10:11], s[10:11], 4
	v_and_b32_e32 v20, 0xff0000, v3
	s_add_u32 s10, s4, s10
	s_addc_u32 s11, s5, s11
	v_and_b32_e32 v4, 0xff000000, v3
	s_delay_alu instid0(VALU_DEP_1) | instskip(SKIP_2) | instid1(VALU_DEP_1)
	v_or_b32_e32 v20, v20, v4
	v_dual_mov_b32 v4, 2 :: v_dual_and_b32 v21, 0xff00, v3
	v_and_b32_e32 v3, 0xff, v3
	v_or3_b32 v3, v20, v21, v3
	v_dual_mov_b32 v21, s11 :: v_dual_mov_b32 v20, s10
	;;#ASMSTART
	global_store_dwordx4 v[20:21], v[2:5] off	
s_waitcnt vmcnt(0)
	;;#ASMEND
	s_or_b32 exec_lo, exec_lo, s8
	s_and_saveexec_b32 s8, s2
	s_cbranch_execz .LBB1076_116
.LBB1076_358:
	v_mov_b32_e32 v2, s7
	v_add_nc_u32_e64 v3, 0x3400, 0
	ds_store_2addr_b32 v3, v1, v2 offset1:2
	ds_store_2addr_b32 v3, v22, v23 offset0:4 offset1:6
	s_or_b32 exec_lo, exec_lo, s8
	v_cmp_eq_u32_e32 vcc_lo, 0, v0
	s_and_b32 exec_lo, exec_lo, vcc_lo
	s_cbranch_execnz .LBB1076_117
	s_branch .LBB1076_118
	.section	.rodata,"a",@progbits
	.p2align	6, 0x0
	.amdhsa_kernel _ZN7rocprim17ROCPRIM_400000_NS6detail17trampoline_kernelINS0_13select_configILj256ELj13ELNS0_17block_load_methodE3ELS4_3ELS4_3ELNS0_20block_scan_algorithmE0ELj4294967295EEENS1_25partition_config_selectorILNS1_17partition_subalgoE4EjNS0_10empty_typeEbEEZZNS1_14partition_implILS8_4ELb0ES6_15HIP_vector_typeIjLj2EENS0_17counting_iteratorIjlEEPS9_SG_NS0_5tupleIJPjSI_NS0_16reverse_iteratorISI_EEEEENSH_IJSG_SG_SG_EEES9_SI_JZNS1_25segmented_radix_sort_implINS0_14default_configELb1EPKdPdPKlPlN2at6native12_GLOBAL__N_18offset_tEEE10hipError_tPvRmT1_PNSt15iterator_traitsIS12_E10value_typeET2_T3_PNS13_IS18_E10value_typeET4_jRbjT5_S1E_jjP12ihipStream_tbEUljE_ZNSN_ISO_Lb1ESQ_SR_ST_SU_SY_EESZ_S10_S11_S12_S16_S17_S18_S1B_S1C_jS1D_jS1E_S1E_jjS1G_bEUljE0_EEESZ_S10_S11_S18_S1C_S1E_T6_T7_T9_mT8_S1G_bDpT10_ENKUlT_T0_E_clISt17integral_constantIbLb1EES1T_IbLb0EEEEDaS1P_S1Q_EUlS1P_E_NS1_11comp_targetILNS1_3genE9ELNS1_11target_archE1100ELNS1_3gpuE3ELNS1_3repE0EEENS1_30default_config_static_selectorELNS0_4arch9wavefront6targetE0EEEvS12_
		.amdhsa_group_segment_fixed_size 13340
		.amdhsa_private_segment_fixed_size 0
		.amdhsa_kernarg_size 176
		.amdhsa_user_sgpr_count 15
		.amdhsa_user_sgpr_dispatch_ptr 0
		.amdhsa_user_sgpr_queue_ptr 0
		.amdhsa_user_sgpr_kernarg_segment_ptr 1
		.amdhsa_user_sgpr_dispatch_id 0
		.amdhsa_user_sgpr_private_segment_size 0
		.amdhsa_wavefront_size32 1
		.amdhsa_uses_dynamic_stack 0
		.amdhsa_enable_private_segment 0
		.amdhsa_system_sgpr_workgroup_id_x 1
		.amdhsa_system_sgpr_workgroup_id_y 0
		.amdhsa_system_sgpr_workgroup_id_z 0
		.amdhsa_system_sgpr_workgroup_info 0
		.amdhsa_system_vgpr_workitem_id 0
		.amdhsa_next_free_vgpr 98
		.amdhsa_next_free_sgpr 59
		.amdhsa_reserve_vcc 1
		.amdhsa_float_round_mode_32 0
		.amdhsa_float_round_mode_16_64 0
		.amdhsa_float_denorm_mode_32 3
		.amdhsa_float_denorm_mode_16_64 3
		.amdhsa_dx10_clamp 1
		.amdhsa_ieee_mode 1
		.amdhsa_fp16_overflow 0
		.amdhsa_workgroup_processor_mode 1
		.amdhsa_memory_ordered 1
		.amdhsa_forward_progress 0
		.amdhsa_shared_vgpr_count 0
		.amdhsa_exception_fp_ieee_invalid_op 0
		.amdhsa_exception_fp_denorm_src 0
		.amdhsa_exception_fp_ieee_div_zero 0
		.amdhsa_exception_fp_ieee_overflow 0
		.amdhsa_exception_fp_ieee_underflow 0
		.amdhsa_exception_fp_ieee_inexact 0
		.amdhsa_exception_int_div_zero 0
	.end_amdhsa_kernel
	.section	.text._ZN7rocprim17ROCPRIM_400000_NS6detail17trampoline_kernelINS0_13select_configILj256ELj13ELNS0_17block_load_methodE3ELS4_3ELS4_3ELNS0_20block_scan_algorithmE0ELj4294967295EEENS1_25partition_config_selectorILNS1_17partition_subalgoE4EjNS0_10empty_typeEbEEZZNS1_14partition_implILS8_4ELb0ES6_15HIP_vector_typeIjLj2EENS0_17counting_iteratorIjlEEPS9_SG_NS0_5tupleIJPjSI_NS0_16reverse_iteratorISI_EEEEENSH_IJSG_SG_SG_EEES9_SI_JZNS1_25segmented_radix_sort_implINS0_14default_configELb1EPKdPdPKlPlN2at6native12_GLOBAL__N_18offset_tEEE10hipError_tPvRmT1_PNSt15iterator_traitsIS12_E10value_typeET2_T3_PNS13_IS18_E10value_typeET4_jRbjT5_S1E_jjP12ihipStream_tbEUljE_ZNSN_ISO_Lb1ESQ_SR_ST_SU_SY_EESZ_S10_S11_S12_S16_S17_S18_S1B_S1C_jS1D_jS1E_S1E_jjS1G_bEUljE0_EEESZ_S10_S11_S18_S1C_S1E_T6_T7_T9_mT8_S1G_bDpT10_ENKUlT_T0_E_clISt17integral_constantIbLb1EES1T_IbLb0EEEEDaS1P_S1Q_EUlS1P_E_NS1_11comp_targetILNS1_3genE9ELNS1_11target_archE1100ELNS1_3gpuE3ELNS1_3repE0EEENS1_30default_config_static_selectorELNS0_4arch9wavefront6targetE0EEEvS12_,"axG",@progbits,_ZN7rocprim17ROCPRIM_400000_NS6detail17trampoline_kernelINS0_13select_configILj256ELj13ELNS0_17block_load_methodE3ELS4_3ELS4_3ELNS0_20block_scan_algorithmE0ELj4294967295EEENS1_25partition_config_selectorILNS1_17partition_subalgoE4EjNS0_10empty_typeEbEEZZNS1_14partition_implILS8_4ELb0ES6_15HIP_vector_typeIjLj2EENS0_17counting_iteratorIjlEEPS9_SG_NS0_5tupleIJPjSI_NS0_16reverse_iteratorISI_EEEEENSH_IJSG_SG_SG_EEES9_SI_JZNS1_25segmented_radix_sort_implINS0_14default_configELb1EPKdPdPKlPlN2at6native12_GLOBAL__N_18offset_tEEE10hipError_tPvRmT1_PNSt15iterator_traitsIS12_E10value_typeET2_T3_PNS13_IS18_E10value_typeET4_jRbjT5_S1E_jjP12ihipStream_tbEUljE_ZNSN_ISO_Lb1ESQ_SR_ST_SU_SY_EESZ_S10_S11_S12_S16_S17_S18_S1B_S1C_jS1D_jS1E_S1E_jjS1G_bEUljE0_EEESZ_S10_S11_S18_S1C_S1E_T6_T7_T9_mT8_S1G_bDpT10_ENKUlT_T0_E_clISt17integral_constantIbLb1EES1T_IbLb0EEEEDaS1P_S1Q_EUlS1P_E_NS1_11comp_targetILNS1_3genE9ELNS1_11target_archE1100ELNS1_3gpuE3ELNS1_3repE0EEENS1_30default_config_static_selectorELNS0_4arch9wavefront6targetE0EEEvS12_,comdat
.Lfunc_end1076:
	.size	_ZN7rocprim17ROCPRIM_400000_NS6detail17trampoline_kernelINS0_13select_configILj256ELj13ELNS0_17block_load_methodE3ELS4_3ELS4_3ELNS0_20block_scan_algorithmE0ELj4294967295EEENS1_25partition_config_selectorILNS1_17partition_subalgoE4EjNS0_10empty_typeEbEEZZNS1_14partition_implILS8_4ELb0ES6_15HIP_vector_typeIjLj2EENS0_17counting_iteratorIjlEEPS9_SG_NS0_5tupleIJPjSI_NS0_16reverse_iteratorISI_EEEEENSH_IJSG_SG_SG_EEES9_SI_JZNS1_25segmented_radix_sort_implINS0_14default_configELb1EPKdPdPKlPlN2at6native12_GLOBAL__N_18offset_tEEE10hipError_tPvRmT1_PNSt15iterator_traitsIS12_E10value_typeET2_T3_PNS13_IS18_E10value_typeET4_jRbjT5_S1E_jjP12ihipStream_tbEUljE_ZNSN_ISO_Lb1ESQ_SR_ST_SU_SY_EESZ_S10_S11_S12_S16_S17_S18_S1B_S1C_jS1D_jS1E_S1E_jjS1G_bEUljE0_EEESZ_S10_S11_S18_S1C_S1E_T6_T7_T9_mT8_S1G_bDpT10_ENKUlT_T0_E_clISt17integral_constantIbLb1EES1T_IbLb0EEEEDaS1P_S1Q_EUlS1P_E_NS1_11comp_targetILNS1_3genE9ELNS1_11target_archE1100ELNS1_3gpuE3ELNS1_3repE0EEENS1_30default_config_static_selectorELNS0_4arch9wavefront6targetE0EEEvS12_, .Lfunc_end1076-_ZN7rocprim17ROCPRIM_400000_NS6detail17trampoline_kernelINS0_13select_configILj256ELj13ELNS0_17block_load_methodE3ELS4_3ELS4_3ELNS0_20block_scan_algorithmE0ELj4294967295EEENS1_25partition_config_selectorILNS1_17partition_subalgoE4EjNS0_10empty_typeEbEEZZNS1_14partition_implILS8_4ELb0ES6_15HIP_vector_typeIjLj2EENS0_17counting_iteratorIjlEEPS9_SG_NS0_5tupleIJPjSI_NS0_16reverse_iteratorISI_EEEEENSH_IJSG_SG_SG_EEES9_SI_JZNS1_25segmented_radix_sort_implINS0_14default_configELb1EPKdPdPKlPlN2at6native12_GLOBAL__N_18offset_tEEE10hipError_tPvRmT1_PNSt15iterator_traitsIS12_E10value_typeET2_T3_PNS13_IS18_E10value_typeET4_jRbjT5_S1E_jjP12ihipStream_tbEUljE_ZNSN_ISO_Lb1ESQ_SR_ST_SU_SY_EESZ_S10_S11_S12_S16_S17_S18_S1B_S1C_jS1D_jS1E_S1E_jjS1G_bEUljE0_EEESZ_S10_S11_S18_S1C_S1E_T6_T7_T9_mT8_S1G_bDpT10_ENKUlT_T0_E_clISt17integral_constantIbLb1EES1T_IbLb0EEEEDaS1P_S1Q_EUlS1P_E_NS1_11comp_targetILNS1_3genE9ELNS1_11target_archE1100ELNS1_3gpuE3ELNS1_3repE0EEENS1_30default_config_static_selectorELNS0_4arch9wavefront6targetE0EEEvS12_
                                        ; -- End function
	.section	.AMDGPU.csdata,"",@progbits
; Kernel info:
; codeLenInByte = 15084
; NumSgprs: 61
; NumVgprs: 98
; ScratchSize: 0
; MemoryBound: 0
; FloatMode: 240
; IeeeMode: 1
; LDSByteSize: 13340 bytes/workgroup (compile time only)
; SGPRBlocks: 7
; VGPRBlocks: 12
; NumSGPRsForWavesPerEU: 61
; NumVGPRsForWavesPerEU: 98
; Occupancy: 12
; WaveLimiterHint : 1
; COMPUTE_PGM_RSRC2:SCRATCH_EN: 0
; COMPUTE_PGM_RSRC2:USER_SGPR: 15
; COMPUTE_PGM_RSRC2:TRAP_HANDLER: 0
; COMPUTE_PGM_RSRC2:TGID_X_EN: 1
; COMPUTE_PGM_RSRC2:TGID_Y_EN: 0
; COMPUTE_PGM_RSRC2:TGID_Z_EN: 0
; COMPUTE_PGM_RSRC2:TIDIG_COMP_CNT: 0
	.section	.text._ZN7rocprim17ROCPRIM_400000_NS6detail17trampoline_kernelINS0_13select_configILj256ELj13ELNS0_17block_load_methodE3ELS4_3ELS4_3ELNS0_20block_scan_algorithmE0ELj4294967295EEENS1_25partition_config_selectorILNS1_17partition_subalgoE4EjNS0_10empty_typeEbEEZZNS1_14partition_implILS8_4ELb0ES6_15HIP_vector_typeIjLj2EENS0_17counting_iteratorIjlEEPS9_SG_NS0_5tupleIJPjSI_NS0_16reverse_iteratorISI_EEEEENSH_IJSG_SG_SG_EEES9_SI_JZNS1_25segmented_radix_sort_implINS0_14default_configELb1EPKdPdPKlPlN2at6native12_GLOBAL__N_18offset_tEEE10hipError_tPvRmT1_PNSt15iterator_traitsIS12_E10value_typeET2_T3_PNS13_IS18_E10value_typeET4_jRbjT5_S1E_jjP12ihipStream_tbEUljE_ZNSN_ISO_Lb1ESQ_SR_ST_SU_SY_EESZ_S10_S11_S12_S16_S17_S18_S1B_S1C_jS1D_jS1E_S1E_jjS1G_bEUljE0_EEESZ_S10_S11_S18_S1C_S1E_T6_T7_T9_mT8_S1G_bDpT10_ENKUlT_T0_E_clISt17integral_constantIbLb1EES1T_IbLb0EEEEDaS1P_S1Q_EUlS1P_E_NS1_11comp_targetILNS1_3genE8ELNS1_11target_archE1030ELNS1_3gpuE2ELNS1_3repE0EEENS1_30default_config_static_selectorELNS0_4arch9wavefront6targetE0EEEvS12_,"axG",@progbits,_ZN7rocprim17ROCPRIM_400000_NS6detail17trampoline_kernelINS0_13select_configILj256ELj13ELNS0_17block_load_methodE3ELS4_3ELS4_3ELNS0_20block_scan_algorithmE0ELj4294967295EEENS1_25partition_config_selectorILNS1_17partition_subalgoE4EjNS0_10empty_typeEbEEZZNS1_14partition_implILS8_4ELb0ES6_15HIP_vector_typeIjLj2EENS0_17counting_iteratorIjlEEPS9_SG_NS0_5tupleIJPjSI_NS0_16reverse_iteratorISI_EEEEENSH_IJSG_SG_SG_EEES9_SI_JZNS1_25segmented_radix_sort_implINS0_14default_configELb1EPKdPdPKlPlN2at6native12_GLOBAL__N_18offset_tEEE10hipError_tPvRmT1_PNSt15iterator_traitsIS12_E10value_typeET2_T3_PNS13_IS18_E10value_typeET4_jRbjT5_S1E_jjP12ihipStream_tbEUljE_ZNSN_ISO_Lb1ESQ_SR_ST_SU_SY_EESZ_S10_S11_S12_S16_S17_S18_S1B_S1C_jS1D_jS1E_S1E_jjS1G_bEUljE0_EEESZ_S10_S11_S18_S1C_S1E_T6_T7_T9_mT8_S1G_bDpT10_ENKUlT_T0_E_clISt17integral_constantIbLb1EES1T_IbLb0EEEEDaS1P_S1Q_EUlS1P_E_NS1_11comp_targetILNS1_3genE8ELNS1_11target_archE1030ELNS1_3gpuE2ELNS1_3repE0EEENS1_30default_config_static_selectorELNS0_4arch9wavefront6targetE0EEEvS12_,comdat
	.globl	_ZN7rocprim17ROCPRIM_400000_NS6detail17trampoline_kernelINS0_13select_configILj256ELj13ELNS0_17block_load_methodE3ELS4_3ELS4_3ELNS0_20block_scan_algorithmE0ELj4294967295EEENS1_25partition_config_selectorILNS1_17partition_subalgoE4EjNS0_10empty_typeEbEEZZNS1_14partition_implILS8_4ELb0ES6_15HIP_vector_typeIjLj2EENS0_17counting_iteratorIjlEEPS9_SG_NS0_5tupleIJPjSI_NS0_16reverse_iteratorISI_EEEEENSH_IJSG_SG_SG_EEES9_SI_JZNS1_25segmented_radix_sort_implINS0_14default_configELb1EPKdPdPKlPlN2at6native12_GLOBAL__N_18offset_tEEE10hipError_tPvRmT1_PNSt15iterator_traitsIS12_E10value_typeET2_T3_PNS13_IS18_E10value_typeET4_jRbjT5_S1E_jjP12ihipStream_tbEUljE_ZNSN_ISO_Lb1ESQ_SR_ST_SU_SY_EESZ_S10_S11_S12_S16_S17_S18_S1B_S1C_jS1D_jS1E_S1E_jjS1G_bEUljE0_EEESZ_S10_S11_S18_S1C_S1E_T6_T7_T9_mT8_S1G_bDpT10_ENKUlT_T0_E_clISt17integral_constantIbLb1EES1T_IbLb0EEEEDaS1P_S1Q_EUlS1P_E_NS1_11comp_targetILNS1_3genE8ELNS1_11target_archE1030ELNS1_3gpuE2ELNS1_3repE0EEENS1_30default_config_static_selectorELNS0_4arch9wavefront6targetE0EEEvS12_ ; -- Begin function _ZN7rocprim17ROCPRIM_400000_NS6detail17trampoline_kernelINS0_13select_configILj256ELj13ELNS0_17block_load_methodE3ELS4_3ELS4_3ELNS0_20block_scan_algorithmE0ELj4294967295EEENS1_25partition_config_selectorILNS1_17partition_subalgoE4EjNS0_10empty_typeEbEEZZNS1_14partition_implILS8_4ELb0ES6_15HIP_vector_typeIjLj2EENS0_17counting_iteratorIjlEEPS9_SG_NS0_5tupleIJPjSI_NS0_16reverse_iteratorISI_EEEEENSH_IJSG_SG_SG_EEES9_SI_JZNS1_25segmented_radix_sort_implINS0_14default_configELb1EPKdPdPKlPlN2at6native12_GLOBAL__N_18offset_tEEE10hipError_tPvRmT1_PNSt15iterator_traitsIS12_E10value_typeET2_T3_PNS13_IS18_E10value_typeET4_jRbjT5_S1E_jjP12ihipStream_tbEUljE_ZNSN_ISO_Lb1ESQ_SR_ST_SU_SY_EESZ_S10_S11_S12_S16_S17_S18_S1B_S1C_jS1D_jS1E_S1E_jjS1G_bEUljE0_EEESZ_S10_S11_S18_S1C_S1E_T6_T7_T9_mT8_S1G_bDpT10_ENKUlT_T0_E_clISt17integral_constantIbLb1EES1T_IbLb0EEEEDaS1P_S1Q_EUlS1P_E_NS1_11comp_targetILNS1_3genE8ELNS1_11target_archE1030ELNS1_3gpuE2ELNS1_3repE0EEENS1_30default_config_static_selectorELNS0_4arch9wavefront6targetE0EEEvS12_
	.p2align	8
	.type	_ZN7rocprim17ROCPRIM_400000_NS6detail17trampoline_kernelINS0_13select_configILj256ELj13ELNS0_17block_load_methodE3ELS4_3ELS4_3ELNS0_20block_scan_algorithmE0ELj4294967295EEENS1_25partition_config_selectorILNS1_17partition_subalgoE4EjNS0_10empty_typeEbEEZZNS1_14partition_implILS8_4ELb0ES6_15HIP_vector_typeIjLj2EENS0_17counting_iteratorIjlEEPS9_SG_NS0_5tupleIJPjSI_NS0_16reverse_iteratorISI_EEEEENSH_IJSG_SG_SG_EEES9_SI_JZNS1_25segmented_radix_sort_implINS0_14default_configELb1EPKdPdPKlPlN2at6native12_GLOBAL__N_18offset_tEEE10hipError_tPvRmT1_PNSt15iterator_traitsIS12_E10value_typeET2_T3_PNS13_IS18_E10value_typeET4_jRbjT5_S1E_jjP12ihipStream_tbEUljE_ZNSN_ISO_Lb1ESQ_SR_ST_SU_SY_EESZ_S10_S11_S12_S16_S17_S18_S1B_S1C_jS1D_jS1E_S1E_jjS1G_bEUljE0_EEESZ_S10_S11_S18_S1C_S1E_T6_T7_T9_mT8_S1G_bDpT10_ENKUlT_T0_E_clISt17integral_constantIbLb1EES1T_IbLb0EEEEDaS1P_S1Q_EUlS1P_E_NS1_11comp_targetILNS1_3genE8ELNS1_11target_archE1030ELNS1_3gpuE2ELNS1_3repE0EEENS1_30default_config_static_selectorELNS0_4arch9wavefront6targetE0EEEvS12_,@function
_ZN7rocprim17ROCPRIM_400000_NS6detail17trampoline_kernelINS0_13select_configILj256ELj13ELNS0_17block_load_methodE3ELS4_3ELS4_3ELNS0_20block_scan_algorithmE0ELj4294967295EEENS1_25partition_config_selectorILNS1_17partition_subalgoE4EjNS0_10empty_typeEbEEZZNS1_14partition_implILS8_4ELb0ES6_15HIP_vector_typeIjLj2EENS0_17counting_iteratorIjlEEPS9_SG_NS0_5tupleIJPjSI_NS0_16reverse_iteratorISI_EEEEENSH_IJSG_SG_SG_EEES9_SI_JZNS1_25segmented_radix_sort_implINS0_14default_configELb1EPKdPdPKlPlN2at6native12_GLOBAL__N_18offset_tEEE10hipError_tPvRmT1_PNSt15iterator_traitsIS12_E10value_typeET2_T3_PNS13_IS18_E10value_typeET4_jRbjT5_S1E_jjP12ihipStream_tbEUljE_ZNSN_ISO_Lb1ESQ_SR_ST_SU_SY_EESZ_S10_S11_S12_S16_S17_S18_S1B_S1C_jS1D_jS1E_S1E_jjS1G_bEUljE0_EEESZ_S10_S11_S18_S1C_S1E_T6_T7_T9_mT8_S1G_bDpT10_ENKUlT_T0_E_clISt17integral_constantIbLb1EES1T_IbLb0EEEEDaS1P_S1Q_EUlS1P_E_NS1_11comp_targetILNS1_3genE8ELNS1_11target_archE1030ELNS1_3gpuE2ELNS1_3repE0EEENS1_30default_config_static_selectorELNS0_4arch9wavefront6targetE0EEEvS12_: ; @_ZN7rocprim17ROCPRIM_400000_NS6detail17trampoline_kernelINS0_13select_configILj256ELj13ELNS0_17block_load_methodE3ELS4_3ELS4_3ELNS0_20block_scan_algorithmE0ELj4294967295EEENS1_25partition_config_selectorILNS1_17partition_subalgoE4EjNS0_10empty_typeEbEEZZNS1_14partition_implILS8_4ELb0ES6_15HIP_vector_typeIjLj2EENS0_17counting_iteratorIjlEEPS9_SG_NS0_5tupleIJPjSI_NS0_16reverse_iteratorISI_EEEEENSH_IJSG_SG_SG_EEES9_SI_JZNS1_25segmented_radix_sort_implINS0_14default_configELb1EPKdPdPKlPlN2at6native12_GLOBAL__N_18offset_tEEE10hipError_tPvRmT1_PNSt15iterator_traitsIS12_E10value_typeET2_T3_PNS13_IS18_E10value_typeET4_jRbjT5_S1E_jjP12ihipStream_tbEUljE_ZNSN_ISO_Lb1ESQ_SR_ST_SU_SY_EESZ_S10_S11_S12_S16_S17_S18_S1B_S1C_jS1D_jS1E_S1E_jjS1G_bEUljE0_EEESZ_S10_S11_S18_S1C_S1E_T6_T7_T9_mT8_S1G_bDpT10_ENKUlT_T0_E_clISt17integral_constantIbLb1EES1T_IbLb0EEEEDaS1P_S1Q_EUlS1P_E_NS1_11comp_targetILNS1_3genE8ELNS1_11target_archE1030ELNS1_3gpuE2ELNS1_3repE0EEENS1_30default_config_static_selectorELNS0_4arch9wavefront6targetE0EEEvS12_
; %bb.0:
	.section	.rodata,"a",@progbits
	.p2align	6, 0x0
	.amdhsa_kernel _ZN7rocprim17ROCPRIM_400000_NS6detail17trampoline_kernelINS0_13select_configILj256ELj13ELNS0_17block_load_methodE3ELS4_3ELS4_3ELNS0_20block_scan_algorithmE0ELj4294967295EEENS1_25partition_config_selectorILNS1_17partition_subalgoE4EjNS0_10empty_typeEbEEZZNS1_14partition_implILS8_4ELb0ES6_15HIP_vector_typeIjLj2EENS0_17counting_iteratorIjlEEPS9_SG_NS0_5tupleIJPjSI_NS0_16reverse_iteratorISI_EEEEENSH_IJSG_SG_SG_EEES9_SI_JZNS1_25segmented_radix_sort_implINS0_14default_configELb1EPKdPdPKlPlN2at6native12_GLOBAL__N_18offset_tEEE10hipError_tPvRmT1_PNSt15iterator_traitsIS12_E10value_typeET2_T3_PNS13_IS18_E10value_typeET4_jRbjT5_S1E_jjP12ihipStream_tbEUljE_ZNSN_ISO_Lb1ESQ_SR_ST_SU_SY_EESZ_S10_S11_S12_S16_S17_S18_S1B_S1C_jS1D_jS1E_S1E_jjS1G_bEUljE0_EEESZ_S10_S11_S18_S1C_S1E_T6_T7_T9_mT8_S1G_bDpT10_ENKUlT_T0_E_clISt17integral_constantIbLb1EES1T_IbLb0EEEEDaS1P_S1Q_EUlS1P_E_NS1_11comp_targetILNS1_3genE8ELNS1_11target_archE1030ELNS1_3gpuE2ELNS1_3repE0EEENS1_30default_config_static_selectorELNS0_4arch9wavefront6targetE0EEEvS12_
		.amdhsa_group_segment_fixed_size 0
		.amdhsa_private_segment_fixed_size 0
		.amdhsa_kernarg_size 176
		.amdhsa_user_sgpr_count 15
		.amdhsa_user_sgpr_dispatch_ptr 0
		.amdhsa_user_sgpr_queue_ptr 0
		.amdhsa_user_sgpr_kernarg_segment_ptr 1
		.amdhsa_user_sgpr_dispatch_id 0
		.amdhsa_user_sgpr_private_segment_size 0
		.amdhsa_wavefront_size32 1
		.amdhsa_uses_dynamic_stack 0
		.amdhsa_enable_private_segment 0
		.amdhsa_system_sgpr_workgroup_id_x 1
		.amdhsa_system_sgpr_workgroup_id_y 0
		.amdhsa_system_sgpr_workgroup_id_z 0
		.amdhsa_system_sgpr_workgroup_info 0
		.amdhsa_system_vgpr_workitem_id 0
		.amdhsa_next_free_vgpr 1
		.amdhsa_next_free_sgpr 1
		.amdhsa_reserve_vcc 0
		.amdhsa_float_round_mode_32 0
		.amdhsa_float_round_mode_16_64 0
		.amdhsa_float_denorm_mode_32 3
		.amdhsa_float_denorm_mode_16_64 3
		.amdhsa_dx10_clamp 1
		.amdhsa_ieee_mode 1
		.amdhsa_fp16_overflow 0
		.amdhsa_workgroup_processor_mode 1
		.amdhsa_memory_ordered 1
		.amdhsa_forward_progress 0
		.amdhsa_shared_vgpr_count 0
		.amdhsa_exception_fp_ieee_invalid_op 0
		.amdhsa_exception_fp_denorm_src 0
		.amdhsa_exception_fp_ieee_div_zero 0
		.amdhsa_exception_fp_ieee_overflow 0
		.amdhsa_exception_fp_ieee_underflow 0
		.amdhsa_exception_fp_ieee_inexact 0
		.amdhsa_exception_int_div_zero 0
	.end_amdhsa_kernel
	.section	.text._ZN7rocprim17ROCPRIM_400000_NS6detail17trampoline_kernelINS0_13select_configILj256ELj13ELNS0_17block_load_methodE3ELS4_3ELS4_3ELNS0_20block_scan_algorithmE0ELj4294967295EEENS1_25partition_config_selectorILNS1_17partition_subalgoE4EjNS0_10empty_typeEbEEZZNS1_14partition_implILS8_4ELb0ES6_15HIP_vector_typeIjLj2EENS0_17counting_iteratorIjlEEPS9_SG_NS0_5tupleIJPjSI_NS0_16reverse_iteratorISI_EEEEENSH_IJSG_SG_SG_EEES9_SI_JZNS1_25segmented_radix_sort_implINS0_14default_configELb1EPKdPdPKlPlN2at6native12_GLOBAL__N_18offset_tEEE10hipError_tPvRmT1_PNSt15iterator_traitsIS12_E10value_typeET2_T3_PNS13_IS18_E10value_typeET4_jRbjT5_S1E_jjP12ihipStream_tbEUljE_ZNSN_ISO_Lb1ESQ_SR_ST_SU_SY_EESZ_S10_S11_S12_S16_S17_S18_S1B_S1C_jS1D_jS1E_S1E_jjS1G_bEUljE0_EEESZ_S10_S11_S18_S1C_S1E_T6_T7_T9_mT8_S1G_bDpT10_ENKUlT_T0_E_clISt17integral_constantIbLb1EES1T_IbLb0EEEEDaS1P_S1Q_EUlS1P_E_NS1_11comp_targetILNS1_3genE8ELNS1_11target_archE1030ELNS1_3gpuE2ELNS1_3repE0EEENS1_30default_config_static_selectorELNS0_4arch9wavefront6targetE0EEEvS12_,"axG",@progbits,_ZN7rocprim17ROCPRIM_400000_NS6detail17trampoline_kernelINS0_13select_configILj256ELj13ELNS0_17block_load_methodE3ELS4_3ELS4_3ELNS0_20block_scan_algorithmE0ELj4294967295EEENS1_25partition_config_selectorILNS1_17partition_subalgoE4EjNS0_10empty_typeEbEEZZNS1_14partition_implILS8_4ELb0ES6_15HIP_vector_typeIjLj2EENS0_17counting_iteratorIjlEEPS9_SG_NS0_5tupleIJPjSI_NS0_16reverse_iteratorISI_EEEEENSH_IJSG_SG_SG_EEES9_SI_JZNS1_25segmented_radix_sort_implINS0_14default_configELb1EPKdPdPKlPlN2at6native12_GLOBAL__N_18offset_tEEE10hipError_tPvRmT1_PNSt15iterator_traitsIS12_E10value_typeET2_T3_PNS13_IS18_E10value_typeET4_jRbjT5_S1E_jjP12ihipStream_tbEUljE_ZNSN_ISO_Lb1ESQ_SR_ST_SU_SY_EESZ_S10_S11_S12_S16_S17_S18_S1B_S1C_jS1D_jS1E_S1E_jjS1G_bEUljE0_EEESZ_S10_S11_S18_S1C_S1E_T6_T7_T9_mT8_S1G_bDpT10_ENKUlT_T0_E_clISt17integral_constantIbLb1EES1T_IbLb0EEEEDaS1P_S1Q_EUlS1P_E_NS1_11comp_targetILNS1_3genE8ELNS1_11target_archE1030ELNS1_3gpuE2ELNS1_3repE0EEENS1_30default_config_static_selectorELNS0_4arch9wavefront6targetE0EEEvS12_,comdat
.Lfunc_end1077:
	.size	_ZN7rocprim17ROCPRIM_400000_NS6detail17trampoline_kernelINS0_13select_configILj256ELj13ELNS0_17block_load_methodE3ELS4_3ELS4_3ELNS0_20block_scan_algorithmE0ELj4294967295EEENS1_25partition_config_selectorILNS1_17partition_subalgoE4EjNS0_10empty_typeEbEEZZNS1_14partition_implILS8_4ELb0ES6_15HIP_vector_typeIjLj2EENS0_17counting_iteratorIjlEEPS9_SG_NS0_5tupleIJPjSI_NS0_16reverse_iteratorISI_EEEEENSH_IJSG_SG_SG_EEES9_SI_JZNS1_25segmented_radix_sort_implINS0_14default_configELb1EPKdPdPKlPlN2at6native12_GLOBAL__N_18offset_tEEE10hipError_tPvRmT1_PNSt15iterator_traitsIS12_E10value_typeET2_T3_PNS13_IS18_E10value_typeET4_jRbjT5_S1E_jjP12ihipStream_tbEUljE_ZNSN_ISO_Lb1ESQ_SR_ST_SU_SY_EESZ_S10_S11_S12_S16_S17_S18_S1B_S1C_jS1D_jS1E_S1E_jjS1G_bEUljE0_EEESZ_S10_S11_S18_S1C_S1E_T6_T7_T9_mT8_S1G_bDpT10_ENKUlT_T0_E_clISt17integral_constantIbLb1EES1T_IbLb0EEEEDaS1P_S1Q_EUlS1P_E_NS1_11comp_targetILNS1_3genE8ELNS1_11target_archE1030ELNS1_3gpuE2ELNS1_3repE0EEENS1_30default_config_static_selectorELNS0_4arch9wavefront6targetE0EEEvS12_, .Lfunc_end1077-_ZN7rocprim17ROCPRIM_400000_NS6detail17trampoline_kernelINS0_13select_configILj256ELj13ELNS0_17block_load_methodE3ELS4_3ELS4_3ELNS0_20block_scan_algorithmE0ELj4294967295EEENS1_25partition_config_selectorILNS1_17partition_subalgoE4EjNS0_10empty_typeEbEEZZNS1_14partition_implILS8_4ELb0ES6_15HIP_vector_typeIjLj2EENS0_17counting_iteratorIjlEEPS9_SG_NS0_5tupleIJPjSI_NS0_16reverse_iteratorISI_EEEEENSH_IJSG_SG_SG_EEES9_SI_JZNS1_25segmented_radix_sort_implINS0_14default_configELb1EPKdPdPKlPlN2at6native12_GLOBAL__N_18offset_tEEE10hipError_tPvRmT1_PNSt15iterator_traitsIS12_E10value_typeET2_T3_PNS13_IS18_E10value_typeET4_jRbjT5_S1E_jjP12ihipStream_tbEUljE_ZNSN_ISO_Lb1ESQ_SR_ST_SU_SY_EESZ_S10_S11_S12_S16_S17_S18_S1B_S1C_jS1D_jS1E_S1E_jjS1G_bEUljE0_EEESZ_S10_S11_S18_S1C_S1E_T6_T7_T9_mT8_S1G_bDpT10_ENKUlT_T0_E_clISt17integral_constantIbLb1EES1T_IbLb0EEEEDaS1P_S1Q_EUlS1P_E_NS1_11comp_targetILNS1_3genE8ELNS1_11target_archE1030ELNS1_3gpuE2ELNS1_3repE0EEENS1_30default_config_static_selectorELNS0_4arch9wavefront6targetE0EEEvS12_
                                        ; -- End function
	.section	.AMDGPU.csdata,"",@progbits
; Kernel info:
; codeLenInByte = 0
; NumSgprs: 0
; NumVgprs: 0
; ScratchSize: 0
; MemoryBound: 0
; FloatMode: 240
; IeeeMode: 1
; LDSByteSize: 0 bytes/workgroup (compile time only)
; SGPRBlocks: 0
; VGPRBlocks: 0
; NumSGPRsForWavesPerEU: 1
; NumVGPRsForWavesPerEU: 1
; Occupancy: 16
; WaveLimiterHint : 0
; COMPUTE_PGM_RSRC2:SCRATCH_EN: 0
; COMPUTE_PGM_RSRC2:USER_SGPR: 15
; COMPUTE_PGM_RSRC2:TRAP_HANDLER: 0
; COMPUTE_PGM_RSRC2:TGID_X_EN: 1
; COMPUTE_PGM_RSRC2:TGID_Y_EN: 0
; COMPUTE_PGM_RSRC2:TGID_Z_EN: 0
; COMPUTE_PGM_RSRC2:TIDIG_COMP_CNT: 0
	.section	.text._ZN7rocprim17ROCPRIM_400000_NS6detail17trampoline_kernelINS0_13select_configILj256ELj13ELNS0_17block_load_methodE3ELS4_3ELS4_3ELNS0_20block_scan_algorithmE0ELj4294967295EEENS1_25partition_config_selectorILNS1_17partition_subalgoE4EjNS0_10empty_typeEbEEZZNS1_14partition_implILS8_4ELb0ES6_15HIP_vector_typeIjLj2EENS0_17counting_iteratorIjlEEPS9_SG_NS0_5tupleIJPjSI_NS0_16reverse_iteratorISI_EEEEENSH_IJSG_SG_SG_EEES9_SI_JZNS1_25segmented_radix_sort_implINS0_14default_configELb1EPKdPdPKlPlN2at6native12_GLOBAL__N_18offset_tEEE10hipError_tPvRmT1_PNSt15iterator_traitsIS12_E10value_typeET2_T3_PNS13_IS18_E10value_typeET4_jRbjT5_S1E_jjP12ihipStream_tbEUljE_ZNSN_ISO_Lb1ESQ_SR_ST_SU_SY_EESZ_S10_S11_S12_S16_S17_S18_S1B_S1C_jS1D_jS1E_S1E_jjS1G_bEUljE0_EEESZ_S10_S11_S18_S1C_S1E_T6_T7_T9_mT8_S1G_bDpT10_ENKUlT_T0_E_clISt17integral_constantIbLb0EES1T_IbLb1EEEEDaS1P_S1Q_EUlS1P_E_NS1_11comp_targetILNS1_3genE0ELNS1_11target_archE4294967295ELNS1_3gpuE0ELNS1_3repE0EEENS1_30default_config_static_selectorELNS0_4arch9wavefront6targetE0EEEvS12_,"axG",@progbits,_ZN7rocprim17ROCPRIM_400000_NS6detail17trampoline_kernelINS0_13select_configILj256ELj13ELNS0_17block_load_methodE3ELS4_3ELS4_3ELNS0_20block_scan_algorithmE0ELj4294967295EEENS1_25partition_config_selectorILNS1_17partition_subalgoE4EjNS0_10empty_typeEbEEZZNS1_14partition_implILS8_4ELb0ES6_15HIP_vector_typeIjLj2EENS0_17counting_iteratorIjlEEPS9_SG_NS0_5tupleIJPjSI_NS0_16reverse_iteratorISI_EEEEENSH_IJSG_SG_SG_EEES9_SI_JZNS1_25segmented_radix_sort_implINS0_14default_configELb1EPKdPdPKlPlN2at6native12_GLOBAL__N_18offset_tEEE10hipError_tPvRmT1_PNSt15iterator_traitsIS12_E10value_typeET2_T3_PNS13_IS18_E10value_typeET4_jRbjT5_S1E_jjP12ihipStream_tbEUljE_ZNSN_ISO_Lb1ESQ_SR_ST_SU_SY_EESZ_S10_S11_S12_S16_S17_S18_S1B_S1C_jS1D_jS1E_S1E_jjS1G_bEUljE0_EEESZ_S10_S11_S18_S1C_S1E_T6_T7_T9_mT8_S1G_bDpT10_ENKUlT_T0_E_clISt17integral_constantIbLb0EES1T_IbLb1EEEEDaS1P_S1Q_EUlS1P_E_NS1_11comp_targetILNS1_3genE0ELNS1_11target_archE4294967295ELNS1_3gpuE0ELNS1_3repE0EEENS1_30default_config_static_selectorELNS0_4arch9wavefront6targetE0EEEvS12_,comdat
	.globl	_ZN7rocprim17ROCPRIM_400000_NS6detail17trampoline_kernelINS0_13select_configILj256ELj13ELNS0_17block_load_methodE3ELS4_3ELS4_3ELNS0_20block_scan_algorithmE0ELj4294967295EEENS1_25partition_config_selectorILNS1_17partition_subalgoE4EjNS0_10empty_typeEbEEZZNS1_14partition_implILS8_4ELb0ES6_15HIP_vector_typeIjLj2EENS0_17counting_iteratorIjlEEPS9_SG_NS0_5tupleIJPjSI_NS0_16reverse_iteratorISI_EEEEENSH_IJSG_SG_SG_EEES9_SI_JZNS1_25segmented_radix_sort_implINS0_14default_configELb1EPKdPdPKlPlN2at6native12_GLOBAL__N_18offset_tEEE10hipError_tPvRmT1_PNSt15iterator_traitsIS12_E10value_typeET2_T3_PNS13_IS18_E10value_typeET4_jRbjT5_S1E_jjP12ihipStream_tbEUljE_ZNSN_ISO_Lb1ESQ_SR_ST_SU_SY_EESZ_S10_S11_S12_S16_S17_S18_S1B_S1C_jS1D_jS1E_S1E_jjS1G_bEUljE0_EEESZ_S10_S11_S18_S1C_S1E_T6_T7_T9_mT8_S1G_bDpT10_ENKUlT_T0_E_clISt17integral_constantIbLb0EES1T_IbLb1EEEEDaS1P_S1Q_EUlS1P_E_NS1_11comp_targetILNS1_3genE0ELNS1_11target_archE4294967295ELNS1_3gpuE0ELNS1_3repE0EEENS1_30default_config_static_selectorELNS0_4arch9wavefront6targetE0EEEvS12_ ; -- Begin function _ZN7rocprim17ROCPRIM_400000_NS6detail17trampoline_kernelINS0_13select_configILj256ELj13ELNS0_17block_load_methodE3ELS4_3ELS4_3ELNS0_20block_scan_algorithmE0ELj4294967295EEENS1_25partition_config_selectorILNS1_17partition_subalgoE4EjNS0_10empty_typeEbEEZZNS1_14partition_implILS8_4ELb0ES6_15HIP_vector_typeIjLj2EENS0_17counting_iteratorIjlEEPS9_SG_NS0_5tupleIJPjSI_NS0_16reverse_iteratorISI_EEEEENSH_IJSG_SG_SG_EEES9_SI_JZNS1_25segmented_radix_sort_implINS0_14default_configELb1EPKdPdPKlPlN2at6native12_GLOBAL__N_18offset_tEEE10hipError_tPvRmT1_PNSt15iterator_traitsIS12_E10value_typeET2_T3_PNS13_IS18_E10value_typeET4_jRbjT5_S1E_jjP12ihipStream_tbEUljE_ZNSN_ISO_Lb1ESQ_SR_ST_SU_SY_EESZ_S10_S11_S12_S16_S17_S18_S1B_S1C_jS1D_jS1E_S1E_jjS1G_bEUljE0_EEESZ_S10_S11_S18_S1C_S1E_T6_T7_T9_mT8_S1G_bDpT10_ENKUlT_T0_E_clISt17integral_constantIbLb0EES1T_IbLb1EEEEDaS1P_S1Q_EUlS1P_E_NS1_11comp_targetILNS1_3genE0ELNS1_11target_archE4294967295ELNS1_3gpuE0ELNS1_3repE0EEENS1_30default_config_static_selectorELNS0_4arch9wavefront6targetE0EEEvS12_
	.p2align	8
	.type	_ZN7rocprim17ROCPRIM_400000_NS6detail17trampoline_kernelINS0_13select_configILj256ELj13ELNS0_17block_load_methodE3ELS4_3ELS4_3ELNS0_20block_scan_algorithmE0ELj4294967295EEENS1_25partition_config_selectorILNS1_17partition_subalgoE4EjNS0_10empty_typeEbEEZZNS1_14partition_implILS8_4ELb0ES6_15HIP_vector_typeIjLj2EENS0_17counting_iteratorIjlEEPS9_SG_NS0_5tupleIJPjSI_NS0_16reverse_iteratorISI_EEEEENSH_IJSG_SG_SG_EEES9_SI_JZNS1_25segmented_radix_sort_implINS0_14default_configELb1EPKdPdPKlPlN2at6native12_GLOBAL__N_18offset_tEEE10hipError_tPvRmT1_PNSt15iterator_traitsIS12_E10value_typeET2_T3_PNS13_IS18_E10value_typeET4_jRbjT5_S1E_jjP12ihipStream_tbEUljE_ZNSN_ISO_Lb1ESQ_SR_ST_SU_SY_EESZ_S10_S11_S12_S16_S17_S18_S1B_S1C_jS1D_jS1E_S1E_jjS1G_bEUljE0_EEESZ_S10_S11_S18_S1C_S1E_T6_T7_T9_mT8_S1G_bDpT10_ENKUlT_T0_E_clISt17integral_constantIbLb0EES1T_IbLb1EEEEDaS1P_S1Q_EUlS1P_E_NS1_11comp_targetILNS1_3genE0ELNS1_11target_archE4294967295ELNS1_3gpuE0ELNS1_3repE0EEENS1_30default_config_static_selectorELNS0_4arch9wavefront6targetE0EEEvS12_,@function
_ZN7rocprim17ROCPRIM_400000_NS6detail17trampoline_kernelINS0_13select_configILj256ELj13ELNS0_17block_load_methodE3ELS4_3ELS4_3ELNS0_20block_scan_algorithmE0ELj4294967295EEENS1_25partition_config_selectorILNS1_17partition_subalgoE4EjNS0_10empty_typeEbEEZZNS1_14partition_implILS8_4ELb0ES6_15HIP_vector_typeIjLj2EENS0_17counting_iteratorIjlEEPS9_SG_NS0_5tupleIJPjSI_NS0_16reverse_iteratorISI_EEEEENSH_IJSG_SG_SG_EEES9_SI_JZNS1_25segmented_radix_sort_implINS0_14default_configELb1EPKdPdPKlPlN2at6native12_GLOBAL__N_18offset_tEEE10hipError_tPvRmT1_PNSt15iterator_traitsIS12_E10value_typeET2_T3_PNS13_IS18_E10value_typeET4_jRbjT5_S1E_jjP12ihipStream_tbEUljE_ZNSN_ISO_Lb1ESQ_SR_ST_SU_SY_EESZ_S10_S11_S12_S16_S17_S18_S1B_S1C_jS1D_jS1E_S1E_jjS1G_bEUljE0_EEESZ_S10_S11_S18_S1C_S1E_T6_T7_T9_mT8_S1G_bDpT10_ENKUlT_T0_E_clISt17integral_constantIbLb0EES1T_IbLb1EEEEDaS1P_S1Q_EUlS1P_E_NS1_11comp_targetILNS1_3genE0ELNS1_11target_archE4294967295ELNS1_3gpuE0ELNS1_3repE0EEENS1_30default_config_static_selectorELNS0_4arch9wavefront6targetE0EEEvS12_: ; @_ZN7rocprim17ROCPRIM_400000_NS6detail17trampoline_kernelINS0_13select_configILj256ELj13ELNS0_17block_load_methodE3ELS4_3ELS4_3ELNS0_20block_scan_algorithmE0ELj4294967295EEENS1_25partition_config_selectorILNS1_17partition_subalgoE4EjNS0_10empty_typeEbEEZZNS1_14partition_implILS8_4ELb0ES6_15HIP_vector_typeIjLj2EENS0_17counting_iteratorIjlEEPS9_SG_NS0_5tupleIJPjSI_NS0_16reverse_iteratorISI_EEEEENSH_IJSG_SG_SG_EEES9_SI_JZNS1_25segmented_radix_sort_implINS0_14default_configELb1EPKdPdPKlPlN2at6native12_GLOBAL__N_18offset_tEEE10hipError_tPvRmT1_PNSt15iterator_traitsIS12_E10value_typeET2_T3_PNS13_IS18_E10value_typeET4_jRbjT5_S1E_jjP12ihipStream_tbEUljE_ZNSN_ISO_Lb1ESQ_SR_ST_SU_SY_EESZ_S10_S11_S12_S16_S17_S18_S1B_S1C_jS1D_jS1E_S1E_jjS1G_bEUljE0_EEESZ_S10_S11_S18_S1C_S1E_T6_T7_T9_mT8_S1G_bDpT10_ENKUlT_T0_E_clISt17integral_constantIbLb0EES1T_IbLb1EEEEDaS1P_S1Q_EUlS1P_E_NS1_11comp_targetILNS1_3genE0ELNS1_11target_archE4294967295ELNS1_3gpuE0ELNS1_3repE0EEENS1_30default_config_static_selectorELNS0_4arch9wavefront6targetE0EEEvS12_
; %bb.0:
	.section	.rodata,"a",@progbits
	.p2align	6, 0x0
	.amdhsa_kernel _ZN7rocprim17ROCPRIM_400000_NS6detail17trampoline_kernelINS0_13select_configILj256ELj13ELNS0_17block_load_methodE3ELS4_3ELS4_3ELNS0_20block_scan_algorithmE0ELj4294967295EEENS1_25partition_config_selectorILNS1_17partition_subalgoE4EjNS0_10empty_typeEbEEZZNS1_14partition_implILS8_4ELb0ES6_15HIP_vector_typeIjLj2EENS0_17counting_iteratorIjlEEPS9_SG_NS0_5tupleIJPjSI_NS0_16reverse_iteratorISI_EEEEENSH_IJSG_SG_SG_EEES9_SI_JZNS1_25segmented_radix_sort_implINS0_14default_configELb1EPKdPdPKlPlN2at6native12_GLOBAL__N_18offset_tEEE10hipError_tPvRmT1_PNSt15iterator_traitsIS12_E10value_typeET2_T3_PNS13_IS18_E10value_typeET4_jRbjT5_S1E_jjP12ihipStream_tbEUljE_ZNSN_ISO_Lb1ESQ_SR_ST_SU_SY_EESZ_S10_S11_S12_S16_S17_S18_S1B_S1C_jS1D_jS1E_S1E_jjS1G_bEUljE0_EEESZ_S10_S11_S18_S1C_S1E_T6_T7_T9_mT8_S1G_bDpT10_ENKUlT_T0_E_clISt17integral_constantIbLb0EES1T_IbLb1EEEEDaS1P_S1Q_EUlS1P_E_NS1_11comp_targetILNS1_3genE0ELNS1_11target_archE4294967295ELNS1_3gpuE0ELNS1_3repE0EEENS1_30default_config_static_selectorELNS0_4arch9wavefront6targetE0EEEvS12_
		.amdhsa_group_segment_fixed_size 0
		.amdhsa_private_segment_fixed_size 0
		.amdhsa_kernarg_size 184
		.amdhsa_user_sgpr_count 15
		.amdhsa_user_sgpr_dispatch_ptr 0
		.amdhsa_user_sgpr_queue_ptr 0
		.amdhsa_user_sgpr_kernarg_segment_ptr 1
		.amdhsa_user_sgpr_dispatch_id 0
		.amdhsa_user_sgpr_private_segment_size 0
		.amdhsa_wavefront_size32 1
		.amdhsa_uses_dynamic_stack 0
		.amdhsa_enable_private_segment 0
		.amdhsa_system_sgpr_workgroup_id_x 1
		.amdhsa_system_sgpr_workgroup_id_y 0
		.amdhsa_system_sgpr_workgroup_id_z 0
		.amdhsa_system_sgpr_workgroup_info 0
		.amdhsa_system_vgpr_workitem_id 0
		.amdhsa_next_free_vgpr 1
		.amdhsa_next_free_sgpr 1
		.amdhsa_reserve_vcc 0
		.amdhsa_float_round_mode_32 0
		.amdhsa_float_round_mode_16_64 0
		.amdhsa_float_denorm_mode_32 3
		.amdhsa_float_denorm_mode_16_64 3
		.amdhsa_dx10_clamp 1
		.amdhsa_ieee_mode 1
		.amdhsa_fp16_overflow 0
		.amdhsa_workgroup_processor_mode 1
		.amdhsa_memory_ordered 1
		.amdhsa_forward_progress 0
		.amdhsa_shared_vgpr_count 0
		.amdhsa_exception_fp_ieee_invalid_op 0
		.amdhsa_exception_fp_denorm_src 0
		.amdhsa_exception_fp_ieee_div_zero 0
		.amdhsa_exception_fp_ieee_overflow 0
		.amdhsa_exception_fp_ieee_underflow 0
		.amdhsa_exception_fp_ieee_inexact 0
		.amdhsa_exception_int_div_zero 0
	.end_amdhsa_kernel
	.section	.text._ZN7rocprim17ROCPRIM_400000_NS6detail17trampoline_kernelINS0_13select_configILj256ELj13ELNS0_17block_load_methodE3ELS4_3ELS4_3ELNS0_20block_scan_algorithmE0ELj4294967295EEENS1_25partition_config_selectorILNS1_17partition_subalgoE4EjNS0_10empty_typeEbEEZZNS1_14partition_implILS8_4ELb0ES6_15HIP_vector_typeIjLj2EENS0_17counting_iteratorIjlEEPS9_SG_NS0_5tupleIJPjSI_NS0_16reverse_iteratorISI_EEEEENSH_IJSG_SG_SG_EEES9_SI_JZNS1_25segmented_radix_sort_implINS0_14default_configELb1EPKdPdPKlPlN2at6native12_GLOBAL__N_18offset_tEEE10hipError_tPvRmT1_PNSt15iterator_traitsIS12_E10value_typeET2_T3_PNS13_IS18_E10value_typeET4_jRbjT5_S1E_jjP12ihipStream_tbEUljE_ZNSN_ISO_Lb1ESQ_SR_ST_SU_SY_EESZ_S10_S11_S12_S16_S17_S18_S1B_S1C_jS1D_jS1E_S1E_jjS1G_bEUljE0_EEESZ_S10_S11_S18_S1C_S1E_T6_T7_T9_mT8_S1G_bDpT10_ENKUlT_T0_E_clISt17integral_constantIbLb0EES1T_IbLb1EEEEDaS1P_S1Q_EUlS1P_E_NS1_11comp_targetILNS1_3genE0ELNS1_11target_archE4294967295ELNS1_3gpuE0ELNS1_3repE0EEENS1_30default_config_static_selectorELNS0_4arch9wavefront6targetE0EEEvS12_,"axG",@progbits,_ZN7rocprim17ROCPRIM_400000_NS6detail17trampoline_kernelINS0_13select_configILj256ELj13ELNS0_17block_load_methodE3ELS4_3ELS4_3ELNS0_20block_scan_algorithmE0ELj4294967295EEENS1_25partition_config_selectorILNS1_17partition_subalgoE4EjNS0_10empty_typeEbEEZZNS1_14partition_implILS8_4ELb0ES6_15HIP_vector_typeIjLj2EENS0_17counting_iteratorIjlEEPS9_SG_NS0_5tupleIJPjSI_NS0_16reverse_iteratorISI_EEEEENSH_IJSG_SG_SG_EEES9_SI_JZNS1_25segmented_radix_sort_implINS0_14default_configELb1EPKdPdPKlPlN2at6native12_GLOBAL__N_18offset_tEEE10hipError_tPvRmT1_PNSt15iterator_traitsIS12_E10value_typeET2_T3_PNS13_IS18_E10value_typeET4_jRbjT5_S1E_jjP12ihipStream_tbEUljE_ZNSN_ISO_Lb1ESQ_SR_ST_SU_SY_EESZ_S10_S11_S12_S16_S17_S18_S1B_S1C_jS1D_jS1E_S1E_jjS1G_bEUljE0_EEESZ_S10_S11_S18_S1C_S1E_T6_T7_T9_mT8_S1G_bDpT10_ENKUlT_T0_E_clISt17integral_constantIbLb0EES1T_IbLb1EEEEDaS1P_S1Q_EUlS1P_E_NS1_11comp_targetILNS1_3genE0ELNS1_11target_archE4294967295ELNS1_3gpuE0ELNS1_3repE0EEENS1_30default_config_static_selectorELNS0_4arch9wavefront6targetE0EEEvS12_,comdat
.Lfunc_end1078:
	.size	_ZN7rocprim17ROCPRIM_400000_NS6detail17trampoline_kernelINS0_13select_configILj256ELj13ELNS0_17block_load_methodE3ELS4_3ELS4_3ELNS0_20block_scan_algorithmE0ELj4294967295EEENS1_25partition_config_selectorILNS1_17partition_subalgoE4EjNS0_10empty_typeEbEEZZNS1_14partition_implILS8_4ELb0ES6_15HIP_vector_typeIjLj2EENS0_17counting_iteratorIjlEEPS9_SG_NS0_5tupleIJPjSI_NS0_16reverse_iteratorISI_EEEEENSH_IJSG_SG_SG_EEES9_SI_JZNS1_25segmented_radix_sort_implINS0_14default_configELb1EPKdPdPKlPlN2at6native12_GLOBAL__N_18offset_tEEE10hipError_tPvRmT1_PNSt15iterator_traitsIS12_E10value_typeET2_T3_PNS13_IS18_E10value_typeET4_jRbjT5_S1E_jjP12ihipStream_tbEUljE_ZNSN_ISO_Lb1ESQ_SR_ST_SU_SY_EESZ_S10_S11_S12_S16_S17_S18_S1B_S1C_jS1D_jS1E_S1E_jjS1G_bEUljE0_EEESZ_S10_S11_S18_S1C_S1E_T6_T7_T9_mT8_S1G_bDpT10_ENKUlT_T0_E_clISt17integral_constantIbLb0EES1T_IbLb1EEEEDaS1P_S1Q_EUlS1P_E_NS1_11comp_targetILNS1_3genE0ELNS1_11target_archE4294967295ELNS1_3gpuE0ELNS1_3repE0EEENS1_30default_config_static_selectorELNS0_4arch9wavefront6targetE0EEEvS12_, .Lfunc_end1078-_ZN7rocprim17ROCPRIM_400000_NS6detail17trampoline_kernelINS0_13select_configILj256ELj13ELNS0_17block_load_methodE3ELS4_3ELS4_3ELNS0_20block_scan_algorithmE0ELj4294967295EEENS1_25partition_config_selectorILNS1_17partition_subalgoE4EjNS0_10empty_typeEbEEZZNS1_14partition_implILS8_4ELb0ES6_15HIP_vector_typeIjLj2EENS0_17counting_iteratorIjlEEPS9_SG_NS0_5tupleIJPjSI_NS0_16reverse_iteratorISI_EEEEENSH_IJSG_SG_SG_EEES9_SI_JZNS1_25segmented_radix_sort_implINS0_14default_configELb1EPKdPdPKlPlN2at6native12_GLOBAL__N_18offset_tEEE10hipError_tPvRmT1_PNSt15iterator_traitsIS12_E10value_typeET2_T3_PNS13_IS18_E10value_typeET4_jRbjT5_S1E_jjP12ihipStream_tbEUljE_ZNSN_ISO_Lb1ESQ_SR_ST_SU_SY_EESZ_S10_S11_S12_S16_S17_S18_S1B_S1C_jS1D_jS1E_S1E_jjS1G_bEUljE0_EEESZ_S10_S11_S18_S1C_S1E_T6_T7_T9_mT8_S1G_bDpT10_ENKUlT_T0_E_clISt17integral_constantIbLb0EES1T_IbLb1EEEEDaS1P_S1Q_EUlS1P_E_NS1_11comp_targetILNS1_3genE0ELNS1_11target_archE4294967295ELNS1_3gpuE0ELNS1_3repE0EEENS1_30default_config_static_selectorELNS0_4arch9wavefront6targetE0EEEvS12_
                                        ; -- End function
	.section	.AMDGPU.csdata,"",@progbits
; Kernel info:
; codeLenInByte = 0
; NumSgprs: 0
; NumVgprs: 0
; ScratchSize: 0
; MemoryBound: 0
; FloatMode: 240
; IeeeMode: 1
; LDSByteSize: 0 bytes/workgroup (compile time only)
; SGPRBlocks: 0
; VGPRBlocks: 0
; NumSGPRsForWavesPerEU: 1
; NumVGPRsForWavesPerEU: 1
; Occupancy: 16
; WaveLimiterHint : 0
; COMPUTE_PGM_RSRC2:SCRATCH_EN: 0
; COMPUTE_PGM_RSRC2:USER_SGPR: 15
; COMPUTE_PGM_RSRC2:TRAP_HANDLER: 0
; COMPUTE_PGM_RSRC2:TGID_X_EN: 1
; COMPUTE_PGM_RSRC2:TGID_Y_EN: 0
; COMPUTE_PGM_RSRC2:TGID_Z_EN: 0
; COMPUTE_PGM_RSRC2:TIDIG_COMP_CNT: 0
	.section	.text._ZN7rocprim17ROCPRIM_400000_NS6detail17trampoline_kernelINS0_13select_configILj256ELj13ELNS0_17block_load_methodE3ELS4_3ELS4_3ELNS0_20block_scan_algorithmE0ELj4294967295EEENS1_25partition_config_selectorILNS1_17partition_subalgoE4EjNS0_10empty_typeEbEEZZNS1_14partition_implILS8_4ELb0ES6_15HIP_vector_typeIjLj2EENS0_17counting_iteratorIjlEEPS9_SG_NS0_5tupleIJPjSI_NS0_16reverse_iteratorISI_EEEEENSH_IJSG_SG_SG_EEES9_SI_JZNS1_25segmented_radix_sort_implINS0_14default_configELb1EPKdPdPKlPlN2at6native12_GLOBAL__N_18offset_tEEE10hipError_tPvRmT1_PNSt15iterator_traitsIS12_E10value_typeET2_T3_PNS13_IS18_E10value_typeET4_jRbjT5_S1E_jjP12ihipStream_tbEUljE_ZNSN_ISO_Lb1ESQ_SR_ST_SU_SY_EESZ_S10_S11_S12_S16_S17_S18_S1B_S1C_jS1D_jS1E_S1E_jjS1G_bEUljE0_EEESZ_S10_S11_S18_S1C_S1E_T6_T7_T9_mT8_S1G_bDpT10_ENKUlT_T0_E_clISt17integral_constantIbLb0EES1T_IbLb1EEEEDaS1P_S1Q_EUlS1P_E_NS1_11comp_targetILNS1_3genE5ELNS1_11target_archE942ELNS1_3gpuE9ELNS1_3repE0EEENS1_30default_config_static_selectorELNS0_4arch9wavefront6targetE0EEEvS12_,"axG",@progbits,_ZN7rocprim17ROCPRIM_400000_NS6detail17trampoline_kernelINS0_13select_configILj256ELj13ELNS0_17block_load_methodE3ELS4_3ELS4_3ELNS0_20block_scan_algorithmE0ELj4294967295EEENS1_25partition_config_selectorILNS1_17partition_subalgoE4EjNS0_10empty_typeEbEEZZNS1_14partition_implILS8_4ELb0ES6_15HIP_vector_typeIjLj2EENS0_17counting_iteratorIjlEEPS9_SG_NS0_5tupleIJPjSI_NS0_16reverse_iteratorISI_EEEEENSH_IJSG_SG_SG_EEES9_SI_JZNS1_25segmented_radix_sort_implINS0_14default_configELb1EPKdPdPKlPlN2at6native12_GLOBAL__N_18offset_tEEE10hipError_tPvRmT1_PNSt15iterator_traitsIS12_E10value_typeET2_T3_PNS13_IS18_E10value_typeET4_jRbjT5_S1E_jjP12ihipStream_tbEUljE_ZNSN_ISO_Lb1ESQ_SR_ST_SU_SY_EESZ_S10_S11_S12_S16_S17_S18_S1B_S1C_jS1D_jS1E_S1E_jjS1G_bEUljE0_EEESZ_S10_S11_S18_S1C_S1E_T6_T7_T9_mT8_S1G_bDpT10_ENKUlT_T0_E_clISt17integral_constantIbLb0EES1T_IbLb1EEEEDaS1P_S1Q_EUlS1P_E_NS1_11comp_targetILNS1_3genE5ELNS1_11target_archE942ELNS1_3gpuE9ELNS1_3repE0EEENS1_30default_config_static_selectorELNS0_4arch9wavefront6targetE0EEEvS12_,comdat
	.globl	_ZN7rocprim17ROCPRIM_400000_NS6detail17trampoline_kernelINS0_13select_configILj256ELj13ELNS0_17block_load_methodE3ELS4_3ELS4_3ELNS0_20block_scan_algorithmE0ELj4294967295EEENS1_25partition_config_selectorILNS1_17partition_subalgoE4EjNS0_10empty_typeEbEEZZNS1_14partition_implILS8_4ELb0ES6_15HIP_vector_typeIjLj2EENS0_17counting_iteratorIjlEEPS9_SG_NS0_5tupleIJPjSI_NS0_16reverse_iteratorISI_EEEEENSH_IJSG_SG_SG_EEES9_SI_JZNS1_25segmented_radix_sort_implINS0_14default_configELb1EPKdPdPKlPlN2at6native12_GLOBAL__N_18offset_tEEE10hipError_tPvRmT1_PNSt15iterator_traitsIS12_E10value_typeET2_T3_PNS13_IS18_E10value_typeET4_jRbjT5_S1E_jjP12ihipStream_tbEUljE_ZNSN_ISO_Lb1ESQ_SR_ST_SU_SY_EESZ_S10_S11_S12_S16_S17_S18_S1B_S1C_jS1D_jS1E_S1E_jjS1G_bEUljE0_EEESZ_S10_S11_S18_S1C_S1E_T6_T7_T9_mT8_S1G_bDpT10_ENKUlT_T0_E_clISt17integral_constantIbLb0EES1T_IbLb1EEEEDaS1P_S1Q_EUlS1P_E_NS1_11comp_targetILNS1_3genE5ELNS1_11target_archE942ELNS1_3gpuE9ELNS1_3repE0EEENS1_30default_config_static_selectorELNS0_4arch9wavefront6targetE0EEEvS12_ ; -- Begin function _ZN7rocprim17ROCPRIM_400000_NS6detail17trampoline_kernelINS0_13select_configILj256ELj13ELNS0_17block_load_methodE3ELS4_3ELS4_3ELNS0_20block_scan_algorithmE0ELj4294967295EEENS1_25partition_config_selectorILNS1_17partition_subalgoE4EjNS0_10empty_typeEbEEZZNS1_14partition_implILS8_4ELb0ES6_15HIP_vector_typeIjLj2EENS0_17counting_iteratorIjlEEPS9_SG_NS0_5tupleIJPjSI_NS0_16reverse_iteratorISI_EEEEENSH_IJSG_SG_SG_EEES9_SI_JZNS1_25segmented_radix_sort_implINS0_14default_configELb1EPKdPdPKlPlN2at6native12_GLOBAL__N_18offset_tEEE10hipError_tPvRmT1_PNSt15iterator_traitsIS12_E10value_typeET2_T3_PNS13_IS18_E10value_typeET4_jRbjT5_S1E_jjP12ihipStream_tbEUljE_ZNSN_ISO_Lb1ESQ_SR_ST_SU_SY_EESZ_S10_S11_S12_S16_S17_S18_S1B_S1C_jS1D_jS1E_S1E_jjS1G_bEUljE0_EEESZ_S10_S11_S18_S1C_S1E_T6_T7_T9_mT8_S1G_bDpT10_ENKUlT_T0_E_clISt17integral_constantIbLb0EES1T_IbLb1EEEEDaS1P_S1Q_EUlS1P_E_NS1_11comp_targetILNS1_3genE5ELNS1_11target_archE942ELNS1_3gpuE9ELNS1_3repE0EEENS1_30default_config_static_selectorELNS0_4arch9wavefront6targetE0EEEvS12_
	.p2align	8
	.type	_ZN7rocprim17ROCPRIM_400000_NS6detail17trampoline_kernelINS0_13select_configILj256ELj13ELNS0_17block_load_methodE3ELS4_3ELS4_3ELNS0_20block_scan_algorithmE0ELj4294967295EEENS1_25partition_config_selectorILNS1_17partition_subalgoE4EjNS0_10empty_typeEbEEZZNS1_14partition_implILS8_4ELb0ES6_15HIP_vector_typeIjLj2EENS0_17counting_iteratorIjlEEPS9_SG_NS0_5tupleIJPjSI_NS0_16reverse_iteratorISI_EEEEENSH_IJSG_SG_SG_EEES9_SI_JZNS1_25segmented_radix_sort_implINS0_14default_configELb1EPKdPdPKlPlN2at6native12_GLOBAL__N_18offset_tEEE10hipError_tPvRmT1_PNSt15iterator_traitsIS12_E10value_typeET2_T3_PNS13_IS18_E10value_typeET4_jRbjT5_S1E_jjP12ihipStream_tbEUljE_ZNSN_ISO_Lb1ESQ_SR_ST_SU_SY_EESZ_S10_S11_S12_S16_S17_S18_S1B_S1C_jS1D_jS1E_S1E_jjS1G_bEUljE0_EEESZ_S10_S11_S18_S1C_S1E_T6_T7_T9_mT8_S1G_bDpT10_ENKUlT_T0_E_clISt17integral_constantIbLb0EES1T_IbLb1EEEEDaS1P_S1Q_EUlS1P_E_NS1_11comp_targetILNS1_3genE5ELNS1_11target_archE942ELNS1_3gpuE9ELNS1_3repE0EEENS1_30default_config_static_selectorELNS0_4arch9wavefront6targetE0EEEvS12_,@function
_ZN7rocprim17ROCPRIM_400000_NS6detail17trampoline_kernelINS0_13select_configILj256ELj13ELNS0_17block_load_methodE3ELS4_3ELS4_3ELNS0_20block_scan_algorithmE0ELj4294967295EEENS1_25partition_config_selectorILNS1_17partition_subalgoE4EjNS0_10empty_typeEbEEZZNS1_14partition_implILS8_4ELb0ES6_15HIP_vector_typeIjLj2EENS0_17counting_iteratorIjlEEPS9_SG_NS0_5tupleIJPjSI_NS0_16reverse_iteratorISI_EEEEENSH_IJSG_SG_SG_EEES9_SI_JZNS1_25segmented_radix_sort_implINS0_14default_configELb1EPKdPdPKlPlN2at6native12_GLOBAL__N_18offset_tEEE10hipError_tPvRmT1_PNSt15iterator_traitsIS12_E10value_typeET2_T3_PNS13_IS18_E10value_typeET4_jRbjT5_S1E_jjP12ihipStream_tbEUljE_ZNSN_ISO_Lb1ESQ_SR_ST_SU_SY_EESZ_S10_S11_S12_S16_S17_S18_S1B_S1C_jS1D_jS1E_S1E_jjS1G_bEUljE0_EEESZ_S10_S11_S18_S1C_S1E_T6_T7_T9_mT8_S1G_bDpT10_ENKUlT_T0_E_clISt17integral_constantIbLb0EES1T_IbLb1EEEEDaS1P_S1Q_EUlS1P_E_NS1_11comp_targetILNS1_3genE5ELNS1_11target_archE942ELNS1_3gpuE9ELNS1_3repE0EEENS1_30default_config_static_selectorELNS0_4arch9wavefront6targetE0EEEvS12_: ; @_ZN7rocprim17ROCPRIM_400000_NS6detail17trampoline_kernelINS0_13select_configILj256ELj13ELNS0_17block_load_methodE3ELS4_3ELS4_3ELNS0_20block_scan_algorithmE0ELj4294967295EEENS1_25partition_config_selectorILNS1_17partition_subalgoE4EjNS0_10empty_typeEbEEZZNS1_14partition_implILS8_4ELb0ES6_15HIP_vector_typeIjLj2EENS0_17counting_iteratorIjlEEPS9_SG_NS0_5tupleIJPjSI_NS0_16reverse_iteratorISI_EEEEENSH_IJSG_SG_SG_EEES9_SI_JZNS1_25segmented_radix_sort_implINS0_14default_configELb1EPKdPdPKlPlN2at6native12_GLOBAL__N_18offset_tEEE10hipError_tPvRmT1_PNSt15iterator_traitsIS12_E10value_typeET2_T3_PNS13_IS18_E10value_typeET4_jRbjT5_S1E_jjP12ihipStream_tbEUljE_ZNSN_ISO_Lb1ESQ_SR_ST_SU_SY_EESZ_S10_S11_S12_S16_S17_S18_S1B_S1C_jS1D_jS1E_S1E_jjS1G_bEUljE0_EEESZ_S10_S11_S18_S1C_S1E_T6_T7_T9_mT8_S1G_bDpT10_ENKUlT_T0_E_clISt17integral_constantIbLb0EES1T_IbLb1EEEEDaS1P_S1Q_EUlS1P_E_NS1_11comp_targetILNS1_3genE5ELNS1_11target_archE942ELNS1_3gpuE9ELNS1_3repE0EEENS1_30default_config_static_selectorELNS0_4arch9wavefront6targetE0EEEvS12_
; %bb.0:
	.section	.rodata,"a",@progbits
	.p2align	6, 0x0
	.amdhsa_kernel _ZN7rocprim17ROCPRIM_400000_NS6detail17trampoline_kernelINS0_13select_configILj256ELj13ELNS0_17block_load_methodE3ELS4_3ELS4_3ELNS0_20block_scan_algorithmE0ELj4294967295EEENS1_25partition_config_selectorILNS1_17partition_subalgoE4EjNS0_10empty_typeEbEEZZNS1_14partition_implILS8_4ELb0ES6_15HIP_vector_typeIjLj2EENS0_17counting_iteratorIjlEEPS9_SG_NS0_5tupleIJPjSI_NS0_16reverse_iteratorISI_EEEEENSH_IJSG_SG_SG_EEES9_SI_JZNS1_25segmented_radix_sort_implINS0_14default_configELb1EPKdPdPKlPlN2at6native12_GLOBAL__N_18offset_tEEE10hipError_tPvRmT1_PNSt15iterator_traitsIS12_E10value_typeET2_T3_PNS13_IS18_E10value_typeET4_jRbjT5_S1E_jjP12ihipStream_tbEUljE_ZNSN_ISO_Lb1ESQ_SR_ST_SU_SY_EESZ_S10_S11_S12_S16_S17_S18_S1B_S1C_jS1D_jS1E_S1E_jjS1G_bEUljE0_EEESZ_S10_S11_S18_S1C_S1E_T6_T7_T9_mT8_S1G_bDpT10_ENKUlT_T0_E_clISt17integral_constantIbLb0EES1T_IbLb1EEEEDaS1P_S1Q_EUlS1P_E_NS1_11comp_targetILNS1_3genE5ELNS1_11target_archE942ELNS1_3gpuE9ELNS1_3repE0EEENS1_30default_config_static_selectorELNS0_4arch9wavefront6targetE0EEEvS12_
		.amdhsa_group_segment_fixed_size 0
		.amdhsa_private_segment_fixed_size 0
		.amdhsa_kernarg_size 184
		.amdhsa_user_sgpr_count 15
		.amdhsa_user_sgpr_dispatch_ptr 0
		.amdhsa_user_sgpr_queue_ptr 0
		.amdhsa_user_sgpr_kernarg_segment_ptr 1
		.amdhsa_user_sgpr_dispatch_id 0
		.amdhsa_user_sgpr_private_segment_size 0
		.amdhsa_wavefront_size32 1
		.amdhsa_uses_dynamic_stack 0
		.amdhsa_enable_private_segment 0
		.amdhsa_system_sgpr_workgroup_id_x 1
		.amdhsa_system_sgpr_workgroup_id_y 0
		.amdhsa_system_sgpr_workgroup_id_z 0
		.amdhsa_system_sgpr_workgroup_info 0
		.amdhsa_system_vgpr_workitem_id 0
		.amdhsa_next_free_vgpr 1
		.amdhsa_next_free_sgpr 1
		.amdhsa_reserve_vcc 0
		.amdhsa_float_round_mode_32 0
		.amdhsa_float_round_mode_16_64 0
		.amdhsa_float_denorm_mode_32 3
		.amdhsa_float_denorm_mode_16_64 3
		.amdhsa_dx10_clamp 1
		.amdhsa_ieee_mode 1
		.amdhsa_fp16_overflow 0
		.amdhsa_workgroup_processor_mode 1
		.amdhsa_memory_ordered 1
		.amdhsa_forward_progress 0
		.amdhsa_shared_vgpr_count 0
		.amdhsa_exception_fp_ieee_invalid_op 0
		.amdhsa_exception_fp_denorm_src 0
		.amdhsa_exception_fp_ieee_div_zero 0
		.amdhsa_exception_fp_ieee_overflow 0
		.amdhsa_exception_fp_ieee_underflow 0
		.amdhsa_exception_fp_ieee_inexact 0
		.amdhsa_exception_int_div_zero 0
	.end_amdhsa_kernel
	.section	.text._ZN7rocprim17ROCPRIM_400000_NS6detail17trampoline_kernelINS0_13select_configILj256ELj13ELNS0_17block_load_methodE3ELS4_3ELS4_3ELNS0_20block_scan_algorithmE0ELj4294967295EEENS1_25partition_config_selectorILNS1_17partition_subalgoE4EjNS0_10empty_typeEbEEZZNS1_14partition_implILS8_4ELb0ES6_15HIP_vector_typeIjLj2EENS0_17counting_iteratorIjlEEPS9_SG_NS0_5tupleIJPjSI_NS0_16reverse_iteratorISI_EEEEENSH_IJSG_SG_SG_EEES9_SI_JZNS1_25segmented_radix_sort_implINS0_14default_configELb1EPKdPdPKlPlN2at6native12_GLOBAL__N_18offset_tEEE10hipError_tPvRmT1_PNSt15iterator_traitsIS12_E10value_typeET2_T3_PNS13_IS18_E10value_typeET4_jRbjT5_S1E_jjP12ihipStream_tbEUljE_ZNSN_ISO_Lb1ESQ_SR_ST_SU_SY_EESZ_S10_S11_S12_S16_S17_S18_S1B_S1C_jS1D_jS1E_S1E_jjS1G_bEUljE0_EEESZ_S10_S11_S18_S1C_S1E_T6_T7_T9_mT8_S1G_bDpT10_ENKUlT_T0_E_clISt17integral_constantIbLb0EES1T_IbLb1EEEEDaS1P_S1Q_EUlS1P_E_NS1_11comp_targetILNS1_3genE5ELNS1_11target_archE942ELNS1_3gpuE9ELNS1_3repE0EEENS1_30default_config_static_selectorELNS0_4arch9wavefront6targetE0EEEvS12_,"axG",@progbits,_ZN7rocprim17ROCPRIM_400000_NS6detail17trampoline_kernelINS0_13select_configILj256ELj13ELNS0_17block_load_methodE3ELS4_3ELS4_3ELNS0_20block_scan_algorithmE0ELj4294967295EEENS1_25partition_config_selectorILNS1_17partition_subalgoE4EjNS0_10empty_typeEbEEZZNS1_14partition_implILS8_4ELb0ES6_15HIP_vector_typeIjLj2EENS0_17counting_iteratorIjlEEPS9_SG_NS0_5tupleIJPjSI_NS0_16reverse_iteratorISI_EEEEENSH_IJSG_SG_SG_EEES9_SI_JZNS1_25segmented_radix_sort_implINS0_14default_configELb1EPKdPdPKlPlN2at6native12_GLOBAL__N_18offset_tEEE10hipError_tPvRmT1_PNSt15iterator_traitsIS12_E10value_typeET2_T3_PNS13_IS18_E10value_typeET4_jRbjT5_S1E_jjP12ihipStream_tbEUljE_ZNSN_ISO_Lb1ESQ_SR_ST_SU_SY_EESZ_S10_S11_S12_S16_S17_S18_S1B_S1C_jS1D_jS1E_S1E_jjS1G_bEUljE0_EEESZ_S10_S11_S18_S1C_S1E_T6_T7_T9_mT8_S1G_bDpT10_ENKUlT_T0_E_clISt17integral_constantIbLb0EES1T_IbLb1EEEEDaS1P_S1Q_EUlS1P_E_NS1_11comp_targetILNS1_3genE5ELNS1_11target_archE942ELNS1_3gpuE9ELNS1_3repE0EEENS1_30default_config_static_selectorELNS0_4arch9wavefront6targetE0EEEvS12_,comdat
.Lfunc_end1079:
	.size	_ZN7rocprim17ROCPRIM_400000_NS6detail17trampoline_kernelINS0_13select_configILj256ELj13ELNS0_17block_load_methodE3ELS4_3ELS4_3ELNS0_20block_scan_algorithmE0ELj4294967295EEENS1_25partition_config_selectorILNS1_17partition_subalgoE4EjNS0_10empty_typeEbEEZZNS1_14partition_implILS8_4ELb0ES6_15HIP_vector_typeIjLj2EENS0_17counting_iteratorIjlEEPS9_SG_NS0_5tupleIJPjSI_NS0_16reverse_iteratorISI_EEEEENSH_IJSG_SG_SG_EEES9_SI_JZNS1_25segmented_radix_sort_implINS0_14default_configELb1EPKdPdPKlPlN2at6native12_GLOBAL__N_18offset_tEEE10hipError_tPvRmT1_PNSt15iterator_traitsIS12_E10value_typeET2_T3_PNS13_IS18_E10value_typeET4_jRbjT5_S1E_jjP12ihipStream_tbEUljE_ZNSN_ISO_Lb1ESQ_SR_ST_SU_SY_EESZ_S10_S11_S12_S16_S17_S18_S1B_S1C_jS1D_jS1E_S1E_jjS1G_bEUljE0_EEESZ_S10_S11_S18_S1C_S1E_T6_T7_T9_mT8_S1G_bDpT10_ENKUlT_T0_E_clISt17integral_constantIbLb0EES1T_IbLb1EEEEDaS1P_S1Q_EUlS1P_E_NS1_11comp_targetILNS1_3genE5ELNS1_11target_archE942ELNS1_3gpuE9ELNS1_3repE0EEENS1_30default_config_static_selectorELNS0_4arch9wavefront6targetE0EEEvS12_, .Lfunc_end1079-_ZN7rocprim17ROCPRIM_400000_NS6detail17trampoline_kernelINS0_13select_configILj256ELj13ELNS0_17block_load_methodE3ELS4_3ELS4_3ELNS0_20block_scan_algorithmE0ELj4294967295EEENS1_25partition_config_selectorILNS1_17partition_subalgoE4EjNS0_10empty_typeEbEEZZNS1_14partition_implILS8_4ELb0ES6_15HIP_vector_typeIjLj2EENS0_17counting_iteratorIjlEEPS9_SG_NS0_5tupleIJPjSI_NS0_16reverse_iteratorISI_EEEEENSH_IJSG_SG_SG_EEES9_SI_JZNS1_25segmented_radix_sort_implINS0_14default_configELb1EPKdPdPKlPlN2at6native12_GLOBAL__N_18offset_tEEE10hipError_tPvRmT1_PNSt15iterator_traitsIS12_E10value_typeET2_T3_PNS13_IS18_E10value_typeET4_jRbjT5_S1E_jjP12ihipStream_tbEUljE_ZNSN_ISO_Lb1ESQ_SR_ST_SU_SY_EESZ_S10_S11_S12_S16_S17_S18_S1B_S1C_jS1D_jS1E_S1E_jjS1G_bEUljE0_EEESZ_S10_S11_S18_S1C_S1E_T6_T7_T9_mT8_S1G_bDpT10_ENKUlT_T0_E_clISt17integral_constantIbLb0EES1T_IbLb1EEEEDaS1P_S1Q_EUlS1P_E_NS1_11comp_targetILNS1_3genE5ELNS1_11target_archE942ELNS1_3gpuE9ELNS1_3repE0EEENS1_30default_config_static_selectorELNS0_4arch9wavefront6targetE0EEEvS12_
                                        ; -- End function
	.section	.AMDGPU.csdata,"",@progbits
; Kernel info:
; codeLenInByte = 0
; NumSgprs: 0
; NumVgprs: 0
; ScratchSize: 0
; MemoryBound: 0
; FloatMode: 240
; IeeeMode: 1
; LDSByteSize: 0 bytes/workgroup (compile time only)
; SGPRBlocks: 0
; VGPRBlocks: 0
; NumSGPRsForWavesPerEU: 1
; NumVGPRsForWavesPerEU: 1
; Occupancy: 16
; WaveLimiterHint : 0
; COMPUTE_PGM_RSRC2:SCRATCH_EN: 0
; COMPUTE_PGM_RSRC2:USER_SGPR: 15
; COMPUTE_PGM_RSRC2:TRAP_HANDLER: 0
; COMPUTE_PGM_RSRC2:TGID_X_EN: 1
; COMPUTE_PGM_RSRC2:TGID_Y_EN: 0
; COMPUTE_PGM_RSRC2:TGID_Z_EN: 0
; COMPUTE_PGM_RSRC2:TIDIG_COMP_CNT: 0
	.section	.text._ZN7rocprim17ROCPRIM_400000_NS6detail17trampoline_kernelINS0_13select_configILj256ELj13ELNS0_17block_load_methodE3ELS4_3ELS4_3ELNS0_20block_scan_algorithmE0ELj4294967295EEENS1_25partition_config_selectorILNS1_17partition_subalgoE4EjNS0_10empty_typeEbEEZZNS1_14partition_implILS8_4ELb0ES6_15HIP_vector_typeIjLj2EENS0_17counting_iteratorIjlEEPS9_SG_NS0_5tupleIJPjSI_NS0_16reverse_iteratorISI_EEEEENSH_IJSG_SG_SG_EEES9_SI_JZNS1_25segmented_radix_sort_implINS0_14default_configELb1EPKdPdPKlPlN2at6native12_GLOBAL__N_18offset_tEEE10hipError_tPvRmT1_PNSt15iterator_traitsIS12_E10value_typeET2_T3_PNS13_IS18_E10value_typeET4_jRbjT5_S1E_jjP12ihipStream_tbEUljE_ZNSN_ISO_Lb1ESQ_SR_ST_SU_SY_EESZ_S10_S11_S12_S16_S17_S18_S1B_S1C_jS1D_jS1E_S1E_jjS1G_bEUljE0_EEESZ_S10_S11_S18_S1C_S1E_T6_T7_T9_mT8_S1G_bDpT10_ENKUlT_T0_E_clISt17integral_constantIbLb0EES1T_IbLb1EEEEDaS1P_S1Q_EUlS1P_E_NS1_11comp_targetILNS1_3genE4ELNS1_11target_archE910ELNS1_3gpuE8ELNS1_3repE0EEENS1_30default_config_static_selectorELNS0_4arch9wavefront6targetE0EEEvS12_,"axG",@progbits,_ZN7rocprim17ROCPRIM_400000_NS6detail17trampoline_kernelINS0_13select_configILj256ELj13ELNS0_17block_load_methodE3ELS4_3ELS4_3ELNS0_20block_scan_algorithmE0ELj4294967295EEENS1_25partition_config_selectorILNS1_17partition_subalgoE4EjNS0_10empty_typeEbEEZZNS1_14partition_implILS8_4ELb0ES6_15HIP_vector_typeIjLj2EENS0_17counting_iteratorIjlEEPS9_SG_NS0_5tupleIJPjSI_NS0_16reverse_iteratorISI_EEEEENSH_IJSG_SG_SG_EEES9_SI_JZNS1_25segmented_radix_sort_implINS0_14default_configELb1EPKdPdPKlPlN2at6native12_GLOBAL__N_18offset_tEEE10hipError_tPvRmT1_PNSt15iterator_traitsIS12_E10value_typeET2_T3_PNS13_IS18_E10value_typeET4_jRbjT5_S1E_jjP12ihipStream_tbEUljE_ZNSN_ISO_Lb1ESQ_SR_ST_SU_SY_EESZ_S10_S11_S12_S16_S17_S18_S1B_S1C_jS1D_jS1E_S1E_jjS1G_bEUljE0_EEESZ_S10_S11_S18_S1C_S1E_T6_T7_T9_mT8_S1G_bDpT10_ENKUlT_T0_E_clISt17integral_constantIbLb0EES1T_IbLb1EEEEDaS1P_S1Q_EUlS1P_E_NS1_11comp_targetILNS1_3genE4ELNS1_11target_archE910ELNS1_3gpuE8ELNS1_3repE0EEENS1_30default_config_static_selectorELNS0_4arch9wavefront6targetE0EEEvS12_,comdat
	.globl	_ZN7rocprim17ROCPRIM_400000_NS6detail17trampoline_kernelINS0_13select_configILj256ELj13ELNS0_17block_load_methodE3ELS4_3ELS4_3ELNS0_20block_scan_algorithmE0ELj4294967295EEENS1_25partition_config_selectorILNS1_17partition_subalgoE4EjNS0_10empty_typeEbEEZZNS1_14partition_implILS8_4ELb0ES6_15HIP_vector_typeIjLj2EENS0_17counting_iteratorIjlEEPS9_SG_NS0_5tupleIJPjSI_NS0_16reverse_iteratorISI_EEEEENSH_IJSG_SG_SG_EEES9_SI_JZNS1_25segmented_radix_sort_implINS0_14default_configELb1EPKdPdPKlPlN2at6native12_GLOBAL__N_18offset_tEEE10hipError_tPvRmT1_PNSt15iterator_traitsIS12_E10value_typeET2_T3_PNS13_IS18_E10value_typeET4_jRbjT5_S1E_jjP12ihipStream_tbEUljE_ZNSN_ISO_Lb1ESQ_SR_ST_SU_SY_EESZ_S10_S11_S12_S16_S17_S18_S1B_S1C_jS1D_jS1E_S1E_jjS1G_bEUljE0_EEESZ_S10_S11_S18_S1C_S1E_T6_T7_T9_mT8_S1G_bDpT10_ENKUlT_T0_E_clISt17integral_constantIbLb0EES1T_IbLb1EEEEDaS1P_S1Q_EUlS1P_E_NS1_11comp_targetILNS1_3genE4ELNS1_11target_archE910ELNS1_3gpuE8ELNS1_3repE0EEENS1_30default_config_static_selectorELNS0_4arch9wavefront6targetE0EEEvS12_ ; -- Begin function _ZN7rocprim17ROCPRIM_400000_NS6detail17trampoline_kernelINS0_13select_configILj256ELj13ELNS0_17block_load_methodE3ELS4_3ELS4_3ELNS0_20block_scan_algorithmE0ELj4294967295EEENS1_25partition_config_selectorILNS1_17partition_subalgoE4EjNS0_10empty_typeEbEEZZNS1_14partition_implILS8_4ELb0ES6_15HIP_vector_typeIjLj2EENS0_17counting_iteratorIjlEEPS9_SG_NS0_5tupleIJPjSI_NS0_16reverse_iteratorISI_EEEEENSH_IJSG_SG_SG_EEES9_SI_JZNS1_25segmented_radix_sort_implINS0_14default_configELb1EPKdPdPKlPlN2at6native12_GLOBAL__N_18offset_tEEE10hipError_tPvRmT1_PNSt15iterator_traitsIS12_E10value_typeET2_T3_PNS13_IS18_E10value_typeET4_jRbjT5_S1E_jjP12ihipStream_tbEUljE_ZNSN_ISO_Lb1ESQ_SR_ST_SU_SY_EESZ_S10_S11_S12_S16_S17_S18_S1B_S1C_jS1D_jS1E_S1E_jjS1G_bEUljE0_EEESZ_S10_S11_S18_S1C_S1E_T6_T7_T9_mT8_S1G_bDpT10_ENKUlT_T0_E_clISt17integral_constantIbLb0EES1T_IbLb1EEEEDaS1P_S1Q_EUlS1P_E_NS1_11comp_targetILNS1_3genE4ELNS1_11target_archE910ELNS1_3gpuE8ELNS1_3repE0EEENS1_30default_config_static_selectorELNS0_4arch9wavefront6targetE0EEEvS12_
	.p2align	8
	.type	_ZN7rocprim17ROCPRIM_400000_NS6detail17trampoline_kernelINS0_13select_configILj256ELj13ELNS0_17block_load_methodE3ELS4_3ELS4_3ELNS0_20block_scan_algorithmE0ELj4294967295EEENS1_25partition_config_selectorILNS1_17partition_subalgoE4EjNS0_10empty_typeEbEEZZNS1_14partition_implILS8_4ELb0ES6_15HIP_vector_typeIjLj2EENS0_17counting_iteratorIjlEEPS9_SG_NS0_5tupleIJPjSI_NS0_16reverse_iteratorISI_EEEEENSH_IJSG_SG_SG_EEES9_SI_JZNS1_25segmented_radix_sort_implINS0_14default_configELb1EPKdPdPKlPlN2at6native12_GLOBAL__N_18offset_tEEE10hipError_tPvRmT1_PNSt15iterator_traitsIS12_E10value_typeET2_T3_PNS13_IS18_E10value_typeET4_jRbjT5_S1E_jjP12ihipStream_tbEUljE_ZNSN_ISO_Lb1ESQ_SR_ST_SU_SY_EESZ_S10_S11_S12_S16_S17_S18_S1B_S1C_jS1D_jS1E_S1E_jjS1G_bEUljE0_EEESZ_S10_S11_S18_S1C_S1E_T6_T7_T9_mT8_S1G_bDpT10_ENKUlT_T0_E_clISt17integral_constantIbLb0EES1T_IbLb1EEEEDaS1P_S1Q_EUlS1P_E_NS1_11comp_targetILNS1_3genE4ELNS1_11target_archE910ELNS1_3gpuE8ELNS1_3repE0EEENS1_30default_config_static_selectorELNS0_4arch9wavefront6targetE0EEEvS12_,@function
_ZN7rocprim17ROCPRIM_400000_NS6detail17trampoline_kernelINS0_13select_configILj256ELj13ELNS0_17block_load_methodE3ELS4_3ELS4_3ELNS0_20block_scan_algorithmE0ELj4294967295EEENS1_25partition_config_selectorILNS1_17partition_subalgoE4EjNS0_10empty_typeEbEEZZNS1_14partition_implILS8_4ELb0ES6_15HIP_vector_typeIjLj2EENS0_17counting_iteratorIjlEEPS9_SG_NS0_5tupleIJPjSI_NS0_16reverse_iteratorISI_EEEEENSH_IJSG_SG_SG_EEES9_SI_JZNS1_25segmented_radix_sort_implINS0_14default_configELb1EPKdPdPKlPlN2at6native12_GLOBAL__N_18offset_tEEE10hipError_tPvRmT1_PNSt15iterator_traitsIS12_E10value_typeET2_T3_PNS13_IS18_E10value_typeET4_jRbjT5_S1E_jjP12ihipStream_tbEUljE_ZNSN_ISO_Lb1ESQ_SR_ST_SU_SY_EESZ_S10_S11_S12_S16_S17_S18_S1B_S1C_jS1D_jS1E_S1E_jjS1G_bEUljE0_EEESZ_S10_S11_S18_S1C_S1E_T6_T7_T9_mT8_S1G_bDpT10_ENKUlT_T0_E_clISt17integral_constantIbLb0EES1T_IbLb1EEEEDaS1P_S1Q_EUlS1P_E_NS1_11comp_targetILNS1_3genE4ELNS1_11target_archE910ELNS1_3gpuE8ELNS1_3repE0EEENS1_30default_config_static_selectorELNS0_4arch9wavefront6targetE0EEEvS12_: ; @_ZN7rocprim17ROCPRIM_400000_NS6detail17trampoline_kernelINS0_13select_configILj256ELj13ELNS0_17block_load_methodE3ELS4_3ELS4_3ELNS0_20block_scan_algorithmE0ELj4294967295EEENS1_25partition_config_selectorILNS1_17partition_subalgoE4EjNS0_10empty_typeEbEEZZNS1_14partition_implILS8_4ELb0ES6_15HIP_vector_typeIjLj2EENS0_17counting_iteratorIjlEEPS9_SG_NS0_5tupleIJPjSI_NS0_16reverse_iteratorISI_EEEEENSH_IJSG_SG_SG_EEES9_SI_JZNS1_25segmented_radix_sort_implINS0_14default_configELb1EPKdPdPKlPlN2at6native12_GLOBAL__N_18offset_tEEE10hipError_tPvRmT1_PNSt15iterator_traitsIS12_E10value_typeET2_T3_PNS13_IS18_E10value_typeET4_jRbjT5_S1E_jjP12ihipStream_tbEUljE_ZNSN_ISO_Lb1ESQ_SR_ST_SU_SY_EESZ_S10_S11_S12_S16_S17_S18_S1B_S1C_jS1D_jS1E_S1E_jjS1G_bEUljE0_EEESZ_S10_S11_S18_S1C_S1E_T6_T7_T9_mT8_S1G_bDpT10_ENKUlT_T0_E_clISt17integral_constantIbLb0EES1T_IbLb1EEEEDaS1P_S1Q_EUlS1P_E_NS1_11comp_targetILNS1_3genE4ELNS1_11target_archE910ELNS1_3gpuE8ELNS1_3repE0EEENS1_30default_config_static_selectorELNS0_4arch9wavefront6targetE0EEEvS12_
; %bb.0:
	.section	.rodata,"a",@progbits
	.p2align	6, 0x0
	.amdhsa_kernel _ZN7rocprim17ROCPRIM_400000_NS6detail17trampoline_kernelINS0_13select_configILj256ELj13ELNS0_17block_load_methodE3ELS4_3ELS4_3ELNS0_20block_scan_algorithmE0ELj4294967295EEENS1_25partition_config_selectorILNS1_17partition_subalgoE4EjNS0_10empty_typeEbEEZZNS1_14partition_implILS8_4ELb0ES6_15HIP_vector_typeIjLj2EENS0_17counting_iteratorIjlEEPS9_SG_NS0_5tupleIJPjSI_NS0_16reverse_iteratorISI_EEEEENSH_IJSG_SG_SG_EEES9_SI_JZNS1_25segmented_radix_sort_implINS0_14default_configELb1EPKdPdPKlPlN2at6native12_GLOBAL__N_18offset_tEEE10hipError_tPvRmT1_PNSt15iterator_traitsIS12_E10value_typeET2_T3_PNS13_IS18_E10value_typeET4_jRbjT5_S1E_jjP12ihipStream_tbEUljE_ZNSN_ISO_Lb1ESQ_SR_ST_SU_SY_EESZ_S10_S11_S12_S16_S17_S18_S1B_S1C_jS1D_jS1E_S1E_jjS1G_bEUljE0_EEESZ_S10_S11_S18_S1C_S1E_T6_T7_T9_mT8_S1G_bDpT10_ENKUlT_T0_E_clISt17integral_constantIbLb0EES1T_IbLb1EEEEDaS1P_S1Q_EUlS1P_E_NS1_11comp_targetILNS1_3genE4ELNS1_11target_archE910ELNS1_3gpuE8ELNS1_3repE0EEENS1_30default_config_static_selectorELNS0_4arch9wavefront6targetE0EEEvS12_
		.amdhsa_group_segment_fixed_size 0
		.amdhsa_private_segment_fixed_size 0
		.amdhsa_kernarg_size 184
		.amdhsa_user_sgpr_count 15
		.amdhsa_user_sgpr_dispatch_ptr 0
		.amdhsa_user_sgpr_queue_ptr 0
		.amdhsa_user_sgpr_kernarg_segment_ptr 1
		.amdhsa_user_sgpr_dispatch_id 0
		.amdhsa_user_sgpr_private_segment_size 0
		.amdhsa_wavefront_size32 1
		.amdhsa_uses_dynamic_stack 0
		.amdhsa_enable_private_segment 0
		.amdhsa_system_sgpr_workgroup_id_x 1
		.amdhsa_system_sgpr_workgroup_id_y 0
		.amdhsa_system_sgpr_workgroup_id_z 0
		.amdhsa_system_sgpr_workgroup_info 0
		.amdhsa_system_vgpr_workitem_id 0
		.amdhsa_next_free_vgpr 1
		.amdhsa_next_free_sgpr 1
		.amdhsa_reserve_vcc 0
		.amdhsa_float_round_mode_32 0
		.amdhsa_float_round_mode_16_64 0
		.amdhsa_float_denorm_mode_32 3
		.amdhsa_float_denorm_mode_16_64 3
		.amdhsa_dx10_clamp 1
		.amdhsa_ieee_mode 1
		.amdhsa_fp16_overflow 0
		.amdhsa_workgroup_processor_mode 1
		.amdhsa_memory_ordered 1
		.amdhsa_forward_progress 0
		.amdhsa_shared_vgpr_count 0
		.amdhsa_exception_fp_ieee_invalid_op 0
		.amdhsa_exception_fp_denorm_src 0
		.amdhsa_exception_fp_ieee_div_zero 0
		.amdhsa_exception_fp_ieee_overflow 0
		.amdhsa_exception_fp_ieee_underflow 0
		.amdhsa_exception_fp_ieee_inexact 0
		.amdhsa_exception_int_div_zero 0
	.end_amdhsa_kernel
	.section	.text._ZN7rocprim17ROCPRIM_400000_NS6detail17trampoline_kernelINS0_13select_configILj256ELj13ELNS0_17block_load_methodE3ELS4_3ELS4_3ELNS0_20block_scan_algorithmE0ELj4294967295EEENS1_25partition_config_selectorILNS1_17partition_subalgoE4EjNS0_10empty_typeEbEEZZNS1_14partition_implILS8_4ELb0ES6_15HIP_vector_typeIjLj2EENS0_17counting_iteratorIjlEEPS9_SG_NS0_5tupleIJPjSI_NS0_16reverse_iteratorISI_EEEEENSH_IJSG_SG_SG_EEES9_SI_JZNS1_25segmented_radix_sort_implINS0_14default_configELb1EPKdPdPKlPlN2at6native12_GLOBAL__N_18offset_tEEE10hipError_tPvRmT1_PNSt15iterator_traitsIS12_E10value_typeET2_T3_PNS13_IS18_E10value_typeET4_jRbjT5_S1E_jjP12ihipStream_tbEUljE_ZNSN_ISO_Lb1ESQ_SR_ST_SU_SY_EESZ_S10_S11_S12_S16_S17_S18_S1B_S1C_jS1D_jS1E_S1E_jjS1G_bEUljE0_EEESZ_S10_S11_S18_S1C_S1E_T6_T7_T9_mT8_S1G_bDpT10_ENKUlT_T0_E_clISt17integral_constantIbLb0EES1T_IbLb1EEEEDaS1P_S1Q_EUlS1P_E_NS1_11comp_targetILNS1_3genE4ELNS1_11target_archE910ELNS1_3gpuE8ELNS1_3repE0EEENS1_30default_config_static_selectorELNS0_4arch9wavefront6targetE0EEEvS12_,"axG",@progbits,_ZN7rocprim17ROCPRIM_400000_NS6detail17trampoline_kernelINS0_13select_configILj256ELj13ELNS0_17block_load_methodE3ELS4_3ELS4_3ELNS0_20block_scan_algorithmE0ELj4294967295EEENS1_25partition_config_selectorILNS1_17partition_subalgoE4EjNS0_10empty_typeEbEEZZNS1_14partition_implILS8_4ELb0ES6_15HIP_vector_typeIjLj2EENS0_17counting_iteratorIjlEEPS9_SG_NS0_5tupleIJPjSI_NS0_16reverse_iteratorISI_EEEEENSH_IJSG_SG_SG_EEES9_SI_JZNS1_25segmented_radix_sort_implINS0_14default_configELb1EPKdPdPKlPlN2at6native12_GLOBAL__N_18offset_tEEE10hipError_tPvRmT1_PNSt15iterator_traitsIS12_E10value_typeET2_T3_PNS13_IS18_E10value_typeET4_jRbjT5_S1E_jjP12ihipStream_tbEUljE_ZNSN_ISO_Lb1ESQ_SR_ST_SU_SY_EESZ_S10_S11_S12_S16_S17_S18_S1B_S1C_jS1D_jS1E_S1E_jjS1G_bEUljE0_EEESZ_S10_S11_S18_S1C_S1E_T6_T7_T9_mT8_S1G_bDpT10_ENKUlT_T0_E_clISt17integral_constantIbLb0EES1T_IbLb1EEEEDaS1P_S1Q_EUlS1P_E_NS1_11comp_targetILNS1_3genE4ELNS1_11target_archE910ELNS1_3gpuE8ELNS1_3repE0EEENS1_30default_config_static_selectorELNS0_4arch9wavefront6targetE0EEEvS12_,comdat
.Lfunc_end1080:
	.size	_ZN7rocprim17ROCPRIM_400000_NS6detail17trampoline_kernelINS0_13select_configILj256ELj13ELNS0_17block_load_methodE3ELS4_3ELS4_3ELNS0_20block_scan_algorithmE0ELj4294967295EEENS1_25partition_config_selectorILNS1_17partition_subalgoE4EjNS0_10empty_typeEbEEZZNS1_14partition_implILS8_4ELb0ES6_15HIP_vector_typeIjLj2EENS0_17counting_iteratorIjlEEPS9_SG_NS0_5tupleIJPjSI_NS0_16reverse_iteratorISI_EEEEENSH_IJSG_SG_SG_EEES9_SI_JZNS1_25segmented_radix_sort_implINS0_14default_configELb1EPKdPdPKlPlN2at6native12_GLOBAL__N_18offset_tEEE10hipError_tPvRmT1_PNSt15iterator_traitsIS12_E10value_typeET2_T3_PNS13_IS18_E10value_typeET4_jRbjT5_S1E_jjP12ihipStream_tbEUljE_ZNSN_ISO_Lb1ESQ_SR_ST_SU_SY_EESZ_S10_S11_S12_S16_S17_S18_S1B_S1C_jS1D_jS1E_S1E_jjS1G_bEUljE0_EEESZ_S10_S11_S18_S1C_S1E_T6_T7_T9_mT8_S1G_bDpT10_ENKUlT_T0_E_clISt17integral_constantIbLb0EES1T_IbLb1EEEEDaS1P_S1Q_EUlS1P_E_NS1_11comp_targetILNS1_3genE4ELNS1_11target_archE910ELNS1_3gpuE8ELNS1_3repE0EEENS1_30default_config_static_selectorELNS0_4arch9wavefront6targetE0EEEvS12_, .Lfunc_end1080-_ZN7rocprim17ROCPRIM_400000_NS6detail17trampoline_kernelINS0_13select_configILj256ELj13ELNS0_17block_load_methodE3ELS4_3ELS4_3ELNS0_20block_scan_algorithmE0ELj4294967295EEENS1_25partition_config_selectorILNS1_17partition_subalgoE4EjNS0_10empty_typeEbEEZZNS1_14partition_implILS8_4ELb0ES6_15HIP_vector_typeIjLj2EENS0_17counting_iteratorIjlEEPS9_SG_NS0_5tupleIJPjSI_NS0_16reverse_iteratorISI_EEEEENSH_IJSG_SG_SG_EEES9_SI_JZNS1_25segmented_radix_sort_implINS0_14default_configELb1EPKdPdPKlPlN2at6native12_GLOBAL__N_18offset_tEEE10hipError_tPvRmT1_PNSt15iterator_traitsIS12_E10value_typeET2_T3_PNS13_IS18_E10value_typeET4_jRbjT5_S1E_jjP12ihipStream_tbEUljE_ZNSN_ISO_Lb1ESQ_SR_ST_SU_SY_EESZ_S10_S11_S12_S16_S17_S18_S1B_S1C_jS1D_jS1E_S1E_jjS1G_bEUljE0_EEESZ_S10_S11_S18_S1C_S1E_T6_T7_T9_mT8_S1G_bDpT10_ENKUlT_T0_E_clISt17integral_constantIbLb0EES1T_IbLb1EEEEDaS1P_S1Q_EUlS1P_E_NS1_11comp_targetILNS1_3genE4ELNS1_11target_archE910ELNS1_3gpuE8ELNS1_3repE0EEENS1_30default_config_static_selectorELNS0_4arch9wavefront6targetE0EEEvS12_
                                        ; -- End function
	.section	.AMDGPU.csdata,"",@progbits
; Kernel info:
; codeLenInByte = 0
; NumSgprs: 0
; NumVgprs: 0
; ScratchSize: 0
; MemoryBound: 0
; FloatMode: 240
; IeeeMode: 1
; LDSByteSize: 0 bytes/workgroup (compile time only)
; SGPRBlocks: 0
; VGPRBlocks: 0
; NumSGPRsForWavesPerEU: 1
; NumVGPRsForWavesPerEU: 1
; Occupancy: 16
; WaveLimiterHint : 0
; COMPUTE_PGM_RSRC2:SCRATCH_EN: 0
; COMPUTE_PGM_RSRC2:USER_SGPR: 15
; COMPUTE_PGM_RSRC2:TRAP_HANDLER: 0
; COMPUTE_PGM_RSRC2:TGID_X_EN: 1
; COMPUTE_PGM_RSRC2:TGID_Y_EN: 0
; COMPUTE_PGM_RSRC2:TGID_Z_EN: 0
; COMPUTE_PGM_RSRC2:TIDIG_COMP_CNT: 0
	.section	.text._ZN7rocprim17ROCPRIM_400000_NS6detail17trampoline_kernelINS0_13select_configILj256ELj13ELNS0_17block_load_methodE3ELS4_3ELS4_3ELNS0_20block_scan_algorithmE0ELj4294967295EEENS1_25partition_config_selectorILNS1_17partition_subalgoE4EjNS0_10empty_typeEbEEZZNS1_14partition_implILS8_4ELb0ES6_15HIP_vector_typeIjLj2EENS0_17counting_iteratorIjlEEPS9_SG_NS0_5tupleIJPjSI_NS0_16reverse_iteratorISI_EEEEENSH_IJSG_SG_SG_EEES9_SI_JZNS1_25segmented_radix_sort_implINS0_14default_configELb1EPKdPdPKlPlN2at6native12_GLOBAL__N_18offset_tEEE10hipError_tPvRmT1_PNSt15iterator_traitsIS12_E10value_typeET2_T3_PNS13_IS18_E10value_typeET4_jRbjT5_S1E_jjP12ihipStream_tbEUljE_ZNSN_ISO_Lb1ESQ_SR_ST_SU_SY_EESZ_S10_S11_S12_S16_S17_S18_S1B_S1C_jS1D_jS1E_S1E_jjS1G_bEUljE0_EEESZ_S10_S11_S18_S1C_S1E_T6_T7_T9_mT8_S1G_bDpT10_ENKUlT_T0_E_clISt17integral_constantIbLb0EES1T_IbLb1EEEEDaS1P_S1Q_EUlS1P_E_NS1_11comp_targetILNS1_3genE3ELNS1_11target_archE908ELNS1_3gpuE7ELNS1_3repE0EEENS1_30default_config_static_selectorELNS0_4arch9wavefront6targetE0EEEvS12_,"axG",@progbits,_ZN7rocprim17ROCPRIM_400000_NS6detail17trampoline_kernelINS0_13select_configILj256ELj13ELNS0_17block_load_methodE3ELS4_3ELS4_3ELNS0_20block_scan_algorithmE0ELj4294967295EEENS1_25partition_config_selectorILNS1_17partition_subalgoE4EjNS0_10empty_typeEbEEZZNS1_14partition_implILS8_4ELb0ES6_15HIP_vector_typeIjLj2EENS0_17counting_iteratorIjlEEPS9_SG_NS0_5tupleIJPjSI_NS0_16reverse_iteratorISI_EEEEENSH_IJSG_SG_SG_EEES9_SI_JZNS1_25segmented_radix_sort_implINS0_14default_configELb1EPKdPdPKlPlN2at6native12_GLOBAL__N_18offset_tEEE10hipError_tPvRmT1_PNSt15iterator_traitsIS12_E10value_typeET2_T3_PNS13_IS18_E10value_typeET4_jRbjT5_S1E_jjP12ihipStream_tbEUljE_ZNSN_ISO_Lb1ESQ_SR_ST_SU_SY_EESZ_S10_S11_S12_S16_S17_S18_S1B_S1C_jS1D_jS1E_S1E_jjS1G_bEUljE0_EEESZ_S10_S11_S18_S1C_S1E_T6_T7_T9_mT8_S1G_bDpT10_ENKUlT_T0_E_clISt17integral_constantIbLb0EES1T_IbLb1EEEEDaS1P_S1Q_EUlS1P_E_NS1_11comp_targetILNS1_3genE3ELNS1_11target_archE908ELNS1_3gpuE7ELNS1_3repE0EEENS1_30default_config_static_selectorELNS0_4arch9wavefront6targetE0EEEvS12_,comdat
	.globl	_ZN7rocprim17ROCPRIM_400000_NS6detail17trampoline_kernelINS0_13select_configILj256ELj13ELNS0_17block_load_methodE3ELS4_3ELS4_3ELNS0_20block_scan_algorithmE0ELj4294967295EEENS1_25partition_config_selectorILNS1_17partition_subalgoE4EjNS0_10empty_typeEbEEZZNS1_14partition_implILS8_4ELb0ES6_15HIP_vector_typeIjLj2EENS0_17counting_iteratorIjlEEPS9_SG_NS0_5tupleIJPjSI_NS0_16reverse_iteratorISI_EEEEENSH_IJSG_SG_SG_EEES9_SI_JZNS1_25segmented_radix_sort_implINS0_14default_configELb1EPKdPdPKlPlN2at6native12_GLOBAL__N_18offset_tEEE10hipError_tPvRmT1_PNSt15iterator_traitsIS12_E10value_typeET2_T3_PNS13_IS18_E10value_typeET4_jRbjT5_S1E_jjP12ihipStream_tbEUljE_ZNSN_ISO_Lb1ESQ_SR_ST_SU_SY_EESZ_S10_S11_S12_S16_S17_S18_S1B_S1C_jS1D_jS1E_S1E_jjS1G_bEUljE0_EEESZ_S10_S11_S18_S1C_S1E_T6_T7_T9_mT8_S1G_bDpT10_ENKUlT_T0_E_clISt17integral_constantIbLb0EES1T_IbLb1EEEEDaS1P_S1Q_EUlS1P_E_NS1_11comp_targetILNS1_3genE3ELNS1_11target_archE908ELNS1_3gpuE7ELNS1_3repE0EEENS1_30default_config_static_selectorELNS0_4arch9wavefront6targetE0EEEvS12_ ; -- Begin function _ZN7rocprim17ROCPRIM_400000_NS6detail17trampoline_kernelINS0_13select_configILj256ELj13ELNS0_17block_load_methodE3ELS4_3ELS4_3ELNS0_20block_scan_algorithmE0ELj4294967295EEENS1_25partition_config_selectorILNS1_17partition_subalgoE4EjNS0_10empty_typeEbEEZZNS1_14partition_implILS8_4ELb0ES6_15HIP_vector_typeIjLj2EENS0_17counting_iteratorIjlEEPS9_SG_NS0_5tupleIJPjSI_NS0_16reverse_iteratorISI_EEEEENSH_IJSG_SG_SG_EEES9_SI_JZNS1_25segmented_radix_sort_implINS0_14default_configELb1EPKdPdPKlPlN2at6native12_GLOBAL__N_18offset_tEEE10hipError_tPvRmT1_PNSt15iterator_traitsIS12_E10value_typeET2_T3_PNS13_IS18_E10value_typeET4_jRbjT5_S1E_jjP12ihipStream_tbEUljE_ZNSN_ISO_Lb1ESQ_SR_ST_SU_SY_EESZ_S10_S11_S12_S16_S17_S18_S1B_S1C_jS1D_jS1E_S1E_jjS1G_bEUljE0_EEESZ_S10_S11_S18_S1C_S1E_T6_T7_T9_mT8_S1G_bDpT10_ENKUlT_T0_E_clISt17integral_constantIbLb0EES1T_IbLb1EEEEDaS1P_S1Q_EUlS1P_E_NS1_11comp_targetILNS1_3genE3ELNS1_11target_archE908ELNS1_3gpuE7ELNS1_3repE0EEENS1_30default_config_static_selectorELNS0_4arch9wavefront6targetE0EEEvS12_
	.p2align	8
	.type	_ZN7rocprim17ROCPRIM_400000_NS6detail17trampoline_kernelINS0_13select_configILj256ELj13ELNS0_17block_load_methodE3ELS4_3ELS4_3ELNS0_20block_scan_algorithmE0ELj4294967295EEENS1_25partition_config_selectorILNS1_17partition_subalgoE4EjNS0_10empty_typeEbEEZZNS1_14partition_implILS8_4ELb0ES6_15HIP_vector_typeIjLj2EENS0_17counting_iteratorIjlEEPS9_SG_NS0_5tupleIJPjSI_NS0_16reverse_iteratorISI_EEEEENSH_IJSG_SG_SG_EEES9_SI_JZNS1_25segmented_radix_sort_implINS0_14default_configELb1EPKdPdPKlPlN2at6native12_GLOBAL__N_18offset_tEEE10hipError_tPvRmT1_PNSt15iterator_traitsIS12_E10value_typeET2_T3_PNS13_IS18_E10value_typeET4_jRbjT5_S1E_jjP12ihipStream_tbEUljE_ZNSN_ISO_Lb1ESQ_SR_ST_SU_SY_EESZ_S10_S11_S12_S16_S17_S18_S1B_S1C_jS1D_jS1E_S1E_jjS1G_bEUljE0_EEESZ_S10_S11_S18_S1C_S1E_T6_T7_T9_mT8_S1G_bDpT10_ENKUlT_T0_E_clISt17integral_constantIbLb0EES1T_IbLb1EEEEDaS1P_S1Q_EUlS1P_E_NS1_11comp_targetILNS1_3genE3ELNS1_11target_archE908ELNS1_3gpuE7ELNS1_3repE0EEENS1_30default_config_static_selectorELNS0_4arch9wavefront6targetE0EEEvS12_,@function
_ZN7rocprim17ROCPRIM_400000_NS6detail17trampoline_kernelINS0_13select_configILj256ELj13ELNS0_17block_load_methodE3ELS4_3ELS4_3ELNS0_20block_scan_algorithmE0ELj4294967295EEENS1_25partition_config_selectorILNS1_17partition_subalgoE4EjNS0_10empty_typeEbEEZZNS1_14partition_implILS8_4ELb0ES6_15HIP_vector_typeIjLj2EENS0_17counting_iteratorIjlEEPS9_SG_NS0_5tupleIJPjSI_NS0_16reverse_iteratorISI_EEEEENSH_IJSG_SG_SG_EEES9_SI_JZNS1_25segmented_radix_sort_implINS0_14default_configELb1EPKdPdPKlPlN2at6native12_GLOBAL__N_18offset_tEEE10hipError_tPvRmT1_PNSt15iterator_traitsIS12_E10value_typeET2_T3_PNS13_IS18_E10value_typeET4_jRbjT5_S1E_jjP12ihipStream_tbEUljE_ZNSN_ISO_Lb1ESQ_SR_ST_SU_SY_EESZ_S10_S11_S12_S16_S17_S18_S1B_S1C_jS1D_jS1E_S1E_jjS1G_bEUljE0_EEESZ_S10_S11_S18_S1C_S1E_T6_T7_T9_mT8_S1G_bDpT10_ENKUlT_T0_E_clISt17integral_constantIbLb0EES1T_IbLb1EEEEDaS1P_S1Q_EUlS1P_E_NS1_11comp_targetILNS1_3genE3ELNS1_11target_archE908ELNS1_3gpuE7ELNS1_3repE0EEENS1_30default_config_static_selectorELNS0_4arch9wavefront6targetE0EEEvS12_: ; @_ZN7rocprim17ROCPRIM_400000_NS6detail17trampoline_kernelINS0_13select_configILj256ELj13ELNS0_17block_load_methodE3ELS4_3ELS4_3ELNS0_20block_scan_algorithmE0ELj4294967295EEENS1_25partition_config_selectorILNS1_17partition_subalgoE4EjNS0_10empty_typeEbEEZZNS1_14partition_implILS8_4ELb0ES6_15HIP_vector_typeIjLj2EENS0_17counting_iteratorIjlEEPS9_SG_NS0_5tupleIJPjSI_NS0_16reverse_iteratorISI_EEEEENSH_IJSG_SG_SG_EEES9_SI_JZNS1_25segmented_radix_sort_implINS0_14default_configELb1EPKdPdPKlPlN2at6native12_GLOBAL__N_18offset_tEEE10hipError_tPvRmT1_PNSt15iterator_traitsIS12_E10value_typeET2_T3_PNS13_IS18_E10value_typeET4_jRbjT5_S1E_jjP12ihipStream_tbEUljE_ZNSN_ISO_Lb1ESQ_SR_ST_SU_SY_EESZ_S10_S11_S12_S16_S17_S18_S1B_S1C_jS1D_jS1E_S1E_jjS1G_bEUljE0_EEESZ_S10_S11_S18_S1C_S1E_T6_T7_T9_mT8_S1G_bDpT10_ENKUlT_T0_E_clISt17integral_constantIbLb0EES1T_IbLb1EEEEDaS1P_S1Q_EUlS1P_E_NS1_11comp_targetILNS1_3genE3ELNS1_11target_archE908ELNS1_3gpuE7ELNS1_3repE0EEENS1_30default_config_static_selectorELNS0_4arch9wavefront6targetE0EEEvS12_
; %bb.0:
	.section	.rodata,"a",@progbits
	.p2align	6, 0x0
	.amdhsa_kernel _ZN7rocprim17ROCPRIM_400000_NS6detail17trampoline_kernelINS0_13select_configILj256ELj13ELNS0_17block_load_methodE3ELS4_3ELS4_3ELNS0_20block_scan_algorithmE0ELj4294967295EEENS1_25partition_config_selectorILNS1_17partition_subalgoE4EjNS0_10empty_typeEbEEZZNS1_14partition_implILS8_4ELb0ES6_15HIP_vector_typeIjLj2EENS0_17counting_iteratorIjlEEPS9_SG_NS0_5tupleIJPjSI_NS0_16reverse_iteratorISI_EEEEENSH_IJSG_SG_SG_EEES9_SI_JZNS1_25segmented_radix_sort_implINS0_14default_configELb1EPKdPdPKlPlN2at6native12_GLOBAL__N_18offset_tEEE10hipError_tPvRmT1_PNSt15iterator_traitsIS12_E10value_typeET2_T3_PNS13_IS18_E10value_typeET4_jRbjT5_S1E_jjP12ihipStream_tbEUljE_ZNSN_ISO_Lb1ESQ_SR_ST_SU_SY_EESZ_S10_S11_S12_S16_S17_S18_S1B_S1C_jS1D_jS1E_S1E_jjS1G_bEUljE0_EEESZ_S10_S11_S18_S1C_S1E_T6_T7_T9_mT8_S1G_bDpT10_ENKUlT_T0_E_clISt17integral_constantIbLb0EES1T_IbLb1EEEEDaS1P_S1Q_EUlS1P_E_NS1_11comp_targetILNS1_3genE3ELNS1_11target_archE908ELNS1_3gpuE7ELNS1_3repE0EEENS1_30default_config_static_selectorELNS0_4arch9wavefront6targetE0EEEvS12_
		.amdhsa_group_segment_fixed_size 0
		.amdhsa_private_segment_fixed_size 0
		.amdhsa_kernarg_size 184
		.amdhsa_user_sgpr_count 15
		.amdhsa_user_sgpr_dispatch_ptr 0
		.amdhsa_user_sgpr_queue_ptr 0
		.amdhsa_user_sgpr_kernarg_segment_ptr 1
		.amdhsa_user_sgpr_dispatch_id 0
		.amdhsa_user_sgpr_private_segment_size 0
		.amdhsa_wavefront_size32 1
		.amdhsa_uses_dynamic_stack 0
		.amdhsa_enable_private_segment 0
		.amdhsa_system_sgpr_workgroup_id_x 1
		.amdhsa_system_sgpr_workgroup_id_y 0
		.amdhsa_system_sgpr_workgroup_id_z 0
		.amdhsa_system_sgpr_workgroup_info 0
		.amdhsa_system_vgpr_workitem_id 0
		.amdhsa_next_free_vgpr 1
		.amdhsa_next_free_sgpr 1
		.amdhsa_reserve_vcc 0
		.amdhsa_float_round_mode_32 0
		.amdhsa_float_round_mode_16_64 0
		.amdhsa_float_denorm_mode_32 3
		.amdhsa_float_denorm_mode_16_64 3
		.amdhsa_dx10_clamp 1
		.amdhsa_ieee_mode 1
		.amdhsa_fp16_overflow 0
		.amdhsa_workgroup_processor_mode 1
		.amdhsa_memory_ordered 1
		.amdhsa_forward_progress 0
		.amdhsa_shared_vgpr_count 0
		.amdhsa_exception_fp_ieee_invalid_op 0
		.amdhsa_exception_fp_denorm_src 0
		.amdhsa_exception_fp_ieee_div_zero 0
		.amdhsa_exception_fp_ieee_overflow 0
		.amdhsa_exception_fp_ieee_underflow 0
		.amdhsa_exception_fp_ieee_inexact 0
		.amdhsa_exception_int_div_zero 0
	.end_amdhsa_kernel
	.section	.text._ZN7rocprim17ROCPRIM_400000_NS6detail17trampoline_kernelINS0_13select_configILj256ELj13ELNS0_17block_load_methodE3ELS4_3ELS4_3ELNS0_20block_scan_algorithmE0ELj4294967295EEENS1_25partition_config_selectorILNS1_17partition_subalgoE4EjNS0_10empty_typeEbEEZZNS1_14partition_implILS8_4ELb0ES6_15HIP_vector_typeIjLj2EENS0_17counting_iteratorIjlEEPS9_SG_NS0_5tupleIJPjSI_NS0_16reverse_iteratorISI_EEEEENSH_IJSG_SG_SG_EEES9_SI_JZNS1_25segmented_radix_sort_implINS0_14default_configELb1EPKdPdPKlPlN2at6native12_GLOBAL__N_18offset_tEEE10hipError_tPvRmT1_PNSt15iterator_traitsIS12_E10value_typeET2_T3_PNS13_IS18_E10value_typeET4_jRbjT5_S1E_jjP12ihipStream_tbEUljE_ZNSN_ISO_Lb1ESQ_SR_ST_SU_SY_EESZ_S10_S11_S12_S16_S17_S18_S1B_S1C_jS1D_jS1E_S1E_jjS1G_bEUljE0_EEESZ_S10_S11_S18_S1C_S1E_T6_T7_T9_mT8_S1G_bDpT10_ENKUlT_T0_E_clISt17integral_constantIbLb0EES1T_IbLb1EEEEDaS1P_S1Q_EUlS1P_E_NS1_11comp_targetILNS1_3genE3ELNS1_11target_archE908ELNS1_3gpuE7ELNS1_3repE0EEENS1_30default_config_static_selectorELNS0_4arch9wavefront6targetE0EEEvS12_,"axG",@progbits,_ZN7rocprim17ROCPRIM_400000_NS6detail17trampoline_kernelINS0_13select_configILj256ELj13ELNS0_17block_load_methodE3ELS4_3ELS4_3ELNS0_20block_scan_algorithmE0ELj4294967295EEENS1_25partition_config_selectorILNS1_17partition_subalgoE4EjNS0_10empty_typeEbEEZZNS1_14partition_implILS8_4ELb0ES6_15HIP_vector_typeIjLj2EENS0_17counting_iteratorIjlEEPS9_SG_NS0_5tupleIJPjSI_NS0_16reverse_iteratorISI_EEEEENSH_IJSG_SG_SG_EEES9_SI_JZNS1_25segmented_radix_sort_implINS0_14default_configELb1EPKdPdPKlPlN2at6native12_GLOBAL__N_18offset_tEEE10hipError_tPvRmT1_PNSt15iterator_traitsIS12_E10value_typeET2_T3_PNS13_IS18_E10value_typeET4_jRbjT5_S1E_jjP12ihipStream_tbEUljE_ZNSN_ISO_Lb1ESQ_SR_ST_SU_SY_EESZ_S10_S11_S12_S16_S17_S18_S1B_S1C_jS1D_jS1E_S1E_jjS1G_bEUljE0_EEESZ_S10_S11_S18_S1C_S1E_T6_T7_T9_mT8_S1G_bDpT10_ENKUlT_T0_E_clISt17integral_constantIbLb0EES1T_IbLb1EEEEDaS1P_S1Q_EUlS1P_E_NS1_11comp_targetILNS1_3genE3ELNS1_11target_archE908ELNS1_3gpuE7ELNS1_3repE0EEENS1_30default_config_static_selectorELNS0_4arch9wavefront6targetE0EEEvS12_,comdat
.Lfunc_end1081:
	.size	_ZN7rocprim17ROCPRIM_400000_NS6detail17trampoline_kernelINS0_13select_configILj256ELj13ELNS0_17block_load_methodE3ELS4_3ELS4_3ELNS0_20block_scan_algorithmE0ELj4294967295EEENS1_25partition_config_selectorILNS1_17partition_subalgoE4EjNS0_10empty_typeEbEEZZNS1_14partition_implILS8_4ELb0ES6_15HIP_vector_typeIjLj2EENS0_17counting_iteratorIjlEEPS9_SG_NS0_5tupleIJPjSI_NS0_16reverse_iteratorISI_EEEEENSH_IJSG_SG_SG_EEES9_SI_JZNS1_25segmented_radix_sort_implINS0_14default_configELb1EPKdPdPKlPlN2at6native12_GLOBAL__N_18offset_tEEE10hipError_tPvRmT1_PNSt15iterator_traitsIS12_E10value_typeET2_T3_PNS13_IS18_E10value_typeET4_jRbjT5_S1E_jjP12ihipStream_tbEUljE_ZNSN_ISO_Lb1ESQ_SR_ST_SU_SY_EESZ_S10_S11_S12_S16_S17_S18_S1B_S1C_jS1D_jS1E_S1E_jjS1G_bEUljE0_EEESZ_S10_S11_S18_S1C_S1E_T6_T7_T9_mT8_S1G_bDpT10_ENKUlT_T0_E_clISt17integral_constantIbLb0EES1T_IbLb1EEEEDaS1P_S1Q_EUlS1P_E_NS1_11comp_targetILNS1_3genE3ELNS1_11target_archE908ELNS1_3gpuE7ELNS1_3repE0EEENS1_30default_config_static_selectorELNS0_4arch9wavefront6targetE0EEEvS12_, .Lfunc_end1081-_ZN7rocprim17ROCPRIM_400000_NS6detail17trampoline_kernelINS0_13select_configILj256ELj13ELNS0_17block_load_methodE3ELS4_3ELS4_3ELNS0_20block_scan_algorithmE0ELj4294967295EEENS1_25partition_config_selectorILNS1_17partition_subalgoE4EjNS0_10empty_typeEbEEZZNS1_14partition_implILS8_4ELb0ES6_15HIP_vector_typeIjLj2EENS0_17counting_iteratorIjlEEPS9_SG_NS0_5tupleIJPjSI_NS0_16reverse_iteratorISI_EEEEENSH_IJSG_SG_SG_EEES9_SI_JZNS1_25segmented_radix_sort_implINS0_14default_configELb1EPKdPdPKlPlN2at6native12_GLOBAL__N_18offset_tEEE10hipError_tPvRmT1_PNSt15iterator_traitsIS12_E10value_typeET2_T3_PNS13_IS18_E10value_typeET4_jRbjT5_S1E_jjP12ihipStream_tbEUljE_ZNSN_ISO_Lb1ESQ_SR_ST_SU_SY_EESZ_S10_S11_S12_S16_S17_S18_S1B_S1C_jS1D_jS1E_S1E_jjS1G_bEUljE0_EEESZ_S10_S11_S18_S1C_S1E_T6_T7_T9_mT8_S1G_bDpT10_ENKUlT_T0_E_clISt17integral_constantIbLb0EES1T_IbLb1EEEEDaS1P_S1Q_EUlS1P_E_NS1_11comp_targetILNS1_3genE3ELNS1_11target_archE908ELNS1_3gpuE7ELNS1_3repE0EEENS1_30default_config_static_selectorELNS0_4arch9wavefront6targetE0EEEvS12_
                                        ; -- End function
	.section	.AMDGPU.csdata,"",@progbits
; Kernel info:
; codeLenInByte = 0
; NumSgprs: 0
; NumVgprs: 0
; ScratchSize: 0
; MemoryBound: 0
; FloatMode: 240
; IeeeMode: 1
; LDSByteSize: 0 bytes/workgroup (compile time only)
; SGPRBlocks: 0
; VGPRBlocks: 0
; NumSGPRsForWavesPerEU: 1
; NumVGPRsForWavesPerEU: 1
; Occupancy: 16
; WaveLimiterHint : 0
; COMPUTE_PGM_RSRC2:SCRATCH_EN: 0
; COMPUTE_PGM_RSRC2:USER_SGPR: 15
; COMPUTE_PGM_RSRC2:TRAP_HANDLER: 0
; COMPUTE_PGM_RSRC2:TGID_X_EN: 1
; COMPUTE_PGM_RSRC2:TGID_Y_EN: 0
; COMPUTE_PGM_RSRC2:TGID_Z_EN: 0
; COMPUTE_PGM_RSRC2:TIDIG_COMP_CNT: 0
	.section	.text._ZN7rocprim17ROCPRIM_400000_NS6detail17trampoline_kernelINS0_13select_configILj256ELj13ELNS0_17block_load_methodE3ELS4_3ELS4_3ELNS0_20block_scan_algorithmE0ELj4294967295EEENS1_25partition_config_selectorILNS1_17partition_subalgoE4EjNS0_10empty_typeEbEEZZNS1_14partition_implILS8_4ELb0ES6_15HIP_vector_typeIjLj2EENS0_17counting_iteratorIjlEEPS9_SG_NS0_5tupleIJPjSI_NS0_16reverse_iteratorISI_EEEEENSH_IJSG_SG_SG_EEES9_SI_JZNS1_25segmented_radix_sort_implINS0_14default_configELb1EPKdPdPKlPlN2at6native12_GLOBAL__N_18offset_tEEE10hipError_tPvRmT1_PNSt15iterator_traitsIS12_E10value_typeET2_T3_PNS13_IS18_E10value_typeET4_jRbjT5_S1E_jjP12ihipStream_tbEUljE_ZNSN_ISO_Lb1ESQ_SR_ST_SU_SY_EESZ_S10_S11_S12_S16_S17_S18_S1B_S1C_jS1D_jS1E_S1E_jjS1G_bEUljE0_EEESZ_S10_S11_S18_S1C_S1E_T6_T7_T9_mT8_S1G_bDpT10_ENKUlT_T0_E_clISt17integral_constantIbLb0EES1T_IbLb1EEEEDaS1P_S1Q_EUlS1P_E_NS1_11comp_targetILNS1_3genE2ELNS1_11target_archE906ELNS1_3gpuE6ELNS1_3repE0EEENS1_30default_config_static_selectorELNS0_4arch9wavefront6targetE0EEEvS12_,"axG",@progbits,_ZN7rocprim17ROCPRIM_400000_NS6detail17trampoline_kernelINS0_13select_configILj256ELj13ELNS0_17block_load_methodE3ELS4_3ELS4_3ELNS0_20block_scan_algorithmE0ELj4294967295EEENS1_25partition_config_selectorILNS1_17partition_subalgoE4EjNS0_10empty_typeEbEEZZNS1_14partition_implILS8_4ELb0ES6_15HIP_vector_typeIjLj2EENS0_17counting_iteratorIjlEEPS9_SG_NS0_5tupleIJPjSI_NS0_16reverse_iteratorISI_EEEEENSH_IJSG_SG_SG_EEES9_SI_JZNS1_25segmented_radix_sort_implINS0_14default_configELb1EPKdPdPKlPlN2at6native12_GLOBAL__N_18offset_tEEE10hipError_tPvRmT1_PNSt15iterator_traitsIS12_E10value_typeET2_T3_PNS13_IS18_E10value_typeET4_jRbjT5_S1E_jjP12ihipStream_tbEUljE_ZNSN_ISO_Lb1ESQ_SR_ST_SU_SY_EESZ_S10_S11_S12_S16_S17_S18_S1B_S1C_jS1D_jS1E_S1E_jjS1G_bEUljE0_EEESZ_S10_S11_S18_S1C_S1E_T6_T7_T9_mT8_S1G_bDpT10_ENKUlT_T0_E_clISt17integral_constantIbLb0EES1T_IbLb1EEEEDaS1P_S1Q_EUlS1P_E_NS1_11comp_targetILNS1_3genE2ELNS1_11target_archE906ELNS1_3gpuE6ELNS1_3repE0EEENS1_30default_config_static_selectorELNS0_4arch9wavefront6targetE0EEEvS12_,comdat
	.globl	_ZN7rocprim17ROCPRIM_400000_NS6detail17trampoline_kernelINS0_13select_configILj256ELj13ELNS0_17block_load_methodE3ELS4_3ELS4_3ELNS0_20block_scan_algorithmE0ELj4294967295EEENS1_25partition_config_selectorILNS1_17partition_subalgoE4EjNS0_10empty_typeEbEEZZNS1_14partition_implILS8_4ELb0ES6_15HIP_vector_typeIjLj2EENS0_17counting_iteratorIjlEEPS9_SG_NS0_5tupleIJPjSI_NS0_16reverse_iteratorISI_EEEEENSH_IJSG_SG_SG_EEES9_SI_JZNS1_25segmented_radix_sort_implINS0_14default_configELb1EPKdPdPKlPlN2at6native12_GLOBAL__N_18offset_tEEE10hipError_tPvRmT1_PNSt15iterator_traitsIS12_E10value_typeET2_T3_PNS13_IS18_E10value_typeET4_jRbjT5_S1E_jjP12ihipStream_tbEUljE_ZNSN_ISO_Lb1ESQ_SR_ST_SU_SY_EESZ_S10_S11_S12_S16_S17_S18_S1B_S1C_jS1D_jS1E_S1E_jjS1G_bEUljE0_EEESZ_S10_S11_S18_S1C_S1E_T6_T7_T9_mT8_S1G_bDpT10_ENKUlT_T0_E_clISt17integral_constantIbLb0EES1T_IbLb1EEEEDaS1P_S1Q_EUlS1P_E_NS1_11comp_targetILNS1_3genE2ELNS1_11target_archE906ELNS1_3gpuE6ELNS1_3repE0EEENS1_30default_config_static_selectorELNS0_4arch9wavefront6targetE0EEEvS12_ ; -- Begin function _ZN7rocprim17ROCPRIM_400000_NS6detail17trampoline_kernelINS0_13select_configILj256ELj13ELNS0_17block_load_methodE3ELS4_3ELS4_3ELNS0_20block_scan_algorithmE0ELj4294967295EEENS1_25partition_config_selectorILNS1_17partition_subalgoE4EjNS0_10empty_typeEbEEZZNS1_14partition_implILS8_4ELb0ES6_15HIP_vector_typeIjLj2EENS0_17counting_iteratorIjlEEPS9_SG_NS0_5tupleIJPjSI_NS0_16reverse_iteratorISI_EEEEENSH_IJSG_SG_SG_EEES9_SI_JZNS1_25segmented_radix_sort_implINS0_14default_configELb1EPKdPdPKlPlN2at6native12_GLOBAL__N_18offset_tEEE10hipError_tPvRmT1_PNSt15iterator_traitsIS12_E10value_typeET2_T3_PNS13_IS18_E10value_typeET4_jRbjT5_S1E_jjP12ihipStream_tbEUljE_ZNSN_ISO_Lb1ESQ_SR_ST_SU_SY_EESZ_S10_S11_S12_S16_S17_S18_S1B_S1C_jS1D_jS1E_S1E_jjS1G_bEUljE0_EEESZ_S10_S11_S18_S1C_S1E_T6_T7_T9_mT8_S1G_bDpT10_ENKUlT_T0_E_clISt17integral_constantIbLb0EES1T_IbLb1EEEEDaS1P_S1Q_EUlS1P_E_NS1_11comp_targetILNS1_3genE2ELNS1_11target_archE906ELNS1_3gpuE6ELNS1_3repE0EEENS1_30default_config_static_selectorELNS0_4arch9wavefront6targetE0EEEvS12_
	.p2align	8
	.type	_ZN7rocprim17ROCPRIM_400000_NS6detail17trampoline_kernelINS0_13select_configILj256ELj13ELNS0_17block_load_methodE3ELS4_3ELS4_3ELNS0_20block_scan_algorithmE0ELj4294967295EEENS1_25partition_config_selectorILNS1_17partition_subalgoE4EjNS0_10empty_typeEbEEZZNS1_14partition_implILS8_4ELb0ES6_15HIP_vector_typeIjLj2EENS0_17counting_iteratorIjlEEPS9_SG_NS0_5tupleIJPjSI_NS0_16reverse_iteratorISI_EEEEENSH_IJSG_SG_SG_EEES9_SI_JZNS1_25segmented_radix_sort_implINS0_14default_configELb1EPKdPdPKlPlN2at6native12_GLOBAL__N_18offset_tEEE10hipError_tPvRmT1_PNSt15iterator_traitsIS12_E10value_typeET2_T3_PNS13_IS18_E10value_typeET4_jRbjT5_S1E_jjP12ihipStream_tbEUljE_ZNSN_ISO_Lb1ESQ_SR_ST_SU_SY_EESZ_S10_S11_S12_S16_S17_S18_S1B_S1C_jS1D_jS1E_S1E_jjS1G_bEUljE0_EEESZ_S10_S11_S18_S1C_S1E_T6_T7_T9_mT8_S1G_bDpT10_ENKUlT_T0_E_clISt17integral_constantIbLb0EES1T_IbLb1EEEEDaS1P_S1Q_EUlS1P_E_NS1_11comp_targetILNS1_3genE2ELNS1_11target_archE906ELNS1_3gpuE6ELNS1_3repE0EEENS1_30default_config_static_selectorELNS0_4arch9wavefront6targetE0EEEvS12_,@function
_ZN7rocprim17ROCPRIM_400000_NS6detail17trampoline_kernelINS0_13select_configILj256ELj13ELNS0_17block_load_methodE3ELS4_3ELS4_3ELNS0_20block_scan_algorithmE0ELj4294967295EEENS1_25partition_config_selectorILNS1_17partition_subalgoE4EjNS0_10empty_typeEbEEZZNS1_14partition_implILS8_4ELb0ES6_15HIP_vector_typeIjLj2EENS0_17counting_iteratorIjlEEPS9_SG_NS0_5tupleIJPjSI_NS0_16reverse_iteratorISI_EEEEENSH_IJSG_SG_SG_EEES9_SI_JZNS1_25segmented_radix_sort_implINS0_14default_configELb1EPKdPdPKlPlN2at6native12_GLOBAL__N_18offset_tEEE10hipError_tPvRmT1_PNSt15iterator_traitsIS12_E10value_typeET2_T3_PNS13_IS18_E10value_typeET4_jRbjT5_S1E_jjP12ihipStream_tbEUljE_ZNSN_ISO_Lb1ESQ_SR_ST_SU_SY_EESZ_S10_S11_S12_S16_S17_S18_S1B_S1C_jS1D_jS1E_S1E_jjS1G_bEUljE0_EEESZ_S10_S11_S18_S1C_S1E_T6_T7_T9_mT8_S1G_bDpT10_ENKUlT_T0_E_clISt17integral_constantIbLb0EES1T_IbLb1EEEEDaS1P_S1Q_EUlS1P_E_NS1_11comp_targetILNS1_3genE2ELNS1_11target_archE906ELNS1_3gpuE6ELNS1_3repE0EEENS1_30default_config_static_selectorELNS0_4arch9wavefront6targetE0EEEvS12_: ; @_ZN7rocprim17ROCPRIM_400000_NS6detail17trampoline_kernelINS0_13select_configILj256ELj13ELNS0_17block_load_methodE3ELS4_3ELS4_3ELNS0_20block_scan_algorithmE0ELj4294967295EEENS1_25partition_config_selectorILNS1_17partition_subalgoE4EjNS0_10empty_typeEbEEZZNS1_14partition_implILS8_4ELb0ES6_15HIP_vector_typeIjLj2EENS0_17counting_iteratorIjlEEPS9_SG_NS0_5tupleIJPjSI_NS0_16reverse_iteratorISI_EEEEENSH_IJSG_SG_SG_EEES9_SI_JZNS1_25segmented_radix_sort_implINS0_14default_configELb1EPKdPdPKlPlN2at6native12_GLOBAL__N_18offset_tEEE10hipError_tPvRmT1_PNSt15iterator_traitsIS12_E10value_typeET2_T3_PNS13_IS18_E10value_typeET4_jRbjT5_S1E_jjP12ihipStream_tbEUljE_ZNSN_ISO_Lb1ESQ_SR_ST_SU_SY_EESZ_S10_S11_S12_S16_S17_S18_S1B_S1C_jS1D_jS1E_S1E_jjS1G_bEUljE0_EEESZ_S10_S11_S18_S1C_S1E_T6_T7_T9_mT8_S1G_bDpT10_ENKUlT_T0_E_clISt17integral_constantIbLb0EES1T_IbLb1EEEEDaS1P_S1Q_EUlS1P_E_NS1_11comp_targetILNS1_3genE2ELNS1_11target_archE906ELNS1_3gpuE6ELNS1_3repE0EEENS1_30default_config_static_selectorELNS0_4arch9wavefront6targetE0EEEvS12_
; %bb.0:
	.section	.rodata,"a",@progbits
	.p2align	6, 0x0
	.amdhsa_kernel _ZN7rocprim17ROCPRIM_400000_NS6detail17trampoline_kernelINS0_13select_configILj256ELj13ELNS0_17block_load_methodE3ELS4_3ELS4_3ELNS0_20block_scan_algorithmE0ELj4294967295EEENS1_25partition_config_selectorILNS1_17partition_subalgoE4EjNS0_10empty_typeEbEEZZNS1_14partition_implILS8_4ELb0ES6_15HIP_vector_typeIjLj2EENS0_17counting_iteratorIjlEEPS9_SG_NS0_5tupleIJPjSI_NS0_16reverse_iteratorISI_EEEEENSH_IJSG_SG_SG_EEES9_SI_JZNS1_25segmented_radix_sort_implINS0_14default_configELb1EPKdPdPKlPlN2at6native12_GLOBAL__N_18offset_tEEE10hipError_tPvRmT1_PNSt15iterator_traitsIS12_E10value_typeET2_T3_PNS13_IS18_E10value_typeET4_jRbjT5_S1E_jjP12ihipStream_tbEUljE_ZNSN_ISO_Lb1ESQ_SR_ST_SU_SY_EESZ_S10_S11_S12_S16_S17_S18_S1B_S1C_jS1D_jS1E_S1E_jjS1G_bEUljE0_EEESZ_S10_S11_S18_S1C_S1E_T6_T7_T9_mT8_S1G_bDpT10_ENKUlT_T0_E_clISt17integral_constantIbLb0EES1T_IbLb1EEEEDaS1P_S1Q_EUlS1P_E_NS1_11comp_targetILNS1_3genE2ELNS1_11target_archE906ELNS1_3gpuE6ELNS1_3repE0EEENS1_30default_config_static_selectorELNS0_4arch9wavefront6targetE0EEEvS12_
		.amdhsa_group_segment_fixed_size 0
		.amdhsa_private_segment_fixed_size 0
		.amdhsa_kernarg_size 184
		.amdhsa_user_sgpr_count 15
		.amdhsa_user_sgpr_dispatch_ptr 0
		.amdhsa_user_sgpr_queue_ptr 0
		.amdhsa_user_sgpr_kernarg_segment_ptr 1
		.amdhsa_user_sgpr_dispatch_id 0
		.amdhsa_user_sgpr_private_segment_size 0
		.amdhsa_wavefront_size32 1
		.amdhsa_uses_dynamic_stack 0
		.amdhsa_enable_private_segment 0
		.amdhsa_system_sgpr_workgroup_id_x 1
		.amdhsa_system_sgpr_workgroup_id_y 0
		.amdhsa_system_sgpr_workgroup_id_z 0
		.amdhsa_system_sgpr_workgroup_info 0
		.amdhsa_system_vgpr_workitem_id 0
		.amdhsa_next_free_vgpr 1
		.amdhsa_next_free_sgpr 1
		.amdhsa_reserve_vcc 0
		.amdhsa_float_round_mode_32 0
		.amdhsa_float_round_mode_16_64 0
		.amdhsa_float_denorm_mode_32 3
		.amdhsa_float_denorm_mode_16_64 3
		.amdhsa_dx10_clamp 1
		.amdhsa_ieee_mode 1
		.amdhsa_fp16_overflow 0
		.amdhsa_workgroup_processor_mode 1
		.amdhsa_memory_ordered 1
		.amdhsa_forward_progress 0
		.amdhsa_shared_vgpr_count 0
		.amdhsa_exception_fp_ieee_invalid_op 0
		.amdhsa_exception_fp_denorm_src 0
		.amdhsa_exception_fp_ieee_div_zero 0
		.amdhsa_exception_fp_ieee_overflow 0
		.amdhsa_exception_fp_ieee_underflow 0
		.amdhsa_exception_fp_ieee_inexact 0
		.amdhsa_exception_int_div_zero 0
	.end_amdhsa_kernel
	.section	.text._ZN7rocprim17ROCPRIM_400000_NS6detail17trampoline_kernelINS0_13select_configILj256ELj13ELNS0_17block_load_methodE3ELS4_3ELS4_3ELNS0_20block_scan_algorithmE0ELj4294967295EEENS1_25partition_config_selectorILNS1_17partition_subalgoE4EjNS0_10empty_typeEbEEZZNS1_14partition_implILS8_4ELb0ES6_15HIP_vector_typeIjLj2EENS0_17counting_iteratorIjlEEPS9_SG_NS0_5tupleIJPjSI_NS0_16reverse_iteratorISI_EEEEENSH_IJSG_SG_SG_EEES9_SI_JZNS1_25segmented_radix_sort_implINS0_14default_configELb1EPKdPdPKlPlN2at6native12_GLOBAL__N_18offset_tEEE10hipError_tPvRmT1_PNSt15iterator_traitsIS12_E10value_typeET2_T3_PNS13_IS18_E10value_typeET4_jRbjT5_S1E_jjP12ihipStream_tbEUljE_ZNSN_ISO_Lb1ESQ_SR_ST_SU_SY_EESZ_S10_S11_S12_S16_S17_S18_S1B_S1C_jS1D_jS1E_S1E_jjS1G_bEUljE0_EEESZ_S10_S11_S18_S1C_S1E_T6_T7_T9_mT8_S1G_bDpT10_ENKUlT_T0_E_clISt17integral_constantIbLb0EES1T_IbLb1EEEEDaS1P_S1Q_EUlS1P_E_NS1_11comp_targetILNS1_3genE2ELNS1_11target_archE906ELNS1_3gpuE6ELNS1_3repE0EEENS1_30default_config_static_selectorELNS0_4arch9wavefront6targetE0EEEvS12_,"axG",@progbits,_ZN7rocprim17ROCPRIM_400000_NS6detail17trampoline_kernelINS0_13select_configILj256ELj13ELNS0_17block_load_methodE3ELS4_3ELS4_3ELNS0_20block_scan_algorithmE0ELj4294967295EEENS1_25partition_config_selectorILNS1_17partition_subalgoE4EjNS0_10empty_typeEbEEZZNS1_14partition_implILS8_4ELb0ES6_15HIP_vector_typeIjLj2EENS0_17counting_iteratorIjlEEPS9_SG_NS0_5tupleIJPjSI_NS0_16reverse_iteratorISI_EEEEENSH_IJSG_SG_SG_EEES9_SI_JZNS1_25segmented_radix_sort_implINS0_14default_configELb1EPKdPdPKlPlN2at6native12_GLOBAL__N_18offset_tEEE10hipError_tPvRmT1_PNSt15iterator_traitsIS12_E10value_typeET2_T3_PNS13_IS18_E10value_typeET4_jRbjT5_S1E_jjP12ihipStream_tbEUljE_ZNSN_ISO_Lb1ESQ_SR_ST_SU_SY_EESZ_S10_S11_S12_S16_S17_S18_S1B_S1C_jS1D_jS1E_S1E_jjS1G_bEUljE0_EEESZ_S10_S11_S18_S1C_S1E_T6_T7_T9_mT8_S1G_bDpT10_ENKUlT_T0_E_clISt17integral_constantIbLb0EES1T_IbLb1EEEEDaS1P_S1Q_EUlS1P_E_NS1_11comp_targetILNS1_3genE2ELNS1_11target_archE906ELNS1_3gpuE6ELNS1_3repE0EEENS1_30default_config_static_selectorELNS0_4arch9wavefront6targetE0EEEvS12_,comdat
.Lfunc_end1082:
	.size	_ZN7rocprim17ROCPRIM_400000_NS6detail17trampoline_kernelINS0_13select_configILj256ELj13ELNS0_17block_load_methodE3ELS4_3ELS4_3ELNS0_20block_scan_algorithmE0ELj4294967295EEENS1_25partition_config_selectorILNS1_17partition_subalgoE4EjNS0_10empty_typeEbEEZZNS1_14partition_implILS8_4ELb0ES6_15HIP_vector_typeIjLj2EENS0_17counting_iteratorIjlEEPS9_SG_NS0_5tupleIJPjSI_NS0_16reverse_iteratorISI_EEEEENSH_IJSG_SG_SG_EEES9_SI_JZNS1_25segmented_radix_sort_implINS0_14default_configELb1EPKdPdPKlPlN2at6native12_GLOBAL__N_18offset_tEEE10hipError_tPvRmT1_PNSt15iterator_traitsIS12_E10value_typeET2_T3_PNS13_IS18_E10value_typeET4_jRbjT5_S1E_jjP12ihipStream_tbEUljE_ZNSN_ISO_Lb1ESQ_SR_ST_SU_SY_EESZ_S10_S11_S12_S16_S17_S18_S1B_S1C_jS1D_jS1E_S1E_jjS1G_bEUljE0_EEESZ_S10_S11_S18_S1C_S1E_T6_T7_T9_mT8_S1G_bDpT10_ENKUlT_T0_E_clISt17integral_constantIbLb0EES1T_IbLb1EEEEDaS1P_S1Q_EUlS1P_E_NS1_11comp_targetILNS1_3genE2ELNS1_11target_archE906ELNS1_3gpuE6ELNS1_3repE0EEENS1_30default_config_static_selectorELNS0_4arch9wavefront6targetE0EEEvS12_, .Lfunc_end1082-_ZN7rocprim17ROCPRIM_400000_NS6detail17trampoline_kernelINS0_13select_configILj256ELj13ELNS0_17block_load_methodE3ELS4_3ELS4_3ELNS0_20block_scan_algorithmE0ELj4294967295EEENS1_25partition_config_selectorILNS1_17partition_subalgoE4EjNS0_10empty_typeEbEEZZNS1_14partition_implILS8_4ELb0ES6_15HIP_vector_typeIjLj2EENS0_17counting_iteratorIjlEEPS9_SG_NS0_5tupleIJPjSI_NS0_16reverse_iteratorISI_EEEEENSH_IJSG_SG_SG_EEES9_SI_JZNS1_25segmented_radix_sort_implINS0_14default_configELb1EPKdPdPKlPlN2at6native12_GLOBAL__N_18offset_tEEE10hipError_tPvRmT1_PNSt15iterator_traitsIS12_E10value_typeET2_T3_PNS13_IS18_E10value_typeET4_jRbjT5_S1E_jjP12ihipStream_tbEUljE_ZNSN_ISO_Lb1ESQ_SR_ST_SU_SY_EESZ_S10_S11_S12_S16_S17_S18_S1B_S1C_jS1D_jS1E_S1E_jjS1G_bEUljE0_EEESZ_S10_S11_S18_S1C_S1E_T6_T7_T9_mT8_S1G_bDpT10_ENKUlT_T0_E_clISt17integral_constantIbLb0EES1T_IbLb1EEEEDaS1P_S1Q_EUlS1P_E_NS1_11comp_targetILNS1_3genE2ELNS1_11target_archE906ELNS1_3gpuE6ELNS1_3repE0EEENS1_30default_config_static_selectorELNS0_4arch9wavefront6targetE0EEEvS12_
                                        ; -- End function
	.section	.AMDGPU.csdata,"",@progbits
; Kernel info:
; codeLenInByte = 0
; NumSgprs: 0
; NumVgprs: 0
; ScratchSize: 0
; MemoryBound: 0
; FloatMode: 240
; IeeeMode: 1
; LDSByteSize: 0 bytes/workgroup (compile time only)
; SGPRBlocks: 0
; VGPRBlocks: 0
; NumSGPRsForWavesPerEU: 1
; NumVGPRsForWavesPerEU: 1
; Occupancy: 16
; WaveLimiterHint : 0
; COMPUTE_PGM_RSRC2:SCRATCH_EN: 0
; COMPUTE_PGM_RSRC2:USER_SGPR: 15
; COMPUTE_PGM_RSRC2:TRAP_HANDLER: 0
; COMPUTE_PGM_RSRC2:TGID_X_EN: 1
; COMPUTE_PGM_RSRC2:TGID_Y_EN: 0
; COMPUTE_PGM_RSRC2:TGID_Z_EN: 0
; COMPUTE_PGM_RSRC2:TIDIG_COMP_CNT: 0
	.section	.text._ZN7rocprim17ROCPRIM_400000_NS6detail17trampoline_kernelINS0_13select_configILj256ELj13ELNS0_17block_load_methodE3ELS4_3ELS4_3ELNS0_20block_scan_algorithmE0ELj4294967295EEENS1_25partition_config_selectorILNS1_17partition_subalgoE4EjNS0_10empty_typeEbEEZZNS1_14partition_implILS8_4ELb0ES6_15HIP_vector_typeIjLj2EENS0_17counting_iteratorIjlEEPS9_SG_NS0_5tupleIJPjSI_NS0_16reverse_iteratorISI_EEEEENSH_IJSG_SG_SG_EEES9_SI_JZNS1_25segmented_radix_sort_implINS0_14default_configELb1EPKdPdPKlPlN2at6native12_GLOBAL__N_18offset_tEEE10hipError_tPvRmT1_PNSt15iterator_traitsIS12_E10value_typeET2_T3_PNS13_IS18_E10value_typeET4_jRbjT5_S1E_jjP12ihipStream_tbEUljE_ZNSN_ISO_Lb1ESQ_SR_ST_SU_SY_EESZ_S10_S11_S12_S16_S17_S18_S1B_S1C_jS1D_jS1E_S1E_jjS1G_bEUljE0_EEESZ_S10_S11_S18_S1C_S1E_T6_T7_T9_mT8_S1G_bDpT10_ENKUlT_T0_E_clISt17integral_constantIbLb0EES1T_IbLb1EEEEDaS1P_S1Q_EUlS1P_E_NS1_11comp_targetILNS1_3genE10ELNS1_11target_archE1200ELNS1_3gpuE4ELNS1_3repE0EEENS1_30default_config_static_selectorELNS0_4arch9wavefront6targetE0EEEvS12_,"axG",@progbits,_ZN7rocprim17ROCPRIM_400000_NS6detail17trampoline_kernelINS0_13select_configILj256ELj13ELNS0_17block_load_methodE3ELS4_3ELS4_3ELNS0_20block_scan_algorithmE0ELj4294967295EEENS1_25partition_config_selectorILNS1_17partition_subalgoE4EjNS0_10empty_typeEbEEZZNS1_14partition_implILS8_4ELb0ES6_15HIP_vector_typeIjLj2EENS0_17counting_iteratorIjlEEPS9_SG_NS0_5tupleIJPjSI_NS0_16reverse_iteratorISI_EEEEENSH_IJSG_SG_SG_EEES9_SI_JZNS1_25segmented_radix_sort_implINS0_14default_configELb1EPKdPdPKlPlN2at6native12_GLOBAL__N_18offset_tEEE10hipError_tPvRmT1_PNSt15iterator_traitsIS12_E10value_typeET2_T3_PNS13_IS18_E10value_typeET4_jRbjT5_S1E_jjP12ihipStream_tbEUljE_ZNSN_ISO_Lb1ESQ_SR_ST_SU_SY_EESZ_S10_S11_S12_S16_S17_S18_S1B_S1C_jS1D_jS1E_S1E_jjS1G_bEUljE0_EEESZ_S10_S11_S18_S1C_S1E_T6_T7_T9_mT8_S1G_bDpT10_ENKUlT_T0_E_clISt17integral_constantIbLb0EES1T_IbLb1EEEEDaS1P_S1Q_EUlS1P_E_NS1_11comp_targetILNS1_3genE10ELNS1_11target_archE1200ELNS1_3gpuE4ELNS1_3repE0EEENS1_30default_config_static_selectorELNS0_4arch9wavefront6targetE0EEEvS12_,comdat
	.globl	_ZN7rocprim17ROCPRIM_400000_NS6detail17trampoline_kernelINS0_13select_configILj256ELj13ELNS0_17block_load_methodE3ELS4_3ELS4_3ELNS0_20block_scan_algorithmE0ELj4294967295EEENS1_25partition_config_selectorILNS1_17partition_subalgoE4EjNS0_10empty_typeEbEEZZNS1_14partition_implILS8_4ELb0ES6_15HIP_vector_typeIjLj2EENS0_17counting_iteratorIjlEEPS9_SG_NS0_5tupleIJPjSI_NS0_16reverse_iteratorISI_EEEEENSH_IJSG_SG_SG_EEES9_SI_JZNS1_25segmented_radix_sort_implINS0_14default_configELb1EPKdPdPKlPlN2at6native12_GLOBAL__N_18offset_tEEE10hipError_tPvRmT1_PNSt15iterator_traitsIS12_E10value_typeET2_T3_PNS13_IS18_E10value_typeET4_jRbjT5_S1E_jjP12ihipStream_tbEUljE_ZNSN_ISO_Lb1ESQ_SR_ST_SU_SY_EESZ_S10_S11_S12_S16_S17_S18_S1B_S1C_jS1D_jS1E_S1E_jjS1G_bEUljE0_EEESZ_S10_S11_S18_S1C_S1E_T6_T7_T9_mT8_S1G_bDpT10_ENKUlT_T0_E_clISt17integral_constantIbLb0EES1T_IbLb1EEEEDaS1P_S1Q_EUlS1P_E_NS1_11comp_targetILNS1_3genE10ELNS1_11target_archE1200ELNS1_3gpuE4ELNS1_3repE0EEENS1_30default_config_static_selectorELNS0_4arch9wavefront6targetE0EEEvS12_ ; -- Begin function _ZN7rocprim17ROCPRIM_400000_NS6detail17trampoline_kernelINS0_13select_configILj256ELj13ELNS0_17block_load_methodE3ELS4_3ELS4_3ELNS0_20block_scan_algorithmE0ELj4294967295EEENS1_25partition_config_selectorILNS1_17partition_subalgoE4EjNS0_10empty_typeEbEEZZNS1_14partition_implILS8_4ELb0ES6_15HIP_vector_typeIjLj2EENS0_17counting_iteratorIjlEEPS9_SG_NS0_5tupleIJPjSI_NS0_16reverse_iteratorISI_EEEEENSH_IJSG_SG_SG_EEES9_SI_JZNS1_25segmented_radix_sort_implINS0_14default_configELb1EPKdPdPKlPlN2at6native12_GLOBAL__N_18offset_tEEE10hipError_tPvRmT1_PNSt15iterator_traitsIS12_E10value_typeET2_T3_PNS13_IS18_E10value_typeET4_jRbjT5_S1E_jjP12ihipStream_tbEUljE_ZNSN_ISO_Lb1ESQ_SR_ST_SU_SY_EESZ_S10_S11_S12_S16_S17_S18_S1B_S1C_jS1D_jS1E_S1E_jjS1G_bEUljE0_EEESZ_S10_S11_S18_S1C_S1E_T6_T7_T9_mT8_S1G_bDpT10_ENKUlT_T0_E_clISt17integral_constantIbLb0EES1T_IbLb1EEEEDaS1P_S1Q_EUlS1P_E_NS1_11comp_targetILNS1_3genE10ELNS1_11target_archE1200ELNS1_3gpuE4ELNS1_3repE0EEENS1_30default_config_static_selectorELNS0_4arch9wavefront6targetE0EEEvS12_
	.p2align	8
	.type	_ZN7rocprim17ROCPRIM_400000_NS6detail17trampoline_kernelINS0_13select_configILj256ELj13ELNS0_17block_load_methodE3ELS4_3ELS4_3ELNS0_20block_scan_algorithmE0ELj4294967295EEENS1_25partition_config_selectorILNS1_17partition_subalgoE4EjNS0_10empty_typeEbEEZZNS1_14partition_implILS8_4ELb0ES6_15HIP_vector_typeIjLj2EENS0_17counting_iteratorIjlEEPS9_SG_NS0_5tupleIJPjSI_NS0_16reverse_iteratorISI_EEEEENSH_IJSG_SG_SG_EEES9_SI_JZNS1_25segmented_radix_sort_implINS0_14default_configELb1EPKdPdPKlPlN2at6native12_GLOBAL__N_18offset_tEEE10hipError_tPvRmT1_PNSt15iterator_traitsIS12_E10value_typeET2_T3_PNS13_IS18_E10value_typeET4_jRbjT5_S1E_jjP12ihipStream_tbEUljE_ZNSN_ISO_Lb1ESQ_SR_ST_SU_SY_EESZ_S10_S11_S12_S16_S17_S18_S1B_S1C_jS1D_jS1E_S1E_jjS1G_bEUljE0_EEESZ_S10_S11_S18_S1C_S1E_T6_T7_T9_mT8_S1G_bDpT10_ENKUlT_T0_E_clISt17integral_constantIbLb0EES1T_IbLb1EEEEDaS1P_S1Q_EUlS1P_E_NS1_11comp_targetILNS1_3genE10ELNS1_11target_archE1200ELNS1_3gpuE4ELNS1_3repE0EEENS1_30default_config_static_selectorELNS0_4arch9wavefront6targetE0EEEvS12_,@function
_ZN7rocprim17ROCPRIM_400000_NS6detail17trampoline_kernelINS0_13select_configILj256ELj13ELNS0_17block_load_methodE3ELS4_3ELS4_3ELNS0_20block_scan_algorithmE0ELj4294967295EEENS1_25partition_config_selectorILNS1_17partition_subalgoE4EjNS0_10empty_typeEbEEZZNS1_14partition_implILS8_4ELb0ES6_15HIP_vector_typeIjLj2EENS0_17counting_iteratorIjlEEPS9_SG_NS0_5tupleIJPjSI_NS0_16reverse_iteratorISI_EEEEENSH_IJSG_SG_SG_EEES9_SI_JZNS1_25segmented_radix_sort_implINS0_14default_configELb1EPKdPdPKlPlN2at6native12_GLOBAL__N_18offset_tEEE10hipError_tPvRmT1_PNSt15iterator_traitsIS12_E10value_typeET2_T3_PNS13_IS18_E10value_typeET4_jRbjT5_S1E_jjP12ihipStream_tbEUljE_ZNSN_ISO_Lb1ESQ_SR_ST_SU_SY_EESZ_S10_S11_S12_S16_S17_S18_S1B_S1C_jS1D_jS1E_S1E_jjS1G_bEUljE0_EEESZ_S10_S11_S18_S1C_S1E_T6_T7_T9_mT8_S1G_bDpT10_ENKUlT_T0_E_clISt17integral_constantIbLb0EES1T_IbLb1EEEEDaS1P_S1Q_EUlS1P_E_NS1_11comp_targetILNS1_3genE10ELNS1_11target_archE1200ELNS1_3gpuE4ELNS1_3repE0EEENS1_30default_config_static_selectorELNS0_4arch9wavefront6targetE0EEEvS12_: ; @_ZN7rocprim17ROCPRIM_400000_NS6detail17trampoline_kernelINS0_13select_configILj256ELj13ELNS0_17block_load_methodE3ELS4_3ELS4_3ELNS0_20block_scan_algorithmE0ELj4294967295EEENS1_25partition_config_selectorILNS1_17partition_subalgoE4EjNS0_10empty_typeEbEEZZNS1_14partition_implILS8_4ELb0ES6_15HIP_vector_typeIjLj2EENS0_17counting_iteratorIjlEEPS9_SG_NS0_5tupleIJPjSI_NS0_16reverse_iteratorISI_EEEEENSH_IJSG_SG_SG_EEES9_SI_JZNS1_25segmented_radix_sort_implINS0_14default_configELb1EPKdPdPKlPlN2at6native12_GLOBAL__N_18offset_tEEE10hipError_tPvRmT1_PNSt15iterator_traitsIS12_E10value_typeET2_T3_PNS13_IS18_E10value_typeET4_jRbjT5_S1E_jjP12ihipStream_tbEUljE_ZNSN_ISO_Lb1ESQ_SR_ST_SU_SY_EESZ_S10_S11_S12_S16_S17_S18_S1B_S1C_jS1D_jS1E_S1E_jjS1G_bEUljE0_EEESZ_S10_S11_S18_S1C_S1E_T6_T7_T9_mT8_S1G_bDpT10_ENKUlT_T0_E_clISt17integral_constantIbLb0EES1T_IbLb1EEEEDaS1P_S1Q_EUlS1P_E_NS1_11comp_targetILNS1_3genE10ELNS1_11target_archE1200ELNS1_3gpuE4ELNS1_3repE0EEENS1_30default_config_static_selectorELNS0_4arch9wavefront6targetE0EEEvS12_
; %bb.0:
	.section	.rodata,"a",@progbits
	.p2align	6, 0x0
	.amdhsa_kernel _ZN7rocprim17ROCPRIM_400000_NS6detail17trampoline_kernelINS0_13select_configILj256ELj13ELNS0_17block_load_methodE3ELS4_3ELS4_3ELNS0_20block_scan_algorithmE0ELj4294967295EEENS1_25partition_config_selectorILNS1_17partition_subalgoE4EjNS0_10empty_typeEbEEZZNS1_14partition_implILS8_4ELb0ES6_15HIP_vector_typeIjLj2EENS0_17counting_iteratorIjlEEPS9_SG_NS0_5tupleIJPjSI_NS0_16reverse_iteratorISI_EEEEENSH_IJSG_SG_SG_EEES9_SI_JZNS1_25segmented_radix_sort_implINS0_14default_configELb1EPKdPdPKlPlN2at6native12_GLOBAL__N_18offset_tEEE10hipError_tPvRmT1_PNSt15iterator_traitsIS12_E10value_typeET2_T3_PNS13_IS18_E10value_typeET4_jRbjT5_S1E_jjP12ihipStream_tbEUljE_ZNSN_ISO_Lb1ESQ_SR_ST_SU_SY_EESZ_S10_S11_S12_S16_S17_S18_S1B_S1C_jS1D_jS1E_S1E_jjS1G_bEUljE0_EEESZ_S10_S11_S18_S1C_S1E_T6_T7_T9_mT8_S1G_bDpT10_ENKUlT_T0_E_clISt17integral_constantIbLb0EES1T_IbLb1EEEEDaS1P_S1Q_EUlS1P_E_NS1_11comp_targetILNS1_3genE10ELNS1_11target_archE1200ELNS1_3gpuE4ELNS1_3repE0EEENS1_30default_config_static_selectorELNS0_4arch9wavefront6targetE0EEEvS12_
		.amdhsa_group_segment_fixed_size 0
		.amdhsa_private_segment_fixed_size 0
		.amdhsa_kernarg_size 184
		.amdhsa_user_sgpr_count 15
		.amdhsa_user_sgpr_dispatch_ptr 0
		.amdhsa_user_sgpr_queue_ptr 0
		.amdhsa_user_sgpr_kernarg_segment_ptr 1
		.amdhsa_user_sgpr_dispatch_id 0
		.amdhsa_user_sgpr_private_segment_size 0
		.amdhsa_wavefront_size32 1
		.amdhsa_uses_dynamic_stack 0
		.amdhsa_enable_private_segment 0
		.amdhsa_system_sgpr_workgroup_id_x 1
		.amdhsa_system_sgpr_workgroup_id_y 0
		.amdhsa_system_sgpr_workgroup_id_z 0
		.amdhsa_system_sgpr_workgroup_info 0
		.amdhsa_system_vgpr_workitem_id 0
		.amdhsa_next_free_vgpr 1
		.amdhsa_next_free_sgpr 1
		.amdhsa_reserve_vcc 0
		.amdhsa_float_round_mode_32 0
		.amdhsa_float_round_mode_16_64 0
		.amdhsa_float_denorm_mode_32 3
		.amdhsa_float_denorm_mode_16_64 3
		.amdhsa_dx10_clamp 1
		.amdhsa_ieee_mode 1
		.amdhsa_fp16_overflow 0
		.amdhsa_workgroup_processor_mode 1
		.amdhsa_memory_ordered 1
		.amdhsa_forward_progress 0
		.amdhsa_shared_vgpr_count 0
		.amdhsa_exception_fp_ieee_invalid_op 0
		.amdhsa_exception_fp_denorm_src 0
		.amdhsa_exception_fp_ieee_div_zero 0
		.amdhsa_exception_fp_ieee_overflow 0
		.amdhsa_exception_fp_ieee_underflow 0
		.amdhsa_exception_fp_ieee_inexact 0
		.amdhsa_exception_int_div_zero 0
	.end_amdhsa_kernel
	.section	.text._ZN7rocprim17ROCPRIM_400000_NS6detail17trampoline_kernelINS0_13select_configILj256ELj13ELNS0_17block_load_methodE3ELS4_3ELS4_3ELNS0_20block_scan_algorithmE0ELj4294967295EEENS1_25partition_config_selectorILNS1_17partition_subalgoE4EjNS0_10empty_typeEbEEZZNS1_14partition_implILS8_4ELb0ES6_15HIP_vector_typeIjLj2EENS0_17counting_iteratorIjlEEPS9_SG_NS0_5tupleIJPjSI_NS0_16reverse_iteratorISI_EEEEENSH_IJSG_SG_SG_EEES9_SI_JZNS1_25segmented_radix_sort_implINS0_14default_configELb1EPKdPdPKlPlN2at6native12_GLOBAL__N_18offset_tEEE10hipError_tPvRmT1_PNSt15iterator_traitsIS12_E10value_typeET2_T3_PNS13_IS18_E10value_typeET4_jRbjT5_S1E_jjP12ihipStream_tbEUljE_ZNSN_ISO_Lb1ESQ_SR_ST_SU_SY_EESZ_S10_S11_S12_S16_S17_S18_S1B_S1C_jS1D_jS1E_S1E_jjS1G_bEUljE0_EEESZ_S10_S11_S18_S1C_S1E_T6_T7_T9_mT8_S1G_bDpT10_ENKUlT_T0_E_clISt17integral_constantIbLb0EES1T_IbLb1EEEEDaS1P_S1Q_EUlS1P_E_NS1_11comp_targetILNS1_3genE10ELNS1_11target_archE1200ELNS1_3gpuE4ELNS1_3repE0EEENS1_30default_config_static_selectorELNS0_4arch9wavefront6targetE0EEEvS12_,"axG",@progbits,_ZN7rocprim17ROCPRIM_400000_NS6detail17trampoline_kernelINS0_13select_configILj256ELj13ELNS0_17block_load_methodE3ELS4_3ELS4_3ELNS0_20block_scan_algorithmE0ELj4294967295EEENS1_25partition_config_selectorILNS1_17partition_subalgoE4EjNS0_10empty_typeEbEEZZNS1_14partition_implILS8_4ELb0ES6_15HIP_vector_typeIjLj2EENS0_17counting_iteratorIjlEEPS9_SG_NS0_5tupleIJPjSI_NS0_16reverse_iteratorISI_EEEEENSH_IJSG_SG_SG_EEES9_SI_JZNS1_25segmented_radix_sort_implINS0_14default_configELb1EPKdPdPKlPlN2at6native12_GLOBAL__N_18offset_tEEE10hipError_tPvRmT1_PNSt15iterator_traitsIS12_E10value_typeET2_T3_PNS13_IS18_E10value_typeET4_jRbjT5_S1E_jjP12ihipStream_tbEUljE_ZNSN_ISO_Lb1ESQ_SR_ST_SU_SY_EESZ_S10_S11_S12_S16_S17_S18_S1B_S1C_jS1D_jS1E_S1E_jjS1G_bEUljE0_EEESZ_S10_S11_S18_S1C_S1E_T6_T7_T9_mT8_S1G_bDpT10_ENKUlT_T0_E_clISt17integral_constantIbLb0EES1T_IbLb1EEEEDaS1P_S1Q_EUlS1P_E_NS1_11comp_targetILNS1_3genE10ELNS1_11target_archE1200ELNS1_3gpuE4ELNS1_3repE0EEENS1_30default_config_static_selectorELNS0_4arch9wavefront6targetE0EEEvS12_,comdat
.Lfunc_end1083:
	.size	_ZN7rocprim17ROCPRIM_400000_NS6detail17trampoline_kernelINS0_13select_configILj256ELj13ELNS0_17block_load_methodE3ELS4_3ELS4_3ELNS0_20block_scan_algorithmE0ELj4294967295EEENS1_25partition_config_selectorILNS1_17partition_subalgoE4EjNS0_10empty_typeEbEEZZNS1_14partition_implILS8_4ELb0ES6_15HIP_vector_typeIjLj2EENS0_17counting_iteratorIjlEEPS9_SG_NS0_5tupleIJPjSI_NS0_16reverse_iteratorISI_EEEEENSH_IJSG_SG_SG_EEES9_SI_JZNS1_25segmented_radix_sort_implINS0_14default_configELb1EPKdPdPKlPlN2at6native12_GLOBAL__N_18offset_tEEE10hipError_tPvRmT1_PNSt15iterator_traitsIS12_E10value_typeET2_T3_PNS13_IS18_E10value_typeET4_jRbjT5_S1E_jjP12ihipStream_tbEUljE_ZNSN_ISO_Lb1ESQ_SR_ST_SU_SY_EESZ_S10_S11_S12_S16_S17_S18_S1B_S1C_jS1D_jS1E_S1E_jjS1G_bEUljE0_EEESZ_S10_S11_S18_S1C_S1E_T6_T7_T9_mT8_S1G_bDpT10_ENKUlT_T0_E_clISt17integral_constantIbLb0EES1T_IbLb1EEEEDaS1P_S1Q_EUlS1P_E_NS1_11comp_targetILNS1_3genE10ELNS1_11target_archE1200ELNS1_3gpuE4ELNS1_3repE0EEENS1_30default_config_static_selectorELNS0_4arch9wavefront6targetE0EEEvS12_, .Lfunc_end1083-_ZN7rocprim17ROCPRIM_400000_NS6detail17trampoline_kernelINS0_13select_configILj256ELj13ELNS0_17block_load_methodE3ELS4_3ELS4_3ELNS0_20block_scan_algorithmE0ELj4294967295EEENS1_25partition_config_selectorILNS1_17partition_subalgoE4EjNS0_10empty_typeEbEEZZNS1_14partition_implILS8_4ELb0ES6_15HIP_vector_typeIjLj2EENS0_17counting_iteratorIjlEEPS9_SG_NS0_5tupleIJPjSI_NS0_16reverse_iteratorISI_EEEEENSH_IJSG_SG_SG_EEES9_SI_JZNS1_25segmented_radix_sort_implINS0_14default_configELb1EPKdPdPKlPlN2at6native12_GLOBAL__N_18offset_tEEE10hipError_tPvRmT1_PNSt15iterator_traitsIS12_E10value_typeET2_T3_PNS13_IS18_E10value_typeET4_jRbjT5_S1E_jjP12ihipStream_tbEUljE_ZNSN_ISO_Lb1ESQ_SR_ST_SU_SY_EESZ_S10_S11_S12_S16_S17_S18_S1B_S1C_jS1D_jS1E_S1E_jjS1G_bEUljE0_EEESZ_S10_S11_S18_S1C_S1E_T6_T7_T9_mT8_S1G_bDpT10_ENKUlT_T0_E_clISt17integral_constantIbLb0EES1T_IbLb1EEEEDaS1P_S1Q_EUlS1P_E_NS1_11comp_targetILNS1_3genE10ELNS1_11target_archE1200ELNS1_3gpuE4ELNS1_3repE0EEENS1_30default_config_static_selectorELNS0_4arch9wavefront6targetE0EEEvS12_
                                        ; -- End function
	.section	.AMDGPU.csdata,"",@progbits
; Kernel info:
; codeLenInByte = 0
; NumSgprs: 0
; NumVgprs: 0
; ScratchSize: 0
; MemoryBound: 0
; FloatMode: 240
; IeeeMode: 1
; LDSByteSize: 0 bytes/workgroup (compile time only)
; SGPRBlocks: 0
; VGPRBlocks: 0
; NumSGPRsForWavesPerEU: 1
; NumVGPRsForWavesPerEU: 1
; Occupancy: 16
; WaveLimiterHint : 0
; COMPUTE_PGM_RSRC2:SCRATCH_EN: 0
; COMPUTE_PGM_RSRC2:USER_SGPR: 15
; COMPUTE_PGM_RSRC2:TRAP_HANDLER: 0
; COMPUTE_PGM_RSRC2:TGID_X_EN: 1
; COMPUTE_PGM_RSRC2:TGID_Y_EN: 0
; COMPUTE_PGM_RSRC2:TGID_Z_EN: 0
; COMPUTE_PGM_RSRC2:TIDIG_COMP_CNT: 0
	.section	.text._ZN7rocprim17ROCPRIM_400000_NS6detail17trampoline_kernelINS0_13select_configILj256ELj13ELNS0_17block_load_methodE3ELS4_3ELS4_3ELNS0_20block_scan_algorithmE0ELj4294967295EEENS1_25partition_config_selectorILNS1_17partition_subalgoE4EjNS0_10empty_typeEbEEZZNS1_14partition_implILS8_4ELb0ES6_15HIP_vector_typeIjLj2EENS0_17counting_iteratorIjlEEPS9_SG_NS0_5tupleIJPjSI_NS0_16reverse_iteratorISI_EEEEENSH_IJSG_SG_SG_EEES9_SI_JZNS1_25segmented_radix_sort_implINS0_14default_configELb1EPKdPdPKlPlN2at6native12_GLOBAL__N_18offset_tEEE10hipError_tPvRmT1_PNSt15iterator_traitsIS12_E10value_typeET2_T3_PNS13_IS18_E10value_typeET4_jRbjT5_S1E_jjP12ihipStream_tbEUljE_ZNSN_ISO_Lb1ESQ_SR_ST_SU_SY_EESZ_S10_S11_S12_S16_S17_S18_S1B_S1C_jS1D_jS1E_S1E_jjS1G_bEUljE0_EEESZ_S10_S11_S18_S1C_S1E_T6_T7_T9_mT8_S1G_bDpT10_ENKUlT_T0_E_clISt17integral_constantIbLb0EES1T_IbLb1EEEEDaS1P_S1Q_EUlS1P_E_NS1_11comp_targetILNS1_3genE9ELNS1_11target_archE1100ELNS1_3gpuE3ELNS1_3repE0EEENS1_30default_config_static_selectorELNS0_4arch9wavefront6targetE0EEEvS12_,"axG",@progbits,_ZN7rocprim17ROCPRIM_400000_NS6detail17trampoline_kernelINS0_13select_configILj256ELj13ELNS0_17block_load_methodE3ELS4_3ELS4_3ELNS0_20block_scan_algorithmE0ELj4294967295EEENS1_25partition_config_selectorILNS1_17partition_subalgoE4EjNS0_10empty_typeEbEEZZNS1_14partition_implILS8_4ELb0ES6_15HIP_vector_typeIjLj2EENS0_17counting_iteratorIjlEEPS9_SG_NS0_5tupleIJPjSI_NS0_16reverse_iteratorISI_EEEEENSH_IJSG_SG_SG_EEES9_SI_JZNS1_25segmented_radix_sort_implINS0_14default_configELb1EPKdPdPKlPlN2at6native12_GLOBAL__N_18offset_tEEE10hipError_tPvRmT1_PNSt15iterator_traitsIS12_E10value_typeET2_T3_PNS13_IS18_E10value_typeET4_jRbjT5_S1E_jjP12ihipStream_tbEUljE_ZNSN_ISO_Lb1ESQ_SR_ST_SU_SY_EESZ_S10_S11_S12_S16_S17_S18_S1B_S1C_jS1D_jS1E_S1E_jjS1G_bEUljE0_EEESZ_S10_S11_S18_S1C_S1E_T6_T7_T9_mT8_S1G_bDpT10_ENKUlT_T0_E_clISt17integral_constantIbLb0EES1T_IbLb1EEEEDaS1P_S1Q_EUlS1P_E_NS1_11comp_targetILNS1_3genE9ELNS1_11target_archE1100ELNS1_3gpuE3ELNS1_3repE0EEENS1_30default_config_static_selectorELNS0_4arch9wavefront6targetE0EEEvS12_,comdat
	.globl	_ZN7rocprim17ROCPRIM_400000_NS6detail17trampoline_kernelINS0_13select_configILj256ELj13ELNS0_17block_load_methodE3ELS4_3ELS4_3ELNS0_20block_scan_algorithmE0ELj4294967295EEENS1_25partition_config_selectorILNS1_17partition_subalgoE4EjNS0_10empty_typeEbEEZZNS1_14partition_implILS8_4ELb0ES6_15HIP_vector_typeIjLj2EENS0_17counting_iteratorIjlEEPS9_SG_NS0_5tupleIJPjSI_NS0_16reverse_iteratorISI_EEEEENSH_IJSG_SG_SG_EEES9_SI_JZNS1_25segmented_radix_sort_implINS0_14default_configELb1EPKdPdPKlPlN2at6native12_GLOBAL__N_18offset_tEEE10hipError_tPvRmT1_PNSt15iterator_traitsIS12_E10value_typeET2_T3_PNS13_IS18_E10value_typeET4_jRbjT5_S1E_jjP12ihipStream_tbEUljE_ZNSN_ISO_Lb1ESQ_SR_ST_SU_SY_EESZ_S10_S11_S12_S16_S17_S18_S1B_S1C_jS1D_jS1E_S1E_jjS1G_bEUljE0_EEESZ_S10_S11_S18_S1C_S1E_T6_T7_T9_mT8_S1G_bDpT10_ENKUlT_T0_E_clISt17integral_constantIbLb0EES1T_IbLb1EEEEDaS1P_S1Q_EUlS1P_E_NS1_11comp_targetILNS1_3genE9ELNS1_11target_archE1100ELNS1_3gpuE3ELNS1_3repE0EEENS1_30default_config_static_selectorELNS0_4arch9wavefront6targetE0EEEvS12_ ; -- Begin function _ZN7rocprim17ROCPRIM_400000_NS6detail17trampoline_kernelINS0_13select_configILj256ELj13ELNS0_17block_load_methodE3ELS4_3ELS4_3ELNS0_20block_scan_algorithmE0ELj4294967295EEENS1_25partition_config_selectorILNS1_17partition_subalgoE4EjNS0_10empty_typeEbEEZZNS1_14partition_implILS8_4ELb0ES6_15HIP_vector_typeIjLj2EENS0_17counting_iteratorIjlEEPS9_SG_NS0_5tupleIJPjSI_NS0_16reverse_iteratorISI_EEEEENSH_IJSG_SG_SG_EEES9_SI_JZNS1_25segmented_radix_sort_implINS0_14default_configELb1EPKdPdPKlPlN2at6native12_GLOBAL__N_18offset_tEEE10hipError_tPvRmT1_PNSt15iterator_traitsIS12_E10value_typeET2_T3_PNS13_IS18_E10value_typeET4_jRbjT5_S1E_jjP12ihipStream_tbEUljE_ZNSN_ISO_Lb1ESQ_SR_ST_SU_SY_EESZ_S10_S11_S12_S16_S17_S18_S1B_S1C_jS1D_jS1E_S1E_jjS1G_bEUljE0_EEESZ_S10_S11_S18_S1C_S1E_T6_T7_T9_mT8_S1G_bDpT10_ENKUlT_T0_E_clISt17integral_constantIbLb0EES1T_IbLb1EEEEDaS1P_S1Q_EUlS1P_E_NS1_11comp_targetILNS1_3genE9ELNS1_11target_archE1100ELNS1_3gpuE3ELNS1_3repE0EEENS1_30default_config_static_selectorELNS0_4arch9wavefront6targetE0EEEvS12_
	.p2align	8
	.type	_ZN7rocprim17ROCPRIM_400000_NS6detail17trampoline_kernelINS0_13select_configILj256ELj13ELNS0_17block_load_methodE3ELS4_3ELS4_3ELNS0_20block_scan_algorithmE0ELj4294967295EEENS1_25partition_config_selectorILNS1_17partition_subalgoE4EjNS0_10empty_typeEbEEZZNS1_14partition_implILS8_4ELb0ES6_15HIP_vector_typeIjLj2EENS0_17counting_iteratorIjlEEPS9_SG_NS0_5tupleIJPjSI_NS0_16reverse_iteratorISI_EEEEENSH_IJSG_SG_SG_EEES9_SI_JZNS1_25segmented_radix_sort_implINS0_14default_configELb1EPKdPdPKlPlN2at6native12_GLOBAL__N_18offset_tEEE10hipError_tPvRmT1_PNSt15iterator_traitsIS12_E10value_typeET2_T3_PNS13_IS18_E10value_typeET4_jRbjT5_S1E_jjP12ihipStream_tbEUljE_ZNSN_ISO_Lb1ESQ_SR_ST_SU_SY_EESZ_S10_S11_S12_S16_S17_S18_S1B_S1C_jS1D_jS1E_S1E_jjS1G_bEUljE0_EEESZ_S10_S11_S18_S1C_S1E_T6_T7_T9_mT8_S1G_bDpT10_ENKUlT_T0_E_clISt17integral_constantIbLb0EES1T_IbLb1EEEEDaS1P_S1Q_EUlS1P_E_NS1_11comp_targetILNS1_3genE9ELNS1_11target_archE1100ELNS1_3gpuE3ELNS1_3repE0EEENS1_30default_config_static_selectorELNS0_4arch9wavefront6targetE0EEEvS12_,@function
_ZN7rocprim17ROCPRIM_400000_NS6detail17trampoline_kernelINS0_13select_configILj256ELj13ELNS0_17block_load_methodE3ELS4_3ELS4_3ELNS0_20block_scan_algorithmE0ELj4294967295EEENS1_25partition_config_selectorILNS1_17partition_subalgoE4EjNS0_10empty_typeEbEEZZNS1_14partition_implILS8_4ELb0ES6_15HIP_vector_typeIjLj2EENS0_17counting_iteratorIjlEEPS9_SG_NS0_5tupleIJPjSI_NS0_16reverse_iteratorISI_EEEEENSH_IJSG_SG_SG_EEES9_SI_JZNS1_25segmented_radix_sort_implINS0_14default_configELb1EPKdPdPKlPlN2at6native12_GLOBAL__N_18offset_tEEE10hipError_tPvRmT1_PNSt15iterator_traitsIS12_E10value_typeET2_T3_PNS13_IS18_E10value_typeET4_jRbjT5_S1E_jjP12ihipStream_tbEUljE_ZNSN_ISO_Lb1ESQ_SR_ST_SU_SY_EESZ_S10_S11_S12_S16_S17_S18_S1B_S1C_jS1D_jS1E_S1E_jjS1G_bEUljE0_EEESZ_S10_S11_S18_S1C_S1E_T6_T7_T9_mT8_S1G_bDpT10_ENKUlT_T0_E_clISt17integral_constantIbLb0EES1T_IbLb1EEEEDaS1P_S1Q_EUlS1P_E_NS1_11comp_targetILNS1_3genE9ELNS1_11target_archE1100ELNS1_3gpuE3ELNS1_3repE0EEENS1_30default_config_static_selectorELNS0_4arch9wavefront6targetE0EEEvS12_: ; @_ZN7rocprim17ROCPRIM_400000_NS6detail17trampoline_kernelINS0_13select_configILj256ELj13ELNS0_17block_load_methodE3ELS4_3ELS4_3ELNS0_20block_scan_algorithmE0ELj4294967295EEENS1_25partition_config_selectorILNS1_17partition_subalgoE4EjNS0_10empty_typeEbEEZZNS1_14partition_implILS8_4ELb0ES6_15HIP_vector_typeIjLj2EENS0_17counting_iteratorIjlEEPS9_SG_NS0_5tupleIJPjSI_NS0_16reverse_iteratorISI_EEEEENSH_IJSG_SG_SG_EEES9_SI_JZNS1_25segmented_radix_sort_implINS0_14default_configELb1EPKdPdPKlPlN2at6native12_GLOBAL__N_18offset_tEEE10hipError_tPvRmT1_PNSt15iterator_traitsIS12_E10value_typeET2_T3_PNS13_IS18_E10value_typeET4_jRbjT5_S1E_jjP12ihipStream_tbEUljE_ZNSN_ISO_Lb1ESQ_SR_ST_SU_SY_EESZ_S10_S11_S12_S16_S17_S18_S1B_S1C_jS1D_jS1E_S1E_jjS1G_bEUljE0_EEESZ_S10_S11_S18_S1C_S1E_T6_T7_T9_mT8_S1G_bDpT10_ENKUlT_T0_E_clISt17integral_constantIbLb0EES1T_IbLb1EEEEDaS1P_S1Q_EUlS1P_E_NS1_11comp_targetILNS1_3genE9ELNS1_11target_archE1100ELNS1_3gpuE3ELNS1_3repE0EEENS1_30default_config_static_selectorELNS0_4arch9wavefront6targetE0EEEvS12_
; %bb.0:
	s_clause 0x7
	s_load_b64 s[34:35], s[0:1], 0x10
	s_load_b128 s[28:31], s[0:1], 0x28
	s_load_b64 s[14:15], s[0:1], 0x38
	s_load_b128 s[24:27], s[0:1], 0x58
	s_load_b64 s[4:5], s[0:1], 0x68
	s_load_b64 s[36:37], s[0:1], 0x78
	;; [unrolled: 1-line block ×3, first 2 shown]
	s_load_b256 s[16:23], s[0:1], 0x90
	v_cmp_eq_u32_e64 s2, 0, v0
	s_delay_alu instid0(VALU_DEP_1)
	s_and_saveexec_b32 s3, s2
	s_cbranch_execz .LBB1084_4
; %bb.1:
	s_mov_b32 s7, exec_lo
	s_mov_b32 s6, exec_lo
	v_mbcnt_lo_u32_b32 v1, s7, 0
                                        ; implicit-def: $vgpr2
	s_delay_alu instid0(VALU_DEP_1)
	v_cmpx_eq_u32_e32 0, v1
	s_cbranch_execz .LBB1084_3
; %bb.2:
	s_load_b64 s[8:9], s[0:1], 0x88
	s_bcnt1_i32_b32 s7, s7
	s_delay_alu instid0(SALU_CYCLE_1)
	v_dual_mov_b32 v2, 0 :: v_dual_mov_b32 v3, s7
	s_waitcnt lgkmcnt(0)
	global_atomic_add_u32 v2, v2, v3, s[8:9] glc
.LBB1084_3:
	s_or_b32 exec_lo, exec_lo, s6
	s_waitcnt vmcnt(0)
	v_readfirstlane_b32 s6, v2
	s_delay_alu instid0(VALU_DEP_1)
	v_dual_mov_b32 v2, 0 :: v_dual_add_nc_u32 v1, s6, v1
	ds_store_b32 v2, v1
.LBB1084_4:
	s_or_b32 exec_lo, exec_lo, s3
	v_mov_b32_e32 v1, 0
	s_clause 0x1
	s_load_b32 s3, s[0:1], 0x8
	s_load_b32 s0, s[0:1], 0x80
	s_waitcnt lgkmcnt(0)
	s_barrier
	buffer_gl0_inv
	ds_load_b32 v5, v1
	s_waitcnt lgkmcnt(0)
	s_barrier
	buffer_gl0_inv
	global_load_b128 v[1:4], v1, s[26:27]
	s_add_i32 s3, s3, s34
	s_mul_i32 s1, s0, 0xd00
	s_add_i32 s0, s0, -1
	s_add_u32 s6, s34, s1
	s_addc_u32 s7, s35, 0
	v_mul_lo_u32 v30, 0xd00, v5
	v_readfirstlane_b32 s26, v5
	v_cmp_lt_u64_e64 s5, s[6:7], s[4:5]
	v_cmp_ne_u32_e32 vcc_lo, s0, v5
	s_delay_alu instid0(VALU_DEP_3) | instskip(SKIP_1) | instid1(VALU_DEP_4)
	s_cmp_eq_u32 s26, s0
	s_cselect_b32 s13, -1, 0
	v_add3_u32 v5, v30, s3, v0
	s_delay_alu instid0(VALU_DEP_3) | instskip(SKIP_2) | instid1(VALU_DEP_1)
	s_or_b32 s0, s5, vcc_lo
	s_mov_b32 s3, -1
	s_and_b32 vcc_lo, exec_lo, s0
	v_add_nc_u32_e32 v6, 0x100, v5
	v_add_nc_u32_e32 v7, 0x200, v5
	;; [unrolled: 1-line block ×12, first 2 shown]
	s_cbranch_vccz .LBB1084_6
; %bb.5:
	v_lshlrev_b32_e32 v18, 2, v0
	s_mov_b32 s3, 0
	ds_store_2addr_stride64_b32 v18, v5, v6 offset1:4
	ds_store_2addr_stride64_b32 v18, v7, v8 offset0:8 offset1:12
	ds_store_2addr_stride64_b32 v18, v9, v10 offset0:16 offset1:20
	ds_store_2addr_stride64_b32 v18, v11, v12 offset0:24 offset1:28
	ds_store_2addr_stride64_b32 v18, v13, v14 offset0:32 offset1:36
	ds_store_2addr_stride64_b32 v18, v15, v16 offset0:40 offset1:44
	ds_store_b32 v18, v17 offset:12288
	s_waitcnt vmcnt(0) lgkmcnt(0)
	s_barrier
.LBB1084_6:
	s_and_not1_b32 vcc_lo, exec_lo, s3
	s_add_i32 s1, s1, s34
	s_cbranch_vccnz .LBB1084_8
; %bb.7:
	v_lshlrev_b32_e32 v18, 2, v0
	ds_store_2addr_stride64_b32 v18, v5, v6 offset1:4
	ds_store_2addr_stride64_b32 v18, v7, v8 offset0:8 offset1:12
	ds_store_2addr_stride64_b32 v18, v9, v10 offset0:16 offset1:20
	;; [unrolled: 1-line block ×5, first 2 shown]
	ds_store_b32 v18, v17 offset:12288
	s_waitcnt vmcnt(0) lgkmcnt(0)
	s_barrier
.LBB1084_8:
	v_mul_u32_u24_e32 v33, 13, v0
	s_waitcnt vmcnt(0)
	buffer_gl0_inv
	v_cndmask_b32_e64 v31, 0, 1, s0
	s_sub_i32 s40, s4, s1
	s_and_not1_b32 vcc_lo, exec_lo, s0
	v_lshlrev_b32_e32 v5, 2, v33
	ds_load_2addr_b32 v[20:21], v5 offset1:1
	ds_load_2addr_b32 v[18:19], v5 offset0:2 offset1:3
	ds_load_2addr_b32 v[16:17], v5 offset0:4 offset1:5
	;; [unrolled: 1-line block ×5, first 2 shown]
	ds_load_b32 v32, v5 offset:48
	s_waitcnt lgkmcnt(0)
	s_barrier
	buffer_gl0_inv
	s_cbranch_vccnz .LBB1084_36
; %bb.9:
	v_add_nc_u32_e32 v5, s17, v20
	v_add_nc_u32_e32 v6, s19, v20
	s_mov_b32 s42, 0
	s_mov_b32 s41, 0
	s_mov_b32 s1, exec_lo
	v_mul_lo_u32 v5, v5, s16
	v_mul_lo_u32 v6, v6, s18
	s_delay_alu instid0(VALU_DEP_1) | instskip(NEXT) | instid1(VALU_DEP_1)
	v_sub_nc_u32_e32 v5, v5, v6
	v_cmp_lt_u32_e32 vcc_lo, s20, v5
	v_cmpx_ge_u32_e64 s20, v5
; %bb.10:
	v_add_nc_u32_e32 v5, s22, v20
	v_add_nc_u32_e32 v6, s38, v20
	s_delay_alu instid0(VALU_DEP_2) | instskip(NEXT) | instid1(VALU_DEP_2)
	v_mul_lo_u32 v5, v5, s21
	v_mul_lo_u32 v6, v6, s23
	s_delay_alu instid0(VALU_DEP_1) | instskip(NEXT) | instid1(VALU_DEP_1)
	v_sub_nc_u32_e32 v5, v5, v6
	v_cmp_lt_u32_e64 s0, s39, v5
	s_delay_alu instid0(VALU_DEP_1)
	s_and_b32 s41, s0, exec_lo
; %bb.11:
	s_or_b32 exec_lo, exec_lo, s1
	v_add_nc_u32_e32 v5, s17, v21
	v_add_nc_u32_e32 v6, s19, v21
	s_mov_b32 s3, exec_lo
	s_delay_alu instid0(VALU_DEP_2) | instskip(NEXT) | instid1(VALU_DEP_2)
	v_mul_lo_u32 v5, v5, s16
	v_mul_lo_u32 v6, v6, s18
	s_delay_alu instid0(VALU_DEP_1) | instskip(NEXT) | instid1(VALU_DEP_1)
	v_sub_nc_u32_e32 v5, v5, v6
	v_cmp_lt_u32_e64 s0, s20, v5
	v_cmpx_ge_u32_e64 s20, v5
; %bb.12:
	v_add_nc_u32_e32 v5, s22, v21
	v_add_nc_u32_e32 v6, s38, v21
	s_delay_alu instid0(VALU_DEP_2) | instskip(NEXT) | instid1(VALU_DEP_2)
	v_mul_lo_u32 v5, v5, s21
	v_mul_lo_u32 v6, v6, s23
	s_delay_alu instid0(VALU_DEP_1) | instskip(NEXT) | instid1(VALU_DEP_1)
	v_sub_nc_u32_e32 v5, v5, v6
	v_cmp_lt_u32_e64 s1, s39, v5
	s_delay_alu instid0(VALU_DEP_1)
	s_and_b32 s42, s1, exec_lo
; %bb.13:
	s_or_b32 exec_lo, exec_lo, s3
	v_add_nc_u32_e32 v5, s17, v18
	v_add_nc_u32_e32 v6, s19, v18
	s_mov_b32 s44, 0
	s_mov_b32 s43, 0
	s_mov_b32 s4, exec_lo
	v_mul_lo_u32 v5, v5, s16
	v_mul_lo_u32 v6, v6, s18
	s_delay_alu instid0(VALU_DEP_1) | instskip(NEXT) | instid1(VALU_DEP_1)
	v_sub_nc_u32_e32 v5, v5, v6
	v_cmp_lt_u32_e64 s1, s20, v5
	v_cmpx_ge_u32_e64 s20, v5
; %bb.14:
	v_add_nc_u32_e32 v5, s22, v18
	v_add_nc_u32_e32 v6, s38, v18
	s_delay_alu instid0(VALU_DEP_2) | instskip(NEXT) | instid1(VALU_DEP_2)
	v_mul_lo_u32 v5, v5, s21
	v_mul_lo_u32 v6, v6, s23
	s_delay_alu instid0(VALU_DEP_1) | instskip(NEXT) | instid1(VALU_DEP_1)
	v_sub_nc_u32_e32 v5, v5, v6
	v_cmp_lt_u32_e64 s3, s39, v5
	s_delay_alu instid0(VALU_DEP_1)
	s_and_b32 s43, s3, exec_lo
; %bb.15:
	s_or_b32 exec_lo, exec_lo, s4
	v_add_nc_u32_e32 v5, s17, v19
	v_add_nc_u32_e32 v6, s19, v19
	s_mov_b32 s5, exec_lo
	s_delay_alu instid0(VALU_DEP_2) | instskip(NEXT) | instid1(VALU_DEP_2)
	v_mul_lo_u32 v5, v5, s16
	v_mul_lo_u32 v6, v6, s18
	s_delay_alu instid0(VALU_DEP_1) | instskip(NEXT) | instid1(VALU_DEP_1)
	v_sub_nc_u32_e32 v5, v5, v6
	v_cmp_lt_u32_e64 s3, s20, v5
	v_cmpx_ge_u32_e64 s20, v5
; %bb.16:
	v_add_nc_u32_e32 v5, s22, v19
	v_add_nc_u32_e32 v6, s38, v19
	s_delay_alu instid0(VALU_DEP_2) | instskip(NEXT) | instid1(VALU_DEP_2)
	v_mul_lo_u32 v5, v5, s21
	v_mul_lo_u32 v6, v6, s23
	s_delay_alu instid0(VALU_DEP_1) | instskip(NEXT) | instid1(VALU_DEP_1)
	v_sub_nc_u32_e32 v5, v5, v6
	v_cmp_lt_u32_e64 s4, s39, v5
	s_delay_alu instid0(VALU_DEP_1)
	s_and_b32 s44, s4, exec_lo
; %bb.17:
	s_or_b32 exec_lo, exec_lo, s5
	v_add_nc_u32_e32 v5, s17, v16
	v_add_nc_u32_e32 v6, s19, v16
	s_mov_b32 s46, 0
	s_mov_b32 s45, 0
	s_mov_b32 s6, exec_lo
	v_mul_lo_u32 v5, v5, s16
	v_mul_lo_u32 v6, v6, s18
	s_delay_alu instid0(VALU_DEP_1) | instskip(NEXT) | instid1(VALU_DEP_1)
	v_sub_nc_u32_e32 v5, v5, v6
	v_cmp_lt_u32_e64 s4, s20, v5
	;; [unrolled: 47-line block ×5, first 2 shown]
	v_cmpx_ge_u32_e64 s20, v5
; %bb.30:
	v_add_nc_u32_e32 v5, s22, v10
	v_add_nc_u32_e32 v6, s38, v10
	s_delay_alu instid0(VALU_DEP_2) | instskip(NEXT) | instid1(VALU_DEP_2)
	v_mul_lo_u32 v5, v5, s21
	v_mul_lo_u32 v6, v6, s23
	s_delay_alu instid0(VALU_DEP_1) | instskip(NEXT) | instid1(VALU_DEP_1)
	v_sub_nc_u32_e32 v5, v5, v6
	v_cmp_lt_u32_e64 s11, s39, v5
	s_delay_alu instid0(VALU_DEP_1)
	s_and_b32 s53, s11, exec_lo
; %bb.31:
	s_or_b32 exec_lo, exec_lo, s12
	v_add_nc_u32_e32 v5, s17, v11
	v_add_nc_u32_e32 v6, s19, v11
	s_mov_b32 s27, exec_lo
	s_delay_alu instid0(VALU_DEP_2) | instskip(NEXT) | instid1(VALU_DEP_2)
	v_mul_lo_u32 v5, v5, s16
	v_mul_lo_u32 v6, v6, s18
	s_delay_alu instid0(VALU_DEP_1) | instskip(NEXT) | instid1(VALU_DEP_1)
	v_sub_nc_u32_e32 v5, v5, v6
	v_cmp_lt_u32_e64 s11, s20, v5
	v_cmpx_ge_u32_e64 s20, v5
; %bb.32:
	v_add_nc_u32_e32 v5, s22, v11
	v_add_nc_u32_e32 v6, s38, v11
	s_delay_alu instid0(VALU_DEP_2) | instskip(NEXT) | instid1(VALU_DEP_2)
	v_mul_lo_u32 v5, v5, s21
	v_mul_lo_u32 v6, v6, s23
	s_delay_alu instid0(VALU_DEP_1) | instskip(NEXT) | instid1(VALU_DEP_1)
	v_sub_nc_u32_e32 v5, v5, v6
	v_cmp_lt_u32_e64 s12, s39, v5
	s_delay_alu instid0(VALU_DEP_1)
	s_and_b32 s52, s12, exec_lo
; %bb.33:
	s_or_b32 exec_lo, exec_lo, s27
	v_add_nc_u32_e32 v5, s17, v32
	v_add_nc_u32_e32 v6, s19, v32
	s_mov_b32 s27, -1
	s_mov_b32 s49, 0
	s_mov_b32 s33, 0
	v_mul_lo_u32 v5, v5, s16
	v_mul_lo_u32 v6, v6, s18
	s_mov_b32 s54, exec_lo
	s_delay_alu instid0(VALU_DEP_1) | instskip(NEXT) | instid1(VALU_DEP_1)
	v_sub_nc_u32_e32 v5, v5, v6
	v_cmpx_ge_u32_e64 s20, v5
; %bb.34:
	v_add_nc_u32_e32 v5, s22, v32
	v_add_nc_u32_e32 v6, s38, v32
	s_xor_b32 s27, exec_lo, -1
	s_delay_alu instid0(VALU_DEP_2) | instskip(NEXT) | instid1(VALU_DEP_2)
	v_mul_lo_u32 v5, v5, s21
	v_mul_lo_u32 v6, v6, s23
	s_delay_alu instid0(VALU_DEP_1) | instskip(NEXT) | instid1(VALU_DEP_1)
	v_sub_nc_u32_e32 v5, v5, v6
	v_cmp_lt_u32_e64 s12, s39, v5
	s_delay_alu instid0(VALU_DEP_1)
	s_and_b32 s33, s12, exec_lo
; %bb.35:
	s_or_b32 exec_lo, exec_lo, s54
	v_cndmask_b32_e64 v53, 0, 1, s53
	v_cndmask_b32_e64 v56, 0, 1, s11
	;; [unrolled: 1-line block ×22, first 2 shown]
	v_cndmask_b32_e64 v34, 0, 1, vcc_lo
	v_cndmask_b32_e64 v57, 0, 1, s52
	s_and_b32 vcc_lo, exec_lo, s49
	s_add_i32 s4, s40, 0xd00
	s_cbranch_vccnz .LBB1084_37
	s_branch .LBB1084_90
.LBB1084_36:
                                        ; implicit-def: $sgpr27
                                        ; implicit-def: $sgpr33
                                        ; implicit-def: $vgpr57
                                        ; implicit-def: $vgpr53
                                        ; implicit-def: $vgpr52
                                        ; implicit-def: $vgpr50
                                        ; implicit-def: $vgpr48
                                        ; implicit-def: $vgpr46
                                        ; implicit-def: $vgpr44
                                        ; implicit-def: $vgpr42
                                        ; implicit-def: $vgpr39
                                        ; implicit-def: $vgpr34
                                        ; implicit-def: $vgpr37
                                        ; implicit-def: $vgpr36
                                        ; implicit-def: $vgpr41
                                        ; implicit-def: $vgpr43
                                        ; implicit-def: $vgpr45
                                        ; implicit-def: $vgpr47
                                        ; implicit-def: $vgpr49
                                        ; implicit-def: $vgpr51
                                        ; implicit-def: $vgpr54
                                        ; implicit-def: $vgpr55
                                        ; implicit-def: $vgpr56
                                        ; implicit-def: $vgpr35
                                        ; implicit-def: $vgpr40
                                        ; implicit-def: $vgpr38
	s_add_i32 s4, s40, 0xd00
	s_cbranch_execz .LBB1084_90
.LBB1084_37:
	v_dual_mov_b32 v35, 0 :: v_dual_mov_b32 v34, 0
	s_mov_b32 s3, 0
	s_mov_b32 s1, exec_lo
	v_cmpx_gt_u32_e64 s4, v33
	s_cbranch_execz .LBB1084_41
; %bb.38:
	v_add_nc_u32_e32 v5, s17, v20
	v_add_nc_u32_e32 v6, s19, v20
	s_mov_b32 s5, exec_lo
	s_delay_alu instid0(VALU_DEP_2) | instskip(NEXT) | instid1(VALU_DEP_2)
	v_mul_lo_u32 v5, v5, s16
	v_mul_lo_u32 v6, v6, s18
	s_delay_alu instid0(VALU_DEP_1) | instskip(NEXT) | instid1(VALU_DEP_1)
	v_sub_nc_u32_e32 v5, v5, v6
	v_cmp_lt_u32_e32 vcc_lo, s20, v5
	v_cmpx_ge_u32_e64 s20, v5
; %bb.39:
	v_add_nc_u32_e32 v5, s22, v20
	v_add_nc_u32_e32 v6, s38, v20
	s_delay_alu instid0(VALU_DEP_2) | instskip(NEXT) | instid1(VALU_DEP_2)
	v_mul_lo_u32 v5, v5, s21
	v_mul_lo_u32 v6, v6, s23
	s_delay_alu instid0(VALU_DEP_1) | instskip(NEXT) | instid1(VALU_DEP_1)
	v_sub_nc_u32_e32 v5, v5, v6
	v_cmp_lt_u32_e64 s0, s39, v5
	s_delay_alu instid0(VALU_DEP_1)
	s_and_b32 s3, s0, exec_lo
; %bb.40:
	s_or_b32 exec_lo, exec_lo, s5
	v_cndmask_b32_e64 v34, 0, 1, vcc_lo
	v_cndmask_b32_e64 v35, 0, 1, s3
.LBB1084_41:
	s_or_b32 exec_lo, exec_lo, s1
	v_dual_mov_b32 v40, 0 :: v_dual_add_nc_u32 v5, 1, v33
	v_mov_b32_e32 v37, 0
	s_mov_b32 s3, 0
	s_mov_b32 s1, exec_lo
	s_delay_alu instid0(VALU_DEP_2)
	v_cmpx_gt_u32_e64 s4, v5
	s_cbranch_execz .LBB1084_45
; %bb.42:
	v_add_nc_u32_e32 v5, s17, v21
	v_add_nc_u32_e32 v6, s19, v21
	s_mov_b32 s5, exec_lo
	s_delay_alu instid0(VALU_DEP_2) | instskip(NEXT) | instid1(VALU_DEP_2)
	v_mul_lo_u32 v5, v5, s16
	v_mul_lo_u32 v6, v6, s18
	s_delay_alu instid0(VALU_DEP_1) | instskip(NEXT) | instid1(VALU_DEP_1)
	v_sub_nc_u32_e32 v5, v5, v6
	v_cmp_lt_u32_e32 vcc_lo, s20, v5
	v_cmpx_ge_u32_e64 s20, v5
; %bb.43:
	v_add_nc_u32_e32 v5, s22, v21
	v_add_nc_u32_e32 v6, s38, v21
	s_delay_alu instid0(VALU_DEP_2) | instskip(NEXT) | instid1(VALU_DEP_2)
	v_mul_lo_u32 v5, v5, s21
	v_mul_lo_u32 v6, v6, s23
	s_delay_alu instid0(VALU_DEP_1) | instskip(NEXT) | instid1(VALU_DEP_1)
	v_sub_nc_u32_e32 v5, v5, v6
	v_cmp_lt_u32_e64 s0, s39, v5
	s_delay_alu instid0(VALU_DEP_1)
	s_and_b32 s3, s0, exec_lo
; %bb.44:
	s_or_b32 exec_lo, exec_lo, s5
	v_cndmask_b32_e64 v37, 0, 1, vcc_lo
	v_cndmask_b32_e64 v40, 0, 1, s3
.LBB1084_45:
	s_or_b32 exec_lo, exec_lo, s1
	v_dual_mov_b32 v36, 0 :: v_dual_add_nc_u32 v5, 2, v33
	v_mov_b32_e32 v38, 0
	s_mov_b32 s3, 0
	s_mov_b32 s1, exec_lo
	s_delay_alu instid0(VALU_DEP_2)
	v_cmpx_gt_u32_e64 s4, v5
	s_cbranch_execz .LBB1084_49
; %bb.46:
	v_add_nc_u32_e32 v5, s17, v18
	v_add_nc_u32_e32 v6, s19, v18
	s_mov_b32 s5, exec_lo
	s_delay_alu instid0(VALU_DEP_2) | instskip(NEXT) | instid1(VALU_DEP_2)
	v_mul_lo_u32 v5, v5, s16
	v_mul_lo_u32 v6, v6, s18
	s_delay_alu instid0(VALU_DEP_1) | instskip(NEXT) | instid1(VALU_DEP_1)
	v_sub_nc_u32_e32 v5, v5, v6
	v_cmp_lt_u32_e32 vcc_lo, s20, v5
	v_cmpx_ge_u32_e64 s20, v5
; %bb.47:
	v_add_nc_u32_e32 v5, s22, v18
	v_add_nc_u32_e32 v6, s38, v18
	s_delay_alu instid0(VALU_DEP_2) | instskip(NEXT) | instid1(VALU_DEP_2)
	v_mul_lo_u32 v5, v5, s21
	v_mul_lo_u32 v6, v6, s23
	s_delay_alu instid0(VALU_DEP_1) | instskip(NEXT) | instid1(VALU_DEP_1)
	v_sub_nc_u32_e32 v5, v5, v6
	v_cmp_lt_u32_e64 s0, s39, v5
	s_delay_alu instid0(VALU_DEP_1)
	s_and_b32 s3, s0, exec_lo
; %bb.48:
	s_or_b32 exec_lo, exec_lo, s5
	v_cndmask_b32_e64 v36, 0, 1, vcc_lo
	v_cndmask_b32_e64 v38, 0, 1, s3
.LBB1084_49:
	s_or_b32 exec_lo, exec_lo, s1
	v_add_nc_u32_e32 v5, 3, v33
	v_mov_b32_e32 v39, 0
	v_mov_b32_e32 v41, 0
	s_mov_b32 s3, 0
	s_mov_b32 s1, exec_lo
	v_cmpx_gt_u32_e64 s4, v5
	s_cbranch_execz .LBB1084_53
; %bb.50:
	v_add_nc_u32_e32 v5, s17, v19
	v_add_nc_u32_e32 v6, s19, v19
	s_mov_b32 s5, exec_lo
	s_delay_alu instid0(VALU_DEP_2) | instskip(NEXT) | instid1(VALU_DEP_2)
	v_mul_lo_u32 v5, v5, s16
	v_mul_lo_u32 v6, v6, s18
	s_delay_alu instid0(VALU_DEP_1) | instskip(NEXT) | instid1(VALU_DEP_1)
	v_sub_nc_u32_e32 v5, v5, v6
	v_cmp_lt_u32_e32 vcc_lo, s20, v5
	v_cmpx_ge_u32_e64 s20, v5
; %bb.51:
	v_add_nc_u32_e32 v5, s22, v19
	v_add_nc_u32_e32 v6, s38, v19
	s_delay_alu instid0(VALU_DEP_2) | instskip(NEXT) | instid1(VALU_DEP_2)
	v_mul_lo_u32 v5, v5, s21
	v_mul_lo_u32 v6, v6, s23
	s_delay_alu instid0(VALU_DEP_1) | instskip(NEXT) | instid1(VALU_DEP_1)
	v_sub_nc_u32_e32 v5, v5, v6
	v_cmp_lt_u32_e64 s0, s39, v5
	s_delay_alu instid0(VALU_DEP_1)
	s_and_b32 s3, s0, exec_lo
; %bb.52:
	s_or_b32 exec_lo, exec_lo, s5
	v_cndmask_b32_e64 v41, 0, 1, vcc_lo
	v_cndmask_b32_e64 v39, 0, 1, s3
.LBB1084_53:
	s_or_b32 exec_lo, exec_lo, s1
	v_dual_mov_b32 v42, 0 :: v_dual_add_nc_u32 v5, 4, v33
	v_mov_b32_e32 v43, 0
	s_mov_b32 s3, 0
	s_mov_b32 s1, exec_lo
	s_delay_alu instid0(VALU_DEP_2)
	v_cmpx_gt_u32_e64 s4, v5
	s_cbranch_execz .LBB1084_57
; %bb.54:
	v_add_nc_u32_e32 v5, s17, v16
	v_add_nc_u32_e32 v6, s19, v16
	s_mov_b32 s5, exec_lo
	s_delay_alu instid0(VALU_DEP_2) | instskip(NEXT) | instid1(VALU_DEP_2)
	v_mul_lo_u32 v5, v5, s16
	v_mul_lo_u32 v6, v6, s18
	s_delay_alu instid0(VALU_DEP_1) | instskip(NEXT) | instid1(VALU_DEP_1)
	v_sub_nc_u32_e32 v5, v5, v6
	v_cmp_lt_u32_e32 vcc_lo, s20, v5
	v_cmpx_ge_u32_e64 s20, v5
; %bb.55:
	v_add_nc_u32_e32 v5, s22, v16
	v_add_nc_u32_e32 v6, s38, v16
	s_delay_alu instid0(VALU_DEP_2) | instskip(NEXT) | instid1(VALU_DEP_2)
	v_mul_lo_u32 v5, v5, s21
	v_mul_lo_u32 v6, v6, s23
	s_delay_alu instid0(VALU_DEP_1) | instskip(NEXT) | instid1(VALU_DEP_1)
	v_sub_nc_u32_e32 v5, v5, v6
	v_cmp_lt_u32_e64 s0, s39, v5
	s_delay_alu instid0(VALU_DEP_1)
	s_and_b32 s3, s0, exec_lo
; %bb.56:
	s_or_b32 exec_lo, exec_lo, s5
	v_cndmask_b32_e64 v43, 0, 1, vcc_lo
	v_cndmask_b32_e64 v42, 0, 1, s3
.LBB1084_57:
	s_or_b32 exec_lo, exec_lo, s1
	v_dual_mov_b32 v44, 0 :: v_dual_add_nc_u32 v5, 5, v33
	v_mov_b32_e32 v45, 0
	s_mov_b32 s3, 0
	s_mov_b32 s1, exec_lo
	s_delay_alu instid0(VALU_DEP_2)
	;; [unrolled: 35-line block ×6, first 2 shown]
	v_cmpx_gt_u32_e64 s4, v5
	s_cbranch_execz .LBB1084_77
; %bb.74:
	v_add_nc_u32_e32 v5, s17, v13
	v_add_nc_u32_e32 v6, s19, v13
	s_mov_b32 s5, exec_lo
	s_delay_alu instid0(VALU_DEP_2) | instskip(NEXT) | instid1(VALU_DEP_2)
	v_mul_lo_u32 v5, v5, s16
	v_mul_lo_u32 v6, v6, s18
	s_delay_alu instid0(VALU_DEP_1) | instskip(NEXT) | instid1(VALU_DEP_1)
	v_sub_nc_u32_e32 v5, v5, v6
	v_cmp_lt_u32_e32 vcc_lo, s20, v5
	v_cmpx_ge_u32_e64 s20, v5
; %bb.75:
	v_add_nc_u32_e32 v5, s22, v13
	v_add_nc_u32_e32 v6, s38, v13
	s_delay_alu instid0(VALU_DEP_2) | instskip(NEXT) | instid1(VALU_DEP_2)
	v_mul_lo_u32 v5, v5, s21
	v_mul_lo_u32 v6, v6, s23
	s_delay_alu instid0(VALU_DEP_1) | instskip(NEXT) | instid1(VALU_DEP_1)
	v_sub_nc_u32_e32 v5, v5, v6
	v_cmp_lt_u32_e64 s0, s39, v5
	s_delay_alu instid0(VALU_DEP_1)
	s_and_b32 s3, s0, exec_lo
; %bb.76:
	s_or_b32 exec_lo, exec_lo, s5
	v_cndmask_b32_e64 v54, 0, 1, vcc_lo
	v_cndmask_b32_e64 v52, 0, 1, s3
.LBB1084_77:
	s_or_b32 exec_lo, exec_lo, s1
	v_add_nc_u32_e32 v5, 10, v33
	v_mov_b32_e32 v53, 0
	v_mov_b32_e32 v55, 0
	s_mov_b32 s3, 0
	s_mov_b32 s1, exec_lo
	v_cmpx_gt_u32_e64 s4, v5
	s_cbranch_execz .LBB1084_81
; %bb.78:
	v_add_nc_u32_e32 v5, s17, v10
	v_add_nc_u32_e32 v6, s19, v10
	s_mov_b32 s5, exec_lo
	s_delay_alu instid0(VALU_DEP_2) | instskip(NEXT) | instid1(VALU_DEP_2)
	v_mul_lo_u32 v5, v5, s16
	v_mul_lo_u32 v6, v6, s18
	s_delay_alu instid0(VALU_DEP_1) | instskip(NEXT) | instid1(VALU_DEP_1)
	v_sub_nc_u32_e32 v5, v5, v6
	v_cmp_lt_u32_e32 vcc_lo, s20, v5
	v_cmpx_ge_u32_e64 s20, v5
; %bb.79:
	v_add_nc_u32_e32 v5, s22, v10
	v_add_nc_u32_e32 v6, s38, v10
	s_delay_alu instid0(VALU_DEP_2) | instskip(NEXT) | instid1(VALU_DEP_2)
	v_mul_lo_u32 v5, v5, s21
	v_mul_lo_u32 v6, v6, s23
	s_delay_alu instid0(VALU_DEP_1) | instskip(NEXT) | instid1(VALU_DEP_1)
	v_sub_nc_u32_e32 v5, v5, v6
	v_cmp_lt_u32_e64 s0, s39, v5
	s_delay_alu instid0(VALU_DEP_1)
	s_and_b32 s3, s0, exec_lo
; %bb.80:
	s_or_b32 exec_lo, exec_lo, s5
	v_cndmask_b32_e64 v55, 0, 1, vcc_lo
	v_cndmask_b32_e64 v53, 0, 1, s3
.LBB1084_81:
	s_or_b32 exec_lo, exec_lo, s1
	v_dual_mov_b32 v56, 0 :: v_dual_add_nc_u32 v5, 11, v33
	v_mov_b32_e32 v57, 0
	s_mov_b32 s3, 0
	s_mov_b32 s1, exec_lo
	s_delay_alu instid0(VALU_DEP_2)
	v_cmpx_gt_u32_e64 s4, v5
	s_cbranch_execz .LBB1084_85
; %bb.82:
	v_add_nc_u32_e32 v5, s17, v11
	v_add_nc_u32_e32 v6, s19, v11
	s_mov_b32 s5, exec_lo
	s_delay_alu instid0(VALU_DEP_2) | instskip(NEXT) | instid1(VALU_DEP_2)
	v_mul_lo_u32 v5, v5, s16
	v_mul_lo_u32 v6, v6, s18
	s_delay_alu instid0(VALU_DEP_1) | instskip(NEXT) | instid1(VALU_DEP_1)
	v_sub_nc_u32_e32 v5, v5, v6
	v_cmp_lt_u32_e32 vcc_lo, s20, v5
	v_cmpx_ge_u32_e64 s20, v5
; %bb.83:
	v_add_nc_u32_e32 v5, s22, v11
	v_add_nc_u32_e32 v6, s38, v11
	s_delay_alu instid0(VALU_DEP_2) | instskip(NEXT) | instid1(VALU_DEP_2)
	v_mul_lo_u32 v5, v5, s21
	v_mul_lo_u32 v6, v6, s23
	s_delay_alu instid0(VALU_DEP_1) | instskip(NEXT) | instid1(VALU_DEP_1)
	v_sub_nc_u32_e32 v5, v5, v6
	v_cmp_lt_u32_e64 s0, s39, v5
	s_delay_alu instid0(VALU_DEP_1)
	s_and_b32 s3, s0, exec_lo
; %bb.84:
	s_or_b32 exec_lo, exec_lo, s5
	v_cndmask_b32_e64 v56, 0, 1, vcc_lo
	v_cndmask_b32_e64 v57, 0, 1, s3
.LBB1084_85:
	s_or_b32 exec_lo, exec_lo, s1
	v_add_nc_u32_e32 v5, 12, v33
	s_mov_b32 s27, 0
	s_mov_b32 s33, 0
	s_mov_b32 s0, exec_lo
	s_delay_alu instid0(VALU_DEP_1)
	v_cmpx_gt_u32_e64 s4, v5
	s_cbranch_execz .LBB1084_89
; %bb.86:
	v_add_nc_u32_e32 v5, s17, v32
	v_add_nc_u32_e32 v6, s19, v32
	s_mov_b32 s3, -1
	s_mov_b32 s5, 0
	s_mov_b32 s1, exec_lo
	v_mul_lo_u32 v5, v5, s16
	v_mul_lo_u32 v6, v6, s18
	s_delay_alu instid0(VALU_DEP_1) | instskip(NEXT) | instid1(VALU_DEP_1)
	v_sub_nc_u32_e32 v5, v5, v6
	v_cmpx_ge_u32_e64 s20, v5
; %bb.87:
	v_add_nc_u32_e32 v5, s22, v32
	v_add_nc_u32_e32 v6, s38, v32
	s_xor_b32 s3, exec_lo, -1
	s_delay_alu instid0(VALU_DEP_2) | instskip(NEXT) | instid1(VALU_DEP_2)
	v_mul_lo_u32 v5, v5, s21
	v_mul_lo_u32 v6, v6, s23
	s_delay_alu instid0(VALU_DEP_1) | instskip(NEXT) | instid1(VALU_DEP_1)
	v_sub_nc_u32_e32 v5, v5, v6
	v_cmp_lt_u32_e32 vcc_lo, s39, v5
	s_and_b32 s5, vcc_lo, exec_lo
; %bb.88:
	s_or_b32 exec_lo, exec_lo, s1
	s_delay_alu instid0(SALU_CYCLE_1)
	s_and_b32 s33, s5, exec_lo
	s_and_b32 s27, s3, exec_lo
.LBB1084_89:
	s_or_b32 exec_lo, exec_lo, s0
.LBB1084_90:
	v_and_b32_e32 v80, 0xff, v34
	v_and_b32_e32 v81, 0xff, v35
	;; [unrolled: 1-line block ×10, first 2 shown]
	v_add3_u32 v5, v76, v78, v80
	v_add3_u32 v6, v77, v79, v81
	v_and_b32_e32 v70, 0xff, v45
	v_and_b32_e32 v71, 0xff, v44
	v_and_b32_e32 v64, 0xff, v47
	v_and_b32_e32 v65, 0xff, v46
	v_add3_u32 v5, v5, v74, v72
	v_add3_u32 v6, v6, v75, v73
	v_and_b32_e32 v68, 0xff, v49
	v_and_b32_e32 v69, 0xff, v48
	v_and_b32_e32 v66, 0xff, v51
	v_and_b32_e32 v67, 0xff, v50
	;; [unrolled: 6-line block ×3, first 2 shown]
	v_add3_u32 v5, v5, v68, v66
	v_add3_u32 v6, v6, v69, v67
	v_mbcnt_lo_u32_b32 v82, -1, 0
	v_and_b32_e32 v58, 0xff, v56
	v_and_b32_e32 v59, 0xff, v57
	v_cndmask_b32_e64 v7, 0, 1, s33
	v_add3_u32 v5, v5, v61, v60
	v_cndmask_b32_e64 v8, 0, 1, s27
	v_add3_u32 v6, v6, v62, v63
	v_and_b32_e32 v86, 15, v82
	v_and_b32_e32 v85, 16, v82
	v_lshrrev_b32_e32 v83, 5, v0
	v_add3_u32 v87, v5, v58, v8
	v_add3_u32 v88, v6, v59, v7
	v_cmp_eq_u32_e64 s1, 0, v86
	v_cmp_lt_u32_e64 s0, 1, v86
	v_cmp_lt_u32_e64 s3, 3, v86
	v_cmp_lt_u32_e32 vcc_lo, 7, v86
	v_or_b32_e32 v84, 31, v0
	s_cmp_lg_u32 s26, 0
	s_mov_b32 s5, -1
	s_cbranch_scc0 .LBB1084_118
; %bb.91:
	v_mov_b32_dpp v5, v88 row_shr:1 row_mask:0xf bank_mask:0xf
	v_mov_b32_dpp v6, v87 row_shr:1 row_mask:0xf bank_mask:0xf
	s_delay_alu instid0(VALU_DEP_2) | instskip(NEXT) | instid1(VALU_DEP_2)
	v_add_nc_u32_e32 v5, v5, v88
	v_add_nc_u32_e32 v6, v6, v87
	s_delay_alu instid0(VALU_DEP_2) | instskip(NEXT) | instid1(VALU_DEP_2)
	v_cndmask_b32_e64 v5, v5, v88, s1
	v_cndmask_b32_e64 v6, v6, v87, s1
	s_delay_alu instid0(VALU_DEP_2) | instskip(NEXT) | instid1(VALU_DEP_2)
	v_mov_b32_dpp v7, v5 row_shr:2 row_mask:0xf bank_mask:0xf
	v_mov_b32_dpp v8, v6 row_shr:2 row_mask:0xf bank_mask:0xf
	s_delay_alu instid0(VALU_DEP_2) | instskip(NEXT) | instid1(VALU_DEP_1)
	v_add_nc_u32_e32 v7, v5, v7
	v_cndmask_b32_e64 v5, v5, v7, s0
	s_delay_alu instid0(VALU_DEP_1) | instskip(NEXT) | instid1(VALU_DEP_1)
	v_mov_b32_dpp v7, v5 row_shr:4 row_mask:0xf bank_mask:0xf
	v_add_nc_u32_e32 v7, v5, v7
	s_delay_alu instid0(VALU_DEP_1) | instskip(NEXT) | instid1(VALU_DEP_1)
	v_cndmask_b32_e64 v5, v5, v7, s3
	v_mov_b32_dpp v7, v5 row_shr:8 row_mask:0xf bank_mask:0xf
	s_delay_alu instid0(VALU_DEP_1) | instskip(NEXT) | instid1(VALU_DEP_1)
	v_add_nc_u32_e32 v7, v5, v7
	v_dual_cndmask_b32 v5, v5, v7 :: v_dual_add_nc_u32 v8, v6, v8
	s_delay_alu instid0(VALU_DEP_1) | instskip(NEXT) | instid1(VALU_DEP_1)
	v_cndmask_b32_e64 v6, v6, v8, s0
	v_mov_b32_dpp v8, v6 row_shr:4 row_mask:0xf bank_mask:0xf
	s_delay_alu instid0(VALU_DEP_1) | instskip(NEXT) | instid1(VALU_DEP_1)
	v_add_nc_u32_e32 v8, v6, v8
	v_cndmask_b32_e64 v6, v6, v8, s3
	s_mov_b32 s3, exec_lo
	s_delay_alu instid0(VALU_DEP_1) | instskip(NEXT) | instid1(VALU_DEP_1)
	v_mov_b32_dpp v8, v6 row_shr:8 row_mask:0xf bank_mask:0xf
	v_add_nc_u32_e32 v8, v6, v8
	s_delay_alu instid0(VALU_DEP_1)
	v_cndmask_b32_e32 v7, v6, v8, vcc_lo
	ds_swizzle_b32 v6, v5 offset:swizzle(BROADCAST,32,15)
	v_cmp_eq_u32_e32 vcc_lo, 0, v85
	s_waitcnt lgkmcnt(0)
	v_add_nc_u32_e32 v6, v5, v6
	ds_swizzle_b32 v8, v7 offset:swizzle(BROADCAST,32,15)
	v_cndmask_b32_e32 v6, v6, v5, vcc_lo
	s_waitcnt lgkmcnt(0)
	v_add_nc_u32_e32 v8, v7, v8
	s_delay_alu instid0(VALU_DEP_1)
	v_cndmask_b32_e32 v5, v8, v7, vcc_lo
	v_cmpx_eq_u32_e64 v84, v0
	s_cbranch_execz .LBB1084_93
; %bb.92:
	v_lshlrev_b32_e32 v7, 3, v83
	ds_store_b64 v7, v[5:6]
.LBB1084_93:
	s_or_b32 exec_lo, exec_lo, s3
	s_delay_alu instid0(SALU_CYCLE_1)
	s_mov_b32 s3, exec_lo
	s_waitcnt lgkmcnt(0)
	s_barrier
	buffer_gl0_inv
	v_cmpx_gt_u32_e32 8, v0
	s_cbranch_execz .LBB1084_95
; %bb.94:
	v_lshlrev_b32_e32 v9, 3, v0
	ds_load_b64 v[7:8], v9
	s_waitcnt lgkmcnt(0)
	v_mov_b32_dpp v22, v7 row_shr:1 row_mask:0xf bank_mask:0xf
	v_mov_b32_dpp v23, v8 row_shr:1 row_mask:0xf bank_mask:0xf
	s_delay_alu instid0(VALU_DEP_2) | instskip(SKIP_1) | instid1(VALU_DEP_3)
	v_add_nc_u32_e32 v22, v22, v7
	v_and_b32_e32 v24, 7, v82
	v_add_nc_u32_e32 v23, v23, v8
	s_delay_alu instid0(VALU_DEP_2) | instskip(NEXT) | instid1(VALU_DEP_2)
	v_cmp_eq_u32_e32 vcc_lo, 0, v24
	v_dual_cndmask_b32 v8, v23, v8 :: v_dual_cndmask_b32 v7, v22, v7
	v_cmp_lt_u32_e32 vcc_lo, 1, v24
	s_delay_alu instid0(VALU_DEP_2) | instskip(NEXT) | instid1(VALU_DEP_3)
	v_mov_b32_dpp v23, v8 row_shr:2 row_mask:0xf bank_mask:0xf
	v_mov_b32_dpp v22, v7 row_shr:2 row_mask:0xf bank_mask:0xf
	s_delay_alu instid0(VALU_DEP_2) | instskip(NEXT) | instid1(VALU_DEP_2)
	v_add_nc_u32_e32 v23, v8, v23
	v_add_nc_u32_e32 v22, v7, v22
	s_delay_alu instid0(VALU_DEP_1) | instskip(SKIP_1) | instid1(VALU_DEP_2)
	v_dual_cndmask_b32 v8, v8, v23 :: v_dual_cndmask_b32 v7, v7, v22
	v_cmp_lt_u32_e32 vcc_lo, 3, v24
	v_mov_b32_dpp v23, v8 row_shr:4 row_mask:0xf bank_mask:0xf
	s_delay_alu instid0(VALU_DEP_3) | instskip(NEXT) | instid1(VALU_DEP_1)
	v_mov_b32_dpp v22, v7 row_shr:4 row_mask:0xf bank_mask:0xf
	v_dual_cndmask_b32 v23, 0, v23 :: v_dual_cndmask_b32 v22, 0, v22
	s_delay_alu instid0(VALU_DEP_1) | instskip(NEXT) | instid1(VALU_DEP_2)
	v_add_nc_u32_e32 v8, v23, v8
	v_add_nc_u32_e32 v7, v22, v7
	ds_store_b64 v9, v[7:8]
.LBB1084_95:
	s_or_b32 exec_lo, exec_lo, s3
	v_cmp_gt_u32_e32 vcc_lo, 32, v0
	v_cmp_lt_u32_e64 s3, 31, v0
	s_waitcnt lgkmcnt(0)
	s_barrier
	buffer_gl0_inv
                                        ; implicit-def: $vgpr23
	s_and_saveexec_b32 s5, s3
	s_delay_alu instid0(SALU_CYCLE_1)
	s_xor_b32 s3, exec_lo, s5
	s_cbranch_execz .LBB1084_97
; %bb.96:
	v_lshl_add_u32 v7, v83, 3, -8
	ds_load_b64 v[22:23], v7
	s_waitcnt lgkmcnt(0)
	v_add_nc_u32_e32 v6, v23, v6
	v_add_nc_u32_e32 v5, v22, v5
.LBB1084_97:
	s_and_not1_saveexec_b32 s3, s3
; %bb.98:
                                        ; implicit-def: $vgpr22
; %bb.99:
	s_delay_alu instid0(SALU_CYCLE_1) | instskip(SKIP_1) | instid1(VALU_DEP_1)
	s_or_b32 exec_lo, exec_lo, s3
	v_add_nc_u32_e32 v7, -1, v82
	v_cmp_gt_i32_e64 s3, 0, v7
	s_delay_alu instid0(VALU_DEP_1) | instskip(SKIP_1) | instid1(VALU_DEP_2)
	v_cndmask_b32_e64 v7, v7, v82, s3
	v_cmp_eq_u32_e64 s3, 0, v82
	v_lshlrev_b32_e32 v7, 2, v7
	ds_bpermute_b32 v89, v7, v5
	ds_bpermute_b32 v90, v7, v6
	s_and_saveexec_b32 s5, vcc_lo
	s_cbranch_execz .LBB1084_117
; %bb.100:
	v_mov_b32_e32 v8, 0
	ds_load_b64 v[5:6], v8 offset:56
	s_waitcnt lgkmcnt(0)
	v_readfirstlane_b32 s6, v6
	s_and_saveexec_b32 s7, s3
	s_cbranch_execz .LBB1084_102
; %bb.101:
	s_add_i32 s8, s26, 32
	s_mov_b32 s9, 0
	v_mov_b32_e32 v7, 1
	s_lshl_b64 s[10:11], s[8:9], 4
	s_mov_b32 s16, s9
	s_add_u32 s10, s36, s10
	s_addc_u32 s11, s37, s11
	s_and_b32 s17, s6, 0xff000000
	s_and_b32 s19, s6, 0xff0000
	s_mov_b32 s18, s9
	v_dual_mov_b32 v25, s11 :: v_dual_mov_b32 v24, s10
	s_or_b64 s[16:17], s[18:19], s[16:17]
	s_and_b32 s19, s6, 0xff00
	s_delay_alu instid0(SALU_CYCLE_1) | instskip(SKIP_1) | instid1(SALU_CYCLE_1)
	s_or_b64 s[16:17], s[16:17], s[18:19]
	s_and_b32 s19, s6, 0xff
	s_or_b64 s[8:9], s[16:17], s[18:19]
	s_delay_alu instid0(SALU_CYCLE_1)
	v_mov_b32_e32 v6, s9
	;;#ASMSTART
	global_store_dwordx4 v[24:25], v[5:8] off	
s_waitcnt vmcnt(0)
	;;#ASMEND
.LBB1084_102:
	s_or_b32 exec_lo, exec_lo, s7
	v_xad_u32 v24, v82, -1, s26
	s_mov_b32 s8, 0
	s_mov_b32 s7, exec_lo
	s_delay_alu instid0(VALU_DEP_1) | instskip(NEXT) | instid1(VALU_DEP_1)
	v_add_nc_u32_e32 v7, 32, v24
	v_lshlrev_b64 v[6:7], 4, v[7:8]
	s_delay_alu instid0(VALU_DEP_1) | instskip(NEXT) | instid1(VALU_DEP_2)
	v_add_co_u32 v25, vcc_lo, s36, v6
	v_add_co_ci_u32_e32 v26, vcc_lo, s37, v7, vcc_lo
	;;#ASMSTART
	global_load_dwordx4 v[6:9], v[25:26] off glc	
s_waitcnt vmcnt(0)
	;;#ASMEND
	v_and_b32_e32 v9, 0xff, v7
	v_and_b32_e32 v27, 0xff00, v7
	v_or3_b32 v6, v6, 0, 0
	v_and_b32_e32 v28, 0xff000000, v7
	v_and_b32_e32 v7, 0xff0000, v7
	s_delay_alu instid0(VALU_DEP_4) | instskip(SKIP_2) | instid1(VALU_DEP_3)
	v_or3_b32 v9, 0, v9, v27
	v_and_b32_e32 v27, 0xff, v8
	v_or3_b32 v6, v6, 0, 0
	v_or3_b32 v7, v9, v7, v28
	s_delay_alu instid0(VALU_DEP_3)
	v_cmpx_eq_u16_e32 0, v27
	s_cbranch_execz .LBB1084_105
.LBB1084_103:                           ; =>This Inner Loop Header: Depth=1
	;;#ASMSTART
	global_load_dwordx4 v[6:9], v[25:26] off glc	
s_waitcnt vmcnt(0)
	;;#ASMEND
	v_and_b32_e32 v9, 0xff, v8
	s_delay_alu instid0(VALU_DEP_1) | instskip(SKIP_1) | instid1(SALU_CYCLE_1)
	v_cmp_ne_u16_e32 vcc_lo, 0, v9
	s_or_b32 s8, vcc_lo, s8
	s_and_not1_b32 exec_lo, exec_lo, s8
	s_cbranch_execnz .LBB1084_103
; %bb.104:
	s_or_b32 exec_lo, exec_lo, s8
.LBB1084_105:
	s_delay_alu instid0(SALU_CYCLE_1) | instskip(SKIP_3) | instid1(VALU_DEP_1)
	s_or_b32 exec_lo, exec_lo, s7
	v_cmp_ne_u32_e32 vcc_lo, 31, v82
	v_lshlrev_b32_e64 v92, v82, -1
	v_add_co_ci_u32_e32 v9, vcc_lo, 0, v82, vcc_lo
	v_lshlrev_b32_e32 v91, 2, v9
	ds_bpermute_b32 v25, v91, v7
	ds_bpermute_b32 v9, v91, v6
	s_waitcnt lgkmcnt(1)
	v_add_nc_u32_e32 v25, v25, v7
	v_and_b32_e32 v26, 0xff, v8
	s_waitcnt lgkmcnt(0)
	v_add_nc_u32_e32 v9, v9, v6
	s_delay_alu instid0(VALU_DEP_2) | instskip(SKIP_2) | instid1(VALU_DEP_2)
	v_cmp_eq_u16_e32 vcc_lo, 2, v26
	v_and_or_b32 v26, vcc_lo, v92, 0x80000000
	v_cmp_gt_u32_e32 vcc_lo, 30, v82
	v_ctz_i32_b32_e32 v26, v26
	v_cndmask_b32_e64 v27, 0, 1, vcc_lo
	s_delay_alu instid0(VALU_DEP_2) | instskip(NEXT) | instid1(VALU_DEP_2)
	v_cmp_lt_u32_e32 vcc_lo, v82, v26
	v_dual_cndmask_b32 v6, v6, v9 :: v_dual_lshlrev_b32 v27, 1, v27
	s_delay_alu instid0(VALU_DEP_1)
	v_add_lshl_u32 v93, v27, v82, 2
	v_cndmask_b32_e32 v7, v7, v25, vcc_lo
	v_cmp_gt_u32_e32 vcc_lo, 28, v82
	ds_bpermute_b32 v9, v93, v6
	ds_bpermute_b32 v25, v93, v7
	v_cndmask_b32_e64 v27, 0, 1, vcc_lo
	s_waitcnt lgkmcnt(1)
	v_add_nc_u32_e32 v9, v6, v9
	s_waitcnt lgkmcnt(0)
	v_add_nc_u32_e32 v25, v7, v25
	v_add_nc_u32_e32 v94, 2, v82
	s_delay_alu instid0(VALU_DEP_1) | instskip(NEXT) | instid1(VALU_DEP_3)
	v_cmp_gt_u32_e32 vcc_lo, v94, v26
	v_cndmask_b32_e32 v7, v25, v7, vcc_lo
	v_dual_cndmask_b32 v6, v9, v6 :: v_dual_lshlrev_b32 v27, 2, v27
	v_cmp_gt_u32_e32 vcc_lo, 24, v82
	s_delay_alu instid0(VALU_DEP_2) | instskip(SKIP_4) | instid1(VALU_DEP_1)
	v_add_lshl_u32 v95, v27, v82, 2
	v_cndmask_b32_e64 v27, 0, 1, vcc_lo
	ds_bpermute_b32 v25, v95, v7
	ds_bpermute_b32 v9, v95, v6
	v_lshlrev_b32_e32 v27, 3, v27
	v_add_lshl_u32 v97, v27, v82, 2
	s_waitcnt lgkmcnt(1)
	v_add_nc_u32_e32 v25, v7, v25
	v_add_nc_u32_e32 v96, 4, v82
	s_waitcnt lgkmcnt(0)
	v_add_nc_u32_e32 v9, v6, v9
	s_delay_alu instid0(VALU_DEP_2) | instskip(SKIP_1) | instid1(VALU_DEP_3)
	v_cmp_gt_u32_e32 vcc_lo, v96, v26
	v_cndmask_b32_e32 v7, v25, v7, vcc_lo
	v_cndmask_b32_e32 v6, v9, v6, vcc_lo
	v_cmp_gt_u32_e32 vcc_lo, 16, v82
	ds_bpermute_b32 v25, v97, v7
	ds_bpermute_b32 v9, v97, v6
	v_cndmask_b32_e64 v27, 0, 1, vcc_lo
	s_delay_alu instid0(VALU_DEP_1) | instskip(NEXT) | instid1(VALU_DEP_1)
	v_lshlrev_b32_e32 v27, 4, v27
	v_add_lshl_u32 v99, v27, v82, 2
	s_waitcnt lgkmcnt(1)
	v_add_nc_u32_e32 v25, v7, v25
	v_add_nc_u32_e32 v98, 8, v82
	s_waitcnt lgkmcnt(0)
	v_add_nc_u32_e32 v9, v6, v9
	s_delay_alu instid0(VALU_DEP_2) | instskip(SKIP_1) | instid1(VALU_DEP_3)
	v_cmp_gt_u32_e32 vcc_lo, v98, v26
	v_cndmask_b32_e32 v7, v25, v7, vcc_lo
	v_cndmask_b32_e32 v6, v9, v6, vcc_lo
	ds_bpermute_b32 v25, v99, v7
	ds_bpermute_b32 v9, v99, v6
	v_add_nc_u32_e32 v100, 16, v82
	s_delay_alu instid0(VALU_DEP_1) | instskip(SKIP_2) | instid1(VALU_DEP_1)
	v_cmp_le_u32_e32 vcc_lo, v100, v26
	s_waitcnt lgkmcnt(0)
	v_cndmask_b32_e32 v9, 0, v9, vcc_lo
	v_dual_cndmask_b32 v25, 0, v25 :: v_dual_add_nc_u32 v6, v9, v6
	s_delay_alu instid0(VALU_DEP_1)
	v_add_nc_u32_e32 v7, v25, v7
	v_mov_b32_e32 v25, 0
	s_branch .LBB1084_107
.LBB1084_106:                           ;   in Loop: Header=BB1084_107 Depth=1
	s_or_b32 exec_lo, exec_lo, s7
	ds_bpermute_b32 v9, v91, v6
	ds_bpermute_b32 v28, v91, v7
	v_subrev_nc_u32_e32 v24, 32, v24
	s_waitcnt lgkmcnt(1)
	v_add_nc_u32_e32 v9, v9, v6
	v_and_b32_e32 v29, 0xff, v8
	s_waitcnt lgkmcnt(0)
	v_add_nc_u32_e32 v28, v28, v7
	s_delay_alu instid0(VALU_DEP_2) | instskip(SKIP_1) | instid1(VALU_DEP_1)
	v_cmp_eq_u16_e32 vcc_lo, 2, v29
	v_and_or_b32 v29, vcc_lo, v92, 0x80000000
	v_ctz_i32_b32_e32 v29, v29
	s_delay_alu instid0(VALU_DEP_1)
	v_cmp_lt_u32_e32 vcc_lo, v82, v29
	v_cndmask_b32_e32 v6, v6, v9, vcc_lo
	ds_bpermute_b32 v9, v93, v6
	s_waitcnt lgkmcnt(0)
	v_add_nc_u32_e32 v9, v6, v9
	v_cndmask_b32_e32 v7, v7, v28, vcc_lo
	v_cmp_gt_u32_e32 vcc_lo, v94, v29
	s_delay_alu instid0(VALU_DEP_3)
	v_cndmask_b32_e32 v6, v9, v6, vcc_lo
	ds_bpermute_b32 v28, v93, v7
	ds_bpermute_b32 v9, v95, v6
	s_waitcnt lgkmcnt(1)
	v_add_nc_u32_e32 v28, v7, v28
	s_waitcnt lgkmcnt(0)
	v_add_nc_u32_e32 v9, v6, v9
	s_delay_alu instid0(VALU_DEP_2) | instskip(SKIP_1) | instid1(VALU_DEP_3)
	v_cndmask_b32_e32 v7, v28, v7, vcc_lo
	v_cmp_gt_u32_e32 vcc_lo, v96, v29
	v_cndmask_b32_e32 v6, v9, v6, vcc_lo
	ds_bpermute_b32 v28, v95, v7
	ds_bpermute_b32 v9, v97, v6
	s_waitcnt lgkmcnt(1)
	v_add_nc_u32_e32 v28, v7, v28
	s_waitcnt lgkmcnt(0)
	v_add_nc_u32_e32 v9, v6, v9
	s_delay_alu instid0(VALU_DEP_2) | instskip(SKIP_1) | instid1(VALU_DEP_3)
	v_cndmask_b32_e32 v7, v28, v7, vcc_lo
	v_cmp_gt_u32_e32 vcc_lo, v98, v29
	v_cndmask_b32_e32 v6, v9, v6, vcc_lo
	ds_bpermute_b32 v28, v97, v7
	ds_bpermute_b32 v9, v99, v6
	s_waitcnt lgkmcnt(1)
	v_add_nc_u32_e32 v28, v7, v28
	s_delay_alu instid0(VALU_DEP_1) | instskip(SKIP_4) | instid1(VALU_DEP_1)
	v_cndmask_b32_e32 v7, v28, v7, vcc_lo
	v_cmp_le_u32_e32 vcc_lo, v100, v29
	ds_bpermute_b32 v28, v99, v7
	s_waitcnt lgkmcnt(1)
	v_cndmask_b32_e32 v9, 0, v9, vcc_lo
	v_add3_u32 v6, v6, v26, v9
	s_waitcnt lgkmcnt(0)
	v_cndmask_b32_e32 v28, 0, v28, vcc_lo
	s_delay_alu instid0(VALU_DEP_1)
	v_add3_u32 v7, v7, v27, v28
.LBB1084_107:                           ; =>This Loop Header: Depth=1
                                        ;     Child Loop BB1084_110 Depth 2
	s_delay_alu instid0(VALU_DEP_1) | instskip(SKIP_1) | instid1(VALU_DEP_2)
	v_dual_mov_b32 v27, v7 :: v_dual_and_b32 v8, 0xff, v8
	v_mov_b32_e32 v26, v6
	v_cmp_ne_u16_e32 vcc_lo, 2, v8
	v_cndmask_b32_e64 v8, 0, 1, vcc_lo
	;;#ASMSTART
	;;#ASMEND
	s_delay_alu instid0(VALU_DEP_1)
	v_cmp_ne_u32_e32 vcc_lo, 0, v8
	s_cmp_lg_u32 vcc_lo, exec_lo
	s_cbranch_scc1 .LBB1084_112
; %bb.108:                              ;   in Loop: Header=BB1084_107 Depth=1
	v_lshlrev_b64 v[6:7], 4, v[24:25]
	s_mov_b32 s7, exec_lo
	s_delay_alu instid0(VALU_DEP_1) | instskip(NEXT) | instid1(VALU_DEP_2)
	v_add_co_u32 v28, vcc_lo, s36, v6
	v_add_co_ci_u32_e32 v29, vcc_lo, s37, v7, vcc_lo
	;;#ASMSTART
	global_load_dwordx4 v[6:9], v[28:29] off glc	
s_waitcnt vmcnt(0)
	;;#ASMEND
	v_and_b32_e32 v9, 0xff, v7
	v_and_b32_e32 v101, 0xff00, v7
	v_or3_b32 v6, v6, 0, 0
	v_and_b32_e32 v102, 0xff000000, v7
	v_and_b32_e32 v7, 0xff0000, v7
	s_delay_alu instid0(VALU_DEP_4) | instskip(SKIP_2) | instid1(VALU_DEP_3)
	v_or3_b32 v9, 0, v9, v101
	v_and_b32_e32 v101, 0xff, v8
	v_or3_b32 v6, v6, 0, 0
	v_or3_b32 v7, v9, v7, v102
	s_delay_alu instid0(VALU_DEP_3)
	v_cmpx_eq_u16_e32 0, v101
	s_cbranch_execz .LBB1084_106
; %bb.109:                              ;   in Loop: Header=BB1084_107 Depth=1
	s_mov_b32 s8, 0
.LBB1084_110:                           ;   Parent Loop BB1084_107 Depth=1
                                        ; =>  This Inner Loop Header: Depth=2
	;;#ASMSTART
	global_load_dwordx4 v[6:9], v[28:29] off glc	
s_waitcnt vmcnt(0)
	;;#ASMEND
	v_and_b32_e32 v9, 0xff, v8
	s_delay_alu instid0(VALU_DEP_1) | instskip(SKIP_1) | instid1(SALU_CYCLE_1)
	v_cmp_ne_u16_e32 vcc_lo, 0, v9
	s_or_b32 s8, vcc_lo, s8
	s_and_not1_b32 exec_lo, exec_lo, s8
	s_cbranch_execnz .LBB1084_110
; %bb.111:                              ;   in Loop: Header=BB1084_107 Depth=1
	s_or_b32 exec_lo, exec_lo, s8
	s_branch .LBB1084_106
.LBB1084_112:                           ;   in Loop: Header=BB1084_107 Depth=1
                                        ; implicit-def: $vgpr8
                                        ; implicit-def: $vgpr6_vgpr7
	s_cbranch_execz .LBB1084_107
; %bb.113:
	s_and_saveexec_b32 s7, s3
	s_cbranch_execnz .LBB1084_356
; %bb.114:
	s_or_b32 exec_lo, exec_lo, s7
	s_and_saveexec_b32 s7, s3
	s_cbranch_execnz .LBB1084_357
.LBB1084_115:
	s_or_b32 exec_lo, exec_lo, s7
	s_delay_alu instid0(SALU_CYCLE_1)
	s_and_b32 exec_lo, exec_lo, s2
	s_cbranch_execz .LBB1084_117
.LBB1084_116:
	v_mov_b32_e32 v5, 0
	ds_store_b64 v5, v[26:27] offset:56
.LBB1084_117:
	s_or_b32 exec_lo, exec_lo, s5
	s_waitcnt lgkmcnt(1)
	v_cndmask_b32_e64 v22, v89, v22, s3
	v_mov_b32_e32 v5, 0
	s_waitcnt lgkmcnt(0)
	s_barrier
	buffer_gl0_inv
	v_add_nc_u32_e64 v7, 0x3400, 0
	ds_load_b64 v[24:25], v5 offset:56
	s_waitcnt lgkmcnt(0)
	s_barrier
	buffer_gl0_inv
	ds_load_2addr_b32 v[5:6], v7 offset1:2
	ds_load_2addr_b32 v[7:8], v7 offset0:4 offset1:6
	v_cndmask_b32_e64 v9, v90, v23, s3
	v_add_nc_u32_e32 v22, v24, v22
	s_delay_alu instid0(VALU_DEP_2) | instskip(NEXT) | instid1(VALU_DEP_2)
	v_add_nc_u32_e32 v9, v25, v9
	v_cndmask_b32_e64 v22, v22, v24, s2
	s_delay_alu instid0(VALU_DEP_2)
	v_cndmask_b32_e64 v9, v9, v25, s2
	s_branch .LBB1084_128
.LBB1084_118:
                                        ; implicit-def: $vgpr9
                                        ; implicit-def: $vgpr7
                                        ; implicit-def: $vgpr5
                                        ; implicit-def: $vgpr22_vgpr23
	s_and_b32 vcc_lo, exec_lo, s5
	s_cbranch_vccz .LBB1084_128
; %bb.119:
	s_waitcnt lgkmcnt(1)
	v_mov_b32_dpp v6, v88 row_shr:1 row_mask:0xf bank_mask:0xf
	v_cmp_lt_u32_e32 vcc_lo, 3, v86
	v_mov_b32_dpp v5, v87 row_shr:1 row_mask:0xf bank_mask:0xf
	s_delay_alu instid0(VALU_DEP_3) | instskip(NEXT) | instid1(VALU_DEP_1)
	v_add_nc_u32_e32 v6, v6, v88
	v_cndmask_b32_e64 v6, v6, v88, s1
	s_waitcnt lgkmcnt(0)
	s_delay_alu instid0(VALU_DEP_1) | instskip(NEXT) | instid1(VALU_DEP_1)
	v_mov_b32_dpp v8, v6 row_shr:2 row_mask:0xf bank_mask:0xf
	v_add_nc_u32_e32 v8, v6, v8
	s_delay_alu instid0(VALU_DEP_1) | instskip(NEXT) | instid1(VALU_DEP_1)
	v_cndmask_b32_e64 v6, v6, v8, s0
	v_mov_b32_dpp v8, v6 row_shr:4 row_mask:0xf bank_mask:0xf
	s_delay_alu instid0(VALU_DEP_1) | instskip(NEXT) | instid1(VALU_DEP_1)
	v_add_nc_u32_e32 v8, v6, v8
	v_dual_cndmask_b32 v6, v6, v8 :: v_dual_add_nc_u32 v5, v5, v87
	s_delay_alu instid0(VALU_DEP_1) | instskip(NEXT) | instid1(VALU_DEP_2)
	v_cndmask_b32_e64 v5, v5, v87, s1
	v_mov_b32_dpp v8, v6 row_shr:8 row_mask:0xf bank_mask:0xf
	s_delay_alu instid0(VALU_DEP_2) | instskip(NEXT) | instid1(VALU_DEP_2)
	v_mov_b32_dpp v7, v5 row_shr:2 row_mask:0xf bank_mask:0xf
	v_add_nc_u32_e32 v8, v6, v8
	s_delay_alu instid0(VALU_DEP_2) | instskip(NEXT) | instid1(VALU_DEP_1)
	v_add_nc_u32_e32 v7, v5, v7
	v_cndmask_b32_e64 v5, v5, v7, s0
	s_mov_b32 s0, exec_lo
	s_delay_alu instid0(VALU_DEP_1) | instskip(NEXT) | instid1(VALU_DEP_1)
	v_mov_b32_dpp v7, v5 row_shr:4 row_mask:0xf bank_mask:0xf
	v_add_nc_u32_e32 v7, v5, v7
	s_delay_alu instid0(VALU_DEP_1) | instskip(SKIP_1) | instid1(VALU_DEP_2)
	v_cndmask_b32_e32 v5, v5, v7, vcc_lo
	v_cmp_lt_u32_e32 vcc_lo, 7, v86
	v_mov_b32_dpp v7, v5 row_shr:8 row_mask:0xf bank_mask:0xf
	s_delay_alu instid0(VALU_DEP_1) | instskip(NEXT) | instid1(VALU_DEP_1)
	v_dual_cndmask_b32 v6, v6, v8 :: v_dual_add_nc_u32 v7, v5, v7
	v_cndmask_b32_e32 v5, v5, v7, vcc_lo
	ds_swizzle_b32 v7, v6 offset:swizzle(BROADCAST,32,15)
	v_cmp_eq_u32_e32 vcc_lo, 0, v85
	ds_swizzle_b32 v8, v5 offset:swizzle(BROADCAST,32,15)
	s_waitcnt lgkmcnt(1)
	v_add_nc_u32_e32 v7, v6, v7
	s_waitcnt lgkmcnt(0)
	v_add_nc_u32_e32 v8, v5, v8
	s_delay_alu instid0(VALU_DEP_1)
	v_dual_cndmask_b32 v6, v7, v6 :: v_dual_cndmask_b32 v5, v8, v5
	v_cmpx_eq_u32_e64 v84, v0
	s_cbranch_execz .LBB1084_121
; %bb.120:
	v_lshlrev_b32_e32 v7, 3, v83
	ds_store_b64 v7, v[5:6]
.LBB1084_121:
	s_or_b32 exec_lo, exec_lo, s0
	s_delay_alu instid0(SALU_CYCLE_1)
	s_mov_b32 s0, exec_lo
	s_waitcnt lgkmcnt(0)
	s_barrier
	buffer_gl0_inv
	v_cmpx_gt_u32_e32 8, v0
	s_cbranch_execz .LBB1084_123
; %bb.122:
	v_lshlrev_b32_e32 v9, 3, v0
	ds_load_b64 v[7:8], v9
	s_waitcnt lgkmcnt(0)
	v_mov_b32_dpp v22, v7 row_shr:1 row_mask:0xf bank_mask:0xf
	v_mov_b32_dpp v23, v8 row_shr:1 row_mask:0xf bank_mask:0xf
	s_delay_alu instid0(VALU_DEP_2) | instskip(SKIP_1) | instid1(VALU_DEP_3)
	v_add_nc_u32_e32 v22, v22, v7
	v_and_b32_e32 v24, 7, v82
	v_add_nc_u32_e32 v23, v23, v8
	s_delay_alu instid0(VALU_DEP_2) | instskip(NEXT) | instid1(VALU_DEP_2)
	v_cmp_eq_u32_e32 vcc_lo, 0, v24
	v_dual_cndmask_b32 v8, v23, v8 :: v_dual_cndmask_b32 v7, v22, v7
	v_cmp_lt_u32_e32 vcc_lo, 1, v24
	s_delay_alu instid0(VALU_DEP_2) | instskip(NEXT) | instid1(VALU_DEP_3)
	v_mov_b32_dpp v23, v8 row_shr:2 row_mask:0xf bank_mask:0xf
	v_mov_b32_dpp v22, v7 row_shr:2 row_mask:0xf bank_mask:0xf
	s_delay_alu instid0(VALU_DEP_2) | instskip(NEXT) | instid1(VALU_DEP_2)
	v_add_nc_u32_e32 v23, v8, v23
	v_add_nc_u32_e32 v22, v7, v22
	s_delay_alu instid0(VALU_DEP_1) | instskip(SKIP_1) | instid1(VALU_DEP_2)
	v_dual_cndmask_b32 v8, v8, v23 :: v_dual_cndmask_b32 v7, v7, v22
	v_cmp_lt_u32_e32 vcc_lo, 3, v24
	v_mov_b32_dpp v23, v8 row_shr:4 row_mask:0xf bank_mask:0xf
	s_delay_alu instid0(VALU_DEP_3) | instskip(NEXT) | instid1(VALU_DEP_1)
	v_mov_b32_dpp v22, v7 row_shr:4 row_mask:0xf bank_mask:0xf
	v_dual_cndmask_b32 v23, 0, v23 :: v_dual_cndmask_b32 v22, 0, v22
	s_delay_alu instid0(VALU_DEP_1) | instskip(NEXT) | instid1(VALU_DEP_2)
	v_add_nc_u32_e32 v8, v23, v8
	v_add_nc_u32_e32 v7, v22, v7
	ds_store_b64 v9, v[7:8]
.LBB1084_123:
	s_or_b32 exec_lo, exec_lo, s0
	v_dual_mov_b32 v7, 0 :: v_dual_mov_b32 v22, 0
	v_mov_b32_e32 v23, 0
	s_mov_b32 s0, exec_lo
	s_waitcnt lgkmcnt(0)
	s_barrier
	buffer_gl0_inv
	v_cmpx_lt_u32_e32 31, v0
	s_cbranch_execz .LBB1084_125
; %bb.124:
	v_lshl_add_u32 v8, v83, 3, -8
	ds_load_b64 v[22:23], v8
.LBB1084_125:
	s_or_b32 exec_lo, exec_lo, s0
	v_add_nc_u32_e32 v8, -1, v82
	s_waitcnt lgkmcnt(0)
	v_add_nc_u32_e32 v24, v23, v6
	v_add_nc_u32_e32 v9, v22, v5
	ds_load_b64 v[5:6], v7 offset:56
	v_cmp_gt_i32_e32 vcc_lo, 0, v8
	v_cndmask_b32_e32 v8, v8, v82, vcc_lo
	s_delay_alu instid0(VALU_DEP_1)
	v_lshlrev_b32_e32 v8, 2, v8
	ds_bpermute_b32 v9, v8, v9
	ds_bpermute_b32 v24, v8, v24
	s_waitcnt lgkmcnt(2)
	v_readfirstlane_b32 s0, v6
	s_and_saveexec_b32 s1, s2
	s_cbranch_execz .LBB1084_127
; %bb.126:
	s_mov_b32 s8, 0
	s_add_u32 s6, s36, 0x200
	s_addc_u32 s7, s37, 0
	s_and_b32 s9, s0, 0xff000000
	s_and_b32 s11, s0, 0xff0000
	s_mov_b32 s10, s8
	v_mov_b32_e32 v26, s7
	s_or_b64 s[10:11], s[10:11], s[8:9]
	s_and_b32 s9, s0, 0xff00
	v_dual_mov_b32 v8, 0 :: v_dual_mov_b32 v25, s6
	s_or_b64 s[10:11], s[10:11], s[8:9]
	s_and_b32 s9, s0, 0xff
	v_mov_b32_e32 v7, 2
	s_or_b64 s[8:9], s[10:11], s[8:9]
	s_delay_alu instid0(SALU_CYCLE_1)
	v_mov_b32_e32 v6, s9
	;;#ASMSTART
	global_store_dwordx4 v[25:26], v[5:8] off	
s_waitcnt vmcnt(0)
	;;#ASMEND
.LBB1084_127:
	s_or_b32 exec_lo, exec_lo, s1
	v_cmp_eq_u32_e32 vcc_lo, 0, v82
	v_dual_mov_b32 v7, 0 :: v_dual_mov_b32 v6, s0
	s_waitcnt lgkmcnt(0)
	s_barrier
	v_dual_cndmask_b32 v8, v9, v22 :: v_dual_cndmask_b32 v9, v24, v23
	buffer_gl0_inv
	v_cndmask_b32_e64 v22, v8, 0, s2
	v_cndmask_b32_e64 v9, v9, 0, s2
	v_mov_b32_e32 v8, 0
.LBB1084_128:
	s_delay_alu instid0(VALU_DEP_1) | instskip(SKIP_1) | instid1(VALU_DEP_2)
	v_add_nc_u32_e32 v24, v9, v81
	s_waitcnt lgkmcnt(0)
	v_sub_nc_u32_e32 v9, v9, v8
	v_add_co_u32 v1, vcc_lo, v1, v7
	v_and_b32_e32 v35, 1, v35
	v_add_nc_u32_e32 v26, v24, v77
	v_sub_nc_u32_e32 v24, v24, v8
	v_lshlrev_b32_e32 v77, 1, v5
	v_add_nc_u32_e32 v9, v9, v5
	v_add_co_ci_u32_e32 v2, vcc_lo, 0, v2, vcc_lo
	v_add_nc_u32_e32 v28, v26, v79
	s_delay_alu instid0(VALU_DEP_4)
	v_add3_u32 v33, v77, v6, v33
	v_and_b32_e32 v40, 1, v40
	v_and_b32_e32 v37, 1, v37
	;; [unrolled: 1-line block ×3, first 2 shown]
	v_add_nc_u32_e32 v29, v28, v75
	v_sub_nc_u32_e32 v28, v28, v8
	v_sub_co_u32 v75, vcc_lo, v3, v5
	s_add_u32 s1, s14, -4
	s_delay_alu instid0(VALU_DEP_3) | instskip(SKIP_4) | instid1(VALU_DEP_3)
	v_add_nc_u32_e32 v73, v29, v73
	v_sub_nc_u32_e32 v29, v29, v8
	v_add_nc_u32_e32 v28, v28, v5
	v_add_nc_u32_e32 v24, v24, v5
	s_mov_b32 s3, -1
	v_add_nc_u32_e32 v29, v29, v5
	v_add_nc_u32_e32 v23, v22, v80
	v_sub_nc_u32_e32 v22, v22, v7
	s_delay_alu instid0(VALU_DEP_2) | instskip(SKIP_3) | instid1(VALU_DEP_3)
	v_add_nc_u32_e32 v25, v23, v76
	v_sub_nc_u32_e32 v23, v23, v7
	v_subrev_co_ci_u32_e32 v76, vcc_lo, 0, v4, vcc_lo
	v_cmp_eq_u32_e32 vcc_lo, 1, v35
	v_add_nc_u32_e32 v79, v24, v23
	s_delay_alu instid0(VALU_DEP_1) | instskip(NEXT) | instid1(VALU_DEP_1)
	v_sub_nc_u32_e32 v79, v33, v79
	v_add_nc_u32_e32 v79, 1, v79
	v_add_nc_u32_e32 v27, v25, v78
	;; [unrolled: 1-line block ×3, first 2 shown]
	s_delay_alu instid0(VALU_DEP_1) | instskip(NEXT) | instid1(VALU_DEP_1)
	v_sub_nc_u32_e32 v78, v33, v78
	v_dual_cndmask_b32 v9, v78, v9 :: v_dual_and_b32 v34, 1, v34
	v_cmp_eq_u32_e32 vcc_lo, 1, v40
	v_cndmask_b32_e32 v24, v79, v24, vcc_lo
	s_delay_alu instid0(VALU_DEP_3) | instskip(NEXT) | instid1(VALU_DEP_4)
	v_cmp_eq_u32_e32 vcc_lo, 1, v34
	v_cndmask_b32_e32 v9, v9, v22, vcc_lo
	v_sub_nc_u32_e32 v26, v26, v8
	v_cmp_eq_u32_e32 vcc_lo, 1, v37
	v_and_b32_e32 v37, 1, v38
	s_delay_alu instid0(VALU_DEP_4) | instskip(NEXT) | instid1(VALU_DEP_4)
	v_lshlrev_b32_e32 v9, 2, v9
	v_add_nc_u32_e32 v26, v26, v5
	v_cndmask_b32_e32 v24, v24, v23, vcc_lo
	v_sub_nc_u32_e32 v25, v25, v7
	v_add_co_u32 v22, vcc_lo, v75, v8
	v_add_co_ci_u32_e32 v23, vcc_lo, 0, v76, vcc_lo
	s_delay_alu instid0(VALU_DEP_3)
	v_add_nc_u32_e32 v34, v26, v25
	v_cmp_eq_u32_e32 vcc_lo, 1, v37
	v_lshlrev_b32_e32 v24, 2, v24
	ds_store_b32 v9, v20
	v_sub_nc_u32_e32 v34, v33, v34
	ds_store_b32 v24, v21
	v_and_b32_e32 v24, 1, v39
	v_add_nc_u32_e32 v34, 2, v34
	s_delay_alu instid0(VALU_DEP_1) | instskip(SKIP_3) | instid1(VALU_DEP_4)
	v_cndmask_b32_e32 v26, v34, v26, vcc_lo
	v_cmp_eq_u32_e32 vcc_lo, 1, v36
	v_add_nc_u32_e32 v74, v27, v74
	v_sub_nc_u32_e32 v27, v27, v7
	v_cndmask_b32_e32 v25, v26, v25, vcc_lo
	s_delay_alu instid0(VALU_DEP_3) | instskip(NEXT) | instid1(VALU_DEP_3)
	v_sub_nc_u32_e32 v37, v74, v7
	v_add_nc_u32_e32 v34, v27, v28
	v_cmp_eq_u32_e32 vcc_lo, 1, v24
	v_sub_nc_u32_e32 v26, v73, v8
	v_lshlrev_b32_e32 v21, 2, v25
	v_and_b32_e32 v25, 1, v41
	v_sub_nc_u32_e32 v9, v33, v34
	v_add_nc_u32_e32 v20, v37, v29
	v_and_b32_e32 v24, 1, v42
	v_add_nc_u32_e32 v26, v26, v5
	ds_store_b32 v21, v18
	v_add_nc_u32_e32 v9, 3, v9
	v_sub_nc_u32_e32 v20, v33, v20
	s_delay_alu instid0(VALU_DEP_2) | instskip(SKIP_2) | instid1(VALU_DEP_4)
	v_cndmask_b32_e32 v9, v9, v28, vcc_lo
	v_cmp_eq_u32_e32 vcc_lo, 1, v25
	v_add_nc_u32_e32 v72, v74, v72
	v_add_nc_u32_e32 v20, 4, v20
	v_and_b32_e32 v25, 1, v43
	v_cndmask_b32_e32 v9, v9, v27, vcc_lo
	s_delay_alu instid0(VALU_DEP_4)
	v_sub_nc_u32_e32 v28, v72, v7
	v_cmp_eq_u32_e32 vcc_lo, 1, v24
	v_and_b32_e32 v24, 1, v44
	v_add_nc_u32_e32 v70, v72, v70
	v_lshlrev_b32_e32 v9, 2, v9
	v_add_nc_u32_e32 v27, v28, v26
	v_cndmask_b32_e32 v20, v20, v29, vcc_lo
	v_cmp_eq_u32_e32 vcc_lo, 1, v25
	v_and_b32_e32 v25, 1, v45
	v_add_nc_u32_e32 v64, v70, v64
	v_sub_nc_u32_e32 v18, v33, v27
	v_sub_nc_u32_e32 v27, v70, v7
	v_cndmask_b32_e32 v20, v20, v37, vcc_lo
	v_cmp_eq_u32_e32 vcc_lo, 1, v24
	ds_store_b32 v9, v19
	v_add_nc_u32_e32 v18, 5, v18
	v_and_b32_e32 v19, 1, v46
	v_lshlrev_b32_e32 v20, 2, v20
	v_add_nc_u32_e32 v68, v64, v68
	s_delay_alu instid0(VALU_DEP_4)
	v_cndmask_b32_e32 v18, v18, v26, vcc_lo
	v_cmp_eq_u32_e32 vcc_lo, 1, v25
	v_sub_nc_u32_e32 v25, v64, v7
	ds_store_b32 v20, v16
	v_and_b32_e32 v20, 1, v49
	v_add_nc_u32_e32 v66, v68, v66
	v_dual_cndmask_b32 v18, v18, v28 :: v_dual_add_nc_u32 v71, v73, v71
	v_cmp_eq_u32_e32 vcc_lo, 1, v19
	v_and_b32_e32 v19, 1, v48
	s_delay_alu instid0(VALU_DEP_4) | instskip(NEXT) | instid1(VALU_DEP_4)
	v_add_nc_u32_e32 v61, v66, v61
	v_lshlrev_b32_e32 v18, 2, v18
	v_add_nc_u32_e32 v65, v71, v65
	v_sub_nc_u32_e32 v21, v71, v8
	s_delay_alu instid0(VALU_DEP_4)
	v_add_nc_u32_e32 v60, v61, v60
	ds_store_b32 v18, v17
	v_sub_nc_u32_e32 v24, v65, v8
	v_add_nc_u32_e32 v21, v21, v5
	v_add_nc_u32_e32 v69, v65, v69
	v_and_b32_e32 v17, 1, v47
	s_delay_alu instid0(VALU_DEP_4) | instskip(NEXT) | instid1(VALU_DEP_4)
	v_add_nc_u32_e32 v24, v24, v5
	v_add_nc_u32_e32 v26, v27, v21
	s_delay_alu instid0(VALU_DEP_4) | instskip(NEXT) | instid1(VALU_DEP_3)
	v_sub_nc_u32_e32 v18, v69, v8
	v_add_nc_u32_e32 v16, v25, v24
	s_delay_alu instid0(VALU_DEP_3) | instskip(NEXT) | instid1(VALU_DEP_3)
	v_sub_nc_u32_e32 v9, v33, v26
	v_add_nc_u32_e32 v18, v18, v5
	v_sub_nc_u32_e32 v26, v60, v7
	s_delay_alu instid0(VALU_DEP_4) | instskip(NEXT) | instid1(VALU_DEP_4)
	v_sub_nc_u32_e32 v16, v33, v16
	v_add_nc_u32_e32 v9, 6, v9
	s_delay_alu instid0(VALU_DEP_1) | instskip(SKIP_2) | instid1(VALU_DEP_3)
	v_dual_cndmask_b32 v9, v9, v21 :: v_dual_add_nc_u32 v16, 7, v16
	v_cmp_eq_u32_e32 vcc_lo, 1, v19
	v_sub_nc_u32_e32 v21, v68, v7
	v_cndmask_b32_e32 v16, v16, v24, vcc_lo
	v_cmp_eq_u32_e32 vcc_lo, 1, v17
	s_delay_alu instid0(VALU_DEP_3) | instskip(SKIP_3) | instid1(VALU_DEP_4)
	v_add_nc_u32_e32 v17, v21, v18
	v_cndmask_b32_e32 v9, v9, v27, vcc_lo
	v_cmp_eq_u32_e32 vcc_lo, 1, v20
	v_add_nc_u32_e32 v67, v69, v67
	v_sub_nc_u32_e32 v17, v33, v17
	v_sub_nc_u32_e32 v20, v66, v7
	v_lshlrev_b32_e32 v9, 2, v9
	v_cndmask_b32_e32 v16, v16, v25, vcc_lo
	v_sub_nc_u32_e32 v19, v67, v8
	v_add_nc_u32_e32 v62, v67, v62
	v_sub_nc_u32_e32 v25, v61, v7
	ds_store_b32 v9, v14
	v_and_b32_e32 v9, 1, v50
	v_add_nc_u32_e32 v19, v19, v5
	v_add_nc_u32_e32 v14, 8, v17
	v_lshlrev_b32_e32 v16, 2, v16
	v_add_nc_u32_e32 v63, v62, v63
	v_cmp_eq_u32_e32 vcc_lo, 1, v9
	v_add_nc_u32_e32 v17, v20, v19
	ds_store_b32 v16, v15
	v_and_b32_e32 v15, 1, v51
	v_cndmask_b32_e32 v9, v14, v18, vcc_lo
	v_sub_nc_u32_e32 v14, v33, v17
	v_and_b32_e32 v18, 1, v52
	v_sub_nc_u32_e32 v17, v62, v8
	v_and_b32_e32 v16, 1, v54
	v_sub_nc_u32_e32 v24, v63, v8
	v_add_nc_u32_e32 v14, 9, v14
	v_cmp_eq_u32_e32 vcc_lo, 1, v18
	v_add_nc_u32_e32 v17, v17, v5
	v_add_nc_u32_e32 v35, v63, v59
	;; [unrolled: 1-line block ×3, first 2 shown]
	v_cndmask_b32_e32 v14, v14, v19, vcc_lo
	v_cmp_eq_u32_e32 vcc_lo, 1, v15
	v_add_nc_u32_e32 v15, v25, v17
	s_delay_alu instid0(VALU_DEP_4)
	v_add_nc_u32_e32 v18, v26, v24
	v_and_b32_e32 v19, 1, v55
	v_cndmask_b32_e32 v9, v9, v21, vcc_lo
	v_cmp_eq_u32_e32 vcc_lo, 1, v16
	v_sub_nc_u32_e32 v15, v33, v15
	v_sub_nc_u32_e32 v18, v33, v18
	v_and_b32_e32 v21, 1, v57
	v_sub_nc_u32_e32 v16, v35, v8
	v_cndmask_b32_e32 v14, v14, v20, vcc_lo
	v_and_b32_e32 v20, 1, v53
	v_add_nc_u32_e32 v15, 10, v15
	v_add_nc_u32_e32 v18, 11, v18
	;; [unrolled: 1-line block ×3, first 2 shown]
	v_lshlrev_b32_e32 v9, 2, v9
	v_cmp_eq_u32_e32 vcc_lo, 1, v20
	v_dual_cndmask_b32 v15, v15, v17 :: v_dual_lshlrev_b32 v14, 2, v14
	v_cmp_eq_u32_e32 vcc_lo, 1, v21
	v_and_b32_e32 v17, 1, v56
	v_cndmask_b32_e32 v18, v18, v24, vcc_lo
	v_cmp_eq_u32_e32 vcc_lo, 1, v19
	v_cndmask_b32_e32 v15, v15, v25, vcc_lo
	s_delay_alu instid0(VALU_DEP_4) | instskip(NEXT) | instid1(VALU_DEP_2)
	v_cmp_eq_u32_e32 vcc_lo, 1, v17
	v_lshlrev_b32_e32 v15, 2, v15
	v_cndmask_b32_e32 v17, v18, v26, vcc_lo
	v_add_nc_u32_e32 v40, v60, v58
	s_delay_alu instid0(VALU_DEP_2) | instskip(NEXT) | instid1(VALU_DEP_2)
	v_lshlrev_b32_e32 v17, 2, v17
	v_sub_nc_u32_e32 v7, v40, v7
	ds_store_b32 v9, v12
	ds_store_b32 v14, v13
	;; [unrolled: 1-line block ×4, first 2 shown]
	v_add_co_u32 v9, s0, v6, v77
	s_delay_alu instid0(VALU_DEP_1) | instskip(SKIP_1) | instid1(VALU_DEP_3)
	v_add_co_ci_u32_e64 v10, null, 0, 0, s0
	v_add_nc_u32_e32 v27, v7, v16
	v_add_co_u32 v9, vcc_lo, v9, v22
	s_delay_alu instid0(VALU_DEP_3) | instskip(NEXT) | instid1(VALU_DEP_3)
	v_add_co_ci_u32_e32 v10, vcc_lo, v10, v23, vcc_lo
	v_sub_nc_u32_e32 v20, v33, v27
	v_add_co_u32 v11, s0, s34, v30
	s_delay_alu instid0(VALU_DEP_4) | instskip(NEXT) | instid1(VALU_DEP_3)
	v_add_co_u32 v9, vcc_lo, v9, v1
	v_add_nc_u32_e32 v18, 12, v20
	v_add_co_ci_u32_e64 v12, null, s35, 0, s0
	v_add_co_ci_u32_e32 v10, vcc_lo, v10, v2, vcc_lo
	s_delay_alu instid0(VALU_DEP_3) | instskip(SKIP_1) | instid1(VALU_DEP_2)
	v_cndmask_b32_e64 v16, v18, v16, s33
	v_add_nc_u32_e32 v14, v5, v6
	v_cndmask_b32_e64 v7, v16, v7, s27
	s_delay_alu instid0(VALU_DEP_1)
	v_lshlrev_b32_e32 v7, 2, v7
	ds_store_b32 v7, v32
	v_sub_co_u32 v7, vcc_lo, v11, v9
	v_sub_co_ci_u32_e32 v13, vcc_lo, v12, v10, vcc_lo
	v_lshlrev_b64 v[9:10], 2, v[22:23]
	v_lshlrev_b64 v[11:12], 2, v[1:2]
	s_waitcnt lgkmcnt(0)
	s_barrier
	buffer_gl0_inv
	v_add_co_u32 v9, vcc_lo, s30, v9
	v_add_co_ci_u32_e32 v10, vcc_lo, s31, v10, vcc_lo
	v_cmp_ne_u32_e32 vcc_lo, 1, v31
	v_add_co_u32 v11, s0, s28, v11
	s_delay_alu instid0(VALU_DEP_1)
	v_add_co_ci_u32_e64 v12, s0, s29, v12, s0
	s_addc_u32 s0, s15, -1
	s_cbranch_vccz .LBB1084_132
; %bb.129:
	s_and_b32 vcc_lo, exec_lo, s3
	s_cbranch_vccnz .LBB1084_237
.LBB1084_130:
	s_and_b32 s0, s2, s13
	s_delay_alu instid0(SALU_CYCLE_1)
	s_and_saveexec_b32 s1, s0
	s_cbranch_execnz .LBB1084_355
.LBB1084_131:
	s_nop 0
	s_sendmsg sendmsg(MSG_DEALLOC_VGPRS)
	s_endpgm
.LBB1084_132:
	s_mov_b32 s3, exec_lo
	v_cmpx_le_u32_e64 v5, v0
	s_xor_b32 s3, exec_lo, s3
	s_cbranch_execz .LBB1084_138
; %bb.133:
	s_mov_b32 s5, exec_lo
	v_cmpx_le_u32_e64 v14, v0
	s_xor_b32 s5, exec_lo, s5
	s_cbranch_execz .LBB1084_135
; %bb.134:
	v_lshlrev_b32_e32 v15, 2, v0
	ds_load_b32 v17, v15
	v_add_co_u32 v15, vcc_lo, v7, v0
	v_add_co_ci_u32_e32 v16, vcc_lo, 0, v13, vcc_lo
	s_delay_alu instid0(VALU_DEP_1) | instskip(NEXT) | instid1(VALU_DEP_1)
	v_lshlrev_b64 v[15:16], 2, v[15:16]
	v_sub_co_u32 v15, vcc_lo, s14, v15
	s_delay_alu instid0(VALU_DEP_2)
	v_sub_co_ci_u32_e32 v16, vcc_lo, s15, v16, vcc_lo
	s_waitcnt lgkmcnt(0)
	global_store_b32 v[15:16], v17, off offset:-4
.LBB1084_135:
	s_and_not1_saveexec_b32 s5, s5
	s_cbranch_execz .LBB1084_137
; %bb.136:
	v_lshlrev_b32_e32 v15, 2, v0
	v_readfirstlane_b32 s6, v9
	v_readfirstlane_b32 s7, v10
	ds_load_b32 v16, v15
	s_waitcnt lgkmcnt(0)
	global_store_b32 v15, v16, s[6:7]
.LBB1084_137:
	s_or_b32 exec_lo, exec_lo, s5
.LBB1084_138:
	s_and_not1_saveexec_b32 s3, s3
	s_cbranch_execz .LBB1084_140
; %bb.139:
	v_lshlrev_b32_e32 v15, 2, v0
	v_readfirstlane_b32 s6, v11
	v_readfirstlane_b32 s7, v12
	ds_load_b32 v16, v15
	s_waitcnt lgkmcnt(0)
	global_store_b32 v15, v16, s[6:7]
.LBB1084_140:
	s_or_b32 exec_lo, exec_lo, s3
	v_or_b32_e32 v15, 0x100, v0
	s_mov_b32 s3, exec_lo
	s_delay_alu instid0(VALU_DEP_1)
	v_cmpx_le_u32_e64 v5, v15
	s_xor_b32 s3, exec_lo, s3
	s_cbranch_execz .LBB1084_146
; %bb.141:
	s_mov_b32 s5, exec_lo
	v_cmpx_le_u32_e64 v14, v15
	s_xor_b32 s5, exec_lo, s5
	s_cbranch_execz .LBB1084_143
; %bb.142:
	v_lshlrev_b32_e32 v15, 2, v0
	ds_load_b32 v17, v15 offset:1024
	v_add_co_u32 v15, vcc_lo, v7, v0
	v_add_co_ci_u32_e32 v16, vcc_lo, 0, v13, vcc_lo
	s_delay_alu instid0(VALU_DEP_1) | instskip(NEXT) | instid1(VALU_DEP_1)
	v_lshlrev_b64 v[15:16], 2, v[15:16]
	v_sub_co_u32 v15, vcc_lo, s1, v15
	s_delay_alu instid0(VALU_DEP_2)
	v_sub_co_ci_u32_e32 v16, vcc_lo, s0, v16, vcc_lo
	s_waitcnt lgkmcnt(0)
	global_store_b32 v[15:16], v17, off offset:-1024
.LBB1084_143:
	s_and_not1_saveexec_b32 s5, s5
	s_cbranch_execz .LBB1084_145
; %bb.144:
	v_lshlrev_b32_e32 v15, 2, v0
	v_readfirstlane_b32 s6, v9
	v_readfirstlane_b32 s7, v10
	ds_load_b32 v16, v15 offset:1024
	s_waitcnt lgkmcnt(0)
	global_store_b32 v15, v16, s[6:7] offset:1024
.LBB1084_145:
	s_or_b32 exec_lo, exec_lo, s5
.LBB1084_146:
	s_and_not1_saveexec_b32 s3, s3
	s_cbranch_execz .LBB1084_148
; %bb.147:
	v_lshlrev_b32_e32 v15, 2, v0
	v_readfirstlane_b32 s6, v11
	v_readfirstlane_b32 s7, v12
	ds_load_b32 v16, v15 offset:1024
	s_waitcnt lgkmcnt(0)
	global_store_b32 v15, v16, s[6:7] offset:1024
.LBB1084_148:
	s_or_b32 exec_lo, exec_lo, s3
	v_or_b32_e32 v15, 0x200, v0
	s_mov_b32 s3, exec_lo
	s_delay_alu instid0(VALU_DEP_1)
	v_cmpx_le_u32_e64 v5, v15
	s_xor_b32 s3, exec_lo, s3
	s_cbranch_execz .LBB1084_154
; %bb.149:
	s_mov_b32 s5, exec_lo
	v_cmpx_le_u32_e64 v14, v15
	s_xor_b32 s5, exec_lo, s5
	s_cbranch_execz .LBB1084_151
; %bb.150:
	v_lshlrev_b32_e32 v15, 2, v0
	ds_load_b32 v17, v15 offset:2048
	v_add_co_u32 v15, vcc_lo, v7, v0
	v_add_co_ci_u32_e32 v16, vcc_lo, 0, v13, vcc_lo
	s_delay_alu instid0(VALU_DEP_1) | instskip(NEXT) | instid1(VALU_DEP_1)
	v_lshlrev_b64 v[15:16], 2, v[15:16]
	v_sub_co_u32 v15, vcc_lo, s1, v15
	s_delay_alu instid0(VALU_DEP_2)
	v_sub_co_ci_u32_e32 v16, vcc_lo, s0, v16, vcc_lo
	s_waitcnt lgkmcnt(0)
	global_store_b32 v[15:16], v17, off offset:-2048
.LBB1084_151:
	s_and_not1_saveexec_b32 s5, s5
	s_cbranch_execz .LBB1084_153
; %bb.152:
	v_lshlrev_b32_e32 v15, 2, v0
	v_readfirstlane_b32 s6, v9
	v_readfirstlane_b32 s7, v10
	ds_load_b32 v16, v15 offset:2048
	s_waitcnt lgkmcnt(0)
	global_store_b32 v15, v16, s[6:7] offset:2048
.LBB1084_153:
	s_or_b32 exec_lo, exec_lo, s5
.LBB1084_154:
	s_and_not1_saveexec_b32 s3, s3
	s_cbranch_execz .LBB1084_156
; %bb.155:
	v_lshlrev_b32_e32 v15, 2, v0
	v_readfirstlane_b32 s6, v11
	v_readfirstlane_b32 s7, v12
	ds_load_b32 v16, v15 offset:2048
	s_waitcnt lgkmcnt(0)
	global_store_b32 v15, v16, s[6:7] offset:2048
.LBB1084_156:
	;; [unrolled: 47-line block ×3, first 2 shown]
	s_or_b32 exec_lo, exec_lo, s3
	v_or_b32_e32 v15, 0x400, v0
	s_mov_b32 s3, exec_lo
	s_delay_alu instid0(VALU_DEP_1)
	v_cmpx_le_u32_e64 v5, v15
	s_xor_b32 s3, exec_lo, s3
	s_cbranch_execz .LBB1084_170
; %bb.165:
	s_mov_b32 s5, exec_lo
	v_cmpx_le_u32_e64 v14, v15
	s_xor_b32 s5, exec_lo, s5
	s_cbranch_execz .LBB1084_167
; %bb.166:
	v_lshlrev_b32_e32 v15, 2, v0
	ds_load_b32 v17, v15 offset:4096
	v_add_co_u32 v15, vcc_lo, v7, v0
	v_add_co_ci_u32_e32 v16, vcc_lo, 0, v13, vcc_lo
	s_delay_alu instid0(VALU_DEP_1) | instskip(NEXT) | instid1(VALU_DEP_1)
	v_lshlrev_b64 v[15:16], 2, v[15:16]
	v_sub_co_u32 v15, vcc_lo, s1, v15
	s_delay_alu instid0(VALU_DEP_2)
	v_sub_co_ci_u32_e32 v16, vcc_lo, s0, v16, vcc_lo
	s_waitcnt lgkmcnt(0)
	global_store_b32 v[15:16], v17, off offset:-4096
                                        ; implicit-def: $vgpr15
.LBB1084_167:
	s_and_not1_saveexec_b32 s5, s5
	s_cbranch_execz .LBB1084_169
; %bb.168:
	v_lshlrev_b32_e32 v16, 2, v0
	v_lshlrev_b32_e32 v15, 2, v15
	v_readfirstlane_b32 s6, v9
	v_readfirstlane_b32 s7, v10
	ds_load_b32 v16, v16 offset:4096
	s_waitcnt lgkmcnt(0)
	global_store_b32 v15, v16, s[6:7]
.LBB1084_169:
	s_or_b32 exec_lo, exec_lo, s5
                                        ; implicit-def: $vgpr15
.LBB1084_170:
	s_and_not1_saveexec_b32 s3, s3
	s_cbranch_execz .LBB1084_172
; %bb.171:
	v_lshlrev_b32_e32 v16, 2, v0
	v_lshlrev_b32_e32 v15, 2, v15
	v_readfirstlane_b32 s6, v11
	v_readfirstlane_b32 s7, v12
	ds_load_b32 v16, v16 offset:4096
	s_waitcnt lgkmcnt(0)
	global_store_b32 v15, v16, s[6:7]
.LBB1084_172:
	s_or_b32 exec_lo, exec_lo, s3
	v_or_b32_e32 v15, 0x500, v0
	s_mov_b32 s3, exec_lo
	s_delay_alu instid0(VALU_DEP_1)
	v_cmpx_le_u32_e64 v5, v15
	s_xor_b32 s3, exec_lo, s3
	s_cbranch_execz .LBB1084_178
; %bb.173:
	s_mov_b32 s5, exec_lo
	v_cmpx_le_u32_e64 v14, v15
	s_xor_b32 s5, exec_lo, s5
	s_cbranch_execz .LBB1084_175
; %bb.174:
	v_lshlrev_b32_e32 v16, 2, v0
	v_add_co_u32 v15, vcc_lo, v7, v15
	ds_load_b32 v17, v16 offset:5120
	v_add_co_ci_u32_e32 v16, vcc_lo, 0, v13, vcc_lo
	s_delay_alu instid0(VALU_DEP_1) | instskip(NEXT) | instid1(VALU_DEP_1)
	v_lshlrev_b64 v[15:16], 2, v[15:16]
	v_sub_co_u32 v15, vcc_lo, s1, v15
	s_delay_alu instid0(VALU_DEP_2)
	v_sub_co_ci_u32_e32 v16, vcc_lo, s0, v16, vcc_lo
	s_waitcnt lgkmcnt(0)
	global_store_b32 v[15:16], v17, off
                                        ; implicit-def: $vgpr15
.LBB1084_175:
	s_and_not1_saveexec_b32 s5, s5
	s_cbranch_execz .LBB1084_177
; %bb.176:
	v_lshlrev_b32_e32 v16, 2, v0
	v_lshlrev_b32_e32 v15, 2, v15
	v_readfirstlane_b32 s6, v9
	v_readfirstlane_b32 s7, v10
	ds_load_b32 v16, v16 offset:5120
	s_waitcnt lgkmcnt(0)
	global_store_b32 v15, v16, s[6:7]
.LBB1084_177:
	s_or_b32 exec_lo, exec_lo, s5
                                        ; implicit-def: $vgpr15
.LBB1084_178:
	s_and_not1_saveexec_b32 s3, s3
	s_cbranch_execz .LBB1084_180
; %bb.179:
	v_lshlrev_b32_e32 v16, 2, v0
	v_lshlrev_b32_e32 v15, 2, v15
	v_readfirstlane_b32 s6, v11
	v_readfirstlane_b32 s7, v12
	ds_load_b32 v16, v16 offset:5120
	s_waitcnt lgkmcnt(0)
	global_store_b32 v15, v16, s[6:7]
.LBB1084_180:
	s_or_b32 exec_lo, exec_lo, s3
	v_or_b32_e32 v15, 0x600, v0
	s_mov_b32 s3, exec_lo
	s_delay_alu instid0(VALU_DEP_1)
	v_cmpx_le_u32_e64 v5, v15
	s_xor_b32 s3, exec_lo, s3
	s_cbranch_execz .LBB1084_186
; %bb.181:
	s_mov_b32 s5, exec_lo
	v_cmpx_le_u32_e64 v14, v15
	s_xor_b32 s5, exec_lo, s5
	s_cbranch_execz .LBB1084_183
; %bb.182:
	v_lshlrev_b32_e32 v16, 2, v0
	v_add_co_u32 v15, vcc_lo, v7, v15
	ds_load_b32 v17, v16 offset:6144
	v_add_co_ci_u32_e32 v16, vcc_lo, 0, v13, vcc_lo
	s_delay_alu instid0(VALU_DEP_1) | instskip(NEXT) | instid1(VALU_DEP_1)
	v_lshlrev_b64 v[15:16], 2, v[15:16]
	v_sub_co_u32 v15, vcc_lo, s1, v15
	s_delay_alu instid0(VALU_DEP_2)
	v_sub_co_ci_u32_e32 v16, vcc_lo, s0, v16, vcc_lo
	s_waitcnt lgkmcnt(0)
	global_store_b32 v[15:16], v17, off
                                        ; implicit-def: $vgpr15
.LBB1084_183:
	s_and_not1_saveexec_b32 s5, s5
	s_cbranch_execz .LBB1084_185
; %bb.184:
	v_lshlrev_b32_e32 v16, 2, v0
	v_lshlrev_b32_e32 v15, 2, v15
	v_readfirstlane_b32 s6, v9
	v_readfirstlane_b32 s7, v10
	ds_load_b32 v16, v16 offset:6144
	s_waitcnt lgkmcnt(0)
	global_store_b32 v15, v16, s[6:7]
.LBB1084_185:
	s_or_b32 exec_lo, exec_lo, s5
                                        ; implicit-def: $vgpr15
.LBB1084_186:
	s_and_not1_saveexec_b32 s3, s3
	s_cbranch_execz .LBB1084_188
; %bb.187:
	v_lshlrev_b32_e32 v16, 2, v0
	v_lshlrev_b32_e32 v15, 2, v15
	v_readfirstlane_b32 s6, v11
	v_readfirstlane_b32 s7, v12
	ds_load_b32 v16, v16 offset:6144
	s_waitcnt lgkmcnt(0)
	global_store_b32 v15, v16, s[6:7]
.LBB1084_188:
	s_or_b32 exec_lo, exec_lo, s3
	v_or_b32_e32 v15, 0x700, v0
	s_mov_b32 s3, exec_lo
	s_delay_alu instid0(VALU_DEP_1)
	v_cmpx_le_u32_e64 v5, v15
	s_xor_b32 s3, exec_lo, s3
	s_cbranch_execz .LBB1084_194
; %bb.189:
	s_mov_b32 s5, exec_lo
	v_cmpx_le_u32_e64 v14, v15
	s_xor_b32 s5, exec_lo, s5
	s_cbranch_execz .LBB1084_191
; %bb.190:
	v_lshlrev_b32_e32 v16, 2, v0
	v_add_co_u32 v15, vcc_lo, v7, v15
	ds_load_b32 v17, v16 offset:7168
	v_add_co_ci_u32_e32 v16, vcc_lo, 0, v13, vcc_lo
	s_delay_alu instid0(VALU_DEP_1) | instskip(NEXT) | instid1(VALU_DEP_1)
	v_lshlrev_b64 v[15:16], 2, v[15:16]
	v_sub_co_u32 v15, vcc_lo, s1, v15
	s_delay_alu instid0(VALU_DEP_2)
	v_sub_co_ci_u32_e32 v16, vcc_lo, s0, v16, vcc_lo
	s_waitcnt lgkmcnt(0)
	global_store_b32 v[15:16], v17, off
                                        ; implicit-def: $vgpr15
.LBB1084_191:
	s_and_not1_saveexec_b32 s5, s5
	s_cbranch_execz .LBB1084_193
; %bb.192:
	v_lshlrev_b32_e32 v16, 2, v0
	v_lshlrev_b32_e32 v15, 2, v15
	v_readfirstlane_b32 s6, v9
	v_readfirstlane_b32 s7, v10
	ds_load_b32 v16, v16 offset:7168
	s_waitcnt lgkmcnt(0)
	global_store_b32 v15, v16, s[6:7]
.LBB1084_193:
	s_or_b32 exec_lo, exec_lo, s5
                                        ; implicit-def: $vgpr15
.LBB1084_194:
	s_and_not1_saveexec_b32 s3, s3
	s_cbranch_execz .LBB1084_196
; %bb.195:
	v_lshlrev_b32_e32 v16, 2, v0
	v_lshlrev_b32_e32 v15, 2, v15
	v_readfirstlane_b32 s6, v11
	v_readfirstlane_b32 s7, v12
	ds_load_b32 v16, v16 offset:7168
	s_waitcnt lgkmcnt(0)
	global_store_b32 v15, v16, s[6:7]
.LBB1084_196:
	s_or_b32 exec_lo, exec_lo, s3
	v_or_b32_e32 v15, 0x800, v0
	s_mov_b32 s3, exec_lo
	s_delay_alu instid0(VALU_DEP_1)
	v_cmpx_le_u32_e64 v5, v15
	s_xor_b32 s3, exec_lo, s3
	s_cbranch_execz .LBB1084_202
; %bb.197:
	s_mov_b32 s5, exec_lo
	v_cmpx_le_u32_e64 v14, v15
	s_xor_b32 s5, exec_lo, s5
	s_cbranch_execz .LBB1084_199
; %bb.198:
	v_lshlrev_b32_e32 v16, 2, v0
	v_add_co_u32 v15, vcc_lo, v7, v15
	ds_load_b32 v17, v16 offset:8192
	v_add_co_ci_u32_e32 v16, vcc_lo, 0, v13, vcc_lo
	s_delay_alu instid0(VALU_DEP_1) | instskip(NEXT) | instid1(VALU_DEP_1)
	v_lshlrev_b64 v[15:16], 2, v[15:16]
	v_sub_co_u32 v15, vcc_lo, s1, v15
	s_delay_alu instid0(VALU_DEP_2)
	v_sub_co_ci_u32_e32 v16, vcc_lo, s0, v16, vcc_lo
	s_waitcnt lgkmcnt(0)
	global_store_b32 v[15:16], v17, off
                                        ; implicit-def: $vgpr15
.LBB1084_199:
	s_and_not1_saveexec_b32 s5, s5
	s_cbranch_execz .LBB1084_201
; %bb.200:
	v_lshlrev_b32_e32 v16, 2, v0
	v_lshlrev_b32_e32 v15, 2, v15
	v_readfirstlane_b32 s6, v9
	v_readfirstlane_b32 s7, v10
	ds_load_b32 v16, v16 offset:8192
	s_waitcnt lgkmcnt(0)
	global_store_b32 v15, v16, s[6:7]
.LBB1084_201:
	s_or_b32 exec_lo, exec_lo, s5
                                        ; implicit-def: $vgpr15
.LBB1084_202:
	s_and_not1_saveexec_b32 s3, s3
	s_cbranch_execz .LBB1084_204
; %bb.203:
	v_lshlrev_b32_e32 v16, 2, v0
	v_lshlrev_b32_e32 v15, 2, v15
	v_readfirstlane_b32 s6, v11
	v_readfirstlane_b32 s7, v12
	ds_load_b32 v16, v16 offset:8192
	s_waitcnt lgkmcnt(0)
	global_store_b32 v15, v16, s[6:7]
.LBB1084_204:
	s_or_b32 exec_lo, exec_lo, s3
	v_or_b32_e32 v15, 0x900, v0
	s_mov_b32 s3, exec_lo
	s_delay_alu instid0(VALU_DEP_1)
	v_cmpx_le_u32_e64 v5, v15
	s_xor_b32 s3, exec_lo, s3
	s_cbranch_execz .LBB1084_210
; %bb.205:
	s_mov_b32 s5, exec_lo
	v_cmpx_le_u32_e64 v14, v15
	s_xor_b32 s5, exec_lo, s5
	s_cbranch_execz .LBB1084_207
; %bb.206:
	v_lshlrev_b32_e32 v16, 2, v0
	v_add_co_u32 v15, vcc_lo, v7, v15
	ds_load_b32 v17, v16 offset:9216
	v_add_co_ci_u32_e32 v16, vcc_lo, 0, v13, vcc_lo
	s_delay_alu instid0(VALU_DEP_1) | instskip(NEXT) | instid1(VALU_DEP_1)
	v_lshlrev_b64 v[15:16], 2, v[15:16]
	v_sub_co_u32 v15, vcc_lo, s1, v15
	s_delay_alu instid0(VALU_DEP_2)
	v_sub_co_ci_u32_e32 v16, vcc_lo, s0, v16, vcc_lo
	s_waitcnt lgkmcnt(0)
	global_store_b32 v[15:16], v17, off
                                        ; implicit-def: $vgpr15
.LBB1084_207:
	s_and_not1_saveexec_b32 s5, s5
	s_cbranch_execz .LBB1084_209
; %bb.208:
	v_lshlrev_b32_e32 v16, 2, v0
	v_lshlrev_b32_e32 v15, 2, v15
	v_readfirstlane_b32 s6, v9
	v_readfirstlane_b32 s7, v10
	ds_load_b32 v16, v16 offset:9216
	s_waitcnt lgkmcnt(0)
	global_store_b32 v15, v16, s[6:7]
.LBB1084_209:
	s_or_b32 exec_lo, exec_lo, s5
                                        ; implicit-def: $vgpr15
.LBB1084_210:
	s_and_not1_saveexec_b32 s3, s3
	s_cbranch_execz .LBB1084_212
; %bb.211:
	v_lshlrev_b32_e32 v16, 2, v0
	v_lshlrev_b32_e32 v15, 2, v15
	v_readfirstlane_b32 s6, v11
	v_readfirstlane_b32 s7, v12
	ds_load_b32 v16, v16 offset:9216
	s_waitcnt lgkmcnt(0)
	global_store_b32 v15, v16, s[6:7]
.LBB1084_212:
	s_or_b32 exec_lo, exec_lo, s3
	v_or_b32_e32 v15, 0xa00, v0
	s_mov_b32 s3, exec_lo
	s_delay_alu instid0(VALU_DEP_1)
	v_cmpx_le_u32_e64 v5, v15
	s_xor_b32 s3, exec_lo, s3
	s_cbranch_execz .LBB1084_218
; %bb.213:
	s_mov_b32 s5, exec_lo
	v_cmpx_le_u32_e64 v14, v15
	s_xor_b32 s5, exec_lo, s5
	s_cbranch_execz .LBB1084_215
; %bb.214:
	v_lshlrev_b32_e32 v16, 2, v0
	v_add_co_u32 v15, vcc_lo, v7, v15
	ds_load_b32 v17, v16 offset:10240
	v_add_co_ci_u32_e32 v16, vcc_lo, 0, v13, vcc_lo
	s_delay_alu instid0(VALU_DEP_1) | instskip(NEXT) | instid1(VALU_DEP_1)
	v_lshlrev_b64 v[15:16], 2, v[15:16]
	v_sub_co_u32 v15, vcc_lo, s1, v15
	s_delay_alu instid0(VALU_DEP_2)
	v_sub_co_ci_u32_e32 v16, vcc_lo, s0, v16, vcc_lo
	s_waitcnt lgkmcnt(0)
	global_store_b32 v[15:16], v17, off
                                        ; implicit-def: $vgpr15
.LBB1084_215:
	s_and_not1_saveexec_b32 s5, s5
	s_cbranch_execz .LBB1084_217
; %bb.216:
	v_lshlrev_b32_e32 v16, 2, v0
	v_lshlrev_b32_e32 v15, 2, v15
	v_readfirstlane_b32 s6, v9
	v_readfirstlane_b32 s7, v10
	ds_load_b32 v16, v16 offset:10240
	s_waitcnt lgkmcnt(0)
	global_store_b32 v15, v16, s[6:7]
.LBB1084_217:
	s_or_b32 exec_lo, exec_lo, s5
                                        ; implicit-def: $vgpr15
.LBB1084_218:
	s_and_not1_saveexec_b32 s3, s3
	s_cbranch_execz .LBB1084_220
; %bb.219:
	v_lshlrev_b32_e32 v16, 2, v0
	v_lshlrev_b32_e32 v15, 2, v15
	v_readfirstlane_b32 s6, v11
	v_readfirstlane_b32 s7, v12
	ds_load_b32 v16, v16 offset:10240
	s_waitcnt lgkmcnt(0)
	global_store_b32 v15, v16, s[6:7]
.LBB1084_220:
	s_or_b32 exec_lo, exec_lo, s3
	v_or_b32_e32 v15, 0xb00, v0
	s_mov_b32 s3, exec_lo
	s_delay_alu instid0(VALU_DEP_1)
	v_cmpx_le_u32_e64 v5, v15
	s_xor_b32 s3, exec_lo, s3
	s_cbranch_execz .LBB1084_226
; %bb.221:
	s_mov_b32 s5, exec_lo
	v_cmpx_le_u32_e64 v14, v15
	s_xor_b32 s5, exec_lo, s5
	s_cbranch_execz .LBB1084_223
; %bb.222:
	v_lshlrev_b32_e32 v16, 2, v0
	v_add_co_u32 v15, vcc_lo, v7, v15
	ds_load_b32 v17, v16 offset:11264
	v_add_co_ci_u32_e32 v16, vcc_lo, 0, v13, vcc_lo
	s_delay_alu instid0(VALU_DEP_1) | instskip(NEXT) | instid1(VALU_DEP_1)
	v_lshlrev_b64 v[15:16], 2, v[15:16]
	v_sub_co_u32 v15, vcc_lo, s1, v15
	s_delay_alu instid0(VALU_DEP_2)
	v_sub_co_ci_u32_e32 v16, vcc_lo, s0, v16, vcc_lo
	s_waitcnt lgkmcnt(0)
	global_store_b32 v[15:16], v17, off
                                        ; implicit-def: $vgpr15
.LBB1084_223:
	s_and_not1_saveexec_b32 s5, s5
	s_cbranch_execz .LBB1084_225
; %bb.224:
	v_lshlrev_b32_e32 v16, 2, v0
	v_lshlrev_b32_e32 v15, 2, v15
	v_readfirstlane_b32 s6, v9
	v_readfirstlane_b32 s7, v10
	ds_load_b32 v16, v16 offset:11264
	s_waitcnt lgkmcnt(0)
	global_store_b32 v15, v16, s[6:7]
.LBB1084_225:
	s_or_b32 exec_lo, exec_lo, s5
                                        ; implicit-def: $vgpr15
.LBB1084_226:
	s_and_not1_saveexec_b32 s3, s3
	s_cbranch_execz .LBB1084_228
; %bb.227:
	v_lshlrev_b32_e32 v16, 2, v0
	v_lshlrev_b32_e32 v15, 2, v15
	v_readfirstlane_b32 s6, v11
	v_readfirstlane_b32 s7, v12
	ds_load_b32 v16, v16 offset:11264
	s_waitcnt lgkmcnt(0)
	global_store_b32 v15, v16, s[6:7]
.LBB1084_228:
	s_or_b32 exec_lo, exec_lo, s3
	v_or_b32_e32 v15, 0xc00, v0
	s_mov_b32 s3, exec_lo
	s_delay_alu instid0(VALU_DEP_1)
	v_cmpx_le_u32_e64 v5, v15
	s_xor_b32 s3, exec_lo, s3
	s_cbranch_execz .LBB1084_234
; %bb.229:
	s_mov_b32 s5, exec_lo
	v_cmpx_le_u32_e64 v14, v15
	s_xor_b32 s5, exec_lo, s5
	s_cbranch_execz .LBB1084_231
; %bb.230:
	v_lshlrev_b32_e32 v16, 2, v0
	v_add_co_u32 v15, vcc_lo, v7, v15
	ds_load_b32 v17, v16 offset:12288
	v_add_co_ci_u32_e32 v16, vcc_lo, 0, v13, vcc_lo
	s_delay_alu instid0(VALU_DEP_1) | instskip(NEXT) | instid1(VALU_DEP_1)
	v_lshlrev_b64 v[15:16], 2, v[15:16]
	v_sub_co_u32 v15, vcc_lo, s1, v15
	s_delay_alu instid0(VALU_DEP_2)
	v_sub_co_ci_u32_e32 v16, vcc_lo, s0, v16, vcc_lo
	s_waitcnt lgkmcnt(0)
	global_store_b32 v[15:16], v17, off
                                        ; implicit-def: $vgpr15
.LBB1084_231:
	s_and_not1_saveexec_b32 s5, s5
	s_cbranch_execz .LBB1084_233
; %bb.232:
	v_lshlrev_b32_e32 v16, 2, v0
	v_lshlrev_b32_e32 v15, 2, v15
	v_readfirstlane_b32 s6, v9
	v_readfirstlane_b32 s7, v10
	ds_load_b32 v16, v16 offset:12288
	s_waitcnt lgkmcnt(0)
	global_store_b32 v15, v16, s[6:7]
.LBB1084_233:
	s_or_b32 exec_lo, exec_lo, s5
                                        ; implicit-def: $vgpr15
.LBB1084_234:
	s_and_not1_saveexec_b32 s3, s3
	s_cbranch_execz .LBB1084_236
; %bb.235:
	v_lshlrev_b32_e32 v16, 2, v0
	v_lshlrev_b32_e32 v15, 2, v15
	v_readfirstlane_b32 s6, v11
	v_readfirstlane_b32 s7, v12
	ds_load_b32 v16, v16 offset:12288
	s_waitcnt lgkmcnt(0)
	global_store_b32 v15, v16, s[6:7]
.LBB1084_236:
	s_or_b32 exec_lo, exec_lo, s3
	s_branch .LBB1084_130
.LBB1084_237:
	s_mov_b32 s3, exec_lo
	v_cmpx_gt_u32_e64 s4, v0
	s_cbranch_execz .LBB1084_246
; %bb.238:
	s_mov_b32 s5, exec_lo
	v_cmpx_le_u32_e64 v5, v0
	s_xor_b32 s5, exec_lo, s5
	s_cbranch_execz .LBB1084_244
; %bb.239:
	s_mov_b32 s6, exec_lo
	v_cmpx_le_u32_e64 v14, v0
	s_xor_b32 s6, exec_lo, s6
	s_cbranch_execz .LBB1084_241
; %bb.240:
	v_lshlrev_b32_e32 v15, 2, v0
	ds_load_b32 v17, v15
	v_add_co_u32 v15, vcc_lo, v7, v0
	v_add_co_ci_u32_e32 v16, vcc_lo, 0, v13, vcc_lo
	s_delay_alu instid0(VALU_DEP_1) | instskip(NEXT) | instid1(VALU_DEP_1)
	v_lshlrev_b64 v[15:16], 2, v[15:16]
	v_sub_co_u32 v15, vcc_lo, s14, v15
	s_delay_alu instid0(VALU_DEP_2)
	v_sub_co_ci_u32_e32 v16, vcc_lo, s15, v16, vcc_lo
	s_waitcnt lgkmcnt(0)
	global_store_b32 v[15:16], v17, off offset:-4
.LBB1084_241:
	s_and_not1_saveexec_b32 s6, s6
	s_cbranch_execz .LBB1084_243
; %bb.242:
	v_lshlrev_b32_e32 v15, 2, v0
	v_readfirstlane_b32 s8, v9
	v_readfirstlane_b32 s9, v10
	ds_load_b32 v16, v15
	s_waitcnt lgkmcnt(0)
	global_store_b32 v15, v16, s[8:9]
.LBB1084_243:
	s_or_b32 exec_lo, exec_lo, s6
.LBB1084_244:
	s_and_not1_saveexec_b32 s5, s5
	s_cbranch_execz .LBB1084_246
; %bb.245:
	v_lshlrev_b32_e32 v15, 2, v0
	v_readfirstlane_b32 s6, v11
	v_readfirstlane_b32 s7, v12
	ds_load_b32 v16, v15
	s_waitcnt lgkmcnt(0)
	global_store_b32 v15, v16, s[6:7]
.LBB1084_246:
	s_or_b32 exec_lo, exec_lo, s3
	v_or_b32_e32 v15, 0x100, v0
	s_mov_b32 s3, exec_lo
	s_delay_alu instid0(VALU_DEP_1)
	v_cmpx_gt_u32_e64 s4, v15
	s_cbranch_execz .LBB1084_255
; %bb.247:
	s_mov_b32 s5, exec_lo
	v_cmpx_le_u32_e64 v5, v15
	s_xor_b32 s5, exec_lo, s5
	s_cbranch_execz .LBB1084_253
; %bb.248:
	s_mov_b32 s6, exec_lo
	v_cmpx_le_u32_e64 v14, v15
	s_xor_b32 s6, exec_lo, s6
	s_cbranch_execz .LBB1084_250
; %bb.249:
	v_lshlrev_b32_e32 v15, 2, v0
	ds_load_b32 v17, v15 offset:1024
	v_add_co_u32 v15, vcc_lo, v7, v0
	v_add_co_ci_u32_e32 v16, vcc_lo, 0, v13, vcc_lo
	s_delay_alu instid0(VALU_DEP_1) | instskip(NEXT) | instid1(VALU_DEP_1)
	v_lshlrev_b64 v[15:16], 2, v[15:16]
	v_sub_co_u32 v15, vcc_lo, s1, v15
	s_delay_alu instid0(VALU_DEP_2)
	v_sub_co_ci_u32_e32 v16, vcc_lo, s0, v16, vcc_lo
	s_waitcnt lgkmcnt(0)
	global_store_b32 v[15:16], v17, off offset:-1024
.LBB1084_250:
	s_and_not1_saveexec_b32 s6, s6
	s_cbranch_execz .LBB1084_252
; %bb.251:
	v_lshlrev_b32_e32 v15, 2, v0
	v_readfirstlane_b32 s8, v9
	v_readfirstlane_b32 s9, v10
	ds_load_b32 v16, v15 offset:1024
	s_waitcnt lgkmcnt(0)
	global_store_b32 v15, v16, s[8:9] offset:1024
.LBB1084_252:
	s_or_b32 exec_lo, exec_lo, s6
.LBB1084_253:
	s_and_not1_saveexec_b32 s5, s5
	s_cbranch_execz .LBB1084_255
; %bb.254:
	v_lshlrev_b32_e32 v15, 2, v0
	v_readfirstlane_b32 s6, v11
	v_readfirstlane_b32 s7, v12
	ds_load_b32 v16, v15 offset:1024
	s_waitcnt lgkmcnt(0)
	global_store_b32 v15, v16, s[6:7] offset:1024
.LBB1084_255:
	s_or_b32 exec_lo, exec_lo, s3
	v_or_b32_e32 v15, 0x200, v0
	s_mov_b32 s3, exec_lo
	s_delay_alu instid0(VALU_DEP_1)
	v_cmpx_gt_u32_e64 s4, v15
	s_cbranch_execz .LBB1084_264
; %bb.256:
	s_mov_b32 s5, exec_lo
	v_cmpx_le_u32_e64 v5, v15
	s_xor_b32 s5, exec_lo, s5
	s_cbranch_execz .LBB1084_262
; %bb.257:
	s_mov_b32 s6, exec_lo
	v_cmpx_le_u32_e64 v14, v15
	s_xor_b32 s6, exec_lo, s6
	s_cbranch_execz .LBB1084_259
; %bb.258:
	v_lshlrev_b32_e32 v15, 2, v0
	ds_load_b32 v17, v15 offset:2048
	v_add_co_u32 v15, vcc_lo, v7, v0
	v_add_co_ci_u32_e32 v16, vcc_lo, 0, v13, vcc_lo
	s_delay_alu instid0(VALU_DEP_1) | instskip(NEXT) | instid1(VALU_DEP_1)
	v_lshlrev_b64 v[15:16], 2, v[15:16]
	v_sub_co_u32 v15, vcc_lo, s1, v15
	s_delay_alu instid0(VALU_DEP_2)
	v_sub_co_ci_u32_e32 v16, vcc_lo, s0, v16, vcc_lo
	s_waitcnt lgkmcnt(0)
	global_store_b32 v[15:16], v17, off offset:-2048
.LBB1084_259:
	s_and_not1_saveexec_b32 s6, s6
	s_cbranch_execz .LBB1084_261
; %bb.260:
	v_lshlrev_b32_e32 v15, 2, v0
	v_readfirstlane_b32 s8, v9
	v_readfirstlane_b32 s9, v10
	ds_load_b32 v16, v15 offset:2048
	s_waitcnt lgkmcnt(0)
	global_store_b32 v15, v16, s[8:9] offset:2048
.LBB1084_261:
	s_or_b32 exec_lo, exec_lo, s6
.LBB1084_262:
	s_and_not1_saveexec_b32 s5, s5
	s_cbranch_execz .LBB1084_264
; %bb.263:
	v_lshlrev_b32_e32 v15, 2, v0
	v_readfirstlane_b32 s6, v11
	v_readfirstlane_b32 s7, v12
	ds_load_b32 v16, v15 offset:2048
	s_waitcnt lgkmcnt(0)
	global_store_b32 v15, v16, s[6:7] offset:2048
.LBB1084_264:
	;; [unrolled: 51-line block ×3, first 2 shown]
	s_or_b32 exec_lo, exec_lo, s3
	v_or_b32_e32 v15, 0x400, v0
	s_mov_b32 s3, exec_lo
	s_delay_alu instid0(VALU_DEP_1)
	v_cmpx_gt_u32_e64 s4, v15
	s_cbranch_execz .LBB1084_282
; %bb.274:
	s_mov_b32 s5, exec_lo
	v_cmpx_le_u32_e64 v5, v15
	s_xor_b32 s5, exec_lo, s5
	s_cbranch_execz .LBB1084_280
; %bb.275:
	s_mov_b32 s6, exec_lo
	v_cmpx_le_u32_e64 v14, v15
	s_xor_b32 s6, exec_lo, s6
	s_cbranch_execz .LBB1084_277
; %bb.276:
	v_lshlrev_b32_e32 v15, 2, v0
	ds_load_b32 v17, v15 offset:4096
	v_add_co_u32 v15, vcc_lo, v7, v0
	v_add_co_ci_u32_e32 v16, vcc_lo, 0, v13, vcc_lo
	s_delay_alu instid0(VALU_DEP_1) | instskip(NEXT) | instid1(VALU_DEP_1)
	v_lshlrev_b64 v[15:16], 2, v[15:16]
	v_sub_co_u32 v15, vcc_lo, s1, v15
	s_delay_alu instid0(VALU_DEP_2)
	v_sub_co_ci_u32_e32 v16, vcc_lo, s0, v16, vcc_lo
	s_waitcnt lgkmcnt(0)
	global_store_b32 v[15:16], v17, off offset:-4096
                                        ; implicit-def: $vgpr15
.LBB1084_277:
	s_and_not1_saveexec_b32 s6, s6
	s_cbranch_execz .LBB1084_279
; %bb.278:
	v_lshlrev_b32_e32 v16, 2, v0
	v_lshlrev_b32_e32 v15, 2, v15
	v_readfirstlane_b32 s8, v9
	v_readfirstlane_b32 s9, v10
	ds_load_b32 v16, v16 offset:4096
	s_waitcnt lgkmcnt(0)
	global_store_b32 v15, v16, s[8:9]
.LBB1084_279:
	s_or_b32 exec_lo, exec_lo, s6
                                        ; implicit-def: $vgpr15
.LBB1084_280:
	s_and_not1_saveexec_b32 s5, s5
	s_cbranch_execz .LBB1084_282
; %bb.281:
	v_lshlrev_b32_e32 v16, 2, v0
	v_lshlrev_b32_e32 v15, 2, v15
	v_readfirstlane_b32 s6, v11
	v_readfirstlane_b32 s7, v12
	ds_load_b32 v16, v16 offset:4096
	s_waitcnt lgkmcnt(0)
	global_store_b32 v15, v16, s[6:7]
.LBB1084_282:
	s_or_b32 exec_lo, exec_lo, s3
	v_or_b32_e32 v15, 0x500, v0
	s_mov_b32 s3, exec_lo
	s_delay_alu instid0(VALU_DEP_1)
	v_cmpx_gt_u32_e64 s4, v15
	s_cbranch_execz .LBB1084_291
; %bb.283:
	s_mov_b32 s5, exec_lo
	v_cmpx_le_u32_e64 v5, v15
	s_xor_b32 s5, exec_lo, s5
	s_cbranch_execz .LBB1084_289
; %bb.284:
	s_mov_b32 s6, exec_lo
	v_cmpx_le_u32_e64 v14, v15
	s_xor_b32 s6, exec_lo, s6
	s_cbranch_execz .LBB1084_286
; %bb.285:
	v_lshlrev_b32_e32 v16, 2, v0
	v_add_co_u32 v15, vcc_lo, v7, v15
	ds_load_b32 v17, v16 offset:5120
	v_add_co_ci_u32_e32 v16, vcc_lo, 0, v13, vcc_lo
	s_delay_alu instid0(VALU_DEP_1) | instskip(NEXT) | instid1(VALU_DEP_1)
	v_lshlrev_b64 v[15:16], 2, v[15:16]
	v_sub_co_u32 v15, vcc_lo, s1, v15
	s_delay_alu instid0(VALU_DEP_2)
	v_sub_co_ci_u32_e32 v16, vcc_lo, s0, v16, vcc_lo
	s_waitcnt lgkmcnt(0)
	global_store_b32 v[15:16], v17, off
                                        ; implicit-def: $vgpr15
.LBB1084_286:
	s_and_not1_saveexec_b32 s6, s6
	s_cbranch_execz .LBB1084_288
; %bb.287:
	v_lshlrev_b32_e32 v16, 2, v0
	v_lshlrev_b32_e32 v15, 2, v15
	v_readfirstlane_b32 s8, v9
	v_readfirstlane_b32 s9, v10
	ds_load_b32 v16, v16 offset:5120
	s_waitcnt lgkmcnt(0)
	global_store_b32 v15, v16, s[8:9]
.LBB1084_288:
	s_or_b32 exec_lo, exec_lo, s6
                                        ; implicit-def: $vgpr15
.LBB1084_289:
	s_and_not1_saveexec_b32 s5, s5
	s_cbranch_execz .LBB1084_291
; %bb.290:
	v_lshlrev_b32_e32 v16, 2, v0
	v_lshlrev_b32_e32 v15, 2, v15
	v_readfirstlane_b32 s6, v11
	v_readfirstlane_b32 s7, v12
	ds_load_b32 v16, v16 offset:5120
	s_waitcnt lgkmcnt(0)
	global_store_b32 v15, v16, s[6:7]
.LBB1084_291:
	s_or_b32 exec_lo, exec_lo, s3
	v_or_b32_e32 v15, 0x600, v0
	s_mov_b32 s3, exec_lo
	s_delay_alu instid0(VALU_DEP_1)
	v_cmpx_gt_u32_e64 s4, v15
	s_cbranch_execz .LBB1084_300
; %bb.292:
	s_mov_b32 s5, exec_lo
	v_cmpx_le_u32_e64 v5, v15
	s_xor_b32 s5, exec_lo, s5
	s_cbranch_execz .LBB1084_298
; %bb.293:
	s_mov_b32 s6, exec_lo
	v_cmpx_le_u32_e64 v14, v15
	s_xor_b32 s6, exec_lo, s6
	s_cbranch_execz .LBB1084_295
; %bb.294:
	v_lshlrev_b32_e32 v16, 2, v0
	v_add_co_u32 v15, vcc_lo, v7, v15
	ds_load_b32 v17, v16 offset:6144
	v_add_co_ci_u32_e32 v16, vcc_lo, 0, v13, vcc_lo
	s_delay_alu instid0(VALU_DEP_1) | instskip(NEXT) | instid1(VALU_DEP_1)
	v_lshlrev_b64 v[15:16], 2, v[15:16]
	v_sub_co_u32 v15, vcc_lo, s1, v15
	s_delay_alu instid0(VALU_DEP_2)
	v_sub_co_ci_u32_e32 v16, vcc_lo, s0, v16, vcc_lo
	s_waitcnt lgkmcnt(0)
	global_store_b32 v[15:16], v17, off
                                        ; implicit-def: $vgpr15
.LBB1084_295:
	s_and_not1_saveexec_b32 s6, s6
	s_cbranch_execz .LBB1084_297
; %bb.296:
	v_lshlrev_b32_e32 v16, 2, v0
	v_lshlrev_b32_e32 v15, 2, v15
	v_readfirstlane_b32 s8, v9
	v_readfirstlane_b32 s9, v10
	ds_load_b32 v16, v16 offset:6144
	s_waitcnt lgkmcnt(0)
	global_store_b32 v15, v16, s[8:9]
.LBB1084_297:
	s_or_b32 exec_lo, exec_lo, s6
                                        ; implicit-def: $vgpr15
.LBB1084_298:
	s_and_not1_saveexec_b32 s5, s5
	s_cbranch_execz .LBB1084_300
; %bb.299:
	v_lshlrev_b32_e32 v16, 2, v0
	v_lshlrev_b32_e32 v15, 2, v15
	v_readfirstlane_b32 s6, v11
	v_readfirstlane_b32 s7, v12
	ds_load_b32 v16, v16 offset:6144
	s_waitcnt lgkmcnt(0)
	global_store_b32 v15, v16, s[6:7]
.LBB1084_300:
	;; [unrolled: 55-line block ×7, first 2 shown]
	s_or_b32 exec_lo, exec_lo, s3
	v_or_b32_e32 v15, 0xc00, v0
	s_mov_b32 s3, exec_lo
	s_delay_alu instid0(VALU_DEP_1)
	v_cmpx_gt_u32_e64 s4, v15
	s_cbranch_execz .LBB1084_354
; %bb.346:
	s_mov_b32 s4, exec_lo
	v_cmpx_le_u32_e64 v5, v15
	s_xor_b32 s4, exec_lo, s4
	s_cbranch_execz .LBB1084_352
; %bb.347:
	s_mov_b32 s5, exec_lo
	v_cmpx_le_u32_e64 v14, v15
	s_xor_b32 s5, exec_lo, s5
	s_cbranch_execz .LBB1084_349
; %bb.348:
	v_lshlrev_b32_e32 v0, 2, v0
	v_add_co_u32 v9, vcc_lo, v7, v15
	v_add_co_ci_u32_e32 v10, vcc_lo, 0, v13, vcc_lo
	ds_load_b32 v0, v0 offset:12288
                                        ; implicit-def: $vgpr15
	v_lshlrev_b64 v[9:10], 2, v[9:10]
	s_delay_alu instid0(VALU_DEP_1) | instskip(NEXT) | instid1(VALU_DEP_2)
	v_sub_co_u32 v9, vcc_lo, s1, v9
	v_sub_co_ci_u32_e32 v10, vcc_lo, s0, v10, vcc_lo
	s_waitcnt lgkmcnt(0)
	global_store_b32 v[9:10], v0, off
                                        ; implicit-def: $vgpr0
                                        ; implicit-def: $vgpr9_vgpr10
.LBB1084_349:
	s_and_not1_saveexec_b32 s0, s5
	s_cbranch_execz .LBB1084_351
; %bb.350:
	v_lshlrev_b32_e32 v0, 2, v0
	v_lshlrev_b32_e32 v7, 2, v15
	v_readfirstlane_b32 s6, v9
	v_readfirstlane_b32 s7, v10
	ds_load_b32 v0, v0 offset:12288
	s_waitcnt lgkmcnt(0)
	global_store_b32 v7, v0, s[6:7]
.LBB1084_351:
	s_or_b32 exec_lo, exec_lo, s0
                                        ; implicit-def: $vgpr0
                                        ; implicit-def: $vgpr15
                                        ; implicit-def: $vgpr11_vgpr12
.LBB1084_352:
	s_and_not1_saveexec_b32 s0, s4
	s_cbranch_execz .LBB1084_354
; %bb.353:
	v_lshlrev_b32_e32 v0, 2, v0
	v_lshlrev_b32_e32 v7, 2, v15
	v_readfirstlane_b32 s0, v11
	v_readfirstlane_b32 s1, v12
	ds_load_b32 v0, v0 offset:12288
	s_waitcnt lgkmcnt(0)
	global_store_b32 v7, v0, s[0:1]
.LBB1084_354:
	s_or_b32 exec_lo, exec_lo, s3
	s_and_b32 s0, s2, s13
	s_delay_alu instid0(SALU_CYCLE_1)
	s_and_saveexec_b32 s1, s0
	s_cbranch_execz .LBB1084_131
.LBB1084_355:
	v_add_co_u32 v3, vcc_lo, v3, v6
	v_add_co_ci_u32_e32 v4, vcc_lo, 0, v4, vcc_lo
	v_add_co_u32 v0, vcc_lo, v1, v5
	v_add_co_ci_u32_e32 v1, vcc_lo, 0, v2, vcc_lo
	s_delay_alu instid0(VALU_DEP_4)
	v_add_co_u32 v2, vcc_lo, v3, v8
	v_mov_b32_e32 v7, 0
	v_add_co_ci_u32_e32 v3, vcc_lo, 0, v4, vcc_lo
	global_store_b128 v7, v[0:3], s[24:25]
	s_nop 0
	s_sendmsg sendmsg(MSG_DEALLOC_VGPRS)
	s_endpgm
.LBB1084_356:
	v_add_nc_u32_e32 v7, s6, v27
	s_add_i32 s8, s26, 32
	s_mov_b32 s9, 0
	v_dual_mov_b32 v9, 0 :: v_dual_add_nc_u32 v6, v26, v5
	s_lshl_b64 s[8:9], s[8:9], 4
	v_and_b32_e32 v24, 0xff0000, v7
	s_add_u32 s8, s36, s8
	s_addc_u32 s9, s37, s9
	v_and_b32_e32 v8, 0xff000000, v7
	s_delay_alu instid0(VALU_DEP_1) | instskip(SKIP_2) | instid1(VALU_DEP_1)
	v_or_b32_e32 v24, v24, v8
	v_dual_mov_b32 v8, 2 :: v_dual_and_b32 v25, 0xff00, v7
	v_and_b32_e32 v7, 0xff, v7
	v_or3_b32 v7, v24, v25, v7
	v_dual_mov_b32 v25, s9 :: v_dual_mov_b32 v24, s8
	;;#ASMSTART
	global_store_dwordx4 v[24:25], v[6:9] off	
s_waitcnt vmcnt(0)
	;;#ASMEND
	s_or_b32 exec_lo, exec_lo, s7
	s_and_saveexec_b32 s7, s3
	s_cbranch_execz .LBB1084_115
.LBB1084_357:
	v_mov_b32_e32 v6, s6
	v_add_nc_u32_e64 v7, 0x3400, 0
	ds_store_2addr_b32 v7, v5, v6 offset1:2
	ds_store_2addr_b32 v7, v26, v27 offset0:4 offset1:6
	s_or_b32 exec_lo, exec_lo, s7
	s_delay_alu instid0(SALU_CYCLE_1)
	s_and_b32 exec_lo, exec_lo, s2
	s_cbranch_execnz .LBB1084_116
	s_branch .LBB1084_117
	.section	.rodata,"a",@progbits
	.p2align	6, 0x0
	.amdhsa_kernel _ZN7rocprim17ROCPRIM_400000_NS6detail17trampoline_kernelINS0_13select_configILj256ELj13ELNS0_17block_load_methodE3ELS4_3ELS4_3ELNS0_20block_scan_algorithmE0ELj4294967295EEENS1_25partition_config_selectorILNS1_17partition_subalgoE4EjNS0_10empty_typeEbEEZZNS1_14partition_implILS8_4ELb0ES6_15HIP_vector_typeIjLj2EENS0_17counting_iteratorIjlEEPS9_SG_NS0_5tupleIJPjSI_NS0_16reverse_iteratorISI_EEEEENSH_IJSG_SG_SG_EEES9_SI_JZNS1_25segmented_radix_sort_implINS0_14default_configELb1EPKdPdPKlPlN2at6native12_GLOBAL__N_18offset_tEEE10hipError_tPvRmT1_PNSt15iterator_traitsIS12_E10value_typeET2_T3_PNS13_IS18_E10value_typeET4_jRbjT5_S1E_jjP12ihipStream_tbEUljE_ZNSN_ISO_Lb1ESQ_SR_ST_SU_SY_EESZ_S10_S11_S12_S16_S17_S18_S1B_S1C_jS1D_jS1E_S1E_jjS1G_bEUljE0_EEESZ_S10_S11_S18_S1C_S1E_T6_T7_T9_mT8_S1G_bDpT10_ENKUlT_T0_E_clISt17integral_constantIbLb0EES1T_IbLb1EEEEDaS1P_S1Q_EUlS1P_E_NS1_11comp_targetILNS1_3genE9ELNS1_11target_archE1100ELNS1_3gpuE3ELNS1_3repE0EEENS1_30default_config_static_selectorELNS0_4arch9wavefront6targetE0EEEvS12_
		.amdhsa_group_segment_fixed_size 13340
		.amdhsa_private_segment_fixed_size 0
		.amdhsa_kernarg_size 184
		.amdhsa_user_sgpr_count 15
		.amdhsa_user_sgpr_dispatch_ptr 0
		.amdhsa_user_sgpr_queue_ptr 0
		.amdhsa_user_sgpr_kernarg_segment_ptr 1
		.amdhsa_user_sgpr_dispatch_id 0
		.amdhsa_user_sgpr_private_segment_size 0
		.amdhsa_wavefront_size32 1
		.amdhsa_uses_dynamic_stack 0
		.amdhsa_enable_private_segment 0
		.amdhsa_system_sgpr_workgroup_id_x 1
		.amdhsa_system_sgpr_workgroup_id_y 0
		.amdhsa_system_sgpr_workgroup_id_z 0
		.amdhsa_system_sgpr_workgroup_info 0
		.amdhsa_system_vgpr_workitem_id 0
		.amdhsa_next_free_vgpr 103
		.amdhsa_next_free_sgpr 55
		.amdhsa_reserve_vcc 1
		.amdhsa_float_round_mode_32 0
		.amdhsa_float_round_mode_16_64 0
		.amdhsa_float_denorm_mode_32 3
		.amdhsa_float_denorm_mode_16_64 3
		.amdhsa_dx10_clamp 1
		.amdhsa_ieee_mode 1
		.amdhsa_fp16_overflow 0
		.amdhsa_workgroup_processor_mode 1
		.amdhsa_memory_ordered 1
		.amdhsa_forward_progress 0
		.amdhsa_shared_vgpr_count 0
		.amdhsa_exception_fp_ieee_invalid_op 0
		.amdhsa_exception_fp_denorm_src 0
		.amdhsa_exception_fp_ieee_div_zero 0
		.amdhsa_exception_fp_ieee_overflow 0
		.amdhsa_exception_fp_ieee_underflow 0
		.amdhsa_exception_fp_ieee_inexact 0
		.amdhsa_exception_int_div_zero 0
	.end_amdhsa_kernel
	.section	.text._ZN7rocprim17ROCPRIM_400000_NS6detail17trampoline_kernelINS0_13select_configILj256ELj13ELNS0_17block_load_methodE3ELS4_3ELS4_3ELNS0_20block_scan_algorithmE0ELj4294967295EEENS1_25partition_config_selectorILNS1_17partition_subalgoE4EjNS0_10empty_typeEbEEZZNS1_14partition_implILS8_4ELb0ES6_15HIP_vector_typeIjLj2EENS0_17counting_iteratorIjlEEPS9_SG_NS0_5tupleIJPjSI_NS0_16reverse_iteratorISI_EEEEENSH_IJSG_SG_SG_EEES9_SI_JZNS1_25segmented_radix_sort_implINS0_14default_configELb1EPKdPdPKlPlN2at6native12_GLOBAL__N_18offset_tEEE10hipError_tPvRmT1_PNSt15iterator_traitsIS12_E10value_typeET2_T3_PNS13_IS18_E10value_typeET4_jRbjT5_S1E_jjP12ihipStream_tbEUljE_ZNSN_ISO_Lb1ESQ_SR_ST_SU_SY_EESZ_S10_S11_S12_S16_S17_S18_S1B_S1C_jS1D_jS1E_S1E_jjS1G_bEUljE0_EEESZ_S10_S11_S18_S1C_S1E_T6_T7_T9_mT8_S1G_bDpT10_ENKUlT_T0_E_clISt17integral_constantIbLb0EES1T_IbLb1EEEEDaS1P_S1Q_EUlS1P_E_NS1_11comp_targetILNS1_3genE9ELNS1_11target_archE1100ELNS1_3gpuE3ELNS1_3repE0EEENS1_30default_config_static_selectorELNS0_4arch9wavefront6targetE0EEEvS12_,"axG",@progbits,_ZN7rocprim17ROCPRIM_400000_NS6detail17trampoline_kernelINS0_13select_configILj256ELj13ELNS0_17block_load_methodE3ELS4_3ELS4_3ELNS0_20block_scan_algorithmE0ELj4294967295EEENS1_25partition_config_selectorILNS1_17partition_subalgoE4EjNS0_10empty_typeEbEEZZNS1_14partition_implILS8_4ELb0ES6_15HIP_vector_typeIjLj2EENS0_17counting_iteratorIjlEEPS9_SG_NS0_5tupleIJPjSI_NS0_16reverse_iteratorISI_EEEEENSH_IJSG_SG_SG_EEES9_SI_JZNS1_25segmented_radix_sort_implINS0_14default_configELb1EPKdPdPKlPlN2at6native12_GLOBAL__N_18offset_tEEE10hipError_tPvRmT1_PNSt15iterator_traitsIS12_E10value_typeET2_T3_PNS13_IS18_E10value_typeET4_jRbjT5_S1E_jjP12ihipStream_tbEUljE_ZNSN_ISO_Lb1ESQ_SR_ST_SU_SY_EESZ_S10_S11_S12_S16_S17_S18_S1B_S1C_jS1D_jS1E_S1E_jjS1G_bEUljE0_EEESZ_S10_S11_S18_S1C_S1E_T6_T7_T9_mT8_S1G_bDpT10_ENKUlT_T0_E_clISt17integral_constantIbLb0EES1T_IbLb1EEEEDaS1P_S1Q_EUlS1P_E_NS1_11comp_targetILNS1_3genE9ELNS1_11target_archE1100ELNS1_3gpuE3ELNS1_3repE0EEENS1_30default_config_static_selectorELNS0_4arch9wavefront6targetE0EEEvS12_,comdat
.Lfunc_end1084:
	.size	_ZN7rocprim17ROCPRIM_400000_NS6detail17trampoline_kernelINS0_13select_configILj256ELj13ELNS0_17block_load_methodE3ELS4_3ELS4_3ELNS0_20block_scan_algorithmE0ELj4294967295EEENS1_25partition_config_selectorILNS1_17partition_subalgoE4EjNS0_10empty_typeEbEEZZNS1_14partition_implILS8_4ELb0ES6_15HIP_vector_typeIjLj2EENS0_17counting_iteratorIjlEEPS9_SG_NS0_5tupleIJPjSI_NS0_16reverse_iteratorISI_EEEEENSH_IJSG_SG_SG_EEES9_SI_JZNS1_25segmented_radix_sort_implINS0_14default_configELb1EPKdPdPKlPlN2at6native12_GLOBAL__N_18offset_tEEE10hipError_tPvRmT1_PNSt15iterator_traitsIS12_E10value_typeET2_T3_PNS13_IS18_E10value_typeET4_jRbjT5_S1E_jjP12ihipStream_tbEUljE_ZNSN_ISO_Lb1ESQ_SR_ST_SU_SY_EESZ_S10_S11_S12_S16_S17_S18_S1B_S1C_jS1D_jS1E_S1E_jjS1G_bEUljE0_EEESZ_S10_S11_S18_S1C_S1E_T6_T7_T9_mT8_S1G_bDpT10_ENKUlT_T0_E_clISt17integral_constantIbLb0EES1T_IbLb1EEEEDaS1P_S1Q_EUlS1P_E_NS1_11comp_targetILNS1_3genE9ELNS1_11target_archE1100ELNS1_3gpuE3ELNS1_3repE0EEENS1_30default_config_static_selectorELNS0_4arch9wavefront6targetE0EEEvS12_, .Lfunc_end1084-_ZN7rocprim17ROCPRIM_400000_NS6detail17trampoline_kernelINS0_13select_configILj256ELj13ELNS0_17block_load_methodE3ELS4_3ELS4_3ELNS0_20block_scan_algorithmE0ELj4294967295EEENS1_25partition_config_selectorILNS1_17partition_subalgoE4EjNS0_10empty_typeEbEEZZNS1_14partition_implILS8_4ELb0ES6_15HIP_vector_typeIjLj2EENS0_17counting_iteratorIjlEEPS9_SG_NS0_5tupleIJPjSI_NS0_16reverse_iteratorISI_EEEEENSH_IJSG_SG_SG_EEES9_SI_JZNS1_25segmented_radix_sort_implINS0_14default_configELb1EPKdPdPKlPlN2at6native12_GLOBAL__N_18offset_tEEE10hipError_tPvRmT1_PNSt15iterator_traitsIS12_E10value_typeET2_T3_PNS13_IS18_E10value_typeET4_jRbjT5_S1E_jjP12ihipStream_tbEUljE_ZNSN_ISO_Lb1ESQ_SR_ST_SU_SY_EESZ_S10_S11_S12_S16_S17_S18_S1B_S1C_jS1D_jS1E_S1E_jjS1G_bEUljE0_EEESZ_S10_S11_S18_S1C_S1E_T6_T7_T9_mT8_S1G_bDpT10_ENKUlT_T0_E_clISt17integral_constantIbLb0EES1T_IbLb1EEEEDaS1P_S1Q_EUlS1P_E_NS1_11comp_targetILNS1_3genE9ELNS1_11target_archE1100ELNS1_3gpuE3ELNS1_3repE0EEENS1_30default_config_static_selectorELNS0_4arch9wavefront6targetE0EEEvS12_
                                        ; -- End function
	.section	.AMDGPU.csdata,"",@progbits
; Kernel info:
; codeLenInByte = 15060
; NumSgprs: 57
; NumVgprs: 103
; ScratchSize: 0
; MemoryBound: 0
; FloatMode: 240
; IeeeMode: 1
; LDSByteSize: 13340 bytes/workgroup (compile time only)
; SGPRBlocks: 7
; VGPRBlocks: 12
; NumSGPRsForWavesPerEU: 57
; NumVGPRsForWavesPerEU: 103
; Occupancy: 12
; WaveLimiterHint : 1
; COMPUTE_PGM_RSRC2:SCRATCH_EN: 0
; COMPUTE_PGM_RSRC2:USER_SGPR: 15
; COMPUTE_PGM_RSRC2:TRAP_HANDLER: 0
; COMPUTE_PGM_RSRC2:TGID_X_EN: 1
; COMPUTE_PGM_RSRC2:TGID_Y_EN: 0
; COMPUTE_PGM_RSRC2:TGID_Z_EN: 0
; COMPUTE_PGM_RSRC2:TIDIG_COMP_CNT: 0
	.section	.text._ZN7rocprim17ROCPRIM_400000_NS6detail17trampoline_kernelINS0_13select_configILj256ELj13ELNS0_17block_load_methodE3ELS4_3ELS4_3ELNS0_20block_scan_algorithmE0ELj4294967295EEENS1_25partition_config_selectorILNS1_17partition_subalgoE4EjNS0_10empty_typeEbEEZZNS1_14partition_implILS8_4ELb0ES6_15HIP_vector_typeIjLj2EENS0_17counting_iteratorIjlEEPS9_SG_NS0_5tupleIJPjSI_NS0_16reverse_iteratorISI_EEEEENSH_IJSG_SG_SG_EEES9_SI_JZNS1_25segmented_radix_sort_implINS0_14default_configELb1EPKdPdPKlPlN2at6native12_GLOBAL__N_18offset_tEEE10hipError_tPvRmT1_PNSt15iterator_traitsIS12_E10value_typeET2_T3_PNS13_IS18_E10value_typeET4_jRbjT5_S1E_jjP12ihipStream_tbEUljE_ZNSN_ISO_Lb1ESQ_SR_ST_SU_SY_EESZ_S10_S11_S12_S16_S17_S18_S1B_S1C_jS1D_jS1E_S1E_jjS1G_bEUljE0_EEESZ_S10_S11_S18_S1C_S1E_T6_T7_T9_mT8_S1G_bDpT10_ENKUlT_T0_E_clISt17integral_constantIbLb0EES1T_IbLb1EEEEDaS1P_S1Q_EUlS1P_E_NS1_11comp_targetILNS1_3genE8ELNS1_11target_archE1030ELNS1_3gpuE2ELNS1_3repE0EEENS1_30default_config_static_selectorELNS0_4arch9wavefront6targetE0EEEvS12_,"axG",@progbits,_ZN7rocprim17ROCPRIM_400000_NS6detail17trampoline_kernelINS0_13select_configILj256ELj13ELNS0_17block_load_methodE3ELS4_3ELS4_3ELNS0_20block_scan_algorithmE0ELj4294967295EEENS1_25partition_config_selectorILNS1_17partition_subalgoE4EjNS0_10empty_typeEbEEZZNS1_14partition_implILS8_4ELb0ES6_15HIP_vector_typeIjLj2EENS0_17counting_iteratorIjlEEPS9_SG_NS0_5tupleIJPjSI_NS0_16reverse_iteratorISI_EEEEENSH_IJSG_SG_SG_EEES9_SI_JZNS1_25segmented_radix_sort_implINS0_14default_configELb1EPKdPdPKlPlN2at6native12_GLOBAL__N_18offset_tEEE10hipError_tPvRmT1_PNSt15iterator_traitsIS12_E10value_typeET2_T3_PNS13_IS18_E10value_typeET4_jRbjT5_S1E_jjP12ihipStream_tbEUljE_ZNSN_ISO_Lb1ESQ_SR_ST_SU_SY_EESZ_S10_S11_S12_S16_S17_S18_S1B_S1C_jS1D_jS1E_S1E_jjS1G_bEUljE0_EEESZ_S10_S11_S18_S1C_S1E_T6_T7_T9_mT8_S1G_bDpT10_ENKUlT_T0_E_clISt17integral_constantIbLb0EES1T_IbLb1EEEEDaS1P_S1Q_EUlS1P_E_NS1_11comp_targetILNS1_3genE8ELNS1_11target_archE1030ELNS1_3gpuE2ELNS1_3repE0EEENS1_30default_config_static_selectorELNS0_4arch9wavefront6targetE0EEEvS12_,comdat
	.globl	_ZN7rocprim17ROCPRIM_400000_NS6detail17trampoline_kernelINS0_13select_configILj256ELj13ELNS0_17block_load_methodE3ELS4_3ELS4_3ELNS0_20block_scan_algorithmE0ELj4294967295EEENS1_25partition_config_selectorILNS1_17partition_subalgoE4EjNS0_10empty_typeEbEEZZNS1_14partition_implILS8_4ELb0ES6_15HIP_vector_typeIjLj2EENS0_17counting_iteratorIjlEEPS9_SG_NS0_5tupleIJPjSI_NS0_16reverse_iteratorISI_EEEEENSH_IJSG_SG_SG_EEES9_SI_JZNS1_25segmented_radix_sort_implINS0_14default_configELb1EPKdPdPKlPlN2at6native12_GLOBAL__N_18offset_tEEE10hipError_tPvRmT1_PNSt15iterator_traitsIS12_E10value_typeET2_T3_PNS13_IS18_E10value_typeET4_jRbjT5_S1E_jjP12ihipStream_tbEUljE_ZNSN_ISO_Lb1ESQ_SR_ST_SU_SY_EESZ_S10_S11_S12_S16_S17_S18_S1B_S1C_jS1D_jS1E_S1E_jjS1G_bEUljE0_EEESZ_S10_S11_S18_S1C_S1E_T6_T7_T9_mT8_S1G_bDpT10_ENKUlT_T0_E_clISt17integral_constantIbLb0EES1T_IbLb1EEEEDaS1P_S1Q_EUlS1P_E_NS1_11comp_targetILNS1_3genE8ELNS1_11target_archE1030ELNS1_3gpuE2ELNS1_3repE0EEENS1_30default_config_static_selectorELNS0_4arch9wavefront6targetE0EEEvS12_ ; -- Begin function _ZN7rocprim17ROCPRIM_400000_NS6detail17trampoline_kernelINS0_13select_configILj256ELj13ELNS0_17block_load_methodE3ELS4_3ELS4_3ELNS0_20block_scan_algorithmE0ELj4294967295EEENS1_25partition_config_selectorILNS1_17partition_subalgoE4EjNS0_10empty_typeEbEEZZNS1_14partition_implILS8_4ELb0ES6_15HIP_vector_typeIjLj2EENS0_17counting_iteratorIjlEEPS9_SG_NS0_5tupleIJPjSI_NS0_16reverse_iteratorISI_EEEEENSH_IJSG_SG_SG_EEES9_SI_JZNS1_25segmented_radix_sort_implINS0_14default_configELb1EPKdPdPKlPlN2at6native12_GLOBAL__N_18offset_tEEE10hipError_tPvRmT1_PNSt15iterator_traitsIS12_E10value_typeET2_T3_PNS13_IS18_E10value_typeET4_jRbjT5_S1E_jjP12ihipStream_tbEUljE_ZNSN_ISO_Lb1ESQ_SR_ST_SU_SY_EESZ_S10_S11_S12_S16_S17_S18_S1B_S1C_jS1D_jS1E_S1E_jjS1G_bEUljE0_EEESZ_S10_S11_S18_S1C_S1E_T6_T7_T9_mT8_S1G_bDpT10_ENKUlT_T0_E_clISt17integral_constantIbLb0EES1T_IbLb1EEEEDaS1P_S1Q_EUlS1P_E_NS1_11comp_targetILNS1_3genE8ELNS1_11target_archE1030ELNS1_3gpuE2ELNS1_3repE0EEENS1_30default_config_static_selectorELNS0_4arch9wavefront6targetE0EEEvS12_
	.p2align	8
	.type	_ZN7rocprim17ROCPRIM_400000_NS6detail17trampoline_kernelINS0_13select_configILj256ELj13ELNS0_17block_load_methodE3ELS4_3ELS4_3ELNS0_20block_scan_algorithmE0ELj4294967295EEENS1_25partition_config_selectorILNS1_17partition_subalgoE4EjNS0_10empty_typeEbEEZZNS1_14partition_implILS8_4ELb0ES6_15HIP_vector_typeIjLj2EENS0_17counting_iteratorIjlEEPS9_SG_NS0_5tupleIJPjSI_NS0_16reverse_iteratorISI_EEEEENSH_IJSG_SG_SG_EEES9_SI_JZNS1_25segmented_radix_sort_implINS0_14default_configELb1EPKdPdPKlPlN2at6native12_GLOBAL__N_18offset_tEEE10hipError_tPvRmT1_PNSt15iterator_traitsIS12_E10value_typeET2_T3_PNS13_IS18_E10value_typeET4_jRbjT5_S1E_jjP12ihipStream_tbEUljE_ZNSN_ISO_Lb1ESQ_SR_ST_SU_SY_EESZ_S10_S11_S12_S16_S17_S18_S1B_S1C_jS1D_jS1E_S1E_jjS1G_bEUljE0_EEESZ_S10_S11_S18_S1C_S1E_T6_T7_T9_mT8_S1G_bDpT10_ENKUlT_T0_E_clISt17integral_constantIbLb0EES1T_IbLb1EEEEDaS1P_S1Q_EUlS1P_E_NS1_11comp_targetILNS1_3genE8ELNS1_11target_archE1030ELNS1_3gpuE2ELNS1_3repE0EEENS1_30default_config_static_selectorELNS0_4arch9wavefront6targetE0EEEvS12_,@function
_ZN7rocprim17ROCPRIM_400000_NS6detail17trampoline_kernelINS0_13select_configILj256ELj13ELNS0_17block_load_methodE3ELS4_3ELS4_3ELNS0_20block_scan_algorithmE0ELj4294967295EEENS1_25partition_config_selectorILNS1_17partition_subalgoE4EjNS0_10empty_typeEbEEZZNS1_14partition_implILS8_4ELb0ES6_15HIP_vector_typeIjLj2EENS0_17counting_iteratorIjlEEPS9_SG_NS0_5tupleIJPjSI_NS0_16reverse_iteratorISI_EEEEENSH_IJSG_SG_SG_EEES9_SI_JZNS1_25segmented_radix_sort_implINS0_14default_configELb1EPKdPdPKlPlN2at6native12_GLOBAL__N_18offset_tEEE10hipError_tPvRmT1_PNSt15iterator_traitsIS12_E10value_typeET2_T3_PNS13_IS18_E10value_typeET4_jRbjT5_S1E_jjP12ihipStream_tbEUljE_ZNSN_ISO_Lb1ESQ_SR_ST_SU_SY_EESZ_S10_S11_S12_S16_S17_S18_S1B_S1C_jS1D_jS1E_S1E_jjS1G_bEUljE0_EEESZ_S10_S11_S18_S1C_S1E_T6_T7_T9_mT8_S1G_bDpT10_ENKUlT_T0_E_clISt17integral_constantIbLb0EES1T_IbLb1EEEEDaS1P_S1Q_EUlS1P_E_NS1_11comp_targetILNS1_3genE8ELNS1_11target_archE1030ELNS1_3gpuE2ELNS1_3repE0EEENS1_30default_config_static_selectorELNS0_4arch9wavefront6targetE0EEEvS12_: ; @_ZN7rocprim17ROCPRIM_400000_NS6detail17trampoline_kernelINS0_13select_configILj256ELj13ELNS0_17block_load_methodE3ELS4_3ELS4_3ELNS0_20block_scan_algorithmE0ELj4294967295EEENS1_25partition_config_selectorILNS1_17partition_subalgoE4EjNS0_10empty_typeEbEEZZNS1_14partition_implILS8_4ELb0ES6_15HIP_vector_typeIjLj2EENS0_17counting_iteratorIjlEEPS9_SG_NS0_5tupleIJPjSI_NS0_16reverse_iteratorISI_EEEEENSH_IJSG_SG_SG_EEES9_SI_JZNS1_25segmented_radix_sort_implINS0_14default_configELb1EPKdPdPKlPlN2at6native12_GLOBAL__N_18offset_tEEE10hipError_tPvRmT1_PNSt15iterator_traitsIS12_E10value_typeET2_T3_PNS13_IS18_E10value_typeET4_jRbjT5_S1E_jjP12ihipStream_tbEUljE_ZNSN_ISO_Lb1ESQ_SR_ST_SU_SY_EESZ_S10_S11_S12_S16_S17_S18_S1B_S1C_jS1D_jS1E_S1E_jjS1G_bEUljE0_EEESZ_S10_S11_S18_S1C_S1E_T6_T7_T9_mT8_S1G_bDpT10_ENKUlT_T0_E_clISt17integral_constantIbLb0EES1T_IbLb1EEEEDaS1P_S1Q_EUlS1P_E_NS1_11comp_targetILNS1_3genE8ELNS1_11target_archE1030ELNS1_3gpuE2ELNS1_3repE0EEENS1_30default_config_static_selectorELNS0_4arch9wavefront6targetE0EEEvS12_
; %bb.0:
	.section	.rodata,"a",@progbits
	.p2align	6, 0x0
	.amdhsa_kernel _ZN7rocprim17ROCPRIM_400000_NS6detail17trampoline_kernelINS0_13select_configILj256ELj13ELNS0_17block_load_methodE3ELS4_3ELS4_3ELNS0_20block_scan_algorithmE0ELj4294967295EEENS1_25partition_config_selectorILNS1_17partition_subalgoE4EjNS0_10empty_typeEbEEZZNS1_14partition_implILS8_4ELb0ES6_15HIP_vector_typeIjLj2EENS0_17counting_iteratorIjlEEPS9_SG_NS0_5tupleIJPjSI_NS0_16reverse_iteratorISI_EEEEENSH_IJSG_SG_SG_EEES9_SI_JZNS1_25segmented_radix_sort_implINS0_14default_configELb1EPKdPdPKlPlN2at6native12_GLOBAL__N_18offset_tEEE10hipError_tPvRmT1_PNSt15iterator_traitsIS12_E10value_typeET2_T3_PNS13_IS18_E10value_typeET4_jRbjT5_S1E_jjP12ihipStream_tbEUljE_ZNSN_ISO_Lb1ESQ_SR_ST_SU_SY_EESZ_S10_S11_S12_S16_S17_S18_S1B_S1C_jS1D_jS1E_S1E_jjS1G_bEUljE0_EEESZ_S10_S11_S18_S1C_S1E_T6_T7_T9_mT8_S1G_bDpT10_ENKUlT_T0_E_clISt17integral_constantIbLb0EES1T_IbLb1EEEEDaS1P_S1Q_EUlS1P_E_NS1_11comp_targetILNS1_3genE8ELNS1_11target_archE1030ELNS1_3gpuE2ELNS1_3repE0EEENS1_30default_config_static_selectorELNS0_4arch9wavefront6targetE0EEEvS12_
		.amdhsa_group_segment_fixed_size 0
		.amdhsa_private_segment_fixed_size 0
		.amdhsa_kernarg_size 184
		.amdhsa_user_sgpr_count 15
		.amdhsa_user_sgpr_dispatch_ptr 0
		.amdhsa_user_sgpr_queue_ptr 0
		.amdhsa_user_sgpr_kernarg_segment_ptr 1
		.amdhsa_user_sgpr_dispatch_id 0
		.amdhsa_user_sgpr_private_segment_size 0
		.amdhsa_wavefront_size32 1
		.amdhsa_uses_dynamic_stack 0
		.amdhsa_enable_private_segment 0
		.amdhsa_system_sgpr_workgroup_id_x 1
		.amdhsa_system_sgpr_workgroup_id_y 0
		.amdhsa_system_sgpr_workgroup_id_z 0
		.amdhsa_system_sgpr_workgroup_info 0
		.amdhsa_system_vgpr_workitem_id 0
		.amdhsa_next_free_vgpr 1
		.amdhsa_next_free_sgpr 1
		.amdhsa_reserve_vcc 0
		.amdhsa_float_round_mode_32 0
		.amdhsa_float_round_mode_16_64 0
		.amdhsa_float_denorm_mode_32 3
		.amdhsa_float_denorm_mode_16_64 3
		.amdhsa_dx10_clamp 1
		.amdhsa_ieee_mode 1
		.amdhsa_fp16_overflow 0
		.amdhsa_workgroup_processor_mode 1
		.amdhsa_memory_ordered 1
		.amdhsa_forward_progress 0
		.amdhsa_shared_vgpr_count 0
		.amdhsa_exception_fp_ieee_invalid_op 0
		.amdhsa_exception_fp_denorm_src 0
		.amdhsa_exception_fp_ieee_div_zero 0
		.amdhsa_exception_fp_ieee_overflow 0
		.amdhsa_exception_fp_ieee_underflow 0
		.amdhsa_exception_fp_ieee_inexact 0
		.amdhsa_exception_int_div_zero 0
	.end_amdhsa_kernel
	.section	.text._ZN7rocprim17ROCPRIM_400000_NS6detail17trampoline_kernelINS0_13select_configILj256ELj13ELNS0_17block_load_methodE3ELS4_3ELS4_3ELNS0_20block_scan_algorithmE0ELj4294967295EEENS1_25partition_config_selectorILNS1_17partition_subalgoE4EjNS0_10empty_typeEbEEZZNS1_14partition_implILS8_4ELb0ES6_15HIP_vector_typeIjLj2EENS0_17counting_iteratorIjlEEPS9_SG_NS0_5tupleIJPjSI_NS0_16reverse_iteratorISI_EEEEENSH_IJSG_SG_SG_EEES9_SI_JZNS1_25segmented_radix_sort_implINS0_14default_configELb1EPKdPdPKlPlN2at6native12_GLOBAL__N_18offset_tEEE10hipError_tPvRmT1_PNSt15iterator_traitsIS12_E10value_typeET2_T3_PNS13_IS18_E10value_typeET4_jRbjT5_S1E_jjP12ihipStream_tbEUljE_ZNSN_ISO_Lb1ESQ_SR_ST_SU_SY_EESZ_S10_S11_S12_S16_S17_S18_S1B_S1C_jS1D_jS1E_S1E_jjS1G_bEUljE0_EEESZ_S10_S11_S18_S1C_S1E_T6_T7_T9_mT8_S1G_bDpT10_ENKUlT_T0_E_clISt17integral_constantIbLb0EES1T_IbLb1EEEEDaS1P_S1Q_EUlS1P_E_NS1_11comp_targetILNS1_3genE8ELNS1_11target_archE1030ELNS1_3gpuE2ELNS1_3repE0EEENS1_30default_config_static_selectorELNS0_4arch9wavefront6targetE0EEEvS12_,"axG",@progbits,_ZN7rocprim17ROCPRIM_400000_NS6detail17trampoline_kernelINS0_13select_configILj256ELj13ELNS0_17block_load_methodE3ELS4_3ELS4_3ELNS0_20block_scan_algorithmE0ELj4294967295EEENS1_25partition_config_selectorILNS1_17partition_subalgoE4EjNS0_10empty_typeEbEEZZNS1_14partition_implILS8_4ELb0ES6_15HIP_vector_typeIjLj2EENS0_17counting_iteratorIjlEEPS9_SG_NS0_5tupleIJPjSI_NS0_16reverse_iteratorISI_EEEEENSH_IJSG_SG_SG_EEES9_SI_JZNS1_25segmented_radix_sort_implINS0_14default_configELb1EPKdPdPKlPlN2at6native12_GLOBAL__N_18offset_tEEE10hipError_tPvRmT1_PNSt15iterator_traitsIS12_E10value_typeET2_T3_PNS13_IS18_E10value_typeET4_jRbjT5_S1E_jjP12ihipStream_tbEUljE_ZNSN_ISO_Lb1ESQ_SR_ST_SU_SY_EESZ_S10_S11_S12_S16_S17_S18_S1B_S1C_jS1D_jS1E_S1E_jjS1G_bEUljE0_EEESZ_S10_S11_S18_S1C_S1E_T6_T7_T9_mT8_S1G_bDpT10_ENKUlT_T0_E_clISt17integral_constantIbLb0EES1T_IbLb1EEEEDaS1P_S1Q_EUlS1P_E_NS1_11comp_targetILNS1_3genE8ELNS1_11target_archE1030ELNS1_3gpuE2ELNS1_3repE0EEENS1_30default_config_static_selectorELNS0_4arch9wavefront6targetE0EEEvS12_,comdat
.Lfunc_end1085:
	.size	_ZN7rocprim17ROCPRIM_400000_NS6detail17trampoline_kernelINS0_13select_configILj256ELj13ELNS0_17block_load_methodE3ELS4_3ELS4_3ELNS0_20block_scan_algorithmE0ELj4294967295EEENS1_25partition_config_selectorILNS1_17partition_subalgoE4EjNS0_10empty_typeEbEEZZNS1_14partition_implILS8_4ELb0ES6_15HIP_vector_typeIjLj2EENS0_17counting_iteratorIjlEEPS9_SG_NS0_5tupleIJPjSI_NS0_16reverse_iteratorISI_EEEEENSH_IJSG_SG_SG_EEES9_SI_JZNS1_25segmented_radix_sort_implINS0_14default_configELb1EPKdPdPKlPlN2at6native12_GLOBAL__N_18offset_tEEE10hipError_tPvRmT1_PNSt15iterator_traitsIS12_E10value_typeET2_T3_PNS13_IS18_E10value_typeET4_jRbjT5_S1E_jjP12ihipStream_tbEUljE_ZNSN_ISO_Lb1ESQ_SR_ST_SU_SY_EESZ_S10_S11_S12_S16_S17_S18_S1B_S1C_jS1D_jS1E_S1E_jjS1G_bEUljE0_EEESZ_S10_S11_S18_S1C_S1E_T6_T7_T9_mT8_S1G_bDpT10_ENKUlT_T0_E_clISt17integral_constantIbLb0EES1T_IbLb1EEEEDaS1P_S1Q_EUlS1P_E_NS1_11comp_targetILNS1_3genE8ELNS1_11target_archE1030ELNS1_3gpuE2ELNS1_3repE0EEENS1_30default_config_static_selectorELNS0_4arch9wavefront6targetE0EEEvS12_, .Lfunc_end1085-_ZN7rocprim17ROCPRIM_400000_NS6detail17trampoline_kernelINS0_13select_configILj256ELj13ELNS0_17block_load_methodE3ELS4_3ELS4_3ELNS0_20block_scan_algorithmE0ELj4294967295EEENS1_25partition_config_selectorILNS1_17partition_subalgoE4EjNS0_10empty_typeEbEEZZNS1_14partition_implILS8_4ELb0ES6_15HIP_vector_typeIjLj2EENS0_17counting_iteratorIjlEEPS9_SG_NS0_5tupleIJPjSI_NS0_16reverse_iteratorISI_EEEEENSH_IJSG_SG_SG_EEES9_SI_JZNS1_25segmented_radix_sort_implINS0_14default_configELb1EPKdPdPKlPlN2at6native12_GLOBAL__N_18offset_tEEE10hipError_tPvRmT1_PNSt15iterator_traitsIS12_E10value_typeET2_T3_PNS13_IS18_E10value_typeET4_jRbjT5_S1E_jjP12ihipStream_tbEUljE_ZNSN_ISO_Lb1ESQ_SR_ST_SU_SY_EESZ_S10_S11_S12_S16_S17_S18_S1B_S1C_jS1D_jS1E_S1E_jjS1G_bEUljE0_EEESZ_S10_S11_S18_S1C_S1E_T6_T7_T9_mT8_S1G_bDpT10_ENKUlT_T0_E_clISt17integral_constantIbLb0EES1T_IbLb1EEEEDaS1P_S1Q_EUlS1P_E_NS1_11comp_targetILNS1_3genE8ELNS1_11target_archE1030ELNS1_3gpuE2ELNS1_3repE0EEENS1_30default_config_static_selectorELNS0_4arch9wavefront6targetE0EEEvS12_
                                        ; -- End function
	.section	.AMDGPU.csdata,"",@progbits
; Kernel info:
; codeLenInByte = 0
; NumSgprs: 0
; NumVgprs: 0
; ScratchSize: 0
; MemoryBound: 0
; FloatMode: 240
; IeeeMode: 1
; LDSByteSize: 0 bytes/workgroup (compile time only)
; SGPRBlocks: 0
; VGPRBlocks: 0
; NumSGPRsForWavesPerEU: 1
; NumVGPRsForWavesPerEU: 1
; Occupancy: 16
; WaveLimiterHint : 0
; COMPUTE_PGM_RSRC2:SCRATCH_EN: 0
; COMPUTE_PGM_RSRC2:USER_SGPR: 15
; COMPUTE_PGM_RSRC2:TRAP_HANDLER: 0
; COMPUTE_PGM_RSRC2:TGID_X_EN: 1
; COMPUTE_PGM_RSRC2:TGID_Y_EN: 0
; COMPUTE_PGM_RSRC2:TGID_Z_EN: 0
; COMPUTE_PGM_RSRC2:TIDIG_COMP_CNT: 0
	.section	.text._ZN7rocprim17ROCPRIM_400000_NS6detail17trampoline_kernelINS0_13select_configILj256ELj13ELNS0_17block_load_methodE3ELS4_3ELS4_3ELNS0_20block_scan_algorithmE0ELj4294967295EEENS1_25partition_config_selectorILNS1_17partition_subalgoE3EjNS0_10empty_typeEbEEZZNS1_14partition_implILS8_3ELb0ES6_jNS0_17counting_iteratorIjlEEPS9_SE_NS0_5tupleIJPjSE_EEENSF_IJSE_SE_EEES9_SG_JZNS1_25segmented_radix_sort_implINS0_14default_configELb1EPKdPdPKlPlN2at6native12_GLOBAL__N_18offset_tEEE10hipError_tPvRmT1_PNSt15iterator_traitsISY_E10value_typeET2_T3_PNSZ_IS14_E10value_typeET4_jRbjT5_S1A_jjP12ihipStream_tbEUljE_EEESV_SW_SX_S14_S18_S1A_T6_T7_T9_mT8_S1C_bDpT10_ENKUlT_T0_E_clISt17integral_constantIbLb0EES1P_EEDaS1K_S1L_EUlS1K_E_NS1_11comp_targetILNS1_3genE0ELNS1_11target_archE4294967295ELNS1_3gpuE0ELNS1_3repE0EEENS1_30default_config_static_selectorELNS0_4arch9wavefront6targetE0EEEvSY_,"axG",@progbits,_ZN7rocprim17ROCPRIM_400000_NS6detail17trampoline_kernelINS0_13select_configILj256ELj13ELNS0_17block_load_methodE3ELS4_3ELS4_3ELNS0_20block_scan_algorithmE0ELj4294967295EEENS1_25partition_config_selectorILNS1_17partition_subalgoE3EjNS0_10empty_typeEbEEZZNS1_14partition_implILS8_3ELb0ES6_jNS0_17counting_iteratorIjlEEPS9_SE_NS0_5tupleIJPjSE_EEENSF_IJSE_SE_EEES9_SG_JZNS1_25segmented_radix_sort_implINS0_14default_configELb1EPKdPdPKlPlN2at6native12_GLOBAL__N_18offset_tEEE10hipError_tPvRmT1_PNSt15iterator_traitsISY_E10value_typeET2_T3_PNSZ_IS14_E10value_typeET4_jRbjT5_S1A_jjP12ihipStream_tbEUljE_EEESV_SW_SX_S14_S18_S1A_T6_T7_T9_mT8_S1C_bDpT10_ENKUlT_T0_E_clISt17integral_constantIbLb0EES1P_EEDaS1K_S1L_EUlS1K_E_NS1_11comp_targetILNS1_3genE0ELNS1_11target_archE4294967295ELNS1_3gpuE0ELNS1_3repE0EEENS1_30default_config_static_selectorELNS0_4arch9wavefront6targetE0EEEvSY_,comdat
	.globl	_ZN7rocprim17ROCPRIM_400000_NS6detail17trampoline_kernelINS0_13select_configILj256ELj13ELNS0_17block_load_methodE3ELS4_3ELS4_3ELNS0_20block_scan_algorithmE0ELj4294967295EEENS1_25partition_config_selectorILNS1_17partition_subalgoE3EjNS0_10empty_typeEbEEZZNS1_14partition_implILS8_3ELb0ES6_jNS0_17counting_iteratorIjlEEPS9_SE_NS0_5tupleIJPjSE_EEENSF_IJSE_SE_EEES9_SG_JZNS1_25segmented_radix_sort_implINS0_14default_configELb1EPKdPdPKlPlN2at6native12_GLOBAL__N_18offset_tEEE10hipError_tPvRmT1_PNSt15iterator_traitsISY_E10value_typeET2_T3_PNSZ_IS14_E10value_typeET4_jRbjT5_S1A_jjP12ihipStream_tbEUljE_EEESV_SW_SX_S14_S18_S1A_T6_T7_T9_mT8_S1C_bDpT10_ENKUlT_T0_E_clISt17integral_constantIbLb0EES1P_EEDaS1K_S1L_EUlS1K_E_NS1_11comp_targetILNS1_3genE0ELNS1_11target_archE4294967295ELNS1_3gpuE0ELNS1_3repE0EEENS1_30default_config_static_selectorELNS0_4arch9wavefront6targetE0EEEvSY_ ; -- Begin function _ZN7rocprim17ROCPRIM_400000_NS6detail17trampoline_kernelINS0_13select_configILj256ELj13ELNS0_17block_load_methodE3ELS4_3ELS4_3ELNS0_20block_scan_algorithmE0ELj4294967295EEENS1_25partition_config_selectorILNS1_17partition_subalgoE3EjNS0_10empty_typeEbEEZZNS1_14partition_implILS8_3ELb0ES6_jNS0_17counting_iteratorIjlEEPS9_SE_NS0_5tupleIJPjSE_EEENSF_IJSE_SE_EEES9_SG_JZNS1_25segmented_radix_sort_implINS0_14default_configELb1EPKdPdPKlPlN2at6native12_GLOBAL__N_18offset_tEEE10hipError_tPvRmT1_PNSt15iterator_traitsISY_E10value_typeET2_T3_PNSZ_IS14_E10value_typeET4_jRbjT5_S1A_jjP12ihipStream_tbEUljE_EEESV_SW_SX_S14_S18_S1A_T6_T7_T9_mT8_S1C_bDpT10_ENKUlT_T0_E_clISt17integral_constantIbLb0EES1P_EEDaS1K_S1L_EUlS1K_E_NS1_11comp_targetILNS1_3genE0ELNS1_11target_archE4294967295ELNS1_3gpuE0ELNS1_3repE0EEENS1_30default_config_static_selectorELNS0_4arch9wavefront6targetE0EEEvSY_
	.p2align	8
	.type	_ZN7rocprim17ROCPRIM_400000_NS6detail17trampoline_kernelINS0_13select_configILj256ELj13ELNS0_17block_load_methodE3ELS4_3ELS4_3ELNS0_20block_scan_algorithmE0ELj4294967295EEENS1_25partition_config_selectorILNS1_17partition_subalgoE3EjNS0_10empty_typeEbEEZZNS1_14partition_implILS8_3ELb0ES6_jNS0_17counting_iteratorIjlEEPS9_SE_NS0_5tupleIJPjSE_EEENSF_IJSE_SE_EEES9_SG_JZNS1_25segmented_radix_sort_implINS0_14default_configELb1EPKdPdPKlPlN2at6native12_GLOBAL__N_18offset_tEEE10hipError_tPvRmT1_PNSt15iterator_traitsISY_E10value_typeET2_T3_PNSZ_IS14_E10value_typeET4_jRbjT5_S1A_jjP12ihipStream_tbEUljE_EEESV_SW_SX_S14_S18_S1A_T6_T7_T9_mT8_S1C_bDpT10_ENKUlT_T0_E_clISt17integral_constantIbLb0EES1P_EEDaS1K_S1L_EUlS1K_E_NS1_11comp_targetILNS1_3genE0ELNS1_11target_archE4294967295ELNS1_3gpuE0ELNS1_3repE0EEENS1_30default_config_static_selectorELNS0_4arch9wavefront6targetE0EEEvSY_,@function
_ZN7rocprim17ROCPRIM_400000_NS6detail17trampoline_kernelINS0_13select_configILj256ELj13ELNS0_17block_load_methodE3ELS4_3ELS4_3ELNS0_20block_scan_algorithmE0ELj4294967295EEENS1_25partition_config_selectorILNS1_17partition_subalgoE3EjNS0_10empty_typeEbEEZZNS1_14partition_implILS8_3ELb0ES6_jNS0_17counting_iteratorIjlEEPS9_SE_NS0_5tupleIJPjSE_EEENSF_IJSE_SE_EEES9_SG_JZNS1_25segmented_radix_sort_implINS0_14default_configELb1EPKdPdPKlPlN2at6native12_GLOBAL__N_18offset_tEEE10hipError_tPvRmT1_PNSt15iterator_traitsISY_E10value_typeET2_T3_PNSZ_IS14_E10value_typeET4_jRbjT5_S1A_jjP12ihipStream_tbEUljE_EEESV_SW_SX_S14_S18_S1A_T6_T7_T9_mT8_S1C_bDpT10_ENKUlT_T0_E_clISt17integral_constantIbLb0EES1P_EEDaS1K_S1L_EUlS1K_E_NS1_11comp_targetILNS1_3genE0ELNS1_11target_archE4294967295ELNS1_3gpuE0ELNS1_3repE0EEENS1_30default_config_static_selectorELNS0_4arch9wavefront6targetE0EEEvSY_: ; @_ZN7rocprim17ROCPRIM_400000_NS6detail17trampoline_kernelINS0_13select_configILj256ELj13ELNS0_17block_load_methodE3ELS4_3ELS4_3ELNS0_20block_scan_algorithmE0ELj4294967295EEENS1_25partition_config_selectorILNS1_17partition_subalgoE3EjNS0_10empty_typeEbEEZZNS1_14partition_implILS8_3ELb0ES6_jNS0_17counting_iteratorIjlEEPS9_SE_NS0_5tupleIJPjSE_EEENSF_IJSE_SE_EEES9_SG_JZNS1_25segmented_radix_sort_implINS0_14default_configELb1EPKdPdPKlPlN2at6native12_GLOBAL__N_18offset_tEEE10hipError_tPvRmT1_PNSt15iterator_traitsISY_E10value_typeET2_T3_PNSZ_IS14_E10value_typeET4_jRbjT5_S1A_jjP12ihipStream_tbEUljE_EEESV_SW_SX_S14_S18_S1A_T6_T7_T9_mT8_S1C_bDpT10_ENKUlT_T0_E_clISt17integral_constantIbLb0EES1P_EEDaS1K_S1L_EUlS1K_E_NS1_11comp_targetILNS1_3genE0ELNS1_11target_archE4294967295ELNS1_3gpuE0ELNS1_3repE0EEENS1_30default_config_static_selectorELNS0_4arch9wavefront6targetE0EEEvSY_
; %bb.0:
	.section	.rodata,"a",@progbits
	.p2align	6, 0x0
	.amdhsa_kernel _ZN7rocprim17ROCPRIM_400000_NS6detail17trampoline_kernelINS0_13select_configILj256ELj13ELNS0_17block_load_methodE3ELS4_3ELS4_3ELNS0_20block_scan_algorithmE0ELj4294967295EEENS1_25partition_config_selectorILNS1_17partition_subalgoE3EjNS0_10empty_typeEbEEZZNS1_14partition_implILS8_3ELb0ES6_jNS0_17counting_iteratorIjlEEPS9_SE_NS0_5tupleIJPjSE_EEENSF_IJSE_SE_EEES9_SG_JZNS1_25segmented_radix_sort_implINS0_14default_configELb1EPKdPdPKlPlN2at6native12_GLOBAL__N_18offset_tEEE10hipError_tPvRmT1_PNSt15iterator_traitsISY_E10value_typeET2_T3_PNSZ_IS14_E10value_typeET4_jRbjT5_S1A_jjP12ihipStream_tbEUljE_EEESV_SW_SX_S14_S18_S1A_T6_T7_T9_mT8_S1C_bDpT10_ENKUlT_T0_E_clISt17integral_constantIbLb0EES1P_EEDaS1K_S1L_EUlS1K_E_NS1_11comp_targetILNS1_3genE0ELNS1_11target_archE4294967295ELNS1_3gpuE0ELNS1_3repE0EEENS1_30default_config_static_selectorELNS0_4arch9wavefront6targetE0EEEvSY_
		.amdhsa_group_segment_fixed_size 0
		.amdhsa_private_segment_fixed_size 0
		.amdhsa_kernarg_size 144
		.amdhsa_user_sgpr_count 15
		.amdhsa_user_sgpr_dispatch_ptr 0
		.amdhsa_user_sgpr_queue_ptr 0
		.amdhsa_user_sgpr_kernarg_segment_ptr 1
		.amdhsa_user_sgpr_dispatch_id 0
		.amdhsa_user_sgpr_private_segment_size 0
		.amdhsa_wavefront_size32 1
		.amdhsa_uses_dynamic_stack 0
		.amdhsa_enable_private_segment 0
		.amdhsa_system_sgpr_workgroup_id_x 1
		.amdhsa_system_sgpr_workgroup_id_y 0
		.amdhsa_system_sgpr_workgroup_id_z 0
		.amdhsa_system_sgpr_workgroup_info 0
		.amdhsa_system_vgpr_workitem_id 0
		.amdhsa_next_free_vgpr 1
		.amdhsa_next_free_sgpr 1
		.amdhsa_reserve_vcc 0
		.amdhsa_float_round_mode_32 0
		.amdhsa_float_round_mode_16_64 0
		.amdhsa_float_denorm_mode_32 3
		.amdhsa_float_denorm_mode_16_64 3
		.amdhsa_dx10_clamp 1
		.amdhsa_ieee_mode 1
		.amdhsa_fp16_overflow 0
		.amdhsa_workgroup_processor_mode 1
		.amdhsa_memory_ordered 1
		.amdhsa_forward_progress 0
		.amdhsa_shared_vgpr_count 0
		.amdhsa_exception_fp_ieee_invalid_op 0
		.amdhsa_exception_fp_denorm_src 0
		.amdhsa_exception_fp_ieee_div_zero 0
		.amdhsa_exception_fp_ieee_overflow 0
		.amdhsa_exception_fp_ieee_underflow 0
		.amdhsa_exception_fp_ieee_inexact 0
		.amdhsa_exception_int_div_zero 0
	.end_amdhsa_kernel
	.section	.text._ZN7rocprim17ROCPRIM_400000_NS6detail17trampoline_kernelINS0_13select_configILj256ELj13ELNS0_17block_load_methodE3ELS4_3ELS4_3ELNS0_20block_scan_algorithmE0ELj4294967295EEENS1_25partition_config_selectorILNS1_17partition_subalgoE3EjNS0_10empty_typeEbEEZZNS1_14partition_implILS8_3ELb0ES6_jNS0_17counting_iteratorIjlEEPS9_SE_NS0_5tupleIJPjSE_EEENSF_IJSE_SE_EEES9_SG_JZNS1_25segmented_radix_sort_implINS0_14default_configELb1EPKdPdPKlPlN2at6native12_GLOBAL__N_18offset_tEEE10hipError_tPvRmT1_PNSt15iterator_traitsISY_E10value_typeET2_T3_PNSZ_IS14_E10value_typeET4_jRbjT5_S1A_jjP12ihipStream_tbEUljE_EEESV_SW_SX_S14_S18_S1A_T6_T7_T9_mT8_S1C_bDpT10_ENKUlT_T0_E_clISt17integral_constantIbLb0EES1P_EEDaS1K_S1L_EUlS1K_E_NS1_11comp_targetILNS1_3genE0ELNS1_11target_archE4294967295ELNS1_3gpuE0ELNS1_3repE0EEENS1_30default_config_static_selectorELNS0_4arch9wavefront6targetE0EEEvSY_,"axG",@progbits,_ZN7rocprim17ROCPRIM_400000_NS6detail17trampoline_kernelINS0_13select_configILj256ELj13ELNS0_17block_load_methodE3ELS4_3ELS4_3ELNS0_20block_scan_algorithmE0ELj4294967295EEENS1_25partition_config_selectorILNS1_17partition_subalgoE3EjNS0_10empty_typeEbEEZZNS1_14partition_implILS8_3ELb0ES6_jNS0_17counting_iteratorIjlEEPS9_SE_NS0_5tupleIJPjSE_EEENSF_IJSE_SE_EEES9_SG_JZNS1_25segmented_radix_sort_implINS0_14default_configELb1EPKdPdPKlPlN2at6native12_GLOBAL__N_18offset_tEEE10hipError_tPvRmT1_PNSt15iterator_traitsISY_E10value_typeET2_T3_PNSZ_IS14_E10value_typeET4_jRbjT5_S1A_jjP12ihipStream_tbEUljE_EEESV_SW_SX_S14_S18_S1A_T6_T7_T9_mT8_S1C_bDpT10_ENKUlT_T0_E_clISt17integral_constantIbLb0EES1P_EEDaS1K_S1L_EUlS1K_E_NS1_11comp_targetILNS1_3genE0ELNS1_11target_archE4294967295ELNS1_3gpuE0ELNS1_3repE0EEENS1_30default_config_static_selectorELNS0_4arch9wavefront6targetE0EEEvSY_,comdat
.Lfunc_end1086:
	.size	_ZN7rocprim17ROCPRIM_400000_NS6detail17trampoline_kernelINS0_13select_configILj256ELj13ELNS0_17block_load_methodE3ELS4_3ELS4_3ELNS0_20block_scan_algorithmE0ELj4294967295EEENS1_25partition_config_selectorILNS1_17partition_subalgoE3EjNS0_10empty_typeEbEEZZNS1_14partition_implILS8_3ELb0ES6_jNS0_17counting_iteratorIjlEEPS9_SE_NS0_5tupleIJPjSE_EEENSF_IJSE_SE_EEES9_SG_JZNS1_25segmented_radix_sort_implINS0_14default_configELb1EPKdPdPKlPlN2at6native12_GLOBAL__N_18offset_tEEE10hipError_tPvRmT1_PNSt15iterator_traitsISY_E10value_typeET2_T3_PNSZ_IS14_E10value_typeET4_jRbjT5_S1A_jjP12ihipStream_tbEUljE_EEESV_SW_SX_S14_S18_S1A_T6_T7_T9_mT8_S1C_bDpT10_ENKUlT_T0_E_clISt17integral_constantIbLb0EES1P_EEDaS1K_S1L_EUlS1K_E_NS1_11comp_targetILNS1_3genE0ELNS1_11target_archE4294967295ELNS1_3gpuE0ELNS1_3repE0EEENS1_30default_config_static_selectorELNS0_4arch9wavefront6targetE0EEEvSY_, .Lfunc_end1086-_ZN7rocprim17ROCPRIM_400000_NS6detail17trampoline_kernelINS0_13select_configILj256ELj13ELNS0_17block_load_methodE3ELS4_3ELS4_3ELNS0_20block_scan_algorithmE0ELj4294967295EEENS1_25partition_config_selectorILNS1_17partition_subalgoE3EjNS0_10empty_typeEbEEZZNS1_14partition_implILS8_3ELb0ES6_jNS0_17counting_iteratorIjlEEPS9_SE_NS0_5tupleIJPjSE_EEENSF_IJSE_SE_EEES9_SG_JZNS1_25segmented_radix_sort_implINS0_14default_configELb1EPKdPdPKlPlN2at6native12_GLOBAL__N_18offset_tEEE10hipError_tPvRmT1_PNSt15iterator_traitsISY_E10value_typeET2_T3_PNSZ_IS14_E10value_typeET4_jRbjT5_S1A_jjP12ihipStream_tbEUljE_EEESV_SW_SX_S14_S18_S1A_T6_T7_T9_mT8_S1C_bDpT10_ENKUlT_T0_E_clISt17integral_constantIbLb0EES1P_EEDaS1K_S1L_EUlS1K_E_NS1_11comp_targetILNS1_3genE0ELNS1_11target_archE4294967295ELNS1_3gpuE0ELNS1_3repE0EEENS1_30default_config_static_selectorELNS0_4arch9wavefront6targetE0EEEvSY_
                                        ; -- End function
	.section	.AMDGPU.csdata,"",@progbits
; Kernel info:
; codeLenInByte = 0
; NumSgprs: 0
; NumVgprs: 0
; ScratchSize: 0
; MemoryBound: 0
; FloatMode: 240
; IeeeMode: 1
; LDSByteSize: 0 bytes/workgroup (compile time only)
; SGPRBlocks: 0
; VGPRBlocks: 0
; NumSGPRsForWavesPerEU: 1
; NumVGPRsForWavesPerEU: 1
; Occupancy: 16
; WaveLimiterHint : 0
; COMPUTE_PGM_RSRC2:SCRATCH_EN: 0
; COMPUTE_PGM_RSRC2:USER_SGPR: 15
; COMPUTE_PGM_RSRC2:TRAP_HANDLER: 0
; COMPUTE_PGM_RSRC2:TGID_X_EN: 1
; COMPUTE_PGM_RSRC2:TGID_Y_EN: 0
; COMPUTE_PGM_RSRC2:TGID_Z_EN: 0
; COMPUTE_PGM_RSRC2:TIDIG_COMP_CNT: 0
	.section	.text._ZN7rocprim17ROCPRIM_400000_NS6detail17trampoline_kernelINS0_13select_configILj256ELj13ELNS0_17block_load_methodE3ELS4_3ELS4_3ELNS0_20block_scan_algorithmE0ELj4294967295EEENS1_25partition_config_selectorILNS1_17partition_subalgoE3EjNS0_10empty_typeEbEEZZNS1_14partition_implILS8_3ELb0ES6_jNS0_17counting_iteratorIjlEEPS9_SE_NS0_5tupleIJPjSE_EEENSF_IJSE_SE_EEES9_SG_JZNS1_25segmented_radix_sort_implINS0_14default_configELb1EPKdPdPKlPlN2at6native12_GLOBAL__N_18offset_tEEE10hipError_tPvRmT1_PNSt15iterator_traitsISY_E10value_typeET2_T3_PNSZ_IS14_E10value_typeET4_jRbjT5_S1A_jjP12ihipStream_tbEUljE_EEESV_SW_SX_S14_S18_S1A_T6_T7_T9_mT8_S1C_bDpT10_ENKUlT_T0_E_clISt17integral_constantIbLb0EES1P_EEDaS1K_S1L_EUlS1K_E_NS1_11comp_targetILNS1_3genE5ELNS1_11target_archE942ELNS1_3gpuE9ELNS1_3repE0EEENS1_30default_config_static_selectorELNS0_4arch9wavefront6targetE0EEEvSY_,"axG",@progbits,_ZN7rocprim17ROCPRIM_400000_NS6detail17trampoline_kernelINS0_13select_configILj256ELj13ELNS0_17block_load_methodE3ELS4_3ELS4_3ELNS0_20block_scan_algorithmE0ELj4294967295EEENS1_25partition_config_selectorILNS1_17partition_subalgoE3EjNS0_10empty_typeEbEEZZNS1_14partition_implILS8_3ELb0ES6_jNS0_17counting_iteratorIjlEEPS9_SE_NS0_5tupleIJPjSE_EEENSF_IJSE_SE_EEES9_SG_JZNS1_25segmented_radix_sort_implINS0_14default_configELb1EPKdPdPKlPlN2at6native12_GLOBAL__N_18offset_tEEE10hipError_tPvRmT1_PNSt15iterator_traitsISY_E10value_typeET2_T3_PNSZ_IS14_E10value_typeET4_jRbjT5_S1A_jjP12ihipStream_tbEUljE_EEESV_SW_SX_S14_S18_S1A_T6_T7_T9_mT8_S1C_bDpT10_ENKUlT_T0_E_clISt17integral_constantIbLb0EES1P_EEDaS1K_S1L_EUlS1K_E_NS1_11comp_targetILNS1_3genE5ELNS1_11target_archE942ELNS1_3gpuE9ELNS1_3repE0EEENS1_30default_config_static_selectorELNS0_4arch9wavefront6targetE0EEEvSY_,comdat
	.globl	_ZN7rocprim17ROCPRIM_400000_NS6detail17trampoline_kernelINS0_13select_configILj256ELj13ELNS0_17block_load_methodE3ELS4_3ELS4_3ELNS0_20block_scan_algorithmE0ELj4294967295EEENS1_25partition_config_selectorILNS1_17partition_subalgoE3EjNS0_10empty_typeEbEEZZNS1_14partition_implILS8_3ELb0ES6_jNS0_17counting_iteratorIjlEEPS9_SE_NS0_5tupleIJPjSE_EEENSF_IJSE_SE_EEES9_SG_JZNS1_25segmented_radix_sort_implINS0_14default_configELb1EPKdPdPKlPlN2at6native12_GLOBAL__N_18offset_tEEE10hipError_tPvRmT1_PNSt15iterator_traitsISY_E10value_typeET2_T3_PNSZ_IS14_E10value_typeET4_jRbjT5_S1A_jjP12ihipStream_tbEUljE_EEESV_SW_SX_S14_S18_S1A_T6_T7_T9_mT8_S1C_bDpT10_ENKUlT_T0_E_clISt17integral_constantIbLb0EES1P_EEDaS1K_S1L_EUlS1K_E_NS1_11comp_targetILNS1_3genE5ELNS1_11target_archE942ELNS1_3gpuE9ELNS1_3repE0EEENS1_30default_config_static_selectorELNS0_4arch9wavefront6targetE0EEEvSY_ ; -- Begin function _ZN7rocprim17ROCPRIM_400000_NS6detail17trampoline_kernelINS0_13select_configILj256ELj13ELNS0_17block_load_methodE3ELS4_3ELS4_3ELNS0_20block_scan_algorithmE0ELj4294967295EEENS1_25partition_config_selectorILNS1_17partition_subalgoE3EjNS0_10empty_typeEbEEZZNS1_14partition_implILS8_3ELb0ES6_jNS0_17counting_iteratorIjlEEPS9_SE_NS0_5tupleIJPjSE_EEENSF_IJSE_SE_EEES9_SG_JZNS1_25segmented_radix_sort_implINS0_14default_configELb1EPKdPdPKlPlN2at6native12_GLOBAL__N_18offset_tEEE10hipError_tPvRmT1_PNSt15iterator_traitsISY_E10value_typeET2_T3_PNSZ_IS14_E10value_typeET4_jRbjT5_S1A_jjP12ihipStream_tbEUljE_EEESV_SW_SX_S14_S18_S1A_T6_T7_T9_mT8_S1C_bDpT10_ENKUlT_T0_E_clISt17integral_constantIbLb0EES1P_EEDaS1K_S1L_EUlS1K_E_NS1_11comp_targetILNS1_3genE5ELNS1_11target_archE942ELNS1_3gpuE9ELNS1_3repE0EEENS1_30default_config_static_selectorELNS0_4arch9wavefront6targetE0EEEvSY_
	.p2align	8
	.type	_ZN7rocprim17ROCPRIM_400000_NS6detail17trampoline_kernelINS0_13select_configILj256ELj13ELNS0_17block_load_methodE3ELS4_3ELS4_3ELNS0_20block_scan_algorithmE0ELj4294967295EEENS1_25partition_config_selectorILNS1_17partition_subalgoE3EjNS0_10empty_typeEbEEZZNS1_14partition_implILS8_3ELb0ES6_jNS0_17counting_iteratorIjlEEPS9_SE_NS0_5tupleIJPjSE_EEENSF_IJSE_SE_EEES9_SG_JZNS1_25segmented_radix_sort_implINS0_14default_configELb1EPKdPdPKlPlN2at6native12_GLOBAL__N_18offset_tEEE10hipError_tPvRmT1_PNSt15iterator_traitsISY_E10value_typeET2_T3_PNSZ_IS14_E10value_typeET4_jRbjT5_S1A_jjP12ihipStream_tbEUljE_EEESV_SW_SX_S14_S18_S1A_T6_T7_T9_mT8_S1C_bDpT10_ENKUlT_T0_E_clISt17integral_constantIbLb0EES1P_EEDaS1K_S1L_EUlS1K_E_NS1_11comp_targetILNS1_3genE5ELNS1_11target_archE942ELNS1_3gpuE9ELNS1_3repE0EEENS1_30default_config_static_selectorELNS0_4arch9wavefront6targetE0EEEvSY_,@function
_ZN7rocprim17ROCPRIM_400000_NS6detail17trampoline_kernelINS0_13select_configILj256ELj13ELNS0_17block_load_methodE3ELS4_3ELS4_3ELNS0_20block_scan_algorithmE0ELj4294967295EEENS1_25partition_config_selectorILNS1_17partition_subalgoE3EjNS0_10empty_typeEbEEZZNS1_14partition_implILS8_3ELb0ES6_jNS0_17counting_iteratorIjlEEPS9_SE_NS0_5tupleIJPjSE_EEENSF_IJSE_SE_EEES9_SG_JZNS1_25segmented_radix_sort_implINS0_14default_configELb1EPKdPdPKlPlN2at6native12_GLOBAL__N_18offset_tEEE10hipError_tPvRmT1_PNSt15iterator_traitsISY_E10value_typeET2_T3_PNSZ_IS14_E10value_typeET4_jRbjT5_S1A_jjP12ihipStream_tbEUljE_EEESV_SW_SX_S14_S18_S1A_T6_T7_T9_mT8_S1C_bDpT10_ENKUlT_T0_E_clISt17integral_constantIbLb0EES1P_EEDaS1K_S1L_EUlS1K_E_NS1_11comp_targetILNS1_3genE5ELNS1_11target_archE942ELNS1_3gpuE9ELNS1_3repE0EEENS1_30default_config_static_selectorELNS0_4arch9wavefront6targetE0EEEvSY_: ; @_ZN7rocprim17ROCPRIM_400000_NS6detail17trampoline_kernelINS0_13select_configILj256ELj13ELNS0_17block_load_methodE3ELS4_3ELS4_3ELNS0_20block_scan_algorithmE0ELj4294967295EEENS1_25partition_config_selectorILNS1_17partition_subalgoE3EjNS0_10empty_typeEbEEZZNS1_14partition_implILS8_3ELb0ES6_jNS0_17counting_iteratorIjlEEPS9_SE_NS0_5tupleIJPjSE_EEENSF_IJSE_SE_EEES9_SG_JZNS1_25segmented_radix_sort_implINS0_14default_configELb1EPKdPdPKlPlN2at6native12_GLOBAL__N_18offset_tEEE10hipError_tPvRmT1_PNSt15iterator_traitsISY_E10value_typeET2_T3_PNSZ_IS14_E10value_typeET4_jRbjT5_S1A_jjP12ihipStream_tbEUljE_EEESV_SW_SX_S14_S18_S1A_T6_T7_T9_mT8_S1C_bDpT10_ENKUlT_T0_E_clISt17integral_constantIbLb0EES1P_EEDaS1K_S1L_EUlS1K_E_NS1_11comp_targetILNS1_3genE5ELNS1_11target_archE942ELNS1_3gpuE9ELNS1_3repE0EEENS1_30default_config_static_selectorELNS0_4arch9wavefront6targetE0EEEvSY_
; %bb.0:
	.section	.rodata,"a",@progbits
	.p2align	6, 0x0
	.amdhsa_kernel _ZN7rocprim17ROCPRIM_400000_NS6detail17trampoline_kernelINS0_13select_configILj256ELj13ELNS0_17block_load_methodE3ELS4_3ELS4_3ELNS0_20block_scan_algorithmE0ELj4294967295EEENS1_25partition_config_selectorILNS1_17partition_subalgoE3EjNS0_10empty_typeEbEEZZNS1_14partition_implILS8_3ELb0ES6_jNS0_17counting_iteratorIjlEEPS9_SE_NS0_5tupleIJPjSE_EEENSF_IJSE_SE_EEES9_SG_JZNS1_25segmented_radix_sort_implINS0_14default_configELb1EPKdPdPKlPlN2at6native12_GLOBAL__N_18offset_tEEE10hipError_tPvRmT1_PNSt15iterator_traitsISY_E10value_typeET2_T3_PNSZ_IS14_E10value_typeET4_jRbjT5_S1A_jjP12ihipStream_tbEUljE_EEESV_SW_SX_S14_S18_S1A_T6_T7_T9_mT8_S1C_bDpT10_ENKUlT_T0_E_clISt17integral_constantIbLb0EES1P_EEDaS1K_S1L_EUlS1K_E_NS1_11comp_targetILNS1_3genE5ELNS1_11target_archE942ELNS1_3gpuE9ELNS1_3repE0EEENS1_30default_config_static_selectorELNS0_4arch9wavefront6targetE0EEEvSY_
		.amdhsa_group_segment_fixed_size 0
		.amdhsa_private_segment_fixed_size 0
		.amdhsa_kernarg_size 144
		.amdhsa_user_sgpr_count 15
		.amdhsa_user_sgpr_dispatch_ptr 0
		.amdhsa_user_sgpr_queue_ptr 0
		.amdhsa_user_sgpr_kernarg_segment_ptr 1
		.amdhsa_user_sgpr_dispatch_id 0
		.amdhsa_user_sgpr_private_segment_size 0
		.amdhsa_wavefront_size32 1
		.amdhsa_uses_dynamic_stack 0
		.amdhsa_enable_private_segment 0
		.amdhsa_system_sgpr_workgroup_id_x 1
		.amdhsa_system_sgpr_workgroup_id_y 0
		.amdhsa_system_sgpr_workgroup_id_z 0
		.amdhsa_system_sgpr_workgroup_info 0
		.amdhsa_system_vgpr_workitem_id 0
		.amdhsa_next_free_vgpr 1
		.amdhsa_next_free_sgpr 1
		.amdhsa_reserve_vcc 0
		.amdhsa_float_round_mode_32 0
		.amdhsa_float_round_mode_16_64 0
		.amdhsa_float_denorm_mode_32 3
		.amdhsa_float_denorm_mode_16_64 3
		.amdhsa_dx10_clamp 1
		.amdhsa_ieee_mode 1
		.amdhsa_fp16_overflow 0
		.amdhsa_workgroup_processor_mode 1
		.amdhsa_memory_ordered 1
		.amdhsa_forward_progress 0
		.amdhsa_shared_vgpr_count 0
		.amdhsa_exception_fp_ieee_invalid_op 0
		.amdhsa_exception_fp_denorm_src 0
		.amdhsa_exception_fp_ieee_div_zero 0
		.amdhsa_exception_fp_ieee_overflow 0
		.amdhsa_exception_fp_ieee_underflow 0
		.amdhsa_exception_fp_ieee_inexact 0
		.amdhsa_exception_int_div_zero 0
	.end_amdhsa_kernel
	.section	.text._ZN7rocprim17ROCPRIM_400000_NS6detail17trampoline_kernelINS0_13select_configILj256ELj13ELNS0_17block_load_methodE3ELS4_3ELS4_3ELNS0_20block_scan_algorithmE0ELj4294967295EEENS1_25partition_config_selectorILNS1_17partition_subalgoE3EjNS0_10empty_typeEbEEZZNS1_14partition_implILS8_3ELb0ES6_jNS0_17counting_iteratorIjlEEPS9_SE_NS0_5tupleIJPjSE_EEENSF_IJSE_SE_EEES9_SG_JZNS1_25segmented_radix_sort_implINS0_14default_configELb1EPKdPdPKlPlN2at6native12_GLOBAL__N_18offset_tEEE10hipError_tPvRmT1_PNSt15iterator_traitsISY_E10value_typeET2_T3_PNSZ_IS14_E10value_typeET4_jRbjT5_S1A_jjP12ihipStream_tbEUljE_EEESV_SW_SX_S14_S18_S1A_T6_T7_T9_mT8_S1C_bDpT10_ENKUlT_T0_E_clISt17integral_constantIbLb0EES1P_EEDaS1K_S1L_EUlS1K_E_NS1_11comp_targetILNS1_3genE5ELNS1_11target_archE942ELNS1_3gpuE9ELNS1_3repE0EEENS1_30default_config_static_selectorELNS0_4arch9wavefront6targetE0EEEvSY_,"axG",@progbits,_ZN7rocprim17ROCPRIM_400000_NS6detail17trampoline_kernelINS0_13select_configILj256ELj13ELNS0_17block_load_methodE3ELS4_3ELS4_3ELNS0_20block_scan_algorithmE0ELj4294967295EEENS1_25partition_config_selectorILNS1_17partition_subalgoE3EjNS0_10empty_typeEbEEZZNS1_14partition_implILS8_3ELb0ES6_jNS0_17counting_iteratorIjlEEPS9_SE_NS0_5tupleIJPjSE_EEENSF_IJSE_SE_EEES9_SG_JZNS1_25segmented_radix_sort_implINS0_14default_configELb1EPKdPdPKlPlN2at6native12_GLOBAL__N_18offset_tEEE10hipError_tPvRmT1_PNSt15iterator_traitsISY_E10value_typeET2_T3_PNSZ_IS14_E10value_typeET4_jRbjT5_S1A_jjP12ihipStream_tbEUljE_EEESV_SW_SX_S14_S18_S1A_T6_T7_T9_mT8_S1C_bDpT10_ENKUlT_T0_E_clISt17integral_constantIbLb0EES1P_EEDaS1K_S1L_EUlS1K_E_NS1_11comp_targetILNS1_3genE5ELNS1_11target_archE942ELNS1_3gpuE9ELNS1_3repE0EEENS1_30default_config_static_selectorELNS0_4arch9wavefront6targetE0EEEvSY_,comdat
.Lfunc_end1087:
	.size	_ZN7rocprim17ROCPRIM_400000_NS6detail17trampoline_kernelINS0_13select_configILj256ELj13ELNS0_17block_load_methodE3ELS4_3ELS4_3ELNS0_20block_scan_algorithmE0ELj4294967295EEENS1_25partition_config_selectorILNS1_17partition_subalgoE3EjNS0_10empty_typeEbEEZZNS1_14partition_implILS8_3ELb0ES6_jNS0_17counting_iteratorIjlEEPS9_SE_NS0_5tupleIJPjSE_EEENSF_IJSE_SE_EEES9_SG_JZNS1_25segmented_radix_sort_implINS0_14default_configELb1EPKdPdPKlPlN2at6native12_GLOBAL__N_18offset_tEEE10hipError_tPvRmT1_PNSt15iterator_traitsISY_E10value_typeET2_T3_PNSZ_IS14_E10value_typeET4_jRbjT5_S1A_jjP12ihipStream_tbEUljE_EEESV_SW_SX_S14_S18_S1A_T6_T7_T9_mT8_S1C_bDpT10_ENKUlT_T0_E_clISt17integral_constantIbLb0EES1P_EEDaS1K_S1L_EUlS1K_E_NS1_11comp_targetILNS1_3genE5ELNS1_11target_archE942ELNS1_3gpuE9ELNS1_3repE0EEENS1_30default_config_static_selectorELNS0_4arch9wavefront6targetE0EEEvSY_, .Lfunc_end1087-_ZN7rocprim17ROCPRIM_400000_NS6detail17trampoline_kernelINS0_13select_configILj256ELj13ELNS0_17block_load_methodE3ELS4_3ELS4_3ELNS0_20block_scan_algorithmE0ELj4294967295EEENS1_25partition_config_selectorILNS1_17partition_subalgoE3EjNS0_10empty_typeEbEEZZNS1_14partition_implILS8_3ELb0ES6_jNS0_17counting_iteratorIjlEEPS9_SE_NS0_5tupleIJPjSE_EEENSF_IJSE_SE_EEES9_SG_JZNS1_25segmented_radix_sort_implINS0_14default_configELb1EPKdPdPKlPlN2at6native12_GLOBAL__N_18offset_tEEE10hipError_tPvRmT1_PNSt15iterator_traitsISY_E10value_typeET2_T3_PNSZ_IS14_E10value_typeET4_jRbjT5_S1A_jjP12ihipStream_tbEUljE_EEESV_SW_SX_S14_S18_S1A_T6_T7_T9_mT8_S1C_bDpT10_ENKUlT_T0_E_clISt17integral_constantIbLb0EES1P_EEDaS1K_S1L_EUlS1K_E_NS1_11comp_targetILNS1_3genE5ELNS1_11target_archE942ELNS1_3gpuE9ELNS1_3repE0EEENS1_30default_config_static_selectorELNS0_4arch9wavefront6targetE0EEEvSY_
                                        ; -- End function
	.section	.AMDGPU.csdata,"",@progbits
; Kernel info:
; codeLenInByte = 0
; NumSgprs: 0
; NumVgprs: 0
; ScratchSize: 0
; MemoryBound: 0
; FloatMode: 240
; IeeeMode: 1
; LDSByteSize: 0 bytes/workgroup (compile time only)
; SGPRBlocks: 0
; VGPRBlocks: 0
; NumSGPRsForWavesPerEU: 1
; NumVGPRsForWavesPerEU: 1
; Occupancy: 16
; WaveLimiterHint : 0
; COMPUTE_PGM_RSRC2:SCRATCH_EN: 0
; COMPUTE_PGM_RSRC2:USER_SGPR: 15
; COMPUTE_PGM_RSRC2:TRAP_HANDLER: 0
; COMPUTE_PGM_RSRC2:TGID_X_EN: 1
; COMPUTE_PGM_RSRC2:TGID_Y_EN: 0
; COMPUTE_PGM_RSRC2:TGID_Z_EN: 0
; COMPUTE_PGM_RSRC2:TIDIG_COMP_CNT: 0
	.section	.text._ZN7rocprim17ROCPRIM_400000_NS6detail17trampoline_kernelINS0_13select_configILj256ELj13ELNS0_17block_load_methodE3ELS4_3ELS4_3ELNS0_20block_scan_algorithmE0ELj4294967295EEENS1_25partition_config_selectorILNS1_17partition_subalgoE3EjNS0_10empty_typeEbEEZZNS1_14partition_implILS8_3ELb0ES6_jNS0_17counting_iteratorIjlEEPS9_SE_NS0_5tupleIJPjSE_EEENSF_IJSE_SE_EEES9_SG_JZNS1_25segmented_radix_sort_implINS0_14default_configELb1EPKdPdPKlPlN2at6native12_GLOBAL__N_18offset_tEEE10hipError_tPvRmT1_PNSt15iterator_traitsISY_E10value_typeET2_T3_PNSZ_IS14_E10value_typeET4_jRbjT5_S1A_jjP12ihipStream_tbEUljE_EEESV_SW_SX_S14_S18_S1A_T6_T7_T9_mT8_S1C_bDpT10_ENKUlT_T0_E_clISt17integral_constantIbLb0EES1P_EEDaS1K_S1L_EUlS1K_E_NS1_11comp_targetILNS1_3genE4ELNS1_11target_archE910ELNS1_3gpuE8ELNS1_3repE0EEENS1_30default_config_static_selectorELNS0_4arch9wavefront6targetE0EEEvSY_,"axG",@progbits,_ZN7rocprim17ROCPRIM_400000_NS6detail17trampoline_kernelINS0_13select_configILj256ELj13ELNS0_17block_load_methodE3ELS4_3ELS4_3ELNS0_20block_scan_algorithmE0ELj4294967295EEENS1_25partition_config_selectorILNS1_17partition_subalgoE3EjNS0_10empty_typeEbEEZZNS1_14partition_implILS8_3ELb0ES6_jNS0_17counting_iteratorIjlEEPS9_SE_NS0_5tupleIJPjSE_EEENSF_IJSE_SE_EEES9_SG_JZNS1_25segmented_radix_sort_implINS0_14default_configELb1EPKdPdPKlPlN2at6native12_GLOBAL__N_18offset_tEEE10hipError_tPvRmT1_PNSt15iterator_traitsISY_E10value_typeET2_T3_PNSZ_IS14_E10value_typeET4_jRbjT5_S1A_jjP12ihipStream_tbEUljE_EEESV_SW_SX_S14_S18_S1A_T6_T7_T9_mT8_S1C_bDpT10_ENKUlT_T0_E_clISt17integral_constantIbLb0EES1P_EEDaS1K_S1L_EUlS1K_E_NS1_11comp_targetILNS1_3genE4ELNS1_11target_archE910ELNS1_3gpuE8ELNS1_3repE0EEENS1_30default_config_static_selectorELNS0_4arch9wavefront6targetE0EEEvSY_,comdat
	.globl	_ZN7rocprim17ROCPRIM_400000_NS6detail17trampoline_kernelINS0_13select_configILj256ELj13ELNS0_17block_load_methodE3ELS4_3ELS4_3ELNS0_20block_scan_algorithmE0ELj4294967295EEENS1_25partition_config_selectorILNS1_17partition_subalgoE3EjNS0_10empty_typeEbEEZZNS1_14partition_implILS8_3ELb0ES6_jNS0_17counting_iteratorIjlEEPS9_SE_NS0_5tupleIJPjSE_EEENSF_IJSE_SE_EEES9_SG_JZNS1_25segmented_radix_sort_implINS0_14default_configELb1EPKdPdPKlPlN2at6native12_GLOBAL__N_18offset_tEEE10hipError_tPvRmT1_PNSt15iterator_traitsISY_E10value_typeET2_T3_PNSZ_IS14_E10value_typeET4_jRbjT5_S1A_jjP12ihipStream_tbEUljE_EEESV_SW_SX_S14_S18_S1A_T6_T7_T9_mT8_S1C_bDpT10_ENKUlT_T0_E_clISt17integral_constantIbLb0EES1P_EEDaS1K_S1L_EUlS1K_E_NS1_11comp_targetILNS1_3genE4ELNS1_11target_archE910ELNS1_3gpuE8ELNS1_3repE0EEENS1_30default_config_static_selectorELNS0_4arch9wavefront6targetE0EEEvSY_ ; -- Begin function _ZN7rocprim17ROCPRIM_400000_NS6detail17trampoline_kernelINS0_13select_configILj256ELj13ELNS0_17block_load_methodE3ELS4_3ELS4_3ELNS0_20block_scan_algorithmE0ELj4294967295EEENS1_25partition_config_selectorILNS1_17partition_subalgoE3EjNS0_10empty_typeEbEEZZNS1_14partition_implILS8_3ELb0ES6_jNS0_17counting_iteratorIjlEEPS9_SE_NS0_5tupleIJPjSE_EEENSF_IJSE_SE_EEES9_SG_JZNS1_25segmented_radix_sort_implINS0_14default_configELb1EPKdPdPKlPlN2at6native12_GLOBAL__N_18offset_tEEE10hipError_tPvRmT1_PNSt15iterator_traitsISY_E10value_typeET2_T3_PNSZ_IS14_E10value_typeET4_jRbjT5_S1A_jjP12ihipStream_tbEUljE_EEESV_SW_SX_S14_S18_S1A_T6_T7_T9_mT8_S1C_bDpT10_ENKUlT_T0_E_clISt17integral_constantIbLb0EES1P_EEDaS1K_S1L_EUlS1K_E_NS1_11comp_targetILNS1_3genE4ELNS1_11target_archE910ELNS1_3gpuE8ELNS1_3repE0EEENS1_30default_config_static_selectorELNS0_4arch9wavefront6targetE0EEEvSY_
	.p2align	8
	.type	_ZN7rocprim17ROCPRIM_400000_NS6detail17trampoline_kernelINS0_13select_configILj256ELj13ELNS0_17block_load_methodE3ELS4_3ELS4_3ELNS0_20block_scan_algorithmE0ELj4294967295EEENS1_25partition_config_selectorILNS1_17partition_subalgoE3EjNS0_10empty_typeEbEEZZNS1_14partition_implILS8_3ELb0ES6_jNS0_17counting_iteratorIjlEEPS9_SE_NS0_5tupleIJPjSE_EEENSF_IJSE_SE_EEES9_SG_JZNS1_25segmented_radix_sort_implINS0_14default_configELb1EPKdPdPKlPlN2at6native12_GLOBAL__N_18offset_tEEE10hipError_tPvRmT1_PNSt15iterator_traitsISY_E10value_typeET2_T3_PNSZ_IS14_E10value_typeET4_jRbjT5_S1A_jjP12ihipStream_tbEUljE_EEESV_SW_SX_S14_S18_S1A_T6_T7_T9_mT8_S1C_bDpT10_ENKUlT_T0_E_clISt17integral_constantIbLb0EES1P_EEDaS1K_S1L_EUlS1K_E_NS1_11comp_targetILNS1_3genE4ELNS1_11target_archE910ELNS1_3gpuE8ELNS1_3repE0EEENS1_30default_config_static_selectorELNS0_4arch9wavefront6targetE0EEEvSY_,@function
_ZN7rocprim17ROCPRIM_400000_NS6detail17trampoline_kernelINS0_13select_configILj256ELj13ELNS0_17block_load_methodE3ELS4_3ELS4_3ELNS0_20block_scan_algorithmE0ELj4294967295EEENS1_25partition_config_selectorILNS1_17partition_subalgoE3EjNS0_10empty_typeEbEEZZNS1_14partition_implILS8_3ELb0ES6_jNS0_17counting_iteratorIjlEEPS9_SE_NS0_5tupleIJPjSE_EEENSF_IJSE_SE_EEES9_SG_JZNS1_25segmented_radix_sort_implINS0_14default_configELb1EPKdPdPKlPlN2at6native12_GLOBAL__N_18offset_tEEE10hipError_tPvRmT1_PNSt15iterator_traitsISY_E10value_typeET2_T3_PNSZ_IS14_E10value_typeET4_jRbjT5_S1A_jjP12ihipStream_tbEUljE_EEESV_SW_SX_S14_S18_S1A_T6_T7_T9_mT8_S1C_bDpT10_ENKUlT_T0_E_clISt17integral_constantIbLb0EES1P_EEDaS1K_S1L_EUlS1K_E_NS1_11comp_targetILNS1_3genE4ELNS1_11target_archE910ELNS1_3gpuE8ELNS1_3repE0EEENS1_30default_config_static_selectorELNS0_4arch9wavefront6targetE0EEEvSY_: ; @_ZN7rocprim17ROCPRIM_400000_NS6detail17trampoline_kernelINS0_13select_configILj256ELj13ELNS0_17block_load_methodE3ELS4_3ELS4_3ELNS0_20block_scan_algorithmE0ELj4294967295EEENS1_25partition_config_selectorILNS1_17partition_subalgoE3EjNS0_10empty_typeEbEEZZNS1_14partition_implILS8_3ELb0ES6_jNS0_17counting_iteratorIjlEEPS9_SE_NS0_5tupleIJPjSE_EEENSF_IJSE_SE_EEES9_SG_JZNS1_25segmented_radix_sort_implINS0_14default_configELb1EPKdPdPKlPlN2at6native12_GLOBAL__N_18offset_tEEE10hipError_tPvRmT1_PNSt15iterator_traitsISY_E10value_typeET2_T3_PNSZ_IS14_E10value_typeET4_jRbjT5_S1A_jjP12ihipStream_tbEUljE_EEESV_SW_SX_S14_S18_S1A_T6_T7_T9_mT8_S1C_bDpT10_ENKUlT_T0_E_clISt17integral_constantIbLb0EES1P_EEDaS1K_S1L_EUlS1K_E_NS1_11comp_targetILNS1_3genE4ELNS1_11target_archE910ELNS1_3gpuE8ELNS1_3repE0EEENS1_30default_config_static_selectorELNS0_4arch9wavefront6targetE0EEEvSY_
; %bb.0:
	.section	.rodata,"a",@progbits
	.p2align	6, 0x0
	.amdhsa_kernel _ZN7rocprim17ROCPRIM_400000_NS6detail17trampoline_kernelINS0_13select_configILj256ELj13ELNS0_17block_load_methodE3ELS4_3ELS4_3ELNS0_20block_scan_algorithmE0ELj4294967295EEENS1_25partition_config_selectorILNS1_17partition_subalgoE3EjNS0_10empty_typeEbEEZZNS1_14partition_implILS8_3ELb0ES6_jNS0_17counting_iteratorIjlEEPS9_SE_NS0_5tupleIJPjSE_EEENSF_IJSE_SE_EEES9_SG_JZNS1_25segmented_radix_sort_implINS0_14default_configELb1EPKdPdPKlPlN2at6native12_GLOBAL__N_18offset_tEEE10hipError_tPvRmT1_PNSt15iterator_traitsISY_E10value_typeET2_T3_PNSZ_IS14_E10value_typeET4_jRbjT5_S1A_jjP12ihipStream_tbEUljE_EEESV_SW_SX_S14_S18_S1A_T6_T7_T9_mT8_S1C_bDpT10_ENKUlT_T0_E_clISt17integral_constantIbLb0EES1P_EEDaS1K_S1L_EUlS1K_E_NS1_11comp_targetILNS1_3genE4ELNS1_11target_archE910ELNS1_3gpuE8ELNS1_3repE0EEENS1_30default_config_static_selectorELNS0_4arch9wavefront6targetE0EEEvSY_
		.amdhsa_group_segment_fixed_size 0
		.amdhsa_private_segment_fixed_size 0
		.amdhsa_kernarg_size 144
		.amdhsa_user_sgpr_count 15
		.amdhsa_user_sgpr_dispatch_ptr 0
		.amdhsa_user_sgpr_queue_ptr 0
		.amdhsa_user_sgpr_kernarg_segment_ptr 1
		.amdhsa_user_sgpr_dispatch_id 0
		.amdhsa_user_sgpr_private_segment_size 0
		.amdhsa_wavefront_size32 1
		.amdhsa_uses_dynamic_stack 0
		.amdhsa_enable_private_segment 0
		.amdhsa_system_sgpr_workgroup_id_x 1
		.amdhsa_system_sgpr_workgroup_id_y 0
		.amdhsa_system_sgpr_workgroup_id_z 0
		.amdhsa_system_sgpr_workgroup_info 0
		.amdhsa_system_vgpr_workitem_id 0
		.amdhsa_next_free_vgpr 1
		.amdhsa_next_free_sgpr 1
		.amdhsa_reserve_vcc 0
		.amdhsa_float_round_mode_32 0
		.amdhsa_float_round_mode_16_64 0
		.amdhsa_float_denorm_mode_32 3
		.amdhsa_float_denorm_mode_16_64 3
		.amdhsa_dx10_clamp 1
		.amdhsa_ieee_mode 1
		.amdhsa_fp16_overflow 0
		.amdhsa_workgroup_processor_mode 1
		.amdhsa_memory_ordered 1
		.amdhsa_forward_progress 0
		.amdhsa_shared_vgpr_count 0
		.amdhsa_exception_fp_ieee_invalid_op 0
		.amdhsa_exception_fp_denorm_src 0
		.amdhsa_exception_fp_ieee_div_zero 0
		.amdhsa_exception_fp_ieee_overflow 0
		.amdhsa_exception_fp_ieee_underflow 0
		.amdhsa_exception_fp_ieee_inexact 0
		.amdhsa_exception_int_div_zero 0
	.end_amdhsa_kernel
	.section	.text._ZN7rocprim17ROCPRIM_400000_NS6detail17trampoline_kernelINS0_13select_configILj256ELj13ELNS0_17block_load_methodE3ELS4_3ELS4_3ELNS0_20block_scan_algorithmE0ELj4294967295EEENS1_25partition_config_selectorILNS1_17partition_subalgoE3EjNS0_10empty_typeEbEEZZNS1_14partition_implILS8_3ELb0ES6_jNS0_17counting_iteratorIjlEEPS9_SE_NS0_5tupleIJPjSE_EEENSF_IJSE_SE_EEES9_SG_JZNS1_25segmented_radix_sort_implINS0_14default_configELb1EPKdPdPKlPlN2at6native12_GLOBAL__N_18offset_tEEE10hipError_tPvRmT1_PNSt15iterator_traitsISY_E10value_typeET2_T3_PNSZ_IS14_E10value_typeET4_jRbjT5_S1A_jjP12ihipStream_tbEUljE_EEESV_SW_SX_S14_S18_S1A_T6_T7_T9_mT8_S1C_bDpT10_ENKUlT_T0_E_clISt17integral_constantIbLb0EES1P_EEDaS1K_S1L_EUlS1K_E_NS1_11comp_targetILNS1_3genE4ELNS1_11target_archE910ELNS1_3gpuE8ELNS1_3repE0EEENS1_30default_config_static_selectorELNS0_4arch9wavefront6targetE0EEEvSY_,"axG",@progbits,_ZN7rocprim17ROCPRIM_400000_NS6detail17trampoline_kernelINS0_13select_configILj256ELj13ELNS0_17block_load_methodE3ELS4_3ELS4_3ELNS0_20block_scan_algorithmE0ELj4294967295EEENS1_25partition_config_selectorILNS1_17partition_subalgoE3EjNS0_10empty_typeEbEEZZNS1_14partition_implILS8_3ELb0ES6_jNS0_17counting_iteratorIjlEEPS9_SE_NS0_5tupleIJPjSE_EEENSF_IJSE_SE_EEES9_SG_JZNS1_25segmented_radix_sort_implINS0_14default_configELb1EPKdPdPKlPlN2at6native12_GLOBAL__N_18offset_tEEE10hipError_tPvRmT1_PNSt15iterator_traitsISY_E10value_typeET2_T3_PNSZ_IS14_E10value_typeET4_jRbjT5_S1A_jjP12ihipStream_tbEUljE_EEESV_SW_SX_S14_S18_S1A_T6_T7_T9_mT8_S1C_bDpT10_ENKUlT_T0_E_clISt17integral_constantIbLb0EES1P_EEDaS1K_S1L_EUlS1K_E_NS1_11comp_targetILNS1_3genE4ELNS1_11target_archE910ELNS1_3gpuE8ELNS1_3repE0EEENS1_30default_config_static_selectorELNS0_4arch9wavefront6targetE0EEEvSY_,comdat
.Lfunc_end1088:
	.size	_ZN7rocprim17ROCPRIM_400000_NS6detail17trampoline_kernelINS0_13select_configILj256ELj13ELNS0_17block_load_methodE3ELS4_3ELS4_3ELNS0_20block_scan_algorithmE0ELj4294967295EEENS1_25partition_config_selectorILNS1_17partition_subalgoE3EjNS0_10empty_typeEbEEZZNS1_14partition_implILS8_3ELb0ES6_jNS0_17counting_iteratorIjlEEPS9_SE_NS0_5tupleIJPjSE_EEENSF_IJSE_SE_EEES9_SG_JZNS1_25segmented_radix_sort_implINS0_14default_configELb1EPKdPdPKlPlN2at6native12_GLOBAL__N_18offset_tEEE10hipError_tPvRmT1_PNSt15iterator_traitsISY_E10value_typeET2_T3_PNSZ_IS14_E10value_typeET4_jRbjT5_S1A_jjP12ihipStream_tbEUljE_EEESV_SW_SX_S14_S18_S1A_T6_T7_T9_mT8_S1C_bDpT10_ENKUlT_T0_E_clISt17integral_constantIbLb0EES1P_EEDaS1K_S1L_EUlS1K_E_NS1_11comp_targetILNS1_3genE4ELNS1_11target_archE910ELNS1_3gpuE8ELNS1_3repE0EEENS1_30default_config_static_selectorELNS0_4arch9wavefront6targetE0EEEvSY_, .Lfunc_end1088-_ZN7rocprim17ROCPRIM_400000_NS6detail17trampoline_kernelINS0_13select_configILj256ELj13ELNS0_17block_load_methodE3ELS4_3ELS4_3ELNS0_20block_scan_algorithmE0ELj4294967295EEENS1_25partition_config_selectorILNS1_17partition_subalgoE3EjNS0_10empty_typeEbEEZZNS1_14partition_implILS8_3ELb0ES6_jNS0_17counting_iteratorIjlEEPS9_SE_NS0_5tupleIJPjSE_EEENSF_IJSE_SE_EEES9_SG_JZNS1_25segmented_radix_sort_implINS0_14default_configELb1EPKdPdPKlPlN2at6native12_GLOBAL__N_18offset_tEEE10hipError_tPvRmT1_PNSt15iterator_traitsISY_E10value_typeET2_T3_PNSZ_IS14_E10value_typeET4_jRbjT5_S1A_jjP12ihipStream_tbEUljE_EEESV_SW_SX_S14_S18_S1A_T6_T7_T9_mT8_S1C_bDpT10_ENKUlT_T0_E_clISt17integral_constantIbLb0EES1P_EEDaS1K_S1L_EUlS1K_E_NS1_11comp_targetILNS1_3genE4ELNS1_11target_archE910ELNS1_3gpuE8ELNS1_3repE0EEENS1_30default_config_static_selectorELNS0_4arch9wavefront6targetE0EEEvSY_
                                        ; -- End function
	.section	.AMDGPU.csdata,"",@progbits
; Kernel info:
; codeLenInByte = 0
; NumSgprs: 0
; NumVgprs: 0
; ScratchSize: 0
; MemoryBound: 0
; FloatMode: 240
; IeeeMode: 1
; LDSByteSize: 0 bytes/workgroup (compile time only)
; SGPRBlocks: 0
; VGPRBlocks: 0
; NumSGPRsForWavesPerEU: 1
; NumVGPRsForWavesPerEU: 1
; Occupancy: 16
; WaveLimiterHint : 0
; COMPUTE_PGM_RSRC2:SCRATCH_EN: 0
; COMPUTE_PGM_RSRC2:USER_SGPR: 15
; COMPUTE_PGM_RSRC2:TRAP_HANDLER: 0
; COMPUTE_PGM_RSRC2:TGID_X_EN: 1
; COMPUTE_PGM_RSRC2:TGID_Y_EN: 0
; COMPUTE_PGM_RSRC2:TGID_Z_EN: 0
; COMPUTE_PGM_RSRC2:TIDIG_COMP_CNT: 0
	.section	.text._ZN7rocprim17ROCPRIM_400000_NS6detail17trampoline_kernelINS0_13select_configILj256ELj13ELNS0_17block_load_methodE3ELS4_3ELS4_3ELNS0_20block_scan_algorithmE0ELj4294967295EEENS1_25partition_config_selectorILNS1_17partition_subalgoE3EjNS0_10empty_typeEbEEZZNS1_14partition_implILS8_3ELb0ES6_jNS0_17counting_iteratorIjlEEPS9_SE_NS0_5tupleIJPjSE_EEENSF_IJSE_SE_EEES9_SG_JZNS1_25segmented_radix_sort_implINS0_14default_configELb1EPKdPdPKlPlN2at6native12_GLOBAL__N_18offset_tEEE10hipError_tPvRmT1_PNSt15iterator_traitsISY_E10value_typeET2_T3_PNSZ_IS14_E10value_typeET4_jRbjT5_S1A_jjP12ihipStream_tbEUljE_EEESV_SW_SX_S14_S18_S1A_T6_T7_T9_mT8_S1C_bDpT10_ENKUlT_T0_E_clISt17integral_constantIbLb0EES1P_EEDaS1K_S1L_EUlS1K_E_NS1_11comp_targetILNS1_3genE3ELNS1_11target_archE908ELNS1_3gpuE7ELNS1_3repE0EEENS1_30default_config_static_selectorELNS0_4arch9wavefront6targetE0EEEvSY_,"axG",@progbits,_ZN7rocprim17ROCPRIM_400000_NS6detail17trampoline_kernelINS0_13select_configILj256ELj13ELNS0_17block_load_methodE3ELS4_3ELS4_3ELNS0_20block_scan_algorithmE0ELj4294967295EEENS1_25partition_config_selectorILNS1_17partition_subalgoE3EjNS0_10empty_typeEbEEZZNS1_14partition_implILS8_3ELb0ES6_jNS0_17counting_iteratorIjlEEPS9_SE_NS0_5tupleIJPjSE_EEENSF_IJSE_SE_EEES9_SG_JZNS1_25segmented_radix_sort_implINS0_14default_configELb1EPKdPdPKlPlN2at6native12_GLOBAL__N_18offset_tEEE10hipError_tPvRmT1_PNSt15iterator_traitsISY_E10value_typeET2_T3_PNSZ_IS14_E10value_typeET4_jRbjT5_S1A_jjP12ihipStream_tbEUljE_EEESV_SW_SX_S14_S18_S1A_T6_T7_T9_mT8_S1C_bDpT10_ENKUlT_T0_E_clISt17integral_constantIbLb0EES1P_EEDaS1K_S1L_EUlS1K_E_NS1_11comp_targetILNS1_3genE3ELNS1_11target_archE908ELNS1_3gpuE7ELNS1_3repE0EEENS1_30default_config_static_selectorELNS0_4arch9wavefront6targetE0EEEvSY_,comdat
	.globl	_ZN7rocprim17ROCPRIM_400000_NS6detail17trampoline_kernelINS0_13select_configILj256ELj13ELNS0_17block_load_methodE3ELS4_3ELS4_3ELNS0_20block_scan_algorithmE0ELj4294967295EEENS1_25partition_config_selectorILNS1_17partition_subalgoE3EjNS0_10empty_typeEbEEZZNS1_14partition_implILS8_3ELb0ES6_jNS0_17counting_iteratorIjlEEPS9_SE_NS0_5tupleIJPjSE_EEENSF_IJSE_SE_EEES9_SG_JZNS1_25segmented_radix_sort_implINS0_14default_configELb1EPKdPdPKlPlN2at6native12_GLOBAL__N_18offset_tEEE10hipError_tPvRmT1_PNSt15iterator_traitsISY_E10value_typeET2_T3_PNSZ_IS14_E10value_typeET4_jRbjT5_S1A_jjP12ihipStream_tbEUljE_EEESV_SW_SX_S14_S18_S1A_T6_T7_T9_mT8_S1C_bDpT10_ENKUlT_T0_E_clISt17integral_constantIbLb0EES1P_EEDaS1K_S1L_EUlS1K_E_NS1_11comp_targetILNS1_3genE3ELNS1_11target_archE908ELNS1_3gpuE7ELNS1_3repE0EEENS1_30default_config_static_selectorELNS0_4arch9wavefront6targetE0EEEvSY_ ; -- Begin function _ZN7rocprim17ROCPRIM_400000_NS6detail17trampoline_kernelINS0_13select_configILj256ELj13ELNS0_17block_load_methodE3ELS4_3ELS4_3ELNS0_20block_scan_algorithmE0ELj4294967295EEENS1_25partition_config_selectorILNS1_17partition_subalgoE3EjNS0_10empty_typeEbEEZZNS1_14partition_implILS8_3ELb0ES6_jNS0_17counting_iteratorIjlEEPS9_SE_NS0_5tupleIJPjSE_EEENSF_IJSE_SE_EEES9_SG_JZNS1_25segmented_radix_sort_implINS0_14default_configELb1EPKdPdPKlPlN2at6native12_GLOBAL__N_18offset_tEEE10hipError_tPvRmT1_PNSt15iterator_traitsISY_E10value_typeET2_T3_PNSZ_IS14_E10value_typeET4_jRbjT5_S1A_jjP12ihipStream_tbEUljE_EEESV_SW_SX_S14_S18_S1A_T6_T7_T9_mT8_S1C_bDpT10_ENKUlT_T0_E_clISt17integral_constantIbLb0EES1P_EEDaS1K_S1L_EUlS1K_E_NS1_11comp_targetILNS1_3genE3ELNS1_11target_archE908ELNS1_3gpuE7ELNS1_3repE0EEENS1_30default_config_static_selectorELNS0_4arch9wavefront6targetE0EEEvSY_
	.p2align	8
	.type	_ZN7rocprim17ROCPRIM_400000_NS6detail17trampoline_kernelINS0_13select_configILj256ELj13ELNS0_17block_load_methodE3ELS4_3ELS4_3ELNS0_20block_scan_algorithmE0ELj4294967295EEENS1_25partition_config_selectorILNS1_17partition_subalgoE3EjNS0_10empty_typeEbEEZZNS1_14partition_implILS8_3ELb0ES6_jNS0_17counting_iteratorIjlEEPS9_SE_NS0_5tupleIJPjSE_EEENSF_IJSE_SE_EEES9_SG_JZNS1_25segmented_radix_sort_implINS0_14default_configELb1EPKdPdPKlPlN2at6native12_GLOBAL__N_18offset_tEEE10hipError_tPvRmT1_PNSt15iterator_traitsISY_E10value_typeET2_T3_PNSZ_IS14_E10value_typeET4_jRbjT5_S1A_jjP12ihipStream_tbEUljE_EEESV_SW_SX_S14_S18_S1A_T6_T7_T9_mT8_S1C_bDpT10_ENKUlT_T0_E_clISt17integral_constantIbLb0EES1P_EEDaS1K_S1L_EUlS1K_E_NS1_11comp_targetILNS1_3genE3ELNS1_11target_archE908ELNS1_3gpuE7ELNS1_3repE0EEENS1_30default_config_static_selectorELNS0_4arch9wavefront6targetE0EEEvSY_,@function
_ZN7rocprim17ROCPRIM_400000_NS6detail17trampoline_kernelINS0_13select_configILj256ELj13ELNS0_17block_load_methodE3ELS4_3ELS4_3ELNS0_20block_scan_algorithmE0ELj4294967295EEENS1_25partition_config_selectorILNS1_17partition_subalgoE3EjNS0_10empty_typeEbEEZZNS1_14partition_implILS8_3ELb0ES6_jNS0_17counting_iteratorIjlEEPS9_SE_NS0_5tupleIJPjSE_EEENSF_IJSE_SE_EEES9_SG_JZNS1_25segmented_radix_sort_implINS0_14default_configELb1EPKdPdPKlPlN2at6native12_GLOBAL__N_18offset_tEEE10hipError_tPvRmT1_PNSt15iterator_traitsISY_E10value_typeET2_T3_PNSZ_IS14_E10value_typeET4_jRbjT5_S1A_jjP12ihipStream_tbEUljE_EEESV_SW_SX_S14_S18_S1A_T6_T7_T9_mT8_S1C_bDpT10_ENKUlT_T0_E_clISt17integral_constantIbLb0EES1P_EEDaS1K_S1L_EUlS1K_E_NS1_11comp_targetILNS1_3genE3ELNS1_11target_archE908ELNS1_3gpuE7ELNS1_3repE0EEENS1_30default_config_static_selectorELNS0_4arch9wavefront6targetE0EEEvSY_: ; @_ZN7rocprim17ROCPRIM_400000_NS6detail17trampoline_kernelINS0_13select_configILj256ELj13ELNS0_17block_load_methodE3ELS4_3ELS4_3ELNS0_20block_scan_algorithmE0ELj4294967295EEENS1_25partition_config_selectorILNS1_17partition_subalgoE3EjNS0_10empty_typeEbEEZZNS1_14partition_implILS8_3ELb0ES6_jNS0_17counting_iteratorIjlEEPS9_SE_NS0_5tupleIJPjSE_EEENSF_IJSE_SE_EEES9_SG_JZNS1_25segmented_radix_sort_implINS0_14default_configELb1EPKdPdPKlPlN2at6native12_GLOBAL__N_18offset_tEEE10hipError_tPvRmT1_PNSt15iterator_traitsISY_E10value_typeET2_T3_PNSZ_IS14_E10value_typeET4_jRbjT5_S1A_jjP12ihipStream_tbEUljE_EEESV_SW_SX_S14_S18_S1A_T6_T7_T9_mT8_S1C_bDpT10_ENKUlT_T0_E_clISt17integral_constantIbLb0EES1P_EEDaS1K_S1L_EUlS1K_E_NS1_11comp_targetILNS1_3genE3ELNS1_11target_archE908ELNS1_3gpuE7ELNS1_3repE0EEENS1_30default_config_static_selectorELNS0_4arch9wavefront6targetE0EEEvSY_
; %bb.0:
	.section	.rodata,"a",@progbits
	.p2align	6, 0x0
	.amdhsa_kernel _ZN7rocprim17ROCPRIM_400000_NS6detail17trampoline_kernelINS0_13select_configILj256ELj13ELNS0_17block_load_methodE3ELS4_3ELS4_3ELNS0_20block_scan_algorithmE0ELj4294967295EEENS1_25partition_config_selectorILNS1_17partition_subalgoE3EjNS0_10empty_typeEbEEZZNS1_14partition_implILS8_3ELb0ES6_jNS0_17counting_iteratorIjlEEPS9_SE_NS0_5tupleIJPjSE_EEENSF_IJSE_SE_EEES9_SG_JZNS1_25segmented_radix_sort_implINS0_14default_configELb1EPKdPdPKlPlN2at6native12_GLOBAL__N_18offset_tEEE10hipError_tPvRmT1_PNSt15iterator_traitsISY_E10value_typeET2_T3_PNSZ_IS14_E10value_typeET4_jRbjT5_S1A_jjP12ihipStream_tbEUljE_EEESV_SW_SX_S14_S18_S1A_T6_T7_T9_mT8_S1C_bDpT10_ENKUlT_T0_E_clISt17integral_constantIbLb0EES1P_EEDaS1K_S1L_EUlS1K_E_NS1_11comp_targetILNS1_3genE3ELNS1_11target_archE908ELNS1_3gpuE7ELNS1_3repE0EEENS1_30default_config_static_selectorELNS0_4arch9wavefront6targetE0EEEvSY_
		.amdhsa_group_segment_fixed_size 0
		.amdhsa_private_segment_fixed_size 0
		.amdhsa_kernarg_size 144
		.amdhsa_user_sgpr_count 15
		.amdhsa_user_sgpr_dispatch_ptr 0
		.amdhsa_user_sgpr_queue_ptr 0
		.amdhsa_user_sgpr_kernarg_segment_ptr 1
		.amdhsa_user_sgpr_dispatch_id 0
		.amdhsa_user_sgpr_private_segment_size 0
		.amdhsa_wavefront_size32 1
		.amdhsa_uses_dynamic_stack 0
		.amdhsa_enable_private_segment 0
		.amdhsa_system_sgpr_workgroup_id_x 1
		.amdhsa_system_sgpr_workgroup_id_y 0
		.amdhsa_system_sgpr_workgroup_id_z 0
		.amdhsa_system_sgpr_workgroup_info 0
		.amdhsa_system_vgpr_workitem_id 0
		.amdhsa_next_free_vgpr 1
		.amdhsa_next_free_sgpr 1
		.amdhsa_reserve_vcc 0
		.amdhsa_float_round_mode_32 0
		.amdhsa_float_round_mode_16_64 0
		.amdhsa_float_denorm_mode_32 3
		.amdhsa_float_denorm_mode_16_64 3
		.amdhsa_dx10_clamp 1
		.amdhsa_ieee_mode 1
		.amdhsa_fp16_overflow 0
		.amdhsa_workgroup_processor_mode 1
		.amdhsa_memory_ordered 1
		.amdhsa_forward_progress 0
		.amdhsa_shared_vgpr_count 0
		.amdhsa_exception_fp_ieee_invalid_op 0
		.amdhsa_exception_fp_denorm_src 0
		.amdhsa_exception_fp_ieee_div_zero 0
		.amdhsa_exception_fp_ieee_overflow 0
		.amdhsa_exception_fp_ieee_underflow 0
		.amdhsa_exception_fp_ieee_inexact 0
		.amdhsa_exception_int_div_zero 0
	.end_amdhsa_kernel
	.section	.text._ZN7rocprim17ROCPRIM_400000_NS6detail17trampoline_kernelINS0_13select_configILj256ELj13ELNS0_17block_load_methodE3ELS4_3ELS4_3ELNS0_20block_scan_algorithmE0ELj4294967295EEENS1_25partition_config_selectorILNS1_17partition_subalgoE3EjNS0_10empty_typeEbEEZZNS1_14partition_implILS8_3ELb0ES6_jNS0_17counting_iteratorIjlEEPS9_SE_NS0_5tupleIJPjSE_EEENSF_IJSE_SE_EEES9_SG_JZNS1_25segmented_radix_sort_implINS0_14default_configELb1EPKdPdPKlPlN2at6native12_GLOBAL__N_18offset_tEEE10hipError_tPvRmT1_PNSt15iterator_traitsISY_E10value_typeET2_T3_PNSZ_IS14_E10value_typeET4_jRbjT5_S1A_jjP12ihipStream_tbEUljE_EEESV_SW_SX_S14_S18_S1A_T6_T7_T9_mT8_S1C_bDpT10_ENKUlT_T0_E_clISt17integral_constantIbLb0EES1P_EEDaS1K_S1L_EUlS1K_E_NS1_11comp_targetILNS1_3genE3ELNS1_11target_archE908ELNS1_3gpuE7ELNS1_3repE0EEENS1_30default_config_static_selectorELNS0_4arch9wavefront6targetE0EEEvSY_,"axG",@progbits,_ZN7rocprim17ROCPRIM_400000_NS6detail17trampoline_kernelINS0_13select_configILj256ELj13ELNS0_17block_load_methodE3ELS4_3ELS4_3ELNS0_20block_scan_algorithmE0ELj4294967295EEENS1_25partition_config_selectorILNS1_17partition_subalgoE3EjNS0_10empty_typeEbEEZZNS1_14partition_implILS8_3ELb0ES6_jNS0_17counting_iteratorIjlEEPS9_SE_NS0_5tupleIJPjSE_EEENSF_IJSE_SE_EEES9_SG_JZNS1_25segmented_radix_sort_implINS0_14default_configELb1EPKdPdPKlPlN2at6native12_GLOBAL__N_18offset_tEEE10hipError_tPvRmT1_PNSt15iterator_traitsISY_E10value_typeET2_T3_PNSZ_IS14_E10value_typeET4_jRbjT5_S1A_jjP12ihipStream_tbEUljE_EEESV_SW_SX_S14_S18_S1A_T6_T7_T9_mT8_S1C_bDpT10_ENKUlT_T0_E_clISt17integral_constantIbLb0EES1P_EEDaS1K_S1L_EUlS1K_E_NS1_11comp_targetILNS1_3genE3ELNS1_11target_archE908ELNS1_3gpuE7ELNS1_3repE0EEENS1_30default_config_static_selectorELNS0_4arch9wavefront6targetE0EEEvSY_,comdat
.Lfunc_end1089:
	.size	_ZN7rocprim17ROCPRIM_400000_NS6detail17trampoline_kernelINS0_13select_configILj256ELj13ELNS0_17block_load_methodE3ELS4_3ELS4_3ELNS0_20block_scan_algorithmE0ELj4294967295EEENS1_25partition_config_selectorILNS1_17partition_subalgoE3EjNS0_10empty_typeEbEEZZNS1_14partition_implILS8_3ELb0ES6_jNS0_17counting_iteratorIjlEEPS9_SE_NS0_5tupleIJPjSE_EEENSF_IJSE_SE_EEES9_SG_JZNS1_25segmented_radix_sort_implINS0_14default_configELb1EPKdPdPKlPlN2at6native12_GLOBAL__N_18offset_tEEE10hipError_tPvRmT1_PNSt15iterator_traitsISY_E10value_typeET2_T3_PNSZ_IS14_E10value_typeET4_jRbjT5_S1A_jjP12ihipStream_tbEUljE_EEESV_SW_SX_S14_S18_S1A_T6_T7_T9_mT8_S1C_bDpT10_ENKUlT_T0_E_clISt17integral_constantIbLb0EES1P_EEDaS1K_S1L_EUlS1K_E_NS1_11comp_targetILNS1_3genE3ELNS1_11target_archE908ELNS1_3gpuE7ELNS1_3repE0EEENS1_30default_config_static_selectorELNS0_4arch9wavefront6targetE0EEEvSY_, .Lfunc_end1089-_ZN7rocprim17ROCPRIM_400000_NS6detail17trampoline_kernelINS0_13select_configILj256ELj13ELNS0_17block_load_methodE3ELS4_3ELS4_3ELNS0_20block_scan_algorithmE0ELj4294967295EEENS1_25partition_config_selectorILNS1_17partition_subalgoE3EjNS0_10empty_typeEbEEZZNS1_14partition_implILS8_3ELb0ES6_jNS0_17counting_iteratorIjlEEPS9_SE_NS0_5tupleIJPjSE_EEENSF_IJSE_SE_EEES9_SG_JZNS1_25segmented_radix_sort_implINS0_14default_configELb1EPKdPdPKlPlN2at6native12_GLOBAL__N_18offset_tEEE10hipError_tPvRmT1_PNSt15iterator_traitsISY_E10value_typeET2_T3_PNSZ_IS14_E10value_typeET4_jRbjT5_S1A_jjP12ihipStream_tbEUljE_EEESV_SW_SX_S14_S18_S1A_T6_T7_T9_mT8_S1C_bDpT10_ENKUlT_T0_E_clISt17integral_constantIbLb0EES1P_EEDaS1K_S1L_EUlS1K_E_NS1_11comp_targetILNS1_3genE3ELNS1_11target_archE908ELNS1_3gpuE7ELNS1_3repE0EEENS1_30default_config_static_selectorELNS0_4arch9wavefront6targetE0EEEvSY_
                                        ; -- End function
	.section	.AMDGPU.csdata,"",@progbits
; Kernel info:
; codeLenInByte = 0
; NumSgprs: 0
; NumVgprs: 0
; ScratchSize: 0
; MemoryBound: 0
; FloatMode: 240
; IeeeMode: 1
; LDSByteSize: 0 bytes/workgroup (compile time only)
; SGPRBlocks: 0
; VGPRBlocks: 0
; NumSGPRsForWavesPerEU: 1
; NumVGPRsForWavesPerEU: 1
; Occupancy: 16
; WaveLimiterHint : 0
; COMPUTE_PGM_RSRC2:SCRATCH_EN: 0
; COMPUTE_PGM_RSRC2:USER_SGPR: 15
; COMPUTE_PGM_RSRC2:TRAP_HANDLER: 0
; COMPUTE_PGM_RSRC2:TGID_X_EN: 1
; COMPUTE_PGM_RSRC2:TGID_Y_EN: 0
; COMPUTE_PGM_RSRC2:TGID_Z_EN: 0
; COMPUTE_PGM_RSRC2:TIDIG_COMP_CNT: 0
	.section	.text._ZN7rocprim17ROCPRIM_400000_NS6detail17trampoline_kernelINS0_13select_configILj256ELj13ELNS0_17block_load_methodE3ELS4_3ELS4_3ELNS0_20block_scan_algorithmE0ELj4294967295EEENS1_25partition_config_selectorILNS1_17partition_subalgoE3EjNS0_10empty_typeEbEEZZNS1_14partition_implILS8_3ELb0ES6_jNS0_17counting_iteratorIjlEEPS9_SE_NS0_5tupleIJPjSE_EEENSF_IJSE_SE_EEES9_SG_JZNS1_25segmented_radix_sort_implINS0_14default_configELb1EPKdPdPKlPlN2at6native12_GLOBAL__N_18offset_tEEE10hipError_tPvRmT1_PNSt15iterator_traitsISY_E10value_typeET2_T3_PNSZ_IS14_E10value_typeET4_jRbjT5_S1A_jjP12ihipStream_tbEUljE_EEESV_SW_SX_S14_S18_S1A_T6_T7_T9_mT8_S1C_bDpT10_ENKUlT_T0_E_clISt17integral_constantIbLb0EES1P_EEDaS1K_S1L_EUlS1K_E_NS1_11comp_targetILNS1_3genE2ELNS1_11target_archE906ELNS1_3gpuE6ELNS1_3repE0EEENS1_30default_config_static_selectorELNS0_4arch9wavefront6targetE0EEEvSY_,"axG",@progbits,_ZN7rocprim17ROCPRIM_400000_NS6detail17trampoline_kernelINS0_13select_configILj256ELj13ELNS0_17block_load_methodE3ELS4_3ELS4_3ELNS0_20block_scan_algorithmE0ELj4294967295EEENS1_25partition_config_selectorILNS1_17partition_subalgoE3EjNS0_10empty_typeEbEEZZNS1_14partition_implILS8_3ELb0ES6_jNS0_17counting_iteratorIjlEEPS9_SE_NS0_5tupleIJPjSE_EEENSF_IJSE_SE_EEES9_SG_JZNS1_25segmented_radix_sort_implINS0_14default_configELb1EPKdPdPKlPlN2at6native12_GLOBAL__N_18offset_tEEE10hipError_tPvRmT1_PNSt15iterator_traitsISY_E10value_typeET2_T3_PNSZ_IS14_E10value_typeET4_jRbjT5_S1A_jjP12ihipStream_tbEUljE_EEESV_SW_SX_S14_S18_S1A_T6_T7_T9_mT8_S1C_bDpT10_ENKUlT_T0_E_clISt17integral_constantIbLb0EES1P_EEDaS1K_S1L_EUlS1K_E_NS1_11comp_targetILNS1_3genE2ELNS1_11target_archE906ELNS1_3gpuE6ELNS1_3repE0EEENS1_30default_config_static_selectorELNS0_4arch9wavefront6targetE0EEEvSY_,comdat
	.globl	_ZN7rocprim17ROCPRIM_400000_NS6detail17trampoline_kernelINS0_13select_configILj256ELj13ELNS0_17block_load_methodE3ELS4_3ELS4_3ELNS0_20block_scan_algorithmE0ELj4294967295EEENS1_25partition_config_selectorILNS1_17partition_subalgoE3EjNS0_10empty_typeEbEEZZNS1_14partition_implILS8_3ELb0ES6_jNS0_17counting_iteratorIjlEEPS9_SE_NS0_5tupleIJPjSE_EEENSF_IJSE_SE_EEES9_SG_JZNS1_25segmented_radix_sort_implINS0_14default_configELb1EPKdPdPKlPlN2at6native12_GLOBAL__N_18offset_tEEE10hipError_tPvRmT1_PNSt15iterator_traitsISY_E10value_typeET2_T3_PNSZ_IS14_E10value_typeET4_jRbjT5_S1A_jjP12ihipStream_tbEUljE_EEESV_SW_SX_S14_S18_S1A_T6_T7_T9_mT8_S1C_bDpT10_ENKUlT_T0_E_clISt17integral_constantIbLb0EES1P_EEDaS1K_S1L_EUlS1K_E_NS1_11comp_targetILNS1_3genE2ELNS1_11target_archE906ELNS1_3gpuE6ELNS1_3repE0EEENS1_30default_config_static_selectorELNS0_4arch9wavefront6targetE0EEEvSY_ ; -- Begin function _ZN7rocprim17ROCPRIM_400000_NS6detail17trampoline_kernelINS0_13select_configILj256ELj13ELNS0_17block_load_methodE3ELS4_3ELS4_3ELNS0_20block_scan_algorithmE0ELj4294967295EEENS1_25partition_config_selectorILNS1_17partition_subalgoE3EjNS0_10empty_typeEbEEZZNS1_14partition_implILS8_3ELb0ES6_jNS0_17counting_iteratorIjlEEPS9_SE_NS0_5tupleIJPjSE_EEENSF_IJSE_SE_EEES9_SG_JZNS1_25segmented_radix_sort_implINS0_14default_configELb1EPKdPdPKlPlN2at6native12_GLOBAL__N_18offset_tEEE10hipError_tPvRmT1_PNSt15iterator_traitsISY_E10value_typeET2_T3_PNSZ_IS14_E10value_typeET4_jRbjT5_S1A_jjP12ihipStream_tbEUljE_EEESV_SW_SX_S14_S18_S1A_T6_T7_T9_mT8_S1C_bDpT10_ENKUlT_T0_E_clISt17integral_constantIbLb0EES1P_EEDaS1K_S1L_EUlS1K_E_NS1_11comp_targetILNS1_3genE2ELNS1_11target_archE906ELNS1_3gpuE6ELNS1_3repE0EEENS1_30default_config_static_selectorELNS0_4arch9wavefront6targetE0EEEvSY_
	.p2align	8
	.type	_ZN7rocprim17ROCPRIM_400000_NS6detail17trampoline_kernelINS0_13select_configILj256ELj13ELNS0_17block_load_methodE3ELS4_3ELS4_3ELNS0_20block_scan_algorithmE0ELj4294967295EEENS1_25partition_config_selectorILNS1_17partition_subalgoE3EjNS0_10empty_typeEbEEZZNS1_14partition_implILS8_3ELb0ES6_jNS0_17counting_iteratorIjlEEPS9_SE_NS0_5tupleIJPjSE_EEENSF_IJSE_SE_EEES9_SG_JZNS1_25segmented_radix_sort_implINS0_14default_configELb1EPKdPdPKlPlN2at6native12_GLOBAL__N_18offset_tEEE10hipError_tPvRmT1_PNSt15iterator_traitsISY_E10value_typeET2_T3_PNSZ_IS14_E10value_typeET4_jRbjT5_S1A_jjP12ihipStream_tbEUljE_EEESV_SW_SX_S14_S18_S1A_T6_T7_T9_mT8_S1C_bDpT10_ENKUlT_T0_E_clISt17integral_constantIbLb0EES1P_EEDaS1K_S1L_EUlS1K_E_NS1_11comp_targetILNS1_3genE2ELNS1_11target_archE906ELNS1_3gpuE6ELNS1_3repE0EEENS1_30default_config_static_selectorELNS0_4arch9wavefront6targetE0EEEvSY_,@function
_ZN7rocprim17ROCPRIM_400000_NS6detail17trampoline_kernelINS0_13select_configILj256ELj13ELNS0_17block_load_methodE3ELS4_3ELS4_3ELNS0_20block_scan_algorithmE0ELj4294967295EEENS1_25partition_config_selectorILNS1_17partition_subalgoE3EjNS0_10empty_typeEbEEZZNS1_14partition_implILS8_3ELb0ES6_jNS0_17counting_iteratorIjlEEPS9_SE_NS0_5tupleIJPjSE_EEENSF_IJSE_SE_EEES9_SG_JZNS1_25segmented_radix_sort_implINS0_14default_configELb1EPKdPdPKlPlN2at6native12_GLOBAL__N_18offset_tEEE10hipError_tPvRmT1_PNSt15iterator_traitsISY_E10value_typeET2_T3_PNSZ_IS14_E10value_typeET4_jRbjT5_S1A_jjP12ihipStream_tbEUljE_EEESV_SW_SX_S14_S18_S1A_T6_T7_T9_mT8_S1C_bDpT10_ENKUlT_T0_E_clISt17integral_constantIbLb0EES1P_EEDaS1K_S1L_EUlS1K_E_NS1_11comp_targetILNS1_3genE2ELNS1_11target_archE906ELNS1_3gpuE6ELNS1_3repE0EEENS1_30default_config_static_selectorELNS0_4arch9wavefront6targetE0EEEvSY_: ; @_ZN7rocprim17ROCPRIM_400000_NS6detail17trampoline_kernelINS0_13select_configILj256ELj13ELNS0_17block_load_methodE3ELS4_3ELS4_3ELNS0_20block_scan_algorithmE0ELj4294967295EEENS1_25partition_config_selectorILNS1_17partition_subalgoE3EjNS0_10empty_typeEbEEZZNS1_14partition_implILS8_3ELb0ES6_jNS0_17counting_iteratorIjlEEPS9_SE_NS0_5tupleIJPjSE_EEENSF_IJSE_SE_EEES9_SG_JZNS1_25segmented_radix_sort_implINS0_14default_configELb1EPKdPdPKlPlN2at6native12_GLOBAL__N_18offset_tEEE10hipError_tPvRmT1_PNSt15iterator_traitsISY_E10value_typeET2_T3_PNSZ_IS14_E10value_typeET4_jRbjT5_S1A_jjP12ihipStream_tbEUljE_EEESV_SW_SX_S14_S18_S1A_T6_T7_T9_mT8_S1C_bDpT10_ENKUlT_T0_E_clISt17integral_constantIbLb0EES1P_EEDaS1K_S1L_EUlS1K_E_NS1_11comp_targetILNS1_3genE2ELNS1_11target_archE906ELNS1_3gpuE6ELNS1_3repE0EEENS1_30default_config_static_selectorELNS0_4arch9wavefront6targetE0EEEvSY_
; %bb.0:
	.section	.rodata,"a",@progbits
	.p2align	6, 0x0
	.amdhsa_kernel _ZN7rocprim17ROCPRIM_400000_NS6detail17trampoline_kernelINS0_13select_configILj256ELj13ELNS0_17block_load_methodE3ELS4_3ELS4_3ELNS0_20block_scan_algorithmE0ELj4294967295EEENS1_25partition_config_selectorILNS1_17partition_subalgoE3EjNS0_10empty_typeEbEEZZNS1_14partition_implILS8_3ELb0ES6_jNS0_17counting_iteratorIjlEEPS9_SE_NS0_5tupleIJPjSE_EEENSF_IJSE_SE_EEES9_SG_JZNS1_25segmented_radix_sort_implINS0_14default_configELb1EPKdPdPKlPlN2at6native12_GLOBAL__N_18offset_tEEE10hipError_tPvRmT1_PNSt15iterator_traitsISY_E10value_typeET2_T3_PNSZ_IS14_E10value_typeET4_jRbjT5_S1A_jjP12ihipStream_tbEUljE_EEESV_SW_SX_S14_S18_S1A_T6_T7_T9_mT8_S1C_bDpT10_ENKUlT_T0_E_clISt17integral_constantIbLb0EES1P_EEDaS1K_S1L_EUlS1K_E_NS1_11comp_targetILNS1_3genE2ELNS1_11target_archE906ELNS1_3gpuE6ELNS1_3repE0EEENS1_30default_config_static_selectorELNS0_4arch9wavefront6targetE0EEEvSY_
		.amdhsa_group_segment_fixed_size 0
		.amdhsa_private_segment_fixed_size 0
		.amdhsa_kernarg_size 144
		.amdhsa_user_sgpr_count 15
		.amdhsa_user_sgpr_dispatch_ptr 0
		.amdhsa_user_sgpr_queue_ptr 0
		.amdhsa_user_sgpr_kernarg_segment_ptr 1
		.amdhsa_user_sgpr_dispatch_id 0
		.amdhsa_user_sgpr_private_segment_size 0
		.amdhsa_wavefront_size32 1
		.amdhsa_uses_dynamic_stack 0
		.amdhsa_enable_private_segment 0
		.amdhsa_system_sgpr_workgroup_id_x 1
		.amdhsa_system_sgpr_workgroup_id_y 0
		.amdhsa_system_sgpr_workgroup_id_z 0
		.amdhsa_system_sgpr_workgroup_info 0
		.amdhsa_system_vgpr_workitem_id 0
		.amdhsa_next_free_vgpr 1
		.amdhsa_next_free_sgpr 1
		.amdhsa_reserve_vcc 0
		.amdhsa_float_round_mode_32 0
		.amdhsa_float_round_mode_16_64 0
		.amdhsa_float_denorm_mode_32 3
		.amdhsa_float_denorm_mode_16_64 3
		.amdhsa_dx10_clamp 1
		.amdhsa_ieee_mode 1
		.amdhsa_fp16_overflow 0
		.amdhsa_workgroup_processor_mode 1
		.amdhsa_memory_ordered 1
		.amdhsa_forward_progress 0
		.amdhsa_shared_vgpr_count 0
		.amdhsa_exception_fp_ieee_invalid_op 0
		.amdhsa_exception_fp_denorm_src 0
		.amdhsa_exception_fp_ieee_div_zero 0
		.amdhsa_exception_fp_ieee_overflow 0
		.amdhsa_exception_fp_ieee_underflow 0
		.amdhsa_exception_fp_ieee_inexact 0
		.amdhsa_exception_int_div_zero 0
	.end_amdhsa_kernel
	.section	.text._ZN7rocprim17ROCPRIM_400000_NS6detail17trampoline_kernelINS0_13select_configILj256ELj13ELNS0_17block_load_methodE3ELS4_3ELS4_3ELNS0_20block_scan_algorithmE0ELj4294967295EEENS1_25partition_config_selectorILNS1_17partition_subalgoE3EjNS0_10empty_typeEbEEZZNS1_14partition_implILS8_3ELb0ES6_jNS0_17counting_iteratorIjlEEPS9_SE_NS0_5tupleIJPjSE_EEENSF_IJSE_SE_EEES9_SG_JZNS1_25segmented_radix_sort_implINS0_14default_configELb1EPKdPdPKlPlN2at6native12_GLOBAL__N_18offset_tEEE10hipError_tPvRmT1_PNSt15iterator_traitsISY_E10value_typeET2_T3_PNSZ_IS14_E10value_typeET4_jRbjT5_S1A_jjP12ihipStream_tbEUljE_EEESV_SW_SX_S14_S18_S1A_T6_T7_T9_mT8_S1C_bDpT10_ENKUlT_T0_E_clISt17integral_constantIbLb0EES1P_EEDaS1K_S1L_EUlS1K_E_NS1_11comp_targetILNS1_3genE2ELNS1_11target_archE906ELNS1_3gpuE6ELNS1_3repE0EEENS1_30default_config_static_selectorELNS0_4arch9wavefront6targetE0EEEvSY_,"axG",@progbits,_ZN7rocprim17ROCPRIM_400000_NS6detail17trampoline_kernelINS0_13select_configILj256ELj13ELNS0_17block_load_methodE3ELS4_3ELS4_3ELNS0_20block_scan_algorithmE0ELj4294967295EEENS1_25partition_config_selectorILNS1_17partition_subalgoE3EjNS0_10empty_typeEbEEZZNS1_14partition_implILS8_3ELb0ES6_jNS0_17counting_iteratorIjlEEPS9_SE_NS0_5tupleIJPjSE_EEENSF_IJSE_SE_EEES9_SG_JZNS1_25segmented_radix_sort_implINS0_14default_configELb1EPKdPdPKlPlN2at6native12_GLOBAL__N_18offset_tEEE10hipError_tPvRmT1_PNSt15iterator_traitsISY_E10value_typeET2_T3_PNSZ_IS14_E10value_typeET4_jRbjT5_S1A_jjP12ihipStream_tbEUljE_EEESV_SW_SX_S14_S18_S1A_T6_T7_T9_mT8_S1C_bDpT10_ENKUlT_T0_E_clISt17integral_constantIbLb0EES1P_EEDaS1K_S1L_EUlS1K_E_NS1_11comp_targetILNS1_3genE2ELNS1_11target_archE906ELNS1_3gpuE6ELNS1_3repE0EEENS1_30default_config_static_selectorELNS0_4arch9wavefront6targetE0EEEvSY_,comdat
.Lfunc_end1090:
	.size	_ZN7rocprim17ROCPRIM_400000_NS6detail17trampoline_kernelINS0_13select_configILj256ELj13ELNS0_17block_load_methodE3ELS4_3ELS4_3ELNS0_20block_scan_algorithmE0ELj4294967295EEENS1_25partition_config_selectorILNS1_17partition_subalgoE3EjNS0_10empty_typeEbEEZZNS1_14partition_implILS8_3ELb0ES6_jNS0_17counting_iteratorIjlEEPS9_SE_NS0_5tupleIJPjSE_EEENSF_IJSE_SE_EEES9_SG_JZNS1_25segmented_radix_sort_implINS0_14default_configELb1EPKdPdPKlPlN2at6native12_GLOBAL__N_18offset_tEEE10hipError_tPvRmT1_PNSt15iterator_traitsISY_E10value_typeET2_T3_PNSZ_IS14_E10value_typeET4_jRbjT5_S1A_jjP12ihipStream_tbEUljE_EEESV_SW_SX_S14_S18_S1A_T6_T7_T9_mT8_S1C_bDpT10_ENKUlT_T0_E_clISt17integral_constantIbLb0EES1P_EEDaS1K_S1L_EUlS1K_E_NS1_11comp_targetILNS1_3genE2ELNS1_11target_archE906ELNS1_3gpuE6ELNS1_3repE0EEENS1_30default_config_static_selectorELNS0_4arch9wavefront6targetE0EEEvSY_, .Lfunc_end1090-_ZN7rocprim17ROCPRIM_400000_NS6detail17trampoline_kernelINS0_13select_configILj256ELj13ELNS0_17block_load_methodE3ELS4_3ELS4_3ELNS0_20block_scan_algorithmE0ELj4294967295EEENS1_25partition_config_selectorILNS1_17partition_subalgoE3EjNS0_10empty_typeEbEEZZNS1_14partition_implILS8_3ELb0ES6_jNS0_17counting_iteratorIjlEEPS9_SE_NS0_5tupleIJPjSE_EEENSF_IJSE_SE_EEES9_SG_JZNS1_25segmented_radix_sort_implINS0_14default_configELb1EPKdPdPKlPlN2at6native12_GLOBAL__N_18offset_tEEE10hipError_tPvRmT1_PNSt15iterator_traitsISY_E10value_typeET2_T3_PNSZ_IS14_E10value_typeET4_jRbjT5_S1A_jjP12ihipStream_tbEUljE_EEESV_SW_SX_S14_S18_S1A_T6_T7_T9_mT8_S1C_bDpT10_ENKUlT_T0_E_clISt17integral_constantIbLb0EES1P_EEDaS1K_S1L_EUlS1K_E_NS1_11comp_targetILNS1_3genE2ELNS1_11target_archE906ELNS1_3gpuE6ELNS1_3repE0EEENS1_30default_config_static_selectorELNS0_4arch9wavefront6targetE0EEEvSY_
                                        ; -- End function
	.section	.AMDGPU.csdata,"",@progbits
; Kernel info:
; codeLenInByte = 0
; NumSgprs: 0
; NumVgprs: 0
; ScratchSize: 0
; MemoryBound: 0
; FloatMode: 240
; IeeeMode: 1
; LDSByteSize: 0 bytes/workgroup (compile time only)
; SGPRBlocks: 0
; VGPRBlocks: 0
; NumSGPRsForWavesPerEU: 1
; NumVGPRsForWavesPerEU: 1
; Occupancy: 16
; WaveLimiterHint : 0
; COMPUTE_PGM_RSRC2:SCRATCH_EN: 0
; COMPUTE_PGM_RSRC2:USER_SGPR: 15
; COMPUTE_PGM_RSRC2:TRAP_HANDLER: 0
; COMPUTE_PGM_RSRC2:TGID_X_EN: 1
; COMPUTE_PGM_RSRC2:TGID_Y_EN: 0
; COMPUTE_PGM_RSRC2:TGID_Z_EN: 0
; COMPUTE_PGM_RSRC2:TIDIG_COMP_CNT: 0
	.section	.text._ZN7rocprim17ROCPRIM_400000_NS6detail17trampoline_kernelINS0_13select_configILj256ELj13ELNS0_17block_load_methodE3ELS4_3ELS4_3ELNS0_20block_scan_algorithmE0ELj4294967295EEENS1_25partition_config_selectorILNS1_17partition_subalgoE3EjNS0_10empty_typeEbEEZZNS1_14partition_implILS8_3ELb0ES6_jNS0_17counting_iteratorIjlEEPS9_SE_NS0_5tupleIJPjSE_EEENSF_IJSE_SE_EEES9_SG_JZNS1_25segmented_radix_sort_implINS0_14default_configELb1EPKdPdPKlPlN2at6native12_GLOBAL__N_18offset_tEEE10hipError_tPvRmT1_PNSt15iterator_traitsISY_E10value_typeET2_T3_PNSZ_IS14_E10value_typeET4_jRbjT5_S1A_jjP12ihipStream_tbEUljE_EEESV_SW_SX_S14_S18_S1A_T6_T7_T9_mT8_S1C_bDpT10_ENKUlT_T0_E_clISt17integral_constantIbLb0EES1P_EEDaS1K_S1L_EUlS1K_E_NS1_11comp_targetILNS1_3genE10ELNS1_11target_archE1200ELNS1_3gpuE4ELNS1_3repE0EEENS1_30default_config_static_selectorELNS0_4arch9wavefront6targetE0EEEvSY_,"axG",@progbits,_ZN7rocprim17ROCPRIM_400000_NS6detail17trampoline_kernelINS0_13select_configILj256ELj13ELNS0_17block_load_methodE3ELS4_3ELS4_3ELNS0_20block_scan_algorithmE0ELj4294967295EEENS1_25partition_config_selectorILNS1_17partition_subalgoE3EjNS0_10empty_typeEbEEZZNS1_14partition_implILS8_3ELb0ES6_jNS0_17counting_iteratorIjlEEPS9_SE_NS0_5tupleIJPjSE_EEENSF_IJSE_SE_EEES9_SG_JZNS1_25segmented_radix_sort_implINS0_14default_configELb1EPKdPdPKlPlN2at6native12_GLOBAL__N_18offset_tEEE10hipError_tPvRmT1_PNSt15iterator_traitsISY_E10value_typeET2_T3_PNSZ_IS14_E10value_typeET4_jRbjT5_S1A_jjP12ihipStream_tbEUljE_EEESV_SW_SX_S14_S18_S1A_T6_T7_T9_mT8_S1C_bDpT10_ENKUlT_T0_E_clISt17integral_constantIbLb0EES1P_EEDaS1K_S1L_EUlS1K_E_NS1_11comp_targetILNS1_3genE10ELNS1_11target_archE1200ELNS1_3gpuE4ELNS1_3repE0EEENS1_30default_config_static_selectorELNS0_4arch9wavefront6targetE0EEEvSY_,comdat
	.globl	_ZN7rocprim17ROCPRIM_400000_NS6detail17trampoline_kernelINS0_13select_configILj256ELj13ELNS0_17block_load_methodE3ELS4_3ELS4_3ELNS0_20block_scan_algorithmE0ELj4294967295EEENS1_25partition_config_selectorILNS1_17partition_subalgoE3EjNS0_10empty_typeEbEEZZNS1_14partition_implILS8_3ELb0ES6_jNS0_17counting_iteratorIjlEEPS9_SE_NS0_5tupleIJPjSE_EEENSF_IJSE_SE_EEES9_SG_JZNS1_25segmented_radix_sort_implINS0_14default_configELb1EPKdPdPKlPlN2at6native12_GLOBAL__N_18offset_tEEE10hipError_tPvRmT1_PNSt15iterator_traitsISY_E10value_typeET2_T3_PNSZ_IS14_E10value_typeET4_jRbjT5_S1A_jjP12ihipStream_tbEUljE_EEESV_SW_SX_S14_S18_S1A_T6_T7_T9_mT8_S1C_bDpT10_ENKUlT_T0_E_clISt17integral_constantIbLb0EES1P_EEDaS1K_S1L_EUlS1K_E_NS1_11comp_targetILNS1_3genE10ELNS1_11target_archE1200ELNS1_3gpuE4ELNS1_3repE0EEENS1_30default_config_static_selectorELNS0_4arch9wavefront6targetE0EEEvSY_ ; -- Begin function _ZN7rocprim17ROCPRIM_400000_NS6detail17trampoline_kernelINS0_13select_configILj256ELj13ELNS0_17block_load_methodE3ELS4_3ELS4_3ELNS0_20block_scan_algorithmE0ELj4294967295EEENS1_25partition_config_selectorILNS1_17partition_subalgoE3EjNS0_10empty_typeEbEEZZNS1_14partition_implILS8_3ELb0ES6_jNS0_17counting_iteratorIjlEEPS9_SE_NS0_5tupleIJPjSE_EEENSF_IJSE_SE_EEES9_SG_JZNS1_25segmented_radix_sort_implINS0_14default_configELb1EPKdPdPKlPlN2at6native12_GLOBAL__N_18offset_tEEE10hipError_tPvRmT1_PNSt15iterator_traitsISY_E10value_typeET2_T3_PNSZ_IS14_E10value_typeET4_jRbjT5_S1A_jjP12ihipStream_tbEUljE_EEESV_SW_SX_S14_S18_S1A_T6_T7_T9_mT8_S1C_bDpT10_ENKUlT_T0_E_clISt17integral_constantIbLb0EES1P_EEDaS1K_S1L_EUlS1K_E_NS1_11comp_targetILNS1_3genE10ELNS1_11target_archE1200ELNS1_3gpuE4ELNS1_3repE0EEENS1_30default_config_static_selectorELNS0_4arch9wavefront6targetE0EEEvSY_
	.p2align	8
	.type	_ZN7rocprim17ROCPRIM_400000_NS6detail17trampoline_kernelINS0_13select_configILj256ELj13ELNS0_17block_load_methodE3ELS4_3ELS4_3ELNS0_20block_scan_algorithmE0ELj4294967295EEENS1_25partition_config_selectorILNS1_17partition_subalgoE3EjNS0_10empty_typeEbEEZZNS1_14partition_implILS8_3ELb0ES6_jNS0_17counting_iteratorIjlEEPS9_SE_NS0_5tupleIJPjSE_EEENSF_IJSE_SE_EEES9_SG_JZNS1_25segmented_radix_sort_implINS0_14default_configELb1EPKdPdPKlPlN2at6native12_GLOBAL__N_18offset_tEEE10hipError_tPvRmT1_PNSt15iterator_traitsISY_E10value_typeET2_T3_PNSZ_IS14_E10value_typeET4_jRbjT5_S1A_jjP12ihipStream_tbEUljE_EEESV_SW_SX_S14_S18_S1A_T6_T7_T9_mT8_S1C_bDpT10_ENKUlT_T0_E_clISt17integral_constantIbLb0EES1P_EEDaS1K_S1L_EUlS1K_E_NS1_11comp_targetILNS1_3genE10ELNS1_11target_archE1200ELNS1_3gpuE4ELNS1_3repE0EEENS1_30default_config_static_selectorELNS0_4arch9wavefront6targetE0EEEvSY_,@function
_ZN7rocprim17ROCPRIM_400000_NS6detail17trampoline_kernelINS0_13select_configILj256ELj13ELNS0_17block_load_methodE3ELS4_3ELS4_3ELNS0_20block_scan_algorithmE0ELj4294967295EEENS1_25partition_config_selectorILNS1_17partition_subalgoE3EjNS0_10empty_typeEbEEZZNS1_14partition_implILS8_3ELb0ES6_jNS0_17counting_iteratorIjlEEPS9_SE_NS0_5tupleIJPjSE_EEENSF_IJSE_SE_EEES9_SG_JZNS1_25segmented_radix_sort_implINS0_14default_configELb1EPKdPdPKlPlN2at6native12_GLOBAL__N_18offset_tEEE10hipError_tPvRmT1_PNSt15iterator_traitsISY_E10value_typeET2_T3_PNSZ_IS14_E10value_typeET4_jRbjT5_S1A_jjP12ihipStream_tbEUljE_EEESV_SW_SX_S14_S18_S1A_T6_T7_T9_mT8_S1C_bDpT10_ENKUlT_T0_E_clISt17integral_constantIbLb0EES1P_EEDaS1K_S1L_EUlS1K_E_NS1_11comp_targetILNS1_3genE10ELNS1_11target_archE1200ELNS1_3gpuE4ELNS1_3repE0EEENS1_30default_config_static_selectorELNS0_4arch9wavefront6targetE0EEEvSY_: ; @_ZN7rocprim17ROCPRIM_400000_NS6detail17trampoline_kernelINS0_13select_configILj256ELj13ELNS0_17block_load_methodE3ELS4_3ELS4_3ELNS0_20block_scan_algorithmE0ELj4294967295EEENS1_25partition_config_selectorILNS1_17partition_subalgoE3EjNS0_10empty_typeEbEEZZNS1_14partition_implILS8_3ELb0ES6_jNS0_17counting_iteratorIjlEEPS9_SE_NS0_5tupleIJPjSE_EEENSF_IJSE_SE_EEES9_SG_JZNS1_25segmented_radix_sort_implINS0_14default_configELb1EPKdPdPKlPlN2at6native12_GLOBAL__N_18offset_tEEE10hipError_tPvRmT1_PNSt15iterator_traitsISY_E10value_typeET2_T3_PNSZ_IS14_E10value_typeET4_jRbjT5_S1A_jjP12ihipStream_tbEUljE_EEESV_SW_SX_S14_S18_S1A_T6_T7_T9_mT8_S1C_bDpT10_ENKUlT_T0_E_clISt17integral_constantIbLb0EES1P_EEDaS1K_S1L_EUlS1K_E_NS1_11comp_targetILNS1_3genE10ELNS1_11target_archE1200ELNS1_3gpuE4ELNS1_3repE0EEENS1_30default_config_static_selectorELNS0_4arch9wavefront6targetE0EEEvSY_
; %bb.0:
	.section	.rodata,"a",@progbits
	.p2align	6, 0x0
	.amdhsa_kernel _ZN7rocprim17ROCPRIM_400000_NS6detail17trampoline_kernelINS0_13select_configILj256ELj13ELNS0_17block_load_methodE3ELS4_3ELS4_3ELNS0_20block_scan_algorithmE0ELj4294967295EEENS1_25partition_config_selectorILNS1_17partition_subalgoE3EjNS0_10empty_typeEbEEZZNS1_14partition_implILS8_3ELb0ES6_jNS0_17counting_iteratorIjlEEPS9_SE_NS0_5tupleIJPjSE_EEENSF_IJSE_SE_EEES9_SG_JZNS1_25segmented_radix_sort_implINS0_14default_configELb1EPKdPdPKlPlN2at6native12_GLOBAL__N_18offset_tEEE10hipError_tPvRmT1_PNSt15iterator_traitsISY_E10value_typeET2_T3_PNSZ_IS14_E10value_typeET4_jRbjT5_S1A_jjP12ihipStream_tbEUljE_EEESV_SW_SX_S14_S18_S1A_T6_T7_T9_mT8_S1C_bDpT10_ENKUlT_T0_E_clISt17integral_constantIbLb0EES1P_EEDaS1K_S1L_EUlS1K_E_NS1_11comp_targetILNS1_3genE10ELNS1_11target_archE1200ELNS1_3gpuE4ELNS1_3repE0EEENS1_30default_config_static_selectorELNS0_4arch9wavefront6targetE0EEEvSY_
		.amdhsa_group_segment_fixed_size 0
		.amdhsa_private_segment_fixed_size 0
		.amdhsa_kernarg_size 144
		.amdhsa_user_sgpr_count 15
		.amdhsa_user_sgpr_dispatch_ptr 0
		.amdhsa_user_sgpr_queue_ptr 0
		.amdhsa_user_sgpr_kernarg_segment_ptr 1
		.amdhsa_user_sgpr_dispatch_id 0
		.amdhsa_user_sgpr_private_segment_size 0
		.amdhsa_wavefront_size32 1
		.amdhsa_uses_dynamic_stack 0
		.amdhsa_enable_private_segment 0
		.amdhsa_system_sgpr_workgroup_id_x 1
		.amdhsa_system_sgpr_workgroup_id_y 0
		.amdhsa_system_sgpr_workgroup_id_z 0
		.amdhsa_system_sgpr_workgroup_info 0
		.amdhsa_system_vgpr_workitem_id 0
		.amdhsa_next_free_vgpr 1
		.amdhsa_next_free_sgpr 1
		.amdhsa_reserve_vcc 0
		.amdhsa_float_round_mode_32 0
		.amdhsa_float_round_mode_16_64 0
		.amdhsa_float_denorm_mode_32 3
		.amdhsa_float_denorm_mode_16_64 3
		.amdhsa_dx10_clamp 1
		.amdhsa_ieee_mode 1
		.amdhsa_fp16_overflow 0
		.amdhsa_workgroup_processor_mode 1
		.amdhsa_memory_ordered 1
		.amdhsa_forward_progress 0
		.amdhsa_shared_vgpr_count 0
		.amdhsa_exception_fp_ieee_invalid_op 0
		.amdhsa_exception_fp_denorm_src 0
		.amdhsa_exception_fp_ieee_div_zero 0
		.amdhsa_exception_fp_ieee_overflow 0
		.amdhsa_exception_fp_ieee_underflow 0
		.amdhsa_exception_fp_ieee_inexact 0
		.amdhsa_exception_int_div_zero 0
	.end_amdhsa_kernel
	.section	.text._ZN7rocprim17ROCPRIM_400000_NS6detail17trampoline_kernelINS0_13select_configILj256ELj13ELNS0_17block_load_methodE3ELS4_3ELS4_3ELNS0_20block_scan_algorithmE0ELj4294967295EEENS1_25partition_config_selectorILNS1_17partition_subalgoE3EjNS0_10empty_typeEbEEZZNS1_14partition_implILS8_3ELb0ES6_jNS0_17counting_iteratorIjlEEPS9_SE_NS0_5tupleIJPjSE_EEENSF_IJSE_SE_EEES9_SG_JZNS1_25segmented_radix_sort_implINS0_14default_configELb1EPKdPdPKlPlN2at6native12_GLOBAL__N_18offset_tEEE10hipError_tPvRmT1_PNSt15iterator_traitsISY_E10value_typeET2_T3_PNSZ_IS14_E10value_typeET4_jRbjT5_S1A_jjP12ihipStream_tbEUljE_EEESV_SW_SX_S14_S18_S1A_T6_T7_T9_mT8_S1C_bDpT10_ENKUlT_T0_E_clISt17integral_constantIbLb0EES1P_EEDaS1K_S1L_EUlS1K_E_NS1_11comp_targetILNS1_3genE10ELNS1_11target_archE1200ELNS1_3gpuE4ELNS1_3repE0EEENS1_30default_config_static_selectorELNS0_4arch9wavefront6targetE0EEEvSY_,"axG",@progbits,_ZN7rocprim17ROCPRIM_400000_NS6detail17trampoline_kernelINS0_13select_configILj256ELj13ELNS0_17block_load_methodE3ELS4_3ELS4_3ELNS0_20block_scan_algorithmE0ELj4294967295EEENS1_25partition_config_selectorILNS1_17partition_subalgoE3EjNS0_10empty_typeEbEEZZNS1_14partition_implILS8_3ELb0ES6_jNS0_17counting_iteratorIjlEEPS9_SE_NS0_5tupleIJPjSE_EEENSF_IJSE_SE_EEES9_SG_JZNS1_25segmented_radix_sort_implINS0_14default_configELb1EPKdPdPKlPlN2at6native12_GLOBAL__N_18offset_tEEE10hipError_tPvRmT1_PNSt15iterator_traitsISY_E10value_typeET2_T3_PNSZ_IS14_E10value_typeET4_jRbjT5_S1A_jjP12ihipStream_tbEUljE_EEESV_SW_SX_S14_S18_S1A_T6_T7_T9_mT8_S1C_bDpT10_ENKUlT_T0_E_clISt17integral_constantIbLb0EES1P_EEDaS1K_S1L_EUlS1K_E_NS1_11comp_targetILNS1_3genE10ELNS1_11target_archE1200ELNS1_3gpuE4ELNS1_3repE0EEENS1_30default_config_static_selectorELNS0_4arch9wavefront6targetE0EEEvSY_,comdat
.Lfunc_end1091:
	.size	_ZN7rocprim17ROCPRIM_400000_NS6detail17trampoline_kernelINS0_13select_configILj256ELj13ELNS0_17block_load_methodE3ELS4_3ELS4_3ELNS0_20block_scan_algorithmE0ELj4294967295EEENS1_25partition_config_selectorILNS1_17partition_subalgoE3EjNS0_10empty_typeEbEEZZNS1_14partition_implILS8_3ELb0ES6_jNS0_17counting_iteratorIjlEEPS9_SE_NS0_5tupleIJPjSE_EEENSF_IJSE_SE_EEES9_SG_JZNS1_25segmented_radix_sort_implINS0_14default_configELb1EPKdPdPKlPlN2at6native12_GLOBAL__N_18offset_tEEE10hipError_tPvRmT1_PNSt15iterator_traitsISY_E10value_typeET2_T3_PNSZ_IS14_E10value_typeET4_jRbjT5_S1A_jjP12ihipStream_tbEUljE_EEESV_SW_SX_S14_S18_S1A_T6_T7_T9_mT8_S1C_bDpT10_ENKUlT_T0_E_clISt17integral_constantIbLb0EES1P_EEDaS1K_S1L_EUlS1K_E_NS1_11comp_targetILNS1_3genE10ELNS1_11target_archE1200ELNS1_3gpuE4ELNS1_3repE0EEENS1_30default_config_static_selectorELNS0_4arch9wavefront6targetE0EEEvSY_, .Lfunc_end1091-_ZN7rocprim17ROCPRIM_400000_NS6detail17trampoline_kernelINS0_13select_configILj256ELj13ELNS0_17block_load_methodE3ELS4_3ELS4_3ELNS0_20block_scan_algorithmE0ELj4294967295EEENS1_25partition_config_selectorILNS1_17partition_subalgoE3EjNS0_10empty_typeEbEEZZNS1_14partition_implILS8_3ELb0ES6_jNS0_17counting_iteratorIjlEEPS9_SE_NS0_5tupleIJPjSE_EEENSF_IJSE_SE_EEES9_SG_JZNS1_25segmented_radix_sort_implINS0_14default_configELb1EPKdPdPKlPlN2at6native12_GLOBAL__N_18offset_tEEE10hipError_tPvRmT1_PNSt15iterator_traitsISY_E10value_typeET2_T3_PNSZ_IS14_E10value_typeET4_jRbjT5_S1A_jjP12ihipStream_tbEUljE_EEESV_SW_SX_S14_S18_S1A_T6_T7_T9_mT8_S1C_bDpT10_ENKUlT_T0_E_clISt17integral_constantIbLb0EES1P_EEDaS1K_S1L_EUlS1K_E_NS1_11comp_targetILNS1_3genE10ELNS1_11target_archE1200ELNS1_3gpuE4ELNS1_3repE0EEENS1_30default_config_static_selectorELNS0_4arch9wavefront6targetE0EEEvSY_
                                        ; -- End function
	.section	.AMDGPU.csdata,"",@progbits
; Kernel info:
; codeLenInByte = 0
; NumSgprs: 0
; NumVgprs: 0
; ScratchSize: 0
; MemoryBound: 0
; FloatMode: 240
; IeeeMode: 1
; LDSByteSize: 0 bytes/workgroup (compile time only)
; SGPRBlocks: 0
; VGPRBlocks: 0
; NumSGPRsForWavesPerEU: 1
; NumVGPRsForWavesPerEU: 1
; Occupancy: 16
; WaveLimiterHint : 0
; COMPUTE_PGM_RSRC2:SCRATCH_EN: 0
; COMPUTE_PGM_RSRC2:USER_SGPR: 15
; COMPUTE_PGM_RSRC2:TRAP_HANDLER: 0
; COMPUTE_PGM_RSRC2:TGID_X_EN: 1
; COMPUTE_PGM_RSRC2:TGID_Y_EN: 0
; COMPUTE_PGM_RSRC2:TGID_Z_EN: 0
; COMPUTE_PGM_RSRC2:TIDIG_COMP_CNT: 0
	.section	.text._ZN7rocprim17ROCPRIM_400000_NS6detail17trampoline_kernelINS0_13select_configILj256ELj13ELNS0_17block_load_methodE3ELS4_3ELS4_3ELNS0_20block_scan_algorithmE0ELj4294967295EEENS1_25partition_config_selectorILNS1_17partition_subalgoE3EjNS0_10empty_typeEbEEZZNS1_14partition_implILS8_3ELb0ES6_jNS0_17counting_iteratorIjlEEPS9_SE_NS0_5tupleIJPjSE_EEENSF_IJSE_SE_EEES9_SG_JZNS1_25segmented_radix_sort_implINS0_14default_configELb1EPKdPdPKlPlN2at6native12_GLOBAL__N_18offset_tEEE10hipError_tPvRmT1_PNSt15iterator_traitsISY_E10value_typeET2_T3_PNSZ_IS14_E10value_typeET4_jRbjT5_S1A_jjP12ihipStream_tbEUljE_EEESV_SW_SX_S14_S18_S1A_T6_T7_T9_mT8_S1C_bDpT10_ENKUlT_T0_E_clISt17integral_constantIbLb0EES1P_EEDaS1K_S1L_EUlS1K_E_NS1_11comp_targetILNS1_3genE9ELNS1_11target_archE1100ELNS1_3gpuE3ELNS1_3repE0EEENS1_30default_config_static_selectorELNS0_4arch9wavefront6targetE0EEEvSY_,"axG",@progbits,_ZN7rocprim17ROCPRIM_400000_NS6detail17trampoline_kernelINS0_13select_configILj256ELj13ELNS0_17block_load_methodE3ELS4_3ELS4_3ELNS0_20block_scan_algorithmE0ELj4294967295EEENS1_25partition_config_selectorILNS1_17partition_subalgoE3EjNS0_10empty_typeEbEEZZNS1_14partition_implILS8_3ELb0ES6_jNS0_17counting_iteratorIjlEEPS9_SE_NS0_5tupleIJPjSE_EEENSF_IJSE_SE_EEES9_SG_JZNS1_25segmented_radix_sort_implINS0_14default_configELb1EPKdPdPKlPlN2at6native12_GLOBAL__N_18offset_tEEE10hipError_tPvRmT1_PNSt15iterator_traitsISY_E10value_typeET2_T3_PNSZ_IS14_E10value_typeET4_jRbjT5_S1A_jjP12ihipStream_tbEUljE_EEESV_SW_SX_S14_S18_S1A_T6_T7_T9_mT8_S1C_bDpT10_ENKUlT_T0_E_clISt17integral_constantIbLb0EES1P_EEDaS1K_S1L_EUlS1K_E_NS1_11comp_targetILNS1_3genE9ELNS1_11target_archE1100ELNS1_3gpuE3ELNS1_3repE0EEENS1_30default_config_static_selectorELNS0_4arch9wavefront6targetE0EEEvSY_,comdat
	.globl	_ZN7rocprim17ROCPRIM_400000_NS6detail17trampoline_kernelINS0_13select_configILj256ELj13ELNS0_17block_load_methodE3ELS4_3ELS4_3ELNS0_20block_scan_algorithmE0ELj4294967295EEENS1_25partition_config_selectorILNS1_17partition_subalgoE3EjNS0_10empty_typeEbEEZZNS1_14partition_implILS8_3ELb0ES6_jNS0_17counting_iteratorIjlEEPS9_SE_NS0_5tupleIJPjSE_EEENSF_IJSE_SE_EEES9_SG_JZNS1_25segmented_radix_sort_implINS0_14default_configELb1EPKdPdPKlPlN2at6native12_GLOBAL__N_18offset_tEEE10hipError_tPvRmT1_PNSt15iterator_traitsISY_E10value_typeET2_T3_PNSZ_IS14_E10value_typeET4_jRbjT5_S1A_jjP12ihipStream_tbEUljE_EEESV_SW_SX_S14_S18_S1A_T6_T7_T9_mT8_S1C_bDpT10_ENKUlT_T0_E_clISt17integral_constantIbLb0EES1P_EEDaS1K_S1L_EUlS1K_E_NS1_11comp_targetILNS1_3genE9ELNS1_11target_archE1100ELNS1_3gpuE3ELNS1_3repE0EEENS1_30default_config_static_selectorELNS0_4arch9wavefront6targetE0EEEvSY_ ; -- Begin function _ZN7rocprim17ROCPRIM_400000_NS6detail17trampoline_kernelINS0_13select_configILj256ELj13ELNS0_17block_load_methodE3ELS4_3ELS4_3ELNS0_20block_scan_algorithmE0ELj4294967295EEENS1_25partition_config_selectorILNS1_17partition_subalgoE3EjNS0_10empty_typeEbEEZZNS1_14partition_implILS8_3ELb0ES6_jNS0_17counting_iteratorIjlEEPS9_SE_NS0_5tupleIJPjSE_EEENSF_IJSE_SE_EEES9_SG_JZNS1_25segmented_radix_sort_implINS0_14default_configELb1EPKdPdPKlPlN2at6native12_GLOBAL__N_18offset_tEEE10hipError_tPvRmT1_PNSt15iterator_traitsISY_E10value_typeET2_T3_PNSZ_IS14_E10value_typeET4_jRbjT5_S1A_jjP12ihipStream_tbEUljE_EEESV_SW_SX_S14_S18_S1A_T6_T7_T9_mT8_S1C_bDpT10_ENKUlT_T0_E_clISt17integral_constantIbLb0EES1P_EEDaS1K_S1L_EUlS1K_E_NS1_11comp_targetILNS1_3genE9ELNS1_11target_archE1100ELNS1_3gpuE3ELNS1_3repE0EEENS1_30default_config_static_selectorELNS0_4arch9wavefront6targetE0EEEvSY_
	.p2align	8
	.type	_ZN7rocprim17ROCPRIM_400000_NS6detail17trampoline_kernelINS0_13select_configILj256ELj13ELNS0_17block_load_methodE3ELS4_3ELS4_3ELNS0_20block_scan_algorithmE0ELj4294967295EEENS1_25partition_config_selectorILNS1_17partition_subalgoE3EjNS0_10empty_typeEbEEZZNS1_14partition_implILS8_3ELb0ES6_jNS0_17counting_iteratorIjlEEPS9_SE_NS0_5tupleIJPjSE_EEENSF_IJSE_SE_EEES9_SG_JZNS1_25segmented_radix_sort_implINS0_14default_configELb1EPKdPdPKlPlN2at6native12_GLOBAL__N_18offset_tEEE10hipError_tPvRmT1_PNSt15iterator_traitsISY_E10value_typeET2_T3_PNSZ_IS14_E10value_typeET4_jRbjT5_S1A_jjP12ihipStream_tbEUljE_EEESV_SW_SX_S14_S18_S1A_T6_T7_T9_mT8_S1C_bDpT10_ENKUlT_T0_E_clISt17integral_constantIbLb0EES1P_EEDaS1K_S1L_EUlS1K_E_NS1_11comp_targetILNS1_3genE9ELNS1_11target_archE1100ELNS1_3gpuE3ELNS1_3repE0EEENS1_30default_config_static_selectorELNS0_4arch9wavefront6targetE0EEEvSY_,@function
_ZN7rocprim17ROCPRIM_400000_NS6detail17trampoline_kernelINS0_13select_configILj256ELj13ELNS0_17block_load_methodE3ELS4_3ELS4_3ELNS0_20block_scan_algorithmE0ELj4294967295EEENS1_25partition_config_selectorILNS1_17partition_subalgoE3EjNS0_10empty_typeEbEEZZNS1_14partition_implILS8_3ELb0ES6_jNS0_17counting_iteratorIjlEEPS9_SE_NS0_5tupleIJPjSE_EEENSF_IJSE_SE_EEES9_SG_JZNS1_25segmented_radix_sort_implINS0_14default_configELb1EPKdPdPKlPlN2at6native12_GLOBAL__N_18offset_tEEE10hipError_tPvRmT1_PNSt15iterator_traitsISY_E10value_typeET2_T3_PNSZ_IS14_E10value_typeET4_jRbjT5_S1A_jjP12ihipStream_tbEUljE_EEESV_SW_SX_S14_S18_S1A_T6_T7_T9_mT8_S1C_bDpT10_ENKUlT_T0_E_clISt17integral_constantIbLb0EES1P_EEDaS1K_S1L_EUlS1K_E_NS1_11comp_targetILNS1_3genE9ELNS1_11target_archE1100ELNS1_3gpuE3ELNS1_3repE0EEENS1_30default_config_static_selectorELNS0_4arch9wavefront6targetE0EEEvSY_: ; @_ZN7rocprim17ROCPRIM_400000_NS6detail17trampoline_kernelINS0_13select_configILj256ELj13ELNS0_17block_load_methodE3ELS4_3ELS4_3ELNS0_20block_scan_algorithmE0ELj4294967295EEENS1_25partition_config_selectorILNS1_17partition_subalgoE3EjNS0_10empty_typeEbEEZZNS1_14partition_implILS8_3ELb0ES6_jNS0_17counting_iteratorIjlEEPS9_SE_NS0_5tupleIJPjSE_EEENSF_IJSE_SE_EEES9_SG_JZNS1_25segmented_radix_sort_implINS0_14default_configELb1EPKdPdPKlPlN2at6native12_GLOBAL__N_18offset_tEEE10hipError_tPvRmT1_PNSt15iterator_traitsISY_E10value_typeET2_T3_PNSZ_IS14_E10value_typeET4_jRbjT5_S1A_jjP12ihipStream_tbEUljE_EEESV_SW_SX_S14_S18_S1A_T6_T7_T9_mT8_S1C_bDpT10_ENKUlT_T0_E_clISt17integral_constantIbLb0EES1P_EEDaS1K_S1L_EUlS1K_E_NS1_11comp_targetILNS1_3genE9ELNS1_11target_archE1100ELNS1_3gpuE3ELNS1_3repE0EEENS1_30default_config_static_selectorELNS0_4arch9wavefront6targetE0EEEvSY_
; %bb.0:
	s_clause 0x5
	s_load_b32 s2, s[0:1], 0x70
	s_load_b64 s[16:17], s[0:1], 0x10
	s_load_b64 s[12:13], s[0:1], 0x58
	s_load_b32 s18, s[0:1], 0x8
	s_load_b128 s[8:11], s[0:1], 0x48
	s_load_b128 s[4:7], s[0:1], 0x78
	s_mul_i32 s23, s15, 0xd00
	v_lshlrev_b32_e32 v30, 2, v0
	s_waitcnt lgkmcnt(0)
	s_mul_i32 s20, s2, 0xd00
	s_add_i32 s19, s2, -1
	s_add_u32 s2, s16, s20
	s_addc_u32 s3, s17, 0
	s_cmp_eq_u32 s15, s19
	v_cmp_lt_u64_e64 s3, s[2:3], s[12:13]
	s_cselect_b32 s14, -1, 0
	s_cmp_lg_u32 s15, s19
	s_cselect_b32 s21, -1, 0
	s_add_i32 s2, s18, s23
	s_delay_alu instid0(VALU_DEP_1)
	s_or_b32 s3, s21, s3
	s_add_i32 s18, s2, s16
	s_load_b32 s2, s[0:1], 0x88
	v_add_nc_u32_e32 v1, s18, v0
	s_load_b64 s[18:19], s[10:11], 0x0
	s_and_b32 vcc_lo, exec_lo, s3
	s_mov_b32 s10, -1
	s_delay_alu instid0(VALU_DEP_1)
	v_add_nc_u32_e32 v2, 0x100, v1
	v_add_nc_u32_e32 v3, 0x200, v1
	;; [unrolled: 1-line block ×12, first 2 shown]
	s_cbranch_vccz .LBB1092_2
; %bb.1:
	ds_store_2addr_stride64_b32 v30, v1, v2 offset1:4
	ds_store_2addr_stride64_b32 v30, v3, v4 offset0:8 offset1:12
	ds_store_2addr_stride64_b32 v30, v5, v6 offset0:16 offset1:20
	;; [unrolled: 1-line block ×5, first 2 shown]
	ds_store_b32 v30, v13 offset:12288
	s_waitcnt lgkmcnt(0)
	s_mov_b32 s10, 0
	s_barrier
.LBB1092_2:
	s_and_not1_b32 vcc_lo, exec_lo, s10
	s_add_i32 s20, s20, s16
	s_cbranch_vccnz .LBB1092_4
; %bb.3:
	ds_store_2addr_stride64_b32 v30, v1, v2 offset1:4
	ds_store_2addr_stride64_b32 v30, v3, v4 offset0:8 offset1:12
	ds_store_2addr_stride64_b32 v30, v5, v6 offset0:16 offset1:20
	;; [unrolled: 1-line block ×5, first 2 shown]
	ds_store_b32 v30, v13 offset:12288
	s_waitcnt lgkmcnt(0)
	s_barrier
.LBB1092_4:
	v_mul_u32_u24_e32 v33, 13, v0
	s_waitcnt lgkmcnt(0)
	buffer_gl0_inv
	v_cndmask_b32_e64 v31, 0, 1, s3
	s_sub_i32 s22, s12, s20
	s_and_not1_b32 vcc_lo, exec_lo, s3
	v_lshlrev_b32_e32 v1, 2, v33
	ds_load_2addr_b32 v[28:29], v1 offset1:1
	ds_load_2addr_b32 v[26:27], v1 offset0:2 offset1:3
	ds_load_2addr_b32 v[24:25], v1 offset0:4 offset1:5
	;; [unrolled: 1-line block ×5, first 2 shown]
	ds_load_b32 v32, v1 offset:48
	s_waitcnt lgkmcnt(0)
	s_barrier
	buffer_gl0_inv
	s_cbranch_vccnz .LBB1092_6
; %bb.5:
	v_add_nc_u32_e32 v1, s5, v28
	v_add_nc_u32_e32 v2, s7, v28
	;; [unrolled: 1-line block ×5, first 2 shown]
	v_mul_lo_u32 v1, v1, s4
	v_mul_lo_u32 v2, v2, s6
	;; [unrolled: 1-line block ×4, first 2 shown]
	v_add_nc_u32_e32 v6, s7, v26
	v_add_nc_u32_e32 v7, s5, v27
	;; [unrolled: 1-line block ×3, first 2 shown]
	v_mul_lo_u32 v5, v5, s4
	v_add_nc_u32_e32 v9, s5, v22
	v_sub_nc_u32_e32 v1, v1, v2
	v_mul_lo_u32 v2, v6, s6
	v_sub_nc_u32_e32 v3, v3, v4
	v_mul_lo_u32 v4, v7, s4
	v_mul_lo_u32 v6, v8, s6
	v_add_nc_u32_e32 v7, s5, v24
	v_cmp_lt_u32_e32 vcc_lo, s2, v1
	v_add_nc_u32_e32 v8, s5, v25
	v_add_nc_u32_e32 v10, s7, v22
	v_sub_nc_u32_e32 v2, v5, v2
	v_add_nc_u32_e32 v5, s7, v24
	v_cndmask_b32_e64 v1, 0, 1, vcc_lo
	v_sub_nc_u32_e32 v4, v4, v6
	v_mul_lo_u32 v6, v7, s4
	v_add_nc_u32_e32 v7, s7, v25
	v_cmp_lt_u32_e32 vcc_lo, s2, v3
	v_mul_lo_u32 v5, v5, s6
	v_mul_lo_u32 v8, v8, s4
	;; [unrolled: 1-line block ×4, first 2 shown]
	v_cndmask_b32_e64 v3, 0, 1, vcc_lo
	v_cmp_lt_u32_e32 vcc_lo, s2, v2
	v_mul_lo_u32 v10, v10, s6
	v_add_nc_u32_e32 v11, s5, v20
	v_sub_nc_u32_e32 v5, v6, v5
	v_add_nc_u32_e32 v12, s7, v20
	v_cndmask_b32_e64 v2, 0, 1, vcc_lo
	v_sub_nc_u32_e32 v6, v8, v7
	v_add_nc_u32_e32 v7, s5, v23
	v_add_nc_u32_e32 v8, s7, v23
	v_cmp_lt_u32_e32 vcc_lo, s2, v4
	v_sub_nc_u32_e32 v9, v9, v10
	v_mul_lo_u32 v10, v11, s4
	v_mul_lo_u32 v7, v7, s4
	;; [unrolled: 1-line block ×4, first 2 shown]
	v_cndmask_b32_e64 v4, 0, 1, vcc_lo
	v_cmp_lt_u32_e32 vcc_lo, s2, v5
	v_add_nc_u32_e32 v12, s5, v21
	v_add_nc_u32_e32 v13, s7, v18
	;; [unrolled: 1-line block ×4, first 2 shown]
	v_cndmask_b32_e64 v5, 0, 1, vcc_lo
	v_cmp_lt_u32_e32 vcc_lo, s2, v6
	v_sub_nc_u32_e32 v7, v7, v8
	v_sub_nc_u32_e32 v8, v10, v11
	v_add_nc_u32_e32 v11, s7, v21
	v_mul_lo_u32 v10, v12, s4
	v_cndmask_b32_e64 v6, 0, 1, vcc_lo
	v_cmp_lt_u32_e32 vcc_lo, s2, v9
	v_add_nc_u32_e32 v12, s5, v18
	v_mul_lo_u32 v11, v11, s6
	v_mul_lo_u32 v13, v13, s6
	;; [unrolled: 1-line block ×3, first 2 shown]
	v_cndmask_b32_e64 v9, 0, 1, vcc_lo
	v_cmp_lt_u32_e32 vcc_lo, s2, v7
	v_mul_lo_u32 v12, v12, s4
	v_mul_lo_u32 v15, v15, s6
	v_lshlrev_b16 v3, 8, v3
	v_sub_nc_u32_e32 v10, v10, v11
	v_cndmask_b32_e64 v7, 0, 1, vcc_lo
	v_cmp_lt_u32_e32 vcc_lo, s2, v8
	v_add_nc_u32_e32 v11, s5, v32
	v_or_b32_e32 v1, v1, v3
	v_sub_nc_u32_e32 v12, v12, v13
	v_sub_nc_u32_e32 v13, v14, v15
	v_cndmask_b32_e64 v8, 0, 1, vcc_lo
	v_cmp_lt_u32_e32 vcc_lo, s2, v10
	v_add_nc_u32_e32 v16, s7, v32
	v_mul_lo_u32 v11, v11, s4
	v_lshlrev_b16 v4, 8, v4
	v_lshlrev_b16 v6, 8, v6
	v_cndmask_b32_e64 v10, 0, 1, vcc_lo
	v_cmp_lt_u32_e32 vcc_lo, s2, v12
	v_mul_lo_u32 v14, v16, s6
	v_lshlrev_b16 v7, 8, v7
	v_or_b32_e32 v2, v2, v4
	v_lshlrev_b16 v10, 8, v10
	v_cndmask_b32_e64 v3, 0, 1, vcc_lo
	v_cmp_lt_u32_e32 vcc_lo, s2, v13
	v_or_b32_e32 v4, v5, v6
	v_or_b32_e32 v5, v9, v7
	v_sub_nc_u32_e32 v11, v11, v14
	v_or_b32_e32 v6, v8, v10
	v_cndmask_b32_e64 v12, 0, 1, vcc_lo
	v_and_b32_e32 v1, 0xffff, v1
	v_lshlrev_b32_e32 v2, 16, v2
	v_and_b32_e32 v4, 0xffff, v4
	v_lshlrev_b32_e32 v5, 16, v5
	v_lshlrev_b16 v12, 8, v12
	v_and_b32_e32 v6, 0xffff, v6
	v_cmp_lt_u32_e32 vcc_lo, s2, v11
	v_or_b32_e32 v39, v1, v2
	v_or_b32_e32 v37, v4, v5
	;; [unrolled: 1-line block ×3, first 2 shown]
	s_mov_b32 s3, 0
	v_cndmask_b32_e64 v34, 0, 1, vcc_lo
	s_delay_alu instid0(VALU_DEP_2) | instskip(NEXT) | instid1(VALU_DEP_1)
	v_lshlrev_b32_e32 v3, 16, v3
	v_or_b32_e32 v35, v6, v3
	s_branch .LBB1092_7
.LBB1092_6:
	s_mov_b32 s3, -1
                                        ; implicit-def: $vgpr34
                                        ; implicit-def: $vgpr35
                                        ; implicit-def: $vgpr37
                                        ; implicit-def: $vgpr39
.LBB1092_7:
	s_clause 0x1
	s_load_b64 s[10:11], s[0:1], 0x28
	s_load_b64 s[20:21], s[0:1], 0x68
	s_and_not1_b32 vcc_lo, exec_lo, s3
	s_addk_i32 s22, 0xd00
	s_cbranch_vccnz .LBB1092_35
; %bb.8:
	v_dual_mov_b32 v2, 0 :: v_dual_mov_b32 v1, 0
	s_mov_b32 s0, exec_lo
	v_cmpx_gt_u32_e64 s22, v33
; %bb.9:
	v_add_nc_u32_e32 v1, s5, v28
	v_add_nc_u32_e32 v3, s7, v28
	s_delay_alu instid0(VALU_DEP_2) | instskip(NEXT) | instid1(VALU_DEP_2)
	v_mul_lo_u32 v1, v1, s4
	v_mul_lo_u32 v3, v3, s6
	s_delay_alu instid0(VALU_DEP_1) | instskip(NEXT) | instid1(VALU_DEP_1)
	v_sub_nc_u32_e32 v1, v1, v3
	v_cmp_lt_u32_e32 vcc_lo, s2, v1
	v_cndmask_b32_e64 v1, 0, 1, vcc_lo
; %bb.10:
	s_or_b32 exec_lo, exec_lo, s0
	v_add_nc_u32_e32 v3, 1, v33
	s_mov_b32 s0, exec_lo
	s_delay_alu instid0(VALU_DEP_1)
	v_cmpx_gt_u32_e64 s22, v3
; %bb.11:
	v_add_nc_u32_e32 v2, s5, v29
	v_add_nc_u32_e32 v3, s7, v29
	s_delay_alu instid0(VALU_DEP_2) | instskip(NEXT) | instid1(VALU_DEP_2)
	v_mul_lo_u32 v2, v2, s4
	v_mul_lo_u32 v3, v3, s6
	s_delay_alu instid0(VALU_DEP_1) | instskip(NEXT) | instid1(VALU_DEP_1)
	v_sub_nc_u32_e32 v2, v2, v3
	v_cmp_lt_u32_e32 vcc_lo, s2, v2
	v_cndmask_b32_e64 v2, 0, 1, vcc_lo
; %bb.12:
	s_or_b32 exec_lo, exec_lo, s0
	v_dual_mov_b32 v4, 0 :: v_dual_add_nc_u32 v3, 2, v33
	s_delay_alu instid0(VALU_DEP_1)
	v_cmp_gt_u32_e32 vcc_lo, s22, v3
	v_mov_b32_e32 v3, 0
	s_and_saveexec_b32 s0, vcc_lo
; %bb.13:
	v_add_nc_u32_e32 v3, s5, v26
	v_add_nc_u32_e32 v5, s7, v26
	s_delay_alu instid0(VALU_DEP_2) | instskip(NEXT) | instid1(VALU_DEP_2)
	v_mul_lo_u32 v3, v3, s4
	v_mul_lo_u32 v5, v5, s6
	s_delay_alu instid0(VALU_DEP_1) | instskip(NEXT) | instid1(VALU_DEP_1)
	v_sub_nc_u32_e32 v3, v3, v5
	v_cmp_lt_u32_e32 vcc_lo, s2, v3
	v_cndmask_b32_e64 v3, 0, 1, vcc_lo
; %bb.14:
	s_or_b32 exec_lo, exec_lo, s0
	v_add_nc_u32_e32 v5, 3, v33
	s_mov_b32 s0, exec_lo
	s_delay_alu instid0(VALU_DEP_1)
	v_cmpx_gt_u32_e64 s22, v5
; %bb.15:
	v_add_nc_u32_e32 v4, s5, v27
	v_add_nc_u32_e32 v5, s7, v27
	s_delay_alu instid0(VALU_DEP_2) | instskip(NEXT) | instid1(VALU_DEP_2)
	v_mul_lo_u32 v4, v4, s4
	v_mul_lo_u32 v5, v5, s6
	s_delay_alu instid0(VALU_DEP_1) | instskip(NEXT) | instid1(VALU_DEP_1)
	v_sub_nc_u32_e32 v4, v4, v5
	v_cmp_lt_u32_e32 vcc_lo, s2, v4
	v_cndmask_b32_e64 v4, 0, 1, vcc_lo
; %bb.16:
	s_or_b32 exec_lo, exec_lo, s0
	v_dual_mov_b32 v6, 0 :: v_dual_add_nc_u32 v5, 4, v33
	s_delay_alu instid0(VALU_DEP_1)
	v_cmp_gt_u32_e32 vcc_lo, s22, v5
	v_mov_b32_e32 v5, 0
	s_and_saveexec_b32 s0, vcc_lo
; %bb.17:
	v_add_nc_u32_e32 v5, s5, v24
	v_add_nc_u32_e32 v7, s7, v24
	s_delay_alu instid0(VALU_DEP_2) | instskip(NEXT) | instid1(VALU_DEP_2)
	v_mul_lo_u32 v5, v5, s4
	v_mul_lo_u32 v7, v7, s6
	s_delay_alu instid0(VALU_DEP_1) | instskip(NEXT) | instid1(VALU_DEP_1)
	v_sub_nc_u32_e32 v5, v5, v7
	v_cmp_lt_u32_e32 vcc_lo, s2, v5
	v_cndmask_b32_e64 v5, 0, 1, vcc_lo
; %bb.18:
	s_or_b32 exec_lo, exec_lo, s0
	v_add_nc_u32_e32 v7, 5, v33
	s_mov_b32 s0, exec_lo
	s_delay_alu instid0(VALU_DEP_1)
	v_cmpx_gt_u32_e64 s22, v7
; %bb.19:
	v_add_nc_u32_e32 v6, s5, v25
	v_add_nc_u32_e32 v7, s7, v25
	s_delay_alu instid0(VALU_DEP_2) | instskip(NEXT) | instid1(VALU_DEP_2)
	v_mul_lo_u32 v6, v6, s4
	v_mul_lo_u32 v7, v7, s6
	s_delay_alu instid0(VALU_DEP_1) | instskip(NEXT) | instid1(VALU_DEP_1)
	v_sub_nc_u32_e32 v6, v6, v7
	v_cmp_lt_u32_e32 vcc_lo, s2, v6
	v_cndmask_b32_e64 v6, 0, 1, vcc_lo
; %bb.20:
	s_or_b32 exec_lo, exec_lo, s0
	v_dual_mov_b32 v8, 0 :: v_dual_add_nc_u32 v7, 6, v33
	s_delay_alu instid0(VALU_DEP_1)
	v_cmp_gt_u32_e32 vcc_lo, s22, v7
	v_mov_b32_e32 v7, 0
	s_and_saveexec_b32 s0, vcc_lo
; %bb.21:
	v_add_nc_u32_e32 v7, s5, v22
	v_add_nc_u32_e32 v9, s7, v22
	s_delay_alu instid0(VALU_DEP_2) | instskip(NEXT) | instid1(VALU_DEP_2)
	v_mul_lo_u32 v7, v7, s4
	v_mul_lo_u32 v9, v9, s6
	s_delay_alu instid0(VALU_DEP_1) | instskip(NEXT) | instid1(VALU_DEP_1)
	v_sub_nc_u32_e32 v7, v7, v9
	v_cmp_lt_u32_e32 vcc_lo, s2, v7
	v_cndmask_b32_e64 v7, 0, 1, vcc_lo
; %bb.22:
	s_or_b32 exec_lo, exec_lo, s0
	v_add_nc_u32_e32 v9, 7, v33
	s_mov_b32 s0, exec_lo
	s_delay_alu instid0(VALU_DEP_1)
	v_cmpx_gt_u32_e64 s22, v9
; %bb.23:
	v_add_nc_u32_e32 v8, s5, v23
	v_add_nc_u32_e32 v9, s7, v23
	s_delay_alu instid0(VALU_DEP_2) | instskip(NEXT) | instid1(VALU_DEP_2)
	v_mul_lo_u32 v8, v8, s4
	v_mul_lo_u32 v9, v9, s6
	s_delay_alu instid0(VALU_DEP_1) | instskip(NEXT) | instid1(VALU_DEP_1)
	v_sub_nc_u32_e32 v8, v8, v9
	v_cmp_lt_u32_e32 vcc_lo, s2, v8
	v_cndmask_b32_e64 v8, 0, 1, vcc_lo
; %bb.24:
	s_or_b32 exec_lo, exec_lo, s0
	v_dual_mov_b32 v10, 0 :: v_dual_add_nc_u32 v9, 8, v33
	s_delay_alu instid0(VALU_DEP_1)
	v_cmp_gt_u32_e32 vcc_lo, s22, v9
	v_mov_b32_e32 v9, 0
	s_and_saveexec_b32 s0, vcc_lo
; %bb.25:
	v_add_nc_u32_e32 v9, s5, v20
	v_add_nc_u32_e32 v11, s7, v20
	s_delay_alu instid0(VALU_DEP_2) | instskip(NEXT) | instid1(VALU_DEP_2)
	v_mul_lo_u32 v9, v9, s4
	v_mul_lo_u32 v11, v11, s6
	s_delay_alu instid0(VALU_DEP_1) | instskip(NEXT) | instid1(VALU_DEP_1)
	v_sub_nc_u32_e32 v9, v9, v11
	v_cmp_lt_u32_e32 vcc_lo, s2, v9
	v_cndmask_b32_e64 v9, 0, 1, vcc_lo
; %bb.26:
	s_or_b32 exec_lo, exec_lo, s0
	v_add_nc_u32_e32 v11, 9, v33
	s_mov_b32 s0, exec_lo
	s_delay_alu instid0(VALU_DEP_1)
	v_cmpx_gt_u32_e64 s22, v11
; %bb.27:
	v_add_nc_u32_e32 v10, s5, v21
	v_add_nc_u32_e32 v11, s7, v21
	s_delay_alu instid0(VALU_DEP_2) | instskip(NEXT) | instid1(VALU_DEP_2)
	v_mul_lo_u32 v10, v10, s4
	v_mul_lo_u32 v11, v11, s6
	s_delay_alu instid0(VALU_DEP_1) | instskip(NEXT) | instid1(VALU_DEP_1)
	v_sub_nc_u32_e32 v10, v10, v11
	v_cmp_lt_u32_e32 vcc_lo, s2, v10
	v_cndmask_b32_e64 v10, 0, 1, vcc_lo
; %bb.28:
	s_or_b32 exec_lo, exec_lo, s0
	v_dual_mov_b32 v12, 0 :: v_dual_add_nc_u32 v11, 10, v33
	s_delay_alu instid0(VALU_DEP_1)
	v_cmp_gt_u32_e32 vcc_lo, s22, v11
	v_mov_b32_e32 v11, 0
	s_and_saveexec_b32 s0, vcc_lo
; %bb.29:
	v_add_nc_u32_e32 v11, s5, v18
	v_add_nc_u32_e32 v13, s7, v18
	s_delay_alu instid0(VALU_DEP_2) | instskip(NEXT) | instid1(VALU_DEP_2)
	v_mul_lo_u32 v11, v11, s4
	v_mul_lo_u32 v13, v13, s6
	s_delay_alu instid0(VALU_DEP_1) | instskip(NEXT) | instid1(VALU_DEP_1)
	v_sub_nc_u32_e32 v11, v11, v13
	v_cmp_lt_u32_e32 vcc_lo, s2, v11
	v_cndmask_b32_e64 v11, 0, 1, vcc_lo
; %bb.30:
	s_or_b32 exec_lo, exec_lo, s0
	v_add_nc_u32_e32 v13, 11, v33
	s_mov_b32 s0, exec_lo
	s_delay_alu instid0(VALU_DEP_1)
	v_cmpx_gt_u32_e64 s22, v13
; %bb.31:
	v_add_nc_u32_e32 v12, s5, v19
	v_add_nc_u32_e32 v13, s7, v19
	s_delay_alu instid0(VALU_DEP_2) | instskip(NEXT) | instid1(VALU_DEP_2)
	v_mul_lo_u32 v12, v12, s4
	v_mul_lo_u32 v13, v13, s6
	s_delay_alu instid0(VALU_DEP_1) | instskip(NEXT) | instid1(VALU_DEP_1)
	v_sub_nc_u32_e32 v12, v12, v13
	v_cmp_lt_u32_e32 vcc_lo, s2, v12
	v_cndmask_b32_e64 v12, 0, 1, vcc_lo
; %bb.32:
	s_or_b32 exec_lo, exec_lo, s0
	v_dual_mov_b32 v34, 0 :: v_dual_add_nc_u32 v13, 12, v33
	s_mov_b32 s0, exec_lo
	s_delay_alu instid0(VALU_DEP_1)
	v_cmpx_gt_u32_e64 s22, v13
; %bb.33:
	v_add_nc_u32_e32 v13, s5, v32
	v_add_nc_u32_e32 v14, s7, v32
	s_delay_alu instid0(VALU_DEP_2) | instskip(NEXT) | instid1(VALU_DEP_2)
	v_mul_lo_u32 v13, v13, s4
	v_mul_lo_u32 v14, v14, s6
	s_delay_alu instid0(VALU_DEP_1) | instskip(NEXT) | instid1(VALU_DEP_1)
	v_sub_nc_u32_e32 v13, v13, v14
	v_cmp_lt_u32_e32 vcc_lo, s2, v13
	v_cndmask_b32_e64 v34, 0, 1, vcc_lo
; %bb.34:
	s_or_b32 exec_lo, exec_lo, s0
	v_lshlrev_b16 v2, 8, v2
	v_lshlrev_b16 v4, 8, v4
	;; [unrolled: 1-line block ×5, first 2 shown]
	v_or_b32_e32 v1, v1, v2
	v_lshlrev_b16 v2, 8, v12
	v_or_b32_e32 v3, v3, v4
	v_or_b32_e32 v4, v5, v6
	;; [unrolled: 1-line block ×5, first 2 shown]
	v_and_b32_e32 v1, 0xffff, v1
	v_lshlrev_b32_e32 v3, 16, v3
	v_and_b32_e32 v4, 0xffff, v4
	v_lshlrev_b32_e32 v5, 16, v5
	;; [unrolled: 2-line block ×3, first 2 shown]
	v_or_b32_e32 v39, v1, v3
	s_delay_alu instid0(VALU_DEP_4) | instskip(NEXT) | instid1(VALU_DEP_3)
	v_or_b32_e32 v37, v4, v5
	v_or_b32_e32 v35, v6, v2
.LBB1092_35:
	s_delay_alu instid0(VALU_DEP_3)
	v_and_b32_e32 v41, 0xff, v39
	v_bfe_u32 v42, v39, 8, 8
	v_bfe_u32 v43, v39, 16, 8
	v_lshrrev_b32_e32 v40, 24, v39
	v_and_b32_e32 v44, 0xff, v37
	v_bfe_u32 v45, v37, 8, 8
	v_bfe_u32 v46, v37, 16, 8
	v_add3_u32 v1, v42, v41, v43
	v_lshrrev_b32_e32 v38, 24, v37
	v_and_b32_e32 v47, 0xff, v35
	v_bfe_u32 v48, v35, 8, 8
	v_mbcnt_lo_u32_b32 v50, -1, 0
	v_add3_u32 v1, v1, v40, v44
	v_bfe_u32 v49, v35, 16, 8
	v_lshrrev_b32_e32 v36, 24, v35
	v_and_b32_e32 v2, 0xff, v34
	v_and_b32_e32 v3, 15, v50
	v_add3_u32 v1, v1, v45, v46
	v_or_b32_e32 v4, 31, v0
	v_and_b32_e32 v5, 16, v50
	v_lshrrev_b32_e32 v51, 5, v0
	v_cmp_eq_u32_e64 s5, 0, v3
	v_add3_u32 v1, v1, v38, v47
	v_cmp_lt_u32_e64 s4, 1, v3
	v_cmp_lt_u32_e64 s3, 3, v3
	;; [unrolled: 1-line block ×3, first 2 shown]
	v_cmp_eq_u32_e64 s1, 0, v5
	v_add3_u32 v1, v1, v48, v49
	v_cmp_eq_u32_e64 s0, v4, v0
	s_cmp_lg_u32 s15, 0
	s_mov_b32 s6, -1
	s_delay_alu instid0(VALU_DEP_2)
	v_add3_u32 v52, v1, v36, v2
	s_cbranch_scc0 .LBB1092_61
; %bb.36:
	s_delay_alu instid0(VALU_DEP_1) | instskip(NEXT) | instid1(VALU_DEP_1)
	v_mov_b32_dpp v1, v52 row_shr:1 row_mask:0xf bank_mask:0xf
	v_cndmask_b32_e64 v1, v1, 0, s5
	s_delay_alu instid0(VALU_DEP_1) | instskip(NEXT) | instid1(VALU_DEP_1)
	v_add_nc_u32_e32 v1, v1, v52
	v_mov_b32_dpp v2, v1 row_shr:2 row_mask:0xf bank_mask:0xf
	s_delay_alu instid0(VALU_DEP_1) | instskip(NEXT) | instid1(VALU_DEP_1)
	v_cndmask_b32_e64 v2, 0, v2, s4
	v_add_nc_u32_e32 v1, v1, v2
	s_delay_alu instid0(VALU_DEP_1) | instskip(NEXT) | instid1(VALU_DEP_1)
	v_mov_b32_dpp v2, v1 row_shr:4 row_mask:0xf bank_mask:0xf
	v_cndmask_b32_e64 v2, 0, v2, s3
	s_delay_alu instid0(VALU_DEP_1) | instskip(NEXT) | instid1(VALU_DEP_1)
	v_add_nc_u32_e32 v1, v1, v2
	v_mov_b32_dpp v2, v1 row_shr:8 row_mask:0xf bank_mask:0xf
	s_delay_alu instid0(VALU_DEP_1) | instskip(NEXT) | instid1(VALU_DEP_1)
	v_cndmask_b32_e64 v2, 0, v2, s2
	v_add_nc_u32_e32 v1, v1, v2
	ds_swizzle_b32 v2, v1 offset:swizzle(BROADCAST,32,15)
	s_waitcnt lgkmcnt(0)
	v_cndmask_b32_e64 v2, v2, 0, s1
	s_delay_alu instid0(VALU_DEP_1)
	v_add_nc_u32_e32 v1, v1, v2
	s_and_saveexec_b32 s6, s0
	s_cbranch_execz .LBB1092_38
; %bb.37:
	v_lshlrev_b32_e32 v2, 2, v51
	ds_store_b32 v2, v1
.LBB1092_38:
	s_or_b32 exec_lo, exec_lo, s6
	s_delay_alu instid0(SALU_CYCLE_1)
	s_mov_b32 s6, exec_lo
	s_waitcnt lgkmcnt(0)
	s_barrier
	buffer_gl0_inv
	v_cmpx_gt_u32_e32 8, v0
	s_cbranch_execz .LBB1092_40
; %bb.39:
	ds_load_b32 v2, v30
	s_waitcnt lgkmcnt(0)
	v_mov_b32_dpp v4, v2 row_shr:1 row_mask:0xf bank_mask:0xf
	v_and_b32_e32 v3, 7, v50
	s_delay_alu instid0(VALU_DEP_1) | instskip(NEXT) | instid1(VALU_DEP_3)
	v_cmp_ne_u32_e32 vcc_lo, 0, v3
	v_cndmask_b32_e32 v4, 0, v4, vcc_lo
	v_cmp_lt_u32_e32 vcc_lo, 1, v3
	s_delay_alu instid0(VALU_DEP_2) | instskip(NEXT) | instid1(VALU_DEP_1)
	v_add_nc_u32_e32 v2, v4, v2
	v_mov_b32_dpp v4, v2 row_shr:2 row_mask:0xf bank_mask:0xf
	s_delay_alu instid0(VALU_DEP_1) | instskip(SKIP_1) | instid1(VALU_DEP_2)
	v_cndmask_b32_e32 v4, 0, v4, vcc_lo
	v_cmp_lt_u32_e32 vcc_lo, 3, v3
	v_add_nc_u32_e32 v2, v2, v4
	s_delay_alu instid0(VALU_DEP_1) | instskip(NEXT) | instid1(VALU_DEP_1)
	v_mov_b32_dpp v4, v2 row_shr:4 row_mask:0xf bank_mask:0xf
	v_cndmask_b32_e32 v3, 0, v4, vcc_lo
	s_delay_alu instid0(VALU_DEP_1)
	v_add_nc_u32_e32 v2, v2, v3
	ds_store_b32 v30, v2
.LBB1092_40:
	s_or_b32 exec_lo, exec_lo, s6
	v_cmp_gt_u32_e32 vcc_lo, 32, v0
	s_mov_b32 s7, exec_lo
	s_waitcnt lgkmcnt(0)
	s_barrier
	buffer_gl0_inv
                                        ; implicit-def: $vgpr8
	v_cmpx_lt_u32_e32 31, v0
	s_cbranch_execz .LBB1092_42
; %bb.41:
	v_lshl_add_u32 v2, v51, 2, -4
	ds_load_b32 v8, v2
	s_waitcnt lgkmcnt(0)
	v_add_nc_u32_e32 v1, v8, v1
.LBB1092_42:
	s_or_b32 exec_lo, exec_lo, s7
	v_add_nc_u32_e32 v2, -1, v50
	s_delay_alu instid0(VALU_DEP_1) | instskip(NEXT) | instid1(VALU_DEP_1)
	v_cmp_gt_i32_e64 s6, 0, v2
	v_cndmask_b32_e64 v2, v2, v50, s6
	v_cmp_eq_u32_e64 s6, 0, v50
	s_delay_alu instid0(VALU_DEP_2)
	v_lshlrev_b32_e32 v2, 2, v2
	ds_bpermute_b32 v9, v2, v1
	s_and_saveexec_b32 s7, vcc_lo
	s_cbranch_execz .LBB1092_60
; %bb.43:
	v_mov_b32_e32 v4, 0
	ds_load_b32 v1, v4 offset:28
	s_and_saveexec_b32 s24, s6
	s_cbranch_execz .LBB1092_45
; %bb.44:
	s_add_i32 s26, s15, 32
	s_mov_b32 s27, 0
	v_mov_b32_e32 v2, 1
	s_lshl_b64 s[26:27], s[26:27], 3
	s_delay_alu instid0(SALU_CYCLE_1)
	s_add_u32 s26, s20, s26
	s_addc_u32 s27, s21, s27
	s_waitcnt lgkmcnt(0)
	global_store_b64 v4, v[1:2], s[26:27]
.LBB1092_45:
	s_or_b32 exec_lo, exec_lo, s24
	v_xad_u32 v2, v50, -1, s15
	s_mov_b32 s25, 0
	s_mov_b32 s24, exec_lo
	s_delay_alu instid0(VALU_DEP_1) | instskip(NEXT) | instid1(VALU_DEP_1)
	v_add_nc_u32_e32 v3, 32, v2
	v_lshlrev_b64 v[3:4], 3, v[3:4]
	s_delay_alu instid0(VALU_DEP_1) | instskip(NEXT) | instid1(VALU_DEP_2)
	v_add_co_u32 v6, vcc_lo, s20, v3
	v_add_co_ci_u32_e32 v7, vcc_lo, s21, v4, vcc_lo
	global_load_b64 v[4:5], v[6:7], off glc
	s_waitcnt vmcnt(0)
	v_and_b32_e32 v3, 0xff, v5
	s_delay_alu instid0(VALU_DEP_1)
	v_cmpx_eq_u16_e32 0, v3
	s_cbranch_execz .LBB1092_48
.LBB1092_46:                            ; =>This Inner Loop Header: Depth=1
	global_load_b64 v[4:5], v[6:7], off glc
	s_waitcnt vmcnt(0)
	v_and_b32_e32 v3, 0xff, v5
	s_delay_alu instid0(VALU_DEP_1) | instskip(SKIP_1) | instid1(SALU_CYCLE_1)
	v_cmp_ne_u16_e32 vcc_lo, 0, v3
	s_or_b32 s25, vcc_lo, s25
	s_and_not1_b32 exec_lo, exec_lo, s25
	s_cbranch_execnz .LBB1092_46
; %bb.47:
	s_or_b32 exec_lo, exec_lo, s25
.LBB1092_48:
	s_delay_alu instid0(SALU_CYCLE_1)
	s_or_b32 exec_lo, exec_lo, s24
	v_cmp_ne_u32_e32 vcc_lo, 31, v50
	v_lshlrev_b32_e64 v11, v50, -1
	v_add_nc_u32_e32 v13, 2, v50
	v_add_nc_u32_e32 v16, 4, v50
	;; [unrolled: 1-line block ×3, first 2 shown]
	v_add_co_ci_u32_e32 v3, vcc_lo, 0, v50, vcc_lo
	v_add_nc_u32_e32 v55, 16, v50
	s_delay_alu instid0(VALU_DEP_2) | instskip(SKIP_2) | instid1(VALU_DEP_1)
	v_lshlrev_b32_e32 v10, 2, v3
	ds_bpermute_b32 v6, v10, v4
	v_and_b32_e32 v3, 0xff, v5
	v_cmp_eq_u16_e32 vcc_lo, 2, v3
	v_and_or_b32 v3, vcc_lo, v11, 0x80000000
	v_cmp_gt_u32_e32 vcc_lo, 30, v50
	s_delay_alu instid0(VALU_DEP_2) | instskip(SKIP_1) | instid1(VALU_DEP_2)
	v_ctz_i32_b32_e32 v3, v3
	v_cndmask_b32_e64 v7, 0, 1, vcc_lo
	v_cmp_lt_u32_e32 vcc_lo, v50, v3
	s_waitcnt lgkmcnt(0)
	s_delay_alu instid0(VALU_DEP_2) | instskip(NEXT) | instid1(VALU_DEP_1)
	v_dual_cndmask_b32 v6, 0, v6 :: v_dual_lshlrev_b32 v7, 1, v7
	v_add_lshl_u32 v12, v7, v50, 2
	v_cmp_gt_u32_e32 vcc_lo, 28, v50
	s_delay_alu instid0(VALU_DEP_3) | instskip(SKIP_4) | instid1(VALU_DEP_1)
	v_add_nc_u32_e32 v4, v6, v4
	v_cndmask_b32_e64 v7, 0, 1, vcc_lo
	v_cmp_le_u32_e32 vcc_lo, v13, v3
	ds_bpermute_b32 v6, v12, v4
	v_lshlrev_b32_e32 v7, 2, v7
	v_add_lshl_u32 v14, v7, v50, 2
	s_waitcnt lgkmcnt(0)
	v_cndmask_b32_e32 v6, 0, v6, vcc_lo
	v_cmp_gt_u32_e32 vcc_lo, 24, v50
	s_delay_alu instid0(VALU_DEP_2) | instskip(SKIP_4) | instid1(VALU_DEP_1)
	v_add_nc_u32_e32 v4, v4, v6
	v_cndmask_b32_e64 v7, 0, 1, vcc_lo
	v_cmp_le_u32_e32 vcc_lo, v16, v3
	ds_bpermute_b32 v6, v14, v4
	v_lshlrev_b32_e32 v7, 3, v7
	v_add_lshl_u32 v17, v7, v50, 2
	s_waitcnt lgkmcnt(0)
	v_cndmask_b32_e32 v6, 0, v6, vcc_lo
	v_cmp_gt_u32_e32 vcc_lo, 16, v50
	s_delay_alu instid0(VALU_DEP_2) | instskip(SKIP_4) | instid1(VALU_DEP_1)
	v_add_nc_u32_e32 v4, v4, v6
	v_cndmask_b32_e64 v7, 0, 1, vcc_lo
	v_cmp_le_u32_e32 vcc_lo, v53, v3
	ds_bpermute_b32 v6, v17, v4
	v_lshlrev_b32_e32 v7, 4, v7
	v_add_lshl_u32 v54, v7, v50, 2
	s_waitcnt lgkmcnt(0)
	v_cndmask_b32_e32 v6, 0, v6, vcc_lo
	v_cmp_le_u32_e32 vcc_lo, v55, v3
	s_delay_alu instid0(VALU_DEP_2) | instskip(SKIP_3) | instid1(VALU_DEP_1)
	v_add_nc_u32_e32 v4, v4, v6
	ds_bpermute_b32 v6, v54, v4
	s_waitcnt lgkmcnt(0)
	v_cndmask_b32_e32 v3, 0, v6, vcc_lo
	v_dual_mov_b32 v3, 0 :: v_dual_add_nc_u32 v4, v4, v3
	s_branch .LBB1092_50
.LBB1092_49:                            ;   in Loop: Header=BB1092_50 Depth=1
	s_or_b32 exec_lo, exec_lo, s24
	ds_bpermute_b32 v7, v10, v4
	v_and_b32_e32 v6, 0xff, v5
	v_subrev_nc_u32_e32 v2, 32, v2
	s_delay_alu instid0(VALU_DEP_2) | instskip(SKIP_1) | instid1(VALU_DEP_1)
	v_cmp_eq_u16_e32 vcc_lo, 2, v6
	v_and_or_b32 v6, vcc_lo, v11, 0x80000000
	v_ctz_i32_b32_e32 v6, v6
	s_delay_alu instid0(VALU_DEP_1) | instskip(SKIP_3) | instid1(VALU_DEP_2)
	v_cmp_lt_u32_e32 vcc_lo, v50, v6
	s_waitcnt lgkmcnt(0)
	v_cndmask_b32_e32 v7, 0, v7, vcc_lo
	v_cmp_le_u32_e32 vcc_lo, v13, v6
	v_add_nc_u32_e32 v4, v7, v4
	ds_bpermute_b32 v7, v12, v4
	s_waitcnt lgkmcnt(0)
	v_cndmask_b32_e32 v7, 0, v7, vcc_lo
	v_cmp_le_u32_e32 vcc_lo, v16, v6
	s_delay_alu instid0(VALU_DEP_2) | instskip(SKIP_4) | instid1(VALU_DEP_2)
	v_add_nc_u32_e32 v4, v4, v7
	ds_bpermute_b32 v7, v14, v4
	s_waitcnt lgkmcnt(0)
	v_cndmask_b32_e32 v7, 0, v7, vcc_lo
	v_cmp_le_u32_e32 vcc_lo, v53, v6
	v_add_nc_u32_e32 v4, v4, v7
	ds_bpermute_b32 v7, v17, v4
	s_waitcnt lgkmcnt(0)
	v_cndmask_b32_e32 v7, 0, v7, vcc_lo
	v_cmp_le_u32_e32 vcc_lo, v55, v6
	s_delay_alu instid0(VALU_DEP_2) | instskip(SKIP_3) | instid1(VALU_DEP_1)
	v_add_nc_u32_e32 v4, v4, v7
	ds_bpermute_b32 v7, v54, v4
	s_waitcnt lgkmcnt(0)
	v_cndmask_b32_e32 v6, 0, v7, vcc_lo
	v_add3_u32 v4, v6, v15, v4
.LBB1092_50:                            ; =>This Loop Header: Depth=1
                                        ;     Child Loop BB1092_53 Depth 2
	v_and_b32_e32 v5, 0xff, v5
	s_delay_alu instid0(VALU_DEP_2) | instskip(NEXT) | instid1(VALU_DEP_2)
	v_mov_b32_e32 v15, v4
	v_cmp_ne_u16_e32 vcc_lo, 2, v5
	v_cndmask_b32_e64 v5, 0, 1, vcc_lo
	;;#ASMSTART
	;;#ASMEND
	s_delay_alu instid0(VALU_DEP_1)
	v_cmp_ne_u32_e32 vcc_lo, 0, v5
	s_cmp_lg_u32 vcc_lo, exec_lo
	s_cbranch_scc1 .LBB1092_55
; %bb.51:                               ;   in Loop: Header=BB1092_50 Depth=1
	v_lshlrev_b64 v[4:5], 3, v[2:3]
	s_mov_b32 s24, exec_lo
	s_delay_alu instid0(VALU_DEP_1) | instskip(NEXT) | instid1(VALU_DEP_2)
	v_add_co_u32 v6, vcc_lo, s20, v4
	v_add_co_ci_u32_e32 v7, vcc_lo, s21, v5, vcc_lo
	global_load_b64 v[4:5], v[6:7], off glc
	s_waitcnt vmcnt(0)
	v_and_b32_e32 v56, 0xff, v5
	s_delay_alu instid0(VALU_DEP_1)
	v_cmpx_eq_u16_e32 0, v56
	s_cbranch_execz .LBB1092_49
; %bb.52:                               ;   in Loop: Header=BB1092_50 Depth=1
	s_mov_b32 s25, 0
.LBB1092_53:                            ;   Parent Loop BB1092_50 Depth=1
                                        ; =>  This Inner Loop Header: Depth=2
	global_load_b64 v[4:5], v[6:7], off glc
	s_waitcnt vmcnt(0)
	v_and_b32_e32 v56, 0xff, v5
	s_delay_alu instid0(VALU_DEP_1) | instskip(SKIP_1) | instid1(SALU_CYCLE_1)
	v_cmp_ne_u16_e32 vcc_lo, 0, v56
	s_or_b32 s25, vcc_lo, s25
	s_and_not1_b32 exec_lo, exec_lo, s25
	s_cbranch_execnz .LBB1092_53
; %bb.54:                               ;   in Loop: Header=BB1092_50 Depth=1
	s_or_b32 exec_lo, exec_lo, s25
	s_branch .LBB1092_49
.LBB1092_55:                            ;   in Loop: Header=BB1092_50 Depth=1
                                        ; implicit-def: $vgpr4
                                        ; implicit-def: $vgpr5
	s_cbranch_execz .LBB1092_50
; %bb.56:
	s_and_saveexec_b32 s24, s6
	s_cbranch_execz .LBB1092_58
; %bb.57:
	s_add_i32 s26, s15, 32
	s_mov_b32 s27, 0
	v_dual_mov_b32 v3, 2 :: v_dual_add_nc_u32 v2, v15, v1
	s_lshl_b64 s[26:27], s[26:27], 3
	v_mov_b32_e32 v4, 0
	v_add_nc_u32_e64 v5, 0x3400, 0
	s_add_u32 s26, s20, s26
	s_addc_u32 s27, s21, s27
	global_store_b64 v4, v[2:3], s[26:27]
	ds_store_2addr_b32 v5, v1, v15 offset1:2
.LBB1092_58:
	s_or_b32 exec_lo, exec_lo, s24
	v_cmp_eq_u32_e32 vcc_lo, 0, v0
	s_and_b32 exec_lo, exec_lo, vcc_lo
	s_cbranch_execz .LBB1092_60
; %bb.59:
	v_mov_b32_e32 v1, 0
	ds_store_b32 v1, v15 offset:28
.LBB1092_60:
	s_or_b32 exec_lo, exec_lo, s7
	s_waitcnt lgkmcnt(0)
	v_cndmask_b32_e64 v2, v9, v8, s6
	v_cmp_ne_u32_e32 vcc_lo, 0, v0
	v_mov_b32_e32 v1, 0
	s_waitcnt_vscnt null, 0x0
	s_barrier
	buffer_gl0_inv
	v_cndmask_b32_e32 v2, 0, v2, vcc_lo
	ds_load_b32 v1, v1 offset:28
	v_add_nc_u32_e64 v11, 0x3400, 0
	s_waitcnt lgkmcnt(0)
	s_barrier
	buffer_gl0_inv
	ds_load_2addr_b32 v[16:17], v11 offset1:2
	v_add_nc_u32_e32 v1, v1, v2
	s_delay_alu instid0(VALU_DEP_1) | instskip(NEXT) | instid1(VALU_DEP_1)
	v_add_nc_u32_e32 v2, v1, v41
	v_add_nc_u32_e32 v3, v2, v42
	s_delay_alu instid0(VALU_DEP_1) | instskip(NEXT) | instid1(VALU_DEP_1)
	v_add_nc_u32_e32 v4, v3, v43
	;; [unrolled: 3-line block ×6, first 2 shown]
	v_add_nc_u32_e32 v13, v12, v36
	s_branch .LBB1092_71
.LBB1092_61:
                                        ; implicit-def: $vgpr17
                                        ; implicit-def: $vgpr1_vgpr2_vgpr3_vgpr4_vgpr5_vgpr6_vgpr7_vgpr8_vgpr9_vgpr10_vgpr11_vgpr12_vgpr13_vgpr14_vgpr15_vgpr16
	s_and_b32 vcc_lo, exec_lo, s6
	s_cbranch_vccz .LBB1092_71
; %bb.62:
	s_delay_alu instid0(VALU_DEP_1) | instskip(NEXT) | instid1(VALU_DEP_1)
	v_mov_b32_dpp v1, v52 row_shr:1 row_mask:0xf bank_mask:0xf
	v_cndmask_b32_e64 v1, v1, 0, s5
	s_delay_alu instid0(VALU_DEP_1) | instskip(NEXT) | instid1(VALU_DEP_1)
	v_add_nc_u32_e32 v1, v1, v52
	v_mov_b32_dpp v2, v1 row_shr:2 row_mask:0xf bank_mask:0xf
	s_delay_alu instid0(VALU_DEP_1) | instskip(NEXT) | instid1(VALU_DEP_1)
	v_cndmask_b32_e64 v2, 0, v2, s4
	v_add_nc_u32_e32 v1, v1, v2
	s_delay_alu instid0(VALU_DEP_1) | instskip(NEXT) | instid1(VALU_DEP_1)
	v_mov_b32_dpp v2, v1 row_shr:4 row_mask:0xf bank_mask:0xf
	v_cndmask_b32_e64 v2, 0, v2, s3
	s_delay_alu instid0(VALU_DEP_1) | instskip(NEXT) | instid1(VALU_DEP_1)
	v_add_nc_u32_e32 v1, v1, v2
	v_mov_b32_dpp v2, v1 row_shr:8 row_mask:0xf bank_mask:0xf
	s_delay_alu instid0(VALU_DEP_1) | instskip(NEXT) | instid1(VALU_DEP_1)
	v_cndmask_b32_e64 v2, 0, v2, s2
	v_add_nc_u32_e32 v1, v1, v2
	ds_swizzle_b32 v2, v1 offset:swizzle(BROADCAST,32,15)
	s_waitcnt lgkmcnt(0)
	v_cndmask_b32_e64 v2, v2, 0, s1
	s_delay_alu instid0(VALU_DEP_1)
	v_add_nc_u32_e32 v1, v1, v2
	s_and_saveexec_b32 s1, s0
	s_cbranch_execz .LBB1092_64
; %bb.63:
	v_lshlrev_b32_e32 v2, 2, v51
	ds_store_b32 v2, v1
.LBB1092_64:
	s_or_b32 exec_lo, exec_lo, s1
	s_delay_alu instid0(SALU_CYCLE_1)
	s_mov_b32 s0, exec_lo
	s_waitcnt lgkmcnt(0)
	s_barrier
	buffer_gl0_inv
	v_cmpx_gt_u32_e32 8, v0
	s_cbranch_execz .LBB1092_66
; %bb.65:
	ds_load_b32 v2, v30
	s_waitcnt lgkmcnt(0)
	v_mov_b32_dpp v4, v2 row_shr:1 row_mask:0xf bank_mask:0xf
	v_and_b32_e32 v3, 7, v50
	s_delay_alu instid0(VALU_DEP_1) | instskip(NEXT) | instid1(VALU_DEP_3)
	v_cmp_ne_u32_e32 vcc_lo, 0, v3
	v_cndmask_b32_e32 v4, 0, v4, vcc_lo
	v_cmp_lt_u32_e32 vcc_lo, 1, v3
	s_delay_alu instid0(VALU_DEP_2) | instskip(NEXT) | instid1(VALU_DEP_1)
	v_add_nc_u32_e32 v2, v4, v2
	v_mov_b32_dpp v4, v2 row_shr:2 row_mask:0xf bank_mask:0xf
	s_delay_alu instid0(VALU_DEP_1) | instskip(SKIP_1) | instid1(VALU_DEP_2)
	v_cndmask_b32_e32 v4, 0, v4, vcc_lo
	v_cmp_lt_u32_e32 vcc_lo, 3, v3
	v_add_nc_u32_e32 v2, v2, v4
	s_delay_alu instid0(VALU_DEP_1) | instskip(NEXT) | instid1(VALU_DEP_1)
	v_mov_b32_dpp v4, v2 row_shr:4 row_mask:0xf bank_mask:0xf
	v_cndmask_b32_e32 v3, 0, v4, vcc_lo
	s_delay_alu instid0(VALU_DEP_1)
	v_add_nc_u32_e32 v2, v2, v3
	ds_store_b32 v30, v2
.LBB1092_66:
	s_or_b32 exec_lo, exec_lo, s0
	v_dual_mov_b32 v3, 0 :: v_dual_mov_b32 v2, 0
	s_mov_b32 s0, exec_lo
	s_waitcnt lgkmcnt(0)
	s_barrier
	buffer_gl0_inv
	v_cmpx_lt_u32_e32 31, v0
	s_cbranch_execz .LBB1092_68
; %bb.67:
	v_lshl_add_u32 v2, v51, 2, -4
	ds_load_b32 v2, v2
.LBB1092_68:
	s_or_b32 exec_lo, exec_lo, s0
	v_add_nc_u32_e32 v4, -1, v50
	ds_load_b32 v16, v3 offset:28
	s_waitcnt lgkmcnt(1)
	v_add_nc_u32_e32 v1, v2, v1
	v_cmp_gt_i32_e32 vcc_lo, 0, v4
	v_cndmask_b32_e32 v4, v4, v50, vcc_lo
	v_cmp_eq_u32_e32 vcc_lo, 0, v0
	s_delay_alu instid0(VALU_DEP_2)
	v_lshlrev_b32_e32 v4, 2, v4
	ds_bpermute_b32 v1, v4, v1
	s_and_saveexec_b32 s0, vcc_lo
	s_cbranch_execz .LBB1092_70
; %bb.69:
	v_mov_b32_e32 v3, 0
	v_mov_b32_e32 v17, 2
	s_waitcnt lgkmcnt(1)
	global_store_b64 v3, v[16:17], s[20:21] offset:256
.LBB1092_70:
	s_or_b32 exec_lo, exec_lo, s0
	v_cmp_eq_u32_e64 s0, 0, v50
	s_waitcnt lgkmcnt(0)
	s_waitcnt_vscnt null, 0x0
	s_barrier
	buffer_gl0_inv
	v_mov_b32_e32 v17, 0
	v_cndmask_b32_e64 v1, v1, v2, s0
	s_delay_alu instid0(VALU_DEP_1) | instskip(NEXT) | instid1(VALU_DEP_1)
	v_cndmask_b32_e64 v1, v1, 0, vcc_lo
	v_add_nc_u32_e32 v2, v1, v41
	s_delay_alu instid0(VALU_DEP_1) | instskip(NEXT) | instid1(VALU_DEP_1)
	v_add_nc_u32_e32 v3, v2, v42
	v_add_nc_u32_e32 v4, v3, v43
	s_delay_alu instid0(VALU_DEP_1) | instskip(NEXT) | instid1(VALU_DEP_1)
	v_add_nc_u32_e32 v5, v4, v40
	;; [unrolled: 3-line block ×5, first 2 shown]
	v_add_nc_u32_e32 v12, v11, v49
	s_delay_alu instid0(VALU_DEP_1)
	v_add_nc_u32_e32 v13, v12, v36
.LBB1092_71:
	v_lshrrev_b32_e32 v44, 8, v39
	v_lshrrev_b32_e32 v43, 16, v39
	s_waitcnt lgkmcnt(0)
	v_sub_nc_u32_e32 v1, v1, v17
	v_and_b32_e32 v39, 1, v39
	v_sub_nc_u32_e32 v3, v3, v17
	v_add_nc_u32_e32 v33, v16, v33
	v_sub_nc_u32_e32 v2, v2, v17
	v_sub_nc_u32_e32 v4, v4, v17
	v_cmp_eq_u32_e32 vcc_lo, 1, v39
	v_and_b32_e32 v39, 1, v43
	v_sub_nc_u32_e32 v45, v33, v1
	v_and_b32_e32 v44, 1, v44
	v_sub_nc_u32_e32 v43, v33, v2
	v_lshrrev_b32_e32 v42, 8, v37
	v_lshrrev_b32_e32 v41, 16, v37
	v_cndmask_b32_e32 v1, v45, v1, vcc_lo
	v_sub_nc_u32_e32 v45, v33, v3
	v_add_nc_u32_e32 v43, 1, v43
	v_cmp_eq_u32_e32 vcc_lo, 1, v44
	v_and_b32_e32 v40, 1, v40
	v_lshlrev_b32_e32 v1, 2, v1
	v_add_nc_u32_e32 v45, 2, v45
	v_lshrrev_b32_e32 v15, 8, v35
	v_lshrrev_b32_e32 v14, 16, v35
	ds_store_b32 v1, v28
	v_cndmask_b32_e32 v1, v43, v2, vcc_lo
	v_cmp_eq_u32_e32 vcc_lo, 1, v39
	v_or_b32_e32 v28, 0x500, v0
	s_delay_alu instid0(VALU_DEP_3)
	v_dual_cndmask_b32 v2, v45, v3 :: v_dual_lshlrev_b32 v1, 2, v1
	v_sub_nc_u32_e32 v46, v33, v4
	v_cmp_eq_u32_e32 vcc_lo, 1, v40
	ds_store_b32 v1, v29
	v_lshlrev_b32_e32 v2, 2, v2
	v_add_nc_u32_e32 v46, 3, v46
	v_or_b32_e32 v29, 0x400, v0
	s_delay_alu instid0(VALU_DEP_2) | instskip(SKIP_2) | instid1(VALU_DEP_3)
	v_cndmask_b32_e32 v3, v46, v4, vcc_lo
	v_sub_nc_u32_e32 v4, v5, v17
	v_sub_nc_u32_e32 v5, v6, v17
	v_lshlrev_b32_e32 v3, 2, v3
	s_delay_alu instid0(VALU_DEP_3) | instskip(NEXT) | instid1(VALU_DEP_3)
	v_sub_nc_u32_e32 v1, v33, v4
	v_sub_nc_u32_e32 v6, v33, v5
	ds_store_b32 v2, v26
	ds_store_b32 v3, v27
	v_and_b32_e32 v2, 1, v37
	v_add_nc_u32_e32 v1, 4, v1
	v_add_nc_u32_e32 v3, 5, v6
	v_sub_nc_u32_e32 v6, v7, v17
	v_and_b32_e32 v7, 1, v42
	v_cmp_eq_u32_e32 vcc_lo, 1, v2
	v_sub_nc_u32_e32 v2, v8, v17
	v_and_b32_e32 v8, 1, v38
	v_or_b32_e32 v27, 0x600, v0
	v_or_b32_e32 v26, 0x700, v0
	v_cndmask_b32_e32 v1, v1, v4, vcc_lo
	v_sub_nc_u32_e32 v4, v33, v6
	v_cmp_eq_u32_e32 vcc_lo, 1, v7
	v_and_b32_e32 v7, 1, v41
	s_delay_alu instid0(VALU_DEP_4) | instskip(NEXT) | instid1(VALU_DEP_4)
	v_lshlrev_b32_e32 v1, 2, v1
	v_dual_cndmask_b32 v3, v3, v5 :: v_dual_add_nc_u32 v4, 6, v4
	v_sub_nc_u32_e32 v5, v33, v2
	s_delay_alu instid0(VALU_DEP_4) | instskip(SKIP_1) | instid1(VALU_DEP_4)
	v_cmp_eq_u32_e32 vcc_lo, 1, v7
	v_sub_nc_u32_e32 v7, v13, v17
	v_lshlrev_b32_e32 v3, 2, v3
	s_delay_alu instid0(VALU_DEP_4)
	v_dual_cndmask_b32 v4, v4, v6 :: v_dual_add_nc_u32 v5, 7, v5
	v_cmp_eq_u32_e32 vcc_lo, 1, v8
	v_sub_nc_u32_e32 v6, v9, v17
	ds_store_b32 v1, v24
	ds_store_b32 v3, v25
	v_or_b32_e32 v25, 0x800, v0
	v_dual_cndmask_b32 v2, v5, v2 :: v_dual_lshlrev_b32 v3, 2, v4
	v_and_b32_e32 v5, 1, v35
	v_sub_nc_u32_e32 v1, v33, v6
	v_sub_nc_u32_e32 v4, v10, v17
	v_and_b32_e32 v10, 1, v36
	v_or_b32_e32 v24, 0x900, v0
	v_cmp_eq_u32_e32 vcc_lo, 1, v5
	v_sub_nc_u32_e32 v5, v12, v17
	v_add_nc_u32_e32 v1, 8, v1
	s_delay_alu instid0(VALU_DEP_2) | instskip(NEXT) | instid1(VALU_DEP_2)
	v_sub_nc_u32_e32 v9, v33, v5
	v_dual_cndmask_b32 v1, v1, v6 :: v_dual_and_b32 v6, 1, v15
	v_add_co_u32 v15, s0, s18, v17
	s_delay_alu instid0(VALU_DEP_3)
	v_add_nc_u32_e32 v9, 11, v9
	v_lshlrev_b32_e32 v2, 2, v2
	ds_store_b32 v3, v22
	ds_store_b32 v2, v23
	v_sub_nc_u32_e32 v3, v11, v17
	v_sub_nc_u32_e32 v2, v33, v4
	v_cmp_eq_u32_e32 vcc_lo, 1, v6
	v_and_b32_e32 v11, 1, v34
	v_lshlrev_b32_e32 v1, 2, v1
	v_sub_nc_u32_e32 v8, v33, v3
	v_add_nc_u32_e32 v2, 9, v2
	v_add_co_ci_u32_e64 v17, null, s19, 0, s0
	s_add_u32 s0, s16, s23
	s_delay_alu instid0(VALU_DEP_3)
	v_add_nc_u32_e32 v6, 10, v8
	v_and_b32_e32 v8, 1, v14
	v_cndmask_b32_e32 v2, v2, v4, vcc_lo
	v_sub_nc_u32_e32 v4, v33, v7
	s_addc_u32 s1, s17, 0
	s_sub_u32 s0, s12, s0
	v_cmp_eq_u32_e32 vcc_lo, 1, v8
	v_lshlrev_b32_e32 v2, 2, v2
	v_add_nc_u32_e32 v4, 12, v4
	s_subb_u32 s1, s13, s1
	v_add_co_u32 v13, s0, s0, v16
	v_cndmask_b32_e32 v3, v6, v3, vcc_lo
	v_cmp_eq_u32_e32 vcc_lo, 1, v10
	v_add_co_ci_u32_e64 v14, null, s1, 0, s0
	v_or_b32_e32 v34, 0x100, v0
	s_delay_alu instid0(VALU_DEP_4)
	v_lshlrev_b32_e32 v3, 2, v3
	v_cndmask_b32_e32 v5, v9, v5, vcc_lo
	v_cmp_eq_u32_e32 vcc_lo, 1, v11
	v_or_b32_e32 v33, 0x200, v0
	v_or_b32_e32 v23, 0xa00, v0
	;; [unrolled: 1-line block ×3, first 2 shown]
	v_dual_cndmask_b32 v4, v4, v7 :: v_dual_lshlrev_b32 v5, 2, v5
	v_cmp_ne_u32_e32 vcc_lo, 1, v31
	s_delay_alu instid0(VALU_DEP_2)
	v_lshlrev_b32_e32 v4, 2, v4
	ds_store_b32 v1, v20
	ds_store_b32 v2, v21
	ds_store_b32 v3, v18
	ds_store_b32 v5, v19
	ds_store_b32 v4, v32
	s_waitcnt lgkmcnt(0)
	s_barrier
	buffer_gl0_inv
	ds_load_2addr_stride64_b32 v[11:12], v30 offset1:4
	ds_load_2addr_stride64_b32 v[9:10], v30 offset0:8 offset1:12
	ds_load_2addr_stride64_b32 v[7:8], v30 offset0:16 offset1:20
	;; [unrolled: 1-line block ×5, first 2 shown]
	ds_load_b32 v18, v30 offset:12288
	v_add_co_u32 v20, s0, v13, v15
	v_or_b32_e32 v32, 0x300, v0
	v_or_b32_e32 v19, 0xc00, v0
	v_add_co_ci_u32_e64 v21, s0, v14, v17, s0
	s_mov_b32 s0, 0
	s_cbranch_vccnz .LBB1092_125
; %bb.72:
	s_mov_b32 s0, exec_lo
                                        ; implicit-def: $vgpr13_vgpr14
	v_cmpx_ge_u32_e64 v0, v16
	s_xor_b32 s0, exec_lo, s0
; %bb.73:
	v_not_b32_e32 v13, v0
	s_delay_alu instid0(VALU_DEP_1) | instskip(SKIP_1) | instid1(VALU_DEP_2)
	v_ashrrev_i32_e32 v14, 31, v13
	v_add_co_u32 v13, vcc_lo, v20, v13
	v_add_co_ci_u32_e32 v14, vcc_lo, v21, v14, vcc_lo
; %bb.74:
	s_and_not1_saveexec_b32 s0, s0
; %bb.75:
	v_add_co_u32 v13, vcc_lo, v15, v0
	v_add_co_ci_u32_e32 v14, vcc_lo, 0, v17, vcc_lo
; %bb.76:
	s_or_b32 exec_lo, exec_lo, s0
	s_delay_alu instid0(VALU_DEP_1) | instskip(SKIP_1) | instid1(VALU_DEP_1)
	v_lshlrev_b64 v[13:14], 2, v[13:14]
	s_mov_b32 s0, exec_lo
	v_add_co_u32 v13, vcc_lo, s10, v13
	s_delay_alu instid0(VALU_DEP_2)
	v_add_co_ci_u32_e32 v14, vcc_lo, s11, v14, vcc_lo
	s_waitcnt lgkmcnt(6)
	global_store_b32 v[13:14], v11, off
                                        ; implicit-def: $vgpr13_vgpr14
	v_cmpx_ge_u32_e64 v34, v16
	s_xor_b32 s0, exec_lo, s0
; %bb.77:
	v_xor_b32_e32 v13, 0xfffffeff, v0
	s_delay_alu instid0(VALU_DEP_1) | instskip(SKIP_1) | instid1(VALU_DEP_2)
	v_ashrrev_i32_e32 v14, 31, v13
	v_add_co_u32 v13, vcc_lo, v20, v13
	v_add_co_ci_u32_e32 v14, vcc_lo, v21, v14, vcc_lo
; %bb.78:
	s_and_not1_saveexec_b32 s0, s0
; %bb.79:
	v_add_co_u32 v13, vcc_lo, v15, v34
	v_add_co_ci_u32_e32 v14, vcc_lo, 0, v17, vcc_lo
; %bb.80:
	s_or_b32 exec_lo, exec_lo, s0
	s_delay_alu instid0(VALU_DEP_1) | instskip(SKIP_1) | instid1(VALU_DEP_1)
	v_lshlrev_b64 v[13:14], 2, v[13:14]
	s_mov_b32 s0, exec_lo
	v_add_co_u32 v13, vcc_lo, s10, v13
	s_delay_alu instid0(VALU_DEP_2)
	v_add_co_ci_u32_e32 v14, vcc_lo, s11, v14, vcc_lo
	global_store_b32 v[13:14], v12, off
                                        ; implicit-def: $vgpr13_vgpr14
	v_cmpx_ge_u32_e64 v33, v16
	s_xor_b32 s0, exec_lo, s0
; %bb.81:
	v_xor_b32_e32 v13, 0xfffffdff, v0
	s_delay_alu instid0(VALU_DEP_1) | instskip(SKIP_1) | instid1(VALU_DEP_2)
	v_ashrrev_i32_e32 v14, 31, v13
	v_add_co_u32 v13, vcc_lo, v20, v13
	v_add_co_ci_u32_e32 v14, vcc_lo, v21, v14, vcc_lo
; %bb.82:
	s_and_not1_saveexec_b32 s0, s0
; %bb.83:
	v_add_co_u32 v13, vcc_lo, v15, v33
	v_add_co_ci_u32_e32 v14, vcc_lo, 0, v17, vcc_lo
; %bb.84:
	s_or_b32 exec_lo, exec_lo, s0
	s_delay_alu instid0(VALU_DEP_1) | instskip(SKIP_1) | instid1(VALU_DEP_1)
	v_lshlrev_b64 v[13:14], 2, v[13:14]
	s_mov_b32 s0, exec_lo
	v_add_co_u32 v13, vcc_lo, s10, v13
	s_delay_alu instid0(VALU_DEP_2)
	v_add_co_ci_u32_e32 v14, vcc_lo, s11, v14, vcc_lo
	s_waitcnt lgkmcnt(5)
	global_store_b32 v[13:14], v9, off
                                        ; implicit-def: $vgpr13_vgpr14
	v_cmpx_ge_u32_e64 v32, v16
	s_xor_b32 s0, exec_lo, s0
; %bb.85:
	v_xor_b32_e32 v13, 0xfffffcff, v0
	s_delay_alu instid0(VALU_DEP_1) | instskip(SKIP_1) | instid1(VALU_DEP_2)
	v_ashrrev_i32_e32 v14, 31, v13
	v_add_co_u32 v13, vcc_lo, v20, v13
	v_add_co_ci_u32_e32 v14, vcc_lo, v21, v14, vcc_lo
; %bb.86:
	s_and_not1_saveexec_b32 s0, s0
; %bb.87:
	v_add_co_u32 v13, vcc_lo, v15, v32
	v_add_co_ci_u32_e32 v14, vcc_lo, 0, v17, vcc_lo
; %bb.88:
	s_or_b32 exec_lo, exec_lo, s0
	s_delay_alu instid0(VALU_DEP_1) | instskip(SKIP_1) | instid1(VALU_DEP_1)
	v_lshlrev_b64 v[13:14], 2, v[13:14]
	s_mov_b32 s0, exec_lo
	v_add_co_u32 v13, vcc_lo, s10, v13
	s_delay_alu instid0(VALU_DEP_2)
	v_add_co_ci_u32_e32 v14, vcc_lo, s11, v14, vcc_lo
	global_store_b32 v[13:14], v10, off
                                        ; implicit-def: $vgpr13_vgpr14
	v_cmpx_ge_u32_e64 v29, v16
	s_xor_b32 s0, exec_lo, s0
; %bb.89:
	v_xor_b32_e32 v13, 0xfffffbff, v0
	;; [unrolled: 47-line block ×6, first 2 shown]
	s_delay_alu instid0(VALU_DEP_1) | instskip(SKIP_1) | instid1(VALU_DEP_2)
	v_ashrrev_i32_e32 v14, 31, v13
	v_add_co_u32 v13, vcc_lo, v20, v13
	v_add_co_ci_u32_e32 v14, vcc_lo, v21, v14, vcc_lo
; %bb.122:
	s_and_not1_saveexec_b32 s0, s0
; %bb.123:
	v_add_co_u32 v13, vcc_lo, v15, v19
	v_add_co_ci_u32_e32 v14, vcc_lo, 0, v17, vcc_lo
; %bb.124:
	s_or_b32 exec_lo, exec_lo, s0
	s_mov_b32 s0, -1
	s_branch .LBB1092_205
.LBB1092_125:
                                        ; implicit-def: $vgpr13_vgpr14
	s_cbranch_execz .LBB1092_205
; %bb.126:
	s_mov_b32 s1, exec_lo
	v_cmpx_gt_u32_e64 s22, v0
	s_cbranch_execz .LBB1092_162
; %bb.127:
	s_mov_b32 s2, exec_lo
                                        ; implicit-def: $vgpr13_vgpr14
	v_cmpx_ge_u32_e64 v0, v16
	s_xor_b32 s2, exec_lo, s2
; %bb.128:
	v_not_b32_e32 v13, v0
	s_delay_alu instid0(VALU_DEP_1) | instskip(SKIP_1) | instid1(VALU_DEP_2)
	v_ashrrev_i32_e32 v14, 31, v13
	v_add_co_u32 v13, vcc_lo, v20, v13
	v_add_co_ci_u32_e32 v14, vcc_lo, v21, v14, vcc_lo
; %bb.129:
	s_and_not1_saveexec_b32 s2, s2
; %bb.130:
	v_add_co_u32 v13, vcc_lo, v15, v0
	v_add_co_ci_u32_e32 v14, vcc_lo, 0, v17, vcc_lo
; %bb.131:
	s_or_b32 exec_lo, exec_lo, s2
	s_delay_alu instid0(VALU_DEP_1) | instskip(NEXT) | instid1(VALU_DEP_1)
	v_lshlrev_b64 v[13:14], 2, v[13:14]
	v_add_co_u32 v13, vcc_lo, s10, v13
	s_delay_alu instid0(VALU_DEP_2) | instskip(SKIP_3) | instid1(SALU_CYCLE_1)
	v_add_co_ci_u32_e32 v14, vcc_lo, s11, v14, vcc_lo
	s_waitcnt lgkmcnt(6)
	global_store_b32 v[13:14], v11, off
	s_or_b32 exec_lo, exec_lo, s1
	s_mov_b32 s1, exec_lo
	v_cmpx_gt_u32_e64 s22, v34
	s_cbranch_execnz .LBB1092_163
.LBB1092_132:
	s_or_b32 exec_lo, exec_lo, s1
	s_delay_alu instid0(SALU_CYCLE_1)
	s_mov_b32 s1, exec_lo
	v_cmpx_gt_u32_e64 s22, v33
	s_cbranch_execz .LBB1092_168
.LBB1092_133:
	s_mov_b32 s2, exec_lo
                                        ; implicit-def: $vgpr11_vgpr12
	v_cmpx_ge_u32_e64 v33, v16
	s_xor_b32 s2, exec_lo, s2
	s_cbranch_execz .LBB1092_135
; %bb.134:
	s_waitcnt lgkmcnt(6)
	v_xor_b32_e32 v11, 0xfffffdff, v0
                                        ; implicit-def: $vgpr33
	s_delay_alu instid0(VALU_DEP_1) | instskip(SKIP_1) | instid1(VALU_DEP_2)
	v_ashrrev_i32_e32 v12, 31, v11
	v_add_co_u32 v11, vcc_lo, v20, v11
	v_add_co_ci_u32_e32 v12, vcc_lo, v21, v12, vcc_lo
.LBB1092_135:
	s_and_not1_saveexec_b32 s2, s2
	s_cbranch_execz .LBB1092_137
; %bb.136:
	s_waitcnt lgkmcnt(6)
	v_add_co_u32 v11, vcc_lo, v15, v33
	v_add_co_ci_u32_e32 v12, vcc_lo, 0, v17, vcc_lo
.LBB1092_137:
	s_or_b32 exec_lo, exec_lo, s2
	s_waitcnt lgkmcnt(6)
	s_delay_alu instid0(VALU_DEP_1) | instskip(NEXT) | instid1(VALU_DEP_1)
	v_lshlrev_b64 v[11:12], 2, v[11:12]
	v_add_co_u32 v11, vcc_lo, s10, v11
	s_delay_alu instid0(VALU_DEP_2) | instskip(SKIP_3) | instid1(SALU_CYCLE_1)
	v_add_co_ci_u32_e32 v12, vcc_lo, s11, v12, vcc_lo
	s_waitcnt lgkmcnt(5)
	global_store_b32 v[11:12], v9, off
	s_or_b32 exec_lo, exec_lo, s1
	s_mov_b32 s1, exec_lo
	v_cmpx_gt_u32_e64 s22, v32
	s_cbranch_execnz .LBB1092_169
.LBB1092_138:
	s_or_b32 exec_lo, exec_lo, s1
	s_delay_alu instid0(SALU_CYCLE_1)
	s_mov_b32 s1, exec_lo
	v_cmpx_gt_u32_e64 s22, v29
	s_cbranch_execz .LBB1092_174
.LBB1092_139:
	s_mov_b32 s2, exec_lo
                                        ; implicit-def: $vgpr9_vgpr10
	v_cmpx_ge_u32_e64 v29, v16
	s_xor_b32 s2, exec_lo, s2
	s_cbranch_execz .LBB1092_141
; %bb.140:
	s_waitcnt lgkmcnt(5)
	v_xor_b32_e32 v9, 0xfffffbff, v0
                                        ; implicit-def: $vgpr29
	s_delay_alu instid0(VALU_DEP_1) | instskip(SKIP_1) | instid1(VALU_DEP_2)
	v_ashrrev_i32_e32 v10, 31, v9
	v_add_co_u32 v9, vcc_lo, v20, v9
	v_add_co_ci_u32_e32 v10, vcc_lo, v21, v10, vcc_lo
.LBB1092_141:
	s_and_not1_saveexec_b32 s2, s2
	s_cbranch_execz .LBB1092_143
; %bb.142:
	s_waitcnt lgkmcnt(5)
	v_add_co_u32 v9, vcc_lo, v15, v29
	v_add_co_ci_u32_e32 v10, vcc_lo, 0, v17, vcc_lo
.LBB1092_143:
	s_or_b32 exec_lo, exec_lo, s2
	s_waitcnt lgkmcnt(5)
	s_delay_alu instid0(VALU_DEP_1) | instskip(NEXT) | instid1(VALU_DEP_1)
	v_lshlrev_b64 v[9:10], 2, v[9:10]
	v_add_co_u32 v9, vcc_lo, s10, v9
	s_delay_alu instid0(VALU_DEP_2) | instskip(SKIP_3) | instid1(SALU_CYCLE_1)
	v_add_co_ci_u32_e32 v10, vcc_lo, s11, v10, vcc_lo
	s_waitcnt lgkmcnt(4)
	global_store_b32 v[9:10], v7, off
	s_or_b32 exec_lo, exec_lo, s1
	s_mov_b32 s1, exec_lo
	v_cmpx_gt_u32_e64 s22, v28
	s_cbranch_execnz .LBB1092_175
.LBB1092_144:
	s_or_b32 exec_lo, exec_lo, s1
	s_delay_alu instid0(SALU_CYCLE_1)
	s_mov_b32 s1, exec_lo
	v_cmpx_gt_u32_e64 s22, v27
	s_cbranch_execz .LBB1092_180
.LBB1092_145:
	s_mov_b32 s2, exec_lo
                                        ; implicit-def: $vgpr7_vgpr8
	v_cmpx_ge_u32_e64 v27, v16
	s_xor_b32 s2, exec_lo, s2
	s_cbranch_execz .LBB1092_147
; %bb.146:
	s_waitcnt lgkmcnt(4)
	v_xor_b32_e32 v7, 0xfffff9ff, v0
                                        ; implicit-def: $vgpr27
	s_delay_alu instid0(VALU_DEP_1) | instskip(SKIP_1) | instid1(VALU_DEP_2)
	v_ashrrev_i32_e32 v8, 31, v7
	v_add_co_u32 v7, vcc_lo, v20, v7
	v_add_co_ci_u32_e32 v8, vcc_lo, v21, v8, vcc_lo
.LBB1092_147:
	s_and_not1_saveexec_b32 s2, s2
	s_cbranch_execz .LBB1092_149
; %bb.148:
	s_waitcnt lgkmcnt(4)
	v_add_co_u32 v7, vcc_lo, v15, v27
	v_add_co_ci_u32_e32 v8, vcc_lo, 0, v17, vcc_lo
.LBB1092_149:
	s_or_b32 exec_lo, exec_lo, s2
	s_waitcnt lgkmcnt(4)
	s_delay_alu instid0(VALU_DEP_1) | instskip(NEXT) | instid1(VALU_DEP_1)
	v_lshlrev_b64 v[7:8], 2, v[7:8]
	v_add_co_u32 v7, vcc_lo, s10, v7
	s_delay_alu instid0(VALU_DEP_2) | instskip(SKIP_3) | instid1(SALU_CYCLE_1)
	v_add_co_ci_u32_e32 v8, vcc_lo, s11, v8, vcc_lo
	s_waitcnt lgkmcnt(3)
	global_store_b32 v[7:8], v5, off
	s_or_b32 exec_lo, exec_lo, s1
	s_mov_b32 s1, exec_lo
	v_cmpx_gt_u32_e64 s22, v26
	s_cbranch_execnz .LBB1092_181
.LBB1092_150:
	s_or_b32 exec_lo, exec_lo, s1
	s_delay_alu instid0(SALU_CYCLE_1)
	s_mov_b32 s1, exec_lo
	v_cmpx_gt_u32_e64 s22, v25
	s_cbranch_execz .LBB1092_186
.LBB1092_151:
	s_mov_b32 s2, exec_lo
                                        ; implicit-def: $vgpr5_vgpr6
	v_cmpx_ge_u32_e64 v25, v16
	s_xor_b32 s2, exec_lo, s2
	s_cbranch_execz .LBB1092_153
; %bb.152:
	s_waitcnt lgkmcnt(3)
	v_xor_b32_e32 v5, 0xfffff7ff, v0
                                        ; implicit-def: $vgpr25
	s_delay_alu instid0(VALU_DEP_1) | instskip(SKIP_1) | instid1(VALU_DEP_2)
	v_ashrrev_i32_e32 v6, 31, v5
	v_add_co_u32 v5, vcc_lo, v20, v5
	v_add_co_ci_u32_e32 v6, vcc_lo, v21, v6, vcc_lo
.LBB1092_153:
	s_and_not1_saveexec_b32 s2, s2
	s_cbranch_execz .LBB1092_155
; %bb.154:
	s_waitcnt lgkmcnt(3)
	v_add_co_u32 v5, vcc_lo, v15, v25
	v_add_co_ci_u32_e32 v6, vcc_lo, 0, v17, vcc_lo
.LBB1092_155:
	s_or_b32 exec_lo, exec_lo, s2
	s_waitcnt lgkmcnt(3)
	s_delay_alu instid0(VALU_DEP_1) | instskip(NEXT) | instid1(VALU_DEP_1)
	v_lshlrev_b64 v[5:6], 2, v[5:6]
	v_add_co_u32 v5, vcc_lo, s10, v5
	s_delay_alu instid0(VALU_DEP_2) | instskip(SKIP_3) | instid1(SALU_CYCLE_1)
	v_add_co_ci_u32_e32 v6, vcc_lo, s11, v6, vcc_lo
	s_waitcnt lgkmcnt(2)
	global_store_b32 v[5:6], v3, off
	s_or_b32 exec_lo, exec_lo, s1
	s_mov_b32 s1, exec_lo
	v_cmpx_gt_u32_e64 s22, v24
	s_cbranch_execnz .LBB1092_187
.LBB1092_156:
	s_or_b32 exec_lo, exec_lo, s1
	s_delay_alu instid0(SALU_CYCLE_1)
	s_mov_b32 s1, exec_lo
	v_cmpx_gt_u32_e64 s22, v23
	s_cbranch_execz .LBB1092_192
.LBB1092_157:
	s_mov_b32 s2, exec_lo
                                        ; implicit-def: $vgpr3_vgpr4
	v_cmpx_ge_u32_e64 v23, v16
	s_xor_b32 s2, exec_lo, s2
	s_cbranch_execz .LBB1092_159
; %bb.158:
	s_waitcnt lgkmcnt(2)
	v_xor_b32_e32 v3, 0xfffff5ff, v0
                                        ; implicit-def: $vgpr23
	s_delay_alu instid0(VALU_DEP_1) | instskip(SKIP_1) | instid1(VALU_DEP_2)
	v_ashrrev_i32_e32 v4, 31, v3
	v_add_co_u32 v3, vcc_lo, v20, v3
	v_add_co_ci_u32_e32 v4, vcc_lo, v21, v4, vcc_lo
.LBB1092_159:
	s_and_not1_saveexec_b32 s2, s2
	s_cbranch_execz .LBB1092_161
; %bb.160:
	s_waitcnt lgkmcnt(2)
	v_add_co_u32 v3, vcc_lo, v15, v23
	v_add_co_ci_u32_e32 v4, vcc_lo, 0, v17, vcc_lo
.LBB1092_161:
	s_or_b32 exec_lo, exec_lo, s2
	s_waitcnt lgkmcnt(2)
	s_delay_alu instid0(VALU_DEP_1) | instskip(NEXT) | instid1(VALU_DEP_1)
	v_lshlrev_b64 v[3:4], 2, v[3:4]
	v_add_co_u32 v3, vcc_lo, s10, v3
	s_delay_alu instid0(VALU_DEP_2) | instskip(SKIP_3) | instid1(SALU_CYCLE_1)
	v_add_co_ci_u32_e32 v4, vcc_lo, s11, v4, vcc_lo
	s_waitcnt lgkmcnt(1)
	global_store_b32 v[3:4], v1, off
	s_or_b32 exec_lo, exec_lo, s1
	s_mov_b32 s1, exec_lo
	v_cmpx_gt_u32_e64 s22, v22
	s_cbranch_execz .LBB1092_198
	s_branch .LBB1092_193
.LBB1092_162:
	s_or_b32 exec_lo, exec_lo, s1
	s_delay_alu instid0(SALU_CYCLE_1)
	s_mov_b32 s1, exec_lo
	v_cmpx_gt_u32_e64 s22, v34
	s_cbranch_execz .LBB1092_132
.LBB1092_163:
	s_mov_b32 s2, exec_lo
                                        ; implicit-def: $vgpr13_vgpr14
	v_cmpx_ge_u32_e64 v34, v16
	s_xor_b32 s2, exec_lo, s2
	s_cbranch_execz .LBB1092_165
; %bb.164:
	s_waitcnt lgkmcnt(6)
	v_xor_b32_e32 v11, 0xfffffeff, v0
                                        ; implicit-def: $vgpr34
	s_delay_alu instid0(VALU_DEP_1) | instskip(SKIP_1) | instid1(VALU_DEP_2)
	v_ashrrev_i32_e32 v14, 31, v11
	v_add_co_u32 v13, vcc_lo, v20, v11
	v_add_co_ci_u32_e32 v14, vcc_lo, v21, v14, vcc_lo
.LBB1092_165:
	s_and_not1_saveexec_b32 s2, s2
; %bb.166:
	v_add_co_u32 v13, vcc_lo, v15, v34
	v_add_co_ci_u32_e32 v14, vcc_lo, 0, v17, vcc_lo
; %bb.167:
	s_or_b32 exec_lo, exec_lo, s2
	s_delay_alu instid0(VALU_DEP_1) | instskip(NEXT) | instid1(VALU_DEP_1)
	v_lshlrev_b64 v[13:14], 2, v[13:14]
	v_add_co_u32 v13, vcc_lo, s10, v13
	s_delay_alu instid0(VALU_DEP_2) | instskip(SKIP_3) | instid1(SALU_CYCLE_1)
	v_add_co_ci_u32_e32 v14, vcc_lo, s11, v14, vcc_lo
	s_waitcnt lgkmcnt(6)
	global_store_b32 v[13:14], v12, off
	s_or_b32 exec_lo, exec_lo, s1
	s_mov_b32 s1, exec_lo
	v_cmpx_gt_u32_e64 s22, v33
	s_cbranch_execnz .LBB1092_133
.LBB1092_168:
	s_or_b32 exec_lo, exec_lo, s1
	s_delay_alu instid0(SALU_CYCLE_1)
	s_mov_b32 s1, exec_lo
	v_cmpx_gt_u32_e64 s22, v32
	s_cbranch_execz .LBB1092_138
.LBB1092_169:
	s_mov_b32 s2, exec_lo
                                        ; implicit-def: $vgpr11_vgpr12
	v_cmpx_ge_u32_e64 v32, v16
	s_xor_b32 s2, exec_lo, s2
	s_cbranch_execz .LBB1092_171
; %bb.170:
	s_waitcnt lgkmcnt(5)
	v_xor_b32_e32 v9, 0xfffffcff, v0
                                        ; implicit-def: $vgpr32
	s_delay_alu instid0(VALU_DEP_1) | instskip(SKIP_1) | instid1(VALU_DEP_2)
	v_ashrrev_i32_e32 v12, 31, v9
	v_add_co_u32 v11, vcc_lo, v20, v9
	v_add_co_ci_u32_e32 v12, vcc_lo, v21, v12, vcc_lo
.LBB1092_171:
	s_and_not1_saveexec_b32 s2, s2
	s_cbranch_execz .LBB1092_173
; %bb.172:
	s_waitcnt lgkmcnt(6)
	v_add_co_u32 v11, vcc_lo, v15, v32
	v_add_co_ci_u32_e32 v12, vcc_lo, 0, v17, vcc_lo
.LBB1092_173:
	s_or_b32 exec_lo, exec_lo, s2
	s_waitcnt lgkmcnt(6)
	s_delay_alu instid0(VALU_DEP_1) | instskip(NEXT) | instid1(VALU_DEP_1)
	v_lshlrev_b64 v[11:12], 2, v[11:12]
	v_add_co_u32 v11, vcc_lo, s10, v11
	s_delay_alu instid0(VALU_DEP_2) | instskip(SKIP_3) | instid1(SALU_CYCLE_1)
	v_add_co_ci_u32_e32 v12, vcc_lo, s11, v12, vcc_lo
	s_waitcnt lgkmcnt(5)
	global_store_b32 v[11:12], v10, off
	s_or_b32 exec_lo, exec_lo, s1
	s_mov_b32 s1, exec_lo
	v_cmpx_gt_u32_e64 s22, v29
	s_cbranch_execnz .LBB1092_139
.LBB1092_174:
	s_or_b32 exec_lo, exec_lo, s1
	s_delay_alu instid0(SALU_CYCLE_1)
	s_mov_b32 s1, exec_lo
	v_cmpx_gt_u32_e64 s22, v28
	s_cbranch_execz .LBB1092_144
.LBB1092_175:
	s_mov_b32 s2, exec_lo
                                        ; implicit-def: $vgpr9_vgpr10
	v_cmpx_ge_u32_e64 v28, v16
	s_xor_b32 s2, exec_lo, s2
	s_cbranch_execz .LBB1092_177
; %bb.176:
	s_waitcnt lgkmcnt(4)
	v_xor_b32_e32 v7, 0xfffffaff, v0
                                        ; implicit-def: $vgpr28
	s_delay_alu instid0(VALU_DEP_1) | instskip(SKIP_1) | instid1(VALU_DEP_2)
	v_ashrrev_i32_e32 v10, 31, v7
	v_add_co_u32 v9, vcc_lo, v20, v7
	v_add_co_ci_u32_e32 v10, vcc_lo, v21, v10, vcc_lo
.LBB1092_177:
	s_and_not1_saveexec_b32 s2, s2
	s_cbranch_execz .LBB1092_179
; %bb.178:
	s_waitcnt lgkmcnt(5)
	v_add_co_u32 v9, vcc_lo, v15, v28
	v_add_co_ci_u32_e32 v10, vcc_lo, 0, v17, vcc_lo
.LBB1092_179:
	s_or_b32 exec_lo, exec_lo, s2
	s_waitcnt lgkmcnt(5)
	s_delay_alu instid0(VALU_DEP_1) | instskip(NEXT) | instid1(VALU_DEP_1)
	v_lshlrev_b64 v[9:10], 2, v[9:10]
	v_add_co_u32 v9, vcc_lo, s10, v9
	s_delay_alu instid0(VALU_DEP_2) | instskip(SKIP_3) | instid1(SALU_CYCLE_1)
	v_add_co_ci_u32_e32 v10, vcc_lo, s11, v10, vcc_lo
	s_waitcnt lgkmcnt(4)
	global_store_b32 v[9:10], v8, off
	s_or_b32 exec_lo, exec_lo, s1
	s_mov_b32 s1, exec_lo
	v_cmpx_gt_u32_e64 s22, v27
	s_cbranch_execnz .LBB1092_145
.LBB1092_180:
	s_or_b32 exec_lo, exec_lo, s1
	s_delay_alu instid0(SALU_CYCLE_1)
	s_mov_b32 s1, exec_lo
	v_cmpx_gt_u32_e64 s22, v26
	s_cbranch_execz .LBB1092_150
.LBB1092_181:
	s_mov_b32 s2, exec_lo
                                        ; implicit-def: $vgpr7_vgpr8
	v_cmpx_ge_u32_e64 v26, v16
	s_xor_b32 s2, exec_lo, s2
	s_cbranch_execz .LBB1092_183
; %bb.182:
	s_waitcnt lgkmcnt(3)
	v_xor_b32_e32 v5, 0xfffff8ff, v0
                                        ; implicit-def: $vgpr26
	s_delay_alu instid0(VALU_DEP_1) | instskip(SKIP_1) | instid1(VALU_DEP_2)
	v_ashrrev_i32_e32 v8, 31, v5
	v_add_co_u32 v7, vcc_lo, v20, v5
	v_add_co_ci_u32_e32 v8, vcc_lo, v21, v8, vcc_lo
.LBB1092_183:
	s_and_not1_saveexec_b32 s2, s2
	s_cbranch_execz .LBB1092_185
; %bb.184:
	s_waitcnt lgkmcnt(4)
	v_add_co_u32 v7, vcc_lo, v15, v26
	v_add_co_ci_u32_e32 v8, vcc_lo, 0, v17, vcc_lo
.LBB1092_185:
	s_or_b32 exec_lo, exec_lo, s2
	s_waitcnt lgkmcnt(4)
	s_delay_alu instid0(VALU_DEP_1) | instskip(NEXT) | instid1(VALU_DEP_1)
	v_lshlrev_b64 v[7:8], 2, v[7:8]
	v_add_co_u32 v7, vcc_lo, s10, v7
	s_delay_alu instid0(VALU_DEP_2) | instskip(SKIP_3) | instid1(SALU_CYCLE_1)
	v_add_co_ci_u32_e32 v8, vcc_lo, s11, v8, vcc_lo
	s_waitcnt lgkmcnt(3)
	global_store_b32 v[7:8], v6, off
	s_or_b32 exec_lo, exec_lo, s1
	s_mov_b32 s1, exec_lo
	v_cmpx_gt_u32_e64 s22, v25
	s_cbranch_execnz .LBB1092_151
.LBB1092_186:
	s_or_b32 exec_lo, exec_lo, s1
	s_delay_alu instid0(SALU_CYCLE_1)
	s_mov_b32 s1, exec_lo
	v_cmpx_gt_u32_e64 s22, v24
	s_cbranch_execz .LBB1092_156
.LBB1092_187:
	s_mov_b32 s2, exec_lo
                                        ; implicit-def: $vgpr5_vgpr6
	v_cmpx_ge_u32_e64 v24, v16
	s_xor_b32 s2, exec_lo, s2
	s_cbranch_execz .LBB1092_189
; %bb.188:
	s_waitcnt lgkmcnt(2)
	v_xor_b32_e32 v3, 0xfffff6ff, v0
                                        ; implicit-def: $vgpr24
	s_delay_alu instid0(VALU_DEP_1) | instskip(SKIP_1) | instid1(VALU_DEP_2)
	v_ashrrev_i32_e32 v6, 31, v3
	v_add_co_u32 v5, vcc_lo, v20, v3
	v_add_co_ci_u32_e32 v6, vcc_lo, v21, v6, vcc_lo
.LBB1092_189:
	s_and_not1_saveexec_b32 s2, s2
	s_cbranch_execz .LBB1092_191
; %bb.190:
	s_waitcnt lgkmcnt(3)
	v_add_co_u32 v5, vcc_lo, v15, v24
	v_add_co_ci_u32_e32 v6, vcc_lo, 0, v17, vcc_lo
.LBB1092_191:
	s_or_b32 exec_lo, exec_lo, s2
	s_waitcnt lgkmcnt(3)
	s_delay_alu instid0(VALU_DEP_1) | instskip(NEXT) | instid1(VALU_DEP_1)
	v_lshlrev_b64 v[5:6], 2, v[5:6]
	v_add_co_u32 v5, vcc_lo, s10, v5
	s_delay_alu instid0(VALU_DEP_2) | instskip(SKIP_3) | instid1(SALU_CYCLE_1)
	v_add_co_ci_u32_e32 v6, vcc_lo, s11, v6, vcc_lo
	s_waitcnt lgkmcnt(2)
	global_store_b32 v[5:6], v4, off
	s_or_b32 exec_lo, exec_lo, s1
	s_mov_b32 s1, exec_lo
	v_cmpx_gt_u32_e64 s22, v23
	s_cbranch_execnz .LBB1092_157
.LBB1092_192:
	s_or_b32 exec_lo, exec_lo, s1
	s_delay_alu instid0(SALU_CYCLE_1)
	s_mov_b32 s1, exec_lo
	v_cmpx_gt_u32_e64 s22, v22
	s_cbranch_execz .LBB1092_198
.LBB1092_193:
	s_mov_b32 s2, exec_lo
                                        ; implicit-def: $vgpr3_vgpr4
	v_cmpx_ge_u32_e64 v22, v16
	s_xor_b32 s2, exec_lo, s2
	s_cbranch_execz .LBB1092_195
; %bb.194:
	s_waitcnt lgkmcnt(1)
	v_xor_b32_e32 v1, 0xfffff4ff, v0
                                        ; implicit-def: $vgpr22
	s_delay_alu instid0(VALU_DEP_1) | instskip(SKIP_1) | instid1(VALU_DEP_2)
	v_ashrrev_i32_e32 v4, 31, v1
	v_add_co_u32 v3, vcc_lo, v20, v1
	v_add_co_ci_u32_e32 v4, vcc_lo, v21, v4, vcc_lo
.LBB1092_195:
	s_and_not1_saveexec_b32 s2, s2
	s_cbranch_execz .LBB1092_197
; %bb.196:
	s_waitcnt lgkmcnt(2)
	v_add_co_u32 v3, vcc_lo, v15, v22
	v_add_co_ci_u32_e32 v4, vcc_lo, 0, v17, vcc_lo
.LBB1092_197:
	s_or_b32 exec_lo, exec_lo, s2
	s_waitcnt lgkmcnt(2)
	s_delay_alu instid0(VALU_DEP_1) | instskip(NEXT) | instid1(VALU_DEP_1)
	v_lshlrev_b64 v[3:4], 2, v[3:4]
	v_add_co_u32 v3, vcc_lo, s10, v3
	s_delay_alu instid0(VALU_DEP_2)
	v_add_co_ci_u32_e32 v4, vcc_lo, s11, v4, vcc_lo
	s_waitcnt lgkmcnt(1)
	global_store_b32 v[3:4], v2, off
.LBB1092_198:
	s_or_b32 exec_lo, exec_lo, s1
	s_delay_alu instid0(SALU_CYCLE_1)
	s_mov_b32 s1, exec_lo
                                        ; implicit-def: $vgpr13_vgpr14
	v_cmpx_gt_u32_e64 s22, v19
	s_cbranch_execz .LBB1092_204
; %bb.199:
	s_mov_b32 s2, exec_lo
                                        ; implicit-def: $vgpr13_vgpr14
	v_cmpx_ge_u32_e64 v19, v16
	s_xor_b32 s2, exec_lo, s2
	s_cbranch_execz .LBB1092_201
; %bb.200:
	s_waitcnt lgkmcnt(1)
	v_xor_b32_e32 v1, 0xfffff3ff, v0
                                        ; implicit-def: $vgpr19
	s_delay_alu instid0(VALU_DEP_1) | instskip(SKIP_1) | instid1(VALU_DEP_2)
	v_ashrrev_i32_e32 v2, 31, v1
	v_add_co_u32 v13, vcc_lo, v20, v1
	v_add_co_ci_u32_e32 v14, vcc_lo, v21, v2, vcc_lo
.LBB1092_201:
	s_and_not1_saveexec_b32 s2, s2
; %bb.202:
	v_add_co_u32 v13, vcc_lo, v15, v19
	v_add_co_ci_u32_e32 v14, vcc_lo, 0, v17, vcc_lo
; %bb.203:
	s_or_b32 exec_lo, exec_lo, s2
	s_delay_alu instid0(SALU_CYCLE_1)
	s_or_b32 s0, s0, exec_lo
.LBB1092_204:
	s_or_b32 exec_lo, exec_lo, s1
.LBB1092_205:
	s_and_saveexec_b32 s1, s0
	s_cbranch_execz .LBB1092_207
; %bb.206:
	s_waitcnt lgkmcnt(1)
	v_lshlrev_b64 v[1:2], 2, v[13:14]
	s_delay_alu instid0(VALU_DEP_1) | instskip(NEXT) | instid1(VALU_DEP_2)
	v_add_co_u32 v1, vcc_lo, s10, v1
	v_add_co_ci_u32_e32 v2, vcc_lo, s11, v2, vcc_lo
	s_waitcnt lgkmcnt(0)
	global_store_b32 v[1:2], v18, off
.LBB1092_207:
	s_or_b32 exec_lo, exec_lo, s1
	v_cmp_eq_u32_e32 vcc_lo, 0, v0
	s_and_b32 s0, vcc_lo, s14
	s_delay_alu instid0(SALU_CYCLE_1)
	s_and_saveexec_b32 s1, s0
	s_cbranch_execz .LBB1092_209
; %bb.208:
	v_add_co_u32 v0, vcc_lo, v15, v16
	s_waitcnt lgkmcnt(1)
	v_mov_b32_e32 v2, 0
	v_add_co_ci_u32_e32 v1, vcc_lo, 0, v17, vcc_lo
	global_store_b64 v2, v[0:1], s[8:9]
.LBB1092_209:
	s_nop 0
	s_sendmsg sendmsg(MSG_DEALLOC_VGPRS)
	s_endpgm
	.section	.rodata,"a",@progbits
	.p2align	6, 0x0
	.amdhsa_kernel _ZN7rocprim17ROCPRIM_400000_NS6detail17trampoline_kernelINS0_13select_configILj256ELj13ELNS0_17block_load_methodE3ELS4_3ELS4_3ELNS0_20block_scan_algorithmE0ELj4294967295EEENS1_25partition_config_selectorILNS1_17partition_subalgoE3EjNS0_10empty_typeEbEEZZNS1_14partition_implILS8_3ELb0ES6_jNS0_17counting_iteratorIjlEEPS9_SE_NS0_5tupleIJPjSE_EEENSF_IJSE_SE_EEES9_SG_JZNS1_25segmented_radix_sort_implINS0_14default_configELb1EPKdPdPKlPlN2at6native12_GLOBAL__N_18offset_tEEE10hipError_tPvRmT1_PNSt15iterator_traitsISY_E10value_typeET2_T3_PNSZ_IS14_E10value_typeET4_jRbjT5_S1A_jjP12ihipStream_tbEUljE_EEESV_SW_SX_S14_S18_S1A_T6_T7_T9_mT8_S1C_bDpT10_ENKUlT_T0_E_clISt17integral_constantIbLb0EES1P_EEDaS1K_S1L_EUlS1K_E_NS1_11comp_targetILNS1_3genE9ELNS1_11target_archE1100ELNS1_3gpuE3ELNS1_3repE0EEENS1_30default_config_static_selectorELNS0_4arch9wavefront6targetE0EEEvSY_
		.amdhsa_group_segment_fixed_size 13324
		.amdhsa_private_segment_fixed_size 0
		.amdhsa_kernarg_size 144
		.amdhsa_user_sgpr_count 15
		.amdhsa_user_sgpr_dispatch_ptr 0
		.amdhsa_user_sgpr_queue_ptr 0
		.amdhsa_user_sgpr_kernarg_segment_ptr 1
		.amdhsa_user_sgpr_dispatch_id 0
		.amdhsa_user_sgpr_private_segment_size 0
		.amdhsa_wavefront_size32 1
		.amdhsa_uses_dynamic_stack 0
		.amdhsa_enable_private_segment 0
		.amdhsa_system_sgpr_workgroup_id_x 1
		.amdhsa_system_sgpr_workgroup_id_y 0
		.amdhsa_system_sgpr_workgroup_id_z 0
		.amdhsa_system_sgpr_workgroup_info 0
		.amdhsa_system_vgpr_workitem_id 0
		.amdhsa_next_free_vgpr 57
		.amdhsa_next_free_sgpr 28
		.amdhsa_reserve_vcc 1
		.amdhsa_float_round_mode_32 0
		.amdhsa_float_round_mode_16_64 0
		.amdhsa_float_denorm_mode_32 3
		.amdhsa_float_denorm_mode_16_64 3
		.amdhsa_dx10_clamp 1
		.amdhsa_ieee_mode 1
		.amdhsa_fp16_overflow 0
		.amdhsa_workgroup_processor_mode 1
		.amdhsa_memory_ordered 1
		.amdhsa_forward_progress 0
		.amdhsa_shared_vgpr_count 0
		.amdhsa_exception_fp_ieee_invalid_op 0
		.amdhsa_exception_fp_denorm_src 0
		.amdhsa_exception_fp_ieee_div_zero 0
		.amdhsa_exception_fp_ieee_overflow 0
		.amdhsa_exception_fp_ieee_underflow 0
		.amdhsa_exception_fp_ieee_inexact 0
		.amdhsa_exception_int_div_zero 0
	.end_amdhsa_kernel
	.section	.text._ZN7rocprim17ROCPRIM_400000_NS6detail17trampoline_kernelINS0_13select_configILj256ELj13ELNS0_17block_load_methodE3ELS4_3ELS4_3ELNS0_20block_scan_algorithmE0ELj4294967295EEENS1_25partition_config_selectorILNS1_17partition_subalgoE3EjNS0_10empty_typeEbEEZZNS1_14partition_implILS8_3ELb0ES6_jNS0_17counting_iteratorIjlEEPS9_SE_NS0_5tupleIJPjSE_EEENSF_IJSE_SE_EEES9_SG_JZNS1_25segmented_radix_sort_implINS0_14default_configELb1EPKdPdPKlPlN2at6native12_GLOBAL__N_18offset_tEEE10hipError_tPvRmT1_PNSt15iterator_traitsISY_E10value_typeET2_T3_PNSZ_IS14_E10value_typeET4_jRbjT5_S1A_jjP12ihipStream_tbEUljE_EEESV_SW_SX_S14_S18_S1A_T6_T7_T9_mT8_S1C_bDpT10_ENKUlT_T0_E_clISt17integral_constantIbLb0EES1P_EEDaS1K_S1L_EUlS1K_E_NS1_11comp_targetILNS1_3genE9ELNS1_11target_archE1100ELNS1_3gpuE3ELNS1_3repE0EEENS1_30default_config_static_selectorELNS0_4arch9wavefront6targetE0EEEvSY_,"axG",@progbits,_ZN7rocprim17ROCPRIM_400000_NS6detail17trampoline_kernelINS0_13select_configILj256ELj13ELNS0_17block_load_methodE3ELS4_3ELS4_3ELNS0_20block_scan_algorithmE0ELj4294967295EEENS1_25partition_config_selectorILNS1_17partition_subalgoE3EjNS0_10empty_typeEbEEZZNS1_14partition_implILS8_3ELb0ES6_jNS0_17counting_iteratorIjlEEPS9_SE_NS0_5tupleIJPjSE_EEENSF_IJSE_SE_EEES9_SG_JZNS1_25segmented_radix_sort_implINS0_14default_configELb1EPKdPdPKlPlN2at6native12_GLOBAL__N_18offset_tEEE10hipError_tPvRmT1_PNSt15iterator_traitsISY_E10value_typeET2_T3_PNSZ_IS14_E10value_typeET4_jRbjT5_S1A_jjP12ihipStream_tbEUljE_EEESV_SW_SX_S14_S18_S1A_T6_T7_T9_mT8_S1C_bDpT10_ENKUlT_T0_E_clISt17integral_constantIbLb0EES1P_EEDaS1K_S1L_EUlS1K_E_NS1_11comp_targetILNS1_3genE9ELNS1_11target_archE1100ELNS1_3gpuE3ELNS1_3repE0EEENS1_30default_config_static_selectorELNS0_4arch9wavefront6targetE0EEEvSY_,comdat
.Lfunc_end1092:
	.size	_ZN7rocprim17ROCPRIM_400000_NS6detail17trampoline_kernelINS0_13select_configILj256ELj13ELNS0_17block_load_methodE3ELS4_3ELS4_3ELNS0_20block_scan_algorithmE0ELj4294967295EEENS1_25partition_config_selectorILNS1_17partition_subalgoE3EjNS0_10empty_typeEbEEZZNS1_14partition_implILS8_3ELb0ES6_jNS0_17counting_iteratorIjlEEPS9_SE_NS0_5tupleIJPjSE_EEENSF_IJSE_SE_EEES9_SG_JZNS1_25segmented_radix_sort_implINS0_14default_configELb1EPKdPdPKlPlN2at6native12_GLOBAL__N_18offset_tEEE10hipError_tPvRmT1_PNSt15iterator_traitsISY_E10value_typeET2_T3_PNSZ_IS14_E10value_typeET4_jRbjT5_S1A_jjP12ihipStream_tbEUljE_EEESV_SW_SX_S14_S18_S1A_T6_T7_T9_mT8_S1C_bDpT10_ENKUlT_T0_E_clISt17integral_constantIbLb0EES1P_EEDaS1K_S1L_EUlS1K_E_NS1_11comp_targetILNS1_3genE9ELNS1_11target_archE1100ELNS1_3gpuE3ELNS1_3repE0EEENS1_30default_config_static_selectorELNS0_4arch9wavefront6targetE0EEEvSY_, .Lfunc_end1092-_ZN7rocprim17ROCPRIM_400000_NS6detail17trampoline_kernelINS0_13select_configILj256ELj13ELNS0_17block_load_methodE3ELS4_3ELS4_3ELNS0_20block_scan_algorithmE0ELj4294967295EEENS1_25partition_config_selectorILNS1_17partition_subalgoE3EjNS0_10empty_typeEbEEZZNS1_14partition_implILS8_3ELb0ES6_jNS0_17counting_iteratorIjlEEPS9_SE_NS0_5tupleIJPjSE_EEENSF_IJSE_SE_EEES9_SG_JZNS1_25segmented_radix_sort_implINS0_14default_configELb1EPKdPdPKlPlN2at6native12_GLOBAL__N_18offset_tEEE10hipError_tPvRmT1_PNSt15iterator_traitsISY_E10value_typeET2_T3_PNSZ_IS14_E10value_typeET4_jRbjT5_S1A_jjP12ihipStream_tbEUljE_EEESV_SW_SX_S14_S18_S1A_T6_T7_T9_mT8_S1C_bDpT10_ENKUlT_T0_E_clISt17integral_constantIbLb0EES1P_EEDaS1K_S1L_EUlS1K_E_NS1_11comp_targetILNS1_3genE9ELNS1_11target_archE1100ELNS1_3gpuE3ELNS1_3repE0EEENS1_30default_config_static_selectorELNS0_4arch9wavefront6targetE0EEEvSY_
                                        ; -- End function
	.section	.AMDGPU.csdata,"",@progbits
; Kernel info:
; codeLenInByte = 8864
; NumSgprs: 30
; NumVgprs: 57
; ScratchSize: 0
; MemoryBound: 0
; FloatMode: 240
; IeeeMode: 1
; LDSByteSize: 13324 bytes/workgroup (compile time only)
; SGPRBlocks: 3
; VGPRBlocks: 7
; NumSGPRsForWavesPerEU: 30
; NumVGPRsForWavesPerEU: 57
; Occupancy: 16
; WaveLimiterHint : 0
; COMPUTE_PGM_RSRC2:SCRATCH_EN: 0
; COMPUTE_PGM_RSRC2:USER_SGPR: 15
; COMPUTE_PGM_RSRC2:TRAP_HANDLER: 0
; COMPUTE_PGM_RSRC2:TGID_X_EN: 1
; COMPUTE_PGM_RSRC2:TGID_Y_EN: 0
; COMPUTE_PGM_RSRC2:TGID_Z_EN: 0
; COMPUTE_PGM_RSRC2:TIDIG_COMP_CNT: 0
	.section	.text._ZN7rocprim17ROCPRIM_400000_NS6detail17trampoline_kernelINS0_13select_configILj256ELj13ELNS0_17block_load_methodE3ELS4_3ELS4_3ELNS0_20block_scan_algorithmE0ELj4294967295EEENS1_25partition_config_selectorILNS1_17partition_subalgoE3EjNS0_10empty_typeEbEEZZNS1_14partition_implILS8_3ELb0ES6_jNS0_17counting_iteratorIjlEEPS9_SE_NS0_5tupleIJPjSE_EEENSF_IJSE_SE_EEES9_SG_JZNS1_25segmented_radix_sort_implINS0_14default_configELb1EPKdPdPKlPlN2at6native12_GLOBAL__N_18offset_tEEE10hipError_tPvRmT1_PNSt15iterator_traitsISY_E10value_typeET2_T3_PNSZ_IS14_E10value_typeET4_jRbjT5_S1A_jjP12ihipStream_tbEUljE_EEESV_SW_SX_S14_S18_S1A_T6_T7_T9_mT8_S1C_bDpT10_ENKUlT_T0_E_clISt17integral_constantIbLb0EES1P_EEDaS1K_S1L_EUlS1K_E_NS1_11comp_targetILNS1_3genE8ELNS1_11target_archE1030ELNS1_3gpuE2ELNS1_3repE0EEENS1_30default_config_static_selectorELNS0_4arch9wavefront6targetE0EEEvSY_,"axG",@progbits,_ZN7rocprim17ROCPRIM_400000_NS6detail17trampoline_kernelINS0_13select_configILj256ELj13ELNS0_17block_load_methodE3ELS4_3ELS4_3ELNS0_20block_scan_algorithmE0ELj4294967295EEENS1_25partition_config_selectorILNS1_17partition_subalgoE3EjNS0_10empty_typeEbEEZZNS1_14partition_implILS8_3ELb0ES6_jNS0_17counting_iteratorIjlEEPS9_SE_NS0_5tupleIJPjSE_EEENSF_IJSE_SE_EEES9_SG_JZNS1_25segmented_radix_sort_implINS0_14default_configELb1EPKdPdPKlPlN2at6native12_GLOBAL__N_18offset_tEEE10hipError_tPvRmT1_PNSt15iterator_traitsISY_E10value_typeET2_T3_PNSZ_IS14_E10value_typeET4_jRbjT5_S1A_jjP12ihipStream_tbEUljE_EEESV_SW_SX_S14_S18_S1A_T6_T7_T9_mT8_S1C_bDpT10_ENKUlT_T0_E_clISt17integral_constantIbLb0EES1P_EEDaS1K_S1L_EUlS1K_E_NS1_11comp_targetILNS1_3genE8ELNS1_11target_archE1030ELNS1_3gpuE2ELNS1_3repE0EEENS1_30default_config_static_selectorELNS0_4arch9wavefront6targetE0EEEvSY_,comdat
	.globl	_ZN7rocprim17ROCPRIM_400000_NS6detail17trampoline_kernelINS0_13select_configILj256ELj13ELNS0_17block_load_methodE3ELS4_3ELS4_3ELNS0_20block_scan_algorithmE0ELj4294967295EEENS1_25partition_config_selectorILNS1_17partition_subalgoE3EjNS0_10empty_typeEbEEZZNS1_14partition_implILS8_3ELb0ES6_jNS0_17counting_iteratorIjlEEPS9_SE_NS0_5tupleIJPjSE_EEENSF_IJSE_SE_EEES9_SG_JZNS1_25segmented_radix_sort_implINS0_14default_configELb1EPKdPdPKlPlN2at6native12_GLOBAL__N_18offset_tEEE10hipError_tPvRmT1_PNSt15iterator_traitsISY_E10value_typeET2_T3_PNSZ_IS14_E10value_typeET4_jRbjT5_S1A_jjP12ihipStream_tbEUljE_EEESV_SW_SX_S14_S18_S1A_T6_T7_T9_mT8_S1C_bDpT10_ENKUlT_T0_E_clISt17integral_constantIbLb0EES1P_EEDaS1K_S1L_EUlS1K_E_NS1_11comp_targetILNS1_3genE8ELNS1_11target_archE1030ELNS1_3gpuE2ELNS1_3repE0EEENS1_30default_config_static_selectorELNS0_4arch9wavefront6targetE0EEEvSY_ ; -- Begin function _ZN7rocprim17ROCPRIM_400000_NS6detail17trampoline_kernelINS0_13select_configILj256ELj13ELNS0_17block_load_methodE3ELS4_3ELS4_3ELNS0_20block_scan_algorithmE0ELj4294967295EEENS1_25partition_config_selectorILNS1_17partition_subalgoE3EjNS0_10empty_typeEbEEZZNS1_14partition_implILS8_3ELb0ES6_jNS0_17counting_iteratorIjlEEPS9_SE_NS0_5tupleIJPjSE_EEENSF_IJSE_SE_EEES9_SG_JZNS1_25segmented_radix_sort_implINS0_14default_configELb1EPKdPdPKlPlN2at6native12_GLOBAL__N_18offset_tEEE10hipError_tPvRmT1_PNSt15iterator_traitsISY_E10value_typeET2_T3_PNSZ_IS14_E10value_typeET4_jRbjT5_S1A_jjP12ihipStream_tbEUljE_EEESV_SW_SX_S14_S18_S1A_T6_T7_T9_mT8_S1C_bDpT10_ENKUlT_T0_E_clISt17integral_constantIbLb0EES1P_EEDaS1K_S1L_EUlS1K_E_NS1_11comp_targetILNS1_3genE8ELNS1_11target_archE1030ELNS1_3gpuE2ELNS1_3repE0EEENS1_30default_config_static_selectorELNS0_4arch9wavefront6targetE0EEEvSY_
	.p2align	8
	.type	_ZN7rocprim17ROCPRIM_400000_NS6detail17trampoline_kernelINS0_13select_configILj256ELj13ELNS0_17block_load_methodE3ELS4_3ELS4_3ELNS0_20block_scan_algorithmE0ELj4294967295EEENS1_25partition_config_selectorILNS1_17partition_subalgoE3EjNS0_10empty_typeEbEEZZNS1_14partition_implILS8_3ELb0ES6_jNS0_17counting_iteratorIjlEEPS9_SE_NS0_5tupleIJPjSE_EEENSF_IJSE_SE_EEES9_SG_JZNS1_25segmented_radix_sort_implINS0_14default_configELb1EPKdPdPKlPlN2at6native12_GLOBAL__N_18offset_tEEE10hipError_tPvRmT1_PNSt15iterator_traitsISY_E10value_typeET2_T3_PNSZ_IS14_E10value_typeET4_jRbjT5_S1A_jjP12ihipStream_tbEUljE_EEESV_SW_SX_S14_S18_S1A_T6_T7_T9_mT8_S1C_bDpT10_ENKUlT_T0_E_clISt17integral_constantIbLb0EES1P_EEDaS1K_S1L_EUlS1K_E_NS1_11comp_targetILNS1_3genE8ELNS1_11target_archE1030ELNS1_3gpuE2ELNS1_3repE0EEENS1_30default_config_static_selectorELNS0_4arch9wavefront6targetE0EEEvSY_,@function
_ZN7rocprim17ROCPRIM_400000_NS6detail17trampoline_kernelINS0_13select_configILj256ELj13ELNS0_17block_load_methodE3ELS4_3ELS4_3ELNS0_20block_scan_algorithmE0ELj4294967295EEENS1_25partition_config_selectorILNS1_17partition_subalgoE3EjNS0_10empty_typeEbEEZZNS1_14partition_implILS8_3ELb0ES6_jNS0_17counting_iteratorIjlEEPS9_SE_NS0_5tupleIJPjSE_EEENSF_IJSE_SE_EEES9_SG_JZNS1_25segmented_radix_sort_implINS0_14default_configELb1EPKdPdPKlPlN2at6native12_GLOBAL__N_18offset_tEEE10hipError_tPvRmT1_PNSt15iterator_traitsISY_E10value_typeET2_T3_PNSZ_IS14_E10value_typeET4_jRbjT5_S1A_jjP12ihipStream_tbEUljE_EEESV_SW_SX_S14_S18_S1A_T6_T7_T9_mT8_S1C_bDpT10_ENKUlT_T0_E_clISt17integral_constantIbLb0EES1P_EEDaS1K_S1L_EUlS1K_E_NS1_11comp_targetILNS1_3genE8ELNS1_11target_archE1030ELNS1_3gpuE2ELNS1_3repE0EEENS1_30default_config_static_selectorELNS0_4arch9wavefront6targetE0EEEvSY_: ; @_ZN7rocprim17ROCPRIM_400000_NS6detail17trampoline_kernelINS0_13select_configILj256ELj13ELNS0_17block_load_methodE3ELS4_3ELS4_3ELNS0_20block_scan_algorithmE0ELj4294967295EEENS1_25partition_config_selectorILNS1_17partition_subalgoE3EjNS0_10empty_typeEbEEZZNS1_14partition_implILS8_3ELb0ES6_jNS0_17counting_iteratorIjlEEPS9_SE_NS0_5tupleIJPjSE_EEENSF_IJSE_SE_EEES9_SG_JZNS1_25segmented_radix_sort_implINS0_14default_configELb1EPKdPdPKlPlN2at6native12_GLOBAL__N_18offset_tEEE10hipError_tPvRmT1_PNSt15iterator_traitsISY_E10value_typeET2_T3_PNSZ_IS14_E10value_typeET4_jRbjT5_S1A_jjP12ihipStream_tbEUljE_EEESV_SW_SX_S14_S18_S1A_T6_T7_T9_mT8_S1C_bDpT10_ENKUlT_T0_E_clISt17integral_constantIbLb0EES1P_EEDaS1K_S1L_EUlS1K_E_NS1_11comp_targetILNS1_3genE8ELNS1_11target_archE1030ELNS1_3gpuE2ELNS1_3repE0EEENS1_30default_config_static_selectorELNS0_4arch9wavefront6targetE0EEEvSY_
; %bb.0:
	.section	.rodata,"a",@progbits
	.p2align	6, 0x0
	.amdhsa_kernel _ZN7rocprim17ROCPRIM_400000_NS6detail17trampoline_kernelINS0_13select_configILj256ELj13ELNS0_17block_load_methodE3ELS4_3ELS4_3ELNS0_20block_scan_algorithmE0ELj4294967295EEENS1_25partition_config_selectorILNS1_17partition_subalgoE3EjNS0_10empty_typeEbEEZZNS1_14partition_implILS8_3ELb0ES6_jNS0_17counting_iteratorIjlEEPS9_SE_NS0_5tupleIJPjSE_EEENSF_IJSE_SE_EEES9_SG_JZNS1_25segmented_radix_sort_implINS0_14default_configELb1EPKdPdPKlPlN2at6native12_GLOBAL__N_18offset_tEEE10hipError_tPvRmT1_PNSt15iterator_traitsISY_E10value_typeET2_T3_PNSZ_IS14_E10value_typeET4_jRbjT5_S1A_jjP12ihipStream_tbEUljE_EEESV_SW_SX_S14_S18_S1A_T6_T7_T9_mT8_S1C_bDpT10_ENKUlT_T0_E_clISt17integral_constantIbLb0EES1P_EEDaS1K_S1L_EUlS1K_E_NS1_11comp_targetILNS1_3genE8ELNS1_11target_archE1030ELNS1_3gpuE2ELNS1_3repE0EEENS1_30default_config_static_selectorELNS0_4arch9wavefront6targetE0EEEvSY_
		.amdhsa_group_segment_fixed_size 0
		.amdhsa_private_segment_fixed_size 0
		.amdhsa_kernarg_size 144
		.amdhsa_user_sgpr_count 15
		.amdhsa_user_sgpr_dispatch_ptr 0
		.amdhsa_user_sgpr_queue_ptr 0
		.amdhsa_user_sgpr_kernarg_segment_ptr 1
		.amdhsa_user_sgpr_dispatch_id 0
		.amdhsa_user_sgpr_private_segment_size 0
		.amdhsa_wavefront_size32 1
		.amdhsa_uses_dynamic_stack 0
		.amdhsa_enable_private_segment 0
		.amdhsa_system_sgpr_workgroup_id_x 1
		.amdhsa_system_sgpr_workgroup_id_y 0
		.amdhsa_system_sgpr_workgroup_id_z 0
		.amdhsa_system_sgpr_workgroup_info 0
		.amdhsa_system_vgpr_workitem_id 0
		.amdhsa_next_free_vgpr 1
		.amdhsa_next_free_sgpr 1
		.amdhsa_reserve_vcc 0
		.amdhsa_float_round_mode_32 0
		.amdhsa_float_round_mode_16_64 0
		.amdhsa_float_denorm_mode_32 3
		.amdhsa_float_denorm_mode_16_64 3
		.amdhsa_dx10_clamp 1
		.amdhsa_ieee_mode 1
		.amdhsa_fp16_overflow 0
		.amdhsa_workgroup_processor_mode 1
		.amdhsa_memory_ordered 1
		.amdhsa_forward_progress 0
		.amdhsa_shared_vgpr_count 0
		.amdhsa_exception_fp_ieee_invalid_op 0
		.amdhsa_exception_fp_denorm_src 0
		.amdhsa_exception_fp_ieee_div_zero 0
		.amdhsa_exception_fp_ieee_overflow 0
		.amdhsa_exception_fp_ieee_underflow 0
		.amdhsa_exception_fp_ieee_inexact 0
		.amdhsa_exception_int_div_zero 0
	.end_amdhsa_kernel
	.section	.text._ZN7rocprim17ROCPRIM_400000_NS6detail17trampoline_kernelINS0_13select_configILj256ELj13ELNS0_17block_load_methodE3ELS4_3ELS4_3ELNS0_20block_scan_algorithmE0ELj4294967295EEENS1_25partition_config_selectorILNS1_17partition_subalgoE3EjNS0_10empty_typeEbEEZZNS1_14partition_implILS8_3ELb0ES6_jNS0_17counting_iteratorIjlEEPS9_SE_NS0_5tupleIJPjSE_EEENSF_IJSE_SE_EEES9_SG_JZNS1_25segmented_radix_sort_implINS0_14default_configELb1EPKdPdPKlPlN2at6native12_GLOBAL__N_18offset_tEEE10hipError_tPvRmT1_PNSt15iterator_traitsISY_E10value_typeET2_T3_PNSZ_IS14_E10value_typeET4_jRbjT5_S1A_jjP12ihipStream_tbEUljE_EEESV_SW_SX_S14_S18_S1A_T6_T7_T9_mT8_S1C_bDpT10_ENKUlT_T0_E_clISt17integral_constantIbLb0EES1P_EEDaS1K_S1L_EUlS1K_E_NS1_11comp_targetILNS1_3genE8ELNS1_11target_archE1030ELNS1_3gpuE2ELNS1_3repE0EEENS1_30default_config_static_selectorELNS0_4arch9wavefront6targetE0EEEvSY_,"axG",@progbits,_ZN7rocprim17ROCPRIM_400000_NS6detail17trampoline_kernelINS0_13select_configILj256ELj13ELNS0_17block_load_methodE3ELS4_3ELS4_3ELNS0_20block_scan_algorithmE0ELj4294967295EEENS1_25partition_config_selectorILNS1_17partition_subalgoE3EjNS0_10empty_typeEbEEZZNS1_14partition_implILS8_3ELb0ES6_jNS0_17counting_iteratorIjlEEPS9_SE_NS0_5tupleIJPjSE_EEENSF_IJSE_SE_EEES9_SG_JZNS1_25segmented_radix_sort_implINS0_14default_configELb1EPKdPdPKlPlN2at6native12_GLOBAL__N_18offset_tEEE10hipError_tPvRmT1_PNSt15iterator_traitsISY_E10value_typeET2_T3_PNSZ_IS14_E10value_typeET4_jRbjT5_S1A_jjP12ihipStream_tbEUljE_EEESV_SW_SX_S14_S18_S1A_T6_T7_T9_mT8_S1C_bDpT10_ENKUlT_T0_E_clISt17integral_constantIbLb0EES1P_EEDaS1K_S1L_EUlS1K_E_NS1_11comp_targetILNS1_3genE8ELNS1_11target_archE1030ELNS1_3gpuE2ELNS1_3repE0EEENS1_30default_config_static_selectorELNS0_4arch9wavefront6targetE0EEEvSY_,comdat
.Lfunc_end1093:
	.size	_ZN7rocprim17ROCPRIM_400000_NS6detail17trampoline_kernelINS0_13select_configILj256ELj13ELNS0_17block_load_methodE3ELS4_3ELS4_3ELNS0_20block_scan_algorithmE0ELj4294967295EEENS1_25partition_config_selectorILNS1_17partition_subalgoE3EjNS0_10empty_typeEbEEZZNS1_14partition_implILS8_3ELb0ES6_jNS0_17counting_iteratorIjlEEPS9_SE_NS0_5tupleIJPjSE_EEENSF_IJSE_SE_EEES9_SG_JZNS1_25segmented_radix_sort_implINS0_14default_configELb1EPKdPdPKlPlN2at6native12_GLOBAL__N_18offset_tEEE10hipError_tPvRmT1_PNSt15iterator_traitsISY_E10value_typeET2_T3_PNSZ_IS14_E10value_typeET4_jRbjT5_S1A_jjP12ihipStream_tbEUljE_EEESV_SW_SX_S14_S18_S1A_T6_T7_T9_mT8_S1C_bDpT10_ENKUlT_T0_E_clISt17integral_constantIbLb0EES1P_EEDaS1K_S1L_EUlS1K_E_NS1_11comp_targetILNS1_3genE8ELNS1_11target_archE1030ELNS1_3gpuE2ELNS1_3repE0EEENS1_30default_config_static_selectorELNS0_4arch9wavefront6targetE0EEEvSY_, .Lfunc_end1093-_ZN7rocprim17ROCPRIM_400000_NS6detail17trampoline_kernelINS0_13select_configILj256ELj13ELNS0_17block_load_methodE3ELS4_3ELS4_3ELNS0_20block_scan_algorithmE0ELj4294967295EEENS1_25partition_config_selectorILNS1_17partition_subalgoE3EjNS0_10empty_typeEbEEZZNS1_14partition_implILS8_3ELb0ES6_jNS0_17counting_iteratorIjlEEPS9_SE_NS0_5tupleIJPjSE_EEENSF_IJSE_SE_EEES9_SG_JZNS1_25segmented_radix_sort_implINS0_14default_configELb1EPKdPdPKlPlN2at6native12_GLOBAL__N_18offset_tEEE10hipError_tPvRmT1_PNSt15iterator_traitsISY_E10value_typeET2_T3_PNSZ_IS14_E10value_typeET4_jRbjT5_S1A_jjP12ihipStream_tbEUljE_EEESV_SW_SX_S14_S18_S1A_T6_T7_T9_mT8_S1C_bDpT10_ENKUlT_T0_E_clISt17integral_constantIbLb0EES1P_EEDaS1K_S1L_EUlS1K_E_NS1_11comp_targetILNS1_3genE8ELNS1_11target_archE1030ELNS1_3gpuE2ELNS1_3repE0EEENS1_30default_config_static_selectorELNS0_4arch9wavefront6targetE0EEEvSY_
                                        ; -- End function
	.section	.AMDGPU.csdata,"",@progbits
; Kernel info:
; codeLenInByte = 0
; NumSgprs: 0
; NumVgprs: 0
; ScratchSize: 0
; MemoryBound: 0
; FloatMode: 240
; IeeeMode: 1
; LDSByteSize: 0 bytes/workgroup (compile time only)
; SGPRBlocks: 0
; VGPRBlocks: 0
; NumSGPRsForWavesPerEU: 1
; NumVGPRsForWavesPerEU: 1
; Occupancy: 16
; WaveLimiterHint : 0
; COMPUTE_PGM_RSRC2:SCRATCH_EN: 0
; COMPUTE_PGM_RSRC2:USER_SGPR: 15
; COMPUTE_PGM_RSRC2:TRAP_HANDLER: 0
; COMPUTE_PGM_RSRC2:TGID_X_EN: 1
; COMPUTE_PGM_RSRC2:TGID_Y_EN: 0
; COMPUTE_PGM_RSRC2:TGID_Z_EN: 0
; COMPUTE_PGM_RSRC2:TIDIG_COMP_CNT: 0
	.section	.text._ZN7rocprim17ROCPRIM_400000_NS6detail17trampoline_kernelINS0_13select_configILj256ELj13ELNS0_17block_load_methodE3ELS4_3ELS4_3ELNS0_20block_scan_algorithmE0ELj4294967295EEENS1_25partition_config_selectorILNS1_17partition_subalgoE3EjNS0_10empty_typeEbEEZZNS1_14partition_implILS8_3ELb0ES6_jNS0_17counting_iteratorIjlEEPS9_SE_NS0_5tupleIJPjSE_EEENSF_IJSE_SE_EEES9_SG_JZNS1_25segmented_radix_sort_implINS0_14default_configELb1EPKdPdPKlPlN2at6native12_GLOBAL__N_18offset_tEEE10hipError_tPvRmT1_PNSt15iterator_traitsISY_E10value_typeET2_T3_PNSZ_IS14_E10value_typeET4_jRbjT5_S1A_jjP12ihipStream_tbEUljE_EEESV_SW_SX_S14_S18_S1A_T6_T7_T9_mT8_S1C_bDpT10_ENKUlT_T0_E_clISt17integral_constantIbLb1EES1P_EEDaS1K_S1L_EUlS1K_E_NS1_11comp_targetILNS1_3genE0ELNS1_11target_archE4294967295ELNS1_3gpuE0ELNS1_3repE0EEENS1_30default_config_static_selectorELNS0_4arch9wavefront6targetE0EEEvSY_,"axG",@progbits,_ZN7rocprim17ROCPRIM_400000_NS6detail17trampoline_kernelINS0_13select_configILj256ELj13ELNS0_17block_load_methodE3ELS4_3ELS4_3ELNS0_20block_scan_algorithmE0ELj4294967295EEENS1_25partition_config_selectorILNS1_17partition_subalgoE3EjNS0_10empty_typeEbEEZZNS1_14partition_implILS8_3ELb0ES6_jNS0_17counting_iteratorIjlEEPS9_SE_NS0_5tupleIJPjSE_EEENSF_IJSE_SE_EEES9_SG_JZNS1_25segmented_radix_sort_implINS0_14default_configELb1EPKdPdPKlPlN2at6native12_GLOBAL__N_18offset_tEEE10hipError_tPvRmT1_PNSt15iterator_traitsISY_E10value_typeET2_T3_PNSZ_IS14_E10value_typeET4_jRbjT5_S1A_jjP12ihipStream_tbEUljE_EEESV_SW_SX_S14_S18_S1A_T6_T7_T9_mT8_S1C_bDpT10_ENKUlT_T0_E_clISt17integral_constantIbLb1EES1P_EEDaS1K_S1L_EUlS1K_E_NS1_11comp_targetILNS1_3genE0ELNS1_11target_archE4294967295ELNS1_3gpuE0ELNS1_3repE0EEENS1_30default_config_static_selectorELNS0_4arch9wavefront6targetE0EEEvSY_,comdat
	.globl	_ZN7rocprim17ROCPRIM_400000_NS6detail17trampoline_kernelINS0_13select_configILj256ELj13ELNS0_17block_load_methodE3ELS4_3ELS4_3ELNS0_20block_scan_algorithmE0ELj4294967295EEENS1_25partition_config_selectorILNS1_17partition_subalgoE3EjNS0_10empty_typeEbEEZZNS1_14partition_implILS8_3ELb0ES6_jNS0_17counting_iteratorIjlEEPS9_SE_NS0_5tupleIJPjSE_EEENSF_IJSE_SE_EEES9_SG_JZNS1_25segmented_radix_sort_implINS0_14default_configELb1EPKdPdPKlPlN2at6native12_GLOBAL__N_18offset_tEEE10hipError_tPvRmT1_PNSt15iterator_traitsISY_E10value_typeET2_T3_PNSZ_IS14_E10value_typeET4_jRbjT5_S1A_jjP12ihipStream_tbEUljE_EEESV_SW_SX_S14_S18_S1A_T6_T7_T9_mT8_S1C_bDpT10_ENKUlT_T0_E_clISt17integral_constantIbLb1EES1P_EEDaS1K_S1L_EUlS1K_E_NS1_11comp_targetILNS1_3genE0ELNS1_11target_archE4294967295ELNS1_3gpuE0ELNS1_3repE0EEENS1_30default_config_static_selectorELNS0_4arch9wavefront6targetE0EEEvSY_ ; -- Begin function _ZN7rocprim17ROCPRIM_400000_NS6detail17trampoline_kernelINS0_13select_configILj256ELj13ELNS0_17block_load_methodE3ELS4_3ELS4_3ELNS0_20block_scan_algorithmE0ELj4294967295EEENS1_25partition_config_selectorILNS1_17partition_subalgoE3EjNS0_10empty_typeEbEEZZNS1_14partition_implILS8_3ELb0ES6_jNS0_17counting_iteratorIjlEEPS9_SE_NS0_5tupleIJPjSE_EEENSF_IJSE_SE_EEES9_SG_JZNS1_25segmented_radix_sort_implINS0_14default_configELb1EPKdPdPKlPlN2at6native12_GLOBAL__N_18offset_tEEE10hipError_tPvRmT1_PNSt15iterator_traitsISY_E10value_typeET2_T3_PNSZ_IS14_E10value_typeET4_jRbjT5_S1A_jjP12ihipStream_tbEUljE_EEESV_SW_SX_S14_S18_S1A_T6_T7_T9_mT8_S1C_bDpT10_ENKUlT_T0_E_clISt17integral_constantIbLb1EES1P_EEDaS1K_S1L_EUlS1K_E_NS1_11comp_targetILNS1_3genE0ELNS1_11target_archE4294967295ELNS1_3gpuE0ELNS1_3repE0EEENS1_30default_config_static_selectorELNS0_4arch9wavefront6targetE0EEEvSY_
	.p2align	8
	.type	_ZN7rocprim17ROCPRIM_400000_NS6detail17trampoline_kernelINS0_13select_configILj256ELj13ELNS0_17block_load_methodE3ELS4_3ELS4_3ELNS0_20block_scan_algorithmE0ELj4294967295EEENS1_25partition_config_selectorILNS1_17partition_subalgoE3EjNS0_10empty_typeEbEEZZNS1_14partition_implILS8_3ELb0ES6_jNS0_17counting_iteratorIjlEEPS9_SE_NS0_5tupleIJPjSE_EEENSF_IJSE_SE_EEES9_SG_JZNS1_25segmented_radix_sort_implINS0_14default_configELb1EPKdPdPKlPlN2at6native12_GLOBAL__N_18offset_tEEE10hipError_tPvRmT1_PNSt15iterator_traitsISY_E10value_typeET2_T3_PNSZ_IS14_E10value_typeET4_jRbjT5_S1A_jjP12ihipStream_tbEUljE_EEESV_SW_SX_S14_S18_S1A_T6_T7_T9_mT8_S1C_bDpT10_ENKUlT_T0_E_clISt17integral_constantIbLb1EES1P_EEDaS1K_S1L_EUlS1K_E_NS1_11comp_targetILNS1_3genE0ELNS1_11target_archE4294967295ELNS1_3gpuE0ELNS1_3repE0EEENS1_30default_config_static_selectorELNS0_4arch9wavefront6targetE0EEEvSY_,@function
_ZN7rocprim17ROCPRIM_400000_NS6detail17trampoline_kernelINS0_13select_configILj256ELj13ELNS0_17block_load_methodE3ELS4_3ELS4_3ELNS0_20block_scan_algorithmE0ELj4294967295EEENS1_25partition_config_selectorILNS1_17partition_subalgoE3EjNS0_10empty_typeEbEEZZNS1_14partition_implILS8_3ELb0ES6_jNS0_17counting_iteratorIjlEEPS9_SE_NS0_5tupleIJPjSE_EEENSF_IJSE_SE_EEES9_SG_JZNS1_25segmented_radix_sort_implINS0_14default_configELb1EPKdPdPKlPlN2at6native12_GLOBAL__N_18offset_tEEE10hipError_tPvRmT1_PNSt15iterator_traitsISY_E10value_typeET2_T3_PNSZ_IS14_E10value_typeET4_jRbjT5_S1A_jjP12ihipStream_tbEUljE_EEESV_SW_SX_S14_S18_S1A_T6_T7_T9_mT8_S1C_bDpT10_ENKUlT_T0_E_clISt17integral_constantIbLb1EES1P_EEDaS1K_S1L_EUlS1K_E_NS1_11comp_targetILNS1_3genE0ELNS1_11target_archE4294967295ELNS1_3gpuE0ELNS1_3repE0EEENS1_30default_config_static_selectorELNS0_4arch9wavefront6targetE0EEEvSY_: ; @_ZN7rocprim17ROCPRIM_400000_NS6detail17trampoline_kernelINS0_13select_configILj256ELj13ELNS0_17block_load_methodE3ELS4_3ELS4_3ELNS0_20block_scan_algorithmE0ELj4294967295EEENS1_25partition_config_selectorILNS1_17partition_subalgoE3EjNS0_10empty_typeEbEEZZNS1_14partition_implILS8_3ELb0ES6_jNS0_17counting_iteratorIjlEEPS9_SE_NS0_5tupleIJPjSE_EEENSF_IJSE_SE_EEES9_SG_JZNS1_25segmented_radix_sort_implINS0_14default_configELb1EPKdPdPKlPlN2at6native12_GLOBAL__N_18offset_tEEE10hipError_tPvRmT1_PNSt15iterator_traitsISY_E10value_typeET2_T3_PNSZ_IS14_E10value_typeET4_jRbjT5_S1A_jjP12ihipStream_tbEUljE_EEESV_SW_SX_S14_S18_S1A_T6_T7_T9_mT8_S1C_bDpT10_ENKUlT_T0_E_clISt17integral_constantIbLb1EES1P_EEDaS1K_S1L_EUlS1K_E_NS1_11comp_targetILNS1_3genE0ELNS1_11target_archE4294967295ELNS1_3gpuE0ELNS1_3repE0EEENS1_30default_config_static_selectorELNS0_4arch9wavefront6targetE0EEEvSY_
; %bb.0:
	.section	.rodata,"a",@progbits
	.p2align	6, 0x0
	.amdhsa_kernel _ZN7rocprim17ROCPRIM_400000_NS6detail17trampoline_kernelINS0_13select_configILj256ELj13ELNS0_17block_load_methodE3ELS4_3ELS4_3ELNS0_20block_scan_algorithmE0ELj4294967295EEENS1_25partition_config_selectorILNS1_17partition_subalgoE3EjNS0_10empty_typeEbEEZZNS1_14partition_implILS8_3ELb0ES6_jNS0_17counting_iteratorIjlEEPS9_SE_NS0_5tupleIJPjSE_EEENSF_IJSE_SE_EEES9_SG_JZNS1_25segmented_radix_sort_implINS0_14default_configELb1EPKdPdPKlPlN2at6native12_GLOBAL__N_18offset_tEEE10hipError_tPvRmT1_PNSt15iterator_traitsISY_E10value_typeET2_T3_PNSZ_IS14_E10value_typeET4_jRbjT5_S1A_jjP12ihipStream_tbEUljE_EEESV_SW_SX_S14_S18_S1A_T6_T7_T9_mT8_S1C_bDpT10_ENKUlT_T0_E_clISt17integral_constantIbLb1EES1P_EEDaS1K_S1L_EUlS1K_E_NS1_11comp_targetILNS1_3genE0ELNS1_11target_archE4294967295ELNS1_3gpuE0ELNS1_3repE0EEENS1_30default_config_static_selectorELNS0_4arch9wavefront6targetE0EEEvSY_
		.amdhsa_group_segment_fixed_size 0
		.amdhsa_private_segment_fixed_size 0
		.amdhsa_kernarg_size 152
		.amdhsa_user_sgpr_count 15
		.amdhsa_user_sgpr_dispatch_ptr 0
		.amdhsa_user_sgpr_queue_ptr 0
		.amdhsa_user_sgpr_kernarg_segment_ptr 1
		.amdhsa_user_sgpr_dispatch_id 0
		.amdhsa_user_sgpr_private_segment_size 0
		.amdhsa_wavefront_size32 1
		.amdhsa_uses_dynamic_stack 0
		.amdhsa_enable_private_segment 0
		.amdhsa_system_sgpr_workgroup_id_x 1
		.amdhsa_system_sgpr_workgroup_id_y 0
		.amdhsa_system_sgpr_workgroup_id_z 0
		.amdhsa_system_sgpr_workgroup_info 0
		.amdhsa_system_vgpr_workitem_id 0
		.amdhsa_next_free_vgpr 1
		.amdhsa_next_free_sgpr 1
		.amdhsa_reserve_vcc 0
		.amdhsa_float_round_mode_32 0
		.amdhsa_float_round_mode_16_64 0
		.amdhsa_float_denorm_mode_32 3
		.amdhsa_float_denorm_mode_16_64 3
		.amdhsa_dx10_clamp 1
		.amdhsa_ieee_mode 1
		.amdhsa_fp16_overflow 0
		.amdhsa_workgroup_processor_mode 1
		.amdhsa_memory_ordered 1
		.amdhsa_forward_progress 0
		.amdhsa_shared_vgpr_count 0
		.amdhsa_exception_fp_ieee_invalid_op 0
		.amdhsa_exception_fp_denorm_src 0
		.amdhsa_exception_fp_ieee_div_zero 0
		.amdhsa_exception_fp_ieee_overflow 0
		.amdhsa_exception_fp_ieee_underflow 0
		.amdhsa_exception_fp_ieee_inexact 0
		.amdhsa_exception_int_div_zero 0
	.end_amdhsa_kernel
	.section	.text._ZN7rocprim17ROCPRIM_400000_NS6detail17trampoline_kernelINS0_13select_configILj256ELj13ELNS0_17block_load_methodE3ELS4_3ELS4_3ELNS0_20block_scan_algorithmE0ELj4294967295EEENS1_25partition_config_selectorILNS1_17partition_subalgoE3EjNS0_10empty_typeEbEEZZNS1_14partition_implILS8_3ELb0ES6_jNS0_17counting_iteratorIjlEEPS9_SE_NS0_5tupleIJPjSE_EEENSF_IJSE_SE_EEES9_SG_JZNS1_25segmented_radix_sort_implINS0_14default_configELb1EPKdPdPKlPlN2at6native12_GLOBAL__N_18offset_tEEE10hipError_tPvRmT1_PNSt15iterator_traitsISY_E10value_typeET2_T3_PNSZ_IS14_E10value_typeET4_jRbjT5_S1A_jjP12ihipStream_tbEUljE_EEESV_SW_SX_S14_S18_S1A_T6_T7_T9_mT8_S1C_bDpT10_ENKUlT_T0_E_clISt17integral_constantIbLb1EES1P_EEDaS1K_S1L_EUlS1K_E_NS1_11comp_targetILNS1_3genE0ELNS1_11target_archE4294967295ELNS1_3gpuE0ELNS1_3repE0EEENS1_30default_config_static_selectorELNS0_4arch9wavefront6targetE0EEEvSY_,"axG",@progbits,_ZN7rocprim17ROCPRIM_400000_NS6detail17trampoline_kernelINS0_13select_configILj256ELj13ELNS0_17block_load_methodE3ELS4_3ELS4_3ELNS0_20block_scan_algorithmE0ELj4294967295EEENS1_25partition_config_selectorILNS1_17partition_subalgoE3EjNS0_10empty_typeEbEEZZNS1_14partition_implILS8_3ELb0ES6_jNS0_17counting_iteratorIjlEEPS9_SE_NS0_5tupleIJPjSE_EEENSF_IJSE_SE_EEES9_SG_JZNS1_25segmented_radix_sort_implINS0_14default_configELb1EPKdPdPKlPlN2at6native12_GLOBAL__N_18offset_tEEE10hipError_tPvRmT1_PNSt15iterator_traitsISY_E10value_typeET2_T3_PNSZ_IS14_E10value_typeET4_jRbjT5_S1A_jjP12ihipStream_tbEUljE_EEESV_SW_SX_S14_S18_S1A_T6_T7_T9_mT8_S1C_bDpT10_ENKUlT_T0_E_clISt17integral_constantIbLb1EES1P_EEDaS1K_S1L_EUlS1K_E_NS1_11comp_targetILNS1_3genE0ELNS1_11target_archE4294967295ELNS1_3gpuE0ELNS1_3repE0EEENS1_30default_config_static_selectorELNS0_4arch9wavefront6targetE0EEEvSY_,comdat
.Lfunc_end1094:
	.size	_ZN7rocprim17ROCPRIM_400000_NS6detail17trampoline_kernelINS0_13select_configILj256ELj13ELNS0_17block_load_methodE3ELS4_3ELS4_3ELNS0_20block_scan_algorithmE0ELj4294967295EEENS1_25partition_config_selectorILNS1_17partition_subalgoE3EjNS0_10empty_typeEbEEZZNS1_14partition_implILS8_3ELb0ES6_jNS0_17counting_iteratorIjlEEPS9_SE_NS0_5tupleIJPjSE_EEENSF_IJSE_SE_EEES9_SG_JZNS1_25segmented_radix_sort_implINS0_14default_configELb1EPKdPdPKlPlN2at6native12_GLOBAL__N_18offset_tEEE10hipError_tPvRmT1_PNSt15iterator_traitsISY_E10value_typeET2_T3_PNSZ_IS14_E10value_typeET4_jRbjT5_S1A_jjP12ihipStream_tbEUljE_EEESV_SW_SX_S14_S18_S1A_T6_T7_T9_mT8_S1C_bDpT10_ENKUlT_T0_E_clISt17integral_constantIbLb1EES1P_EEDaS1K_S1L_EUlS1K_E_NS1_11comp_targetILNS1_3genE0ELNS1_11target_archE4294967295ELNS1_3gpuE0ELNS1_3repE0EEENS1_30default_config_static_selectorELNS0_4arch9wavefront6targetE0EEEvSY_, .Lfunc_end1094-_ZN7rocprim17ROCPRIM_400000_NS6detail17trampoline_kernelINS0_13select_configILj256ELj13ELNS0_17block_load_methodE3ELS4_3ELS4_3ELNS0_20block_scan_algorithmE0ELj4294967295EEENS1_25partition_config_selectorILNS1_17partition_subalgoE3EjNS0_10empty_typeEbEEZZNS1_14partition_implILS8_3ELb0ES6_jNS0_17counting_iteratorIjlEEPS9_SE_NS0_5tupleIJPjSE_EEENSF_IJSE_SE_EEES9_SG_JZNS1_25segmented_radix_sort_implINS0_14default_configELb1EPKdPdPKlPlN2at6native12_GLOBAL__N_18offset_tEEE10hipError_tPvRmT1_PNSt15iterator_traitsISY_E10value_typeET2_T3_PNSZ_IS14_E10value_typeET4_jRbjT5_S1A_jjP12ihipStream_tbEUljE_EEESV_SW_SX_S14_S18_S1A_T6_T7_T9_mT8_S1C_bDpT10_ENKUlT_T0_E_clISt17integral_constantIbLb1EES1P_EEDaS1K_S1L_EUlS1K_E_NS1_11comp_targetILNS1_3genE0ELNS1_11target_archE4294967295ELNS1_3gpuE0ELNS1_3repE0EEENS1_30default_config_static_selectorELNS0_4arch9wavefront6targetE0EEEvSY_
                                        ; -- End function
	.section	.AMDGPU.csdata,"",@progbits
; Kernel info:
; codeLenInByte = 0
; NumSgprs: 0
; NumVgprs: 0
; ScratchSize: 0
; MemoryBound: 0
; FloatMode: 240
; IeeeMode: 1
; LDSByteSize: 0 bytes/workgroup (compile time only)
; SGPRBlocks: 0
; VGPRBlocks: 0
; NumSGPRsForWavesPerEU: 1
; NumVGPRsForWavesPerEU: 1
; Occupancy: 16
; WaveLimiterHint : 0
; COMPUTE_PGM_RSRC2:SCRATCH_EN: 0
; COMPUTE_PGM_RSRC2:USER_SGPR: 15
; COMPUTE_PGM_RSRC2:TRAP_HANDLER: 0
; COMPUTE_PGM_RSRC2:TGID_X_EN: 1
; COMPUTE_PGM_RSRC2:TGID_Y_EN: 0
; COMPUTE_PGM_RSRC2:TGID_Z_EN: 0
; COMPUTE_PGM_RSRC2:TIDIG_COMP_CNT: 0
	.section	.text._ZN7rocprim17ROCPRIM_400000_NS6detail17trampoline_kernelINS0_13select_configILj256ELj13ELNS0_17block_load_methodE3ELS4_3ELS4_3ELNS0_20block_scan_algorithmE0ELj4294967295EEENS1_25partition_config_selectorILNS1_17partition_subalgoE3EjNS0_10empty_typeEbEEZZNS1_14partition_implILS8_3ELb0ES6_jNS0_17counting_iteratorIjlEEPS9_SE_NS0_5tupleIJPjSE_EEENSF_IJSE_SE_EEES9_SG_JZNS1_25segmented_radix_sort_implINS0_14default_configELb1EPKdPdPKlPlN2at6native12_GLOBAL__N_18offset_tEEE10hipError_tPvRmT1_PNSt15iterator_traitsISY_E10value_typeET2_T3_PNSZ_IS14_E10value_typeET4_jRbjT5_S1A_jjP12ihipStream_tbEUljE_EEESV_SW_SX_S14_S18_S1A_T6_T7_T9_mT8_S1C_bDpT10_ENKUlT_T0_E_clISt17integral_constantIbLb1EES1P_EEDaS1K_S1L_EUlS1K_E_NS1_11comp_targetILNS1_3genE5ELNS1_11target_archE942ELNS1_3gpuE9ELNS1_3repE0EEENS1_30default_config_static_selectorELNS0_4arch9wavefront6targetE0EEEvSY_,"axG",@progbits,_ZN7rocprim17ROCPRIM_400000_NS6detail17trampoline_kernelINS0_13select_configILj256ELj13ELNS0_17block_load_methodE3ELS4_3ELS4_3ELNS0_20block_scan_algorithmE0ELj4294967295EEENS1_25partition_config_selectorILNS1_17partition_subalgoE3EjNS0_10empty_typeEbEEZZNS1_14partition_implILS8_3ELb0ES6_jNS0_17counting_iteratorIjlEEPS9_SE_NS0_5tupleIJPjSE_EEENSF_IJSE_SE_EEES9_SG_JZNS1_25segmented_radix_sort_implINS0_14default_configELb1EPKdPdPKlPlN2at6native12_GLOBAL__N_18offset_tEEE10hipError_tPvRmT1_PNSt15iterator_traitsISY_E10value_typeET2_T3_PNSZ_IS14_E10value_typeET4_jRbjT5_S1A_jjP12ihipStream_tbEUljE_EEESV_SW_SX_S14_S18_S1A_T6_T7_T9_mT8_S1C_bDpT10_ENKUlT_T0_E_clISt17integral_constantIbLb1EES1P_EEDaS1K_S1L_EUlS1K_E_NS1_11comp_targetILNS1_3genE5ELNS1_11target_archE942ELNS1_3gpuE9ELNS1_3repE0EEENS1_30default_config_static_selectorELNS0_4arch9wavefront6targetE0EEEvSY_,comdat
	.globl	_ZN7rocprim17ROCPRIM_400000_NS6detail17trampoline_kernelINS0_13select_configILj256ELj13ELNS0_17block_load_methodE3ELS4_3ELS4_3ELNS0_20block_scan_algorithmE0ELj4294967295EEENS1_25partition_config_selectorILNS1_17partition_subalgoE3EjNS0_10empty_typeEbEEZZNS1_14partition_implILS8_3ELb0ES6_jNS0_17counting_iteratorIjlEEPS9_SE_NS0_5tupleIJPjSE_EEENSF_IJSE_SE_EEES9_SG_JZNS1_25segmented_radix_sort_implINS0_14default_configELb1EPKdPdPKlPlN2at6native12_GLOBAL__N_18offset_tEEE10hipError_tPvRmT1_PNSt15iterator_traitsISY_E10value_typeET2_T3_PNSZ_IS14_E10value_typeET4_jRbjT5_S1A_jjP12ihipStream_tbEUljE_EEESV_SW_SX_S14_S18_S1A_T6_T7_T9_mT8_S1C_bDpT10_ENKUlT_T0_E_clISt17integral_constantIbLb1EES1P_EEDaS1K_S1L_EUlS1K_E_NS1_11comp_targetILNS1_3genE5ELNS1_11target_archE942ELNS1_3gpuE9ELNS1_3repE0EEENS1_30default_config_static_selectorELNS0_4arch9wavefront6targetE0EEEvSY_ ; -- Begin function _ZN7rocprim17ROCPRIM_400000_NS6detail17trampoline_kernelINS0_13select_configILj256ELj13ELNS0_17block_load_methodE3ELS4_3ELS4_3ELNS0_20block_scan_algorithmE0ELj4294967295EEENS1_25partition_config_selectorILNS1_17partition_subalgoE3EjNS0_10empty_typeEbEEZZNS1_14partition_implILS8_3ELb0ES6_jNS0_17counting_iteratorIjlEEPS9_SE_NS0_5tupleIJPjSE_EEENSF_IJSE_SE_EEES9_SG_JZNS1_25segmented_radix_sort_implINS0_14default_configELb1EPKdPdPKlPlN2at6native12_GLOBAL__N_18offset_tEEE10hipError_tPvRmT1_PNSt15iterator_traitsISY_E10value_typeET2_T3_PNSZ_IS14_E10value_typeET4_jRbjT5_S1A_jjP12ihipStream_tbEUljE_EEESV_SW_SX_S14_S18_S1A_T6_T7_T9_mT8_S1C_bDpT10_ENKUlT_T0_E_clISt17integral_constantIbLb1EES1P_EEDaS1K_S1L_EUlS1K_E_NS1_11comp_targetILNS1_3genE5ELNS1_11target_archE942ELNS1_3gpuE9ELNS1_3repE0EEENS1_30default_config_static_selectorELNS0_4arch9wavefront6targetE0EEEvSY_
	.p2align	8
	.type	_ZN7rocprim17ROCPRIM_400000_NS6detail17trampoline_kernelINS0_13select_configILj256ELj13ELNS0_17block_load_methodE3ELS4_3ELS4_3ELNS0_20block_scan_algorithmE0ELj4294967295EEENS1_25partition_config_selectorILNS1_17partition_subalgoE3EjNS0_10empty_typeEbEEZZNS1_14partition_implILS8_3ELb0ES6_jNS0_17counting_iteratorIjlEEPS9_SE_NS0_5tupleIJPjSE_EEENSF_IJSE_SE_EEES9_SG_JZNS1_25segmented_radix_sort_implINS0_14default_configELb1EPKdPdPKlPlN2at6native12_GLOBAL__N_18offset_tEEE10hipError_tPvRmT1_PNSt15iterator_traitsISY_E10value_typeET2_T3_PNSZ_IS14_E10value_typeET4_jRbjT5_S1A_jjP12ihipStream_tbEUljE_EEESV_SW_SX_S14_S18_S1A_T6_T7_T9_mT8_S1C_bDpT10_ENKUlT_T0_E_clISt17integral_constantIbLb1EES1P_EEDaS1K_S1L_EUlS1K_E_NS1_11comp_targetILNS1_3genE5ELNS1_11target_archE942ELNS1_3gpuE9ELNS1_3repE0EEENS1_30default_config_static_selectorELNS0_4arch9wavefront6targetE0EEEvSY_,@function
_ZN7rocprim17ROCPRIM_400000_NS6detail17trampoline_kernelINS0_13select_configILj256ELj13ELNS0_17block_load_methodE3ELS4_3ELS4_3ELNS0_20block_scan_algorithmE0ELj4294967295EEENS1_25partition_config_selectorILNS1_17partition_subalgoE3EjNS0_10empty_typeEbEEZZNS1_14partition_implILS8_3ELb0ES6_jNS0_17counting_iteratorIjlEEPS9_SE_NS0_5tupleIJPjSE_EEENSF_IJSE_SE_EEES9_SG_JZNS1_25segmented_radix_sort_implINS0_14default_configELb1EPKdPdPKlPlN2at6native12_GLOBAL__N_18offset_tEEE10hipError_tPvRmT1_PNSt15iterator_traitsISY_E10value_typeET2_T3_PNSZ_IS14_E10value_typeET4_jRbjT5_S1A_jjP12ihipStream_tbEUljE_EEESV_SW_SX_S14_S18_S1A_T6_T7_T9_mT8_S1C_bDpT10_ENKUlT_T0_E_clISt17integral_constantIbLb1EES1P_EEDaS1K_S1L_EUlS1K_E_NS1_11comp_targetILNS1_3genE5ELNS1_11target_archE942ELNS1_3gpuE9ELNS1_3repE0EEENS1_30default_config_static_selectorELNS0_4arch9wavefront6targetE0EEEvSY_: ; @_ZN7rocprim17ROCPRIM_400000_NS6detail17trampoline_kernelINS0_13select_configILj256ELj13ELNS0_17block_load_methodE3ELS4_3ELS4_3ELNS0_20block_scan_algorithmE0ELj4294967295EEENS1_25partition_config_selectorILNS1_17partition_subalgoE3EjNS0_10empty_typeEbEEZZNS1_14partition_implILS8_3ELb0ES6_jNS0_17counting_iteratorIjlEEPS9_SE_NS0_5tupleIJPjSE_EEENSF_IJSE_SE_EEES9_SG_JZNS1_25segmented_radix_sort_implINS0_14default_configELb1EPKdPdPKlPlN2at6native12_GLOBAL__N_18offset_tEEE10hipError_tPvRmT1_PNSt15iterator_traitsISY_E10value_typeET2_T3_PNSZ_IS14_E10value_typeET4_jRbjT5_S1A_jjP12ihipStream_tbEUljE_EEESV_SW_SX_S14_S18_S1A_T6_T7_T9_mT8_S1C_bDpT10_ENKUlT_T0_E_clISt17integral_constantIbLb1EES1P_EEDaS1K_S1L_EUlS1K_E_NS1_11comp_targetILNS1_3genE5ELNS1_11target_archE942ELNS1_3gpuE9ELNS1_3repE0EEENS1_30default_config_static_selectorELNS0_4arch9wavefront6targetE0EEEvSY_
; %bb.0:
	.section	.rodata,"a",@progbits
	.p2align	6, 0x0
	.amdhsa_kernel _ZN7rocprim17ROCPRIM_400000_NS6detail17trampoline_kernelINS0_13select_configILj256ELj13ELNS0_17block_load_methodE3ELS4_3ELS4_3ELNS0_20block_scan_algorithmE0ELj4294967295EEENS1_25partition_config_selectorILNS1_17partition_subalgoE3EjNS0_10empty_typeEbEEZZNS1_14partition_implILS8_3ELb0ES6_jNS0_17counting_iteratorIjlEEPS9_SE_NS0_5tupleIJPjSE_EEENSF_IJSE_SE_EEES9_SG_JZNS1_25segmented_radix_sort_implINS0_14default_configELb1EPKdPdPKlPlN2at6native12_GLOBAL__N_18offset_tEEE10hipError_tPvRmT1_PNSt15iterator_traitsISY_E10value_typeET2_T3_PNSZ_IS14_E10value_typeET4_jRbjT5_S1A_jjP12ihipStream_tbEUljE_EEESV_SW_SX_S14_S18_S1A_T6_T7_T9_mT8_S1C_bDpT10_ENKUlT_T0_E_clISt17integral_constantIbLb1EES1P_EEDaS1K_S1L_EUlS1K_E_NS1_11comp_targetILNS1_3genE5ELNS1_11target_archE942ELNS1_3gpuE9ELNS1_3repE0EEENS1_30default_config_static_selectorELNS0_4arch9wavefront6targetE0EEEvSY_
		.amdhsa_group_segment_fixed_size 0
		.amdhsa_private_segment_fixed_size 0
		.amdhsa_kernarg_size 152
		.amdhsa_user_sgpr_count 15
		.amdhsa_user_sgpr_dispatch_ptr 0
		.amdhsa_user_sgpr_queue_ptr 0
		.amdhsa_user_sgpr_kernarg_segment_ptr 1
		.amdhsa_user_sgpr_dispatch_id 0
		.amdhsa_user_sgpr_private_segment_size 0
		.amdhsa_wavefront_size32 1
		.amdhsa_uses_dynamic_stack 0
		.amdhsa_enable_private_segment 0
		.amdhsa_system_sgpr_workgroup_id_x 1
		.amdhsa_system_sgpr_workgroup_id_y 0
		.amdhsa_system_sgpr_workgroup_id_z 0
		.amdhsa_system_sgpr_workgroup_info 0
		.amdhsa_system_vgpr_workitem_id 0
		.amdhsa_next_free_vgpr 1
		.amdhsa_next_free_sgpr 1
		.amdhsa_reserve_vcc 0
		.amdhsa_float_round_mode_32 0
		.amdhsa_float_round_mode_16_64 0
		.amdhsa_float_denorm_mode_32 3
		.amdhsa_float_denorm_mode_16_64 3
		.amdhsa_dx10_clamp 1
		.amdhsa_ieee_mode 1
		.amdhsa_fp16_overflow 0
		.amdhsa_workgroup_processor_mode 1
		.amdhsa_memory_ordered 1
		.amdhsa_forward_progress 0
		.amdhsa_shared_vgpr_count 0
		.amdhsa_exception_fp_ieee_invalid_op 0
		.amdhsa_exception_fp_denorm_src 0
		.amdhsa_exception_fp_ieee_div_zero 0
		.amdhsa_exception_fp_ieee_overflow 0
		.amdhsa_exception_fp_ieee_underflow 0
		.amdhsa_exception_fp_ieee_inexact 0
		.amdhsa_exception_int_div_zero 0
	.end_amdhsa_kernel
	.section	.text._ZN7rocprim17ROCPRIM_400000_NS6detail17trampoline_kernelINS0_13select_configILj256ELj13ELNS0_17block_load_methodE3ELS4_3ELS4_3ELNS0_20block_scan_algorithmE0ELj4294967295EEENS1_25partition_config_selectorILNS1_17partition_subalgoE3EjNS0_10empty_typeEbEEZZNS1_14partition_implILS8_3ELb0ES6_jNS0_17counting_iteratorIjlEEPS9_SE_NS0_5tupleIJPjSE_EEENSF_IJSE_SE_EEES9_SG_JZNS1_25segmented_radix_sort_implINS0_14default_configELb1EPKdPdPKlPlN2at6native12_GLOBAL__N_18offset_tEEE10hipError_tPvRmT1_PNSt15iterator_traitsISY_E10value_typeET2_T3_PNSZ_IS14_E10value_typeET4_jRbjT5_S1A_jjP12ihipStream_tbEUljE_EEESV_SW_SX_S14_S18_S1A_T6_T7_T9_mT8_S1C_bDpT10_ENKUlT_T0_E_clISt17integral_constantIbLb1EES1P_EEDaS1K_S1L_EUlS1K_E_NS1_11comp_targetILNS1_3genE5ELNS1_11target_archE942ELNS1_3gpuE9ELNS1_3repE0EEENS1_30default_config_static_selectorELNS0_4arch9wavefront6targetE0EEEvSY_,"axG",@progbits,_ZN7rocprim17ROCPRIM_400000_NS6detail17trampoline_kernelINS0_13select_configILj256ELj13ELNS0_17block_load_methodE3ELS4_3ELS4_3ELNS0_20block_scan_algorithmE0ELj4294967295EEENS1_25partition_config_selectorILNS1_17partition_subalgoE3EjNS0_10empty_typeEbEEZZNS1_14partition_implILS8_3ELb0ES6_jNS0_17counting_iteratorIjlEEPS9_SE_NS0_5tupleIJPjSE_EEENSF_IJSE_SE_EEES9_SG_JZNS1_25segmented_radix_sort_implINS0_14default_configELb1EPKdPdPKlPlN2at6native12_GLOBAL__N_18offset_tEEE10hipError_tPvRmT1_PNSt15iterator_traitsISY_E10value_typeET2_T3_PNSZ_IS14_E10value_typeET4_jRbjT5_S1A_jjP12ihipStream_tbEUljE_EEESV_SW_SX_S14_S18_S1A_T6_T7_T9_mT8_S1C_bDpT10_ENKUlT_T0_E_clISt17integral_constantIbLb1EES1P_EEDaS1K_S1L_EUlS1K_E_NS1_11comp_targetILNS1_3genE5ELNS1_11target_archE942ELNS1_3gpuE9ELNS1_3repE0EEENS1_30default_config_static_selectorELNS0_4arch9wavefront6targetE0EEEvSY_,comdat
.Lfunc_end1095:
	.size	_ZN7rocprim17ROCPRIM_400000_NS6detail17trampoline_kernelINS0_13select_configILj256ELj13ELNS0_17block_load_methodE3ELS4_3ELS4_3ELNS0_20block_scan_algorithmE0ELj4294967295EEENS1_25partition_config_selectorILNS1_17partition_subalgoE3EjNS0_10empty_typeEbEEZZNS1_14partition_implILS8_3ELb0ES6_jNS0_17counting_iteratorIjlEEPS9_SE_NS0_5tupleIJPjSE_EEENSF_IJSE_SE_EEES9_SG_JZNS1_25segmented_radix_sort_implINS0_14default_configELb1EPKdPdPKlPlN2at6native12_GLOBAL__N_18offset_tEEE10hipError_tPvRmT1_PNSt15iterator_traitsISY_E10value_typeET2_T3_PNSZ_IS14_E10value_typeET4_jRbjT5_S1A_jjP12ihipStream_tbEUljE_EEESV_SW_SX_S14_S18_S1A_T6_T7_T9_mT8_S1C_bDpT10_ENKUlT_T0_E_clISt17integral_constantIbLb1EES1P_EEDaS1K_S1L_EUlS1K_E_NS1_11comp_targetILNS1_3genE5ELNS1_11target_archE942ELNS1_3gpuE9ELNS1_3repE0EEENS1_30default_config_static_selectorELNS0_4arch9wavefront6targetE0EEEvSY_, .Lfunc_end1095-_ZN7rocprim17ROCPRIM_400000_NS6detail17trampoline_kernelINS0_13select_configILj256ELj13ELNS0_17block_load_methodE3ELS4_3ELS4_3ELNS0_20block_scan_algorithmE0ELj4294967295EEENS1_25partition_config_selectorILNS1_17partition_subalgoE3EjNS0_10empty_typeEbEEZZNS1_14partition_implILS8_3ELb0ES6_jNS0_17counting_iteratorIjlEEPS9_SE_NS0_5tupleIJPjSE_EEENSF_IJSE_SE_EEES9_SG_JZNS1_25segmented_radix_sort_implINS0_14default_configELb1EPKdPdPKlPlN2at6native12_GLOBAL__N_18offset_tEEE10hipError_tPvRmT1_PNSt15iterator_traitsISY_E10value_typeET2_T3_PNSZ_IS14_E10value_typeET4_jRbjT5_S1A_jjP12ihipStream_tbEUljE_EEESV_SW_SX_S14_S18_S1A_T6_T7_T9_mT8_S1C_bDpT10_ENKUlT_T0_E_clISt17integral_constantIbLb1EES1P_EEDaS1K_S1L_EUlS1K_E_NS1_11comp_targetILNS1_3genE5ELNS1_11target_archE942ELNS1_3gpuE9ELNS1_3repE0EEENS1_30default_config_static_selectorELNS0_4arch9wavefront6targetE0EEEvSY_
                                        ; -- End function
	.section	.AMDGPU.csdata,"",@progbits
; Kernel info:
; codeLenInByte = 0
; NumSgprs: 0
; NumVgprs: 0
; ScratchSize: 0
; MemoryBound: 0
; FloatMode: 240
; IeeeMode: 1
; LDSByteSize: 0 bytes/workgroup (compile time only)
; SGPRBlocks: 0
; VGPRBlocks: 0
; NumSGPRsForWavesPerEU: 1
; NumVGPRsForWavesPerEU: 1
; Occupancy: 16
; WaveLimiterHint : 0
; COMPUTE_PGM_RSRC2:SCRATCH_EN: 0
; COMPUTE_PGM_RSRC2:USER_SGPR: 15
; COMPUTE_PGM_RSRC2:TRAP_HANDLER: 0
; COMPUTE_PGM_RSRC2:TGID_X_EN: 1
; COMPUTE_PGM_RSRC2:TGID_Y_EN: 0
; COMPUTE_PGM_RSRC2:TGID_Z_EN: 0
; COMPUTE_PGM_RSRC2:TIDIG_COMP_CNT: 0
	.section	.text._ZN7rocprim17ROCPRIM_400000_NS6detail17trampoline_kernelINS0_13select_configILj256ELj13ELNS0_17block_load_methodE3ELS4_3ELS4_3ELNS0_20block_scan_algorithmE0ELj4294967295EEENS1_25partition_config_selectorILNS1_17partition_subalgoE3EjNS0_10empty_typeEbEEZZNS1_14partition_implILS8_3ELb0ES6_jNS0_17counting_iteratorIjlEEPS9_SE_NS0_5tupleIJPjSE_EEENSF_IJSE_SE_EEES9_SG_JZNS1_25segmented_radix_sort_implINS0_14default_configELb1EPKdPdPKlPlN2at6native12_GLOBAL__N_18offset_tEEE10hipError_tPvRmT1_PNSt15iterator_traitsISY_E10value_typeET2_T3_PNSZ_IS14_E10value_typeET4_jRbjT5_S1A_jjP12ihipStream_tbEUljE_EEESV_SW_SX_S14_S18_S1A_T6_T7_T9_mT8_S1C_bDpT10_ENKUlT_T0_E_clISt17integral_constantIbLb1EES1P_EEDaS1K_S1L_EUlS1K_E_NS1_11comp_targetILNS1_3genE4ELNS1_11target_archE910ELNS1_3gpuE8ELNS1_3repE0EEENS1_30default_config_static_selectorELNS0_4arch9wavefront6targetE0EEEvSY_,"axG",@progbits,_ZN7rocprim17ROCPRIM_400000_NS6detail17trampoline_kernelINS0_13select_configILj256ELj13ELNS0_17block_load_methodE3ELS4_3ELS4_3ELNS0_20block_scan_algorithmE0ELj4294967295EEENS1_25partition_config_selectorILNS1_17partition_subalgoE3EjNS0_10empty_typeEbEEZZNS1_14partition_implILS8_3ELb0ES6_jNS0_17counting_iteratorIjlEEPS9_SE_NS0_5tupleIJPjSE_EEENSF_IJSE_SE_EEES9_SG_JZNS1_25segmented_radix_sort_implINS0_14default_configELb1EPKdPdPKlPlN2at6native12_GLOBAL__N_18offset_tEEE10hipError_tPvRmT1_PNSt15iterator_traitsISY_E10value_typeET2_T3_PNSZ_IS14_E10value_typeET4_jRbjT5_S1A_jjP12ihipStream_tbEUljE_EEESV_SW_SX_S14_S18_S1A_T6_T7_T9_mT8_S1C_bDpT10_ENKUlT_T0_E_clISt17integral_constantIbLb1EES1P_EEDaS1K_S1L_EUlS1K_E_NS1_11comp_targetILNS1_3genE4ELNS1_11target_archE910ELNS1_3gpuE8ELNS1_3repE0EEENS1_30default_config_static_selectorELNS0_4arch9wavefront6targetE0EEEvSY_,comdat
	.globl	_ZN7rocprim17ROCPRIM_400000_NS6detail17trampoline_kernelINS0_13select_configILj256ELj13ELNS0_17block_load_methodE3ELS4_3ELS4_3ELNS0_20block_scan_algorithmE0ELj4294967295EEENS1_25partition_config_selectorILNS1_17partition_subalgoE3EjNS0_10empty_typeEbEEZZNS1_14partition_implILS8_3ELb0ES6_jNS0_17counting_iteratorIjlEEPS9_SE_NS0_5tupleIJPjSE_EEENSF_IJSE_SE_EEES9_SG_JZNS1_25segmented_radix_sort_implINS0_14default_configELb1EPKdPdPKlPlN2at6native12_GLOBAL__N_18offset_tEEE10hipError_tPvRmT1_PNSt15iterator_traitsISY_E10value_typeET2_T3_PNSZ_IS14_E10value_typeET4_jRbjT5_S1A_jjP12ihipStream_tbEUljE_EEESV_SW_SX_S14_S18_S1A_T6_T7_T9_mT8_S1C_bDpT10_ENKUlT_T0_E_clISt17integral_constantIbLb1EES1P_EEDaS1K_S1L_EUlS1K_E_NS1_11comp_targetILNS1_3genE4ELNS1_11target_archE910ELNS1_3gpuE8ELNS1_3repE0EEENS1_30default_config_static_selectorELNS0_4arch9wavefront6targetE0EEEvSY_ ; -- Begin function _ZN7rocprim17ROCPRIM_400000_NS6detail17trampoline_kernelINS0_13select_configILj256ELj13ELNS0_17block_load_methodE3ELS4_3ELS4_3ELNS0_20block_scan_algorithmE0ELj4294967295EEENS1_25partition_config_selectorILNS1_17partition_subalgoE3EjNS0_10empty_typeEbEEZZNS1_14partition_implILS8_3ELb0ES6_jNS0_17counting_iteratorIjlEEPS9_SE_NS0_5tupleIJPjSE_EEENSF_IJSE_SE_EEES9_SG_JZNS1_25segmented_radix_sort_implINS0_14default_configELb1EPKdPdPKlPlN2at6native12_GLOBAL__N_18offset_tEEE10hipError_tPvRmT1_PNSt15iterator_traitsISY_E10value_typeET2_T3_PNSZ_IS14_E10value_typeET4_jRbjT5_S1A_jjP12ihipStream_tbEUljE_EEESV_SW_SX_S14_S18_S1A_T6_T7_T9_mT8_S1C_bDpT10_ENKUlT_T0_E_clISt17integral_constantIbLb1EES1P_EEDaS1K_S1L_EUlS1K_E_NS1_11comp_targetILNS1_3genE4ELNS1_11target_archE910ELNS1_3gpuE8ELNS1_3repE0EEENS1_30default_config_static_selectorELNS0_4arch9wavefront6targetE0EEEvSY_
	.p2align	8
	.type	_ZN7rocprim17ROCPRIM_400000_NS6detail17trampoline_kernelINS0_13select_configILj256ELj13ELNS0_17block_load_methodE3ELS4_3ELS4_3ELNS0_20block_scan_algorithmE0ELj4294967295EEENS1_25partition_config_selectorILNS1_17partition_subalgoE3EjNS0_10empty_typeEbEEZZNS1_14partition_implILS8_3ELb0ES6_jNS0_17counting_iteratorIjlEEPS9_SE_NS0_5tupleIJPjSE_EEENSF_IJSE_SE_EEES9_SG_JZNS1_25segmented_radix_sort_implINS0_14default_configELb1EPKdPdPKlPlN2at6native12_GLOBAL__N_18offset_tEEE10hipError_tPvRmT1_PNSt15iterator_traitsISY_E10value_typeET2_T3_PNSZ_IS14_E10value_typeET4_jRbjT5_S1A_jjP12ihipStream_tbEUljE_EEESV_SW_SX_S14_S18_S1A_T6_T7_T9_mT8_S1C_bDpT10_ENKUlT_T0_E_clISt17integral_constantIbLb1EES1P_EEDaS1K_S1L_EUlS1K_E_NS1_11comp_targetILNS1_3genE4ELNS1_11target_archE910ELNS1_3gpuE8ELNS1_3repE0EEENS1_30default_config_static_selectorELNS0_4arch9wavefront6targetE0EEEvSY_,@function
_ZN7rocprim17ROCPRIM_400000_NS6detail17trampoline_kernelINS0_13select_configILj256ELj13ELNS0_17block_load_methodE3ELS4_3ELS4_3ELNS0_20block_scan_algorithmE0ELj4294967295EEENS1_25partition_config_selectorILNS1_17partition_subalgoE3EjNS0_10empty_typeEbEEZZNS1_14partition_implILS8_3ELb0ES6_jNS0_17counting_iteratorIjlEEPS9_SE_NS0_5tupleIJPjSE_EEENSF_IJSE_SE_EEES9_SG_JZNS1_25segmented_radix_sort_implINS0_14default_configELb1EPKdPdPKlPlN2at6native12_GLOBAL__N_18offset_tEEE10hipError_tPvRmT1_PNSt15iterator_traitsISY_E10value_typeET2_T3_PNSZ_IS14_E10value_typeET4_jRbjT5_S1A_jjP12ihipStream_tbEUljE_EEESV_SW_SX_S14_S18_S1A_T6_T7_T9_mT8_S1C_bDpT10_ENKUlT_T0_E_clISt17integral_constantIbLb1EES1P_EEDaS1K_S1L_EUlS1K_E_NS1_11comp_targetILNS1_3genE4ELNS1_11target_archE910ELNS1_3gpuE8ELNS1_3repE0EEENS1_30default_config_static_selectorELNS0_4arch9wavefront6targetE0EEEvSY_: ; @_ZN7rocprim17ROCPRIM_400000_NS6detail17trampoline_kernelINS0_13select_configILj256ELj13ELNS0_17block_load_methodE3ELS4_3ELS4_3ELNS0_20block_scan_algorithmE0ELj4294967295EEENS1_25partition_config_selectorILNS1_17partition_subalgoE3EjNS0_10empty_typeEbEEZZNS1_14partition_implILS8_3ELb0ES6_jNS0_17counting_iteratorIjlEEPS9_SE_NS0_5tupleIJPjSE_EEENSF_IJSE_SE_EEES9_SG_JZNS1_25segmented_radix_sort_implINS0_14default_configELb1EPKdPdPKlPlN2at6native12_GLOBAL__N_18offset_tEEE10hipError_tPvRmT1_PNSt15iterator_traitsISY_E10value_typeET2_T3_PNSZ_IS14_E10value_typeET4_jRbjT5_S1A_jjP12ihipStream_tbEUljE_EEESV_SW_SX_S14_S18_S1A_T6_T7_T9_mT8_S1C_bDpT10_ENKUlT_T0_E_clISt17integral_constantIbLb1EES1P_EEDaS1K_S1L_EUlS1K_E_NS1_11comp_targetILNS1_3genE4ELNS1_11target_archE910ELNS1_3gpuE8ELNS1_3repE0EEENS1_30default_config_static_selectorELNS0_4arch9wavefront6targetE0EEEvSY_
; %bb.0:
	.section	.rodata,"a",@progbits
	.p2align	6, 0x0
	.amdhsa_kernel _ZN7rocprim17ROCPRIM_400000_NS6detail17trampoline_kernelINS0_13select_configILj256ELj13ELNS0_17block_load_methodE3ELS4_3ELS4_3ELNS0_20block_scan_algorithmE0ELj4294967295EEENS1_25partition_config_selectorILNS1_17partition_subalgoE3EjNS0_10empty_typeEbEEZZNS1_14partition_implILS8_3ELb0ES6_jNS0_17counting_iteratorIjlEEPS9_SE_NS0_5tupleIJPjSE_EEENSF_IJSE_SE_EEES9_SG_JZNS1_25segmented_radix_sort_implINS0_14default_configELb1EPKdPdPKlPlN2at6native12_GLOBAL__N_18offset_tEEE10hipError_tPvRmT1_PNSt15iterator_traitsISY_E10value_typeET2_T3_PNSZ_IS14_E10value_typeET4_jRbjT5_S1A_jjP12ihipStream_tbEUljE_EEESV_SW_SX_S14_S18_S1A_T6_T7_T9_mT8_S1C_bDpT10_ENKUlT_T0_E_clISt17integral_constantIbLb1EES1P_EEDaS1K_S1L_EUlS1K_E_NS1_11comp_targetILNS1_3genE4ELNS1_11target_archE910ELNS1_3gpuE8ELNS1_3repE0EEENS1_30default_config_static_selectorELNS0_4arch9wavefront6targetE0EEEvSY_
		.amdhsa_group_segment_fixed_size 0
		.amdhsa_private_segment_fixed_size 0
		.amdhsa_kernarg_size 152
		.amdhsa_user_sgpr_count 15
		.amdhsa_user_sgpr_dispatch_ptr 0
		.amdhsa_user_sgpr_queue_ptr 0
		.amdhsa_user_sgpr_kernarg_segment_ptr 1
		.amdhsa_user_sgpr_dispatch_id 0
		.amdhsa_user_sgpr_private_segment_size 0
		.amdhsa_wavefront_size32 1
		.amdhsa_uses_dynamic_stack 0
		.amdhsa_enable_private_segment 0
		.amdhsa_system_sgpr_workgroup_id_x 1
		.amdhsa_system_sgpr_workgroup_id_y 0
		.amdhsa_system_sgpr_workgroup_id_z 0
		.amdhsa_system_sgpr_workgroup_info 0
		.amdhsa_system_vgpr_workitem_id 0
		.amdhsa_next_free_vgpr 1
		.amdhsa_next_free_sgpr 1
		.amdhsa_reserve_vcc 0
		.amdhsa_float_round_mode_32 0
		.amdhsa_float_round_mode_16_64 0
		.amdhsa_float_denorm_mode_32 3
		.amdhsa_float_denorm_mode_16_64 3
		.amdhsa_dx10_clamp 1
		.amdhsa_ieee_mode 1
		.amdhsa_fp16_overflow 0
		.amdhsa_workgroup_processor_mode 1
		.amdhsa_memory_ordered 1
		.amdhsa_forward_progress 0
		.amdhsa_shared_vgpr_count 0
		.amdhsa_exception_fp_ieee_invalid_op 0
		.amdhsa_exception_fp_denorm_src 0
		.amdhsa_exception_fp_ieee_div_zero 0
		.amdhsa_exception_fp_ieee_overflow 0
		.amdhsa_exception_fp_ieee_underflow 0
		.amdhsa_exception_fp_ieee_inexact 0
		.amdhsa_exception_int_div_zero 0
	.end_amdhsa_kernel
	.section	.text._ZN7rocprim17ROCPRIM_400000_NS6detail17trampoline_kernelINS0_13select_configILj256ELj13ELNS0_17block_load_methodE3ELS4_3ELS4_3ELNS0_20block_scan_algorithmE0ELj4294967295EEENS1_25partition_config_selectorILNS1_17partition_subalgoE3EjNS0_10empty_typeEbEEZZNS1_14partition_implILS8_3ELb0ES6_jNS0_17counting_iteratorIjlEEPS9_SE_NS0_5tupleIJPjSE_EEENSF_IJSE_SE_EEES9_SG_JZNS1_25segmented_radix_sort_implINS0_14default_configELb1EPKdPdPKlPlN2at6native12_GLOBAL__N_18offset_tEEE10hipError_tPvRmT1_PNSt15iterator_traitsISY_E10value_typeET2_T3_PNSZ_IS14_E10value_typeET4_jRbjT5_S1A_jjP12ihipStream_tbEUljE_EEESV_SW_SX_S14_S18_S1A_T6_T7_T9_mT8_S1C_bDpT10_ENKUlT_T0_E_clISt17integral_constantIbLb1EES1P_EEDaS1K_S1L_EUlS1K_E_NS1_11comp_targetILNS1_3genE4ELNS1_11target_archE910ELNS1_3gpuE8ELNS1_3repE0EEENS1_30default_config_static_selectorELNS0_4arch9wavefront6targetE0EEEvSY_,"axG",@progbits,_ZN7rocprim17ROCPRIM_400000_NS6detail17trampoline_kernelINS0_13select_configILj256ELj13ELNS0_17block_load_methodE3ELS4_3ELS4_3ELNS0_20block_scan_algorithmE0ELj4294967295EEENS1_25partition_config_selectorILNS1_17partition_subalgoE3EjNS0_10empty_typeEbEEZZNS1_14partition_implILS8_3ELb0ES6_jNS0_17counting_iteratorIjlEEPS9_SE_NS0_5tupleIJPjSE_EEENSF_IJSE_SE_EEES9_SG_JZNS1_25segmented_radix_sort_implINS0_14default_configELb1EPKdPdPKlPlN2at6native12_GLOBAL__N_18offset_tEEE10hipError_tPvRmT1_PNSt15iterator_traitsISY_E10value_typeET2_T3_PNSZ_IS14_E10value_typeET4_jRbjT5_S1A_jjP12ihipStream_tbEUljE_EEESV_SW_SX_S14_S18_S1A_T6_T7_T9_mT8_S1C_bDpT10_ENKUlT_T0_E_clISt17integral_constantIbLb1EES1P_EEDaS1K_S1L_EUlS1K_E_NS1_11comp_targetILNS1_3genE4ELNS1_11target_archE910ELNS1_3gpuE8ELNS1_3repE0EEENS1_30default_config_static_selectorELNS0_4arch9wavefront6targetE0EEEvSY_,comdat
.Lfunc_end1096:
	.size	_ZN7rocprim17ROCPRIM_400000_NS6detail17trampoline_kernelINS0_13select_configILj256ELj13ELNS0_17block_load_methodE3ELS4_3ELS4_3ELNS0_20block_scan_algorithmE0ELj4294967295EEENS1_25partition_config_selectorILNS1_17partition_subalgoE3EjNS0_10empty_typeEbEEZZNS1_14partition_implILS8_3ELb0ES6_jNS0_17counting_iteratorIjlEEPS9_SE_NS0_5tupleIJPjSE_EEENSF_IJSE_SE_EEES9_SG_JZNS1_25segmented_radix_sort_implINS0_14default_configELb1EPKdPdPKlPlN2at6native12_GLOBAL__N_18offset_tEEE10hipError_tPvRmT1_PNSt15iterator_traitsISY_E10value_typeET2_T3_PNSZ_IS14_E10value_typeET4_jRbjT5_S1A_jjP12ihipStream_tbEUljE_EEESV_SW_SX_S14_S18_S1A_T6_T7_T9_mT8_S1C_bDpT10_ENKUlT_T0_E_clISt17integral_constantIbLb1EES1P_EEDaS1K_S1L_EUlS1K_E_NS1_11comp_targetILNS1_3genE4ELNS1_11target_archE910ELNS1_3gpuE8ELNS1_3repE0EEENS1_30default_config_static_selectorELNS0_4arch9wavefront6targetE0EEEvSY_, .Lfunc_end1096-_ZN7rocprim17ROCPRIM_400000_NS6detail17trampoline_kernelINS0_13select_configILj256ELj13ELNS0_17block_load_methodE3ELS4_3ELS4_3ELNS0_20block_scan_algorithmE0ELj4294967295EEENS1_25partition_config_selectorILNS1_17partition_subalgoE3EjNS0_10empty_typeEbEEZZNS1_14partition_implILS8_3ELb0ES6_jNS0_17counting_iteratorIjlEEPS9_SE_NS0_5tupleIJPjSE_EEENSF_IJSE_SE_EEES9_SG_JZNS1_25segmented_radix_sort_implINS0_14default_configELb1EPKdPdPKlPlN2at6native12_GLOBAL__N_18offset_tEEE10hipError_tPvRmT1_PNSt15iterator_traitsISY_E10value_typeET2_T3_PNSZ_IS14_E10value_typeET4_jRbjT5_S1A_jjP12ihipStream_tbEUljE_EEESV_SW_SX_S14_S18_S1A_T6_T7_T9_mT8_S1C_bDpT10_ENKUlT_T0_E_clISt17integral_constantIbLb1EES1P_EEDaS1K_S1L_EUlS1K_E_NS1_11comp_targetILNS1_3genE4ELNS1_11target_archE910ELNS1_3gpuE8ELNS1_3repE0EEENS1_30default_config_static_selectorELNS0_4arch9wavefront6targetE0EEEvSY_
                                        ; -- End function
	.section	.AMDGPU.csdata,"",@progbits
; Kernel info:
; codeLenInByte = 0
; NumSgprs: 0
; NumVgprs: 0
; ScratchSize: 0
; MemoryBound: 0
; FloatMode: 240
; IeeeMode: 1
; LDSByteSize: 0 bytes/workgroup (compile time only)
; SGPRBlocks: 0
; VGPRBlocks: 0
; NumSGPRsForWavesPerEU: 1
; NumVGPRsForWavesPerEU: 1
; Occupancy: 16
; WaveLimiterHint : 0
; COMPUTE_PGM_RSRC2:SCRATCH_EN: 0
; COMPUTE_PGM_RSRC2:USER_SGPR: 15
; COMPUTE_PGM_RSRC2:TRAP_HANDLER: 0
; COMPUTE_PGM_RSRC2:TGID_X_EN: 1
; COMPUTE_PGM_RSRC2:TGID_Y_EN: 0
; COMPUTE_PGM_RSRC2:TGID_Z_EN: 0
; COMPUTE_PGM_RSRC2:TIDIG_COMP_CNT: 0
	.section	.text._ZN7rocprim17ROCPRIM_400000_NS6detail17trampoline_kernelINS0_13select_configILj256ELj13ELNS0_17block_load_methodE3ELS4_3ELS4_3ELNS0_20block_scan_algorithmE0ELj4294967295EEENS1_25partition_config_selectorILNS1_17partition_subalgoE3EjNS0_10empty_typeEbEEZZNS1_14partition_implILS8_3ELb0ES6_jNS0_17counting_iteratorIjlEEPS9_SE_NS0_5tupleIJPjSE_EEENSF_IJSE_SE_EEES9_SG_JZNS1_25segmented_radix_sort_implINS0_14default_configELb1EPKdPdPKlPlN2at6native12_GLOBAL__N_18offset_tEEE10hipError_tPvRmT1_PNSt15iterator_traitsISY_E10value_typeET2_T3_PNSZ_IS14_E10value_typeET4_jRbjT5_S1A_jjP12ihipStream_tbEUljE_EEESV_SW_SX_S14_S18_S1A_T6_T7_T9_mT8_S1C_bDpT10_ENKUlT_T0_E_clISt17integral_constantIbLb1EES1P_EEDaS1K_S1L_EUlS1K_E_NS1_11comp_targetILNS1_3genE3ELNS1_11target_archE908ELNS1_3gpuE7ELNS1_3repE0EEENS1_30default_config_static_selectorELNS0_4arch9wavefront6targetE0EEEvSY_,"axG",@progbits,_ZN7rocprim17ROCPRIM_400000_NS6detail17trampoline_kernelINS0_13select_configILj256ELj13ELNS0_17block_load_methodE3ELS4_3ELS4_3ELNS0_20block_scan_algorithmE0ELj4294967295EEENS1_25partition_config_selectorILNS1_17partition_subalgoE3EjNS0_10empty_typeEbEEZZNS1_14partition_implILS8_3ELb0ES6_jNS0_17counting_iteratorIjlEEPS9_SE_NS0_5tupleIJPjSE_EEENSF_IJSE_SE_EEES9_SG_JZNS1_25segmented_radix_sort_implINS0_14default_configELb1EPKdPdPKlPlN2at6native12_GLOBAL__N_18offset_tEEE10hipError_tPvRmT1_PNSt15iterator_traitsISY_E10value_typeET2_T3_PNSZ_IS14_E10value_typeET4_jRbjT5_S1A_jjP12ihipStream_tbEUljE_EEESV_SW_SX_S14_S18_S1A_T6_T7_T9_mT8_S1C_bDpT10_ENKUlT_T0_E_clISt17integral_constantIbLb1EES1P_EEDaS1K_S1L_EUlS1K_E_NS1_11comp_targetILNS1_3genE3ELNS1_11target_archE908ELNS1_3gpuE7ELNS1_3repE0EEENS1_30default_config_static_selectorELNS0_4arch9wavefront6targetE0EEEvSY_,comdat
	.globl	_ZN7rocprim17ROCPRIM_400000_NS6detail17trampoline_kernelINS0_13select_configILj256ELj13ELNS0_17block_load_methodE3ELS4_3ELS4_3ELNS0_20block_scan_algorithmE0ELj4294967295EEENS1_25partition_config_selectorILNS1_17partition_subalgoE3EjNS0_10empty_typeEbEEZZNS1_14partition_implILS8_3ELb0ES6_jNS0_17counting_iteratorIjlEEPS9_SE_NS0_5tupleIJPjSE_EEENSF_IJSE_SE_EEES9_SG_JZNS1_25segmented_radix_sort_implINS0_14default_configELb1EPKdPdPKlPlN2at6native12_GLOBAL__N_18offset_tEEE10hipError_tPvRmT1_PNSt15iterator_traitsISY_E10value_typeET2_T3_PNSZ_IS14_E10value_typeET4_jRbjT5_S1A_jjP12ihipStream_tbEUljE_EEESV_SW_SX_S14_S18_S1A_T6_T7_T9_mT8_S1C_bDpT10_ENKUlT_T0_E_clISt17integral_constantIbLb1EES1P_EEDaS1K_S1L_EUlS1K_E_NS1_11comp_targetILNS1_3genE3ELNS1_11target_archE908ELNS1_3gpuE7ELNS1_3repE0EEENS1_30default_config_static_selectorELNS0_4arch9wavefront6targetE0EEEvSY_ ; -- Begin function _ZN7rocprim17ROCPRIM_400000_NS6detail17trampoline_kernelINS0_13select_configILj256ELj13ELNS0_17block_load_methodE3ELS4_3ELS4_3ELNS0_20block_scan_algorithmE0ELj4294967295EEENS1_25partition_config_selectorILNS1_17partition_subalgoE3EjNS0_10empty_typeEbEEZZNS1_14partition_implILS8_3ELb0ES6_jNS0_17counting_iteratorIjlEEPS9_SE_NS0_5tupleIJPjSE_EEENSF_IJSE_SE_EEES9_SG_JZNS1_25segmented_radix_sort_implINS0_14default_configELb1EPKdPdPKlPlN2at6native12_GLOBAL__N_18offset_tEEE10hipError_tPvRmT1_PNSt15iterator_traitsISY_E10value_typeET2_T3_PNSZ_IS14_E10value_typeET4_jRbjT5_S1A_jjP12ihipStream_tbEUljE_EEESV_SW_SX_S14_S18_S1A_T6_T7_T9_mT8_S1C_bDpT10_ENKUlT_T0_E_clISt17integral_constantIbLb1EES1P_EEDaS1K_S1L_EUlS1K_E_NS1_11comp_targetILNS1_3genE3ELNS1_11target_archE908ELNS1_3gpuE7ELNS1_3repE0EEENS1_30default_config_static_selectorELNS0_4arch9wavefront6targetE0EEEvSY_
	.p2align	8
	.type	_ZN7rocprim17ROCPRIM_400000_NS6detail17trampoline_kernelINS0_13select_configILj256ELj13ELNS0_17block_load_methodE3ELS4_3ELS4_3ELNS0_20block_scan_algorithmE0ELj4294967295EEENS1_25partition_config_selectorILNS1_17partition_subalgoE3EjNS0_10empty_typeEbEEZZNS1_14partition_implILS8_3ELb0ES6_jNS0_17counting_iteratorIjlEEPS9_SE_NS0_5tupleIJPjSE_EEENSF_IJSE_SE_EEES9_SG_JZNS1_25segmented_radix_sort_implINS0_14default_configELb1EPKdPdPKlPlN2at6native12_GLOBAL__N_18offset_tEEE10hipError_tPvRmT1_PNSt15iterator_traitsISY_E10value_typeET2_T3_PNSZ_IS14_E10value_typeET4_jRbjT5_S1A_jjP12ihipStream_tbEUljE_EEESV_SW_SX_S14_S18_S1A_T6_T7_T9_mT8_S1C_bDpT10_ENKUlT_T0_E_clISt17integral_constantIbLb1EES1P_EEDaS1K_S1L_EUlS1K_E_NS1_11comp_targetILNS1_3genE3ELNS1_11target_archE908ELNS1_3gpuE7ELNS1_3repE0EEENS1_30default_config_static_selectorELNS0_4arch9wavefront6targetE0EEEvSY_,@function
_ZN7rocprim17ROCPRIM_400000_NS6detail17trampoline_kernelINS0_13select_configILj256ELj13ELNS0_17block_load_methodE3ELS4_3ELS4_3ELNS0_20block_scan_algorithmE0ELj4294967295EEENS1_25partition_config_selectorILNS1_17partition_subalgoE3EjNS0_10empty_typeEbEEZZNS1_14partition_implILS8_3ELb0ES6_jNS0_17counting_iteratorIjlEEPS9_SE_NS0_5tupleIJPjSE_EEENSF_IJSE_SE_EEES9_SG_JZNS1_25segmented_radix_sort_implINS0_14default_configELb1EPKdPdPKlPlN2at6native12_GLOBAL__N_18offset_tEEE10hipError_tPvRmT1_PNSt15iterator_traitsISY_E10value_typeET2_T3_PNSZ_IS14_E10value_typeET4_jRbjT5_S1A_jjP12ihipStream_tbEUljE_EEESV_SW_SX_S14_S18_S1A_T6_T7_T9_mT8_S1C_bDpT10_ENKUlT_T0_E_clISt17integral_constantIbLb1EES1P_EEDaS1K_S1L_EUlS1K_E_NS1_11comp_targetILNS1_3genE3ELNS1_11target_archE908ELNS1_3gpuE7ELNS1_3repE0EEENS1_30default_config_static_selectorELNS0_4arch9wavefront6targetE0EEEvSY_: ; @_ZN7rocprim17ROCPRIM_400000_NS6detail17trampoline_kernelINS0_13select_configILj256ELj13ELNS0_17block_load_methodE3ELS4_3ELS4_3ELNS0_20block_scan_algorithmE0ELj4294967295EEENS1_25partition_config_selectorILNS1_17partition_subalgoE3EjNS0_10empty_typeEbEEZZNS1_14partition_implILS8_3ELb0ES6_jNS0_17counting_iteratorIjlEEPS9_SE_NS0_5tupleIJPjSE_EEENSF_IJSE_SE_EEES9_SG_JZNS1_25segmented_radix_sort_implINS0_14default_configELb1EPKdPdPKlPlN2at6native12_GLOBAL__N_18offset_tEEE10hipError_tPvRmT1_PNSt15iterator_traitsISY_E10value_typeET2_T3_PNSZ_IS14_E10value_typeET4_jRbjT5_S1A_jjP12ihipStream_tbEUljE_EEESV_SW_SX_S14_S18_S1A_T6_T7_T9_mT8_S1C_bDpT10_ENKUlT_T0_E_clISt17integral_constantIbLb1EES1P_EEDaS1K_S1L_EUlS1K_E_NS1_11comp_targetILNS1_3genE3ELNS1_11target_archE908ELNS1_3gpuE7ELNS1_3repE0EEENS1_30default_config_static_selectorELNS0_4arch9wavefront6targetE0EEEvSY_
; %bb.0:
	.section	.rodata,"a",@progbits
	.p2align	6, 0x0
	.amdhsa_kernel _ZN7rocprim17ROCPRIM_400000_NS6detail17trampoline_kernelINS0_13select_configILj256ELj13ELNS0_17block_load_methodE3ELS4_3ELS4_3ELNS0_20block_scan_algorithmE0ELj4294967295EEENS1_25partition_config_selectorILNS1_17partition_subalgoE3EjNS0_10empty_typeEbEEZZNS1_14partition_implILS8_3ELb0ES6_jNS0_17counting_iteratorIjlEEPS9_SE_NS0_5tupleIJPjSE_EEENSF_IJSE_SE_EEES9_SG_JZNS1_25segmented_radix_sort_implINS0_14default_configELb1EPKdPdPKlPlN2at6native12_GLOBAL__N_18offset_tEEE10hipError_tPvRmT1_PNSt15iterator_traitsISY_E10value_typeET2_T3_PNSZ_IS14_E10value_typeET4_jRbjT5_S1A_jjP12ihipStream_tbEUljE_EEESV_SW_SX_S14_S18_S1A_T6_T7_T9_mT8_S1C_bDpT10_ENKUlT_T0_E_clISt17integral_constantIbLb1EES1P_EEDaS1K_S1L_EUlS1K_E_NS1_11comp_targetILNS1_3genE3ELNS1_11target_archE908ELNS1_3gpuE7ELNS1_3repE0EEENS1_30default_config_static_selectorELNS0_4arch9wavefront6targetE0EEEvSY_
		.amdhsa_group_segment_fixed_size 0
		.amdhsa_private_segment_fixed_size 0
		.amdhsa_kernarg_size 152
		.amdhsa_user_sgpr_count 15
		.amdhsa_user_sgpr_dispatch_ptr 0
		.amdhsa_user_sgpr_queue_ptr 0
		.amdhsa_user_sgpr_kernarg_segment_ptr 1
		.amdhsa_user_sgpr_dispatch_id 0
		.amdhsa_user_sgpr_private_segment_size 0
		.amdhsa_wavefront_size32 1
		.amdhsa_uses_dynamic_stack 0
		.amdhsa_enable_private_segment 0
		.amdhsa_system_sgpr_workgroup_id_x 1
		.amdhsa_system_sgpr_workgroup_id_y 0
		.amdhsa_system_sgpr_workgroup_id_z 0
		.amdhsa_system_sgpr_workgroup_info 0
		.amdhsa_system_vgpr_workitem_id 0
		.amdhsa_next_free_vgpr 1
		.amdhsa_next_free_sgpr 1
		.amdhsa_reserve_vcc 0
		.amdhsa_float_round_mode_32 0
		.amdhsa_float_round_mode_16_64 0
		.amdhsa_float_denorm_mode_32 3
		.amdhsa_float_denorm_mode_16_64 3
		.amdhsa_dx10_clamp 1
		.amdhsa_ieee_mode 1
		.amdhsa_fp16_overflow 0
		.amdhsa_workgroup_processor_mode 1
		.amdhsa_memory_ordered 1
		.amdhsa_forward_progress 0
		.amdhsa_shared_vgpr_count 0
		.amdhsa_exception_fp_ieee_invalid_op 0
		.amdhsa_exception_fp_denorm_src 0
		.amdhsa_exception_fp_ieee_div_zero 0
		.amdhsa_exception_fp_ieee_overflow 0
		.amdhsa_exception_fp_ieee_underflow 0
		.amdhsa_exception_fp_ieee_inexact 0
		.amdhsa_exception_int_div_zero 0
	.end_amdhsa_kernel
	.section	.text._ZN7rocprim17ROCPRIM_400000_NS6detail17trampoline_kernelINS0_13select_configILj256ELj13ELNS0_17block_load_methodE3ELS4_3ELS4_3ELNS0_20block_scan_algorithmE0ELj4294967295EEENS1_25partition_config_selectorILNS1_17partition_subalgoE3EjNS0_10empty_typeEbEEZZNS1_14partition_implILS8_3ELb0ES6_jNS0_17counting_iteratorIjlEEPS9_SE_NS0_5tupleIJPjSE_EEENSF_IJSE_SE_EEES9_SG_JZNS1_25segmented_radix_sort_implINS0_14default_configELb1EPKdPdPKlPlN2at6native12_GLOBAL__N_18offset_tEEE10hipError_tPvRmT1_PNSt15iterator_traitsISY_E10value_typeET2_T3_PNSZ_IS14_E10value_typeET4_jRbjT5_S1A_jjP12ihipStream_tbEUljE_EEESV_SW_SX_S14_S18_S1A_T6_T7_T9_mT8_S1C_bDpT10_ENKUlT_T0_E_clISt17integral_constantIbLb1EES1P_EEDaS1K_S1L_EUlS1K_E_NS1_11comp_targetILNS1_3genE3ELNS1_11target_archE908ELNS1_3gpuE7ELNS1_3repE0EEENS1_30default_config_static_selectorELNS0_4arch9wavefront6targetE0EEEvSY_,"axG",@progbits,_ZN7rocprim17ROCPRIM_400000_NS6detail17trampoline_kernelINS0_13select_configILj256ELj13ELNS0_17block_load_methodE3ELS4_3ELS4_3ELNS0_20block_scan_algorithmE0ELj4294967295EEENS1_25partition_config_selectorILNS1_17partition_subalgoE3EjNS0_10empty_typeEbEEZZNS1_14partition_implILS8_3ELb0ES6_jNS0_17counting_iteratorIjlEEPS9_SE_NS0_5tupleIJPjSE_EEENSF_IJSE_SE_EEES9_SG_JZNS1_25segmented_radix_sort_implINS0_14default_configELb1EPKdPdPKlPlN2at6native12_GLOBAL__N_18offset_tEEE10hipError_tPvRmT1_PNSt15iterator_traitsISY_E10value_typeET2_T3_PNSZ_IS14_E10value_typeET4_jRbjT5_S1A_jjP12ihipStream_tbEUljE_EEESV_SW_SX_S14_S18_S1A_T6_T7_T9_mT8_S1C_bDpT10_ENKUlT_T0_E_clISt17integral_constantIbLb1EES1P_EEDaS1K_S1L_EUlS1K_E_NS1_11comp_targetILNS1_3genE3ELNS1_11target_archE908ELNS1_3gpuE7ELNS1_3repE0EEENS1_30default_config_static_selectorELNS0_4arch9wavefront6targetE0EEEvSY_,comdat
.Lfunc_end1097:
	.size	_ZN7rocprim17ROCPRIM_400000_NS6detail17trampoline_kernelINS0_13select_configILj256ELj13ELNS0_17block_load_methodE3ELS4_3ELS4_3ELNS0_20block_scan_algorithmE0ELj4294967295EEENS1_25partition_config_selectorILNS1_17partition_subalgoE3EjNS0_10empty_typeEbEEZZNS1_14partition_implILS8_3ELb0ES6_jNS0_17counting_iteratorIjlEEPS9_SE_NS0_5tupleIJPjSE_EEENSF_IJSE_SE_EEES9_SG_JZNS1_25segmented_radix_sort_implINS0_14default_configELb1EPKdPdPKlPlN2at6native12_GLOBAL__N_18offset_tEEE10hipError_tPvRmT1_PNSt15iterator_traitsISY_E10value_typeET2_T3_PNSZ_IS14_E10value_typeET4_jRbjT5_S1A_jjP12ihipStream_tbEUljE_EEESV_SW_SX_S14_S18_S1A_T6_T7_T9_mT8_S1C_bDpT10_ENKUlT_T0_E_clISt17integral_constantIbLb1EES1P_EEDaS1K_S1L_EUlS1K_E_NS1_11comp_targetILNS1_3genE3ELNS1_11target_archE908ELNS1_3gpuE7ELNS1_3repE0EEENS1_30default_config_static_selectorELNS0_4arch9wavefront6targetE0EEEvSY_, .Lfunc_end1097-_ZN7rocprim17ROCPRIM_400000_NS6detail17trampoline_kernelINS0_13select_configILj256ELj13ELNS0_17block_load_methodE3ELS4_3ELS4_3ELNS0_20block_scan_algorithmE0ELj4294967295EEENS1_25partition_config_selectorILNS1_17partition_subalgoE3EjNS0_10empty_typeEbEEZZNS1_14partition_implILS8_3ELb0ES6_jNS0_17counting_iteratorIjlEEPS9_SE_NS0_5tupleIJPjSE_EEENSF_IJSE_SE_EEES9_SG_JZNS1_25segmented_radix_sort_implINS0_14default_configELb1EPKdPdPKlPlN2at6native12_GLOBAL__N_18offset_tEEE10hipError_tPvRmT1_PNSt15iterator_traitsISY_E10value_typeET2_T3_PNSZ_IS14_E10value_typeET4_jRbjT5_S1A_jjP12ihipStream_tbEUljE_EEESV_SW_SX_S14_S18_S1A_T6_T7_T9_mT8_S1C_bDpT10_ENKUlT_T0_E_clISt17integral_constantIbLb1EES1P_EEDaS1K_S1L_EUlS1K_E_NS1_11comp_targetILNS1_3genE3ELNS1_11target_archE908ELNS1_3gpuE7ELNS1_3repE0EEENS1_30default_config_static_selectorELNS0_4arch9wavefront6targetE0EEEvSY_
                                        ; -- End function
	.section	.AMDGPU.csdata,"",@progbits
; Kernel info:
; codeLenInByte = 0
; NumSgprs: 0
; NumVgprs: 0
; ScratchSize: 0
; MemoryBound: 0
; FloatMode: 240
; IeeeMode: 1
; LDSByteSize: 0 bytes/workgroup (compile time only)
; SGPRBlocks: 0
; VGPRBlocks: 0
; NumSGPRsForWavesPerEU: 1
; NumVGPRsForWavesPerEU: 1
; Occupancy: 16
; WaveLimiterHint : 0
; COMPUTE_PGM_RSRC2:SCRATCH_EN: 0
; COMPUTE_PGM_RSRC2:USER_SGPR: 15
; COMPUTE_PGM_RSRC2:TRAP_HANDLER: 0
; COMPUTE_PGM_RSRC2:TGID_X_EN: 1
; COMPUTE_PGM_RSRC2:TGID_Y_EN: 0
; COMPUTE_PGM_RSRC2:TGID_Z_EN: 0
; COMPUTE_PGM_RSRC2:TIDIG_COMP_CNT: 0
	.section	.text._ZN7rocprim17ROCPRIM_400000_NS6detail17trampoline_kernelINS0_13select_configILj256ELj13ELNS0_17block_load_methodE3ELS4_3ELS4_3ELNS0_20block_scan_algorithmE0ELj4294967295EEENS1_25partition_config_selectorILNS1_17partition_subalgoE3EjNS0_10empty_typeEbEEZZNS1_14partition_implILS8_3ELb0ES6_jNS0_17counting_iteratorIjlEEPS9_SE_NS0_5tupleIJPjSE_EEENSF_IJSE_SE_EEES9_SG_JZNS1_25segmented_radix_sort_implINS0_14default_configELb1EPKdPdPKlPlN2at6native12_GLOBAL__N_18offset_tEEE10hipError_tPvRmT1_PNSt15iterator_traitsISY_E10value_typeET2_T3_PNSZ_IS14_E10value_typeET4_jRbjT5_S1A_jjP12ihipStream_tbEUljE_EEESV_SW_SX_S14_S18_S1A_T6_T7_T9_mT8_S1C_bDpT10_ENKUlT_T0_E_clISt17integral_constantIbLb1EES1P_EEDaS1K_S1L_EUlS1K_E_NS1_11comp_targetILNS1_3genE2ELNS1_11target_archE906ELNS1_3gpuE6ELNS1_3repE0EEENS1_30default_config_static_selectorELNS0_4arch9wavefront6targetE0EEEvSY_,"axG",@progbits,_ZN7rocprim17ROCPRIM_400000_NS6detail17trampoline_kernelINS0_13select_configILj256ELj13ELNS0_17block_load_methodE3ELS4_3ELS4_3ELNS0_20block_scan_algorithmE0ELj4294967295EEENS1_25partition_config_selectorILNS1_17partition_subalgoE3EjNS0_10empty_typeEbEEZZNS1_14partition_implILS8_3ELb0ES6_jNS0_17counting_iteratorIjlEEPS9_SE_NS0_5tupleIJPjSE_EEENSF_IJSE_SE_EEES9_SG_JZNS1_25segmented_radix_sort_implINS0_14default_configELb1EPKdPdPKlPlN2at6native12_GLOBAL__N_18offset_tEEE10hipError_tPvRmT1_PNSt15iterator_traitsISY_E10value_typeET2_T3_PNSZ_IS14_E10value_typeET4_jRbjT5_S1A_jjP12ihipStream_tbEUljE_EEESV_SW_SX_S14_S18_S1A_T6_T7_T9_mT8_S1C_bDpT10_ENKUlT_T0_E_clISt17integral_constantIbLb1EES1P_EEDaS1K_S1L_EUlS1K_E_NS1_11comp_targetILNS1_3genE2ELNS1_11target_archE906ELNS1_3gpuE6ELNS1_3repE0EEENS1_30default_config_static_selectorELNS0_4arch9wavefront6targetE0EEEvSY_,comdat
	.globl	_ZN7rocprim17ROCPRIM_400000_NS6detail17trampoline_kernelINS0_13select_configILj256ELj13ELNS0_17block_load_methodE3ELS4_3ELS4_3ELNS0_20block_scan_algorithmE0ELj4294967295EEENS1_25partition_config_selectorILNS1_17partition_subalgoE3EjNS0_10empty_typeEbEEZZNS1_14partition_implILS8_3ELb0ES6_jNS0_17counting_iteratorIjlEEPS9_SE_NS0_5tupleIJPjSE_EEENSF_IJSE_SE_EEES9_SG_JZNS1_25segmented_radix_sort_implINS0_14default_configELb1EPKdPdPKlPlN2at6native12_GLOBAL__N_18offset_tEEE10hipError_tPvRmT1_PNSt15iterator_traitsISY_E10value_typeET2_T3_PNSZ_IS14_E10value_typeET4_jRbjT5_S1A_jjP12ihipStream_tbEUljE_EEESV_SW_SX_S14_S18_S1A_T6_T7_T9_mT8_S1C_bDpT10_ENKUlT_T0_E_clISt17integral_constantIbLb1EES1P_EEDaS1K_S1L_EUlS1K_E_NS1_11comp_targetILNS1_3genE2ELNS1_11target_archE906ELNS1_3gpuE6ELNS1_3repE0EEENS1_30default_config_static_selectorELNS0_4arch9wavefront6targetE0EEEvSY_ ; -- Begin function _ZN7rocprim17ROCPRIM_400000_NS6detail17trampoline_kernelINS0_13select_configILj256ELj13ELNS0_17block_load_methodE3ELS4_3ELS4_3ELNS0_20block_scan_algorithmE0ELj4294967295EEENS1_25partition_config_selectorILNS1_17partition_subalgoE3EjNS0_10empty_typeEbEEZZNS1_14partition_implILS8_3ELb0ES6_jNS0_17counting_iteratorIjlEEPS9_SE_NS0_5tupleIJPjSE_EEENSF_IJSE_SE_EEES9_SG_JZNS1_25segmented_radix_sort_implINS0_14default_configELb1EPKdPdPKlPlN2at6native12_GLOBAL__N_18offset_tEEE10hipError_tPvRmT1_PNSt15iterator_traitsISY_E10value_typeET2_T3_PNSZ_IS14_E10value_typeET4_jRbjT5_S1A_jjP12ihipStream_tbEUljE_EEESV_SW_SX_S14_S18_S1A_T6_T7_T9_mT8_S1C_bDpT10_ENKUlT_T0_E_clISt17integral_constantIbLb1EES1P_EEDaS1K_S1L_EUlS1K_E_NS1_11comp_targetILNS1_3genE2ELNS1_11target_archE906ELNS1_3gpuE6ELNS1_3repE0EEENS1_30default_config_static_selectorELNS0_4arch9wavefront6targetE0EEEvSY_
	.p2align	8
	.type	_ZN7rocprim17ROCPRIM_400000_NS6detail17trampoline_kernelINS0_13select_configILj256ELj13ELNS0_17block_load_methodE3ELS4_3ELS4_3ELNS0_20block_scan_algorithmE0ELj4294967295EEENS1_25partition_config_selectorILNS1_17partition_subalgoE3EjNS0_10empty_typeEbEEZZNS1_14partition_implILS8_3ELb0ES6_jNS0_17counting_iteratorIjlEEPS9_SE_NS0_5tupleIJPjSE_EEENSF_IJSE_SE_EEES9_SG_JZNS1_25segmented_radix_sort_implINS0_14default_configELb1EPKdPdPKlPlN2at6native12_GLOBAL__N_18offset_tEEE10hipError_tPvRmT1_PNSt15iterator_traitsISY_E10value_typeET2_T3_PNSZ_IS14_E10value_typeET4_jRbjT5_S1A_jjP12ihipStream_tbEUljE_EEESV_SW_SX_S14_S18_S1A_T6_T7_T9_mT8_S1C_bDpT10_ENKUlT_T0_E_clISt17integral_constantIbLb1EES1P_EEDaS1K_S1L_EUlS1K_E_NS1_11comp_targetILNS1_3genE2ELNS1_11target_archE906ELNS1_3gpuE6ELNS1_3repE0EEENS1_30default_config_static_selectorELNS0_4arch9wavefront6targetE0EEEvSY_,@function
_ZN7rocprim17ROCPRIM_400000_NS6detail17trampoline_kernelINS0_13select_configILj256ELj13ELNS0_17block_load_methodE3ELS4_3ELS4_3ELNS0_20block_scan_algorithmE0ELj4294967295EEENS1_25partition_config_selectorILNS1_17partition_subalgoE3EjNS0_10empty_typeEbEEZZNS1_14partition_implILS8_3ELb0ES6_jNS0_17counting_iteratorIjlEEPS9_SE_NS0_5tupleIJPjSE_EEENSF_IJSE_SE_EEES9_SG_JZNS1_25segmented_radix_sort_implINS0_14default_configELb1EPKdPdPKlPlN2at6native12_GLOBAL__N_18offset_tEEE10hipError_tPvRmT1_PNSt15iterator_traitsISY_E10value_typeET2_T3_PNSZ_IS14_E10value_typeET4_jRbjT5_S1A_jjP12ihipStream_tbEUljE_EEESV_SW_SX_S14_S18_S1A_T6_T7_T9_mT8_S1C_bDpT10_ENKUlT_T0_E_clISt17integral_constantIbLb1EES1P_EEDaS1K_S1L_EUlS1K_E_NS1_11comp_targetILNS1_3genE2ELNS1_11target_archE906ELNS1_3gpuE6ELNS1_3repE0EEENS1_30default_config_static_selectorELNS0_4arch9wavefront6targetE0EEEvSY_: ; @_ZN7rocprim17ROCPRIM_400000_NS6detail17trampoline_kernelINS0_13select_configILj256ELj13ELNS0_17block_load_methodE3ELS4_3ELS4_3ELNS0_20block_scan_algorithmE0ELj4294967295EEENS1_25partition_config_selectorILNS1_17partition_subalgoE3EjNS0_10empty_typeEbEEZZNS1_14partition_implILS8_3ELb0ES6_jNS0_17counting_iteratorIjlEEPS9_SE_NS0_5tupleIJPjSE_EEENSF_IJSE_SE_EEES9_SG_JZNS1_25segmented_radix_sort_implINS0_14default_configELb1EPKdPdPKlPlN2at6native12_GLOBAL__N_18offset_tEEE10hipError_tPvRmT1_PNSt15iterator_traitsISY_E10value_typeET2_T3_PNSZ_IS14_E10value_typeET4_jRbjT5_S1A_jjP12ihipStream_tbEUljE_EEESV_SW_SX_S14_S18_S1A_T6_T7_T9_mT8_S1C_bDpT10_ENKUlT_T0_E_clISt17integral_constantIbLb1EES1P_EEDaS1K_S1L_EUlS1K_E_NS1_11comp_targetILNS1_3genE2ELNS1_11target_archE906ELNS1_3gpuE6ELNS1_3repE0EEENS1_30default_config_static_selectorELNS0_4arch9wavefront6targetE0EEEvSY_
; %bb.0:
	.section	.rodata,"a",@progbits
	.p2align	6, 0x0
	.amdhsa_kernel _ZN7rocprim17ROCPRIM_400000_NS6detail17trampoline_kernelINS0_13select_configILj256ELj13ELNS0_17block_load_methodE3ELS4_3ELS4_3ELNS0_20block_scan_algorithmE0ELj4294967295EEENS1_25partition_config_selectorILNS1_17partition_subalgoE3EjNS0_10empty_typeEbEEZZNS1_14partition_implILS8_3ELb0ES6_jNS0_17counting_iteratorIjlEEPS9_SE_NS0_5tupleIJPjSE_EEENSF_IJSE_SE_EEES9_SG_JZNS1_25segmented_radix_sort_implINS0_14default_configELb1EPKdPdPKlPlN2at6native12_GLOBAL__N_18offset_tEEE10hipError_tPvRmT1_PNSt15iterator_traitsISY_E10value_typeET2_T3_PNSZ_IS14_E10value_typeET4_jRbjT5_S1A_jjP12ihipStream_tbEUljE_EEESV_SW_SX_S14_S18_S1A_T6_T7_T9_mT8_S1C_bDpT10_ENKUlT_T0_E_clISt17integral_constantIbLb1EES1P_EEDaS1K_S1L_EUlS1K_E_NS1_11comp_targetILNS1_3genE2ELNS1_11target_archE906ELNS1_3gpuE6ELNS1_3repE0EEENS1_30default_config_static_selectorELNS0_4arch9wavefront6targetE0EEEvSY_
		.amdhsa_group_segment_fixed_size 0
		.amdhsa_private_segment_fixed_size 0
		.amdhsa_kernarg_size 152
		.amdhsa_user_sgpr_count 15
		.amdhsa_user_sgpr_dispatch_ptr 0
		.amdhsa_user_sgpr_queue_ptr 0
		.amdhsa_user_sgpr_kernarg_segment_ptr 1
		.amdhsa_user_sgpr_dispatch_id 0
		.amdhsa_user_sgpr_private_segment_size 0
		.amdhsa_wavefront_size32 1
		.amdhsa_uses_dynamic_stack 0
		.amdhsa_enable_private_segment 0
		.amdhsa_system_sgpr_workgroup_id_x 1
		.amdhsa_system_sgpr_workgroup_id_y 0
		.amdhsa_system_sgpr_workgroup_id_z 0
		.amdhsa_system_sgpr_workgroup_info 0
		.amdhsa_system_vgpr_workitem_id 0
		.amdhsa_next_free_vgpr 1
		.amdhsa_next_free_sgpr 1
		.amdhsa_reserve_vcc 0
		.amdhsa_float_round_mode_32 0
		.amdhsa_float_round_mode_16_64 0
		.amdhsa_float_denorm_mode_32 3
		.amdhsa_float_denorm_mode_16_64 3
		.amdhsa_dx10_clamp 1
		.amdhsa_ieee_mode 1
		.amdhsa_fp16_overflow 0
		.amdhsa_workgroup_processor_mode 1
		.amdhsa_memory_ordered 1
		.amdhsa_forward_progress 0
		.amdhsa_shared_vgpr_count 0
		.amdhsa_exception_fp_ieee_invalid_op 0
		.amdhsa_exception_fp_denorm_src 0
		.amdhsa_exception_fp_ieee_div_zero 0
		.amdhsa_exception_fp_ieee_overflow 0
		.amdhsa_exception_fp_ieee_underflow 0
		.amdhsa_exception_fp_ieee_inexact 0
		.amdhsa_exception_int_div_zero 0
	.end_amdhsa_kernel
	.section	.text._ZN7rocprim17ROCPRIM_400000_NS6detail17trampoline_kernelINS0_13select_configILj256ELj13ELNS0_17block_load_methodE3ELS4_3ELS4_3ELNS0_20block_scan_algorithmE0ELj4294967295EEENS1_25partition_config_selectorILNS1_17partition_subalgoE3EjNS0_10empty_typeEbEEZZNS1_14partition_implILS8_3ELb0ES6_jNS0_17counting_iteratorIjlEEPS9_SE_NS0_5tupleIJPjSE_EEENSF_IJSE_SE_EEES9_SG_JZNS1_25segmented_radix_sort_implINS0_14default_configELb1EPKdPdPKlPlN2at6native12_GLOBAL__N_18offset_tEEE10hipError_tPvRmT1_PNSt15iterator_traitsISY_E10value_typeET2_T3_PNSZ_IS14_E10value_typeET4_jRbjT5_S1A_jjP12ihipStream_tbEUljE_EEESV_SW_SX_S14_S18_S1A_T6_T7_T9_mT8_S1C_bDpT10_ENKUlT_T0_E_clISt17integral_constantIbLb1EES1P_EEDaS1K_S1L_EUlS1K_E_NS1_11comp_targetILNS1_3genE2ELNS1_11target_archE906ELNS1_3gpuE6ELNS1_3repE0EEENS1_30default_config_static_selectorELNS0_4arch9wavefront6targetE0EEEvSY_,"axG",@progbits,_ZN7rocprim17ROCPRIM_400000_NS6detail17trampoline_kernelINS0_13select_configILj256ELj13ELNS0_17block_load_methodE3ELS4_3ELS4_3ELNS0_20block_scan_algorithmE0ELj4294967295EEENS1_25partition_config_selectorILNS1_17partition_subalgoE3EjNS0_10empty_typeEbEEZZNS1_14partition_implILS8_3ELb0ES6_jNS0_17counting_iteratorIjlEEPS9_SE_NS0_5tupleIJPjSE_EEENSF_IJSE_SE_EEES9_SG_JZNS1_25segmented_radix_sort_implINS0_14default_configELb1EPKdPdPKlPlN2at6native12_GLOBAL__N_18offset_tEEE10hipError_tPvRmT1_PNSt15iterator_traitsISY_E10value_typeET2_T3_PNSZ_IS14_E10value_typeET4_jRbjT5_S1A_jjP12ihipStream_tbEUljE_EEESV_SW_SX_S14_S18_S1A_T6_T7_T9_mT8_S1C_bDpT10_ENKUlT_T0_E_clISt17integral_constantIbLb1EES1P_EEDaS1K_S1L_EUlS1K_E_NS1_11comp_targetILNS1_3genE2ELNS1_11target_archE906ELNS1_3gpuE6ELNS1_3repE0EEENS1_30default_config_static_selectorELNS0_4arch9wavefront6targetE0EEEvSY_,comdat
.Lfunc_end1098:
	.size	_ZN7rocprim17ROCPRIM_400000_NS6detail17trampoline_kernelINS0_13select_configILj256ELj13ELNS0_17block_load_methodE3ELS4_3ELS4_3ELNS0_20block_scan_algorithmE0ELj4294967295EEENS1_25partition_config_selectorILNS1_17partition_subalgoE3EjNS0_10empty_typeEbEEZZNS1_14partition_implILS8_3ELb0ES6_jNS0_17counting_iteratorIjlEEPS9_SE_NS0_5tupleIJPjSE_EEENSF_IJSE_SE_EEES9_SG_JZNS1_25segmented_radix_sort_implINS0_14default_configELb1EPKdPdPKlPlN2at6native12_GLOBAL__N_18offset_tEEE10hipError_tPvRmT1_PNSt15iterator_traitsISY_E10value_typeET2_T3_PNSZ_IS14_E10value_typeET4_jRbjT5_S1A_jjP12ihipStream_tbEUljE_EEESV_SW_SX_S14_S18_S1A_T6_T7_T9_mT8_S1C_bDpT10_ENKUlT_T0_E_clISt17integral_constantIbLb1EES1P_EEDaS1K_S1L_EUlS1K_E_NS1_11comp_targetILNS1_3genE2ELNS1_11target_archE906ELNS1_3gpuE6ELNS1_3repE0EEENS1_30default_config_static_selectorELNS0_4arch9wavefront6targetE0EEEvSY_, .Lfunc_end1098-_ZN7rocprim17ROCPRIM_400000_NS6detail17trampoline_kernelINS0_13select_configILj256ELj13ELNS0_17block_load_methodE3ELS4_3ELS4_3ELNS0_20block_scan_algorithmE0ELj4294967295EEENS1_25partition_config_selectorILNS1_17partition_subalgoE3EjNS0_10empty_typeEbEEZZNS1_14partition_implILS8_3ELb0ES6_jNS0_17counting_iteratorIjlEEPS9_SE_NS0_5tupleIJPjSE_EEENSF_IJSE_SE_EEES9_SG_JZNS1_25segmented_radix_sort_implINS0_14default_configELb1EPKdPdPKlPlN2at6native12_GLOBAL__N_18offset_tEEE10hipError_tPvRmT1_PNSt15iterator_traitsISY_E10value_typeET2_T3_PNSZ_IS14_E10value_typeET4_jRbjT5_S1A_jjP12ihipStream_tbEUljE_EEESV_SW_SX_S14_S18_S1A_T6_T7_T9_mT8_S1C_bDpT10_ENKUlT_T0_E_clISt17integral_constantIbLb1EES1P_EEDaS1K_S1L_EUlS1K_E_NS1_11comp_targetILNS1_3genE2ELNS1_11target_archE906ELNS1_3gpuE6ELNS1_3repE0EEENS1_30default_config_static_selectorELNS0_4arch9wavefront6targetE0EEEvSY_
                                        ; -- End function
	.section	.AMDGPU.csdata,"",@progbits
; Kernel info:
; codeLenInByte = 0
; NumSgprs: 0
; NumVgprs: 0
; ScratchSize: 0
; MemoryBound: 0
; FloatMode: 240
; IeeeMode: 1
; LDSByteSize: 0 bytes/workgroup (compile time only)
; SGPRBlocks: 0
; VGPRBlocks: 0
; NumSGPRsForWavesPerEU: 1
; NumVGPRsForWavesPerEU: 1
; Occupancy: 16
; WaveLimiterHint : 0
; COMPUTE_PGM_RSRC2:SCRATCH_EN: 0
; COMPUTE_PGM_RSRC2:USER_SGPR: 15
; COMPUTE_PGM_RSRC2:TRAP_HANDLER: 0
; COMPUTE_PGM_RSRC2:TGID_X_EN: 1
; COMPUTE_PGM_RSRC2:TGID_Y_EN: 0
; COMPUTE_PGM_RSRC2:TGID_Z_EN: 0
; COMPUTE_PGM_RSRC2:TIDIG_COMP_CNT: 0
	.section	.text._ZN7rocprim17ROCPRIM_400000_NS6detail17trampoline_kernelINS0_13select_configILj256ELj13ELNS0_17block_load_methodE3ELS4_3ELS4_3ELNS0_20block_scan_algorithmE0ELj4294967295EEENS1_25partition_config_selectorILNS1_17partition_subalgoE3EjNS0_10empty_typeEbEEZZNS1_14partition_implILS8_3ELb0ES6_jNS0_17counting_iteratorIjlEEPS9_SE_NS0_5tupleIJPjSE_EEENSF_IJSE_SE_EEES9_SG_JZNS1_25segmented_radix_sort_implINS0_14default_configELb1EPKdPdPKlPlN2at6native12_GLOBAL__N_18offset_tEEE10hipError_tPvRmT1_PNSt15iterator_traitsISY_E10value_typeET2_T3_PNSZ_IS14_E10value_typeET4_jRbjT5_S1A_jjP12ihipStream_tbEUljE_EEESV_SW_SX_S14_S18_S1A_T6_T7_T9_mT8_S1C_bDpT10_ENKUlT_T0_E_clISt17integral_constantIbLb1EES1P_EEDaS1K_S1L_EUlS1K_E_NS1_11comp_targetILNS1_3genE10ELNS1_11target_archE1200ELNS1_3gpuE4ELNS1_3repE0EEENS1_30default_config_static_selectorELNS0_4arch9wavefront6targetE0EEEvSY_,"axG",@progbits,_ZN7rocprim17ROCPRIM_400000_NS6detail17trampoline_kernelINS0_13select_configILj256ELj13ELNS0_17block_load_methodE3ELS4_3ELS4_3ELNS0_20block_scan_algorithmE0ELj4294967295EEENS1_25partition_config_selectorILNS1_17partition_subalgoE3EjNS0_10empty_typeEbEEZZNS1_14partition_implILS8_3ELb0ES6_jNS0_17counting_iteratorIjlEEPS9_SE_NS0_5tupleIJPjSE_EEENSF_IJSE_SE_EEES9_SG_JZNS1_25segmented_radix_sort_implINS0_14default_configELb1EPKdPdPKlPlN2at6native12_GLOBAL__N_18offset_tEEE10hipError_tPvRmT1_PNSt15iterator_traitsISY_E10value_typeET2_T3_PNSZ_IS14_E10value_typeET4_jRbjT5_S1A_jjP12ihipStream_tbEUljE_EEESV_SW_SX_S14_S18_S1A_T6_T7_T9_mT8_S1C_bDpT10_ENKUlT_T0_E_clISt17integral_constantIbLb1EES1P_EEDaS1K_S1L_EUlS1K_E_NS1_11comp_targetILNS1_3genE10ELNS1_11target_archE1200ELNS1_3gpuE4ELNS1_3repE0EEENS1_30default_config_static_selectorELNS0_4arch9wavefront6targetE0EEEvSY_,comdat
	.globl	_ZN7rocprim17ROCPRIM_400000_NS6detail17trampoline_kernelINS0_13select_configILj256ELj13ELNS0_17block_load_methodE3ELS4_3ELS4_3ELNS0_20block_scan_algorithmE0ELj4294967295EEENS1_25partition_config_selectorILNS1_17partition_subalgoE3EjNS0_10empty_typeEbEEZZNS1_14partition_implILS8_3ELb0ES6_jNS0_17counting_iteratorIjlEEPS9_SE_NS0_5tupleIJPjSE_EEENSF_IJSE_SE_EEES9_SG_JZNS1_25segmented_radix_sort_implINS0_14default_configELb1EPKdPdPKlPlN2at6native12_GLOBAL__N_18offset_tEEE10hipError_tPvRmT1_PNSt15iterator_traitsISY_E10value_typeET2_T3_PNSZ_IS14_E10value_typeET4_jRbjT5_S1A_jjP12ihipStream_tbEUljE_EEESV_SW_SX_S14_S18_S1A_T6_T7_T9_mT8_S1C_bDpT10_ENKUlT_T0_E_clISt17integral_constantIbLb1EES1P_EEDaS1K_S1L_EUlS1K_E_NS1_11comp_targetILNS1_3genE10ELNS1_11target_archE1200ELNS1_3gpuE4ELNS1_3repE0EEENS1_30default_config_static_selectorELNS0_4arch9wavefront6targetE0EEEvSY_ ; -- Begin function _ZN7rocprim17ROCPRIM_400000_NS6detail17trampoline_kernelINS0_13select_configILj256ELj13ELNS0_17block_load_methodE3ELS4_3ELS4_3ELNS0_20block_scan_algorithmE0ELj4294967295EEENS1_25partition_config_selectorILNS1_17partition_subalgoE3EjNS0_10empty_typeEbEEZZNS1_14partition_implILS8_3ELb0ES6_jNS0_17counting_iteratorIjlEEPS9_SE_NS0_5tupleIJPjSE_EEENSF_IJSE_SE_EEES9_SG_JZNS1_25segmented_radix_sort_implINS0_14default_configELb1EPKdPdPKlPlN2at6native12_GLOBAL__N_18offset_tEEE10hipError_tPvRmT1_PNSt15iterator_traitsISY_E10value_typeET2_T3_PNSZ_IS14_E10value_typeET4_jRbjT5_S1A_jjP12ihipStream_tbEUljE_EEESV_SW_SX_S14_S18_S1A_T6_T7_T9_mT8_S1C_bDpT10_ENKUlT_T0_E_clISt17integral_constantIbLb1EES1P_EEDaS1K_S1L_EUlS1K_E_NS1_11comp_targetILNS1_3genE10ELNS1_11target_archE1200ELNS1_3gpuE4ELNS1_3repE0EEENS1_30default_config_static_selectorELNS0_4arch9wavefront6targetE0EEEvSY_
	.p2align	8
	.type	_ZN7rocprim17ROCPRIM_400000_NS6detail17trampoline_kernelINS0_13select_configILj256ELj13ELNS0_17block_load_methodE3ELS4_3ELS4_3ELNS0_20block_scan_algorithmE0ELj4294967295EEENS1_25partition_config_selectorILNS1_17partition_subalgoE3EjNS0_10empty_typeEbEEZZNS1_14partition_implILS8_3ELb0ES6_jNS0_17counting_iteratorIjlEEPS9_SE_NS0_5tupleIJPjSE_EEENSF_IJSE_SE_EEES9_SG_JZNS1_25segmented_radix_sort_implINS0_14default_configELb1EPKdPdPKlPlN2at6native12_GLOBAL__N_18offset_tEEE10hipError_tPvRmT1_PNSt15iterator_traitsISY_E10value_typeET2_T3_PNSZ_IS14_E10value_typeET4_jRbjT5_S1A_jjP12ihipStream_tbEUljE_EEESV_SW_SX_S14_S18_S1A_T6_T7_T9_mT8_S1C_bDpT10_ENKUlT_T0_E_clISt17integral_constantIbLb1EES1P_EEDaS1K_S1L_EUlS1K_E_NS1_11comp_targetILNS1_3genE10ELNS1_11target_archE1200ELNS1_3gpuE4ELNS1_3repE0EEENS1_30default_config_static_selectorELNS0_4arch9wavefront6targetE0EEEvSY_,@function
_ZN7rocprim17ROCPRIM_400000_NS6detail17trampoline_kernelINS0_13select_configILj256ELj13ELNS0_17block_load_methodE3ELS4_3ELS4_3ELNS0_20block_scan_algorithmE0ELj4294967295EEENS1_25partition_config_selectorILNS1_17partition_subalgoE3EjNS0_10empty_typeEbEEZZNS1_14partition_implILS8_3ELb0ES6_jNS0_17counting_iteratorIjlEEPS9_SE_NS0_5tupleIJPjSE_EEENSF_IJSE_SE_EEES9_SG_JZNS1_25segmented_radix_sort_implINS0_14default_configELb1EPKdPdPKlPlN2at6native12_GLOBAL__N_18offset_tEEE10hipError_tPvRmT1_PNSt15iterator_traitsISY_E10value_typeET2_T3_PNSZ_IS14_E10value_typeET4_jRbjT5_S1A_jjP12ihipStream_tbEUljE_EEESV_SW_SX_S14_S18_S1A_T6_T7_T9_mT8_S1C_bDpT10_ENKUlT_T0_E_clISt17integral_constantIbLb1EES1P_EEDaS1K_S1L_EUlS1K_E_NS1_11comp_targetILNS1_3genE10ELNS1_11target_archE1200ELNS1_3gpuE4ELNS1_3repE0EEENS1_30default_config_static_selectorELNS0_4arch9wavefront6targetE0EEEvSY_: ; @_ZN7rocprim17ROCPRIM_400000_NS6detail17trampoline_kernelINS0_13select_configILj256ELj13ELNS0_17block_load_methodE3ELS4_3ELS4_3ELNS0_20block_scan_algorithmE0ELj4294967295EEENS1_25partition_config_selectorILNS1_17partition_subalgoE3EjNS0_10empty_typeEbEEZZNS1_14partition_implILS8_3ELb0ES6_jNS0_17counting_iteratorIjlEEPS9_SE_NS0_5tupleIJPjSE_EEENSF_IJSE_SE_EEES9_SG_JZNS1_25segmented_radix_sort_implINS0_14default_configELb1EPKdPdPKlPlN2at6native12_GLOBAL__N_18offset_tEEE10hipError_tPvRmT1_PNSt15iterator_traitsISY_E10value_typeET2_T3_PNSZ_IS14_E10value_typeET4_jRbjT5_S1A_jjP12ihipStream_tbEUljE_EEESV_SW_SX_S14_S18_S1A_T6_T7_T9_mT8_S1C_bDpT10_ENKUlT_T0_E_clISt17integral_constantIbLb1EES1P_EEDaS1K_S1L_EUlS1K_E_NS1_11comp_targetILNS1_3genE10ELNS1_11target_archE1200ELNS1_3gpuE4ELNS1_3repE0EEENS1_30default_config_static_selectorELNS0_4arch9wavefront6targetE0EEEvSY_
; %bb.0:
	.section	.rodata,"a",@progbits
	.p2align	6, 0x0
	.amdhsa_kernel _ZN7rocprim17ROCPRIM_400000_NS6detail17trampoline_kernelINS0_13select_configILj256ELj13ELNS0_17block_load_methodE3ELS4_3ELS4_3ELNS0_20block_scan_algorithmE0ELj4294967295EEENS1_25partition_config_selectorILNS1_17partition_subalgoE3EjNS0_10empty_typeEbEEZZNS1_14partition_implILS8_3ELb0ES6_jNS0_17counting_iteratorIjlEEPS9_SE_NS0_5tupleIJPjSE_EEENSF_IJSE_SE_EEES9_SG_JZNS1_25segmented_radix_sort_implINS0_14default_configELb1EPKdPdPKlPlN2at6native12_GLOBAL__N_18offset_tEEE10hipError_tPvRmT1_PNSt15iterator_traitsISY_E10value_typeET2_T3_PNSZ_IS14_E10value_typeET4_jRbjT5_S1A_jjP12ihipStream_tbEUljE_EEESV_SW_SX_S14_S18_S1A_T6_T7_T9_mT8_S1C_bDpT10_ENKUlT_T0_E_clISt17integral_constantIbLb1EES1P_EEDaS1K_S1L_EUlS1K_E_NS1_11comp_targetILNS1_3genE10ELNS1_11target_archE1200ELNS1_3gpuE4ELNS1_3repE0EEENS1_30default_config_static_selectorELNS0_4arch9wavefront6targetE0EEEvSY_
		.amdhsa_group_segment_fixed_size 0
		.amdhsa_private_segment_fixed_size 0
		.amdhsa_kernarg_size 152
		.amdhsa_user_sgpr_count 15
		.amdhsa_user_sgpr_dispatch_ptr 0
		.amdhsa_user_sgpr_queue_ptr 0
		.amdhsa_user_sgpr_kernarg_segment_ptr 1
		.amdhsa_user_sgpr_dispatch_id 0
		.amdhsa_user_sgpr_private_segment_size 0
		.amdhsa_wavefront_size32 1
		.amdhsa_uses_dynamic_stack 0
		.amdhsa_enable_private_segment 0
		.amdhsa_system_sgpr_workgroup_id_x 1
		.amdhsa_system_sgpr_workgroup_id_y 0
		.amdhsa_system_sgpr_workgroup_id_z 0
		.amdhsa_system_sgpr_workgroup_info 0
		.amdhsa_system_vgpr_workitem_id 0
		.amdhsa_next_free_vgpr 1
		.amdhsa_next_free_sgpr 1
		.amdhsa_reserve_vcc 0
		.amdhsa_float_round_mode_32 0
		.amdhsa_float_round_mode_16_64 0
		.amdhsa_float_denorm_mode_32 3
		.amdhsa_float_denorm_mode_16_64 3
		.amdhsa_dx10_clamp 1
		.amdhsa_ieee_mode 1
		.amdhsa_fp16_overflow 0
		.amdhsa_workgroup_processor_mode 1
		.amdhsa_memory_ordered 1
		.amdhsa_forward_progress 0
		.amdhsa_shared_vgpr_count 0
		.amdhsa_exception_fp_ieee_invalid_op 0
		.amdhsa_exception_fp_denorm_src 0
		.amdhsa_exception_fp_ieee_div_zero 0
		.amdhsa_exception_fp_ieee_overflow 0
		.amdhsa_exception_fp_ieee_underflow 0
		.amdhsa_exception_fp_ieee_inexact 0
		.amdhsa_exception_int_div_zero 0
	.end_amdhsa_kernel
	.section	.text._ZN7rocprim17ROCPRIM_400000_NS6detail17trampoline_kernelINS0_13select_configILj256ELj13ELNS0_17block_load_methodE3ELS4_3ELS4_3ELNS0_20block_scan_algorithmE0ELj4294967295EEENS1_25partition_config_selectorILNS1_17partition_subalgoE3EjNS0_10empty_typeEbEEZZNS1_14partition_implILS8_3ELb0ES6_jNS0_17counting_iteratorIjlEEPS9_SE_NS0_5tupleIJPjSE_EEENSF_IJSE_SE_EEES9_SG_JZNS1_25segmented_radix_sort_implINS0_14default_configELb1EPKdPdPKlPlN2at6native12_GLOBAL__N_18offset_tEEE10hipError_tPvRmT1_PNSt15iterator_traitsISY_E10value_typeET2_T3_PNSZ_IS14_E10value_typeET4_jRbjT5_S1A_jjP12ihipStream_tbEUljE_EEESV_SW_SX_S14_S18_S1A_T6_T7_T9_mT8_S1C_bDpT10_ENKUlT_T0_E_clISt17integral_constantIbLb1EES1P_EEDaS1K_S1L_EUlS1K_E_NS1_11comp_targetILNS1_3genE10ELNS1_11target_archE1200ELNS1_3gpuE4ELNS1_3repE0EEENS1_30default_config_static_selectorELNS0_4arch9wavefront6targetE0EEEvSY_,"axG",@progbits,_ZN7rocprim17ROCPRIM_400000_NS6detail17trampoline_kernelINS0_13select_configILj256ELj13ELNS0_17block_load_methodE3ELS4_3ELS4_3ELNS0_20block_scan_algorithmE0ELj4294967295EEENS1_25partition_config_selectorILNS1_17partition_subalgoE3EjNS0_10empty_typeEbEEZZNS1_14partition_implILS8_3ELb0ES6_jNS0_17counting_iteratorIjlEEPS9_SE_NS0_5tupleIJPjSE_EEENSF_IJSE_SE_EEES9_SG_JZNS1_25segmented_radix_sort_implINS0_14default_configELb1EPKdPdPKlPlN2at6native12_GLOBAL__N_18offset_tEEE10hipError_tPvRmT1_PNSt15iterator_traitsISY_E10value_typeET2_T3_PNSZ_IS14_E10value_typeET4_jRbjT5_S1A_jjP12ihipStream_tbEUljE_EEESV_SW_SX_S14_S18_S1A_T6_T7_T9_mT8_S1C_bDpT10_ENKUlT_T0_E_clISt17integral_constantIbLb1EES1P_EEDaS1K_S1L_EUlS1K_E_NS1_11comp_targetILNS1_3genE10ELNS1_11target_archE1200ELNS1_3gpuE4ELNS1_3repE0EEENS1_30default_config_static_selectorELNS0_4arch9wavefront6targetE0EEEvSY_,comdat
.Lfunc_end1099:
	.size	_ZN7rocprim17ROCPRIM_400000_NS6detail17trampoline_kernelINS0_13select_configILj256ELj13ELNS0_17block_load_methodE3ELS4_3ELS4_3ELNS0_20block_scan_algorithmE0ELj4294967295EEENS1_25partition_config_selectorILNS1_17partition_subalgoE3EjNS0_10empty_typeEbEEZZNS1_14partition_implILS8_3ELb0ES6_jNS0_17counting_iteratorIjlEEPS9_SE_NS0_5tupleIJPjSE_EEENSF_IJSE_SE_EEES9_SG_JZNS1_25segmented_radix_sort_implINS0_14default_configELb1EPKdPdPKlPlN2at6native12_GLOBAL__N_18offset_tEEE10hipError_tPvRmT1_PNSt15iterator_traitsISY_E10value_typeET2_T3_PNSZ_IS14_E10value_typeET4_jRbjT5_S1A_jjP12ihipStream_tbEUljE_EEESV_SW_SX_S14_S18_S1A_T6_T7_T9_mT8_S1C_bDpT10_ENKUlT_T0_E_clISt17integral_constantIbLb1EES1P_EEDaS1K_S1L_EUlS1K_E_NS1_11comp_targetILNS1_3genE10ELNS1_11target_archE1200ELNS1_3gpuE4ELNS1_3repE0EEENS1_30default_config_static_selectorELNS0_4arch9wavefront6targetE0EEEvSY_, .Lfunc_end1099-_ZN7rocprim17ROCPRIM_400000_NS6detail17trampoline_kernelINS0_13select_configILj256ELj13ELNS0_17block_load_methodE3ELS4_3ELS4_3ELNS0_20block_scan_algorithmE0ELj4294967295EEENS1_25partition_config_selectorILNS1_17partition_subalgoE3EjNS0_10empty_typeEbEEZZNS1_14partition_implILS8_3ELb0ES6_jNS0_17counting_iteratorIjlEEPS9_SE_NS0_5tupleIJPjSE_EEENSF_IJSE_SE_EEES9_SG_JZNS1_25segmented_radix_sort_implINS0_14default_configELb1EPKdPdPKlPlN2at6native12_GLOBAL__N_18offset_tEEE10hipError_tPvRmT1_PNSt15iterator_traitsISY_E10value_typeET2_T3_PNSZ_IS14_E10value_typeET4_jRbjT5_S1A_jjP12ihipStream_tbEUljE_EEESV_SW_SX_S14_S18_S1A_T6_T7_T9_mT8_S1C_bDpT10_ENKUlT_T0_E_clISt17integral_constantIbLb1EES1P_EEDaS1K_S1L_EUlS1K_E_NS1_11comp_targetILNS1_3genE10ELNS1_11target_archE1200ELNS1_3gpuE4ELNS1_3repE0EEENS1_30default_config_static_selectorELNS0_4arch9wavefront6targetE0EEEvSY_
                                        ; -- End function
	.section	.AMDGPU.csdata,"",@progbits
; Kernel info:
; codeLenInByte = 0
; NumSgprs: 0
; NumVgprs: 0
; ScratchSize: 0
; MemoryBound: 0
; FloatMode: 240
; IeeeMode: 1
; LDSByteSize: 0 bytes/workgroup (compile time only)
; SGPRBlocks: 0
; VGPRBlocks: 0
; NumSGPRsForWavesPerEU: 1
; NumVGPRsForWavesPerEU: 1
; Occupancy: 16
; WaveLimiterHint : 0
; COMPUTE_PGM_RSRC2:SCRATCH_EN: 0
; COMPUTE_PGM_RSRC2:USER_SGPR: 15
; COMPUTE_PGM_RSRC2:TRAP_HANDLER: 0
; COMPUTE_PGM_RSRC2:TGID_X_EN: 1
; COMPUTE_PGM_RSRC2:TGID_Y_EN: 0
; COMPUTE_PGM_RSRC2:TGID_Z_EN: 0
; COMPUTE_PGM_RSRC2:TIDIG_COMP_CNT: 0
	.section	.text._ZN7rocprim17ROCPRIM_400000_NS6detail17trampoline_kernelINS0_13select_configILj256ELj13ELNS0_17block_load_methodE3ELS4_3ELS4_3ELNS0_20block_scan_algorithmE0ELj4294967295EEENS1_25partition_config_selectorILNS1_17partition_subalgoE3EjNS0_10empty_typeEbEEZZNS1_14partition_implILS8_3ELb0ES6_jNS0_17counting_iteratorIjlEEPS9_SE_NS0_5tupleIJPjSE_EEENSF_IJSE_SE_EEES9_SG_JZNS1_25segmented_radix_sort_implINS0_14default_configELb1EPKdPdPKlPlN2at6native12_GLOBAL__N_18offset_tEEE10hipError_tPvRmT1_PNSt15iterator_traitsISY_E10value_typeET2_T3_PNSZ_IS14_E10value_typeET4_jRbjT5_S1A_jjP12ihipStream_tbEUljE_EEESV_SW_SX_S14_S18_S1A_T6_T7_T9_mT8_S1C_bDpT10_ENKUlT_T0_E_clISt17integral_constantIbLb1EES1P_EEDaS1K_S1L_EUlS1K_E_NS1_11comp_targetILNS1_3genE9ELNS1_11target_archE1100ELNS1_3gpuE3ELNS1_3repE0EEENS1_30default_config_static_selectorELNS0_4arch9wavefront6targetE0EEEvSY_,"axG",@progbits,_ZN7rocprim17ROCPRIM_400000_NS6detail17trampoline_kernelINS0_13select_configILj256ELj13ELNS0_17block_load_methodE3ELS4_3ELS4_3ELNS0_20block_scan_algorithmE0ELj4294967295EEENS1_25partition_config_selectorILNS1_17partition_subalgoE3EjNS0_10empty_typeEbEEZZNS1_14partition_implILS8_3ELb0ES6_jNS0_17counting_iteratorIjlEEPS9_SE_NS0_5tupleIJPjSE_EEENSF_IJSE_SE_EEES9_SG_JZNS1_25segmented_radix_sort_implINS0_14default_configELb1EPKdPdPKlPlN2at6native12_GLOBAL__N_18offset_tEEE10hipError_tPvRmT1_PNSt15iterator_traitsISY_E10value_typeET2_T3_PNSZ_IS14_E10value_typeET4_jRbjT5_S1A_jjP12ihipStream_tbEUljE_EEESV_SW_SX_S14_S18_S1A_T6_T7_T9_mT8_S1C_bDpT10_ENKUlT_T0_E_clISt17integral_constantIbLb1EES1P_EEDaS1K_S1L_EUlS1K_E_NS1_11comp_targetILNS1_3genE9ELNS1_11target_archE1100ELNS1_3gpuE3ELNS1_3repE0EEENS1_30default_config_static_selectorELNS0_4arch9wavefront6targetE0EEEvSY_,comdat
	.globl	_ZN7rocprim17ROCPRIM_400000_NS6detail17trampoline_kernelINS0_13select_configILj256ELj13ELNS0_17block_load_methodE3ELS4_3ELS4_3ELNS0_20block_scan_algorithmE0ELj4294967295EEENS1_25partition_config_selectorILNS1_17partition_subalgoE3EjNS0_10empty_typeEbEEZZNS1_14partition_implILS8_3ELb0ES6_jNS0_17counting_iteratorIjlEEPS9_SE_NS0_5tupleIJPjSE_EEENSF_IJSE_SE_EEES9_SG_JZNS1_25segmented_radix_sort_implINS0_14default_configELb1EPKdPdPKlPlN2at6native12_GLOBAL__N_18offset_tEEE10hipError_tPvRmT1_PNSt15iterator_traitsISY_E10value_typeET2_T3_PNSZ_IS14_E10value_typeET4_jRbjT5_S1A_jjP12ihipStream_tbEUljE_EEESV_SW_SX_S14_S18_S1A_T6_T7_T9_mT8_S1C_bDpT10_ENKUlT_T0_E_clISt17integral_constantIbLb1EES1P_EEDaS1K_S1L_EUlS1K_E_NS1_11comp_targetILNS1_3genE9ELNS1_11target_archE1100ELNS1_3gpuE3ELNS1_3repE0EEENS1_30default_config_static_selectorELNS0_4arch9wavefront6targetE0EEEvSY_ ; -- Begin function _ZN7rocprim17ROCPRIM_400000_NS6detail17trampoline_kernelINS0_13select_configILj256ELj13ELNS0_17block_load_methodE3ELS4_3ELS4_3ELNS0_20block_scan_algorithmE0ELj4294967295EEENS1_25partition_config_selectorILNS1_17partition_subalgoE3EjNS0_10empty_typeEbEEZZNS1_14partition_implILS8_3ELb0ES6_jNS0_17counting_iteratorIjlEEPS9_SE_NS0_5tupleIJPjSE_EEENSF_IJSE_SE_EEES9_SG_JZNS1_25segmented_radix_sort_implINS0_14default_configELb1EPKdPdPKlPlN2at6native12_GLOBAL__N_18offset_tEEE10hipError_tPvRmT1_PNSt15iterator_traitsISY_E10value_typeET2_T3_PNSZ_IS14_E10value_typeET4_jRbjT5_S1A_jjP12ihipStream_tbEUljE_EEESV_SW_SX_S14_S18_S1A_T6_T7_T9_mT8_S1C_bDpT10_ENKUlT_T0_E_clISt17integral_constantIbLb1EES1P_EEDaS1K_S1L_EUlS1K_E_NS1_11comp_targetILNS1_3genE9ELNS1_11target_archE1100ELNS1_3gpuE3ELNS1_3repE0EEENS1_30default_config_static_selectorELNS0_4arch9wavefront6targetE0EEEvSY_
	.p2align	8
	.type	_ZN7rocprim17ROCPRIM_400000_NS6detail17trampoline_kernelINS0_13select_configILj256ELj13ELNS0_17block_load_methodE3ELS4_3ELS4_3ELNS0_20block_scan_algorithmE0ELj4294967295EEENS1_25partition_config_selectorILNS1_17partition_subalgoE3EjNS0_10empty_typeEbEEZZNS1_14partition_implILS8_3ELb0ES6_jNS0_17counting_iteratorIjlEEPS9_SE_NS0_5tupleIJPjSE_EEENSF_IJSE_SE_EEES9_SG_JZNS1_25segmented_radix_sort_implINS0_14default_configELb1EPKdPdPKlPlN2at6native12_GLOBAL__N_18offset_tEEE10hipError_tPvRmT1_PNSt15iterator_traitsISY_E10value_typeET2_T3_PNSZ_IS14_E10value_typeET4_jRbjT5_S1A_jjP12ihipStream_tbEUljE_EEESV_SW_SX_S14_S18_S1A_T6_T7_T9_mT8_S1C_bDpT10_ENKUlT_T0_E_clISt17integral_constantIbLb1EES1P_EEDaS1K_S1L_EUlS1K_E_NS1_11comp_targetILNS1_3genE9ELNS1_11target_archE1100ELNS1_3gpuE3ELNS1_3repE0EEENS1_30default_config_static_selectorELNS0_4arch9wavefront6targetE0EEEvSY_,@function
_ZN7rocprim17ROCPRIM_400000_NS6detail17trampoline_kernelINS0_13select_configILj256ELj13ELNS0_17block_load_methodE3ELS4_3ELS4_3ELNS0_20block_scan_algorithmE0ELj4294967295EEENS1_25partition_config_selectorILNS1_17partition_subalgoE3EjNS0_10empty_typeEbEEZZNS1_14partition_implILS8_3ELb0ES6_jNS0_17counting_iteratorIjlEEPS9_SE_NS0_5tupleIJPjSE_EEENSF_IJSE_SE_EEES9_SG_JZNS1_25segmented_radix_sort_implINS0_14default_configELb1EPKdPdPKlPlN2at6native12_GLOBAL__N_18offset_tEEE10hipError_tPvRmT1_PNSt15iterator_traitsISY_E10value_typeET2_T3_PNSZ_IS14_E10value_typeET4_jRbjT5_S1A_jjP12ihipStream_tbEUljE_EEESV_SW_SX_S14_S18_S1A_T6_T7_T9_mT8_S1C_bDpT10_ENKUlT_T0_E_clISt17integral_constantIbLb1EES1P_EEDaS1K_S1L_EUlS1K_E_NS1_11comp_targetILNS1_3genE9ELNS1_11target_archE1100ELNS1_3gpuE3ELNS1_3repE0EEENS1_30default_config_static_selectorELNS0_4arch9wavefront6targetE0EEEvSY_: ; @_ZN7rocprim17ROCPRIM_400000_NS6detail17trampoline_kernelINS0_13select_configILj256ELj13ELNS0_17block_load_methodE3ELS4_3ELS4_3ELNS0_20block_scan_algorithmE0ELj4294967295EEENS1_25partition_config_selectorILNS1_17partition_subalgoE3EjNS0_10empty_typeEbEEZZNS1_14partition_implILS8_3ELb0ES6_jNS0_17counting_iteratorIjlEEPS9_SE_NS0_5tupleIJPjSE_EEENSF_IJSE_SE_EEES9_SG_JZNS1_25segmented_radix_sort_implINS0_14default_configELb1EPKdPdPKlPlN2at6native12_GLOBAL__N_18offset_tEEE10hipError_tPvRmT1_PNSt15iterator_traitsISY_E10value_typeET2_T3_PNSZ_IS14_E10value_typeET4_jRbjT5_S1A_jjP12ihipStream_tbEUljE_EEESV_SW_SX_S14_S18_S1A_T6_T7_T9_mT8_S1C_bDpT10_ENKUlT_T0_E_clISt17integral_constantIbLb1EES1P_EEDaS1K_S1L_EUlS1K_E_NS1_11comp_targetILNS1_3genE9ELNS1_11target_archE1100ELNS1_3gpuE3ELNS1_3repE0EEENS1_30default_config_static_selectorELNS0_4arch9wavefront6targetE0EEEvSY_
; %bb.0:
	s_clause 0x6
	s_load_b64 s[16:17], s[0:1], 0x10
	s_load_b64 s[12:13], s[0:1], 0x28
	;; [unrolled: 1-line block ×3, first 2 shown]
	s_load_b128 s[8:11], s[0:1], 0x48
	s_load_b32 s3, s[0:1], 0x90
	s_load_b64 s[18:19], s[0:1], 0x68
	s_load_b128 s[4:7], s[0:1], 0x80
	v_cmp_eq_u32_e64 s2, 0, v0
	s_delay_alu instid0(VALU_DEP_1)
	s_and_saveexec_b32 s20, s2
	s_cbranch_execz .LBB1100_4
; %bb.1:
	s_mov_b32 s22, exec_lo
	s_mov_b32 s21, exec_lo
	v_mbcnt_lo_u32_b32 v1, s22, 0
                                        ; implicit-def: $vgpr2
	s_delay_alu instid0(VALU_DEP_1)
	v_cmpx_eq_u32_e32 0, v1
	s_cbranch_execz .LBB1100_3
; %bb.2:
	s_load_b64 s[24:25], s[0:1], 0x78
	s_bcnt1_i32_b32 s22, s22
	s_delay_alu instid0(SALU_CYCLE_1)
	v_dual_mov_b32 v2, 0 :: v_dual_mov_b32 v3, s22
	s_waitcnt lgkmcnt(0)
	global_atomic_add_u32 v2, v2, v3, s[24:25] glc
.LBB1100_3:
	s_or_b32 exec_lo, exec_lo, s21
	s_waitcnt vmcnt(0)
	v_readfirstlane_b32 s21, v2
	s_delay_alu instid0(VALU_DEP_1)
	v_dual_mov_b32 v2, 0 :: v_dual_add_nc_u32 v1, s21, v1
	ds_store_b32 v2, v1
.LBB1100_4:
	s_or_b32 exec_lo, exec_lo, s20
	v_mov_b32_e32 v1, 0
	s_clause 0x1
	s_load_b32 s20, s[0:1], 0x8
	s_load_b32 s0, s[0:1], 0x70
	s_waitcnt lgkmcnt(0)
	s_barrier
	buffer_gl0_inv
	ds_load_b32 v2, v1
	s_waitcnt lgkmcnt(0)
	s_barrier
	buffer_gl0_inv
	global_load_b64 v[18:19], v1, s[10:11]
	v_lshlrev_b32_e32 v33, 2, v0
	s_add_i32 s21, s20, s16
	s_mul_i32 s1, s0, 0xd00
	s_add_i32 s0, s0, -1
	s_add_u32 s10, s16, s1
	s_addc_u32 s11, s17, 0
	v_mul_lo_u32 v32, 0xd00, v2
	v_readfirstlane_b32 s20, v2
	v_cmp_lt_u64_e64 s11, s[10:11], s[14:15]
	v_cmp_ne_u32_e32 vcc_lo, s0, v2
	s_delay_alu instid0(VALU_DEP_3) | instskip(SKIP_1) | instid1(VALU_DEP_4)
	s_cmp_eq_u32 s20, s0
	s_cselect_b32 s10, -1, 0
	v_add3_u32 v1, v32, s21, v0
	s_delay_alu instid0(VALU_DEP_3) | instskip(SKIP_2) | instid1(VALU_DEP_1)
	s_or_b32 s0, s11, vcc_lo
	s_mov_b32 s11, -1
	s_and_b32 vcc_lo, exec_lo, s0
	v_add_nc_u32_e32 v2, 0x100, v1
	v_add_nc_u32_e32 v3, 0x200, v1
	;; [unrolled: 1-line block ×12, first 2 shown]
	s_cbranch_vccz .LBB1100_6
; %bb.5:
	ds_store_2addr_stride64_b32 v33, v1, v2 offset1:4
	ds_store_2addr_stride64_b32 v33, v3, v4 offset0:8 offset1:12
	ds_store_2addr_stride64_b32 v33, v5, v6 offset0:16 offset1:20
	;; [unrolled: 1-line block ×5, first 2 shown]
	ds_store_b32 v33, v13 offset:12288
	s_waitcnt vmcnt(0) lgkmcnt(0)
	s_mov_b32 s11, 0
	s_barrier
.LBB1100_6:
	s_and_not1_b32 vcc_lo, exec_lo, s11
	s_add_i32 s1, s1, s16
	s_cbranch_vccnz .LBB1100_8
; %bb.7:
	ds_store_2addr_stride64_b32 v33, v1, v2 offset1:4
	ds_store_2addr_stride64_b32 v33, v3, v4 offset0:8 offset1:12
	ds_store_2addr_stride64_b32 v33, v5, v6 offset0:16 offset1:20
	ds_store_2addr_stride64_b32 v33, v7, v8 offset0:24 offset1:28
	ds_store_2addr_stride64_b32 v33, v9, v10 offset0:32 offset1:36
	ds_store_2addr_stride64_b32 v33, v11, v12 offset0:40 offset1:44
	ds_store_b32 v33, v13 offset:12288
	s_waitcnt vmcnt(0) lgkmcnt(0)
	s_barrier
.LBB1100_8:
	v_mul_u32_u24_e32 v36, 13, v0
	s_waitcnt vmcnt(0)
	buffer_gl0_inv
	v_cndmask_b32_e64 v34, 0, 1, s0
	s_sub_i32 s11, s14, s1
	s_and_not1_b32 vcc_lo, exec_lo, s0
	v_lshlrev_b32_e32 v1, 2, v36
	ds_load_2addr_b32 v[30:31], v1 offset1:1
	ds_load_2addr_b32 v[28:29], v1 offset0:2 offset1:3
	ds_load_2addr_b32 v[26:27], v1 offset0:4 offset1:5
	ds_load_2addr_b32 v[24:25], v1 offset0:6 offset1:7
	ds_load_2addr_b32 v[22:23], v1 offset0:8 offset1:9
	ds_load_2addr_b32 v[20:21], v1 offset0:10 offset1:11
	ds_load_b32 v35, v1 offset:48
	s_waitcnt lgkmcnt(0)
	s_barrier
	buffer_gl0_inv
	s_cbranch_vccnz .LBB1100_10
; %bb.9:
	v_add_nc_u32_e32 v1, s5, v30
	v_add_nc_u32_e32 v2, s7, v30
	;; [unrolled: 1-line block ×5, first 2 shown]
	v_mul_lo_u32 v1, v1, s4
	v_mul_lo_u32 v2, v2, s6
	;; [unrolled: 1-line block ×4, first 2 shown]
	v_add_nc_u32_e32 v6, s7, v28
	v_add_nc_u32_e32 v7, s5, v29
	;; [unrolled: 1-line block ×3, first 2 shown]
	v_mul_lo_u32 v5, v5, s4
	v_add_nc_u32_e32 v9, s5, v24
	v_sub_nc_u32_e32 v1, v1, v2
	v_mul_lo_u32 v2, v6, s6
	v_sub_nc_u32_e32 v3, v3, v4
	v_mul_lo_u32 v4, v7, s4
	v_mul_lo_u32 v6, v8, s6
	v_add_nc_u32_e32 v7, s5, v26
	v_cmp_lt_u32_e32 vcc_lo, s3, v1
	v_add_nc_u32_e32 v8, s5, v27
	v_add_nc_u32_e32 v10, s7, v24
	v_sub_nc_u32_e32 v2, v5, v2
	v_add_nc_u32_e32 v5, s7, v26
	v_cndmask_b32_e64 v1, 0, 1, vcc_lo
	v_sub_nc_u32_e32 v4, v4, v6
	v_mul_lo_u32 v6, v7, s4
	v_add_nc_u32_e32 v7, s7, v27
	v_cmp_lt_u32_e32 vcc_lo, s3, v3
	v_mul_lo_u32 v5, v5, s6
	v_mul_lo_u32 v8, v8, s4
	;; [unrolled: 1-line block ×4, first 2 shown]
	v_cndmask_b32_e64 v3, 0, 1, vcc_lo
	v_cmp_lt_u32_e32 vcc_lo, s3, v2
	v_mul_lo_u32 v10, v10, s6
	v_add_nc_u32_e32 v11, s5, v22
	v_sub_nc_u32_e32 v5, v6, v5
	v_add_nc_u32_e32 v12, s7, v22
	v_cndmask_b32_e64 v2, 0, 1, vcc_lo
	v_sub_nc_u32_e32 v6, v8, v7
	v_add_nc_u32_e32 v7, s5, v25
	v_add_nc_u32_e32 v8, s7, v25
	v_cmp_lt_u32_e32 vcc_lo, s3, v4
	v_sub_nc_u32_e32 v9, v9, v10
	v_mul_lo_u32 v10, v11, s4
	v_mul_lo_u32 v7, v7, s4
	;; [unrolled: 1-line block ×4, first 2 shown]
	v_cndmask_b32_e64 v4, 0, 1, vcc_lo
	v_cmp_lt_u32_e32 vcc_lo, s3, v5
	v_add_nc_u32_e32 v12, s5, v23
	v_add_nc_u32_e32 v13, s7, v20
	;; [unrolled: 1-line block ×4, first 2 shown]
	v_cndmask_b32_e64 v5, 0, 1, vcc_lo
	v_cmp_lt_u32_e32 vcc_lo, s3, v6
	v_sub_nc_u32_e32 v7, v7, v8
	v_sub_nc_u32_e32 v8, v10, v11
	v_add_nc_u32_e32 v11, s7, v23
	v_mul_lo_u32 v10, v12, s4
	v_cndmask_b32_e64 v6, 0, 1, vcc_lo
	v_cmp_lt_u32_e32 vcc_lo, s3, v9
	v_add_nc_u32_e32 v12, s5, v20
	v_mul_lo_u32 v11, v11, s6
	v_mul_lo_u32 v13, v13, s6
	;; [unrolled: 1-line block ×3, first 2 shown]
	v_cndmask_b32_e64 v9, 0, 1, vcc_lo
	v_cmp_lt_u32_e32 vcc_lo, s3, v7
	v_mul_lo_u32 v12, v12, s4
	v_mul_lo_u32 v15, v15, s6
	v_lshlrev_b16 v3, 8, v3
	v_sub_nc_u32_e32 v10, v10, v11
	v_cndmask_b32_e64 v7, 0, 1, vcc_lo
	v_cmp_lt_u32_e32 vcc_lo, s3, v8
	v_add_nc_u32_e32 v11, s5, v35
	v_or_b32_e32 v1, v1, v3
	v_sub_nc_u32_e32 v12, v12, v13
	v_sub_nc_u32_e32 v13, v14, v15
	v_cndmask_b32_e64 v8, 0, 1, vcc_lo
	v_cmp_lt_u32_e32 vcc_lo, s3, v10
	v_add_nc_u32_e32 v16, s7, v35
	v_mul_lo_u32 v11, v11, s4
	v_lshlrev_b16 v4, 8, v4
	v_lshlrev_b16 v6, 8, v6
	v_cndmask_b32_e64 v10, 0, 1, vcc_lo
	v_cmp_lt_u32_e32 vcc_lo, s3, v12
	v_mul_lo_u32 v14, v16, s6
	v_lshlrev_b16 v7, 8, v7
	v_or_b32_e32 v2, v2, v4
	v_lshlrev_b16 v10, 8, v10
	v_cndmask_b32_e64 v3, 0, 1, vcc_lo
	v_cmp_lt_u32_e32 vcc_lo, s3, v13
	v_or_b32_e32 v4, v5, v6
	v_or_b32_e32 v5, v9, v7
	v_sub_nc_u32_e32 v11, v11, v14
	v_or_b32_e32 v6, v8, v10
	v_cndmask_b32_e64 v12, 0, 1, vcc_lo
	v_and_b32_e32 v1, 0xffff, v1
	v_lshlrev_b32_e32 v2, 16, v2
	v_and_b32_e32 v4, 0xffff, v4
	v_lshlrev_b32_e32 v5, 16, v5
	v_lshlrev_b16 v12, 8, v12
	v_and_b32_e32 v6, 0xffff, v6
	v_cmp_lt_u32_e32 vcc_lo, s3, v11
	v_or_b32_e32 v42, v1, v2
	v_or_b32_e32 v40, v4, v5
	v_or_b32_e32 v3, v3, v12
	v_cndmask_b32_e64 v37, 0, 1, vcc_lo
	s_delay_alu instid0(VALU_DEP_2) | instskip(NEXT) | instid1(VALU_DEP_1)
	v_lshlrev_b32_e32 v3, 16, v3
	v_or_b32_e32 v38, v6, v3
	s_addk_i32 s11, 0xd00
	s_cbranch_execz .LBB1100_11
	s_branch .LBB1100_38
.LBB1100_10:
                                        ; implicit-def: $vgpr37
                                        ; implicit-def: $vgpr38
                                        ; implicit-def: $vgpr40
                                        ; implicit-def: $vgpr42
	s_addk_i32 s11, 0xd00
.LBB1100_11:
	v_dual_mov_b32 v2, 0 :: v_dual_mov_b32 v1, 0
	s_mov_b32 s0, exec_lo
	v_cmpx_gt_u32_e64 s11, v36
; %bb.12:
	v_add_nc_u32_e32 v1, s5, v30
	v_add_nc_u32_e32 v3, s7, v30
	s_delay_alu instid0(VALU_DEP_2) | instskip(NEXT) | instid1(VALU_DEP_2)
	v_mul_lo_u32 v1, v1, s4
	v_mul_lo_u32 v3, v3, s6
	s_delay_alu instid0(VALU_DEP_1) | instskip(NEXT) | instid1(VALU_DEP_1)
	v_sub_nc_u32_e32 v1, v1, v3
	v_cmp_lt_u32_e32 vcc_lo, s3, v1
	v_cndmask_b32_e64 v1, 0, 1, vcc_lo
; %bb.13:
	s_or_b32 exec_lo, exec_lo, s0
	v_add_nc_u32_e32 v3, 1, v36
	s_mov_b32 s0, exec_lo
	s_delay_alu instid0(VALU_DEP_1)
	v_cmpx_gt_u32_e64 s11, v3
; %bb.14:
	v_add_nc_u32_e32 v2, s5, v31
	v_add_nc_u32_e32 v3, s7, v31
	s_delay_alu instid0(VALU_DEP_2) | instskip(NEXT) | instid1(VALU_DEP_2)
	v_mul_lo_u32 v2, v2, s4
	v_mul_lo_u32 v3, v3, s6
	s_delay_alu instid0(VALU_DEP_1) | instskip(NEXT) | instid1(VALU_DEP_1)
	v_sub_nc_u32_e32 v2, v2, v3
	v_cmp_lt_u32_e32 vcc_lo, s3, v2
	v_cndmask_b32_e64 v2, 0, 1, vcc_lo
; %bb.15:
	s_or_b32 exec_lo, exec_lo, s0
	v_dual_mov_b32 v4, 0 :: v_dual_add_nc_u32 v3, 2, v36
	s_delay_alu instid0(VALU_DEP_1)
	v_cmp_gt_u32_e32 vcc_lo, s11, v3
	v_mov_b32_e32 v3, 0
	s_and_saveexec_b32 s0, vcc_lo
; %bb.16:
	v_add_nc_u32_e32 v3, s5, v28
	v_add_nc_u32_e32 v5, s7, v28
	s_delay_alu instid0(VALU_DEP_2) | instskip(NEXT) | instid1(VALU_DEP_2)
	v_mul_lo_u32 v3, v3, s4
	v_mul_lo_u32 v5, v5, s6
	s_delay_alu instid0(VALU_DEP_1) | instskip(NEXT) | instid1(VALU_DEP_1)
	v_sub_nc_u32_e32 v3, v3, v5
	v_cmp_lt_u32_e32 vcc_lo, s3, v3
	v_cndmask_b32_e64 v3, 0, 1, vcc_lo
; %bb.17:
	s_or_b32 exec_lo, exec_lo, s0
	v_add_nc_u32_e32 v5, 3, v36
	s_mov_b32 s0, exec_lo
	s_delay_alu instid0(VALU_DEP_1)
	v_cmpx_gt_u32_e64 s11, v5
; %bb.18:
	v_add_nc_u32_e32 v4, s5, v29
	v_add_nc_u32_e32 v5, s7, v29
	s_delay_alu instid0(VALU_DEP_2) | instskip(NEXT) | instid1(VALU_DEP_2)
	v_mul_lo_u32 v4, v4, s4
	v_mul_lo_u32 v5, v5, s6
	s_delay_alu instid0(VALU_DEP_1) | instskip(NEXT) | instid1(VALU_DEP_1)
	v_sub_nc_u32_e32 v4, v4, v5
	v_cmp_lt_u32_e32 vcc_lo, s3, v4
	v_cndmask_b32_e64 v4, 0, 1, vcc_lo
; %bb.19:
	s_or_b32 exec_lo, exec_lo, s0
	v_dual_mov_b32 v6, 0 :: v_dual_add_nc_u32 v5, 4, v36
	s_delay_alu instid0(VALU_DEP_1)
	v_cmp_gt_u32_e32 vcc_lo, s11, v5
	v_mov_b32_e32 v5, 0
	s_and_saveexec_b32 s0, vcc_lo
	;; [unrolled: 33-line block ×5, first 2 shown]
; %bb.32:
	v_add_nc_u32_e32 v11, s5, v20
	v_add_nc_u32_e32 v13, s7, v20
	s_delay_alu instid0(VALU_DEP_2) | instskip(NEXT) | instid1(VALU_DEP_2)
	v_mul_lo_u32 v11, v11, s4
	v_mul_lo_u32 v13, v13, s6
	s_delay_alu instid0(VALU_DEP_1) | instskip(NEXT) | instid1(VALU_DEP_1)
	v_sub_nc_u32_e32 v11, v11, v13
	v_cmp_lt_u32_e32 vcc_lo, s3, v11
	v_cndmask_b32_e64 v11, 0, 1, vcc_lo
; %bb.33:
	s_or_b32 exec_lo, exec_lo, s0
	v_add_nc_u32_e32 v13, 11, v36
	s_mov_b32 s0, exec_lo
	s_delay_alu instid0(VALU_DEP_1)
	v_cmpx_gt_u32_e64 s11, v13
; %bb.34:
	v_add_nc_u32_e32 v12, s5, v21
	v_add_nc_u32_e32 v13, s7, v21
	s_delay_alu instid0(VALU_DEP_2) | instskip(NEXT) | instid1(VALU_DEP_2)
	v_mul_lo_u32 v12, v12, s4
	v_mul_lo_u32 v13, v13, s6
	s_delay_alu instid0(VALU_DEP_1) | instskip(NEXT) | instid1(VALU_DEP_1)
	v_sub_nc_u32_e32 v12, v12, v13
	v_cmp_lt_u32_e32 vcc_lo, s3, v12
	v_cndmask_b32_e64 v12, 0, 1, vcc_lo
; %bb.35:
	s_or_b32 exec_lo, exec_lo, s0
	v_add_nc_u32_e32 v13, 12, v36
	v_mov_b32_e32 v37, 0
	s_mov_b32 s0, exec_lo
	s_delay_alu instid0(VALU_DEP_2)
	v_cmpx_gt_u32_e64 s11, v13
; %bb.36:
	v_add_nc_u32_e32 v13, s5, v35
	v_add_nc_u32_e32 v14, s7, v35
	s_delay_alu instid0(VALU_DEP_2) | instskip(NEXT) | instid1(VALU_DEP_2)
	v_mul_lo_u32 v13, v13, s4
	v_mul_lo_u32 v14, v14, s6
	s_delay_alu instid0(VALU_DEP_1) | instskip(NEXT) | instid1(VALU_DEP_1)
	v_sub_nc_u32_e32 v13, v13, v14
	v_cmp_lt_u32_e32 vcc_lo, s3, v13
	v_cndmask_b32_e64 v37, 0, 1, vcc_lo
; %bb.37:
	s_or_b32 exec_lo, exec_lo, s0
	v_lshlrev_b16 v2, 8, v2
	v_lshlrev_b16 v4, 8, v4
	;; [unrolled: 1-line block ×5, first 2 shown]
	v_or_b32_e32 v1, v1, v2
	v_lshlrev_b16 v2, 8, v12
	v_or_b32_e32 v3, v3, v4
	v_or_b32_e32 v4, v5, v6
	;; [unrolled: 1-line block ×5, first 2 shown]
	v_and_b32_e32 v1, 0xffff, v1
	v_lshlrev_b32_e32 v3, 16, v3
	v_and_b32_e32 v4, 0xffff, v4
	v_lshlrev_b32_e32 v5, 16, v5
	;; [unrolled: 2-line block ×3, first 2 shown]
	v_or_b32_e32 v42, v1, v3
	s_delay_alu instid0(VALU_DEP_4) | instskip(NEXT) | instid1(VALU_DEP_3)
	v_or_b32_e32 v40, v4, v5
	v_or_b32_e32 v38, v6, v2
.LBB1100_38:
	s_delay_alu instid0(VALU_DEP_3)
	v_and_b32_e32 v44, 0xff, v42
	v_bfe_u32 v45, v42, 8, 8
	v_bfe_u32 v46, v42, 16, 8
	v_lshrrev_b32_e32 v43, 24, v42
	v_and_b32_e32 v47, 0xff, v40
	v_bfe_u32 v48, v40, 8, 8
	v_bfe_u32 v49, v40, 16, 8
	v_add3_u32 v1, v45, v44, v46
	v_lshrrev_b32_e32 v41, 24, v40
	v_and_b32_e32 v50, 0xff, v38
	v_bfe_u32 v51, v38, 8, 8
	v_mbcnt_lo_u32_b32 v53, -1, 0
	v_add3_u32 v1, v1, v43, v47
	v_bfe_u32 v52, v38, 16, 8
	v_lshrrev_b32_e32 v39, 24, v38
	v_and_b32_e32 v2, 0xff, v37
	v_and_b32_e32 v3, 15, v53
	v_add3_u32 v1, v1, v48, v49
	v_or_b32_e32 v4, 31, v0
	v_and_b32_e32 v5, 16, v53
	v_lshrrev_b32_e32 v54, 5, v0
	v_cmp_eq_u32_e64 s6, 0, v3
	v_add3_u32 v1, v1, v41, v50
	v_cmp_lt_u32_e64 s5, 1, v3
	v_cmp_lt_u32_e64 s4, 3, v3
	;; [unrolled: 1-line block ×3, first 2 shown]
	v_cmp_eq_u32_e64 s1, 0, v5
	v_add3_u32 v1, v1, v51, v52
	v_cmp_eq_u32_e64 s0, v4, v0
	s_cmp_lg_u32 s20, 0
	s_mov_b32 s7, -1
	s_delay_alu instid0(VALU_DEP_2)
	v_add3_u32 v55, v1, v39, v2
	s_cbranch_scc0 .LBB1100_69
; %bb.39:
	s_delay_alu instid0(VALU_DEP_1) | instskip(NEXT) | instid1(VALU_DEP_1)
	v_mov_b32_dpp v1, v55 row_shr:1 row_mask:0xf bank_mask:0xf
	v_cndmask_b32_e64 v1, v1, 0, s6
	s_delay_alu instid0(VALU_DEP_1) | instskip(NEXT) | instid1(VALU_DEP_1)
	v_add_nc_u32_e32 v1, v1, v55
	v_mov_b32_dpp v2, v1 row_shr:2 row_mask:0xf bank_mask:0xf
	s_delay_alu instid0(VALU_DEP_1) | instskip(NEXT) | instid1(VALU_DEP_1)
	v_cndmask_b32_e64 v2, 0, v2, s5
	v_add_nc_u32_e32 v1, v1, v2
	s_delay_alu instid0(VALU_DEP_1) | instskip(NEXT) | instid1(VALU_DEP_1)
	v_mov_b32_dpp v2, v1 row_shr:4 row_mask:0xf bank_mask:0xf
	v_cndmask_b32_e64 v2, 0, v2, s4
	s_delay_alu instid0(VALU_DEP_1) | instskip(NEXT) | instid1(VALU_DEP_1)
	v_add_nc_u32_e32 v1, v1, v2
	v_mov_b32_dpp v2, v1 row_shr:8 row_mask:0xf bank_mask:0xf
	s_delay_alu instid0(VALU_DEP_1) | instskip(NEXT) | instid1(VALU_DEP_1)
	v_cndmask_b32_e64 v2, 0, v2, s3
	v_add_nc_u32_e32 v1, v1, v2
	ds_swizzle_b32 v2, v1 offset:swizzle(BROADCAST,32,15)
	s_waitcnt lgkmcnt(0)
	v_cndmask_b32_e64 v2, v2, 0, s1
	s_delay_alu instid0(VALU_DEP_1)
	v_add_nc_u32_e32 v1, v1, v2
	s_and_saveexec_b32 s7, s0
	s_cbranch_execz .LBB1100_41
; %bb.40:
	v_lshlrev_b32_e32 v2, 2, v54
	ds_store_b32 v2, v1
.LBB1100_41:
	s_or_b32 exec_lo, exec_lo, s7
	s_delay_alu instid0(SALU_CYCLE_1)
	s_mov_b32 s7, exec_lo
	s_waitcnt lgkmcnt(0)
	s_barrier
	buffer_gl0_inv
	v_cmpx_gt_u32_e32 8, v0
	s_cbranch_execz .LBB1100_43
; %bb.42:
	ds_load_b32 v2, v33
	s_waitcnt lgkmcnt(0)
	v_mov_b32_dpp v4, v2 row_shr:1 row_mask:0xf bank_mask:0xf
	v_and_b32_e32 v3, 7, v53
	s_delay_alu instid0(VALU_DEP_1) | instskip(NEXT) | instid1(VALU_DEP_3)
	v_cmp_ne_u32_e32 vcc_lo, 0, v3
	v_cndmask_b32_e32 v4, 0, v4, vcc_lo
	v_cmp_lt_u32_e32 vcc_lo, 1, v3
	s_delay_alu instid0(VALU_DEP_2) | instskip(NEXT) | instid1(VALU_DEP_1)
	v_add_nc_u32_e32 v2, v4, v2
	v_mov_b32_dpp v4, v2 row_shr:2 row_mask:0xf bank_mask:0xf
	s_delay_alu instid0(VALU_DEP_1) | instskip(SKIP_1) | instid1(VALU_DEP_2)
	v_cndmask_b32_e32 v4, 0, v4, vcc_lo
	v_cmp_lt_u32_e32 vcc_lo, 3, v3
	v_add_nc_u32_e32 v2, v2, v4
	s_delay_alu instid0(VALU_DEP_1) | instskip(NEXT) | instid1(VALU_DEP_1)
	v_mov_b32_dpp v4, v2 row_shr:4 row_mask:0xf bank_mask:0xf
	v_cndmask_b32_e32 v3, 0, v4, vcc_lo
	s_delay_alu instid0(VALU_DEP_1)
	v_add_nc_u32_e32 v2, v2, v3
	ds_store_b32 v33, v2
.LBB1100_43:
	s_or_b32 exec_lo, exec_lo, s7
	v_cmp_gt_u32_e32 vcc_lo, 32, v0
	s_mov_b32 s21, exec_lo
	s_waitcnt lgkmcnt(0)
	s_barrier
	buffer_gl0_inv
                                        ; implicit-def: $vgpr8
	v_cmpx_lt_u32_e32 31, v0
	s_cbranch_execz .LBB1100_45
; %bb.44:
	v_lshl_add_u32 v2, v54, 2, -4
	ds_load_b32 v8, v2
	s_waitcnt lgkmcnt(0)
	v_add_nc_u32_e32 v1, v8, v1
.LBB1100_45:
	s_or_b32 exec_lo, exec_lo, s21
	v_add_nc_u32_e32 v2, -1, v53
	s_delay_alu instid0(VALU_DEP_1) | instskip(NEXT) | instid1(VALU_DEP_1)
	v_cmp_gt_i32_e64 s7, 0, v2
	v_cndmask_b32_e64 v2, v2, v53, s7
	v_cmp_eq_u32_e64 s7, 0, v53
	s_delay_alu instid0(VALU_DEP_2)
	v_lshlrev_b32_e32 v2, 2, v2
	ds_bpermute_b32 v9, v2, v1
	s_and_saveexec_b32 s21, vcc_lo
	s_cbranch_execz .LBB1100_68
; %bb.46:
	v_mov_b32_e32 v4, 0
	ds_load_b32 v1, v4 offset:28
	s_and_saveexec_b32 s22, s7
	s_cbranch_execz .LBB1100_48
; %bb.47:
	s_add_i32 s24, s20, 32
	s_mov_b32 s25, 0
	v_mov_b32_e32 v2, 1
	s_lshl_b64 s[24:25], s[24:25], 3
	s_delay_alu instid0(SALU_CYCLE_1)
	s_add_u32 s24, s18, s24
	s_addc_u32 s25, s19, s25
	s_waitcnt lgkmcnt(0)
	global_store_b64 v4, v[1:2], s[24:25]
.LBB1100_48:
	s_or_b32 exec_lo, exec_lo, s22
	v_xad_u32 v2, v53, -1, s20
	s_mov_b32 s23, 0
	s_mov_b32 s22, exec_lo
	s_delay_alu instid0(VALU_DEP_1) | instskip(NEXT) | instid1(VALU_DEP_1)
	v_add_nc_u32_e32 v3, 32, v2
	v_lshlrev_b64 v[3:4], 3, v[3:4]
	s_delay_alu instid0(VALU_DEP_1) | instskip(NEXT) | instid1(VALU_DEP_2)
	v_add_co_u32 v6, vcc_lo, s18, v3
	v_add_co_ci_u32_e32 v7, vcc_lo, s19, v4, vcc_lo
	global_load_b64 v[4:5], v[6:7], off glc
	s_waitcnt vmcnt(0)
	v_and_b32_e32 v3, 0xff, v5
	s_delay_alu instid0(VALU_DEP_1)
	v_cmpx_eq_u16_e32 0, v3
	s_cbranch_execz .LBB1100_54
; %bb.49:
	s_mov_b32 s24, 1
	.p2align	6
.LBB1100_50:                            ; =>This Loop Header: Depth=1
                                        ;     Child Loop BB1100_51 Depth 2
	s_delay_alu instid0(SALU_CYCLE_1)
	s_max_u32 s25, s24, 1
.LBB1100_51:                            ;   Parent Loop BB1100_50 Depth=1
                                        ; =>  This Inner Loop Header: Depth=2
	s_delay_alu instid0(SALU_CYCLE_1)
	s_add_i32 s25, s25, -1
	s_sleep 1
	s_cmp_eq_u32 s25, 0
	s_cbranch_scc0 .LBB1100_51
; %bb.52:                               ;   in Loop: Header=BB1100_50 Depth=1
	global_load_b64 v[4:5], v[6:7], off glc
	s_cmp_lt_u32 s24, 32
	s_cselect_b32 s25, -1, 0
	s_delay_alu instid0(SALU_CYCLE_1) | instskip(SKIP_3) | instid1(VALU_DEP_1)
	s_cmp_lg_u32 s25, 0
	s_addc_u32 s24, s24, 0
	s_waitcnt vmcnt(0)
	v_and_b32_e32 v3, 0xff, v5
	v_cmp_ne_u16_e32 vcc_lo, 0, v3
	s_or_b32 s23, vcc_lo, s23
	s_delay_alu instid0(SALU_CYCLE_1)
	s_and_not1_b32 exec_lo, exec_lo, s23
	s_cbranch_execnz .LBB1100_50
; %bb.53:
	s_or_b32 exec_lo, exec_lo, s23
.LBB1100_54:
	s_delay_alu instid0(SALU_CYCLE_1)
	s_or_b32 exec_lo, exec_lo, s22
	v_cmp_ne_u32_e32 vcc_lo, 31, v53
	v_lshlrev_b32_e64 v11, v53, -1
	v_add_nc_u32_e32 v13, 2, v53
	v_add_nc_u32_e32 v15, 4, v53
	;; [unrolled: 1-line block ×3, first 2 shown]
	v_add_co_ci_u32_e32 v3, vcc_lo, 0, v53, vcc_lo
	v_add_nc_u32_e32 v58, 16, v53
	s_delay_alu instid0(VALU_DEP_2) | instskip(SKIP_2) | instid1(VALU_DEP_1)
	v_lshlrev_b32_e32 v10, 2, v3
	ds_bpermute_b32 v6, v10, v4
	v_and_b32_e32 v3, 0xff, v5
	v_cmp_eq_u16_e32 vcc_lo, 2, v3
	v_and_or_b32 v3, vcc_lo, v11, 0x80000000
	v_cmp_gt_u32_e32 vcc_lo, 30, v53
	s_delay_alu instid0(VALU_DEP_2) | instskip(SKIP_1) | instid1(VALU_DEP_2)
	v_ctz_i32_b32_e32 v3, v3
	v_cndmask_b32_e64 v7, 0, 1, vcc_lo
	v_cmp_lt_u32_e32 vcc_lo, v53, v3
	s_waitcnt lgkmcnt(0)
	s_delay_alu instid0(VALU_DEP_2) | instskip(NEXT) | instid1(VALU_DEP_1)
	v_dual_cndmask_b32 v6, 0, v6 :: v_dual_lshlrev_b32 v7, 1, v7
	v_add_lshl_u32 v12, v7, v53, 2
	v_cmp_gt_u32_e32 vcc_lo, 28, v53
	s_delay_alu instid0(VALU_DEP_3) | instskip(SKIP_4) | instid1(VALU_DEP_1)
	v_add_nc_u32_e32 v4, v6, v4
	v_cndmask_b32_e64 v7, 0, 1, vcc_lo
	v_cmp_le_u32_e32 vcc_lo, v13, v3
	ds_bpermute_b32 v6, v12, v4
	v_lshlrev_b32_e32 v7, 2, v7
	v_add_lshl_u32 v14, v7, v53, 2
	s_waitcnt lgkmcnt(0)
	v_cndmask_b32_e32 v6, 0, v6, vcc_lo
	v_cmp_gt_u32_e32 vcc_lo, 24, v53
	s_delay_alu instid0(VALU_DEP_2) | instskip(SKIP_4) | instid1(VALU_DEP_1)
	v_add_nc_u32_e32 v4, v4, v6
	v_cndmask_b32_e64 v7, 0, 1, vcc_lo
	v_cmp_le_u32_e32 vcc_lo, v15, v3
	ds_bpermute_b32 v6, v14, v4
	v_lshlrev_b32_e32 v7, 3, v7
	v_add_lshl_u32 v17, v7, v53, 2
	s_waitcnt lgkmcnt(0)
	v_cndmask_b32_e32 v6, 0, v6, vcc_lo
	v_cmp_gt_u32_e32 vcc_lo, 16, v53
	s_delay_alu instid0(VALU_DEP_2) | instskip(SKIP_4) | instid1(VALU_DEP_1)
	v_add_nc_u32_e32 v4, v4, v6
	v_cndmask_b32_e64 v7, 0, 1, vcc_lo
	v_cmp_le_u32_e32 vcc_lo, v56, v3
	ds_bpermute_b32 v6, v17, v4
	v_lshlrev_b32_e32 v7, 4, v7
	v_add_lshl_u32 v57, v7, v53, 2
	s_waitcnt lgkmcnt(0)
	v_cndmask_b32_e32 v6, 0, v6, vcc_lo
	v_cmp_le_u32_e32 vcc_lo, v58, v3
	s_delay_alu instid0(VALU_DEP_2) | instskip(SKIP_3) | instid1(VALU_DEP_1)
	v_add_nc_u32_e32 v4, v4, v6
	ds_bpermute_b32 v6, v57, v4
	s_waitcnt lgkmcnt(0)
	v_cndmask_b32_e32 v3, 0, v6, vcc_lo
	v_dual_mov_b32 v3, 0 :: v_dual_add_nc_u32 v4, v4, v3
	s_branch .LBB1100_56
.LBB1100_55:                            ;   in Loop: Header=BB1100_56 Depth=1
	s_or_b32 exec_lo, exec_lo, s22
	ds_bpermute_b32 v7, v10, v4
	v_and_b32_e32 v6, 0xff, v5
	v_subrev_nc_u32_e32 v2, 32, v2
	s_delay_alu instid0(VALU_DEP_2) | instskip(SKIP_1) | instid1(VALU_DEP_1)
	v_cmp_eq_u16_e32 vcc_lo, 2, v6
	v_and_or_b32 v6, vcc_lo, v11, 0x80000000
	v_ctz_i32_b32_e32 v6, v6
	s_delay_alu instid0(VALU_DEP_1) | instskip(SKIP_3) | instid1(VALU_DEP_2)
	v_cmp_lt_u32_e32 vcc_lo, v53, v6
	s_waitcnt lgkmcnt(0)
	v_cndmask_b32_e32 v7, 0, v7, vcc_lo
	v_cmp_le_u32_e32 vcc_lo, v13, v6
	v_add_nc_u32_e32 v4, v7, v4
	ds_bpermute_b32 v7, v12, v4
	s_waitcnt lgkmcnt(0)
	v_cndmask_b32_e32 v7, 0, v7, vcc_lo
	v_cmp_le_u32_e32 vcc_lo, v15, v6
	s_delay_alu instid0(VALU_DEP_2) | instskip(SKIP_4) | instid1(VALU_DEP_2)
	v_add_nc_u32_e32 v4, v4, v7
	ds_bpermute_b32 v7, v14, v4
	s_waitcnt lgkmcnt(0)
	v_cndmask_b32_e32 v7, 0, v7, vcc_lo
	v_cmp_le_u32_e32 vcc_lo, v56, v6
	v_add_nc_u32_e32 v4, v4, v7
	ds_bpermute_b32 v7, v17, v4
	s_waitcnt lgkmcnt(0)
	v_cndmask_b32_e32 v7, 0, v7, vcc_lo
	v_cmp_le_u32_e32 vcc_lo, v58, v6
	s_delay_alu instid0(VALU_DEP_2) | instskip(SKIP_3) | instid1(VALU_DEP_1)
	v_add_nc_u32_e32 v4, v4, v7
	ds_bpermute_b32 v7, v57, v4
	s_waitcnt lgkmcnt(0)
	v_cndmask_b32_e32 v6, 0, v7, vcc_lo
	v_add3_u32 v4, v6, v16, v4
.LBB1100_56:                            ; =>This Loop Header: Depth=1
                                        ;     Child Loop BB1100_59 Depth 2
                                        ;       Child Loop BB1100_60 Depth 3
	s_delay_alu instid0(VALU_DEP_1) | instskip(NEXT) | instid1(VALU_DEP_1)
	v_dual_mov_b32 v16, v4 :: v_dual_and_b32 v5, 0xff, v5
	v_cmp_ne_u16_e32 vcc_lo, 2, v5
	v_cndmask_b32_e64 v5, 0, 1, vcc_lo
	;;#ASMSTART
	;;#ASMEND
	s_delay_alu instid0(VALU_DEP_1)
	v_cmp_ne_u32_e32 vcc_lo, 0, v5
	s_cmp_lg_u32 vcc_lo, exec_lo
	s_cbranch_scc1 .LBB1100_63
; %bb.57:                               ;   in Loop: Header=BB1100_56 Depth=1
	v_lshlrev_b64 v[4:5], 3, v[2:3]
	s_mov_b32 s22, exec_lo
	s_delay_alu instid0(VALU_DEP_1) | instskip(NEXT) | instid1(VALU_DEP_2)
	v_add_co_u32 v6, vcc_lo, s18, v4
	v_add_co_ci_u32_e32 v7, vcc_lo, s19, v5, vcc_lo
	global_load_b64 v[4:5], v[6:7], off glc
	s_waitcnt vmcnt(0)
	v_and_b32_e32 v59, 0xff, v5
	s_delay_alu instid0(VALU_DEP_1)
	v_cmpx_eq_u16_e32 0, v59
	s_cbranch_execz .LBB1100_55
; %bb.58:                               ;   in Loop: Header=BB1100_56 Depth=1
	s_mov_b32 s24, 1
	s_mov_b32 s23, 0
	.p2align	6
.LBB1100_59:                            ;   Parent Loop BB1100_56 Depth=1
                                        ; =>  This Loop Header: Depth=2
                                        ;       Child Loop BB1100_60 Depth 3
	s_max_u32 s25, s24, 1
.LBB1100_60:                            ;   Parent Loop BB1100_56 Depth=1
                                        ;     Parent Loop BB1100_59 Depth=2
                                        ; =>    This Inner Loop Header: Depth=3
	s_delay_alu instid0(SALU_CYCLE_1)
	s_add_i32 s25, s25, -1
	s_sleep 1
	s_cmp_eq_u32 s25, 0
	s_cbranch_scc0 .LBB1100_60
; %bb.61:                               ;   in Loop: Header=BB1100_59 Depth=2
	global_load_b64 v[4:5], v[6:7], off glc
	s_cmp_lt_u32 s24, 32
	s_cselect_b32 s25, -1, 0
	s_delay_alu instid0(SALU_CYCLE_1) | instskip(SKIP_3) | instid1(VALU_DEP_1)
	s_cmp_lg_u32 s25, 0
	s_addc_u32 s24, s24, 0
	s_waitcnt vmcnt(0)
	v_and_b32_e32 v59, 0xff, v5
	v_cmp_ne_u16_e32 vcc_lo, 0, v59
	s_or_b32 s23, vcc_lo, s23
	s_delay_alu instid0(SALU_CYCLE_1)
	s_and_not1_b32 exec_lo, exec_lo, s23
	s_cbranch_execnz .LBB1100_59
; %bb.62:                               ;   in Loop: Header=BB1100_56 Depth=1
	s_or_b32 exec_lo, exec_lo, s23
	s_branch .LBB1100_55
.LBB1100_63:                            ;   in Loop: Header=BB1100_56 Depth=1
                                        ; implicit-def: $vgpr4
                                        ; implicit-def: $vgpr5
	s_cbranch_execz .LBB1100_56
; %bb.64:
	s_and_saveexec_b32 s22, s7
	s_cbranch_execz .LBB1100_66
; %bb.65:
	s_add_i32 s24, s20, 32
	s_mov_b32 s25, 0
	v_dual_mov_b32 v3, 2 :: v_dual_add_nc_u32 v2, v16, v1
	s_lshl_b64 s[24:25], s[24:25], 3
	v_mov_b32_e32 v4, 0
	v_add_nc_u32_e64 v5, 0x3400, 0
	s_add_u32 s24, s18, s24
	s_addc_u32 s25, s19, s25
	global_store_b64 v4, v[2:3], s[24:25]
	ds_store_2addr_b32 v5, v1, v16 offset1:2
.LBB1100_66:
	s_or_b32 exec_lo, exec_lo, s22
	s_delay_alu instid0(SALU_CYCLE_1)
	s_and_b32 exec_lo, exec_lo, s2
	s_cbranch_execz .LBB1100_68
; %bb.67:
	v_mov_b32_e32 v1, 0
	ds_store_b32 v1, v16 offset:28
.LBB1100_68:
	s_or_b32 exec_lo, exec_lo, s21
	v_mov_b32_e32 v1, 0
	s_waitcnt lgkmcnt(0)
	s_waitcnt_vscnt null, 0x0
	s_barrier
	buffer_gl0_inv
	v_cndmask_b32_e64 v2, v9, v8, s7
	ds_load_b32 v1, v1 offset:28
	v_add_nc_u32_e64 v11, 0x3400, 0
	s_waitcnt lgkmcnt(0)
	s_barrier
	v_cndmask_b32_e64 v2, v2, 0, s2
	buffer_gl0_inv
	ds_load_2addr_b32 v[16:17], v11 offset1:2
	v_add_nc_u32_e32 v1, v1, v2
	s_delay_alu instid0(VALU_DEP_1) | instskip(NEXT) | instid1(VALU_DEP_1)
	v_add_nc_u32_e32 v2, v1, v44
	v_add_nc_u32_e32 v3, v2, v45
	s_delay_alu instid0(VALU_DEP_1) | instskip(NEXT) | instid1(VALU_DEP_1)
	v_add_nc_u32_e32 v4, v3, v46
	;; [unrolled: 3-line block ×6, first 2 shown]
	v_add_nc_u32_e32 v13, v12, v39
	s_branch .LBB1100_79
.LBB1100_69:
                                        ; implicit-def: $vgpr17
                                        ; implicit-def: $vgpr1_vgpr2_vgpr3_vgpr4_vgpr5_vgpr6_vgpr7_vgpr8_vgpr9_vgpr10_vgpr11_vgpr12_vgpr13_vgpr14_vgpr15_vgpr16
	s_and_b32 vcc_lo, exec_lo, s7
	s_cbranch_vccz .LBB1100_79
; %bb.70:
	s_delay_alu instid0(VALU_DEP_1) | instskip(NEXT) | instid1(VALU_DEP_1)
	v_mov_b32_dpp v1, v55 row_shr:1 row_mask:0xf bank_mask:0xf
	v_cndmask_b32_e64 v1, v1, 0, s6
	s_delay_alu instid0(VALU_DEP_1) | instskip(NEXT) | instid1(VALU_DEP_1)
	v_add_nc_u32_e32 v1, v1, v55
	v_mov_b32_dpp v2, v1 row_shr:2 row_mask:0xf bank_mask:0xf
	s_delay_alu instid0(VALU_DEP_1) | instskip(NEXT) | instid1(VALU_DEP_1)
	v_cndmask_b32_e64 v2, 0, v2, s5
	v_add_nc_u32_e32 v1, v1, v2
	s_delay_alu instid0(VALU_DEP_1) | instskip(NEXT) | instid1(VALU_DEP_1)
	v_mov_b32_dpp v2, v1 row_shr:4 row_mask:0xf bank_mask:0xf
	v_cndmask_b32_e64 v2, 0, v2, s4
	s_delay_alu instid0(VALU_DEP_1) | instskip(NEXT) | instid1(VALU_DEP_1)
	v_add_nc_u32_e32 v1, v1, v2
	v_mov_b32_dpp v2, v1 row_shr:8 row_mask:0xf bank_mask:0xf
	s_delay_alu instid0(VALU_DEP_1) | instskip(NEXT) | instid1(VALU_DEP_1)
	v_cndmask_b32_e64 v2, 0, v2, s3
	v_add_nc_u32_e32 v1, v1, v2
	ds_swizzle_b32 v2, v1 offset:swizzle(BROADCAST,32,15)
	s_waitcnt lgkmcnt(0)
	v_cndmask_b32_e64 v2, v2, 0, s1
	s_delay_alu instid0(VALU_DEP_1)
	v_add_nc_u32_e32 v1, v1, v2
	s_and_saveexec_b32 s1, s0
	s_cbranch_execz .LBB1100_72
; %bb.71:
	v_lshlrev_b32_e32 v2, 2, v54
	ds_store_b32 v2, v1
.LBB1100_72:
	s_or_b32 exec_lo, exec_lo, s1
	s_delay_alu instid0(SALU_CYCLE_1)
	s_mov_b32 s0, exec_lo
	s_waitcnt lgkmcnt(0)
	s_barrier
	buffer_gl0_inv
	v_cmpx_gt_u32_e32 8, v0
	s_cbranch_execz .LBB1100_74
; %bb.73:
	ds_load_b32 v2, v33
	s_waitcnt lgkmcnt(0)
	v_mov_b32_dpp v4, v2 row_shr:1 row_mask:0xf bank_mask:0xf
	v_and_b32_e32 v3, 7, v53
	s_delay_alu instid0(VALU_DEP_1) | instskip(NEXT) | instid1(VALU_DEP_3)
	v_cmp_ne_u32_e32 vcc_lo, 0, v3
	v_cndmask_b32_e32 v4, 0, v4, vcc_lo
	v_cmp_lt_u32_e32 vcc_lo, 1, v3
	s_delay_alu instid0(VALU_DEP_2) | instskip(NEXT) | instid1(VALU_DEP_1)
	v_add_nc_u32_e32 v2, v4, v2
	v_mov_b32_dpp v4, v2 row_shr:2 row_mask:0xf bank_mask:0xf
	s_delay_alu instid0(VALU_DEP_1) | instskip(SKIP_1) | instid1(VALU_DEP_2)
	v_cndmask_b32_e32 v4, 0, v4, vcc_lo
	v_cmp_lt_u32_e32 vcc_lo, 3, v3
	v_add_nc_u32_e32 v2, v2, v4
	s_delay_alu instid0(VALU_DEP_1) | instskip(NEXT) | instid1(VALU_DEP_1)
	v_mov_b32_dpp v4, v2 row_shr:4 row_mask:0xf bank_mask:0xf
	v_cndmask_b32_e32 v3, 0, v4, vcc_lo
	s_delay_alu instid0(VALU_DEP_1)
	v_add_nc_u32_e32 v2, v2, v3
	ds_store_b32 v33, v2
.LBB1100_74:
	s_or_b32 exec_lo, exec_lo, s0
	v_dual_mov_b32 v3, 0 :: v_dual_mov_b32 v2, 0
	s_mov_b32 s0, exec_lo
	s_waitcnt lgkmcnt(0)
	s_barrier
	buffer_gl0_inv
	v_cmpx_lt_u32_e32 31, v0
	s_cbranch_execz .LBB1100_76
; %bb.75:
	v_lshl_add_u32 v2, v54, 2, -4
	ds_load_b32 v2, v2
.LBB1100_76:
	s_or_b32 exec_lo, exec_lo, s0
	v_add_nc_u32_e32 v4, -1, v53
	s_waitcnt lgkmcnt(0)
	v_add_nc_u32_e32 v1, v2, v1
	ds_load_b32 v16, v3 offset:28
	v_cmp_gt_i32_e32 vcc_lo, 0, v4
	v_cndmask_b32_e32 v4, v4, v53, vcc_lo
	s_delay_alu instid0(VALU_DEP_1)
	v_lshlrev_b32_e32 v4, 2, v4
	ds_bpermute_b32 v1, v4, v1
	s_and_saveexec_b32 s0, s2
	s_cbranch_execz .LBB1100_78
; %bb.77:
	v_mov_b32_e32 v3, 0
	v_mov_b32_e32 v17, 2
	s_waitcnt lgkmcnt(1)
	global_store_b64 v3, v[16:17], s[18:19] offset:256
.LBB1100_78:
	s_or_b32 exec_lo, exec_lo, s0
	v_cmp_eq_u32_e32 vcc_lo, 0, v53
	s_waitcnt lgkmcnt(0)
	s_waitcnt_vscnt null, 0x0
	s_barrier
	buffer_gl0_inv
	v_mov_b32_e32 v17, 0
	v_cndmask_b32_e32 v1, v1, v2, vcc_lo
	s_delay_alu instid0(VALU_DEP_1) | instskip(NEXT) | instid1(VALU_DEP_1)
	v_cndmask_b32_e64 v1, v1, 0, s2
	v_add_nc_u32_e32 v2, v1, v44
	s_delay_alu instid0(VALU_DEP_1) | instskip(NEXT) | instid1(VALU_DEP_1)
	v_add_nc_u32_e32 v3, v2, v45
	v_add_nc_u32_e32 v4, v3, v46
	s_delay_alu instid0(VALU_DEP_1) | instskip(NEXT) | instid1(VALU_DEP_1)
	v_add_nc_u32_e32 v5, v4, v43
	;; [unrolled: 3-line block ×5, first 2 shown]
	v_add_nc_u32_e32 v12, v11, v52
	s_delay_alu instid0(VALU_DEP_1)
	v_add_nc_u32_e32 v13, v12, v39
.LBB1100_79:
	s_waitcnt lgkmcnt(0)
	v_sub_nc_u32_e32 v1, v1, v17
	v_sub_nc_u32_e32 v2, v2, v17
	v_add_nc_u32_e32 v36, v16, v36
	v_lshrrev_b32_e32 v47, 8, v42
	v_lshrrev_b32_e32 v46, 16, v42
	v_sub_nc_u32_e32 v4, v4, v17
	v_sub_nc_u32_e32 v3, v3, v17
	;; [unrolled: 1-line block ×3, first 2 shown]
	v_and_b32_e32 v42, 1, v42
	v_and_b32_e32 v47, 1, v47
	;; [unrolled: 1-line block ×3, first 2 shown]
	v_lshrrev_b32_e32 v45, 8, v40
	v_lshrrev_b32_e32 v44, 16, v40
	v_cmp_eq_u32_e32 vcc_lo, 1, v42
	v_and_b32_e32 v42, 1, v46
	v_sub_nc_u32_e32 v46, v36, v2
	v_lshrrev_b32_e32 v15, 8, v38
	v_lshrrev_b32_e32 v14, 16, v38
	v_cndmask_b32_e32 v1, v48, v1, vcc_lo
	v_cmp_eq_u32_e32 vcc_lo, 1, v47
	v_add_nc_u32_e32 v46, 1, v46
	s_delay_alu instid0(VALU_DEP_3)
	v_lshlrev_b32_e32 v1, 2, v1
	ds_store_b32 v1, v30
	v_cndmask_b32_e32 v1, v46, v2, vcc_lo
	v_sub_nc_u32_e32 v48, v36, v3
	v_sub_nc_u32_e32 v49, v36, v4
	v_cmp_eq_u32_e32 vcc_lo, 1, v42
	v_or_b32_e32 v30, 0x300, v0
	v_lshlrev_b32_e32 v1, 2, v1
	v_add_nc_u32_e32 v48, 2, v48
	v_add_nc_u32_e32 v49, 3, v49
	ds_store_b32 v1, v31
	v_cndmask_b32_e32 v2, v48, v3, vcc_lo
	v_cmp_eq_u32_e32 vcc_lo, 1, v43
	v_or_b32_e32 v31, 0x200, v0
	s_delay_alu instid0(VALU_DEP_3) | instskip(SKIP_2) | instid1(VALU_DEP_3)
	v_dual_cndmask_b32 v3, v49, v4 :: v_dual_lshlrev_b32 v2, 2, v2
	v_sub_nc_u32_e32 v4, v5, v17
	v_sub_nc_u32_e32 v5, v6, v17
	v_lshlrev_b32_e32 v3, 2, v3
	s_delay_alu instid0(VALU_DEP_3) | instskip(NEXT) | instid1(VALU_DEP_3)
	v_sub_nc_u32_e32 v1, v36, v4
	v_sub_nc_u32_e32 v6, v36, v5
	ds_store_b32 v2, v28
	ds_store_b32 v3, v29
	v_and_b32_e32 v2, 1, v40
	v_add_nc_u32_e32 v1, 4, v1
	v_add_nc_u32_e32 v3, 5, v6
	v_sub_nc_u32_e32 v6, v7, v17
	v_and_b32_e32 v7, 1, v45
	v_cmp_eq_u32_e32 vcc_lo, 1, v2
	v_sub_nc_u32_e32 v2, v8, v17
	v_and_b32_e32 v8, 1, v41
	v_or_b32_e32 v29, 0x400, v0
	v_or_b32_e32 v28, 0x500, v0
	v_cndmask_b32_e32 v1, v1, v4, vcc_lo
	v_sub_nc_u32_e32 v4, v36, v6
	v_cmp_eq_u32_e32 vcc_lo, 1, v7
	v_and_b32_e32 v7, 1, v44
	s_delay_alu instid0(VALU_DEP_4) | instskip(NEXT) | instid1(VALU_DEP_4)
	v_lshlrev_b32_e32 v1, 2, v1
	v_dual_cndmask_b32 v3, v3, v5 :: v_dual_add_nc_u32 v4, 6, v4
	v_sub_nc_u32_e32 v5, v36, v2
	s_delay_alu instid0(VALU_DEP_4) | instskip(SKIP_2) | instid1(VALU_DEP_4)
	v_cmp_eq_u32_e32 vcc_lo, 1, v7
	v_sub_nc_u32_e32 v7, v13, v17
	v_add_co_u32 v13, s0, s16, v32
	v_dual_cndmask_b32 v4, v4, v6 :: v_dual_add_nc_u32 v5, 7, v5
	v_cmp_eq_u32_e32 vcc_lo, 1, v8
	v_sub_nc_u32_e32 v6, v9, v17
	v_lshlrev_b32_e32 v3, 2, v3
	ds_store_b32 v1, v26
	ds_store_b32 v3, v27
	v_cndmask_b32_e32 v2, v5, v2, vcc_lo
	v_sub_nc_u32_e32 v1, v36, v6
	v_lshlrev_b32_e32 v3, 2, v4
	v_and_b32_e32 v5, 1, v38
	v_sub_nc_u32_e32 v4, v10, v17
	v_lshlrev_b32_e32 v2, 2, v2
	v_add_nc_u32_e32 v1, 8, v1
	ds_store_b32 v3, v24
	ds_store_b32 v2, v25
	v_cmp_eq_u32_e32 vcc_lo, 1, v5
	v_sub_nc_u32_e32 v3, v11, v17
	v_sub_nc_u32_e32 v2, v36, v4
	v_sub_nc_u32_e32 v5, v12, v17
	v_dual_cndmask_b32 v1, v1, v6 :: v_dual_and_b32 v10, 1, v39
	v_and_b32_e32 v6, 1, v15
	v_sub_nc_u32_e32 v8, v36, v3
	v_add_nc_u32_e32 v2, 9, v2
	v_sub_nc_u32_e32 v9, v36, v5
	v_and_b32_e32 v11, 1, v37
	v_cmp_eq_u32_e32 vcc_lo, 1, v6
	v_add_nc_u32_e32 v6, 10, v8
	v_and_b32_e32 v8, 1, v14
	v_add_nc_u32_e32 v9, 11, v9
	v_dual_cndmask_b32 v2, v2, v4 :: v_dual_lshlrev_b32 v1, 2, v1
	v_sub_nc_u32_e32 v4, v36, v7
	s_delay_alu instid0(VALU_DEP_4) | instskip(SKIP_1) | instid1(VALU_DEP_4)
	v_cmp_eq_u32_e32 vcc_lo, 1, v8
	v_add_co_ci_u32_e64 v14, null, s17, 0, s0
	v_lshlrev_b32_e32 v2, 2, v2
	s_delay_alu instid0(VALU_DEP_4)
	v_dual_cndmask_b32 v3, v6, v3 :: v_dual_add_nc_u32 v4, 12, v4
	v_cmp_eq_u32_e32 vcc_lo, 1, v10
	v_or_b32_e32 v27, 0x600, v0
	v_or_b32_e32 v26, 0x700, v0
	;; [unrolled: 1-line block ×3, first 2 shown]
	v_lshlrev_b32_e32 v3, 2, v3
	v_cndmask_b32_e32 v5, v9, v5, vcc_lo
	v_cmp_eq_u32_e32 vcc_lo, 1, v11
	v_or_b32_e32 v24, 0x900, v0
	s_delay_alu instid0(VALU_DEP_3) | instskip(SKIP_2) | instid1(VALU_DEP_3)
	v_dual_cndmask_b32 v4, v4, v7 :: v_dual_lshlrev_b32 v5, 2, v5
	v_sub_co_u32 v13, vcc_lo, s14, v13
	v_sub_co_ci_u32_e32 v14, vcc_lo, s15, v14, vcc_lo
	v_lshlrev_b32_e32 v4, 2, v4
	ds_store_b32 v1, v22
	ds_store_b32 v2, v23
	;; [unrolled: 1-line block ×5, first 2 shown]
	s_waitcnt lgkmcnt(0)
	s_barrier
	buffer_gl0_inv
	ds_load_2addr_stride64_b32 v[11:12], v33 offset1:4
	ds_load_2addr_stride64_b32 v[9:10], v33 offset0:8 offset1:12
	ds_load_2addr_stride64_b32 v[7:8], v33 offset0:16 offset1:20
	;; [unrolled: 1-line block ×5, first 2 shown]
	ds_load_b32 v20, v33 offset:12288
	v_add_co_u32 v15, vcc_lo, v18, v17
	v_add_co_ci_u32_e32 v17, vcc_lo, 0, v19, vcc_lo
	v_add_co_u32 v13, vcc_lo, v13, v16
	v_add_co_ci_u32_e32 v14, vcc_lo, 0, v14, vcc_lo
	v_cmp_ne_u32_e32 vcc_lo, 1, v34
	s_delay_alu instid0(VALU_DEP_3)
	v_add_co_u32 v18, s0, v13, v15
	v_or_b32_e32 v35, 0x100, v0
	v_or_b32_e32 v23, 0xa00, v0
	;; [unrolled: 1-line block ×4, first 2 shown]
	v_add_co_ci_u32_e64 v19, s0, v14, v17, s0
	s_mov_b32 s0, 0
	s_cbranch_vccnz .LBB1100_136
; %bb.80:
	s_mov_b32 s0, exec_lo
                                        ; implicit-def: $vgpr13_vgpr14
	v_cmpx_ge_u32_e64 v0, v16
	s_xor_b32 s0, exec_lo, s0
; %bb.81:
	v_not_b32_e32 v13, v0
	s_delay_alu instid0(VALU_DEP_1) | instskip(SKIP_1) | instid1(VALU_DEP_2)
	v_ashrrev_i32_e32 v14, 31, v13
	v_add_co_u32 v13, vcc_lo, v18, v13
	v_add_co_ci_u32_e32 v14, vcc_lo, v19, v14, vcc_lo
; %bb.82:
	s_and_not1_saveexec_b32 s0, s0
; %bb.83:
	v_add_co_u32 v13, vcc_lo, v15, v0
	v_add_co_ci_u32_e32 v14, vcc_lo, 0, v17, vcc_lo
; %bb.84:
	s_or_b32 exec_lo, exec_lo, s0
	s_delay_alu instid0(VALU_DEP_1) | instskip(SKIP_1) | instid1(VALU_DEP_1)
	v_lshlrev_b64 v[13:14], 2, v[13:14]
	s_mov_b32 s0, exec_lo
	v_add_co_u32 v13, vcc_lo, s12, v13
	s_delay_alu instid0(VALU_DEP_2)
	v_add_co_ci_u32_e32 v14, vcc_lo, s13, v14, vcc_lo
	s_waitcnt lgkmcnt(6)
	global_store_b32 v[13:14], v11, off
                                        ; implicit-def: $vgpr13_vgpr14
	v_cmpx_ge_u32_e64 v35, v16
	s_xor_b32 s0, exec_lo, s0
; %bb.85:
	v_xor_b32_e32 v13, 0xfffffeff, v0
	s_delay_alu instid0(VALU_DEP_1) | instskip(SKIP_1) | instid1(VALU_DEP_2)
	v_ashrrev_i32_e32 v14, 31, v13
	v_add_co_u32 v13, vcc_lo, v18, v13
	v_add_co_ci_u32_e32 v14, vcc_lo, v19, v14, vcc_lo
; %bb.86:
	s_and_not1_saveexec_b32 s0, s0
; %bb.87:
	v_add_co_u32 v13, vcc_lo, v15, v35
	v_add_co_ci_u32_e32 v14, vcc_lo, 0, v17, vcc_lo
; %bb.88:
	s_or_b32 exec_lo, exec_lo, s0
	s_delay_alu instid0(VALU_DEP_1) | instskip(SKIP_1) | instid1(VALU_DEP_1)
	v_lshlrev_b64 v[13:14], 2, v[13:14]
	s_mov_b32 s0, exec_lo
	v_add_co_u32 v13, vcc_lo, s12, v13
	s_delay_alu instid0(VALU_DEP_2)
	v_add_co_ci_u32_e32 v14, vcc_lo, s13, v14, vcc_lo
	global_store_b32 v[13:14], v12, off
                                        ; implicit-def: $vgpr13_vgpr14
	v_cmpx_ge_u32_e64 v31, v16
	s_xor_b32 s0, exec_lo, s0
; %bb.89:
	v_xor_b32_e32 v13, 0xfffffdff, v0
	s_delay_alu instid0(VALU_DEP_1) | instskip(SKIP_1) | instid1(VALU_DEP_2)
	v_ashrrev_i32_e32 v14, 31, v13
	v_add_co_u32 v13, vcc_lo, v18, v13
	v_add_co_ci_u32_e32 v14, vcc_lo, v19, v14, vcc_lo
; %bb.90:
	s_and_not1_saveexec_b32 s0, s0
; %bb.91:
	v_add_co_u32 v13, vcc_lo, v15, v31
	v_add_co_ci_u32_e32 v14, vcc_lo, 0, v17, vcc_lo
; %bb.92:
	s_or_b32 exec_lo, exec_lo, s0
	s_delay_alu instid0(VALU_DEP_1) | instskip(SKIP_1) | instid1(VALU_DEP_1)
	v_lshlrev_b64 v[13:14], 2, v[13:14]
	s_mov_b32 s0, exec_lo
	v_add_co_u32 v13, vcc_lo, s12, v13
	s_delay_alu instid0(VALU_DEP_2)
	v_add_co_ci_u32_e32 v14, vcc_lo, s13, v14, vcc_lo
	s_waitcnt lgkmcnt(5)
	global_store_b32 v[13:14], v9, off
                                        ; implicit-def: $vgpr13_vgpr14
	v_cmpx_ge_u32_e64 v30, v16
	s_xor_b32 s0, exec_lo, s0
; %bb.93:
	v_xor_b32_e32 v13, 0xfffffcff, v0
	s_delay_alu instid0(VALU_DEP_1) | instskip(SKIP_1) | instid1(VALU_DEP_2)
	v_ashrrev_i32_e32 v14, 31, v13
	v_add_co_u32 v13, vcc_lo, v18, v13
	v_add_co_ci_u32_e32 v14, vcc_lo, v19, v14, vcc_lo
; %bb.94:
	s_and_not1_saveexec_b32 s0, s0
; %bb.95:
	v_add_co_u32 v13, vcc_lo, v15, v30
	v_add_co_ci_u32_e32 v14, vcc_lo, 0, v17, vcc_lo
; %bb.96:
	s_or_b32 exec_lo, exec_lo, s0
	s_delay_alu instid0(VALU_DEP_1) | instskip(SKIP_1) | instid1(VALU_DEP_1)
	v_lshlrev_b64 v[13:14], 2, v[13:14]
	s_mov_b32 s0, exec_lo
	v_add_co_u32 v13, vcc_lo, s12, v13
	s_delay_alu instid0(VALU_DEP_2)
	v_add_co_ci_u32_e32 v14, vcc_lo, s13, v14, vcc_lo
	global_store_b32 v[13:14], v10, off
                                        ; implicit-def: $vgpr13_vgpr14
	v_cmpx_ge_u32_e64 v29, v16
	s_xor_b32 s0, exec_lo, s0
; %bb.97:
	v_xor_b32_e32 v13, 0xfffffbff, v0
	s_delay_alu instid0(VALU_DEP_1) | instskip(SKIP_1) | instid1(VALU_DEP_2)
	v_ashrrev_i32_e32 v14, 31, v13
	v_add_co_u32 v13, vcc_lo, v18, v13
	v_add_co_ci_u32_e32 v14, vcc_lo, v19, v14, vcc_lo
; %bb.98:
	s_and_not1_saveexec_b32 s0, s0
; %bb.99:
	v_add_co_u32 v13, vcc_lo, v15, v29
	v_add_co_ci_u32_e32 v14, vcc_lo, 0, v17, vcc_lo
; %bb.100:
	s_or_b32 exec_lo, exec_lo, s0
	s_delay_alu instid0(VALU_DEP_1) | instskip(SKIP_1) | instid1(VALU_DEP_1)
	v_lshlrev_b64 v[13:14], 2, v[13:14]
	s_mov_b32 s0, exec_lo
	v_add_co_u32 v13, vcc_lo, s12, v13
	s_delay_alu instid0(VALU_DEP_2)
	v_add_co_ci_u32_e32 v14, vcc_lo, s13, v14, vcc_lo
	s_waitcnt lgkmcnt(4)
	global_store_b32 v[13:14], v7, off
                                        ; implicit-def: $vgpr13_vgpr14
	v_cmpx_ge_u32_e64 v28, v16
	s_xor_b32 s0, exec_lo, s0
; %bb.101:
	v_xor_b32_e32 v13, 0xfffffaff, v0
	s_delay_alu instid0(VALU_DEP_1) | instskip(SKIP_1) | instid1(VALU_DEP_2)
	v_ashrrev_i32_e32 v14, 31, v13
	v_add_co_u32 v13, vcc_lo, v18, v13
	v_add_co_ci_u32_e32 v14, vcc_lo, v19, v14, vcc_lo
; %bb.102:
	s_and_not1_saveexec_b32 s0, s0
; %bb.103:
	v_add_co_u32 v13, vcc_lo, v15, v28
	v_add_co_ci_u32_e32 v14, vcc_lo, 0, v17, vcc_lo
; %bb.104:
	s_or_b32 exec_lo, exec_lo, s0
	s_delay_alu instid0(VALU_DEP_1) | instskip(SKIP_1) | instid1(VALU_DEP_1)
	v_lshlrev_b64 v[13:14], 2, v[13:14]
	s_mov_b32 s0, exec_lo
	v_add_co_u32 v13, vcc_lo, s12, v13
	s_delay_alu instid0(VALU_DEP_2)
	v_add_co_ci_u32_e32 v14, vcc_lo, s13, v14, vcc_lo
	global_store_b32 v[13:14], v8, off
                                        ; implicit-def: $vgpr13_vgpr14
	v_cmpx_ge_u32_e64 v27, v16
	s_xor_b32 s0, exec_lo, s0
; %bb.105:
	v_xor_b32_e32 v13, 0xfffff9ff, v0
	s_delay_alu instid0(VALU_DEP_1) | instskip(SKIP_1) | instid1(VALU_DEP_2)
	v_ashrrev_i32_e32 v14, 31, v13
	v_add_co_u32 v13, vcc_lo, v18, v13
	v_add_co_ci_u32_e32 v14, vcc_lo, v19, v14, vcc_lo
; %bb.106:
	s_and_not1_saveexec_b32 s0, s0
; %bb.107:
	v_add_co_u32 v13, vcc_lo, v15, v27
	v_add_co_ci_u32_e32 v14, vcc_lo, 0, v17, vcc_lo
; %bb.108:
	s_or_b32 exec_lo, exec_lo, s0
	s_delay_alu instid0(VALU_DEP_1) | instskip(SKIP_1) | instid1(VALU_DEP_1)
	v_lshlrev_b64 v[13:14], 2, v[13:14]
	s_mov_b32 s0, exec_lo
	v_add_co_u32 v13, vcc_lo, s12, v13
	s_delay_alu instid0(VALU_DEP_2)
	v_add_co_ci_u32_e32 v14, vcc_lo, s13, v14, vcc_lo
	s_waitcnt lgkmcnt(3)
	global_store_b32 v[13:14], v5, off
                                        ; implicit-def: $vgpr13_vgpr14
	v_cmpx_ge_u32_e64 v26, v16
	s_xor_b32 s0, exec_lo, s0
; %bb.109:
	v_xor_b32_e32 v13, 0xfffff8ff, v0
	s_delay_alu instid0(VALU_DEP_1) | instskip(SKIP_1) | instid1(VALU_DEP_2)
	v_ashrrev_i32_e32 v14, 31, v13
	v_add_co_u32 v13, vcc_lo, v18, v13
	v_add_co_ci_u32_e32 v14, vcc_lo, v19, v14, vcc_lo
; %bb.110:
	s_and_not1_saveexec_b32 s0, s0
; %bb.111:
	v_add_co_u32 v13, vcc_lo, v15, v26
	v_add_co_ci_u32_e32 v14, vcc_lo, 0, v17, vcc_lo
; %bb.112:
	s_or_b32 exec_lo, exec_lo, s0
	s_delay_alu instid0(VALU_DEP_1) | instskip(SKIP_1) | instid1(VALU_DEP_1)
	v_lshlrev_b64 v[13:14], 2, v[13:14]
	s_mov_b32 s0, exec_lo
	v_add_co_u32 v13, vcc_lo, s12, v13
	s_delay_alu instid0(VALU_DEP_2)
	v_add_co_ci_u32_e32 v14, vcc_lo, s13, v14, vcc_lo
	global_store_b32 v[13:14], v6, off
                                        ; implicit-def: $vgpr13_vgpr14
	v_cmpx_ge_u32_e64 v25, v16
	s_xor_b32 s0, exec_lo, s0
; %bb.113:
	v_xor_b32_e32 v13, 0xfffff7ff, v0
	s_delay_alu instid0(VALU_DEP_1) | instskip(SKIP_1) | instid1(VALU_DEP_2)
	v_ashrrev_i32_e32 v14, 31, v13
	v_add_co_u32 v13, vcc_lo, v18, v13
	v_add_co_ci_u32_e32 v14, vcc_lo, v19, v14, vcc_lo
; %bb.114:
	s_and_not1_saveexec_b32 s0, s0
; %bb.115:
	v_add_co_u32 v13, vcc_lo, v15, v25
	v_add_co_ci_u32_e32 v14, vcc_lo, 0, v17, vcc_lo
; %bb.116:
	s_or_b32 exec_lo, exec_lo, s0
	s_delay_alu instid0(VALU_DEP_1) | instskip(SKIP_1) | instid1(VALU_DEP_1)
	v_lshlrev_b64 v[13:14], 2, v[13:14]
	s_mov_b32 s0, exec_lo
	v_add_co_u32 v13, vcc_lo, s12, v13
	s_delay_alu instid0(VALU_DEP_2)
	v_add_co_ci_u32_e32 v14, vcc_lo, s13, v14, vcc_lo
	s_waitcnt lgkmcnt(2)
	global_store_b32 v[13:14], v3, off
                                        ; implicit-def: $vgpr13_vgpr14
	v_cmpx_ge_u32_e64 v24, v16
	s_xor_b32 s0, exec_lo, s0
; %bb.117:
	v_xor_b32_e32 v13, 0xfffff6ff, v0
	s_delay_alu instid0(VALU_DEP_1) | instskip(SKIP_1) | instid1(VALU_DEP_2)
	v_ashrrev_i32_e32 v14, 31, v13
	v_add_co_u32 v13, vcc_lo, v18, v13
	v_add_co_ci_u32_e32 v14, vcc_lo, v19, v14, vcc_lo
; %bb.118:
	s_and_not1_saveexec_b32 s0, s0
; %bb.119:
	v_add_co_u32 v13, vcc_lo, v15, v24
	v_add_co_ci_u32_e32 v14, vcc_lo, 0, v17, vcc_lo
; %bb.120:
	s_or_b32 exec_lo, exec_lo, s0
	s_delay_alu instid0(VALU_DEP_1) | instskip(SKIP_1) | instid1(VALU_DEP_1)
	v_lshlrev_b64 v[13:14], 2, v[13:14]
	s_mov_b32 s0, exec_lo
	v_add_co_u32 v13, vcc_lo, s12, v13
	s_delay_alu instid0(VALU_DEP_2)
	v_add_co_ci_u32_e32 v14, vcc_lo, s13, v14, vcc_lo
	global_store_b32 v[13:14], v4, off
                                        ; implicit-def: $vgpr13_vgpr14
	v_cmpx_ge_u32_e64 v23, v16
	s_xor_b32 s0, exec_lo, s0
; %bb.121:
	v_xor_b32_e32 v13, 0xfffff5ff, v0
	s_delay_alu instid0(VALU_DEP_1) | instskip(SKIP_1) | instid1(VALU_DEP_2)
	v_ashrrev_i32_e32 v14, 31, v13
	v_add_co_u32 v13, vcc_lo, v18, v13
	v_add_co_ci_u32_e32 v14, vcc_lo, v19, v14, vcc_lo
; %bb.122:
	s_and_not1_saveexec_b32 s0, s0
; %bb.123:
	v_add_co_u32 v13, vcc_lo, v15, v23
	v_add_co_ci_u32_e32 v14, vcc_lo, 0, v17, vcc_lo
; %bb.124:
	s_or_b32 exec_lo, exec_lo, s0
	s_delay_alu instid0(VALU_DEP_1) | instskip(SKIP_1) | instid1(VALU_DEP_1)
	v_lshlrev_b64 v[13:14], 2, v[13:14]
	s_mov_b32 s0, exec_lo
	v_add_co_u32 v13, vcc_lo, s12, v13
	s_delay_alu instid0(VALU_DEP_2)
	v_add_co_ci_u32_e32 v14, vcc_lo, s13, v14, vcc_lo
	s_waitcnt lgkmcnt(1)
	global_store_b32 v[13:14], v1, off
                                        ; implicit-def: $vgpr13_vgpr14
	v_cmpx_ge_u32_e64 v22, v16
	s_xor_b32 s0, exec_lo, s0
; %bb.125:
	v_xor_b32_e32 v13, 0xfffff4ff, v0
	s_delay_alu instid0(VALU_DEP_1) | instskip(SKIP_1) | instid1(VALU_DEP_2)
	v_ashrrev_i32_e32 v14, 31, v13
	v_add_co_u32 v13, vcc_lo, v18, v13
	v_add_co_ci_u32_e32 v14, vcc_lo, v19, v14, vcc_lo
; %bb.126:
	s_and_not1_saveexec_b32 s0, s0
; %bb.127:
	v_add_co_u32 v13, vcc_lo, v15, v22
	v_add_co_ci_u32_e32 v14, vcc_lo, 0, v17, vcc_lo
; %bb.128:
	s_or_b32 exec_lo, exec_lo, s0
	s_delay_alu instid0(VALU_DEP_1) | instskip(SKIP_1) | instid1(VALU_DEP_1)
	v_lshlrev_b64 v[13:14], 2, v[13:14]
	s_mov_b32 s0, exec_lo
	v_add_co_u32 v13, vcc_lo, s12, v13
	s_delay_alu instid0(VALU_DEP_2)
	v_add_co_ci_u32_e32 v14, vcc_lo, s13, v14, vcc_lo
	global_store_b32 v[13:14], v2, off
                                        ; implicit-def: $vgpr13_vgpr14
	v_cmpx_ge_u32_e64 v21, v16
	s_xor_b32 s0, exec_lo, s0
; %bb.129:
	v_xor_b32_e32 v13, 0xfffff3ff, v0
	s_delay_alu instid0(VALU_DEP_1) | instskip(SKIP_1) | instid1(VALU_DEP_2)
	v_ashrrev_i32_e32 v14, 31, v13
	v_add_co_u32 v13, vcc_lo, v18, v13
	v_add_co_ci_u32_e32 v14, vcc_lo, v19, v14, vcc_lo
; %bb.130:
	s_and_not1_saveexec_b32 s0, s0
; %bb.131:
	v_add_co_u32 v13, vcc_lo, v15, v21
	v_add_co_ci_u32_e32 v14, vcc_lo, 0, v17, vcc_lo
; %bb.132:
	s_or_b32 exec_lo, exec_lo, s0
	s_mov_b32 s0, -1
.LBB1100_133:
	s_delay_alu instid0(SALU_CYCLE_1)
	s_and_saveexec_b32 s1, s0
	s_cbranch_execz .LBB1100_216
.LBB1100_134:
	s_waitcnt lgkmcnt(1)
	v_lshlrev_b64 v[0:1], 2, v[13:14]
	s_delay_alu instid0(VALU_DEP_1) | instskip(NEXT) | instid1(VALU_DEP_2)
	v_add_co_u32 v0, vcc_lo, s12, v0
	v_add_co_ci_u32_e32 v1, vcc_lo, s13, v1, vcc_lo
	s_waitcnt lgkmcnt(0)
	global_store_b32 v[0:1], v20, off
	s_or_b32 exec_lo, exec_lo, s1
	s_and_b32 s0, s2, s10
	s_delay_alu instid0(SALU_CYCLE_1)
	s_and_saveexec_b32 s1, s0
	s_cbranch_execnz .LBB1100_217
.LBB1100_135:
	s_nop 0
	s_sendmsg sendmsg(MSG_DEALLOC_VGPRS)
	s_endpgm
.LBB1100_136:
                                        ; implicit-def: $vgpr13_vgpr14
	s_cbranch_execz .LBB1100_133
; %bb.137:
	s_mov_b32 s1, exec_lo
	v_cmpx_gt_u32_e64 s11, v0
	s_cbranch_execz .LBB1100_173
; %bb.138:
	s_mov_b32 s3, exec_lo
                                        ; implicit-def: $vgpr13_vgpr14
	v_cmpx_ge_u32_e64 v0, v16
	s_xor_b32 s3, exec_lo, s3
; %bb.139:
	v_not_b32_e32 v13, v0
	s_delay_alu instid0(VALU_DEP_1) | instskip(SKIP_1) | instid1(VALU_DEP_2)
	v_ashrrev_i32_e32 v14, 31, v13
	v_add_co_u32 v13, vcc_lo, v18, v13
	v_add_co_ci_u32_e32 v14, vcc_lo, v19, v14, vcc_lo
; %bb.140:
	s_and_not1_saveexec_b32 s3, s3
; %bb.141:
	v_add_co_u32 v13, vcc_lo, v15, v0
	v_add_co_ci_u32_e32 v14, vcc_lo, 0, v17, vcc_lo
; %bb.142:
	s_or_b32 exec_lo, exec_lo, s3
	s_delay_alu instid0(VALU_DEP_1) | instskip(NEXT) | instid1(VALU_DEP_1)
	v_lshlrev_b64 v[13:14], 2, v[13:14]
	v_add_co_u32 v13, vcc_lo, s12, v13
	s_delay_alu instid0(VALU_DEP_2) | instskip(SKIP_3) | instid1(SALU_CYCLE_1)
	v_add_co_ci_u32_e32 v14, vcc_lo, s13, v14, vcc_lo
	s_waitcnt lgkmcnt(6)
	global_store_b32 v[13:14], v11, off
	s_or_b32 exec_lo, exec_lo, s1
	s_mov_b32 s1, exec_lo
	v_cmpx_gt_u32_e64 s11, v35
	s_cbranch_execnz .LBB1100_174
.LBB1100_143:
	s_or_b32 exec_lo, exec_lo, s1
	s_delay_alu instid0(SALU_CYCLE_1)
	s_mov_b32 s1, exec_lo
	v_cmpx_gt_u32_e64 s11, v31
	s_cbranch_execz .LBB1100_179
.LBB1100_144:
	s_mov_b32 s3, exec_lo
                                        ; implicit-def: $vgpr11_vgpr12
	v_cmpx_ge_u32_e64 v31, v16
	s_xor_b32 s3, exec_lo, s3
	s_cbranch_execz .LBB1100_146
; %bb.145:
	s_waitcnt lgkmcnt(6)
	v_xor_b32_e32 v11, 0xfffffdff, v0
                                        ; implicit-def: $vgpr31
	s_delay_alu instid0(VALU_DEP_1) | instskip(SKIP_1) | instid1(VALU_DEP_2)
	v_ashrrev_i32_e32 v12, 31, v11
	v_add_co_u32 v11, vcc_lo, v18, v11
	v_add_co_ci_u32_e32 v12, vcc_lo, v19, v12, vcc_lo
.LBB1100_146:
	s_and_not1_saveexec_b32 s3, s3
	s_cbranch_execz .LBB1100_148
; %bb.147:
	s_waitcnt lgkmcnt(6)
	v_add_co_u32 v11, vcc_lo, v15, v31
	v_add_co_ci_u32_e32 v12, vcc_lo, 0, v17, vcc_lo
.LBB1100_148:
	s_or_b32 exec_lo, exec_lo, s3
	s_waitcnt lgkmcnt(6)
	s_delay_alu instid0(VALU_DEP_1) | instskip(NEXT) | instid1(VALU_DEP_1)
	v_lshlrev_b64 v[11:12], 2, v[11:12]
	v_add_co_u32 v11, vcc_lo, s12, v11
	s_delay_alu instid0(VALU_DEP_2) | instskip(SKIP_3) | instid1(SALU_CYCLE_1)
	v_add_co_ci_u32_e32 v12, vcc_lo, s13, v12, vcc_lo
	s_waitcnt lgkmcnt(5)
	global_store_b32 v[11:12], v9, off
	s_or_b32 exec_lo, exec_lo, s1
	s_mov_b32 s1, exec_lo
	v_cmpx_gt_u32_e64 s11, v30
	s_cbranch_execnz .LBB1100_180
.LBB1100_149:
	s_or_b32 exec_lo, exec_lo, s1
	s_delay_alu instid0(SALU_CYCLE_1)
	s_mov_b32 s1, exec_lo
	v_cmpx_gt_u32_e64 s11, v29
	s_cbranch_execz .LBB1100_185
.LBB1100_150:
	s_mov_b32 s3, exec_lo
                                        ; implicit-def: $vgpr9_vgpr10
	v_cmpx_ge_u32_e64 v29, v16
	s_xor_b32 s3, exec_lo, s3
	s_cbranch_execz .LBB1100_152
; %bb.151:
	s_waitcnt lgkmcnt(5)
	v_xor_b32_e32 v9, 0xfffffbff, v0
                                        ; implicit-def: $vgpr29
	s_delay_alu instid0(VALU_DEP_1) | instskip(SKIP_1) | instid1(VALU_DEP_2)
	v_ashrrev_i32_e32 v10, 31, v9
	v_add_co_u32 v9, vcc_lo, v18, v9
	v_add_co_ci_u32_e32 v10, vcc_lo, v19, v10, vcc_lo
.LBB1100_152:
	s_and_not1_saveexec_b32 s3, s3
	s_cbranch_execz .LBB1100_154
; %bb.153:
	s_waitcnt lgkmcnt(5)
	v_add_co_u32 v9, vcc_lo, v15, v29
	v_add_co_ci_u32_e32 v10, vcc_lo, 0, v17, vcc_lo
.LBB1100_154:
	s_or_b32 exec_lo, exec_lo, s3
	s_waitcnt lgkmcnt(5)
	s_delay_alu instid0(VALU_DEP_1) | instskip(NEXT) | instid1(VALU_DEP_1)
	v_lshlrev_b64 v[9:10], 2, v[9:10]
	v_add_co_u32 v9, vcc_lo, s12, v9
	s_delay_alu instid0(VALU_DEP_2) | instskip(SKIP_3) | instid1(SALU_CYCLE_1)
	v_add_co_ci_u32_e32 v10, vcc_lo, s13, v10, vcc_lo
	s_waitcnt lgkmcnt(4)
	global_store_b32 v[9:10], v7, off
	s_or_b32 exec_lo, exec_lo, s1
	s_mov_b32 s1, exec_lo
	v_cmpx_gt_u32_e64 s11, v28
	s_cbranch_execnz .LBB1100_186
.LBB1100_155:
	s_or_b32 exec_lo, exec_lo, s1
	s_delay_alu instid0(SALU_CYCLE_1)
	s_mov_b32 s1, exec_lo
	v_cmpx_gt_u32_e64 s11, v27
	s_cbranch_execz .LBB1100_191
.LBB1100_156:
	s_mov_b32 s3, exec_lo
                                        ; implicit-def: $vgpr7_vgpr8
	v_cmpx_ge_u32_e64 v27, v16
	s_xor_b32 s3, exec_lo, s3
	s_cbranch_execz .LBB1100_158
; %bb.157:
	s_waitcnt lgkmcnt(4)
	v_xor_b32_e32 v7, 0xfffff9ff, v0
                                        ; implicit-def: $vgpr27
	s_delay_alu instid0(VALU_DEP_1) | instskip(SKIP_1) | instid1(VALU_DEP_2)
	v_ashrrev_i32_e32 v8, 31, v7
	v_add_co_u32 v7, vcc_lo, v18, v7
	v_add_co_ci_u32_e32 v8, vcc_lo, v19, v8, vcc_lo
.LBB1100_158:
	s_and_not1_saveexec_b32 s3, s3
	s_cbranch_execz .LBB1100_160
; %bb.159:
	s_waitcnt lgkmcnt(4)
	v_add_co_u32 v7, vcc_lo, v15, v27
	v_add_co_ci_u32_e32 v8, vcc_lo, 0, v17, vcc_lo
.LBB1100_160:
	s_or_b32 exec_lo, exec_lo, s3
	s_waitcnt lgkmcnt(4)
	s_delay_alu instid0(VALU_DEP_1) | instskip(NEXT) | instid1(VALU_DEP_1)
	v_lshlrev_b64 v[7:8], 2, v[7:8]
	v_add_co_u32 v7, vcc_lo, s12, v7
	s_delay_alu instid0(VALU_DEP_2) | instskip(SKIP_3) | instid1(SALU_CYCLE_1)
	v_add_co_ci_u32_e32 v8, vcc_lo, s13, v8, vcc_lo
	s_waitcnt lgkmcnt(3)
	global_store_b32 v[7:8], v5, off
	s_or_b32 exec_lo, exec_lo, s1
	s_mov_b32 s1, exec_lo
	v_cmpx_gt_u32_e64 s11, v26
	s_cbranch_execnz .LBB1100_192
.LBB1100_161:
	s_or_b32 exec_lo, exec_lo, s1
	s_delay_alu instid0(SALU_CYCLE_1)
	s_mov_b32 s1, exec_lo
	v_cmpx_gt_u32_e64 s11, v25
	s_cbranch_execz .LBB1100_197
.LBB1100_162:
	s_mov_b32 s3, exec_lo
                                        ; implicit-def: $vgpr5_vgpr6
	v_cmpx_ge_u32_e64 v25, v16
	s_xor_b32 s3, exec_lo, s3
	s_cbranch_execz .LBB1100_164
; %bb.163:
	s_waitcnt lgkmcnt(3)
	v_xor_b32_e32 v5, 0xfffff7ff, v0
                                        ; implicit-def: $vgpr25
	s_delay_alu instid0(VALU_DEP_1) | instskip(SKIP_1) | instid1(VALU_DEP_2)
	v_ashrrev_i32_e32 v6, 31, v5
	v_add_co_u32 v5, vcc_lo, v18, v5
	v_add_co_ci_u32_e32 v6, vcc_lo, v19, v6, vcc_lo
.LBB1100_164:
	s_and_not1_saveexec_b32 s3, s3
	s_cbranch_execz .LBB1100_166
; %bb.165:
	s_waitcnt lgkmcnt(3)
	v_add_co_u32 v5, vcc_lo, v15, v25
	v_add_co_ci_u32_e32 v6, vcc_lo, 0, v17, vcc_lo
.LBB1100_166:
	s_or_b32 exec_lo, exec_lo, s3
	s_waitcnt lgkmcnt(3)
	s_delay_alu instid0(VALU_DEP_1) | instskip(NEXT) | instid1(VALU_DEP_1)
	v_lshlrev_b64 v[5:6], 2, v[5:6]
	v_add_co_u32 v5, vcc_lo, s12, v5
	s_delay_alu instid0(VALU_DEP_2) | instskip(SKIP_3) | instid1(SALU_CYCLE_1)
	v_add_co_ci_u32_e32 v6, vcc_lo, s13, v6, vcc_lo
	s_waitcnt lgkmcnt(2)
	global_store_b32 v[5:6], v3, off
	s_or_b32 exec_lo, exec_lo, s1
	s_mov_b32 s1, exec_lo
	v_cmpx_gt_u32_e64 s11, v24
	s_cbranch_execnz .LBB1100_198
.LBB1100_167:
	s_or_b32 exec_lo, exec_lo, s1
	s_delay_alu instid0(SALU_CYCLE_1)
	s_mov_b32 s1, exec_lo
	v_cmpx_gt_u32_e64 s11, v23
	s_cbranch_execz .LBB1100_203
.LBB1100_168:
	s_mov_b32 s3, exec_lo
                                        ; implicit-def: $vgpr3_vgpr4
	v_cmpx_ge_u32_e64 v23, v16
	s_xor_b32 s3, exec_lo, s3
	s_cbranch_execz .LBB1100_170
; %bb.169:
	s_waitcnt lgkmcnt(2)
	v_xor_b32_e32 v3, 0xfffff5ff, v0
                                        ; implicit-def: $vgpr23
	s_delay_alu instid0(VALU_DEP_1) | instskip(SKIP_1) | instid1(VALU_DEP_2)
	v_ashrrev_i32_e32 v4, 31, v3
	v_add_co_u32 v3, vcc_lo, v18, v3
	v_add_co_ci_u32_e32 v4, vcc_lo, v19, v4, vcc_lo
.LBB1100_170:
	s_and_not1_saveexec_b32 s3, s3
	s_cbranch_execz .LBB1100_172
; %bb.171:
	s_waitcnt lgkmcnt(2)
	v_add_co_u32 v3, vcc_lo, v15, v23
	v_add_co_ci_u32_e32 v4, vcc_lo, 0, v17, vcc_lo
.LBB1100_172:
	s_or_b32 exec_lo, exec_lo, s3
	s_waitcnt lgkmcnt(2)
	s_delay_alu instid0(VALU_DEP_1) | instskip(NEXT) | instid1(VALU_DEP_1)
	v_lshlrev_b64 v[3:4], 2, v[3:4]
	v_add_co_u32 v3, vcc_lo, s12, v3
	s_delay_alu instid0(VALU_DEP_2) | instskip(SKIP_3) | instid1(SALU_CYCLE_1)
	v_add_co_ci_u32_e32 v4, vcc_lo, s13, v4, vcc_lo
	s_waitcnt lgkmcnt(1)
	global_store_b32 v[3:4], v1, off
	s_or_b32 exec_lo, exec_lo, s1
	s_mov_b32 s1, exec_lo
	v_cmpx_gt_u32_e64 s11, v22
	s_cbranch_execz .LBB1100_209
	s_branch .LBB1100_204
.LBB1100_173:
	s_or_b32 exec_lo, exec_lo, s1
	s_delay_alu instid0(SALU_CYCLE_1)
	s_mov_b32 s1, exec_lo
	v_cmpx_gt_u32_e64 s11, v35
	s_cbranch_execz .LBB1100_143
.LBB1100_174:
	s_mov_b32 s3, exec_lo
                                        ; implicit-def: $vgpr13_vgpr14
	v_cmpx_ge_u32_e64 v35, v16
	s_xor_b32 s3, exec_lo, s3
	s_cbranch_execz .LBB1100_176
; %bb.175:
	s_waitcnt lgkmcnt(6)
	v_xor_b32_e32 v11, 0xfffffeff, v0
                                        ; implicit-def: $vgpr35
	s_delay_alu instid0(VALU_DEP_1) | instskip(SKIP_1) | instid1(VALU_DEP_2)
	v_ashrrev_i32_e32 v14, 31, v11
	v_add_co_u32 v13, vcc_lo, v18, v11
	v_add_co_ci_u32_e32 v14, vcc_lo, v19, v14, vcc_lo
.LBB1100_176:
	s_and_not1_saveexec_b32 s3, s3
; %bb.177:
	v_add_co_u32 v13, vcc_lo, v15, v35
	v_add_co_ci_u32_e32 v14, vcc_lo, 0, v17, vcc_lo
; %bb.178:
	s_or_b32 exec_lo, exec_lo, s3
	s_delay_alu instid0(VALU_DEP_1) | instskip(NEXT) | instid1(VALU_DEP_1)
	v_lshlrev_b64 v[13:14], 2, v[13:14]
	v_add_co_u32 v13, vcc_lo, s12, v13
	s_delay_alu instid0(VALU_DEP_2) | instskip(SKIP_3) | instid1(SALU_CYCLE_1)
	v_add_co_ci_u32_e32 v14, vcc_lo, s13, v14, vcc_lo
	s_waitcnt lgkmcnt(6)
	global_store_b32 v[13:14], v12, off
	s_or_b32 exec_lo, exec_lo, s1
	s_mov_b32 s1, exec_lo
	v_cmpx_gt_u32_e64 s11, v31
	s_cbranch_execnz .LBB1100_144
.LBB1100_179:
	s_or_b32 exec_lo, exec_lo, s1
	s_delay_alu instid0(SALU_CYCLE_1)
	s_mov_b32 s1, exec_lo
	v_cmpx_gt_u32_e64 s11, v30
	s_cbranch_execz .LBB1100_149
.LBB1100_180:
	s_mov_b32 s3, exec_lo
                                        ; implicit-def: $vgpr11_vgpr12
	v_cmpx_ge_u32_e64 v30, v16
	s_xor_b32 s3, exec_lo, s3
	s_cbranch_execz .LBB1100_182
; %bb.181:
	s_waitcnt lgkmcnt(5)
	v_xor_b32_e32 v9, 0xfffffcff, v0
                                        ; implicit-def: $vgpr30
	s_delay_alu instid0(VALU_DEP_1) | instskip(SKIP_1) | instid1(VALU_DEP_2)
	v_ashrrev_i32_e32 v12, 31, v9
	v_add_co_u32 v11, vcc_lo, v18, v9
	v_add_co_ci_u32_e32 v12, vcc_lo, v19, v12, vcc_lo
.LBB1100_182:
	s_and_not1_saveexec_b32 s3, s3
	s_cbranch_execz .LBB1100_184
; %bb.183:
	s_waitcnt lgkmcnt(6)
	v_add_co_u32 v11, vcc_lo, v15, v30
	v_add_co_ci_u32_e32 v12, vcc_lo, 0, v17, vcc_lo
.LBB1100_184:
	s_or_b32 exec_lo, exec_lo, s3
	s_waitcnt lgkmcnt(6)
	s_delay_alu instid0(VALU_DEP_1) | instskip(NEXT) | instid1(VALU_DEP_1)
	v_lshlrev_b64 v[11:12], 2, v[11:12]
	v_add_co_u32 v11, vcc_lo, s12, v11
	s_delay_alu instid0(VALU_DEP_2) | instskip(SKIP_3) | instid1(SALU_CYCLE_1)
	v_add_co_ci_u32_e32 v12, vcc_lo, s13, v12, vcc_lo
	s_waitcnt lgkmcnt(5)
	global_store_b32 v[11:12], v10, off
	s_or_b32 exec_lo, exec_lo, s1
	s_mov_b32 s1, exec_lo
	v_cmpx_gt_u32_e64 s11, v29
	s_cbranch_execnz .LBB1100_150
.LBB1100_185:
	s_or_b32 exec_lo, exec_lo, s1
	s_delay_alu instid0(SALU_CYCLE_1)
	s_mov_b32 s1, exec_lo
	v_cmpx_gt_u32_e64 s11, v28
	s_cbranch_execz .LBB1100_155
.LBB1100_186:
	s_mov_b32 s3, exec_lo
                                        ; implicit-def: $vgpr9_vgpr10
	v_cmpx_ge_u32_e64 v28, v16
	s_xor_b32 s3, exec_lo, s3
	s_cbranch_execz .LBB1100_188
; %bb.187:
	s_waitcnt lgkmcnt(4)
	v_xor_b32_e32 v7, 0xfffffaff, v0
                                        ; implicit-def: $vgpr28
	s_delay_alu instid0(VALU_DEP_1) | instskip(SKIP_1) | instid1(VALU_DEP_2)
	v_ashrrev_i32_e32 v10, 31, v7
	v_add_co_u32 v9, vcc_lo, v18, v7
	v_add_co_ci_u32_e32 v10, vcc_lo, v19, v10, vcc_lo
.LBB1100_188:
	s_and_not1_saveexec_b32 s3, s3
	s_cbranch_execz .LBB1100_190
; %bb.189:
	s_waitcnt lgkmcnt(5)
	v_add_co_u32 v9, vcc_lo, v15, v28
	v_add_co_ci_u32_e32 v10, vcc_lo, 0, v17, vcc_lo
.LBB1100_190:
	s_or_b32 exec_lo, exec_lo, s3
	s_waitcnt lgkmcnt(5)
	s_delay_alu instid0(VALU_DEP_1) | instskip(NEXT) | instid1(VALU_DEP_1)
	v_lshlrev_b64 v[9:10], 2, v[9:10]
	v_add_co_u32 v9, vcc_lo, s12, v9
	s_delay_alu instid0(VALU_DEP_2) | instskip(SKIP_3) | instid1(SALU_CYCLE_1)
	v_add_co_ci_u32_e32 v10, vcc_lo, s13, v10, vcc_lo
	s_waitcnt lgkmcnt(4)
	global_store_b32 v[9:10], v8, off
	s_or_b32 exec_lo, exec_lo, s1
	s_mov_b32 s1, exec_lo
	v_cmpx_gt_u32_e64 s11, v27
	s_cbranch_execnz .LBB1100_156
.LBB1100_191:
	s_or_b32 exec_lo, exec_lo, s1
	s_delay_alu instid0(SALU_CYCLE_1)
	s_mov_b32 s1, exec_lo
	v_cmpx_gt_u32_e64 s11, v26
	s_cbranch_execz .LBB1100_161
.LBB1100_192:
	s_mov_b32 s3, exec_lo
                                        ; implicit-def: $vgpr7_vgpr8
	v_cmpx_ge_u32_e64 v26, v16
	s_xor_b32 s3, exec_lo, s3
	s_cbranch_execz .LBB1100_194
; %bb.193:
	s_waitcnt lgkmcnt(3)
	v_xor_b32_e32 v5, 0xfffff8ff, v0
                                        ; implicit-def: $vgpr26
	s_delay_alu instid0(VALU_DEP_1) | instskip(SKIP_1) | instid1(VALU_DEP_2)
	v_ashrrev_i32_e32 v8, 31, v5
	v_add_co_u32 v7, vcc_lo, v18, v5
	v_add_co_ci_u32_e32 v8, vcc_lo, v19, v8, vcc_lo
.LBB1100_194:
	s_and_not1_saveexec_b32 s3, s3
	s_cbranch_execz .LBB1100_196
; %bb.195:
	s_waitcnt lgkmcnt(4)
	v_add_co_u32 v7, vcc_lo, v15, v26
	v_add_co_ci_u32_e32 v8, vcc_lo, 0, v17, vcc_lo
.LBB1100_196:
	s_or_b32 exec_lo, exec_lo, s3
	s_waitcnt lgkmcnt(4)
	s_delay_alu instid0(VALU_DEP_1) | instskip(NEXT) | instid1(VALU_DEP_1)
	v_lshlrev_b64 v[7:8], 2, v[7:8]
	v_add_co_u32 v7, vcc_lo, s12, v7
	s_delay_alu instid0(VALU_DEP_2) | instskip(SKIP_3) | instid1(SALU_CYCLE_1)
	v_add_co_ci_u32_e32 v8, vcc_lo, s13, v8, vcc_lo
	s_waitcnt lgkmcnt(3)
	global_store_b32 v[7:8], v6, off
	s_or_b32 exec_lo, exec_lo, s1
	s_mov_b32 s1, exec_lo
	v_cmpx_gt_u32_e64 s11, v25
	s_cbranch_execnz .LBB1100_162
.LBB1100_197:
	s_or_b32 exec_lo, exec_lo, s1
	s_delay_alu instid0(SALU_CYCLE_1)
	s_mov_b32 s1, exec_lo
	v_cmpx_gt_u32_e64 s11, v24
	s_cbranch_execz .LBB1100_167
.LBB1100_198:
	s_mov_b32 s3, exec_lo
                                        ; implicit-def: $vgpr5_vgpr6
	v_cmpx_ge_u32_e64 v24, v16
	s_xor_b32 s3, exec_lo, s3
	s_cbranch_execz .LBB1100_200
; %bb.199:
	s_waitcnt lgkmcnt(2)
	v_xor_b32_e32 v3, 0xfffff6ff, v0
                                        ; implicit-def: $vgpr24
	s_delay_alu instid0(VALU_DEP_1) | instskip(SKIP_1) | instid1(VALU_DEP_2)
	v_ashrrev_i32_e32 v6, 31, v3
	v_add_co_u32 v5, vcc_lo, v18, v3
	v_add_co_ci_u32_e32 v6, vcc_lo, v19, v6, vcc_lo
.LBB1100_200:
	s_and_not1_saveexec_b32 s3, s3
	s_cbranch_execz .LBB1100_202
; %bb.201:
	s_waitcnt lgkmcnt(3)
	v_add_co_u32 v5, vcc_lo, v15, v24
	v_add_co_ci_u32_e32 v6, vcc_lo, 0, v17, vcc_lo
.LBB1100_202:
	s_or_b32 exec_lo, exec_lo, s3
	s_waitcnt lgkmcnt(3)
	s_delay_alu instid0(VALU_DEP_1) | instskip(NEXT) | instid1(VALU_DEP_1)
	v_lshlrev_b64 v[5:6], 2, v[5:6]
	v_add_co_u32 v5, vcc_lo, s12, v5
	s_delay_alu instid0(VALU_DEP_2) | instskip(SKIP_3) | instid1(SALU_CYCLE_1)
	v_add_co_ci_u32_e32 v6, vcc_lo, s13, v6, vcc_lo
	s_waitcnt lgkmcnt(2)
	global_store_b32 v[5:6], v4, off
	s_or_b32 exec_lo, exec_lo, s1
	s_mov_b32 s1, exec_lo
	v_cmpx_gt_u32_e64 s11, v23
	s_cbranch_execnz .LBB1100_168
.LBB1100_203:
	s_or_b32 exec_lo, exec_lo, s1
	s_delay_alu instid0(SALU_CYCLE_1)
	s_mov_b32 s1, exec_lo
	v_cmpx_gt_u32_e64 s11, v22
	s_cbranch_execz .LBB1100_209
.LBB1100_204:
	s_mov_b32 s3, exec_lo
                                        ; implicit-def: $vgpr3_vgpr4
	v_cmpx_ge_u32_e64 v22, v16
	s_xor_b32 s3, exec_lo, s3
	s_cbranch_execz .LBB1100_206
; %bb.205:
	s_waitcnt lgkmcnt(1)
	v_xor_b32_e32 v1, 0xfffff4ff, v0
                                        ; implicit-def: $vgpr22
	s_delay_alu instid0(VALU_DEP_1) | instskip(SKIP_1) | instid1(VALU_DEP_2)
	v_ashrrev_i32_e32 v4, 31, v1
	v_add_co_u32 v3, vcc_lo, v18, v1
	v_add_co_ci_u32_e32 v4, vcc_lo, v19, v4, vcc_lo
.LBB1100_206:
	s_and_not1_saveexec_b32 s3, s3
	s_cbranch_execz .LBB1100_208
; %bb.207:
	s_waitcnt lgkmcnt(2)
	v_add_co_u32 v3, vcc_lo, v15, v22
	v_add_co_ci_u32_e32 v4, vcc_lo, 0, v17, vcc_lo
.LBB1100_208:
	s_or_b32 exec_lo, exec_lo, s3
	s_waitcnt lgkmcnt(2)
	s_delay_alu instid0(VALU_DEP_1) | instskip(NEXT) | instid1(VALU_DEP_1)
	v_lshlrev_b64 v[3:4], 2, v[3:4]
	v_add_co_u32 v3, vcc_lo, s12, v3
	s_delay_alu instid0(VALU_DEP_2)
	v_add_co_ci_u32_e32 v4, vcc_lo, s13, v4, vcc_lo
	s_waitcnt lgkmcnt(1)
	global_store_b32 v[3:4], v2, off
.LBB1100_209:
	s_or_b32 exec_lo, exec_lo, s1
	s_delay_alu instid0(SALU_CYCLE_1)
	s_mov_b32 s1, exec_lo
                                        ; implicit-def: $vgpr13_vgpr14
	v_cmpx_gt_u32_e64 s11, v21
	s_cbranch_execz .LBB1100_215
; %bb.210:
	s_mov_b32 s3, exec_lo
                                        ; implicit-def: $vgpr13_vgpr14
	v_cmpx_ge_u32_e64 v21, v16
	s_xor_b32 s3, exec_lo, s3
	s_cbranch_execz .LBB1100_212
; %bb.211:
	v_xor_b32_e32 v0, 0xfffff3ff, v0
                                        ; implicit-def: $vgpr21
	s_waitcnt lgkmcnt(1)
	s_delay_alu instid0(VALU_DEP_1) | instskip(SKIP_1) | instid1(VALU_DEP_2)
	v_ashrrev_i32_e32 v1, 31, v0
	v_add_co_u32 v13, vcc_lo, v18, v0
	v_add_co_ci_u32_e32 v14, vcc_lo, v19, v1, vcc_lo
.LBB1100_212:
	s_and_not1_saveexec_b32 s3, s3
; %bb.213:
	v_add_co_u32 v13, vcc_lo, v15, v21
	v_add_co_ci_u32_e32 v14, vcc_lo, 0, v17, vcc_lo
; %bb.214:
	s_or_b32 exec_lo, exec_lo, s3
	s_delay_alu instid0(SALU_CYCLE_1)
	s_or_b32 s0, s0, exec_lo
.LBB1100_215:
	s_or_b32 exec_lo, exec_lo, s1
	s_and_saveexec_b32 s1, s0
	s_cbranch_execnz .LBB1100_134
.LBB1100_216:
	s_or_b32 exec_lo, exec_lo, s1
	s_and_b32 s0, s2, s10
	s_delay_alu instid0(SALU_CYCLE_1)
	s_and_saveexec_b32 s1, s0
	s_cbranch_execz .LBB1100_135
.LBB1100_217:
	v_add_co_u32 v0, vcc_lo, v15, v16
	s_waitcnt lgkmcnt(1)
	v_mov_b32_e32 v2, 0
	v_add_co_ci_u32_e32 v1, vcc_lo, 0, v17, vcc_lo
	global_store_b64 v2, v[0:1], s[8:9]
	s_nop 0
	s_sendmsg sendmsg(MSG_DEALLOC_VGPRS)
	s_endpgm
	.section	.rodata,"a",@progbits
	.p2align	6, 0x0
	.amdhsa_kernel _ZN7rocprim17ROCPRIM_400000_NS6detail17trampoline_kernelINS0_13select_configILj256ELj13ELNS0_17block_load_methodE3ELS4_3ELS4_3ELNS0_20block_scan_algorithmE0ELj4294967295EEENS1_25partition_config_selectorILNS1_17partition_subalgoE3EjNS0_10empty_typeEbEEZZNS1_14partition_implILS8_3ELb0ES6_jNS0_17counting_iteratorIjlEEPS9_SE_NS0_5tupleIJPjSE_EEENSF_IJSE_SE_EEES9_SG_JZNS1_25segmented_radix_sort_implINS0_14default_configELb1EPKdPdPKlPlN2at6native12_GLOBAL__N_18offset_tEEE10hipError_tPvRmT1_PNSt15iterator_traitsISY_E10value_typeET2_T3_PNSZ_IS14_E10value_typeET4_jRbjT5_S1A_jjP12ihipStream_tbEUljE_EEESV_SW_SX_S14_S18_S1A_T6_T7_T9_mT8_S1C_bDpT10_ENKUlT_T0_E_clISt17integral_constantIbLb1EES1P_EEDaS1K_S1L_EUlS1K_E_NS1_11comp_targetILNS1_3genE9ELNS1_11target_archE1100ELNS1_3gpuE3ELNS1_3repE0EEENS1_30default_config_static_selectorELNS0_4arch9wavefront6targetE0EEEvSY_
		.amdhsa_group_segment_fixed_size 13324
		.amdhsa_private_segment_fixed_size 0
		.amdhsa_kernarg_size 152
		.amdhsa_user_sgpr_count 15
		.amdhsa_user_sgpr_dispatch_ptr 0
		.amdhsa_user_sgpr_queue_ptr 0
		.amdhsa_user_sgpr_kernarg_segment_ptr 1
		.amdhsa_user_sgpr_dispatch_id 0
		.amdhsa_user_sgpr_private_segment_size 0
		.amdhsa_wavefront_size32 1
		.amdhsa_uses_dynamic_stack 0
		.amdhsa_enable_private_segment 0
		.amdhsa_system_sgpr_workgroup_id_x 1
		.amdhsa_system_sgpr_workgroup_id_y 0
		.amdhsa_system_sgpr_workgroup_id_z 0
		.amdhsa_system_sgpr_workgroup_info 0
		.amdhsa_system_vgpr_workitem_id 0
		.amdhsa_next_free_vgpr 60
		.amdhsa_next_free_sgpr 26
		.amdhsa_reserve_vcc 1
		.amdhsa_float_round_mode_32 0
		.amdhsa_float_round_mode_16_64 0
		.amdhsa_float_denorm_mode_32 3
		.amdhsa_float_denorm_mode_16_64 3
		.amdhsa_dx10_clamp 1
		.amdhsa_ieee_mode 1
		.amdhsa_fp16_overflow 0
		.amdhsa_workgroup_processor_mode 1
		.amdhsa_memory_ordered 1
		.amdhsa_forward_progress 0
		.amdhsa_shared_vgpr_count 0
		.amdhsa_exception_fp_ieee_invalid_op 0
		.amdhsa_exception_fp_denorm_src 0
		.amdhsa_exception_fp_ieee_div_zero 0
		.amdhsa_exception_fp_ieee_overflow 0
		.amdhsa_exception_fp_ieee_underflow 0
		.amdhsa_exception_fp_ieee_inexact 0
		.amdhsa_exception_int_div_zero 0
	.end_amdhsa_kernel
	.section	.text._ZN7rocprim17ROCPRIM_400000_NS6detail17trampoline_kernelINS0_13select_configILj256ELj13ELNS0_17block_load_methodE3ELS4_3ELS4_3ELNS0_20block_scan_algorithmE0ELj4294967295EEENS1_25partition_config_selectorILNS1_17partition_subalgoE3EjNS0_10empty_typeEbEEZZNS1_14partition_implILS8_3ELb0ES6_jNS0_17counting_iteratorIjlEEPS9_SE_NS0_5tupleIJPjSE_EEENSF_IJSE_SE_EEES9_SG_JZNS1_25segmented_radix_sort_implINS0_14default_configELb1EPKdPdPKlPlN2at6native12_GLOBAL__N_18offset_tEEE10hipError_tPvRmT1_PNSt15iterator_traitsISY_E10value_typeET2_T3_PNSZ_IS14_E10value_typeET4_jRbjT5_S1A_jjP12ihipStream_tbEUljE_EEESV_SW_SX_S14_S18_S1A_T6_T7_T9_mT8_S1C_bDpT10_ENKUlT_T0_E_clISt17integral_constantIbLb1EES1P_EEDaS1K_S1L_EUlS1K_E_NS1_11comp_targetILNS1_3genE9ELNS1_11target_archE1100ELNS1_3gpuE3ELNS1_3repE0EEENS1_30default_config_static_selectorELNS0_4arch9wavefront6targetE0EEEvSY_,"axG",@progbits,_ZN7rocprim17ROCPRIM_400000_NS6detail17trampoline_kernelINS0_13select_configILj256ELj13ELNS0_17block_load_methodE3ELS4_3ELS4_3ELNS0_20block_scan_algorithmE0ELj4294967295EEENS1_25partition_config_selectorILNS1_17partition_subalgoE3EjNS0_10empty_typeEbEEZZNS1_14partition_implILS8_3ELb0ES6_jNS0_17counting_iteratorIjlEEPS9_SE_NS0_5tupleIJPjSE_EEENSF_IJSE_SE_EEES9_SG_JZNS1_25segmented_radix_sort_implINS0_14default_configELb1EPKdPdPKlPlN2at6native12_GLOBAL__N_18offset_tEEE10hipError_tPvRmT1_PNSt15iterator_traitsISY_E10value_typeET2_T3_PNSZ_IS14_E10value_typeET4_jRbjT5_S1A_jjP12ihipStream_tbEUljE_EEESV_SW_SX_S14_S18_S1A_T6_T7_T9_mT8_S1C_bDpT10_ENKUlT_T0_E_clISt17integral_constantIbLb1EES1P_EEDaS1K_S1L_EUlS1K_E_NS1_11comp_targetILNS1_3genE9ELNS1_11target_archE1100ELNS1_3gpuE3ELNS1_3repE0EEENS1_30default_config_static_selectorELNS0_4arch9wavefront6targetE0EEEvSY_,comdat
.Lfunc_end1100:
	.size	_ZN7rocprim17ROCPRIM_400000_NS6detail17trampoline_kernelINS0_13select_configILj256ELj13ELNS0_17block_load_methodE3ELS4_3ELS4_3ELNS0_20block_scan_algorithmE0ELj4294967295EEENS1_25partition_config_selectorILNS1_17partition_subalgoE3EjNS0_10empty_typeEbEEZZNS1_14partition_implILS8_3ELb0ES6_jNS0_17counting_iteratorIjlEEPS9_SE_NS0_5tupleIJPjSE_EEENSF_IJSE_SE_EEES9_SG_JZNS1_25segmented_radix_sort_implINS0_14default_configELb1EPKdPdPKlPlN2at6native12_GLOBAL__N_18offset_tEEE10hipError_tPvRmT1_PNSt15iterator_traitsISY_E10value_typeET2_T3_PNSZ_IS14_E10value_typeET4_jRbjT5_S1A_jjP12ihipStream_tbEUljE_EEESV_SW_SX_S14_S18_S1A_T6_T7_T9_mT8_S1C_bDpT10_ENKUlT_T0_E_clISt17integral_constantIbLb1EES1P_EEDaS1K_S1L_EUlS1K_E_NS1_11comp_targetILNS1_3genE9ELNS1_11target_archE1100ELNS1_3gpuE3ELNS1_3repE0EEENS1_30default_config_static_selectorELNS0_4arch9wavefront6targetE0EEEvSY_, .Lfunc_end1100-_ZN7rocprim17ROCPRIM_400000_NS6detail17trampoline_kernelINS0_13select_configILj256ELj13ELNS0_17block_load_methodE3ELS4_3ELS4_3ELNS0_20block_scan_algorithmE0ELj4294967295EEENS1_25partition_config_selectorILNS1_17partition_subalgoE3EjNS0_10empty_typeEbEEZZNS1_14partition_implILS8_3ELb0ES6_jNS0_17counting_iteratorIjlEEPS9_SE_NS0_5tupleIJPjSE_EEENSF_IJSE_SE_EEES9_SG_JZNS1_25segmented_radix_sort_implINS0_14default_configELb1EPKdPdPKlPlN2at6native12_GLOBAL__N_18offset_tEEE10hipError_tPvRmT1_PNSt15iterator_traitsISY_E10value_typeET2_T3_PNSZ_IS14_E10value_typeET4_jRbjT5_S1A_jjP12ihipStream_tbEUljE_EEESV_SW_SX_S14_S18_S1A_T6_T7_T9_mT8_S1C_bDpT10_ENKUlT_T0_E_clISt17integral_constantIbLb1EES1P_EEDaS1K_S1L_EUlS1K_E_NS1_11comp_targetILNS1_3genE9ELNS1_11target_archE1100ELNS1_3gpuE3ELNS1_3repE0EEENS1_30default_config_static_selectorELNS0_4arch9wavefront6targetE0EEEvSY_
                                        ; -- End function
	.section	.AMDGPU.csdata,"",@progbits
; Kernel info:
; codeLenInByte = 9140
; NumSgprs: 28
; NumVgprs: 60
; ScratchSize: 0
; MemoryBound: 0
; FloatMode: 240
; IeeeMode: 1
; LDSByteSize: 13324 bytes/workgroup (compile time only)
; SGPRBlocks: 3
; VGPRBlocks: 7
; NumSGPRsForWavesPerEU: 28
; NumVGPRsForWavesPerEU: 60
; Occupancy: 16
; WaveLimiterHint : 0
; COMPUTE_PGM_RSRC2:SCRATCH_EN: 0
; COMPUTE_PGM_RSRC2:USER_SGPR: 15
; COMPUTE_PGM_RSRC2:TRAP_HANDLER: 0
; COMPUTE_PGM_RSRC2:TGID_X_EN: 1
; COMPUTE_PGM_RSRC2:TGID_Y_EN: 0
; COMPUTE_PGM_RSRC2:TGID_Z_EN: 0
; COMPUTE_PGM_RSRC2:TIDIG_COMP_CNT: 0
	.section	.text._ZN7rocprim17ROCPRIM_400000_NS6detail17trampoline_kernelINS0_13select_configILj256ELj13ELNS0_17block_load_methodE3ELS4_3ELS4_3ELNS0_20block_scan_algorithmE0ELj4294967295EEENS1_25partition_config_selectorILNS1_17partition_subalgoE3EjNS0_10empty_typeEbEEZZNS1_14partition_implILS8_3ELb0ES6_jNS0_17counting_iteratorIjlEEPS9_SE_NS0_5tupleIJPjSE_EEENSF_IJSE_SE_EEES9_SG_JZNS1_25segmented_radix_sort_implINS0_14default_configELb1EPKdPdPKlPlN2at6native12_GLOBAL__N_18offset_tEEE10hipError_tPvRmT1_PNSt15iterator_traitsISY_E10value_typeET2_T3_PNSZ_IS14_E10value_typeET4_jRbjT5_S1A_jjP12ihipStream_tbEUljE_EEESV_SW_SX_S14_S18_S1A_T6_T7_T9_mT8_S1C_bDpT10_ENKUlT_T0_E_clISt17integral_constantIbLb1EES1P_EEDaS1K_S1L_EUlS1K_E_NS1_11comp_targetILNS1_3genE8ELNS1_11target_archE1030ELNS1_3gpuE2ELNS1_3repE0EEENS1_30default_config_static_selectorELNS0_4arch9wavefront6targetE0EEEvSY_,"axG",@progbits,_ZN7rocprim17ROCPRIM_400000_NS6detail17trampoline_kernelINS0_13select_configILj256ELj13ELNS0_17block_load_methodE3ELS4_3ELS4_3ELNS0_20block_scan_algorithmE0ELj4294967295EEENS1_25partition_config_selectorILNS1_17partition_subalgoE3EjNS0_10empty_typeEbEEZZNS1_14partition_implILS8_3ELb0ES6_jNS0_17counting_iteratorIjlEEPS9_SE_NS0_5tupleIJPjSE_EEENSF_IJSE_SE_EEES9_SG_JZNS1_25segmented_radix_sort_implINS0_14default_configELb1EPKdPdPKlPlN2at6native12_GLOBAL__N_18offset_tEEE10hipError_tPvRmT1_PNSt15iterator_traitsISY_E10value_typeET2_T3_PNSZ_IS14_E10value_typeET4_jRbjT5_S1A_jjP12ihipStream_tbEUljE_EEESV_SW_SX_S14_S18_S1A_T6_T7_T9_mT8_S1C_bDpT10_ENKUlT_T0_E_clISt17integral_constantIbLb1EES1P_EEDaS1K_S1L_EUlS1K_E_NS1_11comp_targetILNS1_3genE8ELNS1_11target_archE1030ELNS1_3gpuE2ELNS1_3repE0EEENS1_30default_config_static_selectorELNS0_4arch9wavefront6targetE0EEEvSY_,comdat
	.globl	_ZN7rocprim17ROCPRIM_400000_NS6detail17trampoline_kernelINS0_13select_configILj256ELj13ELNS0_17block_load_methodE3ELS4_3ELS4_3ELNS0_20block_scan_algorithmE0ELj4294967295EEENS1_25partition_config_selectorILNS1_17partition_subalgoE3EjNS0_10empty_typeEbEEZZNS1_14partition_implILS8_3ELb0ES6_jNS0_17counting_iteratorIjlEEPS9_SE_NS0_5tupleIJPjSE_EEENSF_IJSE_SE_EEES9_SG_JZNS1_25segmented_radix_sort_implINS0_14default_configELb1EPKdPdPKlPlN2at6native12_GLOBAL__N_18offset_tEEE10hipError_tPvRmT1_PNSt15iterator_traitsISY_E10value_typeET2_T3_PNSZ_IS14_E10value_typeET4_jRbjT5_S1A_jjP12ihipStream_tbEUljE_EEESV_SW_SX_S14_S18_S1A_T6_T7_T9_mT8_S1C_bDpT10_ENKUlT_T0_E_clISt17integral_constantIbLb1EES1P_EEDaS1K_S1L_EUlS1K_E_NS1_11comp_targetILNS1_3genE8ELNS1_11target_archE1030ELNS1_3gpuE2ELNS1_3repE0EEENS1_30default_config_static_selectorELNS0_4arch9wavefront6targetE0EEEvSY_ ; -- Begin function _ZN7rocprim17ROCPRIM_400000_NS6detail17trampoline_kernelINS0_13select_configILj256ELj13ELNS0_17block_load_methodE3ELS4_3ELS4_3ELNS0_20block_scan_algorithmE0ELj4294967295EEENS1_25partition_config_selectorILNS1_17partition_subalgoE3EjNS0_10empty_typeEbEEZZNS1_14partition_implILS8_3ELb0ES6_jNS0_17counting_iteratorIjlEEPS9_SE_NS0_5tupleIJPjSE_EEENSF_IJSE_SE_EEES9_SG_JZNS1_25segmented_radix_sort_implINS0_14default_configELb1EPKdPdPKlPlN2at6native12_GLOBAL__N_18offset_tEEE10hipError_tPvRmT1_PNSt15iterator_traitsISY_E10value_typeET2_T3_PNSZ_IS14_E10value_typeET4_jRbjT5_S1A_jjP12ihipStream_tbEUljE_EEESV_SW_SX_S14_S18_S1A_T6_T7_T9_mT8_S1C_bDpT10_ENKUlT_T0_E_clISt17integral_constantIbLb1EES1P_EEDaS1K_S1L_EUlS1K_E_NS1_11comp_targetILNS1_3genE8ELNS1_11target_archE1030ELNS1_3gpuE2ELNS1_3repE0EEENS1_30default_config_static_selectorELNS0_4arch9wavefront6targetE0EEEvSY_
	.p2align	8
	.type	_ZN7rocprim17ROCPRIM_400000_NS6detail17trampoline_kernelINS0_13select_configILj256ELj13ELNS0_17block_load_methodE3ELS4_3ELS4_3ELNS0_20block_scan_algorithmE0ELj4294967295EEENS1_25partition_config_selectorILNS1_17partition_subalgoE3EjNS0_10empty_typeEbEEZZNS1_14partition_implILS8_3ELb0ES6_jNS0_17counting_iteratorIjlEEPS9_SE_NS0_5tupleIJPjSE_EEENSF_IJSE_SE_EEES9_SG_JZNS1_25segmented_radix_sort_implINS0_14default_configELb1EPKdPdPKlPlN2at6native12_GLOBAL__N_18offset_tEEE10hipError_tPvRmT1_PNSt15iterator_traitsISY_E10value_typeET2_T3_PNSZ_IS14_E10value_typeET4_jRbjT5_S1A_jjP12ihipStream_tbEUljE_EEESV_SW_SX_S14_S18_S1A_T6_T7_T9_mT8_S1C_bDpT10_ENKUlT_T0_E_clISt17integral_constantIbLb1EES1P_EEDaS1K_S1L_EUlS1K_E_NS1_11comp_targetILNS1_3genE8ELNS1_11target_archE1030ELNS1_3gpuE2ELNS1_3repE0EEENS1_30default_config_static_selectorELNS0_4arch9wavefront6targetE0EEEvSY_,@function
_ZN7rocprim17ROCPRIM_400000_NS6detail17trampoline_kernelINS0_13select_configILj256ELj13ELNS0_17block_load_methodE3ELS4_3ELS4_3ELNS0_20block_scan_algorithmE0ELj4294967295EEENS1_25partition_config_selectorILNS1_17partition_subalgoE3EjNS0_10empty_typeEbEEZZNS1_14partition_implILS8_3ELb0ES6_jNS0_17counting_iteratorIjlEEPS9_SE_NS0_5tupleIJPjSE_EEENSF_IJSE_SE_EEES9_SG_JZNS1_25segmented_radix_sort_implINS0_14default_configELb1EPKdPdPKlPlN2at6native12_GLOBAL__N_18offset_tEEE10hipError_tPvRmT1_PNSt15iterator_traitsISY_E10value_typeET2_T3_PNSZ_IS14_E10value_typeET4_jRbjT5_S1A_jjP12ihipStream_tbEUljE_EEESV_SW_SX_S14_S18_S1A_T6_T7_T9_mT8_S1C_bDpT10_ENKUlT_T0_E_clISt17integral_constantIbLb1EES1P_EEDaS1K_S1L_EUlS1K_E_NS1_11comp_targetILNS1_3genE8ELNS1_11target_archE1030ELNS1_3gpuE2ELNS1_3repE0EEENS1_30default_config_static_selectorELNS0_4arch9wavefront6targetE0EEEvSY_: ; @_ZN7rocprim17ROCPRIM_400000_NS6detail17trampoline_kernelINS0_13select_configILj256ELj13ELNS0_17block_load_methodE3ELS4_3ELS4_3ELNS0_20block_scan_algorithmE0ELj4294967295EEENS1_25partition_config_selectorILNS1_17partition_subalgoE3EjNS0_10empty_typeEbEEZZNS1_14partition_implILS8_3ELb0ES6_jNS0_17counting_iteratorIjlEEPS9_SE_NS0_5tupleIJPjSE_EEENSF_IJSE_SE_EEES9_SG_JZNS1_25segmented_radix_sort_implINS0_14default_configELb1EPKdPdPKlPlN2at6native12_GLOBAL__N_18offset_tEEE10hipError_tPvRmT1_PNSt15iterator_traitsISY_E10value_typeET2_T3_PNSZ_IS14_E10value_typeET4_jRbjT5_S1A_jjP12ihipStream_tbEUljE_EEESV_SW_SX_S14_S18_S1A_T6_T7_T9_mT8_S1C_bDpT10_ENKUlT_T0_E_clISt17integral_constantIbLb1EES1P_EEDaS1K_S1L_EUlS1K_E_NS1_11comp_targetILNS1_3genE8ELNS1_11target_archE1030ELNS1_3gpuE2ELNS1_3repE0EEENS1_30default_config_static_selectorELNS0_4arch9wavefront6targetE0EEEvSY_
; %bb.0:
	.section	.rodata,"a",@progbits
	.p2align	6, 0x0
	.amdhsa_kernel _ZN7rocprim17ROCPRIM_400000_NS6detail17trampoline_kernelINS0_13select_configILj256ELj13ELNS0_17block_load_methodE3ELS4_3ELS4_3ELNS0_20block_scan_algorithmE0ELj4294967295EEENS1_25partition_config_selectorILNS1_17partition_subalgoE3EjNS0_10empty_typeEbEEZZNS1_14partition_implILS8_3ELb0ES6_jNS0_17counting_iteratorIjlEEPS9_SE_NS0_5tupleIJPjSE_EEENSF_IJSE_SE_EEES9_SG_JZNS1_25segmented_radix_sort_implINS0_14default_configELb1EPKdPdPKlPlN2at6native12_GLOBAL__N_18offset_tEEE10hipError_tPvRmT1_PNSt15iterator_traitsISY_E10value_typeET2_T3_PNSZ_IS14_E10value_typeET4_jRbjT5_S1A_jjP12ihipStream_tbEUljE_EEESV_SW_SX_S14_S18_S1A_T6_T7_T9_mT8_S1C_bDpT10_ENKUlT_T0_E_clISt17integral_constantIbLb1EES1P_EEDaS1K_S1L_EUlS1K_E_NS1_11comp_targetILNS1_3genE8ELNS1_11target_archE1030ELNS1_3gpuE2ELNS1_3repE0EEENS1_30default_config_static_selectorELNS0_4arch9wavefront6targetE0EEEvSY_
		.amdhsa_group_segment_fixed_size 0
		.amdhsa_private_segment_fixed_size 0
		.amdhsa_kernarg_size 152
		.amdhsa_user_sgpr_count 15
		.amdhsa_user_sgpr_dispatch_ptr 0
		.amdhsa_user_sgpr_queue_ptr 0
		.amdhsa_user_sgpr_kernarg_segment_ptr 1
		.amdhsa_user_sgpr_dispatch_id 0
		.amdhsa_user_sgpr_private_segment_size 0
		.amdhsa_wavefront_size32 1
		.amdhsa_uses_dynamic_stack 0
		.amdhsa_enable_private_segment 0
		.amdhsa_system_sgpr_workgroup_id_x 1
		.amdhsa_system_sgpr_workgroup_id_y 0
		.amdhsa_system_sgpr_workgroup_id_z 0
		.amdhsa_system_sgpr_workgroup_info 0
		.amdhsa_system_vgpr_workitem_id 0
		.amdhsa_next_free_vgpr 1
		.amdhsa_next_free_sgpr 1
		.amdhsa_reserve_vcc 0
		.amdhsa_float_round_mode_32 0
		.amdhsa_float_round_mode_16_64 0
		.amdhsa_float_denorm_mode_32 3
		.amdhsa_float_denorm_mode_16_64 3
		.amdhsa_dx10_clamp 1
		.amdhsa_ieee_mode 1
		.amdhsa_fp16_overflow 0
		.amdhsa_workgroup_processor_mode 1
		.amdhsa_memory_ordered 1
		.amdhsa_forward_progress 0
		.amdhsa_shared_vgpr_count 0
		.amdhsa_exception_fp_ieee_invalid_op 0
		.amdhsa_exception_fp_denorm_src 0
		.amdhsa_exception_fp_ieee_div_zero 0
		.amdhsa_exception_fp_ieee_overflow 0
		.amdhsa_exception_fp_ieee_underflow 0
		.amdhsa_exception_fp_ieee_inexact 0
		.amdhsa_exception_int_div_zero 0
	.end_amdhsa_kernel
	.section	.text._ZN7rocprim17ROCPRIM_400000_NS6detail17trampoline_kernelINS0_13select_configILj256ELj13ELNS0_17block_load_methodE3ELS4_3ELS4_3ELNS0_20block_scan_algorithmE0ELj4294967295EEENS1_25partition_config_selectorILNS1_17partition_subalgoE3EjNS0_10empty_typeEbEEZZNS1_14partition_implILS8_3ELb0ES6_jNS0_17counting_iteratorIjlEEPS9_SE_NS0_5tupleIJPjSE_EEENSF_IJSE_SE_EEES9_SG_JZNS1_25segmented_radix_sort_implINS0_14default_configELb1EPKdPdPKlPlN2at6native12_GLOBAL__N_18offset_tEEE10hipError_tPvRmT1_PNSt15iterator_traitsISY_E10value_typeET2_T3_PNSZ_IS14_E10value_typeET4_jRbjT5_S1A_jjP12ihipStream_tbEUljE_EEESV_SW_SX_S14_S18_S1A_T6_T7_T9_mT8_S1C_bDpT10_ENKUlT_T0_E_clISt17integral_constantIbLb1EES1P_EEDaS1K_S1L_EUlS1K_E_NS1_11comp_targetILNS1_3genE8ELNS1_11target_archE1030ELNS1_3gpuE2ELNS1_3repE0EEENS1_30default_config_static_selectorELNS0_4arch9wavefront6targetE0EEEvSY_,"axG",@progbits,_ZN7rocprim17ROCPRIM_400000_NS6detail17trampoline_kernelINS0_13select_configILj256ELj13ELNS0_17block_load_methodE3ELS4_3ELS4_3ELNS0_20block_scan_algorithmE0ELj4294967295EEENS1_25partition_config_selectorILNS1_17partition_subalgoE3EjNS0_10empty_typeEbEEZZNS1_14partition_implILS8_3ELb0ES6_jNS0_17counting_iteratorIjlEEPS9_SE_NS0_5tupleIJPjSE_EEENSF_IJSE_SE_EEES9_SG_JZNS1_25segmented_radix_sort_implINS0_14default_configELb1EPKdPdPKlPlN2at6native12_GLOBAL__N_18offset_tEEE10hipError_tPvRmT1_PNSt15iterator_traitsISY_E10value_typeET2_T3_PNSZ_IS14_E10value_typeET4_jRbjT5_S1A_jjP12ihipStream_tbEUljE_EEESV_SW_SX_S14_S18_S1A_T6_T7_T9_mT8_S1C_bDpT10_ENKUlT_T0_E_clISt17integral_constantIbLb1EES1P_EEDaS1K_S1L_EUlS1K_E_NS1_11comp_targetILNS1_3genE8ELNS1_11target_archE1030ELNS1_3gpuE2ELNS1_3repE0EEENS1_30default_config_static_selectorELNS0_4arch9wavefront6targetE0EEEvSY_,comdat
.Lfunc_end1101:
	.size	_ZN7rocprim17ROCPRIM_400000_NS6detail17trampoline_kernelINS0_13select_configILj256ELj13ELNS0_17block_load_methodE3ELS4_3ELS4_3ELNS0_20block_scan_algorithmE0ELj4294967295EEENS1_25partition_config_selectorILNS1_17partition_subalgoE3EjNS0_10empty_typeEbEEZZNS1_14partition_implILS8_3ELb0ES6_jNS0_17counting_iteratorIjlEEPS9_SE_NS0_5tupleIJPjSE_EEENSF_IJSE_SE_EEES9_SG_JZNS1_25segmented_radix_sort_implINS0_14default_configELb1EPKdPdPKlPlN2at6native12_GLOBAL__N_18offset_tEEE10hipError_tPvRmT1_PNSt15iterator_traitsISY_E10value_typeET2_T3_PNSZ_IS14_E10value_typeET4_jRbjT5_S1A_jjP12ihipStream_tbEUljE_EEESV_SW_SX_S14_S18_S1A_T6_T7_T9_mT8_S1C_bDpT10_ENKUlT_T0_E_clISt17integral_constantIbLb1EES1P_EEDaS1K_S1L_EUlS1K_E_NS1_11comp_targetILNS1_3genE8ELNS1_11target_archE1030ELNS1_3gpuE2ELNS1_3repE0EEENS1_30default_config_static_selectorELNS0_4arch9wavefront6targetE0EEEvSY_, .Lfunc_end1101-_ZN7rocprim17ROCPRIM_400000_NS6detail17trampoline_kernelINS0_13select_configILj256ELj13ELNS0_17block_load_methodE3ELS4_3ELS4_3ELNS0_20block_scan_algorithmE0ELj4294967295EEENS1_25partition_config_selectorILNS1_17partition_subalgoE3EjNS0_10empty_typeEbEEZZNS1_14partition_implILS8_3ELb0ES6_jNS0_17counting_iteratorIjlEEPS9_SE_NS0_5tupleIJPjSE_EEENSF_IJSE_SE_EEES9_SG_JZNS1_25segmented_radix_sort_implINS0_14default_configELb1EPKdPdPKlPlN2at6native12_GLOBAL__N_18offset_tEEE10hipError_tPvRmT1_PNSt15iterator_traitsISY_E10value_typeET2_T3_PNSZ_IS14_E10value_typeET4_jRbjT5_S1A_jjP12ihipStream_tbEUljE_EEESV_SW_SX_S14_S18_S1A_T6_T7_T9_mT8_S1C_bDpT10_ENKUlT_T0_E_clISt17integral_constantIbLb1EES1P_EEDaS1K_S1L_EUlS1K_E_NS1_11comp_targetILNS1_3genE8ELNS1_11target_archE1030ELNS1_3gpuE2ELNS1_3repE0EEENS1_30default_config_static_selectorELNS0_4arch9wavefront6targetE0EEEvSY_
                                        ; -- End function
	.section	.AMDGPU.csdata,"",@progbits
; Kernel info:
; codeLenInByte = 0
; NumSgprs: 0
; NumVgprs: 0
; ScratchSize: 0
; MemoryBound: 0
; FloatMode: 240
; IeeeMode: 1
; LDSByteSize: 0 bytes/workgroup (compile time only)
; SGPRBlocks: 0
; VGPRBlocks: 0
; NumSGPRsForWavesPerEU: 1
; NumVGPRsForWavesPerEU: 1
; Occupancy: 16
; WaveLimiterHint : 0
; COMPUTE_PGM_RSRC2:SCRATCH_EN: 0
; COMPUTE_PGM_RSRC2:USER_SGPR: 15
; COMPUTE_PGM_RSRC2:TRAP_HANDLER: 0
; COMPUTE_PGM_RSRC2:TGID_X_EN: 1
; COMPUTE_PGM_RSRC2:TGID_Y_EN: 0
; COMPUTE_PGM_RSRC2:TGID_Z_EN: 0
; COMPUTE_PGM_RSRC2:TIDIG_COMP_CNT: 0
	.section	.text._ZN7rocprim17ROCPRIM_400000_NS6detail17trampoline_kernelINS0_13select_configILj256ELj13ELNS0_17block_load_methodE3ELS4_3ELS4_3ELNS0_20block_scan_algorithmE0ELj4294967295EEENS1_25partition_config_selectorILNS1_17partition_subalgoE3EjNS0_10empty_typeEbEEZZNS1_14partition_implILS8_3ELb0ES6_jNS0_17counting_iteratorIjlEEPS9_SE_NS0_5tupleIJPjSE_EEENSF_IJSE_SE_EEES9_SG_JZNS1_25segmented_radix_sort_implINS0_14default_configELb1EPKdPdPKlPlN2at6native12_GLOBAL__N_18offset_tEEE10hipError_tPvRmT1_PNSt15iterator_traitsISY_E10value_typeET2_T3_PNSZ_IS14_E10value_typeET4_jRbjT5_S1A_jjP12ihipStream_tbEUljE_EEESV_SW_SX_S14_S18_S1A_T6_T7_T9_mT8_S1C_bDpT10_ENKUlT_T0_E_clISt17integral_constantIbLb1EES1O_IbLb0EEEEDaS1K_S1L_EUlS1K_E_NS1_11comp_targetILNS1_3genE0ELNS1_11target_archE4294967295ELNS1_3gpuE0ELNS1_3repE0EEENS1_30default_config_static_selectorELNS0_4arch9wavefront6targetE0EEEvSY_,"axG",@progbits,_ZN7rocprim17ROCPRIM_400000_NS6detail17trampoline_kernelINS0_13select_configILj256ELj13ELNS0_17block_load_methodE3ELS4_3ELS4_3ELNS0_20block_scan_algorithmE0ELj4294967295EEENS1_25partition_config_selectorILNS1_17partition_subalgoE3EjNS0_10empty_typeEbEEZZNS1_14partition_implILS8_3ELb0ES6_jNS0_17counting_iteratorIjlEEPS9_SE_NS0_5tupleIJPjSE_EEENSF_IJSE_SE_EEES9_SG_JZNS1_25segmented_radix_sort_implINS0_14default_configELb1EPKdPdPKlPlN2at6native12_GLOBAL__N_18offset_tEEE10hipError_tPvRmT1_PNSt15iterator_traitsISY_E10value_typeET2_T3_PNSZ_IS14_E10value_typeET4_jRbjT5_S1A_jjP12ihipStream_tbEUljE_EEESV_SW_SX_S14_S18_S1A_T6_T7_T9_mT8_S1C_bDpT10_ENKUlT_T0_E_clISt17integral_constantIbLb1EES1O_IbLb0EEEEDaS1K_S1L_EUlS1K_E_NS1_11comp_targetILNS1_3genE0ELNS1_11target_archE4294967295ELNS1_3gpuE0ELNS1_3repE0EEENS1_30default_config_static_selectorELNS0_4arch9wavefront6targetE0EEEvSY_,comdat
	.globl	_ZN7rocprim17ROCPRIM_400000_NS6detail17trampoline_kernelINS0_13select_configILj256ELj13ELNS0_17block_load_methodE3ELS4_3ELS4_3ELNS0_20block_scan_algorithmE0ELj4294967295EEENS1_25partition_config_selectorILNS1_17partition_subalgoE3EjNS0_10empty_typeEbEEZZNS1_14partition_implILS8_3ELb0ES6_jNS0_17counting_iteratorIjlEEPS9_SE_NS0_5tupleIJPjSE_EEENSF_IJSE_SE_EEES9_SG_JZNS1_25segmented_radix_sort_implINS0_14default_configELb1EPKdPdPKlPlN2at6native12_GLOBAL__N_18offset_tEEE10hipError_tPvRmT1_PNSt15iterator_traitsISY_E10value_typeET2_T3_PNSZ_IS14_E10value_typeET4_jRbjT5_S1A_jjP12ihipStream_tbEUljE_EEESV_SW_SX_S14_S18_S1A_T6_T7_T9_mT8_S1C_bDpT10_ENKUlT_T0_E_clISt17integral_constantIbLb1EES1O_IbLb0EEEEDaS1K_S1L_EUlS1K_E_NS1_11comp_targetILNS1_3genE0ELNS1_11target_archE4294967295ELNS1_3gpuE0ELNS1_3repE0EEENS1_30default_config_static_selectorELNS0_4arch9wavefront6targetE0EEEvSY_ ; -- Begin function _ZN7rocprim17ROCPRIM_400000_NS6detail17trampoline_kernelINS0_13select_configILj256ELj13ELNS0_17block_load_methodE3ELS4_3ELS4_3ELNS0_20block_scan_algorithmE0ELj4294967295EEENS1_25partition_config_selectorILNS1_17partition_subalgoE3EjNS0_10empty_typeEbEEZZNS1_14partition_implILS8_3ELb0ES6_jNS0_17counting_iteratorIjlEEPS9_SE_NS0_5tupleIJPjSE_EEENSF_IJSE_SE_EEES9_SG_JZNS1_25segmented_radix_sort_implINS0_14default_configELb1EPKdPdPKlPlN2at6native12_GLOBAL__N_18offset_tEEE10hipError_tPvRmT1_PNSt15iterator_traitsISY_E10value_typeET2_T3_PNSZ_IS14_E10value_typeET4_jRbjT5_S1A_jjP12ihipStream_tbEUljE_EEESV_SW_SX_S14_S18_S1A_T6_T7_T9_mT8_S1C_bDpT10_ENKUlT_T0_E_clISt17integral_constantIbLb1EES1O_IbLb0EEEEDaS1K_S1L_EUlS1K_E_NS1_11comp_targetILNS1_3genE0ELNS1_11target_archE4294967295ELNS1_3gpuE0ELNS1_3repE0EEENS1_30default_config_static_selectorELNS0_4arch9wavefront6targetE0EEEvSY_
	.p2align	8
	.type	_ZN7rocprim17ROCPRIM_400000_NS6detail17trampoline_kernelINS0_13select_configILj256ELj13ELNS0_17block_load_methodE3ELS4_3ELS4_3ELNS0_20block_scan_algorithmE0ELj4294967295EEENS1_25partition_config_selectorILNS1_17partition_subalgoE3EjNS0_10empty_typeEbEEZZNS1_14partition_implILS8_3ELb0ES6_jNS0_17counting_iteratorIjlEEPS9_SE_NS0_5tupleIJPjSE_EEENSF_IJSE_SE_EEES9_SG_JZNS1_25segmented_radix_sort_implINS0_14default_configELb1EPKdPdPKlPlN2at6native12_GLOBAL__N_18offset_tEEE10hipError_tPvRmT1_PNSt15iterator_traitsISY_E10value_typeET2_T3_PNSZ_IS14_E10value_typeET4_jRbjT5_S1A_jjP12ihipStream_tbEUljE_EEESV_SW_SX_S14_S18_S1A_T6_T7_T9_mT8_S1C_bDpT10_ENKUlT_T0_E_clISt17integral_constantIbLb1EES1O_IbLb0EEEEDaS1K_S1L_EUlS1K_E_NS1_11comp_targetILNS1_3genE0ELNS1_11target_archE4294967295ELNS1_3gpuE0ELNS1_3repE0EEENS1_30default_config_static_selectorELNS0_4arch9wavefront6targetE0EEEvSY_,@function
_ZN7rocprim17ROCPRIM_400000_NS6detail17trampoline_kernelINS0_13select_configILj256ELj13ELNS0_17block_load_methodE3ELS4_3ELS4_3ELNS0_20block_scan_algorithmE0ELj4294967295EEENS1_25partition_config_selectorILNS1_17partition_subalgoE3EjNS0_10empty_typeEbEEZZNS1_14partition_implILS8_3ELb0ES6_jNS0_17counting_iteratorIjlEEPS9_SE_NS0_5tupleIJPjSE_EEENSF_IJSE_SE_EEES9_SG_JZNS1_25segmented_radix_sort_implINS0_14default_configELb1EPKdPdPKlPlN2at6native12_GLOBAL__N_18offset_tEEE10hipError_tPvRmT1_PNSt15iterator_traitsISY_E10value_typeET2_T3_PNSZ_IS14_E10value_typeET4_jRbjT5_S1A_jjP12ihipStream_tbEUljE_EEESV_SW_SX_S14_S18_S1A_T6_T7_T9_mT8_S1C_bDpT10_ENKUlT_T0_E_clISt17integral_constantIbLb1EES1O_IbLb0EEEEDaS1K_S1L_EUlS1K_E_NS1_11comp_targetILNS1_3genE0ELNS1_11target_archE4294967295ELNS1_3gpuE0ELNS1_3repE0EEENS1_30default_config_static_selectorELNS0_4arch9wavefront6targetE0EEEvSY_: ; @_ZN7rocprim17ROCPRIM_400000_NS6detail17trampoline_kernelINS0_13select_configILj256ELj13ELNS0_17block_load_methodE3ELS4_3ELS4_3ELNS0_20block_scan_algorithmE0ELj4294967295EEENS1_25partition_config_selectorILNS1_17partition_subalgoE3EjNS0_10empty_typeEbEEZZNS1_14partition_implILS8_3ELb0ES6_jNS0_17counting_iteratorIjlEEPS9_SE_NS0_5tupleIJPjSE_EEENSF_IJSE_SE_EEES9_SG_JZNS1_25segmented_radix_sort_implINS0_14default_configELb1EPKdPdPKlPlN2at6native12_GLOBAL__N_18offset_tEEE10hipError_tPvRmT1_PNSt15iterator_traitsISY_E10value_typeET2_T3_PNSZ_IS14_E10value_typeET4_jRbjT5_S1A_jjP12ihipStream_tbEUljE_EEESV_SW_SX_S14_S18_S1A_T6_T7_T9_mT8_S1C_bDpT10_ENKUlT_T0_E_clISt17integral_constantIbLb1EES1O_IbLb0EEEEDaS1K_S1L_EUlS1K_E_NS1_11comp_targetILNS1_3genE0ELNS1_11target_archE4294967295ELNS1_3gpuE0ELNS1_3repE0EEENS1_30default_config_static_selectorELNS0_4arch9wavefront6targetE0EEEvSY_
; %bb.0:
	.section	.rodata,"a",@progbits
	.p2align	6, 0x0
	.amdhsa_kernel _ZN7rocprim17ROCPRIM_400000_NS6detail17trampoline_kernelINS0_13select_configILj256ELj13ELNS0_17block_load_methodE3ELS4_3ELS4_3ELNS0_20block_scan_algorithmE0ELj4294967295EEENS1_25partition_config_selectorILNS1_17partition_subalgoE3EjNS0_10empty_typeEbEEZZNS1_14partition_implILS8_3ELb0ES6_jNS0_17counting_iteratorIjlEEPS9_SE_NS0_5tupleIJPjSE_EEENSF_IJSE_SE_EEES9_SG_JZNS1_25segmented_radix_sort_implINS0_14default_configELb1EPKdPdPKlPlN2at6native12_GLOBAL__N_18offset_tEEE10hipError_tPvRmT1_PNSt15iterator_traitsISY_E10value_typeET2_T3_PNSZ_IS14_E10value_typeET4_jRbjT5_S1A_jjP12ihipStream_tbEUljE_EEESV_SW_SX_S14_S18_S1A_T6_T7_T9_mT8_S1C_bDpT10_ENKUlT_T0_E_clISt17integral_constantIbLb1EES1O_IbLb0EEEEDaS1K_S1L_EUlS1K_E_NS1_11comp_targetILNS1_3genE0ELNS1_11target_archE4294967295ELNS1_3gpuE0ELNS1_3repE0EEENS1_30default_config_static_selectorELNS0_4arch9wavefront6targetE0EEEvSY_
		.amdhsa_group_segment_fixed_size 0
		.amdhsa_private_segment_fixed_size 0
		.amdhsa_kernarg_size 144
		.amdhsa_user_sgpr_count 15
		.amdhsa_user_sgpr_dispatch_ptr 0
		.amdhsa_user_sgpr_queue_ptr 0
		.amdhsa_user_sgpr_kernarg_segment_ptr 1
		.amdhsa_user_sgpr_dispatch_id 0
		.amdhsa_user_sgpr_private_segment_size 0
		.amdhsa_wavefront_size32 1
		.amdhsa_uses_dynamic_stack 0
		.amdhsa_enable_private_segment 0
		.amdhsa_system_sgpr_workgroup_id_x 1
		.amdhsa_system_sgpr_workgroup_id_y 0
		.amdhsa_system_sgpr_workgroup_id_z 0
		.amdhsa_system_sgpr_workgroup_info 0
		.amdhsa_system_vgpr_workitem_id 0
		.amdhsa_next_free_vgpr 1
		.amdhsa_next_free_sgpr 1
		.amdhsa_reserve_vcc 0
		.amdhsa_float_round_mode_32 0
		.amdhsa_float_round_mode_16_64 0
		.amdhsa_float_denorm_mode_32 3
		.amdhsa_float_denorm_mode_16_64 3
		.amdhsa_dx10_clamp 1
		.amdhsa_ieee_mode 1
		.amdhsa_fp16_overflow 0
		.amdhsa_workgroup_processor_mode 1
		.amdhsa_memory_ordered 1
		.amdhsa_forward_progress 0
		.amdhsa_shared_vgpr_count 0
		.amdhsa_exception_fp_ieee_invalid_op 0
		.amdhsa_exception_fp_denorm_src 0
		.amdhsa_exception_fp_ieee_div_zero 0
		.amdhsa_exception_fp_ieee_overflow 0
		.amdhsa_exception_fp_ieee_underflow 0
		.amdhsa_exception_fp_ieee_inexact 0
		.amdhsa_exception_int_div_zero 0
	.end_amdhsa_kernel
	.section	.text._ZN7rocprim17ROCPRIM_400000_NS6detail17trampoline_kernelINS0_13select_configILj256ELj13ELNS0_17block_load_methodE3ELS4_3ELS4_3ELNS0_20block_scan_algorithmE0ELj4294967295EEENS1_25partition_config_selectorILNS1_17partition_subalgoE3EjNS0_10empty_typeEbEEZZNS1_14partition_implILS8_3ELb0ES6_jNS0_17counting_iteratorIjlEEPS9_SE_NS0_5tupleIJPjSE_EEENSF_IJSE_SE_EEES9_SG_JZNS1_25segmented_radix_sort_implINS0_14default_configELb1EPKdPdPKlPlN2at6native12_GLOBAL__N_18offset_tEEE10hipError_tPvRmT1_PNSt15iterator_traitsISY_E10value_typeET2_T3_PNSZ_IS14_E10value_typeET4_jRbjT5_S1A_jjP12ihipStream_tbEUljE_EEESV_SW_SX_S14_S18_S1A_T6_T7_T9_mT8_S1C_bDpT10_ENKUlT_T0_E_clISt17integral_constantIbLb1EES1O_IbLb0EEEEDaS1K_S1L_EUlS1K_E_NS1_11comp_targetILNS1_3genE0ELNS1_11target_archE4294967295ELNS1_3gpuE0ELNS1_3repE0EEENS1_30default_config_static_selectorELNS0_4arch9wavefront6targetE0EEEvSY_,"axG",@progbits,_ZN7rocprim17ROCPRIM_400000_NS6detail17trampoline_kernelINS0_13select_configILj256ELj13ELNS0_17block_load_methodE3ELS4_3ELS4_3ELNS0_20block_scan_algorithmE0ELj4294967295EEENS1_25partition_config_selectorILNS1_17partition_subalgoE3EjNS0_10empty_typeEbEEZZNS1_14partition_implILS8_3ELb0ES6_jNS0_17counting_iteratorIjlEEPS9_SE_NS0_5tupleIJPjSE_EEENSF_IJSE_SE_EEES9_SG_JZNS1_25segmented_radix_sort_implINS0_14default_configELb1EPKdPdPKlPlN2at6native12_GLOBAL__N_18offset_tEEE10hipError_tPvRmT1_PNSt15iterator_traitsISY_E10value_typeET2_T3_PNSZ_IS14_E10value_typeET4_jRbjT5_S1A_jjP12ihipStream_tbEUljE_EEESV_SW_SX_S14_S18_S1A_T6_T7_T9_mT8_S1C_bDpT10_ENKUlT_T0_E_clISt17integral_constantIbLb1EES1O_IbLb0EEEEDaS1K_S1L_EUlS1K_E_NS1_11comp_targetILNS1_3genE0ELNS1_11target_archE4294967295ELNS1_3gpuE0ELNS1_3repE0EEENS1_30default_config_static_selectorELNS0_4arch9wavefront6targetE0EEEvSY_,comdat
.Lfunc_end1102:
	.size	_ZN7rocprim17ROCPRIM_400000_NS6detail17trampoline_kernelINS0_13select_configILj256ELj13ELNS0_17block_load_methodE3ELS4_3ELS4_3ELNS0_20block_scan_algorithmE0ELj4294967295EEENS1_25partition_config_selectorILNS1_17partition_subalgoE3EjNS0_10empty_typeEbEEZZNS1_14partition_implILS8_3ELb0ES6_jNS0_17counting_iteratorIjlEEPS9_SE_NS0_5tupleIJPjSE_EEENSF_IJSE_SE_EEES9_SG_JZNS1_25segmented_radix_sort_implINS0_14default_configELb1EPKdPdPKlPlN2at6native12_GLOBAL__N_18offset_tEEE10hipError_tPvRmT1_PNSt15iterator_traitsISY_E10value_typeET2_T3_PNSZ_IS14_E10value_typeET4_jRbjT5_S1A_jjP12ihipStream_tbEUljE_EEESV_SW_SX_S14_S18_S1A_T6_T7_T9_mT8_S1C_bDpT10_ENKUlT_T0_E_clISt17integral_constantIbLb1EES1O_IbLb0EEEEDaS1K_S1L_EUlS1K_E_NS1_11comp_targetILNS1_3genE0ELNS1_11target_archE4294967295ELNS1_3gpuE0ELNS1_3repE0EEENS1_30default_config_static_selectorELNS0_4arch9wavefront6targetE0EEEvSY_, .Lfunc_end1102-_ZN7rocprim17ROCPRIM_400000_NS6detail17trampoline_kernelINS0_13select_configILj256ELj13ELNS0_17block_load_methodE3ELS4_3ELS4_3ELNS0_20block_scan_algorithmE0ELj4294967295EEENS1_25partition_config_selectorILNS1_17partition_subalgoE3EjNS0_10empty_typeEbEEZZNS1_14partition_implILS8_3ELb0ES6_jNS0_17counting_iteratorIjlEEPS9_SE_NS0_5tupleIJPjSE_EEENSF_IJSE_SE_EEES9_SG_JZNS1_25segmented_radix_sort_implINS0_14default_configELb1EPKdPdPKlPlN2at6native12_GLOBAL__N_18offset_tEEE10hipError_tPvRmT1_PNSt15iterator_traitsISY_E10value_typeET2_T3_PNSZ_IS14_E10value_typeET4_jRbjT5_S1A_jjP12ihipStream_tbEUljE_EEESV_SW_SX_S14_S18_S1A_T6_T7_T9_mT8_S1C_bDpT10_ENKUlT_T0_E_clISt17integral_constantIbLb1EES1O_IbLb0EEEEDaS1K_S1L_EUlS1K_E_NS1_11comp_targetILNS1_3genE0ELNS1_11target_archE4294967295ELNS1_3gpuE0ELNS1_3repE0EEENS1_30default_config_static_selectorELNS0_4arch9wavefront6targetE0EEEvSY_
                                        ; -- End function
	.section	.AMDGPU.csdata,"",@progbits
; Kernel info:
; codeLenInByte = 0
; NumSgprs: 0
; NumVgprs: 0
; ScratchSize: 0
; MemoryBound: 0
; FloatMode: 240
; IeeeMode: 1
; LDSByteSize: 0 bytes/workgroup (compile time only)
; SGPRBlocks: 0
; VGPRBlocks: 0
; NumSGPRsForWavesPerEU: 1
; NumVGPRsForWavesPerEU: 1
; Occupancy: 16
; WaveLimiterHint : 0
; COMPUTE_PGM_RSRC2:SCRATCH_EN: 0
; COMPUTE_PGM_RSRC2:USER_SGPR: 15
; COMPUTE_PGM_RSRC2:TRAP_HANDLER: 0
; COMPUTE_PGM_RSRC2:TGID_X_EN: 1
; COMPUTE_PGM_RSRC2:TGID_Y_EN: 0
; COMPUTE_PGM_RSRC2:TGID_Z_EN: 0
; COMPUTE_PGM_RSRC2:TIDIG_COMP_CNT: 0
	.section	.text._ZN7rocprim17ROCPRIM_400000_NS6detail17trampoline_kernelINS0_13select_configILj256ELj13ELNS0_17block_load_methodE3ELS4_3ELS4_3ELNS0_20block_scan_algorithmE0ELj4294967295EEENS1_25partition_config_selectorILNS1_17partition_subalgoE3EjNS0_10empty_typeEbEEZZNS1_14partition_implILS8_3ELb0ES6_jNS0_17counting_iteratorIjlEEPS9_SE_NS0_5tupleIJPjSE_EEENSF_IJSE_SE_EEES9_SG_JZNS1_25segmented_radix_sort_implINS0_14default_configELb1EPKdPdPKlPlN2at6native12_GLOBAL__N_18offset_tEEE10hipError_tPvRmT1_PNSt15iterator_traitsISY_E10value_typeET2_T3_PNSZ_IS14_E10value_typeET4_jRbjT5_S1A_jjP12ihipStream_tbEUljE_EEESV_SW_SX_S14_S18_S1A_T6_T7_T9_mT8_S1C_bDpT10_ENKUlT_T0_E_clISt17integral_constantIbLb1EES1O_IbLb0EEEEDaS1K_S1L_EUlS1K_E_NS1_11comp_targetILNS1_3genE5ELNS1_11target_archE942ELNS1_3gpuE9ELNS1_3repE0EEENS1_30default_config_static_selectorELNS0_4arch9wavefront6targetE0EEEvSY_,"axG",@progbits,_ZN7rocprim17ROCPRIM_400000_NS6detail17trampoline_kernelINS0_13select_configILj256ELj13ELNS0_17block_load_methodE3ELS4_3ELS4_3ELNS0_20block_scan_algorithmE0ELj4294967295EEENS1_25partition_config_selectorILNS1_17partition_subalgoE3EjNS0_10empty_typeEbEEZZNS1_14partition_implILS8_3ELb0ES6_jNS0_17counting_iteratorIjlEEPS9_SE_NS0_5tupleIJPjSE_EEENSF_IJSE_SE_EEES9_SG_JZNS1_25segmented_radix_sort_implINS0_14default_configELb1EPKdPdPKlPlN2at6native12_GLOBAL__N_18offset_tEEE10hipError_tPvRmT1_PNSt15iterator_traitsISY_E10value_typeET2_T3_PNSZ_IS14_E10value_typeET4_jRbjT5_S1A_jjP12ihipStream_tbEUljE_EEESV_SW_SX_S14_S18_S1A_T6_T7_T9_mT8_S1C_bDpT10_ENKUlT_T0_E_clISt17integral_constantIbLb1EES1O_IbLb0EEEEDaS1K_S1L_EUlS1K_E_NS1_11comp_targetILNS1_3genE5ELNS1_11target_archE942ELNS1_3gpuE9ELNS1_3repE0EEENS1_30default_config_static_selectorELNS0_4arch9wavefront6targetE0EEEvSY_,comdat
	.globl	_ZN7rocprim17ROCPRIM_400000_NS6detail17trampoline_kernelINS0_13select_configILj256ELj13ELNS0_17block_load_methodE3ELS4_3ELS4_3ELNS0_20block_scan_algorithmE0ELj4294967295EEENS1_25partition_config_selectorILNS1_17partition_subalgoE3EjNS0_10empty_typeEbEEZZNS1_14partition_implILS8_3ELb0ES6_jNS0_17counting_iteratorIjlEEPS9_SE_NS0_5tupleIJPjSE_EEENSF_IJSE_SE_EEES9_SG_JZNS1_25segmented_radix_sort_implINS0_14default_configELb1EPKdPdPKlPlN2at6native12_GLOBAL__N_18offset_tEEE10hipError_tPvRmT1_PNSt15iterator_traitsISY_E10value_typeET2_T3_PNSZ_IS14_E10value_typeET4_jRbjT5_S1A_jjP12ihipStream_tbEUljE_EEESV_SW_SX_S14_S18_S1A_T6_T7_T9_mT8_S1C_bDpT10_ENKUlT_T0_E_clISt17integral_constantIbLb1EES1O_IbLb0EEEEDaS1K_S1L_EUlS1K_E_NS1_11comp_targetILNS1_3genE5ELNS1_11target_archE942ELNS1_3gpuE9ELNS1_3repE0EEENS1_30default_config_static_selectorELNS0_4arch9wavefront6targetE0EEEvSY_ ; -- Begin function _ZN7rocprim17ROCPRIM_400000_NS6detail17trampoline_kernelINS0_13select_configILj256ELj13ELNS0_17block_load_methodE3ELS4_3ELS4_3ELNS0_20block_scan_algorithmE0ELj4294967295EEENS1_25partition_config_selectorILNS1_17partition_subalgoE3EjNS0_10empty_typeEbEEZZNS1_14partition_implILS8_3ELb0ES6_jNS0_17counting_iteratorIjlEEPS9_SE_NS0_5tupleIJPjSE_EEENSF_IJSE_SE_EEES9_SG_JZNS1_25segmented_radix_sort_implINS0_14default_configELb1EPKdPdPKlPlN2at6native12_GLOBAL__N_18offset_tEEE10hipError_tPvRmT1_PNSt15iterator_traitsISY_E10value_typeET2_T3_PNSZ_IS14_E10value_typeET4_jRbjT5_S1A_jjP12ihipStream_tbEUljE_EEESV_SW_SX_S14_S18_S1A_T6_T7_T9_mT8_S1C_bDpT10_ENKUlT_T0_E_clISt17integral_constantIbLb1EES1O_IbLb0EEEEDaS1K_S1L_EUlS1K_E_NS1_11comp_targetILNS1_3genE5ELNS1_11target_archE942ELNS1_3gpuE9ELNS1_3repE0EEENS1_30default_config_static_selectorELNS0_4arch9wavefront6targetE0EEEvSY_
	.p2align	8
	.type	_ZN7rocprim17ROCPRIM_400000_NS6detail17trampoline_kernelINS0_13select_configILj256ELj13ELNS0_17block_load_methodE3ELS4_3ELS4_3ELNS0_20block_scan_algorithmE0ELj4294967295EEENS1_25partition_config_selectorILNS1_17partition_subalgoE3EjNS0_10empty_typeEbEEZZNS1_14partition_implILS8_3ELb0ES6_jNS0_17counting_iteratorIjlEEPS9_SE_NS0_5tupleIJPjSE_EEENSF_IJSE_SE_EEES9_SG_JZNS1_25segmented_radix_sort_implINS0_14default_configELb1EPKdPdPKlPlN2at6native12_GLOBAL__N_18offset_tEEE10hipError_tPvRmT1_PNSt15iterator_traitsISY_E10value_typeET2_T3_PNSZ_IS14_E10value_typeET4_jRbjT5_S1A_jjP12ihipStream_tbEUljE_EEESV_SW_SX_S14_S18_S1A_T6_T7_T9_mT8_S1C_bDpT10_ENKUlT_T0_E_clISt17integral_constantIbLb1EES1O_IbLb0EEEEDaS1K_S1L_EUlS1K_E_NS1_11comp_targetILNS1_3genE5ELNS1_11target_archE942ELNS1_3gpuE9ELNS1_3repE0EEENS1_30default_config_static_selectorELNS0_4arch9wavefront6targetE0EEEvSY_,@function
_ZN7rocprim17ROCPRIM_400000_NS6detail17trampoline_kernelINS0_13select_configILj256ELj13ELNS0_17block_load_methodE3ELS4_3ELS4_3ELNS0_20block_scan_algorithmE0ELj4294967295EEENS1_25partition_config_selectorILNS1_17partition_subalgoE3EjNS0_10empty_typeEbEEZZNS1_14partition_implILS8_3ELb0ES6_jNS0_17counting_iteratorIjlEEPS9_SE_NS0_5tupleIJPjSE_EEENSF_IJSE_SE_EEES9_SG_JZNS1_25segmented_radix_sort_implINS0_14default_configELb1EPKdPdPKlPlN2at6native12_GLOBAL__N_18offset_tEEE10hipError_tPvRmT1_PNSt15iterator_traitsISY_E10value_typeET2_T3_PNSZ_IS14_E10value_typeET4_jRbjT5_S1A_jjP12ihipStream_tbEUljE_EEESV_SW_SX_S14_S18_S1A_T6_T7_T9_mT8_S1C_bDpT10_ENKUlT_T0_E_clISt17integral_constantIbLb1EES1O_IbLb0EEEEDaS1K_S1L_EUlS1K_E_NS1_11comp_targetILNS1_3genE5ELNS1_11target_archE942ELNS1_3gpuE9ELNS1_3repE0EEENS1_30default_config_static_selectorELNS0_4arch9wavefront6targetE0EEEvSY_: ; @_ZN7rocprim17ROCPRIM_400000_NS6detail17trampoline_kernelINS0_13select_configILj256ELj13ELNS0_17block_load_methodE3ELS4_3ELS4_3ELNS0_20block_scan_algorithmE0ELj4294967295EEENS1_25partition_config_selectorILNS1_17partition_subalgoE3EjNS0_10empty_typeEbEEZZNS1_14partition_implILS8_3ELb0ES6_jNS0_17counting_iteratorIjlEEPS9_SE_NS0_5tupleIJPjSE_EEENSF_IJSE_SE_EEES9_SG_JZNS1_25segmented_radix_sort_implINS0_14default_configELb1EPKdPdPKlPlN2at6native12_GLOBAL__N_18offset_tEEE10hipError_tPvRmT1_PNSt15iterator_traitsISY_E10value_typeET2_T3_PNSZ_IS14_E10value_typeET4_jRbjT5_S1A_jjP12ihipStream_tbEUljE_EEESV_SW_SX_S14_S18_S1A_T6_T7_T9_mT8_S1C_bDpT10_ENKUlT_T0_E_clISt17integral_constantIbLb1EES1O_IbLb0EEEEDaS1K_S1L_EUlS1K_E_NS1_11comp_targetILNS1_3genE5ELNS1_11target_archE942ELNS1_3gpuE9ELNS1_3repE0EEENS1_30default_config_static_selectorELNS0_4arch9wavefront6targetE0EEEvSY_
; %bb.0:
	.section	.rodata,"a",@progbits
	.p2align	6, 0x0
	.amdhsa_kernel _ZN7rocprim17ROCPRIM_400000_NS6detail17trampoline_kernelINS0_13select_configILj256ELj13ELNS0_17block_load_methodE3ELS4_3ELS4_3ELNS0_20block_scan_algorithmE0ELj4294967295EEENS1_25partition_config_selectorILNS1_17partition_subalgoE3EjNS0_10empty_typeEbEEZZNS1_14partition_implILS8_3ELb0ES6_jNS0_17counting_iteratorIjlEEPS9_SE_NS0_5tupleIJPjSE_EEENSF_IJSE_SE_EEES9_SG_JZNS1_25segmented_radix_sort_implINS0_14default_configELb1EPKdPdPKlPlN2at6native12_GLOBAL__N_18offset_tEEE10hipError_tPvRmT1_PNSt15iterator_traitsISY_E10value_typeET2_T3_PNSZ_IS14_E10value_typeET4_jRbjT5_S1A_jjP12ihipStream_tbEUljE_EEESV_SW_SX_S14_S18_S1A_T6_T7_T9_mT8_S1C_bDpT10_ENKUlT_T0_E_clISt17integral_constantIbLb1EES1O_IbLb0EEEEDaS1K_S1L_EUlS1K_E_NS1_11comp_targetILNS1_3genE5ELNS1_11target_archE942ELNS1_3gpuE9ELNS1_3repE0EEENS1_30default_config_static_selectorELNS0_4arch9wavefront6targetE0EEEvSY_
		.amdhsa_group_segment_fixed_size 0
		.amdhsa_private_segment_fixed_size 0
		.amdhsa_kernarg_size 144
		.amdhsa_user_sgpr_count 15
		.amdhsa_user_sgpr_dispatch_ptr 0
		.amdhsa_user_sgpr_queue_ptr 0
		.amdhsa_user_sgpr_kernarg_segment_ptr 1
		.amdhsa_user_sgpr_dispatch_id 0
		.amdhsa_user_sgpr_private_segment_size 0
		.amdhsa_wavefront_size32 1
		.amdhsa_uses_dynamic_stack 0
		.amdhsa_enable_private_segment 0
		.amdhsa_system_sgpr_workgroup_id_x 1
		.amdhsa_system_sgpr_workgroup_id_y 0
		.amdhsa_system_sgpr_workgroup_id_z 0
		.amdhsa_system_sgpr_workgroup_info 0
		.amdhsa_system_vgpr_workitem_id 0
		.amdhsa_next_free_vgpr 1
		.amdhsa_next_free_sgpr 1
		.amdhsa_reserve_vcc 0
		.amdhsa_float_round_mode_32 0
		.amdhsa_float_round_mode_16_64 0
		.amdhsa_float_denorm_mode_32 3
		.amdhsa_float_denorm_mode_16_64 3
		.amdhsa_dx10_clamp 1
		.amdhsa_ieee_mode 1
		.amdhsa_fp16_overflow 0
		.amdhsa_workgroup_processor_mode 1
		.amdhsa_memory_ordered 1
		.amdhsa_forward_progress 0
		.amdhsa_shared_vgpr_count 0
		.amdhsa_exception_fp_ieee_invalid_op 0
		.amdhsa_exception_fp_denorm_src 0
		.amdhsa_exception_fp_ieee_div_zero 0
		.amdhsa_exception_fp_ieee_overflow 0
		.amdhsa_exception_fp_ieee_underflow 0
		.amdhsa_exception_fp_ieee_inexact 0
		.amdhsa_exception_int_div_zero 0
	.end_amdhsa_kernel
	.section	.text._ZN7rocprim17ROCPRIM_400000_NS6detail17trampoline_kernelINS0_13select_configILj256ELj13ELNS0_17block_load_methodE3ELS4_3ELS4_3ELNS0_20block_scan_algorithmE0ELj4294967295EEENS1_25partition_config_selectorILNS1_17partition_subalgoE3EjNS0_10empty_typeEbEEZZNS1_14partition_implILS8_3ELb0ES6_jNS0_17counting_iteratorIjlEEPS9_SE_NS0_5tupleIJPjSE_EEENSF_IJSE_SE_EEES9_SG_JZNS1_25segmented_radix_sort_implINS0_14default_configELb1EPKdPdPKlPlN2at6native12_GLOBAL__N_18offset_tEEE10hipError_tPvRmT1_PNSt15iterator_traitsISY_E10value_typeET2_T3_PNSZ_IS14_E10value_typeET4_jRbjT5_S1A_jjP12ihipStream_tbEUljE_EEESV_SW_SX_S14_S18_S1A_T6_T7_T9_mT8_S1C_bDpT10_ENKUlT_T0_E_clISt17integral_constantIbLb1EES1O_IbLb0EEEEDaS1K_S1L_EUlS1K_E_NS1_11comp_targetILNS1_3genE5ELNS1_11target_archE942ELNS1_3gpuE9ELNS1_3repE0EEENS1_30default_config_static_selectorELNS0_4arch9wavefront6targetE0EEEvSY_,"axG",@progbits,_ZN7rocprim17ROCPRIM_400000_NS6detail17trampoline_kernelINS0_13select_configILj256ELj13ELNS0_17block_load_methodE3ELS4_3ELS4_3ELNS0_20block_scan_algorithmE0ELj4294967295EEENS1_25partition_config_selectorILNS1_17partition_subalgoE3EjNS0_10empty_typeEbEEZZNS1_14partition_implILS8_3ELb0ES6_jNS0_17counting_iteratorIjlEEPS9_SE_NS0_5tupleIJPjSE_EEENSF_IJSE_SE_EEES9_SG_JZNS1_25segmented_radix_sort_implINS0_14default_configELb1EPKdPdPKlPlN2at6native12_GLOBAL__N_18offset_tEEE10hipError_tPvRmT1_PNSt15iterator_traitsISY_E10value_typeET2_T3_PNSZ_IS14_E10value_typeET4_jRbjT5_S1A_jjP12ihipStream_tbEUljE_EEESV_SW_SX_S14_S18_S1A_T6_T7_T9_mT8_S1C_bDpT10_ENKUlT_T0_E_clISt17integral_constantIbLb1EES1O_IbLb0EEEEDaS1K_S1L_EUlS1K_E_NS1_11comp_targetILNS1_3genE5ELNS1_11target_archE942ELNS1_3gpuE9ELNS1_3repE0EEENS1_30default_config_static_selectorELNS0_4arch9wavefront6targetE0EEEvSY_,comdat
.Lfunc_end1103:
	.size	_ZN7rocprim17ROCPRIM_400000_NS6detail17trampoline_kernelINS0_13select_configILj256ELj13ELNS0_17block_load_methodE3ELS4_3ELS4_3ELNS0_20block_scan_algorithmE0ELj4294967295EEENS1_25partition_config_selectorILNS1_17partition_subalgoE3EjNS0_10empty_typeEbEEZZNS1_14partition_implILS8_3ELb0ES6_jNS0_17counting_iteratorIjlEEPS9_SE_NS0_5tupleIJPjSE_EEENSF_IJSE_SE_EEES9_SG_JZNS1_25segmented_radix_sort_implINS0_14default_configELb1EPKdPdPKlPlN2at6native12_GLOBAL__N_18offset_tEEE10hipError_tPvRmT1_PNSt15iterator_traitsISY_E10value_typeET2_T3_PNSZ_IS14_E10value_typeET4_jRbjT5_S1A_jjP12ihipStream_tbEUljE_EEESV_SW_SX_S14_S18_S1A_T6_T7_T9_mT8_S1C_bDpT10_ENKUlT_T0_E_clISt17integral_constantIbLb1EES1O_IbLb0EEEEDaS1K_S1L_EUlS1K_E_NS1_11comp_targetILNS1_3genE5ELNS1_11target_archE942ELNS1_3gpuE9ELNS1_3repE0EEENS1_30default_config_static_selectorELNS0_4arch9wavefront6targetE0EEEvSY_, .Lfunc_end1103-_ZN7rocprim17ROCPRIM_400000_NS6detail17trampoline_kernelINS0_13select_configILj256ELj13ELNS0_17block_load_methodE3ELS4_3ELS4_3ELNS0_20block_scan_algorithmE0ELj4294967295EEENS1_25partition_config_selectorILNS1_17partition_subalgoE3EjNS0_10empty_typeEbEEZZNS1_14partition_implILS8_3ELb0ES6_jNS0_17counting_iteratorIjlEEPS9_SE_NS0_5tupleIJPjSE_EEENSF_IJSE_SE_EEES9_SG_JZNS1_25segmented_radix_sort_implINS0_14default_configELb1EPKdPdPKlPlN2at6native12_GLOBAL__N_18offset_tEEE10hipError_tPvRmT1_PNSt15iterator_traitsISY_E10value_typeET2_T3_PNSZ_IS14_E10value_typeET4_jRbjT5_S1A_jjP12ihipStream_tbEUljE_EEESV_SW_SX_S14_S18_S1A_T6_T7_T9_mT8_S1C_bDpT10_ENKUlT_T0_E_clISt17integral_constantIbLb1EES1O_IbLb0EEEEDaS1K_S1L_EUlS1K_E_NS1_11comp_targetILNS1_3genE5ELNS1_11target_archE942ELNS1_3gpuE9ELNS1_3repE0EEENS1_30default_config_static_selectorELNS0_4arch9wavefront6targetE0EEEvSY_
                                        ; -- End function
	.section	.AMDGPU.csdata,"",@progbits
; Kernel info:
; codeLenInByte = 0
; NumSgprs: 0
; NumVgprs: 0
; ScratchSize: 0
; MemoryBound: 0
; FloatMode: 240
; IeeeMode: 1
; LDSByteSize: 0 bytes/workgroup (compile time only)
; SGPRBlocks: 0
; VGPRBlocks: 0
; NumSGPRsForWavesPerEU: 1
; NumVGPRsForWavesPerEU: 1
; Occupancy: 16
; WaveLimiterHint : 0
; COMPUTE_PGM_RSRC2:SCRATCH_EN: 0
; COMPUTE_PGM_RSRC2:USER_SGPR: 15
; COMPUTE_PGM_RSRC2:TRAP_HANDLER: 0
; COMPUTE_PGM_RSRC2:TGID_X_EN: 1
; COMPUTE_PGM_RSRC2:TGID_Y_EN: 0
; COMPUTE_PGM_RSRC2:TGID_Z_EN: 0
; COMPUTE_PGM_RSRC2:TIDIG_COMP_CNT: 0
	.section	.text._ZN7rocprim17ROCPRIM_400000_NS6detail17trampoline_kernelINS0_13select_configILj256ELj13ELNS0_17block_load_methodE3ELS4_3ELS4_3ELNS0_20block_scan_algorithmE0ELj4294967295EEENS1_25partition_config_selectorILNS1_17partition_subalgoE3EjNS0_10empty_typeEbEEZZNS1_14partition_implILS8_3ELb0ES6_jNS0_17counting_iteratorIjlEEPS9_SE_NS0_5tupleIJPjSE_EEENSF_IJSE_SE_EEES9_SG_JZNS1_25segmented_radix_sort_implINS0_14default_configELb1EPKdPdPKlPlN2at6native12_GLOBAL__N_18offset_tEEE10hipError_tPvRmT1_PNSt15iterator_traitsISY_E10value_typeET2_T3_PNSZ_IS14_E10value_typeET4_jRbjT5_S1A_jjP12ihipStream_tbEUljE_EEESV_SW_SX_S14_S18_S1A_T6_T7_T9_mT8_S1C_bDpT10_ENKUlT_T0_E_clISt17integral_constantIbLb1EES1O_IbLb0EEEEDaS1K_S1L_EUlS1K_E_NS1_11comp_targetILNS1_3genE4ELNS1_11target_archE910ELNS1_3gpuE8ELNS1_3repE0EEENS1_30default_config_static_selectorELNS0_4arch9wavefront6targetE0EEEvSY_,"axG",@progbits,_ZN7rocprim17ROCPRIM_400000_NS6detail17trampoline_kernelINS0_13select_configILj256ELj13ELNS0_17block_load_methodE3ELS4_3ELS4_3ELNS0_20block_scan_algorithmE0ELj4294967295EEENS1_25partition_config_selectorILNS1_17partition_subalgoE3EjNS0_10empty_typeEbEEZZNS1_14partition_implILS8_3ELb0ES6_jNS0_17counting_iteratorIjlEEPS9_SE_NS0_5tupleIJPjSE_EEENSF_IJSE_SE_EEES9_SG_JZNS1_25segmented_radix_sort_implINS0_14default_configELb1EPKdPdPKlPlN2at6native12_GLOBAL__N_18offset_tEEE10hipError_tPvRmT1_PNSt15iterator_traitsISY_E10value_typeET2_T3_PNSZ_IS14_E10value_typeET4_jRbjT5_S1A_jjP12ihipStream_tbEUljE_EEESV_SW_SX_S14_S18_S1A_T6_T7_T9_mT8_S1C_bDpT10_ENKUlT_T0_E_clISt17integral_constantIbLb1EES1O_IbLb0EEEEDaS1K_S1L_EUlS1K_E_NS1_11comp_targetILNS1_3genE4ELNS1_11target_archE910ELNS1_3gpuE8ELNS1_3repE0EEENS1_30default_config_static_selectorELNS0_4arch9wavefront6targetE0EEEvSY_,comdat
	.globl	_ZN7rocprim17ROCPRIM_400000_NS6detail17trampoline_kernelINS0_13select_configILj256ELj13ELNS0_17block_load_methodE3ELS4_3ELS4_3ELNS0_20block_scan_algorithmE0ELj4294967295EEENS1_25partition_config_selectorILNS1_17partition_subalgoE3EjNS0_10empty_typeEbEEZZNS1_14partition_implILS8_3ELb0ES6_jNS0_17counting_iteratorIjlEEPS9_SE_NS0_5tupleIJPjSE_EEENSF_IJSE_SE_EEES9_SG_JZNS1_25segmented_radix_sort_implINS0_14default_configELb1EPKdPdPKlPlN2at6native12_GLOBAL__N_18offset_tEEE10hipError_tPvRmT1_PNSt15iterator_traitsISY_E10value_typeET2_T3_PNSZ_IS14_E10value_typeET4_jRbjT5_S1A_jjP12ihipStream_tbEUljE_EEESV_SW_SX_S14_S18_S1A_T6_T7_T9_mT8_S1C_bDpT10_ENKUlT_T0_E_clISt17integral_constantIbLb1EES1O_IbLb0EEEEDaS1K_S1L_EUlS1K_E_NS1_11comp_targetILNS1_3genE4ELNS1_11target_archE910ELNS1_3gpuE8ELNS1_3repE0EEENS1_30default_config_static_selectorELNS0_4arch9wavefront6targetE0EEEvSY_ ; -- Begin function _ZN7rocprim17ROCPRIM_400000_NS6detail17trampoline_kernelINS0_13select_configILj256ELj13ELNS0_17block_load_methodE3ELS4_3ELS4_3ELNS0_20block_scan_algorithmE0ELj4294967295EEENS1_25partition_config_selectorILNS1_17partition_subalgoE3EjNS0_10empty_typeEbEEZZNS1_14partition_implILS8_3ELb0ES6_jNS0_17counting_iteratorIjlEEPS9_SE_NS0_5tupleIJPjSE_EEENSF_IJSE_SE_EEES9_SG_JZNS1_25segmented_radix_sort_implINS0_14default_configELb1EPKdPdPKlPlN2at6native12_GLOBAL__N_18offset_tEEE10hipError_tPvRmT1_PNSt15iterator_traitsISY_E10value_typeET2_T3_PNSZ_IS14_E10value_typeET4_jRbjT5_S1A_jjP12ihipStream_tbEUljE_EEESV_SW_SX_S14_S18_S1A_T6_T7_T9_mT8_S1C_bDpT10_ENKUlT_T0_E_clISt17integral_constantIbLb1EES1O_IbLb0EEEEDaS1K_S1L_EUlS1K_E_NS1_11comp_targetILNS1_3genE4ELNS1_11target_archE910ELNS1_3gpuE8ELNS1_3repE0EEENS1_30default_config_static_selectorELNS0_4arch9wavefront6targetE0EEEvSY_
	.p2align	8
	.type	_ZN7rocprim17ROCPRIM_400000_NS6detail17trampoline_kernelINS0_13select_configILj256ELj13ELNS0_17block_load_methodE3ELS4_3ELS4_3ELNS0_20block_scan_algorithmE0ELj4294967295EEENS1_25partition_config_selectorILNS1_17partition_subalgoE3EjNS0_10empty_typeEbEEZZNS1_14partition_implILS8_3ELb0ES6_jNS0_17counting_iteratorIjlEEPS9_SE_NS0_5tupleIJPjSE_EEENSF_IJSE_SE_EEES9_SG_JZNS1_25segmented_radix_sort_implINS0_14default_configELb1EPKdPdPKlPlN2at6native12_GLOBAL__N_18offset_tEEE10hipError_tPvRmT1_PNSt15iterator_traitsISY_E10value_typeET2_T3_PNSZ_IS14_E10value_typeET4_jRbjT5_S1A_jjP12ihipStream_tbEUljE_EEESV_SW_SX_S14_S18_S1A_T6_T7_T9_mT8_S1C_bDpT10_ENKUlT_T0_E_clISt17integral_constantIbLb1EES1O_IbLb0EEEEDaS1K_S1L_EUlS1K_E_NS1_11comp_targetILNS1_3genE4ELNS1_11target_archE910ELNS1_3gpuE8ELNS1_3repE0EEENS1_30default_config_static_selectorELNS0_4arch9wavefront6targetE0EEEvSY_,@function
_ZN7rocprim17ROCPRIM_400000_NS6detail17trampoline_kernelINS0_13select_configILj256ELj13ELNS0_17block_load_methodE3ELS4_3ELS4_3ELNS0_20block_scan_algorithmE0ELj4294967295EEENS1_25partition_config_selectorILNS1_17partition_subalgoE3EjNS0_10empty_typeEbEEZZNS1_14partition_implILS8_3ELb0ES6_jNS0_17counting_iteratorIjlEEPS9_SE_NS0_5tupleIJPjSE_EEENSF_IJSE_SE_EEES9_SG_JZNS1_25segmented_radix_sort_implINS0_14default_configELb1EPKdPdPKlPlN2at6native12_GLOBAL__N_18offset_tEEE10hipError_tPvRmT1_PNSt15iterator_traitsISY_E10value_typeET2_T3_PNSZ_IS14_E10value_typeET4_jRbjT5_S1A_jjP12ihipStream_tbEUljE_EEESV_SW_SX_S14_S18_S1A_T6_T7_T9_mT8_S1C_bDpT10_ENKUlT_T0_E_clISt17integral_constantIbLb1EES1O_IbLb0EEEEDaS1K_S1L_EUlS1K_E_NS1_11comp_targetILNS1_3genE4ELNS1_11target_archE910ELNS1_3gpuE8ELNS1_3repE0EEENS1_30default_config_static_selectorELNS0_4arch9wavefront6targetE0EEEvSY_: ; @_ZN7rocprim17ROCPRIM_400000_NS6detail17trampoline_kernelINS0_13select_configILj256ELj13ELNS0_17block_load_methodE3ELS4_3ELS4_3ELNS0_20block_scan_algorithmE0ELj4294967295EEENS1_25partition_config_selectorILNS1_17partition_subalgoE3EjNS0_10empty_typeEbEEZZNS1_14partition_implILS8_3ELb0ES6_jNS0_17counting_iteratorIjlEEPS9_SE_NS0_5tupleIJPjSE_EEENSF_IJSE_SE_EEES9_SG_JZNS1_25segmented_radix_sort_implINS0_14default_configELb1EPKdPdPKlPlN2at6native12_GLOBAL__N_18offset_tEEE10hipError_tPvRmT1_PNSt15iterator_traitsISY_E10value_typeET2_T3_PNSZ_IS14_E10value_typeET4_jRbjT5_S1A_jjP12ihipStream_tbEUljE_EEESV_SW_SX_S14_S18_S1A_T6_T7_T9_mT8_S1C_bDpT10_ENKUlT_T0_E_clISt17integral_constantIbLb1EES1O_IbLb0EEEEDaS1K_S1L_EUlS1K_E_NS1_11comp_targetILNS1_3genE4ELNS1_11target_archE910ELNS1_3gpuE8ELNS1_3repE0EEENS1_30default_config_static_selectorELNS0_4arch9wavefront6targetE0EEEvSY_
; %bb.0:
	.section	.rodata,"a",@progbits
	.p2align	6, 0x0
	.amdhsa_kernel _ZN7rocprim17ROCPRIM_400000_NS6detail17trampoline_kernelINS0_13select_configILj256ELj13ELNS0_17block_load_methodE3ELS4_3ELS4_3ELNS0_20block_scan_algorithmE0ELj4294967295EEENS1_25partition_config_selectorILNS1_17partition_subalgoE3EjNS0_10empty_typeEbEEZZNS1_14partition_implILS8_3ELb0ES6_jNS0_17counting_iteratorIjlEEPS9_SE_NS0_5tupleIJPjSE_EEENSF_IJSE_SE_EEES9_SG_JZNS1_25segmented_radix_sort_implINS0_14default_configELb1EPKdPdPKlPlN2at6native12_GLOBAL__N_18offset_tEEE10hipError_tPvRmT1_PNSt15iterator_traitsISY_E10value_typeET2_T3_PNSZ_IS14_E10value_typeET4_jRbjT5_S1A_jjP12ihipStream_tbEUljE_EEESV_SW_SX_S14_S18_S1A_T6_T7_T9_mT8_S1C_bDpT10_ENKUlT_T0_E_clISt17integral_constantIbLb1EES1O_IbLb0EEEEDaS1K_S1L_EUlS1K_E_NS1_11comp_targetILNS1_3genE4ELNS1_11target_archE910ELNS1_3gpuE8ELNS1_3repE0EEENS1_30default_config_static_selectorELNS0_4arch9wavefront6targetE0EEEvSY_
		.amdhsa_group_segment_fixed_size 0
		.amdhsa_private_segment_fixed_size 0
		.amdhsa_kernarg_size 144
		.amdhsa_user_sgpr_count 15
		.amdhsa_user_sgpr_dispatch_ptr 0
		.amdhsa_user_sgpr_queue_ptr 0
		.amdhsa_user_sgpr_kernarg_segment_ptr 1
		.amdhsa_user_sgpr_dispatch_id 0
		.amdhsa_user_sgpr_private_segment_size 0
		.amdhsa_wavefront_size32 1
		.amdhsa_uses_dynamic_stack 0
		.amdhsa_enable_private_segment 0
		.amdhsa_system_sgpr_workgroup_id_x 1
		.amdhsa_system_sgpr_workgroup_id_y 0
		.amdhsa_system_sgpr_workgroup_id_z 0
		.amdhsa_system_sgpr_workgroup_info 0
		.amdhsa_system_vgpr_workitem_id 0
		.amdhsa_next_free_vgpr 1
		.amdhsa_next_free_sgpr 1
		.amdhsa_reserve_vcc 0
		.amdhsa_float_round_mode_32 0
		.amdhsa_float_round_mode_16_64 0
		.amdhsa_float_denorm_mode_32 3
		.amdhsa_float_denorm_mode_16_64 3
		.amdhsa_dx10_clamp 1
		.amdhsa_ieee_mode 1
		.amdhsa_fp16_overflow 0
		.amdhsa_workgroup_processor_mode 1
		.amdhsa_memory_ordered 1
		.amdhsa_forward_progress 0
		.amdhsa_shared_vgpr_count 0
		.amdhsa_exception_fp_ieee_invalid_op 0
		.amdhsa_exception_fp_denorm_src 0
		.amdhsa_exception_fp_ieee_div_zero 0
		.amdhsa_exception_fp_ieee_overflow 0
		.amdhsa_exception_fp_ieee_underflow 0
		.amdhsa_exception_fp_ieee_inexact 0
		.amdhsa_exception_int_div_zero 0
	.end_amdhsa_kernel
	.section	.text._ZN7rocprim17ROCPRIM_400000_NS6detail17trampoline_kernelINS0_13select_configILj256ELj13ELNS0_17block_load_methodE3ELS4_3ELS4_3ELNS0_20block_scan_algorithmE0ELj4294967295EEENS1_25partition_config_selectorILNS1_17partition_subalgoE3EjNS0_10empty_typeEbEEZZNS1_14partition_implILS8_3ELb0ES6_jNS0_17counting_iteratorIjlEEPS9_SE_NS0_5tupleIJPjSE_EEENSF_IJSE_SE_EEES9_SG_JZNS1_25segmented_radix_sort_implINS0_14default_configELb1EPKdPdPKlPlN2at6native12_GLOBAL__N_18offset_tEEE10hipError_tPvRmT1_PNSt15iterator_traitsISY_E10value_typeET2_T3_PNSZ_IS14_E10value_typeET4_jRbjT5_S1A_jjP12ihipStream_tbEUljE_EEESV_SW_SX_S14_S18_S1A_T6_T7_T9_mT8_S1C_bDpT10_ENKUlT_T0_E_clISt17integral_constantIbLb1EES1O_IbLb0EEEEDaS1K_S1L_EUlS1K_E_NS1_11comp_targetILNS1_3genE4ELNS1_11target_archE910ELNS1_3gpuE8ELNS1_3repE0EEENS1_30default_config_static_selectorELNS0_4arch9wavefront6targetE0EEEvSY_,"axG",@progbits,_ZN7rocprim17ROCPRIM_400000_NS6detail17trampoline_kernelINS0_13select_configILj256ELj13ELNS0_17block_load_methodE3ELS4_3ELS4_3ELNS0_20block_scan_algorithmE0ELj4294967295EEENS1_25partition_config_selectorILNS1_17partition_subalgoE3EjNS0_10empty_typeEbEEZZNS1_14partition_implILS8_3ELb0ES6_jNS0_17counting_iteratorIjlEEPS9_SE_NS0_5tupleIJPjSE_EEENSF_IJSE_SE_EEES9_SG_JZNS1_25segmented_radix_sort_implINS0_14default_configELb1EPKdPdPKlPlN2at6native12_GLOBAL__N_18offset_tEEE10hipError_tPvRmT1_PNSt15iterator_traitsISY_E10value_typeET2_T3_PNSZ_IS14_E10value_typeET4_jRbjT5_S1A_jjP12ihipStream_tbEUljE_EEESV_SW_SX_S14_S18_S1A_T6_T7_T9_mT8_S1C_bDpT10_ENKUlT_T0_E_clISt17integral_constantIbLb1EES1O_IbLb0EEEEDaS1K_S1L_EUlS1K_E_NS1_11comp_targetILNS1_3genE4ELNS1_11target_archE910ELNS1_3gpuE8ELNS1_3repE0EEENS1_30default_config_static_selectorELNS0_4arch9wavefront6targetE0EEEvSY_,comdat
.Lfunc_end1104:
	.size	_ZN7rocprim17ROCPRIM_400000_NS6detail17trampoline_kernelINS0_13select_configILj256ELj13ELNS0_17block_load_methodE3ELS4_3ELS4_3ELNS0_20block_scan_algorithmE0ELj4294967295EEENS1_25partition_config_selectorILNS1_17partition_subalgoE3EjNS0_10empty_typeEbEEZZNS1_14partition_implILS8_3ELb0ES6_jNS0_17counting_iteratorIjlEEPS9_SE_NS0_5tupleIJPjSE_EEENSF_IJSE_SE_EEES9_SG_JZNS1_25segmented_radix_sort_implINS0_14default_configELb1EPKdPdPKlPlN2at6native12_GLOBAL__N_18offset_tEEE10hipError_tPvRmT1_PNSt15iterator_traitsISY_E10value_typeET2_T3_PNSZ_IS14_E10value_typeET4_jRbjT5_S1A_jjP12ihipStream_tbEUljE_EEESV_SW_SX_S14_S18_S1A_T6_T7_T9_mT8_S1C_bDpT10_ENKUlT_T0_E_clISt17integral_constantIbLb1EES1O_IbLb0EEEEDaS1K_S1L_EUlS1K_E_NS1_11comp_targetILNS1_3genE4ELNS1_11target_archE910ELNS1_3gpuE8ELNS1_3repE0EEENS1_30default_config_static_selectorELNS0_4arch9wavefront6targetE0EEEvSY_, .Lfunc_end1104-_ZN7rocprim17ROCPRIM_400000_NS6detail17trampoline_kernelINS0_13select_configILj256ELj13ELNS0_17block_load_methodE3ELS4_3ELS4_3ELNS0_20block_scan_algorithmE0ELj4294967295EEENS1_25partition_config_selectorILNS1_17partition_subalgoE3EjNS0_10empty_typeEbEEZZNS1_14partition_implILS8_3ELb0ES6_jNS0_17counting_iteratorIjlEEPS9_SE_NS0_5tupleIJPjSE_EEENSF_IJSE_SE_EEES9_SG_JZNS1_25segmented_radix_sort_implINS0_14default_configELb1EPKdPdPKlPlN2at6native12_GLOBAL__N_18offset_tEEE10hipError_tPvRmT1_PNSt15iterator_traitsISY_E10value_typeET2_T3_PNSZ_IS14_E10value_typeET4_jRbjT5_S1A_jjP12ihipStream_tbEUljE_EEESV_SW_SX_S14_S18_S1A_T6_T7_T9_mT8_S1C_bDpT10_ENKUlT_T0_E_clISt17integral_constantIbLb1EES1O_IbLb0EEEEDaS1K_S1L_EUlS1K_E_NS1_11comp_targetILNS1_3genE4ELNS1_11target_archE910ELNS1_3gpuE8ELNS1_3repE0EEENS1_30default_config_static_selectorELNS0_4arch9wavefront6targetE0EEEvSY_
                                        ; -- End function
	.section	.AMDGPU.csdata,"",@progbits
; Kernel info:
; codeLenInByte = 0
; NumSgprs: 0
; NumVgprs: 0
; ScratchSize: 0
; MemoryBound: 0
; FloatMode: 240
; IeeeMode: 1
; LDSByteSize: 0 bytes/workgroup (compile time only)
; SGPRBlocks: 0
; VGPRBlocks: 0
; NumSGPRsForWavesPerEU: 1
; NumVGPRsForWavesPerEU: 1
; Occupancy: 16
; WaveLimiterHint : 0
; COMPUTE_PGM_RSRC2:SCRATCH_EN: 0
; COMPUTE_PGM_RSRC2:USER_SGPR: 15
; COMPUTE_PGM_RSRC2:TRAP_HANDLER: 0
; COMPUTE_PGM_RSRC2:TGID_X_EN: 1
; COMPUTE_PGM_RSRC2:TGID_Y_EN: 0
; COMPUTE_PGM_RSRC2:TGID_Z_EN: 0
; COMPUTE_PGM_RSRC2:TIDIG_COMP_CNT: 0
	.section	.text._ZN7rocprim17ROCPRIM_400000_NS6detail17trampoline_kernelINS0_13select_configILj256ELj13ELNS0_17block_load_methodE3ELS4_3ELS4_3ELNS0_20block_scan_algorithmE0ELj4294967295EEENS1_25partition_config_selectorILNS1_17partition_subalgoE3EjNS0_10empty_typeEbEEZZNS1_14partition_implILS8_3ELb0ES6_jNS0_17counting_iteratorIjlEEPS9_SE_NS0_5tupleIJPjSE_EEENSF_IJSE_SE_EEES9_SG_JZNS1_25segmented_radix_sort_implINS0_14default_configELb1EPKdPdPKlPlN2at6native12_GLOBAL__N_18offset_tEEE10hipError_tPvRmT1_PNSt15iterator_traitsISY_E10value_typeET2_T3_PNSZ_IS14_E10value_typeET4_jRbjT5_S1A_jjP12ihipStream_tbEUljE_EEESV_SW_SX_S14_S18_S1A_T6_T7_T9_mT8_S1C_bDpT10_ENKUlT_T0_E_clISt17integral_constantIbLb1EES1O_IbLb0EEEEDaS1K_S1L_EUlS1K_E_NS1_11comp_targetILNS1_3genE3ELNS1_11target_archE908ELNS1_3gpuE7ELNS1_3repE0EEENS1_30default_config_static_selectorELNS0_4arch9wavefront6targetE0EEEvSY_,"axG",@progbits,_ZN7rocprim17ROCPRIM_400000_NS6detail17trampoline_kernelINS0_13select_configILj256ELj13ELNS0_17block_load_methodE3ELS4_3ELS4_3ELNS0_20block_scan_algorithmE0ELj4294967295EEENS1_25partition_config_selectorILNS1_17partition_subalgoE3EjNS0_10empty_typeEbEEZZNS1_14partition_implILS8_3ELb0ES6_jNS0_17counting_iteratorIjlEEPS9_SE_NS0_5tupleIJPjSE_EEENSF_IJSE_SE_EEES9_SG_JZNS1_25segmented_radix_sort_implINS0_14default_configELb1EPKdPdPKlPlN2at6native12_GLOBAL__N_18offset_tEEE10hipError_tPvRmT1_PNSt15iterator_traitsISY_E10value_typeET2_T3_PNSZ_IS14_E10value_typeET4_jRbjT5_S1A_jjP12ihipStream_tbEUljE_EEESV_SW_SX_S14_S18_S1A_T6_T7_T9_mT8_S1C_bDpT10_ENKUlT_T0_E_clISt17integral_constantIbLb1EES1O_IbLb0EEEEDaS1K_S1L_EUlS1K_E_NS1_11comp_targetILNS1_3genE3ELNS1_11target_archE908ELNS1_3gpuE7ELNS1_3repE0EEENS1_30default_config_static_selectorELNS0_4arch9wavefront6targetE0EEEvSY_,comdat
	.globl	_ZN7rocprim17ROCPRIM_400000_NS6detail17trampoline_kernelINS0_13select_configILj256ELj13ELNS0_17block_load_methodE3ELS4_3ELS4_3ELNS0_20block_scan_algorithmE0ELj4294967295EEENS1_25partition_config_selectorILNS1_17partition_subalgoE3EjNS0_10empty_typeEbEEZZNS1_14partition_implILS8_3ELb0ES6_jNS0_17counting_iteratorIjlEEPS9_SE_NS0_5tupleIJPjSE_EEENSF_IJSE_SE_EEES9_SG_JZNS1_25segmented_radix_sort_implINS0_14default_configELb1EPKdPdPKlPlN2at6native12_GLOBAL__N_18offset_tEEE10hipError_tPvRmT1_PNSt15iterator_traitsISY_E10value_typeET2_T3_PNSZ_IS14_E10value_typeET4_jRbjT5_S1A_jjP12ihipStream_tbEUljE_EEESV_SW_SX_S14_S18_S1A_T6_T7_T9_mT8_S1C_bDpT10_ENKUlT_T0_E_clISt17integral_constantIbLb1EES1O_IbLb0EEEEDaS1K_S1L_EUlS1K_E_NS1_11comp_targetILNS1_3genE3ELNS1_11target_archE908ELNS1_3gpuE7ELNS1_3repE0EEENS1_30default_config_static_selectorELNS0_4arch9wavefront6targetE0EEEvSY_ ; -- Begin function _ZN7rocprim17ROCPRIM_400000_NS6detail17trampoline_kernelINS0_13select_configILj256ELj13ELNS0_17block_load_methodE3ELS4_3ELS4_3ELNS0_20block_scan_algorithmE0ELj4294967295EEENS1_25partition_config_selectorILNS1_17partition_subalgoE3EjNS0_10empty_typeEbEEZZNS1_14partition_implILS8_3ELb0ES6_jNS0_17counting_iteratorIjlEEPS9_SE_NS0_5tupleIJPjSE_EEENSF_IJSE_SE_EEES9_SG_JZNS1_25segmented_radix_sort_implINS0_14default_configELb1EPKdPdPKlPlN2at6native12_GLOBAL__N_18offset_tEEE10hipError_tPvRmT1_PNSt15iterator_traitsISY_E10value_typeET2_T3_PNSZ_IS14_E10value_typeET4_jRbjT5_S1A_jjP12ihipStream_tbEUljE_EEESV_SW_SX_S14_S18_S1A_T6_T7_T9_mT8_S1C_bDpT10_ENKUlT_T0_E_clISt17integral_constantIbLb1EES1O_IbLb0EEEEDaS1K_S1L_EUlS1K_E_NS1_11comp_targetILNS1_3genE3ELNS1_11target_archE908ELNS1_3gpuE7ELNS1_3repE0EEENS1_30default_config_static_selectorELNS0_4arch9wavefront6targetE0EEEvSY_
	.p2align	8
	.type	_ZN7rocprim17ROCPRIM_400000_NS6detail17trampoline_kernelINS0_13select_configILj256ELj13ELNS0_17block_load_methodE3ELS4_3ELS4_3ELNS0_20block_scan_algorithmE0ELj4294967295EEENS1_25partition_config_selectorILNS1_17partition_subalgoE3EjNS0_10empty_typeEbEEZZNS1_14partition_implILS8_3ELb0ES6_jNS0_17counting_iteratorIjlEEPS9_SE_NS0_5tupleIJPjSE_EEENSF_IJSE_SE_EEES9_SG_JZNS1_25segmented_radix_sort_implINS0_14default_configELb1EPKdPdPKlPlN2at6native12_GLOBAL__N_18offset_tEEE10hipError_tPvRmT1_PNSt15iterator_traitsISY_E10value_typeET2_T3_PNSZ_IS14_E10value_typeET4_jRbjT5_S1A_jjP12ihipStream_tbEUljE_EEESV_SW_SX_S14_S18_S1A_T6_T7_T9_mT8_S1C_bDpT10_ENKUlT_T0_E_clISt17integral_constantIbLb1EES1O_IbLb0EEEEDaS1K_S1L_EUlS1K_E_NS1_11comp_targetILNS1_3genE3ELNS1_11target_archE908ELNS1_3gpuE7ELNS1_3repE0EEENS1_30default_config_static_selectorELNS0_4arch9wavefront6targetE0EEEvSY_,@function
_ZN7rocprim17ROCPRIM_400000_NS6detail17trampoline_kernelINS0_13select_configILj256ELj13ELNS0_17block_load_methodE3ELS4_3ELS4_3ELNS0_20block_scan_algorithmE0ELj4294967295EEENS1_25partition_config_selectorILNS1_17partition_subalgoE3EjNS0_10empty_typeEbEEZZNS1_14partition_implILS8_3ELb0ES6_jNS0_17counting_iteratorIjlEEPS9_SE_NS0_5tupleIJPjSE_EEENSF_IJSE_SE_EEES9_SG_JZNS1_25segmented_radix_sort_implINS0_14default_configELb1EPKdPdPKlPlN2at6native12_GLOBAL__N_18offset_tEEE10hipError_tPvRmT1_PNSt15iterator_traitsISY_E10value_typeET2_T3_PNSZ_IS14_E10value_typeET4_jRbjT5_S1A_jjP12ihipStream_tbEUljE_EEESV_SW_SX_S14_S18_S1A_T6_T7_T9_mT8_S1C_bDpT10_ENKUlT_T0_E_clISt17integral_constantIbLb1EES1O_IbLb0EEEEDaS1K_S1L_EUlS1K_E_NS1_11comp_targetILNS1_3genE3ELNS1_11target_archE908ELNS1_3gpuE7ELNS1_3repE0EEENS1_30default_config_static_selectorELNS0_4arch9wavefront6targetE0EEEvSY_: ; @_ZN7rocprim17ROCPRIM_400000_NS6detail17trampoline_kernelINS0_13select_configILj256ELj13ELNS0_17block_load_methodE3ELS4_3ELS4_3ELNS0_20block_scan_algorithmE0ELj4294967295EEENS1_25partition_config_selectorILNS1_17partition_subalgoE3EjNS0_10empty_typeEbEEZZNS1_14partition_implILS8_3ELb0ES6_jNS0_17counting_iteratorIjlEEPS9_SE_NS0_5tupleIJPjSE_EEENSF_IJSE_SE_EEES9_SG_JZNS1_25segmented_radix_sort_implINS0_14default_configELb1EPKdPdPKlPlN2at6native12_GLOBAL__N_18offset_tEEE10hipError_tPvRmT1_PNSt15iterator_traitsISY_E10value_typeET2_T3_PNSZ_IS14_E10value_typeET4_jRbjT5_S1A_jjP12ihipStream_tbEUljE_EEESV_SW_SX_S14_S18_S1A_T6_T7_T9_mT8_S1C_bDpT10_ENKUlT_T0_E_clISt17integral_constantIbLb1EES1O_IbLb0EEEEDaS1K_S1L_EUlS1K_E_NS1_11comp_targetILNS1_3genE3ELNS1_11target_archE908ELNS1_3gpuE7ELNS1_3repE0EEENS1_30default_config_static_selectorELNS0_4arch9wavefront6targetE0EEEvSY_
; %bb.0:
	.section	.rodata,"a",@progbits
	.p2align	6, 0x0
	.amdhsa_kernel _ZN7rocprim17ROCPRIM_400000_NS6detail17trampoline_kernelINS0_13select_configILj256ELj13ELNS0_17block_load_methodE3ELS4_3ELS4_3ELNS0_20block_scan_algorithmE0ELj4294967295EEENS1_25partition_config_selectorILNS1_17partition_subalgoE3EjNS0_10empty_typeEbEEZZNS1_14partition_implILS8_3ELb0ES6_jNS0_17counting_iteratorIjlEEPS9_SE_NS0_5tupleIJPjSE_EEENSF_IJSE_SE_EEES9_SG_JZNS1_25segmented_radix_sort_implINS0_14default_configELb1EPKdPdPKlPlN2at6native12_GLOBAL__N_18offset_tEEE10hipError_tPvRmT1_PNSt15iterator_traitsISY_E10value_typeET2_T3_PNSZ_IS14_E10value_typeET4_jRbjT5_S1A_jjP12ihipStream_tbEUljE_EEESV_SW_SX_S14_S18_S1A_T6_T7_T9_mT8_S1C_bDpT10_ENKUlT_T0_E_clISt17integral_constantIbLb1EES1O_IbLb0EEEEDaS1K_S1L_EUlS1K_E_NS1_11comp_targetILNS1_3genE3ELNS1_11target_archE908ELNS1_3gpuE7ELNS1_3repE0EEENS1_30default_config_static_selectorELNS0_4arch9wavefront6targetE0EEEvSY_
		.amdhsa_group_segment_fixed_size 0
		.amdhsa_private_segment_fixed_size 0
		.amdhsa_kernarg_size 144
		.amdhsa_user_sgpr_count 15
		.amdhsa_user_sgpr_dispatch_ptr 0
		.amdhsa_user_sgpr_queue_ptr 0
		.amdhsa_user_sgpr_kernarg_segment_ptr 1
		.amdhsa_user_sgpr_dispatch_id 0
		.amdhsa_user_sgpr_private_segment_size 0
		.amdhsa_wavefront_size32 1
		.amdhsa_uses_dynamic_stack 0
		.amdhsa_enable_private_segment 0
		.amdhsa_system_sgpr_workgroup_id_x 1
		.amdhsa_system_sgpr_workgroup_id_y 0
		.amdhsa_system_sgpr_workgroup_id_z 0
		.amdhsa_system_sgpr_workgroup_info 0
		.amdhsa_system_vgpr_workitem_id 0
		.amdhsa_next_free_vgpr 1
		.amdhsa_next_free_sgpr 1
		.amdhsa_reserve_vcc 0
		.amdhsa_float_round_mode_32 0
		.amdhsa_float_round_mode_16_64 0
		.amdhsa_float_denorm_mode_32 3
		.amdhsa_float_denorm_mode_16_64 3
		.amdhsa_dx10_clamp 1
		.amdhsa_ieee_mode 1
		.amdhsa_fp16_overflow 0
		.amdhsa_workgroup_processor_mode 1
		.amdhsa_memory_ordered 1
		.amdhsa_forward_progress 0
		.amdhsa_shared_vgpr_count 0
		.amdhsa_exception_fp_ieee_invalid_op 0
		.amdhsa_exception_fp_denorm_src 0
		.amdhsa_exception_fp_ieee_div_zero 0
		.amdhsa_exception_fp_ieee_overflow 0
		.amdhsa_exception_fp_ieee_underflow 0
		.amdhsa_exception_fp_ieee_inexact 0
		.amdhsa_exception_int_div_zero 0
	.end_amdhsa_kernel
	.section	.text._ZN7rocprim17ROCPRIM_400000_NS6detail17trampoline_kernelINS0_13select_configILj256ELj13ELNS0_17block_load_methodE3ELS4_3ELS4_3ELNS0_20block_scan_algorithmE0ELj4294967295EEENS1_25partition_config_selectorILNS1_17partition_subalgoE3EjNS0_10empty_typeEbEEZZNS1_14partition_implILS8_3ELb0ES6_jNS0_17counting_iteratorIjlEEPS9_SE_NS0_5tupleIJPjSE_EEENSF_IJSE_SE_EEES9_SG_JZNS1_25segmented_radix_sort_implINS0_14default_configELb1EPKdPdPKlPlN2at6native12_GLOBAL__N_18offset_tEEE10hipError_tPvRmT1_PNSt15iterator_traitsISY_E10value_typeET2_T3_PNSZ_IS14_E10value_typeET4_jRbjT5_S1A_jjP12ihipStream_tbEUljE_EEESV_SW_SX_S14_S18_S1A_T6_T7_T9_mT8_S1C_bDpT10_ENKUlT_T0_E_clISt17integral_constantIbLb1EES1O_IbLb0EEEEDaS1K_S1L_EUlS1K_E_NS1_11comp_targetILNS1_3genE3ELNS1_11target_archE908ELNS1_3gpuE7ELNS1_3repE0EEENS1_30default_config_static_selectorELNS0_4arch9wavefront6targetE0EEEvSY_,"axG",@progbits,_ZN7rocprim17ROCPRIM_400000_NS6detail17trampoline_kernelINS0_13select_configILj256ELj13ELNS0_17block_load_methodE3ELS4_3ELS4_3ELNS0_20block_scan_algorithmE0ELj4294967295EEENS1_25partition_config_selectorILNS1_17partition_subalgoE3EjNS0_10empty_typeEbEEZZNS1_14partition_implILS8_3ELb0ES6_jNS0_17counting_iteratorIjlEEPS9_SE_NS0_5tupleIJPjSE_EEENSF_IJSE_SE_EEES9_SG_JZNS1_25segmented_radix_sort_implINS0_14default_configELb1EPKdPdPKlPlN2at6native12_GLOBAL__N_18offset_tEEE10hipError_tPvRmT1_PNSt15iterator_traitsISY_E10value_typeET2_T3_PNSZ_IS14_E10value_typeET4_jRbjT5_S1A_jjP12ihipStream_tbEUljE_EEESV_SW_SX_S14_S18_S1A_T6_T7_T9_mT8_S1C_bDpT10_ENKUlT_T0_E_clISt17integral_constantIbLb1EES1O_IbLb0EEEEDaS1K_S1L_EUlS1K_E_NS1_11comp_targetILNS1_3genE3ELNS1_11target_archE908ELNS1_3gpuE7ELNS1_3repE0EEENS1_30default_config_static_selectorELNS0_4arch9wavefront6targetE0EEEvSY_,comdat
.Lfunc_end1105:
	.size	_ZN7rocprim17ROCPRIM_400000_NS6detail17trampoline_kernelINS0_13select_configILj256ELj13ELNS0_17block_load_methodE3ELS4_3ELS4_3ELNS0_20block_scan_algorithmE0ELj4294967295EEENS1_25partition_config_selectorILNS1_17partition_subalgoE3EjNS0_10empty_typeEbEEZZNS1_14partition_implILS8_3ELb0ES6_jNS0_17counting_iteratorIjlEEPS9_SE_NS0_5tupleIJPjSE_EEENSF_IJSE_SE_EEES9_SG_JZNS1_25segmented_radix_sort_implINS0_14default_configELb1EPKdPdPKlPlN2at6native12_GLOBAL__N_18offset_tEEE10hipError_tPvRmT1_PNSt15iterator_traitsISY_E10value_typeET2_T3_PNSZ_IS14_E10value_typeET4_jRbjT5_S1A_jjP12ihipStream_tbEUljE_EEESV_SW_SX_S14_S18_S1A_T6_T7_T9_mT8_S1C_bDpT10_ENKUlT_T0_E_clISt17integral_constantIbLb1EES1O_IbLb0EEEEDaS1K_S1L_EUlS1K_E_NS1_11comp_targetILNS1_3genE3ELNS1_11target_archE908ELNS1_3gpuE7ELNS1_3repE0EEENS1_30default_config_static_selectorELNS0_4arch9wavefront6targetE0EEEvSY_, .Lfunc_end1105-_ZN7rocprim17ROCPRIM_400000_NS6detail17trampoline_kernelINS0_13select_configILj256ELj13ELNS0_17block_load_methodE3ELS4_3ELS4_3ELNS0_20block_scan_algorithmE0ELj4294967295EEENS1_25partition_config_selectorILNS1_17partition_subalgoE3EjNS0_10empty_typeEbEEZZNS1_14partition_implILS8_3ELb0ES6_jNS0_17counting_iteratorIjlEEPS9_SE_NS0_5tupleIJPjSE_EEENSF_IJSE_SE_EEES9_SG_JZNS1_25segmented_radix_sort_implINS0_14default_configELb1EPKdPdPKlPlN2at6native12_GLOBAL__N_18offset_tEEE10hipError_tPvRmT1_PNSt15iterator_traitsISY_E10value_typeET2_T3_PNSZ_IS14_E10value_typeET4_jRbjT5_S1A_jjP12ihipStream_tbEUljE_EEESV_SW_SX_S14_S18_S1A_T6_T7_T9_mT8_S1C_bDpT10_ENKUlT_T0_E_clISt17integral_constantIbLb1EES1O_IbLb0EEEEDaS1K_S1L_EUlS1K_E_NS1_11comp_targetILNS1_3genE3ELNS1_11target_archE908ELNS1_3gpuE7ELNS1_3repE0EEENS1_30default_config_static_selectorELNS0_4arch9wavefront6targetE0EEEvSY_
                                        ; -- End function
	.section	.AMDGPU.csdata,"",@progbits
; Kernel info:
; codeLenInByte = 0
; NumSgprs: 0
; NumVgprs: 0
; ScratchSize: 0
; MemoryBound: 0
; FloatMode: 240
; IeeeMode: 1
; LDSByteSize: 0 bytes/workgroup (compile time only)
; SGPRBlocks: 0
; VGPRBlocks: 0
; NumSGPRsForWavesPerEU: 1
; NumVGPRsForWavesPerEU: 1
; Occupancy: 16
; WaveLimiterHint : 0
; COMPUTE_PGM_RSRC2:SCRATCH_EN: 0
; COMPUTE_PGM_RSRC2:USER_SGPR: 15
; COMPUTE_PGM_RSRC2:TRAP_HANDLER: 0
; COMPUTE_PGM_RSRC2:TGID_X_EN: 1
; COMPUTE_PGM_RSRC2:TGID_Y_EN: 0
; COMPUTE_PGM_RSRC2:TGID_Z_EN: 0
; COMPUTE_PGM_RSRC2:TIDIG_COMP_CNT: 0
	.section	.text._ZN7rocprim17ROCPRIM_400000_NS6detail17trampoline_kernelINS0_13select_configILj256ELj13ELNS0_17block_load_methodE3ELS4_3ELS4_3ELNS0_20block_scan_algorithmE0ELj4294967295EEENS1_25partition_config_selectorILNS1_17partition_subalgoE3EjNS0_10empty_typeEbEEZZNS1_14partition_implILS8_3ELb0ES6_jNS0_17counting_iteratorIjlEEPS9_SE_NS0_5tupleIJPjSE_EEENSF_IJSE_SE_EEES9_SG_JZNS1_25segmented_radix_sort_implINS0_14default_configELb1EPKdPdPKlPlN2at6native12_GLOBAL__N_18offset_tEEE10hipError_tPvRmT1_PNSt15iterator_traitsISY_E10value_typeET2_T3_PNSZ_IS14_E10value_typeET4_jRbjT5_S1A_jjP12ihipStream_tbEUljE_EEESV_SW_SX_S14_S18_S1A_T6_T7_T9_mT8_S1C_bDpT10_ENKUlT_T0_E_clISt17integral_constantIbLb1EES1O_IbLb0EEEEDaS1K_S1L_EUlS1K_E_NS1_11comp_targetILNS1_3genE2ELNS1_11target_archE906ELNS1_3gpuE6ELNS1_3repE0EEENS1_30default_config_static_selectorELNS0_4arch9wavefront6targetE0EEEvSY_,"axG",@progbits,_ZN7rocprim17ROCPRIM_400000_NS6detail17trampoline_kernelINS0_13select_configILj256ELj13ELNS0_17block_load_methodE3ELS4_3ELS4_3ELNS0_20block_scan_algorithmE0ELj4294967295EEENS1_25partition_config_selectorILNS1_17partition_subalgoE3EjNS0_10empty_typeEbEEZZNS1_14partition_implILS8_3ELb0ES6_jNS0_17counting_iteratorIjlEEPS9_SE_NS0_5tupleIJPjSE_EEENSF_IJSE_SE_EEES9_SG_JZNS1_25segmented_radix_sort_implINS0_14default_configELb1EPKdPdPKlPlN2at6native12_GLOBAL__N_18offset_tEEE10hipError_tPvRmT1_PNSt15iterator_traitsISY_E10value_typeET2_T3_PNSZ_IS14_E10value_typeET4_jRbjT5_S1A_jjP12ihipStream_tbEUljE_EEESV_SW_SX_S14_S18_S1A_T6_T7_T9_mT8_S1C_bDpT10_ENKUlT_T0_E_clISt17integral_constantIbLb1EES1O_IbLb0EEEEDaS1K_S1L_EUlS1K_E_NS1_11comp_targetILNS1_3genE2ELNS1_11target_archE906ELNS1_3gpuE6ELNS1_3repE0EEENS1_30default_config_static_selectorELNS0_4arch9wavefront6targetE0EEEvSY_,comdat
	.globl	_ZN7rocprim17ROCPRIM_400000_NS6detail17trampoline_kernelINS0_13select_configILj256ELj13ELNS0_17block_load_methodE3ELS4_3ELS4_3ELNS0_20block_scan_algorithmE0ELj4294967295EEENS1_25partition_config_selectorILNS1_17partition_subalgoE3EjNS0_10empty_typeEbEEZZNS1_14partition_implILS8_3ELb0ES6_jNS0_17counting_iteratorIjlEEPS9_SE_NS0_5tupleIJPjSE_EEENSF_IJSE_SE_EEES9_SG_JZNS1_25segmented_radix_sort_implINS0_14default_configELb1EPKdPdPKlPlN2at6native12_GLOBAL__N_18offset_tEEE10hipError_tPvRmT1_PNSt15iterator_traitsISY_E10value_typeET2_T3_PNSZ_IS14_E10value_typeET4_jRbjT5_S1A_jjP12ihipStream_tbEUljE_EEESV_SW_SX_S14_S18_S1A_T6_T7_T9_mT8_S1C_bDpT10_ENKUlT_T0_E_clISt17integral_constantIbLb1EES1O_IbLb0EEEEDaS1K_S1L_EUlS1K_E_NS1_11comp_targetILNS1_3genE2ELNS1_11target_archE906ELNS1_3gpuE6ELNS1_3repE0EEENS1_30default_config_static_selectorELNS0_4arch9wavefront6targetE0EEEvSY_ ; -- Begin function _ZN7rocprim17ROCPRIM_400000_NS6detail17trampoline_kernelINS0_13select_configILj256ELj13ELNS0_17block_load_methodE3ELS4_3ELS4_3ELNS0_20block_scan_algorithmE0ELj4294967295EEENS1_25partition_config_selectorILNS1_17partition_subalgoE3EjNS0_10empty_typeEbEEZZNS1_14partition_implILS8_3ELb0ES6_jNS0_17counting_iteratorIjlEEPS9_SE_NS0_5tupleIJPjSE_EEENSF_IJSE_SE_EEES9_SG_JZNS1_25segmented_radix_sort_implINS0_14default_configELb1EPKdPdPKlPlN2at6native12_GLOBAL__N_18offset_tEEE10hipError_tPvRmT1_PNSt15iterator_traitsISY_E10value_typeET2_T3_PNSZ_IS14_E10value_typeET4_jRbjT5_S1A_jjP12ihipStream_tbEUljE_EEESV_SW_SX_S14_S18_S1A_T6_T7_T9_mT8_S1C_bDpT10_ENKUlT_T0_E_clISt17integral_constantIbLb1EES1O_IbLb0EEEEDaS1K_S1L_EUlS1K_E_NS1_11comp_targetILNS1_3genE2ELNS1_11target_archE906ELNS1_3gpuE6ELNS1_3repE0EEENS1_30default_config_static_selectorELNS0_4arch9wavefront6targetE0EEEvSY_
	.p2align	8
	.type	_ZN7rocprim17ROCPRIM_400000_NS6detail17trampoline_kernelINS0_13select_configILj256ELj13ELNS0_17block_load_methodE3ELS4_3ELS4_3ELNS0_20block_scan_algorithmE0ELj4294967295EEENS1_25partition_config_selectorILNS1_17partition_subalgoE3EjNS0_10empty_typeEbEEZZNS1_14partition_implILS8_3ELb0ES6_jNS0_17counting_iteratorIjlEEPS9_SE_NS0_5tupleIJPjSE_EEENSF_IJSE_SE_EEES9_SG_JZNS1_25segmented_radix_sort_implINS0_14default_configELb1EPKdPdPKlPlN2at6native12_GLOBAL__N_18offset_tEEE10hipError_tPvRmT1_PNSt15iterator_traitsISY_E10value_typeET2_T3_PNSZ_IS14_E10value_typeET4_jRbjT5_S1A_jjP12ihipStream_tbEUljE_EEESV_SW_SX_S14_S18_S1A_T6_T7_T9_mT8_S1C_bDpT10_ENKUlT_T0_E_clISt17integral_constantIbLb1EES1O_IbLb0EEEEDaS1K_S1L_EUlS1K_E_NS1_11comp_targetILNS1_3genE2ELNS1_11target_archE906ELNS1_3gpuE6ELNS1_3repE0EEENS1_30default_config_static_selectorELNS0_4arch9wavefront6targetE0EEEvSY_,@function
_ZN7rocprim17ROCPRIM_400000_NS6detail17trampoline_kernelINS0_13select_configILj256ELj13ELNS0_17block_load_methodE3ELS4_3ELS4_3ELNS0_20block_scan_algorithmE0ELj4294967295EEENS1_25partition_config_selectorILNS1_17partition_subalgoE3EjNS0_10empty_typeEbEEZZNS1_14partition_implILS8_3ELb0ES6_jNS0_17counting_iteratorIjlEEPS9_SE_NS0_5tupleIJPjSE_EEENSF_IJSE_SE_EEES9_SG_JZNS1_25segmented_radix_sort_implINS0_14default_configELb1EPKdPdPKlPlN2at6native12_GLOBAL__N_18offset_tEEE10hipError_tPvRmT1_PNSt15iterator_traitsISY_E10value_typeET2_T3_PNSZ_IS14_E10value_typeET4_jRbjT5_S1A_jjP12ihipStream_tbEUljE_EEESV_SW_SX_S14_S18_S1A_T6_T7_T9_mT8_S1C_bDpT10_ENKUlT_T0_E_clISt17integral_constantIbLb1EES1O_IbLb0EEEEDaS1K_S1L_EUlS1K_E_NS1_11comp_targetILNS1_3genE2ELNS1_11target_archE906ELNS1_3gpuE6ELNS1_3repE0EEENS1_30default_config_static_selectorELNS0_4arch9wavefront6targetE0EEEvSY_: ; @_ZN7rocprim17ROCPRIM_400000_NS6detail17trampoline_kernelINS0_13select_configILj256ELj13ELNS0_17block_load_methodE3ELS4_3ELS4_3ELNS0_20block_scan_algorithmE0ELj4294967295EEENS1_25partition_config_selectorILNS1_17partition_subalgoE3EjNS0_10empty_typeEbEEZZNS1_14partition_implILS8_3ELb0ES6_jNS0_17counting_iteratorIjlEEPS9_SE_NS0_5tupleIJPjSE_EEENSF_IJSE_SE_EEES9_SG_JZNS1_25segmented_radix_sort_implINS0_14default_configELb1EPKdPdPKlPlN2at6native12_GLOBAL__N_18offset_tEEE10hipError_tPvRmT1_PNSt15iterator_traitsISY_E10value_typeET2_T3_PNSZ_IS14_E10value_typeET4_jRbjT5_S1A_jjP12ihipStream_tbEUljE_EEESV_SW_SX_S14_S18_S1A_T6_T7_T9_mT8_S1C_bDpT10_ENKUlT_T0_E_clISt17integral_constantIbLb1EES1O_IbLb0EEEEDaS1K_S1L_EUlS1K_E_NS1_11comp_targetILNS1_3genE2ELNS1_11target_archE906ELNS1_3gpuE6ELNS1_3repE0EEENS1_30default_config_static_selectorELNS0_4arch9wavefront6targetE0EEEvSY_
; %bb.0:
	.section	.rodata,"a",@progbits
	.p2align	6, 0x0
	.amdhsa_kernel _ZN7rocprim17ROCPRIM_400000_NS6detail17trampoline_kernelINS0_13select_configILj256ELj13ELNS0_17block_load_methodE3ELS4_3ELS4_3ELNS0_20block_scan_algorithmE0ELj4294967295EEENS1_25partition_config_selectorILNS1_17partition_subalgoE3EjNS0_10empty_typeEbEEZZNS1_14partition_implILS8_3ELb0ES6_jNS0_17counting_iteratorIjlEEPS9_SE_NS0_5tupleIJPjSE_EEENSF_IJSE_SE_EEES9_SG_JZNS1_25segmented_radix_sort_implINS0_14default_configELb1EPKdPdPKlPlN2at6native12_GLOBAL__N_18offset_tEEE10hipError_tPvRmT1_PNSt15iterator_traitsISY_E10value_typeET2_T3_PNSZ_IS14_E10value_typeET4_jRbjT5_S1A_jjP12ihipStream_tbEUljE_EEESV_SW_SX_S14_S18_S1A_T6_T7_T9_mT8_S1C_bDpT10_ENKUlT_T0_E_clISt17integral_constantIbLb1EES1O_IbLb0EEEEDaS1K_S1L_EUlS1K_E_NS1_11comp_targetILNS1_3genE2ELNS1_11target_archE906ELNS1_3gpuE6ELNS1_3repE0EEENS1_30default_config_static_selectorELNS0_4arch9wavefront6targetE0EEEvSY_
		.amdhsa_group_segment_fixed_size 0
		.amdhsa_private_segment_fixed_size 0
		.amdhsa_kernarg_size 144
		.amdhsa_user_sgpr_count 15
		.amdhsa_user_sgpr_dispatch_ptr 0
		.amdhsa_user_sgpr_queue_ptr 0
		.amdhsa_user_sgpr_kernarg_segment_ptr 1
		.amdhsa_user_sgpr_dispatch_id 0
		.amdhsa_user_sgpr_private_segment_size 0
		.amdhsa_wavefront_size32 1
		.amdhsa_uses_dynamic_stack 0
		.amdhsa_enable_private_segment 0
		.amdhsa_system_sgpr_workgroup_id_x 1
		.amdhsa_system_sgpr_workgroup_id_y 0
		.amdhsa_system_sgpr_workgroup_id_z 0
		.amdhsa_system_sgpr_workgroup_info 0
		.amdhsa_system_vgpr_workitem_id 0
		.amdhsa_next_free_vgpr 1
		.amdhsa_next_free_sgpr 1
		.amdhsa_reserve_vcc 0
		.amdhsa_float_round_mode_32 0
		.amdhsa_float_round_mode_16_64 0
		.amdhsa_float_denorm_mode_32 3
		.amdhsa_float_denorm_mode_16_64 3
		.amdhsa_dx10_clamp 1
		.amdhsa_ieee_mode 1
		.amdhsa_fp16_overflow 0
		.amdhsa_workgroup_processor_mode 1
		.amdhsa_memory_ordered 1
		.amdhsa_forward_progress 0
		.amdhsa_shared_vgpr_count 0
		.amdhsa_exception_fp_ieee_invalid_op 0
		.amdhsa_exception_fp_denorm_src 0
		.amdhsa_exception_fp_ieee_div_zero 0
		.amdhsa_exception_fp_ieee_overflow 0
		.amdhsa_exception_fp_ieee_underflow 0
		.amdhsa_exception_fp_ieee_inexact 0
		.amdhsa_exception_int_div_zero 0
	.end_amdhsa_kernel
	.section	.text._ZN7rocprim17ROCPRIM_400000_NS6detail17trampoline_kernelINS0_13select_configILj256ELj13ELNS0_17block_load_methodE3ELS4_3ELS4_3ELNS0_20block_scan_algorithmE0ELj4294967295EEENS1_25partition_config_selectorILNS1_17partition_subalgoE3EjNS0_10empty_typeEbEEZZNS1_14partition_implILS8_3ELb0ES6_jNS0_17counting_iteratorIjlEEPS9_SE_NS0_5tupleIJPjSE_EEENSF_IJSE_SE_EEES9_SG_JZNS1_25segmented_radix_sort_implINS0_14default_configELb1EPKdPdPKlPlN2at6native12_GLOBAL__N_18offset_tEEE10hipError_tPvRmT1_PNSt15iterator_traitsISY_E10value_typeET2_T3_PNSZ_IS14_E10value_typeET4_jRbjT5_S1A_jjP12ihipStream_tbEUljE_EEESV_SW_SX_S14_S18_S1A_T6_T7_T9_mT8_S1C_bDpT10_ENKUlT_T0_E_clISt17integral_constantIbLb1EES1O_IbLb0EEEEDaS1K_S1L_EUlS1K_E_NS1_11comp_targetILNS1_3genE2ELNS1_11target_archE906ELNS1_3gpuE6ELNS1_3repE0EEENS1_30default_config_static_selectorELNS0_4arch9wavefront6targetE0EEEvSY_,"axG",@progbits,_ZN7rocprim17ROCPRIM_400000_NS6detail17trampoline_kernelINS0_13select_configILj256ELj13ELNS0_17block_load_methodE3ELS4_3ELS4_3ELNS0_20block_scan_algorithmE0ELj4294967295EEENS1_25partition_config_selectorILNS1_17partition_subalgoE3EjNS0_10empty_typeEbEEZZNS1_14partition_implILS8_3ELb0ES6_jNS0_17counting_iteratorIjlEEPS9_SE_NS0_5tupleIJPjSE_EEENSF_IJSE_SE_EEES9_SG_JZNS1_25segmented_radix_sort_implINS0_14default_configELb1EPKdPdPKlPlN2at6native12_GLOBAL__N_18offset_tEEE10hipError_tPvRmT1_PNSt15iterator_traitsISY_E10value_typeET2_T3_PNSZ_IS14_E10value_typeET4_jRbjT5_S1A_jjP12ihipStream_tbEUljE_EEESV_SW_SX_S14_S18_S1A_T6_T7_T9_mT8_S1C_bDpT10_ENKUlT_T0_E_clISt17integral_constantIbLb1EES1O_IbLb0EEEEDaS1K_S1L_EUlS1K_E_NS1_11comp_targetILNS1_3genE2ELNS1_11target_archE906ELNS1_3gpuE6ELNS1_3repE0EEENS1_30default_config_static_selectorELNS0_4arch9wavefront6targetE0EEEvSY_,comdat
.Lfunc_end1106:
	.size	_ZN7rocprim17ROCPRIM_400000_NS6detail17trampoline_kernelINS0_13select_configILj256ELj13ELNS0_17block_load_methodE3ELS4_3ELS4_3ELNS0_20block_scan_algorithmE0ELj4294967295EEENS1_25partition_config_selectorILNS1_17partition_subalgoE3EjNS0_10empty_typeEbEEZZNS1_14partition_implILS8_3ELb0ES6_jNS0_17counting_iteratorIjlEEPS9_SE_NS0_5tupleIJPjSE_EEENSF_IJSE_SE_EEES9_SG_JZNS1_25segmented_radix_sort_implINS0_14default_configELb1EPKdPdPKlPlN2at6native12_GLOBAL__N_18offset_tEEE10hipError_tPvRmT1_PNSt15iterator_traitsISY_E10value_typeET2_T3_PNSZ_IS14_E10value_typeET4_jRbjT5_S1A_jjP12ihipStream_tbEUljE_EEESV_SW_SX_S14_S18_S1A_T6_T7_T9_mT8_S1C_bDpT10_ENKUlT_T0_E_clISt17integral_constantIbLb1EES1O_IbLb0EEEEDaS1K_S1L_EUlS1K_E_NS1_11comp_targetILNS1_3genE2ELNS1_11target_archE906ELNS1_3gpuE6ELNS1_3repE0EEENS1_30default_config_static_selectorELNS0_4arch9wavefront6targetE0EEEvSY_, .Lfunc_end1106-_ZN7rocprim17ROCPRIM_400000_NS6detail17trampoline_kernelINS0_13select_configILj256ELj13ELNS0_17block_load_methodE3ELS4_3ELS4_3ELNS0_20block_scan_algorithmE0ELj4294967295EEENS1_25partition_config_selectorILNS1_17partition_subalgoE3EjNS0_10empty_typeEbEEZZNS1_14partition_implILS8_3ELb0ES6_jNS0_17counting_iteratorIjlEEPS9_SE_NS0_5tupleIJPjSE_EEENSF_IJSE_SE_EEES9_SG_JZNS1_25segmented_radix_sort_implINS0_14default_configELb1EPKdPdPKlPlN2at6native12_GLOBAL__N_18offset_tEEE10hipError_tPvRmT1_PNSt15iterator_traitsISY_E10value_typeET2_T3_PNSZ_IS14_E10value_typeET4_jRbjT5_S1A_jjP12ihipStream_tbEUljE_EEESV_SW_SX_S14_S18_S1A_T6_T7_T9_mT8_S1C_bDpT10_ENKUlT_T0_E_clISt17integral_constantIbLb1EES1O_IbLb0EEEEDaS1K_S1L_EUlS1K_E_NS1_11comp_targetILNS1_3genE2ELNS1_11target_archE906ELNS1_3gpuE6ELNS1_3repE0EEENS1_30default_config_static_selectorELNS0_4arch9wavefront6targetE0EEEvSY_
                                        ; -- End function
	.section	.AMDGPU.csdata,"",@progbits
; Kernel info:
; codeLenInByte = 0
; NumSgprs: 0
; NumVgprs: 0
; ScratchSize: 0
; MemoryBound: 0
; FloatMode: 240
; IeeeMode: 1
; LDSByteSize: 0 bytes/workgroup (compile time only)
; SGPRBlocks: 0
; VGPRBlocks: 0
; NumSGPRsForWavesPerEU: 1
; NumVGPRsForWavesPerEU: 1
; Occupancy: 16
; WaveLimiterHint : 0
; COMPUTE_PGM_RSRC2:SCRATCH_EN: 0
; COMPUTE_PGM_RSRC2:USER_SGPR: 15
; COMPUTE_PGM_RSRC2:TRAP_HANDLER: 0
; COMPUTE_PGM_RSRC2:TGID_X_EN: 1
; COMPUTE_PGM_RSRC2:TGID_Y_EN: 0
; COMPUTE_PGM_RSRC2:TGID_Z_EN: 0
; COMPUTE_PGM_RSRC2:TIDIG_COMP_CNT: 0
	.section	.text._ZN7rocprim17ROCPRIM_400000_NS6detail17trampoline_kernelINS0_13select_configILj256ELj13ELNS0_17block_load_methodE3ELS4_3ELS4_3ELNS0_20block_scan_algorithmE0ELj4294967295EEENS1_25partition_config_selectorILNS1_17partition_subalgoE3EjNS0_10empty_typeEbEEZZNS1_14partition_implILS8_3ELb0ES6_jNS0_17counting_iteratorIjlEEPS9_SE_NS0_5tupleIJPjSE_EEENSF_IJSE_SE_EEES9_SG_JZNS1_25segmented_radix_sort_implINS0_14default_configELb1EPKdPdPKlPlN2at6native12_GLOBAL__N_18offset_tEEE10hipError_tPvRmT1_PNSt15iterator_traitsISY_E10value_typeET2_T3_PNSZ_IS14_E10value_typeET4_jRbjT5_S1A_jjP12ihipStream_tbEUljE_EEESV_SW_SX_S14_S18_S1A_T6_T7_T9_mT8_S1C_bDpT10_ENKUlT_T0_E_clISt17integral_constantIbLb1EES1O_IbLb0EEEEDaS1K_S1L_EUlS1K_E_NS1_11comp_targetILNS1_3genE10ELNS1_11target_archE1200ELNS1_3gpuE4ELNS1_3repE0EEENS1_30default_config_static_selectorELNS0_4arch9wavefront6targetE0EEEvSY_,"axG",@progbits,_ZN7rocprim17ROCPRIM_400000_NS6detail17trampoline_kernelINS0_13select_configILj256ELj13ELNS0_17block_load_methodE3ELS4_3ELS4_3ELNS0_20block_scan_algorithmE0ELj4294967295EEENS1_25partition_config_selectorILNS1_17partition_subalgoE3EjNS0_10empty_typeEbEEZZNS1_14partition_implILS8_3ELb0ES6_jNS0_17counting_iteratorIjlEEPS9_SE_NS0_5tupleIJPjSE_EEENSF_IJSE_SE_EEES9_SG_JZNS1_25segmented_radix_sort_implINS0_14default_configELb1EPKdPdPKlPlN2at6native12_GLOBAL__N_18offset_tEEE10hipError_tPvRmT1_PNSt15iterator_traitsISY_E10value_typeET2_T3_PNSZ_IS14_E10value_typeET4_jRbjT5_S1A_jjP12ihipStream_tbEUljE_EEESV_SW_SX_S14_S18_S1A_T6_T7_T9_mT8_S1C_bDpT10_ENKUlT_T0_E_clISt17integral_constantIbLb1EES1O_IbLb0EEEEDaS1K_S1L_EUlS1K_E_NS1_11comp_targetILNS1_3genE10ELNS1_11target_archE1200ELNS1_3gpuE4ELNS1_3repE0EEENS1_30default_config_static_selectorELNS0_4arch9wavefront6targetE0EEEvSY_,comdat
	.globl	_ZN7rocprim17ROCPRIM_400000_NS6detail17trampoline_kernelINS0_13select_configILj256ELj13ELNS0_17block_load_methodE3ELS4_3ELS4_3ELNS0_20block_scan_algorithmE0ELj4294967295EEENS1_25partition_config_selectorILNS1_17partition_subalgoE3EjNS0_10empty_typeEbEEZZNS1_14partition_implILS8_3ELb0ES6_jNS0_17counting_iteratorIjlEEPS9_SE_NS0_5tupleIJPjSE_EEENSF_IJSE_SE_EEES9_SG_JZNS1_25segmented_radix_sort_implINS0_14default_configELb1EPKdPdPKlPlN2at6native12_GLOBAL__N_18offset_tEEE10hipError_tPvRmT1_PNSt15iterator_traitsISY_E10value_typeET2_T3_PNSZ_IS14_E10value_typeET4_jRbjT5_S1A_jjP12ihipStream_tbEUljE_EEESV_SW_SX_S14_S18_S1A_T6_T7_T9_mT8_S1C_bDpT10_ENKUlT_T0_E_clISt17integral_constantIbLb1EES1O_IbLb0EEEEDaS1K_S1L_EUlS1K_E_NS1_11comp_targetILNS1_3genE10ELNS1_11target_archE1200ELNS1_3gpuE4ELNS1_3repE0EEENS1_30default_config_static_selectorELNS0_4arch9wavefront6targetE0EEEvSY_ ; -- Begin function _ZN7rocprim17ROCPRIM_400000_NS6detail17trampoline_kernelINS0_13select_configILj256ELj13ELNS0_17block_load_methodE3ELS4_3ELS4_3ELNS0_20block_scan_algorithmE0ELj4294967295EEENS1_25partition_config_selectorILNS1_17partition_subalgoE3EjNS0_10empty_typeEbEEZZNS1_14partition_implILS8_3ELb0ES6_jNS0_17counting_iteratorIjlEEPS9_SE_NS0_5tupleIJPjSE_EEENSF_IJSE_SE_EEES9_SG_JZNS1_25segmented_radix_sort_implINS0_14default_configELb1EPKdPdPKlPlN2at6native12_GLOBAL__N_18offset_tEEE10hipError_tPvRmT1_PNSt15iterator_traitsISY_E10value_typeET2_T3_PNSZ_IS14_E10value_typeET4_jRbjT5_S1A_jjP12ihipStream_tbEUljE_EEESV_SW_SX_S14_S18_S1A_T6_T7_T9_mT8_S1C_bDpT10_ENKUlT_T0_E_clISt17integral_constantIbLb1EES1O_IbLb0EEEEDaS1K_S1L_EUlS1K_E_NS1_11comp_targetILNS1_3genE10ELNS1_11target_archE1200ELNS1_3gpuE4ELNS1_3repE0EEENS1_30default_config_static_selectorELNS0_4arch9wavefront6targetE0EEEvSY_
	.p2align	8
	.type	_ZN7rocprim17ROCPRIM_400000_NS6detail17trampoline_kernelINS0_13select_configILj256ELj13ELNS0_17block_load_methodE3ELS4_3ELS4_3ELNS0_20block_scan_algorithmE0ELj4294967295EEENS1_25partition_config_selectorILNS1_17partition_subalgoE3EjNS0_10empty_typeEbEEZZNS1_14partition_implILS8_3ELb0ES6_jNS0_17counting_iteratorIjlEEPS9_SE_NS0_5tupleIJPjSE_EEENSF_IJSE_SE_EEES9_SG_JZNS1_25segmented_radix_sort_implINS0_14default_configELb1EPKdPdPKlPlN2at6native12_GLOBAL__N_18offset_tEEE10hipError_tPvRmT1_PNSt15iterator_traitsISY_E10value_typeET2_T3_PNSZ_IS14_E10value_typeET4_jRbjT5_S1A_jjP12ihipStream_tbEUljE_EEESV_SW_SX_S14_S18_S1A_T6_T7_T9_mT8_S1C_bDpT10_ENKUlT_T0_E_clISt17integral_constantIbLb1EES1O_IbLb0EEEEDaS1K_S1L_EUlS1K_E_NS1_11comp_targetILNS1_3genE10ELNS1_11target_archE1200ELNS1_3gpuE4ELNS1_3repE0EEENS1_30default_config_static_selectorELNS0_4arch9wavefront6targetE0EEEvSY_,@function
_ZN7rocprim17ROCPRIM_400000_NS6detail17trampoline_kernelINS0_13select_configILj256ELj13ELNS0_17block_load_methodE3ELS4_3ELS4_3ELNS0_20block_scan_algorithmE0ELj4294967295EEENS1_25partition_config_selectorILNS1_17partition_subalgoE3EjNS0_10empty_typeEbEEZZNS1_14partition_implILS8_3ELb0ES6_jNS0_17counting_iteratorIjlEEPS9_SE_NS0_5tupleIJPjSE_EEENSF_IJSE_SE_EEES9_SG_JZNS1_25segmented_radix_sort_implINS0_14default_configELb1EPKdPdPKlPlN2at6native12_GLOBAL__N_18offset_tEEE10hipError_tPvRmT1_PNSt15iterator_traitsISY_E10value_typeET2_T3_PNSZ_IS14_E10value_typeET4_jRbjT5_S1A_jjP12ihipStream_tbEUljE_EEESV_SW_SX_S14_S18_S1A_T6_T7_T9_mT8_S1C_bDpT10_ENKUlT_T0_E_clISt17integral_constantIbLb1EES1O_IbLb0EEEEDaS1K_S1L_EUlS1K_E_NS1_11comp_targetILNS1_3genE10ELNS1_11target_archE1200ELNS1_3gpuE4ELNS1_3repE0EEENS1_30default_config_static_selectorELNS0_4arch9wavefront6targetE0EEEvSY_: ; @_ZN7rocprim17ROCPRIM_400000_NS6detail17trampoline_kernelINS0_13select_configILj256ELj13ELNS0_17block_load_methodE3ELS4_3ELS4_3ELNS0_20block_scan_algorithmE0ELj4294967295EEENS1_25partition_config_selectorILNS1_17partition_subalgoE3EjNS0_10empty_typeEbEEZZNS1_14partition_implILS8_3ELb0ES6_jNS0_17counting_iteratorIjlEEPS9_SE_NS0_5tupleIJPjSE_EEENSF_IJSE_SE_EEES9_SG_JZNS1_25segmented_radix_sort_implINS0_14default_configELb1EPKdPdPKlPlN2at6native12_GLOBAL__N_18offset_tEEE10hipError_tPvRmT1_PNSt15iterator_traitsISY_E10value_typeET2_T3_PNSZ_IS14_E10value_typeET4_jRbjT5_S1A_jjP12ihipStream_tbEUljE_EEESV_SW_SX_S14_S18_S1A_T6_T7_T9_mT8_S1C_bDpT10_ENKUlT_T0_E_clISt17integral_constantIbLb1EES1O_IbLb0EEEEDaS1K_S1L_EUlS1K_E_NS1_11comp_targetILNS1_3genE10ELNS1_11target_archE1200ELNS1_3gpuE4ELNS1_3repE0EEENS1_30default_config_static_selectorELNS0_4arch9wavefront6targetE0EEEvSY_
; %bb.0:
	.section	.rodata,"a",@progbits
	.p2align	6, 0x0
	.amdhsa_kernel _ZN7rocprim17ROCPRIM_400000_NS6detail17trampoline_kernelINS0_13select_configILj256ELj13ELNS0_17block_load_methodE3ELS4_3ELS4_3ELNS0_20block_scan_algorithmE0ELj4294967295EEENS1_25partition_config_selectorILNS1_17partition_subalgoE3EjNS0_10empty_typeEbEEZZNS1_14partition_implILS8_3ELb0ES6_jNS0_17counting_iteratorIjlEEPS9_SE_NS0_5tupleIJPjSE_EEENSF_IJSE_SE_EEES9_SG_JZNS1_25segmented_radix_sort_implINS0_14default_configELb1EPKdPdPKlPlN2at6native12_GLOBAL__N_18offset_tEEE10hipError_tPvRmT1_PNSt15iterator_traitsISY_E10value_typeET2_T3_PNSZ_IS14_E10value_typeET4_jRbjT5_S1A_jjP12ihipStream_tbEUljE_EEESV_SW_SX_S14_S18_S1A_T6_T7_T9_mT8_S1C_bDpT10_ENKUlT_T0_E_clISt17integral_constantIbLb1EES1O_IbLb0EEEEDaS1K_S1L_EUlS1K_E_NS1_11comp_targetILNS1_3genE10ELNS1_11target_archE1200ELNS1_3gpuE4ELNS1_3repE0EEENS1_30default_config_static_selectorELNS0_4arch9wavefront6targetE0EEEvSY_
		.amdhsa_group_segment_fixed_size 0
		.amdhsa_private_segment_fixed_size 0
		.amdhsa_kernarg_size 144
		.amdhsa_user_sgpr_count 15
		.amdhsa_user_sgpr_dispatch_ptr 0
		.amdhsa_user_sgpr_queue_ptr 0
		.amdhsa_user_sgpr_kernarg_segment_ptr 1
		.amdhsa_user_sgpr_dispatch_id 0
		.amdhsa_user_sgpr_private_segment_size 0
		.amdhsa_wavefront_size32 1
		.amdhsa_uses_dynamic_stack 0
		.amdhsa_enable_private_segment 0
		.amdhsa_system_sgpr_workgroup_id_x 1
		.amdhsa_system_sgpr_workgroup_id_y 0
		.amdhsa_system_sgpr_workgroup_id_z 0
		.amdhsa_system_sgpr_workgroup_info 0
		.amdhsa_system_vgpr_workitem_id 0
		.amdhsa_next_free_vgpr 1
		.amdhsa_next_free_sgpr 1
		.amdhsa_reserve_vcc 0
		.amdhsa_float_round_mode_32 0
		.amdhsa_float_round_mode_16_64 0
		.amdhsa_float_denorm_mode_32 3
		.amdhsa_float_denorm_mode_16_64 3
		.amdhsa_dx10_clamp 1
		.amdhsa_ieee_mode 1
		.amdhsa_fp16_overflow 0
		.amdhsa_workgroup_processor_mode 1
		.amdhsa_memory_ordered 1
		.amdhsa_forward_progress 0
		.amdhsa_shared_vgpr_count 0
		.amdhsa_exception_fp_ieee_invalid_op 0
		.amdhsa_exception_fp_denorm_src 0
		.amdhsa_exception_fp_ieee_div_zero 0
		.amdhsa_exception_fp_ieee_overflow 0
		.amdhsa_exception_fp_ieee_underflow 0
		.amdhsa_exception_fp_ieee_inexact 0
		.amdhsa_exception_int_div_zero 0
	.end_amdhsa_kernel
	.section	.text._ZN7rocprim17ROCPRIM_400000_NS6detail17trampoline_kernelINS0_13select_configILj256ELj13ELNS0_17block_load_methodE3ELS4_3ELS4_3ELNS0_20block_scan_algorithmE0ELj4294967295EEENS1_25partition_config_selectorILNS1_17partition_subalgoE3EjNS0_10empty_typeEbEEZZNS1_14partition_implILS8_3ELb0ES6_jNS0_17counting_iteratorIjlEEPS9_SE_NS0_5tupleIJPjSE_EEENSF_IJSE_SE_EEES9_SG_JZNS1_25segmented_radix_sort_implINS0_14default_configELb1EPKdPdPKlPlN2at6native12_GLOBAL__N_18offset_tEEE10hipError_tPvRmT1_PNSt15iterator_traitsISY_E10value_typeET2_T3_PNSZ_IS14_E10value_typeET4_jRbjT5_S1A_jjP12ihipStream_tbEUljE_EEESV_SW_SX_S14_S18_S1A_T6_T7_T9_mT8_S1C_bDpT10_ENKUlT_T0_E_clISt17integral_constantIbLb1EES1O_IbLb0EEEEDaS1K_S1L_EUlS1K_E_NS1_11comp_targetILNS1_3genE10ELNS1_11target_archE1200ELNS1_3gpuE4ELNS1_3repE0EEENS1_30default_config_static_selectorELNS0_4arch9wavefront6targetE0EEEvSY_,"axG",@progbits,_ZN7rocprim17ROCPRIM_400000_NS6detail17trampoline_kernelINS0_13select_configILj256ELj13ELNS0_17block_load_methodE3ELS4_3ELS4_3ELNS0_20block_scan_algorithmE0ELj4294967295EEENS1_25partition_config_selectorILNS1_17partition_subalgoE3EjNS0_10empty_typeEbEEZZNS1_14partition_implILS8_3ELb0ES6_jNS0_17counting_iteratorIjlEEPS9_SE_NS0_5tupleIJPjSE_EEENSF_IJSE_SE_EEES9_SG_JZNS1_25segmented_radix_sort_implINS0_14default_configELb1EPKdPdPKlPlN2at6native12_GLOBAL__N_18offset_tEEE10hipError_tPvRmT1_PNSt15iterator_traitsISY_E10value_typeET2_T3_PNSZ_IS14_E10value_typeET4_jRbjT5_S1A_jjP12ihipStream_tbEUljE_EEESV_SW_SX_S14_S18_S1A_T6_T7_T9_mT8_S1C_bDpT10_ENKUlT_T0_E_clISt17integral_constantIbLb1EES1O_IbLb0EEEEDaS1K_S1L_EUlS1K_E_NS1_11comp_targetILNS1_3genE10ELNS1_11target_archE1200ELNS1_3gpuE4ELNS1_3repE0EEENS1_30default_config_static_selectorELNS0_4arch9wavefront6targetE0EEEvSY_,comdat
.Lfunc_end1107:
	.size	_ZN7rocprim17ROCPRIM_400000_NS6detail17trampoline_kernelINS0_13select_configILj256ELj13ELNS0_17block_load_methodE3ELS4_3ELS4_3ELNS0_20block_scan_algorithmE0ELj4294967295EEENS1_25partition_config_selectorILNS1_17partition_subalgoE3EjNS0_10empty_typeEbEEZZNS1_14partition_implILS8_3ELb0ES6_jNS0_17counting_iteratorIjlEEPS9_SE_NS0_5tupleIJPjSE_EEENSF_IJSE_SE_EEES9_SG_JZNS1_25segmented_radix_sort_implINS0_14default_configELb1EPKdPdPKlPlN2at6native12_GLOBAL__N_18offset_tEEE10hipError_tPvRmT1_PNSt15iterator_traitsISY_E10value_typeET2_T3_PNSZ_IS14_E10value_typeET4_jRbjT5_S1A_jjP12ihipStream_tbEUljE_EEESV_SW_SX_S14_S18_S1A_T6_T7_T9_mT8_S1C_bDpT10_ENKUlT_T0_E_clISt17integral_constantIbLb1EES1O_IbLb0EEEEDaS1K_S1L_EUlS1K_E_NS1_11comp_targetILNS1_3genE10ELNS1_11target_archE1200ELNS1_3gpuE4ELNS1_3repE0EEENS1_30default_config_static_selectorELNS0_4arch9wavefront6targetE0EEEvSY_, .Lfunc_end1107-_ZN7rocprim17ROCPRIM_400000_NS6detail17trampoline_kernelINS0_13select_configILj256ELj13ELNS0_17block_load_methodE3ELS4_3ELS4_3ELNS0_20block_scan_algorithmE0ELj4294967295EEENS1_25partition_config_selectorILNS1_17partition_subalgoE3EjNS0_10empty_typeEbEEZZNS1_14partition_implILS8_3ELb0ES6_jNS0_17counting_iteratorIjlEEPS9_SE_NS0_5tupleIJPjSE_EEENSF_IJSE_SE_EEES9_SG_JZNS1_25segmented_radix_sort_implINS0_14default_configELb1EPKdPdPKlPlN2at6native12_GLOBAL__N_18offset_tEEE10hipError_tPvRmT1_PNSt15iterator_traitsISY_E10value_typeET2_T3_PNSZ_IS14_E10value_typeET4_jRbjT5_S1A_jjP12ihipStream_tbEUljE_EEESV_SW_SX_S14_S18_S1A_T6_T7_T9_mT8_S1C_bDpT10_ENKUlT_T0_E_clISt17integral_constantIbLb1EES1O_IbLb0EEEEDaS1K_S1L_EUlS1K_E_NS1_11comp_targetILNS1_3genE10ELNS1_11target_archE1200ELNS1_3gpuE4ELNS1_3repE0EEENS1_30default_config_static_selectorELNS0_4arch9wavefront6targetE0EEEvSY_
                                        ; -- End function
	.section	.AMDGPU.csdata,"",@progbits
; Kernel info:
; codeLenInByte = 0
; NumSgprs: 0
; NumVgprs: 0
; ScratchSize: 0
; MemoryBound: 0
; FloatMode: 240
; IeeeMode: 1
; LDSByteSize: 0 bytes/workgroup (compile time only)
; SGPRBlocks: 0
; VGPRBlocks: 0
; NumSGPRsForWavesPerEU: 1
; NumVGPRsForWavesPerEU: 1
; Occupancy: 16
; WaveLimiterHint : 0
; COMPUTE_PGM_RSRC2:SCRATCH_EN: 0
; COMPUTE_PGM_RSRC2:USER_SGPR: 15
; COMPUTE_PGM_RSRC2:TRAP_HANDLER: 0
; COMPUTE_PGM_RSRC2:TGID_X_EN: 1
; COMPUTE_PGM_RSRC2:TGID_Y_EN: 0
; COMPUTE_PGM_RSRC2:TGID_Z_EN: 0
; COMPUTE_PGM_RSRC2:TIDIG_COMP_CNT: 0
	.section	.text._ZN7rocprim17ROCPRIM_400000_NS6detail17trampoline_kernelINS0_13select_configILj256ELj13ELNS0_17block_load_methodE3ELS4_3ELS4_3ELNS0_20block_scan_algorithmE0ELj4294967295EEENS1_25partition_config_selectorILNS1_17partition_subalgoE3EjNS0_10empty_typeEbEEZZNS1_14partition_implILS8_3ELb0ES6_jNS0_17counting_iteratorIjlEEPS9_SE_NS0_5tupleIJPjSE_EEENSF_IJSE_SE_EEES9_SG_JZNS1_25segmented_radix_sort_implINS0_14default_configELb1EPKdPdPKlPlN2at6native12_GLOBAL__N_18offset_tEEE10hipError_tPvRmT1_PNSt15iterator_traitsISY_E10value_typeET2_T3_PNSZ_IS14_E10value_typeET4_jRbjT5_S1A_jjP12ihipStream_tbEUljE_EEESV_SW_SX_S14_S18_S1A_T6_T7_T9_mT8_S1C_bDpT10_ENKUlT_T0_E_clISt17integral_constantIbLb1EES1O_IbLb0EEEEDaS1K_S1L_EUlS1K_E_NS1_11comp_targetILNS1_3genE9ELNS1_11target_archE1100ELNS1_3gpuE3ELNS1_3repE0EEENS1_30default_config_static_selectorELNS0_4arch9wavefront6targetE0EEEvSY_,"axG",@progbits,_ZN7rocprim17ROCPRIM_400000_NS6detail17trampoline_kernelINS0_13select_configILj256ELj13ELNS0_17block_load_methodE3ELS4_3ELS4_3ELNS0_20block_scan_algorithmE0ELj4294967295EEENS1_25partition_config_selectorILNS1_17partition_subalgoE3EjNS0_10empty_typeEbEEZZNS1_14partition_implILS8_3ELb0ES6_jNS0_17counting_iteratorIjlEEPS9_SE_NS0_5tupleIJPjSE_EEENSF_IJSE_SE_EEES9_SG_JZNS1_25segmented_radix_sort_implINS0_14default_configELb1EPKdPdPKlPlN2at6native12_GLOBAL__N_18offset_tEEE10hipError_tPvRmT1_PNSt15iterator_traitsISY_E10value_typeET2_T3_PNSZ_IS14_E10value_typeET4_jRbjT5_S1A_jjP12ihipStream_tbEUljE_EEESV_SW_SX_S14_S18_S1A_T6_T7_T9_mT8_S1C_bDpT10_ENKUlT_T0_E_clISt17integral_constantIbLb1EES1O_IbLb0EEEEDaS1K_S1L_EUlS1K_E_NS1_11comp_targetILNS1_3genE9ELNS1_11target_archE1100ELNS1_3gpuE3ELNS1_3repE0EEENS1_30default_config_static_selectorELNS0_4arch9wavefront6targetE0EEEvSY_,comdat
	.globl	_ZN7rocprim17ROCPRIM_400000_NS6detail17trampoline_kernelINS0_13select_configILj256ELj13ELNS0_17block_load_methodE3ELS4_3ELS4_3ELNS0_20block_scan_algorithmE0ELj4294967295EEENS1_25partition_config_selectorILNS1_17partition_subalgoE3EjNS0_10empty_typeEbEEZZNS1_14partition_implILS8_3ELb0ES6_jNS0_17counting_iteratorIjlEEPS9_SE_NS0_5tupleIJPjSE_EEENSF_IJSE_SE_EEES9_SG_JZNS1_25segmented_radix_sort_implINS0_14default_configELb1EPKdPdPKlPlN2at6native12_GLOBAL__N_18offset_tEEE10hipError_tPvRmT1_PNSt15iterator_traitsISY_E10value_typeET2_T3_PNSZ_IS14_E10value_typeET4_jRbjT5_S1A_jjP12ihipStream_tbEUljE_EEESV_SW_SX_S14_S18_S1A_T6_T7_T9_mT8_S1C_bDpT10_ENKUlT_T0_E_clISt17integral_constantIbLb1EES1O_IbLb0EEEEDaS1K_S1L_EUlS1K_E_NS1_11comp_targetILNS1_3genE9ELNS1_11target_archE1100ELNS1_3gpuE3ELNS1_3repE0EEENS1_30default_config_static_selectorELNS0_4arch9wavefront6targetE0EEEvSY_ ; -- Begin function _ZN7rocprim17ROCPRIM_400000_NS6detail17trampoline_kernelINS0_13select_configILj256ELj13ELNS0_17block_load_methodE3ELS4_3ELS4_3ELNS0_20block_scan_algorithmE0ELj4294967295EEENS1_25partition_config_selectorILNS1_17partition_subalgoE3EjNS0_10empty_typeEbEEZZNS1_14partition_implILS8_3ELb0ES6_jNS0_17counting_iteratorIjlEEPS9_SE_NS0_5tupleIJPjSE_EEENSF_IJSE_SE_EEES9_SG_JZNS1_25segmented_radix_sort_implINS0_14default_configELb1EPKdPdPKlPlN2at6native12_GLOBAL__N_18offset_tEEE10hipError_tPvRmT1_PNSt15iterator_traitsISY_E10value_typeET2_T3_PNSZ_IS14_E10value_typeET4_jRbjT5_S1A_jjP12ihipStream_tbEUljE_EEESV_SW_SX_S14_S18_S1A_T6_T7_T9_mT8_S1C_bDpT10_ENKUlT_T0_E_clISt17integral_constantIbLb1EES1O_IbLb0EEEEDaS1K_S1L_EUlS1K_E_NS1_11comp_targetILNS1_3genE9ELNS1_11target_archE1100ELNS1_3gpuE3ELNS1_3repE0EEENS1_30default_config_static_selectorELNS0_4arch9wavefront6targetE0EEEvSY_
	.p2align	8
	.type	_ZN7rocprim17ROCPRIM_400000_NS6detail17trampoline_kernelINS0_13select_configILj256ELj13ELNS0_17block_load_methodE3ELS4_3ELS4_3ELNS0_20block_scan_algorithmE0ELj4294967295EEENS1_25partition_config_selectorILNS1_17partition_subalgoE3EjNS0_10empty_typeEbEEZZNS1_14partition_implILS8_3ELb0ES6_jNS0_17counting_iteratorIjlEEPS9_SE_NS0_5tupleIJPjSE_EEENSF_IJSE_SE_EEES9_SG_JZNS1_25segmented_radix_sort_implINS0_14default_configELb1EPKdPdPKlPlN2at6native12_GLOBAL__N_18offset_tEEE10hipError_tPvRmT1_PNSt15iterator_traitsISY_E10value_typeET2_T3_PNSZ_IS14_E10value_typeET4_jRbjT5_S1A_jjP12ihipStream_tbEUljE_EEESV_SW_SX_S14_S18_S1A_T6_T7_T9_mT8_S1C_bDpT10_ENKUlT_T0_E_clISt17integral_constantIbLb1EES1O_IbLb0EEEEDaS1K_S1L_EUlS1K_E_NS1_11comp_targetILNS1_3genE9ELNS1_11target_archE1100ELNS1_3gpuE3ELNS1_3repE0EEENS1_30default_config_static_selectorELNS0_4arch9wavefront6targetE0EEEvSY_,@function
_ZN7rocprim17ROCPRIM_400000_NS6detail17trampoline_kernelINS0_13select_configILj256ELj13ELNS0_17block_load_methodE3ELS4_3ELS4_3ELNS0_20block_scan_algorithmE0ELj4294967295EEENS1_25partition_config_selectorILNS1_17partition_subalgoE3EjNS0_10empty_typeEbEEZZNS1_14partition_implILS8_3ELb0ES6_jNS0_17counting_iteratorIjlEEPS9_SE_NS0_5tupleIJPjSE_EEENSF_IJSE_SE_EEES9_SG_JZNS1_25segmented_radix_sort_implINS0_14default_configELb1EPKdPdPKlPlN2at6native12_GLOBAL__N_18offset_tEEE10hipError_tPvRmT1_PNSt15iterator_traitsISY_E10value_typeET2_T3_PNSZ_IS14_E10value_typeET4_jRbjT5_S1A_jjP12ihipStream_tbEUljE_EEESV_SW_SX_S14_S18_S1A_T6_T7_T9_mT8_S1C_bDpT10_ENKUlT_T0_E_clISt17integral_constantIbLb1EES1O_IbLb0EEEEDaS1K_S1L_EUlS1K_E_NS1_11comp_targetILNS1_3genE9ELNS1_11target_archE1100ELNS1_3gpuE3ELNS1_3repE0EEENS1_30default_config_static_selectorELNS0_4arch9wavefront6targetE0EEEvSY_: ; @_ZN7rocprim17ROCPRIM_400000_NS6detail17trampoline_kernelINS0_13select_configILj256ELj13ELNS0_17block_load_methodE3ELS4_3ELS4_3ELNS0_20block_scan_algorithmE0ELj4294967295EEENS1_25partition_config_selectorILNS1_17partition_subalgoE3EjNS0_10empty_typeEbEEZZNS1_14partition_implILS8_3ELb0ES6_jNS0_17counting_iteratorIjlEEPS9_SE_NS0_5tupleIJPjSE_EEENSF_IJSE_SE_EEES9_SG_JZNS1_25segmented_radix_sort_implINS0_14default_configELb1EPKdPdPKlPlN2at6native12_GLOBAL__N_18offset_tEEE10hipError_tPvRmT1_PNSt15iterator_traitsISY_E10value_typeET2_T3_PNSZ_IS14_E10value_typeET4_jRbjT5_S1A_jjP12ihipStream_tbEUljE_EEESV_SW_SX_S14_S18_S1A_T6_T7_T9_mT8_S1C_bDpT10_ENKUlT_T0_E_clISt17integral_constantIbLb1EES1O_IbLb0EEEEDaS1K_S1L_EUlS1K_E_NS1_11comp_targetILNS1_3genE9ELNS1_11target_archE1100ELNS1_3gpuE3ELNS1_3repE0EEENS1_30default_config_static_selectorELNS0_4arch9wavefront6targetE0EEEvSY_
; %bb.0:
	s_clause 0x5
	s_load_b32 s2, s[0:1], 0x70
	s_load_b64 s[16:17], s[0:1], 0x10
	s_load_b64 s[12:13], s[0:1], 0x58
	s_load_b32 s18, s[0:1], 0x8
	s_load_b128 s[8:11], s[0:1], 0x48
	s_load_b128 s[4:7], s[0:1], 0x78
	s_mul_i32 s23, s15, 0xd00
	v_lshlrev_b32_e32 v30, 2, v0
	s_waitcnt lgkmcnt(0)
	s_mul_i32 s20, s2, 0xd00
	s_add_i32 s19, s2, -1
	s_add_u32 s2, s16, s20
	s_addc_u32 s3, s17, 0
	s_cmp_eq_u32 s15, s19
	v_cmp_lt_u64_e64 s3, s[2:3], s[12:13]
	s_cselect_b32 s14, -1, 0
	s_cmp_lg_u32 s15, s19
	s_cselect_b32 s21, -1, 0
	s_add_i32 s2, s18, s23
	s_delay_alu instid0(VALU_DEP_1)
	s_or_b32 s3, s21, s3
	s_add_i32 s18, s2, s16
	s_load_b32 s2, s[0:1], 0x88
	v_add_nc_u32_e32 v1, s18, v0
	s_load_b64 s[18:19], s[10:11], 0x0
	s_and_b32 vcc_lo, exec_lo, s3
	s_mov_b32 s10, -1
	s_delay_alu instid0(VALU_DEP_1)
	v_add_nc_u32_e32 v2, 0x100, v1
	v_add_nc_u32_e32 v3, 0x200, v1
	;; [unrolled: 1-line block ×12, first 2 shown]
	s_cbranch_vccz .LBB1108_2
; %bb.1:
	ds_store_2addr_stride64_b32 v30, v1, v2 offset1:4
	ds_store_2addr_stride64_b32 v30, v3, v4 offset0:8 offset1:12
	ds_store_2addr_stride64_b32 v30, v5, v6 offset0:16 offset1:20
	;; [unrolled: 1-line block ×5, first 2 shown]
	ds_store_b32 v30, v13 offset:12288
	s_waitcnt lgkmcnt(0)
	s_mov_b32 s10, 0
	s_barrier
.LBB1108_2:
	s_and_not1_b32 vcc_lo, exec_lo, s10
	s_add_i32 s20, s20, s16
	s_cbranch_vccnz .LBB1108_4
; %bb.3:
	ds_store_2addr_stride64_b32 v30, v1, v2 offset1:4
	ds_store_2addr_stride64_b32 v30, v3, v4 offset0:8 offset1:12
	ds_store_2addr_stride64_b32 v30, v5, v6 offset0:16 offset1:20
	;; [unrolled: 1-line block ×5, first 2 shown]
	ds_store_b32 v30, v13 offset:12288
	s_waitcnt lgkmcnt(0)
	s_barrier
.LBB1108_4:
	v_mul_u32_u24_e32 v33, 13, v0
	s_waitcnt lgkmcnt(0)
	buffer_gl0_inv
	v_cndmask_b32_e64 v31, 0, 1, s3
	s_sub_i32 s22, s12, s20
	s_and_not1_b32 vcc_lo, exec_lo, s3
	v_lshlrev_b32_e32 v1, 2, v33
	ds_load_2addr_b32 v[28:29], v1 offset1:1
	ds_load_2addr_b32 v[26:27], v1 offset0:2 offset1:3
	ds_load_2addr_b32 v[24:25], v1 offset0:4 offset1:5
	;; [unrolled: 1-line block ×5, first 2 shown]
	ds_load_b32 v32, v1 offset:48
	s_waitcnt lgkmcnt(0)
	s_barrier
	buffer_gl0_inv
	s_cbranch_vccnz .LBB1108_6
; %bb.5:
	v_add_nc_u32_e32 v1, s5, v28
	v_add_nc_u32_e32 v2, s7, v28
	;; [unrolled: 1-line block ×5, first 2 shown]
	v_mul_lo_u32 v1, v1, s4
	v_mul_lo_u32 v2, v2, s6
	;; [unrolled: 1-line block ×4, first 2 shown]
	v_add_nc_u32_e32 v6, s7, v26
	v_add_nc_u32_e32 v7, s5, v27
	;; [unrolled: 1-line block ×3, first 2 shown]
	v_mul_lo_u32 v5, v5, s4
	v_add_nc_u32_e32 v9, s5, v22
	v_sub_nc_u32_e32 v1, v1, v2
	v_mul_lo_u32 v2, v6, s6
	v_sub_nc_u32_e32 v3, v3, v4
	v_mul_lo_u32 v4, v7, s4
	v_mul_lo_u32 v6, v8, s6
	v_add_nc_u32_e32 v7, s5, v24
	v_cmp_lt_u32_e32 vcc_lo, s2, v1
	v_add_nc_u32_e32 v8, s5, v25
	v_add_nc_u32_e32 v10, s7, v22
	v_sub_nc_u32_e32 v2, v5, v2
	v_add_nc_u32_e32 v5, s7, v24
	v_cndmask_b32_e64 v1, 0, 1, vcc_lo
	v_sub_nc_u32_e32 v4, v4, v6
	v_mul_lo_u32 v6, v7, s4
	v_add_nc_u32_e32 v7, s7, v25
	v_cmp_lt_u32_e32 vcc_lo, s2, v3
	v_mul_lo_u32 v5, v5, s6
	v_mul_lo_u32 v8, v8, s4
	;; [unrolled: 1-line block ×4, first 2 shown]
	v_cndmask_b32_e64 v3, 0, 1, vcc_lo
	v_cmp_lt_u32_e32 vcc_lo, s2, v2
	v_mul_lo_u32 v10, v10, s6
	v_add_nc_u32_e32 v11, s5, v20
	v_sub_nc_u32_e32 v5, v6, v5
	v_add_nc_u32_e32 v12, s7, v20
	v_cndmask_b32_e64 v2, 0, 1, vcc_lo
	v_sub_nc_u32_e32 v6, v8, v7
	v_add_nc_u32_e32 v7, s5, v23
	v_add_nc_u32_e32 v8, s7, v23
	v_cmp_lt_u32_e32 vcc_lo, s2, v4
	v_sub_nc_u32_e32 v9, v9, v10
	v_mul_lo_u32 v10, v11, s4
	v_mul_lo_u32 v7, v7, s4
	;; [unrolled: 1-line block ×4, first 2 shown]
	v_cndmask_b32_e64 v4, 0, 1, vcc_lo
	v_cmp_lt_u32_e32 vcc_lo, s2, v5
	v_add_nc_u32_e32 v12, s5, v21
	v_add_nc_u32_e32 v13, s7, v18
	;; [unrolled: 1-line block ×4, first 2 shown]
	v_cndmask_b32_e64 v5, 0, 1, vcc_lo
	v_cmp_lt_u32_e32 vcc_lo, s2, v6
	v_sub_nc_u32_e32 v7, v7, v8
	v_sub_nc_u32_e32 v8, v10, v11
	v_add_nc_u32_e32 v11, s7, v21
	v_mul_lo_u32 v10, v12, s4
	v_cndmask_b32_e64 v6, 0, 1, vcc_lo
	v_cmp_lt_u32_e32 vcc_lo, s2, v9
	v_add_nc_u32_e32 v12, s5, v18
	v_mul_lo_u32 v11, v11, s6
	v_mul_lo_u32 v13, v13, s6
	v_mul_lo_u32 v14, v14, s4
	v_cndmask_b32_e64 v9, 0, 1, vcc_lo
	v_cmp_lt_u32_e32 vcc_lo, s2, v7
	v_mul_lo_u32 v12, v12, s4
	v_mul_lo_u32 v15, v15, s6
	v_lshlrev_b16 v3, 8, v3
	v_sub_nc_u32_e32 v10, v10, v11
	v_cndmask_b32_e64 v7, 0, 1, vcc_lo
	v_cmp_lt_u32_e32 vcc_lo, s2, v8
	v_add_nc_u32_e32 v11, s5, v32
	v_or_b32_e32 v1, v1, v3
	v_sub_nc_u32_e32 v12, v12, v13
	v_sub_nc_u32_e32 v13, v14, v15
	v_cndmask_b32_e64 v8, 0, 1, vcc_lo
	v_cmp_lt_u32_e32 vcc_lo, s2, v10
	v_add_nc_u32_e32 v16, s7, v32
	v_mul_lo_u32 v11, v11, s4
	v_lshlrev_b16 v4, 8, v4
	v_lshlrev_b16 v6, 8, v6
	v_cndmask_b32_e64 v10, 0, 1, vcc_lo
	v_cmp_lt_u32_e32 vcc_lo, s2, v12
	v_mul_lo_u32 v14, v16, s6
	v_lshlrev_b16 v7, 8, v7
	v_or_b32_e32 v2, v2, v4
	v_lshlrev_b16 v10, 8, v10
	v_cndmask_b32_e64 v3, 0, 1, vcc_lo
	v_cmp_lt_u32_e32 vcc_lo, s2, v13
	v_or_b32_e32 v4, v5, v6
	v_or_b32_e32 v5, v9, v7
	v_sub_nc_u32_e32 v11, v11, v14
	v_or_b32_e32 v6, v8, v10
	v_cndmask_b32_e64 v12, 0, 1, vcc_lo
	v_and_b32_e32 v1, 0xffff, v1
	v_lshlrev_b32_e32 v2, 16, v2
	v_and_b32_e32 v4, 0xffff, v4
	v_lshlrev_b32_e32 v5, 16, v5
	v_lshlrev_b16 v12, 8, v12
	v_and_b32_e32 v6, 0xffff, v6
	v_cmp_lt_u32_e32 vcc_lo, s2, v11
	v_or_b32_e32 v39, v1, v2
	v_or_b32_e32 v37, v4, v5
	;; [unrolled: 1-line block ×3, first 2 shown]
	s_mov_b32 s3, 0
	v_cndmask_b32_e64 v34, 0, 1, vcc_lo
	s_delay_alu instid0(VALU_DEP_2) | instskip(NEXT) | instid1(VALU_DEP_1)
	v_lshlrev_b32_e32 v3, 16, v3
	v_or_b32_e32 v35, v6, v3
	s_branch .LBB1108_7
.LBB1108_6:
	s_mov_b32 s3, -1
                                        ; implicit-def: $vgpr34
                                        ; implicit-def: $vgpr35
                                        ; implicit-def: $vgpr37
                                        ; implicit-def: $vgpr39
.LBB1108_7:
	s_clause 0x1
	s_load_b64 s[10:11], s[0:1], 0x28
	s_load_b64 s[20:21], s[0:1], 0x68
	s_and_not1_b32 vcc_lo, exec_lo, s3
	s_addk_i32 s22, 0xd00
	s_cbranch_vccnz .LBB1108_35
; %bb.8:
	v_dual_mov_b32 v2, 0 :: v_dual_mov_b32 v1, 0
	s_mov_b32 s0, exec_lo
	v_cmpx_gt_u32_e64 s22, v33
; %bb.9:
	v_add_nc_u32_e32 v1, s5, v28
	v_add_nc_u32_e32 v3, s7, v28
	s_delay_alu instid0(VALU_DEP_2) | instskip(NEXT) | instid1(VALU_DEP_2)
	v_mul_lo_u32 v1, v1, s4
	v_mul_lo_u32 v3, v3, s6
	s_delay_alu instid0(VALU_DEP_1) | instskip(NEXT) | instid1(VALU_DEP_1)
	v_sub_nc_u32_e32 v1, v1, v3
	v_cmp_lt_u32_e32 vcc_lo, s2, v1
	v_cndmask_b32_e64 v1, 0, 1, vcc_lo
; %bb.10:
	s_or_b32 exec_lo, exec_lo, s0
	v_add_nc_u32_e32 v3, 1, v33
	s_mov_b32 s0, exec_lo
	s_delay_alu instid0(VALU_DEP_1)
	v_cmpx_gt_u32_e64 s22, v3
; %bb.11:
	v_add_nc_u32_e32 v2, s5, v29
	v_add_nc_u32_e32 v3, s7, v29
	s_delay_alu instid0(VALU_DEP_2) | instskip(NEXT) | instid1(VALU_DEP_2)
	v_mul_lo_u32 v2, v2, s4
	v_mul_lo_u32 v3, v3, s6
	s_delay_alu instid0(VALU_DEP_1) | instskip(NEXT) | instid1(VALU_DEP_1)
	v_sub_nc_u32_e32 v2, v2, v3
	v_cmp_lt_u32_e32 vcc_lo, s2, v2
	v_cndmask_b32_e64 v2, 0, 1, vcc_lo
; %bb.12:
	s_or_b32 exec_lo, exec_lo, s0
	v_dual_mov_b32 v4, 0 :: v_dual_add_nc_u32 v3, 2, v33
	s_delay_alu instid0(VALU_DEP_1)
	v_cmp_gt_u32_e32 vcc_lo, s22, v3
	v_mov_b32_e32 v3, 0
	s_and_saveexec_b32 s0, vcc_lo
; %bb.13:
	v_add_nc_u32_e32 v3, s5, v26
	v_add_nc_u32_e32 v5, s7, v26
	s_delay_alu instid0(VALU_DEP_2) | instskip(NEXT) | instid1(VALU_DEP_2)
	v_mul_lo_u32 v3, v3, s4
	v_mul_lo_u32 v5, v5, s6
	s_delay_alu instid0(VALU_DEP_1) | instskip(NEXT) | instid1(VALU_DEP_1)
	v_sub_nc_u32_e32 v3, v3, v5
	v_cmp_lt_u32_e32 vcc_lo, s2, v3
	v_cndmask_b32_e64 v3, 0, 1, vcc_lo
; %bb.14:
	s_or_b32 exec_lo, exec_lo, s0
	v_add_nc_u32_e32 v5, 3, v33
	s_mov_b32 s0, exec_lo
	s_delay_alu instid0(VALU_DEP_1)
	v_cmpx_gt_u32_e64 s22, v5
; %bb.15:
	v_add_nc_u32_e32 v4, s5, v27
	v_add_nc_u32_e32 v5, s7, v27
	s_delay_alu instid0(VALU_DEP_2) | instskip(NEXT) | instid1(VALU_DEP_2)
	v_mul_lo_u32 v4, v4, s4
	v_mul_lo_u32 v5, v5, s6
	s_delay_alu instid0(VALU_DEP_1) | instskip(NEXT) | instid1(VALU_DEP_1)
	v_sub_nc_u32_e32 v4, v4, v5
	v_cmp_lt_u32_e32 vcc_lo, s2, v4
	v_cndmask_b32_e64 v4, 0, 1, vcc_lo
; %bb.16:
	s_or_b32 exec_lo, exec_lo, s0
	v_dual_mov_b32 v6, 0 :: v_dual_add_nc_u32 v5, 4, v33
	s_delay_alu instid0(VALU_DEP_1)
	v_cmp_gt_u32_e32 vcc_lo, s22, v5
	v_mov_b32_e32 v5, 0
	s_and_saveexec_b32 s0, vcc_lo
	;; [unrolled: 33-line block ×5, first 2 shown]
; %bb.29:
	v_add_nc_u32_e32 v11, s5, v18
	v_add_nc_u32_e32 v13, s7, v18
	s_delay_alu instid0(VALU_DEP_2) | instskip(NEXT) | instid1(VALU_DEP_2)
	v_mul_lo_u32 v11, v11, s4
	v_mul_lo_u32 v13, v13, s6
	s_delay_alu instid0(VALU_DEP_1) | instskip(NEXT) | instid1(VALU_DEP_1)
	v_sub_nc_u32_e32 v11, v11, v13
	v_cmp_lt_u32_e32 vcc_lo, s2, v11
	v_cndmask_b32_e64 v11, 0, 1, vcc_lo
; %bb.30:
	s_or_b32 exec_lo, exec_lo, s0
	v_add_nc_u32_e32 v13, 11, v33
	s_mov_b32 s0, exec_lo
	s_delay_alu instid0(VALU_DEP_1)
	v_cmpx_gt_u32_e64 s22, v13
; %bb.31:
	v_add_nc_u32_e32 v12, s5, v19
	v_add_nc_u32_e32 v13, s7, v19
	s_delay_alu instid0(VALU_DEP_2) | instskip(NEXT) | instid1(VALU_DEP_2)
	v_mul_lo_u32 v12, v12, s4
	v_mul_lo_u32 v13, v13, s6
	s_delay_alu instid0(VALU_DEP_1) | instskip(NEXT) | instid1(VALU_DEP_1)
	v_sub_nc_u32_e32 v12, v12, v13
	v_cmp_lt_u32_e32 vcc_lo, s2, v12
	v_cndmask_b32_e64 v12, 0, 1, vcc_lo
; %bb.32:
	s_or_b32 exec_lo, exec_lo, s0
	v_dual_mov_b32 v34, 0 :: v_dual_add_nc_u32 v13, 12, v33
	s_mov_b32 s0, exec_lo
	s_delay_alu instid0(VALU_DEP_1)
	v_cmpx_gt_u32_e64 s22, v13
; %bb.33:
	v_add_nc_u32_e32 v13, s5, v32
	v_add_nc_u32_e32 v14, s7, v32
	s_delay_alu instid0(VALU_DEP_2) | instskip(NEXT) | instid1(VALU_DEP_2)
	v_mul_lo_u32 v13, v13, s4
	v_mul_lo_u32 v14, v14, s6
	s_delay_alu instid0(VALU_DEP_1) | instskip(NEXT) | instid1(VALU_DEP_1)
	v_sub_nc_u32_e32 v13, v13, v14
	v_cmp_lt_u32_e32 vcc_lo, s2, v13
	v_cndmask_b32_e64 v34, 0, 1, vcc_lo
; %bb.34:
	s_or_b32 exec_lo, exec_lo, s0
	v_lshlrev_b16 v2, 8, v2
	v_lshlrev_b16 v4, 8, v4
	;; [unrolled: 1-line block ×5, first 2 shown]
	v_or_b32_e32 v1, v1, v2
	v_lshlrev_b16 v2, 8, v12
	v_or_b32_e32 v3, v3, v4
	v_or_b32_e32 v4, v5, v6
	;; [unrolled: 1-line block ×5, first 2 shown]
	v_and_b32_e32 v1, 0xffff, v1
	v_lshlrev_b32_e32 v3, 16, v3
	v_and_b32_e32 v4, 0xffff, v4
	v_lshlrev_b32_e32 v5, 16, v5
	;; [unrolled: 2-line block ×3, first 2 shown]
	v_or_b32_e32 v39, v1, v3
	s_delay_alu instid0(VALU_DEP_4) | instskip(NEXT) | instid1(VALU_DEP_3)
	v_or_b32_e32 v37, v4, v5
	v_or_b32_e32 v35, v6, v2
.LBB1108_35:
	s_delay_alu instid0(VALU_DEP_3)
	v_and_b32_e32 v41, 0xff, v39
	v_bfe_u32 v42, v39, 8, 8
	v_bfe_u32 v43, v39, 16, 8
	v_lshrrev_b32_e32 v40, 24, v39
	v_and_b32_e32 v44, 0xff, v37
	v_bfe_u32 v45, v37, 8, 8
	v_bfe_u32 v46, v37, 16, 8
	v_add3_u32 v1, v42, v41, v43
	v_lshrrev_b32_e32 v38, 24, v37
	v_and_b32_e32 v47, 0xff, v35
	v_bfe_u32 v48, v35, 8, 8
	v_mbcnt_lo_u32_b32 v50, -1, 0
	v_add3_u32 v1, v1, v40, v44
	v_bfe_u32 v49, v35, 16, 8
	v_lshrrev_b32_e32 v36, 24, v35
	v_and_b32_e32 v2, 0xff, v34
	v_and_b32_e32 v3, 15, v50
	v_add3_u32 v1, v1, v45, v46
	v_or_b32_e32 v4, 31, v0
	v_and_b32_e32 v5, 16, v50
	v_lshrrev_b32_e32 v51, 5, v0
	v_cmp_eq_u32_e64 s5, 0, v3
	v_add3_u32 v1, v1, v38, v47
	v_cmp_lt_u32_e64 s4, 1, v3
	v_cmp_lt_u32_e64 s3, 3, v3
	;; [unrolled: 1-line block ×3, first 2 shown]
	v_cmp_eq_u32_e64 s1, 0, v5
	v_add3_u32 v1, v1, v48, v49
	v_cmp_eq_u32_e64 s0, v4, v0
	s_cmp_lg_u32 s15, 0
	s_mov_b32 s6, -1
	s_delay_alu instid0(VALU_DEP_2)
	v_add3_u32 v52, v1, v36, v2
	s_cbranch_scc0 .LBB1108_66
; %bb.36:
	s_delay_alu instid0(VALU_DEP_1) | instskip(NEXT) | instid1(VALU_DEP_1)
	v_mov_b32_dpp v1, v52 row_shr:1 row_mask:0xf bank_mask:0xf
	v_cndmask_b32_e64 v1, v1, 0, s5
	s_delay_alu instid0(VALU_DEP_1) | instskip(NEXT) | instid1(VALU_DEP_1)
	v_add_nc_u32_e32 v1, v1, v52
	v_mov_b32_dpp v2, v1 row_shr:2 row_mask:0xf bank_mask:0xf
	s_delay_alu instid0(VALU_DEP_1) | instskip(NEXT) | instid1(VALU_DEP_1)
	v_cndmask_b32_e64 v2, 0, v2, s4
	v_add_nc_u32_e32 v1, v1, v2
	s_delay_alu instid0(VALU_DEP_1) | instskip(NEXT) | instid1(VALU_DEP_1)
	v_mov_b32_dpp v2, v1 row_shr:4 row_mask:0xf bank_mask:0xf
	v_cndmask_b32_e64 v2, 0, v2, s3
	s_delay_alu instid0(VALU_DEP_1) | instskip(NEXT) | instid1(VALU_DEP_1)
	v_add_nc_u32_e32 v1, v1, v2
	v_mov_b32_dpp v2, v1 row_shr:8 row_mask:0xf bank_mask:0xf
	s_delay_alu instid0(VALU_DEP_1) | instskip(NEXT) | instid1(VALU_DEP_1)
	v_cndmask_b32_e64 v2, 0, v2, s2
	v_add_nc_u32_e32 v1, v1, v2
	ds_swizzle_b32 v2, v1 offset:swizzle(BROADCAST,32,15)
	s_waitcnt lgkmcnt(0)
	v_cndmask_b32_e64 v2, v2, 0, s1
	s_delay_alu instid0(VALU_DEP_1)
	v_add_nc_u32_e32 v1, v1, v2
	s_and_saveexec_b32 s6, s0
	s_cbranch_execz .LBB1108_38
; %bb.37:
	v_lshlrev_b32_e32 v2, 2, v51
	ds_store_b32 v2, v1
.LBB1108_38:
	s_or_b32 exec_lo, exec_lo, s6
	s_delay_alu instid0(SALU_CYCLE_1)
	s_mov_b32 s6, exec_lo
	s_waitcnt lgkmcnt(0)
	s_barrier
	buffer_gl0_inv
	v_cmpx_gt_u32_e32 8, v0
	s_cbranch_execz .LBB1108_40
; %bb.39:
	ds_load_b32 v2, v30
	s_waitcnt lgkmcnt(0)
	v_mov_b32_dpp v4, v2 row_shr:1 row_mask:0xf bank_mask:0xf
	v_and_b32_e32 v3, 7, v50
	s_delay_alu instid0(VALU_DEP_1) | instskip(NEXT) | instid1(VALU_DEP_3)
	v_cmp_ne_u32_e32 vcc_lo, 0, v3
	v_cndmask_b32_e32 v4, 0, v4, vcc_lo
	v_cmp_lt_u32_e32 vcc_lo, 1, v3
	s_delay_alu instid0(VALU_DEP_2) | instskip(NEXT) | instid1(VALU_DEP_1)
	v_add_nc_u32_e32 v2, v4, v2
	v_mov_b32_dpp v4, v2 row_shr:2 row_mask:0xf bank_mask:0xf
	s_delay_alu instid0(VALU_DEP_1) | instskip(SKIP_1) | instid1(VALU_DEP_2)
	v_cndmask_b32_e32 v4, 0, v4, vcc_lo
	v_cmp_lt_u32_e32 vcc_lo, 3, v3
	v_add_nc_u32_e32 v2, v2, v4
	s_delay_alu instid0(VALU_DEP_1) | instskip(NEXT) | instid1(VALU_DEP_1)
	v_mov_b32_dpp v4, v2 row_shr:4 row_mask:0xf bank_mask:0xf
	v_cndmask_b32_e32 v3, 0, v4, vcc_lo
	s_delay_alu instid0(VALU_DEP_1)
	v_add_nc_u32_e32 v2, v2, v3
	ds_store_b32 v30, v2
.LBB1108_40:
	s_or_b32 exec_lo, exec_lo, s6
	v_cmp_gt_u32_e32 vcc_lo, 32, v0
	s_mov_b32 s7, exec_lo
	s_waitcnt lgkmcnt(0)
	s_barrier
	buffer_gl0_inv
                                        ; implicit-def: $vgpr8
	v_cmpx_lt_u32_e32 31, v0
	s_cbranch_execz .LBB1108_42
; %bb.41:
	v_lshl_add_u32 v2, v51, 2, -4
	ds_load_b32 v8, v2
	s_waitcnt lgkmcnt(0)
	v_add_nc_u32_e32 v1, v8, v1
.LBB1108_42:
	s_or_b32 exec_lo, exec_lo, s7
	v_add_nc_u32_e32 v2, -1, v50
	s_delay_alu instid0(VALU_DEP_1) | instskip(NEXT) | instid1(VALU_DEP_1)
	v_cmp_gt_i32_e64 s6, 0, v2
	v_cndmask_b32_e64 v2, v2, v50, s6
	v_cmp_eq_u32_e64 s6, 0, v50
	s_delay_alu instid0(VALU_DEP_2)
	v_lshlrev_b32_e32 v2, 2, v2
	ds_bpermute_b32 v9, v2, v1
	s_and_saveexec_b32 s7, vcc_lo
	s_cbranch_execz .LBB1108_65
; %bb.43:
	v_mov_b32_e32 v4, 0
	ds_load_b32 v1, v4 offset:28
	s_and_saveexec_b32 s24, s6
	s_cbranch_execz .LBB1108_45
; %bb.44:
	s_add_i32 s26, s15, 32
	s_mov_b32 s27, 0
	v_mov_b32_e32 v2, 1
	s_lshl_b64 s[26:27], s[26:27], 3
	s_delay_alu instid0(SALU_CYCLE_1)
	s_add_u32 s26, s20, s26
	s_addc_u32 s27, s21, s27
	s_waitcnt lgkmcnt(0)
	global_store_b64 v4, v[1:2], s[26:27]
.LBB1108_45:
	s_or_b32 exec_lo, exec_lo, s24
	v_xad_u32 v2, v50, -1, s15
	s_mov_b32 s25, 0
	s_mov_b32 s24, exec_lo
	s_delay_alu instid0(VALU_DEP_1) | instskip(NEXT) | instid1(VALU_DEP_1)
	v_add_nc_u32_e32 v3, 32, v2
	v_lshlrev_b64 v[3:4], 3, v[3:4]
	s_delay_alu instid0(VALU_DEP_1) | instskip(NEXT) | instid1(VALU_DEP_2)
	v_add_co_u32 v6, vcc_lo, s20, v3
	v_add_co_ci_u32_e32 v7, vcc_lo, s21, v4, vcc_lo
	global_load_b64 v[4:5], v[6:7], off glc
	s_waitcnt vmcnt(0)
	v_and_b32_e32 v3, 0xff, v5
	s_delay_alu instid0(VALU_DEP_1)
	v_cmpx_eq_u16_e32 0, v3
	s_cbranch_execz .LBB1108_51
; %bb.46:
	s_mov_b32 s26, 1
	.p2align	6
.LBB1108_47:                            ; =>This Loop Header: Depth=1
                                        ;     Child Loop BB1108_48 Depth 2
	s_delay_alu instid0(SALU_CYCLE_1)
	s_max_u32 s27, s26, 1
.LBB1108_48:                            ;   Parent Loop BB1108_47 Depth=1
                                        ; =>  This Inner Loop Header: Depth=2
	s_delay_alu instid0(SALU_CYCLE_1)
	s_add_i32 s27, s27, -1
	s_sleep 1
	s_cmp_eq_u32 s27, 0
	s_cbranch_scc0 .LBB1108_48
; %bb.49:                               ;   in Loop: Header=BB1108_47 Depth=1
	global_load_b64 v[4:5], v[6:7], off glc
	s_cmp_lt_u32 s26, 32
	s_cselect_b32 s27, -1, 0
	s_delay_alu instid0(SALU_CYCLE_1) | instskip(SKIP_3) | instid1(VALU_DEP_1)
	s_cmp_lg_u32 s27, 0
	s_addc_u32 s26, s26, 0
	s_waitcnt vmcnt(0)
	v_and_b32_e32 v3, 0xff, v5
	v_cmp_ne_u16_e32 vcc_lo, 0, v3
	s_or_b32 s25, vcc_lo, s25
	s_delay_alu instid0(SALU_CYCLE_1)
	s_and_not1_b32 exec_lo, exec_lo, s25
	s_cbranch_execnz .LBB1108_47
; %bb.50:
	s_or_b32 exec_lo, exec_lo, s25
.LBB1108_51:
	s_delay_alu instid0(SALU_CYCLE_1)
	s_or_b32 exec_lo, exec_lo, s24
	v_cmp_ne_u32_e32 vcc_lo, 31, v50
	v_lshlrev_b32_e64 v11, v50, -1
	v_add_nc_u32_e32 v13, 2, v50
	v_add_nc_u32_e32 v16, 4, v50
	;; [unrolled: 1-line block ×3, first 2 shown]
	v_add_co_ci_u32_e32 v3, vcc_lo, 0, v50, vcc_lo
	v_add_nc_u32_e32 v55, 16, v50
	s_delay_alu instid0(VALU_DEP_2) | instskip(SKIP_2) | instid1(VALU_DEP_1)
	v_lshlrev_b32_e32 v10, 2, v3
	ds_bpermute_b32 v6, v10, v4
	v_and_b32_e32 v3, 0xff, v5
	v_cmp_eq_u16_e32 vcc_lo, 2, v3
	v_and_or_b32 v3, vcc_lo, v11, 0x80000000
	v_cmp_gt_u32_e32 vcc_lo, 30, v50
	s_delay_alu instid0(VALU_DEP_2) | instskip(SKIP_1) | instid1(VALU_DEP_2)
	v_ctz_i32_b32_e32 v3, v3
	v_cndmask_b32_e64 v7, 0, 1, vcc_lo
	v_cmp_lt_u32_e32 vcc_lo, v50, v3
	s_waitcnt lgkmcnt(0)
	s_delay_alu instid0(VALU_DEP_2) | instskip(NEXT) | instid1(VALU_DEP_1)
	v_dual_cndmask_b32 v6, 0, v6 :: v_dual_lshlrev_b32 v7, 1, v7
	v_add_lshl_u32 v12, v7, v50, 2
	v_cmp_gt_u32_e32 vcc_lo, 28, v50
	s_delay_alu instid0(VALU_DEP_3) | instskip(SKIP_4) | instid1(VALU_DEP_1)
	v_add_nc_u32_e32 v4, v6, v4
	v_cndmask_b32_e64 v7, 0, 1, vcc_lo
	v_cmp_le_u32_e32 vcc_lo, v13, v3
	ds_bpermute_b32 v6, v12, v4
	v_lshlrev_b32_e32 v7, 2, v7
	v_add_lshl_u32 v14, v7, v50, 2
	s_waitcnt lgkmcnt(0)
	v_cndmask_b32_e32 v6, 0, v6, vcc_lo
	v_cmp_gt_u32_e32 vcc_lo, 24, v50
	s_delay_alu instid0(VALU_DEP_2) | instskip(SKIP_4) | instid1(VALU_DEP_1)
	v_add_nc_u32_e32 v4, v4, v6
	v_cndmask_b32_e64 v7, 0, 1, vcc_lo
	v_cmp_le_u32_e32 vcc_lo, v16, v3
	ds_bpermute_b32 v6, v14, v4
	v_lshlrev_b32_e32 v7, 3, v7
	v_add_lshl_u32 v17, v7, v50, 2
	s_waitcnt lgkmcnt(0)
	v_cndmask_b32_e32 v6, 0, v6, vcc_lo
	v_cmp_gt_u32_e32 vcc_lo, 16, v50
	s_delay_alu instid0(VALU_DEP_2) | instskip(SKIP_4) | instid1(VALU_DEP_1)
	v_add_nc_u32_e32 v4, v4, v6
	v_cndmask_b32_e64 v7, 0, 1, vcc_lo
	v_cmp_le_u32_e32 vcc_lo, v53, v3
	ds_bpermute_b32 v6, v17, v4
	v_lshlrev_b32_e32 v7, 4, v7
	v_add_lshl_u32 v54, v7, v50, 2
	s_waitcnt lgkmcnt(0)
	v_cndmask_b32_e32 v6, 0, v6, vcc_lo
	v_cmp_le_u32_e32 vcc_lo, v55, v3
	s_delay_alu instid0(VALU_DEP_2) | instskip(SKIP_3) | instid1(VALU_DEP_1)
	v_add_nc_u32_e32 v4, v4, v6
	ds_bpermute_b32 v6, v54, v4
	s_waitcnt lgkmcnt(0)
	v_cndmask_b32_e32 v3, 0, v6, vcc_lo
	v_dual_mov_b32 v3, 0 :: v_dual_add_nc_u32 v4, v4, v3
	s_branch .LBB1108_53
.LBB1108_52:                            ;   in Loop: Header=BB1108_53 Depth=1
	s_or_b32 exec_lo, exec_lo, s24
	ds_bpermute_b32 v7, v10, v4
	v_and_b32_e32 v6, 0xff, v5
	v_subrev_nc_u32_e32 v2, 32, v2
	s_delay_alu instid0(VALU_DEP_2) | instskip(SKIP_1) | instid1(VALU_DEP_1)
	v_cmp_eq_u16_e32 vcc_lo, 2, v6
	v_and_or_b32 v6, vcc_lo, v11, 0x80000000
	v_ctz_i32_b32_e32 v6, v6
	s_delay_alu instid0(VALU_DEP_1) | instskip(SKIP_3) | instid1(VALU_DEP_2)
	v_cmp_lt_u32_e32 vcc_lo, v50, v6
	s_waitcnt lgkmcnt(0)
	v_cndmask_b32_e32 v7, 0, v7, vcc_lo
	v_cmp_le_u32_e32 vcc_lo, v13, v6
	v_add_nc_u32_e32 v4, v7, v4
	ds_bpermute_b32 v7, v12, v4
	s_waitcnt lgkmcnt(0)
	v_cndmask_b32_e32 v7, 0, v7, vcc_lo
	v_cmp_le_u32_e32 vcc_lo, v16, v6
	s_delay_alu instid0(VALU_DEP_2) | instskip(SKIP_4) | instid1(VALU_DEP_2)
	v_add_nc_u32_e32 v4, v4, v7
	ds_bpermute_b32 v7, v14, v4
	s_waitcnt lgkmcnt(0)
	v_cndmask_b32_e32 v7, 0, v7, vcc_lo
	v_cmp_le_u32_e32 vcc_lo, v53, v6
	v_add_nc_u32_e32 v4, v4, v7
	ds_bpermute_b32 v7, v17, v4
	s_waitcnt lgkmcnt(0)
	v_cndmask_b32_e32 v7, 0, v7, vcc_lo
	v_cmp_le_u32_e32 vcc_lo, v55, v6
	s_delay_alu instid0(VALU_DEP_2) | instskip(SKIP_3) | instid1(VALU_DEP_1)
	v_add_nc_u32_e32 v4, v4, v7
	ds_bpermute_b32 v7, v54, v4
	s_waitcnt lgkmcnt(0)
	v_cndmask_b32_e32 v6, 0, v7, vcc_lo
	v_add3_u32 v4, v6, v15, v4
.LBB1108_53:                            ; =>This Loop Header: Depth=1
                                        ;     Child Loop BB1108_56 Depth 2
                                        ;       Child Loop BB1108_57 Depth 3
	v_and_b32_e32 v5, 0xff, v5
	s_delay_alu instid0(VALU_DEP_2) | instskip(NEXT) | instid1(VALU_DEP_2)
	v_mov_b32_e32 v15, v4
	v_cmp_ne_u16_e32 vcc_lo, 2, v5
	v_cndmask_b32_e64 v5, 0, 1, vcc_lo
	;;#ASMSTART
	;;#ASMEND
	s_delay_alu instid0(VALU_DEP_1)
	v_cmp_ne_u32_e32 vcc_lo, 0, v5
	s_cmp_lg_u32 vcc_lo, exec_lo
	s_cbranch_scc1 .LBB1108_60
; %bb.54:                               ;   in Loop: Header=BB1108_53 Depth=1
	v_lshlrev_b64 v[4:5], 3, v[2:3]
	s_mov_b32 s24, exec_lo
	s_delay_alu instid0(VALU_DEP_1) | instskip(NEXT) | instid1(VALU_DEP_2)
	v_add_co_u32 v6, vcc_lo, s20, v4
	v_add_co_ci_u32_e32 v7, vcc_lo, s21, v5, vcc_lo
	global_load_b64 v[4:5], v[6:7], off glc
	s_waitcnt vmcnt(0)
	v_and_b32_e32 v56, 0xff, v5
	s_delay_alu instid0(VALU_DEP_1)
	v_cmpx_eq_u16_e32 0, v56
	s_cbranch_execz .LBB1108_52
; %bb.55:                               ;   in Loop: Header=BB1108_53 Depth=1
	s_mov_b32 s26, 1
	s_mov_b32 s25, 0
	.p2align	6
.LBB1108_56:                            ;   Parent Loop BB1108_53 Depth=1
                                        ; =>  This Loop Header: Depth=2
                                        ;       Child Loop BB1108_57 Depth 3
	s_max_u32 s27, s26, 1
.LBB1108_57:                            ;   Parent Loop BB1108_53 Depth=1
                                        ;     Parent Loop BB1108_56 Depth=2
                                        ; =>    This Inner Loop Header: Depth=3
	s_delay_alu instid0(SALU_CYCLE_1)
	s_add_i32 s27, s27, -1
	s_sleep 1
	s_cmp_eq_u32 s27, 0
	s_cbranch_scc0 .LBB1108_57
; %bb.58:                               ;   in Loop: Header=BB1108_56 Depth=2
	global_load_b64 v[4:5], v[6:7], off glc
	s_cmp_lt_u32 s26, 32
	s_cselect_b32 s27, -1, 0
	s_delay_alu instid0(SALU_CYCLE_1) | instskip(SKIP_3) | instid1(VALU_DEP_1)
	s_cmp_lg_u32 s27, 0
	s_addc_u32 s26, s26, 0
	s_waitcnt vmcnt(0)
	v_and_b32_e32 v56, 0xff, v5
	v_cmp_ne_u16_e32 vcc_lo, 0, v56
	s_or_b32 s25, vcc_lo, s25
	s_delay_alu instid0(SALU_CYCLE_1)
	s_and_not1_b32 exec_lo, exec_lo, s25
	s_cbranch_execnz .LBB1108_56
; %bb.59:                               ;   in Loop: Header=BB1108_53 Depth=1
	s_or_b32 exec_lo, exec_lo, s25
	s_branch .LBB1108_52
.LBB1108_60:                            ;   in Loop: Header=BB1108_53 Depth=1
                                        ; implicit-def: $vgpr4
                                        ; implicit-def: $vgpr5
	s_cbranch_execz .LBB1108_53
; %bb.61:
	s_and_saveexec_b32 s24, s6
	s_cbranch_execz .LBB1108_63
; %bb.62:
	s_add_i32 s26, s15, 32
	s_mov_b32 s27, 0
	v_dual_mov_b32 v3, 2 :: v_dual_add_nc_u32 v2, v15, v1
	s_lshl_b64 s[26:27], s[26:27], 3
	v_mov_b32_e32 v4, 0
	v_add_nc_u32_e64 v5, 0x3400, 0
	s_add_u32 s26, s20, s26
	s_addc_u32 s27, s21, s27
	global_store_b64 v4, v[2:3], s[26:27]
	ds_store_2addr_b32 v5, v1, v15 offset1:2
.LBB1108_63:
	s_or_b32 exec_lo, exec_lo, s24
	v_cmp_eq_u32_e32 vcc_lo, 0, v0
	s_and_b32 exec_lo, exec_lo, vcc_lo
	s_cbranch_execz .LBB1108_65
; %bb.64:
	v_mov_b32_e32 v1, 0
	ds_store_b32 v1, v15 offset:28
.LBB1108_65:
	s_or_b32 exec_lo, exec_lo, s7
	s_waitcnt lgkmcnt(0)
	v_cndmask_b32_e64 v2, v9, v8, s6
	v_cmp_ne_u32_e32 vcc_lo, 0, v0
	v_mov_b32_e32 v1, 0
	s_waitcnt_vscnt null, 0x0
	s_barrier
	buffer_gl0_inv
	v_cndmask_b32_e32 v2, 0, v2, vcc_lo
	ds_load_b32 v1, v1 offset:28
	v_add_nc_u32_e64 v11, 0x3400, 0
	s_waitcnt lgkmcnt(0)
	s_barrier
	buffer_gl0_inv
	ds_load_2addr_b32 v[16:17], v11 offset1:2
	v_add_nc_u32_e32 v1, v1, v2
	s_delay_alu instid0(VALU_DEP_1) | instskip(NEXT) | instid1(VALU_DEP_1)
	v_add_nc_u32_e32 v2, v1, v41
	v_add_nc_u32_e32 v3, v2, v42
	s_delay_alu instid0(VALU_DEP_1) | instskip(NEXT) | instid1(VALU_DEP_1)
	v_add_nc_u32_e32 v4, v3, v43
	;; [unrolled: 3-line block ×6, first 2 shown]
	v_add_nc_u32_e32 v13, v12, v36
	s_branch .LBB1108_76
.LBB1108_66:
                                        ; implicit-def: $vgpr17
                                        ; implicit-def: $vgpr1_vgpr2_vgpr3_vgpr4_vgpr5_vgpr6_vgpr7_vgpr8_vgpr9_vgpr10_vgpr11_vgpr12_vgpr13_vgpr14_vgpr15_vgpr16
	s_and_b32 vcc_lo, exec_lo, s6
	s_cbranch_vccz .LBB1108_76
; %bb.67:
	s_delay_alu instid0(VALU_DEP_1) | instskip(NEXT) | instid1(VALU_DEP_1)
	v_mov_b32_dpp v1, v52 row_shr:1 row_mask:0xf bank_mask:0xf
	v_cndmask_b32_e64 v1, v1, 0, s5
	s_delay_alu instid0(VALU_DEP_1) | instskip(NEXT) | instid1(VALU_DEP_1)
	v_add_nc_u32_e32 v1, v1, v52
	v_mov_b32_dpp v2, v1 row_shr:2 row_mask:0xf bank_mask:0xf
	s_delay_alu instid0(VALU_DEP_1) | instskip(NEXT) | instid1(VALU_DEP_1)
	v_cndmask_b32_e64 v2, 0, v2, s4
	v_add_nc_u32_e32 v1, v1, v2
	s_delay_alu instid0(VALU_DEP_1) | instskip(NEXT) | instid1(VALU_DEP_1)
	v_mov_b32_dpp v2, v1 row_shr:4 row_mask:0xf bank_mask:0xf
	v_cndmask_b32_e64 v2, 0, v2, s3
	s_delay_alu instid0(VALU_DEP_1) | instskip(NEXT) | instid1(VALU_DEP_1)
	v_add_nc_u32_e32 v1, v1, v2
	v_mov_b32_dpp v2, v1 row_shr:8 row_mask:0xf bank_mask:0xf
	s_delay_alu instid0(VALU_DEP_1) | instskip(NEXT) | instid1(VALU_DEP_1)
	v_cndmask_b32_e64 v2, 0, v2, s2
	v_add_nc_u32_e32 v1, v1, v2
	ds_swizzle_b32 v2, v1 offset:swizzle(BROADCAST,32,15)
	s_waitcnt lgkmcnt(0)
	v_cndmask_b32_e64 v2, v2, 0, s1
	s_delay_alu instid0(VALU_DEP_1)
	v_add_nc_u32_e32 v1, v1, v2
	s_and_saveexec_b32 s1, s0
	s_cbranch_execz .LBB1108_69
; %bb.68:
	v_lshlrev_b32_e32 v2, 2, v51
	ds_store_b32 v2, v1
.LBB1108_69:
	s_or_b32 exec_lo, exec_lo, s1
	s_delay_alu instid0(SALU_CYCLE_1)
	s_mov_b32 s0, exec_lo
	s_waitcnt lgkmcnt(0)
	s_barrier
	buffer_gl0_inv
	v_cmpx_gt_u32_e32 8, v0
	s_cbranch_execz .LBB1108_71
; %bb.70:
	ds_load_b32 v2, v30
	s_waitcnt lgkmcnt(0)
	v_mov_b32_dpp v4, v2 row_shr:1 row_mask:0xf bank_mask:0xf
	v_and_b32_e32 v3, 7, v50
	s_delay_alu instid0(VALU_DEP_1) | instskip(NEXT) | instid1(VALU_DEP_3)
	v_cmp_ne_u32_e32 vcc_lo, 0, v3
	v_cndmask_b32_e32 v4, 0, v4, vcc_lo
	v_cmp_lt_u32_e32 vcc_lo, 1, v3
	s_delay_alu instid0(VALU_DEP_2) | instskip(NEXT) | instid1(VALU_DEP_1)
	v_add_nc_u32_e32 v2, v4, v2
	v_mov_b32_dpp v4, v2 row_shr:2 row_mask:0xf bank_mask:0xf
	s_delay_alu instid0(VALU_DEP_1) | instskip(SKIP_1) | instid1(VALU_DEP_2)
	v_cndmask_b32_e32 v4, 0, v4, vcc_lo
	v_cmp_lt_u32_e32 vcc_lo, 3, v3
	v_add_nc_u32_e32 v2, v2, v4
	s_delay_alu instid0(VALU_DEP_1) | instskip(NEXT) | instid1(VALU_DEP_1)
	v_mov_b32_dpp v4, v2 row_shr:4 row_mask:0xf bank_mask:0xf
	v_cndmask_b32_e32 v3, 0, v4, vcc_lo
	s_delay_alu instid0(VALU_DEP_1)
	v_add_nc_u32_e32 v2, v2, v3
	ds_store_b32 v30, v2
.LBB1108_71:
	s_or_b32 exec_lo, exec_lo, s0
	v_dual_mov_b32 v3, 0 :: v_dual_mov_b32 v2, 0
	s_mov_b32 s0, exec_lo
	s_waitcnt lgkmcnt(0)
	s_barrier
	buffer_gl0_inv
	v_cmpx_lt_u32_e32 31, v0
	s_cbranch_execz .LBB1108_73
; %bb.72:
	v_lshl_add_u32 v2, v51, 2, -4
	ds_load_b32 v2, v2
.LBB1108_73:
	s_or_b32 exec_lo, exec_lo, s0
	v_add_nc_u32_e32 v4, -1, v50
	ds_load_b32 v16, v3 offset:28
	s_waitcnt lgkmcnt(1)
	v_add_nc_u32_e32 v1, v2, v1
	v_cmp_gt_i32_e32 vcc_lo, 0, v4
	v_cndmask_b32_e32 v4, v4, v50, vcc_lo
	v_cmp_eq_u32_e32 vcc_lo, 0, v0
	s_delay_alu instid0(VALU_DEP_2)
	v_lshlrev_b32_e32 v4, 2, v4
	ds_bpermute_b32 v1, v4, v1
	s_and_saveexec_b32 s0, vcc_lo
	s_cbranch_execz .LBB1108_75
; %bb.74:
	v_mov_b32_e32 v3, 0
	v_mov_b32_e32 v17, 2
	s_waitcnt lgkmcnt(1)
	global_store_b64 v3, v[16:17], s[20:21] offset:256
.LBB1108_75:
	s_or_b32 exec_lo, exec_lo, s0
	v_cmp_eq_u32_e64 s0, 0, v50
	s_waitcnt lgkmcnt(0)
	s_waitcnt_vscnt null, 0x0
	s_barrier
	buffer_gl0_inv
	v_mov_b32_e32 v17, 0
	v_cndmask_b32_e64 v1, v1, v2, s0
	s_delay_alu instid0(VALU_DEP_1) | instskip(NEXT) | instid1(VALU_DEP_1)
	v_cndmask_b32_e64 v1, v1, 0, vcc_lo
	v_add_nc_u32_e32 v2, v1, v41
	s_delay_alu instid0(VALU_DEP_1) | instskip(NEXT) | instid1(VALU_DEP_1)
	v_add_nc_u32_e32 v3, v2, v42
	v_add_nc_u32_e32 v4, v3, v43
	s_delay_alu instid0(VALU_DEP_1) | instskip(NEXT) | instid1(VALU_DEP_1)
	v_add_nc_u32_e32 v5, v4, v40
	;; [unrolled: 3-line block ×5, first 2 shown]
	v_add_nc_u32_e32 v12, v11, v49
	s_delay_alu instid0(VALU_DEP_1)
	v_add_nc_u32_e32 v13, v12, v36
.LBB1108_76:
	v_lshrrev_b32_e32 v44, 8, v39
	v_lshrrev_b32_e32 v43, 16, v39
	s_waitcnt lgkmcnt(0)
	v_sub_nc_u32_e32 v1, v1, v17
	v_and_b32_e32 v39, 1, v39
	v_sub_nc_u32_e32 v3, v3, v17
	v_add_nc_u32_e32 v33, v16, v33
	v_sub_nc_u32_e32 v2, v2, v17
	v_sub_nc_u32_e32 v4, v4, v17
	v_cmp_eq_u32_e32 vcc_lo, 1, v39
	v_and_b32_e32 v39, 1, v43
	v_sub_nc_u32_e32 v45, v33, v1
	v_and_b32_e32 v44, 1, v44
	v_sub_nc_u32_e32 v43, v33, v2
	v_lshrrev_b32_e32 v42, 8, v37
	v_lshrrev_b32_e32 v41, 16, v37
	v_cndmask_b32_e32 v1, v45, v1, vcc_lo
	v_sub_nc_u32_e32 v45, v33, v3
	v_add_nc_u32_e32 v43, 1, v43
	v_cmp_eq_u32_e32 vcc_lo, 1, v44
	v_and_b32_e32 v40, 1, v40
	v_lshlrev_b32_e32 v1, 2, v1
	v_add_nc_u32_e32 v45, 2, v45
	v_lshrrev_b32_e32 v15, 8, v35
	v_lshrrev_b32_e32 v14, 16, v35
	ds_store_b32 v1, v28
	v_cndmask_b32_e32 v1, v43, v2, vcc_lo
	v_cmp_eq_u32_e32 vcc_lo, 1, v39
	v_or_b32_e32 v28, 0x500, v0
	s_delay_alu instid0(VALU_DEP_3)
	v_dual_cndmask_b32 v2, v45, v3 :: v_dual_lshlrev_b32 v1, 2, v1
	v_sub_nc_u32_e32 v46, v33, v4
	v_cmp_eq_u32_e32 vcc_lo, 1, v40
	ds_store_b32 v1, v29
	v_lshlrev_b32_e32 v2, 2, v2
	v_add_nc_u32_e32 v46, 3, v46
	v_or_b32_e32 v29, 0x400, v0
	s_delay_alu instid0(VALU_DEP_2) | instskip(SKIP_2) | instid1(VALU_DEP_3)
	v_cndmask_b32_e32 v3, v46, v4, vcc_lo
	v_sub_nc_u32_e32 v4, v5, v17
	v_sub_nc_u32_e32 v5, v6, v17
	v_lshlrev_b32_e32 v3, 2, v3
	s_delay_alu instid0(VALU_DEP_3) | instskip(NEXT) | instid1(VALU_DEP_3)
	v_sub_nc_u32_e32 v1, v33, v4
	v_sub_nc_u32_e32 v6, v33, v5
	ds_store_b32 v2, v26
	ds_store_b32 v3, v27
	v_and_b32_e32 v2, 1, v37
	v_add_nc_u32_e32 v1, 4, v1
	v_add_nc_u32_e32 v3, 5, v6
	v_sub_nc_u32_e32 v6, v7, v17
	v_and_b32_e32 v7, 1, v42
	v_cmp_eq_u32_e32 vcc_lo, 1, v2
	v_sub_nc_u32_e32 v2, v8, v17
	v_and_b32_e32 v8, 1, v38
	v_or_b32_e32 v27, 0x600, v0
	v_or_b32_e32 v26, 0x700, v0
	v_cndmask_b32_e32 v1, v1, v4, vcc_lo
	v_sub_nc_u32_e32 v4, v33, v6
	v_cmp_eq_u32_e32 vcc_lo, 1, v7
	v_and_b32_e32 v7, 1, v41
	s_delay_alu instid0(VALU_DEP_4) | instskip(NEXT) | instid1(VALU_DEP_4)
	v_lshlrev_b32_e32 v1, 2, v1
	v_dual_cndmask_b32 v3, v3, v5 :: v_dual_add_nc_u32 v4, 6, v4
	v_sub_nc_u32_e32 v5, v33, v2
	s_delay_alu instid0(VALU_DEP_4) | instskip(SKIP_1) | instid1(VALU_DEP_4)
	v_cmp_eq_u32_e32 vcc_lo, 1, v7
	v_sub_nc_u32_e32 v7, v13, v17
	v_lshlrev_b32_e32 v3, 2, v3
	s_delay_alu instid0(VALU_DEP_4)
	v_dual_cndmask_b32 v4, v4, v6 :: v_dual_add_nc_u32 v5, 7, v5
	v_cmp_eq_u32_e32 vcc_lo, 1, v8
	v_sub_nc_u32_e32 v6, v9, v17
	ds_store_b32 v1, v24
	ds_store_b32 v3, v25
	v_or_b32_e32 v25, 0x800, v0
	v_dual_cndmask_b32 v2, v5, v2 :: v_dual_lshlrev_b32 v3, 2, v4
	v_and_b32_e32 v5, 1, v35
	v_sub_nc_u32_e32 v1, v33, v6
	v_sub_nc_u32_e32 v4, v10, v17
	v_and_b32_e32 v10, 1, v36
	v_or_b32_e32 v24, 0x900, v0
	v_cmp_eq_u32_e32 vcc_lo, 1, v5
	v_sub_nc_u32_e32 v5, v12, v17
	v_add_nc_u32_e32 v1, 8, v1
	s_delay_alu instid0(VALU_DEP_2) | instskip(NEXT) | instid1(VALU_DEP_2)
	v_sub_nc_u32_e32 v9, v33, v5
	v_dual_cndmask_b32 v1, v1, v6 :: v_dual_and_b32 v6, 1, v15
	v_add_co_u32 v15, s0, s18, v17
	s_delay_alu instid0(VALU_DEP_3)
	v_add_nc_u32_e32 v9, 11, v9
	v_lshlrev_b32_e32 v2, 2, v2
	ds_store_b32 v3, v22
	ds_store_b32 v2, v23
	v_sub_nc_u32_e32 v3, v11, v17
	v_sub_nc_u32_e32 v2, v33, v4
	v_cmp_eq_u32_e32 vcc_lo, 1, v6
	v_and_b32_e32 v11, 1, v34
	v_lshlrev_b32_e32 v1, 2, v1
	v_sub_nc_u32_e32 v8, v33, v3
	v_add_nc_u32_e32 v2, 9, v2
	v_add_co_ci_u32_e64 v17, null, s19, 0, s0
	s_add_u32 s0, s16, s23
	s_delay_alu instid0(VALU_DEP_3)
	v_add_nc_u32_e32 v6, 10, v8
	v_and_b32_e32 v8, 1, v14
	v_cndmask_b32_e32 v2, v2, v4, vcc_lo
	v_sub_nc_u32_e32 v4, v33, v7
	s_addc_u32 s1, s17, 0
	s_sub_u32 s0, s12, s0
	v_cmp_eq_u32_e32 vcc_lo, 1, v8
	v_lshlrev_b32_e32 v2, 2, v2
	v_add_nc_u32_e32 v4, 12, v4
	s_subb_u32 s1, s13, s1
	v_add_co_u32 v13, s0, s0, v16
	v_cndmask_b32_e32 v3, v6, v3, vcc_lo
	v_cmp_eq_u32_e32 vcc_lo, 1, v10
	v_add_co_ci_u32_e64 v14, null, s1, 0, s0
	v_or_b32_e32 v34, 0x100, v0
	s_delay_alu instid0(VALU_DEP_4)
	v_lshlrev_b32_e32 v3, 2, v3
	v_cndmask_b32_e32 v5, v9, v5, vcc_lo
	v_cmp_eq_u32_e32 vcc_lo, 1, v11
	v_or_b32_e32 v33, 0x200, v0
	v_or_b32_e32 v23, 0xa00, v0
	;; [unrolled: 1-line block ×3, first 2 shown]
	v_dual_cndmask_b32 v4, v4, v7 :: v_dual_lshlrev_b32 v5, 2, v5
	v_cmp_ne_u32_e32 vcc_lo, 1, v31
	s_delay_alu instid0(VALU_DEP_2)
	v_lshlrev_b32_e32 v4, 2, v4
	ds_store_b32 v1, v20
	ds_store_b32 v2, v21
	;; [unrolled: 1-line block ×5, first 2 shown]
	s_waitcnt lgkmcnt(0)
	s_barrier
	buffer_gl0_inv
	ds_load_2addr_stride64_b32 v[11:12], v30 offset1:4
	ds_load_2addr_stride64_b32 v[9:10], v30 offset0:8 offset1:12
	ds_load_2addr_stride64_b32 v[7:8], v30 offset0:16 offset1:20
	;; [unrolled: 1-line block ×5, first 2 shown]
	ds_load_b32 v18, v30 offset:12288
	v_add_co_u32 v20, s0, v13, v15
	v_or_b32_e32 v32, 0x300, v0
	v_or_b32_e32 v19, 0xc00, v0
	v_add_co_ci_u32_e64 v21, s0, v14, v17, s0
	s_mov_b32 s0, 0
	s_cbranch_vccnz .LBB1108_130
; %bb.77:
	s_mov_b32 s0, exec_lo
                                        ; implicit-def: $vgpr13_vgpr14
	v_cmpx_ge_u32_e64 v0, v16
	s_xor_b32 s0, exec_lo, s0
; %bb.78:
	v_not_b32_e32 v13, v0
	s_delay_alu instid0(VALU_DEP_1) | instskip(SKIP_1) | instid1(VALU_DEP_2)
	v_ashrrev_i32_e32 v14, 31, v13
	v_add_co_u32 v13, vcc_lo, v20, v13
	v_add_co_ci_u32_e32 v14, vcc_lo, v21, v14, vcc_lo
; %bb.79:
	s_and_not1_saveexec_b32 s0, s0
; %bb.80:
	v_add_co_u32 v13, vcc_lo, v15, v0
	v_add_co_ci_u32_e32 v14, vcc_lo, 0, v17, vcc_lo
; %bb.81:
	s_or_b32 exec_lo, exec_lo, s0
	s_delay_alu instid0(VALU_DEP_1) | instskip(SKIP_1) | instid1(VALU_DEP_1)
	v_lshlrev_b64 v[13:14], 2, v[13:14]
	s_mov_b32 s0, exec_lo
	v_add_co_u32 v13, vcc_lo, s10, v13
	s_delay_alu instid0(VALU_DEP_2)
	v_add_co_ci_u32_e32 v14, vcc_lo, s11, v14, vcc_lo
	s_waitcnt lgkmcnt(6)
	global_store_b32 v[13:14], v11, off
                                        ; implicit-def: $vgpr13_vgpr14
	v_cmpx_ge_u32_e64 v34, v16
	s_xor_b32 s0, exec_lo, s0
; %bb.82:
	v_xor_b32_e32 v13, 0xfffffeff, v0
	s_delay_alu instid0(VALU_DEP_1) | instskip(SKIP_1) | instid1(VALU_DEP_2)
	v_ashrrev_i32_e32 v14, 31, v13
	v_add_co_u32 v13, vcc_lo, v20, v13
	v_add_co_ci_u32_e32 v14, vcc_lo, v21, v14, vcc_lo
; %bb.83:
	s_and_not1_saveexec_b32 s0, s0
; %bb.84:
	v_add_co_u32 v13, vcc_lo, v15, v34
	v_add_co_ci_u32_e32 v14, vcc_lo, 0, v17, vcc_lo
; %bb.85:
	s_or_b32 exec_lo, exec_lo, s0
	s_delay_alu instid0(VALU_DEP_1) | instskip(SKIP_1) | instid1(VALU_DEP_1)
	v_lshlrev_b64 v[13:14], 2, v[13:14]
	s_mov_b32 s0, exec_lo
	v_add_co_u32 v13, vcc_lo, s10, v13
	s_delay_alu instid0(VALU_DEP_2)
	v_add_co_ci_u32_e32 v14, vcc_lo, s11, v14, vcc_lo
	global_store_b32 v[13:14], v12, off
                                        ; implicit-def: $vgpr13_vgpr14
	v_cmpx_ge_u32_e64 v33, v16
	s_xor_b32 s0, exec_lo, s0
; %bb.86:
	v_xor_b32_e32 v13, 0xfffffdff, v0
	s_delay_alu instid0(VALU_DEP_1) | instskip(SKIP_1) | instid1(VALU_DEP_2)
	v_ashrrev_i32_e32 v14, 31, v13
	v_add_co_u32 v13, vcc_lo, v20, v13
	v_add_co_ci_u32_e32 v14, vcc_lo, v21, v14, vcc_lo
; %bb.87:
	s_and_not1_saveexec_b32 s0, s0
; %bb.88:
	v_add_co_u32 v13, vcc_lo, v15, v33
	v_add_co_ci_u32_e32 v14, vcc_lo, 0, v17, vcc_lo
; %bb.89:
	s_or_b32 exec_lo, exec_lo, s0
	s_delay_alu instid0(VALU_DEP_1) | instskip(SKIP_1) | instid1(VALU_DEP_1)
	v_lshlrev_b64 v[13:14], 2, v[13:14]
	s_mov_b32 s0, exec_lo
	v_add_co_u32 v13, vcc_lo, s10, v13
	s_delay_alu instid0(VALU_DEP_2)
	v_add_co_ci_u32_e32 v14, vcc_lo, s11, v14, vcc_lo
	s_waitcnt lgkmcnt(5)
	global_store_b32 v[13:14], v9, off
                                        ; implicit-def: $vgpr13_vgpr14
	v_cmpx_ge_u32_e64 v32, v16
	s_xor_b32 s0, exec_lo, s0
; %bb.90:
	v_xor_b32_e32 v13, 0xfffffcff, v0
	s_delay_alu instid0(VALU_DEP_1) | instskip(SKIP_1) | instid1(VALU_DEP_2)
	v_ashrrev_i32_e32 v14, 31, v13
	v_add_co_u32 v13, vcc_lo, v20, v13
	v_add_co_ci_u32_e32 v14, vcc_lo, v21, v14, vcc_lo
; %bb.91:
	s_and_not1_saveexec_b32 s0, s0
; %bb.92:
	v_add_co_u32 v13, vcc_lo, v15, v32
	v_add_co_ci_u32_e32 v14, vcc_lo, 0, v17, vcc_lo
; %bb.93:
	s_or_b32 exec_lo, exec_lo, s0
	s_delay_alu instid0(VALU_DEP_1) | instskip(SKIP_1) | instid1(VALU_DEP_1)
	v_lshlrev_b64 v[13:14], 2, v[13:14]
	s_mov_b32 s0, exec_lo
	v_add_co_u32 v13, vcc_lo, s10, v13
	s_delay_alu instid0(VALU_DEP_2)
	v_add_co_ci_u32_e32 v14, vcc_lo, s11, v14, vcc_lo
	global_store_b32 v[13:14], v10, off
                                        ; implicit-def: $vgpr13_vgpr14
	v_cmpx_ge_u32_e64 v29, v16
	s_xor_b32 s0, exec_lo, s0
; %bb.94:
	v_xor_b32_e32 v13, 0xfffffbff, v0
	;; [unrolled: 47-line block ×6, first 2 shown]
	s_delay_alu instid0(VALU_DEP_1) | instskip(SKIP_1) | instid1(VALU_DEP_2)
	v_ashrrev_i32_e32 v14, 31, v13
	v_add_co_u32 v13, vcc_lo, v20, v13
	v_add_co_ci_u32_e32 v14, vcc_lo, v21, v14, vcc_lo
; %bb.127:
	s_and_not1_saveexec_b32 s0, s0
; %bb.128:
	v_add_co_u32 v13, vcc_lo, v15, v19
	v_add_co_ci_u32_e32 v14, vcc_lo, 0, v17, vcc_lo
; %bb.129:
	s_or_b32 exec_lo, exec_lo, s0
	s_mov_b32 s0, -1
	s_branch .LBB1108_210
.LBB1108_130:
                                        ; implicit-def: $vgpr13_vgpr14
	s_cbranch_execz .LBB1108_210
; %bb.131:
	s_mov_b32 s1, exec_lo
	v_cmpx_gt_u32_e64 s22, v0
	s_cbranch_execz .LBB1108_167
; %bb.132:
	s_mov_b32 s2, exec_lo
                                        ; implicit-def: $vgpr13_vgpr14
	v_cmpx_ge_u32_e64 v0, v16
	s_xor_b32 s2, exec_lo, s2
; %bb.133:
	v_not_b32_e32 v13, v0
	s_delay_alu instid0(VALU_DEP_1) | instskip(SKIP_1) | instid1(VALU_DEP_2)
	v_ashrrev_i32_e32 v14, 31, v13
	v_add_co_u32 v13, vcc_lo, v20, v13
	v_add_co_ci_u32_e32 v14, vcc_lo, v21, v14, vcc_lo
; %bb.134:
	s_and_not1_saveexec_b32 s2, s2
; %bb.135:
	v_add_co_u32 v13, vcc_lo, v15, v0
	v_add_co_ci_u32_e32 v14, vcc_lo, 0, v17, vcc_lo
; %bb.136:
	s_or_b32 exec_lo, exec_lo, s2
	s_delay_alu instid0(VALU_DEP_1) | instskip(NEXT) | instid1(VALU_DEP_1)
	v_lshlrev_b64 v[13:14], 2, v[13:14]
	v_add_co_u32 v13, vcc_lo, s10, v13
	s_delay_alu instid0(VALU_DEP_2) | instskip(SKIP_3) | instid1(SALU_CYCLE_1)
	v_add_co_ci_u32_e32 v14, vcc_lo, s11, v14, vcc_lo
	s_waitcnt lgkmcnt(6)
	global_store_b32 v[13:14], v11, off
	s_or_b32 exec_lo, exec_lo, s1
	s_mov_b32 s1, exec_lo
	v_cmpx_gt_u32_e64 s22, v34
	s_cbranch_execnz .LBB1108_168
.LBB1108_137:
	s_or_b32 exec_lo, exec_lo, s1
	s_delay_alu instid0(SALU_CYCLE_1)
	s_mov_b32 s1, exec_lo
	v_cmpx_gt_u32_e64 s22, v33
	s_cbranch_execz .LBB1108_173
.LBB1108_138:
	s_mov_b32 s2, exec_lo
                                        ; implicit-def: $vgpr11_vgpr12
	v_cmpx_ge_u32_e64 v33, v16
	s_xor_b32 s2, exec_lo, s2
	s_cbranch_execz .LBB1108_140
; %bb.139:
	s_waitcnt lgkmcnt(6)
	v_xor_b32_e32 v11, 0xfffffdff, v0
                                        ; implicit-def: $vgpr33
	s_delay_alu instid0(VALU_DEP_1) | instskip(SKIP_1) | instid1(VALU_DEP_2)
	v_ashrrev_i32_e32 v12, 31, v11
	v_add_co_u32 v11, vcc_lo, v20, v11
	v_add_co_ci_u32_e32 v12, vcc_lo, v21, v12, vcc_lo
.LBB1108_140:
	s_and_not1_saveexec_b32 s2, s2
	s_cbranch_execz .LBB1108_142
; %bb.141:
	s_waitcnt lgkmcnt(6)
	v_add_co_u32 v11, vcc_lo, v15, v33
	v_add_co_ci_u32_e32 v12, vcc_lo, 0, v17, vcc_lo
.LBB1108_142:
	s_or_b32 exec_lo, exec_lo, s2
	s_waitcnt lgkmcnt(6)
	s_delay_alu instid0(VALU_DEP_1) | instskip(NEXT) | instid1(VALU_DEP_1)
	v_lshlrev_b64 v[11:12], 2, v[11:12]
	v_add_co_u32 v11, vcc_lo, s10, v11
	s_delay_alu instid0(VALU_DEP_2) | instskip(SKIP_3) | instid1(SALU_CYCLE_1)
	v_add_co_ci_u32_e32 v12, vcc_lo, s11, v12, vcc_lo
	s_waitcnt lgkmcnt(5)
	global_store_b32 v[11:12], v9, off
	s_or_b32 exec_lo, exec_lo, s1
	s_mov_b32 s1, exec_lo
	v_cmpx_gt_u32_e64 s22, v32
	s_cbranch_execnz .LBB1108_174
.LBB1108_143:
	s_or_b32 exec_lo, exec_lo, s1
	s_delay_alu instid0(SALU_CYCLE_1)
	s_mov_b32 s1, exec_lo
	v_cmpx_gt_u32_e64 s22, v29
	s_cbranch_execz .LBB1108_179
.LBB1108_144:
	s_mov_b32 s2, exec_lo
                                        ; implicit-def: $vgpr9_vgpr10
	v_cmpx_ge_u32_e64 v29, v16
	s_xor_b32 s2, exec_lo, s2
	s_cbranch_execz .LBB1108_146
; %bb.145:
	s_waitcnt lgkmcnt(5)
	v_xor_b32_e32 v9, 0xfffffbff, v0
                                        ; implicit-def: $vgpr29
	s_delay_alu instid0(VALU_DEP_1) | instskip(SKIP_1) | instid1(VALU_DEP_2)
	v_ashrrev_i32_e32 v10, 31, v9
	v_add_co_u32 v9, vcc_lo, v20, v9
	v_add_co_ci_u32_e32 v10, vcc_lo, v21, v10, vcc_lo
.LBB1108_146:
	s_and_not1_saveexec_b32 s2, s2
	s_cbranch_execz .LBB1108_148
; %bb.147:
	s_waitcnt lgkmcnt(5)
	v_add_co_u32 v9, vcc_lo, v15, v29
	v_add_co_ci_u32_e32 v10, vcc_lo, 0, v17, vcc_lo
.LBB1108_148:
	s_or_b32 exec_lo, exec_lo, s2
	s_waitcnt lgkmcnt(5)
	s_delay_alu instid0(VALU_DEP_1) | instskip(NEXT) | instid1(VALU_DEP_1)
	v_lshlrev_b64 v[9:10], 2, v[9:10]
	v_add_co_u32 v9, vcc_lo, s10, v9
	s_delay_alu instid0(VALU_DEP_2) | instskip(SKIP_3) | instid1(SALU_CYCLE_1)
	v_add_co_ci_u32_e32 v10, vcc_lo, s11, v10, vcc_lo
	s_waitcnt lgkmcnt(4)
	global_store_b32 v[9:10], v7, off
	s_or_b32 exec_lo, exec_lo, s1
	s_mov_b32 s1, exec_lo
	v_cmpx_gt_u32_e64 s22, v28
	s_cbranch_execnz .LBB1108_180
.LBB1108_149:
	s_or_b32 exec_lo, exec_lo, s1
	s_delay_alu instid0(SALU_CYCLE_1)
	s_mov_b32 s1, exec_lo
	v_cmpx_gt_u32_e64 s22, v27
	s_cbranch_execz .LBB1108_185
.LBB1108_150:
	s_mov_b32 s2, exec_lo
                                        ; implicit-def: $vgpr7_vgpr8
	v_cmpx_ge_u32_e64 v27, v16
	s_xor_b32 s2, exec_lo, s2
	s_cbranch_execz .LBB1108_152
; %bb.151:
	s_waitcnt lgkmcnt(4)
	v_xor_b32_e32 v7, 0xfffff9ff, v0
                                        ; implicit-def: $vgpr27
	s_delay_alu instid0(VALU_DEP_1) | instskip(SKIP_1) | instid1(VALU_DEP_2)
	v_ashrrev_i32_e32 v8, 31, v7
	v_add_co_u32 v7, vcc_lo, v20, v7
	v_add_co_ci_u32_e32 v8, vcc_lo, v21, v8, vcc_lo
.LBB1108_152:
	s_and_not1_saveexec_b32 s2, s2
	s_cbranch_execz .LBB1108_154
; %bb.153:
	s_waitcnt lgkmcnt(4)
	v_add_co_u32 v7, vcc_lo, v15, v27
	v_add_co_ci_u32_e32 v8, vcc_lo, 0, v17, vcc_lo
.LBB1108_154:
	s_or_b32 exec_lo, exec_lo, s2
	s_waitcnt lgkmcnt(4)
	s_delay_alu instid0(VALU_DEP_1) | instskip(NEXT) | instid1(VALU_DEP_1)
	v_lshlrev_b64 v[7:8], 2, v[7:8]
	v_add_co_u32 v7, vcc_lo, s10, v7
	s_delay_alu instid0(VALU_DEP_2) | instskip(SKIP_3) | instid1(SALU_CYCLE_1)
	v_add_co_ci_u32_e32 v8, vcc_lo, s11, v8, vcc_lo
	s_waitcnt lgkmcnt(3)
	global_store_b32 v[7:8], v5, off
	s_or_b32 exec_lo, exec_lo, s1
	s_mov_b32 s1, exec_lo
	v_cmpx_gt_u32_e64 s22, v26
	s_cbranch_execnz .LBB1108_186
.LBB1108_155:
	s_or_b32 exec_lo, exec_lo, s1
	s_delay_alu instid0(SALU_CYCLE_1)
	s_mov_b32 s1, exec_lo
	v_cmpx_gt_u32_e64 s22, v25
	s_cbranch_execz .LBB1108_191
.LBB1108_156:
	s_mov_b32 s2, exec_lo
                                        ; implicit-def: $vgpr5_vgpr6
	v_cmpx_ge_u32_e64 v25, v16
	s_xor_b32 s2, exec_lo, s2
	s_cbranch_execz .LBB1108_158
; %bb.157:
	s_waitcnt lgkmcnt(3)
	v_xor_b32_e32 v5, 0xfffff7ff, v0
                                        ; implicit-def: $vgpr25
	s_delay_alu instid0(VALU_DEP_1) | instskip(SKIP_1) | instid1(VALU_DEP_2)
	v_ashrrev_i32_e32 v6, 31, v5
	v_add_co_u32 v5, vcc_lo, v20, v5
	v_add_co_ci_u32_e32 v6, vcc_lo, v21, v6, vcc_lo
.LBB1108_158:
	s_and_not1_saveexec_b32 s2, s2
	s_cbranch_execz .LBB1108_160
; %bb.159:
	s_waitcnt lgkmcnt(3)
	v_add_co_u32 v5, vcc_lo, v15, v25
	v_add_co_ci_u32_e32 v6, vcc_lo, 0, v17, vcc_lo
.LBB1108_160:
	s_or_b32 exec_lo, exec_lo, s2
	s_waitcnt lgkmcnt(3)
	s_delay_alu instid0(VALU_DEP_1) | instskip(NEXT) | instid1(VALU_DEP_1)
	v_lshlrev_b64 v[5:6], 2, v[5:6]
	v_add_co_u32 v5, vcc_lo, s10, v5
	s_delay_alu instid0(VALU_DEP_2) | instskip(SKIP_3) | instid1(SALU_CYCLE_1)
	v_add_co_ci_u32_e32 v6, vcc_lo, s11, v6, vcc_lo
	s_waitcnt lgkmcnt(2)
	global_store_b32 v[5:6], v3, off
	s_or_b32 exec_lo, exec_lo, s1
	s_mov_b32 s1, exec_lo
	v_cmpx_gt_u32_e64 s22, v24
	s_cbranch_execnz .LBB1108_192
.LBB1108_161:
	s_or_b32 exec_lo, exec_lo, s1
	s_delay_alu instid0(SALU_CYCLE_1)
	s_mov_b32 s1, exec_lo
	v_cmpx_gt_u32_e64 s22, v23
	s_cbranch_execz .LBB1108_197
.LBB1108_162:
	s_mov_b32 s2, exec_lo
                                        ; implicit-def: $vgpr3_vgpr4
	v_cmpx_ge_u32_e64 v23, v16
	s_xor_b32 s2, exec_lo, s2
	s_cbranch_execz .LBB1108_164
; %bb.163:
	s_waitcnt lgkmcnt(2)
	v_xor_b32_e32 v3, 0xfffff5ff, v0
                                        ; implicit-def: $vgpr23
	s_delay_alu instid0(VALU_DEP_1) | instskip(SKIP_1) | instid1(VALU_DEP_2)
	v_ashrrev_i32_e32 v4, 31, v3
	v_add_co_u32 v3, vcc_lo, v20, v3
	v_add_co_ci_u32_e32 v4, vcc_lo, v21, v4, vcc_lo
.LBB1108_164:
	s_and_not1_saveexec_b32 s2, s2
	s_cbranch_execz .LBB1108_166
; %bb.165:
	s_waitcnt lgkmcnt(2)
	v_add_co_u32 v3, vcc_lo, v15, v23
	v_add_co_ci_u32_e32 v4, vcc_lo, 0, v17, vcc_lo
.LBB1108_166:
	s_or_b32 exec_lo, exec_lo, s2
	s_waitcnt lgkmcnt(2)
	s_delay_alu instid0(VALU_DEP_1) | instskip(NEXT) | instid1(VALU_DEP_1)
	v_lshlrev_b64 v[3:4], 2, v[3:4]
	v_add_co_u32 v3, vcc_lo, s10, v3
	s_delay_alu instid0(VALU_DEP_2) | instskip(SKIP_3) | instid1(SALU_CYCLE_1)
	v_add_co_ci_u32_e32 v4, vcc_lo, s11, v4, vcc_lo
	s_waitcnt lgkmcnt(1)
	global_store_b32 v[3:4], v1, off
	s_or_b32 exec_lo, exec_lo, s1
	s_mov_b32 s1, exec_lo
	v_cmpx_gt_u32_e64 s22, v22
	s_cbranch_execz .LBB1108_203
	s_branch .LBB1108_198
.LBB1108_167:
	s_or_b32 exec_lo, exec_lo, s1
	s_delay_alu instid0(SALU_CYCLE_1)
	s_mov_b32 s1, exec_lo
	v_cmpx_gt_u32_e64 s22, v34
	s_cbranch_execz .LBB1108_137
.LBB1108_168:
	s_mov_b32 s2, exec_lo
                                        ; implicit-def: $vgpr13_vgpr14
	v_cmpx_ge_u32_e64 v34, v16
	s_xor_b32 s2, exec_lo, s2
	s_cbranch_execz .LBB1108_170
; %bb.169:
	s_waitcnt lgkmcnt(6)
	v_xor_b32_e32 v11, 0xfffffeff, v0
                                        ; implicit-def: $vgpr34
	s_delay_alu instid0(VALU_DEP_1) | instskip(SKIP_1) | instid1(VALU_DEP_2)
	v_ashrrev_i32_e32 v14, 31, v11
	v_add_co_u32 v13, vcc_lo, v20, v11
	v_add_co_ci_u32_e32 v14, vcc_lo, v21, v14, vcc_lo
.LBB1108_170:
	s_and_not1_saveexec_b32 s2, s2
; %bb.171:
	v_add_co_u32 v13, vcc_lo, v15, v34
	v_add_co_ci_u32_e32 v14, vcc_lo, 0, v17, vcc_lo
; %bb.172:
	s_or_b32 exec_lo, exec_lo, s2
	s_delay_alu instid0(VALU_DEP_1) | instskip(NEXT) | instid1(VALU_DEP_1)
	v_lshlrev_b64 v[13:14], 2, v[13:14]
	v_add_co_u32 v13, vcc_lo, s10, v13
	s_delay_alu instid0(VALU_DEP_2) | instskip(SKIP_3) | instid1(SALU_CYCLE_1)
	v_add_co_ci_u32_e32 v14, vcc_lo, s11, v14, vcc_lo
	s_waitcnt lgkmcnt(6)
	global_store_b32 v[13:14], v12, off
	s_or_b32 exec_lo, exec_lo, s1
	s_mov_b32 s1, exec_lo
	v_cmpx_gt_u32_e64 s22, v33
	s_cbranch_execnz .LBB1108_138
.LBB1108_173:
	s_or_b32 exec_lo, exec_lo, s1
	s_delay_alu instid0(SALU_CYCLE_1)
	s_mov_b32 s1, exec_lo
	v_cmpx_gt_u32_e64 s22, v32
	s_cbranch_execz .LBB1108_143
.LBB1108_174:
	s_mov_b32 s2, exec_lo
                                        ; implicit-def: $vgpr11_vgpr12
	v_cmpx_ge_u32_e64 v32, v16
	s_xor_b32 s2, exec_lo, s2
	s_cbranch_execz .LBB1108_176
; %bb.175:
	s_waitcnt lgkmcnt(5)
	v_xor_b32_e32 v9, 0xfffffcff, v0
                                        ; implicit-def: $vgpr32
	s_delay_alu instid0(VALU_DEP_1) | instskip(SKIP_1) | instid1(VALU_DEP_2)
	v_ashrrev_i32_e32 v12, 31, v9
	v_add_co_u32 v11, vcc_lo, v20, v9
	v_add_co_ci_u32_e32 v12, vcc_lo, v21, v12, vcc_lo
.LBB1108_176:
	s_and_not1_saveexec_b32 s2, s2
	s_cbranch_execz .LBB1108_178
; %bb.177:
	s_waitcnt lgkmcnt(6)
	v_add_co_u32 v11, vcc_lo, v15, v32
	v_add_co_ci_u32_e32 v12, vcc_lo, 0, v17, vcc_lo
.LBB1108_178:
	s_or_b32 exec_lo, exec_lo, s2
	s_waitcnt lgkmcnt(6)
	s_delay_alu instid0(VALU_DEP_1) | instskip(NEXT) | instid1(VALU_DEP_1)
	v_lshlrev_b64 v[11:12], 2, v[11:12]
	v_add_co_u32 v11, vcc_lo, s10, v11
	s_delay_alu instid0(VALU_DEP_2) | instskip(SKIP_3) | instid1(SALU_CYCLE_1)
	v_add_co_ci_u32_e32 v12, vcc_lo, s11, v12, vcc_lo
	s_waitcnt lgkmcnt(5)
	global_store_b32 v[11:12], v10, off
	s_or_b32 exec_lo, exec_lo, s1
	s_mov_b32 s1, exec_lo
	v_cmpx_gt_u32_e64 s22, v29
	s_cbranch_execnz .LBB1108_144
.LBB1108_179:
	s_or_b32 exec_lo, exec_lo, s1
	s_delay_alu instid0(SALU_CYCLE_1)
	s_mov_b32 s1, exec_lo
	v_cmpx_gt_u32_e64 s22, v28
	s_cbranch_execz .LBB1108_149
.LBB1108_180:
	s_mov_b32 s2, exec_lo
                                        ; implicit-def: $vgpr9_vgpr10
	v_cmpx_ge_u32_e64 v28, v16
	s_xor_b32 s2, exec_lo, s2
	s_cbranch_execz .LBB1108_182
; %bb.181:
	s_waitcnt lgkmcnt(4)
	v_xor_b32_e32 v7, 0xfffffaff, v0
                                        ; implicit-def: $vgpr28
	s_delay_alu instid0(VALU_DEP_1) | instskip(SKIP_1) | instid1(VALU_DEP_2)
	v_ashrrev_i32_e32 v10, 31, v7
	v_add_co_u32 v9, vcc_lo, v20, v7
	v_add_co_ci_u32_e32 v10, vcc_lo, v21, v10, vcc_lo
.LBB1108_182:
	s_and_not1_saveexec_b32 s2, s2
	s_cbranch_execz .LBB1108_184
; %bb.183:
	s_waitcnt lgkmcnt(5)
	v_add_co_u32 v9, vcc_lo, v15, v28
	v_add_co_ci_u32_e32 v10, vcc_lo, 0, v17, vcc_lo
.LBB1108_184:
	s_or_b32 exec_lo, exec_lo, s2
	s_waitcnt lgkmcnt(5)
	s_delay_alu instid0(VALU_DEP_1) | instskip(NEXT) | instid1(VALU_DEP_1)
	v_lshlrev_b64 v[9:10], 2, v[9:10]
	v_add_co_u32 v9, vcc_lo, s10, v9
	s_delay_alu instid0(VALU_DEP_2) | instskip(SKIP_3) | instid1(SALU_CYCLE_1)
	v_add_co_ci_u32_e32 v10, vcc_lo, s11, v10, vcc_lo
	s_waitcnt lgkmcnt(4)
	global_store_b32 v[9:10], v8, off
	s_or_b32 exec_lo, exec_lo, s1
	s_mov_b32 s1, exec_lo
	v_cmpx_gt_u32_e64 s22, v27
	s_cbranch_execnz .LBB1108_150
.LBB1108_185:
	s_or_b32 exec_lo, exec_lo, s1
	s_delay_alu instid0(SALU_CYCLE_1)
	s_mov_b32 s1, exec_lo
	v_cmpx_gt_u32_e64 s22, v26
	s_cbranch_execz .LBB1108_155
.LBB1108_186:
	s_mov_b32 s2, exec_lo
                                        ; implicit-def: $vgpr7_vgpr8
	v_cmpx_ge_u32_e64 v26, v16
	s_xor_b32 s2, exec_lo, s2
	s_cbranch_execz .LBB1108_188
; %bb.187:
	s_waitcnt lgkmcnt(3)
	v_xor_b32_e32 v5, 0xfffff8ff, v0
                                        ; implicit-def: $vgpr26
	s_delay_alu instid0(VALU_DEP_1) | instskip(SKIP_1) | instid1(VALU_DEP_2)
	v_ashrrev_i32_e32 v8, 31, v5
	v_add_co_u32 v7, vcc_lo, v20, v5
	v_add_co_ci_u32_e32 v8, vcc_lo, v21, v8, vcc_lo
.LBB1108_188:
	s_and_not1_saveexec_b32 s2, s2
	s_cbranch_execz .LBB1108_190
; %bb.189:
	s_waitcnt lgkmcnt(4)
	v_add_co_u32 v7, vcc_lo, v15, v26
	v_add_co_ci_u32_e32 v8, vcc_lo, 0, v17, vcc_lo
.LBB1108_190:
	s_or_b32 exec_lo, exec_lo, s2
	s_waitcnt lgkmcnt(4)
	s_delay_alu instid0(VALU_DEP_1) | instskip(NEXT) | instid1(VALU_DEP_1)
	v_lshlrev_b64 v[7:8], 2, v[7:8]
	v_add_co_u32 v7, vcc_lo, s10, v7
	s_delay_alu instid0(VALU_DEP_2) | instskip(SKIP_3) | instid1(SALU_CYCLE_1)
	v_add_co_ci_u32_e32 v8, vcc_lo, s11, v8, vcc_lo
	s_waitcnt lgkmcnt(3)
	global_store_b32 v[7:8], v6, off
	s_or_b32 exec_lo, exec_lo, s1
	s_mov_b32 s1, exec_lo
	v_cmpx_gt_u32_e64 s22, v25
	s_cbranch_execnz .LBB1108_156
.LBB1108_191:
	s_or_b32 exec_lo, exec_lo, s1
	s_delay_alu instid0(SALU_CYCLE_1)
	s_mov_b32 s1, exec_lo
	v_cmpx_gt_u32_e64 s22, v24
	s_cbranch_execz .LBB1108_161
.LBB1108_192:
	s_mov_b32 s2, exec_lo
                                        ; implicit-def: $vgpr5_vgpr6
	v_cmpx_ge_u32_e64 v24, v16
	s_xor_b32 s2, exec_lo, s2
	s_cbranch_execz .LBB1108_194
; %bb.193:
	s_waitcnt lgkmcnt(2)
	v_xor_b32_e32 v3, 0xfffff6ff, v0
                                        ; implicit-def: $vgpr24
	s_delay_alu instid0(VALU_DEP_1) | instskip(SKIP_1) | instid1(VALU_DEP_2)
	v_ashrrev_i32_e32 v6, 31, v3
	v_add_co_u32 v5, vcc_lo, v20, v3
	v_add_co_ci_u32_e32 v6, vcc_lo, v21, v6, vcc_lo
.LBB1108_194:
	s_and_not1_saveexec_b32 s2, s2
	s_cbranch_execz .LBB1108_196
; %bb.195:
	s_waitcnt lgkmcnt(3)
	v_add_co_u32 v5, vcc_lo, v15, v24
	v_add_co_ci_u32_e32 v6, vcc_lo, 0, v17, vcc_lo
.LBB1108_196:
	s_or_b32 exec_lo, exec_lo, s2
	s_waitcnt lgkmcnt(3)
	s_delay_alu instid0(VALU_DEP_1) | instskip(NEXT) | instid1(VALU_DEP_1)
	v_lshlrev_b64 v[5:6], 2, v[5:6]
	v_add_co_u32 v5, vcc_lo, s10, v5
	s_delay_alu instid0(VALU_DEP_2) | instskip(SKIP_3) | instid1(SALU_CYCLE_1)
	v_add_co_ci_u32_e32 v6, vcc_lo, s11, v6, vcc_lo
	s_waitcnt lgkmcnt(2)
	global_store_b32 v[5:6], v4, off
	s_or_b32 exec_lo, exec_lo, s1
	s_mov_b32 s1, exec_lo
	v_cmpx_gt_u32_e64 s22, v23
	s_cbranch_execnz .LBB1108_162
.LBB1108_197:
	s_or_b32 exec_lo, exec_lo, s1
	s_delay_alu instid0(SALU_CYCLE_1)
	s_mov_b32 s1, exec_lo
	v_cmpx_gt_u32_e64 s22, v22
	s_cbranch_execz .LBB1108_203
.LBB1108_198:
	s_mov_b32 s2, exec_lo
                                        ; implicit-def: $vgpr3_vgpr4
	v_cmpx_ge_u32_e64 v22, v16
	s_xor_b32 s2, exec_lo, s2
	s_cbranch_execz .LBB1108_200
; %bb.199:
	s_waitcnt lgkmcnt(1)
	v_xor_b32_e32 v1, 0xfffff4ff, v0
                                        ; implicit-def: $vgpr22
	s_delay_alu instid0(VALU_DEP_1) | instskip(SKIP_1) | instid1(VALU_DEP_2)
	v_ashrrev_i32_e32 v4, 31, v1
	v_add_co_u32 v3, vcc_lo, v20, v1
	v_add_co_ci_u32_e32 v4, vcc_lo, v21, v4, vcc_lo
.LBB1108_200:
	s_and_not1_saveexec_b32 s2, s2
	s_cbranch_execz .LBB1108_202
; %bb.201:
	s_waitcnt lgkmcnt(2)
	v_add_co_u32 v3, vcc_lo, v15, v22
	v_add_co_ci_u32_e32 v4, vcc_lo, 0, v17, vcc_lo
.LBB1108_202:
	s_or_b32 exec_lo, exec_lo, s2
	s_waitcnt lgkmcnt(2)
	s_delay_alu instid0(VALU_DEP_1) | instskip(NEXT) | instid1(VALU_DEP_1)
	v_lshlrev_b64 v[3:4], 2, v[3:4]
	v_add_co_u32 v3, vcc_lo, s10, v3
	s_delay_alu instid0(VALU_DEP_2)
	v_add_co_ci_u32_e32 v4, vcc_lo, s11, v4, vcc_lo
	s_waitcnt lgkmcnt(1)
	global_store_b32 v[3:4], v2, off
.LBB1108_203:
	s_or_b32 exec_lo, exec_lo, s1
	s_delay_alu instid0(SALU_CYCLE_1)
	s_mov_b32 s1, exec_lo
                                        ; implicit-def: $vgpr13_vgpr14
	v_cmpx_gt_u32_e64 s22, v19
	s_cbranch_execz .LBB1108_209
; %bb.204:
	s_mov_b32 s2, exec_lo
                                        ; implicit-def: $vgpr13_vgpr14
	v_cmpx_ge_u32_e64 v19, v16
	s_xor_b32 s2, exec_lo, s2
	s_cbranch_execz .LBB1108_206
; %bb.205:
	s_waitcnt lgkmcnt(1)
	v_xor_b32_e32 v1, 0xfffff3ff, v0
                                        ; implicit-def: $vgpr19
	s_delay_alu instid0(VALU_DEP_1) | instskip(SKIP_1) | instid1(VALU_DEP_2)
	v_ashrrev_i32_e32 v2, 31, v1
	v_add_co_u32 v13, vcc_lo, v20, v1
	v_add_co_ci_u32_e32 v14, vcc_lo, v21, v2, vcc_lo
.LBB1108_206:
	s_and_not1_saveexec_b32 s2, s2
; %bb.207:
	v_add_co_u32 v13, vcc_lo, v15, v19
	v_add_co_ci_u32_e32 v14, vcc_lo, 0, v17, vcc_lo
; %bb.208:
	s_or_b32 exec_lo, exec_lo, s2
	s_delay_alu instid0(SALU_CYCLE_1)
	s_or_b32 s0, s0, exec_lo
.LBB1108_209:
	s_or_b32 exec_lo, exec_lo, s1
.LBB1108_210:
	s_and_saveexec_b32 s1, s0
	s_cbranch_execz .LBB1108_212
; %bb.211:
	s_waitcnt lgkmcnt(1)
	v_lshlrev_b64 v[1:2], 2, v[13:14]
	s_delay_alu instid0(VALU_DEP_1) | instskip(NEXT) | instid1(VALU_DEP_2)
	v_add_co_u32 v1, vcc_lo, s10, v1
	v_add_co_ci_u32_e32 v2, vcc_lo, s11, v2, vcc_lo
	s_waitcnt lgkmcnt(0)
	global_store_b32 v[1:2], v18, off
.LBB1108_212:
	s_or_b32 exec_lo, exec_lo, s1
	v_cmp_eq_u32_e32 vcc_lo, 0, v0
	s_and_b32 s0, vcc_lo, s14
	s_delay_alu instid0(SALU_CYCLE_1)
	s_and_saveexec_b32 s1, s0
	s_cbranch_execz .LBB1108_214
; %bb.213:
	v_add_co_u32 v0, vcc_lo, v15, v16
	s_waitcnt lgkmcnt(1)
	v_mov_b32_e32 v2, 0
	v_add_co_ci_u32_e32 v1, vcc_lo, 0, v17, vcc_lo
	global_store_b64 v2, v[0:1], s[8:9]
.LBB1108_214:
	s_nop 0
	s_sendmsg sendmsg(MSG_DEALLOC_VGPRS)
	s_endpgm
	.section	.rodata,"a",@progbits
	.p2align	6, 0x0
	.amdhsa_kernel _ZN7rocprim17ROCPRIM_400000_NS6detail17trampoline_kernelINS0_13select_configILj256ELj13ELNS0_17block_load_methodE3ELS4_3ELS4_3ELNS0_20block_scan_algorithmE0ELj4294967295EEENS1_25partition_config_selectorILNS1_17partition_subalgoE3EjNS0_10empty_typeEbEEZZNS1_14partition_implILS8_3ELb0ES6_jNS0_17counting_iteratorIjlEEPS9_SE_NS0_5tupleIJPjSE_EEENSF_IJSE_SE_EEES9_SG_JZNS1_25segmented_radix_sort_implINS0_14default_configELb1EPKdPdPKlPlN2at6native12_GLOBAL__N_18offset_tEEE10hipError_tPvRmT1_PNSt15iterator_traitsISY_E10value_typeET2_T3_PNSZ_IS14_E10value_typeET4_jRbjT5_S1A_jjP12ihipStream_tbEUljE_EEESV_SW_SX_S14_S18_S1A_T6_T7_T9_mT8_S1C_bDpT10_ENKUlT_T0_E_clISt17integral_constantIbLb1EES1O_IbLb0EEEEDaS1K_S1L_EUlS1K_E_NS1_11comp_targetILNS1_3genE9ELNS1_11target_archE1100ELNS1_3gpuE3ELNS1_3repE0EEENS1_30default_config_static_selectorELNS0_4arch9wavefront6targetE0EEEvSY_
		.amdhsa_group_segment_fixed_size 13324
		.amdhsa_private_segment_fixed_size 0
		.amdhsa_kernarg_size 144
		.amdhsa_user_sgpr_count 15
		.amdhsa_user_sgpr_dispatch_ptr 0
		.amdhsa_user_sgpr_queue_ptr 0
		.amdhsa_user_sgpr_kernarg_segment_ptr 1
		.amdhsa_user_sgpr_dispatch_id 0
		.amdhsa_user_sgpr_private_segment_size 0
		.amdhsa_wavefront_size32 1
		.amdhsa_uses_dynamic_stack 0
		.amdhsa_enable_private_segment 0
		.amdhsa_system_sgpr_workgroup_id_x 1
		.amdhsa_system_sgpr_workgroup_id_y 0
		.amdhsa_system_sgpr_workgroup_id_z 0
		.amdhsa_system_sgpr_workgroup_info 0
		.amdhsa_system_vgpr_workitem_id 0
		.amdhsa_next_free_vgpr 57
		.amdhsa_next_free_sgpr 28
		.amdhsa_reserve_vcc 1
		.amdhsa_float_round_mode_32 0
		.amdhsa_float_round_mode_16_64 0
		.amdhsa_float_denorm_mode_32 3
		.amdhsa_float_denorm_mode_16_64 3
		.amdhsa_dx10_clamp 1
		.amdhsa_ieee_mode 1
		.amdhsa_fp16_overflow 0
		.amdhsa_workgroup_processor_mode 1
		.amdhsa_memory_ordered 1
		.amdhsa_forward_progress 0
		.amdhsa_shared_vgpr_count 0
		.amdhsa_exception_fp_ieee_invalid_op 0
		.amdhsa_exception_fp_denorm_src 0
		.amdhsa_exception_fp_ieee_div_zero 0
		.amdhsa_exception_fp_ieee_overflow 0
		.amdhsa_exception_fp_ieee_underflow 0
		.amdhsa_exception_fp_ieee_inexact 0
		.amdhsa_exception_int_div_zero 0
	.end_amdhsa_kernel
	.section	.text._ZN7rocprim17ROCPRIM_400000_NS6detail17trampoline_kernelINS0_13select_configILj256ELj13ELNS0_17block_load_methodE3ELS4_3ELS4_3ELNS0_20block_scan_algorithmE0ELj4294967295EEENS1_25partition_config_selectorILNS1_17partition_subalgoE3EjNS0_10empty_typeEbEEZZNS1_14partition_implILS8_3ELb0ES6_jNS0_17counting_iteratorIjlEEPS9_SE_NS0_5tupleIJPjSE_EEENSF_IJSE_SE_EEES9_SG_JZNS1_25segmented_radix_sort_implINS0_14default_configELb1EPKdPdPKlPlN2at6native12_GLOBAL__N_18offset_tEEE10hipError_tPvRmT1_PNSt15iterator_traitsISY_E10value_typeET2_T3_PNSZ_IS14_E10value_typeET4_jRbjT5_S1A_jjP12ihipStream_tbEUljE_EEESV_SW_SX_S14_S18_S1A_T6_T7_T9_mT8_S1C_bDpT10_ENKUlT_T0_E_clISt17integral_constantIbLb1EES1O_IbLb0EEEEDaS1K_S1L_EUlS1K_E_NS1_11comp_targetILNS1_3genE9ELNS1_11target_archE1100ELNS1_3gpuE3ELNS1_3repE0EEENS1_30default_config_static_selectorELNS0_4arch9wavefront6targetE0EEEvSY_,"axG",@progbits,_ZN7rocprim17ROCPRIM_400000_NS6detail17trampoline_kernelINS0_13select_configILj256ELj13ELNS0_17block_load_methodE3ELS4_3ELS4_3ELNS0_20block_scan_algorithmE0ELj4294967295EEENS1_25partition_config_selectorILNS1_17partition_subalgoE3EjNS0_10empty_typeEbEEZZNS1_14partition_implILS8_3ELb0ES6_jNS0_17counting_iteratorIjlEEPS9_SE_NS0_5tupleIJPjSE_EEENSF_IJSE_SE_EEES9_SG_JZNS1_25segmented_radix_sort_implINS0_14default_configELb1EPKdPdPKlPlN2at6native12_GLOBAL__N_18offset_tEEE10hipError_tPvRmT1_PNSt15iterator_traitsISY_E10value_typeET2_T3_PNSZ_IS14_E10value_typeET4_jRbjT5_S1A_jjP12ihipStream_tbEUljE_EEESV_SW_SX_S14_S18_S1A_T6_T7_T9_mT8_S1C_bDpT10_ENKUlT_T0_E_clISt17integral_constantIbLb1EES1O_IbLb0EEEEDaS1K_S1L_EUlS1K_E_NS1_11comp_targetILNS1_3genE9ELNS1_11target_archE1100ELNS1_3gpuE3ELNS1_3repE0EEENS1_30default_config_static_selectorELNS0_4arch9wavefront6targetE0EEEvSY_,comdat
.Lfunc_end1108:
	.size	_ZN7rocprim17ROCPRIM_400000_NS6detail17trampoline_kernelINS0_13select_configILj256ELj13ELNS0_17block_load_methodE3ELS4_3ELS4_3ELNS0_20block_scan_algorithmE0ELj4294967295EEENS1_25partition_config_selectorILNS1_17partition_subalgoE3EjNS0_10empty_typeEbEEZZNS1_14partition_implILS8_3ELb0ES6_jNS0_17counting_iteratorIjlEEPS9_SE_NS0_5tupleIJPjSE_EEENSF_IJSE_SE_EEES9_SG_JZNS1_25segmented_radix_sort_implINS0_14default_configELb1EPKdPdPKlPlN2at6native12_GLOBAL__N_18offset_tEEE10hipError_tPvRmT1_PNSt15iterator_traitsISY_E10value_typeET2_T3_PNSZ_IS14_E10value_typeET4_jRbjT5_S1A_jjP12ihipStream_tbEUljE_EEESV_SW_SX_S14_S18_S1A_T6_T7_T9_mT8_S1C_bDpT10_ENKUlT_T0_E_clISt17integral_constantIbLb1EES1O_IbLb0EEEEDaS1K_S1L_EUlS1K_E_NS1_11comp_targetILNS1_3genE9ELNS1_11target_archE1100ELNS1_3gpuE3ELNS1_3repE0EEENS1_30default_config_static_selectorELNS0_4arch9wavefront6targetE0EEEvSY_, .Lfunc_end1108-_ZN7rocprim17ROCPRIM_400000_NS6detail17trampoline_kernelINS0_13select_configILj256ELj13ELNS0_17block_load_methodE3ELS4_3ELS4_3ELNS0_20block_scan_algorithmE0ELj4294967295EEENS1_25partition_config_selectorILNS1_17partition_subalgoE3EjNS0_10empty_typeEbEEZZNS1_14partition_implILS8_3ELb0ES6_jNS0_17counting_iteratorIjlEEPS9_SE_NS0_5tupleIJPjSE_EEENSF_IJSE_SE_EEES9_SG_JZNS1_25segmented_radix_sort_implINS0_14default_configELb1EPKdPdPKlPlN2at6native12_GLOBAL__N_18offset_tEEE10hipError_tPvRmT1_PNSt15iterator_traitsISY_E10value_typeET2_T3_PNSZ_IS14_E10value_typeET4_jRbjT5_S1A_jjP12ihipStream_tbEUljE_EEESV_SW_SX_S14_S18_S1A_T6_T7_T9_mT8_S1C_bDpT10_ENKUlT_T0_E_clISt17integral_constantIbLb1EES1O_IbLb0EEEEDaS1K_S1L_EUlS1K_E_NS1_11comp_targetILNS1_3genE9ELNS1_11target_archE1100ELNS1_3gpuE3ELNS1_3repE0EEENS1_30default_config_static_selectorELNS0_4arch9wavefront6targetE0EEEvSY_
                                        ; -- End function
	.section	.AMDGPU.csdata,"",@progbits
; Kernel info:
; codeLenInByte = 8964
; NumSgprs: 30
; NumVgprs: 57
; ScratchSize: 0
; MemoryBound: 0
; FloatMode: 240
; IeeeMode: 1
; LDSByteSize: 13324 bytes/workgroup (compile time only)
; SGPRBlocks: 3
; VGPRBlocks: 7
; NumSGPRsForWavesPerEU: 30
; NumVGPRsForWavesPerEU: 57
; Occupancy: 16
; WaveLimiterHint : 0
; COMPUTE_PGM_RSRC2:SCRATCH_EN: 0
; COMPUTE_PGM_RSRC2:USER_SGPR: 15
; COMPUTE_PGM_RSRC2:TRAP_HANDLER: 0
; COMPUTE_PGM_RSRC2:TGID_X_EN: 1
; COMPUTE_PGM_RSRC2:TGID_Y_EN: 0
; COMPUTE_PGM_RSRC2:TGID_Z_EN: 0
; COMPUTE_PGM_RSRC2:TIDIG_COMP_CNT: 0
	.section	.text._ZN7rocprim17ROCPRIM_400000_NS6detail17trampoline_kernelINS0_13select_configILj256ELj13ELNS0_17block_load_methodE3ELS4_3ELS4_3ELNS0_20block_scan_algorithmE0ELj4294967295EEENS1_25partition_config_selectorILNS1_17partition_subalgoE3EjNS0_10empty_typeEbEEZZNS1_14partition_implILS8_3ELb0ES6_jNS0_17counting_iteratorIjlEEPS9_SE_NS0_5tupleIJPjSE_EEENSF_IJSE_SE_EEES9_SG_JZNS1_25segmented_radix_sort_implINS0_14default_configELb1EPKdPdPKlPlN2at6native12_GLOBAL__N_18offset_tEEE10hipError_tPvRmT1_PNSt15iterator_traitsISY_E10value_typeET2_T3_PNSZ_IS14_E10value_typeET4_jRbjT5_S1A_jjP12ihipStream_tbEUljE_EEESV_SW_SX_S14_S18_S1A_T6_T7_T9_mT8_S1C_bDpT10_ENKUlT_T0_E_clISt17integral_constantIbLb1EES1O_IbLb0EEEEDaS1K_S1L_EUlS1K_E_NS1_11comp_targetILNS1_3genE8ELNS1_11target_archE1030ELNS1_3gpuE2ELNS1_3repE0EEENS1_30default_config_static_selectorELNS0_4arch9wavefront6targetE0EEEvSY_,"axG",@progbits,_ZN7rocprim17ROCPRIM_400000_NS6detail17trampoline_kernelINS0_13select_configILj256ELj13ELNS0_17block_load_methodE3ELS4_3ELS4_3ELNS0_20block_scan_algorithmE0ELj4294967295EEENS1_25partition_config_selectorILNS1_17partition_subalgoE3EjNS0_10empty_typeEbEEZZNS1_14partition_implILS8_3ELb0ES6_jNS0_17counting_iteratorIjlEEPS9_SE_NS0_5tupleIJPjSE_EEENSF_IJSE_SE_EEES9_SG_JZNS1_25segmented_radix_sort_implINS0_14default_configELb1EPKdPdPKlPlN2at6native12_GLOBAL__N_18offset_tEEE10hipError_tPvRmT1_PNSt15iterator_traitsISY_E10value_typeET2_T3_PNSZ_IS14_E10value_typeET4_jRbjT5_S1A_jjP12ihipStream_tbEUljE_EEESV_SW_SX_S14_S18_S1A_T6_T7_T9_mT8_S1C_bDpT10_ENKUlT_T0_E_clISt17integral_constantIbLb1EES1O_IbLb0EEEEDaS1K_S1L_EUlS1K_E_NS1_11comp_targetILNS1_3genE8ELNS1_11target_archE1030ELNS1_3gpuE2ELNS1_3repE0EEENS1_30default_config_static_selectorELNS0_4arch9wavefront6targetE0EEEvSY_,comdat
	.globl	_ZN7rocprim17ROCPRIM_400000_NS6detail17trampoline_kernelINS0_13select_configILj256ELj13ELNS0_17block_load_methodE3ELS4_3ELS4_3ELNS0_20block_scan_algorithmE0ELj4294967295EEENS1_25partition_config_selectorILNS1_17partition_subalgoE3EjNS0_10empty_typeEbEEZZNS1_14partition_implILS8_3ELb0ES6_jNS0_17counting_iteratorIjlEEPS9_SE_NS0_5tupleIJPjSE_EEENSF_IJSE_SE_EEES9_SG_JZNS1_25segmented_radix_sort_implINS0_14default_configELb1EPKdPdPKlPlN2at6native12_GLOBAL__N_18offset_tEEE10hipError_tPvRmT1_PNSt15iterator_traitsISY_E10value_typeET2_T3_PNSZ_IS14_E10value_typeET4_jRbjT5_S1A_jjP12ihipStream_tbEUljE_EEESV_SW_SX_S14_S18_S1A_T6_T7_T9_mT8_S1C_bDpT10_ENKUlT_T0_E_clISt17integral_constantIbLb1EES1O_IbLb0EEEEDaS1K_S1L_EUlS1K_E_NS1_11comp_targetILNS1_3genE8ELNS1_11target_archE1030ELNS1_3gpuE2ELNS1_3repE0EEENS1_30default_config_static_selectorELNS0_4arch9wavefront6targetE0EEEvSY_ ; -- Begin function _ZN7rocprim17ROCPRIM_400000_NS6detail17trampoline_kernelINS0_13select_configILj256ELj13ELNS0_17block_load_methodE3ELS4_3ELS4_3ELNS0_20block_scan_algorithmE0ELj4294967295EEENS1_25partition_config_selectorILNS1_17partition_subalgoE3EjNS0_10empty_typeEbEEZZNS1_14partition_implILS8_3ELb0ES6_jNS0_17counting_iteratorIjlEEPS9_SE_NS0_5tupleIJPjSE_EEENSF_IJSE_SE_EEES9_SG_JZNS1_25segmented_radix_sort_implINS0_14default_configELb1EPKdPdPKlPlN2at6native12_GLOBAL__N_18offset_tEEE10hipError_tPvRmT1_PNSt15iterator_traitsISY_E10value_typeET2_T3_PNSZ_IS14_E10value_typeET4_jRbjT5_S1A_jjP12ihipStream_tbEUljE_EEESV_SW_SX_S14_S18_S1A_T6_T7_T9_mT8_S1C_bDpT10_ENKUlT_T0_E_clISt17integral_constantIbLb1EES1O_IbLb0EEEEDaS1K_S1L_EUlS1K_E_NS1_11comp_targetILNS1_3genE8ELNS1_11target_archE1030ELNS1_3gpuE2ELNS1_3repE0EEENS1_30default_config_static_selectorELNS0_4arch9wavefront6targetE0EEEvSY_
	.p2align	8
	.type	_ZN7rocprim17ROCPRIM_400000_NS6detail17trampoline_kernelINS0_13select_configILj256ELj13ELNS0_17block_load_methodE3ELS4_3ELS4_3ELNS0_20block_scan_algorithmE0ELj4294967295EEENS1_25partition_config_selectorILNS1_17partition_subalgoE3EjNS0_10empty_typeEbEEZZNS1_14partition_implILS8_3ELb0ES6_jNS0_17counting_iteratorIjlEEPS9_SE_NS0_5tupleIJPjSE_EEENSF_IJSE_SE_EEES9_SG_JZNS1_25segmented_radix_sort_implINS0_14default_configELb1EPKdPdPKlPlN2at6native12_GLOBAL__N_18offset_tEEE10hipError_tPvRmT1_PNSt15iterator_traitsISY_E10value_typeET2_T3_PNSZ_IS14_E10value_typeET4_jRbjT5_S1A_jjP12ihipStream_tbEUljE_EEESV_SW_SX_S14_S18_S1A_T6_T7_T9_mT8_S1C_bDpT10_ENKUlT_T0_E_clISt17integral_constantIbLb1EES1O_IbLb0EEEEDaS1K_S1L_EUlS1K_E_NS1_11comp_targetILNS1_3genE8ELNS1_11target_archE1030ELNS1_3gpuE2ELNS1_3repE0EEENS1_30default_config_static_selectorELNS0_4arch9wavefront6targetE0EEEvSY_,@function
_ZN7rocprim17ROCPRIM_400000_NS6detail17trampoline_kernelINS0_13select_configILj256ELj13ELNS0_17block_load_methodE3ELS4_3ELS4_3ELNS0_20block_scan_algorithmE0ELj4294967295EEENS1_25partition_config_selectorILNS1_17partition_subalgoE3EjNS0_10empty_typeEbEEZZNS1_14partition_implILS8_3ELb0ES6_jNS0_17counting_iteratorIjlEEPS9_SE_NS0_5tupleIJPjSE_EEENSF_IJSE_SE_EEES9_SG_JZNS1_25segmented_radix_sort_implINS0_14default_configELb1EPKdPdPKlPlN2at6native12_GLOBAL__N_18offset_tEEE10hipError_tPvRmT1_PNSt15iterator_traitsISY_E10value_typeET2_T3_PNSZ_IS14_E10value_typeET4_jRbjT5_S1A_jjP12ihipStream_tbEUljE_EEESV_SW_SX_S14_S18_S1A_T6_T7_T9_mT8_S1C_bDpT10_ENKUlT_T0_E_clISt17integral_constantIbLb1EES1O_IbLb0EEEEDaS1K_S1L_EUlS1K_E_NS1_11comp_targetILNS1_3genE8ELNS1_11target_archE1030ELNS1_3gpuE2ELNS1_3repE0EEENS1_30default_config_static_selectorELNS0_4arch9wavefront6targetE0EEEvSY_: ; @_ZN7rocprim17ROCPRIM_400000_NS6detail17trampoline_kernelINS0_13select_configILj256ELj13ELNS0_17block_load_methodE3ELS4_3ELS4_3ELNS0_20block_scan_algorithmE0ELj4294967295EEENS1_25partition_config_selectorILNS1_17partition_subalgoE3EjNS0_10empty_typeEbEEZZNS1_14partition_implILS8_3ELb0ES6_jNS0_17counting_iteratorIjlEEPS9_SE_NS0_5tupleIJPjSE_EEENSF_IJSE_SE_EEES9_SG_JZNS1_25segmented_radix_sort_implINS0_14default_configELb1EPKdPdPKlPlN2at6native12_GLOBAL__N_18offset_tEEE10hipError_tPvRmT1_PNSt15iterator_traitsISY_E10value_typeET2_T3_PNSZ_IS14_E10value_typeET4_jRbjT5_S1A_jjP12ihipStream_tbEUljE_EEESV_SW_SX_S14_S18_S1A_T6_T7_T9_mT8_S1C_bDpT10_ENKUlT_T0_E_clISt17integral_constantIbLb1EES1O_IbLb0EEEEDaS1K_S1L_EUlS1K_E_NS1_11comp_targetILNS1_3genE8ELNS1_11target_archE1030ELNS1_3gpuE2ELNS1_3repE0EEENS1_30default_config_static_selectorELNS0_4arch9wavefront6targetE0EEEvSY_
; %bb.0:
	.section	.rodata,"a",@progbits
	.p2align	6, 0x0
	.amdhsa_kernel _ZN7rocprim17ROCPRIM_400000_NS6detail17trampoline_kernelINS0_13select_configILj256ELj13ELNS0_17block_load_methodE3ELS4_3ELS4_3ELNS0_20block_scan_algorithmE0ELj4294967295EEENS1_25partition_config_selectorILNS1_17partition_subalgoE3EjNS0_10empty_typeEbEEZZNS1_14partition_implILS8_3ELb0ES6_jNS0_17counting_iteratorIjlEEPS9_SE_NS0_5tupleIJPjSE_EEENSF_IJSE_SE_EEES9_SG_JZNS1_25segmented_radix_sort_implINS0_14default_configELb1EPKdPdPKlPlN2at6native12_GLOBAL__N_18offset_tEEE10hipError_tPvRmT1_PNSt15iterator_traitsISY_E10value_typeET2_T3_PNSZ_IS14_E10value_typeET4_jRbjT5_S1A_jjP12ihipStream_tbEUljE_EEESV_SW_SX_S14_S18_S1A_T6_T7_T9_mT8_S1C_bDpT10_ENKUlT_T0_E_clISt17integral_constantIbLb1EES1O_IbLb0EEEEDaS1K_S1L_EUlS1K_E_NS1_11comp_targetILNS1_3genE8ELNS1_11target_archE1030ELNS1_3gpuE2ELNS1_3repE0EEENS1_30default_config_static_selectorELNS0_4arch9wavefront6targetE0EEEvSY_
		.amdhsa_group_segment_fixed_size 0
		.amdhsa_private_segment_fixed_size 0
		.amdhsa_kernarg_size 144
		.amdhsa_user_sgpr_count 15
		.amdhsa_user_sgpr_dispatch_ptr 0
		.amdhsa_user_sgpr_queue_ptr 0
		.amdhsa_user_sgpr_kernarg_segment_ptr 1
		.amdhsa_user_sgpr_dispatch_id 0
		.amdhsa_user_sgpr_private_segment_size 0
		.amdhsa_wavefront_size32 1
		.amdhsa_uses_dynamic_stack 0
		.amdhsa_enable_private_segment 0
		.amdhsa_system_sgpr_workgroup_id_x 1
		.amdhsa_system_sgpr_workgroup_id_y 0
		.amdhsa_system_sgpr_workgroup_id_z 0
		.amdhsa_system_sgpr_workgroup_info 0
		.amdhsa_system_vgpr_workitem_id 0
		.amdhsa_next_free_vgpr 1
		.amdhsa_next_free_sgpr 1
		.amdhsa_reserve_vcc 0
		.amdhsa_float_round_mode_32 0
		.amdhsa_float_round_mode_16_64 0
		.amdhsa_float_denorm_mode_32 3
		.amdhsa_float_denorm_mode_16_64 3
		.amdhsa_dx10_clamp 1
		.amdhsa_ieee_mode 1
		.amdhsa_fp16_overflow 0
		.amdhsa_workgroup_processor_mode 1
		.amdhsa_memory_ordered 1
		.amdhsa_forward_progress 0
		.amdhsa_shared_vgpr_count 0
		.amdhsa_exception_fp_ieee_invalid_op 0
		.amdhsa_exception_fp_denorm_src 0
		.amdhsa_exception_fp_ieee_div_zero 0
		.amdhsa_exception_fp_ieee_overflow 0
		.amdhsa_exception_fp_ieee_underflow 0
		.amdhsa_exception_fp_ieee_inexact 0
		.amdhsa_exception_int_div_zero 0
	.end_amdhsa_kernel
	.section	.text._ZN7rocprim17ROCPRIM_400000_NS6detail17trampoline_kernelINS0_13select_configILj256ELj13ELNS0_17block_load_methodE3ELS4_3ELS4_3ELNS0_20block_scan_algorithmE0ELj4294967295EEENS1_25partition_config_selectorILNS1_17partition_subalgoE3EjNS0_10empty_typeEbEEZZNS1_14partition_implILS8_3ELb0ES6_jNS0_17counting_iteratorIjlEEPS9_SE_NS0_5tupleIJPjSE_EEENSF_IJSE_SE_EEES9_SG_JZNS1_25segmented_radix_sort_implINS0_14default_configELb1EPKdPdPKlPlN2at6native12_GLOBAL__N_18offset_tEEE10hipError_tPvRmT1_PNSt15iterator_traitsISY_E10value_typeET2_T3_PNSZ_IS14_E10value_typeET4_jRbjT5_S1A_jjP12ihipStream_tbEUljE_EEESV_SW_SX_S14_S18_S1A_T6_T7_T9_mT8_S1C_bDpT10_ENKUlT_T0_E_clISt17integral_constantIbLb1EES1O_IbLb0EEEEDaS1K_S1L_EUlS1K_E_NS1_11comp_targetILNS1_3genE8ELNS1_11target_archE1030ELNS1_3gpuE2ELNS1_3repE0EEENS1_30default_config_static_selectorELNS0_4arch9wavefront6targetE0EEEvSY_,"axG",@progbits,_ZN7rocprim17ROCPRIM_400000_NS6detail17trampoline_kernelINS0_13select_configILj256ELj13ELNS0_17block_load_methodE3ELS4_3ELS4_3ELNS0_20block_scan_algorithmE0ELj4294967295EEENS1_25partition_config_selectorILNS1_17partition_subalgoE3EjNS0_10empty_typeEbEEZZNS1_14partition_implILS8_3ELb0ES6_jNS0_17counting_iteratorIjlEEPS9_SE_NS0_5tupleIJPjSE_EEENSF_IJSE_SE_EEES9_SG_JZNS1_25segmented_radix_sort_implINS0_14default_configELb1EPKdPdPKlPlN2at6native12_GLOBAL__N_18offset_tEEE10hipError_tPvRmT1_PNSt15iterator_traitsISY_E10value_typeET2_T3_PNSZ_IS14_E10value_typeET4_jRbjT5_S1A_jjP12ihipStream_tbEUljE_EEESV_SW_SX_S14_S18_S1A_T6_T7_T9_mT8_S1C_bDpT10_ENKUlT_T0_E_clISt17integral_constantIbLb1EES1O_IbLb0EEEEDaS1K_S1L_EUlS1K_E_NS1_11comp_targetILNS1_3genE8ELNS1_11target_archE1030ELNS1_3gpuE2ELNS1_3repE0EEENS1_30default_config_static_selectorELNS0_4arch9wavefront6targetE0EEEvSY_,comdat
.Lfunc_end1109:
	.size	_ZN7rocprim17ROCPRIM_400000_NS6detail17trampoline_kernelINS0_13select_configILj256ELj13ELNS0_17block_load_methodE3ELS4_3ELS4_3ELNS0_20block_scan_algorithmE0ELj4294967295EEENS1_25partition_config_selectorILNS1_17partition_subalgoE3EjNS0_10empty_typeEbEEZZNS1_14partition_implILS8_3ELb0ES6_jNS0_17counting_iteratorIjlEEPS9_SE_NS0_5tupleIJPjSE_EEENSF_IJSE_SE_EEES9_SG_JZNS1_25segmented_radix_sort_implINS0_14default_configELb1EPKdPdPKlPlN2at6native12_GLOBAL__N_18offset_tEEE10hipError_tPvRmT1_PNSt15iterator_traitsISY_E10value_typeET2_T3_PNSZ_IS14_E10value_typeET4_jRbjT5_S1A_jjP12ihipStream_tbEUljE_EEESV_SW_SX_S14_S18_S1A_T6_T7_T9_mT8_S1C_bDpT10_ENKUlT_T0_E_clISt17integral_constantIbLb1EES1O_IbLb0EEEEDaS1K_S1L_EUlS1K_E_NS1_11comp_targetILNS1_3genE8ELNS1_11target_archE1030ELNS1_3gpuE2ELNS1_3repE0EEENS1_30default_config_static_selectorELNS0_4arch9wavefront6targetE0EEEvSY_, .Lfunc_end1109-_ZN7rocprim17ROCPRIM_400000_NS6detail17trampoline_kernelINS0_13select_configILj256ELj13ELNS0_17block_load_methodE3ELS4_3ELS4_3ELNS0_20block_scan_algorithmE0ELj4294967295EEENS1_25partition_config_selectorILNS1_17partition_subalgoE3EjNS0_10empty_typeEbEEZZNS1_14partition_implILS8_3ELb0ES6_jNS0_17counting_iteratorIjlEEPS9_SE_NS0_5tupleIJPjSE_EEENSF_IJSE_SE_EEES9_SG_JZNS1_25segmented_radix_sort_implINS0_14default_configELb1EPKdPdPKlPlN2at6native12_GLOBAL__N_18offset_tEEE10hipError_tPvRmT1_PNSt15iterator_traitsISY_E10value_typeET2_T3_PNSZ_IS14_E10value_typeET4_jRbjT5_S1A_jjP12ihipStream_tbEUljE_EEESV_SW_SX_S14_S18_S1A_T6_T7_T9_mT8_S1C_bDpT10_ENKUlT_T0_E_clISt17integral_constantIbLb1EES1O_IbLb0EEEEDaS1K_S1L_EUlS1K_E_NS1_11comp_targetILNS1_3genE8ELNS1_11target_archE1030ELNS1_3gpuE2ELNS1_3repE0EEENS1_30default_config_static_selectorELNS0_4arch9wavefront6targetE0EEEvSY_
                                        ; -- End function
	.section	.AMDGPU.csdata,"",@progbits
; Kernel info:
; codeLenInByte = 0
; NumSgprs: 0
; NumVgprs: 0
; ScratchSize: 0
; MemoryBound: 0
; FloatMode: 240
; IeeeMode: 1
; LDSByteSize: 0 bytes/workgroup (compile time only)
; SGPRBlocks: 0
; VGPRBlocks: 0
; NumSGPRsForWavesPerEU: 1
; NumVGPRsForWavesPerEU: 1
; Occupancy: 16
; WaveLimiterHint : 0
; COMPUTE_PGM_RSRC2:SCRATCH_EN: 0
; COMPUTE_PGM_RSRC2:USER_SGPR: 15
; COMPUTE_PGM_RSRC2:TRAP_HANDLER: 0
; COMPUTE_PGM_RSRC2:TGID_X_EN: 1
; COMPUTE_PGM_RSRC2:TGID_Y_EN: 0
; COMPUTE_PGM_RSRC2:TGID_Z_EN: 0
; COMPUTE_PGM_RSRC2:TIDIG_COMP_CNT: 0
	.section	.text._ZN7rocprim17ROCPRIM_400000_NS6detail17trampoline_kernelINS0_13select_configILj256ELj13ELNS0_17block_load_methodE3ELS4_3ELS4_3ELNS0_20block_scan_algorithmE0ELj4294967295EEENS1_25partition_config_selectorILNS1_17partition_subalgoE3EjNS0_10empty_typeEbEEZZNS1_14partition_implILS8_3ELb0ES6_jNS0_17counting_iteratorIjlEEPS9_SE_NS0_5tupleIJPjSE_EEENSF_IJSE_SE_EEES9_SG_JZNS1_25segmented_radix_sort_implINS0_14default_configELb1EPKdPdPKlPlN2at6native12_GLOBAL__N_18offset_tEEE10hipError_tPvRmT1_PNSt15iterator_traitsISY_E10value_typeET2_T3_PNSZ_IS14_E10value_typeET4_jRbjT5_S1A_jjP12ihipStream_tbEUljE_EEESV_SW_SX_S14_S18_S1A_T6_T7_T9_mT8_S1C_bDpT10_ENKUlT_T0_E_clISt17integral_constantIbLb0EES1O_IbLb1EEEEDaS1K_S1L_EUlS1K_E_NS1_11comp_targetILNS1_3genE0ELNS1_11target_archE4294967295ELNS1_3gpuE0ELNS1_3repE0EEENS1_30default_config_static_selectorELNS0_4arch9wavefront6targetE0EEEvSY_,"axG",@progbits,_ZN7rocprim17ROCPRIM_400000_NS6detail17trampoline_kernelINS0_13select_configILj256ELj13ELNS0_17block_load_methodE3ELS4_3ELS4_3ELNS0_20block_scan_algorithmE0ELj4294967295EEENS1_25partition_config_selectorILNS1_17partition_subalgoE3EjNS0_10empty_typeEbEEZZNS1_14partition_implILS8_3ELb0ES6_jNS0_17counting_iteratorIjlEEPS9_SE_NS0_5tupleIJPjSE_EEENSF_IJSE_SE_EEES9_SG_JZNS1_25segmented_radix_sort_implINS0_14default_configELb1EPKdPdPKlPlN2at6native12_GLOBAL__N_18offset_tEEE10hipError_tPvRmT1_PNSt15iterator_traitsISY_E10value_typeET2_T3_PNSZ_IS14_E10value_typeET4_jRbjT5_S1A_jjP12ihipStream_tbEUljE_EEESV_SW_SX_S14_S18_S1A_T6_T7_T9_mT8_S1C_bDpT10_ENKUlT_T0_E_clISt17integral_constantIbLb0EES1O_IbLb1EEEEDaS1K_S1L_EUlS1K_E_NS1_11comp_targetILNS1_3genE0ELNS1_11target_archE4294967295ELNS1_3gpuE0ELNS1_3repE0EEENS1_30default_config_static_selectorELNS0_4arch9wavefront6targetE0EEEvSY_,comdat
	.globl	_ZN7rocprim17ROCPRIM_400000_NS6detail17trampoline_kernelINS0_13select_configILj256ELj13ELNS0_17block_load_methodE3ELS4_3ELS4_3ELNS0_20block_scan_algorithmE0ELj4294967295EEENS1_25partition_config_selectorILNS1_17partition_subalgoE3EjNS0_10empty_typeEbEEZZNS1_14partition_implILS8_3ELb0ES6_jNS0_17counting_iteratorIjlEEPS9_SE_NS0_5tupleIJPjSE_EEENSF_IJSE_SE_EEES9_SG_JZNS1_25segmented_radix_sort_implINS0_14default_configELb1EPKdPdPKlPlN2at6native12_GLOBAL__N_18offset_tEEE10hipError_tPvRmT1_PNSt15iterator_traitsISY_E10value_typeET2_T3_PNSZ_IS14_E10value_typeET4_jRbjT5_S1A_jjP12ihipStream_tbEUljE_EEESV_SW_SX_S14_S18_S1A_T6_T7_T9_mT8_S1C_bDpT10_ENKUlT_T0_E_clISt17integral_constantIbLb0EES1O_IbLb1EEEEDaS1K_S1L_EUlS1K_E_NS1_11comp_targetILNS1_3genE0ELNS1_11target_archE4294967295ELNS1_3gpuE0ELNS1_3repE0EEENS1_30default_config_static_selectorELNS0_4arch9wavefront6targetE0EEEvSY_ ; -- Begin function _ZN7rocprim17ROCPRIM_400000_NS6detail17trampoline_kernelINS0_13select_configILj256ELj13ELNS0_17block_load_methodE3ELS4_3ELS4_3ELNS0_20block_scan_algorithmE0ELj4294967295EEENS1_25partition_config_selectorILNS1_17partition_subalgoE3EjNS0_10empty_typeEbEEZZNS1_14partition_implILS8_3ELb0ES6_jNS0_17counting_iteratorIjlEEPS9_SE_NS0_5tupleIJPjSE_EEENSF_IJSE_SE_EEES9_SG_JZNS1_25segmented_radix_sort_implINS0_14default_configELb1EPKdPdPKlPlN2at6native12_GLOBAL__N_18offset_tEEE10hipError_tPvRmT1_PNSt15iterator_traitsISY_E10value_typeET2_T3_PNSZ_IS14_E10value_typeET4_jRbjT5_S1A_jjP12ihipStream_tbEUljE_EEESV_SW_SX_S14_S18_S1A_T6_T7_T9_mT8_S1C_bDpT10_ENKUlT_T0_E_clISt17integral_constantIbLb0EES1O_IbLb1EEEEDaS1K_S1L_EUlS1K_E_NS1_11comp_targetILNS1_3genE0ELNS1_11target_archE4294967295ELNS1_3gpuE0ELNS1_3repE0EEENS1_30default_config_static_selectorELNS0_4arch9wavefront6targetE0EEEvSY_
	.p2align	8
	.type	_ZN7rocprim17ROCPRIM_400000_NS6detail17trampoline_kernelINS0_13select_configILj256ELj13ELNS0_17block_load_methodE3ELS4_3ELS4_3ELNS0_20block_scan_algorithmE0ELj4294967295EEENS1_25partition_config_selectorILNS1_17partition_subalgoE3EjNS0_10empty_typeEbEEZZNS1_14partition_implILS8_3ELb0ES6_jNS0_17counting_iteratorIjlEEPS9_SE_NS0_5tupleIJPjSE_EEENSF_IJSE_SE_EEES9_SG_JZNS1_25segmented_radix_sort_implINS0_14default_configELb1EPKdPdPKlPlN2at6native12_GLOBAL__N_18offset_tEEE10hipError_tPvRmT1_PNSt15iterator_traitsISY_E10value_typeET2_T3_PNSZ_IS14_E10value_typeET4_jRbjT5_S1A_jjP12ihipStream_tbEUljE_EEESV_SW_SX_S14_S18_S1A_T6_T7_T9_mT8_S1C_bDpT10_ENKUlT_T0_E_clISt17integral_constantIbLb0EES1O_IbLb1EEEEDaS1K_S1L_EUlS1K_E_NS1_11comp_targetILNS1_3genE0ELNS1_11target_archE4294967295ELNS1_3gpuE0ELNS1_3repE0EEENS1_30default_config_static_selectorELNS0_4arch9wavefront6targetE0EEEvSY_,@function
_ZN7rocprim17ROCPRIM_400000_NS6detail17trampoline_kernelINS0_13select_configILj256ELj13ELNS0_17block_load_methodE3ELS4_3ELS4_3ELNS0_20block_scan_algorithmE0ELj4294967295EEENS1_25partition_config_selectorILNS1_17partition_subalgoE3EjNS0_10empty_typeEbEEZZNS1_14partition_implILS8_3ELb0ES6_jNS0_17counting_iteratorIjlEEPS9_SE_NS0_5tupleIJPjSE_EEENSF_IJSE_SE_EEES9_SG_JZNS1_25segmented_radix_sort_implINS0_14default_configELb1EPKdPdPKlPlN2at6native12_GLOBAL__N_18offset_tEEE10hipError_tPvRmT1_PNSt15iterator_traitsISY_E10value_typeET2_T3_PNSZ_IS14_E10value_typeET4_jRbjT5_S1A_jjP12ihipStream_tbEUljE_EEESV_SW_SX_S14_S18_S1A_T6_T7_T9_mT8_S1C_bDpT10_ENKUlT_T0_E_clISt17integral_constantIbLb0EES1O_IbLb1EEEEDaS1K_S1L_EUlS1K_E_NS1_11comp_targetILNS1_3genE0ELNS1_11target_archE4294967295ELNS1_3gpuE0ELNS1_3repE0EEENS1_30default_config_static_selectorELNS0_4arch9wavefront6targetE0EEEvSY_: ; @_ZN7rocprim17ROCPRIM_400000_NS6detail17trampoline_kernelINS0_13select_configILj256ELj13ELNS0_17block_load_methodE3ELS4_3ELS4_3ELNS0_20block_scan_algorithmE0ELj4294967295EEENS1_25partition_config_selectorILNS1_17partition_subalgoE3EjNS0_10empty_typeEbEEZZNS1_14partition_implILS8_3ELb0ES6_jNS0_17counting_iteratorIjlEEPS9_SE_NS0_5tupleIJPjSE_EEENSF_IJSE_SE_EEES9_SG_JZNS1_25segmented_radix_sort_implINS0_14default_configELb1EPKdPdPKlPlN2at6native12_GLOBAL__N_18offset_tEEE10hipError_tPvRmT1_PNSt15iterator_traitsISY_E10value_typeET2_T3_PNSZ_IS14_E10value_typeET4_jRbjT5_S1A_jjP12ihipStream_tbEUljE_EEESV_SW_SX_S14_S18_S1A_T6_T7_T9_mT8_S1C_bDpT10_ENKUlT_T0_E_clISt17integral_constantIbLb0EES1O_IbLb1EEEEDaS1K_S1L_EUlS1K_E_NS1_11comp_targetILNS1_3genE0ELNS1_11target_archE4294967295ELNS1_3gpuE0ELNS1_3repE0EEENS1_30default_config_static_selectorELNS0_4arch9wavefront6targetE0EEEvSY_
; %bb.0:
	.section	.rodata,"a",@progbits
	.p2align	6, 0x0
	.amdhsa_kernel _ZN7rocprim17ROCPRIM_400000_NS6detail17trampoline_kernelINS0_13select_configILj256ELj13ELNS0_17block_load_methodE3ELS4_3ELS4_3ELNS0_20block_scan_algorithmE0ELj4294967295EEENS1_25partition_config_selectorILNS1_17partition_subalgoE3EjNS0_10empty_typeEbEEZZNS1_14partition_implILS8_3ELb0ES6_jNS0_17counting_iteratorIjlEEPS9_SE_NS0_5tupleIJPjSE_EEENSF_IJSE_SE_EEES9_SG_JZNS1_25segmented_radix_sort_implINS0_14default_configELb1EPKdPdPKlPlN2at6native12_GLOBAL__N_18offset_tEEE10hipError_tPvRmT1_PNSt15iterator_traitsISY_E10value_typeET2_T3_PNSZ_IS14_E10value_typeET4_jRbjT5_S1A_jjP12ihipStream_tbEUljE_EEESV_SW_SX_S14_S18_S1A_T6_T7_T9_mT8_S1C_bDpT10_ENKUlT_T0_E_clISt17integral_constantIbLb0EES1O_IbLb1EEEEDaS1K_S1L_EUlS1K_E_NS1_11comp_targetILNS1_3genE0ELNS1_11target_archE4294967295ELNS1_3gpuE0ELNS1_3repE0EEENS1_30default_config_static_selectorELNS0_4arch9wavefront6targetE0EEEvSY_
		.amdhsa_group_segment_fixed_size 0
		.amdhsa_private_segment_fixed_size 0
		.amdhsa_kernarg_size 152
		.amdhsa_user_sgpr_count 15
		.amdhsa_user_sgpr_dispatch_ptr 0
		.amdhsa_user_sgpr_queue_ptr 0
		.amdhsa_user_sgpr_kernarg_segment_ptr 1
		.amdhsa_user_sgpr_dispatch_id 0
		.amdhsa_user_sgpr_private_segment_size 0
		.amdhsa_wavefront_size32 1
		.amdhsa_uses_dynamic_stack 0
		.amdhsa_enable_private_segment 0
		.amdhsa_system_sgpr_workgroup_id_x 1
		.amdhsa_system_sgpr_workgroup_id_y 0
		.amdhsa_system_sgpr_workgroup_id_z 0
		.amdhsa_system_sgpr_workgroup_info 0
		.amdhsa_system_vgpr_workitem_id 0
		.amdhsa_next_free_vgpr 1
		.amdhsa_next_free_sgpr 1
		.amdhsa_reserve_vcc 0
		.amdhsa_float_round_mode_32 0
		.amdhsa_float_round_mode_16_64 0
		.amdhsa_float_denorm_mode_32 3
		.amdhsa_float_denorm_mode_16_64 3
		.amdhsa_dx10_clamp 1
		.amdhsa_ieee_mode 1
		.amdhsa_fp16_overflow 0
		.amdhsa_workgroup_processor_mode 1
		.amdhsa_memory_ordered 1
		.amdhsa_forward_progress 0
		.amdhsa_shared_vgpr_count 0
		.amdhsa_exception_fp_ieee_invalid_op 0
		.amdhsa_exception_fp_denorm_src 0
		.amdhsa_exception_fp_ieee_div_zero 0
		.amdhsa_exception_fp_ieee_overflow 0
		.amdhsa_exception_fp_ieee_underflow 0
		.amdhsa_exception_fp_ieee_inexact 0
		.amdhsa_exception_int_div_zero 0
	.end_amdhsa_kernel
	.section	.text._ZN7rocprim17ROCPRIM_400000_NS6detail17trampoline_kernelINS0_13select_configILj256ELj13ELNS0_17block_load_methodE3ELS4_3ELS4_3ELNS0_20block_scan_algorithmE0ELj4294967295EEENS1_25partition_config_selectorILNS1_17partition_subalgoE3EjNS0_10empty_typeEbEEZZNS1_14partition_implILS8_3ELb0ES6_jNS0_17counting_iteratorIjlEEPS9_SE_NS0_5tupleIJPjSE_EEENSF_IJSE_SE_EEES9_SG_JZNS1_25segmented_radix_sort_implINS0_14default_configELb1EPKdPdPKlPlN2at6native12_GLOBAL__N_18offset_tEEE10hipError_tPvRmT1_PNSt15iterator_traitsISY_E10value_typeET2_T3_PNSZ_IS14_E10value_typeET4_jRbjT5_S1A_jjP12ihipStream_tbEUljE_EEESV_SW_SX_S14_S18_S1A_T6_T7_T9_mT8_S1C_bDpT10_ENKUlT_T0_E_clISt17integral_constantIbLb0EES1O_IbLb1EEEEDaS1K_S1L_EUlS1K_E_NS1_11comp_targetILNS1_3genE0ELNS1_11target_archE4294967295ELNS1_3gpuE0ELNS1_3repE0EEENS1_30default_config_static_selectorELNS0_4arch9wavefront6targetE0EEEvSY_,"axG",@progbits,_ZN7rocprim17ROCPRIM_400000_NS6detail17trampoline_kernelINS0_13select_configILj256ELj13ELNS0_17block_load_methodE3ELS4_3ELS4_3ELNS0_20block_scan_algorithmE0ELj4294967295EEENS1_25partition_config_selectorILNS1_17partition_subalgoE3EjNS0_10empty_typeEbEEZZNS1_14partition_implILS8_3ELb0ES6_jNS0_17counting_iteratorIjlEEPS9_SE_NS0_5tupleIJPjSE_EEENSF_IJSE_SE_EEES9_SG_JZNS1_25segmented_radix_sort_implINS0_14default_configELb1EPKdPdPKlPlN2at6native12_GLOBAL__N_18offset_tEEE10hipError_tPvRmT1_PNSt15iterator_traitsISY_E10value_typeET2_T3_PNSZ_IS14_E10value_typeET4_jRbjT5_S1A_jjP12ihipStream_tbEUljE_EEESV_SW_SX_S14_S18_S1A_T6_T7_T9_mT8_S1C_bDpT10_ENKUlT_T0_E_clISt17integral_constantIbLb0EES1O_IbLb1EEEEDaS1K_S1L_EUlS1K_E_NS1_11comp_targetILNS1_3genE0ELNS1_11target_archE4294967295ELNS1_3gpuE0ELNS1_3repE0EEENS1_30default_config_static_selectorELNS0_4arch9wavefront6targetE0EEEvSY_,comdat
.Lfunc_end1110:
	.size	_ZN7rocprim17ROCPRIM_400000_NS6detail17trampoline_kernelINS0_13select_configILj256ELj13ELNS0_17block_load_methodE3ELS4_3ELS4_3ELNS0_20block_scan_algorithmE0ELj4294967295EEENS1_25partition_config_selectorILNS1_17partition_subalgoE3EjNS0_10empty_typeEbEEZZNS1_14partition_implILS8_3ELb0ES6_jNS0_17counting_iteratorIjlEEPS9_SE_NS0_5tupleIJPjSE_EEENSF_IJSE_SE_EEES9_SG_JZNS1_25segmented_radix_sort_implINS0_14default_configELb1EPKdPdPKlPlN2at6native12_GLOBAL__N_18offset_tEEE10hipError_tPvRmT1_PNSt15iterator_traitsISY_E10value_typeET2_T3_PNSZ_IS14_E10value_typeET4_jRbjT5_S1A_jjP12ihipStream_tbEUljE_EEESV_SW_SX_S14_S18_S1A_T6_T7_T9_mT8_S1C_bDpT10_ENKUlT_T0_E_clISt17integral_constantIbLb0EES1O_IbLb1EEEEDaS1K_S1L_EUlS1K_E_NS1_11comp_targetILNS1_3genE0ELNS1_11target_archE4294967295ELNS1_3gpuE0ELNS1_3repE0EEENS1_30default_config_static_selectorELNS0_4arch9wavefront6targetE0EEEvSY_, .Lfunc_end1110-_ZN7rocprim17ROCPRIM_400000_NS6detail17trampoline_kernelINS0_13select_configILj256ELj13ELNS0_17block_load_methodE3ELS4_3ELS4_3ELNS0_20block_scan_algorithmE0ELj4294967295EEENS1_25partition_config_selectorILNS1_17partition_subalgoE3EjNS0_10empty_typeEbEEZZNS1_14partition_implILS8_3ELb0ES6_jNS0_17counting_iteratorIjlEEPS9_SE_NS0_5tupleIJPjSE_EEENSF_IJSE_SE_EEES9_SG_JZNS1_25segmented_radix_sort_implINS0_14default_configELb1EPKdPdPKlPlN2at6native12_GLOBAL__N_18offset_tEEE10hipError_tPvRmT1_PNSt15iterator_traitsISY_E10value_typeET2_T3_PNSZ_IS14_E10value_typeET4_jRbjT5_S1A_jjP12ihipStream_tbEUljE_EEESV_SW_SX_S14_S18_S1A_T6_T7_T9_mT8_S1C_bDpT10_ENKUlT_T0_E_clISt17integral_constantIbLb0EES1O_IbLb1EEEEDaS1K_S1L_EUlS1K_E_NS1_11comp_targetILNS1_3genE0ELNS1_11target_archE4294967295ELNS1_3gpuE0ELNS1_3repE0EEENS1_30default_config_static_selectorELNS0_4arch9wavefront6targetE0EEEvSY_
                                        ; -- End function
	.section	.AMDGPU.csdata,"",@progbits
; Kernel info:
; codeLenInByte = 0
; NumSgprs: 0
; NumVgprs: 0
; ScratchSize: 0
; MemoryBound: 0
; FloatMode: 240
; IeeeMode: 1
; LDSByteSize: 0 bytes/workgroup (compile time only)
; SGPRBlocks: 0
; VGPRBlocks: 0
; NumSGPRsForWavesPerEU: 1
; NumVGPRsForWavesPerEU: 1
; Occupancy: 16
; WaveLimiterHint : 0
; COMPUTE_PGM_RSRC2:SCRATCH_EN: 0
; COMPUTE_PGM_RSRC2:USER_SGPR: 15
; COMPUTE_PGM_RSRC2:TRAP_HANDLER: 0
; COMPUTE_PGM_RSRC2:TGID_X_EN: 1
; COMPUTE_PGM_RSRC2:TGID_Y_EN: 0
; COMPUTE_PGM_RSRC2:TGID_Z_EN: 0
; COMPUTE_PGM_RSRC2:TIDIG_COMP_CNT: 0
	.section	.text._ZN7rocprim17ROCPRIM_400000_NS6detail17trampoline_kernelINS0_13select_configILj256ELj13ELNS0_17block_load_methodE3ELS4_3ELS4_3ELNS0_20block_scan_algorithmE0ELj4294967295EEENS1_25partition_config_selectorILNS1_17partition_subalgoE3EjNS0_10empty_typeEbEEZZNS1_14partition_implILS8_3ELb0ES6_jNS0_17counting_iteratorIjlEEPS9_SE_NS0_5tupleIJPjSE_EEENSF_IJSE_SE_EEES9_SG_JZNS1_25segmented_radix_sort_implINS0_14default_configELb1EPKdPdPKlPlN2at6native12_GLOBAL__N_18offset_tEEE10hipError_tPvRmT1_PNSt15iterator_traitsISY_E10value_typeET2_T3_PNSZ_IS14_E10value_typeET4_jRbjT5_S1A_jjP12ihipStream_tbEUljE_EEESV_SW_SX_S14_S18_S1A_T6_T7_T9_mT8_S1C_bDpT10_ENKUlT_T0_E_clISt17integral_constantIbLb0EES1O_IbLb1EEEEDaS1K_S1L_EUlS1K_E_NS1_11comp_targetILNS1_3genE5ELNS1_11target_archE942ELNS1_3gpuE9ELNS1_3repE0EEENS1_30default_config_static_selectorELNS0_4arch9wavefront6targetE0EEEvSY_,"axG",@progbits,_ZN7rocprim17ROCPRIM_400000_NS6detail17trampoline_kernelINS0_13select_configILj256ELj13ELNS0_17block_load_methodE3ELS4_3ELS4_3ELNS0_20block_scan_algorithmE0ELj4294967295EEENS1_25partition_config_selectorILNS1_17partition_subalgoE3EjNS0_10empty_typeEbEEZZNS1_14partition_implILS8_3ELb0ES6_jNS0_17counting_iteratorIjlEEPS9_SE_NS0_5tupleIJPjSE_EEENSF_IJSE_SE_EEES9_SG_JZNS1_25segmented_radix_sort_implINS0_14default_configELb1EPKdPdPKlPlN2at6native12_GLOBAL__N_18offset_tEEE10hipError_tPvRmT1_PNSt15iterator_traitsISY_E10value_typeET2_T3_PNSZ_IS14_E10value_typeET4_jRbjT5_S1A_jjP12ihipStream_tbEUljE_EEESV_SW_SX_S14_S18_S1A_T6_T7_T9_mT8_S1C_bDpT10_ENKUlT_T0_E_clISt17integral_constantIbLb0EES1O_IbLb1EEEEDaS1K_S1L_EUlS1K_E_NS1_11comp_targetILNS1_3genE5ELNS1_11target_archE942ELNS1_3gpuE9ELNS1_3repE0EEENS1_30default_config_static_selectorELNS0_4arch9wavefront6targetE0EEEvSY_,comdat
	.globl	_ZN7rocprim17ROCPRIM_400000_NS6detail17trampoline_kernelINS0_13select_configILj256ELj13ELNS0_17block_load_methodE3ELS4_3ELS4_3ELNS0_20block_scan_algorithmE0ELj4294967295EEENS1_25partition_config_selectorILNS1_17partition_subalgoE3EjNS0_10empty_typeEbEEZZNS1_14partition_implILS8_3ELb0ES6_jNS0_17counting_iteratorIjlEEPS9_SE_NS0_5tupleIJPjSE_EEENSF_IJSE_SE_EEES9_SG_JZNS1_25segmented_radix_sort_implINS0_14default_configELb1EPKdPdPKlPlN2at6native12_GLOBAL__N_18offset_tEEE10hipError_tPvRmT1_PNSt15iterator_traitsISY_E10value_typeET2_T3_PNSZ_IS14_E10value_typeET4_jRbjT5_S1A_jjP12ihipStream_tbEUljE_EEESV_SW_SX_S14_S18_S1A_T6_T7_T9_mT8_S1C_bDpT10_ENKUlT_T0_E_clISt17integral_constantIbLb0EES1O_IbLb1EEEEDaS1K_S1L_EUlS1K_E_NS1_11comp_targetILNS1_3genE5ELNS1_11target_archE942ELNS1_3gpuE9ELNS1_3repE0EEENS1_30default_config_static_selectorELNS0_4arch9wavefront6targetE0EEEvSY_ ; -- Begin function _ZN7rocprim17ROCPRIM_400000_NS6detail17trampoline_kernelINS0_13select_configILj256ELj13ELNS0_17block_load_methodE3ELS4_3ELS4_3ELNS0_20block_scan_algorithmE0ELj4294967295EEENS1_25partition_config_selectorILNS1_17partition_subalgoE3EjNS0_10empty_typeEbEEZZNS1_14partition_implILS8_3ELb0ES6_jNS0_17counting_iteratorIjlEEPS9_SE_NS0_5tupleIJPjSE_EEENSF_IJSE_SE_EEES9_SG_JZNS1_25segmented_radix_sort_implINS0_14default_configELb1EPKdPdPKlPlN2at6native12_GLOBAL__N_18offset_tEEE10hipError_tPvRmT1_PNSt15iterator_traitsISY_E10value_typeET2_T3_PNSZ_IS14_E10value_typeET4_jRbjT5_S1A_jjP12ihipStream_tbEUljE_EEESV_SW_SX_S14_S18_S1A_T6_T7_T9_mT8_S1C_bDpT10_ENKUlT_T0_E_clISt17integral_constantIbLb0EES1O_IbLb1EEEEDaS1K_S1L_EUlS1K_E_NS1_11comp_targetILNS1_3genE5ELNS1_11target_archE942ELNS1_3gpuE9ELNS1_3repE0EEENS1_30default_config_static_selectorELNS0_4arch9wavefront6targetE0EEEvSY_
	.p2align	8
	.type	_ZN7rocprim17ROCPRIM_400000_NS6detail17trampoline_kernelINS0_13select_configILj256ELj13ELNS0_17block_load_methodE3ELS4_3ELS4_3ELNS0_20block_scan_algorithmE0ELj4294967295EEENS1_25partition_config_selectorILNS1_17partition_subalgoE3EjNS0_10empty_typeEbEEZZNS1_14partition_implILS8_3ELb0ES6_jNS0_17counting_iteratorIjlEEPS9_SE_NS0_5tupleIJPjSE_EEENSF_IJSE_SE_EEES9_SG_JZNS1_25segmented_radix_sort_implINS0_14default_configELb1EPKdPdPKlPlN2at6native12_GLOBAL__N_18offset_tEEE10hipError_tPvRmT1_PNSt15iterator_traitsISY_E10value_typeET2_T3_PNSZ_IS14_E10value_typeET4_jRbjT5_S1A_jjP12ihipStream_tbEUljE_EEESV_SW_SX_S14_S18_S1A_T6_T7_T9_mT8_S1C_bDpT10_ENKUlT_T0_E_clISt17integral_constantIbLb0EES1O_IbLb1EEEEDaS1K_S1L_EUlS1K_E_NS1_11comp_targetILNS1_3genE5ELNS1_11target_archE942ELNS1_3gpuE9ELNS1_3repE0EEENS1_30default_config_static_selectorELNS0_4arch9wavefront6targetE0EEEvSY_,@function
_ZN7rocprim17ROCPRIM_400000_NS6detail17trampoline_kernelINS0_13select_configILj256ELj13ELNS0_17block_load_methodE3ELS4_3ELS4_3ELNS0_20block_scan_algorithmE0ELj4294967295EEENS1_25partition_config_selectorILNS1_17partition_subalgoE3EjNS0_10empty_typeEbEEZZNS1_14partition_implILS8_3ELb0ES6_jNS0_17counting_iteratorIjlEEPS9_SE_NS0_5tupleIJPjSE_EEENSF_IJSE_SE_EEES9_SG_JZNS1_25segmented_radix_sort_implINS0_14default_configELb1EPKdPdPKlPlN2at6native12_GLOBAL__N_18offset_tEEE10hipError_tPvRmT1_PNSt15iterator_traitsISY_E10value_typeET2_T3_PNSZ_IS14_E10value_typeET4_jRbjT5_S1A_jjP12ihipStream_tbEUljE_EEESV_SW_SX_S14_S18_S1A_T6_T7_T9_mT8_S1C_bDpT10_ENKUlT_T0_E_clISt17integral_constantIbLb0EES1O_IbLb1EEEEDaS1K_S1L_EUlS1K_E_NS1_11comp_targetILNS1_3genE5ELNS1_11target_archE942ELNS1_3gpuE9ELNS1_3repE0EEENS1_30default_config_static_selectorELNS0_4arch9wavefront6targetE0EEEvSY_: ; @_ZN7rocprim17ROCPRIM_400000_NS6detail17trampoline_kernelINS0_13select_configILj256ELj13ELNS0_17block_load_methodE3ELS4_3ELS4_3ELNS0_20block_scan_algorithmE0ELj4294967295EEENS1_25partition_config_selectorILNS1_17partition_subalgoE3EjNS0_10empty_typeEbEEZZNS1_14partition_implILS8_3ELb0ES6_jNS0_17counting_iteratorIjlEEPS9_SE_NS0_5tupleIJPjSE_EEENSF_IJSE_SE_EEES9_SG_JZNS1_25segmented_radix_sort_implINS0_14default_configELb1EPKdPdPKlPlN2at6native12_GLOBAL__N_18offset_tEEE10hipError_tPvRmT1_PNSt15iterator_traitsISY_E10value_typeET2_T3_PNSZ_IS14_E10value_typeET4_jRbjT5_S1A_jjP12ihipStream_tbEUljE_EEESV_SW_SX_S14_S18_S1A_T6_T7_T9_mT8_S1C_bDpT10_ENKUlT_T0_E_clISt17integral_constantIbLb0EES1O_IbLb1EEEEDaS1K_S1L_EUlS1K_E_NS1_11comp_targetILNS1_3genE5ELNS1_11target_archE942ELNS1_3gpuE9ELNS1_3repE0EEENS1_30default_config_static_selectorELNS0_4arch9wavefront6targetE0EEEvSY_
; %bb.0:
	.section	.rodata,"a",@progbits
	.p2align	6, 0x0
	.amdhsa_kernel _ZN7rocprim17ROCPRIM_400000_NS6detail17trampoline_kernelINS0_13select_configILj256ELj13ELNS0_17block_load_methodE3ELS4_3ELS4_3ELNS0_20block_scan_algorithmE0ELj4294967295EEENS1_25partition_config_selectorILNS1_17partition_subalgoE3EjNS0_10empty_typeEbEEZZNS1_14partition_implILS8_3ELb0ES6_jNS0_17counting_iteratorIjlEEPS9_SE_NS0_5tupleIJPjSE_EEENSF_IJSE_SE_EEES9_SG_JZNS1_25segmented_radix_sort_implINS0_14default_configELb1EPKdPdPKlPlN2at6native12_GLOBAL__N_18offset_tEEE10hipError_tPvRmT1_PNSt15iterator_traitsISY_E10value_typeET2_T3_PNSZ_IS14_E10value_typeET4_jRbjT5_S1A_jjP12ihipStream_tbEUljE_EEESV_SW_SX_S14_S18_S1A_T6_T7_T9_mT8_S1C_bDpT10_ENKUlT_T0_E_clISt17integral_constantIbLb0EES1O_IbLb1EEEEDaS1K_S1L_EUlS1K_E_NS1_11comp_targetILNS1_3genE5ELNS1_11target_archE942ELNS1_3gpuE9ELNS1_3repE0EEENS1_30default_config_static_selectorELNS0_4arch9wavefront6targetE0EEEvSY_
		.amdhsa_group_segment_fixed_size 0
		.amdhsa_private_segment_fixed_size 0
		.amdhsa_kernarg_size 152
		.amdhsa_user_sgpr_count 15
		.amdhsa_user_sgpr_dispatch_ptr 0
		.amdhsa_user_sgpr_queue_ptr 0
		.amdhsa_user_sgpr_kernarg_segment_ptr 1
		.amdhsa_user_sgpr_dispatch_id 0
		.amdhsa_user_sgpr_private_segment_size 0
		.amdhsa_wavefront_size32 1
		.amdhsa_uses_dynamic_stack 0
		.amdhsa_enable_private_segment 0
		.amdhsa_system_sgpr_workgroup_id_x 1
		.amdhsa_system_sgpr_workgroup_id_y 0
		.amdhsa_system_sgpr_workgroup_id_z 0
		.amdhsa_system_sgpr_workgroup_info 0
		.amdhsa_system_vgpr_workitem_id 0
		.amdhsa_next_free_vgpr 1
		.amdhsa_next_free_sgpr 1
		.amdhsa_reserve_vcc 0
		.amdhsa_float_round_mode_32 0
		.amdhsa_float_round_mode_16_64 0
		.amdhsa_float_denorm_mode_32 3
		.amdhsa_float_denorm_mode_16_64 3
		.amdhsa_dx10_clamp 1
		.amdhsa_ieee_mode 1
		.amdhsa_fp16_overflow 0
		.amdhsa_workgroup_processor_mode 1
		.amdhsa_memory_ordered 1
		.amdhsa_forward_progress 0
		.amdhsa_shared_vgpr_count 0
		.amdhsa_exception_fp_ieee_invalid_op 0
		.amdhsa_exception_fp_denorm_src 0
		.amdhsa_exception_fp_ieee_div_zero 0
		.amdhsa_exception_fp_ieee_overflow 0
		.amdhsa_exception_fp_ieee_underflow 0
		.amdhsa_exception_fp_ieee_inexact 0
		.amdhsa_exception_int_div_zero 0
	.end_amdhsa_kernel
	.section	.text._ZN7rocprim17ROCPRIM_400000_NS6detail17trampoline_kernelINS0_13select_configILj256ELj13ELNS0_17block_load_methodE3ELS4_3ELS4_3ELNS0_20block_scan_algorithmE0ELj4294967295EEENS1_25partition_config_selectorILNS1_17partition_subalgoE3EjNS0_10empty_typeEbEEZZNS1_14partition_implILS8_3ELb0ES6_jNS0_17counting_iteratorIjlEEPS9_SE_NS0_5tupleIJPjSE_EEENSF_IJSE_SE_EEES9_SG_JZNS1_25segmented_radix_sort_implINS0_14default_configELb1EPKdPdPKlPlN2at6native12_GLOBAL__N_18offset_tEEE10hipError_tPvRmT1_PNSt15iterator_traitsISY_E10value_typeET2_T3_PNSZ_IS14_E10value_typeET4_jRbjT5_S1A_jjP12ihipStream_tbEUljE_EEESV_SW_SX_S14_S18_S1A_T6_T7_T9_mT8_S1C_bDpT10_ENKUlT_T0_E_clISt17integral_constantIbLb0EES1O_IbLb1EEEEDaS1K_S1L_EUlS1K_E_NS1_11comp_targetILNS1_3genE5ELNS1_11target_archE942ELNS1_3gpuE9ELNS1_3repE0EEENS1_30default_config_static_selectorELNS0_4arch9wavefront6targetE0EEEvSY_,"axG",@progbits,_ZN7rocprim17ROCPRIM_400000_NS6detail17trampoline_kernelINS0_13select_configILj256ELj13ELNS0_17block_load_methodE3ELS4_3ELS4_3ELNS0_20block_scan_algorithmE0ELj4294967295EEENS1_25partition_config_selectorILNS1_17partition_subalgoE3EjNS0_10empty_typeEbEEZZNS1_14partition_implILS8_3ELb0ES6_jNS0_17counting_iteratorIjlEEPS9_SE_NS0_5tupleIJPjSE_EEENSF_IJSE_SE_EEES9_SG_JZNS1_25segmented_radix_sort_implINS0_14default_configELb1EPKdPdPKlPlN2at6native12_GLOBAL__N_18offset_tEEE10hipError_tPvRmT1_PNSt15iterator_traitsISY_E10value_typeET2_T3_PNSZ_IS14_E10value_typeET4_jRbjT5_S1A_jjP12ihipStream_tbEUljE_EEESV_SW_SX_S14_S18_S1A_T6_T7_T9_mT8_S1C_bDpT10_ENKUlT_T0_E_clISt17integral_constantIbLb0EES1O_IbLb1EEEEDaS1K_S1L_EUlS1K_E_NS1_11comp_targetILNS1_3genE5ELNS1_11target_archE942ELNS1_3gpuE9ELNS1_3repE0EEENS1_30default_config_static_selectorELNS0_4arch9wavefront6targetE0EEEvSY_,comdat
.Lfunc_end1111:
	.size	_ZN7rocprim17ROCPRIM_400000_NS6detail17trampoline_kernelINS0_13select_configILj256ELj13ELNS0_17block_load_methodE3ELS4_3ELS4_3ELNS0_20block_scan_algorithmE0ELj4294967295EEENS1_25partition_config_selectorILNS1_17partition_subalgoE3EjNS0_10empty_typeEbEEZZNS1_14partition_implILS8_3ELb0ES6_jNS0_17counting_iteratorIjlEEPS9_SE_NS0_5tupleIJPjSE_EEENSF_IJSE_SE_EEES9_SG_JZNS1_25segmented_radix_sort_implINS0_14default_configELb1EPKdPdPKlPlN2at6native12_GLOBAL__N_18offset_tEEE10hipError_tPvRmT1_PNSt15iterator_traitsISY_E10value_typeET2_T3_PNSZ_IS14_E10value_typeET4_jRbjT5_S1A_jjP12ihipStream_tbEUljE_EEESV_SW_SX_S14_S18_S1A_T6_T7_T9_mT8_S1C_bDpT10_ENKUlT_T0_E_clISt17integral_constantIbLb0EES1O_IbLb1EEEEDaS1K_S1L_EUlS1K_E_NS1_11comp_targetILNS1_3genE5ELNS1_11target_archE942ELNS1_3gpuE9ELNS1_3repE0EEENS1_30default_config_static_selectorELNS0_4arch9wavefront6targetE0EEEvSY_, .Lfunc_end1111-_ZN7rocprim17ROCPRIM_400000_NS6detail17trampoline_kernelINS0_13select_configILj256ELj13ELNS0_17block_load_methodE3ELS4_3ELS4_3ELNS0_20block_scan_algorithmE0ELj4294967295EEENS1_25partition_config_selectorILNS1_17partition_subalgoE3EjNS0_10empty_typeEbEEZZNS1_14partition_implILS8_3ELb0ES6_jNS0_17counting_iteratorIjlEEPS9_SE_NS0_5tupleIJPjSE_EEENSF_IJSE_SE_EEES9_SG_JZNS1_25segmented_radix_sort_implINS0_14default_configELb1EPKdPdPKlPlN2at6native12_GLOBAL__N_18offset_tEEE10hipError_tPvRmT1_PNSt15iterator_traitsISY_E10value_typeET2_T3_PNSZ_IS14_E10value_typeET4_jRbjT5_S1A_jjP12ihipStream_tbEUljE_EEESV_SW_SX_S14_S18_S1A_T6_T7_T9_mT8_S1C_bDpT10_ENKUlT_T0_E_clISt17integral_constantIbLb0EES1O_IbLb1EEEEDaS1K_S1L_EUlS1K_E_NS1_11comp_targetILNS1_3genE5ELNS1_11target_archE942ELNS1_3gpuE9ELNS1_3repE0EEENS1_30default_config_static_selectorELNS0_4arch9wavefront6targetE0EEEvSY_
                                        ; -- End function
	.section	.AMDGPU.csdata,"",@progbits
; Kernel info:
; codeLenInByte = 0
; NumSgprs: 0
; NumVgprs: 0
; ScratchSize: 0
; MemoryBound: 0
; FloatMode: 240
; IeeeMode: 1
; LDSByteSize: 0 bytes/workgroup (compile time only)
; SGPRBlocks: 0
; VGPRBlocks: 0
; NumSGPRsForWavesPerEU: 1
; NumVGPRsForWavesPerEU: 1
; Occupancy: 16
; WaveLimiterHint : 0
; COMPUTE_PGM_RSRC2:SCRATCH_EN: 0
; COMPUTE_PGM_RSRC2:USER_SGPR: 15
; COMPUTE_PGM_RSRC2:TRAP_HANDLER: 0
; COMPUTE_PGM_RSRC2:TGID_X_EN: 1
; COMPUTE_PGM_RSRC2:TGID_Y_EN: 0
; COMPUTE_PGM_RSRC2:TGID_Z_EN: 0
; COMPUTE_PGM_RSRC2:TIDIG_COMP_CNT: 0
	.section	.text._ZN7rocprim17ROCPRIM_400000_NS6detail17trampoline_kernelINS0_13select_configILj256ELj13ELNS0_17block_load_methodE3ELS4_3ELS4_3ELNS0_20block_scan_algorithmE0ELj4294967295EEENS1_25partition_config_selectorILNS1_17partition_subalgoE3EjNS0_10empty_typeEbEEZZNS1_14partition_implILS8_3ELb0ES6_jNS0_17counting_iteratorIjlEEPS9_SE_NS0_5tupleIJPjSE_EEENSF_IJSE_SE_EEES9_SG_JZNS1_25segmented_radix_sort_implINS0_14default_configELb1EPKdPdPKlPlN2at6native12_GLOBAL__N_18offset_tEEE10hipError_tPvRmT1_PNSt15iterator_traitsISY_E10value_typeET2_T3_PNSZ_IS14_E10value_typeET4_jRbjT5_S1A_jjP12ihipStream_tbEUljE_EEESV_SW_SX_S14_S18_S1A_T6_T7_T9_mT8_S1C_bDpT10_ENKUlT_T0_E_clISt17integral_constantIbLb0EES1O_IbLb1EEEEDaS1K_S1L_EUlS1K_E_NS1_11comp_targetILNS1_3genE4ELNS1_11target_archE910ELNS1_3gpuE8ELNS1_3repE0EEENS1_30default_config_static_selectorELNS0_4arch9wavefront6targetE0EEEvSY_,"axG",@progbits,_ZN7rocprim17ROCPRIM_400000_NS6detail17trampoline_kernelINS0_13select_configILj256ELj13ELNS0_17block_load_methodE3ELS4_3ELS4_3ELNS0_20block_scan_algorithmE0ELj4294967295EEENS1_25partition_config_selectorILNS1_17partition_subalgoE3EjNS0_10empty_typeEbEEZZNS1_14partition_implILS8_3ELb0ES6_jNS0_17counting_iteratorIjlEEPS9_SE_NS0_5tupleIJPjSE_EEENSF_IJSE_SE_EEES9_SG_JZNS1_25segmented_radix_sort_implINS0_14default_configELb1EPKdPdPKlPlN2at6native12_GLOBAL__N_18offset_tEEE10hipError_tPvRmT1_PNSt15iterator_traitsISY_E10value_typeET2_T3_PNSZ_IS14_E10value_typeET4_jRbjT5_S1A_jjP12ihipStream_tbEUljE_EEESV_SW_SX_S14_S18_S1A_T6_T7_T9_mT8_S1C_bDpT10_ENKUlT_T0_E_clISt17integral_constantIbLb0EES1O_IbLb1EEEEDaS1K_S1L_EUlS1K_E_NS1_11comp_targetILNS1_3genE4ELNS1_11target_archE910ELNS1_3gpuE8ELNS1_3repE0EEENS1_30default_config_static_selectorELNS0_4arch9wavefront6targetE0EEEvSY_,comdat
	.globl	_ZN7rocprim17ROCPRIM_400000_NS6detail17trampoline_kernelINS0_13select_configILj256ELj13ELNS0_17block_load_methodE3ELS4_3ELS4_3ELNS0_20block_scan_algorithmE0ELj4294967295EEENS1_25partition_config_selectorILNS1_17partition_subalgoE3EjNS0_10empty_typeEbEEZZNS1_14partition_implILS8_3ELb0ES6_jNS0_17counting_iteratorIjlEEPS9_SE_NS0_5tupleIJPjSE_EEENSF_IJSE_SE_EEES9_SG_JZNS1_25segmented_radix_sort_implINS0_14default_configELb1EPKdPdPKlPlN2at6native12_GLOBAL__N_18offset_tEEE10hipError_tPvRmT1_PNSt15iterator_traitsISY_E10value_typeET2_T3_PNSZ_IS14_E10value_typeET4_jRbjT5_S1A_jjP12ihipStream_tbEUljE_EEESV_SW_SX_S14_S18_S1A_T6_T7_T9_mT8_S1C_bDpT10_ENKUlT_T0_E_clISt17integral_constantIbLb0EES1O_IbLb1EEEEDaS1K_S1L_EUlS1K_E_NS1_11comp_targetILNS1_3genE4ELNS1_11target_archE910ELNS1_3gpuE8ELNS1_3repE0EEENS1_30default_config_static_selectorELNS0_4arch9wavefront6targetE0EEEvSY_ ; -- Begin function _ZN7rocprim17ROCPRIM_400000_NS6detail17trampoline_kernelINS0_13select_configILj256ELj13ELNS0_17block_load_methodE3ELS4_3ELS4_3ELNS0_20block_scan_algorithmE0ELj4294967295EEENS1_25partition_config_selectorILNS1_17partition_subalgoE3EjNS0_10empty_typeEbEEZZNS1_14partition_implILS8_3ELb0ES6_jNS0_17counting_iteratorIjlEEPS9_SE_NS0_5tupleIJPjSE_EEENSF_IJSE_SE_EEES9_SG_JZNS1_25segmented_radix_sort_implINS0_14default_configELb1EPKdPdPKlPlN2at6native12_GLOBAL__N_18offset_tEEE10hipError_tPvRmT1_PNSt15iterator_traitsISY_E10value_typeET2_T3_PNSZ_IS14_E10value_typeET4_jRbjT5_S1A_jjP12ihipStream_tbEUljE_EEESV_SW_SX_S14_S18_S1A_T6_T7_T9_mT8_S1C_bDpT10_ENKUlT_T0_E_clISt17integral_constantIbLb0EES1O_IbLb1EEEEDaS1K_S1L_EUlS1K_E_NS1_11comp_targetILNS1_3genE4ELNS1_11target_archE910ELNS1_3gpuE8ELNS1_3repE0EEENS1_30default_config_static_selectorELNS0_4arch9wavefront6targetE0EEEvSY_
	.p2align	8
	.type	_ZN7rocprim17ROCPRIM_400000_NS6detail17trampoline_kernelINS0_13select_configILj256ELj13ELNS0_17block_load_methodE3ELS4_3ELS4_3ELNS0_20block_scan_algorithmE0ELj4294967295EEENS1_25partition_config_selectorILNS1_17partition_subalgoE3EjNS0_10empty_typeEbEEZZNS1_14partition_implILS8_3ELb0ES6_jNS0_17counting_iteratorIjlEEPS9_SE_NS0_5tupleIJPjSE_EEENSF_IJSE_SE_EEES9_SG_JZNS1_25segmented_radix_sort_implINS0_14default_configELb1EPKdPdPKlPlN2at6native12_GLOBAL__N_18offset_tEEE10hipError_tPvRmT1_PNSt15iterator_traitsISY_E10value_typeET2_T3_PNSZ_IS14_E10value_typeET4_jRbjT5_S1A_jjP12ihipStream_tbEUljE_EEESV_SW_SX_S14_S18_S1A_T6_T7_T9_mT8_S1C_bDpT10_ENKUlT_T0_E_clISt17integral_constantIbLb0EES1O_IbLb1EEEEDaS1K_S1L_EUlS1K_E_NS1_11comp_targetILNS1_3genE4ELNS1_11target_archE910ELNS1_3gpuE8ELNS1_3repE0EEENS1_30default_config_static_selectorELNS0_4arch9wavefront6targetE0EEEvSY_,@function
_ZN7rocprim17ROCPRIM_400000_NS6detail17trampoline_kernelINS0_13select_configILj256ELj13ELNS0_17block_load_methodE3ELS4_3ELS4_3ELNS0_20block_scan_algorithmE0ELj4294967295EEENS1_25partition_config_selectorILNS1_17partition_subalgoE3EjNS0_10empty_typeEbEEZZNS1_14partition_implILS8_3ELb0ES6_jNS0_17counting_iteratorIjlEEPS9_SE_NS0_5tupleIJPjSE_EEENSF_IJSE_SE_EEES9_SG_JZNS1_25segmented_radix_sort_implINS0_14default_configELb1EPKdPdPKlPlN2at6native12_GLOBAL__N_18offset_tEEE10hipError_tPvRmT1_PNSt15iterator_traitsISY_E10value_typeET2_T3_PNSZ_IS14_E10value_typeET4_jRbjT5_S1A_jjP12ihipStream_tbEUljE_EEESV_SW_SX_S14_S18_S1A_T6_T7_T9_mT8_S1C_bDpT10_ENKUlT_T0_E_clISt17integral_constantIbLb0EES1O_IbLb1EEEEDaS1K_S1L_EUlS1K_E_NS1_11comp_targetILNS1_3genE4ELNS1_11target_archE910ELNS1_3gpuE8ELNS1_3repE0EEENS1_30default_config_static_selectorELNS0_4arch9wavefront6targetE0EEEvSY_: ; @_ZN7rocprim17ROCPRIM_400000_NS6detail17trampoline_kernelINS0_13select_configILj256ELj13ELNS0_17block_load_methodE3ELS4_3ELS4_3ELNS0_20block_scan_algorithmE0ELj4294967295EEENS1_25partition_config_selectorILNS1_17partition_subalgoE3EjNS0_10empty_typeEbEEZZNS1_14partition_implILS8_3ELb0ES6_jNS0_17counting_iteratorIjlEEPS9_SE_NS0_5tupleIJPjSE_EEENSF_IJSE_SE_EEES9_SG_JZNS1_25segmented_radix_sort_implINS0_14default_configELb1EPKdPdPKlPlN2at6native12_GLOBAL__N_18offset_tEEE10hipError_tPvRmT1_PNSt15iterator_traitsISY_E10value_typeET2_T3_PNSZ_IS14_E10value_typeET4_jRbjT5_S1A_jjP12ihipStream_tbEUljE_EEESV_SW_SX_S14_S18_S1A_T6_T7_T9_mT8_S1C_bDpT10_ENKUlT_T0_E_clISt17integral_constantIbLb0EES1O_IbLb1EEEEDaS1K_S1L_EUlS1K_E_NS1_11comp_targetILNS1_3genE4ELNS1_11target_archE910ELNS1_3gpuE8ELNS1_3repE0EEENS1_30default_config_static_selectorELNS0_4arch9wavefront6targetE0EEEvSY_
; %bb.0:
	.section	.rodata,"a",@progbits
	.p2align	6, 0x0
	.amdhsa_kernel _ZN7rocprim17ROCPRIM_400000_NS6detail17trampoline_kernelINS0_13select_configILj256ELj13ELNS0_17block_load_methodE3ELS4_3ELS4_3ELNS0_20block_scan_algorithmE0ELj4294967295EEENS1_25partition_config_selectorILNS1_17partition_subalgoE3EjNS0_10empty_typeEbEEZZNS1_14partition_implILS8_3ELb0ES6_jNS0_17counting_iteratorIjlEEPS9_SE_NS0_5tupleIJPjSE_EEENSF_IJSE_SE_EEES9_SG_JZNS1_25segmented_radix_sort_implINS0_14default_configELb1EPKdPdPKlPlN2at6native12_GLOBAL__N_18offset_tEEE10hipError_tPvRmT1_PNSt15iterator_traitsISY_E10value_typeET2_T3_PNSZ_IS14_E10value_typeET4_jRbjT5_S1A_jjP12ihipStream_tbEUljE_EEESV_SW_SX_S14_S18_S1A_T6_T7_T9_mT8_S1C_bDpT10_ENKUlT_T0_E_clISt17integral_constantIbLb0EES1O_IbLb1EEEEDaS1K_S1L_EUlS1K_E_NS1_11comp_targetILNS1_3genE4ELNS1_11target_archE910ELNS1_3gpuE8ELNS1_3repE0EEENS1_30default_config_static_selectorELNS0_4arch9wavefront6targetE0EEEvSY_
		.amdhsa_group_segment_fixed_size 0
		.amdhsa_private_segment_fixed_size 0
		.amdhsa_kernarg_size 152
		.amdhsa_user_sgpr_count 15
		.amdhsa_user_sgpr_dispatch_ptr 0
		.amdhsa_user_sgpr_queue_ptr 0
		.amdhsa_user_sgpr_kernarg_segment_ptr 1
		.amdhsa_user_sgpr_dispatch_id 0
		.amdhsa_user_sgpr_private_segment_size 0
		.amdhsa_wavefront_size32 1
		.amdhsa_uses_dynamic_stack 0
		.amdhsa_enable_private_segment 0
		.amdhsa_system_sgpr_workgroup_id_x 1
		.amdhsa_system_sgpr_workgroup_id_y 0
		.amdhsa_system_sgpr_workgroup_id_z 0
		.amdhsa_system_sgpr_workgroup_info 0
		.amdhsa_system_vgpr_workitem_id 0
		.amdhsa_next_free_vgpr 1
		.amdhsa_next_free_sgpr 1
		.amdhsa_reserve_vcc 0
		.amdhsa_float_round_mode_32 0
		.amdhsa_float_round_mode_16_64 0
		.amdhsa_float_denorm_mode_32 3
		.amdhsa_float_denorm_mode_16_64 3
		.amdhsa_dx10_clamp 1
		.amdhsa_ieee_mode 1
		.amdhsa_fp16_overflow 0
		.amdhsa_workgroup_processor_mode 1
		.amdhsa_memory_ordered 1
		.amdhsa_forward_progress 0
		.amdhsa_shared_vgpr_count 0
		.amdhsa_exception_fp_ieee_invalid_op 0
		.amdhsa_exception_fp_denorm_src 0
		.amdhsa_exception_fp_ieee_div_zero 0
		.amdhsa_exception_fp_ieee_overflow 0
		.amdhsa_exception_fp_ieee_underflow 0
		.amdhsa_exception_fp_ieee_inexact 0
		.amdhsa_exception_int_div_zero 0
	.end_amdhsa_kernel
	.section	.text._ZN7rocprim17ROCPRIM_400000_NS6detail17trampoline_kernelINS0_13select_configILj256ELj13ELNS0_17block_load_methodE3ELS4_3ELS4_3ELNS0_20block_scan_algorithmE0ELj4294967295EEENS1_25partition_config_selectorILNS1_17partition_subalgoE3EjNS0_10empty_typeEbEEZZNS1_14partition_implILS8_3ELb0ES6_jNS0_17counting_iteratorIjlEEPS9_SE_NS0_5tupleIJPjSE_EEENSF_IJSE_SE_EEES9_SG_JZNS1_25segmented_radix_sort_implINS0_14default_configELb1EPKdPdPKlPlN2at6native12_GLOBAL__N_18offset_tEEE10hipError_tPvRmT1_PNSt15iterator_traitsISY_E10value_typeET2_T3_PNSZ_IS14_E10value_typeET4_jRbjT5_S1A_jjP12ihipStream_tbEUljE_EEESV_SW_SX_S14_S18_S1A_T6_T7_T9_mT8_S1C_bDpT10_ENKUlT_T0_E_clISt17integral_constantIbLb0EES1O_IbLb1EEEEDaS1K_S1L_EUlS1K_E_NS1_11comp_targetILNS1_3genE4ELNS1_11target_archE910ELNS1_3gpuE8ELNS1_3repE0EEENS1_30default_config_static_selectorELNS0_4arch9wavefront6targetE0EEEvSY_,"axG",@progbits,_ZN7rocprim17ROCPRIM_400000_NS6detail17trampoline_kernelINS0_13select_configILj256ELj13ELNS0_17block_load_methodE3ELS4_3ELS4_3ELNS0_20block_scan_algorithmE0ELj4294967295EEENS1_25partition_config_selectorILNS1_17partition_subalgoE3EjNS0_10empty_typeEbEEZZNS1_14partition_implILS8_3ELb0ES6_jNS0_17counting_iteratorIjlEEPS9_SE_NS0_5tupleIJPjSE_EEENSF_IJSE_SE_EEES9_SG_JZNS1_25segmented_radix_sort_implINS0_14default_configELb1EPKdPdPKlPlN2at6native12_GLOBAL__N_18offset_tEEE10hipError_tPvRmT1_PNSt15iterator_traitsISY_E10value_typeET2_T3_PNSZ_IS14_E10value_typeET4_jRbjT5_S1A_jjP12ihipStream_tbEUljE_EEESV_SW_SX_S14_S18_S1A_T6_T7_T9_mT8_S1C_bDpT10_ENKUlT_T0_E_clISt17integral_constantIbLb0EES1O_IbLb1EEEEDaS1K_S1L_EUlS1K_E_NS1_11comp_targetILNS1_3genE4ELNS1_11target_archE910ELNS1_3gpuE8ELNS1_3repE0EEENS1_30default_config_static_selectorELNS0_4arch9wavefront6targetE0EEEvSY_,comdat
.Lfunc_end1112:
	.size	_ZN7rocprim17ROCPRIM_400000_NS6detail17trampoline_kernelINS0_13select_configILj256ELj13ELNS0_17block_load_methodE3ELS4_3ELS4_3ELNS0_20block_scan_algorithmE0ELj4294967295EEENS1_25partition_config_selectorILNS1_17partition_subalgoE3EjNS0_10empty_typeEbEEZZNS1_14partition_implILS8_3ELb0ES6_jNS0_17counting_iteratorIjlEEPS9_SE_NS0_5tupleIJPjSE_EEENSF_IJSE_SE_EEES9_SG_JZNS1_25segmented_radix_sort_implINS0_14default_configELb1EPKdPdPKlPlN2at6native12_GLOBAL__N_18offset_tEEE10hipError_tPvRmT1_PNSt15iterator_traitsISY_E10value_typeET2_T3_PNSZ_IS14_E10value_typeET4_jRbjT5_S1A_jjP12ihipStream_tbEUljE_EEESV_SW_SX_S14_S18_S1A_T6_T7_T9_mT8_S1C_bDpT10_ENKUlT_T0_E_clISt17integral_constantIbLb0EES1O_IbLb1EEEEDaS1K_S1L_EUlS1K_E_NS1_11comp_targetILNS1_3genE4ELNS1_11target_archE910ELNS1_3gpuE8ELNS1_3repE0EEENS1_30default_config_static_selectorELNS0_4arch9wavefront6targetE0EEEvSY_, .Lfunc_end1112-_ZN7rocprim17ROCPRIM_400000_NS6detail17trampoline_kernelINS0_13select_configILj256ELj13ELNS0_17block_load_methodE3ELS4_3ELS4_3ELNS0_20block_scan_algorithmE0ELj4294967295EEENS1_25partition_config_selectorILNS1_17partition_subalgoE3EjNS0_10empty_typeEbEEZZNS1_14partition_implILS8_3ELb0ES6_jNS0_17counting_iteratorIjlEEPS9_SE_NS0_5tupleIJPjSE_EEENSF_IJSE_SE_EEES9_SG_JZNS1_25segmented_radix_sort_implINS0_14default_configELb1EPKdPdPKlPlN2at6native12_GLOBAL__N_18offset_tEEE10hipError_tPvRmT1_PNSt15iterator_traitsISY_E10value_typeET2_T3_PNSZ_IS14_E10value_typeET4_jRbjT5_S1A_jjP12ihipStream_tbEUljE_EEESV_SW_SX_S14_S18_S1A_T6_T7_T9_mT8_S1C_bDpT10_ENKUlT_T0_E_clISt17integral_constantIbLb0EES1O_IbLb1EEEEDaS1K_S1L_EUlS1K_E_NS1_11comp_targetILNS1_3genE4ELNS1_11target_archE910ELNS1_3gpuE8ELNS1_3repE0EEENS1_30default_config_static_selectorELNS0_4arch9wavefront6targetE0EEEvSY_
                                        ; -- End function
	.section	.AMDGPU.csdata,"",@progbits
; Kernel info:
; codeLenInByte = 0
; NumSgprs: 0
; NumVgprs: 0
; ScratchSize: 0
; MemoryBound: 0
; FloatMode: 240
; IeeeMode: 1
; LDSByteSize: 0 bytes/workgroup (compile time only)
; SGPRBlocks: 0
; VGPRBlocks: 0
; NumSGPRsForWavesPerEU: 1
; NumVGPRsForWavesPerEU: 1
; Occupancy: 16
; WaveLimiterHint : 0
; COMPUTE_PGM_RSRC2:SCRATCH_EN: 0
; COMPUTE_PGM_RSRC2:USER_SGPR: 15
; COMPUTE_PGM_RSRC2:TRAP_HANDLER: 0
; COMPUTE_PGM_RSRC2:TGID_X_EN: 1
; COMPUTE_PGM_RSRC2:TGID_Y_EN: 0
; COMPUTE_PGM_RSRC2:TGID_Z_EN: 0
; COMPUTE_PGM_RSRC2:TIDIG_COMP_CNT: 0
	.section	.text._ZN7rocprim17ROCPRIM_400000_NS6detail17trampoline_kernelINS0_13select_configILj256ELj13ELNS0_17block_load_methodE3ELS4_3ELS4_3ELNS0_20block_scan_algorithmE0ELj4294967295EEENS1_25partition_config_selectorILNS1_17partition_subalgoE3EjNS0_10empty_typeEbEEZZNS1_14partition_implILS8_3ELb0ES6_jNS0_17counting_iteratorIjlEEPS9_SE_NS0_5tupleIJPjSE_EEENSF_IJSE_SE_EEES9_SG_JZNS1_25segmented_radix_sort_implINS0_14default_configELb1EPKdPdPKlPlN2at6native12_GLOBAL__N_18offset_tEEE10hipError_tPvRmT1_PNSt15iterator_traitsISY_E10value_typeET2_T3_PNSZ_IS14_E10value_typeET4_jRbjT5_S1A_jjP12ihipStream_tbEUljE_EEESV_SW_SX_S14_S18_S1A_T6_T7_T9_mT8_S1C_bDpT10_ENKUlT_T0_E_clISt17integral_constantIbLb0EES1O_IbLb1EEEEDaS1K_S1L_EUlS1K_E_NS1_11comp_targetILNS1_3genE3ELNS1_11target_archE908ELNS1_3gpuE7ELNS1_3repE0EEENS1_30default_config_static_selectorELNS0_4arch9wavefront6targetE0EEEvSY_,"axG",@progbits,_ZN7rocprim17ROCPRIM_400000_NS6detail17trampoline_kernelINS0_13select_configILj256ELj13ELNS0_17block_load_methodE3ELS4_3ELS4_3ELNS0_20block_scan_algorithmE0ELj4294967295EEENS1_25partition_config_selectorILNS1_17partition_subalgoE3EjNS0_10empty_typeEbEEZZNS1_14partition_implILS8_3ELb0ES6_jNS0_17counting_iteratorIjlEEPS9_SE_NS0_5tupleIJPjSE_EEENSF_IJSE_SE_EEES9_SG_JZNS1_25segmented_radix_sort_implINS0_14default_configELb1EPKdPdPKlPlN2at6native12_GLOBAL__N_18offset_tEEE10hipError_tPvRmT1_PNSt15iterator_traitsISY_E10value_typeET2_T3_PNSZ_IS14_E10value_typeET4_jRbjT5_S1A_jjP12ihipStream_tbEUljE_EEESV_SW_SX_S14_S18_S1A_T6_T7_T9_mT8_S1C_bDpT10_ENKUlT_T0_E_clISt17integral_constantIbLb0EES1O_IbLb1EEEEDaS1K_S1L_EUlS1K_E_NS1_11comp_targetILNS1_3genE3ELNS1_11target_archE908ELNS1_3gpuE7ELNS1_3repE0EEENS1_30default_config_static_selectorELNS0_4arch9wavefront6targetE0EEEvSY_,comdat
	.globl	_ZN7rocprim17ROCPRIM_400000_NS6detail17trampoline_kernelINS0_13select_configILj256ELj13ELNS0_17block_load_methodE3ELS4_3ELS4_3ELNS0_20block_scan_algorithmE0ELj4294967295EEENS1_25partition_config_selectorILNS1_17partition_subalgoE3EjNS0_10empty_typeEbEEZZNS1_14partition_implILS8_3ELb0ES6_jNS0_17counting_iteratorIjlEEPS9_SE_NS0_5tupleIJPjSE_EEENSF_IJSE_SE_EEES9_SG_JZNS1_25segmented_radix_sort_implINS0_14default_configELb1EPKdPdPKlPlN2at6native12_GLOBAL__N_18offset_tEEE10hipError_tPvRmT1_PNSt15iterator_traitsISY_E10value_typeET2_T3_PNSZ_IS14_E10value_typeET4_jRbjT5_S1A_jjP12ihipStream_tbEUljE_EEESV_SW_SX_S14_S18_S1A_T6_T7_T9_mT8_S1C_bDpT10_ENKUlT_T0_E_clISt17integral_constantIbLb0EES1O_IbLb1EEEEDaS1K_S1L_EUlS1K_E_NS1_11comp_targetILNS1_3genE3ELNS1_11target_archE908ELNS1_3gpuE7ELNS1_3repE0EEENS1_30default_config_static_selectorELNS0_4arch9wavefront6targetE0EEEvSY_ ; -- Begin function _ZN7rocprim17ROCPRIM_400000_NS6detail17trampoline_kernelINS0_13select_configILj256ELj13ELNS0_17block_load_methodE3ELS4_3ELS4_3ELNS0_20block_scan_algorithmE0ELj4294967295EEENS1_25partition_config_selectorILNS1_17partition_subalgoE3EjNS0_10empty_typeEbEEZZNS1_14partition_implILS8_3ELb0ES6_jNS0_17counting_iteratorIjlEEPS9_SE_NS0_5tupleIJPjSE_EEENSF_IJSE_SE_EEES9_SG_JZNS1_25segmented_radix_sort_implINS0_14default_configELb1EPKdPdPKlPlN2at6native12_GLOBAL__N_18offset_tEEE10hipError_tPvRmT1_PNSt15iterator_traitsISY_E10value_typeET2_T3_PNSZ_IS14_E10value_typeET4_jRbjT5_S1A_jjP12ihipStream_tbEUljE_EEESV_SW_SX_S14_S18_S1A_T6_T7_T9_mT8_S1C_bDpT10_ENKUlT_T0_E_clISt17integral_constantIbLb0EES1O_IbLb1EEEEDaS1K_S1L_EUlS1K_E_NS1_11comp_targetILNS1_3genE3ELNS1_11target_archE908ELNS1_3gpuE7ELNS1_3repE0EEENS1_30default_config_static_selectorELNS0_4arch9wavefront6targetE0EEEvSY_
	.p2align	8
	.type	_ZN7rocprim17ROCPRIM_400000_NS6detail17trampoline_kernelINS0_13select_configILj256ELj13ELNS0_17block_load_methodE3ELS4_3ELS4_3ELNS0_20block_scan_algorithmE0ELj4294967295EEENS1_25partition_config_selectorILNS1_17partition_subalgoE3EjNS0_10empty_typeEbEEZZNS1_14partition_implILS8_3ELb0ES6_jNS0_17counting_iteratorIjlEEPS9_SE_NS0_5tupleIJPjSE_EEENSF_IJSE_SE_EEES9_SG_JZNS1_25segmented_radix_sort_implINS0_14default_configELb1EPKdPdPKlPlN2at6native12_GLOBAL__N_18offset_tEEE10hipError_tPvRmT1_PNSt15iterator_traitsISY_E10value_typeET2_T3_PNSZ_IS14_E10value_typeET4_jRbjT5_S1A_jjP12ihipStream_tbEUljE_EEESV_SW_SX_S14_S18_S1A_T6_T7_T9_mT8_S1C_bDpT10_ENKUlT_T0_E_clISt17integral_constantIbLb0EES1O_IbLb1EEEEDaS1K_S1L_EUlS1K_E_NS1_11comp_targetILNS1_3genE3ELNS1_11target_archE908ELNS1_3gpuE7ELNS1_3repE0EEENS1_30default_config_static_selectorELNS0_4arch9wavefront6targetE0EEEvSY_,@function
_ZN7rocprim17ROCPRIM_400000_NS6detail17trampoline_kernelINS0_13select_configILj256ELj13ELNS0_17block_load_methodE3ELS4_3ELS4_3ELNS0_20block_scan_algorithmE0ELj4294967295EEENS1_25partition_config_selectorILNS1_17partition_subalgoE3EjNS0_10empty_typeEbEEZZNS1_14partition_implILS8_3ELb0ES6_jNS0_17counting_iteratorIjlEEPS9_SE_NS0_5tupleIJPjSE_EEENSF_IJSE_SE_EEES9_SG_JZNS1_25segmented_radix_sort_implINS0_14default_configELb1EPKdPdPKlPlN2at6native12_GLOBAL__N_18offset_tEEE10hipError_tPvRmT1_PNSt15iterator_traitsISY_E10value_typeET2_T3_PNSZ_IS14_E10value_typeET4_jRbjT5_S1A_jjP12ihipStream_tbEUljE_EEESV_SW_SX_S14_S18_S1A_T6_T7_T9_mT8_S1C_bDpT10_ENKUlT_T0_E_clISt17integral_constantIbLb0EES1O_IbLb1EEEEDaS1K_S1L_EUlS1K_E_NS1_11comp_targetILNS1_3genE3ELNS1_11target_archE908ELNS1_3gpuE7ELNS1_3repE0EEENS1_30default_config_static_selectorELNS0_4arch9wavefront6targetE0EEEvSY_: ; @_ZN7rocprim17ROCPRIM_400000_NS6detail17trampoline_kernelINS0_13select_configILj256ELj13ELNS0_17block_load_methodE3ELS4_3ELS4_3ELNS0_20block_scan_algorithmE0ELj4294967295EEENS1_25partition_config_selectorILNS1_17partition_subalgoE3EjNS0_10empty_typeEbEEZZNS1_14partition_implILS8_3ELb0ES6_jNS0_17counting_iteratorIjlEEPS9_SE_NS0_5tupleIJPjSE_EEENSF_IJSE_SE_EEES9_SG_JZNS1_25segmented_radix_sort_implINS0_14default_configELb1EPKdPdPKlPlN2at6native12_GLOBAL__N_18offset_tEEE10hipError_tPvRmT1_PNSt15iterator_traitsISY_E10value_typeET2_T3_PNSZ_IS14_E10value_typeET4_jRbjT5_S1A_jjP12ihipStream_tbEUljE_EEESV_SW_SX_S14_S18_S1A_T6_T7_T9_mT8_S1C_bDpT10_ENKUlT_T0_E_clISt17integral_constantIbLb0EES1O_IbLb1EEEEDaS1K_S1L_EUlS1K_E_NS1_11comp_targetILNS1_3genE3ELNS1_11target_archE908ELNS1_3gpuE7ELNS1_3repE0EEENS1_30default_config_static_selectorELNS0_4arch9wavefront6targetE0EEEvSY_
; %bb.0:
	.section	.rodata,"a",@progbits
	.p2align	6, 0x0
	.amdhsa_kernel _ZN7rocprim17ROCPRIM_400000_NS6detail17trampoline_kernelINS0_13select_configILj256ELj13ELNS0_17block_load_methodE3ELS4_3ELS4_3ELNS0_20block_scan_algorithmE0ELj4294967295EEENS1_25partition_config_selectorILNS1_17partition_subalgoE3EjNS0_10empty_typeEbEEZZNS1_14partition_implILS8_3ELb0ES6_jNS0_17counting_iteratorIjlEEPS9_SE_NS0_5tupleIJPjSE_EEENSF_IJSE_SE_EEES9_SG_JZNS1_25segmented_radix_sort_implINS0_14default_configELb1EPKdPdPKlPlN2at6native12_GLOBAL__N_18offset_tEEE10hipError_tPvRmT1_PNSt15iterator_traitsISY_E10value_typeET2_T3_PNSZ_IS14_E10value_typeET4_jRbjT5_S1A_jjP12ihipStream_tbEUljE_EEESV_SW_SX_S14_S18_S1A_T6_T7_T9_mT8_S1C_bDpT10_ENKUlT_T0_E_clISt17integral_constantIbLb0EES1O_IbLb1EEEEDaS1K_S1L_EUlS1K_E_NS1_11comp_targetILNS1_3genE3ELNS1_11target_archE908ELNS1_3gpuE7ELNS1_3repE0EEENS1_30default_config_static_selectorELNS0_4arch9wavefront6targetE0EEEvSY_
		.amdhsa_group_segment_fixed_size 0
		.amdhsa_private_segment_fixed_size 0
		.amdhsa_kernarg_size 152
		.amdhsa_user_sgpr_count 15
		.amdhsa_user_sgpr_dispatch_ptr 0
		.amdhsa_user_sgpr_queue_ptr 0
		.amdhsa_user_sgpr_kernarg_segment_ptr 1
		.amdhsa_user_sgpr_dispatch_id 0
		.amdhsa_user_sgpr_private_segment_size 0
		.amdhsa_wavefront_size32 1
		.amdhsa_uses_dynamic_stack 0
		.amdhsa_enable_private_segment 0
		.amdhsa_system_sgpr_workgroup_id_x 1
		.amdhsa_system_sgpr_workgroup_id_y 0
		.amdhsa_system_sgpr_workgroup_id_z 0
		.amdhsa_system_sgpr_workgroup_info 0
		.amdhsa_system_vgpr_workitem_id 0
		.amdhsa_next_free_vgpr 1
		.amdhsa_next_free_sgpr 1
		.amdhsa_reserve_vcc 0
		.amdhsa_float_round_mode_32 0
		.amdhsa_float_round_mode_16_64 0
		.amdhsa_float_denorm_mode_32 3
		.amdhsa_float_denorm_mode_16_64 3
		.amdhsa_dx10_clamp 1
		.amdhsa_ieee_mode 1
		.amdhsa_fp16_overflow 0
		.amdhsa_workgroup_processor_mode 1
		.amdhsa_memory_ordered 1
		.amdhsa_forward_progress 0
		.amdhsa_shared_vgpr_count 0
		.amdhsa_exception_fp_ieee_invalid_op 0
		.amdhsa_exception_fp_denorm_src 0
		.amdhsa_exception_fp_ieee_div_zero 0
		.amdhsa_exception_fp_ieee_overflow 0
		.amdhsa_exception_fp_ieee_underflow 0
		.amdhsa_exception_fp_ieee_inexact 0
		.amdhsa_exception_int_div_zero 0
	.end_amdhsa_kernel
	.section	.text._ZN7rocprim17ROCPRIM_400000_NS6detail17trampoline_kernelINS0_13select_configILj256ELj13ELNS0_17block_load_methodE3ELS4_3ELS4_3ELNS0_20block_scan_algorithmE0ELj4294967295EEENS1_25partition_config_selectorILNS1_17partition_subalgoE3EjNS0_10empty_typeEbEEZZNS1_14partition_implILS8_3ELb0ES6_jNS0_17counting_iteratorIjlEEPS9_SE_NS0_5tupleIJPjSE_EEENSF_IJSE_SE_EEES9_SG_JZNS1_25segmented_radix_sort_implINS0_14default_configELb1EPKdPdPKlPlN2at6native12_GLOBAL__N_18offset_tEEE10hipError_tPvRmT1_PNSt15iterator_traitsISY_E10value_typeET2_T3_PNSZ_IS14_E10value_typeET4_jRbjT5_S1A_jjP12ihipStream_tbEUljE_EEESV_SW_SX_S14_S18_S1A_T6_T7_T9_mT8_S1C_bDpT10_ENKUlT_T0_E_clISt17integral_constantIbLb0EES1O_IbLb1EEEEDaS1K_S1L_EUlS1K_E_NS1_11comp_targetILNS1_3genE3ELNS1_11target_archE908ELNS1_3gpuE7ELNS1_3repE0EEENS1_30default_config_static_selectorELNS0_4arch9wavefront6targetE0EEEvSY_,"axG",@progbits,_ZN7rocprim17ROCPRIM_400000_NS6detail17trampoline_kernelINS0_13select_configILj256ELj13ELNS0_17block_load_methodE3ELS4_3ELS4_3ELNS0_20block_scan_algorithmE0ELj4294967295EEENS1_25partition_config_selectorILNS1_17partition_subalgoE3EjNS0_10empty_typeEbEEZZNS1_14partition_implILS8_3ELb0ES6_jNS0_17counting_iteratorIjlEEPS9_SE_NS0_5tupleIJPjSE_EEENSF_IJSE_SE_EEES9_SG_JZNS1_25segmented_radix_sort_implINS0_14default_configELb1EPKdPdPKlPlN2at6native12_GLOBAL__N_18offset_tEEE10hipError_tPvRmT1_PNSt15iterator_traitsISY_E10value_typeET2_T3_PNSZ_IS14_E10value_typeET4_jRbjT5_S1A_jjP12ihipStream_tbEUljE_EEESV_SW_SX_S14_S18_S1A_T6_T7_T9_mT8_S1C_bDpT10_ENKUlT_T0_E_clISt17integral_constantIbLb0EES1O_IbLb1EEEEDaS1K_S1L_EUlS1K_E_NS1_11comp_targetILNS1_3genE3ELNS1_11target_archE908ELNS1_3gpuE7ELNS1_3repE0EEENS1_30default_config_static_selectorELNS0_4arch9wavefront6targetE0EEEvSY_,comdat
.Lfunc_end1113:
	.size	_ZN7rocprim17ROCPRIM_400000_NS6detail17trampoline_kernelINS0_13select_configILj256ELj13ELNS0_17block_load_methodE3ELS4_3ELS4_3ELNS0_20block_scan_algorithmE0ELj4294967295EEENS1_25partition_config_selectorILNS1_17partition_subalgoE3EjNS0_10empty_typeEbEEZZNS1_14partition_implILS8_3ELb0ES6_jNS0_17counting_iteratorIjlEEPS9_SE_NS0_5tupleIJPjSE_EEENSF_IJSE_SE_EEES9_SG_JZNS1_25segmented_radix_sort_implINS0_14default_configELb1EPKdPdPKlPlN2at6native12_GLOBAL__N_18offset_tEEE10hipError_tPvRmT1_PNSt15iterator_traitsISY_E10value_typeET2_T3_PNSZ_IS14_E10value_typeET4_jRbjT5_S1A_jjP12ihipStream_tbEUljE_EEESV_SW_SX_S14_S18_S1A_T6_T7_T9_mT8_S1C_bDpT10_ENKUlT_T0_E_clISt17integral_constantIbLb0EES1O_IbLb1EEEEDaS1K_S1L_EUlS1K_E_NS1_11comp_targetILNS1_3genE3ELNS1_11target_archE908ELNS1_3gpuE7ELNS1_3repE0EEENS1_30default_config_static_selectorELNS0_4arch9wavefront6targetE0EEEvSY_, .Lfunc_end1113-_ZN7rocprim17ROCPRIM_400000_NS6detail17trampoline_kernelINS0_13select_configILj256ELj13ELNS0_17block_load_methodE3ELS4_3ELS4_3ELNS0_20block_scan_algorithmE0ELj4294967295EEENS1_25partition_config_selectorILNS1_17partition_subalgoE3EjNS0_10empty_typeEbEEZZNS1_14partition_implILS8_3ELb0ES6_jNS0_17counting_iteratorIjlEEPS9_SE_NS0_5tupleIJPjSE_EEENSF_IJSE_SE_EEES9_SG_JZNS1_25segmented_radix_sort_implINS0_14default_configELb1EPKdPdPKlPlN2at6native12_GLOBAL__N_18offset_tEEE10hipError_tPvRmT1_PNSt15iterator_traitsISY_E10value_typeET2_T3_PNSZ_IS14_E10value_typeET4_jRbjT5_S1A_jjP12ihipStream_tbEUljE_EEESV_SW_SX_S14_S18_S1A_T6_T7_T9_mT8_S1C_bDpT10_ENKUlT_T0_E_clISt17integral_constantIbLb0EES1O_IbLb1EEEEDaS1K_S1L_EUlS1K_E_NS1_11comp_targetILNS1_3genE3ELNS1_11target_archE908ELNS1_3gpuE7ELNS1_3repE0EEENS1_30default_config_static_selectorELNS0_4arch9wavefront6targetE0EEEvSY_
                                        ; -- End function
	.section	.AMDGPU.csdata,"",@progbits
; Kernel info:
; codeLenInByte = 0
; NumSgprs: 0
; NumVgprs: 0
; ScratchSize: 0
; MemoryBound: 0
; FloatMode: 240
; IeeeMode: 1
; LDSByteSize: 0 bytes/workgroup (compile time only)
; SGPRBlocks: 0
; VGPRBlocks: 0
; NumSGPRsForWavesPerEU: 1
; NumVGPRsForWavesPerEU: 1
; Occupancy: 16
; WaveLimiterHint : 0
; COMPUTE_PGM_RSRC2:SCRATCH_EN: 0
; COMPUTE_PGM_RSRC2:USER_SGPR: 15
; COMPUTE_PGM_RSRC2:TRAP_HANDLER: 0
; COMPUTE_PGM_RSRC2:TGID_X_EN: 1
; COMPUTE_PGM_RSRC2:TGID_Y_EN: 0
; COMPUTE_PGM_RSRC2:TGID_Z_EN: 0
; COMPUTE_PGM_RSRC2:TIDIG_COMP_CNT: 0
	.section	.text._ZN7rocprim17ROCPRIM_400000_NS6detail17trampoline_kernelINS0_13select_configILj256ELj13ELNS0_17block_load_methodE3ELS4_3ELS4_3ELNS0_20block_scan_algorithmE0ELj4294967295EEENS1_25partition_config_selectorILNS1_17partition_subalgoE3EjNS0_10empty_typeEbEEZZNS1_14partition_implILS8_3ELb0ES6_jNS0_17counting_iteratorIjlEEPS9_SE_NS0_5tupleIJPjSE_EEENSF_IJSE_SE_EEES9_SG_JZNS1_25segmented_radix_sort_implINS0_14default_configELb1EPKdPdPKlPlN2at6native12_GLOBAL__N_18offset_tEEE10hipError_tPvRmT1_PNSt15iterator_traitsISY_E10value_typeET2_T3_PNSZ_IS14_E10value_typeET4_jRbjT5_S1A_jjP12ihipStream_tbEUljE_EEESV_SW_SX_S14_S18_S1A_T6_T7_T9_mT8_S1C_bDpT10_ENKUlT_T0_E_clISt17integral_constantIbLb0EES1O_IbLb1EEEEDaS1K_S1L_EUlS1K_E_NS1_11comp_targetILNS1_3genE2ELNS1_11target_archE906ELNS1_3gpuE6ELNS1_3repE0EEENS1_30default_config_static_selectorELNS0_4arch9wavefront6targetE0EEEvSY_,"axG",@progbits,_ZN7rocprim17ROCPRIM_400000_NS6detail17trampoline_kernelINS0_13select_configILj256ELj13ELNS0_17block_load_methodE3ELS4_3ELS4_3ELNS0_20block_scan_algorithmE0ELj4294967295EEENS1_25partition_config_selectorILNS1_17partition_subalgoE3EjNS0_10empty_typeEbEEZZNS1_14partition_implILS8_3ELb0ES6_jNS0_17counting_iteratorIjlEEPS9_SE_NS0_5tupleIJPjSE_EEENSF_IJSE_SE_EEES9_SG_JZNS1_25segmented_radix_sort_implINS0_14default_configELb1EPKdPdPKlPlN2at6native12_GLOBAL__N_18offset_tEEE10hipError_tPvRmT1_PNSt15iterator_traitsISY_E10value_typeET2_T3_PNSZ_IS14_E10value_typeET4_jRbjT5_S1A_jjP12ihipStream_tbEUljE_EEESV_SW_SX_S14_S18_S1A_T6_T7_T9_mT8_S1C_bDpT10_ENKUlT_T0_E_clISt17integral_constantIbLb0EES1O_IbLb1EEEEDaS1K_S1L_EUlS1K_E_NS1_11comp_targetILNS1_3genE2ELNS1_11target_archE906ELNS1_3gpuE6ELNS1_3repE0EEENS1_30default_config_static_selectorELNS0_4arch9wavefront6targetE0EEEvSY_,comdat
	.globl	_ZN7rocprim17ROCPRIM_400000_NS6detail17trampoline_kernelINS0_13select_configILj256ELj13ELNS0_17block_load_methodE3ELS4_3ELS4_3ELNS0_20block_scan_algorithmE0ELj4294967295EEENS1_25partition_config_selectorILNS1_17partition_subalgoE3EjNS0_10empty_typeEbEEZZNS1_14partition_implILS8_3ELb0ES6_jNS0_17counting_iteratorIjlEEPS9_SE_NS0_5tupleIJPjSE_EEENSF_IJSE_SE_EEES9_SG_JZNS1_25segmented_radix_sort_implINS0_14default_configELb1EPKdPdPKlPlN2at6native12_GLOBAL__N_18offset_tEEE10hipError_tPvRmT1_PNSt15iterator_traitsISY_E10value_typeET2_T3_PNSZ_IS14_E10value_typeET4_jRbjT5_S1A_jjP12ihipStream_tbEUljE_EEESV_SW_SX_S14_S18_S1A_T6_T7_T9_mT8_S1C_bDpT10_ENKUlT_T0_E_clISt17integral_constantIbLb0EES1O_IbLb1EEEEDaS1K_S1L_EUlS1K_E_NS1_11comp_targetILNS1_3genE2ELNS1_11target_archE906ELNS1_3gpuE6ELNS1_3repE0EEENS1_30default_config_static_selectorELNS0_4arch9wavefront6targetE0EEEvSY_ ; -- Begin function _ZN7rocprim17ROCPRIM_400000_NS6detail17trampoline_kernelINS0_13select_configILj256ELj13ELNS0_17block_load_methodE3ELS4_3ELS4_3ELNS0_20block_scan_algorithmE0ELj4294967295EEENS1_25partition_config_selectorILNS1_17partition_subalgoE3EjNS0_10empty_typeEbEEZZNS1_14partition_implILS8_3ELb0ES6_jNS0_17counting_iteratorIjlEEPS9_SE_NS0_5tupleIJPjSE_EEENSF_IJSE_SE_EEES9_SG_JZNS1_25segmented_radix_sort_implINS0_14default_configELb1EPKdPdPKlPlN2at6native12_GLOBAL__N_18offset_tEEE10hipError_tPvRmT1_PNSt15iterator_traitsISY_E10value_typeET2_T3_PNSZ_IS14_E10value_typeET4_jRbjT5_S1A_jjP12ihipStream_tbEUljE_EEESV_SW_SX_S14_S18_S1A_T6_T7_T9_mT8_S1C_bDpT10_ENKUlT_T0_E_clISt17integral_constantIbLb0EES1O_IbLb1EEEEDaS1K_S1L_EUlS1K_E_NS1_11comp_targetILNS1_3genE2ELNS1_11target_archE906ELNS1_3gpuE6ELNS1_3repE0EEENS1_30default_config_static_selectorELNS0_4arch9wavefront6targetE0EEEvSY_
	.p2align	8
	.type	_ZN7rocprim17ROCPRIM_400000_NS6detail17trampoline_kernelINS0_13select_configILj256ELj13ELNS0_17block_load_methodE3ELS4_3ELS4_3ELNS0_20block_scan_algorithmE0ELj4294967295EEENS1_25partition_config_selectorILNS1_17partition_subalgoE3EjNS0_10empty_typeEbEEZZNS1_14partition_implILS8_3ELb0ES6_jNS0_17counting_iteratorIjlEEPS9_SE_NS0_5tupleIJPjSE_EEENSF_IJSE_SE_EEES9_SG_JZNS1_25segmented_radix_sort_implINS0_14default_configELb1EPKdPdPKlPlN2at6native12_GLOBAL__N_18offset_tEEE10hipError_tPvRmT1_PNSt15iterator_traitsISY_E10value_typeET2_T3_PNSZ_IS14_E10value_typeET4_jRbjT5_S1A_jjP12ihipStream_tbEUljE_EEESV_SW_SX_S14_S18_S1A_T6_T7_T9_mT8_S1C_bDpT10_ENKUlT_T0_E_clISt17integral_constantIbLb0EES1O_IbLb1EEEEDaS1K_S1L_EUlS1K_E_NS1_11comp_targetILNS1_3genE2ELNS1_11target_archE906ELNS1_3gpuE6ELNS1_3repE0EEENS1_30default_config_static_selectorELNS0_4arch9wavefront6targetE0EEEvSY_,@function
_ZN7rocprim17ROCPRIM_400000_NS6detail17trampoline_kernelINS0_13select_configILj256ELj13ELNS0_17block_load_methodE3ELS4_3ELS4_3ELNS0_20block_scan_algorithmE0ELj4294967295EEENS1_25partition_config_selectorILNS1_17partition_subalgoE3EjNS0_10empty_typeEbEEZZNS1_14partition_implILS8_3ELb0ES6_jNS0_17counting_iteratorIjlEEPS9_SE_NS0_5tupleIJPjSE_EEENSF_IJSE_SE_EEES9_SG_JZNS1_25segmented_radix_sort_implINS0_14default_configELb1EPKdPdPKlPlN2at6native12_GLOBAL__N_18offset_tEEE10hipError_tPvRmT1_PNSt15iterator_traitsISY_E10value_typeET2_T3_PNSZ_IS14_E10value_typeET4_jRbjT5_S1A_jjP12ihipStream_tbEUljE_EEESV_SW_SX_S14_S18_S1A_T6_T7_T9_mT8_S1C_bDpT10_ENKUlT_T0_E_clISt17integral_constantIbLb0EES1O_IbLb1EEEEDaS1K_S1L_EUlS1K_E_NS1_11comp_targetILNS1_3genE2ELNS1_11target_archE906ELNS1_3gpuE6ELNS1_3repE0EEENS1_30default_config_static_selectorELNS0_4arch9wavefront6targetE0EEEvSY_: ; @_ZN7rocprim17ROCPRIM_400000_NS6detail17trampoline_kernelINS0_13select_configILj256ELj13ELNS0_17block_load_methodE3ELS4_3ELS4_3ELNS0_20block_scan_algorithmE0ELj4294967295EEENS1_25partition_config_selectorILNS1_17partition_subalgoE3EjNS0_10empty_typeEbEEZZNS1_14partition_implILS8_3ELb0ES6_jNS0_17counting_iteratorIjlEEPS9_SE_NS0_5tupleIJPjSE_EEENSF_IJSE_SE_EEES9_SG_JZNS1_25segmented_radix_sort_implINS0_14default_configELb1EPKdPdPKlPlN2at6native12_GLOBAL__N_18offset_tEEE10hipError_tPvRmT1_PNSt15iterator_traitsISY_E10value_typeET2_T3_PNSZ_IS14_E10value_typeET4_jRbjT5_S1A_jjP12ihipStream_tbEUljE_EEESV_SW_SX_S14_S18_S1A_T6_T7_T9_mT8_S1C_bDpT10_ENKUlT_T0_E_clISt17integral_constantIbLb0EES1O_IbLb1EEEEDaS1K_S1L_EUlS1K_E_NS1_11comp_targetILNS1_3genE2ELNS1_11target_archE906ELNS1_3gpuE6ELNS1_3repE0EEENS1_30default_config_static_selectorELNS0_4arch9wavefront6targetE0EEEvSY_
; %bb.0:
	.section	.rodata,"a",@progbits
	.p2align	6, 0x0
	.amdhsa_kernel _ZN7rocprim17ROCPRIM_400000_NS6detail17trampoline_kernelINS0_13select_configILj256ELj13ELNS0_17block_load_methodE3ELS4_3ELS4_3ELNS0_20block_scan_algorithmE0ELj4294967295EEENS1_25partition_config_selectorILNS1_17partition_subalgoE3EjNS0_10empty_typeEbEEZZNS1_14partition_implILS8_3ELb0ES6_jNS0_17counting_iteratorIjlEEPS9_SE_NS0_5tupleIJPjSE_EEENSF_IJSE_SE_EEES9_SG_JZNS1_25segmented_radix_sort_implINS0_14default_configELb1EPKdPdPKlPlN2at6native12_GLOBAL__N_18offset_tEEE10hipError_tPvRmT1_PNSt15iterator_traitsISY_E10value_typeET2_T3_PNSZ_IS14_E10value_typeET4_jRbjT5_S1A_jjP12ihipStream_tbEUljE_EEESV_SW_SX_S14_S18_S1A_T6_T7_T9_mT8_S1C_bDpT10_ENKUlT_T0_E_clISt17integral_constantIbLb0EES1O_IbLb1EEEEDaS1K_S1L_EUlS1K_E_NS1_11comp_targetILNS1_3genE2ELNS1_11target_archE906ELNS1_3gpuE6ELNS1_3repE0EEENS1_30default_config_static_selectorELNS0_4arch9wavefront6targetE0EEEvSY_
		.amdhsa_group_segment_fixed_size 0
		.amdhsa_private_segment_fixed_size 0
		.amdhsa_kernarg_size 152
		.amdhsa_user_sgpr_count 15
		.amdhsa_user_sgpr_dispatch_ptr 0
		.amdhsa_user_sgpr_queue_ptr 0
		.amdhsa_user_sgpr_kernarg_segment_ptr 1
		.amdhsa_user_sgpr_dispatch_id 0
		.amdhsa_user_sgpr_private_segment_size 0
		.amdhsa_wavefront_size32 1
		.amdhsa_uses_dynamic_stack 0
		.amdhsa_enable_private_segment 0
		.amdhsa_system_sgpr_workgroup_id_x 1
		.amdhsa_system_sgpr_workgroup_id_y 0
		.amdhsa_system_sgpr_workgroup_id_z 0
		.amdhsa_system_sgpr_workgroup_info 0
		.amdhsa_system_vgpr_workitem_id 0
		.amdhsa_next_free_vgpr 1
		.amdhsa_next_free_sgpr 1
		.amdhsa_reserve_vcc 0
		.amdhsa_float_round_mode_32 0
		.amdhsa_float_round_mode_16_64 0
		.amdhsa_float_denorm_mode_32 3
		.amdhsa_float_denorm_mode_16_64 3
		.amdhsa_dx10_clamp 1
		.amdhsa_ieee_mode 1
		.amdhsa_fp16_overflow 0
		.amdhsa_workgroup_processor_mode 1
		.amdhsa_memory_ordered 1
		.amdhsa_forward_progress 0
		.amdhsa_shared_vgpr_count 0
		.amdhsa_exception_fp_ieee_invalid_op 0
		.amdhsa_exception_fp_denorm_src 0
		.amdhsa_exception_fp_ieee_div_zero 0
		.amdhsa_exception_fp_ieee_overflow 0
		.amdhsa_exception_fp_ieee_underflow 0
		.amdhsa_exception_fp_ieee_inexact 0
		.amdhsa_exception_int_div_zero 0
	.end_amdhsa_kernel
	.section	.text._ZN7rocprim17ROCPRIM_400000_NS6detail17trampoline_kernelINS0_13select_configILj256ELj13ELNS0_17block_load_methodE3ELS4_3ELS4_3ELNS0_20block_scan_algorithmE0ELj4294967295EEENS1_25partition_config_selectorILNS1_17partition_subalgoE3EjNS0_10empty_typeEbEEZZNS1_14partition_implILS8_3ELb0ES6_jNS0_17counting_iteratorIjlEEPS9_SE_NS0_5tupleIJPjSE_EEENSF_IJSE_SE_EEES9_SG_JZNS1_25segmented_radix_sort_implINS0_14default_configELb1EPKdPdPKlPlN2at6native12_GLOBAL__N_18offset_tEEE10hipError_tPvRmT1_PNSt15iterator_traitsISY_E10value_typeET2_T3_PNSZ_IS14_E10value_typeET4_jRbjT5_S1A_jjP12ihipStream_tbEUljE_EEESV_SW_SX_S14_S18_S1A_T6_T7_T9_mT8_S1C_bDpT10_ENKUlT_T0_E_clISt17integral_constantIbLb0EES1O_IbLb1EEEEDaS1K_S1L_EUlS1K_E_NS1_11comp_targetILNS1_3genE2ELNS1_11target_archE906ELNS1_3gpuE6ELNS1_3repE0EEENS1_30default_config_static_selectorELNS0_4arch9wavefront6targetE0EEEvSY_,"axG",@progbits,_ZN7rocprim17ROCPRIM_400000_NS6detail17trampoline_kernelINS0_13select_configILj256ELj13ELNS0_17block_load_methodE3ELS4_3ELS4_3ELNS0_20block_scan_algorithmE0ELj4294967295EEENS1_25partition_config_selectorILNS1_17partition_subalgoE3EjNS0_10empty_typeEbEEZZNS1_14partition_implILS8_3ELb0ES6_jNS0_17counting_iteratorIjlEEPS9_SE_NS0_5tupleIJPjSE_EEENSF_IJSE_SE_EEES9_SG_JZNS1_25segmented_radix_sort_implINS0_14default_configELb1EPKdPdPKlPlN2at6native12_GLOBAL__N_18offset_tEEE10hipError_tPvRmT1_PNSt15iterator_traitsISY_E10value_typeET2_T3_PNSZ_IS14_E10value_typeET4_jRbjT5_S1A_jjP12ihipStream_tbEUljE_EEESV_SW_SX_S14_S18_S1A_T6_T7_T9_mT8_S1C_bDpT10_ENKUlT_T0_E_clISt17integral_constantIbLb0EES1O_IbLb1EEEEDaS1K_S1L_EUlS1K_E_NS1_11comp_targetILNS1_3genE2ELNS1_11target_archE906ELNS1_3gpuE6ELNS1_3repE0EEENS1_30default_config_static_selectorELNS0_4arch9wavefront6targetE0EEEvSY_,comdat
.Lfunc_end1114:
	.size	_ZN7rocprim17ROCPRIM_400000_NS6detail17trampoline_kernelINS0_13select_configILj256ELj13ELNS0_17block_load_methodE3ELS4_3ELS4_3ELNS0_20block_scan_algorithmE0ELj4294967295EEENS1_25partition_config_selectorILNS1_17partition_subalgoE3EjNS0_10empty_typeEbEEZZNS1_14partition_implILS8_3ELb0ES6_jNS0_17counting_iteratorIjlEEPS9_SE_NS0_5tupleIJPjSE_EEENSF_IJSE_SE_EEES9_SG_JZNS1_25segmented_radix_sort_implINS0_14default_configELb1EPKdPdPKlPlN2at6native12_GLOBAL__N_18offset_tEEE10hipError_tPvRmT1_PNSt15iterator_traitsISY_E10value_typeET2_T3_PNSZ_IS14_E10value_typeET4_jRbjT5_S1A_jjP12ihipStream_tbEUljE_EEESV_SW_SX_S14_S18_S1A_T6_T7_T9_mT8_S1C_bDpT10_ENKUlT_T0_E_clISt17integral_constantIbLb0EES1O_IbLb1EEEEDaS1K_S1L_EUlS1K_E_NS1_11comp_targetILNS1_3genE2ELNS1_11target_archE906ELNS1_3gpuE6ELNS1_3repE0EEENS1_30default_config_static_selectorELNS0_4arch9wavefront6targetE0EEEvSY_, .Lfunc_end1114-_ZN7rocprim17ROCPRIM_400000_NS6detail17trampoline_kernelINS0_13select_configILj256ELj13ELNS0_17block_load_methodE3ELS4_3ELS4_3ELNS0_20block_scan_algorithmE0ELj4294967295EEENS1_25partition_config_selectorILNS1_17partition_subalgoE3EjNS0_10empty_typeEbEEZZNS1_14partition_implILS8_3ELb0ES6_jNS0_17counting_iteratorIjlEEPS9_SE_NS0_5tupleIJPjSE_EEENSF_IJSE_SE_EEES9_SG_JZNS1_25segmented_radix_sort_implINS0_14default_configELb1EPKdPdPKlPlN2at6native12_GLOBAL__N_18offset_tEEE10hipError_tPvRmT1_PNSt15iterator_traitsISY_E10value_typeET2_T3_PNSZ_IS14_E10value_typeET4_jRbjT5_S1A_jjP12ihipStream_tbEUljE_EEESV_SW_SX_S14_S18_S1A_T6_T7_T9_mT8_S1C_bDpT10_ENKUlT_T0_E_clISt17integral_constantIbLb0EES1O_IbLb1EEEEDaS1K_S1L_EUlS1K_E_NS1_11comp_targetILNS1_3genE2ELNS1_11target_archE906ELNS1_3gpuE6ELNS1_3repE0EEENS1_30default_config_static_selectorELNS0_4arch9wavefront6targetE0EEEvSY_
                                        ; -- End function
	.section	.AMDGPU.csdata,"",@progbits
; Kernel info:
; codeLenInByte = 0
; NumSgprs: 0
; NumVgprs: 0
; ScratchSize: 0
; MemoryBound: 0
; FloatMode: 240
; IeeeMode: 1
; LDSByteSize: 0 bytes/workgroup (compile time only)
; SGPRBlocks: 0
; VGPRBlocks: 0
; NumSGPRsForWavesPerEU: 1
; NumVGPRsForWavesPerEU: 1
; Occupancy: 16
; WaveLimiterHint : 0
; COMPUTE_PGM_RSRC2:SCRATCH_EN: 0
; COMPUTE_PGM_RSRC2:USER_SGPR: 15
; COMPUTE_PGM_RSRC2:TRAP_HANDLER: 0
; COMPUTE_PGM_RSRC2:TGID_X_EN: 1
; COMPUTE_PGM_RSRC2:TGID_Y_EN: 0
; COMPUTE_PGM_RSRC2:TGID_Z_EN: 0
; COMPUTE_PGM_RSRC2:TIDIG_COMP_CNT: 0
	.section	.text._ZN7rocprim17ROCPRIM_400000_NS6detail17trampoline_kernelINS0_13select_configILj256ELj13ELNS0_17block_load_methodE3ELS4_3ELS4_3ELNS0_20block_scan_algorithmE0ELj4294967295EEENS1_25partition_config_selectorILNS1_17partition_subalgoE3EjNS0_10empty_typeEbEEZZNS1_14partition_implILS8_3ELb0ES6_jNS0_17counting_iteratorIjlEEPS9_SE_NS0_5tupleIJPjSE_EEENSF_IJSE_SE_EEES9_SG_JZNS1_25segmented_radix_sort_implINS0_14default_configELb1EPKdPdPKlPlN2at6native12_GLOBAL__N_18offset_tEEE10hipError_tPvRmT1_PNSt15iterator_traitsISY_E10value_typeET2_T3_PNSZ_IS14_E10value_typeET4_jRbjT5_S1A_jjP12ihipStream_tbEUljE_EEESV_SW_SX_S14_S18_S1A_T6_T7_T9_mT8_S1C_bDpT10_ENKUlT_T0_E_clISt17integral_constantIbLb0EES1O_IbLb1EEEEDaS1K_S1L_EUlS1K_E_NS1_11comp_targetILNS1_3genE10ELNS1_11target_archE1200ELNS1_3gpuE4ELNS1_3repE0EEENS1_30default_config_static_selectorELNS0_4arch9wavefront6targetE0EEEvSY_,"axG",@progbits,_ZN7rocprim17ROCPRIM_400000_NS6detail17trampoline_kernelINS0_13select_configILj256ELj13ELNS0_17block_load_methodE3ELS4_3ELS4_3ELNS0_20block_scan_algorithmE0ELj4294967295EEENS1_25partition_config_selectorILNS1_17partition_subalgoE3EjNS0_10empty_typeEbEEZZNS1_14partition_implILS8_3ELb0ES6_jNS0_17counting_iteratorIjlEEPS9_SE_NS0_5tupleIJPjSE_EEENSF_IJSE_SE_EEES9_SG_JZNS1_25segmented_radix_sort_implINS0_14default_configELb1EPKdPdPKlPlN2at6native12_GLOBAL__N_18offset_tEEE10hipError_tPvRmT1_PNSt15iterator_traitsISY_E10value_typeET2_T3_PNSZ_IS14_E10value_typeET4_jRbjT5_S1A_jjP12ihipStream_tbEUljE_EEESV_SW_SX_S14_S18_S1A_T6_T7_T9_mT8_S1C_bDpT10_ENKUlT_T0_E_clISt17integral_constantIbLb0EES1O_IbLb1EEEEDaS1K_S1L_EUlS1K_E_NS1_11comp_targetILNS1_3genE10ELNS1_11target_archE1200ELNS1_3gpuE4ELNS1_3repE0EEENS1_30default_config_static_selectorELNS0_4arch9wavefront6targetE0EEEvSY_,comdat
	.globl	_ZN7rocprim17ROCPRIM_400000_NS6detail17trampoline_kernelINS0_13select_configILj256ELj13ELNS0_17block_load_methodE3ELS4_3ELS4_3ELNS0_20block_scan_algorithmE0ELj4294967295EEENS1_25partition_config_selectorILNS1_17partition_subalgoE3EjNS0_10empty_typeEbEEZZNS1_14partition_implILS8_3ELb0ES6_jNS0_17counting_iteratorIjlEEPS9_SE_NS0_5tupleIJPjSE_EEENSF_IJSE_SE_EEES9_SG_JZNS1_25segmented_radix_sort_implINS0_14default_configELb1EPKdPdPKlPlN2at6native12_GLOBAL__N_18offset_tEEE10hipError_tPvRmT1_PNSt15iterator_traitsISY_E10value_typeET2_T3_PNSZ_IS14_E10value_typeET4_jRbjT5_S1A_jjP12ihipStream_tbEUljE_EEESV_SW_SX_S14_S18_S1A_T6_T7_T9_mT8_S1C_bDpT10_ENKUlT_T0_E_clISt17integral_constantIbLb0EES1O_IbLb1EEEEDaS1K_S1L_EUlS1K_E_NS1_11comp_targetILNS1_3genE10ELNS1_11target_archE1200ELNS1_3gpuE4ELNS1_3repE0EEENS1_30default_config_static_selectorELNS0_4arch9wavefront6targetE0EEEvSY_ ; -- Begin function _ZN7rocprim17ROCPRIM_400000_NS6detail17trampoline_kernelINS0_13select_configILj256ELj13ELNS0_17block_load_methodE3ELS4_3ELS4_3ELNS0_20block_scan_algorithmE0ELj4294967295EEENS1_25partition_config_selectorILNS1_17partition_subalgoE3EjNS0_10empty_typeEbEEZZNS1_14partition_implILS8_3ELb0ES6_jNS0_17counting_iteratorIjlEEPS9_SE_NS0_5tupleIJPjSE_EEENSF_IJSE_SE_EEES9_SG_JZNS1_25segmented_radix_sort_implINS0_14default_configELb1EPKdPdPKlPlN2at6native12_GLOBAL__N_18offset_tEEE10hipError_tPvRmT1_PNSt15iterator_traitsISY_E10value_typeET2_T3_PNSZ_IS14_E10value_typeET4_jRbjT5_S1A_jjP12ihipStream_tbEUljE_EEESV_SW_SX_S14_S18_S1A_T6_T7_T9_mT8_S1C_bDpT10_ENKUlT_T0_E_clISt17integral_constantIbLb0EES1O_IbLb1EEEEDaS1K_S1L_EUlS1K_E_NS1_11comp_targetILNS1_3genE10ELNS1_11target_archE1200ELNS1_3gpuE4ELNS1_3repE0EEENS1_30default_config_static_selectorELNS0_4arch9wavefront6targetE0EEEvSY_
	.p2align	8
	.type	_ZN7rocprim17ROCPRIM_400000_NS6detail17trampoline_kernelINS0_13select_configILj256ELj13ELNS0_17block_load_methodE3ELS4_3ELS4_3ELNS0_20block_scan_algorithmE0ELj4294967295EEENS1_25partition_config_selectorILNS1_17partition_subalgoE3EjNS0_10empty_typeEbEEZZNS1_14partition_implILS8_3ELb0ES6_jNS0_17counting_iteratorIjlEEPS9_SE_NS0_5tupleIJPjSE_EEENSF_IJSE_SE_EEES9_SG_JZNS1_25segmented_radix_sort_implINS0_14default_configELb1EPKdPdPKlPlN2at6native12_GLOBAL__N_18offset_tEEE10hipError_tPvRmT1_PNSt15iterator_traitsISY_E10value_typeET2_T3_PNSZ_IS14_E10value_typeET4_jRbjT5_S1A_jjP12ihipStream_tbEUljE_EEESV_SW_SX_S14_S18_S1A_T6_T7_T9_mT8_S1C_bDpT10_ENKUlT_T0_E_clISt17integral_constantIbLb0EES1O_IbLb1EEEEDaS1K_S1L_EUlS1K_E_NS1_11comp_targetILNS1_3genE10ELNS1_11target_archE1200ELNS1_3gpuE4ELNS1_3repE0EEENS1_30default_config_static_selectorELNS0_4arch9wavefront6targetE0EEEvSY_,@function
_ZN7rocprim17ROCPRIM_400000_NS6detail17trampoline_kernelINS0_13select_configILj256ELj13ELNS0_17block_load_methodE3ELS4_3ELS4_3ELNS0_20block_scan_algorithmE0ELj4294967295EEENS1_25partition_config_selectorILNS1_17partition_subalgoE3EjNS0_10empty_typeEbEEZZNS1_14partition_implILS8_3ELb0ES6_jNS0_17counting_iteratorIjlEEPS9_SE_NS0_5tupleIJPjSE_EEENSF_IJSE_SE_EEES9_SG_JZNS1_25segmented_radix_sort_implINS0_14default_configELb1EPKdPdPKlPlN2at6native12_GLOBAL__N_18offset_tEEE10hipError_tPvRmT1_PNSt15iterator_traitsISY_E10value_typeET2_T3_PNSZ_IS14_E10value_typeET4_jRbjT5_S1A_jjP12ihipStream_tbEUljE_EEESV_SW_SX_S14_S18_S1A_T6_T7_T9_mT8_S1C_bDpT10_ENKUlT_T0_E_clISt17integral_constantIbLb0EES1O_IbLb1EEEEDaS1K_S1L_EUlS1K_E_NS1_11comp_targetILNS1_3genE10ELNS1_11target_archE1200ELNS1_3gpuE4ELNS1_3repE0EEENS1_30default_config_static_selectorELNS0_4arch9wavefront6targetE0EEEvSY_: ; @_ZN7rocprim17ROCPRIM_400000_NS6detail17trampoline_kernelINS0_13select_configILj256ELj13ELNS0_17block_load_methodE3ELS4_3ELS4_3ELNS0_20block_scan_algorithmE0ELj4294967295EEENS1_25partition_config_selectorILNS1_17partition_subalgoE3EjNS0_10empty_typeEbEEZZNS1_14partition_implILS8_3ELb0ES6_jNS0_17counting_iteratorIjlEEPS9_SE_NS0_5tupleIJPjSE_EEENSF_IJSE_SE_EEES9_SG_JZNS1_25segmented_radix_sort_implINS0_14default_configELb1EPKdPdPKlPlN2at6native12_GLOBAL__N_18offset_tEEE10hipError_tPvRmT1_PNSt15iterator_traitsISY_E10value_typeET2_T3_PNSZ_IS14_E10value_typeET4_jRbjT5_S1A_jjP12ihipStream_tbEUljE_EEESV_SW_SX_S14_S18_S1A_T6_T7_T9_mT8_S1C_bDpT10_ENKUlT_T0_E_clISt17integral_constantIbLb0EES1O_IbLb1EEEEDaS1K_S1L_EUlS1K_E_NS1_11comp_targetILNS1_3genE10ELNS1_11target_archE1200ELNS1_3gpuE4ELNS1_3repE0EEENS1_30default_config_static_selectorELNS0_4arch9wavefront6targetE0EEEvSY_
; %bb.0:
	.section	.rodata,"a",@progbits
	.p2align	6, 0x0
	.amdhsa_kernel _ZN7rocprim17ROCPRIM_400000_NS6detail17trampoline_kernelINS0_13select_configILj256ELj13ELNS0_17block_load_methodE3ELS4_3ELS4_3ELNS0_20block_scan_algorithmE0ELj4294967295EEENS1_25partition_config_selectorILNS1_17partition_subalgoE3EjNS0_10empty_typeEbEEZZNS1_14partition_implILS8_3ELb0ES6_jNS0_17counting_iteratorIjlEEPS9_SE_NS0_5tupleIJPjSE_EEENSF_IJSE_SE_EEES9_SG_JZNS1_25segmented_radix_sort_implINS0_14default_configELb1EPKdPdPKlPlN2at6native12_GLOBAL__N_18offset_tEEE10hipError_tPvRmT1_PNSt15iterator_traitsISY_E10value_typeET2_T3_PNSZ_IS14_E10value_typeET4_jRbjT5_S1A_jjP12ihipStream_tbEUljE_EEESV_SW_SX_S14_S18_S1A_T6_T7_T9_mT8_S1C_bDpT10_ENKUlT_T0_E_clISt17integral_constantIbLb0EES1O_IbLb1EEEEDaS1K_S1L_EUlS1K_E_NS1_11comp_targetILNS1_3genE10ELNS1_11target_archE1200ELNS1_3gpuE4ELNS1_3repE0EEENS1_30default_config_static_selectorELNS0_4arch9wavefront6targetE0EEEvSY_
		.amdhsa_group_segment_fixed_size 0
		.amdhsa_private_segment_fixed_size 0
		.amdhsa_kernarg_size 152
		.amdhsa_user_sgpr_count 15
		.amdhsa_user_sgpr_dispatch_ptr 0
		.amdhsa_user_sgpr_queue_ptr 0
		.amdhsa_user_sgpr_kernarg_segment_ptr 1
		.amdhsa_user_sgpr_dispatch_id 0
		.amdhsa_user_sgpr_private_segment_size 0
		.amdhsa_wavefront_size32 1
		.amdhsa_uses_dynamic_stack 0
		.amdhsa_enable_private_segment 0
		.amdhsa_system_sgpr_workgroup_id_x 1
		.amdhsa_system_sgpr_workgroup_id_y 0
		.amdhsa_system_sgpr_workgroup_id_z 0
		.amdhsa_system_sgpr_workgroup_info 0
		.amdhsa_system_vgpr_workitem_id 0
		.amdhsa_next_free_vgpr 1
		.amdhsa_next_free_sgpr 1
		.amdhsa_reserve_vcc 0
		.amdhsa_float_round_mode_32 0
		.amdhsa_float_round_mode_16_64 0
		.amdhsa_float_denorm_mode_32 3
		.amdhsa_float_denorm_mode_16_64 3
		.amdhsa_dx10_clamp 1
		.amdhsa_ieee_mode 1
		.amdhsa_fp16_overflow 0
		.amdhsa_workgroup_processor_mode 1
		.amdhsa_memory_ordered 1
		.amdhsa_forward_progress 0
		.amdhsa_shared_vgpr_count 0
		.amdhsa_exception_fp_ieee_invalid_op 0
		.amdhsa_exception_fp_denorm_src 0
		.amdhsa_exception_fp_ieee_div_zero 0
		.amdhsa_exception_fp_ieee_overflow 0
		.amdhsa_exception_fp_ieee_underflow 0
		.amdhsa_exception_fp_ieee_inexact 0
		.amdhsa_exception_int_div_zero 0
	.end_amdhsa_kernel
	.section	.text._ZN7rocprim17ROCPRIM_400000_NS6detail17trampoline_kernelINS0_13select_configILj256ELj13ELNS0_17block_load_methodE3ELS4_3ELS4_3ELNS0_20block_scan_algorithmE0ELj4294967295EEENS1_25partition_config_selectorILNS1_17partition_subalgoE3EjNS0_10empty_typeEbEEZZNS1_14partition_implILS8_3ELb0ES6_jNS0_17counting_iteratorIjlEEPS9_SE_NS0_5tupleIJPjSE_EEENSF_IJSE_SE_EEES9_SG_JZNS1_25segmented_radix_sort_implINS0_14default_configELb1EPKdPdPKlPlN2at6native12_GLOBAL__N_18offset_tEEE10hipError_tPvRmT1_PNSt15iterator_traitsISY_E10value_typeET2_T3_PNSZ_IS14_E10value_typeET4_jRbjT5_S1A_jjP12ihipStream_tbEUljE_EEESV_SW_SX_S14_S18_S1A_T6_T7_T9_mT8_S1C_bDpT10_ENKUlT_T0_E_clISt17integral_constantIbLb0EES1O_IbLb1EEEEDaS1K_S1L_EUlS1K_E_NS1_11comp_targetILNS1_3genE10ELNS1_11target_archE1200ELNS1_3gpuE4ELNS1_3repE0EEENS1_30default_config_static_selectorELNS0_4arch9wavefront6targetE0EEEvSY_,"axG",@progbits,_ZN7rocprim17ROCPRIM_400000_NS6detail17trampoline_kernelINS0_13select_configILj256ELj13ELNS0_17block_load_methodE3ELS4_3ELS4_3ELNS0_20block_scan_algorithmE0ELj4294967295EEENS1_25partition_config_selectorILNS1_17partition_subalgoE3EjNS0_10empty_typeEbEEZZNS1_14partition_implILS8_3ELb0ES6_jNS0_17counting_iteratorIjlEEPS9_SE_NS0_5tupleIJPjSE_EEENSF_IJSE_SE_EEES9_SG_JZNS1_25segmented_radix_sort_implINS0_14default_configELb1EPKdPdPKlPlN2at6native12_GLOBAL__N_18offset_tEEE10hipError_tPvRmT1_PNSt15iterator_traitsISY_E10value_typeET2_T3_PNSZ_IS14_E10value_typeET4_jRbjT5_S1A_jjP12ihipStream_tbEUljE_EEESV_SW_SX_S14_S18_S1A_T6_T7_T9_mT8_S1C_bDpT10_ENKUlT_T0_E_clISt17integral_constantIbLb0EES1O_IbLb1EEEEDaS1K_S1L_EUlS1K_E_NS1_11comp_targetILNS1_3genE10ELNS1_11target_archE1200ELNS1_3gpuE4ELNS1_3repE0EEENS1_30default_config_static_selectorELNS0_4arch9wavefront6targetE0EEEvSY_,comdat
.Lfunc_end1115:
	.size	_ZN7rocprim17ROCPRIM_400000_NS6detail17trampoline_kernelINS0_13select_configILj256ELj13ELNS0_17block_load_methodE3ELS4_3ELS4_3ELNS0_20block_scan_algorithmE0ELj4294967295EEENS1_25partition_config_selectorILNS1_17partition_subalgoE3EjNS0_10empty_typeEbEEZZNS1_14partition_implILS8_3ELb0ES6_jNS0_17counting_iteratorIjlEEPS9_SE_NS0_5tupleIJPjSE_EEENSF_IJSE_SE_EEES9_SG_JZNS1_25segmented_radix_sort_implINS0_14default_configELb1EPKdPdPKlPlN2at6native12_GLOBAL__N_18offset_tEEE10hipError_tPvRmT1_PNSt15iterator_traitsISY_E10value_typeET2_T3_PNSZ_IS14_E10value_typeET4_jRbjT5_S1A_jjP12ihipStream_tbEUljE_EEESV_SW_SX_S14_S18_S1A_T6_T7_T9_mT8_S1C_bDpT10_ENKUlT_T0_E_clISt17integral_constantIbLb0EES1O_IbLb1EEEEDaS1K_S1L_EUlS1K_E_NS1_11comp_targetILNS1_3genE10ELNS1_11target_archE1200ELNS1_3gpuE4ELNS1_3repE0EEENS1_30default_config_static_selectorELNS0_4arch9wavefront6targetE0EEEvSY_, .Lfunc_end1115-_ZN7rocprim17ROCPRIM_400000_NS6detail17trampoline_kernelINS0_13select_configILj256ELj13ELNS0_17block_load_methodE3ELS4_3ELS4_3ELNS0_20block_scan_algorithmE0ELj4294967295EEENS1_25partition_config_selectorILNS1_17partition_subalgoE3EjNS0_10empty_typeEbEEZZNS1_14partition_implILS8_3ELb0ES6_jNS0_17counting_iteratorIjlEEPS9_SE_NS0_5tupleIJPjSE_EEENSF_IJSE_SE_EEES9_SG_JZNS1_25segmented_radix_sort_implINS0_14default_configELb1EPKdPdPKlPlN2at6native12_GLOBAL__N_18offset_tEEE10hipError_tPvRmT1_PNSt15iterator_traitsISY_E10value_typeET2_T3_PNSZ_IS14_E10value_typeET4_jRbjT5_S1A_jjP12ihipStream_tbEUljE_EEESV_SW_SX_S14_S18_S1A_T6_T7_T9_mT8_S1C_bDpT10_ENKUlT_T0_E_clISt17integral_constantIbLb0EES1O_IbLb1EEEEDaS1K_S1L_EUlS1K_E_NS1_11comp_targetILNS1_3genE10ELNS1_11target_archE1200ELNS1_3gpuE4ELNS1_3repE0EEENS1_30default_config_static_selectorELNS0_4arch9wavefront6targetE0EEEvSY_
                                        ; -- End function
	.section	.AMDGPU.csdata,"",@progbits
; Kernel info:
; codeLenInByte = 0
; NumSgprs: 0
; NumVgprs: 0
; ScratchSize: 0
; MemoryBound: 0
; FloatMode: 240
; IeeeMode: 1
; LDSByteSize: 0 bytes/workgroup (compile time only)
; SGPRBlocks: 0
; VGPRBlocks: 0
; NumSGPRsForWavesPerEU: 1
; NumVGPRsForWavesPerEU: 1
; Occupancy: 16
; WaveLimiterHint : 0
; COMPUTE_PGM_RSRC2:SCRATCH_EN: 0
; COMPUTE_PGM_RSRC2:USER_SGPR: 15
; COMPUTE_PGM_RSRC2:TRAP_HANDLER: 0
; COMPUTE_PGM_RSRC2:TGID_X_EN: 1
; COMPUTE_PGM_RSRC2:TGID_Y_EN: 0
; COMPUTE_PGM_RSRC2:TGID_Z_EN: 0
; COMPUTE_PGM_RSRC2:TIDIG_COMP_CNT: 0
	.section	.text._ZN7rocprim17ROCPRIM_400000_NS6detail17trampoline_kernelINS0_13select_configILj256ELj13ELNS0_17block_load_methodE3ELS4_3ELS4_3ELNS0_20block_scan_algorithmE0ELj4294967295EEENS1_25partition_config_selectorILNS1_17partition_subalgoE3EjNS0_10empty_typeEbEEZZNS1_14partition_implILS8_3ELb0ES6_jNS0_17counting_iteratorIjlEEPS9_SE_NS0_5tupleIJPjSE_EEENSF_IJSE_SE_EEES9_SG_JZNS1_25segmented_radix_sort_implINS0_14default_configELb1EPKdPdPKlPlN2at6native12_GLOBAL__N_18offset_tEEE10hipError_tPvRmT1_PNSt15iterator_traitsISY_E10value_typeET2_T3_PNSZ_IS14_E10value_typeET4_jRbjT5_S1A_jjP12ihipStream_tbEUljE_EEESV_SW_SX_S14_S18_S1A_T6_T7_T9_mT8_S1C_bDpT10_ENKUlT_T0_E_clISt17integral_constantIbLb0EES1O_IbLb1EEEEDaS1K_S1L_EUlS1K_E_NS1_11comp_targetILNS1_3genE9ELNS1_11target_archE1100ELNS1_3gpuE3ELNS1_3repE0EEENS1_30default_config_static_selectorELNS0_4arch9wavefront6targetE0EEEvSY_,"axG",@progbits,_ZN7rocprim17ROCPRIM_400000_NS6detail17trampoline_kernelINS0_13select_configILj256ELj13ELNS0_17block_load_methodE3ELS4_3ELS4_3ELNS0_20block_scan_algorithmE0ELj4294967295EEENS1_25partition_config_selectorILNS1_17partition_subalgoE3EjNS0_10empty_typeEbEEZZNS1_14partition_implILS8_3ELb0ES6_jNS0_17counting_iteratorIjlEEPS9_SE_NS0_5tupleIJPjSE_EEENSF_IJSE_SE_EEES9_SG_JZNS1_25segmented_radix_sort_implINS0_14default_configELb1EPKdPdPKlPlN2at6native12_GLOBAL__N_18offset_tEEE10hipError_tPvRmT1_PNSt15iterator_traitsISY_E10value_typeET2_T3_PNSZ_IS14_E10value_typeET4_jRbjT5_S1A_jjP12ihipStream_tbEUljE_EEESV_SW_SX_S14_S18_S1A_T6_T7_T9_mT8_S1C_bDpT10_ENKUlT_T0_E_clISt17integral_constantIbLb0EES1O_IbLb1EEEEDaS1K_S1L_EUlS1K_E_NS1_11comp_targetILNS1_3genE9ELNS1_11target_archE1100ELNS1_3gpuE3ELNS1_3repE0EEENS1_30default_config_static_selectorELNS0_4arch9wavefront6targetE0EEEvSY_,comdat
	.globl	_ZN7rocprim17ROCPRIM_400000_NS6detail17trampoline_kernelINS0_13select_configILj256ELj13ELNS0_17block_load_methodE3ELS4_3ELS4_3ELNS0_20block_scan_algorithmE0ELj4294967295EEENS1_25partition_config_selectorILNS1_17partition_subalgoE3EjNS0_10empty_typeEbEEZZNS1_14partition_implILS8_3ELb0ES6_jNS0_17counting_iteratorIjlEEPS9_SE_NS0_5tupleIJPjSE_EEENSF_IJSE_SE_EEES9_SG_JZNS1_25segmented_radix_sort_implINS0_14default_configELb1EPKdPdPKlPlN2at6native12_GLOBAL__N_18offset_tEEE10hipError_tPvRmT1_PNSt15iterator_traitsISY_E10value_typeET2_T3_PNSZ_IS14_E10value_typeET4_jRbjT5_S1A_jjP12ihipStream_tbEUljE_EEESV_SW_SX_S14_S18_S1A_T6_T7_T9_mT8_S1C_bDpT10_ENKUlT_T0_E_clISt17integral_constantIbLb0EES1O_IbLb1EEEEDaS1K_S1L_EUlS1K_E_NS1_11comp_targetILNS1_3genE9ELNS1_11target_archE1100ELNS1_3gpuE3ELNS1_3repE0EEENS1_30default_config_static_selectorELNS0_4arch9wavefront6targetE0EEEvSY_ ; -- Begin function _ZN7rocprim17ROCPRIM_400000_NS6detail17trampoline_kernelINS0_13select_configILj256ELj13ELNS0_17block_load_methodE3ELS4_3ELS4_3ELNS0_20block_scan_algorithmE0ELj4294967295EEENS1_25partition_config_selectorILNS1_17partition_subalgoE3EjNS0_10empty_typeEbEEZZNS1_14partition_implILS8_3ELb0ES6_jNS0_17counting_iteratorIjlEEPS9_SE_NS0_5tupleIJPjSE_EEENSF_IJSE_SE_EEES9_SG_JZNS1_25segmented_radix_sort_implINS0_14default_configELb1EPKdPdPKlPlN2at6native12_GLOBAL__N_18offset_tEEE10hipError_tPvRmT1_PNSt15iterator_traitsISY_E10value_typeET2_T3_PNSZ_IS14_E10value_typeET4_jRbjT5_S1A_jjP12ihipStream_tbEUljE_EEESV_SW_SX_S14_S18_S1A_T6_T7_T9_mT8_S1C_bDpT10_ENKUlT_T0_E_clISt17integral_constantIbLb0EES1O_IbLb1EEEEDaS1K_S1L_EUlS1K_E_NS1_11comp_targetILNS1_3genE9ELNS1_11target_archE1100ELNS1_3gpuE3ELNS1_3repE0EEENS1_30default_config_static_selectorELNS0_4arch9wavefront6targetE0EEEvSY_
	.p2align	8
	.type	_ZN7rocprim17ROCPRIM_400000_NS6detail17trampoline_kernelINS0_13select_configILj256ELj13ELNS0_17block_load_methodE3ELS4_3ELS4_3ELNS0_20block_scan_algorithmE0ELj4294967295EEENS1_25partition_config_selectorILNS1_17partition_subalgoE3EjNS0_10empty_typeEbEEZZNS1_14partition_implILS8_3ELb0ES6_jNS0_17counting_iteratorIjlEEPS9_SE_NS0_5tupleIJPjSE_EEENSF_IJSE_SE_EEES9_SG_JZNS1_25segmented_radix_sort_implINS0_14default_configELb1EPKdPdPKlPlN2at6native12_GLOBAL__N_18offset_tEEE10hipError_tPvRmT1_PNSt15iterator_traitsISY_E10value_typeET2_T3_PNSZ_IS14_E10value_typeET4_jRbjT5_S1A_jjP12ihipStream_tbEUljE_EEESV_SW_SX_S14_S18_S1A_T6_T7_T9_mT8_S1C_bDpT10_ENKUlT_T0_E_clISt17integral_constantIbLb0EES1O_IbLb1EEEEDaS1K_S1L_EUlS1K_E_NS1_11comp_targetILNS1_3genE9ELNS1_11target_archE1100ELNS1_3gpuE3ELNS1_3repE0EEENS1_30default_config_static_selectorELNS0_4arch9wavefront6targetE0EEEvSY_,@function
_ZN7rocprim17ROCPRIM_400000_NS6detail17trampoline_kernelINS0_13select_configILj256ELj13ELNS0_17block_load_methodE3ELS4_3ELS4_3ELNS0_20block_scan_algorithmE0ELj4294967295EEENS1_25partition_config_selectorILNS1_17partition_subalgoE3EjNS0_10empty_typeEbEEZZNS1_14partition_implILS8_3ELb0ES6_jNS0_17counting_iteratorIjlEEPS9_SE_NS0_5tupleIJPjSE_EEENSF_IJSE_SE_EEES9_SG_JZNS1_25segmented_radix_sort_implINS0_14default_configELb1EPKdPdPKlPlN2at6native12_GLOBAL__N_18offset_tEEE10hipError_tPvRmT1_PNSt15iterator_traitsISY_E10value_typeET2_T3_PNSZ_IS14_E10value_typeET4_jRbjT5_S1A_jjP12ihipStream_tbEUljE_EEESV_SW_SX_S14_S18_S1A_T6_T7_T9_mT8_S1C_bDpT10_ENKUlT_T0_E_clISt17integral_constantIbLb0EES1O_IbLb1EEEEDaS1K_S1L_EUlS1K_E_NS1_11comp_targetILNS1_3genE9ELNS1_11target_archE1100ELNS1_3gpuE3ELNS1_3repE0EEENS1_30default_config_static_selectorELNS0_4arch9wavefront6targetE0EEEvSY_: ; @_ZN7rocprim17ROCPRIM_400000_NS6detail17trampoline_kernelINS0_13select_configILj256ELj13ELNS0_17block_load_methodE3ELS4_3ELS4_3ELNS0_20block_scan_algorithmE0ELj4294967295EEENS1_25partition_config_selectorILNS1_17partition_subalgoE3EjNS0_10empty_typeEbEEZZNS1_14partition_implILS8_3ELb0ES6_jNS0_17counting_iteratorIjlEEPS9_SE_NS0_5tupleIJPjSE_EEENSF_IJSE_SE_EEES9_SG_JZNS1_25segmented_radix_sort_implINS0_14default_configELb1EPKdPdPKlPlN2at6native12_GLOBAL__N_18offset_tEEE10hipError_tPvRmT1_PNSt15iterator_traitsISY_E10value_typeET2_T3_PNSZ_IS14_E10value_typeET4_jRbjT5_S1A_jjP12ihipStream_tbEUljE_EEESV_SW_SX_S14_S18_S1A_T6_T7_T9_mT8_S1C_bDpT10_ENKUlT_T0_E_clISt17integral_constantIbLb0EES1O_IbLb1EEEEDaS1K_S1L_EUlS1K_E_NS1_11comp_targetILNS1_3genE9ELNS1_11target_archE1100ELNS1_3gpuE3ELNS1_3repE0EEENS1_30default_config_static_selectorELNS0_4arch9wavefront6targetE0EEEvSY_
; %bb.0:
	s_clause 0x6
	s_load_b64 s[16:17], s[0:1], 0x10
	s_load_b64 s[12:13], s[0:1], 0x28
	;; [unrolled: 1-line block ×3, first 2 shown]
	s_load_b128 s[8:11], s[0:1], 0x48
	s_load_b32 s3, s[0:1], 0x90
	s_load_b64 s[18:19], s[0:1], 0x68
	s_load_b128 s[4:7], s[0:1], 0x80
	v_cmp_eq_u32_e64 s2, 0, v0
	s_delay_alu instid0(VALU_DEP_1)
	s_and_saveexec_b32 s20, s2
	s_cbranch_execz .LBB1116_4
; %bb.1:
	s_mov_b32 s22, exec_lo
	s_mov_b32 s21, exec_lo
	v_mbcnt_lo_u32_b32 v1, s22, 0
                                        ; implicit-def: $vgpr2
	s_delay_alu instid0(VALU_DEP_1)
	v_cmpx_eq_u32_e32 0, v1
	s_cbranch_execz .LBB1116_3
; %bb.2:
	s_load_b64 s[24:25], s[0:1], 0x78
	s_bcnt1_i32_b32 s22, s22
	s_delay_alu instid0(SALU_CYCLE_1)
	v_dual_mov_b32 v2, 0 :: v_dual_mov_b32 v3, s22
	s_waitcnt lgkmcnt(0)
	global_atomic_add_u32 v2, v2, v3, s[24:25] glc
.LBB1116_3:
	s_or_b32 exec_lo, exec_lo, s21
	s_waitcnt vmcnt(0)
	v_readfirstlane_b32 s21, v2
	s_delay_alu instid0(VALU_DEP_1)
	v_dual_mov_b32 v2, 0 :: v_dual_add_nc_u32 v1, s21, v1
	ds_store_b32 v2, v1
.LBB1116_4:
	s_or_b32 exec_lo, exec_lo, s20
	v_mov_b32_e32 v1, 0
	s_clause 0x1
	s_load_b32 s20, s[0:1], 0x8
	s_load_b32 s0, s[0:1], 0x70
	s_waitcnt lgkmcnt(0)
	s_barrier
	buffer_gl0_inv
	ds_load_b32 v2, v1
	s_waitcnt lgkmcnt(0)
	s_barrier
	buffer_gl0_inv
	global_load_b64 v[18:19], v1, s[10:11]
	v_lshlrev_b32_e32 v33, 2, v0
	s_add_i32 s21, s20, s16
	s_mul_i32 s1, s0, 0xd00
	s_add_i32 s0, s0, -1
	s_add_u32 s10, s16, s1
	s_addc_u32 s11, s17, 0
	v_mul_lo_u32 v32, 0xd00, v2
	v_readfirstlane_b32 s20, v2
	v_cmp_lt_u64_e64 s11, s[10:11], s[14:15]
	v_cmp_ne_u32_e32 vcc_lo, s0, v2
	s_delay_alu instid0(VALU_DEP_3) | instskip(SKIP_1) | instid1(VALU_DEP_4)
	s_cmp_eq_u32 s20, s0
	s_cselect_b32 s10, -1, 0
	v_add3_u32 v1, v32, s21, v0
	s_delay_alu instid0(VALU_DEP_3) | instskip(SKIP_2) | instid1(VALU_DEP_1)
	s_or_b32 s0, s11, vcc_lo
	s_mov_b32 s11, -1
	s_and_b32 vcc_lo, exec_lo, s0
	v_add_nc_u32_e32 v2, 0x100, v1
	v_add_nc_u32_e32 v3, 0x200, v1
	;; [unrolled: 1-line block ×12, first 2 shown]
	s_cbranch_vccz .LBB1116_6
; %bb.5:
	ds_store_2addr_stride64_b32 v33, v1, v2 offset1:4
	ds_store_2addr_stride64_b32 v33, v3, v4 offset0:8 offset1:12
	ds_store_2addr_stride64_b32 v33, v5, v6 offset0:16 offset1:20
	;; [unrolled: 1-line block ×5, first 2 shown]
	ds_store_b32 v33, v13 offset:12288
	s_waitcnt vmcnt(0) lgkmcnt(0)
	s_mov_b32 s11, 0
	s_barrier
.LBB1116_6:
	s_and_not1_b32 vcc_lo, exec_lo, s11
	s_add_i32 s1, s1, s16
	s_cbranch_vccnz .LBB1116_8
; %bb.7:
	ds_store_2addr_stride64_b32 v33, v1, v2 offset1:4
	ds_store_2addr_stride64_b32 v33, v3, v4 offset0:8 offset1:12
	ds_store_2addr_stride64_b32 v33, v5, v6 offset0:16 offset1:20
	;; [unrolled: 1-line block ×5, first 2 shown]
	ds_store_b32 v33, v13 offset:12288
	s_waitcnt vmcnt(0) lgkmcnt(0)
	s_barrier
.LBB1116_8:
	v_mul_u32_u24_e32 v36, 13, v0
	s_waitcnt vmcnt(0)
	buffer_gl0_inv
	v_cndmask_b32_e64 v34, 0, 1, s0
	s_sub_i32 s11, s14, s1
	s_and_not1_b32 vcc_lo, exec_lo, s0
	v_lshlrev_b32_e32 v1, 2, v36
	ds_load_2addr_b32 v[30:31], v1 offset1:1
	ds_load_2addr_b32 v[28:29], v1 offset0:2 offset1:3
	ds_load_2addr_b32 v[26:27], v1 offset0:4 offset1:5
	;; [unrolled: 1-line block ×5, first 2 shown]
	ds_load_b32 v35, v1 offset:48
	s_waitcnt lgkmcnt(0)
	s_barrier
	buffer_gl0_inv
	s_cbranch_vccnz .LBB1116_10
; %bb.9:
	v_add_nc_u32_e32 v1, s5, v30
	v_add_nc_u32_e32 v2, s7, v30
	;; [unrolled: 1-line block ×5, first 2 shown]
	v_mul_lo_u32 v1, v1, s4
	v_mul_lo_u32 v2, v2, s6
	;; [unrolled: 1-line block ×4, first 2 shown]
	v_add_nc_u32_e32 v6, s7, v28
	v_add_nc_u32_e32 v7, s5, v29
	;; [unrolled: 1-line block ×3, first 2 shown]
	v_mul_lo_u32 v5, v5, s4
	v_add_nc_u32_e32 v9, s5, v24
	v_sub_nc_u32_e32 v1, v1, v2
	v_mul_lo_u32 v2, v6, s6
	v_sub_nc_u32_e32 v3, v3, v4
	v_mul_lo_u32 v4, v7, s4
	v_mul_lo_u32 v6, v8, s6
	v_add_nc_u32_e32 v7, s5, v26
	v_cmp_lt_u32_e32 vcc_lo, s3, v1
	v_add_nc_u32_e32 v8, s5, v27
	v_add_nc_u32_e32 v10, s7, v24
	v_sub_nc_u32_e32 v2, v5, v2
	v_add_nc_u32_e32 v5, s7, v26
	v_cndmask_b32_e64 v1, 0, 1, vcc_lo
	v_sub_nc_u32_e32 v4, v4, v6
	v_mul_lo_u32 v6, v7, s4
	v_add_nc_u32_e32 v7, s7, v27
	v_cmp_lt_u32_e32 vcc_lo, s3, v3
	v_mul_lo_u32 v5, v5, s6
	v_mul_lo_u32 v8, v8, s4
	v_mul_lo_u32 v9, v9, s4
	v_mul_lo_u32 v7, v7, s6
	v_cndmask_b32_e64 v3, 0, 1, vcc_lo
	v_cmp_lt_u32_e32 vcc_lo, s3, v2
	v_mul_lo_u32 v10, v10, s6
	v_add_nc_u32_e32 v11, s5, v22
	v_sub_nc_u32_e32 v5, v6, v5
	v_add_nc_u32_e32 v12, s7, v22
	v_cndmask_b32_e64 v2, 0, 1, vcc_lo
	v_sub_nc_u32_e32 v6, v8, v7
	v_add_nc_u32_e32 v7, s5, v25
	v_add_nc_u32_e32 v8, s7, v25
	v_cmp_lt_u32_e32 vcc_lo, s3, v4
	v_sub_nc_u32_e32 v9, v9, v10
	v_mul_lo_u32 v10, v11, s4
	v_mul_lo_u32 v7, v7, s4
	;; [unrolled: 1-line block ×4, first 2 shown]
	v_cndmask_b32_e64 v4, 0, 1, vcc_lo
	v_cmp_lt_u32_e32 vcc_lo, s3, v5
	v_add_nc_u32_e32 v12, s5, v23
	v_add_nc_u32_e32 v13, s7, v20
	;; [unrolled: 1-line block ×4, first 2 shown]
	v_cndmask_b32_e64 v5, 0, 1, vcc_lo
	v_cmp_lt_u32_e32 vcc_lo, s3, v6
	v_sub_nc_u32_e32 v7, v7, v8
	v_sub_nc_u32_e32 v8, v10, v11
	v_add_nc_u32_e32 v11, s7, v23
	v_mul_lo_u32 v10, v12, s4
	v_cndmask_b32_e64 v6, 0, 1, vcc_lo
	v_cmp_lt_u32_e32 vcc_lo, s3, v9
	v_add_nc_u32_e32 v12, s5, v20
	v_mul_lo_u32 v11, v11, s6
	v_mul_lo_u32 v13, v13, s6
	;; [unrolled: 1-line block ×3, first 2 shown]
	v_cndmask_b32_e64 v9, 0, 1, vcc_lo
	v_cmp_lt_u32_e32 vcc_lo, s3, v7
	v_mul_lo_u32 v12, v12, s4
	v_mul_lo_u32 v15, v15, s6
	v_lshlrev_b16 v3, 8, v3
	v_sub_nc_u32_e32 v10, v10, v11
	v_cndmask_b32_e64 v7, 0, 1, vcc_lo
	v_cmp_lt_u32_e32 vcc_lo, s3, v8
	v_add_nc_u32_e32 v11, s5, v35
	v_or_b32_e32 v1, v1, v3
	v_sub_nc_u32_e32 v12, v12, v13
	v_sub_nc_u32_e32 v13, v14, v15
	v_cndmask_b32_e64 v8, 0, 1, vcc_lo
	v_cmp_lt_u32_e32 vcc_lo, s3, v10
	v_add_nc_u32_e32 v16, s7, v35
	v_mul_lo_u32 v11, v11, s4
	v_lshlrev_b16 v4, 8, v4
	v_lshlrev_b16 v6, 8, v6
	v_cndmask_b32_e64 v10, 0, 1, vcc_lo
	v_cmp_lt_u32_e32 vcc_lo, s3, v12
	v_mul_lo_u32 v14, v16, s6
	v_lshlrev_b16 v7, 8, v7
	v_or_b32_e32 v2, v2, v4
	v_lshlrev_b16 v10, 8, v10
	v_cndmask_b32_e64 v3, 0, 1, vcc_lo
	v_cmp_lt_u32_e32 vcc_lo, s3, v13
	v_or_b32_e32 v4, v5, v6
	v_or_b32_e32 v5, v9, v7
	v_sub_nc_u32_e32 v11, v11, v14
	v_or_b32_e32 v6, v8, v10
	v_cndmask_b32_e64 v12, 0, 1, vcc_lo
	v_and_b32_e32 v1, 0xffff, v1
	v_lshlrev_b32_e32 v2, 16, v2
	v_and_b32_e32 v4, 0xffff, v4
	v_lshlrev_b32_e32 v5, 16, v5
	v_lshlrev_b16 v12, 8, v12
	v_and_b32_e32 v6, 0xffff, v6
	v_cmp_lt_u32_e32 vcc_lo, s3, v11
	v_or_b32_e32 v42, v1, v2
	v_or_b32_e32 v40, v4, v5
	;; [unrolled: 1-line block ×3, first 2 shown]
	v_cndmask_b32_e64 v37, 0, 1, vcc_lo
	s_delay_alu instid0(VALU_DEP_2) | instskip(NEXT) | instid1(VALU_DEP_1)
	v_lshlrev_b32_e32 v3, 16, v3
	v_or_b32_e32 v38, v6, v3
	s_addk_i32 s11, 0xd00
	s_cbranch_execz .LBB1116_11
	s_branch .LBB1116_38
.LBB1116_10:
                                        ; implicit-def: $vgpr37
                                        ; implicit-def: $vgpr38
                                        ; implicit-def: $vgpr40
                                        ; implicit-def: $vgpr42
	s_addk_i32 s11, 0xd00
.LBB1116_11:
	v_dual_mov_b32 v2, 0 :: v_dual_mov_b32 v1, 0
	s_mov_b32 s0, exec_lo
	v_cmpx_gt_u32_e64 s11, v36
; %bb.12:
	v_add_nc_u32_e32 v1, s5, v30
	v_add_nc_u32_e32 v3, s7, v30
	s_delay_alu instid0(VALU_DEP_2) | instskip(NEXT) | instid1(VALU_DEP_2)
	v_mul_lo_u32 v1, v1, s4
	v_mul_lo_u32 v3, v3, s6
	s_delay_alu instid0(VALU_DEP_1) | instskip(NEXT) | instid1(VALU_DEP_1)
	v_sub_nc_u32_e32 v1, v1, v3
	v_cmp_lt_u32_e32 vcc_lo, s3, v1
	v_cndmask_b32_e64 v1, 0, 1, vcc_lo
; %bb.13:
	s_or_b32 exec_lo, exec_lo, s0
	v_add_nc_u32_e32 v3, 1, v36
	s_mov_b32 s0, exec_lo
	s_delay_alu instid0(VALU_DEP_1)
	v_cmpx_gt_u32_e64 s11, v3
; %bb.14:
	v_add_nc_u32_e32 v2, s5, v31
	v_add_nc_u32_e32 v3, s7, v31
	s_delay_alu instid0(VALU_DEP_2) | instskip(NEXT) | instid1(VALU_DEP_2)
	v_mul_lo_u32 v2, v2, s4
	v_mul_lo_u32 v3, v3, s6
	s_delay_alu instid0(VALU_DEP_1) | instskip(NEXT) | instid1(VALU_DEP_1)
	v_sub_nc_u32_e32 v2, v2, v3
	v_cmp_lt_u32_e32 vcc_lo, s3, v2
	v_cndmask_b32_e64 v2, 0, 1, vcc_lo
; %bb.15:
	s_or_b32 exec_lo, exec_lo, s0
	v_dual_mov_b32 v4, 0 :: v_dual_add_nc_u32 v3, 2, v36
	s_delay_alu instid0(VALU_DEP_1)
	v_cmp_gt_u32_e32 vcc_lo, s11, v3
	v_mov_b32_e32 v3, 0
	s_and_saveexec_b32 s0, vcc_lo
; %bb.16:
	v_add_nc_u32_e32 v3, s5, v28
	v_add_nc_u32_e32 v5, s7, v28
	s_delay_alu instid0(VALU_DEP_2) | instskip(NEXT) | instid1(VALU_DEP_2)
	v_mul_lo_u32 v3, v3, s4
	v_mul_lo_u32 v5, v5, s6
	s_delay_alu instid0(VALU_DEP_1) | instskip(NEXT) | instid1(VALU_DEP_1)
	v_sub_nc_u32_e32 v3, v3, v5
	v_cmp_lt_u32_e32 vcc_lo, s3, v3
	v_cndmask_b32_e64 v3, 0, 1, vcc_lo
; %bb.17:
	s_or_b32 exec_lo, exec_lo, s0
	v_add_nc_u32_e32 v5, 3, v36
	s_mov_b32 s0, exec_lo
	s_delay_alu instid0(VALU_DEP_1)
	v_cmpx_gt_u32_e64 s11, v5
; %bb.18:
	v_add_nc_u32_e32 v4, s5, v29
	v_add_nc_u32_e32 v5, s7, v29
	s_delay_alu instid0(VALU_DEP_2) | instskip(NEXT) | instid1(VALU_DEP_2)
	v_mul_lo_u32 v4, v4, s4
	v_mul_lo_u32 v5, v5, s6
	s_delay_alu instid0(VALU_DEP_1) | instskip(NEXT) | instid1(VALU_DEP_1)
	v_sub_nc_u32_e32 v4, v4, v5
	v_cmp_lt_u32_e32 vcc_lo, s3, v4
	v_cndmask_b32_e64 v4, 0, 1, vcc_lo
; %bb.19:
	s_or_b32 exec_lo, exec_lo, s0
	v_dual_mov_b32 v6, 0 :: v_dual_add_nc_u32 v5, 4, v36
	s_delay_alu instid0(VALU_DEP_1)
	v_cmp_gt_u32_e32 vcc_lo, s11, v5
	v_mov_b32_e32 v5, 0
	s_and_saveexec_b32 s0, vcc_lo
	;; [unrolled: 33-line block ×5, first 2 shown]
; %bb.32:
	v_add_nc_u32_e32 v11, s5, v20
	v_add_nc_u32_e32 v13, s7, v20
	s_delay_alu instid0(VALU_DEP_2) | instskip(NEXT) | instid1(VALU_DEP_2)
	v_mul_lo_u32 v11, v11, s4
	v_mul_lo_u32 v13, v13, s6
	s_delay_alu instid0(VALU_DEP_1) | instskip(NEXT) | instid1(VALU_DEP_1)
	v_sub_nc_u32_e32 v11, v11, v13
	v_cmp_lt_u32_e32 vcc_lo, s3, v11
	v_cndmask_b32_e64 v11, 0, 1, vcc_lo
; %bb.33:
	s_or_b32 exec_lo, exec_lo, s0
	v_add_nc_u32_e32 v13, 11, v36
	s_mov_b32 s0, exec_lo
	s_delay_alu instid0(VALU_DEP_1)
	v_cmpx_gt_u32_e64 s11, v13
; %bb.34:
	v_add_nc_u32_e32 v12, s5, v21
	v_add_nc_u32_e32 v13, s7, v21
	s_delay_alu instid0(VALU_DEP_2) | instskip(NEXT) | instid1(VALU_DEP_2)
	v_mul_lo_u32 v12, v12, s4
	v_mul_lo_u32 v13, v13, s6
	s_delay_alu instid0(VALU_DEP_1) | instskip(NEXT) | instid1(VALU_DEP_1)
	v_sub_nc_u32_e32 v12, v12, v13
	v_cmp_lt_u32_e32 vcc_lo, s3, v12
	v_cndmask_b32_e64 v12, 0, 1, vcc_lo
; %bb.35:
	s_or_b32 exec_lo, exec_lo, s0
	v_add_nc_u32_e32 v13, 12, v36
	v_mov_b32_e32 v37, 0
	s_mov_b32 s0, exec_lo
	s_delay_alu instid0(VALU_DEP_2)
	v_cmpx_gt_u32_e64 s11, v13
; %bb.36:
	v_add_nc_u32_e32 v13, s5, v35
	v_add_nc_u32_e32 v14, s7, v35
	s_delay_alu instid0(VALU_DEP_2) | instskip(NEXT) | instid1(VALU_DEP_2)
	v_mul_lo_u32 v13, v13, s4
	v_mul_lo_u32 v14, v14, s6
	s_delay_alu instid0(VALU_DEP_1) | instskip(NEXT) | instid1(VALU_DEP_1)
	v_sub_nc_u32_e32 v13, v13, v14
	v_cmp_lt_u32_e32 vcc_lo, s3, v13
	v_cndmask_b32_e64 v37, 0, 1, vcc_lo
; %bb.37:
	s_or_b32 exec_lo, exec_lo, s0
	v_lshlrev_b16 v2, 8, v2
	v_lshlrev_b16 v4, 8, v4
	;; [unrolled: 1-line block ×5, first 2 shown]
	v_or_b32_e32 v1, v1, v2
	v_lshlrev_b16 v2, 8, v12
	v_or_b32_e32 v3, v3, v4
	v_or_b32_e32 v4, v5, v6
	;; [unrolled: 1-line block ×5, first 2 shown]
	v_and_b32_e32 v1, 0xffff, v1
	v_lshlrev_b32_e32 v3, 16, v3
	v_and_b32_e32 v4, 0xffff, v4
	v_lshlrev_b32_e32 v5, 16, v5
	v_and_b32_e32 v6, 0xffff, v6
	v_lshlrev_b32_e32 v2, 16, v2
	v_or_b32_e32 v42, v1, v3
	s_delay_alu instid0(VALU_DEP_4) | instskip(NEXT) | instid1(VALU_DEP_3)
	v_or_b32_e32 v40, v4, v5
	v_or_b32_e32 v38, v6, v2
.LBB1116_38:
	s_delay_alu instid0(VALU_DEP_3)
	v_and_b32_e32 v44, 0xff, v42
	v_bfe_u32 v45, v42, 8, 8
	v_bfe_u32 v46, v42, 16, 8
	v_lshrrev_b32_e32 v43, 24, v42
	v_and_b32_e32 v47, 0xff, v40
	v_bfe_u32 v48, v40, 8, 8
	v_bfe_u32 v49, v40, 16, 8
	v_add3_u32 v1, v45, v44, v46
	v_lshrrev_b32_e32 v41, 24, v40
	v_and_b32_e32 v50, 0xff, v38
	v_bfe_u32 v51, v38, 8, 8
	v_mbcnt_lo_u32_b32 v53, -1, 0
	v_add3_u32 v1, v1, v43, v47
	v_bfe_u32 v52, v38, 16, 8
	v_lshrrev_b32_e32 v39, 24, v38
	v_and_b32_e32 v2, 0xff, v37
	v_and_b32_e32 v3, 15, v53
	v_add3_u32 v1, v1, v48, v49
	v_or_b32_e32 v4, 31, v0
	v_and_b32_e32 v5, 16, v53
	v_lshrrev_b32_e32 v54, 5, v0
	v_cmp_eq_u32_e64 s6, 0, v3
	v_add3_u32 v1, v1, v41, v50
	v_cmp_lt_u32_e64 s5, 1, v3
	v_cmp_lt_u32_e64 s4, 3, v3
	;; [unrolled: 1-line block ×3, first 2 shown]
	v_cmp_eq_u32_e64 s1, 0, v5
	v_add3_u32 v1, v1, v51, v52
	v_cmp_eq_u32_e64 s0, v4, v0
	s_cmp_lg_u32 s20, 0
	s_mov_b32 s7, -1
	s_delay_alu instid0(VALU_DEP_2)
	v_add3_u32 v55, v1, v39, v2
	s_cbranch_scc0 .LBB1116_64
; %bb.39:
	s_delay_alu instid0(VALU_DEP_1) | instskip(NEXT) | instid1(VALU_DEP_1)
	v_mov_b32_dpp v1, v55 row_shr:1 row_mask:0xf bank_mask:0xf
	v_cndmask_b32_e64 v1, v1, 0, s6
	s_delay_alu instid0(VALU_DEP_1) | instskip(NEXT) | instid1(VALU_DEP_1)
	v_add_nc_u32_e32 v1, v1, v55
	v_mov_b32_dpp v2, v1 row_shr:2 row_mask:0xf bank_mask:0xf
	s_delay_alu instid0(VALU_DEP_1) | instskip(NEXT) | instid1(VALU_DEP_1)
	v_cndmask_b32_e64 v2, 0, v2, s5
	v_add_nc_u32_e32 v1, v1, v2
	s_delay_alu instid0(VALU_DEP_1) | instskip(NEXT) | instid1(VALU_DEP_1)
	v_mov_b32_dpp v2, v1 row_shr:4 row_mask:0xf bank_mask:0xf
	v_cndmask_b32_e64 v2, 0, v2, s4
	s_delay_alu instid0(VALU_DEP_1) | instskip(NEXT) | instid1(VALU_DEP_1)
	v_add_nc_u32_e32 v1, v1, v2
	v_mov_b32_dpp v2, v1 row_shr:8 row_mask:0xf bank_mask:0xf
	s_delay_alu instid0(VALU_DEP_1) | instskip(NEXT) | instid1(VALU_DEP_1)
	v_cndmask_b32_e64 v2, 0, v2, s3
	v_add_nc_u32_e32 v1, v1, v2
	ds_swizzle_b32 v2, v1 offset:swizzle(BROADCAST,32,15)
	s_waitcnt lgkmcnt(0)
	v_cndmask_b32_e64 v2, v2, 0, s1
	s_delay_alu instid0(VALU_DEP_1)
	v_add_nc_u32_e32 v1, v1, v2
	s_and_saveexec_b32 s7, s0
	s_cbranch_execz .LBB1116_41
; %bb.40:
	v_lshlrev_b32_e32 v2, 2, v54
	ds_store_b32 v2, v1
.LBB1116_41:
	s_or_b32 exec_lo, exec_lo, s7
	s_delay_alu instid0(SALU_CYCLE_1)
	s_mov_b32 s7, exec_lo
	s_waitcnt lgkmcnt(0)
	s_barrier
	buffer_gl0_inv
	v_cmpx_gt_u32_e32 8, v0
	s_cbranch_execz .LBB1116_43
; %bb.42:
	ds_load_b32 v2, v33
	s_waitcnt lgkmcnt(0)
	v_mov_b32_dpp v4, v2 row_shr:1 row_mask:0xf bank_mask:0xf
	v_and_b32_e32 v3, 7, v53
	s_delay_alu instid0(VALU_DEP_1) | instskip(NEXT) | instid1(VALU_DEP_3)
	v_cmp_ne_u32_e32 vcc_lo, 0, v3
	v_cndmask_b32_e32 v4, 0, v4, vcc_lo
	v_cmp_lt_u32_e32 vcc_lo, 1, v3
	s_delay_alu instid0(VALU_DEP_2) | instskip(NEXT) | instid1(VALU_DEP_1)
	v_add_nc_u32_e32 v2, v4, v2
	v_mov_b32_dpp v4, v2 row_shr:2 row_mask:0xf bank_mask:0xf
	s_delay_alu instid0(VALU_DEP_1) | instskip(SKIP_1) | instid1(VALU_DEP_2)
	v_cndmask_b32_e32 v4, 0, v4, vcc_lo
	v_cmp_lt_u32_e32 vcc_lo, 3, v3
	v_add_nc_u32_e32 v2, v2, v4
	s_delay_alu instid0(VALU_DEP_1) | instskip(NEXT) | instid1(VALU_DEP_1)
	v_mov_b32_dpp v4, v2 row_shr:4 row_mask:0xf bank_mask:0xf
	v_cndmask_b32_e32 v3, 0, v4, vcc_lo
	s_delay_alu instid0(VALU_DEP_1)
	v_add_nc_u32_e32 v2, v2, v3
	ds_store_b32 v33, v2
.LBB1116_43:
	s_or_b32 exec_lo, exec_lo, s7
	v_cmp_gt_u32_e32 vcc_lo, 32, v0
	s_mov_b32 s21, exec_lo
	s_waitcnt lgkmcnt(0)
	s_barrier
	buffer_gl0_inv
                                        ; implicit-def: $vgpr8
	v_cmpx_lt_u32_e32 31, v0
	s_cbranch_execz .LBB1116_45
; %bb.44:
	v_lshl_add_u32 v2, v54, 2, -4
	ds_load_b32 v8, v2
	s_waitcnt lgkmcnt(0)
	v_add_nc_u32_e32 v1, v8, v1
.LBB1116_45:
	s_or_b32 exec_lo, exec_lo, s21
	v_add_nc_u32_e32 v2, -1, v53
	s_delay_alu instid0(VALU_DEP_1) | instskip(NEXT) | instid1(VALU_DEP_1)
	v_cmp_gt_i32_e64 s7, 0, v2
	v_cndmask_b32_e64 v2, v2, v53, s7
	v_cmp_eq_u32_e64 s7, 0, v53
	s_delay_alu instid0(VALU_DEP_2)
	v_lshlrev_b32_e32 v2, 2, v2
	ds_bpermute_b32 v9, v2, v1
	s_and_saveexec_b32 s21, vcc_lo
	s_cbranch_execz .LBB1116_63
; %bb.46:
	v_mov_b32_e32 v4, 0
	ds_load_b32 v1, v4 offset:28
	s_and_saveexec_b32 s22, s7
	s_cbranch_execz .LBB1116_48
; %bb.47:
	s_add_i32 s24, s20, 32
	s_mov_b32 s25, 0
	v_mov_b32_e32 v2, 1
	s_lshl_b64 s[24:25], s[24:25], 3
	s_delay_alu instid0(SALU_CYCLE_1)
	s_add_u32 s24, s18, s24
	s_addc_u32 s25, s19, s25
	s_waitcnt lgkmcnt(0)
	global_store_b64 v4, v[1:2], s[24:25]
.LBB1116_48:
	s_or_b32 exec_lo, exec_lo, s22
	v_xad_u32 v2, v53, -1, s20
	s_mov_b32 s23, 0
	s_mov_b32 s22, exec_lo
	s_delay_alu instid0(VALU_DEP_1) | instskip(NEXT) | instid1(VALU_DEP_1)
	v_add_nc_u32_e32 v3, 32, v2
	v_lshlrev_b64 v[3:4], 3, v[3:4]
	s_delay_alu instid0(VALU_DEP_1) | instskip(NEXT) | instid1(VALU_DEP_2)
	v_add_co_u32 v6, vcc_lo, s18, v3
	v_add_co_ci_u32_e32 v7, vcc_lo, s19, v4, vcc_lo
	global_load_b64 v[4:5], v[6:7], off glc
	s_waitcnt vmcnt(0)
	v_and_b32_e32 v3, 0xff, v5
	s_delay_alu instid0(VALU_DEP_1)
	v_cmpx_eq_u16_e32 0, v3
	s_cbranch_execz .LBB1116_51
.LBB1116_49:                            ; =>This Inner Loop Header: Depth=1
	global_load_b64 v[4:5], v[6:7], off glc
	s_waitcnt vmcnt(0)
	v_and_b32_e32 v3, 0xff, v5
	s_delay_alu instid0(VALU_DEP_1) | instskip(SKIP_1) | instid1(SALU_CYCLE_1)
	v_cmp_ne_u16_e32 vcc_lo, 0, v3
	s_or_b32 s23, vcc_lo, s23
	s_and_not1_b32 exec_lo, exec_lo, s23
	s_cbranch_execnz .LBB1116_49
; %bb.50:
	s_or_b32 exec_lo, exec_lo, s23
.LBB1116_51:
	s_delay_alu instid0(SALU_CYCLE_1)
	s_or_b32 exec_lo, exec_lo, s22
	v_cmp_ne_u32_e32 vcc_lo, 31, v53
	v_lshlrev_b32_e64 v11, v53, -1
	v_add_nc_u32_e32 v13, 2, v53
	v_add_nc_u32_e32 v15, 4, v53
	;; [unrolled: 1-line block ×3, first 2 shown]
	v_add_co_ci_u32_e32 v3, vcc_lo, 0, v53, vcc_lo
	v_add_nc_u32_e32 v58, 16, v53
	s_delay_alu instid0(VALU_DEP_2) | instskip(SKIP_2) | instid1(VALU_DEP_1)
	v_lshlrev_b32_e32 v10, 2, v3
	ds_bpermute_b32 v6, v10, v4
	v_and_b32_e32 v3, 0xff, v5
	v_cmp_eq_u16_e32 vcc_lo, 2, v3
	v_and_or_b32 v3, vcc_lo, v11, 0x80000000
	v_cmp_gt_u32_e32 vcc_lo, 30, v53
	s_delay_alu instid0(VALU_DEP_2) | instskip(SKIP_1) | instid1(VALU_DEP_2)
	v_ctz_i32_b32_e32 v3, v3
	v_cndmask_b32_e64 v7, 0, 1, vcc_lo
	v_cmp_lt_u32_e32 vcc_lo, v53, v3
	s_waitcnt lgkmcnt(0)
	s_delay_alu instid0(VALU_DEP_2) | instskip(NEXT) | instid1(VALU_DEP_1)
	v_dual_cndmask_b32 v6, 0, v6 :: v_dual_lshlrev_b32 v7, 1, v7
	v_add_lshl_u32 v12, v7, v53, 2
	v_cmp_gt_u32_e32 vcc_lo, 28, v53
	s_delay_alu instid0(VALU_DEP_3) | instskip(SKIP_4) | instid1(VALU_DEP_1)
	v_add_nc_u32_e32 v4, v6, v4
	v_cndmask_b32_e64 v7, 0, 1, vcc_lo
	v_cmp_le_u32_e32 vcc_lo, v13, v3
	ds_bpermute_b32 v6, v12, v4
	v_lshlrev_b32_e32 v7, 2, v7
	v_add_lshl_u32 v14, v7, v53, 2
	s_waitcnt lgkmcnt(0)
	v_cndmask_b32_e32 v6, 0, v6, vcc_lo
	v_cmp_gt_u32_e32 vcc_lo, 24, v53
	s_delay_alu instid0(VALU_DEP_2) | instskip(SKIP_4) | instid1(VALU_DEP_1)
	v_add_nc_u32_e32 v4, v4, v6
	v_cndmask_b32_e64 v7, 0, 1, vcc_lo
	v_cmp_le_u32_e32 vcc_lo, v15, v3
	ds_bpermute_b32 v6, v14, v4
	v_lshlrev_b32_e32 v7, 3, v7
	v_add_lshl_u32 v17, v7, v53, 2
	s_waitcnt lgkmcnt(0)
	v_cndmask_b32_e32 v6, 0, v6, vcc_lo
	v_cmp_gt_u32_e32 vcc_lo, 16, v53
	s_delay_alu instid0(VALU_DEP_2) | instskip(SKIP_4) | instid1(VALU_DEP_1)
	v_add_nc_u32_e32 v4, v4, v6
	v_cndmask_b32_e64 v7, 0, 1, vcc_lo
	v_cmp_le_u32_e32 vcc_lo, v56, v3
	ds_bpermute_b32 v6, v17, v4
	v_lshlrev_b32_e32 v7, 4, v7
	v_add_lshl_u32 v57, v7, v53, 2
	s_waitcnt lgkmcnt(0)
	v_cndmask_b32_e32 v6, 0, v6, vcc_lo
	v_cmp_le_u32_e32 vcc_lo, v58, v3
	s_delay_alu instid0(VALU_DEP_2) | instskip(SKIP_3) | instid1(VALU_DEP_1)
	v_add_nc_u32_e32 v4, v4, v6
	ds_bpermute_b32 v6, v57, v4
	s_waitcnt lgkmcnt(0)
	v_cndmask_b32_e32 v3, 0, v6, vcc_lo
	v_dual_mov_b32 v3, 0 :: v_dual_add_nc_u32 v4, v4, v3
	s_branch .LBB1116_53
.LBB1116_52:                            ;   in Loop: Header=BB1116_53 Depth=1
	s_or_b32 exec_lo, exec_lo, s22
	ds_bpermute_b32 v7, v10, v4
	v_and_b32_e32 v6, 0xff, v5
	v_subrev_nc_u32_e32 v2, 32, v2
	s_delay_alu instid0(VALU_DEP_2) | instskip(SKIP_1) | instid1(VALU_DEP_1)
	v_cmp_eq_u16_e32 vcc_lo, 2, v6
	v_and_or_b32 v6, vcc_lo, v11, 0x80000000
	v_ctz_i32_b32_e32 v6, v6
	s_delay_alu instid0(VALU_DEP_1) | instskip(SKIP_3) | instid1(VALU_DEP_2)
	v_cmp_lt_u32_e32 vcc_lo, v53, v6
	s_waitcnt lgkmcnt(0)
	v_cndmask_b32_e32 v7, 0, v7, vcc_lo
	v_cmp_le_u32_e32 vcc_lo, v13, v6
	v_add_nc_u32_e32 v4, v7, v4
	ds_bpermute_b32 v7, v12, v4
	s_waitcnt lgkmcnt(0)
	v_cndmask_b32_e32 v7, 0, v7, vcc_lo
	v_cmp_le_u32_e32 vcc_lo, v15, v6
	s_delay_alu instid0(VALU_DEP_2) | instskip(SKIP_4) | instid1(VALU_DEP_2)
	v_add_nc_u32_e32 v4, v4, v7
	ds_bpermute_b32 v7, v14, v4
	s_waitcnt lgkmcnt(0)
	v_cndmask_b32_e32 v7, 0, v7, vcc_lo
	v_cmp_le_u32_e32 vcc_lo, v56, v6
	v_add_nc_u32_e32 v4, v4, v7
	ds_bpermute_b32 v7, v17, v4
	s_waitcnt lgkmcnt(0)
	v_cndmask_b32_e32 v7, 0, v7, vcc_lo
	v_cmp_le_u32_e32 vcc_lo, v58, v6
	s_delay_alu instid0(VALU_DEP_2) | instskip(SKIP_3) | instid1(VALU_DEP_1)
	v_add_nc_u32_e32 v4, v4, v7
	ds_bpermute_b32 v7, v57, v4
	s_waitcnt lgkmcnt(0)
	v_cndmask_b32_e32 v6, 0, v7, vcc_lo
	v_add3_u32 v4, v6, v16, v4
.LBB1116_53:                            ; =>This Loop Header: Depth=1
                                        ;     Child Loop BB1116_56 Depth 2
	s_delay_alu instid0(VALU_DEP_1) | instskip(NEXT) | instid1(VALU_DEP_1)
	v_dual_mov_b32 v16, v4 :: v_dual_and_b32 v5, 0xff, v5
	v_cmp_ne_u16_e32 vcc_lo, 2, v5
	v_cndmask_b32_e64 v5, 0, 1, vcc_lo
	;;#ASMSTART
	;;#ASMEND
	s_delay_alu instid0(VALU_DEP_1)
	v_cmp_ne_u32_e32 vcc_lo, 0, v5
	s_cmp_lg_u32 vcc_lo, exec_lo
	s_cbranch_scc1 .LBB1116_58
; %bb.54:                               ;   in Loop: Header=BB1116_53 Depth=1
	v_lshlrev_b64 v[4:5], 3, v[2:3]
	s_mov_b32 s22, exec_lo
	s_delay_alu instid0(VALU_DEP_1) | instskip(NEXT) | instid1(VALU_DEP_2)
	v_add_co_u32 v6, vcc_lo, s18, v4
	v_add_co_ci_u32_e32 v7, vcc_lo, s19, v5, vcc_lo
	global_load_b64 v[4:5], v[6:7], off glc
	s_waitcnt vmcnt(0)
	v_and_b32_e32 v59, 0xff, v5
	s_delay_alu instid0(VALU_DEP_1)
	v_cmpx_eq_u16_e32 0, v59
	s_cbranch_execz .LBB1116_52
; %bb.55:                               ;   in Loop: Header=BB1116_53 Depth=1
	s_mov_b32 s23, 0
.LBB1116_56:                            ;   Parent Loop BB1116_53 Depth=1
                                        ; =>  This Inner Loop Header: Depth=2
	global_load_b64 v[4:5], v[6:7], off glc
	s_waitcnt vmcnt(0)
	v_and_b32_e32 v59, 0xff, v5
	s_delay_alu instid0(VALU_DEP_1) | instskip(SKIP_1) | instid1(SALU_CYCLE_1)
	v_cmp_ne_u16_e32 vcc_lo, 0, v59
	s_or_b32 s23, vcc_lo, s23
	s_and_not1_b32 exec_lo, exec_lo, s23
	s_cbranch_execnz .LBB1116_56
; %bb.57:                               ;   in Loop: Header=BB1116_53 Depth=1
	s_or_b32 exec_lo, exec_lo, s23
	s_branch .LBB1116_52
.LBB1116_58:                            ;   in Loop: Header=BB1116_53 Depth=1
                                        ; implicit-def: $vgpr4
                                        ; implicit-def: $vgpr5
	s_cbranch_execz .LBB1116_53
; %bb.59:
	s_and_saveexec_b32 s22, s7
	s_cbranch_execz .LBB1116_61
; %bb.60:
	s_add_i32 s24, s20, 32
	s_mov_b32 s25, 0
	v_dual_mov_b32 v3, 2 :: v_dual_add_nc_u32 v2, v16, v1
	s_lshl_b64 s[24:25], s[24:25], 3
	v_mov_b32_e32 v4, 0
	v_add_nc_u32_e64 v5, 0x3400, 0
	s_add_u32 s24, s18, s24
	s_addc_u32 s25, s19, s25
	global_store_b64 v4, v[2:3], s[24:25]
	ds_store_2addr_b32 v5, v1, v16 offset1:2
.LBB1116_61:
	s_or_b32 exec_lo, exec_lo, s22
	s_delay_alu instid0(SALU_CYCLE_1)
	s_and_b32 exec_lo, exec_lo, s2
	s_cbranch_execz .LBB1116_63
; %bb.62:
	v_mov_b32_e32 v1, 0
	ds_store_b32 v1, v16 offset:28
.LBB1116_63:
	s_or_b32 exec_lo, exec_lo, s21
	v_mov_b32_e32 v1, 0
	s_waitcnt lgkmcnt(0)
	s_waitcnt_vscnt null, 0x0
	s_barrier
	buffer_gl0_inv
	v_cndmask_b32_e64 v2, v9, v8, s7
	ds_load_b32 v1, v1 offset:28
	v_add_nc_u32_e64 v11, 0x3400, 0
	s_waitcnt lgkmcnt(0)
	s_barrier
	v_cndmask_b32_e64 v2, v2, 0, s2
	buffer_gl0_inv
	ds_load_2addr_b32 v[16:17], v11 offset1:2
	v_add_nc_u32_e32 v1, v1, v2
	s_delay_alu instid0(VALU_DEP_1) | instskip(NEXT) | instid1(VALU_DEP_1)
	v_add_nc_u32_e32 v2, v1, v44
	v_add_nc_u32_e32 v3, v2, v45
	s_delay_alu instid0(VALU_DEP_1) | instskip(NEXT) | instid1(VALU_DEP_1)
	v_add_nc_u32_e32 v4, v3, v46
	;; [unrolled: 3-line block ×6, first 2 shown]
	v_add_nc_u32_e32 v13, v12, v39
	s_branch .LBB1116_74
.LBB1116_64:
                                        ; implicit-def: $vgpr17
                                        ; implicit-def: $vgpr1_vgpr2_vgpr3_vgpr4_vgpr5_vgpr6_vgpr7_vgpr8_vgpr9_vgpr10_vgpr11_vgpr12_vgpr13_vgpr14_vgpr15_vgpr16
	s_and_b32 vcc_lo, exec_lo, s7
	s_cbranch_vccz .LBB1116_74
; %bb.65:
	s_delay_alu instid0(VALU_DEP_1) | instskip(NEXT) | instid1(VALU_DEP_1)
	v_mov_b32_dpp v1, v55 row_shr:1 row_mask:0xf bank_mask:0xf
	v_cndmask_b32_e64 v1, v1, 0, s6
	s_delay_alu instid0(VALU_DEP_1) | instskip(NEXT) | instid1(VALU_DEP_1)
	v_add_nc_u32_e32 v1, v1, v55
	v_mov_b32_dpp v2, v1 row_shr:2 row_mask:0xf bank_mask:0xf
	s_delay_alu instid0(VALU_DEP_1) | instskip(NEXT) | instid1(VALU_DEP_1)
	v_cndmask_b32_e64 v2, 0, v2, s5
	v_add_nc_u32_e32 v1, v1, v2
	s_delay_alu instid0(VALU_DEP_1) | instskip(NEXT) | instid1(VALU_DEP_1)
	v_mov_b32_dpp v2, v1 row_shr:4 row_mask:0xf bank_mask:0xf
	v_cndmask_b32_e64 v2, 0, v2, s4
	s_delay_alu instid0(VALU_DEP_1) | instskip(NEXT) | instid1(VALU_DEP_1)
	v_add_nc_u32_e32 v1, v1, v2
	v_mov_b32_dpp v2, v1 row_shr:8 row_mask:0xf bank_mask:0xf
	s_delay_alu instid0(VALU_DEP_1) | instskip(NEXT) | instid1(VALU_DEP_1)
	v_cndmask_b32_e64 v2, 0, v2, s3
	v_add_nc_u32_e32 v1, v1, v2
	ds_swizzle_b32 v2, v1 offset:swizzle(BROADCAST,32,15)
	s_waitcnt lgkmcnt(0)
	v_cndmask_b32_e64 v2, v2, 0, s1
	s_delay_alu instid0(VALU_DEP_1)
	v_add_nc_u32_e32 v1, v1, v2
	s_and_saveexec_b32 s1, s0
	s_cbranch_execz .LBB1116_67
; %bb.66:
	v_lshlrev_b32_e32 v2, 2, v54
	ds_store_b32 v2, v1
.LBB1116_67:
	s_or_b32 exec_lo, exec_lo, s1
	s_delay_alu instid0(SALU_CYCLE_1)
	s_mov_b32 s0, exec_lo
	s_waitcnt lgkmcnt(0)
	s_barrier
	buffer_gl0_inv
	v_cmpx_gt_u32_e32 8, v0
	s_cbranch_execz .LBB1116_69
; %bb.68:
	ds_load_b32 v2, v33
	s_waitcnt lgkmcnt(0)
	v_mov_b32_dpp v4, v2 row_shr:1 row_mask:0xf bank_mask:0xf
	v_and_b32_e32 v3, 7, v53
	s_delay_alu instid0(VALU_DEP_1) | instskip(NEXT) | instid1(VALU_DEP_3)
	v_cmp_ne_u32_e32 vcc_lo, 0, v3
	v_cndmask_b32_e32 v4, 0, v4, vcc_lo
	v_cmp_lt_u32_e32 vcc_lo, 1, v3
	s_delay_alu instid0(VALU_DEP_2) | instskip(NEXT) | instid1(VALU_DEP_1)
	v_add_nc_u32_e32 v2, v4, v2
	v_mov_b32_dpp v4, v2 row_shr:2 row_mask:0xf bank_mask:0xf
	s_delay_alu instid0(VALU_DEP_1) | instskip(SKIP_1) | instid1(VALU_DEP_2)
	v_cndmask_b32_e32 v4, 0, v4, vcc_lo
	v_cmp_lt_u32_e32 vcc_lo, 3, v3
	v_add_nc_u32_e32 v2, v2, v4
	s_delay_alu instid0(VALU_DEP_1) | instskip(NEXT) | instid1(VALU_DEP_1)
	v_mov_b32_dpp v4, v2 row_shr:4 row_mask:0xf bank_mask:0xf
	v_cndmask_b32_e32 v3, 0, v4, vcc_lo
	s_delay_alu instid0(VALU_DEP_1)
	v_add_nc_u32_e32 v2, v2, v3
	ds_store_b32 v33, v2
.LBB1116_69:
	s_or_b32 exec_lo, exec_lo, s0
	v_dual_mov_b32 v3, 0 :: v_dual_mov_b32 v2, 0
	s_mov_b32 s0, exec_lo
	s_waitcnt lgkmcnt(0)
	s_barrier
	buffer_gl0_inv
	v_cmpx_lt_u32_e32 31, v0
	s_cbranch_execz .LBB1116_71
; %bb.70:
	v_lshl_add_u32 v2, v54, 2, -4
	ds_load_b32 v2, v2
.LBB1116_71:
	s_or_b32 exec_lo, exec_lo, s0
	v_add_nc_u32_e32 v4, -1, v53
	s_waitcnt lgkmcnt(0)
	v_add_nc_u32_e32 v1, v2, v1
	ds_load_b32 v16, v3 offset:28
	v_cmp_gt_i32_e32 vcc_lo, 0, v4
	v_cndmask_b32_e32 v4, v4, v53, vcc_lo
	s_delay_alu instid0(VALU_DEP_1)
	v_lshlrev_b32_e32 v4, 2, v4
	ds_bpermute_b32 v1, v4, v1
	s_and_saveexec_b32 s0, s2
	s_cbranch_execz .LBB1116_73
; %bb.72:
	v_mov_b32_e32 v3, 0
	v_mov_b32_e32 v17, 2
	s_waitcnt lgkmcnt(1)
	global_store_b64 v3, v[16:17], s[18:19] offset:256
.LBB1116_73:
	s_or_b32 exec_lo, exec_lo, s0
	v_cmp_eq_u32_e32 vcc_lo, 0, v53
	s_waitcnt lgkmcnt(0)
	s_waitcnt_vscnt null, 0x0
	s_barrier
	buffer_gl0_inv
	v_mov_b32_e32 v17, 0
	v_cndmask_b32_e32 v1, v1, v2, vcc_lo
	s_delay_alu instid0(VALU_DEP_1) | instskip(NEXT) | instid1(VALU_DEP_1)
	v_cndmask_b32_e64 v1, v1, 0, s2
	v_add_nc_u32_e32 v2, v1, v44
	s_delay_alu instid0(VALU_DEP_1) | instskip(NEXT) | instid1(VALU_DEP_1)
	v_add_nc_u32_e32 v3, v2, v45
	v_add_nc_u32_e32 v4, v3, v46
	s_delay_alu instid0(VALU_DEP_1) | instskip(NEXT) | instid1(VALU_DEP_1)
	v_add_nc_u32_e32 v5, v4, v43
	;; [unrolled: 3-line block ×5, first 2 shown]
	v_add_nc_u32_e32 v12, v11, v52
	s_delay_alu instid0(VALU_DEP_1)
	v_add_nc_u32_e32 v13, v12, v39
.LBB1116_74:
	s_waitcnt lgkmcnt(0)
	v_sub_nc_u32_e32 v1, v1, v17
	v_sub_nc_u32_e32 v2, v2, v17
	v_add_nc_u32_e32 v36, v16, v36
	v_lshrrev_b32_e32 v47, 8, v42
	v_lshrrev_b32_e32 v46, 16, v42
	v_sub_nc_u32_e32 v4, v4, v17
	v_sub_nc_u32_e32 v3, v3, v17
	;; [unrolled: 1-line block ×3, first 2 shown]
	v_and_b32_e32 v42, 1, v42
	v_and_b32_e32 v47, 1, v47
	v_and_b32_e32 v43, 1, v43
	v_lshrrev_b32_e32 v45, 8, v40
	v_lshrrev_b32_e32 v44, 16, v40
	v_cmp_eq_u32_e32 vcc_lo, 1, v42
	v_and_b32_e32 v42, 1, v46
	v_sub_nc_u32_e32 v46, v36, v2
	v_lshrrev_b32_e32 v15, 8, v38
	v_lshrrev_b32_e32 v14, 16, v38
	v_cndmask_b32_e32 v1, v48, v1, vcc_lo
	v_cmp_eq_u32_e32 vcc_lo, 1, v47
	v_add_nc_u32_e32 v46, 1, v46
	s_delay_alu instid0(VALU_DEP_3)
	v_lshlrev_b32_e32 v1, 2, v1
	ds_store_b32 v1, v30
	v_cndmask_b32_e32 v1, v46, v2, vcc_lo
	v_sub_nc_u32_e32 v48, v36, v3
	v_sub_nc_u32_e32 v49, v36, v4
	v_cmp_eq_u32_e32 vcc_lo, 1, v42
	v_or_b32_e32 v30, 0x300, v0
	v_lshlrev_b32_e32 v1, 2, v1
	v_add_nc_u32_e32 v48, 2, v48
	v_add_nc_u32_e32 v49, 3, v49
	ds_store_b32 v1, v31
	v_cndmask_b32_e32 v2, v48, v3, vcc_lo
	v_cmp_eq_u32_e32 vcc_lo, 1, v43
	v_or_b32_e32 v31, 0x200, v0
	s_delay_alu instid0(VALU_DEP_3) | instskip(SKIP_2) | instid1(VALU_DEP_3)
	v_dual_cndmask_b32 v3, v49, v4 :: v_dual_lshlrev_b32 v2, 2, v2
	v_sub_nc_u32_e32 v4, v5, v17
	v_sub_nc_u32_e32 v5, v6, v17
	v_lshlrev_b32_e32 v3, 2, v3
	s_delay_alu instid0(VALU_DEP_3) | instskip(NEXT) | instid1(VALU_DEP_3)
	v_sub_nc_u32_e32 v1, v36, v4
	v_sub_nc_u32_e32 v6, v36, v5
	ds_store_b32 v2, v28
	ds_store_b32 v3, v29
	v_and_b32_e32 v2, 1, v40
	v_add_nc_u32_e32 v1, 4, v1
	v_add_nc_u32_e32 v3, 5, v6
	v_sub_nc_u32_e32 v6, v7, v17
	v_and_b32_e32 v7, 1, v45
	v_cmp_eq_u32_e32 vcc_lo, 1, v2
	v_sub_nc_u32_e32 v2, v8, v17
	v_and_b32_e32 v8, 1, v41
	v_or_b32_e32 v29, 0x400, v0
	v_or_b32_e32 v28, 0x500, v0
	v_cndmask_b32_e32 v1, v1, v4, vcc_lo
	v_sub_nc_u32_e32 v4, v36, v6
	v_cmp_eq_u32_e32 vcc_lo, 1, v7
	v_and_b32_e32 v7, 1, v44
	s_delay_alu instid0(VALU_DEP_4) | instskip(NEXT) | instid1(VALU_DEP_4)
	v_lshlrev_b32_e32 v1, 2, v1
	v_dual_cndmask_b32 v3, v3, v5 :: v_dual_add_nc_u32 v4, 6, v4
	v_sub_nc_u32_e32 v5, v36, v2
	s_delay_alu instid0(VALU_DEP_4) | instskip(SKIP_2) | instid1(VALU_DEP_4)
	v_cmp_eq_u32_e32 vcc_lo, 1, v7
	v_sub_nc_u32_e32 v7, v13, v17
	v_add_co_u32 v13, s0, s16, v32
	v_dual_cndmask_b32 v4, v4, v6 :: v_dual_add_nc_u32 v5, 7, v5
	v_cmp_eq_u32_e32 vcc_lo, 1, v8
	v_sub_nc_u32_e32 v6, v9, v17
	v_lshlrev_b32_e32 v3, 2, v3
	ds_store_b32 v1, v26
	ds_store_b32 v3, v27
	v_cndmask_b32_e32 v2, v5, v2, vcc_lo
	v_sub_nc_u32_e32 v1, v36, v6
	v_lshlrev_b32_e32 v3, 2, v4
	v_and_b32_e32 v5, 1, v38
	v_sub_nc_u32_e32 v4, v10, v17
	v_lshlrev_b32_e32 v2, 2, v2
	v_add_nc_u32_e32 v1, 8, v1
	ds_store_b32 v3, v24
	ds_store_b32 v2, v25
	v_cmp_eq_u32_e32 vcc_lo, 1, v5
	v_sub_nc_u32_e32 v3, v11, v17
	v_sub_nc_u32_e32 v2, v36, v4
	v_sub_nc_u32_e32 v5, v12, v17
	v_dual_cndmask_b32 v1, v1, v6 :: v_dual_and_b32 v10, 1, v39
	v_and_b32_e32 v6, 1, v15
	v_sub_nc_u32_e32 v8, v36, v3
	v_add_nc_u32_e32 v2, 9, v2
	v_sub_nc_u32_e32 v9, v36, v5
	v_and_b32_e32 v11, 1, v37
	v_cmp_eq_u32_e32 vcc_lo, 1, v6
	v_add_nc_u32_e32 v6, 10, v8
	v_and_b32_e32 v8, 1, v14
	v_add_nc_u32_e32 v9, 11, v9
	v_dual_cndmask_b32 v2, v2, v4 :: v_dual_lshlrev_b32 v1, 2, v1
	v_sub_nc_u32_e32 v4, v36, v7
	s_delay_alu instid0(VALU_DEP_4) | instskip(SKIP_1) | instid1(VALU_DEP_4)
	v_cmp_eq_u32_e32 vcc_lo, 1, v8
	v_add_co_ci_u32_e64 v14, null, s17, 0, s0
	v_lshlrev_b32_e32 v2, 2, v2
	s_delay_alu instid0(VALU_DEP_4)
	v_dual_cndmask_b32 v3, v6, v3 :: v_dual_add_nc_u32 v4, 12, v4
	v_cmp_eq_u32_e32 vcc_lo, 1, v10
	v_or_b32_e32 v27, 0x600, v0
	v_or_b32_e32 v26, 0x700, v0
	;; [unrolled: 1-line block ×3, first 2 shown]
	v_lshlrev_b32_e32 v3, 2, v3
	v_cndmask_b32_e32 v5, v9, v5, vcc_lo
	v_cmp_eq_u32_e32 vcc_lo, 1, v11
	v_or_b32_e32 v24, 0x900, v0
	s_delay_alu instid0(VALU_DEP_3) | instskip(SKIP_2) | instid1(VALU_DEP_3)
	v_dual_cndmask_b32 v4, v4, v7 :: v_dual_lshlrev_b32 v5, 2, v5
	v_sub_co_u32 v13, vcc_lo, s14, v13
	v_sub_co_ci_u32_e32 v14, vcc_lo, s15, v14, vcc_lo
	v_lshlrev_b32_e32 v4, 2, v4
	ds_store_b32 v1, v22
	ds_store_b32 v2, v23
	ds_store_b32 v3, v20
	ds_store_b32 v5, v21
	ds_store_b32 v4, v35
	s_waitcnt lgkmcnt(0)
	s_barrier
	buffer_gl0_inv
	ds_load_2addr_stride64_b32 v[11:12], v33 offset1:4
	ds_load_2addr_stride64_b32 v[9:10], v33 offset0:8 offset1:12
	ds_load_2addr_stride64_b32 v[7:8], v33 offset0:16 offset1:20
	;; [unrolled: 1-line block ×5, first 2 shown]
	ds_load_b32 v20, v33 offset:12288
	v_add_co_u32 v15, vcc_lo, v18, v17
	v_add_co_ci_u32_e32 v17, vcc_lo, 0, v19, vcc_lo
	v_add_co_u32 v13, vcc_lo, v13, v16
	v_add_co_ci_u32_e32 v14, vcc_lo, 0, v14, vcc_lo
	v_cmp_ne_u32_e32 vcc_lo, 1, v34
	s_delay_alu instid0(VALU_DEP_3)
	v_add_co_u32 v18, s0, v13, v15
	v_or_b32_e32 v35, 0x100, v0
	v_or_b32_e32 v23, 0xa00, v0
	;; [unrolled: 1-line block ×4, first 2 shown]
	v_add_co_ci_u32_e64 v19, s0, v14, v17, s0
	s_mov_b32 s0, 0
	s_cbranch_vccnz .LBB1116_131
; %bb.75:
	s_mov_b32 s0, exec_lo
                                        ; implicit-def: $vgpr13_vgpr14
	v_cmpx_ge_u32_e64 v0, v16
	s_xor_b32 s0, exec_lo, s0
; %bb.76:
	v_not_b32_e32 v13, v0
	s_delay_alu instid0(VALU_DEP_1) | instskip(SKIP_1) | instid1(VALU_DEP_2)
	v_ashrrev_i32_e32 v14, 31, v13
	v_add_co_u32 v13, vcc_lo, v18, v13
	v_add_co_ci_u32_e32 v14, vcc_lo, v19, v14, vcc_lo
; %bb.77:
	s_and_not1_saveexec_b32 s0, s0
; %bb.78:
	v_add_co_u32 v13, vcc_lo, v15, v0
	v_add_co_ci_u32_e32 v14, vcc_lo, 0, v17, vcc_lo
; %bb.79:
	s_or_b32 exec_lo, exec_lo, s0
	s_delay_alu instid0(VALU_DEP_1) | instskip(SKIP_1) | instid1(VALU_DEP_1)
	v_lshlrev_b64 v[13:14], 2, v[13:14]
	s_mov_b32 s0, exec_lo
	v_add_co_u32 v13, vcc_lo, s12, v13
	s_delay_alu instid0(VALU_DEP_2)
	v_add_co_ci_u32_e32 v14, vcc_lo, s13, v14, vcc_lo
	s_waitcnt lgkmcnt(6)
	global_store_b32 v[13:14], v11, off
                                        ; implicit-def: $vgpr13_vgpr14
	v_cmpx_ge_u32_e64 v35, v16
	s_xor_b32 s0, exec_lo, s0
; %bb.80:
	v_xor_b32_e32 v13, 0xfffffeff, v0
	s_delay_alu instid0(VALU_DEP_1) | instskip(SKIP_1) | instid1(VALU_DEP_2)
	v_ashrrev_i32_e32 v14, 31, v13
	v_add_co_u32 v13, vcc_lo, v18, v13
	v_add_co_ci_u32_e32 v14, vcc_lo, v19, v14, vcc_lo
; %bb.81:
	s_and_not1_saveexec_b32 s0, s0
; %bb.82:
	v_add_co_u32 v13, vcc_lo, v15, v35
	v_add_co_ci_u32_e32 v14, vcc_lo, 0, v17, vcc_lo
; %bb.83:
	s_or_b32 exec_lo, exec_lo, s0
	s_delay_alu instid0(VALU_DEP_1) | instskip(SKIP_1) | instid1(VALU_DEP_1)
	v_lshlrev_b64 v[13:14], 2, v[13:14]
	s_mov_b32 s0, exec_lo
	v_add_co_u32 v13, vcc_lo, s12, v13
	s_delay_alu instid0(VALU_DEP_2)
	v_add_co_ci_u32_e32 v14, vcc_lo, s13, v14, vcc_lo
	global_store_b32 v[13:14], v12, off
                                        ; implicit-def: $vgpr13_vgpr14
	v_cmpx_ge_u32_e64 v31, v16
	s_xor_b32 s0, exec_lo, s0
; %bb.84:
	v_xor_b32_e32 v13, 0xfffffdff, v0
	s_delay_alu instid0(VALU_DEP_1) | instskip(SKIP_1) | instid1(VALU_DEP_2)
	v_ashrrev_i32_e32 v14, 31, v13
	v_add_co_u32 v13, vcc_lo, v18, v13
	v_add_co_ci_u32_e32 v14, vcc_lo, v19, v14, vcc_lo
; %bb.85:
	s_and_not1_saveexec_b32 s0, s0
; %bb.86:
	v_add_co_u32 v13, vcc_lo, v15, v31
	v_add_co_ci_u32_e32 v14, vcc_lo, 0, v17, vcc_lo
; %bb.87:
	s_or_b32 exec_lo, exec_lo, s0
	s_delay_alu instid0(VALU_DEP_1) | instskip(SKIP_1) | instid1(VALU_DEP_1)
	v_lshlrev_b64 v[13:14], 2, v[13:14]
	s_mov_b32 s0, exec_lo
	v_add_co_u32 v13, vcc_lo, s12, v13
	s_delay_alu instid0(VALU_DEP_2)
	v_add_co_ci_u32_e32 v14, vcc_lo, s13, v14, vcc_lo
	s_waitcnt lgkmcnt(5)
	global_store_b32 v[13:14], v9, off
                                        ; implicit-def: $vgpr13_vgpr14
	v_cmpx_ge_u32_e64 v30, v16
	s_xor_b32 s0, exec_lo, s0
; %bb.88:
	v_xor_b32_e32 v13, 0xfffffcff, v0
	s_delay_alu instid0(VALU_DEP_1) | instskip(SKIP_1) | instid1(VALU_DEP_2)
	v_ashrrev_i32_e32 v14, 31, v13
	v_add_co_u32 v13, vcc_lo, v18, v13
	v_add_co_ci_u32_e32 v14, vcc_lo, v19, v14, vcc_lo
; %bb.89:
	s_and_not1_saveexec_b32 s0, s0
; %bb.90:
	v_add_co_u32 v13, vcc_lo, v15, v30
	v_add_co_ci_u32_e32 v14, vcc_lo, 0, v17, vcc_lo
; %bb.91:
	s_or_b32 exec_lo, exec_lo, s0
	s_delay_alu instid0(VALU_DEP_1) | instskip(SKIP_1) | instid1(VALU_DEP_1)
	v_lshlrev_b64 v[13:14], 2, v[13:14]
	s_mov_b32 s0, exec_lo
	v_add_co_u32 v13, vcc_lo, s12, v13
	s_delay_alu instid0(VALU_DEP_2)
	v_add_co_ci_u32_e32 v14, vcc_lo, s13, v14, vcc_lo
	global_store_b32 v[13:14], v10, off
                                        ; implicit-def: $vgpr13_vgpr14
	v_cmpx_ge_u32_e64 v29, v16
	s_xor_b32 s0, exec_lo, s0
; %bb.92:
	v_xor_b32_e32 v13, 0xfffffbff, v0
	;; [unrolled: 47-line block ×6, first 2 shown]
	s_delay_alu instid0(VALU_DEP_1) | instskip(SKIP_1) | instid1(VALU_DEP_2)
	v_ashrrev_i32_e32 v14, 31, v13
	v_add_co_u32 v13, vcc_lo, v18, v13
	v_add_co_ci_u32_e32 v14, vcc_lo, v19, v14, vcc_lo
; %bb.125:
	s_and_not1_saveexec_b32 s0, s0
; %bb.126:
	v_add_co_u32 v13, vcc_lo, v15, v21
	v_add_co_ci_u32_e32 v14, vcc_lo, 0, v17, vcc_lo
; %bb.127:
	s_or_b32 exec_lo, exec_lo, s0
	s_mov_b32 s0, -1
.LBB1116_128:
	s_delay_alu instid0(SALU_CYCLE_1)
	s_and_saveexec_b32 s1, s0
	s_cbranch_execz .LBB1116_211
.LBB1116_129:
	s_waitcnt lgkmcnt(1)
	v_lshlrev_b64 v[0:1], 2, v[13:14]
	s_delay_alu instid0(VALU_DEP_1) | instskip(NEXT) | instid1(VALU_DEP_2)
	v_add_co_u32 v0, vcc_lo, s12, v0
	v_add_co_ci_u32_e32 v1, vcc_lo, s13, v1, vcc_lo
	s_waitcnt lgkmcnt(0)
	global_store_b32 v[0:1], v20, off
	s_or_b32 exec_lo, exec_lo, s1
	s_and_b32 s0, s2, s10
	s_delay_alu instid0(SALU_CYCLE_1)
	s_and_saveexec_b32 s1, s0
	s_cbranch_execnz .LBB1116_212
.LBB1116_130:
	s_nop 0
	s_sendmsg sendmsg(MSG_DEALLOC_VGPRS)
	s_endpgm
.LBB1116_131:
                                        ; implicit-def: $vgpr13_vgpr14
	s_cbranch_execz .LBB1116_128
; %bb.132:
	s_mov_b32 s1, exec_lo
	v_cmpx_gt_u32_e64 s11, v0
	s_cbranch_execz .LBB1116_168
; %bb.133:
	s_mov_b32 s3, exec_lo
                                        ; implicit-def: $vgpr13_vgpr14
	v_cmpx_ge_u32_e64 v0, v16
	s_xor_b32 s3, exec_lo, s3
; %bb.134:
	v_not_b32_e32 v13, v0
	s_delay_alu instid0(VALU_DEP_1) | instskip(SKIP_1) | instid1(VALU_DEP_2)
	v_ashrrev_i32_e32 v14, 31, v13
	v_add_co_u32 v13, vcc_lo, v18, v13
	v_add_co_ci_u32_e32 v14, vcc_lo, v19, v14, vcc_lo
; %bb.135:
	s_and_not1_saveexec_b32 s3, s3
; %bb.136:
	v_add_co_u32 v13, vcc_lo, v15, v0
	v_add_co_ci_u32_e32 v14, vcc_lo, 0, v17, vcc_lo
; %bb.137:
	s_or_b32 exec_lo, exec_lo, s3
	s_delay_alu instid0(VALU_DEP_1) | instskip(NEXT) | instid1(VALU_DEP_1)
	v_lshlrev_b64 v[13:14], 2, v[13:14]
	v_add_co_u32 v13, vcc_lo, s12, v13
	s_delay_alu instid0(VALU_DEP_2) | instskip(SKIP_3) | instid1(SALU_CYCLE_1)
	v_add_co_ci_u32_e32 v14, vcc_lo, s13, v14, vcc_lo
	s_waitcnt lgkmcnt(6)
	global_store_b32 v[13:14], v11, off
	s_or_b32 exec_lo, exec_lo, s1
	s_mov_b32 s1, exec_lo
	v_cmpx_gt_u32_e64 s11, v35
	s_cbranch_execnz .LBB1116_169
.LBB1116_138:
	s_or_b32 exec_lo, exec_lo, s1
	s_delay_alu instid0(SALU_CYCLE_1)
	s_mov_b32 s1, exec_lo
	v_cmpx_gt_u32_e64 s11, v31
	s_cbranch_execz .LBB1116_174
.LBB1116_139:
	s_mov_b32 s3, exec_lo
                                        ; implicit-def: $vgpr11_vgpr12
	v_cmpx_ge_u32_e64 v31, v16
	s_xor_b32 s3, exec_lo, s3
	s_cbranch_execz .LBB1116_141
; %bb.140:
	s_waitcnt lgkmcnt(6)
	v_xor_b32_e32 v11, 0xfffffdff, v0
                                        ; implicit-def: $vgpr31
	s_delay_alu instid0(VALU_DEP_1) | instskip(SKIP_1) | instid1(VALU_DEP_2)
	v_ashrrev_i32_e32 v12, 31, v11
	v_add_co_u32 v11, vcc_lo, v18, v11
	v_add_co_ci_u32_e32 v12, vcc_lo, v19, v12, vcc_lo
.LBB1116_141:
	s_and_not1_saveexec_b32 s3, s3
	s_cbranch_execz .LBB1116_143
; %bb.142:
	s_waitcnt lgkmcnt(6)
	v_add_co_u32 v11, vcc_lo, v15, v31
	v_add_co_ci_u32_e32 v12, vcc_lo, 0, v17, vcc_lo
.LBB1116_143:
	s_or_b32 exec_lo, exec_lo, s3
	s_waitcnt lgkmcnt(6)
	s_delay_alu instid0(VALU_DEP_1) | instskip(NEXT) | instid1(VALU_DEP_1)
	v_lshlrev_b64 v[11:12], 2, v[11:12]
	v_add_co_u32 v11, vcc_lo, s12, v11
	s_delay_alu instid0(VALU_DEP_2) | instskip(SKIP_3) | instid1(SALU_CYCLE_1)
	v_add_co_ci_u32_e32 v12, vcc_lo, s13, v12, vcc_lo
	s_waitcnt lgkmcnt(5)
	global_store_b32 v[11:12], v9, off
	s_or_b32 exec_lo, exec_lo, s1
	s_mov_b32 s1, exec_lo
	v_cmpx_gt_u32_e64 s11, v30
	s_cbranch_execnz .LBB1116_175
.LBB1116_144:
	s_or_b32 exec_lo, exec_lo, s1
	s_delay_alu instid0(SALU_CYCLE_1)
	s_mov_b32 s1, exec_lo
	v_cmpx_gt_u32_e64 s11, v29
	s_cbranch_execz .LBB1116_180
.LBB1116_145:
	s_mov_b32 s3, exec_lo
                                        ; implicit-def: $vgpr9_vgpr10
	v_cmpx_ge_u32_e64 v29, v16
	s_xor_b32 s3, exec_lo, s3
	s_cbranch_execz .LBB1116_147
; %bb.146:
	s_waitcnt lgkmcnt(5)
	v_xor_b32_e32 v9, 0xfffffbff, v0
                                        ; implicit-def: $vgpr29
	s_delay_alu instid0(VALU_DEP_1) | instskip(SKIP_1) | instid1(VALU_DEP_2)
	v_ashrrev_i32_e32 v10, 31, v9
	v_add_co_u32 v9, vcc_lo, v18, v9
	v_add_co_ci_u32_e32 v10, vcc_lo, v19, v10, vcc_lo
.LBB1116_147:
	s_and_not1_saveexec_b32 s3, s3
	s_cbranch_execz .LBB1116_149
; %bb.148:
	s_waitcnt lgkmcnt(5)
	v_add_co_u32 v9, vcc_lo, v15, v29
	v_add_co_ci_u32_e32 v10, vcc_lo, 0, v17, vcc_lo
.LBB1116_149:
	s_or_b32 exec_lo, exec_lo, s3
	s_waitcnt lgkmcnt(5)
	s_delay_alu instid0(VALU_DEP_1) | instskip(NEXT) | instid1(VALU_DEP_1)
	v_lshlrev_b64 v[9:10], 2, v[9:10]
	v_add_co_u32 v9, vcc_lo, s12, v9
	s_delay_alu instid0(VALU_DEP_2) | instskip(SKIP_3) | instid1(SALU_CYCLE_1)
	v_add_co_ci_u32_e32 v10, vcc_lo, s13, v10, vcc_lo
	s_waitcnt lgkmcnt(4)
	global_store_b32 v[9:10], v7, off
	s_or_b32 exec_lo, exec_lo, s1
	s_mov_b32 s1, exec_lo
	v_cmpx_gt_u32_e64 s11, v28
	s_cbranch_execnz .LBB1116_181
.LBB1116_150:
	s_or_b32 exec_lo, exec_lo, s1
	s_delay_alu instid0(SALU_CYCLE_1)
	s_mov_b32 s1, exec_lo
	v_cmpx_gt_u32_e64 s11, v27
	s_cbranch_execz .LBB1116_186
.LBB1116_151:
	s_mov_b32 s3, exec_lo
                                        ; implicit-def: $vgpr7_vgpr8
	v_cmpx_ge_u32_e64 v27, v16
	s_xor_b32 s3, exec_lo, s3
	s_cbranch_execz .LBB1116_153
; %bb.152:
	s_waitcnt lgkmcnt(4)
	v_xor_b32_e32 v7, 0xfffff9ff, v0
                                        ; implicit-def: $vgpr27
	s_delay_alu instid0(VALU_DEP_1) | instskip(SKIP_1) | instid1(VALU_DEP_2)
	v_ashrrev_i32_e32 v8, 31, v7
	v_add_co_u32 v7, vcc_lo, v18, v7
	v_add_co_ci_u32_e32 v8, vcc_lo, v19, v8, vcc_lo
.LBB1116_153:
	s_and_not1_saveexec_b32 s3, s3
	s_cbranch_execz .LBB1116_155
; %bb.154:
	s_waitcnt lgkmcnt(4)
	v_add_co_u32 v7, vcc_lo, v15, v27
	v_add_co_ci_u32_e32 v8, vcc_lo, 0, v17, vcc_lo
.LBB1116_155:
	s_or_b32 exec_lo, exec_lo, s3
	s_waitcnt lgkmcnt(4)
	s_delay_alu instid0(VALU_DEP_1) | instskip(NEXT) | instid1(VALU_DEP_1)
	v_lshlrev_b64 v[7:8], 2, v[7:8]
	v_add_co_u32 v7, vcc_lo, s12, v7
	s_delay_alu instid0(VALU_DEP_2) | instskip(SKIP_3) | instid1(SALU_CYCLE_1)
	v_add_co_ci_u32_e32 v8, vcc_lo, s13, v8, vcc_lo
	s_waitcnt lgkmcnt(3)
	global_store_b32 v[7:8], v5, off
	s_or_b32 exec_lo, exec_lo, s1
	s_mov_b32 s1, exec_lo
	v_cmpx_gt_u32_e64 s11, v26
	s_cbranch_execnz .LBB1116_187
.LBB1116_156:
	s_or_b32 exec_lo, exec_lo, s1
	s_delay_alu instid0(SALU_CYCLE_1)
	s_mov_b32 s1, exec_lo
	v_cmpx_gt_u32_e64 s11, v25
	s_cbranch_execz .LBB1116_192
.LBB1116_157:
	s_mov_b32 s3, exec_lo
                                        ; implicit-def: $vgpr5_vgpr6
	v_cmpx_ge_u32_e64 v25, v16
	s_xor_b32 s3, exec_lo, s3
	s_cbranch_execz .LBB1116_159
; %bb.158:
	s_waitcnt lgkmcnt(3)
	v_xor_b32_e32 v5, 0xfffff7ff, v0
                                        ; implicit-def: $vgpr25
	s_delay_alu instid0(VALU_DEP_1) | instskip(SKIP_1) | instid1(VALU_DEP_2)
	v_ashrrev_i32_e32 v6, 31, v5
	v_add_co_u32 v5, vcc_lo, v18, v5
	v_add_co_ci_u32_e32 v6, vcc_lo, v19, v6, vcc_lo
.LBB1116_159:
	s_and_not1_saveexec_b32 s3, s3
	s_cbranch_execz .LBB1116_161
; %bb.160:
	s_waitcnt lgkmcnt(3)
	v_add_co_u32 v5, vcc_lo, v15, v25
	v_add_co_ci_u32_e32 v6, vcc_lo, 0, v17, vcc_lo
.LBB1116_161:
	s_or_b32 exec_lo, exec_lo, s3
	s_waitcnt lgkmcnt(3)
	s_delay_alu instid0(VALU_DEP_1) | instskip(NEXT) | instid1(VALU_DEP_1)
	v_lshlrev_b64 v[5:6], 2, v[5:6]
	v_add_co_u32 v5, vcc_lo, s12, v5
	s_delay_alu instid0(VALU_DEP_2) | instskip(SKIP_3) | instid1(SALU_CYCLE_1)
	v_add_co_ci_u32_e32 v6, vcc_lo, s13, v6, vcc_lo
	s_waitcnt lgkmcnt(2)
	global_store_b32 v[5:6], v3, off
	s_or_b32 exec_lo, exec_lo, s1
	s_mov_b32 s1, exec_lo
	v_cmpx_gt_u32_e64 s11, v24
	s_cbranch_execnz .LBB1116_193
.LBB1116_162:
	s_or_b32 exec_lo, exec_lo, s1
	s_delay_alu instid0(SALU_CYCLE_1)
	s_mov_b32 s1, exec_lo
	v_cmpx_gt_u32_e64 s11, v23
	s_cbranch_execz .LBB1116_198
.LBB1116_163:
	s_mov_b32 s3, exec_lo
                                        ; implicit-def: $vgpr3_vgpr4
	v_cmpx_ge_u32_e64 v23, v16
	s_xor_b32 s3, exec_lo, s3
	s_cbranch_execz .LBB1116_165
; %bb.164:
	s_waitcnt lgkmcnt(2)
	v_xor_b32_e32 v3, 0xfffff5ff, v0
                                        ; implicit-def: $vgpr23
	s_delay_alu instid0(VALU_DEP_1) | instskip(SKIP_1) | instid1(VALU_DEP_2)
	v_ashrrev_i32_e32 v4, 31, v3
	v_add_co_u32 v3, vcc_lo, v18, v3
	v_add_co_ci_u32_e32 v4, vcc_lo, v19, v4, vcc_lo
.LBB1116_165:
	s_and_not1_saveexec_b32 s3, s3
	s_cbranch_execz .LBB1116_167
; %bb.166:
	s_waitcnt lgkmcnt(2)
	v_add_co_u32 v3, vcc_lo, v15, v23
	v_add_co_ci_u32_e32 v4, vcc_lo, 0, v17, vcc_lo
.LBB1116_167:
	s_or_b32 exec_lo, exec_lo, s3
	s_waitcnt lgkmcnt(2)
	s_delay_alu instid0(VALU_DEP_1) | instskip(NEXT) | instid1(VALU_DEP_1)
	v_lshlrev_b64 v[3:4], 2, v[3:4]
	v_add_co_u32 v3, vcc_lo, s12, v3
	s_delay_alu instid0(VALU_DEP_2) | instskip(SKIP_3) | instid1(SALU_CYCLE_1)
	v_add_co_ci_u32_e32 v4, vcc_lo, s13, v4, vcc_lo
	s_waitcnt lgkmcnt(1)
	global_store_b32 v[3:4], v1, off
	s_or_b32 exec_lo, exec_lo, s1
	s_mov_b32 s1, exec_lo
	v_cmpx_gt_u32_e64 s11, v22
	s_cbranch_execz .LBB1116_204
	s_branch .LBB1116_199
.LBB1116_168:
	s_or_b32 exec_lo, exec_lo, s1
	s_delay_alu instid0(SALU_CYCLE_1)
	s_mov_b32 s1, exec_lo
	v_cmpx_gt_u32_e64 s11, v35
	s_cbranch_execz .LBB1116_138
.LBB1116_169:
	s_mov_b32 s3, exec_lo
                                        ; implicit-def: $vgpr13_vgpr14
	v_cmpx_ge_u32_e64 v35, v16
	s_xor_b32 s3, exec_lo, s3
	s_cbranch_execz .LBB1116_171
; %bb.170:
	s_waitcnt lgkmcnt(6)
	v_xor_b32_e32 v11, 0xfffffeff, v0
                                        ; implicit-def: $vgpr35
	s_delay_alu instid0(VALU_DEP_1) | instskip(SKIP_1) | instid1(VALU_DEP_2)
	v_ashrrev_i32_e32 v14, 31, v11
	v_add_co_u32 v13, vcc_lo, v18, v11
	v_add_co_ci_u32_e32 v14, vcc_lo, v19, v14, vcc_lo
.LBB1116_171:
	s_and_not1_saveexec_b32 s3, s3
; %bb.172:
	v_add_co_u32 v13, vcc_lo, v15, v35
	v_add_co_ci_u32_e32 v14, vcc_lo, 0, v17, vcc_lo
; %bb.173:
	s_or_b32 exec_lo, exec_lo, s3
	s_delay_alu instid0(VALU_DEP_1) | instskip(NEXT) | instid1(VALU_DEP_1)
	v_lshlrev_b64 v[13:14], 2, v[13:14]
	v_add_co_u32 v13, vcc_lo, s12, v13
	s_delay_alu instid0(VALU_DEP_2) | instskip(SKIP_3) | instid1(SALU_CYCLE_1)
	v_add_co_ci_u32_e32 v14, vcc_lo, s13, v14, vcc_lo
	s_waitcnt lgkmcnt(6)
	global_store_b32 v[13:14], v12, off
	s_or_b32 exec_lo, exec_lo, s1
	s_mov_b32 s1, exec_lo
	v_cmpx_gt_u32_e64 s11, v31
	s_cbranch_execnz .LBB1116_139
.LBB1116_174:
	s_or_b32 exec_lo, exec_lo, s1
	s_delay_alu instid0(SALU_CYCLE_1)
	s_mov_b32 s1, exec_lo
	v_cmpx_gt_u32_e64 s11, v30
	s_cbranch_execz .LBB1116_144
.LBB1116_175:
	s_mov_b32 s3, exec_lo
                                        ; implicit-def: $vgpr11_vgpr12
	v_cmpx_ge_u32_e64 v30, v16
	s_xor_b32 s3, exec_lo, s3
	s_cbranch_execz .LBB1116_177
; %bb.176:
	s_waitcnt lgkmcnt(5)
	v_xor_b32_e32 v9, 0xfffffcff, v0
                                        ; implicit-def: $vgpr30
	s_delay_alu instid0(VALU_DEP_1) | instskip(SKIP_1) | instid1(VALU_DEP_2)
	v_ashrrev_i32_e32 v12, 31, v9
	v_add_co_u32 v11, vcc_lo, v18, v9
	v_add_co_ci_u32_e32 v12, vcc_lo, v19, v12, vcc_lo
.LBB1116_177:
	s_and_not1_saveexec_b32 s3, s3
	s_cbranch_execz .LBB1116_179
; %bb.178:
	s_waitcnt lgkmcnt(6)
	v_add_co_u32 v11, vcc_lo, v15, v30
	v_add_co_ci_u32_e32 v12, vcc_lo, 0, v17, vcc_lo
.LBB1116_179:
	s_or_b32 exec_lo, exec_lo, s3
	s_waitcnt lgkmcnt(6)
	s_delay_alu instid0(VALU_DEP_1) | instskip(NEXT) | instid1(VALU_DEP_1)
	v_lshlrev_b64 v[11:12], 2, v[11:12]
	v_add_co_u32 v11, vcc_lo, s12, v11
	s_delay_alu instid0(VALU_DEP_2) | instskip(SKIP_3) | instid1(SALU_CYCLE_1)
	v_add_co_ci_u32_e32 v12, vcc_lo, s13, v12, vcc_lo
	s_waitcnt lgkmcnt(5)
	global_store_b32 v[11:12], v10, off
	s_or_b32 exec_lo, exec_lo, s1
	s_mov_b32 s1, exec_lo
	v_cmpx_gt_u32_e64 s11, v29
	s_cbranch_execnz .LBB1116_145
.LBB1116_180:
	s_or_b32 exec_lo, exec_lo, s1
	s_delay_alu instid0(SALU_CYCLE_1)
	s_mov_b32 s1, exec_lo
	v_cmpx_gt_u32_e64 s11, v28
	s_cbranch_execz .LBB1116_150
.LBB1116_181:
	s_mov_b32 s3, exec_lo
                                        ; implicit-def: $vgpr9_vgpr10
	v_cmpx_ge_u32_e64 v28, v16
	s_xor_b32 s3, exec_lo, s3
	s_cbranch_execz .LBB1116_183
; %bb.182:
	s_waitcnt lgkmcnt(4)
	v_xor_b32_e32 v7, 0xfffffaff, v0
                                        ; implicit-def: $vgpr28
	s_delay_alu instid0(VALU_DEP_1) | instskip(SKIP_1) | instid1(VALU_DEP_2)
	v_ashrrev_i32_e32 v10, 31, v7
	v_add_co_u32 v9, vcc_lo, v18, v7
	v_add_co_ci_u32_e32 v10, vcc_lo, v19, v10, vcc_lo
.LBB1116_183:
	s_and_not1_saveexec_b32 s3, s3
	s_cbranch_execz .LBB1116_185
; %bb.184:
	s_waitcnt lgkmcnt(5)
	v_add_co_u32 v9, vcc_lo, v15, v28
	v_add_co_ci_u32_e32 v10, vcc_lo, 0, v17, vcc_lo
.LBB1116_185:
	s_or_b32 exec_lo, exec_lo, s3
	s_waitcnt lgkmcnt(5)
	s_delay_alu instid0(VALU_DEP_1) | instskip(NEXT) | instid1(VALU_DEP_1)
	v_lshlrev_b64 v[9:10], 2, v[9:10]
	v_add_co_u32 v9, vcc_lo, s12, v9
	s_delay_alu instid0(VALU_DEP_2) | instskip(SKIP_3) | instid1(SALU_CYCLE_1)
	v_add_co_ci_u32_e32 v10, vcc_lo, s13, v10, vcc_lo
	s_waitcnt lgkmcnt(4)
	global_store_b32 v[9:10], v8, off
	s_or_b32 exec_lo, exec_lo, s1
	s_mov_b32 s1, exec_lo
	v_cmpx_gt_u32_e64 s11, v27
	s_cbranch_execnz .LBB1116_151
.LBB1116_186:
	s_or_b32 exec_lo, exec_lo, s1
	s_delay_alu instid0(SALU_CYCLE_1)
	s_mov_b32 s1, exec_lo
	v_cmpx_gt_u32_e64 s11, v26
	s_cbranch_execz .LBB1116_156
.LBB1116_187:
	s_mov_b32 s3, exec_lo
                                        ; implicit-def: $vgpr7_vgpr8
	v_cmpx_ge_u32_e64 v26, v16
	s_xor_b32 s3, exec_lo, s3
	s_cbranch_execz .LBB1116_189
; %bb.188:
	s_waitcnt lgkmcnt(3)
	v_xor_b32_e32 v5, 0xfffff8ff, v0
                                        ; implicit-def: $vgpr26
	s_delay_alu instid0(VALU_DEP_1) | instskip(SKIP_1) | instid1(VALU_DEP_2)
	v_ashrrev_i32_e32 v8, 31, v5
	v_add_co_u32 v7, vcc_lo, v18, v5
	v_add_co_ci_u32_e32 v8, vcc_lo, v19, v8, vcc_lo
.LBB1116_189:
	s_and_not1_saveexec_b32 s3, s3
	s_cbranch_execz .LBB1116_191
; %bb.190:
	s_waitcnt lgkmcnt(4)
	v_add_co_u32 v7, vcc_lo, v15, v26
	v_add_co_ci_u32_e32 v8, vcc_lo, 0, v17, vcc_lo
.LBB1116_191:
	s_or_b32 exec_lo, exec_lo, s3
	s_waitcnt lgkmcnt(4)
	s_delay_alu instid0(VALU_DEP_1) | instskip(NEXT) | instid1(VALU_DEP_1)
	v_lshlrev_b64 v[7:8], 2, v[7:8]
	v_add_co_u32 v7, vcc_lo, s12, v7
	s_delay_alu instid0(VALU_DEP_2) | instskip(SKIP_3) | instid1(SALU_CYCLE_1)
	v_add_co_ci_u32_e32 v8, vcc_lo, s13, v8, vcc_lo
	s_waitcnt lgkmcnt(3)
	global_store_b32 v[7:8], v6, off
	s_or_b32 exec_lo, exec_lo, s1
	s_mov_b32 s1, exec_lo
	v_cmpx_gt_u32_e64 s11, v25
	s_cbranch_execnz .LBB1116_157
.LBB1116_192:
	s_or_b32 exec_lo, exec_lo, s1
	s_delay_alu instid0(SALU_CYCLE_1)
	s_mov_b32 s1, exec_lo
	v_cmpx_gt_u32_e64 s11, v24
	s_cbranch_execz .LBB1116_162
.LBB1116_193:
	s_mov_b32 s3, exec_lo
                                        ; implicit-def: $vgpr5_vgpr6
	v_cmpx_ge_u32_e64 v24, v16
	s_xor_b32 s3, exec_lo, s3
	s_cbranch_execz .LBB1116_195
; %bb.194:
	s_waitcnt lgkmcnt(2)
	v_xor_b32_e32 v3, 0xfffff6ff, v0
                                        ; implicit-def: $vgpr24
	s_delay_alu instid0(VALU_DEP_1) | instskip(SKIP_1) | instid1(VALU_DEP_2)
	v_ashrrev_i32_e32 v6, 31, v3
	v_add_co_u32 v5, vcc_lo, v18, v3
	v_add_co_ci_u32_e32 v6, vcc_lo, v19, v6, vcc_lo
.LBB1116_195:
	s_and_not1_saveexec_b32 s3, s3
	s_cbranch_execz .LBB1116_197
; %bb.196:
	s_waitcnt lgkmcnt(3)
	v_add_co_u32 v5, vcc_lo, v15, v24
	v_add_co_ci_u32_e32 v6, vcc_lo, 0, v17, vcc_lo
.LBB1116_197:
	s_or_b32 exec_lo, exec_lo, s3
	s_waitcnt lgkmcnt(3)
	s_delay_alu instid0(VALU_DEP_1) | instskip(NEXT) | instid1(VALU_DEP_1)
	v_lshlrev_b64 v[5:6], 2, v[5:6]
	v_add_co_u32 v5, vcc_lo, s12, v5
	s_delay_alu instid0(VALU_DEP_2) | instskip(SKIP_3) | instid1(SALU_CYCLE_1)
	v_add_co_ci_u32_e32 v6, vcc_lo, s13, v6, vcc_lo
	s_waitcnt lgkmcnt(2)
	global_store_b32 v[5:6], v4, off
	s_or_b32 exec_lo, exec_lo, s1
	s_mov_b32 s1, exec_lo
	v_cmpx_gt_u32_e64 s11, v23
	s_cbranch_execnz .LBB1116_163
.LBB1116_198:
	s_or_b32 exec_lo, exec_lo, s1
	s_delay_alu instid0(SALU_CYCLE_1)
	s_mov_b32 s1, exec_lo
	v_cmpx_gt_u32_e64 s11, v22
	s_cbranch_execz .LBB1116_204
.LBB1116_199:
	s_mov_b32 s3, exec_lo
                                        ; implicit-def: $vgpr3_vgpr4
	v_cmpx_ge_u32_e64 v22, v16
	s_xor_b32 s3, exec_lo, s3
	s_cbranch_execz .LBB1116_201
; %bb.200:
	s_waitcnt lgkmcnt(1)
	v_xor_b32_e32 v1, 0xfffff4ff, v0
                                        ; implicit-def: $vgpr22
	s_delay_alu instid0(VALU_DEP_1) | instskip(SKIP_1) | instid1(VALU_DEP_2)
	v_ashrrev_i32_e32 v4, 31, v1
	v_add_co_u32 v3, vcc_lo, v18, v1
	v_add_co_ci_u32_e32 v4, vcc_lo, v19, v4, vcc_lo
.LBB1116_201:
	s_and_not1_saveexec_b32 s3, s3
	s_cbranch_execz .LBB1116_203
; %bb.202:
	s_waitcnt lgkmcnt(2)
	v_add_co_u32 v3, vcc_lo, v15, v22
	v_add_co_ci_u32_e32 v4, vcc_lo, 0, v17, vcc_lo
.LBB1116_203:
	s_or_b32 exec_lo, exec_lo, s3
	s_waitcnt lgkmcnt(2)
	s_delay_alu instid0(VALU_DEP_1) | instskip(NEXT) | instid1(VALU_DEP_1)
	v_lshlrev_b64 v[3:4], 2, v[3:4]
	v_add_co_u32 v3, vcc_lo, s12, v3
	s_delay_alu instid0(VALU_DEP_2)
	v_add_co_ci_u32_e32 v4, vcc_lo, s13, v4, vcc_lo
	s_waitcnt lgkmcnt(1)
	global_store_b32 v[3:4], v2, off
.LBB1116_204:
	s_or_b32 exec_lo, exec_lo, s1
	s_delay_alu instid0(SALU_CYCLE_1)
	s_mov_b32 s1, exec_lo
                                        ; implicit-def: $vgpr13_vgpr14
	v_cmpx_gt_u32_e64 s11, v21
	s_cbranch_execz .LBB1116_210
; %bb.205:
	s_mov_b32 s3, exec_lo
                                        ; implicit-def: $vgpr13_vgpr14
	v_cmpx_ge_u32_e64 v21, v16
	s_xor_b32 s3, exec_lo, s3
	s_cbranch_execz .LBB1116_207
; %bb.206:
	v_xor_b32_e32 v0, 0xfffff3ff, v0
                                        ; implicit-def: $vgpr21
	s_waitcnt lgkmcnt(1)
	s_delay_alu instid0(VALU_DEP_1) | instskip(SKIP_1) | instid1(VALU_DEP_2)
	v_ashrrev_i32_e32 v1, 31, v0
	v_add_co_u32 v13, vcc_lo, v18, v0
	v_add_co_ci_u32_e32 v14, vcc_lo, v19, v1, vcc_lo
.LBB1116_207:
	s_and_not1_saveexec_b32 s3, s3
; %bb.208:
	v_add_co_u32 v13, vcc_lo, v15, v21
	v_add_co_ci_u32_e32 v14, vcc_lo, 0, v17, vcc_lo
; %bb.209:
	s_or_b32 exec_lo, exec_lo, s3
	s_delay_alu instid0(SALU_CYCLE_1)
	s_or_b32 s0, s0, exec_lo
.LBB1116_210:
	s_or_b32 exec_lo, exec_lo, s1
	s_and_saveexec_b32 s1, s0
	s_cbranch_execnz .LBB1116_129
.LBB1116_211:
	s_or_b32 exec_lo, exec_lo, s1
	s_and_b32 s0, s2, s10
	s_delay_alu instid0(SALU_CYCLE_1)
	s_and_saveexec_b32 s1, s0
	s_cbranch_execz .LBB1116_130
.LBB1116_212:
	v_add_co_u32 v0, vcc_lo, v15, v16
	s_waitcnt lgkmcnt(1)
	v_mov_b32_e32 v2, 0
	v_add_co_ci_u32_e32 v1, vcc_lo, 0, v17, vcc_lo
	global_store_b64 v2, v[0:1], s[8:9]
	s_nop 0
	s_sendmsg sendmsg(MSG_DEALLOC_VGPRS)
	s_endpgm
	.section	.rodata,"a",@progbits
	.p2align	6, 0x0
	.amdhsa_kernel _ZN7rocprim17ROCPRIM_400000_NS6detail17trampoline_kernelINS0_13select_configILj256ELj13ELNS0_17block_load_methodE3ELS4_3ELS4_3ELNS0_20block_scan_algorithmE0ELj4294967295EEENS1_25partition_config_selectorILNS1_17partition_subalgoE3EjNS0_10empty_typeEbEEZZNS1_14partition_implILS8_3ELb0ES6_jNS0_17counting_iteratorIjlEEPS9_SE_NS0_5tupleIJPjSE_EEENSF_IJSE_SE_EEES9_SG_JZNS1_25segmented_radix_sort_implINS0_14default_configELb1EPKdPdPKlPlN2at6native12_GLOBAL__N_18offset_tEEE10hipError_tPvRmT1_PNSt15iterator_traitsISY_E10value_typeET2_T3_PNSZ_IS14_E10value_typeET4_jRbjT5_S1A_jjP12ihipStream_tbEUljE_EEESV_SW_SX_S14_S18_S1A_T6_T7_T9_mT8_S1C_bDpT10_ENKUlT_T0_E_clISt17integral_constantIbLb0EES1O_IbLb1EEEEDaS1K_S1L_EUlS1K_E_NS1_11comp_targetILNS1_3genE9ELNS1_11target_archE1100ELNS1_3gpuE3ELNS1_3repE0EEENS1_30default_config_static_selectorELNS0_4arch9wavefront6targetE0EEEvSY_
		.amdhsa_group_segment_fixed_size 13324
		.amdhsa_private_segment_fixed_size 0
		.amdhsa_kernarg_size 152
		.amdhsa_user_sgpr_count 15
		.amdhsa_user_sgpr_dispatch_ptr 0
		.amdhsa_user_sgpr_queue_ptr 0
		.amdhsa_user_sgpr_kernarg_segment_ptr 1
		.amdhsa_user_sgpr_dispatch_id 0
		.amdhsa_user_sgpr_private_segment_size 0
		.amdhsa_wavefront_size32 1
		.amdhsa_uses_dynamic_stack 0
		.amdhsa_enable_private_segment 0
		.amdhsa_system_sgpr_workgroup_id_x 1
		.amdhsa_system_sgpr_workgroup_id_y 0
		.amdhsa_system_sgpr_workgroup_id_z 0
		.amdhsa_system_sgpr_workgroup_info 0
		.amdhsa_system_vgpr_workitem_id 0
		.amdhsa_next_free_vgpr 60
		.amdhsa_next_free_sgpr 26
		.amdhsa_reserve_vcc 1
		.amdhsa_float_round_mode_32 0
		.amdhsa_float_round_mode_16_64 0
		.amdhsa_float_denorm_mode_32 3
		.amdhsa_float_denorm_mode_16_64 3
		.amdhsa_dx10_clamp 1
		.amdhsa_ieee_mode 1
		.amdhsa_fp16_overflow 0
		.amdhsa_workgroup_processor_mode 1
		.amdhsa_memory_ordered 1
		.amdhsa_forward_progress 0
		.amdhsa_shared_vgpr_count 0
		.amdhsa_exception_fp_ieee_invalid_op 0
		.amdhsa_exception_fp_denorm_src 0
		.amdhsa_exception_fp_ieee_div_zero 0
		.amdhsa_exception_fp_ieee_overflow 0
		.amdhsa_exception_fp_ieee_underflow 0
		.amdhsa_exception_fp_ieee_inexact 0
		.amdhsa_exception_int_div_zero 0
	.end_amdhsa_kernel
	.section	.text._ZN7rocprim17ROCPRIM_400000_NS6detail17trampoline_kernelINS0_13select_configILj256ELj13ELNS0_17block_load_methodE3ELS4_3ELS4_3ELNS0_20block_scan_algorithmE0ELj4294967295EEENS1_25partition_config_selectorILNS1_17partition_subalgoE3EjNS0_10empty_typeEbEEZZNS1_14partition_implILS8_3ELb0ES6_jNS0_17counting_iteratorIjlEEPS9_SE_NS0_5tupleIJPjSE_EEENSF_IJSE_SE_EEES9_SG_JZNS1_25segmented_radix_sort_implINS0_14default_configELb1EPKdPdPKlPlN2at6native12_GLOBAL__N_18offset_tEEE10hipError_tPvRmT1_PNSt15iterator_traitsISY_E10value_typeET2_T3_PNSZ_IS14_E10value_typeET4_jRbjT5_S1A_jjP12ihipStream_tbEUljE_EEESV_SW_SX_S14_S18_S1A_T6_T7_T9_mT8_S1C_bDpT10_ENKUlT_T0_E_clISt17integral_constantIbLb0EES1O_IbLb1EEEEDaS1K_S1L_EUlS1K_E_NS1_11comp_targetILNS1_3genE9ELNS1_11target_archE1100ELNS1_3gpuE3ELNS1_3repE0EEENS1_30default_config_static_selectorELNS0_4arch9wavefront6targetE0EEEvSY_,"axG",@progbits,_ZN7rocprim17ROCPRIM_400000_NS6detail17trampoline_kernelINS0_13select_configILj256ELj13ELNS0_17block_load_methodE3ELS4_3ELS4_3ELNS0_20block_scan_algorithmE0ELj4294967295EEENS1_25partition_config_selectorILNS1_17partition_subalgoE3EjNS0_10empty_typeEbEEZZNS1_14partition_implILS8_3ELb0ES6_jNS0_17counting_iteratorIjlEEPS9_SE_NS0_5tupleIJPjSE_EEENSF_IJSE_SE_EEES9_SG_JZNS1_25segmented_radix_sort_implINS0_14default_configELb1EPKdPdPKlPlN2at6native12_GLOBAL__N_18offset_tEEE10hipError_tPvRmT1_PNSt15iterator_traitsISY_E10value_typeET2_T3_PNSZ_IS14_E10value_typeET4_jRbjT5_S1A_jjP12ihipStream_tbEUljE_EEESV_SW_SX_S14_S18_S1A_T6_T7_T9_mT8_S1C_bDpT10_ENKUlT_T0_E_clISt17integral_constantIbLb0EES1O_IbLb1EEEEDaS1K_S1L_EUlS1K_E_NS1_11comp_targetILNS1_3genE9ELNS1_11target_archE1100ELNS1_3gpuE3ELNS1_3repE0EEENS1_30default_config_static_selectorELNS0_4arch9wavefront6targetE0EEEvSY_,comdat
.Lfunc_end1116:
	.size	_ZN7rocprim17ROCPRIM_400000_NS6detail17trampoline_kernelINS0_13select_configILj256ELj13ELNS0_17block_load_methodE3ELS4_3ELS4_3ELNS0_20block_scan_algorithmE0ELj4294967295EEENS1_25partition_config_selectorILNS1_17partition_subalgoE3EjNS0_10empty_typeEbEEZZNS1_14partition_implILS8_3ELb0ES6_jNS0_17counting_iteratorIjlEEPS9_SE_NS0_5tupleIJPjSE_EEENSF_IJSE_SE_EEES9_SG_JZNS1_25segmented_radix_sort_implINS0_14default_configELb1EPKdPdPKlPlN2at6native12_GLOBAL__N_18offset_tEEE10hipError_tPvRmT1_PNSt15iterator_traitsISY_E10value_typeET2_T3_PNSZ_IS14_E10value_typeET4_jRbjT5_S1A_jjP12ihipStream_tbEUljE_EEESV_SW_SX_S14_S18_S1A_T6_T7_T9_mT8_S1C_bDpT10_ENKUlT_T0_E_clISt17integral_constantIbLb0EES1O_IbLb1EEEEDaS1K_S1L_EUlS1K_E_NS1_11comp_targetILNS1_3genE9ELNS1_11target_archE1100ELNS1_3gpuE3ELNS1_3repE0EEENS1_30default_config_static_selectorELNS0_4arch9wavefront6targetE0EEEvSY_, .Lfunc_end1116-_ZN7rocprim17ROCPRIM_400000_NS6detail17trampoline_kernelINS0_13select_configILj256ELj13ELNS0_17block_load_methodE3ELS4_3ELS4_3ELNS0_20block_scan_algorithmE0ELj4294967295EEENS1_25partition_config_selectorILNS1_17partition_subalgoE3EjNS0_10empty_typeEbEEZZNS1_14partition_implILS8_3ELb0ES6_jNS0_17counting_iteratorIjlEEPS9_SE_NS0_5tupleIJPjSE_EEENSF_IJSE_SE_EEES9_SG_JZNS1_25segmented_radix_sort_implINS0_14default_configELb1EPKdPdPKlPlN2at6native12_GLOBAL__N_18offset_tEEE10hipError_tPvRmT1_PNSt15iterator_traitsISY_E10value_typeET2_T3_PNSZ_IS14_E10value_typeET4_jRbjT5_S1A_jjP12ihipStream_tbEUljE_EEESV_SW_SX_S14_S18_S1A_T6_T7_T9_mT8_S1C_bDpT10_ENKUlT_T0_E_clISt17integral_constantIbLb0EES1O_IbLb1EEEEDaS1K_S1L_EUlS1K_E_NS1_11comp_targetILNS1_3genE9ELNS1_11target_archE1100ELNS1_3gpuE3ELNS1_3repE0EEENS1_30default_config_static_selectorELNS0_4arch9wavefront6targetE0EEEvSY_
                                        ; -- End function
	.section	.AMDGPU.csdata,"",@progbits
; Kernel info:
; codeLenInByte = 9040
; NumSgprs: 28
; NumVgprs: 60
; ScratchSize: 0
; MemoryBound: 0
; FloatMode: 240
; IeeeMode: 1
; LDSByteSize: 13324 bytes/workgroup (compile time only)
; SGPRBlocks: 3
; VGPRBlocks: 7
; NumSGPRsForWavesPerEU: 28
; NumVGPRsForWavesPerEU: 60
; Occupancy: 16
; WaveLimiterHint : 0
; COMPUTE_PGM_RSRC2:SCRATCH_EN: 0
; COMPUTE_PGM_RSRC2:USER_SGPR: 15
; COMPUTE_PGM_RSRC2:TRAP_HANDLER: 0
; COMPUTE_PGM_RSRC2:TGID_X_EN: 1
; COMPUTE_PGM_RSRC2:TGID_Y_EN: 0
; COMPUTE_PGM_RSRC2:TGID_Z_EN: 0
; COMPUTE_PGM_RSRC2:TIDIG_COMP_CNT: 0
	.section	.text._ZN7rocprim17ROCPRIM_400000_NS6detail17trampoline_kernelINS0_13select_configILj256ELj13ELNS0_17block_load_methodE3ELS4_3ELS4_3ELNS0_20block_scan_algorithmE0ELj4294967295EEENS1_25partition_config_selectorILNS1_17partition_subalgoE3EjNS0_10empty_typeEbEEZZNS1_14partition_implILS8_3ELb0ES6_jNS0_17counting_iteratorIjlEEPS9_SE_NS0_5tupleIJPjSE_EEENSF_IJSE_SE_EEES9_SG_JZNS1_25segmented_radix_sort_implINS0_14default_configELb1EPKdPdPKlPlN2at6native12_GLOBAL__N_18offset_tEEE10hipError_tPvRmT1_PNSt15iterator_traitsISY_E10value_typeET2_T3_PNSZ_IS14_E10value_typeET4_jRbjT5_S1A_jjP12ihipStream_tbEUljE_EEESV_SW_SX_S14_S18_S1A_T6_T7_T9_mT8_S1C_bDpT10_ENKUlT_T0_E_clISt17integral_constantIbLb0EES1O_IbLb1EEEEDaS1K_S1L_EUlS1K_E_NS1_11comp_targetILNS1_3genE8ELNS1_11target_archE1030ELNS1_3gpuE2ELNS1_3repE0EEENS1_30default_config_static_selectorELNS0_4arch9wavefront6targetE0EEEvSY_,"axG",@progbits,_ZN7rocprim17ROCPRIM_400000_NS6detail17trampoline_kernelINS0_13select_configILj256ELj13ELNS0_17block_load_methodE3ELS4_3ELS4_3ELNS0_20block_scan_algorithmE0ELj4294967295EEENS1_25partition_config_selectorILNS1_17partition_subalgoE3EjNS0_10empty_typeEbEEZZNS1_14partition_implILS8_3ELb0ES6_jNS0_17counting_iteratorIjlEEPS9_SE_NS0_5tupleIJPjSE_EEENSF_IJSE_SE_EEES9_SG_JZNS1_25segmented_radix_sort_implINS0_14default_configELb1EPKdPdPKlPlN2at6native12_GLOBAL__N_18offset_tEEE10hipError_tPvRmT1_PNSt15iterator_traitsISY_E10value_typeET2_T3_PNSZ_IS14_E10value_typeET4_jRbjT5_S1A_jjP12ihipStream_tbEUljE_EEESV_SW_SX_S14_S18_S1A_T6_T7_T9_mT8_S1C_bDpT10_ENKUlT_T0_E_clISt17integral_constantIbLb0EES1O_IbLb1EEEEDaS1K_S1L_EUlS1K_E_NS1_11comp_targetILNS1_3genE8ELNS1_11target_archE1030ELNS1_3gpuE2ELNS1_3repE0EEENS1_30default_config_static_selectorELNS0_4arch9wavefront6targetE0EEEvSY_,comdat
	.globl	_ZN7rocprim17ROCPRIM_400000_NS6detail17trampoline_kernelINS0_13select_configILj256ELj13ELNS0_17block_load_methodE3ELS4_3ELS4_3ELNS0_20block_scan_algorithmE0ELj4294967295EEENS1_25partition_config_selectorILNS1_17partition_subalgoE3EjNS0_10empty_typeEbEEZZNS1_14partition_implILS8_3ELb0ES6_jNS0_17counting_iteratorIjlEEPS9_SE_NS0_5tupleIJPjSE_EEENSF_IJSE_SE_EEES9_SG_JZNS1_25segmented_radix_sort_implINS0_14default_configELb1EPKdPdPKlPlN2at6native12_GLOBAL__N_18offset_tEEE10hipError_tPvRmT1_PNSt15iterator_traitsISY_E10value_typeET2_T3_PNSZ_IS14_E10value_typeET4_jRbjT5_S1A_jjP12ihipStream_tbEUljE_EEESV_SW_SX_S14_S18_S1A_T6_T7_T9_mT8_S1C_bDpT10_ENKUlT_T0_E_clISt17integral_constantIbLb0EES1O_IbLb1EEEEDaS1K_S1L_EUlS1K_E_NS1_11comp_targetILNS1_3genE8ELNS1_11target_archE1030ELNS1_3gpuE2ELNS1_3repE0EEENS1_30default_config_static_selectorELNS0_4arch9wavefront6targetE0EEEvSY_ ; -- Begin function _ZN7rocprim17ROCPRIM_400000_NS6detail17trampoline_kernelINS0_13select_configILj256ELj13ELNS0_17block_load_methodE3ELS4_3ELS4_3ELNS0_20block_scan_algorithmE0ELj4294967295EEENS1_25partition_config_selectorILNS1_17partition_subalgoE3EjNS0_10empty_typeEbEEZZNS1_14partition_implILS8_3ELb0ES6_jNS0_17counting_iteratorIjlEEPS9_SE_NS0_5tupleIJPjSE_EEENSF_IJSE_SE_EEES9_SG_JZNS1_25segmented_radix_sort_implINS0_14default_configELb1EPKdPdPKlPlN2at6native12_GLOBAL__N_18offset_tEEE10hipError_tPvRmT1_PNSt15iterator_traitsISY_E10value_typeET2_T3_PNSZ_IS14_E10value_typeET4_jRbjT5_S1A_jjP12ihipStream_tbEUljE_EEESV_SW_SX_S14_S18_S1A_T6_T7_T9_mT8_S1C_bDpT10_ENKUlT_T0_E_clISt17integral_constantIbLb0EES1O_IbLb1EEEEDaS1K_S1L_EUlS1K_E_NS1_11comp_targetILNS1_3genE8ELNS1_11target_archE1030ELNS1_3gpuE2ELNS1_3repE0EEENS1_30default_config_static_selectorELNS0_4arch9wavefront6targetE0EEEvSY_
	.p2align	8
	.type	_ZN7rocprim17ROCPRIM_400000_NS6detail17trampoline_kernelINS0_13select_configILj256ELj13ELNS0_17block_load_methodE3ELS4_3ELS4_3ELNS0_20block_scan_algorithmE0ELj4294967295EEENS1_25partition_config_selectorILNS1_17partition_subalgoE3EjNS0_10empty_typeEbEEZZNS1_14partition_implILS8_3ELb0ES6_jNS0_17counting_iteratorIjlEEPS9_SE_NS0_5tupleIJPjSE_EEENSF_IJSE_SE_EEES9_SG_JZNS1_25segmented_radix_sort_implINS0_14default_configELb1EPKdPdPKlPlN2at6native12_GLOBAL__N_18offset_tEEE10hipError_tPvRmT1_PNSt15iterator_traitsISY_E10value_typeET2_T3_PNSZ_IS14_E10value_typeET4_jRbjT5_S1A_jjP12ihipStream_tbEUljE_EEESV_SW_SX_S14_S18_S1A_T6_T7_T9_mT8_S1C_bDpT10_ENKUlT_T0_E_clISt17integral_constantIbLb0EES1O_IbLb1EEEEDaS1K_S1L_EUlS1K_E_NS1_11comp_targetILNS1_3genE8ELNS1_11target_archE1030ELNS1_3gpuE2ELNS1_3repE0EEENS1_30default_config_static_selectorELNS0_4arch9wavefront6targetE0EEEvSY_,@function
_ZN7rocprim17ROCPRIM_400000_NS6detail17trampoline_kernelINS0_13select_configILj256ELj13ELNS0_17block_load_methodE3ELS4_3ELS4_3ELNS0_20block_scan_algorithmE0ELj4294967295EEENS1_25partition_config_selectorILNS1_17partition_subalgoE3EjNS0_10empty_typeEbEEZZNS1_14partition_implILS8_3ELb0ES6_jNS0_17counting_iteratorIjlEEPS9_SE_NS0_5tupleIJPjSE_EEENSF_IJSE_SE_EEES9_SG_JZNS1_25segmented_radix_sort_implINS0_14default_configELb1EPKdPdPKlPlN2at6native12_GLOBAL__N_18offset_tEEE10hipError_tPvRmT1_PNSt15iterator_traitsISY_E10value_typeET2_T3_PNSZ_IS14_E10value_typeET4_jRbjT5_S1A_jjP12ihipStream_tbEUljE_EEESV_SW_SX_S14_S18_S1A_T6_T7_T9_mT8_S1C_bDpT10_ENKUlT_T0_E_clISt17integral_constantIbLb0EES1O_IbLb1EEEEDaS1K_S1L_EUlS1K_E_NS1_11comp_targetILNS1_3genE8ELNS1_11target_archE1030ELNS1_3gpuE2ELNS1_3repE0EEENS1_30default_config_static_selectorELNS0_4arch9wavefront6targetE0EEEvSY_: ; @_ZN7rocprim17ROCPRIM_400000_NS6detail17trampoline_kernelINS0_13select_configILj256ELj13ELNS0_17block_load_methodE3ELS4_3ELS4_3ELNS0_20block_scan_algorithmE0ELj4294967295EEENS1_25partition_config_selectorILNS1_17partition_subalgoE3EjNS0_10empty_typeEbEEZZNS1_14partition_implILS8_3ELb0ES6_jNS0_17counting_iteratorIjlEEPS9_SE_NS0_5tupleIJPjSE_EEENSF_IJSE_SE_EEES9_SG_JZNS1_25segmented_radix_sort_implINS0_14default_configELb1EPKdPdPKlPlN2at6native12_GLOBAL__N_18offset_tEEE10hipError_tPvRmT1_PNSt15iterator_traitsISY_E10value_typeET2_T3_PNSZ_IS14_E10value_typeET4_jRbjT5_S1A_jjP12ihipStream_tbEUljE_EEESV_SW_SX_S14_S18_S1A_T6_T7_T9_mT8_S1C_bDpT10_ENKUlT_T0_E_clISt17integral_constantIbLb0EES1O_IbLb1EEEEDaS1K_S1L_EUlS1K_E_NS1_11comp_targetILNS1_3genE8ELNS1_11target_archE1030ELNS1_3gpuE2ELNS1_3repE0EEENS1_30default_config_static_selectorELNS0_4arch9wavefront6targetE0EEEvSY_
; %bb.0:
	.section	.rodata,"a",@progbits
	.p2align	6, 0x0
	.amdhsa_kernel _ZN7rocprim17ROCPRIM_400000_NS6detail17trampoline_kernelINS0_13select_configILj256ELj13ELNS0_17block_load_methodE3ELS4_3ELS4_3ELNS0_20block_scan_algorithmE0ELj4294967295EEENS1_25partition_config_selectorILNS1_17partition_subalgoE3EjNS0_10empty_typeEbEEZZNS1_14partition_implILS8_3ELb0ES6_jNS0_17counting_iteratorIjlEEPS9_SE_NS0_5tupleIJPjSE_EEENSF_IJSE_SE_EEES9_SG_JZNS1_25segmented_radix_sort_implINS0_14default_configELb1EPKdPdPKlPlN2at6native12_GLOBAL__N_18offset_tEEE10hipError_tPvRmT1_PNSt15iterator_traitsISY_E10value_typeET2_T3_PNSZ_IS14_E10value_typeET4_jRbjT5_S1A_jjP12ihipStream_tbEUljE_EEESV_SW_SX_S14_S18_S1A_T6_T7_T9_mT8_S1C_bDpT10_ENKUlT_T0_E_clISt17integral_constantIbLb0EES1O_IbLb1EEEEDaS1K_S1L_EUlS1K_E_NS1_11comp_targetILNS1_3genE8ELNS1_11target_archE1030ELNS1_3gpuE2ELNS1_3repE0EEENS1_30default_config_static_selectorELNS0_4arch9wavefront6targetE0EEEvSY_
		.amdhsa_group_segment_fixed_size 0
		.amdhsa_private_segment_fixed_size 0
		.amdhsa_kernarg_size 152
		.amdhsa_user_sgpr_count 15
		.amdhsa_user_sgpr_dispatch_ptr 0
		.amdhsa_user_sgpr_queue_ptr 0
		.amdhsa_user_sgpr_kernarg_segment_ptr 1
		.amdhsa_user_sgpr_dispatch_id 0
		.amdhsa_user_sgpr_private_segment_size 0
		.amdhsa_wavefront_size32 1
		.amdhsa_uses_dynamic_stack 0
		.amdhsa_enable_private_segment 0
		.amdhsa_system_sgpr_workgroup_id_x 1
		.amdhsa_system_sgpr_workgroup_id_y 0
		.amdhsa_system_sgpr_workgroup_id_z 0
		.amdhsa_system_sgpr_workgroup_info 0
		.amdhsa_system_vgpr_workitem_id 0
		.amdhsa_next_free_vgpr 1
		.amdhsa_next_free_sgpr 1
		.amdhsa_reserve_vcc 0
		.amdhsa_float_round_mode_32 0
		.amdhsa_float_round_mode_16_64 0
		.amdhsa_float_denorm_mode_32 3
		.amdhsa_float_denorm_mode_16_64 3
		.amdhsa_dx10_clamp 1
		.amdhsa_ieee_mode 1
		.amdhsa_fp16_overflow 0
		.amdhsa_workgroup_processor_mode 1
		.amdhsa_memory_ordered 1
		.amdhsa_forward_progress 0
		.amdhsa_shared_vgpr_count 0
		.amdhsa_exception_fp_ieee_invalid_op 0
		.amdhsa_exception_fp_denorm_src 0
		.amdhsa_exception_fp_ieee_div_zero 0
		.amdhsa_exception_fp_ieee_overflow 0
		.amdhsa_exception_fp_ieee_underflow 0
		.amdhsa_exception_fp_ieee_inexact 0
		.amdhsa_exception_int_div_zero 0
	.end_amdhsa_kernel
	.section	.text._ZN7rocprim17ROCPRIM_400000_NS6detail17trampoline_kernelINS0_13select_configILj256ELj13ELNS0_17block_load_methodE3ELS4_3ELS4_3ELNS0_20block_scan_algorithmE0ELj4294967295EEENS1_25partition_config_selectorILNS1_17partition_subalgoE3EjNS0_10empty_typeEbEEZZNS1_14partition_implILS8_3ELb0ES6_jNS0_17counting_iteratorIjlEEPS9_SE_NS0_5tupleIJPjSE_EEENSF_IJSE_SE_EEES9_SG_JZNS1_25segmented_radix_sort_implINS0_14default_configELb1EPKdPdPKlPlN2at6native12_GLOBAL__N_18offset_tEEE10hipError_tPvRmT1_PNSt15iterator_traitsISY_E10value_typeET2_T3_PNSZ_IS14_E10value_typeET4_jRbjT5_S1A_jjP12ihipStream_tbEUljE_EEESV_SW_SX_S14_S18_S1A_T6_T7_T9_mT8_S1C_bDpT10_ENKUlT_T0_E_clISt17integral_constantIbLb0EES1O_IbLb1EEEEDaS1K_S1L_EUlS1K_E_NS1_11comp_targetILNS1_3genE8ELNS1_11target_archE1030ELNS1_3gpuE2ELNS1_3repE0EEENS1_30default_config_static_selectorELNS0_4arch9wavefront6targetE0EEEvSY_,"axG",@progbits,_ZN7rocprim17ROCPRIM_400000_NS6detail17trampoline_kernelINS0_13select_configILj256ELj13ELNS0_17block_load_methodE3ELS4_3ELS4_3ELNS0_20block_scan_algorithmE0ELj4294967295EEENS1_25partition_config_selectorILNS1_17partition_subalgoE3EjNS0_10empty_typeEbEEZZNS1_14partition_implILS8_3ELb0ES6_jNS0_17counting_iteratorIjlEEPS9_SE_NS0_5tupleIJPjSE_EEENSF_IJSE_SE_EEES9_SG_JZNS1_25segmented_radix_sort_implINS0_14default_configELb1EPKdPdPKlPlN2at6native12_GLOBAL__N_18offset_tEEE10hipError_tPvRmT1_PNSt15iterator_traitsISY_E10value_typeET2_T3_PNSZ_IS14_E10value_typeET4_jRbjT5_S1A_jjP12ihipStream_tbEUljE_EEESV_SW_SX_S14_S18_S1A_T6_T7_T9_mT8_S1C_bDpT10_ENKUlT_T0_E_clISt17integral_constantIbLb0EES1O_IbLb1EEEEDaS1K_S1L_EUlS1K_E_NS1_11comp_targetILNS1_3genE8ELNS1_11target_archE1030ELNS1_3gpuE2ELNS1_3repE0EEENS1_30default_config_static_selectorELNS0_4arch9wavefront6targetE0EEEvSY_,comdat
.Lfunc_end1117:
	.size	_ZN7rocprim17ROCPRIM_400000_NS6detail17trampoline_kernelINS0_13select_configILj256ELj13ELNS0_17block_load_methodE3ELS4_3ELS4_3ELNS0_20block_scan_algorithmE0ELj4294967295EEENS1_25partition_config_selectorILNS1_17partition_subalgoE3EjNS0_10empty_typeEbEEZZNS1_14partition_implILS8_3ELb0ES6_jNS0_17counting_iteratorIjlEEPS9_SE_NS0_5tupleIJPjSE_EEENSF_IJSE_SE_EEES9_SG_JZNS1_25segmented_radix_sort_implINS0_14default_configELb1EPKdPdPKlPlN2at6native12_GLOBAL__N_18offset_tEEE10hipError_tPvRmT1_PNSt15iterator_traitsISY_E10value_typeET2_T3_PNSZ_IS14_E10value_typeET4_jRbjT5_S1A_jjP12ihipStream_tbEUljE_EEESV_SW_SX_S14_S18_S1A_T6_T7_T9_mT8_S1C_bDpT10_ENKUlT_T0_E_clISt17integral_constantIbLb0EES1O_IbLb1EEEEDaS1K_S1L_EUlS1K_E_NS1_11comp_targetILNS1_3genE8ELNS1_11target_archE1030ELNS1_3gpuE2ELNS1_3repE0EEENS1_30default_config_static_selectorELNS0_4arch9wavefront6targetE0EEEvSY_, .Lfunc_end1117-_ZN7rocprim17ROCPRIM_400000_NS6detail17trampoline_kernelINS0_13select_configILj256ELj13ELNS0_17block_load_methodE3ELS4_3ELS4_3ELNS0_20block_scan_algorithmE0ELj4294967295EEENS1_25partition_config_selectorILNS1_17partition_subalgoE3EjNS0_10empty_typeEbEEZZNS1_14partition_implILS8_3ELb0ES6_jNS0_17counting_iteratorIjlEEPS9_SE_NS0_5tupleIJPjSE_EEENSF_IJSE_SE_EEES9_SG_JZNS1_25segmented_radix_sort_implINS0_14default_configELb1EPKdPdPKlPlN2at6native12_GLOBAL__N_18offset_tEEE10hipError_tPvRmT1_PNSt15iterator_traitsISY_E10value_typeET2_T3_PNSZ_IS14_E10value_typeET4_jRbjT5_S1A_jjP12ihipStream_tbEUljE_EEESV_SW_SX_S14_S18_S1A_T6_T7_T9_mT8_S1C_bDpT10_ENKUlT_T0_E_clISt17integral_constantIbLb0EES1O_IbLb1EEEEDaS1K_S1L_EUlS1K_E_NS1_11comp_targetILNS1_3genE8ELNS1_11target_archE1030ELNS1_3gpuE2ELNS1_3repE0EEENS1_30default_config_static_selectorELNS0_4arch9wavefront6targetE0EEEvSY_
                                        ; -- End function
	.section	.AMDGPU.csdata,"",@progbits
; Kernel info:
; codeLenInByte = 0
; NumSgprs: 0
; NumVgprs: 0
; ScratchSize: 0
; MemoryBound: 0
; FloatMode: 240
; IeeeMode: 1
; LDSByteSize: 0 bytes/workgroup (compile time only)
; SGPRBlocks: 0
; VGPRBlocks: 0
; NumSGPRsForWavesPerEU: 1
; NumVGPRsForWavesPerEU: 1
; Occupancy: 16
; WaveLimiterHint : 0
; COMPUTE_PGM_RSRC2:SCRATCH_EN: 0
; COMPUTE_PGM_RSRC2:USER_SGPR: 15
; COMPUTE_PGM_RSRC2:TRAP_HANDLER: 0
; COMPUTE_PGM_RSRC2:TGID_X_EN: 1
; COMPUTE_PGM_RSRC2:TGID_Y_EN: 0
; COMPUTE_PGM_RSRC2:TGID_Z_EN: 0
; COMPUTE_PGM_RSRC2:TIDIG_COMP_CNT: 0
	.section	.text._ZN7rocprim17ROCPRIM_400000_NS6detail17trampoline_kernelINS0_14default_configENS1_36segmented_radix_sort_config_selectorIdlEEZNS1_25segmented_radix_sort_implIS3_Lb1EPKdPdPKlPlN2at6native12_GLOBAL__N_18offset_tEEE10hipError_tPvRmT1_PNSt15iterator_traitsISK_E10value_typeET2_T3_PNSL_ISQ_E10value_typeET4_jRbjT5_SW_jjP12ihipStream_tbEUlT_E_NS1_11comp_targetILNS1_3genE0ELNS1_11target_archE4294967295ELNS1_3gpuE0ELNS1_3repE0EEENS1_30default_config_static_selectorELNS0_4arch9wavefront6targetE0EEEvSK_,"axG",@progbits,_ZN7rocprim17ROCPRIM_400000_NS6detail17trampoline_kernelINS0_14default_configENS1_36segmented_radix_sort_config_selectorIdlEEZNS1_25segmented_radix_sort_implIS3_Lb1EPKdPdPKlPlN2at6native12_GLOBAL__N_18offset_tEEE10hipError_tPvRmT1_PNSt15iterator_traitsISK_E10value_typeET2_T3_PNSL_ISQ_E10value_typeET4_jRbjT5_SW_jjP12ihipStream_tbEUlT_E_NS1_11comp_targetILNS1_3genE0ELNS1_11target_archE4294967295ELNS1_3gpuE0ELNS1_3repE0EEENS1_30default_config_static_selectorELNS0_4arch9wavefront6targetE0EEEvSK_,comdat
	.globl	_ZN7rocprim17ROCPRIM_400000_NS6detail17trampoline_kernelINS0_14default_configENS1_36segmented_radix_sort_config_selectorIdlEEZNS1_25segmented_radix_sort_implIS3_Lb1EPKdPdPKlPlN2at6native12_GLOBAL__N_18offset_tEEE10hipError_tPvRmT1_PNSt15iterator_traitsISK_E10value_typeET2_T3_PNSL_ISQ_E10value_typeET4_jRbjT5_SW_jjP12ihipStream_tbEUlT_E_NS1_11comp_targetILNS1_3genE0ELNS1_11target_archE4294967295ELNS1_3gpuE0ELNS1_3repE0EEENS1_30default_config_static_selectorELNS0_4arch9wavefront6targetE0EEEvSK_ ; -- Begin function _ZN7rocprim17ROCPRIM_400000_NS6detail17trampoline_kernelINS0_14default_configENS1_36segmented_radix_sort_config_selectorIdlEEZNS1_25segmented_radix_sort_implIS3_Lb1EPKdPdPKlPlN2at6native12_GLOBAL__N_18offset_tEEE10hipError_tPvRmT1_PNSt15iterator_traitsISK_E10value_typeET2_T3_PNSL_ISQ_E10value_typeET4_jRbjT5_SW_jjP12ihipStream_tbEUlT_E_NS1_11comp_targetILNS1_3genE0ELNS1_11target_archE4294967295ELNS1_3gpuE0ELNS1_3repE0EEENS1_30default_config_static_selectorELNS0_4arch9wavefront6targetE0EEEvSK_
	.p2align	8
	.type	_ZN7rocprim17ROCPRIM_400000_NS6detail17trampoline_kernelINS0_14default_configENS1_36segmented_radix_sort_config_selectorIdlEEZNS1_25segmented_radix_sort_implIS3_Lb1EPKdPdPKlPlN2at6native12_GLOBAL__N_18offset_tEEE10hipError_tPvRmT1_PNSt15iterator_traitsISK_E10value_typeET2_T3_PNSL_ISQ_E10value_typeET4_jRbjT5_SW_jjP12ihipStream_tbEUlT_E_NS1_11comp_targetILNS1_3genE0ELNS1_11target_archE4294967295ELNS1_3gpuE0ELNS1_3repE0EEENS1_30default_config_static_selectorELNS0_4arch9wavefront6targetE0EEEvSK_,@function
_ZN7rocprim17ROCPRIM_400000_NS6detail17trampoline_kernelINS0_14default_configENS1_36segmented_radix_sort_config_selectorIdlEEZNS1_25segmented_radix_sort_implIS3_Lb1EPKdPdPKlPlN2at6native12_GLOBAL__N_18offset_tEEE10hipError_tPvRmT1_PNSt15iterator_traitsISK_E10value_typeET2_T3_PNSL_ISQ_E10value_typeET4_jRbjT5_SW_jjP12ihipStream_tbEUlT_E_NS1_11comp_targetILNS1_3genE0ELNS1_11target_archE4294967295ELNS1_3gpuE0ELNS1_3repE0EEENS1_30default_config_static_selectorELNS0_4arch9wavefront6targetE0EEEvSK_: ; @_ZN7rocprim17ROCPRIM_400000_NS6detail17trampoline_kernelINS0_14default_configENS1_36segmented_radix_sort_config_selectorIdlEEZNS1_25segmented_radix_sort_implIS3_Lb1EPKdPdPKlPlN2at6native12_GLOBAL__N_18offset_tEEE10hipError_tPvRmT1_PNSt15iterator_traitsISK_E10value_typeET2_T3_PNSL_ISQ_E10value_typeET4_jRbjT5_SW_jjP12ihipStream_tbEUlT_E_NS1_11comp_targetILNS1_3genE0ELNS1_11target_archE4294967295ELNS1_3gpuE0ELNS1_3repE0EEENS1_30default_config_static_selectorELNS0_4arch9wavefront6targetE0EEEvSK_
; %bb.0:
	.section	.rodata,"a",@progbits
	.p2align	6, 0x0
	.amdhsa_kernel _ZN7rocprim17ROCPRIM_400000_NS6detail17trampoline_kernelINS0_14default_configENS1_36segmented_radix_sort_config_selectorIdlEEZNS1_25segmented_radix_sort_implIS3_Lb1EPKdPdPKlPlN2at6native12_GLOBAL__N_18offset_tEEE10hipError_tPvRmT1_PNSt15iterator_traitsISK_E10value_typeET2_T3_PNSL_ISQ_E10value_typeET4_jRbjT5_SW_jjP12ihipStream_tbEUlT_E_NS1_11comp_targetILNS1_3genE0ELNS1_11target_archE4294967295ELNS1_3gpuE0ELNS1_3repE0EEENS1_30default_config_static_selectorELNS0_4arch9wavefront6targetE0EEEvSK_
		.amdhsa_group_segment_fixed_size 0
		.amdhsa_private_segment_fixed_size 0
		.amdhsa_kernarg_size 96
		.amdhsa_user_sgpr_count 15
		.amdhsa_user_sgpr_dispatch_ptr 0
		.amdhsa_user_sgpr_queue_ptr 0
		.amdhsa_user_sgpr_kernarg_segment_ptr 1
		.amdhsa_user_sgpr_dispatch_id 0
		.amdhsa_user_sgpr_private_segment_size 0
		.amdhsa_wavefront_size32 1
		.amdhsa_uses_dynamic_stack 0
		.amdhsa_enable_private_segment 0
		.amdhsa_system_sgpr_workgroup_id_x 1
		.amdhsa_system_sgpr_workgroup_id_y 0
		.amdhsa_system_sgpr_workgroup_id_z 0
		.amdhsa_system_sgpr_workgroup_info 0
		.amdhsa_system_vgpr_workitem_id 0
		.amdhsa_next_free_vgpr 1
		.amdhsa_next_free_sgpr 1
		.amdhsa_reserve_vcc 0
		.amdhsa_float_round_mode_32 0
		.amdhsa_float_round_mode_16_64 0
		.amdhsa_float_denorm_mode_32 3
		.amdhsa_float_denorm_mode_16_64 3
		.amdhsa_dx10_clamp 1
		.amdhsa_ieee_mode 1
		.amdhsa_fp16_overflow 0
		.amdhsa_workgroup_processor_mode 1
		.amdhsa_memory_ordered 1
		.amdhsa_forward_progress 0
		.amdhsa_shared_vgpr_count 0
		.amdhsa_exception_fp_ieee_invalid_op 0
		.amdhsa_exception_fp_denorm_src 0
		.amdhsa_exception_fp_ieee_div_zero 0
		.amdhsa_exception_fp_ieee_overflow 0
		.amdhsa_exception_fp_ieee_underflow 0
		.amdhsa_exception_fp_ieee_inexact 0
		.amdhsa_exception_int_div_zero 0
	.end_amdhsa_kernel
	.section	.text._ZN7rocprim17ROCPRIM_400000_NS6detail17trampoline_kernelINS0_14default_configENS1_36segmented_radix_sort_config_selectorIdlEEZNS1_25segmented_radix_sort_implIS3_Lb1EPKdPdPKlPlN2at6native12_GLOBAL__N_18offset_tEEE10hipError_tPvRmT1_PNSt15iterator_traitsISK_E10value_typeET2_T3_PNSL_ISQ_E10value_typeET4_jRbjT5_SW_jjP12ihipStream_tbEUlT_E_NS1_11comp_targetILNS1_3genE0ELNS1_11target_archE4294967295ELNS1_3gpuE0ELNS1_3repE0EEENS1_30default_config_static_selectorELNS0_4arch9wavefront6targetE0EEEvSK_,"axG",@progbits,_ZN7rocprim17ROCPRIM_400000_NS6detail17trampoline_kernelINS0_14default_configENS1_36segmented_radix_sort_config_selectorIdlEEZNS1_25segmented_radix_sort_implIS3_Lb1EPKdPdPKlPlN2at6native12_GLOBAL__N_18offset_tEEE10hipError_tPvRmT1_PNSt15iterator_traitsISK_E10value_typeET2_T3_PNSL_ISQ_E10value_typeET4_jRbjT5_SW_jjP12ihipStream_tbEUlT_E_NS1_11comp_targetILNS1_3genE0ELNS1_11target_archE4294967295ELNS1_3gpuE0ELNS1_3repE0EEENS1_30default_config_static_selectorELNS0_4arch9wavefront6targetE0EEEvSK_,comdat
.Lfunc_end1118:
	.size	_ZN7rocprim17ROCPRIM_400000_NS6detail17trampoline_kernelINS0_14default_configENS1_36segmented_radix_sort_config_selectorIdlEEZNS1_25segmented_radix_sort_implIS3_Lb1EPKdPdPKlPlN2at6native12_GLOBAL__N_18offset_tEEE10hipError_tPvRmT1_PNSt15iterator_traitsISK_E10value_typeET2_T3_PNSL_ISQ_E10value_typeET4_jRbjT5_SW_jjP12ihipStream_tbEUlT_E_NS1_11comp_targetILNS1_3genE0ELNS1_11target_archE4294967295ELNS1_3gpuE0ELNS1_3repE0EEENS1_30default_config_static_selectorELNS0_4arch9wavefront6targetE0EEEvSK_, .Lfunc_end1118-_ZN7rocprim17ROCPRIM_400000_NS6detail17trampoline_kernelINS0_14default_configENS1_36segmented_radix_sort_config_selectorIdlEEZNS1_25segmented_radix_sort_implIS3_Lb1EPKdPdPKlPlN2at6native12_GLOBAL__N_18offset_tEEE10hipError_tPvRmT1_PNSt15iterator_traitsISK_E10value_typeET2_T3_PNSL_ISQ_E10value_typeET4_jRbjT5_SW_jjP12ihipStream_tbEUlT_E_NS1_11comp_targetILNS1_3genE0ELNS1_11target_archE4294967295ELNS1_3gpuE0ELNS1_3repE0EEENS1_30default_config_static_selectorELNS0_4arch9wavefront6targetE0EEEvSK_
                                        ; -- End function
	.section	.AMDGPU.csdata,"",@progbits
; Kernel info:
; codeLenInByte = 0
; NumSgprs: 0
; NumVgprs: 0
; ScratchSize: 0
; MemoryBound: 0
; FloatMode: 240
; IeeeMode: 1
; LDSByteSize: 0 bytes/workgroup (compile time only)
; SGPRBlocks: 0
; VGPRBlocks: 0
; NumSGPRsForWavesPerEU: 1
; NumVGPRsForWavesPerEU: 1
; Occupancy: 16
; WaveLimiterHint : 0
; COMPUTE_PGM_RSRC2:SCRATCH_EN: 0
; COMPUTE_PGM_RSRC2:USER_SGPR: 15
; COMPUTE_PGM_RSRC2:TRAP_HANDLER: 0
; COMPUTE_PGM_RSRC2:TGID_X_EN: 1
; COMPUTE_PGM_RSRC2:TGID_Y_EN: 0
; COMPUTE_PGM_RSRC2:TGID_Z_EN: 0
; COMPUTE_PGM_RSRC2:TIDIG_COMP_CNT: 0
	.section	.text._ZN7rocprim17ROCPRIM_400000_NS6detail17trampoline_kernelINS0_14default_configENS1_36segmented_radix_sort_config_selectorIdlEEZNS1_25segmented_radix_sort_implIS3_Lb1EPKdPdPKlPlN2at6native12_GLOBAL__N_18offset_tEEE10hipError_tPvRmT1_PNSt15iterator_traitsISK_E10value_typeET2_T3_PNSL_ISQ_E10value_typeET4_jRbjT5_SW_jjP12ihipStream_tbEUlT_E_NS1_11comp_targetILNS1_3genE5ELNS1_11target_archE942ELNS1_3gpuE9ELNS1_3repE0EEENS1_30default_config_static_selectorELNS0_4arch9wavefront6targetE0EEEvSK_,"axG",@progbits,_ZN7rocprim17ROCPRIM_400000_NS6detail17trampoline_kernelINS0_14default_configENS1_36segmented_radix_sort_config_selectorIdlEEZNS1_25segmented_radix_sort_implIS3_Lb1EPKdPdPKlPlN2at6native12_GLOBAL__N_18offset_tEEE10hipError_tPvRmT1_PNSt15iterator_traitsISK_E10value_typeET2_T3_PNSL_ISQ_E10value_typeET4_jRbjT5_SW_jjP12ihipStream_tbEUlT_E_NS1_11comp_targetILNS1_3genE5ELNS1_11target_archE942ELNS1_3gpuE9ELNS1_3repE0EEENS1_30default_config_static_selectorELNS0_4arch9wavefront6targetE0EEEvSK_,comdat
	.globl	_ZN7rocprim17ROCPRIM_400000_NS6detail17trampoline_kernelINS0_14default_configENS1_36segmented_radix_sort_config_selectorIdlEEZNS1_25segmented_radix_sort_implIS3_Lb1EPKdPdPKlPlN2at6native12_GLOBAL__N_18offset_tEEE10hipError_tPvRmT1_PNSt15iterator_traitsISK_E10value_typeET2_T3_PNSL_ISQ_E10value_typeET4_jRbjT5_SW_jjP12ihipStream_tbEUlT_E_NS1_11comp_targetILNS1_3genE5ELNS1_11target_archE942ELNS1_3gpuE9ELNS1_3repE0EEENS1_30default_config_static_selectorELNS0_4arch9wavefront6targetE0EEEvSK_ ; -- Begin function _ZN7rocprim17ROCPRIM_400000_NS6detail17trampoline_kernelINS0_14default_configENS1_36segmented_radix_sort_config_selectorIdlEEZNS1_25segmented_radix_sort_implIS3_Lb1EPKdPdPKlPlN2at6native12_GLOBAL__N_18offset_tEEE10hipError_tPvRmT1_PNSt15iterator_traitsISK_E10value_typeET2_T3_PNSL_ISQ_E10value_typeET4_jRbjT5_SW_jjP12ihipStream_tbEUlT_E_NS1_11comp_targetILNS1_3genE5ELNS1_11target_archE942ELNS1_3gpuE9ELNS1_3repE0EEENS1_30default_config_static_selectorELNS0_4arch9wavefront6targetE0EEEvSK_
	.p2align	8
	.type	_ZN7rocprim17ROCPRIM_400000_NS6detail17trampoline_kernelINS0_14default_configENS1_36segmented_radix_sort_config_selectorIdlEEZNS1_25segmented_radix_sort_implIS3_Lb1EPKdPdPKlPlN2at6native12_GLOBAL__N_18offset_tEEE10hipError_tPvRmT1_PNSt15iterator_traitsISK_E10value_typeET2_T3_PNSL_ISQ_E10value_typeET4_jRbjT5_SW_jjP12ihipStream_tbEUlT_E_NS1_11comp_targetILNS1_3genE5ELNS1_11target_archE942ELNS1_3gpuE9ELNS1_3repE0EEENS1_30default_config_static_selectorELNS0_4arch9wavefront6targetE0EEEvSK_,@function
_ZN7rocprim17ROCPRIM_400000_NS6detail17trampoline_kernelINS0_14default_configENS1_36segmented_radix_sort_config_selectorIdlEEZNS1_25segmented_radix_sort_implIS3_Lb1EPKdPdPKlPlN2at6native12_GLOBAL__N_18offset_tEEE10hipError_tPvRmT1_PNSt15iterator_traitsISK_E10value_typeET2_T3_PNSL_ISQ_E10value_typeET4_jRbjT5_SW_jjP12ihipStream_tbEUlT_E_NS1_11comp_targetILNS1_3genE5ELNS1_11target_archE942ELNS1_3gpuE9ELNS1_3repE0EEENS1_30default_config_static_selectorELNS0_4arch9wavefront6targetE0EEEvSK_: ; @_ZN7rocprim17ROCPRIM_400000_NS6detail17trampoline_kernelINS0_14default_configENS1_36segmented_radix_sort_config_selectorIdlEEZNS1_25segmented_radix_sort_implIS3_Lb1EPKdPdPKlPlN2at6native12_GLOBAL__N_18offset_tEEE10hipError_tPvRmT1_PNSt15iterator_traitsISK_E10value_typeET2_T3_PNSL_ISQ_E10value_typeET4_jRbjT5_SW_jjP12ihipStream_tbEUlT_E_NS1_11comp_targetILNS1_3genE5ELNS1_11target_archE942ELNS1_3gpuE9ELNS1_3repE0EEENS1_30default_config_static_selectorELNS0_4arch9wavefront6targetE0EEEvSK_
; %bb.0:
	.section	.rodata,"a",@progbits
	.p2align	6, 0x0
	.amdhsa_kernel _ZN7rocprim17ROCPRIM_400000_NS6detail17trampoline_kernelINS0_14default_configENS1_36segmented_radix_sort_config_selectorIdlEEZNS1_25segmented_radix_sort_implIS3_Lb1EPKdPdPKlPlN2at6native12_GLOBAL__N_18offset_tEEE10hipError_tPvRmT1_PNSt15iterator_traitsISK_E10value_typeET2_T3_PNSL_ISQ_E10value_typeET4_jRbjT5_SW_jjP12ihipStream_tbEUlT_E_NS1_11comp_targetILNS1_3genE5ELNS1_11target_archE942ELNS1_3gpuE9ELNS1_3repE0EEENS1_30default_config_static_selectorELNS0_4arch9wavefront6targetE0EEEvSK_
		.amdhsa_group_segment_fixed_size 0
		.amdhsa_private_segment_fixed_size 0
		.amdhsa_kernarg_size 96
		.amdhsa_user_sgpr_count 15
		.amdhsa_user_sgpr_dispatch_ptr 0
		.amdhsa_user_sgpr_queue_ptr 0
		.amdhsa_user_sgpr_kernarg_segment_ptr 1
		.amdhsa_user_sgpr_dispatch_id 0
		.amdhsa_user_sgpr_private_segment_size 0
		.amdhsa_wavefront_size32 1
		.amdhsa_uses_dynamic_stack 0
		.amdhsa_enable_private_segment 0
		.amdhsa_system_sgpr_workgroup_id_x 1
		.amdhsa_system_sgpr_workgroup_id_y 0
		.amdhsa_system_sgpr_workgroup_id_z 0
		.amdhsa_system_sgpr_workgroup_info 0
		.amdhsa_system_vgpr_workitem_id 0
		.amdhsa_next_free_vgpr 1
		.amdhsa_next_free_sgpr 1
		.amdhsa_reserve_vcc 0
		.amdhsa_float_round_mode_32 0
		.amdhsa_float_round_mode_16_64 0
		.amdhsa_float_denorm_mode_32 3
		.amdhsa_float_denorm_mode_16_64 3
		.amdhsa_dx10_clamp 1
		.amdhsa_ieee_mode 1
		.amdhsa_fp16_overflow 0
		.amdhsa_workgroup_processor_mode 1
		.amdhsa_memory_ordered 1
		.amdhsa_forward_progress 0
		.amdhsa_shared_vgpr_count 0
		.amdhsa_exception_fp_ieee_invalid_op 0
		.amdhsa_exception_fp_denorm_src 0
		.amdhsa_exception_fp_ieee_div_zero 0
		.amdhsa_exception_fp_ieee_overflow 0
		.amdhsa_exception_fp_ieee_underflow 0
		.amdhsa_exception_fp_ieee_inexact 0
		.amdhsa_exception_int_div_zero 0
	.end_amdhsa_kernel
	.section	.text._ZN7rocprim17ROCPRIM_400000_NS6detail17trampoline_kernelINS0_14default_configENS1_36segmented_radix_sort_config_selectorIdlEEZNS1_25segmented_radix_sort_implIS3_Lb1EPKdPdPKlPlN2at6native12_GLOBAL__N_18offset_tEEE10hipError_tPvRmT1_PNSt15iterator_traitsISK_E10value_typeET2_T3_PNSL_ISQ_E10value_typeET4_jRbjT5_SW_jjP12ihipStream_tbEUlT_E_NS1_11comp_targetILNS1_3genE5ELNS1_11target_archE942ELNS1_3gpuE9ELNS1_3repE0EEENS1_30default_config_static_selectorELNS0_4arch9wavefront6targetE0EEEvSK_,"axG",@progbits,_ZN7rocprim17ROCPRIM_400000_NS6detail17trampoline_kernelINS0_14default_configENS1_36segmented_radix_sort_config_selectorIdlEEZNS1_25segmented_radix_sort_implIS3_Lb1EPKdPdPKlPlN2at6native12_GLOBAL__N_18offset_tEEE10hipError_tPvRmT1_PNSt15iterator_traitsISK_E10value_typeET2_T3_PNSL_ISQ_E10value_typeET4_jRbjT5_SW_jjP12ihipStream_tbEUlT_E_NS1_11comp_targetILNS1_3genE5ELNS1_11target_archE942ELNS1_3gpuE9ELNS1_3repE0EEENS1_30default_config_static_selectorELNS0_4arch9wavefront6targetE0EEEvSK_,comdat
.Lfunc_end1119:
	.size	_ZN7rocprim17ROCPRIM_400000_NS6detail17trampoline_kernelINS0_14default_configENS1_36segmented_radix_sort_config_selectorIdlEEZNS1_25segmented_radix_sort_implIS3_Lb1EPKdPdPKlPlN2at6native12_GLOBAL__N_18offset_tEEE10hipError_tPvRmT1_PNSt15iterator_traitsISK_E10value_typeET2_T3_PNSL_ISQ_E10value_typeET4_jRbjT5_SW_jjP12ihipStream_tbEUlT_E_NS1_11comp_targetILNS1_3genE5ELNS1_11target_archE942ELNS1_3gpuE9ELNS1_3repE0EEENS1_30default_config_static_selectorELNS0_4arch9wavefront6targetE0EEEvSK_, .Lfunc_end1119-_ZN7rocprim17ROCPRIM_400000_NS6detail17trampoline_kernelINS0_14default_configENS1_36segmented_radix_sort_config_selectorIdlEEZNS1_25segmented_radix_sort_implIS3_Lb1EPKdPdPKlPlN2at6native12_GLOBAL__N_18offset_tEEE10hipError_tPvRmT1_PNSt15iterator_traitsISK_E10value_typeET2_T3_PNSL_ISQ_E10value_typeET4_jRbjT5_SW_jjP12ihipStream_tbEUlT_E_NS1_11comp_targetILNS1_3genE5ELNS1_11target_archE942ELNS1_3gpuE9ELNS1_3repE0EEENS1_30default_config_static_selectorELNS0_4arch9wavefront6targetE0EEEvSK_
                                        ; -- End function
	.section	.AMDGPU.csdata,"",@progbits
; Kernel info:
; codeLenInByte = 0
; NumSgprs: 0
; NumVgprs: 0
; ScratchSize: 0
; MemoryBound: 0
; FloatMode: 240
; IeeeMode: 1
; LDSByteSize: 0 bytes/workgroup (compile time only)
; SGPRBlocks: 0
; VGPRBlocks: 0
; NumSGPRsForWavesPerEU: 1
; NumVGPRsForWavesPerEU: 1
; Occupancy: 16
; WaveLimiterHint : 0
; COMPUTE_PGM_RSRC2:SCRATCH_EN: 0
; COMPUTE_PGM_RSRC2:USER_SGPR: 15
; COMPUTE_PGM_RSRC2:TRAP_HANDLER: 0
; COMPUTE_PGM_RSRC2:TGID_X_EN: 1
; COMPUTE_PGM_RSRC2:TGID_Y_EN: 0
; COMPUTE_PGM_RSRC2:TGID_Z_EN: 0
; COMPUTE_PGM_RSRC2:TIDIG_COMP_CNT: 0
	.section	.text._ZN7rocprim17ROCPRIM_400000_NS6detail17trampoline_kernelINS0_14default_configENS1_36segmented_radix_sort_config_selectorIdlEEZNS1_25segmented_radix_sort_implIS3_Lb1EPKdPdPKlPlN2at6native12_GLOBAL__N_18offset_tEEE10hipError_tPvRmT1_PNSt15iterator_traitsISK_E10value_typeET2_T3_PNSL_ISQ_E10value_typeET4_jRbjT5_SW_jjP12ihipStream_tbEUlT_E_NS1_11comp_targetILNS1_3genE4ELNS1_11target_archE910ELNS1_3gpuE8ELNS1_3repE0EEENS1_30default_config_static_selectorELNS0_4arch9wavefront6targetE0EEEvSK_,"axG",@progbits,_ZN7rocprim17ROCPRIM_400000_NS6detail17trampoline_kernelINS0_14default_configENS1_36segmented_radix_sort_config_selectorIdlEEZNS1_25segmented_radix_sort_implIS3_Lb1EPKdPdPKlPlN2at6native12_GLOBAL__N_18offset_tEEE10hipError_tPvRmT1_PNSt15iterator_traitsISK_E10value_typeET2_T3_PNSL_ISQ_E10value_typeET4_jRbjT5_SW_jjP12ihipStream_tbEUlT_E_NS1_11comp_targetILNS1_3genE4ELNS1_11target_archE910ELNS1_3gpuE8ELNS1_3repE0EEENS1_30default_config_static_selectorELNS0_4arch9wavefront6targetE0EEEvSK_,comdat
	.globl	_ZN7rocprim17ROCPRIM_400000_NS6detail17trampoline_kernelINS0_14default_configENS1_36segmented_radix_sort_config_selectorIdlEEZNS1_25segmented_radix_sort_implIS3_Lb1EPKdPdPKlPlN2at6native12_GLOBAL__N_18offset_tEEE10hipError_tPvRmT1_PNSt15iterator_traitsISK_E10value_typeET2_T3_PNSL_ISQ_E10value_typeET4_jRbjT5_SW_jjP12ihipStream_tbEUlT_E_NS1_11comp_targetILNS1_3genE4ELNS1_11target_archE910ELNS1_3gpuE8ELNS1_3repE0EEENS1_30default_config_static_selectorELNS0_4arch9wavefront6targetE0EEEvSK_ ; -- Begin function _ZN7rocprim17ROCPRIM_400000_NS6detail17trampoline_kernelINS0_14default_configENS1_36segmented_radix_sort_config_selectorIdlEEZNS1_25segmented_radix_sort_implIS3_Lb1EPKdPdPKlPlN2at6native12_GLOBAL__N_18offset_tEEE10hipError_tPvRmT1_PNSt15iterator_traitsISK_E10value_typeET2_T3_PNSL_ISQ_E10value_typeET4_jRbjT5_SW_jjP12ihipStream_tbEUlT_E_NS1_11comp_targetILNS1_3genE4ELNS1_11target_archE910ELNS1_3gpuE8ELNS1_3repE0EEENS1_30default_config_static_selectorELNS0_4arch9wavefront6targetE0EEEvSK_
	.p2align	8
	.type	_ZN7rocprim17ROCPRIM_400000_NS6detail17trampoline_kernelINS0_14default_configENS1_36segmented_radix_sort_config_selectorIdlEEZNS1_25segmented_radix_sort_implIS3_Lb1EPKdPdPKlPlN2at6native12_GLOBAL__N_18offset_tEEE10hipError_tPvRmT1_PNSt15iterator_traitsISK_E10value_typeET2_T3_PNSL_ISQ_E10value_typeET4_jRbjT5_SW_jjP12ihipStream_tbEUlT_E_NS1_11comp_targetILNS1_3genE4ELNS1_11target_archE910ELNS1_3gpuE8ELNS1_3repE0EEENS1_30default_config_static_selectorELNS0_4arch9wavefront6targetE0EEEvSK_,@function
_ZN7rocprim17ROCPRIM_400000_NS6detail17trampoline_kernelINS0_14default_configENS1_36segmented_radix_sort_config_selectorIdlEEZNS1_25segmented_radix_sort_implIS3_Lb1EPKdPdPKlPlN2at6native12_GLOBAL__N_18offset_tEEE10hipError_tPvRmT1_PNSt15iterator_traitsISK_E10value_typeET2_T3_PNSL_ISQ_E10value_typeET4_jRbjT5_SW_jjP12ihipStream_tbEUlT_E_NS1_11comp_targetILNS1_3genE4ELNS1_11target_archE910ELNS1_3gpuE8ELNS1_3repE0EEENS1_30default_config_static_selectorELNS0_4arch9wavefront6targetE0EEEvSK_: ; @_ZN7rocprim17ROCPRIM_400000_NS6detail17trampoline_kernelINS0_14default_configENS1_36segmented_radix_sort_config_selectorIdlEEZNS1_25segmented_radix_sort_implIS3_Lb1EPKdPdPKlPlN2at6native12_GLOBAL__N_18offset_tEEE10hipError_tPvRmT1_PNSt15iterator_traitsISK_E10value_typeET2_T3_PNSL_ISQ_E10value_typeET4_jRbjT5_SW_jjP12ihipStream_tbEUlT_E_NS1_11comp_targetILNS1_3genE4ELNS1_11target_archE910ELNS1_3gpuE8ELNS1_3repE0EEENS1_30default_config_static_selectorELNS0_4arch9wavefront6targetE0EEEvSK_
; %bb.0:
	.section	.rodata,"a",@progbits
	.p2align	6, 0x0
	.amdhsa_kernel _ZN7rocprim17ROCPRIM_400000_NS6detail17trampoline_kernelINS0_14default_configENS1_36segmented_radix_sort_config_selectorIdlEEZNS1_25segmented_radix_sort_implIS3_Lb1EPKdPdPKlPlN2at6native12_GLOBAL__N_18offset_tEEE10hipError_tPvRmT1_PNSt15iterator_traitsISK_E10value_typeET2_T3_PNSL_ISQ_E10value_typeET4_jRbjT5_SW_jjP12ihipStream_tbEUlT_E_NS1_11comp_targetILNS1_3genE4ELNS1_11target_archE910ELNS1_3gpuE8ELNS1_3repE0EEENS1_30default_config_static_selectorELNS0_4arch9wavefront6targetE0EEEvSK_
		.amdhsa_group_segment_fixed_size 0
		.amdhsa_private_segment_fixed_size 0
		.amdhsa_kernarg_size 96
		.amdhsa_user_sgpr_count 15
		.amdhsa_user_sgpr_dispatch_ptr 0
		.amdhsa_user_sgpr_queue_ptr 0
		.amdhsa_user_sgpr_kernarg_segment_ptr 1
		.amdhsa_user_sgpr_dispatch_id 0
		.amdhsa_user_sgpr_private_segment_size 0
		.amdhsa_wavefront_size32 1
		.amdhsa_uses_dynamic_stack 0
		.amdhsa_enable_private_segment 0
		.amdhsa_system_sgpr_workgroup_id_x 1
		.amdhsa_system_sgpr_workgroup_id_y 0
		.amdhsa_system_sgpr_workgroup_id_z 0
		.amdhsa_system_sgpr_workgroup_info 0
		.amdhsa_system_vgpr_workitem_id 0
		.amdhsa_next_free_vgpr 1
		.amdhsa_next_free_sgpr 1
		.amdhsa_reserve_vcc 0
		.amdhsa_float_round_mode_32 0
		.amdhsa_float_round_mode_16_64 0
		.amdhsa_float_denorm_mode_32 3
		.amdhsa_float_denorm_mode_16_64 3
		.amdhsa_dx10_clamp 1
		.amdhsa_ieee_mode 1
		.amdhsa_fp16_overflow 0
		.amdhsa_workgroup_processor_mode 1
		.amdhsa_memory_ordered 1
		.amdhsa_forward_progress 0
		.amdhsa_shared_vgpr_count 0
		.amdhsa_exception_fp_ieee_invalid_op 0
		.amdhsa_exception_fp_denorm_src 0
		.amdhsa_exception_fp_ieee_div_zero 0
		.amdhsa_exception_fp_ieee_overflow 0
		.amdhsa_exception_fp_ieee_underflow 0
		.amdhsa_exception_fp_ieee_inexact 0
		.amdhsa_exception_int_div_zero 0
	.end_amdhsa_kernel
	.section	.text._ZN7rocprim17ROCPRIM_400000_NS6detail17trampoline_kernelINS0_14default_configENS1_36segmented_radix_sort_config_selectorIdlEEZNS1_25segmented_radix_sort_implIS3_Lb1EPKdPdPKlPlN2at6native12_GLOBAL__N_18offset_tEEE10hipError_tPvRmT1_PNSt15iterator_traitsISK_E10value_typeET2_T3_PNSL_ISQ_E10value_typeET4_jRbjT5_SW_jjP12ihipStream_tbEUlT_E_NS1_11comp_targetILNS1_3genE4ELNS1_11target_archE910ELNS1_3gpuE8ELNS1_3repE0EEENS1_30default_config_static_selectorELNS0_4arch9wavefront6targetE0EEEvSK_,"axG",@progbits,_ZN7rocprim17ROCPRIM_400000_NS6detail17trampoline_kernelINS0_14default_configENS1_36segmented_radix_sort_config_selectorIdlEEZNS1_25segmented_radix_sort_implIS3_Lb1EPKdPdPKlPlN2at6native12_GLOBAL__N_18offset_tEEE10hipError_tPvRmT1_PNSt15iterator_traitsISK_E10value_typeET2_T3_PNSL_ISQ_E10value_typeET4_jRbjT5_SW_jjP12ihipStream_tbEUlT_E_NS1_11comp_targetILNS1_3genE4ELNS1_11target_archE910ELNS1_3gpuE8ELNS1_3repE0EEENS1_30default_config_static_selectorELNS0_4arch9wavefront6targetE0EEEvSK_,comdat
.Lfunc_end1120:
	.size	_ZN7rocprim17ROCPRIM_400000_NS6detail17trampoline_kernelINS0_14default_configENS1_36segmented_radix_sort_config_selectorIdlEEZNS1_25segmented_radix_sort_implIS3_Lb1EPKdPdPKlPlN2at6native12_GLOBAL__N_18offset_tEEE10hipError_tPvRmT1_PNSt15iterator_traitsISK_E10value_typeET2_T3_PNSL_ISQ_E10value_typeET4_jRbjT5_SW_jjP12ihipStream_tbEUlT_E_NS1_11comp_targetILNS1_3genE4ELNS1_11target_archE910ELNS1_3gpuE8ELNS1_3repE0EEENS1_30default_config_static_selectorELNS0_4arch9wavefront6targetE0EEEvSK_, .Lfunc_end1120-_ZN7rocprim17ROCPRIM_400000_NS6detail17trampoline_kernelINS0_14default_configENS1_36segmented_radix_sort_config_selectorIdlEEZNS1_25segmented_radix_sort_implIS3_Lb1EPKdPdPKlPlN2at6native12_GLOBAL__N_18offset_tEEE10hipError_tPvRmT1_PNSt15iterator_traitsISK_E10value_typeET2_T3_PNSL_ISQ_E10value_typeET4_jRbjT5_SW_jjP12ihipStream_tbEUlT_E_NS1_11comp_targetILNS1_3genE4ELNS1_11target_archE910ELNS1_3gpuE8ELNS1_3repE0EEENS1_30default_config_static_selectorELNS0_4arch9wavefront6targetE0EEEvSK_
                                        ; -- End function
	.section	.AMDGPU.csdata,"",@progbits
; Kernel info:
; codeLenInByte = 0
; NumSgprs: 0
; NumVgprs: 0
; ScratchSize: 0
; MemoryBound: 0
; FloatMode: 240
; IeeeMode: 1
; LDSByteSize: 0 bytes/workgroup (compile time only)
; SGPRBlocks: 0
; VGPRBlocks: 0
; NumSGPRsForWavesPerEU: 1
; NumVGPRsForWavesPerEU: 1
; Occupancy: 16
; WaveLimiterHint : 0
; COMPUTE_PGM_RSRC2:SCRATCH_EN: 0
; COMPUTE_PGM_RSRC2:USER_SGPR: 15
; COMPUTE_PGM_RSRC2:TRAP_HANDLER: 0
; COMPUTE_PGM_RSRC2:TGID_X_EN: 1
; COMPUTE_PGM_RSRC2:TGID_Y_EN: 0
; COMPUTE_PGM_RSRC2:TGID_Z_EN: 0
; COMPUTE_PGM_RSRC2:TIDIG_COMP_CNT: 0
	.section	.text._ZN7rocprim17ROCPRIM_400000_NS6detail17trampoline_kernelINS0_14default_configENS1_36segmented_radix_sort_config_selectorIdlEEZNS1_25segmented_radix_sort_implIS3_Lb1EPKdPdPKlPlN2at6native12_GLOBAL__N_18offset_tEEE10hipError_tPvRmT1_PNSt15iterator_traitsISK_E10value_typeET2_T3_PNSL_ISQ_E10value_typeET4_jRbjT5_SW_jjP12ihipStream_tbEUlT_E_NS1_11comp_targetILNS1_3genE3ELNS1_11target_archE908ELNS1_3gpuE7ELNS1_3repE0EEENS1_30default_config_static_selectorELNS0_4arch9wavefront6targetE0EEEvSK_,"axG",@progbits,_ZN7rocprim17ROCPRIM_400000_NS6detail17trampoline_kernelINS0_14default_configENS1_36segmented_radix_sort_config_selectorIdlEEZNS1_25segmented_radix_sort_implIS3_Lb1EPKdPdPKlPlN2at6native12_GLOBAL__N_18offset_tEEE10hipError_tPvRmT1_PNSt15iterator_traitsISK_E10value_typeET2_T3_PNSL_ISQ_E10value_typeET4_jRbjT5_SW_jjP12ihipStream_tbEUlT_E_NS1_11comp_targetILNS1_3genE3ELNS1_11target_archE908ELNS1_3gpuE7ELNS1_3repE0EEENS1_30default_config_static_selectorELNS0_4arch9wavefront6targetE0EEEvSK_,comdat
	.globl	_ZN7rocprim17ROCPRIM_400000_NS6detail17trampoline_kernelINS0_14default_configENS1_36segmented_radix_sort_config_selectorIdlEEZNS1_25segmented_radix_sort_implIS3_Lb1EPKdPdPKlPlN2at6native12_GLOBAL__N_18offset_tEEE10hipError_tPvRmT1_PNSt15iterator_traitsISK_E10value_typeET2_T3_PNSL_ISQ_E10value_typeET4_jRbjT5_SW_jjP12ihipStream_tbEUlT_E_NS1_11comp_targetILNS1_3genE3ELNS1_11target_archE908ELNS1_3gpuE7ELNS1_3repE0EEENS1_30default_config_static_selectorELNS0_4arch9wavefront6targetE0EEEvSK_ ; -- Begin function _ZN7rocprim17ROCPRIM_400000_NS6detail17trampoline_kernelINS0_14default_configENS1_36segmented_radix_sort_config_selectorIdlEEZNS1_25segmented_radix_sort_implIS3_Lb1EPKdPdPKlPlN2at6native12_GLOBAL__N_18offset_tEEE10hipError_tPvRmT1_PNSt15iterator_traitsISK_E10value_typeET2_T3_PNSL_ISQ_E10value_typeET4_jRbjT5_SW_jjP12ihipStream_tbEUlT_E_NS1_11comp_targetILNS1_3genE3ELNS1_11target_archE908ELNS1_3gpuE7ELNS1_3repE0EEENS1_30default_config_static_selectorELNS0_4arch9wavefront6targetE0EEEvSK_
	.p2align	8
	.type	_ZN7rocprim17ROCPRIM_400000_NS6detail17trampoline_kernelINS0_14default_configENS1_36segmented_radix_sort_config_selectorIdlEEZNS1_25segmented_radix_sort_implIS3_Lb1EPKdPdPKlPlN2at6native12_GLOBAL__N_18offset_tEEE10hipError_tPvRmT1_PNSt15iterator_traitsISK_E10value_typeET2_T3_PNSL_ISQ_E10value_typeET4_jRbjT5_SW_jjP12ihipStream_tbEUlT_E_NS1_11comp_targetILNS1_3genE3ELNS1_11target_archE908ELNS1_3gpuE7ELNS1_3repE0EEENS1_30default_config_static_selectorELNS0_4arch9wavefront6targetE0EEEvSK_,@function
_ZN7rocprim17ROCPRIM_400000_NS6detail17trampoline_kernelINS0_14default_configENS1_36segmented_radix_sort_config_selectorIdlEEZNS1_25segmented_radix_sort_implIS3_Lb1EPKdPdPKlPlN2at6native12_GLOBAL__N_18offset_tEEE10hipError_tPvRmT1_PNSt15iterator_traitsISK_E10value_typeET2_T3_PNSL_ISQ_E10value_typeET4_jRbjT5_SW_jjP12ihipStream_tbEUlT_E_NS1_11comp_targetILNS1_3genE3ELNS1_11target_archE908ELNS1_3gpuE7ELNS1_3repE0EEENS1_30default_config_static_selectorELNS0_4arch9wavefront6targetE0EEEvSK_: ; @_ZN7rocprim17ROCPRIM_400000_NS6detail17trampoline_kernelINS0_14default_configENS1_36segmented_radix_sort_config_selectorIdlEEZNS1_25segmented_radix_sort_implIS3_Lb1EPKdPdPKlPlN2at6native12_GLOBAL__N_18offset_tEEE10hipError_tPvRmT1_PNSt15iterator_traitsISK_E10value_typeET2_T3_PNSL_ISQ_E10value_typeET4_jRbjT5_SW_jjP12ihipStream_tbEUlT_E_NS1_11comp_targetILNS1_3genE3ELNS1_11target_archE908ELNS1_3gpuE7ELNS1_3repE0EEENS1_30default_config_static_selectorELNS0_4arch9wavefront6targetE0EEEvSK_
; %bb.0:
	.section	.rodata,"a",@progbits
	.p2align	6, 0x0
	.amdhsa_kernel _ZN7rocprim17ROCPRIM_400000_NS6detail17trampoline_kernelINS0_14default_configENS1_36segmented_radix_sort_config_selectorIdlEEZNS1_25segmented_radix_sort_implIS3_Lb1EPKdPdPKlPlN2at6native12_GLOBAL__N_18offset_tEEE10hipError_tPvRmT1_PNSt15iterator_traitsISK_E10value_typeET2_T3_PNSL_ISQ_E10value_typeET4_jRbjT5_SW_jjP12ihipStream_tbEUlT_E_NS1_11comp_targetILNS1_3genE3ELNS1_11target_archE908ELNS1_3gpuE7ELNS1_3repE0EEENS1_30default_config_static_selectorELNS0_4arch9wavefront6targetE0EEEvSK_
		.amdhsa_group_segment_fixed_size 0
		.amdhsa_private_segment_fixed_size 0
		.amdhsa_kernarg_size 96
		.amdhsa_user_sgpr_count 15
		.amdhsa_user_sgpr_dispatch_ptr 0
		.amdhsa_user_sgpr_queue_ptr 0
		.amdhsa_user_sgpr_kernarg_segment_ptr 1
		.amdhsa_user_sgpr_dispatch_id 0
		.amdhsa_user_sgpr_private_segment_size 0
		.amdhsa_wavefront_size32 1
		.amdhsa_uses_dynamic_stack 0
		.amdhsa_enable_private_segment 0
		.amdhsa_system_sgpr_workgroup_id_x 1
		.amdhsa_system_sgpr_workgroup_id_y 0
		.amdhsa_system_sgpr_workgroup_id_z 0
		.amdhsa_system_sgpr_workgroup_info 0
		.amdhsa_system_vgpr_workitem_id 0
		.amdhsa_next_free_vgpr 1
		.amdhsa_next_free_sgpr 1
		.amdhsa_reserve_vcc 0
		.amdhsa_float_round_mode_32 0
		.amdhsa_float_round_mode_16_64 0
		.amdhsa_float_denorm_mode_32 3
		.amdhsa_float_denorm_mode_16_64 3
		.amdhsa_dx10_clamp 1
		.amdhsa_ieee_mode 1
		.amdhsa_fp16_overflow 0
		.amdhsa_workgroup_processor_mode 1
		.amdhsa_memory_ordered 1
		.amdhsa_forward_progress 0
		.amdhsa_shared_vgpr_count 0
		.amdhsa_exception_fp_ieee_invalid_op 0
		.amdhsa_exception_fp_denorm_src 0
		.amdhsa_exception_fp_ieee_div_zero 0
		.amdhsa_exception_fp_ieee_overflow 0
		.amdhsa_exception_fp_ieee_underflow 0
		.amdhsa_exception_fp_ieee_inexact 0
		.amdhsa_exception_int_div_zero 0
	.end_amdhsa_kernel
	.section	.text._ZN7rocprim17ROCPRIM_400000_NS6detail17trampoline_kernelINS0_14default_configENS1_36segmented_radix_sort_config_selectorIdlEEZNS1_25segmented_radix_sort_implIS3_Lb1EPKdPdPKlPlN2at6native12_GLOBAL__N_18offset_tEEE10hipError_tPvRmT1_PNSt15iterator_traitsISK_E10value_typeET2_T3_PNSL_ISQ_E10value_typeET4_jRbjT5_SW_jjP12ihipStream_tbEUlT_E_NS1_11comp_targetILNS1_3genE3ELNS1_11target_archE908ELNS1_3gpuE7ELNS1_3repE0EEENS1_30default_config_static_selectorELNS0_4arch9wavefront6targetE0EEEvSK_,"axG",@progbits,_ZN7rocprim17ROCPRIM_400000_NS6detail17trampoline_kernelINS0_14default_configENS1_36segmented_radix_sort_config_selectorIdlEEZNS1_25segmented_radix_sort_implIS3_Lb1EPKdPdPKlPlN2at6native12_GLOBAL__N_18offset_tEEE10hipError_tPvRmT1_PNSt15iterator_traitsISK_E10value_typeET2_T3_PNSL_ISQ_E10value_typeET4_jRbjT5_SW_jjP12ihipStream_tbEUlT_E_NS1_11comp_targetILNS1_3genE3ELNS1_11target_archE908ELNS1_3gpuE7ELNS1_3repE0EEENS1_30default_config_static_selectorELNS0_4arch9wavefront6targetE0EEEvSK_,comdat
.Lfunc_end1121:
	.size	_ZN7rocprim17ROCPRIM_400000_NS6detail17trampoline_kernelINS0_14default_configENS1_36segmented_radix_sort_config_selectorIdlEEZNS1_25segmented_radix_sort_implIS3_Lb1EPKdPdPKlPlN2at6native12_GLOBAL__N_18offset_tEEE10hipError_tPvRmT1_PNSt15iterator_traitsISK_E10value_typeET2_T3_PNSL_ISQ_E10value_typeET4_jRbjT5_SW_jjP12ihipStream_tbEUlT_E_NS1_11comp_targetILNS1_3genE3ELNS1_11target_archE908ELNS1_3gpuE7ELNS1_3repE0EEENS1_30default_config_static_selectorELNS0_4arch9wavefront6targetE0EEEvSK_, .Lfunc_end1121-_ZN7rocprim17ROCPRIM_400000_NS6detail17trampoline_kernelINS0_14default_configENS1_36segmented_radix_sort_config_selectorIdlEEZNS1_25segmented_radix_sort_implIS3_Lb1EPKdPdPKlPlN2at6native12_GLOBAL__N_18offset_tEEE10hipError_tPvRmT1_PNSt15iterator_traitsISK_E10value_typeET2_T3_PNSL_ISQ_E10value_typeET4_jRbjT5_SW_jjP12ihipStream_tbEUlT_E_NS1_11comp_targetILNS1_3genE3ELNS1_11target_archE908ELNS1_3gpuE7ELNS1_3repE0EEENS1_30default_config_static_selectorELNS0_4arch9wavefront6targetE0EEEvSK_
                                        ; -- End function
	.section	.AMDGPU.csdata,"",@progbits
; Kernel info:
; codeLenInByte = 0
; NumSgprs: 0
; NumVgprs: 0
; ScratchSize: 0
; MemoryBound: 0
; FloatMode: 240
; IeeeMode: 1
; LDSByteSize: 0 bytes/workgroup (compile time only)
; SGPRBlocks: 0
; VGPRBlocks: 0
; NumSGPRsForWavesPerEU: 1
; NumVGPRsForWavesPerEU: 1
; Occupancy: 16
; WaveLimiterHint : 0
; COMPUTE_PGM_RSRC2:SCRATCH_EN: 0
; COMPUTE_PGM_RSRC2:USER_SGPR: 15
; COMPUTE_PGM_RSRC2:TRAP_HANDLER: 0
; COMPUTE_PGM_RSRC2:TGID_X_EN: 1
; COMPUTE_PGM_RSRC2:TGID_Y_EN: 0
; COMPUTE_PGM_RSRC2:TGID_Z_EN: 0
; COMPUTE_PGM_RSRC2:TIDIG_COMP_CNT: 0
	.section	.text._ZN7rocprim17ROCPRIM_400000_NS6detail17trampoline_kernelINS0_14default_configENS1_36segmented_radix_sort_config_selectorIdlEEZNS1_25segmented_radix_sort_implIS3_Lb1EPKdPdPKlPlN2at6native12_GLOBAL__N_18offset_tEEE10hipError_tPvRmT1_PNSt15iterator_traitsISK_E10value_typeET2_T3_PNSL_ISQ_E10value_typeET4_jRbjT5_SW_jjP12ihipStream_tbEUlT_E_NS1_11comp_targetILNS1_3genE2ELNS1_11target_archE906ELNS1_3gpuE6ELNS1_3repE0EEENS1_30default_config_static_selectorELNS0_4arch9wavefront6targetE0EEEvSK_,"axG",@progbits,_ZN7rocprim17ROCPRIM_400000_NS6detail17trampoline_kernelINS0_14default_configENS1_36segmented_radix_sort_config_selectorIdlEEZNS1_25segmented_radix_sort_implIS3_Lb1EPKdPdPKlPlN2at6native12_GLOBAL__N_18offset_tEEE10hipError_tPvRmT1_PNSt15iterator_traitsISK_E10value_typeET2_T3_PNSL_ISQ_E10value_typeET4_jRbjT5_SW_jjP12ihipStream_tbEUlT_E_NS1_11comp_targetILNS1_3genE2ELNS1_11target_archE906ELNS1_3gpuE6ELNS1_3repE0EEENS1_30default_config_static_selectorELNS0_4arch9wavefront6targetE0EEEvSK_,comdat
	.globl	_ZN7rocprim17ROCPRIM_400000_NS6detail17trampoline_kernelINS0_14default_configENS1_36segmented_radix_sort_config_selectorIdlEEZNS1_25segmented_radix_sort_implIS3_Lb1EPKdPdPKlPlN2at6native12_GLOBAL__N_18offset_tEEE10hipError_tPvRmT1_PNSt15iterator_traitsISK_E10value_typeET2_T3_PNSL_ISQ_E10value_typeET4_jRbjT5_SW_jjP12ihipStream_tbEUlT_E_NS1_11comp_targetILNS1_3genE2ELNS1_11target_archE906ELNS1_3gpuE6ELNS1_3repE0EEENS1_30default_config_static_selectorELNS0_4arch9wavefront6targetE0EEEvSK_ ; -- Begin function _ZN7rocprim17ROCPRIM_400000_NS6detail17trampoline_kernelINS0_14default_configENS1_36segmented_radix_sort_config_selectorIdlEEZNS1_25segmented_radix_sort_implIS3_Lb1EPKdPdPKlPlN2at6native12_GLOBAL__N_18offset_tEEE10hipError_tPvRmT1_PNSt15iterator_traitsISK_E10value_typeET2_T3_PNSL_ISQ_E10value_typeET4_jRbjT5_SW_jjP12ihipStream_tbEUlT_E_NS1_11comp_targetILNS1_3genE2ELNS1_11target_archE906ELNS1_3gpuE6ELNS1_3repE0EEENS1_30default_config_static_selectorELNS0_4arch9wavefront6targetE0EEEvSK_
	.p2align	8
	.type	_ZN7rocprim17ROCPRIM_400000_NS6detail17trampoline_kernelINS0_14default_configENS1_36segmented_radix_sort_config_selectorIdlEEZNS1_25segmented_radix_sort_implIS3_Lb1EPKdPdPKlPlN2at6native12_GLOBAL__N_18offset_tEEE10hipError_tPvRmT1_PNSt15iterator_traitsISK_E10value_typeET2_T3_PNSL_ISQ_E10value_typeET4_jRbjT5_SW_jjP12ihipStream_tbEUlT_E_NS1_11comp_targetILNS1_3genE2ELNS1_11target_archE906ELNS1_3gpuE6ELNS1_3repE0EEENS1_30default_config_static_selectorELNS0_4arch9wavefront6targetE0EEEvSK_,@function
_ZN7rocprim17ROCPRIM_400000_NS6detail17trampoline_kernelINS0_14default_configENS1_36segmented_radix_sort_config_selectorIdlEEZNS1_25segmented_radix_sort_implIS3_Lb1EPKdPdPKlPlN2at6native12_GLOBAL__N_18offset_tEEE10hipError_tPvRmT1_PNSt15iterator_traitsISK_E10value_typeET2_T3_PNSL_ISQ_E10value_typeET4_jRbjT5_SW_jjP12ihipStream_tbEUlT_E_NS1_11comp_targetILNS1_3genE2ELNS1_11target_archE906ELNS1_3gpuE6ELNS1_3repE0EEENS1_30default_config_static_selectorELNS0_4arch9wavefront6targetE0EEEvSK_: ; @_ZN7rocprim17ROCPRIM_400000_NS6detail17trampoline_kernelINS0_14default_configENS1_36segmented_radix_sort_config_selectorIdlEEZNS1_25segmented_radix_sort_implIS3_Lb1EPKdPdPKlPlN2at6native12_GLOBAL__N_18offset_tEEE10hipError_tPvRmT1_PNSt15iterator_traitsISK_E10value_typeET2_T3_PNSL_ISQ_E10value_typeET4_jRbjT5_SW_jjP12ihipStream_tbEUlT_E_NS1_11comp_targetILNS1_3genE2ELNS1_11target_archE906ELNS1_3gpuE6ELNS1_3repE0EEENS1_30default_config_static_selectorELNS0_4arch9wavefront6targetE0EEEvSK_
; %bb.0:
	.section	.rodata,"a",@progbits
	.p2align	6, 0x0
	.amdhsa_kernel _ZN7rocprim17ROCPRIM_400000_NS6detail17trampoline_kernelINS0_14default_configENS1_36segmented_radix_sort_config_selectorIdlEEZNS1_25segmented_radix_sort_implIS3_Lb1EPKdPdPKlPlN2at6native12_GLOBAL__N_18offset_tEEE10hipError_tPvRmT1_PNSt15iterator_traitsISK_E10value_typeET2_T3_PNSL_ISQ_E10value_typeET4_jRbjT5_SW_jjP12ihipStream_tbEUlT_E_NS1_11comp_targetILNS1_3genE2ELNS1_11target_archE906ELNS1_3gpuE6ELNS1_3repE0EEENS1_30default_config_static_selectorELNS0_4arch9wavefront6targetE0EEEvSK_
		.amdhsa_group_segment_fixed_size 0
		.amdhsa_private_segment_fixed_size 0
		.amdhsa_kernarg_size 96
		.amdhsa_user_sgpr_count 15
		.amdhsa_user_sgpr_dispatch_ptr 0
		.amdhsa_user_sgpr_queue_ptr 0
		.amdhsa_user_sgpr_kernarg_segment_ptr 1
		.amdhsa_user_sgpr_dispatch_id 0
		.amdhsa_user_sgpr_private_segment_size 0
		.amdhsa_wavefront_size32 1
		.amdhsa_uses_dynamic_stack 0
		.amdhsa_enable_private_segment 0
		.amdhsa_system_sgpr_workgroup_id_x 1
		.amdhsa_system_sgpr_workgroup_id_y 0
		.amdhsa_system_sgpr_workgroup_id_z 0
		.amdhsa_system_sgpr_workgroup_info 0
		.amdhsa_system_vgpr_workitem_id 0
		.amdhsa_next_free_vgpr 1
		.amdhsa_next_free_sgpr 1
		.amdhsa_reserve_vcc 0
		.amdhsa_float_round_mode_32 0
		.amdhsa_float_round_mode_16_64 0
		.amdhsa_float_denorm_mode_32 3
		.amdhsa_float_denorm_mode_16_64 3
		.amdhsa_dx10_clamp 1
		.amdhsa_ieee_mode 1
		.amdhsa_fp16_overflow 0
		.amdhsa_workgroup_processor_mode 1
		.amdhsa_memory_ordered 1
		.amdhsa_forward_progress 0
		.amdhsa_shared_vgpr_count 0
		.amdhsa_exception_fp_ieee_invalid_op 0
		.amdhsa_exception_fp_denorm_src 0
		.amdhsa_exception_fp_ieee_div_zero 0
		.amdhsa_exception_fp_ieee_overflow 0
		.amdhsa_exception_fp_ieee_underflow 0
		.amdhsa_exception_fp_ieee_inexact 0
		.amdhsa_exception_int_div_zero 0
	.end_amdhsa_kernel
	.section	.text._ZN7rocprim17ROCPRIM_400000_NS6detail17trampoline_kernelINS0_14default_configENS1_36segmented_radix_sort_config_selectorIdlEEZNS1_25segmented_radix_sort_implIS3_Lb1EPKdPdPKlPlN2at6native12_GLOBAL__N_18offset_tEEE10hipError_tPvRmT1_PNSt15iterator_traitsISK_E10value_typeET2_T3_PNSL_ISQ_E10value_typeET4_jRbjT5_SW_jjP12ihipStream_tbEUlT_E_NS1_11comp_targetILNS1_3genE2ELNS1_11target_archE906ELNS1_3gpuE6ELNS1_3repE0EEENS1_30default_config_static_selectorELNS0_4arch9wavefront6targetE0EEEvSK_,"axG",@progbits,_ZN7rocprim17ROCPRIM_400000_NS6detail17trampoline_kernelINS0_14default_configENS1_36segmented_radix_sort_config_selectorIdlEEZNS1_25segmented_radix_sort_implIS3_Lb1EPKdPdPKlPlN2at6native12_GLOBAL__N_18offset_tEEE10hipError_tPvRmT1_PNSt15iterator_traitsISK_E10value_typeET2_T3_PNSL_ISQ_E10value_typeET4_jRbjT5_SW_jjP12ihipStream_tbEUlT_E_NS1_11comp_targetILNS1_3genE2ELNS1_11target_archE906ELNS1_3gpuE6ELNS1_3repE0EEENS1_30default_config_static_selectorELNS0_4arch9wavefront6targetE0EEEvSK_,comdat
.Lfunc_end1122:
	.size	_ZN7rocprim17ROCPRIM_400000_NS6detail17trampoline_kernelINS0_14default_configENS1_36segmented_radix_sort_config_selectorIdlEEZNS1_25segmented_radix_sort_implIS3_Lb1EPKdPdPKlPlN2at6native12_GLOBAL__N_18offset_tEEE10hipError_tPvRmT1_PNSt15iterator_traitsISK_E10value_typeET2_T3_PNSL_ISQ_E10value_typeET4_jRbjT5_SW_jjP12ihipStream_tbEUlT_E_NS1_11comp_targetILNS1_3genE2ELNS1_11target_archE906ELNS1_3gpuE6ELNS1_3repE0EEENS1_30default_config_static_selectorELNS0_4arch9wavefront6targetE0EEEvSK_, .Lfunc_end1122-_ZN7rocprim17ROCPRIM_400000_NS6detail17trampoline_kernelINS0_14default_configENS1_36segmented_radix_sort_config_selectorIdlEEZNS1_25segmented_radix_sort_implIS3_Lb1EPKdPdPKlPlN2at6native12_GLOBAL__N_18offset_tEEE10hipError_tPvRmT1_PNSt15iterator_traitsISK_E10value_typeET2_T3_PNSL_ISQ_E10value_typeET4_jRbjT5_SW_jjP12ihipStream_tbEUlT_E_NS1_11comp_targetILNS1_3genE2ELNS1_11target_archE906ELNS1_3gpuE6ELNS1_3repE0EEENS1_30default_config_static_selectorELNS0_4arch9wavefront6targetE0EEEvSK_
                                        ; -- End function
	.section	.AMDGPU.csdata,"",@progbits
; Kernel info:
; codeLenInByte = 0
; NumSgprs: 0
; NumVgprs: 0
; ScratchSize: 0
; MemoryBound: 0
; FloatMode: 240
; IeeeMode: 1
; LDSByteSize: 0 bytes/workgroup (compile time only)
; SGPRBlocks: 0
; VGPRBlocks: 0
; NumSGPRsForWavesPerEU: 1
; NumVGPRsForWavesPerEU: 1
; Occupancy: 16
; WaveLimiterHint : 0
; COMPUTE_PGM_RSRC2:SCRATCH_EN: 0
; COMPUTE_PGM_RSRC2:USER_SGPR: 15
; COMPUTE_PGM_RSRC2:TRAP_HANDLER: 0
; COMPUTE_PGM_RSRC2:TGID_X_EN: 1
; COMPUTE_PGM_RSRC2:TGID_Y_EN: 0
; COMPUTE_PGM_RSRC2:TGID_Z_EN: 0
; COMPUTE_PGM_RSRC2:TIDIG_COMP_CNT: 0
	.section	.text._ZN7rocprim17ROCPRIM_400000_NS6detail17trampoline_kernelINS0_14default_configENS1_36segmented_radix_sort_config_selectorIdlEEZNS1_25segmented_radix_sort_implIS3_Lb1EPKdPdPKlPlN2at6native12_GLOBAL__N_18offset_tEEE10hipError_tPvRmT1_PNSt15iterator_traitsISK_E10value_typeET2_T3_PNSL_ISQ_E10value_typeET4_jRbjT5_SW_jjP12ihipStream_tbEUlT_E_NS1_11comp_targetILNS1_3genE10ELNS1_11target_archE1201ELNS1_3gpuE5ELNS1_3repE0EEENS1_30default_config_static_selectorELNS0_4arch9wavefront6targetE0EEEvSK_,"axG",@progbits,_ZN7rocprim17ROCPRIM_400000_NS6detail17trampoline_kernelINS0_14default_configENS1_36segmented_radix_sort_config_selectorIdlEEZNS1_25segmented_radix_sort_implIS3_Lb1EPKdPdPKlPlN2at6native12_GLOBAL__N_18offset_tEEE10hipError_tPvRmT1_PNSt15iterator_traitsISK_E10value_typeET2_T3_PNSL_ISQ_E10value_typeET4_jRbjT5_SW_jjP12ihipStream_tbEUlT_E_NS1_11comp_targetILNS1_3genE10ELNS1_11target_archE1201ELNS1_3gpuE5ELNS1_3repE0EEENS1_30default_config_static_selectorELNS0_4arch9wavefront6targetE0EEEvSK_,comdat
	.globl	_ZN7rocprim17ROCPRIM_400000_NS6detail17trampoline_kernelINS0_14default_configENS1_36segmented_radix_sort_config_selectorIdlEEZNS1_25segmented_radix_sort_implIS3_Lb1EPKdPdPKlPlN2at6native12_GLOBAL__N_18offset_tEEE10hipError_tPvRmT1_PNSt15iterator_traitsISK_E10value_typeET2_T3_PNSL_ISQ_E10value_typeET4_jRbjT5_SW_jjP12ihipStream_tbEUlT_E_NS1_11comp_targetILNS1_3genE10ELNS1_11target_archE1201ELNS1_3gpuE5ELNS1_3repE0EEENS1_30default_config_static_selectorELNS0_4arch9wavefront6targetE0EEEvSK_ ; -- Begin function _ZN7rocprim17ROCPRIM_400000_NS6detail17trampoline_kernelINS0_14default_configENS1_36segmented_radix_sort_config_selectorIdlEEZNS1_25segmented_radix_sort_implIS3_Lb1EPKdPdPKlPlN2at6native12_GLOBAL__N_18offset_tEEE10hipError_tPvRmT1_PNSt15iterator_traitsISK_E10value_typeET2_T3_PNSL_ISQ_E10value_typeET4_jRbjT5_SW_jjP12ihipStream_tbEUlT_E_NS1_11comp_targetILNS1_3genE10ELNS1_11target_archE1201ELNS1_3gpuE5ELNS1_3repE0EEENS1_30default_config_static_selectorELNS0_4arch9wavefront6targetE0EEEvSK_
	.p2align	8
	.type	_ZN7rocprim17ROCPRIM_400000_NS6detail17trampoline_kernelINS0_14default_configENS1_36segmented_radix_sort_config_selectorIdlEEZNS1_25segmented_radix_sort_implIS3_Lb1EPKdPdPKlPlN2at6native12_GLOBAL__N_18offset_tEEE10hipError_tPvRmT1_PNSt15iterator_traitsISK_E10value_typeET2_T3_PNSL_ISQ_E10value_typeET4_jRbjT5_SW_jjP12ihipStream_tbEUlT_E_NS1_11comp_targetILNS1_3genE10ELNS1_11target_archE1201ELNS1_3gpuE5ELNS1_3repE0EEENS1_30default_config_static_selectorELNS0_4arch9wavefront6targetE0EEEvSK_,@function
_ZN7rocprim17ROCPRIM_400000_NS6detail17trampoline_kernelINS0_14default_configENS1_36segmented_radix_sort_config_selectorIdlEEZNS1_25segmented_radix_sort_implIS3_Lb1EPKdPdPKlPlN2at6native12_GLOBAL__N_18offset_tEEE10hipError_tPvRmT1_PNSt15iterator_traitsISK_E10value_typeET2_T3_PNSL_ISQ_E10value_typeET4_jRbjT5_SW_jjP12ihipStream_tbEUlT_E_NS1_11comp_targetILNS1_3genE10ELNS1_11target_archE1201ELNS1_3gpuE5ELNS1_3repE0EEENS1_30default_config_static_selectorELNS0_4arch9wavefront6targetE0EEEvSK_: ; @_ZN7rocprim17ROCPRIM_400000_NS6detail17trampoline_kernelINS0_14default_configENS1_36segmented_radix_sort_config_selectorIdlEEZNS1_25segmented_radix_sort_implIS3_Lb1EPKdPdPKlPlN2at6native12_GLOBAL__N_18offset_tEEE10hipError_tPvRmT1_PNSt15iterator_traitsISK_E10value_typeET2_T3_PNSL_ISQ_E10value_typeET4_jRbjT5_SW_jjP12ihipStream_tbEUlT_E_NS1_11comp_targetILNS1_3genE10ELNS1_11target_archE1201ELNS1_3gpuE5ELNS1_3repE0EEENS1_30default_config_static_selectorELNS0_4arch9wavefront6targetE0EEEvSK_
; %bb.0:
	.section	.rodata,"a",@progbits
	.p2align	6, 0x0
	.amdhsa_kernel _ZN7rocprim17ROCPRIM_400000_NS6detail17trampoline_kernelINS0_14default_configENS1_36segmented_radix_sort_config_selectorIdlEEZNS1_25segmented_radix_sort_implIS3_Lb1EPKdPdPKlPlN2at6native12_GLOBAL__N_18offset_tEEE10hipError_tPvRmT1_PNSt15iterator_traitsISK_E10value_typeET2_T3_PNSL_ISQ_E10value_typeET4_jRbjT5_SW_jjP12ihipStream_tbEUlT_E_NS1_11comp_targetILNS1_3genE10ELNS1_11target_archE1201ELNS1_3gpuE5ELNS1_3repE0EEENS1_30default_config_static_selectorELNS0_4arch9wavefront6targetE0EEEvSK_
		.amdhsa_group_segment_fixed_size 0
		.amdhsa_private_segment_fixed_size 0
		.amdhsa_kernarg_size 96
		.amdhsa_user_sgpr_count 15
		.amdhsa_user_sgpr_dispatch_ptr 0
		.amdhsa_user_sgpr_queue_ptr 0
		.amdhsa_user_sgpr_kernarg_segment_ptr 1
		.amdhsa_user_sgpr_dispatch_id 0
		.amdhsa_user_sgpr_private_segment_size 0
		.amdhsa_wavefront_size32 1
		.amdhsa_uses_dynamic_stack 0
		.amdhsa_enable_private_segment 0
		.amdhsa_system_sgpr_workgroup_id_x 1
		.amdhsa_system_sgpr_workgroup_id_y 0
		.amdhsa_system_sgpr_workgroup_id_z 0
		.amdhsa_system_sgpr_workgroup_info 0
		.amdhsa_system_vgpr_workitem_id 0
		.amdhsa_next_free_vgpr 1
		.amdhsa_next_free_sgpr 1
		.amdhsa_reserve_vcc 0
		.amdhsa_float_round_mode_32 0
		.amdhsa_float_round_mode_16_64 0
		.amdhsa_float_denorm_mode_32 3
		.amdhsa_float_denorm_mode_16_64 3
		.amdhsa_dx10_clamp 1
		.amdhsa_ieee_mode 1
		.amdhsa_fp16_overflow 0
		.amdhsa_workgroup_processor_mode 1
		.amdhsa_memory_ordered 1
		.amdhsa_forward_progress 0
		.amdhsa_shared_vgpr_count 0
		.amdhsa_exception_fp_ieee_invalid_op 0
		.amdhsa_exception_fp_denorm_src 0
		.amdhsa_exception_fp_ieee_div_zero 0
		.amdhsa_exception_fp_ieee_overflow 0
		.amdhsa_exception_fp_ieee_underflow 0
		.amdhsa_exception_fp_ieee_inexact 0
		.amdhsa_exception_int_div_zero 0
	.end_amdhsa_kernel
	.section	.text._ZN7rocprim17ROCPRIM_400000_NS6detail17trampoline_kernelINS0_14default_configENS1_36segmented_radix_sort_config_selectorIdlEEZNS1_25segmented_radix_sort_implIS3_Lb1EPKdPdPKlPlN2at6native12_GLOBAL__N_18offset_tEEE10hipError_tPvRmT1_PNSt15iterator_traitsISK_E10value_typeET2_T3_PNSL_ISQ_E10value_typeET4_jRbjT5_SW_jjP12ihipStream_tbEUlT_E_NS1_11comp_targetILNS1_3genE10ELNS1_11target_archE1201ELNS1_3gpuE5ELNS1_3repE0EEENS1_30default_config_static_selectorELNS0_4arch9wavefront6targetE0EEEvSK_,"axG",@progbits,_ZN7rocprim17ROCPRIM_400000_NS6detail17trampoline_kernelINS0_14default_configENS1_36segmented_radix_sort_config_selectorIdlEEZNS1_25segmented_radix_sort_implIS3_Lb1EPKdPdPKlPlN2at6native12_GLOBAL__N_18offset_tEEE10hipError_tPvRmT1_PNSt15iterator_traitsISK_E10value_typeET2_T3_PNSL_ISQ_E10value_typeET4_jRbjT5_SW_jjP12ihipStream_tbEUlT_E_NS1_11comp_targetILNS1_3genE10ELNS1_11target_archE1201ELNS1_3gpuE5ELNS1_3repE0EEENS1_30default_config_static_selectorELNS0_4arch9wavefront6targetE0EEEvSK_,comdat
.Lfunc_end1123:
	.size	_ZN7rocprim17ROCPRIM_400000_NS6detail17trampoline_kernelINS0_14default_configENS1_36segmented_radix_sort_config_selectorIdlEEZNS1_25segmented_radix_sort_implIS3_Lb1EPKdPdPKlPlN2at6native12_GLOBAL__N_18offset_tEEE10hipError_tPvRmT1_PNSt15iterator_traitsISK_E10value_typeET2_T3_PNSL_ISQ_E10value_typeET4_jRbjT5_SW_jjP12ihipStream_tbEUlT_E_NS1_11comp_targetILNS1_3genE10ELNS1_11target_archE1201ELNS1_3gpuE5ELNS1_3repE0EEENS1_30default_config_static_selectorELNS0_4arch9wavefront6targetE0EEEvSK_, .Lfunc_end1123-_ZN7rocprim17ROCPRIM_400000_NS6detail17trampoline_kernelINS0_14default_configENS1_36segmented_radix_sort_config_selectorIdlEEZNS1_25segmented_radix_sort_implIS3_Lb1EPKdPdPKlPlN2at6native12_GLOBAL__N_18offset_tEEE10hipError_tPvRmT1_PNSt15iterator_traitsISK_E10value_typeET2_T3_PNSL_ISQ_E10value_typeET4_jRbjT5_SW_jjP12ihipStream_tbEUlT_E_NS1_11comp_targetILNS1_3genE10ELNS1_11target_archE1201ELNS1_3gpuE5ELNS1_3repE0EEENS1_30default_config_static_selectorELNS0_4arch9wavefront6targetE0EEEvSK_
                                        ; -- End function
	.section	.AMDGPU.csdata,"",@progbits
; Kernel info:
; codeLenInByte = 0
; NumSgprs: 0
; NumVgprs: 0
; ScratchSize: 0
; MemoryBound: 0
; FloatMode: 240
; IeeeMode: 1
; LDSByteSize: 0 bytes/workgroup (compile time only)
; SGPRBlocks: 0
; VGPRBlocks: 0
; NumSGPRsForWavesPerEU: 1
; NumVGPRsForWavesPerEU: 1
; Occupancy: 16
; WaveLimiterHint : 0
; COMPUTE_PGM_RSRC2:SCRATCH_EN: 0
; COMPUTE_PGM_RSRC2:USER_SGPR: 15
; COMPUTE_PGM_RSRC2:TRAP_HANDLER: 0
; COMPUTE_PGM_RSRC2:TGID_X_EN: 1
; COMPUTE_PGM_RSRC2:TGID_Y_EN: 0
; COMPUTE_PGM_RSRC2:TGID_Z_EN: 0
; COMPUTE_PGM_RSRC2:TIDIG_COMP_CNT: 0
	.section	.text._ZN7rocprim17ROCPRIM_400000_NS6detail17trampoline_kernelINS0_14default_configENS1_36segmented_radix_sort_config_selectorIdlEEZNS1_25segmented_radix_sort_implIS3_Lb1EPKdPdPKlPlN2at6native12_GLOBAL__N_18offset_tEEE10hipError_tPvRmT1_PNSt15iterator_traitsISK_E10value_typeET2_T3_PNSL_ISQ_E10value_typeET4_jRbjT5_SW_jjP12ihipStream_tbEUlT_E_NS1_11comp_targetILNS1_3genE10ELNS1_11target_archE1200ELNS1_3gpuE4ELNS1_3repE0EEENS1_30default_config_static_selectorELNS0_4arch9wavefront6targetE0EEEvSK_,"axG",@progbits,_ZN7rocprim17ROCPRIM_400000_NS6detail17trampoline_kernelINS0_14default_configENS1_36segmented_radix_sort_config_selectorIdlEEZNS1_25segmented_radix_sort_implIS3_Lb1EPKdPdPKlPlN2at6native12_GLOBAL__N_18offset_tEEE10hipError_tPvRmT1_PNSt15iterator_traitsISK_E10value_typeET2_T3_PNSL_ISQ_E10value_typeET4_jRbjT5_SW_jjP12ihipStream_tbEUlT_E_NS1_11comp_targetILNS1_3genE10ELNS1_11target_archE1200ELNS1_3gpuE4ELNS1_3repE0EEENS1_30default_config_static_selectorELNS0_4arch9wavefront6targetE0EEEvSK_,comdat
	.globl	_ZN7rocprim17ROCPRIM_400000_NS6detail17trampoline_kernelINS0_14default_configENS1_36segmented_radix_sort_config_selectorIdlEEZNS1_25segmented_radix_sort_implIS3_Lb1EPKdPdPKlPlN2at6native12_GLOBAL__N_18offset_tEEE10hipError_tPvRmT1_PNSt15iterator_traitsISK_E10value_typeET2_T3_PNSL_ISQ_E10value_typeET4_jRbjT5_SW_jjP12ihipStream_tbEUlT_E_NS1_11comp_targetILNS1_3genE10ELNS1_11target_archE1200ELNS1_3gpuE4ELNS1_3repE0EEENS1_30default_config_static_selectorELNS0_4arch9wavefront6targetE0EEEvSK_ ; -- Begin function _ZN7rocprim17ROCPRIM_400000_NS6detail17trampoline_kernelINS0_14default_configENS1_36segmented_radix_sort_config_selectorIdlEEZNS1_25segmented_radix_sort_implIS3_Lb1EPKdPdPKlPlN2at6native12_GLOBAL__N_18offset_tEEE10hipError_tPvRmT1_PNSt15iterator_traitsISK_E10value_typeET2_T3_PNSL_ISQ_E10value_typeET4_jRbjT5_SW_jjP12ihipStream_tbEUlT_E_NS1_11comp_targetILNS1_3genE10ELNS1_11target_archE1200ELNS1_3gpuE4ELNS1_3repE0EEENS1_30default_config_static_selectorELNS0_4arch9wavefront6targetE0EEEvSK_
	.p2align	8
	.type	_ZN7rocprim17ROCPRIM_400000_NS6detail17trampoline_kernelINS0_14default_configENS1_36segmented_radix_sort_config_selectorIdlEEZNS1_25segmented_radix_sort_implIS3_Lb1EPKdPdPKlPlN2at6native12_GLOBAL__N_18offset_tEEE10hipError_tPvRmT1_PNSt15iterator_traitsISK_E10value_typeET2_T3_PNSL_ISQ_E10value_typeET4_jRbjT5_SW_jjP12ihipStream_tbEUlT_E_NS1_11comp_targetILNS1_3genE10ELNS1_11target_archE1200ELNS1_3gpuE4ELNS1_3repE0EEENS1_30default_config_static_selectorELNS0_4arch9wavefront6targetE0EEEvSK_,@function
_ZN7rocprim17ROCPRIM_400000_NS6detail17trampoline_kernelINS0_14default_configENS1_36segmented_radix_sort_config_selectorIdlEEZNS1_25segmented_radix_sort_implIS3_Lb1EPKdPdPKlPlN2at6native12_GLOBAL__N_18offset_tEEE10hipError_tPvRmT1_PNSt15iterator_traitsISK_E10value_typeET2_T3_PNSL_ISQ_E10value_typeET4_jRbjT5_SW_jjP12ihipStream_tbEUlT_E_NS1_11comp_targetILNS1_3genE10ELNS1_11target_archE1200ELNS1_3gpuE4ELNS1_3repE0EEENS1_30default_config_static_selectorELNS0_4arch9wavefront6targetE0EEEvSK_: ; @_ZN7rocprim17ROCPRIM_400000_NS6detail17trampoline_kernelINS0_14default_configENS1_36segmented_radix_sort_config_selectorIdlEEZNS1_25segmented_radix_sort_implIS3_Lb1EPKdPdPKlPlN2at6native12_GLOBAL__N_18offset_tEEE10hipError_tPvRmT1_PNSt15iterator_traitsISK_E10value_typeET2_T3_PNSL_ISQ_E10value_typeET4_jRbjT5_SW_jjP12ihipStream_tbEUlT_E_NS1_11comp_targetILNS1_3genE10ELNS1_11target_archE1200ELNS1_3gpuE4ELNS1_3repE0EEENS1_30default_config_static_selectorELNS0_4arch9wavefront6targetE0EEEvSK_
; %bb.0:
	.section	.rodata,"a",@progbits
	.p2align	6, 0x0
	.amdhsa_kernel _ZN7rocprim17ROCPRIM_400000_NS6detail17trampoline_kernelINS0_14default_configENS1_36segmented_radix_sort_config_selectorIdlEEZNS1_25segmented_radix_sort_implIS3_Lb1EPKdPdPKlPlN2at6native12_GLOBAL__N_18offset_tEEE10hipError_tPvRmT1_PNSt15iterator_traitsISK_E10value_typeET2_T3_PNSL_ISQ_E10value_typeET4_jRbjT5_SW_jjP12ihipStream_tbEUlT_E_NS1_11comp_targetILNS1_3genE10ELNS1_11target_archE1200ELNS1_3gpuE4ELNS1_3repE0EEENS1_30default_config_static_selectorELNS0_4arch9wavefront6targetE0EEEvSK_
		.amdhsa_group_segment_fixed_size 0
		.amdhsa_private_segment_fixed_size 0
		.amdhsa_kernarg_size 96
		.amdhsa_user_sgpr_count 15
		.amdhsa_user_sgpr_dispatch_ptr 0
		.amdhsa_user_sgpr_queue_ptr 0
		.amdhsa_user_sgpr_kernarg_segment_ptr 1
		.amdhsa_user_sgpr_dispatch_id 0
		.amdhsa_user_sgpr_private_segment_size 0
		.amdhsa_wavefront_size32 1
		.amdhsa_uses_dynamic_stack 0
		.amdhsa_enable_private_segment 0
		.amdhsa_system_sgpr_workgroup_id_x 1
		.amdhsa_system_sgpr_workgroup_id_y 0
		.amdhsa_system_sgpr_workgroup_id_z 0
		.amdhsa_system_sgpr_workgroup_info 0
		.amdhsa_system_vgpr_workitem_id 0
		.amdhsa_next_free_vgpr 1
		.amdhsa_next_free_sgpr 1
		.amdhsa_reserve_vcc 0
		.amdhsa_float_round_mode_32 0
		.amdhsa_float_round_mode_16_64 0
		.amdhsa_float_denorm_mode_32 3
		.amdhsa_float_denorm_mode_16_64 3
		.amdhsa_dx10_clamp 1
		.amdhsa_ieee_mode 1
		.amdhsa_fp16_overflow 0
		.amdhsa_workgroup_processor_mode 1
		.amdhsa_memory_ordered 1
		.amdhsa_forward_progress 0
		.amdhsa_shared_vgpr_count 0
		.amdhsa_exception_fp_ieee_invalid_op 0
		.amdhsa_exception_fp_denorm_src 0
		.amdhsa_exception_fp_ieee_div_zero 0
		.amdhsa_exception_fp_ieee_overflow 0
		.amdhsa_exception_fp_ieee_underflow 0
		.amdhsa_exception_fp_ieee_inexact 0
		.amdhsa_exception_int_div_zero 0
	.end_amdhsa_kernel
	.section	.text._ZN7rocprim17ROCPRIM_400000_NS6detail17trampoline_kernelINS0_14default_configENS1_36segmented_radix_sort_config_selectorIdlEEZNS1_25segmented_radix_sort_implIS3_Lb1EPKdPdPKlPlN2at6native12_GLOBAL__N_18offset_tEEE10hipError_tPvRmT1_PNSt15iterator_traitsISK_E10value_typeET2_T3_PNSL_ISQ_E10value_typeET4_jRbjT5_SW_jjP12ihipStream_tbEUlT_E_NS1_11comp_targetILNS1_3genE10ELNS1_11target_archE1200ELNS1_3gpuE4ELNS1_3repE0EEENS1_30default_config_static_selectorELNS0_4arch9wavefront6targetE0EEEvSK_,"axG",@progbits,_ZN7rocprim17ROCPRIM_400000_NS6detail17trampoline_kernelINS0_14default_configENS1_36segmented_radix_sort_config_selectorIdlEEZNS1_25segmented_radix_sort_implIS3_Lb1EPKdPdPKlPlN2at6native12_GLOBAL__N_18offset_tEEE10hipError_tPvRmT1_PNSt15iterator_traitsISK_E10value_typeET2_T3_PNSL_ISQ_E10value_typeET4_jRbjT5_SW_jjP12ihipStream_tbEUlT_E_NS1_11comp_targetILNS1_3genE10ELNS1_11target_archE1200ELNS1_3gpuE4ELNS1_3repE0EEENS1_30default_config_static_selectorELNS0_4arch9wavefront6targetE0EEEvSK_,comdat
.Lfunc_end1124:
	.size	_ZN7rocprim17ROCPRIM_400000_NS6detail17trampoline_kernelINS0_14default_configENS1_36segmented_radix_sort_config_selectorIdlEEZNS1_25segmented_radix_sort_implIS3_Lb1EPKdPdPKlPlN2at6native12_GLOBAL__N_18offset_tEEE10hipError_tPvRmT1_PNSt15iterator_traitsISK_E10value_typeET2_T3_PNSL_ISQ_E10value_typeET4_jRbjT5_SW_jjP12ihipStream_tbEUlT_E_NS1_11comp_targetILNS1_3genE10ELNS1_11target_archE1200ELNS1_3gpuE4ELNS1_3repE0EEENS1_30default_config_static_selectorELNS0_4arch9wavefront6targetE0EEEvSK_, .Lfunc_end1124-_ZN7rocprim17ROCPRIM_400000_NS6detail17trampoline_kernelINS0_14default_configENS1_36segmented_radix_sort_config_selectorIdlEEZNS1_25segmented_radix_sort_implIS3_Lb1EPKdPdPKlPlN2at6native12_GLOBAL__N_18offset_tEEE10hipError_tPvRmT1_PNSt15iterator_traitsISK_E10value_typeET2_T3_PNSL_ISQ_E10value_typeET4_jRbjT5_SW_jjP12ihipStream_tbEUlT_E_NS1_11comp_targetILNS1_3genE10ELNS1_11target_archE1200ELNS1_3gpuE4ELNS1_3repE0EEENS1_30default_config_static_selectorELNS0_4arch9wavefront6targetE0EEEvSK_
                                        ; -- End function
	.section	.AMDGPU.csdata,"",@progbits
; Kernel info:
; codeLenInByte = 0
; NumSgprs: 0
; NumVgprs: 0
; ScratchSize: 0
; MemoryBound: 0
; FloatMode: 240
; IeeeMode: 1
; LDSByteSize: 0 bytes/workgroup (compile time only)
; SGPRBlocks: 0
; VGPRBlocks: 0
; NumSGPRsForWavesPerEU: 1
; NumVGPRsForWavesPerEU: 1
; Occupancy: 16
; WaveLimiterHint : 0
; COMPUTE_PGM_RSRC2:SCRATCH_EN: 0
; COMPUTE_PGM_RSRC2:USER_SGPR: 15
; COMPUTE_PGM_RSRC2:TRAP_HANDLER: 0
; COMPUTE_PGM_RSRC2:TGID_X_EN: 1
; COMPUTE_PGM_RSRC2:TGID_Y_EN: 0
; COMPUTE_PGM_RSRC2:TGID_Z_EN: 0
; COMPUTE_PGM_RSRC2:TIDIG_COMP_CNT: 0
	.text
	.p2align	2                               ; -- Begin function _ZN7rocprim17ROCPRIM_400000_NS6detail40segmented_radix_sort_single_block_helperIdlLj256ELj16ELb1EE4sortIPKdPdPKlPlEEbT_T0_T1_T2_jjjjRNS3_12storage_typeE
	.type	_ZN7rocprim17ROCPRIM_400000_NS6detail40segmented_radix_sort_single_block_helperIdlLj256ELj16ELb1EE4sortIPKdPdPKlPlEEbT_T0_T1_T2_jjjjRNS3_12storage_typeE,@function
_ZN7rocprim17ROCPRIM_400000_NS6detail40segmented_radix_sort_single_block_helperIdlLj256ELj16ELb1EE4sortIPKdPdPKlPlEEbT_T0_T1_T2_jjjjRNS3_12storage_typeE: ; @_ZN7rocprim17ROCPRIM_400000_NS6detail40segmented_radix_sort_single_block_helperIdlLj256ELj16ELb1EE4sortIPKdPdPKlPlEEbT_T0_T1_T2_jjjjRNS3_12storage_typeE
; %bb.0:
	s_waitcnt vmcnt(0) expcnt(0) lgkmcnt(0)
	s_or_saveexec_b32 s0, -1
	scratch_store_b32 off, v136, s32 offset:192 ; 4-byte Folded Spill
	s_mov_b32 exec_lo, s0
	s_clause 0x1f
	scratch_store_b32 off, v40, s32 offset:188
	; meta instruction
	scratch_store_b32 off, v41, s32 offset:184
	; meta instruction
	scratch_store_b32 off, v42, s32 offset:180
	; meta instruction
	scratch_store_b32 off, v43, s32 offset:176
	; meta instruction
	scratch_store_b32 off, v44, s32 offset:172
	; meta instruction
	scratch_store_b32 off, v45, s32 offset:168
	; meta instruction
	scratch_store_b32 off, v46, s32 offset:164
	; meta instruction
	scratch_store_b32 off, v47, s32 offset:160
	; meta instruction
	scratch_store_b32 off, v56, s32 offset:156
	; meta instruction
	scratch_store_b32 off, v57, s32 offset:152
	; meta instruction
	scratch_store_b32 off, v58, s32 offset:148
	; meta instruction
	scratch_store_b32 off, v59, s32 offset:144
	; meta instruction
	scratch_store_b32 off, v60, s32 offset:140
	; meta instruction
	scratch_store_b32 off, v61, s32 offset:136
	; meta instruction
	scratch_store_b32 off, v62, s32 offset:132
	; meta instruction
	scratch_store_b32 off, v63, s32 offset:128
	; meta instruction
	scratch_store_b32 off, v72, s32 offset:124
	; meta instruction
	scratch_store_b32 off, v73, s32 offset:120
	; meta instruction
	scratch_store_b32 off, v74, s32 offset:116
	; meta instruction
	scratch_store_b32 off, v75, s32 offset:112
	; meta instruction
	scratch_store_b32 off, v76, s32 offset:108
	; meta instruction
	scratch_store_b32 off, v77, s32 offset:104
	; meta instruction
	scratch_store_b32 off, v78, s32 offset:100
	; meta instruction
	scratch_store_b32 off, v79, s32 offset:96
	; meta instruction
	scratch_store_b32 off, v88, s32 offset:92
	; meta instruction
	scratch_store_b32 off, v89, s32 offset:88
	; meta instruction
	scratch_store_b32 off, v90, s32 offset:84
	; meta instruction
	scratch_store_b32 off, v91, s32 offset:80
	; meta instruction
	scratch_store_b32 off, v92, s32 offset:76
	; meta instruction
	scratch_store_b32 off, v93, s32 offset:72
	; meta instruction
	scratch_store_b32 off, v94, s32 offset:68
	; meta instruction
	scratch_store_b32 off, v95, s32 offset:64
	s_clause 0xf
	scratch_store_b32 off, v104, s32 offset:60
	; meta instruction
	scratch_store_b32 off, v105, s32 offset:56
	; meta instruction
	;; [unrolled: 2-line block ×15, first 2 shown]
	scratch_store_b32 off, v127, s32
	v_writelane_b32 v136, s36, 0
	v_writelane_b32 v136, s37, 1
	v_writelane_b32 v136, s38, 2
	v_writelane_b32 v136, s39, 3
	v_writelane_b32 v136, s40, 4
	v_writelane_b32 v136, s41, 5
	v_writelane_b32 v136, s42, 6
	v_writelane_b32 v136, s43, 7
	v_sub_nc_u32_e32 v47, v9, v8
	s_mov_b32 s26, exec_lo
	s_delay_alu instid0(VALU_DEP_1)
	v_cmpx_gt_u32_e32 0x1001, v47
	s_cbranch_execz .LBB1125_372
; %bb.1:
	v_bfe_u32 v14, v31, 10, 10
	v_bfe_u32 v15, v31, 20, 10
	v_and_b32_e32 v26, 0x3ff, v31
	v_mbcnt_lo_u32_b32 v96, -1, 0
	s_mov_b32 s0, exec_lo
	v_cmpx_lt_u32_e32 0x800, v47
	s_xor_b32 s27, exec_lo, s0
	s_cbranch_execz .LBB1125_143
; %bb.2:
	s_load_b64 s[0:1], s[8:9], 0x0
	v_dual_mov_b32 v9, 0 :: v_dual_lshlrev_b32 v18, 3, v96
	s_waitcnt lgkmcnt(0)
	s_cmp_lt_u32 s13, s1
	s_cselect_b32 s1, 14, 20
	s_delay_alu instid0(SALU_CYCLE_1) | instskip(SKIP_4) | instid1(SALU_CYCLE_1)
	s_add_u32 s2, s8, s1
	s_addc_u32 s3, s9, 0
	s_cmp_lt_u32 s12, s0
	global_load_u16 v16, v9, s[2:3]
	s_cselect_b32 s0, 12, 18
	s_add_u32 s0, s8, s0
	s_addc_u32 s1, s9, 0
	global_load_u16 v17, v9, s[0:1]
	s_waitcnt vmcnt(1)
	v_mad_u32_u24 v14, v15, v16, v14
	s_waitcnt vmcnt(0)
	s_delay_alu instid0(VALU_DEP_1) | instskip(SKIP_2) | instid1(VALU_DEP_1)
	v_mad_u64_u32 v[24:25], null, v14, v17, v[26:27]
	v_mov_b32_e32 v27, -1
	v_mov_b32_e32 v28, -1
	v_mov_b32_e32 v32, v28
	s_delay_alu instid0(VALU_DEP_4) | instskip(SKIP_1) | instid1(VALU_DEP_2)
	v_lshlrev_b32_e32 v14, 4, v24
	v_lshlrev_b64 v[22:23], 3, v[8:9]
	v_dual_mov_b32 v31, v27 :: v_dual_and_b32 v8, 0xfffffe00, v14
	s_delay_alu instid0(VALU_DEP_2) | instskip(NEXT) | instid1(VALU_DEP_3)
	v_add_co_u32 v0, vcc_lo, v0, v22
	v_add_co_ci_u32_e32 v1, vcc_lo, v1, v23, vcc_lo
	s_delay_alu instid0(VALU_DEP_3) | instskip(NEXT) | instid1(VALU_DEP_3)
	v_lshlrev_b64 v[14:15], 3, v[8:9]
	v_add_co_u32 v0, vcc_lo, v0, v18
	v_or_b32_e32 v19, v8, v96
	s_delay_alu instid0(VALU_DEP_4) | instskip(NEXT) | instid1(VALU_DEP_3)
	v_add_co_ci_u32_e32 v1, vcc_lo, 0, v1, vcc_lo
	v_add_co_u32 v16, s0, v0, v14
	s_delay_alu instid0(VALU_DEP_3) | instskip(NEXT) | instid1(VALU_DEP_3)
	v_cmp_lt_u32_e32 vcc_lo, v19, v47
	v_add_co_ci_u32_e64 v17, s0, v1, v15, s0
	s_and_saveexec_b32 s0, vcc_lo
	s_cbranch_execz .LBB1125_4
; %bb.3:
	flat_load_b64 v[31:32], v[16:17]
.LBB1125_4:
	s_or_b32 exec_lo, exec_lo, s0
	v_or_b32_e32 v0, 32, v19
	s_delay_alu instid0(VALU_DEP_1) | instskip(NEXT) | instid1(VALU_DEP_1)
	v_cmp_lt_u32_e64 s0, v0, v47
	s_and_saveexec_b32 s1, s0
	s_cbranch_execz .LBB1125_6
; %bb.5:
	flat_load_b64 v[27:28], v[16:17] offset:256
.LBB1125_6:
	s_or_b32 exec_lo, exec_lo, s1
	v_mov_b32_e32 v8, -1
	v_or_b32_e32 v0, 64, v19
	v_mov_b32_e32 v9, -1
	s_delay_alu instid0(VALU_DEP_2) | instskip(NEXT) | instid1(VALU_DEP_2)
	v_cmp_lt_u32_e64 s1, v0, v47
	v_dual_mov_b32 v38, v9 :: v_dual_mov_b32 v37, v8
	s_delay_alu instid0(VALU_DEP_2)
	s_and_saveexec_b32 s2, s1
	s_cbranch_execz .LBB1125_8
; %bb.7:
	flat_load_b64 v[37:38], v[16:17] offset:512
.LBB1125_8:
	s_or_b32 exec_lo, exec_lo, s2
	v_or_b32_e32 v0, 0x60, v19
	s_delay_alu instid0(VALU_DEP_1) | instskip(NEXT) | instid1(VALU_DEP_1)
	v_cmp_lt_u32_e64 s2, v0, v47
	s_and_saveexec_b32 s3, s2
	s_cbranch_execz .LBB1125_10
; %bb.9:
	flat_load_b64 v[8:9], v[16:17] offset:768
.LBB1125_10:
	s_or_b32 exec_lo, exec_lo, s3
	v_mov_b32_e32 v0, -1
	v_or_b32_e32 v20, 0x80, v19
	v_mov_b32_e32 v1, -1
	s_delay_alu instid0(VALU_DEP_2) | instskip(NEXT) | instid1(VALU_DEP_2)
	v_cmp_lt_u32_e64 s3, v20, v47
	v_dual_mov_b32 v49, v1 :: v_dual_mov_b32 v48, v0
	s_delay_alu instid0(VALU_DEP_2)
	s_and_saveexec_b32 s4, s3
	s_cbranch_execz .LBB1125_12
; %bb.11:
	flat_load_b64 v[48:49], v[16:17] offset:1024
.LBB1125_12:
	;; [unrolled: 22-line block ×7, first 2 shown]
	s_or_b32 exec_lo, exec_lo, s18
	v_or_b32_e32 v19, 0x1e0, v19
	s_delay_alu instid0(VALU_DEP_1) | instskip(NEXT) | instid1(VALU_DEP_1)
	v_cmp_lt_u32_e64 s18, v19, v47
	s_and_saveexec_b32 s19, s18
	s_cbranch_execz .LBB1125_34
; %bb.33:
	flat_load_b64 v[64:65], v[16:17] offset:3840
.LBB1125_34:
	s_or_b32 exec_lo, exec_lo, s19
	v_add_co_u32 v4, s19, v4, v22
	s_delay_alu instid0(VALU_DEP_1) | instskip(NEXT) | instid1(VALU_DEP_2)
	v_add_co_ci_u32_e64 v5, s19, v5, v23, s19
	v_add_co_u32 v4, s19, v4, v18
	s_delay_alu instid0(VALU_DEP_1) | instskip(NEXT) | instid1(VALU_DEP_2)
	v_add_co_ci_u32_e64 v5, s19, 0, v5, s19
	v_add_co_u32 v4, s19, v4, v14
	s_delay_alu instid0(VALU_DEP_1)
	v_add_co_ci_u32_e64 v5, s19, v5, v15, s19
                                        ; implicit-def: $vgpr14_vgpr15
	s_and_saveexec_b32 s19, vcc_lo
	s_cbranch_execnz .LBB1125_196
; %bb.35:
	s_or_b32 exec_lo, exec_lo, s19
                                        ; implicit-def: $vgpr18_vgpr19
	s_and_saveexec_b32 s19, s0
	s_cbranch_execnz .LBB1125_197
.LBB1125_36:
	s_or_b32 exec_lo, exec_lo, s19
                                        ; implicit-def: $vgpr164_vgpr165
	s_and_saveexec_b32 s0, s1
	s_cbranch_execnz .LBB1125_198
.LBB1125_37:
	s_or_b32 exec_lo, exec_lo, s0
                                        ; implicit-def: $vgpr16_vgpr17
	s_and_saveexec_b32 s0, s2
	s_cbranch_execnz .LBB1125_199
.LBB1125_38:
	s_or_b32 exec_lo, exec_lo, s0
                                        ; implicit-def: $vgpr20_vgpr21
	s_and_saveexec_b32 s0, s3
	s_cbranch_execnz .LBB1125_200
.LBB1125_39:
	s_or_b32 exec_lo, exec_lo, s0
                                        ; implicit-def: $vgpr166_vgpr167
	s_and_saveexec_b32 s0, s4
	s_cbranch_execnz .LBB1125_201
.LBB1125_40:
	s_or_b32 exec_lo, exec_lo, s0
                                        ; implicit-def: $vgpr176_vgpr177
	s_and_saveexec_b32 s0, s5
	s_cbranch_execnz .LBB1125_202
.LBB1125_41:
	s_or_b32 exec_lo, exec_lo, s0
                                        ; implicit-def: $vgpr178_vgpr179
	s_and_saveexec_b32 s0, s6
	s_cbranch_execnz .LBB1125_203
.LBB1125_42:
	s_or_b32 exec_lo, exec_lo, s0
                                        ; implicit-def: $vgpr180_vgpr181
	s_and_saveexec_b32 s0, s7
	s_cbranch_execnz .LBB1125_204
.LBB1125_43:
	s_or_b32 exec_lo, exec_lo, s0
                                        ; implicit-def: $vgpr182_vgpr183
	s_and_saveexec_b32 s0, s10
	s_cbranch_execnz .LBB1125_205
.LBB1125_44:
	s_or_b32 exec_lo, exec_lo, s0
                                        ; implicit-def: $vgpr192_vgpr193
	s_and_saveexec_b32 s0, s11
	s_cbranch_execnz .LBB1125_206
.LBB1125_45:
	s_or_b32 exec_lo, exec_lo, s0
                                        ; implicit-def: $vgpr194_vgpr195
	s_and_saveexec_b32 s0, s14
	s_cbranch_execnz .LBB1125_207
.LBB1125_46:
	s_or_b32 exec_lo, exec_lo, s0
                                        ; implicit-def: $vgpr196_vgpr197
	s_and_saveexec_b32 s0, s15
	s_cbranch_execnz .LBB1125_208
.LBB1125_47:
	s_or_b32 exec_lo, exec_lo, s0
                                        ; implicit-def: $vgpr210_vgpr211
	s_and_saveexec_b32 s0, s16
	s_cbranch_execnz .LBB1125_209
.LBB1125_48:
	s_or_b32 exec_lo, exec_lo, s0
                                        ; implicit-def: $vgpr226_vgpr227
	s_and_saveexec_b32 s0, s17
	s_cbranch_execnz .LBB1125_210
.LBB1125_49:
	s_or_b32 exec_lo, exec_lo, s0
                                        ; implicit-def: $vgpr228_vgpr229
	s_and_saveexec_b32 s0, s18
	s_cbranch_execz .LBB1125_51
.LBB1125_50:
	flat_load_b64 v[228:229], v[4:5] offset:3840
.LBB1125_51:
	s_or_b32 exec_lo, exec_lo, s0
	s_waitcnt vmcnt(0) lgkmcnt(0)
	v_cmp_gt_i64_e32 vcc_lo, 0, v[31:32]
	v_ashrrev_i32_e32 v25, 31, v28
	v_ashrrev_i32_e32 v4, 31, v32
	s_getpc_b64 s[0:1]
	s_add_u32 s0, s0, _ZN7rocprim17ROCPRIM_400000_NS16block_radix_sortIdLj256ELj16ElLj1ELj1ELj8ELNS0_26block_radix_rank_algorithmE2ELNS0_18block_padding_hintE2ELNS0_4arch9wavefront6targetE0EE19radix_bits_per_passE@rel32@lo+4
	s_addc_u32 s1, s1, _ZN7rocprim17ROCPRIM_400000_NS16block_radix_sortIdLj256ELj16ElLj1ELj1ELj8ELNS0_26block_radix_rank_algorithmE2ELNS0_18block_padding_hintE2ELNS0_4arch9wavefront6targetE0EE19radix_bits_per_passE@rel32@hi+12
	v_cmp_eq_u32_e64 s7, 0, v96
	s_load_b32 s19, s[0:1], 0x0
	v_cndmask_b32_e64 v5, 0x7fffffff, 0, vcc_lo
	v_cmp_gt_i64_e32 vcc_lo, 0, v[27:28]
	v_not_b32_e32 v25, v25
	v_not_b32_e32 v4, v4
	v_lshrrev_b32_e32 v125, 5, v24
	v_xor_b32_e32 v40, v5, v32
	v_ashrrev_i32_e32 v5, 31, v9
	v_cndmask_b32_e64 v80, 0x7fffffff, 0, vcc_lo
	v_cmp_gt_i64_e32 vcc_lo, 0, v[37:38]
	v_xor_b32_e32 v224, v25, v27
	v_xor_b32_e32 v39, v4, v31
	v_not_b32_e32 v5, v5
	v_ashrrev_i32_e32 v4, 31, v38
	v_xor_b32_e32 v225, v80, v28
	v_cndmask_b32_e64 v25, 0x7fffffff, 0, vcc_lo
	v_cmp_gt_i64_e32 vcc_lo, 0, v[8:9]
	v_xor_b32_e32 v242, v5, v8
	v_not_b32_e32 v4, v4
	v_ashrrev_i32_e32 v8, 31, v1
	v_xor_b32_e32 v231, v25, v38
	v_and_b32_e32 v28, 0x3e0, v26
	v_cndmask_b32_e64 v27, 0x7fffffff, 0, vcc_lo
	v_cmp_gt_i64_e32 vcc_lo, 0, v[48:49]
	v_xor_b32_e32 v230, v4, v37
	v_ashrrev_i32_e32 v4, 31, v49
	v_cmp_gt_u32_e64 s5, 8, v26
	v_xor_b32_e32 v243, v27, v9
	v_and_b32_e32 v27, 15, v96
	v_cndmask_b32_e64 v5, 0x7fffffff, 0, vcc_lo
	v_cmp_gt_i64_e32 vcc_lo, 0, v[0:1]
	v_not_b32_e32 v4, v4
	v_cmp_lt_u32_e64 s6, 31, v26
	v_cmp_lt_u32_e64 s0, 1, v27
	v_xor_b32_e32 v199, v5, v49
	v_ashrrev_i32_e32 v5, 31, v51
	v_cndmask_b32_e64 v9, 0x7fffffff, 0, vcc_lo
	v_cmp_gt_i64_e32 vcc_lo, 0, v[50:51]
	v_xor_b32_e32 v198, v4, v48
	v_not_b32_e32 v4, v8
	v_ashrrev_i32_e32 v8, 31, v34
	v_xor_b32_e32 v209, v9, v1
	v_not_b32_e32 v5, v5
	v_cndmask_b32_e64 v1, 0x7fffffff, 0, vcc_lo
	v_cmp_gt_i64_e32 vcc_lo, 0, v[33:34]
	v_xor_b32_e32 v208, v4, v0
	v_not_b32_e32 v0, v8
	v_xor_b32_e32 v214, v5, v50
	v_xor_b32_e32 v215, v1, v51
	v_ashrrev_i32_e32 v1, 31, v55
	v_cndmask_b32_e64 v9, 0x7fffffff, 0, vcc_lo
	v_cmp_gt_i64_e32 vcc_lo, 0, v[54:55]
	v_xor_b32_e32 v212, v0, v33
	v_ashrrev_i32_e32 v0, 31, v36
	v_not_b32_e32 v1, v1
	v_xor_b32_e32 v213, v9, v34
	v_cmp_lt_u32_e64 s1, 3, v27
	v_cndmask_b32_e64 v4, 0x7fffffff, 0, vcc_lo
	v_cmp_gt_i64_e32 vcc_lo, 0, v[35:36]
	v_not_b32_e32 v0, v0
	v_xor_b32_e32 v240, v1, v54
	v_ashrrev_i32_e32 v1, 31, v67
	v_xor_b32_e32 v241, v4, v55
	v_ashrrev_i32_e32 v4, 31, v30
	v_cndmask_b32_e64 v5, 0x7fffffff, 0, vcc_lo
	v_cmp_gt_i64_e32 vcc_lo, 0, v[66:67]
	v_xor_b32_e32 v244, v0, v35
	v_not_b32_e32 v1, v1
	v_cmp_lt_u32_e64 s2, 7, v27
	v_xor_b32_e32 v245, v5, v36
	v_cmp_eq_u32_e64 s10, 0, v26
	v_cndmask_b32_e64 v0, 0x7fffffff, 0, vcc_lo
	v_cmp_gt_i64_e32 vcc_lo, 0, v[29:30]
	v_xor_b32_e32 v246, v1, v66
	v_ashrrev_i32_e32 v1, 31, v71
	v_sub_nc_u32_e32 v127, v11, v10
	v_xor_b32_e32 v247, v0, v67
	v_not_b32_e32 v0, v4
	v_cndmask_b32_e64 v5, 0x7fffffff, 0, vcc_lo
	v_cmp_gt_i64_e32 vcc_lo, 0, v[70:71]
	v_not_b32_e32 v1, v1
	s_mov_b32 s20, 0
	v_xor_b32_e32 v41, v0, v29
	v_xor_b32_e32 v42, v5, v30
	v_ashrrev_i32_e32 v5, 31, v53
	v_cndmask_b32_e64 v4, 0x7fffffff, 0, vcc_lo
	v_cmp_gt_i64_e32 vcc_lo, 0, v[52:53]
	v_xor_b32_e32 v43, v1, v70
	v_ashrrev_i32_e32 v1, 31, v69
	v_not_b32_e32 v0, v5
	v_xor_b32_e32 v44, v4, v71
	v_add_nc_u32_e32 v29, -1, v96
	v_cndmask_b32_e64 v8, 0x7fffffff, 0, vcc_lo
	v_cmp_gt_i64_e32 vcc_lo, 0, v[68:69]
	v_xor_b32_e32 v45, v0, v52
	v_ashrrev_i32_e32 v0, 31, v65
	v_not_b32_e32 v1, v1
	v_xor_b32_e32 v46, v8, v53
	v_cmp_gt_i32_e64 s4, 0, v29
	v_cndmask_b32_e64 v4, 0x7fffffff, 0, vcc_lo
	v_not_b32_e32 v0, v0
	v_cmp_gt_i64_e32 vcc_lo, 0, v[64:65]
	v_xor_b32_e32 v56, v1, v68
	v_mov_b32_e32 v1, 0
	v_xor_b32_e32 v57, v4, v69
	v_xor_b32_e32 v58, v0, v64
	v_lshlrev_b32_e32 v0, 5, v26
	v_cndmask_b32_e64 v5, 0x7fffffff, 0, vcc_lo
	v_add_co_u32 v25, vcc_lo, v12, 32
	v_add_co_ci_u32_e32 v124, vcc_lo, 0, v13, vcc_lo
	s_delay_alu instid0(VALU_DEP_4) | instskip(NEXT) | instid1(VALU_DEP_4)
	v_add_co_u32 v4, vcc_lo, v12, v0
	v_xor_b32_e32 v59, v5, v65
	v_add_co_ci_u32_e32 v5, vcc_lo, 0, v13, vcc_lo
	v_add_co_u32 v8, vcc_lo, v25, v0
	v_min_u32_e32 v0, 0xe0, v28
	v_add_co_ci_u32_e32 v9, vcc_lo, 0, v124, vcc_lo
	v_cmp_eq_u32_e32 vcc_lo, 0, v27
	v_and_b32_e32 v28, 16, v96
	s_delay_alu instid0(VALU_DEP_4)
	v_or_b32_e32 v0, 31, v0
	v_lshrrev_b32_e32 v27, 5, v26
	s_mov_b32 s21, s20
	s_mov_b32 s22, s20
	v_cmp_eq_u32_e64 s3, 0, v28
	v_cndmask_b32_e64 v28, v29, v96, s4
	v_cmp_eq_u32_e64 s4, v0, v26
	v_lshlrev_b32_e32 v0, 2, v27
	v_and_b32_e32 v29, 7, v96
	s_mov_b32 s23, s20
	v_lshlrev_b32_e32 v126, 2, v28
	v_lshlrev_b32_e32 v28, 2, v26
	v_add_co_u32 v33, s11, v12, v0
	v_add_nc_u32_e32 v0, -1, v27
	v_lshlrev_b32_e32 v27, 4, v26
	v_add_co_ci_u32_e64 v34, s11, 0, v13, s11
	v_add_co_u32 v86, s11, v12, v28
	s_delay_alu instid0(VALU_DEP_3) | instskip(SKIP_3) | instid1(VALU_DEP_4)
	v_and_or_b32 v30, 0x3e00, v27, v96
	v_lshlrev_b64 v[27:28], 2, v[0:1]
	v_add_co_ci_u32_e64 v87, s11, 0, v13, s11
	v_cmp_eq_u32_e64 s11, 0, v29
	v_lshlrev_b32_e32 v0, 3, v30
	v_cmp_lt_u32_e64 s14, 1, v29
	v_add_co_u32 v96, s16, v12, v27
	s_delay_alu instid0(VALU_DEP_1) | instskip(NEXT) | instid1(VALU_DEP_4)
	v_add_co_ci_u32_e64 v97, s16, v13, v28, s16
	v_add_co_u32 v98, s16, v12, v0
	v_cmp_lt_u32_e64 s15, 3, v29
	v_add_co_ci_u32_e64 v99, s16, 0, v13, s16
	s_brev_b32 s25, 1
	s_mov_b32 s24, s20
	s_mov_b32 s28, s20
	s_waitcnt lgkmcnt(0)
	s_waitcnt_vscnt null, 0x0
	s_barrier
	buffer_gl0_inv
	s_branch .LBB1125_53
.LBB1125_52:                            ;   in Loop: Header=BB1125_53 Depth=1
	s_or_b32 exec_lo, exec_lo, s17
	s_delay_alu instid0(SALU_CYCLE_1) | instskip(NEXT) | instid1(SALU_CYCLE_1)
	s_and_b32 s16, exec_lo, s18
	s_or_b32 s28, s16, s28
	s_delay_alu instid0(SALU_CYCLE_1)
	s_and_not1_b32 exec_lo, exec_lo, s28
	s_cbranch_execz .LBB1125_93
.LBB1125_53:                            ; =>This Inner Loop Header: Depth=1
	v_dual_mov_b32 v101, v40 :: v_dual_mov_b32 v100, v39
	v_min_u32_e32 v0, s19, v127
	v_dual_mov_b32 v32, v15 :: v_dual_mov_b32 v31, v14
	v_dual_mov_b32 v36, v17 :: v_dual_mov_b32 v35, v16
	s_delay_alu instid0(VALU_DEP_4) | instskip(NEXT) | instid1(VALU_DEP_4)
	v_cmp_ne_u64_e64 s16, s[24:25], v[100:101]
	v_lshlrev_b32_e64 v0, v0, -1
	v_mov_b32_e32 v80, v228
	v_dual_mov_b32 v30, v19 :: v_dual_mov_b32 v29, v18
	v_dual_mov_b32 v49, v21 :: v_dual_mov_b32 v48, v20
	v_cndmask_b32_e64 v15, 0x7fffffff, v101, s16
	v_cndmask_b32_e64 v14, -1, v100, s16
	v_mov_b32_e32 v149, v42
	v_mov_b32_e32 v145, v46
	v_dual_mov_b32 v27, v164 :: v_dual_mov_b32 v28, v165
	s_delay_alu instid0(VALU_DEP_4)
	v_lshrrev_b64 v[15:16], v10, v[14:15]
	v_not_b32_e32 v14, v0
	v_mov_b32_e32 v81, v229
	v_mov_b32_e32 v147, v44
	;; [unrolled: 1-line block ×3, first 2 shown]
	v_dual_mov_b32 v163, v59 :: v_dual_mov_b32 v162, v58
	v_and_b32_e32 v0, v15, v14
	v_mov_b32_e32 v102, v224
	v_dual_mov_b32 v116, v198 :: v_dual_mov_b32 v117, v199
	v_dual_mov_b32 v37, v166 :: v_dual_mov_b32 v38, v167
	s_delay_alu instid0(VALU_DEP_4)
	v_and_b32_e32 v15, 1, v0
	v_lshlrev_b32_e32 v16, 30, v0
	v_lshlrev_b32_e32 v19, 28, v0
	;; [unrolled: 1-line block ×4, first 2 shown]
	v_add_co_u32 v15, s16, v15, -1
	s_delay_alu instid0(VALU_DEP_1)
	v_cndmask_b32_e64 v17, 0, 1, s16
	v_not_b32_e32 v21, v16
	v_mov_b32_e32 v118, v208
	v_cmp_gt_i32_e64 s17, 0, v16
	v_mov_b32_e32 v119, v209
	v_cmp_ne_u32_e64 s16, 0, v17
	v_lshlrev_b32_e32 v17, 26, v0
	v_not_b32_e32 v16, v18
	v_ashrrev_i32_e32 v21, 31, v21
	v_mov_b32_e32 v128, v214
	v_xor_b32_e32 v15, s16, v15
	v_cmp_gt_i32_e64 s16, 0, v18
	v_not_b32_e32 v18, v19
	v_ashrrev_i32_e32 v16, 31, v16
	v_xor_b32_e32 v21, s17, v21
	v_and_b32_e32 v15, exec_lo, v15
	v_cmp_gt_i32_e64 s17, 0, v19
	v_ashrrev_i32_e32 v18, 31, v18
	v_xor_b32_e32 v16, s16, v16
	v_mov_b32_e32 v129, v215
	v_not_b32_e32 v19, v20
	v_dual_mov_b32 v134, v212 :: v_dual_and_b32 v15, v15, v21
	v_cmp_gt_i32_e64 s16, 0, v20
	v_not_b32_e32 v20, v17
	s_delay_alu instid0(VALU_DEP_4)
	v_ashrrev_i32_e32 v19, 31, v19
	v_xor_b32_e32 v18, s17, v18
	v_dual_mov_b32 v132, v240 :: v_dual_and_b32 v15, v15, v16
	v_dual_mov_b32 v135, v213 :: v_dual_lshlrev_b32 v16, 25, v0
	v_cmp_gt_i32_e64 s17, 0, v17
	v_ashrrev_i32_e32 v17, 31, v20
	v_xor_b32_e32 v19, s16, v19
	v_dual_mov_b32 v130, v244 :: v_dual_and_b32 v15, v15, v18
	v_not_b32_e32 v18, v16
	v_dual_mov_b32 v133, v241 :: v_dual_lshlrev_b32 v20, 24, v0
	v_xor_b32_e32 v17, s17, v17
	s_delay_alu instid0(VALU_DEP_4) | instskip(SKIP_3) | instid1(VALU_DEP_4)
	v_dual_mov_b32 v150, v246 :: v_dual_and_b32 v15, v15, v19
	v_cmp_gt_i32_e64 s16, 0, v16
	v_ashrrev_i32_e32 v16, 31, v18
	v_not_b32_e32 v18, v20
	v_dual_mov_b32 v148, v41 :: v_dual_and_b32 v15, v15, v17
	v_mov_b32_e32 v151, v247
	s_delay_alu instid0(VALU_DEP_4)
	v_xor_b32_e32 v16, s16, v16
	v_cmp_gt_i32_e64 s16, 0, v20
	v_ashrrev_i32_e32 v17, 31, v18
	v_mov_b32_e32 v144, v45
	v_lshl_add_u32 v0, v0, 3, v125
	v_dual_mov_b32 v54, v176 :: v_dual_and_b32 v15, v15, v16
	v_mov_b32_e32 v55, v177
	v_xor_b32_e32 v16, s16, v17
	v_dual_mov_b32 v52, v178 :: v_dual_mov_b32 v53, v179
	v_dual_mov_b32 v50, v180 :: v_dual_mov_b32 v51, v181
	s_delay_alu instid0(VALU_DEP_3)
	v_dual_mov_b32 v16, s20 :: v_dual_and_b32 v15, v15, v16
	v_dual_mov_b32 v17, s21 :: v_dual_mov_b32 v18, s22
	v_mov_b32_e32 v19, s23
	s_clause 0x1
	flat_store_b128 v[4:5], v[16:19] offset:32
	flat_store_b128 v[8:9], v[16:19] offset:16
	v_lshlrev_b64 v[16:17], 2, v[0:1]
	v_mbcnt_lo_u32_b32 v39, v15, 0
	v_cmp_ne_u32_e64 s17, 0, v15
	v_dual_mov_b32 v70, v182 :: v_dual_mov_b32 v71, v183
	v_dual_mov_b32 v68, v192 :: v_dual_mov_b32 v69, v193
	s_delay_alu instid0(VALU_DEP_4)
	v_cmp_eq_u32_e64 s16, 0, v39
	v_add_co_u32 v164, s18, v25, v16
	v_dual_mov_b32 v66, v194 :: v_dual_mov_b32 v67, v195
	v_dual_mov_b32 v64, v196 :: v_dual_mov_b32 v65, v197
	v_dual_mov_b32 v84, v210 :: v_dual_mov_b32 v85, v211
	v_dual_mov_b32 v82, v226 :: v_dual_mov_b32 v83, v227
	v_dual_mov_b32 v103, v225 :: v_dual_mov_b32 v114, v230
	v_dual_mov_b32 v115, v231 :: v_dual_mov_b32 v112, v242
	v_mov_b32_e32 v113, v243
	v_dual_mov_b32 v131, v245 :: v_dual_mov_b32 v146, v43
	v_mov_b32_e32 v160, v56
	v_add_co_ci_u32_e64 v165, s18, v124, v17, s18
	s_and_b32 s17, s17, s16
	s_waitcnt lgkmcnt(0)
	s_waitcnt_vscnt null, 0x0
	s_barrier
	buffer_gl0_inv
	; wave barrier
	s_and_saveexec_b32 s16, s17
	s_cbranch_execz .LBB1125_55
; %bb.54:                               ;   in Loop: Header=BB1125_53 Depth=1
	v_bcnt_u32_b32 v0, v15, 0
	flat_store_b32 v[164:165], v0
.LBB1125_55:                            ;   in Loop: Header=BB1125_53 Depth=1
	s_or_b32 exec_lo, exec_lo, s16
	v_cmp_ne_u64_e64 s16, s[24:25], v[102:103]
	; wave barrier
	s_delay_alu instid0(VALU_DEP_1) | instskip(SKIP_1) | instid1(VALU_DEP_1)
	v_cndmask_b32_e64 v16, 0x7fffffff, v103, s16
	v_cndmask_b32_e64 v15, -1, v102, s16
	v_lshrrev_b64 v[15:16], v10, v[15:16]
	s_delay_alu instid0(VALU_DEP_1) | instskip(NEXT) | instid1(VALU_DEP_1)
	v_and_b32_e32 v17, v15, v14
	v_lshl_add_u32 v0, v17, 3, v125
	v_lshlrev_b32_e32 v18, 29, v17
	v_lshlrev_b32_e32 v19, 28, v17
	s_delay_alu instid0(VALU_DEP_3) | instskip(SKIP_1) | instid1(VALU_DEP_2)
	v_lshlrev_b64 v[15:16], 2, v[0:1]
	v_and_b32_e32 v0, 1, v17
	v_add_co_u32 v166, s16, v25, v15
	s_delay_alu instid0(VALU_DEP_1) | instskip(NEXT) | instid1(VALU_DEP_3)
	v_add_co_ci_u32_e64 v167, s16, v124, v16, s16
	v_add_co_u32 v0, s16, v0, -1
	s_delay_alu instid0(VALU_DEP_1) | instskip(SKIP_3) | instid1(VALU_DEP_2)
	v_cndmask_b32_e64 v15, 0, 1, s16
	flat_load_b32 v228, v[166:167]
	v_lshlrev_b32_e32 v16, 30, v17
	; wave barrier
	v_cmp_ne_u32_e64 s16, 0, v15
	v_not_b32_e32 v15, v16
	s_delay_alu instid0(VALU_DEP_2) | instskip(SKIP_1) | instid1(VALU_DEP_3)
	v_xor_b32_e32 v0, s16, v0
	v_cmp_gt_i32_e64 s16, 0, v16
	v_ashrrev_i32_e32 v15, 31, v15
	v_not_b32_e32 v16, v18
	s_delay_alu instid0(VALU_DEP_4) | instskip(NEXT) | instid1(VALU_DEP_3)
	v_and_b32_e32 v0, exec_lo, v0
	v_xor_b32_e32 v15, s16, v15
	v_cmp_gt_i32_e64 s16, 0, v18
	s_delay_alu instid0(VALU_DEP_4) | instskip(SKIP_1) | instid1(VALU_DEP_4)
	v_ashrrev_i32_e32 v16, 31, v16
	v_not_b32_e32 v18, v19
	v_and_b32_e32 v0, v0, v15
	v_lshlrev_b32_e32 v15, 27, v17
	s_delay_alu instid0(VALU_DEP_4) | instskip(SKIP_2) | instid1(VALU_DEP_4)
	v_xor_b32_e32 v16, s16, v16
	v_cmp_gt_i32_e64 s16, 0, v19
	v_ashrrev_i32_e32 v18, 31, v18
	v_not_b32_e32 v19, v15
	s_delay_alu instid0(VALU_DEP_4) | instskip(SKIP_1) | instid1(VALU_DEP_4)
	v_and_b32_e32 v0, v0, v16
	v_lshlrev_b32_e32 v16, 26, v17
	v_xor_b32_e32 v18, s16, v18
	v_cmp_gt_i32_e64 s16, 0, v15
	v_ashrrev_i32_e32 v15, 31, v19
	s_delay_alu instid0(VALU_DEP_4) | instskip(NEXT) | instid1(VALU_DEP_4)
	v_not_b32_e32 v19, v16
	v_and_b32_e32 v0, v0, v18
	v_lshlrev_b32_e32 v18, 25, v17
	s_delay_alu instid0(VALU_DEP_4) | instskip(SKIP_2) | instid1(VALU_DEP_4)
	v_xor_b32_e32 v15, s16, v15
	v_cmp_gt_i32_e64 s16, 0, v16
	v_ashrrev_i32_e32 v16, 31, v19
	v_not_b32_e32 v19, v18
	s_delay_alu instid0(VALU_DEP_4) | instskip(SKIP_1) | instid1(VALU_DEP_4)
	v_and_b32_e32 v0, v0, v15
	v_lshlrev_b32_e32 v15, 24, v17
	v_xor_b32_e32 v16, s16, v16
	v_cmp_gt_i32_e64 s16, 0, v18
	v_ashrrev_i32_e32 v17, 31, v19
	s_delay_alu instid0(VALU_DEP_4) | instskip(NEXT) | instid1(VALU_DEP_4)
	v_not_b32_e32 v18, v15
	v_and_b32_e32 v0, v0, v16
	s_delay_alu instid0(VALU_DEP_3) | instskip(SKIP_1) | instid1(VALU_DEP_4)
	v_xor_b32_e32 v16, s16, v17
	v_cmp_gt_i32_e64 s16, 0, v15
	v_ashrrev_i32_e32 v15, 31, v18
	s_delay_alu instid0(VALU_DEP_3) | instskip(NEXT) | instid1(VALU_DEP_2)
	v_and_b32_e32 v0, v0, v16
	v_xor_b32_e32 v15, s16, v15
	s_delay_alu instid0(VALU_DEP_1) | instskip(NEXT) | instid1(VALU_DEP_1)
	v_and_b32_e32 v0, v0, v15
	v_mbcnt_lo_u32_b32 v229, v0, 0
	v_cmp_ne_u32_e64 s17, 0, v0
	s_delay_alu instid0(VALU_DEP_2) | instskip(NEXT) | instid1(VALU_DEP_1)
	v_cmp_eq_u32_e64 s16, 0, v229
	s_and_b32 s17, s17, s16
	s_delay_alu instid0(SALU_CYCLE_1)
	s_and_saveexec_b32 s16, s17
	s_cbranch_execz .LBB1125_57
; %bb.56:                               ;   in Loop: Header=BB1125_53 Depth=1
	s_waitcnt vmcnt(0) lgkmcnt(0)
	v_bcnt_u32_b32 v0, v0, v228
	flat_store_b32 v[166:167], v0
.LBB1125_57:                            ;   in Loop: Header=BB1125_53 Depth=1
	s_or_b32 exec_lo, exec_lo, s16
	v_cmp_ne_u64_e64 s16, s[24:25], v[114:115]
	; wave barrier
	s_delay_alu instid0(VALU_DEP_1) | instskip(SKIP_1) | instid1(VALU_DEP_1)
	v_cndmask_b32_e64 v16, 0x7fffffff, v115, s16
	v_cndmask_b32_e64 v15, -1, v114, s16
	v_lshrrev_b64 v[15:16], v10, v[15:16]
	s_delay_alu instid0(VALU_DEP_1) | instskip(NEXT) | instid1(VALU_DEP_1)
	v_and_b32_e32 v17, v15, v14
	v_lshl_add_u32 v0, v17, 3, v125
	v_lshlrev_b32_e32 v18, 29, v17
	v_lshlrev_b32_e32 v19, 28, v17
	s_delay_alu instid0(VALU_DEP_3) | instskip(SKIP_1) | instid1(VALU_DEP_2)
	v_lshlrev_b64 v[15:16], 2, v[0:1]
	v_and_b32_e32 v0, 1, v17
	v_add_co_u32 v176, s16, v25, v15
	s_delay_alu instid0(VALU_DEP_1) | instskip(NEXT) | instid1(VALU_DEP_3)
	v_add_co_ci_u32_e64 v177, s16, v124, v16, s16
	v_add_co_u32 v0, s16, v0, -1
	s_delay_alu instid0(VALU_DEP_1) | instskip(SKIP_3) | instid1(VALU_DEP_2)
	v_cndmask_b32_e64 v15, 0, 1, s16
	flat_load_b32 v230, v[176:177]
	v_lshlrev_b32_e32 v16, 30, v17
	; wave barrier
	v_cmp_ne_u32_e64 s16, 0, v15
	v_not_b32_e32 v15, v16
	s_delay_alu instid0(VALU_DEP_2) | instskip(SKIP_1) | instid1(VALU_DEP_3)
	v_xor_b32_e32 v0, s16, v0
	v_cmp_gt_i32_e64 s16, 0, v16
	v_ashrrev_i32_e32 v15, 31, v15
	v_not_b32_e32 v16, v18
	s_delay_alu instid0(VALU_DEP_4) | instskip(NEXT) | instid1(VALU_DEP_3)
	v_and_b32_e32 v0, exec_lo, v0
	v_xor_b32_e32 v15, s16, v15
	v_cmp_gt_i32_e64 s16, 0, v18
	s_delay_alu instid0(VALU_DEP_4) | instskip(SKIP_1) | instid1(VALU_DEP_4)
	v_ashrrev_i32_e32 v16, 31, v16
	v_not_b32_e32 v18, v19
	v_and_b32_e32 v0, v0, v15
	v_lshlrev_b32_e32 v15, 27, v17
	s_delay_alu instid0(VALU_DEP_4) | instskip(SKIP_2) | instid1(VALU_DEP_4)
	v_xor_b32_e32 v16, s16, v16
	v_cmp_gt_i32_e64 s16, 0, v19
	v_ashrrev_i32_e32 v18, 31, v18
	v_not_b32_e32 v19, v15
	s_delay_alu instid0(VALU_DEP_4) | instskip(SKIP_1) | instid1(VALU_DEP_4)
	v_and_b32_e32 v0, v0, v16
	v_lshlrev_b32_e32 v16, 26, v17
	v_xor_b32_e32 v18, s16, v18
	v_cmp_gt_i32_e64 s16, 0, v15
	v_ashrrev_i32_e32 v15, 31, v19
	s_delay_alu instid0(VALU_DEP_4) | instskip(NEXT) | instid1(VALU_DEP_4)
	v_not_b32_e32 v19, v16
	v_and_b32_e32 v0, v0, v18
	v_lshlrev_b32_e32 v18, 25, v17
	s_delay_alu instid0(VALU_DEP_4) | instskip(SKIP_2) | instid1(VALU_DEP_4)
	v_xor_b32_e32 v15, s16, v15
	v_cmp_gt_i32_e64 s16, 0, v16
	v_ashrrev_i32_e32 v16, 31, v19
	v_not_b32_e32 v19, v18
	s_delay_alu instid0(VALU_DEP_4) | instskip(SKIP_1) | instid1(VALU_DEP_4)
	v_and_b32_e32 v0, v0, v15
	v_lshlrev_b32_e32 v15, 24, v17
	v_xor_b32_e32 v16, s16, v16
	v_cmp_gt_i32_e64 s16, 0, v18
	v_ashrrev_i32_e32 v17, 31, v19
	s_delay_alu instid0(VALU_DEP_4) | instskip(NEXT) | instid1(VALU_DEP_4)
	v_not_b32_e32 v18, v15
	v_and_b32_e32 v0, v0, v16
	s_delay_alu instid0(VALU_DEP_3) | instskip(SKIP_1) | instid1(VALU_DEP_4)
	v_xor_b32_e32 v16, s16, v17
	v_cmp_gt_i32_e64 s16, 0, v15
	v_ashrrev_i32_e32 v15, 31, v18
	s_delay_alu instid0(VALU_DEP_3) | instskip(NEXT) | instid1(VALU_DEP_2)
	v_and_b32_e32 v0, v0, v16
	v_xor_b32_e32 v15, s16, v15
	s_delay_alu instid0(VALU_DEP_1) | instskip(NEXT) | instid1(VALU_DEP_1)
	v_and_b32_e32 v0, v0, v15
	v_mbcnt_lo_u32_b32 v231, v0, 0
	v_cmp_ne_u32_e64 s17, 0, v0
	s_delay_alu instid0(VALU_DEP_2) | instskip(NEXT) | instid1(VALU_DEP_1)
	v_cmp_eq_u32_e64 s16, 0, v231
	s_and_b32 s17, s17, s16
	s_delay_alu instid0(SALU_CYCLE_1)
	s_and_saveexec_b32 s16, s17
	s_cbranch_execz .LBB1125_59
; %bb.58:                               ;   in Loop: Header=BB1125_53 Depth=1
	s_waitcnt vmcnt(0) lgkmcnt(0)
	v_bcnt_u32_b32 v0, v0, v230
	flat_store_b32 v[176:177], v0
.LBB1125_59:                            ;   in Loop: Header=BB1125_53 Depth=1
	s_or_b32 exec_lo, exec_lo, s16
	v_cmp_ne_u64_e64 s16, s[24:25], v[112:113]
	; wave barrier
	s_delay_alu instid0(VALU_DEP_1) | instskip(SKIP_1) | instid1(VALU_DEP_1)
	v_cndmask_b32_e64 v16, 0x7fffffff, v113, s16
	v_cndmask_b32_e64 v15, -1, v112, s16
	v_lshrrev_b64 v[15:16], v10, v[15:16]
	s_delay_alu instid0(VALU_DEP_1) | instskip(NEXT) | instid1(VALU_DEP_1)
	v_and_b32_e32 v17, v15, v14
	v_lshl_add_u32 v0, v17, 3, v125
	v_lshlrev_b32_e32 v18, 29, v17
	v_lshlrev_b32_e32 v19, 28, v17
	s_delay_alu instid0(VALU_DEP_3) | instskip(SKIP_1) | instid1(VALU_DEP_2)
	v_lshlrev_b64 v[15:16], 2, v[0:1]
	v_and_b32_e32 v0, 1, v17
	v_add_co_u32 v178, s16, v25, v15
	s_delay_alu instid0(VALU_DEP_1) | instskip(NEXT) | instid1(VALU_DEP_3)
	v_add_co_ci_u32_e64 v179, s16, v124, v16, s16
	v_add_co_u32 v0, s16, v0, -1
	s_delay_alu instid0(VALU_DEP_1) | instskip(SKIP_3) | instid1(VALU_DEP_2)
	v_cndmask_b32_e64 v15, 0, 1, s16
	flat_load_b32 v240, v[178:179]
	v_lshlrev_b32_e32 v16, 30, v17
	; wave barrier
	v_cmp_ne_u32_e64 s16, 0, v15
	v_not_b32_e32 v15, v16
	s_delay_alu instid0(VALU_DEP_2) | instskip(SKIP_1) | instid1(VALU_DEP_3)
	v_xor_b32_e32 v0, s16, v0
	v_cmp_gt_i32_e64 s16, 0, v16
	v_ashrrev_i32_e32 v15, 31, v15
	v_not_b32_e32 v16, v18
	s_delay_alu instid0(VALU_DEP_4) | instskip(NEXT) | instid1(VALU_DEP_3)
	v_and_b32_e32 v0, exec_lo, v0
	v_xor_b32_e32 v15, s16, v15
	v_cmp_gt_i32_e64 s16, 0, v18
	s_delay_alu instid0(VALU_DEP_4) | instskip(SKIP_1) | instid1(VALU_DEP_4)
	v_ashrrev_i32_e32 v16, 31, v16
	v_not_b32_e32 v18, v19
	v_and_b32_e32 v0, v0, v15
	v_lshlrev_b32_e32 v15, 27, v17
	s_delay_alu instid0(VALU_DEP_4) | instskip(SKIP_2) | instid1(VALU_DEP_4)
	v_xor_b32_e32 v16, s16, v16
	v_cmp_gt_i32_e64 s16, 0, v19
	v_ashrrev_i32_e32 v18, 31, v18
	v_not_b32_e32 v19, v15
	s_delay_alu instid0(VALU_DEP_4) | instskip(SKIP_1) | instid1(VALU_DEP_4)
	v_and_b32_e32 v0, v0, v16
	v_lshlrev_b32_e32 v16, 26, v17
	v_xor_b32_e32 v18, s16, v18
	v_cmp_gt_i32_e64 s16, 0, v15
	v_ashrrev_i32_e32 v15, 31, v19
	s_delay_alu instid0(VALU_DEP_4) | instskip(NEXT) | instid1(VALU_DEP_4)
	v_not_b32_e32 v19, v16
	v_and_b32_e32 v0, v0, v18
	v_lshlrev_b32_e32 v18, 25, v17
	s_delay_alu instid0(VALU_DEP_4) | instskip(SKIP_2) | instid1(VALU_DEP_4)
	v_xor_b32_e32 v15, s16, v15
	v_cmp_gt_i32_e64 s16, 0, v16
	v_ashrrev_i32_e32 v16, 31, v19
	v_not_b32_e32 v19, v18
	s_delay_alu instid0(VALU_DEP_4) | instskip(SKIP_1) | instid1(VALU_DEP_4)
	v_and_b32_e32 v0, v0, v15
	v_lshlrev_b32_e32 v15, 24, v17
	v_xor_b32_e32 v16, s16, v16
	v_cmp_gt_i32_e64 s16, 0, v18
	v_ashrrev_i32_e32 v17, 31, v19
	s_delay_alu instid0(VALU_DEP_4) | instskip(NEXT) | instid1(VALU_DEP_4)
	v_not_b32_e32 v18, v15
	v_and_b32_e32 v0, v0, v16
	s_delay_alu instid0(VALU_DEP_3) | instskip(SKIP_1) | instid1(VALU_DEP_4)
	v_xor_b32_e32 v16, s16, v17
	v_cmp_gt_i32_e64 s16, 0, v15
	v_ashrrev_i32_e32 v15, 31, v18
	s_delay_alu instid0(VALU_DEP_3) | instskip(NEXT) | instid1(VALU_DEP_2)
	v_and_b32_e32 v0, v0, v16
	v_xor_b32_e32 v15, s16, v15
	s_delay_alu instid0(VALU_DEP_1) | instskip(NEXT) | instid1(VALU_DEP_1)
	v_and_b32_e32 v0, v0, v15
	v_mbcnt_lo_u32_b32 v241, v0, 0
	v_cmp_ne_u32_e64 s17, 0, v0
	s_delay_alu instid0(VALU_DEP_2) | instskip(NEXT) | instid1(VALU_DEP_1)
	v_cmp_eq_u32_e64 s16, 0, v241
	s_and_b32 s17, s17, s16
	s_delay_alu instid0(SALU_CYCLE_1)
	s_and_saveexec_b32 s16, s17
	s_cbranch_execz .LBB1125_61
; %bb.60:                               ;   in Loop: Header=BB1125_53 Depth=1
	s_waitcnt vmcnt(0) lgkmcnt(0)
	v_bcnt_u32_b32 v0, v0, v240
	flat_store_b32 v[178:179], v0
.LBB1125_61:                            ;   in Loop: Header=BB1125_53 Depth=1
	s_or_b32 exec_lo, exec_lo, s16
	v_cmp_ne_u64_e64 s16, s[24:25], v[116:117]
	; wave barrier
	s_delay_alu instid0(VALU_DEP_1) | instskip(SKIP_1) | instid1(VALU_DEP_1)
	v_cndmask_b32_e64 v16, 0x7fffffff, v117, s16
	v_cndmask_b32_e64 v15, -1, v116, s16
	v_lshrrev_b64 v[15:16], v10, v[15:16]
	s_delay_alu instid0(VALU_DEP_1) | instskip(NEXT) | instid1(VALU_DEP_1)
	v_and_b32_e32 v17, v15, v14
	v_lshl_add_u32 v0, v17, 3, v125
	v_lshlrev_b32_e32 v18, 29, v17
	v_lshlrev_b32_e32 v19, 28, v17
	s_delay_alu instid0(VALU_DEP_3) | instskip(SKIP_1) | instid1(VALU_DEP_2)
	v_lshlrev_b64 v[15:16], 2, v[0:1]
	v_and_b32_e32 v0, 1, v17
	v_add_co_u32 v180, s16, v25, v15
	s_delay_alu instid0(VALU_DEP_1) | instskip(NEXT) | instid1(VALU_DEP_3)
	v_add_co_ci_u32_e64 v181, s16, v124, v16, s16
	v_add_co_u32 v0, s16, v0, -1
	s_delay_alu instid0(VALU_DEP_1) | instskip(SKIP_3) | instid1(VALU_DEP_2)
	v_cndmask_b32_e64 v15, 0, 1, s16
	flat_load_b32 v242, v[180:181]
	v_lshlrev_b32_e32 v16, 30, v17
	; wave barrier
	v_cmp_ne_u32_e64 s16, 0, v15
	v_not_b32_e32 v15, v16
	s_delay_alu instid0(VALU_DEP_2) | instskip(SKIP_1) | instid1(VALU_DEP_3)
	v_xor_b32_e32 v0, s16, v0
	v_cmp_gt_i32_e64 s16, 0, v16
	v_ashrrev_i32_e32 v15, 31, v15
	v_not_b32_e32 v16, v18
	s_delay_alu instid0(VALU_DEP_4) | instskip(NEXT) | instid1(VALU_DEP_3)
	v_and_b32_e32 v0, exec_lo, v0
	v_xor_b32_e32 v15, s16, v15
	v_cmp_gt_i32_e64 s16, 0, v18
	s_delay_alu instid0(VALU_DEP_4) | instskip(SKIP_1) | instid1(VALU_DEP_4)
	v_ashrrev_i32_e32 v16, 31, v16
	v_not_b32_e32 v18, v19
	v_and_b32_e32 v0, v0, v15
	v_lshlrev_b32_e32 v15, 27, v17
	s_delay_alu instid0(VALU_DEP_4) | instskip(SKIP_2) | instid1(VALU_DEP_4)
	v_xor_b32_e32 v16, s16, v16
	v_cmp_gt_i32_e64 s16, 0, v19
	v_ashrrev_i32_e32 v18, 31, v18
	v_not_b32_e32 v19, v15
	s_delay_alu instid0(VALU_DEP_4) | instskip(SKIP_1) | instid1(VALU_DEP_4)
	v_and_b32_e32 v0, v0, v16
	v_lshlrev_b32_e32 v16, 26, v17
	v_xor_b32_e32 v18, s16, v18
	v_cmp_gt_i32_e64 s16, 0, v15
	v_ashrrev_i32_e32 v15, 31, v19
	s_delay_alu instid0(VALU_DEP_4) | instskip(NEXT) | instid1(VALU_DEP_4)
	v_not_b32_e32 v19, v16
	v_and_b32_e32 v0, v0, v18
	v_lshlrev_b32_e32 v18, 25, v17
	s_delay_alu instid0(VALU_DEP_4) | instskip(SKIP_2) | instid1(VALU_DEP_4)
	v_xor_b32_e32 v15, s16, v15
	v_cmp_gt_i32_e64 s16, 0, v16
	v_ashrrev_i32_e32 v16, 31, v19
	v_not_b32_e32 v19, v18
	s_delay_alu instid0(VALU_DEP_4) | instskip(SKIP_1) | instid1(VALU_DEP_4)
	v_and_b32_e32 v0, v0, v15
	v_lshlrev_b32_e32 v15, 24, v17
	v_xor_b32_e32 v16, s16, v16
	v_cmp_gt_i32_e64 s16, 0, v18
	v_ashrrev_i32_e32 v17, 31, v19
	s_delay_alu instid0(VALU_DEP_4) | instskip(NEXT) | instid1(VALU_DEP_4)
	v_not_b32_e32 v18, v15
	v_and_b32_e32 v0, v0, v16
	s_delay_alu instid0(VALU_DEP_3) | instskip(SKIP_1) | instid1(VALU_DEP_4)
	v_xor_b32_e32 v16, s16, v17
	v_cmp_gt_i32_e64 s16, 0, v15
	v_ashrrev_i32_e32 v15, 31, v18
	s_delay_alu instid0(VALU_DEP_3) | instskip(NEXT) | instid1(VALU_DEP_2)
	v_and_b32_e32 v0, v0, v16
	v_xor_b32_e32 v15, s16, v15
	s_delay_alu instid0(VALU_DEP_1) | instskip(NEXT) | instid1(VALU_DEP_1)
	v_and_b32_e32 v0, v0, v15
	v_mbcnt_lo_u32_b32 v243, v0, 0
	v_cmp_ne_u32_e64 s17, 0, v0
	s_delay_alu instid0(VALU_DEP_2) | instskip(NEXT) | instid1(VALU_DEP_1)
	v_cmp_eq_u32_e64 s16, 0, v243
	s_and_b32 s17, s17, s16
	s_delay_alu instid0(SALU_CYCLE_1)
	s_and_saveexec_b32 s16, s17
	s_cbranch_execz .LBB1125_63
; %bb.62:                               ;   in Loop: Header=BB1125_53 Depth=1
	s_waitcnt vmcnt(0) lgkmcnt(0)
	v_bcnt_u32_b32 v0, v0, v242
	flat_store_b32 v[180:181], v0
.LBB1125_63:                            ;   in Loop: Header=BB1125_53 Depth=1
	s_or_b32 exec_lo, exec_lo, s16
	v_cmp_ne_u64_e64 s16, s[24:25], v[118:119]
	; wave barrier
	s_delay_alu instid0(VALU_DEP_1) | instskip(SKIP_1) | instid1(VALU_DEP_1)
	v_cndmask_b32_e64 v16, 0x7fffffff, v119, s16
	v_cndmask_b32_e64 v15, -1, v118, s16
	v_lshrrev_b64 v[15:16], v10, v[15:16]
	s_delay_alu instid0(VALU_DEP_1) | instskip(NEXT) | instid1(VALU_DEP_1)
	v_and_b32_e32 v17, v15, v14
	v_lshl_add_u32 v0, v17, 3, v125
	v_lshlrev_b32_e32 v18, 29, v17
	v_lshlrev_b32_e32 v19, 28, v17
	s_delay_alu instid0(VALU_DEP_3) | instskip(SKIP_1) | instid1(VALU_DEP_2)
	v_lshlrev_b64 v[15:16], 2, v[0:1]
	v_and_b32_e32 v0, 1, v17
	v_add_co_u32 v182, s16, v25, v15
	s_delay_alu instid0(VALU_DEP_1) | instskip(NEXT) | instid1(VALU_DEP_3)
	v_add_co_ci_u32_e64 v183, s16, v124, v16, s16
	v_add_co_u32 v0, s16, v0, -1
	s_delay_alu instid0(VALU_DEP_1) | instskip(SKIP_3) | instid1(VALU_DEP_2)
	v_cndmask_b32_e64 v15, 0, 1, s16
	flat_load_b32 v244, v[182:183]
	v_lshlrev_b32_e32 v16, 30, v17
	; wave barrier
	v_cmp_ne_u32_e64 s16, 0, v15
	v_not_b32_e32 v15, v16
	s_delay_alu instid0(VALU_DEP_2) | instskip(SKIP_1) | instid1(VALU_DEP_3)
	v_xor_b32_e32 v0, s16, v0
	v_cmp_gt_i32_e64 s16, 0, v16
	v_ashrrev_i32_e32 v15, 31, v15
	v_not_b32_e32 v16, v18
	s_delay_alu instid0(VALU_DEP_4) | instskip(NEXT) | instid1(VALU_DEP_3)
	v_and_b32_e32 v0, exec_lo, v0
	v_xor_b32_e32 v15, s16, v15
	v_cmp_gt_i32_e64 s16, 0, v18
	s_delay_alu instid0(VALU_DEP_4) | instskip(SKIP_1) | instid1(VALU_DEP_4)
	v_ashrrev_i32_e32 v16, 31, v16
	v_not_b32_e32 v18, v19
	v_and_b32_e32 v0, v0, v15
	v_lshlrev_b32_e32 v15, 27, v17
	s_delay_alu instid0(VALU_DEP_4) | instskip(SKIP_2) | instid1(VALU_DEP_4)
	v_xor_b32_e32 v16, s16, v16
	v_cmp_gt_i32_e64 s16, 0, v19
	v_ashrrev_i32_e32 v18, 31, v18
	v_not_b32_e32 v19, v15
	s_delay_alu instid0(VALU_DEP_4) | instskip(SKIP_1) | instid1(VALU_DEP_4)
	v_and_b32_e32 v0, v0, v16
	v_lshlrev_b32_e32 v16, 26, v17
	v_xor_b32_e32 v18, s16, v18
	v_cmp_gt_i32_e64 s16, 0, v15
	v_ashrrev_i32_e32 v15, 31, v19
	s_delay_alu instid0(VALU_DEP_4) | instskip(NEXT) | instid1(VALU_DEP_4)
	v_not_b32_e32 v19, v16
	v_and_b32_e32 v0, v0, v18
	v_lshlrev_b32_e32 v18, 25, v17
	s_delay_alu instid0(VALU_DEP_4) | instskip(SKIP_2) | instid1(VALU_DEP_4)
	v_xor_b32_e32 v15, s16, v15
	v_cmp_gt_i32_e64 s16, 0, v16
	v_ashrrev_i32_e32 v16, 31, v19
	v_not_b32_e32 v19, v18
	s_delay_alu instid0(VALU_DEP_4) | instskip(SKIP_1) | instid1(VALU_DEP_4)
	v_and_b32_e32 v0, v0, v15
	v_lshlrev_b32_e32 v15, 24, v17
	v_xor_b32_e32 v16, s16, v16
	v_cmp_gt_i32_e64 s16, 0, v18
	v_ashrrev_i32_e32 v17, 31, v19
	s_delay_alu instid0(VALU_DEP_4) | instskip(NEXT) | instid1(VALU_DEP_4)
	v_not_b32_e32 v18, v15
	v_and_b32_e32 v0, v0, v16
	s_delay_alu instid0(VALU_DEP_3) | instskip(SKIP_1) | instid1(VALU_DEP_4)
	v_xor_b32_e32 v16, s16, v17
	v_cmp_gt_i32_e64 s16, 0, v15
	v_ashrrev_i32_e32 v15, 31, v18
	s_delay_alu instid0(VALU_DEP_3) | instskip(NEXT) | instid1(VALU_DEP_2)
	v_and_b32_e32 v0, v0, v16
	v_xor_b32_e32 v15, s16, v15
	s_delay_alu instid0(VALU_DEP_1) | instskip(NEXT) | instid1(VALU_DEP_1)
	v_and_b32_e32 v0, v0, v15
	v_mbcnt_lo_u32_b32 v245, v0, 0
	v_cmp_ne_u32_e64 s17, 0, v0
	s_delay_alu instid0(VALU_DEP_2) | instskip(NEXT) | instid1(VALU_DEP_1)
	v_cmp_eq_u32_e64 s16, 0, v245
	s_and_b32 s17, s17, s16
	s_delay_alu instid0(SALU_CYCLE_1)
	s_and_saveexec_b32 s16, s17
	s_cbranch_execz .LBB1125_65
; %bb.64:                               ;   in Loop: Header=BB1125_53 Depth=1
	s_waitcnt vmcnt(0) lgkmcnt(0)
	v_bcnt_u32_b32 v0, v0, v244
	flat_store_b32 v[182:183], v0
.LBB1125_65:                            ;   in Loop: Header=BB1125_53 Depth=1
	s_or_b32 exec_lo, exec_lo, s16
	v_cmp_ne_u64_e64 s16, s[24:25], v[128:129]
	; wave barrier
	s_delay_alu instid0(VALU_DEP_1) | instskip(SKIP_1) | instid1(VALU_DEP_1)
	v_cndmask_b32_e64 v16, 0x7fffffff, v129, s16
	v_cndmask_b32_e64 v15, -1, v128, s16
	v_lshrrev_b64 v[15:16], v10, v[15:16]
	s_delay_alu instid0(VALU_DEP_1) | instskip(NEXT) | instid1(VALU_DEP_1)
	v_and_b32_e32 v17, v15, v14
	v_lshl_add_u32 v0, v17, 3, v125
	v_lshlrev_b32_e32 v18, 29, v17
	v_lshlrev_b32_e32 v19, 28, v17
	s_delay_alu instid0(VALU_DEP_3) | instskip(SKIP_1) | instid1(VALU_DEP_2)
	v_lshlrev_b64 v[15:16], 2, v[0:1]
	v_and_b32_e32 v0, 1, v17
	v_add_co_u32 v192, s16, v25, v15
	s_delay_alu instid0(VALU_DEP_1) | instskip(NEXT) | instid1(VALU_DEP_3)
	v_add_co_ci_u32_e64 v193, s16, v124, v16, s16
	v_add_co_u32 v0, s16, v0, -1
	s_delay_alu instid0(VALU_DEP_1) | instskip(SKIP_3) | instid1(VALU_DEP_2)
	v_cndmask_b32_e64 v15, 0, 1, s16
	flat_load_b32 v246, v[192:193]
	v_lshlrev_b32_e32 v16, 30, v17
	; wave barrier
	v_cmp_ne_u32_e64 s16, 0, v15
	v_not_b32_e32 v15, v16
	s_delay_alu instid0(VALU_DEP_2) | instskip(SKIP_1) | instid1(VALU_DEP_3)
	v_xor_b32_e32 v0, s16, v0
	v_cmp_gt_i32_e64 s16, 0, v16
	v_ashrrev_i32_e32 v15, 31, v15
	v_not_b32_e32 v16, v18
	s_delay_alu instid0(VALU_DEP_4) | instskip(NEXT) | instid1(VALU_DEP_3)
	v_and_b32_e32 v0, exec_lo, v0
	v_xor_b32_e32 v15, s16, v15
	v_cmp_gt_i32_e64 s16, 0, v18
	s_delay_alu instid0(VALU_DEP_4) | instskip(SKIP_1) | instid1(VALU_DEP_4)
	v_ashrrev_i32_e32 v16, 31, v16
	v_not_b32_e32 v18, v19
	v_and_b32_e32 v0, v0, v15
	v_lshlrev_b32_e32 v15, 27, v17
	s_delay_alu instid0(VALU_DEP_4) | instskip(SKIP_2) | instid1(VALU_DEP_4)
	v_xor_b32_e32 v16, s16, v16
	v_cmp_gt_i32_e64 s16, 0, v19
	v_ashrrev_i32_e32 v18, 31, v18
	v_not_b32_e32 v19, v15
	s_delay_alu instid0(VALU_DEP_4) | instskip(SKIP_1) | instid1(VALU_DEP_4)
	v_and_b32_e32 v0, v0, v16
	v_lshlrev_b32_e32 v16, 26, v17
	v_xor_b32_e32 v18, s16, v18
	v_cmp_gt_i32_e64 s16, 0, v15
	v_ashrrev_i32_e32 v15, 31, v19
	s_delay_alu instid0(VALU_DEP_4) | instskip(NEXT) | instid1(VALU_DEP_4)
	v_not_b32_e32 v19, v16
	v_and_b32_e32 v0, v0, v18
	v_lshlrev_b32_e32 v18, 25, v17
	s_delay_alu instid0(VALU_DEP_4) | instskip(SKIP_2) | instid1(VALU_DEP_4)
	v_xor_b32_e32 v15, s16, v15
	v_cmp_gt_i32_e64 s16, 0, v16
	v_ashrrev_i32_e32 v16, 31, v19
	v_not_b32_e32 v19, v18
	s_delay_alu instid0(VALU_DEP_4) | instskip(SKIP_1) | instid1(VALU_DEP_4)
	v_and_b32_e32 v0, v0, v15
	v_lshlrev_b32_e32 v15, 24, v17
	v_xor_b32_e32 v16, s16, v16
	v_cmp_gt_i32_e64 s16, 0, v18
	v_ashrrev_i32_e32 v17, 31, v19
	s_delay_alu instid0(VALU_DEP_4) | instskip(NEXT) | instid1(VALU_DEP_4)
	v_not_b32_e32 v18, v15
	v_and_b32_e32 v0, v0, v16
	s_delay_alu instid0(VALU_DEP_3) | instskip(SKIP_1) | instid1(VALU_DEP_4)
	v_xor_b32_e32 v16, s16, v17
	v_cmp_gt_i32_e64 s16, 0, v15
	v_ashrrev_i32_e32 v15, 31, v18
	s_delay_alu instid0(VALU_DEP_3) | instskip(NEXT) | instid1(VALU_DEP_2)
	v_and_b32_e32 v0, v0, v16
	v_xor_b32_e32 v15, s16, v15
	s_delay_alu instid0(VALU_DEP_1) | instskip(NEXT) | instid1(VALU_DEP_1)
	v_and_b32_e32 v0, v0, v15
	v_mbcnt_lo_u32_b32 v247, v0, 0
	v_cmp_ne_u32_e64 s17, 0, v0
	s_delay_alu instid0(VALU_DEP_2) | instskip(NEXT) | instid1(VALU_DEP_1)
	v_cmp_eq_u32_e64 s16, 0, v247
	s_and_b32 s17, s17, s16
	s_delay_alu instid0(SALU_CYCLE_1)
	s_and_saveexec_b32 s16, s17
	s_cbranch_execz .LBB1125_67
; %bb.66:                               ;   in Loop: Header=BB1125_53 Depth=1
	s_waitcnt vmcnt(0) lgkmcnt(0)
	v_bcnt_u32_b32 v0, v0, v246
	flat_store_b32 v[192:193], v0
.LBB1125_67:                            ;   in Loop: Header=BB1125_53 Depth=1
	s_or_b32 exec_lo, exec_lo, s16
	v_cmp_ne_u64_e64 s16, s[24:25], v[134:135]
	; wave barrier
	s_delay_alu instid0(VALU_DEP_1) | instskip(SKIP_1) | instid1(VALU_DEP_1)
	v_cndmask_b32_e64 v16, 0x7fffffff, v135, s16
	v_cndmask_b32_e64 v15, -1, v134, s16
	v_lshrrev_b64 v[15:16], v10, v[15:16]
	s_delay_alu instid0(VALU_DEP_1) | instskip(NEXT) | instid1(VALU_DEP_1)
	v_and_b32_e32 v17, v15, v14
	v_lshl_add_u32 v0, v17, 3, v125
	v_lshlrev_b32_e32 v18, 29, v17
	v_lshlrev_b32_e32 v19, 28, v17
	s_delay_alu instid0(VALU_DEP_3) | instskip(SKIP_1) | instid1(VALU_DEP_2)
	v_lshlrev_b64 v[15:16], 2, v[0:1]
	v_and_b32_e32 v0, 1, v17
	v_add_co_u32 v194, s16, v25, v15
	s_delay_alu instid0(VALU_DEP_1) | instskip(NEXT) | instid1(VALU_DEP_3)
	v_add_co_ci_u32_e64 v195, s16, v124, v16, s16
	v_add_co_u32 v0, s16, v0, -1
	s_delay_alu instid0(VALU_DEP_1) | instskip(SKIP_3) | instid1(VALU_DEP_2)
	v_cndmask_b32_e64 v15, 0, 1, s16
	flat_load_b32 v40, v[194:195]
	v_lshlrev_b32_e32 v16, 30, v17
	; wave barrier
	v_cmp_ne_u32_e64 s16, 0, v15
	v_not_b32_e32 v15, v16
	s_delay_alu instid0(VALU_DEP_2) | instskip(SKIP_1) | instid1(VALU_DEP_3)
	v_xor_b32_e32 v0, s16, v0
	v_cmp_gt_i32_e64 s16, 0, v16
	v_ashrrev_i32_e32 v15, 31, v15
	v_not_b32_e32 v16, v18
	s_delay_alu instid0(VALU_DEP_4) | instskip(NEXT) | instid1(VALU_DEP_3)
	v_and_b32_e32 v0, exec_lo, v0
	v_xor_b32_e32 v15, s16, v15
	v_cmp_gt_i32_e64 s16, 0, v18
	s_delay_alu instid0(VALU_DEP_4) | instskip(SKIP_1) | instid1(VALU_DEP_4)
	v_ashrrev_i32_e32 v16, 31, v16
	v_not_b32_e32 v18, v19
	v_and_b32_e32 v0, v0, v15
	v_lshlrev_b32_e32 v15, 27, v17
	s_delay_alu instid0(VALU_DEP_4) | instskip(SKIP_2) | instid1(VALU_DEP_4)
	v_xor_b32_e32 v16, s16, v16
	v_cmp_gt_i32_e64 s16, 0, v19
	v_ashrrev_i32_e32 v18, 31, v18
	v_not_b32_e32 v19, v15
	s_delay_alu instid0(VALU_DEP_4) | instskip(SKIP_1) | instid1(VALU_DEP_4)
	v_and_b32_e32 v0, v0, v16
	v_lshlrev_b32_e32 v16, 26, v17
	v_xor_b32_e32 v18, s16, v18
	v_cmp_gt_i32_e64 s16, 0, v15
	v_ashrrev_i32_e32 v15, 31, v19
	s_delay_alu instid0(VALU_DEP_4) | instskip(NEXT) | instid1(VALU_DEP_4)
	v_not_b32_e32 v19, v16
	v_and_b32_e32 v0, v0, v18
	v_lshlrev_b32_e32 v18, 25, v17
	s_delay_alu instid0(VALU_DEP_4) | instskip(SKIP_2) | instid1(VALU_DEP_4)
	v_xor_b32_e32 v15, s16, v15
	v_cmp_gt_i32_e64 s16, 0, v16
	v_ashrrev_i32_e32 v16, 31, v19
	v_not_b32_e32 v19, v18
	s_delay_alu instid0(VALU_DEP_4) | instskip(SKIP_1) | instid1(VALU_DEP_4)
	v_and_b32_e32 v0, v0, v15
	v_lshlrev_b32_e32 v15, 24, v17
	v_xor_b32_e32 v16, s16, v16
	v_cmp_gt_i32_e64 s16, 0, v18
	v_ashrrev_i32_e32 v17, 31, v19
	s_delay_alu instid0(VALU_DEP_4) | instskip(NEXT) | instid1(VALU_DEP_4)
	v_not_b32_e32 v18, v15
	v_and_b32_e32 v0, v0, v16
	s_delay_alu instid0(VALU_DEP_3) | instskip(SKIP_1) | instid1(VALU_DEP_4)
	v_xor_b32_e32 v16, s16, v17
	v_cmp_gt_i32_e64 s16, 0, v15
	v_ashrrev_i32_e32 v15, 31, v18
	s_delay_alu instid0(VALU_DEP_3) | instskip(NEXT) | instid1(VALU_DEP_2)
	v_and_b32_e32 v0, v0, v16
	v_xor_b32_e32 v15, s16, v15
	s_delay_alu instid0(VALU_DEP_1) | instskip(NEXT) | instid1(VALU_DEP_1)
	v_and_b32_e32 v0, v0, v15
	v_mbcnt_lo_u32_b32 v41, v0, 0
	v_cmp_ne_u32_e64 s17, 0, v0
	s_delay_alu instid0(VALU_DEP_2) | instskip(NEXT) | instid1(VALU_DEP_1)
	v_cmp_eq_u32_e64 s16, 0, v41
	s_and_b32 s17, s17, s16
	s_delay_alu instid0(SALU_CYCLE_1)
	s_and_saveexec_b32 s16, s17
	s_cbranch_execz .LBB1125_69
; %bb.68:                               ;   in Loop: Header=BB1125_53 Depth=1
	s_waitcnt vmcnt(0) lgkmcnt(0)
	v_bcnt_u32_b32 v0, v0, v40
	flat_store_b32 v[194:195], v0
.LBB1125_69:                            ;   in Loop: Header=BB1125_53 Depth=1
	s_or_b32 exec_lo, exec_lo, s16
	v_cmp_ne_u64_e64 s16, s[24:25], v[132:133]
	; wave barrier
	s_delay_alu instid0(VALU_DEP_1) | instskip(SKIP_1) | instid1(VALU_DEP_1)
	v_cndmask_b32_e64 v16, 0x7fffffff, v133, s16
	v_cndmask_b32_e64 v15, -1, v132, s16
	v_lshrrev_b64 v[15:16], v10, v[15:16]
	s_delay_alu instid0(VALU_DEP_1) | instskip(NEXT) | instid1(VALU_DEP_1)
	v_and_b32_e32 v17, v15, v14
	v_lshl_add_u32 v0, v17, 3, v125
	v_lshlrev_b32_e32 v18, 29, v17
	v_lshlrev_b32_e32 v19, 28, v17
	s_delay_alu instid0(VALU_DEP_3) | instskip(SKIP_1) | instid1(VALU_DEP_2)
	v_lshlrev_b64 v[15:16], 2, v[0:1]
	v_and_b32_e32 v0, 1, v17
	v_add_co_u32 v196, s16, v25, v15
	s_delay_alu instid0(VALU_DEP_1) | instskip(NEXT) | instid1(VALU_DEP_3)
	v_add_co_ci_u32_e64 v197, s16, v124, v16, s16
	v_add_co_u32 v0, s16, v0, -1
	s_delay_alu instid0(VALU_DEP_1) | instskip(SKIP_3) | instid1(VALU_DEP_2)
	v_cndmask_b32_e64 v15, 0, 1, s16
	flat_load_b32 v42, v[196:197]
	v_lshlrev_b32_e32 v16, 30, v17
	; wave barrier
	v_cmp_ne_u32_e64 s16, 0, v15
	v_not_b32_e32 v15, v16
	s_delay_alu instid0(VALU_DEP_2) | instskip(SKIP_1) | instid1(VALU_DEP_3)
	v_xor_b32_e32 v0, s16, v0
	v_cmp_gt_i32_e64 s16, 0, v16
	v_ashrrev_i32_e32 v15, 31, v15
	v_not_b32_e32 v16, v18
	s_delay_alu instid0(VALU_DEP_4) | instskip(NEXT) | instid1(VALU_DEP_3)
	v_and_b32_e32 v0, exec_lo, v0
	v_xor_b32_e32 v15, s16, v15
	v_cmp_gt_i32_e64 s16, 0, v18
	s_delay_alu instid0(VALU_DEP_4) | instskip(SKIP_1) | instid1(VALU_DEP_4)
	v_ashrrev_i32_e32 v16, 31, v16
	v_not_b32_e32 v18, v19
	v_and_b32_e32 v0, v0, v15
	v_lshlrev_b32_e32 v15, 27, v17
	s_delay_alu instid0(VALU_DEP_4) | instskip(SKIP_2) | instid1(VALU_DEP_4)
	v_xor_b32_e32 v16, s16, v16
	v_cmp_gt_i32_e64 s16, 0, v19
	v_ashrrev_i32_e32 v18, 31, v18
	v_not_b32_e32 v19, v15
	s_delay_alu instid0(VALU_DEP_4) | instskip(SKIP_1) | instid1(VALU_DEP_4)
	v_and_b32_e32 v0, v0, v16
	v_lshlrev_b32_e32 v16, 26, v17
	v_xor_b32_e32 v18, s16, v18
	v_cmp_gt_i32_e64 s16, 0, v15
	v_ashrrev_i32_e32 v15, 31, v19
	s_delay_alu instid0(VALU_DEP_4) | instskip(NEXT) | instid1(VALU_DEP_4)
	v_not_b32_e32 v19, v16
	v_and_b32_e32 v0, v0, v18
	v_lshlrev_b32_e32 v18, 25, v17
	s_delay_alu instid0(VALU_DEP_4) | instskip(SKIP_2) | instid1(VALU_DEP_4)
	v_xor_b32_e32 v15, s16, v15
	v_cmp_gt_i32_e64 s16, 0, v16
	v_ashrrev_i32_e32 v16, 31, v19
	v_not_b32_e32 v19, v18
	s_delay_alu instid0(VALU_DEP_4) | instskip(SKIP_1) | instid1(VALU_DEP_4)
	v_and_b32_e32 v0, v0, v15
	v_lshlrev_b32_e32 v15, 24, v17
	v_xor_b32_e32 v16, s16, v16
	v_cmp_gt_i32_e64 s16, 0, v18
	v_ashrrev_i32_e32 v17, 31, v19
	s_delay_alu instid0(VALU_DEP_4) | instskip(NEXT) | instid1(VALU_DEP_4)
	v_not_b32_e32 v18, v15
	v_and_b32_e32 v0, v0, v16
	s_delay_alu instid0(VALU_DEP_3) | instskip(SKIP_1) | instid1(VALU_DEP_4)
	v_xor_b32_e32 v16, s16, v17
	v_cmp_gt_i32_e64 s16, 0, v15
	v_ashrrev_i32_e32 v15, 31, v18
	s_delay_alu instid0(VALU_DEP_3) | instskip(NEXT) | instid1(VALU_DEP_2)
	v_and_b32_e32 v0, v0, v16
	v_xor_b32_e32 v15, s16, v15
	s_delay_alu instid0(VALU_DEP_1) | instskip(NEXT) | instid1(VALU_DEP_1)
	v_and_b32_e32 v0, v0, v15
	v_mbcnt_lo_u32_b32 v43, v0, 0
	v_cmp_ne_u32_e64 s17, 0, v0
	s_delay_alu instid0(VALU_DEP_2) | instskip(NEXT) | instid1(VALU_DEP_1)
	v_cmp_eq_u32_e64 s16, 0, v43
	s_and_b32 s17, s17, s16
	s_delay_alu instid0(SALU_CYCLE_1)
	s_and_saveexec_b32 s16, s17
	s_cbranch_execz .LBB1125_71
; %bb.70:                               ;   in Loop: Header=BB1125_53 Depth=1
	s_waitcnt vmcnt(0) lgkmcnt(0)
	v_bcnt_u32_b32 v0, v0, v42
	flat_store_b32 v[196:197], v0
.LBB1125_71:                            ;   in Loop: Header=BB1125_53 Depth=1
	s_or_b32 exec_lo, exec_lo, s16
	v_cmp_ne_u64_e64 s16, s[24:25], v[130:131]
	; wave barrier
	s_delay_alu instid0(VALU_DEP_1) | instskip(SKIP_1) | instid1(VALU_DEP_1)
	v_cndmask_b32_e64 v16, 0x7fffffff, v131, s16
	v_cndmask_b32_e64 v15, -1, v130, s16
	v_lshrrev_b64 v[15:16], v10, v[15:16]
	s_delay_alu instid0(VALU_DEP_1) | instskip(NEXT) | instid1(VALU_DEP_1)
	v_and_b32_e32 v17, v15, v14
	v_lshl_add_u32 v0, v17, 3, v125
	v_lshlrev_b32_e32 v18, 29, v17
	v_lshlrev_b32_e32 v19, 28, v17
	s_delay_alu instid0(VALU_DEP_3) | instskip(SKIP_1) | instid1(VALU_DEP_2)
	v_lshlrev_b64 v[15:16], 2, v[0:1]
	v_and_b32_e32 v0, 1, v17
	v_add_co_u32 v198, s16, v25, v15
	s_delay_alu instid0(VALU_DEP_1) | instskip(NEXT) | instid1(VALU_DEP_3)
	v_add_co_ci_u32_e64 v199, s16, v124, v16, s16
	v_add_co_u32 v0, s16, v0, -1
	s_delay_alu instid0(VALU_DEP_1) | instskip(SKIP_3) | instid1(VALU_DEP_2)
	v_cndmask_b32_e64 v15, 0, 1, s16
	flat_load_b32 v44, v[198:199]
	v_lshlrev_b32_e32 v16, 30, v17
	; wave barrier
	v_cmp_ne_u32_e64 s16, 0, v15
	v_not_b32_e32 v15, v16
	s_delay_alu instid0(VALU_DEP_2) | instskip(SKIP_1) | instid1(VALU_DEP_3)
	v_xor_b32_e32 v0, s16, v0
	v_cmp_gt_i32_e64 s16, 0, v16
	v_ashrrev_i32_e32 v15, 31, v15
	v_not_b32_e32 v16, v18
	s_delay_alu instid0(VALU_DEP_4) | instskip(NEXT) | instid1(VALU_DEP_3)
	v_and_b32_e32 v0, exec_lo, v0
	v_xor_b32_e32 v15, s16, v15
	v_cmp_gt_i32_e64 s16, 0, v18
	s_delay_alu instid0(VALU_DEP_4) | instskip(SKIP_1) | instid1(VALU_DEP_4)
	v_ashrrev_i32_e32 v16, 31, v16
	v_not_b32_e32 v18, v19
	v_and_b32_e32 v0, v0, v15
	v_lshlrev_b32_e32 v15, 27, v17
	s_delay_alu instid0(VALU_DEP_4) | instskip(SKIP_2) | instid1(VALU_DEP_4)
	v_xor_b32_e32 v16, s16, v16
	v_cmp_gt_i32_e64 s16, 0, v19
	v_ashrrev_i32_e32 v18, 31, v18
	v_not_b32_e32 v19, v15
	s_delay_alu instid0(VALU_DEP_4) | instskip(SKIP_1) | instid1(VALU_DEP_4)
	v_and_b32_e32 v0, v0, v16
	v_lshlrev_b32_e32 v16, 26, v17
	v_xor_b32_e32 v18, s16, v18
	v_cmp_gt_i32_e64 s16, 0, v15
	v_ashrrev_i32_e32 v15, 31, v19
	s_delay_alu instid0(VALU_DEP_4) | instskip(NEXT) | instid1(VALU_DEP_4)
	v_not_b32_e32 v19, v16
	v_and_b32_e32 v0, v0, v18
	v_lshlrev_b32_e32 v18, 25, v17
	s_delay_alu instid0(VALU_DEP_4) | instskip(SKIP_2) | instid1(VALU_DEP_4)
	v_xor_b32_e32 v15, s16, v15
	v_cmp_gt_i32_e64 s16, 0, v16
	v_ashrrev_i32_e32 v16, 31, v19
	v_not_b32_e32 v19, v18
	s_delay_alu instid0(VALU_DEP_4) | instskip(SKIP_1) | instid1(VALU_DEP_4)
	v_and_b32_e32 v0, v0, v15
	v_lshlrev_b32_e32 v15, 24, v17
	v_xor_b32_e32 v16, s16, v16
	v_cmp_gt_i32_e64 s16, 0, v18
	v_ashrrev_i32_e32 v17, 31, v19
	s_delay_alu instid0(VALU_DEP_4) | instskip(NEXT) | instid1(VALU_DEP_4)
	v_not_b32_e32 v18, v15
	v_and_b32_e32 v0, v0, v16
	s_delay_alu instid0(VALU_DEP_3) | instskip(SKIP_1) | instid1(VALU_DEP_4)
	v_xor_b32_e32 v16, s16, v17
	v_cmp_gt_i32_e64 s16, 0, v15
	v_ashrrev_i32_e32 v15, 31, v18
	s_delay_alu instid0(VALU_DEP_3) | instskip(NEXT) | instid1(VALU_DEP_2)
	v_and_b32_e32 v0, v0, v16
	v_xor_b32_e32 v15, s16, v15
	s_delay_alu instid0(VALU_DEP_1) | instskip(NEXT) | instid1(VALU_DEP_1)
	v_and_b32_e32 v0, v0, v15
	v_mbcnt_lo_u32_b32 v45, v0, 0
	v_cmp_ne_u32_e64 s17, 0, v0
	s_delay_alu instid0(VALU_DEP_2) | instskip(NEXT) | instid1(VALU_DEP_1)
	v_cmp_eq_u32_e64 s16, 0, v45
	s_and_b32 s17, s17, s16
	s_delay_alu instid0(SALU_CYCLE_1)
	s_and_saveexec_b32 s16, s17
	s_cbranch_execz .LBB1125_73
; %bb.72:                               ;   in Loop: Header=BB1125_53 Depth=1
	s_waitcnt vmcnt(0) lgkmcnt(0)
	v_bcnt_u32_b32 v0, v0, v44
	flat_store_b32 v[198:199], v0
.LBB1125_73:                            ;   in Loop: Header=BB1125_53 Depth=1
	s_or_b32 exec_lo, exec_lo, s16
	v_cmp_ne_u64_e64 s16, s[24:25], v[150:151]
	; wave barrier
	s_delay_alu instid0(VALU_DEP_1) | instskip(SKIP_1) | instid1(VALU_DEP_1)
	v_cndmask_b32_e64 v16, 0x7fffffff, v151, s16
	v_cndmask_b32_e64 v15, -1, v150, s16
	v_lshrrev_b64 v[15:16], v10, v[15:16]
	s_delay_alu instid0(VALU_DEP_1) | instskip(NEXT) | instid1(VALU_DEP_1)
	v_and_b32_e32 v17, v15, v14
	v_lshl_add_u32 v0, v17, 3, v125
	v_lshlrev_b32_e32 v18, 29, v17
	v_lshlrev_b32_e32 v19, 28, v17
	s_delay_alu instid0(VALU_DEP_3) | instskip(SKIP_1) | instid1(VALU_DEP_2)
	v_lshlrev_b64 v[15:16], 2, v[0:1]
	v_and_b32_e32 v0, 1, v17
	v_add_co_u32 v208, s16, v25, v15
	s_delay_alu instid0(VALU_DEP_1) | instskip(NEXT) | instid1(VALU_DEP_3)
	v_add_co_ci_u32_e64 v209, s16, v124, v16, s16
	v_add_co_u32 v0, s16, v0, -1
	s_delay_alu instid0(VALU_DEP_1) | instskip(SKIP_3) | instid1(VALU_DEP_2)
	v_cndmask_b32_e64 v15, 0, 1, s16
	flat_load_b32 v46, v[208:209]
	v_lshlrev_b32_e32 v16, 30, v17
	; wave barrier
	v_cmp_ne_u32_e64 s16, 0, v15
	v_not_b32_e32 v15, v16
	s_delay_alu instid0(VALU_DEP_2) | instskip(SKIP_1) | instid1(VALU_DEP_3)
	v_xor_b32_e32 v0, s16, v0
	v_cmp_gt_i32_e64 s16, 0, v16
	v_ashrrev_i32_e32 v15, 31, v15
	v_not_b32_e32 v16, v18
	s_delay_alu instid0(VALU_DEP_4) | instskip(NEXT) | instid1(VALU_DEP_3)
	v_and_b32_e32 v0, exec_lo, v0
	v_xor_b32_e32 v15, s16, v15
	v_cmp_gt_i32_e64 s16, 0, v18
	s_delay_alu instid0(VALU_DEP_4) | instskip(SKIP_1) | instid1(VALU_DEP_4)
	v_ashrrev_i32_e32 v16, 31, v16
	v_not_b32_e32 v18, v19
	v_and_b32_e32 v0, v0, v15
	v_lshlrev_b32_e32 v15, 27, v17
	s_delay_alu instid0(VALU_DEP_4) | instskip(SKIP_2) | instid1(VALU_DEP_4)
	v_xor_b32_e32 v16, s16, v16
	v_cmp_gt_i32_e64 s16, 0, v19
	v_ashrrev_i32_e32 v18, 31, v18
	v_not_b32_e32 v19, v15
	s_delay_alu instid0(VALU_DEP_4) | instskip(SKIP_1) | instid1(VALU_DEP_4)
	v_and_b32_e32 v0, v0, v16
	v_lshlrev_b32_e32 v16, 26, v17
	v_xor_b32_e32 v18, s16, v18
	v_cmp_gt_i32_e64 s16, 0, v15
	v_ashrrev_i32_e32 v15, 31, v19
	s_delay_alu instid0(VALU_DEP_4) | instskip(NEXT) | instid1(VALU_DEP_4)
	v_not_b32_e32 v19, v16
	v_and_b32_e32 v0, v0, v18
	v_lshlrev_b32_e32 v18, 25, v17
	s_delay_alu instid0(VALU_DEP_4) | instskip(SKIP_2) | instid1(VALU_DEP_4)
	v_xor_b32_e32 v15, s16, v15
	v_cmp_gt_i32_e64 s16, 0, v16
	v_ashrrev_i32_e32 v16, 31, v19
	v_not_b32_e32 v19, v18
	s_delay_alu instid0(VALU_DEP_4) | instskip(SKIP_1) | instid1(VALU_DEP_4)
	v_and_b32_e32 v0, v0, v15
	v_lshlrev_b32_e32 v15, 24, v17
	v_xor_b32_e32 v16, s16, v16
	v_cmp_gt_i32_e64 s16, 0, v18
	v_ashrrev_i32_e32 v17, 31, v19
	s_delay_alu instid0(VALU_DEP_4) | instskip(NEXT) | instid1(VALU_DEP_4)
	v_not_b32_e32 v18, v15
	v_and_b32_e32 v0, v0, v16
	s_delay_alu instid0(VALU_DEP_3) | instskip(SKIP_1) | instid1(VALU_DEP_4)
	v_xor_b32_e32 v16, s16, v17
	v_cmp_gt_i32_e64 s16, 0, v15
	v_ashrrev_i32_e32 v15, 31, v18
	s_delay_alu instid0(VALU_DEP_3) | instskip(NEXT) | instid1(VALU_DEP_2)
	v_and_b32_e32 v0, v0, v16
	v_xor_b32_e32 v15, s16, v15
	s_delay_alu instid0(VALU_DEP_1) | instskip(NEXT) | instid1(VALU_DEP_1)
	v_and_b32_e32 v0, v0, v15
	v_mbcnt_lo_u32_b32 v56, v0, 0
	v_cmp_ne_u32_e64 s17, 0, v0
	s_delay_alu instid0(VALU_DEP_2) | instskip(NEXT) | instid1(VALU_DEP_1)
	v_cmp_eq_u32_e64 s16, 0, v56
	s_and_b32 s17, s17, s16
	s_delay_alu instid0(SALU_CYCLE_1)
	s_and_saveexec_b32 s16, s17
	s_cbranch_execz .LBB1125_75
; %bb.74:                               ;   in Loop: Header=BB1125_53 Depth=1
	s_waitcnt vmcnt(0) lgkmcnt(0)
	v_bcnt_u32_b32 v0, v0, v46
	flat_store_b32 v[208:209], v0
.LBB1125_75:                            ;   in Loop: Header=BB1125_53 Depth=1
	s_or_b32 exec_lo, exec_lo, s16
	v_cmp_ne_u64_e64 s16, s[24:25], v[148:149]
	; wave barrier
	s_delay_alu instid0(VALU_DEP_1) | instskip(SKIP_1) | instid1(VALU_DEP_1)
	v_cndmask_b32_e64 v16, 0x7fffffff, v149, s16
	v_cndmask_b32_e64 v15, -1, v148, s16
	v_lshrrev_b64 v[15:16], v10, v[15:16]
	s_delay_alu instid0(VALU_DEP_1) | instskip(NEXT) | instid1(VALU_DEP_1)
	v_and_b32_e32 v17, v15, v14
	v_lshl_add_u32 v0, v17, 3, v125
	v_lshlrev_b32_e32 v18, 29, v17
	v_lshlrev_b32_e32 v19, 28, v17
	s_delay_alu instid0(VALU_DEP_3) | instskip(SKIP_1) | instid1(VALU_DEP_2)
	v_lshlrev_b64 v[15:16], 2, v[0:1]
	v_and_b32_e32 v0, 1, v17
	v_add_co_u32 v210, s16, v25, v15
	s_delay_alu instid0(VALU_DEP_1) | instskip(NEXT) | instid1(VALU_DEP_3)
	v_add_co_ci_u32_e64 v211, s16, v124, v16, s16
	v_add_co_u32 v0, s16, v0, -1
	s_delay_alu instid0(VALU_DEP_1) | instskip(SKIP_3) | instid1(VALU_DEP_2)
	v_cndmask_b32_e64 v15, 0, 1, s16
	flat_load_b32 v57, v[210:211]
	v_lshlrev_b32_e32 v16, 30, v17
	; wave barrier
	v_cmp_ne_u32_e64 s16, 0, v15
	v_not_b32_e32 v15, v16
	s_delay_alu instid0(VALU_DEP_2) | instskip(SKIP_1) | instid1(VALU_DEP_3)
	v_xor_b32_e32 v0, s16, v0
	v_cmp_gt_i32_e64 s16, 0, v16
	v_ashrrev_i32_e32 v15, 31, v15
	v_not_b32_e32 v16, v18
	s_delay_alu instid0(VALU_DEP_4) | instskip(NEXT) | instid1(VALU_DEP_3)
	v_and_b32_e32 v0, exec_lo, v0
	v_xor_b32_e32 v15, s16, v15
	v_cmp_gt_i32_e64 s16, 0, v18
	s_delay_alu instid0(VALU_DEP_4) | instskip(SKIP_1) | instid1(VALU_DEP_4)
	v_ashrrev_i32_e32 v16, 31, v16
	v_not_b32_e32 v18, v19
	v_and_b32_e32 v0, v0, v15
	v_lshlrev_b32_e32 v15, 27, v17
	s_delay_alu instid0(VALU_DEP_4) | instskip(SKIP_2) | instid1(VALU_DEP_4)
	v_xor_b32_e32 v16, s16, v16
	v_cmp_gt_i32_e64 s16, 0, v19
	v_ashrrev_i32_e32 v18, 31, v18
	v_not_b32_e32 v19, v15
	s_delay_alu instid0(VALU_DEP_4) | instskip(SKIP_1) | instid1(VALU_DEP_4)
	v_and_b32_e32 v0, v0, v16
	v_lshlrev_b32_e32 v16, 26, v17
	v_xor_b32_e32 v18, s16, v18
	v_cmp_gt_i32_e64 s16, 0, v15
	v_ashrrev_i32_e32 v15, 31, v19
	s_delay_alu instid0(VALU_DEP_4) | instskip(NEXT) | instid1(VALU_DEP_4)
	v_not_b32_e32 v19, v16
	v_and_b32_e32 v0, v0, v18
	v_lshlrev_b32_e32 v18, 25, v17
	s_delay_alu instid0(VALU_DEP_4) | instskip(SKIP_2) | instid1(VALU_DEP_4)
	v_xor_b32_e32 v15, s16, v15
	v_cmp_gt_i32_e64 s16, 0, v16
	v_ashrrev_i32_e32 v16, 31, v19
	v_not_b32_e32 v19, v18
	s_delay_alu instid0(VALU_DEP_4) | instskip(SKIP_1) | instid1(VALU_DEP_4)
	v_and_b32_e32 v0, v0, v15
	v_lshlrev_b32_e32 v15, 24, v17
	v_xor_b32_e32 v16, s16, v16
	v_cmp_gt_i32_e64 s16, 0, v18
	v_ashrrev_i32_e32 v17, 31, v19
	s_delay_alu instid0(VALU_DEP_4) | instskip(NEXT) | instid1(VALU_DEP_4)
	v_not_b32_e32 v18, v15
	v_and_b32_e32 v0, v0, v16
	s_delay_alu instid0(VALU_DEP_3) | instskip(SKIP_1) | instid1(VALU_DEP_4)
	v_xor_b32_e32 v16, s16, v17
	v_cmp_gt_i32_e64 s16, 0, v15
	v_ashrrev_i32_e32 v15, 31, v18
	s_delay_alu instid0(VALU_DEP_3) | instskip(NEXT) | instid1(VALU_DEP_2)
	v_and_b32_e32 v0, v0, v16
	v_xor_b32_e32 v15, s16, v15
	s_delay_alu instid0(VALU_DEP_1) | instskip(NEXT) | instid1(VALU_DEP_1)
	v_and_b32_e32 v0, v0, v15
	v_mbcnt_lo_u32_b32 v58, v0, 0
	v_cmp_ne_u32_e64 s17, 0, v0
	s_delay_alu instid0(VALU_DEP_2) | instskip(NEXT) | instid1(VALU_DEP_1)
	v_cmp_eq_u32_e64 s16, 0, v58
	s_and_b32 s17, s17, s16
	s_delay_alu instid0(SALU_CYCLE_1)
	s_and_saveexec_b32 s16, s17
	s_cbranch_execz .LBB1125_77
; %bb.76:                               ;   in Loop: Header=BB1125_53 Depth=1
	s_waitcnt vmcnt(0) lgkmcnt(0)
	v_bcnt_u32_b32 v0, v0, v57
	flat_store_b32 v[210:211], v0
.LBB1125_77:                            ;   in Loop: Header=BB1125_53 Depth=1
	s_or_b32 exec_lo, exec_lo, s16
	v_cmp_ne_u64_e64 s16, s[24:25], v[146:147]
	; wave barrier
	s_delay_alu instid0(VALU_DEP_1) | instskip(SKIP_1) | instid1(VALU_DEP_1)
	v_cndmask_b32_e64 v16, 0x7fffffff, v147, s16
	v_cndmask_b32_e64 v15, -1, v146, s16
	v_lshrrev_b64 v[15:16], v10, v[15:16]
	s_delay_alu instid0(VALU_DEP_1) | instskip(NEXT) | instid1(VALU_DEP_1)
	v_and_b32_e32 v17, v15, v14
	v_lshl_add_u32 v0, v17, 3, v125
	v_lshlrev_b32_e32 v18, 29, v17
	v_lshlrev_b32_e32 v19, 28, v17
	s_delay_alu instid0(VALU_DEP_3) | instskip(SKIP_1) | instid1(VALU_DEP_2)
	v_lshlrev_b64 v[15:16], 2, v[0:1]
	v_and_b32_e32 v0, 1, v17
	v_add_co_u32 v212, s16, v25, v15
	s_delay_alu instid0(VALU_DEP_1) | instskip(NEXT) | instid1(VALU_DEP_3)
	v_add_co_ci_u32_e64 v213, s16, v124, v16, s16
	v_add_co_u32 v0, s16, v0, -1
	s_delay_alu instid0(VALU_DEP_1) | instskip(SKIP_3) | instid1(VALU_DEP_2)
	v_cndmask_b32_e64 v15, 0, 1, s16
	flat_load_b32 v59, v[212:213]
	v_lshlrev_b32_e32 v16, 30, v17
	; wave barrier
	v_cmp_ne_u32_e64 s16, 0, v15
	v_not_b32_e32 v15, v16
	s_delay_alu instid0(VALU_DEP_2) | instskip(SKIP_1) | instid1(VALU_DEP_3)
	v_xor_b32_e32 v0, s16, v0
	v_cmp_gt_i32_e64 s16, 0, v16
	v_ashrrev_i32_e32 v15, 31, v15
	v_not_b32_e32 v16, v18
	s_delay_alu instid0(VALU_DEP_4) | instskip(NEXT) | instid1(VALU_DEP_3)
	v_and_b32_e32 v0, exec_lo, v0
	v_xor_b32_e32 v15, s16, v15
	v_cmp_gt_i32_e64 s16, 0, v18
	s_delay_alu instid0(VALU_DEP_4) | instskip(SKIP_1) | instid1(VALU_DEP_4)
	v_ashrrev_i32_e32 v16, 31, v16
	v_not_b32_e32 v18, v19
	v_and_b32_e32 v0, v0, v15
	v_lshlrev_b32_e32 v15, 27, v17
	s_delay_alu instid0(VALU_DEP_4) | instskip(SKIP_2) | instid1(VALU_DEP_4)
	v_xor_b32_e32 v16, s16, v16
	v_cmp_gt_i32_e64 s16, 0, v19
	v_ashrrev_i32_e32 v18, 31, v18
	v_not_b32_e32 v19, v15
	s_delay_alu instid0(VALU_DEP_4) | instskip(SKIP_1) | instid1(VALU_DEP_4)
	v_and_b32_e32 v0, v0, v16
	v_lshlrev_b32_e32 v16, 26, v17
	v_xor_b32_e32 v18, s16, v18
	v_cmp_gt_i32_e64 s16, 0, v15
	v_ashrrev_i32_e32 v15, 31, v19
	s_delay_alu instid0(VALU_DEP_4) | instskip(NEXT) | instid1(VALU_DEP_4)
	v_not_b32_e32 v19, v16
	v_and_b32_e32 v0, v0, v18
	v_lshlrev_b32_e32 v18, 25, v17
	s_delay_alu instid0(VALU_DEP_4) | instskip(SKIP_2) | instid1(VALU_DEP_4)
	v_xor_b32_e32 v15, s16, v15
	v_cmp_gt_i32_e64 s16, 0, v16
	v_ashrrev_i32_e32 v16, 31, v19
	v_not_b32_e32 v19, v18
	s_delay_alu instid0(VALU_DEP_4) | instskip(SKIP_1) | instid1(VALU_DEP_4)
	v_and_b32_e32 v0, v0, v15
	v_lshlrev_b32_e32 v15, 24, v17
	v_xor_b32_e32 v16, s16, v16
	v_cmp_gt_i32_e64 s16, 0, v18
	v_ashrrev_i32_e32 v17, 31, v19
	s_delay_alu instid0(VALU_DEP_4) | instskip(NEXT) | instid1(VALU_DEP_4)
	v_not_b32_e32 v18, v15
	v_and_b32_e32 v0, v0, v16
	s_delay_alu instid0(VALU_DEP_3) | instskip(SKIP_1) | instid1(VALU_DEP_4)
	v_xor_b32_e32 v16, s16, v17
	v_cmp_gt_i32_e64 s16, 0, v15
	v_ashrrev_i32_e32 v15, 31, v18
	s_delay_alu instid0(VALU_DEP_3) | instskip(NEXT) | instid1(VALU_DEP_2)
	v_and_b32_e32 v0, v0, v16
	v_xor_b32_e32 v15, s16, v15
	s_delay_alu instid0(VALU_DEP_1) | instskip(NEXT) | instid1(VALU_DEP_1)
	v_and_b32_e32 v0, v0, v15
	v_mbcnt_lo_u32_b32 v60, v0, 0
	v_cmp_ne_u32_e64 s17, 0, v0
	s_delay_alu instid0(VALU_DEP_2) | instskip(NEXT) | instid1(VALU_DEP_1)
	v_cmp_eq_u32_e64 s16, 0, v60
	s_and_b32 s17, s17, s16
	s_delay_alu instid0(SALU_CYCLE_1)
	s_and_saveexec_b32 s16, s17
	s_cbranch_execz .LBB1125_79
; %bb.78:                               ;   in Loop: Header=BB1125_53 Depth=1
	s_waitcnt vmcnt(0) lgkmcnt(0)
	v_bcnt_u32_b32 v0, v0, v59
	flat_store_b32 v[212:213], v0
.LBB1125_79:                            ;   in Loop: Header=BB1125_53 Depth=1
	s_or_b32 exec_lo, exec_lo, s16
	v_cmp_ne_u64_e64 s16, s[24:25], v[144:145]
	; wave barrier
	s_delay_alu instid0(VALU_DEP_1) | instskip(SKIP_1) | instid1(VALU_DEP_1)
	v_cndmask_b32_e64 v16, 0x7fffffff, v145, s16
	v_cndmask_b32_e64 v15, -1, v144, s16
	v_lshrrev_b64 v[15:16], v10, v[15:16]
	s_delay_alu instid0(VALU_DEP_1) | instskip(NEXT) | instid1(VALU_DEP_1)
	v_and_b32_e32 v17, v15, v14
	v_lshl_add_u32 v0, v17, 3, v125
	v_lshlrev_b32_e32 v18, 29, v17
	v_lshlrev_b32_e32 v19, 28, v17
	s_delay_alu instid0(VALU_DEP_3) | instskip(SKIP_1) | instid1(VALU_DEP_2)
	v_lshlrev_b64 v[15:16], 2, v[0:1]
	v_and_b32_e32 v0, 1, v17
	v_add_co_u32 v214, s16, v25, v15
	s_delay_alu instid0(VALU_DEP_1) | instskip(NEXT) | instid1(VALU_DEP_3)
	v_add_co_ci_u32_e64 v215, s16, v124, v16, s16
	v_add_co_u32 v0, s16, v0, -1
	s_delay_alu instid0(VALU_DEP_1) | instskip(SKIP_3) | instid1(VALU_DEP_2)
	v_cndmask_b32_e64 v15, 0, 1, s16
	flat_load_b32 v61, v[214:215]
	v_lshlrev_b32_e32 v16, 30, v17
	; wave barrier
	v_cmp_ne_u32_e64 s16, 0, v15
	v_not_b32_e32 v15, v16
	s_delay_alu instid0(VALU_DEP_2) | instskip(SKIP_1) | instid1(VALU_DEP_3)
	v_xor_b32_e32 v0, s16, v0
	v_cmp_gt_i32_e64 s16, 0, v16
	v_ashrrev_i32_e32 v15, 31, v15
	v_not_b32_e32 v16, v18
	s_delay_alu instid0(VALU_DEP_4) | instskip(NEXT) | instid1(VALU_DEP_3)
	v_and_b32_e32 v0, exec_lo, v0
	v_xor_b32_e32 v15, s16, v15
	v_cmp_gt_i32_e64 s16, 0, v18
	s_delay_alu instid0(VALU_DEP_4) | instskip(SKIP_1) | instid1(VALU_DEP_4)
	v_ashrrev_i32_e32 v16, 31, v16
	v_not_b32_e32 v18, v19
	v_and_b32_e32 v0, v0, v15
	v_lshlrev_b32_e32 v15, 27, v17
	s_delay_alu instid0(VALU_DEP_4) | instskip(SKIP_2) | instid1(VALU_DEP_4)
	v_xor_b32_e32 v16, s16, v16
	v_cmp_gt_i32_e64 s16, 0, v19
	v_ashrrev_i32_e32 v18, 31, v18
	v_not_b32_e32 v19, v15
	s_delay_alu instid0(VALU_DEP_4) | instskip(SKIP_1) | instid1(VALU_DEP_4)
	v_and_b32_e32 v0, v0, v16
	v_lshlrev_b32_e32 v16, 26, v17
	v_xor_b32_e32 v18, s16, v18
	v_cmp_gt_i32_e64 s16, 0, v15
	v_ashrrev_i32_e32 v15, 31, v19
	s_delay_alu instid0(VALU_DEP_4) | instskip(NEXT) | instid1(VALU_DEP_4)
	v_not_b32_e32 v19, v16
	v_and_b32_e32 v0, v0, v18
	v_lshlrev_b32_e32 v18, 25, v17
	s_delay_alu instid0(VALU_DEP_4) | instskip(SKIP_2) | instid1(VALU_DEP_4)
	v_xor_b32_e32 v15, s16, v15
	v_cmp_gt_i32_e64 s16, 0, v16
	v_ashrrev_i32_e32 v16, 31, v19
	v_not_b32_e32 v19, v18
	s_delay_alu instid0(VALU_DEP_4) | instskip(SKIP_1) | instid1(VALU_DEP_4)
	v_and_b32_e32 v0, v0, v15
	v_lshlrev_b32_e32 v15, 24, v17
	v_xor_b32_e32 v16, s16, v16
	v_cmp_gt_i32_e64 s16, 0, v18
	v_ashrrev_i32_e32 v17, 31, v19
	s_delay_alu instid0(VALU_DEP_4) | instskip(NEXT) | instid1(VALU_DEP_4)
	v_not_b32_e32 v18, v15
	v_and_b32_e32 v0, v0, v16
	s_delay_alu instid0(VALU_DEP_3) | instskip(SKIP_1) | instid1(VALU_DEP_4)
	v_xor_b32_e32 v16, s16, v17
	v_cmp_gt_i32_e64 s16, 0, v15
	v_ashrrev_i32_e32 v15, 31, v18
	s_delay_alu instid0(VALU_DEP_3) | instskip(NEXT) | instid1(VALU_DEP_2)
	v_and_b32_e32 v0, v0, v16
	v_xor_b32_e32 v15, s16, v15
	s_delay_alu instid0(VALU_DEP_1) | instskip(NEXT) | instid1(VALU_DEP_1)
	v_and_b32_e32 v0, v0, v15
	v_mbcnt_lo_u32_b32 v62, v0, 0
	v_cmp_ne_u32_e64 s17, 0, v0
	s_delay_alu instid0(VALU_DEP_2) | instskip(NEXT) | instid1(VALU_DEP_1)
	v_cmp_eq_u32_e64 s16, 0, v62
	s_and_b32 s17, s17, s16
	s_delay_alu instid0(SALU_CYCLE_1)
	s_and_saveexec_b32 s16, s17
	s_cbranch_execz .LBB1125_81
; %bb.80:                               ;   in Loop: Header=BB1125_53 Depth=1
	s_waitcnt vmcnt(0) lgkmcnt(0)
	v_bcnt_u32_b32 v0, v0, v61
	flat_store_b32 v[214:215], v0
.LBB1125_81:                            ;   in Loop: Header=BB1125_53 Depth=1
	s_or_b32 exec_lo, exec_lo, s16
	v_cmp_ne_u64_e64 s16, s[24:25], v[160:161]
	; wave barrier
	s_delay_alu instid0(VALU_DEP_1) | instskip(SKIP_1) | instid1(VALU_DEP_1)
	v_cndmask_b32_e64 v16, 0x7fffffff, v161, s16
	v_cndmask_b32_e64 v15, -1, v160, s16
	v_lshrrev_b64 v[15:16], v10, v[15:16]
	s_delay_alu instid0(VALU_DEP_1) | instskip(NEXT) | instid1(VALU_DEP_1)
	v_and_b32_e32 v17, v15, v14
	v_lshl_add_u32 v0, v17, 3, v125
	v_lshlrev_b32_e32 v18, 29, v17
	v_lshlrev_b32_e32 v19, 28, v17
	s_delay_alu instid0(VALU_DEP_3) | instskip(SKIP_1) | instid1(VALU_DEP_2)
	v_lshlrev_b64 v[15:16], 2, v[0:1]
	v_and_b32_e32 v0, 1, v17
	v_add_co_u32 v224, s16, v25, v15
	s_delay_alu instid0(VALU_DEP_1) | instskip(NEXT) | instid1(VALU_DEP_3)
	v_add_co_ci_u32_e64 v225, s16, v124, v16, s16
	v_add_co_u32 v0, s16, v0, -1
	s_delay_alu instid0(VALU_DEP_1) | instskip(SKIP_3) | instid1(VALU_DEP_2)
	v_cndmask_b32_e64 v15, 0, 1, s16
	flat_load_b32 v63, v[224:225]
	v_lshlrev_b32_e32 v16, 30, v17
	; wave barrier
	v_cmp_ne_u32_e64 s16, 0, v15
	v_not_b32_e32 v15, v16
	s_delay_alu instid0(VALU_DEP_2) | instskip(SKIP_1) | instid1(VALU_DEP_3)
	v_xor_b32_e32 v0, s16, v0
	v_cmp_gt_i32_e64 s16, 0, v16
	v_ashrrev_i32_e32 v15, 31, v15
	v_not_b32_e32 v16, v18
	s_delay_alu instid0(VALU_DEP_4) | instskip(NEXT) | instid1(VALU_DEP_3)
	v_and_b32_e32 v0, exec_lo, v0
	v_xor_b32_e32 v15, s16, v15
	v_cmp_gt_i32_e64 s16, 0, v18
	s_delay_alu instid0(VALU_DEP_4) | instskip(SKIP_1) | instid1(VALU_DEP_4)
	v_ashrrev_i32_e32 v16, 31, v16
	v_not_b32_e32 v18, v19
	v_and_b32_e32 v0, v0, v15
	v_lshlrev_b32_e32 v15, 27, v17
	s_delay_alu instid0(VALU_DEP_4) | instskip(SKIP_2) | instid1(VALU_DEP_4)
	v_xor_b32_e32 v16, s16, v16
	v_cmp_gt_i32_e64 s16, 0, v19
	v_ashrrev_i32_e32 v18, 31, v18
	v_not_b32_e32 v19, v15
	s_delay_alu instid0(VALU_DEP_4) | instskip(SKIP_1) | instid1(VALU_DEP_4)
	v_and_b32_e32 v0, v0, v16
	v_lshlrev_b32_e32 v16, 26, v17
	v_xor_b32_e32 v18, s16, v18
	v_cmp_gt_i32_e64 s16, 0, v15
	v_ashrrev_i32_e32 v15, 31, v19
	s_delay_alu instid0(VALU_DEP_4) | instskip(NEXT) | instid1(VALU_DEP_4)
	v_not_b32_e32 v19, v16
	v_and_b32_e32 v0, v0, v18
	v_lshlrev_b32_e32 v18, 25, v17
	s_delay_alu instid0(VALU_DEP_4) | instskip(SKIP_2) | instid1(VALU_DEP_4)
	v_xor_b32_e32 v15, s16, v15
	v_cmp_gt_i32_e64 s16, 0, v16
	v_ashrrev_i32_e32 v16, 31, v19
	v_not_b32_e32 v19, v18
	s_delay_alu instid0(VALU_DEP_4) | instskip(SKIP_1) | instid1(VALU_DEP_4)
	v_and_b32_e32 v0, v0, v15
	v_lshlrev_b32_e32 v15, 24, v17
	v_xor_b32_e32 v16, s16, v16
	v_cmp_gt_i32_e64 s16, 0, v18
	v_ashrrev_i32_e32 v17, 31, v19
	s_delay_alu instid0(VALU_DEP_4) | instskip(NEXT) | instid1(VALU_DEP_4)
	v_not_b32_e32 v18, v15
	v_and_b32_e32 v0, v0, v16
	s_delay_alu instid0(VALU_DEP_3) | instskip(SKIP_1) | instid1(VALU_DEP_4)
	v_xor_b32_e32 v16, s16, v17
	v_cmp_gt_i32_e64 s16, 0, v15
	v_ashrrev_i32_e32 v15, 31, v18
	s_delay_alu instid0(VALU_DEP_3) | instskip(NEXT) | instid1(VALU_DEP_2)
	v_and_b32_e32 v0, v0, v16
	v_xor_b32_e32 v15, s16, v15
	s_delay_alu instid0(VALU_DEP_1) | instskip(NEXT) | instid1(VALU_DEP_1)
	v_and_b32_e32 v0, v0, v15
	v_mbcnt_lo_u32_b32 v72, v0, 0
	v_cmp_ne_u32_e64 s17, 0, v0
	s_delay_alu instid0(VALU_DEP_2) | instskip(NEXT) | instid1(VALU_DEP_1)
	v_cmp_eq_u32_e64 s16, 0, v72
	s_and_b32 s17, s17, s16
	s_delay_alu instid0(SALU_CYCLE_1)
	s_and_saveexec_b32 s16, s17
	s_cbranch_execz .LBB1125_83
; %bb.82:                               ;   in Loop: Header=BB1125_53 Depth=1
	s_waitcnt vmcnt(0) lgkmcnt(0)
	v_bcnt_u32_b32 v0, v0, v63
	flat_store_b32 v[224:225], v0
.LBB1125_83:                            ;   in Loop: Header=BB1125_53 Depth=1
	s_or_b32 exec_lo, exec_lo, s16
	v_cmp_ne_u64_e64 s16, s[24:25], v[162:163]
	; wave barrier
	s_delay_alu instid0(VALU_DEP_1) | instskip(SKIP_1) | instid1(VALU_DEP_1)
	v_cndmask_b32_e64 v16, 0x7fffffff, v163, s16
	v_cndmask_b32_e64 v15, -1, v162, s16
	v_lshrrev_b64 v[15:16], v10, v[15:16]
	s_delay_alu instid0(VALU_DEP_1) | instskip(NEXT) | instid1(VALU_DEP_1)
	v_and_b32_e32 v16, v15, v14
	v_lshl_add_u32 v0, v16, 3, v125
	v_lshlrev_b32_e32 v17, 29, v16
	v_lshlrev_b32_e32 v18, 28, v16
	s_delay_alu instid0(VALU_DEP_3) | instskip(SKIP_1) | instid1(VALU_DEP_2)
	v_lshlrev_b64 v[14:15], 2, v[0:1]
	v_and_b32_e32 v0, 1, v16
	v_add_co_u32 v226, s16, v25, v14
	s_delay_alu instid0(VALU_DEP_1) | instskip(NEXT) | instid1(VALU_DEP_3)
	v_add_co_ci_u32_e64 v227, s16, v124, v15, s16
	v_add_co_u32 v0, s16, v0, -1
	s_delay_alu instid0(VALU_DEP_1) | instskip(SKIP_3) | instid1(VALU_DEP_2)
	v_cndmask_b32_e64 v14, 0, 1, s16
	flat_load_b32 v73, v[226:227]
	v_lshlrev_b32_e32 v15, 30, v16
	; wave barrier
	v_cmp_ne_u32_e64 s16, 0, v14
	v_not_b32_e32 v14, v15
	s_delay_alu instid0(VALU_DEP_2) | instskip(SKIP_1) | instid1(VALU_DEP_3)
	v_xor_b32_e32 v0, s16, v0
	v_cmp_gt_i32_e64 s16, 0, v15
	v_ashrrev_i32_e32 v14, 31, v14
	v_not_b32_e32 v15, v17
	s_delay_alu instid0(VALU_DEP_4) | instskip(NEXT) | instid1(VALU_DEP_3)
	v_and_b32_e32 v0, exec_lo, v0
	v_xor_b32_e32 v14, s16, v14
	v_cmp_gt_i32_e64 s16, 0, v17
	s_delay_alu instid0(VALU_DEP_4) | instskip(SKIP_1) | instid1(VALU_DEP_4)
	v_ashrrev_i32_e32 v15, 31, v15
	v_not_b32_e32 v17, v18
	v_and_b32_e32 v0, v0, v14
	v_lshlrev_b32_e32 v14, 27, v16
	s_delay_alu instid0(VALU_DEP_4) | instskip(SKIP_2) | instid1(VALU_DEP_4)
	v_xor_b32_e32 v15, s16, v15
	v_cmp_gt_i32_e64 s16, 0, v18
	v_ashrrev_i32_e32 v17, 31, v17
	v_not_b32_e32 v18, v14
	s_delay_alu instid0(VALU_DEP_4) | instskip(SKIP_1) | instid1(VALU_DEP_4)
	v_and_b32_e32 v0, v0, v15
	v_lshlrev_b32_e32 v15, 26, v16
	v_xor_b32_e32 v17, s16, v17
	v_cmp_gt_i32_e64 s16, 0, v14
	v_ashrrev_i32_e32 v14, 31, v18
	s_delay_alu instid0(VALU_DEP_4) | instskip(NEXT) | instid1(VALU_DEP_4)
	v_not_b32_e32 v18, v15
	v_and_b32_e32 v0, v0, v17
	v_lshlrev_b32_e32 v17, 25, v16
	s_delay_alu instid0(VALU_DEP_4) | instskip(SKIP_2) | instid1(VALU_DEP_4)
	v_xor_b32_e32 v14, s16, v14
	v_cmp_gt_i32_e64 s16, 0, v15
	v_ashrrev_i32_e32 v15, 31, v18
	v_not_b32_e32 v18, v17
	s_delay_alu instid0(VALU_DEP_4) | instskip(SKIP_1) | instid1(VALU_DEP_4)
	v_and_b32_e32 v0, v0, v14
	v_lshlrev_b32_e32 v14, 24, v16
	v_xor_b32_e32 v15, s16, v15
	v_cmp_gt_i32_e64 s16, 0, v17
	v_ashrrev_i32_e32 v16, 31, v18
	s_delay_alu instid0(VALU_DEP_4) | instskip(NEXT) | instid1(VALU_DEP_4)
	v_not_b32_e32 v17, v14
	v_and_b32_e32 v0, v0, v15
	s_delay_alu instid0(VALU_DEP_3) | instskip(SKIP_1) | instid1(VALU_DEP_4)
	v_xor_b32_e32 v15, s16, v16
	v_cmp_gt_i32_e64 s16, 0, v14
	v_ashrrev_i32_e32 v14, 31, v17
	s_delay_alu instid0(VALU_DEP_3) | instskip(NEXT) | instid1(VALU_DEP_2)
	v_and_b32_e32 v0, v0, v15
	v_xor_b32_e32 v14, s16, v14
	s_delay_alu instid0(VALU_DEP_1) | instskip(NEXT) | instid1(VALU_DEP_1)
	v_and_b32_e32 v0, v0, v14
	v_mbcnt_lo_u32_b32 v74, v0, 0
	v_cmp_ne_u32_e64 s17, 0, v0
	s_delay_alu instid0(VALU_DEP_2) | instskip(NEXT) | instid1(VALU_DEP_1)
	v_cmp_eq_u32_e64 s16, 0, v74
	s_and_b32 s17, s17, s16
	s_delay_alu instid0(SALU_CYCLE_1)
	s_and_saveexec_b32 s16, s17
	s_cbranch_execz .LBB1125_85
; %bb.84:                               ;   in Loop: Header=BB1125_53 Depth=1
	s_waitcnt vmcnt(0) lgkmcnt(0)
	v_bcnt_u32_b32 v0, v0, v73
	flat_store_b32 v[226:227], v0
.LBB1125_85:                            ;   in Loop: Header=BB1125_53 Depth=1
	s_or_b32 exec_lo, exec_lo, s16
	; wave barrier
	s_waitcnt vmcnt(0) lgkmcnt(0)
	s_waitcnt_vscnt null, 0x0
	s_barrier
	buffer_gl0_inv
	s_clause 0x1
	flat_load_b128 v[18:21], v[4:5] offset:32
	flat_load_b128 v[14:17], v[8:9] offset:16
	s_waitcnt vmcnt(1) lgkmcnt(1)
	v_add_nc_u32_e32 v0, v19, v18
	s_delay_alu instid0(VALU_DEP_1) | instskip(SKIP_1) | instid1(VALU_DEP_1)
	v_add3_u32 v0, v0, v20, v21
	s_waitcnt vmcnt(0) lgkmcnt(0)
	v_add3_u32 v0, v0, v14, v15
	s_delay_alu instid0(VALU_DEP_1) | instskip(NEXT) | instid1(VALU_DEP_1)
	v_add3_u32 v0, v0, v16, v17
	v_mov_b32_dpp v17, v0 row_shr:1 row_mask:0xf bank_mask:0xf
	s_delay_alu instid0(VALU_DEP_1) | instskip(NEXT) | instid1(VALU_DEP_1)
	v_cndmask_b32_e64 v17, v17, 0, vcc_lo
	v_add_nc_u32_e32 v0, v17, v0
	s_delay_alu instid0(VALU_DEP_1) | instskip(NEXT) | instid1(VALU_DEP_1)
	v_mov_b32_dpp v17, v0 row_shr:2 row_mask:0xf bank_mask:0xf
	v_cndmask_b32_e64 v17, 0, v17, s0
	s_delay_alu instid0(VALU_DEP_1) | instskip(NEXT) | instid1(VALU_DEP_1)
	v_add_nc_u32_e32 v0, v0, v17
	v_mov_b32_dpp v17, v0 row_shr:4 row_mask:0xf bank_mask:0xf
	s_delay_alu instid0(VALU_DEP_1) | instskip(NEXT) | instid1(VALU_DEP_1)
	v_cndmask_b32_e64 v17, 0, v17, s1
	v_add_nc_u32_e32 v0, v0, v17
	s_delay_alu instid0(VALU_DEP_1) | instskip(NEXT) | instid1(VALU_DEP_1)
	v_mov_b32_dpp v17, v0 row_shr:8 row_mask:0xf bank_mask:0xf
	v_cndmask_b32_e64 v17, 0, v17, s2
	s_delay_alu instid0(VALU_DEP_1) | instskip(SKIP_3) | instid1(VALU_DEP_1)
	v_add_nc_u32_e32 v0, v0, v17
	ds_swizzle_b32 v17, v0 offset:swizzle(BROADCAST,32,15)
	s_waitcnt lgkmcnt(0)
	v_cndmask_b32_e64 v17, v17, 0, s3
	v_add_nc_u32_e32 v0, v0, v17
	s_and_saveexec_b32 s16, s4
	s_cbranch_execz .LBB1125_87
; %bb.86:                               ;   in Loop: Header=BB1125_53 Depth=1
	flat_store_b32 v[33:34], v0
.LBB1125_87:                            ;   in Loop: Header=BB1125_53 Depth=1
	s_or_b32 exec_lo, exec_lo, s16
	s_waitcnt lgkmcnt(0)
	s_waitcnt_vscnt null, 0x0
	s_barrier
	buffer_gl0_inv
	s_and_saveexec_b32 s16, s5
	s_cbranch_execz .LBB1125_89
; %bb.88:                               ;   in Loop: Header=BB1125_53 Depth=1
	flat_load_b32 v17, v[86:87]
	s_waitcnt vmcnt(0) lgkmcnt(0)
	v_mov_b32_dpp v75, v17 row_shr:1 row_mask:0xf bank_mask:0xf
	s_delay_alu instid0(VALU_DEP_1) | instskip(NEXT) | instid1(VALU_DEP_1)
	v_cndmask_b32_e64 v75, v75, 0, s11
	v_add_nc_u32_e32 v17, v75, v17
	s_delay_alu instid0(VALU_DEP_1) | instskip(NEXT) | instid1(VALU_DEP_1)
	v_mov_b32_dpp v75, v17 row_shr:2 row_mask:0xf bank_mask:0xf
	v_cndmask_b32_e64 v75, 0, v75, s14
	s_delay_alu instid0(VALU_DEP_1) | instskip(NEXT) | instid1(VALU_DEP_1)
	v_add_nc_u32_e32 v17, v17, v75
	v_mov_b32_dpp v75, v17 row_shr:4 row_mask:0xf bank_mask:0xf
	s_delay_alu instid0(VALU_DEP_1) | instskip(NEXT) | instid1(VALU_DEP_1)
	v_cndmask_b32_e64 v75, 0, v75, s15
	v_add_nc_u32_e32 v17, v17, v75
	flat_store_b32 v[86:87], v17
.LBB1125_89:                            ;   in Loop: Header=BB1125_53 Depth=1
	s_or_b32 exec_lo, exec_lo, s16
	v_mov_b32_e32 v17, 0
	s_waitcnt lgkmcnt(0)
	s_waitcnt_vscnt null, 0x0
	s_barrier
	buffer_gl0_inv
	s_and_saveexec_b32 s16, s6
	s_cbranch_execz .LBB1125_91
; %bb.90:                               ;   in Loop: Header=BB1125_53 Depth=1
	flat_load_b32 v17, v[96:97]
.LBB1125_91:                            ;   in Loop: Header=BB1125_53 Depth=1
	s_or_b32 exec_lo, exec_lo, s16
	s_waitcnt vmcnt(0) lgkmcnt(0)
	v_add_nc_u32_e32 v0, v17, v0
	v_add_nc_u32_e32 v10, 8, v10
	s_mov_b32 s18, -1
	ds_bpermute_b32 v0, v126, v0
	s_waitcnt lgkmcnt(0)
	v_cndmask_b32_e64 v0, v0, v17, s7
	s_delay_alu instid0(VALU_DEP_1) | instskip(NEXT) | instid1(VALU_DEP_1)
	v_cndmask_b32_e64 v17, v0, 0, s10
	v_add_nc_u32_e32 v18, v17, v18
	s_delay_alu instid0(VALU_DEP_1) | instskip(NEXT) | instid1(VALU_DEP_1)
	v_add_nc_u32_e32 v19, v18, v19
	v_add_nc_u32_e32 v20, v19, v20
	s_delay_alu instid0(VALU_DEP_1) | instskip(NEXT) | instid1(VALU_DEP_1)
	v_add_nc_u32_e32 v75, v20, v21
	v_add_nc_u32_e32 v76, v75, v14
	s_delay_alu instid0(VALU_DEP_1) | instskip(SKIP_1) | instid1(VALU_DEP_2)
	v_add_nc_u32_e32 v77, v76, v15
	v_mov_b32_e32 v15, v1
	v_add_nc_u32_e32 v78, v77, v16
	s_clause 0x1
	flat_store_b128 v[4:5], v[17:20] offset:32
	flat_store_b128 v[8:9], v[75:78] offset:16
	v_mov_b32_e32 v17, v1
	s_waitcnt lgkmcnt(0)
	s_waitcnt_vscnt null, 0x0
	s_barrier
	buffer_gl0_inv
	s_clause 0xf
	flat_load_b32 v0, v[164:165]
	flat_load_b32 v14, v[166:167]
	;; [unrolled: 1-line block ×16, first 2 shown]
	v_mov_b32_e32 v21, v1
	v_mov_b32_e32 v19, v1
	;; [unrolled: 1-line block ×13, first 2 shown]
	v_cmp_lt_u32_e64 s16, v10, v11
	s_waitcnt vmcnt(0) lgkmcnt(0)
	s_waitcnt_vscnt null, 0x0
                                        ; implicit-def: $vgpr226_vgpr227
                                        ; implicit-def: $vgpr224_vgpr225
                                        ; implicit-def: $vgpr214_vgpr215
                                        ; implicit-def: $vgpr212_vgpr213
	s_waitcnt vmcnt(15) lgkmcnt(15)
	v_add_nc_u32_e32 v0, v0, v39
	s_waitcnt vmcnt(14) lgkmcnt(14)
	v_add3_u32 v14, v229, v228, v14
	s_waitcnt vmcnt(13) lgkmcnt(13)
	v_add3_u32 v16, v231, v230, v16
	;; [unrolled: 2-line block ×4, first 2 shown]
	v_lshlrev_b64 v[210:211], 3, v[0:1]
	v_lshlrev_b64 v[14:15], 3, v[14:15]
	;; [unrolled: 1-line block ×4, first 2 shown]
	s_waitcnt vmcnt(10) lgkmcnt(10)
	v_add3_u32 v164, v245, v244, v164
	v_lshlrev_b64 v[20:21], 3, v[20:21]
	s_waitcnt vmcnt(9) lgkmcnt(9)
	v_add3_u32 v166, v247, v246, v166
	s_waitcnt vmcnt(3) lgkmcnt(3)
	v_add3_u32 v194, v60, v59, v194
	v_add_co_u32 v60, s17, v12, v210
	s_waitcnt vmcnt(2) lgkmcnt(2)
	v_add3_u32 v196, v62, v61, v196
	v_add_co_ci_u32_e64 v61, s17, v13, v211, s17
	v_add_co_u32 v62, s17, v12, v14
	s_waitcnt vmcnt(1) lgkmcnt(1)
	v_add3_u32 v198, v72, v63, v198
	v_add_co_ci_u32_e64 v63, s17, v13, v15, s17
	;; [unrolled: 4-line block ×3, first 2 shown]
	v_lshlrev_b64 v[164:165], 3, v[164:165]
	v_add_co_u32 v74, s17, v12, v18
	v_add3_u32 v176, v41, v40, v176
	v_add_co_ci_u32_e64 v75, s17, v13, v19, s17
	v_lshlrev_b64 v[166:167], 3, v[166:167]
	v_add_co_u32 v76, s17, v12, v20
	v_add3_u32 v178, v43, v42, v178
	v_add_co_ci_u32_e64 v77, s17, v13, v21, s17
	;; [unrolled: 4-line block ×5, first 2 shown]
	v_lshlrev_b64 v[182:183], 3, v[182:183]
	v_add_co_u32 v92, s17, v12, v178
	s_delay_alu instid0(VALU_DEP_1) | instskip(SKIP_2) | instid1(VALU_DEP_1)
	v_add_co_ci_u32_e64 v93, s17, v13, v179, s17
	v_lshlrev_b64 v[192:193], 3, v[192:193]
	v_add_co_u32 v94, s17, v12, v180
	v_add_co_ci_u32_e64 v95, s17, v13, v181, s17
	v_lshlrev_b64 v[194:195], 3, v[194:195]
	v_add_co_u32 v104, s17, v12, v182
	s_delay_alu instid0(VALU_DEP_1) | instskip(SKIP_2) | instid1(VALU_DEP_1)
	v_add_co_ci_u32_e64 v105, s17, v13, v183, s17
	v_lshlrev_b64 v[196:197], 3, v[196:197]
	v_add_co_u32 v106, s17, v12, v192
	v_add_co_ci_u32_e64 v107, s17, v13, v193, s17
	;; [unrolled: 7-line block ×3, first 2 shown]
	v_add_co_u32 v120, s17, v12, v198
	s_delay_alu instid0(VALU_DEP_1) | instskip(SKIP_1) | instid1(VALU_DEP_1)
	v_add_co_ci_u32_e64 v121, s17, v13, v199, s17
	v_add_co_u32 v122, s17, v12, v208
	v_add_co_ci_u32_e64 v123, s17, v13, v209, s17
                                        ; implicit-def: $vgpr14_vgpr15
                                        ; implicit-def: $vgpr18_vgpr19
                                        ; implicit-def: $vgpr164_vgpr165
                                        ; implicit-def: $vgpr16_vgpr17
                                        ; implicit-def: $vgpr20_vgpr21
                                        ; implicit-def: $vgpr166_vgpr167
                                        ; implicit-def: $vgpr176_vgpr177
                                        ; implicit-def: $vgpr178_vgpr179
                                        ; implicit-def: $vgpr180_vgpr181
                                        ; implicit-def: $vgpr182_vgpr183
                                        ; implicit-def: $vgpr192_vgpr193
                                        ; implicit-def: $vgpr194_vgpr195
                                        ; implicit-def: $vgpr196_vgpr197
                                        ; implicit-def: $vgpr210_vgpr211
                                        ; implicit-def: $vgpr228_vgpr229
                                        ; implicit-def: $vgpr39_vgpr40
                                        ; implicit-def: $vgpr230_vgpr231
                                        ; implicit-def: $vgpr242_vgpr243
                                        ; implicit-def: $vgpr198_vgpr199
                                        ; implicit-def: $vgpr208_vgpr209
                                        ; implicit-def: $vgpr240_vgpr241
                                        ; implicit-def: $vgpr244_vgpr245
                                        ; implicit-def: $vgpr246_vgpr247
                                        ; implicit-def: $vgpr41_vgpr42
                                        ; implicit-def: $vgpr43_vgpr44
                                        ; implicit-def: $vgpr45_vgpr46
                                        ; implicit-def: $vgpr56_vgpr57
                                        ; implicit-def: $vgpr58_vgpr59
	s_and_saveexec_b32 s17, s16
	s_cbranch_execz .LBB1125_52
; %bb.92:                               ;   in Loop: Header=BB1125_53 Depth=1
	s_barrier
	buffer_gl0_inv
	s_clause 0xf
	flat_store_b64 v[60:61], v[100:101]
	flat_store_b64 v[62:63], v[102:103]
	flat_store_b64 v[72:73], v[114:115]
	flat_store_b64 v[74:75], v[112:113]
	flat_store_b64 v[76:77], v[116:117]
	flat_store_b64 v[78:79], v[118:119]
	flat_store_b64 v[88:89], v[128:129]
	flat_store_b64 v[90:91], v[134:135]
	flat_store_b64 v[92:93], v[132:133]
	flat_store_b64 v[94:95], v[130:131]
	flat_store_b64 v[104:105], v[150:151]
	flat_store_b64 v[106:107], v[148:149]
	flat_store_b64 v[108:109], v[146:147]
	flat_store_b64 v[110:111], v[144:145]
	flat_store_b64 v[120:121], v[160:161]
	flat_store_b64 v[122:123], v[162:163]
	s_waitcnt lgkmcnt(0)
	s_waitcnt_vscnt null, 0x0
	s_barrier
	buffer_gl0_inv
	s_clause 0xf
	flat_load_b64 v[39:40], v[98:99]
	flat_load_b64 v[224:225], v[98:99] offset:256
	flat_load_b64 v[230:231], v[98:99] offset:512
	flat_load_b64 v[242:243], v[98:99] offset:768
	flat_load_b64 v[198:199], v[98:99] offset:1024
	flat_load_b64 v[208:209], v[98:99] offset:1280
	flat_load_b64 v[214:215], v[98:99] offset:1536
	flat_load_b64 v[212:213], v[98:99] offset:1792
	flat_load_b64 v[240:241], v[98:99] offset:2048
	flat_load_b64 v[244:245], v[98:99] offset:2304
	flat_load_b64 v[246:247], v[98:99] offset:2560
	flat_load_b64 v[41:42], v[98:99] offset:2816
	flat_load_b64 v[43:44], v[98:99] offset:3072
	flat_load_b64 v[45:46], v[98:99] offset:3328
	flat_load_b64 v[56:57], v[98:99] offset:3584
	flat_load_b64 v[58:59], v[98:99] offset:3840
	s_waitcnt vmcnt(0) lgkmcnt(0)
	s_barrier
	buffer_gl0_inv
	s_clause 0xf
	flat_store_b64 v[60:61], v[31:32]
	flat_store_b64 v[62:63], v[29:30]
	;; [unrolled: 1-line block ×16, first 2 shown]
	s_waitcnt lgkmcnt(0)
	s_waitcnt_vscnt null, 0x0
	s_barrier
	buffer_gl0_inv
	s_clause 0xf
	flat_load_b64 v[14:15], v[98:99]
	flat_load_b64 v[18:19], v[98:99] offset:256
	flat_load_b64 v[164:165], v[98:99] offset:512
	flat_load_b64 v[16:17], v[98:99] offset:768
	flat_load_b64 v[20:21], v[98:99] offset:1024
	flat_load_b64 v[166:167], v[98:99] offset:1280
	flat_load_b64 v[176:177], v[98:99] offset:1536
	flat_load_b64 v[178:179], v[98:99] offset:1792
	flat_load_b64 v[180:181], v[98:99] offset:2048
	flat_load_b64 v[182:183], v[98:99] offset:2304
	flat_load_b64 v[192:193], v[98:99] offset:2560
	flat_load_b64 v[194:195], v[98:99] offset:2816
	flat_load_b64 v[196:197], v[98:99] offset:3072
	flat_load_b64 v[210:211], v[98:99] offset:3328
	flat_load_b64 v[226:227], v[98:99] offset:3584
	flat_load_b64 v[228:229], v[98:99] offset:3840
	v_add_nc_u32_e32 v127, -8, v127
	s_xor_b32 s18, exec_lo, -1
	s_waitcnt vmcnt(0) lgkmcnt(0)
	s_barrier
	buffer_gl0_inv
	s_branch .LBB1125_52
.LBB1125_93:
	s_or_b32 exec_lo, exec_lo, s28
	v_dual_mov_b32 v25, 0 :: v_dual_lshlrev_b32 v0, 3, v26
	v_lshlrev_b32_e32 v18, 3, v26
	s_barrier
	buffer_gl0_inv
	v_add_co_u32 v0, vcc_lo, v12, v0
	v_add_co_ci_u32_e32 v1, vcc_lo, 0, v13, vcc_lo
	v_or_b32_e32 v8, 0x2000, v18
	s_delay_alu instid0(VALU_DEP_3) | instskip(NEXT) | instid1(VALU_DEP_3)
	v_add_co_u32 v4, vcc_lo, 0x1000, v0
	v_add_co_ci_u32_e32 v5, vcc_lo, 0, v1, vcc_lo
	s_delay_alu instid0(VALU_DEP_3)
	v_add_co_u32 v8, vcc_lo, v12, v8
	v_add_co_ci_u32_e32 v9, vcc_lo, 0, v13, vcc_lo
	v_add_co_u32 v10, vcc_lo, 0x2000, v0
	v_or_b32_e32 v16, 0x4000, v18
	v_add_co_ci_u32_e32 v11, vcc_lo, 0, v1, vcc_lo
	v_add_co_u32 v14, vcc_lo, 0x3000, v0
	v_add_co_ci_u32_e32 v15, vcc_lo, 0, v1, vcc_lo
	s_delay_alu instid0(VALU_DEP_4)
	v_add_co_u32 v16, vcc_lo, v12, v16
	v_add_co_ci_u32_e32 v17, vcc_lo, 0, v13, vcc_lo
	s_clause 0xf
	flat_store_b64 v[60:61], v[100:101]
	flat_store_b64 v[62:63], v[102:103]
	;; [unrolled: 1-line block ×16, first 2 shown]
	v_add_co_u32 v150, vcc_lo, 0x4000, v0
	v_or_b32_e32 v18, 0x6000, v18
	v_add_co_ci_u32_e32 v151, vcc_lo, 0, v1, vcc_lo
	v_add_co_u32 v160, vcc_lo, 0x5000, v0
	v_add_co_ci_u32_e32 v161, vcc_lo, 0, v1, vcc_lo
	s_delay_alu instid0(VALU_DEP_4)
	v_add_co_u32 v162, vcc_lo, v12, v18
	v_add_co_ci_u32_e32 v163, vcc_lo, 0, v13, vcc_lo
	v_add_co_u32 v164, vcc_lo, 0x6000, v0
	v_add_co_ci_u32_e32 v165, vcc_lo, 0, v1, vcc_lo
	v_add_co_u32 v166, vcc_lo, 0x7000, v0
	s_waitcnt lgkmcnt(0)
	s_waitcnt_vscnt null, 0x0
	s_barrier
	buffer_gl0_inv
	s_clause 0x7
	flat_load_b64 v[148:149], v[0:1]
	flat_load_b64 v[146:147], v[0:1] offset:2048
	flat_load_b64 v[144:145], v[4:5]
	flat_load_b64 v[134:135], v[4:5] offset:2048
	;; [unrolled: 2-line block ×4, first 2 shown]
	v_add_co_ci_u32_e32 v167, vcc_lo, 0, v1, vcc_lo
	s_clause 0x7
	flat_load_b64 v[118:119], v[16:17]
	flat_load_b64 v[114:115], v[150:151] offset:2048
	flat_load_b64 v[112:113], v[160:161]
	flat_load_b64 v[102:103], v[160:161] offset:2048
	;; [unrolled: 2-line block ×4, first 2 shown]
	s_waitcnt vmcnt(0) lgkmcnt(0)
	s_barrier
	buffer_gl0_inv
	s_clause 0xf
	flat_store_b64 v[60:61], v[31:32]
	flat_store_b64 v[62:63], v[29:30]
	;; [unrolled: 1-line block ×16, first 2 shown]
	s_waitcnt lgkmcnt(0)
	s_waitcnt_vscnt null, 0x0
	s_barrier
	buffer_gl0_inv
	s_clause 0xf
	flat_load_b64 v[38:39], v[0:1]
	flat_load_b64 v[36:37], v[0:1] offset:2048
	flat_load_b64 v[34:35], v[4:5]
	flat_load_b64 v[32:33], v[4:5] offset:2048
	;; [unrolled: 2-line block ×8, first 2 shown]
	v_lshlrev_b64 v[48:49], 3, v[24:25]
	v_add_co_u32 v2, vcc_lo, v2, v22
	v_add_co_ci_u32_e32 v3, vcc_lo, v3, v23, vcc_lo
	s_waitcnt vmcnt(0) lgkmcnt(0)
	s_delay_alu instid0(VALU_DEP_2) | instskip(NEXT) | instid1(VALU_DEP_2)
	v_add_co_u32 v2, vcc_lo, v2, v48
	v_add_co_ci_u32_e32 v3, vcc_lo, v3, v49, vcc_lo
	v_cmp_lt_u32_e32 vcc_lo, v24, v47
	s_barrier
	buffer_gl0_inv
	s_and_saveexec_b32 s1, vcc_lo
	s_cbranch_execz .LBB1125_95
; %bb.94:
	v_cmp_gt_i64_e64 s0, 0, v[148:149]
	v_ashrrev_i32_e32 v25, 31, v149
	s_delay_alu instid0(VALU_DEP_1) | instskip(NEXT) | instid1(VALU_DEP_3)
	v_not_b32_e32 v25, v25
	v_cndmask_b32_e64 v50, 0x7fffffff, 0, s0
	s_delay_alu instid0(VALU_DEP_1) | instskip(NEXT) | instid1(VALU_DEP_3)
	v_xor_b32_e32 v51, v50, v149
	v_xor_b32_e32 v50, v25, v148
	flat_store_b64 v[2:3], v[50:51]
.LBB1125_95:
	s_or_b32 exec_lo, exec_lo, s1
	v_add_nc_u32_e32 v25, 0x100, v24
	s_delay_alu instid0(VALU_DEP_1) | instskip(NEXT) | instid1(VALU_DEP_1)
	v_cmp_lt_u32_e64 s0, v25, v47
	s_and_saveexec_b32 s2, s0
	s_cbranch_execz .LBB1125_97
; %bb.96:
	v_cmp_gt_i64_e64 s1, 0, v[146:147]
	v_ashrrev_i32_e32 v25, 31, v147
	s_delay_alu instid0(VALU_DEP_1) | instskip(NEXT) | instid1(VALU_DEP_3)
	v_not_b32_e32 v25, v25
	v_cndmask_b32_e64 v50, 0x7fffffff, 0, s1
	s_delay_alu instid0(VALU_DEP_1) | instskip(NEXT) | instid1(VALU_DEP_3)
	v_xor_b32_e32 v51, v50, v147
	v_xor_b32_e32 v50, v25, v146
	flat_store_b64 v[2:3], v[50:51] offset:2048
.LBB1125_97:
	s_or_b32 exec_lo, exec_lo, s2
	v_add_nc_u32_e32 v25, 0x200, v24
	s_delay_alu instid0(VALU_DEP_1) | instskip(NEXT) | instid1(VALU_DEP_1)
	v_cmp_lt_u32_e64 s1, v25, v47
	s_and_saveexec_b32 s3, s1
	s_cbranch_execz .LBB1125_99
; %bb.98:
	v_cmp_gt_i64_e64 s2, 0, v[144:145]
	v_ashrrev_i32_e32 v25, 31, v145
	s_delay_alu instid0(VALU_DEP_1) | instskip(NEXT) | instid1(VALU_DEP_3)
	v_not_b32_e32 v25, v25
	v_cndmask_b32_e64 v50, 0x7fffffff, 0, s2
	v_add_co_u32 v52, s2, 0x1000, v2
	s_delay_alu instid0(VALU_DEP_1) | instskip(NEXT) | instid1(VALU_DEP_3)
	v_add_co_ci_u32_e64 v53, s2, 0, v3, s2
	v_xor_b32_e32 v51, v50, v145
	v_xor_b32_e32 v50, v25, v144
	flat_store_b64 v[52:53], v[50:51]
.LBB1125_99:
	s_or_b32 exec_lo, exec_lo, s3
	v_add_nc_u32_e32 v25, 0x300, v24
	s_delay_alu instid0(VALU_DEP_1) | instskip(NEXT) | instid1(VALU_DEP_1)
	v_cmp_lt_u32_e64 s2, v25, v47
	s_and_saveexec_b32 s4, s2
	s_cbranch_execz .LBB1125_101
; %bb.100:
	v_cmp_gt_i64_e64 s3, 0, v[134:135]
	v_ashrrev_i32_e32 v25, 31, v135
	s_delay_alu instid0(VALU_DEP_1) | instskip(NEXT) | instid1(VALU_DEP_3)
	v_not_b32_e32 v25, v25
	v_cndmask_b32_e64 v50, 0x7fffffff, 0, s3
	v_add_co_u32 v52, s3, 0x1000, v2
	s_delay_alu instid0(VALU_DEP_1) | instskip(NEXT) | instid1(VALU_DEP_3)
	v_add_co_ci_u32_e64 v53, s3, 0, v3, s3
	v_xor_b32_e32 v51, v50, v135
	v_xor_b32_e32 v50, v25, v134
	flat_store_b64 v[52:53], v[50:51] offset:2048
.LBB1125_101:
	s_or_b32 exec_lo, exec_lo, s4
	v_add_nc_u32_e32 v25, 0x400, v24
	s_delay_alu instid0(VALU_DEP_1) | instskip(NEXT) | instid1(VALU_DEP_1)
	v_cmp_lt_u32_e64 s3, v25, v47
	s_and_saveexec_b32 s5, s3
	s_cbranch_execz .LBB1125_103
; %bb.102:
	v_cmp_gt_i64_e64 s4, 0, v[132:133]
	v_ashrrev_i32_e32 v25, 31, v133
	s_delay_alu instid0(VALU_DEP_1) | instskip(NEXT) | instid1(VALU_DEP_3)
	v_not_b32_e32 v25, v25
	v_cndmask_b32_e64 v50, 0x7fffffff, 0, s4
	v_add_co_u32 v52, s4, 0x2000, v2
	s_delay_alu instid0(VALU_DEP_1) | instskip(NEXT) | instid1(VALU_DEP_3)
	v_add_co_ci_u32_e64 v53, s4, 0, v3, s4
	v_xor_b32_e32 v51, v50, v133
	v_xor_b32_e32 v50, v25, v132
	flat_store_b64 v[52:53], v[50:51]
.LBB1125_103:
	s_or_b32 exec_lo, exec_lo, s5
	v_add_nc_u32_e32 v25, 0x500, v24
	s_delay_alu instid0(VALU_DEP_1) | instskip(NEXT) | instid1(VALU_DEP_1)
	v_cmp_lt_u32_e64 s4, v25, v47
	s_and_saveexec_b32 s6, s4
	s_cbranch_execz .LBB1125_105
; %bb.104:
	v_cmp_gt_i64_e64 s5, 0, v[130:131]
	v_ashrrev_i32_e32 v25, 31, v131
	s_delay_alu instid0(VALU_DEP_1) | instskip(NEXT) | instid1(VALU_DEP_3)
	v_not_b32_e32 v25, v25
	v_cndmask_b32_e64 v50, 0x7fffffff, 0, s5
	v_add_co_u32 v52, s5, 0x2000, v2
	s_delay_alu instid0(VALU_DEP_1) | instskip(NEXT) | instid1(VALU_DEP_3)
	v_add_co_ci_u32_e64 v53, s5, 0, v3, s5
	v_xor_b32_e32 v51, v50, v131
	v_xor_b32_e32 v50, v25, v130
	flat_store_b64 v[52:53], v[50:51] offset:2048
.LBB1125_105:
	;; [unrolled: 38-line block ×7, first 2 shown]
	s_or_b32 exec_lo, exec_lo, s20
	v_add_co_u32 v2, s19, v6, v22
	s_delay_alu instid0(VALU_DEP_1) | instskip(NEXT) | instid1(VALU_DEP_2)
	v_add_co_ci_u32_e64 v3, s19, v7, v23, s19
	v_add_co_u32 v2, s19, v2, v48
	s_delay_alu instid0(VALU_DEP_1)
	v_add_co_ci_u32_e64 v3, s19, v3, v49, s19
	s_and_saveexec_b32 s19, vcc_lo
	s_cbranch_execnz .LBB1125_211
; %bb.126:
	s_or_b32 exec_lo, exec_lo, s19
	s_and_saveexec_b32 s19, s0
	s_cbranch_execnz .LBB1125_212
.LBB1125_127:
	s_or_b32 exec_lo, exec_lo, s19
	s_and_saveexec_b32 s0, s1
	s_cbranch_execnz .LBB1125_213
.LBB1125_128:
	s_or_b32 exec_lo, exec_lo, s0
	s_and_saveexec_b32 s0, s2
	s_cbranch_execnz .LBB1125_214
.LBB1125_129:
	s_or_b32 exec_lo, exec_lo, s0
	s_and_saveexec_b32 s0, s3
	s_cbranch_execnz .LBB1125_215
.LBB1125_130:
	s_or_b32 exec_lo, exec_lo, s0
	s_and_saveexec_b32 s0, s4
	s_cbranch_execnz .LBB1125_216
.LBB1125_131:
	s_or_b32 exec_lo, exec_lo, s0
	s_and_saveexec_b32 s0, s5
	s_cbranch_execnz .LBB1125_217
.LBB1125_132:
	s_or_b32 exec_lo, exec_lo, s0
	s_and_saveexec_b32 s0, s6
	s_cbranch_execnz .LBB1125_218
.LBB1125_133:
	s_or_b32 exec_lo, exec_lo, s0
	s_and_saveexec_b32 s0, s7
	s_cbranch_execnz .LBB1125_219
.LBB1125_134:
	s_or_b32 exec_lo, exec_lo, s0
	s_and_saveexec_b32 s0, s10
	s_cbranch_execnz .LBB1125_220
.LBB1125_135:
	s_or_b32 exec_lo, exec_lo, s0
	s_and_saveexec_b32 s0, s11
	s_cbranch_execnz .LBB1125_221
.LBB1125_136:
	s_or_b32 exec_lo, exec_lo, s0
	s_and_saveexec_b32 s0, s14
	s_cbranch_execnz .LBB1125_222
.LBB1125_137:
	s_or_b32 exec_lo, exec_lo, s0
	s_and_saveexec_b32 s0, s15
	s_cbranch_execnz .LBB1125_223
.LBB1125_138:
	s_or_b32 exec_lo, exec_lo, s0
	s_and_saveexec_b32 s0, s16
	s_cbranch_execnz .LBB1125_224
.LBB1125_139:
	s_or_b32 exec_lo, exec_lo, s0
	s_and_saveexec_b32 s0, s17
	s_cbranch_execnz .LBB1125_225
.LBB1125_140:
	s_or_b32 exec_lo, exec_lo, s0
	s_and_saveexec_b32 s0, s18
	s_cbranch_execz .LBB1125_142
.LBB1125_141:
	v_add_co_u32 v2, vcc_lo, 0x7000, v2
	v_add_co_ci_u32_e32 v3, vcc_lo, 0, v3, vcc_lo
	flat_store_b64 v[2:3], v[0:1] offset:2048
.LBB1125_142:
	s_or_b32 exec_lo, exec_lo, s0
                                        ; implicit-def: $vgpr47
                                        ; implicit-def: $vgpr0
                                        ; implicit-def: $vgpr1
                                        ; implicit-def: $vgpr2
                                        ; implicit-def: $vgpr3
                                        ; implicit-def: $vgpr4
                                        ; implicit-def: $vgpr5
                                        ; implicit-def: $vgpr6
                                        ; implicit-def: $vgpr7
                                        ; implicit-def: $vgpr8
                                        ; implicit-def: $vgpr10
                                        ; implicit-def: $vgpr11
                                        ; implicit-def: $vgpr12
                                        ; implicit-def: $vgpr13
                                        ; implicit-def: $vgpr14
                                        ; implicit-def: $vgpr15
                                        ; implicit-def: $vgpr26
                                        ; implicit-def: $vgpr96
.LBB1125_143:
	s_and_not1_saveexec_b32 s0, s27
	s_cbranch_execz .LBB1125_372
; %bb.144:
	s_mov_b32 s0, exec_lo
	v_cmpx_lt_u32_e32 0x400, v47
	s_xor_b32 s19, exec_lo, s0
	s_cbranch_execz .LBB1125_252
; %bb.145:
	s_load_b64 s[0:1], s[8:9], 0x0
	v_dual_mov_b32 v9, 0 :: v_dual_lshlrev_b32 v22, 3, v96
	s_waitcnt lgkmcnt(0)
	s_cmp_lt_u32 s13, s1
	s_cselect_b32 s1, 14, 20
	s_delay_alu instid0(SALU_CYCLE_1) | instskip(SKIP_4) | instid1(SALU_CYCLE_1)
	s_add_u32 s2, s8, s1
	s_addc_u32 s3, s9, 0
	s_cmp_lt_u32 s12, s0
	global_load_u16 v16, v9, s[2:3]
	s_cselect_b32 s0, 12, 18
	s_add_u32 s0, s8, s0
	s_addc_u32 s1, s9, 0
	global_load_u16 v17, v9, s[0:1]
	s_waitcnt vmcnt(1)
	v_mad_u32_u24 v14, v15, v16, v14
	s_waitcnt vmcnt(0)
	s_delay_alu instid0(VALU_DEP_1) | instskip(SKIP_1) | instid1(VALU_DEP_2)
	v_mad_u64_u32 v[29:30], null, v14, v17, v[26:27]
	v_mov_b32_e32 v14, -1
	v_dual_mov_b32 v15, -1 :: v_dual_lshlrev_b32 v16, 3, v29
	v_lshlrev_b64 v[27:28], 3, v[8:9]
	s_delay_alu instid0(VALU_DEP_2) | instskip(NEXT) | instid1(VALU_DEP_2)
	v_dual_mov_b32 v17, v15 :: v_dual_and_b32 v8, 0xffffff00, v16
	v_add_co_u32 v0, vcc_lo, v0, v27
	s_delay_alu instid0(VALU_DEP_3) | instskip(NEXT) | instid1(VALU_DEP_3)
	v_add_co_ci_u32_e32 v1, vcc_lo, v1, v28, vcc_lo
	v_lshlrev_b64 v[18:19], 3, v[8:9]
	s_delay_alu instid0(VALU_DEP_3) | instskip(SKIP_1) | instid1(VALU_DEP_4)
	v_add_co_u32 v0, vcc_lo, v0, v22
	v_or_b32_e32 v23, v8, v96
	v_add_co_ci_u32_e32 v1, vcc_lo, 0, v1, vcc_lo
	s_delay_alu instid0(VALU_DEP_3) | instskip(NEXT) | instid1(VALU_DEP_3)
	v_add_co_u32 v20, s0, v0, v18
	v_cmp_lt_u32_e32 vcc_lo, v23, v47
	s_delay_alu instid0(VALU_DEP_3)
	v_add_co_ci_u32_e64 v21, s0, v1, v19, s0
	v_mov_b32_e32 v16, v14
	s_and_saveexec_b32 s0, vcc_lo
	s_cbranch_execz .LBB1125_147
; %bb.146:
	flat_load_b64 v[16:17], v[20:21]
.LBB1125_147:
	s_or_b32 exec_lo, exec_lo, s0
	v_or_b32_e32 v0, 32, v23
	s_delay_alu instid0(VALU_DEP_1) | instskip(NEXT) | instid1(VALU_DEP_1)
	v_cmp_lt_u32_e64 s0, v0, v47
	s_and_saveexec_b32 s1, s0
	s_cbranch_execz .LBB1125_149
; %bb.148:
	flat_load_b64 v[14:15], v[20:21] offset:256
.LBB1125_149:
	s_or_b32 exec_lo, exec_lo, s1
	v_mov_b32_e32 v0, -1
	v_or_b32_e32 v8, 64, v23
	v_mov_b32_e32 v1, -1
	s_delay_alu instid0(VALU_DEP_2) | instskip(NEXT) | instid1(VALU_DEP_2)
	v_cmp_lt_u32_e64 s1, v8, v47
	v_dual_mov_b32 v33, v1 :: v_dual_mov_b32 v32, v0
	s_delay_alu instid0(VALU_DEP_2)
	s_and_saveexec_b32 s2, s1
	s_cbranch_execz .LBB1125_151
; %bb.150:
	flat_load_b64 v[32:33], v[20:21] offset:512
.LBB1125_151:
	s_or_b32 exec_lo, exec_lo, s2
	v_or_b32_e32 v8, 0x60, v23
	s_delay_alu instid0(VALU_DEP_1) | instskip(NEXT) | instid1(VALU_DEP_1)
	v_cmp_lt_u32_e64 s2, v8, v47
	s_and_saveexec_b32 s3, s2
	s_cbranch_execz .LBB1125_153
; %bb.152:
	flat_load_b64 v[0:1], v[20:21] offset:768
.LBB1125_153:
	s_or_b32 exec_lo, exec_lo, s3
	v_mov_b32_e32 v8, -1
	v_or_b32_e32 v24, 0x80, v23
	v_mov_b32_e32 v9, -1
	s_delay_alu instid0(VALU_DEP_2) | instskip(NEXT) | instid1(VALU_DEP_2)
	v_cmp_lt_u32_e64 s3, v24, v47
	v_dual_mov_b32 v37, v9 :: v_dual_mov_b32 v36, v8
	s_delay_alu instid0(VALU_DEP_2)
	s_and_saveexec_b32 s4, s3
	s_cbranch_execz .LBB1125_155
; %bb.154:
	flat_load_b64 v[36:37], v[20:21] offset:1024
.LBB1125_155:
	;; [unrolled: 22-line block ×3, first 2 shown]
	s_or_b32 exec_lo, exec_lo, s6
	v_or_b32_e32 v23, 0xe0, v23
	s_delay_alu instid0(VALU_DEP_1) | instskip(NEXT) | instid1(VALU_DEP_1)
	v_cmp_lt_u32_e64 s6, v23, v47
	s_and_saveexec_b32 s7, s6
	s_cbranch_execz .LBB1125_161
; %bb.160:
	flat_load_b64 v[30:31], v[20:21] offset:1792
.LBB1125_161:
	s_or_b32 exec_lo, exec_lo, s7
	v_add_co_u32 v4, s7, v4, v27
	s_delay_alu instid0(VALU_DEP_1) | instskip(NEXT) | instid1(VALU_DEP_2)
	v_add_co_ci_u32_e64 v5, s7, v5, v28, s7
	v_add_co_u32 v4, s7, v4, v22
	s_delay_alu instid0(VALU_DEP_1) | instskip(NEXT) | instid1(VALU_DEP_2)
	v_add_co_ci_u32_e64 v5, s7, 0, v5, s7
                                        ; implicit-def: $vgpr22_vgpr23
	v_add_co_u32 v4, s7, v4, v18
	s_delay_alu instid0(VALU_DEP_1)
	v_add_co_ci_u32_e64 v5, s7, v5, v19, s7
	s_and_saveexec_b32 s7, vcc_lo
	s_cbranch_execnz .LBB1125_285
; %bb.162:
	s_or_b32 exec_lo, exec_lo, s7
                                        ; implicit-def: $vgpr24_vgpr25
	s_and_saveexec_b32 s7, s0
	s_cbranch_execnz .LBB1125_286
.LBB1125_163:
	s_or_b32 exec_lo, exec_lo, s7
                                        ; implicit-def: $vgpr112_vgpr113
	s_and_saveexec_b32 s0, s1
	s_cbranch_execnz .LBB1125_287
.LBB1125_164:
	s_or_b32 exec_lo, exec_lo, s0
                                        ; implicit-def: $vgpr116_vgpr117
	s_and_saveexec_b32 s0, s2
	s_cbranch_execnz .LBB1125_288
.LBB1125_165:
	s_or_b32 exec_lo, exec_lo, s0
                                        ; implicit-def: $vgpr128_vgpr129
	s_and_saveexec_b32 s0, s3
	s_cbranch_execnz .LBB1125_289
.LBB1125_166:
	s_or_b32 exec_lo, exec_lo, s0
                                        ; implicit-def: $vgpr134_vgpr135
	s_and_saveexec_b32 s0, s4
	s_cbranch_execnz .LBB1125_290
.LBB1125_167:
	s_or_b32 exec_lo, exec_lo, s0
                                        ; implicit-def: $vgpr18_vgpr19
	s_and_saveexec_b32 s0, s5
	s_cbranch_execnz .LBB1125_291
.LBB1125_168:
	s_or_b32 exec_lo, exec_lo, s0
                                        ; implicit-def: $vgpr20_vgpr21
	s_and_saveexec_b32 s0, s6
	s_cbranch_execz .LBB1125_170
.LBB1125_169:
	flat_load_b64 v[20:21], v[4:5] offset:1792
.LBB1125_170:
	s_or_b32 exec_lo, exec_lo, s0
	s_waitcnt vmcnt(0) lgkmcnt(0)
	v_cmp_gt_i64_e32 vcc_lo, 0, v[16:17]
	v_ashrrev_i32_e32 v4, 31, v17
	v_ashrrev_i32_e32 v5, 31, v15
	s_mov_b32 s20, 0
	s_getpc_b64 s[0:1]
	s_add_u32 s0, s0, _ZN7rocprim17ROCPRIM_400000_NS16block_radix_sortIdLj256ELj8ElLj1ELj1ELj8ELNS0_26block_radix_rank_algorithmE2ELNS0_18block_padding_hintE2ELNS0_4arch9wavefront6targetE0EE19radix_bits_per_passE@rel32@lo+4
	s_addc_u32 s1, s1, _ZN7rocprim17ROCPRIM_400000_NS16block_radix_sortIdLj256ELj8ElLj1ELj1ELj8ELNS0_26block_radix_rank_algorithmE2ELNS0_18block_padding_hintE2ELNS0_4arch9wavefront6targetE0EE19radix_bits_per_passE@rel32@hi+12
	s_mov_b32 s21, s20
	v_cndmask_b32_e64 v38, 0x7fffffff, 0, vcc_lo
	v_cmp_gt_i64_e32 vcc_lo, 0, v[14:15]
	v_not_b32_e32 v4, v4
	v_not_b32_e32 v5, v5
	s_mov_b32 s22, s20
	s_mov_b32 s23, s20
	v_xor_b32_e32 v149, v38, v17
	v_cndmask_b32_e64 v39, 0x7fffffff, 0, vcc_lo
	v_cmp_gt_i64_e32 vcc_lo, 0, v[32:33]
	v_xor_b32_e32 v148, v4, v16
	v_ashrrev_i32_e32 v4, 31, v33
	v_xor_b32_e32 v102, v5, v14
	v_ashrrev_i32_e32 v14, 31, v1
	v_xor_b32_e32 v103, v39, v15
	v_cndmask_b32_e64 v5, 0x7fffffff, 0, vcc_lo
	v_cmp_gt_i64_e32 vcc_lo, 0, v[0:1]
	v_not_b32_e32 v4, v4
	v_and_b32_e32 v16, 0x3e0, v26
	v_add_nc_u32_e32 v17, -1, v96
	v_xor_b32_e32 v115, v5, v33
	v_ashrrev_i32_e32 v5, 31, v37
	v_cndmask_b32_e64 v15, 0x7fffffff, 0, vcc_lo
	v_cmp_gt_i64_e32 vcc_lo, 0, v[36:37]
	v_xor_b32_e32 v114, v4, v32
	v_not_b32_e32 v4, v14
	v_ashrrev_i32_e32 v14, 31, v9
	v_xor_b32_e32 v119, v15, v1
	v_not_b32_e32 v5, v5
	v_cndmask_b32_e64 v1, 0x7fffffff, 0, vcc_lo
	v_cmp_gt_i64_e32 vcc_lo, 0, v[8:9]
	v_xor_b32_e32 v118, v4, v0
	v_not_b32_e32 v0, v14
	v_xor_b32_e32 v130, v5, v36
	v_xor_b32_e32 v131, v1, v37
	v_ashrrev_i32_e32 v1, 31, v35
	v_cndmask_b32_e64 v15, 0x7fffffff, 0, vcc_lo
	v_xor_b32_e32 v132, v0, v8
	v_ashrrev_i32_e32 v0, 31, v31
	v_cmp_gt_i64_e32 vcc_lo, 0, v[34:35]
	v_not_b32_e32 v1, v1
	v_xor_b32_e32 v133, v15, v9
	v_and_b32_e32 v15, 15, v96
	v_not_b32_e32 v0, v0
	v_cmp_gt_i32_e64 s4, 0, v17
	v_cndmask_b32_e64 v4, 0x7fffffff, 0, vcc_lo
	v_cmp_gt_i64_e32 vcc_lo, 0, v[30:31]
	v_xor_b32_e32 v144, v1, v34
	v_xor_b32_e32 v146, v0, v30
	v_dual_mov_b32 v1, 0 :: v_dual_lshlrev_b32 v0, 5, v26
	v_xor_b32_e32 v145, v4, v35
	v_cndmask_b32_e64 v5, 0x7fffffff, 0, vcc_lo
	v_add_co_u32 v182, vcc_lo, v12, 32
	v_add_co_ci_u32_e32 v183, vcc_lo, 0, v13, vcc_lo
	v_add_co_u32 v4, vcc_lo, v12, v0
	s_delay_alu instid0(VALU_DEP_4)
	v_xor_b32_e32 v147, v5, v31
	v_add_co_ci_u32_e32 v5, vcc_lo, 0, v13, vcc_lo
	v_add_co_u32 v8, vcc_lo, v182, v0
	v_min_u32_e32 v0, 0xe0, v16
	v_and_b32_e32 v16, 16, v96
	v_add_co_ci_u32_e32 v9, vcc_lo, 0, v183, vcc_lo
	s_load_b32 s24, s[0:1], 0x0
	s_delay_alu instid0(VALU_DEP_3) | instskip(NEXT) | instid1(VALU_DEP_3)
	v_or_b32_e32 v0, 31, v0
	v_cmp_eq_u32_e64 s3, 0, v16
	v_lshrrev_b32_e32 v16, 5, v26
	v_cmp_eq_u32_e32 vcc_lo, 0, v15
	v_cmp_lt_u32_e64 s0, 1, v15
	v_cmp_lt_u32_e64 s1, 3, v15
	;; [unrolled: 1-line block ×3, first 2 shown]
	v_cndmask_b32_e64 v15, v17, v96, s4
	v_cmp_eq_u32_e64 s4, v0, v26
	v_lshlrev_b32_e32 v0, 2, v16
	v_lshlrev_b32_e32 v14, 3, v26
	v_and_b32_e32 v17, 7, v96
	v_lshlrev_b32_e32 v193, 2, v15
	v_lshlrev_b32_e32 v15, 2, v26
	v_add_co_u32 v30, s11, v12, v0
	v_add_nc_u32_e32 v0, -1, v16
	v_add_co_ci_u32_e64 v31, s11, 0, v13, s11
	v_and_or_b32 v16, 0x1f00, v14, v96
	v_add_co_u32 v32, s11, v12, v15
	s_delay_alu instid0(VALU_DEP_4) | instskip(SKIP_1) | instid1(VALU_DEP_4)
	v_lshlrev_b64 v[14:15], 2, v[0:1]
	v_add_co_ci_u32_e64 v33, s11, 0, v13, s11
	v_lshlrev_b32_e32 v0, 3, v16
	v_cmp_eq_u32_e64 s11, 0, v17
	v_cmp_lt_u32_e64 s14, 1, v17
	v_add_co_u32 v34, s16, v12, v14
	s_delay_alu instid0(VALU_DEP_1)
	v_add_co_ci_u32_e64 v35, s16, v13, v15, s16
	v_add_co_u32 v36, s16, v12, v0
	v_cmp_lt_u32_e64 s15, 3, v17
	v_mov_b32_e32 v14, s20
	v_lshrrev_b32_e32 v192, 5, v29
	v_cmp_gt_u32_e64 s5, 8, v26
	v_cmp_lt_u32_e64 s6, 31, v26
	v_cmp_eq_u32_e64 s7, 0, v96
	v_cmp_eq_u32_e64 s10, 0, v26
	v_add_co_ci_u32_e64 v37, s16, 0, v13, s16
	v_sub_nc_u32_e32 v194, v11, v10
	v_dual_mov_b32 v15, s21 :: v_dual_mov_b32 v16, s22
	v_mov_b32_e32 v17, s23
	s_brev_b32 s23, 1
	s_waitcnt lgkmcnt(0)
	s_waitcnt_vscnt null, 0x0
	s_barrier
	buffer_gl0_inv
	s_branch .LBB1125_172
.LBB1125_171:                           ;   in Loop: Header=BB1125_172 Depth=1
	s_or_b32 exec_lo, exec_lo, s17
	s_delay_alu instid0(SALU_CYCLE_1) | instskip(NEXT) | instid1(SALU_CYCLE_1)
	s_and_b32 s16, exec_lo, s18
	s_or_b32 s20, s16, s20
	s_delay_alu instid0(SALU_CYCLE_1)
	s_and_not1_b32 exec_lo, exec_lo, s20
	s_cbranch_execz .LBB1125_226
.LBB1125_172:                           ; =>This Inner Loop Header: Depth=1
	v_dual_mov_b32 v66, v148 :: v_dual_mov_b32 v67, v149
	v_min_u32_e32 v0, s24, v194
	v_dual_mov_b32 v64, v112 :: v_dual_mov_b32 v49, v23
	v_mov_b32_e32 v48, v22
	s_delay_alu instid0(VALU_DEP_4) | instskip(NEXT) | instid1(VALU_DEP_4)
	v_cmp_ne_u64_e64 s16, s[22:23], v[66:67]
	v_lshlrev_b32_e64 v0, v0, -1
	v_mov_b32_e32 v96, v130
	v_mov_b32_e32 v86, v132
	v_mov_b32_e32 v84, v144
	v_mov_b32_e32 v100, v146
	v_cndmask_b32_e64 v39, 0x7fffffff, v67, s16
	v_cndmask_b32_e64 v38, -1, v66, s16
	v_not_b32_e32 v148, v0
	v_mov_b32_e32 v52, v128
	v_dual_mov_b32 v54, v116 :: v_dual_mov_b32 v53, v129
	s_delay_alu instid0(VALU_DEP_4)
	v_lshrrev_b64 v[50:51], v10, v[38:39]
	v_dual_mov_b32 v39, v25 :: v_dual_mov_b32 v38, v24
	v_mov_b32_e32 v55, v117
	v_mov_b32_e32 v65, v113
	s_clause 0x1
	flat_store_b128 v[4:5], v[14:17] offset:32
	flat_store_b128 v[8:9], v[14:17] offset:16
	v_and_b32_e32 v0, v50, v148
	v_dual_mov_b32 v50, v134 :: v_dual_mov_b32 v51, v135
	v_mov_b32_e32 v82, v102
	s_delay_alu instid0(VALU_DEP_3)
	v_dual_mov_b32 v98, v118 :: v_dual_lshlrev_b32 v23, 30, v0
	v_and_b32_e32 v22, 1, v0
	v_lshlrev_b32_e32 v24, 29, v0
	v_lshlrev_b32_e32 v25, 28, v0
	;; [unrolled: 1-line block ×3, first 2 shown]
	v_not_b32_e32 v80, v23
	v_add_co_u32 v22, s16, v22, -1
	s_delay_alu instid0(VALU_DEP_1) | instskip(SKIP_3) | instid1(VALU_DEP_4)
	v_cndmask_b32_e64 v68, 0, 1, s16
	v_cmp_gt_i32_e64 s17, 0, v23
	v_not_b32_e32 v23, v24
	v_dual_mov_b32 v83, v103 :: v_dual_lshlrev_b32 v70, 26, v0
	v_cmp_ne_u32_e64 s16, 0, v68
	v_ashrrev_i32_e32 v68, 31, v80
	s_delay_alu instid0(VALU_DEP_4)
	v_ashrrev_i32_e32 v23, 31, v23
	v_lshlrev_b32_e32 v71, 25, v0
	v_lshlrev_b32_e32 v81, 24, v0
	v_xor_b32_e32 v22, s16, v22
	v_cmp_gt_i32_e64 s16, 0, v24
	v_not_b32_e32 v24, v25
	v_xor_b32_e32 v68, s17, v68
	v_cmp_gt_i32_e64 s17, 0, v25
	v_and_b32_e32 v22, exec_lo, v22
	v_not_b32_e32 v25, v69
	v_ashrrev_i32_e32 v24, 31, v24
	v_xor_b32_e32 v23, s16, v23
	v_cmp_gt_i32_e64 s16, 0, v69
	v_dual_mov_b32 v99, v119 :: v_dual_and_b32 v22, v22, v68
	v_not_b32_e32 v68, v70
	v_ashrrev_i32_e32 v25, 31, v25
	v_xor_b32_e32 v24, s17, v24
	s_delay_alu instid0(VALU_DEP_4)
	v_dual_mov_b32 v97, v131 :: v_dual_and_b32 v22, v22, v23
	v_cmp_gt_i32_e64 s17, 0, v70
	v_not_b32_e32 v23, v71
	v_ashrrev_i32_e32 v68, 31, v68
	v_xor_b32_e32 v25, s16, v25
	v_dual_mov_b32 v87, v133 :: v_dual_and_b32 v22, v22, v24
	v_cmp_gt_i32_e64 s16, 0, v71
	v_not_b32_e32 v24, v81
	v_ashrrev_i32_e32 v23, 31, v23
	v_xor_b32_e32 v70, s17, v68
	v_dual_mov_b32 v85, v145 :: v_dual_and_b32 v22, v22, v25
	v_dual_mov_b32 v69, v19 :: v_dual_mov_b32 v68, v18
	v_cmp_gt_i32_e64 s17, 0, v81
	v_ashrrev_i32_e32 v18, 31, v24
	v_xor_b32_e32 v19, s16, v23
	v_dual_mov_b32 v101, v147 :: v_dual_and_b32 v22, v22, v70
	v_lshl_add_u32 v0, v0, 3, v192
	s_delay_alu instid0(VALU_DEP_4) | instskip(SKIP_1) | instid1(VALU_DEP_4)
	v_xor_b32_e32 v18, s17, v18
	v_mov_b32_e32 v71, v21
	v_dual_mov_b32 v70, v20 :: v_dual_and_b32 v19, v22, v19
	v_dual_mov_b32 v80, v114 :: v_dual_mov_b32 v81, v115
	s_waitcnt lgkmcnt(0)
	s_waitcnt_vscnt null, 0x0
	s_delay_alu instid0(VALU_DEP_2)
	v_and_b32_e32 v18, v19, v18
	v_lshlrev_b64 v[19:20], 2, v[0:1]
	s_barrier
	buffer_gl0_inv
	v_mbcnt_lo_u32_b32 v134, v18, 0
	v_cmp_ne_u32_e64 s16, 0, v18
	v_add_co_u32 v102, s18, v182, v19
	s_delay_alu instid0(VALU_DEP_1) | instskip(NEXT) | instid1(VALU_DEP_4)
	v_add_co_ci_u32_e64 v103, s18, v183, v20, s18
	v_cmp_eq_u32_e64 s17, 0, v134
	; wave barrier
	s_delay_alu instid0(VALU_DEP_1) | instskip(NEXT) | instid1(SALU_CYCLE_1)
	s_and_b32 s17, s16, s17
	s_and_saveexec_b32 s16, s17
	s_cbranch_execz .LBB1125_174
; %bb.173:                              ;   in Loop: Header=BB1125_172 Depth=1
	v_bcnt_u32_b32 v0, v18, 0
	flat_store_b32 v[102:103], v0
.LBB1125_174:                           ;   in Loop: Header=BB1125_172 Depth=1
	s_or_b32 exec_lo, exec_lo, s16
	v_cmp_ne_u64_e64 s16, s[22:23], v[82:83]
	; wave barrier
	s_delay_alu instid0(VALU_DEP_1) | instskip(SKIP_1) | instid1(VALU_DEP_1)
	v_cndmask_b32_e64 v19, 0x7fffffff, v83, s16
	v_cndmask_b32_e64 v18, -1, v82, s16
	v_lshrrev_b64 v[18:19], v10, v[18:19]
	s_delay_alu instid0(VALU_DEP_1) | instskip(NEXT) | instid1(VALU_DEP_1)
	v_and_b32_e32 v20, v18, v148
	v_lshl_add_u32 v0, v20, 3, v192
	v_lshlrev_b32_e32 v21, 29, v20
	v_lshlrev_b32_e32 v22, 28, v20
	s_delay_alu instid0(VALU_DEP_3) | instskip(SKIP_1) | instid1(VALU_DEP_2)
	v_lshlrev_b64 v[18:19], 2, v[0:1]
	v_and_b32_e32 v0, 1, v20
	v_add_co_u32 v112, s16, v182, v18
	s_delay_alu instid0(VALU_DEP_1) | instskip(NEXT) | instid1(VALU_DEP_3)
	v_add_co_ci_u32_e64 v113, s16, v183, v19, s16
	v_add_co_u32 v0, s16, v0, -1
	s_delay_alu instid0(VALU_DEP_1) | instskip(SKIP_3) | instid1(VALU_DEP_2)
	v_cndmask_b32_e64 v18, 0, 1, s16
	flat_load_b32 v135, v[112:113]
	v_lshlrev_b32_e32 v19, 30, v20
	; wave barrier
	v_cmp_ne_u32_e64 s16, 0, v18
	v_not_b32_e32 v18, v19
	s_delay_alu instid0(VALU_DEP_2) | instskip(SKIP_1) | instid1(VALU_DEP_3)
	v_xor_b32_e32 v0, s16, v0
	v_cmp_gt_i32_e64 s16, 0, v19
	v_ashrrev_i32_e32 v18, 31, v18
	v_not_b32_e32 v19, v21
	s_delay_alu instid0(VALU_DEP_4) | instskip(NEXT) | instid1(VALU_DEP_3)
	v_and_b32_e32 v0, exec_lo, v0
	v_xor_b32_e32 v18, s16, v18
	v_cmp_gt_i32_e64 s16, 0, v21
	s_delay_alu instid0(VALU_DEP_4) | instskip(SKIP_1) | instid1(VALU_DEP_4)
	v_ashrrev_i32_e32 v19, 31, v19
	v_not_b32_e32 v21, v22
	v_and_b32_e32 v0, v0, v18
	v_lshlrev_b32_e32 v18, 27, v20
	s_delay_alu instid0(VALU_DEP_4) | instskip(SKIP_2) | instid1(VALU_DEP_4)
	v_xor_b32_e32 v19, s16, v19
	v_cmp_gt_i32_e64 s16, 0, v22
	v_ashrrev_i32_e32 v21, 31, v21
	v_not_b32_e32 v22, v18
	s_delay_alu instid0(VALU_DEP_4) | instskip(SKIP_1) | instid1(VALU_DEP_4)
	v_and_b32_e32 v0, v0, v19
	v_lshlrev_b32_e32 v19, 26, v20
	v_xor_b32_e32 v21, s16, v21
	v_cmp_gt_i32_e64 s16, 0, v18
	v_ashrrev_i32_e32 v18, 31, v22
	s_delay_alu instid0(VALU_DEP_4) | instskip(NEXT) | instid1(VALU_DEP_4)
	v_not_b32_e32 v22, v19
	v_and_b32_e32 v0, v0, v21
	v_lshlrev_b32_e32 v21, 25, v20
	s_delay_alu instid0(VALU_DEP_4) | instskip(SKIP_2) | instid1(VALU_DEP_4)
	v_xor_b32_e32 v18, s16, v18
	v_cmp_gt_i32_e64 s16, 0, v19
	v_ashrrev_i32_e32 v19, 31, v22
	v_not_b32_e32 v22, v21
	s_delay_alu instid0(VALU_DEP_4) | instskip(SKIP_1) | instid1(VALU_DEP_4)
	v_and_b32_e32 v0, v0, v18
	v_lshlrev_b32_e32 v18, 24, v20
	v_xor_b32_e32 v19, s16, v19
	v_cmp_gt_i32_e64 s16, 0, v21
	v_ashrrev_i32_e32 v20, 31, v22
	s_delay_alu instid0(VALU_DEP_4) | instskip(NEXT) | instid1(VALU_DEP_4)
	v_not_b32_e32 v21, v18
	v_and_b32_e32 v0, v0, v19
	s_delay_alu instid0(VALU_DEP_3) | instskip(SKIP_1) | instid1(VALU_DEP_4)
	v_xor_b32_e32 v19, s16, v20
	v_cmp_gt_i32_e64 s16, 0, v18
	v_ashrrev_i32_e32 v18, 31, v21
	s_delay_alu instid0(VALU_DEP_3) | instskip(NEXT) | instid1(VALU_DEP_2)
	v_and_b32_e32 v0, v0, v19
	v_xor_b32_e32 v18, s16, v18
	s_delay_alu instid0(VALU_DEP_1) | instskip(NEXT) | instid1(VALU_DEP_1)
	v_and_b32_e32 v0, v0, v18
	v_mbcnt_lo_u32_b32 v144, v0, 0
	v_cmp_ne_u32_e64 s17, 0, v0
	s_delay_alu instid0(VALU_DEP_2) | instskip(NEXT) | instid1(VALU_DEP_1)
	v_cmp_eq_u32_e64 s16, 0, v144
	s_and_b32 s17, s17, s16
	s_delay_alu instid0(SALU_CYCLE_1)
	s_and_saveexec_b32 s16, s17
	s_cbranch_execz .LBB1125_176
; %bb.175:                              ;   in Loop: Header=BB1125_172 Depth=1
	s_waitcnt vmcnt(0) lgkmcnt(0)
	v_bcnt_u32_b32 v0, v0, v135
	flat_store_b32 v[112:113], v0
.LBB1125_176:                           ;   in Loop: Header=BB1125_172 Depth=1
	s_or_b32 exec_lo, exec_lo, s16
	v_cmp_ne_u64_e64 s16, s[22:23], v[80:81]
	; wave barrier
	s_delay_alu instid0(VALU_DEP_1) | instskip(SKIP_1) | instid1(VALU_DEP_1)
	v_cndmask_b32_e64 v19, 0x7fffffff, v81, s16
	v_cndmask_b32_e64 v18, -1, v80, s16
	v_lshrrev_b64 v[18:19], v10, v[18:19]
	s_delay_alu instid0(VALU_DEP_1) | instskip(NEXT) | instid1(VALU_DEP_1)
	v_and_b32_e32 v20, v18, v148
	v_lshl_add_u32 v0, v20, 3, v192
	v_lshlrev_b32_e32 v21, 29, v20
	v_lshlrev_b32_e32 v22, 28, v20
	s_delay_alu instid0(VALU_DEP_3) | instskip(SKIP_1) | instid1(VALU_DEP_2)
	v_lshlrev_b64 v[18:19], 2, v[0:1]
	v_and_b32_e32 v0, 1, v20
	v_add_co_u32 v114, s16, v182, v18
	s_delay_alu instid0(VALU_DEP_1) | instskip(NEXT) | instid1(VALU_DEP_3)
	v_add_co_ci_u32_e64 v115, s16, v183, v19, s16
	v_add_co_u32 v0, s16, v0, -1
	s_delay_alu instid0(VALU_DEP_1) | instskip(SKIP_3) | instid1(VALU_DEP_2)
	v_cndmask_b32_e64 v18, 0, 1, s16
	flat_load_b32 v145, v[114:115]
	v_lshlrev_b32_e32 v19, 30, v20
	; wave barrier
	v_cmp_ne_u32_e64 s16, 0, v18
	v_not_b32_e32 v18, v19
	s_delay_alu instid0(VALU_DEP_2) | instskip(SKIP_1) | instid1(VALU_DEP_3)
	v_xor_b32_e32 v0, s16, v0
	v_cmp_gt_i32_e64 s16, 0, v19
	v_ashrrev_i32_e32 v18, 31, v18
	v_not_b32_e32 v19, v21
	s_delay_alu instid0(VALU_DEP_4) | instskip(NEXT) | instid1(VALU_DEP_3)
	v_and_b32_e32 v0, exec_lo, v0
	v_xor_b32_e32 v18, s16, v18
	v_cmp_gt_i32_e64 s16, 0, v21
	s_delay_alu instid0(VALU_DEP_4) | instskip(SKIP_1) | instid1(VALU_DEP_4)
	v_ashrrev_i32_e32 v19, 31, v19
	v_not_b32_e32 v21, v22
	v_and_b32_e32 v0, v0, v18
	v_lshlrev_b32_e32 v18, 27, v20
	s_delay_alu instid0(VALU_DEP_4) | instskip(SKIP_2) | instid1(VALU_DEP_4)
	v_xor_b32_e32 v19, s16, v19
	v_cmp_gt_i32_e64 s16, 0, v22
	v_ashrrev_i32_e32 v21, 31, v21
	v_not_b32_e32 v22, v18
	s_delay_alu instid0(VALU_DEP_4) | instskip(SKIP_1) | instid1(VALU_DEP_4)
	v_and_b32_e32 v0, v0, v19
	v_lshlrev_b32_e32 v19, 26, v20
	v_xor_b32_e32 v21, s16, v21
	v_cmp_gt_i32_e64 s16, 0, v18
	v_ashrrev_i32_e32 v18, 31, v22
	s_delay_alu instid0(VALU_DEP_4) | instskip(NEXT) | instid1(VALU_DEP_4)
	v_not_b32_e32 v22, v19
	v_and_b32_e32 v0, v0, v21
	v_lshlrev_b32_e32 v21, 25, v20
	s_delay_alu instid0(VALU_DEP_4) | instskip(SKIP_2) | instid1(VALU_DEP_4)
	v_xor_b32_e32 v18, s16, v18
	v_cmp_gt_i32_e64 s16, 0, v19
	v_ashrrev_i32_e32 v19, 31, v22
	v_not_b32_e32 v22, v21
	s_delay_alu instid0(VALU_DEP_4) | instskip(SKIP_1) | instid1(VALU_DEP_4)
	v_and_b32_e32 v0, v0, v18
	v_lshlrev_b32_e32 v18, 24, v20
	v_xor_b32_e32 v19, s16, v19
	v_cmp_gt_i32_e64 s16, 0, v21
	v_ashrrev_i32_e32 v20, 31, v22
	s_delay_alu instid0(VALU_DEP_4) | instskip(NEXT) | instid1(VALU_DEP_4)
	v_not_b32_e32 v21, v18
	v_and_b32_e32 v0, v0, v19
	s_delay_alu instid0(VALU_DEP_3) | instskip(SKIP_1) | instid1(VALU_DEP_4)
	v_xor_b32_e32 v19, s16, v20
	v_cmp_gt_i32_e64 s16, 0, v18
	v_ashrrev_i32_e32 v18, 31, v21
	s_delay_alu instid0(VALU_DEP_3) | instskip(NEXT) | instid1(VALU_DEP_2)
	v_and_b32_e32 v0, v0, v19
	v_xor_b32_e32 v18, s16, v18
	s_delay_alu instid0(VALU_DEP_1) | instskip(NEXT) | instid1(VALU_DEP_1)
	v_and_b32_e32 v0, v0, v18
	v_mbcnt_lo_u32_b32 v146, v0, 0
	v_cmp_ne_u32_e64 s17, 0, v0
	s_delay_alu instid0(VALU_DEP_2) | instskip(NEXT) | instid1(VALU_DEP_1)
	v_cmp_eq_u32_e64 s16, 0, v146
	s_and_b32 s17, s17, s16
	s_delay_alu instid0(SALU_CYCLE_1)
	s_and_saveexec_b32 s16, s17
	s_cbranch_execz .LBB1125_178
; %bb.177:                              ;   in Loop: Header=BB1125_172 Depth=1
	s_waitcnt vmcnt(0) lgkmcnt(0)
	v_bcnt_u32_b32 v0, v0, v145
	flat_store_b32 v[114:115], v0
.LBB1125_178:                           ;   in Loop: Header=BB1125_172 Depth=1
	s_or_b32 exec_lo, exec_lo, s16
	v_cmp_ne_u64_e64 s16, s[22:23], v[98:99]
	; wave barrier
	s_delay_alu instid0(VALU_DEP_1) | instskip(SKIP_1) | instid1(VALU_DEP_1)
	v_cndmask_b32_e64 v19, 0x7fffffff, v99, s16
	v_cndmask_b32_e64 v18, -1, v98, s16
	v_lshrrev_b64 v[18:19], v10, v[18:19]
	s_delay_alu instid0(VALU_DEP_1) | instskip(NEXT) | instid1(VALU_DEP_1)
	v_and_b32_e32 v20, v18, v148
	v_lshl_add_u32 v0, v20, 3, v192
	v_lshlrev_b32_e32 v21, 29, v20
	v_lshlrev_b32_e32 v22, 28, v20
	s_delay_alu instid0(VALU_DEP_3) | instskip(SKIP_1) | instid1(VALU_DEP_2)
	v_lshlrev_b64 v[18:19], 2, v[0:1]
	v_and_b32_e32 v0, 1, v20
	v_add_co_u32 v116, s16, v182, v18
	s_delay_alu instid0(VALU_DEP_1) | instskip(NEXT) | instid1(VALU_DEP_3)
	v_add_co_ci_u32_e64 v117, s16, v183, v19, s16
	v_add_co_u32 v0, s16, v0, -1
	s_delay_alu instid0(VALU_DEP_1) | instskip(SKIP_3) | instid1(VALU_DEP_2)
	v_cndmask_b32_e64 v18, 0, 1, s16
	flat_load_b32 v147, v[116:117]
	v_lshlrev_b32_e32 v19, 30, v20
	; wave barrier
	v_cmp_ne_u32_e64 s16, 0, v18
	v_not_b32_e32 v18, v19
	s_delay_alu instid0(VALU_DEP_2) | instskip(SKIP_1) | instid1(VALU_DEP_3)
	v_xor_b32_e32 v0, s16, v0
	v_cmp_gt_i32_e64 s16, 0, v19
	v_ashrrev_i32_e32 v18, 31, v18
	v_not_b32_e32 v19, v21
	s_delay_alu instid0(VALU_DEP_4) | instskip(NEXT) | instid1(VALU_DEP_3)
	v_and_b32_e32 v0, exec_lo, v0
	v_xor_b32_e32 v18, s16, v18
	v_cmp_gt_i32_e64 s16, 0, v21
	s_delay_alu instid0(VALU_DEP_4) | instskip(SKIP_1) | instid1(VALU_DEP_4)
	v_ashrrev_i32_e32 v19, 31, v19
	v_not_b32_e32 v21, v22
	v_and_b32_e32 v0, v0, v18
	v_lshlrev_b32_e32 v18, 27, v20
	s_delay_alu instid0(VALU_DEP_4) | instskip(SKIP_2) | instid1(VALU_DEP_4)
	v_xor_b32_e32 v19, s16, v19
	v_cmp_gt_i32_e64 s16, 0, v22
	v_ashrrev_i32_e32 v21, 31, v21
	v_not_b32_e32 v22, v18
	s_delay_alu instid0(VALU_DEP_4) | instskip(SKIP_1) | instid1(VALU_DEP_4)
	v_and_b32_e32 v0, v0, v19
	v_lshlrev_b32_e32 v19, 26, v20
	v_xor_b32_e32 v21, s16, v21
	v_cmp_gt_i32_e64 s16, 0, v18
	v_ashrrev_i32_e32 v18, 31, v22
	s_delay_alu instid0(VALU_DEP_4) | instskip(NEXT) | instid1(VALU_DEP_4)
	v_not_b32_e32 v22, v19
	v_and_b32_e32 v0, v0, v21
	v_lshlrev_b32_e32 v21, 25, v20
	s_delay_alu instid0(VALU_DEP_4) | instskip(SKIP_2) | instid1(VALU_DEP_4)
	v_xor_b32_e32 v18, s16, v18
	v_cmp_gt_i32_e64 s16, 0, v19
	v_ashrrev_i32_e32 v19, 31, v22
	v_not_b32_e32 v22, v21
	s_delay_alu instid0(VALU_DEP_4) | instskip(SKIP_1) | instid1(VALU_DEP_4)
	v_and_b32_e32 v0, v0, v18
	v_lshlrev_b32_e32 v18, 24, v20
	v_xor_b32_e32 v19, s16, v19
	v_cmp_gt_i32_e64 s16, 0, v21
	v_ashrrev_i32_e32 v20, 31, v22
	s_delay_alu instid0(VALU_DEP_4) | instskip(NEXT) | instid1(VALU_DEP_4)
	v_not_b32_e32 v21, v18
	v_and_b32_e32 v0, v0, v19
	s_delay_alu instid0(VALU_DEP_3) | instskip(SKIP_1) | instid1(VALU_DEP_4)
	v_xor_b32_e32 v19, s16, v20
	v_cmp_gt_i32_e64 s16, 0, v18
	v_ashrrev_i32_e32 v18, 31, v21
	s_delay_alu instid0(VALU_DEP_3) | instskip(NEXT) | instid1(VALU_DEP_2)
	v_and_b32_e32 v0, v0, v19
	v_xor_b32_e32 v18, s16, v18
	s_delay_alu instid0(VALU_DEP_1) | instskip(NEXT) | instid1(VALU_DEP_1)
	v_and_b32_e32 v0, v0, v18
	v_mbcnt_lo_u32_b32 v149, v0, 0
	v_cmp_ne_u32_e64 s17, 0, v0
	s_delay_alu instid0(VALU_DEP_2) | instskip(NEXT) | instid1(VALU_DEP_1)
	v_cmp_eq_u32_e64 s16, 0, v149
	s_and_b32 s17, s17, s16
	s_delay_alu instid0(SALU_CYCLE_1)
	s_and_saveexec_b32 s16, s17
	s_cbranch_execz .LBB1125_180
; %bb.179:                              ;   in Loop: Header=BB1125_172 Depth=1
	s_waitcnt vmcnt(0) lgkmcnt(0)
	v_bcnt_u32_b32 v0, v0, v147
	flat_store_b32 v[116:117], v0
.LBB1125_180:                           ;   in Loop: Header=BB1125_172 Depth=1
	s_or_b32 exec_lo, exec_lo, s16
	v_cmp_ne_u64_e64 s16, s[22:23], v[96:97]
	; wave barrier
	s_delay_alu instid0(VALU_DEP_1) | instskip(SKIP_1) | instid1(VALU_DEP_1)
	v_cndmask_b32_e64 v19, 0x7fffffff, v97, s16
	v_cndmask_b32_e64 v18, -1, v96, s16
	v_lshrrev_b64 v[18:19], v10, v[18:19]
	s_delay_alu instid0(VALU_DEP_1) | instskip(NEXT) | instid1(VALU_DEP_1)
	v_and_b32_e32 v20, v18, v148
	v_lshl_add_u32 v0, v20, 3, v192
	v_lshlrev_b32_e32 v21, 29, v20
	v_lshlrev_b32_e32 v22, 28, v20
	s_delay_alu instid0(VALU_DEP_3) | instskip(SKIP_1) | instid1(VALU_DEP_2)
	v_lshlrev_b64 v[18:19], 2, v[0:1]
	v_and_b32_e32 v0, 1, v20
	v_add_co_u32 v118, s16, v182, v18
	s_delay_alu instid0(VALU_DEP_1) | instskip(NEXT) | instid1(VALU_DEP_3)
	v_add_co_ci_u32_e64 v119, s16, v183, v19, s16
	v_add_co_u32 v0, s16, v0, -1
	s_delay_alu instid0(VALU_DEP_1) | instskip(SKIP_3) | instid1(VALU_DEP_2)
	v_cndmask_b32_e64 v18, 0, 1, s16
	flat_load_b32 v150, v[118:119]
	v_lshlrev_b32_e32 v19, 30, v20
	; wave barrier
	v_cmp_ne_u32_e64 s16, 0, v18
	v_not_b32_e32 v18, v19
	s_delay_alu instid0(VALU_DEP_2) | instskip(SKIP_1) | instid1(VALU_DEP_3)
	v_xor_b32_e32 v0, s16, v0
	v_cmp_gt_i32_e64 s16, 0, v19
	v_ashrrev_i32_e32 v18, 31, v18
	v_not_b32_e32 v19, v21
	s_delay_alu instid0(VALU_DEP_4) | instskip(NEXT) | instid1(VALU_DEP_3)
	v_and_b32_e32 v0, exec_lo, v0
	v_xor_b32_e32 v18, s16, v18
	v_cmp_gt_i32_e64 s16, 0, v21
	s_delay_alu instid0(VALU_DEP_4) | instskip(SKIP_1) | instid1(VALU_DEP_4)
	v_ashrrev_i32_e32 v19, 31, v19
	v_not_b32_e32 v21, v22
	v_and_b32_e32 v0, v0, v18
	v_lshlrev_b32_e32 v18, 27, v20
	s_delay_alu instid0(VALU_DEP_4) | instskip(SKIP_2) | instid1(VALU_DEP_4)
	v_xor_b32_e32 v19, s16, v19
	v_cmp_gt_i32_e64 s16, 0, v22
	v_ashrrev_i32_e32 v21, 31, v21
	v_not_b32_e32 v22, v18
	s_delay_alu instid0(VALU_DEP_4) | instskip(SKIP_1) | instid1(VALU_DEP_4)
	v_and_b32_e32 v0, v0, v19
	v_lshlrev_b32_e32 v19, 26, v20
	v_xor_b32_e32 v21, s16, v21
	v_cmp_gt_i32_e64 s16, 0, v18
	v_ashrrev_i32_e32 v18, 31, v22
	s_delay_alu instid0(VALU_DEP_4) | instskip(NEXT) | instid1(VALU_DEP_4)
	v_not_b32_e32 v22, v19
	v_and_b32_e32 v0, v0, v21
	v_lshlrev_b32_e32 v21, 25, v20
	s_delay_alu instid0(VALU_DEP_4) | instskip(SKIP_2) | instid1(VALU_DEP_4)
	v_xor_b32_e32 v18, s16, v18
	v_cmp_gt_i32_e64 s16, 0, v19
	v_ashrrev_i32_e32 v19, 31, v22
	v_not_b32_e32 v22, v21
	s_delay_alu instid0(VALU_DEP_4) | instskip(SKIP_1) | instid1(VALU_DEP_4)
	v_and_b32_e32 v0, v0, v18
	v_lshlrev_b32_e32 v18, 24, v20
	v_xor_b32_e32 v19, s16, v19
	v_cmp_gt_i32_e64 s16, 0, v21
	v_ashrrev_i32_e32 v20, 31, v22
	s_delay_alu instid0(VALU_DEP_4) | instskip(NEXT) | instid1(VALU_DEP_4)
	v_not_b32_e32 v21, v18
	v_and_b32_e32 v0, v0, v19
	s_delay_alu instid0(VALU_DEP_3) | instskip(SKIP_1) | instid1(VALU_DEP_4)
	v_xor_b32_e32 v19, s16, v20
	v_cmp_gt_i32_e64 s16, 0, v18
	v_ashrrev_i32_e32 v18, 31, v21
	s_delay_alu instid0(VALU_DEP_3) | instskip(NEXT) | instid1(VALU_DEP_2)
	v_and_b32_e32 v0, v0, v19
	v_xor_b32_e32 v18, s16, v18
	s_delay_alu instid0(VALU_DEP_1) | instskip(NEXT) | instid1(VALU_DEP_1)
	v_and_b32_e32 v0, v0, v18
	v_mbcnt_lo_u32_b32 v151, v0, 0
	v_cmp_ne_u32_e64 s17, 0, v0
	s_delay_alu instid0(VALU_DEP_2) | instskip(NEXT) | instid1(VALU_DEP_1)
	v_cmp_eq_u32_e64 s16, 0, v151
	s_and_b32 s17, s17, s16
	s_delay_alu instid0(SALU_CYCLE_1)
	s_and_saveexec_b32 s16, s17
	s_cbranch_execz .LBB1125_182
; %bb.181:                              ;   in Loop: Header=BB1125_172 Depth=1
	s_waitcnt vmcnt(0) lgkmcnt(0)
	v_bcnt_u32_b32 v0, v0, v150
	flat_store_b32 v[118:119], v0
.LBB1125_182:                           ;   in Loop: Header=BB1125_172 Depth=1
	s_or_b32 exec_lo, exec_lo, s16
	v_cmp_ne_u64_e64 s16, s[22:23], v[86:87]
	; wave barrier
	s_delay_alu instid0(VALU_DEP_1) | instskip(SKIP_1) | instid1(VALU_DEP_1)
	v_cndmask_b32_e64 v19, 0x7fffffff, v87, s16
	v_cndmask_b32_e64 v18, -1, v86, s16
	v_lshrrev_b64 v[18:19], v10, v[18:19]
	s_delay_alu instid0(VALU_DEP_1) | instskip(NEXT) | instid1(VALU_DEP_1)
	v_and_b32_e32 v20, v18, v148
	v_lshl_add_u32 v0, v20, 3, v192
	v_lshlrev_b32_e32 v21, 29, v20
	v_lshlrev_b32_e32 v22, 28, v20
	s_delay_alu instid0(VALU_DEP_3) | instskip(SKIP_1) | instid1(VALU_DEP_2)
	v_lshlrev_b64 v[18:19], 2, v[0:1]
	v_and_b32_e32 v0, 1, v20
	v_add_co_u32 v128, s16, v182, v18
	s_delay_alu instid0(VALU_DEP_1) | instskip(NEXT) | instid1(VALU_DEP_3)
	v_add_co_ci_u32_e64 v129, s16, v183, v19, s16
	v_add_co_u32 v0, s16, v0, -1
	s_delay_alu instid0(VALU_DEP_1) | instskip(SKIP_3) | instid1(VALU_DEP_2)
	v_cndmask_b32_e64 v18, 0, 1, s16
	flat_load_b32 v160, v[128:129]
	v_lshlrev_b32_e32 v19, 30, v20
	; wave barrier
	v_cmp_ne_u32_e64 s16, 0, v18
	v_not_b32_e32 v18, v19
	s_delay_alu instid0(VALU_DEP_2) | instskip(SKIP_1) | instid1(VALU_DEP_3)
	v_xor_b32_e32 v0, s16, v0
	v_cmp_gt_i32_e64 s16, 0, v19
	v_ashrrev_i32_e32 v18, 31, v18
	v_not_b32_e32 v19, v21
	s_delay_alu instid0(VALU_DEP_4) | instskip(NEXT) | instid1(VALU_DEP_3)
	v_and_b32_e32 v0, exec_lo, v0
	v_xor_b32_e32 v18, s16, v18
	v_cmp_gt_i32_e64 s16, 0, v21
	s_delay_alu instid0(VALU_DEP_4) | instskip(SKIP_1) | instid1(VALU_DEP_4)
	v_ashrrev_i32_e32 v19, 31, v19
	v_not_b32_e32 v21, v22
	v_and_b32_e32 v0, v0, v18
	v_lshlrev_b32_e32 v18, 27, v20
	s_delay_alu instid0(VALU_DEP_4) | instskip(SKIP_2) | instid1(VALU_DEP_4)
	v_xor_b32_e32 v19, s16, v19
	v_cmp_gt_i32_e64 s16, 0, v22
	v_ashrrev_i32_e32 v21, 31, v21
	v_not_b32_e32 v22, v18
	s_delay_alu instid0(VALU_DEP_4) | instskip(SKIP_1) | instid1(VALU_DEP_4)
	v_and_b32_e32 v0, v0, v19
	v_lshlrev_b32_e32 v19, 26, v20
	v_xor_b32_e32 v21, s16, v21
	v_cmp_gt_i32_e64 s16, 0, v18
	v_ashrrev_i32_e32 v18, 31, v22
	s_delay_alu instid0(VALU_DEP_4) | instskip(NEXT) | instid1(VALU_DEP_4)
	v_not_b32_e32 v22, v19
	v_and_b32_e32 v0, v0, v21
	v_lshlrev_b32_e32 v21, 25, v20
	s_delay_alu instid0(VALU_DEP_4) | instskip(SKIP_2) | instid1(VALU_DEP_4)
	v_xor_b32_e32 v18, s16, v18
	v_cmp_gt_i32_e64 s16, 0, v19
	v_ashrrev_i32_e32 v19, 31, v22
	v_not_b32_e32 v22, v21
	s_delay_alu instid0(VALU_DEP_4) | instskip(SKIP_1) | instid1(VALU_DEP_4)
	v_and_b32_e32 v0, v0, v18
	v_lshlrev_b32_e32 v18, 24, v20
	v_xor_b32_e32 v19, s16, v19
	v_cmp_gt_i32_e64 s16, 0, v21
	v_ashrrev_i32_e32 v20, 31, v22
	s_delay_alu instid0(VALU_DEP_4) | instskip(NEXT) | instid1(VALU_DEP_4)
	v_not_b32_e32 v21, v18
	v_and_b32_e32 v0, v0, v19
	s_delay_alu instid0(VALU_DEP_3) | instskip(SKIP_1) | instid1(VALU_DEP_4)
	v_xor_b32_e32 v19, s16, v20
	v_cmp_gt_i32_e64 s16, 0, v18
	v_ashrrev_i32_e32 v18, 31, v21
	s_delay_alu instid0(VALU_DEP_3) | instskip(NEXT) | instid1(VALU_DEP_2)
	v_and_b32_e32 v0, v0, v19
	v_xor_b32_e32 v18, s16, v18
	s_delay_alu instid0(VALU_DEP_1) | instskip(NEXT) | instid1(VALU_DEP_1)
	v_and_b32_e32 v0, v0, v18
	v_mbcnt_lo_u32_b32 v161, v0, 0
	v_cmp_ne_u32_e64 s17, 0, v0
	s_delay_alu instid0(VALU_DEP_2) | instskip(NEXT) | instid1(VALU_DEP_1)
	v_cmp_eq_u32_e64 s16, 0, v161
	s_and_b32 s17, s17, s16
	s_delay_alu instid0(SALU_CYCLE_1)
	s_and_saveexec_b32 s16, s17
	s_cbranch_execz .LBB1125_184
; %bb.183:                              ;   in Loop: Header=BB1125_172 Depth=1
	s_waitcnt vmcnt(0) lgkmcnt(0)
	v_bcnt_u32_b32 v0, v0, v160
	flat_store_b32 v[128:129], v0
.LBB1125_184:                           ;   in Loop: Header=BB1125_172 Depth=1
	s_or_b32 exec_lo, exec_lo, s16
	v_cmp_ne_u64_e64 s16, s[22:23], v[84:85]
	; wave barrier
	s_delay_alu instid0(VALU_DEP_1) | instskip(SKIP_1) | instid1(VALU_DEP_1)
	v_cndmask_b32_e64 v19, 0x7fffffff, v85, s16
	v_cndmask_b32_e64 v18, -1, v84, s16
	v_lshrrev_b64 v[18:19], v10, v[18:19]
	s_delay_alu instid0(VALU_DEP_1) | instskip(NEXT) | instid1(VALU_DEP_1)
	v_and_b32_e32 v20, v18, v148
	v_lshl_add_u32 v0, v20, 3, v192
	v_lshlrev_b32_e32 v21, 29, v20
	v_lshlrev_b32_e32 v22, 28, v20
	s_delay_alu instid0(VALU_DEP_3) | instskip(SKIP_1) | instid1(VALU_DEP_2)
	v_lshlrev_b64 v[18:19], 2, v[0:1]
	v_and_b32_e32 v0, 1, v20
	v_add_co_u32 v130, s16, v182, v18
	s_delay_alu instid0(VALU_DEP_1) | instskip(NEXT) | instid1(VALU_DEP_3)
	v_add_co_ci_u32_e64 v131, s16, v183, v19, s16
	v_add_co_u32 v0, s16, v0, -1
	s_delay_alu instid0(VALU_DEP_1) | instskip(SKIP_3) | instid1(VALU_DEP_2)
	v_cndmask_b32_e64 v18, 0, 1, s16
	flat_load_b32 v162, v[130:131]
	v_lshlrev_b32_e32 v19, 30, v20
	; wave barrier
	v_cmp_ne_u32_e64 s16, 0, v18
	v_not_b32_e32 v18, v19
	s_delay_alu instid0(VALU_DEP_2) | instskip(SKIP_1) | instid1(VALU_DEP_3)
	v_xor_b32_e32 v0, s16, v0
	v_cmp_gt_i32_e64 s16, 0, v19
	v_ashrrev_i32_e32 v18, 31, v18
	v_not_b32_e32 v19, v21
	s_delay_alu instid0(VALU_DEP_4) | instskip(NEXT) | instid1(VALU_DEP_3)
	v_and_b32_e32 v0, exec_lo, v0
	v_xor_b32_e32 v18, s16, v18
	v_cmp_gt_i32_e64 s16, 0, v21
	s_delay_alu instid0(VALU_DEP_4) | instskip(SKIP_1) | instid1(VALU_DEP_4)
	v_ashrrev_i32_e32 v19, 31, v19
	v_not_b32_e32 v21, v22
	v_and_b32_e32 v0, v0, v18
	v_lshlrev_b32_e32 v18, 27, v20
	s_delay_alu instid0(VALU_DEP_4) | instskip(SKIP_2) | instid1(VALU_DEP_4)
	v_xor_b32_e32 v19, s16, v19
	v_cmp_gt_i32_e64 s16, 0, v22
	v_ashrrev_i32_e32 v21, 31, v21
	v_not_b32_e32 v22, v18
	s_delay_alu instid0(VALU_DEP_4) | instskip(SKIP_1) | instid1(VALU_DEP_4)
	v_and_b32_e32 v0, v0, v19
	v_lshlrev_b32_e32 v19, 26, v20
	v_xor_b32_e32 v21, s16, v21
	v_cmp_gt_i32_e64 s16, 0, v18
	v_ashrrev_i32_e32 v18, 31, v22
	s_delay_alu instid0(VALU_DEP_4) | instskip(NEXT) | instid1(VALU_DEP_4)
	v_not_b32_e32 v22, v19
	v_and_b32_e32 v0, v0, v21
	v_lshlrev_b32_e32 v21, 25, v20
	s_delay_alu instid0(VALU_DEP_4) | instskip(SKIP_2) | instid1(VALU_DEP_4)
	v_xor_b32_e32 v18, s16, v18
	v_cmp_gt_i32_e64 s16, 0, v19
	v_ashrrev_i32_e32 v19, 31, v22
	v_not_b32_e32 v22, v21
	s_delay_alu instid0(VALU_DEP_4) | instskip(SKIP_1) | instid1(VALU_DEP_4)
	v_and_b32_e32 v0, v0, v18
	v_lshlrev_b32_e32 v18, 24, v20
	v_xor_b32_e32 v19, s16, v19
	v_cmp_gt_i32_e64 s16, 0, v21
	v_ashrrev_i32_e32 v20, 31, v22
	s_delay_alu instid0(VALU_DEP_4) | instskip(NEXT) | instid1(VALU_DEP_4)
	v_not_b32_e32 v21, v18
	v_and_b32_e32 v0, v0, v19
	s_delay_alu instid0(VALU_DEP_3) | instskip(SKIP_1) | instid1(VALU_DEP_4)
	v_xor_b32_e32 v19, s16, v20
	v_cmp_gt_i32_e64 s16, 0, v18
	v_ashrrev_i32_e32 v18, 31, v21
	s_delay_alu instid0(VALU_DEP_3) | instskip(NEXT) | instid1(VALU_DEP_2)
	v_and_b32_e32 v0, v0, v19
	v_xor_b32_e32 v18, s16, v18
	s_delay_alu instid0(VALU_DEP_1) | instskip(NEXT) | instid1(VALU_DEP_1)
	v_and_b32_e32 v0, v0, v18
	v_mbcnt_lo_u32_b32 v163, v0, 0
	v_cmp_ne_u32_e64 s17, 0, v0
	s_delay_alu instid0(VALU_DEP_2) | instskip(NEXT) | instid1(VALU_DEP_1)
	v_cmp_eq_u32_e64 s16, 0, v163
	s_and_b32 s17, s17, s16
	s_delay_alu instid0(SALU_CYCLE_1)
	s_and_saveexec_b32 s16, s17
	s_cbranch_execz .LBB1125_186
; %bb.185:                              ;   in Loop: Header=BB1125_172 Depth=1
	s_waitcnt vmcnt(0) lgkmcnt(0)
	v_bcnt_u32_b32 v0, v0, v162
	flat_store_b32 v[130:131], v0
.LBB1125_186:                           ;   in Loop: Header=BB1125_172 Depth=1
	s_or_b32 exec_lo, exec_lo, s16
	v_cmp_ne_u64_e64 s16, s[22:23], v[100:101]
	; wave barrier
	s_delay_alu instid0(VALU_DEP_1) | instskip(SKIP_1) | instid1(VALU_DEP_1)
	v_cndmask_b32_e64 v19, 0x7fffffff, v101, s16
	v_cndmask_b32_e64 v18, -1, v100, s16
	v_lshrrev_b64 v[18:19], v10, v[18:19]
	s_delay_alu instid0(VALU_DEP_1) | instskip(NEXT) | instid1(VALU_DEP_1)
	v_and_b32_e32 v20, v18, v148
	v_lshl_add_u32 v0, v20, 3, v192
	v_lshlrev_b32_e32 v21, 29, v20
	v_lshlrev_b32_e32 v22, 28, v20
	s_delay_alu instid0(VALU_DEP_3) | instskip(SKIP_1) | instid1(VALU_DEP_2)
	v_lshlrev_b64 v[18:19], 2, v[0:1]
	v_and_b32_e32 v0, 1, v20
	v_add_co_u32 v132, s16, v182, v18
	s_delay_alu instid0(VALU_DEP_1) | instskip(NEXT) | instid1(VALU_DEP_3)
	v_add_co_ci_u32_e64 v133, s16, v183, v19, s16
	v_add_co_u32 v0, s16, v0, -1
	s_delay_alu instid0(VALU_DEP_1) | instskip(SKIP_3) | instid1(VALU_DEP_2)
	v_cndmask_b32_e64 v18, 0, 1, s16
	flat_load_b32 v148, v[132:133]
	v_lshlrev_b32_e32 v19, 30, v20
	; wave barrier
	v_cmp_ne_u32_e64 s16, 0, v18
	v_not_b32_e32 v18, v19
	s_delay_alu instid0(VALU_DEP_2) | instskip(SKIP_1) | instid1(VALU_DEP_3)
	v_xor_b32_e32 v0, s16, v0
	v_cmp_gt_i32_e64 s16, 0, v19
	v_ashrrev_i32_e32 v18, 31, v18
	v_not_b32_e32 v19, v21
	s_delay_alu instid0(VALU_DEP_4) | instskip(NEXT) | instid1(VALU_DEP_3)
	v_and_b32_e32 v0, exec_lo, v0
	v_xor_b32_e32 v18, s16, v18
	v_cmp_gt_i32_e64 s16, 0, v21
	s_delay_alu instid0(VALU_DEP_4) | instskip(SKIP_1) | instid1(VALU_DEP_4)
	v_ashrrev_i32_e32 v19, 31, v19
	v_not_b32_e32 v21, v22
	v_and_b32_e32 v0, v0, v18
	v_lshlrev_b32_e32 v18, 27, v20
	s_delay_alu instid0(VALU_DEP_4) | instskip(SKIP_2) | instid1(VALU_DEP_4)
	v_xor_b32_e32 v19, s16, v19
	v_cmp_gt_i32_e64 s16, 0, v22
	v_ashrrev_i32_e32 v21, 31, v21
	v_not_b32_e32 v22, v18
	s_delay_alu instid0(VALU_DEP_4) | instskip(SKIP_1) | instid1(VALU_DEP_4)
	v_and_b32_e32 v0, v0, v19
	v_lshlrev_b32_e32 v19, 26, v20
	v_xor_b32_e32 v21, s16, v21
	v_cmp_gt_i32_e64 s16, 0, v18
	v_ashrrev_i32_e32 v18, 31, v22
	s_delay_alu instid0(VALU_DEP_4) | instskip(NEXT) | instid1(VALU_DEP_4)
	v_not_b32_e32 v22, v19
	v_and_b32_e32 v0, v0, v21
	v_lshlrev_b32_e32 v21, 25, v20
	s_delay_alu instid0(VALU_DEP_4) | instskip(SKIP_2) | instid1(VALU_DEP_4)
	v_xor_b32_e32 v18, s16, v18
	v_cmp_gt_i32_e64 s16, 0, v19
	v_ashrrev_i32_e32 v19, 31, v22
	v_not_b32_e32 v22, v21
	s_delay_alu instid0(VALU_DEP_4) | instskip(SKIP_1) | instid1(VALU_DEP_4)
	v_and_b32_e32 v0, v0, v18
	v_lshlrev_b32_e32 v18, 24, v20
	v_xor_b32_e32 v19, s16, v19
	v_cmp_gt_i32_e64 s16, 0, v21
	v_ashrrev_i32_e32 v20, 31, v22
	s_delay_alu instid0(VALU_DEP_4) | instskip(NEXT) | instid1(VALU_DEP_4)
	v_not_b32_e32 v21, v18
	v_and_b32_e32 v0, v0, v19
	s_delay_alu instid0(VALU_DEP_3) | instskip(SKIP_1) | instid1(VALU_DEP_4)
	v_xor_b32_e32 v19, s16, v20
	v_cmp_gt_i32_e64 s16, 0, v18
	v_ashrrev_i32_e32 v18, 31, v21
	s_delay_alu instid0(VALU_DEP_3) | instskip(NEXT) | instid1(VALU_DEP_2)
	v_and_b32_e32 v0, v0, v19
	v_xor_b32_e32 v18, s16, v18
	s_delay_alu instid0(VALU_DEP_1) | instskip(NEXT) | instid1(VALU_DEP_1)
	v_and_b32_e32 v0, v0, v18
	v_mbcnt_lo_u32_b32 v164, v0, 0
	v_cmp_ne_u32_e64 s17, 0, v0
	s_delay_alu instid0(VALU_DEP_2) | instskip(NEXT) | instid1(VALU_DEP_1)
	v_cmp_eq_u32_e64 s16, 0, v164
	s_and_b32 s17, s17, s16
	s_delay_alu instid0(SALU_CYCLE_1)
	s_and_saveexec_b32 s16, s17
	s_cbranch_execz .LBB1125_188
; %bb.187:                              ;   in Loop: Header=BB1125_172 Depth=1
	s_waitcnt vmcnt(0) lgkmcnt(0)
	v_bcnt_u32_b32 v0, v0, v148
	flat_store_b32 v[132:133], v0
.LBB1125_188:                           ;   in Loop: Header=BB1125_172 Depth=1
	s_or_b32 exec_lo, exec_lo, s16
	; wave barrier
	s_waitcnt vmcnt(0) lgkmcnt(0)
	s_waitcnt_vscnt null, 0x0
	s_barrier
	buffer_gl0_inv
	s_clause 0x1
	flat_load_b128 v[22:25], v[4:5] offset:32
	flat_load_b128 v[18:21], v[8:9] offset:16
	s_waitcnt vmcnt(1) lgkmcnt(1)
	v_add_nc_u32_e32 v0, v23, v22
	s_delay_alu instid0(VALU_DEP_1) | instskip(SKIP_1) | instid1(VALU_DEP_1)
	v_add3_u32 v0, v0, v24, v25
	s_waitcnt vmcnt(0) lgkmcnt(0)
	v_add3_u32 v0, v0, v18, v19
	s_delay_alu instid0(VALU_DEP_1) | instskip(NEXT) | instid1(VALU_DEP_1)
	v_add3_u32 v0, v0, v20, v21
	v_mov_b32_dpp v21, v0 row_shr:1 row_mask:0xf bank_mask:0xf
	s_delay_alu instid0(VALU_DEP_1) | instskip(NEXT) | instid1(VALU_DEP_1)
	v_cndmask_b32_e64 v21, v21, 0, vcc_lo
	v_add_nc_u32_e32 v0, v21, v0
	s_delay_alu instid0(VALU_DEP_1) | instskip(NEXT) | instid1(VALU_DEP_1)
	v_mov_b32_dpp v21, v0 row_shr:2 row_mask:0xf bank_mask:0xf
	v_cndmask_b32_e64 v21, 0, v21, s0
	s_delay_alu instid0(VALU_DEP_1) | instskip(NEXT) | instid1(VALU_DEP_1)
	v_add_nc_u32_e32 v0, v0, v21
	v_mov_b32_dpp v21, v0 row_shr:4 row_mask:0xf bank_mask:0xf
	s_delay_alu instid0(VALU_DEP_1) | instskip(NEXT) | instid1(VALU_DEP_1)
	v_cndmask_b32_e64 v21, 0, v21, s1
	v_add_nc_u32_e32 v0, v0, v21
	s_delay_alu instid0(VALU_DEP_1) | instskip(NEXT) | instid1(VALU_DEP_1)
	v_mov_b32_dpp v21, v0 row_shr:8 row_mask:0xf bank_mask:0xf
	v_cndmask_b32_e64 v21, 0, v21, s2
	s_delay_alu instid0(VALU_DEP_1) | instskip(SKIP_3) | instid1(VALU_DEP_1)
	v_add_nc_u32_e32 v0, v0, v21
	ds_swizzle_b32 v21, v0 offset:swizzle(BROADCAST,32,15)
	s_waitcnt lgkmcnt(0)
	v_cndmask_b32_e64 v21, v21, 0, s3
	v_add_nc_u32_e32 v0, v0, v21
	s_and_saveexec_b32 s16, s4
	s_cbranch_execz .LBB1125_190
; %bb.189:                              ;   in Loop: Header=BB1125_172 Depth=1
	flat_store_b32 v[30:31], v0
.LBB1125_190:                           ;   in Loop: Header=BB1125_172 Depth=1
	s_or_b32 exec_lo, exec_lo, s16
	s_waitcnt lgkmcnt(0)
	s_waitcnt_vscnt null, 0x0
	s_barrier
	buffer_gl0_inv
	s_and_saveexec_b32 s16, s5
	s_cbranch_execz .LBB1125_192
; %bb.191:                              ;   in Loop: Header=BB1125_172 Depth=1
	flat_load_b32 v21, v[32:33]
	s_waitcnt vmcnt(0) lgkmcnt(0)
	v_mov_b32_dpp v165, v21 row_shr:1 row_mask:0xf bank_mask:0xf
	s_delay_alu instid0(VALU_DEP_1) | instskip(NEXT) | instid1(VALU_DEP_1)
	v_cndmask_b32_e64 v165, v165, 0, s11
	v_add_nc_u32_e32 v21, v165, v21
	s_delay_alu instid0(VALU_DEP_1) | instskip(NEXT) | instid1(VALU_DEP_1)
	v_mov_b32_dpp v165, v21 row_shr:2 row_mask:0xf bank_mask:0xf
	v_cndmask_b32_e64 v165, 0, v165, s14
	s_delay_alu instid0(VALU_DEP_1) | instskip(NEXT) | instid1(VALU_DEP_1)
	v_add_nc_u32_e32 v21, v21, v165
	v_mov_b32_dpp v165, v21 row_shr:4 row_mask:0xf bank_mask:0xf
	s_delay_alu instid0(VALU_DEP_1) | instskip(NEXT) | instid1(VALU_DEP_1)
	v_cndmask_b32_e64 v165, 0, v165, s15
	v_add_nc_u32_e32 v21, v21, v165
	flat_store_b32 v[32:33], v21
.LBB1125_192:                           ;   in Loop: Header=BB1125_172 Depth=1
	s_or_b32 exec_lo, exec_lo, s16
	v_mov_b32_e32 v21, 0
	s_waitcnt lgkmcnt(0)
	s_waitcnt_vscnt null, 0x0
	s_barrier
	buffer_gl0_inv
	s_and_saveexec_b32 s16, s6
	s_cbranch_execz .LBB1125_194
; %bb.193:                              ;   in Loop: Header=BB1125_172 Depth=1
	flat_load_b32 v21, v[34:35]
.LBB1125_194:                           ;   in Loop: Header=BB1125_172 Depth=1
	s_or_b32 exec_lo, exec_lo, s16
	s_waitcnt vmcnt(0) lgkmcnt(0)
	v_add_nc_u32_e32 v0, v21, v0
	v_add_nc_u32_e32 v10, 8, v10
	s_mov_b32 s18, -1
	ds_bpermute_b32 v0, v193, v0
	s_waitcnt lgkmcnt(0)
	v_cndmask_b32_e64 v0, v0, v21, s7
	s_delay_alu instid0(VALU_DEP_1) | instskip(NEXT) | instid1(VALU_DEP_1)
	v_cndmask_b32_e64 v21, v0, 0, s10
	v_add_nc_u32_e32 v22, v21, v22
	s_delay_alu instid0(VALU_DEP_1) | instskip(NEXT) | instid1(VALU_DEP_1)
	v_add_nc_u32_e32 v23, v22, v23
	v_add_nc_u32_e32 v24, v23, v24
	s_delay_alu instid0(VALU_DEP_1) | instskip(NEXT) | instid1(VALU_DEP_1)
	v_add_nc_u32_e32 v176, v24, v25
	v_add_nc_u32_e32 v177, v176, v18
	s_delay_alu instid0(VALU_DEP_1) | instskip(SKIP_1) | instid1(VALU_DEP_2)
	v_add_nc_u32_e32 v178, v177, v19
	v_mov_b32_e32 v19, v1
	v_add_nc_u32_e32 v179, v178, v20
	s_clause 0x1
	flat_store_b128 v[4:5], v[21:24] offset:32
	flat_store_b128 v[8:9], v[176:179] offset:16
	v_mov_b32_e32 v21, v1
	s_waitcnt lgkmcnt(0)
	s_waitcnt_vscnt null, 0x0
	s_barrier
	buffer_gl0_inv
	s_clause 0x7
	flat_load_b32 v0, v[102:103]
	flat_load_b32 v18, v[112:113]
	;; [unrolled: 1-line block ×8, first 2 shown]
	v_mov_b32_e32 v25, v1
	v_mov_b32_e32 v23, v1
	;; [unrolled: 1-line block ×5, first 2 shown]
	v_cmp_lt_u32_e64 s16, v10, v11
	s_waitcnt vmcnt(0) lgkmcnt(0)
	s_waitcnt_vscnt null, 0x0
                                        ; implicit-def: $vgpr128_vgpr129
                                        ; implicit-def: $vgpr118_vgpr119
                                        ; implicit-def: $vgpr130_vgpr131
                                        ; implicit-def: $vgpr132_vgpr133
	s_waitcnt vmcnt(7) lgkmcnt(7)
	v_add_nc_u32_e32 v0, v0, v134
	s_waitcnt vmcnt(6) lgkmcnt(6)
	v_add3_u32 v18, v144, v135, v18
	s_waitcnt vmcnt(5) lgkmcnt(5)
	v_add3_u32 v20, v146, v145, v20
	;; [unrolled: 2-line block ×4, first 2 shown]
	v_lshlrev_b64 v[116:117], 3, v[0:1]
	v_lshlrev_b64 v[18:19], 3, v[18:19]
	;; [unrolled: 1-line block ×3, first 2 shown]
	s_waitcnt vmcnt(2) lgkmcnt(2)
	v_add3_u32 v102, v161, v160, v102
	v_lshlrev_b64 v[22:23], 3, v[22:23]
	s_waitcnt vmcnt(1) lgkmcnt(1)
	v_add3_u32 v112, v163, v162, v112
	v_add_co_u32 v150, s17, v12, v116
	s_delay_alu instid0(VALU_DEP_1) | instskip(SKIP_1) | instid1(VALU_DEP_1)
	v_add_co_ci_u32_e64 v151, s17, v13, v117, s17
	v_add_co_u32 v160, s17, v12, v18
	v_add_co_ci_u32_e64 v161, s17, v13, v19, s17
	v_lshlrev_b64 v[24:25], 3, v[24:25]
	v_add_co_u32 v162, s17, v12, v20
	s_delay_alu instid0(VALU_DEP_1) | instskip(SKIP_4) | instid1(VALU_DEP_1)
	v_add_co_ci_u32_e64 v163, s17, v13, v21, s17
	s_waitcnt vmcnt(0) lgkmcnt(0)
	v_add3_u32 v114, v164, v148, v114
	v_lshlrev_b64 v[102:103], 3, v[102:103]
	v_add_co_u32 v164, s17, v12, v22
	v_add_co_ci_u32_e64 v165, s17, v13, v23, s17
	v_lshlrev_b64 v[112:113], 3, v[112:113]
	v_add_co_u32 v166, s17, v12, v24
	s_delay_alu instid0(VALU_DEP_1) | instskip(SKIP_2) | instid1(VALU_DEP_1)
	v_add_co_ci_u32_e64 v167, s17, v13, v25, s17
	v_lshlrev_b64 v[114:115], 3, v[114:115]
	v_add_co_u32 v176, s17, v12, v102
	v_add_co_ci_u32_e64 v177, s17, v13, v103, s17
	v_add_co_u32 v178, s17, v12, v112
	s_delay_alu instid0(VALU_DEP_1) | instskip(SKIP_1) | instid1(VALU_DEP_1)
	v_add_co_ci_u32_e64 v179, s17, v13, v113, s17
	v_add_co_u32 v180, s17, v12, v114
	v_add_co_ci_u32_e64 v181, s17, v13, v115, s17
                                        ; implicit-def: $vgpr22_vgpr23
                                        ; implicit-def: $vgpr24_vgpr25
                                        ; implicit-def: $vgpr112_vgpr113
                                        ; implicit-def: $vgpr116_vgpr117
                                        ; implicit-def: $vgpr134_vgpr135
                                        ; implicit-def: $vgpr18_vgpr19
                                        ; implicit-def: $vgpr20_vgpr21
                                        ; implicit-def: $vgpr148_vgpr149
                                        ; implicit-def: $vgpr102_vgpr103
                                        ; implicit-def: $vgpr114_vgpr115
                                        ; implicit-def: $vgpr144_vgpr145
                                        ; implicit-def: $vgpr146_vgpr147
	s_and_saveexec_b32 s17, s16
	s_cbranch_execz .LBB1125_171
; %bb.195:                              ;   in Loop: Header=BB1125_172 Depth=1
	s_barrier
	buffer_gl0_inv
	s_clause 0x7
	flat_store_b64 v[150:151], v[66:67]
	flat_store_b64 v[160:161], v[82:83]
	;; [unrolled: 1-line block ×8, first 2 shown]
	s_waitcnt lgkmcnt(0)
	s_waitcnt_vscnt null, 0x0
	s_barrier
	buffer_gl0_inv
	s_clause 0x7
	flat_load_b64 v[148:149], v[36:37]
	flat_load_b64 v[102:103], v[36:37] offset:256
	flat_load_b64 v[114:115], v[36:37] offset:512
	;; [unrolled: 1-line block ×7, first 2 shown]
	s_waitcnt vmcnt(0) lgkmcnt(0)
	s_barrier
	buffer_gl0_inv
	s_clause 0x7
	flat_store_b64 v[150:151], v[48:49]
	flat_store_b64 v[160:161], v[38:39]
	;; [unrolled: 1-line block ×8, first 2 shown]
	s_waitcnt lgkmcnt(0)
	s_waitcnt_vscnt null, 0x0
	s_barrier
	buffer_gl0_inv
	s_clause 0x7
	flat_load_b64 v[22:23], v[36:37]
	flat_load_b64 v[24:25], v[36:37] offset:256
	flat_load_b64 v[112:113], v[36:37] offset:512
	;; [unrolled: 1-line block ×7, first 2 shown]
	v_add_nc_u32_e32 v194, -8, v194
	s_xor_b32 s18, exec_lo, -1
	s_waitcnt vmcnt(0) lgkmcnt(0)
	s_barrier
	buffer_gl0_inv
	s_branch .LBB1125_171
.LBB1125_196:
	flat_load_b64 v[14:15], v[4:5]
	s_or_b32 exec_lo, exec_lo, s19
                                        ; implicit-def: $vgpr18_vgpr19
	s_and_saveexec_b32 s19, s0
	s_cbranch_execz .LBB1125_36
.LBB1125_197:
	flat_load_b64 v[18:19], v[4:5] offset:256
	s_or_b32 exec_lo, exec_lo, s19
                                        ; implicit-def: $vgpr164_vgpr165
	s_and_saveexec_b32 s0, s1
	s_cbranch_execz .LBB1125_37
.LBB1125_198:
	flat_load_b64 v[164:165], v[4:5] offset:512
	s_or_b32 exec_lo, exec_lo, s0
                                        ; implicit-def: $vgpr16_vgpr17
	s_and_saveexec_b32 s0, s2
	s_cbranch_execz .LBB1125_38
.LBB1125_199:
	flat_load_b64 v[16:17], v[4:5] offset:768
	s_or_b32 exec_lo, exec_lo, s0
                                        ; implicit-def: $vgpr20_vgpr21
	s_and_saveexec_b32 s0, s3
	s_cbranch_execz .LBB1125_39
.LBB1125_200:
	flat_load_b64 v[20:21], v[4:5] offset:1024
	s_or_b32 exec_lo, exec_lo, s0
                                        ; implicit-def: $vgpr166_vgpr167
	s_and_saveexec_b32 s0, s4
	s_cbranch_execz .LBB1125_40
.LBB1125_201:
	flat_load_b64 v[166:167], v[4:5] offset:1280
	s_or_b32 exec_lo, exec_lo, s0
                                        ; implicit-def: $vgpr176_vgpr177
	s_and_saveexec_b32 s0, s5
	s_cbranch_execz .LBB1125_41
.LBB1125_202:
	flat_load_b64 v[176:177], v[4:5] offset:1536
	s_or_b32 exec_lo, exec_lo, s0
                                        ; implicit-def: $vgpr178_vgpr179
	s_and_saveexec_b32 s0, s6
	s_cbranch_execz .LBB1125_42
.LBB1125_203:
	flat_load_b64 v[178:179], v[4:5] offset:1792
	s_or_b32 exec_lo, exec_lo, s0
                                        ; implicit-def: $vgpr180_vgpr181
	s_and_saveexec_b32 s0, s7
	s_cbranch_execz .LBB1125_43
.LBB1125_204:
	flat_load_b64 v[180:181], v[4:5] offset:2048
	s_or_b32 exec_lo, exec_lo, s0
                                        ; implicit-def: $vgpr182_vgpr183
	s_and_saveexec_b32 s0, s10
	s_cbranch_execz .LBB1125_44
.LBB1125_205:
	flat_load_b64 v[182:183], v[4:5] offset:2304
	s_or_b32 exec_lo, exec_lo, s0
                                        ; implicit-def: $vgpr192_vgpr193
	s_and_saveexec_b32 s0, s11
	s_cbranch_execz .LBB1125_45
.LBB1125_206:
	flat_load_b64 v[192:193], v[4:5] offset:2560
	s_or_b32 exec_lo, exec_lo, s0
                                        ; implicit-def: $vgpr194_vgpr195
	s_and_saveexec_b32 s0, s14
	s_cbranch_execz .LBB1125_46
.LBB1125_207:
	flat_load_b64 v[194:195], v[4:5] offset:2816
	s_or_b32 exec_lo, exec_lo, s0
                                        ; implicit-def: $vgpr196_vgpr197
	s_and_saveexec_b32 s0, s15
	s_cbranch_execz .LBB1125_47
.LBB1125_208:
	flat_load_b64 v[196:197], v[4:5] offset:3072
	s_or_b32 exec_lo, exec_lo, s0
                                        ; implicit-def: $vgpr210_vgpr211
	s_and_saveexec_b32 s0, s16
	s_cbranch_execz .LBB1125_48
.LBB1125_209:
	flat_load_b64 v[210:211], v[4:5] offset:3328
	s_or_b32 exec_lo, exec_lo, s0
                                        ; implicit-def: $vgpr226_vgpr227
	s_and_saveexec_b32 s0, s17
	s_cbranch_execz .LBB1125_49
.LBB1125_210:
	flat_load_b64 v[226:227], v[4:5] offset:3584
	s_or_b32 exec_lo, exec_lo, s0
                                        ; implicit-def: $vgpr228_vgpr229
	s_and_saveexec_b32 s0, s18
	s_cbranch_execnz .LBB1125_50
	s_branch .LBB1125_51
.LBB1125_211:
	flat_store_b64 v[2:3], v[38:39]
	s_or_b32 exec_lo, exec_lo, s19
	s_and_saveexec_b32 s19, s0
	s_cbranch_execz .LBB1125_127
.LBB1125_212:
	flat_store_b64 v[2:3], v[36:37] offset:2048
	s_or_b32 exec_lo, exec_lo, s19
	s_and_saveexec_b32 s0, s1
	s_cbranch_execz .LBB1125_128
.LBB1125_213:
	v_add_co_u32 v6, vcc_lo, 0x1000, v2
	v_add_co_ci_u32_e32 v7, vcc_lo, 0, v3, vcc_lo
	flat_store_b64 v[6:7], v[34:35]
	s_or_b32 exec_lo, exec_lo, s0
	s_and_saveexec_b32 s0, s2
	s_cbranch_execz .LBB1125_129
.LBB1125_214:
	v_add_co_u32 v6, vcc_lo, 0x1000, v2
	v_add_co_ci_u32_e32 v7, vcc_lo, 0, v3, vcc_lo
	flat_store_b64 v[6:7], v[32:33] offset:2048
	s_or_b32 exec_lo, exec_lo, s0
	s_and_saveexec_b32 s0, s3
	s_cbranch_execz .LBB1125_130
.LBB1125_215:
	v_add_co_u32 v6, vcc_lo, 0x2000, v2
	v_add_co_ci_u32_e32 v7, vcc_lo, 0, v3, vcc_lo
	flat_store_b64 v[6:7], v[30:31]
	s_or_b32 exec_lo, exec_lo, s0
	s_and_saveexec_b32 s0, s4
	s_cbranch_execz .LBB1125_131
.LBB1125_216:
	v_add_co_u32 v6, vcc_lo, 0x2000, v2
	v_add_co_ci_u32_e32 v7, vcc_lo, 0, v3, vcc_lo
	flat_store_b64 v[6:7], v[28:29] offset:2048
	s_or_b32 exec_lo, exec_lo, s0
	s_and_saveexec_b32 s0, s5
	s_cbranch_execz .LBB1125_132
.LBB1125_217:
	v_add_co_u32 v6, vcc_lo, 0x3000, v2
	v_add_co_ci_u32_e32 v7, vcc_lo, 0, v3, vcc_lo
	flat_store_b64 v[6:7], v[26:27]
	s_or_b32 exec_lo, exec_lo, s0
	s_and_saveexec_b32 s0, s6
	s_cbranch_execz .LBB1125_133
.LBB1125_218:
	v_add_co_u32 v6, vcc_lo, 0x3000, v2
	v_add_co_ci_u32_e32 v7, vcc_lo, 0, v3, vcc_lo
	flat_store_b64 v[6:7], v[20:21] offset:2048
	s_or_b32 exec_lo, exec_lo, s0
	s_and_saveexec_b32 s0, s7
	s_cbranch_execz .LBB1125_134
.LBB1125_219:
	v_add_co_u32 v6, vcc_lo, 0x4000, v2
	v_add_co_ci_u32_e32 v7, vcc_lo, 0, v3, vcc_lo
	flat_store_b64 v[6:7], v[18:19]
	s_or_b32 exec_lo, exec_lo, s0
	s_and_saveexec_b32 s0, s10
	s_cbranch_execz .LBB1125_135
.LBB1125_220:
	v_add_co_u32 v6, vcc_lo, 0x4000, v2
	v_add_co_ci_u32_e32 v7, vcc_lo, 0, v3, vcc_lo
	flat_store_b64 v[6:7], v[16:17] offset:2048
	s_or_b32 exec_lo, exec_lo, s0
	s_and_saveexec_b32 s0, s11
	s_cbranch_execz .LBB1125_136
.LBB1125_221:
	v_add_co_u32 v6, vcc_lo, 0x5000, v2
	v_add_co_ci_u32_e32 v7, vcc_lo, 0, v3, vcc_lo
	flat_store_b64 v[6:7], v[14:15]
	s_or_b32 exec_lo, exec_lo, s0
	s_and_saveexec_b32 s0, s14
	s_cbranch_execz .LBB1125_137
.LBB1125_222:
	v_add_co_u32 v6, vcc_lo, 0x5000, v2
	v_add_co_ci_u32_e32 v7, vcc_lo, 0, v3, vcc_lo
	flat_store_b64 v[6:7], v[12:13] offset:2048
	s_or_b32 exec_lo, exec_lo, s0
	s_and_saveexec_b32 s0, s15
	s_cbranch_execz .LBB1125_138
.LBB1125_223:
	v_add_co_u32 v6, vcc_lo, 0x6000, v2
	v_add_co_ci_u32_e32 v7, vcc_lo, 0, v3, vcc_lo
	flat_store_b64 v[6:7], v[10:11]
	s_or_b32 exec_lo, exec_lo, s0
	s_and_saveexec_b32 s0, s16
	s_cbranch_execz .LBB1125_139
.LBB1125_224:
	v_add_co_u32 v6, vcc_lo, 0x6000, v2
	v_add_co_ci_u32_e32 v7, vcc_lo, 0, v3, vcc_lo
	flat_store_b64 v[6:7], v[8:9] offset:2048
	s_or_b32 exec_lo, exec_lo, s0
	s_and_saveexec_b32 s0, s17
	s_cbranch_execz .LBB1125_140
.LBB1125_225:
	v_add_co_u32 v6, vcc_lo, 0x7000, v2
	v_add_co_ci_u32_e32 v7, vcc_lo, 0, v3, vcc_lo
	flat_store_b64 v[6:7], v[4:5]
	s_or_b32 exec_lo, exec_lo, s0
	s_and_saveexec_b32 s0, s18
	s_cbranch_execnz .LBB1125_141
	s_branch .LBB1125_142
.LBB1125_226:
	s_or_b32 exec_lo, exec_lo, s20
	v_lshlrev_b32_e32 v0, 3, v26
	v_lshl_or_b32 v8, v26, 3, 0x2000
	s_barrier
	buffer_gl0_inv
	s_clause 0x7
	flat_store_b64 v[150:151], v[66:67]
	flat_store_b64 v[160:161], v[82:83]
	;; [unrolled: 1-line block ×8, first 2 shown]
	v_add_co_u32 v0, vcc_lo, v12, v0
	v_add_co_ci_u32_e32 v1, vcc_lo, 0, v13, vcc_lo
	s_waitcnt lgkmcnt(0)
	s_waitcnt_vscnt null, 0x0
	s_delay_alu instid0(VALU_DEP_2) | instskip(NEXT) | instid1(VALU_DEP_2)
	v_add_co_u32 v4, vcc_lo, 0x1000, v0
	v_add_co_ci_u32_e32 v5, vcc_lo, 0, v1, vcc_lo
	v_add_co_u32 v8, vcc_lo, v12, v8
	v_add_co_ci_u32_e32 v9, vcc_lo, 0, v13, vcc_lo
	;; [unrolled: 2-line block ×3, first 2 shown]
	v_add_co_u32 v84, vcc_lo, 0x3000, v0
	s_barrier
	buffer_gl0_inv
	v_add_co_ci_u32_e32 v85, vcc_lo, 0, v1, vcc_lo
	s_clause 0x7
	flat_load_b64 v[82:83], v[0:1]
	flat_load_b64 v[80:81], v[0:1] offset:2048
	flat_load_b64 v[66:67], v[4:5]
	flat_load_b64 v[35:36], v[4:5] offset:2048
	flat_load_b64 v[33:34], v[8:9]
	flat_load_b64 v[31:32], v[22:23] offset:2048
	flat_load_b64 v[24:25], v[84:85]
	flat_load_b64 v[20:21], v[84:85] offset:2048
	s_waitcnt vmcnt(0) lgkmcnt(0)
	s_barrier
	buffer_gl0_inv
	s_clause 0x7
	flat_store_b64 v[150:151], v[48:49]
	flat_store_b64 v[160:161], v[38:39]
	;; [unrolled: 1-line block ×8, first 2 shown]
	s_waitcnt lgkmcnt(0)
	s_waitcnt_vscnt null, 0x0
	s_barrier
	buffer_gl0_inv
	s_clause 0x7
	flat_load_b64 v[18:19], v[0:1]
	flat_load_b64 v[16:17], v[0:1] offset:2048
	flat_load_b64 v[14:15], v[4:5]
	flat_load_b64 v[12:13], v[4:5] offset:2048
	;; [unrolled: 2-line block ×4, first 2 shown]
	v_mov_b32_e32 v30, 0
	v_add_co_u32 v2, vcc_lo, v2, v27
	v_add_co_ci_u32_e32 v3, vcc_lo, v3, v28, vcc_lo
	s_delay_alu instid0(VALU_DEP_3)
	v_lshlrev_b64 v[22:23], 3, v[29:30]
	s_waitcnt vmcnt(0) lgkmcnt(0)
	s_barrier
	buffer_gl0_inv
	v_add_co_u32 v2, vcc_lo, v2, v22
	v_add_co_ci_u32_e32 v3, vcc_lo, v3, v23, vcc_lo
	v_cmp_lt_u32_e32 vcc_lo, v29, v47
	s_and_saveexec_b32 s1, vcc_lo
	s_cbranch_execz .LBB1125_228
; %bb.227:
	v_cmp_gt_i64_e64 s0, 0, v[82:83]
	v_ashrrev_i32_e32 v26, 31, v83
	s_delay_alu instid0(VALU_DEP_1) | instskip(NEXT) | instid1(VALU_DEP_3)
	v_not_b32_e32 v26, v26
	v_cndmask_b32_e64 v30, 0x7fffffff, 0, s0
	s_delay_alu instid0(VALU_DEP_2) | instskip(NEXT) | instid1(VALU_DEP_2)
	v_xor_b32_e32 v37, v26, v82
	v_xor_b32_e32 v38, v30, v83
	flat_store_b64 v[2:3], v[37:38]
.LBB1125_228:
	s_or_b32 exec_lo, exec_lo, s1
	v_add_nc_u32_e32 v26, 0x100, v29
	s_delay_alu instid0(VALU_DEP_1) | instskip(NEXT) | instid1(VALU_DEP_1)
	v_cmp_lt_u32_e64 s0, v26, v47
	s_and_saveexec_b32 s2, s0
	s_cbranch_execz .LBB1125_230
; %bb.229:
	v_cmp_gt_i64_e64 s1, 0, v[80:81]
	v_ashrrev_i32_e32 v26, 31, v81
	s_delay_alu instid0(VALU_DEP_1) | instskip(NEXT) | instid1(VALU_DEP_3)
	v_not_b32_e32 v26, v26
	v_cndmask_b32_e64 v30, 0x7fffffff, 0, s1
	s_delay_alu instid0(VALU_DEP_2) | instskip(NEXT) | instid1(VALU_DEP_2)
	v_xor_b32_e32 v37, v26, v80
	v_xor_b32_e32 v38, v30, v81
	flat_store_b64 v[2:3], v[37:38] offset:2048
.LBB1125_230:
	s_or_b32 exec_lo, exec_lo, s2
	v_add_nc_u32_e32 v26, 0x200, v29
	s_delay_alu instid0(VALU_DEP_1) | instskip(NEXT) | instid1(VALU_DEP_1)
	v_cmp_lt_u32_e64 s1, v26, v47
	s_and_saveexec_b32 s3, s1
	s_cbranch_execz .LBB1125_232
; %bb.231:
	v_cmp_gt_i64_e64 s2, 0, v[66:67]
	v_ashrrev_i32_e32 v26, 31, v67
	s_delay_alu instid0(VALU_DEP_1) | instskip(NEXT) | instid1(VALU_DEP_3)
	v_not_b32_e32 v26, v26
	v_cndmask_b32_e64 v30, 0x7fffffff, 0, s2
	v_add_co_u32 v48, s2, 0x1000, v2
	s_delay_alu instid0(VALU_DEP_1) | instskip(NEXT) | instid1(VALU_DEP_3)
	v_add_co_ci_u32_e64 v49, s2, 0, v3, s2
	v_xor_b32_e32 v38, v30, v67
	v_xor_b32_e32 v37, v26, v66
	flat_store_b64 v[48:49], v[37:38]
.LBB1125_232:
	s_or_b32 exec_lo, exec_lo, s3
	v_add_nc_u32_e32 v26, 0x300, v29
	s_delay_alu instid0(VALU_DEP_1) | instskip(NEXT) | instid1(VALU_DEP_1)
	v_cmp_lt_u32_e64 s2, v26, v47
	s_and_saveexec_b32 s4, s2
	s_cbranch_execz .LBB1125_234
; %bb.233:
	v_cmp_gt_i64_e64 s3, 0, v[35:36]
	v_ashrrev_i32_e32 v26, 31, v36
	s_delay_alu instid0(VALU_DEP_1) | instskip(NEXT) | instid1(VALU_DEP_3)
	v_not_b32_e32 v26, v26
	v_cndmask_b32_e64 v30, 0x7fffffff, 0, s3
	v_add_co_u32 v37, s3, 0x1000, v2
	s_delay_alu instid0(VALU_DEP_1) | instskip(NEXT) | instid1(VALU_DEP_3)
	v_add_co_ci_u32_e64 v38, s3, 0, v3, s3
	v_xor_b32_e32 v36, v30, v36
	v_xor_b32_e32 v35, v26, v35
	flat_store_b64 v[37:38], v[35:36] offset:2048
.LBB1125_234:
	s_or_b32 exec_lo, exec_lo, s4
	v_add_nc_u32_e32 v26, 0x400, v29
	s_delay_alu instid0(VALU_DEP_1) | instskip(NEXT) | instid1(VALU_DEP_1)
	v_cmp_lt_u32_e64 s3, v26, v47
	s_and_saveexec_b32 s5, s3
	s_cbranch_execz .LBB1125_236
; %bb.235:
	v_cmp_gt_i64_e64 s4, 0, v[33:34]
	v_ashrrev_i32_e32 v26, 31, v34
	s_delay_alu instid0(VALU_DEP_1) | instskip(NEXT) | instid1(VALU_DEP_3)
	v_not_b32_e32 v26, v26
	v_cndmask_b32_e64 v30, 0x7fffffff, 0, s4
	v_add_co_u32 v35, s4, 0x2000, v2
	s_delay_alu instid0(VALU_DEP_1) | instskip(NEXT) | instid1(VALU_DEP_3)
	v_add_co_ci_u32_e64 v36, s4, 0, v3, s4
	v_xor_b32_e32 v34, v30, v34
	v_xor_b32_e32 v33, v26, v33
	flat_store_b64 v[35:36], v[33:34]
.LBB1125_236:
	s_or_b32 exec_lo, exec_lo, s5
	v_add_nc_u32_e32 v26, 0x500, v29
	s_delay_alu instid0(VALU_DEP_1) | instskip(NEXT) | instid1(VALU_DEP_1)
	v_cmp_lt_u32_e64 s4, v26, v47
	s_and_saveexec_b32 s6, s4
	s_cbranch_execz .LBB1125_238
; %bb.237:
	v_cmp_gt_i64_e64 s5, 0, v[31:32]
	v_ashrrev_i32_e32 v26, 31, v32
	s_delay_alu instid0(VALU_DEP_1) | instskip(NEXT) | instid1(VALU_DEP_3)
	v_not_b32_e32 v26, v26
	v_cndmask_b32_e64 v30, 0x7fffffff, 0, s5
	v_add_co_u32 v33, s5, 0x2000, v2
	s_delay_alu instid0(VALU_DEP_1) | instskip(NEXT) | instid1(VALU_DEP_3)
	v_add_co_ci_u32_e64 v34, s5, 0, v3, s5
	v_xor_b32_e32 v32, v30, v32
	v_xor_b32_e32 v31, v26, v31
	flat_store_b64 v[33:34], v[31:32] offset:2048
.LBB1125_238:
	s_or_b32 exec_lo, exec_lo, s6
	v_add_nc_u32_e32 v26, 0x600, v29
	s_delay_alu instid0(VALU_DEP_1) | instskip(NEXT) | instid1(VALU_DEP_1)
	v_cmp_lt_u32_e64 s5, v26, v47
	s_and_saveexec_b32 s7, s5
	s_cbranch_execz .LBB1125_240
; %bb.239:
	v_cmp_gt_i64_e64 s6, 0, v[24:25]
	v_ashrrev_i32_e32 v26, 31, v25
	s_delay_alu instid0(VALU_DEP_1) | instskip(NEXT) | instid1(VALU_DEP_3)
	v_not_b32_e32 v26, v26
	v_cndmask_b32_e64 v30, 0x7fffffff, 0, s6
	s_delay_alu instid0(VALU_DEP_2) | instskip(NEXT) | instid1(VALU_DEP_2)
	v_xor_b32_e32 v24, v26, v24
	v_xor_b32_e32 v25, v30, v25
	v_add_co_u32 v30, s6, 0x3000, v2
	s_delay_alu instid0(VALU_DEP_1)
	v_add_co_ci_u32_e64 v31, s6, 0, v3, s6
	flat_store_b64 v[30:31], v[24:25]
.LBB1125_240:
	s_or_b32 exec_lo, exec_lo, s7
	v_add_nc_u32_e32 v24, 0x700, v29
	s_delay_alu instid0(VALU_DEP_1) | instskip(NEXT) | instid1(VALU_DEP_1)
	v_cmp_lt_u32_e64 s6, v24, v47
	s_and_saveexec_b32 s10, s6
	s_cbranch_execz .LBB1125_242
; %bb.241:
	v_cmp_gt_i64_e64 s7, 0, v[20:21]
	v_ashrrev_i32_e32 v24, 31, v21
	s_delay_alu instid0(VALU_DEP_1) | instskip(NEXT) | instid1(VALU_DEP_3)
	v_not_b32_e32 v24, v24
	v_cndmask_b32_e64 v25, 0x7fffffff, 0, s7
	v_add_co_u32 v2, s7, 0x3000, v2
	s_delay_alu instid0(VALU_DEP_1) | instskip(NEXT) | instid1(VALU_DEP_3)
	v_add_co_ci_u32_e64 v3, s7, 0, v3, s7
	v_xor_b32_e32 v21, v25, v21
	v_xor_b32_e32 v20, v24, v20
	flat_store_b64 v[2:3], v[20:21] offset:2048
.LBB1125_242:
	s_or_b32 exec_lo, exec_lo, s10
	v_add_co_u32 v2, s7, v6, v27
	s_delay_alu instid0(VALU_DEP_1) | instskip(NEXT) | instid1(VALU_DEP_2)
	v_add_co_ci_u32_e64 v3, s7, v7, v28, s7
	v_add_co_u32 v2, s7, v2, v22
	s_delay_alu instid0(VALU_DEP_1)
	v_add_co_ci_u32_e64 v3, s7, v3, v23, s7
	s_and_saveexec_b32 s7, vcc_lo
	s_cbranch_execnz .LBB1125_292
; %bb.243:
	s_or_b32 exec_lo, exec_lo, s7
	s_and_saveexec_b32 s7, s0
	s_cbranch_execnz .LBB1125_293
.LBB1125_244:
	s_or_b32 exec_lo, exec_lo, s7
	s_and_saveexec_b32 s0, s1
	s_cbranch_execnz .LBB1125_294
.LBB1125_245:
	s_or_b32 exec_lo, exec_lo, s0
	s_and_saveexec_b32 s0, s2
	s_cbranch_execnz .LBB1125_295
.LBB1125_246:
	s_or_b32 exec_lo, exec_lo, s0
	s_and_saveexec_b32 s0, s3
	s_cbranch_execnz .LBB1125_296
.LBB1125_247:
	s_or_b32 exec_lo, exec_lo, s0
	s_and_saveexec_b32 s0, s4
	s_cbranch_execnz .LBB1125_297
.LBB1125_248:
	s_or_b32 exec_lo, exec_lo, s0
	s_and_saveexec_b32 s0, s5
	s_cbranch_execnz .LBB1125_298
.LBB1125_249:
	s_or_b32 exec_lo, exec_lo, s0
	s_and_saveexec_b32 s0, s6
	s_cbranch_execz .LBB1125_251
.LBB1125_250:
	v_add_co_u32 v2, vcc_lo, 0x3000, v2
	v_add_co_ci_u32_e32 v3, vcc_lo, 0, v3, vcc_lo
	flat_store_b64 v[2:3], v[0:1] offset:2048
.LBB1125_251:
	s_or_b32 exec_lo, exec_lo, s0
                                        ; implicit-def: $vgpr47
                                        ; implicit-def: $vgpr0
                                        ; implicit-def: $vgpr1
                                        ; implicit-def: $vgpr2
                                        ; implicit-def: $vgpr3
                                        ; implicit-def: $vgpr4
                                        ; implicit-def: $vgpr5
                                        ; implicit-def: $vgpr6
                                        ; implicit-def: $vgpr7
                                        ; implicit-def: $vgpr8
                                        ; implicit-def: $vgpr10
                                        ; implicit-def: $vgpr11
                                        ; implicit-def: $vgpr12
                                        ; implicit-def: $vgpr13
                                        ; implicit-def: $vgpr14
                                        ; implicit-def: $vgpr15
                                        ; implicit-def: $vgpr26
                                        ; implicit-def: $vgpr96
.LBB1125_252:
	s_and_not1_saveexec_b32 s0, s19
	s_cbranch_execz .LBB1125_372
; %bb.253:
	s_mov_b32 s0, exec_lo
	v_cmpx_lt_u32_e32 0x200, v47
	s_xor_b32 s19, exec_lo, s0
	s_cbranch_execz .LBB1125_313
; %bb.254:
	s_load_b64 s[0:1], s[8:9], 0x0
	v_dual_mov_b32 v9, 0 :: v_dual_lshlrev_b32 v22, 3, v96
	s_mov_b32 s36, -1
	s_delay_alu instid0(SALU_CYCLE_1)
	s_mov_b32 s37, s36
	s_mov_b32 s38, s36
	;; [unrolled: 1-line block ×4, first 2 shown]
	v_lshlrev_b64 v[29:30], 3, v[8:9]
	s_mov_b32 s41, s36
	s_mov_b32 s42, s36
	;; [unrolled: 1-line block ×3, first 2 shown]
	s_waitcnt lgkmcnt(0)
	s_cmp_lt_u32 s13, s1
	s_cselect_b32 s1, 14, 20
	s_delay_alu instid0(SALU_CYCLE_1) | instskip(SKIP_4) | instid1(SALU_CYCLE_1)
	s_add_u32 s2, s8, s1
	s_addc_u32 s3, s9, 0
	s_cmp_lt_u32 s12, s0
	global_load_u16 v16, v9, s[2:3]
	s_cselect_b32 s0, 12, 18
	s_add_u32 s0, s8, s0
	s_addc_u32 s1, s9, 0
	global_load_u16 v17, v9, s[0:1]
	s_waitcnt vmcnt(1)
	v_mad_u32_u24 v14, v15, v16, v14
	s_waitcnt vmcnt(0)
	s_delay_alu instid0(VALU_DEP_1) | instskip(NEXT) | instid1(VALU_DEP_1)
	v_mad_u64_u32 v[27:28], null, v14, v17, v[26:27]
	v_lshlrev_b32_e32 v14, 2, v27
	s_delay_alu instid0(VALU_DEP_1) | instskip(SKIP_2) | instid1(VALU_DEP_3)
	v_and_b32_e32 v8, 0xffffff80, v14
	v_add_co_u32 v14, vcc_lo, v0, v29
	v_add_co_ci_u32_e32 v15, vcc_lo, v1, v30, vcc_lo
	v_lshlrev_b64 v[0:1], 3, v[8:9]
	v_or_b32_e32 v23, v8, v96
	s_delay_alu instid0(VALU_DEP_4) | instskip(NEXT) | instid1(VALU_DEP_4)
	v_add_co_u32 v8, vcc_lo, v14, v22
	v_add_co_ci_u32_e32 v9, vcc_lo, 0, v15, vcc_lo
	v_dual_mov_b32 v14, s36 :: v_dual_mov_b32 v19, s41
	s_delay_alu instid0(VALU_DEP_3) | instskip(SKIP_1) | instid1(VALU_DEP_4)
	v_add_co_u32 v8, s0, v8, v0
	v_cmp_lt_u32_e32 vcc_lo, v23, v47
	v_add_co_ci_u32_e64 v9, s0, v9, v1, s0
	v_dual_mov_b32 v15, s37 :: v_dual_mov_b32 v16, s38
	v_mov_b32_e32 v21, s43
	v_dual_mov_b32 v17, s39 :: v_dual_mov_b32 v18, s40
	v_mov_b32_e32 v20, s42
	s_and_saveexec_b32 s0, vcc_lo
	s_cbranch_execz .LBB1125_256
; %bb.255:
	flat_load_b64 v[14:15], v[8:9]
	v_mov_b32_e32 v16, -1
	s_delay_alu instid0(VALU_DEP_1)
	v_mov_b32_e32 v17, v16
	v_mov_b32_e32 v18, v16
	;; [unrolled: 1-line block ×5, first 2 shown]
.LBB1125_256:
	s_or_b32 exec_lo, exec_lo, s0
	v_or_b32_e32 v24, 32, v23
	s_delay_alu instid0(VALU_DEP_1) | instskip(NEXT) | instid1(VALU_DEP_1)
	v_cmp_lt_u32_e64 s0, v24, v47
	s_and_saveexec_b32 s1, s0
	s_cbranch_execz .LBB1125_258
; %bb.257:
	flat_load_b64 v[16:17], v[8:9] offset:256
.LBB1125_258:
	s_or_b32 exec_lo, exec_lo, s1
	v_or_b32_e32 v24, 64, v23
	s_delay_alu instid0(VALU_DEP_1) | instskip(NEXT) | instid1(VALU_DEP_1)
	v_cmp_lt_u32_e64 s1, v24, v47
	s_and_saveexec_b32 s2, s1
	s_cbranch_execz .LBB1125_260
; %bb.259:
	flat_load_b64 v[18:19], v[8:9] offset:512
.LBB1125_260:
	;; [unrolled: 9-line block ×3, first 2 shown]
	s_or_b32 exec_lo, exec_lo, s3
	v_add_co_u32 v4, s3, v4, v29
	s_delay_alu instid0(VALU_DEP_1) | instskip(NEXT) | instid1(VALU_DEP_2)
	v_add_co_ci_u32_e64 v5, s3, v5, v30, s3
	v_add_co_u32 v4, s3, v4, v22
	s_delay_alu instid0(VALU_DEP_1) | instskip(NEXT) | instid1(VALU_DEP_2)
	v_add_co_ci_u32_e64 v5, s3, 0, v5, s3
                                        ; implicit-def: $vgpr22_vgpr23
	v_add_co_u32 v0, s3, v4, v0
	s_delay_alu instid0(VALU_DEP_1)
	v_add_co_ci_u32_e64 v1, s3, v5, v1, s3
	s_and_saveexec_b32 s3, vcc_lo
	s_cbranch_execnz .LBB1125_337
; %bb.263:
	s_or_b32 exec_lo, exec_lo, s3
                                        ; implicit-def: $vgpr24_vgpr25
	s_and_saveexec_b32 s3, s0
	s_cbranch_execnz .LBB1125_338
.LBB1125_264:
	s_or_b32 exec_lo, exec_lo, s3
                                        ; implicit-def: $vgpr80_vgpr81
	s_and_saveexec_b32 s0, s1
	s_cbranch_execnz .LBB1125_339
.LBB1125_265:
	s_or_b32 exec_lo, exec_lo, s0
                                        ; implicit-def: $vgpr82_vgpr83
	s_and_saveexec_b32 s0, s2
	s_cbranch_execz .LBB1125_267
.LBB1125_266:
	flat_load_b64 v[82:83], v[0:1] offset:768
.LBB1125_267:
	s_or_b32 exec_lo, exec_lo, s0
	s_waitcnt vmcnt(0) lgkmcnt(0)
	v_cmp_gt_i64_e32 vcc_lo, 0, v[14:15]
	v_ashrrev_i32_e32 v0, 31, v15
	v_ashrrev_i32_e32 v4, 31, v17
	s_mov_b32 s20, 0
	s_getpc_b64 s[0:1]
	s_add_u32 s0, s0, _ZN7rocprim17ROCPRIM_400000_NS16block_radix_sortIdLj256ELj4ElLj1ELj1ELj8ELNS0_26block_radix_rank_algorithmE2ELNS0_18block_padding_hintE2ELNS0_4arch9wavefront6targetE0EE19radix_bits_per_passE@rel32@lo+4
	s_addc_u32 s1, s1, _ZN7rocprim17ROCPRIM_400000_NS16block_radix_sortIdLj256ELj4ElLj1ELj1ELj8ELNS0_26block_radix_rank_algorithmE2ELNS0_18block_padding_hintE2ELNS0_4arch9wavefront6targetE0EE19radix_bits_per_passE@rel32@hi+12
	s_mov_b32 s21, s20
	v_cndmask_b32_e64 v1, 0x7fffffff, 0, vcc_lo
	v_cmp_gt_i64_e32 vcc_lo, 0, v[16:17]
	v_not_b32_e32 v0, v0
	v_not_b32_e32 v4, v4
	s_mov_b32 s22, s20
	v_xor_b32_e32 v87, v1, v15
	v_ashrrev_i32_e32 v1, 31, v21
	v_cndmask_b32_e64 v5, 0x7fffffff, 0, vcc_lo
	v_xor_b32_e32 v86, v0, v14
	v_ashrrev_i32_e32 v0, 31, v19
	v_cmp_gt_i64_e32 vcc_lo, 0, v[18:19]
	v_xor_b32_e32 v84, v4, v16
	v_not_b32_e32 v1, v1
	v_xor_b32_e32 v85, v5, v17
	v_not_b32_e32 v0, v0
	s_mov_b32 s23, s20
	v_cndmask_b32_e64 v4, 0x7fffffff, 0, vcc_lo
	v_cmp_gt_i64_e32 vcc_lo, 0, v[20:21]
	v_and_b32_e32 v15, 0x3e0, v26
	v_xor_b32_e32 v18, v0, v18
	v_lshlrev_b32_e32 v0, 5, v26
	v_xor_b32_e32 v19, v4, v19
	v_xor_b32_e32 v20, v1, v20
	v_mov_b32_e32 v1, 0
	v_cndmask_b32_e64 v5, 0x7fffffff, 0, vcc_lo
	v_add_co_u32 v28, vcc_lo, v12, 32
	v_add_co_ci_u32_e32 v39, vcc_lo, 0, v13, vcc_lo
	v_add_co_u32 v4, vcc_lo, v12, v0
	s_delay_alu instid0(VALU_DEP_4)
	v_xor_b32_e32 v21, v5, v21
	v_add_co_ci_u32_e32 v5, vcc_lo, 0, v13, vcc_lo
	v_add_nc_u32_e32 v16, -1, v96
	v_add_co_u32 v8, vcc_lo, v28, v0
	v_min_u32_e32 v0, 0xe0, v15
	v_and_b32_e32 v15, 16, v96
	v_and_b32_e32 v14, 15, v96
	v_cmp_gt_i32_e64 s4, 0, v16
	v_add_co_ci_u32_e32 v9, vcc_lo, 0, v39, vcc_lo
	v_or_b32_e32 v0, 31, v0
	v_cmp_eq_u32_e64 s3, 0, v15
	v_lshrrev_b32_e32 v15, 5, v26
	s_load_b32 s24, s[0:1], 0x0
	v_cmp_eq_u32_e32 vcc_lo, 0, v14
	v_cmp_lt_u32_e64 s0, 1, v14
	v_cmp_lt_u32_e64 s1, 3, v14
	;; [unrolled: 1-line block ×3, first 2 shown]
	v_cndmask_b32_e64 v14, v16, v96, s4
	v_cmp_eq_u32_e64 s4, v0, v26
	v_lshlrev_b32_e32 v0, 2, v15
	v_and_b32_e32 v16, 7, v96
	v_lshrrev_b32_e32 v112, 5, v27
	v_lshlrev_b32_e32 v113, 2, v14
	v_lshlrev_b32_e32 v14, 2, v26
	v_add_co_u32 v31, s11, v12, v0
	v_add_nc_u32_e32 v0, -1, v15
	v_add_co_ci_u32_e64 v32, s11, 0, v13, s11
	s_delay_alu instid0(VALU_DEP_4) | instskip(SKIP_1) | instid1(VALU_DEP_4)
	v_and_or_b32 v17, 0xf80, v14, v96
	v_add_co_u32 v33, s11, v12, v14
	v_lshlrev_b64 v[14:15], 2, v[0:1]
	v_add_co_ci_u32_e64 v34, s11, 0, v13, s11
	s_delay_alu instid0(VALU_DEP_4) | instskip(SKIP_3) | instid1(VALU_DEP_1)
	v_lshlrev_b32_e32 v0, 3, v17
	v_cmp_eq_u32_e64 s11, 0, v16
	v_cmp_lt_u32_e64 s14, 1, v16
	v_add_co_u32 v35, s16, v12, v14
	v_add_co_ci_u32_e64 v36, s16, v13, v15, s16
	v_add_co_u32 v37, s16, v12, v0
	v_cmp_lt_u32_e64 s15, 3, v16
	v_mov_b32_e32 v14, s20
	v_cmp_gt_u32_e64 s5, 8, v26
	v_cmp_lt_u32_e64 s6, 31, v26
	v_cmp_eq_u32_e64 s7, 0, v96
	v_cmp_eq_u32_e64 s10, 0, v26
	v_add_co_ci_u32_e64 v38, s16, 0, v13, s16
	v_sub_nc_u32_e32 v114, v11, v10
	v_dual_mov_b32 v15, s21 :: v_dual_mov_b32 v16, s22
	v_mov_b32_e32 v17, s23
	s_brev_b32 s23, 1
	s_waitcnt lgkmcnt(0)
	s_waitcnt_vscnt null, 0x0
	s_barrier
	buffer_gl0_inv
	s_branch .LBB1125_269
.LBB1125_268:                           ;   in Loop: Header=BB1125_269 Depth=1
	s_or_b32 exec_lo, exec_lo, s17
	s_delay_alu instid0(SALU_CYCLE_1) | instskip(NEXT) | instid1(SALU_CYCLE_1)
	s_and_b32 s16, exec_lo, s18
	s_or_b32 s20, s16, s20
	s_delay_alu instid0(SALU_CYCLE_1)
	s_and_not1_b32 exec_lo, exec_lo, s20
	s_cbranch_execz .LBB1125_299
.LBB1125_269:                           ; =>This Inner Loop Header: Depth=1
	v_dual_mov_b32 v48, v86 :: v_dual_mov_b32 v49, v87
	v_min_u32_e32 v0, s24, v114
	s_clause 0x1
	flat_store_b128 v[4:5], v[14:17] offset:32
	flat_store_b128 v[8:9], v[14:17] offset:16
	s_waitcnt lgkmcnt(0)
	s_waitcnt_vscnt null, 0x0
	s_barrier
	v_cmp_ne_u64_e64 s16, s[22:23], v[48:49]
	v_lshlrev_b32_e64 v0, v0, -1
	buffer_gl0_inv
	; wave barrier
	v_mov_b32_e32 v69, v19
	v_cndmask_b32_e64 v51, 0x7fffffff, v49, s16
	v_cndmask_b32_e64 v50, -1, v48, s16
	v_not_b32_e32 v86, v0
	v_mov_b32_e32 v70, v84
	v_dual_mov_b32 v68, v18 :: v_dual_mov_b32 v71, v85
	s_delay_alu instid0(VALU_DEP_4) | instskip(NEXT) | instid1(VALU_DEP_1)
	v_lshrrev_b64 v[50:51], v10, v[50:51]
	v_and_b32_e32 v0, v50, v86
	s_delay_alu instid0(VALU_DEP_1) | instskip(SKIP_1) | instid1(VALU_DEP_2)
	v_and_b32_e32 v50, 1, v0
	v_lshlrev_b32_e32 v51, 30, v0
	v_add_co_u32 v50, s16, v50, -1
	s_delay_alu instid0(VALU_DEP_1) | instskip(NEXT) | instid1(VALU_DEP_3)
	v_cndmask_b32_e64 v54, 0, 1, s16
	v_not_b32_e32 v66, v51
	v_cmp_gt_i32_e64 s17, 0, v51
	s_delay_alu instid0(VALU_DEP_3) | instskip(NEXT) | instid1(VALU_DEP_3)
	v_cmp_ne_u32_e64 s16, 0, v54
	v_ashrrev_i32_e32 v66, 31, v66
	s_delay_alu instid0(VALU_DEP_2) | instskip(NEXT) | instid1(VALU_DEP_2)
	v_xor_b32_e32 v50, s16, v50
	v_xor_b32_e32 v66, s17, v66
	s_delay_alu instid0(VALU_DEP_2) | instskip(NEXT) | instid1(VALU_DEP_1)
	v_and_b32_e32 v50, exec_lo, v50
	v_dual_mov_b32 v67, v21 :: v_dual_and_b32 v50, v50, v66
	v_lshlrev_b32_e32 v52, 29, v0
	v_lshlrev_b32_e32 v55, 27, v0
	;; [unrolled: 1-line block ×5, first 2 shown]
	v_not_b32_e32 v51, v52
	v_cmp_gt_i32_e64 s16, 0, v52
	v_not_b32_e32 v52, v53
	v_cmp_gt_i32_e64 s17, 0, v53
	v_not_b32_e32 v53, v55
	v_ashrrev_i32_e32 v51, 31, v51
	v_lshlrev_b32_e32 v65, 25, v0
	v_ashrrev_i32_e32 v52, 31, v52
	v_lshl_add_u32 v0, v0, 3, v112
	v_ashrrev_i32_e32 v53, 31, v53
	v_xor_b32_e32 v51, s16, v51
	v_cmp_gt_i32_e64 s16, 0, v55
	v_not_b32_e32 v55, v64
	v_xor_b32_e32 v52, s17, v52
	v_cmp_gt_i32_e64 s17, 0, v64
	v_and_b32_e32 v50, v50, v51
	v_xor_b32_e32 v53, s16, v53
	v_ashrrev_i32_e32 v55, 31, v55
	v_mov_b32_e32 v66, v20
	s_delay_alu instid0(VALU_DEP_4) | instskip(SKIP_1) | instid1(VALU_DEP_4)
	v_and_b32_e32 v50, v50, v52
	v_not_b32_e32 v52, v54
	v_xor_b32_e32 v55, s17, v55
	v_cmp_gt_i32_e64 s17, 0, v54
	s_delay_alu instid0(VALU_DEP_4) | instskip(NEXT) | instid1(VALU_DEP_4)
	v_and_b32_e32 v50, v50, v53
	v_ashrrev_i32_e32 v52, 31, v52
	s_delay_alu instid0(VALU_DEP_2)
	v_dual_mov_b32 v55, v23 :: v_dual_and_b32 v50, v50, v55
	v_mov_b32_e32 v54, v22
	v_not_b32_e32 v51, v65
	v_cmp_gt_i32_e64 s16, 0, v65
	v_xor_b32_e32 v18, s17, v52
	v_dual_mov_b32 v53, v25 :: v_dual_mov_b32 v64, v82
	s_delay_alu instid0(VALU_DEP_4) | instskip(SKIP_1) | instid1(VALU_DEP_2)
	v_ashrrev_i32_e32 v51, 31, v51
	v_dual_mov_b32 v65, v83 :: v_dual_mov_b32 v52, v24
	v_xor_b32_e32 v51, s16, v51
	s_delay_alu instid0(VALU_DEP_1) | instskip(NEXT) | instid1(VALU_DEP_1)
	v_dual_mov_b32 v50, v80 :: v_dual_and_b32 v19, v50, v51
	v_dual_mov_b32 v51, v81 :: v_dual_and_b32 v18, v19, v18
	v_lshlrev_b64 v[19:20], 2, v[0:1]
	s_delay_alu instid0(VALU_DEP_2) | instskip(SKIP_1) | instid1(VALU_DEP_3)
	v_mbcnt_lo_u32_b32 v96, v18, 0
	v_cmp_ne_u32_e64 s16, 0, v18
	v_add_co_u32 v80, s18, v28, v19
	s_delay_alu instid0(VALU_DEP_1) | instskip(NEXT) | instid1(VALU_DEP_4)
	v_add_co_ci_u32_e64 v81, s18, v39, v20, s18
	v_cmp_eq_u32_e64 s17, 0, v96
	s_delay_alu instid0(VALU_DEP_1) | instskip(NEXT) | instid1(SALU_CYCLE_1)
	s_and_b32 s17, s16, s17
	s_and_saveexec_b32 s16, s17
	s_cbranch_execz .LBB1125_271
; %bb.270:                              ;   in Loop: Header=BB1125_269 Depth=1
	v_bcnt_u32_b32 v0, v18, 0
	flat_store_b32 v[80:81], v0
.LBB1125_271:                           ;   in Loop: Header=BB1125_269 Depth=1
	s_or_b32 exec_lo, exec_lo, s16
	v_cmp_ne_u64_e64 s16, s[22:23], v[70:71]
	; wave barrier
	s_delay_alu instid0(VALU_DEP_1) | instskip(SKIP_1) | instid1(VALU_DEP_1)
	v_cndmask_b32_e64 v19, 0x7fffffff, v71, s16
	v_cndmask_b32_e64 v18, -1, v70, s16
	v_lshrrev_b64 v[18:19], v10, v[18:19]
	s_delay_alu instid0(VALU_DEP_1) | instskip(NEXT) | instid1(VALU_DEP_1)
	v_and_b32_e32 v20, v18, v86
	v_lshl_add_u32 v0, v20, 3, v112
	v_lshlrev_b32_e32 v21, 29, v20
	v_lshlrev_b32_e32 v22, 28, v20
	s_delay_alu instid0(VALU_DEP_3) | instskip(SKIP_1) | instid1(VALU_DEP_2)
	v_lshlrev_b64 v[18:19], 2, v[0:1]
	v_and_b32_e32 v0, 1, v20
	v_add_co_u32 v82, s16, v28, v18
	s_delay_alu instid0(VALU_DEP_1) | instskip(NEXT) | instid1(VALU_DEP_3)
	v_add_co_ci_u32_e64 v83, s16, v39, v19, s16
	v_add_co_u32 v0, s16, v0, -1
	s_delay_alu instid0(VALU_DEP_1) | instskip(SKIP_3) | instid1(VALU_DEP_2)
	v_cndmask_b32_e64 v18, 0, 1, s16
	flat_load_b32 v97, v[82:83]
	v_lshlrev_b32_e32 v19, 30, v20
	; wave barrier
	v_cmp_ne_u32_e64 s16, 0, v18
	v_not_b32_e32 v18, v19
	s_delay_alu instid0(VALU_DEP_2) | instskip(SKIP_1) | instid1(VALU_DEP_3)
	v_xor_b32_e32 v0, s16, v0
	v_cmp_gt_i32_e64 s16, 0, v19
	v_ashrrev_i32_e32 v18, 31, v18
	v_not_b32_e32 v19, v21
	s_delay_alu instid0(VALU_DEP_4) | instskip(NEXT) | instid1(VALU_DEP_3)
	v_and_b32_e32 v0, exec_lo, v0
	v_xor_b32_e32 v18, s16, v18
	v_cmp_gt_i32_e64 s16, 0, v21
	s_delay_alu instid0(VALU_DEP_4) | instskip(SKIP_1) | instid1(VALU_DEP_4)
	v_ashrrev_i32_e32 v19, 31, v19
	v_not_b32_e32 v21, v22
	v_and_b32_e32 v0, v0, v18
	v_lshlrev_b32_e32 v18, 27, v20
	s_delay_alu instid0(VALU_DEP_4) | instskip(SKIP_2) | instid1(VALU_DEP_4)
	v_xor_b32_e32 v19, s16, v19
	v_cmp_gt_i32_e64 s16, 0, v22
	v_ashrrev_i32_e32 v21, 31, v21
	v_not_b32_e32 v22, v18
	s_delay_alu instid0(VALU_DEP_4) | instskip(SKIP_1) | instid1(VALU_DEP_4)
	v_and_b32_e32 v0, v0, v19
	v_lshlrev_b32_e32 v19, 26, v20
	v_xor_b32_e32 v21, s16, v21
	v_cmp_gt_i32_e64 s16, 0, v18
	v_ashrrev_i32_e32 v18, 31, v22
	s_delay_alu instid0(VALU_DEP_4) | instskip(NEXT) | instid1(VALU_DEP_4)
	v_not_b32_e32 v22, v19
	v_and_b32_e32 v0, v0, v21
	v_lshlrev_b32_e32 v21, 25, v20
	s_delay_alu instid0(VALU_DEP_4) | instskip(SKIP_2) | instid1(VALU_DEP_4)
	v_xor_b32_e32 v18, s16, v18
	v_cmp_gt_i32_e64 s16, 0, v19
	v_ashrrev_i32_e32 v19, 31, v22
	v_not_b32_e32 v22, v21
	s_delay_alu instid0(VALU_DEP_4) | instskip(SKIP_1) | instid1(VALU_DEP_4)
	v_and_b32_e32 v0, v0, v18
	v_lshlrev_b32_e32 v18, 24, v20
	v_xor_b32_e32 v19, s16, v19
	v_cmp_gt_i32_e64 s16, 0, v21
	v_ashrrev_i32_e32 v20, 31, v22
	s_delay_alu instid0(VALU_DEP_4) | instskip(NEXT) | instid1(VALU_DEP_4)
	v_not_b32_e32 v21, v18
	v_and_b32_e32 v0, v0, v19
	s_delay_alu instid0(VALU_DEP_3) | instskip(SKIP_1) | instid1(VALU_DEP_4)
	v_xor_b32_e32 v19, s16, v20
	v_cmp_gt_i32_e64 s16, 0, v18
	v_ashrrev_i32_e32 v18, 31, v21
	s_delay_alu instid0(VALU_DEP_3) | instskip(NEXT) | instid1(VALU_DEP_2)
	v_and_b32_e32 v0, v0, v19
	v_xor_b32_e32 v18, s16, v18
	s_delay_alu instid0(VALU_DEP_1) | instskip(NEXT) | instid1(VALU_DEP_1)
	v_and_b32_e32 v0, v0, v18
	v_mbcnt_lo_u32_b32 v98, v0, 0
	v_cmp_ne_u32_e64 s17, 0, v0
	s_delay_alu instid0(VALU_DEP_2) | instskip(NEXT) | instid1(VALU_DEP_1)
	v_cmp_eq_u32_e64 s16, 0, v98
	s_and_b32 s17, s17, s16
	s_delay_alu instid0(SALU_CYCLE_1)
	s_and_saveexec_b32 s16, s17
	s_cbranch_execz .LBB1125_273
; %bb.272:                              ;   in Loop: Header=BB1125_269 Depth=1
	s_waitcnt vmcnt(0) lgkmcnt(0)
	v_bcnt_u32_b32 v0, v0, v97
	flat_store_b32 v[82:83], v0
.LBB1125_273:                           ;   in Loop: Header=BB1125_269 Depth=1
	s_or_b32 exec_lo, exec_lo, s16
	v_cmp_ne_u64_e64 s16, s[22:23], v[68:69]
	; wave barrier
	s_delay_alu instid0(VALU_DEP_1) | instskip(SKIP_1) | instid1(VALU_DEP_1)
	v_cndmask_b32_e64 v19, 0x7fffffff, v69, s16
	v_cndmask_b32_e64 v18, -1, v68, s16
	v_lshrrev_b64 v[18:19], v10, v[18:19]
	s_delay_alu instid0(VALU_DEP_1) | instskip(NEXT) | instid1(VALU_DEP_1)
	v_and_b32_e32 v20, v18, v86
	v_lshl_add_u32 v0, v20, 3, v112
	v_lshlrev_b32_e32 v21, 29, v20
	v_lshlrev_b32_e32 v22, 28, v20
	s_delay_alu instid0(VALU_DEP_3) | instskip(SKIP_1) | instid1(VALU_DEP_2)
	v_lshlrev_b64 v[18:19], 2, v[0:1]
	v_and_b32_e32 v0, 1, v20
	v_add_co_u32 v84, s16, v28, v18
	s_delay_alu instid0(VALU_DEP_1) | instskip(NEXT) | instid1(VALU_DEP_3)
	v_add_co_ci_u32_e64 v85, s16, v39, v19, s16
	v_add_co_u32 v0, s16, v0, -1
	s_delay_alu instid0(VALU_DEP_1) | instskip(SKIP_3) | instid1(VALU_DEP_2)
	v_cndmask_b32_e64 v18, 0, 1, s16
	flat_load_b32 v99, v[84:85]
	v_lshlrev_b32_e32 v19, 30, v20
	; wave barrier
	v_cmp_ne_u32_e64 s16, 0, v18
	v_not_b32_e32 v18, v19
	s_delay_alu instid0(VALU_DEP_2) | instskip(SKIP_1) | instid1(VALU_DEP_3)
	v_xor_b32_e32 v0, s16, v0
	v_cmp_gt_i32_e64 s16, 0, v19
	v_ashrrev_i32_e32 v18, 31, v18
	v_not_b32_e32 v19, v21
	s_delay_alu instid0(VALU_DEP_4) | instskip(NEXT) | instid1(VALU_DEP_3)
	v_and_b32_e32 v0, exec_lo, v0
	v_xor_b32_e32 v18, s16, v18
	v_cmp_gt_i32_e64 s16, 0, v21
	s_delay_alu instid0(VALU_DEP_4) | instskip(SKIP_1) | instid1(VALU_DEP_4)
	v_ashrrev_i32_e32 v19, 31, v19
	v_not_b32_e32 v21, v22
	v_and_b32_e32 v0, v0, v18
	v_lshlrev_b32_e32 v18, 27, v20
	s_delay_alu instid0(VALU_DEP_4) | instskip(SKIP_2) | instid1(VALU_DEP_4)
	v_xor_b32_e32 v19, s16, v19
	v_cmp_gt_i32_e64 s16, 0, v22
	v_ashrrev_i32_e32 v21, 31, v21
	v_not_b32_e32 v22, v18
	s_delay_alu instid0(VALU_DEP_4) | instskip(SKIP_1) | instid1(VALU_DEP_4)
	v_and_b32_e32 v0, v0, v19
	v_lshlrev_b32_e32 v19, 26, v20
	v_xor_b32_e32 v21, s16, v21
	v_cmp_gt_i32_e64 s16, 0, v18
	v_ashrrev_i32_e32 v18, 31, v22
	s_delay_alu instid0(VALU_DEP_4) | instskip(NEXT) | instid1(VALU_DEP_4)
	v_not_b32_e32 v22, v19
	v_and_b32_e32 v0, v0, v21
	v_lshlrev_b32_e32 v21, 25, v20
	s_delay_alu instid0(VALU_DEP_4) | instskip(SKIP_2) | instid1(VALU_DEP_4)
	v_xor_b32_e32 v18, s16, v18
	v_cmp_gt_i32_e64 s16, 0, v19
	v_ashrrev_i32_e32 v19, 31, v22
	v_not_b32_e32 v22, v21
	s_delay_alu instid0(VALU_DEP_4) | instskip(SKIP_1) | instid1(VALU_DEP_4)
	v_and_b32_e32 v0, v0, v18
	v_lshlrev_b32_e32 v18, 24, v20
	v_xor_b32_e32 v19, s16, v19
	v_cmp_gt_i32_e64 s16, 0, v21
	v_ashrrev_i32_e32 v20, 31, v22
	s_delay_alu instid0(VALU_DEP_4) | instskip(NEXT) | instid1(VALU_DEP_4)
	v_not_b32_e32 v21, v18
	v_and_b32_e32 v0, v0, v19
	s_delay_alu instid0(VALU_DEP_3) | instskip(SKIP_1) | instid1(VALU_DEP_4)
	v_xor_b32_e32 v19, s16, v20
	v_cmp_gt_i32_e64 s16, 0, v18
	v_ashrrev_i32_e32 v18, 31, v21
	s_delay_alu instid0(VALU_DEP_3) | instskip(NEXT) | instid1(VALU_DEP_2)
	v_and_b32_e32 v0, v0, v19
	v_xor_b32_e32 v18, s16, v18
	s_delay_alu instid0(VALU_DEP_1) | instskip(NEXT) | instid1(VALU_DEP_1)
	v_and_b32_e32 v0, v0, v18
	v_mbcnt_lo_u32_b32 v100, v0, 0
	v_cmp_ne_u32_e64 s17, 0, v0
	s_delay_alu instid0(VALU_DEP_2) | instskip(NEXT) | instid1(VALU_DEP_1)
	v_cmp_eq_u32_e64 s16, 0, v100
	s_and_b32 s17, s17, s16
	s_delay_alu instid0(SALU_CYCLE_1)
	s_and_saveexec_b32 s16, s17
	s_cbranch_execz .LBB1125_275
; %bb.274:                              ;   in Loop: Header=BB1125_269 Depth=1
	s_waitcnt vmcnt(0) lgkmcnt(0)
	v_bcnt_u32_b32 v0, v0, v99
	flat_store_b32 v[84:85], v0
.LBB1125_275:                           ;   in Loop: Header=BB1125_269 Depth=1
	s_or_b32 exec_lo, exec_lo, s16
	v_cmp_ne_u64_e64 s16, s[22:23], v[66:67]
	; wave barrier
	s_delay_alu instid0(VALU_DEP_1) | instskip(SKIP_1) | instid1(VALU_DEP_1)
	v_cndmask_b32_e64 v19, 0x7fffffff, v67, s16
	v_cndmask_b32_e64 v18, -1, v66, s16
	v_lshrrev_b64 v[18:19], v10, v[18:19]
	s_delay_alu instid0(VALU_DEP_1) | instskip(NEXT) | instid1(VALU_DEP_1)
	v_and_b32_e32 v20, v18, v86
	v_lshl_add_u32 v0, v20, 3, v112
	v_lshlrev_b32_e32 v21, 29, v20
	v_lshlrev_b32_e32 v22, 28, v20
	s_delay_alu instid0(VALU_DEP_3) | instskip(SKIP_1) | instid1(VALU_DEP_2)
	v_lshlrev_b64 v[18:19], 2, v[0:1]
	v_and_b32_e32 v0, 1, v20
	v_add_co_u32 v86, s16, v28, v18
	s_delay_alu instid0(VALU_DEP_1) | instskip(NEXT) | instid1(VALU_DEP_3)
	v_add_co_ci_u32_e64 v87, s16, v39, v19, s16
	v_add_co_u32 v0, s16, v0, -1
	s_delay_alu instid0(VALU_DEP_1) | instskip(SKIP_3) | instid1(VALU_DEP_2)
	v_cndmask_b32_e64 v18, 0, 1, s16
	flat_load_b32 v101, v[86:87]
	v_lshlrev_b32_e32 v19, 30, v20
	; wave barrier
	v_cmp_ne_u32_e64 s16, 0, v18
	v_not_b32_e32 v18, v19
	s_delay_alu instid0(VALU_DEP_2) | instskip(SKIP_1) | instid1(VALU_DEP_3)
	v_xor_b32_e32 v0, s16, v0
	v_cmp_gt_i32_e64 s16, 0, v19
	v_ashrrev_i32_e32 v18, 31, v18
	v_not_b32_e32 v19, v21
	s_delay_alu instid0(VALU_DEP_4) | instskip(NEXT) | instid1(VALU_DEP_3)
	v_and_b32_e32 v0, exec_lo, v0
	v_xor_b32_e32 v18, s16, v18
	v_cmp_gt_i32_e64 s16, 0, v21
	s_delay_alu instid0(VALU_DEP_4) | instskip(SKIP_1) | instid1(VALU_DEP_4)
	v_ashrrev_i32_e32 v19, 31, v19
	v_not_b32_e32 v21, v22
	v_and_b32_e32 v0, v0, v18
	v_lshlrev_b32_e32 v18, 27, v20
	s_delay_alu instid0(VALU_DEP_4) | instskip(SKIP_2) | instid1(VALU_DEP_4)
	v_xor_b32_e32 v19, s16, v19
	v_cmp_gt_i32_e64 s16, 0, v22
	v_ashrrev_i32_e32 v21, 31, v21
	v_not_b32_e32 v22, v18
	s_delay_alu instid0(VALU_DEP_4) | instskip(SKIP_1) | instid1(VALU_DEP_4)
	v_and_b32_e32 v0, v0, v19
	v_lshlrev_b32_e32 v19, 26, v20
	v_xor_b32_e32 v21, s16, v21
	v_cmp_gt_i32_e64 s16, 0, v18
	v_ashrrev_i32_e32 v18, 31, v22
	s_delay_alu instid0(VALU_DEP_4) | instskip(NEXT) | instid1(VALU_DEP_4)
	v_not_b32_e32 v22, v19
	v_and_b32_e32 v0, v0, v21
	v_lshlrev_b32_e32 v21, 25, v20
	s_delay_alu instid0(VALU_DEP_4) | instskip(SKIP_2) | instid1(VALU_DEP_4)
	v_xor_b32_e32 v18, s16, v18
	v_cmp_gt_i32_e64 s16, 0, v19
	v_ashrrev_i32_e32 v19, 31, v22
	v_not_b32_e32 v22, v21
	s_delay_alu instid0(VALU_DEP_4) | instskip(SKIP_1) | instid1(VALU_DEP_4)
	v_and_b32_e32 v0, v0, v18
	v_lshlrev_b32_e32 v18, 24, v20
	v_xor_b32_e32 v19, s16, v19
	v_cmp_gt_i32_e64 s16, 0, v21
	v_ashrrev_i32_e32 v20, 31, v22
	s_delay_alu instid0(VALU_DEP_4) | instskip(NEXT) | instid1(VALU_DEP_4)
	v_not_b32_e32 v21, v18
	v_and_b32_e32 v0, v0, v19
	s_delay_alu instid0(VALU_DEP_3) | instskip(SKIP_1) | instid1(VALU_DEP_4)
	v_xor_b32_e32 v19, s16, v20
	v_cmp_gt_i32_e64 s16, 0, v18
	v_ashrrev_i32_e32 v18, 31, v21
	s_delay_alu instid0(VALU_DEP_3) | instskip(NEXT) | instid1(VALU_DEP_2)
	v_and_b32_e32 v0, v0, v19
	v_xor_b32_e32 v18, s16, v18
	s_delay_alu instid0(VALU_DEP_1) | instskip(NEXT) | instid1(VALU_DEP_1)
	v_and_b32_e32 v0, v0, v18
	v_mbcnt_lo_u32_b32 v102, v0, 0
	v_cmp_ne_u32_e64 s17, 0, v0
	s_delay_alu instid0(VALU_DEP_2) | instskip(NEXT) | instid1(VALU_DEP_1)
	v_cmp_eq_u32_e64 s16, 0, v102
	s_and_b32 s17, s17, s16
	s_delay_alu instid0(SALU_CYCLE_1)
	s_and_saveexec_b32 s16, s17
	s_cbranch_execz .LBB1125_277
; %bb.276:                              ;   in Loop: Header=BB1125_269 Depth=1
	s_waitcnt vmcnt(0) lgkmcnt(0)
	v_bcnt_u32_b32 v0, v0, v101
	flat_store_b32 v[86:87], v0
.LBB1125_277:                           ;   in Loop: Header=BB1125_269 Depth=1
	s_or_b32 exec_lo, exec_lo, s16
	; wave barrier
	s_waitcnt vmcnt(0) lgkmcnt(0)
	s_waitcnt_vscnt null, 0x0
	s_barrier
	buffer_gl0_inv
	s_clause 0x1
	flat_load_b128 v[22:25], v[4:5] offset:32
	flat_load_b128 v[18:21], v[8:9] offset:16
	s_waitcnt vmcnt(1) lgkmcnt(1)
	v_add_nc_u32_e32 v0, v23, v22
	s_delay_alu instid0(VALU_DEP_1) | instskip(SKIP_1) | instid1(VALU_DEP_1)
	v_add3_u32 v0, v0, v24, v25
	s_waitcnt vmcnt(0) lgkmcnt(0)
	v_add3_u32 v0, v0, v18, v19
	s_delay_alu instid0(VALU_DEP_1) | instskip(NEXT) | instid1(VALU_DEP_1)
	v_add3_u32 v0, v0, v20, v21
	v_mov_b32_dpp v21, v0 row_shr:1 row_mask:0xf bank_mask:0xf
	s_delay_alu instid0(VALU_DEP_1) | instskip(NEXT) | instid1(VALU_DEP_1)
	v_cndmask_b32_e64 v21, v21, 0, vcc_lo
	v_add_nc_u32_e32 v0, v21, v0
	s_delay_alu instid0(VALU_DEP_1) | instskip(NEXT) | instid1(VALU_DEP_1)
	v_mov_b32_dpp v21, v0 row_shr:2 row_mask:0xf bank_mask:0xf
	v_cndmask_b32_e64 v21, 0, v21, s0
	s_delay_alu instid0(VALU_DEP_1) | instskip(NEXT) | instid1(VALU_DEP_1)
	v_add_nc_u32_e32 v0, v0, v21
	v_mov_b32_dpp v21, v0 row_shr:4 row_mask:0xf bank_mask:0xf
	s_delay_alu instid0(VALU_DEP_1) | instskip(NEXT) | instid1(VALU_DEP_1)
	v_cndmask_b32_e64 v21, 0, v21, s1
	v_add_nc_u32_e32 v0, v0, v21
	s_delay_alu instid0(VALU_DEP_1) | instskip(NEXT) | instid1(VALU_DEP_1)
	v_mov_b32_dpp v21, v0 row_shr:8 row_mask:0xf bank_mask:0xf
	v_cndmask_b32_e64 v21, 0, v21, s2
	s_delay_alu instid0(VALU_DEP_1) | instskip(SKIP_3) | instid1(VALU_DEP_1)
	v_add_nc_u32_e32 v0, v0, v21
	ds_swizzle_b32 v21, v0 offset:swizzle(BROADCAST,32,15)
	s_waitcnt lgkmcnt(0)
	v_cndmask_b32_e64 v21, v21, 0, s3
	v_add_nc_u32_e32 v0, v0, v21
	s_and_saveexec_b32 s16, s4
	s_cbranch_execz .LBB1125_279
; %bb.278:                              ;   in Loop: Header=BB1125_269 Depth=1
	flat_store_b32 v[31:32], v0
.LBB1125_279:                           ;   in Loop: Header=BB1125_269 Depth=1
	s_or_b32 exec_lo, exec_lo, s16
	s_waitcnt lgkmcnt(0)
	s_waitcnt_vscnt null, 0x0
	s_barrier
	buffer_gl0_inv
	s_and_saveexec_b32 s16, s5
	s_cbranch_execz .LBB1125_281
; %bb.280:                              ;   in Loop: Header=BB1125_269 Depth=1
	flat_load_b32 v21, v[33:34]
	s_waitcnt vmcnt(0) lgkmcnt(0)
	v_mov_b32_dpp v103, v21 row_shr:1 row_mask:0xf bank_mask:0xf
	s_delay_alu instid0(VALU_DEP_1) | instskip(NEXT) | instid1(VALU_DEP_1)
	v_cndmask_b32_e64 v103, v103, 0, s11
	v_add_nc_u32_e32 v21, v103, v21
	s_delay_alu instid0(VALU_DEP_1) | instskip(NEXT) | instid1(VALU_DEP_1)
	v_mov_b32_dpp v103, v21 row_shr:2 row_mask:0xf bank_mask:0xf
	v_cndmask_b32_e64 v103, 0, v103, s14
	s_delay_alu instid0(VALU_DEP_1) | instskip(NEXT) | instid1(VALU_DEP_1)
	v_add_nc_u32_e32 v21, v21, v103
	v_mov_b32_dpp v103, v21 row_shr:4 row_mask:0xf bank_mask:0xf
	s_delay_alu instid0(VALU_DEP_1) | instskip(NEXT) | instid1(VALU_DEP_1)
	v_cndmask_b32_e64 v103, 0, v103, s15
	v_add_nc_u32_e32 v21, v21, v103
	flat_store_b32 v[33:34], v21
.LBB1125_281:                           ;   in Loop: Header=BB1125_269 Depth=1
	s_or_b32 exec_lo, exec_lo, s16
	v_mov_b32_e32 v21, 0
	s_waitcnt lgkmcnt(0)
	s_waitcnt_vscnt null, 0x0
	s_barrier
	buffer_gl0_inv
	s_and_saveexec_b32 s16, s6
	s_cbranch_execz .LBB1125_283
; %bb.282:                              ;   in Loop: Header=BB1125_269 Depth=1
	flat_load_b32 v21, v[35:36]
.LBB1125_283:                           ;   in Loop: Header=BB1125_269 Depth=1
	s_or_b32 exec_lo, exec_lo, s16
	s_waitcnt vmcnt(0) lgkmcnt(0)
	v_add_nc_u32_e32 v0, v21, v0
	v_add_nc_u32_e32 v10, 8, v10
	s_mov_b32 s18, -1
	ds_bpermute_b32 v0, v113, v0
	s_waitcnt lgkmcnt(0)
	v_cndmask_b32_e64 v0, v0, v21, s7
	s_delay_alu instid0(VALU_DEP_1) | instskip(NEXT) | instid1(VALU_DEP_1)
	v_cndmask_b32_e64 v21, v0, 0, s10
	v_add_nc_u32_e32 v22, v21, v22
	s_delay_alu instid0(VALU_DEP_1) | instskip(NEXT) | instid1(VALU_DEP_1)
	v_add_nc_u32_e32 v23, v22, v23
	v_add_nc_u32_e32 v24, v23, v24
	s_delay_alu instid0(VALU_DEP_1) | instskip(NEXT) | instid1(VALU_DEP_1)
	v_add_nc_u32_e32 v115, v24, v25
	v_add_nc_u32_e32 v116, v115, v18
	s_delay_alu instid0(VALU_DEP_1) | instskip(SKIP_1) | instid1(VALU_DEP_2)
	v_add_nc_u32_e32 v117, v116, v19
	v_mov_b32_e32 v19, v1
	v_add_nc_u32_e32 v118, v117, v20
	s_clause 0x1
	flat_store_b128 v[4:5], v[21:24] offset:32
	flat_store_b128 v[8:9], v[115:118] offset:16
	v_mov_b32_e32 v21, v1
	s_waitcnt lgkmcnt(0)
	s_waitcnt_vscnt null, 0x0
	s_barrier
	buffer_gl0_inv
	s_clause 0x3
	flat_load_b32 v0, v[80:81]
	flat_load_b32 v18, v[82:83]
	;; [unrolled: 1-line block ×4, first 2 shown]
	v_mov_b32_e32 v23, v1
	v_cmp_lt_u32_e64 s16, v10, v11
	s_waitcnt vmcnt(0) lgkmcnt(0)
	s_waitcnt_vscnt null, 0x0
                                        ; implicit-def: $vgpr84_vgpr85
                                        ; implicit-def: $vgpr86_vgpr87
                                        ; implicit-def: $vgpr80_vgpr81
                                        ; implicit-def: $vgpr82_vgpr83
	s_waitcnt vmcnt(3) lgkmcnt(3)
	v_add_nc_u32_e32 v0, v0, v96
	s_waitcnt vmcnt(2) lgkmcnt(2)
	v_add3_u32 v18, v98, v97, v18
	s_waitcnt vmcnt(1) lgkmcnt(1)
	v_add3_u32 v20, v100, v99, v20
	s_waitcnt vmcnt(0) lgkmcnt(0)
	v_add3_u32 v22, v102, v101, v22
	v_lshlrev_b64 v[24:25], 3, v[0:1]
	v_lshlrev_b64 v[18:19], 3, v[18:19]
	;; [unrolled: 1-line block ×3, first 2 shown]
	s_delay_alu instid0(VALU_DEP_4) | instskip(NEXT) | instid1(VALU_DEP_4)
	v_lshlrev_b64 v[22:23], 3, v[22:23]
	v_add_co_u32 v96, s17, v12, v24
	s_delay_alu instid0(VALU_DEP_1) | instskip(SKIP_1) | instid1(VALU_DEP_1)
	v_add_co_ci_u32_e64 v97, s17, v13, v25, s17
	v_add_co_u32 v98, s17, v12, v18
	v_add_co_ci_u32_e64 v99, s17, v13, v19, s17
	v_add_co_u32 v100, s17, v12, v20
	s_delay_alu instid0(VALU_DEP_1) | instskip(SKIP_1) | instid1(VALU_DEP_1)
	v_add_co_ci_u32_e64 v101, s17, v13, v21, s17
	v_add_co_u32 v102, s17, v12, v22
	v_add_co_ci_u32_e64 v103, s17, v13, v23, s17
                                        ; implicit-def: $vgpr20_vgpr21
                                        ; implicit-def: $vgpr18_vgpr19
                                        ; implicit-def: $vgpr22_vgpr23
                                        ; implicit-def: $vgpr24_vgpr25
	s_and_saveexec_b32 s17, s16
	s_cbranch_execz .LBB1125_268
; %bb.284:                              ;   in Loop: Header=BB1125_269 Depth=1
	s_barrier
	buffer_gl0_inv
	s_clause 0x3
	flat_store_b64 v[96:97], v[48:49]
	flat_store_b64 v[98:99], v[70:71]
	;; [unrolled: 1-line block ×4, first 2 shown]
	s_waitcnt lgkmcnt(0)
	s_waitcnt_vscnt null, 0x0
	s_barrier
	buffer_gl0_inv
	s_clause 0x3
	flat_load_b64 v[86:87], v[37:38]
	flat_load_b64 v[84:85], v[37:38] offset:256
	flat_load_b64 v[18:19], v[37:38] offset:512
	;; [unrolled: 1-line block ×3, first 2 shown]
	s_waitcnt vmcnt(0) lgkmcnt(0)
	s_barrier
	buffer_gl0_inv
	s_clause 0x3
	flat_store_b64 v[96:97], v[54:55]
	flat_store_b64 v[98:99], v[52:53]
	;; [unrolled: 1-line block ×4, first 2 shown]
	s_waitcnt lgkmcnt(0)
	s_waitcnt_vscnt null, 0x0
	s_barrier
	buffer_gl0_inv
	s_clause 0x3
	flat_load_b64 v[22:23], v[37:38]
	flat_load_b64 v[24:25], v[37:38] offset:256
	flat_load_b64 v[80:81], v[37:38] offset:512
	;; [unrolled: 1-line block ×3, first 2 shown]
	v_add_nc_u32_e32 v114, -8, v114
	s_xor_b32 s18, exec_lo, -1
	s_waitcnt vmcnt(0) lgkmcnt(0)
	s_barrier
	buffer_gl0_inv
	s_branch .LBB1125_268
.LBB1125_285:
	flat_load_b64 v[22:23], v[4:5]
	s_or_b32 exec_lo, exec_lo, s7
                                        ; implicit-def: $vgpr24_vgpr25
	s_and_saveexec_b32 s7, s0
	s_cbranch_execz .LBB1125_163
.LBB1125_286:
	flat_load_b64 v[24:25], v[4:5] offset:256
	s_or_b32 exec_lo, exec_lo, s7
                                        ; implicit-def: $vgpr112_vgpr113
	s_and_saveexec_b32 s0, s1
	s_cbranch_execz .LBB1125_164
.LBB1125_287:
	flat_load_b64 v[112:113], v[4:5] offset:512
	s_or_b32 exec_lo, exec_lo, s0
                                        ; implicit-def: $vgpr116_vgpr117
	s_and_saveexec_b32 s0, s2
	s_cbranch_execz .LBB1125_165
.LBB1125_288:
	flat_load_b64 v[116:117], v[4:5] offset:768
	s_or_b32 exec_lo, exec_lo, s0
                                        ; implicit-def: $vgpr128_vgpr129
	s_and_saveexec_b32 s0, s3
	s_cbranch_execz .LBB1125_166
.LBB1125_289:
	flat_load_b64 v[128:129], v[4:5] offset:1024
	s_or_b32 exec_lo, exec_lo, s0
                                        ; implicit-def: $vgpr134_vgpr135
	s_and_saveexec_b32 s0, s4
	s_cbranch_execz .LBB1125_167
.LBB1125_290:
	flat_load_b64 v[134:135], v[4:5] offset:1280
	s_or_b32 exec_lo, exec_lo, s0
                                        ; implicit-def: $vgpr18_vgpr19
	s_and_saveexec_b32 s0, s5
	s_cbranch_execz .LBB1125_168
.LBB1125_291:
	flat_load_b64 v[18:19], v[4:5] offset:1536
	s_or_b32 exec_lo, exec_lo, s0
                                        ; implicit-def: $vgpr20_vgpr21
	s_and_saveexec_b32 s0, s6
	s_cbranch_execnz .LBB1125_169
	s_branch .LBB1125_170
.LBB1125_292:
	flat_store_b64 v[2:3], v[18:19]
	s_or_b32 exec_lo, exec_lo, s7
	s_and_saveexec_b32 s7, s0
	s_cbranch_execz .LBB1125_244
.LBB1125_293:
	flat_store_b64 v[2:3], v[16:17] offset:2048
	s_or_b32 exec_lo, exec_lo, s7
	s_and_saveexec_b32 s0, s1
	s_cbranch_execz .LBB1125_245
.LBB1125_294:
	v_add_co_u32 v6, vcc_lo, 0x1000, v2
	v_add_co_ci_u32_e32 v7, vcc_lo, 0, v3, vcc_lo
	flat_store_b64 v[6:7], v[14:15]
	s_or_b32 exec_lo, exec_lo, s0
	s_and_saveexec_b32 s0, s2
	s_cbranch_execz .LBB1125_246
.LBB1125_295:
	v_add_co_u32 v6, vcc_lo, 0x1000, v2
	v_add_co_ci_u32_e32 v7, vcc_lo, 0, v3, vcc_lo
	flat_store_b64 v[6:7], v[12:13] offset:2048
	s_or_b32 exec_lo, exec_lo, s0
	s_and_saveexec_b32 s0, s3
	s_cbranch_execz .LBB1125_247
.LBB1125_296:
	v_add_co_u32 v6, vcc_lo, 0x2000, v2
	v_add_co_ci_u32_e32 v7, vcc_lo, 0, v3, vcc_lo
	flat_store_b64 v[6:7], v[10:11]
	s_or_b32 exec_lo, exec_lo, s0
	s_and_saveexec_b32 s0, s4
	s_cbranch_execz .LBB1125_248
.LBB1125_297:
	v_add_co_u32 v6, vcc_lo, 0x2000, v2
	v_add_co_ci_u32_e32 v7, vcc_lo, 0, v3, vcc_lo
	flat_store_b64 v[6:7], v[8:9] offset:2048
	s_or_b32 exec_lo, exec_lo, s0
	s_and_saveexec_b32 s0, s5
	s_cbranch_execz .LBB1125_249
.LBB1125_298:
	v_add_co_u32 v6, vcc_lo, 0x3000, v2
	v_add_co_ci_u32_e32 v7, vcc_lo, 0, v3, vcc_lo
	flat_store_b64 v[6:7], v[4:5]
	s_or_b32 exec_lo, exec_lo, s0
	s_and_saveexec_b32 s0, s6
	s_cbranch_execnz .LBB1125_250
	s_branch .LBB1125_251
.LBB1125_299:
	s_or_b32 exec_lo, exec_lo, s20
	v_lshlrev_b32_e32 v0, 3, v26
	s_barrier
	buffer_gl0_inv
	s_clause 0x3
	flat_store_b64 v[96:97], v[48:49]
	flat_store_b64 v[98:99], v[70:71]
	;; [unrolled: 1-line block ×4, first 2 shown]
	v_add_co_u32 v0, vcc_lo, v12, v0
	v_add_co_ci_u32_e32 v1, vcc_lo, 0, v13, vcc_lo
	s_waitcnt lgkmcnt(0)
	s_waitcnt_vscnt null, 0x0
	s_delay_alu instid0(VALU_DEP_2) | instskip(NEXT) | instid1(VALU_DEP_2)
	v_add_co_u32 v14, vcc_lo, 0x1000, v0
	v_add_co_ci_u32_e32 v15, vcc_lo, 0, v1, vcc_lo
	s_barrier
	buffer_gl0_inv
	s_clause 0x3
	flat_load_b64 v[20:21], v[0:1]
	flat_load_b64 v[18:19], v[0:1] offset:2048
	flat_load_b64 v[16:17], v[14:15]
	flat_load_b64 v[12:13], v[14:15] offset:2048
	s_waitcnt vmcnt(0) lgkmcnt(0)
	s_barrier
	buffer_gl0_inv
	s_clause 0x3
	flat_store_b64 v[96:97], v[54:55]
	flat_store_b64 v[98:99], v[52:53]
	flat_store_b64 v[100:101], v[50:51]
	flat_store_b64 v[102:103], v[64:65]
	s_waitcnt lgkmcnt(0)
	s_waitcnt_vscnt null, 0x0
	s_barrier
	buffer_gl0_inv
	s_clause 0x3
	flat_load_b64 v[10:11], v[0:1]
	flat_load_b64 v[8:9], v[0:1] offset:2048
	flat_load_b64 v[4:5], v[14:15]
	flat_load_b64 v[0:1], v[14:15] offset:2048
	v_mov_b32_e32 v28, 0
	v_add_co_u32 v2, vcc_lo, v2, v29
	v_add_co_ci_u32_e32 v3, vcc_lo, v3, v30, vcc_lo
	s_delay_alu instid0(VALU_DEP_3)
	v_lshlrev_b64 v[14:15], 3, v[27:28]
	s_waitcnt vmcnt(0) lgkmcnt(0)
	s_barrier
	buffer_gl0_inv
	v_add_co_u32 v2, vcc_lo, v2, v14
	v_add_co_ci_u32_e32 v3, vcc_lo, v3, v15, vcc_lo
	v_cmp_lt_u32_e32 vcc_lo, v27, v47
	s_and_saveexec_b32 s1, vcc_lo
	s_cbranch_execz .LBB1125_301
; %bb.300:
	v_cmp_gt_i64_e64 s0, 0, v[20:21]
	v_ashrrev_i32_e32 v22, 31, v21
	s_delay_alu instid0(VALU_DEP_1) | instskip(NEXT) | instid1(VALU_DEP_3)
	v_not_b32_e32 v22, v22
	v_cndmask_b32_e64 v23, 0x7fffffff, 0, s0
	s_delay_alu instid0(VALU_DEP_2) | instskip(NEXT) | instid1(VALU_DEP_2)
	v_xor_b32_e32 v20, v22, v20
	v_xor_b32_e32 v21, v23, v21
	flat_store_b64 v[2:3], v[20:21]
.LBB1125_301:
	s_or_b32 exec_lo, exec_lo, s1
	v_add_nc_u32_e32 v20, 0x100, v27
	s_delay_alu instid0(VALU_DEP_1) | instskip(NEXT) | instid1(VALU_DEP_1)
	v_cmp_lt_u32_e64 s0, v20, v47
	s_and_saveexec_b32 s2, s0
	s_cbranch_execz .LBB1125_303
; %bb.302:
	v_cmp_gt_i64_e64 s1, 0, v[18:19]
	v_ashrrev_i32_e32 v20, 31, v19
	s_delay_alu instid0(VALU_DEP_1) | instskip(NEXT) | instid1(VALU_DEP_3)
	v_not_b32_e32 v20, v20
	v_cndmask_b32_e64 v21, 0x7fffffff, 0, s1
	s_delay_alu instid0(VALU_DEP_2) | instskip(NEXT) | instid1(VALU_DEP_2)
	v_xor_b32_e32 v18, v20, v18
	v_xor_b32_e32 v19, v21, v19
	flat_store_b64 v[2:3], v[18:19] offset:2048
.LBB1125_303:
	s_or_b32 exec_lo, exec_lo, s2
	v_add_nc_u32_e32 v18, 0x200, v27
	s_delay_alu instid0(VALU_DEP_1) | instskip(NEXT) | instid1(VALU_DEP_1)
	v_cmp_lt_u32_e64 s1, v18, v47
	s_and_saveexec_b32 s3, s1
	s_cbranch_execz .LBB1125_305
; %bb.304:
	v_ashrrev_i32_e32 v18, 31, v17
	v_cmp_gt_i64_e64 s2, 0, v[16:17]
	s_delay_alu instid0(VALU_DEP_2) | instskip(NEXT) | instid1(VALU_DEP_2)
	v_not_b32_e32 v18, v18
	v_cndmask_b32_e64 v19, 0x7fffffff, 0, s2
	s_delay_alu instid0(VALU_DEP_2) | instskip(SKIP_1) | instid1(VALU_DEP_3)
	v_xor_b32_e32 v16, v18, v16
	v_add_co_u32 v18, s2, 0x1000, v2
	v_xor_b32_e32 v17, v19, v17
	v_add_co_ci_u32_e64 v19, s2, 0, v3, s2
	flat_store_b64 v[18:19], v[16:17]
.LBB1125_305:
	s_or_b32 exec_lo, exec_lo, s3
	v_add_nc_u32_e32 v16, 0x300, v27
	s_delay_alu instid0(VALU_DEP_1) | instskip(NEXT) | instid1(VALU_DEP_1)
	v_cmp_lt_u32_e64 s2, v16, v47
	s_and_saveexec_b32 s4, s2
	s_cbranch_execz .LBB1125_307
; %bb.306:
	v_cmp_gt_i64_e64 s3, 0, v[12:13]
	v_ashrrev_i32_e32 v16, 31, v13
	s_delay_alu instid0(VALU_DEP_1) | instskip(NEXT) | instid1(VALU_DEP_3)
	v_not_b32_e32 v16, v16
	v_cndmask_b32_e64 v17, 0x7fffffff, 0, s3
	v_add_co_u32 v2, s3, 0x1000, v2
	s_delay_alu instid0(VALU_DEP_1) | instskip(NEXT) | instid1(VALU_DEP_3)
	v_add_co_ci_u32_e64 v3, s3, 0, v3, s3
	v_xor_b32_e32 v13, v17, v13
	v_xor_b32_e32 v12, v16, v12
	flat_store_b64 v[2:3], v[12:13] offset:2048
.LBB1125_307:
	s_or_b32 exec_lo, exec_lo, s4
	v_add_co_u32 v2, s3, v6, v29
	s_delay_alu instid0(VALU_DEP_1) | instskip(NEXT) | instid1(VALU_DEP_2)
	v_add_co_ci_u32_e64 v3, s3, v7, v30, s3
	v_add_co_u32 v2, s3, v2, v14
	s_delay_alu instid0(VALU_DEP_1)
	v_add_co_ci_u32_e64 v3, s3, v3, v15, s3
	s_and_saveexec_b32 s3, vcc_lo
	s_cbranch_execnz .LBB1125_340
; %bb.308:
	s_or_b32 exec_lo, exec_lo, s3
	s_and_saveexec_b32 s3, s0
	s_cbranch_execnz .LBB1125_341
.LBB1125_309:
	s_or_b32 exec_lo, exec_lo, s3
	s_and_saveexec_b32 s0, s1
	s_cbranch_execnz .LBB1125_342
.LBB1125_310:
	s_or_b32 exec_lo, exec_lo, s0
	s_and_saveexec_b32 s0, s2
	s_cbranch_execz .LBB1125_312
.LBB1125_311:
	v_add_co_u32 v2, vcc_lo, 0x1000, v2
	v_add_co_ci_u32_e32 v3, vcc_lo, 0, v3, vcc_lo
	flat_store_b64 v[2:3], v[0:1] offset:2048
.LBB1125_312:
	s_or_b32 exec_lo, exec_lo, s0
                                        ; implicit-def: $vgpr47
                                        ; implicit-def: $vgpr0
                                        ; implicit-def: $vgpr1
                                        ; implicit-def: $vgpr2
                                        ; implicit-def: $vgpr3
                                        ; implicit-def: $vgpr4
                                        ; implicit-def: $vgpr5
                                        ; implicit-def: $vgpr6
                                        ; implicit-def: $vgpr7
                                        ; implicit-def: $vgpr8
                                        ; implicit-def: $vgpr10
                                        ; implicit-def: $vgpr11
                                        ; implicit-def: $vgpr12
                                        ; implicit-def: $vgpr13
                                        ; implicit-def: $vgpr14
                                        ; implicit-def: $vgpr15
                                        ; implicit-def: $vgpr26
                                        ; implicit-def: $vgpr96
.LBB1125_313:
	s_and_not1_saveexec_b32 s0, s19
	s_cbranch_execz .LBB1125_372
; %bb.314:
	s_load_b64 s[0:1], s[8:9], 0x0
	v_mov_b32_e32 v9, 0
	s_waitcnt lgkmcnt(0)
	s_cmp_lt_u32 s13, s1
	s_cselect_b32 s1, 14, 20
	s_delay_alu instid0(SALU_CYCLE_1) | instskip(SKIP_4) | instid1(SALU_CYCLE_1)
	s_add_u32 s2, s8, s1
	s_addc_u32 s3, s9, 0
	s_cmp_lt_u32 s12, s0
	global_load_u16 v16, v9, s[2:3]
	s_cselect_b32 s0, 12, 18
	s_add_u32 s0, s8, s0
	s_addc_u32 s1, s9, 0
	global_load_u16 v17, v9, s[0:1]
	s_mov_b32 s0, exec_lo
	s_waitcnt vmcnt(1)
	v_mad_u32_u24 v14, v15, v16, v14
	s_waitcnt vmcnt(0)
	s_delay_alu instid0(VALU_DEP_1)
	v_mad_u64_u32 v[29:30], null, v14, v17, v[26:27]
	v_lshlrev_b64 v[27:28], 3, v[8:9]
	v_cmpx_lt_u32_e32 0x100, v47
	s_xor_b32 s15, exec_lo, s0
	s_cbranch_execz .LBB1125_352
; %bb.315:
	s_mov_b32 s0, -1
	s_delay_alu instid0(VALU_DEP_2)
	v_add_co_u32 v14, vcc_lo, v0, v27
	s_mov_b32 s1, s0
	s_mov_b32 s2, s0
	;; [unrolled: 1-line block ×3, first 2 shown]
	v_lshlrev_b32_e32 v8, 1, v29
	v_lshlrev_b32_e32 v18, 3, v96
	v_add_co_ci_u32_e32 v15, vcc_lo, v1, v28, vcc_lo
	s_delay_alu instid0(VALU_DEP_3) | instskip(NEXT) | instid1(VALU_DEP_1)
	v_and_b32_e32 v8, 0xffffffc0, v8
	v_lshlrev_b64 v[0:1], 3, v[8:9]
	s_delay_alu instid0(VALU_DEP_4) | instskip(NEXT) | instid1(VALU_DEP_4)
	v_add_co_u32 v9, vcc_lo, v14, v18
	v_add_co_ci_u32_e32 v14, vcc_lo, 0, v15, vcc_lo
	v_or_b32_e32 v19, v96, v8
	s_delay_alu instid0(VALU_DEP_3) | instskip(NEXT) | instid1(VALU_DEP_3)
	v_add_co_u32 v8, vcc_lo, v9, v0
	v_add_co_ci_u32_e32 v9, vcc_lo, v14, v1, vcc_lo
	v_mov_b32_e32 v17, s3
	v_mov_b32_e32 v15, s1
	v_cmp_lt_u32_e32 vcc_lo, v19, v47
	v_mov_b32_e32 v16, s2
	v_mov_b32_e32 v14, s0
	s_and_saveexec_b32 s0, vcc_lo
	s_cbranch_execz .LBB1125_317
; %bb.316:
	flat_load_b64 v[14:15], v[8:9]
	v_mov_b32_e32 v16, -1
	s_delay_alu instid0(VALU_DEP_1)
	v_mov_b32_e32 v17, v16
.LBB1125_317:
	s_or_b32 exec_lo, exec_lo, s0
	v_or_b32_e32 v19, 32, v19
	s_delay_alu instid0(VALU_DEP_1) | instskip(NEXT) | instid1(VALU_DEP_1)
	v_cmp_lt_u32_e64 s0, v19, v47
	s_and_saveexec_b32 s1, s0
	s_cbranch_execz .LBB1125_319
; %bb.318:
	flat_load_b64 v[16:17], v[8:9] offset:256
.LBB1125_319:
	s_or_b32 exec_lo, exec_lo, s1
	v_add_co_u32 v4, s1, v4, v27
	s_delay_alu instid0(VALU_DEP_1) | instskip(NEXT) | instid1(VALU_DEP_2)
	v_add_co_ci_u32_e64 v5, s1, v5, v28, s1
	v_add_co_u32 v4, s1, v4, v18
	s_delay_alu instid0(VALU_DEP_1) | instskip(NEXT) | instid1(VALU_DEP_2)
	v_add_co_ci_u32_e64 v5, s1, 0, v5, s1
                                        ; implicit-def: $vgpr18_vgpr19
	v_add_co_u32 v0, s1, v4, v0
	s_delay_alu instid0(VALU_DEP_1)
	v_add_co_ci_u32_e64 v1, s1, v5, v1, s1
	s_and_saveexec_b32 s1, vcc_lo
	s_cbranch_execz .LBB1125_321
; %bb.320:
	flat_load_b64 v[18:19], v[0:1]
.LBB1125_321:
	s_or_b32 exec_lo, exec_lo, s1
                                        ; implicit-def: $vgpr20_vgpr21
	s_and_saveexec_b32 s1, s0
	s_cbranch_execz .LBB1125_323
; %bb.322:
	flat_load_b64 v[20:21], v[0:1] offset:256
.LBB1125_323:
	s_or_b32 exec_lo, exec_lo, s1
	s_waitcnt vmcnt(0) lgkmcnt(0)
	v_ashrrev_i32_e32 v0, 31, v15
	v_cmp_gt_i64_e32 vcc_lo, 0, v[14:15]
	v_ashrrev_i32_e32 v1, 31, v17
	s_mov_b32 s16, 0
	s_getpc_b64 s[0:1]
	s_add_u32 s0, s0, _ZN7rocprim17ROCPRIM_400000_NS16block_radix_sortIdLj256ELj2ElLj1ELj1ELj8ELNS0_26block_radix_rank_algorithmE2ELNS0_18block_padding_hintE2ELNS0_4arch9wavefront6targetE0EE19radix_bits_per_passE@rel32@lo+4
	s_addc_u32 s1, s1, _ZN7rocprim17ROCPRIM_400000_NS16block_radix_sortIdLj256ELj2ElLj1ELj1ELj8ELNS0_26block_radix_rank_algorithmE2ELNS0_18block_padding_hintE2ELNS0_4arch9wavefront6targetE0EE19radix_bits_per_passE@rel32@hi+12
	v_not_b32_e32 v0, v0
	s_mov_b32 s17, s16
	v_cndmask_b32_e64 v4, 0x7fffffff, 0, vcc_lo
	v_cmp_gt_i64_e32 vcc_lo, 0, v[16:17]
	v_not_b32_e32 v1, v1
	v_xor_b32_e32 v24, v0, v14
	v_lshlrev_b32_e32 v0, 5, v26
	v_xor_b32_e32 v25, v4, v15
	s_mov_b32 s18, s16
	v_cndmask_b32_e64 v5, 0x7fffffff, 0, vcc_lo
	v_add_co_u32 v66, vcc_lo, v12, 32
	s_mov_b32 s19, s16
	v_and_b32_e32 v15, 0x3e0, v26
	v_add_co_ci_u32_e32 v67, vcc_lo, 0, v13, vcc_lo
	v_xor_b32_e32 v22, v1, v16
	v_mov_b32_e32 v1, 0
	v_add_co_u32 v4, vcc_lo, v12, v0
	v_xor_b32_e32 v23, v5, v17
	v_add_co_ci_u32_e32 v5, vcc_lo, 0, v13, vcc_lo
	v_and_b32_e32 v14, 15, v96
	v_add_co_u32 v8, vcc_lo, v66, v0
	v_min_u32_e32 v0, 0xe0, v15
	v_add_nc_u32_e32 v16, -1, v96
	v_add_co_ci_u32_e32 v9, vcc_lo, 0, v67, vcc_lo
	s_load_b32 s20, s[0:1], 0x0
	v_cmp_eq_u32_e32 vcc_lo, 0, v14
	v_cmp_lt_u32_e64 s0, 1, v14
	v_and_b32_e32 v15, 16, v96
	v_cmp_lt_u32_e64 s1, 3, v14
	v_cmp_lt_u32_e64 s2, 7, v14
	v_or_b32_e32 v0, 31, v0
	v_lshrrev_b32_e32 v14, 5, v26
	v_cmp_gt_i32_e64 s4, 0, v16
	v_cmp_eq_u32_e64 s3, 0, v15
	v_lshrrev_b32_e32 v68, 5, v29
	v_cmp_gt_u32_e64 s5, 8, v26
	v_cmp_lt_u32_e64 s6, 31, v26
	v_cndmask_b32_e64 v15, v16, v96, s4
	v_cmp_eq_u32_e64 s4, v0, v26
	v_lshlrev_b32_e32 v0, 2, v14
	v_and_b32_e32 v16, 7, v96
	v_cmp_eq_u32_e64 s7, 0, v96
	v_lshlrev_b32_e32 v69, 2, v15
	v_lshlrev_b32_e32 v15, 2, v26
	v_add_co_u32 v30, s9, v12, v0
	v_add_nc_u32_e32 v0, -1, v14
	v_lshlrev_b32_e32 v14, 1, v26
	v_add_co_ci_u32_e64 v31, s9, 0, v13, s9
	v_add_co_u32 v32, s9, v12, v15
	s_delay_alu instid0(VALU_DEP_3) | instskip(SKIP_3) | instid1(VALU_DEP_4)
	v_and_or_b32 v17, 0x7c0, v14, v96
	v_lshlrev_b64 v[14:15], 2, v[0:1]
	v_add_co_ci_u32_e64 v33, s9, 0, v13, s9
	v_cmp_eq_u32_e64 s9, 0, v16
	v_lshlrev_b32_e32 v0, 3, v17
	v_cmp_lt_u32_e64 s10, 1, v16
	v_add_co_u32 v34, s12, v12, v14
	s_delay_alu instid0(VALU_DEP_1) | instskip(NEXT) | instid1(VALU_DEP_4)
	v_add_co_ci_u32_e64 v35, s12, v13, v15, s12
	v_add_co_u32 v36, s12, v12, v0
	v_cmp_lt_u32_e64 s11, 3, v16
	v_mov_b32_e32 v14, s16
	v_cmp_eq_u32_e64 s8, 0, v26
	v_add_co_ci_u32_e64 v37, s12, 0, v13, s12
	v_sub_nc_u32_e32 v70, v11, v10
	v_dual_mov_b32 v15, s17 :: v_dual_mov_b32 v16, s18
	v_mov_b32_e32 v17, s19
	s_brev_b32 s17, 1
	s_waitcnt lgkmcnt(0)
	s_waitcnt_vscnt null, 0x0
	s_barrier
	buffer_gl0_inv
	s_branch .LBB1125_325
.LBB1125_324:                           ;   in Loop: Header=BB1125_325 Depth=1
	s_or_b32 exec_lo, exec_lo, s13
	s_delay_alu instid0(SALU_CYCLE_1) | instskip(NEXT) | instid1(SALU_CYCLE_1)
	s_and_b32 s12, exec_lo, s14
	s_or_b32 s18, s12, s18
	s_delay_alu instid0(SALU_CYCLE_1)
	s_and_not1_b32 exec_lo, exec_lo, s18
	s_cbranch_execz .LBB1125_343
.LBB1125_325:                           ; =>This Inner Loop Header: Depth=1
	v_dual_mov_b32 v39, v25 :: v_dual_mov_b32 v38, v24
	v_min_u32_e32 v0, s20, v70
	s_clause 0x1
	flat_store_b128 v[4:5], v[14:17] offset:32
	flat_store_b128 v[8:9], v[14:17] offset:16
	s_waitcnt lgkmcnt(0)
	s_waitcnt_vscnt null, 0x0
	s_barrier
	v_cmp_ne_u64_e64 s12, s[16:17], v[38:39]
	v_lshlrev_b32_e64 v0, v0, -1
	buffer_gl0_inv
	; wave barrier
	v_cndmask_b32_e64 v25, 0x7fffffff, v39, s12
	v_cndmask_b32_e64 v24, -1, v38, s12
	s_delay_alu instid0(VALU_DEP_1) | instskip(SKIP_1) | instid1(VALU_DEP_1)
	v_lshrrev_b64 v[48:49], v10, v[24:25]
	v_not_b32_e32 v24, v0
	v_and_b32_e32 v0, v48, v24
	s_delay_alu instid0(VALU_DEP_1)
	v_and_b32_e32 v25, 1, v0
	v_lshlrev_b32_e32 v48, 30, v0
	v_lshlrev_b32_e32 v49, 29, v0
	;; [unrolled: 1-line block ×4, first 2 shown]
	v_add_co_u32 v25, s12, v25, -1
	s_delay_alu instid0(VALU_DEP_1)
	v_cndmask_b32_e64 v51, 0, 1, s12
	v_not_b32_e32 v55, v48
	v_cmp_gt_i32_e64 s13, 0, v48
	v_not_b32_e32 v48, v49
	v_lshlrev_b32_e32 v53, 26, v0
	v_cmp_ne_u32_e64 s12, 0, v51
	v_ashrrev_i32_e32 v55, 31, v55
	s_delay_alu instid0(VALU_DEP_4) | instskip(NEXT) | instid1(VALU_DEP_3)
	v_ashrrev_i32_e32 v48, 31, v48
	v_xor_b32_e32 v25, s12, v25
	v_cmp_gt_i32_e64 s12, 0, v49
	v_not_b32_e32 v49, v50
	v_xor_b32_e32 v55, s13, v55
	v_cmp_gt_i32_e64 s13, 0, v50
	v_and_b32_e32 v25, exec_lo, v25
	v_not_b32_e32 v50, v52
	v_ashrrev_i32_e32 v49, 31, v49
	v_xor_b32_e32 v48, s12, v48
	v_cmp_gt_i32_e64 s12, 0, v52
	v_and_b32_e32 v25, v25, v55
	v_not_b32_e32 v52, v53
	v_ashrrev_i32_e32 v50, 31, v50
	v_xor_b32_e32 v49, s13, v49
	v_cmp_gt_i32_e64 s13, 0, v53
	v_and_b32_e32 v25, v25, v48
	v_ashrrev_i32_e32 v52, 31, v52
	v_xor_b32_e32 v50, s12, v50
	s_delay_alu instid0(VALU_DEP_3) | instskip(NEXT) | instid1(VALU_DEP_3)
	v_and_b32_e32 v25, v25, v49
	v_xor_b32_e32 v52, s13, v52
	s_delay_alu instid0(VALU_DEP_2) | instskip(NEXT) | instid1(VALU_DEP_1)
	v_and_b32_e32 v25, v25, v50
	v_and_b32_e32 v25, v25, v52
	v_dual_mov_b32 v53, v23 :: v_dual_lshlrev_b32 v54, 25, v0
	v_lshlrev_b32_e32 v51, 24, v0
	v_lshl_add_u32 v0, v0, 3, v68
	v_mov_b32_e32 v52, v22
	s_delay_alu instid0(VALU_DEP_4) | instskip(SKIP_3) | instid1(VALU_DEP_4)
	v_not_b32_e32 v48, v54
	v_cmp_gt_i32_e64 s12, 0, v54
	v_not_b32_e32 v49, v51
	v_cmp_gt_i32_e64 s13, 0, v51
	v_ashrrev_i32_e32 v48, 31, v48
	s_delay_alu instid0(VALU_DEP_3) | instskip(NEXT) | instid1(VALU_DEP_2)
	v_ashrrev_i32_e32 v49, 31, v49
	v_xor_b32_e32 v48, s12, v48
	s_delay_alu instid0(VALU_DEP_2) | instskip(NEXT) | instid1(VALU_DEP_2)
	v_xor_b32_e32 v50, s13, v49
	v_and_b32_e32 v25, v25, v48
	v_dual_mov_b32 v49, v21 :: v_dual_mov_b32 v48, v20
	s_delay_alu instid0(VALU_DEP_2) | instskip(SKIP_2) | instid1(VALU_DEP_3)
	v_dual_mov_b32 v51, v19 :: v_dual_and_b32 v20, v25, v50
	v_mov_b32_e32 v50, v18
	v_lshlrev_b64 v[18:19], 2, v[0:1]
	v_mbcnt_lo_u32_b32 v71, v20, 0
	v_cmp_ne_u32_e64 s12, 0, v20
	s_delay_alu instid0(VALU_DEP_3) | instskip(NEXT) | instid1(VALU_DEP_3)
	v_add_co_u32 v54, s14, v66, v18
	v_cmp_eq_u32_e64 s13, 0, v71
	v_add_co_ci_u32_e64 v55, s14, v67, v19, s14
	s_delay_alu instid0(VALU_DEP_2) | instskip(NEXT) | instid1(SALU_CYCLE_1)
	s_and_b32 s13, s12, s13
	s_and_saveexec_b32 s12, s13
	s_cbranch_execz .LBB1125_327
; %bb.326:                              ;   in Loop: Header=BB1125_325 Depth=1
	v_bcnt_u32_b32 v0, v20, 0
	flat_store_b32 v[54:55], v0
.LBB1125_327:                           ;   in Loop: Header=BB1125_325 Depth=1
	s_or_b32 exec_lo, exec_lo, s12
	v_cmp_ne_u64_e64 s12, s[16:17], v[52:53]
	; wave barrier
	s_delay_alu instid0(VALU_DEP_1) | instskip(SKIP_1) | instid1(VALU_DEP_1)
	v_cndmask_b32_e64 v19, 0x7fffffff, v53, s12
	v_cndmask_b32_e64 v18, -1, v52, s12
	v_lshrrev_b64 v[18:19], v10, v[18:19]
	s_delay_alu instid0(VALU_DEP_1) | instskip(NEXT) | instid1(VALU_DEP_1)
	v_and_b32_e32 v20, v18, v24
	v_lshl_add_u32 v0, v20, 3, v68
	v_lshlrev_b32_e32 v21, 29, v20
	v_lshlrev_b32_e32 v22, 28, v20
	s_delay_alu instid0(VALU_DEP_3) | instskip(SKIP_1) | instid1(VALU_DEP_2)
	v_lshlrev_b64 v[18:19], 2, v[0:1]
	v_and_b32_e32 v0, 1, v20
	v_add_co_u32 v64, s12, v66, v18
	s_delay_alu instid0(VALU_DEP_1) | instskip(NEXT) | instid1(VALU_DEP_3)
	v_add_co_ci_u32_e64 v65, s12, v67, v19, s12
	v_add_co_u32 v0, s12, v0, -1
	s_delay_alu instid0(VALU_DEP_1) | instskip(SKIP_3) | instid1(VALU_DEP_2)
	v_cndmask_b32_e64 v18, 0, 1, s12
	flat_load_b32 v80, v[64:65]
	v_lshlrev_b32_e32 v19, 30, v20
	; wave barrier
	v_cmp_ne_u32_e64 s12, 0, v18
	v_not_b32_e32 v18, v19
	s_delay_alu instid0(VALU_DEP_2) | instskip(SKIP_1) | instid1(VALU_DEP_3)
	v_xor_b32_e32 v0, s12, v0
	v_cmp_gt_i32_e64 s12, 0, v19
	v_ashrrev_i32_e32 v18, 31, v18
	v_not_b32_e32 v19, v21
	s_delay_alu instid0(VALU_DEP_4) | instskip(NEXT) | instid1(VALU_DEP_3)
	v_and_b32_e32 v0, exec_lo, v0
	v_xor_b32_e32 v18, s12, v18
	v_cmp_gt_i32_e64 s12, 0, v21
	s_delay_alu instid0(VALU_DEP_4) | instskip(SKIP_1) | instid1(VALU_DEP_4)
	v_ashrrev_i32_e32 v19, 31, v19
	v_not_b32_e32 v21, v22
	v_and_b32_e32 v0, v0, v18
	v_lshlrev_b32_e32 v18, 27, v20
	s_delay_alu instid0(VALU_DEP_4) | instskip(SKIP_2) | instid1(VALU_DEP_4)
	v_xor_b32_e32 v19, s12, v19
	v_cmp_gt_i32_e64 s12, 0, v22
	v_ashrrev_i32_e32 v21, 31, v21
	v_not_b32_e32 v22, v18
	s_delay_alu instid0(VALU_DEP_4) | instskip(SKIP_1) | instid1(VALU_DEP_4)
	v_and_b32_e32 v0, v0, v19
	v_lshlrev_b32_e32 v19, 26, v20
	v_xor_b32_e32 v21, s12, v21
	v_cmp_gt_i32_e64 s12, 0, v18
	v_ashrrev_i32_e32 v18, 31, v22
	s_delay_alu instid0(VALU_DEP_4) | instskip(NEXT) | instid1(VALU_DEP_4)
	v_not_b32_e32 v22, v19
	v_and_b32_e32 v0, v0, v21
	v_lshlrev_b32_e32 v21, 25, v20
	s_delay_alu instid0(VALU_DEP_4) | instskip(SKIP_2) | instid1(VALU_DEP_4)
	v_xor_b32_e32 v18, s12, v18
	v_cmp_gt_i32_e64 s12, 0, v19
	v_ashrrev_i32_e32 v19, 31, v22
	v_not_b32_e32 v22, v21
	s_delay_alu instid0(VALU_DEP_4) | instskip(SKIP_1) | instid1(VALU_DEP_4)
	v_and_b32_e32 v0, v0, v18
	v_lshlrev_b32_e32 v18, 24, v20
	v_xor_b32_e32 v19, s12, v19
	v_cmp_gt_i32_e64 s12, 0, v21
	v_ashrrev_i32_e32 v20, 31, v22
	s_delay_alu instid0(VALU_DEP_4) | instskip(NEXT) | instid1(VALU_DEP_4)
	v_not_b32_e32 v21, v18
	v_and_b32_e32 v0, v0, v19
	s_delay_alu instid0(VALU_DEP_3) | instskip(SKIP_1) | instid1(VALU_DEP_4)
	v_xor_b32_e32 v19, s12, v20
	v_cmp_gt_i32_e64 s12, 0, v18
	v_ashrrev_i32_e32 v18, 31, v21
	s_delay_alu instid0(VALU_DEP_3) | instskip(NEXT) | instid1(VALU_DEP_2)
	v_and_b32_e32 v0, v0, v19
	v_xor_b32_e32 v18, s12, v18
	s_delay_alu instid0(VALU_DEP_1) | instskip(NEXT) | instid1(VALU_DEP_1)
	v_and_b32_e32 v0, v0, v18
	v_mbcnt_lo_u32_b32 v81, v0, 0
	v_cmp_ne_u32_e64 s13, 0, v0
	s_delay_alu instid0(VALU_DEP_2) | instskip(NEXT) | instid1(VALU_DEP_1)
	v_cmp_eq_u32_e64 s12, 0, v81
	s_and_b32 s13, s13, s12
	s_delay_alu instid0(SALU_CYCLE_1)
	s_and_saveexec_b32 s12, s13
	s_cbranch_execz .LBB1125_329
; %bb.328:                              ;   in Loop: Header=BB1125_325 Depth=1
	s_waitcnt vmcnt(0) lgkmcnt(0)
	v_bcnt_u32_b32 v0, v0, v80
	flat_store_b32 v[64:65], v0
.LBB1125_329:                           ;   in Loop: Header=BB1125_325 Depth=1
	s_or_b32 exec_lo, exec_lo, s12
	; wave barrier
	s_waitcnt vmcnt(0) lgkmcnt(0)
	s_waitcnt_vscnt null, 0x0
	s_barrier
	buffer_gl0_inv
	s_clause 0x1
	flat_load_b128 v[22:25], v[4:5] offset:32
	flat_load_b128 v[18:21], v[8:9] offset:16
	s_waitcnt vmcnt(1) lgkmcnt(1)
	v_add_nc_u32_e32 v0, v23, v22
	s_delay_alu instid0(VALU_DEP_1) | instskip(SKIP_1) | instid1(VALU_DEP_1)
	v_add3_u32 v0, v0, v24, v25
	s_waitcnt vmcnt(0) lgkmcnt(0)
	v_add3_u32 v0, v0, v18, v19
	s_delay_alu instid0(VALU_DEP_1) | instskip(NEXT) | instid1(VALU_DEP_1)
	v_add3_u32 v0, v0, v20, v21
	v_mov_b32_dpp v21, v0 row_shr:1 row_mask:0xf bank_mask:0xf
	s_delay_alu instid0(VALU_DEP_1) | instskip(NEXT) | instid1(VALU_DEP_1)
	v_cndmask_b32_e64 v21, v21, 0, vcc_lo
	v_add_nc_u32_e32 v0, v21, v0
	s_delay_alu instid0(VALU_DEP_1) | instskip(NEXT) | instid1(VALU_DEP_1)
	v_mov_b32_dpp v21, v0 row_shr:2 row_mask:0xf bank_mask:0xf
	v_cndmask_b32_e64 v21, 0, v21, s0
	s_delay_alu instid0(VALU_DEP_1) | instskip(NEXT) | instid1(VALU_DEP_1)
	v_add_nc_u32_e32 v0, v0, v21
	v_mov_b32_dpp v21, v0 row_shr:4 row_mask:0xf bank_mask:0xf
	s_delay_alu instid0(VALU_DEP_1) | instskip(NEXT) | instid1(VALU_DEP_1)
	v_cndmask_b32_e64 v21, 0, v21, s1
	v_add_nc_u32_e32 v0, v0, v21
	s_delay_alu instid0(VALU_DEP_1) | instskip(NEXT) | instid1(VALU_DEP_1)
	v_mov_b32_dpp v21, v0 row_shr:8 row_mask:0xf bank_mask:0xf
	v_cndmask_b32_e64 v21, 0, v21, s2
	s_delay_alu instid0(VALU_DEP_1) | instskip(SKIP_3) | instid1(VALU_DEP_1)
	v_add_nc_u32_e32 v0, v0, v21
	ds_swizzle_b32 v21, v0 offset:swizzle(BROADCAST,32,15)
	s_waitcnt lgkmcnt(0)
	v_cndmask_b32_e64 v21, v21, 0, s3
	v_add_nc_u32_e32 v0, v0, v21
	s_and_saveexec_b32 s12, s4
	s_cbranch_execz .LBB1125_331
; %bb.330:                              ;   in Loop: Header=BB1125_325 Depth=1
	flat_store_b32 v[30:31], v0
.LBB1125_331:                           ;   in Loop: Header=BB1125_325 Depth=1
	s_or_b32 exec_lo, exec_lo, s12
	s_waitcnt lgkmcnt(0)
	s_waitcnt_vscnt null, 0x0
	s_barrier
	buffer_gl0_inv
	s_and_saveexec_b32 s12, s5
	s_cbranch_execz .LBB1125_333
; %bb.332:                              ;   in Loop: Header=BB1125_325 Depth=1
	flat_load_b32 v21, v[32:33]
	s_waitcnt vmcnt(0) lgkmcnt(0)
	v_mov_b32_dpp v82, v21 row_shr:1 row_mask:0xf bank_mask:0xf
	s_delay_alu instid0(VALU_DEP_1) | instskip(NEXT) | instid1(VALU_DEP_1)
	v_cndmask_b32_e64 v82, v82, 0, s9
	v_add_nc_u32_e32 v21, v82, v21
	s_delay_alu instid0(VALU_DEP_1) | instskip(NEXT) | instid1(VALU_DEP_1)
	v_mov_b32_dpp v82, v21 row_shr:2 row_mask:0xf bank_mask:0xf
	v_cndmask_b32_e64 v82, 0, v82, s10
	s_delay_alu instid0(VALU_DEP_1) | instskip(NEXT) | instid1(VALU_DEP_1)
	v_add_nc_u32_e32 v21, v21, v82
	v_mov_b32_dpp v82, v21 row_shr:4 row_mask:0xf bank_mask:0xf
	s_delay_alu instid0(VALU_DEP_1) | instskip(NEXT) | instid1(VALU_DEP_1)
	v_cndmask_b32_e64 v82, 0, v82, s11
	v_add_nc_u32_e32 v21, v21, v82
	flat_store_b32 v[32:33], v21
.LBB1125_333:                           ;   in Loop: Header=BB1125_325 Depth=1
	s_or_b32 exec_lo, exec_lo, s12
	v_mov_b32_e32 v21, 0
	s_waitcnt lgkmcnt(0)
	s_waitcnt_vscnt null, 0x0
	s_barrier
	buffer_gl0_inv
	s_and_saveexec_b32 s12, s6
	s_cbranch_execz .LBB1125_335
; %bb.334:                              ;   in Loop: Header=BB1125_325 Depth=1
	flat_load_b32 v21, v[34:35]
.LBB1125_335:                           ;   in Loop: Header=BB1125_325 Depth=1
	s_or_b32 exec_lo, exec_lo, s12
	s_waitcnt vmcnt(0) lgkmcnt(0)
	v_add_nc_u32_e32 v0, v21, v0
	v_add_nc_u32_e32 v10, 8, v10
	s_mov_b32 s14, -1
	ds_bpermute_b32 v0, v69, v0
	s_waitcnt lgkmcnt(0)
	v_cndmask_b32_e64 v0, v0, v21, s7
	s_delay_alu instid0(VALU_DEP_1) | instskip(NEXT) | instid1(VALU_DEP_1)
	v_cndmask_b32_e64 v21, v0, 0, s8
	v_add_nc_u32_e32 v22, v21, v22
	s_delay_alu instid0(VALU_DEP_1) | instskip(NEXT) | instid1(VALU_DEP_1)
	v_add_nc_u32_e32 v23, v22, v23
	v_add_nc_u32_e32 v24, v23, v24
	s_delay_alu instid0(VALU_DEP_1) | instskip(NEXT) | instid1(VALU_DEP_1)
	v_add_nc_u32_e32 v82, v24, v25
	v_add_nc_u32_e32 v83, v82, v18
	s_delay_alu instid0(VALU_DEP_1) | instskip(NEXT) | instid1(VALU_DEP_1)
	v_dual_mov_b32 v19, v1 :: v_dual_add_nc_u32 v84, v83, v19
	v_add_nc_u32_e32 v85, v84, v20
	s_clause 0x1
	flat_store_b128 v[4:5], v[21:24] offset:32
	flat_store_b128 v[8:9], v[82:85] offset:16
	s_waitcnt lgkmcnt(0)
	s_waitcnt_vscnt null, 0x0
	s_barrier
	buffer_gl0_inv
	s_clause 0x1
	flat_load_b32 v0, v[54:55]
	flat_load_b32 v18, v[64:65]
	s_waitcnt vmcnt(0) lgkmcnt(0)
	s_waitcnt_vscnt null, 0x0
                                        ; implicit-def: $vgpr22_vgpr23
                                        ; implicit-def: $vgpr24_vgpr25
	s_waitcnt vmcnt(1) lgkmcnt(1)
	v_add_nc_u32_e32 v0, v0, v71
	s_waitcnt vmcnt(0) lgkmcnt(0)
	v_add3_u32 v18, v81, v80, v18
	s_delay_alu instid0(VALU_DEP_2) | instskip(NEXT) | instid1(VALU_DEP_2)
	v_lshlrev_b64 v[20:21], 3, v[0:1]
	v_lshlrev_b64 v[18:19], 3, v[18:19]
	s_delay_alu instid0(VALU_DEP_2) | instskip(NEXT) | instid1(VALU_DEP_1)
	v_add_co_u32 v54, s13, v12, v20
	v_add_co_ci_u32_e64 v55, s13, v13, v21, s13
	s_delay_alu instid0(VALU_DEP_3) | instskip(NEXT) | instid1(VALU_DEP_1)
	v_add_co_u32 v64, s13, v12, v18
	v_add_co_ci_u32_e64 v65, s13, v13, v19, s13
	s_mov_b32 s13, exec_lo
                                        ; implicit-def: $vgpr20_vgpr21
                                        ; implicit-def: $vgpr18_vgpr19
	v_cmpx_lt_u32_e64 v10, v11
	s_cbranch_execz .LBB1125_324
; %bb.336:                              ;   in Loop: Header=BB1125_325 Depth=1
	s_barrier
	buffer_gl0_inv
	s_clause 0x1
	flat_store_b64 v[54:55], v[38:39]
	flat_store_b64 v[64:65], v[52:53]
	s_waitcnt lgkmcnt(0)
	s_waitcnt_vscnt null, 0x0
	s_barrier
	buffer_gl0_inv
	s_clause 0x1
	flat_load_b64 v[24:25], v[36:37]
	flat_load_b64 v[22:23], v[36:37] offset:256
	s_waitcnt vmcnt(0) lgkmcnt(0)
	s_barrier
	buffer_gl0_inv
	s_clause 0x1
	flat_store_b64 v[54:55], v[50:51]
	flat_store_b64 v[64:65], v[48:49]
	s_waitcnt lgkmcnt(0)
	s_waitcnt_vscnt null, 0x0
	s_barrier
	buffer_gl0_inv
	s_clause 0x1
	flat_load_b64 v[18:19], v[36:37]
	flat_load_b64 v[20:21], v[36:37] offset:256
	v_add_nc_u32_e32 v70, -8, v70
	s_xor_b32 s14, exec_lo, -1
	s_waitcnt vmcnt(0) lgkmcnt(0)
	s_barrier
	buffer_gl0_inv
	s_branch .LBB1125_324
.LBB1125_337:
	flat_load_b64 v[22:23], v[0:1]
	s_or_b32 exec_lo, exec_lo, s3
                                        ; implicit-def: $vgpr24_vgpr25
	s_and_saveexec_b32 s3, s0
	s_cbranch_execz .LBB1125_264
.LBB1125_338:
	flat_load_b64 v[24:25], v[0:1] offset:256
	s_or_b32 exec_lo, exec_lo, s3
                                        ; implicit-def: $vgpr80_vgpr81
	s_and_saveexec_b32 s0, s1
	s_cbranch_execz .LBB1125_265
.LBB1125_339:
	flat_load_b64 v[80:81], v[0:1] offset:512
	s_or_b32 exec_lo, exec_lo, s0
                                        ; implicit-def: $vgpr82_vgpr83
	s_and_saveexec_b32 s0, s2
	s_cbranch_execnz .LBB1125_266
	s_branch .LBB1125_267
.LBB1125_340:
	flat_store_b64 v[2:3], v[10:11]
	s_or_b32 exec_lo, exec_lo, s3
	s_and_saveexec_b32 s3, s0
	s_cbranch_execz .LBB1125_309
.LBB1125_341:
	flat_store_b64 v[2:3], v[8:9] offset:2048
	s_or_b32 exec_lo, exec_lo, s3
	s_and_saveexec_b32 s0, s1
	s_cbranch_execz .LBB1125_310
.LBB1125_342:
	v_add_co_u32 v6, vcc_lo, 0x1000, v2
	v_add_co_ci_u32_e32 v7, vcc_lo, 0, v3, vcc_lo
	flat_store_b64 v[6:7], v[4:5]
	s_or_b32 exec_lo, exec_lo, s0
	s_and_saveexec_b32 s0, s2
	s_cbranch_execnz .LBB1125_311
	s_branch .LBB1125_312
.LBB1125_343:
	s_or_b32 exec_lo, exec_lo, s18
	v_lshlrev_b32_e32 v0, 3, v26
	s_barrier
	buffer_gl0_inv
	s_clause 0x1
	flat_store_b64 v[54:55], v[38:39]
	flat_store_b64 v[64:65], v[52:53]
	v_add_co_u32 v0, vcc_lo, v12, v0
	v_add_co_ci_u32_e32 v1, vcc_lo, 0, v13, vcc_lo
	s_waitcnt lgkmcnt(0)
	s_waitcnt_vscnt null, 0x0
	s_barrier
	buffer_gl0_inv
	s_clause 0x1
	flat_load_b64 v[12:13], v[0:1]
	flat_load_b64 v[8:9], v[0:1] offset:2048
	s_waitcnt vmcnt(0) lgkmcnt(0)
	s_barrier
	buffer_gl0_inv
	s_clause 0x1
	flat_store_b64 v[54:55], v[50:51]
	flat_store_b64 v[64:65], v[48:49]
	s_waitcnt lgkmcnt(0)
	s_waitcnt_vscnt null, 0x0
	s_barrier
	buffer_gl0_inv
	s_clause 0x1
	flat_load_b64 v[4:5], v[0:1]
	flat_load_b64 v[0:1], v[0:1] offset:2048
	v_mov_b32_e32 v30, 0
	v_add_co_u32 v2, vcc_lo, v2, v27
	v_add_co_ci_u32_e32 v3, vcc_lo, v3, v28, vcc_lo
	s_delay_alu instid0(VALU_DEP_3)
	v_lshlrev_b64 v[10:11], 3, v[29:30]
	s_waitcnt vmcnt(0) lgkmcnt(0)
	s_barrier
	buffer_gl0_inv
	v_add_co_u32 v2, vcc_lo, v2, v10
	v_add_co_ci_u32_e32 v3, vcc_lo, v3, v11, vcc_lo
	v_cmp_lt_u32_e32 vcc_lo, v29, v47
	s_and_saveexec_b32 s1, vcc_lo
	s_cbranch_execz .LBB1125_345
; %bb.344:
	v_cmp_gt_i64_e64 s0, 0, v[12:13]
	v_ashrrev_i32_e32 v14, 31, v13
	s_delay_alu instid0(VALU_DEP_1) | instskip(NEXT) | instid1(VALU_DEP_3)
	v_not_b32_e32 v14, v14
	v_cndmask_b32_e64 v15, 0x7fffffff, 0, s0
	s_delay_alu instid0(VALU_DEP_2) | instskip(NEXT) | instid1(VALU_DEP_2)
	v_xor_b32_e32 v12, v14, v12
	v_xor_b32_e32 v13, v15, v13
	flat_store_b64 v[2:3], v[12:13]
.LBB1125_345:
	s_or_b32 exec_lo, exec_lo, s1
	v_add_nc_u32_e32 v12, 0x100, v29
	s_delay_alu instid0(VALU_DEP_1) | instskip(NEXT) | instid1(VALU_DEP_1)
	v_cmp_lt_u32_e64 s0, v12, v47
	s_and_saveexec_b32 s2, s0
	s_cbranch_execz .LBB1125_347
; %bb.346:
	v_cmp_gt_i64_e64 s1, 0, v[8:9]
	v_ashrrev_i32_e32 v12, 31, v9
	s_delay_alu instid0(VALU_DEP_1) | instskip(NEXT) | instid1(VALU_DEP_3)
	v_not_b32_e32 v12, v12
	v_cndmask_b32_e64 v13, 0x7fffffff, 0, s1
	s_delay_alu instid0(VALU_DEP_2) | instskip(NEXT) | instid1(VALU_DEP_2)
	v_xor_b32_e32 v8, v12, v8
	v_xor_b32_e32 v9, v13, v9
	flat_store_b64 v[2:3], v[8:9] offset:2048
.LBB1125_347:
	s_or_b32 exec_lo, exec_lo, s2
	v_add_co_u32 v2, s1, v6, v27
	s_delay_alu instid0(VALU_DEP_1) | instskip(NEXT) | instid1(VALU_DEP_2)
	v_add_co_ci_u32_e64 v3, s1, v7, v28, s1
	v_add_co_u32 v2, s1, v2, v10
	s_delay_alu instid0(VALU_DEP_1)
	v_add_co_ci_u32_e64 v3, s1, v3, v11, s1
	s_and_saveexec_b32 s1, vcc_lo
	s_cbranch_execz .LBB1125_349
; %bb.348:
	flat_store_b64 v[2:3], v[4:5]
.LBB1125_349:
	s_or_b32 exec_lo, exec_lo, s1
	s_and_saveexec_b32 s1, s0
	s_cbranch_execz .LBB1125_351
; %bb.350:
	flat_store_b64 v[2:3], v[0:1] offset:2048
.LBB1125_351:
	s_or_b32 exec_lo, exec_lo, s1
                                        ; implicit-def: $vgpr29_vgpr30
                                        ; implicit-def: $vgpr27_vgpr28
                                        ; implicit-def: $vgpr47
                                        ; implicit-def: $vgpr0
                                        ; implicit-def: $vgpr1
                                        ; implicit-def: $vgpr2
                                        ; implicit-def: $vgpr3
                                        ; implicit-def: $vgpr4
                                        ; implicit-def: $vgpr5
                                        ; implicit-def: $vgpr6
                                        ; implicit-def: $vgpr7
                                        ; implicit-def: $vgpr10
                                        ; implicit-def: $vgpr11
                                        ; implicit-def: $vgpr12
                                        ; implicit-def: $vgpr13
                                        ; implicit-def: $vgpr26
                                        ; implicit-def: $vgpr96
.LBB1125_352:
	s_and_not1_saveexec_b32 s0, s15
	s_cbranch_execz .LBB1125_372
; %bb.353:
	s_delay_alu instid0(VALU_DEP_3) | instskip(SKIP_2) | instid1(VALU_DEP_3)
	v_and_b32_e32 v14, 0xffffffe0, v29
	v_mov_b32_e32 v8, -1
	v_dual_mov_b32 v9, -1 :: v_dual_lshlrev_b32 v16, 3, v96
	v_or_b32_e32 v15, v96, v14
	s_delay_alu instid0(VALU_DEP_1)
	v_cmp_lt_u32_e32 vcc_lo, v15, v47
	s_and_saveexec_b32 s1, vcc_lo
	s_cbranch_execz .LBB1125_355
; %bb.354:
	v_mov_b32_e32 v15, 0
	v_add_co_u32 v8, s0, v0, v27
	s_delay_alu instid0(VALU_DEP_1) | instskip(NEXT) | instid1(VALU_DEP_3)
	v_add_co_ci_u32_e64 v9, s0, v1, v28, s0
	v_lshlrev_b64 v[0:1], 3, v[14:15]
	s_delay_alu instid0(VALU_DEP_3) | instskip(NEXT) | instid1(VALU_DEP_1)
	v_add_co_u32 v8, s0, v8, v16
	v_add_co_ci_u32_e64 v9, s0, 0, v9, s0
	s_delay_alu instid0(VALU_DEP_2) | instskip(NEXT) | instid1(VALU_DEP_1)
	v_add_co_u32 v0, s0, v8, v0
	v_add_co_ci_u32_e64 v1, s0, v9, v1, s0
	flat_load_b64 v[8:9], v[0:1]
.LBB1125_355:
	s_or_b32 exec_lo, exec_lo, s1
                                        ; implicit-def: $vgpr18_vgpr19
	s_and_saveexec_b32 s0, vcc_lo
	s_cbranch_execz .LBB1125_357
; %bb.356:
	v_mov_b32_e32 v15, 0
	v_add_co_u32 v4, vcc_lo, v4, v27
	v_add_co_ci_u32_e32 v5, vcc_lo, v5, v28, vcc_lo
	s_delay_alu instid0(VALU_DEP_3) | instskip(NEXT) | instid1(VALU_DEP_3)
	v_lshlrev_b64 v[0:1], 3, v[14:15]
	v_add_co_u32 v4, vcc_lo, v4, v16
	s_delay_alu instid0(VALU_DEP_3) | instskip(NEXT) | instid1(VALU_DEP_2)
	v_add_co_ci_u32_e32 v5, vcc_lo, 0, v5, vcc_lo
	v_add_co_u32 v0, vcc_lo, v4, v0
	s_delay_alu instid0(VALU_DEP_2)
	v_add_co_ci_u32_e32 v1, vcc_lo, v5, v1, vcc_lo
	flat_load_b64 v[18:19], v[0:1]
.LBB1125_357:
	s_or_b32 exec_lo, exec_lo, s0
	s_waitcnt vmcnt(0) lgkmcnt(0)
	v_cmp_gt_i64_e32 vcc_lo, 0, v[8:9]
	v_ashrrev_i32_e32 v0, 31, v9
	v_lshlrev_b32_e32 v14, 5, v26
	s_mov_b32 s16, 0
	v_add_nc_u32_e32 v17, -1, v96
	s_mov_b32 s17, s16
	v_cndmask_b32_e64 v1, 0x7fffffff, 0, vcc_lo
	v_add_co_u32 v52, vcc_lo, v12, 32
	v_not_b32_e32 v0, v0
	s_mov_b32 s18, s16
	s_mov_b32 s19, s16
	v_and_b32_e32 v15, 0x3e0, v26
	v_add_co_ci_u32_e32 v53, vcc_lo, 0, v13, vcc_lo
	v_xor_b32_e32 v21, v1, v9
	v_mov_b32_e32 v1, 0
	v_add_co_u32 v4, vcc_lo, v12, v14
	v_add_co_ci_u32_e32 v5, vcc_lo, 0, v13, vcc_lo
	v_xor_b32_e32 v20, v0, v8
	v_and_b32_e32 v0, 15, v96
	v_add_co_u32 v8, vcc_lo, v52, v14
	v_min_u32_e32 v14, 0xe0, v15
	v_and_b32_e32 v16, 16, v96
	s_getpc_b64 s[0:1]
	s_add_u32 s0, s0, _ZN7rocprim17ROCPRIM_400000_NS16block_radix_sortIdLj256ELj1ElLj1ELj1ELj8ELNS0_26block_radix_rank_algorithmE2ELNS0_18block_padding_hintE2ELNS0_4arch9wavefront6targetE0EE19radix_bits_per_passE@rel32@lo+4
	s_addc_u32 s1, s1, _ZN7rocprim17ROCPRIM_400000_NS16block_radix_sortIdLj256ELj1ElLj1ELj1ELj8ELNS0_26block_radix_rank_algorithmE2ELNS0_18block_padding_hintE2ELNS0_4arch9wavefront6targetE0EE19radix_bits_per_passE@rel32@hi+12
	v_add_co_ci_u32_e32 v9, vcc_lo, 0, v53, vcc_lo
	s_load_b32 s15, s[0:1], 0x0
	v_cmp_eq_u32_e32 vcc_lo, 0, v0
	v_cmp_lt_u32_e64 s0, 1, v0
	v_cmp_lt_u32_e64 s1, 3, v0
	v_cmp_lt_u32_e64 s2, 7, v0
	v_or_b32_e32 v0, 31, v14
	v_cmp_eq_u32_e64 s3, 0, v16
	v_cmp_gt_i32_e64 s4, 0, v17
	v_lshrrev_b32_e32 v16, 5, v26
	v_lshrrev_b32_e32 v54, 5, v29
	v_cmp_gt_u32_e64 s5, 8, v26
	v_cmp_lt_u32_e64 s6, 31, v26
	v_cndmask_b32_e64 v14, v17, v96, s4
	v_cmp_eq_u32_e64 s4, v0, v26
	v_lshlrev_b32_e32 v0, 2, v16
	v_and_b32_e32 v17, 7, v96
	v_cmp_eq_u32_e64 s7, 0, v96
	v_lshlrev_b32_e32 v55, 2, v14
	v_lshlrev_b32_e32 v14, 2, v26
	v_add_co_u32 v30, s9, v12, v0
	v_add_nc_u32_e32 v0, -1, v16
	v_add_co_ci_u32_e64 v31, s9, 0, v13, s9
	v_or_b32_e32 v16, v96, v15
	v_add_co_u32 v32, s9, v12, v14
	s_delay_alu instid0(VALU_DEP_4) | instskip(SKIP_1) | instid1(VALU_DEP_4)
	v_lshlrev_b64 v[14:15], 2, v[0:1]
	v_add_co_ci_u32_e64 v33, s9, 0, v13, s9
	v_lshlrev_b32_e32 v0, 3, v16
	v_cmp_eq_u32_e64 s9, 0, v17
	v_cmp_lt_u32_e64 s10, 1, v17
	v_add_co_u32 v34, s12, v12, v14
	s_delay_alu instid0(VALU_DEP_1)
	v_add_co_ci_u32_e64 v35, s12, v13, v15, s12
	v_add_co_u32 v36, s12, v12, v0
	v_cmp_lt_u32_e64 s11, 3, v17
	v_mov_b32_e32 v14, s16
	v_cmp_eq_u32_e64 s8, 0, v26
	v_add_co_ci_u32_e64 v37, s12, 0, v13, s12
	v_sub_nc_u32_e32 v64, v11, v10
	v_dual_mov_b32 v15, s17 :: v_dual_mov_b32 v16, s18
	v_mov_b32_e32 v17, s19
	s_brev_b32 s17, 1
	s_waitcnt lgkmcnt(0)
	s_waitcnt_vscnt null, 0x0
	s_barrier
	buffer_gl0_inv
	s_branch .LBB1125_359
.LBB1125_358:                           ;   in Loop: Header=BB1125_359 Depth=1
	s_or_b32 exec_lo, exec_lo, s13
	s_delay_alu instid0(SALU_CYCLE_1) | instskip(NEXT) | instid1(SALU_CYCLE_1)
	s_and_b32 s12, exec_lo, s14
	s_or_b32 s18, s12, s18
	s_delay_alu instid0(SALU_CYCLE_1)
	s_and_not1_b32 exec_lo, exec_lo, s18
	s_cbranch_execz .LBB1125_369
.LBB1125_359:                           ; =>This Inner Loop Header: Depth=1
	v_dual_mov_b32 v39, v21 :: v_dual_mov_b32 v38, v20
	v_min_u32_e32 v0, s15, v64
	s_clause 0x1
	flat_store_b128 v[4:5], v[14:17] offset:32
	flat_store_b128 v[8:9], v[14:17] offset:16
	s_waitcnt lgkmcnt(0)
	s_waitcnt_vscnt null, 0x0
	s_barrier
	v_cmp_ne_u64_e64 s12, s[16:17], v[38:39]
	buffer_gl0_inv
	; wave barrier
	v_cndmask_b32_e64 v21, 0x7fffffff, v39, s12
	v_cndmask_b32_e64 v20, -1, v38, s12
	s_delay_alu instid0(VALU_DEP_1) | instskip(NEXT) | instid1(VALU_DEP_1)
	v_lshrrev_b64 v[20:21], v10, v[20:21]
	v_bfe_u32 v0, v20, 0, v0
	s_delay_alu instid0(VALU_DEP_1)
	v_and_b32_e32 v20, 1, v0
	v_lshlrev_b32_e32 v21, 30, v0
	v_lshlrev_b32_e32 v22, 29, v0
	;; [unrolled: 1-line block ×4, first 2 shown]
	v_add_co_u32 v20, s12, v20, -1
	s_delay_alu instid0(VALU_DEP_1)
	v_cndmask_b32_e64 v24, 0, 1, s12
	v_not_b32_e32 v50, v21
	v_cmp_gt_i32_e64 s13, 0, v21
	v_not_b32_e32 v21, v22
	v_lshlrev_b32_e32 v48, 26, v0
	v_cmp_ne_u32_e64 s12, 0, v24
	v_ashrrev_i32_e32 v50, 31, v50
	v_lshlrev_b32_e32 v49, 25, v0
	v_ashrrev_i32_e32 v21, 31, v21
	v_lshlrev_b32_e32 v24, 24, v0
	v_xor_b32_e32 v20, s12, v20
	v_cmp_gt_i32_e64 s12, 0, v22
	v_not_b32_e32 v22, v23
	v_xor_b32_e32 v50, s13, v50
	v_cmp_gt_i32_e64 s13, 0, v23
	v_and_b32_e32 v20, exec_lo, v20
	v_not_b32_e32 v23, v25
	v_ashrrev_i32_e32 v22, 31, v22
	v_xor_b32_e32 v21, s12, v21
	v_cmp_gt_i32_e64 s12, 0, v25
	v_and_b32_e32 v20, v20, v50
	v_not_b32_e32 v25, v48
	v_ashrrev_i32_e32 v23, 31, v23
	v_xor_b32_e32 v22, s13, v22
	v_cmp_gt_i32_e64 s13, 0, v48
	v_and_b32_e32 v20, v20, v21
	;; [unrolled: 5-line block ×4, first 2 shown]
	v_ashrrev_i32_e32 v22, 31, v22
	v_xor_b32_e32 v21, s12, v21
	v_lshl_add_u32 v0, v0, 3, v54
	v_dual_mov_b32 v49, v19 :: v_dual_mov_b32 v48, v18
	v_and_b32_e32 v20, v20, v25
	v_xor_b32_e32 v22, s13, v22
	s_delay_alu instid0(VALU_DEP_4) | instskip(NEXT) | instid1(VALU_DEP_3)
	v_lshlrev_b64 v[18:19], 2, v[0:1]
	v_and_b32_e32 v20, v20, v21
	s_delay_alu instid0(VALU_DEP_2) | instskip(NEXT) | instid1(VALU_DEP_2)
	v_add_co_u32 v50, s14, v52, v18
	v_and_b32_e32 v20, v20, v22
	s_delay_alu instid0(VALU_DEP_4) | instskip(NEXT) | instid1(VALU_DEP_2)
	v_add_co_ci_u32_e64 v51, s14, v53, v19, s14
	v_mbcnt_lo_u32_b32 v65, v20, 0
	v_cmp_ne_u32_e64 s12, 0, v20
	s_delay_alu instid0(VALU_DEP_2) | instskip(NEXT) | instid1(VALU_DEP_1)
	v_cmp_eq_u32_e64 s13, 0, v65
	s_and_b32 s13, s12, s13
	s_delay_alu instid0(SALU_CYCLE_1)
	s_and_saveexec_b32 s12, s13
	s_cbranch_execz .LBB1125_361
; %bb.360:                              ;   in Loop: Header=BB1125_359 Depth=1
	v_bcnt_u32_b32 v0, v20, 0
	flat_store_b32 v[50:51], v0
.LBB1125_361:                           ;   in Loop: Header=BB1125_359 Depth=1
	s_or_b32 exec_lo, exec_lo, s12
	; wave barrier
	s_waitcnt lgkmcnt(0)
	s_waitcnt_vscnt null, 0x0
	s_barrier
	buffer_gl0_inv
	s_clause 0x1
	flat_load_b128 v[22:25], v[4:5] offset:32
	flat_load_b128 v[18:21], v[8:9] offset:16
	s_waitcnt vmcnt(1) lgkmcnt(1)
	v_add_nc_u32_e32 v0, v23, v22
	s_delay_alu instid0(VALU_DEP_1) | instskip(SKIP_1) | instid1(VALU_DEP_1)
	v_add3_u32 v0, v0, v24, v25
	s_waitcnt vmcnt(0) lgkmcnt(0)
	v_add3_u32 v0, v0, v18, v19
	s_delay_alu instid0(VALU_DEP_1) | instskip(NEXT) | instid1(VALU_DEP_1)
	v_add3_u32 v0, v0, v20, v21
	v_mov_b32_dpp v21, v0 row_shr:1 row_mask:0xf bank_mask:0xf
	s_delay_alu instid0(VALU_DEP_1) | instskip(NEXT) | instid1(VALU_DEP_1)
	v_cndmask_b32_e64 v21, v21, 0, vcc_lo
	v_add_nc_u32_e32 v0, v21, v0
	s_delay_alu instid0(VALU_DEP_1) | instskip(NEXT) | instid1(VALU_DEP_1)
	v_mov_b32_dpp v21, v0 row_shr:2 row_mask:0xf bank_mask:0xf
	v_cndmask_b32_e64 v21, 0, v21, s0
	s_delay_alu instid0(VALU_DEP_1) | instskip(NEXT) | instid1(VALU_DEP_1)
	v_add_nc_u32_e32 v0, v0, v21
	v_mov_b32_dpp v21, v0 row_shr:4 row_mask:0xf bank_mask:0xf
	s_delay_alu instid0(VALU_DEP_1) | instskip(NEXT) | instid1(VALU_DEP_1)
	v_cndmask_b32_e64 v21, 0, v21, s1
	v_add_nc_u32_e32 v0, v0, v21
	s_delay_alu instid0(VALU_DEP_1) | instskip(NEXT) | instid1(VALU_DEP_1)
	v_mov_b32_dpp v21, v0 row_shr:8 row_mask:0xf bank_mask:0xf
	v_cndmask_b32_e64 v21, 0, v21, s2
	s_delay_alu instid0(VALU_DEP_1) | instskip(SKIP_3) | instid1(VALU_DEP_1)
	v_add_nc_u32_e32 v0, v0, v21
	ds_swizzle_b32 v21, v0 offset:swizzle(BROADCAST,32,15)
	s_waitcnt lgkmcnt(0)
	v_cndmask_b32_e64 v21, v21, 0, s3
	v_add_nc_u32_e32 v0, v0, v21
	s_and_saveexec_b32 s12, s4
	s_cbranch_execz .LBB1125_363
; %bb.362:                              ;   in Loop: Header=BB1125_359 Depth=1
	flat_store_b32 v[30:31], v0
.LBB1125_363:                           ;   in Loop: Header=BB1125_359 Depth=1
	s_or_b32 exec_lo, exec_lo, s12
	s_waitcnt lgkmcnt(0)
	s_waitcnt_vscnt null, 0x0
	s_barrier
	buffer_gl0_inv
	s_and_saveexec_b32 s12, s5
	s_cbranch_execz .LBB1125_365
; %bb.364:                              ;   in Loop: Header=BB1125_359 Depth=1
	flat_load_b32 v21, v[32:33]
	s_waitcnt vmcnt(0) lgkmcnt(0)
	v_mov_b32_dpp v66, v21 row_shr:1 row_mask:0xf bank_mask:0xf
	s_delay_alu instid0(VALU_DEP_1) | instskip(NEXT) | instid1(VALU_DEP_1)
	v_cndmask_b32_e64 v66, v66, 0, s9
	v_add_nc_u32_e32 v21, v66, v21
	s_delay_alu instid0(VALU_DEP_1) | instskip(NEXT) | instid1(VALU_DEP_1)
	v_mov_b32_dpp v66, v21 row_shr:2 row_mask:0xf bank_mask:0xf
	v_cndmask_b32_e64 v66, 0, v66, s10
	s_delay_alu instid0(VALU_DEP_1) | instskip(NEXT) | instid1(VALU_DEP_1)
	v_add_nc_u32_e32 v21, v21, v66
	v_mov_b32_dpp v66, v21 row_shr:4 row_mask:0xf bank_mask:0xf
	s_delay_alu instid0(VALU_DEP_1) | instskip(NEXT) | instid1(VALU_DEP_1)
	v_cndmask_b32_e64 v66, 0, v66, s11
	v_add_nc_u32_e32 v21, v21, v66
	flat_store_b32 v[32:33], v21
.LBB1125_365:                           ;   in Loop: Header=BB1125_359 Depth=1
	s_or_b32 exec_lo, exec_lo, s12
	v_mov_b32_e32 v21, 0
	s_waitcnt lgkmcnt(0)
	s_waitcnt_vscnt null, 0x0
	s_barrier
	buffer_gl0_inv
	s_and_saveexec_b32 s12, s6
	s_cbranch_execz .LBB1125_367
; %bb.366:                              ;   in Loop: Header=BB1125_359 Depth=1
	flat_load_b32 v21, v[34:35]
.LBB1125_367:                           ;   in Loop: Header=BB1125_359 Depth=1
	s_or_b32 exec_lo, exec_lo, s12
	s_waitcnt vmcnt(0) lgkmcnt(0)
	v_add_nc_u32_e32 v0, v21, v0
	v_add_nc_u32_e32 v10, 8, v10
	s_mov_b32 s14, -1
	ds_bpermute_b32 v0, v55, v0
	s_waitcnt lgkmcnt(0)
	v_cndmask_b32_e64 v0, v0, v21, s7
	s_delay_alu instid0(VALU_DEP_1) | instskip(NEXT) | instid1(VALU_DEP_1)
	v_cndmask_b32_e64 v21, v0, 0, s8
	v_add_nc_u32_e32 v22, v21, v22
	s_delay_alu instid0(VALU_DEP_1) | instskip(NEXT) | instid1(VALU_DEP_1)
	v_add_nc_u32_e32 v23, v22, v23
	v_add_nc_u32_e32 v24, v23, v24
	s_delay_alu instid0(VALU_DEP_1) | instskip(NEXT) | instid1(VALU_DEP_1)
	v_add_nc_u32_e32 v66, v24, v25
	;; [unrolled: 3-line block ×3, first 2 shown]
	v_add_nc_u32_e32 v69, v68, v20
	s_clause 0x1
	flat_store_b128 v[4:5], v[21:24] offset:32
	flat_store_b128 v[8:9], v[66:69] offset:16
	s_waitcnt lgkmcnt(0)
	s_waitcnt_vscnt null, 0x0
	s_barrier
	buffer_gl0_inv
	flat_load_b32 v0, v[50:51]
	s_waitcnt vmcnt(0) lgkmcnt(0)
	s_waitcnt_vscnt null, 0x0
                                        ; implicit-def: $vgpr20_vgpr21
	s_waitcnt vmcnt(0) lgkmcnt(0)
	v_add_nc_u32_e32 v0, v0, v65
	s_delay_alu instid0(VALU_DEP_1) | instskip(NEXT) | instid1(VALU_DEP_1)
	v_lshlrev_b64 v[18:19], 3, v[0:1]
	v_add_co_u32 v22, s13, v12, v18
	s_delay_alu instid0(VALU_DEP_1)
	v_add_co_ci_u32_e64 v23, s13, v13, v19, s13
	s_mov_b32 s13, exec_lo
                                        ; implicit-def: $vgpr18_vgpr19
	v_cmpx_lt_u32_e64 v10, v11
	s_cbranch_execz .LBB1125_358
; %bb.368:                              ;   in Loop: Header=BB1125_359 Depth=1
	s_barrier
	buffer_gl0_inv
	flat_store_b64 v[22:23], v[38:39]
	s_waitcnt lgkmcnt(0)
	s_waitcnt_vscnt null, 0x0
	s_barrier
	buffer_gl0_inv
	flat_load_b64 v[20:21], v[36:37]
	s_waitcnt vmcnt(0) lgkmcnt(0)
	s_barrier
	buffer_gl0_inv
	flat_store_b64 v[22:23], v[48:49]
	s_waitcnt lgkmcnt(0)
	s_waitcnt_vscnt null, 0x0
	s_barrier
	buffer_gl0_inv
	flat_load_b64 v[18:19], v[36:37]
	v_add_nc_u32_e32 v64, -8, v64
	s_xor_b32 s14, exec_lo, -1
	s_waitcnt vmcnt(0) lgkmcnt(0)
	s_barrier
	buffer_gl0_inv
	s_branch .LBB1125_358
.LBB1125_369:
	s_or_b32 exec_lo, exec_lo, s18
	v_lshlrev_b32_e32 v0, 3, v26
	s_barrier
	buffer_gl0_inv
	flat_store_b64 v[22:23], v[38:39]
	s_waitcnt lgkmcnt(0)
	s_waitcnt_vscnt null, 0x0
	v_add_co_u32 v4, vcc_lo, v12, v0
	v_add_co_ci_u32_e32 v5, vcc_lo, 0, v13, vcc_lo
	s_barrier
	buffer_gl0_inv
	v_mov_b32_e32 v30, 0
	flat_load_b64 v[0:1], v[4:5]
	s_waitcnt vmcnt(0) lgkmcnt(0)
	s_barrier
	buffer_gl0_inv
	flat_store_b64 v[22:23], v[48:49]
	s_waitcnt lgkmcnt(0)
	s_waitcnt_vscnt null, 0x0
	s_barrier
	buffer_gl0_inv
	flat_load_b64 v[4:5], v[4:5]
	s_mov_b32 s0, exec_lo
	s_waitcnt vmcnt(0) lgkmcnt(0)
	s_barrier
	buffer_gl0_inv
	v_cmpx_lt_u32_e64 v29, v47
	s_cbranch_execz .LBB1125_371
; %bb.370:
	v_add_co_u32 v2, vcc_lo, v2, v27
	v_add_co_ci_u32_e32 v3, vcc_lo, v3, v28, vcc_lo
	v_lshlrev_b64 v[8:9], 3, v[29:30]
	v_cmp_gt_i64_e32 vcc_lo, 0, v[0:1]
	v_ashrrev_i32_e32 v11, 31, v1
	s_delay_alu instid0(VALU_DEP_1)
	v_not_b32_e32 v11, v11
	v_cndmask_b32_e64 v10, 0x7fffffff, 0, vcc_lo
	v_add_co_u32 v2, vcc_lo, v2, v8
	v_add_co_ci_u32_e32 v3, vcc_lo, v3, v9, vcc_lo
	v_add_co_u32 v6, vcc_lo, v6, v27
	v_add_co_ci_u32_e32 v7, vcc_lo, v7, v28, vcc_lo
	v_xor_b32_e32 v1, v10, v1
	s_delay_alu instid0(VALU_DEP_3) | instskip(SKIP_1) | instid1(VALU_DEP_4)
	v_add_co_u32 v6, vcc_lo, v6, v8
	v_xor_b32_e32 v0, v11, v0
	v_add_co_ci_u32_e32 v7, vcc_lo, v7, v9, vcc_lo
	flat_store_b64 v[2:3], v[0:1]
	flat_store_b64 v[6:7], v[4:5]
.LBB1125_371:
	s_or_b32 exec_lo, exec_lo, s0
.LBB1125_372:
	s_delay_alu instid0(SALU_CYCLE_1)
	s_or_b32 exec_lo, exec_lo, s26
	s_clause 0x1f
	scratch_load_b32 v127, off, s32
	scratch_load_b32 v126, off, s32 offset:4
	scratch_load_b32 v125, off, s32 offset:8
	;; [unrolled: 1-line block ×31, first 2 shown]
	s_clause 0xf
	scratch_load_b32 v63, off, s32 offset:128
	scratch_load_b32 v62, off, s32 offset:132
	;; [unrolled: 1-line block ×16, first 2 shown]
	v_readlane_b32 s43, v136, 7
	v_readlane_b32 s42, v136, 6
	v_readlane_b32 s41, v136, 5
	v_readlane_b32 s40, v136, 4
	v_readlane_b32 s39, v136, 3
	v_readlane_b32 s38, v136, 2
	v_readlane_b32 s37, v136, 1
	v_readlane_b32 s36, v136, 0
	s_or_saveexec_b32 s0, -1
	scratch_load_b32 v136, off, s32 offset:192 ; 4-byte Folded Reload
	s_mov_b32 exec_lo, s0
	s_waitcnt vmcnt(0) lgkmcnt(0)
	s_setpc_b64 s[30:31]
.Lfunc_end1125:
	.size	_ZN7rocprim17ROCPRIM_400000_NS6detail40segmented_radix_sort_single_block_helperIdlLj256ELj16ELb1EE4sortIPKdPdPKlPlEEbT_T0_T1_T2_jjjjRNS3_12storage_typeE, .Lfunc_end1125-_ZN7rocprim17ROCPRIM_400000_NS6detail40segmented_radix_sort_single_block_helperIdlLj256ELj16ELb1EE4sortIPKdPdPKlPlEEbT_T0_T1_T2_jjjjRNS3_12storage_typeE
                                        ; -- End function
	.section	.AMDGPU.csdata,"",@progbits
; Function info:
; codeLenInByte = 34688
; NumSgprs: 46
; NumVgprs: 248
; ScratchSize: 200
; MemoryBound: 1
	.section	.text._ZN7rocprim17ROCPRIM_400000_NS6detail17trampoline_kernelINS0_14default_configENS1_36segmented_radix_sort_config_selectorIdlEEZNS1_25segmented_radix_sort_implIS3_Lb1EPKdPdPKlPlN2at6native12_GLOBAL__N_18offset_tEEE10hipError_tPvRmT1_PNSt15iterator_traitsISK_E10value_typeET2_T3_PNSL_ISQ_E10value_typeET4_jRbjT5_SW_jjP12ihipStream_tbEUlT_E_NS1_11comp_targetILNS1_3genE9ELNS1_11target_archE1100ELNS1_3gpuE3ELNS1_3repE0EEENS1_30default_config_static_selectorELNS0_4arch9wavefront6targetE0EEEvSK_,"axG",@progbits,_ZN7rocprim17ROCPRIM_400000_NS6detail17trampoline_kernelINS0_14default_configENS1_36segmented_radix_sort_config_selectorIdlEEZNS1_25segmented_radix_sort_implIS3_Lb1EPKdPdPKlPlN2at6native12_GLOBAL__N_18offset_tEEE10hipError_tPvRmT1_PNSt15iterator_traitsISK_E10value_typeET2_T3_PNSL_ISQ_E10value_typeET4_jRbjT5_SW_jjP12ihipStream_tbEUlT_E_NS1_11comp_targetILNS1_3genE9ELNS1_11target_archE1100ELNS1_3gpuE3ELNS1_3repE0EEENS1_30default_config_static_selectorELNS0_4arch9wavefront6targetE0EEEvSK_,comdat
	.globl	_ZN7rocprim17ROCPRIM_400000_NS6detail17trampoline_kernelINS0_14default_configENS1_36segmented_radix_sort_config_selectorIdlEEZNS1_25segmented_radix_sort_implIS3_Lb1EPKdPdPKlPlN2at6native12_GLOBAL__N_18offset_tEEE10hipError_tPvRmT1_PNSt15iterator_traitsISK_E10value_typeET2_T3_PNSL_ISQ_E10value_typeET4_jRbjT5_SW_jjP12ihipStream_tbEUlT_E_NS1_11comp_targetILNS1_3genE9ELNS1_11target_archE1100ELNS1_3gpuE3ELNS1_3repE0EEENS1_30default_config_static_selectorELNS0_4arch9wavefront6targetE0EEEvSK_ ; -- Begin function _ZN7rocprim17ROCPRIM_400000_NS6detail17trampoline_kernelINS0_14default_configENS1_36segmented_radix_sort_config_selectorIdlEEZNS1_25segmented_radix_sort_implIS3_Lb1EPKdPdPKlPlN2at6native12_GLOBAL__N_18offset_tEEE10hipError_tPvRmT1_PNSt15iterator_traitsISK_E10value_typeET2_T3_PNSL_ISQ_E10value_typeET4_jRbjT5_SW_jjP12ihipStream_tbEUlT_E_NS1_11comp_targetILNS1_3genE9ELNS1_11target_archE1100ELNS1_3gpuE3ELNS1_3repE0EEENS1_30default_config_static_selectorELNS0_4arch9wavefront6targetE0EEEvSK_
	.p2align	8
	.type	_ZN7rocprim17ROCPRIM_400000_NS6detail17trampoline_kernelINS0_14default_configENS1_36segmented_radix_sort_config_selectorIdlEEZNS1_25segmented_radix_sort_implIS3_Lb1EPKdPdPKlPlN2at6native12_GLOBAL__N_18offset_tEEE10hipError_tPvRmT1_PNSt15iterator_traitsISK_E10value_typeET2_T3_PNSL_ISQ_E10value_typeET4_jRbjT5_SW_jjP12ihipStream_tbEUlT_E_NS1_11comp_targetILNS1_3genE9ELNS1_11target_archE1100ELNS1_3gpuE3ELNS1_3repE0EEENS1_30default_config_static_selectorELNS0_4arch9wavefront6targetE0EEEvSK_,@function
_ZN7rocprim17ROCPRIM_400000_NS6detail17trampoline_kernelINS0_14default_configENS1_36segmented_radix_sort_config_selectorIdlEEZNS1_25segmented_radix_sort_implIS3_Lb1EPKdPdPKlPlN2at6native12_GLOBAL__N_18offset_tEEE10hipError_tPvRmT1_PNSt15iterator_traitsISK_E10value_typeET2_T3_PNSL_ISQ_E10value_typeET4_jRbjT5_SW_jjP12ihipStream_tbEUlT_E_NS1_11comp_targetILNS1_3genE9ELNS1_11target_archE1100ELNS1_3gpuE3ELNS1_3repE0EEENS1_30default_config_static_selectorELNS0_4arch9wavefront6targetE0EEEvSK_: ; @_ZN7rocprim17ROCPRIM_400000_NS6detail17trampoline_kernelINS0_14default_configENS1_36segmented_radix_sort_config_selectorIdlEEZNS1_25segmented_radix_sort_implIS3_Lb1EPKdPdPKlPlN2at6native12_GLOBAL__N_18offset_tEEE10hipError_tPvRmT1_PNSt15iterator_traitsISK_E10value_typeET2_T3_PNSL_ISQ_E10value_typeET4_jRbjT5_SW_jjP12ihipStream_tbEUlT_E_NS1_11comp_targetILNS1_3genE9ELNS1_11target_archE1100ELNS1_3gpuE3ELNS1_3repE0EEENS1_30default_config_static_selectorELNS0_4arch9wavefront6targetE0EEEvSK_
; %bb.0:
	s_clause 0x1
	s_load_b64 s[2:3], s[0:1], 0x38
	s_load_b128 s[4:7], s[0:1], 0x40
	s_mov_b32 s34, s14
	s_mov_b32 s35, 0
	;; [unrolled: 1-line block ×3, first 2 shown]
	s_lshl_b64 s[8:9], s[34:35], 2
	s_waitcnt lgkmcnt(0)
	s_add_u32 s2, s2, s8
	s_addc_u32 s3, s3, s9
	s_load_b32 s2, s[2:3], 0x0
	s_waitcnt lgkmcnt(0)
	s_add_i32 s33, s2, s5
	s_add_i32 s35, s2, s7
	s_mul_i32 s33, s33, s4
	s_mul_i32 s35, s35, s6
	s_delay_alu instid0(SALU_CYCLE_1)
	s_cmp_le_u32 s35, s33
	s_cbranch_scc1 .LBB1126_1194
; %bb.1:
	s_clause 0x3
	s_load_b32 s2, s[0:1], 0x30
	s_load_b128 s[52:55], s[0:1], 0x20
	s_load_b128 s[56:59], s[0:1], 0x50
	s_load_b256 s[44:51], s[0:1], 0x0
	s_waitcnt lgkmcnt(0)
	s_bitcmp1_b32 s2, 0
	s_mov_b32 s2, -1
	s_cselect_b32 s59, -1, 0
	s_sub_i32 s62, s35, s33
	s_delay_alu instid0(SALU_CYCLE_1)
	s_cmpk_lt_u32 s62, 0x1001
	s_cbranch_scc0 .LBB1126_7
; %bb.2:
	v_cndmask_b32_e64 v1, 0, 1, s59
	s_and_b32 s2, s56, 1
	s_delay_alu instid0(VALU_DEP_1) | instid1(SALU_CYCLE_1)
	v_cmp_ne_u32_e32 vcc_lo, s2, v1
	s_mov_b32 s2, -1
	s_cbranch_vccnz .LBB1126_4
; %bb.3:
	s_mov_b64 s[2:3], src_shared_base
	v_mov_b32_e32 v31, v0
	v_dual_mov_b32 v40, v0 :: v_dual_mov_b32 v1, s45
	v_mov_b32_e32 v0, s44
	v_dual_mov_b32 v2, s48 :: v_dual_mov_b32 v3, s49
	v_dual_mov_b32 v4, s50 :: v_dual_mov_b32 v5, s51
	;; [unrolled: 1-line block ×6, first 2 shown]
	s_add_u32 s8, s0, 0x60
	s_addc_u32 s9, s1, 0
	s_mov_b32 s12, s34
	s_mov_b32 s13, s15
	s_getpc_b64 s[4:5]
	s_add_u32 s4, s4, _ZN7rocprim17ROCPRIM_400000_NS6detail40segmented_radix_sort_single_block_helperIdlLj256ELj16ELb1EE4sortIPKdPdPKlPlEEbT_T0_T1_T2_jjjjRNS3_12storage_typeE@rel32@lo+4
	s_addc_u32 s5, s5, _ZN7rocprim17ROCPRIM_400000_NS6detail40segmented_radix_sort_single_block_helperIdlLj256ELj16ELb1EE4sortIPKdPdPKlPlEEbT_T0_T1_T2_jjjjRNS3_12storage_typeE@rel32@hi+12
	s_mov_b64 s[60:61], s[0:1]
	s_mov_b32 s29, s15
	s_swappc_b64 s[30:31], s[4:5]
	v_mov_b32_e32 v0, v40
	s_mov_b32 s15, s29
	s_mov_b64 s[0:1], s[60:61]
	s_mov_b32 s2, 0
.LBB1126_4:
	s_delay_alu instid0(SALU_CYCLE_1)
	s_and_not1_b32 vcc_lo, exec_lo, s2
	s_cbranch_vccnz .LBB1126_6
; %bb.5:
	s_mov_b64 s[2:3], src_shared_base
	v_mov_b32_e32 v31, v0
	v_dual_mov_b32 v40, v0 :: v_dual_mov_b32 v1, s45
	v_mov_b32_e32 v0, s44
	v_dual_mov_b32 v2, s46 :: v_dual_mov_b32 v3, s47
	v_dual_mov_b32 v4, s50 :: v_dual_mov_b32 v5, s51
	;; [unrolled: 1-line block ×6, first 2 shown]
	s_add_u32 s8, s0, 0x60
	s_addc_u32 s9, s1, 0
	s_mov_b32 s12, s34
	s_mov_b32 s13, s15
	s_getpc_b64 s[4:5]
	s_add_u32 s4, s4, _ZN7rocprim17ROCPRIM_400000_NS6detail40segmented_radix_sort_single_block_helperIdlLj256ELj16ELb1EE4sortIPKdPdPKlPlEEbT_T0_T1_T2_jjjjRNS3_12storage_typeE@rel32@lo+4
	s_addc_u32 s5, s5, _ZN7rocprim17ROCPRIM_400000_NS6detail40segmented_radix_sort_single_block_helperIdlLj256ELj16ELb1EE4sortIPKdPdPKlPlEEbT_T0_T1_T2_jjjjRNS3_12storage_typeE@rel32@hi+12
	s_mov_b64 s[60:61], s[0:1]
	s_mov_b32 s29, s15
	s_swappc_b64 s[30:31], s[4:5]
	v_mov_b32_e32 v0, v40
	s_mov_b32 s15, s29
	s_mov_b64 s[0:1], s[60:61]
.LBB1126_6:
	s_mov_b32 s2, 0
.LBB1126_7:
	s_delay_alu instid0(SALU_CYCLE_1)
	s_and_not1_b32 vcc_lo, exec_lo, s2
	s_cbranch_vccnz .LBB1126_1194
; %bb.8:
	s_cmp_ge_u32 s57, s58
	s_cbranch_scc1 .LBB1126_1194
; %bb.9:
	v_and_b32_e32 v1, 0x3ff, v0
	v_mov_b32_e32 v3, 0
	v_bfe_u32 v101, v0, 20, 10
	s_add_u32 s38, s0, 0x60
	v_bfe_u32 v0, v0, 10, 10
	v_lshlrev_b32_e32 v76, 2, v1
	v_lshrrev_b32_e32 v4, 3, v1
	v_lshlrev_b32_e32 v6, 5, v1
	v_dual_mov_b32 v123, 1 :: v_dual_lshlrev_b32 v2, 3, v1
	s_delay_alu instid0(VALU_DEP_4) | instskip(NEXT) | instid1(VALU_DEP_4)
	v_mad_u32_u24 v96, v1, 12, v76
	v_and_b32_e32 v94, 28, v4
	v_lshlrev_b32_e32 v4, 4, v1
	v_or_b32_e32 v5, 31, v1
	v_or_b32_e32 v78, 0x200, v1
	v_mad_u32_u24 v102, v1, 20, v96
	v_or_b32_e32 v79, 0x300, v1
	v_and_b32_e32 v100, 0xe00, v4
	v_cmp_eq_u32_e64 s3, v5, v1
	v_mul_u32_u24_e32 v4, 9, v1
	v_sub_nc_u32_e32 v104, v102, v6
	v_add_nc_u32_e32 v5, 1, v1
	v_lshlrev_b32_e32 v6, 3, v100
	v_or_b32_e32 v83, 0x400, v1
	v_or_b32_e32 v84, 0x500, v1
	;; [unrolled: 1-line block ×4, first 2 shown]
	v_add_co_u32 v106, s7, s54, v6
	s_delay_alu instid0(VALU_DEP_1) | instskip(SKIP_1) | instid1(VALU_DEP_1)
	v_add_co_ci_u32_e64 v107, null, s55, 0, s7
	v_add_co_u32 v108, s7, s48, v6
	v_add_co_ci_u32_e64 v109, null, s49, 0, s7
	v_add_co_u32 v111, s7, s46, v2
	s_delay_alu instid0(VALU_DEP_1) | instskip(SKIP_1) | instid1(VALU_DEP_1)
	v_add_co_ci_u32_e64 v112, null, s47, 0, s7
	v_add_co_u32 v113, s7, s52, v6
	v_add_co_ci_u32_e64 v114, null, s53, 0, s7
	v_add_co_u32 v115, s7, s46, v6
	s_delay_alu instid0(VALU_DEP_1)
	v_add_co_ci_u32_e64 v116, null, s47, 0, s7
	v_add_co_u32 v117, s7, s44, v2
	v_or_b32_e32 v87, 0x800, v1
	v_or_b32_e32 v88, 0x900, v1
	;; [unrolled: 1-line block ×5, first 2 shown]
	v_lshl_add_u32 v103, v4, 2, 0x420
	v_mul_u32_u24_e32 v4, 9, v5
	v_add_co_ci_u32_e64 v118, null, s45, 0, s7
	v_add_co_u32 v119, s7, s50, v6
	v_add_co_u32 v81, s2, s48, v2
	v_add_co_ci_u32_e64 v120, null, s51, 0, s7
	v_add_co_u32 v121, s7, s44, v6
	v_or_b32_e32 v77, 0x100, v1
	v_and_b32_e32 v80, 3, v1
	v_add_co_ci_u32_e64 v82, null, s49, 0, s2
	v_or_b32_e32 v92, 0xd00, v1
	v_or_b32_e32 v93, 0xe00, v1
	;; [unrolled: 1-line block ×3, first 2 shown]
	v_cmp_gt_u32_e64 s2, 0x100, v1
	v_or_b32_e32 v97, 0x8400, v94
	v_cmp_gt_u32_e64 s4, 8, v1
	v_add_nc_u32_e32 v98, 0x8400, v76
	v_cmp_lt_u32_e64 s5, 31, v1
	v_add_nc_u32_e32 v99, 0x83fc, v94
	v_cmp_eq_u32_e64 s0, 0, v1
	v_cmp_ne_u32_e64 s6, 0x100, v5
	v_lshlrev_b32_e32 v105, 2, v4
	v_add_nc_u32_e32 v110, 0x400, v2
	v_add_co_ci_u32_e64 v122, null, s45, 0, s7
	v_lshlrev_b32_e32 v124, 3, v1
	v_lshlrev_b32_e32 v125, 3, v78
	;; [unrolled: 1-line block ×12, first 2 shown]
	v_mbcnt_lo_u32_b32 v136, -1, 0
	s_mov_b32 s36, 0
	s_brev_b32 s37, 1
	s_addc_u32 s39, s1, 0
	s_mov_b32 s42, s57
	s_mov_b32 s43, s57
	s_branch .LBB1126_12
.LBB1126_10:                            ;   in Loop: Header=BB1126_12 Depth=1
	s_waitcnt lgkmcnt(0)
	s_barrier
.LBB1126_11:                            ;   in Loop: Header=BB1126_12 Depth=1
	s_add_i32 s43, s43, 8
	buffer_gl0_inv
	s_cmp_ge_u32 s43, s58
	s_cbranch_scc1 .LBB1126_1194
.LBB1126_12:                            ; =>This Loop Header: Depth=1
                                        ;     Child Loop BB1126_16 Depth 2
                                        ;     Child Loop BB1126_98 Depth 2
	;; [unrolled: 1-line block ×8, first 2 shown]
	s_sub_i32 s1, s58, s43
	s_xor_b32 s59, s59, -1
	s_min_u32 s50, s1, 8
	s_cmp_lg_u32 s43, s57
	s_mov_b32 s1, -1
	ds_store_2addr_stride64_b32 v76, v3, v3 offset1:4
	ds_store_2addr_stride64_b32 v76, v3, v3 offset0:8 offset1:12
	s_waitcnt lgkmcnt(0)
	s_waitcnt_vscnt null, 0x0
	s_cbranch_scc0 .LBB1126_604
; %bb.13:                               ;   in Loop: Header=BB1126_12 Depth=1
	s_lshl_b32 s1, -1, s50
	s_and_b32 vcc_lo, exec_lo, s59
	s_not_b32 s51, s1
	s_mov_b32 s1, -1
	s_cbranch_vccz .LBB1126_308
; %bb.14:                               ;   in Loop: Header=BB1126_12 Depth=1
	s_mov_b32 s1, s62
	s_mov_b32 s8, s33
	s_barrier
	buffer_gl0_inv
                                        ; implicit-def: $vgpr34_vgpr35
                                        ; implicit-def: $vgpr4_vgpr5
                                        ; implicit-def: $vgpr6_vgpr7
                                        ; implicit-def: $vgpr8_vgpr9
                                        ; implicit-def: $vgpr10_vgpr11
                                        ; implicit-def: $vgpr12_vgpr13
                                        ; implicit-def: $vgpr14_vgpr15
                                        ; implicit-def: $vgpr16_vgpr17
                                        ; implicit-def: $vgpr18_vgpr19
                                        ; implicit-def: $vgpr20_vgpr21
                                        ; implicit-def: $vgpr22_vgpr23
                                        ; implicit-def: $vgpr24_vgpr25
                                        ; implicit-def: $vgpr26_vgpr27
                                        ; implicit-def: $vgpr28_vgpr29
                                        ; implicit-def: $vgpr30_vgpr31
                                        ; implicit-def: $vgpr32_vgpr33
	s_branch .LBB1126_16
.LBB1126_15:                            ;   in Loop: Header=BB1126_16 Depth=2
	s_or_b32 exec_lo, exec_lo, s8
	s_addk_i32 s1, 0xf000
	s_cmp_ge_u32 s7, s35
	s_mov_b32 s8, s7
	s_cbranch_scc1 .LBB1126_86
.LBB1126_16:                            ;   Parent Loop BB1126_12 Depth=1
                                        ; =>  This Inner Loop Header: Depth=2
	s_add_i32 s7, s8, 0x1000
	s_delay_alu instid0(SALU_CYCLE_1)
	s_cmp_gt_u32 s7, s35
	s_cbranch_scc1 .LBB1126_19
; %bb.17:                               ;   in Loop: Header=BB1126_16 Depth=2
	s_mov_b32 s9, 0
	s_movk_i32 s13, 0x1000
	s_lshl_b64 s[10:11], s[8:9], 3
	s_mov_b32 s12, -1
	v_add_co_u32 v36, vcc_lo, v81, s10
	v_add_co_ci_u32_e32 v37, vcc_lo, s11, v82, vcc_lo
	s_waitcnt vmcnt(12)
	s_delay_alu instid0(VALU_DEP_2) | instskip(NEXT) | instid1(VALU_DEP_2)
	v_add_co_u32 v42, vcc_lo, 0x1000, v36
	v_add_co_ci_u32_e32 v43, vcc_lo, 0, v37, vcc_lo
	s_waitcnt vmcnt(11)
	v_add_co_u32 v44, vcc_lo, 0x2000, v36
	v_add_co_ci_u32_e32 v45, vcc_lo, 0, v37, vcc_lo
	s_waitcnt vmcnt(1)
	v_add_co_u32 v50, vcc_lo, v36, 0x2000
	v_add_co_ci_u32_e32 v51, vcc_lo, 0, v37, vcc_lo
	v_add_co_u32 v52, vcc_lo, v36, 0x4000
	v_add_co_ci_u32_e32 v53, vcc_lo, 0, v37, vcc_lo
	;; [unrolled: 2-line block ×7, first 2 shown]
	s_waitcnt vmcnt(0)
	v_add_co_u32 v66, vcc_lo, 0x7000, v36
	v_add_co_ci_u32_e32 v67, vcc_lo, 0, v37, vcc_lo
	s_clause 0xe
	global_load_b64 v[38:39], v[36:37], off
	global_load_b64 v[40:41], v[36:37], off offset:2048
	global_load_b64 v[42:43], v[42:43], off offset:2048
	;; [unrolled: 1-line block ×3, first 2 shown]
	global_load_b64 v[46:47], v[50:51], off
	global_load_b64 v[48:49], v[52:53], off offset:-4096
	global_load_b64 v[52:53], v[52:53], off
	global_load_b64 v[56:57], v[60:61], off offset:-4096
	global_load_b64 v[60:61], v[60:61], off
	global_load_b64 v[54:55], v[54:55], off offset:2048
	global_load_b64 v[58:59], v[58:59], off offset:2048
	;; [unrolled: 1-line block ×4, first 2 shown]
	global_load_b64 v[50:51], v[50:51], off offset:-4096
	global_load_b64 v[66:67], v[66:67], off
	v_add_co_u32 v36, vcc_lo, 0x7800, v36
	v_add_co_ci_u32_e32 v37, vcc_lo, 0, v37, vcc_lo
	s_cbranch_execz .LBB1126_20
; %bb.18:                               ;   in Loop: Header=BB1126_16 Depth=2
                                        ; implicit-def: $vgpr32_vgpr33
                                        ; implicit-def: $vgpr30_vgpr31
                                        ; implicit-def: $vgpr28_vgpr29
                                        ; implicit-def: $vgpr26_vgpr27
                                        ; implicit-def: $vgpr24_vgpr25
                                        ; implicit-def: $vgpr22_vgpr23
                                        ; implicit-def: $vgpr20_vgpr21
                                        ; implicit-def: $vgpr18_vgpr19
                                        ; implicit-def: $vgpr16_vgpr17
                                        ; implicit-def: $vgpr14_vgpr15
                                        ; implicit-def: $vgpr12_vgpr13
                                        ; implicit-def: $vgpr10_vgpr11
                                        ; implicit-def: $vgpr8_vgpr9
                                        ; implicit-def: $vgpr6_vgpr7
                                        ; implicit-def: $vgpr4_vgpr5
                                        ; implicit-def: $vgpr34_vgpr35
	v_mov_b32_e32 v2, s1
	s_and_saveexec_b32 s8, s12
	s_cbranch_execnz .LBB1126_39
	s_branch .LBB1126_40
.LBB1126_19:                            ;   in Loop: Header=BB1126_16 Depth=2
	s_mov_b32 s12, 0
                                        ; implicit-def: $sgpr13
                                        ; implicit-def: $vgpr38_vgpr39
                                        ; implicit-def: $vgpr40_vgpr41
                                        ; implicit-def: $vgpr50_vgpr51
                                        ; implicit-def: $vgpr42_vgpr43
                                        ; implicit-def: $vgpr46_vgpr47
                                        ; implicit-def: $vgpr44_vgpr45
                                        ; implicit-def: $vgpr48_vgpr49
                                        ; implicit-def: $vgpr54_vgpr55
                                        ; implicit-def: $vgpr52_vgpr53
                                        ; implicit-def: $vgpr58_vgpr59
                                        ; implicit-def: $vgpr56_vgpr57
                                        ; implicit-def: $vgpr62_vgpr63
                                        ; implicit-def: $vgpr60_vgpr61
                                        ; implicit-def: $vgpr64_vgpr65
                                        ; implicit-def: $vgpr66_vgpr67
                                        ; implicit-def: $vgpr36_vgpr37
.LBB1126_20:                            ;   in Loop: Header=BB1126_16 Depth=2
	s_mov_b32 s9, s36
	s_delay_alu instid0(SALU_CYCLE_1)
	s_lshl_b64 s[10:11], s[8:9], 3
	s_mov_b32 s9, exec_lo
	s_add_u32 s10, s48, s10
	s_addc_u32 s11, s49, s11
	v_cmpx_gt_u32_e64 s1, v1
	s_cbranch_execz .LBB1126_72
; %bb.21:                               ;   in Loop: Header=BB1126_16 Depth=2
	global_load_b64 v[32:33], v124, s[10:11]
	s_or_b32 exec_lo, exec_lo, s9
	s_delay_alu instid0(SALU_CYCLE_1)
	s_mov_b32 s9, exec_lo
	v_cmpx_gt_u32_e64 s1, v77
	s_cbranch_execnz .LBB1126_73
.LBB1126_22:                            ;   in Loop: Header=BB1126_16 Depth=2
	s_or_b32 exec_lo, exec_lo, s9
	s_delay_alu instid0(SALU_CYCLE_1)
	s_mov_b32 s9, exec_lo
	v_cmpx_gt_u32_e64 s1, v78
	s_cbranch_execz .LBB1126_74
.LBB1126_23:                            ;   in Loop: Header=BB1126_16 Depth=2
	global_load_b64 v[28:29], v125, s[10:11]
	s_or_b32 exec_lo, exec_lo, s9
	s_delay_alu instid0(SALU_CYCLE_1)
	s_mov_b32 s9, exec_lo
	v_cmpx_gt_u32_e64 s1, v79
	s_cbranch_execnz .LBB1126_75
.LBB1126_24:                            ;   in Loop: Header=BB1126_16 Depth=2
	s_or_b32 exec_lo, exec_lo, s9
	s_delay_alu instid0(SALU_CYCLE_1)
	s_mov_b32 s9, exec_lo
	v_cmpx_gt_u32_e64 s1, v83
	s_cbranch_execz .LBB1126_76
.LBB1126_25:                            ;   in Loop: Header=BB1126_16 Depth=2
	global_load_b64 v[24:25], v127, s[10:11]
	s_or_b32 exec_lo, exec_lo, s9
	s_delay_alu instid0(SALU_CYCLE_1)
	s_mov_b32 s9, exec_lo
	v_cmpx_gt_u32_e64 s1, v84
	s_cbranch_execnz .LBB1126_77
.LBB1126_26:                            ;   in Loop: Header=BB1126_16 Depth=2
	s_or_b32 exec_lo, exec_lo, s9
	s_delay_alu instid0(SALU_CYCLE_1)
	s_mov_b32 s9, exec_lo
	v_cmpx_gt_u32_e64 s1, v85
	s_cbranch_execz .LBB1126_78
.LBB1126_27:                            ;   in Loop: Header=BB1126_16 Depth=2
	global_load_b64 v[20:21], v129, s[10:11]
	s_or_b32 exec_lo, exec_lo, s9
	s_delay_alu instid0(SALU_CYCLE_1)
	s_mov_b32 s9, exec_lo
	v_cmpx_gt_u32_e64 s1, v86
	s_cbranch_execnz .LBB1126_79
.LBB1126_28:                            ;   in Loop: Header=BB1126_16 Depth=2
	s_or_b32 exec_lo, exec_lo, s9
	s_delay_alu instid0(SALU_CYCLE_1)
	s_mov_b32 s9, exec_lo
	v_cmpx_gt_u32_e64 s1, v87
	s_cbranch_execz .LBB1126_80
.LBB1126_29:                            ;   in Loop: Header=BB1126_16 Depth=2
	global_load_b64 v[16:17], v131, s[10:11]
	s_or_b32 exec_lo, exec_lo, s9
	s_delay_alu instid0(SALU_CYCLE_1)
	s_mov_b32 s9, exec_lo
	v_cmpx_gt_u32_e64 s1, v88
	s_cbranch_execnz .LBB1126_81
.LBB1126_30:                            ;   in Loop: Header=BB1126_16 Depth=2
	s_or_b32 exec_lo, exec_lo, s9
	s_delay_alu instid0(SALU_CYCLE_1)
	s_mov_b32 s9, exec_lo
	v_cmpx_gt_u32_e64 s1, v89
	s_cbranch_execz .LBB1126_82
.LBB1126_31:                            ;   in Loop: Header=BB1126_16 Depth=2
	global_load_b64 v[12:13], v133, s[10:11]
	s_or_b32 exec_lo, exec_lo, s9
	s_delay_alu instid0(SALU_CYCLE_1)
	s_mov_b32 s9, exec_lo
	v_cmpx_gt_u32_e64 s1, v90
	s_cbranch_execnz .LBB1126_83
.LBB1126_32:                            ;   in Loop: Header=BB1126_16 Depth=2
	s_or_b32 exec_lo, exec_lo, s9
	s_delay_alu instid0(SALU_CYCLE_1)
	s_mov_b32 s9, exec_lo
	v_cmpx_gt_u32_e64 s1, v91
	s_cbranch_execz .LBB1126_84
.LBB1126_33:                            ;   in Loop: Header=BB1126_16 Depth=2
	global_load_b64 v[8:9], v135, s[10:11]
	s_or_b32 exec_lo, exec_lo, s9
	s_delay_alu instid0(SALU_CYCLE_1)
	s_mov_b32 s9, exec_lo
	v_cmpx_gt_u32_e64 s1, v92
	s_cbranch_execnz .LBB1126_85
.LBB1126_34:                            ;   in Loop: Header=BB1126_16 Depth=2
	s_or_b32 exec_lo, exec_lo, s9
	s_delay_alu instid0(SALU_CYCLE_1)
	s_mov_b32 s9, exec_lo
	v_cmpx_gt_u32_e64 s1, v93
	s_cbranch_execz .LBB1126_36
.LBB1126_35:                            ;   in Loop: Header=BB1126_16 Depth=2
	v_lshlrev_b32_e32 v2, 3, v93
	global_load_b64 v[4:5], v2, s[10:11]
.LBB1126_36:                            ;   in Loop: Header=BB1126_16 Depth=2
	s_or_b32 exec_lo, exec_lo, s9
	s_delay_alu instid0(SALU_CYCLE_1)
	s_mov_b32 s9, exec_lo
                                        ; implicit-def: $sgpr13
                                        ; implicit-def: $vgpr36_vgpr37
	v_cmpx_gt_u32_e64 s1, v95
; %bb.37:                               ;   in Loop: Header=BB1126_16 Depth=2
	v_lshlrev_b32_e32 v2, 3, v95
	s_sub_i32 s13, s35, s8
	s_or_b32 s12, s12, exec_lo
                                        ; implicit-def: $vgpr34_vgpr35
	s_delay_alu instid0(VALU_DEP_1) | instskip(NEXT) | instid1(VALU_DEP_1)
	v_add_co_u32 v36, s10, s10, v2
	v_add_co_ci_u32_e64 v37, null, s11, 0, s10
; %bb.38:                               ;   in Loop: Header=BB1126_16 Depth=2
	s_or_b32 exec_lo, exec_lo, s9
	s_waitcnt vmcnt(0)
	v_dual_mov_b32 v39, v33 :: v_dual_mov_b32 v38, v32
	v_dual_mov_b32 v41, v31 :: v_dual_mov_b32 v40, v30
	;; [unrolled: 1-line block ×15, first 2 shown]
	v_mov_b32_e32 v2, s1
	s_and_saveexec_b32 s8, s12
	s_cbranch_execz .LBB1126_40
.LBB1126_39:                            ;   in Loop: Header=BB1126_16 Depth=2
	global_load_b64 v[34:35], v[36:37], off
	s_waitcnt vmcnt(1)
	v_mov_b32_e32 v4, v66
	v_mov_b32_e32 v6, v64
	;; [unrolled: 1-line block ×14, first 2 shown]
	v_dual_mov_b32 v32, v38 :: v_dual_mov_b32 v33, v39
	v_dual_mov_b32 v2, s13 :: v_dual_mov_b32 v5, v67
	v_mov_b32_e32 v7, v65
	v_mov_b32_e32 v9, v61
	;; [unrolled: 1-line block ×13, first 2 shown]
.LBB1126_40:                            ;   in Loop: Header=BB1126_16 Depth=2
	s_or_b32 exec_lo, exec_lo, s8
	s_delay_alu instid0(SALU_CYCLE_1)
	s_mov_b32 s8, exec_lo
	v_cmpx_lt_u32_e64 v1, v2
	s_cbranch_execz .LBB1126_56
; %bb.41:                               ;   in Loop: Header=BB1126_16 Depth=2
	v_cmp_gt_i64_e32 vcc_lo, 0, v[32:33]
	v_ashrrev_i32_e32 v36, 31, v33
	s_delay_alu instid0(VALU_DEP_1) | instskip(SKIP_1) | instid1(VALU_DEP_2)
	v_not_b32_e32 v36, v36
	v_cndmask_b32_e64 v37, 0x7fffffff, 0, vcc_lo
	v_xor_b32_e32 v36, v36, v32
	s_delay_alu instid0(VALU_DEP_2) | instskip(NEXT) | instid1(VALU_DEP_1)
	v_xor_b32_e32 v37, v37, v33
	v_cmp_ne_u64_e32 vcc_lo, s[36:37], v[36:37]
	v_cndmask_b32_e32 v37, 0x7fffffff, v37, vcc_lo
	v_cndmask_b32_e32 v36, -1, v36, vcc_lo
	s_delay_alu instid0(VALU_DEP_1) | instskip(SKIP_1) | instid1(VALU_DEP_2)
	v_lshrrev_b64 v[36:37], s43, v[36:37]
	v_lshlrev_b32_e32 v37, 2, v80
	v_and_b32_e32 v36, s51, v36
	s_delay_alu instid0(VALU_DEP_1) | instskip(SKIP_2) | instid1(SALU_CYCLE_1)
	v_lshl_or_b32 v36, v36, 4, v37
	ds_add_u32 v36, v123
	s_or_b32 exec_lo, exec_lo, s8
	s_mov_b32 s8, exec_lo
	v_cmpx_lt_u32_e64 v77, v2
	s_cbranch_execnz .LBB1126_57
.LBB1126_42:                            ;   in Loop: Header=BB1126_16 Depth=2
	s_or_b32 exec_lo, exec_lo, s8
	s_delay_alu instid0(SALU_CYCLE_1)
	s_mov_b32 s8, exec_lo
	v_cmpx_lt_u32_e64 v78, v2
	s_cbranch_execz .LBB1126_58
.LBB1126_43:                            ;   in Loop: Header=BB1126_16 Depth=2
	v_cmp_gt_i64_e32 vcc_lo, 0, v[28:29]
	v_ashrrev_i32_e32 v36, 31, v29
	s_delay_alu instid0(VALU_DEP_1) | instskip(SKIP_1) | instid1(VALU_DEP_2)
	v_not_b32_e32 v36, v36
	v_cndmask_b32_e64 v37, 0x7fffffff, 0, vcc_lo
	v_xor_b32_e32 v36, v36, v28
	s_delay_alu instid0(VALU_DEP_2) | instskip(NEXT) | instid1(VALU_DEP_1)
	v_xor_b32_e32 v37, v37, v29
	v_cmp_ne_u64_e32 vcc_lo, s[36:37], v[36:37]
	v_cndmask_b32_e32 v37, 0x7fffffff, v37, vcc_lo
	v_cndmask_b32_e32 v36, -1, v36, vcc_lo
	s_delay_alu instid0(VALU_DEP_1) | instskip(SKIP_1) | instid1(VALU_DEP_2)
	v_lshrrev_b64 v[36:37], s43, v[36:37]
	v_lshlrev_b32_e32 v37, 2, v80
	v_and_b32_e32 v36, s51, v36
	s_delay_alu instid0(VALU_DEP_1) | instskip(SKIP_2) | instid1(SALU_CYCLE_1)
	v_lshl_or_b32 v36, v36, 4, v37
	ds_add_u32 v36, v123
	s_or_b32 exec_lo, exec_lo, s8
	s_mov_b32 s8, exec_lo
	v_cmpx_lt_u32_e64 v79, v2
	s_cbranch_execnz .LBB1126_59
.LBB1126_44:                            ;   in Loop: Header=BB1126_16 Depth=2
	s_or_b32 exec_lo, exec_lo, s8
	s_delay_alu instid0(SALU_CYCLE_1)
	s_mov_b32 s8, exec_lo
	v_cmpx_lt_u32_e64 v83, v2
	s_cbranch_execz .LBB1126_60
.LBB1126_45:                            ;   in Loop: Header=BB1126_16 Depth=2
	v_cmp_gt_i64_e32 vcc_lo, 0, v[24:25]
	v_ashrrev_i32_e32 v36, 31, v25
	s_delay_alu instid0(VALU_DEP_1) | instskip(SKIP_1) | instid1(VALU_DEP_2)
	v_not_b32_e32 v36, v36
	v_cndmask_b32_e64 v37, 0x7fffffff, 0, vcc_lo
	v_xor_b32_e32 v36, v36, v24
	s_delay_alu instid0(VALU_DEP_2) | instskip(NEXT) | instid1(VALU_DEP_1)
	v_xor_b32_e32 v37, v37, v25
	v_cmp_ne_u64_e32 vcc_lo, s[36:37], v[36:37]
	v_cndmask_b32_e32 v37, 0x7fffffff, v37, vcc_lo
	v_cndmask_b32_e32 v36, -1, v36, vcc_lo
	s_delay_alu instid0(VALU_DEP_1) | instskip(SKIP_1) | instid1(VALU_DEP_2)
	v_lshrrev_b64 v[36:37], s43, v[36:37]
	v_lshlrev_b32_e32 v37, 2, v80
	v_and_b32_e32 v36, s51, v36
	s_delay_alu instid0(VALU_DEP_1) | instskip(SKIP_2) | instid1(SALU_CYCLE_1)
	v_lshl_or_b32 v36, v36, 4, v37
	ds_add_u32 v36, v123
	s_or_b32 exec_lo, exec_lo, s8
	s_mov_b32 s8, exec_lo
	v_cmpx_lt_u32_e64 v84, v2
	s_cbranch_execnz .LBB1126_61
.LBB1126_46:                            ;   in Loop: Header=BB1126_16 Depth=2
	s_or_b32 exec_lo, exec_lo, s8
	s_delay_alu instid0(SALU_CYCLE_1)
	s_mov_b32 s8, exec_lo
	v_cmpx_lt_u32_e64 v85, v2
	s_cbranch_execz .LBB1126_62
.LBB1126_47:                            ;   in Loop: Header=BB1126_16 Depth=2
	v_cmp_gt_i64_e32 vcc_lo, 0, v[20:21]
	v_ashrrev_i32_e32 v36, 31, v21
	s_delay_alu instid0(VALU_DEP_1) | instskip(SKIP_1) | instid1(VALU_DEP_2)
	v_not_b32_e32 v36, v36
	v_cndmask_b32_e64 v37, 0x7fffffff, 0, vcc_lo
	v_xor_b32_e32 v36, v36, v20
	s_delay_alu instid0(VALU_DEP_2) | instskip(NEXT) | instid1(VALU_DEP_1)
	v_xor_b32_e32 v37, v37, v21
	v_cmp_ne_u64_e32 vcc_lo, s[36:37], v[36:37]
	v_cndmask_b32_e32 v37, 0x7fffffff, v37, vcc_lo
	v_cndmask_b32_e32 v36, -1, v36, vcc_lo
	s_delay_alu instid0(VALU_DEP_1) | instskip(SKIP_1) | instid1(VALU_DEP_2)
	v_lshrrev_b64 v[36:37], s43, v[36:37]
	v_lshlrev_b32_e32 v37, 2, v80
	v_and_b32_e32 v36, s51, v36
	s_delay_alu instid0(VALU_DEP_1) | instskip(SKIP_2) | instid1(SALU_CYCLE_1)
	v_lshl_or_b32 v36, v36, 4, v37
	ds_add_u32 v36, v123
	s_or_b32 exec_lo, exec_lo, s8
	s_mov_b32 s8, exec_lo
	v_cmpx_lt_u32_e64 v86, v2
	s_cbranch_execnz .LBB1126_63
.LBB1126_48:                            ;   in Loop: Header=BB1126_16 Depth=2
	s_or_b32 exec_lo, exec_lo, s8
	s_delay_alu instid0(SALU_CYCLE_1)
	s_mov_b32 s8, exec_lo
	v_cmpx_lt_u32_e64 v87, v2
	s_cbranch_execz .LBB1126_64
.LBB1126_49:                            ;   in Loop: Header=BB1126_16 Depth=2
	v_cmp_gt_i64_e32 vcc_lo, 0, v[16:17]
	v_ashrrev_i32_e32 v36, 31, v17
	s_delay_alu instid0(VALU_DEP_1) | instskip(SKIP_1) | instid1(VALU_DEP_2)
	v_not_b32_e32 v36, v36
	v_cndmask_b32_e64 v37, 0x7fffffff, 0, vcc_lo
	v_xor_b32_e32 v36, v36, v16
	s_delay_alu instid0(VALU_DEP_2) | instskip(NEXT) | instid1(VALU_DEP_1)
	v_xor_b32_e32 v37, v37, v17
	v_cmp_ne_u64_e32 vcc_lo, s[36:37], v[36:37]
	v_cndmask_b32_e32 v37, 0x7fffffff, v37, vcc_lo
	v_cndmask_b32_e32 v36, -1, v36, vcc_lo
	s_delay_alu instid0(VALU_DEP_1) | instskip(SKIP_1) | instid1(VALU_DEP_2)
	v_lshrrev_b64 v[36:37], s43, v[36:37]
	v_lshlrev_b32_e32 v37, 2, v80
	v_and_b32_e32 v36, s51, v36
	s_delay_alu instid0(VALU_DEP_1) | instskip(SKIP_2) | instid1(SALU_CYCLE_1)
	v_lshl_or_b32 v36, v36, 4, v37
	ds_add_u32 v36, v123
	s_or_b32 exec_lo, exec_lo, s8
	s_mov_b32 s8, exec_lo
	v_cmpx_lt_u32_e64 v88, v2
	s_cbranch_execnz .LBB1126_65
.LBB1126_50:                            ;   in Loop: Header=BB1126_16 Depth=2
	s_or_b32 exec_lo, exec_lo, s8
	s_delay_alu instid0(SALU_CYCLE_1)
	s_mov_b32 s8, exec_lo
	v_cmpx_lt_u32_e64 v89, v2
	s_cbranch_execz .LBB1126_66
.LBB1126_51:                            ;   in Loop: Header=BB1126_16 Depth=2
	v_cmp_gt_i64_e32 vcc_lo, 0, v[12:13]
	v_ashrrev_i32_e32 v36, 31, v13
	s_delay_alu instid0(VALU_DEP_1) | instskip(SKIP_1) | instid1(VALU_DEP_2)
	v_not_b32_e32 v36, v36
	v_cndmask_b32_e64 v37, 0x7fffffff, 0, vcc_lo
	v_xor_b32_e32 v36, v36, v12
	s_delay_alu instid0(VALU_DEP_2) | instskip(NEXT) | instid1(VALU_DEP_1)
	v_xor_b32_e32 v37, v37, v13
	v_cmp_ne_u64_e32 vcc_lo, s[36:37], v[36:37]
	v_cndmask_b32_e32 v37, 0x7fffffff, v37, vcc_lo
	v_cndmask_b32_e32 v36, -1, v36, vcc_lo
	s_delay_alu instid0(VALU_DEP_1) | instskip(SKIP_1) | instid1(VALU_DEP_2)
	v_lshrrev_b64 v[36:37], s43, v[36:37]
	v_lshlrev_b32_e32 v37, 2, v80
	v_and_b32_e32 v36, s51, v36
	s_delay_alu instid0(VALU_DEP_1) | instskip(SKIP_2) | instid1(SALU_CYCLE_1)
	v_lshl_or_b32 v36, v36, 4, v37
	ds_add_u32 v36, v123
	s_or_b32 exec_lo, exec_lo, s8
	s_mov_b32 s8, exec_lo
	v_cmpx_lt_u32_e64 v90, v2
	s_cbranch_execnz .LBB1126_67
.LBB1126_52:                            ;   in Loop: Header=BB1126_16 Depth=2
	s_or_b32 exec_lo, exec_lo, s8
	s_delay_alu instid0(SALU_CYCLE_1)
	s_mov_b32 s8, exec_lo
	v_cmpx_lt_u32_e64 v91, v2
	s_cbranch_execz .LBB1126_68
.LBB1126_53:                            ;   in Loop: Header=BB1126_16 Depth=2
	v_cmp_gt_i64_e32 vcc_lo, 0, v[8:9]
	v_ashrrev_i32_e32 v36, 31, v9
	s_delay_alu instid0(VALU_DEP_1) | instskip(SKIP_1) | instid1(VALU_DEP_2)
	v_not_b32_e32 v36, v36
	v_cndmask_b32_e64 v37, 0x7fffffff, 0, vcc_lo
	v_xor_b32_e32 v36, v36, v8
	s_delay_alu instid0(VALU_DEP_2) | instskip(NEXT) | instid1(VALU_DEP_1)
	v_xor_b32_e32 v37, v37, v9
	v_cmp_ne_u64_e32 vcc_lo, s[36:37], v[36:37]
	v_cndmask_b32_e32 v37, 0x7fffffff, v37, vcc_lo
	v_cndmask_b32_e32 v36, -1, v36, vcc_lo
	s_delay_alu instid0(VALU_DEP_1) | instskip(SKIP_1) | instid1(VALU_DEP_2)
	v_lshrrev_b64 v[36:37], s43, v[36:37]
	v_lshlrev_b32_e32 v37, 2, v80
	v_and_b32_e32 v36, s51, v36
	s_delay_alu instid0(VALU_DEP_1) | instskip(SKIP_2) | instid1(SALU_CYCLE_1)
	v_lshl_or_b32 v36, v36, 4, v37
	ds_add_u32 v36, v123
	s_or_b32 exec_lo, exec_lo, s8
	s_mov_b32 s8, exec_lo
	v_cmpx_lt_u32_e64 v92, v2
	s_cbranch_execnz .LBB1126_69
.LBB1126_54:                            ;   in Loop: Header=BB1126_16 Depth=2
	s_or_b32 exec_lo, exec_lo, s8
	s_delay_alu instid0(SALU_CYCLE_1)
	s_mov_b32 s8, exec_lo
	v_cmpx_lt_u32_e64 v93, v2
	s_cbranch_execz .LBB1126_70
.LBB1126_55:                            ;   in Loop: Header=BB1126_16 Depth=2
	v_cmp_gt_i64_e32 vcc_lo, 0, v[4:5]
	v_ashrrev_i32_e32 v36, 31, v5
	s_delay_alu instid0(VALU_DEP_1) | instskip(SKIP_1) | instid1(VALU_DEP_2)
	v_not_b32_e32 v36, v36
	v_cndmask_b32_e64 v37, 0x7fffffff, 0, vcc_lo
	v_xor_b32_e32 v36, v36, v4
	s_delay_alu instid0(VALU_DEP_2) | instskip(NEXT) | instid1(VALU_DEP_1)
	v_xor_b32_e32 v37, v37, v5
	v_cmp_ne_u64_e32 vcc_lo, s[36:37], v[36:37]
	v_cndmask_b32_e32 v37, 0x7fffffff, v37, vcc_lo
	v_cndmask_b32_e32 v36, -1, v36, vcc_lo
	s_delay_alu instid0(VALU_DEP_1) | instskip(SKIP_1) | instid1(VALU_DEP_2)
	v_lshrrev_b64 v[36:37], s43, v[36:37]
	v_lshlrev_b32_e32 v37, 2, v80
	v_and_b32_e32 v36, s51, v36
	s_delay_alu instid0(VALU_DEP_1) | instskip(SKIP_2) | instid1(SALU_CYCLE_1)
	v_lshl_or_b32 v36, v36, 4, v37
	ds_add_u32 v36, v123
	s_or_b32 exec_lo, exec_lo, s8
	s_mov_b32 s8, exec_lo
	v_cmpx_lt_u32_e64 v95, v2
	s_cbranch_execz .LBB1126_15
	s_branch .LBB1126_71
.LBB1126_56:                            ;   in Loop: Header=BB1126_16 Depth=2
	s_or_b32 exec_lo, exec_lo, s8
	s_delay_alu instid0(SALU_CYCLE_1)
	s_mov_b32 s8, exec_lo
	v_cmpx_lt_u32_e64 v77, v2
	s_cbranch_execz .LBB1126_42
.LBB1126_57:                            ;   in Loop: Header=BB1126_16 Depth=2
	v_cmp_gt_i64_e32 vcc_lo, 0, v[30:31]
	v_ashrrev_i32_e32 v36, 31, v31
	s_delay_alu instid0(VALU_DEP_1) | instskip(SKIP_1) | instid1(VALU_DEP_2)
	v_not_b32_e32 v36, v36
	v_cndmask_b32_e64 v37, 0x7fffffff, 0, vcc_lo
	v_xor_b32_e32 v36, v36, v30
	s_delay_alu instid0(VALU_DEP_2) | instskip(NEXT) | instid1(VALU_DEP_1)
	v_xor_b32_e32 v37, v37, v31
	v_cmp_ne_u64_e32 vcc_lo, s[36:37], v[36:37]
	v_cndmask_b32_e32 v37, 0x7fffffff, v37, vcc_lo
	v_cndmask_b32_e32 v36, -1, v36, vcc_lo
	s_delay_alu instid0(VALU_DEP_1) | instskip(SKIP_1) | instid1(VALU_DEP_2)
	v_lshrrev_b64 v[36:37], s43, v[36:37]
	v_lshlrev_b32_e32 v37, 2, v80
	v_and_b32_e32 v36, s51, v36
	s_delay_alu instid0(VALU_DEP_1) | instskip(SKIP_2) | instid1(SALU_CYCLE_1)
	v_lshl_or_b32 v36, v36, 4, v37
	ds_add_u32 v36, v123
	s_or_b32 exec_lo, exec_lo, s8
	s_mov_b32 s8, exec_lo
	v_cmpx_lt_u32_e64 v78, v2
	s_cbranch_execnz .LBB1126_43
.LBB1126_58:                            ;   in Loop: Header=BB1126_16 Depth=2
	s_or_b32 exec_lo, exec_lo, s8
	s_delay_alu instid0(SALU_CYCLE_1)
	s_mov_b32 s8, exec_lo
	v_cmpx_lt_u32_e64 v79, v2
	s_cbranch_execz .LBB1126_44
.LBB1126_59:                            ;   in Loop: Header=BB1126_16 Depth=2
	v_cmp_gt_i64_e32 vcc_lo, 0, v[26:27]
	v_ashrrev_i32_e32 v36, 31, v27
	s_delay_alu instid0(VALU_DEP_1) | instskip(SKIP_1) | instid1(VALU_DEP_2)
	v_not_b32_e32 v36, v36
	v_cndmask_b32_e64 v37, 0x7fffffff, 0, vcc_lo
	v_xor_b32_e32 v36, v36, v26
	s_delay_alu instid0(VALU_DEP_2) | instskip(NEXT) | instid1(VALU_DEP_1)
	v_xor_b32_e32 v37, v37, v27
	v_cmp_ne_u64_e32 vcc_lo, s[36:37], v[36:37]
	v_cndmask_b32_e32 v37, 0x7fffffff, v37, vcc_lo
	v_cndmask_b32_e32 v36, -1, v36, vcc_lo
	s_delay_alu instid0(VALU_DEP_1) | instskip(SKIP_1) | instid1(VALU_DEP_2)
	v_lshrrev_b64 v[36:37], s43, v[36:37]
	v_lshlrev_b32_e32 v37, 2, v80
	v_and_b32_e32 v36, s51, v36
	s_delay_alu instid0(VALU_DEP_1) | instskip(SKIP_2) | instid1(SALU_CYCLE_1)
	v_lshl_or_b32 v36, v36, 4, v37
	ds_add_u32 v36, v123
	s_or_b32 exec_lo, exec_lo, s8
	s_mov_b32 s8, exec_lo
	v_cmpx_lt_u32_e64 v83, v2
	s_cbranch_execnz .LBB1126_45
.LBB1126_60:                            ;   in Loop: Header=BB1126_16 Depth=2
	s_or_b32 exec_lo, exec_lo, s8
	s_delay_alu instid0(SALU_CYCLE_1)
	s_mov_b32 s8, exec_lo
	v_cmpx_lt_u32_e64 v84, v2
	s_cbranch_execz .LBB1126_46
.LBB1126_61:                            ;   in Loop: Header=BB1126_16 Depth=2
	v_cmp_gt_i64_e32 vcc_lo, 0, v[22:23]
	v_ashrrev_i32_e32 v36, 31, v23
	s_delay_alu instid0(VALU_DEP_1) | instskip(SKIP_1) | instid1(VALU_DEP_2)
	v_not_b32_e32 v36, v36
	v_cndmask_b32_e64 v37, 0x7fffffff, 0, vcc_lo
	v_xor_b32_e32 v36, v36, v22
	s_delay_alu instid0(VALU_DEP_2) | instskip(NEXT) | instid1(VALU_DEP_1)
	v_xor_b32_e32 v37, v37, v23
	v_cmp_ne_u64_e32 vcc_lo, s[36:37], v[36:37]
	v_cndmask_b32_e32 v37, 0x7fffffff, v37, vcc_lo
	v_cndmask_b32_e32 v36, -1, v36, vcc_lo
	s_delay_alu instid0(VALU_DEP_1) | instskip(SKIP_1) | instid1(VALU_DEP_2)
	v_lshrrev_b64 v[36:37], s43, v[36:37]
	v_lshlrev_b32_e32 v37, 2, v80
	v_and_b32_e32 v36, s51, v36
	s_delay_alu instid0(VALU_DEP_1) | instskip(SKIP_2) | instid1(SALU_CYCLE_1)
	v_lshl_or_b32 v36, v36, 4, v37
	ds_add_u32 v36, v123
	s_or_b32 exec_lo, exec_lo, s8
	s_mov_b32 s8, exec_lo
	v_cmpx_lt_u32_e64 v85, v2
	s_cbranch_execnz .LBB1126_47
.LBB1126_62:                            ;   in Loop: Header=BB1126_16 Depth=2
	s_or_b32 exec_lo, exec_lo, s8
	s_delay_alu instid0(SALU_CYCLE_1)
	s_mov_b32 s8, exec_lo
	v_cmpx_lt_u32_e64 v86, v2
	s_cbranch_execz .LBB1126_48
.LBB1126_63:                            ;   in Loop: Header=BB1126_16 Depth=2
	v_cmp_gt_i64_e32 vcc_lo, 0, v[18:19]
	v_ashrrev_i32_e32 v36, 31, v19
	s_delay_alu instid0(VALU_DEP_1) | instskip(SKIP_1) | instid1(VALU_DEP_2)
	v_not_b32_e32 v36, v36
	v_cndmask_b32_e64 v37, 0x7fffffff, 0, vcc_lo
	v_xor_b32_e32 v36, v36, v18
	s_delay_alu instid0(VALU_DEP_2) | instskip(NEXT) | instid1(VALU_DEP_1)
	v_xor_b32_e32 v37, v37, v19
	v_cmp_ne_u64_e32 vcc_lo, s[36:37], v[36:37]
	v_cndmask_b32_e32 v37, 0x7fffffff, v37, vcc_lo
	v_cndmask_b32_e32 v36, -1, v36, vcc_lo
	s_delay_alu instid0(VALU_DEP_1) | instskip(SKIP_1) | instid1(VALU_DEP_2)
	v_lshrrev_b64 v[36:37], s43, v[36:37]
	v_lshlrev_b32_e32 v37, 2, v80
	v_and_b32_e32 v36, s51, v36
	s_delay_alu instid0(VALU_DEP_1) | instskip(SKIP_2) | instid1(SALU_CYCLE_1)
	v_lshl_or_b32 v36, v36, 4, v37
	ds_add_u32 v36, v123
	s_or_b32 exec_lo, exec_lo, s8
	s_mov_b32 s8, exec_lo
	v_cmpx_lt_u32_e64 v87, v2
	s_cbranch_execnz .LBB1126_49
.LBB1126_64:                            ;   in Loop: Header=BB1126_16 Depth=2
	s_or_b32 exec_lo, exec_lo, s8
	s_delay_alu instid0(SALU_CYCLE_1)
	s_mov_b32 s8, exec_lo
	v_cmpx_lt_u32_e64 v88, v2
	s_cbranch_execz .LBB1126_50
.LBB1126_65:                            ;   in Loop: Header=BB1126_16 Depth=2
	v_cmp_gt_i64_e32 vcc_lo, 0, v[14:15]
	v_ashrrev_i32_e32 v36, 31, v15
	s_delay_alu instid0(VALU_DEP_1) | instskip(SKIP_1) | instid1(VALU_DEP_2)
	v_not_b32_e32 v36, v36
	v_cndmask_b32_e64 v37, 0x7fffffff, 0, vcc_lo
	v_xor_b32_e32 v36, v36, v14
	s_delay_alu instid0(VALU_DEP_2) | instskip(NEXT) | instid1(VALU_DEP_1)
	v_xor_b32_e32 v37, v37, v15
	v_cmp_ne_u64_e32 vcc_lo, s[36:37], v[36:37]
	v_cndmask_b32_e32 v37, 0x7fffffff, v37, vcc_lo
	v_cndmask_b32_e32 v36, -1, v36, vcc_lo
	s_delay_alu instid0(VALU_DEP_1) | instskip(SKIP_1) | instid1(VALU_DEP_2)
	v_lshrrev_b64 v[36:37], s43, v[36:37]
	v_lshlrev_b32_e32 v37, 2, v80
	v_and_b32_e32 v36, s51, v36
	s_delay_alu instid0(VALU_DEP_1) | instskip(SKIP_2) | instid1(SALU_CYCLE_1)
	v_lshl_or_b32 v36, v36, 4, v37
	ds_add_u32 v36, v123
	s_or_b32 exec_lo, exec_lo, s8
	s_mov_b32 s8, exec_lo
	v_cmpx_lt_u32_e64 v89, v2
	s_cbranch_execnz .LBB1126_51
.LBB1126_66:                            ;   in Loop: Header=BB1126_16 Depth=2
	s_or_b32 exec_lo, exec_lo, s8
	s_delay_alu instid0(SALU_CYCLE_1)
	s_mov_b32 s8, exec_lo
	v_cmpx_lt_u32_e64 v90, v2
	s_cbranch_execz .LBB1126_52
.LBB1126_67:                            ;   in Loop: Header=BB1126_16 Depth=2
	v_cmp_gt_i64_e32 vcc_lo, 0, v[10:11]
	v_ashrrev_i32_e32 v36, 31, v11
	s_delay_alu instid0(VALU_DEP_1) | instskip(SKIP_1) | instid1(VALU_DEP_2)
	v_not_b32_e32 v36, v36
	v_cndmask_b32_e64 v37, 0x7fffffff, 0, vcc_lo
	v_xor_b32_e32 v36, v36, v10
	s_delay_alu instid0(VALU_DEP_2) | instskip(NEXT) | instid1(VALU_DEP_1)
	v_xor_b32_e32 v37, v37, v11
	v_cmp_ne_u64_e32 vcc_lo, s[36:37], v[36:37]
	v_cndmask_b32_e32 v37, 0x7fffffff, v37, vcc_lo
	v_cndmask_b32_e32 v36, -1, v36, vcc_lo
	s_delay_alu instid0(VALU_DEP_1) | instskip(SKIP_1) | instid1(VALU_DEP_2)
	v_lshrrev_b64 v[36:37], s43, v[36:37]
	v_lshlrev_b32_e32 v37, 2, v80
	v_and_b32_e32 v36, s51, v36
	s_delay_alu instid0(VALU_DEP_1) | instskip(SKIP_2) | instid1(SALU_CYCLE_1)
	v_lshl_or_b32 v36, v36, 4, v37
	ds_add_u32 v36, v123
	s_or_b32 exec_lo, exec_lo, s8
	s_mov_b32 s8, exec_lo
	v_cmpx_lt_u32_e64 v91, v2
	s_cbranch_execnz .LBB1126_53
.LBB1126_68:                            ;   in Loop: Header=BB1126_16 Depth=2
	s_or_b32 exec_lo, exec_lo, s8
	s_delay_alu instid0(SALU_CYCLE_1)
	s_mov_b32 s8, exec_lo
	v_cmpx_lt_u32_e64 v92, v2
	s_cbranch_execz .LBB1126_54
.LBB1126_69:                            ;   in Loop: Header=BB1126_16 Depth=2
	v_cmp_gt_i64_e32 vcc_lo, 0, v[6:7]
	v_ashrrev_i32_e32 v36, 31, v7
	s_delay_alu instid0(VALU_DEP_1) | instskip(SKIP_1) | instid1(VALU_DEP_2)
	v_not_b32_e32 v36, v36
	v_cndmask_b32_e64 v37, 0x7fffffff, 0, vcc_lo
	v_xor_b32_e32 v36, v36, v6
	s_delay_alu instid0(VALU_DEP_2) | instskip(NEXT) | instid1(VALU_DEP_1)
	v_xor_b32_e32 v37, v37, v7
	v_cmp_ne_u64_e32 vcc_lo, s[36:37], v[36:37]
	v_cndmask_b32_e32 v37, 0x7fffffff, v37, vcc_lo
	v_cndmask_b32_e32 v36, -1, v36, vcc_lo
	s_delay_alu instid0(VALU_DEP_1) | instskip(SKIP_1) | instid1(VALU_DEP_2)
	v_lshrrev_b64 v[36:37], s43, v[36:37]
	v_lshlrev_b32_e32 v37, 2, v80
	v_and_b32_e32 v36, s51, v36
	s_delay_alu instid0(VALU_DEP_1) | instskip(SKIP_2) | instid1(SALU_CYCLE_1)
	v_lshl_or_b32 v36, v36, 4, v37
	ds_add_u32 v36, v123
	s_or_b32 exec_lo, exec_lo, s8
	s_mov_b32 s8, exec_lo
	v_cmpx_lt_u32_e64 v93, v2
	s_cbranch_execnz .LBB1126_55
.LBB1126_70:                            ;   in Loop: Header=BB1126_16 Depth=2
	s_or_b32 exec_lo, exec_lo, s8
	s_delay_alu instid0(SALU_CYCLE_1)
	s_mov_b32 s8, exec_lo
	v_cmpx_lt_u32_e64 v95, v2
	s_cbranch_execz .LBB1126_15
.LBB1126_71:                            ;   in Loop: Header=BB1126_16 Depth=2
	s_waitcnt vmcnt(0)
	v_cmp_gt_i64_e32 vcc_lo, 0, v[34:35]
	v_ashrrev_i32_e32 v2, 31, v35
	s_delay_alu instid0(VALU_DEP_1) | instskip(SKIP_1) | instid1(VALU_DEP_1)
	v_not_b32_e32 v2, v2
	v_cndmask_b32_e64 v36, 0x7fffffff, 0, vcc_lo
	v_xor_b32_e32 v37, v36, v35
	s_delay_alu instid0(VALU_DEP_3) | instskip(NEXT) | instid1(VALU_DEP_1)
	v_xor_b32_e32 v36, v2, v34
	v_cmp_ne_u64_e32 vcc_lo, s[36:37], v[36:37]
	v_cndmask_b32_e32 v37, 0x7fffffff, v37, vcc_lo
	v_cndmask_b32_e32 v36, -1, v36, vcc_lo
	s_delay_alu instid0(VALU_DEP_1) | instskip(NEXT) | instid1(VALU_DEP_1)
	v_lshrrev_b64 v[36:37], s43, v[36:37]
	v_and_b32_e32 v2, s51, v36
	v_lshlrev_b32_e32 v36, 2, v80
	s_delay_alu instid0(VALU_DEP_1)
	v_lshl_or_b32 v2, v2, 4, v36
	ds_add_u32 v2, v123
	s_branch .LBB1126_15
.LBB1126_72:                            ;   in Loop: Header=BB1126_16 Depth=2
	s_or_b32 exec_lo, exec_lo, s9
	s_delay_alu instid0(SALU_CYCLE_1)
	s_mov_b32 s9, exec_lo
	v_cmpx_gt_u32_e64 s1, v77
	s_cbranch_execz .LBB1126_22
.LBB1126_73:                            ;   in Loop: Header=BB1126_16 Depth=2
	global_load_b64 v[30:31], v124, s[10:11] offset:2048
	s_or_b32 exec_lo, exec_lo, s9
	s_delay_alu instid0(SALU_CYCLE_1)
	s_mov_b32 s9, exec_lo
	v_cmpx_gt_u32_e64 s1, v78
	s_cbranch_execnz .LBB1126_23
.LBB1126_74:                            ;   in Loop: Header=BB1126_16 Depth=2
	s_or_b32 exec_lo, exec_lo, s9
	s_delay_alu instid0(SALU_CYCLE_1)
	s_mov_b32 s9, exec_lo
	v_cmpx_gt_u32_e64 s1, v79
	s_cbranch_execz .LBB1126_24
.LBB1126_75:                            ;   in Loop: Header=BB1126_16 Depth=2
	global_load_b64 v[26:27], v126, s[10:11]
	s_or_b32 exec_lo, exec_lo, s9
	s_delay_alu instid0(SALU_CYCLE_1)
	s_mov_b32 s9, exec_lo
	v_cmpx_gt_u32_e64 s1, v83
	s_cbranch_execnz .LBB1126_25
.LBB1126_76:                            ;   in Loop: Header=BB1126_16 Depth=2
	s_or_b32 exec_lo, exec_lo, s9
	s_delay_alu instid0(SALU_CYCLE_1)
	s_mov_b32 s9, exec_lo
	v_cmpx_gt_u32_e64 s1, v84
	s_cbranch_execz .LBB1126_26
.LBB1126_77:                            ;   in Loop: Header=BB1126_16 Depth=2
	global_load_b64 v[22:23], v128, s[10:11]
	s_or_b32 exec_lo, exec_lo, s9
	s_delay_alu instid0(SALU_CYCLE_1)
	s_mov_b32 s9, exec_lo
	v_cmpx_gt_u32_e64 s1, v85
	s_cbranch_execnz .LBB1126_27
.LBB1126_78:                            ;   in Loop: Header=BB1126_16 Depth=2
	s_or_b32 exec_lo, exec_lo, s9
	s_delay_alu instid0(SALU_CYCLE_1)
	s_mov_b32 s9, exec_lo
	v_cmpx_gt_u32_e64 s1, v86
	s_cbranch_execz .LBB1126_28
.LBB1126_79:                            ;   in Loop: Header=BB1126_16 Depth=2
	global_load_b64 v[18:19], v130, s[10:11]
	s_or_b32 exec_lo, exec_lo, s9
	s_delay_alu instid0(SALU_CYCLE_1)
	s_mov_b32 s9, exec_lo
	v_cmpx_gt_u32_e64 s1, v87
	s_cbranch_execnz .LBB1126_29
.LBB1126_80:                            ;   in Loop: Header=BB1126_16 Depth=2
	s_or_b32 exec_lo, exec_lo, s9
	s_delay_alu instid0(SALU_CYCLE_1)
	s_mov_b32 s9, exec_lo
	v_cmpx_gt_u32_e64 s1, v88
	s_cbranch_execz .LBB1126_30
.LBB1126_81:                            ;   in Loop: Header=BB1126_16 Depth=2
	global_load_b64 v[14:15], v132, s[10:11]
	s_or_b32 exec_lo, exec_lo, s9
	s_delay_alu instid0(SALU_CYCLE_1)
	s_mov_b32 s9, exec_lo
	v_cmpx_gt_u32_e64 s1, v89
	s_cbranch_execnz .LBB1126_31
.LBB1126_82:                            ;   in Loop: Header=BB1126_16 Depth=2
	s_or_b32 exec_lo, exec_lo, s9
	s_delay_alu instid0(SALU_CYCLE_1)
	s_mov_b32 s9, exec_lo
	v_cmpx_gt_u32_e64 s1, v90
	s_cbranch_execz .LBB1126_32
.LBB1126_83:                            ;   in Loop: Header=BB1126_16 Depth=2
	global_load_b64 v[10:11], v134, s[10:11]
	s_or_b32 exec_lo, exec_lo, s9
	s_delay_alu instid0(SALU_CYCLE_1)
	s_mov_b32 s9, exec_lo
	v_cmpx_gt_u32_e64 s1, v91
	s_cbranch_execnz .LBB1126_33
.LBB1126_84:                            ;   in Loop: Header=BB1126_16 Depth=2
	s_or_b32 exec_lo, exec_lo, s9
	s_delay_alu instid0(SALU_CYCLE_1)
	s_mov_b32 s9, exec_lo
	v_cmpx_gt_u32_e64 s1, v92
	s_cbranch_execz .LBB1126_34
.LBB1126_85:                            ;   in Loop: Header=BB1126_16 Depth=2
	v_lshlrev_b32_e32 v2, 3, v92
	global_load_b64 v[6:7], v2, s[10:11]
	s_or_b32 exec_lo, exec_lo, s9
	s_delay_alu instid0(SALU_CYCLE_1)
	s_mov_b32 s9, exec_lo
	v_cmpx_gt_u32_e64 s1, v93
	s_cbranch_execz .LBB1126_36
	s_branch .LBB1126_35
.LBB1126_86:                            ;   in Loop: Header=BB1126_12 Depth=1
	v_mov_b32_e32 v2, 0
	s_waitcnt vmcnt(0) lgkmcnt(0)
	s_barrier
	buffer_gl0_inv
	s_and_saveexec_b32 s1, s2
	s_cbranch_execz .LBB1126_88
; %bb.87:                               ;   in Loop: Header=BB1126_12 Depth=1
	ds_load_2addr_b64 v[4:7], v96 offset1:1
	s_waitcnt lgkmcnt(0)
	v_add_nc_u32_e32 v2, v5, v4
	s_delay_alu instid0(VALU_DEP_1)
	v_add3_u32 v2, v2, v6, v7
.LBB1126_88:                            ;   in Loop: Header=BB1126_12 Depth=1
	s_or_b32 exec_lo, exec_lo, s1
	v_and_b32_e32 v4, 15, v136
	s_delay_alu instid0(VALU_DEP_2) | instskip(SKIP_1) | instid1(VALU_DEP_3)
	v_mov_b32_dpp v5, v2 row_shr:1 row_mask:0xf bank_mask:0xf
	v_and_b32_e32 v6, 16, v136
	v_cmp_eq_u32_e64 s1, 0, v4
	v_cmp_lt_u32_e64 s7, 1, v4
	v_cmp_lt_u32_e64 s8, 3, v4
	;; [unrolled: 1-line block ×3, first 2 shown]
	v_cmp_eq_u32_e64 s10, 0, v6
	v_cndmask_b32_e64 v5, v5, 0, s1
	s_delay_alu instid0(VALU_DEP_1) | instskip(NEXT) | instid1(VALU_DEP_1)
	v_add_nc_u32_e32 v2, v5, v2
	v_mov_b32_dpp v5, v2 row_shr:2 row_mask:0xf bank_mask:0xf
	s_delay_alu instid0(VALU_DEP_1) | instskip(NEXT) | instid1(VALU_DEP_1)
	v_cndmask_b32_e64 v5, 0, v5, s7
	v_add_nc_u32_e32 v2, v2, v5
	s_delay_alu instid0(VALU_DEP_1) | instskip(NEXT) | instid1(VALU_DEP_1)
	v_mov_b32_dpp v5, v2 row_shr:4 row_mask:0xf bank_mask:0xf
	v_cndmask_b32_e64 v5, 0, v5, s8
	s_delay_alu instid0(VALU_DEP_1) | instskip(NEXT) | instid1(VALU_DEP_1)
	v_add_nc_u32_e32 v2, v2, v5
	v_mov_b32_dpp v5, v2 row_shr:8 row_mask:0xf bank_mask:0xf
	s_delay_alu instid0(VALU_DEP_1) | instskip(SKIP_1) | instid1(VALU_DEP_2)
	v_cndmask_b32_e64 v4, 0, v5, s9
	v_bfe_i32 v5, v136, 4, 1
	v_add_nc_u32_e32 v2, v2, v4
	ds_swizzle_b32 v4, v2 offset:swizzle(BROADCAST,32,15)
	s_waitcnt lgkmcnt(0)
	v_and_b32_e32 v4, v5, v4
	s_delay_alu instid0(VALU_DEP_1)
	v_add_nc_u32_e32 v4, v2, v4
	s_and_saveexec_b32 s11, s3
	s_cbranch_execz .LBB1126_90
; %bb.89:                               ;   in Loop: Header=BB1126_12 Depth=1
	ds_store_b32 v97, v4
.LBB1126_90:                            ;   in Loop: Header=BB1126_12 Depth=1
	s_or_b32 exec_lo, exec_lo, s11
	v_and_b32_e32 v2, 7, v136
	s_waitcnt lgkmcnt(0)
	s_barrier
	buffer_gl0_inv
	s_and_saveexec_b32 s11, s4
	s_cbranch_execz .LBB1126_92
; %bb.91:                               ;   in Loop: Header=BB1126_12 Depth=1
	ds_load_b32 v5, v98
	v_cmp_ne_u32_e32 vcc_lo, 0, v2
	s_waitcnt lgkmcnt(0)
	v_mov_b32_dpp v6, v5 row_shr:1 row_mask:0xf bank_mask:0xf
	s_delay_alu instid0(VALU_DEP_1) | instskip(SKIP_1) | instid1(VALU_DEP_2)
	v_cndmask_b32_e32 v6, 0, v6, vcc_lo
	v_cmp_lt_u32_e32 vcc_lo, 1, v2
	v_add_nc_u32_e32 v5, v6, v5
	s_delay_alu instid0(VALU_DEP_1) | instskip(NEXT) | instid1(VALU_DEP_1)
	v_mov_b32_dpp v6, v5 row_shr:2 row_mask:0xf bank_mask:0xf
	v_cndmask_b32_e32 v6, 0, v6, vcc_lo
	v_cmp_lt_u32_e32 vcc_lo, 3, v2
	s_delay_alu instid0(VALU_DEP_2) | instskip(NEXT) | instid1(VALU_DEP_1)
	v_add_nc_u32_e32 v5, v5, v6
	v_mov_b32_dpp v6, v5 row_shr:4 row_mask:0xf bank_mask:0xf
	s_delay_alu instid0(VALU_DEP_1) | instskip(NEXT) | instid1(VALU_DEP_1)
	v_cndmask_b32_e32 v6, 0, v6, vcc_lo
	v_add_nc_u32_e32 v5, v5, v6
	ds_store_b32 v98, v5
.LBB1126_92:                            ;   in Loop: Header=BB1126_12 Depth=1
	s_or_b32 exec_lo, exec_lo, s11
	v_mov_b32_e32 v5, 0
	s_waitcnt lgkmcnt(0)
	s_barrier
	buffer_gl0_inv
	s_and_saveexec_b32 s11, s5
	s_cbranch_execz .LBB1126_94
; %bb.93:                               ;   in Loop: Header=BB1126_12 Depth=1
	ds_load_b32 v5, v99
.LBB1126_94:                            ;   in Loop: Header=BB1126_12 Depth=1
	s_or_b32 exec_lo, exec_lo, s11
	v_add_nc_u32_e32 v6, -1, v136
	s_waitcnt lgkmcnt(0)
	v_add_nc_u32_e32 v4, v5, v4
	v_cmp_eq_u32_e64 s11, 0, v136
	s_barrier
	v_cmp_gt_i32_e32 vcc_lo, 0, v6
	buffer_gl0_inv
	v_cndmask_b32_e32 v6, v6, v136, vcc_lo
	s_delay_alu instid0(VALU_DEP_1)
	v_lshlrev_b32_e32 v137, 2, v6
	ds_bpermute_b32 v4, v137, v4
	s_and_saveexec_b32 s12, s2
	s_cbranch_execz .LBB1126_96
; %bb.95:                               ;   in Loop: Header=BB1126_12 Depth=1
	s_waitcnt lgkmcnt(0)
	v_cndmask_b32_e64 v4, v4, v5, s11
	s_delay_alu instid0(VALU_DEP_1)
	v_add_nc_u32_e32 v4, s33, v4
	ds_store_b32 v76, v4
.LBB1126_96:                            ;   in Loop: Header=BB1126_12 Depth=1
	s_or_b32 exec_lo, exec_lo, s12
	s_clause 0x1
	s_load_b32 s12, s[38:39], 0x4
	s_load_b32 s16, s[38:39], 0xc
	v_lshlrev_b32_e32 v6, 3, v136
	v_cmp_lt_u32_e64 s14, 3, v2
	v_or_b32_e32 v138, v136, v100
	s_mov_b32 s56, s62
	s_mov_b32 s40, s33
	v_add_co_u32 v139, vcc_lo, v106, v6
	v_add_co_ci_u32_e32 v140, vcc_lo, 0, v107, vcc_lo
	v_add_co_u32 v156, vcc_lo, v108, v6
	v_add_co_ci_u32_e32 v157, vcc_lo, 0, v109, vcc_lo
	v_or_b32_e32 v141, 32, v138
	s_delay_alu instid0(VALU_DEP_3)
	v_add_co_u32 v159, vcc_lo, 0xf00, v156
	v_or_b32_e32 v142, 64, v138
	v_or_b32_e32 v143, 0x60, v138
	s_waitcnt lgkmcnt(0)
	s_cmp_lt_u32 s15, s12
	v_or_b32_e32 v144, 0x80, v138
	s_cselect_b32 s12, 14, 20
	v_or_b32_e32 v145, 0xa0, v138
	s_add_u32 s12, s38, s12
	s_addc_u32 s13, s39, 0
	s_and_b32 s16, s16, 0xffff
	global_load_u16 v4, v3, s[12:13]
	v_cmp_eq_u32_e64 s12, 0, v2
	v_cmp_lt_u32_e64 s13, 1, v2
	v_or_b32_e32 v146, 0xc0, v138
	v_or_b32_e32 v147, 0xe0, v138
	;; [unrolled: 1-line block ×10, first 2 shown]
	v_add_co_ci_u32_e32 v160, vcc_lo, 0, v157, vcc_lo
                                        ; implicit-def: $vgpr6_vgpr7
                                        ; implicit-def: $vgpr8_vgpr9
                                        ; implicit-def: $vgpr10_vgpr11
                                        ; implicit-def: $vgpr12_vgpr13
                                        ; implicit-def: $vgpr14_vgpr15
                                        ; implicit-def: $vgpr16_vgpr17
                                        ; implicit-def: $vgpr18_vgpr19
                                        ; implicit-def: $vgpr20_vgpr21
                                        ; implicit-def: $vgpr22_vgpr23
                                        ; implicit-def: $vgpr24_vgpr25
                                        ; implicit-def: $vgpr26_vgpr27
                                        ; implicit-def: $vgpr28_vgpr29
                                        ; implicit-def: $vgpr30_vgpr31
                                        ; implicit-def: $vgpr32_vgpr33
                                        ; implicit-def: $vgpr34_vgpr35
                                        ; implicit-def: $vgpr161
                                        ; implicit-def: $vgpr162
                                        ; implicit-def: $vgpr163
                                        ; implicit-def: $vgpr164
                                        ; implicit-def: $vgpr165
                                        ; implicit-def: $vgpr166
                                        ; implicit-def: $vgpr167
                                        ; implicit-def: $vgpr168
                                        ; implicit-def: $vgpr169
                                        ; implicit-def: $vgpr170
                                        ; implicit-def: $vgpr171
                                        ; implicit-def: $vgpr172
                                        ; implicit-def: $vgpr173
                                        ; implicit-def: $vgpr174
                                        ; implicit-def: $vgpr175
                                        ; implicit-def: $vgpr176
	s_waitcnt vmcnt(0)
	v_mad_u32_u24 v2, v101, v4, v0
	s_delay_alu instid0(VALU_DEP_1) | instskip(NEXT) | instid1(VALU_DEP_1)
	v_mad_u64_u32 v[4:5], null, v2, s16, v[1:2]
	v_lshrrev_b32_e32 v158, 5, v4
                                        ; implicit-def: $vgpr4_vgpr5
	s_branch .LBB1126_98
.LBB1126_97:                            ;   in Loop: Header=BB1126_98 Depth=2
	s_or_b32 exec_lo, exec_lo, s16
	s_addk_i32 s56, 0xf000
	s_cmp_lt_u32 s60, s35
	s_mov_b32 s40, s60
	s_cbranch_scc0 .LBB1126_307
.LBB1126_98:                            ;   Parent Loop BB1126_12 Depth=1
                                        ; =>  This Inner Loop Header: Depth=2
	s_add_i32 s60, s40, 0x1000
	s_delay_alu instid0(SALU_CYCLE_1)
	s_cmp_gt_u32 s60, s35
	s_cbranch_scc1 .LBB1126_101
; %bb.99:                               ;   in Loop: Header=BB1126_98 Depth=2
	s_mov_b32 s41, 0
	s_mov_b32 s19, -1
	s_lshl_b64 s[16:17], s[40:41], 3
	s_movk_i32 s18, 0x1000
	v_add_co_u32 v40, vcc_lo, v156, s16
	v_add_co_ci_u32_e32 v41, vcc_lo, s17, v157, vcc_lo
	s_clause 0xe
	global_load_b64 v[36:37], v[40:41], off
	global_load_b64 v[38:39], v[40:41], off offset:256
	global_load_b64 v[44:45], v[40:41], off offset:512
	;; [unrolled: 1-line block ×14, first 2 shown]
	s_cbranch_execz .LBB1126_102
; %bb.100:                              ;   in Loop: Header=BB1126_98 Depth=2
                                        ; implicit-def: $sgpr16_sgpr17
	s_branch .LBB1126_133
.LBB1126_101:                           ;   in Loop: Header=BB1126_98 Depth=2
	s_mov_b32 s41, -1
	s_mov_b32 s19, 0
                                        ; implicit-def: $sgpr18
                                        ; implicit-def: $vgpr36_vgpr37
                                        ; implicit-def: $vgpr38_vgpr39
                                        ; implicit-def: $vgpr44_vgpr45
                                        ; implicit-def: $vgpr48_vgpr49
                                        ; implicit-def: $vgpr54_vgpr55
                                        ; implicit-def: $vgpr58_vgpr59
                                        ; implicit-def: $vgpr62_vgpr63
                                        ; implicit-def: $vgpr66_vgpr67
                                        ; implicit-def: $vgpr64_vgpr65
                                        ; implicit-def: $vgpr60_vgpr61
                                        ; implicit-def: $vgpr56_vgpr57
                                        ; implicit-def: $vgpr52_vgpr53
                                        ; implicit-def: $vgpr50_vgpr51
                                        ; implicit-def: $vgpr46_vgpr47
                                        ; implicit-def: $vgpr40_vgpr41
.LBB1126_102:                           ;   in Loop: Header=BB1126_98 Depth=2
	s_mov_b32 s41, s36
	s_waitcnt vmcnt(13)
	v_mov_b32_e32 v38, -1
	v_mov_b32_e32 v39, -1
	s_lshl_b64 s[16:17], s[40:41], 3
	s_delay_alu instid0(VALU_DEP_2) | instskip(SKIP_1) | instid1(VALU_DEP_3)
	v_mov_b32_e32 v36, v38
	v_add_co_u32 v42, vcc_lo, v156, s16
	v_mov_b32_e32 v37, v39
	v_add_co_ci_u32_e32 v43, vcc_lo, s17, v157, vcc_lo
	s_mov_b32 s16, exec_lo
	v_cmpx_gt_u32_e64 s56, v138
	s_cbranch_execz .LBB1126_104
; %bb.103:                              ;   in Loop: Header=BB1126_98 Depth=2
	global_load_b64 v[36:37], v[42:43], off
.LBB1126_104:                           ;   in Loop: Header=BB1126_98 Depth=2
	s_or_b32 exec_lo, exec_lo, s16
	s_delay_alu instid0(SALU_CYCLE_1)
	s_mov_b32 s16, exec_lo
	v_cmpx_gt_u32_e64 s56, v141
	s_cbranch_execz .LBB1126_106
; %bb.105:                              ;   in Loop: Header=BB1126_98 Depth=2
	global_load_b64 v[38:39], v[42:43], off offset:256
.LBB1126_106:                           ;   in Loop: Header=BB1126_98 Depth=2
	s_or_b32 exec_lo, exec_lo, s16
	s_waitcnt vmcnt(11)
	v_mov_b32_e32 v48, -1
	v_mov_b32_e32 v49, -1
	s_delay_alu instid0(VALU_DEP_2) | instskip(SKIP_1) | instid1(VALU_DEP_2)
	v_mov_b32_e32 v44, v48
	s_mov_b32 s16, exec_lo
	v_mov_b32_e32 v45, v49
	v_cmpx_gt_u32_e64 s56, v142
	s_cbranch_execz .LBB1126_108
; %bb.107:                              ;   in Loop: Header=BB1126_98 Depth=2
	global_load_b64 v[44:45], v[42:43], off offset:512
.LBB1126_108:                           ;   in Loop: Header=BB1126_98 Depth=2
	s_or_b32 exec_lo, exec_lo, s16
	s_delay_alu instid0(SALU_CYCLE_1)
	s_mov_b32 s16, exec_lo
	v_cmpx_gt_u32_e64 s56, v143
	s_cbranch_execz .LBB1126_110
; %bb.109:                              ;   in Loop: Header=BB1126_98 Depth=2
	global_load_b64 v[48:49], v[42:43], off offset:768
.LBB1126_110:                           ;   in Loop: Header=BB1126_98 Depth=2
	s_or_b32 exec_lo, exec_lo, s16
	s_waitcnt vmcnt(9)
	v_mov_b32_e32 v58, -1
	v_mov_b32_e32 v59, -1
	s_delay_alu instid0(VALU_DEP_2) | instskip(SKIP_1) | instid1(VALU_DEP_2)
	v_mov_b32_e32 v54, v58
	s_mov_b32 s16, exec_lo
	v_mov_b32_e32 v55, v59
	v_cmpx_gt_u32_e64 s56, v144
	s_cbranch_execz .LBB1126_112
; %bb.111:                              ;   in Loop: Header=BB1126_98 Depth=2
	global_load_b64 v[54:55], v[42:43], off offset:1024
.LBB1126_112:                           ;   in Loop: Header=BB1126_98 Depth=2
	;; [unrolled: 21-line block ×3, first 2 shown]
	s_or_b32 exec_lo, exec_lo, s16
	s_delay_alu instid0(SALU_CYCLE_1)
	s_mov_b32 s16, exec_lo
	v_cmpx_gt_u32_e64 s56, v147
	s_cbranch_execz .LBB1126_118
; %bb.117:                              ;   in Loop: Header=BB1126_98 Depth=2
	global_load_b64 v[66:67], v[42:43], off offset:1792
.LBB1126_118:                           ;   in Loop: Header=BB1126_98 Depth=2
	s_or_b32 exec_lo, exec_lo, s16
	s_waitcnt vmcnt(5)
	v_mov_b32_e32 v60, -1
	v_mov_b32_e32 v61, -1
	s_mov_b32 s16, exec_lo
	s_delay_alu instid0(VALU_DEP_1)
	v_dual_mov_b32 v65, v61 :: v_dual_mov_b32 v64, v60
	v_cmpx_gt_u32_e64 s56, v148
	s_cbranch_execz .LBB1126_120
; %bb.119:                              ;   in Loop: Header=BB1126_98 Depth=2
	global_load_b64 v[64:65], v[42:43], off offset:2048
.LBB1126_120:                           ;   in Loop: Header=BB1126_98 Depth=2
	s_or_b32 exec_lo, exec_lo, s16
	s_delay_alu instid0(SALU_CYCLE_1)
	s_mov_b32 s16, exec_lo
	v_cmpx_gt_u32_e64 s56, v149
	s_cbranch_execz .LBB1126_122
; %bb.121:                              ;   in Loop: Header=BB1126_98 Depth=2
	global_load_b64 v[60:61], v[42:43], off offset:2304
.LBB1126_122:                           ;   in Loop: Header=BB1126_98 Depth=2
	s_or_b32 exec_lo, exec_lo, s16
	s_waitcnt vmcnt(3)
	v_mov_b32_e32 v52, -1
	v_mov_b32_e32 v53, -1
	s_mov_b32 s16, exec_lo
	s_delay_alu instid0(VALU_DEP_1)
	v_dual_mov_b32 v57, v53 :: v_dual_mov_b32 v56, v52
	v_cmpx_gt_u32_e64 s56, v150
	s_cbranch_execz .LBB1126_124
; %bb.123:                              ;   in Loop: Header=BB1126_98 Depth=2
	global_load_b64 v[56:57], v[42:43], off offset:2560
.LBB1126_124:                           ;   in Loop: Header=BB1126_98 Depth=2
	;; [unrolled: 20-line block ×3, first 2 shown]
	s_or_b32 exec_lo, exec_lo, s16
	s_delay_alu instid0(SALU_CYCLE_1)
	s_mov_b32 s16, exec_lo
	v_cmpx_gt_u32_e64 s56, v153
	s_cbranch_execz .LBB1126_130
; %bb.129:                              ;   in Loop: Header=BB1126_98 Depth=2
	global_load_b64 v[46:47], v[42:43], off offset:3328
.LBB1126_130:                           ;   in Loop: Header=BB1126_98 Depth=2
	s_or_b32 exec_lo, exec_lo, s16
	s_waitcnt vmcnt(0)
	v_mov_b32_e32 v40, -1
	v_mov_b32_e32 v41, -1
	s_mov_b32 s16, exec_lo
	v_cmpx_gt_u32_e64 s56, v154
	s_cbranch_execz .LBB1126_132
; %bb.131:                              ;   in Loop: Header=BB1126_98 Depth=2
	global_load_b64 v[40:41], v[42:43], off offset:3584
.LBB1126_132:                           ;   in Loop: Header=BB1126_98 Depth=2
	s_or_b32 exec_lo, exec_lo, s16
	v_cmp_gt_u32_e64 s19, s56, v155
	s_sub_i32 s18, s35, s40
	s_mov_b64 s[16:17], -1
.LBB1126_133:                           ;   in Loop: Header=BB1126_98 Depth=2
	s_delay_alu instid0(SALU_CYCLE_1)
	v_dual_mov_b32 v43, s17 :: v_dual_mov_b32 v42, s16
	v_mov_b32_e32 v177, s56
	s_and_saveexec_b32 s16, s19
	s_cbranch_execz .LBB1126_135
; %bb.134:                              ;   in Loop: Header=BB1126_98 Depth=2
	s_lshl_b64 s[20:21], s[40:41], 3
	v_mov_b32_e32 v177, s18
	v_add_co_u32 v42, vcc_lo, v159, s20
	v_add_co_ci_u32_e32 v43, vcc_lo, s21, v160, vcc_lo
	global_load_b64 v[42:43], v[42:43], off
.LBB1126_135:                           ;   in Loop: Header=BB1126_98 Depth=2
	s_or_b32 exec_lo, exec_lo, s16
	s_waitcnt vmcnt(14)
	v_cmp_gt_i64_e32 vcc_lo, 0, v[36:37]
	v_ashrrev_i32_e32 v2, 31, v37
	ds_store_b32 v102, v3 offset:1056
	ds_store_2addr_b32 v103, v3, v3 offset0:1 offset1:2
	ds_store_2addr_b32 v103, v3, v3 offset0:3 offset1:4
	;; [unrolled: 1-line block ×4, first 2 shown]
	s_waitcnt vmcnt(0) lgkmcnt(0)
	s_barrier
	v_cndmask_b32_e64 v68, 0x7fffffff, 0, vcc_lo
	v_not_b32_e32 v2, v2
	buffer_gl0_inv
	; wave barrier
	v_xor_b32_e32 v37, v68, v37
	v_xor_b32_e32 v36, v2, v36
	s_delay_alu instid0(VALU_DEP_1) | instskip(SKIP_2) | instid1(VALU_DEP_1)
	v_cmp_ne_u64_e32 vcc_lo, s[36:37], v[36:37]
	v_cndmask_b32_e32 v69, 0x7fffffff, v37, vcc_lo
	v_cndmask_b32_e32 v68, -1, v36, vcc_lo
	v_lshrrev_b64 v[68:69], s43, v[68:69]
	s_delay_alu instid0(VALU_DEP_1) | instskip(NEXT) | instid1(VALU_DEP_1)
	v_and_b32_e32 v69, s51, v68
	v_lshlrev_b32_e32 v71, 28, v69
	v_and_b32_e32 v2, 1, v69
	v_lshlrev_b32_e32 v68, 30, v69
	v_lshlrev_b32_e32 v70, 29, v69
	;; [unrolled: 1-line block ×4, first 2 shown]
	v_add_co_u32 v2, s16, v2, -1
	s_delay_alu instid0(VALU_DEP_1)
	v_cndmask_b32_e64 v72, 0, 1, s16
	v_not_b32_e32 v178, v68
	v_cmp_gt_i32_e64 s16, 0, v68
	v_not_b32_e32 v68, v70
	v_lshlrev_b32_e32 v75, 25, v69
	v_cmp_ne_u32_e32 vcc_lo, 0, v72
	v_ashrrev_i32_e32 v178, 31, v178
	v_lshlrev_b32_e32 v72, 24, v69
	v_ashrrev_i32_e32 v68, 31, v68
	v_mad_u32_u24 v69, v69, 9, v158
	v_xor_b32_e32 v2, vcc_lo, v2
	v_cmp_gt_i32_e32 vcc_lo, 0, v70
	v_not_b32_e32 v70, v71
	v_xor_b32_e32 v178, s16, v178
	v_cmp_gt_i32_e64 s16, 0, v71
	v_and_b32_e32 v2, exec_lo, v2
	v_not_b32_e32 v71, v73
	v_ashrrev_i32_e32 v70, 31, v70
	v_xor_b32_e32 v68, vcc_lo, v68
	v_cmp_gt_i32_e32 vcc_lo, 0, v73
	v_and_b32_e32 v2, v2, v178
	v_not_b32_e32 v73, v74
	v_ashrrev_i32_e32 v71, 31, v71
	v_xor_b32_e32 v70, s16, v70
	v_cmp_gt_i32_e64 s16, 0, v74
	v_and_b32_e32 v2, v2, v68
	v_not_b32_e32 v68, v75
	v_ashrrev_i32_e32 v73, 31, v73
	v_xor_b32_e32 v71, vcc_lo, v71
	v_cmp_gt_i32_e32 vcc_lo, 0, v75
	v_and_b32_e32 v2, v2, v70
	v_not_b32_e32 v70, v72
	v_ashrrev_i32_e32 v68, 31, v68
	v_xor_b32_e32 v73, s16, v73
	v_cmp_gt_i32_e64 s16, 0, v72
	v_and_b32_e32 v2, v2, v71
	v_ashrrev_i32_e32 v70, 31, v70
	v_xor_b32_e32 v68, vcc_lo, v68
	v_lshl_add_u32 v178, v69, 2, 0x420
	s_delay_alu instid0(VALU_DEP_4) | instskip(NEXT) | instid1(VALU_DEP_4)
	v_and_b32_e32 v2, v2, v73
	v_xor_b32_e32 v70, s16, v70
	s_delay_alu instid0(VALU_DEP_2) | instskip(NEXT) | instid1(VALU_DEP_1)
	v_and_b32_e32 v2, v2, v68
	v_and_b32_e32 v68, v2, v70
	s_delay_alu instid0(VALU_DEP_1) | instskip(SKIP_1) | instid1(VALU_DEP_2)
	v_mbcnt_lo_u32_b32 v2, v68, 0
	v_cmp_ne_u32_e64 s16, 0, v68
	v_cmp_eq_u32_e32 vcc_lo, 0, v2
	s_delay_alu instid0(VALU_DEP_2) | instskip(NEXT) | instid1(SALU_CYCLE_1)
	s_and_b32 s17, s16, vcc_lo
	s_and_saveexec_b32 s16, s17
	s_cbranch_execz .LBB1126_137
; %bb.136:                              ;   in Loop: Header=BB1126_98 Depth=2
	v_bcnt_u32_b32 v68, v68, 0
	ds_store_b32 v178, v68
.LBB1126_137:                           ;   in Loop: Header=BB1126_98 Depth=2
	s_or_b32 exec_lo, exec_lo, s16
	v_cmp_gt_i64_e32 vcc_lo, 0, v[38:39]
	v_ashrrev_i32_e32 v68, 31, v39
	; wave barrier
	s_delay_alu instid0(VALU_DEP_1) | instskip(SKIP_1) | instid1(VALU_DEP_2)
	v_not_b32_e32 v68, v68
	v_cndmask_b32_e64 v69, 0x7fffffff, 0, vcc_lo
	v_xor_b32_e32 v38, v68, v38
	s_delay_alu instid0(VALU_DEP_2) | instskip(NEXT) | instid1(VALU_DEP_1)
	v_xor_b32_e32 v39, v69, v39
	v_cmp_ne_u64_e32 vcc_lo, s[36:37], v[38:39]
	v_cndmask_b32_e32 v69, 0x7fffffff, v39, vcc_lo
	v_cndmask_b32_e32 v68, -1, v38, vcc_lo
	s_delay_alu instid0(VALU_DEP_1) | instskip(NEXT) | instid1(VALU_DEP_1)
	v_lshrrev_b64 v[68:69], s43, v[68:69]
	v_and_b32_e32 v68, s51, v68
	s_delay_alu instid0(VALU_DEP_1)
	v_and_b32_e32 v69, 1, v68
	v_lshlrev_b32_e32 v70, 30, v68
	v_lshlrev_b32_e32 v71, 29, v68
	;; [unrolled: 1-line block ×4, first 2 shown]
	v_add_co_u32 v69, s16, v69, -1
	s_delay_alu instid0(VALU_DEP_1)
	v_cndmask_b32_e64 v73, 0, 1, s16
	v_not_b32_e32 v180, v70
	v_cmp_gt_i32_e64 s16, 0, v70
	v_not_b32_e32 v70, v71
	v_lshlrev_b32_e32 v75, 26, v68
	v_cmp_ne_u32_e32 vcc_lo, 0, v73
	v_ashrrev_i32_e32 v180, 31, v180
	v_lshlrev_b32_e32 v179, 25, v68
	v_ashrrev_i32_e32 v70, 31, v70
	v_lshlrev_b32_e32 v73, 24, v68
	v_xor_b32_e32 v69, vcc_lo, v69
	v_cmp_gt_i32_e32 vcc_lo, 0, v71
	v_not_b32_e32 v71, v72
	v_xor_b32_e32 v180, s16, v180
	v_cmp_gt_i32_e64 s16, 0, v72
	v_and_b32_e32 v69, exec_lo, v69
	v_not_b32_e32 v72, v74
	v_ashrrev_i32_e32 v71, 31, v71
	v_xor_b32_e32 v70, vcc_lo, v70
	v_cmp_gt_i32_e32 vcc_lo, 0, v74
	v_and_b32_e32 v69, v69, v180
	v_not_b32_e32 v74, v75
	v_ashrrev_i32_e32 v72, 31, v72
	v_xor_b32_e32 v71, s16, v71
	v_cmp_gt_i32_e64 s16, 0, v75
	v_and_b32_e32 v69, v69, v70
	v_not_b32_e32 v70, v179
	v_ashrrev_i32_e32 v74, 31, v74
	v_xor_b32_e32 v72, vcc_lo, v72
	v_cmp_gt_i32_e32 vcc_lo, 0, v179
	v_and_b32_e32 v69, v69, v71
	v_not_b32_e32 v71, v73
	v_ashrrev_i32_e32 v70, 31, v70
	v_xor_b32_e32 v74, s16, v74
	v_mul_u32_u24_e32 v68, 9, v68
	v_and_b32_e32 v69, v69, v72
	v_cmp_gt_i32_e64 s16, 0, v73
	v_ashrrev_i32_e32 v71, 31, v71
	v_xor_b32_e32 v70, vcc_lo, v70
	v_add_lshl_u32 v72, v68, v158, 2
	v_and_b32_e32 v69, v69, v74
	s_delay_alu instid0(VALU_DEP_4) | instskip(SKIP_3) | instid1(VALU_DEP_2)
	v_xor_b32_e32 v68, s16, v71
	ds_load_b32 v179, v72 offset:1056
	v_and_b32_e32 v69, v69, v70
	v_add_nc_u32_e32 v181, 0x420, v72
	; wave barrier
	v_and_b32_e32 v68, v69, v68
	s_delay_alu instid0(VALU_DEP_1) | instskip(SKIP_1) | instid1(VALU_DEP_2)
	v_mbcnt_lo_u32_b32 v180, v68, 0
	v_cmp_ne_u32_e64 s16, 0, v68
	v_cmp_eq_u32_e32 vcc_lo, 0, v180
	s_delay_alu instid0(VALU_DEP_2) | instskip(NEXT) | instid1(SALU_CYCLE_1)
	s_and_b32 s17, s16, vcc_lo
	s_and_saveexec_b32 s16, s17
	s_cbranch_execz .LBB1126_139
; %bb.138:                              ;   in Loop: Header=BB1126_98 Depth=2
	s_waitcnt lgkmcnt(0)
	v_bcnt_u32_b32 v68, v68, v179
	ds_store_b32 v181, v68
.LBB1126_139:                           ;   in Loop: Header=BB1126_98 Depth=2
	s_or_b32 exec_lo, exec_lo, s16
	v_cmp_gt_i64_e32 vcc_lo, 0, v[44:45]
	v_ashrrev_i32_e32 v68, 31, v45
	; wave barrier
	s_delay_alu instid0(VALU_DEP_1) | instskip(SKIP_1) | instid1(VALU_DEP_2)
	v_not_b32_e32 v68, v68
	v_cndmask_b32_e64 v69, 0x7fffffff, 0, vcc_lo
	v_xor_b32_e32 v44, v68, v44
	s_delay_alu instid0(VALU_DEP_2) | instskip(NEXT) | instid1(VALU_DEP_1)
	v_xor_b32_e32 v45, v69, v45
	v_cmp_ne_u64_e32 vcc_lo, s[36:37], v[44:45]
	v_cndmask_b32_e32 v69, 0x7fffffff, v45, vcc_lo
	v_cndmask_b32_e32 v68, -1, v44, vcc_lo
	s_delay_alu instid0(VALU_DEP_1) | instskip(NEXT) | instid1(VALU_DEP_1)
	v_lshrrev_b64 v[68:69], s43, v[68:69]
	v_and_b32_e32 v68, s51, v68
	s_delay_alu instid0(VALU_DEP_1)
	v_and_b32_e32 v69, 1, v68
	v_lshlrev_b32_e32 v70, 30, v68
	v_lshlrev_b32_e32 v71, 29, v68
	;; [unrolled: 1-line block ×4, first 2 shown]
	v_add_co_u32 v69, s16, v69, -1
	s_delay_alu instid0(VALU_DEP_1)
	v_cndmask_b32_e64 v73, 0, 1, s16
	v_not_b32_e32 v183, v70
	v_cmp_gt_i32_e64 s16, 0, v70
	v_not_b32_e32 v70, v71
	v_lshlrev_b32_e32 v75, 26, v68
	v_cmp_ne_u32_e32 vcc_lo, 0, v73
	v_ashrrev_i32_e32 v183, 31, v183
	v_lshlrev_b32_e32 v182, 25, v68
	v_ashrrev_i32_e32 v70, 31, v70
	v_lshlrev_b32_e32 v73, 24, v68
	v_xor_b32_e32 v69, vcc_lo, v69
	v_cmp_gt_i32_e32 vcc_lo, 0, v71
	v_not_b32_e32 v71, v72
	v_xor_b32_e32 v183, s16, v183
	v_cmp_gt_i32_e64 s16, 0, v72
	v_and_b32_e32 v69, exec_lo, v69
	v_not_b32_e32 v72, v74
	v_ashrrev_i32_e32 v71, 31, v71
	v_xor_b32_e32 v70, vcc_lo, v70
	v_cmp_gt_i32_e32 vcc_lo, 0, v74
	v_and_b32_e32 v69, v69, v183
	v_not_b32_e32 v74, v75
	v_ashrrev_i32_e32 v72, 31, v72
	v_xor_b32_e32 v71, s16, v71
	v_cmp_gt_i32_e64 s16, 0, v75
	v_and_b32_e32 v69, v69, v70
	v_not_b32_e32 v70, v182
	v_ashrrev_i32_e32 v74, 31, v74
	v_xor_b32_e32 v72, vcc_lo, v72
	v_cmp_gt_i32_e32 vcc_lo, 0, v182
	v_and_b32_e32 v69, v69, v71
	v_not_b32_e32 v71, v73
	v_ashrrev_i32_e32 v70, 31, v70
	v_xor_b32_e32 v74, s16, v74
	v_mul_u32_u24_e32 v68, 9, v68
	v_and_b32_e32 v69, v69, v72
	v_cmp_gt_i32_e64 s16, 0, v73
	v_ashrrev_i32_e32 v71, 31, v71
	v_xor_b32_e32 v70, vcc_lo, v70
	v_add_lshl_u32 v72, v68, v158, 2
	v_and_b32_e32 v69, v69, v74
	s_delay_alu instid0(VALU_DEP_4) | instskip(SKIP_3) | instid1(VALU_DEP_2)
	v_xor_b32_e32 v68, s16, v71
	ds_load_b32 v182, v72 offset:1056
	v_and_b32_e32 v69, v69, v70
	v_add_nc_u32_e32 v184, 0x420, v72
	; wave barrier
	v_and_b32_e32 v68, v69, v68
	s_delay_alu instid0(VALU_DEP_1) | instskip(SKIP_1) | instid1(VALU_DEP_2)
	v_mbcnt_lo_u32_b32 v183, v68, 0
	v_cmp_ne_u32_e64 s16, 0, v68
	v_cmp_eq_u32_e32 vcc_lo, 0, v183
	s_delay_alu instid0(VALU_DEP_2) | instskip(NEXT) | instid1(SALU_CYCLE_1)
	s_and_b32 s17, s16, vcc_lo
	s_and_saveexec_b32 s16, s17
	s_cbranch_execz .LBB1126_141
; %bb.140:                              ;   in Loop: Header=BB1126_98 Depth=2
	s_waitcnt lgkmcnt(0)
	v_bcnt_u32_b32 v68, v68, v182
	ds_store_b32 v184, v68
.LBB1126_141:                           ;   in Loop: Header=BB1126_98 Depth=2
	s_or_b32 exec_lo, exec_lo, s16
	v_cmp_gt_i64_e32 vcc_lo, 0, v[48:49]
	v_ashrrev_i32_e32 v68, 31, v49
	; wave barrier
	s_delay_alu instid0(VALU_DEP_1) | instskip(SKIP_1) | instid1(VALU_DEP_2)
	v_not_b32_e32 v68, v68
	v_cndmask_b32_e64 v69, 0x7fffffff, 0, vcc_lo
	v_xor_b32_e32 v48, v68, v48
	s_delay_alu instid0(VALU_DEP_2) | instskip(NEXT) | instid1(VALU_DEP_1)
	v_xor_b32_e32 v49, v69, v49
	v_cmp_ne_u64_e32 vcc_lo, s[36:37], v[48:49]
	v_cndmask_b32_e32 v69, 0x7fffffff, v49, vcc_lo
	v_cndmask_b32_e32 v68, -1, v48, vcc_lo
	s_delay_alu instid0(VALU_DEP_1) | instskip(NEXT) | instid1(VALU_DEP_1)
	v_lshrrev_b64 v[68:69], s43, v[68:69]
	v_and_b32_e32 v68, s51, v68
	s_delay_alu instid0(VALU_DEP_1)
	v_and_b32_e32 v69, 1, v68
	v_lshlrev_b32_e32 v70, 30, v68
	v_lshlrev_b32_e32 v71, 29, v68
	;; [unrolled: 1-line block ×4, first 2 shown]
	v_add_co_u32 v69, s16, v69, -1
	s_delay_alu instid0(VALU_DEP_1)
	v_cndmask_b32_e64 v73, 0, 1, s16
	v_not_b32_e32 v186, v70
	v_cmp_gt_i32_e64 s16, 0, v70
	v_not_b32_e32 v70, v71
	v_lshlrev_b32_e32 v75, 26, v68
	v_cmp_ne_u32_e32 vcc_lo, 0, v73
	v_ashrrev_i32_e32 v186, 31, v186
	v_lshlrev_b32_e32 v185, 25, v68
	v_ashrrev_i32_e32 v70, 31, v70
	v_lshlrev_b32_e32 v73, 24, v68
	v_xor_b32_e32 v69, vcc_lo, v69
	v_cmp_gt_i32_e32 vcc_lo, 0, v71
	v_not_b32_e32 v71, v72
	v_xor_b32_e32 v186, s16, v186
	v_cmp_gt_i32_e64 s16, 0, v72
	v_and_b32_e32 v69, exec_lo, v69
	v_not_b32_e32 v72, v74
	v_ashrrev_i32_e32 v71, 31, v71
	v_xor_b32_e32 v70, vcc_lo, v70
	v_cmp_gt_i32_e32 vcc_lo, 0, v74
	v_and_b32_e32 v69, v69, v186
	v_not_b32_e32 v74, v75
	v_ashrrev_i32_e32 v72, 31, v72
	v_xor_b32_e32 v71, s16, v71
	v_cmp_gt_i32_e64 s16, 0, v75
	v_and_b32_e32 v69, v69, v70
	v_not_b32_e32 v70, v185
	v_ashrrev_i32_e32 v74, 31, v74
	v_xor_b32_e32 v72, vcc_lo, v72
	v_cmp_gt_i32_e32 vcc_lo, 0, v185
	v_and_b32_e32 v69, v69, v71
	v_not_b32_e32 v71, v73
	v_ashrrev_i32_e32 v70, 31, v70
	v_xor_b32_e32 v74, s16, v74
	v_mul_u32_u24_e32 v68, 9, v68
	v_and_b32_e32 v69, v69, v72
	v_cmp_gt_i32_e64 s16, 0, v73
	v_ashrrev_i32_e32 v71, 31, v71
	v_xor_b32_e32 v70, vcc_lo, v70
	v_add_lshl_u32 v72, v68, v158, 2
	v_and_b32_e32 v69, v69, v74
	s_delay_alu instid0(VALU_DEP_4) | instskip(SKIP_3) | instid1(VALU_DEP_2)
	v_xor_b32_e32 v68, s16, v71
	ds_load_b32 v185, v72 offset:1056
	v_and_b32_e32 v69, v69, v70
	v_add_nc_u32_e32 v187, 0x420, v72
	; wave barrier
	v_and_b32_e32 v68, v69, v68
	s_delay_alu instid0(VALU_DEP_1) | instskip(SKIP_1) | instid1(VALU_DEP_2)
	v_mbcnt_lo_u32_b32 v186, v68, 0
	v_cmp_ne_u32_e64 s16, 0, v68
	v_cmp_eq_u32_e32 vcc_lo, 0, v186
	s_delay_alu instid0(VALU_DEP_2) | instskip(NEXT) | instid1(SALU_CYCLE_1)
	s_and_b32 s17, s16, vcc_lo
	s_and_saveexec_b32 s16, s17
	s_cbranch_execz .LBB1126_143
; %bb.142:                              ;   in Loop: Header=BB1126_98 Depth=2
	s_waitcnt lgkmcnt(0)
	v_bcnt_u32_b32 v68, v68, v185
	ds_store_b32 v187, v68
.LBB1126_143:                           ;   in Loop: Header=BB1126_98 Depth=2
	s_or_b32 exec_lo, exec_lo, s16
	v_cmp_gt_i64_e32 vcc_lo, 0, v[54:55]
	v_ashrrev_i32_e32 v68, 31, v55
	; wave barrier
	s_delay_alu instid0(VALU_DEP_1) | instskip(SKIP_1) | instid1(VALU_DEP_2)
	v_not_b32_e32 v68, v68
	v_cndmask_b32_e64 v69, 0x7fffffff, 0, vcc_lo
	v_xor_b32_e32 v54, v68, v54
	s_delay_alu instid0(VALU_DEP_2) | instskip(NEXT) | instid1(VALU_DEP_1)
	v_xor_b32_e32 v55, v69, v55
	v_cmp_ne_u64_e32 vcc_lo, s[36:37], v[54:55]
	v_cndmask_b32_e32 v69, 0x7fffffff, v55, vcc_lo
	v_cndmask_b32_e32 v68, -1, v54, vcc_lo
	s_delay_alu instid0(VALU_DEP_1) | instskip(NEXT) | instid1(VALU_DEP_1)
	v_lshrrev_b64 v[68:69], s43, v[68:69]
	v_and_b32_e32 v68, s51, v68
	s_delay_alu instid0(VALU_DEP_1)
	v_and_b32_e32 v69, 1, v68
	v_lshlrev_b32_e32 v70, 30, v68
	v_lshlrev_b32_e32 v71, 29, v68
	v_lshlrev_b32_e32 v72, 28, v68
	v_lshlrev_b32_e32 v74, 27, v68
	v_add_co_u32 v69, s16, v69, -1
	s_delay_alu instid0(VALU_DEP_1)
	v_cndmask_b32_e64 v73, 0, 1, s16
	v_not_b32_e32 v189, v70
	v_cmp_gt_i32_e64 s16, 0, v70
	v_not_b32_e32 v70, v71
	v_lshlrev_b32_e32 v75, 26, v68
	v_cmp_ne_u32_e32 vcc_lo, 0, v73
	v_ashrrev_i32_e32 v189, 31, v189
	v_lshlrev_b32_e32 v188, 25, v68
	v_ashrrev_i32_e32 v70, 31, v70
	v_lshlrev_b32_e32 v73, 24, v68
	v_xor_b32_e32 v69, vcc_lo, v69
	v_cmp_gt_i32_e32 vcc_lo, 0, v71
	v_not_b32_e32 v71, v72
	v_xor_b32_e32 v189, s16, v189
	v_cmp_gt_i32_e64 s16, 0, v72
	v_and_b32_e32 v69, exec_lo, v69
	v_not_b32_e32 v72, v74
	v_ashrrev_i32_e32 v71, 31, v71
	v_xor_b32_e32 v70, vcc_lo, v70
	v_cmp_gt_i32_e32 vcc_lo, 0, v74
	v_and_b32_e32 v69, v69, v189
	v_not_b32_e32 v74, v75
	v_ashrrev_i32_e32 v72, 31, v72
	v_xor_b32_e32 v71, s16, v71
	v_cmp_gt_i32_e64 s16, 0, v75
	v_and_b32_e32 v69, v69, v70
	v_not_b32_e32 v70, v188
	v_ashrrev_i32_e32 v74, 31, v74
	v_xor_b32_e32 v72, vcc_lo, v72
	v_cmp_gt_i32_e32 vcc_lo, 0, v188
	v_and_b32_e32 v69, v69, v71
	v_not_b32_e32 v71, v73
	v_ashrrev_i32_e32 v70, 31, v70
	v_xor_b32_e32 v74, s16, v74
	v_mul_u32_u24_e32 v68, 9, v68
	v_and_b32_e32 v69, v69, v72
	v_cmp_gt_i32_e64 s16, 0, v73
	v_ashrrev_i32_e32 v71, 31, v71
	v_xor_b32_e32 v70, vcc_lo, v70
	v_add_lshl_u32 v72, v68, v158, 2
	v_and_b32_e32 v69, v69, v74
	s_delay_alu instid0(VALU_DEP_4) | instskip(SKIP_3) | instid1(VALU_DEP_2)
	v_xor_b32_e32 v68, s16, v71
	ds_load_b32 v188, v72 offset:1056
	v_and_b32_e32 v69, v69, v70
	v_add_nc_u32_e32 v190, 0x420, v72
	; wave barrier
	v_and_b32_e32 v68, v69, v68
	s_delay_alu instid0(VALU_DEP_1) | instskip(SKIP_1) | instid1(VALU_DEP_2)
	v_mbcnt_lo_u32_b32 v189, v68, 0
	v_cmp_ne_u32_e64 s16, 0, v68
	v_cmp_eq_u32_e32 vcc_lo, 0, v189
	s_delay_alu instid0(VALU_DEP_2) | instskip(NEXT) | instid1(SALU_CYCLE_1)
	s_and_b32 s17, s16, vcc_lo
	s_and_saveexec_b32 s16, s17
	s_cbranch_execz .LBB1126_145
; %bb.144:                              ;   in Loop: Header=BB1126_98 Depth=2
	s_waitcnt lgkmcnt(0)
	v_bcnt_u32_b32 v68, v68, v188
	ds_store_b32 v190, v68
.LBB1126_145:                           ;   in Loop: Header=BB1126_98 Depth=2
	s_or_b32 exec_lo, exec_lo, s16
	v_cmp_gt_i64_e32 vcc_lo, 0, v[58:59]
	v_ashrrev_i32_e32 v68, 31, v59
	; wave barrier
	s_delay_alu instid0(VALU_DEP_1) | instskip(SKIP_1) | instid1(VALU_DEP_2)
	v_not_b32_e32 v68, v68
	v_cndmask_b32_e64 v69, 0x7fffffff, 0, vcc_lo
	v_xor_b32_e32 v58, v68, v58
	s_delay_alu instid0(VALU_DEP_2) | instskip(NEXT) | instid1(VALU_DEP_1)
	v_xor_b32_e32 v59, v69, v59
	v_cmp_ne_u64_e32 vcc_lo, s[36:37], v[58:59]
	v_cndmask_b32_e32 v69, 0x7fffffff, v59, vcc_lo
	v_cndmask_b32_e32 v68, -1, v58, vcc_lo
	s_delay_alu instid0(VALU_DEP_1) | instskip(NEXT) | instid1(VALU_DEP_1)
	v_lshrrev_b64 v[68:69], s43, v[68:69]
	v_and_b32_e32 v68, s51, v68
	s_delay_alu instid0(VALU_DEP_1)
	v_and_b32_e32 v69, 1, v68
	v_lshlrev_b32_e32 v70, 30, v68
	v_lshlrev_b32_e32 v71, 29, v68
	;; [unrolled: 1-line block ×4, first 2 shown]
	v_add_co_u32 v69, s16, v69, -1
	s_delay_alu instid0(VALU_DEP_1)
	v_cndmask_b32_e64 v73, 0, 1, s16
	v_not_b32_e32 v192, v70
	v_cmp_gt_i32_e64 s16, 0, v70
	v_not_b32_e32 v70, v71
	v_lshlrev_b32_e32 v75, 26, v68
	v_cmp_ne_u32_e32 vcc_lo, 0, v73
	v_ashrrev_i32_e32 v192, 31, v192
	v_lshlrev_b32_e32 v191, 25, v68
	v_ashrrev_i32_e32 v70, 31, v70
	v_lshlrev_b32_e32 v73, 24, v68
	v_xor_b32_e32 v69, vcc_lo, v69
	v_cmp_gt_i32_e32 vcc_lo, 0, v71
	v_not_b32_e32 v71, v72
	v_xor_b32_e32 v192, s16, v192
	v_cmp_gt_i32_e64 s16, 0, v72
	v_and_b32_e32 v69, exec_lo, v69
	v_not_b32_e32 v72, v74
	v_ashrrev_i32_e32 v71, 31, v71
	v_xor_b32_e32 v70, vcc_lo, v70
	v_cmp_gt_i32_e32 vcc_lo, 0, v74
	v_and_b32_e32 v69, v69, v192
	v_not_b32_e32 v74, v75
	v_ashrrev_i32_e32 v72, 31, v72
	v_xor_b32_e32 v71, s16, v71
	v_cmp_gt_i32_e64 s16, 0, v75
	v_and_b32_e32 v69, v69, v70
	v_not_b32_e32 v70, v191
	v_ashrrev_i32_e32 v74, 31, v74
	v_xor_b32_e32 v72, vcc_lo, v72
	v_cmp_gt_i32_e32 vcc_lo, 0, v191
	v_and_b32_e32 v69, v69, v71
	v_not_b32_e32 v71, v73
	v_ashrrev_i32_e32 v70, 31, v70
	v_xor_b32_e32 v74, s16, v74
	v_mul_u32_u24_e32 v68, 9, v68
	v_and_b32_e32 v69, v69, v72
	v_cmp_gt_i32_e64 s16, 0, v73
	v_ashrrev_i32_e32 v71, 31, v71
	v_xor_b32_e32 v70, vcc_lo, v70
	v_add_lshl_u32 v72, v68, v158, 2
	v_and_b32_e32 v69, v69, v74
	s_delay_alu instid0(VALU_DEP_4) | instskip(SKIP_3) | instid1(VALU_DEP_2)
	v_xor_b32_e32 v68, s16, v71
	ds_load_b32 v191, v72 offset:1056
	v_and_b32_e32 v69, v69, v70
	v_add_nc_u32_e32 v193, 0x420, v72
	; wave barrier
	v_and_b32_e32 v68, v69, v68
	s_delay_alu instid0(VALU_DEP_1) | instskip(SKIP_1) | instid1(VALU_DEP_2)
	v_mbcnt_lo_u32_b32 v192, v68, 0
	v_cmp_ne_u32_e64 s16, 0, v68
	v_cmp_eq_u32_e32 vcc_lo, 0, v192
	s_delay_alu instid0(VALU_DEP_2) | instskip(NEXT) | instid1(SALU_CYCLE_1)
	s_and_b32 s17, s16, vcc_lo
	s_and_saveexec_b32 s16, s17
	s_cbranch_execz .LBB1126_147
; %bb.146:                              ;   in Loop: Header=BB1126_98 Depth=2
	s_waitcnt lgkmcnt(0)
	v_bcnt_u32_b32 v68, v68, v191
	ds_store_b32 v193, v68
.LBB1126_147:                           ;   in Loop: Header=BB1126_98 Depth=2
	s_or_b32 exec_lo, exec_lo, s16
	v_cmp_gt_i64_e32 vcc_lo, 0, v[62:63]
	v_ashrrev_i32_e32 v68, 31, v63
	; wave barrier
	s_delay_alu instid0(VALU_DEP_1) | instskip(SKIP_1) | instid1(VALU_DEP_2)
	v_not_b32_e32 v68, v68
	v_cndmask_b32_e64 v69, 0x7fffffff, 0, vcc_lo
	v_xor_b32_e32 v62, v68, v62
	s_delay_alu instid0(VALU_DEP_2) | instskip(NEXT) | instid1(VALU_DEP_1)
	v_xor_b32_e32 v63, v69, v63
	v_cmp_ne_u64_e32 vcc_lo, s[36:37], v[62:63]
	v_cndmask_b32_e32 v69, 0x7fffffff, v63, vcc_lo
	v_cndmask_b32_e32 v68, -1, v62, vcc_lo
	s_delay_alu instid0(VALU_DEP_1) | instskip(NEXT) | instid1(VALU_DEP_1)
	v_lshrrev_b64 v[68:69], s43, v[68:69]
	v_and_b32_e32 v68, s51, v68
	s_delay_alu instid0(VALU_DEP_1)
	v_and_b32_e32 v69, 1, v68
	v_lshlrev_b32_e32 v70, 30, v68
	v_lshlrev_b32_e32 v71, 29, v68
	;; [unrolled: 1-line block ×4, first 2 shown]
	v_add_co_u32 v69, s16, v69, -1
	s_delay_alu instid0(VALU_DEP_1)
	v_cndmask_b32_e64 v73, 0, 1, s16
	v_not_b32_e32 v195, v70
	v_cmp_gt_i32_e64 s16, 0, v70
	v_not_b32_e32 v70, v71
	v_lshlrev_b32_e32 v75, 26, v68
	v_cmp_ne_u32_e32 vcc_lo, 0, v73
	v_ashrrev_i32_e32 v195, 31, v195
	v_lshlrev_b32_e32 v194, 25, v68
	v_ashrrev_i32_e32 v70, 31, v70
	v_lshlrev_b32_e32 v73, 24, v68
	v_xor_b32_e32 v69, vcc_lo, v69
	v_cmp_gt_i32_e32 vcc_lo, 0, v71
	v_not_b32_e32 v71, v72
	v_xor_b32_e32 v195, s16, v195
	v_cmp_gt_i32_e64 s16, 0, v72
	v_and_b32_e32 v69, exec_lo, v69
	v_not_b32_e32 v72, v74
	v_ashrrev_i32_e32 v71, 31, v71
	v_xor_b32_e32 v70, vcc_lo, v70
	v_cmp_gt_i32_e32 vcc_lo, 0, v74
	v_and_b32_e32 v69, v69, v195
	v_not_b32_e32 v74, v75
	v_ashrrev_i32_e32 v72, 31, v72
	v_xor_b32_e32 v71, s16, v71
	v_cmp_gt_i32_e64 s16, 0, v75
	v_and_b32_e32 v69, v69, v70
	v_not_b32_e32 v70, v194
	v_ashrrev_i32_e32 v74, 31, v74
	v_xor_b32_e32 v72, vcc_lo, v72
	v_cmp_gt_i32_e32 vcc_lo, 0, v194
	v_and_b32_e32 v69, v69, v71
	v_not_b32_e32 v71, v73
	v_ashrrev_i32_e32 v70, 31, v70
	v_xor_b32_e32 v74, s16, v74
	v_mul_u32_u24_e32 v68, 9, v68
	v_and_b32_e32 v69, v69, v72
	v_cmp_gt_i32_e64 s16, 0, v73
	v_ashrrev_i32_e32 v71, 31, v71
	v_xor_b32_e32 v70, vcc_lo, v70
	v_add_lshl_u32 v72, v68, v158, 2
	v_and_b32_e32 v69, v69, v74
	s_delay_alu instid0(VALU_DEP_4) | instskip(SKIP_3) | instid1(VALU_DEP_2)
	v_xor_b32_e32 v68, s16, v71
	ds_load_b32 v194, v72 offset:1056
	v_and_b32_e32 v69, v69, v70
	v_add_nc_u32_e32 v196, 0x420, v72
	; wave barrier
	v_and_b32_e32 v68, v69, v68
	s_delay_alu instid0(VALU_DEP_1) | instskip(SKIP_1) | instid1(VALU_DEP_2)
	v_mbcnt_lo_u32_b32 v195, v68, 0
	v_cmp_ne_u32_e64 s16, 0, v68
	v_cmp_eq_u32_e32 vcc_lo, 0, v195
	s_delay_alu instid0(VALU_DEP_2) | instskip(NEXT) | instid1(SALU_CYCLE_1)
	s_and_b32 s17, s16, vcc_lo
	s_and_saveexec_b32 s16, s17
	s_cbranch_execz .LBB1126_149
; %bb.148:                              ;   in Loop: Header=BB1126_98 Depth=2
	s_waitcnt lgkmcnt(0)
	v_bcnt_u32_b32 v68, v68, v194
	ds_store_b32 v196, v68
.LBB1126_149:                           ;   in Loop: Header=BB1126_98 Depth=2
	s_or_b32 exec_lo, exec_lo, s16
	v_cmp_gt_i64_e32 vcc_lo, 0, v[66:67]
	v_ashrrev_i32_e32 v68, 31, v67
	; wave barrier
	s_delay_alu instid0(VALU_DEP_1) | instskip(SKIP_1) | instid1(VALU_DEP_2)
	v_not_b32_e32 v68, v68
	v_cndmask_b32_e64 v69, 0x7fffffff, 0, vcc_lo
	v_xor_b32_e32 v66, v68, v66
	s_delay_alu instid0(VALU_DEP_2) | instskip(NEXT) | instid1(VALU_DEP_1)
	v_xor_b32_e32 v67, v69, v67
	v_cmp_ne_u64_e32 vcc_lo, s[36:37], v[66:67]
	v_cndmask_b32_e32 v69, 0x7fffffff, v67, vcc_lo
	v_cndmask_b32_e32 v68, -1, v66, vcc_lo
	s_delay_alu instid0(VALU_DEP_1) | instskip(NEXT) | instid1(VALU_DEP_1)
	v_lshrrev_b64 v[68:69], s43, v[68:69]
	v_and_b32_e32 v68, s51, v68
	s_delay_alu instid0(VALU_DEP_1)
	v_and_b32_e32 v69, 1, v68
	v_lshlrev_b32_e32 v70, 30, v68
	v_lshlrev_b32_e32 v71, 29, v68
	;; [unrolled: 1-line block ×4, first 2 shown]
	v_add_co_u32 v69, s16, v69, -1
	s_delay_alu instid0(VALU_DEP_1)
	v_cndmask_b32_e64 v73, 0, 1, s16
	v_not_b32_e32 v198, v70
	v_cmp_gt_i32_e64 s16, 0, v70
	v_not_b32_e32 v70, v71
	v_lshlrev_b32_e32 v75, 26, v68
	v_cmp_ne_u32_e32 vcc_lo, 0, v73
	v_ashrrev_i32_e32 v198, 31, v198
	v_lshlrev_b32_e32 v197, 25, v68
	v_ashrrev_i32_e32 v70, 31, v70
	v_lshlrev_b32_e32 v73, 24, v68
	v_xor_b32_e32 v69, vcc_lo, v69
	v_cmp_gt_i32_e32 vcc_lo, 0, v71
	v_not_b32_e32 v71, v72
	v_xor_b32_e32 v198, s16, v198
	v_cmp_gt_i32_e64 s16, 0, v72
	v_and_b32_e32 v69, exec_lo, v69
	v_not_b32_e32 v72, v74
	v_ashrrev_i32_e32 v71, 31, v71
	v_xor_b32_e32 v70, vcc_lo, v70
	v_cmp_gt_i32_e32 vcc_lo, 0, v74
	v_and_b32_e32 v69, v69, v198
	v_not_b32_e32 v74, v75
	v_ashrrev_i32_e32 v72, 31, v72
	v_xor_b32_e32 v71, s16, v71
	v_cmp_gt_i32_e64 s16, 0, v75
	v_and_b32_e32 v69, v69, v70
	v_not_b32_e32 v70, v197
	v_ashrrev_i32_e32 v74, 31, v74
	v_xor_b32_e32 v72, vcc_lo, v72
	v_cmp_gt_i32_e32 vcc_lo, 0, v197
	v_and_b32_e32 v69, v69, v71
	v_not_b32_e32 v71, v73
	v_ashrrev_i32_e32 v70, 31, v70
	v_xor_b32_e32 v74, s16, v74
	v_mul_u32_u24_e32 v68, 9, v68
	v_and_b32_e32 v69, v69, v72
	v_cmp_gt_i32_e64 s16, 0, v73
	v_ashrrev_i32_e32 v71, 31, v71
	v_xor_b32_e32 v70, vcc_lo, v70
	v_add_lshl_u32 v72, v68, v158, 2
	v_and_b32_e32 v69, v69, v74
	s_delay_alu instid0(VALU_DEP_4) | instskip(SKIP_3) | instid1(VALU_DEP_2)
	v_xor_b32_e32 v68, s16, v71
	ds_load_b32 v197, v72 offset:1056
	v_and_b32_e32 v69, v69, v70
	v_add_nc_u32_e32 v199, 0x420, v72
	; wave barrier
	v_and_b32_e32 v68, v69, v68
	s_delay_alu instid0(VALU_DEP_1) | instskip(SKIP_1) | instid1(VALU_DEP_2)
	v_mbcnt_lo_u32_b32 v198, v68, 0
	v_cmp_ne_u32_e64 s16, 0, v68
	v_cmp_eq_u32_e32 vcc_lo, 0, v198
	s_delay_alu instid0(VALU_DEP_2) | instskip(NEXT) | instid1(SALU_CYCLE_1)
	s_and_b32 s17, s16, vcc_lo
	s_and_saveexec_b32 s16, s17
	s_cbranch_execz .LBB1126_151
; %bb.150:                              ;   in Loop: Header=BB1126_98 Depth=2
	s_waitcnt lgkmcnt(0)
	v_bcnt_u32_b32 v68, v68, v197
	ds_store_b32 v199, v68
.LBB1126_151:                           ;   in Loop: Header=BB1126_98 Depth=2
	s_or_b32 exec_lo, exec_lo, s16
	v_cmp_gt_i64_e32 vcc_lo, 0, v[64:65]
	v_ashrrev_i32_e32 v68, 31, v65
	; wave barrier
	s_delay_alu instid0(VALU_DEP_1) | instskip(SKIP_1) | instid1(VALU_DEP_2)
	v_not_b32_e32 v68, v68
	v_cndmask_b32_e64 v69, 0x7fffffff, 0, vcc_lo
	v_xor_b32_e32 v64, v68, v64
	s_delay_alu instid0(VALU_DEP_2) | instskip(NEXT) | instid1(VALU_DEP_1)
	v_xor_b32_e32 v65, v69, v65
	v_cmp_ne_u64_e32 vcc_lo, s[36:37], v[64:65]
	v_cndmask_b32_e32 v69, 0x7fffffff, v65, vcc_lo
	v_cndmask_b32_e32 v68, -1, v64, vcc_lo
	s_delay_alu instid0(VALU_DEP_1) | instskip(NEXT) | instid1(VALU_DEP_1)
	v_lshrrev_b64 v[68:69], s43, v[68:69]
	v_and_b32_e32 v68, s51, v68
	s_delay_alu instid0(VALU_DEP_1)
	v_and_b32_e32 v69, 1, v68
	v_lshlrev_b32_e32 v70, 30, v68
	v_lshlrev_b32_e32 v71, 29, v68
	;; [unrolled: 1-line block ×4, first 2 shown]
	v_add_co_u32 v69, s16, v69, -1
	s_delay_alu instid0(VALU_DEP_1)
	v_cndmask_b32_e64 v73, 0, 1, s16
	v_not_b32_e32 v201, v70
	v_cmp_gt_i32_e64 s16, 0, v70
	v_not_b32_e32 v70, v71
	v_lshlrev_b32_e32 v75, 26, v68
	v_cmp_ne_u32_e32 vcc_lo, 0, v73
	v_ashrrev_i32_e32 v201, 31, v201
	v_lshlrev_b32_e32 v200, 25, v68
	v_ashrrev_i32_e32 v70, 31, v70
	v_lshlrev_b32_e32 v73, 24, v68
	v_xor_b32_e32 v69, vcc_lo, v69
	v_cmp_gt_i32_e32 vcc_lo, 0, v71
	v_not_b32_e32 v71, v72
	v_xor_b32_e32 v201, s16, v201
	v_cmp_gt_i32_e64 s16, 0, v72
	v_and_b32_e32 v69, exec_lo, v69
	v_not_b32_e32 v72, v74
	v_ashrrev_i32_e32 v71, 31, v71
	v_xor_b32_e32 v70, vcc_lo, v70
	v_cmp_gt_i32_e32 vcc_lo, 0, v74
	v_and_b32_e32 v69, v69, v201
	v_not_b32_e32 v74, v75
	v_ashrrev_i32_e32 v72, 31, v72
	v_xor_b32_e32 v71, s16, v71
	v_cmp_gt_i32_e64 s16, 0, v75
	v_and_b32_e32 v69, v69, v70
	v_not_b32_e32 v70, v200
	v_ashrrev_i32_e32 v74, 31, v74
	v_xor_b32_e32 v72, vcc_lo, v72
	v_cmp_gt_i32_e32 vcc_lo, 0, v200
	v_and_b32_e32 v69, v69, v71
	v_not_b32_e32 v71, v73
	v_ashrrev_i32_e32 v70, 31, v70
	v_xor_b32_e32 v74, s16, v74
	v_mul_u32_u24_e32 v68, 9, v68
	v_and_b32_e32 v69, v69, v72
	v_cmp_gt_i32_e64 s16, 0, v73
	v_ashrrev_i32_e32 v71, 31, v71
	v_xor_b32_e32 v70, vcc_lo, v70
	v_add_lshl_u32 v72, v68, v158, 2
	v_and_b32_e32 v69, v69, v74
	s_delay_alu instid0(VALU_DEP_4) | instskip(SKIP_3) | instid1(VALU_DEP_2)
	v_xor_b32_e32 v68, s16, v71
	ds_load_b32 v200, v72 offset:1056
	v_and_b32_e32 v69, v69, v70
	v_add_nc_u32_e32 v202, 0x420, v72
	; wave barrier
	v_and_b32_e32 v68, v69, v68
	s_delay_alu instid0(VALU_DEP_1) | instskip(SKIP_1) | instid1(VALU_DEP_2)
	v_mbcnt_lo_u32_b32 v201, v68, 0
	v_cmp_ne_u32_e64 s16, 0, v68
	v_cmp_eq_u32_e32 vcc_lo, 0, v201
	s_delay_alu instid0(VALU_DEP_2) | instskip(NEXT) | instid1(SALU_CYCLE_1)
	s_and_b32 s17, s16, vcc_lo
	s_and_saveexec_b32 s16, s17
	s_cbranch_execz .LBB1126_153
; %bb.152:                              ;   in Loop: Header=BB1126_98 Depth=2
	s_waitcnt lgkmcnt(0)
	v_bcnt_u32_b32 v68, v68, v200
	ds_store_b32 v202, v68
.LBB1126_153:                           ;   in Loop: Header=BB1126_98 Depth=2
	s_or_b32 exec_lo, exec_lo, s16
	v_cmp_gt_i64_e32 vcc_lo, 0, v[60:61]
	v_ashrrev_i32_e32 v68, 31, v61
	; wave barrier
	s_delay_alu instid0(VALU_DEP_1) | instskip(SKIP_1) | instid1(VALU_DEP_2)
	v_not_b32_e32 v68, v68
	v_cndmask_b32_e64 v69, 0x7fffffff, 0, vcc_lo
	v_xor_b32_e32 v60, v68, v60
	s_delay_alu instid0(VALU_DEP_2) | instskip(NEXT) | instid1(VALU_DEP_1)
	v_xor_b32_e32 v61, v69, v61
	v_cmp_ne_u64_e32 vcc_lo, s[36:37], v[60:61]
	v_cndmask_b32_e32 v69, 0x7fffffff, v61, vcc_lo
	v_cndmask_b32_e32 v68, -1, v60, vcc_lo
	s_delay_alu instid0(VALU_DEP_1) | instskip(NEXT) | instid1(VALU_DEP_1)
	v_lshrrev_b64 v[68:69], s43, v[68:69]
	v_and_b32_e32 v68, s51, v68
	s_delay_alu instid0(VALU_DEP_1)
	v_and_b32_e32 v69, 1, v68
	v_lshlrev_b32_e32 v70, 30, v68
	v_lshlrev_b32_e32 v71, 29, v68
	;; [unrolled: 1-line block ×4, first 2 shown]
	v_add_co_u32 v69, s16, v69, -1
	s_delay_alu instid0(VALU_DEP_1)
	v_cndmask_b32_e64 v73, 0, 1, s16
	v_not_b32_e32 v204, v70
	v_cmp_gt_i32_e64 s16, 0, v70
	v_not_b32_e32 v70, v71
	v_lshlrev_b32_e32 v75, 26, v68
	v_cmp_ne_u32_e32 vcc_lo, 0, v73
	v_ashrrev_i32_e32 v204, 31, v204
	v_lshlrev_b32_e32 v203, 25, v68
	v_ashrrev_i32_e32 v70, 31, v70
	v_lshlrev_b32_e32 v73, 24, v68
	v_xor_b32_e32 v69, vcc_lo, v69
	v_cmp_gt_i32_e32 vcc_lo, 0, v71
	v_not_b32_e32 v71, v72
	v_xor_b32_e32 v204, s16, v204
	v_cmp_gt_i32_e64 s16, 0, v72
	v_and_b32_e32 v69, exec_lo, v69
	v_not_b32_e32 v72, v74
	v_ashrrev_i32_e32 v71, 31, v71
	v_xor_b32_e32 v70, vcc_lo, v70
	v_cmp_gt_i32_e32 vcc_lo, 0, v74
	v_and_b32_e32 v69, v69, v204
	v_not_b32_e32 v74, v75
	v_ashrrev_i32_e32 v72, 31, v72
	v_xor_b32_e32 v71, s16, v71
	v_cmp_gt_i32_e64 s16, 0, v75
	v_and_b32_e32 v69, v69, v70
	v_not_b32_e32 v70, v203
	v_ashrrev_i32_e32 v74, 31, v74
	v_xor_b32_e32 v72, vcc_lo, v72
	v_cmp_gt_i32_e32 vcc_lo, 0, v203
	v_and_b32_e32 v69, v69, v71
	v_not_b32_e32 v71, v73
	v_ashrrev_i32_e32 v70, 31, v70
	v_xor_b32_e32 v74, s16, v74
	v_mul_u32_u24_e32 v68, 9, v68
	v_and_b32_e32 v69, v69, v72
	v_cmp_gt_i32_e64 s16, 0, v73
	v_ashrrev_i32_e32 v71, 31, v71
	v_xor_b32_e32 v70, vcc_lo, v70
	v_add_lshl_u32 v72, v68, v158, 2
	v_and_b32_e32 v69, v69, v74
	s_delay_alu instid0(VALU_DEP_4) | instskip(SKIP_3) | instid1(VALU_DEP_2)
	v_xor_b32_e32 v68, s16, v71
	ds_load_b32 v203, v72 offset:1056
	v_and_b32_e32 v69, v69, v70
	v_add_nc_u32_e32 v205, 0x420, v72
	; wave barrier
	v_and_b32_e32 v68, v69, v68
	s_delay_alu instid0(VALU_DEP_1) | instskip(SKIP_1) | instid1(VALU_DEP_2)
	v_mbcnt_lo_u32_b32 v204, v68, 0
	v_cmp_ne_u32_e64 s16, 0, v68
	v_cmp_eq_u32_e32 vcc_lo, 0, v204
	s_delay_alu instid0(VALU_DEP_2) | instskip(NEXT) | instid1(SALU_CYCLE_1)
	s_and_b32 s17, s16, vcc_lo
	s_and_saveexec_b32 s16, s17
	s_cbranch_execz .LBB1126_155
; %bb.154:                              ;   in Loop: Header=BB1126_98 Depth=2
	s_waitcnt lgkmcnt(0)
	v_bcnt_u32_b32 v68, v68, v203
	ds_store_b32 v205, v68
.LBB1126_155:                           ;   in Loop: Header=BB1126_98 Depth=2
	s_or_b32 exec_lo, exec_lo, s16
	v_cmp_gt_i64_e32 vcc_lo, 0, v[56:57]
	v_ashrrev_i32_e32 v68, 31, v57
	; wave barrier
	s_delay_alu instid0(VALU_DEP_1) | instskip(SKIP_1) | instid1(VALU_DEP_2)
	v_not_b32_e32 v68, v68
	v_cndmask_b32_e64 v69, 0x7fffffff, 0, vcc_lo
	v_xor_b32_e32 v56, v68, v56
	s_delay_alu instid0(VALU_DEP_2) | instskip(NEXT) | instid1(VALU_DEP_1)
	v_xor_b32_e32 v57, v69, v57
	v_cmp_ne_u64_e32 vcc_lo, s[36:37], v[56:57]
	v_cndmask_b32_e32 v69, 0x7fffffff, v57, vcc_lo
	v_cndmask_b32_e32 v68, -1, v56, vcc_lo
	s_delay_alu instid0(VALU_DEP_1) | instskip(NEXT) | instid1(VALU_DEP_1)
	v_lshrrev_b64 v[68:69], s43, v[68:69]
	v_and_b32_e32 v68, s51, v68
	s_delay_alu instid0(VALU_DEP_1)
	v_and_b32_e32 v69, 1, v68
	v_lshlrev_b32_e32 v70, 30, v68
	v_lshlrev_b32_e32 v71, 29, v68
	;; [unrolled: 1-line block ×4, first 2 shown]
	v_add_co_u32 v69, s16, v69, -1
	s_delay_alu instid0(VALU_DEP_1)
	v_cndmask_b32_e64 v73, 0, 1, s16
	v_not_b32_e32 v207, v70
	v_cmp_gt_i32_e64 s16, 0, v70
	v_not_b32_e32 v70, v71
	v_lshlrev_b32_e32 v75, 26, v68
	v_cmp_ne_u32_e32 vcc_lo, 0, v73
	v_ashrrev_i32_e32 v207, 31, v207
	v_lshlrev_b32_e32 v206, 25, v68
	v_ashrrev_i32_e32 v70, 31, v70
	v_lshlrev_b32_e32 v73, 24, v68
	v_xor_b32_e32 v69, vcc_lo, v69
	v_cmp_gt_i32_e32 vcc_lo, 0, v71
	v_not_b32_e32 v71, v72
	v_xor_b32_e32 v207, s16, v207
	v_cmp_gt_i32_e64 s16, 0, v72
	v_and_b32_e32 v69, exec_lo, v69
	v_not_b32_e32 v72, v74
	v_ashrrev_i32_e32 v71, 31, v71
	v_xor_b32_e32 v70, vcc_lo, v70
	v_cmp_gt_i32_e32 vcc_lo, 0, v74
	v_and_b32_e32 v69, v69, v207
	v_not_b32_e32 v74, v75
	v_ashrrev_i32_e32 v72, 31, v72
	v_xor_b32_e32 v71, s16, v71
	v_cmp_gt_i32_e64 s16, 0, v75
	v_and_b32_e32 v69, v69, v70
	v_not_b32_e32 v70, v206
	v_ashrrev_i32_e32 v74, 31, v74
	v_xor_b32_e32 v72, vcc_lo, v72
	v_cmp_gt_i32_e32 vcc_lo, 0, v206
	v_and_b32_e32 v69, v69, v71
	v_not_b32_e32 v71, v73
	v_ashrrev_i32_e32 v70, 31, v70
	v_xor_b32_e32 v74, s16, v74
	v_mul_u32_u24_e32 v68, 9, v68
	v_and_b32_e32 v69, v69, v72
	v_cmp_gt_i32_e64 s16, 0, v73
	v_ashrrev_i32_e32 v71, 31, v71
	v_xor_b32_e32 v70, vcc_lo, v70
	v_add_lshl_u32 v72, v68, v158, 2
	v_and_b32_e32 v69, v69, v74
	s_delay_alu instid0(VALU_DEP_4) | instskip(SKIP_3) | instid1(VALU_DEP_2)
	v_xor_b32_e32 v68, s16, v71
	ds_load_b32 v206, v72 offset:1056
	v_and_b32_e32 v69, v69, v70
	v_add_nc_u32_e32 v208, 0x420, v72
	; wave barrier
	v_and_b32_e32 v68, v69, v68
	s_delay_alu instid0(VALU_DEP_1) | instskip(SKIP_1) | instid1(VALU_DEP_2)
	v_mbcnt_lo_u32_b32 v207, v68, 0
	v_cmp_ne_u32_e64 s16, 0, v68
	v_cmp_eq_u32_e32 vcc_lo, 0, v207
	s_delay_alu instid0(VALU_DEP_2) | instskip(NEXT) | instid1(SALU_CYCLE_1)
	s_and_b32 s17, s16, vcc_lo
	s_and_saveexec_b32 s16, s17
	s_cbranch_execz .LBB1126_157
; %bb.156:                              ;   in Loop: Header=BB1126_98 Depth=2
	s_waitcnt lgkmcnt(0)
	v_bcnt_u32_b32 v68, v68, v206
	ds_store_b32 v208, v68
.LBB1126_157:                           ;   in Loop: Header=BB1126_98 Depth=2
	s_or_b32 exec_lo, exec_lo, s16
	v_cmp_gt_i64_e32 vcc_lo, 0, v[52:53]
	v_ashrrev_i32_e32 v68, 31, v53
	; wave barrier
	s_delay_alu instid0(VALU_DEP_1) | instskip(SKIP_1) | instid1(VALU_DEP_2)
	v_not_b32_e32 v68, v68
	v_cndmask_b32_e64 v69, 0x7fffffff, 0, vcc_lo
	v_xor_b32_e32 v52, v68, v52
	s_delay_alu instid0(VALU_DEP_2) | instskip(NEXT) | instid1(VALU_DEP_1)
	v_xor_b32_e32 v53, v69, v53
	v_cmp_ne_u64_e32 vcc_lo, s[36:37], v[52:53]
	v_cndmask_b32_e32 v69, 0x7fffffff, v53, vcc_lo
	v_cndmask_b32_e32 v68, -1, v52, vcc_lo
	s_delay_alu instid0(VALU_DEP_1) | instskip(NEXT) | instid1(VALU_DEP_1)
	v_lshrrev_b64 v[68:69], s43, v[68:69]
	v_and_b32_e32 v68, s51, v68
	s_delay_alu instid0(VALU_DEP_1)
	v_and_b32_e32 v69, 1, v68
	v_lshlrev_b32_e32 v70, 30, v68
	v_lshlrev_b32_e32 v71, 29, v68
	;; [unrolled: 1-line block ×4, first 2 shown]
	v_add_co_u32 v69, s16, v69, -1
	s_delay_alu instid0(VALU_DEP_1)
	v_cndmask_b32_e64 v73, 0, 1, s16
	v_not_b32_e32 v210, v70
	v_cmp_gt_i32_e64 s16, 0, v70
	v_not_b32_e32 v70, v71
	v_lshlrev_b32_e32 v75, 26, v68
	v_cmp_ne_u32_e32 vcc_lo, 0, v73
	v_ashrrev_i32_e32 v210, 31, v210
	v_lshlrev_b32_e32 v209, 25, v68
	v_ashrrev_i32_e32 v70, 31, v70
	v_lshlrev_b32_e32 v73, 24, v68
	v_xor_b32_e32 v69, vcc_lo, v69
	v_cmp_gt_i32_e32 vcc_lo, 0, v71
	v_not_b32_e32 v71, v72
	v_xor_b32_e32 v210, s16, v210
	v_cmp_gt_i32_e64 s16, 0, v72
	v_and_b32_e32 v69, exec_lo, v69
	v_not_b32_e32 v72, v74
	v_ashrrev_i32_e32 v71, 31, v71
	v_xor_b32_e32 v70, vcc_lo, v70
	v_cmp_gt_i32_e32 vcc_lo, 0, v74
	v_and_b32_e32 v69, v69, v210
	v_not_b32_e32 v74, v75
	v_ashrrev_i32_e32 v72, 31, v72
	v_xor_b32_e32 v71, s16, v71
	v_cmp_gt_i32_e64 s16, 0, v75
	v_and_b32_e32 v69, v69, v70
	v_not_b32_e32 v70, v209
	v_ashrrev_i32_e32 v74, 31, v74
	v_xor_b32_e32 v72, vcc_lo, v72
	v_cmp_gt_i32_e32 vcc_lo, 0, v209
	v_and_b32_e32 v69, v69, v71
	v_not_b32_e32 v71, v73
	v_ashrrev_i32_e32 v70, 31, v70
	v_xor_b32_e32 v74, s16, v74
	v_mul_u32_u24_e32 v68, 9, v68
	v_and_b32_e32 v69, v69, v72
	v_cmp_gt_i32_e64 s16, 0, v73
	v_ashrrev_i32_e32 v71, 31, v71
	v_xor_b32_e32 v70, vcc_lo, v70
	v_add_lshl_u32 v72, v68, v158, 2
	v_and_b32_e32 v69, v69, v74
	s_delay_alu instid0(VALU_DEP_4) | instskip(SKIP_3) | instid1(VALU_DEP_2)
	v_xor_b32_e32 v68, s16, v71
	ds_load_b32 v209, v72 offset:1056
	v_and_b32_e32 v69, v69, v70
	v_add_nc_u32_e32 v211, 0x420, v72
	; wave barrier
	v_and_b32_e32 v68, v69, v68
	s_delay_alu instid0(VALU_DEP_1) | instskip(SKIP_1) | instid1(VALU_DEP_2)
	v_mbcnt_lo_u32_b32 v210, v68, 0
	v_cmp_ne_u32_e64 s16, 0, v68
	v_cmp_eq_u32_e32 vcc_lo, 0, v210
	s_delay_alu instid0(VALU_DEP_2) | instskip(NEXT) | instid1(SALU_CYCLE_1)
	s_and_b32 s17, s16, vcc_lo
	s_and_saveexec_b32 s16, s17
	s_cbranch_execz .LBB1126_159
; %bb.158:                              ;   in Loop: Header=BB1126_98 Depth=2
	s_waitcnt lgkmcnt(0)
	v_bcnt_u32_b32 v68, v68, v209
	ds_store_b32 v211, v68
.LBB1126_159:                           ;   in Loop: Header=BB1126_98 Depth=2
	s_or_b32 exec_lo, exec_lo, s16
	v_cmp_gt_i64_e32 vcc_lo, 0, v[50:51]
	v_ashrrev_i32_e32 v68, 31, v51
	; wave barrier
	s_delay_alu instid0(VALU_DEP_1) | instskip(SKIP_1) | instid1(VALU_DEP_2)
	v_not_b32_e32 v68, v68
	v_cndmask_b32_e64 v69, 0x7fffffff, 0, vcc_lo
	v_xor_b32_e32 v50, v68, v50
	s_delay_alu instid0(VALU_DEP_2) | instskip(NEXT) | instid1(VALU_DEP_1)
	v_xor_b32_e32 v51, v69, v51
	v_cmp_ne_u64_e32 vcc_lo, s[36:37], v[50:51]
	v_cndmask_b32_e32 v69, 0x7fffffff, v51, vcc_lo
	v_cndmask_b32_e32 v68, -1, v50, vcc_lo
	s_delay_alu instid0(VALU_DEP_1) | instskip(NEXT) | instid1(VALU_DEP_1)
	v_lshrrev_b64 v[68:69], s43, v[68:69]
	v_and_b32_e32 v68, s51, v68
	s_delay_alu instid0(VALU_DEP_1)
	v_and_b32_e32 v69, 1, v68
	v_lshlrev_b32_e32 v70, 30, v68
	v_lshlrev_b32_e32 v71, 29, v68
	;; [unrolled: 1-line block ×4, first 2 shown]
	v_add_co_u32 v69, s16, v69, -1
	s_delay_alu instid0(VALU_DEP_1)
	v_cndmask_b32_e64 v73, 0, 1, s16
	v_not_b32_e32 v213, v70
	v_cmp_gt_i32_e64 s16, 0, v70
	v_not_b32_e32 v70, v71
	v_lshlrev_b32_e32 v75, 26, v68
	v_cmp_ne_u32_e32 vcc_lo, 0, v73
	v_ashrrev_i32_e32 v213, 31, v213
	v_lshlrev_b32_e32 v212, 25, v68
	v_ashrrev_i32_e32 v70, 31, v70
	v_lshlrev_b32_e32 v73, 24, v68
	v_xor_b32_e32 v69, vcc_lo, v69
	v_cmp_gt_i32_e32 vcc_lo, 0, v71
	v_not_b32_e32 v71, v72
	v_xor_b32_e32 v213, s16, v213
	v_cmp_gt_i32_e64 s16, 0, v72
	v_and_b32_e32 v69, exec_lo, v69
	v_not_b32_e32 v72, v74
	v_ashrrev_i32_e32 v71, 31, v71
	v_xor_b32_e32 v70, vcc_lo, v70
	v_cmp_gt_i32_e32 vcc_lo, 0, v74
	v_and_b32_e32 v69, v69, v213
	v_not_b32_e32 v74, v75
	v_ashrrev_i32_e32 v72, 31, v72
	v_xor_b32_e32 v71, s16, v71
	v_cmp_gt_i32_e64 s16, 0, v75
	v_and_b32_e32 v69, v69, v70
	v_not_b32_e32 v70, v212
	v_ashrrev_i32_e32 v74, 31, v74
	v_xor_b32_e32 v72, vcc_lo, v72
	v_cmp_gt_i32_e32 vcc_lo, 0, v212
	v_and_b32_e32 v69, v69, v71
	v_not_b32_e32 v71, v73
	v_ashrrev_i32_e32 v70, 31, v70
	v_xor_b32_e32 v74, s16, v74
	v_mul_u32_u24_e32 v68, 9, v68
	v_and_b32_e32 v69, v69, v72
	v_cmp_gt_i32_e64 s16, 0, v73
	v_ashrrev_i32_e32 v71, 31, v71
	v_xor_b32_e32 v70, vcc_lo, v70
	v_add_lshl_u32 v72, v68, v158, 2
	v_and_b32_e32 v69, v69, v74
	s_delay_alu instid0(VALU_DEP_4) | instskip(SKIP_3) | instid1(VALU_DEP_2)
	v_xor_b32_e32 v68, s16, v71
	ds_load_b32 v212, v72 offset:1056
	v_and_b32_e32 v69, v69, v70
	v_add_nc_u32_e32 v214, 0x420, v72
	; wave barrier
	v_and_b32_e32 v68, v69, v68
	s_delay_alu instid0(VALU_DEP_1) | instskip(SKIP_1) | instid1(VALU_DEP_2)
	v_mbcnt_lo_u32_b32 v213, v68, 0
	v_cmp_ne_u32_e64 s16, 0, v68
	v_cmp_eq_u32_e32 vcc_lo, 0, v213
	s_delay_alu instid0(VALU_DEP_2) | instskip(NEXT) | instid1(SALU_CYCLE_1)
	s_and_b32 s17, s16, vcc_lo
	s_and_saveexec_b32 s16, s17
	s_cbranch_execz .LBB1126_161
; %bb.160:                              ;   in Loop: Header=BB1126_98 Depth=2
	s_waitcnt lgkmcnt(0)
	v_bcnt_u32_b32 v68, v68, v212
	ds_store_b32 v214, v68
.LBB1126_161:                           ;   in Loop: Header=BB1126_98 Depth=2
	s_or_b32 exec_lo, exec_lo, s16
	v_cmp_gt_i64_e32 vcc_lo, 0, v[46:47]
	v_ashrrev_i32_e32 v68, 31, v47
	; wave barrier
	s_delay_alu instid0(VALU_DEP_1) | instskip(SKIP_1) | instid1(VALU_DEP_2)
	v_not_b32_e32 v68, v68
	v_cndmask_b32_e64 v69, 0x7fffffff, 0, vcc_lo
	v_xor_b32_e32 v46, v68, v46
	s_delay_alu instid0(VALU_DEP_2) | instskip(NEXT) | instid1(VALU_DEP_1)
	v_xor_b32_e32 v47, v69, v47
	v_cmp_ne_u64_e32 vcc_lo, s[36:37], v[46:47]
	v_cndmask_b32_e32 v69, 0x7fffffff, v47, vcc_lo
	v_cndmask_b32_e32 v68, -1, v46, vcc_lo
	s_delay_alu instid0(VALU_DEP_1) | instskip(NEXT) | instid1(VALU_DEP_1)
	v_lshrrev_b64 v[68:69], s43, v[68:69]
	v_and_b32_e32 v68, s51, v68
	s_delay_alu instid0(VALU_DEP_1)
	v_and_b32_e32 v69, 1, v68
	v_lshlrev_b32_e32 v70, 30, v68
	v_lshlrev_b32_e32 v71, 29, v68
	;; [unrolled: 1-line block ×4, first 2 shown]
	v_add_co_u32 v69, s16, v69, -1
	s_delay_alu instid0(VALU_DEP_1)
	v_cndmask_b32_e64 v73, 0, 1, s16
	v_not_b32_e32 v216, v70
	v_cmp_gt_i32_e64 s16, 0, v70
	v_not_b32_e32 v70, v71
	v_lshlrev_b32_e32 v75, 26, v68
	v_cmp_ne_u32_e32 vcc_lo, 0, v73
	v_ashrrev_i32_e32 v216, 31, v216
	v_lshlrev_b32_e32 v215, 25, v68
	v_ashrrev_i32_e32 v70, 31, v70
	v_lshlrev_b32_e32 v73, 24, v68
	v_xor_b32_e32 v69, vcc_lo, v69
	v_cmp_gt_i32_e32 vcc_lo, 0, v71
	v_not_b32_e32 v71, v72
	v_xor_b32_e32 v216, s16, v216
	v_cmp_gt_i32_e64 s16, 0, v72
	v_and_b32_e32 v69, exec_lo, v69
	v_not_b32_e32 v72, v74
	v_ashrrev_i32_e32 v71, 31, v71
	v_xor_b32_e32 v70, vcc_lo, v70
	v_cmp_gt_i32_e32 vcc_lo, 0, v74
	v_and_b32_e32 v69, v69, v216
	v_not_b32_e32 v74, v75
	v_ashrrev_i32_e32 v72, 31, v72
	v_xor_b32_e32 v71, s16, v71
	v_cmp_gt_i32_e64 s16, 0, v75
	v_and_b32_e32 v69, v69, v70
	v_not_b32_e32 v70, v215
	v_ashrrev_i32_e32 v74, 31, v74
	v_xor_b32_e32 v72, vcc_lo, v72
	v_cmp_gt_i32_e32 vcc_lo, 0, v215
	v_and_b32_e32 v69, v69, v71
	v_not_b32_e32 v71, v73
	v_ashrrev_i32_e32 v70, 31, v70
	v_xor_b32_e32 v74, s16, v74
	v_mul_u32_u24_e32 v68, 9, v68
	v_and_b32_e32 v69, v69, v72
	v_cmp_gt_i32_e64 s16, 0, v73
	v_ashrrev_i32_e32 v71, 31, v71
	v_xor_b32_e32 v70, vcc_lo, v70
	v_add_lshl_u32 v72, v68, v158, 2
	v_and_b32_e32 v69, v69, v74
	s_delay_alu instid0(VALU_DEP_4) | instskip(SKIP_3) | instid1(VALU_DEP_2)
	v_xor_b32_e32 v68, s16, v71
	ds_load_b32 v215, v72 offset:1056
	v_and_b32_e32 v69, v69, v70
	v_add_nc_u32_e32 v217, 0x420, v72
	; wave barrier
	v_and_b32_e32 v68, v69, v68
	s_delay_alu instid0(VALU_DEP_1) | instskip(SKIP_1) | instid1(VALU_DEP_2)
	v_mbcnt_lo_u32_b32 v216, v68, 0
	v_cmp_ne_u32_e64 s16, 0, v68
	v_cmp_eq_u32_e32 vcc_lo, 0, v216
	s_delay_alu instid0(VALU_DEP_2) | instskip(NEXT) | instid1(SALU_CYCLE_1)
	s_and_b32 s17, s16, vcc_lo
	s_and_saveexec_b32 s16, s17
	s_cbranch_execz .LBB1126_163
; %bb.162:                              ;   in Loop: Header=BB1126_98 Depth=2
	s_waitcnt lgkmcnt(0)
	v_bcnt_u32_b32 v68, v68, v215
	ds_store_b32 v217, v68
.LBB1126_163:                           ;   in Loop: Header=BB1126_98 Depth=2
	s_or_b32 exec_lo, exec_lo, s16
	v_cmp_gt_i64_e32 vcc_lo, 0, v[40:41]
	v_ashrrev_i32_e32 v68, 31, v41
	; wave barrier
	s_delay_alu instid0(VALU_DEP_1) | instskip(SKIP_1) | instid1(VALU_DEP_2)
	v_not_b32_e32 v68, v68
	v_cndmask_b32_e64 v69, 0x7fffffff, 0, vcc_lo
	v_xor_b32_e32 v40, v68, v40
	s_delay_alu instid0(VALU_DEP_2) | instskip(NEXT) | instid1(VALU_DEP_1)
	v_xor_b32_e32 v41, v69, v41
	v_cmp_ne_u64_e32 vcc_lo, s[36:37], v[40:41]
	v_cndmask_b32_e32 v69, 0x7fffffff, v41, vcc_lo
	v_cndmask_b32_e32 v68, -1, v40, vcc_lo
	s_delay_alu instid0(VALU_DEP_1) | instskip(NEXT) | instid1(VALU_DEP_1)
	v_lshrrev_b64 v[68:69], s43, v[68:69]
	v_and_b32_e32 v68, s51, v68
	s_delay_alu instid0(VALU_DEP_1)
	v_and_b32_e32 v69, 1, v68
	v_lshlrev_b32_e32 v70, 30, v68
	v_lshlrev_b32_e32 v71, 29, v68
	;; [unrolled: 1-line block ×4, first 2 shown]
	v_add_co_u32 v69, s16, v69, -1
	s_delay_alu instid0(VALU_DEP_1)
	v_cndmask_b32_e64 v73, 0, 1, s16
	v_not_b32_e32 v219, v70
	v_cmp_gt_i32_e64 s16, 0, v70
	v_not_b32_e32 v70, v71
	v_lshlrev_b32_e32 v75, 26, v68
	v_cmp_ne_u32_e32 vcc_lo, 0, v73
	v_ashrrev_i32_e32 v219, 31, v219
	v_lshlrev_b32_e32 v218, 25, v68
	v_ashrrev_i32_e32 v70, 31, v70
	v_lshlrev_b32_e32 v73, 24, v68
	v_xor_b32_e32 v69, vcc_lo, v69
	v_cmp_gt_i32_e32 vcc_lo, 0, v71
	v_not_b32_e32 v71, v72
	v_xor_b32_e32 v219, s16, v219
	v_cmp_gt_i32_e64 s16, 0, v72
	v_and_b32_e32 v69, exec_lo, v69
	v_not_b32_e32 v72, v74
	v_ashrrev_i32_e32 v71, 31, v71
	v_xor_b32_e32 v70, vcc_lo, v70
	v_cmp_gt_i32_e32 vcc_lo, 0, v74
	v_and_b32_e32 v69, v69, v219
	v_not_b32_e32 v74, v75
	v_ashrrev_i32_e32 v72, 31, v72
	v_xor_b32_e32 v71, s16, v71
	v_cmp_gt_i32_e64 s16, 0, v75
	v_and_b32_e32 v69, v69, v70
	v_not_b32_e32 v70, v218
	v_ashrrev_i32_e32 v74, 31, v74
	v_xor_b32_e32 v72, vcc_lo, v72
	v_cmp_gt_i32_e32 vcc_lo, 0, v218
	v_and_b32_e32 v69, v69, v71
	v_not_b32_e32 v71, v73
	v_ashrrev_i32_e32 v70, 31, v70
	v_xor_b32_e32 v74, s16, v74
	v_mul_u32_u24_e32 v68, 9, v68
	v_and_b32_e32 v69, v69, v72
	v_cmp_gt_i32_e64 s16, 0, v73
	v_ashrrev_i32_e32 v71, 31, v71
	v_xor_b32_e32 v70, vcc_lo, v70
	v_add_lshl_u32 v72, v68, v158, 2
	v_and_b32_e32 v69, v69, v74
	s_delay_alu instid0(VALU_DEP_4) | instskip(SKIP_3) | instid1(VALU_DEP_2)
	v_xor_b32_e32 v68, s16, v71
	ds_load_b32 v218, v72 offset:1056
	v_and_b32_e32 v69, v69, v70
	v_add_nc_u32_e32 v220, 0x420, v72
	; wave barrier
	v_and_b32_e32 v68, v69, v68
	s_delay_alu instid0(VALU_DEP_1) | instskip(SKIP_1) | instid1(VALU_DEP_2)
	v_mbcnt_lo_u32_b32 v219, v68, 0
	v_cmp_ne_u32_e64 s16, 0, v68
	v_cmp_eq_u32_e32 vcc_lo, 0, v219
	s_delay_alu instid0(VALU_DEP_2) | instskip(NEXT) | instid1(SALU_CYCLE_1)
	s_and_b32 s17, s16, vcc_lo
	s_and_saveexec_b32 s16, s17
	s_cbranch_execz .LBB1126_165
; %bb.164:                              ;   in Loop: Header=BB1126_98 Depth=2
	s_waitcnt lgkmcnt(0)
	v_bcnt_u32_b32 v68, v68, v218
	ds_store_b32 v220, v68
.LBB1126_165:                           ;   in Loop: Header=BB1126_98 Depth=2
	s_or_b32 exec_lo, exec_lo, s16
	v_cmp_gt_i64_e32 vcc_lo, 0, v[42:43]
	v_ashrrev_i32_e32 v68, 31, v43
	; wave barrier
	s_delay_alu instid0(VALU_DEP_1) | instskip(SKIP_1) | instid1(VALU_DEP_2)
	v_not_b32_e32 v68, v68
	v_cndmask_b32_e64 v69, 0x7fffffff, 0, vcc_lo
	v_xor_b32_e32 v42, v68, v42
	s_delay_alu instid0(VALU_DEP_2) | instskip(NEXT) | instid1(VALU_DEP_1)
	v_xor_b32_e32 v43, v69, v43
	v_cmp_ne_u64_e32 vcc_lo, s[36:37], v[42:43]
	v_cndmask_b32_e32 v69, 0x7fffffff, v43, vcc_lo
	v_cndmask_b32_e32 v68, -1, v42, vcc_lo
	s_delay_alu instid0(VALU_DEP_1) | instskip(NEXT) | instid1(VALU_DEP_1)
	v_lshrrev_b64 v[68:69], s43, v[68:69]
	v_and_b32_e32 v68, s51, v68
	s_delay_alu instid0(VALU_DEP_1)
	v_and_b32_e32 v69, 1, v68
	v_lshlrev_b32_e32 v70, 30, v68
	v_lshlrev_b32_e32 v71, 29, v68
	;; [unrolled: 1-line block ×4, first 2 shown]
	v_add_co_u32 v69, s16, v69, -1
	s_delay_alu instid0(VALU_DEP_1)
	v_cndmask_b32_e64 v73, 0, 1, s16
	v_not_b32_e32 v222, v70
	v_cmp_gt_i32_e64 s16, 0, v70
	v_not_b32_e32 v70, v71
	v_lshlrev_b32_e32 v75, 26, v68
	v_cmp_ne_u32_e32 vcc_lo, 0, v73
	v_ashrrev_i32_e32 v222, 31, v222
	v_lshlrev_b32_e32 v221, 25, v68
	v_ashrrev_i32_e32 v70, 31, v70
	v_lshlrev_b32_e32 v73, 24, v68
	v_xor_b32_e32 v69, vcc_lo, v69
	v_cmp_gt_i32_e32 vcc_lo, 0, v71
	v_not_b32_e32 v71, v72
	v_xor_b32_e32 v222, s16, v222
	v_cmp_gt_i32_e64 s16, 0, v72
	v_and_b32_e32 v69, exec_lo, v69
	v_not_b32_e32 v72, v74
	v_ashrrev_i32_e32 v71, 31, v71
	v_xor_b32_e32 v70, vcc_lo, v70
	v_cmp_gt_i32_e32 vcc_lo, 0, v74
	v_and_b32_e32 v69, v69, v222
	v_not_b32_e32 v74, v75
	v_ashrrev_i32_e32 v72, 31, v72
	v_xor_b32_e32 v71, s16, v71
	v_cmp_gt_i32_e64 s16, 0, v75
	v_and_b32_e32 v69, v69, v70
	v_not_b32_e32 v70, v221
	v_ashrrev_i32_e32 v74, 31, v74
	v_xor_b32_e32 v72, vcc_lo, v72
	v_cmp_gt_i32_e32 vcc_lo, 0, v221
	v_and_b32_e32 v69, v69, v71
	v_not_b32_e32 v71, v73
	v_ashrrev_i32_e32 v70, 31, v70
	v_xor_b32_e32 v74, s16, v74
	v_mul_u32_u24_e32 v68, 9, v68
	v_and_b32_e32 v69, v69, v72
	v_cmp_gt_i32_e64 s16, 0, v73
	v_ashrrev_i32_e32 v71, 31, v71
	v_xor_b32_e32 v70, vcc_lo, v70
	v_add_lshl_u32 v72, v68, v158, 2
	v_and_b32_e32 v69, v69, v74
	s_delay_alu instid0(VALU_DEP_4) | instskip(SKIP_3) | instid1(VALU_DEP_2)
	v_xor_b32_e32 v68, s16, v71
	ds_load_b32 v221, v72 offset:1056
	v_and_b32_e32 v69, v69, v70
	v_add_nc_u32_e32 v223, 0x420, v72
	; wave barrier
	v_and_b32_e32 v68, v69, v68
	s_delay_alu instid0(VALU_DEP_1) | instskip(SKIP_1) | instid1(VALU_DEP_2)
	v_mbcnt_lo_u32_b32 v222, v68, 0
	v_cmp_ne_u32_e64 s16, 0, v68
	v_cmp_eq_u32_e32 vcc_lo, 0, v222
	s_delay_alu instid0(VALU_DEP_2) | instskip(NEXT) | instid1(SALU_CYCLE_1)
	s_and_b32 s17, s16, vcc_lo
	s_and_saveexec_b32 s16, s17
	s_cbranch_execz .LBB1126_167
; %bb.166:                              ;   in Loop: Header=BB1126_98 Depth=2
	s_waitcnt lgkmcnt(0)
	v_bcnt_u32_b32 v68, v68, v221
	ds_store_b32 v223, v68
.LBB1126_167:                           ;   in Loop: Header=BB1126_98 Depth=2
	s_or_b32 exec_lo, exec_lo, s16
	; wave barrier
	s_waitcnt lgkmcnt(0)
	s_barrier
	buffer_gl0_inv
	ds_load_b32 v224, v102 offset:1056
	ds_load_2addr_b32 v[74:75], v103 offset0:1 offset1:2
	ds_load_2addr_b32 v[72:73], v103 offset0:3 offset1:4
	;; [unrolled: 1-line block ×4, first 2 shown]
	s_waitcnt lgkmcnt(3)
	v_add3_u32 v225, v74, v224, v75
	s_waitcnt lgkmcnt(2)
	s_delay_alu instid0(VALU_DEP_1) | instskip(SKIP_1) | instid1(VALU_DEP_1)
	v_add3_u32 v225, v225, v72, v73
	s_waitcnt lgkmcnt(1)
	v_add3_u32 v225, v225, v68, v69
	s_waitcnt lgkmcnt(0)
	s_delay_alu instid0(VALU_DEP_1) | instskip(NEXT) | instid1(VALU_DEP_1)
	v_add3_u32 v71, v225, v70, v71
	v_mov_b32_dpp v225, v71 row_shr:1 row_mask:0xf bank_mask:0xf
	s_delay_alu instid0(VALU_DEP_1) | instskip(NEXT) | instid1(VALU_DEP_1)
	v_cndmask_b32_e64 v225, v225, 0, s1
	v_add_nc_u32_e32 v71, v225, v71
	s_delay_alu instid0(VALU_DEP_1) | instskip(NEXT) | instid1(VALU_DEP_1)
	v_mov_b32_dpp v225, v71 row_shr:2 row_mask:0xf bank_mask:0xf
	v_cndmask_b32_e64 v225, 0, v225, s7
	s_delay_alu instid0(VALU_DEP_1) | instskip(NEXT) | instid1(VALU_DEP_1)
	v_add_nc_u32_e32 v71, v71, v225
	v_mov_b32_dpp v225, v71 row_shr:4 row_mask:0xf bank_mask:0xf
	s_delay_alu instid0(VALU_DEP_1) | instskip(NEXT) | instid1(VALU_DEP_1)
	v_cndmask_b32_e64 v225, 0, v225, s8
	v_add_nc_u32_e32 v71, v71, v225
	s_delay_alu instid0(VALU_DEP_1) | instskip(NEXT) | instid1(VALU_DEP_1)
	v_mov_b32_dpp v225, v71 row_shr:8 row_mask:0xf bank_mask:0xf
	v_cndmask_b32_e64 v225, 0, v225, s9
	s_delay_alu instid0(VALU_DEP_1) | instskip(SKIP_3) | instid1(VALU_DEP_1)
	v_add_nc_u32_e32 v71, v71, v225
	ds_swizzle_b32 v225, v71 offset:swizzle(BROADCAST,32,15)
	s_waitcnt lgkmcnt(0)
	v_cndmask_b32_e64 v225, v225, 0, s10
	v_add_nc_u32_e32 v71, v71, v225
	s_and_saveexec_b32 s16, s3
	s_cbranch_execz .LBB1126_169
; %bb.168:                              ;   in Loop: Header=BB1126_98 Depth=2
	ds_store_b32 v94, v71 offset:1024
.LBB1126_169:                           ;   in Loop: Header=BB1126_98 Depth=2
	s_or_b32 exec_lo, exec_lo, s16
	s_waitcnt lgkmcnt(0)
	s_barrier
	buffer_gl0_inv
	s_and_saveexec_b32 s16, s4
	s_cbranch_execz .LBB1126_171
; %bb.170:                              ;   in Loop: Header=BB1126_98 Depth=2
	ds_load_b32 v225, v104 offset:1024
	s_waitcnt lgkmcnt(0)
	v_mov_b32_dpp v226, v225 row_shr:1 row_mask:0xf bank_mask:0xf
	s_delay_alu instid0(VALU_DEP_1) | instskip(NEXT) | instid1(VALU_DEP_1)
	v_cndmask_b32_e64 v226, v226, 0, s12
	v_add_nc_u32_e32 v225, v226, v225
	s_delay_alu instid0(VALU_DEP_1) | instskip(NEXT) | instid1(VALU_DEP_1)
	v_mov_b32_dpp v226, v225 row_shr:2 row_mask:0xf bank_mask:0xf
	v_cndmask_b32_e64 v226, 0, v226, s13
	s_delay_alu instid0(VALU_DEP_1) | instskip(NEXT) | instid1(VALU_DEP_1)
	v_add_nc_u32_e32 v225, v225, v226
	v_mov_b32_dpp v226, v225 row_shr:4 row_mask:0xf bank_mask:0xf
	s_delay_alu instid0(VALU_DEP_1) | instskip(NEXT) | instid1(VALU_DEP_1)
	v_cndmask_b32_e64 v226, 0, v226, s14
	v_add_nc_u32_e32 v225, v225, v226
	ds_store_b32 v104, v225 offset:1024
.LBB1126_171:                           ;   in Loop: Header=BB1126_98 Depth=2
	s_or_b32 exec_lo, exec_lo, s16
	v_mov_b32_e32 v225, 0
	s_waitcnt lgkmcnt(0)
	s_barrier
	buffer_gl0_inv
	s_and_saveexec_b32 s16, s5
	s_cbranch_execz .LBB1126_173
; %bb.172:                              ;   in Loop: Header=BB1126_98 Depth=2
	ds_load_b32 v225, v94 offset:1020
.LBB1126_173:                           ;   in Loop: Header=BB1126_98 Depth=2
	s_or_b32 exec_lo, exec_lo, s16
	s_waitcnt lgkmcnt(0)
	v_add_nc_u32_e32 v71, v225, v71
	ds_bpermute_b32 v71, v137, v71
	s_waitcnt lgkmcnt(0)
	v_cndmask_b32_e64 v71, v71, v225, s11
	s_delay_alu instid0(VALU_DEP_1) | instskip(NEXT) | instid1(VALU_DEP_1)
	v_cndmask_b32_e64 v71, v71, 0, s0
	v_add_nc_u32_e32 v224, v71, v224
	s_delay_alu instid0(VALU_DEP_1) | instskip(NEXT) | instid1(VALU_DEP_1)
	v_add_nc_u32_e32 v74, v224, v74
	v_add_nc_u32_e32 v75, v74, v75
	s_delay_alu instid0(VALU_DEP_1) | instskip(NEXT) | instid1(VALU_DEP_1)
	v_add_nc_u32_e32 v72, v75, v72
	;; [unrolled: 3-line block ×3, first 2 shown]
	v_add_nc_u32_e32 v69, v68, v69
	s_delay_alu instid0(VALU_DEP_1)
	v_add_nc_u32_e32 v70, v69, v70
	ds_store_b32 v102, v71 offset:1056
	ds_store_2addr_b32 v103, v224, v74 offset0:1 offset1:2
	ds_store_2addr_b32 v103, v75, v72 offset0:3 offset1:4
	;; [unrolled: 1-line block ×4, first 2 shown]
	v_mov_b32_e32 v68, 0x1000
	s_waitcnt lgkmcnt(0)
	s_barrier
	buffer_gl0_inv
	ds_load_b32 v70, v181
	ds_load_b32 v71, v184
	;; [unrolled: 1-line block ×16, first 2 shown]
	ds_load_b32 v178, v102 offset:1056
	s_and_saveexec_b32 s16, s6
	s_cbranch_execz .LBB1126_175
; %bb.174:                              ;   in Loop: Header=BB1126_98 Depth=2
	ds_load_b32 v68, v105 offset:1056
.LBB1126_175:                           ;   in Loop: Header=BB1126_98 Depth=2
	s_or_b32 exec_lo, exec_lo, s16
	s_waitcnt lgkmcnt(0)
	s_barrier
	buffer_gl0_inv
	s_and_saveexec_b32 s16, s2
	s_cbranch_execz .LBB1126_177
; %bb.176:                              ;   in Loop: Header=BB1126_98 Depth=2
	ds_load_b32 v202, v76
	s_waitcnt lgkmcnt(0)
	v_sub_nc_u32_e32 v178, v202, v178
	ds_store_b32 v76, v178
.LBB1126_177:                           ;   in Loop: Header=BB1126_98 Depth=2
	s_or_b32 exec_lo, exec_lo, s16
	v_add_nc_u32_e32 v179, v180, v179
	v_add_lshl_u32 v69, v69, v2, 3
	v_add_nc_u32_e32 v2, v183, v182
	v_add_nc_u32_e32 v180, v186, v185
	;; [unrolled: 1-line block ×8, first 2 shown]
	v_add_lshl_u32 v70, v179, v70, 3
	v_add_lshl_u32 v71, v2, v71, 3
	v_add_nc_u32_e32 v200, v201, v200
	v_add_lshl_u32 v72, v180, v72, 3
	v_add_nc_u32_e32 v203, v204, v203
	;; [unrolled: 2-line block ×3, first 2 shown]
	v_add_nc_u32_e32 v202, v219, v218
	v_add_nc_u32_e32 v205, v216, v215
	v_add_nc_u32_e32 v208, v213, v212
	ds_store_b64 v69, v[36:37] offset:1024
	ds_store_b64 v70, v[38:39] offset:1024
	v_add_lshl_u32 v38, v191, v225, 3
	ds_store_b64 v71, v[44:45] offset:1024
	ds_store_b64 v72, v[48:49] offset:1024
	;; [unrolled: 1-line block ×3, first 2 shown]
	v_add_lshl_u32 v39, v194, v224, 3
	v_add_lshl_u32 v44, v197, v199, 3
	;; [unrolled: 1-line block ×6, first 2 shown]
	ds_store_b64 v38, v[58:59] offset:1024
	ds_store_b64 v39, v[62:63] offset:1024
	;; [unrolled: 1-line block ×6, first 2 shown]
	v_add_lshl_u32 v55, v208, v184, 3
	v_add_lshl_u32 v56, v205, v181, 3
	;; [unrolled: 1-line block ×3, first 2 shown]
	ds_store_b64 v54, v[52:53] offset:1024
	v_add_lshl_u32 v52, v178, v74, 3
	v_cmp_lt_u32_e32 vcc_lo, v1, v177
	ds_store_b64 v55, v[50:51] offset:1024
	ds_store_b64 v56, v[46:47] offset:1024
	ds_store_b64 v57, v[40:41] offset:1024
	ds_store_b64 v52, v[42:43] offset:1024
	s_waitcnt lgkmcnt(0)
	s_barrier
	buffer_gl0_inv
	s_and_saveexec_b32 s17, vcc_lo
	s_cbranch_execz .LBB1126_193
; %bb.178:                              ;   in Loop: Header=BB1126_98 Depth=2
	v_add_nc_u32_e32 v2, v104, v76
	ds_load_b64 v[36:37], v2 offset:1024
	s_waitcnt lgkmcnt(0)
	v_cmp_ne_u64_e64 s16, s[36:37], v[36:37]
	s_delay_alu instid0(VALU_DEP_1) | instskip(SKIP_2) | instid1(VALU_DEP_2)
	v_cndmask_b32_e64 v41, 0x7fffffff, v37, s16
	v_cndmask_b32_e64 v40, -1, v36, s16
	v_cmp_gt_i64_e64 s16, 0, v[36:37]
	v_lshrrev_b64 v[40:41], s43, v[40:41]
	s_delay_alu instid0(VALU_DEP_2) | instskip(NEXT) | instid1(VALU_DEP_2)
	v_cndmask_b32_e64 v42, 0x7fffffff, 0, s16
	v_and_b32_e32 v2, s51, v40
	v_ashrrev_i32_e32 v40, 31, v37
	s_delay_alu instid0(VALU_DEP_3) | instskip(NEXT) | instid1(VALU_DEP_3)
	v_xor_b32_e32 v37, v42, v37
	v_lshlrev_b32_e32 v2, 2, v2
	s_delay_alu instid0(VALU_DEP_3) | instskip(SKIP_4) | instid1(VALU_DEP_1)
	v_not_b32_e32 v43, v40
	ds_load_b32 v2, v2
	v_xor_b32_e32 v36, v43, v36
	s_waitcnt lgkmcnt(0)
	v_add_nc_u32_e32 v2, v2, v1
	v_lshlrev_b64 v[40:41], 3, v[2:3]
	s_delay_alu instid0(VALU_DEP_1) | instskip(NEXT) | instid1(VALU_DEP_1)
	v_add_co_u32 v40, s16, s46, v40
	v_add_co_ci_u32_e64 v41, s16, s47, v41, s16
	global_store_b64 v[40:41], v[36:37], off
	s_or_b32 exec_lo, exec_lo, s17
	v_cmp_lt_u32_e64 s16, v77, v177
	s_delay_alu instid0(VALU_DEP_1)
	s_and_saveexec_b32 s18, s16
	s_cbranch_execnz .LBB1126_194
.LBB1126_179:                           ;   in Loop: Header=BB1126_98 Depth=2
	s_or_b32 exec_lo, exec_lo, s18
	v_cmp_lt_u32_e64 s17, v78, v177
	s_delay_alu instid0(VALU_DEP_1)
	s_and_saveexec_b32 s19, s17
	s_cbranch_execz .LBB1126_195
.LBB1126_180:                           ;   in Loop: Header=BB1126_98 Depth=2
	ds_load_b64 v[36:37], v110 offset:4096
	s_waitcnt lgkmcnt(0)
	v_cmp_ne_u64_e64 s18, s[36:37], v[36:37]
	s_delay_alu instid0(VALU_DEP_1) | instskip(SKIP_2) | instid1(VALU_DEP_2)
	v_cndmask_b32_e64 v41, 0x7fffffff, v37, s18
	v_cndmask_b32_e64 v40, -1, v36, s18
	v_cmp_gt_i64_e64 s18, 0, v[36:37]
	v_lshrrev_b64 v[40:41], s43, v[40:41]
	s_delay_alu instid0(VALU_DEP_2) | instskip(NEXT) | instid1(VALU_DEP_2)
	v_cndmask_b32_e64 v42, 0x7fffffff, 0, s18
	v_and_b32_e32 v2, s51, v40
	v_ashrrev_i32_e32 v40, 31, v37
	s_delay_alu instid0(VALU_DEP_3) | instskip(NEXT) | instid1(VALU_DEP_3)
	v_xor_b32_e32 v37, v42, v37
	v_lshlrev_b32_e32 v2, 2, v2
	s_delay_alu instid0(VALU_DEP_3) | instskip(SKIP_4) | instid1(VALU_DEP_1)
	v_not_b32_e32 v43, v40
	ds_load_b32 v2, v2
	v_xor_b32_e32 v36, v43, v36
	s_waitcnt lgkmcnt(0)
	v_add_nc_u32_e32 v2, v2, v78
	v_lshlrev_b64 v[40:41], 3, v[2:3]
	s_delay_alu instid0(VALU_DEP_1) | instskip(NEXT) | instid1(VALU_DEP_1)
	v_add_co_u32 v40, s18, s46, v40
	v_add_co_ci_u32_e64 v41, s18, s47, v41, s18
	global_store_b64 v[40:41], v[36:37], off
	s_or_b32 exec_lo, exec_lo, s19
	v_cmp_lt_u32_e64 s18, v79, v177
	s_delay_alu instid0(VALU_DEP_1)
	s_and_saveexec_b32 s20, s18
	s_cbranch_execnz .LBB1126_196
.LBB1126_181:                           ;   in Loop: Header=BB1126_98 Depth=2
	s_or_b32 exec_lo, exec_lo, s20
	v_cmp_lt_u32_e64 s19, v83, v177
	s_delay_alu instid0(VALU_DEP_1)
	s_and_saveexec_b32 s21, s19
	s_cbranch_execz .LBB1126_197
.LBB1126_182:                           ;   in Loop: Header=BB1126_98 Depth=2
	ds_load_b64 v[36:37], v110 offset:8192
	s_waitcnt lgkmcnt(0)
	v_cmp_ne_u64_e64 s20, s[36:37], v[36:37]
	s_delay_alu instid0(VALU_DEP_1) | instskip(SKIP_2) | instid1(VALU_DEP_2)
	v_cndmask_b32_e64 v41, 0x7fffffff, v37, s20
	v_cndmask_b32_e64 v40, -1, v36, s20
	v_cmp_gt_i64_e64 s20, 0, v[36:37]
	v_lshrrev_b64 v[40:41], s43, v[40:41]
	s_delay_alu instid0(VALU_DEP_2) | instskip(NEXT) | instid1(VALU_DEP_2)
	v_cndmask_b32_e64 v42, 0x7fffffff, 0, s20
	v_and_b32_e32 v2, s51, v40
	v_ashrrev_i32_e32 v40, 31, v37
	s_delay_alu instid0(VALU_DEP_3) | instskip(NEXT) | instid1(VALU_DEP_3)
	v_xor_b32_e32 v37, v42, v37
	v_lshlrev_b32_e32 v2, 2, v2
	s_delay_alu instid0(VALU_DEP_3) | instskip(SKIP_4) | instid1(VALU_DEP_1)
	v_not_b32_e32 v43, v40
	ds_load_b32 v2, v2
	v_xor_b32_e32 v36, v43, v36
	s_waitcnt lgkmcnt(0)
	v_add_nc_u32_e32 v2, v2, v83
	v_lshlrev_b64 v[40:41], 3, v[2:3]
	s_delay_alu instid0(VALU_DEP_1) | instskip(NEXT) | instid1(VALU_DEP_1)
	v_add_co_u32 v40, s20, s46, v40
	v_add_co_ci_u32_e64 v41, s20, s47, v41, s20
	global_store_b64 v[40:41], v[36:37], off
	s_or_b32 exec_lo, exec_lo, s21
	v_cmp_lt_u32_e64 s20, v84, v177
	s_delay_alu instid0(VALU_DEP_1)
	s_and_saveexec_b32 s22, s20
	s_cbranch_execnz .LBB1126_198
.LBB1126_183:                           ;   in Loop: Header=BB1126_98 Depth=2
	s_or_b32 exec_lo, exec_lo, s22
	v_cmp_lt_u32_e64 s21, v85, v177
	s_delay_alu instid0(VALU_DEP_1)
	s_and_saveexec_b32 s23, s21
	s_cbranch_execz .LBB1126_199
.LBB1126_184:                           ;   in Loop: Header=BB1126_98 Depth=2
	ds_load_b64 v[36:37], v110 offset:12288
	s_waitcnt lgkmcnt(0)
	v_cmp_ne_u64_e64 s22, s[36:37], v[36:37]
	s_delay_alu instid0(VALU_DEP_1) | instskip(SKIP_2) | instid1(VALU_DEP_2)
	v_cndmask_b32_e64 v41, 0x7fffffff, v37, s22
	v_cndmask_b32_e64 v40, -1, v36, s22
	v_cmp_gt_i64_e64 s22, 0, v[36:37]
	v_lshrrev_b64 v[40:41], s43, v[40:41]
	s_delay_alu instid0(VALU_DEP_2) | instskip(NEXT) | instid1(VALU_DEP_2)
	v_cndmask_b32_e64 v42, 0x7fffffff, 0, s22
	v_and_b32_e32 v2, s51, v40
	v_ashrrev_i32_e32 v40, 31, v37
	s_delay_alu instid0(VALU_DEP_3) | instskip(NEXT) | instid1(VALU_DEP_3)
	v_xor_b32_e32 v37, v42, v37
	v_lshlrev_b32_e32 v2, 2, v2
	s_delay_alu instid0(VALU_DEP_3) | instskip(SKIP_4) | instid1(VALU_DEP_1)
	v_not_b32_e32 v43, v40
	ds_load_b32 v2, v2
	v_xor_b32_e32 v36, v43, v36
	s_waitcnt lgkmcnt(0)
	v_add_nc_u32_e32 v2, v2, v85
	v_lshlrev_b64 v[40:41], 3, v[2:3]
	s_delay_alu instid0(VALU_DEP_1) | instskip(NEXT) | instid1(VALU_DEP_1)
	v_add_co_u32 v40, s22, s46, v40
	v_add_co_ci_u32_e64 v41, s22, s47, v41, s22
	global_store_b64 v[40:41], v[36:37], off
	s_or_b32 exec_lo, exec_lo, s23
	v_cmp_lt_u32_e64 s22, v86, v177
	s_delay_alu instid0(VALU_DEP_1)
	s_and_saveexec_b32 s24, s22
	s_cbranch_execnz .LBB1126_200
.LBB1126_185:                           ;   in Loop: Header=BB1126_98 Depth=2
	s_or_b32 exec_lo, exec_lo, s24
	v_cmp_lt_u32_e64 s23, v87, v177
	s_delay_alu instid0(VALU_DEP_1)
	s_and_saveexec_b32 s25, s23
	s_cbranch_execz .LBB1126_201
.LBB1126_186:                           ;   in Loop: Header=BB1126_98 Depth=2
	ds_load_b64 v[36:37], v110 offset:16384
	s_waitcnt lgkmcnt(0)
	v_cmp_ne_u64_e64 s24, s[36:37], v[36:37]
	s_delay_alu instid0(VALU_DEP_1) | instskip(SKIP_2) | instid1(VALU_DEP_2)
	v_cndmask_b32_e64 v41, 0x7fffffff, v37, s24
	v_cndmask_b32_e64 v40, -1, v36, s24
	v_cmp_gt_i64_e64 s24, 0, v[36:37]
	v_lshrrev_b64 v[40:41], s43, v[40:41]
	s_delay_alu instid0(VALU_DEP_2) | instskip(NEXT) | instid1(VALU_DEP_2)
	v_cndmask_b32_e64 v42, 0x7fffffff, 0, s24
	v_and_b32_e32 v2, s51, v40
	v_ashrrev_i32_e32 v40, 31, v37
	s_delay_alu instid0(VALU_DEP_3) | instskip(NEXT) | instid1(VALU_DEP_3)
	v_xor_b32_e32 v37, v42, v37
	v_lshlrev_b32_e32 v2, 2, v2
	s_delay_alu instid0(VALU_DEP_3) | instskip(SKIP_4) | instid1(VALU_DEP_1)
	v_not_b32_e32 v43, v40
	ds_load_b32 v2, v2
	v_xor_b32_e32 v36, v43, v36
	s_waitcnt lgkmcnt(0)
	v_add_nc_u32_e32 v2, v2, v87
	v_lshlrev_b64 v[40:41], 3, v[2:3]
	s_delay_alu instid0(VALU_DEP_1) | instskip(NEXT) | instid1(VALU_DEP_1)
	v_add_co_u32 v40, s24, s46, v40
	v_add_co_ci_u32_e64 v41, s24, s47, v41, s24
	global_store_b64 v[40:41], v[36:37], off
	s_or_b32 exec_lo, exec_lo, s25
	v_cmp_lt_u32_e64 s24, v88, v177
	s_delay_alu instid0(VALU_DEP_1)
	s_and_saveexec_b32 s26, s24
	s_cbranch_execnz .LBB1126_202
.LBB1126_187:                           ;   in Loop: Header=BB1126_98 Depth=2
	s_or_b32 exec_lo, exec_lo, s26
	v_cmp_lt_u32_e64 s25, v89, v177
	s_delay_alu instid0(VALU_DEP_1)
	s_and_saveexec_b32 s27, s25
	s_cbranch_execz .LBB1126_203
.LBB1126_188:                           ;   in Loop: Header=BB1126_98 Depth=2
	ds_load_b64 v[36:37], v110 offset:20480
	s_waitcnt lgkmcnt(0)
	v_cmp_ne_u64_e64 s26, s[36:37], v[36:37]
	s_delay_alu instid0(VALU_DEP_1) | instskip(SKIP_2) | instid1(VALU_DEP_2)
	v_cndmask_b32_e64 v41, 0x7fffffff, v37, s26
	v_cndmask_b32_e64 v40, -1, v36, s26
	v_cmp_gt_i64_e64 s26, 0, v[36:37]
	v_lshrrev_b64 v[40:41], s43, v[40:41]
	s_delay_alu instid0(VALU_DEP_2) | instskip(NEXT) | instid1(VALU_DEP_2)
	v_cndmask_b32_e64 v42, 0x7fffffff, 0, s26
	v_and_b32_e32 v2, s51, v40
	v_ashrrev_i32_e32 v40, 31, v37
	s_delay_alu instid0(VALU_DEP_3) | instskip(NEXT) | instid1(VALU_DEP_3)
	v_xor_b32_e32 v37, v42, v37
	v_lshlrev_b32_e32 v2, 2, v2
	s_delay_alu instid0(VALU_DEP_3) | instskip(SKIP_4) | instid1(VALU_DEP_1)
	v_not_b32_e32 v43, v40
	ds_load_b32 v2, v2
	v_xor_b32_e32 v36, v43, v36
	s_waitcnt lgkmcnt(0)
	v_add_nc_u32_e32 v2, v2, v89
	v_lshlrev_b64 v[40:41], 3, v[2:3]
	s_delay_alu instid0(VALU_DEP_1) | instskip(NEXT) | instid1(VALU_DEP_1)
	v_add_co_u32 v40, s26, s46, v40
	v_add_co_ci_u32_e64 v41, s26, s47, v41, s26
	global_store_b64 v[40:41], v[36:37], off
	s_or_b32 exec_lo, exec_lo, s27
	v_cmp_lt_u32_e64 s26, v90, v177
	s_delay_alu instid0(VALU_DEP_1)
	s_and_saveexec_b32 s28, s26
	s_cbranch_execnz .LBB1126_204
.LBB1126_189:                           ;   in Loop: Header=BB1126_98 Depth=2
	s_or_b32 exec_lo, exec_lo, s28
	v_cmp_lt_u32_e64 s27, v91, v177
	s_delay_alu instid0(VALU_DEP_1)
	s_and_saveexec_b32 s29, s27
	s_cbranch_execz .LBB1126_205
.LBB1126_190:                           ;   in Loop: Header=BB1126_98 Depth=2
	ds_load_b64 v[36:37], v110 offset:24576
	s_waitcnt lgkmcnt(0)
	v_cmp_ne_u64_e64 s28, s[36:37], v[36:37]
	s_delay_alu instid0(VALU_DEP_1) | instskip(SKIP_2) | instid1(VALU_DEP_2)
	v_cndmask_b32_e64 v41, 0x7fffffff, v37, s28
	v_cndmask_b32_e64 v40, -1, v36, s28
	v_cmp_gt_i64_e64 s28, 0, v[36:37]
	v_lshrrev_b64 v[40:41], s43, v[40:41]
	s_delay_alu instid0(VALU_DEP_2) | instskip(NEXT) | instid1(VALU_DEP_2)
	v_cndmask_b32_e64 v42, 0x7fffffff, 0, s28
	v_and_b32_e32 v2, s51, v40
	v_ashrrev_i32_e32 v40, 31, v37
	s_delay_alu instid0(VALU_DEP_3) | instskip(NEXT) | instid1(VALU_DEP_3)
	v_xor_b32_e32 v37, v42, v37
	v_lshlrev_b32_e32 v2, 2, v2
	s_delay_alu instid0(VALU_DEP_3) | instskip(SKIP_4) | instid1(VALU_DEP_1)
	v_not_b32_e32 v43, v40
	ds_load_b32 v2, v2
	v_xor_b32_e32 v36, v43, v36
	s_waitcnt lgkmcnt(0)
	v_add_nc_u32_e32 v2, v2, v91
	v_lshlrev_b64 v[40:41], 3, v[2:3]
	s_delay_alu instid0(VALU_DEP_1) | instskip(NEXT) | instid1(VALU_DEP_1)
	v_add_co_u32 v40, s28, s46, v40
	v_add_co_ci_u32_e64 v41, s28, s47, v41, s28
	global_store_b64 v[40:41], v[36:37], off
	s_or_b32 exec_lo, exec_lo, s29
	v_cmp_lt_u32_e64 s28, v92, v177
	s_delay_alu instid0(VALU_DEP_1)
	s_and_saveexec_b32 s30, s28
	s_cbranch_execnz .LBB1126_206
.LBB1126_191:                           ;   in Loop: Header=BB1126_98 Depth=2
	s_or_b32 exec_lo, exec_lo, s30
	v_cmp_lt_u32_e64 s29, v93, v177
	s_delay_alu instid0(VALU_DEP_1)
	s_and_saveexec_b32 s31, s29
	s_cbranch_execz .LBB1126_207
.LBB1126_192:                           ;   in Loop: Header=BB1126_98 Depth=2
	ds_load_b64 v[36:37], v110 offset:28672
	s_waitcnt lgkmcnt(0)
	v_cmp_ne_u64_e64 s30, s[36:37], v[36:37]
	s_delay_alu instid0(VALU_DEP_1) | instskip(SKIP_2) | instid1(VALU_DEP_2)
	v_cndmask_b32_e64 v41, 0x7fffffff, v37, s30
	v_cndmask_b32_e64 v40, -1, v36, s30
	v_cmp_gt_i64_e64 s30, 0, v[36:37]
	v_lshrrev_b64 v[40:41], s43, v[40:41]
	s_delay_alu instid0(VALU_DEP_2) | instskip(NEXT) | instid1(VALU_DEP_2)
	v_cndmask_b32_e64 v42, 0x7fffffff, 0, s30
	v_and_b32_e32 v2, s51, v40
	v_ashrrev_i32_e32 v40, 31, v37
	s_delay_alu instid0(VALU_DEP_3) | instskip(NEXT) | instid1(VALU_DEP_3)
	v_xor_b32_e32 v37, v42, v37
	v_lshlrev_b32_e32 v2, 2, v2
	s_delay_alu instid0(VALU_DEP_3) | instskip(SKIP_4) | instid1(VALU_DEP_1)
	v_not_b32_e32 v43, v40
	ds_load_b32 v2, v2
	v_xor_b32_e32 v36, v43, v36
	s_waitcnt lgkmcnt(0)
	v_add_nc_u32_e32 v2, v2, v93
	v_lshlrev_b64 v[40:41], 3, v[2:3]
	s_delay_alu instid0(VALU_DEP_1) | instskip(NEXT) | instid1(VALU_DEP_1)
	v_add_co_u32 v40, s30, s46, v40
	v_add_co_ci_u32_e64 v41, s30, s47, v41, s30
	global_store_b64 v[40:41], v[36:37], off
	s_or_b32 exec_lo, exec_lo, s31
	v_cmp_lt_u32_e64 s30, v95, v177
	s_delay_alu instid0(VALU_DEP_1)
	s_and_saveexec_b32 s41, s30
	s_cbranch_execnz .LBB1126_208
	s_branch .LBB1126_209
.LBB1126_193:                           ;   in Loop: Header=BB1126_98 Depth=2
	s_or_b32 exec_lo, exec_lo, s17
	v_cmp_lt_u32_e64 s16, v77, v177
	s_delay_alu instid0(VALU_DEP_1)
	s_and_saveexec_b32 s18, s16
	s_cbranch_execz .LBB1126_179
.LBB1126_194:                           ;   in Loop: Header=BB1126_98 Depth=2
	ds_load_b64 v[36:37], v110 offset:2048
	s_waitcnt lgkmcnt(0)
	v_cmp_ne_u64_e64 s17, s[36:37], v[36:37]
	s_delay_alu instid0(VALU_DEP_1) | instskip(SKIP_2) | instid1(VALU_DEP_2)
	v_cndmask_b32_e64 v41, 0x7fffffff, v37, s17
	v_cndmask_b32_e64 v40, -1, v36, s17
	v_cmp_gt_i64_e64 s17, 0, v[36:37]
	v_lshrrev_b64 v[40:41], s43, v[40:41]
	s_delay_alu instid0(VALU_DEP_2) | instskip(NEXT) | instid1(VALU_DEP_2)
	v_cndmask_b32_e64 v42, 0x7fffffff, 0, s17
	v_and_b32_e32 v2, s51, v40
	v_ashrrev_i32_e32 v40, 31, v37
	s_delay_alu instid0(VALU_DEP_3) | instskip(NEXT) | instid1(VALU_DEP_3)
	v_xor_b32_e32 v37, v42, v37
	v_lshlrev_b32_e32 v2, 2, v2
	s_delay_alu instid0(VALU_DEP_3) | instskip(SKIP_4) | instid1(VALU_DEP_1)
	v_not_b32_e32 v43, v40
	ds_load_b32 v2, v2
	v_xor_b32_e32 v36, v43, v36
	s_waitcnt lgkmcnt(0)
	v_add_nc_u32_e32 v2, v2, v77
	v_lshlrev_b64 v[40:41], 3, v[2:3]
	s_delay_alu instid0(VALU_DEP_1) | instskip(NEXT) | instid1(VALU_DEP_1)
	v_add_co_u32 v40, s17, s46, v40
	v_add_co_ci_u32_e64 v41, s17, s47, v41, s17
	global_store_b64 v[40:41], v[36:37], off
	s_or_b32 exec_lo, exec_lo, s18
	v_cmp_lt_u32_e64 s17, v78, v177
	s_delay_alu instid0(VALU_DEP_1)
	s_and_saveexec_b32 s19, s17
	s_cbranch_execnz .LBB1126_180
.LBB1126_195:                           ;   in Loop: Header=BB1126_98 Depth=2
	s_or_b32 exec_lo, exec_lo, s19
	v_cmp_lt_u32_e64 s18, v79, v177
	s_delay_alu instid0(VALU_DEP_1)
	s_and_saveexec_b32 s20, s18
	s_cbranch_execz .LBB1126_181
.LBB1126_196:                           ;   in Loop: Header=BB1126_98 Depth=2
	ds_load_b64 v[36:37], v110 offset:6144
	s_waitcnt lgkmcnt(0)
	v_cmp_ne_u64_e64 s19, s[36:37], v[36:37]
	s_delay_alu instid0(VALU_DEP_1) | instskip(SKIP_2) | instid1(VALU_DEP_2)
	v_cndmask_b32_e64 v41, 0x7fffffff, v37, s19
	v_cndmask_b32_e64 v40, -1, v36, s19
	v_cmp_gt_i64_e64 s19, 0, v[36:37]
	v_lshrrev_b64 v[40:41], s43, v[40:41]
	s_delay_alu instid0(VALU_DEP_2) | instskip(NEXT) | instid1(VALU_DEP_2)
	v_cndmask_b32_e64 v42, 0x7fffffff, 0, s19
	v_and_b32_e32 v2, s51, v40
	v_ashrrev_i32_e32 v40, 31, v37
	s_delay_alu instid0(VALU_DEP_3) | instskip(NEXT) | instid1(VALU_DEP_3)
	v_xor_b32_e32 v37, v42, v37
	v_lshlrev_b32_e32 v2, 2, v2
	s_delay_alu instid0(VALU_DEP_3) | instskip(SKIP_4) | instid1(VALU_DEP_1)
	v_not_b32_e32 v43, v40
	ds_load_b32 v2, v2
	v_xor_b32_e32 v36, v43, v36
	s_waitcnt lgkmcnt(0)
	v_add_nc_u32_e32 v2, v2, v79
	v_lshlrev_b64 v[40:41], 3, v[2:3]
	s_delay_alu instid0(VALU_DEP_1) | instskip(NEXT) | instid1(VALU_DEP_1)
	v_add_co_u32 v40, s19, s46, v40
	v_add_co_ci_u32_e64 v41, s19, s47, v41, s19
	global_store_b64 v[40:41], v[36:37], off
	s_or_b32 exec_lo, exec_lo, s20
	v_cmp_lt_u32_e64 s19, v83, v177
	s_delay_alu instid0(VALU_DEP_1)
	s_and_saveexec_b32 s21, s19
	s_cbranch_execnz .LBB1126_182
.LBB1126_197:                           ;   in Loop: Header=BB1126_98 Depth=2
	s_or_b32 exec_lo, exec_lo, s21
	v_cmp_lt_u32_e64 s20, v84, v177
	s_delay_alu instid0(VALU_DEP_1)
	s_and_saveexec_b32 s22, s20
	s_cbranch_execz .LBB1126_183
.LBB1126_198:                           ;   in Loop: Header=BB1126_98 Depth=2
	ds_load_b64 v[36:37], v110 offset:10240
	s_waitcnt lgkmcnt(0)
	v_cmp_ne_u64_e64 s21, s[36:37], v[36:37]
	s_delay_alu instid0(VALU_DEP_1) | instskip(SKIP_2) | instid1(VALU_DEP_2)
	v_cndmask_b32_e64 v41, 0x7fffffff, v37, s21
	v_cndmask_b32_e64 v40, -1, v36, s21
	v_cmp_gt_i64_e64 s21, 0, v[36:37]
	v_lshrrev_b64 v[40:41], s43, v[40:41]
	s_delay_alu instid0(VALU_DEP_2) | instskip(NEXT) | instid1(VALU_DEP_2)
	v_cndmask_b32_e64 v42, 0x7fffffff, 0, s21
	v_and_b32_e32 v2, s51, v40
	v_ashrrev_i32_e32 v40, 31, v37
	s_delay_alu instid0(VALU_DEP_3) | instskip(NEXT) | instid1(VALU_DEP_3)
	v_xor_b32_e32 v37, v42, v37
	v_lshlrev_b32_e32 v2, 2, v2
	s_delay_alu instid0(VALU_DEP_3) | instskip(SKIP_4) | instid1(VALU_DEP_1)
	v_not_b32_e32 v43, v40
	ds_load_b32 v2, v2
	v_xor_b32_e32 v36, v43, v36
	s_waitcnt lgkmcnt(0)
	v_add_nc_u32_e32 v2, v2, v84
	v_lshlrev_b64 v[40:41], 3, v[2:3]
	s_delay_alu instid0(VALU_DEP_1) | instskip(NEXT) | instid1(VALU_DEP_1)
	v_add_co_u32 v40, s21, s46, v40
	v_add_co_ci_u32_e64 v41, s21, s47, v41, s21
	global_store_b64 v[40:41], v[36:37], off
	s_or_b32 exec_lo, exec_lo, s22
	v_cmp_lt_u32_e64 s21, v85, v177
	s_delay_alu instid0(VALU_DEP_1)
	s_and_saveexec_b32 s23, s21
	s_cbranch_execnz .LBB1126_184
.LBB1126_199:                           ;   in Loop: Header=BB1126_98 Depth=2
	s_or_b32 exec_lo, exec_lo, s23
	v_cmp_lt_u32_e64 s22, v86, v177
	s_delay_alu instid0(VALU_DEP_1)
	s_and_saveexec_b32 s24, s22
	s_cbranch_execz .LBB1126_185
.LBB1126_200:                           ;   in Loop: Header=BB1126_98 Depth=2
	ds_load_b64 v[36:37], v110 offset:14336
	s_waitcnt lgkmcnt(0)
	v_cmp_ne_u64_e64 s23, s[36:37], v[36:37]
	s_delay_alu instid0(VALU_DEP_1) | instskip(SKIP_2) | instid1(VALU_DEP_2)
	v_cndmask_b32_e64 v41, 0x7fffffff, v37, s23
	v_cndmask_b32_e64 v40, -1, v36, s23
	v_cmp_gt_i64_e64 s23, 0, v[36:37]
	v_lshrrev_b64 v[40:41], s43, v[40:41]
	s_delay_alu instid0(VALU_DEP_2) | instskip(NEXT) | instid1(VALU_DEP_2)
	v_cndmask_b32_e64 v42, 0x7fffffff, 0, s23
	v_and_b32_e32 v2, s51, v40
	v_ashrrev_i32_e32 v40, 31, v37
	s_delay_alu instid0(VALU_DEP_3) | instskip(NEXT) | instid1(VALU_DEP_3)
	v_xor_b32_e32 v37, v42, v37
	v_lshlrev_b32_e32 v2, 2, v2
	s_delay_alu instid0(VALU_DEP_3) | instskip(SKIP_4) | instid1(VALU_DEP_1)
	v_not_b32_e32 v43, v40
	ds_load_b32 v2, v2
	v_xor_b32_e32 v36, v43, v36
	s_waitcnt lgkmcnt(0)
	v_add_nc_u32_e32 v2, v2, v86
	v_lshlrev_b64 v[40:41], 3, v[2:3]
	s_delay_alu instid0(VALU_DEP_1) | instskip(NEXT) | instid1(VALU_DEP_1)
	v_add_co_u32 v40, s23, s46, v40
	v_add_co_ci_u32_e64 v41, s23, s47, v41, s23
	global_store_b64 v[40:41], v[36:37], off
	s_or_b32 exec_lo, exec_lo, s24
	v_cmp_lt_u32_e64 s23, v87, v177
	s_delay_alu instid0(VALU_DEP_1)
	s_and_saveexec_b32 s25, s23
	s_cbranch_execnz .LBB1126_186
.LBB1126_201:                           ;   in Loop: Header=BB1126_98 Depth=2
	s_or_b32 exec_lo, exec_lo, s25
	v_cmp_lt_u32_e64 s24, v88, v177
	s_delay_alu instid0(VALU_DEP_1)
	s_and_saveexec_b32 s26, s24
	s_cbranch_execz .LBB1126_187
.LBB1126_202:                           ;   in Loop: Header=BB1126_98 Depth=2
	ds_load_b64 v[36:37], v110 offset:18432
	s_waitcnt lgkmcnt(0)
	v_cmp_ne_u64_e64 s25, s[36:37], v[36:37]
	s_delay_alu instid0(VALU_DEP_1) | instskip(SKIP_2) | instid1(VALU_DEP_2)
	v_cndmask_b32_e64 v41, 0x7fffffff, v37, s25
	v_cndmask_b32_e64 v40, -1, v36, s25
	v_cmp_gt_i64_e64 s25, 0, v[36:37]
	v_lshrrev_b64 v[40:41], s43, v[40:41]
	s_delay_alu instid0(VALU_DEP_2) | instskip(NEXT) | instid1(VALU_DEP_2)
	v_cndmask_b32_e64 v42, 0x7fffffff, 0, s25
	v_and_b32_e32 v2, s51, v40
	v_ashrrev_i32_e32 v40, 31, v37
	s_delay_alu instid0(VALU_DEP_3) | instskip(NEXT) | instid1(VALU_DEP_3)
	v_xor_b32_e32 v37, v42, v37
	v_lshlrev_b32_e32 v2, 2, v2
	s_delay_alu instid0(VALU_DEP_3) | instskip(SKIP_4) | instid1(VALU_DEP_1)
	v_not_b32_e32 v43, v40
	ds_load_b32 v2, v2
	v_xor_b32_e32 v36, v43, v36
	s_waitcnt lgkmcnt(0)
	v_add_nc_u32_e32 v2, v2, v88
	v_lshlrev_b64 v[40:41], 3, v[2:3]
	s_delay_alu instid0(VALU_DEP_1) | instskip(NEXT) | instid1(VALU_DEP_1)
	v_add_co_u32 v40, s25, s46, v40
	v_add_co_ci_u32_e64 v41, s25, s47, v41, s25
	global_store_b64 v[40:41], v[36:37], off
	s_or_b32 exec_lo, exec_lo, s26
	v_cmp_lt_u32_e64 s25, v89, v177
	s_delay_alu instid0(VALU_DEP_1)
	s_and_saveexec_b32 s27, s25
	s_cbranch_execnz .LBB1126_188
.LBB1126_203:                           ;   in Loop: Header=BB1126_98 Depth=2
	s_or_b32 exec_lo, exec_lo, s27
	v_cmp_lt_u32_e64 s26, v90, v177
	s_delay_alu instid0(VALU_DEP_1)
	s_and_saveexec_b32 s28, s26
	s_cbranch_execz .LBB1126_189
.LBB1126_204:                           ;   in Loop: Header=BB1126_98 Depth=2
	ds_load_b64 v[36:37], v110 offset:22528
	s_waitcnt lgkmcnt(0)
	v_cmp_ne_u64_e64 s27, s[36:37], v[36:37]
	s_delay_alu instid0(VALU_DEP_1) | instskip(SKIP_2) | instid1(VALU_DEP_2)
	v_cndmask_b32_e64 v41, 0x7fffffff, v37, s27
	v_cndmask_b32_e64 v40, -1, v36, s27
	v_cmp_gt_i64_e64 s27, 0, v[36:37]
	v_lshrrev_b64 v[40:41], s43, v[40:41]
	s_delay_alu instid0(VALU_DEP_2) | instskip(NEXT) | instid1(VALU_DEP_2)
	v_cndmask_b32_e64 v42, 0x7fffffff, 0, s27
	v_and_b32_e32 v2, s51, v40
	v_ashrrev_i32_e32 v40, 31, v37
	s_delay_alu instid0(VALU_DEP_3) | instskip(NEXT) | instid1(VALU_DEP_3)
	v_xor_b32_e32 v37, v42, v37
	v_lshlrev_b32_e32 v2, 2, v2
	s_delay_alu instid0(VALU_DEP_3) | instskip(SKIP_4) | instid1(VALU_DEP_1)
	v_not_b32_e32 v43, v40
	ds_load_b32 v2, v2
	v_xor_b32_e32 v36, v43, v36
	s_waitcnt lgkmcnt(0)
	v_add_nc_u32_e32 v2, v2, v90
	v_lshlrev_b64 v[40:41], 3, v[2:3]
	s_delay_alu instid0(VALU_DEP_1) | instskip(NEXT) | instid1(VALU_DEP_1)
	v_add_co_u32 v40, s27, s46, v40
	v_add_co_ci_u32_e64 v41, s27, s47, v41, s27
	global_store_b64 v[40:41], v[36:37], off
	s_or_b32 exec_lo, exec_lo, s28
	v_cmp_lt_u32_e64 s27, v91, v177
	s_delay_alu instid0(VALU_DEP_1)
	s_and_saveexec_b32 s29, s27
	s_cbranch_execnz .LBB1126_190
.LBB1126_205:                           ;   in Loop: Header=BB1126_98 Depth=2
	s_or_b32 exec_lo, exec_lo, s29
	v_cmp_lt_u32_e64 s28, v92, v177
	s_delay_alu instid0(VALU_DEP_1)
	s_and_saveexec_b32 s30, s28
	s_cbranch_execz .LBB1126_191
.LBB1126_206:                           ;   in Loop: Header=BB1126_98 Depth=2
	ds_load_b64 v[36:37], v110 offset:26624
	s_waitcnt lgkmcnt(0)
	v_cmp_ne_u64_e64 s29, s[36:37], v[36:37]
	s_delay_alu instid0(VALU_DEP_1) | instskip(SKIP_2) | instid1(VALU_DEP_2)
	v_cndmask_b32_e64 v41, 0x7fffffff, v37, s29
	v_cndmask_b32_e64 v40, -1, v36, s29
	v_cmp_gt_i64_e64 s29, 0, v[36:37]
	v_lshrrev_b64 v[40:41], s43, v[40:41]
	s_delay_alu instid0(VALU_DEP_2) | instskip(NEXT) | instid1(VALU_DEP_2)
	v_cndmask_b32_e64 v42, 0x7fffffff, 0, s29
	v_and_b32_e32 v2, s51, v40
	v_ashrrev_i32_e32 v40, 31, v37
	s_delay_alu instid0(VALU_DEP_3) | instskip(NEXT) | instid1(VALU_DEP_3)
	v_xor_b32_e32 v37, v42, v37
	v_lshlrev_b32_e32 v2, 2, v2
	s_delay_alu instid0(VALU_DEP_3) | instskip(SKIP_4) | instid1(VALU_DEP_1)
	v_not_b32_e32 v43, v40
	ds_load_b32 v2, v2
	v_xor_b32_e32 v36, v43, v36
	s_waitcnt lgkmcnt(0)
	v_add_nc_u32_e32 v2, v2, v92
	v_lshlrev_b64 v[40:41], 3, v[2:3]
	s_delay_alu instid0(VALU_DEP_1) | instskip(NEXT) | instid1(VALU_DEP_1)
	v_add_co_u32 v40, s29, s46, v40
	v_add_co_ci_u32_e64 v41, s29, s47, v41, s29
	global_store_b64 v[40:41], v[36:37], off
	s_or_b32 exec_lo, exec_lo, s30
	v_cmp_lt_u32_e64 s29, v93, v177
	s_delay_alu instid0(VALU_DEP_1)
	s_and_saveexec_b32 s31, s29
	s_cbranch_execnz .LBB1126_192
.LBB1126_207:                           ;   in Loop: Header=BB1126_98 Depth=2
	s_or_b32 exec_lo, exec_lo, s31
	v_cmp_lt_u32_e64 s30, v95, v177
	s_delay_alu instid0(VALU_DEP_1)
	s_and_saveexec_b32 s41, s30
	s_cbranch_execz .LBB1126_209
.LBB1126_208:                           ;   in Loop: Header=BB1126_98 Depth=2
	ds_load_b64 v[36:37], v110 offset:30720
	s_waitcnt lgkmcnt(0)
	v_cmp_ne_u64_e64 s31, s[36:37], v[36:37]
	s_delay_alu instid0(VALU_DEP_1) | instskip(SKIP_2) | instid1(VALU_DEP_2)
	v_cndmask_b32_e64 v41, 0x7fffffff, v37, s31
	v_cndmask_b32_e64 v40, -1, v36, s31
	v_cmp_gt_i64_e64 s31, 0, v[36:37]
	v_lshrrev_b64 v[40:41], s43, v[40:41]
	s_delay_alu instid0(VALU_DEP_2) | instskip(NEXT) | instid1(VALU_DEP_2)
	v_cndmask_b32_e64 v42, 0x7fffffff, 0, s31
	v_and_b32_e32 v2, s51, v40
	v_ashrrev_i32_e32 v40, 31, v37
	s_delay_alu instid0(VALU_DEP_3) | instskip(NEXT) | instid1(VALU_DEP_3)
	v_xor_b32_e32 v37, v42, v37
	v_lshlrev_b32_e32 v2, 2, v2
	s_delay_alu instid0(VALU_DEP_3) | instskip(SKIP_4) | instid1(VALU_DEP_1)
	v_not_b32_e32 v43, v40
	ds_load_b32 v2, v2
	v_xor_b32_e32 v36, v43, v36
	s_waitcnt lgkmcnt(0)
	v_add_nc_u32_e32 v2, v2, v95
	v_lshlrev_b64 v[40:41], 3, v[2:3]
	s_delay_alu instid0(VALU_DEP_1) | instskip(NEXT) | instid1(VALU_DEP_1)
	v_add_co_u32 v40, s31, s46, v40
	v_add_co_ci_u32_e64 v41, s31, s47, v41, s31
	global_store_b64 v[40:41], v[36:37], off
.LBB1126_209:                           ;   in Loop: Header=BB1126_98 Depth=2
	s_or_b32 exec_lo, exec_lo, s41
	s_mov_b32 s41, s36
	s_delay_alu instid0(SALU_CYCLE_1) | instskip(NEXT) | instid1(SALU_CYCLE_1)
	s_lshl_b64 s[40:41], s[40:41], 3
	v_add_co_u32 v36, s31, v139, s40
	s_delay_alu instid0(VALU_DEP_1) | instskip(SKIP_1) | instid1(VALU_DEP_1)
	v_add_co_ci_u32_e64 v37, s31, s41, v140, s31
	v_cmp_lt_u32_e64 s31, v138, v177
	s_and_saveexec_b32 s40, s31
	s_delay_alu instid0(SALU_CYCLE_1)
	s_xor_b32 s31, exec_lo, s40
	s_cbranch_execz .LBB1126_241
; %bb.210:                              ;   in Loop: Header=BB1126_98 Depth=2
	global_load_b64 v[34:35], v[36:37], off
	s_or_b32 exec_lo, exec_lo, s31
	s_delay_alu instid0(SALU_CYCLE_1)
	s_mov_b32 s40, exec_lo
	v_cmpx_lt_u32_e64 v141, v177
	s_cbranch_execnz .LBB1126_242
.LBB1126_211:                           ;   in Loop: Header=BB1126_98 Depth=2
	s_or_b32 exec_lo, exec_lo, s40
	s_delay_alu instid0(SALU_CYCLE_1)
	s_mov_b32 s40, exec_lo
	v_cmpx_lt_u32_e64 v142, v177
	s_cbranch_execz .LBB1126_243
.LBB1126_212:                           ;   in Loop: Header=BB1126_98 Depth=2
	global_load_b64 v[30:31], v[36:37], off offset:512
	s_or_b32 exec_lo, exec_lo, s40
	s_delay_alu instid0(SALU_CYCLE_1)
	s_mov_b32 s40, exec_lo
	v_cmpx_lt_u32_e64 v143, v177
	s_cbranch_execnz .LBB1126_244
.LBB1126_213:                           ;   in Loop: Header=BB1126_98 Depth=2
	s_or_b32 exec_lo, exec_lo, s40
	s_delay_alu instid0(SALU_CYCLE_1)
	s_mov_b32 s40, exec_lo
	v_cmpx_lt_u32_e64 v144, v177
	s_cbranch_execz .LBB1126_245
.LBB1126_214:                           ;   in Loop: Header=BB1126_98 Depth=2
	global_load_b64 v[26:27], v[36:37], off offset:1024
	s_or_b32 exec_lo, exec_lo, s40
	s_delay_alu instid0(SALU_CYCLE_1)
	s_mov_b32 s40, exec_lo
	v_cmpx_lt_u32_e64 v145, v177
	s_cbranch_execnz .LBB1126_246
.LBB1126_215:                           ;   in Loop: Header=BB1126_98 Depth=2
	s_or_b32 exec_lo, exec_lo, s40
	s_delay_alu instid0(SALU_CYCLE_1)
	s_mov_b32 s40, exec_lo
	v_cmpx_lt_u32_e64 v146, v177
	s_cbranch_execz .LBB1126_247
.LBB1126_216:                           ;   in Loop: Header=BB1126_98 Depth=2
	global_load_b64 v[22:23], v[36:37], off offset:1536
	s_or_b32 exec_lo, exec_lo, s40
	s_delay_alu instid0(SALU_CYCLE_1)
	s_mov_b32 s40, exec_lo
	v_cmpx_lt_u32_e64 v147, v177
	s_cbranch_execnz .LBB1126_248
.LBB1126_217:                           ;   in Loop: Header=BB1126_98 Depth=2
	s_or_b32 exec_lo, exec_lo, s40
	s_delay_alu instid0(SALU_CYCLE_1)
	s_mov_b32 s40, exec_lo
	v_cmpx_lt_u32_e64 v148, v177
	s_cbranch_execz .LBB1126_249
.LBB1126_218:                           ;   in Loop: Header=BB1126_98 Depth=2
	global_load_b64 v[18:19], v[36:37], off offset:2048
	s_or_b32 exec_lo, exec_lo, s40
	s_delay_alu instid0(SALU_CYCLE_1)
	s_mov_b32 s40, exec_lo
	v_cmpx_lt_u32_e64 v149, v177
	s_cbranch_execnz .LBB1126_250
.LBB1126_219:                           ;   in Loop: Header=BB1126_98 Depth=2
	s_or_b32 exec_lo, exec_lo, s40
	s_delay_alu instid0(SALU_CYCLE_1)
	s_mov_b32 s40, exec_lo
	v_cmpx_lt_u32_e64 v150, v177
	s_cbranch_execz .LBB1126_251
.LBB1126_220:                           ;   in Loop: Header=BB1126_98 Depth=2
	global_load_b64 v[14:15], v[36:37], off offset:2560
	s_or_b32 exec_lo, exec_lo, s40
	s_delay_alu instid0(SALU_CYCLE_1)
	s_mov_b32 s40, exec_lo
	v_cmpx_lt_u32_e64 v151, v177
	s_cbranch_execnz .LBB1126_252
.LBB1126_221:                           ;   in Loop: Header=BB1126_98 Depth=2
	s_or_b32 exec_lo, exec_lo, s40
	s_delay_alu instid0(SALU_CYCLE_1)
	s_mov_b32 s40, exec_lo
	v_cmpx_lt_u32_e64 v152, v177
	s_cbranch_execz .LBB1126_253
.LBB1126_222:                           ;   in Loop: Header=BB1126_98 Depth=2
	global_load_b64 v[10:11], v[36:37], off offset:3072
	s_or_b32 exec_lo, exec_lo, s40
	s_delay_alu instid0(SALU_CYCLE_1)
	s_mov_b32 s40, exec_lo
	v_cmpx_lt_u32_e64 v153, v177
	s_cbranch_execnz .LBB1126_254
.LBB1126_223:                           ;   in Loop: Header=BB1126_98 Depth=2
	s_or_b32 exec_lo, exec_lo, s40
	s_delay_alu instid0(SALU_CYCLE_1)
	s_mov_b32 s40, exec_lo
	v_cmpx_lt_u32_e64 v154, v177
	s_cbranch_execz .LBB1126_255
.LBB1126_224:                           ;   in Loop: Header=BB1126_98 Depth=2
	global_load_b64 v[6:7], v[36:37], off offset:3584
	s_or_b32 exec_lo, exec_lo, s40
	s_delay_alu instid0(SALU_CYCLE_1)
	s_mov_b32 s40, exec_lo
	v_cmpx_lt_u32_e64 v155, v177
	s_cbranch_execnz .LBB1126_256
.LBB1126_225:                           ;   in Loop: Header=BB1126_98 Depth=2
	s_or_b32 exec_lo, exec_lo, s40
	s_and_saveexec_b32 s40, vcc_lo
	s_cbranch_execz .LBB1126_257
.LBB1126_226:                           ;   in Loop: Header=BB1126_98 Depth=2
	v_add_nc_u32_e32 v2, v104, v76
	ds_load_b64 v[36:37], v2 offset:1024
	s_waitcnt lgkmcnt(0)
	v_cmp_ne_u64_e64 s31, s[36:37], v[36:37]
	s_delay_alu instid0(VALU_DEP_1) | instskip(SKIP_1) | instid1(VALU_DEP_1)
	v_cndmask_b32_e64 v37, 0x7fffffff, v37, s31
	v_cndmask_b32_e64 v36, -1, v36, s31
	v_lshrrev_b64 v[36:37], s43, v[36:37]
	s_delay_alu instid0(VALU_DEP_1)
	v_and_b32_e32 v176, s51, v36
	s_or_b32 exec_lo, exec_lo, s40
	s_and_saveexec_b32 s40, s16
	s_cbranch_execnz .LBB1126_258
.LBB1126_227:                           ;   in Loop: Header=BB1126_98 Depth=2
	s_or_b32 exec_lo, exec_lo, s40
	s_and_saveexec_b32 s40, s17
	s_cbranch_execz .LBB1126_259
.LBB1126_228:                           ;   in Loop: Header=BB1126_98 Depth=2
	ds_load_b64 v[36:37], v110 offset:4096
	s_waitcnt lgkmcnt(0)
	v_cmp_ne_u64_e64 s31, s[36:37], v[36:37]
	s_delay_alu instid0(VALU_DEP_1) | instskip(SKIP_1) | instid1(VALU_DEP_1)
	v_cndmask_b32_e64 v37, 0x7fffffff, v37, s31
	v_cndmask_b32_e64 v36, -1, v36, s31
	v_lshrrev_b64 v[36:37], s43, v[36:37]
	s_delay_alu instid0(VALU_DEP_1)
	v_and_b32_e32 v174, s51, v36
	s_or_b32 exec_lo, exec_lo, s40
	s_and_saveexec_b32 s40, s18
	s_cbranch_execnz .LBB1126_260
.LBB1126_229:                           ;   in Loop: Header=BB1126_98 Depth=2
	s_or_b32 exec_lo, exec_lo, s40
	s_and_saveexec_b32 s40, s19
	s_cbranch_execz .LBB1126_261
.LBB1126_230:                           ;   in Loop: Header=BB1126_98 Depth=2
	ds_load_b64 v[36:37], v110 offset:8192
	s_waitcnt lgkmcnt(0)
	v_cmp_ne_u64_e64 s31, s[36:37], v[36:37]
	s_delay_alu instid0(VALU_DEP_1) | instskip(SKIP_1) | instid1(VALU_DEP_1)
	v_cndmask_b32_e64 v37, 0x7fffffff, v37, s31
	v_cndmask_b32_e64 v36, -1, v36, s31
	v_lshrrev_b64 v[36:37], s43, v[36:37]
	s_delay_alu instid0(VALU_DEP_1)
	v_and_b32_e32 v172, s51, v36
	s_or_b32 exec_lo, exec_lo, s40
	s_and_saveexec_b32 s40, s20
	s_cbranch_execnz .LBB1126_262
.LBB1126_231:                           ;   in Loop: Header=BB1126_98 Depth=2
	s_or_b32 exec_lo, exec_lo, s40
	s_and_saveexec_b32 s40, s21
	s_cbranch_execz .LBB1126_263
.LBB1126_232:                           ;   in Loop: Header=BB1126_98 Depth=2
	ds_load_b64 v[36:37], v110 offset:12288
	s_waitcnt lgkmcnt(0)
	v_cmp_ne_u64_e64 s31, s[36:37], v[36:37]
	s_delay_alu instid0(VALU_DEP_1) | instskip(SKIP_1) | instid1(VALU_DEP_1)
	v_cndmask_b32_e64 v37, 0x7fffffff, v37, s31
	v_cndmask_b32_e64 v36, -1, v36, s31
	v_lshrrev_b64 v[36:37], s43, v[36:37]
	s_delay_alu instid0(VALU_DEP_1)
	v_and_b32_e32 v170, s51, v36
	s_or_b32 exec_lo, exec_lo, s40
	s_and_saveexec_b32 s40, s22
	s_cbranch_execnz .LBB1126_264
.LBB1126_233:                           ;   in Loop: Header=BB1126_98 Depth=2
	s_or_b32 exec_lo, exec_lo, s40
	s_and_saveexec_b32 s40, s23
	s_cbranch_execz .LBB1126_265
.LBB1126_234:                           ;   in Loop: Header=BB1126_98 Depth=2
	ds_load_b64 v[36:37], v110 offset:16384
	s_waitcnt lgkmcnt(0)
	v_cmp_ne_u64_e64 s31, s[36:37], v[36:37]
	s_delay_alu instid0(VALU_DEP_1) | instskip(SKIP_1) | instid1(VALU_DEP_1)
	v_cndmask_b32_e64 v37, 0x7fffffff, v37, s31
	v_cndmask_b32_e64 v36, -1, v36, s31
	v_lshrrev_b64 v[36:37], s43, v[36:37]
	s_delay_alu instid0(VALU_DEP_1)
	v_and_b32_e32 v168, s51, v36
	s_or_b32 exec_lo, exec_lo, s40
	s_and_saveexec_b32 s40, s24
	s_cbranch_execnz .LBB1126_266
.LBB1126_235:                           ;   in Loop: Header=BB1126_98 Depth=2
	s_or_b32 exec_lo, exec_lo, s40
	s_and_saveexec_b32 s40, s25
	s_cbranch_execz .LBB1126_267
.LBB1126_236:                           ;   in Loop: Header=BB1126_98 Depth=2
	ds_load_b64 v[36:37], v110 offset:20480
	s_waitcnt lgkmcnt(0)
	v_cmp_ne_u64_e64 s31, s[36:37], v[36:37]
	s_delay_alu instid0(VALU_DEP_1) | instskip(SKIP_1) | instid1(VALU_DEP_1)
	v_cndmask_b32_e64 v37, 0x7fffffff, v37, s31
	v_cndmask_b32_e64 v36, -1, v36, s31
	v_lshrrev_b64 v[36:37], s43, v[36:37]
	s_delay_alu instid0(VALU_DEP_1)
	v_and_b32_e32 v166, s51, v36
	s_or_b32 exec_lo, exec_lo, s40
	s_and_saveexec_b32 s40, s26
	s_cbranch_execnz .LBB1126_268
.LBB1126_237:                           ;   in Loop: Header=BB1126_98 Depth=2
	s_or_b32 exec_lo, exec_lo, s40
	s_and_saveexec_b32 s40, s27
	s_cbranch_execz .LBB1126_269
.LBB1126_238:                           ;   in Loop: Header=BB1126_98 Depth=2
	ds_load_b64 v[36:37], v110 offset:24576
	s_waitcnt lgkmcnt(0)
	v_cmp_ne_u64_e64 s31, s[36:37], v[36:37]
	s_delay_alu instid0(VALU_DEP_1) | instskip(SKIP_1) | instid1(VALU_DEP_1)
	v_cndmask_b32_e64 v37, 0x7fffffff, v37, s31
	v_cndmask_b32_e64 v36, -1, v36, s31
	v_lshrrev_b64 v[36:37], s43, v[36:37]
	s_delay_alu instid0(VALU_DEP_1)
	v_and_b32_e32 v164, s51, v36
	s_or_b32 exec_lo, exec_lo, s40
	s_and_saveexec_b32 s40, s28
	s_cbranch_execnz .LBB1126_270
.LBB1126_239:                           ;   in Loop: Header=BB1126_98 Depth=2
	s_or_b32 exec_lo, exec_lo, s40
	s_and_saveexec_b32 s40, s29
	s_cbranch_execz .LBB1126_271
.LBB1126_240:                           ;   in Loop: Header=BB1126_98 Depth=2
	ds_load_b64 v[36:37], v110 offset:28672
	s_waitcnt lgkmcnt(0)
	v_cmp_ne_u64_e64 s31, s[36:37], v[36:37]
	s_delay_alu instid0(VALU_DEP_1) | instskip(SKIP_1) | instid1(VALU_DEP_1)
	v_cndmask_b32_e64 v37, 0x7fffffff, v37, s31
	v_cndmask_b32_e64 v36, -1, v36, s31
	v_lshrrev_b64 v[36:37], s43, v[36:37]
	s_delay_alu instid0(VALU_DEP_1)
	v_and_b32_e32 v162, s51, v36
	s_or_b32 exec_lo, exec_lo, s40
	s_and_saveexec_b32 s40, s30
	s_cbranch_execnz .LBB1126_272
	s_branch .LBB1126_273
.LBB1126_241:                           ;   in Loop: Header=BB1126_98 Depth=2
	s_or_b32 exec_lo, exec_lo, s31
	s_delay_alu instid0(SALU_CYCLE_1)
	s_mov_b32 s40, exec_lo
	v_cmpx_lt_u32_e64 v141, v177
	s_cbranch_execz .LBB1126_211
.LBB1126_242:                           ;   in Loop: Header=BB1126_98 Depth=2
	global_load_b64 v[32:33], v[36:37], off offset:256
	s_or_b32 exec_lo, exec_lo, s40
	s_delay_alu instid0(SALU_CYCLE_1)
	s_mov_b32 s40, exec_lo
	v_cmpx_lt_u32_e64 v142, v177
	s_cbranch_execnz .LBB1126_212
.LBB1126_243:                           ;   in Loop: Header=BB1126_98 Depth=2
	s_or_b32 exec_lo, exec_lo, s40
	s_delay_alu instid0(SALU_CYCLE_1)
	s_mov_b32 s40, exec_lo
	v_cmpx_lt_u32_e64 v143, v177
	s_cbranch_execz .LBB1126_213
.LBB1126_244:                           ;   in Loop: Header=BB1126_98 Depth=2
	global_load_b64 v[28:29], v[36:37], off offset:768
	s_or_b32 exec_lo, exec_lo, s40
	s_delay_alu instid0(SALU_CYCLE_1)
	s_mov_b32 s40, exec_lo
	v_cmpx_lt_u32_e64 v144, v177
	s_cbranch_execnz .LBB1126_214
.LBB1126_245:                           ;   in Loop: Header=BB1126_98 Depth=2
	s_or_b32 exec_lo, exec_lo, s40
	s_delay_alu instid0(SALU_CYCLE_1)
	s_mov_b32 s40, exec_lo
	v_cmpx_lt_u32_e64 v145, v177
	s_cbranch_execz .LBB1126_215
.LBB1126_246:                           ;   in Loop: Header=BB1126_98 Depth=2
	global_load_b64 v[24:25], v[36:37], off offset:1280
	s_or_b32 exec_lo, exec_lo, s40
	s_delay_alu instid0(SALU_CYCLE_1)
	s_mov_b32 s40, exec_lo
	v_cmpx_lt_u32_e64 v146, v177
	s_cbranch_execnz .LBB1126_216
.LBB1126_247:                           ;   in Loop: Header=BB1126_98 Depth=2
	s_or_b32 exec_lo, exec_lo, s40
	s_delay_alu instid0(SALU_CYCLE_1)
	s_mov_b32 s40, exec_lo
	v_cmpx_lt_u32_e64 v147, v177
	s_cbranch_execz .LBB1126_217
.LBB1126_248:                           ;   in Loop: Header=BB1126_98 Depth=2
	global_load_b64 v[20:21], v[36:37], off offset:1792
	s_or_b32 exec_lo, exec_lo, s40
	s_delay_alu instid0(SALU_CYCLE_1)
	s_mov_b32 s40, exec_lo
	v_cmpx_lt_u32_e64 v148, v177
	s_cbranch_execnz .LBB1126_218
.LBB1126_249:                           ;   in Loop: Header=BB1126_98 Depth=2
	s_or_b32 exec_lo, exec_lo, s40
	s_delay_alu instid0(SALU_CYCLE_1)
	s_mov_b32 s40, exec_lo
	v_cmpx_lt_u32_e64 v149, v177
	s_cbranch_execz .LBB1126_219
.LBB1126_250:                           ;   in Loop: Header=BB1126_98 Depth=2
	global_load_b64 v[16:17], v[36:37], off offset:2304
	s_or_b32 exec_lo, exec_lo, s40
	s_delay_alu instid0(SALU_CYCLE_1)
	s_mov_b32 s40, exec_lo
	v_cmpx_lt_u32_e64 v150, v177
	s_cbranch_execnz .LBB1126_220
.LBB1126_251:                           ;   in Loop: Header=BB1126_98 Depth=2
	s_or_b32 exec_lo, exec_lo, s40
	s_delay_alu instid0(SALU_CYCLE_1)
	s_mov_b32 s40, exec_lo
	v_cmpx_lt_u32_e64 v151, v177
	s_cbranch_execz .LBB1126_221
.LBB1126_252:                           ;   in Loop: Header=BB1126_98 Depth=2
	global_load_b64 v[12:13], v[36:37], off offset:2816
	s_or_b32 exec_lo, exec_lo, s40
	s_delay_alu instid0(SALU_CYCLE_1)
	s_mov_b32 s40, exec_lo
	v_cmpx_lt_u32_e64 v152, v177
	s_cbranch_execnz .LBB1126_222
.LBB1126_253:                           ;   in Loop: Header=BB1126_98 Depth=2
	s_or_b32 exec_lo, exec_lo, s40
	s_delay_alu instid0(SALU_CYCLE_1)
	s_mov_b32 s40, exec_lo
	v_cmpx_lt_u32_e64 v153, v177
	s_cbranch_execz .LBB1126_223
.LBB1126_254:                           ;   in Loop: Header=BB1126_98 Depth=2
	global_load_b64 v[8:9], v[36:37], off offset:3328
	s_or_b32 exec_lo, exec_lo, s40
	s_delay_alu instid0(SALU_CYCLE_1)
	s_mov_b32 s40, exec_lo
	v_cmpx_lt_u32_e64 v154, v177
	s_cbranch_execnz .LBB1126_224
.LBB1126_255:                           ;   in Loop: Header=BB1126_98 Depth=2
	s_or_b32 exec_lo, exec_lo, s40
	s_delay_alu instid0(SALU_CYCLE_1)
	s_mov_b32 s40, exec_lo
	v_cmpx_lt_u32_e64 v155, v177
	s_cbranch_execz .LBB1126_225
.LBB1126_256:                           ;   in Loop: Header=BB1126_98 Depth=2
	global_load_b64 v[4:5], v[36:37], off offset:3840
	s_or_b32 exec_lo, exec_lo, s40
	s_and_saveexec_b32 s40, vcc_lo
	s_cbranch_execnz .LBB1126_226
.LBB1126_257:                           ;   in Loop: Header=BB1126_98 Depth=2
	s_or_b32 exec_lo, exec_lo, s40
	s_and_saveexec_b32 s40, s16
	s_cbranch_execz .LBB1126_227
.LBB1126_258:                           ;   in Loop: Header=BB1126_98 Depth=2
	ds_load_b64 v[36:37], v110 offset:2048
	s_waitcnt lgkmcnt(0)
	v_cmp_ne_u64_e64 s31, s[36:37], v[36:37]
	s_delay_alu instid0(VALU_DEP_1) | instskip(SKIP_1) | instid1(VALU_DEP_1)
	v_cndmask_b32_e64 v37, 0x7fffffff, v37, s31
	v_cndmask_b32_e64 v36, -1, v36, s31
	v_lshrrev_b64 v[36:37], s43, v[36:37]
	s_delay_alu instid0(VALU_DEP_1)
	v_and_b32_e32 v175, s51, v36
	s_or_b32 exec_lo, exec_lo, s40
	s_and_saveexec_b32 s40, s17
	s_cbranch_execnz .LBB1126_228
.LBB1126_259:                           ;   in Loop: Header=BB1126_98 Depth=2
	s_or_b32 exec_lo, exec_lo, s40
	s_and_saveexec_b32 s40, s18
	s_cbranch_execz .LBB1126_229
.LBB1126_260:                           ;   in Loop: Header=BB1126_98 Depth=2
	ds_load_b64 v[36:37], v110 offset:6144
	s_waitcnt lgkmcnt(0)
	v_cmp_ne_u64_e64 s31, s[36:37], v[36:37]
	s_delay_alu instid0(VALU_DEP_1) | instskip(SKIP_1) | instid1(VALU_DEP_1)
	v_cndmask_b32_e64 v37, 0x7fffffff, v37, s31
	v_cndmask_b32_e64 v36, -1, v36, s31
	v_lshrrev_b64 v[36:37], s43, v[36:37]
	s_delay_alu instid0(VALU_DEP_1)
	v_and_b32_e32 v173, s51, v36
	s_or_b32 exec_lo, exec_lo, s40
	s_and_saveexec_b32 s40, s19
	s_cbranch_execnz .LBB1126_230
.LBB1126_261:                           ;   in Loop: Header=BB1126_98 Depth=2
	s_or_b32 exec_lo, exec_lo, s40
	s_and_saveexec_b32 s40, s20
	s_cbranch_execz .LBB1126_231
.LBB1126_262:                           ;   in Loop: Header=BB1126_98 Depth=2
	ds_load_b64 v[36:37], v110 offset:10240
	s_waitcnt lgkmcnt(0)
	v_cmp_ne_u64_e64 s31, s[36:37], v[36:37]
	s_delay_alu instid0(VALU_DEP_1) | instskip(SKIP_1) | instid1(VALU_DEP_1)
	v_cndmask_b32_e64 v37, 0x7fffffff, v37, s31
	v_cndmask_b32_e64 v36, -1, v36, s31
	v_lshrrev_b64 v[36:37], s43, v[36:37]
	s_delay_alu instid0(VALU_DEP_1)
	v_and_b32_e32 v171, s51, v36
	s_or_b32 exec_lo, exec_lo, s40
	s_and_saveexec_b32 s40, s21
	s_cbranch_execnz .LBB1126_232
.LBB1126_263:                           ;   in Loop: Header=BB1126_98 Depth=2
	s_or_b32 exec_lo, exec_lo, s40
	s_and_saveexec_b32 s40, s22
	s_cbranch_execz .LBB1126_233
.LBB1126_264:                           ;   in Loop: Header=BB1126_98 Depth=2
	ds_load_b64 v[36:37], v110 offset:14336
	s_waitcnt lgkmcnt(0)
	v_cmp_ne_u64_e64 s31, s[36:37], v[36:37]
	s_delay_alu instid0(VALU_DEP_1) | instskip(SKIP_1) | instid1(VALU_DEP_1)
	v_cndmask_b32_e64 v37, 0x7fffffff, v37, s31
	v_cndmask_b32_e64 v36, -1, v36, s31
	v_lshrrev_b64 v[36:37], s43, v[36:37]
	s_delay_alu instid0(VALU_DEP_1)
	v_and_b32_e32 v169, s51, v36
	s_or_b32 exec_lo, exec_lo, s40
	s_and_saveexec_b32 s40, s23
	s_cbranch_execnz .LBB1126_234
.LBB1126_265:                           ;   in Loop: Header=BB1126_98 Depth=2
	s_or_b32 exec_lo, exec_lo, s40
	s_and_saveexec_b32 s40, s24
	s_cbranch_execz .LBB1126_235
.LBB1126_266:                           ;   in Loop: Header=BB1126_98 Depth=2
	ds_load_b64 v[36:37], v110 offset:18432
	s_waitcnt lgkmcnt(0)
	v_cmp_ne_u64_e64 s31, s[36:37], v[36:37]
	s_delay_alu instid0(VALU_DEP_1) | instskip(SKIP_1) | instid1(VALU_DEP_1)
	v_cndmask_b32_e64 v37, 0x7fffffff, v37, s31
	v_cndmask_b32_e64 v36, -1, v36, s31
	v_lshrrev_b64 v[36:37], s43, v[36:37]
	s_delay_alu instid0(VALU_DEP_1)
	v_and_b32_e32 v167, s51, v36
	s_or_b32 exec_lo, exec_lo, s40
	s_and_saveexec_b32 s40, s25
	s_cbranch_execnz .LBB1126_236
.LBB1126_267:                           ;   in Loop: Header=BB1126_98 Depth=2
	s_or_b32 exec_lo, exec_lo, s40
	s_and_saveexec_b32 s40, s26
	s_cbranch_execz .LBB1126_237
.LBB1126_268:                           ;   in Loop: Header=BB1126_98 Depth=2
	ds_load_b64 v[36:37], v110 offset:22528
	s_waitcnt lgkmcnt(0)
	v_cmp_ne_u64_e64 s31, s[36:37], v[36:37]
	s_delay_alu instid0(VALU_DEP_1) | instskip(SKIP_1) | instid1(VALU_DEP_1)
	v_cndmask_b32_e64 v37, 0x7fffffff, v37, s31
	v_cndmask_b32_e64 v36, -1, v36, s31
	v_lshrrev_b64 v[36:37], s43, v[36:37]
	s_delay_alu instid0(VALU_DEP_1)
	v_and_b32_e32 v165, s51, v36
	s_or_b32 exec_lo, exec_lo, s40
	s_and_saveexec_b32 s40, s27
	s_cbranch_execnz .LBB1126_238
.LBB1126_269:                           ;   in Loop: Header=BB1126_98 Depth=2
	s_or_b32 exec_lo, exec_lo, s40
	s_and_saveexec_b32 s40, s28
	s_cbranch_execz .LBB1126_239
.LBB1126_270:                           ;   in Loop: Header=BB1126_98 Depth=2
	ds_load_b64 v[36:37], v110 offset:26624
	s_waitcnt lgkmcnt(0)
	v_cmp_ne_u64_e64 s31, s[36:37], v[36:37]
	s_delay_alu instid0(VALU_DEP_1) | instskip(SKIP_1) | instid1(VALU_DEP_1)
	v_cndmask_b32_e64 v37, 0x7fffffff, v37, s31
	v_cndmask_b32_e64 v36, -1, v36, s31
	v_lshrrev_b64 v[36:37], s43, v[36:37]
	s_delay_alu instid0(VALU_DEP_1)
	v_and_b32_e32 v163, s51, v36
	s_or_b32 exec_lo, exec_lo, s40
	s_and_saveexec_b32 s40, s29
	s_cbranch_execnz .LBB1126_240
.LBB1126_271:                           ;   in Loop: Header=BB1126_98 Depth=2
	s_or_b32 exec_lo, exec_lo, s40
	s_and_saveexec_b32 s40, s30
	s_cbranch_execz .LBB1126_273
.LBB1126_272:                           ;   in Loop: Header=BB1126_98 Depth=2
	ds_load_b64 v[36:37], v110 offset:30720
	s_waitcnt lgkmcnt(0)
	v_cmp_ne_u64_e64 s31, s[36:37], v[36:37]
	s_delay_alu instid0(VALU_DEP_1) | instskip(SKIP_1) | instid1(VALU_DEP_1)
	v_cndmask_b32_e64 v37, 0x7fffffff, v37, s31
	v_cndmask_b32_e64 v36, -1, v36, s31
	v_lshrrev_b64 v[36:37], s43, v[36:37]
	s_delay_alu instid0(VALU_DEP_1)
	v_and_b32_e32 v161, s51, v36
.LBB1126_273:                           ;   in Loop: Header=BB1126_98 Depth=2
	s_or_b32 exec_lo, exec_lo, s40
	v_add_nc_u32_e32 v2, 0x400, v69
	v_add_nc_u32_e32 v36, 0x400, v70
	v_add_nc_u32_e32 v37, 0x400, v71
	v_add_nc_u32_e32 v40, 0x400, v72
	v_add_nc_u32_e32 v41, 0x400, v73
	v_add_nc_u32_e32 v38, 0x400, v38
	v_add_nc_u32_e32 v39, 0x400, v39
	v_add_nc_u32_e32 v42, 0x400, v44
	v_add_nc_u32_e32 v43, 0x400, v45
	v_add_nc_u32_e32 v44, 0x400, v48
	v_add_nc_u32_e32 v45, 0x400, v49
	v_add_nc_u32_e32 v46, 0x400, v54
	v_add_nc_u32_e32 v47, 0x400, v55
	v_add_nc_u32_e32 v48, 0x400, v56
	v_add_nc_u32_e32 v49, 0x400, v57
	v_add_nc_u32_e32 v50, 0x400, v52
	s_waitcnt vmcnt(0)
	s_waitcnt_vscnt null, 0x0
	s_barrier
	buffer_gl0_inv
	ds_store_b64 v2, v[34:35]
	ds_store_b64 v36, v[32:33]
	;; [unrolled: 1-line block ×16, first 2 shown]
	s_waitcnt lgkmcnt(0)
	s_barrier
	buffer_gl0_inv
	s_and_saveexec_b32 s31, vcc_lo
	s_cbranch_execz .LBB1126_289
; %bb.274:                              ;   in Loop: Header=BB1126_98 Depth=2
	v_lshlrev_b32_e32 v2, 2, v176
	v_add_nc_u32_e32 v36, v104, v76
	ds_load_b32 v2, v2
	ds_load_b64 v[36:37], v36 offset:1024
	s_waitcnt lgkmcnt(1)
	v_add_nc_u32_e32 v2, v2, v1
	s_delay_alu instid0(VALU_DEP_1) | instskip(NEXT) | instid1(VALU_DEP_1)
	v_lshlrev_b64 v[38:39], 3, v[2:3]
	v_add_co_u32 v38, vcc_lo, s52, v38
	s_delay_alu instid0(VALU_DEP_2)
	v_add_co_ci_u32_e32 v39, vcc_lo, s53, v39, vcc_lo
	s_waitcnt lgkmcnt(0)
	global_store_b64 v[38:39], v[36:37], off
	s_or_b32 exec_lo, exec_lo, s31
	s_and_saveexec_b32 s31, s16
	s_cbranch_execnz .LBB1126_290
.LBB1126_275:                           ;   in Loop: Header=BB1126_98 Depth=2
	s_or_b32 exec_lo, exec_lo, s31
	s_and_saveexec_b32 s16, s17
	s_cbranch_execz .LBB1126_291
.LBB1126_276:                           ;   in Loop: Header=BB1126_98 Depth=2
	v_lshlrev_b32_e32 v2, 2, v174
	ds_load_b32 v2, v2
	ds_load_b64 v[36:37], v110 offset:4096
	s_waitcnt lgkmcnt(1)
	v_add_nc_u32_e32 v2, v2, v78
	s_delay_alu instid0(VALU_DEP_1) | instskip(NEXT) | instid1(VALU_DEP_1)
	v_lshlrev_b64 v[38:39], 3, v[2:3]
	v_add_co_u32 v38, vcc_lo, s52, v38
	s_delay_alu instid0(VALU_DEP_2)
	v_add_co_ci_u32_e32 v39, vcc_lo, s53, v39, vcc_lo
	s_waitcnt lgkmcnt(0)
	global_store_b64 v[38:39], v[36:37], off
	s_or_b32 exec_lo, exec_lo, s16
	s_and_saveexec_b32 s16, s18
	s_cbranch_execnz .LBB1126_292
.LBB1126_277:                           ;   in Loop: Header=BB1126_98 Depth=2
	s_or_b32 exec_lo, exec_lo, s16
	s_and_saveexec_b32 s16, s19
	s_cbranch_execz .LBB1126_293
.LBB1126_278:                           ;   in Loop: Header=BB1126_98 Depth=2
	v_lshlrev_b32_e32 v2, 2, v172
	ds_load_b32 v2, v2
	ds_load_b64 v[36:37], v110 offset:8192
	s_waitcnt lgkmcnt(1)
	v_add_nc_u32_e32 v2, v2, v83
	s_delay_alu instid0(VALU_DEP_1) | instskip(NEXT) | instid1(VALU_DEP_1)
	v_lshlrev_b64 v[38:39], 3, v[2:3]
	v_add_co_u32 v38, vcc_lo, s52, v38
	s_delay_alu instid0(VALU_DEP_2)
	v_add_co_ci_u32_e32 v39, vcc_lo, s53, v39, vcc_lo
	s_waitcnt lgkmcnt(0)
	global_store_b64 v[38:39], v[36:37], off
	s_or_b32 exec_lo, exec_lo, s16
	s_and_saveexec_b32 s16, s20
	s_cbranch_execnz .LBB1126_294
.LBB1126_279:                           ;   in Loop: Header=BB1126_98 Depth=2
	s_or_b32 exec_lo, exec_lo, s16
	s_and_saveexec_b32 s16, s21
	s_cbranch_execz .LBB1126_295
.LBB1126_280:                           ;   in Loop: Header=BB1126_98 Depth=2
	v_lshlrev_b32_e32 v2, 2, v170
	ds_load_b32 v2, v2
	ds_load_b64 v[36:37], v110 offset:12288
	s_waitcnt lgkmcnt(1)
	v_add_nc_u32_e32 v2, v2, v85
	s_delay_alu instid0(VALU_DEP_1) | instskip(NEXT) | instid1(VALU_DEP_1)
	v_lshlrev_b64 v[38:39], 3, v[2:3]
	v_add_co_u32 v38, vcc_lo, s52, v38
	s_delay_alu instid0(VALU_DEP_2)
	v_add_co_ci_u32_e32 v39, vcc_lo, s53, v39, vcc_lo
	s_waitcnt lgkmcnt(0)
	global_store_b64 v[38:39], v[36:37], off
	s_or_b32 exec_lo, exec_lo, s16
	s_and_saveexec_b32 s16, s22
	s_cbranch_execnz .LBB1126_296
.LBB1126_281:                           ;   in Loop: Header=BB1126_98 Depth=2
	s_or_b32 exec_lo, exec_lo, s16
	s_and_saveexec_b32 s16, s23
	s_cbranch_execz .LBB1126_297
.LBB1126_282:                           ;   in Loop: Header=BB1126_98 Depth=2
	v_lshlrev_b32_e32 v2, 2, v168
	ds_load_b32 v2, v2
	ds_load_b64 v[36:37], v110 offset:16384
	s_waitcnt lgkmcnt(1)
	v_add_nc_u32_e32 v2, v2, v87
	s_delay_alu instid0(VALU_DEP_1) | instskip(NEXT) | instid1(VALU_DEP_1)
	v_lshlrev_b64 v[38:39], 3, v[2:3]
	v_add_co_u32 v38, vcc_lo, s52, v38
	s_delay_alu instid0(VALU_DEP_2)
	v_add_co_ci_u32_e32 v39, vcc_lo, s53, v39, vcc_lo
	s_waitcnt lgkmcnt(0)
	global_store_b64 v[38:39], v[36:37], off
	s_or_b32 exec_lo, exec_lo, s16
	s_and_saveexec_b32 s16, s24
	s_cbranch_execnz .LBB1126_298
.LBB1126_283:                           ;   in Loop: Header=BB1126_98 Depth=2
	s_or_b32 exec_lo, exec_lo, s16
	s_and_saveexec_b32 s16, s25
	s_cbranch_execz .LBB1126_299
.LBB1126_284:                           ;   in Loop: Header=BB1126_98 Depth=2
	v_lshlrev_b32_e32 v2, 2, v166
	ds_load_b32 v2, v2
	ds_load_b64 v[36:37], v110 offset:20480
	s_waitcnt lgkmcnt(1)
	v_add_nc_u32_e32 v2, v2, v89
	s_delay_alu instid0(VALU_DEP_1) | instskip(NEXT) | instid1(VALU_DEP_1)
	v_lshlrev_b64 v[38:39], 3, v[2:3]
	v_add_co_u32 v38, vcc_lo, s52, v38
	s_delay_alu instid0(VALU_DEP_2)
	v_add_co_ci_u32_e32 v39, vcc_lo, s53, v39, vcc_lo
	s_waitcnt lgkmcnt(0)
	global_store_b64 v[38:39], v[36:37], off
	s_or_b32 exec_lo, exec_lo, s16
	s_and_saveexec_b32 s16, s26
	s_cbranch_execnz .LBB1126_300
.LBB1126_285:                           ;   in Loop: Header=BB1126_98 Depth=2
	s_or_b32 exec_lo, exec_lo, s16
	s_and_saveexec_b32 s16, s27
	s_cbranch_execz .LBB1126_301
.LBB1126_286:                           ;   in Loop: Header=BB1126_98 Depth=2
	v_lshlrev_b32_e32 v2, 2, v164
	ds_load_b32 v2, v2
	ds_load_b64 v[36:37], v110 offset:24576
	s_waitcnt lgkmcnt(1)
	v_add_nc_u32_e32 v2, v2, v91
	s_delay_alu instid0(VALU_DEP_1) | instskip(NEXT) | instid1(VALU_DEP_1)
	v_lshlrev_b64 v[38:39], 3, v[2:3]
	v_add_co_u32 v38, vcc_lo, s52, v38
	s_delay_alu instid0(VALU_DEP_2)
	v_add_co_ci_u32_e32 v39, vcc_lo, s53, v39, vcc_lo
	s_waitcnt lgkmcnt(0)
	global_store_b64 v[38:39], v[36:37], off
	s_or_b32 exec_lo, exec_lo, s16
	s_and_saveexec_b32 s16, s28
	s_cbranch_execnz .LBB1126_302
.LBB1126_287:                           ;   in Loop: Header=BB1126_98 Depth=2
	s_or_b32 exec_lo, exec_lo, s16
	s_and_saveexec_b32 s16, s29
	s_cbranch_execz .LBB1126_303
.LBB1126_288:                           ;   in Loop: Header=BB1126_98 Depth=2
	v_lshlrev_b32_e32 v2, 2, v162
	ds_load_b32 v2, v2
	ds_load_b64 v[36:37], v110 offset:28672
	s_waitcnt lgkmcnt(1)
	v_add_nc_u32_e32 v2, v2, v93
	s_delay_alu instid0(VALU_DEP_1) | instskip(NEXT) | instid1(VALU_DEP_1)
	v_lshlrev_b64 v[38:39], 3, v[2:3]
	v_add_co_u32 v38, vcc_lo, s52, v38
	s_delay_alu instid0(VALU_DEP_2)
	v_add_co_ci_u32_e32 v39, vcc_lo, s53, v39, vcc_lo
	s_waitcnt lgkmcnt(0)
	global_store_b64 v[38:39], v[36:37], off
	s_or_b32 exec_lo, exec_lo, s16
	s_and_saveexec_b32 s16, s30
	s_cbranch_execnz .LBB1126_304
	s_branch .LBB1126_305
.LBB1126_289:                           ;   in Loop: Header=BB1126_98 Depth=2
	s_or_b32 exec_lo, exec_lo, s31
	s_and_saveexec_b32 s31, s16
	s_cbranch_execz .LBB1126_275
.LBB1126_290:                           ;   in Loop: Header=BB1126_98 Depth=2
	v_lshlrev_b32_e32 v2, 2, v175
	ds_load_b32 v2, v2
	ds_load_b64 v[36:37], v110 offset:2048
	s_waitcnt lgkmcnt(1)
	v_add_nc_u32_e32 v2, v2, v77
	s_delay_alu instid0(VALU_DEP_1) | instskip(NEXT) | instid1(VALU_DEP_1)
	v_lshlrev_b64 v[38:39], 3, v[2:3]
	v_add_co_u32 v38, vcc_lo, s52, v38
	s_delay_alu instid0(VALU_DEP_2)
	v_add_co_ci_u32_e32 v39, vcc_lo, s53, v39, vcc_lo
	s_waitcnt lgkmcnt(0)
	global_store_b64 v[38:39], v[36:37], off
	s_or_b32 exec_lo, exec_lo, s31
	s_and_saveexec_b32 s16, s17
	s_cbranch_execnz .LBB1126_276
.LBB1126_291:                           ;   in Loop: Header=BB1126_98 Depth=2
	s_or_b32 exec_lo, exec_lo, s16
	s_and_saveexec_b32 s16, s18
	s_cbranch_execz .LBB1126_277
.LBB1126_292:                           ;   in Loop: Header=BB1126_98 Depth=2
	v_lshlrev_b32_e32 v2, 2, v173
	ds_load_b32 v2, v2
	ds_load_b64 v[36:37], v110 offset:6144
	s_waitcnt lgkmcnt(1)
	v_add_nc_u32_e32 v2, v2, v79
	s_delay_alu instid0(VALU_DEP_1) | instskip(NEXT) | instid1(VALU_DEP_1)
	v_lshlrev_b64 v[38:39], 3, v[2:3]
	v_add_co_u32 v38, vcc_lo, s52, v38
	s_delay_alu instid0(VALU_DEP_2)
	v_add_co_ci_u32_e32 v39, vcc_lo, s53, v39, vcc_lo
	s_waitcnt lgkmcnt(0)
	global_store_b64 v[38:39], v[36:37], off
	s_or_b32 exec_lo, exec_lo, s16
	s_and_saveexec_b32 s16, s19
	s_cbranch_execnz .LBB1126_278
.LBB1126_293:                           ;   in Loop: Header=BB1126_98 Depth=2
	s_or_b32 exec_lo, exec_lo, s16
	s_and_saveexec_b32 s16, s20
	s_cbranch_execz .LBB1126_279
.LBB1126_294:                           ;   in Loop: Header=BB1126_98 Depth=2
	v_lshlrev_b32_e32 v2, 2, v171
	ds_load_b32 v2, v2
	ds_load_b64 v[36:37], v110 offset:10240
	s_waitcnt lgkmcnt(1)
	v_add_nc_u32_e32 v2, v2, v84
	s_delay_alu instid0(VALU_DEP_1) | instskip(NEXT) | instid1(VALU_DEP_1)
	v_lshlrev_b64 v[38:39], 3, v[2:3]
	v_add_co_u32 v38, vcc_lo, s52, v38
	s_delay_alu instid0(VALU_DEP_2)
	v_add_co_ci_u32_e32 v39, vcc_lo, s53, v39, vcc_lo
	s_waitcnt lgkmcnt(0)
	global_store_b64 v[38:39], v[36:37], off
	s_or_b32 exec_lo, exec_lo, s16
	s_and_saveexec_b32 s16, s21
	s_cbranch_execnz .LBB1126_280
.LBB1126_295:                           ;   in Loop: Header=BB1126_98 Depth=2
	s_or_b32 exec_lo, exec_lo, s16
	s_and_saveexec_b32 s16, s22
	s_cbranch_execz .LBB1126_281
.LBB1126_296:                           ;   in Loop: Header=BB1126_98 Depth=2
	v_lshlrev_b32_e32 v2, 2, v169
	ds_load_b32 v2, v2
	ds_load_b64 v[36:37], v110 offset:14336
	s_waitcnt lgkmcnt(1)
	v_add_nc_u32_e32 v2, v2, v86
	s_delay_alu instid0(VALU_DEP_1) | instskip(NEXT) | instid1(VALU_DEP_1)
	v_lshlrev_b64 v[38:39], 3, v[2:3]
	v_add_co_u32 v38, vcc_lo, s52, v38
	s_delay_alu instid0(VALU_DEP_2)
	v_add_co_ci_u32_e32 v39, vcc_lo, s53, v39, vcc_lo
	s_waitcnt lgkmcnt(0)
	global_store_b64 v[38:39], v[36:37], off
	s_or_b32 exec_lo, exec_lo, s16
	s_and_saveexec_b32 s16, s23
	s_cbranch_execnz .LBB1126_282
.LBB1126_297:                           ;   in Loop: Header=BB1126_98 Depth=2
	s_or_b32 exec_lo, exec_lo, s16
	s_and_saveexec_b32 s16, s24
	s_cbranch_execz .LBB1126_283
.LBB1126_298:                           ;   in Loop: Header=BB1126_98 Depth=2
	v_lshlrev_b32_e32 v2, 2, v167
	ds_load_b32 v2, v2
	ds_load_b64 v[36:37], v110 offset:18432
	s_waitcnt lgkmcnt(1)
	v_add_nc_u32_e32 v2, v2, v88
	s_delay_alu instid0(VALU_DEP_1) | instskip(NEXT) | instid1(VALU_DEP_1)
	v_lshlrev_b64 v[38:39], 3, v[2:3]
	v_add_co_u32 v38, vcc_lo, s52, v38
	s_delay_alu instid0(VALU_DEP_2)
	v_add_co_ci_u32_e32 v39, vcc_lo, s53, v39, vcc_lo
	s_waitcnt lgkmcnt(0)
	global_store_b64 v[38:39], v[36:37], off
	s_or_b32 exec_lo, exec_lo, s16
	s_and_saveexec_b32 s16, s25
	s_cbranch_execnz .LBB1126_284
.LBB1126_299:                           ;   in Loop: Header=BB1126_98 Depth=2
	s_or_b32 exec_lo, exec_lo, s16
	s_and_saveexec_b32 s16, s26
	s_cbranch_execz .LBB1126_285
.LBB1126_300:                           ;   in Loop: Header=BB1126_98 Depth=2
	v_lshlrev_b32_e32 v2, 2, v165
	ds_load_b32 v2, v2
	ds_load_b64 v[36:37], v110 offset:22528
	s_waitcnt lgkmcnt(1)
	v_add_nc_u32_e32 v2, v2, v90
	s_delay_alu instid0(VALU_DEP_1) | instskip(NEXT) | instid1(VALU_DEP_1)
	v_lshlrev_b64 v[38:39], 3, v[2:3]
	v_add_co_u32 v38, vcc_lo, s52, v38
	s_delay_alu instid0(VALU_DEP_2)
	v_add_co_ci_u32_e32 v39, vcc_lo, s53, v39, vcc_lo
	s_waitcnt lgkmcnt(0)
	global_store_b64 v[38:39], v[36:37], off
	s_or_b32 exec_lo, exec_lo, s16
	s_and_saveexec_b32 s16, s27
	s_cbranch_execnz .LBB1126_286
.LBB1126_301:                           ;   in Loop: Header=BB1126_98 Depth=2
	s_or_b32 exec_lo, exec_lo, s16
	s_and_saveexec_b32 s16, s28
	s_cbranch_execz .LBB1126_287
.LBB1126_302:                           ;   in Loop: Header=BB1126_98 Depth=2
	v_lshlrev_b32_e32 v2, 2, v163
	ds_load_b32 v2, v2
	ds_load_b64 v[36:37], v110 offset:26624
	s_waitcnt lgkmcnt(1)
	v_add_nc_u32_e32 v2, v2, v92
	s_delay_alu instid0(VALU_DEP_1) | instskip(NEXT) | instid1(VALU_DEP_1)
	v_lshlrev_b64 v[38:39], 3, v[2:3]
	v_add_co_u32 v38, vcc_lo, s52, v38
	s_delay_alu instid0(VALU_DEP_2)
	v_add_co_ci_u32_e32 v39, vcc_lo, s53, v39, vcc_lo
	s_waitcnt lgkmcnt(0)
	global_store_b64 v[38:39], v[36:37], off
	s_or_b32 exec_lo, exec_lo, s16
	s_and_saveexec_b32 s16, s29
	s_cbranch_execnz .LBB1126_288
.LBB1126_303:                           ;   in Loop: Header=BB1126_98 Depth=2
	s_or_b32 exec_lo, exec_lo, s16
	s_and_saveexec_b32 s16, s30
	s_cbranch_execz .LBB1126_305
.LBB1126_304:                           ;   in Loop: Header=BB1126_98 Depth=2
	v_lshlrev_b32_e32 v2, 2, v161
	ds_load_b32 v2, v2
	ds_load_b64 v[36:37], v110 offset:30720
	s_waitcnt lgkmcnt(1)
	v_add_nc_u32_e32 v2, v2, v95
	s_delay_alu instid0(VALU_DEP_1) | instskip(NEXT) | instid1(VALU_DEP_1)
	v_lshlrev_b64 v[38:39], 3, v[2:3]
	v_add_co_u32 v38, vcc_lo, s52, v38
	s_delay_alu instid0(VALU_DEP_2)
	v_add_co_ci_u32_e32 v39, vcc_lo, s53, v39, vcc_lo
	s_waitcnt lgkmcnt(0)
	global_store_b64 v[38:39], v[36:37], off
.LBB1126_305:                           ;   in Loop: Header=BB1126_98 Depth=2
	s_or_b32 exec_lo, exec_lo, s16
	s_waitcnt_vscnt null, 0x0
	s_barrier
	buffer_gl0_inv
	s_and_saveexec_b32 s16, s2
	s_cbranch_execz .LBB1126_97
; %bb.306:                              ;   in Loop: Header=BB1126_98 Depth=2
	ds_load_b32 v2, v76
	s_waitcnt lgkmcnt(0)
	v_add_nc_u32_e32 v2, v2, v68
	ds_store_b32 v76, v2
	s_branch .LBB1126_97
.LBB1126_307:                           ;   in Loop: Header=BB1126_12 Depth=1
	s_waitcnt lgkmcnt(0)
	s_mov_b32 s1, 0
	s_barrier
.LBB1126_308:                           ;   in Loop: Header=BB1126_12 Depth=1
	s_and_b32 vcc_lo, exec_lo, s1
	s_cbranch_vccz .LBB1126_603
; %bb.309:                              ;   in Loop: Header=BB1126_12 Depth=1
	s_mov_b32 s1, s62
	s_mov_b32 s8, s33
	s_barrier
	buffer_gl0_inv
                                        ; implicit-def: $vgpr34_vgpr35
                                        ; implicit-def: $vgpr4_vgpr5
                                        ; implicit-def: $vgpr6_vgpr7
                                        ; implicit-def: $vgpr8_vgpr9
                                        ; implicit-def: $vgpr10_vgpr11
                                        ; implicit-def: $vgpr12_vgpr13
                                        ; implicit-def: $vgpr14_vgpr15
                                        ; implicit-def: $vgpr16_vgpr17
                                        ; implicit-def: $vgpr18_vgpr19
                                        ; implicit-def: $vgpr20_vgpr21
                                        ; implicit-def: $vgpr22_vgpr23
                                        ; implicit-def: $vgpr24_vgpr25
                                        ; implicit-def: $vgpr26_vgpr27
                                        ; implicit-def: $vgpr28_vgpr29
                                        ; implicit-def: $vgpr30_vgpr31
                                        ; implicit-def: $vgpr32_vgpr33
	s_branch .LBB1126_311
.LBB1126_310:                           ;   in Loop: Header=BB1126_311 Depth=2
	s_or_b32 exec_lo, exec_lo, s8
	s_addk_i32 s1, 0xf000
	s_cmp_ge_u32 s7, s35
	s_mov_b32 s8, s7
	s_cbranch_scc1 .LBB1126_381
.LBB1126_311:                           ;   Parent Loop BB1126_12 Depth=1
                                        ; =>  This Inner Loop Header: Depth=2
	s_add_i32 s7, s8, 0x1000
	s_delay_alu instid0(SALU_CYCLE_1)
	s_cmp_gt_u32 s7, s35
	s_cbranch_scc1 .LBB1126_314
; %bb.312:                              ;   in Loop: Header=BB1126_311 Depth=2
	s_mov_b32 s9, 0
	s_movk_i32 s13, 0x1000
	s_lshl_b64 s[10:11], s[8:9], 3
	s_mov_b32 s12, -1
	v_add_co_u32 v36, vcc_lo, v111, s10
	v_add_co_ci_u32_e32 v37, vcc_lo, s11, v112, vcc_lo
	s_waitcnt vmcnt(12)
	s_delay_alu instid0(VALU_DEP_2) | instskip(NEXT) | instid1(VALU_DEP_2)
	v_add_co_u32 v42, vcc_lo, 0x1000, v36
	v_add_co_ci_u32_e32 v43, vcc_lo, 0, v37, vcc_lo
	s_waitcnt vmcnt(11)
	v_add_co_u32 v44, vcc_lo, 0x2000, v36
	v_add_co_ci_u32_e32 v45, vcc_lo, 0, v37, vcc_lo
	s_waitcnt vmcnt(1)
	v_add_co_u32 v50, vcc_lo, v36, 0x2000
	v_add_co_ci_u32_e32 v51, vcc_lo, 0, v37, vcc_lo
	v_add_co_u32 v52, vcc_lo, v36, 0x4000
	v_add_co_ci_u32_e32 v53, vcc_lo, 0, v37, vcc_lo
	;; [unrolled: 2-line block ×7, first 2 shown]
	s_waitcnt vmcnt(0)
	v_add_co_u32 v66, vcc_lo, 0x7000, v36
	v_add_co_ci_u32_e32 v67, vcc_lo, 0, v37, vcc_lo
	s_clause 0xe
	global_load_b64 v[38:39], v[36:37], off
	global_load_b64 v[40:41], v[36:37], off offset:2048
	global_load_b64 v[42:43], v[42:43], off offset:2048
	;; [unrolled: 1-line block ×3, first 2 shown]
	global_load_b64 v[46:47], v[50:51], off
	global_load_b64 v[48:49], v[52:53], off offset:-4096
	global_load_b64 v[52:53], v[52:53], off
	global_load_b64 v[56:57], v[60:61], off offset:-4096
	global_load_b64 v[60:61], v[60:61], off
	global_load_b64 v[54:55], v[54:55], off offset:2048
	global_load_b64 v[58:59], v[58:59], off offset:2048
	;; [unrolled: 1-line block ×4, first 2 shown]
	global_load_b64 v[50:51], v[50:51], off offset:-4096
	global_load_b64 v[66:67], v[66:67], off
	v_add_co_u32 v36, vcc_lo, 0x7800, v36
	v_add_co_ci_u32_e32 v37, vcc_lo, 0, v37, vcc_lo
	s_cbranch_execz .LBB1126_315
; %bb.313:                              ;   in Loop: Header=BB1126_311 Depth=2
                                        ; implicit-def: $vgpr32_vgpr33
                                        ; implicit-def: $vgpr30_vgpr31
                                        ; implicit-def: $vgpr28_vgpr29
                                        ; implicit-def: $vgpr26_vgpr27
                                        ; implicit-def: $vgpr24_vgpr25
                                        ; implicit-def: $vgpr22_vgpr23
                                        ; implicit-def: $vgpr20_vgpr21
                                        ; implicit-def: $vgpr18_vgpr19
                                        ; implicit-def: $vgpr16_vgpr17
                                        ; implicit-def: $vgpr14_vgpr15
                                        ; implicit-def: $vgpr12_vgpr13
                                        ; implicit-def: $vgpr10_vgpr11
                                        ; implicit-def: $vgpr8_vgpr9
                                        ; implicit-def: $vgpr6_vgpr7
                                        ; implicit-def: $vgpr4_vgpr5
                                        ; implicit-def: $vgpr34_vgpr35
	v_mov_b32_e32 v2, s1
	s_and_saveexec_b32 s8, s12
	s_cbranch_execnz .LBB1126_334
	s_branch .LBB1126_335
.LBB1126_314:                           ;   in Loop: Header=BB1126_311 Depth=2
	s_mov_b32 s12, 0
                                        ; implicit-def: $sgpr13
                                        ; implicit-def: $vgpr38_vgpr39
                                        ; implicit-def: $vgpr40_vgpr41
                                        ; implicit-def: $vgpr50_vgpr51
                                        ; implicit-def: $vgpr42_vgpr43
                                        ; implicit-def: $vgpr46_vgpr47
                                        ; implicit-def: $vgpr44_vgpr45
                                        ; implicit-def: $vgpr48_vgpr49
                                        ; implicit-def: $vgpr54_vgpr55
                                        ; implicit-def: $vgpr52_vgpr53
                                        ; implicit-def: $vgpr58_vgpr59
                                        ; implicit-def: $vgpr56_vgpr57
                                        ; implicit-def: $vgpr62_vgpr63
                                        ; implicit-def: $vgpr60_vgpr61
                                        ; implicit-def: $vgpr64_vgpr65
                                        ; implicit-def: $vgpr66_vgpr67
                                        ; implicit-def: $vgpr36_vgpr37
.LBB1126_315:                           ;   in Loop: Header=BB1126_311 Depth=2
	s_mov_b32 s9, s36
	s_delay_alu instid0(SALU_CYCLE_1)
	s_lshl_b64 s[10:11], s[8:9], 3
	s_mov_b32 s9, exec_lo
	s_add_u32 s10, s46, s10
	s_addc_u32 s11, s47, s11
	v_cmpx_gt_u32_e64 s1, v1
	s_cbranch_execz .LBB1126_367
; %bb.316:                              ;   in Loop: Header=BB1126_311 Depth=2
	global_load_b64 v[32:33], v124, s[10:11]
	s_or_b32 exec_lo, exec_lo, s9
	s_delay_alu instid0(SALU_CYCLE_1)
	s_mov_b32 s9, exec_lo
	v_cmpx_gt_u32_e64 s1, v77
	s_cbranch_execnz .LBB1126_368
.LBB1126_317:                           ;   in Loop: Header=BB1126_311 Depth=2
	s_or_b32 exec_lo, exec_lo, s9
	s_delay_alu instid0(SALU_CYCLE_1)
	s_mov_b32 s9, exec_lo
	v_cmpx_gt_u32_e64 s1, v78
	s_cbranch_execz .LBB1126_369
.LBB1126_318:                           ;   in Loop: Header=BB1126_311 Depth=2
	global_load_b64 v[28:29], v125, s[10:11]
	s_or_b32 exec_lo, exec_lo, s9
	s_delay_alu instid0(SALU_CYCLE_1)
	s_mov_b32 s9, exec_lo
	v_cmpx_gt_u32_e64 s1, v79
	s_cbranch_execnz .LBB1126_370
.LBB1126_319:                           ;   in Loop: Header=BB1126_311 Depth=2
	s_or_b32 exec_lo, exec_lo, s9
	s_delay_alu instid0(SALU_CYCLE_1)
	s_mov_b32 s9, exec_lo
	v_cmpx_gt_u32_e64 s1, v83
	s_cbranch_execz .LBB1126_371
.LBB1126_320:                           ;   in Loop: Header=BB1126_311 Depth=2
	global_load_b64 v[24:25], v127, s[10:11]
	s_or_b32 exec_lo, exec_lo, s9
	s_delay_alu instid0(SALU_CYCLE_1)
	s_mov_b32 s9, exec_lo
	v_cmpx_gt_u32_e64 s1, v84
	s_cbranch_execnz .LBB1126_372
.LBB1126_321:                           ;   in Loop: Header=BB1126_311 Depth=2
	s_or_b32 exec_lo, exec_lo, s9
	s_delay_alu instid0(SALU_CYCLE_1)
	s_mov_b32 s9, exec_lo
	v_cmpx_gt_u32_e64 s1, v85
	s_cbranch_execz .LBB1126_373
.LBB1126_322:                           ;   in Loop: Header=BB1126_311 Depth=2
	global_load_b64 v[20:21], v129, s[10:11]
	s_or_b32 exec_lo, exec_lo, s9
	s_delay_alu instid0(SALU_CYCLE_1)
	s_mov_b32 s9, exec_lo
	v_cmpx_gt_u32_e64 s1, v86
	s_cbranch_execnz .LBB1126_374
.LBB1126_323:                           ;   in Loop: Header=BB1126_311 Depth=2
	s_or_b32 exec_lo, exec_lo, s9
	s_delay_alu instid0(SALU_CYCLE_1)
	s_mov_b32 s9, exec_lo
	v_cmpx_gt_u32_e64 s1, v87
	s_cbranch_execz .LBB1126_375
.LBB1126_324:                           ;   in Loop: Header=BB1126_311 Depth=2
	global_load_b64 v[16:17], v131, s[10:11]
	s_or_b32 exec_lo, exec_lo, s9
	s_delay_alu instid0(SALU_CYCLE_1)
	s_mov_b32 s9, exec_lo
	v_cmpx_gt_u32_e64 s1, v88
	s_cbranch_execnz .LBB1126_376
.LBB1126_325:                           ;   in Loop: Header=BB1126_311 Depth=2
	s_or_b32 exec_lo, exec_lo, s9
	s_delay_alu instid0(SALU_CYCLE_1)
	s_mov_b32 s9, exec_lo
	v_cmpx_gt_u32_e64 s1, v89
	s_cbranch_execz .LBB1126_377
.LBB1126_326:                           ;   in Loop: Header=BB1126_311 Depth=2
	global_load_b64 v[12:13], v133, s[10:11]
	s_or_b32 exec_lo, exec_lo, s9
	s_delay_alu instid0(SALU_CYCLE_1)
	s_mov_b32 s9, exec_lo
	v_cmpx_gt_u32_e64 s1, v90
	s_cbranch_execnz .LBB1126_378
.LBB1126_327:                           ;   in Loop: Header=BB1126_311 Depth=2
	s_or_b32 exec_lo, exec_lo, s9
	s_delay_alu instid0(SALU_CYCLE_1)
	s_mov_b32 s9, exec_lo
	v_cmpx_gt_u32_e64 s1, v91
	s_cbranch_execz .LBB1126_379
.LBB1126_328:                           ;   in Loop: Header=BB1126_311 Depth=2
	global_load_b64 v[8:9], v135, s[10:11]
	s_or_b32 exec_lo, exec_lo, s9
	s_delay_alu instid0(SALU_CYCLE_1)
	s_mov_b32 s9, exec_lo
	v_cmpx_gt_u32_e64 s1, v92
	s_cbranch_execnz .LBB1126_380
.LBB1126_329:                           ;   in Loop: Header=BB1126_311 Depth=2
	s_or_b32 exec_lo, exec_lo, s9
	s_delay_alu instid0(SALU_CYCLE_1)
	s_mov_b32 s9, exec_lo
	v_cmpx_gt_u32_e64 s1, v93
	s_cbranch_execz .LBB1126_331
.LBB1126_330:                           ;   in Loop: Header=BB1126_311 Depth=2
	v_lshlrev_b32_e32 v2, 3, v93
	global_load_b64 v[4:5], v2, s[10:11]
.LBB1126_331:                           ;   in Loop: Header=BB1126_311 Depth=2
	s_or_b32 exec_lo, exec_lo, s9
	s_delay_alu instid0(SALU_CYCLE_1)
	s_mov_b32 s9, exec_lo
                                        ; implicit-def: $sgpr13
                                        ; implicit-def: $vgpr36_vgpr37
	v_cmpx_gt_u32_e64 s1, v95
; %bb.332:                              ;   in Loop: Header=BB1126_311 Depth=2
	v_lshlrev_b32_e32 v2, 3, v95
	s_sub_i32 s13, s35, s8
	s_or_b32 s12, s12, exec_lo
                                        ; implicit-def: $vgpr34_vgpr35
	s_delay_alu instid0(VALU_DEP_1) | instskip(NEXT) | instid1(VALU_DEP_1)
	v_add_co_u32 v36, s10, s10, v2
	v_add_co_ci_u32_e64 v37, null, s11, 0, s10
; %bb.333:                              ;   in Loop: Header=BB1126_311 Depth=2
	s_or_b32 exec_lo, exec_lo, s9
	s_waitcnt vmcnt(0)
	v_dual_mov_b32 v39, v33 :: v_dual_mov_b32 v38, v32
	v_dual_mov_b32 v41, v31 :: v_dual_mov_b32 v40, v30
	;; [unrolled: 1-line block ×15, first 2 shown]
	v_mov_b32_e32 v2, s1
	s_and_saveexec_b32 s8, s12
	s_cbranch_execz .LBB1126_335
.LBB1126_334:                           ;   in Loop: Header=BB1126_311 Depth=2
	global_load_b64 v[34:35], v[36:37], off
	s_waitcnt vmcnt(1)
	v_mov_b32_e32 v4, v66
	v_mov_b32_e32 v6, v64
	;; [unrolled: 1-line block ×14, first 2 shown]
	v_dual_mov_b32 v32, v38 :: v_dual_mov_b32 v33, v39
	v_dual_mov_b32 v2, s13 :: v_dual_mov_b32 v5, v67
	v_mov_b32_e32 v7, v65
	v_mov_b32_e32 v9, v61
	;; [unrolled: 1-line block ×13, first 2 shown]
.LBB1126_335:                           ;   in Loop: Header=BB1126_311 Depth=2
	s_or_b32 exec_lo, exec_lo, s8
	s_delay_alu instid0(SALU_CYCLE_1)
	s_mov_b32 s8, exec_lo
	v_cmpx_lt_u32_e64 v1, v2
	s_cbranch_execz .LBB1126_351
; %bb.336:                              ;   in Loop: Header=BB1126_311 Depth=2
	v_cmp_gt_i64_e32 vcc_lo, 0, v[32:33]
	v_ashrrev_i32_e32 v36, 31, v33
	s_delay_alu instid0(VALU_DEP_1) | instskip(SKIP_1) | instid1(VALU_DEP_2)
	v_not_b32_e32 v36, v36
	v_cndmask_b32_e64 v37, 0x7fffffff, 0, vcc_lo
	v_xor_b32_e32 v36, v36, v32
	s_delay_alu instid0(VALU_DEP_2) | instskip(NEXT) | instid1(VALU_DEP_1)
	v_xor_b32_e32 v37, v37, v33
	v_cmp_ne_u64_e32 vcc_lo, s[36:37], v[36:37]
	v_cndmask_b32_e32 v37, 0x7fffffff, v37, vcc_lo
	v_cndmask_b32_e32 v36, -1, v36, vcc_lo
	s_delay_alu instid0(VALU_DEP_1) | instskip(SKIP_1) | instid1(VALU_DEP_2)
	v_lshrrev_b64 v[36:37], s43, v[36:37]
	v_lshlrev_b32_e32 v37, 2, v80
	v_and_b32_e32 v36, s51, v36
	s_delay_alu instid0(VALU_DEP_1) | instskip(SKIP_2) | instid1(SALU_CYCLE_1)
	v_lshl_or_b32 v36, v36, 4, v37
	ds_add_u32 v36, v123
	s_or_b32 exec_lo, exec_lo, s8
	s_mov_b32 s8, exec_lo
	v_cmpx_lt_u32_e64 v77, v2
	s_cbranch_execnz .LBB1126_352
.LBB1126_337:                           ;   in Loop: Header=BB1126_311 Depth=2
	s_or_b32 exec_lo, exec_lo, s8
	s_delay_alu instid0(SALU_CYCLE_1)
	s_mov_b32 s8, exec_lo
	v_cmpx_lt_u32_e64 v78, v2
	s_cbranch_execz .LBB1126_353
.LBB1126_338:                           ;   in Loop: Header=BB1126_311 Depth=2
	v_cmp_gt_i64_e32 vcc_lo, 0, v[28:29]
	v_ashrrev_i32_e32 v36, 31, v29
	s_delay_alu instid0(VALU_DEP_1) | instskip(SKIP_1) | instid1(VALU_DEP_2)
	v_not_b32_e32 v36, v36
	v_cndmask_b32_e64 v37, 0x7fffffff, 0, vcc_lo
	v_xor_b32_e32 v36, v36, v28
	s_delay_alu instid0(VALU_DEP_2) | instskip(NEXT) | instid1(VALU_DEP_1)
	v_xor_b32_e32 v37, v37, v29
	v_cmp_ne_u64_e32 vcc_lo, s[36:37], v[36:37]
	v_cndmask_b32_e32 v37, 0x7fffffff, v37, vcc_lo
	v_cndmask_b32_e32 v36, -1, v36, vcc_lo
	s_delay_alu instid0(VALU_DEP_1) | instskip(SKIP_1) | instid1(VALU_DEP_2)
	v_lshrrev_b64 v[36:37], s43, v[36:37]
	v_lshlrev_b32_e32 v37, 2, v80
	v_and_b32_e32 v36, s51, v36
	s_delay_alu instid0(VALU_DEP_1) | instskip(SKIP_2) | instid1(SALU_CYCLE_1)
	v_lshl_or_b32 v36, v36, 4, v37
	ds_add_u32 v36, v123
	s_or_b32 exec_lo, exec_lo, s8
	s_mov_b32 s8, exec_lo
	v_cmpx_lt_u32_e64 v79, v2
	s_cbranch_execnz .LBB1126_354
.LBB1126_339:                           ;   in Loop: Header=BB1126_311 Depth=2
	s_or_b32 exec_lo, exec_lo, s8
	s_delay_alu instid0(SALU_CYCLE_1)
	s_mov_b32 s8, exec_lo
	v_cmpx_lt_u32_e64 v83, v2
	s_cbranch_execz .LBB1126_355
.LBB1126_340:                           ;   in Loop: Header=BB1126_311 Depth=2
	v_cmp_gt_i64_e32 vcc_lo, 0, v[24:25]
	v_ashrrev_i32_e32 v36, 31, v25
	s_delay_alu instid0(VALU_DEP_1) | instskip(SKIP_1) | instid1(VALU_DEP_2)
	v_not_b32_e32 v36, v36
	v_cndmask_b32_e64 v37, 0x7fffffff, 0, vcc_lo
	v_xor_b32_e32 v36, v36, v24
	s_delay_alu instid0(VALU_DEP_2) | instskip(NEXT) | instid1(VALU_DEP_1)
	v_xor_b32_e32 v37, v37, v25
	v_cmp_ne_u64_e32 vcc_lo, s[36:37], v[36:37]
	v_cndmask_b32_e32 v37, 0x7fffffff, v37, vcc_lo
	v_cndmask_b32_e32 v36, -1, v36, vcc_lo
	s_delay_alu instid0(VALU_DEP_1) | instskip(SKIP_1) | instid1(VALU_DEP_2)
	v_lshrrev_b64 v[36:37], s43, v[36:37]
	v_lshlrev_b32_e32 v37, 2, v80
	v_and_b32_e32 v36, s51, v36
	s_delay_alu instid0(VALU_DEP_1) | instskip(SKIP_2) | instid1(SALU_CYCLE_1)
	v_lshl_or_b32 v36, v36, 4, v37
	ds_add_u32 v36, v123
	s_or_b32 exec_lo, exec_lo, s8
	s_mov_b32 s8, exec_lo
	v_cmpx_lt_u32_e64 v84, v2
	s_cbranch_execnz .LBB1126_356
.LBB1126_341:                           ;   in Loop: Header=BB1126_311 Depth=2
	s_or_b32 exec_lo, exec_lo, s8
	s_delay_alu instid0(SALU_CYCLE_1)
	s_mov_b32 s8, exec_lo
	v_cmpx_lt_u32_e64 v85, v2
	s_cbranch_execz .LBB1126_357
.LBB1126_342:                           ;   in Loop: Header=BB1126_311 Depth=2
	v_cmp_gt_i64_e32 vcc_lo, 0, v[20:21]
	v_ashrrev_i32_e32 v36, 31, v21
	s_delay_alu instid0(VALU_DEP_1) | instskip(SKIP_1) | instid1(VALU_DEP_2)
	v_not_b32_e32 v36, v36
	v_cndmask_b32_e64 v37, 0x7fffffff, 0, vcc_lo
	v_xor_b32_e32 v36, v36, v20
	s_delay_alu instid0(VALU_DEP_2) | instskip(NEXT) | instid1(VALU_DEP_1)
	v_xor_b32_e32 v37, v37, v21
	v_cmp_ne_u64_e32 vcc_lo, s[36:37], v[36:37]
	v_cndmask_b32_e32 v37, 0x7fffffff, v37, vcc_lo
	v_cndmask_b32_e32 v36, -1, v36, vcc_lo
	s_delay_alu instid0(VALU_DEP_1) | instskip(SKIP_1) | instid1(VALU_DEP_2)
	v_lshrrev_b64 v[36:37], s43, v[36:37]
	v_lshlrev_b32_e32 v37, 2, v80
	v_and_b32_e32 v36, s51, v36
	s_delay_alu instid0(VALU_DEP_1) | instskip(SKIP_2) | instid1(SALU_CYCLE_1)
	v_lshl_or_b32 v36, v36, 4, v37
	ds_add_u32 v36, v123
	s_or_b32 exec_lo, exec_lo, s8
	s_mov_b32 s8, exec_lo
	v_cmpx_lt_u32_e64 v86, v2
	s_cbranch_execnz .LBB1126_358
.LBB1126_343:                           ;   in Loop: Header=BB1126_311 Depth=2
	s_or_b32 exec_lo, exec_lo, s8
	s_delay_alu instid0(SALU_CYCLE_1)
	s_mov_b32 s8, exec_lo
	v_cmpx_lt_u32_e64 v87, v2
	s_cbranch_execz .LBB1126_359
.LBB1126_344:                           ;   in Loop: Header=BB1126_311 Depth=2
	v_cmp_gt_i64_e32 vcc_lo, 0, v[16:17]
	v_ashrrev_i32_e32 v36, 31, v17
	s_delay_alu instid0(VALU_DEP_1) | instskip(SKIP_1) | instid1(VALU_DEP_2)
	v_not_b32_e32 v36, v36
	v_cndmask_b32_e64 v37, 0x7fffffff, 0, vcc_lo
	v_xor_b32_e32 v36, v36, v16
	s_delay_alu instid0(VALU_DEP_2) | instskip(NEXT) | instid1(VALU_DEP_1)
	v_xor_b32_e32 v37, v37, v17
	v_cmp_ne_u64_e32 vcc_lo, s[36:37], v[36:37]
	v_cndmask_b32_e32 v37, 0x7fffffff, v37, vcc_lo
	v_cndmask_b32_e32 v36, -1, v36, vcc_lo
	s_delay_alu instid0(VALU_DEP_1) | instskip(SKIP_1) | instid1(VALU_DEP_2)
	v_lshrrev_b64 v[36:37], s43, v[36:37]
	v_lshlrev_b32_e32 v37, 2, v80
	v_and_b32_e32 v36, s51, v36
	s_delay_alu instid0(VALU_DEP_1) | instskip(SKIP_2) | instid1(SALU_CYCLE_1)
	v_lshl_or_b32 v36, v36, 4, v37
	ds_add_u32 v36, v123
	s_or_b32 exec_lo, exec_lo, s8
	s_mov_b32 s8, exec_lo
	v_cmpx_lt_u32_e64 v88, v2
	s_cbranch_execnz .LBB1126_360
.LBB1126_345:                           ;   in Loop: Header=BB1126_311 Depth=2
	s_or_b32 exec_lo, exec_lo, s8
	s_delay_alu instid0(SALU_CYCLE_1)
	s_mov_b32 s8, exec_lo
	v_cmpx_lt_u32_e64 v89, v2
	s_cbranch_execz .LBB1126_361
.LBB1126_346:                           ;   in Loop: Header=BB1126_311 Depth=2
	v_cmp_gt_i64_e32 vcc_lo, 0, v[12:13]
	v_ashrrev_i32_e32 v36, 31, v13
	s_delay_alu instid0(VALU_DEP_1) | instskip(SKIP_1) | instid1(VALU_DEP_2)
	v_not_b32_e32 v36, v36
	v_cndmask_b32_e64 v37, 0x7fffffff, 0, vcc_lo
	v_xor_b32_e32 v36, v36, v12
	s_delay_alu instid0(VALU_DEP_2) | instskip(NEXT) | instid1(VALU_DEP_1)
	v_xor_b32_e32 v37, v37, v13
	v_cmp_ne_u64_e32 vcc_lo, s[36:37], v[36:37]
	v_cndmask_b32_e32 v37, 0x7fffffff, v37, vcc_lo
	v_cndmask_b32_e32 v36, -1, v36, vcc_lo
	s_delay_alu instid0(VALU_DEP_1) | instskip(SKIP_1) | instid1(VALU_DEP_2)
	v_lshrrev_b64 v[36:37], s43, v[36:37]
	v_lshlrev_b32_e32 v37, 2, v80
	v_and_b32_e32 v36, s51, v36
	s_delay_alu instid0(VALU_DEP_1) | instskip(SKIP_2) | instid1(SALU_CYCLE_1)
	v_lshl_or_b32 v36, v36, 4, v37
	ds_add_u32 v36, v123
	s_or_b32 exec_lo, exec_lo, s8
	s_mov_b32 s8, exec_lo
	v_cmpx_lt_u32_e64 v90, v2
	s_cbranch_execnz .LBB1126_362
.LBB1126_347:                           ;   in Loop: Header=BB1126_311 Depth=2
	s_or_b32 exec_lo, exec_lo, s8
	s_delay_alu instid0(SALU_CYCLE_1)
	s_mov_b32 s8, exec_lo
	v_cmpx_lt_u32_e64 v91, v2
	s_cbranch_execz .LBB1126_363
.LBB1126_348:                           ;   in Loop: Header=BB1126_311 Depth=2
	v_cmp_gt_i64_e32 vcc_lo, 0, v[8:9]
	v_ashrrev_i32_e32 v36, 31, v9
	s_delay_alu instid0(VALU_DEP_1) | instskip(SKIP_1) | instid1(VALU_DEP_2)
	v_not_b32_e32 v36, v36
	v_cndmask_b32_e64 v37, 0x7fffffff, 0, vcc_lo
	v_xor_b32_e32 v36, v36, v8
	s_delay_alu instid0(VALU_DEP_2) | instskip(NEXT) | instid1(VALU_DEP_1)
	v_xor_b32_e32 v37, v37, v9
	v_cmp_ne_u64_e32 vcc_lo, s[36:37], v[36:37]
	v_cndmask_b32_e32 v37, 0x7fffffff, v37, vcc_lo
	v_cndmask_b32_e32 v36, -1, v36, vcc_lo
	s_delay_alu instid0(VALU_DEP_1) | instskip(SKIP_1) | instid1(VALU_DEP_2)
	v_lshrrev_b64 v[36:37], s43, v[36:37]
	v_lshlrev_b32_e32 v37, 2, v80
	v_and_b32_e32 v36, s51, v36
	s_delay_alu instid0(VALU_DEP_1) | instskip(SKIP_2) | instid1(SALU_CYCLE_1)
	v_lshl_or_b32 v36, v36, 4, v37
	ds_add_u32 v36, v123
	s_or_b32 exec_lo, exec_lo, s8
	s_mov_b32 s8, exec_lo
	v_cmpx_lt_u32_e64 v92, v2
	s_cbranch_execnz .LBB1126_364
.LBB1126_349:                           ;   in Loop: Header=BB1126_311 Depth=2
	s_or_b32 exec_lo, exec_lo, s8
	s_delay_alu instid0(SALU_CYCLE_1)
	s_mov_b32 s8, exec_lo
	v_cmpx_lt_u32_e64 v93, v2
	s_cbranch_execz .LBB1126_365
.LBB1126_350:                           ;   in Loop: Header=BB1126_311 Depth=2
	v_cmp_gt_i64_e32 vcc_lo, 0, v[4:5]
	v_ashrrev_i32_e32 v36, 31, v5
	s_delay_alu instid0(VALU_DEP_1) | instskip(SKIP_1) | instid1(VALU_DEP_2)
	v_not_b32_e32 v36, v36
	v_cndmask_b32_e64 v37, 0x7fffffff, 0, vcc_lo
	v_xor_b32_e32 v36, v36, v4
	s_delay_alu instid0(VALU_DEP_2) | instskip(NEXT) | instid1(VALU_DEP_1)
	v_xor_b32_e32 v37, v37, v5
	v_cmp_ne_u64_e32 vcc_lo, s[36:37], v[36:37]
	v_cndmask_b32_e32 v37, 0x7fffffff, v37, vcc_lo
	v_cndmask_b32_e32 v36, -1, v36, vcc_lo
	s_delay_alu instid0(VALU_DEP_1) | instskip(SKIP_1) | instid1(VALU_DEP_2)
	v_lshrrev_b64 v[36:37], s43, v[36:37]
	v_lshlrev_b32_e32 v37, 2, v80
	v_and_b32_e32 v36, s51, v36
	s_delay_alu instid0(VALU_DEP_1) | instskip(SKIP_2) | instid1(SALU_CYCLE_1)
	v_lshl_or_b32 v36, v36, 4, v37
	ds_add_u32 v36, v123
	s_or_b32 exec_lo, exec_lo, s8
	s_mov_b32 s8, exec_lo
	v_cmpx_lt_u32_e64 v95, v2
	s_cbranch_execz .LBB1126_310
	s_branch .LBB1126_366
.LBB1126_351:                           ;   in Loop: Header=BB1126_311 Depth=2
	s_or_b32 exec_lo, exec_lo, s8
	s_delay_alu instid0(SALU_CYCLE_1)
	s_mov_b32 s8, exec_lo
	v_cmpx_lt_u32_e64 v77, v2
	s_cbranch_execz .LBB1126_337
.LBB1126_352:                           ;   in Loop: Header=BB1126_311 Depth=2
	v_cmp_gt_i64_e32 vcc_lo, 0, v[30:31]
	v_ashrrev_i32_e32 v36, 31, v31
	s_delay_alu instid0(VALU_DEP_1) | instskip(SKIP_1) | instid1(VALU_DEP_2)
	v_not_b32_e32 v36, v36
	v_cndmask_b32_e64 v37, 0x7fffffff, 0, vcc_lo
	v_xor_b32_e32 v36, v36, v30
	s_delay_alu instid0(VALU_DEP_2) | instskip(NEXT) | instid1(VALU_DEP_1)
	v_xor_b32_e32 v37, v37, v31
	v_cmp_ne_u64_e32 vcc_lo, s[36:37], v[36:37]
	v_cndmask_b32_e32 v37, 0x7fffffff, v37, vcc_lo
	v_cndmask_b32_e32 v36, -1, v36, vcc_lo
	s_delay_alu instid0(VALU_DEP_1) | instskip(SKIP_1) | instid1(VALU_DEP_2)
	v_lshrrev_b64 v[36:37], s43, v[36:37]
	v_lshlrev_b32_e32 v37, 2, v80
	v_and_b32_e32 v36, s51, v36
	s_delay_alu instid0(VALU_DEP_1) | instskip(SKIP_2) | instid1(SALU_CYCLE_1)
	v_lshl_or_b32 v36, v36, 4, v37
	ds_add_u32 v36, v123
	s_or_b32 exec_lo, exec_lo, s8
	s_mov_b32 s8, exec_lo
	v_cmpx_lt_u32_e64 v78, v2
	s_cbranch_execnz .LBB1126_338
.LBB1126_353:                           ;   in Loop: Header=BB1126_311 Depth=2
	s_or_b32 exec_lo, exec_lo, s8
	s_delay_alu instid0(SALU_CYCLE_1)
	s_mov_b32 s8, exec_lo
	v_cmpx_lt_u32_e64 v79, v2
	s_cbranch_execz .LBB1126_339
.LBB1126_354:                           ;   in Loop: Header=BB1126_311 Depth=2
	v_cmp_gt_i64_e32 vcc_lo, 0, v[26:27]
	v_ashrrev_i32_e32 v36, 31, v27
	s_delay_alu instid0(VALU_DEP_1) | instskip(SKIP_1) | instid1(VALU_DEP_2)
	v_not_b32_e32 v36, v36
	v_cndmask_b32_e64 v37, 0x7fffffff, 0, vcc_lo
	v_xor_b32_e32 v36, v36, v26
	s_delay_alu instid0(VALU_DEP_2) | instskip(NEXT) | instid1(VALU_DEP_1)
	v_xor_b32_e32 v37, v37, v27
	v_cmp_ne_u64_e32 vcc_lo, s[36:37], v[36:37]
	v_cndmask_b32_e32 v37, 0x7fffffff, v37, vcc_lo
	v_cndmask_b32_e32 v36, -1, v36, vcc_lo
	s_delay_alu instid0(VALU_DEP_1) | instskip(SKIP_1) | instid1(VALU_DEP_2)
	v_lshrrev_b64 v[36:37], s43, v[36:37]
	v_lshlrev_b32_e32 v37, 2, v80
	v_and_b32_e32 v36, s51, v36
	s_delay_alu instid0(VALU_DEP_1) | instskip(SKIP_2) | instid1(SALU_CYCLE_1)
	v_lshl_or_b32 v36, v36, 4, v37
	ds_add_u32 v36, v123
	s_or_b32 exec_lo, exec_lo, s8
	s_mov_b32 s8, exec_lo
	v_cmpx_lt_u32_e64 v83, v2
	s_cbranch_execnz .LBB1126_340
.LBB1126_355:                           ;   in Loop: Header=BB1126_311 Depth=2
	s_or_b32 exec_lo, exec_lo, s8
	s_delay_alu instid0(SALU_CYCLE_1)
	s_mov_b32 s8, exec_lo
	v_cmpx_lt_u32_e64 v84, v2
	s_cbranch_execz .LBB1126_341
.LBB1126_356:                           ;   in Loop: Header=BB1126_311 Depth=2
	v_cmp_gt_i64_e32 vcc_lo, 0, v[22:23]
	v_ashrrev_i32_e32 v36, 31, v23
	s_delay_alu instid0(VALU_DEP_1) | instskip(SKIP_1) | instid1(VALU_DEP_2)
	v_not_b32_e32 v36, v36
	v_cndmask_b32_e64 v37, 0x7fffffff, 0, vcc_lo
	v_xor_b32_e32 v36, v36, v22
	s_delay_alu instid0(VALU_DEP_2) | instskip(NEXT) | instid1(VALU_DEP_1)
	v_xor_b32_e32 v37, v37, v23
	v_cmp_ne_u64_e32 vcc_lo, s[36:37], v[36:37]
	v_cndmask_b32_e32 v37, 0x7fffffff, v37, vcc_lo
	v_cndmask_b32_e32 v36, -1, v36, vcc_lo
	s_delay_alu instid0(VALU_DEP_1) | instskip(SKIP_1) | instid1(VALU_DEP_2)
	v_lshrrev_b64 v[36:37], s43, v[36:37]
	v_lshlrev_b32_e32 v37, 2, v80
	v_and_b32_e32 v36, s51, v36
	s_delay_alu instid0(VALU_DEP_1) | instskip(SKIP_2) | instid1(SALU_CYCLE_1)
	v_lshl_or_b32 v36, v36, 4, v37
	ds_add_u32 v36, v123
	s_or_b32 exec_lo, exec_lo, s8
	s_mov_b32 s8, exec_lo
	v_cmpx_lt_u32_e64 v85, v2
	s_cbranch_execnz .LBB1126_342
.LBB1126_357:                           ;   in Loop: Header=BB1126_311 Depth=2
	s_or_b32 exec_lo, exec_lo, s8
	s_delay_alu instid0(SALU_CYCLE_1)
	s_mov_b32 s8, exec_lo
	v_cmpx_lt_u32_e64 v86, v2
	s_cbranch_execz .LBB1126_343
.LBB1126_358:                           ;   in Loop: Header=BB1126_311 Depth=2
	v_cmp_gt_i64_e32 vcc_lo, 0, v[18:19]
	v_ashrrev_i32_e32 v36, 31, v19
	s_delay_alu instid0(VALU_DEP_1) | instskip(SKIP_1) | instid1(VALU_DEP_2)
	v_not_b32_e32 v36, v36
	v_cndmask_b32_e64 v37, 0x7fffffff, 0, vcc_lo
	v_xor_b32_e32 v36, v36, v18
	s_delay_alu instid0(VALU_DEP_2) | instskip(NEXT) | instid1(VALU_DEP_1)
	v_xor_b32_e32 v37, v37, v19
	v_cmp_ne_u64_e32 vcc_lo, s[36:37], v[36:37]
	v_cndmask_b32_e32 v37, 0x7fffffff, v37, vcc_lo
	v_cndmask_b32_e32 v36, -1, v36, vcc_lo
	s_delay_alu instid0(VALU_DEP_1) | instskip(SKIP_1) | instid1(VALU_DEP_2)
	v_lshrrev_b64 v[36:37], s43, v[36:37]
	v_lshlrev_b32_e32 v37, 2, v80
	v_and_b32_e32 v36, s51, v36
	s_delay_alu instid0(VALU_DEP_1) | instskip(SKIP_2) | instid1(SALU_CYCLE_1)
	v_lshl_or_b32 v36, v36, 4, v37
	ds_add_u32 v36, v123
	s_or_b32 exec_lo, exec_lo, s8
	s_mov_b32 s8, exec_lo
	v_cmpx_lt_u32_e64 v87, v2
	s_cbranch_execnz .LBB1126_344
.LBB1126_359:                           ;   in Loop: Header=BB1126_311 Depth=2
	s_or_b32 exec_lo, exec_lo, s8
	s_delay_alu instid0(SALU_CYCLE_1)
	s_mov_b32 s8, exec_lo
	v_cmpx_lt_u32_e64 v88, v2
	s_cbranch_execz .LBB1126_345
.LBB1126_360:                           ;   in Loop: Header=BB1126_311 Depth=2
	v_cmp_gt_i64_e32 vcc_lo, 0, v[14:15]
	v_ashrrev_i32_e32 v36, 31, v15
	s_delay_alu instid0(VALU_DEP_1) | instskip(SKIP_1) | instid1(VALU_DEP_2)
	v_not_b32_e32 v36, v36
	v_cndmask_b32_e64 v37, 0x7fffffff, 0, vcc_lo
	v_xor_b32_e32 v36, v36, v14
	s_delay_alu instid0(VALU_DEP_2) | instskip(NEXT) | instid1(VALU_DEP_1)
	v_xor_b32_e32 v37, v37, v15
	v_cmp_ne_u64_e32 vcc_lo, s[36:37], v[36:37]
	v_cndmask_b32_e32 v37, 0x7fffffff, v37, vcc_lo
	v_cndmask_b32_e32 v36, -1, v36, vcc_lo
	s_delay_alu instid0(VALU_DEP_1) | instskip(SKIP_1) | instid1(VALU_DEP_2)
	v_lshrrev_b64 v[36:37], s43, v[36:37]
	v_lshlrev_b32_e32 v37, 2, v80
	v_and_b32_e32 v36, s51, v36
	s_delay_alu instid0(VALU_DEP_1) | instskip(SKIP_2) | instid1(SALU_CYCLE_1)
	v_lshl_or_b32 v36, v36, 4, v37
	ds_add_u32 v36, v123
	s_or_b32 exec_lo, exec_lo, s8
	s_mov_b32 s8, exec_lo
	v_cmpx_lt_u32_e64 v89, v2
	s_cbranch_execnz .LBB1126_346
.LBB1126_361:                           ;   in Loop: Header=BB1126_311 Depth=2
	s_or_b32 exec_lo, exec_lo, s8
	s_delay_alu instid0(SALU_CYCLE_1)
	s_mov_b32 s8, exec_lo
	v_cmpx_lt_u32_e64 v90, v2
	s_cbranch_execz .LBB1126_347
.LBB1126_362:                           ;   in Loop: Header=BB1126_311 Depth=2
	v_cmp_gt_i64_e32 vcc_lo, 0, v[10:11]
	v_ashrrev_i32_e32 v36, 31, v11
	s_delay_alu instid0(VALU_DEP_1) | instskip(SKIP_1) | instid1(VALU_DEP_2)
	v_not_b32_e32 v36, v36
	v_cndmask_b32_e64 v37, 0x7fffffff, 0, vcc_lo
	v_xor_b32_e32 v36, v36, v10
	s_delay_alu instid0(VALU_DEP_2) | instskip(NEXT) | instid1(VALU_DEP_1)
	v_xor_b32_e32 v37, v37, v11
	v_cmp_ne_u64_e32 vcc_lo, s[36:37], v[36:37]
	v_cndmask_b32_e32 v37, 0x7fffffff, v37, vcc_lo
	v_cndmask_b32_e32 v36, -1, v36, vcc_lo
	s_delay_alu instid0(VALU_DEP_1) | instskip(SKIP_1) | instid1(VALU_DEP_2)
	v_lshrrev_b64 v[36:37], s43, v[36:37]
	v_lshlrev_b32_e32 v37, 2, v80
	v_and_b32_e32 v36, s51, v36
	s_delay_alu instid0(VALU_DEP_1) | instskip(SKIP_2) | instid1(SALU_CYCLE_1)
	v_lshl_or_b32 v36, v36, 4, v37
	ds_add_u32 v36, v123
	s_or_b32 exec_lo, exec_lo, s8
	s_mov_b32 s8, exec_lo
	v_cmpx_lt_u32_e64 v91, v2
	s_cbranch_execnz .LBB1126_348
.LBB1126_363:                           ;   in Loop: Header=BB1126_311 Depth=2
	s_or_b32 exec_lo, exec_lo, s8
	s_delay_alu instid0(SALU_CYCLE_1)
	s_mov_b32 s8, exec_lo
	v_cmpx_lt_u32_e64 v92, v2
	s_cbranch_execz .LBB1126_349
.LBB1126_364:                           ;   in Loop: Header=BB1126_311 Depth=2
	v_cmp_gt_i64_e32 vcc_lo, 0, v[6:7]
	v_ashrrev_i32_e32 v36, 31, v7
	s_delay_alu instid0(VALU_DEP_1) | instskip(SKIP_1) | instid1(VALU_DEP_2)
	v_not_b32_e32 v36, v36
	v_cndmask_b32_e64 v37, 0x7fffffff, 0, vcc_lo
	v_xor_b32_e32 v36, v36, v6
	s_delay_alu instid0(VALU_DEP_2) | instskip(NEXT) | instid1(VALU_DEP_1)
	v_xor_b32_e32 v37, v37, v7
	v_cmp_ne_u64_e32 vcc_lo, s[36:37], v[36:37]
	v_cndmask_b32_e32 v37, 0x7fffffff, v37, vcc_lo
	v_cndmask_b32_e32 v36, -1, v36, vcc_lo
	s_delay_alu instid0(VALU_DEP_1) | instskip(SKIP_1) | instid1(VALU_DEP_2)
	v_lshrrev_b64 v[36:37], s43, v[36:37]
	v_lshlrev_b32_e32 v37, 2, v80
	v_and_b32_e32 v36, s51, v36
	s_delay_alu instid0(VALU_DEP_1) | instskip(SKIP_2) | instid1(SALU_CYCLE_1)
	v_lshl_or_b32 v36, v36, 4, v37
	ds_add_u32 v36, v123
	s_or_b32 exec_lo, exec_lo, s8
	s_mov_b32 s8, exec_lo
	v_cmpx_lt_u32_e64 v93, v2
	s_cbranch_execnz .LBB1126_350
.LBB1126_365:                           ;   in Loop: Header=BB1126_311 Depth=2
	s_or_b32 exec_lo, exec_lo, s8
	s_delay_alu instid0(SALU_CYCLE_1)
	s_mov_b32 s8, exec_lo
	v_cmpx_lt_u32_e64 v95, v2
	s_cbranch_execz .LBB1126_310
.LBB1126_366:                           ;   in Loop: Header=BB1126_311 Depth=2
	s_waitcnt vmcnt(0)
	v_cmp_gt_i64_e32 vcc_lo, 0, v[34:35]
	v_ashrrev_i32_e32 v2, 31, v35
	s_delay_alu instid0(VALU_DEP_1) | instskip(SKIP_1) | instid1(VALU_DEP_1)
	v_not_b32_e32 v2, v2
	v_cndmask_b32_e64 v36, 0x7fffffff, 0, vcc_lo
	v_xor_b32_e32 v37, v36, v35
	s_delay_alu instid0(VALU_DEP_3) | instskip(NEXT) | instid1(VALU_DEP_1)
	v_xor_b32_e32 v36, v2, v34
	v_cmp_ne_u64_e32 vcc_lo, s[36:37], v[36:37]
	v_cndmask_b32_e32 v37, 0x7fffffff, v37, vcc_lo
	v_cndmask_b32_e32 v36, -1, v36, vcc_lo
	s_delay_alu instid0(VALU_DEP_1) | instskip(NEXT) | instid1(VALU_DEP_1)
	v_lshrrev_b64 v[36:37], s43, v[36:37]
	v_and_b32_e32 v2, s51, v36
	v_lshlrev_b32_e32 v36, 2, v80
	s_delay_alu instid0(VALU_DEP_1)
	v_lshl_or_b32 v2, v2, 4, v36
	ds_add_u32 v2, v123
	s_branch .LBB1126_310
.LBB1126_367:                           ;   in Loop: Header=BB1126_311 Depth=2
	s_or_b32 exec_lo, exec_lo, s9
	s_delay_alu instid0(SALU_CYCLE_1)
	s_mov_b32 s9, exec_lo
	v_cmpx_gt_u32_e64 s1, v77
	s_cbranch_execz .LBB1126_317
.LBB1126_368:                           ;   in Loop: Header=BB1126_311 Depth=2
	global_load_b64 v[30:31], v124, s[10:11] offset:2048
	s_or_b32 exec_lo, exec_lo, s9
	s_delay_alu instid0(SALU_CYCLE_1)
	s_mov_b32 s9, exec_lo
	v_cmpx_gt_u32_e64 s1, v78
	s_cbranch_execnz .LBB1126_318
.LBB1126_369:                           ;   in Loop: Header=BB1126_311 Depth=2
	s_or_b32 exec_lo, exec_lo, s9
	s_delay_alu instid0(SALU_CYCLE_1)
	s_mov_b32 s9, exec_lo
	v_cmpx_gt_u32_e64 s1, v79
	s_cbranch_execz .LBB1126_319
.LBB1126_370:                           ;   in Loop: Header=BB1126_311 Depth=2
	global_load_b64 v[26:27], v126, s[10:11]
	s_or_b32 exec_lo, exec_lo, s9
	s_delay_alu instid0(SALU_CYCLE_1)
	s_mov_b32 s9, exec_lo
	v_cmpx_gt_u32_e64 s1, v83
	s_cbranch_execnz .LBB1126_320
.LBB1126_371:                           ;   in Loop: Header=BB1126_311 Depth=2
	s_or_b32 exec_lo, exec_lo, s9
	s_delay_alu instid0(SALU_CYCLE_1)
	s_mov_b32 s9, exec_lo
	v_cmpx_gt_u32_e64 s1, v84
	s_cbranch_execz .LBB1126_321
.LBB1126_372:                           ;   in Loop: Header=BB1126_311 Depth=2
	global_load_b64 v[22:23], v128, s[10:11]
	s_or_b32 exec_lo, exec_lo, s9
	s_delay_alu instid0(SALU_CYCLE_1)
	s_mov_b32 s9, exec_lo
	v_cmpx_gt_u32_e64 s1, v85
	s_cbranch_execnz .LBB1126_322
.LBB1126_373:                           ;   in Loop: Header=BB1126_311 Depth=2
	s_or_b32 exec_lo, exec_lo, s9
	s_delay_alu instid0(SALU_CYCLE_1)
	s_mov_b32 s9, exec_lo
	v_cmpx_gt_u32_e64 s1, v86
	s_cbranch_execz .LBB1126_323
.LBB1126_374:                           ;   in Loop: Header=BB1126_311 Depth=2
	global_load_b64 v[18:19], v130, s[10:11]
	s_or_b32 exec_lo, exec_lo, s9
	s_delay_alu instid0(SALU_CYCLE_1)
	s_mov_b32 s9, exec_lo
	v_cmpx_gt_u32_e64 s1, v87
	s_cbranch_execnz .LBB1126_324
.LBB1126_375:                           ;   in Loop: Header=BB1126_311 Depth=2
	s_or_b32 exec_lo, exec_lo, s9
	s_delay_alu instid0(SALU_CYCLE_1)
	s_mov_b32 s9, exec_lo
	v_cmpx_gt_u32_e64 s1, v88
	s_cbranch_execz .LBB1126_325
.LBB1126_376:                           ;   in Loop: Header=BB1126_311 Depth=2
	global_load_b64 v[14:15], v132, s[10:11]
	s_or_b32 exec_lo, exec_lo, s9
	s_delay_alu instid0(SALU_CYCLE_1)
	s_mov_b32 s9, exec_lo
	v_cmpx_gt_u32_e64 s1, v89
	s_cbranch_execnz .LBB1126_326
.LBB1126_377:                           ;   in Loop: Header=BB1126_311 Depth=2
	s_or_b32 exec_lo, exec_lo, s9
	s_delay_alu instid0(SALU_CYCLE_1)
	s_mov_b32 s9, exec_lo
	v_cmpx_gt_u32_e64 s1, v90
	s_cbranch_execz .LBB1126_327
.LBB1126_378:                           ;   in Loop: Header=BB1126_311 Depth=2
	global_load_b64 v[10:11], v134, s[10:11]
	s_or_b32 exec_lo, exec_lo, s9
	s_delay_alu instid0(SALU_CYCLE_1)
	s_mov_b32 s9, exec_lo
	v_cmpx_gt_u32_e64 s1, v91
	s_cbranch_execnz .LBB1126_328
.LBB1126_379:                           ;   in Loop: Header=BB1126_311 Depth=2
	s_or_b32 exec_lo, exec_lo, s9
	s_delay_alu instid0(SALU_CYCLE_1)
	s_mov_b32 s9, exec_lo
	v_cmpx_gt_u32_e64 s1, v92
	s_cbranch_execz .LBB1126_329
.LBB1126_380:                           ;   in Loop: Header=BB1126_311 Depth=2
	v_lshlrev_b32_e32 v2, 3, v92
	global_load_b64 v[6:7], v2, s[10:11]
	s_or_b32 exec_lo, exec_lo, s9
	s_delay_alu instid0(SALU_CYCLE_1)
	s_mov_b32 s9, exec_lo
	v_cmpx_gt_u32_e64 s1, v93
	s_cbranch_execz .LBB1126_331
	s_branch .LBB1126_330
.LBB1126_381:                           ;   in Loop: Header=BB1126_12 Depth=1
	v_mov_b32_e32 v2, 0
	s_waitcnt vmcnt(0) lgkmcnt(0)
	s_barrier
	buffer_gl0_inv
	s_and_saveexec_b32 s1, s2
	s_cbranch_execz .LBB1126_383
; %bb.382:                              ;   in Loop: Header=BB1126_12 Depth=1
	ds_load_2addr_b64 v[4:7], v96 offset1:1
	s_waitcnt lgkmcnt(0)
	v_add_nc_u32_e32 v2, v5, v4
	s_delay_alu instid0(VALU_DEP_1)
	v_add3_u32 v2, v2, v6, v7
.LBB1126_383:                           ;   in Loop: Header=BB1126_12 Depth=1
	s_or_b32 exec_lo, exec_lo, s1
	v_and_b32_e32 v4, 15, v136
	s_delay_alu instid0(VALU_DEP_2) | instskip(SKIP_1) | instid1(VALU_DEP_3)
	v_mov_b32_dpp v5, v2 row_shr:1 row_mask:0xf bank_mask:0xf
	v_and_b32_e32 v6, 16, v136
	v_cmp_eq_u32_e64 s1, 0, v4
	v_cmp_lt_u32_e64 s7, 1, v4
	v_cmp_lt_u32_e64 s8, 3, v4
	;; [unrolled: 1-line block ×3, first 2 shown]
	v_cmp_eq_u32_e64 s10, 0, v6
	v_cndmask_b32_e64 v5, v5, 0, s1
	s_delay_alu instid0(VALU_DEP_1) | instskip(NEXT) | instid1(VALU_DEP_1)
	v_add_nc_u32_e32 v2, v5, v2
	v_mov_b32_dpp v5, v2 row_shr:2 row_mask:0xf bank_mask:0xf
	s_delay_alu instid0(VALU_DEP_1) | instskip(NEXT) | instid1(VALU_DEP_1)
	v_cndmask_b32_e64 v5, 0, v5, s7
	v_add_nc_u32_e32 v2, v2, v5
	s_delay_alu instid0(VALU_DEP_1) | instskip(NEXT) | instid1(VALU_DEP_1)
	v_mov_b32_dpp v5, v2 row_shr:4 row_mask:0xf bank_mask:0xf
	v_cndmask_b32_e64 v5, 0, v5, s8
	s_delay_alu instid0(VALU_DEP_1) | instskip(NEXT) | instid1(VALU_DEP_1)
	v_add_nc_u32_e32 v2, v2, v5
	v_mov_b32_dpp v5, v2 row_shr:8 row_mask:0xf bank_mask:0xf
	s_delay_alu instid0(VALU_DEP_1) | instskip(SKIP_1) | instid1(VALU_DEP_2)
	v_cndmask_b32_e64 v4, 0, v5, s9
	v_bfe_i32 v5, v136, 4, 1
	v_add_nc_u32_e32 v2, v2, v4
	ds_swizzle_b32 v4, v2 offset:swizzle(BROADCAST,32,15)
	s_waitcnt lgkmcnt(0)
	v_and_b32_e32 v4, v5, v4
	s_delay_alu instid0(VALU_DEP_1)
	v_add_nc_u32_e32 v4, v2, v4
	s_and_saveexec_b32 s11, s3
	s_cbranch_execz .LBB1126_385
; %bb.384:                              ;   in Loop: Header=BB1126_12 Depth=1
	ds_store_b32 v97, v4
.LBB1126_385:                           ;   in Loop: Header=BB1126_12 Depth=1
	s_or_b32 exec_lo, exec_lo, s11
	v_and_b32_e32 v2, 7, v136
	s_waitcnt lgkmcnt(0)
	s_barrier
	buffer_gl0_inv
	s_and_saveexec_b32 s11, s4
	s_cbranch_execz .LBB1126_387
; %bb.386:                              ;   in Loop: Header=BB1126_12 Depth=1
	ds_load_b32 v5, v98
	v_cmp_ne_u32_e32 vcc_lo, 0, v2
	s_waitcnt lgkmcnt(0)
	v_mov_b32_dpp v6, v5 row_shr:1 row_mask:0xf bank_mask:0xf
	s_delay_alu instid0(VALU_DEP_1) | instskip(SKIP_1) | instid1(VALU_DEP_2)
	v_cndmask_b32_e32 v6, 0, v6, vcc_lo
	v_cmp_lt_u32_e32 vcc_lo, 1, v2
	v_add_nc_u32_e32 v5, v6, v5
	s_delay_alu instid0(VALU_DEP_1) | instskip(NEXT) | instid1(VALU_DEP_1)
	v_mov_b32_dpp v6, v5 row_shr:2 row_mask:0xf bank_mask:0xf
	v_cndmask_b32_e32 v6, 0, v6, vcc_lo
	v_cmp_lt_u32_e32 vcc_lo, 3, v2
	s_delay_alu instid0(VALU_DEP_2) | instskip(NEXT) | instid1(VALU_DEP_1)
	v_add_nc_u32_e32 v5, v5, v6
	v_mov_b32_dpp v6, v5 row_shr:4 row_mask:0xf bank_mask:0xf
	s_delay_alu instid0(VALU_DEP_1) | instskip(NEXT) | instid1(VALU_DEP_1)
	v_cndmask_b32_e32 v6, 0, v6, vcc_lo
	v_add_nc_u32_e32 v5, v5, v6
	ds_store_b32 v98, v5
.LBB1126_387:                           ;   in Loop: Header=BB1126_12 Depth=1
	s_or_b32 exec_lo, exec_lo, s11
	v_mov_b32_e32 v5, 0
	s_waitcnt lgkmcnt(0)
	s_barrier
	buffer_gl0_inv
	s_and_saveexec_b32 s11, s5
	s_cbranch_execz .LBB1126_389
; %bb.388:                              ;   in Loop: Header=BB1126_12 Depth=1
	ds_load_b32 v5, v99
.LBB1126_389:                           ;   in Loop: Header=BB1126_12 Depth=1
	s_or_b32 exec_lo, exec_lo, s11
	v_add_nc_u32_e32 v6, -1, v136
	s_waitcnt lgkmcnt(0)
	v_add_nc_u32_e32 v4, v5, v4
	v_cmp_eq_u32_e64 s11, 0, v136
	s_barrier
	v_cmp_gt_i32_e32 vcc_lo, 0, v6
	buffer_gl0_inv
	v_cndmask_b32_e32 v6, v6, v136, vcc_lo
	s_delay_alu instid0(VALU_DEP_1)
	v_lshlrev_b32_e32 v137, 2, v6
	ds_bpermute_b32 v4, v137, v4
	s_and_saveexec_b32 s12, s2
	s_cbranch_execz .LBB1126_391
; %bb.390:                              ;   in Loop: Header=BB1126_12 Depth=1
	s_waitcnt lgkmcnt(0)
	v_cndmask_b32_e64 v4, v4, v5, s11
	s_delay_alu instid0(VALU_DEP_1)
	v_add_nc_u32_e32 v4, s33, v4
	ds_store_b32 v76, v4
.LBB1126_391:                           ;   in Loop: Header=BB1126_12 Depth=1
	s_or_b32 exec_lo, exec_lo, s12
	s_load_b64 s[12:13], s[38:39], 0x0
	v_lshlrev_b32_e32 v7, 3, v136
	v_cmp_lt_u32_e64 s14, 3, v2
	v_or_b32_e32 v138, v136, v100
	s_mov_b32 s56, s62
	s_mov_b32 s40, s33
	v_add_co_u32 v139, vcc_lo, v113, v7
	v_add_co_ci_u32_e32 v140, vcc_lo, 0, v114, vcc_lo
	v_add_co_u32 v156, vcc_lo, v115, v7
	v_add_co_ci_u32_e32 v157, vcc_lo, 0, v116, vcc_lo
	v_or_b32_e32 v141, 32, v138
	s_delay_alu instid0(VALU_DEP_3)
	v_add_co_u32 v159, vcc_lo, 0xf00, v156
	v_or_b32_e32 v142, 64, v138
	v_or_b32_e32 v143, 0x60, v138
	;; [unrolled: 1-line block ×3, first 2 shown]
	s_waitcnt lgkmcnt(0)
	s_cmp_lt_u32 s15, s13
	v_or_b32_e32 v145, 0xa0, v138
	s_cselect_b32 s13, 14, 20
	v_or_b32_e32 v146, 0xc0, v138
	s_add_u32 s16, s38, s13
	s_addc_u32 s17, s39, 0
	s_cmp_lt_u32 s34, s12
	global_load_u16 v4, v3, s[16:17]
	s_cselect_b32 s12, 12, 18
	v_or_b32_e32 v147, 0xe0, v138
	s_add_u32 s12, s38, s12
	s_addc_u32 s13, s39, 0
	v_or_b32_e32 v148, 0x100, v138
	global_load_u16 v6, v3, s[12:13]
	v_cmp_eq_u32_e64 s12, 0, v2
	v_cmp_lt_u32_e64 s13, 1, v2
	v_or_b32_e32 v149, 0x120, v138
	v_or_b32_e32 v150, 0x140, v138
	;; [unrolled: 1-line block ×7, first 2 shown]
	v_add_co_ci_u32_e32 v160, vcc_lo, 0, v157, vcc_lo
                                        ; implicit-def: $vgpr8_vgpr9
                                        ; implicit-def: $vgpr10_vgpr11
                                        ; implicit-def: $vgpr12_vgpr13
                                        ; implicit-def: $vgpr14_vgpr15
                                        ; implicit-def: $vgpr16_vgpr17
                                        ; implicit-def: $vgpr18_vgpr19
                                        ; implicit-def: $vgpr20_vgpr21
                                        ; implicit-def: $vgpr22_vgpr23
                                        ; implicit-def: $vgpr24_vgpr25
                                        ; implicit-def: $vgpr26_vgpr27
                                        ; implicit-def: $vgpr28_vgpr29
                                        ; implicit-def: $vgpr30_vgpr31
                                        ; implicit-def: $vgpr32_vgpr33
                                        ; implicit-def: $vgpr34_vgpr35
                                        ; implicit-def: $vgpr161
                                        ; implicit-def: $vgpr162
                                        ; implicit-def: $vgpr163
                                        ; implicit-def: $vgpr164
                                        ; implicit-def: $vgpr165
                                        ; implicit-def: $vgpr166
                                        ; implicit-def: $vgpr167
                                        ; implicit-def: $vgpr168
                                        ; implicit-def: $vgpr169
                                        ; implicit-def: $vgpr170
                                        ; implicit-def: $vgpr171
                                        ; implicit-def: $vgpr172
                                        ; implicit-def: $vgpr173
                                        ; implicit-def: $vgpr174
                                        ; implicit-def: $vgpr175
                                        ; implicit-def: $vgpr176
	s_waitcnt vmcnt(1)
	v_mad_u32_u24 v2, v101, v4, v0
	s_waitcnt vmcnt(0)
	s_delay_alu instid0(VALU_DEP_1) | instskip(NEXT) | instid1(VALU_DEP_1)
	v_mad_u64_u32 v[4:5], null, v2, v6, v[1:2]
                                        ; implicit-def: $vgpr6_vgpr7
	v_lshrrev_b32_e32 v158, 5, v4
                                        ; implicit-def: $vgpr4_vgpr5
	s_branch .LBB1126_393
.LBB1126_392:                           ;   in Loop: Header=BB1126_393 Depth=2
	s_or_b32 exec_lo, exec_lo, s16
	s_addk_i32 s56, 0xf000
	s_cmp_lt_u32 s60, s35
	s_mov_b32 s40, s60
	s_cbranch_scc0 .LBB1126_602
.LBB1126_393:                           ;   Parent Loop BB1126_12 Depth=1
                                        ; =>  This Inner Loop Header: Depth=2
	s_add_i32 s60, s40, 0x1000
	s_delay_alu instid0(SALU_CYCLE_1)
	s_cmp_gt_u32 s60, s35
	s_cbranch_scc1 .LBB1126_396
; %bb.394:                              ;   in Loop: Header=BB1126_393 Depth=2
	s_mov_b32 s41, 0
	s_mov_b32 s19, -1
	s_lshl_b64 s[16:17], s[40:41], 3
	s_movk_i32 s18, 0x1000
	v_add_co_u32 v40, vcc_lo, v156, s16
	v_add_co_ci_u32_e32 v41, vcc_lo, s17, v157, vcc_lo
	s_clause 0xe
	global_load_b64 v[36:37], v[40:41], off
	global_load_b64 v[38:39], v[40:41], off offset:256
	global_load_b64 v[44:45], v[40:41], off offset:512
	;; [unrolled: 1-line block ×14, first 2 shown]
	s_cbranch_execz .LBB1126_397
; %bb.395:                              ;   in Loop: Header=BB1126_393 Depth=2
                                        ; implicit-def: $sgpr16_sgpr17
	s_branch .LBB1126_428
.LBB1126_396:                           ;   in Loop: Header=BB1126_393 Depth=2
	s_mov_b32 s41, -1
	s_mov_b32 s19, 0
                                        ; implicit-def: $sgpr18
                                        ; implicit-def: $vgpr36_vgpr37
                                        ; implicit-def: $vgpr38_vgpr39
                                        ; implicit-def: $vgpr44_vgpr45
                                        ; implicit-def: $vgpr48_vgpr49
                                        ; implicit-def: $vgpr54_vgpr55
                                        ; implicit-def: $vgpr58_vgpr59
                                        ; implicit-def: $vgpr62_vgpr63
                                        ; implicit-def: $vgpr66_vgpr67
                                        ; implicit-def: $vgpr64_vgpr65
                                        ; implicit-def: $vgpr60_vgpr61
                                        ; implicit-def: $vgpr56_vgpr57
                                        ; implicit-def: $vgpr52_vgpr53
                                        ; implicit-def: $vgpr50_vgpr51
                                        ; implicit-def: $vgpr46_vgpr47
                                        ; implicit-def: $vgpr40_vgpr41
.LBB1126_397:                           ;   in Loop: Header=BB1126_393 Depth=2
	s_mov_b32 s41, s36
	s_waitcnt vmcnt(13)
	v_mov_b32_e32 v38, -1
	v_mov_b32_e32 v39, -1
	s_lshl_b64 s[16:17], s[40:41], 3
	s_delay_alu instid0(VALU_DEP_2) | instskip(SKIP_1) | instid1(VALU_DEP_3)
	v_mov_b32_e32 v36, v38
	v_add_co_u32 v42, vcc_lo, v156, s16
	v_mov_b32_e32 v37, v39
	v_add_co_ci_u32_e32 v43, vcc_lo, s17, v157, vcc_lo
	s_mov_b32 s16, exec_lo
	v_cmpx_gt_u32_e64 s56, v138
	s_cbranch_execz .LBB1126_399
; %bb.398:                              ;   in Loop: Header=BB1126_393 Depth=2
	global_load_b64 v[36:37], v[42:43], off
.LBB1126_399:                           ;   in Loop: Header=BB1126_393 Depth=2
	s_or_b32 exec_lo, exec_lo, s16
	s_delay_alu instid0(SALU_CYCLE_1)
	s_mov_b32 s16, exec_lo
	v_cmpx_gt_u32_e64 s56, v141
	s_cbranch_execz .LBB1126_401
; %bb.400:                              ;   in Loop: Header=BB1126_393 Depth=2
	global_load_b64 v[38:39], v[42:43], off offset:256
.LBB1126_401:                           ;   in Loop: Header=BB1126_393 Depth=2
	s_or_b32 exec_lo, exec_lo, s16
	s_waitcnt vmcnt(11)
	v_mov_b32_e32 v48, -1
	v_mov_b32_e32 v49, -1
	s_delay_alu instid0(VALU_DEP_2) | instskip(SKIP_1) | instid1(VALU_DEP_2)
	v_mov_b32_e32 v44, v48
	s_mov_b32 s16, exec_lo
	v_mov_b32_e32 v45, v49
	v_cmpx_gt_u32_e64 s56, v142
	s_cbranch_execz .LBB1126_403
; %bb.402:                              ;   in Loop: Header=BB1126_393 Depth=2
	global_load_b64 v[44:45], v[42:43], off offset:512
.LBB1126_403:                           ;   in Loop: Header=BB1126_393 Depth=2
	s_or_b32 exec_lo, exec_lo, s16
	s_delay_alu instid0(SALU_CYCLE_1)
	s_mov_b32 s16, exec_lo
	v_cmpx_gt_u32_e64 s56, v143
	s_cbranch_execz .LBB1126_405
; %bb.404:                              ;   in Loop: Header=BB1126_393 Depth=2
	global_load_b64 v[48:49], v[42:43], off offset:768
.LBB1126_405:                           ;   in Loop: Header=BB1126_393 Depth=2
	s_or_b32 exec_lo, exec_lo, s16
	s_waitcnt vmcnt(9)
	v_mov_b32_e32 v58, -1
	v_mov_b32_e32 v59, -1
	s_delay_alu instid0(VALU_DEP_2) | instskip(SKIP_1) | instid1(VALU_DEP_2)
	v_mov_b32_e32 v54, v58
	s_mov_b32 s16, exec_lo
	v_mov_b32_e32 v55, v59
	v_cmpx_gt_u32_e64 s56, v144
	s_cbranch_execz .LBB1126_407
; %bb.406:                              ;   in Loop: Header=BB1126_393 Depth=2
	global_load_b64 v[54:55], v[42:43], off offset:1024
.LBB1126_407:                           ;   in Loop: Header=BB1126_393 Depth=2
	;; [unrolled: 21-line block ×3, first 2 shown]
	s_or_b32 exec_lo, exec_lo, s16
	s_delay_alu instid0(SALU_CYCLE_1)
	s_mov_b32 s16, exec_lo
	v_cmpx_gt_u32_e64 s56, v147
	s_cbranch_execz .LBB1126_413
; %bb.412:                              ;   in Loop: Header=BB1126_393 Depth=2
	global_load_b64 v[66:67], v[42:43], off offset:1792
.LBB1126_413:                           ;   in Loop: Header=BB1126_393 Depth=2
	s_or_b32 exec_lo, exec_lo, s16
	s_waitcnt vmcnt(5)
	v_mov_b32_e32 v60, -1
	v_mov_b32_e32 v61, -1
	s_mov_b32 s16, exec_lo
	s_delay_alu instid0(VALU_DEP_1)
	v_dual_mov_b32 v65, v61 :: v_dual_mov_b32 v64, v60
	v_cmpx_gt_u32_e64 s56, v148
	s_cbranch_execz .LBB1126_415
; %bb.414:                              ;   in Loop: Header=BB1126_393 Depth=2
	global_load_b64 v[64:65], v[42:43], off offset:2048
.LBB1126_415:                           ;   in Loop: Header=BB1126_393 Depth=2
	s_or_b32 exec_lo, exec_lo, s16
	s_delay_alu instid0(SALU_CYCLE_1)
	s_mov_b32 s16, exec_lo
	v_cmpx_gt_u32_e64 s56, v149
	s_cbranch_execz .LBB1126_417
; %bb.416:                              ;   in Loop: Header=BB1126_393 Depth=2
	global_load_b64 v[60:61], v[42:43], off offset:2304
.LBB1126_417:                           ;   in Loop: Header=BB1126_393 Depth=2
	s_or_b32 exec_lo, exec_lo, s16
	s_waitcnt vmcnt(3)
	v_mov_b32_e32 v52, -1
	v_mov_b32_e32 v53, -1
	s_mov_b32 s16, exec_lo
	s_delay_alu instid0(VALU_DEP_1)
	v_dual_mov_b32 v57, v53 :: v_dual_mov_b32 v56, v52
	v_cmpx_gt_u32_e64 s56, v150
	s_cbranch_execz .LBB1126_419
; %bb.418:                              ;   in Loop: Header=BB1126_393 Depth=2
	global_load_b64 v[56:57], v[42:43], off offset:2560
.LBB1126_419:                           ;   in Loop: Header=BB1126_393 Depth=2
	;; [unrolled: 20-line block ×3, first 2 shown]
	s_or_b32 exec_lo, exec_lo, s16
	s_delay_alu instid0(SALU_CYCLE_1)
	s_mov_b32 s16, exec_lo
	v_cmpx_gt_u32_e64 s56, v153
	s_cbranch_execz .LBB1126_425
; %bb.424:                              ;   in Loop: Header=BB1126_393 Depth=2
	global_load_b64 v[46:47], v[42:43], off offset:3328
.LBB1126_425:                           ;   in Loop: Header=BB1126_393 Depth=2
	s_or_b32 exec_lo, exec_lo, s16
	s_waitcnt vmcnt(0)
	v_mov_b32_e32 v40, -1
	v_mov_b32_e32 v41, -1
	s_mov_b32 s16, exec_lo
	v_cmpx_gt_u32_e64 s56, v154
	s_cbranch_execz .LBB1126_427
; %bb.426:                              ;   in Loop: Header=BB1126_393 Depth=2
	global_load_b64 v[40:41], v[42:43], off offset:3584
.LBB1126_427:                           ;   in Loop: Header=BB1126_393 Depth=2
	s_or_b32 exec_lo, exec_lo, s16
	v_cmp_gt_u32_e64 s19, s56, v155
	s_sub_i32 s18, s35, s40
	s_mov_b64 s[16:17], -1
.LBB1126_428:                           ;   in Loop: Header=BB1126_393 Depth=2
	s_delay_alu instid0(SALU_CYCLE_1)
	v_dual_mov_b32 v43, s17 :: v_dual_mov_b32 v42, s16
	v_mov_b32_e32 v177, s56
	s_and_saveexec_b32 s16, s19
	s_cbranch_execz .LBB1126_430
; %bb.429:                              ;   in Loop: Header=BB1126_393 Depth=2
	s_lshl_b64 s[20:21], s[40:41], 3
	v_mov_b32_e32 v177, s18
	v_add_co_u32 v42, vcc_lo, v159, s20
	v_add_co_ci_u32_e32 v43, vcc_lo, s21, v160, vcc_lo
	global_load_b64 v[42:43], v[42:43], off
.LBB1126_430:                           ;   in Loop: Header=BB1126_393 Depth=2
	s_or_b32 exec_lo, exec_lo, s16
	s_waitcnt vmcnt(14)
	v_cmp_gt_i64_e32 vcc_lo, 0, v[36:37]
	v_ashrrev_i32_e32 v2, 31, v37
	ds_store_b32 v102, v3 offset:1056
	ds_store_2addr_b32 v103, v3, v3 offset0:1 offset1:2
	ds_store_2addr_b32 v103, v3, v3 offset0:3 offset1:4
	;; [unrolled: 1-line block ×4, first 2 shown]
	s_waitcnt vmcnt(0) lgkmcnt(0)
	s_barrier
	v_cndmask_b32_e64 v68, 0x7fffffff, 0, vcc_lo
	v_not_b32_e32 v2, v2
	buffer_gl0_inv
	; wave barrier
	v_xor_b32_e32 v37, v68, v37
	v_xor_b32_e32 v36, v2, v36
	s_delay_alu instid0(VALU_DEP_1) | instskip(SKIP_2) | instid1(VALU_DEP_1)
	v_cmp_ne_u64_e32 vcc_lo, s[36:37], v[36:37]
	v_cndmask_b32_e32 v69, 0x7fffffff, v37, vcc_lo
	v_cndmask_b32_e32 v68, -1, v36, vcc_lo
	v_lshrrev_b64 v[68:69], s43, v[68:69]
	s_delay_alu instid0(VALU_DEP_1) | instskip(NEXT) | instid1(VALU_DEP_1)
	v_and_b32_e32 v69, s51, v68
	v_lshlrev_b32_e32 v71, 28, v69
	v_and_b32_e32 v2, 1, v69
	v_lshlrev_b32_e32 v68, 30, v69
	v_lshlrev_b32_e32 v70, 29, v69
	;; [unrolled: 1-line block ×4, first 2 shown]
	v_add_co_u32 v2, s16, v2, -1
	s_delay_alu instid0(VALU_DEP_1)
	v_cndmask_b32_e64 v72, 0, 1, s16
	v_not_b32_e32 v178, v68
	v_cmp_gt_i32_e64 s16, 0, v68
	v_not_b32_e32 v68, v70
	v_lshlrev_b32_e32 v75, 25, v69
	v_cmp_ne_u32_e32 vcc_lo, 0, v72
	v_ashrrev_i32_e32 v178, 31, v178
	v_lshlrev_b32_e32 v72, 24, v69
	v_ashrrev_i32_e32 v68, 31, v68
	v_mad_u32_u24 v69, v69, 9, v158
	v_xor_b32_e32 v2, vcc_lo, v2
	v_cmp_gt_i32_e32 vcc_lo, 0, v70
	v_not_b32_e32 v70, v71
	v_xor_b32_e32 v178, s16, v178
	v_cmp_gt_i32_e64 s16, 0, v71
	v_and_b32_e32 v2, exec_lo, v2
	v_not_b32_e32 v71, v73
	v_ashrrev_i32_e32 v70, 31, v70
	v_xor_b32_e32 v68, vcc_lo, v68
	v_cmp_gt_i32_e32 vcc_lo, 0, v73
	v_and_b32_e32 v2, v2, v178
	v_not_b32_e32 v73, v74
	v_ashrrev_i32_e32 v71, 31, v71
	v_xor_b32_e32 v70, s16, v70
	v_cmp_gt_i32_e64 s16, 0, v74
	v_and_b32_e32 v2, v2, v68
	v_not_b32_e32 v68, v75
	v_ashrrev_i32_e32 v73, 31, v73
	v_xor_b32_e32 v71, vcc_lo, v71
	v_cmp_gt_i32_e32 vcc_lo, 0, v75
	v_and_b32_e32 v2, v2, v70
	v_not_b32_e32 v70, v72
	v_ashrrev_i32_e32 v68, 31, v68
	v_xor_b32_e32 v73, s16, v73
	v_cmp_gt_i32_e64 s16, 0, v72
	v_and_b32_e32 v2, v2, v71
	v_ashrrev_i32_e32 v70, 31, v70
	v_xor_b32_e32 v68, vcc_lo, v68
	v_lshl_add_u32 v178, v69, 2, 0x420
	s_delay_alu instid0(VALU_DEP_4) | instskip(NEXT) | instid1(VALU_DEP_4)
	v_and_b32_e32 v2, v2, v73
	v_xor_b32_e32 v70, s16, v70
	s_delay_alu instid0(VALU_DEP_2) | instskip(NEXT) | instid1(VALU_DEP_1)
	v_and_b32_e32 v2, v2, v68
	v_and_b32_e32 v68, v2, v70
	s_delay_alu instid0(VALU_DEP_1) | instskip(SKIP_1) | instid1(VALU_DEP_2)
	v_mbcnt_lo_u32_b32 v2, v68, 0
	v_cmp_ne_u32_e64 s16, 0, v68
	v_cmp_eq_u32_e32 vcc_lo, 0, v2
	s_delay_alu instid0(VALU_DEP_2) | instskip(NEXT) | instid1(SALU_CYCLE_1)
	s_and_b32 s17, s16, vcc_lo
	s_and_saveexec_b32 s16, s17
	s_cbranch_execz .LBB1126_432
; %bb.431:                              ;   in Loop: Header=BB1126_393 Depth=2
	v_bcnt_u32_b32 v68, v68, 0
	ds_store_b32 v178, v68
.LBB1126_432:                           ;   in Loop: Header=BB1126_393 Depth=2
	s_or_b32 exec_lo, exec_lo, s16
	v_cmp_gt_i64_e32 vcc_lo, 0, v[38:39]
	v_ashrrev_i32_e32 v68, 31, v39
	; wave barrier
	s_delay_alu instid0(VALU_DEP_1) | instskip(SKIP_1) | instid1(VALU_DEP_2)
	v_not_b32_e32 v68, v68
	v_cndmask_b32_e64 v69, 0x7fffffff, 0, vcc_lo
	v_xor_b32_e32 v38, v68, v38
	s_delay_alu instid0(VALU_DEP_2) | instskip(NEXT) | instid1(VALU_DEP_1)
	v_xor_b32_e32 v39, v69, v39
	v_cmp_ne_u64_e32 vcc_lo, s[36:37], v[38:39]
	v_cndmask_b32_e32 v69, 0x7fffffff, v39, vcc_lo
	v_cndmask_b32_e32 v68, -1, v38, vcc_lo
	s_delay_alu instid0(VALU_DEP_1) | instskip(NEXT) | instid1(VALU_DEP_1)
	v_lshrrev_b64 v[68:69], s43, v[68:69]
	v_and_b32_e32 v68, s51, v68
	s_delay_alu instid0(VALU_DEP_1)
	v_and_b32_e32 v69, 1, v68
	v_lshlrev_b32_e32 v70, 30, v68
	v_lshlrev_b32_e32 v71, 29, v68
	;; [unrolled: 1-line block ×4, first 2 shown]
	v_add_co_u32 v69, s16, v69, -1
	s_delay_alu instid0(VALU_DEP_1)
	v_cndmask_b32_e64 v73, 0, 1, s16
	v_not_b32_e32 v180, v70
	v_cmp_gt_i32_e64 s16, 0, v70
	v_not_b32_e32 v70, v71
	v_lshlrev_b32_e32 v75, 26, v68
	v_cmp_ne_u32_e32 vcc_lo, 0, v73
	v_ashrrev_i32_e32 v180, 31, v180
	v_lshlrev_b32_e32 v179, 25, v68
	v_ashrrev_i32_e32 v70, 31, v70
	v_lshlrev_b32_e32 v73, 24, v68
	v_xor_b32_e32 v69, vcc_lo, v69
	v_cmp_gt_i32_e32 vcc_lo, 0, v71
	v_not_b32_e32 v71, v72
	v_xor_b32_e32 v180, s16, v180
	v_cmp_gt_i32_e64 s16, 0, v72
	v_and_b32_e32 v69, exec_lo, v69
	v_not_b32_e32 v72, v74
	v_ashrrev_i32_e32 v71, 31, v71
	v_xor_b32_e32 v70, vcc_lo, v70
	v_cmp_gt_i32_e32 vcc_lo, 0, v74
	v_and_b32_e32 v69, v69, v180
	v_not_b32_e32 v74, v75
	v_ashrrev_i32_e32 v72, 31, v72
	v_xor_b32_e32 v71, s16, v71
	v_cmp_gt_i32_e64 s16, 0, v75
	v_and_b32_e32 v69, v69, v70
	v_not_b32_e32 v70, v179
	v_ashrrev_i32_e32 v74, 31, v74
	v_xor_b32_e32 v72, vcc_lo, v72
	v_cmp_gt_i32_e32 vcc_lo, 0, v179
	v_and_b32_e32 v69, v69, v71
	v_not_b32_e32 v71, v73
	v_ashrrev_i32_e32 v70, 31, v70
	v_xor_b32_e32 v74, s16, v74
	v_mul_u32_u24_e32 v68, 9, v68
	v_and_b32_e32 v69, v69, v72
	v_cmp_gt_i32_e64 s16, 0, v73
	v_ashrrev_i32_e32 v71, 31, v71
	v_xor_b32_e32 v70, vcc_lo, v70
	v_add_lshl_u32 v72, v68, v158, 2
	v_and_b32_e32 v69, v69, v74
	s_delay_alu instid0(VALU_DEP_4) | instskip(SKIP_3) | instid1(VALU_DEP_2)
	v_xor_b32_e32 v68, s16, v71
	ds_load_b32 v179, v72 offset:1056
	v_and_b32_e32 v69, v69, v70
	v_add_nc_u32_e32 v181, 0x420, v72
	; wave barrier
	v_and_b32_e32 v68, v69, v68
	s_delay_alu instid0(VALU_DEP_1) | instskip(SKIP_1) | instid1(VALU_DEP_2)
	v_mbcnt_lo_u32_b32 v180, v68, 0
	v_cmp_ne_u32_e64 s16, 0, v68
	v_cmp_eq_u32_e32 vcc_lo, 0, v180
	s_delay_alu instid0(VALU_DEP_2) | instskip(NEXT) | instid1(SALU_CYCLE_1)
	s_and_b32 s17, s16, vcc_lo
	s_and_saveexec_b32 s16, s17
	s_cbranch_execz .LBB1126_434
; %bb.433:                              ;   in Loop: Header=BB1126_393 Depth=2
	s_waitcnt lgkmcnt(0)
	v_bcnt_u32_b32 v68, v68, v179
	ds_store_b32 v181, v68
.LBB1126_434:                           ;   in Loop: Header=BB1126_393 Depth=2
	s_or_b32 exec_lo, exec_lo, s16
	v_cmp_gt_i64_e32 vcc_lo, 0, v[44:45]
	v_ashrrev_i32_e32 v68, 31, v45
	; wave barrier
	s_delay_alu instid0(VALU_DEP_1) | instskip(SKIP_1) | instid1(VALU_DEP_2)
	v_not_b32_e32 v68, v68
	v_cndmask_b32_e64 v69, 0x7fffffff, 0, vcc_lo
	v_xor_b32_e32 v44, v68, v44
	s_delay_alu instid0(VALU_DEP_2) | instskip(NEXT) | instid1(VALU_DEP_1)
	v_xor_b32_e32 v45, v69, v45
	v_cmp_ne_u64_e32 vcc_lo, s[36:37], v[44:45]
	v_cndmask_b32_e32 v69, 0x7fffffff, v45, vcc_lo
	v_cndmask_b32_e32 v68, -1, v44, vcc_lo
	s_delay_alu instid0(VALU_DEP_1) | instskip(NEXT) | instid1(VALU_DEP_1)
	v_lshrrev_b64 v[68:69], s43, v[68:69]
	v_and_b32_e32 v68, s51, v68
	s_delay_alu instid0(VALU_DEP_1)
	v_and_b32_e32 v69, 1, v68
	v_lshlrev_b32_e32 v70, 30, v68
	v_lshlrev_b32_e32 v71, 29, v68
	;; [unrolled: 1-line block ×4, first 2 shown]
	v_add_co_u32 v69, s16, v69, -1
	s_delay_alu instid0(VALU_DEP_1)
	v_cndmask_b32_e64 v73, 0, 1, s16
	v_not_b32_e32 v183, v70
	v_cmp_gt_i32_e64 s16, 0, v70
	v_not_b32_e32 v70, v71
	v_lshlrev_b32_e32 v75, 26, v68
	v_cmp_ne_u32_e32 vcc_lo, 0, v73
	v_ashrrev_i32_e32 v183, 31, v183
	v_lshlrev_b32_e32 v182, 25, v68
	v_ashrrev_i32_e32 v70, 31, v70
	v_lshlrev_b32_e32 v73, 24, v68
	v_xor_b32_e32 v69, vcc_lo, v69
	v_cmp_gt_i32_e32 vcc_lo, 0, v71
	v_not_b32_e32 v71, v72
	v_xor_b32_e32 v183, s16, v183
	v_cmp_gt_i32_e64 s16, 0, v72
	v_and_b32_e32 v69, exec_lo, v69
	v_not_b32_e32 v72, v74
	v_ashrrev_i32_e32 v71, 31, v71
	v_xor_b32_e32 v70, vcc_lo, v70
	v_cmp_gt_i32_e32 vcc_lo, 0, v74
	v_and_b32_e32 v69, v69, v183
	v_not_b32_e32 v74, v75
	v_ashrrev_i32_e32 v72, 31, v72
	v_xor_b32_e32 v71, s16, v71
	v_cmp_gt_i32_e64 s16, 0, v75
	v_and_b32_e32 v69, v69, v70
	v_not_b32_e32 v70, v182
	v_ashrrev_i32_e32 v74, 31, v74
	v_xor_b32_e32 v72, vcc_lo, v72
	v_cmp_gt_i32_e32 vcc_lo, 0, v182
	v_and_b32_e32 v69, v69, v71
	v_not_b32_e32 v71, v73
	v_ashrrev_i32_e32 v70, 31, v70
	v_xor_b32_e32 v74, s16, v74
	v_mul_u32_u24_e32 v68, 9, v68
	v_and_b32_e32 v69, v69, v72
	v_cmp_gt_i32_e64 s16, 0, v73
	v_ashrrev_i32_e32 v71, 31, v71
	v_xor_b32_e32 v70, vcc_lo, v70
	v_add_lshl_u32 v72, v68, v158, 2
	v_and_b32_e32 v69, v69, v74
	s_delay_alu instid0(VALU_DEP_4) | instskip(SKIP_3) | instid1(VALU_DEP_2)
	v_xor_b32_e32 v68, s16, v71
	ds_load_b32 v182, v72 offset:1056
	v_and_b32_e32 v69, v69, v70
	v_add_nc_u32_e32 v184, 0x420, v72
	; wave barrier
	v_and_b32_e32 v68, v69, v68
	s_delay_alu instid0(VALU_DEP_1) | instskip(SKIP_1) | instid1(VALU_DEP_2)
	v_mbcnt_lo_u32_b32 v183, v68, 0
	v_cmp_ne_u32_e64 s16, 0, v68
	v_cmp_eq_u32_e32 vcc_lo, 0, v183
	s_delay_alu instid0(VALU_DEP_2) | instskip(NEXT) | instid1(SALU_CYCLE_1)
	s_and_b32 s17, s16, vcc_lo
	s_and_saveexec_b32 s16, s17
	s_cbranch_execz .LBB1126_436
; %bb.435:                              ;   in Loop: Header=BB1126_393 Depth=2
	s_waitcnt lgkmcnt(0)
	v_bcnt_u32_b32 v68, v68, v182
	ds_store_b32 v184, v68
.LBB1126_436:                           ;   in Loop: Header=BB1126_393 Depth=2
	s_or_b32 exec_lo, exec_lo, s16
	v_cmp_gt_i64_e32 vcc_lo, 0, v[48:49]
	v_ashrrev_i32_e32 v68, 31, v49
	; wave barrier
	s_delay_alu instid0(VALU_DEP_1) | instskip(SKIP_1) | instid1(VALU_DEP_2)
	v_not_b32_e32 v68, v68
	v_cndmask_b32_e64 v69, 0x7fffffff, 0, vcc_lo
	v_xor_b32_e32 v48, v68, v48
	s_delay_alu instid0(VALU_DEP_2) | instskip(NEXT) | instid1(VALU_DEP_1)
	v_xor_b32_e32 v49, v69, v49
	v_cmp_ne_u64_e32 vcc_lo, s[36:37], v[48:49]
	v_cndmask_b32_e32 v69, 0x7fffffff, v49, vcc_lo
	v_cndmask_b32_e32 v68, -1, v48, vcc_lo
	s_delay_alu instid0(VALU_DEP_1) | instskip(NEXT) | instid1(VALU_DEP_1)
	v_lshrrev_b64 v[68:69], s43, v[68:69]
	v_and_b32_e32 v68, s51, v68
	s_delay_alu instid0(VALU_DEP_1)
	v_and_b32_e32 v69, 1, v68
	v_lshlrev_b32_e32 v70, 30, v68
	v_lshlrev_b32_e32 v71, 29, v68
	;; [unrolled: 1-line block ×4, first 2 shown]
	v_add_co_u32 v69, s16, v69, -1
	s_delay_alu instid0(VALU_DEP_1)
	v_cndmask_b32_e64 v73, 0, 1, s16
	v_not_b32_e32 v186, v70
	v_cmp_gt_i32_e64 s16, 0, v70
	v_not_b32_e32 v70, v71
	v_lshlrev_b32_e32 v75, 26, v68
	v_cmp_ne_u32_e32 vcc_lo, 0, v73
	v_ashrrev_i32_e32 v186, 31, v186
	v_lshlrev_b32_e32 v185, 25, v68
	v_ashrrev_i32_e32 v70, 31, v70
	v_lshlrev_b32_e32 v73, 24, v68
	v_xor_b32_e32 v69, vcc_lo, v69
	v_cmp_gt_i32_e32 vcc_lo, 0, v71
	v_not_b32_e32 v71, v72
	v_xor_b32_e32 v186, s16, v186
	v_cmp_gt_i32_e64 s16, 0, v72
	v_and_b32_e32 v69, exec_lo, v69
	v_not_b32_e32 v72, v74
	v_ashrrev_i32_e32 v71, 31, v71
	v_xor_b32_e32 v70, vcc_lo, v70
	v_cmp_gt_i32_e32 vcc_lo, 0, v74
	v_and_b32_e32 v69, v69, v186
	v_not_b32_e32 v74, v75
	v_ashrrev_i32_e32 v72, 31, v72
	v_xor_b32_e32 v71, s16, v71
	v_cmp_gt_i32_e64 s16, 0, v75
	v_and_b32_e32 v69, v69, v70
	v_not_b32_e32 v70, v185
	v_ashrrev_i32_e32 v74, 31, v74
	v_xor_b32_e32 v72, vcc_lo, v72
	v_cmp_gt_i32_e32 vcc_lo, 0, v185
	v_and_b32_e32 v69, v69, v71
	v_not_b32_e32 v71, v73
	v_ashrrev_i32_e32 v70, 31, v70
	v_xor_b32_e32 v74, s16, v74
	v_mul_u32_u24_e32 v68, 9, v68
	v_and_b32_e32 v69, v69, v72
	v_cmp_gt_i32_e64 s16, 0, v73
	v_ashrrev_i32_e32 v71, 31, v71
	v_xor_b32_e32 v70, vcc_lo, v70
	v_add_lshl_u32 v72, v68, v158, 2
	v_and_b32_e32 v69, v69, v74
	s_delay_alu instid0(VALU_DEP_4) | instskip(SKIP_3) | instid1(VALU_DEP_2)
	v_xor_b32_e32 v68, s16, v71
	ds_load_b32 v185, v72 offset:1056
	v_and_b32_e32 v69, v69, v70
	v_add_nc_u32_e32 v187, 0x420, v72
	; wave barrier
	v_and_b32_e32 v68, v69, v68
	s_delay_alu instid0(VALU_DEP_1) | instskip(SKIP_1) | instid1(VALU_DEP_2)
	v_mbcnt_lo_u32_b32 v186, v68, 0
	v_cmp_ne_u32_e64 s16, 0, v68
	v_cmp_eq_u32_e32 vcc_lo, 0, v186
	s_delay_alu instid0(VALU_DEP_2) | instskip(NEXT) | instid1(SALU_CYCLE_1)
	s_and_b32 s17, s16, vcc_lo
	s_and_saveexec_b32 s16, s17
	s_cbranch_execz .LBB1126_438
; %bb.437:                              ;   in Loop: Header=BB1126_393 Depth=2
	s_waitcnt lgkmcnt(0)
	v_bcnt_u32_b32 v68, v68, v185
	ds_store_b32 v187, v68
.LBB1126_438:                           ;   in Loop: Header=BB1126_393 Depth=2
	s_or_b32 exec_lo, exec_lo, s16
	v_cmp_gt_i64_e32 vcc_lo, 0, v[54:55]
	v_ashrrev_i32_e32 v68, 31, v55
	; wave barrier
	s_delay_alu instid0(VALU_DEP_1) | instskip(SKIP_1) | instid1(VALU_DEP_2)
	v_not_b32_e32 v68, v68
	v_cndmask_b32_e64 v69, 0x7fffffff, 0, vcc_lo
	v_xor_b32_e32 v54, v68, v54
	s_delay_alu instid0(VALU_DEP_2) | instskip(NEXT) | instid1(VALU_DEP_1)
	v_xor_b32_e32 v55, v69, v55
	v_cmp_ne_u64_e32 vcc_lo, s[36:37], v[54:55]
	v_cndmask_b32_e32 v69, 0x7fffffff, v55, vcc_lo
	v_cndmask_b32_e32 v68, -1, v54, vcc_lo
	s_delay_alu instid0(VALU_DEP_1) | instskip(NEXT) | instid1(VALU_DEP_1)
	v_lshrrev_b64 v[68:69], s43, v[68:69]
	v_and_b32_e32 v68, s51, v68
	s_delay_alu instid0(VALU_DEP_1)
	v_and_b32_e32 v69, 1, v68
	v_lshlrev_b32_e32 v70, 30, v68
	v_lshlrev_b32_e32 v71, 29, v68
	;; [unrolled: 1-line block ×4, first 2 shown]
	v_add_co_u32 v69, s16, v69, -1
	s_delay_alu instid0(VALU_DEP_1)
	v_cndmask_b32_e64 v73, 0, 1, s16
	v_not_b32_e32 v189, v70
	v_cmp_gt_i32_e64 s16, 0, v70
	v_not_b32_e32 v70, v71
	v_lshlrev_b32_e32 v75, 26, v68
	v_cmp_ne_u32_e32 vcc_lo, 0, v73
	v_ashrrev_i32_e32 v189, 31, v189
	v_lshlrev_b32_e32 v188, 25, v68
	v_ashrrev_i32_e32 v70, 31, v70
	v_lshlrev_b32_e32 v73, 24, v68
	v_xor_b32_e32 v69, vcc_lo, v69
	v_cmp_gt_i32_e32 vcc_lo, 0, v71
	v_not_b32_e32 v71, v72
	v_xor_b32_e32 v189, s16, v189
	v_cmp_gt_i32_e64 s16, 0, v72
	v_and_b32_e32 v69, exec_lo, v69
	v_not_b32_e32 v72, v74
	v_ashrrev_i32_e32 v71, 31, v71
	v_xor_b32_e32 v70, vcc_lo, v70
	v_cmp_gt_i32_e32 vcc_lo, 0, v74
	v_and_b32_e32 v69, v69, v189
	v_not_b32_e32 v74, v75
	v_ashrrev_i32_e32 v72, 31, v72
	v_xor_b32_e32 v71, s16, v71
	v_cmp_gt_i32_e64 s16, 0, v75
	v_and_b32_e32 v69, v69, v70
	v_not_b32_e32 v70, v188
	v_ashrrev_i32_e32 v74, 31, v74
	v_xor_b32_e32 v72, vcc_lo, v72
	v_cmp_gt_i32_e32 vcc_lo, 0, v188
	v_and_b32_e32 v69, v69, v71
	v_not_b32_e32 v71, v73
	v_ashrrev_i32_e32 v70, 31, v70
	v_xor_b32_e32 v74, s16, v74
	v_mul_u32_u24_e32 v68, 9, v68
	v_and_b32_e32 v69, v69, v72
	v_cmp_gt_i32_e64 s16, 0, v73
	v_ashrrev_i32_e32 v71, 31, v71
	v_xor_b32_e32 v70, vcc_lo, v70
	v_add_lshl_u32 v72, v68, v158, 2
	v_and_b32_e32 v69, v69, v74
	s_delay_alu instid0(VALU_DEP_4) | instskip(SKIP_3) | instid1(VALU_DEP_2)
	v_xor_b32_e32 v68, s16, v71
	ds_load_b32 v188, v72 offset:1056
	v_and_b32_e32 v69, v69, v70
	v_add_nc_u32_e32 v190, 0x420, v72
	; wave barrier
	v_and_b32_e32 v68, v69, v68
	s_delay_alu instid0(VALU_DEP_1) | instskip(SKIP_1) | instid1(VALU_DEP_2)
	v_mbcnt_lo_u32_b32 v189, v68, 0
	v_cmp_ne_u32_e64 s16, 0, v68
	v_cmp_eq_u32_e32 vcc_lo, 0, v189
	s_delay_alu instid0(VALU_DEP_2) | instskip(NEXT) | instid1(SALU_CYCLE_1)
	s_and_b32 s17, s16, vcc_lo
	s_and_saveexec_b32 s16, s17
	s_cbranch_execz .LBB1126_440
; %bb.439:                              ;   in Loop: Header=BB1126_393 Depth=2
	s_waitcnt lgkmcnt(0)
	v_bcnt_u32_b32 v68, v68, v188
	ds_store_b32 v190, v68
.LBB1126_440:                           ;   in Loop: Header=BB1126_393 Depth=2
	s_or_b32 exec_lo, exec_lo, s16
	v_cmp_gt_i64_e32 vcc_lo, 0, v[58:59]
	v_ashrrev_i32_e32 v68, 31, v59
	; wave barrier
	s_delay_alu instid0(VALU_DEP_1) | instskip(SKIP_1) | instid1(VALU_DEP_2)
	v_not_b32_e32 v68, v68
	v_cndmask_b32_e64 v69, 0x7fffffff, 0, vcc_lo
	v_xor_b32_e32 v58, v68, v58
	s_delay_alu instid0(VALU_DEP_2) | instskip(NEXT) | instid1(VALU_DEP_1)
	v_xor_b32_e32 v59, v69, v59
	v_cmp_ne_u64_e32 vcc_lo, s[36:37], v[58:59]
	v_cndmask_b32_e32 v69, 0x7fffffff, v59, vcc_lo
	v_cndmask_b32_e32 v68, -1, v58, vcc_lo
	s_delay_alu instid0(VALU_DEP_1) | instskip(NEXT) | instid1(VALU_DEP_1)
	v_lshrrev_b64 v[68:69], s43, v[68:69]
	v_and_b32_e32 v68, s51, v68
	s_delay_alu instid0(VALU_DEP_1)
	v_and_b32_e32 v69, 1, v68
	v_lshlrev_b32_e32 v70, 30, v68
	v_lshlrev_b32_e32 v71, 29, v68
	;; [unrolled: 1-line block ×4, first 2 shown]
	v_add_co_u32 v69, s16, v69, -1
	s_delay_alu instid0(VALU_DEP_1)
	v_cndmask_b32_e64 v73, 0, 1, s16
	v_not_b32_e32 v192, v70
	v_cmp_gt_i32_e64 s16, 0, v70
	v_not_b32_e32 v70, v71
	v_lshlrev_b32_e32 v75, 26, v68
	v_cmp_ne_u32_e32 vcc_lo, 0, v73
	v_ashrrev_i32_e32 v192, 31, v192
	v_lshlrev_b32_e32 v191, 25, v68
	v_ashrrev_i32_e32 v70, 31, v70
	v_lshlrev_b32_e32 v73, 24, v68
	v_xor_b32_e32 v69, vcc_lo, v69
	v_cmp_gt_i32_e32 vcc_lo, 0, v71
	v_not_b32_e32 v71, v72
	v_xor_b32_e32 v192, s16, v192
	v_cmp_gt_i32_e64 s16, 0, v72
	v_and_b32_e32 v69, exec_lo, v69
	v_not_b32_e32 v72, v74
	v_ashrrev_i32_e32 v71, 31, v71
	v_xor_b32_e32 v70, vcc_lo, v70
	v_cmp_gt_i32_e32 vcc_lo, 0, v74
	v_and_b32_e32 v69, v69, v192
	v_not_b32_e32 v74, v75
	v_ashrrev_i32_e32 v72, 31, v72
	v_xor_b32_e32 v71, s16, v71
	v_cmp_gt_i32_e64 s16, 0, v75
	v_and_b32_e32 v69, v69, v70
	v_not_b32_e32 v70, v191
	v_ashrrev_i32_e32 v74, 31, v74
	v_xor_b32_e32 v72, vcc_lo, v72
	v_cmp_gt_i32_e32 vcc_lo, 0, v191
	v_and_b32_e32 v69, v69, v71
	v_not_b32_e32 v71, v73
	v_ashrrev_i32_e32 v70, 31, v70
	v_xor_b32_e32 v74, s16, v74
	v_mul_u32_u24_e32 v68, 9, v68
	v_and_b32_e32 v69, v69, v72
	v_cmp_gt_i32_e64 s16, 0, v73
	v_ashrrev_i32_e32 v71, 31, v71
	v_xor_b32_e32 v70, vcc_lo, v70
	v_add_lshl_u32 v72, v68, v158, 2
	v_and_b32_e32 v69, v69, v74
	s_delay_alu instid0(VALU_DEP_4) | instskip(SKIP_3) | instid1(VALU_DEP_2)
	v_xor_b32_e32 v68, s16, v71
	ds_load_b32 v191, v72 offset:1056
	v_and_b32_e32 v69, v69, v70
	v_add_nc_u32_e32 v193, 0x420, v72
	; wave barrier
	v_and_b32_e32 v68, v69, v68
	s_delay_alu instid0(VALU_DEP_1) | instskip(SKIP_1) | instid1(VALU_DEP_2)
	v_mbcnt_lo_u32_b32 v192, v68, 0
	v_cmp_ne_u32_e64 s16, 0, v68
	v_cmp_eq_u32_e32 vcc_lo, 0, v192
	s_delay_alu instid0(VALU_DEP_2) | instskip(NEXT) | instid1(SALU_CYCLE_1)
	s_and_b32 s17, s16, vcc_lo
	s_and_saveexec_b32 s16, s17
	s_cbranch_execz .LBB1126_442
; %bb.441:                              ;   in Loop: Header=BB1126_393 Depth=2
	s_waitcnt lgkmcnt(0)
	v_bcnt_u32_b32 v68, v68, v191
	ds_store_b32 v193, v68
.LBB1126_442:                           ;   in Loop: Header=BB1126_393 Depth=2
	s_or_b32 exec_lo, exec_lo, s16
	v_cmp_gt_i64_e32 vcc_lo, 0, v[62:63]
	v_ashrrev_i32_e32 v68, 31, v63
	; wave barrier
	s_delay_alu instid0(VALU_DEP_1) | instskip(SKIP_1) | instid1(VALU_DEP_2)
	v_not_b32_e32 v68, v68
	v_cndmask_b32_e64 v69, 0x7fffffff, 0, vcc_lo
	v_xor_b32_e32 v62, v68, v62
	s_delay_alu instid0(VALU_DEP_2) | instskip(NEXT) | instid1(VALU_DEP_1)
	v_xor_b32_e32 v63, v69, v63
	v_cmp_ne_u64_e32 vcc_lo, s[36:37], v[62:63]
	v_cndmask_b32_e32 v69, 0x7fffffff, v63, vcc_lo
	v_cndmask_b32_e32 v68, -1, v62, vcc_lo
	s_delay_alu instid0(VALU_DEP_1) | instskip(NEXT) | instid1(VALU_DEP_1)
	v_lshrrev_b64 v[68:69], s43, v[68:69]
	v_and_b32_e32 v68, s51, v68
	s_delay_alu instid0(VALU_DEP_1)
	v_and_b32_e32 v69, 1, v68
	v_lshlrev_b32_e32 v70, 30, v68
	v_lshlrev_b32_e32 v71, 29, v68
	;; [unrolled: 1-line block ×4, first 2 shown]
	v_add_co_u32 v69, s16, v69, -1
	s_delay_alu instid0(VALU_DEP_1)
	v_cndmask_b32_e64 v73, 0, 1, s16
	v_not_b32_e32 v195, v70
	v_cmp_gt_i32_e64 s16, 0, v70
	v_not_b32_e32 v70, v71
	v_lshlrev_b32_e32 v75, 26, v68
	v_cmp_ne_u32_e32 vcc_lo, 0, v73
	v_ashrrev_i32_e32 v195, 31, v195
	v_lshlrev_b32_e32 v194, 25, v68
	v_ashrrev_i32_e32 v70, 31, v70
	v_lshlrev_b32_e32 v73, 24, v68
	v_xor_b32_e32 v69, vcc_lo, v69
	v_cmp_gt_i32_e32 vcc_lo, 0, v71
	v_not_b32_e32 v71, v72
	v_xor_b32_e32 v195, s16, v195
	v_cmp_gt_i32_e64 s16, 0, v72
	v_and_b32_e32 v69, exec_lo, v69
	v_not_b32_e32 v72, v74
	v_ashrrev_i32_e32 v71, 31, v71
	v_xor_b32_e32 v70, vcc_lo, v70
	v_cmp_gt_i32_e32 vcc_lo, 0, v74
	v_and_b32_e32 v69, v69, v195
	v_not_b32_e32 v74, v75
	v_ashrrev_i32_e32 v72, 31, v72
	v_xor_b32_e32 v71, s16, v71
	v_cmp_gt_i32_e64 s16, 0, v75
	v_and_b32_e32 v69, v69, v70
	v_not_b32_e32 v70, v194
	v_ashrrev_i32_e32 v74, 31, v74
	v_xor_b32_e32 v72, vcc_lo, v72
	v_cmp_gt_i32_e32 vcc_lo, 0, v194
	v_and_b32_e32 v69, v69, v71
	v_not_b32_e32 v71, v73
	v_ashrrev_i32_e32 v70, 31, v70
	v_xor_b32_e32 v74, s16, v74
	v_mul_u32_u24_e32 v68, 9, v68
	v_and_b32_e32 v69, v69, v72
	v_cmp_gt_i32_e64 s16, 0, v73
	v_ashrrev_i32_e32 v71, 31, v71
	v_xor_b32_e32 v70, vcc_lo, v70
	v_add_lshl_u32 v72, v68, v158, 2
	v_and_b32_e32 v69, v69, v74
	s_delay_alu instid0(VALU_DEP_4) | instskip(SKIP_3) | instid1(VALU_DEP_2)
	v_xor_b32_e32 v68, s16, v71
	ds_load_b32 v194, v72 offset:1056
	v_and_b32_e32 v69, v69, v70
	v_add_nc_u32_e32 v196, 0x420, v72
	; wave barrier
	v_and_b32_e32 v68, v69, v68
	s_delay_alu instid0(VALU_DEP_1) | instskip(SKIP_1) | instid1(VALU_DEP_2)
	v_mbcnt_lo_u32_b32 v195, v68, 0
	v_cmp_ne_u32_e64 s16, 0, v68
	v_cmp_eq_u32_e32 vcc_lo, 0, v195
	s_delay_alu instid0(VALU_DEP_2) | instskip(NEXT) | instid1(SALU_CYCLE_1)
	s_and_b32 s17, s16, vcc_lo
	s_and_saveexec_b32 s16, s17
	s_cbranch_execz .LBB1126_444
; %bb.443:                              ;   in Loop: Header=BB1126_393 Depth=2
	s_waitcnt lgkmcnt(0)
	v_bcnt_u32_b32 v68, v68, v194
	ds_store_b32 v196, v68
.LBB1126_444:                           ;   in Loop: Header=BB1126_393 Depth=2
	s_or_b32 exec_lo, exec_lo, s16
	v_cmp_gt_i64_e32 vcc_lo, 0, v[66:67]
	v_ashrrev_i32_e32 v68, 31, v67
	; wave barrier
	s_delay_alu instid0(VALU_DEP_1) | instskip(SKIP_1) | instid1(VALU_DEP_2)
	v_not_b32_e32 v68, v68
	v_cndmask_b32_e64 v69, 0x7fffffff, 0, vcc_lo
	v_xor_b32_e32 v66, v68, v66
	s_delay_alu instid0(VALU_DEP_2) | instskip(NEXT) | instid1(VALU_DEP_1)
	v_xor_b32_e32 v67, v69, v67
	v_cmp_ne_u64_e32 vcc_lo, s[36:37], v[66:67]
	v_cndmask_b32_e32 v69, 0x7fffffff, v67, vcc_lo
	v_cndmask_b32_e32 v68, -1, v66, vcc_lo
	s_delay_alu instid0(VALU_DEP_1) | instskip(NEXT) | instid1(VALU_DEP_1)
	v_lshrrev_b64 v[68:69], s43, v[68:69]
	v_and_b32_e32 v68, s51, v68
	s_delay_alu instid0(VALU_DEP_1)
	v_and_b32_e32 v69, 1, v68
	v_lshlrev_b32_e32 v70, 30, v68
	v_lshlrev_b32_e32 v71, 29, v68
	;; [unrolled: 1-line block ×4, first 2 shown]
	v_add_co_u32 v69, s16, v69, -1
	s_delay_alu instid0(VALU_DEP_1)
	v_cndmask_b32_e64 v73, 0, 1, s16
	v_not_b32_e32 v198, v70
	v_cmp_gt_i32_e64 s16, 0, v70
	v_not_b32_e32 v70, v71
	v_lshlrev_b32_e32 v75, 26, v68
	v_cmp_ne_u32_e32 vcc_lo, 0, v73
	v_ashrrev_i32_e32 v198, 31, v198
	v_lshlrev_b32_e32 v197, 25, v68
	v_ashrrev_i32_e32 v70, 31, v70
	v_lshlrev_b32_e32 v73, 24, v68
	v_xor_b32_e32 v69, vcc_lo, v69
	v_cmp_gt_i32_e32 vcc_lo, 0, v71
	v_not_b32_e32 v71, v72
	v_xor_b32_e32 v198, s16, v198
	v_cmp_gt_i32_e64 s16, 0, v72
	v_and_b32_e32 v69, exec_lo, v69
	v_not_b32_e32 v72, v74
	v_ashrrev_i32_e32 v71, 31, v71
	v_xor_b32_e32 v70, vcc_lo, v70
	v_cmp_gt_i32_e32 vcc_lo, 0, v74
	v_and_b32_e32 v69, v69, v198
	v_not_b32_e32 v74, v75
	v_ashrrev_i32_e32 v72, 31, v72
	v_xor_b32_e32 v71, s16, v71
	v_cmp_gt_i32_e64 s16, 0, v75
	v_and_b32_e32 v69, v69, v70
	v_not_b32_e32 v70, v197
	v_ashrrev_i32_e32 v74, 31, v74
	v_xor_b32_e32 v72, vcc_lo, v72
	v_cmp_gt_i32_e32 vcc_lo, 0, v197
	v_and_b32_e32 v69, v69, v71
	v_not_b32_e32 v71, v73
	v_ashrrev_i32_e32 v70, 31, v70
	v_xor_b32_e32 v74, s16, v74
	v_mul_u32_u24_e32 v68, 9, v68
	v_and_b32_e32 v69, v69, v72
	v_cmp_gt_i32_e64 s16, 0, v73
	v_ashrrev_i32_e32 v71, 31, v71
	v_xor_b32_e32 v70, vcc_lo, v70
	v_add_lshl_u32 v72, v68, v158, 2
	v_and_b32_e32 v69, v69, v74
	s_delay_alu instid0(VALU_DEP_4) | instskip(SKIP_3) | instid1(VALU_DEP_2)
	v_xor_b32_e32 v68, s16, v71
	ds_load_b32 v197, v72 offset:1056
	v_and_b32_e32 v69, v69, v70
	v_add_nc_u32_e32 v199, 0x420, v72
	; wave barrier
	v_and_b32_e32 v68, v69, v68
	s_delay_alu instid0(VALU_DEP_1) | instskip(SKIP_1) | instid1(VALU_DEP_2)
	v_mbcnt_lo_u32_b32 v198, v68, 0
	v_cmp_ne_u32_e64 s16, 0, v68
	v_cmp_eq_u32_e32 vcc_lo, 0, v198
	s_delay_alu instid0(VALU_DEP_2) | instskip(NEXT) | instid1(SALU_CYCLE_1)
	s_and_b32 s17, s16, vcc_lo
	s_and_saveexec_b32 s16, s17
	s_cbranch_execz .LBB1126_446
; %bb.445:                              ;   in Loop: Header=BB1126_393 Depth=2
	s_waitcnt lgkmcnt(0)
	v_bcnt_u32_b32 v68, v68, v197
	ds_store_b32 v199, v68
.LBB1126_446:                           ;   in Loop: Header=BB1126_393 Depth=2
	s_or_b32 exec_lo, exec_lo, s16
	v_cmp_gt_i64_e32 vcc_lo, 0, v[64:65]
	v_ashrrev_i32_e32 v68, 31, v65
	; wave barrier
	s_delay_alu instid0(VALU_DEP_1) | instskip(SKIP_1) | instid1(VALU_DEP_2)
	v_not_b32_e32 v68, v68
	v_cndmask_b32_e64 v69, 0x7fffffff, 0, vcc_lo
	v_xor_b32_e32 v64, v68, v64
	s_delay_alu instid0(VALU_DEP_2) | instskip(NEXT) | instid1(VALU_DEP_1)
	v_xor_b32_e32 v65, v69, v65
	v_cmp_ne_u64_e32 vcc_lo, s[36:37], v[64:65]
	v_cndmask_b32_e32 v69, 0x7fffffff, v65, vcc_lo
	v_cndmask_b32_e32 v68, -1, v64, vcc_lo
	s_delay_alu instid0(VALU_DEP_1) | instskip(NEXT) | instid1(VALU_DEP_1)
	v_lshrrev_b64 v[68:69], s43, v[68:69]
	v_and_b32_e32 v68, s51, v68
	s_delay_alu instid0(VALU_DEP_1)
	v_and_b32_e32 v69, 1, v68
	v_lshlrev_b32_e32 v70, 30, v68
	v_lshlrev_b32_e32 v71, 29, v68
	v_lshlrev_b32_e32 v72, 28, v68
	v_lshlrev_b32_e32 v74, 27, v68
	v_add_co_u32 v69, s16, v69, -1
	s_delay_alu instid0(VALU_DEP_1)
	v_cndmask_b32_e64 v73, 0, 1, s16
	v_not_b32_e32 v201, v70
	v_cmp_gt_i32_e64 s16, 0, v70
	v_not_b32_e32 v70, v71
	v_lshlrev_b32_e32 v75, 26, v68
	v_cmp_ne_u32_e32 vcc_lo, 0, v73
	v_ashrrev_i32_e32 v201, 31, v201
	v_lshlrev_b32_e32 v200, 25, v68
	v_ashrrev_i32_e32 v70, 31, v70
	v_lshlrev_b32_e32 v73, 24, v68
	v_xor_b32_e32 v69, vcc_lo, v69
	v_cmp_gt_i32_e32 vcc_lo, 0, v71
	v_not_b32_e32 v71, v72
	v_xor_b32_e32 v201, s16, v201
	v_cmp_gt_i32_e64 s16, 0, v72
	v_and_b32_e32 v69, exec_lo, v69
	v_not_b32_e32 v72, v74
	v_ashrrev_i32_e32 v71, 31, v71
	v_xor_b32_e32 v70, vcc_lo, v70
	v_cmp_gt_i32_e32 vcc_lo, 0, v74
	v_and_b32_e32 v69, v69, v201
	v_not_b32_e32 v74, v75
	v_ashrrev_i32_e32 v72, 31, v72
	v_xor_b32_e32 v71, s16, v71
	v_cmp_gt_i32_e64 s16, 0, v75
	v_and_b32_e32 v69, v69, v70
	v_not_b32_e32 v70, v200
	v_ashrrev_i32_e32 v74, 31, v74
	v_xor_b32_e32 v72, vcc_lo, v72
	v_cmp_gt_i32_e32 vcc_lo, 0, v200
	v_and_b32_e32 v69, v69, v71
	v_not_b32_e32 v71, v73
	v_ashrrev_i32_e32 v70, 31, v70
	v_xor_b32_e32 v74, s16, v74
	v_mul_u32_u24_e32 v68, 9, v68
	v_and_b32_e32 v69, v69, v72
	v_cmp_gt_i32_e64 s16, 0, v73
	v_ashrrev_i32_e32 v71, 31, v71
	v_xor_b32_e32 v70, vcc_lo, v70
	v_add_lshl_u32 v72, v68, v158, 2
	v_and_b32_e32 v69, v69, v74
	s_delay_alu instid0(VALU_DEP_4) | instskip(SKIP_3) | instid1(VALU_DEP_2)
	v_xor_b32_e32 v68, s16, v71
	ds_load_b32 v200, v72 offset:1056
	v_and_b32_e32 v69, v69, v70
	v_add_nc_u32_e32 v202, 0x420, v72
	; wave barrier
	v_and_b32_e32 v68, v69, v68
	s_delay_alu instid0(VALU_DEP_1) | instskip(SKIP_1) | instid1(VALU_DEP_2)
	v_mbcnt_lo_u32_b32 v201, v68, 0
	v_cmp_ne_u32_e64 s16, 0, v68
	v_cmp_eq_u32_e32 vcc_lo, 0, v201
	s_delay_alu instid0(VALU_DEP_2) | instskip(NEXT) | instid1(SALU_CYCLE_1)
	s_and_b32 s17, s16, vcc_lo
	s_and_saveexec_b32 s16, s17
	s_cbranch_execz .LBB1126_448
; %bb.447:                              ;   in Loop: Header=BB1126_393 Depth=2
	s_waitcnt lgkmcnt(0)
	v_bcnt_u32_b32 v68, v68, v200
	ds_store_b32 v202, v68
.LBB1126_448:                           ;   in Loop: Header=BB1126_393 Depth=2
	s_or_b32 exec_lo, exec_lo, s16
	v_cmp_gt_i64_e32 vcc_lo, 0, v[60:61]
	v_ashrrev_i32_e32 v68, 31, v61
	; wave barrier
	s_delay_alu instid0(VALU_DEP_1) | instskip(SKIP_1) | instid1(VALU_DEP_2)
	v_not_b32_e32 v68, v68
	v_cndmask_b32_e64 v69, 0x7fffffff, 0, vcc_lo
	v_xor_b32_e32 v60, v68, v60
	s_delay_alu instid0(VALU_DEP_2) | instskip(NEXT) | instid1(VALU_DEP_1)
	v_xor_b32_e32 v61, v69, v61
	v_cmp_ne_u64_e32 vcc_lo, s[36:37], v[60:61]
	v_cndmask_b32_e32 v69, 0x7fffffff, v61, vcc_lo
	v_cndmask_b32_e32 v68, -1, v60, vcc_lo
	s_delay_alu instid0(VALU_DEP_1) | instskip(NEXT) | instid1(VALU_DEP_1)
	v_lshrrev_b64 v[68:69], s43, v[68:69]
	v_and_b32_e32 v68, s51, v68
	s_delay_alu instid0(VALU_DEP_1)
	v_and_b32_e32 v69, 1, v68
	v_lshlrev_b32_e32 v70, 30, v68
	v_lshlrev_b32_e32 v71, 29, v68
	;; [unrolled: 1-line block ×4, first 2 shown]
	v_add_co_u32 v69, s16, v69, -1
	s_delay_alu instid0(VALU_DEP_1)
	v_cndmask_b32_e64 v73, 0, 1, s16
	v_not_b32_e32 v204, v70
	v_cmp_gt_i32_e64 s16, 0, v70
	v_not_b32_e32 v70, v71
	v_lshlrev_b32_e32 v75, 26, v68
	v_cmp_ne_u32_e32 vcc_lo, 0, v73
	v_ashrrev_i32_e32 v204, 31, v204
	v_lshlrev_b32_e32 v203, 25, v68
	v_ashrrev_i32_e32 v70, 31, v70
	v_lshlrev_b32_e32 v73, 24, v68
	v_xor_b32_e32 v69, vcc_lo, v69
	v_cmp_gt_i32_e32 vcc_lo, 0, v71
	v_not_b32_e32 v71, v72
	v_xor_b32_e32 v204, s16, v204
	v_cmp_gt_i32_e64 s16, 0, v72
	v_and_b32_e32 v69, exec_lo, v69
	v_not_b32_e32 v72, v74
	v_ashrrev_i32_e32 v71, 31, v71
	v_xor_b32_e32 v70, vcc_lo, v70
	v_cmp_gt_i32_e32 vcc_lo, 0, v74
	v_and_b32_e32 v69, v69, v204
	v_not_b32_e32 v74, v75
	v_ashrrev_i32_e32 v72, 31, v72
	v_xor_b32_e32 v71, s16, v71
	v_cmp_gt_i32_e64 s16, 0, v75
	v_and_b32_e32 v69, v69, v70
	v_not_b32_e32 v70, v203
	v_ashrrev_i32_e32 v74, 31, v74
	v_xor_b32_e32 v72, vcc_lo, v72
	v_cmp_gt_i32_e32 vcc_lo, 0, v203
	v_and_b32_e32 v69, v69, v71
	v_not_b32_e32 v71, v73
	v_ashrrev_i32_e32 v70, 31, v70
	v_xor_b32_e32 v74, s16, v74
	v_mul_u32_u24_e32 v68, 9, v68
	v_and_b32_e32 v69, v69, v72
	v_cmp_gt_i32_e64 s16, 0, v73
	v_ashrrev_i32_e32 v71, 31, v71
	v_xor_b32_e32 v70, vcc_lo, v70
	v_add_lshl_u32 v72, v68, v158, 2
	v_and_b32_e32 v69, v69, v74
	s_delay_alu instid0(VALU_DEP_4) | instskip(SKIP_3) | instid1(VALU_DEP_2)
	v_xor_b32_e32 v68, s16, v71
	ds_load_b32 v203, v72 offset:1056
	v_and_b32_e32 v69, v69, v70
	v_add_nc_u32_e32 v205, 0x420, v72
	; wave barrier
	v_and_b32_e32 v68, v69, v68
	s_delay_alu instid0(VALU_DEP_1) | instskip(SKIP_1) | instid1(VALU_DEP_2)
	v_mbcnt_lo_u32_b32 v204, v68, 0
	v_cmp_ne_u32_e64 s16, 0, v68
	v_cmp_eq_u32_e32 vcc_lo, 0, v204
	s_delay_alu instid0(VALU_DEP_2) | instskip(NEXT) | instid1(SALU_CYCLE_1)
	s_and_b32 s17, s16, vcc_lo
	s_and_saveexec_b32 s16, s17
	s_cbranch_execz .LBB1126_450
; %bb.449:                              ;   in Loop: Header=BB1126_393 Depth=2
	s_waitcnt lgkmcnt(0)
	v_bcnt_u32_b32 v68, v68, v203
	ds_store_b32 v205, v68
.LBB1126_450:                           ;   in Loop: Header=BB1126_393 Depth=2
	s_or_b32 exec_lo, exec_lo, s16
	v_cmp_gt_i64_e32 vcc_lo, 0, v[56:57]
	v_ashrrev_i32_e32 v68, 31, v57
	; wave barrier
	s_delay_alu instid0(VALU_DEP_1) | instskip(SKIP_1) | instid1(VALU_DEP_2)
	v_not_b32_e32 v68, v68
	v_cndmask_b32_e64 v69, 0x7fffffff, 0, vcc_lo
	v_xor_b32_e32 v56, v68, v56
	s_delay_alu instid0(VALU_DEP_2) | instskip(NEXT) | instid1(VALU_DEP_1)
	v_xor_b32_e32 v57, v69, v57
	v_cmp_ne_u64_e32 vcc_lo, s[36:37], v[56:57]
	v_cndmask_b32_e32 v69, 0x7fffffff, v57, vcc_lo
	v_cndmask_b32_e32 v68, -1, v56, vcc_lo
	s_delay_alu instid0(VALU_DEP_1) | instskip(NEXT) | instid1(VALU_DEP_1)
	v_lshrrev_b64 v[68:69], s43, v[68:69]
	v_and_b32_e32 v68, s51, v68
	s_delay_alu instid0(VALU_DEP_1)
	v_and_b32_e32 v69, 1, v68
	v_lshlrev_b32_e32 v70, 30, v68
	v_lshlrev_b32_e32 v71, 29, v68
	v_lshlrev_b32_e32 v72, 28, v68
	v_lshlrev_b32_e32 v74, 27, v68
	v_add_co_u32 v69, s16, v69, -1
	s_delay_alu instid0(VALU_DEP_1)
	v_cndmask_b32_e64 v73, 0, 1, s16
	v_not_b32_e32 v207, v70
	v_cmp_gt_i32_e64 s16, 0, v70
	v_not_b32_e32 v70, v71
	v_lshlrev_b32_e32 v75, 26, v68
	v_cmp_ne_u32_e32 vcc_lo, 0, v73
	v_ashrrev_i32_e32 v207, 31, v207
	v_lshlrev_b32_e32 v206, 25, v68
	v_ashrrev_i32_e32 v70, 31, v70
	v_lshlrev_b32_e32 v73, 24, v68
	v_xor_b32_e32 v69, vcc_lo, v69
	v_cmp_gt_i32_e32 vcc_lo, 0, v71
	v_not_b32_e32 v71, v72
	v_xor_b32_e32 v207, s16, v207
	v_cmp_gt_i32_e64 s16, 0, v72
	v_and_b32_e32 v69, exec_lo, v69
	v_not_b32_e32 v72, v74
	v_ashrrev_i32_e32 v71, 31, v71
	v_xor_b32_e32 v70, vcc_lo, v70
	v_cmp_gt_i32_e32 vcc_lo, 0, v74
	v_and_b32_e32 v69, v69, v207
	v_not_b32_e32 v74, v75
	v_ashrrev_i32_e32 v72, 31, v72
	v_xor_b32_e32 v71, s16, v71
	v_cmp_gt_i32_e64 s16, 0, v75
	v_and_b32_e32 v69, v69, v70
	v_not_b32_e32 v70, v206
	v_ashrrev_i32_e32 v74, 31, v74
	v_xor_b32_e32 v72, vcc_lo, v72
	v_cmp_gt_i32_e32 vcc_lo, 0, v206
	v_and_b32_e32 v69, v69, v71
	v_not_b32_e32 v71, v73
	v_ashrrev_i32_e32 v70, 31, v70
	v_xor_b32_e32 v74, s16, v74
	v_mul_u32_u24_e32 v68, 9, v68
	v_and_b32_e32 v69, v69, v72
	v_cmp_gt_i32_e64 s16, 0, v73
	v_ashrrev_i32_e32 v71, 31, v71
	v_xor_b32_e32 v70, vcc_lo, v70
	v_add_lshl_u32 v72, v68, v158, 2
	v_and_b32_e32 v69, v69, v74
	s_delay_alu instid0(VALU_DEP_4) | instskip(SKIP_3) | instid1(VALU_DEP_2)
	v_xor_b32_e32 v68, s16, v71
	ds_load_b32 v206, v72 offset:1056
	v_and_b32_e32 v69, v69, v70
	v_add_nc_u32_e32 v208, 0x420, v72
	; wave barrier
	v_and_b32_e32 v68, v69, v68
	s_delay_alu instid0(VALU_DEP_1) | instskip(SKIP_1) | instid1(VALU_DEP_2)
	v_mbcnt_lo_u32_b32 v207, v68, 0
	v_cmp_ne_u32_e64 s16, 0, v68
	v_cmp_eq_u32_e32 vcc_lo, 0, v207
	s_delay_alu instid0(VALU_DEP_2) | instskip(NEXT) | instid1(SALU_CYCLE_1)
	s_and_b32 s17, s16, vcc_lo
	s_and_saveexec_b32 s16, s17
	s_cbranch_execz .LBB1126_452
; %bb.451:                              ;   in Loop: Header=BB1126_393 Depth=2
	s_waitcnt lgkmcnt(0)
	v_bcnt_u32_b32 v68, v68, v206
	ds_store_b32 v208, v68
.LBB1126_452:                           ;   in Loop: Header=BB1126_393 Depth=2
	s_or_b32 exec_lo, exec_lo, s16
	v_cmp_gt_i64_e32 vcc_lo, 0, v[52:53]
	v_ashrrev_i32_e32 v68, 31, v53
	; wave barrier
	s_delay_alu instid0(VALU_DEP_1) | instskip(SKIP_1) | instid1(VALU_DEP_2)
	v_not_b32_e32 v68, v68
	v_cndmask_b32_e64 v69, 0x7fffffff, 0, vcc_lo
	v_xor_b32_e32 v52, v68, v52
	s_delay_alu instid0(VALU_DEP_2) | instskip(NEXT) | instid1(VALU_DEP_1)
	v_xor_b32_e32 v53, v69, v53
	v_cmp_ne_u64_e32 vcc_lo, s[36:37], v[52:53]
	v_cndmask_b32_e32 v69, 0x7fffffff, v53, vcc_lo
	v_cndmask_b32_e32 v68, -1, v52, vcc_lo
	s_delay_alu instid0(VALU_DEP_1) | instskip(NEXT) | instid1(VALU_DEP_1)
	v_lshrrev_b64 v[68:69], s43, v[68:69]
	v_and_b32_e32 v68, s51, v68
	s_delay_alu instid0(VALU_DEP_1)
	v_and_b32_e32 v69, 1, v68
	v_lshlrev_b32_e32 v70, 30, v68
	v_lshlrev_b32_e32 v71, 29, v68
	;; [unrolled: 1-line block ×4, first 2 shown]
	v_add_co_u32 v69, s16, v69, -1
	s_delay_alu instid0(VALU_DEP_1)
	v_cndmask_b32_e64 v73, 0, 1, s16
	v_not_b32_e32 v210, v70
	v_cmp_gt_i32_e64 s16, 0, v70
	v_not_b32_e32 v70, v71
	v_lshlrev_b32_e32 v75, 26, v68
	v_cmp_ne_u32_e32 vcc_lo, 0, v73
	v_ashrrev_i32_e32 v210, 31, v210
	v_lshlrev_b32_e32 v209, 25, v68
	v_ashrrev_i32_e32 v70, 31, v70
	v_lshlrev_b32_e32 v73, 24, v68
	v_xor_b32_e32 v69, vcc_lo, v69
	v_cmp_gt_i32_e32 vcc_lo, 0, v71
	v_not_b32_e32 v71, v72
	v_xor_b32_e32 v210, s16, v210
	v_cmp_gt_i32_e64 s16, 0, v72
	v_and_b32_e32 v69, exec_lo, v69
	v_not_b32_e32 v72, v74
	v_ashrrev_i32_e32 v71, 31, v71
	v_xor_b32_e32 v70, vcc_lo, v70
	v_cmp_gt_i32_e32 vcc_lo, 0, v74
	v_and_b32_e32 v69, v69, v210
	v_not_b32_e32 v74, v75
	v_ashrrev_i32_e32 v72, 31, v72
	v_xor_b32_e32 v71, s16, v71
	v_cmp_gt_i32_e64 s16, 0, v75
	v_and_b32_e32 v69, v69, v70
	v_not_b32_e32 v70, v209
	v_ashrrev_i32_e32 v74, 31, v74
	v_xor_b32_e32 v72, vcc_lo, v72
	v_cmp_gt_i32_e32 vcc_lo, 0, v209
	v_and_b32_e32 v69, v69, v71
	v_not_b32_e32 v71, v73
	v_ashrrev_i32_e32 v70, 31, v70
	v_xor_b32_e32 v74, s16, v74
	v_mul_u32_u24_e32 v68, 9, v68
	v_and_b32_e32 v69, v69, v72
	v_cmp_gt_i32_e64 s16, 0, v73
	v_ashrrev_i32_e32 v71, 31, v71
	v_xor_b32_e32 v70, vcc_lo, v70
	v_add_lshl_u32 v72, v68, v158, 2
	v_and_b32_e32 v69, v69, v74
	s_delay_alu instid0(VALU_DEP_4) | instskip(SKIP_3) | instid1(VALU_DEP_2)
	v_xor_b32_e32 v68, s16, v71
	ds_load_b32 v209, v72 offset:1056
	v_and_b32_e32 v69, v69, v70
	v_add_nc_u32_e32 v211, 0x420, v72
	; wave barrier
	v_and_b32_e32 v68, v69, v68
	s_delay_alu instid0(VALU_DEP_1) | instskip(SKIP_1) | instid1(VALU_DEP_2)
	v_mbcnt_lo_u32_b32 v210, v68, 0
	v_cmp_ne_u32_e64 s16, 0, v68
	v_cmp_eq_u32_e32 vcc_lo, 0, v210
	s_delay_alu instid0(VALU_DEP_2) | instskip(NEXT) | instid1(SALU_CYCLE_1)
	s_and_b32 s17, s16, vcc_lo
	s_and_saveexec_b32 s16, s17
	s_cbranch_execz .LBB1126_454
; %bb.453:                              ;   in Loop: Header=BB1126_393 Depth=2
	s_waitcnt lgkmcnt(0)
	v_bcnt_u32_b32 v68, v68, v209
	ds_store_b32 v211, v68
.LBB1126_454:                           ;   in Loop: Header=BB1126_393 Depth=2
	s_or_b32 exec_lo, exec_lo, s16
	v_cmp_gt_i64_e32 vcc_lo, 0, v[50:51]
	v_ashrrev_i32_e32 v68, 31, v51
	; wave barrier
	s_delay_alu instid0(VALU_DEP_1) | instskip(SKIP_1) | instid1(VALU_DEP_2)
	v_not_b32_e32 v68, v68
	v_cndmask_b32_e64 v69, 0x7fffffff, 0, vcc_lo
	v_xor_b32_e32 v50, v68, v50
	s_delay_alu instid0(VALU_DEP_2) | instskip(NEXT) | instid1(VALU_DEP_1)
	v_xor_b32_e32 v51, v69, v51
	v_cmp_ne_u64_e32 vcc_lo, s[36:37], v[50:51]
	v_cndmask_b32_e32 v69, 0x7fffffff, v51, vcc_lo
	v_cndmask_b32_e32 v68, -1, v50, vcc_lo
	s_delay_alu instid0(VALU_DEP_1) | instskip(NEXT) | instid1(VALU_DEP_1)
	v_lshrrev_b64 v[68:69], s43, v[68:69]
	v_and_b32_e32 v68, s51, v68
	s_delay_alu instid0(VALU_DEP_1)
	v_and_b32_e32 v69, 1, v68
	v_lshlrev_b32_e32 v70, 30, v68
	v_lshlrev_b32_e32 v71, 29, v68
	;; [unrolled: 1-line block ×4, first 2 shown]
	v_add_co_u32 v69, s16, v69, -1
	s_delay_alu instid0(VALU_DEP_1)
	v_cndmask_b32_e64 v73, 0, 1, s16
	v_not_b32_e32 v213, v70
	v_cmp_gt_i32_e64 s16, 0, v70
	v_not_b32_e32 v70, v71
	v_lshlrev_b32_e32 v75, 26, v68
	v_cmp_ne_u32_e32 vcc_lo, 0, v73
	v_ashrrev_i32_e32 v213, 31, v213
	v_lshlrev_b32_e32 v212, 25, v68
	v_ashrrev_i32_e32 v70, 31, v70
	v_lshlrev_b32_e32 v73, 24, v68
	v_xor_b32_e32 v69, vcc_lo, v69
	v_cmp_gt_i32_e32 vcc_lo, 0, v71
	v_not_b32_e32 v71, v72
	v_xor_b32_e32 v213, s16, v213
	v_cmp_gt_i32_e64 s16, 0, v72
	v_and_b32_e32 v69, exec_lo, v69
	v_not_b32_e32 v72, v74
	v_ashrrev_i32_e32 v71, 31, v71
	v_xor_b32_e32 v70, vcc_lo, v70
	v_cmp_gt_i32_e32 vcc_lo, 0, v74
	v_and_b32_e32 v69, v69, v213
	v_not_b32_e32 v74, v75
	v_ashrrev_i32_e32 v72, 31, v72
	v_xor_b32_e32 v71, s16, v71
	v_cmp_gt_i32_e64 s16, 0, v75
	v_and_b32_e32 v69, v69, v70
	v_not_b32_e32 v70, v212
	v_ashrrev_i32_e32 v74, 31, v74
	v_xor_b32_e32 v72, vcc_lo, v72
	v_cmp_gt_i32_e32 vcc_lo, 0, v212
	v_and_b32_e32 v69, v69, v71
	v_not_b32_e32 v71, v73
	v_ashrrev_i32_e32 v70, 31, v70
	v_xor_b32_e32 v74, s16, v74
	v_mul_u32_u24_e32 v68, 9, v68
	v_and_b32_e32 v69, v69, v72
	v_cmp_gt_i32_e64 s16, 0, v73
	v_ashrrev_i32_e32 v71, 31, v71
	v_xor_b32_e32 v70, vcc_lo, v70
	v_add_lshl_u32 v72, v68, v158, 2
	v_and_b32_e32 v69, v69, v74
	s_delay_alu instid0(VALU_DEP_4) | instskip(SKIP_3) | instid1(VALU_DEP_2)
	v_xor_b32_e32 v68, s16, v71
	ds_load_b32 v212, v72 offset:1056
	v_and_b32_e32 v69, v69, v70
	v_add_nc_u32_e32 v214, 0x420, v72
	; wave barrier
	v_and_b32_e32 v68, v69, v68
	s_delay_alu instid0(VALU_DEP_1) | instskip(SKIP_1) | instid1(VALU_DEP_2)
	v_mbcnt_lo_u32_b32 v213, v68, 0
	v_cmp_ne_u32_e64 s16, 0, v68
	v_cmp_eq_u32_e32 vcc_lo, 0, v213
	s_delay_alu instid0(VALU_DEP_2) | instskip(NEXT) | instid1(SALU_CYCLE_1)
	s_and_b32 s17, s16, vcc_lo
	s_and_saveexec_b32 s16, s17
	s_cbranch_execz .LBB1126_456
; %bb.455:                              ;   in Loop: Header=BB1126_393 Depth=2
	s_waitcnt lgkmcnt(0)
	v_bcnt_u32_b32 v68, v68, v212
	ds_store_b32 v214, v68
.LBB1126_456:                           ;   in Loop: Header=BB1126_393 Depth=2
	s_or_b32 exec_lo, exec_lo, s16
	v_cmp_gt_i64_e32 vcc_lo, 0, v[46:47]
	v_ashrrev_i32_e32 v68, 31, v47
	; wave barrier
	s_delay_alu instid0(VALU_DEP_1) | instskip(SKIP_1) | instid1(VALU_DEP_2)
	v_not_b32_e32 v68, v68
	v_cndmask_b32_e64 v69, 0x7fffffff, 0, vcc_lo
	v_xor_b32_e32 v46, v68, v46
	s_delay_alu instid0(VALU_DEP_2) | instskip(NEXT) | instid1(VALU_DEP_1)
	v_xor_b32_e32 v47, v69, v47
	v_cmp_ne_u64_e32 vcc_lo, s[36:37], v[46:47]
	v_cndmask_b32_e32 v69, 0x7fffffff, v47, vcc_lo
	v_cndmask_b32_e32 v68, -1, v46, vcc_lo
	s_delay_alu instid0(VALU_DEP_1) | instskip(NEXT) | instid1(VALU_DEP_1)
	v_lshrrev_b64 v[68:69], s43, v[68:69]
	v_and_b32_e32 v68, s51, v68
	s_delay_alu instid0(VALU_DEP_1)
	v_and_b32_e32 v69, 1, v68
	v_lshlrev_b32_e32 v70, 30, v68
	v_lshlrev_b32_e32 v71, 29, v68
	;; [unrolled: 1-line block ×4, first 2 shown]
	v_add_co_u32 v69, s16, v69, -1
	s_delay_alu instid0(VALU_DEP_1)
	v_cndmask_b32_e64 v73, 0, 1, s16
	v_not_b32_e32 v216, v70
	v_cmp_gt_i32_e64 s16, 0, v70
	v_not_b32_e32 v70, v71
	v_lshlrev_b32_e32 v75, 26, v68
	v_cmp_ne_u32_e32 vcc_lo, 0, v73
	v_ashrrev_i32_e32 v216, 31, v216
	v_lshlrev_b32_e32 v215, 25, v68
	v_ashrrev_i32_e32 v70, 31, v70
	v_lshlrev_b32_e32 v73, 24, v68
	v_xor_b32_e32 v69, vcc_lo, v69
	v_cmp_gt_i32_e32 vcc_lo, 0, v71
	v_not_b32_e32 v71, v72
	v_xor_b32_e32 v216, s16, v216
	v_cmp_gt_i32_e64 s16, 0, v72
	v_and_b32_e32 v69, exec_lo, v69
	v_not_b32_e32 v72, v74
	v_ashrrev_i32_e32 v71, 31, v71
	v_xor_b32_e32 v70, vcc_lo, v70
	v_cmp_gt_i32_e32 vcc_lo, 0, v74
	v_and_b32_e32 v69, v69, v216
	v_not_b32_e32 v74, v75
	v_ashrrev_i32_e32 v72, 31, v72
	v_xor_b32_e32 v71, s16, v71
	v_cmp_gt_i32_e64 s16, 0, v75
	v_and_b32_e32 v69, v69, v70
	v_not_b32_e32 v70, v215
	v_ashrrev_i32_e32 v74, 31, v74
	v_xor_b32_e32 v72, vcc_lo, v72
	v_cmp_gt_i32_e32 vcc_lo, 0, v215
	v_and_b32_e32 v69, v69, v71
	v_not_b32_e32 v71, v73
	v_ashrrev_i32_e32 v70, 31, v70
	v_xor_b32_e32 v74, s16, v74
	v_mul_u32_u24_e32 v68, 9, v68
	v_and_b32_e32 v69, v69, v72
	v_cmp_gt_i32_e64 s16, 0, v73
	v_ashrrev_i32_e32 v71, 31, v71
	v_xor_b32_e32 v70, vcc_lo, v70
	v_add_lshl_u32 v72, v68, v158, 2
	v_and_b32_e32 v69, v69, v74
	s_delay_alu instid0(VALU_DEP_4) | instskip(SKIP_3) | instid1(VALU_DEP_2)
	v_xor_b32_e32 v68, s16, v71
	ds_load_b32 v215, v72 offset:1056
	v_and_b32_e32 v69, v69, v70
	v_add_nc_u32_e32 v217, 0x420, v72
	; wave barrier
	v_and_b32_e32 v68, v69, v68
	s_delay_alu instid0(VALU_DEP_1) | instskip(SKIP_1) | instid1(VALU_DEP_2)
	v_mbcnt_lo_u32_b32 v216, v68, 0
	v_cmp_ne_u32_e64 s16, 0, v68
	v_cmp_eq_u32_e32 vcc_lo, 0, v216
	s_delay_alu instid0(VALU_DEP_2) | instskip(NEXT) | instid1(SALU_CYCLE_1)
	s_and_b32 s17, s16, vcc_lo
	s_and_saveexec_b32 s16, s17
	s_cbranch_execz .LBB1126_458
; %bb.457:                              ;   in Loop: Header=BB1126_393 Depth=2
	s_waitcnt lgkmcnt(0)
	v_bcnt_u32_b32 v68, v68, v215
	ds_store_b32 v217, v68
.LBB1126_458:                           ;   in Loop: Header=BB1126_393 Depth=2
	s_or_b32 exec_lo, exec_lo, s16
	v_cmp_gt_i64_e32 vcc_lo, 0, v[40:41]
	v_ashrrev_i32_e32 v68, 31, v41
	; wave barrier
	s_delay_alu instid0(VALU_DEP_1) | instskip(SKIP_1) | instid1(VALU_DEP_2)
	v_not_b32_e32 v68, v68
	v_cndmask_b32_e64 v69, 0x7fffffff, 0, vcc_lo
	v_xor_b32_e32 v40, v68, v40
	s_delay_alu instid0(VALU_DEP_2) | instskip(NEXT) | instid1(VALU_DEP_1)
	v_xor_b32_e32 v41, v69, v41
	v_cmp_ne_u64_e32 vcc_lo, s[36:37], v[40:41]
	v_cndmask_b32_e32 v69, 0x7fffffff, v41, vcc_lo
	v_cndmask_b32_e32 v68, -1, v40, vcc_lo
	s_delay_alu instid0(VALU_DEP_1) | instskip(NEXT) | instid1(VALU_DEP_1)
	v_lshrrev_b64 v[68:69], s43, v[68:69]
	v_and_b32_e32 v68, s51, v68
	s_delay_alu instid0(VALU_DEP_1)
	v_and_b32_e32 v69, 1, v68
	v_lshlrev_b32_e32 v70, 30, v68
	v_lshlrev_b32_e32 v71, 29, v68
	;; [unrolled: 1-line block ×4, first 2 shown]
	v_add_co_u32 v69, s16, v69, -1
	s_delay_alu instid0(VALU_DEP_1)
	v_cndmask_b32_e64 v73, 0, 1, s16
	v_not_b32_e32 v219, v70
	v_cmp_gt_i32_e64 s16, 0, v70
	v_not_b32_e32 v70, v71
	v_lshlrev_b32_e32 v75, 26, v68
	v_cmp_ne_u32_e32 vcc_lo, 0, v73
	v_ashrrev_i32_e32 v219, 31, v219
	v_lshlrev_b32_e32 v218, 25, v68
	v_ashrrev_i32_e32 v70, 31, v70
	v_lshlrev_b32_e32 v73, 24, v68
	v_xor_b32_e32 v69, vcc_lo, v69
	v_cmp_gt_i32_e32 vcc_lo, 0, v71
	v_not_b32_e32 v71, v72
	v_xor_b32_e32 v219, s16, v219
	v_cmp_gt_i32_e64 s16, 0, v72
	v_and_b32_e32 v69, exec_lo, v69
	v_not_b32_e32 v72, v74
	v_ashrrev_i32_e32 v71, 31, v71
	v_xor_b32_e32 v70, vcc_lo, v70
	v_cmp_gt_i32_e32 vcc_lo, 0, v74
	v_and_b32_e32 v69, v69, v219
	v_not_b32_e32 v74, v75
	v_ashrrev_i32_e32 v72, 31, v72
	v_xor_b32_e32 v71, s16, v71
	v_cmp_gt_i32_e64 s16, 0, v75
	v_and_b32_e32 v69, v69, v70
	v_not_b32_e32 v70, v218
	v_ashrrev_i32_e32 v74, 31, v74
	v_xor_b32_e32 v72, vcc_lo, v72
	v_cmp_gt_i32_e32 vcc_lo, 0, v218
	v_and_b32_e32 v69, v69, v71
	v_not_b32_e32 v71, v73
	v_ashrrev_i32_e32 v70, 31, v70
	v_xor_b32_e32 v74, s16, v74
	v_mul_u32_u24_e32 v68, 9, v68
	v_and_b32_e32 v69, v69, v72
	v_cmp_gt_i32_e64 s16, 0, v73
	v_ashrrev_i32_e32 v71, 31, v71
	v_xor_b32_e32 v70, vcc_lo, v70
	v_add_lshl_u32 v72, v68, v158, 2
	v_and_b32_e32 v69, v69, v74
	s_delay_alu instid0(VALU_DEP_4) | instskip(SKIP_3) | instid1(VALU_DEP_2)
	v_xor_b32_e32 v68, s16, v71
	ds_load_b32 v218, v72 offset:1056
	v_and_b32_e32 v69, v69, v70
	v_add_nc_u32_e32 v220, 0x420, v72
	; wave barrier
	v_and_b32_e32 v68, v69, v68
	s_delay_alu instid0(VALU_DEP_1) | instskip(SKIP_1) | instid1(VALU_DEP_2)
	v_mbcnt_lo_u32_b32 v219, v68, 0
	v_cmp_ne_u32_e64 s16, 0, v68
	v_cmp_eq_u32_e32 vcc_lo, 0, v219
	s_delay_alu instid0(VALU_DEP_2) | instskip(NEXT) | instid1(SALU_CYCLE_1)
	s_and_b32 s17, s16, vcc_lo
	s_and_saveexec_b32 s16, s17
	s_cbranch_execz .LBB1126_460
; %bb.459:                              ;   in Loop: Header=BB1126_393 Depth=2
	s_waitcnt lgkmcnt(0)
	v_bcnt_u32_b32 v68, v68, v218
	ds_store_b32 v220, v68
.LBB1126_460:                           ;   in Loop: Header=BB1126_393 Depth=2
	s_or_b32 exec_lo, exec_lo, s16
	v_cmp_gt_i64_e32 vcc_lo, 0, v[42:43]
	v_ashrrev_i32_e32 v68, 31, v43
	; wave barrier
	s_delay_alu instid0(VALU_DEP_1) | instskip(SKIP_1) | instid1(VALU_DEP_2)
	v_not_b32_e32 v68, v68
	v_cndmask_b32_e64 v69, 0x7fffffff, 0, vcc_lo
	v_xor_b32_e32 v42, v68, v42
	s_delay_alu instid0(VALU_DEP_2) | instskip(NEXT) | instid1(VALU_DEP_1)
	v_xor_b32_e32 v43, v69, v43
	v_cmp_ne_u64_e32 vcc_lo, s[36:37], v[42:43]
	v_cndmask_b32_e32 v69, 0x7fffffff, v43, vcc_lo
	v_cndmask_b32_e32 v68, -1, v42, vcc_lo
	s_delay_alu instid0(VALU_DEP_1) | instskip(NEXT) | instid1(VALU_DEP_1)
	v_lshrrev_b64 v[68:69], s43, v[68:69]
	v_and_b32_e32 v68, s51, v68
	s_delay_alu instid0(VALU_DEP_1)
	v_and_b32_e32 v69, 1, v68
	v_lshlrev_b32_e32 v70, 30, v68
	v_lshlrev_b32_e32 v71, 29, v68
	;; [unrolled: 1-line block ×4, first 2 shown]
	v_add_co_u32 v69, s16, v69, -1
	s_delay_alu instid0(VALU_DEP_1)
	v_cndmask_b32_e64 v73, 0, 1, s16
	v_not_b32_e32 v222, v70
	v_cmp_gt_i32_e64 s16, 0, v70
	v_not_b32_e32 v70, v71
	v_lshlrev_b32_e32 v75, 26, v68
	v_cmp_ne_u32_e32 vcc_lo, 0, v73
	v_ashrrev_i32_e32 v222, 31, v222
	v_lshlrev_b32_e32 v221, 25, v68
	v_ashrrev_i32_e32 v70, 31, v70
	v_lshlrev_b32_e32 v73, 24, v68
	v_xor_b32_e32 v69, vcc_lo, v69
	v_cmp_gt_i32_e32 vcc_lo, 0, v71
	v_not_b32_e32 v71, v72
	v_xor_b32_e32 v222, s16, v222
	v_cmp_gt_i32_e64 s16, 0, v72
	v_and_b32_e32 v69, exec_lo, v69
	v_not_b32_e32 v72, v74
	v_ashrrev_i32_e32 v71, 31, v71
	v_xor_b32_e32 v70, vcc_lo, v70
	v_cmp_gt_i32_e32 vcc_lo, 0, v74
	v_and_b32_e32 v69, v69, v222
	v_not_b32_e32 v74, v75
	v_ashrrev_i32_e32 v72, 31, v72
	v_xor_b32_e32 v71, s16, v71
	v_cmp_gt_i32_e64 s16, 0, v75
	v_and_b32_e32 v69, v69, v70
	v_not_b32_e32 v70, v221
	v_ashrrev_i32_e32 v74, 31, v74
	v_xor_b32_e32 v72, vcc_lo, v72
	v_cmp_gt_i32_e32 vcc_lo, 0, v221
	v_and_b32_e32 v69, v69, v71
	v_not_b32_e32 v71, v73
	v_ashrrev_i32_e32 v70, 31, v70
	v_xor_b32_e32 v74, s16, v74
	v_mul_u32_u24_e32 v68, 9, v68
	v_and_b32_e32 v69, v69, v72
	v_cmp_gt_i32_e64 s16, 0, v73
	v_ashrrev_i32_e32 v71, 31, v71
	v_xor_b32_e32 v70, vcc_lo, v70
	v_add_lshl_u32 v72, v68, v158, 2
	v_and_b32_e32 v69, v69, v74
	s_delay_alu instid0(VALU_DEP_4) | instskip(SKIP_3) | instid1(VALU_DEP_2)
	v_xor_b32_e32 v68, s16, v71
	ds_load_b32 v221, v72 offset:1056
	v_and_b32_e32 v69, v69, v70
	v_add_nc_u32_e32 v223, 0x420, v72
	; wave barrier
	v_and_b32_e32 v68, v69, v68
	s_delay_alu instid0(VALU_DEP_1) | instskip(SKIP_1) | instid1(VALU_DEP_2)
	v_mbcnt_lo_u32_b32 v222, v68, 0
	v_cmp_ne_u32_e64 s16, 0, v68
	v_cmp_eq_u32_e32 vcc_lo, 0, v222
	s_delay_alu instid0(VALU_DEP_2) | instskip(NEXT) | instid1(SALU_CYCLE_1)
	s_and_b32 s17, s16, vcc_lo
	s_and_saveexec_b32 s16, s17
	s_cbranch_execz .LBB1126_462
; %bb.461:                              ;   in Loop: Header=BB1126_393 Depth=2
	s_waitcnt lgkmcnt(0)
	v_bcnt_u32_b32 v68, v68, v221
	ds_store_b32 v223, v68
.LBB1126_462:                           ;   in Loop: Header=BB1126_393 Depth=2
	s_or_b32 exec_lo, exec_lo, s16
	; wave barrier
	s_waitcnt lgkmcnt(0)
	s_barrier
	buffer_gl0_inv
	ds_load_b32 v224, v102 offset:1056
	ds_load_2addr_b32 v[74:75], v103 offset0:1 offset1:2
	ds_load_2addr_b32 v[72:73], v103 offset0:3 offset1:4
	;; [unrolled: 1-line block ×4, first 2 shown]
	s_waitcnt lgkmcnt(3)
	v_add3_u32 v225, v74, v224, v75
	s_waitcnt lgkmcnt(2)
	s_delay_alu instid0(VALU_DEP_1) | instskip(SKIP_1) | instid1(VALU_DEP_1)
	v_add3_u32 v225, v225, v72, v73
	s_waitcnt lgkmcnt(1)
	v_add3_u32 v225, v225, v68, v69
	s_waitcnt lgkmcnt(0)
	s_delay_alu instid0(VALU_DEP_1) | instskip(NEXT) | instid1(VALU_DEP_1)
	v_add3_u32 v71, v225, v70, v71
	v_mov_b32_dpp v225, v71 row_shr:1 row_mask:0xf bank_mask:0xf
	s_delay_alu instid0(VALU_DEP_1) | instskip(NEXT) | instid1(VALU_DEP_1)
	v_cndmask_b32_e64 v225, v225, 0, s1
	v_add_nc_u32_e32 v71, v225, v71
	s_delay_alu instid0(VALU_DEP_1) | instskip(NEXT) | instid1(VALU_DEP_1)
	v_mov_b32_dpp v225, v71 row_shr:2 row_mask:0xf bank_mask:0xf
	v_cndmask_b32_e64 v225, 0, v225, s7
	s_delay_alu instid0(VALU_DEP_1) | instskip(NEXT) | instid1(VALU_DEP_1)
	v_add_nc_u32_e32 v71, v71, v225
	v_mov_b32_dpp v225, v71 row_shr:4 row_mask:0xf bank_mask:0xf
	s_delay_alu instid0(VALU_DEP_1) | instskip(NEXT) | instid1(VALU_DEP_1)
	v_cndmask_b32_e64 v225, 0, v225, s8
	v_add_nc_u32_e32 v71, v71, v225
	s_delay_alu instid0(VALU_DEP_1) | instskip(NEXT) | instid1(VALU_DEP_1)
	v_mov_b32_dpp v225, v71 row_shr:8 row_mask:0xf bank_mask:0xf
	v_cndmask_b32_e64 v225, 0, v225, s9
	s_delay_alu instid0(VALU_DEP_1) | instskip(SKIP_3) | instid1(VALU_DEP_1)
	v_add_nc_u32_e32 v71, v71, v225
	ds_swizzle_b32 v225, v71 offset:swizzle(BROADCAST,32,15)
	s_waitcnt lgkmcnt(0)
	v_cndmask_b32_e64 v225, v225, 0, s10
	v_add_nc_u32_e32 v71, v71, v225
	s_and_saveexec_b32 s16, s3
	s_cbranch_execz .LBB1126_464
; %bb.463:                              ;   in Loop: Header=BB1126_393 Depth=2
	ds_store_b32 v94, v71 offset:1024
.LBB1126_464:                           ;   in Loop: Header=BB1126_393 Depth=2
	s_or_b32 exec_lo, exec_lo, s16
	s_waitcnt lgkmcnt(0)
	s_barrier
	buffer_gl0_inv
	s_and_saveexec_b32 s16, s4
	s_cbranch_execz .LBB1126_466
; %bb.465:                              ;   in Loop: Header=BB1126_393 Depth=2
	ds_load_b32 v225, v104 offset:1024
	s_waitcnt lgkmcnt(0)
	v_mov_b32_dpp v226, v225 row_shr:1 row_mask:0xf bank_mask:0xf
	s_delay_alu instid0(VALU_DEP_1) | instskip(NEXT) | instid1(VALU_DEP_1)
	v_cndmask_b32_e64 v226, v226, 0, s12
	v_add_nc_u32_e32 v225, v226, v225
	s_delay_alu instid0(VALU_DEP_1) | instskip(NEXT) | instid1(VALU_DEP_1)
	v_mov_b32_dpp v226, v225 row_shr:2 row_mask:0xf bank_mask:0xf
	v_cndmask_b32_e64 v226, 0, v226, s13
	s_delay_alu instid0(VALU_DEP_1) | instskip(NEXT) | instid1(VALU_DEP_1)
	v_add_nc_u32_e32 v225, v225, v226
	v_mov_b32_dpp v226, v225 row_shr:4 row_mask:0xf bank_mask:0xf
	s_delay_alu instid0(VALU_DEP_1) | instskip(NEXT) | instid1(VALU_DEP_1)
	v_cndmask_b32_e64 v226, 0, v226, s14
	v_add_nc_u32_e32 v225, v225, v226
	ds_store_b32 v104, v225 offset:1024
.LBB1126_466:                           ;   in Loop: Header=BB1126_393 Depth=2
	s_or_b32 exec_lo, exec_lo, s16
	v_mov_b32_e32 v225, 0
	s_waitcnt lgkmcnt(0)
	s_barrier
	buffer_gl0_inv
	s_and_saveexec_b32 s16, s5
	s_cbranch_execz .LBB1126_468
; %bb.467:                              ;   in Loop: Header=BB1126_393 Depth=2
	ds_load_b32 v225, v94 offset:1020
.LBB1126_468:                           ;   in Loop: Header=BB1126_393 Depth=2
	s_or_b32 exec_lo, exec_lo, s16
	s_waitcnt lgkmcnt(0)
	v_add_nc_u32_e32 v71, v225, v71
	ds_bpermute_b32 v71, v137, v71
	s_waitcnt lgkmcnt(0)
	v_cndmask_b32_e64 v71, v71, v225, s11
	s_delay_alu instid0(VALU_DEP_1) | instskip(NEXT) | instid1(VALU_DEP_1)
	v_cndmask_b32_e64 v71, v71, 0, s0
	v_add_nc_u32_e32 v224, v71, v224
	s_delay_alu instid0(VALU_DEP_1) | instskip(NEXT) | instid1(VALU_DEP_1)
	v_add_nc_u32_e32 v74, v224, v74
	v_add_nc_u32_e32 v75, v74, v75
	s_delay_alu instid0(VALU_DEP_1) | instskip(NEXT) | instid1(VALU_DEP_1)
	v_add_nc_u32_e32 v72, v75, v72
	;; [unrolled: 3-line block ×3, first 2 shown]
	v_add_nc_u32_e32 v69, v68, v69
	s_delay_alu instid0(VALU_DEP_1)
	v_add_nc_u32_e32 v70, v69, v70
	ds_store_b32 v102, v71 offset:1056
	ds_store_2addr_b32 v103, v224, v74 offset0:1 offset1:2
	ds_store_2addr_b32 v103, v75, v72 offset0:3 offset1:4
	;; [unrolled: 1-line block ×4, first 2 shown]
	v_mov_b32_e32 v68, 0x1000
	s_waitcnt lgkmcnt(0)
	s_barrier
	buffer_gl0_inv
	ds_load_b32 v70, v181
	ds_load_b32 v71, v184
	;; [unrolled: 1-line block ×16, first 2 shown]
	ds_load_b32 v178, v102 offset:1056
	s_and_saveexec_b32 s16, s6
	s_cbranch_execz .LBB1126_470
; %bb.469:                              ;   in Loop: Header=BB1126_393 Depth=2
	ds_load_b32 v68, v105 offset:1056
.LBB1126_470:                           ;   in Loop: Header=BB1126_393 Depth=2
	s_or_b32 exec_lo, exec_lo, s16
	s_waitcnt lgkmcnt(0)
	s_barrier
	buffer_gl0_inv
	s_and_saveexec_b32 s16, s2
	s_cbranch_execz .LBB1126_472
; %bb.471:                              ;   in Loop: Header=BB1126_393 Depth=2
	ds_load_b32 v202, v76
	s_waitcnt lgkmcnt(0)
	v_sub_nc_u32_e32 v178, v202, v178
	ds_store_b32 v76, v178
.LBB1126_472:                           ;   in Loop: Header=BB1126_393 Depth=2
	s_or_b32 exec_lo, exec_lo, s16
	v_add_nc_u32_e32 v179, v180, v179
	v_add_lshl_u32 v69, v69, v2, 3
	v_add_nc_u32_e32 v2, v183, v182
	v_add_nc_u32_e32 v180, v186, v185
	;; [unrolled: 1-line block ×8, first 2 shown]
	v_add_lshl_u32 v70, v179, v70, 3
	v_add_lshl_u32 v71, v2, v71, 3
	v_add_nc_u32_e32 v200, v201, v200
	v_add_lshl_u32 v72, v180, v72, 3
	v_add_nc_u32_e32 v203, v204, v203
	;; [unrolled: 2-line block ×3, first 2 shown]
	v_add_nc_u32_e32 v202, v219, v218
	v_add_nc_u32_e32 v205, v216, v215
	;; [unrolled: 1-line block ×3, first 2 shown]
	ds_store_b64 v69, v[36:37] offset:1024
	ds_store_b64 v70, v[38:39] offset:1024
	v_add_lshl_u32 v38, v191, v225, 3
	ds_store_b64 v71, v[44:45] offset:1024
	ds_store_b64 v72, v[48:49] offset:1024
	ds_store_b64 v73, v[54:55] offset:1024
	v_add_lshl_u32 v39, v194, v224, 3
	v_add_lshl_u32 v44, v197, v199, 3
	;; [unrolled: 1-line block ×6, first 2 shown]
	ds_store_b64 v38, v[58:59] offset:1024
	ds_store_b64 v39, v[62:63] offset:1024
	;; [unrolled: 1-line block ×6, first 2 shown]
	v_add_lshl_u32 v55, v208, v184, 3
	v_add_lshl_u32 v56, v205, v181, 3
	;; [unrolled: 1-line block ×3, first 2 shown]
	ds_store_b64 v54, v[52:53] offset:1024
	v_add_lshl_u32 v52, v178, v74, 3
	v_cmp_lt_u32_e32 vcc_lo, v1, v177
	ds_store_b64 v55, v[50:51] offset:1024
	ds_store_b64 v56, v[46:47] offset:1024
	;; [unrolled: 1-line block ×4, first 2 shown]
	s_waitcnt lgkmcnt(0)
	s_barrier
	buffer_gl0_inv
	s_and_saveexec_b32 s17, vcc_lo
	s_cbranch_execz .LBB1126_488
; %bb.473:                              ;   in Loop: Header=BB1126_393 Depth=2
	v_add_nc_u32_e32 v2, v104, v76
	ds_load_b64 v[36:37], v2 offset:1024
	s_waitcnt lgkmcnt(0)
	v_cmp_ne_u64_e64 s16, s[36:37], v[36:37]
	s_delay_alu instid0(VALU_DEP_1) | instskip(SKIP_2) | instid1(VALU_DEP_2)
	v_cndmask_b32_e64 v41, 0x7fffffff, v37, s16
	v_cndmask_b32_e64 v40, -1, v36, s16
	v_cmp_gt_i64_e64 s16, 0, v[36:37]
	v_lshrrev_b64 v[40:41], s43, v[40:41]
	s_delay_alu instid0(VALU_DEP_2) | instskip(NEXT) | instid1(VALU_DEP_2)
	v_cndmask_b32_e64 v42, 0x7fffffff, 0, s16
	v_and_b32_e32 v2, s51, v40
	v_ashrrev_i32_e32 v40, 31, v37
	s_delay_alu instid0(VALU_DEP_3) | instskip(NEXT) | instid1(VALU_DEP_3)
	v_xor_b32_e32 v37, v42, v37
	v_lshlrev_b32_e32 v2, 2, v2
	s_delay_alu instid0(VALU_DEP_3) | instskip(SKIP_4) | instid1(VALU_DEP_1)
	v_not_b32_e32 v43, v40
	ds_load_b32 v2, v2
	v_xor_b32_e32 v36, v43, v36
	s_waitcnt lgkmcnt(0)
	v_add_nc_u32_e32 v2, v2, v1
	v_lshlrev_b64 v[40:41], 3, v[2:3]
	s_delay_alu instid0(VALU_DEP_1) | instskip(NEXT) | instid1(VALU_DEP_1)
	v_add_co_u32 v40, s16, s48, v40
	v_add_co_ci_u32_e64 v41, s16, s49, v41, s16
	global_store_b64 v[40:41], v[36:37], off
	s_or_b32 exec_lo, exec_lo, s17
	v_cmp_lt_u32_e64 s16, v77, v177
	s_delay_alu instid0(VALU_DEP_1)
	s_and_saveexec_b32 s18, s16
	s_cbranch_execnz .LBB1126_489
.LBB1126_474:                           ;   in Loop: Header=BB1126_393 Depth=2
	s_or_b32 exec_lo, exec_lo, s18
	v_cmp_lt_u32_e64 s17, v78, v177
	s_delay_alu instid0(VALU_DEP_1)
	s_and_saveexec_b32 s19, s17
	s_cbranch_execz .LBB1126_490
.LBB1126_475:                           ;   in Loop: Header=BB1126_393 Depth=2
	ds_load_b64 v[36:37], v110 offset:4096
	s_waitcnt lgkmcnt(0)
	v_cmp_ne_u64_e64 s18, s[36:37], v[36:37]
	s_delay_alu instid0(VALU_DEP_1) | instskip(SKIP_2) | instid1(VALU_DEP_2)
	v_cndmask_b32_e64 v41, 0x7fffffff, v37, s18
	v_cndmask_b32_e64 v40, -1, v36, s18
	v_cmp_gt_i64_e64 s18, 0, v[36:37]
	v_lshrrev_b64 v[40:41], s43, v[40:41]
	s_delay_alu instid0(VALU_DEP_2) | instskip(NEXT) | instid1(VALU_DEP_2)
	v_cndmask_b32_e64 v42, 0x7fffffff, 0, s18
	v_and_b32_e32 v2, s51, v40
	v_ashrrev_i32_e32 v40, 31, v37
	s_delay_alu instid0(VALU_DEP_3) | instskip(NEXT) | instid1(VALU_DEP_3)
	v_xor_b32_e32 v37, v42, v37
	v_lshlrev_b32_e32 v2, 2, v2
	s_delay_alu instid0(VALU_DEP_3) | instskip(SKIP_4) | instid1(VALU_DEP_1)
	v_not_b32_e32 v43, v40
	ds_load_b32 v2, v2
	v_xor_b32_e32 v36, v43, v36
	s_waitcnt lgkmcnt(0)
	v_add_nc_u32_e32 v2, v2, v78
	v_lshlrev_b64 v[40:41], 3, v[2:3]
	s_delay_alu instid0(VALU_DEP_1) | instskip(NEXT) | instid1(VALU_DEP_1)
	v_add_co_u32 v40, s18, s48, v40
	v_add_co_ci_u32_e64 v41, s18, s49, v41, s18
	global_store_b64 v[40:41], v[36:37], off
	s_or_b32 exec_lo, exec_lo, s19
	v_cmp_lt_u32_e64 s18, v79, v177
	s_delay_alu instid0(VALU_DEP_1)
	s_and_saveexec_b32 s20, s18
	s_cbranch_execnz .LBB1126_491
.LBB1126_476:                           ;   in Loop: Header=BB1126_393 Depth=2
	s_or_b32 exec_lo, exec_lo, s20
	v_cmp_lt_u32_e64 s19, v83, v177
	s_delay_alu instid0(VALU_DEP_1)
	s_and_saveexec_b32 s21, s19
	s_cbranch_execz .LBB1126_492
.LBB1126_477:                           ;   in Loop: Header=BB1126_393 Depth=2
	ds_load_b64 v[36:37], v110 offset:8192
	s_waitcnt lgkmcnt(0)
	v_cmp_ne_u64_e64 s20, s[36:37], v[36:37]
	s_delay_alu instid0(VALU_DEP_1) | instskip(SKIP_2) | instid1(VALU_DEP_2)
	v_cndmask_b32_e64 v41, 0x7fffffff, v37, s20
	v_cndmask_b32_e64 v40, -1, v36, s20
	v_cmp_gt_i64_e64 s20, 0, v[36:37]
	v_lshrrev_b64 v[40:41], s43, v[40:41]
	s_delay_alu instid0(VALU_DEP_2) | instskip(NEXT) | instid1(VALU_DEP_2)
	v_cndmask_b32_e64 v42, 0x7fffffff, 0, s20
	v_and_b32_e32 v2, s51, v40
	v_ashrrev_i32_e32 v40, 31, v37
	s_delay_alu instid0(VALU_DEP_3) | instskip(NEXT) | instid1(VALU_DEP_3)
	v_xor_b32_e32 v37, v42, v37
	v_lshlrev_b32_e32 v2, 2, v2
	s_delay_alu instid0(VALU_DEP_3) | instskip(SKIP_4) | instid1(VALU_DEP_1)
	v_not_b32_e32 v43, v40
	ds_load_b32 v2, v2
	v_xor_b32_e32 v36, v43, v36
	s_waitcnt lgkmcnt(0)
	v_add_nc_u32_e32 v2, v2, v83
	v_lshlrev_b64 v[40:41], 3, v[2:3]
	s_delay_alu instid0(VALU_DEP_1) | instskip(NEXT) | instid1(VALU_DEP_1)
	v_add_co_u32 v40, s20, s48, v40
	v_add_co_ci_u32_e64 v41, s20, s49, v41, s20
	global_store_b64 v[40:41], v[36:37], off
	s_or_b32 exec_lo, exec_lo, s21
	v_cmp_lt_u32_e64 s20, v84, v177
	s_delay_alu instid0(VALU_DEP_1)
	s_and_saveexec_b32 s22, s20
	s_cbranch_execnz .LBB1126_493
.LBB1126_478:                           ;   in Loop: Header=BB1126_393 Depth=2
	s_or_b32 exec_lo, exec_lo, s22
	v_cmp_lt_u32_e64 s21, v85, v177
	s_delay_alu instid0(VALU_DEP_1)
	s_and_saveexec_b32 s23, s21
	s_cbranch_execz .LBB1126_494
.LBB1126_479:                           ;   in Loop: Header=BB1126_393 Depth=2
	ds_load_b64 v[36:37], v110 offset:12288
	s_waitcnt lgkmcnt(0)
	v_cmp_ne_u64_e64 s22, s[36:37], v[36:37]
	s_delay_alu instid0(VALU_DEP_1) | instskip(SKIP_2) | instid1(VALU_DEP_2)
	v_cndmask_b32_e64 v41, 0x7fffffff, v37, s22
	v_cndmask_b32_e64 v40, -1, v36, s22
	v_cmp_gt_i64_e64 s22, 0, v[36:37]
	v_lshrrev_b64 v[40:41], s43, v[40:41]
	s_delay_alu instid0(VALU_DEP_2) | instskip(NEXT) | instid1(VALU_DEP_2)
	v_cndmask_b32_e64 v42, 0x7fffffff, 0, s22
	v_and_b32_e32 v2, s51, v40
	v_ashrrev_i32_e32 v40, 31, v37
	s_delay_alu instid0(VALU_DEP_3) | instskip(NEXT) | instid1(VALU_DEP_3)
	v_xor_b32_e32 v37, v42, v37
	v_lshlrev_b32_e32 v2, 2, v2
	s_delay_alu instid0(VALU_DEP_3) | instskip(SKIP_4) | instid1(VALU_DEP_1)
	v_not_b32_e32 v43, v40
	ds_load_b32 v2, v2
	v_xor_b32_e32 v36, v43, v36
	s_waitcnt lgkmcnt(0)
	v_add_nc_u32_e32 v2, v2, v85
	v_lshlrev_b64 v[40:41], 3, v[2:3]
	s_delay_alu instid0(VALU_DEP_1) | instskip(NEXT) | instid1(VALU_DEP_1)
	v_add_co_u32 v40, s22, s48, v40
	v_add_co_ci_u32_e64 v41, s22, s49, v41, s22
	global_store_b64 v[40:41], v[36:37], off
	s_or_b32 exec_lo, exec_lo, s23
	v_cmp_lt_u32_e64 s22, v86, v177
	s_delay_alu instid0(VALU_DEP_1)
	s_and_saveexec_b32 s24, s22
	s_cbranch_execnz .LBB1126_495
.LBB1126_480:                           ;   in Loop: Header=BB1126_393 Depth=2
	s_or_b32 exec_lo, exec_lo, s24
	v_cmp_lt_u32_e64 s23, v87, v177
	s_delay_alu instid0(VALU_DEP_1)
	s_and_saveexec_b32 s25, s23
	s_cbranch_execz .LBB1126_496
.LBB1126_481:                           ;   in Loop: Header=BB1126_393 Depth=2
	ds_load_b64 v[36:37], v110 offset:16384
	s_waitcnt lgkmcnt(0)
	v_cmp_ne_u64_e64 s24, s[36:37], v[36:37]
	s_delay_alu instid0(VALU_DEP_1) | instskip(SKIP_2) | instid1(VALU_DEP_2)
	v_cndmask_b32_e64 v41, 0x7fffffff, v37, s24
	v_cndmask_b32_e64 v40, -1, v36, s24
	v_cmp_gt_i64_e64 s24, 0, v[36:37]
	v_lshrrev_b64 v[40:41], s43, v[40:41]
	s_delay_alu instid0(VALU_DEP_2) | instskip(NEXT) | instid1(VALU_DEP_2)
	v_cndmask_b32_e64 v42, 0x7fffffff, 0, s24
	v_and_b32_e32 v2, s51, v40
	v_ashrrev_i32_e32 v40, 31, v37
	s_delay_alu instid0(VALU_DEP_3) | instskip(NEXT) | instid1(VALU_DEP_3)
	v_xor_b32_e32 v37, v42, v37
	v_lshlrev_b32_e32 v2, 2, v2
	s_delay_alu instid0(VALU_DEP_3) | instskip(SKIP_4) | instid1(VALU_DEP_1)
	v_not_b32_e32 v43, v40
	ds_load_b32 v2, v2
	v_xor_b32_e32 v36, v43, v36
	s_waitcnt lgkmcnt(0)
	v_add_nc_u32_e32 v2, v2, v87
	v_lshlrev_b64 v[40:41], 3, v[2:3]
	s_delay_alu instid0(VALU_DEP_1) | instskip(NEXT) | instid1(VALU_DEP_1)
	v_add_co_u32 v40, s24, s48, v40
	v_add_co_ci_u32_e64 v41, s24, s49, v41, s24
	global_store_b64 v[40:41], v[36:37], off
	s_or_b32 exec_lo, exec_lo, s25
	v_cmp_lt_u32_e64 s24, v88, v177
	s_delay_alu instid0(VALU_DEP_1)
	s_and_saveexec_b32 s26, s24
	s_cbranch_execnz .LBB1126_497
.LBB1126_482:                           ;   in Loop: Header=BB1126_393 Depth=2
	s_or_b32 exec_lo, exec_lo, s26
	v_cmp_lt_u32_e64 s25, v89, v177
	s_delay_alu instid0(VALU_DEP_1)
	s_and_saveexec_b32 s27, s25
	s_cbranch_execz .LBB1126_498
.LBB1126_483:                           ;   in Loop: Header=BB1126_393 Depth=2
	ds_load_b64 v[36:37], v110 offset:20480
	s_waitcnt lgkmcnt(0)
	v_cmp_ne_u64_e64 s26, s[36:37], v[36:37]
	s_delay_alu instid0(VALU_DEP_1) | instskip(SKIP_2) | instid1(VALU_DEP_2)
	v_cndmask_b32_e64 v41, 0x7fffffff, v37, s26
	v_cndmask_b32_e64 v40, -1, v36, s26
	v_cmp_gt_i64_e64 s26, 0, v[36:37]
	v_lshrrev_b64 v[40:41], s43, v[40:41]
	s_delay_alu instid0(VALU_DEP_2) | instskip(NEXT) | instid1(VALU_DEP_2)
	v_cndmask_b32_e64 v42, 0x7fffffff, 0, s26
	v_and_b32_e32 v2, s51, v40
	v_ashrrev_i32_e32 v40, 31, v37
	s_delay_alu instid0(VALU_DEP_3) | instskip(NEXT) | instid1(VALU_DEP_3)
	v_xor_b32_e32 v37, v42, v37
	v_lshlrev_b32_e32 v2, 2, v2
	s_delay_alu instid0(VALU_DEP_3) | instskip(SKIP_4) | instid1(VALU_DEP_1)
	v_not_b32_e32 v43, v40
	ds_load_b32 v2, v2
	v_xor_b32_e32 v36, v43, v36
	s_waitcnt lgkmcnt(0)
	v_add_nc_u32_e32 v2, v2, v89
	v_lshlrev_b64 v[40:41], 3, v[2:3]
	s_delay_alu instid0(VALU_DEP_1) | instskip(NEXT) | instid1(VALU_DEP_1)
	v_add_co_u32 v40, s26, s48, v40
	v_add_co_ci_u32_e64 v41, s26, s49, v41, s26
	global_store_b64 v[40:41], v[36:37], off
	s_or_b32 exec_lo, exec_lo, s27
	v_cmp_lt_u32_e64 s26, v90, v177
	s_delay_alu instid0(VALU_DEP_1)
	s_and_saveexec_b32 s28, s26
	s_cbranch_execnz .LBB1126_499
.LBB1126_484:                           ;   in Loop: Header=BB1126_393 Depth=2
	s_or_b32 exec_lo, exec_lo, s28
	v_cmp_lt_u32_e64 s27, v91, v177
	s_delay_alu instid0(VALU_DEP_1)
	s_and_saveexec_b32 s29, s27
	s_cbranch_execz .LBB1126_500
.LBB1126_485:                           ;   in Loop: Header=BB1126_393 Depth=2
	ds_load_b64 v[36:37], v110 offset:24576
	s_waitcnt lgkmcnt(0)
	v_cmp_ne_u64_e64 s28, s[36:37], v[36:37]
	s_delay_alu instid0(VALU_DEP_1) | instskip(SKIP_2) | instid1(VALU_DEP_2)
	v_cndmask_b32_e64 v41, 0x7fffffff, v37, s28
	v_cndmask_b32_e64 v40, -1, v36, s28
	v_cmp_gt_i64_e64 s28, 0, v[36:37]
	v_lshrrev_b64 v[40:41], s43, v[40:41]
	s_delay_alu instid0(VALU_DEP_2) | instskip(NEXT) | instid1(VALU_DEP_2)
	v_cndmask_b32_e64 v42, 0x7fffffff, 0, s28
	v_and_b32_e32 v2, s51, v40
	v_ashrrev_i32_e32 v40, 31, v37
	s_delay_alu instid0(VALU_DEP_3) | instskip(NEXT) | instid1(VALU_DEP_3)
	v_xor_b32_e32 v37, v42, v37
	v_lshlrev_b32_e32 v2, 2, v2
	s_delay_alu instid0(VALU_DEP_3) | instskip(SKIP_4) | instid1(VALU_DEP_1)
	v_not_b32_e32 v43, v40
	ds_load_b32 v2, v2
	v_xor_b32_e32 v36, v43, v36
	s_waitcnt lgkmcnt(0)
	v_add_nc_u32_e32 v2, v2, v91
	v_lshlrev_b64 v[40:41], 3, v[2:3]
	s_delay_alu instid0(VALU_DEP_1) | instskip(NEXT) | instid1(VALU_DEP_1)
	v_add_co_u32 v40, s28, s48, v40
	v_add_co_ci_u32_e64 v41, s28, s49, v41, s28
	global_store_b64 v[40:41], v[36:37], off
	s_or_b32 exec_lo, exec_lo, s29
	v_cmp_lt_u32_e64 s28, v92, v177
	s_delay_alu instid0(VALU_DEP_1)
	s_and_saveexec_b32 s30, s28
	s_cbranch_execnz .LBB1126_501
.LBB1126_486:                           ;   in Loop: Header=BB1126_393 Depth=2
	s_or_b32 exec_lo, exec_lo, s30
	v_cmp_lt_u32_e64 s29, v93, v177
	s_delay_alu instid0(VALU_DEP_1)
	s_and_saveexec_b32 s31, s29
	s_cbranch_execz .LBB1126_502
.LBB1126_487:                           ;   in Loop: Header=BB1126_393 Depth=2
	ds_load_b64 v[36:37], v110 offset:28672
	s_waitcnt lgkmcnt(0)
	v_cmp_ne_u64_e64 s30, s[36:37], v[36:37]
	s_delay_alu instid0(VALU_DEP_1) | instskip(SKIP_2) | instid1(VALU_DEP_2)
	v_cndmask_b32_e64 v41, 0x7fffffff, v37, s30
	v_cndmask_b32_e64 v40, -1, v36, s30
	v_cmp_gt_i64_e64 s30, 0, v[36:37]
	v_lshrrev_b64 v[40:41], s43, v[40:41]
	s_delay_alu instid0(VALU_DEP_2) | instskip(NEXT) | instid1(VALU_DEP_2)
	v_cndmask_b32_e64 v42, 0x7fffffff, 0, s30
	v_and_b32_e32 v2, s51, v40
	v_ashrrev_i32_e32 v40, 31, v37
	s_delay_alu instid0(VALU_DEP_3) | instskip(NEXT) | instid1(VALU_DEP_3)
	v_xor_b32_e32 v37, v42, v37
	v_lshlrev_b32_e32 v2, 2, v2
	s_delay_alu instid0(VALU_DEP_3) | instskip(SKIP_4) | instid1(VALU_DEP_1)
	v_not_b32_e32 v43, v40
	ds_load_b32 v2, v2
	v_xor_b32_e32 v36, v43, v36
	s_waitcnt lgkmcnt(0)
	v_add_nc_u32_e32 v2, v2, v93
	v_lshlrev_b64 v[40:41], 3, v[2:3]
	s_delay_alu instid0(VALU_DEP_1) | instskip(NEXT) | instid1(VALU_DEP_1)
	v_add_co_u32 v40, s30, s48, v40
	v_add_co_ci_u32_e64 v41, s30, s49, v41, s30
	global_store_b64 v[40:41], v[36:37], off
	s_or_b32 exec_lo, exec_lo, s31
	v_cmp_lt_u32_e64 s30, v95, v177
	s_delay_alu instid0(VALU_DEP_1)
	s_and_saveexec_b32 s41, s30
	s_cbranch_execnz .LBB1126_503
	s_branch .LBB1126_504
.LBB1126_488:                           ;   in Loop: Header=BB1126_393 Depth=2
	s_or_b32 exec_lo, exec_lo, s17
	v_cmp_lt_u32_e64 s16, v77, v177
	s_delay_alu instid0(VALU_DEP_1)
	s_and_saveexec_b32 s18, s16
	s_cbranch_execz .LBB1126_474
.LBB1126_489:                           ;   in Loop: Header=BB1126_393 Depth=2
	ds_load_b64 v[36:37], v110 offset:2048
	s_waitcnt lgkmcnt(0)
	v_cmp_ne_u64_e64 s17, s[36:37], v[36:37]
	s_delay_alu instid0(VALU_DEP_1) | instskip(SKIP_2) | instid1(VALU_DEP_2)
	v_cndmask_b32_e64 v41, 0x7fffffff, v37, s17
	v_cndmask_b32_e64 v40, -1, v36, s17
	v_cmp_gt_i64_e64 s17, 0, v[36:37]
	v_lshrrev_b64 v[40:41], s43, v[40:41]
	s_delay_alu instid0(VALU_DEP_2) | instskip(NEXT) | instid1(VALU_DEP_2)
	v_cndmask_b32_e64 v42, 0x7fffffff, 0, s17
	v_and_b32_e32 v2, s51, v40
	v_ashrrev_i32_e32 v40, 31, v37
	s_delay_alu instid0(VALU_DEP_3) | instskip(NEXT) | instid1(VALU_DEP_3)
	v_xor_b32_e32 v37, v42, v37
	v_lshlrev_b32_e32 v2, 2, v2
	s_delay_alu instid0(VALU_DEP_3) | instskip(SKIP_4) | instid1(VALU_DEP_1)
	v_not_b32_e32 v43, v40
	ds_load_b32 v2, v2
	v_xor_b32_e32 v36, v43, v36
	s_waitcnt lgkmcnt(0)
	v_add_nc_u32_e32 v2, v2, v77
	v_lshlrev_b64 v[40:41], 3, v[2:3]
	s_delay_alu instid0(VALU_DEP_1) | instskip(NEXT) | instid1(VALU_DEP_1)
	v_add_co_u32 v40, s17, s48, v40
	v_add_co_ci_u32_e64 v41, s17, s49, v41, s17
	global_store_b64 v[40:41], v[36:37], off
	s_or_b32 exec_lo, exec_lo, s18
	v_cmp_lt_u32_e64 s17, v78, v177
	s_delay_alu instid0(VALU_DEP_1)
	s_and_saveexec_b32 s19, s17
	s_cbranch_execnz .LBB1126_475
.LBB1126_490:                           ;   in Loop: Header=BB1126_393 Depth=2
	s_or_b32 exec_lo, exec_lo, s19
	v_cmp_lt_u32_e64 s18, v79, v177
	s_delay_alu instid0(VALU_DEP_1)
	s_and_saveexec_b32 s20, s18
	s_cbranch_execz .LBB1126_476
.LBB1126_491:                           ;   in Loop: Header=BB1126_393 Depth=2
	ds_load_b64 v[36:37], v110 offset:6144
	s_waitcnt lgkmcnt(0)
	v_cmp_ne_u64_e64 s19, s[36:37], v[36:37]
	s_delay_alu instid0(VALU_DEP_1) | instskip(SKIP_2) | instid1(VALU_DEP_2)
	v_cndmask_b32_e64 v41, 0x7fffffff, v37, s19
	v_cndmask_b32_e64 v40, -1, v36, s19
	v_cmp_gt_i64_e64 s19, 0, v[36:37]
	v_lshrrev_b64 v[40:41], s43, v[40:41]
	s_delay_alu instid0(VALU_DEP_2) | instskip(NEXT) | instid1(VALU_DEP_2)
	v_cndmask_b32_e64 v42, 0x7fffffff, 0, s19
	v_and_b32_e32 v2, s51, v40
	v_ashrrev_i32_e32 v40, 31, v37
	s_delay_alu instid0(VALU_DEP_3) | instskip(NEXT) | instid1(VALU_DEP_3)
	v_xor_b32_e32 v37, v42, v37
	v_lshlrev_b32_e32 v2, 2, v2
	s_delay_alu instid0(VALU_DEP_3) | instskip(SKIP_4) | instid1(VALU_DEP_1)
	v_not_b32_e32 v43, v40
	ds_load_b32 v2, v2
	v_xor_b32_e32 v36, v43, v36
	s_waitcnt lgkmcnt(0)
	v_add_nc_u32_e32 v2, v2, v79
	v_lshlrev_b64 v[40:41], 3, v[2:3]
	s_delay_alu instid0(VALU_DEP_1) | instskip(NEXT) | instid1(VALU_DEP_1)
	v_add_co_u32 v40, s19, s48, v40
	v_add_co_ci_u32_e64 v41, s19, s49, v41, s19
	global_store_b64 v[40:41], v[36:37], off
	s_or_b32 exec_lo, exec_lo, s20
	v_cmp_lt_u32_e64 s19, v83, v177
	s_delay_alu instid0(VALU_DEP_1)
	s_and_saveexec_b32 s21, s19
	s_cbranch_execnz .LBB1126_477
.LBB1126_492:                           ;   in Loop: Header=BB1126_393 Depth=2
	s_or_b32 exec_lo, exec_lo, s21
	v_cmp_lt_u32_e64 s20, v84, v177
	s_delay_alu instid0(VALU_DEP_1)
	s_and_saveexec_b32 s22, s20
	s_cbranch_execz .LBB1126_478
.LBB1126_493:                           ;   in Loop: Header=BB1126_393 Depth=2
	ds_load_b64 v[36:37], v110 offset:10240
	s_waitcnt lgkmcnt(0)
	v_cmp_ne_u64_e64 s21, s[36:37], v[36:37]
	s_delay_alu instid0(VALU_DEP_1) | instskip(SKIP_2) | instid1(VALU_DEP_2)
	v_cndmask_b32_e64 v41, 0x7fffffff, v37, s21
	v_cndmask_b32_e64 v40, -1, v36, s21
	v_cmp_gt_i64_e64 s21, 0, v[36:37]
	v_lshrrev_b64 v[40:41], s43, v[40:41]
	s_delay_alu instid0(VALU_DEP_2) | instskip(NEXT) | instid1(VALU_DEP_2)
	v_cndmask_b32_e64 v42, 0x7fffffff, 0, s21
	v_and_b32_e32 v2, s51, v40
	v_ashrrev_i32_e32 v40, 31, v37
	s_delay_alu instid0(VALU_DEP_3) | instskip(NEXT) | instid1(VALU_DEP_3)
	v_xor_b32_e32 v37, v42, v37
	v_lshlrev_b32_e32 v2, 2, v2
	s_delay_alu instid0(VALU_DEP_3) | instskip(SKIP_4) | instid1(VALU_DEP_1)
	v_not_b32_e32 v43, v40
	ds_load_b32 v2, v2
	v_xor_b32_e32 v36, v43, v36
	s_waitcnt lgkmcnt(0)
	v_add_nc_u32_e32 v2, v2, v84
	v_lshlrev_b64 v[40:41], 3, v[2:3]
	s_delay_alu instid0(VALU_DEP_1) | instskip(NEXT) | instid1(VALU_DEP_1)
	v_add_co_u32 v40, s21, s48, v40
	v_add_co_ci_u32_e64 v41, s21, s49, v41, s21
	global_store_b64 v[40:41], v[36:37], off
	s_or_b32 exec_lo, exec_lo, s22
	v_cmp_lt_u32_e64 s21, v85, v177
	s_delay_alu instid0(VALU_DEP_1)
	s_and_saveexec_b32 s23, s21
	s_cbranch_execnz .LBB1126_479
.LBB1126_494:                           ;   in Loop: Header=BB1126_393 Depth=2
	s_or_b32 exec_lo, exec_lo, s23
	v_cmp_lt_u32_e64 s22, v86, v177
	s_delay_alu instid0(VALU_DEP_1)
	s_and_saveexec_b32 s24, s22
	s_cbranch_execz .LBB1126_480
.LBB1126_495:                           ;   in Loop: Header=BB1126_393 Depth=2
	ds_load_b64 v[36:37], v110 offset:14336
	s_waitcnt lgkmcnt(0)
	v_cmp_ne_u64_e64 s23, s[36:37], v[36:37]
	s_delay_alu instid0(VALU_DEP_1) | instskip(SKIP_2) | instid1(VALU_DEP_2)
	v_cndmask_b32_e64 v41, 0x7fffffff, v37, s23
	v_cndmask_b32_e64 v40, -1, v36, s23
	v_cmp_gt_i64_e64 s23, 0, v[36:37]
	v_lshrrev_b64 v[40:41], s43, v[40:41]
	s_delay_alu instid0(VALU_DEP_2) | instskip(NEXT) | instid1(VALU_DEP_2)
	v_cndmask_b32_e64 v42, 0x7fffffff, 0, s23
	v_and_b32_e32 v2, s51, v40
	v_ashrrev_i32_e32 v40, 31, v37
	s_delay_alu instid0(VALU_DEP_3) | instskip(NEXT) | instid1(VALU_DEP_3)
	v_xor_b32_e32 v37, v42, v37
	v_lshlrev_b32_e32 v2, 2, v2
	s_delay_alu instid0(VALU_DEP_3) | instskip(SKIP_4) | instid1(VALU_DEP_1)
	v_not_b32_e32 v43, v40
	ds_load_b32 v2, v2
	v_xor_b32_e32 v36, v43, v36
	s_waitcnt lgkmcnt(0)
	v_add_nc_u32_e32 v2, v2, v86
	v_lshlrev_b64 v[40:41], 3, v[2:3]
	s_delay_alu instid0(VALU_DEP_1) | instskip(NEXT) | instid1(VALU_DEP_1)
	v_add_co_u32 v40, s23, s48, v40
	v_add_co_ci_u32_e64 v41, s23, s49, v41, s23
	global_store_b64 v[40:41], v[36:37], off
	s_or_b32 exec_lo, exec_lo, s24
	v_cmp_lt_u32_e64 s23, v87, v177
	s_delay_alu instid0(VALU_DEP_1)
	s_and_saveexec_b32 s25, s23
	s_cbranch_execnz .LBB1126_481
.LBB1126_496:                           ;   in Loop: Header=BB1126_393 Depth=2
	s_or_b32 exec_lo, exec_lo, s25
	v_cmp_lt_u32_e64 s24, v88, v177
	s_delay_alu instid0(VALU_DEP_1)
	s_and_saveexec_b32 s26, s24
	s_cbranch_execz .LBB1126_482
.LBB1126_497:                           ;   in Loop: Header=BB1126_393 Depth=2
	ds_load_b64 v[36:37], v110 offset:18432
	s_waitcnt lgkmcnt(0)
	v_cmp_ne_u64_e64 s25, s[36:37], v[36:37]
	s_delay_alu instid0(VALU_DEP_1) | instskip(SKIP_2) | instid1(VALU_DEP_2)
	v_cndmask_b32_e64 v41, 0x7fffffff, v37, s25
	v_cndmask_b32_e64 v40, -1, v36, s25
	v_cmp_gt_i64_e64 s25, 0, v[36:37]
	v_lshrrev_b64 v[40:41], s43, v[40:41]
	s_delay_alu instid0(VALU_DEP_2) | instskip(NEXT) | instid1(VALU_DEP_2)
	v_cndmask_b32_e64 v42, 0x7fffffff, 0, s25
	v_and_b32_e32 v2, s51, v40
	v_ashrrev_i32_e32 v40, 31, v37
	s_delay_alu instid0(VALU_DEP_3) | instskip(NEXT) | instid1(VALU_DEP_3)
	v_xor_b32_e32 v37, v42, v37
	v_lshlrev_b32_e32 v2, 2, v2
	s_delay_alu instid0(VALU_DEP_3) | instskip(SKIP_4) | instid1(VALU_DEP_1)
	v_not_b32_e32 v43, v40
	ds_load_b32 v2, v2
	v_xor_b32_e32 v36, v43, v36
	s_waitcnt lgkmcnt(0)
	v_add_nc_u32_e32 v2, v2, v88
	v_lshlrev_b64 v[40:41], 3, v[2:3]
	s_delay_alu instid0(VALU_DEP_1) | instskip(NEXT) | instid1(VALU_DEP_1)
	v_add_co_u32 v40, s25, s48, v40
	v_add_co_ci_u32_e64 v41, s25, s49, v41, s25
	global_store_b64 v[40:41], v[36:37], off
	s_or_b32 exec_lo, exec_lo, s26
	v_cmp_lt_u32_e64 s25, v89, v177
	s_delay_alu instid0(VALU_DEP_1)
	s_and_saveexec_b32 s27, s25
	s_cbranch_execnz .LBB1126_483
.LBB1126_498:                           ;   in Loop: Header=BB1126_393 Depth=2
	s_or_b32 exec_lo, exec_lo, s27
	v_cmp_lt_u32_e64 s26, v90, v177
	s_delay_alu instid0(VALU_DEP_1)
	s_and_saveexec_b32 s28, s26
	s_cbranch_execz .LBB1126_484
.LBB1126_499:                           ;   in Loop: Header=BB1126_393 Depth=2
	ds_load_b64 v[36:37], v110 offset:22528
	s_waitcnt lgkmcnt(0)
	v_cmp_ne_u64_e64 s27, s[36:37], v[36:37]
	s_delay_alu instid0(VALU_DEP_1) | instskip(SKIP_2) | instid1(VALU_DEP_2)
	v_cndmask_b32_e64 v41, 0x7fffffff, v37, s27
	v_cndmask_b32_e64 v40, -1, v36, s27
	v_cmp_gt_i64_e64 s27, 0, v[36:37]
	v_lshrrev_b64 v[40:41], s43, v[40:41]
	s_delay_alu instid0(VALU_DEP_2) | instskip(NEXT) | instid1(VALU_DEP_2)
	v_cndmask_b32_e64 v42, 0x7fffffff, 0, s27
	v_and_b32_e32 v2, s51, v40
	v_ashrrev_i32_e32 v40, 31, v37
	s_delay_alu instid0(VALU_DEP_3) | instskip(NEXT) | instid1(VALU_DEP_3)
	v_xor_b32_e32 v37, v42, v37
	v_lshlrev_b32_e32 v2, 2, v2
	s_delay_alu instid0(VALU_DEP_3) | instskip(SKIP_4) | instid1(VALU_DEP_1)
	v_not_b32_e32 v43, v40
	ds_load_b32 v2, v2
	v_xor_b32_e32 v36, v43, v36
	s_waitcnt lgkmcnt(0)
	v_add_nc_u32_e32 v2, v2, v90
	v_lshlrev_b64 v[40:41], 3, v[2:3]
	s_delay_alu instid0(VALU_DEP_1) | instskip(NEXT) | instid1(VALU_DEP_1)
	v_add_co_u32 v40, s27, s48, v40
	v_add_co_ci_u32_e64 v41, s27, s49, v41, s27
	global_store_b64 v[40:41], v[36:37], off
	s_or_b32 exec_lo, exec_lo, s28
	v_cmp_lt_u32_e64 s27, v91, v177
	s_delay_alu instid0(VALU_DEP_1)
	s_and_saveexec_b32 s29, s27
	s_cbranch_execnz .LBB1126_485
.LBB1126_500:                           ;   in Loop: Header=BB1126_393 Depth=2
	s_or_b32 exec_lo, exec_lo, s29
	v_cmp_lt_u32_e64 s28, v92, v177
	s_delay_alu instid0(VALU_DEP_1)
	s_and_saveexec_b32 s30, s28
	s_cbranch_execz .LBB1126_486
.LBB1126_501:                           ;   in Loop: Header=BB1126_393 Depth=2
	ds_load_b64 v[36:37], v110 offset:26624
	s_waitcnt lgkmcnt(0)
	v_cmp_ne_u64_e64 s29, s[36:37], v[36:37]
	s_delay_alu instid0(VALU_DEP_1) | instskip(SKIP_2) | instid1(VALU_DEP_2)
	v_cndmask_b32_e64 v41, 0x7fffffff, v37, s29
	v_cndmask_b32_e64 v40, -1, v36, s29
	v_cmp_gt_i64_e64 s29, 0, v[36:37]
	v_lshrrev_b64 v[40:41], s43, v[40:41]
	s_delay_alu instid0(VALU_DEP_2) | instskip(NEXT) | instid1(VALU_DEP_2)
	v_cndmask_b32_e64 v42, 0x7fffffff, 0, s29
	v_and_b32_e32 v2, s51, v40
	v_ashrrev_i32_e32 v40, 31, v37
	s_delay_alu instid0(VALU_DEP_3) | instskip(NEXT) | instid1(VALU_DEP_3)
	v_xor_b32_e32 v37, v42, v37
	v_lshlrev_b32_e32 v2, 2, v2
	s_delay_alu instid0(VALU_DEP_3) | instskip(SKIP_4) | instid1(VALU_DEP_1)
	v_not_b32_e32 v43, v40
	ds_load_b32 v2, v2
	v_xor_b32_e32 v36, v43, v36
	s_waitcnt lgkmcnt(0)
	v_add_nc_u32_e32 v2, v2, v92
	v_lshlrev_b64 v[40:41], 3, v[2:3]
	s_delay_alu instid0(VALU_DEP_1) | instskip(NEXT) | instid1(VALU_DEP_1)
	v_add_co_u32 v40, s29, s48, v40
	v_add_co_ci_u32_e64 v41, s29, s49, v41, s29
	global_store_b64 v[40:41], v[36:37], off
	s_or_b32 exec_lo, exec_lo, s30
	v_cmp_lt_u32_e64 s29, v93, v177
	s_delay_alu instid0(VALU_DEP_1)
	s_and_saveexec_b32 s31, s29
	s_cbranch_execnz .LBB1126_487
.LBB1126_502:                           ;   in Loop: Header=BB1126_393 Depth=2
	s_or_b32 exec_lo, exec_lo, s31
	v_cmp_lt_u32_e64 s30, v95, v177
	s_delay_alu instid0(VALU_DEP_1)
	s_and_saveexec_b32 s41, s30
	s_cbranch_execz .LBB1126_504
.LBB1126_503:                           ;   in Loop: Header=BB1126_393 Depth=2
	ds_load_b64 v[36:37], v110 offset:30720
	s_waitcnt lgkmcnt(0)
	v_cmp_ne_u64_e64 s31, s[36:37], v[36:37]
	s_delay_alu instid0(VALU_DEP_1) | instskip(SKIP_2) | instid1(VALU_DEP_2)
	v_cndmask_b32_e64 v41, 0x7fffffff, v37, s31
	v_cndmask_b32_e64 v40, -1, v36, s31
	v_cmp_gt_i64_e64 s31, 0, v[36:37]
	v_lshrrev_b64 v[40:41], s43, v[40:41]
	s_delay_alu instid0(VALU_DEP_2) | instskip(NEXT) | instid1(VALU_DEP_2)
	v_cndmask_b32_e64 v42, 0x7fffffff, 0, s31
	v_and_b32_e32 v2, s51, v40
	v_ashrrev_i32_e32 v40, 31, v37
	s_delay_alu instid0(VALU_DEP_3) | instskip(NEXT) | instid1(VALU_DEP_3)
	v_xor_b32_e32 v37, v42, v37
	v_lshlrev_b32_e32 v2, 2, v2
	s_delay_alu instid0(VALU_DEP_3) | instskip(SKIP_4) | instid1(VALU_DEP_1)
	v_not_b32_e32 v43, v40
	ds_load_b32 v2, v2
	v_xor_b32_e32 v36, v43, v36
	s_waitcnt lgkmcnt(0)
	v_add_nc_u32_e32 v2, v2, v95
	v_lshlrev_b64 v[40:41], 3, v[2:3]
	s_delay_alu instid0(VALU_DEP_1) | instskip(NEXT) | instid1(VALU_DEP_1)
	v_add_co_u32 v40, s31, s48, v40
	v_add_co_ci_u32_e64 v41, s31, s49, v41, s31
	global_store_b64 v[40:41], v[36:37], off
.LBB1126_504:                           ;   in Loop: Header=BB1126_393 Depth=2
	s_or_b32 exec_lo, exec_lo, s41
	s_mov_b32 s41, s36
	s_delay_alu instid0(SALU_CYCLE_1) | instskip(NEXT) | instid1(SALU_CYCLE_1)
	s_lshl_b64 s[40:41], s[40:41], 3
	v_add_co_u32 v36, s31, v139, s40
	s_delay_alu instid0(VALU_DEP_1) | instskip(SKIP_1) | instid1(VALU_DEP_1)
	v_add_co_ci_u32_e64 v37, s31, s41, v140, s31
	v_cmp_lt_u32_e64 s31, v138, v177
	s_and_saveexec_b32 s40, s31
	s_delay_alu instid0(SALU_CYCLE_1)
	s_xor_b32 s31, exec_lo, s40
	s_cbranch_execz .LBB1126_536
; %bb.505:                              ;   in Loop: Header=BB1126_393 Depth=2
	global_load_b64 v[34:35], v[36:37], off
	s_or_b32 exec_lo, exec_lo, s31
	s_delay_alu instid0(SALU_CYCLE_1)
	s_mov_b32 s40, exec_lo
	v_cmpx_lt_u32_e64 v141, v177
	s_cbranch_execnz .LBB1126_537
.LBB1126_506:                           ;   in Loop: Header=BB1126_393 Depth=2
	s_or_b32 exec_lo, exec_lo, s40
	s_delay_alu instid0(SALU_CYCLE_1)
	s_mov_b32 s40, exec_lo
	v_cmpx_lt_u32_e64 v142, v177
	s_cbranch_execz .LBB1126_538
.LBB1126_507:                           ;   in Loop: Header=BB1126_393 Depth=2
	global_load_b64 v[30:31], v[36:37], off offset:512
	s_or_b32 exec_lo, exec_lo, s40
	s_delay_alu instid0(SALU_CYCLE_1)
	s_mov_b32 s40, exec_lo
	v_cmpx_lt_u32_e64 v143, v177
	s_cbranch_execnz .LBB1126_539
.LBB1126_508:                           ;   in Loop: Header=BB1126_393 Depth=2
	s_or_b32 exec_lo, exec_lo, s40
	s_delay_alu instid0(SALU_CYCLE_1)
	s_mov_b32 s40, exec_lo
	v_cmpx_lt_u32_e64 v144, v177
	s_cbranch_execz .LBB1126_540
.LBB1126_509:                           ;   in Loop: Header=BB1126_393 Depth=2
	global_load_b64 v[26:27], v[36:37], off offset:1024
	s_or_b32 exec_lo, exec_lo, s40
	s_delay_alu instid0(SALU_CYCLE_1)
	s_mov_b32 s40, exec_lo
	v_cmpx_lt_u32_e64 v145, v177
	s_cbranch_execnz .LBB1126_541
.LBB1126_510:                           ;   in Loop: Header=BB1126_393 Depth=2
	s_or_b32 exec_lo, exec_lo, s40
	s_delay_alu instid0(SALU_CYCLE_1)
	s_mov_b32 s40, exec_lo
	v_cmpx_lt_u32_e64 v146, v177
	s_cbranch_execz .LBB1126_542
.LBB1126_511:                           ;   in Loop: Header=BB1126_393 Depth=2
	global_load_b64 v[22:23], v[36:37], off offset:1536
	s_or_b32 exec_lo, exec_lo, s40
	s_delay_alu instid0(SALU_CYCLE_1)
	s_mov_b32 s40, exec_lo
	v_cmpx_lt_u32_e64 v147, v177
	s_cbranch_execnz .LBB1126_543
.LBB1126_512:                           ;   in Loop: Header=BB1126_393 Depth=2
	s_or_b32 exec_lo, exec_lo, s40
	s_delay_alu instid0(SALU_CYCLE_1)
	s_mov_b32 s40, exec_lo
	v_cmpx_lt_u32_e64 v148, v177
	s_cbranch_execz .LBB1126_544
.LBB1126_513:                           ;   in Loop: Header=BB1126_393 Depth=2
	global_load_b64 v[18:19], v[36:37], off offset:2048
	s_or_b32 exec_lo, exec_lo, s40
	s_delay_alu instid0(SALU_CYCLE_1)
	s_mov_b32 s40, exec_lo
	v_cmpx_lt_u32_e64 v149, v177
	s_cbranch_execnz .LBB1126_545
.LBB1126_514:                           ;   in Loop: Header=BB1126_393 Depth=2
	s_or_b32 exec_lo, exec_lo, s40
	s_delay_alu instid0(SALU_CYCLE_1)
	s_mov_b32 s40, exec_lo
	v_cmpx_lt_u32_e64 v150, v177
	s_cbranch_execz .LBB1126_546
.LBB1126_515:                           ;   in Loop: Header=BB1126_393 Depth=2
	global_load_b64 v[14:15], v[36:37], off offset:2560
	s_or_b32 exec_lo, exec_lo, s40
	s_delay_alu instid0(SALU_CYCLE_1)
	s_mov_b32 s40, exec_lo
	v_cmpx_lt_u32_e64 v151, v177
	s_cbranch_execnz .LBB1126_547
.LBB1126_516:                           ;   in Loop: Header=BB1126_393 Depth=2
	s_or_b32 exec_lo, exec_lo, s40
	s_delay_alu instid0(SALU_CYCLE_1)
	s_mov_b32 s40, exec_lo
	v_cmpx_lt_u32_e64 v152, v177
	s_cbranch_execz .LBB1126_548
.LBB1126_517:                           ;   in Loop: Header=BB1126_393 Depth=2
	global_load_b64 v[10:11], v[36:37], off offset:3072
	s_or_b32 exec_lo, exec_lo, s40
	s_delay_alu instid0(SALU_CYCLE_1)
	s_mov_b32 s40, exec_lo
	v_cmpx_lt_u32_e64 v153, v177
	s_cbranch_execnz .LBB1126_549
.LBB1126_518:                           ;   in Loop: Header=BB1126_393 Depth=2
	s_or_b32 exec_lo, exec_lo, s40
	s_delay_alu instid0(SALU_CYCLE_1)
	s_mov_b32 s40, exec_lo
	v_cmpx_lt_u32_e64 v154, v177
	s_cbranch_execz .LBB1126_550
.LBB1126_519:                           ;   in Loop: Header=BB1126_393 Depth=2
	global_load_b64 v[6:7], v[36:37], off offset:3584
	s_or_b32 exec_lo, exec_lo, s40
	s_delay_alu instid0(SALU_CYCLE_1)
	s_mov_b32 s40, exec_lo
	v_cmpx_lt_u32_e64 v155, v177
	s_cbranch_execnz .LBB1126_551
.LBB1126_520:                           ;   in Loop: Header=BB1126_393 Depth=2
	s_or_b32 exec_lo, exec_lo, s40
	s_and_saveexec_b32 s40, vcc_lo
	s_cbranch_execz .LBB1126_552
.LBB1126_521:                           ;   in Loop: Header=BB1126_393 Depth=2
	v_add_nc_u32_e32 v2, v104, v76
	ds_load_b64 v[36:37], v2 offset:1024
	s_waitcnt lgkmcnt(0)
	v_cmp_ne_u64_e64 s31, s[36:37], v[36:37]
	s_delay_alu instid0(VALU_DEP_1) | instskip(SKIP_1) | instid1(VALU_DEP_1)
	v_cndmask_b32_e64 v37, 0x7fffffff, v37, s31
	v_cndmask_b32_e64 v36, -1, v36, s31
	v_lshrrev_b64 v[36:37], s43, v[36:37]
	s_delay_alu instid0(VALU_DEP_1)
	v_and_b32_e32 v176, s51, v36
	s_or_b32 exec_lo, exec_lo, s40
	s_and_saveexec_b32 s40, s16
	s_cbranch_execnz .LBB1126_553
.LBB1126_522:                           ;   in Loop: Header=BB1126_393 Depth=2
	s_or_b32 exec_lo, exec_lo, s40
	s_and_saveexec_b32 s40, s17
	s_cbranch_execz .LBB1126_554
.LBB1126_523:                           ;   in Loop: Header=BB1126_393 Depth=2
	ds_load_b64 v[36:37], v110 offset:4096
	s_waitcnt lgkmcnt(0)
	v_cmp_ne_u64_e64 s31, s[36:37], v[36:37]
	s_delay_alu instid0(VALU_DEP_1) | instskip(SKIP_1) | instid1(VALU_DEP_1)
	v_cndmask_b32_e64 v37, 0x7fffffff, v37, s31
	v_cndmask_b32_e64 v36, -1, v36, s31
	v_lshrrev_b64 v[36:37], s43, v[36:37]
	s_delay_alu instid0(VALU_DEP_1)
	v_and_b32_e32 v174, s51, v36
	s_or_b32 exec_lo, exec_lo, s40
	s_and_saveexec_b32 s40, s18
	s_cbranch_execnz .LBB1126_555
.LBB1126_524:                           ;   in Loop: Header=BB1126_393 Depth=2
	s_or_b32 exec_lo, exec_lo, s40
	s_and_saveexec_b32 s40, s19
	s_cbranch_execz .LBB1126_556
.LBB1126_525:                           ;   in Loop: Header=BB1126_393 Depth=2
	ds_load_b64 v[36:37], v110 offset:8192
	s_waitcnt lgkmcnt(0)
	v_cmp_ne_u64_e64 s31, s[36:37], v[36:37]
	s_delay_alu instid0(VALU_DEP_1) | instskip(SKIP_1) | instid1(VALU_DEP_1)
	v_cndmask_b32_e64 v37, 0x7fffffff, v37, s31
	v_cndmask_b32_e64 v36, -1, v36, s31
	v_lshrrev_b64 v[36:37], s43, v[36:37]
	s_delay_alu instid0(VALU_DEP_1)
	v_and_b32_e32 v172, s51, v36
	s_or_b32 exec_lo, exec_lo, s40
	s_and_saveexec_b32 s40, s20
	s_cbranch_execnz .LBB1126_557
.LBB1126_526:                           ;   in Loop: Header=BB1126_393 Depth=2
	s_or_b32 exec_lo, exec_lo, s40
	s_and_saveexec_b32 s40, s21
	s_cbranch_execz .LBB1126_558
.LBB1126_527:                           ;   in Loop: Header=BB1126_393 Depth=2
	ds_load_b64 v[36:37], v110 offset:12288
	s_waitcnt lgkmcnt(0)
	v_cmp_ne_u64_e64 s31, s[36:37], v[36:37]
	s_delay_alu instid0(VALU_DEP_1) | instskip(SKIP_1) | instid1(VALU_DEP_1)
	v_cndmask_b32_e64 v37, 0x7fffffff, v37, s31
	v_cndmask_b32_e64 v36, -1, v36, s31
	v_lshrrev_b64 v[36:37], s43, v[36:37]
	s_delay_alu instid0(VALU_DEP_1)
	v_and_b32_e32 v170, s51, v36
	s_or_b32 exec_lo, exec_lo, s40
	s_and_saveexec_b32 s40, s22
	s_cbranch_execnz .LBB1126_559
.LBB1126_528:                           ;   in Loop: Header=BB1126_393 Depth=2
	s_or_b32 exec_lo, exec_lo, s40
	s_and_saveexec_b32 s40, s23
	s_cbranch_execz .LBB1126_560
.LBB1126_529:                           ;   in Loop: Header=BB1126_393 Depth=2
	ds_load_b64 v[36:37], v110 offset:16384
	s_waitcnt lgkmcnt(0)
	v_cmp_ne_u64_e64 s31, s[36:37], v[36:37]
	s_delay_alu instid0(VALU_DEP_1) | instskip(SKIP_1) | instid1(VALU_DEP_1)
	v_cndmask_b32_e64 v37, 0x7fffffff, v37, s31
	v_cndmask_b32_e64 v36, -1, v36, s31
	v_lshrrev_b64 v[36:37], s43, v[36:37]
	s_delay_alu instid0(VALU_DEP_1)
	v_and_b32_e32 v168, s51, v36
	s_or_b32 exec_lo, exec_lo, s40
	s_and_saveexec_b32 s40, s24
	s_cbranch_execnz .LBB1126_561
.LBB1126_530:                           ;   in Loop: Header=BB1126_393 Depth=2
	s_or_b32 exec_lo, exec_lo, s40
	s_and_saveexec_b32 s40, s25
	s_cbranch_execz .LBB1126_562
.LBB1126_531:                           ;   in Loop: Header=BB1126_393 Depth=2
	ds_load_b64 v[36:37], v110 offset:20480
	s_waitcnt lgkmcnt(0)
	v_cmp_ne_u64_e64 s31, s[36:37], v[36:37]
	s_delay_alu instid0(VALU_DEP_1) | instskip(SKIP_1) | instid1(VALU_DEP_1)
	v_cndmask_b32_e64 v37, 0x7fffffff, v37, s31
	v_cndmask_b32_e64 v36, -1, v36, s31
	v_lshrrev_b64 v[36:37], s43, v[36:37]
	s_delay_alu instid0(VALU_DEP_1)
	v_and_b32_e32 v166, s51, v36
	s_or_b32 exec_lo, exec_lo, s40
	s_and_saveexec_b32 s40, s26
	s_cbranch_execnz .LBB1126_563
.LBB1126_532:                           ;   in Loop: Header=BB1126_393 Depth=2
	s_or_b32 exec_lo, exec_lo, s40
	s_and_saveexec_b32 s40, s27
	s_cbranch_execz .LBB1126_564
.LBB1126_533:                           ;   in Loop: Header=BB1126_393 Depth=2
	ds_load_b64 v[36:37], v110 offset:24576
	s_waitcnt lgkmcnt(0)
	v_cmp_ne_u64_e64 s31, s[36:37], v[36:37]
	s_delay_alu instid0(VALU_DEP_1) | instskip(SKIP_1) | instid1(VALU_DEP_1)
	v_cndmask_b32_e64 v37, 0x7fffffff, v37, s31
	v_cndmask_b32_e64 v36, -1, v36, s31
	v_lshrrev_b64 v[36:37], s43, v[36:37]
	s_delay_alu instid0(VALU_DEP_1)
	v_and_b32_e32 v164, s51, v36
	s_or_b32 exec_lo, exec_lo, s40
	s_and_saveexec_b32 s40, s28
	s_cbranch_execnz .LBB1126_565
.LBB1126_534:                           ;   in Loop: Header=BB1126_393 Depth=2
	s_or_b32 exec_lo, exec_lo, s40
	s_and_saveexec_b32 s40, s29
	s_cbranch_execz .LBB1126_566
.LBB1126_535:                           ;   in Loop: Header=BB1126_393 Depth=2
	ds_load_b64 v[36:37], v110 offset:28672
	s_waitcnt lgkmcnt(0)
	v_cmp_ne_u64_e64 s31, s[36:37], v[36:37]
	s_delay_alu instid0(VALU_DEP_1) | instskip(SKIP_1) | instid1(VALU_DEP_1)
	v_cndmask_b32_e64 v37, 0x7fffffff, v37, s31
	v_cndmask_b32_e64 v36, -1, v36, s31
	v_lshrrev_b64 v[36:37], s43, v[36:37]
	s_delay_alu instid0(VALU_DEP_1)
	v_and_b32_e32 v162, s51, v36
	s_or_b32 exec_lo, exec_lo, s40
	s_and_saveexec_b32 s40, s30
	s_cbranch_execnz .LBB1126_567
	s_branch .LBB1126_568
.LBB1126_536:                           ;   in Loop: Header=BB1126_393 Depth=2
	s_or_b32 exec_lo, exec_lo, s31
	s_delay_alu instid0(SALU_CYCLE_1)
	s_mov_b32 s40, exec_lo
	v_cmpx_lt_u32_e64 v141, v177
	s_cbranch_execz .LBB1126_506
.LBB1126_537:                           ;   in Loop: Header=BB1126_393 Depth=2
	global_load_b64 v[32:33], v[36:37], off offset:256
	s_or_b32 exec_lo, exec_lo, s40
	s_delay_alu instid0(SALU_CYCLE_1)
	s_mov_b32 s40, exec_lo
	v_cmpx_lt_u32_e64 v142, v177
	s_cbranch_execnz .LBB1126_507
.LBB1126_538:                           ;   in Loop: Header=BB1126_393 Depth=2
	s_or_b32 exec_lo, exec_lo, s40
	s_delay_alu instid0(SALU_CYCLE_1)
	s_mov_b32 s40, exec_lo
	v_cmpx_lt_u32_e64 v143, v177
	s_cbranch_execz .LBB1126_508
.LBB1126_539:                           ;   in Loop: Header=BB1126_393 Depth=2
	global_load_b64 v[28:29], v[36:37], off offset:768
	s_or_b32 exec_lo, exec_lo, s40
	s_delay_alu instid0(SALU_CYCLE_1)
	s_mov_b32 s40, exec_lo
	v_cmpx_lt_u32_e64 v144, v177
	s_cbranch_execnz .LBB1126_509
.LBB1126_540:                           ;   in Loop: Header=BB1126_393 Depth=2
	s_or_b32 exec_lo, exec_lo, s40
	s_delay_alu instid0(SALU_CYCLE_1)
	s_mov_b32 s40, exec_lo
	v_cmpx_lt_u32_e64 v145, v177
	s_cbranch_execz .LBB1126_510
.LBB1126_541:                           ;   in Loop: Header=BB1126_393 Depth=2
	global_load_b64 v[24:25], v[36:37], off offset:1280
	s_or_b32 exec_lo, exec_lo, s40
	s_delay_alu instid0(SALU_CYCLE_1)
	s_mov_b32 s40, exec_lo
	v_cmpx_lt_u32_e64 v146, v177
	s_cbranch_execnz .LBB1126_511
.LBB1126_542:                           ;   in Loop: Header=BB1126_393 Depth=2
	s_or_b32 exec_lo, exec_lo, s40
	s_delay_alu instid0(SALU_CYCLE_1)
	s_mov_b32 s40, exec_lo
	v_cmpx_lt_u32_e64 v147, v177
	s_cbranch_execz .LBB1126_512
.LBB1126_543:                           ;   in Loop: Header=BB1126_393 Depth=2
	global_load_b64 v[20:21], v[36:37], off offset:1792
	s_or_b32 exec_lo, exec_lo, s40
	s_delay_alu instid0(SALU_CYCLE_1)
	s_mov_b32 s40, exec_lo
	v_cmpx_lt_u32_e64 v148, v177
	s_cbranch_execnz .LBB1126_513
.LBB1126_544:                           ;   in Loop: Header=BB1126_393 Depth=2
	s_or_b32 exec_lo, exec_lo, s40
	s_delay_alu instid0(SALU_CYCLE_1)
	s_mov_b32 s40, exec_lo
	v_cmpx_lt_u32_e64 v149, v177
	s_cbranch_execz .LBB1126_514
.LBB1126_545:                           ;   in Loop: Header=BB1126_393 Depth=2
	global_load_b64 v[16:17], v[36:37], off offset:2304
	s_or_b32 exec_lo, exec_lo, s40
	s_delay_alu instid0(SALU_CYCLE_1)
	s_mov_b32 s40, exec_lo
	v_cmpx_lt_u32_e64 v150, v177
	s_cbranch_execnz .LBB1126_515
.LBB1126_546:                           ;   in Loop: Header=BB1126_393 Depth=2
	s_or_b32 exec_lo, exec_lo, s40
	s_delay_alu instid0(SALU_CYCLE_1)
	s_mov_b32 s40, exec_lo
	v_cmpx_lt_u32_e64 v151, v177
	s_cbranch_execz .LBB1126_516
.LBB1126_547:                           ;   in Loop: Header=BB1126_393 Depth=2
	global_load_b64 v[12:13], v[36:37], off offset:2816
	s_or_b32 exec_lo, exec_lo, s40
	s_delay_alu instid0(SALU_CYCLE_1)
	s_mov_b32 s40, exec_lo
	v_cmpx_lt_u32_e64 v152, v177
	s_cbranch_execnz .LBB1126_517
.LBB1126_548:                           ;   in Loop: Header=BB1126_393 Depth=2
	s_or_b32 exec_lo, exec_lo, s40
	s_delay_alu instid0(SALU_CYCLE_1)
	s_mov_b32 s40, exec_lo
	v_cmpx_lt_u32_e64 v153, v177
	s_cbranch_execz .LBB1126_518
.LBB1126_549:                           ;   in Loop: Header=BB1126_393 Depth=2
	global_load_b64 v[8:9], v[36:37], off offset:3328
	s_or_b32 exec_lo, exec_lo, s40
	s_delay_alu instid0(SALU_CYCLE_1)
	s_mov_b32 s40, exec_lo
	v_cmpx_lt_u32_e64 v154, v177
	s_cbranch_execnz .LBB1126_519
.LBB1126_550:                           ;   in Loop: Header=BB1126_393 Depth=2
	s_or_b32 exec_lo, exec_lo, s40
	s_delay_alu instid0(SALU_CYCLE_1)
	s_mov_b32 s40, exec_lo
	v_cmpx_lt_u32_e64 v155, v177
	s_cbranch_execz .LBB1126_520
.LBB1126_551:                           ;   in Loop: Header=BB1126_393 Depth=2
	global_load_b64 v[4:5], v[36:37], off offset:3840
	s_or_b32 exec_lo, exec_lo, s40
	s_and_saveexec_b32 s40, vcc_lo
	s_cbranch_execnz .LBB1126_521
.LBB1126_552:                           ;   in Loop: Header=BB1126_393 Depth=2
	s_or_b32 exec_lo, exec_lo, s40
	s_and_saveexec_b32 s40, s16
	s_cbranch_execz .LBB1126_522
.LBB1126_553:                           ;   in Loop: Header=BB1126_393 Depth=2
	ds_load_b64 v[36:37], v110 offset:2048
	s_waitcnt lgkmcnt(0)
	v_cmp_ne_u64_e64 s31, s[36:37], v[36:37]
	s_delay_alu instid0(VALU_DEP_1) | instskip(SKIP_1) | instid1(VALU_DEP_1)
	v_cndmask_b32_e64 v37, 0x7fffffff, v37, s31
	v_cndmask_b32_e64 v36, -1, v36, s31
	v_lshrrev_b64 v[36:37], s43, v[36:37]
	s_delay_alu instid0(VALU_DEP_1)
	v_and_b32_e32 v175, s51, v36
	s_or_b32 exec_lo, exec_lo, s40
	s_and_saveexec_b32 s40, s17
	s_cbranch_execnz .LBB1126_523
.LBB1126_554:                           ;   in Loop: Header=BB1126_393 Depth=2
	s_or_b32 exec_lo, exec_lo, s40
	s_and_saveexec_b32 s40, s18
	s_cbranch_execz .LBB1126_524
.LBB1126_555:                           ;   in Loop: Header=BB1126_393 Depth=2
	ds_load_b64 v[36:37], v110 offset:6144
	s_waitcnt lgkmcnt(0)
	v_cmp_ne_u64_e64 s31, s[36:37], v[36:37]
	s_delay_alu instid0(VALU_DEP_1) | instskip(SKIP_1) | instid1(VALU_DEP_1)
	v_cndmask_b32_e64 v37, 0x7fffffff, v37, s31
	v_cndmask_b32_e64 v36, -1, v36, s31
	v_lshrrev_b64 v[36:37], s43, v[36:37]
	s_delay_alu instid0(VALU_DEP_1)
	v_and_b32_e32 v173, s51, v36
	s_or_b32 exec_lo, exec_lo, s40
	s_and_saveexec_b32 s40, s19
	s_cbranch_execnz .LBB1126_525
.LBB1126_556:                           ;   in Loop: Header=BB1126_393 Depth=2
	s_or_b32 exec_lo, exec_lo, s40
	s_and_saveexec_b32 s40, s20
	s_cbranch_execz .LBB1126_526
.LBB1126_557:                           ;   in Loop: Header=BB1126_393 Depth=2
	ds_load_b64 v[36:37], v110 offset:10240
	s_waitcnt lgkmcnt(0)
	v_cmp_ne_u64_e64 s31, s[36:37], v[36:37]
	s_delay_alu instid0(VALU_DEP_1) | instskip(SKIP_1) | instid1(VALU_DEP_1)
	v_cndmask_b32_e64 v37, 0x7fffffff, v37, s31
	v_cndmask_b32_e64 v36, -1, v36, s31
	v_lshrrev_b64 v[36:37], s43, v[36:37]
	s_delay_alu instid0(VALU_DEP_1)
	v_and_b32_e32 v171, s51, v36
	s_or_b32 exec_lo, exec_lo, s40
	s_and_saveexec_b32 s40, s21
	s_cbranch_execnz .LBB1126_527
.LBB1126_558:                           ;   in Loop: Header=BB1126_393 Depth=2
	s_or_b32 exec_lo, exec_lo, s40
	s_and_saveexec_b32 s40, s22
	s_cbranch_execz .LBB1126_528
.LBB1126_559:                           ;   in Loop: Header=BB1126_393 Depth=2
	ds_load_b64 v[36:37], v110 offset:14336
	s_waitcnt lgkmcnt(0)
	v_cmp_ne_u64_e64 s31, s[36:37], v[36:37]
	s_delay_alu instid0(VALU_DEP_1) | instskip(SKIP_1) | instid1(VALU_DEP_1)
	v_cndmask_b32_e64 v37, 0x7fffffff, v37, s31
	v_cndmask_b32_e64 v36, -1, v36, s31
	v_lshrrev_b64 v[36:37], s43, v[36:37]
	s_delay_alu instid0(VALU_DEP_1)
	v_and_b32_e32 v169, s51, v36
	s_or_b32 exec_lo, exec_lo, s40
	s_and_saveexec_b32 s40, s23
	s_cbranch_execnz .LBB1126_529
.LBB1126_560:                           ;   in Loop: Header=BB1126_393 Depth=2
	s_or_b32 exec_lo, exec_lo, s40
	s_and_saveexec_b32 s40, s24
	s_cbranch_execz .LBB1126_530
.LBB1126_561:                           ;   in Loop: Header=BB1126_393 Depth=2
	ds_load_b64 v[36:37], v110 offset:18432
	s_waitcnt lgkmcnt(0)
	v_cmp_ne_u64_e64 s31, s[36:37], v[36:37]
	s_delay_alu instid0(VALU_DEP_1) | instskip(SKIP_1) | instid1(VALU_DEP_1)
	v_cndmask_b32_e64 v37, 0x7fffffff, v37, s31
	v_cndmask_b32_e64 v36, -1, v36, s31
	v_lshrrev_b64 v[36:37], s43, v[36:37]
	s_delay_alu instid0(VALU_DEP_1)
	v_and_b32_e32 v167, s51, v36
	s_or_b32 exec_lo, exec_lo, s40
	s_and_saveexec_b32 s40, s25
	s_cbranch_execnz .LBB1126_531
.LBB1126_562:                           ;   in Loop: Header=BB1126_393 Depth=2
	s_or_b32 exec_lo, exec_lo, s40
	s_and_saveexec_b32 s40, s26
	s_cbranch_execz .LBB1126_532
.LBB1126_563:                           ;   in Loop: Header=BB1126_393 Depth=2
	ds_load_b64 v[36:37], v110 offset:22528
	s_waitcnt lgkmcnt(0)
	v_cmp_ne_u64_e64 s31, s[36:37], v[36:37]
	s_delay_alu instid0(VALU_DEP_1) | instskip(SKIP_1) | instid1(VALU_DEP_1)
	v_cndmask_b32_e64 v37, 0x7fffffff, v37, s31
	v_cndmask_b32_e64 v36, -1, v36, s31
	v_lshrrev_b64 v[36:37], s43, v[36:37]
	s_delay_alu instid0(VALU_DEP_1)
	v_and_b32_e32 v165, s51, v36
	s_or_b32 exec_lo, exec_lo, s40
	s_and_saveexec_b32 s40, s27
	s_cbranch_execnz .LBB1126_533
.LBB1126_564:                           ;   in Loop: Header=BB1126_393 Depth=2
	s_or_b32 exec_lo, exec_lo, s40
	s_and_saveexec_b32 s40, s28
	s_cbranch_execz .LBB1126_534
.LBB1126_565:                           ;   in Loop: Header=BB1126_393 Depth=2
	ds_load_b64 v[36:37], v110 offset:26624
	s_waitcnt lgkmcnt(0)
	v_cmp_ne_u64_e64 s31, s[36:37], v[36:37]
	s_delay_alu instid0(VALU_DEP_1) | instskip(SKIP_1) | instid1(VALU_DEP_1)
	v_cndmask_b32_e64 v37, 0x7fffffff, v37, s31
	v_cndmask_b32_e64 v36, -1, v36, s31
	v_lshrrev_b64 v[36:37], s43, v[36:37]
	s_delay_alu instid0(VALU_DEP_1)
	v_and_b32_e32 v163, s51, v36
	s_or_b32 exec_lo, exec_lo, s40
	s_and_saveexec_b32 s40, s29
	s_cbranch_execnz .LBB1126_535
.LBB1126_566:                           ;   in Loop: Header=BB1126_393 Depth=2
	s_or_b32 exec_lo, exec_lo, s40
	s_and_saveexec_b32 s40, s30
	s_cbranch_execz .LBB1126_568
.LBB1126_567:                           ;   in Loop: Header=BB1126_393 Depth=2
	ds_load_b64 v[36:37], v110 offset:30720
	s_waitcnt lgkmcnt(0)
	v_cmp_ne_u64_e64 s31, s[36:37], v[36:37]
	s_delay_alu instid0(VALU_DEP_1) | instskip(SKIP_1) | instid1(VALU_DEP_1)
	v_cndmask_b32_e64 v37, 0x7fffffff, v37, s31
	v_cndmask_b32_e64 v36, -1, v36, s31
	v_lshrrev_b64 v[36:37], s43, v[36:37]
	s_delay_alu instid0(VALU_DEP_1)
	v_and_b32_e32 v161, s51, v36
.LBB1126_568:                           ;   in Loop: Header=BB1126_393 Depth=2
	s_or_b32 exec_lo, exec_lo, s40
	v_add_nc_u32_e32 v2, 0x400, v69
	v_add_nc_u32_e32 v36, 0x400, v70
	;; [unrolled: 1-line block ×16, first 2 shown]
	s_waitcnt vmcnt(0)
	s_waitcnt_vscnt null, 0x0
	s_barrier
	buffer_gl0_inv
	ds_store_b64 v2, v[34:35]
	ds_store_b64 v36, v[32:33]
	;; [unrolled: 1-line block ×16, first 2 shown]
	s_waitcnt lgkmcnt(0)
	s_barrier
	buffer_gl0_inv
	s_and_saveexec_b32 s31, vcc_lo
	s_cbranch_execz .LBB1126_584
; %bb.569:                              ;   in Loop: Header=BB1126_393 Depth=2
	v_lshlrev_b32_e32 v2, 2, v176
	v_add_nc_u32_e32 v36, v104, v76
	ds_load_b32 v2, v2
	ds_load_b64 v[36:37], v36 offset:1024
	s_waitcnt lgkmcnt(1)
	v_add_nc_u32_e32 v2, v2, v1
	s_delay_alu instid0(VALU_DEP_1) | instskip(NEXT) | instid1(VALU_DEP_1)
	v_lshlrev_b64 v[38:39], 3, v[2:3]
	v_add_co_u32 v38, vcc_lo, s54, v38
	s_delay_alu instid0(VALU_DEP_2)
	v_add_co_ci_u32_e32 v39, vcc_lo, s55, v39, vcc_lo
	s_waitcnt lgkmcnt(0)
	global_store_b64 v[38:39], v[36:37], off
	s_or_b32 exec_lo, exec_lo, s31
	s_and_saveexec_b32 s31, s16
	s_cbranch_execnz .LBB1126_585
.LBB1126_570:                           ;   in Loop: Header=BB1126_393 Depth=2
	s_or_b32 exec_lo, exec_lo, s31
	s_and_saveexec_b32 s16, s17
	s_cbranch_execz .LBB1126_586
.LBB1126_571:                           ;   in Loop: Header=BB1126_393 Depth=2
	v_lshlrev_b32_e32 v2, 2, v174
	ds_load_b32 v2, v2
	ds_load_b64 v[36:37], v110 offset:4096
	s_waitcnt lgkmcnt(1)
	v_add_nc_u32_e32 v2, v2, v78
	s_delay_alu instid0(VALU_DEP_1) | instskip(NEXT) | instid1(VALU_DEP_1)
	v_lshlrev_b64 v[38:39], 3, v[2:3]
	v_add_co_u32 v38, vcc_lo, s54, v38
	s_delay_alu instid0(VALU_DEP_2)
	v_add_co_ci_u32_e32 v39, vcc_lo, s55, v39, vcc_lo
	s_waitcnt lgkmcnt(0)
	global_store_b64 v[38:39], v[36:37], off
	s_or_b32 exec_lo, exec_lo, s16
	s_and_saveexec_b32 s16, s18
	s_cbranch_execnz .LBB1126_587
.LBB1126_572:                           ;   in Loop: Header=BB1126_393 Depth=2
	s_or_b32 exec_lo, exec_lo, s16
	s_and_saveexec_b32 s16, s19
	s_cbranch_execz .LBB1126_588
.LBB1126_573:                           ;   in Loop: Header=BB1126_393 Depth=2
	v_lshlrev_b32_e32 v2, 2, v172
	ds_load_b32 v2, v2
	ds_load_b64 v[36:37], v110 offset:8192
	s_waitcnt lgkmcnt(1)
	v_add_nc_u32_e32 v2, v2, v83
	s_delay_alu instid0(VALU_DEP_1) | instskip(NEXT) | instid1(VALU_DEP_1)
	v_lshlrev_b64 v[38:39], 3, v[2:3]
	v_add_co_u32 v38, vcc_lo, s54, v38
	s_delay_alu instid0(VALU_DEP_2)
	v_add_co_ci_u32_e32 v39, vcc_lo, s55, v39, vcc_lo
	s_waitcnt lgkmcnt(0)
	global_store_b64 v[38:39], v[36:37], off
	s_or_b32 exec_lo, exec_lo, s16
	s_and_saveexec_b32 s16, s20
	s_cbranch_execnz .LBB1126_589
.LBB1126_574:                           ;   in Loop: Header=BB1126_393 Depth=2
	s_or_b32 exec_lo, exec_lo, s16
	s_and_saveexec_b32 s16, s21
	s_cbranch_execz .LBB1126_590
.LBB1126_575:                           ;   in Loop: Header=BB1126_393 Depth=2
	v_lshlrev_b32_e32 v2, 2, v170
	ds_load_b32 v2, v2
	ds_load_b64 v[36:37], v110 offset:12288
	s_waitcnt lgkmcnt(1)
	v_add_nc_u32_e32 v2, v2, v85
	s_delay_alu instid0(VALU_DEP_1) | instskip(NEXT) | instid1(VALU_DEP_1)
	v_lshlrev_b64 v[38:39], 3, v[2:3]
	v_add_co_u32 v38, vcc_lo, s54, v38
	s_delay_alu instid0(VALU_DEP_2)
	v_add_co_ci_u32_e32 v39, vcc_lo, s55, v39, vcc_lo
	s_waitcnt lgkmcnt(0)
	global_store_b64 v[38:39], v[36:37], off
	s_or_b32 exec_lo, exec_lo, s16
	s_and_saveexec_b32 s16, s22
	s_cbranch_execnz .LBB1126_591
.LBB1126_576:                           ;   in Loop: Header=BB1126_393 Depth=2
	s_or_b32 exec_lo, exec_lo, s16
	s_and_saveexec_b32 s16, s23
	s_cbranch_execz .LBB1126_592
.LBB1126_577:                           ;   in Loop: Header=BB1126_393 Depth=2
	v_lshlrev_b32_e32 v2, 2, v168
	ds_load_b32 v2, v2
	ds_load_b64 v[36:37], v110 offset:16384
	s_waitcnt lgkmcnt(1)
	v_add_nc_u32_e32 v2, v2, v87
	s_delay_alu instid0(VALU_DEP_1) | instskip(NEXT) | instid1(VALU_DEP_1)
	v_lshlrev_b64 v[38:39], 3, v[2:3]
	v_add_co_u32 v38, vcc_lo, s54, v38
	s_delay_alu instid0(VALU_DEP_2)
	v_add_co_ci_u32_e32 v39, vcc_lo, s55, v39, vcc_lo
	s_waitcnt lgkmcnt(0)
	global_store_b64 v[38:39], v[36:37], off
	s_or_b32 exec_lo, exec_lo, s16
	s_and_saveexec_b32 s16, s24
	s_cbranch_execnz .LBB1126_593
.LBB1126_578:                           ;   in Loop: Header=BB1126_393 Depth=2
	s_or_b32 exec_lo, exec_lo, s16
	s_and_saveexec_b32 s16, s25
	s_cbranch_execz .LBB1126_594
.LBB1126_579:                           ;   in Loop: Header=BB1126_393 Depth=2
	v_lshlrev_b32_e32 v2, 2, v166
	ds_load_b32 v2, v2
	ds_load_b64 v[36:37], v110 offset:20480
	s_waitcnt lgkmcnt(1)
	v_add_nc_u32_e32 v2, v2, v89
	s_delay_alu instid0(VALU_DEP_1) | instskip(NEXT) | instid1(VALU_DEP_1)
	v_lshlrev_b64 v[38:39], 3, v[2:3]
	v_add_co_u32 v38, vcc_lo, s54, v38
	s_delay_alu instid0(VALU_DEP_2)
	v_add_co_ci_u32_e32 v39, vcc_lo, s55, v39, vcc_lo
	s_waitcnt lgkmcnt(0)
	global_store_b64 v[38:39], v[36:37], off
	s_or_b32 exec_lo, exec_lo, s16
	s_and_saveexec_b32 s16, s26
	s_cbranch_execnz .LBB1126_595
.LBB1126_580:                           ;   in Loop: Header=BB1126_393 Depth=2
	s_or_b32 exec_lo, exec_lo, s16
	s_and_saveexec_b32 s16, s27
	s_cbranch_execz .LBB1126_596
.LBB1126_581:                           ;   in Loop: Header=BB1126_393 Depth=2
	v_lshlrev_b32_e32 v2, 2, v164
	ds_load_b32 v2, v2
	ds_load_b64 v[36:37], v110 offset:24576
	s_waitcnt lgkmcnt(1)
	v_add_nc_u32_e32 v2, v2, v91
	s_delay_alu instid0(VALU_DEP_1) | instskip(NEXT) | instid1(VALU_DEP_1)
	v_lshlrev_b64 v[38:39], 3, v[2:3]
	v_add_co_u32 v38, vcc_lo, s54, v38
	s_delay_alu instid0(VALU_DEP_2)
	v_add_co_ci_u32_e32 v39, vcc_lo, s55, v39, vcc_lo
	s_waitcnt lgkmcnt(0)
	global_store_b64 v[38:39], v[36:37], off
	s_or_b32 exec_lo, exec_lo, s16
	s_and_saveexec_b32 s16, s28
	s_cbranch_execnz .LBB1126_597
.LBB1126_582:                           ;   in Loop: Header=BB1126_393 Depth=2
	s_or_b32 exec_lo, exec_lo, s16
	s_and_saveexec_b32 s16, s29
	s_cbranch_execz .LBB1126_598
.LBB1126_583:                           ;   in Loop: Header=BB1126_393 Depth=2
	v_lshlrev_b32_e32 v2, 2, v162
	ds_load_b32 v2, v2
	ds_load_b64 v[36:37], v110 offset:28672
	s_waitcnt lgkmcnt(1)
	v_add_nc_u32_e32 v2, v2, v93
	s_delay_alu instid0(VALU_DEP_1) | instskip(NEXT) | instid1(VALU_DEP_1)
	v_lshlrev_b64 v[38:39], 3, v[2:3]
	v_add_co_u32 v38, vcc_lo, s54, v38
	s_delay_alu instid0(VALU_DEP_2)
	v_add_co_ci_u32_e32 v39, vcc_lo, s55, v39, vcc_lo
	s_waitcnt lgkmcnt(0)
	global_store_b64 v[38:39], v[36:37], off
	s_or_b32 exec_lo, exec_lo, s16
	s_and_saveexec_b32 s16, s30
	s_cbranch_execnz .LBB1126_599
	s_branch .LBB1126_600
.LBB1126_584:                           ;   in Loop: Header=BB1126_393 Depth=2
	s_or_b32 exec_lo, exec_lo, s31
	s_and_saveexec_b32 s31, s16
	s_cbranch_execz .LBB1126_570
.LBB1126_585:                           ;   in Loop: Header=BB1126_393 Depth=2
	v_lshlrev_b32_e32 v2, 2, v175
	ds_load_b32 v2, v2
	ds_load_b64 v[36:37], v110 offset:2048
	s_waitcnt lgkmcnt(1)
	v_add_nc_u32_e32 v2, v2, v77
	s_delay_alu instid0(VALU_DEP_1) | instskip(NEXT) | instid1(VALU_DEP_1)
	v_lshlrev_b64 v[38:39], 3, v[2:3]
	v_add_co_u32 v38, vcc_lo, s54, v38
	s_delay_alu instid0(VALU_DEP_2)
	v_add_co_ci_u32_e32 v39, vcc_lo, s55, v39, vcc_lo
	s_waitcnt lgkmcnt(0)
	global_store_b64 v[38:39], v[36:37], off
	s_or_b32 exec_lo, exec_lo, s31
	s_and_saveexec_b32 s16, s17
	s_cbranch_execnz .LBB1126_571
.LBB1126_586:                           ;   in Loop: Header=BB1126_393 Depth=2
	s_or_b32 exec_lo, exec_lo, s16
	s_and_saveexec_b32 s16, s18
	s_cbranch_execz .LBB1126_572
.LBB1126_587:                           ;   in Loop: Header=BB1126_393 Depth=2
	v_lshlrev_b32_e32 v2, 2, v173
	ds_load_b32 v2, v2
	ds_load_b64 v[36:37], v110 offset:6144
	s_waitcnt lgkmcnt(1)
	v_add_nc_u32_e32 v2, v2, v79
	s_delay_alu instid0(VALU_DEP_1) | instskip(NEXT) | instid1(VALU_DEP_1)
	v_lshlrev_b64 v[38:39], 3, v[2:3]
	v_add_co_u32 v38, vcc_lo, s54, v38
	s_delay_alu instid0(VALU_DEP_2)
	v_add_co_ci_u32_e32 v39, vcc_lo, s55, v39, vcc_lo
	s_waitcnt lgkmcnt(0)
	global_store_b64 v[38:39], v[36:37], off
	s_or_b32 exec_lo, exec_lo, s16
	s_and_saveexec_b32 s16, s19
	s_cbranch_execnz .LBB1126_573
.LBB1126_588:                           ;   in Loop: Header=BB1126_393 Depth=2
	s_or_b32 exec_lo, exec_lo, s16
	s_and_saveexec_b32 s16, s20
	s_cbranch_execz .LBB1126_574
.LBB1126_589:                           ;   in Loop: Header=BB1126_393 Depth=2
	v_lshlrev_b32_e32 v2, 2, v171
	ds_load_b32 v2, v2
	ds_load_b64 v[36:37], v110 offset:10240
	s_waitcnt lgkmcnt(1)
	v_add_nc_u32_e32 v2, v2, v84
	s_delay_alu instid0(VALU_DEP_1) | instskip(NEXT) | instid1(VALU_DEP_1)
	v_lshlrev_b64 v[38:39], 3, v[2:3]
	v_add_co_u32 v38, vcc_lo, s54, v38
	s_delay_alu instid0(VALU_DEP_2)
	v_add_co_ci_u32_e32 v39, vcc_lo, s55, v39, vcc_lo
	s_waitcnt lgkmcnt(0)
	global_store_b64 v[38:39], v[36:37], off
	s_or_b32 exec_lo, exec_lo, s16
	s_and_saveexec_b32 s16, s21
	s_cbranch_execnz .LBB1126_575
.LBB1126_590:                           ;   in Loop: Header=BB1126_393 Depth=2
	s_or_b32 exec_lo, exec_lo, s16
	s_and_saveexec_b32 s16, s22
	s_cbranch_execz .LBB1126_576
.LBB1126_591:                           ;   in Loop: Header=BB1126_393 Depth=2
	v_lshlrev_b32_e32 v2, 2, v169
	ds_load_b32 v2, v2
	ds_load_b64 v[36:37], v110 offset:14336
	s_waitcnt lgkmcnt(1)
	v_add_nc_u32_e32 v2, v2, v86
	s_delay_alu instid0(VALU_DEP_1) | instskip(NEXT) | instid1(VALU_DEP_1)
	v_lshlrev_b64 v[38:39], 3, v[2:3]
	v_add_co_u32 v38, vcc_lo, s54, v38
	s_delay_alu instid0(VALU_DEP_2)
	v_add_co_ci_u32_e32 v39, vcc_lo, s55, v39, vcc_lo
	s_waitcnt lgkmcnt(0)
	global_store_b64 v[38:39], v[36:37], off
	s_or_b32 exec_lo, exec_lo, s16
	s_and_saveexec_b32 s16, s23
	s_cbranch_execnz .LBB1126_577
.LBB1126_592:                           ;   in Loop: Header=BB1126_393 Depth=2
	s_or_b32 exec_lo, exec_lo, s16
	s_and_saveexec_b32 s16, s24
	s_cbranch_execz .LBB1126_578
.LBB1126_593:                           ;   in Loop: Header=BB1126_393 Depth=2
	v_lshlrev_b32_e32 v2, 2, v167
	ds_load_b32 v2, v2
	ds_load_b64 v[36:37], v110 offset:18432
	s_waitcnt lgkmcnt(1)
	v_add_nc_u32_e32 v2, v2, v88
	s_delay_alu instid0(VALU_DEP_1) | instskip(NEXT) | instid1(VALU_DEP_1)
	v_lshlrev_b64 v[38:39], 3, v[2:3]
	v_add_co_u32 v38, vcc_lo, s54, v38
	s_delay_alu instid0(VALU_DEP_2)
	v_add_co_ci_u32_e32 v39, vcc_lo, s55, v39, vcc_lo
	s_waitcnt lgkmcnt(0)
	global_store_b64 v[38:39], v[36:37], off
	s_or_b32 exec_lo, exec_lo, s16
	s_and_saveexec_b32 s16, s25
	s_cbranch_execnz .LBB1126_579
.LBB1126_594:                           ;   in Loop: Header=BB1126_393 Depth=2
	s_or_b32 exec_lo, exec_lo, s16
	s_and_saveexec_b32 s16, s26
	s_cbranch_execz .LBB1126_580
.LBB1126_595:                           ;   in Loop: Header=BB1126_393 Depth=2
	v_lshlrev_b32_e32 v2, 2, v165
	ds_load_b32 v2, v2
	ds_load_b64 v[36:37], v110 offset:22528
	s_waitcnt lgkmcnt(1)
	v_add_nc_u32_e32 v2, v2, v90
	s_delay_alu instid0(VALU_DEP_1) | instskip(NEXT) | instid1(VALU_DEP_1)
	v_lshlrev_b64 v[38:39], 3, v[2:3]
	v_add_co_u32 v38, vcc_lo, s54, v38
	s_delay_alu instid0(VALU_DEP_2)
	v_add_co_ci_u32_e32 v39, vcc_lo, s55, v39, vcc_lo
	s_waitcnt lgkmcnt(0)
	global_store_b64 v[38:39], v[36:37], off
	s_or_b32 exec_lo, exec_lo, s16
	s_and_saveexec_b32 s16, s27
	s_cbranch_execnz .LBB1126_581
.LBB1126_596:                           ;   in Loop: Header=BB1126_393 Depth=2
	s_or_b32 exec_lo, exec_lo, s16
	s_and_saveexec_b32 s16, s28
	s_cbranch_execz .LBB1126_582
.LBB1126_597:                           ;   in Loop: Header=BB1126_393 Depth=2
	v_lshlrev_b32_e32 v2, 2, v163
	ds_load_b32 v2, v2
	ds_load_b64 v[36:37], v110 offset:26624
	s_waitcnt lgkmcnt(1)
	v_add_nc_u32_e32 v2, v2, v92
	s_delay_alu instid0(VALU_DEP_1) | instskip(NEXT) | instid1(VALU_DEP_1)
	v_lshlrev_b64 v[38:39], 3, v[2:3]
	v_add_co_u32 v38, vcc_lo, s54, v38
	s_delay_alu instid0(VALU_DEP_2)
	v_add_co_ci_u32_e32 v39, vcc_lo, s55, v39, vcc_lo
	s_waitcnt lgkmcnt(0)
	global_store_b64 v[38:39], v[36:37], off
	s_or_b32 exec_lo, exec_lo, s16
	s_and_saveexec_b32 s16, s29
	s_cbranch_execnz .LBB1126_583
.LBB1126_598:                           ;   in Loop: Header=BB1126_393 Depth=2
	s_or_b32 exec_lo, exec_lo, s16
	s_and_saveexec_b32 s16, s30
	s_cbranch_execz .LBB1126_600
.LBB1126_599:                           ;   in Loop: Header=BB1126_393 Depth=2
	v_lshlrev_b32_e32 v2, 2, v161
	ds_load_b32 v2, v2
	ds_load_b64 v[36:37], v110 offset:30720
	s_waitcnt lgkmcnt(1)
	v_add_nc_u32_e32 v2, v2, v95
	s_delay_alu instid0(VALU_DEP_1) | instskip(NEXT) | instid1(VALU_DEP_1)
	v_lshlrev_b64 v[38:39], 3, v[2:3]
	v_add_co_u32 v38, vcc_lo, s54, v38
	s_delay_alu instid0(VALU_DEP_2)
	v_add_co_ci_u32_e32 v39, vcc_lo, s55, v39, vcc_lo
	s_waitcnt lgkmcnt(0)
	global_store_b64 v[38:39], v[36:37], off
.LBB1126_600:                           ;   in Loop: Header=BB1126_393 Depth=2
	s_or_b32 exec_lo, exec_lo, s16
	s_waitcnt_vscnt null, 0x0
	s_barrier
	buffer_gl0_inv
	s_and_saveexec_b32 s16, s2
	s_cbranch_execz .LBB1126_392
; %bb.601:                              ;   in Loop: Header=BB1126_393 Depth=2
	ds_load_b32 v2, v76
	s_waitcnt lgkmcnt(0)
	v_add_nc_u32_e32 v2, v2, v68
	ds_store_b32 v76, v2
	s_branch .LBB1126_392
.LBB1126_602:                           ;   in Loop: Header=BB1126_12 Depth=1
	s_waitcnt lgkmcnt(0)
	s_barrier
.LBB1126_603:                           ;   in Loop: Header=BB1126_12 Depth=1
	s_mov_b32 s1, 0
.LBB1126_604:                           ;   in Loop: Header=BB1126_12 Depth=1
	s_delay_alu instid0(SALU_CYCLE_1)
	s_and_not1_b32 vcc_lo, exec_lo, s1
	s_cbranch_vccnz .LBB1126_11
; %bb.605:                              ;   in Loop: Header=BB1126_12 Depth=1
	s_lshl_b32 s1, -1, s50
	s_and_b32 vcc_lo, exec_lo, s59
	s_not_b32 s50, s1
	s_mov_b32 s1, -1
	s_cbranch_vccz .LBB1126_900
; %bb.606:                              ;   in Loop: Header=BB1126_12 Depth=1
	s_mov_b32 s1, s62
	s_mov_b32 s8, s33
	s_barrier
	buffer_gl0_inv
                                        ; implicit-def: $vgpr34_vgpr35
                                        ; implicit-def: $vgpr4_vgpr5
                                        ; implicit-def: $vgpr6_vgpr7
                                        ; implicit-def: $vgpr8_vgpr9
                                        ; implicit-def: $vgpr10_vgpr11
                                        ; implicit-def: $vgpr12_vgpr13
                                        ; implicit-def: $vgpr14_vgpr15
                                        ; implicit-def: $vgpr16_vgpr17
                                        ; implicit-def: $vgpr18_vgpr19
                                        ; implicit-def: $vgpr20_vgpr21
                                        ; implicit-def: $vgpr22_vgpr23
                                        ; implicit-def: $vgpr24_vgpr25
                                        ; implicit-def: $vgpr26_vgpr27
                                        ; implicit-def: $vgpr28_vgpr29
                                        ; implicit-def: $vgpr30_vgpr31
                                        ; implicit-def: $vgpr32_vgpr33
	s_branch .LBB1126_608
.LBB1126_607:                           ;   in Loop: Header=BB1126_608 Depth=2
	s_or_b32 exec_lo, exec_lo, s8
	s_addk_i32 s1, 0xf000
	s_cmp_ge_u32 s7, s35
	s_mov_b32 s8, s7
	s_cbranch_scc1 .LBB1126_678
.LBB1126_608:                           ;   Parent Loop BB1126_12 Depth=1
                                        ; =>  This Inner Loop Header: Depth=2
	s_add_i32 s7, s8, 0x1000
	s_delay_alu instid0(SALU_CYCLE_1)
	s_cmp_gt_u32 s7, s35
	s_cbranch_scc1 .LBB1126_611
; %bb.609:                              ;   in Loop: Header=BB1126_608 Depth=2
	s_mov_b32 s9, 0
	s_movk_i32 s13, 0x1000
	s_lshl_b64 s[10:11], s[8:9], 3
	s_mov_b32 s12, -1
	v_add_co_u32 v36, vcc_lo, v117, s10
	v_add_co_ci_u32_e32 v37, vcc_lo, s11, v118, vcc_lo
	s_waitcnt vmcnt(12)
	s_delay_alu instid0(VALU_DEP_2) | instskip(NEXT) | instid1(VALU_DEP_2)
	v_add_co_u32 v42, vcc_lo, 0x1000, v36
	v_add_co_ci_u32_e32 v43, vcc_lo, 0, v37, vcc_lo
	s_waitcnt vmcnt(11)
	v_add_co_u32 v44, vcc_lo, 0x2000, v36
	v_add_co_ci_u32_e32 v45, vcc_lo, 0, v37, vcc_lo
	s_waitcnt vmcnt(1)
	v_add_co_u32 v50, vcc_lo, v36, 0x2000
	v_add_co_ci_u32_e32 v51, vcc_lo, 0, v37, vcc_lo
	v_add_co_u32 v52, vcc_lo, v36, 0x4000
	v_add_co_ci_u32_e32 v53, vcc_lo, 0, v37, vcc_lo
	;; [unrolled: 2-line block ×7, first 2 shown]
	s_waitcnt vmcnt(0)
	v_add_co_u32 v66, vcc_lo, 0x7000, v36
	v_add_co_ci_u32_e32 v67, vcc_lo, 0, v37, vcc_lo
	s_clause 0xe
	global_load_b64 v[38:39], v[36:37], off
	global_load_b64 v[40:41], v[36:37], off offset:2048
	global_load_b64 v[42:43], v[42:43], off offset:2048
	;; [unrolled: 1-line block ×3, first 2 shown]
	global_load_b64 v[46:47], v[50:51], off
	global_load_b64 v[48:49], v[52:53], off offset:-4096
	global_load_b64 v[52:53], v[52:53], off
	global_load_b64 v[56:57], v[60:61], off offset:-4096
	global_load_b64 v[60:61], v[60:61], off
	global_load_b64 v[54:55], v[54:55], off offset:2048
	global_load_b64 v[58:59], v[58:59], off offset:2048
	;; [unrolled: 1-line block ×4, first 2 shown]
	global_load_b64 v[50:51], v[50:51], off offset:-4096
	global_load_b64 v[66:67], v[66:67], off
	v_add_co_u32 v36, vcc_lo, 0x7800, v36
	v_add_co_ci_u32_e32 v37, vcc_lo, 0, v37, vcc_lo
	s_cbranch_execz .LBB1126_612
; %bb.610:                              ;   in Loop: Header=BB1126_608 Depth=2
                                        ; implicit-def: $vgpr32_vgpr33
                                        ; implicit-def: $vgpr30_vgpr31
                                        ; implicit-def: $vgpr28_vgpr29
                                        ; implicit-def: $vgpr26_vgpr27
                                        ; implicit-def: $vgpr24_vgpr25
                                        ; implicit-def: $vgpr22_vgpr23
                                        ; implicit-def: $vgpr20_vgpr21
                                        ; implicit-def: $vgpr18_vgpr19
                                        ; implicit-def: $vgpr16_vgpr17
                                        ; implicit-def: $vgpr14_vgpr15
                                        ; implicit-def: $vgpr12_vgpr13
                                        ; implicit-def: $vgpr10_vgpr11
                                        ; implicit-def: $vgpr8_vgpr9
                                        ; implicit-def: $vgpr6_vgpr7
                                        ; implicit-def: $vgpr4_vgpr5
                                        ; implicit-def: $vgpr34_vgpr35
	v_mov_b32_e32 v2, s1
	s_and_saveexec_b32 s8, s12
	s_cbranch_execnz .LBB1126_631
	s_branch .LBB1126_632
.LBB1126_611:                           ;   in Loop: Header=BB1126_608 Depth=2
	s_mov_b32 s12, 0
                                        ; implicit-def: $sgpr13
                                        ; implicit-def: $vgpr38_vgpr39
                                        ; implicit-def: $vgpr40_vgpr41
                                        ; implicit-def: $vgpr50_vgpr51
                                        ; implicit-def: $vgpr42_vgpr43
                                        ; implicit-def: $vgpr46_vgpr47
                                        ; implicit-def: $vgpr44_vgpr45
                                        ; implicit-def: $vgpr48_vgpr49
                                        ; implicit-def: $vgpr54_vgpr55
                                        ; implicit-def: $vgpr52_vgpr53
                                        ; implicit-def: $vgpr58_vgpr59
                                        ; implicit-def: $vgpr56_vgpr57
                                        ; implicit-def: $vgpr62_vgpr63
                                        ; implicit-def: $vgpr60_vgpr61
                                        ; implicit-def: $vgpr64_vgpr65
                                        ; implicit-def: $vgpr66_vgpr67
                                        ; implicit-def: $vgpr36_vgpr37
.LBB1126_612:                           ;   in Loop: Header=BB1126_608 Depth=2
	s_mov_b32 s9, s36
	s_delay_alu instid0(SALU_CYCLE_1)
	s_lshl_b64 s[10:11], s[8:9], 3
	s_mov_b32 s9, exec_lo
	s_add_u32 s10, s44, s10
	s_addc_u32 s11, s45, s11
	v_cmpx_gt_u32_e64 s1, v1
	s_cbranch_execz .LBB1126_664
; %bb.613:                              ;   in Loop: Header=BB1126_608 Depth=2
	global_load_b64 v[32:33], v124, s[10:11]
	s_or_b32 exec_lo, exec_lo, s9
	s_delay_alu instid0(SALU_CYCLE_1)
	s_mov_b32 s9, exec_lo
	v_cmpx_gt_u32_e64 s1, v77
	s_cbranch_execnz .LBB1126_665
.LBB1126_614:                           ;   in Loop: Header=BB1126_608 Depth=2
	s_or_b32 exec_lo, exec_lo, s9
	s_delay_alu instid0(SALU_CYCLE_1)
	s_mov_b32 s9, exec_lo
	v_cmpx_gt_u32_e64 s1, v78
	s_cbranch_execz .LBB1126_666
.LBB1126_615:                           ;   in Loop: Header=BB1126_608 Depth=2
	global_load_b64 v[28:29], v125, s[10:11]
	s_or_b32 exec_lo, exec_lo, s9
	s_delay_alu instid0(SALU_CYCLE_1)
	s_mov_b32 s9, exec_lo
	v_cmpx_gt_u32_e64 s1, v79
	s_cbranch_execnz .LBB1126_667
.LBB1126_616:                           ;   in Loop: Header=BB1126_608 Depth=2
	s_or_b32 exec_lo, exec_lo, s9
	s_delay_alu instid0(SALU_CYCLE_1)
	s_mov_b32 s9, exec_lo
	v_cmpx_gt_u32_e64 s1, v83
	s_cbranch_execz .LBB1126_668
.LBB1126_617:                           ;   in Loop: Header=BB1126_608 Depth=2
	global_load_b64 v[24:25], v127, s[10:11]
	s_or_b32 exec_lo, exec_lo, s9
	s_delay_alu instid0(SALU_CYCLE_1)
	s_mov_b32 s9, exec_lo
	v_cmpx_gt_u32_e64 s1, v84
	s_cbranch_execnz .LBB1126_669
.LBB1126_618:                           ;   in Loop: Header=BB1126_608 Depth=2
	s_or_b32 exec_lo, exec_lo, s9
	s_delay_alu instid0(SALU_CYCLE_1)
	s_mov_b32 s9, exec_lo
	v_cmpx_gt_u32_e64 s1, v85
	s_cbranch_execz .LBB1126_670
.LBB1126_619:                           ;   in Loop: Header=BB1126_608 Depth=2
	global_load_b64 v[20:21], v129, s[10:11]
	s_or_b32 exec_lo, exec_lo, s9
	s_delay_alu instid0(SALU_CYCLE_1)
	s_mov_b32 s9, exec_lo
	v_cmpx_gt_u32_e64 s1, v86
	s_cbranch_execnz .LBB1126_671
.LBB1126_620:                           ;   in Loop: Header=BB1126_608 Depth=2
	s_or_b32 exec_lo, exec_lo, s9
	s_delay_alu instid0(SALU_CYCLE_1)
	s_mov_b32 s9, exec_lo
	v_cmpx_gt_u32_e64 s1, v87
	s_cbranch_execz .LBB1126_672
.LBB1126_621:                           ;   in Loop: Header=BB1126_608 Depth=2
	global_load_b64 v[16:17], v131, s[10:11]
	s_or_b32 exec_lo, exec_lo, s9
	s_delay_alu instid0(SALU_CYCLE_1)
	s_mov_b32 s9, exec_lo
	v_cmpx_gt_u32_e64 s1, v88
	s_cbranch_execnz .LBB1126_673
.LBB1126_622:                           ;   in Loop: Header=BB1126_608 Depth=2
	s_or_b32 exec_lo, exec_lo, s9
	s_delay_alu instid0(SALU_CYCLE_1)
	s_mov_b32 s9, exec_lo
	v_cmpx_gt_u32_e64 s1, v89
	s_cbranch_execz .LBB1126_674
.LBB1126_623:                           ;   in Loop: Header=BB1126_608 Depth=2
	global_load_b64 v[12:13], v133, s[10:11]
	s_or_b32 exec_lo, exec_lo, s9
	s_delay_alu instid0(SALU_CYCLE_1)
	s_mov_b32 s9, exec_lo
	v_cmpx_gt_u32_e64 s1, v90
	s_cbranch_execnz .LBB1126_675
.LBB1126_624:                           ;   in Loop: Header=BB1126_608 Depth=2
	s_or_b32 exec_lo, exec_lo, s9
	s_delay_alu instid0(SALU_CYCLE_1)
	s_mov_b32 s9, exec_lo
	v_cmpx_gt_u32_e64 s1, v91
	s_cbranch_execz .LBB1126_676
.LBB1126_625:                           ;   in Loop: Header=BB1126_608 Depth=2
	global_load_b64 v[8:9], v135, s[10:11]
	s_or_b32 exec_lo, exec_lo, s9
	s_delay_alu instid0(SALU_CYCLE_1)
	s_mov_b32 s9, exec_lo
	v_cmpx_gt_u32_e64 s1, v92
	s_cbranch_execnz .LBB1126_677
.LBB1126_626:                           ;   in Loop: Header=BB1126_608 Depth=2
	s_or_b32 exec_lo, exec_lo, s9
	s_delay_alu instid0(SALU_CYCLE_1)
	s_mov_b32 s9, exec_lo
	v_cmpx_gt_u32_e64 s1, v93
	s_cbranch_execz .LBB1126_628
.LBB1126_627:                           ;   in Loop: Header=BB1126_608 Depth=2
	v_lshlrev_b32_e32 v2, 3, v93
	global_load_b64 v[4:5], v2, s[10:11]
.LBB1126_628:                           ;   in Loop: Header=BB1126_608 Depth=2
	s_or_b32 exec_lo, exec_lo, s9
	s_delay_alu instid0(SALU_CYCLE_1)
	s_mov_b32 s9, exec_lo
                                        ; implicit-def: $sgpr13
                                        ; implicit-def: $vgpr36_vgpr37
	v_cmpx_gt_u32_e64 s1, v95
; %bb.629:                              ;   in Loop: Header=BB1126_608 Depth=2
	v_lshlrev_b32_e32 v2, 3, v95
	s_sub_i32 s13, s35, s8
	s_or_b32 s12, s12, exec_lo
                                        ; implicit-def: $vgpr34_vgpr35
	s_delay_alu instid0(VALU_DEP_1) | instskip(NEXT) | instid1(VALU_DEP_1)
	v_add_co_u32 v36, s10, s10, v2
	v_add_co_ci_u32_e64 v37, null, s11, 0, s10
; %bb.630:                              ;   in Loop: Header=BB1126_608 Depth=2
	s_or_b32 exec_lo, exec_lo, s9
	s_waitcnt vmcnt(0)
	v_dual_mov_b32 v39, v33 :: v_dual_mov_b32 v38, v32
	v_dual_mov_b32 v41, v31 :: v_dual_mov_b32 v40, v30
	;; [unrolled: 1-line block ×15, first 2 shown]
	v_mov_b32_e32 v2, s1
	s_and_saveexec_b32 s8, s12
	s_cbranch_execz .LBB1126_632
.LBB1126_631:                           ;   in Loop: Header=BB1126_608 Depth=2
	global_load_b64 v[34:35], v[36:37], off
	s_waitcnt vmcnt(1)
	v_mov_b32_e32 v4, v66
	v_mov_b32_e32 v6, v64
	;; [unrolled: 1-line block ×14, first 2 shown]
	v_dual_mov_b32 v32, v38 :: v_dual_mov_b32 v33, v39
	v_dual_mov_b32 v2, s13 :: v_dual_mov_b32 v5, v67
	v_mov_b32_e32 v7, v65
	v_mov_b32_e32 v9, v61
	;; [unrolled: 1-line block ×13, first 2 shown]
.LBB1126_632:                           ;   in Loop: Header=BB1126_608 Depth=2
	s_or_b32 exec_lo, exec_lo, s8
	s_delay_alu instid0(SALU_CYCLE_1)
	s_mov_b32 s8, exec_lo
	v_cmpx_lt_u32_e64 v1, v2
	s_cbranch_execz .LBB1126_648
; %bb.633:                              ;   in Loop: Header=BB1126_608 Depth=2
	v_cmp_gt_i64_e32 vcc_lo, 0, v[32:33]
	v_ashrrev_i32_e32 v36, 31, v33
	s_delay_alu instid0(VALU_DEP_1) | instskip(SKIP_1) | instid1(VALU_DEP_2)
	v_not_b32_e32 v36, v36
	v_cndmask_b32_e64 v37, 0x7fffffff, 0, vcc_lo
	v_xor_b32_e32 v36, v36, v32
	s_delay_alu instid0(VALU_DEP_2) | instskip(NEXT) | instid1(VALU_DEP_1)
	v_xor_b32_e32 v37, v37, v33
	v_cmp_ne_u64_e32 vcc_lo, s[36:37], v[36:37]
	v_cndmask_b32_e32 v37, 0x7fffffff, v37, vcc_lo
	v_cndmask_b32_e32 v36, -1, v36, vcc_lo
	s_delay_alu instid0(VALU_DEP_1) | instskip(SKIP_1) | instid1(VALU_DEP_2)
	v_lshrrev_b64 v[36:37], s42, v[36:37]
	v_lshlrev_b32_e32 v37, 2, v80
	v_and_b32_e32 v36, s50, v36
	s_delay_alu instid0(VALU_DEP_1) | instskip(SKIP_2) | instid1(SALU_CYCLE_1)
	v_lshl_or_b32 v36, v36, 4, v37
	ds_add_u32 v36, v123
	s_or_b32 exec_lo, exec_lo, s8
	s_mov_b32 s8, exec_lo
	v_cmpx_lt_u32_e64 v77, v2
	s_cbranch_execnz .LBB1126_649
.LBB1126_634:                           ;   in Loop: Header=BB1126_608 Depth=2
	s_or_b32 exec_lo, exec_lo, s8
	s_delay_alu instid0(SALU_CYCLE_1)
	s_mov_b32 s8, exec_lo
	v_cmpx_lt_u32_e64 v78, v2
	s_cbranch_execz .LBB1126_650
.LBB1126_635:                           ;   in Loop: Header=BB1126_608 Depth=2
	v_cmp_gt_i64_e32 vcc_lo, 0, v[28:29]
	v_ashrrev_i32_e32 v36, 31, v29
	s_delay_alu instid0(VALU_DEP_1) | instskip(SKIP_1) | instid1(VALU_DEP_2)
	v_not_b32_e32 v36, v36
	v_cndmask_b32_e64 v37, 0x7fffffff, 0, vcc_lo
	v_xor_b32_e32 v36, v36, v28
	s_delay_alu instid0(VALU_DEP_2) | instskip(NEXT) | instid1(VALU_DEP_1)
	v_xor_b32_e32 v37, v37, v29
	v_cmp_ne_u64_e32 vcc_lo, s[36:37], v[36:37]
	v_cndmask_b32_e32 v37, 0x7fffffff, v37, vcc_lo
	v_cndmask_b32_e32 v36, -1, v36, vcc_lo
	s_delay_alu instid0(VALU_DEP_1) | instskip(SKIP_1) | instid1(VALU_DEP_2)
	v_lshrrev_b64 v[36:37], s42, v[36:37]
	v_lshlrev_b32_e32 v37, 2, v80
	v_and_b32_e32 v36, s50, v36
	s_delay_alu instid0(VALU_DEP_1) | instskip(SKIP_2) | instid1(SALU_CYCLE_1)
	v_lshl_or_b32 v36, v36, 4, v37
	ds_add_u32 v36, v123
	s_or_b32 exec_lo, exec_lo, s8
	s_mov_b32 s8, exec_lo
	v_cmpx_lt_u32_e64 v79, v2
	s_cbranch_execnz .LBB1126_651
.LBB1126_636:                           ;   in Loop: Header=BB1126_608 Depth=2
	s_or_b32 exec_lo, exec_lo, s8
	s_delay_alu instid0(SALU_CYCLE_1)
	s_mov_b32 s8, exec_lo
	v_cmpx_lt_u32_e64 v83, v2
	s_cbranch_execz .LBB1126_652
.LBB1126_637:                           ;   in Loop: Header=BB1126_608 Depth=2
	v_cmp_gt_i64_e32 vcc_lo, 0, v[24:25]
	v_ashrrev_i32_e32 v36, 31, v25
	s_delay_alu instid0(VALU_DEP_1) | instskip(SKIP_1) | instid1(VALU_DEP_2)
	v_not_b32_e32 v36, v36
	v_cndmask_b32_e64 v37, 0x7fffffff, 0, vcc_lo
	v_xor_b32_e32 v36, v36, v24
	s_delay_alu instid0(VALU_DEP_2) | instskip(NEXT) | instid1(VALU_DEP_1)
	v_xor_b32_e32 v37, v37, v25
	v_cmp_ne_u64_e32 vcc_lo, s[36:37], v[36:37]
	v_cndmask_b32_e32 v37, 0x7fffffff, v37, vcc_lo
	v_cndmask_b32_e32 v36, -1, v36, vcc_lo
	s_delay_alu instid0(VALU_DEP_1) | instskip(SKIP_1) | instid1(VALU_DEP_2)
	v_lshrrev_b64 v[36:37], s42, v[36:37]
	v_lshlrev_b32_e32 v37, 2, v80
	v_and_b32_e32 v36, s50, v36
	s_delay_alu instid0(VALU_DEP_1) | instskip(SKIP_2) | instid1(SALU_CYCLE_1)
	v_lshl_or_b32 v36, v36, 4, v37
	ds_add_u32 v36, v123
	s_or_b32 exec_lo, exec_lo, s8
	s_mov_b32 s8, exec_lo
	v_cmpx_lt_u32_e64 v84, v2
	s_cbranch_execnz .LBB1126_653
.LBB1126_638:                           ;   in Loop: Header=BB1126_608 Depth=2
	s_or_b32 exec_lo, exec_lo, s8
	s_delay_alu instid0(SALU_CYCLE_1)
	s_mov_b32 s8, exec_lo
	v_cmpx_lt_u32_e64 v85, v2
	s_cbranch_execz .LBB1126_654
.LBB1126_639:                           ;   in Loop: Header=BB1126_608 Depth=2
	v_cmp_gt_i64_e32 vcc_lo, 0, v[20:21]
	v_ashrrev_i32_e32 v36, 31, v21
	s_delay_alu instid0(VALU_DEP_1) | instskip(SKIP_1) | instid1(VALU_DEP_2)
	v_not_b32_e32 v36, v36
	v_cndmask_b32_e64 v37, 0x7fffffff, 0, vcc_lo
	v_xor_b32_e32 v36, v36, v20
	s_delay_alu instid0(VALU_DEP_2) | instskip(NEXT) | instid1(VALU_DEP_1)
	v_xor_b32_e32 v37, v37, v21
	v_cmp_ne_u64_e32 vcc_lo, s[36:37], v[36:37]
	v_cndmask_b32_e32 v37, 0x7fffffff, v37, vcc_lo
	v_cndmask_b32_e32 v36, -1, v36, vcc_lo
	s_delay_alu instid0(VALU_DEP_1) | instskip(SKIP_1) | instid1(VALU_DEP_2)
	v_lshrrev_b64 v[36:37], s42, v[36:37]
	v_lshlrev_b32_e32 v37, 2, v80
	v_and_b32_e32 v36, s50, v36
	s_delay_alu instid0(VALU_DEP_1) | instskip(SKIP_2) | instid1(SALU_CYCLE_1)
	v_lshl_or_b32 v36, v36, 4, v37
	ds_add_u32 v36, v123
	s_or_b32 exec_lo, exec_lo, s8
	s_mov_b32 s8, exec_lo
	v_cmpx_lt_u32_e64 v86, v2
	s_cbranch_execnz .LBB1126_655
.LBB1126_640:                           ;   in Loop: Header=BB1126_608 Depth=2
	s_or_b32 exec_lo, exec_lo, s8
	s_delay_alu instid0(SALU_CYCLE_1)
	s_mov_b32 s8, exec_lo
	v_cmpx_lt_u32_e64 v87, v2
	s_cbranch_execz .LBB1126_656
.LBB1126_641:                           ;   in Loop: Header=BB1126_608 Depth=2
	v_cmp_gt_i64_e32 vcc_lo, 0, v[16:17]
	v_ashrrev_i32_e32 v36, 31, v17
	s_delay_alu instid0(VALU_DEP_1) | instskip(SKIP_1) | instid1(VALU_DEP_2)
	v_not_b32_e32 v36, v36
	v_cndmask_b32_e64 v37, 0x7fffffff, 0, vcc_lo
	v_xor_b32_e32 v36, v36, v16
	s_delay_alu instid0(VALU_DEP_2) | instskip(NEXT) | instid1(VALU_DEP_1)
	v_xor_b32_e32 v37, v37, v17
	v_cmp_ne_u64_e32 vcc_lo, s[36:37], v[36:37]
	v_cndmask_b32_e32 v37, 0x7fffffff, v37, vcc_lo
	v_cndmask_b32_e32 v36, -1, v36, vcc_lo
	s_delay_alu instid0(VALU_DEP_1) | instskip(SKIP_1) | instid1(VALU_DEP_2)
	v_lshrrev_b64 v[36:37], s42, v[36:37]
	v_lshlrev_b32_e32 v37, 2, v80
	v_and_b32_e32 v36, s50, v36
	s_delay_alu instid0(VALU_DEP_1) | instskip(SKIP_2) | instid1(SALU_CYCLE_1)
	v_lshl_or_b32 v36, v36, 4, v37
	ds_add_u32 v36, v123
	s_or_b32 exec_lo, exec_lo, s8
	s_mov_b32 s8, exec_lo
	v_cmpx_lt_u32_e64 v88, v2
	s_cbranch_execnz .LBB1126_657
.LBB1126_642:                           ;   in Loop: Header=BB1126_608 Depth=2
	s_or_b32 exec_lo, exec_lo, s8
	s_delay_alu instid0(SALU_CYCLE_1)
	s_mov_b32 s8, exec_lo
	v_cmpx_lt_u32_e64 v89, v2
	s_cbranch_execz .LBB1126_658
.LBB1126_643:                           ;   in Loop: Header=BB1126_608 Depth=2
	v_cmp_gt_i64_e32 vcc_lo, 0, v[12:13]
	v_ashrrev_i32_e32 v36, 31, v13
	s_delay_alu instid0(VALU_DEP_1) | instskip(SKIP_1) | instid1(VALU_DEP_2)
	v_not_b32_e32 v36, v36
	v_cndmask_b32_e64 v37, 0x7fffffff, 0, vcc_lo
	v_xor_b32_e32 v36, v36, v12
	s_delay_alu instid0(VALU_DEP_2) | instskip(NEXT) | instid1(VALU_DEP_1)
	v_xor_b32_e32 v37, v37, v13
	v_cmp_ne_u64_e32 vcc_lo, s[36:37], v[36:37]
	v_cndmask_b32_e32 v37, 0x7fffffff, v37, vcc_lo
	v_cndmask_b32_e32 v36, -1, v36, vcc_lo
	s_delay_alu instid0(VALU_DEP_1) | instskip(SKIP_1) | instid1(VALU_DEP_2)
	v_lshrrev_b64 v[36:37], s42, v[36:37]
	v_lshlrev_b32_e32 v37, 2, v80
	v_and_b32_e32 v36, s50, v36
	s_delay_alu instid0(VALU_DEP_1) | instskip(SKIP_2) | instid1(SALU_CYCLE_1)
	v_lshl_or_b32 v36, v36, 4, v37
	ds_add_u32 v36, v123
	s_or_b32 exec_lo, exec_lo, s8
	s_mov_b32 s8, exec_lo
	v_cmpx_lt_u32_e64 v90, v2
	s_cbranch_execnz .LBB1126_659
.LBB1126_644:                           ;   in Loop: Header=BB1126_608 Depth=2
	s_or_b32 exec_lo, exec_lo, s8
	s_delay_alu instid0(SALU_CYCLE_1)
	s_mov_b32 s8, exec_lo
	v_cmpx_lt_u32_e64 v91, v2
	s_cbranch_execz .LBB1126_660
.LBB1126_645:                           ;   in Loop: Header=BB1126_608 Depth=2
	v_cmp_gt_i64_e32 vcc_lo, 0, v[8:9]
	v_ashrrev_i32_e32 v36, 31, v9
	s_delay_alu instid0(VALU_DEP_1) | instskip(SKIP_1) | instid1(VALU_DEP_2)
	v_not_b32_e32 v36, v36
	v_cndmask_b32_e64 v37, 0x7fffffff, 0, vcc_lo
	v_xor_b32_e32 v36, v36, v8
	s_delay_alu instid0(VALU_DEP_2) | instskip(NEXT) | instid1(VALU_DEP_1)
	v_xor_b32_e32 v37, v37, v9
	v_cmp_ne_u64_e32 vcc_lo, s[36:37], v[36:37]
	v_cndmask_b32_e32 v37, 0x7fffffff, v37, vcc_lo
	v_cndmask_b32_e32 v36, -1, v36, vcc_lo
	s_delay_alu instid0(VALU_DEP_1) | instskip(SKIP_1) | instid1(VALU_DEP_2)
	v_lshrrev_b64 v[36:37], s42, v[36:37]
	v_lshlrev_b32_e32 v37, 2, v80
	v_and_b32_e32 v36, s50, v36
	s_delay_alu instid0(VALU_DEP_1) | instskip(SKIP_2) | instid1(SALU_CYCLE_1)
	v_lshl_or_b32 v36, v36, 4, v37
	ds_add_u32 v36, v123
	s_or_b32 exec_lo, exec_lo, s8
	s_mov_b32 s8, exec_lo
	v_cmpx_lt_u32_e64 v92, v2
	s_cbranch_execnz .LBB1126_661
.LBB1126_646:                           ;   in Loop: Header=BB1126_608 Depth=2
	s_or_b32 exec_lo, exec_lo, s8
	s_delay_alu instid0(SALU_CYCLE_1)
	s_mov_b32 s8, exec_lo
	v_cmpx_lt_u32_e64 v93, v2
	s_cbranch_execz .LBB1126_662
.LBB1126_647:                           ;   in Loop: Header=BB1126_608 Depth=2
	v_cmp_gt_i64_e32 vcc_lo, 0, v[4:5]
	v_ashrrev_i32_e32 v36, 31, v5
	s_delay_alu instid0(VALU_DEP_1) | instskip(SKIP_1) | instid1(VALU_DEP_2)
	v_not_b32_e32 v36, v36
	v_cndmask_b32_e64 v37, 0x7fffffff, 0, vcc_lo
	v_xor_b32_e32 v36, v36, v4
	s_delay_alu instid0(VALU_DEP_2) | instskip(NEXT) | instid1(VALU_DEP_1)
	v_xor_b32_e32 v37, v37, v5
	v_cmp_ne_u64_e32 vcc_lo, s[36:37], v[36:37]
	v_cndmask_b32_e32 v37, 0x7fffffff, v37, vcc_lo
	v_cndmask_b32_e32 v36, -1, v36, vcc_lo
	s_delay_alu instid0(VALU_DEP_1) | instskip(SKIP_1) | instid1(VALU_DEP_2)
	v_lshrrev_b64 v[36:37], s42, v[36:37]
	v_lshlrev_b32_e32 v37, 2, v80
	v_and_b32_e32 v36, s50, v36
	s_delay_alu instid0(VALU_DEP_1) | instskip(SKIP_2) | instid1(SALU_CYCLE_1)
	v_lshl_or_b32 v36, v36, 4, v37
	ds_add_u32 v36, v123
	s_or_b32 exec_lo, exec_lo, s8
	s_mov_b32 s8, exec_lo
	v_cmpx_lt_u32_e64 v95, v2
	s_cbranch_execz .LBB1126_607
	s_branch .LBB1126_663
.LBB1126_648:                           ;   in Loop: Header=BB1126_608 Depth=2
	s_or_b32 exec_lo, exec_lo, s8
	s_delay_alu instid0(SALU_CYCLE_1)
	s_mov_b32 s8, exec_lo
	v_cmpx_lt_u32_e64 v77, v2
	s_cbranch_execz .LBB1126_634
.LBB1126_649:                           ;   in Loop: Header=BB1126_608 Depth=2
	v_cmp_gt_i64_e32 vcc_lo, 0, v[30:31]
	v_ashrrev_i32_e32 v36, 31, v31
	s_delay_alu instid0(VALU_DEP_1) | instskip(SKIP_1) | instid1(VALU_DEP_2)
	v_not_b32_e32 v36, v36
	v_cndmask_b32_e64 v37, 0x7fffffff, 0, vcc_lo
	v_xor_b32_e32 v36, v36, v30
	s_delay_alu instid0(VALU_DEP_2) | instskip(NEXT) | instid1(VALU_DEP_1)
	v_xor_b32_e32 v37, v37, v31
	v_cmp_ne_u64_e32 vcc_lo, s[36:37], v[36:37]
	v_cndmask_b32_e32 v37, 0x7fffffff, v37, vcc_lo
	v_cndmask_b32_e32 v36, -1, v36, vcc_lo
	s_delay_alu instid0(VALU_DEP_1) | instskip(SKIP_1) | instid1(VALU_DEP_2)
	v_lshrrev_b64 v[36:37], s42, v[36:37]
	v_lshlrev_b32_e32 v37, 2, v80
	v_and_b32_e32 v36, s50, v36
	s_delay_alu instid0(VALU_DEP_1) | instskip(SKIP_2) | instid1(SALU_CYCLE_1)
	v_lshl_or_b32 v36, v36, 4, v37
	ds_add_u32 v36, v123
	s_or_b32 exec_lo, exec_lo, s8
	s_mov_b32 s8, exec_lo
	v_cmpx_lt_u32_e64 v78, v2
	s_cbranch_execnz .LBB1126_635
.LBB1126_650:                           ;   in Loop: Header=BB1126_608 Depth=2
	s_or_b32 exec_lo, exec_lo, s8
	s_delay_alu instid0(SALU_CYCLE_1)
	s_mov_b32 s8, exec_lo
	v_cmpx_lt_u32_e64 v79, v2
	s_cbranch_execz .LBB1126_636
.LBB1126_651:                           ;   in Loop: Header=BB1126_608 Depth=2
	v_cmp_gt_i64_e32 vcc_lo, 0, v[26:27]
	v_ashrrev_i32_e32 v36, 31, v27
	s_delay_alu instid0(VALU_DEP_1) | instskip(SKIP_1) | instid1(VALU_DEP_2)
	v_not_b32_e32 v36, v36
	v_cndmask_b32_e64 v37, 0x7fffffff, 0, vcc_lo
	v_xor_b32_e32 v36, v36, v26
	s_delay_alu instid0(VALU_DEP_2) | instskip(NEXT) | instid1(VALU_DEP_1)
	v_xor_b32_e32 v37, v37, v27
	v_cmp_ne_u64_e32 vcc_lo, s[36:37], v[36:37]
	v_cndmask_b32_e32 v37, 0x7fffffff, v37, vcc_lo
	v_cndmask_b32_e32 v36, -1, v36, vcc_lo
	s_delay_alu instid0(VALU_DEP_1) | instskip(SKIP_1) | instid1(VALU_DEP_2)
	v_lshrrev_b64 v[36:37], s42, v[36:37]
	v_lshlrev_b32_e32 v37, 2, v80
	v_and_b32_e32 v36, s50, v36
	s_delay_alu instid0(VALU_DEP_1) | instskip(SKIP_2) | instid1(SALU_CYCLE_1)
	v_lshl_or_b32 v36, v36, 4, v37
	ds_add_u32 v36, v123
	s_or_b32 exec_lo, exec_lo, s8
	s_mov_b32 s8, exec_lo
	v_cmpx_lt_u32_e64 v83, v2
	s_cbranch_execnz .LBB1126_637
.LBB1126_652:                           ;   in Loop: Header=BB1126_608 Depth=2
	s_or_b32 exec_lo, exec_lo, s8
	s_delay_alu instid0(SALU_CYCLE_1)
	s_mov_b32 s8, exec_lo
	v_cmpx_lt_u32_e64 v84, v2
	s_cbranch_execz .LBB1126_638
.LBB1126_653:                           ;   in Loop: Header=BB1126_608 Depth=2
	v_cmp_gt_i64_e32 vcc_lo, 0, v[22:23]
	v_ashrrev_i32_e32 v36, 31, v23
	s_delay_alu instid0(VALU_DEP_1) | instskip(SKIP_1) | instid1(VALU_DEP_2)
	v_not_b32_e32 v36, v36
	v_cndmask_b32_e64 v37, 0x7fffffff, 0, vcc_lo
	v_xor_b32_e32 v36, v36, v22
	s_delay_alu instid0(VALU_DEP_2) | instskip(NEXT) | instid1(VALU_DEP_1)
	v_xor_b32_e32 v37, v37, v23
	v_cmp_ne_u64_e32 vcc_lo, s[36:37], v[36:37]
	v_cndmask_b32_e32 v37, 0x7fffffff, v37, vcc_lo
	v_cndmask_b32_e32 v36, -1, v36, vcc_lo
	s_delay_alu instid0(VALU_DEP_1) | instskip(SKIP_1) | instid1(VALU_DEP_2)
	v_lshrrev_b64 v[36:37], s42, v[36:37]
	v_lshlrev_b32_e32 v37, 2, v80
	v_and_b32_e32 v36, s50, v36
	s_delay_alu instid0(VALU_DEP_1) | instskip(SKIP_2) | instid1(SALU_CYCLE_1)
	v_lshl_or_b32 v36, v36, 4, v37
	ds_add_u32 v36, v123
	s_or_b32 exec_lo, exec_lo, s8
	s_mov_b32 s8, exec_lo
	v_cmpx_lt_u32_e64 v85, v2
	s_cbranch_execnz .LBB1126_639
.LBB1126_654:                           ;   in Loop: Header=BB1126_608 Depth=2
	s_or_b32 exec_lo, exec_lo, s8
	s_delay_alu instid0(SALU_CYCLE_1)
	s_mov_b32 s8, exec_lo
	v_cmpx_lt_u32_e64 v86, v2
	s_cbranch_execz .LBB1126_640
.LBB1126_655:                           ;   in Loop: Header=BB1126_608 Depth=2
	v_cmp_gt_i64_e32 vcc_lo, 0, v[18:19]
	v_ashrrev_i32_e32 v36, 31, v19
	s_delay_alu instid0(VALU_DEP_1) | instskip(SKIP_1) | instid1(VALU_DEP_2)
	v_not_b32_e32 v36, v36
	v_cndmask_b32_e64 v37, 0x7fffffff, 0, vcc_lo
	v_xor_b32_e32 v36, v36, v18
	s_delay_alu instid0(VALU_DEP_2) | instskip(NEXT) | instid1(VALU_DEP_1)
	v_xor_b32_e32 v37, v37, v19
	v_cmp_ne_u64_e32 vcc_lo, s[36:37], v[36:37]
	v_cndmask_b32_e32 v37, 0x7fffffff, v37, vcc_lo
	v_cndmask_b32_e32 v36, -1, v36, vcc_lo
	s_delay_alu instid0(VALU_DEP_1) | instskip(SKIP_1) | instid1(VALU_DEP_2)
	v_lshrrev_b64 v[36:37], s42, v[36:37]
	v_lshlrev_b32_e32 v37, 2, v80
	v_and_b32_e32 v36, s50, v36
	s_delay_alu instid0(VALU_DEP_1) | instskip(SKIP_2) | instid1(SALU_CYCLE_1)
	v_lshl_or_b32 v36, v36, 4, v37
	ds_add_u32 v36, v123
	s_or_b32 exec_lo, exec_lo, s8
	s_mov_b32 s8, exec_lo
	v_cmpx_lt_u32_e64 v87, v2
	s_cbranch_execnz .LBB1126_641
.LBB1126_656:                           ;   in Loop: Header=BB1126_608 Depth=2
	s_or_b32 exec_lo, exec_lo, s8
	s_delay_alu instid0(SALU_CYCLE_1)
	s_mov_b32 s8, exec_lo
	v_cmpx_lt_u32_e64 v88, v2
	s_cbranch_execz .LBB1126_642
.LBB1126_657:                           ;   in Loop: Header=BB1126_608 Depth=2
	v_cmp_gt_i64_e32 vcc_lo, 0, v[14:15]
	v_ashrrev_i32_e32 v36, 31, v15
	s_delay_alu instid0(VALU_DEP_1) | instskip(SKIP_1) | instid1(VALU_DEP_2)
	v_not_b32_e32 v36, v36
	v_cndmask_b32_e64 v37, 0x7fffffff, 0, vcc_lo
	v_xor_b32_e32 v36, v36, v14
	s_delay_alu instid0(VALU_DEP_2) | instskip(NEXT) | instid1(VALU_DEP_1)
	v_xor_b32_e32 v37, v37, v15
	v_cmp_ne_u64_e32 vcc_lo, s[36:37], v[36:37]
	v_cndmask_b32_e32 v37, 0x7fffffff, v37, vcc_lo
	v_cndmask_b32_e32 v36, -1, v36, vcc_lo
	s_delay_alu instid0(VALU_DEP_1) | instskip(SKIP_1) | instid1(VALU_DEP_2)
	v_lshrrev_b64 v[36:37], s42, v[36:37]
	v_lshlrev_b32_e32 v37, 2, v80
	v_and_b32_e32 v36, s50, v36
	s_delay_alu instid0(VALU_DEP_1) | instskip(SKIP_2) | instid1(SALU_CYCLE_1)
	v_lshl_or_b32 v36, v36, 4, v37
	ds_add_u32 v36, v123
	s_or_b32 exec_lo, exec_lo, s8
	s_mov_b32 s8, exec_lo
	v_cmpx_lt_u32_e64 v89, v2
	s_cbranch_execnz .LBB1126_643
.LBB1126_658:                           ;   in Loop: Header=BB1126_608 Depth=2
	s_or_b32 exec_lo, exec_lo, s8
	s_delay_alu instid0(SALU_CYCLE_1)
	s_mov_b32 s8, exec_lo
	v_cmpx_lt_u32_e64 v90, v2
	s_cbranch_execz .LBB1126_644
.LBB1126_659:                           ;   in Loop: Header=BB1126_608 Depth=2
	v_cmp_gt_i64_e32 vcc_lo, 0, v[10:11]
	v_ashrrev_i32_e32 v36, 31, v11
	s_delay_alu instid0(VALU_DEP_1) | instskip(SKIP_1) | instid1(VALU_DEP_2)
	v_not_b32_e32 v36, v36
	v_cndmask_b32_e64 v37, 0x7fffffff, 0, vcc_lo
	v_xor_b32_e32 v36, v36, v10
	s_delay_alu instid0(VALU_DEP_2) | instskip(NEXT) | instid1(VALU_DEP_1)
	v_xor_b32_e32 v37, v37, v11
	v_cmp_ne_u64_e32 vcc_lo, s[36:37], v[36:37]
	v_cndmask_b32_e32 v37, 0x7fffffff, v37, vcc_lo
	v_cndmask_b32_e32 v36, -1, v36, vcc_lo
	s_delay_alu instid0(VALU_DEP_1) | instskip(SKIP_1) | instid1(VALU_DEP_2)
	v_lshrrev_b64 v[36:37], s42, v[36:37]
	v_lshlrev_b32_e32 v37, 2, v80
	v_and_b32_e32 v36, s50, v36
	s_delay_alu instid0(VALU_DEP_1) | instskip(SKIP_2) | instid1(SALU_CYCLE_1)
	v_lshl_or_b32 v36, v36, 4, v37
	ds_add_u32 v36, v123
	s_or_b32 exec_lo, exec_lo, s8
	s_mov_b32 s8, exec_lo
	v_cmpx_lt_u32_e64 v91, v2
	s_cbranch_execnz .LBB1126_645
.LBB1126_660:                           ;   in Loop: Header=BB1126_608 Depth=2
	s_or_b32 exec_lo, exec_lo, s8
	s_delay_alu instid0(SALU_CYCLE_1)
	s_mov_b32 s8, exec_lo
	v_cmpx_lt_u32_e64 v92, v2
	s_cbranch_execz .LBB1126_646
.LBB1126_661:                           ;   in Loop: Header=BB1126_608 Depth=2
	v_cmp_gt_i64_e32 vcc_lo, 0, v[6:7]
	v_ashrrev_i32_e32 v36, 31, v7
	s_delay_alu instid0(VALU_DEP_1) | instskip(SKIP_1) | instid1(VALU_DEP_2)
	v_not_b32_e32 v36, v36
	v_cndmask_b32_e64 v37, 0x7fffffff, 0, vcc_lo
	v_xor_b32_e32 v36, v36, v6
	s_delay_alu instid0(VALU_DEP_2) | instskip(NEXT) | instid1(VALU_DEP_1)
	v_xor_b32_e32 v37, v37, v7
	v_cmp_ne_u64_e32 vcc_lo, s[36:37], v[36:37]
	v_cndmask_b32_e32 v37, 0x7fffffff, v37, vcc_lo
	v_cndmask_b32_e32 v36, -1, v36, vcc_lo
	s_delay_alu instid0(VALU_DEP_1) | instskip(SKIP_1) | instid1(VALU_DEP_2)
	v_lshrrev_b64 v[36:37], s42, v[36:37]
	v_lshlrev_b32_e32 v37, 2, v80
	v_and_b32_e32 v36, s50, v36
	s_delay_alu instid0(VALU_DEP_1) | instskip(SKIP_2) | instid1(SALU_CYCLE_1)
	v_lshl_or_b32 v36, v36, 4, v37
	ds_add_u32 v36, v123
	s_or_b32 exec_lo, exec_lo, s8
	s_mov_b32 s8, exec_lo
	v_cmpx_lt_u32_e64 v93, v2
	s_cbranch_execnz .LBB1126_647
.LBB1126_662:                           ;   in Loop: Header=BB1126_608 Depth=2
	s_or_b32 exec_lo, exec_lo, s8
	s_delay_alu instid0(SALU_CYCLE_1)
	s_mov_b32 s8, exec_lo
	v_cmpx_lt_u32_e64 v95, v2
	s_cbranch_execz .LBB1126_607
.LBB1126_663:                           ;   in Loop: Header=BB1126_608 Depth=2
	s_waitcnt vmcnt(0)
	v_cmp_gt_i64_e32 vcc_lo, 0, v[34:35]
	v_ashrrev_i32_e32 v2, 31, v35
	s_delay_alu instid0(VALU_DEP_1) | instskip(SKIP_1) | instid1(VALU_DEP_1)
	v_not_b32_e32 v2, v2
	v_cndmask_b32_e64 v36, 0x7fffffff, 0, vcc_lo
	v_xor_b32_e32 v37, v36, v35
	s_delay_alu instid0(VALU_DEP_3) | instskip(NEXT) | instid1(VALU_DEP_1)
	v_xor_b32_e32 v36, v2, v34
	v_cmp_ne_u64_e32 vcc_lo, s[36:37], v[36:37]
	v_cndmask_b32_e32 v37, 0x7fffffff, v37, vcc_lo
	v_cndmask_b32_e32 v36, -1, v36, vcc_lo
	s_delay_alu instid0(VALU_DEP_1) | instskip(NEXT) | instid1(VALU_DEP_1)
	v_lshrrev_b64 v[36:37], s42, v[36:37]
	v_and_b32_e32 v2, s50, v36
	v_lshlrev_b32_e32 v36, 2, v80
	s_delay_alu instid0(VALU_DEP_1)
	v_lshl_or_b32 v2, v2, 4, v36
	ds_add_u32 v2, v123
	s_branch .LBB1126_607
.LBB1126_664:                           ;   in Loop: Header=BB1126_608 Depth=2
	s_or_b32 exec_lo, exec_lo, s9
	s_delay_alu instid0(SALU_CYCLE_1)
	s_mov_b32 s9, exec_lo
	v_cmpx_gt_u32_e64 s1, v77
	s_cbranch_execz .LBB1126_614
.LBB1126_665:                           ;   in Loop: Header=BB1126_608 Depth=2
	global_load_b64 v[30:31], v124, s[10:11] offset:2048
	s_or_b32 exec_lo, exec_lo, s9
	s_delay_alu instid0(SALU_CYCLE_1)
	s_mov_b32 s9, exec_lo
	v_cmpx_gt_u32_e64 s1, v78
	s_cbranch_execnz .LBB1126_615
.LBB1126_666:                           ;   in Loop: Header=BB1126_608 Depth=2
	s_or_b32 exec_lo, exec_lo, s9
	s_delay_alu instid0(SALU_CYCLE_1)
	s_mov_b32 s9, exec_lo
	v_cmpx_gt_u32_e64 s1, v79
	s_cbranch_execz .LBB1126_616
.LBB1126_667:                           ;   in Loop: Header=BB1126_608 Depth=2
	global_load_b64 v[26:27], v126, s[10:11]
	s_or_b32 exec_lo, exec_lo, s9
	s_delay_alu instid0(SALU_CYCLE_1)
	s_mov_b32 s9, exec_lo
	v_cmpx_gt_u32_e64 s1, v83
	s_cbranch_execnz .LBB1126_617
.LBB1126_668:                           ;   in Loop: Header=BB1126_608 Depth=2
	s_or_b32 exec_lo, exec_lo, s9
	s_delay_alu instid0(SALU_CYCLE_1)
	s_mov_b32 s9, exec_lo
	v_cmpx_gt_u32_e64 s1, v84
	s_cbranch_execz .LBB1126_618
.LBB1126_669:                           ;   in Loop: Header=BB1126_608 Depth=2
	global_load_b64 v[22:23], v128, s[10:11]
	s_or_b32 exec_lo, exec_lo, s9
	s_delay_alu instid0(SALU_CYCLE_1)
	s_mov_b32 s9, exec_lo
	v_cmpx_gt_u32_e64 s1, v85
	s_cbranch_execnz .LBB1126_619
.LBB1126_670:                           ;   in Loop: Header=BB1126_608 Depth=2
	s_or_b32 exec_lo, exec_lo, s9
	s_delay_alu instid0(SALU_CYCLE_1)
	s_mov_b32 s9, exec_lo
	v_cmpx_gt_u32_e64 s1, v86
	s_cbranch_execz .LBB1126_620
.LBB1126_671:                           ;   in Loop: Header=BB1126_608 Depth=2
	global_load_b64 v[18:19], v130, s[10:11]
	s_or_b32 exec_lo, exec_lo, s9
	s_delay_alu instid0(SALU_CYCLE_1)
	s_mov_b32 s9, exec_lo
	v_cmpx_gt_u32_e64 s1, v87
	s_cbranch_execnz .LBB1126_621
.LBB1126_672:                           ;   in Loop: Header=BB1126_608 Depth=2
	s_or_b32 exec_lo, exec_lo, s9
	s_delay_alu instid0(SALU_CYCLE_1)
	s_mov_b32 s9, exec_lo
	v_cmpx_gt_u32_e64 s1, v88
	s_cbranch_execz .LBB1126_622
.LBB1126_673:                           ;   in Loop: Header=BB1126_608 Depth=2
	global_load_b64 v[14:15], v132, s[10:11]
	s_or_b32 exec_lo, exec_lo, s9
	s_delay_alu instid0(SALU_CYCLE_1)
	s_mov_b32 s9, exec_lo
	v_cmpx_gt_u32_e64 s1, v89
	s_cbranch_execnz .LBB1126_623
.LBB1126_674:                           ;   in Loop: Header=BB1126_608 Depth=2
	s_or_b32 exec_lo, exec_lo, s9
	s_delay_alu instid0(SALU_CYCLE_1)
	s_mov_b32 s9, exec_lo
	v_cmpx_gt_u32_e64 s1, v90
	s_cbranch_execz .LBB1126_624
.LBB1126_675:                           ;   in Loop: Header=BB1126_608 Depth=2
	global_load_b64 v[10:11], v134, s[10:11]
	s_or_b32 exec_lo, exec_lo, s9
	s_delay_alu instid0(SALU_CYCLE_1)
	s_mov_b32 s9, exec_lo
	v_cmpx_gt_u32_e64 s1, v91
	s_cbranch_execnz .LBB1126_625
.LBB1126_676:                           ;   in Loop: Header=BB1126_608 Depth=2
	s_or_b32 exec_lo, exec_lo, s9
	s_delay_alu instid0(SALU_CYCLE_1)
	s_mov_b32 s9, exec_lo
	v_cmpx_gt_u32_e64 s1, v92
	s_cbranch_execz .LBB1126_626
.LBB1126_677:                           ;   in Loop: Header=BB1126_608 Depth=2
	v_lshlrev_b32_e32 v2, 3, v92
	global_load_b64 v[6:7], v2, s[10:11]
	s_or_b32 exec_lo, exec_lo, s9
	s_delay_alu instid0(SALU_CYCLE_1)
	s_mov_b32 s9, exec_lo
	v_cmpx_gt_u32_e64 s1, v93
	s_cbranch_execz .LBB1126_628
	s_branch .LBB1126_627
.LBB1126_678:                           ;   in Loop: Header=BB1126_12 Depth=1
	v_mov_b32_e32 v2, 0
	s_waitcnt vmcnt(0) lgkmcnt(0)
	s_barrier
	buffer_gl0_inv
	s_and_saveexec_b32 s1, s2
	s_cbranch_execz .LBB1126_680
; %bb.679:                              ;   in Loop: Header=BB1126_12 Depth=1
	ds_load_2addr_b64 v[4:7], v96 offset1:1
	s_waitcnt lgkmcnt(0)
	v_add_nc_u32_e32 v2, v5, v4
	s_delay_alu instid0(VALU_DEP_1)
	v_add3_u32 v2, v2, v6, v7
.LBB1126_680:                           ;   in Loop: Header=BB1126_12 Depth=1
	s_or_b32 exec_lo, exec_lo, s1
	v_and_b32_e32 v4, 15, v136
	s_delay_alu instid0(VALU_DEP_2) | instskip(SKIP_1) | instid1(VALU_DEP_3)
	v_mov_b32_dpp v5, v2 row_shr:1 row_mask:0xf bank_mask:0xf
	v_and_b32_e32 v6, 16, v136
	v_cmp_eq_u32_e64 s1, 0, v4
	v_cmp_lt_u32_e64 s7, 1, v4
	v_cmp_lt_u32_e64 s8, 3, v4
	;; [unrolled: 1-line block ×3, first 2 shown]
	v_cmp_eq_u32_e64 s10, 0, v6
	v_cndmask_b32_e64 v5, v5, 0, s1
	s_delay_alu instid0(VALU_DEP_1) | instskip(NEXT) | instid1(VALU_DEP_1)
	v_add_nc_u32_e32 v2, v5, v2
	v_mov_b32_dpp v5, v2 row_shr:2 row_mask:0xf bank_mask:0xf
	s_delay_alu instid0(VALU_DEP_1) | instskip(NEXT) | instid1(VALU_DEP_1)
	v_cndmask_b32_e64 v5, 0, v5, s7
	v_add_nc_u32_e32 v2, v2, v5
	s_delay_alu instid0(VALU_DEP_1) | instskip(NEXT) | instid1(VALU_DEP_1)
	v_mov_b32_dpp v5, v2 row_shr:4 row_mask:0xf bank_mask:0xf
	v_cndmask_b32_e64 v5, 0, v5, s8
	s_delay_alu instid0(VALU_DEP_1) | instskip(NEXT) | instid1(VALU_DEP_1)
	v_add_nc_u32_e32 v2, v2, v5
	v_mov_b32_dpp v5, v2 row_shr:8 row_mask:0xf bank_mask:0xf
	s_delay_alu instid0(VALU_DEP_1) | instskip(SKIP_1) | instid1(VALU_DEP_2)
	v_cndmask_b32_e64 v4, 0, v5, s9
	v_bfe_i32 v5, v136, 4, 1
	v_add_nc_u32_e32 v2, v2, v4
	ds_swizzle_b32 v4, v2 offset:swizzle(BROADCAST,32,15)
	s_waitcnt lgkmcnt(0)
	v_and_b32_e32 v4, v5, v4
	s_delay_alu instid0(VALU_DEP_1)
	v_add_nc_u32_e32 v4, v2, v4
	s_and_saveexec_b32 s11, s3
	s_cbranch_execz .LBB1126_682
; %bb.681:                              ;   in Loop: Header=BB1126_12 Depth=1
	ds_store_b32 v97, v4
.LBB1126_682:                           ;   in Loop: Header=BB1126_12 Depth=1
	s_or_b32 exec_lo, exec_lo, s11
	v_and_b32_e32 v2, 7, v136
	s_waitcnt lgkmcnt(0)
	s_barrier
	buffer_gl0_inv
	s_and_saveexec_b32 s11, s4
	s_cbranch_execz .LBB1126_684
; %bb.683:                              ;   in Loop: Header=BB1126_12 Depth=1
	ds_load_b32 v5, v98
	v_cmp_ne_u32_e32 vcc_lo, 0, v2
	s_waitcnt lgkmcnt(0)
	v_mov_b32_dpp v6, v5 row_shr:1 row_mask:0xf bank_mask:0xf
	s_delay_alu instid0(VALU_DEP_1) | instskip(SKIP_1) | instid1(VALU_DEP_2)
	v_cndmask_b32_e32 v6, 0, v6, vcc_lo
	v_cmp_lt_u32_e32 vcc_lo, 1, v2
	v_add_nc_u32_e32 v5, v6, v5
	s_delay_alu instid0(VALU_DEP_1) | instskip(NEXT) | instid1(VALU_DEP_1)
	v_mov_b32_dpp v6, v5 row_shr:2 row_mask:0xf bank_mask:0xf
	v_cndmask_b32_e32 v6, 0, v6, vcc_lo
	v_cmp_lt_u32_e32 vcc_lo, 3, v2
	s_delay_alu instid0(VALU_DEP_2) | instskip(NEXT) | instid1(VALU_DEP_1)
	v_add_nc_u32_e32 v5, v5, v6
	v_mov_b32_dpp v6, v5 row_shr:4 row_mask:0xf bank_mask:0xf
	s_delay_alu instid0(VALU_DEP_1) | instskip(NEXT) | instid1(VALU_DEP_1)
	v_cndmask_b32_e32 v6, 0, v6, vcc_lo
	v_add_nc_u32_e32 v5, v5, v6
	ds_store_b32 v98, v5
.LBB1126_684:                           ;   in Loop: Header=BB1126_12 Depth=1
	s_or_b32 exec_lo, exec_lo, s11
	v_mov_b32_e32 v5, 0
	s_waitcnt lgkmcnt(0)
	s_barrier
	buffer_gl0_inv
	s_and_saveexec_b32 s11, s5
	s_cbranch_execz .LBB1126_686
; %bb.685:                              ;   in Loop: Header=BB1126_12 Depth=1
	ds_load_b32 v5, v99
.LBB1126_686:                           ;   in Loop: Header=BB1126_12 Depth=1
	s_or_b32 exec_lo, exec_lo, s11
	v_add_nc_u32_e32 v6, -1, v136
	s_waitcnt lgkmcnt(0)
	v_add_nc_u32_e32 v4, v5, v4
	v_cmp_eq_u32_e64 s11, 0, v136
	s_barrier
	v_cmp_gt_i32_e32 vcc_lo, 0, v6
	buffer_gl0_inv
	v_cndmask_b32_e32 v6, v6, v136, vcc_lo
	s_delay_alu instid0(VALU_DEP_1)
	v_lshlrev_b32_e32 v137, 2, v6
	ds_bpermute_b32 v4, v137, v4
	s_and_saveexec_b32 s12, s2
	s_cbranch_execz .LBB1126_688
; %bb.687:                              ;   in Loop: Header=BB1126_12 Depth=1
	s_waitcnt lgkmcnt(0)
	v_cndmask_b32_e64 v4, v4, v5, s11
	s_delay_alu instid0(VALU_DEP_1)
	v_add_nc_u32_e32 v4, s33, v4
	ds_store_b32 v76, v4
.LBB1126_688:                           ;   in Loop: Header=BB1126_12 Depth=1
	s_or_b32 exec_lo, exec_lo, s12
	s_load_b64 s[12:13], s[38:39], 0x0
	v_lshlrev_b32_e32 v7, 3, v136
	v_cmp_lt_u32_e64 s14, 3, v2
	v_or_b32_e32 v138, v136, v100
	s_mov_b32 s51, s62
	s_mov_b32 s40, s33
	v_add_co_u32 v139, vcc_lo, v119, v7
	v_add_co_ci_u32_e32 v140, vcc_lo, 0, v120, vcc_lo
	v_add_co_u32 v156, vcc_lo, v121, v7
	v_add_co_ci_u32_e32 v157, vcc_lo, 0, v122, vcc_lo
	v_or_b32_e32 v141, 32, v138
	s_delay_alu instid0(VALU_DEP_3)
	v_add_co_u32 v159, vcc_lo, 0xf00, v156
	v_or_b32_e32 v142, 64, v138
	v_or_b32_e32 v143, 0x60, v138
	;; [unrolled: 1-line block ×3, first 2 shown]
	s_waitcnt lgkmcnt(0)
	s_cmp_lt_u32 s15, s13
	v_or_b32_e32 v145, 0xa0, v138
	s_cselect_b32 s13, 14, 20
	v_or_b32_e32 v146, 0xc0, v138
	s_add_u32 s16, s38, s13
	s_addc_u32 s17, s39, 0
	s_cmp_lt_u32 s34, s12
	global_load_u16 v4, v3, s[16:17]
	s_cselect_b32 s12, 12, 18
	v_or_b32_e32 v147, 0xe0, v138
	s_add_u32 s12, s38, s12
	s_addc_u32 s13, s39, 0
	v_or_b32_e32 v148, 0x100, v138
	global_load_u16 v6, v3, s[12:13]
	v_cmp_eq_u32_e64 s12, 0, v2
	v_cmp_lt_u32_e64 s13, 1, v2
	v_or_b32_e32 v149, 0x120, v138
	v_or_b32_e32 v150, 0x140, v138
	;; [unrolled: 1-line block ×7, first 2 shown]
	v_add_co_ci_u32_e32 v160, vcc_lo, 0, v157, vcc_lo
                                        ; implicit-def: $vgpr8_vgpr9
                                        ; implicit-def: $vgpr10_vgpr11
                                        ; implicit-def: $vgpr12_vgpr13
                                        ; implicit-def: $vgpr14_vgpr15
                                        ; implicit-def: $vgpr16_vgpr17
                                        ; implicit-def: $vgpr18_vgpr19
                                        ; implicit-def: $vgpr20_vgpr21
                                        ; implicit-def: $vgpr22_vgpr23
                                        ; implicit-def: $vgpr24_vgpr25
                                        ; implicit-def: $vgpr26_vgpr27
                                        ; implicit-def: $vgpr28_vgpr29
                                        ; implicit-def: $vgpr30_vgpr31
                                        ; implicit-def: $vgpr32_vgpr33
                                        ; implicit-def: $vgpr34_vgpr35
                                        ; implicit-def: $vgpr161
                                        ; implicit-def: $vgpr162
                                        ; implicit-def: $vgpr163
                                        ; implicit-def: $vgpr164
                                        ; implicit-def: $vgpr165
                                        ; implicit-def: $vgpr166
                                        ; implicit-def: $vgpr167
                                        ; implicit-def: $vgpr168
                                        ; implicit-def: $vgpr169
                                        ; implicit-def: $vgpr170
                                        ; implicit-def: $vgpr171
                                        ; implicit-def: $vgpr172
                                        ; implicit-def: $vgpr173
                                        ; implicit-def: $vgpr174
                                        ; implicit-def: $vgpr175
                                        ; implicit-def: $vgpr176
	s_waitcnt vmcnt(1)
	v_mad_u32_u24 v2, v101, v4, v0
	s_waitcnt vmcnt(0)
	s_delay_alu instid0(VALU_DEP_1) | instskip(NEXT) | instid1(VALU_DEP_1)
	v_mad_u64_u32 v[4:5], null, v2, v6, v[1:2]
                                        ; implicit-def: $vgpr6_vgpr7
	v_lshrrev_b32_e32 v158, 5, v4
                                        ; implicit-def: $vgpr4_vgpr5
	s_branch .LBB1126_690
.LBB1126_689:                           ;   in Loop: Header=BB1126_690 Depth=2
	s_or_b32 exec_lo, exec_lo, s16
	s_addk_i32 s51, 0xf000
	s_cmp_lt_u32 s56, s35
	s_mov_b32 s40, s56
	s_cbranch_scc0 .LBB1126_899
.LBB1126_690:                           ;   Parent Loop BB1126_12 Depth=1
                                        ; =>  This Inner Loop Header: Depth=2
	s_add_i32 s56, s40, 0x1000
	s_delay_alu instid0(SALU_CYCLE_1)
	s_cmp_gt_u32 s56, s35
	s_cbranch_scc1 .LBB1126_693
; %bb.691:                              ;   in Loop: Header=BB1126_690 Depth=2
	s_mov_b32 s41, 0
	s_mov_b32 s19, -1
	s_lshl_b64 s[16:17], s[40:41], 3
	s_movk_i32 s18, 0x1000
	v_add_co_u32 v40, vcc_lo, v156, s16
	v_add_co_ci_u32_e32 v41, vcc_lo, s17, v157, vcc_lo
	s_clause 0xe
	global_load_b64 v[36:37], v[40:41], off
	global_load_b64 v[38:39], v[40:41], off offset:256
	global_load_b64 v[44:45], v[40:41], off offset:512
	;; [unrolled: 1-line block ×14, first 2 shown]
	s_cbranch_execz .LBB1126_694
; %bb.692:                              ;   in Loop: Header=BB1126_690 Depth=2
                                        ; implicit-def: $sgpr16_sgpr17
	s_branch .LBB1126_725
.LBB1126_693:                           ;   in Loop: Header=BB1126_690 Depth=2
	s_mov_b32 s41, -1
	s_mov_b32 s19, 0
                                        ; implicit-def: $sgpr18
                                        ; implicit-def: $vgpr36_vgpr37
                                        ; implicit-def: $vgpr38_vgpr39
                                        ; implicit-def: $vgpr44_vgpr45
                                        ; implicit-def: $vgpr48_vgpr49
                                        ; implicit-def: $vgpr54_vgpr55
                                        ; implicit-def: $vgpr58_vgpr59
                                        ; implicit-def: $vgpr62_vgpr63
                                        ; implicit-def: $vgpr66_vgpr67
                                        ; implicit-def: $vgpr64_vgpr65
                                        ; implicit-def: $vgpr60_vgpr61
                                        ; implicit-def: $vgpr56_vgpr57
                                        ; implicit-def: $vgpr52_vgpr53
                                        ; implicit-def: $vgpr50_vgpr51
                                        ; implicit-def: $vgpr46_vgpr47
                                        ; implicit-def: $vgpr40_vgpr41
.LBB1126_694:                           ;   in Loop: Header=BB1126_690 Depth=2
	s_mov_b32 s41, s36
	s_waitcnt vmcnt(13)
	v_mov_b32_e32 v38, -1
	v_mov_b32_e32 v39, -1
	s_lshl_b64 s[16:17], s[40:41], 3
	s_delay_alu instid0(VALU_DEP_2) | instskip(SKIP_1) | instid1(VALU_DEP_3)
	v_mov_b32_e32 v36, v38
	v_add_co_u32 v42, vcc_lo, v156, s16
	v_mov_b32_e32 v37, v39
	v_add_co_ci_u32_e32 v43, vcc_lo, s17, v157, vcc_lo
	s_mov_b32 s16, exec_lo
	v_cmpx_gt_u32_e64 s51, v138
	s_cbranch_execz .LBB1126_696
; %bb.695:                              ;   in Loop: Header=BB1126_690 Depth=2
	global_load_b64 v[36:37], v[42:43], off
.LBB1126_696:                           ;   in Loop: Header=BB1126_690 Depth=2
	s_or_b32 exec_lo, exec_lo, s16
	s_delay_alu instid0(SALU_CYCLE_1)
	s_mov_b32 s16, exec_lo
	v_cmpx_gt_u32_e64 s51, v141
	s_cbranch_execz .LBB1126_698
; %bb.697:                              ;   in Loop: Header=BB1126_690 Depth=2
	global_load_b64 v[38:39], v[42:43], off offset:256
.LBB1126_698:                           ;   in Loop: Header=BB1126_690 Depth=2
	s_or_b32 exec_lo, exec_lo, s16
	s_waitcnt vmcnt(11)
	v_mov_b32_e32 v48, -1
	v_mov_b32_e32 v49, -1
	s_delay_alu instid0(VALU_DEP_2) | instskip(SKIP_1) | instid1(VALU_DEP_2)
	v_mov_b32_e32 v44, v48
	s_mov_b32 s16, exec_lo
	v_mov_b32_e32 v45, v49
	v_cmpx_gt_u32_e64 s51, v142
	s_cbranch_execz .LBB1126_700
; %bb.699:                              ;   in Loop: Header=BB1126_690 Depth=2
	global_load_b64 v[44:45], v[42:43], off offset:512
.LBB1126_700:                           ;   in Loop: Header=BB1126_690 Depth=2
	s_or_b32 exec_lo, exec_lo, s16
	s_delay_alu instid0(SALU_CYCLE_1)
	s_mov_b32 s16, exec_lo
	v_cmpx_gt_u32_e64 s51, v143
	s_cbranch_execz .LBB1126_702
; %bb.701:                              ;   in Loop: Header=BB1126_690 Depth=2
	global_load_b64 v[48:49], v[42:43], off offset:768
.LBB1126_702:                           ;   in Loop: Header=BB1126_690 Depth=2
	s_or_b32 exec_lo, exec_lo, s16
	s_waitcnt vmcnt(9)
	v_mov_b32_e32 v58, -1
	v_mov_b32_e32 v59, -1
	s_delay_alu instid0(VALU_DEP_2) | instskip(SKIP_1) | instid1(VALU_DEP_2)
	v_mov_b32_e32 v54, v58
	s_mov_b32 s16, exec_lo
	v_mov_b32_e32 v55, v59
	v_cmpx_gt_u32_e64 s51, v144
	s_cbranch_execz .LBB1126_704
; %bb.703:                              ;   in Loop: Header=BB1126_690 Depth=2
	global_load_b64 v[54:55], v[42:43], off offset:1024
.LBB1126_704:                           ;   in Loop: Header=BB1126_690 Depth=2
	;; [unrolled: 21-line block ×3, first 2 shown]
	s_or_b32 exec_lo, exec_lo, s16
	s_delay_alu instid0(SALU_CYCLE_1)
	s_mov_b32 s16, exec_lo
	v_cmpx_gt_u32_e64 s51, v147
	s_cbranch_execz .LBB1126_710
; %bb.709:                              ;   in Loop: Header=BB1126_690 Depth=2
	global_load_b64 v[66:67], v[42:43], off offset:1792
.LBB1126_710:                           ;   in Loop: Header=BB1126_690 Depth=2
	s_or_b32 exec_lo, exec_lo, s16
	s_waitcnt vmcnt(5)
	v_mov_b32_e32 v60, -1
	v_mov_b32_e32 v61, -1
	s_mov_b32 s16, exec_lo
	s_delay_alu instid0(VALU_DEP_1)
	v_dual_mov_b32 v65, v61 :: v_dual_mov_b32 v64, v60
	v_cmpx_gt_u32_e64 s51, v148
	s_cbranch_execz .LBB1126_712
; %bb.711:                              ;   in Loop: Header=BB1126_690 Depth=2
	global_load_b64 v[64:65], v[42:43], off offset:2048
.LBB1126_712:                           ;   in Loop: Header=BB1126_690 Depth=2
	s_or_b32 exec_lo, exec_lo, s16
	s_delay_alu instid0(SALU_CYCLE_1)
	s_mov_b32 s16, exec_lo
	v_cmpx_gt_u32_e64 s51, v149
	s_cbranch_execz .LBB1126_714
; %bb.713:                              ;   in Loop: Header=BB1126_690 Depth=2
	global_load_b64 v[60:61], v[42:43], off offset:2304
.LBB1126_714:                           ;   in Loop: Header=BB1126_690 Depth=2
	s_or_b32 exec_lo, exec_lo, s16
	s_waitcnt vmcnt(3)
	v_mov_b32_e32 v52, -1
	v_mov_b32_e32 v53, -1
	s_mov_b32 s16, exec_lo
	s_delay_alu instid0(VALU_DEP_1)
	v_dual_mov_b32 v57, v53 :: v_dual_mov_b32 v56, v52
	v_cmpx_gt_u32_e64 s51, v150
	s_cbranch_execz .LBB1126_716
; %bb.715:                              ;   in Loop: Header=BB1126_690 Depth=2
	global_load_b64 v[56:57], v[42:43], off offset:2560
.LBB1126_716:                           ;   in Loop: Header=BB1126_690 Depth=2
	;; [unrolled: 20-line block ×3, first 2 shown]
	s_or_b32 exec_lo, exec_lo, s16
	s_delay_alu instid0(SALU_CYCLE_1)
	s_mov_b32 s16, exec_lo
	v_cmpx_gt_u32_e64 s51, v153
	s_cbranch_execz .LBB1126_722
; %bb.721:                              ;   in Loop: Header=BB1126_690 Depth=2
	global_load_b64 v[46:47], v[42:43], off offset:3328
.LBB1126_722:                           ;   in Loop: Header=BB1126_690 Depth=2
	s_or_b32 exec_lo, exec_lo, s16
	s_waitcnt vmcnt(0)
	v_mov_b32_e32 v40, -1
	v_mov_b32_e32 v41, -1
	s_mov_b32 s16, exec_lo
	v_cmpx_gt_u32_e64 s51, v154
	s_cbranch_execz .LBB1126_724
; %bb.723:                              ;   in Loop: Header=BB1126_690 Depth=2
	global_load_b64 v[40:41], v[42:43], off offset:3584
.LBB1126_724:                           ;   in Loop: Header=BB1126_690 Depth=2
	s_or_b32 exec_lo, exec_lo, s16
	v_cmp_gt_u32_e64 s19, s51, v155
	s_sub_i32 s18, s35, s40
	s_mov_b64 s[16:17], -1
.LBB1126_725:                           ;   in Loop: Header=BB1126_690 Depth=2
	s_delay_alu instid0(SALU_CYCLE_1)
	v_dual_mov_b32 v43, s17 :: v_dual_mov_b32 v42, s16
	v_mov_b32_e32 v177, s51
	s_and_saveexec_b32 s16, s19
	s_cbranch_execz .LBB1126_727
; %bb.726:                              ;   in Loop: Header=BB1126_690 Depth=2
	s_lshl_b64 s[20:21], s[40:41], 3
	v_mov_b32_e32 v177, s18
	v_add_co_u32 v42, vcc_lo, v159, s20
	v_add_co_ci_u32_e32 v43, vcc_lo, s21, v160, vcc_lo
	global_load_b64 v[42:43], v[42:43], off
.LBB1126_727:                           ;   in Loop: Header=BB1126_690 Depth=2
	s_or_b32 exec_lo, exec_lo, s16
	s_waitcnt vmcnt(14)
	v_cmp_gt_i64_e32 vcc_lo, 0, v[36:37]
	v_ashrrev_i32_e32 v2, 31, v37
	ds_store_b32 v102, v3 offset:1056
	ds_store_2addr_b32 v103, v3, v3 offset0:1 offset1:2
	ds_store_2addr_b32 v103, v3, v3 offset0:3 offset1:4
	;; [unrolled: 1-line block ×4, first 2 shown]
	s_waitcnt vmcnt(0) lgkmcnt(0)
	s_barrier
	v_cndmask_b32_e64 v68, 0x7fffffff, 0, vcc_lo
	v_not_b32_e32 v2, v2
	buffer_gl0_inv
	; wave barrier
	v_xor_b32_e32 v37, v68, v37
	v_xor_b32_e32 v36, v2, v36
	s_delay_alu instid0(VALU_DEP_1) | instskip(SKIP_2) | instid1(VALU_DEP_1)
	v_cmp_ne_u64_e32 vcc_lo, s[36:37], v[36:37]
	v_cndmask_b32_e32 v69, 0x7fffffff, v37, vcc_lo
	v_cndmask_b32_e32 v68, -1, v36, vcc_lo
	v_lshrrev_b64 v[68:69], s42, v[68:69]
	s_delay_alu instid0(VALU_DEP_1) | instskip(NEXT) | instid1(VALU_DEP_1)
	v_and_b32_e32 v69, s50, v68
	v_lshlrev_b32_e32 v71, 28, v69
	v_and_b32_e32 v2, 1, v69
	v_lshlrev_b32_e32 v68, 30, v69
	v_lshlrev_b32_e32 v70, 29, v69
	;; [unrolled: 1-line block ×4, first 2 shown]
	v_add_co_u32 v2, s16, v2, -1
	s_delay_alu instid0(VALU_DEP_1)
	v_cndmask_b32_e64 v72, 0, 1, s16
	v_not_b32_e32 v178, v68
	v_cmp_gt_i32_e64 s16, 0, v68
	v_not_b32_e32 v68, v70
	v_lshlrev_b32_e32 v75, 25, v69
	v_cmp_ne_u32_e32 vcc_lo, 0, v72
	v_ashrrev_i32_e32 v178, 31, v178
	v_lshlrev_b32_e32 v72, 24, v69
	v_ashrrev_i32_e32 v68, 31, v68
	v_mad_u32_u24 v69, v69, 9, v158
	v_xor_b32_e32 v2, vcc_lo, v2
	v_cmp_gt_i32_e32 vcc_lo, 0, v70
	v_not_b32_e32 v70, v71
	v_xor_b32_e32 v178, s16, v178
	v_cmp_gt_i32_e64 s16, 0, v71
	v_and_b32_e32 v2, exec_lo, v2
	v_not_b32_e32 v71, v73
	v_ashrrev_i32_e32 v70, 31, v70
	v_xor_b32_e32 v68, vcc_lo, v68
	v_cmp_gt_i32_e32 vcc_lo, 0, v73
	v_and_b32_e32 v2, v2, v178
	v_not_b32_e32 v73, v74
	v_ashrrev_i32_e32 v71, 31, v71
	v_xor_b32_e32 v70, s16, v70
	v_cmp_gt_i32_e64 s16, 0, v74
	v_and_b32_e32 v2, v2, v68
	v_not_b32_e32 v68, v75
	v_ashrrev_i32_e32 v73, 31, v73
	v_xor_b32_e32 v71, vcc_lo, v71
	v_cmp_gt_i32_e32 vcc_lo, 0, v75
	v_and_b32_e32 v2, v2, v70
	v_not_b32_e32 v70, v72
	v_ashrrev_i32_e32 v68, 31, v68
	v_xor_b32_e32 v73, s16, v73
	v_cmp_gt_i32_e64 s16, 0, v72
	v_and_b32_e32 v2, v2, v71
	v_ashrrev_i32_e32 v70, 31, v70
	v_xor_b32_e32 v68, vcc_lo, v68
	v_lshl_add_u32 v178, v69, 2, 0x420
	s_delay_alu instid0(VALU_DEP_4) | instskip(NEXT) | instid1(VALU_DEP_4)
	v_and_b32_e32 v2, v2, v73
	v_xor_b32_e32 v70, s16, v70
	s_delay_alu instid0(VALU_DEP_2) | instskip(NEXT) | instid1(VALU_DEP_1)
	v_and_b32_e32 v2, v2, v68
	v_and_b32_e32 v68, v2, v70
	s_delay_alu instid0(VALU_DEP_1) | instskip(SKIP_1) | instid1(VALU_DEP_2)
	v_mbcnt_lo_u32_b32 v2, v68, 0
	v_cmp_ne_u32_e64 s16, 0, v68
	v_cmp_eq_u32_e32 vcc_lo, 0, v2
	s_delay_alu instid0(VALU_DEP_2) | instskip(NEXT) | instid1(SALU_CYCLE_1)
	s_and_b32 s17, s16, vcc_lo
	s_and_saveexec_b32 s16, s17
	s_cbranch_execz .LBB1126_729
; %bb.728:                              ;   in Loop: Header=BB1126_690 Depth=2
	v_bcnt_u32_b32 v68, v68, 0
	ds_store_b32 v178, v68
.LBB1126_729:                           ;   in Loop: Header=BB1126_690 Depth=2
	s_or_b32 exec_lo, exec_lo, s16
	v_cmp_gt_i64_e32 vcc_lo, 0, v[38:39]
	v_ashrrev_i32_e32 v68, 31, v39
	; wave barrier
	s_delay_alu instid0(VALU_DEP_1) | instskip(SKIP_1) | instid1(VALU_DEP_2)
	v_not_b32_e32 v68, v68
	v_cndmask_b32_e64 v69, 0x7fffffff, 0, vcc_lo
	v_xor_b32_e32 v38, v68, v38
	s_delay_alu instid0(VALU_DEP_2) | instskip(NEXT) | instid1(VALU_DEP_1)
	v_xor_b32_e32 v39, v69, v39
	v_cmp_ne_u64_e32 vcc_lo, s[36:37], v[38:39]
	v_cndmask_b32_e32 v69, 0x7fffffff, v39, vcc_lo
	v_cndmask_b32_e32 v68, -1, v38, vcc_lo
	s_delay_alu instid0(VALU_DEP_1) | instskip(NEXT) | instid1(VALU_DEP_1)
	v_lshrrev_b64 v[68:69], s42, v[68:69]
	v_and_b32_e32 v68, s50, v68
	s_delay_alu instid0(VALU_DEP_1)
	v_and_b32_e32 v69, 1, v68
	v_lshlrev_b32_e32 v70, 30, v68
	v_lshlrev_b32_e32 v71, 29, v68
	;; [unrolled: 1-line block ×4, first 2 shown]
	v_add_co_u32 v69, s16, v69, -1
	s_delay_alu instid0(VALU_DEP_1)
	v_cndmask_b32_e64 v73, 0, 1, s16
	v_not_b32_e32 v180, v70
	v_cmp_gt_i32_e64 s16, 0, v70
	v_not_b32_e32 v70, v71
	v_lshlrev_b32_e32 v75, 26, v68
	v_cmp_ne_u32_e32 vcc_lo, 0, v73
	v_ashrrev_i32_e32 v180, 31, v180
	v_lshlrev_b32_e32 v179, 25, v68
	v_ashrrev_i32_e32 v70, 31, v70
	v_lshlrev_b32_e32 v73, 24, v68
	v_xor_b32_e32 v69, vcc_lo, v69
	v_cmp_gt_i32_e32 vcc_lo, 0, v71
	v_not_b32_e32 v71, v72
	v_xor_b32_e32 v180, s16, v180
	v_cmp_gt_i32_e64 s16, 0, v72
	v_and_b32_e32 v69, exec_lo, v69
	v_not_b32_e32 v72, v74
	v_ashrrev_i32_e32 v71, 31, v71
	v_xor_b32_e32 v70, vcc_lo, v70
	v_cmp_gt_i32_e32 vcc_lo, 0, v74
	v_and_b32_e32 v69, v69, v180
	v_not_b32_e32 v74, v75
	v_ashrrev_i32_e32 v72, 31, v72
	v_xor_b32_e32 v71, s16, v71
	v_cmp_gt_i32_e64 s16, 0, v75
	v_and_b32_e32 v69, v69, v70
	v_not_b32_e32 v70, v179
	v_ashrrev_i32_e32 v74, 31, v74
	v_xor_b32_e32 v72, vcc_lo, v72
	v_cmp_gt_i32_e32 vcc_lo, 0, v179
	v_and_b32_e32 v69, v69, v71
	v_not_b32_e32 v71, v73
	v_ashrrev_i32_e32 v70, 31, v70
	v_xor_b32_e32 v74, s16, v74
	v_mul_u32_u24_e32 v68, 9, v68
	v_and_b32_e32 v69, v69, v72
	v_cmp_gt_i32_e64 s16, 0, v73
	v_ashrrev_i32_e32 v71, 31, v71
	v_xor_b32_e32 v70, vcc_lo, v70
	v_add_lshl_u32 v72, v68, v158, 2
	v_and_b32_e32 v69, v69, v74
	s_delay_alu instid0(VALU_DEP_4) | instskip(SKIP_3) | instid1(VALU_DEP_2)
	v_xor_b32_e32 v68, s16, v71
	ds_load_b32 v179, v72 offset:1056
	v_and_b32_e32 v69, v69, v70
	v_add_nc_u32_e32 v181, 0x420, v72
	; wave barrier
	v_and_b32_e32 v68, v69, v68
	s_delay_alu instid0(VALU_DEP_1) | instskip(SKIP_1) | instid1(VALU_DEP_2)
	v_mbcnt_lo_u32_b32 v180, v68, 0
	v_cmp_ne_u32_e64 s16, 0, v68
	v_cmp_eq_u32_e32 vcc_lo, 0, v180
	s_delay_alu instid0(VALU_DEP_2) | instskip(NEXT) | instid1(SALU_CYCLE_1)
	s_and_b32 s17, s16, vcc_lo
	s_and_saveexec_b32 s16, s17
	s_cbranch_execz .LBB1126_731
; %bb.730:                              ;   in Loop: Header=BB1126_690 Depth=2
	s_waitcnt lgkmcnt(0)
	v_bcnt_u32_b32 v68, v68, v179
	ds_store_b32 v181, v68
.LBB1126_731:                           ;   in Loop: Header=BB1126_690 Depth=2
	s_or_b32 exec_lo, exec_lo, s16
	v_cmp_gt_i64_e32 vcc_lo, 0, v[44:45]
	v_ashrrev_i32_e32 v68, 31, v45
	; wave barrier
	s_delay_alu instid0(VALU_DEP_1) | instskip(SKIP_1) | instid1(VALU_DEP_2)
	v_not_b32_e32 v68, v68
	v_cndmask_b32_e64 v69, 0x7fffffff, 0, vcc_lo
	v_xor_b32_e32 v44, v68, v44
	s_delay_alu instid0(VALU_DEP_2) | instskip(NEXT) | instid1(VALU_DEP_1)
	v_xor_b32_e32 v45, v69, v45
	v_cmp_ne_u64_e32 vcc_lo, s[36:37], v[44:45]
	v_cndmask_b32_e32 v69, 0x7fffffff, v45, vcc_lo
	v_cndmask_b32_e32 v68, -1, v44, vcc_lo
	s_delay_alu instid0(VALU_DEP_1) | instskip(NEXT) | instid1(VALU_DEP_1)
	v_lshrrev_b64 v[68:69], s42, v[68:69]
	v_and_b32_e32 v68, s50, v68
	s_delay_alu instid0(VALU_DEP_1)
	v_and_b32_e32 v69, 1, v68
	v_lshlrev_b32_e32 v70, 30, v68
	v_lshlrev_b32_e32 v71, 29, v68
	;; [unrolled: 1-line block ×4, first 2 shown]
	v_add_co_u32 v69, s16, v69, -1
	s_delay_alu instid0(VALU_DEP_1)
	v_cndmask_b32_e64 v73, 0, 1, s16
	v_not_b32_e32 v183, v70
	v_cmp_gt_i32_e64 s16, 0, v70
	v_not_b32_e32 v70, v71
	v_lshlrev_b32_e32 v75, 26, v68
	v_cmp_ne_u32_e32 vcc_lo, 0, v73
	v_ashrrev_i32_e32 v183, 31, v183
	v_lshlrev_b32_e32 v182, 25, v68
	v_ashrrev_i32_e32 v70, 31, v70
	v_lshlrev_b32_e32 v73, 24, v68
	v_xor_b32_e32 v69, vcc_lo, v69
	v_cmp_gt_i32_e32 vcc_lo, 0, v71
	v_not_b32_e32 v71, v72
	v_xor_b32_e32 v183, s16, v183
	v_cmp_gt_i32_e64 s16, 0, v72
	v_and_b32_e32 v69, exec_lo, v69
	v_not_b32_e32 v72, v74
	v_ashrrev_i32_e32 v71, 31, v71
	v_xor_b32_e32 v70, vcc_lo, v70
	v_cmp_gt_i32_e32 vcc_lo, 0, v74
	v_and_b32_e32 v69, v69, v183
	v_not_b32_e32 v74, v75
	v_ashrrev_i32_e32 v72, 31, v72
	v_xor_b32_e32 v71, s16, v71
	v_cmp_gt_i32_e64 s16, 0, v75
	v_and_b32_e32 v69, v69, v70
	v_not_b32_e32 v70, v182
	v_ashrrev_i32_e32 v74, 31, v74
	v_xor_b32_e32 v72, vcc_lo, v72
	v_cmp_gt_i32_e32 vcc_lo, 0, v182
	v_and_b32_e32 v69, v69, v71
	v_not_b32_e32 v71, v73
	v_ashrrev_i32_e32 v70, 31, v70
	v_xor_b32_e32 v74, s16, v74
	v_mul_u32_u24_e32 v68, 9, v68
	v_and_b32_e32 v69, v69, v72
	v_cmp_gt_i32_e64 s16, 0, v73
	v_ashrrev_i32_e32 v71, 31, v71
	v_xor_b32_e32 v70, vcc_lo, v70
	v_add_lshl_u32 v72, v68, v158, 2
	v_and_b32_e32 v69, v69, v74
	s_delay_alu instid0(VALU_DEP_4) | instskip(SKIP_3) | instid1(VALU_DEP_2)
	v_xor_b32_e32 v68, s16, v71
	ds_load_b32 v182, v72 offset:1056
	v_and_b32_e32 v69, v69, v70
	v_add_nc_u32_e32 v184, 0x420, v72
	; wave barrier
	v_and_b32_e32 v68, v69, v68
	s_delay_alu instid0(VALU_DEP_1) | instskip(SKIP_1) | instid1(VALU_DEP_2)
	v_mbcnt_lo_u32_b32 v183, v68, 0
	v_cmp_ne_u32_e64 s16, 0, v68
	v_cmp_eq_u32_e32 vcc_lo, 0, v183
	s_delay_alu instid0(VALU_DEP_2) | instskip(NEXT) | instid1(SALU_CYCLE_1)
	s_and_b32 s17, s16, vcc_lo
	s_and_saveexec_b32 s16, s17
	s_cbranch_execz .LBB1126_733
; %bb.732:                              ;   in Loop: Header=BB1126_690 Depth=2
	s_waitcnt lgkmcnt(0)
	v_bcnt_u32_b32 v68, v68, v182
	ds_store_b32 v184, v68
.LBB1126_733:                           ;   in Loop: Header=BB1126_690 Depth=2
	s_or_b32 exec_lo, exec_lo, s16
	v_cmp_gt_i64_e32 vcc_lo, 0, v[48:49]
	v_ashrrev_i32_e32 v68, 31, v49
	; wave barrier
	s_delay_alu instid0(VALU_DEP_1) | instskip(SKIP_1) | instid1(VALU_DEP_2)
	v_not_b32_e32 v68, v68
	v_cndmask_b32_e64 v69, 0x7fffffff, 0, vcc_lo
	v_xor_b32_e32 v48, v68, v48
	s_delay_alu instid0(VALU_DEP_2) | instskip(NEXT) | instid1(VALU_DEP_1)
	v_xor_b32_e32 v49, v69, v49
	v_cmp_ne_u64_e32 vcc_lo, s[36:37], v[48:49]
	v_cndmask_b32_e32 v69, 0x7fffffff, v49, vcc_lo
	v_cndmask_b32_e32 v68, -1, v48, vcc_lo
	s_delay_alu instid0(VALU_DEP_1) | instskip(NEXT) | instid1(VALU_DEP_1)
	v_lshrrev_b64 v[68:69], s42, v[68:69]
	v_and_b32_e32 v68, s50, v68
	s_delay_alu instid0(VALU_DEP_1)
	v_and_b32_e32 v69, 1, v68
	v_lshlrev_b32_e32 v70, 30, v68
	v_lshlrev_b32_e32 v71, 29, v68
	;; [unrolled: 1-line block ×4, first 2 shown]
	v_add_co_u32 v69, s16, v69, -1
	s_delay_alu instid0(VALU_DEP_1)
	v_cndmask_b32_e64 v73, 0, 1, s16
	v_not_b32_e32 v186, v70
	v_cmp_gt_i32_e64 s16, 0, v70
	v_not_b32_e32 v70, v71
	v_lshlrev_b32_e32 v75, 26, v68
	v_cmp_ne_u32_e32 vcc_lo, 0, v73
	v_ashrrev_i32_e32 v186, 31, v186
	v_lshlrev_b32_e32 v185, 25, v68
	v_ashrrev_i32_e32 v70, 31, v70
	v_lshlrev_b32_e32 v73, 24, v68
	v_xor_b32_e32 v69, vcc_lo, v69
	v_cmp_gt_i32_e32 vcc_lo, 0, v71
	v_not_b32_e32 v71, v72
	v_xor_b32_e32 v186, s16, v186
	v_cmp_gt_i32_e64 s16, 0, v72
	v_and_b32_e32 v69, exec_lo, v69
	v_not_b32_e32 v72, v74
	v_ashrrev_i32_e32 v71, 31, v71
	v_xor_b32_e32 v70, vcc_lo, v70
	v_cmp_gt_i32_e32 vcc_lo, 0, v74
	v_and_b32_e32 v69, v69, v186
	v_not_b32_e32 v74, v75
	v_ashrrev_i32_e32 v72, 31, v72
	v_xor_b32_e32 v71, s16, v71
	v_cmp_gt_i32_e64 s16, 0, v75
	v_and_b32_e32 v69, v69, v70
	v_not_b32_e32 v70, v185
	v_ashrrev_i32_e32 v74, 31, v74
	v_xor_b32_e32 v72, vcc_lo, v72
	v_cmp_gt_i32_e32 vcc_lo, 0, v185
	v_and_b32_e32 v69, v69, v71
	v_not_b32_e32 v71, v73
	v_ashrrev_i32_e32 v70, 31, v70
	v_xor_b32_e32 v74, s16, v74
	v_mul_u32_u24_e32 v68, 9, v68
	v_and_b32_e32 v69, v69, v72
	v_cmp_gt_i32_e64 s16, 0, v73
	v_ashrrev_i32_e32 v71, 31, v71
	v_xor_b32_e32 v70, vcc_lo, v70
	v_add_lshl_u32 v72, v68, v158, 2
	v_and_b32_e32 v69, v69, v74
	s_delay_alu instid0(VALU_DEP_4) | instskip(SKIP_3) | instid1(VALU_DEP_2)
	v_xor_b32_e32 v68, s16, v71
	ds_load_b32 v185, v72 offset:1056
	v_and_b32_e32 v69, v69, v70
	v_add_nc_u32_e32 v187, 0x420, v72
	; wave barrier
	v_and_b32_e32 v68, v69, v68
	s_delay_alu instid0(VALU_DEP_1) | instskip(SKIP_1) | instid1(VALU_DEP_2)
	v_mbcnt_lo_u32_b32 v186, v68, 0
	v_cmp_ne_u32_e64 s16, 0, v68
	v_cmp_eq_u32_e32 vcc_lo, 0, v186
	s_delay_alu instid0(VALU_DEP_2) | instskip(NEXT) | instid1(SALU_CYCLE_1)
	s_and_b32 s17, s16, vcc_lo
	s_and_saveexec_b32 s16, s17
	s_cbranch_execz .LBB1126_735
; %bb.734:                              ;   in Loop: Header=BB1126_690 Depth=2
	s_waitcnt lgkmcnt(0)
	v_bcnt_u32_b32 v68, v68, v185
	ds_store_b32 v187, v68
.LBB1126_735:                           ;   in Loop: Header=BB1126_690 Depth=2
	s_or_b32 exec_lo, exec_lo, s16
	v_cmp_gt_i64_e32 vcc_lo, 0, v[54:55]
	v_ashrrev_i32_e32 v68, 31, v55
	; wave barrier
	s_delay_alu instid0(VALU_DEP_1) | instskip(SKIP_1) | instid1(VALU_DEP_2)
	v_not_b32_e32 v68, v68
	v_cndmask_b32_e64 v69, 0x7fffffff, 0, vcc_lo
	v_xor_b32_e32 v54, v68, v54
	s_delay_alu instid0(VALU_DEP_2) | instskip(NEXT) | instid1(VALU_DEP_1)
	v_xor_b32_e32 v55, v69, v55
	v_cmp_ne_u64_e32 vcc_lo, s[36:37], v[54:55]
	v_cndmask_b32_e32 v69, 0x7fffffff, v55, vcc_lo
	v_cndmask_b32_e32 v68, -1, v54, vcc_lo
	s_delay_alu instid0(VALU_DEP_1) | instskip(NEXT) | instid1(VALU_DEP_1)
	v_lshrrev_b64 v[68:69], s42, v[68:69]
	v_and_b32_e32 v68, s50, v68
	s_delay_alu instid0(VALU_DEP_1)
	v_and_b32_e32 v69, 1, v68
	v_lshlrev_b32_e32 v70, 30, v68
	v_lshlrev_b32_e32 v71, 29, v68
	;; [unrolled: 1-line block ×4, first 2 shown]
	v_add_co_u32 v69, s16, v69, -1
	s_delay_alu instid0(VALU_DEP_1)
	v_cndmask_b32_e64 v73, 0, 1, s16
	v_not_b32_e32 v189, v70
	v_cmp_gt_i32_e64 s16, 0, v70
	v_not_b32_e32 v70, v71
	v_lshlrev_b32_e32 v75, 26, v68
	v_cmp_ne_u32_e32 vcc_lo, 0, v73
	v_ashrrev_i32_e32 v189, 31, v189
	v_lshlrev_b32_e32 v188, 25, v68
	v_ashrrev_i32_e32 v70, 31, v70
	v_lshlrev_b32_e32 v73, 24, v68
	v_xor_b32_e32 v69, vcc_lo, v69
	v_cmp_gt_i32_e32 vcc_lo, 0, v71
	v_not_b32_e32 v71, v72
	v_xor_b32_e32 v189, s16, v189
	v_cmp_gt_i32_e64 s16, 0, v72
	v_and_b32_e32 v69, exec_lo, v69
	v_not_b32_e32 v72, v74
	v_ashrrev_i32_e32 v71, 31, v71
	v_xor_b32_e32 v70, vcc_lo, v70
	v_cmp_gt_i32_e32 vcc_lo, 0, v74
	v_and_b32_e32 v69, v69, v189
	v_not_b32_e32 v74, v75
	v_ashrrev_i32_e32 v72, 31, v72
	v_xor_b32_e32 v71, s16, v71
	v_cmp_gt_i32_e64 s16, 0, v75
	v_and_b32_e32 v69, v69, v70
	v_not_b32_e32 v70, v188
	v_ashrrev_i32_e32 v74, 31, v74
	v_xor_b32_e32 v72, vcc_lo, v72
	v_cmp_gt_i32_e32 vcc_lo, 0, v188
	v_and_b32_e32 v69, v69, v71
	v_not_b32_e32 v71, v73
	v_ashrrev_i32_e32 v70, 31, v70
	v_xor_b32_e32 v74, s16, v74
	v_mul_u32_u24_e32 v68, 9, v68
	v_and_b32_e32 v69, v69, v72
	v_cmp_gt_i32_e64 s16, 0, v73
	v_ashrrev_i32_e32 v71, 31, v71
	v_xor_b32_e32 v70, vcc_lo, v70
	v_add_lshl_u32 v72, v68, v158, 2
	v_and_b32_e32 v69, v69, v74
	s_delay_alu instid0(VALU_DEP_4) | instskip(SKIP_3) | instid1(VALU_DEP_2)
	v_xor_b32_e32 v68, s16, v71
	ds_load_b32 v188, v72 offset:1056
	v_and_b32_e32 v69, v69, v70
	v_add_nc_u32_e32 v190, 0x420, v72
	; wave barrier
	v_and_b32_e32 v68, v69, v68
	s_delay_alu instid0(VALU_DEP_1) | instskip(SKIP_1) | instid1(VALU_DEP_2)
	v_mbcnt_lo_u32_b32 v189, v68, 0
	v_cmp_ne_u32_e64 s16, 0, v68
	v_cmp_eq_u32_e32 vcc_lo, 0, v189
	s_delay_alu instid0(VALU_DEP_2) | instskip(NEXT) | instid1(SALU_CYCLE_1)
	s_and_b32 s17, s16, vcc_lo
	s_and_saveexec_b32 s16, s17
	s_cbranch_execz .LBB1126_737
; %bb.736:                              ;   in Loop: Header=BB1126_690 Depth=2
	s_waitcnt lgkmcnt(0)
	v_bcnt_u32_b32 v68, v68, v188
	ds_store_b32 v190, v68
.LBB1126_737:                           ;   in Loop: Header=BB1126_690 Depth=2
	s_or_b32 exec_lo, exec_lo, s16
	v_cmp_gt_i64_e32 vcc_lo, 0, v[58:59]
	v_ashrrev_i32_e32 v68, 31, v59
	; wave barrier
	s_delay_alu instid0(VALU_DEP_1) | instskip(SKIP_1) | instid1(VALU_DEP_2)
	v_not_b32_e32 v68, v68
	v_cndmask_b32_e64 v69, 0x7fffffff, 0, vcc_lo
	v_xor_b32_e32 v58, v68, v58
	s_delay_alu instid0(VALU_DEP_2) | instskip(NEXT) | instid1(VALU_DEP_1)
	v_xor_b32_e32 v59, v69, v59
	v_cmp_ne_u64_e32 vcc_lo, s[36:37], v[58:59]
	v_cndmask_b32_e32 v69, 0x7fffffff, v59, vcc_lo
	v_cndmask_b32_e32 v68, -1, v58, vcc_lo
	s_delay_alu instid0(VALU_DEP_1) | instskip(NEXT) | instid1(VALU_DEP_1)
	v_lshrrev_b64 v[68:69], s42, v[68:69]
	v_and_b32_e32 v68, s50, v68
	s_delay_alu instid0(VALU_DEP_1)
	v_and_b32_e32 v69, 1, v68
	v_lshlrev_b32_e32 v70, 30, v68
	v_lshlrev_b32_e32 v71, 29, v68
	;; [unrolled: 1-line block ×4, first 2 shown]
	v_add_co_u32 v69, s16, v69, -1
	s_delay_alu instid0(VALU_DEP_1)
	v_cndmask_b32_e64 v73, 0, 1, s16
	v_not_b32_e32 v192, v70
	v_cmp_gt_i32_e64 s16, 0, v70
	v_not_b32_e32 v70, v71
	v_lshlrev_b32_e32 v75, 26, v68
	v_cmp_ne_u32_e32 vcc_lo, 0, v73
	v_ashrrev_i32_e32 v192, 31, v192
	v_lshlrev_b32_e32 v191, 25, v68
	v_ashrrev_i32_e32 v70, 31, v70
	v_lshlrev_b32_e32 v73, 24, v68
	v_xor_b32_e32 v69, vcc_lo, v69
	v_cmp_gt_i32_e32 vcc_lo, 0, v71
	v_not_b32_e32 v71, v72
	v_xor_b32_e32 v192, s16, v192
	v_cmp_gt_i32_e64 s16, 0, v72
	v_and_b32_e32 v69, exec_lo, v69
	v_not_b32_e32 v72, v74
	v_ashrrev_i32_e32 v71, 31, v71
	v_xor_b32_e32 v70, vcc_lo, v70
	v_cmp_gt_i32_e32 vcc_lo, 0, v74
	v_and_b32_e32 v69, v69, v192
	v_not_b32_e32 v74, v75
	v_ashrrev_i32_e32 v72, 31, v72
	v_xor_b32_e32 v71, s16, v71
	v_cmp_gt_i32_e64 s16, 0, v75
	v_and_b32_e32 v69, v69, v70
	v_not_b32_e32 v70, v191
	v_ashrrev_i32_e32 v74, 31, v74
	v_xor_b32_e32 v72, vcc_lo, v72
	v_cmp_gt_i32_e32 vcc_lo, 0, v191
	v_and_b32_e32 v69, v69, v71
	v_not_b32_e32 v71, v73
	v_ashrrev_i32_e32 v70, 31, v70
	v_xor_b32_e32 v74, s16, v74
	v_mul_u32_u24_e32 v68, 9, v68
	v_and_b32_e32 v69, v69, v72
	v_cmp_gt_i32_e64 s16, 0, v73
	v_ashrrev_i32_e32 v71, 31, v71
	v_xor_b32_e32 v70, vcc_lo, v70
	v_add_lshl_u32 v72, v68, v158, 2
	v_and_b32_e32 v69, v69, v74
	s_delay_alu instid0(VALU_DEP_4) | instskip(SKIP_3) | instid1(VALU_DEP_2)
	v_xor_b32_e32 v68, s16, v71
	ds_load_b32 v191, v72 offset:1056
	v_and_b32_e32 v69, v69, v70
	v_add_nc_u32_e32 v193, 0x420, v72
	; wave barrier
	v_and_b32_e32 v68, v69, v68
	s_delay_alu instid0(VALU_DEP_1) | instskip(SKIP_1) | instid1(VALU_DEP_2)
	v_mbcnt_lo_u32_b32 v192, v68, 0
	v_cmp_ne_u32_e64 s16, 0, v68
	v_cmp_eq_u32_e32 vcc_lo, 0, v192
	s_delay_alu instid0(VALU_DEP_2) | instskip(NEXT) | instid1(SALU_CYCLE_1)
	s_and_b32 s17, s16, vcc_lo
	s_and_saveexec_b32 s16, s17
	s_cbranch_execz .LBB1126_739
; %bb.738:                              ;   in Loop: Header=BB1126_690 Depth=2
	s_waitcnt lgkmcnt(0)
	v_bcnt_u32_b32 v68, v68, v191
	ds_store_b32 v193, v68
.LBB1126_739:                           ;   in Loop: Header=BB1126_690 Depth=2
	s_or_b32 exec_lo, exec_lo, s16
	v_cmp_gt_i64_e32 vcc_lo, 0, v[62:63]
	v_ashrrev_i32_e32 v68, 31, v63
	; wave barrier
	s_delay_alu instid0(VALU_DEP_1) | instskip(SKIP_1) | instid1(VALU_DEP_2)
	v_not_b32_e32 v68, v68
	v_cndmask_b32_e64 v69, 0x7fffffff, 0, vcc_lo
	v_xor_b32_e32 v62, v68, v62
	s_delay_alu instid0(VALU_DEP_2) | instskip(NEXT) | instid1(VALU_DEP_1)
	v_xor_b32_e32 v63, v69, v63
	v_cmp_ne_u64_e32 vcc_lo, s[36:37], v[62:63]
	v_cndmask_b32_e32 v69, 0x7fffffff, v63, vcc_lo
	v_cndmask_b32_e32 v68, -1, v62, vcc_lo
	s_delay_alu instid0(VALU_DEP_1) | instskip(NEXT) | instid1(VALU_DEP_1)
	v_lshrrev_b64 v[68:69], s42, v[68:69]
	v_and_b32_e32 v68, s50, v68
	s_delay_alu instid0(VALU_DEP_1)
	v_and_b32_e32 v69, 1, v68
	v_lshlrev_b32_e32 v70, 30, v68
	v_lshlrev_b32_e32 v71, 29, v68
	;; [unrolled: 1-line block ×4, first 2 shown]
	v_add_co_u32 v69, s16, v69, -1
	s_delay_alu instid0(VALU_DEP_1)
	v_cndmask_b32_e64 v73, 0, 1, s16
	v_not_b32_e32 v195, v70
	v_cmp_gt_i32_e64 s16, 0, v70
	v_not_b32_e32 v70, v71
	v_lshlrev_b32_e32 v75, 26, v68
	v_cmp_ne_u32_e32 vcc_lo, 0, v73
	v_ashrrev_i32_e32 v195, 31, v195
	v_lshlrev_b32_e32 v194, 25, v68
	v_ashrrev_i32_e32 v70, 31, v70
	v_lshlrev_b32_e32 v73, 24, v68
	v_xor_b32_e32 v69, vcc_lo, v69
	v_cmp_gt_i32_e32 vcc_lo, 0, v71
	v_not_b32_e32 v71, v72
	v_xor_b32_e32 v195, s16, v195
	v_cmp_gt_i32_e64 s16, 0, v72
	v_and_b32_e32 v69, exec_lo, v69
	v_not_b32_e32 v72, v74
	v_ashrrev_i32_e32 v71, 31, v71
	v_xor_b32_e32 v70, vcc_lo, v70
	v_cmp_gt_i32_e32 vcc_lo, 0, v74
	v_and_b32_e32 v69, v69, v195
	v_not_b32_e32 v74, v75
	v_ashrrev_i32_e32 v72, 31, v72
	v_xor_b32_e32 v71, s16, v71
	v_cmp_gt_i32_e64 s16, 0, v75
	v_and_b32_e32 v69, v69, v70
	v_not_b32_e32 v70, v194
	v_ashrrev_i32_e32 v74, 31, v74
	v_xor_b32_e32 v72, vcc_lo, v72
	v_cmp_gt_i32_e32 vcc_lo, 0, v194
	v_and_b32_e32 v69, v69, v71
	v_not_b32_e32 v71, v73
	v_ashrrev_i32_e32 v70, 31, v70
	v_xor_b32_e32 v74, s16, v74
	v_mul_u32_u24_e32 v68, 9, v68
	v_and_b32_e32 v69, v69, v72
	v_cmp_gt_i32_e64 s16, 0, v73
	v_ashrrev_i32_e32 v71, 31, v71
	v_xor_b32_e32 v70, vcc_lo, v70
	v_add_lshl_u32 v72, v68, v158, 2
	v_and_b32_e32 v69, v69, v74
	s_delay_alu instid0(VALU_DEP_4) | instskip(SKIP_3) | instid1(VALU_DEP_2)
	v_xor_b32_e32 v68, s16, v71
	ds_load_b32 v194, v72 offset:1056
	v_and_b32_e32 v69, v69, v70
	v_add_nc_u32_e32 v196, 0x420, v72
	; wave barrier
	v_and_b32_e32 v68, v69, v68
	s_delay_alu instid0(VALU_DEP_1) | instskip(SKIP_1) | instid1(VALU_DEP_2)
	v_mbcnt_lo_u32_b32 v195, v68, 0
	v_cmp_ne_u32_e64 s16, 0, v68
	v_cmp_eq_u32_e32 vcc_lo, 0, v195
	s_delay_alu instid0(VALU_DEP_2) | instskip(NEXT) | instid1(SALU_CYCLE_1)
	s_and_b32 s17, s16, vcc_lo
	s_and_saveexec_b32 s16, s17
	s_cbranch_execz .LBB1126_741
; %bb.740:                              ;   in Loop: Header=BB1126_690 Depth=2
	s_waitcnt lgkmcnt(0)
	v_bcnt_u32_b32 v68, v68, v194
	ds_store_b32 v196, v68
.LBB1126_741:                           ;   in Loop: Header=BB1126_690 Depth=2
	s_or_b32 exec_lo, exec_lo, s16
	v_cmp_gt_i64_e32 vcc_lo, 0, v[66:67]
	v_ashrrev_i32_e32 v68, 31, v67
	; wave barrier
	s_delay_alu instid0(VALU_DEP_1) | instskip(SKIP_1) | instid1(VALU_DEP_2)
	v_not_b32_e32 v68, v68
	v_cndmask_b32_e64 v69, 0x7fffffff, 0, vcc_lo
	v_xor_b32_e32 v66, v68, v66
	s_delay_alu instid0(VALU_DEP_2) | instskip(NEXT) | instid1(VALU_DEP_1)
	v_xor_b32_e32 v67, v69, v67
	v_cmp_ne_u64_e32 vcc_lo, s[36:37], v[66:67]
	v_cndmask_b32_e32 v69, 0x7fffffff, v67, vcc_lo
	v_cndmask_b32_e32 v68, -1, v66, vcc_lo
	s_delay_alu instid0(VALU_DEP_1) | instskip(NEXT) | instid1(VALU_DEP_1)
	v_lshrrev_b64 v[68:69], s42, v[68:69]
	v_and_b32_e32 v68, s50, v68
	s_delay_alu instid0(VALU_DEP_1)
	v_and_b32_e32 v69, 1, v68
	v_lshlrev_b32_e32 v70, 30, v68
	v_lshlrev_b32_e32 v71, 29, v68
	;; [unrolled: 1-line block ×4, first 2 shown]
	v_add_co_u32 v69, s16, v69, -1
	s_delay_alu instid0(VALU_DEP_1)
	v_cndmask_b32_e64 v73, 0, 1, s16
	v_not_b32_e32 v198, v70
	v_cmp_gt_i32_e64 s16, 0, v70
	v_not_b32_e32 v70, v71
	v_lshlrev_b32_e32 v75, 26, v68
	v_cmp_ne_u32_e32 vcc_lo, 0, v73
	v_ashrrev_i32_e32 v198, 31, v198
	v_lshlrev_b32_e32 v197, 25, v68
	v_ashrrev_i32_e32 v70, 31, v70
	v_lshlrev_b32_e32 v73, 24, v68
	v_xor_b32_e32 v69, vcc_lo, v69
	v_cmp_gt_i32_e32 vcc_lo, 0, v71
	v_not_b32_e32 v71, v72
	v_xor_b32_e32 v198, s16, v198
	v_cmp_gt_i32_e64 s16, 0, v72
	v_and_b32_e32 v69, exec_lo, v69
	v_not_b32_e32 v72, v74
	v_ashrrev_i32_e32 v71, 31, v71
	v_xor_b32_e32 v70, vcc_lo, v70
	v_cmp_gt_i32_e32 vcc_lo, 0, v74
	v_and_b32_e32 v69, v69, v198
	v_not_b32_e32 v74, v75
	v_ashrrev_i32_e32 v72, 31, v72
	v_xor_b32_e32 v71, s16, v71
	v_cmp_gt_i32_e64 s16, 0, v75
	v_and_b32_e32 v69, v69, v70
	v_not_b32_e32 v70, v197
	v_ashrrev_i32_e32 v74, 31, v74
	v_xor_b32_e32 v72, vcc_lo, v72
	v_cmp_gt_i32_e32 vcc_lo, 0, v197
	v_and_b32_e32 v69, v69, v71
	v_not_b32_e32 v71, v73
	v_ashrrev_i32_e32 v70, 31, v70
	v_xor_b32_e32 v74, s16, v74
	v_mul_u32_u24_e32 v68, 9, v68
	v_and_b32_e32 v69, v69, v72
	v_cmp_gt_i32_e64 s16, 0, v73
	v_ashrrev_i32_e32 v71, 31, v71
	v_xor_b32_e32 v70, vcc_lo, v70
	v_add_lshl_u32 v72, v68, v158, 2
	v_and_b32_e32 v69, v69, v74
	s_delay_alu instid0(VALU_DEP_4) | instskip(SKIP_3) | instid1(VALU_DEP_2)
	v_xor_b32_e32 v68, s16, v71
	ds_load_b32 v197, v72 offset:1056
	v_and_b32_e32 v69, v69, v70
	v_add_nc_u32_e32 v199, 0x420, v72
	; wave barrier
	v_and_b32_e32 v68, v69, v68
	s_delay_alu instid0(VALU_DEP_1) | instskip(SKIP_1) | instid1(VALU_DEP_2)
	v_mbcnt_lo_u32_b32 v198, v68, 0
	v_cmp_ne_u32_e64 s16, 0, v68
	v_cmp_eq_u32_e32 vcc_lo, 0, v198
	s_delay_alu instid0(VALU_DEP_2) | instskip(NEXT) | instid1(SALU_CYCLE_1)
	s_and_b32 s17, s16, vcc_lo
	s_and_saveexec_b32 s16, s17
	s_cbranch_execz .LBB1126_743
; %bb.742:                              ;   in Loop: Header=BB1126_690 Depth=2
	s_waitcnt lgkmcnt(0)
	v_bcnt_u32_b32 v68, v68, v197
	ds_store_b32 v199, v68
.LBB1126_743:                           ;   in Loop: Header=BB1126_690 Depth=2
	s_or_b32 exec_lo, exec_lo, s16
	v_cmp_gt_i64_e32 vcc_lo, 0, v[64:65]
	v_ashrrev_i32_e32 v68, 31, v65
	; wave barrier
	s_delay_alu instid0(VALU_DEP_1) | instskip(SKIP_1) | instid1(VALU_DEP_2)
	v_not_b32_e32 v68, v68
	v_cndmask_b32_e64 v69, 0x7fffffff, 0, vcc_lo
	v_xor_b32_e32 v64, v68, v64
	s_delay_alu instid0(VALU_DEP_2) | instskip(NEXT) | instid1(VALU_DEP_1)
	v_xor_b32_e32 v65, v69, v65
	v_cmp_ne_u64_e32 vcc_lo, s[36:37], v[64:65]
	v_cndmask_b32_e32 v69, 0x7fffffff, v65, vcc_lo
	v_cndmask_b32_e32 v68, -1, v64, vcc_lo
	s_delay_alu instid0(VALU_DEP_1) | instskip(NEXT) | instid1(VALU_DEP_1)
	v_lshrrev_b64 v[68:69], s42, v[68:69]
	v_and_b32_e32 v68, s50, v68
	s_delay_alu instid0(VALU_DEP_1)
	v_and_b32_e32 v69, 1, v68
	v_lshlrev_b32_e32 v70, 30, v68
	v_lshlrev_b32_e32 v71, 29, v68
	;; [unrolled: 1-line block ×4, first 2 shown]
	v_add_co_u32 v69, s16, v69, -1
	s_delay_alu instid0(VALU_DEP_1)
	v_cndmask_b32_e64 v73, 0, 1, s16
	v_not_b32_e32 v201, v70
	v_cmp_gt_i32_e64 s16, 0, v70
	v_not_b32_e32 v70, v71
	v_lshlrev_b32_e32 v75, 26, v68
	v_cmp_ne_u32_e32 vcc_lo, 0, v73
	v_ashrrev_i32_e32 v201, 31, v201
	v_lshlrev_b32_e32 v200, 25, v68
	v_ashrrev_i32_e32 v70, 31, v70
	v_lshlrev_b32_e32 v73, 24, v68
	v_xor_b32_e32 v69, vcc_lo, v69
	v_cmp_gt_i32_e32 vcc_lo, 0, v71
	v_not_b32_e32 v71, v72
	v_xor_b32_e32 v201, s16, v201
	v_cmp_gt_i32_e64 s16, 0, v72
	v_and_b32_e32 v69, exec_lo, v69
	v_not_b32_e32 v72, v74
	v_ashrrev_i32_e32 v71, 31, v71
	v_xor_b32_e32 v70, vcc_lo, v70
	v_cmp_gt_i32_e32 vcc_lo, 0, v74
	v_and_b32_e32 v69, v69, v201
	v_not_b32_e32 v74, v75
	v_ashrrev_i32_e32 v72, 31, v72
	v_xor_b32_e32 v71, s16, v71
	v_cmp_gt_i32_e64 s16, 0, v75
	v_and_b32_e32 v69, v69, v70
	v_not_b32_e32 v70, v200
	v_ashrrev_i32_e32 v74, 31, v74
	v_xor_b32_e32 v72, vcc_lo, v72
	v_cmp_gt_i32_e32 vcc_lo, 0, v200
	v_and_b32_e32 v69, v69, v71
	v_not_b32_e32 v71, v73
	v_ashrrev_i32_e32 v70, 31, v70
	v_xor_b32_e32 v74, s16, v74
	v_mul_u32_u24_e32 v68, 9, v68
	v_and_b32_e32 v69, v69, v72
	v_cmp_gt_i32_e64 s16, 0, v73
	v_ashrrev_i32_e32 v71, 31, v71
	v_xor_b32_e32 v70, vcc_lo, v70
	v_add_lshl_u32 v72, v68, v158, 2
	v_and_b32_e32 v69, v69, v74
	s_delay_alu instid0(VALU_DEP_4) | instskip(SKIP_3) | instid1(VALU_DEP_2)
	v_xor_b32_e32 v68, s16, v71
	ds_load_b32 v200, v72 offset:1056
	v_and_b32_e32 v69, v69, v70
	v_add_nc_u32_e32 v202, 0x420, v72
	; wave barrier
	v_and_b32_e32 v68, v69, v68
	s_delay_alu instid0(VALU_DEP_1) | instskip(SKIP_1) | instid1(VALU_DEP_2)
	v_mbcnt_lo_u32_b32 v201, v68, 0
	v_cmp_ne_u32_e64 s16, 0, v68
	v_cmp_eq_u32_e32 vcc_lo, 0, v201
	s_delay_alu instid0(VALU_DEP_2) | instskip(NEXT) | instid1(SALU_CYCLE_1)
	s_and_b32 s17, s16, vcc_lo
	s_and_saveexec_b32 s16, s17
	s_cbranch_execz .LBB1126_745
; %bb.744:                              ;   in Loop: Header=BB1126_690 Depth=2
	s_waitcnt lgkmcnt(0)
	v_bcnt_u32_b32 v68, v68, v200
	ds_store_b32 v202, v68
.LBB1126_745:                           ;   in Loop: Header=BB1126_690 Depth=2
	s_or_b32 exec_lo, exec_lo, s16
	v_cmp_gt_i64_e32 vcc_lo, 0, v[60:61]
	v_ashrrev_i32_e32 v68, 31, v61
	; wave barrier
	s_delay_alu instid0(VALU_DEP_1) | instskip(SKIP_1) | instid1(VALU_DEP_2)
	v_not_b32_e32 v68, v68
	v_cndmask_b32_e64 v69, 0x7fffffff, 0, vcc_lo
	v_xor_b32_e32 v60, v68, v60
	s_delay_alu instid0(VALU_DEP_2) | instskip(NEXT) | instid1(VALU_DEP_1)
	v_xor_b32_e32 v61, v69, v61
	v_cmp_ne_u64_e32 vcc_lo, s[36:37], v[60:61]
	v_cndmask_b32_e32 v69, 0x7fffffff, v61, vcc_lo
	v_cndmask_b32_e32 v68, -1, v60, vcc_lo
	s_delay_alu instid0(VALU_DEP_1) | instskip(NEXT) | instid1(VALU_DEP_1)
	v_lshrrev_b64 v[68:69], s42, v[68:69]
	v_and_b32_e32 v68, s50, v68
	s_delay_alu instid0(VALU_DEP_1)
	v_and_b32_e32 v69, 1, v68
	v_lshlrev_b32_e32 v70, 30, v68
	v_lshlrev_b32_e32 v71, 29, v68
	;; [unrolled: 1-line block ×4, first 2 shown]
	v_add_co_u32 v69, s16, v69, -1
	s_delay_alu instid0(VALU_DEP_1)
	v_cndmask_b32_e64 v73, 0, 1, s16
	v_not_b32_e32 v204, v70
	v_cmp_gt_i32_e64 s16, 0, v70
	v_not_b32_e32 v70, v71
	v_lshlrev_b32_e32 v75, 26, v68
	v_cmp_ne_u32_e32 vcc_lo, 0, v73
	v_ashrrev_i32_e32 v204, 31, v204
	v_lshlrev_b32_e32 v203, 25, v68
	v_ashrrev_i32_e32 v70, 31, v70
	v_lshlrev_b32_e32 v73, 24, v68
	v_xor_b32_e32 v69, vcc_lo, v69
	v_cmp_gt_i32_e32 vcc_lo, 0, v71
	v_not_b32_e32 v71, v72
	v_xor_b32_e32 v204, s16, v204
	v_cmp_gt_i32_e64 s16, 0, v72
	v_and_b32_e32 v69, exec_lo, v69
	v_not_b32_e32 v72, v74
	v_ashrrev_i32_e32 v71, 31, v71
	v_xor_b32_e32 v70, vcc_lo, v70
	v_cmp_gt_i32_e32 vcc_lo, 0, v74
	v_and_b32_e32 v69, v69, v204
	v_not_b32_e32 v74, v75
	v_ashrrev_i32_e32 v72, 31, v72
	v_xor_b32_e32 v71, s16, v71
	v_cmp_gt_i32_e64 s16, 0, v75
	v_and_b32_e32 v69, v69, v70
	v_not_b32_e32 v70, v203
	v_ashrrev_i32_e32 v74, 31, v74
	v_xor_b32_e32 v72, vcc_lo, v72
	v_cmp_gt_i32_e32 vcc_lo, 0, v203
	v_and_b32_e32 v69, v69, v71
	v_not_b32_e32 v71, v73
	v_ashrrev_i32_e32 v70, 31, v70
	v_xor_b32_e32 v74, s16, v74
	v_mul_u32_u24_e32 v68, 9, v68
	v_and_b32_e32 v69, v69, v72
	v_cmp_gt_i32_e64 s16, 0, v73
	v_ashrrev_i32_e32 v71, 31, v71
	v_xor_b32_e32 v70, vcc_lo, v70
	v_add_lshl_u32 v72, v68, v158, 2
	v_and_b32_e32 v69, v69, v74
	s_delay_alu instid0(VALU_DEP_4) | instskip(SKIP_3) | instid1(VALU_DEP_2)
	v_xor_b32_e32 v68, s16, v71
	ds_load_b32 v203, v72 offset:1056
	v_and_b32_e32 v69, v69, v70
	v_add_nc_u32_e32 v205, 0x420, v72
	; wave barrier
	v_and_b32_e32 v68, v69, v68
	s_delay_alu instid0(VALU_DEP_1) | instskip(SKIP_1) | instid1(VALU_DEP_2)
	v_mbcnt_lo_u32_b32 v204, v68, 0
	v_cmp_ne_u32_e64 s16, 0, v68
	v_cmp_eq_u32_e32 vcc_lo, 0, v204
	s_delay_alu instid0(VALU_DEP_2) | instskip(NEXT) | instid1(SALU_CYCLE_1)
	s_and_b32 s17, s16, vcc_lo
	s_and_saveexec_b32 s16, s17
	s_cbranch_execz .LBB1126_747
; %bb.746:                              ;   in Loop: Header=BB1126_690 Depth=2
	s_waitcnt lgkmcnt(0)
	v_bcnt_u32_b32 v68, v68, v203
	ds_store_b32 v205, v68
.LBB1126_747:                           ;   in Loop: Header=BB1126_690 Depth=2
	s_or_b32 exec_lo, exec_lo, s16
	v_cmp_gt_i64_e32 vcc_lo, 0, v[56:57]
	v_ashrrev_i32_e32 v68, 31, v57
	; wave barrier
	s_delay_alu instid0(VALU_DEP_1) | instskip(SKIP_1) | instid1(VALU_DEP_2)
	v_not_b32_e32 v68, v68
	v_cndmask_b32_e64 v69, 0x7fffffff, 0, vcc_lo
	v_xor_b32_e32 v56, v68, v56
	s_delay_alu instid0(VALU_DEP_2) | instskip(NEXT) | instid1(VALU_DEP_1)
	v_xor_b32_e32 v57, v69, v57
	v_cmp_ne_u64_e32 vcc_lo, s[36:37], v[56:57]
	v_cndmask_b32_e32 v69, 0x7fffffff, v57, vcc_lo
	v_cndmask_b32_e32 v68, -1, v56, vcc_lo
	s_delay_alu instid0(VALU_DEP_1) | instskip(NEXT) | instid1(VALU_DEP_1)
	v_lshrrev_b64 v[68:69], s42, v[68:69]
	v_and_b32_e32 v68, s50, v68
	s_delay_alu instid0(VALU_DEP_1)
	v_and_b32_e32 v69, 1, v68
	v_lshlrev_b32_e32 v70, 30, v68
	v_lshlrev_b32_e32 v71, 29, v68
	;; [unrolled: 1-line block ×4, first 2 shown]
	v_add_co_u32 v69, s16, v69, -1
	s_delay_alu instid0(VALU_DEP_1)
	v_cndmask_b32_e64 v73, 0, 1, s16
	v_not_b32_e32 v207, v70
	v_cmp_gt_i32_e64 s16, 0, v70
	v_not_b32_e32 v70, v71
	v_lshlrev_b32_e32 v75, 26, v68
	v_cmp_ne_u32_e32 vcc_lo, 0, v73
	v_ashrrev_i32_e32 v207, 31, v207
	v_lshlrev_b32_e32 v206, 25, v68
	v_ashrrev_i32_e32 v70, 31, v70
	v_lshlrev_b32_e32 v73, 24, v68
	v_xor_b32_e32 v69, vcc_lo, v69
	v_cmp_gt_i32_e32 vcc_lo, 0, v71
	v_not_b32_e32 v71, v72
	v_xor_b32_e32 v207, s16, v207
	v_cmp_gt_i32_e64 s16, 0, v72
	v_and_b32_e32 v69, exec_lo, v69
	v_not_b32_e32 v72, v74
	v_ashrrev_i32_e32 v71, 31, v71
	v_xor_b32_e32 v70, vcc_lo, v70
	v_cmp_gt_i32_e32 vcc_lo, 0, v74
	v_and_b32_e32 v69, v69, v207
	v_not_b32_e32 v74, v75
	v_ashrrev_i32_e32 v72, 31, v72
	v_xor_b32_e32 v71, s16, v71
	v_cmp_gt_i32_e64 s16, 0, v75
	v_and_b32_e32 v69, v69, v70
	v_not_b32_e32 v70, v206
	v_ashrrev_i32_e32 v74, 31, v74
	v_xor_b32_e32 v72, vcc_lo, v72
	v_cmp_gt_i32_e32 vcc_lo, 0, v206
	v_and_b32_e32 v69, v69, v71
	v_not_b32_e32 v71, v73
	v_ashrrev_i32_e32 v70, 31, v70
	v_xor_b32_e32 v74, s16, v74
	v_mul_u32_u24_e32 v68, 9, v68
	v_and_b32_e32 v69, v69, v72
	v_cmp_gt_i32_e64 s16, 0, v73
	v_ashrrev_i32_e32 v71, 31, v71
	v_xor_b32_e32 v70, vcc_lo, v70
	v_add_lshl_u32 v72, v68, v158, 2
	v_and_b32_e32 v69, v69, v74
	s_delay_alu instid0(VALU_DEP_4) | instskip(SKIP_3) | instid1(VALU_DEP_2)
	v_xor_b32_e32 v68, s16, v71
	ds_load_b32 v206, v72 offset:1056
	v_and_b32_e32 v69, v69, v70
	v_add_nc_u32_e32 v208, 0x420, v72
	; wave barrier
	v_and_b32_e32 v68, v69, v68
	s_delay_alu instid0(VALU_DEP_1) | instskip(SKIP_1) | instid1(VALU_DEP_2)
	v_mbcnt_lo_u32_b32 v207, v68, 0
	v_cmp_ne_u32_e64 s16, 0, v68
	v_cmp_eq_u32_e32 vcc_lo, 0, v207
	s_delay_alu instid0(VALU_DEP_2) | instskip(NEXT) | instid1(SALU_CYCLE_1)
	s_and_b32 s17, s16, vcc_lo
	s_and_saveexec_b32 s16, s17
	s_cbranch_execz .LBB1126_749
; %bb.748:                              ;   in Loop: Header=BB1126_690 Depth=2
	s_waitcnt lgkmcnt(0)
	v_bcnt_u32_b32 v68, v68, v206
	ds_store_b32 v208, v68
.LBB1126_749:                           ;   in Loop: Header=BB1126_690 Depth=2
	s_or_b32 exec_lo, exec_lo, s16
	v_cmp_gt_i64_e32 vcc_lo, 0, v[52:53]
	v_ashrrev_i32_e32 v68, 31, v53
	; wave barrier
	s_delay_alu instid0(VALU_DEP_1) | instskip(SKIP_1) | instid1(VALU_DEP_2)
	v_not_b32_e32 v68, v68
	v_cndmask_b32_e64 v69, 0x7fffffff, 0, vcc_lo
	v_xor_b32_e32 v52, v68, v52
	s_delay_alu instid0(VALU_DEP_2) | instskip(NEXT) | instid1(VALU_DEP_1)
	v_xor_b32_e32 v53, v69, v53
	v_cmp_ne_u64_e32 vcc_lo, s[36:37], v[52:53]
	v_cndmask_b32_e32 v69, 0x7fffffff, v53, vcc_lo
	v_cndmask_b32_e32 v68, -1, v52, vcc_lo
	s_delay_alu instid0(VALU_DEP_1) | instskip(NEXT) | instid1(VALU_DEP_1)
	v_lshrrev_b64 v[68:69], s42, v[68:69]
	v_and_b32_e32 v68, s50, v68
	s_delay_alu instid0(VALU_DEP_1)
	v_and_b32_e32 v69, 1, v68
	v_lshlrev_b32_e32 v70, 30, v68
	v_lshlrev_b32_e32 v71, 29, v68
	;; [unrolled: 1-line block ×4, first 2 shown]
	v_add_co_u32 v69, s16, v69, -1
	s_delay_alu instid0(VALU_DEP_1)
	v_cndmask_b32_e64 v73, 0, 1, s16
	v_not_b32_e32 v210, v70
	v_cmp_gt_i32_e64 s16, 0, v70
	v_not_b32_e32 v70, v71
	v_lshlrev_b32_e32 v75, 26, v68
	v_cmp_ne_u32_e32 vcc_lo, 0, v73
	v_ashrrev_i32_e32 v210, 31, v210
	v_lshlrev_b32_e32 v209, 25, v68
	v_ashrrev_i32_e32 v70, 31, v70
	v_lshlrev_b32_e32 v73, 24, v68
	v_xor_b32_e32 v69, vcc_lo, v69
	v_cmp_gt_i32_e32 vcc_lo, 0, v71
	v_not_b32_e32 v71, v72
	v_xor_b32_e32 v210, s16, v210
	v_cmp_gt_i32_e64 s16, 0, v72
	v_and_b32_e32 v69, exec_lo, v69
	v_not_b32_e32 v72, v74
	v_ashrrev_i32_e32 v71, 31, v71
	v_xor_b32_e32 v70, vcc_lo, v70
	v_cmp_gt_i32_e32 vcc_lo, 0, v74
	v_and_b32_e32 v69, v69, v210
	v_not_b32_e32 v74, v75
	v_ashrrev_i32_e32 v72, 31, v72
	v_xor_b32_e32 v71, s16, v71
	v_cmp_gt_i32_e64 s16, 0, v75
	v_and_b32_e32 v69, v69, v70
	v_not_b32_e32 v70, v209
	v_ashrrev_i32_e32 v74, 31, v74
	v_xor_b32_e32 v72, vcc_lo, v72
	v_cmp_gt_i32_e32 vcc_lo, 0, v209
	v_and_b32_e32 v69, v69, v71
	v_not_b32_e32 v71, v73
	v_ashrrev_i32_e32 v70, 31, v70
	v_xor_b32_e32 v74, s16, v74
	v_mul_u32_u24_e32 v68, 9, v68
	v_and_b32_e32 v69, v69, v72
	v_cmp_gt_i32_e64 s16, 0, v73
	v_ashrrev_i32_e32 v71, 31, v71
	v_xor_b32_e32 v70, vcc_lo, v70
	v_add_lshl_u32 v72, v68, v158, 2
	v_and_b32_e32 v69, v69, v74
	s_delay_alu instid0(VALU_DEP_4) | instskip(SKIP_3) | instid1(VALU_DEP_2)
	v_xor_b32_e32 v68, s16, v71
	ds_load_b32 v209, v72 offset:1056
	v_and_b32_e32 v69, v69, v70
	v_add_nc_u32_e32 v211, 0x420, v72
	; wave barrier
	v_and_b32_e32 v68, v69, v68
	s_delay_alu instid0(VALU_DEP_1) | instskip(SKIP_1) | instid1(VALU_DEP_2)
	v_mbcnt_lo_u32_b32 v210, v68, 0
	v_cmp_ne_u32_e64 s16, 0, v68
	v_cmp_eq_u32_e32 vcc_lo, 0, v210
	s_delay_alu instid0(VALU_DEP_2) | instskip(NEXT) | instid1(SALU_CYCLE_1)
	s_and_b32 s17, s16, vcc_lo
	s_and_saveexec_b32 s16, s17
	s_cbranch_execz .LBB1126_751
; %bb.750:                              ;   in Loop: Header=BB1126_690 Depth=2
	s_waitcnt lgkmcnt(0)
	v_bcnt_u32_b32 v68, v68, v209
	ds_store_b32 v211, v68
.LBB1126_751:                           ;   in Loop: Header=BB1126_690 Depth=2
	s_or_b32 exec_lo, exec_lo, s16
	v_cmp_gt_i64_e32 vcc_lo, 0, v[50:51]
	v_ashrrev_i32_e32 v68, 31, v51
	; wave barrier
	s_delay_alu instid0(VALU_DEP_1) | instskip(SKIP_1) | instid1(VALU_DEP_2)
	v_not_b32_e32 v68, v68
	v_cndmask_b32_e64 v69, 0x7fffffff, 0, vcc_lo
	v_xor_b32_e32 v50, v68, v50
	s_delay_alu instid0(VALU_DEP_2) | instskip(NEXT) | instid1(VALU_DEP_1)
	v_xor_b32_e32 v51, v69, v51
	v_cmp_ne_u64_e32 vcc_lo, s[36:37], v[50:51]
	v_cndmask_b32_e32 v69, 0x7fffffff, v51, vcc_lo
	v_cndmask_b32_e32 v68, -1, v50, vcc_lo
	s_delay_alu instid0(VALU_DEP_1) | instskip(NEXT) | instid1(VALU_DEP_1)
	v_lshrrev_b64 v[68:69], s42, v[68:69]
	v_and_b32_e32 v68, s50, v68
	s_delay_alu instid0(VALU_DEP_1)
	v_and_b32_e32 v69, 1, v68
	v_lshlrev_b32_e32 v70, 30, v68
	v_lshlrev_b32_e32 v71, 29, v68
	;; [unrolled: 1-line block ×4, first 2 shown]
	v_add_co_u32 v69, s16, v69, -1
	s_delay_alu instid0(VALU_DEP_1)
	v_cndmask_b32_e64 v73, 0, 1, s16
	v_not_b32_e32 v213, v70
	v_cmp_gt_i32_e64 s16, 0, v70
	v_not_b32_e32 v70, v71
	v_lshlrev_b32_e32 v75, 26, v68
	v_cmp_ne_u32_e32 vcc_lo, 0, v73
	v_ashrrev_i32_e32 v213, 31, v213
	v_lshlrev_b32_e32 v212, 25, v68
	v_ashrrev_i32_e32 v70, 31, v70
	v_lshlrev_b32_e32 v73, 24, v68
	v_xor_b32_e32 v69, vcc_lo, v69
	v_cmp_gt_i32_e32 vcc_lo, 0, v71
	v_not_b32_e32 v71, v72
	v_xor_b32_e32 v213, s16, v213
	v_cmp_gt_i32_e64 s16, 0, v72
	v_and_b32_e32 v69, exec_lo, v69
	v_not_b32_e32 v72, v74
	v_ashrrev_i32_e32 v71, 31, v71
	v_xor_b32_e32 v70, vcc_lo, v70
	v_cmp_gt_i32_e32 vcc_lo, 0, v74
	v_and_b32_e32 v69, v69, v213
	v_not_b32_e32 v74, v75
	v_ashrrev_i32_e32 v72, 31, v72
	v_xor_b32_e32 v71, s16, v71
	v_cmp_gt_i32_e64 s16, 0, v75
	v_and_b32_e32 v69, v69, v70
	v_not_b32_e32 v70, v212
	v_ashrrev_i32_e32 v74, 31, v74
	v_xor_b32_e32 v72, vcc_lo, v72
	v_cmp_gt_i32_e32 vcc_lo, 0, v212
	v_and_b32_e32 v69, v69, v71
	v_not_b32_e32 v71, v73
	v_ashrrev_i32_e32 v70, 31, v70
	v_xor_b32_e32 v74, s16, v74
	v_mul_u32_u24_e32 v68, 9, v68
	v_and_b32_e32 v69, v69, v72
	v_cmp_gt_i32_e64 s16, 0, v73
	v_ashrrev_i32_e32 v71, 31, v71
	v_xor_b32_e32 v70, vcc_lo, v70
	v_add_lshl_u32 v72, v68, v158, 2
	v_and_b32_e32 v69, v69, v74
	s_delay_alu instid0(VALU_DEP_4) | instskip(SKIP_3) | instid1(VALU_DEP_2)
	v_xor_b32_e32 v68, s16, v71
	ds_load_b32 v212, v72 offset:1056
	v_and_b32_e32 v69, v69, v70
	v_add_nc_u32_e32 v214, 0x420, v72
	; wave barrier
	v_and_b32_e32 v68, v69, v68
	s_delay_alu instid0(VALU_DEP_1) | instskip(SKIP_1) | instid1(VALU_DEP_2)
	v_mbcnt_lo_u32_b32 v213, v68, 0
	v_cmp_ne_u32_e64 s16, 0, v68
	v_cmp_eq_u32_e32 vcc_lo, 0, v213
	s_delay_alu instid0(VALU_DEP_2) | instskip(NEXT) | instid1(SALU_CYCLE_1)
	s_and_b32 s17, s16, vcc_lo
	s_and_saveexec_b32 s16, s17
	s_cbranch_execz .LBB1126_753
; %bb.752:                              ;   in Loop: Header=BB1126_690 Depth=2
	s_waitcnt lgkmcnt(0)
	v_bcnt_u32_b32 v68, v68, v212
	ds_store_b32 v214, v68
.LBB1126_753:                           ;   in Loop: Header=BB1126_690 Depth=2
	s_or_b32 exec_lo, exec_lo, s16
	v_cmp_gt_i64_e32 vcc_lo, 0, v[46:47]
	v_ashrrev_i32_e32 v68, 31, v47
	; wave barrier
	s_delay_alu instid0(VALU_DEP_1) | instskip(SKIP_1) | instid1(VALU_DEP_2)
	v_not_b32_e32 v68, v68
	v_cndmask_b32_e64 v69, 0x7fffffff, 0, vcc_lo
	v_xor_b32_e32 v46, v68, v46
	s_delay_alu instid0(VALU_DEP_2) | instskip(NEXT) | instid1(VALU_DEP_1)
	v_xor_b32_e32 v47, v69, v47
	v_cmp_ne_u64_e32 vcc_lo, s[36:37], v[46:47]
	v_cndmask_b32_e32 v69, 0x7fffffff, v47, vcc_lo
	v_cndmask_b32_e32 v68, -1, v46, vcc_lo
	s_delay_alu instid0(VALU_DEP_1) | instskip(NEXT) | instid1(VALU_DEP_1)
	v_lshrrev_b64 v[68:69], s42, v[68:69]
	v_and_b32_e32 v68, s50, v68
	s_delay_alu instid0(VALU_DEP_1)
	v_and_b32_e32 v69, 1, v68
	v_lshlrev_b32_e32 v70, 30, v68
	v_lshlrev_b32_e32 v71, 29, v68
	;; [unrolled: 1-line block ×4, first 2 shown]
	v_add_co_u32 v69, s16, v69, -1
	s_delay_alu instid0(VALU_DEP_1)
	v_cndmask_b32_e64 v73, 0, 1, s16
	v_not_b32_e32 v216, v70
	v_cmp_gt_i32_e64 s16, 0, v70
	v_not_b32_e32 v70, v71
	v_lshlrev_b32_e32 v75, 26, v68
	v_cmp_ne_u32_e32 vcc_lo, 0, v73
	v_ashrrev_i32_e32 v216, 31, v216
	v_lshlrev_b32_e32 v215, 25, v68
	v_ashrrev_i32_e32 v70, 31, v70
	v_lshlrev_b32_e32 v73, 24, v68
	v_xor_b32_e32 v69, vcc_lo, v69
	v_cmp_gt_i32_e32 vcc_lo, 0, v71
	v_not_b32_e32 v71, v72
	v_xor_b32_e32 v216, s16, v216
	v_cmp_gt_i32_e64 s16, 0, v72
	v_and_b32_e32 v69, exec_lo, v69
	v_not_b32_e32 v72, v74
	v_ashrrev_i32_e32 v71, 31, v71
	v_xor_b32_e32 v70, vcc_lo, v70
	v_cmp_gt_i32_e32 vcc_lo, 0, v74
	v_and_b32_e32 v69, v69, v216
	v_not_b32_e32 v74, v75
	v_ashrrev_i32_e32 v72, 31, v72
	v_xor_b32_e32 v71, s16, v71
	v_cmp_gt_i32_e64 s16, 0, v75
	v_and_b32_e32 v69, v69, v70
	v_not_b32_e32 v70, v215
	v_ashrrev_i32_e32 v74, 31, v74
	v_xor_b32_e32 v72, vcc_lo, v72
	v_cmp_gt_i32_e32 vcc_lo, 0, v215
	v_and_b32_e32 v69, v69, v71
	v_not_b32_e32 v71, v73
	v_ashrrev_i32_e32 v70, 31, v70
	v_xor_b32_e32 v74, s16, v74
	v_mul_u32_u24_e32 v68, 9, v68
	v_and_b32_e32 v69, v69, v72
	v_cmp_gt_i32_e64 s16, 0, v73
	v_ashrrev_i32_e32 v71, 31, v71
	v_xor_b32_e32 v70, vcc_lo, v70
	v_add_lshl_u32 v72, v68, v158, 2
	v_and_b32_e32 v69, v69, v74
	s_delay_alu instid0(VALU_DEP_4) | instskip(SKIP_3) | instid1(VALU_DEP_2)
	v_xor_b32_e32 v68, s16, v71
	ds_load_b32 v215, v72 offset:1056
	v_and_b32_e32 v69, v69, v70
	v_add_nc_u32_e32 v217, 0x420, v72
	; wave barrier
	v_and_b32_e32 v68, v69, v68
	s_delay_alu instid0(VALU_DEP_1) | instskip(SKIP_1) | instid1(VALU_DEP_2)
	v_mbcnt_lo_u32_b32 v216, v68, 0
	v_cmp_ne_u32_e64 s16, 0, v68
	v_cmp_eq_u32_e32 vcc_lo, 0, v216
	s_delay_alu instid0(VALU_DEP_2) | instskip(NEXT) | instid1(SALU_CYCLE_1)
	s_and_b32 s17, s16, vcc_lo
	s_and_saveexec_b32 s16, s17
	s_cbranch_execz .LBB1126_755
; %bb.754:                              ;   in Loop: Header=BB1126_690 Depth=2
	s_waitcnt lgkmcnt(0)
	v_bcnt_u32_b32 v68, v68, v215
	ds_store_b32 v217, v68
.LBB1126_755:                           ;   in Loop: Header=BB1126_690 Depth=2
	s_or_b32 exec_lo, exec_lo, s16
	v_cmp_gt_i64_e32 vcc_lo, 0, v[40:41]
	v_ashrrev_i32_e32 v68, 31, v41
	; wave barrier
	s_delay_alu instid0(VALU_DEP_1) | instskip(SKIP_1) | instid1(VALU_DEP_2)
	v_not_b32_e32 v68, v68
	v_cndmask_b32_e64 v69, 0x7fffffff, 0, vcc_lo
	v_xor_b32_e32 v40, v68, v40
	s_delay_alu instid0(VALU_DEP_2) | instskip(NEXT) | instid1(VALU_DEP_1)
	v_xor_b32_e32 v41, v69, v41
	v_cmp_ne_u64_e32 vcc_lo, s[36:37], v[40:41]
	v_cndmask_b32_e32 v69, 0x7fffffff, v41, vcc_lo
	v_cndmask_b32_e32 v68, -1, v40, vcc_lo
	s_delay_alu instid0(VALU_DEP_1) | instskip(NEXT) | instid1(VALU_DEP_1)
	v_lshrrev_b64 v[68:69], s42, v[68:69]
	v_and_b32_e32 v68, s50, v68
	s_delay_alu instid0(VALU_DEP_1)
	v_and_b32_e32 v69, 1, v68
	v_lshlrev_b32_e32 v70, 30, v68
	v_lshlrev_b32_e32 v71, 29, v68
	;; [unrolled: 1-line block ×4, first 2 shown]
	v_add_co_u32 v69, s16, v69, -1
	s_delay_alu instid0(VALU_DEP_1)
	v_cndmask_b32_e64 v73, 0, 1, s16
	v_not_b32_e32 v219, v70
	v_cmp_gt_i32_e64 s16, 0, v70
	v_not_b32_e32 v70, v71
	v_lshlrev_b32_e32 v75, 26, v68
	v_cmp_ne_u32_e32 vcc_lo, 0, v73
	v_ashrrev_i32_e32 v219, 31, v219
	v_lshlrev_b32_e32 v218, 25, v68
	v_ashrrev_i32_e32 v70, 31, v70
	v_lshlrev_b32_e32 v73, 24, v68
	v_xor_b32_e32 v69, vcc_lo, v69
	v_cmp_gt_i32_e32 vcc_lo, 0, v71
	v_not_b32_e32 v71, v72
	v_xor_b32_e32 v219, s16, v219
	v_cmp_gt_i32_e64 s16, 0, v72
	v_and_b32_e32 v69, exec_lo, v69
	v_not_b32_e32 v72, v74
	v_ashrrev_i32_e32 v71, 31, v71
	v_xor_b32_e32 v70, vcc_lo, v70
	v_cmp_gt_i32_e32 vcc_lo, 0, v74
	v_and_b32_e32 v69, v69, v219
	v_not_b32_e32 v74, v75
	v_ashrrev_i32_e32 v72, 31, v72
	v_xor_b32_e32 v71, s16, v71
	v_cmp_gt_i32_e64 s16, 0, v75
	v_and_b32_e32 v69, v69, v70
	v_not_b32_e32 v70, v218
	v_ashrrev_i32_e32 v74, 31, v74
	v_xor_b32_e32 v72, vcc_lo, v72
	v_cmp_gt_i32_e32 vcc_lo, 0, v218
	v_and_b32_e32 v69, v69, v71
	v_not_b32_e32 v71, v73
	v_ashrrev_i32_e32 v70, 31, v70
	v_xor_b32_e32 v74, s16, v74
	v_mul_u32_u24_e32 v68, 9, v68
	v_and_b32_e32 v69, v69, v72
	v_cmp_gt_i32_e64 s16, 0, v73
	v_ashrrev_i32_e32 v71, 31, v71
	v_xor_b32_e32 v70, vcc_lo, v70
	v_add_lshl_u32 v72, v68, v158, 2
	v_and_b32_e32 v69, v69, v74
	s_delay_alu instid0(VALU_DEP_4) | instskip(SKIP_3) | instid1(VALU_DEP_2)
	v_xor_b32_e32 v68, s16, v71
	ds_load_b32 v218, v72 offset:1056
	v_and_b32_e32 v69, v69, v70
	v_add_nc_u32_e32 v220, 0x420, v72
	; wave barrier
	v_and_b32_e32 v68, v69, v68
	s_delay_alu instid0(VALU_DEP_1) | instskip(SKIP_1) | instid1(VALU_DEP_2)
	v_mbcnt_lo_u32_b32 v219, v68, 0
	v_cmp_ne_u32_e64 s16, 0, v68
	v_cmp_eq_u32_e32 vcc_lo, 0, v219
	s_delay_alu instid0(VALU_DEP_2) | instskip(NEXT) | instid1(SALU_CYCLE_1)
	s_and_b32 s17, s16, vcc_lo
	s_and_saveexec_b32 s16, s17
	s_cbranch_execz .LBB1126_757
; %bb.756:                              ;   in Loop: Header=BB1126_690 Depth=2
	s_waitcnt lgkmcnt(0)
	v_bcnt_u32_b32 v68, v68, v218
	ds_store_b32 v220, v68
.LBB1126_757:                           ;   in Loop: Header=BB1126_690 Depth=2
	s_or_b32 exec_lo, exec_lo, s16
	v_cmp_gt_i64_e32 vcc_lo, 0, v[42:43]
	v_ashrrev_i32_e32 v68, 31, v43
	; wave barrier
	s_delay_alu instid0(VALU_DEP_1) | instskip(SKIP_1) | instid1(VALU_DEP_2)
	v_not_b32_e32 v68, v68
	v_cndmask_b32_e64 v69, 0x7fffffff, 0, vcc_lo
	v_xor_b32_e32 v42, v68, v42
	s_delay_alu instid0(VALU_DEP_2) | instskip(NEXT) | instid1(VALU_DEP_1)
	v_xor_b32_e32 v43, v69, v43
	v_cmp_ne_u64_e32 vcc_lo, s[36:37], v[42:43]
	v_cndmask_b32_e32 v69, 0x7fffffff, v43, vcc_lo
	v_cndmask_b32_e32 v68, -1, v42, vcc_lo
	s_delay_alu instid0(VALU_DEP_1) | instskip(NEXT) | instid1(VALU_DEP_1)
	v_lshrrev_b64 v[68:69], s42, v[68:69]
	v_and_b32_e32 v68, s50, v68
	s_delay_alu instid0(VALU_DEP_1)
	v_and_b32_e32 v69, 1, v68
	v_lshlrev_b32_e32 v70, 30, v68
	v_lshlrev_b32_e32 v71, 29, v68
	;; [unrolled: 1-line block ×4, first 2 shown]
	v_add_co_u32 v69, s16, v69, -1
	s_delay_alu instid0(VALU_DEP_1)
	v_cndmask_b32_e64 v73, 0, 1, s16
	v_not_b32_e32 v222, v70
	v_cmp_gt_i32_e64 s16, 0, v70
	v_not_b32_e32 v70, v71
	v_lshlrev_b32_e32 v75, 26, v68
	v_cmp_ne_u32_e32 vcc_lo, 0, v73
	v_ashrrev_i32_e32 v222, 31, v222
	v_lshlrev_b32_e32 v221, 25, v68
	v_ashrrev_i32_e32 v70, 31, v70
	v_lshlrev_b32_e32 v73, 24, v68
	v_xor_b32_e32 v69, vcc_lo, v69
	v_cmp_gt_i32_e32 vcc_lo, 0, v71
	v_not_b32_e32 v71, v72
	v_xor_b32_e32 v222, s16, v222
	v_cmp_gt_i32_e64 s16, 0, v72
	v_and_b32_e32 v69, exec_lo, v69
	v_not_b32_e32 v72, v74
	v_ashrrev_i32_e32 v71, 31, v71
	v_xor_b32_e32 v70, vcc_lo, v70
	v_cmp_gt_i32_e32 vcc_lo, 0, v74
	v_and_b32_e32 v69, v69, v222
	v_not_b32_e32 v74, v75
	v_ashrrev_i32_e32 v72, 31, v72
	v_xor_b32_e32 v71, s16, v71
	v_cmp_gt_i32_e64 s16, 0, v75
	v_and_b32_e32 v69, v69, v70
	v_not_b32_e32 v70, v221
	v_ashrrev_i32_e32 v74, 31, v74
	v_xor_b32_e32 v72, vcc_lo, v72
	v_cmp_gt_i32_e32 vcc_lo, 0, v221
	v_and_b32_e32 v69, v69, v71
	v_not_b32_e32 v71, v73
	v_ashrrev_i32_e32 v70, 31, v70
	v_xor_b32_e32 v74, s16, v74
	v_mul_u32_u24_e32 v68, 9, v68
	v_and_b32_e32 v69, v69, v72
	v_cmp_gt_i32_e64 s16, 0, v73
	v_ashrrev_i32_e32 v71, 31, v71
	v_xor_b32_e32 v70, vcc_lo, v70
	v_add_lshl_u32 v72, v68, v158, 2
	v_and_b32_e32 v69, v69, v74
	s_delay_alu instid0(VALU_DEP_4) | instskip(SKIP_3) | instid1(VALU_DEP_2)
	v_xor_b32_e32 v68, s16, v71
	ds_load_b32 v221, v72 offset:1056
	v_and_b32_e32 v69, v69, v70
	v_add_nc_u32_e32 v223, 0x420, v72
	; wave barrier
	v_and_b32_e32 v68, v69, v68
	s_delay_alu instid0(VALU_DEP_1) | instskip(SKIP_1) | instid1(VALU_DEP_2)
	v_mbcnt_lo_u32_b32 v222, v68, 0
	v_cmp_ne_u32_e64 s16, 0, v68
	v_cmp_eq_u32_e32 vcc_lo, 0, v222
	s_delay_alu instid0(VALU_DEP_2) | instskip(NEXT) | instid1(SALU_CYCLE_1)
	s_and_b32 s17, s16, vcc_lo
	s_and_saveexec_b32 s16, s17
	s_cbranch_execz .LBB1126_759
; %bb.758:                              ;   in Loop: Header=BB1126_690 Depth=2
	s_waitcnt lgkmcnt(0)
	v_bcnt_u32_b32 v68, v68, v221
	ds_store_b32 v223, v68
.LBB1126_759:                           ;   in Loop: Header=BB1126_690 Depth=2
	s_or_b32 exec_lo, exec_lo, s16
	; wave barrier
	s_waitcnt lgkmcnt(0)
	s_barrier
	buffer_gl0_inv
	ds_load_b32 v224, v102 offset:1056
	ds_load_2addr_b32 v[74:75], v103 offset0:1 offset1:2
	ds_load_2addr_b32 v[72:73], v103 offset0:3 offset1:4
	;; [unrolled: 1-line block ×4, first 2 shown]
	s_waitcnt lgkmcnt(3)
	v_add3_u32 v225, v74, v224, v75
	s_waitcnt lgkmcnt(2)
	s_delay_alu instid0(VALU_DEP_1) | instskip(SKIP_1) | instid1(VALU_DEP_1)
	v_add3_u32 v225, v225, v72, v73
	s_waitcnt lgkmcnt(1)
	v_add3_u32 v225, v225, v68, v69
	s_waitcnt lgkmcnt(0)
	s_delay_alu instid0(VALU_DEP_1) | instskip(NEXT) | instid1(VALU_DEP_1)
	v_add3_u32 v71, v225, v70, v71
	v_mov_b32_dpp v225, v71 row_shr:1 row_mask:0xf bank_mask:0xf
	s_delay_alu instid0(VALU_DEP_1) | instskip(NEXT) | instid1(VALU_DEP_1)
	v_cndmask_b32_e64 v225, v225, 0, s1
	v_add_nc_u32_e32 v71, v225, v71
	s_delay_alu instid0(VALU_DEP_1) | instskip(NEXT) | instid1(VALU_DEP_1)
	v_mov_b32_dpp v225, v71 row_shr:2 row_mask:0xf bank_mask:0xf
	v_cndmask_b32_e64 v225, 0, v225, s7
	s_delay_alu instid0(VALU_DEP_1) | instskip(NEXT) | instid1(VALU_DEP_1)
	v_add_nc_u32_e32 v71, v71, v225
	v_mov_b32_dpp v225, v71 row_shr:4 row_mask:0xf bank_mask:0xf
	s_delay_alu instid0(VALU_DEP_1) | instskip(NEXT) | instid1(VALU_DEP_1)
	v_cndmask_b32_e64 v225, 0, v225, s8
	v_add_nc_u32_e32 v71, v71, v225
	s_delay_alu instid0(VALU_DEP_1) | instskip(NEXT) | instid1(VALU_DEP_1)
	v_mov_b32_dpp v225, v71 row_shr:8 row_mask:0xf bank_mask:0xf
	v_cndmask_b32_e64 v225, 0, v225, s9
	s_delay_alu instid0(VALU_DEP_1) | instskip(SKIP_3) | instid1(VALU_DEP_1)
	v_add_nc_u32_e32 v71, v71, v225
	ds_swizzle_b32 v225, v71 offset:swizzle(BROADCAST,32,15)
	s_waitcnt lgkmcnt(0)
	v_cndmask_b32_e64 v225, v225, 0, s10
	v_add_nc_u32_e32 v71, v71, v225
	s_and_saveexec_b32 s16, s3
	s_cbranch_execz .LBB1126_761
; %bb.760:                              ;   in Loop: Header=BB1126_690 Depth=2
	ds_store_b32 v94, v71 offset:1024
.LBB1126_761:                           ;   in Loop: Header=BB1126_690 Depth=2
	s_or_b32 exec_lo, exec_lo, s16
	s_waitcnt lgkmcnt(0)
	s_barrier
	buffer_gl0_inv
	s_and_saveexec_b32 s16, s4
	s_cbranch_execz .LBB1126_763
; %bb.762:                              ;   in Loop: Header=BB1126_690 Depth=2
	ds_load_b32 v225, v104 offset:1024
	s_waitcnt lgkmcnt(0)
	v_mov_b32_dpp v226, v225 row_shr:1 row_mask:0xf bank_mask:0xf
	s_delay_alu instid0(VALU_DEP_1) | instskip(NEXT) | instid1(VALU_DEP_1)
	v_cndmask_b32_e64 v226, v226, 0, s12
	v_add_nc_u32_e32 v225, v226, v225
	s_delay_alu instid0(VALU_DEP_1) | instskip(NEXT) | instid1(VALU_DEP_1)
	v_mov_b32_dpp v226, v225 row_shr:2 row_mask:0xf bank_mask:0xf
	v_cndmask_b32_e64 v226, 0, v226, s13
	s_delay_alu instid0(VALU_DEP_1) | instskip(NEXT) | instid1(VALU_DEP_1)
	v_add_nc_u32_e32 v225, v225, v226
	v_mov_b32_dpp v226, v225 row_shr:4 row_mask:0xf bank_mask:0xf
	s_delay_alu instid0(VALU_DEP_1) | instskip(NEXT) | instid1(VALU_DEP_1)
	v_cndmask_b32_e64 v226, 0, v226, s14
	v_add_nc_u32_e32 v225, v225, v226
	ds_store_b32 v104, v225 offset:1024
.LBB1126_763:                           ;   in Loop: Header=BB1126_690 Depth=2
	s_or_b32 exec_lo, exec_lo, s16
	v_mov_b32_e32 v225, 0
	s_waitcnt lgkmcnt(0)
	s_barrier
	buffer_gl0_inv
	s_and_saveexec_b32 s16, s5
	s_cbranch_execz .LBB1126_765
; %bb.764:                              ;   in Loop: Header=BB1126_690 Depth=2
	ds_load_b32 v225, v94 offset:1020
.LBB1126_765:                           ;   in Loop: Header=BB1126_690 Depth=2
	s_or_b32 exec_lo, exec_lo, s16
	s_waitcnt lgkmcnt(0)
	v_add_nc_u32_e32 v71, v225, v71
	ds_bpermute_b32 v71, v137, v71
	s_waitcnt lgkmcnt(0)
	v_cndmask_b32_e64 v71, v71, v225, s11
	s_delay_alu instid0(VALU_DEP_1) | instskip(NEXT) | instid1(VALU_DEP_1)
	v_cndmask_b32_e64 v71, v71, 0, s0
	v_add_nc_u32_e32 v224, v71, v224
	s_delay_alu instid0(VALU_DEP_1) | instskip(NEXT) | instid1(VALU_DEP_1)
	v_add_nc_u32_e32 v74, v224, v74
	v_add_nc_u32_e32 v75, v74, v75
	s_delay_alu instid0(VALU_DEP_1) | instskip(NEXT) | instid1(VALU_DEP_1)
	v_add_nc_u32_e32 v72, v75, v72
	;; [unrolled: 3-line block ×3, first 2 shown]
	v_add_nc_u32_e32 v69, v68, v69
	s_delay_alu instid0(VALU_DEP_1)
	v_add_nc_u32_e32 v70, v69, v70
	ds_store_b32 v102, v71 offset:1056
	ds_store_2addr_b32 v103, v224, v74 offset0:1 offset1:2
	ds_store_2addr_b32 v103, v75, v72 offset0:3 offset1:4
	;; [unrolled: 1-line block ×4, first 2 shown]
	v_mov_b32_e32 v68, 0x1000
	s_waitcnt lgkmcnt(0)
	s_barrier
	buffer_gl0_inv
	ds_load_b32 v70, v181
	ds_load_b32 v71, v184
	;; [unrolled: 1-line block ×16, first 2 shown]
	ds_load_b32 v178, v102 offset:1056
	s_and_saveexec_b32 s16, s6
	s_cbranch_execz .LBB1126_767
; %bb.766:                              ;   in Loop: Header=BB1126_690 Depth=2
	ds_load_b32 v68, v105 offset:1056
.LBB1126_767:                           ;   in Loop: Header=BB1126_690 Depth=2
	s_or_b32 exec_lo, exec_lo, s16
	s_waitcnt lgkmcnt(0)
	s_barrier
	buffer_gl0_inv
	s_and_saveexec_b32 s16, s2
	s_cbranch_execz .LBB1126_769
; %bb.768:                              ;   in Loop: Header=BB1126_690 Depth=2
	ds_load_b32 v202, v76
	s_waitcnt lgkmcnt(0)
	v_sub_nc_u32_e32 v178, v202, v178
	ds_store_b32 v76, v178
.LBB1126_769:                           ;   in Loop: Header=BB1126_690 Depth=2
	s_or_b32 exec_lo, exec_lo, s16
	v_add_nc_u32_e32 v179, v180, v179
	v_add_lshl_u32 v69, v69, v2, 3
	v_add_nc_u32_e32 v2, v183, v182
	v_add_nc_u32_e32 v180, v186, v185
	;; [unrolled: 1-line block ×8, first 2 shown]
	v_add_lshl_u32 v70, v179, v70, 3
	v_add_lshl_u32 v71, v2, v71, 3
	v_add_nc_u32_e32 v200, v201, v200
	v_add_lshl_u32 v72, v180, v72, 3
	v_add_nc_u32_e32 v203, v204, v203
	;; [unrolled: 2-line block ×3, first 2 shown]
	v_add_nc_u32_e32 v202, v219, v218
	v_add_nc_u32_e32 v205, v216, v215
	;; [unrolled: 1-line block ×3, first 2 shown]
	ds_store_b64 v69, v[36:37] offset:1024
	ds_store_b64 v70, v[38:39] offset:1024
	v_add_lshl_u32 v38, v191, v225, 3
	ds_store_b64 v71, v[44:45] offset:1024
	ds_store_b64 v72, v[48:49] offset:1024
	;; [unrolled: 1-line block ×3, first 2 shown]
	v_add_lshl_u32 v39, v194, v224, 3
	v_add_lshl_u32 v44, v197, v199, 3
	;; [unrolled: 1-line block ×6, first 2 shown]
	ds_store_b64 v38, v[58:59] offset:1024
	ds_store_b64 v39, v[62:63] offset:1024
	;; [unrolled: 1-line block ×6, first 2 shown]
	v_add_lshl_u32 v55, v208, v184, 3
	v_add_lshl_u32 v56, v205, v181, 3
	;; [unrolled: 1-line block ×3, first 2 shown]
	ds_store_b64 v54, v[52:53] offset:1024
	v_add_lshl_u32 v52, v178, v74, 3
	v_cmp_lt_u32_e32 vcc_lo, v1, v177
	ds_store_b64 v55, v[50:51] offset:1024
	ds_store_b64 v56, v[46:47] offset:1024
	;; [unrolled: 1-line block ×4, first 2 shown]
	s_waitcnt lgkmcnt(0)
	s_barrier
	buffer_gl0_inv
	s_and_saveexec_b32 s17, vcc_lo
	s_cbranch_execz .LBB1126_785
; %bb.770:                              ;   in Loop: Header=BB1126_690 Depth=2
	v_add_nc_u32_e32 v2, v104, v76
	ds_load_b64 v[36:37], v2 offset:1024
	s_waitcnt lgkmcnt(0)
	v_cmp_ne_u64_e64 s16, s[36:37], v[36:37]
	s_delay_alu instid0(VALU_DEP_1) | instskip(SKIP_2) | instid1(VALU_DEP_2)
	v_cndmask_b32_e64 v41, 0x7fffffff, v37, s16
	v_cndmask_b32_e64 v40, -1, v36, s16
	v_cmp_gt_i64_e64 s16, 0, v[36:37]
	v_lshrrev_b64 v[40:41], s42, v[40:41]
	s_delay_alu instid0(VALU_DEP_2) | instskip(NEXT) | instid1(VALU_DEP_2)
	v_cndmask_b32_e64 v42, 0x7fffffff, 0, s16
	v_and_b32_e32 v2, s50, v40
	v_ashrrev_i32_e32 v40, 31, v37
	s_delay_alu instid0(VALU_DEP_3) | instskip(NEXT) | instid1(VALU_DEP_3)
	v_xor_b32_e32 v37, v42, v37
	v_lshlrev_b32_e32 v2, 2, v2
	s_delay_alu instid0(VALU_DEP_3) | instskip(SKIP_4) | instid1(VALU_DEP_1)
	v_not_b32_e32 v43, v40
	ds_load_b32 v2, v2
	v_xor_b32_e32 v36, v43, v36
	s_waitcnt lgkmcnt(0)
	v_add_nc_u32_e32 v2, v2, v1
	v_lshlrev_b64 v[40:41], 3, v[2:3]
	s_delay_alu instid0(VALU_DEP_1) | instskip(NEXT) | instid1(VALU_DEP_1)
	v_add_co_u32 v40, s16, s46, v40
	v_add_co_ci_u32_e64 v41, s16, s47, v41, s16
	global_store_b64 v[40:41], v[36:37], off
	s_or_b32 exec_lo, exec_lo, s17
	v_cmp_lt_u32_e64 s16, v77, v177
	s_delay_alu instid0(VALU_DEP_1)
	s_and_saveexec_b32 s18, s16
	s_cbranch_execnz .LBB1126_786
.LBB1126_771:                           ;   in Loop: Header=BB1126_690 Depth=2
	s_or_b32 exec_lo, exec_lo, s18
	v_cmp_lt_u32_e64 s17, v78, v177
	s_delay_alu instid0(VALU_DEP_1)
	s_and_saveexec_b32 s19, s17
	s_cbranch_execz .LBB1126_787
.LBB1126_772:                           ;   in Loop: Header=BB1126_690 Depth=2
	ds_load_b64 v[36:37], v110 offset:4096
	s_waitcnt lgkmcnt(0)
	v_cmp_ne_u64_e64 s18, s[36:37], v[36:37]
	s_delay_alu instid0(VALU_DEP_1) | instskip(SKIP_2) | instid1(VALU_DEP_2)
	v_cndmask_b32_e64 v41, 0x7fffffff, v37, s18
	v_cndmask_b32_e64 v40, -1, v36, s18
	v_cmp_gt_i64_e64 s18, 0, v[36:37]
	v_lshrrev_b64 v[40:41], s42, v[40:41]
	s_delay_alu instid0(VALU_DEP_2) | instskip(NEXT) | instid1(VALU_DEP_2)
	v_cndmask_b32_e64 v42, 0x7fffffff, 0, s18
	v_and_b32_e32 v2, s50, v40
	v_ashrrev_i32_e32 v40, 31, v37
	s_delay_alu instid0(VALU_DEP_3) | instskip(NEXT) | instid1(VALU_DEP_3)
	v_xor_b32_e32 v37, v42, v37
	v_lshlrev_b32_e32 v2, 2, v2
	s_delay_alu instid0(VALU_DEP_3) | instskip(SKIP_4) | instid1(VALU_DEP_1)
	v_not_b32_e32 v43, v40
	ds_load_b32 v2, v2
	v_xor_b32_e32 v36, v43, v36
	s_waitcnt lgkmcnt(0)
	v_add_nc_u32_e32 v2, v2, v78
	v_lshlrev_b64 v[40:41], 3, v[2:3]
	s_delay_alu instid0(VALU_DEP_1) | instskip(NEXT) | instid1(VALU_DEP_1)
	v_add_co_u32 v40, s18, s46, v40
	v_add_co_ci_u32_e64 v41, s18, s47, v41, s18
	global_store_b64 v[40:41], v[36:37], off
	s_or_b32 exec_lo, exec_lo, s19
	v_cmp_lt_u32_e64 s18, v79, v177
	s_delay_alu instid0(VALU_DEP_1)
	s_and_saveexec_b32 s20, s18
	s_cbranch_execnz .LBB1126_788
.LBB1126_773:                           ;   in Loop: Header=BB1126_690 Depth=2
	s_or_b32 exec_lo, exec_lo, s20
	v_cmp_lt_u32_e64 s19, v83, v177
	s_delay_alu instid0(VALU_DEP_1)
	s_and_saveexec_b32 s21, s19
	s_cbranch_execz .LBB1126_789
.LBB1126_774:                           ;   in Loop: Header=BB1126_690 Depth=2
	ds_load_b64 v[36:37], v110 offset:8192
	s_waitcnt lgkmcnt(0)
	v_cmp_ne_u64_e64 s20, s[36:37], v[36:37]
	s_delay_alu instid0(VALU_DEP_1) | instskip(SKIP_2) | instid1(VALU_DEP_2)
	v_cndmask_b32_e64 v41, 0x7fffffff, v37, s20
	v_cndmask_b32_e64 v40, -1, v36, s20
	v_cmp_gt_i64_e64 s20, 0, v[36:37]
	v_lshrrev_b64 v[40:41], s42, v[40:41]
	s_delay_alu instid0(VALU_DEP_2) | instskip(NEXT) | instid1(VALU_DEP_2)
	v_cndmask_b32_e64 v42, 0x7fffffff, 0, s20
	v_and_b32_e32 v2, s50, v40
	v_ashrrev_i32_e32 v40, 31, v37
	s_delay_alu instid0(VALU_DEP_3) | instskip(NEXT) | instid1(VALU_DEP_3)
	v_xor_b32_e32 v37, v42, v37
	v_lshlrev_b32_e32 v2, 2, v2
	s_delay_alu instid0(VALU_DEP_3) | instskip(SKIP_4) | instid1(VALU_DEP_1)
	v_not_b32_e32 v43, v40
	ds_load_b32 v2, v2
	v_xor_b32_e32 v36, v43, v36
	s_waitcnt lgkmcnt(0)
	v_add_nc_u32_e32 v2, v2, v83
	v_lshlrev_b64 v[40:41], 3, v[2:3]
	s_delay_alu instid0(VALU_DEP_1) | instskip(NEXT) | instid1(VALU_DEP_1)
	v_add_co_u32 v40, s20, s46, v40
	v_add_co_ci_u32_e64 v41, s20, s47, v41, s20
	global_store_b64 v[40:41], v[36:37], off
	s_or_b32 exec_lo, exec_lo, s21
	v_cmp_lt_u32_e64 s20, v84, v177
	s_delay_alu instid0(VALU_DEP_1)
	s_and_saveexec_b32 s22, s20
	s_cbranch_execnz .LBB1126_790
.LBB1126_775:                           ;   in Loop: Header=BB1126_690 Depth=2
	s_or_b32 exec_lo, exec_lo, s22
	v_cmp_lt_u32_e64 s21, v85, v177
	s_delay_alu instid0(VALU_DEP_1)
	s_and_saveexec_b32 s23, s21
	s_cbranch_execz .LBB1126_791
.LBB1126_776:                           ;   in Loop: Header=BB1126_690 Depth=2
	ds_load_b64 v[36:37], v110 offset:12288
	s_waitcnt lgkmcnt(0)
	v_cmp_ne_u64_e64 s22, s[36:37], v[36:37]
	s_delay_alu instid0(VALU_DEP_1) | instskip(SKIP_2) | instid1(VALU_DEP_2)
	v_cndmask_b32_e64 v41, 0x7fffffff, v37, s22
	v_cndmask_b32_e64 v40, -1, v36, s22
	v_cmp_gt_i64_e64 s22, 0, v[36:37]
	v_lshrrev_b64 v[40:41], s42, v[40:41]
	s_delay_alu instid0(VALU_DEP_2) | instskip(NEXT) | instid1(VALU_DEP_2)
	v_cndmask_b32_e64 v42, 0x7fffffff, 0, s22
	v_and_b32_e32 v2, s50, v40
	v_ashrrev_i32_e32 v40, 31, v37
	s_delay_alu instid0(VALU_DEP_3) | instskip(NEXT) | instid1(VALU_DEP_3)
	v_xor_b32_e32 v37, v42, v37
	v_lshlrev_b32_e32 v2, 2, v2
	s_delay_alu instid0(VALU_DEP_3) | instskip(SKIP_4) | instid1(VALU_DEP_1)
	v_not_b32_e32 v43, v40
	ds_load_b32 v2, v2
	v_xor_b32_e32 v36, v43, v36
	s_waitcnt lgkmcnt(0)
	v_add_nc_u32_e32 v2, v2, v85
	v_lshlrev_b64 v[40:41], 3, v[2:3]
	s_delay_alu instid0(VALU_DEP_1) | instskip(NEXT) | instid1(VALU_DEP_1)
	v_add_co_u32 v40, s22, s46, v40
	v_add_co_ci_u32_e64 v41, s22, s47, v41, s22
	global_store_b64 v[40:41], v[36:37], off
	s_or_b32 exec_lo, exec_lo, s23
	v_cmp_lt_u32_e64 s22, v86, v177
	s_delay_alu instid0(VALU_DEP_1)
	s_and_saveexec_b32 s24, s22
	s_cbranch_execnz .LBB1126_792
.LBB1126_777:                           ;   in Loop: Header=BB1126_690 Depth=2
	s_or_b32 exec_lo, exec_lo, s24
	v_cmp_lt_u32_e64 s23, v87, v177
	s_delay_alu instid0(VALU_DEP_1)
	s_and_saveexec_b32 s25, s23
	s_cbranch_execz .LBB1126_793
.LBB1126_778:                           ;   in Loop: Header=BB1126_690 Depth=2
	ds_load_b64 v[36:37], v110 offset:16384
	s_waitcnt lgkmcnt(0)
	v_cmp_ne_u64_e64 s24, s[36:37], v[36:37]
	s_delay_alu instid0(VALU_DEP_1) | instskip(SKIP_2) | instid1(VALU_DEP_2)
	v_cndmask_b32_e64 v41, 0x7fffffff, v37, s24
	v_cndmask_b32_e64 v40, -1, v36, s24
	v_cmp_gt_i64_e64 s24, 0, v[36:37]
	v_lshrrev_b64 v[40:41], s42, v[40:41]
	s_delay_alu instid0(VALU_DEP_2) | instskip(NEXT) | instid1(VALU_DEP_2)
	v_cndmask_b32_e64 v42, 0x7fffffff, 0, s24
	v_and_b32_e32 v2, s50, v40
	v_ashrrev_i32_e32 v40, 31, v37
	s_delay_alu instid0(VALU_DEP_3) | instskip(NEXT) | instid1(VALU_DEP_3)
	v_xor_b32_e32 v37, v42, v37
	v_lshlrev_b32_e32 v2, 2, v2
	s_delay_alu instid0(VALU_DEP_3) | instskip(SKIP_4) | instid1(VALU_DEP_1)
	v_not_b32_e32 v43, v40
	ds_load_b32 v2, v2
	v_xor_b32_e32 v36, v43, v36
	s_waitcnt lgkmcnt(0)
	v_add_nc_u32_e32 v2, v2, v87
	v_lshlrev_b64 v[40:41], 3, v[2:3]
	s_delay_alu instid0(VALU_DEP_1) | instskip(NEXT) | instid1(VALU_DEP_1)
	v_add_co_u32 v40, s24, s46, v40
	v_add_co_ci_u32_e64 v41, s24, s47, v41, s24
	global_store_b64 v[40:41], v[36:37], off
	s_or_b32 exec_lo, exec_lo, s25
	v_cmp_lt_u32_e64 s24, v88, v177
	s_delay_alu instid0(VALU_DEP_1)
	s_and_saveexec_b32 s26, s24
	s_cbranch_execnz .LBB1126_794
.LBB1126_779:                           ;   in Loop: Header=BB1126_690 Depth=2
	s_or_b32 exec_lo, exec_lo, s26
	v_cmp_lt_u32_e64 s25, v89, v177
	s_delay_alu instid0(VALU_DEP_1)
	s_and_saveexec_b32 s27, s25
	s_cbranch_execz .LBB1126_795
.LBB1126_780:                           ;   in Loop: Header=BB1126_690 Depth=2
	ds_load_b64 v[36:37], v110 offset:20480
	s_waitcnt lgkmcnt(0)
	v_cmp_ne_u64_e64 s26, s[36:37], v[36:37]
	s_delay_alu instid0(VALU_DEP_1) | instskip(SKIP_2) | instid1(VALU_DEP_2)
	v_cndmask_b32_e64 v41, 0x7fffffff, v37, s26
	v_cndmask_b32_e64 v40, -1, v36, s26
	v_cmp_gt_i64_e64 s26, 0, v[36:37]
	v_lshrrev_b64 v[40:41], s42, v[40:41]
	s_delay_alu instid0(VALU_DEP_2) | instskip(NEXT) | instid1(VALU_DEP_2)
	v_cndmask_b32_e64 v42, 0x7fffffff, 0, s26
	v_and_b32_e32 v2, s50, v40
	v_ashrrev_i32_e32 v40, 31, v37
	s_delay_alu instid0(VALU_DEP_3) | instskip(NEXT) | instid1(VALU_DEP_3)
	v_xor_b32_e32 v37, v42, v37
	v_lshlrev_b32_e32 v2, 2, v2
	s_delay_alu instid0(VALU_DEP_3) | instskip(SKIP_4) | instid1(VALU_DEP_1)
	v_not_b32_e32 v43, v40
	ds_load_b32 v2, v2
	v_xor_b32_e32 v36, v43, v36
	s_waitcnt lgkmcnt(0)
	v_add_nc_u32_e32 v2, v2, v89
	v_lshlrev_b64 v[40:41], 3, v[2:3]
	s_delay_alu instid0(VALU_DEP_1) | instskip(NEXT) | instid1(VALU_DEP_1)
	v_add_co_u32 v40, s26, s46, v40
	v_add_co_ci_u32_e64 v41, s26, s47, v41, s26
	global_store_b64 v[40:41], v[36:37], off
	s_or_b32 exec_lo, exec_lo, s27
	v_cmp_lt_u32_e64 s26, v90, v177
	s_delay_alu instid0(VALU_DEP_1)
	s_and_saveexec_b32 s28, s26
	s_cbranch_execnz .LBB1126_796
.LBB1126_781:                           ;   in Loop: Header=BB1126_690 Depth=2
	s_or_b32 exec_lo, exec_lo, s28
	v_cmp_lt_u32_e64 s27, v91, v177
	s_delay_alu instid0(VALU_DEP_1)
	s_and_saveexec_b32 s29, s27
	s_cbranch_execz .LBB1126_797
.LBB1126_782:                           ;   in Loop: Header=BB1126_690 Depth=2
	ds_load_b64 v[36:37], v110 offset:24576
	s_waitcnt lgkmcnt(0)
	v_cmp_ne_u64_e64 s28, s[36:37], v[36:37]
	s_delay_alu instid0(VALU_DEP_1) | instskip(SKIP_2) | instid1(VALU_DEP_2)
	v_cndmask_b32_e64 v41, 0x7fffffff, v37, s28
	v_cndmask_b32_e64 v40, -1, v36, s28
	v_cmp_gt_i64_e64 s28, 0, v[36:37]
	v_lshrrev_b64 v[40:41], s42, v[40:41]
	s_delay_alu instid0(VALU_DEP_2) | instskip(NEXT) | instid1(VALU_DEP_2)
	v_cndmask_b32_e64 v42, 0x7fffffff, 0, s28
	v_and_b32_e32 v2, s50, v40
	v_ashrrev_i32_e32 v40, 31, v37
	s_delay_alu instid0(VALU_DEP_3) | instskip(NEXT) | instid1(VALU_DEP_3)
	v_xor_b32_e32 v37, v42, v37
	v_lshlrev_b32_e32 v2, 2, v2
	s_delay_alu instid0(VALU_DEP_3) | instskip(SKIP_4) | instid1(VALU_DEP_1)
	v_not_b32_e32 v43, v40
	ds_load_b32 v2, v2
	v_xor_b32_e32 v36, v43, v36
	s_waitcnt lgkmcnt(0)
	v_add_nc_u32_e32 v2, v2, v91
	v_lshlrev_b64 v[40:41], 3, v[2:3]
	s_delay_alu instid0(VALU_DEP_1) | instskip(NEXT) | instid1(VALU_DEP_1)
	v_add_co_u32 v40, s28, s46, v40
	v_add_co_ci_u32_e64 v41, s28, s47, v41, s28
	global_store_b64 v[40:41], v[36:37], off
	s_or_b32 exec_lo, exec_lo, s29
	v_cmp_lt_u32_e64 s28, v92, v177
	s_delay_alu instid0(VALU_DEP_1)
	s_and_saveexec_b32 s30, s28
	s_cbranch_execnz .LBB1126_798
.LBB1126_783:                           ;   in Loop: Header=BB1126_690 Depth=2
	s_or_b32 exec_lo, exec_lo, s30
	v_cmp_lt_u32_e64 s29, v93, v177
	s_delay_alu instid0(VALU_DEP_1)
	s_and_saveexec_b32 s31, s29
	s_cbranch_execz .LBB1126_799
.LBB1126_784:                           ;   in Loop: Header=BB1126_690 Depth=2
	ds_load_b64 v[36:37], v110 offset:28672
	s_waitcnt lgkmcnt(0)
	v_cmp_ne_u64_e64 s30, s[36:37], v[36:37]
	s_delay_alu instid0(VALU_DEP_1) | instskip(SKIP_2) | instid1(VALU_DEP_2)
	v_cndmask_b32_e64 v41, 0x7fffffff, v37, s30
	v_cndmask_b32_e64 v40, -1, v36, s30
	v_cmp_gt_i64_e64 s30, 0, v[36:37]
	v_lshrrev_b64 v[40:41], s42, v[40:41]
	s_delay_alu instid0(VALU_DEP_2) | instskip(NEXT) | instid1(VALU_DEP_2)
	v_cndmask_b32_e64 v42, 0x7fffffff, 0, s30
	v_and_b32_e32 v2, s50, v40
	v_ashrrev_i32_e32 v40, 31, v37
	s_delay_alu instid0(VALU_DEP_3) | instskip(NEXT) | instid1(VALU_DEP_3)
	v_xor_b32_e32 v37, v42, v37
	v_lshlrev_b32_e32 v2, 2, v2
	s_delay_alu instid0(VALU_DEP_3) | instskip(SKIP_4) | instid1(VALU_DEP_1)
	v_not_b32_e32 v43, v40
	ds_load_b32 v2, v2
	v_xor_b32_e32 v36, v43, v36
	s_waitcnt lgkmcnt(0)
	v_add_nc_u32_e32 v2, v2, v93
	v_lshlrev_b64 v[40:41], 3, v[2:3]
	s_delay_alu instid0(VALU_DEP_1) | instskip(NEXT) | instid1(VALU_DEP_1)
	v_add_co_u32 v40, s30, s46, v40
	v_add_co_ci_u32_e64 v41, s30, s47, v41, s30
	global_store_b64 v[40:41], v[36:37], off
	s_or_b32 exec_lo, exec_lo, s31
	v_cmp_lt_u32_e64 s30, v95, v177
	s_delay_alu instid0(VALU_DEP_1)
	s_and_saveexec_b32 s41, s30
	s_cbranch_execnz .LBB1126_800
	s_branch .LBB1126_801
.LBB1126_785:                           ;   in Loop: Header=BB1126_690 Depth=2
	s_or_b32 exec_lo, exec_lo, s17
	v_cmp_lt_u32_e64 s16, v77, v177
	s_delay_alu instid0(VALU_DEP_1)
	s_and_saveexec_b32 s18, s16
	s_cbranch_execz .LBB1126_771
.LBB1126_786:                           ;   in Loop: Header=BB1126_690 Depth=2
	ds_load_b64 v[36:37], v110 offset:2048
	s_waitcnt lgkmcnt(0)
	v_cmp_ne_u64_e64 s17, s[36:37], v[36:37]
	s_delay_alu instid0(VALU_DEP_1) | instskip(SKIP_2) | instid1(VALU_DEP_2)
	v_cndmask_b32_e64 v41, 0x7fffffff, v37, s17
	v_cndmask_b32_e64 v40, -1, v36, s17
	v_cmp_gt_i64_e64 s17, 0, v[36:37]
	v_lshrrev_b64 v[40:41], s42, v[40:41]
	s_delay_alu instid0(VALU_DEP_2) | instskip(NEXT) | instid1(VALU_DEP_2)
	v_cndmask_b32_e64 v42, 0x7fffffff, 0, s17
	v_and_b32_e32 v2, s50, v40
	v_ashrrev_i32_e32 v40, 31, v37
	s_delay_alu instid0(VALU_DEP_3) | instskip(NEXT) | instid1(VALU_DEP_3)
	v_xor_b32_e32 v37, v42, v37
	v_lshlrev_b32_e32 v2, 2, v2
	s_delay_alu instid0(VALU_DEP_3) | instskip(SKIP_4) | instid1(VALU_DEP_1)
	v_not_b32_e32 v43, v40
	ds_load_b32 v2, v2
	v_xor_b32_e32 v36, v43, v36
	s_waitcnt lgkmcnt(0)
	v_add_nc_u32_e32 v2, v2, v77
	v_lshlrev_b64 v[40:41], 3, v[2:3]
	s_delay_alu instid0(VALU_DEP_1) | instskip(NEXT) | instid1(VALU_DEP_1)
	v_add_co_u32 v40, s17, s46, v40
	v_add_co_ci_u32_e64 v41, s17, s47, v41, s17
	global_store_b64 v[40:41], v[36:37], off
	s_or_b32 exec_lo, exec_lo, s18
	v_cmp_lt_u32_e64 s17, v78, v177
	s_delay_alu instid0(VALU_DEP_1)
	s_and_saveexec_b32 s19, s17
	s_cbranch_execnz .LBB1126_772
.LBB1126_787:                           ;   in Loop: Header=BB1126_690 Depth=2
	s_or_b32 exec_lo, exec_lo, s19
	v_cmp_lt_u32_e64 s18, v79, v177
	s_delay_alu instid0(VALU_DEP_1)
	s_and_saveexec_b32 s20, s18
	s_cbranch_execz .LBB1126_773
.LBB1126_788:                           ;   in Loop: Header=BB1126_690 Depth=2
	ds_load_b64 v[36:37], v110 offset:6144
	s_waitcnt lgkmcnt(0)
	v_cmp_ne_u64_e64 s19, s[36:37], v[36:37]
	s_delay_alu instid0(VALU_DEP_1) | instskip(SKIP_2) | instid1(VALU_DEP_2)
	v_cndmask_b32_e64 v41, 0x7fffffff, v37, s19
	v_cndmask_b32_e64 v40, -1, v36, s19
	v_cmp_gt_i64_e64 s19, 0, v[36:37]
	v_lshrrev_b64 v[40:41], s42, v[40:41]
	s_delay_alu instid0(VALU_DEP_2) | instskip(NEXT) | instid1(VALU_DEP_2)
	v_cndmask_b32_e64 v42, 0x7fffffff, 0, s19
	v_and_b32_e32 v2, s50, v40
	v_ashrrev_i32_e32 v40, 31, v37
	s_delay_alu instid0(VALU_DEP_3) | instskip(NEXT) | instid1(VALU_DEP_3)
	v_xor_b32_e32 v37, v42, v37
	v_lshlrev_b32_e32 v2, 2, v2
	s_delay_alu instid0(VALU_DEP_3) | instskip(SKIP_4) | instid1(VALU_DEP_1)
	v_not_b32_e32 v43, v40
	ds_load_b32 v2, v2
	v_xor_b32_e32 v36, v43, v36
	s_waitcnt lgkmcnt(0)
	v_add_nc_u32_e32 v2, v2, v79
	v_lshlrev_b64 v[40:41], 3, v[2:3]
	s_delay_alu instid0(VALU_DEP_1) | instskip(NEXT) | instid1(VALU_DEP_1)
	v_add_co_u32 v40, s19, s46, v40
	v_add_co_ci_u32_e64 v41, s19, s47, v41, s19
	global_store_b64 v[40:41], v[36:37], off
	s_or_b32 exec_lo, exec_lo, s20
	v_cmp_lt_u32_e64 s19, v83, v177
	s_delay_alu instid0(VALU_DEP_1)
	s_and_saveexec_b32 s21, s19
	s_cbranch_execnz .LBB1126_774
.LBB1126_789:                           ;   in Loop: Header=BB1126_690 Depth=2
	s_or_b32 exec_lo, exec_lo, s21
	v_cmp_lt_u32_e64 s20, v84, v177
	s_delay_alu instid0(VALU_DEP_1)
	s_and_saveexec_b32 s22, s20
	s_cbranch_execz .LBB1126_775
.LBB1126_790:                           ;   in Loop: Header=BB1126_690 Depth=2
	ds_load_b64 v[36:37], v110 offset:10240
	s_waitcnt lgkmcnt(0)
	v_cmp_ne_u64_e64 s21, s[36:37], v[36:37]
	s_delay_alu instid0(VALU_DEP_1) | instskip(SKIP_2) | instid1(VALU_DEP_2)
	v_cndmask_b32_e64 v41, 0x7fffffff, v37, s21
	v_cndmask_b32_e64 v40, -1, v36, s21
	v_cmp_gt_i64_e64 s21, 0, v[36:37]
	v_lshrrev_b64 v[40:41], s42, v[40:41]
	s_delay_alu instid0(VALU_DEP_2) | instskip(NEXT) | instid1(VALU_DEP_2)
	v_cndmask_b32_e64 v42, 0x7fffffff, 0, s21
	v_and_b32_e32 v2, s50, v40
	v_ashrrev_i32_e32 v40, 31, v37
	s_delay_alu instid0(VALU_DEP_3) | instskip(NEXT) | instid1(VALU_DEP_3)
	v_xor_b32_e32 v37, v42, v37
	v_lshlrev_b32_e32 v2, 2, v2
	s_delay_alu instid0(VALU_DEP_3) | instskip(SKIP_4) | instid1(VALU_DEP_1)
	v_not_b32_e32 v43, v40
	ds_load_b32 v2, v2
	v_xor_b32_e32 v36, v43, v36
	s_waitcnt lgkmcnt(0)
	v_add_nc_u32_e32 v2, v2, v84
	v_lshlrev_b64 v[40:41], 3, v[2:3]
	s_delay_alu instid0(VALU_DEP_1) | instskip(NEXT) | instid1(VALU_DEP_1)
	v_add_co_u32 v40, s21, s46, v40
	v_add_co_ci_u32_e64 v41, s21, s47, v41, s21
	global_store_b64 v[40:41], v[36:37], off
	s_or_b32 exec_lo, exec_lo, s22
	v_cmp_lt_u32_e64 s21, v85, v177
	s_delay_alu instid0(VALU_DEP_1)
	s_and_saveexec_b32 s23, s21
	s_cbranch_execnz .LBB1126_776
.LBB1126_791:                           ;   in Loop: Header=BB1126_690 Depth=2
	s_or_b32 exec_lo, exec_lo, s23
	v_cmp_lt_u32_e64 s22, v86, v177
	s_delay_alu instid0(VALU_DEP_1)
	s_and_saveexec_b32 s24, s22
	s_cbranch_execz .LBB1126_777
.LBB1126_792:                           ;   in Loop: Header=BB1126_690 Depth=2
	ds_load_b64 v[36:37], v110 offset:14336
	s_waitcnt lgkmcnt(0)
	v_cmp_ne_u64_e64 s23, s[36:37], v[36:37]
	s_delay_alu instid0(VALU_DEP_1) | instskip(SKIP_2) | instid1(VALU_DEP_2)
	v_cndmask_b32_e64 v41, 0x7fffffff, v37, s23
	v_cndmask_b32_e64 v40, -1, v36, s23
	v_cmp_gt_i64_e64 s23, 0, v[36:37]
	v_lshrrev_b64 v[40:41], s42, v[40:41]
	s_delay_alu instid0(VALU_DEP_2) | instskip(NEXT) | instid1(VALU_DEP_2)
	v_cndmask_b32_e64 v42, 0x7fffffff, 0, s23
	v_and_b32_e32 v2, s50, v40
	v_ashrrev_i32_e32 v40, 31, v37
	s_delay_alu instid0(VALU_DEP_3) | instskip(NEXT) | instid1(VALU_DEP_3)
	v_xor_b32_e32 v37, v42, v37
	v_lshlrev_b32_e32 v2, 2, v2
	s_delay_alu instid0(VALU_DEP_3) | instskip(SKIP_4) | instid1(VALU_DEP_1)
	v_not_b32_e32 v43, v40
	ds_load_b32 v2, v2
	v_xor_b32_e32 v36, v43, v36
	s_waitcnt lgkmcnt(0)
	v_add_nc_u32_e32 v2, v2, v86
	v_lshlrev_b64 v[40:41], 3, v[2:3]
	s_delay_alu instid0(VALU_DEP_1) | instskip(NEXT) | instid1(VALU_DEP_1)
	v_add_co_u32 v40, s23, s46, v40
	v_add_co_ci_u32_e64 v41, s23, s47, v41, s23
	global_store_b64 v[40:41], v[36:37], off
	s_or_b32 exec_lo, exec_lo, s24
	v_cmp_lt_u32_e64 s23, v87, v177
	s_delay_alu instid0(VALU_DEP_1)
	s_and_saveexec_b32 s25, s23
	s_cbranch_execnz .LBB1126_778
.LBB1126_793:                           ;   in Loop: Header=BB1126_690 Depth=2
	s_or_b32 exec_lo, exec_lo, s25
	v_cmp_lt_u32_e64 s24, v88, v177
	s_delay_alu instid0(VALU_DEP_1)
	s_and_saveexec_b32 s26, s24
	s_cbranch_execz .LBB1126_779
.LBB1126_794:                           ;   in Loop: Header=BB1126_690 Depth=2
	ds_load_b64 v[36:37], v110 offset:18432
	s_waitcnt lgkmcnt(0)
	v_cmp_ne_u64_e64 s25, s[36:37], v[36:37]
	s_delay_alu instid0(VALU_DEP_1) | instskip(SKIP_2) | instid1(VALU_DEP_2)
	v_cndmask_b32_e64 v41, 0x7fffffff, v37, s25
	v_cndmask_b32_e64 v40, -1, v36, s25
	v_cmp_gt_i64_e64 s25, 0, v[36:37]
	v_lshrrev_b64 v[40:41], s42, v[40:41]
	s_delay_alu instid0(VALU_DEP_2) | instskip(NEXT) | instid1(VALU_DEP_2)
	v_cndmask_b32_e64 v42, 0x7fffffff, 0, s25
	v_and_b32_e32 v2, s50, v40
	v_ashrrev_i32_e32 v40, 31, v37
	s_delay_alu instid0(VALU_DEP_3) | instskip(NEXT) | instid1(VALU_DEP_3)
	v_xor_b32_e32 v37, v42, v37
	v_lshlrev_b32_e32 v2, 2, v2
	s_delay_alu instid0(VALU_DEP_3) | instskip(SKIP_4) | instid1(VALU_DEP_1)
	v_not_b32_e32 v43, v40
	ds_load_b32 v2, v2
	v_xor_b32_e32 v36, v43, v36
	s_waitcnt lgkmcnt(0)
	v_add_nc_u32_e32 v2, v2, v88
	v_lshlrev_b64 v[40:41], 3, v[2:3]
	s_delay_alu instid0(VALU_DEP_1) | instskip(NEXT) | instid1(VALU_DEP_1)
	v_add_co_u32 v40, s25, s46, v40
	v_add_co_ci_u32_e64 v41, s25, s47, v41, s25
	global_store_b64 v[40:41], v[36:37], off
	s_or_b32 exec_lo, exec_lo, s26
	v_cmp_lt_u32_e64 s25, v89, v177
	s_delay_alu instid0(VALU_DEP_1)
	s_and_saveexec_b32 s27, s25
	s_cbranch_execnz .LBB1126_780
.LBB1126_795:                           ;   in Loop: Header=BB1126_690 Depth=2
	s_or_b32 exec_lo, exec_lo, s27
	v_cmp_lt_u32_e64 s26, v90, v177
	s_delay_alu instid0(VALU_DEP_1)
	s_and_saveexec_b32 s28, s26
	s_cbranch_execz .LBB1126_781
.LBB1126_796:                           ;   in Loop: Header=BB1126_690 Depth=2
	ds_load_b64 v[36:37], v110 offset:22528
	s_waitcnt lgkmcnt(0)
	v_cmp_ne_u64_e64 s27, s[36:37], v[36:37]
	s_delay_alu instid0(VALU_DEP_1) | instskip(SKIP_2) | instid1(VALU_DEP_2)
	v_cndmask_b32_e64 v41, 0x7fffffff, v37, s27
	v_cndmask_b32_e64 v40, -1, v36, s27
	v_cmp_gt_i64_e64 s27, 0, v[36:37]
	v_lshrrev_b64 v[40:41], s42, v[40:41]
	s_delay_alu instid0(VALU_DEP_2) | instskip(NEXT) | instid1(VALU_DEP_2)
	v_cndmask_b32_e64 v42, 0x7fffffff, 0, s27
	v_and_b32_e32 v2, s50, v40
	v_ashrrev_i32_e32 v40, 31, v37
	s_delay_alu instid0(VALU_DEP_3) | instskip(NEXT) | instid1(VALU_DEP_3)
	v_xor_b32_e32 v37, v42, v37
	v_lshlrev_b32_e32 v2, 2, v2
	s_delay_alu instid0(VALU_DEP_3) | instskip(SKIP_4) | instid1(VALU_DEP_1)
	v_not_b32_e32 v43, v40
	ds_load_b32 v2, v2
	v_xor_b32_e32 v36, v43, v36
	s_waitcnt lgkmcnt(0)
	v_add_nc_u32_e32 v2, v2, v90
	v_lshlrev_b64 v[40:41], 3, v[2:3]
	s_delay_alu instid0(VALU_DEP_1) | instskip(NEXT) | instid1(VALU_DEP_1)
	v_add_co_u32 v40, s27, s46, v40
	v_add_co_ci_u32_e64 v41, s27, s47, v41, s27
	global_store_b64 v[40:41], v[36:37], off
	s_or_b32 exec_lo, exec_lo, s28
	v_cmp_lt_u32_e64 s27, v91, v177
	s_delay_alu instid0(VALU_DEP_1)
	s_and_saveexec_b32 s29, s27
	s_cbranch_execnz .LBB1126_782
.LBB1126_797:                           ;   in Loop: Header=BB1126_690 Depth=2
	s_or_b32 exec_lo, exec_lo, s29
	v_cmp_lt_u32_e64 s28, v92, v177
	s_delay_alu instid0(VALU_DEP_1)
	s_and_saveexec_b32 s30, s28
	s_cbranch_execz .LBB1126_783
.LBB1126_798:                           ;   in Loop: Header=BB1126_690 Depth=2
	ds_load_b64 v[36:37], v110 offset:26624
	s_waitcnt lgkmcnt(0)
	v_cmp_ne_u64_e64 s29, s[36:37], v[36:37]
	s_delay_alu instid0(VALU_DEP_1) | instskip(SKIP_2) | instid1(VALU_DEP_2)
	v_cndmask_b32_e64 v41, 0x7fffffff, v37, s29
	v_cndmask_b32_e64 v40, -1, v36, s29
	v_cmp_gt_i64_e64 s29, 0, v[36:37]
	v_lshrrev_b64 v[40:41], s42, v[40:41]
	s_delay_alu instid0(VALU_DEP_2) | instskip(NEXT) | instid1(VALU_DEP_2)
	v_cndmask_b32_e64 v42, 0x7fffffff, 0, s29
	v_and_b32_e32 v2, s50, v40
	v_ashrrev_i32_e32 v40, 31, v37
	s_delay_alu instid0(VALU_DEP_3) | instskip(NEXT) | instid1(VALU_DEP_3)
	v_xor_b32_e32 v37, v42, v37
	v_lshlrev_b32_e32 v2, 2, v2
	s_delay_alu instid0(VALU_DEP_3) | instskip(SKIP_4) | instid1(VALU_DEP_1)
	v_not_b32_e32 v43, v40
	ds_load_b32 v2, v2
	v_xor_b32_e32 v36, v43, v36
	s_waitcnt lgkmcnt(0)
	v_add_nc_u32_e32 v2, v2, v92
	v_lshlrev_b64 v[40:41], 3, v[2:3]
	s_delay_alu instid0(VALU_DEP_1) | instskip(NEXT) | instid1(VALU_DEP_1)
	v_add_co_u32 v40, s29, s46, v40
	v_add_co_ci_u32_e64 v41, s29, s47, v41, s29
	global_store_b64 v[40:41], v[36:37], off
	s_or_b32 exec_lo, exec_lo, s30
	v_cmp_lt_u32_e64 s29, v93, v177
	s_delay_alu instid0(VALU_DEP_1)
	s_and_saveexec_b32 s31, s29
	s_cbranch_execnz .LBB1126_784
.LBB1126_799:                           ;   in Loop: Header=BB1126_690 Depth=2
	s_or_b32 exec_lo, exec_lo, s31
	v_cmp_lt_u32_e64 s30, v95, v177
	s_delay_alu instid0(VALU_DEP_1)
	s_and_saveexec_b32 s41, s30
	s_cbranch_execz .LBB1126_801
.LBB1126_800:                           ;   in Loop: Header=BB1126_690 Depth=2
	ds_load_b64 v[36:37], v110 offset:30720
	s_waitcnt lgkmcnt(0)
	v_cmp_ne_u64_e64 s31, s[36:37], v[36:37]
	s_delay_alu instid0(VALU_DEP_1) | instskip(SKIP_2) | instid1(VALU_DEP_2)
	v_cndmask_b32_e64 v41, 0x7fffffff, v37, s31
	v_cndmask_b32_e64 v40, -1, v36, s31
	v_cmp_gt_i64_e64 s31, 0, v[36:37]
	v_lshrrev_b64 v[40:41], s42, v[40:41]
	s_delay_alu instid0(VALU_DEP_2) | instskip(NEXT) | instid1(VALU_DEP_2)
	v_cndmask_b32_e64 v42, 0x7fffffff, 0, s31
	v_and_b32_e32 v2, s50, v40
	v_ashrrev_i32_e32 v40, 31, v37
	s_delay_alu instid0(VALU_DEP_3) | instskip(NEXT) | instid1(VALU_DEP_3)
	v_xor_b32_e32 v37, v42, v37
	v_lshlrev_b32_e32 v2, 2, v2
	s_delay_alu instid0(VALU_DEP_3) | instskip(SKIP_4) | instid1(VALU_DEP_1)
	v_not_b32_e32 v43, v40
	ds_load_b32 v2, v2
	v_xor_b32_e32 v36, v43, v36
	s_waitcnt lgkmcnt(0)
	v_add_nc_u32_e32 v2, v2, v95
	v_lshlrev_b64 v[40:41], 3, v[2:3]
	s_delay_alu instid0(VALU_DEP_1) | instskip(NEXT) | instid1(VALU_DEP_1)
	v_add_co_u32 v40, s31, s46, v40
	v_add_co_ci_u32_e64 v41, s31, s47, v41, s31
	global_store_b64 v[40:41], v[36:37], off
.LBB1126_801:                           ;   in Loop: Header=BB1126_690 Depth=2
	s_or_b32 exec_lo, exec_lo, s41
	s_mov_b32 s41, s36
	s_delay_alu instid0(SALU_CYCLE_1) | instskip(NEXT) | instid1(SALU_CYCLE_1)
	s_lshl_b64 s[40:41], s[40:41], 3
	v_add_co_u32 v36, s31, v139, s40
	s_delay_alu instid0(VALU_DEP_1) | instskip(SKIP_1) | instid1(VALU_DEP_1)
	v_add_co_ci_u32_e64 v37, s31, s41, v140, s31
	v_cmp_lt_u32_e64 s31, v138, v177
	s_and_saveexec_b32 s40, s31
	s_delay_alu instid0(SALU_CYCLE_1)
	s_xor_b32 s31, exec_lo, s40
	s_cbranch_execz .LBB1126_833
; %bb.802:                              ;   in Loop: Header=BB1126_690 Depth=2
	global_load_b64 v[34:35], v[36:37], off
	s_or_b32 exec_lo, exec_lo, s31
	s_delay_alu instid0(SALU_CYCLE_1)
	s_mov_b32 s40, exec_lo
	v_cmpx_lt_u32_e64 v141, v177
	s_cbranch_execnz .LBB1126_834
.LBB1126_803:                           ;   in Loop: Header=BB1126_690 Depth=2
	s_or_b32 exec_lo, exec_lo, s40
	s_delay_alu instid0(SALU_CYCLE_1)
	s_mov_b32 s40, exec_lo
	v_cmpx_lt_u32_e64 v142, v177
	s_cbranch_execz .LBB1126_835
.LBB1126_804:                           ;   in Loop: Header=BB1126_690 Depth=2
	global_load_b64 v[30:31], v[36:37], off offset:512
	s_or_b32 exec_lo, exec_lo, s40
	s_delay_alu instid0(SALU_CYCLE_1)
	s_mov_b32 s40, exec_lo
	v_cmpx_lt_u32_e64 v143, v177
	s_cbranch_execnz .LBB1126_836
.LBB1126_805:                           ;   in Loop: Header=BB1126_690 Depth=2
	s_or_b32 exec_lo, exec_lo, s40
	s_delay_alu instid0(SALU_CYCLE_1)
	s_mov_b32 s40, exec_lo
	v_cmpx_lt_u32_e64 v144, v177
	s_cbranch_execz .LBB1126_837
.LBB1126_806:                           ;   in Loop: Header=BB1126_690 Depth=2
	global_load_b64 v[26:27], v[36:37], off offset:1024
	s_or_b32 exec_lo, exec_lo, s40
	s_delay_alu instid0(SALU_CYCLE_1)
	s_mov_b32 s40, exec_lo
	v_cmpx_lt_u32_e64 v145, v177
	s_cbranch_execnz .LBB1126_838
.LBB1126_807:                           ;   in Loop: Header=BB1126_690 Depth=2
	s_or_b32 exec_lo, exec_lo, s40
	s_delay_alu instid0(SALU_CYCLE_1)
	s_mov_b32 s40, exec_lo
	v_cmpx_lt_u32_e64 v146, v177
	s_cbranch_execz .LBB1126_839
.LBB1126_808:                           ;   in Loop: Header=BB1126_690 Depth=2
	global_load_b64 v[22:23], v[36:37], off offset:1536
	s_or_b32 exec_lo, exec_lo, s40
	s_delay_alu instid0(SALU_CYCLE_1)
	s_mov_b32 s40, exec_lo
	v_cmpx_lt_u32_e64 v147, v177
	s_cbranch_execnz .LBB1126_840
.LBB1126_809:                           ;   in Loop: Header=BB1126_690 Depth=2
	s_or_b32 exec_lo, exec_lo, s40
	s_delay_alu instid0(SALU_CYCLE_1)
	s_mov_b32 s40, exec_lo
	v_cmpx_lt_u32_e64 v148, v177
	s_cbranch_execz .LBB1126_841
.LBB1126_810:                           ;   in Loop: Header=BB1126_690 Depth=2
	global_load_b64 v[18:19], v[36:37], off offset:2048
	s_or_b32 exec_lo, exec_lo, s40
	s_delay_alu instid0(SALU_CYCLE_1)
	s_mov_b32 s40, exec_lo
	v_cmpx_lt_u32_e64 v149, v177
	s_cbranch_execnz .LBB1126_842
.LBB1126_811:                           ;   in Loop: Header=BB1126_690 Depth=2
	s_or_b32 exec_lo, exec_lo, s40
	s_delay_alu instid0(SALU_CYCLE_1)
	s_mov_b32 s40, exec_lo
	v_cmpx_lt_u32_e64 v150, v177
	s_cbranch_execz .LBB1126_843
.LBB1126_812:                           ;   in Loop: Header=BB1126_690 Depth=2
	global_load_b64 v[14:15], v[36:37], off offset:2560
	s_or_b32 exec_lo, exec_lo, s40
	s_delay_alu instid0(SALU_CYCLE_1)
	s_mov_b32 s40, exec_lo
	v_cmpx_lt_u32_e64 v151, v177
	s_cbranch_execnz .LBB1126_844
.LBB1126_813:                           ;   in Loop: Header=BB1126_690 Depth=2
	s_or_b32 exec_lo, exec_lo, s40
	s_delay_alu instid0(SALU_CYCLE_1)
	s_mov_b32 s40, exec_lo
	v_cmpx_lt_u32_e64 v152, v177
	s_cbranch_execz .LBB1126_845
.LBB1126_814:                           ;   in Loop: Header=BB1126_690 Depth=2
	global_load_b64 v[10:11], v[36:37], off offset:3072
	s_or_b32 exec_lo, exec_lo, s40
	s_delay_alu instid0(SALU_CYCLE_1)
	s_mov_b32 s40, exec_lo
	v_cmpx_lt_u32_e64 v153, v177
	s_cbranch_execnz .LBB1126_846
.LBB1126_815:                           ;   in Loop: Header=BB1126_690 Depth=2
	s_or_b32 exec_lo, exec_lo, s40
	s_delay_alu instid0(SALU_CYCLE_1)
	s_mov_b32 s40, exec_lo
	v_cmpx_lt_u32_e64 v154, v177
	s_cbranch_execz .LBB1126_847
.LBB1126_816:                           ;   in Loop: Header=BB1126_690 Depth=2
	global_load_b64 v[6:7], v[36:37], off offset:3584
	s_or_b32 exec_lo, exec_lo, s40
	s_delay_alu instid0(SALU_CYCLE_1)
	s_mov_b32 s40, exec_lo
	v_cmpx_lt_u32_e64 v155, v177
	s_cbranch_execnz .LBB1126_848
.LBB1126_817:                           ;   in Loop: Header=BB1126_690 Depth=2
	s_or_b32 exec_lo, exec_lo, s40
	s_and_saveexec_b32 s40, vcc_lo
	s_cbranch_execz .LBB1126_849
.LBB1126_818:                           ;   in Loop: Header=BB1126_690 Depth=2
	v_add_nc_u32_e32 v2, v104, v76
	ds_load_b64 v[36:37], v2 offset:1024
	s_waitcnt lgkmcnt(0)
	v_cmp_ne_u64_e64 s31, s[36:37], v[36:37]
	s_delay_alu instid0(VALU_DEP_1) | instskip(SKIP_1) | instid1(VALU_DEP_1)
	v_cndmask_b32_e64 v37, 0x7fffffff, v37, s31
	v_cndmask_b32_e64 v36, -1, v36, s31
	v_lshrrev_b64 v[36:37], s42, v[36:37]
	s_delay_alu instid0(VALU_DEP_1)
	v_and_b32_e32 v176, s50, v36
	s_or_b32 exec_lo, exec_lo, s40
	s_and_saveexec_b32 s40, s16
	s_cbranch_execnz .LBB1126_850
.LBB1126_819:                           ;   in Loop: Header=BB1126_690 Depth=2
	s_or_b32 exec_lo, exec_lo, s40
	s_and_saveexec_b32 s40, s17
	s_cbranch_execz .LBB1126_851
.LBB1126_820:                           ;   in Loop: Header=BB1126_690 Depth=2
	ds_load_b64 v[36:37], v110 offset:4096
	s_waitcnt lgkmcnt(0)
	v_cmp_ne_u64_e64 s31, s[36:37], v[36:37]
	s_delay_alu instid0(VALU_DEP_1) | instskip(SKIP_1) | instid1(VALU_DEP_1)
	v_cndmask_b32_e64 v37, 0x7fffffff, v37, s31
	v_cndmask_b32_e64 v36, -1, v36, s31
	v_lshrrev_b64 v[36:37], s42, v[36:37]
	s_delay_alu instid0(VALU_DEP_1)
	v_and_b32_e32 v174, s50, v36
	s_or_b32 exec_lo, exec_lo, s40
	s_and_saveexec_b32 s40, s18
	s_cbranch_execnz .LBB1126_852
.LBB1126_821:                           ;   in Loop: Header=BB1126_690 Depth=2
	s_or_b32 exec_lo, exec_lo, s40
	s_and_saveexec_b32 s40, s19
	s_cbranch_execz .LBB1126_853
.LBB1126_822:                           ;   in Loop: Header=BB1126_690 Depth=2
	ds_load_b64 v[36:37], v110 offset:8192
	s_waitcnt lgkmcnt(0)
	v_cmp_ne_u64_e64 s31, s[36:37], v[36:37]
	s_delay_alu instid0(VALU_DEP_1) | instskip(SKIP_1) | instid1(VALU_DEP_1)
	v_cndmask_b32_e64 v37, 0x7fffffff, v37, s31
	v_cndmask_b32_e64 v36, -1, v36, s31
	v_lshrrev_b64 v[36:37], s42, v[36:37]
	s_delay_alu instid0(VALU_DEP_1)
	v_and_b32_e32 v172, s50, v36
	s_or_b32 exec_lo, exec_lo, s40
	s_and_saveexec_b32 s40, s20
	s_cbranch_execnz .LBB1126_854
.LBB1126_823:                           ;   in Loop: Header=BB1126_690 Depth=2
	s_or_b32 exec_lo, exec_lo, s40
	s_and_saveexec_b32 s40, s21
	s_cbranch_execz .LBB1126_855
.LBB1126_824:                           ;   in Loop: Header=BB1126_690 Depth=2
	ds_load_b64 v[36:37], v110 offset:12288
	s_waitcnt lgkmcnt(0)
	v_cmp_ne_u64_e64 s31, s[36:37], v[36:37]
	s_delay_alu instid0(VALU_DEP_1) | instskip(SKIP_1) | instid1(VALU_DEP_1)
	v_cndmask_b32_e64 v37, 0x7fffffff, v37, s31
	v_cndmask_b32_e64 v36, -1, v36, s31
	v_lshrrev_b64 v[36:37], s42, v[36:37]
	s_delay_alu instid0(VALU_DEP_1)
	v_and_b32_e32 v170, s50, v36
	s_or_b32 exec_lo, exec_lo, s40
	s_and_saveexec_b32 s40, s22
	s_cbranch_execnz .LBB1126_856
.LBB1126_825:                           ;   in Loop: Header=BB1126_690 Depth=2
	s_or_b32 exec_lo, exec_lo, s40
	s_and_saveexec_b32 s40, s23
	s_cbranch_execz .LBB1126_857
.LBB1126_826:                           ;   in Loop: Header=BB1126_690 Depth=2
	ds_load_b64 v[36:37], v110 offset:16384
	s_waitcnt lgkmcnt(0)
	v_cmp_ne_u64_e64 s31, s[36:37], v[36:37]
	s_delay_alu instid0(VALU_DEP_1) | instskip(SKIP_1) | instid1(VALU_DEP_1)
	v_cndmask_b32_e64 v37, 0x7fffffff, v37, s31
	v_cndmask_b32_e64 v36, -1, v36, s31
	v_lshrrev_b64 v[36:37], s42, v[36:37]
	s_delay_alu instid0(VALU_DEP_1)
	v_and_b32_e32 v168, s50, v36
	s_or_b32 exec_lo, exec_lo, s40
	s_and_saveexec_b32 s40, s24
	s_cbranch_execnz .LBB1126_858
.LBB1126_827:                           ;   in Loop: Header=BB1126_690 Depth=2
	s_or_b32 exec_lo, exec_lo, s40
	s_and_saveexec_b32 s40, s25
	s_cbranch_execz .LBB1126_859
.LBB1126_828:                           ;   in Loop: Header=BB1126_690 Depth=2
	ds_load_b64 v[36:37], v110 offset:20480
	s_waitcnt lgkmcnt(0)
	v_cmp_ne_u64_e64 s31, s[36:37], v[36:37]
	s_delay_alu instid0(VALU_DEP_1) | instskip(SKIP_1) | instid1(VALU_DEP_1)
	v_cndmask_b32_e64 v37, 0x7fffffff, v37, s31
	v_cndmask_b32_e64 v36, -1, v36, s31
	v_lshrrev_b64 v[36:37], s42, v[36:37]
	s_delay_alu instid0(VALU_DEP_1)
	v_and_b32_e32 v166, s50, v36
	s_or_b32 exec_lo, exec_lo, s40
	s_and_saveexec_b32 s40, s26
	s_cbranch_execnz .LBB1126_860
.LBB1126_829:                           ;   in Loop: Header=BB1126_690 Depth=2
	s_or_b32 exec_lo, exec_lo, s40
	s_and_saveexec_b32 s40, s27
	s_cbranch_execz .LBB1126_861
.LBB1126_830:                           ;   in Loop: Header=BB1126_690 Depth=2
	ds_load_b64 v[36:37], v110 offset:24576
	s_waitcnt lgkmcnt(0)
	v_cmp_ne_u64_e64 s31, s[36:37], v[36:37]
	s_delay_alu instid0(VALU_DEP_1) | instskip(SKIP_1) | instid1(VALU_DEP_1)
	v_cndmask_b32_e64 v37, 0x7fffffff, v37, s31
	v_cndmask_b32_e64 v36, -1, v36, s31
	v_lshrrev_b64 v[36:37], s42, v[36:37]
	s_delay_alu instid0(VALU_DEP_1)
	v_and_b32_e32 v164, s50, v36
	s_or_b32 exec_lo, exec_lo, s40
	s_and_saveexec_b32 s40, s28
	s_cbranch_execnz .LBB1126_862
.LBB1126_831:                           ;   in Loop: Header=BB1126_690 Depth=2
	s_or_b32 exec_lo, exec_lo, s40
	s_and_saveexec_b32 s40, s29
	s_cbranch_execz .LBB1126_863
.LBB1126_832:                           ;   in Loop: Header=BB1126_690 Depth=2
	ds_load_b64 v[36:37], v110 offset:28672
	s_waitcnt lgkmcnt(0)
	v_cmp_ne_u64_e64 s31, s[36:37], v[36:37]
	s_delay_alu instid0(VALU_DEP_1) | instskip(SKIP_1) | instid1(VALU_DEP_1)
	v_cndmask_b32_e64 v37, 0x7fffffff, v37, s31
	v_cndmask_b32_e64 v36, -1, v36, s31
	v_lshrrev_b64 v[36:37], s42, v[36:37]
	s_delay_alu instid0(VALU_DEP_1)
	v_and_b32_e32 v162, s50, v36
	s_or_b32 exec_lo, exec_lo, s40
	s_and_saveexec_b32 s40, s30
	s_cbranch_execnz .LBB1126_864
	s_branch .LBB1126_865
.LBB1126_833:                           ;   in Loop: Header=BB1126_690 Depth=2
	s_or_b32 exec_lo, exec_lo, s31
	s_delay_alu instid0(SALU_CYCLE_1)
	s_mov_b32 s40, exec_lo
	v_cmpx_lt_u32_e64 v141, v177
	s_cbranch_execz .LBB1126_803
.LBB1126_834:                           ;   in Loop: Header=BB1126_690 Depth=2
	global_load_b64 v[32:33], v[36:37], off offset:256
	s_or_b32 exec_lo, exec_lo, s40
	s_delay_alu instid0(SALU_CYCLE_1)
	s_mov_b32 s40, exec_lo
	v_cmpx_lt_u32_e64 v142, v177
	s_cbranch_execnz .LBB1126_804
.LBB1126_835:                           ;   in Loop: Header=BB1126_690 Depth=2
	s_or_b32 exec_lo, exec_lo, s40
	s_delay_alu instid0(SALU_CYCLE_1)
	s_mov_b32 s40, exec_lo
	v_cmpx_lt_u32_e64 v143, v177
	s_cbranch_execz .LBB1126_805
.LBB1126_836:                           ;   in Loop: Header=BB1126_690 Depth=2
	global_load_b64 v[28:29], v[36:37], off offset:768
	s_or_b32 exec_lo, exec_lo, s40
	s_delay_alu instid0(SALU_CYCLE_1)
	s_mov_b32 s40, exec_lo
	v_cmpx_lt_u32_e64 v144, v177
	s_cbranch_execnz .LBB1126_806
.LBB1126_837:                           ;   in Loop: Header=BB1126_690 Depth=2
	s_or_b32 exec_lo, exec_lo, s40
	s_delay_alu instid0(SALU_CYCLE_1)
	s_mov_b32 s40, exec_lo
	v_cmpx_lt_u32_e64 v145, v177
	s_cbranch_execz .LBB1126_807
.LBB1126_838:                           ;   in Loop: Header=BB1126_690 Depth=2
	global_load_b64 v[24:25], v[36:37], off offset:1280
	s_or_b32 exec_lo, exec_lo, s40
	s_delay_alu instid0(SALU_CYCLE_1)
	s_mov_b32 s40, exec_lo
	v_cmpx_lt_u32_e64 v146, v177
	s_cbranch_execnz .LBB1126_808
.LBB1126_839:                           ;   in Loop: Header=BB1126_690 Depth=2
	s_or_b32 exec_lo, exec_lo, s40
	s_delay_alu instid0(SALU_CYCLE_1)
	s_mov_b32 s40, exec_lo
	v_cmpx_lt_u32_e64 v147, v177
	s_cbranch_execz .LBB1126_809
.LBB1126_840:                           ;   in Loop: Header=BB1126_690 Depth=2
	global_load_b64 v[20:21], v[36:37], off offset:1792
	s_or_b32 exec_lo, exec_lo, s40
	s_delay_alu instid0(SALU_CYCLE_1)
	s_mov_b32 s40, exec_lo
	v_cmpx_lt_u32_e64 v148, v177
	s_cbranch_execnz .LBB1126_810
.LBB1126_841:                           ;   in Loop: Header=BB1126_690 Depth=2
	s_or_b32 exec_lo, exec_lo, s40
	s_delay_alu instid0(SALU_CYCLE_1)
	s_mov_b32 s40, exec_lo
	v_cmpx_lt_u32_e64 v149, v177
	s_cbranch_execz .LBB1126_811
.LBB1126_842:                           ;   in Loop: Header=BB1126_690 Depth=2
	global_load_b64 v[16:17], v[36:37], off offset:2304
	s_or_b32 exec_lo, exec_lo, s40
	s_delay_alu instid0(SALU_CYCLE_1)
	s_mov_b32 s40, exec_lo
	v_cmpx_lt_u32_e64 v150, v177
	s_cbranch_execnz .LBB1126_812
.LBB1126_843:                           ;   in Loop: Header=BB1126_690 Depth=2
	s_or_b32 exec_lo, exec_lo, s40
	s_delay_alu instid0(SALU_CYCLE_1)
	s_mov_b32 s40, exec_lo
	v_cmpx_lt_u32_e64 v151, v177
	s_cbranch_execz .LBB1126_813
.LBB1126_844:                           ;   in Loop: Header=BB1126_690 Depth=2
	global_load_b64 v[12:13], v[36:37], off offset:2816
	s_or_b32 exec_lo, exec_lo, s40
	s_delay_alu instid0(SALU_CYCLE_1)
	s_mov_b32 s40, exec_lo
	v_cmpx_lt_u32_e64 v152, v177
	s_cbranch_execnz .LBB1126_814
.LBB1126_845:                           ;   in Loop: Header=BB1126_690 Depth=2
	s_or_b32 exec_lo, exec_lo, s40
	s_delay_alu instid0(SALU_CYCLE_1)
	s_mov_b32 s40, exec_lo
	v_cmpx_lt_u32_e64 v153, v177
	s_cbranch_execz .LBB1126_815
.LBB1126_846:                           ;   in Loop: Header=BB1126_690 Depth=2
	global_load_b64 v[8:9], v[36:37], off offset:3328
	s_or_b32 exec_lo, exec_lo, s40
	s_delay_alu instid0(SALU_CYCLE_1)
	s_mov_b32 s40, exec_lo
	v_cmpx_lt_u32_e64 v154, v177
	s_cbranch_execnz .LBB1126_816
.LBB1126_847:                           ;   in Loop: Header=BB1126_690 Depth=2
	s_or_b32 exec_lo, exec_lo, s40
	s_delay_alu instid0(SALU_CYCLE_1)
	s_mov_b32 s40, exec_lo
	v_cmpx_lt_u32_e64 v155, v177
	s_cbranch_execz .LBB1126_817
.LBB1126_848:                           ;   in Loop: Header=BB1126_690 Depth=2
	global_load_b64 v[4:5], v[36:37], off offset:3840
	s_or_b32 exec_lo, exec_lo, s40
	s_and_saveexec_b32 s40, vcc_lo
	s_cbranch_execnz .LBB1126_818
.LBB1126_849:                           ;   in Loop: Header=BB1126_690 Depth=2
	s_or_b32 exec_lo, exec_lo, s40
	s_and_saveexec_b32 s40, s16
	s_cbranch_execz .LBB1126_819
.LBB1126_850:                           ;   in Loop: Header=BB1126_690 Depth=2
	ds_load_b64 v[36:37], v110 offset:2048
	s_waitcnt lgkmcnt(0)
	v_cmp_ne_u64_e64 s31, s[36:37], v[36:37]
	s_delay_alu instid0(VALU_DEP_1) | instskip(SKIP_1) | instid1(VALU_DEP_1)
	v_cndmask_b32_e64 v37, 0x7fffffff, v37, s31
	v_cndmask_b32_e64 v36, -1, v36, s31
	v_lshrrev_b64 v[36:37], s42, v[36:37]
	s_delay_alu instid0(VALU_DEP_1)
	v_and_b32_e32 v175, s50, v36
	s_or_b32 exec_lo, exec_lo, s40
	s_and_saveexec_b32 s40, s17
	s_cbranch_execnz .LBB1126_820
.LBB1126_851:                           ;   in Loop: Header=BB1126_690 Depth=2
	s_or_b32 exec_lo, exec_lo, s40
	s_and_saveexec_b32 s40, s18
	s_cbranch_execz .LBB1126_821
.LBB1126_852:                           ;   in Loop: Header=BB1126_690 Depth=2
	ds_load_b64 v[36:37], v110 offset:6144
	s_waitcnt lgkmcnt(0)
	v_cmp_ne_u64_e64 s31, s[36:37], v[36:37]
	s_delay_alu instid0(VALU_DEP_1) | instskip(SKIP_1) | instid1(VALU_DEP_1)
	v_cndmask_b32_e64 v37, 0x7fffffff, v37, s31
	v_cndmask_b32_e64 v36, -1, v36, s31
	v_lshrrev_b64 v[36:37], s42, v[36:37]
	s_delay_alu instid0(VALU_DEP_1)
	v_and_b32_e32 v173, s50, v36
	s_or_b32 exec_lo, exec_lo, s40
	s_and_saveexec_b32 s40, s19
	s_cbranch_execnz .LBB1126_822
.LBB1126_853:                           ;   in Loop: Header=BB1126_690 Depth=2
	s_or_b32 exec_lo, exec_lo, s40
	s_and_saveexec_b32 s40, s20
	s_cbranch_execz .LBB1126_823
.LBB1126_854:                           ;   in Loop: Header=BB1126_690 Depth=2
	ds_load_b64 v[36:37], v110 offset:10240
	s_waitcnt lgkmcnt(0)
	v_cmp_ne_u64_e64 s31, s[36:37], v[36:37]
	s_delay_alu instid0(VALU_DEP_1) | instskip(SKIP_1) | instid1(VALU_DEP_1)
	v_cndmask_b32_e64 v37, 0x7fffffff, v37, s31
	v_cndmask_b32_e64 v36, -1, v36, s31
	v_lshrrev_b64 v[36:37], s42, v[36:37]
	s_delay_alu instid0(VALU_DEP_1)
	v_and_b32_e32 v171, s50, v36
	s_or_b32 exec_lo, exec_lo, s40
	s_and_saveexec_b32 s40, s21
	s_cbranch_execnz .LBB1126_824
.LBB1126_855:                           ;   in Loop: Header=BB1126_690 Depth=2
	s_or_b32 exec_lo, exec_lo, s40
	s_and_saveexec_b32 s40, s22
	s_cbranch_execz .LBB1126_825
.LBB1126_856:                           ;   in Loop: Header=BB1126_690 Depth=2
	ds_load_b64 v[36:37], v110 offset:14336
	s_waitcnt lgkmcnt(0)
	v_cmp_ne_u64_e64 s31, s[36:37], v[36:37]
	s_delay_alu instid0(VALU_DEP_1) | instskip(SKIP_1) | instid1(VALU_DEP_1)
	v_cndmask_b32_e64 v37, 0x7fffffff, v37, s31
	v_cndmask_b32_e64 v36, -1, v36, s31
	v_lshrrev_b64 v[36:37], s42, v[36:37]
	s_delay_alu instid0(VALU_DEP_1)
	v_and_b32_e32 v169, s50, v36
	s_or_b32 exec_lo, exec_lo, s40
	s_and_saveexec_b32 s40, s23
	s_cbranch_execnz .LBB1126_826
.LBB1126_857:                           ;   in Loop: Header=BB1126_690 Depth=2
	s_or_b32 exec_lo, exec_lo, s40
	s_and_saveexec_b32 s40, s24
	s_cbranch_execz .LBB1126_827
.LBB1126_858:                           ;   in Loop: Header=BB1126_690 Depth=2
	ds_load_b64 v[36:37], v110 offset:18432
	s_waitcnt lgkmcnt(0)
	v_cmp_ne_u64_e64 s31, s[36:37], v[36:37]
	s_delay_alu instid0(VALU_DEP_1) | instskip(SKIP_1) | instid1(VALU_DEP_1)
	v_cndmask_b32_e64 v37, 0x7fffffff, v37, s31
	v_cndmask_b32_e64 v36, -1, v36, s31
	v_lshrrev_b64 v[36:37], s42, v[36:37]
	s_delay_alu instid0(VALU_DEP_1)
	v_and_b32_e32 v167, s50, v36
	s_or_b32 exec_lo, exec_lo, s40
	s_and_saveexec_b32 s40, s25
	s_cbranch_execnz .LBB1126_828
.LBB1126_859:                           ;   in Loop: Header=BB1126_690 Depth=2
	s_or_b32 exec_lo, exec_lo, s40
	s_and_saveexec_b32 s40, s26
	s_cbranch_execz .LBB1126_829
.LBB1126_860:                           ;   in Loop: Header=BB1126_690 Depth=2
	ds_load_b64 v[36:37], v110 offset:22528
	s_waitcnt lgkmcnt(0)
	v_cmp_ne_u64_e64 s31, s[36:37], v[36:37]
	s_delay_alu instid0(VALU_DEP_1) | instskip(SKIP_1) | instid1(VALU_DEP_1)
	v_cndmask_b32_e64 v37, 0x7fffffff, v37, s31
	v_cndmask_b32_e64 v36, -1, v36, s31
	v_lshrrev_b64 v[36:37], s42, v[36:37]
	s_delay_alu instid0(VALU_DEP_1)
	v_and_b32_e32 v165, s50, v36
	s_or_b32 exec_lo, exec_lo, s40
	s_and_saveexec_b32 s40, s27
	s_cbranch_execnz .LBB1126_830
.LBB1126_861:                           ;   in Loop: Header=BB1126_690 Depth=2
	s_or_b32 exec_lo, exec_lo, s40
	s_and_saveexec_b32 s40, s28
	s_cbranch_execz .LBB1126_831
.LBB1126_862:                           ;   in Loop: Header=BB1126_690 Depth=2
	ds_load_b64 v[36:37], v110 offset:26624
	s_waitcnt lgkmcnt(0)
	v_cmp_ne_u64_e64 s31, s[36:37], v[36:37]
	s_delay_alu instid0(VALU_DEP_1) | instskip(SKIP_1) | instid1(VALU_DEP_1)
	v_cndmask_b32_e64 v37, 0x7fffffff, v37, s31
	v_cndmask_b32_e64 v36, -1, v36, s31
	v_lshrrev_b64 v[36:37], s42, v[36:37]
	s_delay_alu instid0(VALU_DEP_1)
	v_and_b32_e32 v163, s50, v36
	s_or_b32 exec_lo, exec_lo, s40
	s_and_saveexec_b32 s40, s29
	s_cbranch_execnz .LBB1126_832
.LBB1126_863:                           ;   in Loop: Header=BB1126_690 Depth=2
	s_or_b32 exec_lo, exec_lo, s40
	s_and_saveexec_b32 s40, s30
	s_cbranch_execz .LBB1126_865
.LBB1126_864:                           ;   in Loop: Header=BB1126_690 Depth=2
	ds_load_b64 v[36:37], v110 offset:30720
	s_waitcnt lgkmcnt(0)
	v_cmp_ne_u64_e64 s31, s[36:37], v[36:37]
	s_delay_alu instid0(VALU_DEP_1) | instskip(SKIP_1) | instid1(VALU_DEP_1)
	v_cndmask_b32_e64 v37, 0x7fffffff, v37, s31
	v_cndmask_b32_e64 v36, -1, v36, s31
	v_lshrrev_b64 v[36:37], s42, v[36:37]
	s_delay_alu instid0(VALU_DEP_1)
	v_and_b32_e32 v161, s50, v36
.LBB1126_865:                           ;   in Loop: Header=BB1126_690 Depth=2
	s_or_b32 exec_lo, exec_lo, s40
	v_add_nc_u32_e32 v2, 0x400, v69
	v_add_nc_u32_e32 v36, 0x400, v70
	;; [unrolled: 1-line block ×16, first 2 shown]
	s_waitcnt vmcnt(0)
	s_waitcnt_vscnt null, 0x0
	s_barrier
	buffer_gl0_inv
	ds_store_b64 v2, v[34:35]
	ds_store_b64 v36, v[32:33]
	;; [unrolled: 1-line block ×16, first 2 shown]
	s_waitcnt lgkmcnt(0)
	s_barrier
	buffer_gl0_inv
	s_and_saveexec_b32 s31, vcc_lo
	s_cbranch_execz .LBB1126_881
; %bb.866:                              ;   in Loop: Header=BB1126_690 Depth=2
	v_lshlrev_b32_e32 v2, 2, v176
	v_add_nc_u32_e32 v36, v104, v76
	ds_load_b32 v2, v2
	ds_load_b64 v[36:37], v36 offset:1024
	s_waitcnt lgkmcnt(1)
	v_add_nc_u32_e32 v2, v2, v1
	s_delay_alu instid0(VALU_DEP_1) | instskip(NEXT) | instid1(VALU_DEP_1)
	v_lshlrev_b64 v[38:39], 3, v[2:3]
	v_add_co_u32 v38, vcc_lo, s52, v38
	s_delay_alu instid0(VALU_DEP_2)
	v_add_co_ci_u32_e32 v39, vcc_lo, s53, v39, vcc_lo
	s_waitcnt lgkmcnt(0)
	global_store_b64 v[38:39], v[36:37], off
	s_or_b32 exec_lo, exec_lo, s31
	s_and_saveexec_b32 s31, s16
	s_cbranch_execnz .LBB1126_882
.LBB1126_867:                           ;   in Loop: Header=BB1126_690 Depth=2
	s_or_b32 exec_lo, exec_lo, s31
	s_and_saveexec_b32 s16, s17
	s_cbranch_execz .LBB1126_883
.LBB1126_868:                           ;   in Loop: Header=BB1126_690 Depth=2
	v_lshlrev_b32_e32 v2, 2, v174
	ds_load_b32 v2, v2
	ds_load_b64 v[36:37], v110 offset:4096
	s_waitcnt lgkmcnt(1)
	v_add_nc_u32_e32 v2, v2, v78
	s_delay_alu instid0(VALU_DEP_1) | instskip(NEXT) | instid1(VALU_DEP_1)
	v_lshlrev_b64 v[38:39], 3, v[2:3]
	v_add_co_u32 v38, vcc_lo, s52, v38
	s_delay_alu instid0(VALU_DEP_2)
	v_add_co_ci_u32_e32 v39, vcc_lo, s53, v39, vcc_lo
	s_waitcnt lgkmcnt(0)
	global_store_b64 v[38:39], v[36:37], off
	s_or_b32 exec_lo, exec_lo, s16
	s_and_saveexec_b32 s16, s18
	s_cbranch_execnz .LBB1126_884
.LBB1126_869:                           ;   in Loop: Header=BB1126_690 Depth=2
	s_or_b32 exec_lo, exec_lo, s16
	s_and_saveexec_b32 s16, s19
	s_cbranch_execz .LBB1126_885
.LBB1126_870:                           ;   in Loop: Header=BB1126_690 Depth=2
	v_lshlrev_b32_e32 v2, 2, v172
	ds_load_b32 v2, v2
	ds_load_b64 v[36:37], v110 offset:8192
	s_waitcnt lgkmcnt(1)
	v_add_nc_u32_e32 v2, v2, v83
	s_delay_alu instid0(VALU_DEP_1) | instskip(NEXT) | instid1(VALU_DEP_1)
	v_lshlrev_b64 v[38:39], 3, v[2:3]
	v_add_co_u32 v38, vcc_lo, s52, v38
	s_delay_alu instid0(VALU_DEP_2)
	v_add_co_ci_u32_e32 v39, vcc_lo, s53, v39, vcc_lo
	s_waitcnt lgkmcnt(0)
	global_store_b64 v[38:39], v[36:37], off
	s_or_b32 exec_lo, exec_lo, s16
	s_and_saveexec_b32 s16, s20
	s_cbranch_execnz .LBB1126_886
.LBB1126_871:                           ;   in Loop: Header=BB1126_690 Depth=2
	s_or_b32 exec_lo, exec_lo, s16
	s_and_saveexec_b32 s16, s21
	s_cbranch_execz .LBB1126_887
.LBB1126_872:                           ;   in Loop: Header=BB1126_690 Depth=2
	v_lshlrev_b32_e32 v2, 2, v170
	ds_load_b32 v2, v2
	ds_load_b64 v[36:37], v110 offset:12288
	s_waitcnt lgkmcnt(1)
	v_add_nc_u32_e32 v2, v2, v85
	s_delay_alu instid0(VALU_DEP_1) | instskip(NEXT) | instid1(VALU_DEP_1)
	v_lshlrev_b64 v[38:39], 3, v[2:3]
	v_add_co_u32 v38, vcc_lo, s52, v38
	s_delay_alu instid0(VALU_DEP_2)
	v_add_co_ci_u32_e32 v39, vcc_lo, s53, v39, vcc_lo
	s_waitcnt lgkmcnt(0)
	global_store_b64 v[38:39], v[36:37], off
	s_or_b32 exec_lo, exec_lo, s16
	s_and_saveexec_b32 s16, s22
	s_cbranch_execnz .LBB1126_888
.LBB1126_873:                           ;   in Loop: Header=BB1126_690 Depth=2
	s_or_b32 exec_lo, exec_lo, s16
	s_and_saveexec_b32 s16, s23
	s_cbranch_execz .LBB1126_889
.LBB1126_874:                           ;   in Loop: Header=BB1126_690 Depth=2
	v_lshlrev_b32_e32 v2, 2, v168
	ds_load_b32 v2, v2
	ds_load_b64 v[36:37], v110 offset:16384
	s_waitcnt lgkmcnt(1)
	v_add_nc_u32_e32 v2, v2, v87
	s_delay_alu instid0(VALU_DEP_1) | instskip(NEXT) | instid1(VALU_DEP_1)
	v_lshlrev_b64 v[38:39], 3, v[2:3]
	v_add_co_u32 v38, vcc_lo, s52, v38
	s_delay_alu instid0(VALU_DEP_2)
	v_add_co_ci_u32_e32 v39, vcc_lo, s53, v39, vcc_lo
	s_waitcnt lgkmcnt(0)
	global_store_b64 v[38:39], v[36:37], off
	s_or_b32 exec_lo, exec_lo, s16
	s_and_saveexec_b32 s16, s24
	s_cbranch_execnz .LBB1126_890
.LBB1126_875:                           ;   in Loop: Header=BB1126_690 Depth=2
	s_or_b32 exec_lo, exec_lo, s16
	s_and_saveexec_b32 s16, s25
	s_cbranch_execz .LBB1126_891
.LBB1126_876:                           ;   in Loop: Header=BB1126_690 Depth=2
	v_lshlrev_b32_e32 v2, 2, v166
	ds_load_b32 v2, v2
	ds_load_b64 v[36:37], v110 offset:20480
	s_waitcnt lgkmcnt(1)
	v_add_nc_u32_e32 v2, v2, v89
	s_delay_alu instid0(VALU_DEP_1) | instskip(NEXT) | instid1(VALU_DEP_1)
	v_lshlrev_b64 v[38:39], 3, v[2:3]
	v_add_co_u32 v38, vcc_lo, s52, v38
	s_delay_alu instid0(VALU_DEP_2)
	v_add_co_ci_u32_e32 v39, vcc_lo, s53, v39, vcc_lo
	s_waitcnt lgkmcnt(0)
	global_store_b64 v[38:39], v[36:37], off
	s_or_b32 exec_lo, exec_lo, s16
	s_and_saveexec_b32 s16, s26
	s_cbranch_execnz .LBB1126_892
.LBB1126_877:                           ;   in Loop: Header=BB1126_690 Depth=2
	s_or_b32 exec_lo, exec_lo, s16
	s_and_saveexec_b32 s16, s27
	s_cbranch_execz .LBB1126_893
.LBB1126_878:                           ;   in Loop: Header=BB1126_690 Depth=2
	v_lshlrev_b32_e32 v2, 2, v164
	ds_load_b32 v2, v2
	ds_load_b64 v[36:37], v110 offset:24576
	s_waitcnt lgkmcnt(1)
	v_add_nc_u32_e32 v2, v2, v91
	s_delay_alu instid0(VALU_DEP_1) | instskip(NEXT) | instid1(VALU_DEP_1)
	v_lshlrev_b64 v[38:39], 3, v[2:3]
	v_add_co_u32 v38, vcc_lo, s52, v38
	s_delay_alu instid0(VALU_DEP_2)
	v_add_co_ci_u32_e32 v39, vcc_lo, s53, v39, vcc_lo
	s_waitcnt lgkmcnt(0)
	global_store_b64 v[38:39], v[36:37], off
	s_or_b32 exec_lo, exec_lo, s16
	s_and_saveexec_b32 s16, s28
	s_cbranch_execnz .LBB1126_894
.LBB1126_879:                           ;   in Loop: Header=BB1126_690 Depth=2
	s_or_b32 exec_lo, exec_lo, s16
	s_and_saveexec_b32 s16, s29
	s_cbranch_execz .LBB1126_895
.LBB1126_880:                           ;   in Loop: Header=BB1126_690 Depth=2
	v_lshlrev_b32_e32 v2, 2, v162
	ds_load_b32 v2, v2
	ds_load_b64 v[36:37], v110 offset:28672
	s_waitcnt lgkmcnt(1)
	v_add_nc_u32_e32 v2, v2, v93
	s_delay_alu instid0(VALU_DEP_1) | instskip(NEXT) | instid1(VALU_DEP_1)
	v_lshlrev_b64 v[38:39], 3, v[2:3]
	v_add_co_u32 v38, vcc_lo, s52, v38
	s_delay_alu instid0(VALU_DEP_2)
	v_add_co_ci_u32_e32 v39, vcc_lo, s53, v39, vcc_lo
	s_waitcnt lgkmcnt(0)
	global_store_b64 v[38:39], v[36:37], off
	s_or_b32 exec_lo, exec_lo, s16
	s_and_saveexec_b32 s16, s30
	s_cbranch_execnz .LBB1126_896
	s_branch .LBB1126_897
.LBB1126_881:                           ;   in Loop: Header=BB1126_690 Depth=2
	s_or_b32 exec_lo, exec_lo, s31
	s_and_saveexec_b32 s31, s16
	s_cbranch_execz .LBB1126_867
.LBB1126_882:                           ;   in Loop: Header=BB1126_690 Depth=2
	v_lshlrev_b32_e32 v2, 2, v175
	ds_load_b32 v2, v2
	ds_load_b64 v[36:37], v110 offset:2048
	s_waitcnt lgkmcnt(1)
	v_add_nc_u32_e32 v2, v2, v77
	s_delay_alu instid0(VALU_DEP_1) | instskip(NEXT) | instid1(VALU_DEP_1)
	v_lshlrev_b64 v[38:39], 3, v[2:3]
	v_add_co_u32 v38, vcc_lo, s52, v38
	s_delay_alu instid0(VALU_DEP_2)
	v_add_co_ci_u32_e32 v39, vcc_lo, s53, v39, vcc_lo
	s_waitcnt lgkmcnt(0)
	global_store_b64 v[38:39], v[36:37], off
	s_or_b32 exec_lo, exec_lo, s31
	s_and_saveexec_b32 s16, s17
	s_cbranch_execnz .LBB1126_868
.LBB1126_883:                           ;   in Loop: Header=BB1126_690 Depth=2
	s_or_b32 exec_lo, exec_lo, s16
	s_and_saveexec_b32 s16, s18
	s_cbranch_execz .LBB1126_869
.LBB1126_884:                           ;   in Loop: Header=BB1126_690 Depth=2
	v_lshlrev_b32_e32 v2, 2, v173
	ds_load_b32 v2, v2
	ds_load_b64 v[36:37], v110 offset:6144
	s_waitcnt lgkmcnt(1)
	v_add_nc_u32_e32 v2, v2, v79
	s_delay_alu instid0(VALU_DEP_1) | instskip(NEXT) | instid1(VALU_DEP_1)
	v_lshlrev_b64 v[38:39], 3, v[2:3]
	v_add_co_u32 v38, vcc_lo, s52, v38
	s_delay_alu instid0(VALU_DEP_2)
	v_add_co_ci_u32_e32 v39, vcc_lo, s53, v39, vcc_lo
	s_waitcnt lgkmcnt(0)
	global_store_b64 v[38:39], v[36:37], off
	s_or_b32 exec_lo, exec_lo, s16
	s_and_saveexec_b32 s16, s19
	s_cbranch_execnz .LBB1126_870
.LBB1126_885:                           ;   in Loop: Header=BB1126_690 Depth=2
	s_or_b32 exec_lo, exec_lo, s16
	s_and_saveexec_b32 s16, s20
	s_cbranch_execz .LBB1126_871
.LBB1126_886:                           ;   in Loop: Header=BB1126_690 Depth=2
	v_lshlrev_b32_e32 v2, 2, v171
	ds_load_b32 v2, v2
	ds_load_b64 v[36:37], v110 offset:10240
	s_waitcnt lgkmcnt(1)
	v_add_nc_u32_e32 v2, v2, v84
	s_delay_alu instid0(VALU_DEP_1) | instskip(NEXT) | instid1(VALU_DEP_1)
	v_lshlrev_b64 v[38:39], 3, v[2:3]
	v_add_co_u32 v38, vcc_lo, s52, v38
	s_delay_alu instid0(VALU_DEP_2)
	v_add_co_ci_u32_e32 v39, vcc_lo, s53, v39, vcc_lo
	s_waitcnt lgkmcnt(0)
	global_store_b64 v[38:39], v[36:37], off
	s_or_b32 exec_lo, exec_lo, s16
	s_and_saveexec_b32 s16, s21
	s_cbranch_execnz .LBB1126_872
.LBB1126_887:                           ;   in Loop: Header=BB1126_690 Depth=2
	s_or_b32 exec_lo, exec_lo, s16
	s_and_saveexec_b32 s16, s22
	s_cbranch_execz .LBB1126_873
.LBB1126_888:                           ;   in Loop: Header=BB1126_690 Depth=2
	v_lshlrev_b32_e32 v2, 2, v169
	ds_load_b32 v2, v2
	ds_load_b64 v[36:37], v110 offset:14336
	s_waitcnt lgkmcnt(1)
	v_add_nc_u32_e32 v2, v2, v86
	s_delay_alu instid0(VALU_DEP_1) | instskip(NEXT) | instid1(VALU_DEP_1)
	v_lshlrev_b64 v[38:39], 3, v[2:3]
	v_add_co_u32 v38, vcc_lo, s52, v38
	s_delay_alu instid0(VALU_DEP_2)
	v_add_co_ci_u32_e32 v39, vcc_lo, s53, v39, vcc_lo
	s_waitcnt lgkmcnt(0)
	global_store_b64 v[38:39], v[36:37], off
	s_or_b32 exec_lo, exec_lo, s16
	s_and_saveexec_b32 s16, s23
	s_cbranch_execnz .LBB1126_874
.LBB1126_889:                           ;   in Loop: Header=BB1126_690 Depth=2
	s_or_b32 exec_lo, exec_lo, s16
	s_and_saveexec_b32 s16, s24
	s_cbranch_execz .LBB1126_875
.LBB1126_890:                           ;   in Loop: Header=BB1126_690 Depth=2
	v_lshlrev_b32_e32 v2, 2, v167
	ds_load_b32 v2, v2
	ds_load_b64 v[36:37], v110 offset:18432
	s_waitcnt lgkmcnt(1)
	v_add_nc_u32_e32 v2, v2, v88
	s_delay_alu instid0(VALU_DEP_1) | instskip(NEXT) | instid1(VALU_DEP_1)
	v_lshlrev_b64 v[38:39], 3, v[2:3]
	v_add_co_u32 v38, vcc_lo, s52, v38
	s_delay_alu instid0(VALU_DEP_2)
	v_add_co_ci_u32_e32 v39, vcc_lo, s53, v39, vcc_lo
	s_waitcnt lgkmcnt(0)
	global_store_b64 v[38:39], v[36:37], off
	s_or_b32 exec_lo, exec_lo, s16
	s_and_saveexec_b32 s16, s25
	s_cbranch_execnz .LBB1126_876
.LBB1126_891:                           ;   in Loop: Header=BB1126_690 Depth=2
	s_or_b32 exec_lo, exec_lo, s16
	s_and_saveexec_b32 s16, s26
	s_cbranch_execz .LBB1126_877
.LBB1126_892:                           ;   in Loop: Header=BB1126_690 Depth=2
	v_lshlrev_b32_e32 v2, 2, v165
	ds_load_b32 v2, v2
	ds_load_b64 v[36:37], v110 offset:22528
	s_waitcnt lgkmcnt(1)
	v_add_nc_u32_e32 v2, v2, v90
	s_delay_alu instid0(VALU_DEP_1) | instskip(NEXT) | instid1(VALU_DEP_1)
	v_lshlrev_b64 v[38:39], 3, v[2:3]
	v_add_co_u32 v38, vcc_lo, s52, v38
	s_delay_alu instid0(VALU_DEP_2)
	v_add_co_ci_u32_e32 v39, vcc_lo, s53, v39, vcc_lo
	s_waitcnt lgkmcnt(0)
	global_store_b64 v[38:39], v[36:37], off
	s_or_b32 exec_lo, exec_lo, s16
	s_and_saveexec_b32 s16, s27
	s_cbranch_execnz .LBB1126_878
.LBB1126_893:                           ;   in Loop: Header=BB1126_690 Depth=2
	s_or_b32 exec_lo, exec_lo, s16
	s_and_saveexec_b32 s16, s28
	s_cbranch_execz .LBB1126_879
.LBB1126_894:                           ;   in Loop: Header=BB1126_690 Depth=2
	v_lshlrev_b32_e32 v2, 2, v163
	ds_load_b32 v2, v2
	ds_load_b64 v[36:37], v110 offset:26624
	s_waitcnt lgkmcnt(1)
	v_add_nc_u32_e32 v2, v2, v92
	s_delay_alu instid0(VALU_DEP_1) | instskip(NEXT) | instid1(VALU_DEP_1)
	v_lshlrev_b64 v[38:39], 3, v[2:3]
	v_add_co_u32 v38, vcc_lo, s52, v38
	s_delay_alu instid0(VALU_DEP_2)
	v_add_co_ci_u32_e32 v39, vcc_lo, s53, v39, vcc_lo
	s_waitcnt lgkmcnt(0)
	global_store_b64 v[38:39], v[36:37], off
	s_or_b32 exec_lo, exec_lo, s16
	s_and_saveexec_b32 s16, s29
	s_cbranch_execnz .LBB1126_880
.LBB1126_895:                           ;   in Loop: Header=BB1126_690 Depth=2
	s_or_b32 exec_lo, exec_lo, s16
	s_and_saveexec_b32 s16, s30
	s_cbranch_execz .LBB1126_897
.LBB1126_896:                           ;   in Loop: Header=BB1126_690 Depth=2
	v_lshlrev_b32_e32 v2, 2, v161
	ds_load_b32 v2, v2
	ds_load_b64 v[36:37], v110 offset:30720
	s_waitcnt lgkmcnt(1)
	v_add_nc_u32_e32 v2, v2, v95
	s_delay_alu instid0(VALU_DEP_1) | instskip(NEXT) | instid1(VALU_DEP_1)
	v_lshlrev_b64 v[38:39], 3, v[2:3]
	v_add_co_u32 v38, vcc_lo, s52, v38
	s_delay_alu instid0(VALU_DEP_2)
	v_add_co_ci_u32_e32 v39, vcc_lo, s53, v39, vcc_lo
	s_waitcnt lgkmcnt(0)
	global_store_b64 v[38:39], v[36:37], off
.LBB1126_897:                           ;   in Loop: Header=BB1126_690 Depth=2
	s_or_b32 exec_lo, exec_lo, s16
	s_waitcnt_vscnt null, 0x0
	s_barrier
	buffer_gl0_inv
	s_and_saveexec_b32 s16, s2
	s_cbranch_execz .LBB1126_689
; %bb.898:                              ;   in Loop: Header=BB1126_690 Depth=2
	ds_load_b32 v2, v76
	s_waitcnt lgkmcnt(0)
	v_add_nc_u32_e32 v2, v2, v68
	ds_store_b32 v76, v2
	s_branch .LBB1126_689
.LBB1126_899:                           ;   in Loop: Header=BB1126_12 Depth=1
	s_waitcnt lgkmcnt(0)
	s_mov_b32 s1, 0
	s_barrier
.LBB1126_900:                           ;   in Loop: Header=BB1126_12 Depth=1
	s_and_b32 vcc_lo, exec_lo, s1
	s_cbranch_vccz .LBB1126_11
; %bb.901:                              ;   in Loop: Header=BB1126_12 Depth=1
	s_mov_b32 s1, s62
	s_mov_b32 s8, s33
	s_barrier
	buffer_gl0_inv
                                        ; implicit-def: $vgpr34_vgpr35
                                        ; implicit-def: $vgpr4_vgpr5
                                        ; implicit-def: $vgpr6_vgpr7
                                        ; implicit-def: $vgpr8_vgpr9
                                        ; implicit-def: $vgpr10_vgpr11
                                        ; implicit-def: $vgpr12_vgpr13
                                        ; implicit-def: $vgpr14_vgpr15
                                        ; implicit-def: $vgpr16_vgpr17
                                        ; implicit-def: $vgpr18_vgpr19
                                        ; implicit-def: $vgpr20_vgpr21
                                        ; implicit-def: $vgpr22_vgpr23
                                        ; implicit-def: $vgpr24_vgpr25
                                        ; implicit-def: $vgpr26_vgpr27
                                        ; implicit-def: $vgpr28_vgpr29
                                        ; implicit-def: $vgpr30_vgpr31
                                        ; implicit-def: $vgpr32_vgpr33
	s_branch .LBB1126_903
.LBB1126_902:                           ;   in Loop: Header=BB1126_903 Depth=2
	s_or_b32 exec_lo, exec_lo, s8
	s_addk_i32 s1, 0xf000
	s_cmp_ge_u32 s7, s35
	s_mov_b32 s8, s7
	s_cbranch_scc1 .LBB1126_973
.LBB1126_903:                           ;   Parent Loop BB1126_12 Depth=1
                                        ; =>  This Inner Loop Header: Depth=2
	s_add_i32 s7, s8, 0x1000
	s_delay_alu instid0(SALU_CYCLE_1)
	s_cmp_gt_u32 s7, s35
	s_cbranch_scc1 .LBB1126_906
; %bb.904:                              ;   in Loop: Header=BB1126_903 Depth=2
	s_mov_b32 s9, 0
	s_movk_i32 s13, 0x1000
	s_lshl_b64 s[10:11], s[8:9], 3
	s_mov_b32 s12, -1
	v_add_co_u32 v36, vcc_lo, v117, s10
	v_add_co_ci_u32_e32 v37, vcc_lo, s11, v118, vcc_lo
	s_waitcnt vmcnt(12)
	s_delay_alu instid0(VALU_DEP_2) | instskip(NEXT) | instid1(VALU_DEP_2)
	v_add_co_u32 v42, vcc_lo, 0x1000, v36
	v_add_co_ci_u32_e32 v43, vcc_lo, 0, v37, vcc_lo
	s_waitcnt vmcnt(11)
	v_add_co_u32 v44, vcc_lo, 0x2000, v36
	v_add_co_ci_u32_e32 v45, vcc_lo, 0, v37, vcc_lo
	s_waitcnt vmcnt(1)
	v_add_co_u32 v50, vcc_lo, v36, 0x2000
	v_add_co_ci_u32_e32 v51, vcc_lo, 0, v37, vcc_lo
	v_add_co_u32 v52, vcc_lo, v36, 0x4000
	v_add_co_ci_u32_e32 v53, vcc_lo, 0, v37, vcc_lo
	;; [unrolled: 2-line block ×7, first 2 shown]
	s_waitcnt vmcnt(0)
	v_add_co_u32 v66, vcc_lo, 0x7000, v36
	v_add_co_ci_u32_e32 v67, vcc_lo, 0, v37, vcc_lo
	s_clause 0xe
	global_load_b64 v[38:39], v[36:37], off
	global_load_b64 v[40:41], v[36:37], off offset:2048
	global_load_b64 v[42:43], v[42:43], off offset:2048
	;; [unrolled: 1-line block ×3, first 2 shown]
	global_load_b64 v[46:47], v[50:51], off
	global_load_b64 v[48:49], v[52:53], off offset:-4096
	global_load_b64 v[52:53], v[52:53], off
	global_load_b64 v[56:57], v[60:61], off offset:-4096
	global_load_b64 v[60:61], v[60:61], off
	global_load_b64 v[54:55], v[54:55], off offset:2048
	global_load_b64 v[58:59], v[58:59], off offset:2048
	;; [unrolled: 1-line block ×4, first 2 shown]
	global_load_b64 v[50:51], v[50:51], off offset:-4096
	global_load_b64 v[66:67], v[66:67], off
	v_add_co_u32 v36, vcc_lo, 0x7800, v36
	v_add_co_ci_u32_e32 v37, vcc_lo, 0, v37, vcc_lo
	s_cbranch_execz .LBB1126_907
; %bb.905:                              ;   in Loop: Header=BB1126_903 Depth=2
                                        ; implicit-def: $vgpr32_vgpr33
                                        ; implicit-def: $vgpr30_vgpr31
                                        ; implicit-def: $vgpr28_vgpr29
                                        ; implicit-def: $vgpr26_vgpr27
                                        ; implicit-def: $vgpr24_vgpr25
                                        ; implicit-def: $vgpr22_vgpr23
                                        ; implicit-def: $vgpr20_vgpr21
                                        ; implicit-def: $vgpr18_vgpr19
                                        ; implicit-def: $vgpr16_vgpr17
                                        ; implicit-def: $vgpr14_vgpr15
                                        ; implicit-def: $vgpr12_vgpr13
                                        ; implicit-def: $vgpr10_vgpr11
                                        ; implicit-def: $vgpr8_vgpr9
                                        ; implicit-def: $vgpr6_vgpr7
                                        ; implicit-def: $vgpr4_vgpr5
                                        ; implicit-def: $vgpr34_vgpr35
	v_mov_b32_e32 v2, s1
	s_and_saveexec_b32 s8, s12
	s_cbranch_execnz .LBB1126_926
	s_branch .LBB1126_927
.LBB1126_906:                           ;   in Loop: Header=BB1126_903 Depth=2
	s_mov_b32 s12, 0
                                        ; implicit-def: $sgpr13
                                        ; implicit-def: $vgpr38_vgpr39
                                        ; implicit-def: $vgpr40_vgpr41
                                        ; implicit-def: $vgpr50_vgpr51
                                        ; implicit-def: $vgpr42_vgpr43
                                        ; implicit-def: $vgpr46_vgpr47
                                        ; implicit-def: $vgpr44_vgpr45
                                        ; implicit-def: $vgpr48_vgpr49
                                        ; implicit-def: $vgpr54_vgpr55
                                        ; implicit-def: $vgpr52_vgpr53
                                        ; implicit-def: $vgpr58_vgpr59
                                        ; implicit-def: $vgpr56_vgpr57
                                        ; implicit-def: $vgpr62_vgpr63
                                        ; implicit-def: $vgpr60_vgpr61
                                        ; implicit-def: $vgpr64_vgpr65
                                        ; implicit-def: $vgpr66_vgpr67
                                        ; implicit-def: $vgpr36_vgpr37
.LBB1126_907:                           ;   in Loop: Header=BB1126_903 Depth=2
	s_mov_b32 s9, s36
	s_delay_alu instid0(SALU_CYCLE_1)
	s_lshl_b64 s[10:11], s[8:9], 3
	s_mov_b32 s9, exec_lo
	s_add_u32 s10, s44, s10
	s_addc_u32 s11, s45, s11
	v_cmpx_gt_u32_e64 s1, v1
	s_cbranch_execz .LBB1126_959
; %bb.908:                              ;   in Loop: Header=BB1126_903 Depth=2
	global_load_b64 v[32:33], v124, s[10:11]
	s_or_b32 exec_lo, exec_lo, s9
	s_delay_alu instid0(SALU_CYCLE_1)
	s_mov_b32 s9, exec_lo
	v_cmpx_gt_u32_e64 s1, v77
	s_cbranch_execnz .LBB1126_960
.LBB1126_909:                           ;   in Loop: Header=BB1126_903 Depth=2
	s_or_b32 exec_lo, exec_lo, s9
	s_delay_alu instid0(SALU_CYCLE_1)
	s_mov_b32 s9, exec_lo
	v_cmpx_gt_u32_e64 s1, v78
	s_cbranch_execz .LBB1126_961
.LBB1126_910:                           ;   in Loop: Header=BB1126_903 Depth=2
	global_load_b64 v[28:29], v125, s[10:11]
	s_or_b32 exec_lo, exec_lo, s9
	s_delay_alu instid0(SALU_CYCLE_1)
	s_mov_b32 s9, exec_lo
	v_cmpx_gt_u32_e64 s1, v79
	s_cbranch_execnz .LBB1126_962
.LBB1126_911:                           ;   in Loop: Header=BB1126_903 Depth=2
	s_or_b32 exec_lo, exec_lo, s9
	s_delay_alu instid0(SALU_CYCLE_1)
	s_mov_b32 s9, exec_lo
	v_cmpx_gt_u32_e64 s1, v83
	s_cbranch_execz .LBB1126_963
.LBB1126_912:                           ;   in Loop: Header=BB1126_903 Depth=2
	global_load_b64 v[24:25], v127, s[10:11]
	s_or_b32 exec_lo, exec_lo, s9
	s_delay_alu instid0(SALU_CYCLE_1)
	s_mov_b32 s9, exec_lo
	v_cmpx_gt_u32_e64 s1, v84
	s_cbranch_execnz .LBB1126_964
.LBB1126_913:                           ;   in Loop: Header=BB1126_903 Depth=2
	s_or_b32 exec_lo, exec_lo, s9
	s_delay_alu instid0(SALU_CYCLE_1)
	s_mov_b32 s9, exec_lo
	v_cmpx_gt_u32_e64 s1, v85
	s_cbranch_execz .LBB1126_965
.LBB1126_914:                           ;   in Loop: Header=BB1126_903 Depth=2
	global_load_b64 v[20:21], v129, s[10:11]
	s_or_b32 exec_lo, exec_lo, s9
	s_delay_alu instid0(SALU_CYCLE_1)
	s_mov_b32 s9, exec_lo
	v_cmpx_gt_u32_e64 s1, v86
	s_cbranch_execnz .LBB1126_966
.LBB1126_915:                           ;   in Loop: Header=BB1126_903 Depth=2
	s_or_b32 exec_lo, exec_lo, s9
	s_delay_alu instid0(SALU_CYCLE_1)
	s_mov_b32 s9, exec_lo
	v_cmpx_gt_u32_e64 s1, v87
	s_cbranch_execz .LBB1126_967
.LBB1126_916:                           ;   in Loop: Header=BB1126_903 Depth=2
	global_load_b64 v[16:17], v131, s[10:11]
	s_or_b32 exec_lo, exec_lo, s9
	s_delay_alu instid0(SALU_CYCLE_1)
	s_mov_b32 s9, exec_lo
	v_cmpx_gt_u32_e64 s1, v88
	s_cbranch_execnz .LBB1126_968
.LBB1126_917:                           ;   in Loop: Header=BB1126_903 Depth=2
	s_or_b32 exec_lo, exec_lo, s9
	s_delay_alu instid0(SALU_CYCLE_1)
	s_mov_b32 s9, exec_lo
	v_cmpx_gt_u32_e64 s1, v89
	s_cbranch_execz .LBB1126_969
.LBB1126_918:                           ;   in Loop: Header=BB1126_903 Depth=2
	global_load_b64 v[12:13], v133, s[10:11]
	s_or_b32 exec_lo, exec_lo, s9
	s_delay_alu instid0(SALU_CYCLE_1)
	s_mov_b32 s9, exec_lo
	v_cmpx_gt_u32_e64 s1, v90
	s_cbranch_execnz .LBB1126_970
.LBB1126_919:                           ;   in Loop: Header=BB1126_903 Depth=2
	s_or_b32 exec_lo, exec_lo, s9
	s_delay_alu instid0(SALU_CYCLE_1)
	s_mov_b32 s9, exec_lo
	v_cmpx_gt_u32_e64 s1, v91
	s_cbranch_execz .LBB1126_971
.LBB1126_920:                           ;   in Loop: Header=BB1126_903 Depth=2
	global_load_b64 v[8:9], v135, s[10:11]
	s_or_b32 exec_lo, exec_lo, s9
	s_delay_alu instid0(SALU_CYCLE_1)
	s_mov_b32 s9, exec_lo
	v_cmpx_gt_u32_e64 s1, v92
	s_cbranch_execnz .LBB1126_972
.LBB1126_921:                           ;   in Loop: Header=BB1126_903 Depth=2
	s_or_b32 exec_lo, exec_lo, s9
	s_delay_alu instid0(SALU_CYCLE_1)
	s_mov_b32 s9, exec_lo
	v_cmpx_gt_u32_e64 s1, v93
	s_cbranch_execz .LBB1126_923
.LBB1126_922:                           ;   in Loop: Header=BB1126_903 Depth=2
	v_lshlrev_b32_e32 v2, 3, v93
	global_load_b64 v[4:5], v2, s[10:11]
.LBB1126_923:                           ;   in Loop: Header=BB1126_903 Depth=2
	s_or_b32 exec_lo, exec_lo, s9
	s_delay_alu instid0(SALU_CYCLE_1)
	s_mov_b32 s9, exec_lo
                                        ; implicit-def: $sgpr13
                                        ; implicit-def: $vgpr36_vgpr37
	v_cmpx_gt_u32_e64 s1, v95
; %bb.924:                              ;   in Loop: Header=BB1126_903 Depth=2
	v_lshlrev_b32_e32 v2, 3, v95
	s_sub_i32 s13, s35, s8
	s_or_b32 s12, s12, exec_lo
                                        ; implicit-def: $vgpr34_vgpr35
	s_delay_alu instid0(VALU_DEP_1) | instskip(NEXT) | instid1(VALU_DEP_1)
	v_add_co_u32 v36, s10, s10, v2
	v_add_co_ci_u32_e64 v37, null, s11, 0, s10
; %bb.925:                              ;   in Loop: Header=BB1126_903 Depth=2
	s_or_b32 exec_lo, exec_lo, s9
	s_waitcnt vmcnt(0)
	v_dual_mov_b32 v39, v33 :: v_dual_mov_b32 v38, v32
	v_dual_mov_b32 v41, v31 :: v_dual_mov_b32 v40, v30
	;; [unrolled: 1-line block ×15, first 2 shown]
	v_mov_b32_e32 v2, s1
	s_and_saveexec_b32 s8, s12
	s_cbranch_execz .LBB1126_927
.LBB1126_926:                           ;   in Loop: Header=BB1126_903 Depth=2
	global_load_b64 v[34:35], v[36:37], off
	s_waitcnt vmcnt(1)
	v_mov_b32_e32 v4, v66
	v_mov_b32_e32 v6, v64
	;; [unrolled: 1-line block ×14, first 2 shown]
	v_dual_mov_b32 v32, v38 :: v_dual_mov_b32 v33, v39
	v_dual_mov_b32 v2, s13 :: v_dual_mov_b32 v5, v67
	v_mov_b32_e32 v7, v65
	v_mov_b32_e32 v9, v61
	;; [unrolled: 1-line block ×13, first 2 shown]
.LBB1126_927:                           ;   in Loop: Header=BB1126_903 Depth=2
	s_or_b32 exec_lo, exec_lo, s8
	v_lshlrev_b32_e32 v36, 2, v80
	s_mov_b32 s8, exec_lo
	v_cmpx_lt_u32_e64 v1, v2
	s_cbranch_execz .LBB1126_943
; %bb.928:                              ;   in Loop: Header=BB1126_903 Depth=2
	v_cmp_gt_i64_e32 vcc_lo, 0, v[32:33]
	v_ashrrev_i32_e32 v37, 31, v33
	s_delay_alu instid0(VALU_DEP_1) | instskip(SKIP_2) | instid1(VALU_DEP_2)
	v_not_b32_e32 v37, v37
	s_waitcnt vmcnt(14)
	v_cndmask_b32_e64 v38, 0x7fffffff, 0, vcc_lo
	v_xor_b32_e32 v37, v37, v32
	s_delay_alu instid0(VALU_DEP_2) | instskip(NEXT) | instid1(VALU_DEP_1)
	v_xor_b32_e32 v38, v38, v33
	v_cmp_ne_u64_e32 vcc_lo, s[36:37], v[37:38]
	v_cndmask_b32_e32 v38, 0x7fffffff, v38, vcc_lo
	v_cndmask_b32_e32 v37, -1, v37, vcc_lo
	s_delay_alu instid0(VALU_DEP_1) | instskip(NEXT) | instid1(VALU_DEP_1)
	v_lshrrev_b64 v[37:38], s42, v[37:38]
	v_and_b32_e32 v37, s50, v37
	s_delay_alu instid0(VALU_DEP_1) | instskip(SKIP_2) | instid1(SALU_CYCLE_1)
	v_lshl_or_b32 v37, v37, 4, v36
	ds_add_u32 v37, v123
	s_or_b32 exec_lo, exec_lo, s8
	s_mov_b32 s8, exec_lo
	v_cmpx_lt_u32_e64 v77, v2
	s_cbranch_execnz .LBB1126_944
.LBB1126_929:                           ;   in Loop: Header=BB1126_903 Depth=2
	s_or_b32 exec_lo, exec_lo, s8
	s_delay_alu instid0(SALU_CYCLE_1)
	s_mov_b32 s8, exec_lo
	v_cmpx_lt_u32_e64 v78, v2
	s_cbranch_execz .LBB1126_945
.LBB1126_930:                           ;   in Loop: Header=BB1126_903 Depth=2
	v_cmp_gt_i64_e32 vcc_lo, 0, v[28:29]
	v_ashrrev_i32_e32 v37, 31, v29
	s_delay_alu instid0(VALU_DEP_1) | instskip(SKIP_2) | instid1(VALU_DEP_2)
	v_not_b32_e32 v37, v37
	s_waitcnt vmcnt(14)
	v_cndmask_b32_e64 v38, 0x7fffffff, 0, vcc_lo
	v_xor_b32_e32 v37, v37, v28
	s_delay_alu instid0(VALU_DEP_2) | instskip(NEXT) | instid1(VALU_DEP_1)
	v_xor_b32_e32 v38, v38, v29
	v_cmp_ne_u64_e32 vcc_lo, s[36:37], v[37:38]
	v_cndmask_b32_e32 v38, 0x7fffffff, v38, vcc_lo
	v_cndmask_b32_e32 v37, -1, v37, vcc_lo
	s_delay_alu instid0(VALU_DEP_1) | instskip(NEXT) | instid1(VALU_DEP_1)
	v_lshrrev_b64 v[37:38], s42, v[37:38]
	v_and_b32_e32 v37, s50, v37
	s_delay_alu instid0(VALU_DEP_1) | instskip(SKIP_2) | instid1(SALU_CYCLE_1)
	v_lshl_or_b32 v37, v37, 4, v36
	ds_add_u32 v37, v123
	s_or_b32 exec_lo, exec_lo, s8
	s_mov_b32 s8, exec_lo
	v_cmpx_lt_u32_e64 v79, v2
	s_cbranch_execnz .LBB1126_946
.LBB1126_931:                           ;   in Loop: Header=BB1126_903 Depth=2
	s_or_b32 exec_lo, exec_lo, s8
	s_delay_alu instid0(SALU_CYCLE_1)
	s_mov_b32 s8, exec_lo
	v_cmpx_lt_u32_e64 v83, v2
	s_cbranch_execz .LBB1126_947
.LBB1126_932:                           ;   in Loop: Header=BB1126_903 Depth=2
	v_cmp_gt_i64_e32 vcc_lo, 0, v[24:25]
	v_ashrrev_i32_e32 v37, 31, v25
	s_delay_alu instid0(VALU_DEP_1) | instskip(SKIP_2) | instid1(VALU_DEP_2)
	v_not_b32_e32 v37, v37
	s_waitcnt vmcnt(14)
	v_cndmask_b32_e64 v38, 0x7fffffff, 0, vcc_lo
	v_xor_b32_e32 v37, v37, v24
	s_delay_alu instid0(VALU_DEP_2) | instskip(NEXT) | instid1(VALU_DEP_1)
	v_xor_b32_e32 v38, v38, v25
	v_cmp_ne_u64_e32 vcc_lo, s[36:37], v[37:38]
	v_cndmask_b32_e32 v38, 0x7fffffff, v38, vcc_lo
	v_cndmask_b32_e32 v37, -1, v37, vcc_lo
	s_delay_alu instid0(VALU_DEP_1) | instskip(NEXT) | instid1(VALU_DEP_1)
	v_lshrrev_b64 v[37:38], s42, v[37:38]
	v_and_b32_e32 v37, s50, v37
	s_delay_alu instid0(VALU_DEP_1) | instskip(SKIP_2) | instid1(SALU_CYCLE_1)
	v_lshl_or_b32 v37, v37, 4, v36
	ds_add_u32 v37, v123
	s_or_b32 exec_lo, exec_lo, s8
	s_mov_b32 s8, exec_lo
	v_cmpx_lt_u32_e64 v84, v2
	s_cbranch_execnz .LBB1126_948
.LBB1126_933:                           ;   in Loop: Header=BB1126_903 Depth=2
	s_or_b32 exec_lo, exec_lo, s8
	s_delay_alu instid0(SALU_CYCLE_1)
	s_mov_b32 s8, exec_lo
	v_cmpx_lt_u32_e64 v85, v2
	s_cbranch_execz .LBB1126_949
.LBB1126_934:                           ;   in Loop: Header=BB1126_903 Depth=2
	v_cmp_gt_i64_e32 vcc_lo, 0, v[20:21]
	v_ashrrev_i32_e32 v37, 31, v21
	s_delay_alu instid0(VALU_DEP_1) | instskip(SKIP_2) | instid1(VALU_DEP_2)
	v_not_b32_e32 v37, v37
	s_waitcnt vmcnt(14)
	v_cndmask_b32_e64 v38, 0x7fffffff, 0, vcc_lo
	v_xor_b32_e32 v37, v37, v20
	s_delay_alu instid0(VALU_DEP_2) | instskip(NEXT) | instid1(VALU_DEP_1)
	v_xor_b32_e32 v38, v38, v21
	v_cmp_ne_u64_e32 vcc_lo, s[36:37], v[37:38]
	v_cndmask_b32_e32 v38, 0x7fffffff, v38, vcc_lo
	v_cndmask_b32_e32 v37, -1, v37, vcc_lo
	s_delay_alu instid0(VALU_DEP_1) | instskip(NEXT) | instid1(VALU_DEP_1)
	v_lshrrev_b64 v[37:38], s42, v[37:38]
	v_and_b32_e32 v37, s50, v37
	s_delay_alu instid0(VALU_DEP_1) | instskip(SKIP_2) | instid1(SALU_CYCLE_1)
	v_lshl_or_b32 v37, v37, 4, v36
	ds_add_u32 v37, v123
	s_or_b32 exec_lo, exec_lo, s8
	s_mov_b32 s8, exec_lo
	v_cmpx_lt_u32_e64 v86, v2
	s_cbranch_execnz .LBB1126_950
.LBB1126_935:                           ;   in Loop: Header=BB1126_903 Depth=2
	s_or_b32 exec_lo, exec_lo, s8
	s_delay_alu instid0(SALU_CYCLE_1)
	s_mov_b32 s8, exec_lo
	v_cmpx_lt_u32_e64 v87, v2
	s_cbranch_execz .LBB1126_951
.LBB1126_936:                           ;   in Loop: Header=BB1126_903 Depth=2
	v_cmp_gt_i64_e32 vcc_lo, 0, v[16:17]
	v_ashrrev_i32_e32 v37, 31, v17
	s_delay_alu instid0(VALU_DEP_1) | instskip(SKIP_2) | instid1(VALU_DEP_2)
	v_not_b32_e32 v37, v37
	s_waitcnt vmcnt(14)
	v_cndmask_b32_e64 v38, 0x7fffffff, 0, vcc_lo
	v_xor_b32_e32 v37, v37, v16
	s_delay_alu instid0(VALU_DEP_2) | instskip(NEXT) | instid1(VALU_DEP_1)
	v_xor_b32_e32 v38, v38, v17
	v_cmp_ne_u64_e32 vcc_lo, s[36:37], v[37:38]
	v_cndmask_b32_e32 v38, 0x7fffffff, v38, vcc_lo
	v_cndmask_b32_e32 v37, -1, v37, vcc_lo
	s_delay_alu instid0(VALU_DEP_1) | instskip(NEXT) | instid1(VALU_DEP_1)
	v_lshrrev_b64 v[37:38], s42, v[37:38]
	v_and_b32_e32 v37, s50, v37
	s_delay_alu instid0(VALU_DEP_1) | instskip(SKIP_2) | instid1(SALU_CYCLE_1)
	v_lshl_or_b32 v37, v37, 4, v36
	ds_add_u32 v37, v123
	s_or_b32 exec_lo, exec_lo, s8
	s_mov_b32 s8, exec_lo
	v_cmpx_lt_u32_e64 v88, v2
	s_cbranch_execnz .LBB1126_952
.LBB1126_937:                           ;   in Loop: Header=BB1126_903 Depth=2
	s_or_b32 exec_lo, exec_lo, s8
	s_delay_alu instid0(SALU_CYCLE_1)
	s_mov_b32 s8, exec_lo
	v_cmpx_lt_u32_e64 v89, v2
	s_cbranch_execz .LBB1126_953
.LBB1126_938:                           ;   in Loop: Header=BB1126_903 Depth=2
	v_cmp_gt_i64_e32 vcc_lo, 0, v[12:13]
	v_ashrrev_i32_e32 v37, 31, v13
	s_delay_alu instid0(VALU_DEP_1) | instskip(SKIP_2) | instid1(VALU_DEP_2)
	v_not_b32_e32 v37, v37
	s_waitcnt vmcnt(14)
	v_cndmask_b32_e64 v38, 0x7fffffff, 0, vcc_lo
	v_xor_b32_e32 v37, v37, v12
	s_delay_alu instid0(VALU_DEP_2) | instskip(NEXT) | instid1(VALU_DEP_1)
	v_xor_b32_e32 v38, v38, v13
	v_cmp_ne_u64_e32 vcc_lo, s[36:37], v[37:38]
	v_cndmask_b32_e32 v38, 0x7fffffff, v38, vcc_lo
	v_cndmask_b32_e32 v37, -1, v37, vcc_lo
	s_delay_alu instid0(VALU_DEP_1) | instskip(NEXT) | instid1(VALU_DEP_1)
	v_lshrrev_b64 v[37:38], s42, v[37:38]
	v_and_b32_e32 v37, s50, v37
	s_delay_alu instid0(VALU_DEP_1) | instskip(SKIP_2) | instid1(SALU_CYCLE_1)
	v_lshl_or_b32 v37, v37, 4, v36
	ds_add_u32 v37, v123
	s_or_b32 exec_lo, exec_lo, s8
	s_mov_b32 s8, exec_lo
	v_cmpx_lt_u32_e64 v90, v2
	s_cbranch_execnz .LBB1126_954
.LBB1126_939:                           ;   in Loop: Header=BB1126_903 Depth=2
	s_or_b32 exec_lo, exec_lo, s8
	s_delay_alu instid0(SALU_CYCLE_1)
	s_mov_b32 s8, exec_lo
	v_cmpx_lt_u32_e64 v91, v2
	s_cbranch_execz .LBB1126_955
.LBB1126_940:                           ;   in Loop: Header=BB1126_903 Depth=2
	v_cmp_gt_i64_e32 vcc_lo, 0, v[8:9]
	v_ashrrev_i32_e32 v37, 31, v9
	s_delay_alu instid0(VALU_DEP_1) | instskip(SKIP_2) | instid1(VALU_DEP_2)
	v_not_b32_e32 v37, v37
	s_waitcnt vmcnt(14)
	v_cndmask_b32_e64 v38, 0x7fffffff, 0, vcc_lo
	v_xor_b32_e32 v37, v37, v8
	s_delay_alu instid0(VALU_DEP_2) | instskip(NEXT) | instid1(VALU_DEP_1)
	v_xor_b32_e32 v38, v38, v9
	v_cmp_ne_u64_e32 vcc_lo, s[36:37], v[37:38]
	v_cndmask_b32_e32 v38, 0x7fffffff, v38, vcc_lo
	v_cndmask_b32_e32 v37, -1, v37, vcc_lo
	s_delay_alu instid0(VALU_DEP_1) | instskip(NEXT) | instid1(VALU_DEP_1)
	v_lshrrev_b64 v[37:38], s42, v[37:38]
	v_and_b32_e32 v37, s50, v37
	s_delay_alu instid0(VALU_DEP_1) | instskip(SKIP_2) | instid1(SALU_CYCLE_1)
	v_lshl_or_b32 v37, v37, 4, v36
	ds_add_u32 v37, v123
	s_or_b32 exec_lo, exec_lo, s8
	s_mov_b32 s8, exec_lo
	v_cmpx_lt_u32_e64 v92, v2
	s_cbranch_execnz .LBB1126_956
.LBB1126_941:                           ;   in Loop: Header=BB1126_903 Depth=2
	s_or_b32 exec_lo, exec_lo, s8
	s_delay_alu instid0(SALU_CYCLE_1)
	s_mov_b32 s8, exec_lo
	v_cmpx_lt_u32_e64 v93, v2
	s_cbranch_execz .LBB1126_957
.LBB1126_942:                           ;   in Loop: Header=BB1126_903 Depth=2
	v_cmp_gt_i64_e32 vcc_lo, 0, v[4:5]
	v_ashrrev_i32_e32 v37, 31, v5
	s_delay_alu instid0(VALU_DEP_1) | instskip(SKIP_2) | instid1(VALU_DEP_2)
	v_not_b32_e32 v37, v37
	s_waitcnt vmcnt(14)
	v_cndmask_b32_e64 v38, 0x7fffffff, 0, vcc_lo
	v_xor_b32_e32 v37, v37, v4
	s_delay_alu instid0(VALU_DEP_2) | instskip(NEXT) | instid1(VALU_DEP_1)
	v_xor_b32_e32 v38, v38, v5
	v_cmp_ne_u64_e32 vcc_lo, s[36:37], v[37:38]
	v_cndmask_b32_e32 v38, 0x7fffffff, v38, vcc_lo
	v_cndmask_b32_e32 v37, -1, v37, vcc_lo
	s_delay_alu instid0(VALU_DEP_1) | instskip(NEXT) | instid1(VALU_DEP_1)
	v_lshrrev_b64 v[37:38], s42, v[37:38]
	v_and_b32_e32 v37, s50, v37
	s_delay_alu instid0(VALU_DEP_1) | instskip(SKIP_2) | instid1(SALU_CYCLE_1)
	v_lshl_or_b32 v37, v37, 4, v36
	ds_add_u32 v37, v123
	s_or_b32 exec_lo, exec_lo, s8
	s_mov_b32 s8, exec_lo
	v_cmpx_lt_u32_e64 v95, v2
	s_cbranch_execz .LBB1126_902
	s_branch .LBB1126_958
.LBB1126_943:                           ;   in Loop: Header=BB1126_903 Depth=2
	s_or_b32 exec_lo, exec_lo, s8
	s_delay_alu instid0(SALU_CYCLE_1)
	s_mov_b32 s8, exec_lo
	v_cmpx_lt_u32_e64 v77, v2
	s_cbranch_execz .LBB1126_929
.LBB1126_944:                           ;   in Loop: Header=BB1126_903 Depth=2
	v_cmp_gt_i64_e32 vcc_lo, 0, v[30:31]
	v_ashrrev_i32_e32 v37, 31, v31
	s_delay_alu instid0(VALU_DEP_1) | instskip(SKIP_2) | instid1(VALU_DEP_2)
	v_not_b32_e32 v37, v37
	s_waitcnt vmcnt(14)
	v_cndmask_b32_e64 v38, 0x7fffffff, 0, vcc_lo
	v_xor_b32_e32 v37, v37, v30
	s_delay_alu instid0(VALU_DEP_2) | instskip(NEXT) | instid1(VALU_DEP_1)
	v_xor_b32_e32 v38, v38, v31
	v_cmp_ne_u64_e32 vcc_lo, s[36:37], v[37:38]
	v_cndmask_b32_e32 v38, 0x7fffffff, v38, vcc_lo
	v_cndmask_b32_e32 v37, -1, v37, vcc_lo
	s_delay_alu instid0(VALU_DEP_1) | instskip(NEXT) | instid1(VALU_DEP_1)
	v_lshrrev_b64 v[37:38], s42, v[37:38]
	v_and_b32_e32 v37, s50, v37
	s_delay_alu instid0(VALU_DEP_1) | instskip(SKIP_2) | instid1(SALU_CYCLE_1)
	v_lshl_or_b32 v37, v37, 4, v36
	ds_add_u32 v37, v123
	s_or_b32 exec_lo, exec_lo, s8
	s_mov_b32 s8, exec_lo
	v_cmpx_lt_u32_e64 v78, v2
	s_cbranch_execnz .LBB1126_930
.LBB1126_945:                           ;   in Loop: Header=BB1126_903 Depth=2
	s_or_b32 exec_lo, exec_lo, s8
	s_delay_alu instid0(SALU_CYCLE_1)
	s_mov_b32 s8, exec_lo
	v_cmpx_lt_u32_e64 v79, v2
	s_cbranch_execz .LBB1126_931
.LBB1126_946:                           ;   in Loop: Header=BB1126_903 Depth=2
	v_cmp_gt_i64_e32 vcc_lo, 0, v[26:27]
	v_ashrrev_i32_e32 v37, 31, v27
	s_delay_alu instid0(VALU_DEP_1) | instskip(SKIP_2) | instid1(VALU_DEP_2)
	v_not_b32_e32 v37, v37
	s_waitcnt vmcnt(14)
	v_cndmask_b32_e64 v38, 0x7fffffff, 0, vcc_lo
	v_xor_b32_e32 v37, v37, v26
	s_delay_alu instid0(VALU_DEP_2) | instskip(NEXT) | instid1(VALU_DEP_1)
	v_xor_b32_e32 v38, v38, v27
	v_cmp_ne_u64_e32 vcc_lo, s[36:37], v[37:38]
	v_cndmask_b32_e32 v38, 0x7fffffff, v38, vcc_lo
	v_cndmask_b32_e32 v37, -1, v37, vcc_lo
	s_delay_alu instid0(VALU_DEP_1) | instskip(NEXT) | instid1(VALU_DEP_1)
	v_lshrrev_b64 v[37:38], s42, v[37:38]
	v_and_b32_e32 v37, s50, v37
	s_delay_alu instid0(VALU_DEP_1) | instskip(SKIP_2) | instid1(SALU_CYCLE_1)
	v_lshl_or_b32 v37, v37, 4, v36
	ds_add_u32 v37, v123
	s_or_b32 exec_lo, exec_lo, s8
	s_mov_b32 s8, exec_lo
	v_cmpx_lt_u32_e64 v83, v2
	s_cbranch_execnz .LBB1126_932
.LBB1126_947:                           ;   in Loop: Header=BB1126_903 Depth=2
	s_or_b32 exec_lo, exec_lo, s8
	s_delay_alu instid0(SALU_CYCLE_1)
	s_mov_b32 s8, exec_lo
	v_cmpx_lt_u32_e64 v84, v2
	s_cbranch_execz .LBB1126_933
.LBB1126_948:                           ;   in Loop: Header=BB1126_903 Depth=2
	v_cmp_gt_i64_e32 vcc_lo, 0, v[22:23]
	v_ashrrev_i32_e32 v37, 31, v23
	s_delay_alu instid0(VALU_DEP_1) | instskip(SKIP_2) | instid1(VALU_DEP_2)
	v_not_b32_e32 v37, v37
	s_waitcnt vmcnt(14)
	v_cndmask_b32_e64 v38, 0x7fffffff, 0, vcc_lo
	v_xor_b32_e32 v37, v37, v22
	s_delay_alu instid0(VALU_DEP_2) | instskip(NEXT) | instid1(VALU_DEP_1)
	v_xor_b32_e32 v38, v38, v23
	v_cmp_ne_u64_e32 vcc_lo, s[36:37], v[37:38]
	v_cndmask_b32_e32 v38, 0x7fffffff, v38, vcc_lo
	v_cndmask_b32_e32 v37, -1, v37, vcc_lo
	s_delay_alu instid0(VALU_DEP_1) | instskip(NEXT) | instid1(VALU_DEP_1)
	v_lshrrev_b64 v[37:38], s42, v[37:38]
	v_and_b32_e32 v37, s50, v37
	s_delay_alu instid0(VALU_DEP_1) | instskip(SKIP_2) | instid1(SALU_CYCLE_1)
	v_lshl_or_b32 v37, v37, 4, v36
	ds_add_u32 v37, v123
	s_or_b32 exec_lo, exec_lo, s8
	s_mov_b32 s8, exec_lo
	v_cmpx_lt_u32_e64 v85, v2
	s_cbranch_execnz .LBB1126_934
.LBB1126_949:                           ;   in Loop: Header=BB1126_903 Depth=2
	s_or_b32 exec_lo, exec_lo, s8
	s_delay_alu instid0(SALU_CYCLE_1)
	s_mov_b32 s8, exec_lo
	v_cmpx_lt_u32_e64 v86, v2
	s_cbranch_execz .LBB1126_935
.LBB1126_950:                           ;   in Loop: Header=BB1126_903 Depth=2
	v_cmp_gt_i64_e32 vcc_lo, 0, v[18:19]
	v_ashrrev_i32_e32 v37, 31, v19
	s_delay_alu instid0(VALU_DEP_1) | instskip(SKIP_2) | instid1(VALU_DEP_2)
	v_not_b32_e32 v37, v37
	s_waitcnt vmcnt(14)
	v_cndmask_b32_e64 v38, 0x7fffffff, 0, vcc_lo
	v_xor_b32_e32 v37, v37, v18
	s_delay_alu instid0(VALU_DEP_2) | instskip(NEXT) | instid1(VALU_DEP_1)
	v_xor_b32_e32 v38, v38, v19
	v_cmp_ne_u64_e32 vcc_lo, s[36:37], v[37:38]
	v_cndmask_b32_e32 v38, 0x7fffffff, v38, vcc_lo
	v_cndmask_b32_e32 v37, -1, v37, vcc_lo
	s_delay_alu instid0(VALU_DEP_1) | instskip(NEXT) | instid1(VALU_DEP_1)
	v_lshrrev_b64 v[37:38], s42, v[37:38]
	v_and_b32_e32 v37, s50, v37
	s_delay_alu instid0(VALU_DEP_1) | instskip(SKIP_2) | instid1(SALU_CYCLE_1)
	v_lshl_or_b32 v37, v37, 4, v36
	ds_add_u32 v37, v123
	s_or_b32 exec_lo, exec_lo, s8
	s_mov_b32 s8, exec_lo
	v_cmpx_lt_u32_e64 v87, v2
	s_cbranch_execnz .LBB1126_936
.LBB1126_951:                           ;   in Loop: Header=BB1126_903 Depth=2
	s_or_b32 exec_lo, exec_lo, s8
	s_delay_alu instid0(SALU_CYCLE_1)
	s_mov_b32 s8, exec_lo
	v_cmpx_lt_u32_e64 v88, v2
	s_cbranch_execz .LBB1126_937
.LBB1126_952:                           ;   in Loop: Header=BB1126_903 Depth=2
	v_cmp_gt_i64_e32 vcc_lo, 0, v[14:15]
	v_ashrrev_i32_e32 v37, 31, v15
	s_delay_alu instid0(VALU_DEP_1) | instskip(SKIP_2) | instid1(VALU_DEP_2)
	v_not_b32_e32 v37, v37
	s_waitcnt vmcnt(14)
	v_cndmask_b32_e64 v38, 0x7fffffff, 0, vcc_lo
	v_xor_b32_e32 v37, v37, v14
	s_delay_alu instid0(VALU_DEP_2) | instskip(NEXT) | instid1(VALU_DEP_1)
	v_xor_b32_e32 v38, v38, v15
	v_cmp_ne_u64_e32 vcc_lo, s[36:37], v[37:38]
	v_cndmask_b32_e32 v38, 0x7fffffff, v38, vcc_lo
	v_cndmask_b32_e32 v37, -1, v37, vcc_lo
	s_delay_alu instid0(VALU_DEP_1) | instskip(NEXT) | instid1(VALU_DEP_1)
	v_lshrrev_b64 v[37:38], s42, v[37:38]
	v_and_b32_e32 v37, s50, v37
	s_delay_alu instid0(VALU_DEP_1) | instskip(SKIP_2) | instid1(SALU_CYCLE_1)
	v_lshl_or_b32 v37, v37, 4, v36
	ds_add_u32 v37, v123
	s_or_b32 exec_lo, exec_lo, s8
	s_mov_b32 s8, exec_lo
	v_cmpx_lt_u32_e64 v89, v2
	s_cbranch_execnz .LBB1126_938
.LBB1126_953:                           ;   in Loop: Header=BB1126_903 Depth=2
	s_or_b32 exec_lo, exec_lo, s8
	s_delay_alu instid0(SALU_CYCLE_1)
	s_mov_b32 s8, exec_lo
	v_cmpx_lt_u32_e64 v90, v2
	s_cbranch_execz .LBB1126_939
.LBB1126_954:                           ;   in Loop: Header=BB1126_903 Depth=2
	v_cmp_gt_i64_e32 vcc_lo, 0, v[10:11]
	v_ashrrev_i32_e32 v37, 31, v11
	s_delay_alu instid0(VALU_DEP_1) | instskip(SKIP_2) | instid1(VALU_DEP_2)
	v_not_b32_e32 v37, v37
	s_waitcnt vmcnt(14)
	v_cndmask_b32_e64 v38, 0x7fffffff, 0, vcc_lo
	v_xor_b32_e32 v37, v37, v10
	s_delay_alu instid0(VALU_DEP_2) | instskip(NEXT) | instid1(VALU_DEP_1)
	v_xor_b32_e32 v38, v38, v11
	v_cmp_ne_u64_e32 vcc_lo, s[36:37], v[37:38]
	v_cndmask_b32_e32 v38, 0x7fffffff, v38, vcc_lo
	v_cndmask_b32_e32 v37, -1, v37, vcc_lo
	s_delay_alu instid0(VALU_DEP_1) | instskip(NEXT) | instid1(VALU_DEP_1)
	v_lshrrev_b64 v[37:38], s42, v[37:38]
	v_and_b32_e32 v37, s50, v37
	s_delay_alu instid0(VALU_DEP_1) | instskip(SKIP_2) | instid1(SALU_CYCLE_1)
	v_lshl_or_b32 v37, v37, 4, v36
	ds_add_u32 v37, v123
	s_or_b32 exec_lo, exec_lo, s8
	s_mov_b32 s8, exec_lo
	v_cmpx_lt_u32_e64 v91, v2
	s_cbranch_execnz .LBB1126_940
.LBB1126_955:                           ;   in Loop: Header=BB1126_903 Depth=2
	s_or_b32 exec_lo, exec_lo, s8
	s_delay_alu instid0(SALU_CYCLE_1)
	s_mov_b32 s8, exec_lo
	v_cmpx_lt_u32_e64 v92, v2
	s_cbranch_execz .LBB1126_941
.LBB1126_956:                           ;   in Loop: Header=BB1126_903 Depth=2
	v_cmp_gt_i64_e32 vcc_lo, 0, v[6:7]
	v_ashrrev_i32_e32 v37, 31, v7
	s_delay_alu instid0(VALU_DEP_1) | instskip(SKIP_2) | instid1(VALU_DEP_2)
	v_not_b32_e32 v37, v37
	s_waitcnt vmcnt(14)
	v_cndmask_b32_e64 v38, 0x7fffffff, 0, vcc_lo
	v_xor_b32_e32 v37, v37, v6
	s_delay_alu instid0(VALU_DEP_2) | instskip(NEXT) | instid1(VALU_DEP_1)
	v_xor_b32_e32 v38, v38, v7
	v_cmp_ne_u64_e32 vcc_lo, s[36:37], v[37:38]
	v_cndmask_b32_e32 v38, 0x7fffffff, v38, vcc_lo
	v_cndmask_b32_e32 v37, -1, v37, vcc_lo
	s_delay_alu instid0(VALU_DEP_1) | instskip(NEXT) | instid1(VALU_DEP_1)
	v_lshrrev_b64 v[37:38], s42, v[37:38]
	v_and_b32_e32 v37, s50, v37
	s_delay_alu instid0(VALU_DEP_1) | instskip(SKIP_2) | instid1(SALU_CYCLE_1)
	v_lshl_or_b32 v37, v37, 4, v36
	ds_add_u32 v37, v123
	s_or_b32 exec_lo, exec_lo, s8
	s_mov_b32 s8, exec_lo
	v_cmpx_lt_u32_e64 v93, v2
	s_cbranch_execnz .LBB1126_942
.LBB1126_957:                           ;   in Loop: Header=BB1126_903 Depth=2
	s_or_b32 exec_lo, exec_lo, s8
	s_delay_alu instid0(SALU_CYCLE_1)
	s_mov_b32 s8, exec_lo
	v_cmpx_lt_u32_e64 v95, v2
	s_cbranch_execz .LBB1126_902
.LBB1126_958:                           ;   in Loop: Header=BB1126_903 Depth=2
	s_waitcnt vmcnt(0)
	v_cmp_gt_i64_e32 vcc_lo, 0, v[34:35]
	v_ashrrev_i32_e32 v2, 31, v35
	s_delay_alu instid0(VALU_DEP_1) | instskip(SKIP_1) | instid1(VALU_DEP_1)
	v_not_b32_e32 v2, v2
	v_cndmask_b32_e64 v37, 0x7fffffff, 0, vcc_lo
	v_xor_b32_e32 v38, v37, v35
	s_delay_alu instid0(VALU_DEP_3) | instskip(NEXT) | instid1(VALU_DEP_1)
	v_xor_b32_e32 v37, v2, v34
	v_cmp_ne_u64_e32 vcc_lo, s[36:37], v[37:38]
	v_cndmask_b32_e32 v38, 0x7fffffff, v38, vcc_lo
	v_cndmask_b32_e32 v37, -1, v37, vcc_lo
	s_delay_alu instid0(VALU_DEP_1) | instskip(NEXT) | instid1(VALU_DEP_1)
	v_lshrrev_b64 v[37:38], s42, v[37:38]
	v_and_b32_e32 v2, s50, v37
	s_delay_alu instid0(VALU_DEP_1)
	v_lshl_or_b32 v2, v2, 4, v36
	ds_add_u32 v2, v123
	s_branch .LBB1126_902
.LBB1126_959:                           ;   in Loop: Header=BB1126_903 Depth=2
	s_or_b32 exec_lo, exec_lo, s9
	s_delay_alu instid0(SALU_CYCLE_1)
	s_mov_b32 s9, exec_lo
	v_cmpx_gt_u32_e64 s1, v77
	s_cbranch_execz .LBB1126_909
.LBB1126_960:                           ;   in Loop: Header=BB1126_903 Depth=2
	global_load_b64 v[30:31], v124, s[10:11] offset:2048
	s_or_b32 exec_lo, exec_lo, s9
	s_delay_alu instid0(SALU_CYCLE_1)
	s_mov_b32 s9, exec_lo
	v_cmpx_gt_u32_e64 s1, v78
	s_cbranch_execnz .LBB1126_910
.LBB1126_961:                           ;   in Loop: Header=BB1126_903 Depth=2
	s_or_b32 exec_lo, exec_lo, s9
	s_delay_alu instid0(SALU_CYCLE_1)
	s_mov_b32 s9, exec_lo
	v_cmpx_gt_u32_e64 s1, v79
	s_cbranch_execz .LBB1126_911
.LBB1126_962:                           ;   in Loop: Header=BB1126_903 Depth=2
	global_load_b64 v[26:27], v126, s[10:11]
	s_or_b32 exec_lo, exec_lo, s9
	s_delay_alu instid0(SALU_CYCLE_1)
	s_mov_b32 s9, exec_lo
	v_cmpx_gt_u32_e64 s1, v83
	s_cbranch_execnz .LBB1126_912
.LBB1126_963:                           ;   in Loop: Header=BB1126_903 Depth=2
	s_or_b32 exec_lo, exec_lo, s9
	s_delay_alu instid0(SALU_CYCLE_1)
	s_mov_b32 s9, exec_lo
	v_cmpx_gt_u32_e64 s1, v84
	s_cbranch_execz .LBB1126_913
.LBB1126_964:                           ;   in Loop: Header=BB1126_903 Depth=2
	global_load_b64 v[22:23], v128, s[10:11]
	s_or_b32 exec_lo, exec_lo, s9
	s_delay_alu instid0(SALU_CYCLE_1)
	s_mov_b32 s9, exec_lo
	v_cmpx_gt_u32_e64 s1, v85
	s_cbranch_execnz .LBB1126_914
.LBB1126_965:                           ;   in Loop: Header=BB1126_903 Depth=2
	s_or_b32 exec_lo, exec_lo, s9
	s_delay_alu instid0(SALU_CYCLE_1)
	s_mov_b32 s9, exec_lo
	v_cmpx_gt_u32_e64 s1, v86
	s_cbranch_execz .LBB1126_915
.LBB1126_966:                           ;   in Loop: Header=BB1126_903 Depth=2
	global_load_b64 v[18:19], v130, s[10:11]
	s_or_b32 exec_lo, exec_lo, s9
	s_delay_alu instid0(SALU_CYCLE_1)
	s_mov_b32 s9, exec_lo
	v_cmpx_gt_u32_e64 s1, v87
	s_cbranch_execnz .LBB1126_916
.LBB1126_967:                           ;   in Loop: Header=BB1126_903 Depth=2
	s_or_b32 exec_lo, exec_lo, s9
	s_delay_alu instid0(SALU_CYCLE_1)
	s_mov_b32 s9, exec_lo
	v_cmpx_gt_u32_e64 s1, v88
	s_cbranch_execz .LBB1126_917
.LBB1126_968:                           ;   in Loop: Header=BB1126_903 Depth=2
	global_load_b64 v[14:15], v132, s[10:11]
	s_or_b32 exec_lo, exec_lo, s9
	s_delay_alu instid0(SALU_CYCLE_1)
	s_mov_b32 s9, exec_lo
	v_cmpx_gt_u32_e64 s1, v89
	s_cbranch_execnz .LBB1126_918
.LBB1126_969:                           ;   in Loop: Header=BB1126_903 Depth=2
	s_or_b32 exec_lo, exec_lo, s9
	s_delay_alu instid0(SALU_CYCLE_1)
	s_mov_b32 s9, exec_lo
	v_cmpx_gt_u32_e64 s1, v90
	s_cbranch_execz .LBB1126_919
.LBB1126_970:                           ;   in Loop: Header=BB1126_903 Depth=2
	global_load_b64 v[10:11], v134, s[10:11]
	s_or_b32 exec_lo, exec_lo, s9
	s_delay_alu instid0(SALU_CYCLE_1)
	s_mov_b32 s9, exec_lo
	v_cmpx_gt_u32_e64 s1, v91
	s_cbranch_execnz .LBB1126_920
.LBB1126_971:                           ;   in Loop: Header=BB1126_903 Depth=2
	s_or_b32 exec_lo, exec_lo, s9
	s_delay_alu instid0(SALU_CYCLE_1)
	s_mov_b32 s9, exec_lo
	v_cmpx_gt_u32_e64 s1, v92
	s_cbranch_execz .LBB1126_921
.LBB1126_972:                           ;   in Loop: Header=BB1126_903 Depth=2
	v_lshlrev_b32_e32 v2, 3, v92
	global_load_b64 v[6:7], v2, s[10:11]
	s_or_b32 exec_lo, exec_lo, s9
	s_delay_alu instid0(SALU_CYCLE_1)
	s_mov_b32 s9, exec_lo
	v_cmpx_gt_u32_e64 s1, v93
	s_cbranch_execz .LBB1126_923
	s_branch .LBB1126_922
.LBB1126_973:                           ;   in Loop: Header=BB1126_12 Depth=1
	v_mov_b32_e32 v2, 0
	s_waitcnt vmcnt(0) lgkmcnt(0)
	s_barrier
	buffer_gl0_inv
	s_and_saveexec_b32 s1, s2
	s_cbranch_execz .LBB1126_975
; %bb.974:                              ;   in Loop: Header=BB1126_12 Depth=1
	ds_load_2addr_b64 v[4:7], v96 offset1:1
	s_waitcnt lgkmcnt(0)
	v_add_nc_u32_e32 v2, v5, v4
	s_delay_alu instid0(VALU_DEP_1)
	v_add3_u32 v2, v2, v6, v7
.LBB1126_975:                           ;   in Loop: Header=BB1126_12 Depth=1
	s_or_b32 exec_lo, exec_lo, s1
	v_and_b32_e32 v4, 15, v136
	s_delay_alu instid0(VALU_DEP_2) | instskip(SKIP_1) | instid1(VALU_DEP_3)
	v_mov_b32_dpp v5, v2 row_shr:1 row_mask:0xf bank_mask:0xf
	v_and_b32_e32 v6, 16, v136
	v_cmp_eq_u32_e64 s1, 0, v4
	v_cmp_lt_u32_e64 s7, 1, v4
	v_cmp_lt_u32_e64 s8, 3, v4
	;; [unrolled: 1-line block ×3, first 2 shown]
	v_cmp_eq_u32_e64 s10, 0, v6
	v_cndmask_b32_e64 v5, v5, 0, s1
	s_delay_alu instid0(VALU_DEP_1) | instskip(NEXT) | instid1(VALU_DEP_1)
	v_add_nc_u32_e32 v2, v5, v2
	v_mov_b32_dpp v5, v2 row_shr:2 row_mask:0xf bank_mask:0xf
	s_delay_alu instid0(VALU_DEP_1) | instskip(NEXT) | instid1(VALU_DEP_1)
	v_cndmask_b32_e64 v5, 0, v5, s7
	v_add_nc_u32_e32 v2, v2, v5
	s_delay_alu instid0(VALU_DEP_1) | instskip(NEXT) | instid1(VALU_DEP_1)
	v_mov_b32_dpp v5, v2 row_shr:4 row_mask:0xf bank_mask:0xf
	v_cndmask_b32_e64 v5, 0, v5, s8
	s_delay_alu instid0(VALU_DEP_1) | instskip(NEXT) | instid1(VALU_DEP_1)
	v_add_nc_u32_e32 v2, v2, v5
	v_mov_b32_dpp v5, v2 row_shr:8 row_mask:0xf bank_mask:0xf
	s_delay_alu instid0(VALU_DEP_1) | instskip(SKIP_1) | instid1(VALU_DEP_2)
	v_cndmask_b32_e64 v4, 0, v5, s9
	v_bfe_i32 v5, v136, 4, 1
	v_add_nc_u32_e32 v2, v2, v4
	ds_swizzle_b32 v4, v2 offset:swizzle(BROADCAST,32,15)
	s_waitcnt lgkmcnt(0)
	v_and_b32_e32 v4, v5, v4
	s_delay_alu instid0(VALU_DEP_1)
	v_add_nc_u32_e32 v4, v2, v4
	s_and_saveexec_b32 s11, s3
	s_cbranch_execz .LBB1126_977
; %bb.976:                              ;   in Loop: Header=BB1126_12 Depth=1
	ds_store_b32 v97, v4
.LBB1126_977:                           ;   in Loop: Header=BB1126_12 Depth=1
	s_or_b32 exec_lo, exec_lo, s11
	v_and_b32_e32 v2, 7, v136
	s_waitcnt lgkmcnt(0)
	s_barrier
	buffer_gl0_inv
	s_and_saveexec_b32 s11, s4
	s_cbranch_execz .LBB1126_979
; %bb.978:                              ;   in Loop: Header=BB1126_12 Depth=1
	ds_load_b32 v5, v98
	v_cmp_ne_u32_e32 vcc_lo, 0, v2
	s_waitcnt lgkmcnt(0)
	v_mov_b32_dpp v6, v5 row_shr:1 row_mask:0xf bank_mask:0xf
	s_delay_alu instid0(VALU_DEP_1) | instskip(SKIP_1) | instid1(VALU_DEP_2)
	v_cndmask_b32_e32 v6, 0, v6, vcc_lo
	v_cmp_lt_u32_e32 vcc_lo, 1, v2
	v_add_nc_u32_e32 v5, v6, v5
	s_delay_alu instid0(VALU_DEP_1) | instskip(NEXT) | instid1(VALU_DEP_1)
	v_mov_b32_dpp v6, v5 row_shr:2 row_mask:0xf bank_mask:0xf
	v_cndmask_b32_e32 v6, 0, v6, vcc_lo
	v_cmp_lt_u32_e32 vcc_lo, 3, v2
	s_delay_alu instid0(VALU_DEP_2) | instskip(NEXT) | instid1(VALU_DEP_1)
	v_add_nc_u32_e32 v5, v5, v6
	v_mov_b32_dpp v6, v5 row_shr:4 row_mask:0xf bank_mask:0xf
	s_delay_alu instid0(VALU_DEP_1) | instskip(NEXT) | instid1(VALU_DEP_1)
	v_cndmask_b32_e32 v6, 0, v6, vcc_lo
	v_add_nc_u32_e32 v5, v5, v6
	ds_store_b32 v98, v5
.LBB1126_979:                           ;   in Loop: Header=BB1126_12 Depth=1
	s_or_b32 exec_lo, exec_lo, s11
	v_mov_b32_e32 v5, 0
	s_waitcnt lgkmcnt(0)
	s_barrier
	buffer_gl0_inv
	s_and_saveexec_b32 s11, s5
	s_cbranch_execz .LBB1126_981
; %bb.980:                              ;   in Loop: Header=BB1126_12 Depth=1
	ds_load_b32 v5, v99
.LBB1126_981:                           ;   in Loop: Header=BB1126_12 Depth=1
	s_or_b32 exec_lo, exec_lo, s11
	v_add_nc_u32_e32 v6, -1, v136
	s_waitcnt lgkmcnt(0)
	v_add_nc_u32_e32 v4, v5, v4
	v_cmp_eq_u32_e64 s11, 0, v136
	s_barrier
	v_cmp_gt_i32_e32 vcc_lo, 0, v6
	buffer_gl0_inv
	v_cndmask_b32_e32 v6, v6, v136, vcc_lo
	s_delay_alu instid0(VALU_DEP_1)
	v_lshlrev_b32_e32 v137, 2, v6
	ds_bpermute_b32 v4, v137, v4
	s_and_saveexec_b32 s12, s2
	s_cbranch_execz .LBB1126_983
; %bb.982:                              ;   in Loop: Header=BB1126_12 Depth=1
	s_waitcnt lgkmcnt(0)
	v_cndmask_b32_e64 v4, v4, v5, s11
	s_delay_alu instid0(VALU_DEP_1)
	v_add_nc_u32_e32 v4, s33, v4
	ds_store_b32 v76, v4
.LBB1126_983:                           ;   in Loop: Header=BB1126_12 Depth=1
	s_or_b32 exec_lo, exec_lo, s12
	s_load_b64 s[12:13], s[38:39], 0x0
	v_lshlrev_b32_e32 v7, 3, v136
	v_cmp_lt_u32_e64 s14, 3, v2
	v_or_b32_e32 v138, v136, v100
	s_mov_b32 s51, s62
	s_mov_b32 s40, s33
	v_add_co_u32 v139, vcc_lo, v119, v7
	v_add_co_ci_u32_e32 v140, vcc_lo, 0, v120, vcc_lo
	v_add_co_u32 v156, vcc_lo, v121, v7
	v_add_co_ci_u32_e32 v157, vcc_lo, 0, v122, vcc_lo
	v_or_b32_e32 v141, 32, v138
	s_delay_alu instid0(VALU_DEP_3)
	v_add_co_u32 v159, vcc_lo, 0xf00, v156
	v_or_b32_e32 v142, 64, v138
	v_or_b32_e32 v143, 0x60, v138
	;; [unrolled: 1-line block ×3, first 2 shown]
	s_waitcnt lgkmcnt(0)
	s_cmp_lt_u32 s15, s13
	v_or_b32_e32 v145, 0xa0, v138
	s_cselect_b32 s13, 14, 20
	v_or_b32_e32 v146, 0xc0, v138
	s_add_u32 s16, s38, s13
	s_addc_u32 s17, s39, 0
	s_cmp_lt_u32 s34, s12
	global_load_u16 v4, v3, s[16:17]
	s_cselect_b32 s12, 12, 18
	v_or_b32_e32 v147, 0xe0, v138
	s_add_u32 s12, s38, s12
	s_addc_u32 s13, s39, 0
	v_or_b32_e32 v148, 0x100, v138
	global_load_u16 v6, v3, s[12:13]
	v_cmp_eq_u32_e64 s12, 0, v2
	v_cmp_lt_u32_e64 s13, 1, v2
	v_or_b32_e32 v149, 0x120, v138
	v_or_b32_e32 v150, 0x140, v138
	;; [unrolled: 1-line block ×7, first 2 shown]
	v_add_co_ci_u32_e32 v160, vcc_lo, 0, v157, vcc_lo
                                        ; implicit-def: $vgpr8_vgpr9
                                        ; implicit-def: $vgpr10_vgpr11
                                        ; implicit-def: $vgpr12_vgpr13
                                        ; implicit-def: $vgpr14_vgpr15
                                        ; implicit-def: $vgpr16_vgpr17
                                        ; implicit-def: $vgpr18_vgpr19
                                        ; implicit-def: $vgpr20_vgpr21
                                        ; implicit-def: $vgpr22_vgpr23
                                        ; implicit-def: $vgpr24_vgpr25
                                        ; implicit-def: $vgpr26_vgpr27
                                        ; implicit-def: $vgpr28_vgpr29
                                        ; implicit-def: $vgpr30_vgpr31
                                        ; implicit-def: $vgpr32_vgpr33
                                        ; implicit-def: $vgpr34_vgpr35
                                        ; implicit-def: $vgpr161
                                        ; implicit-def: $vgpr162
                                        ; implicit-def: $vgpr163
                                        ; implicit-def: $vgpr164
                                        ; implicit-def: $vgpr165
                                        ; implicit-def: $vgpr166
                                        ; implicit-def: $vgpr167
                                        ; implicit-def: $vgpr168
                                        ; implicit-def: $vgpr169
                                        ; implicit-def: $vgpr170
                                        ; implicit-def: $vgpr171
                                        ; implicit-def: $vgpr172
                                        ; implicit-def: $vgpr173
                                        ; implicit-def: $vgpr174
                                        ; implicit-def: $vgpr175
                                        ; implicit-def: $vgpr176
	s_waitcnt vmcnt(1)
	v_mad_u32_u24 v2, v101, v4, v0
	s_waitcnt vmcnt(0)
	s_delay_alu instid0(VALU_DEP_1) | instskip(NEXT) | instid1(VALU_DEP_1)
	v_mad_u64_u32 v[4:5], null, v2, v6, v[1:2]
                                        ; implicit-def: $vgpr6_vgpr7
	v_lshrrev_b32_e32 v158, 5, v4
                                        ; implicit-def: $vgpr4_vgpr5
	s_branch .LBB1126_985
.LBB1126_984:                           ;   in Loop: Header=BB1126_985 Depth=2
	s_or_b32 exec_lo, exec_lo, s16
	s_addk_i32 s51, 0xf000
	s_cmp_lt_u32 s56, s35
	s_mov_b32 s40, s56
	s_cbranch_scc0 .LBB1126_10
.LBB1126_985:                           ;   Parent Loop BB1126_12 Depth=1
                                        ; =>  This Inner Loop Header: Depth=2
	s_add_i32 s56, s40, 0x1000
	s_delay_alu instid0(SALU_CYCLE_1)
	s_cmp_gt_u32 s56, s35
	s_cbranch_scc1 .LBB1126_988
; %bb.986:                              ;   in Loop: Header=BB1126_985 Depth=2
	s_mov_b32 s41, 0
	s_mov_b32 s19, -1
	s_lshl_b64 s[16:17], s[40:41], 3
	s_movk_i32 s18, 0x1000
	v_add_co_u32 v40, vcc_lo, v156, s16
	v_add_co_ci_u32_e32 v41, vcc_lo, s17, v157, vcc_lo
	s_clause 0xe
	global_load_b64 v[36:37], v[40:41], off
	global_load_b64 v[38:39], v[40:41], off offset:256
	global_load_b64 v[44:45], v[40:41], off offset:512
	global_load_b64 v[48:49], v[40:41], off offset:768
	global_load_b64 v[54:55], v[40:41], off offset:1024
	global_load_b64 v[58:59], v[40:41], off offset:1280
	global_load_b64 v[62:63], v[40:41], off offset:1536
	global_load_b64 v[66:67], v[40:41], off offset:1792
	global_load_b64 v[64:65], v[40:41], off offset:2048
	global_load_b64 v[60:61], v[40:41], off offset:2304
	global_load_b64 v[56:57], v[40:41], off offset:2560
	global_load_b64 v[52:53], v[40:41], off offset:2816
	global_load_b64 v[50:51], v[40:41], off offset:3072
	global_load_b64 v[46:47], v[40:41], off offset:3328
	global_load_b64 v[40:41], v[40:41], off offset:3584
	s_cbranch_execz .LBB1126_989
; %bb.987:                              ;   in Loop: Header=BB1126_985 Depth=2
                                        ; implicit-def: $sgpr16_sgpr17
	s_branch .LBB1126_1020
.LBB1126_988:                           ;   in Loop: Header=BB1126_985 Depth=2
	s_mov_b32 s41, -1
	s_mov_b32 s19, 0
                                        ; implicit-def: $sgpr18
                                        ; implicit-def: $vgpr36_vgpr37
                                        ; implicit-def: $vgpr38_vgpr39
                                        ; implicit-def: $vgpr44_vgpr45
                                        ; implicit-def: $vgpr48_vgpr49
                                        ; implicit-def: $vgpr54_vgpr55
                                        ; implicit-def: $vgpr58_vgpr59
                                        ; implicit-def: $vgpr62_vgpr63
                                        ; implicit-def: $vgpr66_vgpr67
                                        ; implicit-def: $vgpr64_vgpr65
                                        ; implicit-def: $vgpr60_vgpr61
                                        ; implicit-def: $vgpr56_vgpr57
                                        ; implicit-def: $vgpr52_vgpr53
                                        ; implicit-def: $vgpr50_vgpr51
                                        ; implicit-def: $vgpr46_vgpr47
                                        ; implicit-def: $vgpr40_vgpr41
.LBB1126_989:                           ;   in Loop: Header=BB1126_985 Depth=2
	s_mov_b32 s41, s36
	s_waitcnt vmcnt(13)
	v_mov_b32_e32 v38, -1
	v_mov_b32_e32 v39, -1
	s_lshl_b64 s[16:17], s[40:41], 3
	s_delay_alu instid0(VALU_DEP_2) | instskip(SKIP_1) | instid1(VALU_DEP_3)
	v_mov_b32_e32 v36, v38
	v_add_co_u32 v42, vcc_lo, v156, s16
	v_mov_b32_e32 v37, v39
	v_add_co_ci_u32_e32 v43, vcc_lo, s17, v157, vcc_lo
	s_mov_b32 s16, exec_lo
	v_cmpx_gt_u32_e64 s51, v138
	s_cbranch_execz .LBB1126_991
; %bb.990:                              ;   in Loop: Header=BB1126_985 Depth=2
	global_load_b64 v[36:37], v[42:43], off
.LBB1126_991:                           ;   in Loop: Header=BB1126_985 Depth=2
	s_or_b32 exec_lo, exec_lo, s16
	s_delay_alu instid0(SALU_CYCLE_1)
	s_mov_b32 s16, exec_lo
	v_cmpx_gt_u32_e64 s51, v141
	s_cbranch_execz .LBB1126_993
; %bb.992:                              ;   in Loop: Header=BB1126_985 Depth=2
	global_load_b64 v[38:39], v[42:43], off offset:256
.LBB1126_993:                           ;   in Loop: Header=BB1126_985 Depth=2
	s_or_b32 exec_lo, exec_lo, s16
	s_waitcnt vmcnt(11)
	v_mov_b32_e32 v48, -1
	v_mov_b32_e32 v49, -1
	s_delay_alu instid0(VALU_DEP_2) | instskip(SKIP_1) | instid1(VALU_DEP_2)
	v_mov_b32_e32 v44, v48
	s_mov_b32 s16, exec_lo
	v_mov_b32_e32 v45, v49
	v_cmpx_gt_u32_e64 s51, v142
	s_cbranch_execz .LBB1126_995
; %bb.994:                              ;   in Loop: Header=BB1126_985 Depth=2
	global_load_b64 v[44:45], v[42:43], off offset:512
.LBB1126_995:                           ;   in Loop: Header=BB1126_985 Depth=2
	s_or_b32 exec_lo, exec_lo, s16
	s_delay_alu instid0(SALU_CYCLE_1)
	s_mov_b32 s16, exec_lo
	v_cmpx_gt_u32_e64 s51, v143
	s_cbranch_execz .LBB1126_997
; %bb.996:                              ;   in Loop: Header=BB1126_985 Depth=2
	global_load_b64 v[48:49], v[42:43], off offset:768
.LBB1126_997:                           ;   in Loop: Header=BB1126_985 Depth=2
	s_or_b32 exec_lo, exec_lo, s16
	s_waitcnt vmcnt(9)
	v_mov_b32_e32 v58, -1
	v_mov_b32_e32 v59, -1
	s_delay_alu instid0(VALU_DEP_2) | instskip(SKIP_1) | instid1(VALU_DEP_2)
	v_mov_b32_e32 v54, v58
	s_mov_b32 s16, exec_lo
	v_mov_b32_e32 v55, v59
	v_cmpx_gt_u32_e64 s51, v144
	s_cbranch_execz .LBB1126_999
; %bb.998:                              ;   in Loop: Header=BB1126_985 Depth=2
	global_load_b64 v[54:55], v[42:43], off offset:1024
.LBB1126_999:                           ;   in Loop: Header=BB1126_985 Depth=2
	s_or_b32 exec_lo, exec_lo, s16
	s_delay_alu instid0(SALU_CYCLE_1)
	s_mov_b32 s16, exec_lo
	v_cmpx_gt_u32_e64 s51, v145
	s_cbranch_execz .LBB1126_1001
; %bb.1000:                             ;   in Loop: Header=BB1126_985 Depth=2
	global_load_b64 v[58:59], v[42:43], off offset:1280
.LBB1126_1001:                          ;   in Loop: Header=BB1126_985 Depth=2
	s_or_b32 exec_lo, exec_lo, s16
	s_waitcnt vmcnt(7)
	v_mov_b32_e32 v66, -1
	v_mov_b32_e32 v67, -1
	s_delay_alu instid0(VALU_DEP_2) | instskip(SKIP_1) | instid1(VALU_DEP_2)
	v_mov_b32_e32 v62, v66
	s_mov_b32 s16, exec_lo
	v_mov_b32_e32 v63, v67
	v_cmpx_gt_u32_e64 s51, v146
	s_cbranch_execz .LBB1126_1003
; %bb.1002:                             ;   in Loop: Header=BB1126_985 Depth=2
	global_load_b64 v[62:63], v[42:43], off offset:1536
.LBB1126_1003:                          ;   in Loop: Header=BB1126_985 Depth=2
	s_or_b32 exec_lo, exec_lo, s16
	s_delay_alu instid0(SALU_CYCLE_1)
	s_mov_b32 s16, exec_lo
	v_cmpx_gt_u32_e64 s51, v147
	s_cbranch_execz .LBB1126_1005
; %bb.1004:                             ;   in Loop: Header=BB1126_985 Depth=2
	global_load_b64 v[66:67], v[42:43], off offset:1792
.LBB1126_1005:                          ;   in Loop: Header=BB1126_985 Depth=2
	s_or_b32 exec_lo, exec_lo, s16
	s_waitcnt vmcnt(5)
	v_mov_b32_e32 v60, -1
	v_mov_b32_e32 v61, -1
	s_mov_b32 s16, exec_lo
	s_delay_alu instid0(VALU_DEP_1)
	v_dual_mov_b32 v65, v61 :: v_dual_mov_b32 v64, v60
	v_cmpx_gt_u32_e64 s51, v148
	s_cbranch_execz .LBB1126_1007
; %bb.1006:                             ;   in Loop: Header=BB1126_985 Depth=2
	global_load_b64 v[64:65], v[42:43], off offset:2048
.LBB1126_1007:                          ;   in Loop: Header=BB1126_985 Depth=2
	s_or_b32 exec_lo, exec_lo, s16
	s_delay_alu instid0(SALU_CYCLE_1)
	s_mov_b32 s16, exec_lo
	v_cmpx_gt_u32_e64 s51, v149
	s_cbranch_execz .LBB1126_1009
; %bb.1008:                             ;   in Loop: Header=BB1126_985 Depth=2
	global_load_b64 v[60:61], v[42:43], off offset:2304
.LBB1126_1009:                          ;   in Loop: Header=BB1126_985 Depth=2
	s_or_b32 exec_lo, exec_lo, s16
	s_waitcnt vmcnt(3)
	v_mov_b32_e32 v52, -1
	v_mov_b32_e32 v53, -1
	s_mov_b32 s16, exec_lo
	s_delay_alu instid0(VALU_DEP_1)
	v_dual_mov_b32 v57, v53 :: v_dual_mov_b32 v56, v52
	;; [unrolled: 20-line block ×3, first 2 shown]
	v_cmpx_gt_u32_e64 s51, v152
	s_cbranch_execz .LBB1126_1015
; %bb.1014:                             ;   in Loop: Header=BB1126_985 Depth=2
	global_load_b64 v[50:51], v[42:43], off offset:3072
.LBB1126_1015:                          ;   in Loop: Header=BB1126_985 Depth=2
	s_or_b32 exec_lo, exec_lo, s16
	s_delay_alu instid0(SALU_CYCLE_1)
	s_mov_b32 s16, exec_lo
	v_cmpx_gt_u32_e64 s51, v153
	s_cbranch_execz .LBB1126_1017
; %bb.1016:                             ;   in Loop: Header=BB1126_985 Depth=2
	global_load_b64 v[46:47], v[42:43], off offset:3328
.LBB1126_1017:                          ;   in Loop: Header=BB1126_985 Depth=2
	s_or_b32 exec_lo, exec_lo, s16
	s_waitcnt vmcnt(0)
	v_mov_b32_e32 v40, -1
	v_mov_b32_e32 v41, -1
	s_mov_b32 s16, exec_lo
	v_cmpx_gt_u32_e64 s51, v154
	s_cbranch_execz .LBB1126_1019
; %bb.1018:                             ;   in Loop: Header=BB1126_985 Depth=2
	global_load_b64 v[40:41], v[42:43], off offset:3584
.LBB1126_1019:                          ;   in Loop: Header=BB1126_985 Depth=2
	s_or_b32 exec_lo, exec_lo, s16
	v_cmp_gt_u32_e64 s19, s51, v155
	s_sub_i32 s18, s35, s40
	s_mov_b64 s[16:17], -1
.LBB1126_1020:                          ;   in Loop: Header=BB1126_985 Depth=2
	s_delay_alu instid0(SALU_CYCLE_1)
	v_dual_mov_b32 v43, s17 :: v_dual_mov_b32 v42, s16
	v_mov_b32_e32 v177, s51
	s_and_saveexec_b32 s16, s19
	s_cbranch_execz .LBB1126_1022
; %bb.1021:                             ;   in Loop: Header=BB1126_985 Depth=2
	s_lshl_b64 s[20:21], s[40:41], 3
	v_mov_b32_e32 v177, s18
	v_add_co_u32 v42, vcc_lo, v159, s20
	v_add_co_ci_u32_e32 v43, vcc_lo, s21, v160, vcc_lo
	global_load_b64 v[42:43], v[42:43], off
.LBB1126_1022:                          ;   in Loop: Header=BB1126_985 Depth=2
	s_or_b32 exec_lo, exec_lo, s16
	s_waitcnt vmcnt(14)
	v_cmp_gt_i64_e32 vcc_lo, 0, v[36:37]
	v_ashrrev_i32_e32 v2, 31, v37
	ds_store_b32 v102, v3 offset:1056
	ds_store_2addr_b32 v103, v3, v3 offset0:1 offset1:2
	ds_store_2addr_b32 v103, v3, v3 offset0:3 offset1:4
	;; [unrolled: 1-line block ×4, first 2 shown]
	s_waitcnt vmcnt(0) lgkmcnt(0)
	s_barrier
	v_cndmask_b32_e64 v68, 0x7fffffff, 0, vcc_lo
	v_not_b32_e32 v2, v2
	buffer_gl0_inv
	; wave barrier
	v_xor_b32_e32 v37, v68, v37
	v_xor_b32_e32 v36, v2, v36
	s_delay_alu instid0(VALU_DEP_1) | instskip(SKIP_2) | instid1(VALU_DEP_1)
	v_cmp_ne_u64_e32 vcc_lo, s[36:37], v[36:37]
	v_cndmask_b32_e32 v69, 0x7fffffff, v37, vcc_lo
	v_cndmask_b32_e32 v68, -1, v36, vcc_lo
	v_lshrrev_b64 v[68:69], s42, v[68:69]
	s_delay_alu instid0(VALU_DEP_1) | instskip(NEXT) | instid1(VALU_DEP_1)
	v_and_b32_e32 v69, s50, v68
	v_lshlrev_b32_e32 v71, 28, v69
	v_and_b32_e32 v2, 1, v69
	v_lshlrev_b32_e32 v68, 30, v69
	v_lshlrev_b32_e32 v70, 29, v69
	;; [unrolled: 1-line block ×4, first 2 shown]
	v_add_co_u32 v2, s16, v2, -1
	s_delay_alu instid0(VALU_DEP_1)
	v_cndmask_b32_e64 v72, 0, 1, s16
	v_not_b32_e32 v178, v68
	v_cmp_gt_i32_e64 s16, 0, v68
	v_not_b32_e32 v68, v70
	v_lshlrev_b32_e32 v75, 25, v69
	v_cmp_ne_u32_e32 vcc_lo, 0, v72
	v_ashrrev_i32_e32 v178, 31, v178
	v_lshlrev_b32_e32 v72, 24, v69
	v_ashrrev_i32_e32 v68, 31, v68
	v_mad_u32_u24 v69, v69, 9, v158
	v_xor_b32_e32 v2, vcc_lo, v2
	v_cmp_gt_i32_e32 vcc_lo, 0, v70
	v_not_b32_e32 v70, v71
	v_xor_b32_e32 v178, s16, v178
	v_cmp_gt_i32_e64 s16, 0, v71
	v_and_b32_e32 v2, exec_lo, v2
	v_not_b32_e32 v71, v73
	v_ashrrev_i32_e32 v70, 31, v70
	v_xor_b32_e32 v68, vcc_lo, v68
	v_cmp_gt_i32_e32 vcc_lo, 0, v73
	v_and_b32_e32 v2, v2, v178
	v_not_b32_e32 v73, v74
	v_ashrrev_i32_e32 v71, 31, v71
	v_xor_b32_e32 v70, s16, v70
	v_cmp_gt_i32_e64 s16, 0, v74
	v_and_b32_e32 v2, v2, v68
	v_not_b32_e32 v68, v75
	v_ashrrev_i32_e32 v73, 31, v73
	v_xor_b32_e32 v71, vcc_lo, v71
	v_cmp_gt_i32_e32 vcc_lo, 0, v75
	v_and_b32_e32 v2, v2, v70
	v_not_b32_e32 v70, v72
	v_ashrrev_i32_e32 v68, 31, v68
	v_xor_b32_e32 v73, s16, v73
	v_cmp_gt_i32_e64 s16, 0, v72
	v_and_b32_e32 v2, v2, v71
	v_ashrrev_i32_e32 v70, 31, v70
	v_xor_b32_e32 v68, vcc_lo, v68
	v_lshl_add_u32 v178, v69, 2, 0x420
	s_delay_alu instid0(VALU_DEP_4) | instskip(NEXT) | instid1(VALU_DEP_4)
	v_and_b32_e32 v2, v2, v73
	v_xor_b32_e32 v70, s16, v70
	s_delay_alu instid0(VALU_DEP_2) | instskip(NEXT) | instid1(VALU_DEP_1)
	v_and_b32_e32 v2, v2, v68
	v_and_b32_e32 v68, v2, v70
	s_delay_alu instid0(VALU_DEP_1) | instskip(SKIP_1) | instid1(VALU_DEP_2)
	v_mbcnt_lo_u32_b32 v2, v68, 0
	v_cmp_ne_u32_e64 s16, 0, v68
	v_cmp_eq_u32_e32 vcc_lo, 0, v2
	s_delay_alu instid0(VALU_DEP_2) | instskip(NEXT) | instid1(SALU_CYCLE_1)
	s_and_b32 s17, s16, vcc_lo
	s_and_saveexec_b32 s16, s17
	s_cbranch_execz .LBB1126_1024
; %bb.1023:                             ;   in Loop: Header=BB1126_985 Depth=2
	v_bcnt_u32_b32 v68, v68, 0
	ds_store_b32 v178, v68
.LBB1126_1024:                          ;   in Loop: Header=BB1126_985 Depth=2
	s_or_b32 exec_lo, exec_lo, s16
	v_cmp_gt_i64_e32 vcc_lo, 0, v[38:39]
	v_ashrrev_i32_e32 v68, 31, v39
	; wave barrier
	s_delay_alu instid0(VALU_DEP_1) | instskip(SKIP_1) | instid1(VALU_DEP_2)
	v_not_b32_e32 v68, v68
	v_cndmask_b32_e64 v69, 0x7fffffff, 0, vcc_lo
	v_xor_b32_e32 v38, v68, v38
	s_delay_alu instid0(VALU_DEP_2) | instskip(NEXT) | instid1(VALU_DEP_1)
	v_xor_b32_e32 v39, v69, v39
	v_cmp_ne_u64_e32 vcc_lo, s[36:37], v[38:39]
	v_cndmask_b32_e32 v69, 0x7fffffff, v39, vcc_lo
	v_cndmask_b32_e32 v68, -1, v38, vcc_lo
	s_delay_alu instid0(VALU_DEP_1) | instskip(NEXT) | instid1(VALU_DEP_1)
	v_lshrrev_b64 v[68:69], s42, v[68:69]
	v_and_b32_e32 v68, s50, v68
	s_delay_alu instid0(VALU_DEP_1)
	v_and_b32_e32 v69, 1, v68
	v_lshlrev_b32_e32 v70, 30, v68
	v_lshlrev_b32_e32 v71, 29, v68
	;; [unrolled: 1-line block ×4, first 2 shown]
	v_add_co_u32 v69, s16, v69, -1
	s_delay_alu instid0(VALU_DEP_1)
	v_cndmask_b32_e64 v73, 0, 1, s16
	v_not_b32_e32 v180, v70
	v_cmp_gt_i32_e64 s16, 0, v70
	v_not_b32_e32 v70, v71
	v_lshlrev_b32_e32 v75, 26, v68
	v_cmp_ne_u32_e32 vcc_lo, 0, v73
	v_ashrrev_i32_e32 v180, 31, v180
	v_lshlrev_b32_e32 v179, 25, v68
	v_ashrrev_i32_e32 v70, 31, v70
	v_lshlrev_b32_e32 v73, 24, v68
	v_xor_b32_e32 v69, vcc_lo, v69
	v_cmp_gt_i32_e32 vcc_lo, 0, v71
	v_not_b32_e32 v71, v72
	v_xor_b32_e32 v180, s16, v180
	v_cmp_gt_i32_e64 s16, 0, v72
	v_and_b32_e32 v69, exec_lo, v69
	v_not_b32_e32 v72, v74
	v_ashrrev_i32_e32 v71, 31, v71
	v_xor_b32_e32 v70, vcc_lo, v70
	v_cmp_gt_i32_e32 vcc_lo, 0, v74
	v_and_b32_e32 v69, v69, v180
	v_not_b32_e32 v74, v75
	v_ashrrev_i32_e32 v72, 31, v72
	v_xor_b32_e32 v71, s16, v71
	v_cmp_gt_i32_e64 s16, 0, v75
	v_and_b32_e32 v69, v69, v70
	v_not_b32_e32 v70, v179
	v_ashrrev_i32_e32 v74, 31, v74
	v_xor_b32_e32 v72, vcc_lo, v72
	v_cmp_gt_i32_e32 vcc_lo, 0, v179
	v_and_b32_e32 v69, v69, v71
	v_not_b32_e32 v71, v73
	v_ashrrev_i32_e32 v70, 31, v70
	v_xor_b32_e32 v74, s16, v74
	v_mul_u32_u24_e32 v68, 9, v68
	v_and_b32_e32 v69, v69, v72
	v_cmp_gt_i32_e64 s16, 0, v73
	v_ashrrev_i32_e32 v71, 31, v71
	v_xor_b32_e32 v70, vcc_lo, v70
	v_add_lshl_u32 v72, v68, v158, 2
	v_and_b32_e32 v69, v69, v74
	s_delay_alu instid0(VALU_DEP_4) | instskip(SKIP_3) | instid1(VALU_DEP_2)
	v_xor_b32_e32 v68, s16, v71
	ds_load_b32 v179, v72 offset:1056
	v_and_b32_e32 v69, v69, v70
	v_add_nc_u32_e32 v181, 0x420, v72
	; wave barrier
	v_and_b32_e32 v68, v69, v68
	s_delay_alu instid0(VALU_DEP_1) | instskip(SKIP_1) | instid1(VALU_DEP_2)
	v_mbcnt_lo_u32_b32 v180, v68, 0
	v_cmp_ne_u32_e64 s16, 0, v68
	v_cmp_eq_u32_e32 vcc_lo, 0, v180
	s_delay_alu instid0(VALU_DEP_2) | instskip(NEXT) | instid1(SALU_CYCLE_1)
	s_and_b32 s17, s16, vcc_lo
	s_and_saveexec_b32 s16, s17
	s_cbranch_execz .LBB1126_1026
; %bb.1025:                             ;   in Loop: Header=BB1126_985 Depth=2
	s_waitcnt lgkmcnt(0)
	v_bcnt_u32_b32 v68, v68, v179
	ds_store_b32 v181, v68
.LBB1126_1026:                          ;   in Loop: Header=BB1126_985 Depth=2
	s_or_b32 exec_lo, exec_lo, s16
	v_cmp_gt_i64_e32 vcc_lo, 0, v[44:45]
	v_ashrrev_i32_e32 v68, 31, v45
	; wave barrier
	s_delay_alu instid0(VALU_DEP_1) | instskip(SKIP_1) | instid1(VALU_DEP_2)
	v_not_b32_e32 v68, v68
	v_cndmask_b32_e64 v69, 0x7fffffff, 0, vcc_lo
	v_xor_b32_e32 v44, v68, v44
	s_delay_alu instid0(VALU_DEP_2) | instskip(NEXT) | instid1(VALU_DEP_1)
	v_xor_b32_e32 v45, v69, v45
	v_cmp_ne_u64_e32 vcc_lo, s[36:37], v[44:45]
	v_cndmask_b32_e32 v69, 0x7fffffff, v45, vcc_lo
	v_cndmask_b32_e32 v68, -1, v44, vcc_lo
	s_delay_alu instid0(VALU_DEP_1) | instskip(NEXT) | instid1(VALU_DEP_1)
	v_lshrrev_b64 v[68:69], s42, v[68:69]
	v_and_b32_e32 v68, s50, v68
	s_delay_alu instid0(VALU_DEP_1)
	v_and_b32_e32 v69, 1, v68
	v_lshlrev_b32_e32 v70, 30, v68
	v_lshlrev_b32_e32 v71, 29, v68
	;; [unrolled: 1-line block ×4, first 2 shown]
	v_add_co_u32 v69, s16, v69, -1
	s_delay_alu instid0(VALU_DEP_1)
	v_cndmask_b32_e64 v73, 0, 1, s16
	v_not_b32_e32 v183, v70
	v_cmp_gt_i32_e64 s16, 0, v70
	v_not_b32_e32 v70, v71
	v_lshlrev_b32_e32 v75, 26, v68
	v_cmp_ne_u32_e32 vcc_lo, 0, v73
	v_ashrrev_i32_e32 v183, 31, v183
	v_lshlrev_b32_e32 v182, 25, v68
	v_ashrrev_i32_e32 v70, 31, v70
	v_lshlrev_b32_e32 v73, 24, v68
	v_xor_b32_e32 v69, vcc_lo, v69
	v_cmp_gt_i32_e32 vcc_lo, 0, v71
	v_not_b32_e32 v71, v72
	v_xor_b32_e32 v183, s16, v183
	v_cmp_gt_i32_e64 s16, 0, v72
	v_and_b32_e32 v69, exec_lo, v69
	v_not_b32_e32 v72, v74
	v_ashrrev_i32_e32 v71, 31, v71
	v_xor_b32_e32 v70, vcc_lo, v70
	v_cmp_gt_i32_e32 vcc_lo, 0, v74
	v_and_b32_e32 v69, v69, v183
	v_not_b32_e32 v74, v75
	v_ashrrev_i32_e32 v72, 31, v72
	v_xor_b32_e32 v71, s16, v71
	v_cmp_gt_i32_e64 s16, 0, v75
	v_and_b32_e32 v69, v69, v70
	v_not_b32_e32 v70, v182
	v_ashrrev_i32_e32 v74, 31, v74
	v_xor_b32_e32 v72, vcc_lo, v72
	v_cmp_gt_i32_e32 vcc_lo, 0, v182
	v_and_b32_e32 v69, v69, v71
	v_not_b32_e32 v71, v73
	v_ashrrev_i32_e32 v70, 31, v70
	v_xor_b32_e32 v74, s16, v74
	v_mul_u32_u24_e32 v68, 9, v68
	v_and_b32_e32 v69, v69, v72
	v_cmp_gt_i32_e64 s16, 0, v73
	v_ashrrev_i32_e32 v71, 31, v71
	v_xor_b32_e32 v70, vcc_lo, v70
	v_add_lshl_u32 v72, v68, v158, 2
	v_and_b32_e32 v69, v69, v74
	s_delay_alu instid0(VALU_DEP_4) | instskip(SKIP_3) | instid1(VALU_DEP_2)
	v_xor_b32_e32 v68, s16, v71
	ds_load_b32 v182, v72 offset:1056
	v_and_b32_e32 v69, v69, v70
	v_add_nc_u32_e32 v184, 0x420, v72
	; wave barrier
	v_and_b32_e32 v68, v69, v68
	s_delay_alu instid0(VALU_DEP_1) | instskip(SKIP_1) | instid1(VALU_DEP_2)
	v_mbcnt_lo_u32_b32 v183, v68, 0
	v_cmp_ne_u32_e64 s16, 0, v68
	v_cmp_eq_u32_e32 vcc_lo, 0, v183
	s_delay_alu instid0(VALU_DEP_2) | instskip(NEXT) | instid1(SALU_CYCLE_1)
	s_and_b32 s17, s16, vcc_lo
	s_and_saveexec_b32 s16, s17
	s_cbranch_execz .LBB1126_1028
; %bb.1027:                             ;   in Loop: Header=BB1126_985 Depth=2
	s_waitcnt lgkmcnt(0)
	v_bcnt_u32_b32 v68, v68, v182
	ds_store_b32 v184, v68
.LBB1126_1028:                          ;   in Loop: Header=BB1126_985 Depth=2
	s_or_b32 exec_lo, exec_lo, s16
	v_cmp_gt_i64_e32 vcc_lo, 0, v[48:49]
	v_ashrrev_i32_e32 v68, 31, v49
	; wave barrier
	s_delay_alu instid0(VALU_DEP_1) | instskip(SKIP_1) | instid1(VALU_DEP_2)
	v_not_b32_e32 v68, v68
	v_cndmask_b32_e64 v69, 0x7fffffff, 0, vcc_lo
	v_xor_b32_e32 v48, v68, v48
	s_delay_alu instid0(VALU_DEP_2) | instskip(NEXT) | instid1(VALU_DEP_1)
	v_xor_b32_e32 v49, v69, v49
	v_cmp_ne_u64_e32 vcc_lo, s[36:37], v[48:49]
	v_cndmask_b32_e32 v69, 0x7fffffff, v49, vcc_lo
	v_cndmask_b32_e32 v68, -1, v48, vcc_lo
	s_delay_alu instid0(VALU_DEP_1) | instskip(NEXT) | instid1(VALU_DEP_1)
	v_lshrrev_b64 v[68:69], s42, v[68:69]
	v_and_b32_e32 v68, s50, v68
	s_delay_alu instid0(VALU_DEP_1)
	v_and_b32_e32 v69, 1, v68
	v_lshlrev_b32_e32 v70, 30, v68
	v_lshlrev_b32_e32 v71, 29, v68
	;; [unrolled: 1-line block ×4, first 2 shown]
	v_add_co_u32 v69, s16, v69, -1
	s_delay_alu instid0(VALU_DEP_1)
	v_cndmask_b32_e64 v73, 0, 1, s16
	v_not_b32_e32 v186, v70
	v_cmp_gt_i32_e64 s16, 0, v70
	v_not_b32_e32 v70, v71
	v_lshlrev_b32_e32 v75, 26, v68
	v_cmp_ne_u32_e32 vcc_lo, 0, v73
	v_ashrrev_i32_e32 v186, 31, v186
	v_lshlrev_b32_e32 v185, 25, v68
	v_ashrrev_i32_e32 v70, 31, v70
	v_lshlrev_b32_e32 v73, 24, v68
	v_xor_b32_e32 v69, vcc_lo, v69
	v_cmp_gt_i32_e32 vcc_lo, 0, v71
	v_not_b32_e32 v71, v72
	v_xor_b32_e32 v186, s16, v186
	v_cmp_gt_i32_e64 s16, 0, v72
	v_and_b32_e32 v69, exec_lo, v69
	v_not_b32_e32 v72, v74
	v_ashrrev_i32_e32 v71, 31, v71
	v_xor_b32_e32 v70, vcc_lo, v70
	v_cmp_gt_i32_e32 vcc_lo, 0, v74
	v_and_b32_e32 v69, v69, v186
	v_not_b32_e32 v74, v75
	v_ashrrev_i32_e32 v72, 31, v72
	v_xor_b32_e32 v71, s16, v71
	v_cmp_gt_i32_e64 s16, 0, v75
	v_and_b32_e32 v69, v69, v70
	v_not_b32_e32 v70, v185
	v_ashrrev_i32_e32 v74, 31, v74
	v_xor_b32_e32 v72, vcc_lo, v72
	v_cmp_gt_i32_e32 vcc_lo, 0, v185
	v_and_b32_e32 v69, v69, v71
	v_not_b32_e32 v71, v73
	v_ashrrev_i32_e32 v70, 31, v70
	v_xor_b32_e32 v74, s16, v74
	v_mul_u32_u24_e32 v68, 9, v68
	v_and_b32_e32 v69, v69, v72
	v_cmp_gt_i32_e64 s16, 0, v73
	v_ashrrev_i32_e32 v71, 31, v71
	v_xor_b32_e32 v70, vcc_lo, v70
	v_add_lshl_u32 v72, v68, v158, 2
	v_and_b32_e32 v69, v69, v74
	s_delay_alu instid0(VALU_DEP_4) | instskip(SKIP_3) | instid1(VALU_DEP_2)
	v_xor_b32_e32 v68, s16, v71
	ds_load_b32 v185, v72 offset:1056
	v_and_b32_e32 v69, v69, v70
	v_add_nc_u32_e32 v187, 0x420, v72
	; wave barrier
	v_and_b32_e32 v68, v69, v68
	s_delay_alu instid0(VALU_DEP_1) | instskip(SKIP_1) | instid1(VALU_DEP_2)
	v_mbcnt_lo_u32_b32 v186, v68, 0
	v_cmp_ne_u32_e64 s16, 0, v68
	v_cmp_eq_u32_e32 vcc_lo, 0, v186
	s_delay_alu instid0(VALU_DEP_2) | instskip(NEXT) | instid1(SALU_CYCLE_1)
	s_and_b32 s17, s16, vcc_lo
	s_and_saveexec_b32 s16, s17
	s_cbranch_execz .LBB1126_1030
; %bb.1029:                             ;   in Loop: Header=BB1126_985 Depth=2
	s_waitcnt lgkmcnt(0)
	v_bcnt_u32_b32 v68, v68, v185
	ds_store_b32 v187, v68
.LBB1126_1030:                          ;   in Loop: Header=BB1126_985 Depth=2
	s_or_b32 exec_lo, exec_lo, s16
	v_cmp_gt_i64_e32 vcc_lo, 0, v[54:55]
	v_ashrrev_i32_e32 v68, 31, v55
	; wave barrier
	s_delay_alu instid0(VALU_DEP_1) | instskip(SKIP_1) | instid1(VALU_DEP_2)
	v_not_b32_e32 v68, v68
	v_cndmask_b32_e64 v69, 0x7fffffff, 0, vcc_lo
	v_xor_b32_e32 v54, v68, v54
	s_delay_alu instid0(VALU_DEP_2) | instskip(NEXT) | instid1(VALU_DEP_1)
	v_xor_b32_e32 v55, v69, v55
	v_cmp_ne_u64_e32 vcc_lo, s[36:37], v[54:55]
	v_cndmask_b32_e32 v69, 0x7fffffff, v55, vcc_lo
	v_cndmask_b32_e32 v68, -1, v54, vcc_lo
	s_delay_alu instid0(VALU_DEP_1) | instskip(NEXT) | instid1(VALU_DEP_1)
	v_lshrrev_b64 v[68:69], s42, v[68:69]
	v_and_b32_e32 v68, s50, v68
	s_delay_alu instid0(VALU_DEP_1)
	v_and_b32_e32 v69, 1, v68
	v_lshlrev_b32_e32 v70, 30, v68
	v_lshlrev_b32_e32 v71, 29, v68
	;; [unrolled: 1-line block ×4, first 2 shown]
	v_add_co_u32 v69, s16, v69, -1
	s_delay_alu instid0(VALU_DEP_1)
	v_cndmask_b32_e64 v73, 0, 1, s16
	v_not_b32_e32 v189, v70
	v_cmp_gt_i32_e64 s16, 0, v70
	v_not_b32_e32 v70, v71
	v_lshlrev_b32_e32 v75, 26, v68
	v_cmp_ne_u32_e32 vcc_lo, 0, v73
	v_ashrrev_i32_e32 v189, 31, v189
	v_lshlrev_b32_e32 v188, 25, v68
	v_ashrrev_i32_e32 v70, 31, v70
	v_lshlrev_b32_e32 v73, 24, v68
	v_xor_b32_e32 v69, vcc_lo, v69
	v_cmp_gt_i32_e32 vcc_lo, 0, v71
	v_not_b32_e32 v71, v72
	v_xor_b32_e32 v189, s16, v189
	v_cmp_gt_i32_e64 s16, 0, v72
	v_and_b32_e32 v69, exec_lo, v69
	v_not_b32_e32 v72, v74
	v_ashrrev_i32_e32 v71, 31, v71
	v_xor_b32_e32 v70, vcc_lo, v70
	v_cmp_gt_i32_e32 vcc_lo, 0, v74
	v_and_b32_e32 v69, v69, v189
	v_not_b32_e32 v74, v75
	v_ashrrev_i32_e32 v72, 31, v72
	v_xor_b32_e32 v71, s16, v71
	v_cmp_gt_i32_e64 s16, 0, v75
	v_and_b32_e32 v69, v69, v70
	v_not_b32_e32 v70, v188
	v_ashrrev_i32_e32 v74, 31, v74
	v_xor_b32_e32 v72, vcc_lo, v72
	v_cmp_gt_i32_e32 vcc_lo, 0, v188
	v_and_b32_e32 v69, v69, v71
	v_not_b32_e32 v71, v73
	v_ashrrev_i32_e32 v70, 31, v70
	v_xor_b32_e32 v74, s16, v74
	v_mul_u32_u24_e32 v68, 9, v68
	v_and_b32_e32 v69, v69, v72
	v_cmp_gt_i32_e64 s16, 0, v73
	v_ashrrev_i32_e32 v71, 31, v71
	v_xor_b32_e32 v70, vcc_lo, v70
	v_add_lshl_u32 v72, v68, v158, 2
	v_and_b32_e32 v69, v69, v74
	s_delay_alu instid0(VALU_DEP_4) | instskip(SKIP_3) | instid1(VALU_DEP_2)
	v_xor_b32_e32 v68, s16, v71
	ds_load_b32 v188, v72 offset:1056
	v_and_b32_e32 v69, v69, v70
	v_add_nc_u32_e32 v190, 0x420, v72
	; wave barrier
	v_and_b32_e32 v68, v69, v68
	s_delay_alu instid0(VALU_DEP_1) | instskip(SKIP_1) | instid1(VALU_DEP_2)
	v_mbcnt_lo_u32_b32 v189, v68, 0
	v_cmp_ne_u32_e64 s16, 0, v68
	v_cmp_eq_u32_e32 vcc_lo, 0, v189
	s_delay_alu instid0(VALU_DEP_2) | instskip(NEXT) | instid1(SALU_CYCLE_1)
	s_and_b32 s17, s16, vcc_lo
	s_and_saveexec_b32 s16, s17
	s_cbranch_execz .LBB1126_1032
; %bb.1031:                             ;   in Loop: Header=BB1126_985 Depth=2
	s_waitcnt lgkmcnt(0)
	v_bcnt_u32_b32 v68, v68, v188
	ds_store_b32 v190, v68
.LBB1126_1032:                          ;   in Loop: Header=BB1126_985 Depth=2
	s_or_b32 exec_lo, exec_lo, s16
	v_cmp_gt_i64_e32 vcc_lo, 0, v[58:59]
	v_ashrrev_i32_e32 v68, 31, v59
	; wave barrier
	s_delay_alu instid0(VALU_DEP_1) | instskip(SKIP_1) | instid1(VALU_DEP_2)
	v_not_b32_e32 v68, v68
	v_cndmask_b32_e64 v69, 0x7fffffff, 0, vcc_lo
	v_xor_b32_e32 v58, v68, v58
	s_delay_alu instid0(VALU_DEP_2) | instskip(NEXT) | instid1(VALU_DEP_1)
	v_xor_b32_e32 v59, v69, v59
	v_cmp_ne_u64_e32 vcc_lo, s[36:37], v[58:59]
	v_cndmask_b32_e32 v69, 0x7fffffff, v59, vcc_lo
	v_cndmask_b32_e32 v68, -1, v58, vcc_lo
	s_delay_alu instid0(VALU_DEP_1) | instskip(NEXT) | instid1(VALU_DEP_1)
	v_lshrrev_b64 v[68:69], s42, v[68:69]
	v_and_b32_e32 v68, s50, v68
	s_delay_alu instid0(VALU_DEP_1)
	v_and_b32_e32 v69, 1, v68
	v_lshlrev_b32_e32 v70, 30, v68
	v_lshlrev_b32_e32 v71, 29, v68
	;; [unrolled: 1-line block ×4, first 2 shown]
	v_add_co_u32 v69, s16, v69, -1
	s_delay_alu instid0(VALU_DEP_1)
	v_cndmask_b32_e64 v73, 0, 1, s16
	v_not_b32_e32 v192, v70
	v_cmp_gt_i32_e64 s16, 0, v70
	v_not_b32_e32 v70, v71
	v_lshlrev_b32_e32 v75, 26, v68
	v_cmp_ne_u32_e32 vcc_lo, 0, v73
	v_ashrrev_i32_e32 v192, 31, v192
	v_lshlrev_b32_e32 v191, 25, v68
	v_ashrrev_i32_e32 v70, 31, v70
	v_lshlrev_b32_e32 v73, 24, v68
	v_xor_b32_e32 v69, vcc_lo, v69
	v_cmp_gt_i32_e32 vcc_lo, 0, v71
	v_not_b32_e32 v71, v72
	v_xor_b32_e32 v192, s16, v192
	v_cmp_gt_i32_e64 s16, 0, v72
	v_and_b32_e32 v69, exec_lo, v69
	v_not_b32_e32 v72, v74
	v_ashrrev_i32_e32 v71, 31, v71
	v_xor_b32_e32 v70, vcc_lo, v70
	v_cmp_gt_i32_e32 vcc_lo, 0, v74
	v_and_b32_e32 v69, v69, v192
	v_not_b32_e32 v74, v75
	v_ashrrev_i32_e32 v72, 31, v72
	v_xor_b32_e32 v71, s16, v71
	v_cmp_gt_i32_e64 s16, 0, v75
	v_and_b32_e32 v69, v69, v70
	v_not_b32_e32 v70, v191
	v_ashrrev_i32_e32 v74, 31, v74
	v_xor_b32_e32 v72, vcc_lo, v72
	v_cmp_gt_i32_e32 vcc_lo, 0, v191
	v_and_b32_e32 v69, v69, v71
	v_not_b32_e32 v71, v73
	v_ashrrev_i32_e32 v70, 31, v70
	v_xor_b32_e32 v74, s16, v74
	v_mul_u32_u24_e32 v68, 9, v68
	v_and_b32_e32 v69, v69, v72
	v_cmp_gt_i32_e64 s16, 0, v73
	v_ashrrev_i32_e32 v71, 31, v71
	v_xor_b32_e32 v70, vcc_lo, v70
	v_add_lshl_u32 v72, v68, v158, 2
	v_and_b32_e32 v69, v69, v74
	s_delay_alu instid0(VALU_DEP_4) | instskip(SKIP_3) | instid1(VALU_DEP_2)
	v_xor_b32_e32 v68, s16, v71
	ds_load_b32 v191, v72 offset:1056
	v_and_b32_e32 v69, v69, v70
	v_add_nc_u32_e32 v193, 0x420, v72
	; wave barrier
	v_and_b32_e32 v68, v69, v68
	s_delay_alu instid0(VALU_DEP_1) | instskip(SKIP_1) | instid1(VALU_DEP_2)
	v_mbcnt_lo_u32_b32 v192, v68, 0
	v_cmp_ne_u32_e64 s16, 0, v68
	v_cmp_eq_u32_e32 vcc_lo, 0, v192
	s_delay_alu instid0(VALU_DEP_2) | instskip(NEXT) | instid1(SALU_CYCLE_1)
	s_and_b32 s17, s16, vcc_lo
	s_and_saveexec_b32 s16, s17
	s_cbranch_execz .LBB1126_1034
; %bb.1033:                             ;   in Loop: Header=BB1126_985 Depth=2
	s_waitcnt lgkmcnt(0)
	v_bcnt_u32_b32 v68, v68, v191
	ds_store_b32 v193, v68
.LBB1126_1034:                          ;   in Loop: Header=BB1126_985 Depth=2
	s_or_b32 exec_lo, exec_lo, s16
	v_cmp_gt_i64_e32 vcc_lo, 0, v[62:63]
	v_ashrrev_i32_e32 v68, 31, v63
	; wave barrier
	s_delay_alu instid0(VALU_DEP_1) | instskip(SKIP_1) | instid1(VALU_DEP_2)
	v_not_b32_e32 v68, v68
	v_cndmask_b32_e64 v69, 0x7fffffff, 0, vcc_lo
	v_xor_b32_e32 v62, v68, v62
	s_delay_alu instid0(VALU_DEP_2) | instskip(NEXT) | instid1(VALU_DEP_1)
	v_xor_b32_e32 v63, v69, v63
	v_cmp_ne_u64_e32 vcc_lo, s[36:37], v[62:63]
	v_cndmask_b32_e32 v69, 0x7fffffff, v63, vcc_lo
	v_cndmask_b32_e32 v68, -1, v62, vcc_lo
	s_delay_alu instid0(VALU_DEP_1) | instskip(NEXT) | instid1(VALU_DEP_1)
	v_lshrrev_b64 v[68:69], s42, v[68:69]
	v_and_b32_e32 v68, s50, v68
	s_delay_alu instid0(VALU_DEP_1)
	v_and_b32_e32 v69, 1, v68
	v_lshlrev_b32_e32 v70, 30, v68
	v_lshlrev_b32_e32 v71, 29, v68
	v_lshlrev_b32_e32 v72, 28, v68
	v_lshlrev_b32_e32 v74, 27, v68
	v_add_co_u32 v69, s16, v69, -1
	s_delay_alu instid0(VALU_DEP_1)
	v_cndmask_b32_e64 v73, 0, 1, s16
	v_not_b32_e32 v195, v70
	v_cmp_gt_i32_e64 s16, 0, v70
	v_not_b32_e32 v70, v71
	v_lshlrev_b32_e32 v75, 26, v68
	v_cmp_ne_u32_e32 vcc_lo, 0, v73
	v_ashrrev_i32_e32 v195, 31, v195
	v_lshlrev_b32_e32 v194, 25, v68
	v_ashrrev_i32_e32 v70, 31, v70
	v_lshlrev_b32_e32 v73, 24, v68
	v_xor_b32_e32 v69, vcc_lo, v69
	v_cmp_gt_i32_e32 vcc_lo, 0, v71
	v_not_b32_e32 v71, v72
	v_xor_b32_e32 v195, s16, v195
	v_cmp_gt_i32_e64 s16, 0, v72
	v_and_b32_e32 v69, exec_lo, v69
	v_not_b32_e32 v72, v74
	v_ashrrev_i32_e32 v71, 31, v71
	v_xor_b32_e32 v70, vcc_lo, v70
	v_cmp_gt_i32_e32 vcc_lo, 0, v74
	v_and_b32_e32 v69, v69, v195
	v_not_b32_e32 v74, v75
	v_ashrrev_i32_e32 v72, 31, v72
	v_xor_b32_e32 v71, s16, v71
	v_cmp_gt_i32_e64 s16, 0, v75
	v_and_b32_e32 v69, v69, v70
	v_not_b32_e32 v70, v194
	v_ashrrev_i32_e32 v74, 31, v74
	v_xor_b32_e32 v72, vcc_lo, v72
	v_cmp_gt_i32_e32 vcc_lo, 0, v194
	v_and_b32_e32 v69, v69, v71
	v_not_b32_e32 v71, v73
	v_ashrrev_i32_e32 v70, 31, v70
	v_xor_b32_e32 v74, s16, v74
	v_mul_u32_u24_e32 v68, 9, v68
	v_and_b32_e32 v69, v69, v72
	v_cmp_gt_i32_e64 s16, 0, v73
	v_ashrrev_i32_e32 v71, 31, v71
	v_xor_b32_e32 v70, vcc_lo, v70
	v_add_lshl_u32 v72, v68, v158, 2
	v_and_b32_e32 v69, v69, v74
	s_delay_alu instid0(VALU_DEP_4) | instskip(SKIP_3) | instid1(VALU_DEP_2)
	v_xor_b32_e32 v68, s16, v71
	ds_load_b32 v194, v72 offset:1056
	v_and_b32_e32 v69, v69, v70
	v_add_nc_u32_e32 v196, 0x420, v72
	; wave barrier
	v_and_b32_e32 v68, v69, v68
	s_delay_alu instid0(VALU_DEP_1) | instskip(SKIP_1) | instid1(VALU_DEP_2)
	v_mbcnt_lo_u32_b32 v195, v68, 0
	v_cmp_ne_u32_e64 s16, 0, v68
	v_cmp_eq_u32_e32 vcc_lo, 0, v195
	s_delay_alu instid0(VALU_DEP_2) | instskip(NEXT) | instid1(SALU_CYCLE_1)
	s_and_b32 s17, s16, vcc_lo
	s_and_saveexec_b32 s16, s17
	s_cbranch_execz .LBB1126_1036
; %bb.1035:                             ;   in Loop: Header=BB1126_985 Depth=2
	s_waitcnt lgkmcnt(0)
	v_bcnt_u32_b32 v68, v68, v194
	ds_store_b32 v196, v68
.LBB1126_1036:                          ;   in Loop: Header=BB1126_985 Depth=2
	s_or_b32 exec_lo, exec_lo, s16
	v_cmp_gt_i64_e32 vcc_lo, 0, v[66:67]
	v_ashrrev_i32_e32 v68, 31, v67
	; wave barrier
	s_delay_alu instid0(VALU_DEP_1) | instskip(SKIP_1) | instid1(VALU_DEP_2)
	v_not_b32_e32 v68, v68
	v_cndmask_b32_e64 v69, 0x7fffffff, 0, vcc_lo
	v_xor_b32_e32 v66, v68, v66
	s_delay_alu instid0(VALU_DEP_2) | instskip(NEXT) | instid1(VALU_DEP_1)
	v_xor_b32_e32 v67, v69, v67
	v_cmp_ne_u64_e32 vcc_lo, s[36:37], v[66:67]
	v_cndmask_b32_e32 v69, 0x7fffffff, v67, vcc_lo
	v_cndmask_b32_e32 v68, -1, v66, vcc_lo
	s_delay_alu instid0(VALU_DEP_1) | instskip(NEXT) | instid1(VALU_DEP_1)
	v_lshrrev_b64 v[68:69], s42, v[68:69]
	v_and_b32_e32 v68, s50, v68
	s_delay_alu instid0(VALU_DEP_1)
	v_and_b32_e32 v69, 1, v68
	v_lshlrev_b32_e32 v70, 30, v68
	v_lshlrev_b32_e32 v71, 29, v68
	;; [unrolled: 1-line block ×4, first 2 shown]
	v_add_co_u32 v69, s16, v69, -1
	s_delay_alu instid0(VALU_DEP_1)
	v_cndmask_b32_e64 v73, 0, 1, s16
	v_not_b32_e32 v198, v70
	v_cmp_gt_i32_e64 s16, 0, v70
	v_not_b32_e32 v70, v71
	v_lshlrev_b32_e32 v75, 26, v68
	v_cmp_ne_u32_e32 vcc_lo, 0, v73
	v_ashrrev_i32_e32 v198, 31, v198
	v_lshlrev_b32_e32 v197, 25, v68
	v_ashrrev_i32_e32 v70, 31, v70
	v_lshlrev_b32_e32 v73, 24, v68
	v_xor_b32_e32 v69, vcc_lo, v69
	v_cmp_gt_i32_e32 vcc_lo, 0, v71
	v_not_b32_e32 v71, v72
	v_xor_b32_e32 v198, s16, v198
	v_cmp_gt_i32_e64 s16, 0, v72
	v_and_b32_e32 v69, exec_lo, v69
	v_not_b32_e32 v72, v74
	v_ashrrev_i32_e32 v71, 31, v71
	v_xor_b32_e32 v70, vcc_lo, v70
	v_cmp_gt_i32_e32 vcc_lo, 0, v74
	v_and_b32_e32 v69, v69, v198
	v_not_b32_e32 v74, v75
	v_ashrrev_i32_e32 v72, 31, v72
	v_xor_b32_e32 v71, s16, v71
	v_cmp_gt_i32_e64 s16, 0, v75
	v_and_b32_e32 v69, v69, v70
	v_not_b32_e32 v70, v197
	v_ashrrev_i32_e32 v74, 31, v74
	v_xor_b32_e32 v72, vcc_lo, v72
	v_cmp_gt_i32_e32 vcc_lo, 0, v197
	v_and_b32_e32 v69, v69, v71
	v_not_b32_e32 v71, v73
	v_ashrrev_i32_e32 v70, 31, v70
	v_xor_b32_e32 v74, s16, v74
	v_mul_u32_u24_e32 v68, 9, v68
	v_and_b32_e32 v69, v69, v72
	v_cmp_gt_i32_e64 s16, 0, v73
	v_ashrrev_i32_e32 v71, 31, v71
	v_xor_b32_e32 v70, vcc_lo, v70
	v_add_lshl_u32 v72, v68, v158, 2
	v_and_b32_e32 v69, v69, v74
	s_delay_alu instid0(VALU_DEP_4) | instskip(SKIP_3) | instid1(VALU_DEP_2)
	v_xor_b32_e32 v68, s16, v71
	ds_load_b32 v197, v72 offset:1056
	v_and_b32_e32 v69, v69, v70
	v_add_nc_u32_e32 v199, 0x420, v72
	; wave barrier
	v_and_b32_e32 v68, v69, v68
	s_delay_alu instid0(VALU_DEP_1) | instskip(SKIP_1) | instid1(VALU_DEP_2)
	v_mbcnt_lo_u32_b32 v198, v68, 0
	v_cmp_ne_u32_e64 s16, 0, v68
	v_cmp_eq_u32_e32 vcc_lo, 0, v198
	s_delay_alu instid0(VALU_DEP_2) | instskip(NEXT) | instid1(SALU_CYCLE_1)
	s_and_b32 s17, s16, vcc_lo
	s_and_saveexec_b32 s16, s17
	s_cbranch_execz .LBB1126_1038
; %bb.1037:                             ;   in Loop: Header=BB1126_985 Depth=2
	s_waitcnt lgkmcnt(0)
	v_bcnt_u32_b32 v68, v68, v197
	ds_store_b32 v199, v68
.LBB1126_1038:                          ;   in Loop: Header=BB1126_985 Depth=2
	s_or_b32 exec_lo, exec_lo, s16
	v_cmp_gt_i64_e32 vcc_lo, 0, v[64:65]
	v_ashrrev_i32_e32 v68, 31, v65
	; wave barrier
	s_delay_alu instid0(VALU_DEP_1) | instskip(SKIP_1) | instid1(VALU_DEP_2)
	v_not_b32_e32 v68, v68
	v_cndmask_b32_e64 v69, 0x7fffffff, 0, vcc_lo
	v_xor_b32_e32 v64, v68, v64
	s_delay_alu instid0(VALU_DEP_2) | instskip(NEXT) | instid1(VALU_DEP_1)
	v_xor_b32_e32 v65, v69, v65
	v_cmp_ne_u64_e32 vcc_lo, s[36:37], v[64:65]
	v_cndmask_b32_e32 v69, 0x7fffffff, v65, vcc_lo
	v_cndmask_b32_e32 v68, -1, v64, vcc_lo
	s_delay_alu instid0(VALU_DEP_1) | instskip(NEXT) | instid1(VALU_DEP_1)
	v_lshrrev_b64 v[68:69], s42, v[68:69]
	v_and_b32_e32 v68, s50, v68
	s_delay_alu instid0(VALU_DEP_1)
	v_and_b32_e32 v69, 1, v68
	v_lshlrev_b32_e32 v70, 30, v68
	v_lshlrev_b32_e32 v71, 29, v68
	;; [unrolled: 1-line block ×4, first 2 shown]
	v_add_co_u32 v69, s16, v69, -1
	s_delay_alu instid0(VALU_DEP_1)
	v_cndmask_b32_e64 v73, 0, 1, s16
	v_not_b32_e32 v201, v70
	v_cmp_gt_i32_e64 s16, 0, v70
	v_not_b32_e32 v70, v71
	v_lshlrev_b32_e32 v75, 26, v68
	v_cmp_ne_u32_e32 vcc_lo, 0, v73
	v_ashrrev_i32_e32 v201, 31, v201
	v_lshlrev_b32_e32 v200, 25, v68
	v_ashrrev_i32_e32 v70, 31, v70
	v_lshlrev_b32_e32 v73, 24, v68
	v_xor_b32_e32 v69, vcc_lo, v69
	v_cmp_gt_i32_e32 vcc_lo, 0, v71
	v_not_b32_e32 v71, v72
	v_xor_b32_e32 v201, s16, v201
	v_cmp_gt_i32_e64 s16, 0, v72
	v_and_b32_e32 v69, exec_lo, v69
	v_not_b32_e32 v72, v74
	v_ashrrev_i32_e32 v71, 31, v71
	v_xor_b32_e32 v70, vcc_lo, v70
	v_cmp_gt_i32_e32 vcc_lo, 0, v74
	v_and_b32_e32 v69, v69, v201
	v_not_b32_e32 v74, v75
	v_ashrrev_i32_e32 v72, 31, v72
	v_xor_b32_e32 v71, s16, v71
	v_cmp_gt_i32_e64 s16, 0, v75
	v_and_b32_e32 v69, v69, v70
	v_not_b32_e32 v70, v200
	v_ashrrev_i32_e32 v74, 31, v74
	v_xor_b32_e32 v72, vcc_lo, v72
	v_cmp_gt_i32_e32 vcc_lo, 0, v200
	v_and_b32_e32 v69, v69, v71
	v_not_b32_e32 v71, v73
	v_ashrrev_i32_e32 v70, 31, v70
	v_xor_b32_e32 v74, s16, v74
	v_mul_u32_u24_e32 v68, 9, v68
	v_and_b32_e32 v69, v69, v72
	v_cmp_gt_i32_e64 s16, 0, v73
	v_ashrrev_i32_e32 v71, 31, v71
	v_xor_b32_e32 v70, vcc_lo, v70
	v_add_lshl_u32 v72, v68, v158, 2
	v_and_b32_e32 v69, v69, v74
	s_delay_alu instid0(VALU_DEP_4) | instskip(SKIP_3) | instid1(VALU_DEP_2)
	v_xor_b32_e32 v68, s16, v71
	ds_load_b32 v200, v72 offset:1056
	v_and_b32_e32 v69, v69, v70
	v_add_nc_u32_e32 v202, 0x420, v72
	; wave barrier
	v_and_b32_e32 v68, v69, v68
	s_delay_alu instid0(VALU_DEP_1) | instskip(SKIP_1) | instid1(VALU_DEP_2)
	v_mbcnt_lo_u32_b32 v201, v68, 0
	v_cmp_ne_u32_e64 s16, 0, v68
	v_cmp_eq_u32_e32 vcc_lo, 0, v201
	s_delay_alu instid0(VALU_DEP_2) | instskip(NEXT) | instid1(SALU_CYCLE_1)
	s_and_b32 s17, s16, vcc_lo
	s_and_saveexec_b32 s16, s17
	s_cbranch_execz .LBB1126_1040
; %bb.1039:                             ;   in Loop: Header=BB1126_985 Depth=2
	s_waitcnt lgkmcnt(0)
	v_bcnt_u32_b32 v68, v68, v200
	ds_store_b32 v202, v68
.LBB1126_1040:                          ;   in Loop: Header=BB1126_985 Depth=2
	s_or_b32 exec_lo, exec_lo, s16
	v_cmp_gt_i64_e32 vcc_lo, 0, v[60:61]
	v_ashrrev_i32_e32 v68, 31, v61
	; wave barrier
	s_delay_alu instid0(VALU_DEP_1) | instskip(SKIP_1) | instid1(VALU_DEP_2)
	v_not_b32_e32 v68, v68
	v_cndmask_b32_e64 v69, 0x7fffffff, 0, vcc_lo
	v_xor_b32_e32 v60, v68, v60
	s_delay_alu instid0(VALU_DEP_2) | instskip(NEXT) | instid1(VALU_DEP_1)
	v_xor_b32_e32 v61, v69, v61
	v_cmp_ne_u64_e32 vcc_lo, s[36:37], v[60:61]
	v_cndmask_b32_e32 v69, 0x7fffffff, v61, vcc_lo
	v_cndmask_b32_e32 v68, -1, v60, vcc_lo
	s_delay_alu instid0(VALU_DEP_1) | instskip(NEXT) | instid1(VALU_DEP_1)
	v_lshrrev_b64 v[68:69], s42, v[68:69]
	v_and_b32_e32 v68, s50, v68
	s_delay_alu instid0(VALU_DEP_1)
	v_and_b32_e32 v69, 1, v68
	v_lshlrev_b32_e32 v70, 30, v68
	v_lshlrev_b32_e32 v71, 29, v68
	;; [unrolled: 1-line block ×4, first 2 shown]
	v_add_co_u32 v69, s16, v69, -1
	s_delay_alu instid0(VALU_DEP_1)
	v_cndmask_b32_e64 v73, 0, 1, s16
	v_not_b32_e32 v204, v70
	v_cmp_gt_i32_e64 s16, 0, v70
	v_not_b32_e32 v70, v71
	v_lshlrev_b32_e32 v75, 26, v68
	v_cmp_ne_u32_e32 vcc_lo, 0, v73
	v_ashrrev_i32_e32 v204, 31, v204
	v_lshlrev_b32_e32 v203, 25, v68
	v_ashrrev_i32_e32 v70, 31, v70
	v_lshlrev_b32_e32 v73, 24, v68
	v_xor_b32_e32 v69, vcc_lo, v69
	v_cmp_gt_i32_e32 vcc_lo, 0, v71
	v_not_b32_e32 v71, v72
	v_xor_b32_e32 v204, s16, v204
	v_cmp_gt_i32_e64 s16, 0, v72
	v_and_b32_e32 v69, exec_lo, v69
	v_not_b32_e32 v72, v74
	v_ashrrev_i32_e32 v71, 31, v71
	v_xor_b32_e32 v70, vcc_lo, v70
	v_cmp_gt_i32_e32 vcc_lo, 0, v74
	v_and_b32_e32 v69, v69, v204
	v_not_b32_e32 v74, v75
	v_ashrrev_i32_e32 v72, 31, v72
	v_xor_b32_e32 v71, s16, v71
	v_cmp_gt_i32_e64 s16, 0, v75
	v_and_b32_e32 v69, v69, v70
	v_not_b32_e32 v70, v203
	v_ashrrev_i32_e32 v74, 31, v74
	v_xor_b32_e32 v72, vcc_lo, v72
	v_cmp_gt_i32_e32 vcc_lo, 0, v203
	v_and_b32_e32 v69, v69, v71
	v_not_b32_e32 v71, v73
	v_ashrrev_i32_e32 v70, 31, v70
	v_xor_b32_e32 v74, s16, v74
	v_mul_u32_u24_e32 v68, 9, v68
	v_and_b32_e32 v69, v69, v72
	v_cmp_gt_i32_e64 s16, 0, v73
	v_ashrrev_i32_e32 v71, 31, v71
	v_xor_b32_e32 v70, vcc_lo, v70
	v_add_lshl_u32 v72, v68, v158, 2
	v_and_b32_e32 v69, v69, v74
	s_delay_alu instid0(VALU_DEP_4) | instskip(SKIP_3) | instid1(VALU_DEP_2)
	v_xor_b32_e32 v68, s16, v71
	ds_load_b32 v203, v72 offset:1056
	v_and_b32_e32 v69, v69, v70
	v_add_nc_u32_e32 v205, 0x420, v72
	; wave barrier
	v_and_b32_e32 v68, v69, v68
	s_delay_alu instid0(VALU_DEP_1) | instskip(SKIP_1) | instid1(VALU_DEP_2)
	v_mbcnt_lo_u32_b32 v204, v68, 0
	v_cmp_ne_u32_e64 s16, 0, v68
	v_cmp_eq_u32_e32 vcc_lo, 0, v204
	s_delay_alu instid0(VALU_DEP_2) | instskip(NEXT) | instid1(SALU_CYCLE_1)
	s_and_b32 s17, s16, vcc_lo
	s_and_saveexec_b32 s16, s17
	s_cbranch_execz .LBB1126_1042
; %bb.1041:                             ;   in Loop: Header=BB1126_985 Depth=2
	s_waitcnt lgkmcnt(0)
	v_bcnt_u32_b32 v68, v68, v203
	ds_store_b32 v205, v68
.LBB1126_1042:                          ;   in Loop: Header=BB1126_985 Depth=2
	s_or_b32 exec_lo, exec_lo, s16
	v_cmp_gt_i64_e32 vcc_lo, 0, v[56:57]
	v_ashrrev_i32_e32 v68, 31, v57
	; wave barrier
	s_delay_alu instid0(VALU_DEP_1) | instskip(SKIP_1) | instid1(VALU_DEP_2)
	v_not_b32_e32 v68, v68
	v_cndmask_b32_e64 v69, 0x7fffffff, 0, vcc_lo
	v_xor_b32_e32 v56, v68, v56
	s_delay_alu instid0(VALU_DEP_2) | instskip(NEXT) | instid1(VALU_DEP_1)
	v_xor_b32_e32 v57, v69, v57
	v_cmp_ne_u64_e32 vcc_lo, s[36:37], v[56:57]
	v_cndmask_b32_e32 v69, 0x7fffffff, v57, vcc_lo
	v_cndmask_b32_e32 v68, -1, v56, vcc_lo
	s_delay_alu instid0(VALU_DEP_1) | instskip(NEXT) | instid1(VALU_DEP_1)
	v_lshrrev_b64 v[68:69], s42, v[68:69]
	v_and_b32_e32 v68, s50, v68
	s_delay_alu instid0(VALU_DEP_1)
	v_and_b32_e32 v69, 1, v68
	v_lshlrev_b32_e32 v70, 30, v68
	v_lshlrev_b32_e32 v71, 29, v68
	;; [unrolled: 1-line block ×4, first 2 shown]
	v_add_co_u32 v69, s16, v69, -1
	s_delay_alu instid0(VALU_DEP_1)
	v_cndmask_b32_e64 v73, 0, 1, s16
	v_not_b32_e32 v207, v70
	v_cmp_gt_i32_e64 s16, 0, v70
	v_not_b32_e32 v70, v71
	v_lshlrev_b32_e32 v75, 26, v68
	v_cmp_ne_u32_e32 vcc_lo, 0, v73
	v_ashrrev_i32_e32 v207, 31, v207
	v_lshlrev_b32_e32 v206, 25, v68
	v_ashrrev_i32_e32 v70, 31, v70
	v_lshlrev_b32_e32 v73, 24, v68
	v_xor_b32_e32 v69, vcc_lo, v69
	v_cmp_gt_i32_e32 vcc_lo, 0, v71
	v_not_b32_e32 v71, v72
	v_xor_b32_e32 v207, s16, v207
	v_cmp_gt_i32_e64 s16, 0, v72
	v_and_b32_e32 v69, exec_lo, v69
	v_not_b32_e32 v72, v74
	v_ashrrev_i32_e32 v71, 31, v71
	v_xor_b32_e32 v70, vcc_lo, v70
	v_cmp_gt_i32_e32 vcc_lo, 0, v74
	v_and_b32_e32 v69, v69, v207
	v_not_b32_e32 v74, v75
	v_ashrrev_i32_e32 v72, 31, v72
	v_xor_b32_e32 v71, s16, v71
	v_cmp_gt_i32_e64 s16, 0, v75
	v_and_b32_e32 v69, v69, v70
	v_not_b32_e32 v70, v206
	v_ashrrev_i32_e32 v74, 31, v74
	v_xor_b32_e32 v72, vcc_lo, v72
	v_cmp_gt_i32_e32 vcc_lo, 0, v206
	v_and_b32_e32 v69, v69, v71
	v_not_b32_e32 v71, v73
	v_ashrrev_i32_e32 v70, 31, v70
	v_xor_b32_e32 v74, s16, v74
	v_mul_u32_u24_e32 v68, 9, v68
	v_and_b32_e32 v69, v69, v72
	v_cmp_gt_i32_e64 s16, 0, v73
	v_ashrrev_i32_e32 v71, 31, v71
	v_xor_b32_e32 v70, vcc_lo, v70
	v_add_lshl_u32 v72, v68, v158, 2
	v_and_b32_e32 v69, v69, v74
	s_delay_alu instid0(VALU_DEP_4) | instskip(SKIP_3) | instid1(VALU_DEP_2)
	v_xor_b32_e32 v68, s16, v71
	ds_load_b32 v206, v72 offset:1056
	v_and_b32_e32 v69, v69, v70
	v_add_nc_u32_e32 v208, 0x420, v72
	; wave barrier
	v_and_b32_e32 v68, v69, v68
	s_delay_alu instid0(VALU_DEP_1) | instskip(SKIP_1) | instid1(VALU_DEP_2)
	v_mbcnt_lo_u32_b32 v207, v68, 0
	v_cmp_ne_u32_e64 s16, 0, v68
	v_cmp_eq_u32_e32 vcc_lo, 0, v207
	s_delay_alu instid0(VALU_DEP_2) | instskip(NEXT) | instid1(SALU_CYCLE_1)
	s_and_b32 s17, s16, vcc_lo
	s_and_saveexec_b32 s16, s17
	s_cbranch_execz .LBB1126_1044
; %bb.1043:                             ;   in Loop: Header=BB1126_985 Depth=2
	s_waitcnt lgkmcnt(0)
	v_bcnt_u32_b32 v68, v68, v206
	ds_store_b32 v208, v68
.LBB1126_1044:                          ;   in Loop: Header=BB1126_985 Depth=2
	s_or_b32 exec_lo, exec_lo, s16
	v_cmp_gt_i64_e32 vcc_lo, 0, v[52:53]
	v_ashrrev_i32_e32 v68, 31, v53
	; wave barrier
	s_delay_alu instid0(VALU_DEP_1) | instskip(SKIP_1) | instid1(VALU_DEP_2)
	v_not_b32_e32 v68, v68
	v_cndmask_b32_e64 v69, 0x7fffffff, 0, vcc_lo
	v_xor_b32_e32 v52, v68, v52
	s_delay_alu instid0(VALU_DEP_2) | instskip(NEXT) | instid1(VALU_DEP_1)
	v_xor_b32_e32 v53, v69, v53
	v_cmp_ne_u64_e32 vcc_lo, s[36:37], v[52:53]
	v_cndmask_b32_e32 v69, 0x7fffffff, v53, vcc_lo
	v_cndmask_b32_e32 v68, -1, v52, vcc_lo
	s_delay_alu instid0(VALU_DEP_1) | instskip(NEXT) | instid1(VALU_DEP_1)
	v_lshrrev_b64 v[68:69], s42, v[68:69]
	v_and_b32_e32 v68, s50, v68
	s_delay_alu instid0(VALU_DEP_1)
	v_and_b32_e32 v69, 1, v68
	v_lshlrev_b32_e32 v70, 30, v68
	v_lshlrev_b32_e32 v71, 29, v68
	;; [unrolled: 1-line block ×4, first 2 shown]
	v_add_co_u32 v69, s16, v69, -1
	s_delay_alu instid0(VALU_DEP_1)
	v_cndmask_b32_e64 v73, 0, 1, s16
	v_not_b32_e32 v210, v70
	v_cmp_gt_i32_e64 s16, 0, v70
	v_not_b32_e32 v70, v71
	v_lshlrev_b32_e32 v75, 26, v68
	v_cmp_ne_u32_e32 vcc_lo, 0, v73
	v_ashrrev_i32_e32 v210, 31, v210
	v_lshlrev_b32_e32 v209, 25, v68
	v_ashrrev_i32_e32 v70, 31, v70
	v_lshlrev_b32_e32 v73, 24, v68
	v_xor_b32_e32 v69, vcc_lo, v69
	v_cmp_gt_i32_e32 vcc_lo, 0, v71
	v_not_b32_e32 v71, v72
	v_xor_b32_e32 v210, s16, v210
	v_cmp_gt_i32_e64 s16, 0, v72
	v_and_b32_e32 v69, exec_lo, v69
	v_not_b32_e32 v72, v74
	v_ashrrev_i32_e32 v71, 31, v71
	v_xor_b32_e32 v70, vcc_lo, v70
	v_cmp_gt_i32_e32 vcc_lo, 0, v74
	v_and_b32_e32 v69, v69, v210
	v_not_b32_e32 v74, v75
	v_ashrrev_i32_e32 v72, 31, v72
	v_xor_b32_e32 v71, s16, v71
	v_cmp_gt_i32_e64 s16, 0, v75
	v_and_b32_e32 v69, v69, v70
	v_not_b32_e32 v70, v209
	v_ashrrev_i32_e32 v74, 31, v74
	v_xor_b32_e32 v72, vcc_lo, v72
	v_cmp_gt_i32_e32 vcc_lo, 0, v209
	v_and_b32_e32 v69, v69, v71
	v_not_b32_e32 v71, v73
	v_ashrrev_i32_e32 v70, 31, v70
	v_xor_b32_e32 v74, s16, v74
	v_mul_u32_u24_e32 v68, 9, v68
	v_and_b32_e32 v69, v69, v72
	v_cmp_gt_i32_e64 s16, 0, v73
	v_ashrrev_i32_e32 v71, 31, v71
	v_xor_b32_e32 v70, vcc_lo, v70
	v_add_lshl_u32 v72, v68, v158, 2
	v_and_b32_e32 v69, v69, v74
	s_delay_alu instid0(VALU_DEP_4) | instskip(SKIP_3) | instid1(VALU_DEP_2)
	v_xor_b32_e32 v68, s16, v71
	ds_load_b32 v209, v72 offset:1056
	v_and_b32_e32 v69, v69, v70
	v_add_nc_u32_e32 v211, 0x420, v72
	; wave barrier
	v_and_b32_e32 v68, v69, v68
	s_delay_alu instid0(VALU_DEP_1) | instskip(SKIP_1) | instid1(VALU_DEP_2)
	v_mbcnt_lo_u32_b32 v210, v68, 0
	v_cmp_ne_u32_e64 s16, 0, v68
	v_cmp_eq_u32_e32 vcc_lo, 0, v210
	s_delay_alu instid0(VALU_DEP_2) | instskip(NEXT) | instid1(SALU_CYCLE_1)
	s_and_b32 s17, s16, vcc_lo
	s_and_saveexec_b32 s16, s17
	s_cbranch_execz .LBB1126_1046
; %bb.1045:                             ;   in Loop: Header=BB1126_985 Depth=2
	s_waitcnt lgkmcnt(0)
	v_bcnt_u32_b32 v68, v68, v209
	ds_store_b32 v211, v68
.LBB1126_1046:                          ;   in Loop: Header=BB1126_985 Depth=2
	s_or_b32 exec_lo, exec_lo, s16
	v_cmp_gt_i64_e32 vcc_lo, 0, v[50:51]
	v_ashrrev_i32_e32 v68, 31, v51
	; wave barrier
	s_delay_alu instid0(VALU_DEP_1) | instskip(SKIP_1) | instid1(VALU_DEP_2)
	v_not_b32_e32 v68, v68
	v_cndmask_b32_e64 v69, 0x7fffffff, 0, vcc_lo
	v_xor_b32_e32 v50, v68, v50
	s_delay_alu instid0(VALU_DEP_2) | instskip(NEXT) | instid1(VALU_DEP_1)
	v_xor_b32_e32 v51, v69, v51
	v_cmp_ne_u64_e32 vcc_lo, s[36:37], v[50:51]
	v_cndmask_b32_e32 v69, 0x7fffffff, v51, vcc_lo
	v_cndmask_b32_e32 v68, -1, v50, vcc_lo
	s_delay_alu instid0(VALU_DEP_1) | instskip(NEXT) | instid1(VALU_DEP_1)
	v_lshrrev_b64 v[68:69], s42, v[68:69]
	v_and_b32_e32 v68, s50, v68
	s_delay_alu instid0(VALU_DEP_1)
	v_and_b32_e32 v69, 1, v68
	v_lshlrev_b32_e32 v70, 30, v68
	v_lshlrev_b32_e32 v71, 29, v68
	;; [unrolled: 1-line block ×4, first 2 shown]
	v_add_co_u32 v69, s16, v69, -1
	s_delay_alu instid0(VALU_DEP_1)
	v_cndmask_b32_e64 v73, 0, 1, s16
	v_not_b32_e32 v213, v70
	v_cmp_gt_i32_e64 s16, 0, v70
	v_not_b32_e32 v70, v71
	v_lshlrev_b32_e32 v75, 26, v68
	v_cmp_ne_u32_e32 vcc_lo, 0, v73
	v_ashrrev_i32_e32 v213, 31, v213
	v_lshlrev_b32_e32 v212, 25, v68
	v_ashrrev_i32_e32 v70, 31, v70
	v_lshlrev_b32_e32 v73, 24, v68
	v_xor_b32_e32 v69, vcc_lo, v69
	v_cmp_gt_i32_e32 vcc_lo, 0, v71
	v_not_b32_e32 v71, v72
	v_xor_b32_e32 v213, s16, v213
	v_cmp_gt_i32_e64 s16, 0, v72
	v_and_b32_e32 v69, exec_lo, v69
	v_not_b32_e32 v72, v74
	v_ashrrev_i32_e32 v71, 31, v71
	v_xor_b32_e32 v70, vcc_lo, v70
	v_cmp_gt_i32_e32 vcc_lo, 0, v74
	v_and_b32_e32 v69, v69, v213
	v_not_b32_e32 v74, v75
	v_ashrrev_i32_e32 v72, 31, v72
	v_xor_b32_e32 v71, s16, v71
	v_cmp_gt_i32_e64 s16, 0, v75
	v_and_b32_e32 v69, v69, v70
	v_not_b32_e32 v70, v212
	v_ashrrev_i32_e32 v74, 31, v74
	v_xor_b32_e32 v72, vcc_lo, v72
	v_cmp_gt_i32_e32 vcc_lo, 0, v212
	v_and_b32_e32 v69, v69, v71
	v_not_b32_e32 v71, v73
	v_ashrrev_i32_e32 v70, 31, v70
	v_xor_b32_e32 v74, s16, v74
	v_mul_u32_u24_e32 v68, 9, v68
	v_and_b32_e32 v69, v69, v72
	v_cmp_gt_i32_e64 s16, 0, v73
	v_ashrrev_i32_e32 v71, 31, v71
	v_xor_b32_e32 v70, vcc_lo, v70
	v_add_lshl_u32 v72, v68, v158, 2
	v_and_b32_e32 v69, v69, v74
	s_delay_alu instid0(VALU_DEP_4) | instskip(SKIP_3) | instid1(VALU_DEP_2)
	v_xor_b32_e32 v68, s16, v71
	ds_load_b32 v212, v72 offset:1056
	v_and_b32_e32 v69, v69, v70
	v_add_nc_u32_e32 v214, 0x420, v72
	; wave barrier
	v_and_b32_e32 v68, v69, v68
	s_delay_alu instid0(VALU_DEP_1) | instskip(SKIP_1) | instid1(VALU_DEP_2)
	v_mbcnt_lo_u32_b32 v213, v68, 0
	v_cmp_ne_u32_e64 s16, 0, v68
	v_cmp_eq_u32_e32 vcc_lo, 0, v213
	s_delay_alu instid0(VALU_DEP_2) | instskip(NEXT) | instid1(SALU_CYCLE_1)
	s_and_b32 s17, s16, vcc_lo
	s_and_saveexec_b32 s16, s17
	s_cbranch_execz .LBB1126_1048
; %bb.1047:                             ;   in Loop: Header=BB1126_985 Depth=2
	s_waitcnt lgkmcnt(0)
	v_bcnt_u32_b32 v68, v68, v212
	ds_store_b32 v214, v68
.LBB1126_1048:                          ;   in Loop: Header=BB1126_985 Depth=2
	s_or_b32 exec_lo, exec_lo, s16
	v_cmp_gt_i64_e32 vcc_lo, 0, v[46:47]
	v_ashrrev_i32_e32 v68, 31, v47
	; wave barrier
	s_delay_alu instid0(VALU_DEP_1) | instskip(SKIP_1) | instid1(VALU_DEP_2)
	v_not_b32_e32 v68, v68
	v_cndmask_b32_e64 v69, 0x7fffffff, 0, vcc_lo
	v_xor_b32_e32 v46, v68, v46
	s_delay_alu instid0(VALU_DEP_2) | instskip(NEXT) | instid1(VALU_DEP_1)
	v_xor_b32_e32 v47, v69, v47
	v_cmp_ne_u64_e32 vcc_lo, s[36:37], v[46:47]
	v_cndmask_b32_e32 v69, 0x7fffffff, v47, vcc_lo
	v_cndmask_b32_e32 v68, -1, v46, vcc_lo
	s_delay_alu instid0(VALU_DEP_1) | instskip(NEXT) | instid1(VALU_DEP_1)
	v_lshrrev_b64 v[68:69], s42, v[68:69]
	v_and_b32_e32 v68, s50, v68
	s_delay_alu instid0(VALU_DEP_1)
	v_and_b32_e32 v69, 1, v68
	v_lshlrev_b32_e32 v70, 30, v68
	v_lshlrev_b32_e32 v71, 29, v68
	;; [unrolled: 1-line block ×4, first 2 shown]
	v_add_co_u32 v69, s16, v69, -1
	s_delay_alu instid0(VALU_DEP_1)
	v_cndmask_b32_e64 v73, 0, 1, s16
	v_not_b32_e32 v216, v70
	v_cmp_gt_i32_e64 s16, 0, v70
	v_not_b32_e32 v70, v71
	v_lshlrev_b32_e32 v75, 26, v68
	v_cmp_ne_u32_e32 vcc_lo, 0, v73
	v_ashrrev_i32_e32 v216, 31, v216
	v_lshlrev_b32_e32 v215, 25, v68
	v_ashrrev_i32_e32 v70, 31, v70
	v_lshlrev_b32_e32 v73, 24, v68
	v_xor_b32_e32 v69, vcc_lo, v69
	v_cmp_gt_i32_e32 vcc_lo, 0, v71
	v_not_b32_e32 v71, v72
	v_xor_b32_e32 v216, s16, v216
	v_cmp_gt_i32_e64 s16, 0, v72
	v_and_b32_e32 v69, exec_lo, v69
	v_not_b32_e32 v72, v74
	v_ashrrev_i32_e32 v71, 31, v71
	v_xor_b32_e32 v70, vcc_lo, v70
	v_cmp_gt_i32_e32 vcc_lo, 0, v74
	v_and_b32_e32 v69, v69, v216
	v_not_b32_e32 v74, v75
	v_ashrrev_i32_e32 v72, 31, v72
	v_xor_b32_e32 v71, s16, v71
	v_cmp_gt_i32_e64 s16, 0, v75
	v_and_b32_e32 v69, v69, v70
	v_not_b32_e32 v70, v215
	v_ashrrev_i32_e32 v74, 31, v74
	v_xor_b32_e32 v72, vcc_lo, v72
	v_cmp_gt_i32_e32 vcc_lo, 0, v215
	v_and_b32_e32 v69, v69, v71
	v_not_b32_e32 v71, v73
	v_ashrrev_i32_e32 v70, 31, v70
	v_xor_b32_e32 v74, s16, v74
	v_mul_u32_u24_e32 v68, 9, v68
	v_and_b32_e32 v69, v69, v72
	v_cmp_gt_i32_e64 s16, 0, v73
	v_ashrrev_i32_e32 v71, 31, v71
	v_xor_b32_e32 v70, vcc_lo, v70
	v_add_lshl_u32 v72, v68, v158, 2
	v_and_b32_e32 v69, v69, v74
	s_delay_alu instid0(VALU_DEP_4) | instskip(SKIP_3) | instid1(VALU_DEP_2)
	v_xor_b32_e32 v68, s16, v71
	ds_load_b32 v215, v72 offset:1056
	v_and_b32_e32 v69, v69, v70
	v_add_nc_u32_e32 v217, 0x420, v72
	; wave barrier
	v_and_b32_e32 v68, v69, v68
	s_delay_alu instid0(VALU_DEP_1) | instskip(SKIP_1) | instid1(VALU_DEP_2)
	v_mbcnt_lo_u32_b32 v216, v68, 0
	v_cmp_ne_u32_e64 s16, 0, v68
	v_cmp_eq_u32_e32 vcc_lo, 0, v216
	s_delay_alu instid0(VALU_DEP_2) | instskip(NEXT) | instid1(SALU_CYCLE_1)
	s_and_b32 s17, s16, vcc_lo
	s_and_saveexec_b32 s16, s17
	s_cbranch_execz .LBB1126_1050
; %bb.1049:                             ;   in Loop: Header=BB1126_985 Depth=2
	s_waitcnt lgkmcnt(0)
	v_bcnt_u32_b32 v68, v68, v215
	ds_store_b32 v217, v68
.LBB1126_1050:                          ;   in Loop: Header=BB1126_985 Depth=2
	s_or_b32 exec_lo, exec_lo, s16
	v_cmp_gt_i64_e32 vcc_lo, 0, v[40:41]
	v_ashrrev_i32_e32 v68, 31, v41
	; wave barrier
	s_delay_alu instid0(VALU_DEP_1) | instskip(SKIP_1) | instid1(VALU_DEP_2)
	v_not_b32_e32 v68, v68
	v_cndmask_b32_e64 v69, 0x7fffffff, 0, vcc_lo
	v_xor_b32_e32 v40, v68, v40
	s_delay_alu instid0(VALU_DEP_2) | instskip(NEXT) | instid1(VALU_DEP_1)
	v_xor_b32_e32 v41, v69, v41
	v_cmp_ne_u64_e32 vcc_lo, s[36:37], v[40:41]
	v_cndmask_b32_e32 v69, 0x7fffffff, v41, vcc_lo
	v_cndmask_b32_e32 v68, -1, v40, vcc_lo
	s_delay_alu instid0(VALU_DEP_1) | instskip(NEXT) | instid1(VALU_DEP_1)
	v_lshrrev_b64 v[68:69], s42, v[68:69]
	v_and_b32_e32 v68, s50, v68
	s_delay_alu instid0(VALU_DEP_1)
	v_and_b32_e32 v69, 1, v68
	v_lshlrev_b32_e32 v70, 30, v68
	v_lshlrev_b32_e32 v71, 29, v68
	;; [unrolled: 1-line block ×4, first 2 shown]
	v_add_co_u32 v69, s16, v69, -1
	s_delay_alu instid0(VALU_DEP_1)
	v_cndmask_b32_e64 v73, 0, 1, s16
	v_not_b32_e32 v219, v70
	v_cmp_gt_i32_e64 s16, 0, v70
	v_not_b32_e32 v70, v71
	v_lshlrev_b32_e32 v75, 26, v68
	v_cmp_ne_u32_e32 vcc_lo, 0, v73
	v_ashrrev_i32_e32 v219, 31, v219
	v_lshlrev_b32_e32 v218, 25, v68
	v_ashrrev_i32_e32 v70, 31, v70
	v_lshlrev_b32_e32 v73, 24, v68
	v_xor_b32_e32 v69, vcc_lo, v69
	v_cmp_gt_i32_e32 vcc_lo, 0, v71
	v_not_b32_e32 v71, v72
	v_xor_b32_e32 v219, s16, v219
	v_cmp_gt_i32_e64 s16, 0, v72
	v_and_b32_e32 v69, exec_lo, v69
	v_not_b32_e32 v72, v74
	v_ashrrev_i32_e32 v71, 31, v71
	v_xor_b32_e32 v70, vcc_lo, v70
	v_cmp_gt_i32_e32 vcc_lo, 0, v74
	v_and_b32_e32 v69, v69, v219
	v_not_b32_e32 v74, v75
	v_ashrrev_i32_e32 v72, 31, v72
	v_xor_b32_e32 v71, s16, v71
	v_cmp_gt_i32_e64 s16, 0, v75
	v_and_b32_e32 v69, v69, v70
	v_not_b32_e32 v70, v218
	v_ashrrev_i32_e32 v74, 31, v74
	v_xor_b32_e32 v72, vcc_lo, v72
	v_cmp_gt_i32_e32 vcc_lo, 0, v218
	v_and_b32_e32 v69, v69, v71
	v_not_b32_e32 v71, v73
	v_ashrrev_i32_e32 v70, 31, v70
	v_xor_b32_e32 v74, s16, v74
	v_mul_u32_u24_e32 v68, 9, v68
	v_and_b32_e32 v69, v69, v72
	v_cmp_gt_i32_e64 s16, 0, v73
	v_ashrrev_i32_e32 v71, 31, v71
	v_xor_b32_e32 v70, vcc_lo, v70
	v_add_lshl_u32 v72, v68, v158, 2
	v_and_b32_e32 v69, v69, v74
	s_delay_alu instid0(VALU_DEP_4) | instskip(SKIP_3) | instid1(VALU_DEP_2)
	v_xor_b32_e32 v68, s16, v71
	ds_load_b32 v218, v72 offset:1056
	v_and_b32_e32 v69, v69, v70
	v_add_nc_u32_e32 v220, 0x420, v72
	; wave barrier
	v_and_b32_e32 v68, v69, v68
	s_delay_alu instid0(VALU_DEP_1) | instskip(SKIP_1) | instid1(VALU_DEP_2)
	v_mbcnt_lo_u32_b32 v219, v68, 0
	v_cmp_ne_u32_e64 s16, 0, v68
	v_cmp_eq_u32_e32 vcc_lo, 0, v219
	s_delay_alu instid0(VALU_DEP_2) | instskip(NEXT) | instid1(SALU_CYCLE_1)
	s_and_b32 s17, s16, vcc_lo
	s_and_saveexec_b32 s16, s17
	s_cbranch_execz .LBB1126_1052
; %bb.1051:                             ;   in Loop: Header=BB1126_985 Depth=2
	s_waitcnt lgkmcnt(0)
	v_bcnt_u32_b32 v68, v68, v218
	ds_store_b32 v220, v68
.LBB1126_1052:                          ;   in Loop: Header=BB1126_985 Depth=2
	s_or_b32 exec_lo, exec_lo, s16
	v_cmp_gt_i64_e32 vcc_lo, 0, v[42:43]
	v_ashrrev_i32_e32 v68, 31, v43
	; wave barrier
	s_delay_alu instid0(VALU_DEP_1) | instskip(SKIP_1) | instid1(VALU_DEP_2)
	v_not_b32_e32 v68, v68
	v_cndmask_b32_e64 v69, 0x7fffffff, 0, vcc_lo
	v_xor_b32_e32 v42, v68, v42
	s_delay_alu instid0(VALU_DEP_2) | instskip(NEXT) | instid1(VALU_DEP_1)
	v_xor_b32_e32 v43, v69, v43
	v_cmp_ne_u64_e32 vcc_lo, s[36:37], v[42:43]
	v_cndmask_b32_e32 v69, 0x7fffffff, v43, vcc_lo
	v_cndmask_b32_e32 v68, -1, v42, vcc_lo
	s_delay_alu instid0(VALU_DEP_1) | instskip(NEXT) | instid1(VALU_DEP_1)
	v_lshrrev_b64 v[68:69], s42, v[68:69]
	v_and_b32_e32 v68, s50, v68
	s_delay_alu instid0(VALU_DEP_1)
	v_and_b32_e32 v69, 1, v68
	v_lshlrev_b32_e32 v70, 30, v68
	v_lshlrev_b32_e32 v71, 29, v68
	;; [unrolled: 1-line block ×4, first 2 shown]
	v_add_co_u32 v69, s16, v69, -1
	s_delay_alu instid0(VALU_DEP_1)
	v_cndmask_b32_e64 v73, 0, 1, s16
	v_not_b32_e32 v222, v70
	v_cmp_gt_i32_e64 s16, 0, v70
	v_not_b32_e32 v70, v71
	v_lshlrev_b32_e32 v75, 26, v68
	v_cmp_ne_u32_e32 vcc_lo, 0, v73
	v_ashrrev_i32_e32 v222, 31, v222
	v_lshlrev_b32_e32 v221, 25, v68
	v_ashrrev_i32_e32 v70, 31, v70
	v_lshlrev_b32_e32 v73, 24, v68
	v_xor_b32_e32 v69, vcc_lo, v69
	v_cmp_gt_i32_e32 vcc_lo, 0, v71
	v_not_b32_e32 v71, v72
	v_xor_b32_e32 v222, s16, v222
	v_cmp_gt_i32_e64 s16, 0, v72
	v_and_b32_e32 v69, exec_lo, v69
	v_not_b32_e32 v72, v74
	v_ashrrev_i32_e32 v71, 31, v71
	v_xor_b32_e32 v70, vcc_lo, v70
	v_cmp_gt_i32_e32 vcc_lo, 0, v74
	v_and_b32_e32 v69, v69, v222
	v_not_b32_e32 v74, v75
	v_ashrrev_i32_e32 v72, 31, v72
	v_xor_b32_e32 v71, s16, v71
	v_cmp_gt_i32_e64 s16, 0, v75
	v_and_b32_e32 v69, v69, v70
	v_not_b32_e32 v70, v221
	v_ashrrev_i32_e32 v74, 31, v74
	v_xor_b32_e32 v72, vcc_lo, v72
	v_cmp_gt_i32_e32 vcc_lo, 0, v221
	v_and_b32_e32 v69, v69, v71
	v_not_b32_e32 v71, v73
	v_ashrrev_i32_e32 v70, 31, v70
	v_xor_b32_e32 v74, s16, v74
	v_mul_u32_u24_e32 v68, 9, v68
	v_and_b32_e32 v69, v69, v72
	v_cmp_gt_i32_e64 s16, 0, v73
	v_ashrrev_i32_e32 v71, 31, v71
	v_xor_b32_e32 v70, vcc_lo, v70
	v_add_lshl_u32 v72, v68, v158, 2
	v_and_b32_e32 v69, v69, v74
	s_delay_alu instid0(VALU_DEP_4) | instskip(SKIP_3) | instid1(VALU_DEP_2)
	v_xor_b32_e32 v68, s16, v71
	ds_load_b32 v221, v72 offset:1056
	v_and_b32_e32 v69, v69, v70
	v_add_nc_u32_e32 v223, 0x420, v72
	; wave barrier
	v_and_b32_e32 v68, v69, v68
	s_delay_alu instid0(VALU_DEP_1) | instskip(SKIP_1) | instid1(VALU_DEP_2)
	v_mbcnt_lo_u32_b32 v222, v68, 0
	v_cmp_ne_u32_e64 s16, 0, v68
	v_cmp_eq_u32_e32 vcc_lo, 0, v222
	s_delay_alu instid0(VALU_DEP_2) | instskip(NEXT) | instid1(SALU_CYCLE_1)
	s_and_b32 s17, s16, vcc_lo
	s_and_saveexec_b32 s16, s17
	s_cbranch_execz .LBB1126_1054
; %bb.1053:                             ;   in Loop: Header=BB1126_985 Depth=2
	s_waitcnt lgkmcnt(0)
	v_bcnt_u32_b32 v68, v68, v221
	ds_store_b32 v223, v68
.LBB1126_1054:                          ;   in Loop: Header=BB1126_985 Depth=2
	s_or_b32 exec_lo, exec_lo, s16
	; wave barrier
	s_waitcnt lgkmcnt(0)
	s_barrier
	buffer_gl0_inv
	ds_load_b32 v224, v102 offset:1056
	ds_load_2addr_b32 v[74:75], v103 offset0:1 offset1:2
	ds_load_2addr_b32 v[72:73], v103 offset0:3 offset1:4
	ds_load_2addr_b32 v[68:69], v103 offset0:5 offset1:6
	ds_load_2addr_b32 v[70:71], v103 offset0:7 offset1:8
	s_waitcnt lgkmcnt(3)
	v_add3_u32 v225, v74, v224, v75
	s_waitcnt lgkmcnt(2)
	s_delay_alu instid0(VALU_DEP_1) | instskip(SKIP_1) | instid1(VALU_DEP_1)
	v_add3_u32 v225, v225, v72, v73
	s_waitcnt lgkmcnt(1)
	v_add3_u32 v225, v225, v68, v69
	s_waitcnt lgkmcnt(0)
	s_delay_alu instid0(VALU_DEP_1) | instskip(NEXT) | instid1(VALU_DEP_1)
	v_add3_u32 v71, v225, v70, v71
	v_mov_b32_dpp v225, v71 row_shr:1 row_mask:0xf bank_mask:0xf
	s_delay_alu instid0(VALU_DEP_1) | instskip(NEXT) | instid1(VALU_DEP_1)
	v_cndmask_b32_e64 v225, v225, 0, s1
	v_add_nc_u32_e32 v71, v225, v71
	s_delay_alu instid0(VALU_DEP_1) | instskip(NEXT) | instid1(VALU_DEP_1)
	v_mov_b32_dpp v225, v71 row_shr:2 row_mask:0xf bank_mask:0xf
	v_cndmask_b32_e64 v225, 0, v225, s7
	s_delay_alu instid0(VALU_DEP_1) | instskip(NEXT) | instid1(VALU_DEP_1)
	v_add_nc_u32_e32 v71, v71, v225
	v_mov_b32_dpp v225, v71 row_shr:4 row_mask:0xf bank_mask:0xf
	s_delay_alu instid0(VALU_DEP_1) | instskip(NEXT) | instid1(VALU_DEP_1)
	v_cndmask_b32_e64 v225, 0, v225, s8
	v_add_nc_u32_e32 v71, v71, v225
	s_delay_alu instid0(VALU_DEP_1) | instskip(NEXT) | instid1(VALU_DEP_1)
	v_mov_b32_dpp v225, v71 row_shr:8 row_mask:0xf bank_mask:0xf
	v_cndmask_b32_e64 v225, 0, v225, s9
	s_delay_alu instid0(VALU_DEP_1) | instskip(SKIP_3) | instid1(VALU_DEP_1)
	v_add_nc_u32_e32 v71, v71, v225
	ds_swizzle_b32 v225, v71 offset:swizzle(BROADCAST,32,15)
	s_waitcnt lgkmcnt(0)
	v_cndmask_b32_e64 v225, v225, 0, s10
	v_add_nc_u32_e32 v71, v71, v225
	s_and_saveexec_b32 s16, s3
	s_cbranch_execz .LBB1126_1056
; %bb.1055:                             ;   in Loop: Header=BB1126_985 Depth=2
	ds_store_b32 v94, v71 offset:1024
.LBB1126_1056:                          ;   in Loop: Header=BB1126_985 Depth=2
	s_or_b32 exec_lo, exec_lo, s16
	s_waitcnt lgkmcnt(0)
	s_barrier
	buffer_gl0_inv
	s_and_saveexec_b32 s16, s4
	s_cbranch_execz .LBB1126_1058
; %bb.1057:                             ;   in Loop: Header=BB1126_985 Depth=2
	ds_load_b32 v225, v104 offset:1024
	s_waitcnt lgkmcnt(0)
	v_mov_b32_dpp v226, v225 row_shr:1 row_mask:0xf bank_mask:0xf
	s_delay_alu instid0(VALU_DEP_1) | instskip(NEXT) | instid1(VALU_DEP_1)
	v_cndmask_b32_e64 v226, v226, 0, s12
	v_add_nc_u32_e32 v225, v226, v225
	s_delay_alu instid0(VALU_DEP_1) | instskip(NEXT) | instid1(VALU_DEP_1)
	v_mov_b32_dpp v226, v225 row_shr:2 row_mask:0xf bank_mask:0xf
	v_cndmask_b32_e64 v226, 0, v226, s13
	s_delay_alu instid0(VALU_DEP_1) | instskip(NEXT) | instid1(VALU_DEP_1)
	v_add_nc_u32_e32 v225, v225, v226
	v_mov_b32_dpp v226, v225 row_shr:4 row_mask:0xf bank_mask:0xf
	s_delay_alu instid0(VALU_DEP_1) | instskip(NEXT) | instid1(VALU_DEP_1)
	v_cndmask_b32_e64 v226, 0, v226, s14
	v_add_nc_u32_e32 v225, v225, v226
	ds_store_b32 v104, v225 offset:1024
.LBB1126_1058:                          ;   in Loop: Header=BB1126_985 Depth=2
	s_or_b32 exec_lo, exec_lo, s16
	v_mov_b32_e32 v225, 0
	s_waitcnt lgkmcnt(0)
	s_barrier
	buffer_gl0_inv
	s_and_saveexec_b32 s16, s5
	s_cbranch_execz .LBB1126_1060
; %bb.1059:                             ;   in Loop: Header=BB1126_985 Depth=2
	ds_load_b32 v225, v94 offset:1020
.LBB1126_1060:                          ;   in Loop: Header=BB1126_985 Depth=2
	s_or_b32 exec_lo, exec_lo, s16
	s_waitcnt lgkmcnt(0)
	v_add_nc_u32_e32 v71, v225, v71
	ds_bpermute_b32 v71, v137, v71
	s_waitcnt lgkmcnt(0)
	v_cndmask_b32_e64 v71, v71, v225, s11
	s_delay_alu instid0(VALU_DEP_1) | instskip(NEXT) | instid1(VALU_DEP_1)
	v_cndmask_b32_e64 v71, v71, 0, s0
	v_add_nc_u32_e32 v224, v71, v224
	s_delay_alu instid0(VALU_DEP_1) | instskip(NEXT) | instid1(VALU_DEP_1)
	v_add_nc_u32_e32 v74, v224, v74
	v_add_nc_u32_e32 v75, v74, v75
	s_delay_alu instid0(VALU_DEP_1) | instskip(NEXT) | instid1(VALU_DEP_1)
	v_add_nc_u32_e32 v72, v75, v72
	;; [unrolled: 3-line block ×3, first 2 shown]
	v_add_nc_u32_e32 v69, v68, v69
	s_delay_alu instid0(VALU_DEP_1)
	v_add_nc_u32_e32 v70, v69, v70
	ds_store_b32 v102, v71 offset:1056
	ds_store_2addr_b32 v103, v224, v74 offset0:1 offset1:2
	ds_store_2addr_b32 v103, v75, v72 offset0:3 offset1:4
	;; [unrolled: 1-line block ×4, first 2 shown]
	v_mov_b32_e32 v68, 0x1000
	s_waitcnt lgkmcnt(0)
	s_barrier
	buffer_gl0_inv
	ds_load_b32 v70, v181
	ds_load_b32 v71, v184
	;; [unrolled: 1-line block ×16, first 2 shown]
	ds_load_b32 v178, v102 offset:1056
	s_and_saveexec_b32 s16, s6
	s_cbranch_execz .LBB1126_1062
; %bb.1061:                             ;   in Loop: Header=BB1126_985 Depth=2
	ds_load_b32 v68, v105 offset:1056
.LBB1126_1062:                          ;   in Loop: Header=BB1126_985 Depth=2
	s_or_b32 exec_lo, exec_lo, s16
	s_waitcnt lgkmcnt(0)
	s_barrier
	buffer_gl0_inv
	s_and_saveexec_b32 s16, s2
	s_cbranch_execz .LBB1126_1064
; %bb.1063:                             ;   in Loop: Header=BB1126_985 Depth=2
	ds_load_b32 v202, v76
	s_waitcnt lgkmcnt(0)
	v_sub_nc_u32_e32 v178, v202, v178
	ds_store_b32 v76, v178
.LBB1126_1064:                          ;   in Loop: Header=BB1126_985 Depth=2
	s_or_b32 exec_lo, exec_lo, s16
	v_add_nc_u32_e32 v179, v180, v179
	v_add_nc_u32_e32 v180, v183, v182
	v_add_lshl_u32 v69, v69, v2, 3
	v_add_nc_u32_e32 v2, v186, v185
	v_add_nc_u32_e32 v191, v192, v191
	;; [unrolled: 1-line block ×3, first 2 shown]
	v_add_lshl_u32 v70, v179, v70, 3
	v_add_lshl_u32 v71, v180, v71, 3
	v_add_nc_u32_e32 v209, v210, v209
	v_add_nc_u32_e32 v206, v207, v206
	;; [unrolled: 1-line block ×4, first 2 shown]
	v_add_lshl_u32 v72, v2, v72, 3
	v_add_nc_u32_e32 v208, v213, v212
	v_add_nc_u32_e32 v203, v204, v203
	;; [unrolled: 1-line block ×3, first 2 shown]
	ds_store_b64 v69, v[36:37] offset:1024
	v_add_lshl_u32 v73, v182, v73, 3
	ds_store_b64 v70, v[38:39] offset:1024
	ds_store_b64 v71, v[44:45] offset:1024
	v_add_lshl_u32 v39, v191, v225, 3
	v_add_nc_u32_e32 v178, v222, v221
	v_add_nc_u32_e32 v202, v219, v218
	;; [unrolled: 1-line block ×3, first 2 shown]
	ds_store_b64 v72, v[48:49] offset:1024
	ds_store_b64 v73, v[54:55] offset:1024
	v_add_lshl_u32 v44, v194, v224, 3
	v_add_lshl_u32 v48, v200, v196, 3
	;; [unrolled: 1-line block ×5, first 2 shown]
	ds_store_b64 v39, v[58:59] offset:1024
	v_add_lshl_u32 v49, v203, v193, 3
	v_add_lshl_u32 v58, v208, v184, 3
	ds_store_b64 v44, v[62:63] offset:1024
	ds_store_b64 v45, v[66:67] offset:1024
	;; [unrolled: 1-line block ×5, first 2 shown]
	v_add_lshl_u32 v56, v205, v181, 3
	v_add_lshl_u32 v57, v202, v75, 3
	ds_store_b64 v55, v[52:53] offset:1024
	ds_store_b64 v58, v[50:51] offset:1024
	v_add_lshl_u32 v50, v178, v74, 3
	v_cmp_lt_u32_e32 vcc_lo, v1, v177
	v_add_nc_u32_e32 v38, v104, v76
	ds_store_b64 v56, v[46:47] offset:1024
	ds_store_b64 v57, v[40:41] offset:1024
	;; [unrolled: 1-line block ×3, first 2 shown]
	s_waitcnt lgkmcnt(0)
	s_barrier
	buffer_gl0_inv
	s_and_saveexec_b32 s17, vcc_lo
	s_cbranch_execz .LBB1126_1080
; %bb.1065:                             ;   in Loop: Header=BB1126_985 Depth=2
	ds_load_b64 v[36:37], v38 offset:1024
	s_waitcnt lgkmcnt(0)
	v_cmp_ne_u64_e64 s16, s[36:37], v[36:37]
	s_delay_alu instid0(VALU_DEP_1) | instskip(SKIP_2) | instid1(VALU_DEP_2)
	v_cndmask_b32_e64 v41, 0x7fffffff, v37, s16
	v_cndmask_b32_e64 v40, -1, v36, s16
	v_cmp_gt_i64_e64 s16, 0, v[36:37]
	v_lshrrev_b64 v[40:41], s42, v[40:41]
	s_delay_alu instid0(VALU_DEP_2) | instskip(NEXT) | instid1(VALU_DEP_2)
	v_cndmask_b32_e64 v42, 0x7fffffff, 0, s16
	v_and_b32_e32 v2, s50, v40
	v_ashrrev_i32_e32 v40, 31, v37
	s_delay_alu instid0(VALU_DEP_3) | instskip(NEXT) | instid1(VALU_DEP_3)
	v_xor_b32_e32 v37, v42, v37
	v_lshlrev_b32_e32 v2, 2, v2
	s_delay_alu instid0(VALU_DEP_3) | instskip(SKIP_4) | instid1(VALU_DEP_1)
	v_not_b32_e32 v43, v40
	ds_load_b32 v2, v2
	v_xor_b32_e32 v36, v43, v36
	s_waitcnt lgkmcnt(0)
	v_add_nc_u32_e32 v2, v2, v1
	v_lshlrev_b64 v[40:41], 3, v[2:3]
	s_delay_alu instid0(VALU_DEP_1) | instskip(NEXT) | instid1(VALU_DEP_1)
	v_add_co_u32 v40, s16, s48, v40
	v_add_co_ci_u32_e64 v41, s16, s49, v41, s16
	global_store_b64 v[40:41], v[36:37], off
	s_or_b32 exec_lo, exec_lo, s17
	v_cmp_lt_u32_e64 s16, v77, v177
	s_delay_alu instid0(VALU_DEP_1)
	s_and_saveexec_b32 s18, s16
	s_cbranch_execnz .LBB1126_1081
.LBB1126_1066:                          ;   in Loop: Header=BB1126_985 Depth=2
	s_or_b32 exec_lo, exec_lo, s18
	v_cmp_lt_u32_e64 s17, v78, v177
	s_delay_alu instid0(VALU_DEP_1)
	s_and_saveexec_b32 s19, s17
	s_cbranch_execz .LBB1126_1082
.LBB1126_1067:                          ;   in Loop: Header=BB1126_985 Depth=2
	ds_load_b64 v[36:37], v110 offset:4096
	s_waitcnt lgkmcnt(0)
	v_cmp_ne_u64_e64 s18, s[36:37], v[36:37]
	s_delay_alu instid0(VALU_DEP_1) | instskip(SKIP_2) | instid1(VALU_DEP_2)
	v_cndmask_b32_e64 v41, 0x7fffffff, v37, s18
	v_cndmask_b32_e64 v40, -1, v36, s18
	v_cmp_gt_i64_e64 s18, 0, v[36:37]
	v_lshrrev_b64 v[40:41], s42, v[40:41]
	s_delay_alu instid0(VALU_DEP_2) | instskip(NEXT) | instid1(VALU_DEP_2)
	v_cndmask_b32_e64 v42, 0x7fffffff, 0, s18
	v_and_b32_e32 v2, s50, v40
	v_ashrrev_i32_e32 v40, 31, v37
	s_delay_alu instid0(VALU_DEP_3) | instskip(NEXT) | instid1(VALU_DEP_3)
	v_xor_b32_e32 v37, v42, v37
	v_lshlrev_b32_e32 v2, 2, v2
	s_delay_alu instid0(VALU_DEP_3) | instskip(SKIP_4) | instid1(VALU_DEP_1)
	v_not_b32_e32 v43, v40
	ds_load_b32 v2, v2
	v_xor_b32_e32 v36, v43, v36
	s_waitcnt lgkmcnt(0)
	v_add_nc_u32_e32 v2, v2, v78
	v_lshlrev_b64 v[40:41], 3, v[2:3]
	s_delay_alu instid0(VALU_DEP_1) | instskip(NEXT) | instid1(VALU_DEP_1)
	v_add_co_u32 v40, s18, s48, v40
	v_add_co_ci_u32_e64 v41, s18, s49, v41, s18
	global_store_b64 v[40:41], v[36:37], off
	s_or_b32 exec_lo, exec_lo, s19
	v_cmp_lt_u32_e64 s18, v79, v177
	s_delay_alu instid0(VALU_DEP_1)
	s_and_saveexec_b32 s20, s18
	s_cbranch_execnz .LBB1126_1083
.LBB1126_1068:                          ;   in Loop: Header=BB1126_985 Depth=2
	s_or_b32 exec_lo, exec_lo, s20
	v_cmp_lt_u32_e64 s19, v83, v177
	s_delay_alu instid0(VALU_DEP_1)
	s_and_saveexec_b32 s21, s19
	s_cbranch_execz .LBB1126_1084
.LBB1126_1069:                          ;   in Loop: Header=BB1126_985 Depth=2
	ds_load_b64 v[36:37], v110 offset:8192
	s_waitcnt lgkmcnt(0)
	v_cmp_ne_u64_e64 s20, s[36:37], v[36:37]
	s_delay_alu instid0(VALU_DEP_1) | instskip(SKIP_2) | instid1(VALU_DEP_2)
	v_cndmask_b32_e64 v41, 0x7fffffff, v37, s20
	v_cndmask_b32_e64 v40, -1, v36, s20
	v_cmp_gt_i64_e64 s20, 0, v[36:37]
	v_lshrrev_b64 v[40:41], s42, v[40:41]
	s_delay_alu instid0(VALU_DEP_2) | instskip(NEXT) | instid1(VALU_DEP_2)
	v_cndmask_b32_e64 v42, 0x7fffffff, 0, s20
	v_and_b32_e32 v2, s50, v40
	v_ashrrev_i32_e32 v40, 31, v37
	s_delay_alu instid0(VALU_DEP_3) | instskip(NEXT) | instid1(VALU_DEP_3)
	v_xor_b32_e32 v37, v42, v37
	v_lshlrev_b32_e32 v2, 2, v2
	s_delay_alu instid0(VALU_DEP_3) | instskip(SKIP_4) | instid1(VALU_DEP_1)
	v_not_b32_e32 v43, v40
	ds_load_b32 v2, v2
	v_xor_b32_e32 v36, v43, v36
	s_waitcnt lgkmcnt(0)
	v_add_nc_u32_e32 v2, v2, v83
	v_lshlrev_b64 v[40:41], 3, v[2:3]
	s_delay_alu instid0(VALU_DEP_1) | instskip(NEXT) | instid1(VALU_DEP_1)
	v_add_co_u32 v40, s20, s48, v40
	v_add_co_ci_u32_e64 v41, s20, s49, v41, s20
	global_store_b64 v[40:41], v[36:37], off
	s_or_b32 exec_lo, exec_lo, s21
	v_cmp_lt_u32_e64 s20, v84, v177
	s_delay_alu instid0(VALU_DEP_1)
	s_and_saveexec_b32 s22, s20
	s_cbranch_execnz .LBB1126_1085
.LBB1126_1070:                          ;   in Loop: Header=BB1126_985 Depth=2
	s_or_b32 exec_lo, exec_lo, s22
	v_cmp_lt_u32_e64 s21, v85, v177
	s_delay_alu instid0(VALU_DEP_1)
	s_and_saveexec_b32 s23, s21
	s_cbranch_execz .LBB1126_1086
.LBB1126_1071:                          ;   in Loop: Header=BB1126_985 Depth=2
	ds_load_b64 v[36:37], v110 offset:12288
	s_waitcnt lgkmcnt(0)
	v_cmp_ne_u64_e64 s22, s[36:37], v[36:37]
	s_delay_alu instid0(VALU_DEP_1) | instskip(SKIP_2) | instid1(VALU_DEP_2)
	v_cndmask_b32_e64 v41, 0x7fffffff, v37, s22
	v_cndmask_b32_e64 v40, -1, v36, s22
	v_cmp_gt_i64_e64 s22, 0, v[36:37]
	v_lshrrev_b64 v[40:41], s42, v[40:41]
	s_delay_alu instid0(VALU_DEP_2) | instskip(NEXT) | instid1(VALU_DEP_2)
	v_cndmask_b32_e64 v42, 0x7fffffff, 0, s22
	v_and_b32_e32 v2, s50, v40
	v_ashrrev_i32_e32 v40, 31, v37
	s_delay_alu instid0(VALU_DEP_3) | instskip(NEXT) | instid1(VALU_DEP_3)
	v_xor_b32_e32 v37, v42, v37
	v_lshlrev_b32_e32 v2, 2, v2
	s_delay_alu instid0(VALU_DEP_3) | instskip(SKIP_4) | instid1(VALU_DEP_1)
	v_not_b32_e32 v43, v40
	ds_load_b32 v2, v2
	v_xor_b32_e32 v36, v43, v36
	s_waitcnt lgkmcnt(0)
	v_add_nc_u32_e32 v2, v2, v85
	v_lshlrev_b64 v[40:41], 3, v[2:3]
	s_delay_alu instid0(VALU_DEP_1) | instskip(NEXT) | instid1(VALU_DEP_1)
	v_add_co_u32 v40, s22, s48, v40
	v_add_co_ci_u32_e64 v41, s22, s49, v41, s22
	global_store_b64 v[40:41], v[36:37], off
	s_or_b32 exec_lo, exec_lo, s23
	v_cmp_lt_u32_e64 s22, v86, v177
	s_delay_alu instid0(VALU_DEP_1)
	s_and_saveexec_b32 s24, s22
	s_cbranch_execnz .LBB1126_1087
.LBB1126_1072:                          ;   in Loop: Header=BB1126_985 Depth=2
	s_or_b32 exec_lo, exec_lo, s24
	v_cmp_lt_u32_e64 s23, v87, v177
	s_delay_alu instid0(VALU_DEP_1)
	s_and_saveexec_b32 s25, s23
	s_cbranch_execz .LBB1126_1088
.LBB1126_1073:                          ;   in Loop: Header=BB1126_985 Depth=2
	ds_load_b64 v[36:37], v110 offset:16384
	s_waitcnt lgkmcnt(0)
	v_cmp_ne_u64_e64 s24, s[36:37], v[36:37]
	s_delay_alu instid0(VALU_DEP_1) | instskip(SKIP_2) | instid1(VALU_DEP_2)
	v_cndmask_b32_e64 v41, 0x7fffffff, v37, s24
	v_cndmask_b32_e64 v40, -1, v36, s24
	v_cmp_gt_i64_e64 s24, 0, v[36:37]
	v_lshrrev_b64 v[40:41], s42, v[40:41]
	s_delay_alu instid0(VALU_DEP_2) | instskip(NEXT) | instid1(VALU_DEP_2)
	v_cndmask_b32_e64 v42, 0x7fffffff, 0, s24
	v_and_b32_e32 v2, s50, v40
	v_ashrrev_i32_e32 v40, 31, v37
	s_delay_alu instid0(VALU_DEP_3) | instskip(NEXT) | instid1(VALU_DEP_3)
	v_xor_b32_e32 v37, v42, v37
	v_lshlrev_b32_e32 v2, 2, v2
	s_delay_alu instid0(VALU_DEP_3) | instskip(SKIP_4) | instid1(VALU_DEP_1)
	v_not_b32_e32 v43, v40
	ds_load_b32 v2, v2
	v_xor_b32_e32 v36, v43, v36
	s_waitcnt lgkmcnt(0)
	v_add_nc_u32_e32 v2, v2, v87
	v_lshlrev_b64 v[40:41], 3, v[2:3]
	s_delay_alu instid0(VALU_DEP_1) | instskip(NEXT) | instid1(VALU_DEP_1)
	v_add_co_u32 v40, s24, s48, v40
	v_add_co_ci_u32_e64 v41, s24, s49, v41, s24
	global_store_b64 v[40:41], v[36:37], off
	s_or_b32 exec_lo, exec_lo, s25
	v_cmp_lt_u32_e64 s24, v88, v177
	s_delay_alu instid0(VALU_DEP_1)
	s_and_saveexec_b32 s26, s24
	s_cbranch_execnz .LBB1126_1089
.LBB1126_1074:                          ;   in Loop: Header=BB1126_985 Depth=2
	s_or_b32 exec_lo, exec_lo, s26
	v_cmp_lt_u32_e64 s25, v89, v177
	s_delay_alu instid0(VALU_DEP_1)
	s_and_saveexec_b32 s27, s25
	s_cbranch_execz .LBB1126_1090
.LBB1126_1075:                          ;   in Loop: Header=BB1126_985 Depth=2
	ds_load_b64 v[36:37], v110 offset:20480
	s_waitcnt lgkmcnt(0)
	v_cmp_ne_u64_e64 s26, s[36:37], v[36:37]
	s_delay_alu instid0(VALU_DEP_1) | instskip(SKIP_2) | instid1(VALU_DEP_2)
	v_cndmask_b32_e64 v41, 0x7fffffff, v37, s26
	v_cndmask_b32_e64 v40, -1, v36, s26
	v_cmp_gt_i64_e64 s26, 0, v[36:37]
	v_lshrrev_b64 v[40:41], s42, v[40:41]
	s_delay_alu instid0(VALU_DEP_2) | instskip(NEXT) | instid1(VALU_DEP_2)
	v_cndmask_b32_e64 v42, 0x7fffffff, 0, s26
	v_and_b32_e32 v2, s50, v40
	v_ashrrev_i32_e32 v40, 31, v37
	s_delay_alu instid0(VALU_DEP_3) | instskip(NEXT) | instid1(VALU_DEP_3)
	v_xor_b32_e32 v37, v42, v37
	v_lshlrev_b32_e32 v2, 2, v2
	s_delay_alu instid0(VALU_DEP_3) | instskip(SKIP_4) | instid1(VALU_DEP_1)
	v_not_b32_e32 v43, v40
	ds_load_b32 v2, v2
	v_xor_b32_e32 v36, v43, v36
	s_waitcnt lgkmcnt(0)
	v_add_nc_u32_e32 v2, v2, v89
	v_lshlrev_b64 v[40:41], 3, v[2:3]
	s_delay_alu instid0(VALU_DEP_1) | instskip(NEXT) | instid1(VALU_DEP_1)
	v_add_co_u32 v40, s26, s48, v40
	v_add_co_ci_u32_e64 v41, s26, s49, v41, s26
	global_store_b64 v[40:41], v[36:37], off
	s_or_b32 exec_lo, exec_lo, s27
	v_cmp_lt_u32_e64 s26, v90, v177
	s_delay_alu instid0(VALU_DEP_1)
	s_and_saveexec_b32 s28, s26
	s_cbranch_execnz .LBB1126_1091
.LBB1126_1076:                          ;   in Loop: Header=BB1126_985 Depth=2
	s_or_b32 exec_lo, exec_lo, s28
	v_cmp_lt_u32_e64 s27, v91, v177
	s_delay_alu instid0(VALU_DEP_1)
	s_and_saveexec_b32 s29, s27
	s_cbranch_execz .LBB1126_1092
.LBB1126_1077:                          ;   in Loop: Header=BB1126_985 Depth=2
	ds_load_b64 v[36:37], v110 offset:24576
	s_waitcnt lgkmcnt(0)
	v_cmp_ne_u64_e64 s28, s[36:37], v[36:37]
	s_delay_alu instid0(VALU_DEP_1) | instskip(SKIP_2) | instid1(VALU_DEP_2)
	v_cndmask_b32_e64 v41, 0x7fffffff, v37, s28
	v_cndmask_b32_e64 v40, -1, v36, s28
	v_cmp_gt_i64_e64 s28, 0, v[36:37]
	v_lshrrev_b64 v[40:41], s42, v[40:41]
	s_delay_alu instid0(VALU_DEP_2) | instskip(NEXT) | instid1(VALU_DEP_2)
	v_cndmask_b32_e64 v42, 0x7fffffff, 0, s28
	v_and_b32_e32 v2, s50, v40
	v_ashrrev_i32_e32 v40, 31, v37
	s_delay_alu instid0(VALU_DEP_3) | instskip(NEXT) | instid1(VALU_DEP_3)
	v_xor_b32_e32 v37, v42, v37
	v_lshlrev_b32_e32 v2, 2, v2
	s_delay_alu instid0(VALU_DEP_3) | instskip(SKIP_4) | instid1(VALU_DEP_1)
	v_not_b32_e32 v43, v40
	ds_load_b32 v2, v2
	v_xor_b32_e32 v36, v43, v36
	s_waitcnt lgkmcnt(0)
	v_add_nc_u32_e32 v2, v2, v91
	v_lshlrev_b64 v[40:41], 3, v[2:3]
	s_delay_alu instid0(VALU_DEP_1) | instskip(NEXT) | instid1(VALU_DEP_1)
	v_add_co_u32 v40, s28, s48, v40
	v_add_co_ci_u32_e64 v41, s28, s49, v41, s28
	global_store_b64 v[40:41], v[36:37], off
	s_or_b32 exec_lo, exec_lo, s29
	v_cmp_lt_u32_e64 s28, v92, v177
	s_delay_alu instid0(VALU_DEP_1)
	s_and_saveexec_b32 s30, s28
	s_cbranch_execnz .LBB1126_1093
.LBB1126_1078:                          ;   in Loop: Header=BB1126_985 Depth=2
	s_or_b32 exec_lo, exec_lo, s30
	v_cmp_lt_u32_e64 s29, v93, v177
	s_delay_alu instid0(VALU_DEP_1)
	s_and_saveexec_b32 s31, s29
	s_cbranch_execz .LBB1126_1094
.LBB1126_1079:                          ;   in Loop: Header=BB1126_985 Depth=2
	ds_load_b64 v[36:37], v110 offset:28672
	s_waitcnt lgkmcnt(0)
	v_cmp_ne_u64_e64 s30, s[36:37], v[36:37]
	s_delay_alu instid0(VALU_DEP_1) | instskip(SKIP_2) | instid1(VALU_DEP_2)
	v_cndmask_b32_e64 v41, 0x7fffffff, v37, s30
	v_cndmask_b32_e64 v40, -1, v36, s30
	v_cmp_gt_i64_e64 s30, 0, v[36:37]
	v_lshrrev_b64 v[40:41], s42, v[40:41]
	s_delay_alu instid0(VALU_DEP_2) | instskip(NEXT) | instid1(VALU_DEP_2)
	v_cndmask_b32_e64 v42, 0x7fffffff, 0, s30
	v_and_b32_e32 v2, s50, v40
	v_ashrrev_i32_e32 v40, 31, v37
	s_delay_alu instid0(VALU_DEP_3) | instskip(NEXT) | instid1(VALU_DEP_3)
	v_xor_b32_e32 v37, v42, v37
	v_lshlrev_b32_e32 v2, 2, v2
	s_delay_alu instid0(VALU_DEP_3) | instskip(SKIP_4) | instid1(VALU_DEP_1)
	v_not_b32_e32 v43, v40
	ds_load_b32 v2, v2
	v_xor_b32_e32 v36, v43, v36
	s_waitcnt lgkmcnt(0)
	v_add_nc_u32_e32 v2, v2, v93
	v_lshlrev_b64 v[40:41], 3, v[2:3]
	s_delay_alu instid0(VALU_DEP_1) | instskip(NEXT) | instid1(VALU_DEP_1)
	v_add_co_u32 v40, s30, s48, v40
	v_add_co_ci_u32_e64 v41, s30, s49, v41, s30
	global_store_b64 v[40:41], v[36:37], off
	s_or_b32 exec_lo, exec_lo, s31
	v_cmp_lt_u32_e64 s30, v95, v177
	s_delay_alu instid0(VALU_DEP_1)
	s_and_saveexec_b32 s41, s30
	s_cbranch_execnz .LBB1126_1095
	s_branch .LBB1126_1096
.LBB1126_1080:                          ;   in Loop: Header=BB1126_985 Depth=2
	s_or_b32 exec_lo, exec_lo, s17
	v_cmp_lt_u32_e64 s16, v77, v177
	s_delay_alu instid0(VALU_DEP_1)
	s_and_saveexec_b32 s18, s16
	s_cbranch_execz .LBB1126_1066
.LBB1126_1081:                          ;   in Loop: Header=BB1126_985 Depth=2
	ds_load_b64 v[36:37], v110 offset:2048
	s_waitcnt lgkmcnt(0)
	v_cmp_ne_u64_e64 s17, s[36:37], v[36:37]
	s_delay_alu instid0(VALU_DEP_1) | instskip(SKIP_2) | instid1(VALU_DEP_2)
	v_cndmask_b32_e64 v41, 0x7fffffff, v37, s17
	v_cndmask_b32_e64 v40, -1, v36, s17
	v_cmp_gt_i64_e64 s17, 0, v[36:37]
	v_lshrrev_b64 v[40:41], s42, v[40:41]
	s_delay_alu instid0(VALU_DEP_2) | instskip(NEXT) | instid1(VALU_DEP_2)
	v_cndmask_b32_e64 v42, 0x7fffffff, 0, s17
	v_and_b32_e32 v2, s50, v40
	v_ashrrev_i32_e32 v40, 31, v37
	s_delay_alu instid0(VALU_DEP_3) | instskip(NEXT) | instid1(VALU_DEP_3)
	v_xor_b32_e32 v37, v42, v37
	v_lshlrev_b32_e32 v2, 2, v2
	s_delay_alu instid0(VALU_DEP_3) | instskip(SKIP_4) | instid1(VALU_DEP_1)
	v_not_b32_e32 v43, v40
	ds_load_b32 v2, v2
	v_xor_b32_e32 v36, v43, v36
	s_waitcnt lgkmcnt(0)
	v_add_nc_u32_e32 v2, v2, v77
	v_lshlrev_b64 v[40:41], 3, v[2:3]
	s_delay_alu instid0(VALU_DEP_1) | instskip(NEXT) | instid1(VALU_DEP_1)
	v_add_co_u32 v40, s17, s48, v40
	v_add_co_ci_u32_e64 v41, s17, s49, v41, s17
	global_store_b64 v[40:41], v[36:37], off
	s_or_b32 exec_lo, exec_lo, s18
	v_cmp_lt_u32_e64 s17, v78, v177
	s_delay_alu instid0(VALU_DEP_1)
	s_and_saveexec_b32 s19, s17
	s_cbranch_execnz .LBB1126_1067
.LBB1126_1082:                          ;   in Loop: Header=BB1126_985 Depth=2
	s_or_b32 exec_lo, exec_lo, s19
	v_cmp_lt_u32_e64 s18, v79, v177
	s_delay_alu instid0(VALU_DEP_1)
	s_and_saveexec_b32 s20, s18
	s_cbranch_execz .LBB1126_1068
.LBB1126_1083:                          ;   in Loop: Header=BB1126_985 Depth=2
	ds_load_b64 v[36:37], v110 offset:6144
	s_waitcnt lgkmcnt(0)
	v_cmp_ne_u64_e64 s19, s[36:37], v[36:37]
	s_delay_alu instid0(VALU_DEP_1) | instskip(SKIP_2) | instid1(VALU_DEP_2)
	v_cndmask_b32_e64 v41, 0x7fffffff, v37, s19
	v_cndmask_b32_e64 v40, -1, v36, s19
	v_cmp_gt_i64_e64 s19, 0, v[36:37]
	v_lshrrev_b64 v[40:41], s42, v[40:41]
	s_delay_alu instid0(VALU_DEP_2) | instskip(NEXT) | instid1(VALU_DEP_2)
	v_cndmask_b32_e64 v42, 0x7fffffff, 0, s19
	v_and_b32_e32 v2, s50, v40
	v_ashrrev_i32_e32 v40, 31, v37
	s_delay_alu instid0(VALU_DEP_3) | instskip(NEXT) | instid1(VALU_DEP_3)
	v_xor_b32_e32 v37, v42, v37
	v_lshlrev_b32_e32 v2, 2, v2
	s_delay_alu instid0(VALU_DEP_3) | instskip(SKIP_4) | instid1(VALU_DEP_1)
	v_not_b32_e32 v43, v40
	ds_load_b32 v2, v2
	v_xor_b32_e32 v36, v43, v36
	s_waitcnt lgkmcnt(0)
	v_add_nc_u32_e32 v2, v2, v79
	v_lshlrev_b64 v[40:41], 3, v[2:3]
	s_delay_alu instid0(VALU_DEP_1) | instskip(NEXT) | instid1(VALU_DEP_1)
	v_add_co_u32 v40, s19, s48, v40
	v_add_co_ci_u32_e64 v41, s19, s49, v41, s19
	global_store_b64 v[40:41], v[36:37], off
	s_or_b32 exec_lo, exec_lo, s20
	v_cmp_lt_u32_e64 s19, v83, v177
	s_delay_alu instid0(VALU_DEP_1)
	s_and_saveexec_b32 s21, s19
	s_cbranch_execnz .LBB1126_1069
.LBB1126_1084:                          ;   in Loop: Header=BB1126_985 Depth=2
	s_or_b32 exec_lo, exec_lo, s21
	v_cmp_lt_u32_e64 s20, v84, v177
	s_delay_alu instid0(VALU_DEP_1)
	s_and_saveexec_b32 s22, s20
	s_cbranch_execz .LBB1126_1070
.LBB1126_1085:                          ;   in Loop: Header=BB1126_985 Depth=2
	ds_load_b64 v[36:37], v110 offset:10240
	s_waitcnt lgkmcnt(0)
	v_cmp_ne_u64_e64 s21, s[36:37], v[36:37]
	s_delay_alu instid0(VALU_DEP_1) | instskip(SKIP_2) | instid1(VALU_DEP_2)
	v_cndmask_b32_e64 v41, 0x7fffffff, v37, s21
	v_cndmask_b32_e64 v40, -1, v36, s21
	v_cmp_gt_i64_e64 s21, 0, v[36:37]
	v_lshrrev_b64 v[40:41], s42, v[40:41]
	s_delay_alu instid0(VALU_DEP_2) | instskip(NEXT) | instid1(VALU_DEP_2)
	v_cndmask_b32_e64 v42, 0x7fffffff, 0, s21
	v_and_b32_e32 v2, s50, v40
	v_ashrrev_i32_e32 v40, 31, v37
	s_delay_alu instid0(VALU_DEP_3) | instskip(NEXT) | instid1(VALU_DEP_3)
	v_xor_b32_e32 v37, v42, v37
	v_lshlrev_b32_e32 v2, 2, v2
	s_delay_alu instid0(VALU_DEP_3) | instskip(SKIP_4) | instid1(VALU_DEP_1)
	v_not_b32_e32 v43, v40
	ds_load_b32 v2, v2
	v_xor_b32_e32 v36, v43, v36
	s_waitcnt lgkmcnt(0)
	v_add_nc_u32_e32 v2, v2, v84
	v_lshlrev_b64 v[40:41], 3, v[2:3]
	s_delay_alu instid0(VALU_DEP_1) | instskip(NEXT) | instid1(VALU_DEP_1)
	v_add_co_u32 v40, s21, s48, v40
	v_add_co_ci_u32_e64 v41, s21, s49, v41, s21
	global_store_b64 v[40:41], v[36:37], off
	s_or_b32 exec_lo, exec_lo, s22
	v_cmp_lt_u32_e64 s21, v85, v177
	s_delay_alu instid0(VALU_DEP_1)
	s_and_saveexec_b32 s23, s21
	s_cbranch_execnz .LBB1126_1071
.LBB1126_1086:                          ;   in Loop: Header=BB1126_985 Depth=2
	s_or_b32 exec_lo, exec_lo, s23
	v_cmp_lt_u32_e64 s22, v86, v177
	s_delay_alu instid0(VALU_DEP_1)
	s_and_saveexec_b32 s24, s22
	s_cbranch_execz .LBB1126_1072
.LBB1126_1087:                          ;   in Loop: Header=BB1126_985 Depth=2
	ds_load_b64 v[36:37], v110 offset:14336
	s_waitcnt lgkmcnt(0)
	v_cmp_ne_u64_e64 s23, s[36:37], v[36:37]
	s_delay_alu instid0(VALU_DEP_1) | instskip(SKIP_2) | instid1(VALU_DEP_2)
	v_cndmask_b32_e64 v41, 0x7fffffff, v37, s23
	v_cndmask_b32_e64 v40, -1, v36, s23
	v_cmp_gt_i64_e64 s23, 0, v[36:37]
	v_lshrrev_b64 v[40:41], s42, v[40:41]
	s_delay_alu instid0(VALU_DEP_2) | instskip(NEXT) | instid1(VALU_DEP_2)
	v_cndmask_b32_e64 v42, 0x7fffffff, 0, s23
	v_and_b32_e32 v2, s50, v40
	v_ashrrev_i32_e32 v40, 31, v37
	s_delay_alu instid0(VALU_DEP_3) | instskip(NEXT) | instid1(VALU_DEP_3)
	v_xor_b32_e32 v37, v42, v37
	v_lshlrev_b32_e32 v2, 2, v2
	s_delay_alu instid0(VALU_DEP_3) | instskip(SKIP_4) | instid1(VALU_DEP_1)
	v_not_b32_e32 v43, v40
	ds_load_b32 v2, v2
	v_xor_b32_e32 v36, v43, v36
	s_waitcnt lgkmcnt(0)
	v_add_nc_u32_e32 v2, v2, v86
	v_lshlrev_b64 v[40:41], 3, v[2:3]
	s_delay_alu instid0(VALU_DEP_1) | instskip(NEXT) | instid1(VALU_DEP_1)
	v_add_co_u32 v40, s23, s48, v40
	v_add_co_ci_u32_e64 v41, s23, s49, v41, s23
	global_store_b64 v[40:41], v[36:37], off
	s_or_b32 exec_lo, exec_lo, s24
	v_cmp_lt_u32_e64 s23, v87, v177
	s_delay_alu instid0(VALU_DEP_1)
	s_and_saveexec_b32 s25, s23
	s_cbranch_execnz .LBB1126_1073
.LBB1126_1088:                          ;   in Loop: Header=BB1126_985 Depth=2
	s_or_b32 exec_lo, exec_lo, s25
	v_cmp_lt_u32_e64 s24, v88, v177
	s_delay_alu instid0(VALU_DEP_1)
	s_and_saveexec_b32 s26, s24
	s_cbranch_execz .LBB1126_1074
.LBB1126_1089:                          ;   in Loop: Header=BB1126_985 Depth=2
	ds_load_b64 v[36:37], v110 offset:18432
	s_waitcnt lgkmcnt(0)
	v_cmp_ne_u64_e64 s25, s[36:37], v[36:37]
	s_delay_alu instid0(VALU_DEP_1) | instskip(SKIP_2) | instid1(VALU_DEP_2)
	v_cndmask_b32_e64 v41, 0x7fffffff, v37, s25
	v_cndmask_b32_e64 v40, -1, v36, s25
	v_cmp_gt_i64_e64 s25, 0, v[36:37]
	v_lshrrev_b64 v[40:41], s42, v[40:41]
	s_delay_alu instid0(VALU_DEP_2) | instskip(NEXT) | instid1(VALU_DEP_2)
	v_cndmask_b32_e64 v42, 0x7fffffff, 0, s25
	v_and_b32_e32 v2, s50, v40
	v_ashrrev_i32_e32 v40, 31, v37
	s_delay_alu instid0(VALU_DEP_3) | instskip(NEXT) | instid1(VALU_DEP_3)
	v_xor_b32_e32 v37, v42, v37
	v_lshlrev_b32_e32 v2, 2, v2
	s_delay_alu instid0(VALU_DEP_3) | instskip(SKIP_4) | instid1(VALU_DEP_1)
	v_not_b32_e32 v43, v40
	ds_load_b32 v2, v2
	v_xor_b32_e32 v36, v43, v36
	s_waitcnt lgkmcnt(0)
	v_add_nc_u32_e32 v2, v2, v88
	v_lshlrev_b64 v[40:41], 3, v[2:3]
	s_delay_alu instid0(VALU_DEP_1) | instskip(NEXT) | instid1(VALU_DEP_1)
	v_add_co_u32 v40, s25, s48, v40
	v_add_co_ci_u32_e64 v41, s25, s49, v41, s25
	global_store_b64 v[40:41], v[36:37], off
	s_or_b32 exec_lo, exec_lo, s26
	v_cmp_lt_u32_e64 s25, v89, v177
	s_delay_alu instid0(VALU_DEP_1)
	s_and_saveexec_b32 s27, s25
	s_cbranch_execnz .LBB1126_1075
.LBB1126_1090:                          ;   in Loop: Header=BB1126_985 Depth=2
	s_or_b32 exec_lo, exec_lo, s27
	v_cmp_lt_u32_e64 s26, v90, v177
	s_delay_alu instid0(VALU_DEP_1)
	s_and_saveexec_b32 s28, s26
	s_cbranch_execz .LBB1126_1076
.LBB1126_1091:                          ;   in Loop: Header=BB1126_985 Depth=2
	ds_load_b64 v[36:37], v110 offset:22528
	s_waitcnt lgkmcnt(0)
	v_cmp_ne_u64_e64 s27, s[36:37], v[36:37]
	s_delay_alu instid0(VALU_DEP_1) | instskip(SKIP_2) | instid1(VALU_DEP_2)
	v_cndmask_b32_e64 v41, 0x7fffffff, v37, s27
	v_cndmask_b32_e64 v40, -1, v36, s27
	v_cmp_gt_i64_e64 s27, 0, v[36:37]
	v_lshrrev_b64 v[40:41], s42, v[40:41]
	s_delay_alu instid0(VALU_DEP_2) | instskip(NEXT) | instid1(VALU_DEP_2)
	v_cndmask_b32_e64 v42, 0x7fffffff, 0, s27
	v_and_b32_e32 v2, s50, v40
	v_ashrrev_i32_e32 v40, 31, v37
	s_delay_alu instid0(VALU_DEP_3) | instskip(NEXT) | instid1(VALU_DEP_3)
	v_xor_b32_e32 v37, v42, v37
	v_lshlrev_b32_e32 v2, 2, v2
	s_delay_alu instid0(VALU_DEP_3) | instskip(SKIP_4) | instid1(VALU_DEP_1)
	v_not_b32_e32 v43, v40
	ds_load_b32 v2, v2
	v_xor_b32_e32 v36, v43, v36
	s_waitcnt lgkmcnt(0)
	v_add_nc_u32_e32 v2, v2, v90
	v_lshlrev_b64 v[40:41], 3, v[2:3]
	s_delay_alu instid0(VALU_DEP_1) | instskip(NEXT) | instid1(VALU_DEP_1)
	v_add_co_u32 v40, s27, s48, v40
	v_add_co_ci_u32_e64 v41, s27, s49, v41, s27
	global_store_b64 v[40:41], v[36:37], off
	s_or_b32 exec_lo, exec_lo, s28
	v_cmp_lt_u32_e64 s27, v91, v177
	s_delay_alu instid0(VALU_DEP_1)
	s_and_saveexec_b32 s29, s27
	s_cbranch_execnz .LBB1126_1077
.LBB1126_1092:                          ;   in Loop: Header=BB1126_985 Depth=2
	s_or_b32 exec_lo, exec_lo, s29
	v_cmp_lt_u32_e64 s28, v92, v177
	s_delay_alu instid0(VALU_DEP_1)
	s_and_saveexec_b32 s30, s28
	s_cbranch_execz .LBB1126_1078
.LBB1126_1093:                          ;   in Loop: Header=BB1126_985 Depth=2
	ds_load_b64 v[36:37], v110 offset:26624
	s_waitcnt lgkmcnt(0)
	v_cmp_ne_u64_e64 s29, s[36:37], v[36:37]
	s_delay_alu instid0(VALU_DEP_1) | instskip(SKIP_2) | instid1(VALU_DEP_2)
	v_cndmask_b32_e64 v41, 0x7fffffff, v37, s29
	v_cndmask_b32_e64 v40, -1, v36, s29
	v_cmp_gt_i64_e64 s29, 0, v[36:37]
	v_lshrrev_b64 v[40:41], s42, v[40:41]
	s_delay_alu instid0(VALU_DEP_2) | instskip(NEXT) | instid1(VALU_DEP_2)
	v_cndmask_b32_e64 v42, 0x7fffffff, 0, s29
	v_and_b32_e32 v2, s50, v40
	v_ashrrev_i32_e32 v40, 31, v37
	s_delay_alu instid0(VALU_DEP_3) | instskip(NEXT) | instid1(VALU_DEP_3)
	v_xor_b32_e32 v37, v42, v37
	v_lshlrev_b32_e32 v2, 2, v2
	s_delay_alu instid0(VALU_DEP_3) | instskip(SKIP_4) | instid1(VALU_DEP_1)
	v_not_b32_e32 v43, v40
	ds_load_b32 v2, v2
	v_xor_b32_e32 v36, v43, v36
	s_waitcnt lgkmcnt(0)
	v_add_nc_u32_e32 v2, v2, v92
	v_lshlrev_b64 v[40:41], 3, v[2:3]
	s_delay_alu instid0(VALU_DEP_1) | instskip(NEXT) | instid1(VALU_DEP_1)
	v_add_co_u32 v40, s29, s48, v40
	v_add_co_ci_u32_e64 v41, s29, s49, v41, s29
	global_store_b64 v[40:41], v[36:37], off
	s_or_b32 exec_lo, exec_lo, s30
	v_cmp_lt_u32_e64 s29, v93, v177
	s_delay_alu instid0(VALU_DEP_1)
	s_and_saveexec_b32 s31, s29
	s_cbranch_execnz .LBB1126_1079
.LBB1126_1094:                          ;   in Loop: Header=BB1126_985 Depth=2
	s_or_b32 exec_lo, exec_lo, s31
	v_cmp_lt_u32_e64 s30, v95, v177
	s_delay_alu instid0(VALU_DEP_1)
	s_and_saveexec_b32 s41, s30
	s_cbranch_execz .LBB1126_1096
.LBB1126_1095:                          ;   in Loop: Header=BB1126_985 Depth=2
	ds_load_b64 v[36:37], v110 offset:30720
	s_waitcnt lgkmcnt(0)
	v_cmp_ne_u64_e64 s31, s[36:37], v[36:37]
	s_delay_alu instid0(VALU_DEP_1) | instskip(SKIP_2) | instid1(VALU_DEP_2)
	v_cndmask_b32_e64 v41, 0x7fffffff, v37, s31
	v_cndmask_b32_e64 v40, -1, v36, s31
	v_cmp_gt_i64_e64 s31, 0, v[36:37]
	v_lshrrev_b64 v[40:41], s42, v[40:41]
	s_delay_alu instid0(VALU_DEP_2) | instskip(NEXT) | instid1(VALU_DEP_2)
	v_cndmask_b32_e64 v42, 0x7fffffff, 0, s31
	v_and_b32_e32 v2, s50, v40
	v_ashrrev_i32_e32 v40, 31, v37
	s_delay_alu instid0(VALU_DEP_3) | instskip(NEXT) | instid1(VALU_DEP_3)
	v_xor_b32_e32 v37, v42, v37
	v_lshlrev_b32_e32 v2, 2, v2
	s_delay_alu instid0(VALU_DEP_3) | instskip(SKIP_4) | instid1(VALU_DEP_1)
	v_not_b32_e32 v43, v40
	ds_load_b32 v2, v2
	v_xor_b32_e32 v36, v43, v36
	s_waitcnt lgkmcnt(0)
	v_add_nc_u32_e32 v2, v2, v95
	v_lshlrev_b64 v[40:41], 3, v[2:3]
	s_delay_alu instid0(VALU_DEP_1) | instskip(NEXT) | instid1(VALU_DEP_1)
	v_add_co_u32 v40, s31, s48, v40
	v_add_co_ci_u32_e64 v41, s31, s49, v41, s31
	global_store_b64 v[40:41], v[36:37], off
.LBB1126_1096:                          ;   in Loop: Header=BB1126_985 Depth=2
	s_or_b32 exec_lo, exec_lo, s41
	s_mov_b32 s41, s36
	s_delay_alu instid0(SALU_CYCLE_1) | instskip(NEXT) | instid1(SALU_CYCLE_1)
	s_lshl_b64 s[40:41], s[40:41], 3
	v_add_co_u32 v36, s31, v139, s40
	s_delay_alu instid0(VALU_DEP_1) | instskip(SKIP_1) | instid1(VALU_DEP_1)
	v_add_co_ci_u32_e64 v37, s31, s41, v140, s31
	v_cmp_lt_u32_e64 s31, v138, v177
	s_and_saveexec_b32 s40, s31
	s_delay_alu instid0(SALU_CYCLE_1)
	s_xor_b32 s31, exec_lo, s40
	s_cbranch_execz .LBB1126_1128
; %bb.1097:                             ;   in Loop: Header=BB1126_985 Depth=2
	global_load_b64 v[34:35], v[36:37], off
	s_or_b32 exec_lo, exec_lo, s31
	s_delay_alu instid0(SALU_CYCLE_1)
	s_mov_b32 s40, exec_lo
	v_cmpx_lt_u32_e64 v141, v177
	s_cbranch_execnz .LBB1126_1129
.LBB1126_1098:                          ;   in Loop: Header=BB1126_985 Depth=2
	s_or_b32 exec_lo, exec_lo, s40
	s_delay_alu instid0(SALU_CYCLE_1)
	s_mov_b32 s40, exec_lo
	v_cmpx_lt_u32_e64 v142, v177
	s_cbranch_execz .LBB1126_1130
.LBB1126_1099:                          ;   in Loop: Header=BB1126_985 Depth=2
	global_load_b64 v[30:31], v[36:37], off offset:512
	s_or_b32 exec_lo, exec_lo, s40
	s_delay_alu instid0(SALU_CYCLE_1)
	s_mov_b32 s40, exec_lo
	v_cmpx_lt_u32_e64 v143, v177
	s_cbranch_execnz .LBB1126_1131
.LBB1126_1100:                          ;   in Loop: Header=BB1126_985 Depth=2
	s_or_b32 exec_lo, exec_lo, s40
	s_delay_alu instid0(SALU_CYCLE_1)
	s_mov_b32 s40, exec_lo
	v_cmpx_lt_u32_e64 v144, v177
	s_cbranch_execz .LBB1126_1132
.LBB1126_1101:                          ;   in Loop: Header=BB1126_985 Depth=2
	global_load_b64 v[26:27], v[36:37], off offset:1024
	s_or_b32 exec_lo, exec_lo, s40
	s_delay_alu instid0(SALU_CYCLE_1)
	s_mov_b32 s40, exec_lo
	v_cmpx_lt_u32_e64 v145, v177
	s_cbranch_execnz .LBB1126_1133
.LBB1126_1102:                          ;   in Loop: Header=BB1126_985 Depth=2
	s_or_b32 exec_lo, exec_lo, s40
	s_delay_alu instid0(SALU_CYCLE_1)
	s_mov_b32 s40, exec_lo
	v_cmpx_lt_u32_e64 v146, v177
	s_cbranch_execz .LBB1126_1134
.LBB1126_1103:                          ;   in Loop: Header=BB1126_985 Depth=2
	global_load_b64 v[22:23], v[36:37], off offset:1536
	s_or_b32 exec_lo, exec_lo, s40
	s_delay_alu instid0(SALU_CYCLE_1)
	s_mov_b32 s40, exec_lo
	v_cmpx_lt_u32_e64 v147, v177
	s_cbranch_execnz .LBB1126_1135
.LBB1126_1104:                          ;   in Loop: Header=BB1126_985 Depth=2
	s_or_b32 exec_lo, exec_lo, s40
	s_delay_alu instid0(SALU_CYCLE_1)
	s_mov_b32 s40, exec_lo
	v_cmpx_lt_u32_e64 v148, v177
	s_cbranch_execz .LBB1126_1136
.LBB1126_1105:                          ;   in Loop: Header=BB1126_985 Depth=2
	global_load_b64 v[18:19], v[36:37], off offset:2048
	s_or_b32 exec_lo, exec_lo, s40
	s_delay_alu instid0(SALU_CYCLE_1)
	s_mov_b32 s40, exec_lo
	v_cmpx_lt_u32_e64 v149, v177
	s_cbranch_execnz .LBB1126_1137
.LBB1126_1106:                          ;   in Loop: Header=BB1126_985 Depth=2
	s_or_b32 exec_lo, exec_lo, s40
	s_delay_alu instid0(SALU_CYCLE_1)
	s_mov_b32 s40, exec_lo
	v_cmpx_lt_u32_e64 v150, v177
	s_cbranch_execz .LBB1126_1138
.LBB1126_1107:                          ;   in Loop: Header=BB1126_985 Depth=2
	global_load_b64 v[14:15], v[36:37], off offset:2560
	s_or_b32 exec_lo, exec_lo, s40
	s_delay_alu instid0(SALU_CYCLE_1)
	s_mov_b32 s40, exec_lo
	v_cmpx_lt_u32_e64 v151, v177
	s_cbranch_execnz .LBB1126_1139
.LBB1126_1108:                          ;   in Loop: Header=BB1126_985 Depth=2
	s_or_b32 exec_lo, exec_lo, s40
	s_delay_alu instid0(SALU_CYCLE_1)
	s_mov_b32 s40, exec_lo
	v_cmpx_lt_u32_e64 v152, v177
	s_cbranch_execz .LBB1126_1140
.LBB1126_1109:                          ;   in Loop: Header=BB1126_985 Depth=2
	global_load_b64 v[10:11], v[36:37], off offset:3072
	s_or_b32 exec_lo, exec_lo, s40
	s_delay_alu instid0(SALU_CYCLE_1)
	s_mov_b32 s40, exec_lo
	v_cmpx_lt_u32_e64 v153, v177
	s_cbranch_execnz .LBB1126_1141
.LBB1126_1110:                          ;   in Loop: Header=BB1126_985 Depth=2
	s_or_b32 exec_lo, exec_lo, s40
	s_delay_alu instid0(SALU_CYCLE_1)
	s_mov_b32 s40, exec_lo
	v_cmpx_lt_u32_e64 v154, v177
	s_cbranch_execz .LBB1126_1142
.LBB1126_1111:                          ;   in Loop: Header=BB1126_985 Depth=2
	global_load_b64 v[6:7], v[36:37], off offset:3584
	s_or_b32 exec_lo, exec_lo, s40
	s_delay_alu instid0(SALU_CYCLE_1)
	s_mov_b32 s40, exec_lo
	v_cmpx_lt_u32_e64 v155, v177
	s_cbranch_execnz .LBB1126_1143
.LBB1126_1112:                          ;   in Loop: Header=BB1126_985 Depth=2
	s_or_b32 exec_lo, exec_lo, s40
	s_and_saveexec_b32 s40, vcc_lo
	s_cbranch_execz .LBB1126_1144
.LBB1126_1113:                          ;   in Loop: Header=BB1126_985 Depth=2
	ds_load_b64 v[36:37], v38 offset:1024
	s_waitcnt lgkmcnt(0)
	v_cmp_ne_u64_e64 s31, s[36:37], v[36:37]
	s_delay_alu instid0(VALU_DEP_1) | instskip(SKIP_1) | instid1(VALU_DEP_1)
	v_cndmask_b32_e64 v37, 0x7fffffff, v37, s31
	v_cndmask_b32_e64 v36, -1, v36, s31
	v_lshrrev_b64 v[36:37], s42, v[36:37]
	s_delay_alu instid0(VALU_DEP_1)
	v_and_b32_e32 v176, s50, v36
	s_or_b32 exec_lo, exec_lo, s40
	s_and_saveexec_b32 s40, s16
	s_cbranch_execnz .LBB1126_1145
.LBB1126_1114:                          ;   in Loop: Header=BB1126_985 Depth=2
	s_or_b32 exec_lo, exec_lo, s40
	s_and_saveexec_b32 s40, s17
	s_cbranch_execz .LBB1126_1146
.LBB1126_1115:                          ;   in Loop: Header=BB1126_985 Depth=2
	ds_load_b64 v[36:37], v110 offset:4096
	s_waitcnt lgkmcnt(0)
	v_cmp_ne_u64_e64 s31, s[36:37], v[36:37]
	s_delay_alu instid0(VALU_DEP_1) | instskip(SKIP_1) | instid1(VALU_DEP_1)
	v_cndmask_b32_e64 v37, 0x7fffffff, v37, s31
	v_cndmask_b32_e64 v36, -1, v36, s31
	v_lshrrev_b64 v[36:37], s42, v[36:37]
	s_delay_alu instid0(VALU_DEP_1)
	v_and_b32_e32 v174, s50, v36
	s_or_b32 exec_lo, exec_lo, s40
	s_and_saveexec_b32 s40, s18
	s_cbranch_execnz .LBB1126_1147
.LBB1126_1116:                          ;   in Loop: Header=BB1126_985 Depth=2
	s_or_b32 exec_lo, exec_lo, s40
	s_and_saveexec_b32 s40, s19
	s_cbranch_execz .LBB1126_1148
.LBB1126_1117:                          ;   in Loop: Header=BB1126_985 Depth=2
	ds_load_b64 v[36:37], v110 offset:8192
	s_waitcnt lgkmcnt(0)
	v_cmp_ne_u64_e64 s31, s[36:37], v[36:37]
	s_delay_alu instid0(VALU_DEP_1) | instskip(SKIP_1) | instid1(VALU_DEP_1)
	v_cndmask_b32_e64 v37, 0x7fffffff, v37, s31
	v_cndmask_b32_e64 v36, -1, v36, s31
	v_lshrrev_b64 v[36:37], s42, v[36:37]
	s_delay_alu instid0(VALU_DEP_1)
	v_and_b32_e32 v172, s50, v36
	s_or_b32 exec_lo, exec_lo, s40
	s_and_saveexec_b32 s40, s20
	s_cbranch_execnz .LBB1126_1149
.LBB1126_1118:                          ;   in Loop: Header=BB1126_985 Depth=2
	s_or_b32 exec_lo, exec_lo, s40
	s_and_saveexec_b32 s40, s21
	s_cbranch_execz .LBB1126_1150
.LBB1126_1119:                          ;   in Loop: Header=BB1126_985 Depth=2
	ds_load_b64 v[36:37], v110 offset:12288
	s_waitcnt lgkmcnt(0)
	v_cmp_ne_u64_e64 s31, s[36:37], v[36:37]
	s_delay_alu instid0(VALU_DEP_1) | instskip(SKIP_1) | instid1(VALU_DEP_1)
	v_cndmask_b32_e64 v37, 0x7fffffff, v37, s31
	v_cndmask_b32_e64 v36, -1, v36, s31
	v_lshrrev_b64 v[36:37], s42, v[36:37]
	s_delay_alu instid0(VALU_DEP_1)
	v_and_b32_e32 v170, s50, v36
	s_or_b32 exec_lo, exec_lo, s40
	s_and_saveexec_b32 s40, s22
	s_cbranch_execnz .LBB1126_1151
.LBB1126_1120:                          ;   in Loop: Header=BB1126_985 Depth=2
	s_or_b32 exec_lo, exec_lo, s40
	s_and_saveexec_b32 s40, s23
	s_cbranch_execz .LBB1126_1152
.LBB1126_1121:                          ;   in Loop: Header=BB1126_985 Depth=2
	ds_load_b64 v[36:37], v110 offset:16384
	s_waitcnt lgkmcnt(0)
	v_cmp_ne_u64_e64 s31, s[36:37], v[36:37]
	s_delay_alu instid0(VALU_DEP_1) | instskip(SKIP_1) | instid1(VALU_DEP_1)
	v_cndmask_b32_e64 v37, 0x7fffffff, v37, s31
	v_cndmask_b32_e64 v36, -1, v36, s31
	v_lshrrev_b64 v[36:37], s42, v[36:37]
	s_delay_alu instid0(VALU_DEP_1)
	v_and_b32_e32 v168, s50, v36
	s_or_b32 exec_lo, exec_lo, s40
	s_and_saveexec_b32 s40, s24
	s_cbranch_execnz .LBB1126_1153
.LBB1126_1122:                          ;   in Loop: Header=BB1126_985 Depth=2
	s_or_b32 exec_lo, exec_lo, s40
	s_and_saveexec_b32 s40, s25
	s_cbranch_execz .LBB1126_1154
.LBB1126_1123:                          ;   in Loop: Header=BB1126_985 Depth=2
	ds_load_b64 v[36:37], v110 offset:20480
	s_waitcnt lgkmcnt(0)
	v_cmp_ne_u64_e64 s31, s[36:37], v[36:37]
	s_delay_alu instid0(VALU_DEP_1) | instskip(SKIP_1) | instid1(VALU_DEP_1)
	v_cndmask_b32_e64 v37, 0x7fffffff, v37, s31
	v_cndmask_b32_e64 v36, -1, v36, s31
	v_lshrrev_b64 v[36:37], s42, v[36:37]
	s_delay_alu instid0(VALU_DEP_1)
	v_and_b32_e32 v166, s50, v36
	s_or_b32 exec_lo, exec_lo, s40
	s_and_saveexec_b32 s40, s26
	s_cbranch_execnz .LBB1126_1155
.LBB1126_1124:                          ;   in Loop: Header=BB1126_985 Depth=2
	s_or_b32 exec_lo, exec_lo, s40
	s_and_saveexec_b32 s40, s27
	s_cbranch_execz .LBB1126_1156
.LBB1126_1125:                          ;   in Loop: Header=BB1126_985 Depth=2
	ds_load_b64 v[36:37], v110 offset:24576
	s_waitcnt lgkmcnt(0)
	v_cmp_ne_u64_e64 s31, s[36:37], v[36:37]
	s_delay_alu instid0(VALU_DEP_1) | instskip(SKIP_1) | instid1(VALU_DEP_1)
	v_cndmask_b32_e64 v37, 0x7fffffff, v37, s31
	v_cndmask_b32_e64 v36, -1, v36, s31
	v_lshrrev_b64 v[36:37], s42, v[36:37]
	s_delay_alu instid0(VALU_DEP_1)
	v_and_b32_e32 v164, s50, v36
	s_or_b32 exec_lo, exec_lo, s40
	s_and_saveexec_b32 s40, s28
	s_cbranch_execnz .LBB1126_1157
.LBB1126_1126:                          ;   in Loop: Header=BB1126_985 Depth=2
	s_or_b32 exec_lo, exec_lo, s40
	s_and_saveexec_b32 s40, s29
	s_cbranch_execz .LBB1126_1158
.LBB1126_1127:                          ;   in Loop: Header=BB1126_985 Depth=2
	ds_load_b64 v[36:37], v110 offset:28672
	s_waitcnt lgkmcnt(0)
	v_cmp_ne_u64_e64 s31, s[36:37], v[36:37]
	s_delay_alu instid0(VALU_DEP_1) | instskip(SKIP_1) | instid1(VALU_DEP_1)
	v_cndmask_b32_e64 v37, 0x7fffffff, v37, s31
	v_cndmask_b32_e64 v36, -1, v36, s31
	v_lshrrev_b64 v[36:37], s42, v[36:37]
	s_delay_alu instid0(VALU_DEP_1)
	v_and_b32_e32 v162, s50, v36
	s_or_b32 exec_lo, exec_lo, s40
	s_and_saveexec_b32 s40, s30
	s_cbranch_execnz .LBB1126_1159
	s_branch .LBB1126_1160
.LBB1126_1128:                          ;   in Loop: Header=BB1126_985 Depth=2
	s_or_b32 exec_lo, exec_lo, s31
	s_delay_alu instid0(SALU_CYCLE_1)
	s_mov_b32 s40, exec_lo
	v_cmpx_lt_u32_e64 v141, v177
	s_cbranch_execz .LBB1126_1098
.LBB1126_1129:                          ;   in Loop: Header=BB1126_985 Depth=2
	global_load_b64 v[32:33], v[36:37], off offset:256
	s_or_b32 exec_lo, exec_lo, s40
	s_delay_alu instid0(SALU_CYCLE_1)
	s_mov_b32 s40, exec_lo
	v_cmpx_lt_u32_e64 v142, v177
	s_cbranch_execnz .LBB1126_1099
.LBB1126_1130:                          ;   in Loop: Header=BB1126_985 Depth=2
	s_or_b32 exec_lo, exec_lo, s40
	s_delay_alu instid0(SALU_CYCLE_1)
	s_mov_b32 s40, exec_lo
	v_cmpx_lt_u32_e64 v143, v177
	s_cbranch_execz .LBB1126_1100
.LBB1126_1131:                          ;   in Loop: Header=BB1126_985 Depth=2
	global_load_b64 v[28:29], v[36:37], off offset:768
	s_or_b32 exec_lo, exec_lo, s40
	s_delay_alu instid0(SALU_CYCLE_1)
	s_mov_b32 s40, exec_lo
	v_cmpx_lt_u32_e64 v144, v177
	s_cbranch_execnz .LBB1126_1101
.LBB1126_1132:                          ;   in Loop: Header=BB1126_985 Depth=2
	s_or_b32 exec_lo, exec_lo, s40
	s_delay_alu instid0(SALU_CYCLE_1)
	s_mov_b32 s40, exec_lo
	v_cmpx_lt_u32_e64 v145, v177
	s_cbranch_execz .LBB1126_1102
.LBB1126_1133:                          ;   in Loop: Header=BB1126_985 Depth=2
	global_load_b64 v[24:25], v[36:37], off offset:1280
	s_or_b32 exec_lo, exec_lo, s40
	s_delay_alu instid0(SALU_CYCLE_1)
	s_mov_b32 s40, exec_lo
	v_cmpx_lt_u32_e64 v146, v177
	s_cbranch_execnz .LBB1126_1103
.LBB1126_1134:                          ;   in Loop: Header=BB1126_985 Depth=2
	s_or_b32 exec_lo, exec_lo, s40
	s_delay_alu instid0(SALU_CYCLE_1)
	s_mov_b32 s40, exec_lo
	v_cmpx_lt_u32_e64 v147, v177
	s_cbranch_execz .LBB1126_1104
.LBB1126_1135:                          ;   in Loop: Header=BB1126_985 Depth=2
	global_load_b64 v[20:21], v[36:37], off offset:1792
	s_or_b32 exec_lo, exec_lo, s40
	s_delay_alu instid0(SALU_CYCLE_1)
	s_mov_b32 s40, exec_lo
	v_cmpx_lt_u32_e64 v148, v177
	s_cbranch_execnz .LBB1126_1105
.LBB1126_1136:                          ;   in Loop: Header=BB1126_985 Depth=2
	s_or_b32 exec_lo, exec_lo, s40
	s_delay_alu instid0(SALU_CYCLE_1)
	s_mov_b32 s40, exec_lo
	v_cmpx_lt_u32_e64 v149, v177
	s_cbranch_execz .LBB1126_1106
.LBB1126_1137:                          ;   in Loop: Header=BB1126_985 Depth=2
	global_load_b64 v[16:17], v[36:37], off offset:2304
	s_or_b32 exec_lo, exec_lo, s40
	s_delay_alu instid0(SALU_CYCLE_1)
	s_mov_b32 s40, exec_lo
	v_cmpx_lt_u32_e64 v150, v177
	s_cbranch_execnz .LBB1126_1107
.LBB1126_1138:                          ;   in Loop: Header=BB1126_985 Depth=2
	s_or_b32 exec_lo, exec_lo, s40
	s_delay_alu instid0(SALU_CYCLE_1)
	s_mov_b32 s40, exec_lo
	v_cmpx_lt_u32_e64 v151, v177
	s_cbranch_execz .LBB1126_1108
.LBB1126_1139:                          ;   in Loop: Header=BB1126_985 Depth=2
	global_load_b64 v[12:13], v[36:37], off offset:2816
	s_or_b32 exec_lo, exec_lo, s40
	s_delay_alu instid0(SALU_CYCLE_1)
	s_mov_b32 s40, exec_lo
	v_cmpx_lt_u32_e64 v152, v177
	s_cbranch_execnz .LBB1126_1109
.LBB1126_1140:                          ;   in Loop: Header=BB1126_985 Depth=2
	s_or_b32 exec_lo, exec_lo, s40
	s_delay_alu instid0(SALU_CYCLE_1)
	s_mov_b32 s40, exec_lo
	v_cmpx_lt_u32_e64 v153, v177
	s_cbranch_execz .LBB1126_1110
.LBB1126_1141:                          ;   in Loop: Header=BB1126_985 Depth=2
	global_load_b64 v[8:9], v[36:37], off offset:3328
	s_or_b32 exec_lo, exec_lo, s40
	s_delay_alu instid0(SALU_CYCLE_1)
	s_mov_b32 s40, exec_lo
	v_cmpx_lt_u32_e64 v154, v177
	s_cbranch_execnz .LBB1126_1111
.LBB1126_1142:                          ;   in Loop: Header=BB1126_985 Depth=2
	s_or_b32 exec_lo, exec_lo, s40
	s_delay_alu instid0(SALU_CYCLE_1)
	s_mov_b32 s40, exec_lo
	v_cmpx_lt_u32_e64 v155, v177
	s_cbranch_execz .LBB1126_1112
.LBB1126_1143:                          ;   in Loop: Header=BB1126_985 Depth=2
	global_load_b64 v[4:5], v[36:37], off offset:3840
	s_or_b32 exec_lo, exec_lo, s40
	s_and_saveexec_b32 s40, vcc_lo
	s_cbranch_execnz .LBB1126_1113
.LBB1126_1144:                          ;   in Loop: Header=BB1126_985 Depth=2
	s_or_b32 exec_lo, exec_lo, s40
	s_and_saveexec_b32 s40, s16
	s_cbranch_execz .LBB1126_1114
.LBB1126_1145:                          ;   in Loop: Header=BB1126_985 Depth=2
	ds_load_b64 v[36:37], v110 offset:2048
	s_waitcnt lgkmcnt(0)
	v_cmp_ne_u64_e64 s31, s[36:37], v[36:37]
	s_delay_alu instid0(VALU_DEP_1) | instskip(SKIP_1) | instid1(VALU_DEP_1)
	v_cndmask_b32_e64 v37, 0x7fffffff, v37, s31
	v_cndmask_b32_e64 v36, -1, v36, s31
	v_lshrrev_b64 v[36:37], s42, v[36:37]
	s_delay_alu instid0(VALU_DEP_1)
	v_and_b32_e32 v175, s50, v36
	s_or_b32 exec_lo, exec_lo, s40
	s_and_saveexec_b32 s40, s17
	s_cbranch_execnz .LBB1126_1115
.LBB1126_1146:                          ;   in Loop: Header=BB1126_985 Depth=2
	s_or_b32 exec_lo, exec_lo, s40
	s_and_saveexec_b32 s40, s18
	s_cbranch_execz .LBB1126_1116
.LBB1126_1147:                          ;   in Loop: Header=BB1126_985 Depth=2
	ds_load_b64 v[36:37], v110 offset:6144
	s_waitcnt lgkmcnt(0)
	v_cmp_ne_u64_e64 s31, s[36:37], v[36:37]
	s_delay_alu instid0(VALU_DEP_1) | instskip(SKIP_1) | instid1(VALU_DEP_1)
	v_cndmask_b32_e64 v37, 0x7fffffff, v37, s31
	v_cndmask_b32_e64 v36, -1, v36, s31
	v_lshrrev_b64 v[36:37], s42, v[36:37]
	s_delay_alu instid0(VALU_DEP_1)
	v_and_b32_e32 v173, s50, v36
	s_or_b32 exec_lo, exec_lo, s40
	s_and_saveexec_b32 s40, s19
	s_cbranch_execnz .LBB1126_1117
.LBB1126_1148:                          ;   in Loop: Header=BB1126_985 Depth=2
	s_or_b32 exec_lo, exec_lo, s40
	s_and_saveexec_b32 s40, s20
	s_cbranch_execz .LBB1126_1118
.LBB1126_1149:                          ;   in Loop: Header=BB1126_985 Depth=2
	ds_load_b64 v[36:37], v110 offset:10240
	s_waitcnt lgkmcnt(0)
	v_cmp_ne_u64_e64 s31, s[36:37], v[36:37]
	s_delay_alu instid0(VALU_DEP_1) | instskip(SKIP_1) | instid1(VALU_DEP_1)
	v_cndmask_b32_e64 v37, 0x7fffffff, v37, s31
	v_cndmask_b32_e64 v36, -1, v36, s31
	v_lshrrev_b64 v[36:37], s42, v[36:37]
	s_delay_alu instid0(VALU_DEP_1)
	v_and_b32_e32 v171, s50, v36
	s_or_b32 exec_lo, exec_lo, s40
	s_and_saveexec_b32 s40, s21
	s_cbranch_execnz .LBB1126_1119
.LBB1126_1150:                          ;   in Loop: Header=BB1126_985 Depth=2
	s_or_b32 exec_lo, exec_lo, s40
	s_and_saveexec_b32 s40, s22
	s_cbranch_execz .LBB1126_1120
.LBB1126_1151:                          ;   in Loop: Header=BB1126_985 Depth=2
	ds_load_b64 v[36:37], v110 offset:14336
	s_waitcnt lgkmcnt(0)
	v_cmp_ne_u64_e64 s31, s[36:37], v[36:37]
	s_delay_alu instid0(VALU_DEP_1) | instskip(SKIP_1) | instid1(VALU_DEP_1)
	v_cndmask_b32_e64 v37, 0x7fffffff, v37, s31
	v_cndmask_b32_e64 v36, -1, v36, s31
	v_lshrrev_b64 v[36:37], s42, v[36:37]
	s_delay_alu instid0(VALU_DEP_1)
	v_and_b32_e32 v169, s50, v36
	s_or_b32 exec_lo, exec_lo, s40
	s_and_saveexec_b32 s40, s23
	s_cbranch_execnz .LBB1126_1121
.LBB1126_1152:                          ;   in Loop: Header=BB1126_985 Depth=2
	s_or_b32 exec_lo, exec_lo, s40
	s_and_saveexec_b32 s40, s24
	s_cbranch_execz .LBB1126_1122
.LBB1126_1153:                          ;   in Loop: Header=BB1126_985 Depth=2
	ds_load_b64 v[36:37], v110 offset:18432
	s_waitcnt lgkmcnt(0)
	v_cmp_ne_u64_e64 s31, s[36:37], v[36:37]
	s_delay_alu instid0(VALU_DEP_1) | instskip(SKIP_1) | instid1(VALU_DEP_1)
	v_cndmask_b32_e64 v37, 0x7fffffff, v37, s31
	v_cndmask_b32_e64 v36, -1, v36, s31
	v_lshrrev_b64 v[36:37], s42, v[36:37]
	s_delay_alu instid0(VALU_DEP_1)
	v_and_b32_e32 v167, s50, v36
	s_or_b32 exec_lo, exec_lo, s40
	s_and_saveexec_b32 s40, s25
	s_cbranch_execnz .LBB1126_1123
.LBB1126_1154:                          ;   in Loop: Header=BB1126_985 Depth=2
	s_or_b32 exec_lo, exec_lo, s40
	s_and_saveexec_b32 s40, s26
	s_cbranch_execz .LBB1126_1124
.LBB1126_1155:                          ;   in Loop: Header=BB1126_985 Depth=2
	ds_load_b64 v[36:37], v110 offset:22528
	s_waitcnt lgkmcnt(0)
	v_cmp_ne_u64_e64 s31, s[36:37], v[36:37]
	s_delay_alu instid0(VALU_DEP_1) | instskip(SKIP_1) | instid1(VALU_DEP_1)
	v_cndmask_b32_e64 v37, 0x7fffffff, v37, s31
	v_cndmask_b32_e64 v36, -1, v36, s31
	v_lshrrev_b64 v[36:37], s42, v[36:37]
	s_delay_alu instid0(VALU_DEP_1)
	v_and_b32_e32 v165, s50, v36
	s_or_b32 exec_lo, exec_lo, s40
	s_and_saveexec_b32 s40, s27
	s_cbranch_execnz .LBB1126_1125
.LBB1126_1156:                          ;   in Loop: Header=BB1126_985 Depth=2
	s_or_b32 exec_lo, exec_lo, s40
	s_and_saveexec_b32 s40, s28
	s_cbranch_execz .LBB1126_1126
.LBB1126_1157:                          ;   in Loop: Header=BB1126_985 Depth=2
	ds_load_b64 v[36:37], v110 offset:26624
	s_waitcnt lgkmcnt(0)
	v_cmp_ne_u64_e64 s31, s[36:37], v[36:37]
	s_delay_alu instid0(VALU_DEP_1) | instskip(SKIP_1) | instid1(VALU_DEP_1)
	v_cndmask_b32_e64 v37, 0x7fffffff, v37, s31
	v_cndmask_b32_e64 v36, -1, v36, s31
	v_lshrrev_b64 v[36:37], s42, v[36:37]
	s_delay_alu instid0(VALU_DEP_1)
	v_and_b32_e32 v163, s50, v36
	s_or_b32 exec_lo, exec_lo, s40
	s_and_saveexec_b32 s40, s29
	s_cbranch_execnz .LBB1126_1127
.LBB1126_1158:                          ;   in Loop: Header=BB1126_985 Depth=2
	s_or_b32 exec_lo, exec_lo, s40
	s_and_saveexec_b32 s40, s30
	s_cbranch_execz .LBB1126_1160
.LBB1126_1159:                          ;   in Loop: Header=BB1126_985 Depth=2
	ds_load_b64 v[36:37], v110 offset:30720
	s_waitcnt lgkmcnt(0)
	v_cmp_ne_u64_e64 s31, s[36:37], v[36:37]
	s_delay_alu instid0(VALU_DEP_1) | instskip(SKIP_1) | instid1(VALU_DEP_1)
	v_cndmask_b32_e64 v37, 0x7fffffff, v37, s31
	v_cndmask_b32_e64 v36, -1, v36, s31
	v_lshrrev_b64 v[36:37], s42, v[36:37]
	s_delay_alu instid0(VALU_DEP_1)
	v_and_b32_e32 v161, s50, v36
.LBB1126_1160:                          ;   in Loop: Header=BB1126_985 Depth=2
	s_or_b32 exec_lo, exec_lo, s40
	v_add_nc_u32_e32 v2, 0x400, v69
	v_add_nc_u32_e32 v36, 0x400, v70
	;; [unrolled: 1-line block ×16, first 2 shown]
	s_waitcnt vmcnt(0)
	s_waitcnt_vscnt null, 0x0
	s_barrier
	buffer_gl0_inv
	ds_store_b64 v2, v[34:35]
	ds_store_b64 v36, v[32:33]
	;; [unrolled: 1-line block ×16, first 2 shown]
	s_waitcnt lgkmcnt(0)
	s_barrier
	buffer_gl0_inv
	s_and_saveexec_b32 s31, vcc_lo
	s_cbranch_execz .LBB1126_1176
; %bb.1161:                             ;   in Loop: Header=BB1126_985 Depth=2
	v_lshlrev_b32_e32 v2, 2, v176
	ds_load_b32 v2, v2
	ds_load_b64 v[36:37], v38 offset:1024
	s_waitcnt lgkmcnt(1)
	v_add_nc_u32_e32 v2, v2, v1
	s_delay_alu instid0(VALU_DEP_1) | instskip(NEXT) | instid1(VALU_DEP_1)
	v_lshlrev_b64 v[38:39], 3, v[2:3]
	v_add_co_u32 v38, vcc_lo, s54, v38
	s_delay_alu instid0(VALU_DEP_2)
	v_add_co_ci_u32_e32 v39, vcc_lo, s55, v39, vcc_lo
	s_waitcnt lgkmcnt(0)
	global_store_b64 v[38:39], v[36:37], off
	s_or_b32 exec_lo, exec_lo, s31
	s_and_saveexec_b32 s31, s16
	s_cbranch_execnz .LBB1126_1177
.LBB1126_1162:                          ;   in Loop: Header=BB1126_985 Depth=2
	s_or_b32 exec_lo, exec_lo, s31
	s_and_saveexec_b32 s16, s17
	s_cbranch_execz .LBB1126_1178
.LBB1126_1163:                          ;   in Loop: Header=BB1126_985 Depth=2
	v_lshlrev_b32_e32 v2, 2, v174
	ds_load_b32 v2, v2
	ds_load_b64 v[36:37], v110 offset:4096
	s_waitcnt lgkmcnt(1)
	v_add_nc_u32_e32 v2, v2, v78
	s_delay_alu instid0(VALU_DEP_1) | instskip(NEXT) | instid1(VALU_DEP_1)
	v_lshlrev_b64 v[38:39], 3, v[2:3]
	v_add_co_u32 v38, vcc_lo, s54, v38
	s_delay_alu instid0(VALU_DEP_2)
	v_add_co_ci_u32_e32 v39, vcc_lo, s55, v39, vcc_lo
	s_waitcnt lgkmcnt(0)
	global_store_b64 v[38:39], v[36:37], off
	s_or_b32 exec_lo, exec_lo, s16
	s_and_saveexec_b32 s16, s18
	s_cbranch_execnz .LBB1126_1179
.LBB1126_1164:                          ;   in Loop: Header=BB1126_985 Depth=2
	s_or_b32 exec_lo, exec_lo, s16
	s_and_saveexec_b32 s16, s19
	s_cbranch_execz .LBB1126_1180
.LBB1126_1165:                          ;   in Loop: Header=BB1126_985 Depth=2
	v_lshlrev_b32_e32 v2, 2, v172
	ds_load_b32 v2, v2
	ds_load_b64 v[36:37], v110 offset:8192
	s_waitcnt lgkmcnt(1)
	v_add_nc_u32_e32 v2, v2, v83
	s_delay_alu instid0(VALU_DEP_1) | instskip(NEXT) | instid1(VALU_DEP_1)
	v_lshlrev_b64 v[38:39], 3, v[2:3]
	v_add_co_u32 v38, vcc_lo, s54, v38
	s_delay_alu instid0(VALU_DEP_2)
	v_add_co_ci_u32_e32 v39, vcc_lo, s55, v39, vcc_lo
	s_waitcnt lgkmcnt(0)
	global_store_b64 v[38:39], v[36:37], off
	s_or_b32 exec_lo, exec_lo, s16
	s_and_saveexec_b32 s16, s20
	s_cbranch_execnz .LBB1126_1181
.LBB1126_1166:                          ;   in Loop: Header=BB1126_985 Depth=2
	s_or_b32 exec_lo, exec_lo, s16
	s_and_saveexec_b32 s16, s21
	s_cbranch_execz .LBB1126_1182
.LBB1126_1167:                          ;   in Loop: Header=BB1126_985 Depth=2
	v_lshlrev_b32_e32 v2, 2, v170
	ds_load_b32 v2, v2
	ds_load_b64 v[36:37], v110 offset:12288
	s_waitcnt lgkmcnt(1)
	v_add_nc_u32_e32 v2, v2, v85
	s_delay_alu instid0(VALU_DEP_1) | instskip(NEXT) | instid1(VALU_DEP_1)
	v_lshlrev_b64 v[38:39], 3, v[2:3]
	v_add_co_u32 v38, vcc_lo, s54, v38
	s_delay_alu instid0(VALU_DEP_2)
	v_add_co_ci_u32_e32 v39, vcc_lo, s55, v39, vcc_lo
	s_waitcnt lgkmcnt(0)
	global_store_b64 v[38:39], v[36:37], off
	s_or_b32 exec_lo, exec_lo, s16
	s_and_saveexec_b32 s16, s22
	s_cbranch_execnz .LBB1126_1183
.LBB1126_1168:                          ;   in Loop: Header=BB1126_985 Depth=2
	s_or_b32 exec_lo, exec_lo, s16
	s_and_saveexec_b32 s16, s23
	s_cbranch_execz .LBB1126_1184
.LBB1126_1169:                          ;   in Loop: Header=BB1126_985 Depth=2
	v_lshlrev_b32_e32 v2, 2, v168
	ds_load_b32 v2, v2
	ds_load_b64 v[36:37], v110 offset:16384
	s_waitcnt lgkmcnt(1)
	v_add_nc_u32_e32 v2, v2, v87
	s_delay_alu instid0(VALU_DEP_1) | instskip(NEXT) | instid1(VALU_DEP_1)
	v_lshlrev_b64 v[38:39], 3, v[2:3]
	v_add_co_u32 v38, vcc_lo, s54, v38
	s_delay_alu instid0(VALU_DEP_2)
	v_add_co_ci_u32_e32 v39, vcc_lo, s55, v39, vcc_lo
	s_waitcnt lgkmcnt(0)
	global_store_b64 v[38:39], v[36:37], off
	s_or_b32 exec_lo, exec_lo, s16
	s_and_saveexec_b32 s16, s24
	s_cbranch_execnz .LBB1126_1185
.LBB1126_1170:                          ;   in Loop: Header=BB1126_985 Depth=2
	s_or_b32 exec_lo, exec_lo, s16
	s_and_saveexec_b32 s16, s25
	s_cbranch_execz .LBB1126_1186
.LBB1126_1171:                          ;   in Loop: Header=BB1126_985 Depth=2
	v_lshlrev_b32_e32 v2, 2, v166
	ds_load_b32 v2, v2
	ds_load_b64 v[36:37], v110 offset:20480
	s_waitcnt lgkmcnt(1)
	v_add_nc_u32_e32 v2, v2, v89
	s_delay_alu instid0(VALU_DEP_1) | instskip(NEXT) | instid1(VALU_DEP_1)
	v_lshlrev_b64 v[38:39], 3, v[2:3]
	v_add_co_u32 v38, vcc_lo, s54, v38
	s_delay_alu instid0(VALU_DEP_2)
	v_add_co_ci_u32_e32 v39, vcc_lo, s55, v39, vcc_lo
	s_waitcnt lgkmcnt(0)
	global_store_b64 v[38:39], v[36:37], off
	s_or_b32 exec_lo, exec_lo, s16
	s_and_saveexec_b32 s16, s26
	s_cbranch_execnz .LBB1126_1187
.LBB1126_1172:                          ;   in Loop: Header=BB1126_985 Depth=2
	s_or_b32 exec_lo, exec_lo, s16
	s_and_saveexec_b32 s16, s27
	s_cbranch_execz .LBB1126_1188
.LBB1126_1173:                          ;   in Loop: Header=BB1126_985 Depth=2
	v_lshlrev_b32_e32 v2, 2, v164
	ds_load_b32 v2, v2
	ds_load_b64 v[36:37], v110 offset:24576
	s_waitcnt lgkmcnt(1)
	v_add_nc_u32_e32 v2, v2, v91
	s_delay_alu instid0(VALU_DEP_1) | instskip(NEXT) | instid1(VALU_DEP_1)
	v_lshlrev_b64 v[38:39], 3, v[2:3]
	v_add_co_u32 v38, vcc_lo, s54, v38
	s_delay_alu instid0(VALU_DEP_2)
	v_add_co_ci_u32_e32 v39, vcc_lo, s55, v39, vcc_lo
	s_waitcnt lgkmcnt(0)
	global_store_b64 v[38:39], v[36:37], off
	s_or_b32 exec_lo, exec_lo, s16
	s_and_saveexec_b32 s16, s28
	s_cbranch_execnz .LBB1126_1189
.LBB1126_1174:                          ;   in Loop: Header=BB1126_985 Depth=2
	s_or_b32 exec_lo, exec_lo, s16
	s_and_saveexec_b32 s16, s29
	s_cbranch_execz .LBB1126_1190
.LBB1126_1175:                          ;   in Loop: Header=BB1126_985 Depth=2
	v_lshlrev_b32_e32 v2, 2, v162
	ds_load_b32 v2, v2
	ds_load_b64 v[36:37], v110 offset:28672
	s_waitcnt lgkmcnt(1)
	v_add_nc_u32_e32 v2, v2, v93
	s_delay_alu instid0(VALU_DEP_1) | instskip(NEXT) | instid1(VALU_DEP_1)
	v_lshlrev_b64 v[38:39], 3, v[2:3]
	v_add_co_u32 v38, vcc_lo, s54, v38
	s_delay_alu instid0(VALU_DEP_2)
	v_add_co_ci_u32_e32 v39, vcc_lo, s55, v39, vcc_lo
	s_waitcnt lgkmcnt(0)
	global_store_b64 v[38:39], v[36:37], off
	s_or_b32 exec_lo, exec_lo, s16
	s_and_saveexec_b32 s16, s30
	s_cbranch_execnz .LBB1126_1191
	s_branch .LBB1126_1192
.LBB1126_1176:                          ;   in Loop: Header=BB1126_985 Depth=2
	s_or_b32 exec_lo, exec_lo, s31
	s_and_saveexec_b32 s31, s16
	s_cbranch_execz .LBB1126_1162
.LBB1126_1177:                          ;   in Loop: Header=BB1126_985 Depth=2
	v_lshlrev_b32_e32 v2, 2, v175
	ds_load_b32 v2, v2
	ds_load_b64 v[36:37], v110 offset:2048
	s_waitcnt lgkmcnt(1)
	v_add_nc_u32_e32 v2, v2, v77
	s_delay_alu instid0(VALU_DEP_1) | instskip(NEXT) | instid1(VALU_DEP_1)
	v_lshlrev_b64 v[38:39], 3, v[2:3]
	v_add_co_u32 v38, vcc_lo, s54, v38
	s_delay_alu instid0(VALU_DEP_2)
	v_add_co_ci_u32_e32 v39, vcc_lo, s55, v39, vcc_lo
	s_waitcnt lgkmcnt(0)
	global_store_b64 v[38:39], v[36:37], off
	s_or_b32 exec_lo, exec_lo, s31
	s_and_saveexec_b32 s16, s17
	s_cbranch_execnz .LBB1126_1163
.LBB1126_1178:                          ;   in Loop: Header=BB1126_985 Depth=2
	s_or_b32 exec_lo, exec_lo, s16
	s_and_saveexec_b32 s16, s18
	s_cbranch_execz .LBB1126_1164
.LBB1126_1179:                          ;   in Loop: Header=BB1126_985 Depth=2
	v_lshlrev_b32_e32 v2, 2, v173
	ds_load_b32 v2, v2
	ds_load_b64 v[36:37], v110 offset:6144
	s_waitcnt lgkmcnt(1)
	v_add_nc_u32_e32 v2, v2, v79
	s_delay_alu instid0(VALU_DEP_1) | instskip(NEXT) | instid1(VALU_DEP_1)
	v_lshlrev_b64 v[38:39], 3, v[2:3]
	v_add_co_u32 v38, vcc_lo, s54, v38
	s_delay_alu instid0(VALU_DEP_2)
	v_add_co_ci_u32_e32 v39, vcc_lo, s55, v39, vcc_lo
	s_waitcnt lgkmcnt(0)
	global_store_b64 v[38:39], v[36:37], off
	s_or_b32 exec_lo, exec_lo, s16
	s_and_saveexec_b32 s16, s19
	s_cbranch_execnz .LBB1126_1165
.LBB1126_1180:                          ;   in Loop: Header=BB1126_985 Depth=2
	s_or_b32 exec_lo, exec_lo, s16
	s_and_saveexec_b32 s16, s20
	s_cbranch_execz .LBB1126_1166
.LBB1126_1181:                          ;   in Loop: Header=BB1126_985 Depth=2
	v_lshlrev_b32_e32 v2, 2, v171
	ds_load_b32 v2, v2
	ds_load_b64 v[36:37], v110 offset:10240
	s_waitcnt lgkmcnt(1)
	v_add_nc_u32_e32 v2, v2, v84
	s_delay_alu instid0(VALU_DEP_1) | instskip(NEXT) | instid1(VALU_DEP_1)
	v_lshlrev_b64 v[38:39], 3, v[2:3]
	v_add_co_u32 v38, vcc_lo, s54, v38
	s_delay_alu instid0(VALU_DEP_2)
	v_add_co_ci_u32_e32 v39, vcc_lo, s55, v39, vcc_lo
	s_waitcnt lgkmcnt(0)
	global_store_b64 v[38:39], v[36:37], off
	s_or_b32 exec_lo, exec_lo, s16
	s_and_saveexec_b32 s16, s21
	s_cbranch_execnz .LBB1126_1167
.LBB1126_1182:                          ;   in Loop: Header=BB1126_985 Depth=2
	s_or_b32 exec_lo, exec_lo, s16
	s_and_saveexec_b32 s16, s22
	s_cbranch_execz .LBB1126_1168
.LBB1126_1183:                          ;   in Loop: Header=BB1126_985 Depth=2
	v_lshlrev_b32_e32 v2, 2, v169
	ds_load_b32 v2, v2
	ds_load_b64 v[36:37], v110 offset:14336
	s_waitcnt lgkmcnt(1)
	v_add_nc_u32_e32 v2, v2, v86
	s_delay_alu instid0(VALU_DEP_1) | instskip(NEXT) | instid1(VALU_DEP_1)
	v_lshlrev_b64 v[38:39], 3, v[2:3]
	v_add_co_u32 v38, vcc_lo, s54, v38
	s_delay_alu instid0(VALU_DEP_2)
	v_add_co_ci_u32_e32 v39, vcc_lo, s55, v39, vcc_lo
	s_waitcnt lgkmcnt(0)
	global_store_b64 v[38:39], v[36:37], off
	s_or_b32 exec_lo, exec_lo, s16
	s_and_saveexec_b32 s16, s23
	s_cbranch_execnz .LBB1126_1169
.LBB1126_1184:                          ;   in Loop: Header=BB1126_985 Depth=2
	s_or_b32 exec_lo, exec_lo, s16
	s_and_saveexec_b32 s16, s24
	s_cbranch_execz .LBB1126_1170
.LBB1126_1185:                          ;   in Loop: Header=BB1126_985 Depth=2
	v_lshlrev_b32_e32 v2, 2, v167
	ds_load_b32 v2, v2
	ds_load_b64 v[36:37], v110 offset:18432
	s_waitcnt lgkmcnt(1)
	v_add_nc_u32_e32 v2, v2, v88
	s_delay_alu instid0(VALU_DEP_1) | instskip(NEXT) | instid1(VALU_DEP_1)
	v_lshlrev_b64 v[38:39], 3, v[2:3]
	v_add_co_u32 v38, vcc_lo, s54, v38
	s_delay_alu instid0(VALU_DEP_2)
	v_add_co_ci_u32_e32 v39, vcc_lo, s55, v39, vcc_lo
	s_waitcnt lgkmcnt(0)
	global_store_b64 v[38:39], v[36:37], off
	s_or_b32 exec_lo, exec_lo, s16
	s_and_saveexec_b32 s16, s25
	s_cbranch_execnz .LBB1126_1171
.LBB1126_1186:                          ;   in Loop: Header=BB1126_985 Depth=2
	s_or_b32 exec_lo, exec_lo, s16
	s_and_saveexec_b32 s16, s26
	s_cbranch_execz .LBB1126_1172
.LBB1126_1187:                          ;   in Loop: Header=BB1126_985 Depth=2
	v_lshlrev_b32_e32 v2, 2, v165
	ds_load_b32 v2, v2
	ds_load_b64 v[36:37], v110 offset:22528
	s_waitcnt lgkmcnt(1)
	v_add_nc_u32_e32 v2, v2, v90
	s_delay_alu instid0(VALU_DEP_1) | instskip(NEXT) | instid1(VALU_DEP_1)
	v_lshlrev_b64 v[38:39], 3, v[2:3]
	v_add_co_u32 v38, vcc_lo, s54, v38
	s_delay_alu instid0(VALU_DEP_2)
	v_add_co_ci_u32_e32 v39, vcc_lo, s55, v39, vcc_lo
	s_waitcnt lgkmcnt(0)
	global_store_b64 v[38:39], v[36:37], off
	s_or_b32 exec_lo, exec_lo, s16
	s_and_saveexec_b32 s16, s27
	s_cbranch_execnz .LBB1126_1173
.LBB1126_1188:                          ;   in Loop: Header=BB1126_985 Depth=2
	s_or_b32 exec_lo, exec_lo, s16
	s_and_saveexec_b32 s16, s28
	s_cbranch_execz .LBB1126_1174
.LBB1126_1189:                          ;   in Loop: Header=BB1126_985 Depth=2
	v_lshlrev_b32_e32 v2, 2, v163
	ds_load_b32 v2, v2
	ds_load_b64 v[36:37], v110 offset:26624
	s_waitcnt lgkmcnt(1)
	v_add_nc_u32_e32 v2, v2, v92
	s_delay_alu instid0(VALU_DEP_1) | instskip(NEXT) | instid1(VALU_DEP_1)
	v_lshlrev_b64 v[38:39], 3, v[2:3]
	v_add_co_u32 v38, vcc_lo, s54, v38
	s_delay_alu instid0(VALU_DEP_2)
	v_add_co_ci_u32_e32 v39, vcc_lo, s55, v39, vcc_lo
	s_waitcnt lgkmcnt(0)
	global_store_b64 v[38:39], v[36:37], off
	s_or_b32 exec_lo, exec_lo, s16
	s_and_saveexec_b32 s16, s29
	s_cbranch_execnz .LBB1126_1175
.LBB1126_1190:                          ;   in Loop: Header=BB1126_985 Depth=2
	s_or_b32 exec_lo, exec_lo, s16
	s_and_saveexec_b32 s16, s30
	s_cbranch_execz .LBB1126_1192
.LBB1126_1191:                          ;   in Loop: Header=BB1126_985 Depth=2
	v_lshlrev_b32_e32 v2, 2, v161
	ds_load_b32 v2, v2
	ds_load_b64 v[36:37], v110 offset:30720
	s_waitcnt lgkmcnt(1)
	v_add_nc_u32_e32 v2, v2, v95
	s_delay_alu instid0(VALU_DEP_1) | instskip(NEXT) | instid1(VALU_DEP_1)
	v_lshlrev_b64 v[38:39], 3, v[2:3]
	v_add_co_u32 v38, vcc_lo, s54, v38
	s_delay_alu instid0(VALU_DEP_2)
	v_add_co_ci_u32_e32 v39, vcc_lo, s55, v39, vcc_lo
	s_waitcnt lgkmcnt(0)
	global_store_b64 v[38:39], v[36:37], off
.LBB1126_1192:                          ;   in Loop: Header=BB1126_985 Depth=2
	s_or_b32 exec_lo, exec_lo, s16
	s_waitcnt_vscnt null, 0x0
	s_barrier
	buffer_gl0_inv
	s_and_saveexec_b32 s16, s2
	s_cbranch_execz .LBB1126_984
; %bb.1193:                             ;   in Loop: Header=BB1126_985 Depth=2
	ds_load_b32 v2, v76
	s_waitcnt lgkmcnt(0)
	v_add_nc_u32_e32 v2, v2, v68
	ds_store_b32 v76, v2
	s_branch .LBB1126_984
.LBB1126_1194:
	s_endpgm
	.section	.rodata,"a",@progbits
	.p2align	6, 0x0
	.amdhsa_kernel _ZN7rocprim17ROCPRIM_400000_NS6detail17trampoline_kernelINS0_14default_configENS1_36segmented_radix_sort_config_selectorIdlEEZNS1_25segmented_radix_sort_implIS3_Lb1EPKdPdPKlPlN2at6native12_GLOBAL__N_18offset_tEEE10hipError_tPvRmT1_PNSt15iterator_traitsISK_E10value_typeET2_T3_PNSL_ISQ_E10value_typeET4_jRbjT5_SW_jjP12ihipStream_tbEUlT_E_NS1_11comp_targetILNS1_3genE9ELNS1_11target_archE1100ELNS1_3gpuE3ELNS1_3repE0EEENS1_30default_config_static_selectorELNS0_4arch9wavefront6targetE0EEEvSK_
		.amdhsa_group_segment_fixed_size 33824
		.amdhsa_private_segment_fixed_size 200
		.amdhsa_kernarg_size 352
		.amdhsa_user_sgpr_count 14
		.amdhsa_user_sgpr_dispatch_ptr 0
		.amdhsa_user_sgpr_queue_ptr 0
		.amdhsa_user_sgpr_kernarg_segment_ptr 1
		.amdhsa_user_sgpr_dispatch_id 0
		.amdhsa_user_sgpr_private_segment_size 0
		.amdhsa_wavefront_size32 1
		.amdhsa_uses_dynamic_stack 0
		.amdhsa_enable_private_segment 1
		.amdhsa_system_sgpr_workgroup_id_x 1
		.amdhsa_system_sgpr_workgroup_id_y 1
		.amdhsa_system_sgpr_workgroup_id_z 0
		.amdhsa_system_sgpr_workgroup_info 0
		.amdhsa_system_vgpr_workitem_id 2
		.amdhsa_next_free_vgpr 248
		.amdhsa_next_free_sgpr 63
		.amdhsa_reserve_vcc 1
		.amdhsa_float_round_mode_32 0
		.amdhsa_float_round_mode_16_64 0
		.amdhsa_float_denorm_mode_32 3
		.amdhsa_float_denorm_mode_16_64 3
		.amdhsa_dx10_clamp 1
		.amdhsa_ieee_mode 1
		.amdhsa_fp16_overflow 0
		.amdhsa_workgroup_processor_mode 1
		.amdhsa_memory_ordered 1
		.amdhsa_forward_progress 0
		.amdhsa_shared_vgpr_count 0
		.amdhsa_exception_fp_ieee_invalid_op 0
		.amdhsa_exception_fp_denorm_src 0
		.amdhsa_exception_fp_ieee_div_zero 0
		.amdhsa_exception_fp_ieee_overflow 0
		.amdhsa_exception_fp_ieee_underflow 0
		.amdhsa_exception_fp_ieee_inexact 0
		.amdhsa_exception_int_div_zero 0
	.end_amdhsa_kernel
	.section	.text._ZN7rocprim17ROCPRIM_400000_NS6detail17trampoline_kernelINS0_14default_configENS1_36segmented_radix_sort_config_selectorIdlEEZNS1_25segmented_radix_sort_implIS3_Lb1EPKdPdPKlPlN2at6native12_GLOBAL__N_18offset_tEEE10hipError_tPvRmT1_PNSt15iterator_traitsISK_E10value_typeET2_T3_PNSL_ISQ_E10value_typeET4_jRbjT5_SW_jjP12ihipStream_tbEUlT_E_NS1_11comp_targetILNS1_3genE9ELNS1_11target_archE1100ELNS1_3gpuE3ELNS1_3repE0EEENS1_30default_config_static_selectorELNS0_4arch9wavefront6targetE0EEEvSK_,"axG",@progbits,_ZN7rocprim17ROCPRIM_400000_NS6detail17trampoline_kernelINS0_14default_configENS1_36segmented_radix_sort_config_selectorIdlEEZNS1_25segmented_radix_sort_implIS3_Lb1EPKdPdPKlPlN2at6native12_GLOBAL__N_18offset_tEEE10hipError_tPvRmT1_PNSt15iterator_traitsISK_E10value_typeET2_T3_PNSL_ISQ_E10value_typeET4_jRbjT5_SW_jjP12ihipStream_tbEUlT_E_NS1_11comp_targetILNS1_3genE9ELNS1_11target_archE1100ELNS1_3gpuE3ELNS1_3repE0EEENS1_30default_config_static_selectorELNS0_4arch9wavefront6targetE0EEEvSK_,comdat
.Lfunc_end1126:
	.size	_ZN7rocprim17ROCPRIM_400000_NS6detail17trampoline_kernelINS0_14default_configENS1_36segmented_radix_sort_config_selectorIdlEEZNS1_25segmented_radix_sort_implIS3_Lb1EPKdPdPKlPlN2at6native12_GLOBAL__N_18offset_tEEE10hipError_tPvRmT1_PNSt15iterator_traitsISK_E10value_typeET2_T3_PNSL_ISQ_E10value_typeET4_jRbjT5_SW_jjP12ihipStream_tbEUlT_E_NS1_11comp_targetILNS1_3genE9ELNS1_11target_archE1100ELNS1_3gpuE3ELNS1_3repE0EEENS1_30default_config_static_selectorELNS0_4arch9wavefront6targetE0EEEvSK_, .Lfunc_end1126-_ZN7rocprim17ROCPRIM_400000_NS6detail17trampoline_kernelINS0_14default_configENS1_36segmented_radix_sort_config_selectorIdlEEZNS1_25segmented_radix_sort_implIS3_Lb1EPKdPdPKlPlN2at6native12_GLOBAL__N_18offset_tEEE10hipError_tPvRmT1_PNSt15iterator_traitsISK_E10value_typeET2_T3_PNSL_ISQ_E10value_typeET4_jRbjT5_SW_jjP12ihipStream_tbEUlT_E_NS1_11comp_targetILNS1_3genE9ELNS1_11target_archE1100ELNS1_3gpuE3ELNS1_3repE0EEENS1_30default_config_static_selectorELNS0_4arch9wavefront6targetE0EEEvSK_
                                        ; -- End function
	.section	.AMDGPU.csdata,"",@progbits
; Kernel info:
; codeLenInByte = 82800
; NumSgprs: 65
; NumVgprs: 248
; ScratchSize: 200
; MemoryBound: 0
; FloatMode: 240
; IeeeMode: 1
; LDSByteSize: 33824 bytes/workgroup (compile time only)
; SGPRBlocks: 8
; VGPRBlocks: 30
; NumSGPRsForWavesPerEU: 65
; NumVGPRsForWavesPerEU: 248
; Occupancy: 5
; WaveLimiterHint : 1
; COMPUTE_PGM_RSRC2:SCRATCH_EN: 1
; COMPUTE_PGM_RSRC2:USER_SGPR: 14
; COMPUTE_PGM_RSRC2:TRAP_HANDLER: 0
; COMPUTE_PGM_RSRC2:TGID_X_EN: 1
; COMPUTE_PGM_RSRC2:TGID_Y_EN: 1
; COMPUTE_PGM_RSRC2:TGID_Z_EN: 0
; COMPUTE_PGM_RSRC2:TIDIG_COMP_CNT: 2
	.section	.text._ZN7rocprim17ROCPRIM_400000_NS6detail17trampoline_kernelINS0_14default_configENS1_36segmented_radix_sort_config_selectorIdlEEZNS1_25segmented_radix_sort_implIS3_Lb1EPKdPdPKlPlN2at6native12_GLOBAL__N_18offset_tEEE10hipError_tPvRmT1_PNSt15iterator_traitsISK_E10value_typeET2_T3_PNSL_ISQ_E10value_typeET4_jRbjT5_SW_jjP12ihipStream_tbEUlT_E_NS1_11comp_targetILNS1_3genE8ELNS1_11target_archE1030ELNS1_3gpuE2ELNS1_3repE0EEENS1_30default_config_static_selectorELNS0_4arch9wavefront6targetE0EEEvSK_,"axG",@progbits,_ZN7rocprim17ROCPRIM_400000_NS6detail17trampoline_kernelINS0_14default_configENS1_36segmented_radix_sort_config_selectorIdlEEZNS1_25segmented_radix_sort_implIS3_Lb1EPKdPdPKlPlN2at6native12_GLOBAL__N_18offset_tEEE10hipError_tPvRmT1_PNSt15iterator_traitsISK_E10value_typeET2_T3_PNSL_ISQ_E10value_typeET4_jRbjT5_SW_jjP12ihipStream_tbEUlT_E_NS1_11comp_targetILNS1_3genE8ELNS1_11target_archE1030ELNS1_3gpuE2ELNS1_3repE0EEENS1_30default_config_static_selectorELNS0_4arch9wavefront6targetE0EEEvSK_,comdat
	.globl	_ZN7rocprim17ROCPRIM_400000_NS6detail17trampoline_kernelINS0_14default_configENS1_36segmented_radix_sort_config_selectorIdlEEZNS1_25segmented_radix_sort_implIS3_Lb1EPKdPdPKlPlN2at6native12_GLOBAL__N_18offset_tEEE10hipError_tPvRmT1_PNSt15iterator_traitsISK_E10value_typeET2_T3_PNSL_ISQ_E10value_typeET4_jRbjT5_SW_jjP12ihipStream_tbEUlT_E_NS1_11comp_targetILNS1_3genE8ELNS1_11target_archE1030ELNS1_3gpuE2ELNS1_3repE0EEENS1_30default_config_static_selectorELNS0_4arch9wavefront6targetE0EEEvSK_ ; -- Begin function _ZN7rocprim17ROCPRIM_400000_NS6detail17trampoline_kernelINS0_14default_configENS1_36segmented_radix_sort_config_selectorIdlEEZNS1_25segmented_radix_sort_implIS3_Lb1EPKdPdPKlPlN2at6native12_GLOBAL__N_18offset_tEEE10hipError_tPvRmT1_PNSt15iterator_traitsISK_E10value_typeET2_T3_PNSL_ISQ_E10value_typeET4_jRbjT5_SW_jjP12ihipStream_tbEUlT_E_NS1_11comp_targetILNS1_3genE8ELNS1_11target_archE1030ELNS1_3gpuE2ELNS1_3repE0EEENS1_30default_config_static_selectorELNS0_4arch9wavefront6targetE0EEEvSK_
	.p2align	8
	.type	_ZN7rocprim17ROCPRIM_400000_NS6detail17trampoline_kernelINS0_14default_configENS1_36segmented_radix_sort_config_selectorIdlEEZNS1_25segmented_radix_sort_implIS3_Lb1EPKdPdPKlPlN2at6native12_GLOBAL__N_18offset_tEEE10hipError_tPvRmT1_PNSt15iterator_traitsISK_E10value_typeET2_T3_PNSL_ISQ_E10value_typeET4_jRbjT5_SW_jjP12ihipStream_tbEUlT_E_NS1_11comp_targetILNS1_3genE8ELNS1_11target_archE1030ELNS1_3gpuE2ELNS1_3repE0EEENS1_30default_config_static_selectorELNS0_4arch9wavefront6targetE0EEEvSK_,@function
_ZN7rocprim17ROCPRIM_400000_NS6detail17trampoline_kernelINS0_14default_configENS1_36segmented_radix_sort_config_selectorIdlEEZNS1_25segmented_radix_sort_implIS3_Lb1EPKdPdPKlPlN2at6native12_GLOBAL__N_18offset_tEEE10hipError_tPvRmT1_PNSt15iterator_traitsISK_E10value_typeET2_T3_PNSL_ISQ_E10value_typeET4_jRbjT5_SW_jjP12ihipStream_tbEUlT_E_NS1_11comp_targetILNS1_3genE8ELNS1_11target_archE1030ELNS1_3gpuE2ELNS1_3repE0EEENS1_30default_config_static_selectorELNS0_4arch9wavefront6targetE0EEEvSK_: ; @_ZN7rocprim17ROCPRIM_400000_NS6detail17trampoline_kernelINS0_14default_configENS1_36segmented_radix_sort_config_selectorIdlEEZNS1_25segmented_radix_sort_implIS3_Lb1EPKdPdPKlPlN2at6native12_GLOBAL__N_18offset_tEEE10hipError_tPvRmT1_PNSt15iterator_traitsISK_E10value_typeET2_T3_PNSL_ISQ_E10value_typeET4_jRbjT5_SW_jjP12ihipStream_tbEUlT_E_NS1_11comp_targetILNS1_3genE8ELNS1_11target_archE1030ELNS1_3gpuE2ELNS1_3repE0EEENS1_30default_config_static_selectorELNS0_4arch9wavefront6targetE0EEEvSK_
; %bb.0:
	.section	.rodata,"a",@progbits
	.p2align	6, 0x0
	.amdhsa_kernel _ZN7rocprim17ROCPRIM_400000_NS6detail17trampoline_kernelINS0_14default_configENS1_36segmented_radix_sort_config_selectorIdlEEZNS1_25segmented_radix_sort_implIS3_Lb1EPKdPdPKlPlN2at6native12_GLOBAL__N_18offset_tEEE10hipError_tPvRmT1_PNSt15iterator_traitsISK_E10value_typeET2_T3_PNSL_ISQ_E10value_typeET4_jRbjT5_SW_jjP12ihipStream_tbEUlT_E_NS1_11comp_targetILNS1_3genE8ELNS1_11target_archE1030ELNS1_3gpuE2ELNS1_3repE0EEENS1_30default_config_static_selectorELNS0_4arch9wavefront6targetE0EEEvSK_
		.amdhsa_group_segment_fixed_size 0
		.amdhsa_private_segment_fixed_size 0
		.amdhsa_kernarg_size 96
		.amdhsa_user_sgpr_count 15
		.amdhsa_user_sgpr_dispatch_ptr 0
		.amdhsa_user_sgpr_queue_ptr 0
		.amdhsa_user_sgpr_kernarg_segment_ptr 1
		.amdhsa_user_sgpr_dispatch_id 0
		.amdhsa_user_sgpr_private_segment_size 0
		.amdhsa_wavefront_size32 1
		.amdhsa_uses_dynamic_stack 0
		.amdhsa_enable_private_segment 0
		.amdhsa_system_sgpr_workgroup_id_x 1
		.amdhsa_system_sgpr_workgroup_id_y 0
		.amdhsa_system_sgpr_workgroup_id_z 0
		.amdhsa_system_sgpr_workgroup_info 0
		.amdhsa_system_vgpr_workitem_id 0
		.amdhsa_next_free_vgpr 1
		.amdhsa_next_free_sgpr 1
		.amdhsa_reserve_vcc 0
		.amdhsa_float_round_mode_32 0
		.amdhsa_float_round_mode_16_64 0
		.amdhsa_float_denorm_mode_32 3
		.amdhsa_float_denorm_mode_16_64 3
		.amdhsa_dx10_clamp 1
		.amdhsa_ieee_mode 1
		.amdhsa_fp16_overflow 0
		.amdhsa_workgroup_processor_mode 1
		.amdhsa_memory_ordered 1
		.amdhsa_forward_progress 0
		.amdhsa_shared_vgpr_count 0
		.amdhsa_exception_fp_ieee_invalid_op 0
		.amdhsa_exception_fp_denorm_src 0
		.amdhsa_exception_fp_ieee_div_zero 0
		.amdhsa_exception_fp_ieee_overflow 0
		.amdhsa_exception_fp_ieee_underflow 0
		.amdhsa_exception_fp_ieee_inexact 0
		.amdhsa_exception_int_div_zero 0
	.end_amdhsa_kernel
	.section	.text._ZN7rocprim17ROCPRIM_400000_NS6detail17trampoline_kernelINS0_14default_configENS1_36segmented_radix_sort_config_selectorIdlEEZNS1_25segmented_radix_sort_implIS3_Lb1EPKdPdPKlPlN2at6native12_GLOBAL__N_18offset_tEEE10hipError_tPvRmT1_PNSt15iterator_traitsISK_E10value_typeET2_T3_PNSL_ISQ_E10value_typeET4_jRbjT5_SW_jjP12ihipStream_tbEUlT_E_NS1_11comp_targetILNS1_3genE8ELNS1_11target_archE1030ELNS1_3gpuE2ELNS1_3repE0EEENS1_30default_config_static_selectorELNS0_4arch9wavefront6targetE0EEEvSK_,"axG",@progbits,_ZN7rocprim17ROCPRIM_400000_NS6detail17trampoline_kernelINS0_14default_configENS1_36segmented_radix_sort_config_selectorIdlEEZNS1_25segmented_radix_sort_implIS3_Lb1EPKdPdPKlPlN2at6native12_GLOBAL__N_18offset_tEEE10hipError_tPvRmT1_PNSt15iterator_traitsISK_E10value_typeET2_T3_PNSL_ISQ_E10value_typeET4_jRbjT5_SW_jjP12ihipStream_tbEUlT_E_NS1_11comp_targetILNS1_3genE8ELNS1_11target_archE1030ELNS1_3gpuE2ELNS1_3repE0EEENS1_30default_config_static_selectorELNS0_4arch9wavefront6targetE0EEEvSK_,comdat
.Lfunc_end1127:
	.size	_ZN7rocprim17ROCPRIM_400000_NS6detail17trampoline_kernelINS0_14default_configENS1_36segmented_radix_sort_config_selectorIdlEEZNS1_25segmented_radix_sort_implIS3_Lb1EPKdPdPKlPlN2at6native12_GLOBAL__N_18offset_tEEE10hipError_tPvRmT1_PNSt15iterator_traitsISK_E10value_typeET2_T3_PNSL_ISQ_E10value_typeET4_jRbjT5_SW_jjP12ihipStream_tbEUlT_E_NS1_11comp_targetILNS1_3genE8ELNS1_11target_archE1030ELNS1_3gpuE2ELNS1_3repE0EEENS1_30default_config_static_selectorELNS0_4arch9wavefront6targetE0EEEvSK_, .Lfunc_end1127-_ZN7rocprim17ROCPRIM_400000_NS6detail17trampoline_kernelINS0_14default_configENS1_36segmented_radix_sort_config_selectorIdlEEZNS1_25segmented_radix_sort_implIS3_Lb1EPKdPdPKlPlN2at6native12_GLOBAL__N_18offset_tEEE10hipError_tPvRmT1_PNSt15iterator_traitsISK_E10value_typeET2_T3_PNSL_ISQ_E10value_typeET4_jRbjT5_SW_jjP12ihipStream_tbEUlT_E_NS1_11comp_targetILNS1_3genE8ELNS1_11target_archE1030ELNS1_3gpuE2ELNS1_3repE0EEENS1_30default_config_static_selectorELNS0_4arch9wavefront6targetE0EEEvSK_
                                        ; -- End function
	.section	.AMDGPU.csdata,"",@progbits
; Kernel info:
; codeLenInByte = 0
; NumSgprs: 0
; NumVgprs: 0
; ScratchSize: 0
; MemoryBound: 0
; FloatMode: 240
; IeeeMode: 1
; LDSByteSize: 0 bytes/workgroup (compile time only)
; SGPRBlocks: 0
; VGPRBlocks: 0
; NumSGPRsForWavesPerEU: 1
; NumVGPRsForWavesPerEU: 1
; Occupancy: 16
; WaveLimiterHint : 0
; COMPUTE_PGM_RSRC2:SCRATCH_EN: 0
; COMPUTE_PGM_RSRC2:USER_SGPR: 15
; COMPUTE_PGM_RSRC2:TRAP_HANDLER: 0
; COMPUTE_PGM_RSRC2:TGID_X_EN: 1
; COMPUTE_PGM_RSRC2:TGID_Y_EN: 0
; COMPUTE_PGM_RSRC2:TGID_Z_EN: 0
; COMPUTE_PGM_RSRC2:TIDIG_COMP_CNT: 0
	.section	.text._ZN7rocprim17ROCPRIM_400000_NS6detail17trampoline_kernelINS0_14default_configENS1_36segmented_radix_sort_config_selectorIdlEEZNS1_25segmented_radix_sort_implIS3_Lb1EPKdPdPKlPlN2at6native12_GLOBAL__N_18offset_tEEE10hipError_tPvRmT1_PNSt15iterator_traitsISK_E10value_typeET2_T3_PNSL_ISQ_E10value_typeET4_jRbjT5_SW_jjP12ihipStream_tbEUlT_E0_NS1_11comp_targetILNS1_3genE0ELNS1_11target_archE4294967295ELNS1_3gpuE0ELNS1_3repE0EEENS1_60segmented_radix_sort_warp_sort_medium_config_static_selectorELNS0_4arch9wavefront6targetE0EEEvSK_,"axG",@progbits,_ZN7rocprim17ROCPRIM_400000_NS6detail17trampoline_kernelINS0_14default_configENS1_36segmented_radix_sort_config_selectorIdlEEZNS1_25segmented_radix_sort_implIS3_Lb1EPKdPdPKlPlN2at6native12_GLOBAL__N_18offset_tEEE10hipError_tPvRmT1_PNSt15iterator_traitsISK_E10value_typeET2_T3_PNSL_ISQ_E10value_typeET4_jRbjT5_SW_jjP12ihipStream_tbEUlT_E0_NS1_11comp_targetILNS1_3genE0ELNS1_11target_archE4294967295ELNS1_3gpuE0ELNS1_3repE0EEENS1_60segmented_radix_sort_warp_sort_medium_config_static_selectorELNS0_4arch9wavefront6targetE0EEEvSK_,comdat
	.globl	_ZN7rocprim17ROCPRIM_400000_NS6detail17trampoline_kernelINS0_14default_configENS1_36segmented_radix_sort_config_selectorIdlEEZNS1_25segmented_radix_sort_implIS3_Lb1EPKdPdPKlPlN2at6native12_GLOBAL__N_18offset_tEEE10hipError_tPvRmT1_PNSt15iterator_traitsISK_E10value_typeET2_T3_PNSL_ISQ_E10value_typeET4_jRbjT5_SW_jjP12ihipStream_tbEUlT_E0_NS1_11comp_targetILNS1_3genE0ELNS1_11target_archE4294967295ELNS1_3gpuE0ELNS1_3repE0EEENS1_60segmented_radix_sort_warp_sort_medium_config_static_selectorELNS0_4arch9wavefront6targetE0EEEvSK_ ; -- Begin function _ZN7rocprim17ROCPRIM_400000_NS6detail17trampoline_kernelINS0_14default_configENS1_36segmented_radix_sort_config_selectorIdlEEZNS1_25segmented_radix_sort_implIS3_Lb1EPKdPdPKlPlN2at6native12_GLOBAL__N_18offset_tEEE10hipError_tPvRmT1_PNSt15iterator_traitsISK_E10value_typeET2_T3_PNSL_ISQ_E10value_typeET4_jRbjT5_SW_jjP12ihipStream_tbEUlT_E0_NS1_11comp_targetILNS1_3genE0ELNS1_11target_archE4294967295ELNS1_3gpuE0ELNS1_3repE0EEENS1_60segmented_radix_sort_warp_sort_medium_config_static_selectorELNS0_4arch9wavefront6targetE0EEEvSK_
	.p2align	8
	.type	_ZN7rocprim17ROCPRIM_400000_NS6detail17trampoline_kernelINS0_14default_configENS1_36segmented_radix_sort_config_selectorIdlEEZNS1_25segmented_radix_sort_implIS3_Lb1EPKdPdPKlPlN2at6native12_GLOBAL__N_18offset_tEEE10hipError_tPvRmT1_PNSt15iterator_traitsISK_E10value_typeET2_T3_PNSL_ISQ_E10value_typeET4_jRbjT5_SW_jjP12ihipStream_tbEUlT_E0_NS1_11comp_targetILNS1_3genE0ELNS1_11target_archE4294967295ELNS1_3gpuE0ELNS1_3repE0EEENS1_60segmented_radix_sort_warp_sort_medium_config_static_selectorELNS0_4arch9wavefront6targetE0EEEvSK_,@function
_ZN7rocprim17ROCPRIM_400000_NS6detail17trampoline_kernelINS0_14default_configENS1_36segmented_radix_sort_config_selectorIdlEEZNS1_25segmented_radix_sort_implIS3_Lb1EPKdPdPKlPlN2at6native12_GLOBAL__N_18offset_tEEE10hipError_tPvRmT1_PNSt15iterator_traitsISK_E10value_typeET2_T3_PNSL_ISQ_E10value_typeET4_jRbjT5_SW_jjP12ihipStream_tbEUlT_E0_NS1_11comp_targetILNS1_3genE0ELNS1_11target_archE4294967295ELNS1_3gpuE0ELNS1_3repE0EEENS1_60segmented_radix_sort_warp_sort_medium_config_static_selectorELNS0_4arch9wavefront6targetE0EEEvSK_: ; @_ZN7rocprim17ROCPRIM_400000_NS6detail17trampoline_kernelINS0_14default_configENS1_36segmented_radix_sort_config_selectorIdlEEZNS1_25segmented_radix_sort_implIS3_Lb1EPKdPdPKlPlN2at6native12_GLOBAL__N_18offset_tEEE10hipError_tPvRmT1_PNSt15iterator_traitsISK_E10value_typeET2_T3_PNSL_ISQ_E10value_typeET4_jRbjT5_SW_jjP12ihipStream_tbEUlT_E0_NS1_11comp_targetILNS1_3genE0ELNS1_11target_archE4294967295ELNS1_3gpuE0ELNS1_3repE0EEENS1_60segmented_radix_sort_warp_sort_medium_config_static_selectorELNS0_4arch9wavefront6targetE0EEEvSK_
; %bb.0:
	.section	.rodata,"a",@progbits
	.p2align	6, 0x0
	.amdhsa_kernel _ZN7rocprim17ROCPRIM_400000_NS6detail17trampoline_kernelINS0_14default_configENS1_36segmented_radix_sort_config_selectorIdlEEZNS1_25segmented_radix_sort_implIS3_Lb1EPKdPdPKlPlN2at6native12_GLOBAL__N_18offset_tEEE10hipError_tPvRmT1_PNSt15iterator_traitsISK_E10value_typeET2_T3_PNSL_ISQ_E10value_typeET4_jRbjT5_SW_jjP12ihipStream_tbEUlT_E0_NS1_11comp_targetILNS1_3genE0ELNS1_11target_archE4294967295ELNS1_3gpuE0ELNS1_3repE0EEENS1_60segmented_radix_sort_warp_sort_medium_config_static_selectorELNS0_4arch9wavefront6targetE0EEEvSK_
		.amdhsa_group_segment_fixed_size 0
		.amdhsa_private_segment_fixed_size 0
		.amdhsa_kernarg_size 88
		.amdhsa_user_sgpr_count 15
		.amdhsa_user_sgpr_dispatch_ptr 0
		.amdhsa_user_sgpr_queue_ptr 0
		.amdhsa_user_sgpr_kernarg_segment_ptr 1
		.amdhsa_user_sgpr_dispatch_id 0
		.amdhsa_user_sgpr_private_segment_size 0
		.amdhsa_wavefront_size32 1
		.amdhsa_uses_dynamic_stack 0
		.amdhsa_enable_private_segment 0
		.amdhsa_system_sgpr_workgroup_id_x 1
		.amdhsa_system_sgpr_workgroup_id_y 0
		.amdhsa_system_sgpr_workgroup_id_z 0
		.amdhsa_system_sgpr_workgroup_info 0
		.amdhsa_system_vgpr_workitem_id 0
		.amdhsa_next_free_vgpr 1
		.amdhsa_next_free_sgpr 1
		.amdhsa_reserve_vcc 0
		.amdhsa_float_round_mode_32 0
		.amdhsa_float_round_mode_16_64 0
		.amdhsa_float_denorm_mode_32 3
		.amdhsa_float_denorm_mode_16_64 3
		.amdhsa_dx10_clamp 1
		.amdhsa_ieee_mode 1
		.amdhsa_fp16_overflow 0
		.amdhsa_workgroup_processor_mode 1
		.amdhsa_memory_ordered 1
		.amdhsa_forward_progress 0
		.amdhsa_shared_vgpr_count 0
		.amdhsa_exception_fp_ieee_invalid_op 0
		.amdhsa_exception_fp_denorm_src 0
		.amdhsa_exception_fp_ieee_div_zero 0
		.amdhsa_exception_fp_ieee_overflow 0
		.amdhsa_exception_fp_ieee_underflow 0
		.amdhsa_exception_fp_ieee_inexact 0
		.amdhsa_exception_int_div_zero 0
	.end_amdhsa_kernel
	.section	.text._ZN7rocprim17ROCPRIM_400000_NS6detail17trampoline_kernelINS0_14default_configENS1_36segmented_radix_sort_config_selectorIdlEEZNS1_25segmented_radix_sort_implIS3_Lb1EPKdPdPKlPlN2at6native12_GLOBAL__N_18offset_tEEE10hipError_tPvRmT1_PNSt15iterator_traitsISK_E10value_typeET2_T3_PNSL_ISQ_E10value_typeET4_jRbjT5_SW_jjP12ihipStream_tbEUlT_E0_NS1_11comp_targetILNS1_3genE0ELNS1_11target_archE4294967295ELNS1_3gpuE0ELNS1_3repE0EEENS1_60segmented_radix_sort_warp_sort_medium_config_static_selectorELNS0_4arch9wavefront6targetE0EEEvSK_,"axG",@progbits,_ZN7rocprim17ROCPRIM_400000_NS6detail17trampoline_kernelINS0_14default_configENS1_36segmented_radix_sort_config_selectorIdlEEZNS1_25segmented_radix_sort_implIS3_Lb1EPKdPdPKlPlN2at6native12_GLOBAL__N_18offset_tEEE10hipError_tPvRmT1_PNSt15iterator_traitsISK_E10value_typeET2_T3_PNSL_ISQ_E10value_typeET4_jRbjT5_SW_jjP12ihipStream_tbEUlT_E0_NS1_11comp_targetILNS1_3genE0ELNS1_11target_archE4294967295ELNS1_3gpuE0ELNS1_3repE0EEENS1_60segmented_radix_sort_warp_sort_medium_config_static_selectorELNS0_4arch9wavefront6targetE0EEEvSK_,comdat
.Lfunc_end1128:
	.size	_ZN7rocprim17ROCPRIM_400000_NS6detail17trampoline_kernelINS0_14default_configENS1_36segmented_radix_sort_config_selectorIdlEEZNS1_25segmented_radix_sort_implIS3_Lb1EPKdPdPKlPlN2at6native12_GLOBAL__N_18offset_tEEE10hipError_tPvRmT1_PNSt15iterator_traitsISK_E10value_typeET2_T3_PNSL_ISQ_E10value_typeET4_jRbjT5_SW_jjP12ihipStream_tbEUlT_E0_NS1_11comp_targetILNS1_3genE0ELNS1_11target_archE4294967295ELNS1_3gpuE0ELNS1_3repE0EEENS1_60segmented_radix_sort_warp_sort_medium_config_static_selectorELNS0_4arch9wavefront6targetE0EEEvSK_, .Lfunc_end1128-_ZN7rocprim17ROCPRIM_400000_NS6detail17trampoline_kernelINS0_14default_configENS1_36segmented_radix_sort_config_selectorIdlEEZNS1_25segmented_radix_sort_implIS3_Lb1EPKdPdPKlPlN2at6native12_GLOBAL__N_18offset_tEEE10hipError_tPvRmT1_PNSt15iterator_traitsISK_E10value_typeET2_T3_PNSL_ISQ_E10value_typeET4_jRbjT5_SW_jjP12ihipStream_tbEUlT_E0_NS1_11comp_targetILNS1_3genE0ELNS1_11target_archE4294967295ELNS1_3gpuE0ELNS1_3repE0EEENS1_60segmented_radix_sort_warp_sort_medium_config_static_selectorELNS0_4arch9wavefront6targetE0EEEvSK_
                                        ; -- End function
	.section	.AMDGPU.csdata,"",@progbits
; Kernel info:
; codeLenInByte = 0
; NumSgprs: 0
; NumVgprs: 0
; ScratchSize: 0
; MemoryBound: 0
; FloatMode: 240
; IeeeMode: 1
; LDSByteSize: 0 bytes/workgroup (compile time only)
; SGPRBlocks: 0
; VGPRBlocks: 0
; NumSGPRsForWavesPerEU: 1
; NumVGPRsForWavesPerEU: 1
; Occupancy: 16
; WaveLimiterHint : 0
; COMPUTE_PGM_RSRC2:SCRATCH_EN: 0
; COMPUTE_PGM_RSRC2:USER_SGPR: 15
; COMPUTE_PGM_RSRC2:TRAP_HANDLER: 0
; COMPUTE_PGM_RSRC2:TGID_X_EN: 1
; COMPUTE_PGM_RSRC2:TGID_Y_EN: 0
; COMPUTE_PGM_RSRC2:TGID_Z_EN: 0
; COMPUTE_PGM_RSRC2:TIDIG_COMP_CNT: 0
	.section	.text._ZN7rocprim17ROCPRIM_400000_NS6detail17trampoline_kernelINS0_14default_configENS1_36segmented_radix_sort_config_selectorIdlEEZNS1_25segmented_radix_sort_implIS3_Lb1EPKdPdPKlPlN2at6native12_GLOBAL__N_18offset_tEEE10hipError_tPvRmT1_PNSt15iterator_traitsISK_E10value_typeET2_T3_PNSL_ISQ_E10value_typeET4_jRbjT5_SW_jjP12ihipStream_tbEUlT_E0_NS1_11comp_targetILNS1_3genE5ELNS1_11target_archE942ELNS1_3gpuE9ELNS1_3repE0EEENS1_60segmented_radix_sort_warp_sort_medium_config_static_selectorELNS0_4arch9wavefront6targetE0EEEvSK_,"axG",@progbits,_ZN7rocprim17ROCPRIM_400000_NS6detail17trampoline_kernelINS0_14default_configENS1_36segmented_radix_sort_config_selectorIdlEEZNS1_25segmented_radix_sort_implIS3_Lb1EPKdPdPKlPlN2at6native12_GLOBAL__N_18offset_tEEE10hipError_tPvRmT1_PNSt15iterator_traitsISK_E10value_typeET2_T3_PNSL_ISQ_E10value_typeET4_jRbjT5_SW_jjP12ihipStream_tbEUlT_E0_NS1_11comp_targetILNS1_3genE5ELNS1_11target_archE942ELNS1_3gpuE9ELNS1_3repE0EEENS1_60segmented_radix_sort_warp_sort_medium_config_static_selectorELNS0_4arch9wavefront6targetE0EEEvSK_,comdat
	.globl	_ZN7rocprim17ROCPRIM_400000_NS6detail17trampoline_kernelINS0_14default_configENS1_36segmented_radix_sort_config_selectorIdlEEZNS1_25segmented_radix_sort_implIS3_Lb1EPKdPdPKlPlN2at6native12_GLOBAL__N_18offset_tEEE10hipError_tPvRmT1_PNSt15iterator_traitsISK_E10value_typeET2_T3_PNSL_ISQ_E10value_typeET4_jRbjT5_SW_jjP12ihipStream_tbEUlT_E0_NS1_11comp_targetILNS1_3genE5ELNS1_11target_archE942ELNS1_3gpuE9ELNS1_3repE0EEENS1_60segmented_radix_sort_warp_sort_medium_config_static_selectorELNS0_4arch9wavefront6targetE0EEEvSK_ ; -- Begin function _ZN7rocprim17ROCPRIM_400000_NS6detail17trampoline_kernelINS0_14default_configENS1_36segmented_radix_sort_config_selectorIdlEEZNS1_25segmented_radix_sort_implIS3_Lb1EPKdPdPKlPlN2at6native12_GLOBAL__N_18offset_tEEE10hipError_tPvRmT1_PNSt15iterator_traitsISK_E10value_typeET2_T3_PNSL_ISQ_E10value_typeET4_jRbjT5_SW_jjP12ihipStream_tbEUlT_E0_NS1_11comp_targetILNS1_3genE5ELNS1_11target_archE942ELNS1_3gpuE9ELNS1_3repE0EEENS1_60segmented_radix_sort_warp_sort_medium_config_static_selectorELNS0_4arch9wavefront6targetE0EEEvSK_
	.p2align	8
	.type	_ZN7rocprim17ROCPRIM_400000_NS6detail17trampoline_kernelINS0_14default_configENS1_36segmented_radix_sort_config_selectorIdlEEZNS1_25segmented_radix_sort_implIS3_Lb1EPKdPdPKlPlN2at6native12_GLOBAL__N_18offset_tEEE10hipError_tPvRmT1_PNSt15iterator_traitsISK_E10value_typeET2_T3_PNSL_ISQ_E10value_typeET4_jRbjT5_SW_jjP12ihipStream_tbEUlT_E0_NS1_11comp_targetILNS1_3genE5ELNS1_11target_archE942ELNS1_3gpuE9ELNS1_3repE0EEENS1_60segmented_radix_sort_warp_sort_medium_config_static_selectorELNS0_4arch9wavefront6targetE0EEEvSK_,@function
_ZN7rocprim17ROCPRIM_400000_NS6detail17trampoline_kernelINS0_14default_configENS1_36segmented_radix_sort_config_selectorIdlEEZNS1_25segmented_radix_sort_implIS3_Lb1EPKdPdPKlPlN2at6native12_GLOBAL__N_18offset_tEEE10hipError_tPvRmT1_PNSt15iterator_traitsISK_E10value_typeET2_T3_PNSL_ISQ_E10value_typeET4_jRbjT5_SW_jjP12ihipStream_tbEUlT_E0_NS1_11comp_targetILNS1_3genE5ELNS1_11target_archE942ELNS1_3gpuE9ELNS1_3repE0EEENS1_60segmented_radix_sort_warp_sort_medium_config_static_selectorELNS0_4arch9wavefront6targetE0EEEvSK_: ; @_ZN7rocprim17ROCPRIM_400000_NS6detail17trampoline_kernelINS0_14default_configENS1_36segmented_radix_sort_config_selectorIdlEEZNS1_25segmented_radix_sort_implIS3_Lb1EPKdPdPKlPlN2at6native12_GLOBAL__N_18offset_tEEE10hipError_tPvRmT1_PNSt15iterator_traitsISK_E10value_typeET2_T3_PNSL_ISQ_E10value_typeET4_jRbjT5_SW_jjP12ihipStream_tbEUlT_E0_NS1_11comp_targetILNS1_3genE5ELNS1_11target_archE942ELNS1_3gpuE9ELNS1_3repE0EEENS1_60segmented_radix_sort_warp_sort_medium_config_static_selectorELNS0_4arch9wavefront6targetE0EEEvSK_
; %bb.0:
	.section	.rodata,"a",@progbits
	.p2align	6, 0x0
	.amdhsa_kernel _ZN7rocprim17ROCPRIM_400000_NS6detail17trampoline_kernelINS0_14default_configENS1_36segmented_radix_sort_config_selectorIdlEEZNS1_25segmented_radix_sort_implIS3_Lb1EPKdPdPKlPlN2at6native12_GLOBAL__N_18offset_tEEE10hipError_tPvRmT1_PNSt15iterator_traitsISK_E10value_typeET2_T3_PNSL_ISQ_E10value_typeET4_jRbjT5_SW_jjP12ihipStream_tbEUlT_E0_NS1_11comp_targetILNS1_3genE5ELNS1_11target_archE942ELNS1_3gpuE9ELNS1_3repE0EEENS1_60segmented_radix_sort_warp_sort_medium_config_static_selectorELNS0_4arch9wavefront6targetE0EEEvSK_
		.amdhsa_group_segment_fixed_size 0
		.amdhsa_private_segment_fixed_size 0
		.amdhsa_kernarg_size 88
		.amdhsa_user_sgpr_count 15
		.amdhsa_user_sgpr_dispatch_ptr 0
		.amdhsa_user_sgpr_queue_ptr 0
		.amdhsa_user_sgpr_kernarg_segment_ptr 1
		.amdhsa_user_sgpr_dispatch_id 0
		.amdhsa_user_sgpr_private_segment_size 0
		.amdhsa_wavefront_size32 1
		.amdhsa_uses_dynamic_stack 0
		.amdhsa_enable_private_segment 0
		.amdhsa_system_sgpr_workgroup_id_x 1
		.amdhsa_system_sgpr_workgroup_id_y 0
		.amdhsa_system_sgpr_workgroup_id_z 0
		.amdhsa_system_sgpr_workgroup_info 0
		.amdhsa_system_vgpr_workitem_id 0
		.amdhsa_next_free_vgpr 1
		.amdhsa_next_free_sgpr 1
		.amdhsa_reserve_vcc 0
		.amdhsa_float_round_mode_32 0
		.amdhsa_float_round_mode_16_64 0
		.amdhsa_float_denorm_mode_32 3
		.amdhsa_float_denorm_mode_16_64 3
		.amdhsa_dx10_clamp 1
		.amdhsa_ieee_mode 1
		.amdhsa_fp16_overflow 0
		.amdhsa_workgroup_processor_mode 1
		.amdhsa_memory_ordered 1
		.amdhsa_forward_progress 0
		.amdhsa_shared_vgpr_count 0
		.amdhsa_exception_fp_ieee_invalid_op 0
		.amdhsa_exception_fp_denorm_src 0
		.amdhsa_exception_fp_ieee_div_zero 0
		.amdhsa_exception_fp_ieee_overflow 0
		.amdhsa_exception_fp_ieee_underflow 0
		.amdhsa_exception_fp_ieee_inexact 0
		.amdhsa_exception_int_div_zero 0
	.end_amdhsa_kernel
	.section	.text._ZN7rocprim17ROCPRIM_400000_NS6detail17trampoline_kernelINS0_14default_configENS1_36segmented_radix_sort_config_selectorIdlEEZNS1_25segmented_radix_sort_implIS3_Lb1EPKdPdPKlPlN2at6native12_GLOBAL__N_18offset_tEEE10hipError_tPvRmT1_PNSt15iterator_traitsISK_E10value_typeET2_T3_PNSL_ISQ_E10value_typeET4_jRbjT5_SW_jjP12ihipStream_tbEUlT_E0_NS1_11comp_targetILNS1_3genE5ELNS1_11target_archE942ELNS1_3gpuE9ELNS1_3repE0EEENS1_60segmented_radix_sort_warp_sort_medium_config_static_selectorELNS0_4arch9wavefront6targetE0EEEvSK_,"axG",@progbits,_ZN7rocprim17ROCPRIM_400000_NS6detail17trampoline_kernelINS0_14default_configENS1_36segmented_radix_sort_config_selectorIdlEEZNS1_25segmented_radix_sort_implIS3_Lb1EPKdPdPKlPlN2at6native12_GLOBAL__N_18offset_tEEE10hipError_tPvRmT1_PNSt15iterator_traitsISK_E10value_typeET2_T3_PNSL_ISQ_E10value_typeET4_jRbjT5_SW_jjP12ihipStream_tbEUlT_E0_NS1_11comp_targetILNS1_3genE5ELNS1_11target_archE942ELNS1_3gpuE9ELNS1_3repE0EEENS1_60segmented_radix_sort_warp_sort_medium_config_static_selectorELNS0_4arch9wavefront6targetE0EEEvSK_,comdat
.Lfunc_end1129:
	.size	_ZN7rocprim17ROCPRIM_400000_NS6detail17trampoline_kernelINS0_14default_configENS1_36segmented_radix_sort_config_selectorIdlEEZNS1_25segmented_radix_sort_implIS3_Lb1EPKdPdPKlPlN2at6native12_GLOBAL__N_18offset_tEEE10hipError_tPvRmT1_PNSt15iterator_traitsISK_E10value_typeET2_T3_PNSL_ISQ_E10value_typeET4_jRbjT5_SW_jjP12ihipStream_tbEUlT_E0_NS1_11comp_targetILNS1_3genE5ELNS1_11target_archE942ELNS1_3gpuE9ELNS1_3repE0EEENS1_60segmented_radix_sort_warp_sort_medium_config_static_selectorELNS0_4arch9wavefront6targetE0EEEvSK_, .Lfunc_end1129-_ZN7rocprim17ROCPRIM_400000_NS6detail17trampoline_kernelINS0_14default_configENS1_36segmented_radix_sort_config_selectorIdlEEZNS1_25segmented_radix_sort_implIS3_Lb1EPKdPdPKlPlN2at6native12_GLOBAL__N_18offset_tEEE10hipError_tPvRmT1_PNSt15iterator_traitsISK_E10value_typeET2_T3_PNSL_ISQ_E10value_typeET4_jRbjT5_SW_jjP12ihipStream_tbEUlT_E0_NS1_11comp_targetILNS1_3genE5ELNS1_11target_archE942ELNS1_3gpuE9ELNS1_3repE0EEENS1_60segmented_radix_sort_warp_sort_medium_config_static_selectorELNS0_4arch9wavefront6targetE0EEEvSK_
                                        ; -- End function
	.section	.AMDGPU.csdata,"",@progbits
; Kernel info:
; codeLenInByte = 0
; NumSgprs: 0
; NumVgprs: 0
; ScratchSize: 0
; MemoryBound: 0
; FloatMode: 240
; IeeeMode: 1
; LDSByteSize: 0 bytes/workgroup (compile time only)
; SGPRBlocks: 0
; VGPRBlocks: 0
; NumSGPRsForWavesPerEU: 1
; NumVGPRsForWavesPerEU: 1
; Occupancy: 16
; WaveLimiterHint : 0
; COMPUTE_PGM_RSRC2:SCRATCH_EN: 0
; COMPUTE_PGM_RSRC2:USER_SGPR: 15
; COMPUTE_PGM_RSRC2:TRAP_HANDLER: 0
; COMPUTE_PGM_RSRC2:TGID_X_EN: 1
; COMPUTE_PGM_RSRC2:TGID_Y_EN: 0
; COMPUTE_PGM_RSRC2:TGID_Z_EN: 0
; COMPUTE_PGM_RSRC2:TIDIG_COMP_CNT: 0
	.section	.text._ZN7rocprim17ROCPRIM_400000_NS6detail17trampoline_kernelINS0_14default_configENS1_36segmented_radix_sort_config_selectorIdlEEZNS1_25segmented_radix_sort_implIS3_Lb1EPKdPdPKlPlN2at6native12_GLOBAL__N_18offset_tEEE10hipError_tPvRmT1_PNSt15iterator_traitsISK_E10value_typeET2_T3_PNSL_ISQ_E10value_typeET4_jRbjT5_SW_jjP12ihipStream_tbEUlT_E0_NS1_11comp_targetILNS1_3genE4ELNS1_11target_archE910ELNS1_3gpuE8ELNS1_3repE0EEENS1_60segmented_radix_sort_warp_sort_medium_config_static_selectorELNS0_4arch9wavefront6targetE0EEEvSK_,"axG",@progbits,_ZN7rocprim17ROCPRIM_400000_NS6detail17trampoline_kernelINS0_14default_configENS1_36segmented_radix_sort_config_selectorIdlEEZNS1_25segmented_radix_sort_implIS3_Lb1EPKdPdPKlPlN2at6native12_GLOBAL__N_18offset_tEEE10hipError_tPvRmT1_PNSt15iterator_traitsISK_E10value_typeET2_T3_PNSL_ISQ_E10value_typeET4_jRbjT5_SW_jjP12ihipStream_tbEUlT_E0_NS1_11comp_targetILNS1_3genE4ELNS1_11target_archE910ELNS1_3gpuE8ELNS1_3repE0EEENS1_60segmented_radix_sort_warp_sort_medium_config_static_selectorELNS0_4arch9wavefront6targetE0EEEvSK_,comdat
	.globl	_ZN7rocprim17ROCPRIM_400000_NS6detail17trampoline_kernelINS0_14default_configENS1_36segmented_radix_sort_config_selectorIdlEEZNS1_25segmented_radix_sort_implIS3_Lb1EPKdPdPKlPlN2at6native12_GLOBAL__N_18offset_tEEE10hipError_tPvRmT1_PNSt15iterator_traitsISK_E10value_typeET2_T3_PNSL_ISQ_E10value_typeET4_jRbjT5_SW_jjP12ihipStream_tbEUlT_E0_NS1_11comp_targetILNS1_3genE4ELNS1_11target_archE910ELNS1_3gpuE8ELNS1_3repE0EEENS1_60segmented_radix_sort_warp_sort_medium_config_static_selectorELNS0_4arch9wavefront6targetE0EEEvSK_ ; -- Begin function _ZN7rocprim17ROCPRIM_400000_NS6detail17trampoline_kernelINS0_14default_configENS1_36segmented_radix_sort_config_selectorIdlEEZNS1_25segmented_radix_sort_implIS3_Lb1EPKdPdPKlPlN2at6native12_GLOBAL__N_18offset_tEEE10hipError_tPvRmT1_PNSt15iterator_traitsISK_E10value_typeET2_T3_PNSL_ISQ_E10value_typeET4_jRbjT5_SW_jjP12ihipStream_tbEUlT_E0_NS1_11comp_targetILNS1_3genE4ELNS1_11target_archE910ELNS1_3gpuE8ELNS1_3repE0EEENS1_60segmented_radix_sort_warp_sort_medium_config_static_selectorELNS0_4arch9wavefront6targetE0EEEvSK_
	.p2align	8
	.type	_ZN7rocprim17ROCPRIM_400000_NS6detail17trampoline_kernelINS0_14default_configENS1_36segmented_radix_sort_config_selectorIdlEEZNS1_25segmented_radix_sort_implIS3_Lb1EPKdPdPKlPlN2at6native12_GLOBAL__N_18offset_tEEE10hipError_tPvRmT1_PNSt15iterator_traitsISK_E10value_typeET2_T3_PNSL_ISQ_E10value_typeET4_jRbjT5_SW_jjP12ihipStream_tbEUlT_E0_NS1_11comp_targetILNS1_3genE4ELNS1_11target_archE910ELNS1_3gpuE8ELNS1_3repE0EEENS1_60segmented_radix_sort_warp_sort_medium_config_static_selectorELNS0_4arch9wavefront6targetE0EEEvSK_,@function
_ZN7rocprim17ROCPRIM_400000_NS6detail17trampoline_kernelINS0_14default_configENS1_36segmented_radix_sort_config_selectorIdlEEZNS1_25segmented_radix_sort_implIS3_Lb1EPKdPdPKlPlN2at6native12_GLOBAL__N_18offset_tEEE10hipError_tPvRmT1_PNSt15iterator_traitsISK_E10value_typeET2_T3_PNSL_ISQ_E10value_typeET4_jRbjT5_SW_jjP12ihipStream_tbEUlT_E0_NS1_11comp_targetILNS1_3genE4ELNS1_11target_archE910ELNS1_3gpuE8ELNS1_3repE0EEENS1_60segmented_radix_sort_warp_sort_medium_config_static_selectorELNS0_4arch9wavefront6targetE0EEEvSK_: ; @_ZN7rocprim17ROCPRIM_400000_NS6detail17trampoline_kernelINS0_14default_configENS1_36segmented_radix_sort_config_selectorIdlEEZNS1_25segmented_radix_sort_implIS3_Lb1EPKdPdPKlPlN2at6native12_GLOBAL__N_18offset_tEEE10hipError_tPvRmT1_PNSt15iterator_traitsISK_E10value_typeET2_T3_PNSL_ISQ_E10value_typeET4_jRbjT5_SW_jjP12ihipStream_tbEUlT_E0_NS1_11comp_targetILNS1_3genE4ELNS1_11target_archE910ELNS1_3gpuE8ELNS1_3repE0EEENS1_60segmented_radix_sort_warp_sort_medium_config_static_selectorELNS0_4arch9wavefront6targetE0EEEvSK_
; %bb.0:
	.section	.rodata,"a",@progbits
	.p2align	6, 0x0
	.amdhsa_kernel _ZN7rocprim17ROCPRIM_400000_NS6detail17trampoline_kernelINS0_14default_configENS1_36segmented_radix_sort_config_selectorIdlEEZNS1_25segmented_radix_sort_implIS3_Lb1EPKdPdPKlPlN2at6native12_GLOBAL__N_18offset_tEEE10hipError_tPvRmT1_PNSt15iterator_traitsISK_E10value_typeET2_T3_PNSL_ISQ_E10value_typeET4_jRbjT5_SW_jjP12ihipStream_tbEUlT_E0_NS1_11comp_targetILNS1_3genE4ELNS1_11target_archE910ELNS1_3gpuE8ELNS1_3repE0EEENS1_60segmented_radix_sort_warp_sort_medium_config_static_selectorELNS0_4arch9wavefront6targetE0EEEvSK_
		.amdhsa_group_segment_fixed_size 0
		.amdhsa_private_segment_fixed_size 0
		.amdhsa_kernarg_size 88
		.amdhsa_user_sgpr_count 15
		.amdhsa_user_sgpr_dispatch_ptr 0
		.amdhsa_user_sgpr_queue_ptr 0
		.amdhsa_user_sgpr_kernarg_segment_ptr 1
		.amdhsa_user_sgpr_dispatch_id 0
		.amdhsa_user_sgpr_private_segment_size 0
		.amdhsa_wavefront_size32 1
		.amdhsa_uses_dynamic_stack 0
		.amdhsa_enable_private_segment 0
		.amdhsa_system_sgpr_workgroup_id_x 1
		.amdhsa_system_sgpr_workgroup_id_y 0
		.amdhsa_system_sgpr_workgroup_id_z 0
		.amdhsa_system_sgpr_workgroup_info 0
		.amdhsa_system_vgpr_workitem_id 0
		.amdhsa_next_free_vgpr 1
		.amdhsa_next_free_sgpr 1
		.amdhsa_reserve_vcc 0
		.amdhsa_float_round_mode_32 0
		.amdhsa_float_round_mode_16_64 0
		.amdhsa_float_denorm_mode_32 3
		.amdhsa_float_denorm_mode_16_64 3
		.amdhsa_dx10_clamp 1
		.amdhsa_ieee_mode 1
		.amdhsa_fp16_overflow 0
		.amdhsa_workgroup_processor_mode 1
		.amdhsa_memory_ordered 1
		.amdhsa_forward_progress 0
		.amdhsa_shared_vgpr_count 0
		.amdhsa_exception_fp_ieee_invalid_op 0
		.amdhsa_exception_fp_denorm_src 0
		.amdhsa_exception_fp_ieee_div_zero 0
		.amdhsa_exception_fp_ieee_overflow 0
		.amdhsa_exception_fp_ieee_underflow 0
		.amdhsa_exception_fp_ieee_inexact 0
		.amdhsa_exception_int_div_zero 0
	.end_amdhsa_kernel
	.section	.text._ZN7rocprim17ROCPRIM_400000_NS6detail17trampoline_kernelINS0_14default_configENS1_36segmented_radix_sort_config_selectorIdlEEZNS1_25segmented_radix_sort_implIS3_Lb1EPKdPdPKlPlN2at6native12_GLOBAL__N_18offset_tEEE10hipError_tPvRmT1_PNSt15iterator_traitsISK_E10value_typeET2_T3_PNSL_ISQ_E10value_typeET4_jRbjT5_SW_jjP12ihipStream_tbEUlT_E0_NS1_11comp_targetILNS1_3genE4ELNS1_11target_archE910ELNS1_3gpuE8ELNS1_3repE0EEENS1_60segmented_radix_sort_warp_sort_medium_config_static_selectorELNS0_4arch9wavefront6targetE0EEEvSK_,"axG",@progbits,_ZN7rocprim17ROCPRIM_400000_NS6detail17trampoline_kernelINS0_14default_configENS1_36segmented_radix_sort_config_selectorIdlEEZNS1_25segmented_radix_sort_implIS3_Lb1EPKdPdPKlPlN2at6native12_GLOBAL__N_18offset_tEEE10hipError_tPvRmT1_PNSt15iterator_traitsISK_E10value_typeET2_T3_PNSL_ISQ_E10value_typeET4_jRbjT5_SW_jjP12ihipStream_tbEUlT_E0_NS1_11comp_targetILNS1_3genE4ELNS1_11target_archE910ELNS1_3gpuE8ELNS1_3repE0EEENS1_60segmented_radix_sort_warp_sort_medium_config_static_selectorELNS0_4arch9wavefront6targetE0EEEvSK_,comdat
.Lfunc_end1130:
	.size	_ZN7rocprim17ROCPRIM_400000_NS6detail17trampoline_kernelINS0_14default_configENS1_36segmented_radix_sort_config_selectorIdlEEZNS1_25segmented_radix_sort_implIS3_Lb1EPKdPdPKlPlN2at6native12_GLOBAL__N_18offset_tEEE10hipError_tPvRmT1_PNSt15iterator_traitsISK_E10value_typeET2_T3_PNSL_ISQ_E10value_typeET4_jRbjT5_SW_jjP12ihipStream_tbEUlT_E0_NS1_11comp_targetILNS1_3genE4ELNS1_11target_archE910ELNS1_3gpuE8ELNS1_3repE0EEENS1_60segmented_radix_sort_warp_sort_medium_config_static_selectorELNS0_4arch9wavefront6targetE0EEEvSK_, .Lfunc_end1130-_ZN7rocprim17ROCPRIM_400000_NS6detail17trampoline_kernelINS0_14default_configENS1_36segmented_radix_sort_config_selectorIdlEEZNS1_25segmented_radix_sort_implIS3_Lb1EPKdPdPKlPlN2at6native12_GLOBAL__N_18offset_tEEE10hipError_tPvRmT1_PNSt15iterator_traitsISK_E10value_typeET2_T3_PNSL_ISQ_E10value_typeET4_jRbjT5_SW_jjP12ihipStream_tbEUlT_E0_NS1_11comp_targetILNS1_3genE4ELNS1_11target_archE910ELNS1_3gpuE8ELNS1_3repE0EEENS1_60segmented_radix_sort_warp_sort_medium_config_static_selectorELNS0_4arch9wavefront6targetE0EEEvSK_
                                        ; -- End function
	.section	.AMDGPU.csdata,"",@progbits
; Kernel info:
; codeLenInByte = 0
; NumSgprs: 0
; NumVgprs: 0
; ScratchSize: 0
; MemoryBound: 0
; FloatMode: 240
; IeeeMode: 1
; LDSByteSize: 0 bytes/workgroup (compile time only)
; SGPRBlocks: 0
; VGPRBlocks: 0
; NumSGPRsForWavesPerEU: 1
; NumVGPRsForWavesPerEU: 1
; Occupancy: 16
; WaveLimiterHint : 0
; COMPUTE_PGM_RSRC2:SCRATCH_EN: 0
; COMPUTE_PGM_RSRC2:USER_SGPR: 15
; COMPUTE_PGM_RSRC2:TRAP_HANDLER: 0
; COMPUTE_PGM_RSRC2:TGID_X_EN: 1
; COMPUTE_PGM_RSRC2:TGID_Y_EN: 0
; COMPUTE_PGM_RSRC2:TGID_Z_EN: 0
; COMPUTE_PGM_RSRC2:TIDIG_COMP_CNT: 0
	.section	.text._ZN7rocprim17ROCPRIM_400000_NS6detail17trampoline_kernelINS0_14default_configENS1_36segmented_radix_sort_config_selectorIdlEEZNS1_25segmented_radix_sort_implIS3_Lb1EPKdPdPKlPlN2at6native12_GLOBAL__N_18offset_tEEE10hipError_tPvRmT1_PNSt15iterator_traitsISK_E10value_typeET2_T3_PNSL_ISQ_E10value_typeET4_jRbjT5_SW_jjP12ihipStream_tbEUlT_E0_NS1_11comp_targetILNS1_3genE3ELNS1_11target_archE908ELNS1_3gpuE7ELNS1_3repE0EEENS1_60segmented_radix_sort_warp_sort_medium_config_static_selectorELNS0_4arch9wavefront6targetE0EEEvSK_,"axG",@progbits,_ZN7rocprim17ROCPRIM_400000_NS6detail17trampoline_kernelINS0_14default_configENS1_36segmented_radix_sort_config_selectorIdlEEZNS1_25segmented_radix_sort_implIS3_Lb1EPKdPdPKlPlN2at6native12_GLOBAL__N_18offset_tEEE10hipError_tPvRmT1_PNSt15iterator_traitsISK_E10value_typeET2_T3_PNSL_ISQ_E10value_typeET4_jRbjT5_SW_jjP12ihipStream_tbEUlT_E0_NS1_11comp_targetILNS1_3genE3ELNS1_11target_archE908ELNS1_3gpuE7ELNS1_3repE0EEENS1_60segmented_radix_sort_warp_sort_medium_config_static_selectorELNS0_4arch9wavefront6targetE0EEEvSK_,comdat
	.globl	_ZN7rocprim17ROCPRIM_400000_NS6detail17trampoline_kernelINS0_14default_configENS1_36segmented_radix_sort_config_selectorIdlEEZNS1_25segmented_radix_sort_implIS3_Lb1EPKdPdPKlPlN2at6native12_GLOBAL__N_18offset_tEEE10hipError_tPvRmT1_PNSt15iterator_traitsISK_E10value_typeET2_T3_PNSL_ISQ_E10value_typeET4_jRbjT5_SW_jjP12ihipStream_tbEUlT_E0_NS1_11comp_targetILNS1_3genE3ELNS1_11target_archE908ELNS1_3gpuE7ELNS1_3repE0EEENS1_60segmented_radix_sort_warp_sort_medium_config_static_selectorELNS0_4arch9wavefront6targetE0EEEvSK_ ; -- Begin function _ZN7rocprim17ROCPRIM_400000_NS6detail17trampoline_kernelINS0_14default_configENS1_36segmented_radix_sort_config_selectorIdlEEZNS1_25segmented_radix_sort_implIS3_Lb1EPKdPdPKlPlN2at6native12_GLOBAL__N_18offset_tEEE10hipError_tPvRmT1_PNSt15iterator_traitsISK_E10value_typeET2_T3_PNSL_ISQ_E10value_typeET4_jRbjT5_SW_jjP12ihipStream_tbEUlT_E0_NS1_11comp_targetILNS1_3genE3ELNS1_11target_archE908ELNS1_3gpuE7ELNS1_3repE0EEENS1_60segmented_radix_sort_warp_sort_medium_config_static_selectorELNS0_4arch9wavefront6targetE0EEEvSK_
	.p2align	8
	.type	_ZN7rocprim17ROCPRIM_400000_NS6detail17trampoline_kernelINS0_14default_configENS1_36segmented_radix_sort_config_selectorIdlEEZNS1_25segmented_radix_sort_implIS3_Lb1EPKdPdPKlPlN2at6native12_GLOBAL__N_18offset_tEEE10hipError_tPvRmT1_PNSt15iterator_traitsISK_E10value_typeET2_T3_PNSL_ISQ_E10value_typeET4_jRbjT5_SW_jjP12ihipStream_tbEUlT_E0_NS1_11comp_targetILNS1_3genE3ELNS1_11target_archE908ELNS1_3gpuE7ELNS1_3repE0EEENS1_60segmented_radix_sort_warp_sort_medium_config_static_selectorELNS0_4arch9wavefront6targetE0EEEvSK_,@function
_ZN7rocprim17ROCPRIM_400000_NS6detail17trampoline_kernelINS0_14default_configENS1_36segmented_radix_sort_config_selectorIdlEEZNS1_25segmented_radix_sort_implIS3_Lb1EPKdPdPKlPlN2at6native12_GLOBAL__N_18offset_tEEE10hipError_tPvRmT1_PNSt15iterator_traitsISK_E10value_typeET2_T3_PNSL_ISQ_E10value_typeET4_jRbjT5_SW_jjP12ihipStream_tbEUlT_E0_NS1_11comp_targetILNS1_3genE3ELNS1_11target_archE908ELNS1_3gpuE7ELNS1_3repE0EEENS1_60segmented_radix_sort_warp_sort_medium_config_static_selectorELNS0_4arch9wavefront6targetE0EEEvSK_: ; @_ZN7rocprim17ROCPRIM_400000_NS6detail17trampoline_kernelINS0_14default_configENS1_36segmented_radix_sort_config_selectorIdlEEZNS1_25segmented_radix_sort_implIS3_Lb1EPKdPdPKlPlN2at6native12_GLOBAL__N_18offset_tEEE10hipError_tPvRmT1_PNSt15iterator_traitsISK_E10value_typeET2_T3_PNSL_ISQ_E10value_typeET4_jRbjT5_SW_jjP12ihipStream_tbEUlT_E0_NS1_11comp_targetILNS1_3genE3ELNS1_11target_archE908ELNS1_3gpuE7ELNS1_3repE0EEENS1_60segmented_radix_sort_warp_sort_medium_config_static_selectorELNS0_4arch9wavefront6targetE0EEEvSK_
; %bb.0:
	.section	.rodata,"a",@progbits
	.p2align	6, 0x0
	.amdhsa_kernel _ZN7rocprim17ROCPRIM_400000_NS6detail17trampoline_kernelINS0_14default_configENS1_36segmented_radix_sort_config_selectorIdlEEZNS1_25segmented_radix_sort_implIS3_Lb1EPKdPdPKlPlN2at6native12_GLOBAL__N_18offset_tEEE10hipError_tPvRmT1_PNSt15iterator_traitsISK_E10value_typeET2_T3_PNSL_ISQ_E10value_typeET4_jRbjT5_SW_jjP12ihipStream_tbEUlT_E0_NS1_11comp_targetILNS1_3genE3ELNS1_11target_archE908ELNS1_3gpuE7ELNS1_3repE0EEENS1_60segmented_radix_sort_warp_sort_medium_config_static_selectorELNS0_4arch9wavefront6targetE0EEEvSK_
		.amdhsa_group_segment_fixed_size 0
		.amdhsa_private_segment_fixed_size 0
		.amdhsa_kernarg_size 88
		.amdhsa_user_sgpr_count 15
		.amdhsa_user_sgpr_dispatch_ptr 0
		.amdhsa_user_sgpr_queue_ptr 0
		.amdhsa_user_sgpr_kernarg_segment_ptr 1
		.amdhsa_user_sgpr_dispatch_id 0
		.amdhsa_user_sgpr_private_segment_size 0
		.amdhsa_wavefront_size32 1
		.amdhsa_uses_dynamic_stack 0
		.amdhsa_enable_private_segment 0
		.amdhsa_system_sgpr_workgroup_id_x 1
		.amdhsa_system_sgpr_workgroup_id_y 0
		.amdhsa_system_sgpr_workgroup_id_z 0
		.amdhsa_system_sgpr_workgroup_info 0
		.amdhsa_system_vgpr_workitem_id 0
		.amdhsa_next_free_vgpr 1
		.amdhsa_next_free_sgpr 1
		.amdhsa_reserve_vcc 0
		.amdhsa_float_round_mode_32 0
		.amdhsa_float_round_mode_16_64 0
		.amdhsa_float_denorm_mode_32 3
		.amdhsa_float_denorm_mode_16_64 3
		.amdhsa_dx10_clamp 1
		.amdhsa_ieee_mode 1
		.amdhsa_fp16_overflow 0
		.amdhsa_workgroup_processor_mode 1
		.amdhsa_memory_ordered 1
		.amdhsa_forward_progress 0
		.amdhsa_shared_vgpr_count 0
		.amdhsa_exception_fp_ieee_invalid_op 0
		.amdhsa_exception_fp_denorm_src 0
		.amdhsa_exception_fp_ieee_div_zero 0
		.amdhsa_exception_fp_ieee_overflow 0
		.amdhsa_exception_fp_ieee_underflow 0
		.amdhsa_exception_fp_ieee_inexact 0
		.amdhsa_exception_int_div_zero 0
	.end_amdhsa_kernel
	.section	.text._ZN7rocprim17ROCPRIM_400000_NS6detail17trampoline_kernelINS0_14default_configENS1_36segmented_radix_sort_config_selectorIdlEEZNS1_25segmented_radix_sort_implIS3_Lb1EPKdPdPKlPlN2at6native12_GLOBAL__N_18offset_tEEE10hipError_tPvRmT1_PNSt15iterator_traitsISK_E10value_typeET2_T3_PNSL_ISQ_E10value_typeET4_jRbjT5_SW_jjP12ihipStream_tbEUlT_E0_NS1_11comp_targetILNS1_3genE3ELNS1_11target_archE908ELNS1_3gpuE7ELNS1_3repE0EEENS1_60segmented_radix_sort_warp_sort_medium_config_static_selectorELNS0_4arch9wavefront6targetE0EEEvSK_,"axG",@progbits,_ZN7rocprim17ROCPRIM_400000_NS6detail17trampoline_kernelINS0_14default_configENS1_36segmented_radix_sort_config_selectorIdlEEZNS1_25segmented_radix_sort_implIS3_Lb1EPKdPdPKlPlN2at6native12_GLOBAL__N_18offset_tEEE10hipError_tPvRmT1_PNSt15iterator_traitsISK_E10value_typeET2_T3_PNSL_ISQ_E10value_typeET4_jRbjT5_SW_jjP12ihipStream_tbEUlT_E0_NS1_11comp_targetILNS1_3genE3ELNS1_11target_archE908ELNS1_3gpuE7ELNS1_3repE0EEENS1_60segmented_radix_sort_warp_sort_medium_config_static_selectorELNS0_4arch9wavefront6targetE0EEEvSK_,comdat
.Lfunc_end1131:
	.size	_ZN7rocprim17ROCPRIM_400000_NS6detail17trampoline_kernelINS0_14default_configENS1_36segmented_radix_sort_config_selectorIdlEEZNS1_25segmented_radix_sort_implIS3_Lb1EPKdPdPKlPlN2at6native12_GLOBAL__N_18offset_tEEE10hipError_tPvRmT1_PNSt15iterator_traitsISK_E10value_typeET2_T3_PNSL_ISQ_E10value_typeET4_jRbjT5_SW_jjP12ihipStream_tbEUlT_E0_NS1_11comp_targetILNS1_3genE3ELNS1_11target_archE908ELNS1_3gpuE7ELNS1_3repE0EEENS1_60segmented_radix_sort_warp_sort_medium_config_static_selectorELNS0_4arch9wavefront6targetE0EEEvSK_, .Lfunc_end1131-_ZN7rocprim17ROCPRIM_400000_NS6detail17trampoline_kernelINS0_14default_configENS1_36segmented_radix_sort_config_selectorIdlEEZNS1_25segmented_radix_sort_implIS3_Lb1EPKdPdPKlPlN2at6native12_GLOBAL__N_18offset_tEEE10hipError_tPvRmT1_PNSt15iterator_traitsISK_E10value_typeET2_T3_PNSL_ISQ_E10value_typeET4_jRbjT5_SW_jjP12ihipStream_tbEUlT_E0_NS1_11comp_targetILNS1_3genE3ELNS1_11target_archE908ELNS1_3gpuE7ELNS1_3repE0EEENS1_60segmented_radix_sort_warp_sort_medium_config_static_selectorELNS0_4arch9wavefront6targetE0EEEvSK_
                                        ; -- End function
	.section	.AMDGPU.csdata,"",@progbits
; Kernel info:
; codeLenInByte = 0
; NumSgprs: 0
; NumVgprs: 0
; ScratchSize: 0
; MemoryBound: 0
; FloatMode: 240
; IeeeMode: 1
; LDSByteSize: 0 bytes/workgroup (compile time only)
; SGPRBlocks: 0
; VGPRBlocks: 0
; NumSGPRsForWavesPerEU: 1
; NumVGPRsForWavesPerEU: 1
; Occupancy: 16
; WaveLimiterHint : 0
; COMPUTE_PGM_RSRC2:SCRATCH_EN: 0
; COMPUTE_PGM_RSRC2:USER_SGPR: 15
; COMPUTE_PGM_RSRC2:TRAP_HANDLER: 0
; COMPUTE_PGM_RSRC2:TGID_X_EN: 1
; COMPUTE_PGM_RSRC2:TGID_Y_EN: 0
; COMPUTE_PGM_RSRC2:TGID_Z_EN: 0
; COMPUTE_PGM_RSRC2:TIDIG_COMP_CNT: 0
	.section	.text._ZN7rocprim17ROCPRIM_400000_NS6detail17trampoline_kernelINS0_14default_configENS1_36segmented_radix_sort_config_selectorIdlEEZNS1_25segmented_radix_sort_implIS3_Lb1EPKdPdPKlPlN2at6native12_GLOBAL__N_18offset_tEEE10hipError_tPvRmT1_PNSt15iterator_traitsISK_E10value_typeET2_T3_PNSL_ISQ_E10value_typeET4_jRbjT5_SW_jjP12ihipStream_tbEUlT_E0_NS1_11comp_targetILNS1_3genE2ELNS1_11target_archE906ELNS1_3gpuE6ELNS1_3repE0EEENS1_60segmented_radix_sort_warp_sort_medium_config_static_selectorELNS0_4arch9wavefront6targetE0EEEvSK_,"axG",@progbits,_ZN7rocprim17ROCPRIM_400000_NS6detail17trampoline_kernelINS0_14default_configENS1_36segmented_radix_sort_config_selectorIdlEEZNS1_25segmented_radix_sort_implIS3_Lb1EPKdPdPKlPlN2at6native12_GLOBAL__N_18offset_tEEE10hipError_tPvRmT1_PNSt15iterator_traitsISK_E10value_typeET2_T3_PNSL_ISQ_E10value_typeET4_jRbjT5_SW_jjP12ihipStream_tbEUlT_E0_NS1_11comp_targetILNS1_3genE2ELNS1_11target_archE906ELNS1_3gpuE6ELNS1_3repE0EEENS1_60segmented_radix_sort_warp_sort_medium_config_static_selectorELNS0_4arch9wavefront6targetE0EEEvSK_,comdat
	.globl	_ZN7rocprim17ROCPRIM_400000_NS6detail17trampoline_kernelINS0_14default_configENS1_36segmented_radix_sort_config_selectorIdlEEZNS1_25segmented_radix_sort_implIS3_Lb1EPKdPdPKlPlN2at6native12_GLOBAL__N_18offset_tEEE10hipError_tPvRmT1_PNSt15iterator_traitsISK_E10value_typeET2_T3_PNSL_ISQ_E10value_typeET4_jRbjT5_SW_jjP12ihipStream_tbEUlT_E0_NS1_11comp_targetILNS1_3genE2ELNS1_11target_archE906ELNS1_3gpuE6ELNS1_3repE0EEENS1_60segmented_radix_sort_warp_sort_medium_config_static_selectorELNS0_4arch9wavefront6targetE0EEEvSK_ ; -- Begin function _ZN7rocprim17ROCPRIM_400000_NS6detail17trampoline_kernelINS0_14default_configENS1_36segmented_radix_sort_config_selectorIdlEEZNS1_25segmented_radix_sort_implIS3_Lb1EPKdPdPKlPlN2at6native12_GLOBAL__N_18offset_tEEE10hipError_tPvRmT1_PNSt15iterator_traitsISK_E10value_typeET2_T3_PNSL_ISQ_E10value_typeET4_jRbjT5_SW_jjP12ihipStream_tbEUlT_E0_NS1_11comp_targetILNS1_3genE2ELNS1_11target_archE906ELNS1_3gpuE6ELNS1_3repE0EEENS1_60segmented_radix_sort_warp_sort_medium_config_static_selectorELNS0_4arch9wavefront6targetE0EEEvSK_
	.p2align	8
	.type	_ZN7rocprim17ROCPRIM_400000_NS6detail17trampoline_kernelINS0_14default_configENS1_36segmented_radix_sort_config_selectorIdlEEZNS1_25segmented_radix_sort_implIS3_Lb1EPKdPdPKlPlN2at6native12_GLOBAL__N_18offset_tEEE10hipError_tPvRmT1_PNSt15iterator_traitsISK_E10value_typeET2_T3_PNSL_ISQ_E10value_typeET4_jRbjT5_SW_jjP12ihipStream_tbEUlT_E0_NS1_11comp_targetILNS1_3genE2ELNS1_11target_archE906ELNS1_3gpuE6ELNS1_3repE0EEENS1_60segmented_radix_sort_warp_sort_medium_config_static_selectorELNS0_4arch9wavefront6targetE0EEEvSK_,@function
_ZN7rocprim17ROCPRIM_400000_NS6detail17trampoline_kernelINS0_14default_configENS1_36segmented_radix_sort_config_selectorIdlEEZNS1_25segmented_radix_sort_implIS3_Lb1EPKdPdPKlPlN2at6native12_GLOBAL__N_18offset_tEEE10hipError_tPvRmT1_PNSt15iterator_traitsISK_E10value_typeET2_T3_PNSL_ISQ_E10value_typeET4_jRbjT5_SW_jjP12ihipStream_tbEUlT_E0_NS1_11comp_targetILNS1_3genE2ELNS1_11target_archE906ELNS1_3gpuE6ELNS1_3repE0EEENS1_60segmented_radix_sort_warp_sort_medium_config_static_selectorELNS0_4arch9wavefront6targetE0EEEvSK_: ; @_ZN7rocprim17ROCPRIM_400000_NS6detail17trampoline_kernelINS0_14default_configENS1_36segmented_radix_sort_config_selectorIdlEEZNS1_25segmented_radix_sort_implIS3_Lb1EPKdPdPKlPlN2at6native12_GLOBAL__N_18offset_tEEE10hipError_tPvRmT1_PNSt15iterator_traitsISK_E10value_typeET2_T3_PNSL_ISQ_E10value_typeET4_jRbjT5_SW_jjP12ihipStream_tbEUlT_E0_NS1_11comp_targetILNS1_3genE2ELNS1_11target_archE906ELNS1_3gpuE6ELNS1_3repE0EEENS1_60segmented_radix_sort_warp_sort_medium_config_static_selectorELNS0_4arch9wavefront6targetE0EEEvSK_
; %bb.0:
	.section	.rodata,"a",@progbits
	.p2align	6, 0x0
	.amdhsa_kernel _ZN7rocprim17ROCPRIM_400000_NS6detail17trampoline_kernelINS0_14default_configENS1_36segmented_radix_sort_config_selectorIdlEEZNS1_25segmented_radix_sort_implIS3_Lb1EPKdPdPKlPlN2at6native12_GLOBAL__N_18offset_tEEE10hipError_tPvRmT1_PNSt15iterator_traitsISK_E10value_typeET2_T3_PNSL_ISQ_E10value_typeET4_jRbjT5_SW_jjP12ihipStream_tbEUlT_E0_NS1_11comp_targetILNS1_3genE2ELNS1_11target_archE906ELNS1_3gpuE6ELNS1_3repE0EEENS1_60segmented_radix_sort_warp_sort_medium_config_static_selectorELNS0_4arch9wavefront6targetE0EEEvSK_
		.amdhsa_group_segment_fixed_size 0
		.amdhsa_private_segment_fixed_size 0
		.amdhsa_kernarg_size 88
		.amdhsa_user_sgpr_count 15
		.amdhsa_user_sgpr_dispatch_ptr 0
		.amdhsa_user_sgpr_queue_ptr 0
		.amdhsa_user_sgpr_kernarg_segment_ptr 1
		.amdhsa_user_sgpr_dispatch_id 0
		.amdhsa_user_sgpr_private_segment_size 0
		.amdhsa_wavefront_size32 1
		.amdhsa_uses_dynamic_stack 0
		.amdhsa_enable_private_segment 0
		.amdhsa_system_sgpr_workgroup_id_x 1
		.amdhsa_system_sgpr_workgroup_id_y 0
		.amdhsa_system_sgpr_workgroup_id_z 0
		.amdhsa_system_sgpr_workgroup_info 0
		.amdhsa_system_vgpr_workitem_id 0
		.amdhsa_next_free_vgpr 1
		.amdhsa_next_free_sgpr 1
		.amdhsa_reserve_vcc 0
		.amdhsa_float_round_mode_32 0
		.amdhsa_float_round_mode_16_64 0
		.amdhsa_float_denorm_mode_32 3
		.amdhsa_float_denorm_mode_16_64 3
		.amdhsa_dx10_clamp 1
		.amdhsa_ieee_mode 1
		.amdhsa_fp16_overflow 0
		.amdhsa_workgroup_processor_mode 1
		.amdhsa_memory_ordered 1
		.amdhsa_forward_progress 0
		.amdhsa_shared_vgpr_count 0
		.amdhsa_exception_fp_ieee_invalid_op 0
		.amdhsa_exception_fp_denorm_src 0
		.amdhsa_exception_fp_ieee_div_zero 0
		.amdhsa_exception_fp_ieee_overflow 0
		.amdhsa_exception_fp_ieee_underflow 0
		.amdhsa_exception_fp_ieee_inexact 0
		.amdhsa_exception_int_div_zero 0
	.end_amdhsa_kernel
	.section	.text._ZN7rocprim17ROCPRIM_400000_NS6detail17trampoline_kernelINS0_14default_configENS1_36segmented_radix_sort_config_selectorIdlEEZNS1_25segmented_radix_sort_implIS3_Lb1EPKdPdPKlPlN2at6native12_GLOBAL__N_18offset_tEEE10hipError_tPvRmT1_PNSt15iterator_traitsISK_E10value_typeET2_T3_PNSL_ISQ_E10value_typeET4_jRbjT5_SW_jjP12ihipStream_tbEUlT_E0_NS1_11comp_targetILNS1_3genE2ELNS1_11target_archE906ELNS1_3gpuE6ELNS1_3repE0EEENS1_60segmented_radix_sort_warp_sort_medium_config_static_selectorELNS0_4arch9wavefront6targetE0EEEvSK_,"axG",@progbits,_ZN7rocprim17ROCPRIM_400000_NS6detail17trampoline_kernelINS0_14default_configENS1_36segmented_radix_sort_config_selectorIdlEEZNS1_25segmented_radix_sort_implIS3_Lb1EPKdPdPKlPlN2at6native12_GLOBAL__N_18offset_tEEE10hipError_tPvRmT1_PNSt15iterator_traitsISK_E10value_typeET2_T3_PNSL_ISQ_E10value_typeET4_jRbjT5_SW_jjP12ihipStream_tbEUlT_E0_NS1_11comp_targetILNS1_3genE2ELNS1_11target_archE906ELNS1_3gpuE6ELNS1_3repE0EEENS1_60segmented_radix_sort_warp_sort_medium_config_static_selectorELNS0_4arch9wavefront6targetE0EEEvSK_,comdat
.Lfunc_end1132:
	.size	_ZN7rocprim17ROCPRIM_400000_NS6detail17trampoline_kernelINS0_14default_configENS1_36segmented_radix_sort_config_selectorIdlEEZNS1_25segmented_radix_sort_implIS3_Lb1EPKdPdPKlPlN2at6native12_GLOBAL__N_18offset_tEEE10hipError_tPvRmT1_PNSt15iterator_traitsISK_E10value_typeET2_T3_PNSL_ISQ_E10value_typeET4_jRbjT5_SW_jjP12ihipStream_tbEUlT_E0_NS1_11comp_targetILNS1_3genE2ELNS1_11target_archE906ELNS1_3gpuE6ELNS1_3repE0EEENS1_60segmented_radix_sort_warp_sort_medium_config_static_selectorELNS0_4arch9wavefront6targetE0EEEvSK_, .Lfunc_end1132-_ZN7rocprim17ROCPRIM_400000_NS6detail17trampoline_kernelINS0_14default_configENS1_36segmented_radix_sort_config_selectorIdlEEZNS1_25segmented_radix_sort_implIS3_Lb1EPKdPdPKlPlN2at6native12_GLOBAL__N_18offset_tEEE10hipError_tPvRmT1_PNSt15iterator_traitsISK_E10value_typeET2_T3_PNSL_ISQ_E10value_typeET4_jRbjT5_SW_jjP12ihipStream_tbEUlT_E0_NS1_11comp_targetILNS1_3genE2ELNS1_11target_archE906ELNS1_3gpuE6ELNS1_3repE0EEENS1_60segmented_radix_sort_warp_sort_medium_config_static_selectorELNS0_4arch9wavefront6targetE0EEEvSK_
                                        ; -- End function
	.section	.AMDGPU.csdata,"",@progbits
; Kernel info:
; codeLenInByte = 0
; NumSgprs: 0
; NumVgprs: 0
; ScratchSize: 0
; MemoryBound: 0
; FloatMode: 240
; IeeeMode: 1
; LDSByteSize: 0 bytes/workgroup (compile time only)
; SGPRBlocks: 0
; VGPRBlocks: 0
; NumSGPRsForWavesPerEU: 1
; NumVGPRsForWavesPerEU: 1
; Occupancy: 16
; WaveLimiterHint : 0
; COMPUTE_PGM_RSRC2:SCRATCH_EN: 0
; COMPUTE_PGM_RSRC2:USER_SGPR: 15
; COMPUTE_PGM_RSRC2:TRAP_HANDLER: 0
; COMPUTE_PGM_RSRC2:TGID_X_EN: 1
; COMPUTE_PGM_RSRC2:TGID_Y_EN: 0
; COMPUTE_PGM_RSRC2:TGID_Z_EN: 0
; COMPUTE_PGM_RSRC2:TIDIG_COMP_CNT: 0
	.section	.text._ZN7rocprim17ROCPRIM_400000_NS6detail17trampoline_kernelINS0_14default_configENS1_36segmented_radix_sort_config_selectorIdlEEZNS1_25segmented_radix_sort_implIS3_Lb1EPKdPdPKlPlN2at6native12_GLOBAL__N_18offset_tEEE10hipError_tPvRmT1_PNSt15iterator_traitsISK_E10value_typeET2_T3_PNSL_ISQ_E10value_typeET4_jRbjT5_SW_jjP12ihipStream_tbEUlT_E0_NS1_11comp_targetILNS1_3genE10ELNS1_11target_archE1201ELNS1_3gpuE5ELNS1_3repE0EEENS1_60segmented_radix_sort_warp_sort_medium_config_static_selectorELNS0_4arch9wavefront6targetE0EEEvSK_,"axG",@progbits,_ZN7rocprim17ROCPRIM_400000_NS6detail17trampoline_kernelINS0_14default_configENS1_36segmented_radix_sort_config_selectorIdlEEZNS1_25segmented_radix_sort_implIS3_Lb1EPKdPdPKlPlN2at6native12_GLOBAL__N_18offset_tEEE10hipError_tPvRmT1_PNSt15iterator_traitsISK_E10value_typeET2_T3_PNSL_ISQ_E10value_typeET4_jRbjT5_SW_jjP12ihipStream_tbEUlT_E0_NS1_11comp_targetILNS1_3genE10ELNS1_11target_archE1201ELNS1_3gpuE5ELNS1_3repE0EEENS1_60segmented_radix_sort_warp_sort_medium_config_static_selectorELNS0_4arch9wavefront6targetE0EEEvSK_,comdat
	.globl	_ZN7rocprim17ROCPRIM_400000_NS6detail17trampoline_kernelINS0_14default_configENS1_36segmented_radix_sort_config_selectorIdlEEZNS1_25segmented_radix_sort_implIS3_Lb1EPKdPdPKlPlN2at6native12_GLOBAL__N_18offset_tEEE10hipError_tPvRmT1_PNSt15iterator_traitsISK_E10value_typeET2_T3_PNSL_ISQ_E10value_typeET4_jRbjT5_SW_jjP12ihipStream_tbEUlT_E0_NS1_11comp_targetILNS1_3genE10ELNS1_11target_archE1201ELNS1_3gpuE5ELNS1_3repE0EEENS1_60segmented_radix_sort_warp_sort_medium_config_static_selectorELNS0_4arch9wavefront6targetE0EEEvSK_ ; -- Begin function _ZN7rocprim17ROCPRIM_400000_NS6detail17trampoline_kernelINS0_14default_configENS1_36segmented_radix_sort_config_selectorIdlEEZNS1_25segmented_radix_sort_implIS3_Lb1EPKdPdPKlPlN2at6native12_GLOBAL__N_18offset_tEEE10hipError_tPvRmT1_PNSt15iterator_traitsISK_E10value_typeET2_T3_PNSL_ISQ_E10value_typeET4_jRbjT5_SW_jjP12ihipStream_tbEUlT_E0_NS1_11comp_targetILNS1_3genE10ELNS1_11target_archE1201ELNS1_3gpuE5ELNS1_3repE0EEENS1_60segmented_radix_sort_warp_sort_medium_config_static_selectorELNS0_4arch9wavefront6targetE0EEEvSK_
	.p2align	8
	.type	_ZN7rocprim17ROCPRIM_400000_NS6detail17trampoline_kernelINS0_14default_configENS1_36segmented_radix_sort_config_selectorIdlEEZNS1_25segmented_radix_sort_implIS3_Lb1EPKdPdPKlPlN2at6native12_GLOBAL__N_18offset_tEEE10hipError_tPvRmT1_PNSt15iterator_traitsISK_E10value_typeET2_T3_PNSL_ISQ_E10value_typeET4_jRbjT5_SW_jjP12ihipStream_tbEUlT_E0_NS1_11comp_targetILNS1_3genE10ELNS1_11target_archE1201ELNS1_3gpuE5ELNS1_3repE0EEENS1_60segmented_radix_sort_warp_sort_medium_config_static_selectorELNS0_4arch9wavefront6targetE0EEEvSK_,@function
_ZN7rocprim17ROCPRIM_400000_NS6detail17trampoline_kernelINS0_14default_configENS1_36segmented_radix_sort_config_selectorIdlEEZNS1_25segmented_radix_sort_implIS3_Lb1EPKdPdPKlPlN2at6native12_GLOBAL__N_18offset_tEEE10hipError_tPvRmT1_PNSt15iterator_traitsISK_E10value_typeET2_T3_PNSL_ISQ_E10value_typeET4_jRbjT5_SW_jjP12ihipStream_tbEUlT_E0_NS1_11comp_targetILNS1_3genE10ELNS1_11target_archE1201ELNS1_3gpuE5ELNS1_3repE0EEENS1_60segmented_radix_sort_warp_sort_medium_config_static_selectorELNS0_4arch9wavefront6targetE0EEEvSK_: ; @_ZN7rocprim17ROCPRIM_400000_NS6detail17trampoline_kernelINS0_14default_configENS1_36segmented_radix_sort_config_selectorIdlEEZNS1_25segmented_radix_sort_implIS3_Lb1EPKdPdPKlPlN2at6native12_GLOBAL__N_18offset_tEEE10hipError_tPvRmT1_PNSt15iterator_traitsISK_E10value_typeET2_T3_PNSL_ISQ_E10value_typeET4_jRbjT5_SW_jjP12ihipStream_tbEUlT_E0_NS1_11comp_targetILNS1_3genE10ELNS1_11target_archE1201ELNS1_3gpuE5ELNS1_3repE0EEENS1_60segmented_radix_sort_warp_sort_medium_config_static_selectorELNS0_4arch9wavefront6targetE0EEEvSK_
; %bb.0:
	.section	.rodata,"a",@progbits
	.p2align	6, 0x0
	.amdhsa_kernel _ZN7rocprim17ROCPRIM_400000_NS6detail17trampoline_kernelINS0_14default_configENS1_36segmented_radix_sort_config_selectorIdlEEZNS1_25segmented_radix_sort_implIS3_Lb1EPKdPdPKlPlN2at6native12_GLOBAL__N_18offset_tEEE10hipError_tPvRmT1_PNSt15iterator_traitsISK_E10value_typeET2_T3_PNSL_ISQ_E10value_typeET4_jRbjT5_SW_jjP12ihipStream_tbEUlT_E0_NS1_11comp_targetILNS1_3genE10ELNS1_11target_archE1201ELNS1_3gpuE5ELNS1_3repE0EEENS1_60segmented_radix_sort_warp_sort_medium_config_static_selectorELNS0_4arch9wavefront6targetE0EEEvSK_
		.amdhsa_group_segment_fixed_size 0
		.amdhsa_private_segment_fixed_size 0
		.amdhsa_kernarg_size 88
		.amdhsa_user_sgpr_count 15
		.amdhsa_user_sgpr_dispatch_ptr 0
		.amdhsa_user_sgpr_queue_ptr 0
		.amdhsa_user_sgpr_kernarg_segment_ptr 1
		.amdhsa_user_sgpr_dispatch_id 0
		.amdhsa_user_sgpr_private_segment_size 0
		.amdhsa_wavefront_size32 1
		.amdhsa_uses_dynamic_stack 0
		.amdhsa_enable_private_segment 0
		.amdhsa_system_sgpr_workgroup_id_x 1
		.amdhsa_system_sgpr_workgroup_id_y 0
		.amdhsa_system_sgpr_workgroup_id_z 0
		.amdhsa_system_sgpr_workgroup_info 0
		.amdhsa_system_vgpr_workitem_id 0
		.amdhsa_next_free_vgpr 1
		.amdhsa_next_free_sgpr 1
		.amdhsa_reserve_vcc 0
		.amdhsa_float_round_mode_32 0
		.amdhsa_float_round_mode_16_64 0
		.amdhsa_float_denorm_mode_32 3
		.amdhsa_float_denorm_mode_16_64 3
		.amdhsa_dx10_clamp 1
		.amdhsa_ieee_mode 1
		.amdhsa_fp16_overflow 0
		.amdhsa_workgroup_processor_mode 1
		.amdhsa_memory_ordered 1
		.amdhsa_forward_progress 0
		.amdhsa_shared_vgpr_count 0
		.amdhsa_exception_fp_ieee_invalid_op 0
		.amdhsa_exception_fp_denorm_src 0
		.amdhsa_exception_fp_ieee_div_zero 0
		.amdhsa_exception_fp_ieee_overflow 0
		.amdhsa_exception_fp_ieee_underflow 0
		.amdhsa_exception_fp_ieee_inexact 0
		.amdhsa_exception_int_div_zero 0
	.end_amdhsa_kernel
	.section	.text._ZN7rocprim17ROCPRIM_400000_NS6detail17trampoline_kernelINS0_14default_configENS1_36segmented_radix_sort_config_selectorIdlEEZNS1_25segmented_radix_sort_implIS3_Lb1EPKdPdPKlPlN2at6native12_GLOBAL__N_18offset_tEEE10hipError_tPvRmT1_PNSt15iterator_traitsISK_E10value_typeET2_T3_PNSL_ISQ_E10value_typeET4_jRbjT5_SW_jjP12ihipStream_tbEUlT_E0_NS1_11comp_targetILNS1_3genE10ELNS1_11target_archE1201ELNS1_3gpuE5ELNS1_3repE0EEENS1_60segmented_radix_sort_warp_sort_medium_config_static_selectorELNS0_4arch9wavefront6targetE0EEEvSK_,"axG",@progbits,_ZN7rocprim17ROCPRIM_400000_NS6detail17trampoline_kernelINS0_14default_configENS1_36segmented_radix_sort_config_selectorIdlEEZNS1_25segmented_radix_sort_implIS3_Lb1EPKdPdPKlPlN2at6native12_GLOBAL__N_18offset_tEEE10hipError_tPvRmT1_PNSt15iterator_traitsISK_E10value_typeET2_T3_PNSL_ISQ_E10value_typeET4_jRbjT5_SW_jjP12ihipStream_tbEUlT_E0_NS1_11comp_targetILNS1_3genE10ELNS1_11target_archE1201ELNS1_3gpuE5ELNS1_3repE0EEENS1_60segmented_radix_sort_warp_sort_medium_config_static_selectorELNS0_4arch9wavefront6targetE0EEEvSK_,comdat
.Lfunc_end1133:
	.size	_ZN7rocprim17ROCPRIM_400000_NS6detail17trampoline_kernelINS0_14default_configENS1_36segmented_radix_sort_config_selectorIdlEEZNS1_25segmented_radix_sort_implIS3_Lb1EPKdPdPKlPlN2at6native12_GLOBAL__N_18offset_tEEE10hipError_tPvRmT1_PNSt15iterator_traitsISK_E10value_typeET2_T3_PNSL_ISQ_E10value_typeET4_jRbjT5_SW_jjP12ihipStream_tbEUlT_E0_NS1_11comp_targetILNS1_3genE10ELNS1_11target_archE1201ELNS1_3gpuE5ELNS1_3repE0EEENS1_60segmented_radix_sort_warp_sort_medium_config_static_selectorELNS0_4arch9wavefront6targetE0EEEvSK_, .Lfunc_end1133-_ZN7rocprim17ROCPRIM_400000_NS6detail17trampoline_kernelINS0_14default_configENS1_36segmented_radix_sort_config_selectorIdlEEZNS1_25segmented_radix_sort_implIS3_Lb1EPKdPdPKlPlN2at6native12_GLOBAL__N_18offset_tEEE10hipError_tPvRmT1_PNSt15iterator_traitsISK_E10value_typeET2_T3_PNSL_ISQ_E10value_typeET4_jRbjT5_SW_jjP12ihipStream_tbEUlT_E0_NS1_11comp_targetILNS1_3genE10ELNS1_11target_archE1201ELNS1_3gpuE5ELNS1_3repE0EEENS1_60segmented_radix_sort_warp_sort_medium_config_static_selectorELNS0_4arch9wavefront6targetE0EEEvSK_
                                        ; -- End function
	.section	.AMDGPU.csdata,"",@progbits
; Kernel info:
; codeLenInByte = 0
; NumSgprs: 0
; NumVgprs: 0
; ScratchSize: 0
; MemoryBound: 0
; FloatMode: 240
; IeeeMode: 1
; LDSByteSize: 0 bytes/workgroup (compile time only)
; SGPRBlocks: 0
; VGPRBlocks: 0
; NumSGPRsForWavesPerEU: 1
; NumVGPRsForWavesPerEU: 1
; Occupancy: 16
; WaveLimiterHint : 0
; COMPUTE_PGM_RSRC2:SCRATCH_EN: 0
; COMPUTE_PGM_RSRC2:USER_SGPR: 15
; COMPUTE_PGM_RSRC2:TRAP_HANDLER: 0
; COMPUTE_PGM_RSRC2:TGID_X_EN: 1
; COMPUTE_PGM_RSRC2:TGID_Y_EN: 0
; COMPUTE_PGM_RSRC2:TGID_Z_EN: 0
; COMPUTE_PGM_RSRC2:TIDIG_COMP_CNT: 0
	.section	.text._ZN7rocprim17ROCPRIM_400000_NS6detail17trampoline_kernelINS0_14default_configENS1_36segmented_radix_sort_config_selectorIdlEEZNS1_25segmented_radix_sort_implIS3_Lb1EPKdPdPKlPlN2at6native12_GLOBAL__N_18offset_tEEE10hipError_tPvRmT1_PNSt15iterator_traitsISK_E10value_typeET2_T3_PNSL_ISQ_E10value_typeET4_jRbjT5_SW_jjP12ihipStream_tbEUlT_E0_NS1_11comp_targetILNS1_3genE10ELNS1_11target_archE1200ELNS1_3gpuE4ELNS1_3repE0EEENS1_60segmented_radix_sort_warp_sort_medium_config_static_selectorELNS0_4arch9wavefront6targetE0EEEvSK_,"axG",@progbits,_ZN7rocprim17ROCPRIM_400000_NS6detail17trampoline_kernelINS0_14default_configENS1_36segmented_radix_sort_config_selectorIdlEEZNS1_25segmented_radix_sort_implIS3_Lb1EPKdPdPKlPlN2at6native12_GLOBAL__N_18offset_tEEE10hipError_tPvRmT1_PNSt15iterator_traitsISK_E10value_typeET2_T3_PNSL_ISQ_E10value_typeET4_jRbjT5_SW_jjP12ihipStream_tbEUlT_E0_NS1_11comp_targetILNS1_3genE10ELNS1_11target_archE1200ELNS1_3gpuE4ELNS1_3repE0EEENS1_60segmented_radix_sort_warp_sort_medium_config_static_selectorELNS0_4arch9wavefront6targetE0EEEvSK_,comdat
	.globl	_ZN7rocprim17ROCPRIM_400000_NS6detail17trampoline_kernelINS0_14default_configENS1_36segmented_radix_sort_config_selectorIdlEEZNS1_25segmented_radix_sort_implIS3_Lb1EPKdPdPKlPlN2at6native12_GLOBAL__N_18offset_tEEE10hipError_tPvRmT1_PNSt15iterator_traitsISK_E10value_typeET2_T3_PNSL_ISQ_E10value_typeET4_jRbjT5_SW_jjP12ihipStream_tbEUlT_E0_NS1_11comp_targetILNS1_3genE10ELNS1_11target_archE1200ELNS1_3gpuE4ELNS1_3repE0EEENS1_60segmented_radix_sort_warp_sort_medium_config_static_selectorELNS0_4arch9wavefront6targetE0EEEvSK_ ; -- Begin function _ZN7rocprim17ROCPRIM_400000_NS6detail17trampoline_kernelINS0_14default_configENS1_36segmented_radix_sort_config_selectorIdlEEZNS1_25segmented_radix_sort_implIS3_Lb1EPKdPdPKlPlN2at6native12_GLOBAL__N_18offset_tEEE10hipError_tPvRmT1_PNSt15iterator_traitsISK_E10value_typeET2_T3_PNSL_ISQ_E10value_typeET4_jRbjT5_SW_jjP12ihipStream_tbEUlT_E0_NS1_11comp_targetILNS1_3genE10ELNS1_11target_archE1200ELNS1_3gpuE4ELNS1_3repE0EEENS1_60segmented_radix_sort_warp_sort_medium_config_static_selectorELNS0_4arch9wavefront6targetE0EEEvSK_
	.p2align	8
	.type	_ZN7rocprim17ROCPRIM_400000_NS6detail17trampoline_kernelINS0_14default_configENS1_36segmented_radix_sort_config_selectorIdlEEZNS1_25segmented_radix_sort_implIS3_Lb1EPKdPdPKlPlN2at6native12_GLOBAL__N_18offset_tEEE10hipError_tPvRmT1_PNSt15iterator_traitsISK_E10value_typeET2_T3_PNSL_ISQ_E10value_typeET4_jRbjT5_SW_jjP12ihipStream_tbEUlT_E0_NS1_11comp_targetILNS1_3genE10ELNS1_11target_archE1200ELNS1_3gpuE4ELNS1_3repE0EEENS1_60segmented_radix_sort_warp_sort_medium_config_static_selectorELNS0_4arch9wavefront6targetE0EEEvSK_,@function
_ZN7rocprim17ROCPRIM_400000_NS6detail17trampoline_kernelINS0_14default_configENS1_36segmented_radix_sort_config_selectorIdlEEZNS1_25segmented_radix_sort_implIS3_Lb1EPKdPdPKlPlN2at6native12_GLOBAL__N_18offset_tEEE10hipError_tPvRmT1_PNSt15iterator_traitsISK_E10value_typeET2_T3_PNSL_ISQ_E10value_typeET4_jRbjT5_SW_jjP12ihipStream_tbEUlT_E0_NS1_11comp_targetILNS1_3genE10ELNS1_11target_archE1200ELNS1_3gpuE4ELNS1_3repE0EEENS1_60segmented_radix_sort_warp_sort_medium_config_static_selectorELNS0_4arch9wavefront6targetE0EEEvSK_: ; @_ZN7rocprim17ROCPRIM_400000_NS6detail17trampoline_kernelINS0_14default_configENS1_36segmented_radix_sort_config_selectorIdlEEZNS1_25segmented_radix_sort_implIS3_Lb1EPKdPdPKlPlN2at6native12_GLOBAL__N_18offset_tEEE10hipError_tPvRmT1_PNSt15iterator_traitsISK_E10value_typeET2_T3_PNSL_ISQ_E10value_typeET4_jRbjT5_SW_jjP12ihipStream_tbEUlT_E0_NS1_11comp_targetILNS1_3genE10ELNS1_11target_archE1200ELNS1_3gpuE4ELNS1_3repE0EEENS1_60segmented_radix_sort_warp_sort_medium_config_static_selectorELNS0_4arch9wavefront6targetE0EEEvSK_
; %bb.0:
	.section	.rodata,"a",@progbits
	.p2align	6, 0x0
	.amdhsa_kernel _ZN7rocprim17ROCPRIM_400000_NS6detail17trampoline_kernelINS0_14default_configENS1_36segmented_radix_sort_config_selectorIdlEEZNS1_25segmented_radix_sort_implIS3_Lb1EPKdPdPKlPlN2at6native12_GLOBAL__N_18offset_tEEE10hipError_tPvRmT1_PNSt15iterator_traitsISK_E10value_typeET2_T3_PNSL_ISQ_E10value_typeET4_jRbjT5_SW_jjP12ihipStream_tbEUlT_E0_NS1_11comp_targetILNS1_3genE10ELNS1_11target_archE1200ELNS1_3gpuE4ELNS1_3repE0EEENS1_60segmented_radix_sort_warp_sort_medium_config_static_selectorELNS0_4arch9wavefront6targetE0EEEvSK_
		.amdhsa_group_segment_fixed_size 0
		.amdhsa_private_segment_fixed_size 0
		.amdhsa_kernarg_size 88
		.amdhsa_user_sgpr_count 15
		.amdhsa_user_sgpr_dispatch_ptr 0
		.amdhsa_user_sgpr_queue_ptr 0
		.amdhsa_user_sgpr_kernarg_segment_ptr 1
		.amdhsa_user_sgpr_dispatch_id 0
		.amdhsa_user_sgpr_private_segment_size 0
		.amdhsa_wavefront_size32 1
		.amdhsa_uses_dynamic_stack 0
		.amdhsa_enable_private_segment 0
		.amdhsa_system_sgpr_workgroup_id_x 1
		.amdhsa_system_sgpr_workgroup_id_y 0
		.amdhsa_system_sgpr_workgroup_id_z 0
		.amdhsa_system_sgpr_workgroup_info 0
		.amdhsa_system_vgpr_workitem_id 0
		.amdhsa_next_free_vgpr 1
		.amdhsa_next_free_sgpr 1
		.amdhsa_reserve_vcc 0
		.amdhsa_float_round_mode_32 0
		.amdhsa_float_round_mode_16_64 0
		.amdhsa_float_denorm_mode_32 3
		.amdhsa_float_denorm_mode_16_64 3
		.amdhsa_dx10_clamp 1
		.amdhsa_ieee_mode 1
		.amdhsa_fp16_overflow 0
		.amdhsa_workgroup_processor_mode 1
		.amdhsa_memory_ordered 1
		.amdhsa_forward_progress 0
		.amdhsa_shared_vgpr_count 0
		.amdhsa_exception_fp_ieee_invalid_op 0
		.amdhsa_exception_fp_denorm_src 0
		.amdhsa_exception_fp_ieee_div_zero 0
		.amdhsa_exception_fp_ieee_overflow 0
		.amdhsa_exception_fp_ieee_underflow 0
		.amdhsa_exception_fp_ieee_inexact 0
		.amdhsa_exception_int_div_zero 0
	.end_amdhsa_kernel
	.section	.text._ZN7rocprim17ROCPRIM_400000_NS6detail17trampoline_kernelINS0_14default_configENS1_36segmented_radix_sort_config_selectorIdlEEZNS1_25segmented_radix_sort_implIS3_Lb1EPKdPdPKlPlN2at6native12_GLOBAL__N_18offset_tEEE10hipError_tPvRmT1_PNSt15iterator_traitsISK_E10value_typeET2_T3_PNSL_ISQ_E10value_typeET4_jRbjT5_SW_jjP12ihipStream_tbEUlT_E0_NS1_11comp_targetILNS1_3genE10ELNS1_11target_archE1200ELNS1_3gpuE4ELNS1_3repE0EEENS1_60segmented_radix_sort_warp_sort_medium_config_static_selectorELNS0_4arch9wavefront6targetE0EEEvSK_,"axG",@progbits,_ZN7rocprim17ROCPRIM_400000_NS6detail17trampoline_kernelINS0_14default_configENS1_36segmented_radix_sort_config_selectorIdlEEZNS1_25segmented_radix_sort_implIS3_Lb1EPKdPdPKlPlN2at6native12_GLOBAL__N_18offset_tEEE10hipError_tPvRmT1_PNSt15iterator_traitsISK_E10value_typeET2_T3_PNSL_ISQ_E10value_typeET4_jRbjT5_SW_jjP12ihipStream_tbEUlT_E0_NS1_11comp_targetILNS1_3genE10ELNS1_11target_archE1200ELNS1_3gpuE4ELNS1_3repE0EEENS1_60segmented_radix_sort_warp_sort_medium_config_static_selectorELNS0_4arch9wavefront6targetE0EEEvSK_,comdat
.Lfunc_end1134:
	.size	_ZN7rocprim17ROCPRIM_400000_NS6detail17trampoline_kernelINS0_14default_configENS1_36segmented_radix_sort_config_selectorIdlEEZNS1_25segmented_radix_sort_implIS3_Lb1EPKdPdPKlPlN2at6native12_GLOBAL__N_18offset_tEEE10hipError_tPvRmT1_PNSt15iterator_traitsISK_E10value_typeET2_T3_PNSL_ISQ_E10value_typeET4_jRbjT5_SW_jjP12ihipStream_tbEUlT_E0_NS1_11comp_targetILNS1_3genE10ELNS1_11target_archE1200ELNS1_3gpuE4ELNS1_3repE0EEENS1_60segmented_radix_sort_warp_sort_medium_config_static_selectorELNS0_4arch9wavefront6targetE0EEEvSK_, .Lfunc_end1134-_ZN7rocprim17ROCPRIM_400000_NS6detail17trampoline_kernelINS0_14default_configENS1_36segmented_radix_sort_config_selectorIdlEEZNS1_25segmented_radix_sort_implIS3_Lb1EPKdPdPKlPlN2at6native12_GLOBAL__N_18offset_tEEE10hipError_tPvRmT1_PNSt15iterator_traitsISK_E10value_typeET2_T3_PNSL_ISQ_E10value_typeET4_jRbjT5_SW_jjP12ihipStream_tbEUlT_E0_NS1_11comp_targetILNS1_3genE10ELNS1_11target_archE1200ELNS1_3gpuE4ELNS1_3repE0EEENS1_60segmented_radix_sort_warp_sort_medium_config_static_selectorELNS0_4arch9wavefront6targetE0EEEvSK_
                                        ; -- End function
	.section	.AMDGPU.csdata,"",@progbits
; Kernel info:
; codeLenInByte = 0
; NumSgprs: 0
; NumVgprs: 0
; ScratchSize: 0
; MemoryBound: 0
; FloatMode: 240
; IeeeMode: 1
; LDSByteSize: 0 bytes/workgroup (compile time only)
; SGPRBlocks: 0
; VGPRBlocks: 0
; NumSGPRsForWavesPerEU: 1
; NumVGPRsForWavesPerEU: 1
; Occupancy: 16
; WaveLimiterHint : 0
; COMPUTE_PGM_RSRC2:SCRATCH_EN: 0
; COMPUTE_PGM_RSRC2:USER_SGPR: 15
; COMPUTE_PGM_RSRC2:TRAP_HANDLER: 0
; COMPUTE_PGM_RSRC2:TGID_X_EN: 1
; COMPUTE_PGM_RSRC2:TGID_Y_EN: 0
; COMPUTE_PGM_RSRC2:TGID_Z_EN: 0
; COMPUTE_PGM_RSRC2:TIDIG_COMP_CNT: 0
	.text
	.p2align	2                               ; -- Begin function _ZN7rocprim17ROCPRIM_400000_NS6detail26segmented_warp_sort_helperINS1_20WarpSortHelperConfigILj16ELj8ELj256EEEdlLi256ELb1EvE4sortIPKdPdPKlPlEEvT_T0_T1_T2_jjjjRNS5_12storage_typeE
	.type	_ZN7rocprim17ROCPRIM_400000_NS6detail26segmented_warp_sort_helperINS1_20WarpSortHelperConfigILj16ELj8ELj256EEEdlLi256ELb1EvE4sortIPKdPdPKlPlEEvT_T0_T1_T2_jjjjRNS5_12storage_typeE,@function
_ZN7rocprim17ROCPRIM_400000_NS6detail26segmented_warp_sort_helperINS1_20WarpSortHelperConfigILj16ELj8ELj256EEEdlLi256ELb1EvE4sortIPKdPdPKlPlEEvT_T0_T1_T2_jjjjRNS5_12storage_typeE: ; @_ZN7rocprim17ROCPRIM_400000_NS6detail26segmented_warp_sort_helperINS1_20WarpSortHelperConfigILj16ELj8ELj256EEEdlLi256ELb1EvE4sortIPKdPdPKlPlEEvT_T0_T1_T2_jjjjRNS5_12storage_typeE
; %bb.0:
	s_waitcnt vmcnt(0) expcnt(0) lgkmcnt(0)
	v_mov_b32_e32 v10, v9
	v_mbcnt_lo_u32_b32 v9, -1, 0
	v_mov_b32_e32 v34, -1
	v_mov_b32_e32 v35, -1
	s_delay_alu instid0(VALU_DEP_2) | instskip(NEXT) | instid1(VALU_DEP_4)
	v_mov_b32_e32 v26, v34
	v_dual_mov_b32 v9, 0 :: v_dual_lshlrev_b32 v80, 3, v9
	s_delay_alu instid0(VALU_DEP_3) | instskip(NEXT) | instid1(VALU_DEP_2)
	v_mov_b32_e32 v27, v35
	v_and_b32_e32 v71, 0x78, v80
	s_delay_alu instid0(VALU_DEP_3) | instskip(SKIP_1) | instid1(VALU_DEP_3)
	v_lshlrev_b64 v[24:25], 3, v[8:9]
	v_sub_nc_u32_e32 v8, v10, v8
	v_lshlrev_b32_e32 v70, 3, v71
	s_delay_alu instid0(VALU_DEP_3) | instskip(NEXT) | instid1(VALU_DEP_4)
	v_add_co_u32 v0, vcc_lo, v0, v24
	v_add_co_ci_u32_e32 v1, vcc_lo, v1, v25, vcc_lo
	s_delay_alu instid0(VALU_DEP_2) | instskip(NEXT) | instid1(VALU_DEP_2)
	v_add_co_u32 v0, vcc_lo, v0, v70
	v_add_co_ci_u32_e32 v1, vcc_lo, 0, v1, vcc_lo
	v_cmp_lt_u32_e32 vcc_lo, v71, v8
	s_and_saveexec_b32 s0, vcc_lo
	s_cbranch_execz .LBB1135_2
; %bb.1:
	flat_load_b64 v[26:27], v[0:1]
.LBB1135_2:
	s_or_b32 exec_lo, exec_lo, s0
	v_or_b32_e32 v9, 1, v71
	s_delay_alu instid0(VALU_DEP_1) | instskip(NEXT) | instid1(VALU_DEP_1)
	v_cmp_lt_u32_e64 s0, v9, v8
	s_and_saveexec_b32 s1, s0
	s_cbranch_execz .LBB1135_4
; %bb.3:
	flat_load_b64 v[34:35], v[0:1] offset:8
.LBB1135_4:
	s_or_b32 exec_lo, exec_lo, s1
	v_mov_b32_e32 v50, -1
	v_or_b32_e32 v9, 2, v71
	v_mov_b32_e32 v51, -1
	s_delay_alu instid0(VALU_DEP_3) | instskip(NEXT) | instid1(VALU_DEP_3)
	v_mov_b32_e32 v36, v50
	v_cmp_lt_u32_e64 s1, v9, v8
	s_delay_alu instid0(VALU_DEP_3) | instskip(NEXT) | instid1(VALU_DEP_2)
	v_mov_b32_e32 v37, v51
	s_and_saveexec_b32 s2, s1
	s_cbranch_execz .LBB1135_6
; %bb.5:
	flat_load_b64 v[36:37], v[0:1] offset:16
.LBB1135_6:
	s_or_b32 exec_lo, exec_lo, s2
	v_or_b32_e32 v9, 3, v71
	s_delay_alu instid0(VALU_DEP_1) | instskip(NEXT) | instid1(VALU_DEP_1)
	v_cmp_lt_u32_e64 s2, v9, v8
	s_and_saveexec_b32 s3, s2
	s_cbranch_execz .LBB1135_8
; %bb.7:
	flat_load_b64 v[50:51], v[0:1] offset:24
.LBB1135_8:
	s_or_b32 exec_lo, exec_lo, s3
	v_mov_b32_e32 v32, -1
	v_or_b32_e32 v9, 4, v71
	v_mov_b32_e32 v33, -1
	s_delay_alu instid0(VALU_DEP_2) | instskip(NEXT) | instid1(VALU_DEP_2)
	v_cmp_lt_u32_e64 s3, v9, v8
	v_dual_mov_b32 v39, v33 :: v_dual_mov_b32 v38, v32
	s_delay_alu instid0(VALU_DEP_2)
	s_and_saveexec_b32 s4, s3
	s_cbranch_execz .LBB1135_10
; %bb.9:
	flat_load_b64 v[38:39], v[0:1] offset:32
.LBB1135_10:
	s_or_b32 exec_lo, exec_lo, s4
	v_or_b32_e32 v9, 5, v71
	s_delay_alu instid0(VALU_DEP_1) | instskip(NEXT) | instid1(VALU_DEP_1)
	v_cmp_lt_u32_e64 s4, v9, v8
	s_and_saveexec_b32 s5, s4
	s_cbranch_execz .LBB1135_12
; %bb.11:
	flat_load_b64 v[32:33], v[0:1] offset:40
.LBB1135_12:
	s_or_b32 exec_lo, exec_lo, s5
	v_mov_b32_e32 v28, -1
	v_or_b32_e32 v9, 6, v71
	v_mov_b32_e32 v29, -1
	s_delay_alu instid0(VALU_DEP_2) | instskip(NEXT) | instid1(VALU_DEP_2)
	v_cmp_lt_u32_e64 s5, v9, v8
	v_dual_mov_b32 v49, v29 :: v_dual_mov_b32 v48, v28
	s_delay_alu instid0(VALU_DEP_2)
	s_and_saveexec_b32 s6, s5
	s_cbranch_execz .LBB1135_14
; %bb.13:
	flat_load_b64 v[48:49], v[0:1] offset:48
.LBB1135_14:
	s_or_b32 exec_lo, exec_lo, s6
	v_or_b32_e32 v9, 7, v71
	s_delay_alu instid0(VALU_DEP_1) | instskip(NEXT) | instid1(VALU_DEP_1)
	v_cmp_lt_u32_e64 s6, v9, v8
	s_and_saveexec_b32 s7, s6
	s_cbranch_execz .LBB1135_16
; %bb.15:
	flat_load_b64 v[28:29], v[0:1] offset:56
.LBB1135_16:
	s_or_b32 exec_lo, exec_lo, s7
	v_add_co_u32 v0, s7, v4, v24
	s_delay_alu instid0(VALU_DEP_1) | instskip(NEXT) | instid1(VALU_DEP_2)
	v_add_co_ci_u32_e64 v1, s7, v5, v25, s7
	v_add_co_u32 v52, s7, v0, v70
	s_delay_alu instid0(VALU_DEP_1)
	v_add_co_ci_u32_e64 v53, s7, 0, v1, s7
	; wave barrier
                                        ; implicit-def: $vgpr0_vgpr1
	s_and_saveexec_b32 s7, vcc_lo
	s_cbranch_execnz .LBB1135_261
; %bb.17:
	s_or_b32 exec_lo, exec_lo, s7
	s_and_saveexec_b32 s7, s0
                                        ; implicit-def: $vgpr8_vgpr9_vgpr10_vgpr11
	s_cbranch_execnz .LBB1135_262
.LBB1135_18:
	s_or_b32 exec_lo, exec_lo, s7
                                        ; implicit-def: $vgpr4_vgpr5
	s_and_saveexec_b32 s7, s1
	s_cbranch_execnz .LBB1135_263
.LBB1135_19:
	s_or_b32 exec_lo, exec_lo, s7
	s_and_saveexec_b32 s7, s2
                                        ; implicit-def: $vgpr12_vgpr13_vgpr14_vgpr15
	s_cbranch_execnz .LBB1135_264
.LBB1135_20:
	s_or_b32 exec_lo, exec_lo, s7
                                        ; implicit-def: $vgpr8_vgpr9
	s_and_saveexec_b32 s7, s3
	s_cbranch_execnz .LBB1135_265
.LBB1135_21:
	s_or_b32 exec_lo, exec_lo, s7
	s_and_saveexec_b32 s7, s4
                                        ; implicit-def: $vgpr16_vgpr17_vgpr18_vgpr19
	s_cbranch_execnz .LBB1135_266
.LBB1135_22:
	s_or_b32 exec_lo, exec_lo, s7
                                        ; implicit-def: $vgpr12_vgpr13
	s_and_saveexec_b32 s7, s5
	s_cbranch_execnz .LBB1135_267
.LBB1135_23:
	s_or_b32 exec_lo, exec_lo, s7
	s_and_saveexec_b32 s7, s6
                                        ; implicit-def: $vgpr20_vgpr21_vgpr22_vgpr23
	s_cbranch_execz .LBB1135_25
.LBB1135_24:
	flat_load_b64 v[22:23], v[52:53] offset:56
.LBB1135_25:
	s_or_b32 exec_lo, exec_lo, s7
	; wave barrier
	s_load_b64 s[10:11], s[8:9], 0x0
	v_mov_b32_e32 v16, 0
	v_bfe_u32 v20, v31, 10, 10
	v_bfe_u32 v21, v31, 20, 10
	s_waitcnt lgkmcnt(0)
	s_cmp_lt_u32 s13, s11
	s_cselect_b32 s7, 14, 20
	s_delay_alu instid0(SALU_CYCLE_1) | instskip(SKIP_4) | instid1(SALU_CYCLE_1)
	s_add_u32 s14, s8, s7
	s_addc_u32 s15, s9, 0
	s_cmp_lt_u32 s12, s10
	global_load_u16 v17, v16, s[14:15]
	s_cselect_b32 s7, 12, 18
	s_add_u32 s8, s8, s7
	s_addc_u32 s9, s9, 0
	global_load_u16 v16, v16, s[8:9]
	s_mov_b32 s8, exec_lo
	s_waitcnt vmcnt(1)
	v_mad_u32_u24 v17, v21, v17, v20
	s_waitcnt vmcnt(0)
	s_delay_alu instid0(VALU_DEP_1) | instskip(SKIP_1) | instid1(VALU_DEP_1)
	v_mul_lo_u32 v16, v17, v16
	v_and_b32_e32 v17, 0x3ff, v31
	v_add_lshl_u32 v66, v16, v17, 3
	s_delay_alu instid0(VALU_DEP_1)
	v_cmpx_gt_u32_e32 0x800, v66
	s_cbranch_execz .LBB1135_83
; %bb.26:
	v_add_f64 v[16:17], v[34:35], 0
	v_add_f64 v[20:21], v[26:27], 0
	s_delay_alu instid0(VALU_DEP_2) | instskip(NEXT) | instid1(VALU_DEP_2)
	v_ashrrev_i32_e32 v30, 31, v17
	v_ashrrev_i32_e32 v31, 31, v21
	s_delay_alu instid0(VALU_DEP_2) | instskip(NEXT) | instid1(VALU_DEP_2)
	v_or_b32_e32 v52, 0x80000000, v30
	v_or_b32_e32 v53, 0x80000000, v31
	v_xor_b32_e32 v16, v30, v16
	v_xor_b32_e32 v20, v31, v20
	s_delay_alu instid0(VALU_DEP_4) | instskip(NEXT) | instid1(VALU_DEP_4)
	v_xor_b32_e32 v17, v52, v17
	v_xor_b32_e32 v21, v53, v21
	s_delay_alu instid0(VALU_DEP_1) | instskip(SKIP_2) | instid1(VALU_DEP_3)
	v_cmp_gt_u64_e64 s7, v[16:17], v[20:21]
	v_dual_mov_b32 v16, v34 :: v_dual_mov_b32 v17, v35
	v_dual_mov_b32 v21, v11 :: v_dual_mov_b32 v20, v10
	s_and_saveexec_b32 s9, s7
; %bb.27:
	v_dual_mov_b32 v16, v26 :: v_dual_mov_b32 v17, v27
	v_dual_mov_b32 v26, v34 :: v_dual_mov_b32 v27, v35
	;; [unrolled: 1-line block ×4, first 2 shown]
; %bb.28:
	s_or_b32 exec_lo, exec_lo, s9
	v_add_f64 v[10:11], v[50:51], 0
	v_add_f64 v[30:31], v[36:37], 0
	s_delay_alu instid0(VALU_DEP_2) | instskip(NEXT) | instid1(VALU_DEP_2)
	v_ashrrev_i32_e32 v34, 31, v11
	v_ashrrev_i32_e32 v35, 31, v31
	s_delay_alu instid0(VALU_DEP_2) | instskip(NEXT) | instid1(VALU_DEP_2)
	v_or_b32_e32 v52, 0x80000000, v34
	v_or_b32_e32 v53, 0x80000000, v35
	v_xor_b32_e32 v10, v34, v10
	v_xor_b32_e32 v30, v35, v30
	s_delay_alu instid0(VALU_DEP_4) | instskip(NEXT) | instid1(VALU_DEP_4)
	v_xor_b32_e32 v11, v52, v11
	v_xor_b32_e32 v31, v53, v31
	v_dual_mov_b32 v53, v51 :: v_dual_mov_b32 v52, v50
	s_delay_alu instid0(VALU_DEP_2) | instskip(SKIP_1) | instid1(VALU_DEP_2)
	v_cmp_gt_u64_e64 s7, v[10:11], v[30:31]
	v_dual_mov_b32 v31, v15 :: v_dual_mov_b32 v30, v14
	s_and_saveexec_b32 s9, s7
; %bb.29:
	v_dual_mov_b32 v53, v37 :: v_dual_mov_b32 v52, v36
	v_dual_mov_b32 v36, v50 :: v_dual_mov_b32 v37, v51
	;; [unrolled: 1-line block ×4, first 2 shown]
; %bb.30:
	s_or_b32 exec_lo, exec_lo, s9
	v_add_f64 v[10:11], v[32:33], 0
	v_add_f64 v[14:15], v[38:39], 0
	s_delay_alu instid0(VALU_DEP_2) | instskip(NEXT) | instid1(VALU_DEP_2)
	v_ashrrev_i32_e32 v34, 31, v11
	v_ashrrev_i32_e32 v35, 31, v15
	s_delay_alu instid0(VALU_DEP_2) | instskip(NEXT) | instid1(VALU_DEP_2)
	v_or_b32_e32 v50, 0x80000000, v34
	v_or_b32_e32 v51, 0x80000000, v35
	v_xor_b32_e32 v10, v34, v10
	v_xor_b32_e32 v14, v35, v14
	s_delay_alu instid0(VALU_DEP_4) | instskip(NEXT) | instid1(VALU_DEP_4)
	v_xor_b32_e32 v11, v50, v11
	v_xor_b32_e32 v15, v51, v15
	v_dual_mov_b32 v51, v39 :: v_dual_mov_b32 v50, v38
	s_delay_alu instid0(VALU_DEP_2) | instskip(SKIP_1) | instid1(VALU_DEP_2)
	v_cmp_gt_u64_e64 s7, v[10:11], v[14:15]
	v_dual_mov_b32 v14, v18 :: v_dual_mov_b32 v15, v19
	s_and_saveexec_b32 s9, s7
; %bb.31:
	v_dual_mov_b32 v15, v9 :: v_dual_mov_b32 v14, v8
	v_dual_mov_b32 v8, v18 :: v_dual_mov_b32 v9, v19
	;; [unrolled: 1-line block ×4, first 2 shown]
; %bb.32:
	s_or_b32 exec_lo, exec_lo, s9
	v_add_f64 v[10:11], v[28:29], 0
	v_add_f64 v[18:19], v[48:49], 0
	s_delay_alu instid0(VALU_DEP_2) | instskip(NEXT) | instid1(VALU_DEP_2)
	v_ashrrev_i32_e32 v34, 31, v11
	v_ashrrev_i32_e32 v35, 31, v19
	s_delay_alu instid0(VALU_DEP_2) | instskip(NEXT) | instid1(VALU_DEP_2)
	v_or_b32_e32 v38, 0x80000000, v34
	v_or_b32_e32 v39, 0x80000000, v35
	v_xor_b32_e32 v10, v34, v10
	v_xor_b32_e32 v18, v35, v18
	v_dual_mov_b32 v34, v48 :: v_dual_mov_b32 v35, v49
	v_xor_b32_e32 v11, v38, v11
	v_xor_b32_e32 v19, v39, v19
	s_delay_alu instid0(VALU_DEP_1) | instskip(SKIP_1) | instid1(VALU_DEP_2)
	v_cmp_gt_u64_e64 s7, v[10:11], v[18:19]
	v_dual_mov_b32 v10, v22 :: v_dual_mov_b32 v11, v23
	s_and_saveexec_b32 s9, s7
; %bb.33:
	v_dual_mov_b32 v10, v12 :: v_dual_mov_b32 v11, v13
	v_dual_mov_b32 v12, v22 :: v_dual_mov_b32 v13, v23
	;; [unrolled: 1-line block ×4, first 2 shown]
; %bb.34:
	s_or_b32 exec_lo, exec_lo, s9
	v_add_f64 v[18:19], v[36:37], 0
	v_add_f64 v[22:23], v[16:17], 0
	s_delay_alu instid0(VALU_DEP_2) | instskip(NEXT) | instid1(VALU_DEP_2)
	v_ashrrev_i32_e32 v38, 31, v19
	v_ashrrev_i32_e32 v39, 31, v23
	s_delay_alu instid0(VALU_DEP_2) | instskip(NEXT) | instid1(VALU_DEP_2)
	v_or_b32_e32 v48, 0x80000000, v38
	v_or_b32_e32 v49, 0x80000000, v39
	v_xor_b32_e32 v18, v38, v18
	v_xor_b32_e32 v22, v39, v22
	s_delay_alu instid0(VALU_DEP_4) | instskip(NEXT) | instid1(VALU_DEP_4)
	v_xor_b32_e32 v19, v48, v19
	v_xor_b32_e32 v23, v49, v23
	s_delay_alu instid0(VALU_DEP_1) | instskip(SKIP_2) | instid1(VALU_DEP_3)
	v_cmp_gt_u64_e64 s7, v[18:19], v[22:23]
	v_dual_mov_b32 v18, v36 :: v_dual_mov_b32 v19, v37
	v_dual_mov_b32 v23, v5 :: v_dual_mov_b32 v22, v4
	s_and_saveexec_b32 s9, s7
	s_delay_alu instid0(SALU_CYCLE_1)
	s_xor_b32 s7, exec_lo, s9
; %bb.35:
	v_dual_mov_b32 v19, v17 :: v_dual_mov_b32 v18, v16
	v_dual_mov_b32 v16, v36 :: v_dual_mov_b32 v17, v37
	v_dual_mov_b32 v23, v21 :: v_dual_mov_b32 v22, v20
	v_dual_mov_b32 v21, v5 :: v_dual_mov_b32 v20, v4
; %bb.36:
	s_or_b32 exec_lo, exec_lo, s7
	v_add_f64 v[4:5], v[50:51], 0
	v_add_f64 v[36:37], v[52:53], 0
	s_delay_alu instid0(VALU_DEP_2) | instskip(NEXT) | instid1(VALU_DEP_2)
	v_ashrrev_i32_e32 v38, 31, v5
	v_ashrrev_i32_e32 v39, 31, v37
	s_delay_alu instid0(VALU_DEP_2) | instskip(NEXT) | instid1(VALU_DEP_2)
	v_or_b32_e32 v48, 0x80000000, v38
	v_or_b32_e32 v49, 0x80000000, v39
	v_xor_b32_e32 v4, v38, v4
	v_xor_b32_e32 v36, v39, v36
	s_delay_alu instid0(VALU_DEP_4) | instskip(NEXT) | instid1(VALU_DEP_4)
	v_xor_b32_e32 v5, v48, v5
	v_xor_b32_e32 v37, v49, v37
	s_delay_alu instid0(VALU_DEP_1) | instskip(SKIP_2) | instid1(VALU_DEP_3)
	v_cmp_gt_u64_e64 s7, v[4:5], v[36:37]
	v_dual_mov_b32 v4, v52 :: v_dual_mov_b32 v5, v53
	v_dual_mov_b32 v37, v9 :: v_dual_mov_b32 v36, v8
	s_and_saveexec_b32 s9, s7
; %bb.37:
	v_dual_mov_b32 v4, v50 :: v_dual_mov_b32 v5, v51
	v_dual_mov_b32 v37, v31 :: v_dual_mov_b32 v36, v30
	v_dual_mov_b32 v31, v9 :: v_dual_mov_b32 v30, v8
	v_dual_mov_b32 v50, v52 :: v_dual_mov_b32 v51, v53
; %bb.38:
	s_or_b32 exec_lo, exec_lo, s9
	v_add_f64 v[8:9], v[34:35], 0
	v_add_f64 v[38:39], v[32:33], 0
	s_delay_alu instid0(VALU_DEP_2) | instskip(NEXT) | instid1(VALU_DEP_2)
	v_ashrrev_i32_e32 v48, 31, v9
	v_ashrrev_i32_e32 v49, 31, v39
	s_delay_alu instid0(VALU_DEP_2) | instskip(NEXT) | instid1(VALU_DEP_2)
	v_or_b32_e32 v52, 0x80000000, v48
	v_or_b32_e32 v53, 0x80000000, v49
	v_xor_b32_e32 v8, v48, v8
	v_xor_b32_e32 v38, v49, v38
	s_delay_alu instid0(VALU_DEP_4) | instskip(NEXT) | instid1(VALU_DEP_4)
	v_xor_b32_e32 v9, v52, v9
	v_xor_b32_e32 v39, v53, v39
	s_delay_alu instid0(VALU_DEP_1) | instskip(SKIP_2) | instid1(VALU_DEP_3)
	v_cmp_gt_u64_e64 s7, v[8:9], v[38:39]
	v_dual_mov_b32 v8, v12 :: v_dual_mov_b32 v9, v13
	v_dual_mov_b32 v39, v33 :: v_dual_mov_b32 v38, v32
	s_and_saveexec_b32 s9, s7
	;; [unrolled: 25-line block ×3, first 2 shown]
; %bb.41:
	v_dual_mov_b32 v12, v26 :: v_dual_mov_b32 v13, v27
	v_dual_mov_b32 v27, v17 :: v_dual_mov_b32 v26, v16
	;; [unrolled: 1-line block ×4, first 2 shown]
; %bb.42:
	s_or_b32 exec_lo, exec_lo, s9
	v_add_f64 v[16:17], v[4:5], 0
	v_add_f64 v[20:21], v[18:19], 0
	s_delay_alu instid0(VALU_DEP_2) | instskip(NEXT) | instid1(VALU_DEP_2)
	v_ashrrev_i32_e32 v48, 31, v17
	v_ashrrev_i32_e32 v49, 31, v21
	s_delay_alu instid0(VALU_DEP_2) | instskip(NEXT) | instid1(VALU_DEP_2)
	v_or_b32_e32 v52, 0x80000000, v48
	v_or_b32_e32 v53, 0x80000000, v49
	v_xor_b32_e32 v16, v48, v16
	v_xor_b32_e32 v20, v49, v20
	v_dual_mov_b32 v49, v5 :: v_dual_mov_b32 v48, v4
	v_xor_b32_e32 v17, v52, v17
	v_xor_b32_e32 v21, v53, v21
	s_delay_alu instid0(VALU_DEP_1) | instskip(SKIP_1) | instid1(VALU_DEP_2)
	v_cmp_gt_u64_e64 s7, v[16:17], v[20:21]
	v_dual_mov_b32 v20, v30 :: v_dual_mov_b32 v21, v31
	s_and_saveexec_b32 s9, s7
; %bb.43:
	v_dual_mov_b32 v49, v19 :: v_dual_mov_b32 v48, v18
	v_dual_mov_b32 v19, v5 :: v_dual_mov_b32 v18, v4
	;; [unrolled: 1-line block ×4, first 2 shown]
; %bb.44:
	s_or_b32 exec_lo, exec_lo, s9
	v_add_f64 v[4:5], v[38:39], 0
	v_add_f64 v[16:17], v[50:51], 0
	s_delay_alu instid0(VALU_DEP_2) | instskip(NEXT) | instid1(VALU_DEP_2)
	v_ashrrev_i32_e32 v30, 31, v5
	v_ashrrev_i32_e32 v31, 31, v17
	s_delay_alu instid0(VALU_DEP_2) | instskip(NEXT) | instid1(VALU_DEP_2)
	v_or_b32_e32 v52, 0x80000000, v30
	v_or_b32_e32 v53, 0x80000000, v31
	v_xor_b32_e32 v4, v30, v4
	v_xor_b32_e32 v16, v31, v16
	s_delay_alu instid0(VALU_DEP_4) | instskip(NEXT) | instid1(VALU_DEP_4)
	v_xor_b32_e32 v5, v52, v5
	v_xor_b32_e32 v17, v53, v17
	v_dual_mov_b32 v53, v51 :: v_dual_mov_b32 v52, v50
	s_delay_alu instid0(VALU_DEP_2) | instskip(SKIP_1) | instid1(VALU_DEP_2)
	v_cmp_gt_u64_e64 s7, v[4:5], v[16:17]
	v_dual_mov_b32 v17, v15 :: v_dual_mov_b32 v16, v14
	s_and_saveexec_b32 s9, s7
; %bb.45:
	v_dual_mov_b32 v16, v36 :: v_dual_mov_b32 v17, v37
	v_dual_mov_b32 v37, v15 :: v_dual_mov_b32 v36, v14
	;; [unrolled: 1-line block ×4, first 2 shown]
; %bb.46:
	s_or_b32 exec_lo, exec_lo, s9
	v_add_f64 v[4:5], v[28:29], 0
	v_add_f64 v[14:15], v[34:35], 0
	s_delay_alu instid0(VALU_DEP_2) | instskip(NEXT) | instid1(VALU_DEP_2)
	v_ashrrev_i32_e32 v30, 31, v5
	v_ashrrev_i32_e32 v31, 31, v15
	s_delay_alu instid0(VALU_DEP_2) | instskip(NEXT) | instid1(VALU_DEP_2)
	v_or_b32_e32 v50, 0x80000000, v30
	v_or_b32_e32 v51, 0x80000000, v31
	v_xor_b32_e32 v4, v30, v4
	v_xor_b32_e32 v14, v31, v14
	v_dual_mov_b32 v30, v34 :: v_dual_mov_b32 v31, v35
	v_xor_b32_e32 v5, v50, v5
	v_xor_b32_e32 v15, v51, v15
	s_delay_alu instid0(VALU_DEP_1) | instskip(SKIP_1) | instid1(VALU_DEP_2)
	v_cmp_gt_u64_e64 s7, v[4:5], v[14:15]
	v_dual_mov_b32 v4, v10 :: v_dual_mov_b32 v5, v11
	s_and_saveexec_b32 s9, s7
; %bb.47:
	v_dual_mov_b32 v4, v8 :: v_dual_mov_b32 v5, v9
	v_dual_mov_b32 v8, v10 :: v_dual_mov_b32 v9, v11
	v_dual_mov_b32 v31, v29 :: v_dual_mov_b32 v30, v28
	v_dual_mov_b32 v28, v34 :: v_dual_mov_b32 v29, v35
; %bb.48:
	s_or_b32 exec_lo, exec_lo, s9
	v_add_f64 v[10:11], v[18:19], 0
	v_add_f64 v[14:15], v[12:13], 0
	s_delay_alu instid0(VALU_DEP_2) | instskip(NEXT) | instid1(VALU_DEP_2)
	v_ashrrev_i32_e32 v34, 31, v11
	v_ashrrev_i32_e32 v35, 31, v15
	s_delay_alu instid0(VALU_DEP_2) | instskip(NEXT) | instid1(VALU_DEP_2)
	v_or_b32_e32 v50, 0x80000000, v34
	v_or_b32_e32 v51, 0x80000000, v35
	v_xor_b32_e32 v10, v34, v10
	v_xor_b32_e32 v14, v35, v14
	v_dual_mov_b32 v35, v23 :: v_dual_mov_b32 v34, v22
	v_xor_b32_e32 v11, v50, v11
	v_xor_b32_e32 v15, v51, v15
	s_delay_alu instid0(VALU_DEP_1) | instskip(SKIP_1) | instid1(VALU_DEP_2)
	v_cmp_gt_u64_e64 s7, v[10:11], v[14:15]
	v_dual_mov_b32 v10, v18 :: v_dual_mov_b32 v11, v19
	s_and_saveexec_b32 s9, s7
; %bb.49:
	v_dual_mov_b32 v10, v12 :: v_dual_mov_b32 v11, v13
	v_dual_mov_b32 v12, v18 :: v_dual_mov_b32 v13, v19
	;; [unrolled: 1-line block ×4, first 2 shown]
; %bb.50:
	s_or_b32 exec_lo, exec_lo, s9
	v_add_f64 v[14:15], v[52:53], 0
	v_add_f64 v[18:19], v[48:49], 0
	s_mov_b32 s9, exec_lo
	s_delay_alu instid0(VALU_DEP_2) | instskip(NEXT) | instid1(VALU_DEP_2)
	v_ashrrev_i32_e32 v22, 31, v15
	v_ashrrev_i32_e32 v23, 31, v19
	s_delay_alu instid0(VALU_DEP_2) | instskip(NEXT) | instid1(VALU_DEP_2)
	v_or_b32_e32 v50, 0x80000000, v22
	v_or_b32_e32 v51, 0x80000000, v23
	v_xor_b32_e32 v14, v22, v14
	v_xor_b32_e32 v18, v23, v18
	v_dual_mov_b32 v22, v36 :: v_dual_mov_b32 v23, v37
	v_xor_b32_e32 v15, v50, v15
	v_xor_b32_e32 v19, v51, v19
	v_dual_mov_b32 v51, v49 :: v_dual_mov_b32 v50, v48
	s_delay_alu instid0(VALU_DEP_2)
	v_cmpx_gt_u64_e64 v[14:15], v[18:19]
; %bb.51:
	v_dual_mov_b32 v50, v52 :: v_dual_mov_b32 v51, v53
	v_dual_mov_b32 v23, v21 :: v_dual_mov_b32 v22, v20
	;; [unrolled: 1-line block ×4, first 2 shown]
; %bb.52:
	s_or_b32 exec_lo, exec_lo, s9
	v_add_f64 v[14:15], v[30:31], 0
	v_add_f64 v[18:19], v[38:39], 0
	s_delay_alu instid0(VALU_DEP_2) | instskip(NEXT) | instid1(VALU_DEP_2)
	v_ashrrev_i32_e32 v36, 31, v15
	v_ashrrev_i32_e32 v37, 31, v19
	s_delay_alu instid0(VALU_DEP_2) | instskip(NEXT) | instid1(VALU_DEP_2)
	v_or_b32_e32 v48, 0x80000000, v36
	v_or_b32_e32 v49, 0x80000000, v37
	v_xor_b32_e32 v14, v36, v14
	v_xor_b32_e32 v18, v37, v18
	v_dual_mov_b32 v36, v38 :: v_dual_mov_b32 v37, v39
	v_xor_b32_e32 v15, v48, v15
	v_xor_b32_e32 v19, v49, v19
	s_delay_alu instid0(VALU_DEP_1) | instskip(SKIP_1) | instid1(VALU_DEP_2)
	v_cmp_gt_u64_e64 s7, v[14:15], v[18:19]
	v_dual_mov_b32 v15, v9 :: v_dual_mov_b32 v14, v8
	s_and_saveexec_b32 s9, s7
; %bb.53:
	v_dual_mov_b32 v14, v16 :: v_dual_mov_b32 v15, v17
	v_dual_mov_b32 v17, v9 :: v_dual_mov_b32 v16, v8
	;; [unrolled: 1-line block ×4, first 2 shown]
; %bb.54:
	s_or_b32 exec_lo, exec_lo, s9
	v_add_f64 v[8:9], v[12:13], 0
	v_add_f64 v[18:19], v[26:27], 0
	s_delay_alu instid0(VALU_DEP_2) | instskip(NEXT) | instid1(VALU_DEP_2)
	v_ashrrev_i32_e32 v38, 31, v9
	v_ashrrev_i32_e32 v39, 31, v19
	s_delay_alu instid0(VALU_DEP_2) | instskip(NEXT) | instid1(VALU_DEP_2)
	v_or_b32_e32 v48, 0x80000000, v38
	v_or_b32_e32 v49, 0x80000000, v39
	v_xor_b32_e32 v8, v38, v8
	v_xor_b32_e32 v18, v39, v18
	v_dual_mov_b32 v39, v33 :: v_dual_mov_b32 v38, v32
	v_xor_b32_e32 v9, v48, v9
	v_xor_b32_e32 v19, v49, v19
	s_delay_alu instid0(VALU_DEP_1) | instskip(SKIP_1) | instid1(VALU_DEP_2)
	v_cmp_gt_u64_e64 s7, v[8:9], v[18:19]
	v_dual_mov_b32 v19, v13 :: v_dual_mov_b32 v18, v12
	s_and_saveexec_b32 s9, s7
; %bb.55:
	v_dual_mov_b32 v18, v26 :: v_dual_mov_b32 v19, v27
	v_dual_mov_b32 v27, v13 :: v_dual_mov_b32 v26, v12
	;; [unrolled: 1-line block ×4, first 2 shown]
; %bb.56:
	s_or_b32 exec_lo, exec_lo, s9
	v_add_f64 v[8:9], v[50:51], 0
	v_add_f64 v[12:13], v[10:11], 0
	s_delay_alu instid0(VALU_DEP_2) | instskip(NEXT) | instid1(VALU_DEP_2)
	v_ashrrev_i32_e32 v32, 31, v9
	v_ashrrev_i32_e32 v33, 31, v13
	s_delay_alu instid0(VALU_DEP_2) | instskip(NEXT) | instid1(VALU_DEP_2)
	v_or_b32_e32 v48, 0x80000000, v32
	v_or_b32_e32 v49, 0x80000000, v33
	v_xor_b32_e32 v8, v32, v8
	v_xor_b32_e32 v12, v33, v12
	s_delay_alu instid0(VALU_DEP_4) | instskip(NEXT) | instid1(VALU_DEP_4)
	v_xor_b32_e32 v9, v48, v9
	v_xor_b32_e32 v13, v49, v13
	v_dual_mov_b32 v49, v21 :: v_dual_mov_b32 v48, v20
	s_delay_alu instid0(VALU_DEP_2) | instskip(SKIP_1) | instid1(VALU_DEP_2)
	v_cmp_gt_u64_e64 s7, v[8:9], v[12:13]
	v_dual_mov_b32 v12, v50 :: v_dual_mov_b32 v13, v51
	s_and_saveexec_b32 s9, s7
; %bb.57:
	v_dual_mov_b32 v13, v11 :: v_dual_mov_b32 v12, v10
	v_dual_mov_b32 v10, v50 :: v_dual_mov_b32 v11, v51
	v_dual_mov_b32 v49, v35 :: v_dual_mov_b32 v48, v34
	v_dual_mov_b32 v35, v21 :: v_dual_mov_b32 v34, v20
; %bb.58:
	s_or_b32 exec_lo, exec_lo, s9
	v_add_f64 v[8:9], v[36:37], 0
	v_add_f64 v[20:21], v[52:53], 0
	v_dual_mov_b32 v55, v53 :: v_dual_mov_b32 v54, v52
	s_delay_alu instid0(VALU_DEP_3) | instskip(NEXT) | instid1(VALU_DEP_3)
	v_ashrrev_i32_e32 v32, 31, v9
	v_ashrrev_i32_e32 v33, 31, v21
	s_delay_alu instid0(VALU_DEP_2) | instskip(NEXT) | instid1(VALU_DEP_2)
	v_or_b32_e32 v50, 0x80000000, v32
	v_or_b32_e32 v51, 0x80000000, v33
	v_xor_b32_e32 v8, v32, v8
	v_xor_b32_e32 v20, v33, v20
	s_delay_alu instid0(VALU_DEP_4) | instskip(NEXT) | instid1(VALU_DEP_4)
	v_xor_b32_e32 v9, v50, v9
	v_xor_b32_e32 v21, v51, v21
	s_delay_alu instid0(VALU_DEP_1) | instskip(SKIP_1) | instid1(VALU_DEP_2)
	v_cmp_gt_u64_e64 s7, v[8:9], v[20:21]
	v_dual_mov_b32 v21, v17 :: v_dual_mov_b32 v20, v16
	s_and_saveexec_b32 s9, s7
; %bb.59:
	v_dual_mov_b32 v20, v22 :: v_dual_mov_b32 v21, v23
	v_dual_mov_b32 v23, v17 :: v_dual_mov_b32 v22, v16
	;; [unrolled: 1-line block ×4, first 2 shown]
; %bb.60:
	s_or_b32 exec_lo, exec_lo, s9
	v_add_f64 v[8:9], v[28:29], 0
	v_add_f64 v[16:17], v[30:31], 0
	s_delay_alu instid0(VALU_DEP_2) | instskip(NEXT) | instid1(VALU_DEP_2)
	v_ashrrev_i32_e32 v32, 31, v9
	v_ashrrev_i32_e32 v33, 31, v17
	s_delay_alu instid0(VALU_DEP_2) | instskip(NEXT) | instid1(VALU_DEP_2)
	v_or_b32_e32 v50, 0x80000000, v32
	v_or_b32_e32 v51, 0x80000000, v33
	v_xor_b32_e32 v8, v32, v8
	v_xor_b32_e32 v16, v33, v16
	s_delay_alu instid0(VALU_DEP_4) | instskip(NEXT) | instid1(VALU_DEP_4)
	v_xor_b32_e32 v9, v50, v9
	v_xor_b32_e32 v17, v51, v17
	v_dual_mov_b32 v51, v31 :: v_dual_mov_b32 v50, v30
	s_delay_alu instid0(VALU_DEP_2) | instskip(SKIP_1) | instid1(VALU_DEP_2)
	v_cmp_gt_u64_e64 s7, v[8:9], v[16:17]
	v_dual_mov_b32 v9, v5 :: v_dual_mov_b32 v8, v4
	s_and_saveexec_b32 s9, s7
; %bb.61:
	v_dual_mov_b32 v8, v14 :: v_dual_mov_b32 v9, v15
	v_dual_mov_b32 v15, v5 :: v_dual_mov_b32 v14, v4
	;; [unrolled: 1-line block ×4, first 2 shown]
; %bb.62:
	s_or_b32 exec_lo, exec_lo, s9
	v_add_f64 v[4:5], v[10:11], 0
	v_add_f64 v[16:17], v[18:19], 0
	v_dual_mov_b32 v53, v35 :: v_dual_mov_b32 v52, v34
	s_delay_alu instid0(VALU_DEP_3) | instskip(NEXT) | instid1(VALU_DEP_3)
	v_ashrrev_i32_e32 v30, 31, v5
	v_ashrrev_i32_e32 v31, 31, v17
	s_delay_alu instid0(VALU_DEP_2) | instskip(NEXT) | instid1(VALU_DEP_2)
	v_or_b32_e32 v32, 0x80000000, v30
	v_or_b32_e32 v33, 0x80000000, v31
	v_xor_b32_e32 v4, v30, v4
	v_xor_b32_e32 v16, v31, v16
	s_delay_alu instid0(VALU_DEP_4) | instskip(NEXT) | instid1(VALU_DEP_4)
	v_xor_b32_e32 v5, v32, v5
	v_xor_b32_e32 v17, v33, v17
	s_delay_alu instid0(VALU_DEP_1) | instskip(SKIP_1) | instid1(VALU_DEP_2)
	v_cmp_gt_u64_e64 s7, v[4:5], v[16:17]
	v_dual_mov_b32 v17, v11 :: v_dual_mov_b32 v16, v10
	s_and_saveexec_b32 s9, s7
; %bb.63:
	v_dual_mov_b32 v16, v18 :: v_dual_mov_b32 v17, v19
	v_dual_mov_b32 v19, v11 :: v_dual_mov_b32 v18, v10
	;; [unrolled: 1-line block ×4, first 2 shown]
; %bb.64:
	s_or_b32 exec_lo, exec_lo, s9
	v_add_f64 v[4:5], v[54:55], 0
	v_add_f64 v[10:11], v[12:13], 0
	s_delay_alu instid0(VALU_DEP_2) | instskip(NEXT) | instid1(VALU_DEP_2)
	v_ashrrev_i32_e32 v30, 31, v5
	v_ashrrev_i32_e32 v31, 31, v11
	s_delay_alu instid0(VALU_DEP_2) | instskip(NEXT) | instid1(VALU_DEP_2)
	v_or_b32_e32 v32, 0x80000000, v30
	v_or_b32_e32 v33, 0x80000000, v31
	v_xor_b32_e32 v4, v30, v4
	v_xor_b32_e32 v10, v31, v10
	v_dual_mov_b32 v31, v23 :: v_dual_mov_b32 v30, v22
	v_xor_b32_e32 v5, v32, v5
	v_xor_b32_e32 v11, v33, v11
	s_delay_alu instid0(VALU_DEP_1) | instskip(SKIP_1) | instid1(VALU_DEP_2)
	v_cmp_gt_u64_e64 s7, v[4:5], v[10:11]
	v_dual_mov_b32 v4, v12 :: v_dual_mov_b32 v5, v13
	s_and_saveexec_b32 s9, s7
; %bb.65:
	v_dual_mov_b32 v4, v54 :: v_dual_mov_b32 v5, v55
	v_dual_mov_b32 v30, v48 :: v_dual_mov_b32 v31, v49
	v_dual_mov_b32 v49, v23 :: v_dual_mov_b32 v48, v22
	v_dual_mov_b32 v55, v13 :: v_dual_mov_b32 v54, v12
; %bb.66:
	s_or_b32 exec_lo, exec_lo, s9
	v_add_f64 v[10:11], v[50:51], 0
	v_add_f64 v[12:13], v[36:37], 0
	s_delay_alu instid0(VALU_DEP_2) | instskip(NEXT) | instid1(VALU_DEP_2)
	v_ashrrev_i32_e32 v22, 31, v11
	v_ashrrev_i32_e32 v23, 31, v13
	s_delay_alu instid0(VALU_DEP_2) | instskip(NEXT) | instid1(VALU_DEP_2)
	v_or_b32_e32 v32, 0x80000000, v22
	v_or_b32_e32 v33, 0x80000000, v23
	v_xor_b32_e32 v10, v22, v10
	v_xor_b32_e32 v12, v23, v12
	s_delay_alu instid0(VALU_DEP_4) | instskip(NEXT) | instid1(VALU_DEP_4)
	v_xor_b32_e32 v11, v32, v11
	v_xor_b32_e32 v13, v33, v13
	v_dual_mov_b32 v32, v36 :: v_dual_mov_b32 v33, v37
	s_delay_alu instid0(VALU_DEP_2) | instskip(SKIP_1) | instid1(VALU_DEP_2)
	v_cmp_gt_u64_e64 s7, v[10:11], v[12:13]
	v_dual_mov_b32 v12, v14 :: v_dual_mov_b32 v13, v15
	s_and_saveexec_b32 s9, s7
; %bb.67:
	v_dual_mov_b32 v12, v20 :: v_dual_mov_b32 v13, v21
	v_dual_mov_b32 v21, v15 :: v_dual_mov_b32 v20, v14
	;; [unrolled: 1-line block ×4, first 2 shown]
; %bb.68:
	s_or_b32 exec_lo, exec_lo, s9
	v_add_f64 v[10:11], v[18:19], 0
	v_add_f64 v[14:15], v[26:27], 0
	s_delay_alu instid0(VALU_DEP_2) | instskip(NEXT) | instid1(VALU_DEP_2)
	v_ashrrev_i32_e32 v22, 31, v11
	v_ashrrev_i32_e32 v23, 31, v15
	s_delay_alu instid0(VALU_DEP_2) | instskip(NEXT) | instid1(VALU_DEP_2)
	v_or_b32_e32 v34, 0x80000000, v22
	v_or_b32_e32 v35, 0x80000000, v23
	v_xor_b32_e32 v10, v22, v10
	v_xor_b32_e32 v14, v23, v14
	s_delay_alu instid0(VALU_DEP_4) | instskip(NEXT) | instid1(VALU_DEP_4)
	v_xor_b32_e32 v11, v34, v11
	v_xor_b32_e32 v15, v35, v15
	v_dual_mov_b32 v35, v19 :: v_dual_mov_b32 v34, v18
	s_delay_alu instid0(VALU_DEP_2) | instskip(SKIP_1) | instid1(VALU_DEP_2)
	v_cmp_gt_u64_e64 s7, v[10:11], v[14:15]
	v_dual_mov_b32 v10, v38 :: v_dual_mov_b32 v11, v39
	s_and_saveexec_b32 s9, s7
; %bb.69:
	v_dual_mov_b32 v35, v27 :: v_dual_mov_b32 v34, v26
	v_dual_mov_b32 v27, v19 :: v_dual_mov_b32 v26, v18
	;; [unrolled: 1-line block ×4, first 2 shown]
; %bb.70:
	s_or_b32 exec_lo, exec_lo, s9
	v_add_f64 v[14:15], v[4:5], 0
	v_add_f64 v[18:19], v[16:17], 0
	s_delay_alu instid0(VALU_DEP_2) | instskip(NEXT) | instid1(VALU_DEP_2)
	v_ashrrev_i32_e32 v22, 31, v15
	v_ashrrev_i32_e32 v23, 31, v19
	s_delay_alu instid0(VALU_DEP_2) | instskip(NEXT) | instid1(VALU_DEP_2)
	v_or_b32_e32 v36, 0x80000000, v22
	v_or_b32_e32 v37, 0x80000000, v23
	v_xor_b32_e32 v14, v22, v14
	v_xor_b32_e32 v18, v23, v18
	s_delay_alu instid0(VALU_DEP_4) | instskip(NEXT) | instid1(VALU_DEP_4)
	v_xor_b32_e32 v15, v36, v15
	v_xor_b32_e32 v19, v37, v19
	s_delay_alu instid0(VALU_DEP_1) | instskip(SKIP_2) | instid1(VALU_DEP_3)
	v_cmp_gt_u64_e64 s7, v[14:15], v[18:19]
	v_dual_mov_b32 v19, v5 :: v_dual_mov_b32 v18, v4
	v_dual_mov_b32 v14, v48 :: v_dual_mov_b32 v15, v49
	s_and_saveexec_b32 s9, s7
; %bb.71:
	v_dual_mov_b32 v19, v17 :: v_dual_mov_b32 v18, v16
	v_dual_mov_b32 v17, v5 :: v_dual_mov_b32 v16, v4
	;; [unrolled: 1-line block ×4, first 2 shown]
; %bb.72:
	s_or_b32 exec_lo, exec_lo, s9
	v_add_f64 v[4:5], v[32:33], 0
	v_add_f64 v[22:23], v[54:55], 0
	v_dual_mov_b32 v65, v21 :: v_dual_mov_b32 v64, v20
	s_mov_b32 s9, exec_lo
	s_delay_alu instid0(VALU_DEP_3) | instskip(NEXT) | instid1(VALU_DEP_3)
	v_ashrrev_i32_e32 v36, 31, v5
	v_ashrrev_i32_e32 v37, 31, v23
	s_delay_alu instid0(VALU_DEP_2) | instskip(NEXT) | instid1(VALU_DEP_2)
	v_or_b32_e32 v38, 0x80000000, v36
	v_or_b32_e32 v39, 0x80000000, v37
	v_xor_b32_e32 v4, v36, v4
	v_xor_b32_e32 v22, v37, v22
	s_delay_alu instid0(VALU_DEP_4) | instskip(NEXT) | instid1(VALU_DEP_4)
	v_xor_b32_e32 v5, v38, v5
	v_xor_b32_e32 v23, v39, v23
	v_dual_mov_b32 v38, v54 :: v_dual_mov_b32 v39, v55
	s_delay_alu instid0(VALU_DEP_2)
	v_cmpx_gt_u64_e64 v[4:5], v[22:23]
; %bb.73:
	v_dual_mov_b32 v65, v31 :: v_dual_mov_b32 v64, v30
	v_dual_mov_b32 v31, v21 :: v_dual_mov_b32 v30, v20
	;; [unrolled: 1-line block ×4, first 2 shown]
; %bb.74:
	s_or_b32 exec_lo, exec_lo, s9
	v_add_f64 v[4:5], v[28:29], 0
	v_add_f64 v[20:21], v[50:51], 0
	s_delay_alu instid0(VALU_DEP_2) | instskip(NEXT) | instid1(VALU_DEP_2)
	v_ashrrev_i32_e32 v22, 31, v5
	v_ashrrev_i32_e32 v23, 31, v21
	s_delay_alu instid0(VALU_DEP_2) | instskip(NEXT) | instid1(VALU_DEP_2)
	v_or_b32_e32 v36, 0x80000000, v22
	v_or_b32_e32 v37, 0x80000000, v23
	v_xor_b32_e32 v4, v22, v4
	v_xor_b32_e32 v20, v23, v20
	v_dual_mov_b32 v23, v9 :: v_dual_mov_b32 v22, v8
	v_xor_b32_e32 v5, v36, v5
	v_xor_b32_e32 v21, v37, v21
	s_delay_alu instid0(VALU_DEP_1) | instskip(SKIP_1) | instid1(VALU_DEP_2)
	v_cmp_gt_u64_e64 s7, v[4:5], v[20:21]
	v_dual_mov_b32 v20, v50 :: v_dual_mov_b32 v21, v51
	s_and_saveexec_b32 s9, s7
; %bb.75:
	v_dual_mov_b32 v23, v13 :: v_dual_mov_b32 v22, v12
	v_dual_mov_b32 v13, v9 :: v_dual_mov_b32 v12, v8
	;; [unrolled: 1-line block ×4, first 2 shown]
; %bb.76:
	s_or_b32 exec_lo, exec_lo, s9
	v_add_f64 v[4:5], v[16:17], 0
	v_add_f64 v[8:9], v[34:35], 0
	s_delay_alu instid0(VALU_DEP_2) | instskip(NEXT) | instid1(VALU_DEP_2)
	v_ashrrev_i32_e32 v36, 31, v5
	v_ashrrev_i32_e32 v37, 31, v9
	s_delay_alu instid0(VALU_DEP_2) | instskip(NEXT) | instid1(VALU_DEP_2)
	v_or_b32_e32 v48, 0x80000000, v36
	v_or_b32_e32 v49, 0x80000000, v37
	v_xor_b32_e32 v4, v36, v4
	v_xor_b32_e32 v8, v37, v8
	v_dual_mov_b32 v37, v17 :: v_dual_mov_b32 v36, v16
	v_xor_b32_e32 v5, v48, v5
	v_xor_b32_e32 v9, v49, v9
	s_delay_alu instid0(VALU_DEP_1) | instskip(SKIP_1) | instid1(VALU_DEP_2)
	v_cmp_gt_u64_e64 s7, v[4:5], v[8:9]
	v_dual_mov_b32 v4, v52 :: v_dual_mov_b32 v5, v53
	s_and_saveexec_b32 s9, s7
; %bb.77:
	v_dual_mov_b32 v37, v35 :: v_dual_mov_b32 v36, v34
	v_dual_mov_b32 v35, v17 :: v_dual_mov_b32 v34, v16
	;; [unrolled: 1-line block ×4, first 2 shown]
; %bb.78:
	s_or_b32 exec_lo, exec_lo, s9
	v_add_f64 v[8:9], v[38:39], 0
	v_add_f64 v[16:17], v[18:19], 0
	s_delay_alu instid0(VALU_DEP_2) | instskip(NEXT) | instid1(VALU_DEP_2)
	v_ashrrev_i32_e32 v48, 31, v9
	v_ashrrev_i32_e32 v49, 31, v17
	s_delay_alu instid0(VALU_DEP_2) | instskip(NEXT) | instid1(VALU_DEP_2)
	v_or_b32_e32 v50, 0x80000000, v48
	v_or_b32_e32 v51, 0x80000000, v49
	v_xor_b32_e32 v8, v48, v8
	v_xor_b32_e32 v16, v49, v16
	s_delay_alu instid0(VALU_DEP_4) | instskip(NEXT) | instid1(VALU_DEP_4)
	v_xor_b32_e32 v9, v50, v9
	v_xor_b32_e32 v17, v51, v17
	v_dual_mov_b32 v51, v19 :: v_dual_mov_b32 v50, v18
	s_delay_alu instid0(VALU_DEP_2) | instskip(SKIP_1) | instid1(VALU_DEP_2)
	v_cmp_gt_u64_e64 s7, v[8:9], v[16:17]
	v_dual_mov_b32 v8, v30 :: v_dual_mov_b32 v9, v31
	s_and_saveexec_b32 s9, s7
; %bb.79:
	v_dual_mov_b32 v51, v39 :: v_dual_mov_b32 v50, v38
	v_dual_mov_b32 v8, v14 :: v_dual_mov_b32 v9, v15
	;; [unrolled: 1-line block ×4, first 2 shown]
; %bb.80:
	s_or_b32 exec_lo, exec_lo, s9
	v_add_f64 v[16:17], v[20:21], 0
	v_add_f64 v[18:19], v[32:33], 0
	s_delay_alu instid0(VALU_DEP_2) | instskip(NEXT) | instid1(VALU_DEP_2)
	v_ashrrev_i32_e32 v30, 31, v17
	v_ashrrev_i32_e32 v31, 31, v19
	s_delay_alu instid0(VALU_DEP_2) | instskip(NEXT) | instid1(VALU_DEP_2)
	v_or_b32_e32 v48, 0x80000000, v30
	v_or_b32_e32 v49, 0x80000000, v31
	v_xor_b32_e32 v16, v30, v16
	v_xor_b32_e32 v18, v31, v18
	s_delay_alu instid0(VALU_DEP_4) | instskip(NEXT) | instid1(VALU_DEP_4)
	v_xor_b32_e32 v17, v48, v17
	v_xor_b32_e32 v19, v49, v19
	v_dual_mov_b32 v49, v21 :: v_dual_mov_b32 v48, v20
	s_delay_alu instid0(VALU_DEP_2) | instskip(SKIP_1) | instid1(VALU_DEP_2)
	v_cmp_gt_u64_e64 s7, v[16:17], v[18:19]
	v_dual_mov_b32 v18, v64 :: v_dual_mov_b32 v19, v65
	s_and_saveexec_b32 s9, s7
; %bb.81:
	v_dual_mov_b32 v49, v33 :: v_dual_mov_b32 v48, v32
	v_dual_mov_b32 v33, v21 :: v_dual_mov_b32 v32, v20
	;; [unrolled: 1-line block ×4, first 2 shown]
; %bb.82:
	s_or_b32 exec_lo, exec_lo, s9
.LBB1135_83:
	s_delay_alu instid0(SALU_CYCLE_1) | instskip(SKIP_3) | instid1(VALU_DEP_2)
	s_or_b32 exec_lo, exec_lo, s8
	v_and_b32_e32 v16, 0xffffff00, v66
	v_or_b32_e32 v17, 8, v80
	s_mov_b32 s8, exec_lo
	v_sub_nc_u32_e64 v84, 0x800, v16 clamp
	v_lshlrev_b32_e32 v81, 3, v16
	v_and_b32_e32 v16, 0xf0, v80
	s_delay_alu instid0(VALU_DEP_3) | instskip(SKIP_1) | instid1(VALU_DEP_4)
	v_min_u32_e32 v85, v84, v17
	v_and_b32_e32 v17, 8, v80
	v_lshl_or_b32 v82, v80, 3, v81
	ds_store_2addr_b64 v82, v[26:27], v[34:35] offset1:1
	ds_store_2addr_b64 v82, v[36:37], v[50:51] offset0:2 offset1:3
	v_add_nc_u32_e32 v20, 8, v85
	v_min_u32_e32 v17, v84, v17
	v_add_nc_u32_e32 v83, 0x4000, v82
	v_sub_nc_u32_e32 v30, v85, v16
	v_add_nc_u32_e32 v31, 0x4020, v82
	v_min_u32_e32 v86, v84, v20
	v_add_nc_u32_e32 v20, 0x4010, v82
	ds_store_2addr_b64 v83, v[0:1], v[10:11] offset1:1
	ds_store_2addr_b64 v20, v[4:5], v[14:15] offset1:1
	v_sub_nc_u32_e32 v21, v86, v85
	v_min_u32_e32 v30, v17, v30
	v_add_nc_u32_e32 v52, 0x4030, v82
	ds_store_2addr_b64 v82, v[38:39], v[32:33] offset0:4 offset1:5
	ds_store_2addr_b64 v82, v[48:49], v[28:29] offset0:6 offset1:7
	ds_store_2addr_b64 v31, v[8:9], v[18:19] offset1:1
	ds_store_2addr_b64 v52, v[12:13], v[22:23] offset1:1
	v_sub_nc_u32_e64 v20, v17, v21 clamp
	v_lshl_or_b32 v21, v16, 3, v81
	; wave barrier
	s_delay_alu instid0(VALU_DEP_2)
	v_cmpx_lt_u32_e64 v20, v30
	s_cbranch_execz .LBB1135_87
; %bb.84:
	v_lshlrev_b32_e32 v31, 3, v85
	v_lshlrev_b32_e32 v52, 3, v17
	s_mov_b32 s9, 0
	s_delay_alu instid0(VALU_DEP_1)
	v_add3_u32 v31, v81, v31, v52
	s_set_inst_prefetch_distance 0x1
	.p2align	6
.LBB1135_85:                            ; =>This Inner Loop Header: Depth=1
	v_add_nc_u32_e32 v52, v30, v20
	s_delay_alu instid0(VALU_DEP_1) | instskip(NEXT) | instid1(VALU_DEP_1)
	v_lshrrev_b32_e32 v64, 1, v52
	v_not_b32_e32 v52, v64
	v_lshl_add_u32 v53, v64, 3, v21
	s_delay_alu instid0(VALU_DEP_2)
	v_lshl_add_u32 v54, v52, 3, v31
	ds_load_b64 v[52:53], v53
	ds_load_b64 v[54:55], v54
	s_waitcnt lgkmcnt(1)
	v_add_f64 v[52:53], v[52:53], 0
	s_waitcnt lgkmcnt(0)
	v_add_f64 v[54:55], v[54:55], 0
	s_delay_alu instid0(VALU_DEP_2) | instskip(NEXT) | instid1(VALU_DEP_2)
	v_ashrrev_i32_e32 v65, 31, v53
	v_ashrrev_i32_e32 v66, 31, v55
	s_delay_alu instid0(VALU_DEP_2) | instskip(NEXT) | instid1(VALU_DEP_2)
	v_or_b32_e32 v67, 0x80000000, v65
	v_or_b32_e32 v68, 0x80000000, v66
	v_xor_b32_e32 v52, v65, v52
	v_xor_b32_e32 v54, v66, v54
	s_delay_alu instid0(VALU_DEP_4) | instskip(NEXT) | instid1(VALU_DEP_4)
	v_xor_b32_e32 v53, v67, v53
	v_xor_b32_e32 v55, v68, v55
	s_delay_alu instid0(VALU_DEP_1) | instskip(SKIP_1) | instid1(VALU_DEP_2)
	v_cmp_gt_u64_e64 s7, v[54:55], v[52:53]
	v_add_nc_u32_e32 v52, 1, v64
	v_cndmask_b32_e64 v30, v30, v64, s7
	s_delay_alu instid0(VALU_DEP_2) | instskip(NEXT) | instid1(VALU_DEP_1)
	v_cndmask_b32_e64 v20, v52, v20, s7
	v_cmp_ge_u32_e64 s7, v20, v30
	s_delay_alu instid0(VALU_DEP_1) | instskip(NEXT) | instid1(SALU_CYCLE_1)
	s_or_b32 s9, s7, s9
	s_and_not1_b32 exec_lo, exec_lo, s9
	s_cbranch_execnz .LBB1135_85
; %bb.86:
	s_set_inst_prefetch_distance 0x2
	s_or_b32 exec_lo, exec_lo, s9
.LBB1135_87:
	s_delay_alu instid0(SALU_CYCLE_1) | instskip(SKIP_2) | instid1(VALU_DEP_2)
	s_or_b32 exec_lo, exec_lo, s8
	v_add_nc_u32_e32 v17, v85, v17
	v_add_nc_u32_e32 v30, v20, v16
	v_sub_nc_u32_e32 v31, v17, v20
	s_delay_alu instid0(VALU_DEP_2) | instskip(NEXT) | instid1(VALU_DEP_2)
	v_cmp_le_u32_e64 s7, v30, v85
	v_cmp_le_u32_e64 s8, v31, v86
	s_delay_alu instid0(VALU_DEP_1) | instskip(NEXT) | instid1(SALU_CYCLE_1)
	s_or_b32 s7, s7, s8
	s_and_saveexec_b32 s9, s7
	s_cbranch_execz .LBB1135_123
; %bb.88:
	v_cmp_ge_u32_e64 s7, v30, v85
	s_mov_b32 s10, exec_lo
                                        ; implicit-def: $vgpr16_vgpr17
	v_cmpx_lt_u32_e64 v30, v85
	s_cbranch_execz .LBB1135_90
; %bb.89:
	v_lshl_add_u32 v0, v20, 3, v21
	ds_load_b64 v[16:17], v0
.LBB1135_90:
	s_or_b32 exec_lo, exec_lo, s10
	v_cmp_ge_u32_e64 s10, v31, v86
	s_mov_b32 s11, exec_lo
                                        ; implicit-def: $vgpr20_vgpr21
	v_cmpx_lt_u32_e64 v31, v86
	s_cbranch_execz .LBB1135_92
; %bb.91:
	v_lshl_add_u32 v0, v31, 3, v81
	ds_load_b64 v[20:21], v0
.LBB1135_92:
	s_or_b32 exec_lo, exec_lo, s11
	s_or_b32 s7, s7, s10
	s_mov_b32 s8, -1
	s_xor_b32 s7, s7, -1
	s_delay_alu instid0(SALU_CYCLE_1)
	s_and_saveexec_b32 s11, s7
	s_cbranch_execz .LBB1135_94
; %bb.93:
	s_waitcnt lgkmcnt(0)
	v_add_f64 v[0:1], v[20:21], 0
	v_add_f64 v[4:5], v[16:17], 0
	s_and_not1_b32 s10, s10, exec_lo
	s_delay_alu instid0(VALU_DEP_2) | instskip(NEXT) | instid1(VALU_DEP_2)
	v_ashrrev_i32_e32 v8, 31, v1
	v_ashrrev_i32_e32 v9, 31, v5
	s_delay_alu instid0(VALU_DEP_2) | instskip(NEXT) | instid1(VALU_DEP_2)
	v_or_b32_e32 v10, 0x80000000, v8
	v_or_b32_e32 v11, 0x80000000, v9
	v_xor_b32_e32 v0, v8, v0
	v_xor_b32_e32 v4, v9, v4
	s_delay_alu instid0(VALU_DEP_4) | instskip(NEXT) | instid1(VALU_DEP_4)
	v_xor_b32_e32 v1, v10, v1
	v_xor_b32_e32 v5, v11, v5
	s_delay_alu instid0(VALU_DEP_1) | instskip(NEXT) | instid1(VALU_DEP_1)
	v_cmp_le_u64_e64 s7, v[0:1], v[4:5]
	s_and_b32 s7, s7, exec_lo
	s_delay_alu instid0(SALU_CYCLE_1)
	s_or_b32 s10, s10, s7
.LBB1135_94:
	s_or_b32 exec_lo, exec_lo, s11
	v_cndmask_b32_e64 v0, v31, v30, s10
	v_cndmask_b32_e64 v1, v86, v85, s10
	s_mov_b32 s11, exec_lo
	s_delay_alu instid0(VALU_DEP_2) | instskip(NEXT) | instid1(VALU_DEP_2)
	v_add_nc_u32_e32 v5, 1, v0
	v_add_nc_u32_e32 v1, -1, v1
	v_lshl_add_u32 v0, v0, 3, v81
	s_delay_alu instid0(VALU_DEP_3) | instskip(NEXT) | instid1(VALU_DEP_3)
	v_cndmask_b32_e64 v4, v5, v31, s10
	v_min_u32_e32 v1, v5, v1
	v_cndmask_b32_e64 v5, v30, v5, s10
	s_delay_alu instid0(VALU_DEP_2)
	v_lshl_add_u32 v1, v1, 3, v81
	ds_load_b64 v[8:9], v1
	ds_load_b64 v[0:1], v0 offset:16384
	s_waitcnt lgkmcnt(1)
	v_cndmask_b32_e64 v27, v9, v21, s10
	v_cndmask_b32_e64 v26, v8, v20, s10
	;; [unrolled: 1-line block ×4, first 2 shown]
	v_cmpx_lt_u32_e64 v4, v86
	s_cbranch_execz .LBB1135_98
; %bb.95:
	s_mov_b32 s12, 0
	s_mov_b32 s8, exec_lo
	v_cmpx_lt_u32_e64 v5, v85
	s_cbranch_execz .LBB1135_97
; %bb.96:
	v_add_f64 v[8:9], v[26:27], 0
	v_add_f64 v[10:11], v[28:29], 0
	s_delay_alu instid0(VALU_DEP_2) | instskip(NEXT) | instid1(VALU_DEP_2)
	v_ashrrev_i32_e32 v12, 31, v9
	v_ashrrev_i32_e32 v13, 31, v11
	s_delay_alu instid0(VALU_DEP_2) | instskip(NEXT) | instid1(VALU_DEP_2)
	v_or_b32_e32 v14, 0x80000000, v12
	v_or_b32_e32 v15, 0x80000000, v13
	v_xor_b32_e32 v8, v12, v8
	v_xor_b32_e32 v10, v13, v10
	s_delay_alu instid0(VALU_DEP_4) | instskip(NEXT) | instid1(VALU_DEP_4)
	v_xor_b32_e32 v9, v14, v9
	v_xor_b32_e32 v11, v15, v11
	s_delay_alu instid0(VALU_DEP_1) | instskip(NEXT) | instid1(VALU_DEP_1)
	v_cmp_le_u64_e64 s7, v[8:9], v[10:11]
	s_and_b32 s12, s7, exec_lo
.LBB1135_97:
	s_or_b32 exec_lo, exec_lo, s8
	s_delay_alu instid0(SALU_CYCLE_1)
	s_or_not1_b32 s8, s12, exec_lo
.LBB1135_98:
	s_or_b32 exec_lo, exec_lo, s11
	v_cndmask_b32_e64 v8, v4, v5, s8
	v_cndmask_b32_e64 v9, v86, v85, s8
	s_mov_b32 s12, -1
	s_mov_b32 s11, -1
	s_mov_b32 s13, exec_lo
	v_add_nc_u32_e32 v14, 1, v8
	v_add_nc_u32_e32 v9, -1, v9
	v_lshl_add_u32 v8, v8, 3, v81
	s_delay_alu instid0(VALU_DEP_2)
	v_min_u32_e32 v9, v14, v9
	ds_load_b64 v[10:11], v8 offset:16384
	v_cndmask_b32_e64 v8, v14, v4, s8
	v_lshl_add_u32 v9, v9, 3, v81
	ds_load_b64 v[12:13], v9
	v_cndmask_b32_e64 v9, v5, v14, s8
	s_waitcnt lgkmcnt(0)
	v_cndmask_b32_e64 v31, v13, v27, s8
	v_cndmask_b32_e64 v30, v12, v26, s8
	;; [unrolled: 1-line block ×4, first 2 shown]
	v_cmpx_lt_u32_e64 v8, v86
	s_cbranch_execz .LBB1135_102
; %bb.99:
	s_mov_b32 s14, 0
	s_mov_b32 s11, exec_lo
	v_cmpx_lt_u32_e64 v9, v85
	s_cbranch_execz .LBB1135_101
; %bb.100:
	v_add_f64 v[4:5], v[30:31], 0
	v_add_f64 v[12:13], v[34:35], 0
	s_delay_alu instid0(VALU_DEP_2) | instskip(NEXT) | instid1(VALU_DEP_2)
	v_ashrrev_i32_e32 v14, 31, v5
	v_ashrrev_i32_e32 v15, 31, v13
	s_delay_alu instid0(VALU_DEP_2) | instskip(NEXT) | instid1(VALU_DEP_2)
	v_or_b32_e32 v18, 0x80000000, v14
	v_or_b32_e32 v19, 0x80000000, v15
	v_xor_b32_e32 v4, v14, v4
	v_xor_b32_e32 v12, v15, v12
	s_delay_alu instid0(VALU_DEP_4) | instskip(NEXT) | instid1(VALU_DEP_4)
	v_xor_b32_e32 v5, v18, v5
	v_xor_b32_e32 v13, v19, v13
	s_delay_alu instid0(VALU_DEP_1) | instskip(NEXT) | instid1(VALU_DEP_1)
	v_cmp_le_u64_e64 s7, v[4:5], v[12:13]
	s_and_b32 s14, s7, exec_lo
.LBB1135_101:
	s_or_b32 exec_lo, exec_lo, s11
	s_delay_alu instid0(SALU_CYCLE_1)
	s_or_not1_b32 s11, s14, exec_lo
.LBB1135_102:
	s_or_b32 exec_lo, exec_lo, s13
	v_cndmask_b32_e64 v4, v8, v9, s11
	v_cndmask_b32_e64 v5, v86, v85, s11
	s_mov_b32 s13, exec_lo
	s_delay_alu instid0(VALU_DEP_2) | instskip(NEXT) | instid1(VALU_DEP_2)
	v_add_nc_u32_e32 v14, 1, v4
	v_add_nc_u32_e32 v5, -1, v5
	v_lshl_add_u32 v4, v4, 3, v81
	s_delay_alu instid0(VALU_DEP_3) | instskip(NEXT) | instid1(VALU_DEP_3)
	v_cndmask_b32_e64 v8, v14, v8, s11
	v_min_u32_e32 v5, v14, v5
	v_cndmask_b32_e64 v9, v9, v14, s11
	s_delay_alu instid0(VALU_DEP_2)
	v_lshl_add_u32 v5, v5, 3, v81
	ds_load_b64 v[12:13], v5
	ds_load_b64 v[4:5], v4 offset:16384
	s_waitcnt lgkmcnt(1)
	v_cndmask_b32_e64 v37, v13, v31, s11
	v_cndmask_b32_e64 v36, v12, v30, s11
	;; [unrolled: 1-line block ×4, first 2 shown]
	v_cmpx_lt_u32_e64 v8, v86
	s_cbranch_execz .LBB1135_106
; %bb.103:
	s_mov_b32 s14, 0
	s_mov_b32 s12, exec_lo
	v_cmpx_lt_u32_e64 v9, v85
	s_cbranch_execz .LBB1135_105
; %bb.104:
	v_add_f64 v[12:13], v[36:37], 0
	v_add_f64 v[14:15], v[50:51], 0
	s_delay_alu instid0(VALU_DEP_2) | instskip(NEXT) | instid1(VALU_DEP_2)
	v_ashrrev_i32_e32 v18, 31, v13
	v_ashrrev_i32_e32 v19, 31, v15
	s_delay_alu instid0(VALU_DEP_2) | instskip(NEXT) | instid1(VALU_DEP_2)
	v_or_b32_e32 v22, 0x80000000, v18
	v_or_b32_e32 v23, 0x80000000, v19
	v_xor_b32_e32 v12, v18, v12
	v_xor_b32_e32 v14, v19, v14
	s_delay_alu instid0(VALU_DEP_4) | instskip(NEXT) | instid1(VALU_DEP_4)
	v_xor_b32_e32 v13, v22, v13
	v_xor_b32_e32 v15, v23, v15
	s_delay_alu instid0(VALU_DEP_1) | instskip(NEXT) | instid1(VALU_DEP_1)
	v_cmp_le_u64_e64 s7, v[12:13], v[14:15]
	s_and_b32 s14, s7, exec_lo
.LBB1135_105:
	s_or_b32 exec_lo, exec_lo, s12
	s_delay_alu instid0(SALU_CYCLE_1)
	s_or_not1_b32 s12, s14, exec_lo
.LBB1135_106:
	s_or_b32 exec_lo, exec_lo, s13
	v_cndmask_b32_e64 v12, v8, v9, s12
	v_cndmask_b32_e64 v13, v86, v85, s12
	s_mov_b32 s14, -1
	s_mov_b32 s13, -1
	s_mov_b32 s15, exec_lo
	v_add_nc_u32_e32 v22, 1, v12
	v_add_nc_u32_e32 v13, -1, v13
	v_lshl_add_u32 v12, v12, 3, v81
	s_delay_alu instid0(VALU_DEP_2)
	v_min_u32_e32 v13, v22, v13
	ds_load_b64 v[14:15], v12 offset:16384
	v_cndmask_b32_e64 v12, v22, v8, s12
	v_lshl_add_u32 v13, v13, 3, v81
	ds_load_b64 v[18:19], v13
	v_cndmask_b32_e64 v13, v9, v22, s12
	s_waitcnt lgkmcnt(0)
	v_cndmask_b32_e64 v39, v19, v37, s12
	v_cndmask_b32_e64 v38, v18, v36, s12
	;; [unrolled: 1-line block ×4, first 2 shown]
	v_cmpx_lt_u32_e64 v12, v86
	s_cbranch_execz .LBB1135_110
; %bb.107:
	s_mov_b32 s16, 0
	s_mov_b32 s13, exec_lo
	v_cmpx_lt_u32_e64 v13, v85
	s_cbranch_execz .LBB1135_109
; %bb.108:
	v_add_f64 v[8:9], v[38:39], 0
	v_add_f64 v[18:19], v[52:53], 0
	s_delay_alu instid0(VALU_DEP_2) | instskip(NEXT) | instid1(VALU_DEP_2)
	v_ashrrev_i32_e32 v22, 31, v9
	v_ashrrev_i32_e32 v23, 31, v19
	s_delay_alu instid0(VALU_DEP_2) | instskip(NEXT) | instid1(VALU_DEP_2)
	v_or_b32_e32 v32, 0x80000000, v22
	v_or_b32_e32 v33, 0x80000000, v23
	v_xor_b32_e32 v8, v22, v8
	v_xor_b32_e32 v18, v23, v18
	s_delay_alu instid0(VALU_DEP_4) | instskip(NEXT) | instid1(VALU_DEP_4)
	v_xor_b32_e32 v9, v32, v9
	v_xor_b32_e32 v19, v33, v19
	s_delay_alu instid0(VALU_DEP_1) | instskip(NEXT) | instid1(VALU_DEP_1)
	v_cmp_le_u64_e64 s7, v[8:9], v[18:19]
	s_and_b32 s16, s7, exec_lo
.LBB1135_109:
	s_or_b32 exec_lo, exec_lo, s13
	s_delay_alu instid0(SALU_CYCLE_1)
	s_or_not1_b32 s13, s16, exec_lo
.LBB1135_110:
	s_or_b32 exec_lo, exec_lo, s15
	v_cndmask_b32_e64 v8, v12, v13, s13
	v_cndmask_b32_e64 v9, v86, v85, s13
	s_mov_b32 s15, exec_lo
	s_delay_alu instid0(VALU_DEP_2) | instskip(NEXT) | instid1(VALU_DEP_2)
	v_add_nc_u32_e32 v22, 1, v8
	v_add_nc_u32_e32 v9, -1, v9
	v_lshl_add_u32 v8, v8, 3, v81
	s_delay_alu instid0(VALU_DEP_3) | instskip(NEXT) | instid1(VALU_DEP_3)
	v_cndmask_b32_e64 v12, v22, v12, s13
	v_min_u32_e32 v9, v22, v9
	v_cndmask_b32_e64 v13, v13, v22, s13
	s_delay_alu instid0(VALU_DEP_2)
	v_lshl_add_u32 v9, v9, 3, v81
	ds_load_b64 v[18:19], v9
	ds_load_b64 v[8:9], v8 offset:16384
	s_waitcnt lgkmcnt(1)
	v_cndmask_b32_e64 v33, v19, v39, s13
	v_cndmask_b32_e64 v32, v18, v38, s13
	;; [unrolled: 1-line block ×4, first 2 shown]
	v_cmpx_lt_u32_e64 v12, v86
	s_cbranch_execz .LBB1135_114
; %bb.111:
	s_mov_b32 s16, 0
	s_mov_b32 s14, exec_lo
	v_cmpx_lt_u32_e64 v13, v85
	s_cbranch_execz .LBB1135_113
; %bb.112:
	v_add_f64 v[18:19], v[32:33], 0
	v_add_f64 v[22:23], v[54:55], 0
	s_delay_alu instid0(VALU_DEP_2) | instskip(NEXT) | instid1(VALU_DEP_2)
	v_ashrrev_i32_e32 v48, 31, v19
	v_ashrrev_i32_e32 v49, 31, v23
	s_delay_alu instid0(VALU_DEP_2) | instskip(NEXT) | instid1(VALU_DEP_2)
	v_or_b32_e32 v64, 0x80000000, v48
	v_or_b32_e32 v65, 0x80000000, v49
	v_xor_b32_e32 v18, v48, v18
	v_xor_b32_e32 v22, v49, v22
	s_delay_alu instid0(VALU_DEP_4) | instskip(NEXT) | instid1(VALU_DEP_4)
	v_xor_b32_e32 v19, v64, v19
	v_xor_b32_e32 v23, v65, v23
	s_delay_alu instid0(VALU_DEP_1) | instskip(NEXT) | instid1(VALU_DEP_1)
	v_cmp_le_u64_e64 s7, v[18:19], v[22:23]
	s_and_b32 s16, s7, exec_lo
.LBB1135_113:
	s_or_b32 exec_lo, exec_lo, s14
	s_delay_alu instid0(SALU_CYCLE_1)
	s_or_not1_b32 s14, s16, exec_lo
.LBB1135_114:
	s_or_b32 exec_lo, exec_lo, s15
	v_cndmask_b32_e64 v18, v12, v13, s14
	v_cndmask_b32_e64 v19, v86, v85, s14
	s_mov_b32 s15, -1
	s_mov_b32 s16, -1
	s_mov_b32 s17, exec_lo
	v_add_nc_u32_e32 v23, 1, v18
	v_add_nc_u32_e32 v19, -1, v19
	v_lshl_add_u32 v18, v18, 3, v81
	s_delay_alu instid0(VALU_DEP_3) | instskip(NEXT) | instid1(VALU_DEP_3)
	v_cndmask_b32_e64 v22, v23, v12, s14
	v_min_u32_e32 v19, v23, v19
	v_cndmask_b32_e64 v23, v13, v23, s14
	s_delay_alu instid0(VALU_DEP_2)
	v_lshl_add_u32 v19, v19, 3, v81
	ds_load_b64 v[64:65], v19
	ds_load_b64 v[18:19], v18 offset:16384
	s_waitcnt lgkmcnt(1)
	v_cndmask_b32_e64 v49, v65, v33, s14
	v_cndmask_b32_e64 v48, v64, v32, s14
	;; [unrolled: 1-line block ×4, first 2 shown]
	v_cmpx_lt_u32_e64 v22, v86
	s_cbranch_execz .LBB1135_118
; %bb.115:
	s_mov_b32 s18, 0
	s_mov_b32 s16, exec_lo
	v_cmpx_lt_u32_e64 v23, v85
	s_cbranch_execz .LBB1135_117
; %bb.116:
	v_add_f64 v[12:13], v[48:49], 0
	v_add_f64 v[66:67], v[64:65], 0
	s_delay_alu instid0(VALU_DEP_2) | instskip(NEXT) | instid1(VALU_DEP_2)
	v_ashrrev_i32_e32 v68, 31, v13
	v_ashrrev_i32_e32 v69, 31, v67
	s_delay_alu instid0(VALU_DEP_2) | instskip(NEXT) | instid1(VALU_DEP_2)
	v_or_b32_e32 v87, 0x80000000, v68
	v_or_b32_e32 v96, 0x80000000, v69
	v_xor_b32_e32 v12, v68, v12
	v_xor_b32_e32 v66, v69, v66
	s_delay_alu instid0(VALU_DEP_4) | instskip(NEXT) | instid1(VALU_DEP_4)
	v_xor_b32_e32 v13, v87, v13
	v_xor_b32_e32 v67, v96, v67
	s_delay_alu instid0(VALU_DEP_1) | instskip(NEXT) | instid1(VALU_DEP_1)
	v_cmp_le_u64_e64 s7, v[12:13], v[66:67]
	s_and_b32 s18, s7, exec_lo
.LBB1135_117:
	s_or_b32 exec_lo, exec_lo, s16
	s_delay_alu instid0(SALU_CYCLE_1)
	s_or_not1_b32 s16, s18, exec_lo
.LBB1135_118:
	s_or_b32 exec_lo, exec_lo, s17
	v_cndmask_b32_e64 v12, v22, v23, s16
	v_cndmask_b32_e64 v13, v86, v85, s16
	s_mov_b32 s17, exec_lo
	s_delay_alu instid0(VALU_DEP_2) | instskip(NEXT) | instid1(VALU_DEP_2)
	v_add_nc_u32_e32 v66, 1, v12
	v_add_nc_u32_e32 v13, -1, v13
	v_lshl_add_u32 v12, v12, 3, v81
	s_delay_alu instid0(VALU_DEP_3) | instskip(NEXT) | instid1(VALU_DEP_3)
	v_cndmask_b32_e64 v22, v66, v22, s16
	v_min_u32_e32 v13, v66, v13
	v_cndmask_b32_e64 v23, v23, v66, s16
	s_delay_alu instid0(VALU_DEP_2)
	v_lshl_add_u32 v13, v13, 3, v81
	ds_load_b64 v[68:69], v13
	ds_load_b64 v[12:13], v12 offset:16384
	s_waitcnt lgkmcnt(1)
	v_cndmask_b32_e64 v67, v69, v49, s16
	v_cndmask_b32_e64 v66, v68, v48, s16
	v_cndmask_b32_e64 v69, v65, v69, s16
	v_cndmask_b32_e64 v68, v64, v68, s16
	v_cmpx_lt_u32_e64 v22, v86
	s_cbranch_execz .LBB1135_122
; %bb.119:
	s_mov_b32 s18, 0
	s_mov_b32 s15, exec_lo
	v_cmpx_lt_u32_e64 v23, v85
	s_cbranch_execz .LBB1135_121
; %bb.120:
	v_add_f64 v[85:86], v[66:67], 0
	v_add_f64 v[96:97], v[68:69], 0
	s_delay_alu instid0(VALU_DEP_2) | instskip(NEXT) | instid1(VALU_DEP_2)
	v_ashrrev_i32_e32 v87, 31, v86
	v_ashrrev_i32_e32 v98, 31, v97
	s_delay_alu instid0(VALU_DEP_2) | instskip(NEXT) | instid1(VALU_DEP_2)
	v_or_b32_e32 v99, 0x80000000, v87
	v_or_b32_e32 v100, 0x80000000, v98
	v_xor_b32_e32 v85, v87, v85
	v_xor_b32_e32 v96, v98, v96
	s_delay_alu instid0(VALU_DEP_4) | instskip(NEXT) | instid1(VALU_DEP_4)
	v_xor_b32_e32 v86, v99, v86
	v_xor_b32_e32 v97, v100, v97
	s_delay_alu instid0(VALU_DEP_1) | instskip(NEXT) | instid1(VALU_DEP_1)
	v_cmp_le_u64_e64 s7, v[85:86], v[96:97]
	s_and_b32 s18, s7, exec_lo
.LBB1135_121:
	s_or_b32 exec_lo, exec_lo, s15
	s_delay_alu instid0(SALU_CYCLE_1)
	s_or_not1_b32 s15, s18, exec_lo
.LBB1135_122:
	s_or_b32 exec_lo, exec_lo, s17
	v_cndmask_b32_e64 v22, v22, v23, s15
	v_cndmask_b32_e64 v49, v49, v65, s16
	;; [unrolled: 1-line block ×5, first 2 shown]
	v_lshl_add_u32 v22, v22, 3, v81
	v_cndmask_b32_e64 v39, v39, v53, s13
	v_cndmask_b32_e64 v38, v38, v52, s13
	;; [unrolled: 1-line block ×4, first 2 shown]
	ds_load_b64 v[22:23], v22 offset:16384
	v_cndmask_b32_e64 v37, v31, v35, s11
	v_cndmask_b32_e64 v36, v30, v34, s11
	;; [unrolled: 1-line block ×8, first 2 shown]
.LBB1135_123:
	s_or_b32 exec_lo, exec_lo, s9
	v_and_b32_e32 v16, 0xe0, v80
	v_and_b32_e32 v20, 24, v80
	s_mov_b32 s8, exec_lo
	; wave barrier
	s_delay_alu instid0(VALU_DEP_2)
	v_or_b32_e32 v17, 16, v16
	ds_store_2addr_b64 v82, v[26:27], v[34:35] offset1:1
	ds_store_2addr_b64 v82, v[36:37], v[50:51] offset0:2 offset1:3
	ds_store_2addr_b64 v83, v[0:1], v[10:11] offset1:1
	ds_store_2addr_b64 v83, v[4:5], v[14:15] offset0:2 offset1:3
	ds_store_2addr_b64 v82, v[38:39], v[32:33] offset0:4 offset1:5
	;; [unrolled: 1-line block ×4, first 2 shown]
	s_waitcnt lgkmcnt(7)
	ds_store_2addr_b64 v83, v[12:13], v[22:23] offset0:6 offset1:7
	v_min_u32_e32 v85, v84, v17
	; wave barrier
	s_delay_alu instid0(VALU_DEP_1) | instskip(NEXT) | instid1(VALU_DEP_1)
	v_add_nc_u32_e32 v17, 16, v85
	v_min_u32_e32 v86, v84, v17
	v_min_u32_e32 v17, v84, v20
	v_sub_nc_u32_e32 v20, v85, v16
	s_delay_alu instid0(VALU_DEP_3) | instskip(NEXT) | instid1(VALU_DEP_2)
	v_sub_nc_u32_e32 v21, v86, v85
	v_min_u32_e32 v30, v17, v20
	s_delay_alu instid0(VALU_DEP_2) | instskip(SKIP_1) | instid1(VALU_DEP_2)
	v_sub_nc_u32_e64 v20, v17, v21 clamp
	v_lshl_add_u32 v21, v16, 3, v81
	v_cmpx_lt_u32_e64 v20, v30
	s_cbranch_execz .LBB1135_127
; %bb.124:
	v_lshlrev_b32_e32 v31, 3, v85
	v_lshlrev_b32_e32 v52, 3, v17
	s_mov_b32 s9, 0
	s_delay_alu instid0(VALU_DEP_1)
	v_add3_u32 v31, v81, v31, v52
	s_set_inst_prefetch_distance 0x1
	.p2align	6
.LBB1135_125:                           ; =>This Inner Loop Header: Depth=1
	v_add_nc_u32_e32 v52, v30, v20
	s_delay_alu instid0(VALU_DEP_1) | instskip(NEXT) | instid1(VALU_DEP_1)
	v_lshrrev_b32_e32 v64, 1, v52
	v_not_b32_e32 v52, v64
	v_lshl_add_u32 v53, v64, 3, v21
	s_delay_alu instid0(VALU_DEP_2)
	v_lshl_add_u32 v54, v52, 3, v31
	ds_load_b64 v[52:53], v53
	ds_load_b64 v[54:55], v54
	s_waitcnt lgkmcnt(1)
	v_add_f64 v[52:53], v[52:53], 0
	s_waitcnt lgkmcnt(0)
	v_add_f64 v[54:55], v[54:55], 0
	s_delay_alu instid0(VALU_DEP_2) | instskip(NEXT) | instid1(VALU_DEP_2)
	v_ashrrev_i32_e32 v65, 31, v53
	v_ashrrev_i32_e32 v66, 31, v55
	s_delay_alu instid0(VALU_DEP_2) | instskip(NEXT) | instid1(VALU_DEP_2)
	v_or_b32_e32 v67, 0x80000000, v65
	v_or_b32_e32 v68, 0x80000000, v66
	v_xor_b32_e32 v52, v65, v52
	v_xor_b32_e32 v54, v66, v54
	s_delay_alu instid0(VALU_DEP_4) | instskip(NEXT) | instid1(VALU_DEP_4)
	v_xor_b32_e32 v53, v67, v53
	v_xor_b32_e32 v55, v68, v55
	s_delay_alu instid0(VALU_DEP_1) | instskip(SKIP_1) | instid1(VALU_DEP_2)
	v_cmp_gt_u64_e64 s7, v[54:55], v[52:53]
	v_add_nc_u32_e32 v52, 1, v64
	v_cndmask_b32_e64 v30, v30, v64, s7
	s_delay_alu instid0(VALU_DEP_2) | instskip(NEXT) | instid1(VALU_DEP_1)
	v_cndmask_b32_e64 v20, v52, v20, s7
	v_cmp_ge_u32_e64 s7, v20, v30
	s_delay_alu instid0(VALU_DEP_1) | instskip(NEXT) | instid1(SALU_CYCLE_1)
	s_or_b32 s9, s7, s9
	s_and_not1_b32 exec_lo, exec_lo, s9
	s_cbranch_execnz .LBB1135_125
; %bb.126:
	s_set_inst_prefetch_distance 0x2
	s_or_b32 exec_lo, exec_lo, s9
.LBB1135_127:
	s_delay_alu instid0(SALU_CYCLE_1) | instskip(SKIP_2) | instid1(VALU_DEP_2)
	s_or_b32 exec_lo, exec_lo, s8
	v_add_nc_u32_e32 v17, v85, v17
	v_add_nc_u32_e32 v30, v20, v16
	v_sub_nc_u32_e32 v31, v17, v20
	s_delay_alu instid0(VALU_DEP_2) | instskip(NEXT) | instid1(VALU_DEP_2)
	v_cmp_le_u32_e64 s7, v30, v85
	v_cmp_le_u32_e64 s8, v31, v86
	s_delay_alu instid0(VALU_DEP_1) | instskip(NEXT) | instid1(SALU_CYCLE_1)
	s_or_b32 s7, s7, s8
	s_and_saveexec_b32 s9, s7
	s_cbranch_execz .LBB1135_163
; %bb.128:
	v_cmp_ge_u32_e64 s7, v30, v85
	s_mov_b32 s10, exec_lo
                                        ; implicit-def: $vgpr16_vgpr17
	v_cmpx_lt_u32_e64 v30, v85
	s_cbranch_execz .LBB1135_130
; %bb.129:
	v_lshl_add_u32 v0, v20, 3, v21
	ds_load_b64 v[16:17], v0
.LBB1135_130:
	s_or_b32 exec_lo, exec_lo, s10
	v_cmp_ge_u32_e64 s10, v31, v86
	s_mov_b32 s11, exec_lo
                                        ; implicit-def: $vgpr20_vgpr21
	v_cmpx_lt_u32_e64 v31, v86
	s_cbranch_execz .LBB1135_132
; %bb.131:
	v_lshl_add_u32 v0, v31, 3, v81
	ds_load_b64 v[20:21], v0
.LBB1135_132:
	s_or_b32 exec_lo, exec_lo, s11
	s_or_b32 s7, s7, s10
	s_mov_b32 s8, -1
	s_xor_b32 s7, s7, -1
	s_delay_alu instid0(SALU_CYCLE_1)
	s_and_saveexec_b32 s11, s7
	s_cbranch_execz .LBB1135_134
; %bb.133:
	s_waitcnt lgkmcnt(0)
	v_add_f64 v[0:1], v[20:21], 0
	v_add_f64 v[4:5], v[16:17], 0
	s_and_not1_b32 s10, s10, exec_lo
	s_delay_alu instid0(VALU_DEP_2) | instskip(NEXT) | instid1(VALU_DEP_2)
	v_ashrrev_i32_e32 v8, 31, v1
	v_ashrrev_i32_e32 v9, 31, v5
	s_delay_alu instid0(VALU_DEP_2) | instskip(NEXT) | instid1(VALU_DEP_2)
	v_or_b32_e32 v10, 0x80000000, v8
	v_or_b32_e32 v11, 0x80000000, v9
	v_xor_b32_e32 v0, v8, v0
	v_xor_b32_e32 v4, v9, v4
	s_delay_alu instid0(VALU_DEP_4) | instskip(NEXT) | instid1(VALU_DEP_4)
	v_xor_b32_e32 v1, v10, v1
	v_xor_b32_e32 v5, v11, v5
	s_delay_alu instid0(VALU_DEP_1) | instskip(NEXT) | instid1(VALU_DEP_1)
	v_cmp_le_u64_e64 s7, v[0:1], v[4:5]
	s_and_b32 s7, s7, exec_lo
	s_delay_alu instid0(SALU_CYCLE_1)
	s_or_b32 s10, s10, s7
.LBB1135_134:
	s_or_b32 exec_lo, exec_lo, s11
	v_cndmask_b32_e64 v0, v31, v30, s10
	v_cndmask_b32_e64 v1, v86, v85, s10
	s_mov_b32 s11, exec_lo
	s_delay_alu instid0(VALU_DEP_2) | instskip(NEXT) | instid1(VALU_DEP_2)
	v_add_nc_u32_e32 v5, 1, v0
	v_add_nc_u32_e32 v1, -1, v1
	v_lshl_add_u32 v0, v0, 3, v81
	s_delay_alu instid0(VALU_DEP_3) | instskip(NEXT) | instid1(VALU_DEP_3)
	v_cndmask_b32_e64 v4, v5, v31, s10
	v_min_u32_e32 v1, v5, v1
	v_cndmask_b32_e64 v5, v30, v5, s10
	s_delay_alu instid0(VALU_DEP_2)
	v_lshl_add_u32 v1, v1, 3, v81
	ds_load_b64 v[8:9], v1
	ds_load_b64 v[0:1], v0 offset:16384
	s_waitcnt lgkmcnt(1)
	v_cndmask_b32_e64 v27, v9, v21, s10
	v_cndmask_b32_e64 v26, v8, v20, s10
	v_cndmask_b32_e64 v29, v17, v9, s10
	v_cndmask_b32_e64 v28, v16, v8, s10
	v_cmpx_lt_u32_e64 v4, v86
	s_cbranch_execz .LBB1135_138
; %bb.135:
	s_mov_b32 s12, 0
	s_mov_b32 s8, exec_lo
	v_cmpx_lt_u32_e64 v5, v85
	s_cbranch_execz .LBB1135_137
; %bb.136:
	v_add_f64 v[8:9], v[26:27], 0
	v_add_f64 v[10:11], v[28:29], 0
	s_delay_alu instid0(VALU_DEP_2) | instskip(NEXT) | instid1(VALU_DEP_2)
	v_ashrrev_i32_e32 v12, 31, v9
	v_ashrrev_i32_e32 v13, 31, v11
	s_delay_alu instid0(VALU_DEP_2) | instskip(NEXT) | instid1(VALU_DEP_2)
	v_or_b32_e32 v14, 0x80000000, v12
	v_or_b32_e32 v15, 0x80000000, v13
	v_xor_b32_e32 v8, v12, v8
	v_xor_b32_e32 v10, v13, v10
	s_delay_alu instid0(VALU_DEP_4) | instskip(NEXT) | instid1(VALU_DEP_4)
	v_xor_b32_e32 v9, v14, v9
	v_xor_b32_e32 v11, v15, v11
	s_delay_alu instid0(VALU_DEP_1) | instskip(NEXT) | instid1(VALU_DEP_1)
	v_cmp_le_u64_e64 s7, v[8:9], v[10:11]
	s_and_b32 s12, s7, exec_lo
.LBB1135_137:
	s_or_b32 exec_lo, exec_lo, s8
	s_delay_alu instid0(SALU_CYCLE_1)
	s_or_not1_b32 s8, s12, exec_lo
.LBB1135_138:
	s_or_b32 exec_lo, exec_lo, s11
	v_cndmask_b32_e64 v8, v4, v5, s8
	v_cndmask_b32_e64 v9, v86, v85, s8
	s_mov_b32 s12, -1
	s_mov_b32 s11, -1
	s_mov_b32 s13, exec_lo
	v_add_nc_u32_e32 v14, 1, v8
	v_add_nc_u32_e32 v9, -1, v9
	v_lshl_add_u32 v8, v8, 3, v81
	s_delay_alu instid0(VALU_DEP_2)
	v_min_u32_e32 v9, v14, v9
	ds_load_b64 v[10:11], v8 offset:16384
	v_cndmask_b32_e64 v8, v14, v4, s8
	v_lshl_add_u32 v9, v9, 3, v81
	ds_load_b64 v[12:13], v9
	v_cndmask_b32_e64 v9, v5, v14, s8
	s_waitcnt lgkmcnt(0)
	v_cndmask_b32_e64 v31, v13, v27, s8
	v_cndmask_b32_e64 v30, v12, v26, s8
	;; [unrolled: 1-line block ×4, first 2 shown]
	v_cmpx_lt_u32_e64 v8, v86
	s_cbranch_execz .LBB1135_142
; %bb.139:
	s_mov_b32 s14, 0
	s_mov_b32 s11, exec_lo
	v_cmpx_lt_u32_e64 v9, v85
	s_cbranch_execz .LBB1135_141
; %bb.140:
	v_add_f64 v[4:5], v[30:31], 0
	v_add_f64 v[12:13], v[34:35], 0
	s_delay_alu instid0(VALU_DEP_2) | instskip(NEXT) | instid1(VALU_DEP_2)
	v_ashrrev_i32_e32 v14, 31, v5
	v_ashrrev_i32_e32 v15, 31, v13
	s_delay_alu instid0(VALU_DEP_2) | instskip(NEXT) | instid1(VALU_DEP_2)
	v_or_b32_e32 v18, 0x80000000, v14
	v_or_b32_e32 v19, 0x80000000, v15
	v_xor_b32_e32 v4, v14, v4
	v_xor_b32_e32 v12, v15, v12
	s_delay_alu instid0(VALU_DEP_4) | instskip(NEXT) | instid1(VALU_DEP_4)
	v_xor_b32_e32 v5, v18, v5
	v_xor_b32_e32 v13, v19, v13
	s_delay_alu instid0(VALU_DEP_1) | instskip(NEXT) | instid1(VALU_DEP_1)
	v_cmp_le_u64_e64 s7, v[4:5], v[12:13]
	s_and_b32 s14, s7, exec_lo
.LBB1135_141:
	s_or_b32 exec_lo, exec_lo, s11
	s_delay_alu instid0(SALU_CYCLE_1)
	s_or_not1_b32 s11, s14, exec_lo
.LBB1135_142:
	s_or_b32 exec_lo, exec_lo, s13
	v_cndmask_b32_e64 v4, v8, v9, s11
	v_cndmask_b32_e64 v5, v86, v85, s11
	s_mov_b32 s13, exec_lo
	s_delay_alu instid0(VALU_DEP_2) | instskip(NEXT) | instid1(VALU_DEP_2)
	v_add_nc_u32_e32 v14, 1, v4
	v_add_nc_u32_e32 v5, -1, v5
	v_lshl_add_u32 v4, v4, 3, v81
	s_delay_alu instid0(VALU_DEP_3) | instskip(NEXT) | instid1(VALU_DEP_3)
	v_cndmask_b32_e64 v8, v14, v8, s11
	v_min_u32_e32 v5, v14, v5
	v_cndmask_b32_e64 v9, v9, v14, s11
	s_delay_alu instid0(VALU_DEP_2)
	v_lshl_add_u32 v5, v5, 3, v81
	ds_load_b64 v[12:13], v5
	ds_load_b64 v[4:5], v4 offset:16384
	s_waitcnt lgkmcnt(1)
	v_cndmask_b32_e64 v37, v13, v31, s11
	v_cndmask_b32_e64 v36, v12, v30, s11
	;; [unrolled: 1-line block ×4, first 2 shown]
	v_cmpx_lt_u32_e64 v8, v86
	s_cbranch_execz .LBB1135_146
; %bb.143:
	s_mov_b32 s14, 0
	s_mov_b32 s12, exec_lo
	v_cmpx_lt_u32_e64 v9, v85
	s_cbranch_execz .LBB1135_145
; %bb.144:
	v_add_f64 v[12:13], v[36:37], 0
	v_add_f64 v[14:15], v[50:51], 0
	s_delay_alu instid0(VALU_DEP_2) | instskip(NEXT) | instid1(VALU_DEP_2)
	v_ashrrev_i32_e32 v18, 31, v13
	v_ashrrev_i32_e32 v19, 31, v15
	s_delay_alu instid0(VALU_DEP_2) | instskip(NEXT) | instid1(VALU_DEP_2)
	v_or_b32_e32 v22, 0x80000000, v18
	v_or_b32_e32 v23, 0x80000000, v19
	v_xor_b32_e32 v12, v18, v12
	v_xor_b32_e32 v14, v19, v14
	s_delay_alu instid0(VALU_DEP_4) | instskip(NEXT) | instid1(VALU_DEP_4)
	v_xor_b32_e32 v13, v22, v13
	v_xor_b32_e32 v15, v23, v15
	s_delay_alu instid0(VALU_DEP_1) | instskip(NEXT) | instid1(VALU_DEP_1)
	v_cmp_le_u64_e64 s7, v[12:13], v[14:15]
	s_and_b32 s14, s7, exec_lo
.LBB1135_145:
	s_or_b32 exec_lo, exec_lo, s12
	s_delay_alu instid0(SALU_CYCLE_1)
	s_or_not1_b32 s12, s14, exec_lo
.LBB1135_146:
	s_or_b32 exec_lo, exec_lo, s13
	v_cndmask_b32_e64 v12, v8, v9, s12
	v_cndmask_b32_e64 v13, v86, v85, s12
	s_mov_b32 s14, -1
	s_mov_b32 s13, -1
	s_mov_b32 s15, exec_lo
	v_add_nc_u32_e32 v22, 1, v12
	v_add_nc_u32_e32 v13, -1, v13
	v_lshl_add_u32 v12, v12, 3, v81
	s_delay_alu instid0(VALU_DEP_2)
	v_min_u32_e32 v13, v22, v13
	ds_load_b64 v[14:15], v12 offset:16384
	v_cndmask_b32_e64 v12, v22, v8, s12
	v_lshl_add_u32 v13, v13, 3, v81
	ds_load_b64 v[18:19], v13
	v_cndmask_b32_e64 v13, v9, v22, s12
	s_waitcnt lgkmcnt(0)
	v_cndmask_b32_e64 v39, v19, v37, s12
	v_cndmask_b32_e64 v38, v18, v36, s12
	;; [unrolled: 1-line block ×4, first 2 shown]
	v_cmpx_lt_u32_e64 v12, v86
	s_cbranch_execz .LBB1135_150
; %bb.147:
	s_mov_b32 s16, 0
	s_mov_b32 s13, exec_lo
	v_cmpx_lt_u32_e64 v13, v85
	s_cbranch_execz .LBB1135_149
; %bb.148:
	v_add_f64 v[8:9], v[38:39], 0
	v_add_f64 v[18:19], v[52:53], 0
	s_delay_alu instid0(VALU_DEP_2) | instskip(NEXT) | instid1(VALU_DEP_2)
	v_ashrrev_i32_e32 v22, 31, v9
	v_ashrrev_i32_e32 v23, 31, v19
	s_delay_alu instid0(VALU_DEP_2) | instskip(NEXT) | instid1(VALU_DEP_2)
	v_or_b32_e32 v32, 0x80000000, v22
	v_or_b32_e32 v33, 0x80000000, v23
	v_xor_b32_e32 v8, v22, v8
	v_xor_b32_e32 v18, v23, v18
	s_delay_alu instid0(VALU_DEP_4) | instskip(NEXT) | instid1(VALU_DEP_4)
	v_xor_b32_e32 v9, v32, v9
	v_xor_b32_e32 v19, v33, v19
	s_delay_alu instid0(VALU_DEP_1) | instskip(NEXT) | instid1(VALU_DEP_1)
	v_cmp_le_u64_e64 s7, v[8:9], v[18:19]
	s_and_b32 s16, s7, exec_lo
.LBB1135_149:
	s_or_b32 exec_lo, exec_lo, s13
	s_delay_alu instid0(SALU_CYCLE_1)
	s_or_not1_b32 s13, s16, exec_lo
.LBB1135_150:
	s_or_b32 exec_lo, exec_lo, s15
	v_cndmask_b32_e64 v8, v12, v13, s13
	v_cndmask_b32_e64 v9, v86, v85, s13
	s_mov_b32 s15, exec_lo
	s_delay_alu instid0(VALU_DEP_2) | instskip(NEXT) | instid1(VALU_DEP_2)
	v_add_nc_u32_e32 v22, 1, v8
	v_add_nc_u32_e32 v9, -1, v9
	v_lshl_add_u32 v8, v8, 3, v81
	s_delay_alu instid0(VALU_DEP_3) | instskip(NEXT) | instid1(VALU_DEP_3)
	v_cndmask_b32_e64 v12, v22, v12, s13
	v_min_u32_e32 v9, v22, v9
	v_cndmask_b32_e64 v13, v13, v22, s13
	s_delay_alu instid0(VALU_DEP_2)
	v_lshl_add_u32 v9, v9, 3, v81
	ds_load_b64 v[18:19], v9
	ds_load_b64 v[8:9], v8 offset:16384
	s_waitcnt lgkmcnt(1)
	v_cndmask_b32_e64 v33, v19, v39, s13
	v_cndmask_b32_e64 v32, v18, v38, s13
	;; [unrolled: 1-line block ×4, first 2 shown]
	v_cmpx_lt_u32_e64 v12, v86
	s_cbranch_execz .LBB1135_154
; %bb.151:
	s_mov_b32 s16, 0
	s_mov_b32 s14, exec_lo
	v_cmpx_lt_u32_e64 v13, v85
	s_cbranch_execz .LBB1135_153
; %bb.152:
	v_add_f64 v[18:19], v[32:33], 0
	v_add_f64 v[22:23], v[54:55], 0
	s_delay_alu instid0(VALU_DEP_2) | instskip(NEXT) | instid1(VALU_DEP_2)
	v_ashrrev_i32_e32 v48, 31, v19
	v_ashrrev_i32_e32 v49, 31, v23
	s_delay_alu instid0(VALU_DEP_2) | instskip(NEXT) | instid1(VALU_DEP_2)
	v_or_b32_e32 v64, 0x80000000, v48
	v_or_b32_e32 v65, 0x80000000, v49
	v_xor_b32_e32 v18, v48, v18
	v_xor_b32_e32 v22, v49, v22
	s_delay_alu instid0(VALU_DEP_4) | instskip(NEXT) | instid1(VALU_DEP_4)
	v_xor_b32_e32 v19, v64, v19
	v_xor_b32_e32 v23, v65, v23
	s_delay_alu instid0(VALU_DEP_1) | instskip(NEXT) | instid1(VALU_DEP_1)
	v_cmp_le_u64_e64 s7, v[18:19], v[22:23]
	s_and_b32 s16, s7, exec_lo
.LBB1135_153:
	s_or_b32 exec_lo, exec_lo, s14
	s_delay_alu instid0(SALU_CYCLE_1)
	s_or_not1_b32 s14, s16, exec_lo
.LBB1135_154:
	s_or_b32 exec_lo, exec_lo, s15
	v_cndmask_b32_e64 v18, v12, v13, s14
	v_cndmask_b32_e64 v19, v86, v85, s14
	s_mov_b32 s15, -1
	s_mov_b32 s16, -1
	s_mov_b32 s17, exec_lo
	v_add_nc_u32_e32 v23, 1, v18
	v_add_nc_u32_e32 v19, -1, v19
	v_lshl_add_u32 v18, v18, 3, v81
	s_delay_alu instid0(VALU_DEP_3) | instskip(NEXT) | instid1(VALU_DEP_3)
	v_cndmask_b32_e64 v22, v23, v12, s14
	v_min_u32_e32 v19, v23, v19
	v_cndmask_b32_e64 v23, v13, v23, s14
	s_delay_alu instid0(VALU_DEP_2)
	v_lshl_add_u32 v19, v19, 3, v81
	ds_load_b64 v[64:65], v19
	ds_load_b64 v[18:19], v18 offset:16384
	s_waitcnt lgkmcnt(1)
	v_cndmask_b32_e64 v49, v65, v33, s14
	v_cndmask_b32_e64 v48, v64, v32, s14
	;; [unrolled: 1-line block ×4, first 2 shown]
	v_cmpx_lt_u32_e64 v22, v86
	s_cbranch_execz .LBB1135_158
; %bb.155:
	s_mov_b32 s18, 0
	s_mov_b32 s16, exec_lo
	v_cmpx_lt_u32_e64 v23, v85
	s_cbranch_execz .LBB1135_157
; %bb.156:
	v_add_f64 v[12:13], v[48:49], 0
	v_add_f64 v[66:67], v[64:65], 0
	s_delay_alu instid0(VALU_DEP_2) | instskip(NEXT) | instid1(VALU_DEP_2)
	v_ashrrev_i32_e32 v68, 31, v13
	v_ashrrev_i32_e32 v69, 31, v67
	s_delay_alu instid0(VALU_DEP_2) | instskip(NEXT) | instid1(VALU_DEP_2)
	v_or_b32_e32 v87, 0x80000000, v68
	v_or_b32_e32 v96, 0x80000000, v69
	v_xor_b32_e32 v12, v68, v12
	v_xor_b32_e32 v66, v69, v66
	s_delay_alu instid0(VALU_DEP_4) | instskip(NEXT) | instid1(VALU_DEP_4)
	v_xor_b32_e32 v13, v87, v13
	v_xor_b32_e32 v67, v96, v67
	s_delay_alu instid0(VALU_DEP_1) | instskip(NEXT) | instid1(VALU_DEP_1)
	v_cmp_le_u64_e64 s7, v[12:13], v[66:67]
	s_and_b32 s18, s7, exec_lo
.LBB1135_157:
	s_or_b32 exec_lo, exec_lo, s16
	s_delay_alu instid0(SALU_CYCLE_1)
	s_or_not1_b32 s16, s18, exec_lo
.LBB1135_158:
	s_or_b32 exec_lo, exec_lo, s17
	v_cndmask_b32_e64 v12, v22, v23, s16
	v_cndmask_b32_e64 v13, v86, v85, s16
	s_mov_b32 s17, exec_lo
	s_delay_alu instid0(VALU_DEP_2) | instskip(NEXT) | instid1(VALU_DEP_2)
	v_add_nc_u32_e32 v66, 1, v12
	v_add_nc_u32_e32 v13, -1, v13
	v_lshl_add_u32 v12, v12, 3, v81
	s_delay_alu instid0(VALU_DEP_3) | instskip(NEXT) | instid1(VALU_DEP_3)
	v_cndmask_b32_e64 v22, v66, v22, s16
	v_min_u32_e32 v13, v66, v13
	v_cndmask_b32_e64 v23, v23, v66, s16
	s_delay_alu instid0(VALU_DEP_2)
	v_lshl_add_u32 v13, v13, 3, v81
	ds_load_b64 v[68:69], v13
	ds_load_b64 v[12:13], v12 offset:16384
	s_waitcnt lgkmcnt(1)
	v_cndmask_b32_e64 v67, v69, v49, s16
	v_cndmask_b32_e64 v66, v68, v48, s16
	;; [unrolled: 1-line block ×4, first 2 shown]
	v_cmpx_lt_u32_e64 v22, v86
	s_cbranch_execz .LBB1135_162
; %bb.159:
	s_mov_b32 s18, 0
	s_mov_b32 s15, exec_lo
	v_cmpx_lt_u32_e64 v23, v85
	s_cbranch_execz .LBB1135_161
; %bb.160:
	v_add_f64 v[85:86], v[66:67], 0
	v_add_f64 v[96:97], v[68:69], 0
	s_delay_alu instid0(VALU_DEP_2) | instskip(NEXT) | instid1(VALU_DEP_2)
	v_ashrrev_i32_e32 v87, 31, v86
	v_ashrrev_i32_e32 v98, 31, v97
	s_delay_alu instid0(VALU_DEP_2) | instskip(NEXT) | instid1(VALU_DEP_2)
	v_or_b32_e32 v99, 0x80000000, v87
	v_or_b32_e32 v100, 0x80000000, v98
	v_xor_b32_e32 v85, v87, v85
	v_xor_b32_e32 v96, v98, v96
	s_delay_alu instid0(VALU_DEP_4) | instskip(NEXT) | instid1(VALU_DEP_4)
	v_xor_b32_e32 v86, v99, v86
	v_xor_b32_e32 v97, v100, v97
	s_delay_alu instid0(VALU_DEP_1) | instskip(NEXT) | instid1(VALU_DEP_1)
	v_cmp_le_u64_e64 s7, v[85:86], v[96:97]
	s_and_b32 s18, s7, exec_lo
.LBB1135_161:
	s_or_b32 exec_lo, exec_lo, s15
	s_delay_alu instid0(SALU_CYCLE_1)
	s_or_not1_b32 s15, s18, exec_lo
.LBB1135_162:
	s_or_b32 exec_lo, exec_lo, s17
	v_cndmask_b32_e64 v22, v22, v23, s15
	v_cndmask_b32_e64 v49, v49, v65, s16
	;; [unrolled: 1-line block ×5, first 2 shown]
	v_lshl_add_u32 v22, v22, 3, v81
	v_cndmask_b32_e64 v39, v39, v53, s13
	v_cndmask_b32_e64 v38, v38, v52, s13
	;; [unrolled: 1-line block ×4, first 2 shown]
	ds_load_b64 v[22:23], v22 offset:16384
	v_cndmask_b32_e64 v37, v31, v35, s11
	v_cndmask_b32_e64 v36, v30, v34, s11
	;; [unrolled: 1-line block ×8, first 2 shown]
.LBB1135_163:
	s_or_b32 exec_lo, exec_lo, s9
	v_and_b32_e32 v16, 0xc0, v80
	v_and_b32_e32 v20, 56, v80
	s_mov_b32 s8, exec_lo
	; wave barrier
	s_delay_alu instid0(VALU_DEP_2)
	v_or_b32_e32 v17, 32, v16
	ds_store_2addr_b64 v82, v[26:27], v[34:35] offset1:1
	ds_store_2addr_b64 v82, v[36:37], v[50:51] offset0:2 offset1:3
	ds_store_2addr_b64 v83, v[0:1], v[10:11] offset1:1
	ds_store_2addr_b64 v83, v[4:5], v[14:15] offset0:2 offset1:3
	ds_store_2addr_b64 v82, v[38:39], v[32:33] offset0:4 offset1:5
	;; [unrolled: 1-line block ×4, first 2 shown]
	s_waitcnt lgkmcnt(7)
	ds_store_2addr_b64 v83, v[12:13], v[22:23] offset0:6 offset1:7
	v_min_u32_e32 v85, v84, v17
	; wave barrier
	s_delay_alu instid0(VALU_DEP_1) | instskip(NEXT) | instid1(VALU_DEP_1)
	v_add_nc_u32_e32 v17, 32, v85
	v_min_u32_e32 v86, v84, v17
	v_min_u32_e32 v17, v84, v20
	v_sub_nc_u32_e32 v20, v85, v16
	s_delay_alu instid0(VALU_DEP_3) | instskip(NEXT) | instid1(VALU_DEP_2)
	v_sub_nc_u32_e32 v21, v86, v85
	v_min_u32_e32 v30, v17, v20
	s_delay_alu instid0(VALU_DEP_2) | instskip(SKIP_1) | instid1(VALU_DEP_2)
	v_sub_nc_u32_e64 v20, v17, v21 clamp
	v_lshl_add_u32 v21, v16, 3, v81
	v_cmpx_lt_u32_e64 v20, v30
	s_cbranch_execz .LBB1135_167
; %bb.164:
	v_lshlrev_b32_e32 v31, 3, v85
	v_lshlrev_b32_e32 v52, 3, v17
	s_mov_b32 s9, 0
	s_delay_alu instid0(VALU_DEP_1)
	v_add3_u32 v31, v81, v31, v52
	s_set_inst_prefetch_distance 0x1
	.p2align	6
.LBB1135_165:                           ; =>This Inner Loop Header: Depth=1
	v_add_nc_u32_e32 v52, v30, v20
	s_delay_alu instid0(VALU_DEP_1) | instskip(NEXT) | instid1(VALU_DEP_1)
	v_lshrrev_b32_e32 v64, 1, v52
	v_not_b32_e32 v52, v64
	v_lshl_add_u32 v53, v64, 3, v21
	s_delay_alu instid0(VALU_DEP_2)
	v_lshl_add_u32 v54, v52, 3, v31
	ds_load_b64 v[52:53], v53
	ds_load_b64 v[54:55], v54
	s_waitcnt lgkmcnt(1)
	v_add_f64 v[52:53], v[52:53], 0
	s_waitcnt lgkmcnt(0)
	v_add_f64 v[54:55], v[54:55], 0
	s_delay_alu instid0(VALU_DEP_2) | instskip(NEXT) | instid1(VALU_DEP_2)
	v_ashrrev_i32_e32 v65, 31, v53
	v_ashrrev_i32_e32 v66, 31, v55
	s_delay_alu instid0(VALU_DEP_2) | instskip(NEXT) | instid1(VALU_DEP_2)
	v_or_b32_e32 v67, 0x80000000, v65
	v_or_b32_e32 v68, 0x80000000, v66
	v_xor_b32_e32 v52, v65, v52
	v_xor_b32_e32 v54, v66, v54
	s_delay_alu instid0(VALU_DEP_4) | instskip(NEXT) | instid1(VALU_DEP_4)
	v_xor_b32_e32 v53, v67, v53
	v_xor_b32_e32 v55, v68, v55
	s_delay_alu instid0(VALU_DEP_1) | instskip(SKIP_1) | instid1(VALU_DEP_2)
	v_cmp_gt_u64_e64 s7, v[54:55], v[52:53]
	v_add_nc_u32_e32 v52, 1, v64
	v_cndmask_b32_e64 v30, v30, v64, s7
	s_delay_alu instid0(VALU_DEP_2) | instskip(NEXT) | instid1(VALU_DEP_1)
	v_cndmask_b32_e64 v20, v52, v20, s7
	v_cmp_ge_u32_e64 s7, v20, v30
	s_delay_alu instid0(VALU_DEP_1) | instskip(NEXT) | instid1(SALU_CYCLE_1)
	s_or_b32 s9, s7, s9
	s_and_not1_b32 exec_lo, exec_lo, s9
	s_cbranch_execnz .LBB1135_165
; %bb.166:
	s_set_inst_prefetch_distance 0x2
	s_or_b32 exec_lo, exec_lo, s9
.LBB1135_167:
	s_delay_alu instid0(SALU_CYCLE_1) | instskip(SKIP_2) | instid1(VALU_DEP_2)
	s_or_b32 exec_lo, exec_lo, s8
	v_add_nc_u32_e32 v17, v85, v17
	v_add_nc_u32_e32 v30, v20, v16
	v_sub_nc_u32_e32 v31, v17, v20
	s_delay_alu instid0(VALU_DEP_2) | instskip(NEXT) | instid1(VALU_DEP_2)
	v_cmp_le_u32_e64 s7, v30, v85
	v_cmp_le_u32_e64 s8, v31, v86
	s_delay_alu instid0(VALU_DEP_1) | instskip(NEXT) | instid1(SALU_CYCLE_1)
	s_or_b32 s7, s7, s8
	s_and_saveexec_b32 s9, s7
	s_cbranch_execz .LBB1135_203
; %bb.168:
	v_cmp_ge_u32_e64 s7, v30, v85
	s_mov_b32 s10, exec_lo
                                        ; implicit-def: $vgpr16_vgpr17
	v_cmpx_lt_u32_e64 v30, v85
	s_cbranch_execz .LBB1135_170
; %bb.169:
	v_lshl_add_u32 v0, v20, 3, v21
	ds_load_b64 v[16:17], v0
.LBB1135_170:
	s_or_b32 exec_lo, exec_lo, s10
	v_cmp_ge_u32_e64 s10, v31, v86
	s_mov_b32 s11, exec_lo
                                        ; implicit-def: $vgpr20_vgpr21
	v_cmpx_lt_u32_e64 v31, v86
	s_cbranch_execz .LBB1135_172
; %bb.171:
	v_lshl_add_u32 v0, v31, 3, v81
	ds_load_b64 v[20:21], v0
.LBB1135_172:
	s_or_b32 exec_lo, exec_lo, s11
	s_or_b32 s7, s7, s10
	s_mov_b32 s8, -1
	s_xor_b32 s7, s7, -1
	s_delay_alu instid0(SALU_CYCLE_1)
	s_and_saveexec_b32 s11, s7
	s_cbranch_execz .LBB1135_174
; %bb.173:
	s_waitcnt lgkmcnt(0)
	v_add_f64 v[0:1], v[20:21], 0
	v_add_f64 v[4:5], v[16:17], 0
	s_and_not1_b32 s10, s10, exec_lo
	s_delay_alu instid0(VALU_DEP_2) | instskip(NEXT) | instid1(VALU_DEP_2)
	v_ashrrev_i32_e32 v8, 31, v1
	v_ashrrev_i32_e32 v9, 31, v5
	s_delay_alu instid0(VALU_DEP_2) | instskip(NEXT) | instid1(VALU_DEP_2)
	v_or_b32_e32 v10, 0x80000000, v8
	v_or_b32_e32 v11, 0x80000000, v9
	v_xor_b32_e32 v0, v8, v0
	v_xor_b32_e32 v4, v9, v4
	s_delay_alu instid0(VALU_DEP_4) | instskip(NEXT) | instid1(VALU_DEP_4)
	v_xor_b32_e32 v1, v10, v1
	v_xor_b32_e32 v5, v11, v5
	s_delay_alu instid0(VALU_DEP_1) | instskip(NEXT) | instid1(VALU_DEP_1)
	v_cmp_le_u64_e64 s7, v[0:1], v[4:5]
	s_and_b32 s7, s7, exec_lo
	s_delay_alu instid0(SALU_CYCLE_1)
	s_or_b32 s10, s10, s7
.LBB1135_174:
	s_or_b32 exec_lo, exec_lo, s11
	v_cndmask_b32_e64 v0, v31, v30, s10
	v_cndmask_b32_e64 v1, v86, v85, s10
	s_mov_b32 s11, exec_lo
	s_delay_alu instid0(VALU_DEP_2) | instskip(NEXT) | instid1(VALU_DEP_2)
	v_add_nc_u32_e32 v5, 1, v0
	v_add_nc_u32_e32 v1, -1, v1
	v_lshl_add_u32 v0, v0, 3, v81
	s_delay_alu instid0(VALU_DEP_3) | instskip(NEXT) | instid1(VALU_DEP_3)
	v_cndmask_b32_e64 v4, v5, v31, s10
	v_min_u32_e32 v1, v5, v1
	v_cndmask_b32_e64 v5, v30, v5, s10
	s_delay_alu instid0(VALU_DEP_2)
	v_lshl_add_u32 v1, v1, 3, v81
	ds_load_b64 v[8:9], v1
	ds_load_b64 v[0:1], v0 offset:16384
	s_waitcnt lgkmcnt(1)
	v_cndmask_b32_e64 v27, v9, v21, s10
	v_cndmask_b32_e64 v26, v8, v20, s10
	v_cndmask_b32_e64 v29, v17, v9, s10
	v_cndmask_b32_e64 v28, v16, v8, s10
	v_cmpx_lt_u32_e64 v4, v86
	s_cbranch_execz .LBB1135_178
; %bb.175:
	s_mov_b32 s12, 0
	s_mov_b32 s8, exec_lo
	v_cmpx_lt_u32_e64 v5, v85
	s_cbranch_execz .LBB1135_177
; %bb.176:
	v_add_f64 v[8:9], v[26:27], 0
	v_add_f64 v[10:11], v[28:29], 0
	s_delay_alu instid0(VALU_DEP_2) | instskip(NEXT) | instid1(VALU_DEP_2)
	v_ashrrev_i32_e32 v12, 31, v9
	v_ashrrev_i32_e32 v13, 31, v11
	s_delay_alu instid0(VALU_DEP_2) | instskip(NEXT) | instid1(VALU_DEP_2)
	v_or_b32_e32 v14, 0x80000000, v12
	v_or_b32_e32 v15, 0x80000000, v13
	v_xor_b32_e32 v8, v12, v8
	v_xor_b32_e32 v10, v13, v10
	s_delay_alu instid0(VALU_DEP_4) | instskip(NEXT) | instid1(VALU_DEP_4)
	v_xor_b32_e32 v9, v14, v9
	v_xor_b32_e32 v11, v15, v11
	s_delay_alu instid0(VALU_DEP_1) | instskip(NEXT) | instid1(VALU_DEP_1)
	v_cmp_le_u64_e64 s7, v[8:9], v[10:11]
	s_and_b32 s12, s7, exec_lo
.LBB1135_177:
	s_or_b32 exec_lo, exec_lo, s8
	s_delay_alu instid0(SALU_CYCLE_1)
	s_or_not1_b32 s8, s12, exec_lo
.LBB1135_178:
	s_or_b32 exec_lo, exec_lo, s11
	v_cndmask_b32_e64 v8, v4, v5, s8
	v_cndmask_b32_e64 v9, v86, v85, s8
	s_mov_b32 s12, -1
	s_mov_b32 s11, -1
	s_mov_b32 s13, exec_lo
	v_add_nc_u32_e32 v14, 1, v8
	v_add_nc_u32_e32 v9, -1, v9
	v_lshl_add_u32 v8, v8, 3, v81
	s_delay_alu instid0(VALU_DEP_2)
	v_min_u32_e32 v9, v14, v9
	ds_load_b64 v[10:11], v8 offset:16384
	v_cndmask_b32_e64 v8, v14, v4, s8
	v_lshl_add_u32 v9, v9, 3, v81
	ds_load_b64 v[12:13], v9
	v_cndmask_b32_e64 v9, v5, v14, s8
	s_waitcnt lgkmcnt(0)
	v_cndmask_b32_e64 v31, v13, v27, s8
	v_cndmask_b32_e64 v30, v12, v26, s8
	;; [unrolled: 1-line block ×4, first 2 shown]
	v_cmpx_lt_u32_e64 v8, v86
	s_cbranch_execz .LBB1135_182
; %bb.179:
	s_mov_b32 s14, 0
	s_mov_b32 s11, exec_lo
	v_cmpx_lt_u32_e64 v9, v85
	s_cbranch_execz .LBB1135_181
; %bb.180:
	v_add_f64 v[4:5], v[30:31], 0
	v_add_f64 v[12:13], v[34:35], 0
	s_delay_alu instid0(VALU_DEP_2) | instskip(NEXT) | instid1(VALU_DEP_2)
	v_ashrrev_i32_e32 v14, 31, v5
	v_ashrrev_i32_e32 v15, 31, v13
	s_delay_alu instid0(VALU_DEP_2) | instskip(NEXT) | instid1(VALU_DEP_2)
	v_or_b32_e32 v18, 0x80000000, v14
	v_or_b32_e32 v19, 0x80000000, v15
	v_xor_b32_e32 v4, v14, v4
	v_xor_b32_e32 v12, v15, v12
	s_delay_alu instid0(VALU_DEP_4) | instskip(NEXT) | instid1(VALU_DEP_4)
	v_xor_b32_e32 v5, v18, v5
	v_xor_b32_e32 v13, v19, v13
	s_delay_alu instid0(VALU_DEP_1) | instskip(NEXT) | instid1(VALU_DEP_1)
	v_cmp_le_u64_e64 s7, v[4:5], v[12:13]
	s_and_b32 s14, s7, exec_lo
.LBB1135_181:
	s_or_b32 exec_lo, exec_lo, s11
	s_delay_alu instid0(SALU_CYCLE_1)
	s_or_not1_b32 s11, s14, exec_lo
.LBB1135_182:
	s_or_b32 exec_lo, exec_lo, s13
	v_cndmask_b32_e64 v4, v8, v9, s11
	v_cndmask_b32_e64 v5, v86, v85, s11
	s_mov_b32 s13, exec_lo
	s_delay_alu instid0(VALU_DEP_2) | instskip(NEXT) | instid1(VALU_DEP_2)
	v_add_nc_u32_e32 v14, 1, v4
	v_add_nc_u32_e32 v5, -1, v5
	v_lshl_add_u32 v4, v4, 3, v81
	s_delay_alu instid0(VALU_DEP_3) | instskip(NEXT) | instid1(VALU_DEP_3)
	v_cndmask_b32_e64 v8, v14, v8, s11
	v_min_u32_e32 v5, v14, v5
	v_cndmask_b32_e64 v9, v9, v14, s11
	s_delay_alu instid0(VALU_DEP_2)
	v_lshl_add_u32 v5, v5, 3, v81
	ds_load_b64 v[12:13], v5
	ds_load_b64 v[4:5], v4 offset:16384
	s_waitcnt lgkmcnt(1)
	v_cndmask_b32_e64 v37, v13, v31, s11
	v_cndmask_b32_e64 v36, v12, v30, s11
	;; [unrolled: 1-line block ×4, first 2 shown]
	v_cmpx_lt_u32_e64 v8, v86
	s_cbranch_execz .LBB1135_186
; %bb.183:
	s_mov_b32 s14, 0
	s_mov_b32 s12, exec_lo
	v_cmpx_lt_u32_e64 v9, v85
	s_cbranch_execz .LBB1135_185
; %bb.184:
	v_add_f64 v[12:13], v[36:37], 0
	v_add_f64 v[14:15], v[50:51], 0
	s_delay_alu instid0(VALU_DEP_2) | instskip(NEXT) | instid1(VALU_DEP_2)
	v_ashrrev_i32_e32 v18, 31, v13
	v_ashrrev_i32_e32 v19, 31, v15
	s_delay_alu instid0(VALU_DEP_2) | instskip(NEXT) | instid1(VALU_DEP_2)
	v_or_b32_e32 v22, 0x80000000, v18
	v_or_b32_e32 v23, 0x80000000, v19
	v_xor_b32_e32 v12, v18, v12
	v_xor_b32_e32 v14, v19, v14
	s_delay_alu instid0(VALU_DEP_4) | instskip(NEXT) | instid1(VALU_DEP_4)
	v_xor_b32_e32 v13, v22, v13
	v_xor_b32_e32 v15, v23, v15
	s_delay_alu instid0(VALU_DEP_1) | instskip(NEXT) | instid1(VALU_DEP_1)
	v_cmp_le_u64_e64 s7, v[12:13], v[14:15]
	s_and_b32 s14, s7, exec_lo
.LBB1135_185:
	s_or_b32 exec_lo, exec_lo, s12
	s_delay_alu instid0(SALU_CYCLE_1)
	s_or_not1_b32 s12, s14, exec_lo
.LBB1135_186:
	s_or_b32 exec_lo, exec_lo, s13
	v_cndmask_b32_e64 v12, v8, v9, s12
	v_cndmask_b32_e64 v13, v86, v85, s12
	s_mov_b32 s14, -1
	s_mov_b32 s13, -1
	s_mov_b32 s15, exec_lo
	v_add_nc_u32_e32 v22, 1, v12
	v_add_nc_u32_e32 v13, -1, v13
	v_lshl_add_u32 v12, v12, 3, v81
	s_delay_alu instid0(VALU_DEP_2)
	v_min_u32_e32 v13, v22, v13
	ds_load_b64 v[14:15], v12 offset:16384
	v_cndmask_b32_e64 v12, v22, v8, s12
	v_lshl_add_u32 v13, v13, 3, v81
	ds_load_b64 v[18:19], v13
	v_cndmask_b32_e64 v13, v9, v22, s12
	s_waitcnt lgkmcnt(0)
	v_cndmask_b32_e64 v39, v19, v37, s12
	v_cndmask_b32_e64 v38, v18, v36, s12
	;; [unrolled: 1-line block ×4, first 2 shown]
	v_cmpx_lt_u32_e64 v12, v86
	s_cbranch_execz .LBB1135_190
; %bb.187:
	s_mov_b32 s16, 0
	s_mov_b32 s13, exec_lo
	v_cmpx_lt_u32_e64 v13, v85
	s_cbranch_execz .LBB1135_189
; %bb.188:
	v_add_f64 v[8:9], v[38:39], 0
	v_add_f64 v[18:19], v[52:53], 0
	s_delay_alu instid0(VALU_DEP_2) | instskip(NEXT) | instid1(VALU_DEP_2)
	v_ashrrev_i32_e32 v22, 31, v9
	v_ashrrev_i32_e32 v23, 31, v19
	s_delay_alu instid0(VALU_DEP_2) | instskip(NEXT) | instid1(VALU_DEP_2)
	v_or_b32_e32 v32, 0x80000000, v22
	v_or_b32_e32 v33, 0x80000000, v23
	v_xor_b32_e32 v8, v22, v8
	v_xor_b32_e32 v18, v23, v18
	s_delay_alu instid0(VALU_DEP_4) | instskip(NEXT) | instid1(VALU_DEP_4)
	v_xor_b32_e32 v9, v32, v9
	v_xor_b32_e32 v19, v33, v19
	s_delay_alu instid0(VALU_DEP_1) | instskip(NEXT) | instid1(VALU_DEP_1)
	v_cmp_le_u64_e64 s7, v[8:9], v[18:19]
	s_and_b32 s16, s7, exec_lo
.LBB1135_189:
	s_or_b32 exec_lo, exec_lo, s13
	s_delay_alu instid0(SALU_CYCLE_1)
	s_or_not1_b32 s13, s16, exec_lo
.LBB1135_190:
	s_or_b32 exec_lo, exec_lo, s15
	v_cndmask_b32_e64 v8, v12, v13, s13
	v_cndmask_b32_e64 v9, v86, v85, s13
	s_mov_b32 s15, exec_lo
	s_delay_alu instid0(VALU_DEP_2) | instskip(NEXT) | instid1(VALU_DEP_2)
	v_add_nc_u32_e32 v22, 1, v8
	v_add_nc_u32_e32 v9, -1, v9
	v_lshl_add_u32 v8, v8, 3, v81
	s_delay_alu instid0(VALU_DEP_3) | instskip(NEXT) | instid1(VALU_DEP_3)
	v_cndmask_b32_e64 v12, v22, v12, s13
	v_min_u32_e32 v9, v22, v9
	v_cndmask_b32_e64 v13, v13, v22, s13
	s_delay_alu instid0(VALU_DEP_2)
	v_lshl_add_u32 v9, v9, 3, v81
	ds_load_b64 v[18:19], v9
	ds_load_b64 v[8:9], v8 offset:16384
	s_waitcnt lgkmcnt(1)
	v_cndmask_b32_e64 v33, v19, v39, s13
	v_cndmask_b32_e64 v32, v18, v38, s13
	;; [unrolled: 1-line block ×4, first 2 shown]
	v_cmpx_lt_u32_e64 v12, v86
	s_cbranch_execz .LBB1135_194
; %bb.191:
	s_mov_b32 s16, 0
	s_mov_b32 s14, exec_lo
	v_cmpx_lt_u32_e64 v13, v85
	s_cbranch_execz .LBB1135_193
; %bb.192:
	v_add_f64 v[18:19], v[32:33], 0
	v_add_f64 v[22:23], v[54:55], 0
	s_delay_alu instid0(VALU_DEP_2) | instskip(NEXT) | instid1(VALU_DEP_2)
	v_ashrrev_i32_e32 v48, 31, v19
	v_ashrrev_i32_e32 v49, 31, v23
	s_delay_alu instid0(VALU_DEP_2) | instskip(NEXT) | instid1(VALU_DEP_2)
	v_or_b32_e32 v64, 0x80000000, v48
	v_or_b32_e32 v65, 0x80000000, v49
	v_xor_b32_e32 v18, v48, v18
	v_xor_b32_e32 v22, v49, v22
	s_delay_alu instid0(VALU_DEP_4) | instskip(NEXT) | instid1(VALU_DEP_4)
	v_xor_b32_e32 v19, v64, v19
	v_xor_b32_e32 v23, v65, v23
	s_delay_alu instid0(VALU_DEP_1) | instskip(NEXT) | instid1(VALU_DEP_1)
	v_cmp_le_u64_e64 s7, v[18:19], v[22:23]
	s_and_b32 s16, s7, exec_lo
.LBB1135_193:
	s_or_b32 exec_lo, exec_lo, s14
	s_delay_alu instid0(SALU_CYCLE_1)
	s_or_not1_b32 s14, s16, exec_lo
.LBB1135_194:
	s_or_b32 exec_lo, exec_lo, s15
	v_cndmask_b32_e64 v18, v12, v13, s14
	v_cndmask_b32_e64 v19, v86, v85, s14
	s_mov_b32 s15, -1
	s_mov_b32 s16, -1
	s_mov_b32 s17, exec_lo
	v_add_nc_u32_e32 v23, 1, v18
	v_add_nc_u32_e32 v19, -1, v19
	v_lshl_add_u32 v18, v18, 3, v81
	s_delay_alu instid0(VALU_DEP_3) | instskip(NEXT) | instid1(VALU_DEP_3)
	v_cndmask_b32_e64 v22, v23, v12, s14
	v_min_u32_e32 v19, v23, v19
	v_cndmask_b32_e64 v23, v13, v23, s14
	s_delay_alu instid0(VALU_DEP_2)
	v_lshl_add_u32 v19, v19, 3, v81
	ds_load_b64 v[64:65], v19
	ds_load_b64 v[18:19], v18 offset:16384
	s_waitcnt lgkmcnt(1)
	v_cndmask_b32_e64 v49, v65, v33, s14
	v_cndmask_b32_e64 v48, v64, v32, s14
	;; [unrolled: 1-line block ×4, first 2 shown]
	v_cmpx_lt_u32_e64 v22, v86
	s_cbranch_execz .LBB1135_198
; %bb.195:
	s_mov_b32 s18, 0
	s_mov_b32 s16, exec_lo
	v_cmpx_lt_u32_e64 v23, v85
	s_cbranch_execz .LBB1135_197
; %bb.196:
	v_add_f64 v[12:13], v[48:49], 0
	v_add_f64 v[66:67], v[64:65], 0
	s_delay_alu instid0(VALU_DEP_2) | instskip(NEXT) | instid1(VALU_DEP_2)
	v_ashrrev_i32_e32 v68, 31, v13
	v_ashrrev_i32_e32 v69, 31, v67
	s_delay_alu instid0(VALU_DEP_2) | instskip(NEXT) | instid1(VALU_DEP_2)
	v_or_b32_e32 v87, 0x80000000, v68
	v_or_b32_e32 v96, 0x80000000, v69
	v_xor_b32_e32 v12, v68, v12
	v_xor_b32_e32 v66, v69, v66
	s_delay_alu instid0(VALU_DEP_4) | instskip(NEXT) | instid1(VALU_DEP_4)
	v_xor_b32_e32 v13, v87, v13
	v_xor_b32_e32 v67, v96, v67
	s_delay_alu instid0(VALU_DEP_1) | instskip(NEXT) | instid1(VALU_DEP_1)
	v_cmp_le_u64_e64 s7, v[12:13], v[66:67]
	s_and_b32 s18, s7, exec_lo
.LBB1135_197:
	s_or_b32 exec_lo, exec_lo, s16
	s_delay_alu instid0(SALU_CYCLE_1)
	s_or_not1_b32 s16, s18, exec_lo
.LBB1135_198:
	s_or_b32 exec_lo, exec_lo, s17
	v_cndmask_b32_e64 v12, v22, v23, s16
	v_cndmask_b32_e64 v13, v86, v85, s16
	s_mov_b32 s17, exec_lo
	s_delay_alu instid0(VALU_DEP_2) | instskip(NEXT) | instid1(VALU_DEP_2)
	v_add_nc_u32_e32 v66, 1, v12
	v_add_nc_u32_e32 v13, -1, v13
	v_lshl_add_u32 v12, v12, 3, v81
	s_delay_alu instid0(VALU_DEP_3) | instskip(NEXT) | instid1(VALU_DEP_3)
	v_cndmask_b32_e64 v22, v66, v22, s16
	v_min_u32_e32 v13, v66, v13
	v_cndmask_b32_e64 v23, v23, v66, s16
	s_delay_alu instid0(VALU_DEP_2)
	v_lshl_add_u32 v13, v13, 3, v81
	ds_load_b64 v[68:69], v13
	ds_load_b64 v[12:13], v12 offset:16384
	s_waitcnt lgkmcnt(1)
	v_cndmask_b32_e64 v67, v69, v49, s16
	v_cndmask_b32_e64 v66, v68, v48, s16
	;; [unrolled: 1-line block ×4, first 2 shown]
	v_cmpx_lt_u32_e64 v22, v86
	s_cbranch_execz .LBB1135_202
; %bb.199:
	s_mov_b32 s18, 0
	s_mov_b32 s15, exec_lo
	v_cmpx_lt_u32_e64 v23, v85
	s_cbranch_execz .LBB1135_201
; %bb.200:
	v_add_f64 v[85:86], v[66:67], 0
	v_add_f64 v[96:97], v[68:69], 0
	s_delay_alu instid0(VALU_DEP_2) | instskip(NEXT) | instid1(VALU_DEP_2)
	v_ashrrev_i32_e32 v87, 31, v86
	v_ashrrev_i32_e32 v98, 31, v97
	s_delay_alu instid0(VALU_DEP_2) | instskip(NEXT) | instid1(VALU_DEP_2)
	v_or_b32_e32 v99, 0x80000000, v87
	v_or_b32_e32 v100, 0x80000000, v98
	v_xor_b32_e32 v85, v87, v85
	v_xor_b32_e32 v96, v98, v96
	s_delay_alu instid0(VALU_DEP_4) | instskip(NEXT) | instid1(VALU_DEP_4)
	v_xor_b32_e32 v86, v99, v86
	v_xor_b32_e32 v97, v100, v97
	s_delay_alu instid0(VALU_DEP_1) | instskip(NEXT) | instid1(VALU_DEP_1)
	v_cmp_le_u64_e64 s7, v[85:86], v[96:97]
	s_and_b32 s18, s7, exec_lo
.LBB1135_201:
	s_or_b32 exec_lo, exec_lo, s15
	s_delay_alu instid0(SALU_CYCLE_1)
	s_or_not1_b32 s15, s18, exec_lo
.LBB1135_202:
	s_or_b32 exec_lo, exec_lo, s17
	v_cndmask_b32_e64 v22, v22, v23, s15
	v_cndmask_b32_e64 v49, v49, v65, s16
	;; [unrolled: 1-line block ×5, first 2 shown]
	v_lshl_add_u32 v22, v22, 3, v81
	v_cndmask_b32_e64 v39, v39, v53, s13
	v_cndmask_b32_e64 v38, v38, v52, s13
	;; [unrolled: 1-line block ×4, first 2 shown]
	ds_load_b64 v[22:23], v22 offset:16384
	v_cndmask_b32_e64 v37, v31, v35, s11
	v_cndmask_b32_e64 v36, v30, v34, s11
	;; [unrolled: 1-line block ×8, first 2 shown]
.LBB1135_203:
	s_or_b32 exec_lo, exec_lo, s9
	v_and_b32_e32 v16, 0x80, v80
	s_mov_b32 s8, exec_lo
	; wave barrier
	ds_store_2addr_b64 v82, v[26:27], v[34:35] offset1:1
	ds_store_2addr_b64 v82, v[36:37], v[50:51] offset0:2 offset1:3
	v_or_b32_e32 v17, 64, v16
	ds_store_2addr_b64 v83, v[0:1], v[10:11] offset1:1
	ds_store_2addr_b64 v83, v[4:5], v[14:15] offset0:2 offset1:3
	ds_store_2addr_b64 v82, v[38:39], v[32:33] offset0:4 offset1:5
	;; [unrolled: 1-line block ×4, first 2 shown]
	s_waitcnt lgkmcnt(7)
	ds_store_2addr_b64 v83, v[12:13], v[22:23] offset0:6 offset1:7
	; wave barrier
	v_min_u32_e32 v80, v84, v17
	s_delay_alu instid0(VALU_DEP_1) | instskip(SKIP_1) | instid1(VALU_DEP_2)
	v_add_nc_u32_e32 v17, 64, v80
	v_sub_nc_u32_e32 v20, v80, v16
	v_min_u32_e32 v85, v84, v17
	v_min_u32_e32 v17, v84, v71
	s_delay_alu instid0(VALU_DEP_2) | instskip(NEXT) | instid1(VALU_DEP_2)
	v_sub_nc_u32_e32 v21, v85, v80
	v_min_u32_e32 v30, v17, v20
	s_delay_alu instid0(VALU_DEP_2) | instskip(SKIP_1) | instid1(VALU_DEP_2)
	v_sub_nc_u32_e64 v20, v17, v21 clamp
	v_lshl_add_u32 v21, v16, 3, v81
	v_cmpx_lt_u32_e64 v20, v30
	s_cbranch_execz .LBB1135_207
; %bb.204:
	v_lshlrev_b32_e32 v31, 3, v80
	v_lshlrev_b32_e32 v52, 3, v17
	s_mov_b32 s9, 0
	s_delay_alu instid0(VALU_DEP_1)
	v_add3_u32 v31, v81, v31, v52
	s_set_inst_prefetch_distance 0x1
	.p2align	6
.LBB1135_205:                           ; =>This Inner Loop Header: Depth=1
	v_add_nc_u32_e32 v52, v30, v20
	s_delay_alu instid0(VALU_DEP_1) | instskip(NEXT) | instid1(VALU_DEP_1)
	v_lshrrev_b32_e32 v64, 1, v52
	v_not_b32_e32 v52, v64
	v_lshl_add_u32 v53, v64, 3, v21
	s_delay_alu instid0(VALU_DEP_2)
	v_lshl_add_u32 v54, v52, 3, v31
	ds_load_b64 v[52:53], v53
	ds_load_b64 v[54:55], v54
	s_waitcnt lgkmcnt(1)
	v_add_f64 v[52:53], v[52:53], 0
	s_waitcnt lgkmcnt(0)
	v_add_f64 v[54:55], v[54:55], 0
	s_delay_alu instid0(VALU_DEP_2) | instskip(NEXT) | instid1(VALU_DEP_2)
	v_ashrrev_i32_e32 v65, 31, v53
	v_ashrrev_i32_e32 v66, 31, v55
	s_delay_alu instid0(VALU_DEP_2) | instskip(NEXT) | instid1(VALU_DEP_2)
	v_or_b32_e32 v67, 0x80000000, v65
	v_or_b32_e32 v68, 0x80000000, v66
	v_xor_b32_e32 v52, v65, v52
	v_xor_b32_e32 v54, v66, v54
	s_delay_alu instid0(VALU_DEP_4) | instskip(NEXT) | instid1(VALU_DEP_4)
	v_xor_b32_e32 v53, v67, v53
	v_xor_b32_e32 v55, v68, v55
	s_delay_alu instid0(VALU_DEP_1) | instskip(SKIP_1) | instid1(VALU_DEP_2)
	v_cmp_gt_u64_e64 s7, v[54:55], v[52:53]
	v_add_nc_u32_e32 v52, 1, v64
	v_cndmask_b32_e64 v30, v30, v64, s7
	s_delay_alu instid0(VALU_DEP_2) | instskip(NEXT) | instid1(VALU_DEP_1)
	v_cndmask_b32_e64 v20, v52, v20, s7
	v_cmp_ge_u32_e64 s7, v20, v30
	s_delay_alu instid0(VALU_DEP_1) | instskip(NEXT) | instid1(SALU_CYCLE_1)
	s_or_b32 s9, s7, s9
	s_and_not1_b32 exec_lo, exec_lo, s9
	s_cbranch_execnz .LBB1135_205
; %bb.206:
	s_set_inst_prefetch_distance 0x2
	s_or_b32 exec_lo, exec_lo, s9
.LBB1135_207:
	s_delay_alu instid0(SALU_CYCLE_1) | instskip(SKIP_2) | instid1(VALU_DEP_2)
	s_or_b32 exec_lo, exec_lo, s8
	v_add_nc_u32_e32 v17, v80, v17
	v_add_nc_u32_e32 v30, v20, v16
	v_sub_nc_u32_e32 v31, v17, v20
	s_delay_alu instid0(VALU_DEP_2) | instskip(NEXT) | instid1(VALU_DEP_2)
	v_cmp_le_u32_e64 s7, v30, v80
	v_cmp_le_u32_e64 s8, v31, v85
	s_delay_alu instid0(VALU_DEP_1) | instskip(NEXT) | instid1(SALU_CYCLE_1)
	s_or_b32 s7, s7, s8
	s_and_saveexec_b32 s9, s7
	s_cbranch_execz .LBB1135_243
; %bb.208:
	v_cmp_ge_u32_e64 s7, v30, v80
	s_mov_b32 s10, exec_lo
                                        ; implicit-def: $vgpr16_vgpr17
	v_cmpx_lt_u32_e64 v30, v80
	s_cbranch_execz .LBB1135_210
; %bb.209:
	v_lshl_add_u32 v0, v20, 3, v21
	ds_load_b64 v[16:17], v0
.LBB1135_210:
	s_or_b32 exec_lo, exec_lo, s10
	v_cmp_ge_u32_e64 s10, v31, v85
	s_mov_b32 s11, exec_lo
                                        ; implicit-def: $vgpr20_vgpr21
	v_cmpx_lt_u32_e64 v31, v85
	s_cbranch_execz .LBB1135_212
; %bb.211:
	v_lshl_add_u32 v0, v31, 3, v81
	ds_load_b64 v[20:21], v0
.LBB1135_212:
	s_or_b32 exec_lo, exec_lo, s11
	s_or_b32 s7, s7, s10
	s_mov_b32 s8, -1
	s_xor_b32 s7, s7, -1
	s_delay_alu instid0(SALU_CYCLE_1)
	s_and_saveexec_b32 s11, s7
	s_cbranch_execz .LBB1135_214
; %bb.213:
	s_waitcnt lgkmcnt(0)
	v_add_f64 v[0:1], v[20:21], 0
	v_add_f64 v[4:5], v[16:17], 0
	s_and_not1_b32 s10, s10, exec_lo
	s_delay_alu instid0(VALU_DEP_2) | instskip(NEXT) | instid1(VALU_DEP_2)
	v_ashrrev_i32_e32 v8, 31, v1
	v_ashrrev_i32_e32 v9, 31, v5
	s_delay_alu instid0(VALU_DEP_2) | instskip(NEXT) | instid1(VALU_DEP_2)
	v_or_b32_e32 v10, 0x80000000, v8
	v_or_b32_e32 v11, 0x80000000, v9
	v_xor_b32_e32 v0, v8, v0
	v_xor_b32_e32 v4, v9, v4
	s_delay_alu instid0(VALU_DEP_4) | instskip(NEXT) | instid1(VALU_DEP_4)
	v_xor_b32_e32 v1, v10, v1
	v_xor_b32_e32 v5, v11, v5
	s_delay_alu instid0(VALU_DEP_1) | instskip(NEXT) | instid1(VALU_DEP_1)
	v_cmp_le_u64_e64 s7, v[0:1], v[4:5]
	s_and_b32 s7, s7, exec_lo
	s_delay_alu instid0(SALU_CYCLE_1)
	s_or_b32 s10, s10, s7
.LBB1135_214:
	s_or_b32 exec_lo, exec_lo, s11
	v_cndmask_b32_e64 v0, v31, v30, s10
	v_cndmask_b32_e64 v1, v85, v80, s10
	s_mov_b32 s11, exec_lo
	s_delay_alu instid0(VALU_DEP_2) | instskip(NEXT) | instid1(VALU_DEP_2)
	v_add_nc_u32_e32 v5, 1, v0
	v_add_nc_u32_e32 v1, -1, v1
	v_lshl_add_u32 v0, v0, 3, v81
	s_delay_alu instid0(VALU_DEP_3) | instskip(NEXT) | instid1(VALU_DEP_3)
	v_cndmask_b32_e64 v4, v5, v31, s10
	v_min_u32_e32 v1, v5, v1
	v_cndmask_b32_e64 v5, v30, v5, s10
	s_delay_alu instid0(VALU_DEP_2)
	v_lshl_add_u32 v1, v1, 3, v81
	ds_load_b64 v[8:9], v1
	ds_load_b64 v[0:1], v0 offset:16384
	s_waitcnt lgkmcnt(1)
	v_cndmask_b32_e64 v27, v9, v21, s10
	v_cndmask_b32_e64 v26, v8, v20, s10
	;; [unrolled: 1-line block ×4, first 2 shown]
	v_cmpx_lt_u32_e64 v4, v85
	s_cbranch_execz .LBB1135_218
; %bb.215:
	s_mov_b32 s12, 0
	s_mov_b32 s8, exec_lo
	v_cmpx_lt_u32_e64 v5, v80
	s_cbranch_execz .LBB1135_217
; %bb.216:
	v_add_f64 v[8:9], v[26:27], 0
	v_add_f64 v[10:11], v[28:29], 0
	s_delay_alu instid0(VALU_DEP_2) | instskip(NEXT) | instid1(VALU_DEP_2)
	v_ashrrev_i32_e32 v12, 31, v9
	v_ashrrev_i32_e32 v13, 31, v11
	s_delay_alu instid0(VALU_DEP_2) | instskip(NEXT) | instid1(VALU_DEP_2)
	v_or_b32_e32 v14, 0x80000000, v12
	v_or_b32_e32 v15, 0x80000000, v13
	v_xor_b32_e32 v8, v12, v8
	v_xor_b32_e32 v10, v13, v10
	s_delay_alu instid0(VALU_DEP_4) | instskip(NEXT) | instid1(VALU_DEP_4)
	v_xor_b32_e32 v9, v14, v9
	v_xor_b32_e32 v11, v15, v11
	s_delay_alu instid0(VALU_DEP_1) | instskip(NEXT) | instid1(VALU_DEP_1)
	v_cmp_le_u64_e64 s7, v[8:9], v[10:11]
	s_and_b32 s12, s7, exec_lo
.LBB1135_217:
	s_or_b32 exec_lo, exec_lo, s8
	s_delay_alu instid0(SALU_CYCLE_1)
	s_or_not1_b32 s8, s12, exec_lo
.LBB1135_218:
	s_or_b32 exec_lo, exec_lo, s11
	v_cndmask_b32_e64 v8, v4, v5, s8
	v_cndmask_b32_e64 v9, v85, v80, s8
	s_mov_b32 s12, -1
	s_mov_b32 s11, -1
	s_mov_b32 s13, exec_lo
	v_add_nc_u32_e32 v14, 1, v8
	v_add_nc_u32_e32 v9, -1, v9
	v_lshl_add_u32 v8, v8, 3, v81
	s_delay_alu instid0(VALU_DEP_2)
	v_min_u32_e32 v9, v14, v9
	ds_load_b64 v[10:11], v8 offset:16384
	v_cndmask_b32_e64 v8, v14, v4, s8
	v_lshl_add_u32 v9, v9, 3, v81
	ds_load_b64 v[12:13], v9
	v_cndmask_b32_e64 v9, v5, v14, s8
	s_waitcnt lgkmcnt(0)
	v_cndmask_b32_e64 v31, v13, v27, s8
	v_cndmask_b32_e64 v30, v12, v26, s8
	;; [unrolled: 1-line block ×4, first 2 shown]
	v_cmpx_lt_u32_e64 v8, v85
	s_cbranch_execz .LBB1135_222
; %bb.219:
	s_mov_b32 s14, 0
	s_mov_b32 s11, exec_lo
	v_cmpx_lt_u32_e64 v9, v80
	s_cbranch_execz .LBB1135_221
; %bb.220:
	v_add_f64 v[4:5], v[30:31], 0
	v_add_f64 v[12:13], v[34:35], 0
	s_delay_alu instid0(VALU_DEP_2) | instskip(NEXT) | instid1(VALU_DEP_2)
	v_ashrrev_i32_e32 v14, 31, v5
	v_ashrrev_i32_e32 v15, 31, v13
	s_delay_alu instid0(VALU_DEP_2) | instskip(NEXT) | instid1(VALU_DEP_2)
	v_or_b32_e32 v18, 0x80000000, v14
	v_or_b32_e32 v19, 0x80000000, v15
	v_xor_b32_e32 v4, v14, v4
	v_xor_b32_e32 v12, v15, v12
	s_delay_alu instid0(VALU_DEP_4) | instskip(NEXT) | instid1(VALU_DEP_4)
	v_xor_b32_e32 v5, v18, v5
	v_xor_b32_e32 v13, v19, v13
	s_delay_alu instid0(VALU_DEP_1) | instskip(NEXT) | instid1(VALU_DEP_1)
	v_cmp_le_u64_e64 s7, v[4:5], v[12:13]
	s_and_b32 s14, s7, exec_lo
.LBB1135_221:
	s_or_b32 exec_lo, exec_lo, s11
	s_delay_alu instid0(SALU_CYCLE_1)
	s_or_not1_b32 s11, s14, exec_lo
.LBB1135_222:
	s_or_b32 exec_lo, exec_lo, s13
	v_cndmask_b32_e64 v4, v8, v9, s11
	v_cndmask_b32_e64 v5, v85, v80, s11
	s_mov_b32 s13, exec_lo
	s_delay_alu instid0(VALU_DEP_2) | instskip(NEXT) | instid1(VALU_DEP_2)
	v_add_nc_u32_e32 v14, 1, v4
	v_add_nc_u32_e32 v5, -1, v5
	v_lshl_add_u32 v4, v4, 3, v81
	s_delay_alu instid0(VALU_DEP_3) | instskip(NEXT) | instid1(VALU_DEP_3)
	v_cndmask_b32_e64 v8, v14, v8, s11
	v_min_u32_e32 v5, v14, v5
	v_cndmask_b32_e64 v9, v9, v14, s11
	s_delay_alu instid0(VALU_DEP_2)
	v_lshl_add_u32 v5, v5, 3, v81
	ds_load_b64 v[12:13], v5
	ds_load_b64 v[4:5], v4 offset:16384
	s_waitcnt lgkmcnt(1)
	v_cndmask_b32_e64 v37, v13, v31, s11
	v_cndmask_b32_e64 v36, v12, v30, s11
	;; [unrolled: 1-line block ×4, first 2 shown]
	v_cmpx_lt_u32_e64 v8, v85
	s_cbranch_execz .LBB1135_226
; %bb.223:
	s_mov_b32 s14, 0
	s_mov_b32 s12, exec_lo
	v_cmpx_lt_u32_e64 v9, v80
	s_cbranch_execz .LBB1135_225
; %bb.224:
	v_add_f64 v[12:13], v[36:37], 0
	v_add_f64 v[14:15], v[50:51], 0
	s_delay_alu instid0(VALU_DEP_2) | instskip(NEXT) | instid1(VALU_DEP_2)
	v_ashrrev_i32_e32 v18, 31, v13
	v_ashrrev_i32_e32 v19, 31, v15
	s_delay_alu instid0(VALU_DEP_2) | instskip(NEXT) | instid1(VALU_DEP_2)
	v_or_b32_e32 v22, 0x80000000, v18
	v_or_b32_e32 v23, 0x80000000, v19
	v_xor_b32_e32 v12, v18, v12
	v_xor_b32_e32 v14, v19, v14
	s_delay_alu instid0(VALU_DEP_4) | instskip(NEXT) | instid1(VALU_DEP_4)
	v_xor_b32_e32 v13, v22, v13
	v_xor_b32_e32 v15, v23, v15
	s_delay_alu instid0(VALU_DEP_1) | instskip(NEXT) | instid1(VALU_DEP_1)
	v_cmp_le_u64_e64 s7, v[12:13], v[14:15]
	s_and_b32 s14, s7, exec_lo
.LBB1135_225:
	s_or_b32 exec_lo, exec_lo, s12
	s_delay_alu instid0(SALU_CYCLE_1)
	s_or_not1_b32 s12, s14, exec_lo
.LBB1135_226:
	s_or_b32 exec_lo, exec_lo, s13
	v_cndmask_b32_e64 v12, v8, v9, s12
	v_cndmask_b32_e64 v13, v85, v80, s12
	s_mov_b32 s14, -1
	s_mov_b32 s13, -1
	s_mov_b32 s15, exec_lo
	v_add_nc_u32_e32 v22, 1, v12
	v_add_nc_u32_e32 v13, -1, v13
	v_lshl_add_u32 v12, v12, 3, v81
	s_delay_alu instid0(VALU_DEP_2)
	v_min_u32_e32 v13, v22, v13
	ds_load_b64 v[14:15], v12 offset:16384
	v_cndmask_b32_e64 v12, v22, v8, s12
	v_lshl_add_u32 v13, v13, 3, v81
	ds_load_b64 v[18:19], v13
	v_cndmask_b32_e64 v13, v9, v22, s12
	s_waitcnt lgkmcnt(0)
	v_cndmask_b32_e64 v39, v19, v37, s12
	v_cndmask_b32_e64 v38, v18, v36, s12
	;; [unrolled: 1-line block ×4, first 2 shown]
	v_cmpx_lt_u32_e64 v12, v85
	s_cbranch_execz .LBB1135_230
; %bb.227:
	s_mov_b32 s16, 0
	s_mov_b32 s13, exec_lo
	v_cmpx_lt_u32_e64 v13, v80
	s_cbranch_execz .LBB1135_229
; %bb.228:
	v_add_f64 v[8:9], v[38:39], 0
	v_add_f64 v[18:19], v[52:53], 0
	s_delay_alu instid0(VALU_DEP_2) | instskip(NEXT) | instid1(VALU_DEP_2)
	v_ashrrev_i32_e32 v22, 31, v9
	v_ashrrev_i32_e32 v23, 31, v19
	s_delay_alu instid0(VALU_DEP_2) | instskip(NEXT) | instid1(VALU_DEP_2)
	v_or_b32_e32 v32, 0x80000000, v22
	v_or_b32_e32 v33, 0x80000000, v23
	v_xor_b32_e32 v8, v22, v8
	v_xor_b32_e32 v18, v23, v18
	s_delay_alu instid0(VALU_DEP_4) | instskip(NEXT) | instid1(VALU_DEP_4)
	v_xor_b32_e32 v9, v32, v9
	v_xor_b32_e32 v19, v33, v19
	s_delay_alu instid0(VALU_DEP_1) | instskip(NEXT) | instid1(VALU_DEP_1)
	v_cmp_le_u64_e64 s7, v[8:9], v[18:19]
	s_and_b32 s16, s7, exec_lo
.LBB1135_229:
	s_or_b32 exec_lo, exec_lo, s13
	s_delay_alu instid0(SALU_CYCLE_1)
	s_or_not1_b32 s13, s16, exec_lo
.LBB1135_230:
	s_or_b32 exec_lo, exec_lo, s15
	v_cndmask_b32_e64 v8, v12, v13, s13
	v_cndmask_b32_e64 v9, v85, v80, s13
	s_mov_b32 s15, exec_lo
	s_delay_alu instid0(VALU_DEP_2) | instskip(NEXT) | instid1(VALU_DEP_2)
	v_add_nc_u32_e32 v22, 1, v8
	v_add_nc_u32_e32 v9, -1, v9
	v_lshl_add_u32 v8, v8, 3, v81
	s_delay_alu instid0(VALU_DEP_3) | instskip(NEXT) | instid1(VALU_DEP_3)
	v_cndmask_b32_e64 v12, v22, v12, s13
	v_min_u32_e32 v9, v22, v9
	v_cndmask_b32_e64 v13, v13, v22, s13
	s_delay_alu instid0(VALU_DEP_2)
	v_lshl_add_u32 v9, v9, 3, v81
	ds_load_b64 v[18:19], v9
	ds_load_b64 v[8:9], v8 offset:16384
	s_waitcnt lgkmcnt(1)
	v_cndmask_b32_e64 v33, v19, v39, s13
	v_cndmask_b32_e64 v32, v18, v38, s13
	;; [unrolled: 1-line block ×4, first 2 shown]
	v_cmpx_lt_u32_e64 v12, v85
	s_cbranch_execz .LBB1135_234
; %bb.231:
	s_mov_b32 s16, 0
	s_mov_b32 s14, exec_lo
	v_cmpx_lt_u32_e64 v13, v80
	s_cbranch_execz .LBB1135_233
; %bb.232:
	v_add_f64 v[18:19], v[32:33], 0
	v_add_f64 v[22:23], v[54:55], 0
	s_delay_alu instid0(VALU_DEP_2) | instskip(NEXT) | instid1(VALU_DEP_2)
	v_ashrrev_i32_e32 v48, 31, v19
	v_ashrrev_i32_e32 v49, 31, v23
	s_delay_alu instid0(VALU_DEP_2) | instskip(NEXT) | instid1(VALU_DEP_2)
	v_or_b32_e32 v64, 0x80000000, v48
	v_or_b32_e32 v65, 0x80000000, v49
	v_xor_b32_e32 v18, v48, v18
	v_xor_b32_e32 v22, v49, v22
	s_delay_alu instid0(VALU_DEP_4) | instskip(NEXT) | instid1(VALU_DEP_4)
	v_xor_b32_e32 v19, v64, v19
	v_xor_b32_e32 v23, v65, v23
	s_delay_alu instid0(VALU_DEP_1) | instskip(NEXT) | instid1(VALU_DEP_1)
	v_cmp_le_u64_e64 s7, v[18:19], v[22:23]
	s_and_b32 s16, s7, exec_lo
.LBB1135_233:
	s_or_b32 exec_lo, exec_lo, s14
	s_delay_alu instid0(SALU_CYCLE_1)
	s_or_not1_b32 s14, s16, exec_lo
.LBB1135_234:
	s_or_b32 exec_lo, exec_lo, s15
	v_cndmask_b32_e64 v18, v12, v13, s14
	v_cndmask_b32_e64 v19, v85, v80, s14
	s_mov_b32 s15, -1
	s_mov_b32 s16, -1
	s_mov_b32 s17, exec_lo
	v_add_nc_u32_e32 v23, 1, v18
	v_add_nc_u32_e32 v19, -1, v19
	v_lshl_add_u32 v18, v18, 3, v81
	s_delay_alu instid0(VALU_DEP_3) | instskip(NEXT) | instid1(VALU_DEP_3)
	v_cndmask_b32_e64 v22, v23, v12, s14
	v_min_u32_e32 v19, v23, v19
	v_cndmask_b32_e64 v23, v13, v23, s14
	s_delay_alu instid0(VALU_DEP_2)
	v_lshl_add_u32 v19, v19, 3, v81
	ds_load_b64 v[64:65], v19
	ds_load_b64 v[18:19], v18 offset:16384
	s_waitcnt lgkmcnt(1)
	v_cndmask_b32_e64 v49, v65, v33, s14
	v_cndmask_b32_e64 v48, v64, v32, s14
	;; [unrolled: 1-line block ×4, first 2 shown]
	v_cmpx_lt_u32_e64 v22, v85
	s_cbranch_execz .LBB1135_238
; %bb.235:
	s_mov_b32 s18, 0
	s_mov_b32 s16, exec_lo
	v_cmpx_lt_u32_e64 v23, v80
	s_cbranch_execz .LBB1135_237
; %bb.236:
	v_add_f64 v[12:13], v[48:49], 0
	v_add_f64 v[66:67], v[64:65], 0
	s_delay_alu instid0(VALU_DEP_2) | instskip(NEXT) | instid1(VALU_DEP_2)
	v_ashrrev_i32_e32 v68, 31, v13
	v_ashrrev_i32_e32 v69, 31, v67
	s_delay_alu instid0(VALU_DEP_2) | instskip(NEXT) | instid1(VALU_DEP_2)
	v_or_b32_e32 v71, 0x80000000, v68
	v_or_b32_e32 v82, 0x80000000, v69
	v_xor_b32_e32 v12, v68, v12
	v_xor_b32_e32 v66, v69, v66
	s_delay_alu instid0(VALU_DEP_4) | instskip(NEXT) | instid1(VALU_DEP_4)
	v_xor_b32_e32 v13, v71, v13
	v_xor_b32_e32 v67, v82, v67
	s_delay_alu instid0(VALU_DEP_1) | instskip(NEXT) | instid1(VALU_DEP_1)
	v_cmp_le_u64_e64 s7, v[12:13], v[66:67]
	s_and_b32 s18, s7, exec_lo
.LBB1135_237:
	s_or_b32 exec_lo, exec_lo, s16
	s_delay_alu instid0(SALU_CYCLE_1)
	s_or_not1_b32 s16, s18, exec_lo
.LBB1135_238:
	s_or_b32 exec_lo, exec_lo, s17
	v_cndmask_b32_e64 v12, v22, v23, s16
	v_cndmask_b32_e64 v13, v85, v80, s16
	s_mov_b32 s17, exec_lo
	s_delay_alu instid0(VALU_DEP_2) | instskip(NEXT) | instid1(VALU_DEP_2)
	v_add_nc_u32_e32 v66, 1, v12
	v_add_nc_u32_e32 v13, -1, v13
	v_lshl_add_u32 v12, v12, 3, v81
	s_delay_alu instid0(VALU_DEP_3) | instskip(NEXT) | instid1(VALU_DEP_3)
	v_cndmask_b32_e64 v22, v66, v22, s16
	v_min_u32_e32 v13, v66, v13
	v_cndmask_b32_e64 v23, v23, v66, s16
	s_delay_alu instid0(VALU_DEP_2)
	v_lshl_add_u32 v13, v13, 3, v81
	ds_load_b64 v[68:69], v13
	ds_load_b64 v[12:13], v12 offset:16384
	s_waitcnt lgkmcnt(1)
	v_cndmask_b32_e64 v67, v69, v49, s16
	v_cndmask_b32_e64 v66, v68, v48, s16
	;; [unrolled: 1-line block ×4, first 2 shown]
	v_cmpx_lt_u32_e64 v22, v85
	s_cbranch_execz .LBB1135_242
; %bb.239:
	s_mov_b32 s18, 0
	s_mov_b32 s15, exec_lo
	v_cmpx_lt_u32_e64 v23, v80
	s_cbranch_execz .LBB1135_241
; %bb.240:
	v_add_f64 v[82:83], v[66:67], 0
	v_add_f64 v[84:85], v[68:69], 0
	s_delay_alu instid0(VALU_DEP_2) | instskip(NEXT) | instid1(VALU_DEP_2)
	v_ashrrev_i32_e32 v71, 31, v83
	v_ashrrev_i32_e32 v80, 31, v85
	s_delay_alu instid0(VALU_DEP_2) | instskip(NEXT) | instid1(VALU_DEP_2)
	v_or_b32_e32 v86, 0x80000000, v71
	v_or_b32_e32 v87, 0x80000000, v80
	v_xor_b32_e32 v82, v71, v82
	v_xor_b32_e32 v84, v80, v84
	s_delay_alu instid0(VALU_DEP_4) | instskip(NEXT) | instid1(VALU_DEP_4)
	v_xor_b32_e32 v83, v86, v83
	v_xor_b32_e32 v85, v87, v85
	s_delay_alu instid0(VALU_DEP_1) | instskip(NEXT) | instid1(VALU_DEP_1)
	v_cmp_le_u64_e64 s7, v[82:83], v[84:85]
	s_and_b32 s18, s7, exec_lo
.LBB1135_241:
	s_or_b32 exec_lo, exec_lo, s15
	s_delay_alu instid0(SALU_CYCLE_1)
	s_or_not1_b32 s15, s18, exec_lo
.LBB1135_242:
	s_or_b32 exec_lo, exec_lo, s17
	v_cndmask_b32_e64 v22, v22, v23, s15
	v_cndmask_b32_e64 v49, v49, v65, s16
	;; [unrolled: 1-line block ×5, first 2 shown]
	v_lshl_add_u32 v22, v22, 3, v81
	v_cndmask_b32_e64 v39, v39, v53, s13
	v_cndmask_b32_e64 v38, v38, v52, s13
	;; [unrolled: 1-line block ×4, first 2 shown]
	ds_load_b64 v[22:23], v22 offset:16384
	v_cndmask_b32_e64 v37, v31, v35, s11
	v_cndmask_b32_e64 v36, v30, v34, s11
	;; [unrolled: 1-line block ×8, first 2 shown]
.LBB1135_243:
	s_or_b32 exec_lo, exec_lo, s9
	v_add_co_u32 v2, s7, v2, v24
	s_delay_alu instid0(VALU_DEP_1) | instskip(NEXT) | instid1(VALU_DEP_2)
	v_add_co_ci_u32_e64 v3, s7, v3, v25, s7
	v_add_co_u32 v2, s7, v2, v70
	s_delay_alu instid0(VALU_DEP_1)
	v_add_co_ci_u32_e64 v3, s7, 0, v3, s7
	; wave barrier
	s_waitcnt lgkmcnt(0)
	s_waitcnt_vscnt null, 0x0
	s_barrier
	buffer_gl0_inv
	; wave barrier
	s_and_saveexec_b32 s7, vcc_lo
	s_cbranch_execnz .LBB1135_268
; %bb.244:
	s_or_b32 exec_lo, exec_lo, s7
	s_and_saveexec_b32 s7, s0
	s_cbranch_execnz .LBB1135_269
.LBB1135_245:
	s_or_b32 exec_lo, exec_lo, s7
	s_and_saveexec_b32 s7, s1
	s_cbranch_execnz .LBB1135_270
.LBB1135_246:
	s_or_b32 exec_lo, exec_lo, s7
	s_and_saveexec_b32 s7, s2
	s_cbranch_execnz .LBB1135_271
.LBB1135_247:
	s_or_b32 exec_lo, exec_lo, s7
	s_and_saveexec_b32 s7, s3
	s_cbranch_execnz .LBB1135_272
.LBB1135_248:
	s_or_b32 exec_lo, exec_lo, s7
	s_and_saveexec_b32 s7, s4
	s_cbranch_execnz .LBB1135_273
.LBB1135_249:
	s_or_b32 exec_lo, exec_lo, s7
	s_and_saveexec_b32 s7, s5
	s_cbranch_execnz .LBB1135_274
.LBB1135_250:
	s_or_b32 exec_lo, exec_lo, s7
	s_and_saveexec_b32 s7, s6
	s_cbranch_execz .LBB1135_252
.LBB1135_251:
	flat_store_b64 v[2:3], v[28:29] offset:56
.LBB1135_252:
	s_or_b32 exec_lo, exec_lo, s7
	v_add_co_u32 v2, s7, v6, v24
	s_delay_alu instid0(VALU_DEP_1) | instskip(NEXT) | instid1(VALU_DEP_2)
	v_add_co_ci_u32_e64 v3, s7, v7, v25, s7
	v_add_co_u32 v2, s7, v2, v70
	s_delay_alu instid0(VALU_DEP_1)
	v_add_co_ci_u32_e64 v3, s7, 0, v3, s7
	; wave barrier
	s_and_saveexec_b32 s7, vcc_lo
	s_cbranch_execnz .LBB1135_275
; %bb.253:
	s_or_b32 exec_lo, exec_lo, s7
	s_and_saveexec_b32 s7, s0
	s_cbranch_execnz .LBB1135_276
.LBB1135_254:
	s_or_b32 exec_lo, exec_lo, s7
	s_and_saveexec_b32 s0, s1
	s_cbranch_execnz .LBB1135_277
.LBB1135_255:
	s_or_b32 exec_lo, exec_lo, s0
	s_and_saveexec_b32 s0, s2
	s_cbranch_execnz .LBB1135_278
.LBB1135_256:
	s_or_b32 exec_lo, exec_lo, s0
	s_and_saveexec_b32 s0, s3
	s_cbranch_execnz .LBB1135_279
.LBB1135_257:
	s_or_b32 exec_lo, exec_lo, s0
	s_and_saveexec_b32 s0, s4
	s_cbranch_execnz .LBB1135_280
.LBB1135_258:
	s_or_b32 exec_lo, exec_lo, s0
	s_and_saveexec_b32 s0, s5
	s_cbranch_execnz .LBB1135_281
.LBB1135_259:
	s_or_b32 exec_lo, exec_lo, s0
	s_and_saveexec_b32 s0, s6
	s_cbranch_execnz .LBB1135_282
.LBB1135_260:
	s_or_b32 exec_lo, exec_lo, s0
	s_waitcnt lgkmcnt(0)
	s_setpc_b64 s[30:31]
.LBB1135_261:
	flat_load_b64 v[0:1], v[52:53]
	s_or_b32 exec_lo, exec_lo, s7
	s_and_saveexec_b32 s7, s0
                                        ; implicit-def: $vgpr8_vgpr9_vgpr10_vgpr11
	s_cbranch_execz .LBB1135_18
.LBB1135_262:
	flat_load_b64 v[10:11], v[52:53] offset:8
	s_or_b32 exec_lo, exec_lo, s7
                                        ; implicit-def: $vgpr4_vgpr5
	s_and_saveexec_b32 s7, s1
	s_cbranch_execz .LBB1135_19
.LBB1135_263:
	flat_load_b64 v[4:5], v[52:53] offset:16
	s_or_b32 exec_lo, exec_lo, s7
	s_and_saveexec_b32 s7, s2
                                        ; implicit-def: $vgpr12_vgpr13_vgpr14_vgpr15
	s_cbranch_execz .LBB1135_20
.LBB1135_264:
	flat_load_b64 v[14:15], v[52:53] offset:24
	s_or_b32 exec_lo, exec_lo, s7
                                        ; implicit-def: $vgpr8_vgpr9
	s_and_saveexec_b32 s7, s3
	s_cbranch_execz .LBB1135_21
.LBB1135_265:
	flat_load_b64 v[8:9], v[52:53] offset:32
	s_or_b32 exec_lo, exec_lo, s7
	s_and_saveexec_b32 s7, s4
                                        ; implicit-def: $vgpr16_vgpr17_vgpr18_vgpr19
	s_cbranch_execz .LBB1135_22
.LBB1135_266:
	flat_load_b64 v[18:19], v[52:53] offset:40
	s_or_b32 exec_lo, exec_lo, s7
                                        ; implicit-def: $vgpr12_vgpr13
	s_and_saveexec_b32 s7, s5
	s_cbranch_execz .LBB1135_23
.LBB1135_267:
	flat_load_b64 v[12:13], v[52:53] offset:48
	s_or_b32 exec_lo, exec_lo, s7
	s_and_saveexec_b32 s7, s6
                                        ; implicit-def: $vgpr20_vgpr21_vgpr22_vgpr23
	s_cbranch_execnz .LBB1135_24
	s_branch .LBB1135_25
.LBB1135_268:
	flat_store_b64 v[2:3], v[26:27]
	s_or_b32 exec_lo, exec_lo, s7
	s_and_saveexec_b32 s7, s0
	s_cbranch_execz .LBB1135_245
.LBB1135_269:
	flat_store_b64 v[2:3], v[34:35] offset:8
	s_or_b32 exec_lo, exec_lo, s7
	s_and_saveexec_b32 s7, s1
	s_cbranch_execz .LBB1135_246
.LBB1135_270:
	flat_store_b64 v[2:3], v[36:37] offset:16
	s_or_b32 exec_lo, exec_lo, s7
	s_and_saveexec_b32 s7, s2
	s_cbranch_execz .LBB1135_247
.LBB1135_271:
	flat_store_b64 v[2:3], v[50:51] offset:24
	s_or_b32 exec_lo, exec_lo, s7
	s_and_saveexec_b32 s7, s3
	s_cbranch_execz .LBB1135_248
.LBB1135_272:
	flat_store_b64 v[2:3], v[38:39] offset:32
	s_or_b32 exec_lo, exec_lo, s7
	s_and_saveexec_b32 s7, s4
	s_cbranch_execz .LBB1135_249
.LBB1135_273:
	flat_store_b64 v[2:3], v[32:33] offset:40
	s_or_b32 exec_lo, exec_lo, s7
	s_and_saveexec_b32 s7, s5
	s_cbranch_execz .LBB1135_250
.LBB1135_274:
	flat_store_b64 v[2:3], v[48:49] offset:48
	s_or_b32 exec_lo, exec_lo, s7
	s_and_saveexec_b32 s7, s6
	s_cbranch_execnz .LBB1135_251
	s_branch .LBB1135_252
.LBB1135_275:
	flat_store_b64 v[2:3], v[0:1]
	s_or_b32 exec_lo, exec_lo, s7
	s_and_saveexec_b32 s7, s0
	s_cbranch_execz .LBB1135_254
.LBB1135_276:
	flat_store_b64 v[2:3], v[10:11] offset:8
	s_or_b32 exec_lo, exec_lo, s7
	s_and_saveexec_b32 s0, s1
	s_cbranch_execz .LBB1135_255
.LBB1135_277:
	flat_store_b64 v[2:3], v[4:5] offset:16
	s_or_b32 exec_lo, exec_lo, s0
	s_and_saveexec_b32 s0, s2
	s_cbranch_execz .LBB1135_256
.LBB1135_278:
	flat_store_b64 v[2:3], v[14:15] offset:24
	s_or_b32 exec_lo, exec_lo, s0
	s_and_saveexec_b32 s0, s3
	s_cbranch_execz .LBB1135_257
.LBB1135_279:
	flat_store_b64 v[2:3], v[8:9] offset:32
	s_or_b32 exec_lo, exec_lo, s0
	s_and_saveexec_b32 s0, s4
	s_cbranch_execz .LBB1135_258
.LBB1135_280:
	flat_store_b64 v[2:3], v[18:19] offset:40
	s_or_b32 exec_lo, exec_lo, s0
	s_and_saveexec_b32 s0, s5
	s_cbranch_execz .LBB1135_259
.LBB1135_281:
	flat_store_b64 v[2:3], v[12:13] offset:48
	s_or_b32 exec_lo, exec_lo, s0
	s_and_saveexec_b32 s0, s6
	s_cbranch_execz .LBB1135_260
.LBB1135_282:
	flat_store_b64 v[2:3], v[22:23] offset:56
	s_or_b32 exec_lo, exec_lo, s0
	s_waitcnt lgkmcnt(0)
	s_setpc_b64 s[30:31]
.Lfunc_end1135:
	.size	_ZN7rocprim17ROCPRIM_400000_NS6detail26segmented_warp_sort_helperINS1_20WarpSortHelperConfigILj16ELj8ELj256EEEdlLi256ELb1EvE4sortIPKdPdPKlPlEEvT_T0_T1_T2_jjjjRNS5_12storage_typeE, .Lfunc_end1135-_ZN7rocprim17ROCPRIM_400000_NS6detail26segmented_warp_sort_helperINS1_20WarpSortHelperConfigILj16ELj8ELj256EEEdlLi256ELb1EvE4sortIPKdPdPKlPlEEvT_T0_T1_T2_jjjjRNS5_12storage_typeE
                                        ; -- End function
	.section	.AMDGPU.csdata,"",@progbits
; Function info:
; codeLenInByte = 15864
; NumSgprs: 34
; NumVgprs: 101
; ScratchSize: 0
; MemoryBound: 0
	.section	.text._ZN7rocprim17ROCPRIM_400000_NS6detail17trampoline_kernelINS0_14default_configENS1_36segmented_radix_sort_config_selectorIdlEEZNS1_25segmented_radix_sort_implIS3_Lb1EPKdPdPKlPlN2at6native12_GLOBAL__N_18offset_tEEE10hipError_tPvRmT1_PNSt15iterator_traitsISK_E10value_typeET2_T3_PNSL_ISQ_E10value_typeET4_jRbjT5_SW_jjP12ihipStream_tbEUlT_E0_NS1_11comp_targetILNS1_3genE9ELNS1_11target_archE1100ELNS1_3gpuE3ELNS1_3repE0EEENS1_60segmented_radix_sort_warp_sort_medium_config_static_selectorELNS0_4arch9wavefront6targetE0EEEvSK_,"axG",@progbits,_ZN7rocprim17ROCPRIM_400000_NS6detail17trampoline_kernelINS0_14default_configENS1_36segmented_radix_sort_config_selectorIdlEEZNS1_25segmented_radix_sort_implIS3_Lb1EPKdPdPKlPlN2at6native12_GLOBAL__N_18offset_tEEE10hipError_tPvRmT1_PNSt15iterator_traitsISK_E10value_typeET2_T3_PNSL_ISQ_E10value_typeET4_jRbjT5_SW_jjP12ihipStream_tbEUlT_E0_NS1_11comp_targetILNS1_3genE9ELNS1_11target_archE1100ELNS1_3gpuE3ELNS1_3repE0EEENS1_60segmented_radix_sort_warp_sort_medium_config_static_selectorELNS0_4arch9wavefront6targetE0EEEvSK_,comdat
	.globl	_ZN7rocprim17ROCPRIM_400000_NS6detail17trampoline_kernelINS0_14default_configENS1_36segmented_radix_sort_config_selectorIdlEEZNS1_25segmented_radix_sort_implIS3_Lb1EPKdPdPKlPlN2at6native12_GLOBAL__N_18offset_tEEE10hipError_tPvRmT1_PNSt15iterator_traitsISK_E10value_typeET2_T3_PNSL_ISQ_E10value_typeET4_jRbjT5_SW_jjP12ihipStream_tbEUlT_E0_NS1_11comp_targetILNS1_3genE9ELNS1_11target_archE1100ELNS1_3gpuE3ELNS1_3repE0EEENS1_60segmented_radix_sort_warp_sort_medium_config_static_selectorELNS0_4arch9wavefront6targetE0EEEvSK_ ; -- Begin function _ZN7rocprim17ROCPRIM_400000_NS6detail17trampoline_kernelINS0_14default_configENS1_36segmented_radix_sort_config_selectorIdlEEZNS1_25segmented_radix_sort_implIS3_Lb1EPKdPdPKlPlN2at6native12_GLOBAL__N_18offset_tEEE10hipError_tPvRmT1_PNSt15iterator_traitsISK_E10value_typeET2_T3_PNSL_ISQ_E10value_typeET4_jRbjT5_SW_jjP12ihipStream_tbEUlT_E0_NS1_11comp_targetILNS1_3genE9ELNS1_11target_archE1100ELNS1_3gpuE3ELNS1_3repE0EEENS1_60segmented_radix_sort_warp_sort_medium_config_static_selectorELNS0_4arch9wavefront6targetE0EEEvSK_
	.p2align	8
	.type	_ZN7rocprim17ROCPRIM_400000_NS6detail17trampoline_kernelINS0_14default_configENS1_36segmented_radix_sort_config_selectorIdlEEZNS1_25segmented_radix_sort_implIS3_Lb1EPKdPdPKlPlN2at6native12_GLOBAL__N_18offset_tEEE10hipError_tPvRmT1_PNSt15iterator_traitsISK_E10value_typeET2_T3_PNSL_ISQ_E10value_typeET4_jRbjT5_SW_jjP12ihipStream_tbEUlT_E0_NS1_11comp_targetILNS1_3genE9ELNS1_11target_archE1100ELNS1_3gpuE3ELNS1_3repE0EEENS1_60segmented_radix_sort_warp_sort_medium_config_static_selectorELNS0_4arch9wavefront6targetE0EEEvSK_,@function
_ZN7rocprim17ROCPRIM_400000_NS6detail17trampoline_kernelINS0_14default_configENS1_36segmented_radix_sort_config_selectorIdlEEZNS1_25segmented_radix_sort_implIS3_Lb1EPKdPdPKlPlN2at6native12_GLOBAL__N_18offset_tEEE10hipError_tPvRmT1_PNSt15iterator_traitsISK_E10value_typeET2_T3_PNSL_ISQ_E10value_typeET4_jRbjT5_SW_jjP12ihipStream_tbEUlT_E0_NS1_11comp_targetILNS1_3genE9ELNS1_11target_archE1100ELNS1_3gpuE3ELNS1_3repE0EEENS1_60segmented_radix_sort_warp_sort_medium_config_static_selectorELNS0_4arch9wavefront6targetE0EEEvSK_: ; @_ZN7rocprim17ROCPRIM_400000_NS6detail17trampoline_kernelINS0_14default_configENS1_36segmented_radix_sort_config_selectorIdlEEZNS1_25segmented_radix_sort_implIS3_Lb1EPKdPdPKlPlN2at6native12_GLOBAL__N_18offset_tEEE10hipError_tPvRmT1_PNSt15iterator_traitsISK_E10value_typeET2_T3_PNSL_ISQ_E10value_typeET4_jRbjT5_SW_jjP12ihipStream_tbEUlT_E0_NS1_11comp_targetILNS1_3genE9ELNS1_11target_archE1100ELNS1_3gpuE3ELNS1_3repE0EEENS1_60segmented_radix_sort_warp_sort_medium_config_static_selectorELNS0_4arch9wavefront6targetE0EEEvSK_
; %bb.0:
	s_load_b32 s2, s[0:1], 0x64
	v_bfe_u32 v1, v0, 10, 10
	v_bfe_u32 v2, v0, 20, 10
	s_mov_b32 s32, 0
	s_waitcnt lgkmcnt(0)
	s_lshr_b32 s3, s2, 16
	s_and_b32 s2, s2, 0xffff
	v_mad_u32_u24 v4, v2, s3, v1
	v_and_b32_e32 v1, 0x3ff, v0
	s_load_b32 s3, s[0:1], 0x34
	s_delay_alu instid0(VALU_DEP_1) | instskip(SKIP_1) | instid1(VALU_DEP_1)
	v_mad_u64_u32 v[2:3], null, v4, s2, v[1:2]
	s_mov_b32 s2, exec_lo
	v_lshrrev_b32_e32 v1, 4, v2
	s_delay_alu instid0(VALU_DEP_1) | instskip(SKIP_1) | instid1(VALU_DEP_1)
	v_lshl_add_u32 v1, s14, 4, v1
	s_waitcnt lgkmcnt(0)
	v_cmpx_gt_u32_e64 s3, v1
	s_cbranch_execz .LBB1136_6
; %bb.1:
	s_clause 0x1
	s_load_b64 s[2:3], s[0:1], 0x38
	s_load_b128 s[4:7], s[0:1], 0x40
	v_mov_b32_e32 v2, 0
	s_delay_alu instid0(VALU_DEP_1) | instskip(SKIP_1) | instid1(VALU_DEP_1)
	v_lshlrev_b64 v[1:2], 2, v[1:2]
	s_waitcnt lgkmcnt(0)
	v_add_co_u32 v1, vcc_lo, s2, v1
	s_delay_alu instid0(VALU_DEP_2) | instskip(SKIP_4) | instid1(VALU_DEP_2)
	v_add_co_ci_u32_e32 v2, vcc_lo, s3, v2, vcc_lo
	global_load_b32 v1, v[1:2], off
	s_waitcnt vmcnt(0)
	v_add_nc_u32_e32 v2, s5, v1
	v_add_nc_u32_e32 v1, s7, v1
	v_mul_lo_u32 v40, v2, s4
	s_delay_alu instid0(VALU_DEP_2) | instskip(NEXT) | instid1(VALU_DEP_1)
	v_mul_lo_u32 v41, v1, s6
	v_cmp_gt_u32_e32 vcc_lo, v41, v40
	s_and_b32 exec_lo, exec_lo, vcc_lo
	s_cbranch_execz .LBB1136_6
; %bb.2:
	s_clause 0x2
	s_load_b32 s2, s[0:1], 0x30
	s_load_b128 s[36:39], s[0:1], 0x20
	s_load_b256 s[20:27], s[0:1], 0x0
	s_waitcnt lgkmcnt(0)
	s_bitcmp0_b32 s2, 0
	s_mov_b32 s2, -1
	s_cbranch_scc0 .LBB1136_4
; %bb.3:
	v_mov_b32_e32 v31, v0
	v_dual_mov_b32 v42, v0 :: v_dual_mov_b32 v1, s21
	v_mov_b32_e32 v0, s20
	v_dual_mov_b32 v2, s22 :: v_dual_mov_b32 v3, s23
	v_dual_mov_b32 v4, s26 :: v_dual_mov_b32 v5, s27
	;; [unrolled: 1-line block ×4, first 2 shown]
	s_add_u32 s8, s0, 0x58
	s_addc_u32 s9, s1, 0
	s_mov_b32 s12, s14
	s_mov_b32 s13, s15
	s_getpc_b64 s[2:3]
	s_add_u32 s2, s2, _ZN7rocprim17ROCPRIM_400000_NS6detail26segmented_warp_sort_helperINS1_20WarpSortHelperConfigILj16ELj8ELj256EEEdlLi256ELb1EvE4sortIPKdPdPKlPlEEvT_T0_T1_T2_jjjjRNS5_12storage_typeE@rel32@lo+4
	s_addc_u32 s3, s3, _ZN7rocprim17ROCPRIM_400000_NS6detail26segmented_warp_sort_helperINS1_20WarpSortHelperConfigILj16ELj8ELj256EEEdlLi256ELb1EvE4sortIPKdPdPKlPlEEvT_T0_T1_T2_jjjjRNS5_12storage_typeE@rel32@hi+12
	s_mov_b64 s[22:23], s[0:1]
	s_mov_b32 s19, s15
	s_mov_b32 s28, s14
	s_swappc_b64 s[30:31], s[2:3]
	v_mov_b32_e32 v0, v42
	s_mov_b32 s14, s28
	s_mov_b32 s15, s19
	s_mov_b64 s[0:1], s[22:23]
	s_mov_b32 s2, 0
.LBB1136_4:
	s_delay_alu instid0(SALU_CYCLE_1)
	s_and_not1_b32 vcc_lo, exec_lo, s2
	s_cbranch_vccnz .LBB1136_6
; %bb.5:
	v_dual_mov_b32 v31, v0 :: v_dual_mov_b32 v0, s20
	v_dual_mov_b32 v1, s21 :: v_dual_mov_b32 v2, s24
	;; [unrolled: 1-line block ×5, first 2 shown]
	v_mov_b32_e32 v9, v41
	s_add_u32 s8, s0, 0x58
	s_addc_u32 s9, s1, 0
	s_mov_b32 s12, s14
	s_mov_b32 s13, s15
	s_getpc_b64 s[0:1]
	s_add_u32 s0, s0, _ZN7rocprim17ROCPRIM_400000_NS6detail26segmented_warp_sort_helperINS1_20WarpSortHelperConfigILj16ELj8ELj256EEEdlLi256ELb1EvE4sortIPKdPdPKlPlEEvT_T0_T1_T2_jjjjRNS5_12storage_typeE@rel32@lo+4
	s_addc_u32 s1, s1, _ZN7rocprim17ROCPRIM_400000_NS6detail26segmented_warp_sort_helperINS1_20WarpSortHelperConfigILj16ELj8ELj256EEEdlLi256ELb1EvE4sortIPKdPdPKlPlEEvT_T0_T1_T2_jjjjRNS5_12storage_typeE@rel32@hi+12
	s_delay_alu instid0(SALU_CYCLE_1)
	s_swappc_b64 s[30:31], s[0:1]
.LBB1136_6:
	s_endpgm
	.section	.rodata,"a",@progbits
	.p2align	6, 0x0
	.amdhsa_kernel _ZN7rocprim17ROCPRIM_400000_NS6detail17trampoline_kernelINS0_14default_configENS1_36segmented_radix_sort_config_selectorIdlEEZNS1_25segmented_radix_sort_implIS3_Lb1EPKdPdPKlPlN2at6native12_GLOBAL__N_18offset_tEEE10hipError_tPvRmT1_PNSt15iterator_traitsISK_E10value_typeET2_T3_PNSL_ISQ_E10value_typeET4_jRbjT5_SW_jjP12ihipStream_tbEUlT_E0_NS1_11comp_targetILNS1_3genE9ELNS1_11target_archE1100ELNS1_3gpuE3ELNS1_3repE0EEENS1_60segmented_radix_sort_warp_sort_medium_config_static_selectorELNS0_4arch9wavefront6targetE0EEEvSK_
		.amdhsa_group_segment_fixed_size 32768
		.amdhsa_private_segment_fixed_size 0
		.amdhsa_kernarg_size 344
		.amdhsa_user_sgpr_count 14
		.amdhsa_user_sgpr_dispatch_ptr 0
		.amdhsa_user_sgpr_queue_ptr 0
		.amdhsa_user_sgpr_kernarg_segment_ptr 1
		.amdhsa_user_sgpr_dispatch_id 0
		.amdhsa_user_sgpr_private_segment_size 0
		.amdhsa_wavefront_size32 1
		.amdhsa_uses_dynamic_stack 0
		.amdhsa_enable_private_segment 0
		.amdhsa_system_sgpr_workgroup_id_x 1
		.amdhsa_system_sgpr_workgroup_id_y 1
		.amdhsa_system_sgpr_workgroup_id_z 0
		.amdhsa_system_sgpr_workgroup_info 0
		.amdhsa_system_vgpr_workitem_id 2
		.amdhsa_next_free_vgpr 101
		.amdhsa_next_free_sgpr 40
		.amdhsa_reserve_vcc 1
		.amdhsa_float_round_mode_32 0
		.amdhsa_float_round_mode_16_64 0
		.amdhsa_float_denorm_mode_32 3
		.amdhsa_float_denorm_mode_16_64 3
		.amdhsa_dx10_clamp 1
		.amdhsa_ieee_mode 1
		.amdhsa_fp16_overflow 0
		.amdhsa_workgroup_processor_mode 1
		.amdhsa_memory_ordered 1
		.amdhsa_forward_progress 0
		.amdhsa_shared_vgpr_count 0
		.amdhsa_exception_fp_ieee_invalid_op 0
		.amdhsa_exception_fp_denorm_src 0
		.amdhsa_exception_fp_ieee_div_zero 0
		.amdhsa_exception_fp_ieee_overflow 0
		.amdhsa_exception_fp_ieee_underflow 0
		.amdhsa_exception_fp_ieee_inexact 0
		.amdhsa_exception_int_div_zero 0
	.end_amdhsa_kernel
	.section	.text._ZN7rocprim17ROCPRIM_400000_NS6detail17trampoline_kernelINS0_14default_configENS1_36segmented_radix_sort_config_selectorIdlEEZNS1_25segmented_radix_sort_implIS3_Lb1EPKdPdPKlPlN2at6native12_GLOBAL__N_18offset_tEEE10hipError_tPvRmT1_PNSt15iterator_traitsISK_E10value_typeET2_T3_PNSL_ISQ_E10value_typeET4_jRbjT5_SW_jjP12ihipStream_tbEUlT_E0_NS1_11comp_targetILNS1_3genE9ELNS1_11target_archE1100ELNS1_3gpuE3ELNS1_3repE0EEENS1_60segmented_radix_sort_warp_sort_medium_config_static_selectorELNS0_4arch9wavefront6targetE0EEEvSK_,"axG",@progbits,_ZN7rocprim17ROCPRIM_400000_NS6detail17trampoline_kernelINS0_14default_configENS1_36segmented_radix_sort_config_selectorIdlEEZNS1_25segmented_radix_sort_implIS3_Lb1EPKdPdPKlPlN2at6native12_GLOBAL__N_18offset_tEEE10hipError_tPvRmT1_PNSt15iterator_traitsISK_E10value_typeET2_T3_PNSL_ISQ_E10value_typeET4_jRbjT5_SW_jjP12ihipStream_tbEUlT_E0_NS1_11comp_targetILNS1_3genE9ELNS1_11target_archE1100ELNS1_3gpuE3ELNS1_3repE0EEENS1_60segmented_radix_sort_warp_sort_medium_config_static_selectorELNS0_4arch9wavefront6targetE0EEEvSK_,comdat
.Lfunc_end1136:
	.size	_ZN7rocprim17ROCPRIM_400000_NS6detail17trampoline_kernelINS0_14default_configENS1_36segmented_radix_sort_config_selectorIdlEEZNS1_25segmented_radix_sort_implIS3_Lb1EPKdPdPKlPlN2at6native12_GLOBAL__N_18offset_tEEE10hipError_tPvRmT1_PNSt15iterator_traitsISK_E10value_typeET2_T3_PNSL_ISQ_E10value_typeET4_jRbjT5_SW_jjP12ihipStream_tbEUlT_E0_NS1_11comp_targetILNS1_3genE9ELNS1_11target_archE1100ELNS1_3gpuE3ELNS1_3repE0EEENS1_60segmented_radix_sort_warp_sort_medium_config_static_selectorELNS0_4arch9wavefront6targetE0EEEvSK_, .Lfunc_end1136-_ZN7rocprim17ROCPRIM_400000_NS6detail17trampoline_kernelINS0_14default_configENS1_36segmented_radix_sort_config_selectorIdlEEZNS1_25segmented_radix_sort_implIS3_Lb1EPKdPdPKlPlN2at6native12_GLOBAL__N_18offset_tEEE10hipError_tPvRmT1_PNSt15iterator_traitsISK_E10value_typeET2_T3_PNSL_ISQ_E10value_typeET4_jRbjT5_SW_jjP12ihipStream_tbEUlT_E0_NS1_11comp_targetILNS1_3genE9ELNS1_11target_archE1100ELNS1_3gpuE3ELNS1_3repE0EEENS1_60segmented_radix_sort_warp_sort_medium_config_static_selectorELNS0_4arch9wavefront6targetE0EEEvSK_
                                        ; -- End function
	.section	.AMDGPU.csdata,"",@progbits
; Kernel info:
; codeLenInByte = 500
; NumSgprs: 42
; NumVgprs: 101
; ScratchSize: 0
; MemoryBound: 0
; FloatMode: 240
; IeeeMode: 1
; LDSByteSize: 32768 bytes/workgroup (compile time only)
; SGPRBlocks: 5
; VGPRBlocks: 12
; NumSGPRsForWavesPerEU: 42
; NumVGPRsForWavesPerEU: 101
; Occupancy: 8
; WaveLimiterHint : 0
; COMPUTE_PGM_RSRC2:SCRATCH_EN: 0
; COMPUTE_PGM_RSRC2:USER_SGPR: 14
; COMPUTE_PGM_RSRC2:TRAP_HANDLER: 0
; COMPUTE_PGM_RSRC2:TGID_X_EN: 1
; COMPUTE_PGM_RSRC2:TGID_Y_EN: 1
; COMPUTE_PGM_RSRC2:TGID_Z_EN: 0
; COMPUTE_PGM_RSRC2:TIDIG_COMP_CNT: 2
	.section	.text._ZN7rocprim17ROCPRIM_400000_NS6detail17trampoline_kernelINS0_14default_configENS1_36segmented_radix_sort_config_selectorIdlEEZNS1_25segmented_radix_sort_implIS3_Lb1EPKdPdPKlPlN2at6native12_GLOBAL__N_18offset_tEEE10hipError_tPvRmT1_PNSt15iterator_traitsISK_E10value_typeET2_T3_PNSL_ISQ_E10value_typeET4_jRbjT5_SW_jjP12ihipStream_tbEUlT_E0_NS1_11comp_targetILNS1_3genE8ELNS1_11target_archE1030ELNS1_3gpuE2ELNS1_3repE0EEENS1_60segmented_radix_sort_warp_sort_medium_config_static_selectorELNS0_4arch9wavefront6targetE0EEEvSK_,"axG",@progbits,_ZN7rocprim17ROCPRIM_400000_NS6detail17trampoline_kernelINS0_14default_configENS1_36segmented_radix_sort_config_selectorIdlEEZNS1_25segmented_radix_sort_implIS3_Lb1EPKdPdPKlPlN2at6native12_GLOBAL__N_18offset_tEEE10hipError_tPvRmT1_PNSt15iterator_traitsISK_E10value_typeET2_T3_PNSL_ISQ_E10value_typeET4_jRbjT5_SW_jjP12ihipStream_tbEUlT_E0_NS1_11comp_targetILNS1_3genE8ELNS1_11target_archE1030ELNS1_3gpuE2ELNS1_3repE0EEENS1_60segmented_radix_sort_warp_sort_medium_config_static_selectorELNS0_4arch9wavefront6targetE0EEEvSK_,comdat
	.globl	_ZN7rocprim17ROCPRIM_400000_NS6detail17trampoline_kernelINS0_14default_configENS1_36segmented_radix_sort_config_selectorIdlEEZNS1_25segmented_radix_sort_implIS3_Lb1EPKdPdPKlPlN2at6native12_GLOBAL__N_18offset_tEEE10hipError_tPvRmT1_PNSt15iterator_traitsISK_E10value_typeET2_T3_PNSL_ISQ_E10value_typeET4_jRbjT5_SW_jjP12ihipStream_tbEUlT_E0_NS1_11comp_targetILNS1_3genE8ELNS1_11target_archE1030ELNS1_3gpuE2ELNS1_3repE0EEENS1_60segmented_radix_sort_warp_sort_medium_config_static_selectorELNS0_4arch9wavefront6targetE0EEEvSK_ ; -- Begin function _ZN7rocprim17ROCPRIM_400000_NS6detail17trampoline_kernelINS0_14default_configENS1_36segmented_radix_sort_config_selectorIdlEEZNS1_25segmented_radix_sort_implIS3_Lb1EPKdPdPKlPlN2at6native12_GLOBAL__N_18offset_tEEE10hipError_tPvRmT1_PNSt15iterator_traitsISK_E10value_typeET2_T3_PNSL_ISQ_E10value_typeET4_jRbjT5_SW_jjP12ihipStream_tbEUlT_E0_NS1_11comp_targetILNS1_3genE8ELNS1_11target_archE1030ELNS1_3gpuE2ELNS1_3repE0EEENS1_60segmented_radix_sort_warp_sort_medium_config_static_selectorELNS0_4arch9wavefront6targetE0EEEvSK_
	.p2align	8
	.type	_ZN7rocprim17ROCPRIM_400000_NS6detail17trampoline_kernelINS0_14default_configENS1_36segmented_radix_sort_config_selectorIdlEEZNS1_25segmented_radix_sort_implIS3_Lb1EPKdPdPKlPlN2at6native12_GLOBAL__N_18offset_tEEE10hipError_tPvRmT1_PNSt15iterator_traitsISK_E10value_typeET2_T3_PNSL_ISQ_E10value_typeET4_jRbjT5_SW_jjP12ihipStream_tbEUlT_E0_NS1_11comp_targetILNS1_3genE8ELNS1_11target_archE1030ELNS1_3gpuE2ELNS1_3repE0EEENS1_60segmented_radix_sort_warp_sort_medium_config_static_selectorELNS0_4arch9wavefront6targetE0EEEvSK_,@function
_ZN7rocprim17ROCPRIM_400000_NS6detail17trampoline_kernelINS0_14default_configENS1_36segmented_radix_sort_config_selectorIdlEEZNS1_25segmented_radix_sort_implIS3_Lb1EPKdPdPKlPlN2at6native12_GLOBAL__N_18offset_tEEE10hipError_tPvRmT1_PNSt15iterator_traitsISK_E10value_typeET2_T3_PNSL_ISQ_E10value_typeET4_jRbjT5_SW_jjP12ihipStream_tbEUlT_E0_NS1_11comp_targetILNS1_3genE8ELNS1_11target_archE1030ELNS1_3gpuE2ELNS1_3repE0EEENS1_60segmented_radix_sort_warp_sort_medium_config_static_selectorELNS0_4arch9wavefront6targetE0EEEvSK_: ; @_ZN7rocprim17ROCPRIM_400000_NS6detail17trampoline_kernelINS0_14default_configENS1_36segmented_radix_sort_config_selectorIdlEEZNS1_25segmented_radix_sort_implIS3_Lb1EPKdPdPKlPlN2at6native12_GLOBAL__N_18offset_tEEE10hipError_tPvRmT1_PNSt15iterator_traitsISK_E10value_typeET2_T3_PNSL_ISQ_E10value_typeET4_jRbjT5_SW_jjP12ihipStream_tbEUlT_E0_NS1_11comp_targetILNS1_3genE8ELNS1_11target_archE1030ELNS1_3gpuE2ELNS1_3repE0EEENS1_60segmented_radix_sort_warp_sort_medium_config_static_selectorELNS0_4arch9wavefront6targetE0EEEvSK_
; %bb.0:
	.section	.rodata,"a",@progbits
	.p2align	6, 0x0
	.amdhsa_kernel _ZN7rocprim17ROCPRIM_400000_NS6detail17trampoline_kernelINS0_14default_configENS1_36segmented_radix_sort_config_selectorIdlEEZNS1_25segmented_radix_sort_implIS3_Lb1EPKdPdPKlPlN2at6native12_GLOBAL__N_18offset_tEEE10hipError_tPvRmT1_PNSt15iterator_traitsISK_E10value_typeET2_T3_PNSL_ISQ_E10value_typeET4_jRbjT5_SW_jjP12ihipStream_tbEUlT_E0_NS1_11comp_targetILNS1_3genE8ELNS1_11target_archE1030ELNS1_3gpuE2ELNS1_3repE0EEENS1_60segmented_radix_sort_warp_sort_medium_config_static_selectorELNS0_4arch9wavefront6targetE0EEEvSK_
		.amdhsa_group_segment_fixed_size 0
		.amdhsa_private_segment_fixed_size 0
		.amdhsa_kernarg_size 88
		.amdhsa_user_sgpr_count 15
		.amdhsa_user_sgpr_dispatch_ptr 0
		.amdhsa_user_sgpr_queue_ptr 0
		.amdhsa_user_sgpr_kernarg_segment_ptr 1
		.amdhsa_user_sgpr_dispatch_id 0
		.amdhsa_user_sgpr_private_segment_size 0
		.amdhsa_wavefront_size32 1
		.amdhsa_uses_dynamic_stack 0
		.amdhsa_enable_private_segment 0
		.amdhsa_system_sgpr_workgroup_id_x 1
		.amdhsa_system_sgpr_workgroup_id_y 0
		.amdhsa_system_sgpr_workgroup_id_z 0
		.amdhsa_system_sgpr_workgroup_info 0
		.amdhsa_system_vgpr_workitem_id 0
		.amdhsa_next_free_vgpr 1
		.amdhsa_next_free_sgpr 1
		.amdhsa_reserve_vcc 0
		.amdhsa_float_round_mode_32 0
		.amdhsa_float_round_mode_16_64 0
		.amdhsa_float_denorm_mode_32 3
		.amdhsa_float_denorm_mode_16_64 3
		.amdhsa_dx10_clamp 1
		.amdhsa_ieee_mode 1
		.amdhsa_fp16_overflow 0
		.amdhsa_workgroup_processor_mode 1
		.amdhsa_memory_ordered 1
		.amdhsa_forward_progress 0
		.amdhsa_shared_vgpr_count 0
		.amdhsa_exception_fp_ieee_invalid_op 0
		.amdhsa_exception_fp_denorm_src 0
		.amdhsa_exception_fp_ieee_div_zero 0
		.amdhsa_exception_fp_ieee_overflow 0
		.amdhsa_exception_fp_ieee_underflow 0
		.amdhsa_exception_fp_ieee_inexact 0
		.amdhsa_exception_int_div_zero 0
	.end_amdhsa_kernel
	.section	.text._ZN7rocprim17ROCPRIM_400000_NS6detail17trampoline_kernelINS0_14default_configENS1_36segmented_radix_sort_config_selectorIdlEEZNS1_25segmented_radix_sort_implIS3_Lb1EPKdPdPKlPlN2at6native12_GLOBAL__N_18offset_tEEE10hipError_tPvRmT1_PNSt15iterator_traitsISK_E10value_typeET2_T3_PNSL_ISQ_E10value_typeET4_jRbjT5_SW_jjP12ihipStream_tbEUlT_E0_NS1_11comp_targetILNS1_3genE8ELNS1_11target_archE1030ELNS1_3gpuE2ELNS1_3repE0EEENS1_60segmented_radix_sort_warp_sort_medium_config_static_selectorELNS0_4arch9wavefront6targetE0EEEvSK_,"axG",@progbits,_ZN7rocprim17ROCPRIM_400000_NS6detail17trampoline_kernelINS0_14default_configENS1_36segmented_radix_sort_config_selectorIdlEEZNS1_25segmented_radix_sort_implIS3_Lb1EPKdPdPKlPlN2at6native12_GLOBAL__N_18offset_tEEE10hipError_tPvRmT1_PNSt15iterator_traitsISK_E10value_typeET2_T3_PNSL_ISQ_E10value_typeET4_jRbjT5_SW_jjP12ihipStream_tbEUlT_E0_NS1_11comp_targetILNS1_3genE8ELNS1_11target_archE1030ELNS1_3gpuE2ELNS1_3repE0EEENS1_60segmented_radix_sort_warp_sort_medium_config_static_selectorELNS0_4arch9wavefront6targetE0EEEvSK_,comdat
.Lfunc_end1137:
	.size	_ZN7rocprim17ROCPRIM_400000_NS6detail17trampoline_kernelINS0_14default_configENS1_36segmented_radix_sort_config_selectorIdlEEZNS1_25segmented_radix_sort_implIS3_Lb1EPKdPdPKlPlN2at6native12_GLOBAL__N_18offset_tEEE10hipError_tPvRmT1_PNSt15iterator_traitsISK_E10value_typeET2_T3_PNSL_ISQ_E10value_typeET4_jRbjT5_SW_jjP12ihipStream_tbEUlT_E0_NS1_11comp_targetILNS1_3genE8ELNS1_11target_archE1030ELNS1_3gpuE2ELNS1_3repE0EEENS1_60segmented_radix_sort_warp_sort_medium_config_static_selectorELNS0_4arch9wavefront6targetE0EEEvSK_, .Lfunc_end1137-_ZN7rocprim17ROCPRIM_400000_NS6detail17trampoline_kernelINS0_14default_configENS1_36segmented_radix_sort_config_selectorIdlEEZNS1_25segmented_radix_sort_implIS3_Lb1EPKdPdPKlPlN2at6native12_GLOBAL__N_18offset_tEEE10hipError_tPvRmT1_PNSt15iterator_traitsISK_E10value_typeET2_T3_PNSL_ISQ_E10value_typeET4_jRbjT5_SW_jjP12ihipStream_tbEUlT_E0_NS1_11comp_targetILNS1_3genE8ELNS1_11target_archE1030ELNS1_3gpuE2ELNS1_3repE0EEENS1_60segmented_radix_sort_warp_sort_medium_config_static_selectorELNS0_4arch9wavefront6targetE0EEEvSK_
                                        ; -- End function
	.section	.AMDGPU.csdata,"",@progbits
; Kernel info:
; codeLenInByte = 0
; NumSgprs: 0
; NumVgprs: 0
; ScratchSize: 0
; MemoryBound: 0
; FloatMode: 240
; IeeeMode: 1
; LDSByteSize: 0 bytes/workgroup (compile time only)
; SGPRBlocks: 0
; VGPRBlocks: 0
; NumSGPRsForWavesPerEU: 1
; NumVGPRsForWavesPerEU: 1
; Occupancy: 16
; WaveLimiterHint : 0
; COMPUTE_PGM_RSRC2:SCRATCH_EN: 0
; COMPUTE_PGM_RSRC2:USER_SGPR: 15
; COMPUTE_PGM_RSRC2:TRAP_HANDLER: 0
; COMPUTE_PGM_RSRC2:TGID_X_EN: 1
; COMPUTE_PGM_RSRC2:TGID_Y_EN: 0
; COMPUTE_PGM_RSRC2:TGID_Z_EN: 0
; COMPUTE_PGM_RSRC2:TIDIG_COMP_CNT: 0
	.section	.text._ZN7rocprim17ROCPRIM_400000_NS6detail17trampoline_kernelINS0_14default_configENS1_36segmented_radix_sort_config_selectorIdlEEZNS1_25segmented_radix_sort_implIS3_Lb1EPKdPdPKlPlN2at6native12_GLOBAL__N_18offset_tEEE10hipError_tPvRmT1_PNSt15iterator_traitsISK_E10value_typeET2_T3_PNSL_ISQ_E10value_typeET4_jRbjT5_SW_jjP12ihipStream_tbEUlT_E1_NS1_11comp_targetILNS1_3genE0ELNS1_11target_archE4294967295ELNS1_3gpuE0ELNS1_3repE0EEENS1_59segmented_radix_sort_warp_sort_small_config_static_selectorELNS0_4arch9wavefront6targetE0EEEvSK_,"axG",@progbits,_ZN7rocprim17ROCPRIM_400000_NS6detail17trampoline_kernelINS0_14default_configENS1_36segmented_radix_sort_config_selectorIdlEEZNS1_25segmented_radix_sort_implIS3_Lb1EPKdPdPKlPlN2at6native12_GLOBAL__N_18offset_tEEE10hipError_tPvRmT1_PNSt15iterator_traitsISK_E10value_typeET2_T3_PNSL_ISQ_E10value_typeET4_jRbjT5_SW_jjP12ihipStream_tbEUlT_E1_NS1_11comp_targetILNS1_3genE0ELNS1_11target_archE4294967295ELNS1_3gpuE0ELNS1_3repE0EEENS1_59segmented_radix_sort_warp_sort_small_config_static_selectorELNS0_4arch9wavefront6targetE0EEEvSK_,comdat
	.globl	_ZN7rocprim17ROCPRIM_400000_NS6detail17trampoline_kernelINS0_14default_configENS1_36segmented_radix_sort_config_selectorIdlEEZNS1_25segmented_radix_sort_implIS3_Lb1EPKdPdPKlPlN2at6native12_GLOBAL__N_18offset_tEEE10hipError_tPvRmT1_PNSt15iterator_traitsISK_E10value_typeET2_T3_PNSL_ISQ_E10value_typeET4_jRbjT5_SW_jjP12ihipStream_tbEUlT_E1_NS1_11comp_targetILNS1_3genE0ELNS1_11target_archE4294967295ELNS1_3gpuE0ELNS1_3repE0EEENS1_59segmented_radix_sort_warp_sort_small_config_static_selectorELNS0_4arch9wavefront6targetE0EEEvSK_ ; -- Begin function _ZN7rocprim17ROCPRIM_400000_NS6detail17trampoline_kernelINS0_14default_configENS1_36segmented_radix_sort_config_selectorIdlEEZNS1_25segmented_radix_sort_implIS3_Lb1EPKdPdPKlPlN2at6native12_GLOBAL__N_18offset_tEEE10hipError_tPvRmT1_PNSt15iterator_traitsISK_E10value_typeET2_T3_PNSL_ISQ_E10value_typeET4_jRbjT5_SW_jjP12ihipStream_tbEUlT_E1_NS1_11comp_targetILNS1_3genE0ELNS1_11target_archE4294967295ELNS1_3gpuE0ELNS1_3repE0EEENS1_59segmented_radix_sort_warp_sort_small_config_static_selectorELNS0_4arch9wavefront6targetE0EEEvSK_
	.p2align	8
	.type	_ZN7rocprim17ROCPRIM_400000_NS6detail17trampoline_kernelINS0_14default_configENS1_36segmented_radix_sort_config_selectorIdlEEZNS1_25segmented_radix_sort_implIS3_Lb1EPKdPdPKlPlN2at6native12_GLOBAL__N_18offset_tEEE10hipError_tPvRmT1_PNSt15iterator_traitsISK_E10value_typeET2_T3_PNSL_ISQ_E10value_typeET4_jRbjT5_SW_jjP12ihipStream_tbEUlT_E1_NS1_11comp_targetILNS1_3genE0ELNS1_11target_archE4294967295ELNS1_3gpuE0ELNS1_3repE0EEENS1_59segmented_radix_sort_warp_sort_small_config_static_selectorELNS0_4arch9wavefront6targetE0EEEvSK_,@function
_ZN7rocprim17ROCPRIM_400000_NS6detail17trampoline_kernelINS0_14default_configENS1_36segmented_radix_sort_config_selectorIdlEEZNS1_25segmented_radix_sort_implIS3_Lb1EPKdPdPKlPlN2at6native12_GLOBAL__N_18offset_tEEE10hipError_tPvRmT1_PNSt15iterator_traitsISK_E10value_typeET2_T3_PNSL_ISQ_E10value_typeET4_jRbjT5_SW_jjP12ihipStream_tbEUlT_E1_NS1_11comp_targetILNS1_3genE0ELNS1_11target_archE4294967295ELNS1_3gpuE0ELNS1_3repE0EEENS1_59segmented_radix_sort_warp_sort_small_config_static_selectorELNS0_4arch9wavefront6targetE0EEEvSK_: ; @_ZN7rocprim17ROCPRIM_400000_NS6detail17trampoline_kernelINS0_14default_configENS1_36segmented_radix_sort_config_selectorIdlEEZNS1_25segmented_radix_sort_implIS3_Lb1EPKdPdPKlPlN2at6native12_GLOBAL__N_18offset_tEEE10hipError_tPvRmT1_PNSt15iterator_traitsISK_E10value_typeET2_T3_PNSL_ISQ_E10value_typeET4_jRbjT5_SW_jjP12ihipStream_tbEUlT_E1_NS1_11comp_targetILNS1_3genE0ELNS1_11target_archE4294967295ELNS1_3gpuE0ELNS1_3repE0EEENS1_59segmented_radix_sort_warp_sort_small_config_static_selectorELNS0_4arch9wavefront6targetE0EEEvSK_
; %bb.0:
	.section	.rodata,"a",@progbits
	.p2align	6, 0x0
	.amdhsa_kernel _ZN7rocprim17ROCPRIM_400000_NS6detail17trampoline_kernelINS0_14default_configENS1_36segmented_radix_sort_config_selectorIdlEEZNS1_25segmented_radix_sort_implIS3_Lb1EPKdPdPKlPlN2at6native12_GLOBAL__N_18offset_tEEE10hipError_tPvRmT1_PNSt15iterator_traitsISK_E10value_typeET2_T3_PNSL_ISQ_E10value_typeET4_jRbjT5_SW_jjP12ihipStream_tbEUlT_E1_NS1_11comp_targetILNS1_3genE0ELNS1_11target_archE4294967295ELNS1_3gpuE0ELNS1_3repE0EEENS1_59segmented_radix_sort_warp_sort_small_config_static_selectorELNS0_4arch9wavefront6targetE0EEEvSK_
		.amdhsa_group_segment_fixed_size 0
		.amdhsa_private_segment_fixed_size 0
		.amdhsa_kernarg_size 88
		.amdhsa_user_sgpr_count 15
		.amdhsa_user_sgpr_dispatch_ptr 0
		.amdhsa_user_sgpr_queue_ptr 0
		.amdhsa_user_sgpr_kernarg_segment_ptr 1
		.amdhsa_user_sgpr_dispatch_id 0
		.amdhsa_user_sgpr_private_segment_size 0
		.amdhsa_wavefront_size32 1
		.amdhsa_uses_dynamic_stack 0
		.amdhsa_enable_private_segment 0
		.amdhsa_system_sgpr_workgroup_id_x 1
		.amdhsa_system_sgpr_workgroup_id_y 0
		.amdhsa_system_sgpr_workgroup_id_z 0
		.amdhsa_system_sgpr_workgroup_info 0
		.amdhsa_system_vgpr_workitem_id 0
		.amdhsa_next_free_vgpr 1
		.amdhsa_next_free_sgpr 1
		.amdhsa_reserve_vcc 0
		.amdhsa_float_round_mode_32 0
		.amdhsa_float_round_mode_16_64 0
		.amdhsa_float_denorm_mode_32 3
		.amdhsa_float_denorm_mode_16_64 3
		.amdhsa_dx10_clamp 1
		.amdhsa_ieee_mode 1
		.amdhsa_fp16_overflow 0
		.amdhsa_workgroup_processor_mode 1
		.amdhsa_memory_ordered 1
		.amdhsa_forward_progress 0
		.amdhsa_shared_vgpr_count 0
		.amdhsa_exception_fp_ieee_invalid_op 0
		.amdhsa_exception_fp_denorm_src 0
		.amdhsa_exception_fp_ieee_div_zero 0
		.amdhsa_exception_fp_ieee_overflow 0
		.amdhsa_exception_fp_ieee_underflow 0
		.amdhsa_exception_fp_ieee_inexact 0
		.amdhsa_exception_int_div_zero 0
	.end_amdhsa_kernel
	.section	.text._ZN7rocprim17ROCPRIM_400000_NS6detail17trampoline_kernelINS0_14default_configENS1_36segmented_radix_sort_config_selectorIdlEEZNS1_25segmented_radix_sort_implIS3_Lb1EPKdPdPKlPlN2at6native12_GLOBAL__N_18offset_tEEE10hipError_tPvRmT1_PNSt15iterator_traitsISK_E10value_typeET2_T3_PNSL_ISQ_E10value_typeET4_jRbjT5_SW_jjP12ihipStream_tbEUlT_E1_NS1_11comp_targetILNS1_3genE0ELNS1_11target_archE4294967295ELNS1_3gpuE0ELNS1_3repE0EEENS1_59segmented_radix_sort_warp_sort_small_config_static_selectorELNS0_4arch9wavefront6targetE0EEEvSK_,"axG",@progbits,_ZN7rocprim17ROCPRIM_400000_NS6detail17trampoline_kernelINS0_14default_configENS1_36segmented_radix_sort_config_selectorIdlEEZNS1_25segmented_radix_sort_implIS3_Lb1EPKdPdPKlPlN2at6native12_GLOBAL__N_18offset_tEEE10hipError_tPvRmT1_PNSt15iterator_traitsISK_E10value_typeET2_T3_PNSL_ISQ_E10value_typeET4_jRbjT5_SW_jjP12ihipStream_tbEUlT_E1_NS1_11comp_targetILNS1_3genE0ELNS1_11target_archE4294967295ELNS1_3gpuE0ELNS1_3repE0EEENS1_59segmented_radix_sort_warp_sort_small_config_static_selectorELNS0_4arch9wavefront6targetE0EEEvSK_,comdat
.Lfunc_end1138:
	.size	_ZN7rocprim17ROCPRIM_400000_NS6detail17trampoline_kernelINS0_14default_configENS1_36segmented_radix_sort_config_selectorIdlEEZNS1_25segmented_radix_sort_implIS3_Lb1EPKdPdPKlPlN2at6native12_GLOBAL__N_18offset_tEEE10hipError_tPvRmT1_PNSt15iterator_traitsISK_E10value_typeET2_T3_PNSL_ISQ_E10value_typeET4_jRbjT5_SW_jjP12ihipStream_tbEUlT_E1_NS1_11comp_targetILNS1_3genE0ELNS1_11target_archE4294967295ELNS1_3gpuE0ELNS1_3repE0EEENS1_59segmented_radix_sort_warp_sort_small_config_static_selectorELNS0_4arch9wavefront6targetE0EEEvSK_, .Lfunc_end1138-_ZN7rocprim17ROCPRIM_400000_NS6detail17trampoline_kernelINS0_14default_configENS1_36segmented_radix_sort_config_selectorIdlEEZNS1_25segmented_radix_sort_implIS3_Lb1EPKdPdPKlPlN2at6native12_GLOBAL__N_18offset_tEEE10hipError_tPvRmT1_PNSt15iterator_traitsISK_E10value_typeET2_T3_PNSL_ISQ_E10value_typeET4_jRbjT5_SW_jjP12ihipStream_tbEUlT_E1_NS1_11comp_targetILNS1_3genE0ELNS1_11target_archE4294967295ELNS1_3gpuE0ELNS1_3repE0EEENS1_59segmented_radix_sort_warp_sort_small_config_static_selectorELNS0_4arch9wavefront6targetE0EEEvSK_
                                        ; -- End function
	.section	.AMDGPU.csdata,"",@progbits
; Kernel info:
; codeLenInByte = 0
; NumSgprs: 0
; NumVgprs: 0
; ScratchSize: 0
; MemoryBound: 0
; FloatMode: 240
; IeeeMode: 1
; LDSByteSize: 0 bytes/workgroup (compile time only)
; SGPRBlocks: 0
; VGPRBlocks: 0
; NumSGPRsForWavesPerEU: 1
; NumVGPRsForWavesPerEU: 1
; Occupancy: 16
; WaveLimiterHint : 0
; COMPUTE_PGM_RSRC2:SCRATCH_EN: 0
; COMPUTE_PGM_RSRC2:USER_SGPR: 15
; COMPUTE_PGM_RSRC2:TRAP_HANDLER: 0
; COMPUTE_PGM_RSRC2:TGID_X_EN: 1
; COMPUTE_PGM_RSRC2:TGID_Y_EN: 0
; COMPUTE_PGM_RSRC2:TGID_Z_EN: 0
; COMPUTE_PGM_RSRC2:TIDIG_COMP_CNT: 0
	.section	.text._ZN7rocprim17ROCPRIM_400000_NS6detail17trampoline_kernelINS0_14default_configENS1_36segmented_radix_sort_config_selectorIdlEEZNS1_25segmented_radix_sort_implIS3_Lb1EPKdPdPKlPlN2at6native12_GLOBAL__N_18offset_tEEE10hipError_tPvRmT1_PNSt15iterator_traitsISK_E10value_typeET2_T3_PNSL_ISQ_E10value_typeET4_jRbjT5_SW_jjP12ihipStream_tbEUlT_E1_NS1_11comp_targetILNS1_3genE5ELNS1_11target_archE942ELNS1_3gpuE9ELNS1_3repE0EEENS1_59segmented_radix_sort_warp_sort_small_config_static_selectorELNS0_4arch9wavefront6targetE0EEEvSK_,"axG",@progbits,_ZN7rocprim17ROCPRIM_400000_NS6detail17trampoline_kernelINS0_14default_configENS1_36segmented_radix_sort_config_selectorIdlEEZNS1_25segmented_radix_sort_implIS3_Lb1EPKdPdPKlPlN2at6native12_GLOBAL__N_18offset_tEEE10hipError_tPvRmT1_PNSt15iterator_traitsISK_E10value_typeET2_T3_PNSL_ISQ_E10value_typeET4_jRbjT5_SW_jjP12ihipStream_tbEUlT_E1_NS1_11comp_targetILNS1_3genE5ELNS1_11target_archE942ELNS1_3gpuE9ELNS1_3repE0EEENS1_59segmented_radix_sort_warp_sort_small_config_static_selectorELNS0_4arch9wavefront6targetE0EEEvSK_,comdat
	.globl	_ZN7rocprim17ROCPRIM_400000_NS6detail17trampoline_kernelINS0_14default_configENS1_36segmented_radix_sort_config_selectorIdlEEZNS1_25segmented_radix_sort_implIS3_Lb1EPKdPdPKlPlN2at6native12_GLOBAL__N_18offset_tEEE10hipError_tPvRmT1_PNSt15iterator_traitsISK_E10value_typeET2_T3_PNSL_ISQ_E10value_typeET4_jRbjT5_SW_jjP12ihipStream_tbEUlT_E1_NS1_11comp_targetILNS1_3genE5ELNS1_11target_archE942ELNS1_3gpuE9ELNS1_3repE0EEENS1_59segmented_radix_sort_warp_sort_small_config_static_selectorELNS0_4arch9wavefront6targetE0EEEvSK_ ; -- Begin function _ZN7rocprim17ROCPRIM_400000_NS6detail17trampoline_kernelINS0_14default_configENS1_36segmented_radix_sort_config_selectorIdlEEZNS1_25segmented_radix_sort_implIS3_Lb1EPKdPdPKlPlN2at6native12_GLOBAL__N_18offset_tEEE10hipError_tPvRmT1_PNSt15iterator_traitsISK_E10value_typeET2_T3_PNSL_ISQ_E10value_typeET4_jRbjT5_SW_jjP12ihipStream_tbEUlT_E1_NS1_11comp_targetILNS1_3genE5ELNS1_11target_archE942ELNS1_3gpuE9ELNS1_3repE0EEENS1_59segmented_radix_sort_warp_sort_small_config_static_selectorELNS0_4arch9wavefront6targetE0EEEvSK_
	.p2align	8
	.type	_ZN7rocprim17ROCPRIM_400000_NS6detail17trampoline_kernelINS0_14default_configENS1_36segmented_radix_sort_config_selectorIdlEEZNS1_25segmented_radix_sort_implIS3_Lb1EPKdPdPKlPlN2at6native12_GLOBAL__N_18offset_tEEE10hipError_tPvRmT1_PNSt15iterator_traitsISK_E10value_typeET2_T3_PNSL_ISQ_E10value_typeET4_jRbjT5_SW_jjP12ihipStream_tbEUlT_E1_NS1_11comp_targetILNS1_3genE5ELNS1_11target_archE942ELNS1_3gpuE9ELNS1_3repE0EEENS1_59segmented_radix_sort_warp_sort_small_config_static_selectorELNS0_4arch9wavefront6targetE0EEEvSK_,@function
_ZN7rocprim17ROCPRIM_400000_NS6detail17trampoline_kernelINS0_14default_configENS1_36segmented_radix_sort_config_selectorIdlEEZNS1_25segmented_radix_sort_implIS3_Lb1EPKdPdPKlPlN2at6native12_GLOBAL__N_18offset_tEEE10hipError_tPvRmT1_PNSt15iterator_traitsISK_E10value_typeET2_T3_PNSL_ISQ_E10value_typeET4_jRbjT5_SW_jjP12ihipStream_tbEUlT_E1_NS1_11comp_targetILNS1_3genE5ELNS1_11target_archE942ELNS1_3gpuE9ELNS1_3repE0EEENS1_59segmented_radix_sort_warp_sort_small_config_static_selectorELNS0_4arch9wavefront6targetE0EEEvSK_: ; @_ZN7rocprim17ROCPRIM_400000_NS6detail17trampoline_kernelINS0_14default_configENS1_36segmented_radix_sort_config_selectorIdlEEZNS1_25segmented_radix_sort_implIS3_Lb1EPKdPdPKlPlN2at6native12_GLOBAL__N_18offset_tEEE10hipError_tPvRmT1_PNSt15iterator_traitsISK_E10value_typeET2_T3_PNSL_ISQ_E10value_typeET4_jRbjT5_SW_jjP12ihipStream_tbEUlT_E1_NS1_11comp_targetILNS1_3genE5ELNS1_11target_archE942ELNS1_3gpuE9ELNS1_3repE0EEENS1_59segmented_radix_sort_warp_sort_small_config_static_selectorELNS0_4arch9wavefront6targetE0EEEvSK_
; %bb.0:
	.section	.rodata,"a",@progbits
	.p2align	6, 0x0
	.amdhsa_kernel _ZN7rocprim17ROCPRIM_400000_NS6detail17trampoline_kernelINS0_14default_configENS1_36segmented_radix_sort_config_selectorIdlEEZNS1_25segmented_radix_sort_implIS3_Lb1EPKdPdPKlPlN2at6native12_GLOBAL__N_18offset_tEEE10hipError_tPvRmT1_PNSt15iterator_traitsISK_E10value_typeET2_T3_PNSL_ISQ_E10value_typeET4_jRbjT5_SW_jjP12ihipStream_tbEUlT_E1_NS1_11comp_targetILNS1_3genE5ELNS1_11target_archE942ELNS1_3gpuE9ELNS1_3repE0EEENS1_59segmented_radix_sort_warp_sort_small_config_static_selectorELNS0_4arch9wavefront6targetE0EEEvSK_
		.amdhsa_group_segment_fixed_size 0
		.amdhsa_private_segment_fixed_size 0
		.amdhsa_kernarg_size 88
		.amdhsa_user_sgpr_count 15
		.amdhsa_user_sgpr_dispatch_ptr 0
		.amdhsa_user_sgpr_queue_ptr 0
		.amdhsa_user_sgpr_kernarg_segment_ptr 1
		.amdhsa_user_sgpr_dispatch_id 0
		.amdhsa_user_sgpr_private_segment_size 0
		.amdhsa_wavefront_size32 1
		.amdhsa_uses_dynamic_stack 0
		.amdhsa_enable_private_segment 0
		.amdhsa_system_sgpr_workgroup_id_x 1
		.amdhsa_system_sgpr_workgroup_id_y 0
		.amdhsa_system_sgpr_workgroup_id_z 0
		.amdhsa_system_sgpr_workgroup_info 0
		.amdhsa_system_vgpr_workitem_id 0
		.amdhsa_next_free_vgpr 1
		.amdhsa_next_free_sgpr 1
		.amdhsa_reserve_vcc 0
		.amdhsa_float_round_mode_32 0
		.amdhsa_float_round_mode_16_64 0
		.amdhsa_float_denorm_mode_32 3
		.amdhsa_float_denorm_mode_16_64 3
		.amdhsa_dx10_clamp 1
		.amdhsa_ieee_mode 1
		.amdhsa_fp16_overflow 0
		.amdhsa_workgroup_processor_mode 1
		.amdhsa_memory_ordered 1
		.amdhsa_forward_progress 0
		.amdhsa_shared_vgpr_count 0
		.amdhsa_exception_fp_ieee_invalid_op 0
		.amdhsa_exception_fp_denorm_src 0
		.amdhsa_exception_fp_ieee_div_zero 0
		.amdhsa_exception_fp_ieee_overflow 0
		.amdhsa_exception_fp_ieee_underflow 0
		.amdhsa_exception_fp_ieee_inexact 0
		.amdhsa_exception_int_div_zero 0
	.end_amdhsa_kernel
	.section	.text._ZN7rocprim17ROCPRIM_400000_NS6detail17trampoline_kernelINS0_14default_configENS1_36segmented_radix_sort_config_selectorIdlEEZNS1_25segmented_radix_sort_implIS3_Lb1EPKdPdPKlPlN2at6native12_GLOBAL__N_18offset_tEEE10hipError_tPvRmT1_PNSt15iterator_traitsISK_E10value_typeET2_T3_PNSL_ISQ_E10value_typeET4_jRbjT5_SW_jjP12ihipStream_tbEUlT_E1_NS1_11comp_targetILNS1_3genE5ELNS1_11target_archE942ELNS1_3gpuE9ELNS1_3repE0EEENS1_59segmented_radix_sort_warp_sort_small_config_static_selectorELNS0_4arch9wavefront6targetE0EEEvSK_,"axG",@progbits,_ZN7rocprim17ROCPRIM_400000_NS6detail17trampoline_kernelINS0_14default_configENS1_36segmented_radix_sort_config_selectorIdlEEZNS1_25segmented_radix_sort_implIS3_Lb1EPKdPdPKlPlN2at6native12_GLOBAL__N_18offset_tEEE10hipError_tPvRmT1_PNSt15iterator_traitsISK_E10value_typeET2_T3_PNSL_ISQ_E10value_typeET4_jRbjT5_SW_jjP12ihipStream_tbEUlT_E1_NS1_11comp_targetILNS1_3genE5ELNS1_11target_archE942ELNS1_3gpuE9ELNS1_3repE0EEENS1_59segmented_radix_sort_warp_sort_small_config_static_selectorELNS0_4arch9wavefront6targetE0EEEvSK_,comdat
.Lfunc_end1139:
	.size	_ZN7rocprim17ROCPRIM_400000_NS6detail17trampoline_kernelINS0_14default_configENS1_36segmented_radix_sort_config_selectorIdlEEZNS1_25segmented_radix_sort_implIS3_Lb1EPKdPdPKlPlN2at6native12_GLOBAL__N_18offset_tEEE10hipError_tPvRmT1_PNSt15iterator_traitsISK_E10value_typeET2_T3_PNSL_ISQ_E10value_typeET4_jRbjT5_SW_jjP12ihipStream_tbEUlT_E1_NS1_11comp_targetILNS1_3genE5ELNS1_11target_archE942ELNS1_3gpuE9ELNS1_3repE0EEENS1_59segmented_radix_sort_warp_sort_small_config_static_selectorELNS0_4arch9wavefront6targetE0EEEvSK_, .Lfunc_end1139-_ZN7rocprim17ROCPRIM_400000_NS6detail17trampoline_kernelINS0_14default_configENS1_36segmented_radix_sort_config_selectorIdlEEZNS1_25segmented_radix_sort_implIS3_Lb1EPKdPdPKlPlN2at6native12_GLOBAL__N_18offset_tEEE10hipError_tPvRmT1_PNSt15iterator_traitsISK_E10value_typeET2_T3_PNSL_ISQ_E10value_typeET4_jRbjT5_SW_jjP12ihipStream_tbEUlT_E1_NS1_11comp_targetILNS1_3genE5ELNS1_11target_archE942ELNS1_3gpuE9ELNS1_3repE0EEENS1_59segmented_radix_sort_warp_sort_small_config_static_selectorELNS0_4arch9wavefront6targetE0EEEvSK_
                                        ; -- End function
	.section	.AMDGPU.csdata,"",@progbits
; Kernel info:
; codeLenInByte = 0
; NumSgprs: 0
; NumVgprs: 0
; ScratchSize: 0
; MemoryBound: 0
; FloatMode: 240
; IeeeMode: 1
; LDSByteSize: 0 bytes/workgroup (compile time only)
; SGPRBlocks: 0
; VGPRBlocks: 0
; NumSGPRsForWavesPerEU: 1
; NumVGPRsForWavesPerEU: 1
; Occupancy: 16
; WaveLimiterHint : 0
; COMPUTE_PGM_RSRC2:SCRATCH_EN: 0
; COMPUTE_PGM_RSRC2:USER_SGPR: 15
; COMPUTE_PGM_RSRC2:TRAP_HANDLER: 0
; COMPUTE_PGM_RSRC2:TGID_X_EN: 1
; COMPUTE_PGM_RSRC2:TGID_Y_EN: 0
; COMPUTE_PGM_RSRC2:TGID_Z_EN: 0
; COMPUTE_PGM_RSRC2:TIDIG_COMP_CNT: 0
	.section	.text._ZN7rocprim17ROCPRIM_400000_NS6detail17trampoline_kernelINS0_14default_configENS1_36segmented_radix_sort_config_selectorIdlEEZNS1_25segmented_radix_sort_implIS3_Lb1EPKdPdPKlPlN2at6native12_GLOBAL__N_18offset_tEEE10hipError_tPvRmT1_PNSt15iterator_traitsISK_E10value_typeET2_T3_PNSL_ISQ_E10value_typeET4_jRbjT5_SW_jjP12ihipStream_tbEUlT_E1_NS1_11comp_targetILNS1_3genE4ELNS1_11target_archE910ELNS1_3gpuE8ELNS1_3repE0EEENS1_59segmented_radix_sort_warp_sort_small_config_static_selectorELNS0_4arch9wavefront6targetE0EEEvSK_,"axG",@progbits,_ZN7rocprim17ROCPRIM_400000_NS6detail17trampoline_kernelINS0_14default_configENS1_36segmented_radix_sort_config_selectorIdlEEZNS1_25segmented_radix_sort_implIS3_Lb1EPKdPdPKlPlN2at6native12_GLOBAL__N_18offset_tEEE10hipError_tPvRmT1_PNSt15iterator_traitsISK_E10value_typeET2_T3_PNSL_ISQ_E10value_typeET4_jRbjT5_SW_jjP12ihipStream_tbEUlT_E1_NS1_11comp_targetILNS1_3genE4ELNS1_11target_archE910ELNS1_3gpuE8ELNS1_3repE0EEENS1_59segmented_radix_sort_warp_sort_small_config_static_selectorELNS0_4arch9wavefront6targetE0EEEvSK_,comdat
	.globl	_ZN7rocprim17ROCPRIM_400000_NS6detail17trampoline_kernelINS0_14default_configENS1_36segmented_radix_sort_config_selectorIdlEEZNS1_25segmented_radix_sort_implIS3_Lb1EPKdPdPKlPlN2at6native12_GLOBAL__N_18offset_tEEE10hipError_tPvRmT1_PNSt15iterator_traitsISK_E10value_typeET2_T3_PNSL_ISQ_E10value_typeET4_jRbjT5_SW_jjP12ihipStream_tbEUlT_E1_NS1_11comp_targetILNS1_3genE4ELNS1_11target_archE910ELNS1_3gpuE8ELNS1_3repE0EEENS1_59segmented_radix_sort_warp_sort_small_config_static_selectorELNS0_4arch9wavefront6targetE0EEEvSK_ ; -- Begin function _ZN7rocprim17ROCPRIM_400000_NS6detail17trampoline_kernelINS0_14default_configENS1_36segmented_radix_sort_config_selectorIdlEEZNS1_25segmented_radix_sort_implIS3_Lb1EPKdPdPKlPlN2at6native12_GLOBAL__N_18offset_tEEE10hipError_tPvRmT1_PNSt15iterator_traitsISK_E10value_typeET2_T3_PNSL_ISQ_E10value_typeET4_jRbjT5_SW_jjP12ihipStream_tbEUlT_E1_NS1_11comp_targetILNS1_3genE4ELNS1_11target_archE910ELNS1_3gpuE8ELNS1_3repE0EEENS1_59segmented_radix_sort_warp_sort_small_config_static_selectorELNS0_4arch9wavefront6targetE0EEEvSK_
	.p2align	8
	.type	_ZN7rocprim17ROCPRIM_400000_NS6detail17trampoline_kernelINS0_14default_configENS1_36segmented_radix_sort_config_selectorIdlEEZNS1_25segmented_radix_sort_implIS3_Lb1EPKdPdPKlPlN2at6native12_GLOBAL__N_18offset_tEEE10hipError_tPvRmT1_PNSt15iterator_traitsISK_E10value_typeET2_T3_PNSL_ISQ_E10value_typeET4_jRbjT5_SW_jjP12ihipStream_tbEUlT_E1_NS1_11comp_targetILNS1_3genE4ELNS1_11target_archE910ELNS1_3gpuE8ELNS1_3repE0EEENS1_59segmented_radix_sort_warp_sort_small_config_static_selectorELNS0_4arch9wavefront6targetE0EEEvSK_,@function
_ZN7rocprim17ROCPRIM_400000_NS6detail17trampoline_kernelINS0_14default_configENS1_36segmented_radix_sort_config_selectorIdlEEZNS1_25segmented_radix_sort_implIS3_Lb1EPKdPdPKlPlN2at6native12_GLOBAL__N_18offset_tEEE10hipError_tPvRmT1_PNSt15iterator_traitsISK_E10value_typeET2_T3_PNSL_ISQ_E10value_typeET4_jRbjT5_SW_jjP12ihipStream_tbEUlT_E1_NS1_11comp_targetILNS1_3genE4ELNS1_11target_archE910ELNS1_3gpuE8ELNS1_3repE0EEENS1_59segmented_radix_sort_warp_sort_small_config_static_selectorELNS0_4arch9wavefront6targetE0EEEvSK_: ; @_ZN7rocprim17ROCPRIM_400000_NS6detail17trampoline_kernelINS0_14default_configENS1_36segmented_radix_sort_config_selectorIdlEEZNS1_25segmented_radix_sort_implIS3_Lb1EPKdPdPKlPlN2at6native12_GLOBAL__N_18offset_tEEE10hipError_tPvRmT1_PNSt15iterator_traitsISK_E10value_typeET2_T3_PNSL_ISQ_E10value_typeET4_jRbjT5_SW_jjP12ihipStream_tbEUlT_E1_NS1_11comp_targetILNS1_3genE4ELNS1_11target_archE910ELNS1_3gpuE8ELNS1_3repE0EEENS1_59segmented_radix_sort_warp_sort_small_config_static_selectorELNS0_4arch9wavefront6targetE0EEEvSK_
; %bb.0:
	.section	.rodata,"a",@progbits
	.p2align	6, 0x0
	.amdhsa_kernel _ZN7rocprim17ROCPRIM_400000_NS6detail17trampoline_kernelINS0_14default_configENS1_36segmented_radix_sort_config_selectorIdlEEZNS1_25segmented_radix_sort_implIS3_Lb1EPKdPdPKlPlN2at6native12_GLOBAL__N_18offset_tEEE10hipError_tPvRmT1_PNSt15iterator_traitsISK_E10value_typeET2_T3_PNSL_ISQ_E10value_typeET4_jRbjT5_SW_jjP12ihipStream_tbEUlT_E1_NS1_11comp_targetILNS1_3genE4ELNS1_11target_archE910ELNS1_3gpuE8ELNS1_3repE0EEENS1_59segmented_radix_sort_warp_sort_small_config_static_selectorELNS0_4arch9wavefront6targetE0EEEvSK_
		.amdhsa_group_segment_fixed_size 0
		.amdhsa_private_segment_fixed_size 0
		.amdhsa_kernarg_size 88
		.amdhsa_user_sgpr_count 15
		.amdhsa_user_sgpr_dispatch_ptr 0
		.amdhsa_user_sgpr_queue_ptr 0
		.amdhsa_user_sgpr_kernarg_segment_ptr 1
		.amdhsa_user_sgpr_dispatch_id 0
		.amdhsa_user_sgpr_private_segment_size 0
		.amdhsa_wavefront_size32 1
		.amdhsa_uses_dynamic_stack 0
		.amdhsa_enable_private_segment 0
		.amdhsa_system_sgpr_workgroup_id_x 1
		.amdhsa_system_sgpr_workgroup_id_y 0
		.amdhsa_system_sgpr_workgroup_id_z 0
		.amdhsa_system_sgpr_workgroup_info 0
		.amdhsa_system_vgpr_workitem_id 0
		.amdhsa_next_free_vgpr 1
		.amdhsa_next_free_sgpr 1
		.amdhsa_reserve_vcc 0
		.amdhsa_float_round_mode_32 0
		.amdhsa_float_round_mode_16_64 0
		.amdhsa_float_denorm_mode_32 3
		.amdhsa_float_denorm_mode_16_64 3
		.amdhsa_dx10_clamp 1
		.amdhsa_ieee_mode 1
		.amdhsa_fp16_overflow 0
		.amdhsa_workgroup_processor_mode 1
		.amdhsa_memory_ordered 1
		.amdhsa_forward_progress 0
		.amdhsa_shared_vgpr_count 0
		.amdhsa_exception_fp_ieee_invalid_op 0
		.amdhsa_exception_fp_denorm_src 0
		.amdhsa_exception_fp_ieee_div_zero 0
		.amdhsa_exception_fp_ieee_overflow 0
		.amdhsa_exception_fp_ieee_underflow 0
		.amdhsa_exception_fp_ieee_inexact 0
		.amdhsa_exception_int_div_zero 0
	.end_amdhsa_kernel
	.section	.text._ZN7rocprim17ROCPRIM_400000_NS6detail17trampoline_kernelINS0_14default_configENS1_36segmented_radix_sort_config_selectorIdlEEZNS1_25segmented_radix_sort_implIS3_Lb1EPKdPdPKlPlN2at6native12_GLOBAL__N_18offset_tEEE10hipError_tPvRmT1_PNSt15iterator_traitsISK_E10value_typeET2_T3_PNSL_ISQ_E10value_typeET4_jRbjT5_SW_jjP12ihipStream_tbEUlT_E1_NS1_11comp_targetILNS1_3genE4ELNS1_11target_archE910ELNS1_3gpuE8ELNS1_3repE0EEENS1_59segmented_radix_sort_warp_sort_small_config_static_selectorELNS0_4arch9wavefront6targetE0EEEvSK_,"axG",@progbits,_ZN7rocprim17ROCPRIM_400000_NS6detail17trampoline_kernelINS0_14default_configENS1_36segmented_radix_sort_config_selectorIdlEEZNS1_25segmented_radix_sort_implIS3_Lb1EPKdPdPKlPlN2at6native12_GLOBAL__N_18offset_tEEE10hipError_tPvRmT1_PNSt15iterator_traitsISK_E10value_typeET2_T3_PNSL_ISQ_E10value_typeET4_jRbjT5_SW_jjP12ihipStream_tbEUlT_E1_NS1_11comp_targetILNS1_3genE4ELNS1_11target_archE910ELNS1_3gpuE8ELNS1_3repE0EEENS1_59segmented_radix_sort_warp_sort_small_config_static_selectorELNS0_4arch9wavefront6targetE0EEEvSK_,comdat
.Lfunc_end1140:
	.size	_ZN7rocprim17ROCPRIM_400000_NS6detail17trampoline_kernelINS0_14default_configENS1_36segmented_radix_sort_config_selectorIdlEEZNS1_25segmented_radix_sort_implIS3_Lb1EPKdPdPKlPlN2at6native12_GLOBAL__N_18offset_tEEE10hipError_tPvRmT1_PNSt15iterator_traitsISK_E10value_typeET2_T3_PNSL_ISQ_E10value_typeET4_jRbjT5_SW_jjP12ihipStream_tbEUlT_E1_NS1_11comp_targetILNS1_3genE4ELNS1_11target_archE910ELNS1_3gpuE8ELNS1_3repE0EEENS1_59segmented_radix_sort_warp_sort_small_config_static_selectorELNS0_4arch9wavefront6targetE0EEEvSK_, .Lfunc_end1140-_ZN7rocprim17ROCPRIM_400000_NS6detail17trampoline_kernelINS0_14default_configENS1_36segmented_radix_sort_config_selectorIdlEEZNS1_25segmented_radix_sort_implIS3_Lb1EPKdPdPKlPlN2at6native12_GLOBAL__N_18offset_tEEE10hipError_tPvRmT1_PNSt15iterator_traitsISK_E10value_typeET2_T3_PNSL_ISQ_E10value_typeET4_jRbjT5_SW_jjP12ihipStream_tbEUlT_E1_NS1_11comp_targetILNS1_3genE4ELNS1_11target_archE910ELNS1_3gpuE8ELNS1_3repE0EEENS1_59segmented_radix_sort_warp_sort_small_config_static_selectorELNS0_4arch9wavefront6targetE0EEEvSK_
                                        ; -- End function
	.section	.AMDGPU.csdata,"",@progbits
; Kernel info:
; codeLenInByte = 0
; NumSgprs: 0
; NumVgprs: 0
; ScratchSize: 0
; MemoryBound: 0
; FloatMode: 240
; IeeeMode: 1
; LDSByteSize: 0 bytes/workgroup (compile time only)
; SGPRBlocks: 0
; VGPRBlocks: 0
; NumSGPRsForWavesPerEU: 1
; NumVGPRsForWavesPerEU: 1
; Occupancy: 16
; WaveLimiterHint : 0
; COMPUTE_PGM_RSRC2:SCRATCH_EN: 0
; COMPUTE_PGM_RSRC2:USER_SGPR: 15
; COMPUTE_PGM_RSRC2:TRAP_HANDLER: 0
; COMPUTE_PGM_RSRC2:TGID_X_EN: 1
; COMPUTE_PGM_RSRC2:TGID_Y_EN: 0
; COMPUTE_PGM_RSRC2:TGID_Z_EN: 0
; COMPUTE_PGM_RSRC2:TIDIG_COMP_CNT: 0
	.section	.text._ZN7rocprim17ROCPRIM_400000_NS6detail17trampoline_kernelINS0_14default_configENS1_36segmented_radix_sort_config_selectorIdlEEZNS1_25segmented_radix_sort_implIS3_Lb1EPKdPdPKlPlN2at6native12_GLOBAL__N_18offset_tEEE10hipError_tPvRmT1_PNSt15iterator_traitsISK_E10value_typeET2_T3_PNSL_ISQ_E10value_typeET4_jRbjT5_SW_jjP12ihipStream_tbEUlT_E1_NS1_11comp_targetILNS1_3genE3ELNS1_11target_archE908ELNS1_3gpuE7ELNS1_3repE0EEENS1_59segmented_radix_sort_warp_sort_small_config_static_selectorELNS0_4arch9wavefront6targetE0EEEvSK_,"axG",@progbits,_ZN7rocprim17ROCPRIM_400000_NS6detail17trampoline_kernelINS0_14default_configENS1_36segmented_radix_sort_config_selectorIdlEEZNS1_25segmented_radix_sort_implIS3_Lb1EPKdPdPKlPlN2at6native12_GLOBAL__N_18offset_tEEE10hipError_tPvRmT1_PNSt15iterator_traitsISK_E10value_typeET2_T3_PNSL_ISQ_E10value_typeET4_jRbjT5_SW_jjP12ihipStream_tbEUlT_E1_NS1_11comp_targetILNS1_3genE3ELNS1_11target_archE908ELNS1_3gpuE7ELNS1_3repE0EEENS1_59segmented_radix_sort_warp_sort_small_config_static_selectorELNS0_4arch9wavefront6targetE0EEEvSK_,comdat
	.globl	_ZN7rocprim17ROCPRIM_400000_NS6detail17trampoline_kernelINS0_14default_configENS1_36segmented_radix_sort_config_selectorIdlEEZNS1_25segmented_radix_sort_implIS3_Lb1EPKdPdPKlPlN2at6native12_GLOBAL__N_18offset_tEEE10hipError_tPvRmT1_PNSt15iterator_traitsISK_E10value_typeET2_T3_PNSL_ISQ_E10value_typeET4_jRbjT5_SW_jjP12ihipStream_tbEUlT_E1_NS1_11comp_targetILNS1_3genE3ELNS1_11target_archE908ELNS1_3gpuE7ELNS1_3repE0EEENS1_59segmented_radix_sort_warp_sort_small_config_static_selectorELNS0_4arch9wavefront6targetE0EEEvSK_ ; -- Begin function _ZN7rocprim17ROCPRIM_400000_NS6detail17trampoline_kernelINS0_14default_configENS1_36segmented_radix_sort_config_selectorIdlEEZNS1_25segmented_radix_sort_implIS3_Lb1EPKdPdPKlPlN2at6native12_GLOBAL__N_18offset_tEEE10hipError_tPvRmT1_PNSt15iterator_traitsISK_E10value_typeET2_T3_PNSL_ISQ_E10value_typeET4_jRbjT5_SW_jjP12ihipStream_tbEUlT_E1_NS1_11comp_targetILNS1_3genE3ELNS1_11target_archE908ELNS1_3gpuE7ELNS1_3repE0EEENS1_59segmented_radix_sort_warp_sort_small_config_static_selectorELNS0_4arch9wavefront6targetE0EEEvSK_
	.p2align	8
	.type	_ZN7rocprim17ROCPRIM_400000_NS6detail17trampoline_kernelINS0_14default_configENS1_36segmented_radix_sort_config_selectorIdlEEZNS1_25segmented_radix_sort_implIS3_Lb1EPKdPdPKlPlN2at6native12_GLOBAL__N_18offset_tEEE10hipError_tPvRmT1_PNSt15iterator_traitsISK_E10value_typeET2_T3_PNSL_ISQ_E10value_typeET4_jRbjT5_SW_jjP12ihipStream_tbEUlT_E1_NS1_11comp_targetILNS1_3genE3ELNS1_11target_archE908ELNS1_3gpuE7ELNS1_3repE0EEENS1_59segmented_radix_sort_warp_sort_small_config_static_selectorELNS0_4arch9wavefront6targetE0EEEvSK_,@function
_ZN7rocprim17ROCPRIM_400000_NS6detail17trampoline_kernelINS0_14default_configENS1_36segmented_radix_sort_config_selectorIdlEEZNS1_25segmented_radix_sort_implIS3_Lb1EPKdPdPKlPlN2at6native12_GLOBAL__N_18offset_tEEE10hipError_tPvRmT1_PNSt15iterator_traitsISK_E10value_typeET2_T3_PNSL_ISQ_E10value_typeET4_jRbjT5_SW_jjP12ihipStream_tbEUlT_E1_NS1_11comp_targetILNS1_3genE3ELNS1_11target_archE908ELNS1_3gpuE7ELNS1_3repE0EEENS1_59segmented_radix_sort_warp_sort_small_config_static_selectorELNS0_4arch9wavefront6targetE0EEEvSK_: ; @_ZN7rocprim17ROCPRIM_400000_NS6detail17trampoline_kernelINS0_14default_configENS1_36segmented_radix_sort_config_selectorIdlEEZNS1_25segmented_radix_sort_implIS3_Lb1EPKdPdPKlPlN2at6native12_GLOBAL__N_18offset_tEEE10hipError_tPvRmT1_PNSt15iterator_traitsISK_E10value_typeET2_T3_PNSL_ISQ_E10value_typeET4_jRbjT5_SW_jjP12ihipStream_tbEUlT_E1_NS1_11comp_targetILNS1_3genE3ELNS1_11target_archE908ELNS1_3gpuE7ELNS1_3repE0EEENS1_59segmented_radix_sort_warp_sort_small_config_static_selectorELNS0_4arch9wavefront6targetE0EEEvSK_
; %bb.0:
	.section	.rodata,"a",@progbits
	.p2align	6, 0x0
	.amdhsa_kernel _ZN7rocprim17ROCPRIM_400000_NS6detail17trampoline_kernelINS0_14default_configENS1_36segmented_radix_sort_config_selectorIdlEEZNS1_25segmented_radix_sort_implIS3_Lb1EPKdPdPKlPlN2at6native12_GLOBAL__N_18offset_tEEE10hipError_tPvRmT1_PNSt15iterator_traitsISK_E10value_typeET2_T3_PNSL_ISQ_E10value_typeET4_jRbjT5_SW_jjP12ihipStream_tbEUlT_E1_NS1_11comp_targetILNS1_3genE3ELNS1_11target_archE908ELNS1_3gpuE7ELNS1_3repE0EEENS1_59segmented_radix_sort_warp_sort_small_config_static_selectorELNS0_4arch9wavefront6targetE0EEEvSK_
		.amdhsa_group_segment_fixed_size 0
		.amdhsa_private_segment_fixed_size 0
		.amdhsa_kernarg_size 88
		.amdhsa_user_sgpr_count 15
		.amdhsa_user_sgpr_dispatch_ptr 0
		.amdhsa_user_sgpr_queue_ptr 0
		.amdhsa_user_sgpr_kernarg_segment_ptr 1
		.amdhsa_user_sgpr_dispatch_id 0
		.amdhsa_user_sgpr_private_segment_size 0
		.amdhsa_wavefront_size32 1
		.amdhsa_uses_dynamic_stack 0
		.amdhsa_enable_private_segment 0
		.amdhsa_system_sgpr_workgroup_id_x 1
		.amdhsa_system_sgpr_workgroup_id_y 0
		.amdhsa_system_sgpr_workgroup_id_z 0
		.amdhsa_system_sgpr_workgroup_info 0
		.amdhsa_system_vgpr_workitem_id 0
		.amdhsa_next_free_vgpr 1
		.amdhsa_next_free_sgpr 1
		.amdhsa_reserve_vcc 0
		.amdhsa_float_round_mode_32 0
		.amdhsa_float_round_mode_16_64 0
		.amdhsa_float_denorm_mode_32 3
		.amdhsa_float_denorm_mode_16_64 3
		.amdhsa_dx10_clamp 1
		.amdhsa_ieee_mode 1
		.amdhsa_fp16_overflow 0
		.amdhsa_workgroup_processor_mode 1
		.amdhsa_memory_ordered 1
		.amdhsa_forward_progress 0
		.amdhsa_shared_vgpr_count 0
		.amdhsa_exception_fp_ieee_invalid_op 0
		.amdhsa_exception_fp_denorm_src 0
		.amdhsa_exception_fp_ieee_div_zero 0
		.amdhsa_exception_fp_ieee_overflow 0
		.amdhsa_exception_fp_ieee_underflow 0
		.amdhsa_exception_fp_ieee_inexact 0
		.amdhsa_exception_int_div_zero 0
	.end_amdhsa_kernel
	.section	.text._ZN7rocprim17ROCPRIM_400000_NS6detail17trampoline_kernelINS0_14default_configENS1_36segmented_radix_sort_config_selectorIdlEEZNS1_25segmented_radix_sort_implIS3_Lb1EPKdPdPKlPlN2at6native12_GLOBAL__N_18offset_tEEE10hipError_tPvRmT1_PNSt15iterator_traitsISK_E10value_typeET2_T3_PNSL_ISQ_E10value_typeET4_jRbjT5_SW_jjP12ihipStream_tbEUlT_E1_NS1_11comp_targetILNS1_3genE3ELNS1_11target_archE908ELNS1_3gpuE7ELNS1_3repE0EEENS1_59segmented_radix_sort_warp_sort_small_config_static_selectorELNS0_4arch9wavefront6targetE0EEEvSK_,"axG",@progbits,_ZN7rocprim17ROCPRIM_400000_NS6detail17trampoline_kernelINS0_14default_configENS1_36segmented_radix_sort_config_selectorIdlEEZNS1_25segmented_radix_sort_implIS3_Lb1EPKdPdPKlPlN2at6native12_GLOBAL__N_18offset_tEEE10hipError_tPvRmT1_PNSt15iterator_traitsISK_E10value_typeET2_T3_PNSL_ISQ_E10value_typeET4_jRbjT5_SW_jjP12ihipStream_tbEUlT_E1_NS1_11comp_targetILNS1_3genE3ELNS1_11target_archE908ELNS1_3gpuE7ELNS1_3repE0EEENS1_59segmented_radix_sort_warp_sort_small_config_static_selectorELNS0_4arch9wavefront6targetE0EEEvSK_,comdat
.Lfunc_end1141:
	.size	_ZN7rocprim17ROCPRIM_400000_NS6detail17trampoline_kernelINS0_14default_configENS1_36segmented_radix_sort_config_selectorIdlEEZNS1_25segmented_radix_sort_implIS3_Lb1EPKdPdPKlPlN2at6native12_GLOBAL__N_18offset_tEEE10hipError_tPvRmT1_PNSt15iterator_traitsISK_E10value_typeET2_T3_PNSL_ISQ_E10value_typeET4_jRbjT5_SW_jjP12ihipStream_tbEUlT_E1_NS1_11comp_targetILNS1_3genE3ELNS1_11target_archE908ELNS1_3gpuE7ELNS1_3repE0EEENS1_59segmented_radix_sort_warp_sort_small_config_static_selectorELNS0_4arch9wavefront6targetE0EEEvSK_, .Lfunc_end1141-_ZN7rocprim17ROCPRIM_400000_NS6detail17trampoline_kernelINS0_14default_configENS1_36segmented_radix_sort_config_selectorIdlEEZNS1_25segmented_radix_sort_implIS3_Lb1EPKdPdPKlPlN2at6native12_GLOBAL__N_18offset_tEEE10hipError_tPvRmT1_PNSt15iterator_traitsISK_E10value_typeET2_T3_PNSL_ISQ_E10value_typeET4_jRbjT5_SW_jjP12ihipStream_tbEUlT_E1_NS1_11comp_targetILNS1_3genE3ELNS1_11target_archE908ELNS1_3gpuE7ELNS1_3repE0EEENS1_59segmented_radix_sort_warp_sort_small_config_static_selectorELNS0_4arch9wavefront6targetE0EEEvSK_
                                        ; -- End function
	.section	.AMDGPU.csdata,"",@progbits
; Kernel info:
; codeLenInByte = 0
; NumSgprs: 0
; NumVgprs: 0
; ScratchSize: 0
; MemoryBound: 0
; FloatMode: 240
; IeeeMode: 1
; LDSByteSize: 0 bytes/workgroup (compile time only)
; SGPRBlocks: 0
; VGPRBlocks: 0
; NumSGPRsForWavesPerEU: 1
; NumVGPRsForWavesPerEU: 1
; Occupancy: 16
; WaveLimiterHint : 0
; COMPUTE_PGM_RSRC2:SCRATCH_EN: 0
; COMPUTE_PGM_RSRC2:USER_SGPR: 15
; COMPUTE_PGM_RSRC2:TRAP_HANDLER: 0
; COMPUTE_PGM_RSRC2:TGID_X_EN: 1
; COMPUTE_PGM_RSRC2:TGID_Y_EN: 0
; COMPUTE_PGM_RSRC2:TGID_Z_EN: 0
; COMPUTE_PGM_RSRC2:TIDIG_COMP_CNT: 0
	.section	.text._ZN7rocprim17ROCPRIM_400000_NS6detail17trampoline_kernelINS0_14default_configENS1_36segmented_radix_sort_config_selectorIdlEEZNS1_25segmented_radix_sort_implIS3_Lb1EPKdPdPKlPlN2at6native12_GLOBAL__N_18offset_tEEE10hipError_tPvRmT1_PNSt15iterator_traitsISK_E10value_typeET2_T3_PNSL_ISQ_E10value_typeET4_jRbjT5_SW_jjP12ihipStream_tbEUlT_E1_NS1_11comp_targetILNS1_3genE2ELNS1_11target_archE906ELNS1_3gpuE6ELNS1_3repE0EEENS1_59segmented_radix_sort_warp_sort_small_config_static_selectorELNS0_4arch9wavefront6targetE0EEEvSK_,"axG",@progbits,_ZN7rocprim17ROCPRIM_400000_NS6detail17trampoline_kernelINS0_14default_configENS1_36segmented_radix_sort_config_selectorIdlEEZNS1_25segmented_radix_sort_implIS3_Lb1EPKdPdPKlPlN2at6native12_GLOBAL__N_18offset_tEEE10hipError_tPvRmT1_PNSt15iterator_traitsISK_E10value_typeET2_T3_PNSL_ISQ_E10value_typeET4_jRbjT5_SW_jjP12ihipStream_tbEUlT_E1_NS1_11comp_targetILNS1_3genE2ELNS1_11target_archE906ELNS1_3gpuE6ELNS1_3repE0EEENS1_59segmented_radix_sort_warp_sort_small_config_static_selectorELNS0_4arch9wavefront6targetE0EEEvSK_,comdat
	.globl	_ZN7rocprim17ROCPRIM_400000_NS6detail17trampoline_kernelINS0_14default_configENS1_36segmented_radix_sort_config_selectorIdlEEZNS1_25segmented_radix_sort_implIS3_Lb1EPKdPdPKlPlN2at6native12_GLOBAL__N_18offset_tEEE10hipError_tPvRmT1_PNSt15iterator_traitsISK_E10value_typeET2_T3_PNSL_ISQ_E10value_typeET4_jRbjT5_SW_jjP12ihipStream_tbEUlT_E1_NS1_11comp_targetILNS1_3genE2ELNS1_11target_archE906ELNS1_3gpuE6ELNS1_3repE0EEENS1_59segmented_radix_sort_warp_sort_small_config_static_selectorELNS0_4arch9wavefront6targetE0EEEvSK_ ; -- Begin function _ZN7rocprim17ROCPRIM_400000_NS6detail17trampoline_kernelINS0_14default_configENS1_36segmented_radix_sort_config_selectorIdlEEZNS1_25segmented_radix_sort_implIS3_Lb1EPKdPdPKlPlN2at6native12_GLOBAL__N_18offset_tEEE10hipError_tPvRmT1_PNSt15iterator_traitsISK_E10value_typeET2_T3_PNSL_ISQ_E10value_typeET4_jRbjT5_SW_jjP12ihipStream_tbEUlT_E1_NS1_11comp_targetILNS1_3genE2ELNS1_11target_archE906ELNS1_3gpuE6ELNS1_3repE0EEENS1_59segmented_radix_sort_warp_sort_small_config_static_selectorELNS0_4arch9wavefront6targetE0EEEvSK_
	.p2align	8
	.type	_ZN7rocprim17ROCPRIM_400000_NS6detail17trampoline_kernelINS0_14default_configENS1_36segmented_radix_sort_config_selectorIdlEEZNS1_25segmented_radix_sort_implIS3_Lb1EPKdPdPKlPlN2at6native12_GLOBAL__N_18offset_tEEE10hipError_tPvRmT1_PNSt15iterator_traitsISK_E10value_typeET2_T3_PNSL_ISQ_E10value_typeET4_jRbjT5_SW_jjP12ihipStream_tbEUlT_E1_NS1_11comp_targetILNS1_3genE2ELNS1_11target_archE906ELNS1_3gpuE6ELNS1_3repE0EEENS1_59segmented_radix_sort_warp_sort_small_config_static_selectorELNS0_4arch9wavefront6targetE0EEEvSK_,@function
_ZN7rocprim17ROCPRIM_400000_NS6detail17trampoline_kernelINS0_14default_configENS1_36segmented_radix_sort_config_selectorIdlEEZNS1_25segmented_radix_sort_implIS3_Lb1EPKdPdPKlPlN2at6native12_GLOBAL__N_18offset_tEEE10hipError_tPvRmT1_PNSt15iterator_traitsISK_E10value_typeET2_T3_PNSL_ISQ_E10value_typeET4_jRbjT5_SW_jjP12ihipStream_tbEUlT_E1_NS1_11comp_targetILNS1_3genE2ELNS1_11target_archE906ELNS1_3gpuE6ELNS1_3repE0EEENS1_59segmented_radix_sort_warp_sort_small_config_static_selectorELNS0_4arch9wavefront6targetE0EEEvSK_: ; @_ZN7rocprim17ROCPRIM_400000_NS6detail17trampoline_kernelINS0_14default_configENS1_36segmented_radix_sort_config_selectorIdlEEZNS1_25segmented_radix_sort_implIS3_Lb1EPKdPdPKlPlN2at6native12_GLOBAL__N_18offset_tEEE10hipError_tPvRmT1_PNSt15iterator_traitsISK_E10value_typeET2_T3_PNSL_ISQ_E10value_typeET4_jRbjT5_SW_jjP12ihipStream_tbEUlT_E1_NS1_11comp_targetILNS1_3genE2ELNS1_11target_archE906ELNS1_3gpuE6ELNS1_3repE0EEENS1_59segmented_radix_sort_warp_sort_small_config_static_selectorELNS0_4arch9wavefront6targetE0EEEvSK_
; %bb.0:
	.section	.rodata,"a",@progbits
	.p2align	6, 0x0
	.amdhsa_kernel _ZN7rocprim17ROCPRIM_400000_NS6detail17trampoline_kernelINS0_14default_configENS1_36segmented_radix_sort_config_selectorIdlEEZNS1_25segmented_radix_sort_implIS3_Lb1EPKdPdPKlPlN2at6native12_GLOBAL__N_18offset_tEEE10hipError_tPvRmT1_PNSt15iterator_traitsISK_E10value_typeET2_T3_PNSL_ISQ_E10value_typeET4_jRbjT5_SW_jjP12ihipStream_tbEUlT_E1_NS1_11comp_targetILNS1_3genE2ELNS1_11target_archE906ELNS1_3gpuE6ELNS1_3repE0EEENS1_59segmented_radix_sort_warp_sort_small_config_static_selectorELNS0_4arch9wavefront6targetE0EEEvSK_
		.amdhsa_group_segment_fixed_size 0
		.amdhsa_private_segment_fixed_size 0
		.amdhsa_kernarg_size 88
		.amdhsa_user_sgpr_count 15
		.amdhsa_user_sgpr_dispatch_ptr 0
		.amdhsa_user_sgpr_queue_ptr 0
		.amdhsa_user_sgpr_kernarg_segment_ptr 1
		.amdhsa_user_sgpr_dispatch_id 0
		.amdhsa_user_sgpr_private_segment_size 0
		.amdhsa_wavefront_size32 1
		.amdhsa_uses_dynamic_stack 0
		.amdhsa_enable_private_segment 0
		.amdhsa_system_sgpr_workgroup_id_x 1
		.amdhsa_system_sgpr_workgroup_id_y 0
		.amdhsa_system_sgpr_workgroup_id_z 0
		.amdhsa_system_sgpr_workgroup_info 0
		.amdhsa_system_vgpr_workitem_id 0
		.amdhsa_next_free_vgpr 1
		.amdhsa_next_free_sgpr 1
		.amdhsa_reserve_vcc 0
		.amdhsa_float_round_mode_32 0
		.amdhsa_float_round_mode_16_64 0
		.amdhsa_float_denorm_mode_32 3
		.amdhsa_float_denorm_mode_16_64 3
		.amdhsa_dx10_clamp 1
		.amdhsa_ieee_mode 1
		.amdhsa_fp16_overflow 0
		.amdhsa_workgroup_processor_mode 1
		.amdhsa_memory_ordered 1
		.amdhsa_forward_progress 0
		.amdhsa_shared_vgpr_count 0
		.amdhsa_exception_fp_ieee_invalid_op 0
		.amdhsa_exception_fp_denorm_src 0
		.amdhsa_exception_fp_ieee_div_zero 0
		.amdhsa_exception_fp_ieee_overflow 0
		.amdhsa_exception_fp_ieee_underflow 0
		.amdhsa_exception_fp_ieee_inexact 0
		.amdhsa_exception_int_div_zero 0
	.end_amdhsa_kernel
	.section	.text._ZN7rocprim17ROCPRIM_400000_NS6detail17trampoline_kernelINS0_14default_configENS1_36segmented_radix_sort_config_selectorIdlEEZNS1_25segmented_radix_sort_implIS3_Lb1EPKdPdPKlPlN2at6native12_GLOBAL__N_18offset_tEEE10hipError_tPvRmT1_PNSt15iterator_traitsISK_E10value_typeET2_T3_PNSL_ISQ_E10value_typeET4_jRbjT5_SW_jjP12ihipStream_tbEUlT_E1_NS1_11comp_targetILNS1_3genE2ELNS1_11target_archE906ELNS1_3gpuE6ELNS1_3repE0EEENS1_59segmented_radix_sort_warp_sort_small_config_static_selectorELNS0_4arch9wavefront6targetE0EEEvSK_,"axG",@progbits,_ZN7rocprim17ROCPRIM_400000_NS6detail17trampoline_kernelINS0_14default_configENS1_36segmented_radix_sort_config_selectorIdlEEZNS1_25segmented_radix_sort_implIS3_Lb1EPKdPdPKlPlN2at6native12_GLOBAL__N_18offset_tEEE10hipError_tPvRmT1_PNSt15iterator_traitsISK_E10value_typeET2_T3_PNSL_ISQ_E10value_typeET4_jRbjT5_SW_jjP12ihipStream_tbEUlT_E1_NS1_11comp_targetILNS1_3genE2ELNS1_11target_archE906ELNS1_3gpuE6ELNS1_3repE0EEENS1_59segmented_radix_sort_warp_sort_small_config_static_selectorELNS0_4arch9wavefront6targetE0EEEvSK_,comdat
.Lfunc_end1142:
	.size	_ZN7rocprim17ROCPRIM_400000_NS6detail17trampoline_kernelINS0_14default_configENS1_36segmented_radix_sort_config_selectorIdlEEZNS1_25segmented_radix_sort_implIS3_Lb1EPKdPdPKlPlN2at6native12_GLOBAL__N_18offset_tEEE10hipError_tPvRmT1_PNSt15iterator_traitsISK_E10value_typeET2_T3_PNSL_ISQ_E10value_typeET4_jRbjT5_SW_jjP12ihipStream_tbEUlT_E1_NS1_11comp_targetILNS1_3genE2ELNS1_11target_archE906ELNS1_3gpuE6ELNS1_3repE0EEENS1_59segmented_radix_sort_warp_sort_small_config_static_selectorELNS0_4arch9wavefront6targetE0EEEvSK_, .Lfunc_end1142-_ZN7rocprim17ROCPRIM_400000_NS6detail17trampoline_kernelINS0_14default_configENS1_36segmented_radix_sort_config_selectorIdlEEZNS1_25segmented_radix_sort_implIS3_Lb1EPKdPdPKlPlN2at6native12_GLOBAL__N_18offset_tEEE10hipError_tPvRmT1_PNSt15iterator_traitsISK_E10value_typeET2_T3_PNSL_ISQ_E10value_typeET4_jRbjT5_SW_jjP12ihipStream_tbEUlT_E1_NS1_11comp_targetILNS1_3genE2ELNS1_11target_archE906ELNS1_3gpuE6ELNS1_3repE0EEENS1_59segmented_radix_sort_warp_sort_small_config_static_selectorELNS0_4arch9wavefront6targetE0EEEvSK_
                                        ; -- End function
	.section	.AMDGPU.csdata,"",@progbits
; Kernel info:
; codeLenInByte = 0
; NumSgprs: 0
; NumVgprs: 0
; ScratchSize: 0
; MemoryBound: 0
; FloatMode: 240
; IeeeMode: 1
; LDSByteSize: 0 bytes/workgroup (compile time only)
; SGPRBlocks: 0
; VGPRBlocks: 0
; NumSGPRsForWavesPerEU: 1
; NumVGPRsForWavesPerEU: 1
; Occupancy: 16
; WaveLimiterHint : 0
; COMPUTE_PGM_RSRC2:SCRATCH_EN: 0
; COMPUTE_PGM_RSRC2:USER_SGPR: 15
; COMPUTE_PGM_RSRC2:TRAP_HANDLER: 0
; COMPUTE_PGM_RSRC2:TGID_X_EN: 1
; COMPUTE_PGM_RSRC2:TGID_Y_EN: 0
; COMPUTE_PGM_RSRC2:TGID_Z_EN: 0
; COMPUTE_PGM_RSRC2:TIDIG_COMP_CNT: 0
	.section	.text._ZN7rocprim17ROCPRIM_400000_NS6detail17trampoline_kernelINS0_14default_configENS1_36segmented_radix_sort_config_selectorIdlEEZNS1_25segmented_radix_sort_implIS3_Lb1EPKdPdPKlPlN2at6native12_GLOBAL__N_18offset_tEEE10hipError_tPvRmT1_PNSt15iterator_traitsISK_E10value_typeET2_T3_PNSL_ISQ_E10value_typeET4_jRbjT5_SW_jjP12ihipStream_tbEUlT_E1_NS1_11comp_targetILNS1_3genE10ELNS1_11target_archE1201ELNS1_3gpuE5ELNS1_3repE0EEENS1_59segmented_radix_sort_warp_sort_small_config_static_selectorELNS0_4arch9wavefront6targetE0EEEvSK_,"axG",@progbits,_ZN7rocprim17ROCPRIM_400000_NS6detail17trampoline_kernelINS0_14default_configENS1_36segmented_radix_sort_config_selectorIdlEEZNS1_25segmented_radix_sort_implIS3_Lb1EPKdPdPKlPlN2at6native12_GLOBAL__N_18offset_tEEE10hipError_tPvRmT1_PNSt15iterator_traitsISK_E10value_typeET2_T3_PNSL_ISQ_E10value_typeET4_jRbjT5_SW_jjP12ihipStream_tbEUlT_E1_NS1_11comp_targetILNS1_3genE10ELNS1_11target_archE1201ELNS1_3gpuE5ELNS1_3repE0EEENS1_59segmented_radix_sort_warp_sort_small_config_static_selectorELNS0_4arch9wavefront6targetE0EEEvSK_,comdat
	.globl	_ZN7rocprim17ROCPRIM_400000_NS6detail17trampoline_kernelINS0_14default_configENS1_36segmented_radix_sort_config_selectorIdlEEZNS1_25segmented_radix_sort_implIS3_Lb1EPKdPdPKlPlN2at6native12_GLOBAL__N_18offset_tEEE10hipError_tPvRmT1_PNSt15iterator_traitsISK_E10value_typeET2_T3_PNSL_ISQ_E10value_typeET4_jRbjT5_SW_jjP12ihipStream_tbEUlT_E1_NS1_11comp_targetILNS1_3genE10ELNS1_11target_archE1201ELNS1_3gpuE5ELNS1_3repE0EEENS1_59segmented_radix_sort_warp_sort_small_config_static_selectorELNS0_4arch9wavefront6targetE0EEEvSK_ ; -- Begin function _ZN7rocprim17ROCPRIM_400000_NS6detail17trampoline_kernelINS0_14default_configENS1_36segmented_radix_sort_config_selectorIdlEEZNS1_25segmented_radix_sort_implIS3_Lb1EPKdPdPKlPlN2at6native12_GLOBAL__N_18offset_tEEE10hipError_tPvRmT1_PNSt15iterator_traitsISK_E10value_typeET2_T3_PNSL_ISQ_E10value_typeET4_jRbjT5_SW_jjP12ihipStream_tbEUlT_E1_NS1_11comp_targetILNS1_3genE10ELNS1_11target_archE1201ELNS1_3gpuE5ELNS1_3repE0EEENS1_59segmented_radix_sort_warp_sort_small_config_static_selectorELNS0_4arch9wavefront6targetE0EEEvSK_
	.p2align	8
	.type	_ZN7rocprim17ROCPRIM_400000_NS6detail17trampoline_kernelINS0_14default_configENS1_36segmented_radix_sort_config_selectorIdlEEZNS1_25segmented_radix_sort_implIS3_Lb1EPKdPdPKlPlN2at6native12_GLOBAL__N_18offset_tEEE10hipError_tPvRmT1_PNSt15iterator_traitsISK_E10value_typeET2_T3_PNSL_ISQ_E10value_typeET4_jRbjT5_SW_jjP12ihipStream_tbEUlT_E1_NS1_11comp_targetILNS1_3genE10ELNS1_11target_archE1201ELNS1_3gpuE5ELNS1_3repE0EEENS1_59segmented_radix_sort_warp_sort_small_config_static_selectorELNS0_4arch9wavefront6targetE0EEEvSK_,@function
_ZN7rocprim17ROCPRIM_400000_NS6detail17trampoline_kernelINS0_14default_configENS1_36segmented_radix_sort_config_selectorIdlEEZNS1_25segmented_radix_sort_implIS3_Lb1EPKdPdPKlPlN2at6native12_GLOBAL__N_18offset_tEEE10hipError_tPvRmT1_PNSt15iterator_traitsISK_E10value_typeET2_T3_PNSL_ISQ_E10value_typeET4_jRbjT5_SW_jjP12ihipStream_tbEUlT_E1_NS1_11comp_targetILNS1_3genE10ELNS1_11target_archE1201ELNS1_3gpuE5ELNS1_3repE0EEENS1_59segmented_radix_sort_warp_sort_small_config_static_selectorELNS0_4arch9wavefront6targetE0EEEvSK_: ; @_ZN7rocprim17ROCPRIM_400000_NS6detail17trampoline_kernelINS0_14default_configENS1_36segmented_radix_sort_config_selectorIdlEEZNS1_25segmented_radix_sort_implIS3_Lb1EPKdPdPKlPlN2at6native12_GLOBAL__N_18offset_tEEE10hipError_tPvRmT1_PNSt15iterator_traitsISK_E10value_typeET2_T3_PNSL_ISQ_E10value_typeET4_jRbjT5_SW_jjP12ihipStream_tbEUlT_E1_NS1_11comp_targetILNS1_3genE10ELNS1_11target_archE1201ELNS1_3gpuE5ELNS1_3repE0EEENS1_59segmented_radix_sort_warp_sort_small_config_static_selectorELNS0_4arch9wavefront6targetE0EEEvSK_
; %bb.0:
	.section	.rodata,"a",@progbits
	.p2align	6, 0x0
	.amdhsa_kernel _ZN7rocprim17ROCPRIM_400000_NS6detail17trampoline_kernelINS0_14default_configENS1_36segmented_radix_sort_config_selectorIdlEEZNS1_25segmented_radix_sort_implIS3_Lb1EPKdPdPKlPlN2at6native12_GLOBAL__N_18offset_tEEE10hipError_tPvRmT1_PNSt15iterator_traitsISK_E10value_typeET2_T3_PNSL_ISQ_E10value_typeET4_jRbjT5_SW_jjP12ihipStream_tbEUlT_E1_NS1_11comp_targetILNS1_3genE10ELNS1_11target_archE1201ELNS1_3gpuE5ELNS1_3repE0EEENS1_59segmented_radix_sort_warp_sort_small_config_static_selectorELNS0_4arch9wavefront6targetE0EEEvSK_
		.amdhsa_group_segment_fixed_size 0
		.amdhsa_private_segment_fixed_size 0
		.amdhsa_kernarg_size 88
		.amdhsa_user_sgpr_count 15
		.amdhsa_user_sgpr_dispatch_ptr 0
		.amdhsa_user_sgpr_queue_ptr 0
		.amdhsa_user_sgpr_kernarg_segment_ptr 1
		.amdhsa_user_sgpr_dispatch_id 0
		.amdhsa_user_sgpr_private_segment_size 0
		.amdhsa_wavefront_size32 1
		.amdhsa_uses_dynamic_stack 0
		.amdhsa_enable_private_segment 0
		.amdhsa_system_sgpr_workgroup_id_x 1
		.amdhsa_system_sgpr_workgroup_id_y 0
		.amdhsa_system_sgpr_workgroup_id_z 0
		.amdhsa_system_sgpr_workgroup_info 0
		.amdhsa_system_vgpr_workitem_id 0
		.amdhsa_next_free_vgpr 1
		.amdhsa_next_free_sgpr 1
		.amdhsa_reserve_vcc 0
		.amdhsa_float_round_mode_32 0
		.amdhsa_float_round_mode_16_64 0
		.amdhsa_float_denorm_mode_32 3
		.amdhsa_float_denorm_mode_16_64 3
		.amdhsa_dx10_clamp 1
		.amdhsa_ieee_mode 1
		.amdhsa_fp16_overflow 0
		.amdhsa_workgroup_processor_mode 1
		.amdhsa_memory_ordered 1
		.amdhsa_forward_progress 0
		.amdhsa_shared_vgpr_count 0
		.amdhsa_exception_fp_ieee_invalid_op 0
		.amdhsa_exception_fp_denorm_src 0
		.amdhsa_exception_fp_ieee_div_zero 0
		.amdhsa_exception_fp_ieee_overflow 0
		.amdhsa_exception_fp_ieee_underflow 0
		.amdhsa_exception_fp_ieee_inexact 0
		.amdhsa_exception_int_div_zero 0
	.end_amdhsa_kernel
	.section	.text._ZN7rocprim17ROCPRIM_400000_NS6detail17trampoline_kernelINS0_14default_configENS1_36segmented_radix_sort_config_selectorIdlEEZNS1_25segmented_radix_sort_implIS3_Lb1EPKdPdPKlPlN2at6native12_GLOBAL__N_18offset_tEEE10hipError_tPvRmT1_PNSt15iterator_traitsISK_E10value_typeET2_T3_PNSL_ISQ_E10value_typeET4_jRbjT5_SW_jjP12ihipStream_tbEUlT_E1_NS1_11comp_targetILNS1_3genE10ELNS1_11target_archE1201ELNS1_3gpuE5ELNS1_3repE0EEENS1_59segmented_radix_sort_warp_sort_small_config_static_selectorELNS0_4arch9wavefront6targetE0EEEvSK_,"axG",@progbits,_ZN7rocprim17ROCPRIM_400000_NS6detail17trampoline_kernelINS0_14default_configENS1_36segmented_radix_sort_config_selectorIdlEEZNS1_25segmented_radix_sort_implIS3_Lb1EPKdPdPKlPlN2at6native12_GLOBAL__N_18offset_tEEE10hipError_tPvRmT1_PNSt15iterator_traitsISK_E10value_typeET2_T3_PNSL_ISQ_E10value_typeET4_jRbjT5_SW_jjP12ihipStream_tbEUlT_E1_NS1_11comp_targetILNS1_3genE10ELNS1_11target_archE1201ELNS1_3gpuE5ELNS1_3repE0EEENS1_59segmented_radix_sort_warp_sort_small_config_static_selectorELNS0_4arch9wavefront6targetE0EEEvSK_,comdat
.Lfunc_end1143:
	.size	_ZN7rocprim17ROCPRIM_400000_NS6detail17trampoline_kernelINS0_14default_configENS1_36segmented_radix_sort_config_selectorIdlEEZNS1_25segmented_radix_sort_implIS3_Lb1EPKdPdPKlPlN2at6native12_GLOBAL__N_18offset_tEEE10hipError_tPvRmT1_PNSt15iterator_traitsISK_E10value_typeET2_T3_PNSL_ISQ_E10value_typeET4_jRbjT5_SW_jjP12ihipStream_tbEUlT_E1_NS1_11comp_targetILNS1_3genE10ELNS1_11target_archE1201ELNS1_3gpuE5ELNS1_3repE0EEENS1_59segmented_radix_sort_warp_sort_small_config_static_selectorELNS0_4arch9wavefront6targetE0EEEvSK_, .Lfunc_end1143-_ZN7rocprim17ROCPRIM_400000_NS6detail17trampoline_kernelINS0_14default_configENS1_36segmented_radix_sort_config_selectorIdlEEZNS1_25segmented_radix_sort_implIS3_Lb1EPKdPdPKlPlN2at6native12_GLOBAL__N_18offset_tEEE10hipError_tPvRmT1_PNSt15iterator_traitsISK_E10value_typeET2_T3_PNSL_ISQ_E10value_typeET4_jRbjT5_SW_jjP12ihipStream_tbEUlT_E1_NS1_11comp_targetILNS1_3genE10ELNS1_11target_archE1201ELNS1_3gpuE5ELNS1_3repE0EEENS1_59segmented_radix_sort_warp_sort_small_config_static_selectorELNS0_4arch9wavefront6targetE0EEEvSK_
                                        ; -- End function
	.section	.AMDGPU.csdata,"",@progbits
; Kernel info:
; codeLenInByte = 0
; NumSgprs: 0
; NumVgprs: 0
; ScratchSize: 0
; MemoryBound: 0
; FloatMode: 240
; IeeeMode: 1
; LDSByteSize: 0 bytes/workgroup (compile time only)
; SGPRBlocks: 0
; VGPRBlocks: 0
; NumSGPRsForWavesPerEU: 1
; NumVGPRsForWavesPerEU: 1
; Occupancy: 16
; WaveLimiterHint : 0
; COMPUTE_PGM_RSRC2:SCRATCH_EN: 0
; COMPUTE_PGM_RSRC2:USER_SGPR: 15
; COMPUTE_PGM_RSRC2:TRAP_HANDLER: 0
; COMPUTE_PGM_RSRC2:TGID_X_EN: 1
; COMPUTE_PGM_RSRC2:TGID_Y_EN: 0
; COMPUTE_PGM_RSRC2:TGID_Z_EN: 0
; COMPUTE_PGM_RSRC2:TIDIG_COMP_CNT: 0
	.section	.text._ZN7rocprim17ROCPRIM_400000_NS6detail17trampoline_kernelINS0_14default_configENS1_36segmented_radix_sort_config_selectorIdlEEZNS1_25segmented_radix_sort_implIS3_Lb1EPKdPdPKlPlN2at6native12_GLOBAL__N_18offset_tEEE10hipError_tPvRmT1_PNSt15iterator_traitsISK_E10value_typeET2_T3_PNSL_ISQ_E10value_typeET4_jRbjT5_SW_jjP12ihipStream_tbEUlT_E1_NS1_11comp_targetILNS1_3genE10ELNS1_11target_archE1200ELNS1_3gpuE4ELNS1_3repE0EEENS1_59segmented_radix_sort_warp_sort_small_config_static_selectorELNS0_4arch9wavefront6targetE0EEEvSK_,"axG",@progbits,_ZN7rocprim17ROCPRIM_400000_NS6detail17trampoline_kernelINS0_14default_configENS1_36segmented_radix_sort_config_selectorIdlEEZNS1_25segmented_radix_sort_implIS3_Lb1EPKdPdPKlPlN2at6native12_GLOBAL__N_18offset_tEEE10hipError_tPvRmT1_PNSt15iterator_traitsISK_E10value_typeET2_T3_PNSL_ISQ_E10value_typeET4_jRbjT5_SW_jjP12ihipStream_tbEUlT_E1_NS1_11comp_targetILNS1_3genE10ELNS1_11target_archE1200ELNS1_3gpuE4ELNS1_3repE0EEENS1_59segmented_radix_sort_warp_sort_small_config_static_selectorELNS0_4arch9wavefront6targetE0EEEvSK_,comdat
	.globl	_ZN7rocprim17ROCPRIM_400000_NS6detail17trampoline_kernelINS0_14default_configENS1_36segmented_radix_sort_config_selectorIdlEEZNS1_25segmented_radix_sort_implIS3_Lb1EPKdPdPKlPlN2at6native12_GLOBAL__N_18offset_tEEE10hipError_tPvRmT1_PNSt15iterator_traitsISK_E10value_typeET2_T3_PNSL_ISQ_E10value_typeET4_jRbjT5_SW_jjP12ihipStream_tbEUlT_E1_NS1_11comp_targetILNS1_3genE10ELNS1_11target_archE1200ELNS1_3gpuE4ELNS1_3repE0EEENS1_59segmented_radix_sort_warp_sort_small_config_static_selectorELNS0_4arch9wavefront6targetE0EEEvSK_ ; -- Begin function _ZN7rocprim17ROCPRIM_400000_NS6detail17trampoline_kernelINS0_14default_configENS1_36segmented_radix_sort_config_selectorIdlEEZNS1_25segmented_radix_sort_implIS3_Lb1EPKdPdPKlPlN2at6native12_GLOBAL__N_18offset_tEEE10hipError_tPvRmT1_PNSt15iterator_traitsISK_E10value_typeET2_T3_PNSL_ISQ_E10value_typeET4_jRbjT5_SW_jjP12ihipStream_tbEUlT_E1_NS1_11comp_targetILNS1_3genE10ELNS1_11target_archE1200ELNS1_3gpuE4ELNS1_3repE0EEENS1_59segmented_radix_sort_warp_sort_small_config_static_selectorELNS0_4arch9wavefront6targetE0EEEvSK_
	.p2align	8
	.type	_ZN7rocprim17ROCPRIM_400000_NS6detail17trampoline_kernelINS0_14default_configENS1_36segmented_radix_sort_config_selectorIdlEEZNS1_25segmented_radix_sort_implIS3_Lb1EPKdPdPKlPlN2at6native12_GLOBAL__N_18offset_tEEE10hipError_tPvRmT1_PNSt15iterator_traitsISK_E10value_typeET2_T3_PNSL_ISQ_E10value_typeET4_jRbjT5_SW_jjP12ihipStream_tbEUlT_E1_NS1_11comp_targetILNS1_3genE10ELNS1_11target_archE1200ELNS1_3gpuE4ELNS1_3repE0EEENS1_59segmented_radix_sort_warp_sort_small_config_static_selectorELNS0_4arch9wavefront6targetE0EEEvSK_,@function
_ZN7rocprim17ROCPRIM_400000_NS6detail17trampoline_kernelINS0_14default_configENS1_36segmented_radix_sort_config_selectorIdlEEZNS1_25segmented_radix_sort_implIS3_Lb1EPKdPdPKlPlN2at6native12_GLOBAL__N_18offset_tEEE10hipError_tPvRmT1_PNSt15iterator_traitsISK_E10value_typeET2_T3_PNSL_ISQ_E10value_typeET4_jRbjT5_SW_jjP12ihipStream_tbEUlT_E1_NS1_11comp_targetILNS1_3genE10ELNS1_11target_archE1200ELNS1_3gpuE4ELNS1_3repE0EEENS1_59segmented_radix_sort_warp_sort_small_config_static_selectorELNS0_4arch9wavefront6targetE0EEEvSK_: ; @_ZN7rocprim17ROCPRIM_400000_NS6detail17trampoline_kernelINS0_14default_configENS1_36segmented_radix_sort_config_selectorIdlEEZNS1_25segmented_radix_sort_implIS3_Lb1EPKdPdPKlPlN2at6native12_GLOBAL__N_18offset_tEEE10hipError_tPvRmT1_PNSt15iterator_traitsISK_E10value_typeET2_T3_PNSL_ISQ_E10value_typeET4_jRbjT5_SW_jjP12ihipStream_tbEUlT_E1_NS1_11comp_targetILNS1_3genE10ELNS1_11target_archE1200ELNS1_3gpuE4ELNS1_3repE0EEENS1_59segmented_radix_sort_warp_sort_small_config_static_selectorELNS0_4arch9wavefront6targetE0EEEvSK_
; %bb.0:
	.section	.rodata,"a",@progbits
	.p2align	6, 0x0
	.amdhsa_kernel _ZN7rocprim17ROCPRIM_400000_NS6detail17trampoline_kernelINS0_14default_configENS1_36segmented_radix_sort_config_selectorIdlEEZNS1_25segmented_radix_sort_implIS3_Lb1EPKdPdPKlPlN2at6native12_GLOBAL__N_18offset_tEEE10hipError_tPvRmT1_PNSt15iterator_traitsISK_E10value_typeET2_T3_PNSL_ISQ_E10value_typeET4_jRbjT5_SW_jjP12ihipStream_tbEUlT_E1_NS1_11comp_targetILNS1_3genE10ELNS1_11target_archE1200ELNS1_3gpuE4ELNS1_3repE0EEENS1_59segmented_radix_sort_warp_sort_small_config_static_selectorELNS0_4arch9wavefront6targetE0EEEvSK_
		.amdhsa_group_segment_fixed_size 0
		.amdhsa_private_segment_fixed_size 0
		.amdhsa_kernarg_size 88
		.amdhsa_user_sgpr_count 15
		.amdhsa_user_sgpr_dispatch_ptr 0
		.amdhsa_user_sgpr_queue_ptr 0
		.amdhsa_user_sgpr_kernarg_segment_ptr 1
		.amdhsa_user_sgpr_dispatch_id 0
		.amdhsa_user_sgpr_private_segment_size 0
		.amdhsa_wavefront_size32 1
		.amdhsa_uses_dynamic_stack 0
		.amdhsa_enable_private_segment 0
		.amdhsa_system_sgpr_workgroup_id_x 1
		.amdhsa_system_sgpr_workgroup_id_y 0
		.amdhsa_system_sgpr_workgroup_id_z 0
		.amdhsa_system_sgpr_workgroup_info 0
		.amdhsa_system_vgpr_workitem_id 0
		.amdhsa_next_free_vgpr 1
		.amdhsa_next_free_sgpr 1
		.amdhsa_reserve_vcc 0
		.amdhsa_float_round_mode_32 0
		.amdhsa_float_round_mode_16_64 0
		.amdhsa_float_denorm_mode_32 3
		.amdhsa_float_denorm_mode_16_64 3
		.amdhsa_dx10_clamp 1
		.amdhsa_ieee_mode 1
		.amdhsa_fp16_overflow 0
		.amdhsa_workgroup_processor_mode 1
		.amdhsa_memory_ordered 1
		.amdhsa_forward_progress 0
		.amdhsa_shared_vgpr_count 0
		.amdhsa_exception_fp_ieee_invalid_op 0
		.amdhsa_exception_fp_denorm_src 0
		.amdhsa_exception_fp_ieee_div_zero 0
		.amdhsa_exception_fp_ieee_overflow 0
		.amdhsa_exception_fp_ieee_underflow 0
		.amdhsa_exception_fp_ieee_inexact 0
		.amdhsa_exception_int_div_zero 0
	.end_amdhsa_kernel
	.section	.text._ZN7rocprim17ROCPRIM_400000_NS6detail17trampoline_kernelINS0_14default_configENS1_36segmented_radix_sort_config_selectorIdlEEZNS1_25segmented_radix_sort_implIS3_Lb1EPKdPdPKlPlN2at6native12_GLOBAL__N_18offset_tEEE10hipError_tPvRmT1_PNSt15iterator_traitsISK_E10value_typeET2_T3_PNSL_ISQ_E10value_typeET4_jRbjT5_SW_jjP12ihipStream_tbEUlT_E1_NS1_11comp_targetILNS1_3genE10ELNS1_11target_archE1200ELNS1_3gpuE4ELNS1_3repE0EEENS1_59segmented_radix_sort_warp_sort_small_config_static_selectorELNS0_4arch9wavefront6targetE0EEEvSK_,"axG",@progbits,_ZN7rocprim17ROCPRIM_400000_NS6detail17trampoline_kernelINS0_14default_configENS1_36segmented_radix_sort_config_selectorIdlEEZNS1_25segmented_radix_sort_implIS3_Lb1EPKdPdPKlPlN2at6native12_GLOBAL__N_18offset_tEEE10hipError_tPvRmT1_PNSt15iterator_traitsISK_E10value_typeET2_T3_PNSL_ISQ_E10value_typeET4_jRbjT5_SW_jjP12ihipStream_tbEUlT_E1_NS1_11comp_targetILNS1_3genE10ELNS1_11target_archE1200ELNS1_3gpuE4ELNS1_3repE0EEENS1_59segmented_radix_sort_warp_sort_small_config_static_selectorELNS0_4arch9wavefront6targetE0EEEvSK_,comdat
.Lfunc_end1144:
	.size	_ZN7rocprim17ROCPRIM_400000_NS6detail17trampoline_kernelINS0_14default_configENS1_36segmented_radix_sort_config_selectorIdlEEZNS1_25segmented_radix_sort_implIS3_Lb1EPKdPdPKlPlN2at6native12_GLOBAL__N_18offset_tEEE10hipError_tPvRmT1_PNSt15iterator_traitsISK_E10value_typeET2_T3_PNSL_ISQ_E10value_typeET4_jRbjT5_SW_jjP12ihipStream_tbEUlT_E1_NS1_11comp_targetILNS1_3genE10ELNS1_11target_archE1200ELNS1_3gpuE4ELNS1_3repE0EEENS1_59segmented_radix_sort_warp_sort_small_config_static_selectorELNS0_4arch9wavefront6targetE0EEEvSK_, .Lfunc_end1144-_ZN7rocprim17ROCPRIM_400000_NS6detail17trampoline_kernelINS0_14default_configENS1_36segmented_radix_sort_config_selectorIdlEEZNS1_25segmented_radix_sort_implIS3_Lb1EPKdPdPKlPlN2at6native12_GLOBAL__N_18offset_tEEE10hipError_tPvRmT1_PNSt15iterator_traitsISK_E10value_typeET2_T3_PNSL_ISQ_E10value_typeET4_jRbjT5_SW_jjP12ihipStream_tbEUlT_E1_NS1_11comp_targetILNS1_3genE10ELNS1_11target_archE1200ELNS1_3gpuE4ELNS1_3repE0EEENS1_59segmented_radix_sort_warp_sort_small_config_static_selectorELNS0_4arch9wavefront6targetE0EEEvSK_
                                        ; -- End function
	.section	.AMDGPU.csdata,"",@progbits
; Kernel info:
; codeLenInByte = 0
; NumSgprs: 0
; NumVgprs: 0
; ScratchSize: 0
; MemoryBound: 0
; FloatMode: 240
; IeeeMode: 1
; LDSByteSize: 0 bytes/workgroup (compile time only)
; SGPRBlocks: 0
; VGPRBlocks: 0
; NumSGPRsForWavesPerEU: 1
; NumVGPRsForWavesPerEU: 1
; Occupancy: 16
; WaveLimiterHint : 0
; COMPUTE_PGM_RSRC2:SCRATCH_EN: 0
; COMPUTE_PGM_RSRC2:USER_SGPR: 15
; COMPUTE_PGM_RSRC2:TRAP_HANDLER: 0
; COMPUTE_PGM_RSRC2:TGID_X_EN: 1
; COMPUTE_PGM_RSRC2:TGID_Y_EN: 0
; COMPUTE_PGM_RSRC2:TGID_Z_EN: 0
; COMPUTE_PGM_RSRC2:TIDIG_COMP_CNT: 0
	.text
	.p2align	2                               ; -- Begin function _ZN7rocprim17ROCPRIM_400000_NS6detail26segmented_warp_sort_helperINS1_20WarpSortHelperConfigILj8ELj4ELj256EEEdlLi256ELb1EvE4sortIPKdPdPKlPlEEvT_S9_T0_T1_SC_T2_bjjjjRNS5_12storage_typeE
	.type	_ZN7rocprim17ROCPRIM_400000_NS6detail26segmented_warp_sort_helperINS1_20WarpSortHelperConfigILj8ELj4ELj256EEEdlLi256ELb1EvE4sortIPKdPdPKlPlEEvT_S9_T0_T1_SC_T2_bjjjjRNS5_12storage_typeE,@function
_ZN7rocprim17ROCPRIM_400000_NS6detail26segmented_warp_sort_helperINS1_20WarpSortHelperConfigILj8ELj4ELj256EEEdlLi256ELb1EvE4sortIPKdPdPKlPlEEvT_S9_T0_T1_SC_T2_bjjjjRNS5_12storage_typeE: ; @_ZN7rocprim17ROCPRIM_400000_NS6detail26segmented_warp_sort_helperINS1_20WarpSortHelperConfigILj8ELj4ELj256EEEdlLi256ELb1EvE4sortIPKdPdPKlPlEEvT_S9_T0_T1_SC_T2_bjjjjRNS5_12storage_typeE
; %bb.0:
	s_waitcnt vmcnt(0) expcnt(0) lgkmcnt(0)
	v_mov_b32_e32 v17, v14
	v_mbcnt_lo_u32_b32 v14, -1, 0
	v_and_b32_e32 v12, 1, v12
	s_mov_b32 s5, 0
	s_delay_alu instid0(VALU_DEP_2) | instskip(NEXT) | instid1(VALU_DEP_2)
	v_dual_mov_b32 v14, 0 :: v_dual_lshlrev_b32 v81, 2, v14
	v_cmp_eq_u32_e64 s0, 1, v12
	s_delay_alu instid0(VALU_DEP_2) | instskip(NEXT) | instid1(VALU_DEP_3)
	v_and_b32_e32 v82, 28, v81
	v_lshlrev_b64 v[68:69], 3, v[13:14]
	v_sub_nc_u32_e32 v14, v17, v13
	s_delay_alu instid0(VALU_DEP_4) | instskip(NEXT) | instid1(VALU_DEP_3)
	s_xor_b32 s0, s0, -1
                                        ; implicit-def: $vgpr17_vgpr18_vgpr19_vgpr20_vgpr21_vgpr22_vgpr23_vgpr24
	v_lshlrev_b32_e32 v80, 3, v82
	s_delay_alu instid0(VALU_DEP_3) | instskip(NEXT) | instid1(VALU_DEP_4)
	v_add_co_u32 v0, vcc_lo, v0, v68
	v_add_co_ci_u32_e32 v1, vcc_lo, v1, v69, vcc_lo
	s_delay_alu instid0(VALU_DEP_2) | instskip(NEXT) | instid1(VALU_DEP_2)
	v_add_co_u32 v25, vcc_lo, v0, v80
	v_add_co_ci_u32_e32 v26, vcc_lo, 0, v1, vcc_lo
	v_cmp_lt_u32_e32 vcc_lo, v82, v14
	s_and_saveexec_b32 s1, s0
	s_delay_alu instid0(SALU_CYCLE_1)
	s_xor_b32 s6, exec_lo, s1
	s_cbranch_execnz .LBB1145_4
; %bb.1:
	s_and_not1_saveexec_b32 s6, s6
	s_cbranch_execnz .LBB1145_111
.LBB1145_2:
	s_or_b32 exec_lo, exec_lo, s6
	s_and_saveexec_b32 s0, s5
	s_cbranch_execnz .LBB1145_218
.LBB1145_3:
	s_or_b32 exec_lo, exec_lo, s0
	s_waitcnt lgkmcnt(0)
	s_setpc_b64 s[30:31]
.LBB1145_4:
	v_mov_b32_e32 v66, -1
	v_mov_b32_e32 v67, -1
	s_delay_alu instid0(VALU_DEP_1)
	v_dual_mov_b32 v64, v66 :: v_dual_mov_b32 v65, v67
	s_and_saveexec_b32 s0, vcc_lo
	s_cbranch_execz .LBB1145_6
; %bb.5:
	flat_load_b64 v[64:65], v[25:26]
.LBB1145_6:
	s_or_b32 exec_lo, exec_lo, s0
	v_or_b32_e32 v0, 1, v82
	s_delay_alu instid0(VALU_DEP_1) | instskip(NEXT) | instid1(VALU_DEP_1)
	v_cmp_lt_u32_e64 s0, v0, v14
	s_and_saveexec_b32 s1, s0
	s_cbranch_execz .LBB1145_8
; %bb.7:
	flat_load_b64 v[66:67], v[25:26] offset:8
.LBB1145_8:
	s_or_b32 exec_lo, exec_lo, s1
	v_mov_b32_e32 v12, -1
	v_or_b32_e32 v0, 2, v82
	v_mov_b32_e32 v13, -1
	s_delay_alu instid0(VALU_DEP_3) | instskip(NEXT) | instid1(VALU_DEP_3)
	v_mov_b32_e32 v10, v12
	v_cmp_lt_u32_e64 s1, v0, v14
	s_delay_alu instid0(VALU_DEP_3) | instskip(NEXT) | instid1(VALU_DEP_2)
	v_mov_b32_e32 v11, v13
	s_and_saveexec_b32 s2, s1
	s_cbranch_execz .LBB1145_10
; %bb.9:
	flat_load_b64 v[10:11], v[25:26] offset:16
.LBB1145_10:
	s_or_b32 exec_lo, exec_lo, s2
	v_or_b32_e32 v0, 3, v82
	s_delay_alu instid0(VALU_DEP_1) | instskip(NEXT) | instid1(VALU_DEP_1)
	v_cmp_lt_u32_e64 s2, v0, v14
	s_and_saveexec_b32 s3, s2
	s_cbranch_execz .LBB1145_12
; %bb.11:
	flat_load_b64 v[12:13], v[25:26] offset:24
.LBB1145_12:
	s_or_b32 exec_lo, exec_lo, s3
	v_add_co_u32 v0, s3, v6, v68
	s_delay_alu instid0(VALU_DEP_1) | instskip(NEXT) | instid1(VALU_DEP_2)
	v_add_co_ci_u32_e64 v1, s3, v7, v69, s3
	v_add_co_u32 v0, s3, v0, v80
	s_delay_alu instid0(VALU_DEP_1)
	v_add_co_ci_u32_e64 v1, s3, 0, v1, s3
	; wave barrier
                                        ; implicit-def: $vgpr17_vgpr18_vgpr19_vgpr20_vgpr21_vgpr22_vgpr23_vgpr24
	s_and_saveexec_b32 s3, vcc_lo
	s_cbranch_execnz .LBB1145_219
; %bb.13:
	s_or_b32 exec_lo, exec_lo, s3
	s_and_saveexec_b32 s3, s0
	s_cbranch_execnz .LBB1145_220
.LBB1145_14:
	s_or_b32 exec_lo, exec_lo, s3
	s_and_saveexec_b32 s3, s1
	s_cbranch_execnz .LBB1145_221
.LBB1145_15:
	s_or_b32 exec_lo, exec_lo, s3
	s_and_saveexec_b32 s3, s2
	s_cbranch_execz .LBB1145_17
.LBB1145_16:
	flat_load_b64 v[23:24], v[0:1] offset:24
.LBB1145_17:
	s_or_b32 exec_lo, exec_lo, s3
	; wave barrier
	s_load_b64 s[4:5], s[8:9], 0x0
	v_mov_b32_e32 v0, 0
	v_bfe_u32 v4, v31, 10, 10
	v_bfe_u32 v5, v31, 20, 10
	s_waitcnt lgkmcnt(0)
	s_cmp_lt_u32 s13, s5
	s_cselect_b32 s3, 14, 20
	s_delay_alu instid0(SALU_CYCLE_1) | instskip(SKIP_4) | instid1(SALU_CYCLE_1)
	s_add_u32 s10, s8, s3
	s_addc_u32 s11, s9, 0
	s_cmp_lt_u32 s12, s4
	global_load_u16 v1, v0, s[10:11]
	s_cselect_b32 s3, 12, 18
	s_add_u32 s4, s8, s3
	s_addc_u32 s5, s9, 0
	global_load_u16 v0, v0, s[4:5]
	s_mov_b32 s5, exec_lo
	s_waitcnt vmcnt(1)
	v_mad_u32_u24 v1, v5, v1, v4
	s_waitcnt vmcnt(0)
	s_delay_alu instid0(VALU_DEP_1) | instskip(SKIP_1) | instid1(VALU_DEP_1)
	v_mul_lo_u32 v0, v1, v0
	v_and_b32_e32 v1, 0x3ff, v31
	v_add_lshl_u32 v14, v0, v1, 2
	s_delay_alu instid0(VALU_DEP_1)
	v_cmpx_gt_u32_e32 0x400, v14
	s_cbranch_execz .LBB1145_29
; %bb.18:
	v_add_f64 v[0:1], v[66:67], 0
	v_add_f64 v[4:5], v[64:65], 0
	;; [unrolled: 1-line block ×4, first 2 shown]
	s_mov_b32 s7, exec_lo
	s_delay_alu instid0(VALU_DEP_4) | instskip(NEXT) | instid1(VALU_DEP_4)
	v_ashrrev_i32_e32 v27, 31, v1
	v_ashrrev_i32_e32 v28, 31, v5
	s_delay_alu instid0(VALU_DEP_4) | instskip(NEXT) | instid1(VALU_DEP_4)
	v_ashrrev_i32_e32 v29, 31, v7
	v_ashrrev_i32_e32 v30, 31, v26
	s_delay_alu instid0(VALU_DEP_4) | instskip(NEXT) | instid1(VALU_DEP_4)
	v_or_b32_e32 v31, 0x80000000, v27
	v_or_b32_e32 v32, 0x80000000, v28
	v_xor_b32_e32 v0, v27, v0
	v_xor_b32_e32 v27, v28, v4
	v_or_b32_e32 v33, 0x80000000, v29
	v_xor_b32_e32 v1, v31, v1
	v_xor_b32_e32 v28, v32, v5
	;; [unrolled: 3-line block ×3, first 2 shown]
	v_xor_b32_e32 v5, v33, v7
	v_cmp_gt_u64_e64 s3, v[0:1], v[27:28]
	v_xor_b32_e32 v71, v34, v26
	v_dual_mov_b32 v0, v10 :: v_dual_mov_b32 v1, v11
	s_delay_alu instid0(VALU_DEP_3)
	v_cndmask_b32_e64 v83, v20, v18, s3
	v_cndmask_b32_e64 v84, v19, v17, s3
	;; [unrolled: 1-line block ×4, first 2 shown]
	v_cmpx_gt_u64_e64 v[4:5], v[70:71]
; %bb.19:
	v_dual_mov_b32 v6, v21 :: v_dual_mov_b32 v7, v22
	v_dual_mov_b32 v0, v12 :: v_dual_mov_b32 v1, v13
	;; [unrolled: 1-line block ×6, first 2 shown]
; %bb.20:
	s_or_b32 exec_lo, exec_lo, s7
	v_cndmask_b32_e64 v11, v67, v65, s3
	v_cndmask_b32_e64 v10, v66, v64, s3
	s_delay_alu instid0(VALU_DEP_1) | instskip(NEXT) | instid1(VALU_DEP_1)
	v_add_f64 v[4:5], v[10:11], 0
	v_ashrrev_i32_e32 v6, 31, v5
	s_delay_alu instid0(VALU_DEP_1) | instskip(NEXT) | instid1(VALU_DEP_3)
	v_or_b32_e32 v7, 0x80000000, v6
	v_xor_b32_e32 v4, v6, v4
	s_delay_alu instid0(VALU_DEP_2) | instskip(NEXT) | instid1(VALU_DEP_1)
	v_xor_b32_e32 v5, v7, v5
                                        ; implicit-def: $vgpr6_vgpr7
	v_cmp_le_u64_e64 s4, v[70:71], v[4:5]
	s_delay_alu instid0(VALU_DEP_1) | instskip(NEXT) | instid1(SALU_CYCLE_1)
	s_and_saveexec_b32 s7, s4
	s_xor_b32 s4, exec_lo, s7
                                        ; implicit-def: $vgpr32_vgpr33_vgpr34_vgpr35_vgpr36_vgpr37_vgpr38_vgpr39
                                        ; implicit-def: $vgpr30_vgpr31_vgpr32_vgpr33_vgpr34_vgpr35_vgpr36_vgpr37
                                        ; implicit-def: $vgpr25_vgpr26_vgpr27_vgpr28_vgpr29_vgpr30_vgpr31_vgpr32
                                        ; implicit-def: $vgpr48_vgpr49_vgpr50_vgpr51_vgpr52_vgpr53_vgpr54_vgpr55
; %bb.21:
	v_add_f64 v[6:7], v[0:1], 0
	v_dual_mov_b32 v27, v84 :: v_dual_mov_b32 v84, v21
	v_mov_b32_e32 v33, v83
	v_dual_mov_b32 v83, v22 :: v_dual_mov_b32 v38, v23
	v_mov_b32_e32 v55, v24
                                        ; implicit-def: $vgpr21_vgpr22
                                        ; implicit-def: $vgpr70_vgpr71
	v_ashrrev_i32_e32 v19, 31, v7
	s_delay_alu instid0(VALU_DEP_1) | instskip(SKIP_1) | instid1(VALU_DEP_2)
	v_or_b32_e32 v20, 0x80000000, v19
	v_xor_b32_e32 v6, v19, v6
	v_xor_b32_e32 v7, v20, v7
; %bb.22:
	s_or_saveexec_b32 s4, s4
	v_dual_mov_b32 v26, v11 :: v_dual_mov_b32 v25, v10
	s_xor_b32 exec_lo, exec_lo, s4
; %bb.23:
	v_dual_mov_b32 v55, v24 :: v_dual_mov_b32 v26, v1
	v_mov_b32_e32 v7, v5
	v_dual_mov_b32 v33, v22 :: v_dual_mov_b32 v6, v4
	v_dual_mov_b32 v25, v0 :: v_dual_mov_b32 v4, v70
	;; [unrolled: 1-line block ×3, first 2 shown]
	v_mov_b32_e32 v38, v23
	v_mov_b32_e32 v1, v11
	v_mov_b32_e32 v5, v71
; %bb.24:
	s_or_b32 exec_lo, exec_lo, s4
	v_cndmask_b32_e64 v11, v65, v67, s3
	v_cndmask_b32_e64 v10, v64, v66, s3
	v_add_f64 v[22:23], v[12:13], 0
	s_mov_b32 s7, exec_lo
	s_delay_alu instid0(VALU_DEP_2) | instskip(NEXT) | instid1(VALU_DEP_2)
	v_add_f64 v[19:20], v[10:11], 0
	v_ashrrev_i32_e32 v24, 31, v23
	s_delay_alu instid0(VALU_DEP_2) | instskip(NEXT) | instid1(VALU_DEP_2)
	v_ashrrev_i32_e32 v21, 31, v20
	v_or_b32_e32 v29, 0x80000000, v24
	s_delay_alu instid0(VALU_DEP_2) | instskip(SKIP_2) | instid1(VALU_DEP_4)
	v_or_b32_e32 v28, 0x80000000, v21
	v_xor_b32_e32 v19, v21, v19
	v_mov_b32_e32 v21, v84
	v_xor_b32_e32 v29, v29, v23
	v_mov_b32_e32 v23, v38
	v_xor_b32_e32 v20, v28, v20
	v_xor_b32_e32 v28, v24, v22
	v_mov_b32_e32 v24, v55
	v_mov_b32_e32 v22, v83
	s_delay_alu instid0(VALU_DEP_4) | instskip(SKIP_1) | instid1(VALU_DEP_2)
	v_cmp_gt_u64_e64 s3, v[4:5], v[19:20]
	v_dual_mov_b32 v5, v1 :: v_dual_mov_b32 v4, v0
	v_cndmask_b32_e64 v20, v33, v18, s3
	v_cndmask_b32_e64 v19, v27, v17, s3
	;; [unrolled: 1-line block ×4, first 2 shown]
	v_cmpx_gt_u64_e64 v[28:29], v[6:7]
; %bb.25:
	s_delay_alu instid0(VALU_DEP_2) | instskip(SKIP_3) | instid1(VALU_DEP_4)
	v_dual_mov_b32 v30, v17 :: v_dual_mov_b32 v31, v18
	v_dual_mov_b32 v32, v19 :: v_dual_mov_b32 v33, v20
	;; [unrolled: 1-line block ×11, first 2 shown]
; %bb.26:
	s_or_b32 exec_lo, exec_lo, s7
	v_cndmask_b32_e64 v67, v26, v11, s3
	v_cndmask_b32_e64 v66, v25, v10, s3
	v_cndmask_b32_e64 v65, v11, v26, s3
	v_cndmask_b32_e64 v64, v10, v25, s3
	v_dual_mov_b32 v11, v5 :: v_dual_mov_b32 v10, v4
	s_delay_alu instid0(VALU_DEP_4) | instskip(SKIP_1) | instid1(VALU_DEP_1)
	v_add_f64 v[0:1], v[66:67], 0
	s_mov_b32 s4, exec_lo
	v_ashrrev_i32_e32 v27, 31, v1
	s_delay_alu instid0(VALU_DEP_1) | instskip(NEXT) | instid1(VALU_DEP_3)
	v_or_b32_e32 v28, 0x80000000, v27
	v_xor_b32_e32 v0, v27, v0
	s_delay_alu instid0(VALU_DEP_2) | instskip(NEXT) | instid1(VALU_DEP_1)
	v_xor_b32_e32 v1, v28, v1
	v_cmpx_gt_u64_e64 v[6:7], v[0:1]
; %bb.27:
	v_dual_mov_b32 v25, v17 :: v_dual_mov_b32 v26, v18
	v_dual_mov_b32 v27, v21 :: v_dual_mov_b32 v28, v22
	;; [unrolled: 1-line block ×4, first 2 shown]
	s_delay_alu instid0(VALU_DEP_4) | instskip(NEXT) | instid1(VALU_DEP_4)
	v_dual_mov_b32 v17, v25 :: v_dual_mov_b32 v18, v26
	v_dual_mov_b32 v19, v27 :: v_dual_mov_b32 v20, v28
	s_delay_alu instid0(VALU_DEP_4) | instskip(NEXT) | instid1(VALU_DEP_4)
	v_dual_mov_b32 v21, v29 :: v_dual_mov_b32 v22, v30
	v_dual_mov_b32 v23, v31 :: v_dual_mov_b32 v24, v32
	;; [unrolled: 1-line block ×4, first 2 shown]
; %bb.28:
	s_or_b32 exec_lo, exec_lo, s4
.LBB1145_29:
	s_delay_alu instid0(SALU_CYCLE_1) | instskip(SKIP_4) | instid1(VALU_DEP_4)
	s_or_b32 exec_lo, exec_lo, s5
	v_dual_mov_b32 v7, 0 :: v_dual_and_b32 v6, 0xffffff80, v14
	v_or_b32_e32 v0, 4, v81
	v_and_b32_e32 v4, 4, v81
	v_lshlrev_b32_e32 v5, 3, v81
	v_sub_nc_u32_e64 v37, 0x400, v6 clamp
	v_and_b32_e32 v14, 0x78, v81
	s_mov_b32 s4, exec_lo
	s_delay_alu instid0(VALU_DEP_2) | instskip(SKIP_2) | instid1(VALU_DEP_3)
	v_min_u32_e32 v38, v37, v0
	v_lshlrev_b64 v[0:1], 3, v[6:7]
	v_min_u32_e32 v25, v37, v4
	v_add_nc_u32_e32 v4, 4, v38
	v_sub_nc_u32_e32 v6, v38, v14
	s_delay_alu instid0(VALU_DEP_4) | instskip(NEXT) | instid1(VALU_DEP_1)
	v_add_co_u32 v35, s3, v15, v0
	v_add_co_ci_u32_e64 v36, s3, v16, v1, s3
	s_delay_alu instid0(VALU_DEP_4) | instskip(NEXT) | instid1(VALU_DEP_3)
	v_min_u32_e32 v39, v37, v4
	v_add_co_u32 v33, s3, 0x2000, v35
	s_delay_alu instid0(VALU_DEP_1) | instskip(NEXT) | instid1(VALU_DEP_3)
	v_add_co_ci_u32_e64 v34, s3, 0, v36, s3
	v_sub_nc_u32_e32 v4, v39, v38
	v_add_co_u32 v0, s3, v35, v5
	s_delay_alu instid0(VALU_DEP_1) | instskip(NEXT) | instid1(VALU_DEP_3)
	v_add_co_ci_u32_e64 v1, s3, 0, v36, s3
	v_sub_nc_u32_e64 v15, v25, v4 clamp
	v_add_co_u32 v4, s3, v33, v5
	v_min_u32_e32 v16, v25, v6
	v_add_co_ci_u32_e64 v5, s3, 0, v34, s3
	s_clause 0x3
	flat_store_b128 v[0:1], v[64:67]
	flat_store_b128 v[0:1], v[10:13] offset:16
	flat_store_b128 v[4:5], v[17:20]
	flat_store_b128 v[4:5], v[21:24] offset:16
	; wave barrier
	v_cmpx_lt_u32_e64 v15, v16
	s_cbranch_execz .LBB1145_33
; %bb.30:
	v_lshlrev_b32_e32 v6, 3, v14
	v_lshlrev_b32_e32 v28, 3, v38
	s_mov_b32 s5, 0
	s_delay_alu instid0(VALU_DEP_2) | instskip(NEXT) | instid1(VALU_DEP_1)
	v_add_co_u32 v26, s3, v35, v6
	v_add_co_ci_u32_e64 v27, s3, 0, v36, s3
	s_delay_alu instid0(VALU_DEP_3) | instskip(NEXT) | instid1(VALU_DEP_1)
	v_add_co_u32 v28, s3, v35, v28
	v_add_co_ci_u32_e64 v29, s3, 0, v36, s3
	s_set_inst_prefetch_distance 0x1
	.p2align	6
.LBB1145_31:                            ; =>This Inner Loop Header: Depth=1
	v_dual_mov_b32 v31, v7 :: v_dual_add_nc_u32 v6, v16, v15
	s_delay_alu instid0(VALU_DEP_1) | instskip(NEXT) | instid1(VALU_DEP_1)
	v_lshrrev_b32_e32 v6, 1, v6
	v_xad_u32 v30, v6, -1, v25
	v_lshlrev_b64 v[48:49], 3, v[6:7]
	s_delay_alu instid0(VALU_DEP_2) | instskip(NEXT) | instid1(VALU_DEP_2)
	v_lshlrev_b64 v[30:31], 3, v[30:31]
	v_add_co_u32 v48, s3, v26, v48
	s_delay_alu instid0(VALU_DEP_1) | instskip(NEXT) | instid1(VALU_DEP_3)
	v_add_co_ci_u32_e64 v49, s3, v27, v49, s3
	v_add_co_u32 v30, s3, v28, v30
	s_delay_alu instid0(VALU_DEP_1)
	v_add_co_ci_u32_e64 v31, s3, v29, v31, s3
	s_clause 0x1
	flat_load_b64 v[48:49], v[48:49]
	flat_load_b64 v[30:31], v[30:31]
	s_waitcnt vmcnt(1) lgkmcnt(1)
	v_add_f64 v[48:49], v[48:49], 0
	s_waitcnt vmcnt(0) lgkmcnt(0)
	v_add_f64 v[30:31], v[30:31], 0
	s_delay_alu instid0(VALU_DEP_2) | instskip(NEXT) | instid1(VALU_DEP_2)
	v_ashrrev_i32_e32 v32, 31, v49
	v_ashrrev_i32_e32 v50, 31, v31
	s_delay_alu instid0(VALU_DEP_2) | instskip(NEXT) | instid1(VALU_DEP_2)
	v_or_b32_e32 v51, 0x80000000, v32
	v_or_b32_e32 v52, 0x80000000, v50
	v_xor_b32_e32 v48, v32, v48
	v_xor_b32_e32 v30, v50, v30
	s_delay_alu instid0(VALU_DEP_4) | instskip(NEXT) | instid1(VALU_DEP_4)
	v_xor_b32_e32 v49, v51, v49
	v_xor_b32_e32 v31, v52, v31
	s_delay_alu instid0(VALU_DEP_1) | instskip(SKIP_1) | instid1(VALU_DEP_2)
	v_cmp_gt_u64_e64 s3, v[30:31], v[48:49]
	v_add_nc_u32_e32 v30, 1, v6
	v_cndmask_b32_e64 v16, v16, v6, s3
	s_delay_alu instid0(VALU_DEP_2) | instskip(NEXT) | instid1(VALU_DEP_1)
	v_cndmask_b32_e64 v15, v30, v15, s3
	v_cmp_ge_u32_e64 s3, v15, v16
	s_delay_alu instid0(VALU_DEP_1) | instskip(NEXT) | instid1(SALU_CYCLE_1)
	s_or_b32 s5, s3, s5
	s_and_not1_b32 exec_lo, exec_lo, s5
	s_cbranch_execnz .LBB1145_31
; %bb.32:
	s_set_inst_prefetch_distance 0x2
	s_or_b32 exec_lo, exec_lo, s5
.LBB1145_33:
	s_delay_alu instid0(SALU_CYCLE_1) | instskip(SKIP_2) | instid1(VALU_DEP_2)
	s_or_b32 exec_lo, exec_lo, s4
	v_add_nc_u32_e32 v6, v38, v25
	v_add_nc_u32_e32 v14, v15, v14
	v_sub_nc_u32_e32 v16, v6, v15
	s_delay_alu instid0(VALU_DEP_2) | instskip(NEXT) | instid1(VALU_DEP_2)
	v_cmp_le_u32_e64 s3, v14, v38
	v_cmp_le_u32_e64 s4, v16, v39
	s_delay_alu instid0(VALU_DEP_1) | instskip(NEXT) | instid1(SALU_CYCLE_1)
	s_or_b32 s3, s3, s4
	s_and_saveexec_b32 s5, s3
	s_cbranch_execz .LBB1145_53
; %bb.34:
	v_cmp_ge_u32_e64 s3, v14, v38
	s_mov_b32 s7, exec_lo
                                        ; implicit-def: $vgpr6_vgpr7
	v_cmpx_lt_u32_e64 v14, v38
	s_cbranch_execz .LBB1145_36
; %bb.35:
	v_mov_b32_e32 v15, 0
	s_delay_alu instid0(VALU_DEP_1) | instskip(NEXT) | instid1(VALU_DEP_1)
	v_lshlrev_b64 v[6:7], 3, v[14:15]
	v_add_co_u32 v6, s4, v35, v6
	s_delay_alu instid0(VALU_DEP_1)
	v_add_co_ci_u32_e64 v7, s4, v36, v7, s4
	flat_load_b64 v[6:7], v[6:7]
.LBB1145_36:
	s_or_b32 exec_lo, exec_lo, s7
	v_cmp_ge_u32_e64 s7, v16, v39
	s_mov_b32 s10, exec_lo
                                        ; implicit-def: $vgpr12_vgpr13
	v_cmpx_lt_u32_e64 v16, v39
	s_cbranch_execz .LBB1145_38
; %bb.37:
	v_mov_b32_e32 v17, 0
	s_delay_alu instid0(VALU_DEP_1) | instskip(NEXT) | instid1(VALU_DEP_1)
	v_lshlrev_b64 v[10:11], 3, v[16:17]
	v_add_co_u32 v10, s4, v35, v10
	s_delay_alu instid0(VALU_DEP_1)
	v_add_co_ci_u32_e64 v11, s4, v36, v11, s4
	flat_load_b64 v[12:13], v[10:11]
.LBB1145_38:
	s_or_b32 exec_lo, exec_lo, s10
	s_or_b32 s3, s3, s7
	s_mov_b32 s4, -1
	s_xor_b32 s3, s3, -1
	s_delay_alu instid0(SALU_CYCLE_1)
	s_and_saveexec_b32 s10, s3
	s_cbranch_execz .LBB1145_40
; %bb.39:
	s_waitcnt vmcnt(0) lgkmcnt(0)
	v_add_f64 v[10:11], v[12:13], 0
	v_add_f64 v[17:18], v[6:7], 0
	s_and_not1_b32 s7, s7, exec_lo
	s_delay_alu instid0(VALU_DEP_2) | instskip(NEXT) | instid1(VALU_DEP_2)
	v_ashrrev_i32_e32 v15, 31, v11
	v_ashrrev_i32_e32 v19, 31, v18
	s_delay_alu instid0(VALU_DEP_2) | instskip(NEXT) | instid1(VALU_DEP_2)
	v_or_b32_e32 v20, 0x80000000, v15
	v_or_b32_e32 v21, 0x80000000, v19
	v_xor_b32_e32 v10, v15, v10
	v_xor_b32_e32 v17, v19, v17
	s_delay_alu instid0(VALU_DEP_4) | instskip(NEXT) | instid1(VALU_DEP_4)
	v_xor_b32_e32 v11, v20, v11
	v_xor_b32_e32 v18, v21, v18
	s_delay_alu instid0(VALU_DEP_1) | instskip(NEXT) | instid1(VALU_DEP_1)
	v_cmp_le_u64_e64 s3, v[10:11], v[17:18]
	s_and_b32 s3, s3, exec_lo
	s_delay_alu instid0(SALU_CYCLE_1)
	s_or_b32 s7, s7, s3
.LBB1145_40:
	s_or_b32 exec_lo, exec_lo, s10
	v_cndmask_b32_e64 v10, v16, v14, s7
	v_cndmask_b32_e64 v15, v39, v38, s7
	v_mov_b32_e32 v11, 0
	s_mov_b32 s11, 0
	s_mov_b32 s10, exec_lo
	v_add_nc_u32_e32 v21, 1, v10
	v_add_nc_u32_e32 v15, -1, v15
	v_lshlrev_b64 v[17:18], 3, v[10:11]
	s_delay_alu instid0(VALU_DEP_3) | instskip(NEXT) | instid1(VALU_DEP_3)
	v_cndmask_b32_e64 v16, v21, v16, s7
	v_min_u32_e32 v10, v21, v15
	v_cndmask_b32_e64 v21, v14, v21, s7
	s_delay_alu instid0(VALU_DEP_2) | instskip(NEXT) | instid1(VALU_DEP_1)
	v_lshlrev_b64 v[19:20], 3, v[10:11]
	v_add_co_u32 v19, s3, v35, v19
	s_delay_alu instid0(VALU_DEP_1) | instskip(SKIP_1) | instid1(VALU_DEP_1)
	v_add_co_ci_u32_e64 v20, s3, v36, v20, s3
	v_add_co_u32 v17, s3, v33, v17
	v_add_co_ci_u32_e64 v18, s3, v34, v18, s3
	s_clause 0x1
	flat_load_b64 v[19:20], v[19:20]
	flat_load_b64 v[17:18], v[17:18]
	s_waitcnt vmcnt(1) lgkmcnt(1)
	v_cndmask_b32_e64 v15, v20, v13, s7
	v_cndmask_b32_e64 v14, v19, v12, s7
	;; [unrolled: 1-line block ×4, first 2 shown]
	v_cmpx_lt_u32_e64 v16, v39
	s_cbranch_execz .LBB1145_44
; %bb.41:
	s_mov_b32 s4, exec_lo
	v_cmpx_lt_u32_e64 v21, v38
	s_cbranch_execz .LBB1145_43
; %bb.42:
	v_add_f64 v[19:20], v[14:15], 0
	v_add_f64 v[22:23], v[25:26], 0
	s_delay_alu instid0(VALU_DEP_2) | instskip(NEXT) | instid1(VALU_DEP_2)
	v_ashrrev_i32_e32 v10, 31, v20
	v_ashrrev_i32_e32 v24, 31, v23
	s_delay_alu instid0(VALU_DEP_2) | instskip(NEXT) | instid1(VALU_DEP_2)
	v_or_b32_e32 v27, 0x80000000, v10
	v_or_b32_e32 v28, 0x80000000, v24
	v_xor_b32_e32 v19, v10, v19
	v_xor_b32_e32 v22, v24, v22
	s_delay_alu instid0(VALU_DEP_4) | instskip(NEXT) | instid1(VALU_DEP_4)
	v_xor_b32_e32 v20, v27, v20
	v_xor_b32_e32 v23, v28, v23
	s_delay_alu instid0(VALU_DEP_1) | instskip(NEXT) | instid1(VALU_DEP_1)
	v_cmp_le_u64_e64 s3, v[19:20], v[22:23]
	s_and_b32 s11, s3, exec_lo
.LBB1145_43:
	s_or_b32 exec_lo, exec_lo, s4
	s_delay_alu instid0(SALU_CYCLE_1)
	s_or_not1_b32 s4, s11, exec_lo
.LBB1145_44:
	s_or_b32 exec_lo, exec_lo, s10
	v_cndmask_b32_e64 v10, v16, v21, s4
	v_cndmask_b32_e64 v19, v39, v38, s4
	s_mov_b32 s15, 0
	s_mov_b32 s10, -1
	s_mov_b32 s11, -1
	v_add_nc_u32_e32 v24, 1, v10
	v_add_nc_u32_e32 v22, -1, v19
	v_lshlrev_b64 v[19:20], 3, v[10:11]
	s_mov_b32 s14, exec_lo
	s_delay_alu instid0(VALU_DEP_3) | instskip(NEXT) | instid1(VALU_DEP_3)
	v_cndmask_b32_e64 v16, v24, v16, s4
	v_min_u32_e32 v10, v24, v22
	v_cndmask_b32_e64 v29, v21, v24, s4
	s_delay_alu instid0(VALU_DEP_2) | instskip(NEXT) | instid1(VALU_DEP_1)
	v_lshlrev_b64 v[10:11], 3, v[10:11]
	v_add_co_u32 v10, s3, v35, v10
	s_delay_alu instid0(VALU_DEP_1) | instskip(SKIP_2) | instid1(VALU_DEP_1)
	v_add_co_ci_u32_e64 v11, s3, v36, v11, s3
	flat_load_b64 v[22:23], v[10:11]
	v_add_co_u32 v10, s3, v33, v19
	v_add_co_ci_u32_e64 v11, s3, v34, v20, s3
	flat_load_b64 v[19:20], v[10:11]
	s_waitcnt vmcnt(1) lgkmcnt(1)
	v_cndmask_b32_e64 v11, v23, v15, s4
	v_cndmask_b32_e64 v10, v22, v14, s4
	;; [unrolled: 1-line block ×4, first 2 shown]
	v_cmpx_lt_u32_e64 v16, v39
	s_cbranch_execz .LBB1145_48
; %bb.45:
	s_mov_b32 s11, exec_lo
	v_cmpx_lt_u32_e64 v29, v38
	s_cbranch_execz .LBB1145_47
; %bb.46:
	v_add_f64 v[21:22], v[10:11], 0
	v_add_f64 v[23:24], v[27:28], 0
	s_delay_alu instid0(VALU_DEP_2) | instskip(NEXT) | instid1(VALU_DEP_2)
	v_ashrrev_i32_e32 v30, 31, v22
	v_ashrrev_i32_e32 v31, 31, v24
	s_delay_alu instid0(VALU_DEP_2) | instskip(NEXT) | instid1(VALU_DEP_2)
	v_or_b32_e32 v32, 0x80000000, v30
	v_or_b32_e32 v48, 0x80000000, v31
	v_xor_b32_e32 v21, v30, v21
	v_xor_b32_e32 v23, v31, v23
	s_delay_alu instid0(VALU_DEP_4) | instskip(NEXT) | instid1(VALU_DEP_4)
	v_xor_b32_e32 v22, v32, v22
	v_xor_b32_e32 v24, v48, v24
	s_delay_alu instid0(VALU_DEP_1) | instskip(NEXT) | instid1(VALU_DEP_1)
	v_cmp_le_u64_e64 s3, v[21:22], v[23:24]
	s_and_b32 s15, s3, exec_lo
.LBB1145_47:
	s_or_b32 exec_lo, exec_lo, s11
	s_delay_alu instid0(SALU_CYCLE_1)
	s_or_not1_b32 s11, s15, exec_lo
.LBB1145_48:
	s_or_b32 exec_lo, exec_lo, s14
	v_cndmask_b32_e64 v23, v16, v29, s11
	v_cndmask_b32_e64 v21, v39, v38, s11
	v_mov_b32_e32 v24, 0
	s_mov_b32 s15, 0
	s_mov_b32 s14, exec_lo
	v_add_nc_u32_e32 v48, 1, v23
	v_add_nc_u32_e32 v30, -1, v21
	v_lshlrev_b64 v[21:22], 3, v[23:24]
	s_delay_alu instid0(VALU_DEP_3) | instskip(NEXT) | instid1(VALU_DEP_3)
	v_cndmask_b32_e64 v16, v48, v16, s11
	v_min_u32_e32 v23, v48, v30
	s_delay_alu instid0(VALU_DEP_1) | instskip(SKIP_1) | instid1(VALU_DEP_2)
	v_lshlrev_b64 v[30:31], 3, v[23:24]
	v_cndmask_b32_e64 v23, v29, v48, s11
	v_add_co_u32 v30, s3, v35, v30
	s_delay_alu instid0(VALU_DEP_1) | instskip(SKIP_1) | instid1(VALU_DEP_1)
	v_add_co_ci_u32_e64 v31, s3, v36, v31, s3
	v_add_co_u32 v21, s3, v33, v21
	v_add_co_ci_u32_e64 v22, s3, v34, v22, s3
	s_clause 0x1
	flat_load_b64 v[31:32], v[30:31]
	flat_load_b64 v[21:22], v[21:22]
	s_waitcnt vmcnt(1) lgkmcnt(1)
	v_cndmask_b32_e64 v30, v32, v11, s11
	v_cndmask_b32_e64 v29, v31, v10, s11
	;; [unrolled: 1-line block ×4, first 2 shown]
	v_cmpx_lt_u32_e64 v16, v39
	s_cbranch_execz .LBB1145_52
; %bb.49:
	s_mov_b32 s10, exec_lo
	v_cmpx_lt_u32_e64 v23, v38
	s_cbranch_execz .LBB1145_51
; %bb.50:
	v_add_f64 v[38:39], v[29:30], 0
	v_add_f64 v[48:49], v[31:32], 0
	s_delay_alu instid0(VALU_DEP_2) | instskip(NEXT) | instid1(VALU_DEP_2)
	v_ashrrev_i32_e32 v50, 31, v39
	v_ashrrev_i32_e32 v51, 31, v49
	s_delay_alu instid0(VALU_DEP_2) | instskip(NEXT) | instid1(VALU_DEP_2)
	v_or_b32_e32 v52, 0x80000000, v50
	v_or_b32_e32 v53, 0x80000000, v51
	v_xor_b32_e32 v38, v50, v38
	v_xor_b32_e32 v48, v51, v48
	s_delay_alu instid0(VALU_DEP_4) | instskip(NEXT) | instid1(VALU_DEP_4)
	v_xor_b32_e32 v39, v52, v39
	v_xor_b32_e32 v49, v53, v49
	s_delay_alu instid0(VALU_DEP_1) | instskip(NEXT) | instid1(VALU_DEP_1)
	v_cmp_le_u64_e64 s3, v[38:39], v[48:49]
	s_and_b32 s15, s3, exec_lo
.LBB1145_51:
	s_or_b32 exec_lo, exec_lo, s10
	s_delay_alu instid0(SALU_CYCLE_1)
	s_or_not1_b32 s10, s15, exec_lo
.LBB1145_52:
	s_or_b32 exec_lo, exec_lo, s14
	v_cndmask_b32_e64 v23, v16, v23, s10
	v_cndmask_b32_e64 v11, v11, v28, s11
	;; [unrolled: 1-line block ×5, first 2 shown]
	v_lshlrev_b64 v[23:24], 3, v[23:24]
	v_cndmask_b32_e64 v65, v13, v7, s7
	v_cndmask_b32_e64 v64, v12, v6, s7
	;; [unrolled: 1-line block ×4, first 2 shown]
	v_add_co_u32 v23, s3, v33, v23
	s_delay_alu instid0(VALU_DEP_1)
	v_add_co_ci_u32_e64 v24, s3, v34, v24, s3
	flat_load_b64 v[23:24], v[23:24]
.LBB1145_53:
	s_or_b32 exec_lo, exec_lo, s5
	v_and_b32_e32 v14, 0x70, v81
	v_and_b32_e32 v7, 12, v81
	s_mov_b32 s4, exec_lo
	; wave barrier
	s_delay_alu instid0(VALU_DEP_2) | instskip(NEXT) | instid1(VALU_DEP_2)
	v_or_b32_e32 v6, 8, v14
	v_min_u32_e32 v15, v37, v7
	s_clause 0x2
	flat_store_b128 v[0:1], v[64:67]
	flat_store_b128 v[0:1], v[10:13] offset:16
	flat_store_b128 v[4:5], v[17:20]
	s_waitcnt vmcnt(0) lgkmcnt(3)
	flat_store_b128 v[4:5], v[21:24] offset:16
	; wave barrier
	v_min_u32_e32 v38, v37, v6
	s_delay_alu instid0(VALU_DEP_1) | instskip(SKIP_1) | instid1(VALU_DEP_2)
	v_add_nc_u32_e32 v6, 8, v38
	v_sub_nc_u32_e32 v7, v38, v14
	v_min_u32_e32 v39, v37, v6
	s_delay_alu instid0(VALU_DEP_2) | instskip(NEXT) | instid1(VALU_DEP_2)
	v_min_u32_e32 v25, v15, v7
	v_sub_nc_u32_e32 v6, v39, v38
	s_delay_alu instid0(VALU_DEP_1) | instskip(NEXT) | instid1(VALU_DEP_1)
	v_sub_nc_u32_e64 v16, v15, v6 clamp
	v_cmpx_lt_u32_e64 v16, v25
	s_cbranch_execz .LBB1145_57
; %bb.54:
	v_lshlrev_b32_e32 v6, 3, v14
	v_lshlrev_b32_e32 v7, 3, v38
	s_mov_b32 s5, 0
	s_delay_alu instid0(VALU_DEP_2) | instskip(NEXT) | instid1(VALU_DEP_1)
	v_add_co_u32 v26, s3, v35, v6
	v_add_co_ci_u32_e64 v27, s3, 0, v36, s3
	s_delay_alu instid0(VALU_DEP_3)
	v_add_co_u32 v28, s3, v35, v7
	v_mov_b32_e32 v7, 0
	v_add_co_ci_u32_e64 v29, s3, 0, v36, s3
	s_set_inst_prefetch_distance 0x1
	.p2align	6
.LBB1145_55:                            ; =>This Inner Loop Header: Depth=1
	s_delay_alu instid0(VALU_DEP_2) | instskip(NEXT) | instid1(VALU_DEP_1)
	v_dual_mov_b32 v31, v7 :: v_dual_add_nc_u32 v6, v25, v16
	v_lshrrev_b32_e32 v6, 1, v6
	s_delay_alu instid0(VALU_DEP_1) | instskip(SKIP_1) | instid1(VALU_DEP_2)
	v_xad_u32 v30, v6, -1, v15
	v_lshlrev_b64 v[48:49], 3, v[6:7]
	v_lshlrev_b64 v[30:31], 3, v[30:31]
	s_delay_alu instid0(VALU_DEP_2) | instskip(NEXT) | instid1(VALU_DEP_1)
	v_add_co_u32 v48, s3, v26, v48
	v_add_co_ci_u32_e64 v49, s3, v27, v49, s3
	s_delay_alu instid0(VALU_DEP_3) | instskip(NEXT) | instid1(VALU_DEP_1)
	v_add_co_u32 v30, s3, v28, v30
	v_add_co_ci_u32_e64 v31, s3, v29, v31, s3
	s_clause 0x1
	flat_load_b64 v[48:49], v[48:49]
	flat_load_b64 v[30:31], v[30:31]
	s_waitcnt vmcnt(1) lgkmcnt(1)
	v_add_f64 v[48:49], v[48:49], 0
	s_waitcnt vmcnt(0) lgkmcnt(0)
	v_add_f64 v[30:31], v[30:31], 0
	s_delay_alu instid0(VALU_DEP_2) | instskip(NEXT) | instid1(VALU_DEP_2)
	v_ashrrev_i32_e32 v32, 31, v49
	v_ashrrev_i32_e32 v50, 31, v31
	s_delay_alu instid0(VALU_DEP_2) | instskip(NEXT) | instid1(VALU_DEP_2)
	v_or_b32_e32 v51, 0x80000000, v32
	v_or_b32_e32 v52, 0x80000000, v50
	v_xor_b32_e32 v48, v32, v48
	v_xor_b32_e32 v30, v50, v30
	s_delay_alu instid0(VALU_DEP_4) | instskip(NEXT) | instid1(VALU_DEP_4)
	v_xor_b32_e32 v49, v51, v49
	v_xor_b32_e32 v31, v52, v31
	s_delay_alu instid0(VALU_DEP_1) | instskip(SKIP_1) | instid1(VALU_DEP_2)
	v_cmp_gt_u64_e64 s3, v[30:31], v[48:49]
	v_add_nc_u32_e32 v30, 1, v6
	v_cndmask_b32_e64 v25, v25, v6, s3
	s_delay_alu instid0(VALU_DEP_2) | instskip(NEXT) | instid1(VALU_DEP_1)
	v_cndmask_b32_e64 v16, v30, v16, s3
	v_cmp_ge_u32_e64 s3, v16, v25
	s_delay_alu instid0(VALU_DEP_1) | instskip(NEXT) | instid1(SALU_CYCLE_1)
	s_or_b32 s5, s3, s5
	s_and_not1_b32 exec_lo, exec_lo, s5
	s_cbranch_execnz .LBB1145_55
; %bb.56:
	s_set_inst_prefetch_distance 0x2
	s_or_b32 exec_lo, exec_lo, s5
.LBB1145_57:
	s_delay_alu instid0(SALU_CYCLE_1) | instskip(SKIP_2) | instid1(VALU_DEP_2)
	s_or_b32 exec_lo, exec_lo, s4
	v_add_nc_u32_e32 v6, v38, v15
	v_add_nc_u32_e32 v14, v16, v14
	v_sub_nc_u32_e32 v16, v6, v16
	s_delay_alu instid0(VALU_DEP_2) | instskip(NEXT) | instid1(VALU_DEP_2)
	v_cmp_le_u32_e64 s3, v14, v38
	v_cmp_le_u32_e64 s4, v16, v39
	s_delay_alu instid0(VALU_DEP_1) | instskip(NEXT) | instid1(SALU_CYCLE_1)
	s_or_b32 s3, s3, s4
	s_and_saveexec_b32 s5, s3
	s_cbranch_execz .LBB1145_77
; %bb.58:
	v_cmp_ge_u32_e64 s3, v14, v38
	s_mov_b32 s7, exec_lo
                                        ; implicit-def: $vgpr6_vgpr7
	v_cmpx_lt_u32_e64 v14, v38
	s_cbranch_execz .LBB1145_60
; %bb.59:
	v_mov_b32_e32 v15, 0
	s_delay_alu instid0(VALU_DEP_1) | instskip(NEXT) | instid1(VALU_DEP_1)
	v_lshlrev_b64 v[6:7], 3, v[14:15]
	v_add_co_u32 v6, s4, v35, v6
	s_delay_alu instid0(VALU_DEP_1)
	v_add_co_ci_u32_e64 v7, s4, v36, v7, s4
	flat_load_b64 v[6:7], v[6:7]
.LBB1145_60:
	s_or_b32 exec_lo, exec_lo, s7
	v_cmp_ge_u32_e64 s7, v16, v39
	s_mov_b32 s10, exec_lo
                                        ; implicit-def: $vgpr12_vgpr13
	v_cmpx_lt_u32_e64 v16, v39
	s_cbranch_execz .LBB1145_62
; %bb.61:
	v_mov_b32_e32 v17, 0
	s_delay_alu instid0(VALU_DEP_1) | instskip(NEXT) | instid1(VALU_DEP_1)
	v_lshlrev_b64 v[10:11], 3, v[16:17]
	v_add_co_u32 v10, s4, v35, v10
	s_delay_alu instid0(VALU_DEP_1)
	v_add_co_ci_u32_e64 v11, s4, v36, v11, s4
	flat_load_b64 v[12:13], v[10:11]
.LBB1145_62:
	s_or_b32 exec_lo, exec_lo, s10
	s_or_b32 s3, s3, s7
	s_mov_b32 s4, -1
	s_xor_b32 s3, s3, -1
	s_delay_alu instid0(SALU_CYCLE_1)
	s_and_saveexec_b32 s10, s3
	s_cbranch_execz .LBB1145_64
; %bb.63:
	s_waitcnt vmcnt(0) lgkmcnt(0)
	v_add_f64 v[10:11], v[12:13], 0
	v_add_f64 v[17:18], v[6:7], 0
	s_and_not1_b32 s7, s7, exec_lo
	s_delay_alu instid0(VALU_DEP_2) | instskip(NEXT) | instid1(VALU_DEP_2)
	v_ashrrev_i32_e32 v15, 31, v11
	v_ashrrev_i32_e32 v19, 31, v18
	s_delay_alu instid0(VALU_DEP_2) | instskip(NEXT) | instid1(VALU_DEP_2)
	v_or_b32_e32 v20, 0x80000000, v15
	v_or_b32_e32 v21, 0x80000000, v19
	v_xor_b32_e32 v10, v15, v10
	v_xor_b32_e32 v17, v19, v17
	s_delay_alu instid0(VALU_DEP_4) | instskip(NEXT) | instid1(VALU_DEP_4)
	v_xor_b32_e32 v11, v20, v11
	v_xor_b32_e32 v18, v21, v18
	s_delay_alu instid0(VALU_DEP_1) | instskip(NEXT) | instid1(VALU_DEP_1)
	v_cmp_le_u64_e64 s3, v[10:11], v[17:18]
	s_and_b32 s3, s3, exec_lo
	s_delay_alu instid0(SALU_CYCLE_1)
	s_or_b32 s7, s7, s3
.LBB1145_64:
	s_or_b32 exec_lo, exec_lo, s10
	v_cndmask_b32_e64 v10, v16, v14, s7
	v_cndmask_b32_e64 v15, v39, v38, s7
	v_mov_b32_e32 v11, 0
	s_mov_b32 s11, 0
	s_mov_b32 s10, exec_lo
	v_add_nc_u32_e32 v21, 1, v10
	v_add_nc_u32_e32 v15, -1, v15
	v_lshlrev_b64 v[17:18], 3, v[10:11]
	s_delay_alu instid0(VALU_DEP_3) | instskip(NEXT) | instid1(VALU_DEP_3)
	v_cndmask_b32_e64 v16, v21, v16, s7
	v_min_u32_e32 v10, v21, v15
	v_cndmask_b32_e64 v21, v14, v21, s7
	s_delay_alu instid0(VALU_DEP_2) | instskip(NEXT) | instid1(VALU_DEP_1)
	v_lshlrev_b64 v[19:20], 3, v[10:11]
	v_add_co_u32 v19, s3, v35, v19
	s_delay_alu instid0(VALU_DEP_1) | instskip(SKIP_1) | instid1(VALU_DEP_1)
	v_add_co_ci_u32_e64 v20, s3, v36, v20, s3
	v_add_co_u32 v17, s3, v33, v17
	v_add_co_ci_u32_e64 v18, s3, v34, v18, s3
	s_clause 0x1
	flat_load_b64 v[19:20], v[19:20]
	flat_load_b64 v[17:18], v[17:18]
	s_waitcnt vmcnt(1) lgkmcnt(1)
	v_cndmask_b32_e64 v15, v20, v13, s7
	v_cndmask_b32_e64 v14, v19, v12, s7
	;; [unrolled: 1-line block ×4, first 2 shown]
	v_cmpx_lt_u32_e64 v16, v39
	s_cbranch_execz .LBB1145_68
; %bb.65:
	s_mov_b32 s4, exec_lo
	v_cmpx_lt_u32_e64 v21, v38
	s_cbranch_execz .LBB1145_67
; %bb.66:
	v_add_f64 v[19:20], v[14:15], 0
	v_add_f64 v[22:23], v[25:26], 0
	s_delay_alu instid0(VALU_DEP_2) | instskip(NEXT) | instid1(VALU_DEP_2)
	v_ashrrev_i32_e32 v10, 31, v20
	v_ashrrev_i32_e32 v24, 31, v23
	s_delay_alu instid0(VALU_DEP_2) | instskip(NEXT) | instid1(VALU_DEP_2)
	v_or_b32_e32 v27, 0x80000000, v10
	v_or_b32_e32 v28, 0x80000000, v24
	v_xor_b32_e32 v19, v10, v19
	v_xor_b32_e32 v22, v24, v22
	s_delay_alu instid0(VALU_DEP_4) | instskip(NEXT) | instid1(VALU_DEP_4)
	v_xor_b32_e32 v20, v27, v20
	v_xor_b32_e32 v23, v28, v23
	s_delay_alu instid0(VALU_DEP_1) | instskip(NEXT) | instid1(VALU_DEP_1)
	v_cmp_le_u64_e64 s3, v[19:20], v[22:23]
	s_and_b32 s11, s3, exec_lo
.LBB1145_67:
	s_or_b32 exec_lo, exec_lo, s4
	s_delay_alu instid0(SALU_CYCLE_1)
	s_or_not1_b32 s4, s11, exec_lo
.LBB1145_68:
	s_or_b32 exec_lo, exec_lo, s10
	v_cndmask_b32_e64 v10, v16, v21, s4
	v_cndmask_b32_e64 v19, v39, v38, s4
	s_mov_b32 s15, 0
	s_mov_b32 s10, -1
	s_mov_b32 s11, -1
	v_add_nc_u32_e32 v24, 1, v10
	v_add_nc_u32_e32 v22, -1, v19
	v_lshlrev_b64 v[19:20], 3, v[10:11]
	s_mov_b32 s14, exec_lo
	s_delay_alu instid0(VALU_DEP_3) | instskip(NEXT) | instid1(VALU_DEP_3)
	v_cndmask_b32_e64 v16, v24, v16, s4
	v_min_u32_e32 v10, v24, v22
	v_cndmask_b32_e64 v29, v21, v24, s4
	s_delay_alu instid0(VALU_DEP_2) | instskip(NEXT) | instid1(VALU_DEP_1)
	v_lshlrev_b64 v[10:11], 3, v[10:11]
	v_add_co_u32 v10, s3, v35, v10
	s_delay_alu instid0(VALU_DEP_1) | instskip(SKIP_2) | instid1(VALU_DEP_1)
	v_add_co_ci_u32_e64 v11, s3, v36, v11, s3
	flat_load_b64 v[22:23], v[10:11]
	v_add_co_u32 v10, s3, v33, v19
	v_add_co_ci_u32_e64 v11, s3, v34, v20, s3
	flat_load_b64 v[19:20], v[10:11]
	s_waitcnt vmcnt(1) lgkmcnt(1)
	v_cndmask_b32_e64 v11, v23, v15, s4
	v_cndmask_b32_e64 v10, v22, v14, s4
	;; [unrolled: 1-line block ×4, first 2 shown]
	v_cmpx_lt_u32_e64 v16, v39
	s_cbranch_execz .LBB1145_72
; %bb.69:
	s_mov_b32 s11, exec_lo
	v_cmpx_lt_u32_e64 v29, v38
	s_cbranch_execz .LBB1145_71
; %bb.70:
	v_add_f64 v[21:22], v[10:11], 0
	v_add_f64 v[23:24], v[27:28], 0
	s_delay_alu instid0(VALU_DEP_2) | instskip(NEXT) | instid1(VALU_DEP_2)
	v_ashrrev_i32_e32 v30, 31, v22
	v_ashrrev_i32_e32 v31, 31, v24
	s_delay_alu instid0(VALU_DEP_2) | instskip(NEXT) | instid1(VALU_DEP_2)
	v_or_b32_e32 v32, 0x80000000, v30
	v_or_b32_e32 v48, 0x80000000, v31
	v_xor_b32_e32 v21, v30, v21
	v_xor_b32_e32 v23, v31, v23
	s_delay_alu instid0(VALU_DEP_4) | instskip(NEXT) | instid1(VALU_DEP_4)
	v_xor_b32_e32 v22, v32, v22
	v_xor_b32_e32 v24, v48, v24
	s_delay_alu instid0(VALU_DEP_1) | instskip(NEXT) | instid1(VALU_DEP_1)
	v_cmp_le_u64_e64 s3, v[21:22], v[23:24]
	s_and_b32 s15, s3, exec_lo
.LBB1145_71:
	s_or_b32 exec_lo, exec_lo, s11
	s_delay_alu instid0(SALU_CYCLE_1)
	s_or_not1_b32 s11, s15, exec_lo
.LBB1145_72:
	s_or_b32 exec_lo, exec_lo, s14
	v_cndmask_b32_e64 v23, v16, v29, s11
	v_cndmask_b32_e64 v21, v39, v38, s11
	v_mov_b32_e32 v24, 0
	s_mov_b32 s15, 0
	s_mov_b32 s14, exec_lo
	v_add_nc_u32_e32 v48, 1, v23
	v_add_nc_u32_e32 v30, -1, v21
	v_lshlrev_b64 v[21:22], 3, v[23:24]
	s_delay_alu instid0(VALU_DEP_3) | instskip(NEXT) | instid1(VALU_DEP_3)
	v_cndmask_b32_e64 v16, v48, v16, s11
	v_min_u32_e32 v23, v48, v30
	s_delay_alu instid0(VALU_DEP_1) | instskip(SKIP_1) | instid1(VALU_DEP_2)
	v_lshlrev_b64 v[30:31], 3, v[23:24]
	v_cndmask_b32_e64 v23, v29, v48, s11
	v_add_co_u32 v30, s3, v35, v30
	s_delay_alu instid0(VALU_DEP_1) | instskip(SKIP_1) | instid1(VALU_DEP_1)
	v_add_co_ci_u32_e64 v31, s3, v36, v31, s3
	v_add_co_u32 v21, s3, v33, v21
	v_add_co_ci_u32_e64 v22, s3, v34, v22, s3
	s_clause 0x1
	flat_load_b64 v[31:32], v[30:31]
	flat_load_b64 v[21:22], v[21:22]
	s_waitcnt vmcnt(1) lgkmcnt(1)
	v_cndmask_b32_e64 v30, v32, v11, s11
	v_cndmask_b32_e64 v29, v31, v10, s11
	;; [unrolled: 1-line block ×4, first 2 shown]
	v_cmpx_lt_u32_e64 v16, v39
	s_cbranch_execz .LBB1145_76
; %bb.73:
	s_mov_b32 s10, exec_lo
	v_cmpx_lt_u32_e64 v23, v38
	s_cbranch_execz .LBB1145_75
; %bb.74:
	v_add_f64 v[38:39], v[29:30], 0
	v_add_f64 v[48:49], v[31:32], 0
	s_delay_alu instid0(VALU_DEP_2) | instskip(NEXT) | instid1(VALU_DEP_2)
	v_ashrrev_i32_e32 v50, 31, v39
	v_ashrrev_i32_e32 v51, 31, v49
	s_delay_alu instid0(VALU_DEP_2) | instskip(NEXT) | instid1(VALU_DEP_2)
	v_or_b32_e32 v52, 0x80000000, v50
	v_or_b32_e32 v53, 0x80000000, v51
	v_xor_b32_e32 v38, v50, v38
	v_xor_b32_e32 v48, v51, v48
	s_delay_alu instid0(VALU_DEP_4) | instskip(NEXT) | instid1(VALU_DEP_4)
	v_xor_b32_e32 v39, v52, v39
	v_xor_b32_e32 v49, v53, v49
	s_delay_alu instid0(VALU_DEP_1) | instskip(NEXT) | instid1(VALU_DEP_1)
	v_cmp_le_u64_e64 s3, v[38:39], v[48:49]
	s_and_b32 s15, s3, exec_lo
.LBB1145_75:
	s_or_b32 exec_lo, exec_lo, s10
	s_delay_alu instid0(SALU_CYCLE_1)
	s_or_not1_b32 s10, s15, exec_lo
.LBB1145_76:
	s_or_b32 exec_lo, exec_lo, s14
	v_cndmask_b32_e64 v23, v16, v23, s10
	v_cndmask_b32_e64 v11, v11, v28, s11
	;; [unrolled: 1-line block ×5, first 2 shown]
	v_lshlrev_b64 v[23:24], 3, v[23:24]
	v_cndmask_b32_e64 v65, v13, v7, s7
	v_cndmask_b32_e64 v64, v12, v6, s7
	;; [unrolled: 1-line block ×4, first 2 shown]
	v_add_co_u32 v23, s3, v33, v23
	s_delay_alu instid0(VALU_DEP_1)
	v_add_co_ci_u32_e64 v24, s3, v34, v24, s3
	flat_load_b64 v[23:24], v[23:24]
.LBB1145_77:
	s_or_b32 exec_lo, exec_lo, s5
	v_and_b32_e32 v6, 0x60, v81
	s_mov_b32 s4, exec_lo
	; wave barrier
	s_clause 0x2
	flat_store_b128 v[0:1], v[64:67]
	flat_store_b128 v[0:1], v[10:13] offset:16
	flat_store_b128 v[4:5], v[17:20]
	s_waitcnt vmcnt(0) lgkmcnt(3)
	flat_store_b128 v[4:5], v[21:24] offset:16
	v_or_b32_e32 v7, 16, v6
	; wave barrier
	s_delay_alu instid0(VALU_DEP_1) | instskip(NEXT) | instid1(VALU_DEP_1)
	v_min_u32_e32 v16, v37, v7
	v_add_nc_u32_e32 v7, 16, v16
	v_sub_nc_u32_e32 v15, v16, v6
	s_delay_alu instid0(VALU_DEP_2) | instskip(SKIP_1) | instid1(VALU_DEP_2)
	v_min_u32_e32 v29, v37, v7
	v_min_u32_e32 v7, v37, v82
	v_sub_nc_u32_e32 v14, v29, v16
	s_delay_alu instid0(VALU_DEP_2) | instskip(NEXT) | instid1(VALU_DEP_2)
	v_min_u32_e32 v15, v7, v15
	v_sub_nc_u32_e64 v14, v7, v14 clamp
	s_delay_alu instid0(VALU_DEP_1)
	v_cmpx_lt_u32_e64 v14, v15
	s_cbranch_execz .LBB1145_81
; %bb.78:
	v_lshlrev_b32_e32 v0, 3, v6
	v_lshlrev_b32_e32 v1, 3, v16
	s_mov_b32 s5, 0
	s_delay_alu instid0(VALU_DEP_2) | instskip(NEXT) | instid1(VALU_DEP_1)
	v_add_co_u32 v4, s3, v35, v0
	v_add_co_ci_u32_e64 v5, s3, 0, v36, s3
	s_delay_alu instid0(VALU_DEP_3)
	v_add_co_u32 v25, s3, v35, v1
	v_mov_b32_e32 v1, 0
	v_add_co_ci_u32_e64 v26, s3, 0, v36, s3
	s_set_inst_prefetch_distance 0x1
	.p2align	6
.LBB1145_79:                            ; =>This Inner Loop Header: Depth=1
	v_add_nc_u32_e32 v0, v15, v14
	s_delay_alu instid0(VALU_DEP_1) | instskip(SKIP_1) | instid1(VALU_DEP_2)
	v_lshrrev_b32_e32 v0, 1, v0
	v_mov_b32_e32 v28, v1
	v_xad_u32 v27, v0, -1, v7
	v_lshlrev_b64 v[30:31], 3, v[0:1]
	s_delay_alu instid0(VALU_DEP_2) | instskip(NEXT) | instid1(VALU_DEP_2)
	v_lshlrev_b64 v[27:28], 3, v[27:28]
	v_add_co_u32 v30, s3, v4, v30
	s_delay_alu instid0(VALU_DEP_1) | instskip(NEXT) | instid1(VALU_DEP_3)
	v_add_co_ci_u32_e64 v31, s3, v5, v31, s3
	v_add_co_u32 v27, s3, v25, v27
	s_delay_alu instid0(VALU_DEP_1)
	v_add_co_ci_u32_e64 v28, s3, v26, v28, s3
	s_clause 0x1
	flat_load_b64 v[30:31], v[30:31]
	flat_load_b64 v[27:28], v[27:28]
	s_waitcnt vmcnt(1) lgkmcnt(1)
	v_add_f64 v[30:31], v[30:31], 0
	s_waitcnt vmcnt(0) lgkmcnt(0)
	v_add_f64 v[27:28], v[27:28], 0
	s_delay_alu instid0(VALU_DEP_2) | instskip(NEXT) | instid1(VALU_DEP_2)
	v_ashrrev_i32_e32 v32, 31, v31
	v_ashrrev_i32_e32 v37, 31, v28
	s_delay_alu instid0(VALU_DEP_2) | instskip(NEXT) | instid1(VALU_DEP_2)
	v_or_b32_e32 v38, 0x80000000, v32
	v_or_b32_e32 v39, 0x80000000, v37
	v_xor_b32_e32 v30, v32, v30
	v_xor_b32_e32 v27, v37, v27
	s_delay_alu instid0(VALU_DEP_4) | instskip(NEXT) | instid1(VALU_DEP_4)
	v_xor_b32_e32 v31, v38, v31
	v_xor_b32_e32 v28, v39, v28
	s_delay_alu instid0(VALU_DEP_1) | instskip(SKIP_1) | instid1(VALU_DEP_2)
	v_cmp_gt_u64_e64 s3, v[27:28], v[30:31]
	v_add_nc_u32_e32 v27, 1, v0
	v_cndmask_b32_e64 v15, v15, v0, s3
	s_delay_alu instid0(VALU_DEP_2) | instskip(NEXT) | instid1(VALU_DEP_1)
	v_cndmask_b32_e64 v14, v27, v14, s3
	v_cmp_ge_u32_e64 s3, v14, v15
	s_delay_alu instid0(VALU_DEP_1) | instskip(NEXT) | instid1(SALU_CYCLE_1)
	s_or_b32 s5, s3, s5
	s_and_not1_b32 exec_lo, exec_lo, s5
	s_cbranch_execnz .LBB1145_79
; %bb.80:
	s_set_inst_prefetch_distance 0x2
	s_or_b32 exec_lo, exec_lo, s5
.LBB1145_81:
	s_delay_alu instid0(SALU_CYCLE_1) | instskip(SKIP_2) | instid1(VALU_DEP_2)
	s_or_b32 exec_lo, exec_lo, s4
	v_add_nc_u32_e32 v0, v16, v7
	v_add_nc_u32_e32 v6, v14, v6
	v_sub_nc_u32_e32 v14, v0, v14
	s_delay_alu instid0(VALU_DEP_2) | instskip(NEXT) | instid1(VALU_DEP_2)
	v_cmp_le_u32_e64 s3, v6, v16
	v_cmp_le_u32_e64 s4, v14, v29
	s_delay_alu instid0(VALU_DEP_1) | instskip(NEXT) | instid1(SALU_CYCLE_1)
	s_or_b32 s3, s3, s4
	s_and_saveexec_b32 s5, s3
	s_cbranch_execz .LBB1145_101
; %bb.82:
	v_cmp_ge_u32_e64 s3, v6, v16
	s_mov_b32 s7, exec_lo
                                        ; implicit-def: $vgpr0_vgpr1
	v_cmpx_lt_u32_e64 v6, v16
	s_cbranch_execz .LBB1145_84
; %bb.83:
	v_mov_b32_e32 v7, 0
	s_delay_alu instid0(VALU_DEP_1) | instskip(NEXT) | instid1(VALU_DEP_1)
	v_lshlrev_b64 v[0:1], 3, v[6:7]
	v_add_co_u32 v0, s4, v35, v0
	s_delay_alu instid0(VALU_DEP_1)
	v_add_co_ci_u32_e64 v1, s4, v36, v1, s4
	flat_load_b64 v[0:1], v[0:1]
.LBB1145_84:
	s_or_b32 exec_lo, exec_lo, s7
	v_cmp_ge_u32_e64 s7, v14, v29
	s_mov_b32 s10, exec_lo
                                        ; implicit-def: $vgpr4_vgpr5
	v_cmpx_lt_u32_e64 v14, v29
	s_cbranch_execz .LBB1145_86
; %bb.85:
	v_mov_b32_e32 v15, 0
	s_delay_alu instid0(VALU_DEP_1) | instskip(NEXT) | instid1(VALU_DEP_1)
	v_lshlrev_b64 v[4:5], 3, v[14:15]
	v_add_co_u32 v4, s4, v35, v4
	s_delay_alu instid0(VALU_DEP_1)
	v_add_co_ci_u32_e64 v5, s4, v36, v5, s4
	flat_load_b64 v[4:5], v[4:5]
.LBB1145_86:
	s_or_b32 exec_lo, exec_lo, s10
	s_or_b32 s3, s3, s7
	s_mov_b32 s4, -1
	s_xor_b32 s3, s3, -1
	s_delay_alu instid0(SALU_CYCLE_1)
	s_and_saveexec_b32 s10, s3
	s_cbranch_execz .LBB1145_88
; %bb.87:
	s_waitcnt vmcnt(0) lgkmcnt(0)
	v_add_f64 v[10:11], v[4:5], 0
	v_add_f64 v[12:13], v[0:1], 0
	s_and_not1_b32 s7, s7, exec_lo
	s_delay_alu instid0(VALU_DEP_2) | instskip(NEXT) | instid1(VALU_DEP_2)
	v_ashrrev_i32_e32 v7, 31, v11
	v_ashrrev_i32_e32 v15, 31, v13
	s_delay_alu instid0(VALU_DEP_2) | instskip(NEXT) | instid1(VALU_DEP_2)
	v_or_b32_e32 v17, 0x80000000, v7
	v_or_b32_e32 v18, 0x80000000, v15
	v_xor_b32_e32 v10, v7, v10
	v_xor_b32_e32 v12, v15, v12
	s_delay_alu instid0(VALU_DEP_4) | instskip(NEXT) | instid1(VALU_DEP_4)
	v_xor_b32_e32 v11, v17, v11
	v_xor_b32_e32 v13, v18, v13
	s_delay_alu instid0(VALU_DEP_1) | instskip(NEXT) | instid1(VALU_DEP_1)
	v_cmp_le_u64_e64 s3, v[10:11], v[12:13]
	s_and_b32 s3, s3, exec_lo
	s_delay_alu instid0(SALU_CYCLE_1)
	s_or_b32 s7, s7, s3
.LBB1145_88:
	s_or_b32 exec_lo, exec_lo, s10
	v_cndmask_b32_e64 v10, v14, v6, s7
	v_cndmask_b32_e64 v7, v29, v16, s7
	v_mov_b32_e32 v11, 0
	s_mov_b32 s11, 0
	s_mov_b32 s10, exec_lo
	v_add_nc_u32_e32 v15, 1, v10
	v_add_nc_u32_e32 v7, -1, v7
	v_lshlrev_b64 v[12:13], 3, v[10:11]
	s_delay_alu instid0(VALU_DEP_3) | instskip(NEXT) | instid1(VALU_DEP_3)
	v_cndmask_b32_e64 v14, v15, v14, s7
	v_min_u32_e32 v10, v15, v7
	v_cndmask_b32_e64 v15, v6, v15, s7
	s_delay_alu instid0(VALU_DEP_2) | instskip(NEXT) | instid1(VALU_DEP_1)
	v_lshlrev_b64 v[17:18], 3, v[10:11]
	v_add_co_u32 v17, s3, v35, v17
	s_delay_alu instid0(VALU_DEP_1) | instskip(SKIP_1) | instid1(VALU_DEP_1)
	v_add_co_ci_u32_e64 v18, s3, v36, v18, s3
	v_add_co_u32 v12, s3, v33, v12
	v_add_co_ci_u32_e64 v13, s3, v34, v13, s3
	s_clause 0x1
	flat_load_b64 v[19:20], v[17:18]
	flat_load_b64 v[17:18], v[12:13]
	s_waitcnt vmcnt(1) lgkmcnt(1)
	v_cndmask_b32_e64 v7, v20, v5, s7
	v_cndmask_b32_e64 v6, v19, v4, s7
	;; [unrolled: 1-line block ×4, first 2 shown]
	v_cmpx_lt_u32_e64 v14, v29
	s_cbranch_execz .LBB1145_92
; %bb.89:
	s_mov_b32 s4, exec_lo
	v_cmpx_lt_u32_e64 v15, v16
	s_cbranch_execz .LBB1145_91
; %bb.90:
	v_add_f64 v[19:20], v[6:7], 0
	v_add_f64 v[21:22], v[12:13], 0
	s_delay_alu instid0(VALU_DEP_2) | instskip(NEXT) | instid1(VALU_DEP_2)
	v_ashrrev_i32_e32 v10, 31, v20
	v_ashrrev_i32_e32 v23, 31, v22
	s_delay_alu instid0(VALU_DEP_2) | instskip(NEXT) | instid1(VALU_DEP_2)
	v_or_b32_e32 v24, 0x80000000, v10
	v_or_b32_e32 v25, 0x80000000, v23
	v_xor_b32_e32 v19, v10, v19
	v_xor_b32_e32 v21, v23, v21
	s_delay_alu instid0(VALU_DEP_4) | instskip(NEXT) | instid1(VALU_DEP_4)
	v_xor_b32_e32 v20, v24, v20
	v_xor_b32_e32 v22, v25, v22
	s_delay_alu instid0(VALU_DEP_1) | instskip(NEXT) | instid1(VALU_DEP_1)
	v_cmp_le_u64_e64 s3, v[19:20], v[21:22]
	s_and_b32 s11, s3, exec_lo
.LBB1145_91:
	s_or_b32 exec_lo, exec_lo, s4
	s_delay_alu instid0(SALU_CYCLE_1)
	s_or_not1_b32 s4, s11, exec_lo
.LBB1145_92:
	s_or_b32 exec_lo, exec_lo, s10
	v_cndmask_b32_e64 v10, v14, v15, s4
	v_cndmask_b32_e64 v19, v29, v16, s4
	s_mov_b32 s15, 0
	s_mov_b32 s10, -1
	s_mov_b32 s11, -1
	v_add_nc_u32_e32 v23, 1, v10
	v_add_nc_u32_e32 v21, -1, v19
	v_lshlrev_b64 v[19:20], 3, v[10:11]
	s_mov_b32 s14, exec_lo
	s_delay_alu instid0(VALU_DEP_3) | instskip(NEXT) | instid1(VALU_DEP_3)
	v_cndmask_b32_e64 v25, v23, v14, s4
	v_min_u32_e32 v10, v23, v21
	v_cndmask_b32_e64 v26, v15, v23, s4
	s_delay_alu instid0(VALU_DEP_2) | instskip(NEXT) | instid1(VALU_DEP_1)
	v_lshlrev_b64 v[10:11], 3, v[10:11]
	v_add_co_u32 v10, s3, v35, v10
	s_delay_alu instid0(VALU_DEP_1) | instskip(SKIP_2) | instid1(VALU_DEP_1)
	v_add_co_ci_u32_e64 v11, s3, v36, v11, s3
	flat_load_b64 v[21:22], v[10:11]
	v_add_co_u32 v10, s3, v33, v19
	v_add_co_ci_u32_e64 v11, s3, v34, v20, s3
	flat_load_b64 v[19:20], v[10:11]
	s_waitcnt vmcnt(1) lgkmcnt(1)
	v_cndmask_b32_e64 v11, v22, v7, s4
	v_cndmask_b32_e64 v10, v21, v6, s4
	;; [unrolled: 1-line block ×4, first 2 shown]
	v_cmpx_lt_u32_e64 v25, v29
	s_cbranch_execz .LBB1145_96
; %bb.93:
	s_mov_b32 s11, exec_lo
	v_cmpx_lt_u32_e64 v26, v16
	s_cbranch_execz .LBB1145_95
; %bb.94:
	v_add_f64 v[21:22], v[10:11], 0
	v_add_f64 v[23:24], v[14:15], 0
	s_delay_alu instid0(VALU_DEP_2) | instskip(NEXT) | instid1(VALU_DEP_2)
	v_ashrrev_i32_e32 v27, 31, v22
	v_ashrrev_i32_e32 v28, 31, v24
	s_delay_alu instid0(VALU_DEP_2) | instskip(NEXT) | instid1(VALU_DEP_2)
	v_or_b32_e32 v30, 0x80000000, v27
	v_or_b32_e32 v31, 0x80000000, v28
	v_xor_b32_e32 v21, v27, v21
	v_xor_b32_e32 v23, v28, v23
	s_delay_alu instid0(VALU_DEP_4) | instskip(NEXT) | instid1(VALU_DEP_4)
	v_xor_b32_e32 v22, v30, v22
	v_xor_b32_e32 v24, v31, v24
	s_delay_alu instid0(VALU_DEP_1) | instskip(NEXT) | instid1(VALU_DEP_1)
	v_cmp_le_u64_e64 s3, v[21:22], v[23:24]
	s_and_b32 s15, s3, exec_lo
.LBB1145_95:
	s_or_b32 exec_lo, exec_lo, s11
	s_delay_alu instid0(SALU_CYCLE_1)
	s_or_not1_b32 s11, s15, exec_lo
.LBB1145_96:
	s_or_b32 exec_lo, exec_lo, s14
	v_cndmask_b32_e64 v23, v25, v26, s11
	v_cndmask_b32_e64 v21, v29, v16, s11
	v_mov_b32_e32 v24, 0
	s_mov_b32 s15, 0
	s_mov_b32 s14, exec_lo
	v_add_nc_u32_e32 v30, 1, v23
	v_add_nc_u32_e32 v27, -1, v21
	v_lshlrev_b64 v[21:22], 3, v[23:24]
	s_delay_alu instid0(VALU_DEP_2) | instskip(NEXT) | instid1(VALU_DEP_1)
	v_min_u32_e32 v23, v30, v27
	v_lshlrev_b64 v[27:28], 3, v[23:24]
	v_cndmask_b32_e64 v23, v30, v25, s11
	v_cndmask_b32_e64 v30, v26, v30, s11
	s_delay_alu instid0(VALU_DEP_3) | instskip(NEXT) | instid1(VALU_DEP_1)
	v_add_co_u32 v27, s3, v35, v27
	v_add_co_ci_u32_e64 v28, s3, v36, v28, s3
	v_add_co_u32 v21, s3, v33, v21
	s_delay_alu instid0(VALU_DEP_1)
	v_add_co_ci_u32_e64 v22, s3, v34, v22, s3
	s_clause 0x1
	flat_load_b64 v[27:28], v[27:28]
	flat_load_b64 v[21:22], v[21:22]
	s_waitcnt vmcnt(1) lgkmcnt(1)
	v_cndmask_b32_e64 v26, v28, v11, s11
	v_cndmask_b32_e64 v25, v27, v10, s11
	;; [unrolled: 1-line block ×4, first 2 shown]
	v_cmpx_lt_u32_e64 v23, v29
	s_cbranch_execz .LBB1145_100
; %bb.97:
	s_mov_b32 s10, exec_lo
	v_cmpx_lt_u32_e64 v30, v16
	s_cbranch_execz .LBB1145_99
; %bb.98:
	v_add_f64 v[31:32], v[25:26], 0
	v_add_f64 v[35:36], v[27:28], 0
	s_delay_alu instid0(VALU_DEP_2) | instskip(NEXT) | instid1(VALU_DEP_2)
	v_ashrrev_i32_e32 v16, 31, v32
	v_ashrrev_i32_e32 v29, 31, v36
	s_delay_alu instid0(VALU_DEP_2) | instskip(NEXT) | instid1(VALU_DEP_2)
	v_or_b32_e32 v37, 0x80000000, v16
	v_or_b32_e32 v38, 0x80000000, v29
	v_xor_b32_e32 v31, v16, v31
	v_xor_b32_e32 v35, v29, v35
	s_delay_alu instid0(VALU_DEP_4) | instskip(NEXT) | instid1(VALU_DEP_4)
	v_xor_b32_e32 v32, v37, v32
	v_xor_b32_e32 v36, v38, v36
	s_delay_alu instid0(VALU_DEP_1) | instskip(NEXT) | instid1(VALU_DEP_1)
	v_cmp_le_u64_e64 s3, v[31:32], v[35:36]
	s_and_b32 s15, s3, exec_lo
.LBB1145_99:
	s_or_b32 exec_lo, exec_lo, s10
	s_delay_alu instid0(SALU_CYCLE_1)
	s_or_not1_b32 s10, s15, exec_lo
.LBB1145_100:
	s_or_b32 exec_lo, exec_lo, s14
	v_cndmask_b32_e64 v23, v23, v30, s10
	v_cndmask_b32_e64 v11, v11, v15, s11
	;; [unrolled: 1-line block ×5, first 2 shown]
	v_lshlrev_b64 v[23:24], 3, v[23:24]
	v_cndmask_b32_e64 v65, v5, v1, s7
	v_cndmask_b32_e64 v64, v4, v0, s7
	;; [unrolled: 1-line block ×4, first 2 shown]
	v_add_co_u32 v23, s3, v33, v23
	s_delay_alu instid0(VALU_DEP_1)
	v_add_co_ci_u32_e64 v24, s3, v34, v24, s3
	flat_load_b64 v[23:24], v[23:24]
.LBB1145_101:
	s_or_b32 exec_lo, exec_lo, s5
	v_add_co_u32 v0, s3, v2, v68
	s_delay_alu instid0(VALU_DEP_1) | instskip(NEXT) | instid1(VALU_DEP_2)
	v_add_co_ci_u32_e64 v1, s3, v3, v69, s3
	v_add_co_u32 v0, s3, v0, v80
	s_delay_alu instid0(VALU_DEP_1)
	v_add_co_ci_u32_e64 v1, s3, 0, v1, s3
	; wave barrier
	s_waitcnt vmcnt(0) lgkmcnt(0)
	s_waitcnt_vscnt null, 0x0
	s_barrier
	buffer_gl0_inv
	; wave barrier
	s_and_saveexec_b32 s3, vcc_lo
	s_cbranch_execnz .LBB1145_222
; %bb.102:
	s_or_b32 exec_lo, exec_lo, s3
	s_and_saveexec_b32 s3, s0
	s_cbranch_execnz .LBB1145_223
.LBB1145_103:
	s_or_b32 exec_lo, exec_lo, s3
	s_and_saveexec_b32 s3, s1
	s_cbranch_execnz .LBB1145_224
.LBB1145_104:
	s_or_b32 exec_lo, exec_lo, s3
	s_and_saveexec_b32 s3, s2
	s_cbranch_execz .LBB1145_106
.LBB1145_105:
	flat_store_b64 v[0:1], v[12:13] offset:24
.LBB1145_106:
	s_or_b32 exec_lo, exec_lo, s3
	v_add_co_u32 v0, s3, v8, v68
	s_delay_alu instid0(VALU_DEP_1) | instskip(NEXT) | instid1(VALU_DEP_2)
	v_add_co_ci_u32_e64 v1, s3, v9, v69, s3
	v_add_co_u32 v0, s3, v0, v80
	s_delay_alu instid0(VALU_DEP_1)
	v_add_co_ci_u32_e64 v1, s3, 0, v1, s3
	; wave barrier
	s_and_saveexec_b32 s3, vcc_lo
	s_cbranch_execnz .LBB1145_225
; %bb.107:
	s_or_b32 exec_lo, exec_lo, s3
	s_and_saveexec_b32 s3, s0
	s_cbranch_execnz .LBB1145_226
.LBB1145_108:
	s_or_b32 exec_lo, exec_lo, s3
	s_and_saveexec_b32 s0, s1
	s_cbranch_execz .LBB1145_110
.LBB1145_109:
	flat_store_b64 v[0:1], v[21:22] offset:16
.LBB1145_110:
	s_or_b32 exec_lo, exec_lo, s0
	s_delay_alu instid0(SALU_CYCLE_1)
	s_and_b32 s5, s2, exec_lo
                                        ; implicit-def: $vgpr14
                                        ; implicit-def: $vgpr81
                                        ; implicit-def: $vgpr25_vgpr26
                                        ; implicit-def: $vgpr4
                                        ; implicit-def: $vgpr5
                                        ; implicit-def: $vgpr6
                                        ; implicit-def: $vgpr7
                                        ; implicit-def: $vgpr10
                                        ; implicit-def: $vgpr15
                                        ; implicit-def: $vgpr16
                                        ; implicit-def: $vgpr82
                                        ; implicit-def: $vgpr31
	s_and_not1_saveexec_b32 s6, s6
	s_cbranch_execz .LBB1145_2
.LBB1145_111:
	v_mov_b32_e32 v66, -1
	v_mov_b32_e32 v67, -1
	s_delay_alu instid0(VALU_DEP_1)
	v_dual_mov_b32 v64, v66 :: v_dual_mov_b32 v65, v67
	s_and_saveexec_b32 s0, vcc_lo
	s_cbranch_execz .LBB1145_113
; %bb.112:
	flat_load_b64 v[64:65], v[25:26]
.LBB1145_113:
	s_or_b32 exec_lo, exec_lo, s0
	v_or_b32_e32 v0, 1, v82
	s_delay_alu instid0(VALU_DEP_1) | instskip(NEXT) | instid1(VALU_DEP_1)
	v_cmp_lt_u32_e64 s1, v0, v14
	s_and_saveexec_b32 s0, s1
	s_cbranch_execz .LBB1145_115
; %bb.114:
	flat_load_b64 v[66:67], v[25:26] offset:8
.LBB1145_115:
	s_or_b32 exec_lo, exec_lo, s0
	v_mov_b32_e32 v2, -1
	v_or_b32_e32 v0, 2, v82
	v_mov_b32_e32 v3, -1
	s_delay_alu instid0(VALU_DEP_2) | instskip(NEXT) | instid1(VALU_DEP_2)
	v_cmp_lt_u32_e64 s2, v0, v14
	v_dual_mov_b32 v0, v2 :: v_dual_mov_b32 v1, v3
	s_delay_alu instid0(VALU_DEP_2)
	s_and_saveexec_b32 s0, s2
	s_cbranch_execz .LBB1145_117
; %bb.116:
	flat_load_b64 v[0:1], v[25:26] offset:16
.LBB1145_117:
	s_or_b32 exec_lo, exec_lo, s0
	v_or_b32_e32 v8, 3, v82
	s_delay_alu instid0(VALU_DEP_1) | instskip(NEXT) | instid1(VALU_DEP_1)
	v_cmp_lt_u32_e64 s0, v8, v14
	s_and_saveexec_b32 s3, s0
	s_cbranch_execz .LBB1145_119
; %bb.118:
	flat_load_b64 v[2:3], v[25:26] offset:24
.LBB1145_119:
	s_or_b32 exec_lo, exec_lo, s3
	v_add_co_u32 v6, s3, v6, v68
	s_delay_alu instid0(VALU_DEP_1) | instskip(NEXT) | instid1(VALU_DEP_2)
	v_add_co_ci_u32_e64 v7, s3, v7, v69, s3
	v_add_co_u32 v6, s3, v6, v80
	s_delay_alu instid0(VALU_DEP_1)
	v_add_co_ci_u32_e64 v7, s3, 0, v7, s3
	; wave barrier
                                        ; implicit-def: $vgpr17_vgpr18_vgpr19_vgpr20_vgpr21_vgpr22_vgpr23_vgpr24
	s_and_saveexec_b32 s3, vcc_lo
	s_cbranch_execnz .LBB1145_227
; %bb.120:
	s_or_b32 exec_lo, exec_lo, s3
	s_and_saveexec_b32 s3, s1
	s_cbranch_execnz .LBB1145_228
.LBB1145_121:
	s_or_b32 exec_lo, exec_lo, s3
	s_and_saveexec_b32 s3, s2
	s_cbranch_execnz .LBB1145_229
.LBB1145_122:
	s_or_b32 exec_lo, exec_lo, s3
	s_and_saveexec_b32 s3, s0
	s_cbranch_execz .LBB1145_124
.LBB1145_123:
	flat_load_b64 v[23:24], v[6:7] offset:24
.LBB1145_124:
	s_or_b32 exec_lo, exec_lo, s3
	; wave barrier
	s_load_b64 s[10:11], s[8:9], 0x0
	v_mov_b32_e32 v6, 0
	v_bfe_u32 v8, v31, 10, 10
	v_bfe_u32 v9, v31, 20, 10
	s_mov_b32 s7, exec_lo
	s_waitcnt lgkmcnt(0)
	s_cmp_lt_u32 s13, s11
	s_cselect_b32 s3, 14, 20
	s_delay_alu instid0(SALU_CYCLE_1) | instskip(SKIP_4) | instid1(SALU_CYCLE_1)
	s_add_u32 s14, s8, s3
	s_addc_u32 s15, s9, 0
	s_cmp_lt_u32 s12, s10
	global_load_u16 v7, v6, s[14:15]
	s_cselect_b32 s3, 12, 18
	s_add_u32 s8, s8, s3
	s_addc_u32 s9, s9, 0
	global_load_u16 v6, v6, s[8:9]
	s_waitcnt vmcnt(1)
	v_mad_u32_u24 v7, v9, v7, v8
	s_waitcnt vmcnt(0)
	s_delay_alu instid0(VALU_DEP_1) | instskip(SKIP_1) | instid1(VALU_DEP_1)
	v_mul_lo_u32 v6, v7, v6
	v_and_b32_e32 v7, 0x3ff, v31
	v_add_lshl_u32 v14, v6, v7, 2
	s_delay_alu instid0(VALU_DEP_1)
	v_cmpx_gt_u32_e32 0x400, v14
	s_cbranch_execz .LBB1145_136
; %bb.125:
	v_add_f64 v[6:7], v[66:67], 0
	v_add_f64 v[8:9], v[64:65], 0
	;; [unrolled: 1-line block ×4, first 2 shown]
	s_mov_b32 s8, exec_lo
	s_delay_alu instid0(VALU_DEP_4) | instskip(NEXT) | instid1(VALU_DEP_4)
	v_ashrrev_i32_e32 v27, 31, v7
	v_ashrrev_i32_e32 v28, 31, v9
	s_delay_alu instid0(VALU_DEP_4) | instskip(NEXT) | instid1(VALU_DEP_4)
	v_ashrrev_i32_e32 v29, 31, v13
	v_ashrrev_i32_e32 v30, 31, v26
	s_delay_alu instid0(VALU_DEP_4) | instskip(NEXT) | instid1(VALU_DEP_4)
	v_or_b32_e32 v31, 0x80000000, v27
	v_or_b32_e32 v32, 0x80000000, v28
	v_xor_b32_e32 v6, v27, v6
	v_xor_b32_e32 v27, v28, v8
	v_or_b32_e32 v33, 0x80000000, v29
	v_xor_b32_e32 v7, v31, v7
	v_xor_b32_e32 v28, v32, v9
	;; [unrolled: 3-line block ×3, first 2 shown]
	v_xor_b32_e32 v9, v33, v13
	v_cmp_gt_u64_e64 s3, v[6:7], v[27:28]
	v_xor_b32_e32 v71, v34, v26
	v_dual_mov_b32 v7, v1 :: v_dual_mov_b32 v6, v0
	s_delay_alu instid0(VALU_DEP_3)
	v_cndmask_b32_e64 v83, v20, v18, s3
	v_cndmask_b32_e64 v84, v19, v17, s3
	;; [unrolled: 1-line block ×4, first 2 shown]
	v_cmpx_gt_u64_e64 v[8:9], v[70:71]
; %bb.126:
	v_dual_mov_b32 v12, v21 :: v_dual_mov_b32 v13, v22
	v_dual_mov_b32 v7, v3 :: v_dual_mov_b32 v6, v2
	;; [unrolled: 1-line block ×6, first 2 shown]
; %bb.127:
	s_or_b32 exec_lo, exec_lo, s8
	v_cndmask_b32_e64 v13, v67, v65, s3
	v_cndmask_b32_e64 v12, v66, v64, s3
	s_delay_alu instid0(VALU_DEP_1) | instskip(NEXT) | instid1(VALU_DEP_1)
	v_add_f64 v[0:1], v[12:13], 0
	v_ashrrev_i32_e32 v8, 31, v1
	s_delay_alu instid0(VALU_DEP_1) | instskip(NEXT) | instid1(VALU_DEP_3)
	v_or_b32_e32 v9, 0x80000000, v8
	v_xor_b32_e32 v0, v8, v0
	s_delay_alu instid0(VALU_DEP_2) | instskip(NEXT) | instid1(VALU_DEP_1)
	v_xor_b32_e32 v1, v9, v1
                                        ; implicit-def: $vgpr8_vgpr9
	v_cmp_le_u64_e64 s4, v[70:71], v[0:1]
	s_delay_alu instid0(VALU_DEP_1) | instskip(NEXT) | instid1(SALU_CYCLE_1)
	s_and_saveexec_b32 s8, s4
	s_xor_b32 s4, exec_lo, s8
                                        ; implicit-def: $vgpr32_vgpr33_vgpr34_vgpr35_vgpr36_vgpr37_vgpr38_vgpr39
                                        ; implicit-def: $vgpr30_vgpr31_vgpr32_vgpr33_vgpr34_vgpr35_vgpr36_vgpr37
                                        ; implicit-def: $vgpr25_vgpr26_vgpr27_vgpr28_vgpr29_vgpr30_vgpr31_vgpr32
                                        ; implicit-def: $vgpr48_vgpr49_vgpr50_vgpr51_vgpr52_vgpr53_vgpr54_vgpr55
; %bb.128:
	v_add_f64 v[8:9], v[6:7], 0
	v_dual_mov_b32 v27, v84 :: v_dual_mov_b32 v84, v21
	v_mov_b32_e32 v33, v83
	v_dual_mov_b32 v83, v22 :: v_dual_mov_b32 v38, v23
	v_mov_b32_e32 v55, v24
                                        ; implicit-def: $vgpr21_vgpr22
                                        ; implicit-def: $vgpr70_vgpr71
	v_ashrrev_i32_e32 v19, 31, v9
	s_delay_alu instid0(VALU_DEP_1) | instskip(SKIP_1) | instid1(VALU_DEP_2)
	v_or_b32_e32 v20, 0x80000000, v19
	v_xor_b32_e32 v8, v19, v8
	v_xor_b32_e32 v9, v20, v9
; %bb.129:
	s_or_saveexec_b32 s4, s4
	v_dual_mov_b32 v26, v13 :: v_dual_mov_b32 v25, v12
	s_xor_b32 exec_lo, exec_lo, s4
; %bb.130:
	v_dual_mov_b32 v55, v24 :: v_dual_mov_b32 v26, v7
	v_mov_b32_e32 v9, v1
	v_dual_mov_b32 v25, v6 :: v_dual_mov_b32 v6, v12
	v_dual_mov_b32 v33, v22 :: v_dual_mov_b32 v8, v0
	;; [unrolled: 1-line block ×4, first 2 shown]
	v_mov_b32_e32 v1, v71
; %bb.131:
	s_or_b32 exec_lo, exec_lo, s4
	v_cndmask_b32_e64 v13, v65, v67, s3
	v_cndmask_b32_e64 v12, v64, v66, s3
	v_add_f64 v[22:23], v[2:3], 0
	s_mov_b32 s8, exec_lo
	s_delay_alu instid0(VALU_DEP_2) | instskip(NEXT) | instid1(VALU_DEP_2)
	v_add_f64 v[19:20], v[12:13], 0
	v_ashrrev_i32_e32 v24, 31, v23
	s_delay_alu instid0(VALU_DEP_2) | instskip(NEXT) | instid1(VALU_DEP_2)
	v_ashrrev_i32_e32 v21, 31, v20
	v_or_b32_e32 v30, 0x80000000, v24
	v_xor_b32_e32 v29, v24, v22
	v_mov_b32_e32 v22, v83
	v_mov_b32_e32 v24, v55
	v_or_b32_e32 v28, 0x80000000, v21
	v_xor_b32_e32 v19, v21, v19
	v_mov_b32_e32 v21, v84
	v_xor_b32_e32 v30, v30, v23
	v_mov_b32_e32 v23, v38
	v_xor_b32_e32 v20, v28, v20
	s_delay_alu instid0(VALU_DEP_1) | instskip(NEXT) | instid1(VALU_DEP_1)
	v_cmp_gt_u64_e64 s3, v[0:1], v[19:20]
	v_cndmask_b32_e64 v20, v33, v18, s3
	v_cndmask_b32_e64 v19, v27, v17, s3
	;; [unrolled: 1-line block ×4, first 2 shown]
	v_dual_mov_b32 v28, v7 :: v_dual_mov_b32 v27, v6
	v_cmpx_gt_u64_e64 v[29:30], v[8:9]
; %bb.132:
	s_delay_alu instid0(VALU_DEP_3) | instskip(SKIP_3) | instid1(VALU_DEP_4)
	v_dual_mov_b32 v31, v17 :: v_dual_mov_b32 v32, v18
	v_dual_mov_b32 v33, v19 :: v_dual_mov_b32 v34, v20
	;; [unrolled: 1-line block ×11, first 2 shown]
; %bb.133:
	s_or_b32 exec_lo, exec_lo, s8
	v_cndmask_b32_e64 v67, v26, v13, s3
	v_cndmask_b32_e64 v66, v25, v12, s3
	;; [unrolled: 1-line block ×4, first 2 shown]
	s_delay_alu instid0(VALU_DEP_3) | instskip(NEXT) | instid1(VALU_DEP_1)
	v_add_f64 v[0:1], v[66:67], 0
	v_ashrrev_i32_e32 v6, 31, v1
	s_delay_alu instid0(VALU_DEP_1) | instskip(NEXT) | instid1(VALU_DEP_3)
	v_or_b32_e32 v7, 0x80000000, v6
	v_xor_b32_e32 v0, v6, v0
	s_delay_alu instid0(VALU_DEP_2) | instskip(NEXT) | instid1(VALU_DEP_1)
	v_xor_b32_e32 v1, v7, v1
	v_cmp_gt_u64_e64 s3, v[8:9], v[0:1]
	v_dual_mov_b32 v0, v27 :: v_dual_mov_b32 v1, v28
	s_delay_alu instid0(VALU_DEP_2)
	s_and_saveexec_b32 s4, s3
; %bb.134:
	v_dual_mov_b32 v29, v17 :: v_dual_mov_b32 v30, v18
	v_dual_mov_b32 v31, v21 :: v_dual_mov_b32 v32, v22
	v_dual_mov_b32 v33, v19 :: v_dual_mov_b32 v34, v20
	v_dual_mov_b32 v35, v23 :: v_dual_mov_b32 v36, v24
	s_delay_alu instid0(VALU_DEP_4) | instskip(NEXT) | instid1(VALU_DEP_4)
	v_dual_mov_b32 v17, v29 :: v_dual_mov_b32 v18, v30
	v_dual_mov_b32 v19, v31 :: v_dual_mov_b32 v20, v32
	s_delay_alu instid0(VALU_DEP_4) | instskip(NEXT) | instid1(VALU_DEP_4)
	v_dual_mov_b32 v21, v33 :: v_dual_mov_b32 v22, v34
	v_dual_mov_b32 v23, v35 :: v_dual_mov_b32 v24, v36
	;; [unrolled: 1-line block ×4, first 2 shown]
; %bb.135:
	s_or_b32 exec_lo, exec_lo, s4
.LBB1145_136:
	s_delay_alu instid0(SALU_CYCLE_1) | instskip(SKIP_4) | instid1(VALU_DEP_4)
	s_or_b32 exec_lo, exec_lo, s7
	v_dual_mov_b32 v13, 0 :: v_dual_and_b32 v12, 0xffffff80, v14
	v_or_b32_e32 v6, 4, v81
	v_and_b32_e32 v8, 4, v81
	v_lshlrev_b32_e32 v9, 3, v81
	v_sub_nc_u32_e64 v37, 0x400, v12 clamp
	v_and_b32_e32 v14, 0x78, v81
	s_mov_b32 s4, exec_lo
	s_delay_alu instid0(VALU_DEP_2) | instskip(SKIP_2) | instid1(VALU_DEP_3)
	v_min_u32_e32 v38, v37, v6
	v_lshlrev_b64 v[6:7], 3, v[12:13]
	v_min_u32_e32 v25, v37, v8
	v_add_nc_u32_e32 v8, 4, v38
	v_sub_nc_u32_e32 v12, v38, v14
	s_delay_alu instid0(VALU_DEP_4) | instskip(NEXT) | instid1(VALU_DEP_1)
	v_add_co_u32 v35, s3, v15, v6
	v_add_co_ci_u32_e64 v36, s3, v16, v7, s3
	s_delay_alu instid0(VALU_DEP_4) | instskip(NEXT) | instid1(VALU_DEP_3)
	v_min_u32_e32 v39, v37, v8
	v_add_co_u32 v33, s3, 0x2000, v35
	s_delay_alu instid0(VALU_DEP_1) | instskip(NEXT) | instid1(VALU_DEP_3)
	v_add_co_ci_u32_e64 v34, s3, 0, v36, s3
	v_sub_nc_u32_e32 v8, v39, v38
	v_add_co_u32 v6, s3, v35, v9
	s_delay_alu instid0(VALU_DEP_1) | instskip(NEXT) | instid1(VALU_DEP_3)
	v_add_co_ci_u32_e64 v7, s3, 0, v36, s3
	v_sub_nc_u32_e64 v15, v25, v8 clamp
	v_add_co_u32 v8, s3, v33, v9
	v_min_u32_e32 v16, v25, v12
	v_add_co_ci_u32_e64 v9, s3, 0, v34, s3
	s_clause 0x3
	flat_store_b128 v[6:7], v[64:67]
	flat_store_b128 v[6:7], v[0:3] offset:16
	flat_store_b128 v[8:9], v[17:20]
	flat_store_b128 v[8:9], v[21:24] offset:16
	; wave barrier
	v_cmpx_lt_u32_e64 v15, v16
	s_cbranch_execz .LBB1145_140
; %bb.137:
	v_lshlrev_b32_e32 v12, 3, v14
	v_lshlrev_b32_e32 v28, 3, v38
	s_mov_b32 s7, 0
	s_delay_alu instid0(VALU_DEP_2) | instskip(NEXT) | instid1(VALU_DEP_1)
	v_add_co_u32 v26, s3, v35, v12
	v_add_co_ci_u32_e64 v27, s3, 0, v36, s3
	s_delay_alu instid0(VALU_DEP_3) | instskip(NEXT) | instid1(VALU_DEP_1)
	v_add_co_u32 v28, s3, v35, v28
	v_add_co_ci_u32_e64 v29, s3, 0, v36, s3
	s_set_inst_prefetch_distance 0x1
	.p2align	6
.LBB1145_138:                           ; =>This Inner Loop Header: Depth=1
	v_dual_mov_b32 v31, v13 :: v_dual_add_nc_u32 v12, v16, v15
	s_delay_alu instid0(VALU_DEP_1) | instskip(NEXT) | instid1(VALU_DEP_1)
	v_lshrrev_b32_e32 v12, 1, v12
	v_xad_u32 v30, v12, -1, v25
	v_lshlrev_b64 v[48:49], 3, v[12:13]
	s_delay_alu instid0(VALU_DEP_2) | instskip(NEXT) | instid1(VALU_DEP_2)
	v_lshlrev_b64 v[30:31], 3, v[30:31]
	v_add_co_u32 v48, s3, v26, v48
	s_delay_alu instid0(VALU_DEP_1) | instskip(NEXT) | instid1(VALU_DEP_3)
	v_add_co_ci_u32_e64 v49, s3, v27, v49, s3
	v_add_co_u32 v30, s3, v28, v30
	s_delay_alu instid0(VALU_DEP_1)
	v_add_co_ci_u32_e64 v31, s3, v29, v31, s3
	s_clause 0x1
	flat_load_b64 v[48:49], v[48:49]
	flat_load_b64 v[30:31], v[30:31]
	s_waitcnt vmcnt(1) lgkmcnt(1)
	v_add_f64 v[48:49], v[48:49], 0
	s_waitcnt vmcnt(0) lgkmcnt(0)
	v_add_f64 v[30:31], v[30:31], 0
	s_delay_alu instid0(VALU_DEP_2) | instskip(NEXT) | instid1(VALU_DEP_2)
	v_ashrrev_i32_e32 v32, 31, v49
	v_ashrrev_i32_e32 v50, 31, v31
	s_delay_alu instid0(VALU_DEP_2) | instskip(NEXT) | instid1(VALU_DEP_2)
	v_or_b32_e32 v51, 0x80000000, v32
	v_or_b32_e32 v52, 0x80000000, v50
	v_xor_b32_e32 v48, v32, v48
	v_xor_b32_e32 v30, v50, v30
	s_delay_alu instid0(VALU_DEP_4) | instskip(NEXT) | instid1(VALU_DEP_4)
	v_xor_b32_e32 v49, v51, v49
	v_xor_b32_e32 v31, v52, v31
	s_delay_alu instid0(VALU_DEP_1) | instskip(SKIP_1) | instid1(VALU_DEP_2)
	v_cmp_gt_u64_e64 s3, v[30:31], v[48:49]
	v_add_nc_u32_e32 v30, 1, v12
	v_cndmask_b32_e64 v16, v16, v12, s3
	s_delay_alu instid0(VALU_DEP_2) | instskip(NEXT) | instid1(VALU_DEP_1)
	v_cndmask_b32_e64 v15, v30, v15, s3
	v_cmp_ge_u32_e64 s3, v15, v16
	s_delay_alu instid0(VALU_DEP_1) | instskip(NEXT) | instid1(SALU_CYCLE_1)
	s_or_b32 s7, s3, s7
	s_and_not1_b32 exec_lo, exec_lo, s7
	s_cbranch_execnz .LBB1145_138
; %bb.139:
	s_set_inst_prefetch_distance 0x2
	s_or_b32 exec_lo, exec_lo, s7
.LBB1145_140:
	s_delay_alu instid0(SALU_CYCLE_1) | instskip(SKIP_2) | instid1(VALU_DEP_2)
	s_or_b32 exec_lo, exec_lo, s4
	v_add_nc_u32_e32 v12, v38, v25
	v_add_nc_u32_e32 v14, v15, v14
	v_sub_nc_u32_e32 v16, v12, v15
	s_delay_alu instid0(VALU_DEP_2) | instskip(NEXT) | instid1(VALU_DEP_2)
	v_cmp_le_u32_e64 s3, v14, v38
	v_cmp_le_u32_e64 s4, v16, v39
	s_delay_alu instid0(VALU_DEP_1) | instskip(NEXT) | instid1(SALU_CYCLE_1)
	s_or_b32 s3, s3, s4
	s_and_saveexec_b32 s7, s3
	s_cbranch_execz .LBB1145_160
; %bb.141:
	v_cmp_ge_u32_e64 s3, v14, v38
	s_mov_b32 s8, exec_lo
                                        ; implicit-def: $vgpr2_vgpr3
	v_cmpx_lt_u32_e64 v14, v38
	s_cbranch_execz .LBB1145_143
; %bb.142:
	v_mov_b32_e32 v15, 0
	s_delay_alu instid0(VALU_DEP_1) | instskip(NEXT) | instid1(VALU_DEP_1)
	v_lshlrev_b64 v[0:1], 3, v[14:15]
	v_add_co_u32 v0, s4, v35, v0
	s_delay_alu instid0(VALU_DEP_1)
	v_add_co_ci_u32_e64 v1, s4, v36, v1, s4
	flat_load_b64 v[2:3], v[0:1]
.LBB1145_143:
	s_or_b32 exec_lo, exec_lo, s8
	v_cmp_ge_u32_e64 s8, v16, v39
	s_mov_b32 s9, exec_lo
                                        ; implicit-def: $vgpr12_vgpr13
	v_cmpx_lt_u32_e64 v16, v39
	s_cbranch_execz .LBB1145_145
; %bb.144:
	v_mov_b32_e32 v17, 0
	s_delay_alu instid0(VALU_DEP_1) | instskip(NEXT) | instid1(VALU_DEP_1)
	v_lshlrev_b64 v[0:1], 3, v[16:17]
	v_add_co_u32 v0, s4, v35, v0
	s_delay_alu instid0(VALU_DEP_1)
	v_add_co_ci_u32_e64 v1, s4, v36, v1, s4
	flat_load_b64 v[12:13], v[0:1]
.LBB1145_145:
	s_or_b32 exec_lo, exec_lo, s9
	s_or_b32 s3, s3, s8
	s_mov_b32 s4, -1
	s_xor_b32 s3, s3, -1
	s_delay_alu instid0(SALU_CYCLE_1)
	s_and_saveexec_b32 s9, s3
	s_cbranch_execz .LBB1145_147
; %bb.146:
	s_waitcnt vmcnt(0) lgkmcnt(0)
	v_add_f64 v[0:1], v[12:13], 0
	v_add_f64 v[17:18], v[2:3], 0
	s_and_not1_b32 s8, s8, exec_lo
	s_delay_alu instid0(VALU_DEP_2) | instskip(NEXT) | instid1(VALU_DEP_2)
	v_ashrrev_i32_e32 v15, 31, v1
	v_ashrrev_i32_e32 v19, 31, v18
	s_delay_alu instid0(VALU_DEP_2) | instskip(NEXT) | instid1(VALU_DEP_2)
	v_or_b32_e32 v20, 0x80000000, v15
	v_or_b32_e32 v21, 0x80000000, v19
	v_xor_b32_e32 v0, v15, v0
	v_xor_b32_e32 v17, v19, v17
	s_delay_alu instid0(VALU_DEP_4) | instskip(NEXT) | instid1(VALU_DEP_4)
	v_xor_b32_e32 v1, v20, v1
	v_xor_b32_e32 v18, v21, v18
	s_delay_alu instid0(VALU_DEP_1) | instskip(NEXT) | instid1(VALU_DEP_1)
	v_cmp_le_u64_e64 s3, v[0:1], v[17:18]
	s_and_b32 s3, s3, exec_lo
	s_delay_alu instid0(SALU_CYCLE_1)
	s_or_b32 s8, s8, s3
.LBB1145_147:
	s_or_b32 exec_lo, exec_lo, s9
	v_cndmask_b32_e64 v0, v16, v14, s8
	v_cndmask_b32_e64 v15, v39, v38, s8
	v_mov_b32_e32 v1, 0
	s_mov_b32 s10, 0
	s_mov_b32 s9, exec_lo
	v_add_nc_u32_e32 v21, 1, v0
	v_add_nc_u32_e32 v15, -1, v15
	v_lshlrev_b64 v[17:18], 3, v[0:1]
	s_delay_alu instid0(VALU_DEP_3) | instskip(NEXT) | instid1(VALU_DEP_3)
	v_cndmask_b32_e64 v16, v21, v16, s8
	v_min_u32_e32 v0, v21, v15
	v_cndmask_b32_e64 v21, v14, v21, s8
	s_delay_alu instid0(VALU_DEP_2) | instskip(NEXT) | instid1(VALU_DEP_1)
	v_lshlrev_b64 v[19:20], 3, v[0:1]
	v_add_co_u32 v19, s3, v35, v19
	s_delay_alu instid0(VALU_DEP_1) | instskip(SKIP_1) | instid1(VALU_DEP_1)
	v_add_co_ci_u32_e64 v20, s3, v36, v20, s3
	v_add_co_u32 v17, s3, v33, v17
	v_add_co_ci_u32_e64 v18, s3, v34, v18, s3
	s_clause 0x1
	flat_load_b64 v[19:20], v[19:20]
	flat_load_b64 v[17:18], v[17:18]
	s_waitcnt vmcnt(1) lgkmcnt(1)
	v_cndmask_b32_e64 v15, v20, v13, s8
	v_cndmask_b32_e64 v14, v19, v12, s8
	;; [unrolled: 1-line block ×4, first 2 shown]
	v_cmpx_lt_u32_e64 v16, v39
	s_cbranch_execz .LBB1145_151
; %bb.148:
	s_mov_b32 s4, exec_lo
	v_cmpx_lt_u32_e64 v21, v38
	s_cbranch_execz .LBB1145_150
; %bb.149:
	v_add_f64 v[19:20], v[14:15], 0
	v_add_f64 v[22:23], v[25:26], 0
	s_delay_alu instid0(VALU_DEP_2) | instskip(NEXT) | instid1(VALU_DEP_2)
	v_ashrrev_i32_e32 v0, 31, v20
	v_ashrrev_i32_e32 v24, 31, v23
	s_delay_alu instid0(VALU_DEP_2) | instskip(NEXT) | instid1(VALU_DEP_2)
	v_or_b32_e32 v27, 0x80000000, v0
	v_or_b32_e32 v28, 0x80000000, v24
	v_xor_b32_e32 v19, v0, v19
	v_xor_b32_e32 v22, v24, v22
	s_delay_alu instid0(VALU_DEP_4) | instskip(NEXT) | instid1(VALU_DEP_4)
	v_xor_b32_e32 v20, v27, v20
	v_xor_b32_e32 v23, v28, v23
	s_delay_alu instid0(VALU_DEP_1) | instskip(NEXT) | instid1(VALU_DEP_1)
	v_cmp_le_u64_e64 s3, v[19:20], v[22:23]
	s_and_b32 s10, s3, exec_lo
.LBB1145_150:
	s_or_b32 exec_lo, exec_lo, s4
	s_delay_alu instid0(SALU_CYCLE_1)
	s_or_not1_b32 s4, s10, exec_lo
.LBB1145_151:
	s_or_b32 exec_lo, exec_lo, s9
	v_cndmask_b32_e64 v0, v16, v21, s4
	v_cndmask_b32_e64 v19, v39, v38, s4
	s_mov_b32 s12, 0
	s_mov_b32 s9, -1
	s_mov_b32 s10, -1
	v_add_nc_u32_e32 v24, 1, v0
	v_add_nc_u32_e32 v22, -1, v19
	v_lshlrev_b64 v[19:20], 3, v[0:1]
	s_mov_b32 s11, exec_lo
	s_delay_alu instid0(VALU_DEP_3) | instskip(NEXT) | instid1(VALU_DEP_3)
	v_cndmask_b32_e64 v16, v24, v16, s4
	v_min_u32_e32 v0, v24, v22
	v_cndmask_b32_e64 v29, v21, v24, s4
	s_delay_alu instid0(VALU_DEP_2) | instskip(NEXT) | instid1(VALU_DEP_1)
	v_lshlrev_b64 v[0:1], 3, v[0:1]
	v_add_co_u32 v0, s3, v35, v0
	s_delay_alu instid0(VALU_DEP_1) | instskip(SKIP_2) | instid1(VALU_DEP_1)
	v_add_co_ci_u32_e64 v1, s3, v36, v1, s3
	flat_load_b64 v[22:23], v[0:1]
	v_add_co_u32 v0, s3, v33, v19
	v_add_co_ci_u32_e64 v1, s3, v34, v20, s3
	flat_load_b64 v[19:20], v[0:1]
	s_waitcnt vmcnt(1) lgkmcnt(1)
	v_cndmask_b32_e64 v1, v23, v15, s4
	v_cndmask_b32_e64 v0, v22, v14, s4
	;; [unrolled: 1-line block ×4, first 2 shown]
	v_cmpx_lt_u32_e64 v16, v39
	s_cbranch_execz .LBB1145_155
; %bb.152:
	s_mov_b32 s10, exec_lo
	v_cmpx_lt_u32_e64 v29, v38
	s_cbranch_execz .LBB1145_154
; %bb.153:
	v_add_f64 v[21:22], v[0:1], 0
	v_add_f64 v[23:24], v[27:28], 0
	s_delay_alu instid0(VALU_DEP_2) | instskip(NEXT) | instid1(VALU_DEP_2)
	v_ashrrev_i32_e32 v30, 31, v22
	v_ashrrev_i32_e32 v31, 31, v24
	s_delay_alu instid0(VALU_DEP_2) | instskip(NEXT) | instid1(VALU_DEP_2)
	v_or_b32_e32 v32, 0x80000000, v30
	v_or_b32_e32 v48, 0x80000000, v31
	v_xor_b32_e32 v21, v30, v21
	v_xor_b32_e32 v23, v31, v23
	s_delay_alu instid0(VALU_DEP_4) | instskip(NEXT) | instid1(VALU_DEP_4)
	v_xor_b32_e32 v22, v32, v22
	v_xor_b32_e32 v24, v48, v24
	s_delay_alu instid0(VALU_DEP_1) | instskip(NEXT) | instid1(VALU_DEP_1)
	v_cmp_le_u64_e64 s3, v[21:22], v[23:24]
	s_and_b32 s12, s3, exec_lo
.LBB1145_154:
	s_or_b32 exec_lo, exec_lo, s10
	s_delay_alu instid0(SALU_CYCLE_1)
	s_or_not1_b32 s10, s12, exec_lo
.LBB1145_155:
	s_or_b32 exec_lo, exec_lo, s11
	v_cndmask_b32_e64 v23, v16, v29, s10
	v_cndmask_b32_e64 v21, v39, v38, s10
	v_mov_b32_e32 v24, 0
	s_mov_b32 s12, 0
	s_mov_b32 s11, exec_lo
	v_add_nc_u32_e32 v48, 1, v23
	v_add_nc_u32_e32 v30, -1, v21
	v_lshlrev_b64 v[21:22], 3, v[23:24]
	s_delay_alu instid0(VALU_DEP_3) | instskip(NEXT) | instid1(VALU_DEP_3)
	v_cndmask_b32_e64 v16, v48, v16, s10
	v_min_u32_e32 v23, v48, v30
	s_delay_alu instid0(VALU_DEP_1) | instskip(SKIP_1) | instid1(VALU_DEP_2)
	v_lshlrev_b64 v[30:31], 3, v[23:24]
	v_cndmask_b32_e64 v23, v29, v48, s10
	v_add_co_u32 v30, s3, v35, v30
	s_delay_alu instid0(VALU_DEP_1) | instskip(SKIP_1) | instid1(VALU_DEP_1)
	v_add_co_ci_u32_e64 v31, s3, v36, v31, s3
	v_add_co_u32 v21, s3, v33, v21
	v_add_co_ci_u32_e64 v22, s3, v34, v22, s3
	s_clause 0x1
	flat_load_b64 v[31:32], v[30:31]
	flat_load_b64 v[21:22], v[21:22]
	s_waitcnt vmcnt(1) lgkmcnt(1)
	v_cndmask_b32_e64 v30, v32, v1, s10
	v_cndmask_b32_e64 v29, v31, v0, s10
	;; [unrolled: 1-line block ×4, first 2 shown]
	v_cmpx_lt_u32_e64 v16, v39
	s_cbranch_execz .LBB1145_159
; %bb.156:
	s_mov_b32 s9, exec_lo
	v_cmpx_lt_u32_e64 v23, v38
	s_cbranch_execz .LBB1145_158
; %bb.157:
	v_add_f64 v[38:39], v[29:30], 0
	v_add_f64 v[48:49], v[31:32], 0
	s_delay_alu instid0(VALU_DEP_2) | instskip(NEXT) | instid1(VALU_DEP_2)
	v_ashrrev_i32_e32 v50, 31, v39
	v_ashrrev_i32_e32 v51, 31, v49
	s_delay_alu instid0(VALU_DEP_2) | instskip(NEXT) | instid1(VALU_DEP_2)
	v_or_b32_e32 v52, 0x80000000, v50
	v_or_b32_e32 v53, 0x80000000, v51
	v_xor_b32_e32 v38, v50, v38
	v_xor_b32_e32 v48, v51, v48
	s_delay_alu instid0(VALU_DEP_4) | instskip(NEXT) | instid1(VALU_DEP_4)
	v_xor_b32_e32 v39, v52, v39
	v_xor_b32_e32 v49, v53, v49
	s_delay_alu instid0(VALU_DEP_1) | instskip(NEXT) | instid1(VALU_DEP_1)
	v_cmp_le_u64_e64 s3, v[38:39], v[48:49]
	s_and_b32 s12, s3, exec_lo
.LBB1145_158:
	s_or_b32 exec_lo, exec_lo, s9
	s_delay_alu instid0(SALU_CYCLE_1)
	s_or_not1_b32 s9, s12, exec_lo
.LBB1145_159:
	s_or_b32 exec_lo, exec_lo, s11
	v_cndmask_b32_e64 v23, v16, v23, s9
	v_cndmask_b32_e64 v1, v1, v28, s10
	v_cndmask_b32_e64 v0, v0, v27, s10
	v_cndmask_b32_e64 v67, v15, v26, s4
	v_cndmask_b32_e64 v66, v14, v25, s4
	v_lshlrev_b64 v[23:24], 3, v[23:24]
	v_cndmask_b32_e64 v65, v13, v3, s8
	v_cndmask_b32_e64 v64, v12, v2, s8
	;; [unrolled: 1-line block ×4, first 2 shown]
	v_add_co_u32 v23, s3, v33, v23
	s_delay_alu instid0(VALU_DEP_1)
	v_add_co_ci_u32_e64 v24, s3, v34, v24, s3
	flat_load_b64 v[23:24], v[23:24]
.LBB1145_160:
	s_or_b32 exec_lo, exec_lo, s7
	v_and_b32_e32 v14, 0x70, v81
	v_and_b32_e32 v13, 12, v81
	s_mov_b32 s4, exec_lo
	; wave barrier
	s_delay_alu instid0(VALU_DEP_2) | instskip(NEXT) | instid1(VALU_DEP_2)
	v_or_b32_e32 v12, 8, v14
	v_min_u32_e32 v15, v37, v13
	s_clause 0x2
	flat_store_b128 v[6:7], v[64:67]
	flat_store_b128 v[6:7], v[0:3] offset:16
	flat_store_b128 v[8:9], v[17:20]
	s_waitcnt vmcnt(0) lgkmcnt(3)
	flat_store_b128 v[8:9], v[21:24] offset:16
	; wave barrier
	v_min_u32_e32 v38, v37, v12
	s_delay_alu instid0(VALU_DEP_1) | instskip(SKIP_1) | instid1(VALU_DEP_2)
	v_add_nc_u32_e32 v12, 8, v38
	v_sub_nc_u32_e32 v13, v38, v14
	v_min_u32_e32 v39, v37, v12
	s_delay_alu instid0(VALU_DEP_2) | instskip(NEXT) | instid1(VALU_DEP_2)
	v_min_u32_e32 v25, v15, v13
	v_sub_nc_u32_e32 v12, v39, v38
	s_delay_alu instid0(VALU_DEP_1) | instskip(NEXT) | instid1(VALU_DEP_1)
	v_sub_nc_u32_e64 v16, v15, v12 clamp
	v_cmpx_lt_u32_e64 v16, v25
	s_cbranch_execz .LBB1145_164
; %bb.161:
	v_lshlrev_b32_e32 v12, 3, v14
	v_lshlrev_b32_e32 v13, 3, v38
	s_mov_b32 s7, 0
	s_delay_alu instid0(VALU_DEP_2) | instskip(NEXT) | instid1(VALU_DEP_1)
	v_add_co_u32 v26, s3, v35, v12
	v_add_co_ci_u32_e64 v27, s3, 0, v36, s3
	s_delay_alu instid0(VALU_DEP_3)
	v_add_co_u32 v28, s3, v35, v13
	v_mov_b32_e32 v13, 0
	v_add_co_ci_u32_e64 v29, s3, 0, v36, s3
	s_set_inst_prefetch_distance 0x1
	.p2align	6
.LBB1145_162:                           ; =>This Inner Loop Header: Depth=1
	v_add_nc_u32_e32 v12, v25, v16
	s_delay_alu instid0(VALU_DEP_1) | instskip(SKIP_1) | instid1(VALU_DEP_2)
	v_lshrrev_b32_e32 v12, 1, v12
	v_mov_b32_e32 v31, v13
	v_xad_u32 v30, v12, -1, v15
	v_lshlrev_b64 v[48:49], 3, v[12:13]
	s_delay_alu instid0(VALU_DEP_2) | instskip(NEXT) | instid1(VALU_DEP_2)
	v_lshlrev_b64 v[30:31], 3, v[30:31]
	v_add_co_u32 v48, s3, v26, v48
	s_delay_alu instid0(VALU_DEP_1) | instskip(NEXT) | instid1(VALU_DEP_3)
	v_add_co_ci_u32_e64 v49, s3, v27, v49, s3
	v_add_co_u32 v30, s3, v28, v30
	s_delay_alu instid0(VALU_DEP_1)
	v_add_co_ci_u32_e64 v31, s3, v29, v31, s3
	s_clause 0x1
	flat_load_b64 v[48:49], v[48:49]
	flat_load_b64 v[30:31], v[30:31]
	s_waitcnt vmcnt(1) lgkmcnt(1)
	v_add_f64 v[48:49], v[48:49], 0
	s_waitcnt vmcnt(0) lgkmcnt(0)
	v_add_f64 v[30:31], v[30:31], 0
	s_delay_alu instid0(VALU_DEP_2) | instskip(NEXT) | instid1(VALU_DEP_2)
	v_ashrrev_i32_e32 v32, 31, v49
	v_ashrrev_i32_e32 v50, 31, v31
	s_delay_alu instid0(VALU_DEP_2) | instskip(NEXT) | instid1(VALU_DEP_2)
	v_or_b32_e32 v51, 0x80000000, v32
	v_or_b32_e32 v52, 0x80000000, v50
	v_xor_b32_e32 v48, v32, v48
	v_xor_b32_e32 v30, v50, v30
	s_delay_alu instid0(VALU_DEP_4) | instskip(NEXT) | instid1(VALU_DEP_4)
	v_xor_b32_e32 v49, v51, v49
	v_xor_b32_e32 v31, v52, v31
	s_delay_alu instid0(VALU_DEP_1) | instskip(SKIP_1) | instid1(VALU_DEP_2)
	v_cmp_gt_u64_e64 s3, v[30:31], v[48:49]
	v_add_nc_u32_e32 v30, 1, v12
	v_cndmask_b32_e64 v25, v25, v12, s3
	s_delay_alu instid0(VALU_DEP_2) | instskip(NEXT) | instid1(VALU_DEP_1)
	v_cndmask_b32_e64 v16, v30, v16, s3
	v_cmp_ge_u32_e64 s3, v16, v25
	s_delay_alu instid0(VALU_DEP_1) | instskip(NEXT) | instid1(SALU_CYCLE_1)
	s_or_b32 s7, s3, s7
	s_and_not1_b32 exec_lo, exec_lo, s7
	s_cbranch_execnz .LBB1145_162
; %bb.163:
	s_set_inst_prefetch_distance 0x2
	s_or_b32 exec_lo, exec_lo, s7
.LBB1145_164:
	s_delay_alu instid0(SALU_CYCLE_1) | instskip(SKIP_2) | instid1(VALU_DEP_2)
	s_or_b32 exec_lo, exec_lo, s4
	v_add_nc_u32_e32 v12, v38, v15
	v_add_nc_u32_e32 v14, v16, v14
	v_sub_nc_u32_e32 v16, v12, v16
	s_delay_alu instid0(VALU_DEP_2) | instskip(NEXT) | instid1(VALU_DEP_2)
	v_cmp_le_u32_e64 s3, v14, v38
	v_cmp_le_u32_e64 s4, v16, v39
	s_delay_alu instid0(VALU_DEP_1) | instskip(NEXT) | instid1(SALU_CYCLE_1)
	s_or_b32 s3, s3, s4
	s_and_saveexec_b32 s7, s3
	s_cbranch_execz .LBB1145_184
; %bb.165:
	v_cmp_ge_u32_e64 s3, v14, v38
	s_mov_b32 s8, exec_lo
                                        ; implicit-def: $vgpr2_vgpr3
	v_cmpx_lt_u32_e64 v14, v38
	s_cbranch_execz .LBB1145_167
; %bb.166:
	v_mov_b32_e32 v15, 0
	s_delay_alu instid0(VALU_DEP_1) | instskip(NEXT) | instid1(VALU_DEP_1)
	v_lshlrev_b64 v[0:1], 3, v[14:15]
	v_add_co_u32 v0, s4, v35, v0
	s_delay_alu instid0(VALU_DEP_1)
	v_add_co_ci_u32_e64 v1, s4, v36, v1, s4
	flat_load_b64 v[2:3], v[0:1]
.LBB1145_167:
	s_or_b32 exec_lo, exec_lo, s8
	v_cmp_ge_u32_e64 s8, v16, v39
	s_mov_b32 s9, exec_lo
                                        ; implicit-def: $vgpr12_vgpr13
	v_cmpx_lt_u32_e64 v16, v39
	s_cbranch_execz .LBB1145_169
; %bb.168:
	v_mov_b32_e32 v17, 0
	s_delay_alu instid0(VALU_DEP_1) | instskip(NEXT) | instid1(VALU_DEP_1)
	v_lshlrev_b64 v[0:1], 3, v[16:17]
	v_add_co_u32 v0, s4, v35, v0
	s_delay_alu instid0(VALU_DEP_1)
	v_add_co_ci_u32_e64 v1, s4, v36, v1, s4
	flat_load_b64 v[12:13], v[0:1]
.LBB1145_169:
	s_or_b32 exec_lo, exec_lo, s9
	s_or_b32 s3, s3, s8
	s_mov_b32 s4, -1
	s_xor_b32 s3, s3, -1
	s_delay_alu instid0(SALU_CYCLE_1)
	s_and_saveexec_b32 s9, s3
	s_cbranch_execz .LBB1145_171
; %bb.170:
	s_waitcnt vmcnt(0) lgkmcnt(0)
	v_add_f64 v[0:1], v[12:13], 0
	v_add_f64 v[17:18], v[2:3], 0
	s_and_not1_b32 s8, s8, exec_lo
	s_delay_alu instid0(VALU_DEP_2) | instskip(NEXT) | instid1(VALU_DEP_2)
	v_ashrrev_i32_e32 v15, 31, v1
	v_ashrrev_i32_e32 v19, 31, v18
	s_delay_alu instid0(VALU_DEP_2) | instskip(NEXT) | instid1(VALU_DEP_2)
	v_or_b32_e32 v20, 0x80000000, v15
	v_or_b32_e32 v21, 0x80000000, v19
	v_xor_b32_e32 v0, v15, v0
	v_xor_b32_e32 v17, v19, v17
	s_delay_alu instid0(VALU_DEP_4) | instskip(NEXT) | instid1(VALU_DEP_4)
	v_xor_b32_e32 v1, v20, v1
	v_xor_b32_e32 v18, v21, v18
	s_delay_alu instid0(VALU_DEP_1) | instskip(NEXT) | instid1(VALU_DEP_1)
	v_cmp_le_u64_e64 s3, v[0:1], v[17:18]
	s_and_b32 s3, s3, exec_lo
	s_delay_alu instid0(SALU_CYCLE_1)
	s_or_b32 s8, s8, s3
.LBB1145_171:
	s_or_b32 exec_lo, exec_lo, s9
	v_cndmask_b32_e64 v0, v16, v14, s8
	v_cndmask_b32_e64 v15, v39, v38, s8
	v_mov_b32_e32 v1, 0
	s_mov_b32 s10, 0
	s_mov_b32 s9, exec_lo
	v_add_nc_u32_e32 v21, 1, v0
	v_add_nc_u32_e32 v15, -1, v15
	v_lshlrev_b64 v[17:18], 3, v[0:1]
	s_delay_alu instid0(VALU_DEP_3) | instskip(NEXT) | instid1(VALU_DEP_3)
	v_cndmask_b32_e64 v16, v21, v16, s8
	v_min_u32_e32 v0, v21, v15
	v_cndmask_b32_e64 v21, v14, v21, s8
	s_delay_alu instid0(VALU_DEP_2) | instskip(NEXT) | instid1(VALU_DEP_1)
	v_lshlrev_b64 v[19:20], 3, v[0:1]
	v_add_co_u32 v19, s3, v35, v19
	s_delay_alu instid0(VALU_DEP_1) | instskip(SKIP_1) | instid1(VALU_DEP_1)
	v_add_co_ci_u32_e64 v20, s3, v36, v20, s3
	v_add_co_u32 v17, s3, v33, v17
	v_add_co_ci_u32_e64 v18, s3, v34, v18, s3
	s_clause 0x1
	flat_load_b64 v[19:20], v[19:20]
	flat_load_b64 v[17:18], v[17:18]
	s_waitcnt vmcnt(1) lgkmcnt(1)
	v_cndmask_b32_e64 v15, v20, v13, s8
	v_cndmask_b32_e64 v14, v19, v12, s8
	;; [unrolled: 1-line block ×4, first 2 shown]
	v_cmpx_lt_u32_e64 v16, v39
	s_cbranch_execz .LBB1145_175
; %bb.172:
	s_mov_b32 s4, exec_lo
	v_cmpx_lt_u32_e64 v21, v38
	s_cbranch_execz .LBB1145_174
; %bb.173:
	v_add_f64 v[19:20], v[14:15], 0
	v_add_f64 v[22:23], v[25:26], 0
	s_delay_alu instid0(VALU_DEP_2) | instskip(NEXT) | instid1(VALU_DEP_2)
	v_ashrrev_i32_e32 v0, 31, v20
	v_ashrrev_i32_e32 v24, 31, v23
	s_delay_alu instid0(VALU_DEP_2) | instskip(NEXT) | instid1(VALU_DEP_2)
	v_or_b32_e32 v27, 0x80000000, v0
	v_or_b32_e32 v28, 0x80000000, v24
	v_xor_b32_e32 v19, v0, v19
	v_xor_b32_e32 v22, v24, v22
	s_delay_alu instid0(VALU_DEP_4) | instskip(NEXT) | instid1(VALU_DEP_4)
	v_xor_b32_e32 v20, v27, v20
	v_xor_b32_e32 v23, v28, v23
	s_delay_alu instid0(VALU_DEP_1) | instskip(NEXT) | instid1(VALU_DEP_1)
	v_cmp_le_u64_e64 s3, v[19:20], v[22:23]
	s_and_b32 s10, s3, exec_lo
.LBB1145_174:
	s_or_b32 exec_lo, exec_lo, s4
	s_delay_alu instid0(SALU_CYCLE_1)
	s_or_not1_b32 s4, s10, exec_lo
.LBB1145_175:
	s_or_b32 exec_lo, exec_lo, s9
	v_cndmask_b32_e64 v0, v16, v21, s4
	v_cndmask_b32_e64 v19, v39, v38, s4
	s_mov_b32 s12, 0
	s_mov_b32 s9, -1
	s_mov_b32 s10, -1
	v_add_nc_u32_e32 v24, 1, v0
	v_add_nc_u32_e32 v22, -1, v19
	v_lshlrev_b64 v[19:20], 3, v[0:1]
	s_mov_b32 s11, exec_lo
	s_delay_alu instid0(VALU_DEP_3) | instskip(NEXT) | instid1(VALU_DEP_3)
	v_cndmask_b32_e64 v16, v24, v16, s4
	v_min_u32_e32 v0, v24, v22
	v_cndmask_b32_e64 v29, v21, v24, s4
	s_delay_alu instid0(VALU_DEP_2) | instskip(NEXT) | instid1(VALU_DEP_1)
	v_lshlrev_b64 v[0:1], 3, v[0:1]
	v_add_co_u32 v0, s3, v35, v0
	s_delay_alu instid0(VALU_DEP_1) | instskip(SKIP_2) | instid1(VALU_DEP_1)
	v_add_co_ci_u32_e64 v1, s3, v36, v1, s3
	flat_load_b64 v[22:23], v[0:1]
	v_add_co_u32 v0, s3, v33, v19
	v_add_co_ci_u32_e64 v1, s3, v34, v20, s3
	flat_load_b64 v[19:20], v[0:1]
	s_waitcnt vmcnt(1) lgkmcnt(1)
	v_cndmask_b32_e64 v1, v23, v15, s4
	v_cndmask_b32_e64 v0, v22, v14, s4
	;; [unrolled: 1-line block ×4, first 2 shown]
	v_cmpx_lt_u32_e64 v16, v39
	s_cbranch_execz .LBB1145_179
; %bb.176:
	s_mov_b32 s10, exec_lo
	v_cmpx_lt_u32_e64 v29, v38
	s_cbranch_execz .LBB1145_178
; %bb.177:
	v_add_f64 v[21:22], v[0:1], 0
	v_add_f64 v[23:24], v[27:28], 0
	s_delay_alu instid0(VALU_DEP_2) | instskip(NEXT) | instid1(VALU_DEP_2)
	v_ashrrev_i32_e32 v30, 31, v22
	v_ashrrev_i32_e32 v31, 31, v24
	s_delay_alu instid0(VALU_DEP_2) | instskip(NEXT) | instid1(VALU_DEP_2)
	v_or_b32_e32 v32, 0x80000000, v30
	v_or_b32_e32 v48, 0x80000000, v31
	v_xor_b32_e32 v21, v30, v21
	v_xor_b32_e32 v23, v31, v23
	s_delay_alu instid0(VALU_DEP_4) | instskip(NEXT) | instid1(VALU_DEP_4)
	v_xor_b32_e32 v22, v32, v22
	v_xor_b32_e32 v24, v48, v24
	s_delay_alu instid0(VALU_DEP_1) | instskip(NEXT) | instid1(VALU_DEP_1)
	v_cmp_le_u64_e64 s3, v[21:22], v[23:24]
	s_and_b32 s12, s3, exec_lo
.LBB1145_178:
	s_or_b32 exec_lo, exec_lo, s10
	s_delay_alu instid0(SALU_CYCLE_1)
	s_or_not1_b32 s10, s12, exec_lo
.LBB1145_179:
	s_or_b32 exec_lo, exec_lo, s11
	v_cndmask_b32_e64 v23, v16, v29, s10
	v_cndmask_b32_e64 v21, v39, v38, s10
	v_mov_b32_e32 v24, 0
	s_mov_b32 s12, 0
	s_mov_b32 s11, exec_lo
	v_add_nc_u32_e32 v48, 1, v23
	v_add_nc_u32_e32 v30, -1, v21
	v_lshlrev_b64 v[21:22], 3, v[23:24]
	s_delay_alu instid0(VALU_DEP_3) | instskip(NEXT) | instid1(VALU_DEP_3)
	v_cndmask_b32_e64 v16, v48, v16, s10
	v_min_u32_e32 v23, v48, v30
	s_delay_alu instid0(VALU_DEP_1) | instskip(SKIP_1) | instid1(VALU_DEP_2)
	v_lshlrev_b64 v[30:31], 3, v[23:24]
	v_cndmask_b32_e64 v23, v29, v48, s10
	v_add_co_u32 v30, s3, v35, v30
	s_delay_alu instid0(VALU_DEP_1) | instskip(SKIP_1) | instid1(VALU_DEP_1)
	v_add_co_ci_u32_e64 v31, s3, v36, v31, s3
	v_add_co_u32 v21, s3, v33, v21
	v_add_co_ci_u32_e64 v22, s3, v34, v22, s3
	s_clause 0x1
	flat_load_b64 v[31:32], v[30:31]
	flat_load_b64 v[21:22], v[21:22]
	s_waitcnt vmcnt(1) lgkmcnt(1)
	v_cndmask_b32_e64 v30, v32, v1, s10
	v_cndmask_b32_e64 v29, v31, v0, s10
	;; [unrolled: 1-line block ×4, first 2 shown]
	v_cmpx_lt_u32_e64 v16, v39
	s_cbranch_execz .LBB1145_183
; %bb.180:
	s_mov_b32 s9, exec_lo
	v_cmpx_lt_u32_e64 v23, v38
	s_cbranch_execz .LBB1145_182
; %bb.181:
	v_add_f64 v[38:39], v[29:30], 0
	v_add_f64 v[48:49], v[31:32], 0
	s_delay_alu instid0(VALU_DEP_2) | instskip(NEXT) | instid1(VALU_DEP_2)
	v_ashrrev_i32_e32 v50, 31, v39
	v_ashrrev_i32_e32 v51, 31, v49
	s_delay_alu instid0(VALU_DEP_2) | instskip(NEXT) | instid1(VALU_DEP_2)
	v_or_b32_e32 v52, 0x80000000, v50
	v_or_b32_e32 v53, 0x80000000, v51
	v_xor_b32_e32 v38, v50, v38
	v_xor_b32_e32 v48, v51, v48
	s_delay_alu instid0(VALU_DEP_4) | instskip(NEXT) | instid1(VALU_DEP_4)
	v_xor_b32_e32 v39, v52, v39
	v_xor_b32_e32 v49, v53, v49
	s_delay_alu instid0(VALU_DEP_1) | instskip(NEXT) | instid1(VALU_DEP_1)
	v_cmp_le_u64_e64 s3, v[38:39], v[48:49]
	s_and_b32 s12, s3, exec_lo
.LBB1145_182:
	s_or_b32 exec_lo, exec_lo, s9
	s_delay_alu instid0(SALU_CYCLE_1)
	s_or_not1_b32 s9, s12, exec_lo
.LBB1145_183:
	s_or_b32 exec_lo, exec_lo, s11
	v_cndmask_b32_e64 v23, v16, v23, s9
	v_cndmask_b32_e64 v1, v1, v28, s10
	;; [unrolled: 1-line block ×5, first 2 shown]
	v_lshlrev_b64 v[23:24], 3, v[23:24]
	v_cndmask_b32_e64 v65, v13, v3, s8
	v_cndmask_b32_e64 v64, v12, v2, s8
	;; [unrolled: 1-line block ×4, first 2 shown]
	v_add_co_u32 v23, s3, v33, v23
	s_delay_alu instid0(VALU_DEP_1)
	v_add_co_ci_u32_e64 v24, s3, v34, v24, s3
	flat_load_b64 v[23:24], v[23:24]
.LBB1145_184:
	s_or_b32 exec_lo, exec_lo, s7
	v_and_b32_e32 v12, 0x60, v81
	s_mov_b32 s4, exec_lo
	; wave barrier
	s_clause 0x2
	flat_store_b128 v[6:7], v[64:67]
	flat_store_b128 v[6:7], v[0:3] offset:16
	flat_store_b128 v[8:9], v[17:20]
	s_waitcnt vmcnt(0) lgkmcnt(3)
	flat_store_b128 v[8:9], v[21:24] offset:16
	v_or_b32_e32 v13, 16, v12
	; wave barrier
	s_delay_alu instid0(VALU_DEP_1) | instskip(NEXT) | instid1(VALU_DEP_1)
	v_min_u32_e32 v16, v37, v13
	v_add_nc_u32_e32 v13, 16, v16
	v_sub_nc_u32_e32 v15, v16, v12
	s_delay_alu instid0(VALU_DEP_2) | instskip(SKIP_1) | instid1(VALU_DEP_2)
	v_min_u32_e32 v29, v37, v13
	v_min_u32_e32 v13, v37, v82
	v_sub_nc_u32_e32 v14, v29, v16
	s_delay_alu instid0(VALU_DEP_2) | instskip(NEXT) | instid1(VALU_DEP_2)
	v_min_u32_e32 v15, v13, v15
	v_sub_nc_u32_e64 v14, v13, v14 clamp
	s_delay_alu instid0(VALU_DEP_1)
	v_cmpx_lt_u32_e64 v14, v15
	s_cbranch_execz .LBB1145_188
; %bb.185:
	v_lshlrev_b32_e32 v6, 3, v12
	v_lshlrev_b32_e32 v7, 3, v16
	s_mov_b32 s7, 0
	s_delay_alu instid0(VALU_DEP_2) | instskip(NEXT) | instid1(VALU_DEP_1)
	v_add_co_u32 v8, s3, v35, v6
	v_add_co_ci_u32_e64 v9, s3, 0, v36, s3
	s_delay_alu instid0(VALU_DEP_3)
	v_add_co_u32 v25, s3, v35, v7
	v_mov_b32_e32 v7, 0
	v_add_co_ci_u32_e64 v26, s3, 0, v36, s3
	s_set_inst_prefetch_distance 0x1
	.p2align	6
.LBB1145_186:                           ; =>This Inner Loop Header: Depth=1
	v_add_nc_u32_e32 v6, v15, v14
	s_delay_alu instid0(VALU_DEP_1) | instskip(SKIP_1) | instid1(VALU_DEP_2)
	v_lshrrev_b32_e32 v6, 1, v6
	v_mov_b32_e32 v28, v7
	v_xad_u32 v27, v6, -1, v13
	v_lshlrev_b64 v[30:31], 3, v[6:7]
	s_delay_alu instid0(VALU_DEP_2) | instskip(NEXT) | instid1(VALU_DEP_2)
	v_lshlrev_b64 v[27:28], 3, v[27:28]
	v_add_co_u32 v30, s3, v8, v30
	s_delay_alu instid0(VALU_DEP_1) | instskip(NEXT) | instid1(VALU_DEP_3)
	v_add_co_ci_u32_e64 v31, s3, v9, v31, s3
	v_add_co_u32 v27, s3, v25, v27
	s_delay_alu instid0(VALU_DEP_1)
	v_add_co_ci_u32_e64 v28, s3, v26, v28, s3
	s_clause 0x1
	flat_load_b64 v[30:31], v[30:31]
	flat_load_b64 v[27:28], v[27:28]
	s_waitcnt vmcnt(1) lgkmcnt(1)
	v_add_f64 v[30:31], v[30:31], 0
	s_waitcnt vmcnt(0) lgkmcnt(0)
	v_add_f64 v[27:28], v[27:28], 0
	s_delay_alu instid0(VALU_DEP_2) | instskip(NEXT) | instid1(VALU_DEP_2)
	v_ashrrev_i32_e32 v32, 31, v31
	v_ashrrev_i32_e32 v37, 31, v28
	s_delay_alu instid0(VALU_DEP_2) | instskip(NEXT) | instid1(VALU_DEP_2)
	v_or_b32_e32 v38, 0x80000000, v32
	v_or_b32_e32 v39, 0x80000000, v37
	v_xor_b32_e32 v30, v32, v30
	v_xor_b32_e32 v27, v37, v27
	s_delay_alu instid0(VALU_DEP_4) | instskip(NEXT) | instid1(VALU_DEP_4)
	v_xor_b32_e32 v31, v38, v31
	v_xor_b32_e32 v28, v39, v28
	s_delay_alu instid0(VALU_DEP_1) | instskip(SKIP_1) | instid1(VALU_DEP_2)
	v_cmp_gt_u64_e64 s3, v[27:28], v[30:31]
	v_add_nc_u32_e32 v27, 1, v6
	v_cndmask_b32_e64 v15, v15, v6, s3
	s_delay_alu instid0(VALU_DEP_2) | instskip(NEXT) | instid1(VALU_DEP_1)
	v_cndmask_b32_e64 v14, v27, v14, s3
	v_cmp_ge_u32_e64 s3, v14, v15
	s_delay_alu instid0(VALU_DEP_1) | instskip(NEXT) | instid1(SALU_CYCLE_1)
	s_or_b32 s7, s3, s7
	s_and_not1_b32 exec_lo, exec_lo, s7
	s_cbranch_execnz .LBB1145_186
; %bb.187:
	s_set_inst_prefetch_distance 0x2
	s_or_b32 exec_lo, exec_lo, s7
.LBB1145_188:
	s_delay_alu instid0(SALU_CYCLE_1) | instskip(SKIP_2) | instid1(VALU_DEP_2)
	s_or_b32 exec_lo, exec_lo, s4
	v_add_nc_u32_e32 v6, v16, v13
	v_add_nc_u32_e32 v8, v14, v12
	v_sub_nc_u32_e32 v12, v6, v14
	s_delay_alu instid0(VALU_DEP_2) | instskip(NEXT) | instid1(VALU_DEP_2)
	v_cmp_le_u32_e64 s3, v8, v16
	v_cmp_le_u32_e64 s4, v12, v29
	s_delay_alu instid0(VALU_DEP_1) | instskip(NEXT) | instid1(SALU_CYCLE_1)
	s_or_b32 s3, s3, s4
	s_and_saveexec_b32 s7, s3
	s_cbranch_execz .LBB1145_208
; %bb.189:
	v_cmp_ge_u32_e64 s3, v8, v16
	s_mov_b32 s8, exec_lo
                                        ; implicit-def: $vgpr2_vgpr3
	v_cmpx_lt_u32_e64 v8, v16
	s_cbranch_execz .LBB1145_191
; %bb.190:
	v_mov_b32_e32 v9, 0
	s_delay_alu instid0(VALU_DEP_1) | instskip(NEXT) | instid1(VALU_DEP_1)
	v_lshlrev_b64 v[0:1], 3, v[8:9]
	v_add_co_u32 v0, s4, v35, v0
	s_delay_alu instid0(VALU_DEP_1)
	v_add_co_ci_u32_e64 v1, s4, v36, v1, s4
	flat_load_b64 v[2:3], v[0:1]
.LBB1145_191:
	s_or_b32 exec_lo, exec_lo, s8
	v_cmp_ge_u32_e64 s8, v12, v29
	s_mov_b32 s9, exec_lo
                                        ; implicit-def: $vgpr6_vgpr7
	v_cmpx_lt_u32_e64 v12, v29
	s_cbranch_execz .LBB1145_193
; %bb.192:
	v_mov_b32_e32 v13, 0
	s_delay_alu instid0(VALU_DEP_1) | instskip(NEXT) | instid1(VALU_DEP_1)
	v_lshlrev_b64 v[0:1], 3, v[12:13]
	v_add_co_u32 v0, s4, v35, v0
	s_delay_alu instid0(VALU_DEP_1)
	v_add_co_ci_u32_e64 v1, s4, v36, v1, s4
	flat_load_b64 v[6:7], v[0:1]
.LBB1145_193:
	s_or_b32 exec_lo, exec_lo, s9
	s_or_b32 s3, s3, s8
	s_mov_b32 s4, -1
	s_xor_b32 s3, s3, -1
	s_delay_alu instid0(SALU_CYCLE_1)
	s_and_saveexec_b32 s9, s3
	s_cbranch_execz .LBB1145_195
; %bb.194:
	s_waitcnt vmcnt(0) lgkmcnt(0)
	v_add_f64 v[0:1], v[6:7], 0
	v_add_f64 v[13:14], v[2:3], 0
	s_and_not1_b32 s8, s8, exec_lo
	s_delay_alu instid0(VALU_DEP_2) | instskip(NEXT) | instid1(VALU_DEP_2)
	v_ashrrev_i32_e32 v9, 31, v1
	v_ashrrev_i32_e32 v15, 31, v14
	s_delay_alu instid0(VALU_DEP_2) | instskip(NEXT) | instid1(VALU_DEP_2)
	v_or_b32_e32 v17, 0x80000000, v9
	v_or_b32_e32 v18, 0x80000000, v15
	v_xor_b32_e32 v0, v9, v0
	v_xor_b32_e32 v13, v15, v13
	s_delay_alu instid0(VALU_DEP_4) | instskip(NEXT) | instid1(VALU_DEP_4)
	v_xor_b32_e32 v1, v17, v1
	v_xor_b32_e32 v14, v18, v14
	s_delay_alu instid0(VALU_DEP_1) | instskip(NEXT) | instid1(VALU_DEP_1)
	v_cmp_le_u64_e64 s3, v[0:1], v[13:14]
	s_and_b32 s3, s3, exec_lo
	s_delay_alu instid0(SALU_CYCLE_1)
	s_or_b32 s8, s8, s3
.LBB1145_195:
	s_or_b32 exec_lo, exec_lo, s9
	v_cndmask_b32_e64 v0, v12, v8, s8
	v_cndmask_b32_e64 v9, v29, v16, s8
	v_mov_b32_e32 v1, 0
	s_mov_b32 s10, 0
	s_mov_b32 s9, exec_lo
	v_add_nc_u32_e32 v15, 1, v0
	v_add_nc_u32_e32 v9, -1, v9
	v_lshlrev_b64 v[13:14], 3, v[0:1]
	s_delay_alu instid0(VALU_DEP_2) | instskip(NEXT) | instid1(VALU_DEP_1)
	v_min_u32_e32 v0, v15, v9
	v_lshlrev_b64 v[17:18], 3, v[0:1]
	s_delay_alu instid0(VALU_DEP_1) | instskip(NEXT) | instid1(VALU_DEP_1)
	v_add_co_u32 v17, s3, v35, v17
	v_add_co_ci_u32_e64 v18, s3, v36, v18, s3
	v_add_co_u32 v13, s3, v33, v13
	s_delay_alu instid0(VALU_DEP_1)
	v_add_co_ci_u32_e64 v14, s3, v34, v14, s3
	s_clause 0x1
	flat_load_b64 v[19:20], v[17:18]
	flat_load_b64 v[17:18], v[13:14]
	v_cndmask_b32_e64 v14, v15, v12, s8
	v_cndmask_b32_e64 v15, v8, v15, s8
	s_waitcnt vmcnt(1) lgkmcnt(1)
	v_cndmask_b32_e64 v9, v20, v7, s8
	v_cndmask_b32_e64 v8, v19, v6, s8
	;; [unrolled: 1-line block ×4, first 2 shown]
	v_cmpx_lt_u32_e64 v14, v29
	s_cbranch_execz .LBB1145_199
; %bb.196:
	s_mov_b32 s4, exec_lo
	v_cmpx_lt_u32_e64 v15, v16
	s_cbranch_execz .LBB1145_198
; %bb.197:
	v_add_f64 v[19:20], v[8:9], 0
	v_add_f64 v[21:22], v[12:13], 0
	s_delay_alu instid0(VALU_DEP_2) | instskip(NEXT) | instid1(VALU_DEP_2)
	v_ashrrev_i32_e32 v0, 31, v20
	v_ashrrev_i32_e32 v23, 31, v22
	s_delay_alu instid0(VALU_DEP_2) | instskip(NEXT) | instid1(VALU_DEP_2)
	v_or_b32_e32 v24, 0x80000000, v0
	v_or_b32_e32 v25, 0x80000000, v23
	v_xor_b32_e32 v19, v0, v19
	v_xor_b32_e32 v21, v23, v21
	s_delay_alu instid0(VALU_DEP_4) | instskip(NEXT) | instid1(VALU_DEP_4)
	v_xor_b32_e32 v20, v24, v20
	v_xor_b32_e32 v22, v25, v22
	s_delay_alu instid0(VALU_DEP_1) | instskip(NEXT) | instid1(VALU_DEP_1)
	v_cmp_le_u64_e64 s3, v[19:20], v[21:22]
	s_and_b32 s10, s3, exec_lo
.LBB1145_198:
	s_or_b32 exec_lo, exec_lo, s4
	s_delay_alu instid0(SALU_CYCLE_1)
	s_or_not1_b32 s4, s10, exec_lo
.LBB1145_199:
	s_or_b32 exec_lo, exec_lo, s9
	v_cndmask_b32_e64 v0, v14, v15, s4
	v_cndmask_b32_e64 v19, v29, v16, s4
	s_mov_b32 s12, 0
	s_mov_b32 s9, -1
	s_mov_b32 s10, -1
	v_add_nc_u32_e32 v23, 1, v0
	v_add_nc_u32_e32 v21, -1, v19
	v_lshlrev_b64 v[19:20], 3, v[0:1]
	s_mov_b32 s11, exec_lo
	s_delay_alu instid0(VALU_DEP_3) | instskip(NEXT) | instid1(VALU_DEP_3)
	v_cndmask_b32_e64 v25, v23, v14, s4
	v_min_u32_e32 v0, v23, v21
	v_cndmask_b32_e64 v26, v15, v23, s4
	s_delay_alu instid0(VALU_DEP_2) | instskip(NEXT) | instid1(VALU_DEP_1)
	v_lshlrev_b64 v[0:1], 3, v[0:1]
	v_add_co_u32 v0, s3, v35, v0
	s_delay_alu instid0(VALU_DEP_1) | instskip(SKIP_2) | instid1(VALU_DEP_1)
	v_add_co_ci_u32_e64 v1, s3, v36, v1, s3
	flat_load_b64 v[21:22], v[0:1]
	v_add_co_u32 v0, s3, v33, v19
	v_add_co_ci_u32_e64 v1, s3, v34, v20, s3
	flat_load_b64 v[19:20], v[0:1]
	s_waitcnt vmcnt(1) lgkmcnt(1)
	v_cndmask_b32_e64 v1, v22, v9, s4
	v_cndmask_b32_e64 v0, v21, v8, s4
	;; [unrolled: 1-line block ×4, first 2 shown]
	v_cmpx_lt_u32_e64 v25, v29
	s_cbranch_execz .LBB1145_203
; %bb.200:
	s_mov_b32 s10, exec_lo
	v_cmpx_lt_u32_e64 v26, v16
	s_cbranch_execz .LBB1145_202
; %bb.201:
	v_add_f64 v[21:22], v[0:1], 0
	v_add_f64 v[23:24], v[14:15], 0
	s_delay_alu instid0(VALU_DEP_2) | instskip(NEXT) | instid1(VALU_DEP_2)
	v_ashrrev_i32_e32 v27, 31, v22
	v_ashrrev_i32_e32 v28, 31, v24
	s_delay_alu instid0(VALU_DEP_2) | instskip(NEXT) | instid1(VALU_DEP_2)
	v_or_b32_e32 v30, 0x80000000, v27
	v_or_b32_e32 v31, 0x80000000, v28
	v_xor_b32_e32 v21, v27, v21
	v_xor_b32_e32 v23, v28, v23
	s_delay_alu instid0(VALU_DEP_4) | instskip(NEXT) | instid1(VALU_DEP_4)
	v_xor_b32_e32 v22, v30, v22
	v_xor_b32_e32 v24, v31, v24
	s_delay_alu instid0(VALU_DEP_1) | instskip(NEXT) | instid1(VALU_DEP_1)
	v_cmp_le_u64_e64 s3, v[21:22], v[23:24]
	s_and_b32 s12, s3, exec_lo
.LBB1145_202:
	s_or_b32 exec_lo, exec_lo, s10
	s_delay_alu instid0(SALU_CYCLE_1)
	s_or_not1_b32 s10, s12, exec_lo
.LBB1145_203:
	s_or_b32 exec_lo, exec_lo, s11
	v_cndmask_b32_e64 v23, v25, v26, s10
	v_cndmask_b32_e64 v21, v29, v16, s10
	v_mov_b32_e32 v24, 0
	s_mov_b32 s12, 0
	s_mov_b32 s11, exec_lo
	v_add_nc_u32_e32 v30, 1, v23
	v_add_nc_u32_e32 v27, -1, v21
	v_lshlrev_b64 v[21:22], 3, v[23:24]
	s_delay_alu instid0(VALU_DEP_2) | instskip(NEXT) | instid1(VALU_DEP_1)
	v_min_u32_e32 v23, v30, v27
	v_lshlrev_b64 v[27:28], 3, v[23:24]
	v_cndmask_b32_e64 v23, v30, v25, s10
	v_cndmask_b32_e64 v30, v26, v30, s10
	s_delay_alu instid0(VALU_DEP_3) | instskip(NEXT) | instid1(VALU_DEP_1)
	v_add_co_u32 v27, s3, v35, v27
	v_add_co_ci_u32_e64 v28, s3, v36, v28, s3
	v_add_co_u32 v21, s3, v33, v21
	s_delay_alu instid0(VALU_DEP_1)
	v_add_co_ci_u32_e64 v22, s3, v34, v22, s3
	s_clause 0x1
	flat_load_b64 v[27:28], v[27:28]
	flat_load_b64 v[21:22], v[21:22]
	s_waitcnt vmcnt(1) lgkmcnt(1)
	v_cndmask_b32_e64 v26, v28, v1, s10
	v_cndmask_b32_e64 v25, v27, v0, s10
	;; [unrolled: 1-line block ×4, first 2 shown]
	v_cmpx_lt_u32_e64 v23, v29
	s_cbranch_execz .LBB1145_207
; %bb.204:
	s_mov_b32 s9, exec_lo
	v_cmpx_lt_u32_e64 v30, v16
	s_cbranch_execz .LBB1145_206
; %bb.205:
	v_add_f64 v[31:32], v[25:26], 0
	v_add_f64 v[35:36], v[27:28], 0
	s_delay_alu instid0(VALU_DEP_2) | instskip(NEXT) | instid1(VALU_DEP_2)
	v_ashrrev_i32_e32 v16, 31, v32
	v_ashrrev_i32_e32 v29, 31, v36
	s_delay_alu instid0(VALU_DEP_2) | instskip(NEXT) | instid1(VALU_DEP_2)
	v_or_b32_e32 v37, 0x80000000, v16
	v_or_b32_e32 v38, 0x80000000, v29
	v_xor_b32_e32 v31, v16, v31
	v_xor_b32_e32 v35, v29, v35
	s_delay_alu instid0(VALU_DEP_4) | instskip(NEXT) | instid1(VALU_DEP_4)
	v_xor_b32_e32 v32, v37, v32
	v_xor_b32_e32 v36, v38, v36
	s_delay_alu instid0(VALU_DEP_1) | instskip(NEXT) | instid1(VALU_DEP_1)
	v_cmp_le_u64_e64 s3, v[31:32], v[35:36]
	s_and_b32 s12, s3, exec_lo
.LBB1145_206:
	s_or_b32 exec_lo, exec_lo, s9
	s_delay_alu instid0(SALU_CYCLE_1)
	s_or_not1_b32 s9, s12, exec_lo
.LBB1145_207:
	s_or_b32 exec_lo, exec_lo, s11
	v_cndmask_b32_e64 v23, v23, v30, s9
	v_cndmask_b32_e64 v1, v1, v15, s10
	;; [unrolled: 1-line block ×5, first 2 shown]
	v_lshlrev_b64 v[23:24], 3, v[23:24]
	v_cndmask_b32_e64 v65, v7, v3, s8
	v_cndmask_b32_e64 v64, v6, v2, s8
	;; [unrolled: 1-line block ×4, first 2 shown]
	v_add_co_u32 v23, s3, v33, v23
	s_delay_alu instid0(VALU_DEP_1)
	v_add_co_ci_u32_e64 v24, s3, v34, v24, s3
	flat_load_b64 v[23:24], v[23:24]
.LBB1145_208:
	s_or_b32 exec_lo, exec_lo, s7
	v_add_co_u32 v4, s3, v4, v68
	s_delay_alu instid0(VALU_DEP_1) | instskip(NEXT) | instid1(VALU_DEP_2)
	v_add_co_ci_u32_e64 v5, s3, v5, v69, s3
	v_add_co_u32 v4, s3, v4, v80
	s_delay_alu instid0(VALU_DEP_1)
	v_add_co_ci_u32_e64 v5, s3, 0, v5, s3
	; wave barrier
	s_waitcnt vmcnt(0) lgkmcnt(0)
	s_waitcnt_vscnt null, 0x0
	s_barrier
	buffer_gl0_inv
	; wave barrier
	s_and_saveexec_b32 s3, vcc_lo
	s_cbranch_execnz .LBB1145_230
; %bb.209:
	s_or_b32 exec_lo, exec_lo, s3
	s_and_saveexec_b32 s3, s1
	s_cbranch_execnz .LBB1145_231
.LBB1145_210:
	s_or_b32 exec_lo, exec_lo, s3
	s_and_saveexec_b32 s3, s2
	s_cbranch_execnz .LBB1145_232
.LBB1145_211:
	s_or_b32 exec_lo, exec_lo, s3
	s_and_saveexec_b32 s3, s0
	s_cbranch_execz .LBB1145_213
.LBB1145_212:
	flat_store_b64 v[4:5], v[2:3] offset:24
.LBB1145_213:
	s_or_b32 exec_lo, exec_lo, s3
	v_add_co_u32 v0, s3, v10, v68
	s_delay_alu instid0(VALU_DEP_1) | instskip(NEXT) | instid1(VALU_DEP_2)
	v_add_co_ci_u32_e64 v1, s3, v11, v69, s3
	v_add_co_u32 v0, s3, v0, v80
	s_delay_alu instid0(VALU_DEP_1)
	v_add_co_ci_u32_e64 v1, s3, 0, v1, s3
	; wave barrier
	s_and_saveexec_b32 s3, vcc_lo
	s_cbranch_execnz .LBB1145_233
; %bb.214:
	s_or_b32 exec_lo, exec_lo, s3
	s_and_saveexec_b32 s3, s1
	s_cbranch_execnz .LBB1145_234
.LBB1145_215:
	s_or_b32 exec_lo, exec_lo, s3
	s_and_saveexec_b32 s1, s2
	s_cbranch_execz .LBB1145_217
.LBB1145_216:
	flat_store_b64 v[0:1], v[21:22] offset:16
.LBB1145_217:
	s_or_b32 exec_lo, exec_lo, s1
	v_dual_mov_b32 v8, v10 :: v_dual_mov_b32 v9, v11
	s_and_not1_b32 s1, s5, exec_lo
	s_and_b32 s0, s0, exec_lo
	s_delay_alu instid0(SALU_CYCLE_1)
	s_or_b32 s5, s1, s0
	s_or_b32 exec_lo, exec_lo, s6
	s_and_saveexec_b32 s0, s5
	s_cbranch_execz .LBB1145_3
.LBB1145_218:
	v_add_co_u32 v0, vcc_lo, v8, v68
	v_add_co_ci_u32_e32 v1, vcc_lo, v9, v69, vcc_lo
	s_delay_alu instid0(VALU_DEP_2) | instskip(NEXT) | instid1(VALU_DEP_2)
	v_add_co_u32 v0, vcc_lo, v0, v80
	v_add_co_ci_u32_e32 v1, vcc_lo, 0, v1, vcc_lo
	flat_store_b64 v[0:1], v[23:24] offset:24
	s_or_b32 exec_lo, exec_lo, s0
	s_waitcnt lgkmcnt(0)
	s_setpc_b64 s[30:31]
.LBB1145_219:
	flat_load_b64 v[17:18], v[0:1]
	s_or_b32 exec_lo, exec_lo, s3
	s_and_saveexec_b32 s3, s0
	s_cbranch_execz .LBB1145_14
.LBB1145_220:
	flat_load_b64 v[19:20], v[0:1] offset:8
	s_or_b32 exec_lo, exec_lo, s3
	s_and_saveexec_b32 s3, s1
	s_cbranch_execz .LBB1145_15
.LBB1145_221:
	flat_load_b64 v[21:22], v[0:1] offset:16
	s_or_b32 exec_lo, exec_lo, s3
	s_and_saveexec_b32 s3, s2
	s_cbranch_execnz .LBB1145_16
	s_branch .LBB1145_17
.LBB1145_222:
	flat_store_b64 v[0:1], v[64:65]
	s_or_b32 exec_lo, exec_lo, s3
	s_and_saveexec_b32 s3, s0
	s_cbranch_execz .LBB1145_103
.LBB1145_223:
	flat_store_b64 v[0:1], v[66:67] offset:8
	s_or_b32 exec_lo, exec_lo, s3
	s_and_saveexec_b32 s3, s1
	s_cbranch_execz .LBB1145_104
.LBB1145_224:
	flat_store_b64 v[0:1], v[10:11] offset:16
	s_or_b32 exec_lo, exec_lo, s3
	s_and_saveexec_b32 s3, s2
	s_cbranch_execnz .LBB1145_105
	s_branch .LBB1145_106
.LBB1145_225:
	flat_store_b64 v[0:1], v[17:18]
	s_or_b32 exec_lo, exec_lo, s3
	s_and_saveexec_b32 s3, s0
	s_cbranch_execz .LBB1145_108
.LBB1145_226:
	flat_store_b64 v[0:1], v[19:20] offset:8
	s_or_b32 exec_lo, exec_lo, s3
	s_and_saveexec_b32 s0, s1
	s_cbranch_execnz .LBB1145_109
	s_branch .LBB1145_110
.LBB1145_227:
	flat_load_b64 v[17:18], v[6:7]
	s_or_b32 exec_lo, exec_lo, s3
	s_and_saveexec_b32 s3, s1
	s_cbranch_execz .LBB1145_121
.LBB1145_228:
	flat_load_b64 v[19:20], v[6:7] offset:8
	s_or_b32 exec_lo, exec_lo, s3
	s_and_saveexec_b32 s3, s2
	s_cbranch_execz .LBB1145_122
.LBB1145_229:
	flat_load_b64 v[21:22], v[6:7] offset:16
	s_or_b32 exec_lo, exec_lo, s3
	s_and_saveexec_b32 s3, s0
	s_cbranch_execnz .LBB1145_123
	s_branch .LBB1145_124
.LBB1145_230:
	flat_store_b64 v[4:5], v[64:65]
	s_or_b32 exec_lo, exec_lo, s3
	s_and_saveexec_b32 s3, s1
	s_cbranch_execz .LBB1145_210
.LBB1145_231:
	flat_store_b64 v[4:5], v[66:67] offset:8
	s_or_b32 exec_lo, exec_lo, s3
	s_and_saveexec_b32 s3, s2
	s_cbranch_execz .LBB1145_211
.LBB1145_232:
	flat_store_b64 v[4:5], v[0:1] offset:16
	s_or_b32 exec_lo, exec_lo, s3
	s_and_saveexec_b32 s3, s0
	s_cbranch_execnz .LBB1145_212
	s_branch .LBB1145_213
.LBB1145_233:
	flat_store_b64 v[0:1], v[17:18]
	s_or_b32 exec_lo, exec_lo, s3
	s_and_saveexec_b32 s3, s1
	s_cbranch_execz .LBB1145_215
.LBB1145_234:
	flat_store_b64 v[0:1], v[19:20] offset:8
	s_or_b32 exec_lo, exec_lo, s3
	s_and_saveexec_b32 s1, s2
	s_cbranch_execnz .LBB1145_216
	s_branch .LBB1145_217
.Lfunc_end1145:
	.size	_ZN7rocprim17ROCPRIM_400000_NS6detail26segmented_warp_sort_helperINS1_20WarpSortHelperConfigILj8ELj4ELj256EEEdlLi256ELb1EvE4sortIPKdPdPKlPlEEvT_S9_T0_T1_SC_T2_bjjjjRNS5_12storage_typeE, .Lfunc_end1145-_ZN7rocprim17ROCPRIM_400000_NS6detail26segmented_warp_sort_helperINS1_20WarpSortHelperConfigILj8ELj4ELj256EEEdlLi256ELb1EvE4sortIPKdPdPKlPlEEvT_S9_T0_T1_SC_T2_bjjjjRNS5_12storage_typeE
                                        ; -- End function
	.section	.AMDGPU.csdata,"",@progbits
; Function info:
; codeLenInByte = 14436
; NumSgprs: 34
; NumVgprs: 85
; ScratchSize: 0
; MemoryBound: 1
	.section	.text._ZN7rocprim17ROCPRIM_400000_NS6detail17trampoline_kernelINS0_14default_configENS1_36segmented_radix_sort_config_selectorIdlEEZNS1_25segmented_radix_sort_implIS3_Lb1EPKdPdPKlPlN2at6native12_GLOBAL__N_18offset_tEEE10hipError_tPvRmT1_PNSt15iterator_traitsISK_E10value_typeET2_T3_PNSL_ISQ_E10value_typeET4_jRbjT5_SW_jjP12ihipStream_tbEUlT_E1_NS1_11comp_targetILNS1_3genE9ELNS1_11target_archE1100ELNS1_3gpuE3ELNS1_3repE0EEENS1_59segmented_radix_sort_warp_sort_small_config_static_selectorELNS0_4arch9wavefront6targetE0EEEvSK_,"axG",@progbits,_ZN7rocprim17ROCPRIM_400000_NS6detail17trampoline_kernelINS0_14default_configENS1_36segmented_radix_sort_config_selectorIdlEEZNS1_25segmented_radix_sort_implIS3_Lb1EPKdPdPKlPlN2at6native12_GLOBAL__N_18offset_tEEE10hipError_tPvRmT1_PNSt15iterator_traitsISK_E10value_typeET2_T3_PNSL_ISQ_E10value_typeET4_jRbjT5_SW_jjP12ihipStream_tbEUlT_E1_NS1_11comp_targetILNS1_3genE9ELNS1_11target_archE1100ELNS1_3gpuE3ELNS1_3repE0EEENS1_59segmented_radix_sort_warp_sort_small_config_static_selectorELNS0_4arch9wavefront6targetE0EEEvSK_,comdat
	.globl	_ZN7rocprim17ROCPRIM_400000_NS6detail17trampoline_kernelINS0_14default_configENS1_36segmented_radix_sort_config_selectorIdlEEZNS1_25segmented_radix_sort_implIS3_Lb1EPKdPdPKlPlN2at6native12_GLOBAL__N_18offset_tEEE10hipError_tPvRmT1_PNSt15iterator_traitsISK_E10value_typeET2_T3_PNSL_ISQ_E10value_typeET4_jRbjT5_SW_jjP12ihipStream_tbEUlT_E1_NS1_11comp_targetILNS1_3genE9ELNS1_11target_archE1100ELNS1_3gpuE3ELNS1_3repE0EEENS1_59segmented_radix_sort_warp_sort_small_config_static_selectorELNS0_4arch9wavefront6targetE0EEEvSK_ ; -- Begin function _ZN7rocprim17ROCPRIM_400000_NS6detail17trampoline_kernelINS0_14default_configENS1_36segmented_radix_sort_config_selectorIdlEEZNS1_25segmented_radix_sort_implIS3_Lb1EPKdPdPKlPlN2at6native12_GLOBAL__N_18offset_tEEE10hipError_tPvRmT1_PNSt15iterator_traitsISK_E10value_typeET2_T3_PNSL_ISQ_E10value_typeET4_jRbjT5_SW_jjP12ihipStream_tbEUlT_E1_NS1_11comp_targetILNS1_3genE9ELNS1_11target_archE1100ELNS1_3gpuE3ELNS1_3repE0EEENS1_59segmented_radix_sort_warp_sort_small_config_static_selectorELNS0_4arch9wavefront6targetE0EEEvSK_
	.p2align	8
	.type	_ZN7rocprim17ROCPRIM_400000_NS6detail17trampoline_kernelINS0_14default_configENS1_36segmented_radix_sort_config_selectorIdlEEZNS1_25segmented_radix_sort_implIS3_Lb1EPKdPdPKlPlN2at6native12_GLOBAL__N_18offset_tEEE10hipError_tPvRmT1_PNSt15iterator_traitsISK_E10value_typeET2_T3_PNSL_ISQ_E10value_typeET4_jRbjT5_SW_jjP12ihipStream_tbEUlT_E1_NS1_11comp_targetILNS1_3genE9ELNS1_11target_archE1100ELNS1_3gpuE3ELNS1_3repE0EEENS1_59segmented_radix_sort_warp_sort_small_config_static_selectorELNS0_4arch9wavefront6targetE0EEEvSK_,@function
_ZN7rocprim17ROCPRIM_400000_NS6detail17trampoline_kernelINS0_14default_configENS1_36segmented_radix_sort_config_selectorIdlEEZNS1_25segmented_radix_sort_implIS3_Lb1EPKdPdPKlPlN2at6native12_GLOBAL__N_18offset_tEEE10hipError_tPvRmT1_PNSt15iterator_traitsISK_E10value_typeET2_T3_PNSL_ISQ_E10value_typeET4_jRbjT5_SW_jjP12ihipStream_tbEUlT_E1_NS1_11comp_targetILNS1_3genE9ELNS1_11target_archE1100ELNS1_3gpuE3ELNS1_3repE0EEENS1_59segmented_radix_sort_warp_sort_small_config_static_selectorELNS0_4arch9wavefront6targetE0EEEvSK_: ; @_ZN7rocprim17ROCPRIM_400000_NS6detail17trampoline_kernelINS0_14default_configENS1_36segmented_radix_sort_config_selectorIdlEEZNS1_25segmented_radix_sort_implIS3_Lb1EPKdPdPKlPlN2at6native12_GLOBAL__N_18offset_tEEE10hipError_tPvRmT1_PNSt15iterator_traitsISK_E10value_typeET2_T3_PNSL_ISQ_E10value_typeET4_jRbjT5_SW_jjP12ihipStream_tbEUlT_E1_NS1_11comp_targetILNS1_3genE9ELNS1_11target_archE1100ELNS1_3gpuE3ELNS1_3repE0EEENS1_59segmented_radix_sort_warp_sort_small_config_static_selectorELNS0_4arch9wavefront6targetE0EEEvSK_
; %bb.0:
	s_load_b32 s2, s[0:1], 0x64
	v_bfe_u32 v1, v0, 10, 10
	v_bfe_u32 v2, v0, 20, 10
	s_mov_b32 s32, 0
	s_waitcnt lgkmcnt(0)
	s_lshr_b32 s3, s2, 16
	s_and_b32 s2, s2, 0xffff
	v_mad_u32_u24 v4, v2, s3, v1
	v_and_b32_e32 v1, 0x3ff, v0
	s_load_b32 s3, s[0:1], 0x34
	s_delay_alu instid0(VALU_DEP_1) | instskip(SKIP_1) | instid1(VALU_DEP_1)
	v_mad_u64_u32 v[2:3], null, v4, s2, v[1:2]
	s_mov_b32 s2, exec_lo
	v_lshrrev_b32_e32 v1, 3, v2
	s_delay_alu instid0(VALU_DEP_1) | instskip(SKIP_1) | instid1(VALU_DEP_1)
	v_lshl_add_u32 v1, s14, 5, v1
	s_waitcnt lgkmcnt(0)
	v_cmpx_gt_u32_e64 s3, v1
	s_cbranch_execz .LBB1146_3
; %bb.1:
	s_clause 0x1
	s_load_b64 s[2:3], s[0:1], 0x38
	s_load_b128 s[4:7], s[0:1], 0x40
	v_mov_b32_e32 v2, 0
	s_delay_alu instid0(VALU_DEP_1) | instskip(SKIP_1) | instid1(VALU_DEP_1)
	v_lshlrev_b64 v[1:2], 2, v[1:2]
	s_waitcnt lgkmcnt(0)
	v_sub_co_u32 v1, vcc_lo, s2, v1
	s_delay_alu instid0(VALU_DEP_2) | instskip(SKIP_4) | instid1(VALU_DEP_2)
	v_sub_co_ci_u32_e32 v2, vcc_lo, s3, v2, vcc_lo
	global_load_b32 v1, v[1:2], off offset:-4
	s_waitcnt vmcnt(0)
	v_add_nc_u32_e32 v2, s5, v1
	v_add_nc_u32_e32 v1, s7, v1
	v_mul_lo_u32 v13, v2, s4
	s_delay_alu instid0(VALU_DEP_2) | instskip(NEXT) | instid1(VALU_DEP_1)
	v_mul_lo_u32 v14, v1, s6
	v_cmp_gt_u32_e32 vcc_lo, v14, v13
	s_and_b32 exec_lo, exec_lo, vcc_lo
	s_cbranch_execz .LBB1146_3
; %bb.2:
	s_clause 0x2
	s_load_b32 s10, s[0:1], 0x30
	s_load_b256 s[16:23], s[0:1], 0x0
	s_load_b128 s[4:7], s[0:1], 0x20
	s_add_u32 s8, s0, 0x58
	s_addc_u32 s9, s1, 0
	s_mov_b64 s[2:3], src_shared_base
	s_getpc_b64 s[0:1]
	s_add_u32 s0, s0, _ZN7rocprim17ROCPRIM_400000_NS6detail26segmented_warp_sort_helperINS1_20WarpSortHelperConfigILj8ELj4ELj256EEEdlLi256ELb1EvE4sortIPKdPdPKlPlEEvT_S9_T0_T1_SC_T2_bjjjjRNS5_12storage_typeE@rel32@lo+4
	s_addc_u32 s1, s1, _ZN7rocprim17ROCPRIM_400000_NS6detail26segmented_warp_sort_helperINS1_20WarpSortHelperConfigILj8ELj4ELj256EEEdlLi256ELb1EvE4sortIPKdPdPKlPlEEvT_S9_T0_T1_SC_T2_bjjjjRNS5_12storage_typeE@rel32@hi+12
	v_mov_b32_e32 v31, v0
	v_dual_mov_b32 v15, 0 :: v_dual_mov_b32 v16, s3
	s_mov_b32 s12, s14
	s_mov_b32 s13, s15
	s_waitcnt lgkmcnt(0)
	s_and_b32 s2, s10, 1
	v_dual_mov_b32 v0, s16 :: v_dual_mov_b32 v1, s17
	v_dual_mov_b32 v2, s18 :: v_dual_mov_b32 v3, s19
	v_dual_mov_b32 v4, s20 :: v_dual_mov_b32 v5, s21
	v_dual_mov_b32 v6, s22 :: v_dual_mov_b32 v7, s23
	v_dual_mov_b32 v8, s4 :: v_dual_mov_b32 v9, s5
	v_dual_mov_b32 v10, s6 :: v_dual_mov_b32 v11, s7
	v_mov_b32_e32 v12, s2
	s_swappc_b64 s[30:31], s[0:1]
.LBB1146_3:
	s_endpgm
	.section	.rodata,"a",@progbits
	.p2align	6, 0x0
	.amdhsa_kernel _ZN7rocprim17ROCPRIM_400000_NS6detail17trampoline_kernelINS0_14default_configENS1_36segmented_radix_sort_config_selectorIdlEEZNS1_25segmented_radix_sort_implIS3_Lb1EPKdPdPKlPlN2at6native12_GLOBAL__N_18offset_tEEE10hipError_tPvRmT1_PNSt15iterator_traitsISK_E10value_typeET2_T3_PNSL_ISQ_E10value_typeET4_jRbjT5_SW_jjP12ihipStream_tbEUlT_E1_NS1_11comp_targetILNS1_3genE9ELNS1_11target_archE1100ELNS1_3gpuE3ELNS1_3repE0EEENS1_59segmented_radix_sort_warp_sort_small_config_static_selectorELNS0_4arch9wavefront6targetE0EEEvSK_
		.amdhsa_group_segment_fixed_size 16384
		.amdhsa_private_segment_fixed_size 0
		.amdhsa_kernarg_size 344
		.amdhsa_user_sgpr_count 14
		.amdhsa_user_sgpr_dispatch_ptr 0
		.amdhsa_user_sgpr_queue_ptr 0
		.amdhsa_user_sgpr_kernarg_segment_ptr 1
		.amdhsa_user_sgpr_dispatch_id 0
		.amdhsa_user_sgpr_private_segment_size 0
		.amdhsa_wavefront_size32 1
		.amdhsa_uses_dynamic_stack 0
		.amdhsa_enable_private_segment 0
		.amdhsa_system_sgpr_workgroup_id_x 1
		.amdhsa_system_sgpr_workgroup_id_y 1
		.amdhsa_system_sgpr_workgroup_id_z 0
		.amdhsa_system_sgpr_workgroup_info 0
		.amdhsa_system_vgpr_workitem_id 2
		.amdhsa_next_free_vgpr 85
		.amdhsa_next_free_sgpr 33
		.amdhsa_reserve_vcc 1
		.amdhsa_float_round_mode_32 0
		.amdhsa_float_round_mode_16_64 0
		.amdhsa_float_denorm_mode_32 3
		.amdhsa_float_denorm_mode_16_64 3
		.amdhsa_dx10_clamp 1
		.amdhsa_ieee_mode 1
		.amdhsa_fp16_overflow 0
		.amdhsa_workgroup_processor_mode 1
		.amdhsa_memory_ordered 1
		.amdhsa_forward_progress 0
		.amdhsa_shared_vgpr_count 0
		.amdhsa_exception_fp_ieee_invalid_op 0
		.amdhsa_exception_fp_denorm_src 0
		.amdhsa_exception_fp_ieee_div_zero 0
		.amdhsa_exception_fp_ieee_overflow 0
		.amdhsa_exception_fp_ieee_underflow 0
		.amdhsa_exception_fp_ieee_inexact 0
		.amdhsa_exception_int_div_zero 0
	.end_amdhsa_kernel
	.section	.text._ZN7rocprim17ROCPRIM_400000_NS6detail17trampoline_kernelINS0_14default_configENS1_36segmented_radix_sort_config_selectorIdlEEZNS1_25segmented_radix_sort_implIS3_Lb1EPKdPdPKlPlN2at6native12_GLOBAL__N_18offset_tEEE10hipError_tPvRmT1_PNSt15iterator_traitsISK_E10value_typeET2_T3_PNSL_ISQ_E10value_typeET4_jRbjT5_SW_jjP12ihipStream_tbEUlT_E1_NS1_11comp_targetILNS1_3genE9ELNS1_11target_archE1100ELNS1_3gpuE3ELNS1_3repE0EEENS1_59segmented_radix_sort_warp_sort_small_config_static_selectorELNS0_4arch9wavefront6targetE0EEEvSK_,"axG",@progbits,_ZN7rocprim17ROCPRIM_400000_NS6detail17trampoline_kernelINS0_14default_configENS1_36segmented_radix_sort_config_selectorIdlEEZNS1_25segmented_radix_sort_implIS3_Lb1EPKdPdPKlPlN2at6native12_GLOBAL__N_18offset_tEEE10hipError_tPvRmT1_PNSt15iterator_traitsISK_E10value_typeET2_T3_PNSL_ISQ_E10value_typeET4_jRbjT5_SW_jjP12ihipStream_tbEUlT_E1_NS1_11comp_targetILNS1_3genE9ELNS1_11target_archE1100ELNS1_3gpuE3ELNS1_3repE0EEENS1_59segmented_radix_sort_warp_sort_small_config_static_selectorELNS0_4arch9wavefront6targetE0EEEvSK_,comdat
.Lfunc_end1146:
	.size	_ZN7rocprim17ROCPRIM_400000_NS6detail17trampoline_kernelINS0_14default_configENS1_36segmented_radix_sort_config_selectorIdlEEZNS1_25segmented_radix_sort_implIS3_Lb1EPKdPdPKlPlN2at6native12_GLOBAL__N_18offset_tEEE10hipError_tPvRmT1_PNSt15iterator_traitsISK_E10value_typeET2_T3_PNSL_ISQ_E10value_typeET4_jRbjT5_SW_jjP12ihipStream_tbEUlT_E1_NS1_11comp_targetILNS1_3genE9ELNS1_11target_archE1100ELNS1_3gpuE3ELNS1_3repE0EEENS1_59segmented_radix_sort_warp_sort_small_config_static_selectorELNS0_4arch9wavefront6targetE0EEEvSK_, .Lfunc_end1146-_ZN7rocprim17ROCPRIM_400000_NS6detail17trampoline_kernelINS0_14default_configENS1_36segmented_radix_sort_config_selectorIdlEEZNS1_25segmented_radix_sort_implIS3_Lb1EPKdPdPKlPlN2at6native12_GLOBAL__N_18offset_tEEE10hipError_tPvRmT1_PNSt15iterator_traitsISK_E10value_typeET2_T3_PNSL_ISQ_E10value_typeET4_jRbjT5_SW_jjP12ihipStream_tbEUlT_E1_NS1_11comp_targetILNS1_3genE9ELNS1_11target_archE1100ELNS1_3gpuE3ELNS1_3repE0EEENS1_59segmented_radix_sort_warp_sort_small_config_static_selectorELNS0_4arch9wavefront6targetE0EEEvSK_
                                        ; -- End function
	.section	.AMDGPU.csdata,"",@progbits
; Kernel info:
; codeLenInByte = 376
; NumSgprs: 35
; NumVgprs: 85
; ScratchSize: 0
; MemoryBound: 0
; FloatMode: 240
; IeeeMode: 1
; LDSByteSize: 16384 bytes/workgroup (compile time only)
; SGPRBlocks: 4
; VGPRBlocks: 10
; NumSGPRsForWavesPerEU: 35
; NumVGPRsForWavesPerEU: 85
; Occupancy: 16
; WaveLimiterHint : 0
; COMPUTE_PGM_RSRC2:SCRATCH_EN: 0
; COMPUTE_PGM_RSRC2:USER_SGPR: 14
; COMPUTE_PGM_RSRC2:TRAP_HANDLER: 0
; COMPUTE_PGM_RSRC2:TGID_X_EN: 1
; COMPUTE_PGM_RSRC2:TGID_Y_EN: 1
; COMPUTE_PGM_RSRC2:TGID_Z_EN: 0
; COMPUTE_PGM_RSRC2:TIDIG_COMP_CNT: 2
	.section	.text._ZN7rocprim17ROCPRIM_400000_NS6detail17trampoline_kernelINS0_14default_configENS1_36segmented_radix_sort_config_selectorIdlEEZNS1_25segmented_radix_sort_implIS3_Lb1EPKdPdPKlPlN2at6native12_GLOBAL__N_18offset_tEEE10hipError_tPvRmT1_PNSt15iterator_traitsISK_E10value_typeET2_T3_PNSL_ISQ_E10value_typeET4_jRbjT5_SW_jjP12ihipStream_tbEUlT_E1_NS1_11comp_targetILNS1_3genE8ELNS1_11target_archE1030ELNS1_3gpuE2ELNS1_3repE0EEENS1_59segmented_radix_sort_warp_sort_small_config_static_selectorELNS0_4arch9wavefront6targetE0EEEvSK_,"axG",@progbits,_ZN7rocprim17ROCPRIM_400000_NS6detail17trampoline_kernelINS0_14default_configENS1_36segmented_radix_sort_config_selectorIdlEEZNS1_25segmented_radix_sort_implIS3_Lb1EPKdPdPKlPlN2at6native12_GLOBAL__N_18offset_tEEE10hipError_tPvRmT1_PNSt15iterator_traitsISK_E10value_typeET2_T3_PNSL_ISQ_E10value_typeET4_jRbjT5_SW_jjP12ihipStream_tbEUlT_E1_NS1_11comp_targetILNS1_3genE8ELNS1_11target_archE1030ELNS1_3gpuE2ELNS1_3repE0EEENS1_59segmented_radix_sort_warp_sort_small_config_static_selectorELNS0_4arch9wavefront6targetE0EEEvSK_,comdat
	.globl	_ZN7rocprim17ROCPRIM_400000_NS6detail17trampoline_kernelINS0_14default_configENS1_36segmented_radix_sort_config_selectorIdlEEZNS1_25segmented_radix_sort_implIS3_Lb1EPKdPdPKlPlN2at6native12_GLOBAL__N_18offset_tEEE10hipError_tPvRmT1_PNSt15iterator_traitsISK_E10value_typeET2_T3_PNSL_ISQ_E10value_typeET4_jRbjT5_SW_jjP12ihipStream_tbEUlT_E1_NS1_11comp_targetILNS1_3genE8ELNS1_11target_archE1030ELNS1_3gpuE2ELNS1_3repE0EEENS1_59segmented_radix_sort_warp_sort_small_config_static_selectorELNS0_4arch9wavefront6targetE0EEEvSK_ ; -- Begin function _ZN7rocprim17ROCPRIM_400000_NS6detail17trampoline_kernelINS0_14default_configENS1_36segmented_radix_sort_config_selectorIdlEEZNS1_25segmented_radix_sort_implIS3_Lb1EPKdPdPKlPlN2at6native12_GLOBAL__N_18offset_tEEE10hipError_tPvRmT1_PNSt15iterator_traitsISK_E10value_typeET2_T3_PNSL_ISQ_E10value_typeET4_jRbjT5_SW_jjP12ihipStream_tbEUlT_E1_NS1_11comp_targetILNS1_3genE8ELNS1_11target_archE1030ELNS1_3gpuE2ELNS1_3repE0EEENS1_59segmented_radix_sort_warp_sort_small_config_static_selectorELNS0_4arch9wavefront6targetE0EEEvSK_
	.p2align	8
	.type	_ZN7rocprim17ROCPRIM_400000_NS6detail17trampoline_kernelINS0_14default_configENS1_36segmented_radix_sort_config_selectorIdlEEZNS1_25segmented_radix_sort_implIS3_Lb1EPKdPdPKlPlN2at6native12_GLOBAL__N_18offset_tEEE10hipError_tPvRmT1_PNSt15iterator_traitsISK_E10value_typeET2_T3_PNSL_ISQ_E10value_typeET4_jRbjT5_SW_jjP12ihipStream_tbEUlT_E1_NS1_11comp_targetILNS1_3genE8ELNS1_11target_archE1030ELNS1_3gpuE2ELNS1_3repE0EEENS1_59segmented_radix_sort_warp_sort_small_config_static_selectorELNS0_4arch9wavefront6targetE0EEEvSK_,@function
_ZN7rocprim17ROCPRIM_400000_NS6detail17trampoline_kernelINS0_14default_configENS1_36segmented_radix_sort_config_selectorIdlEEZNS1_25segmented_radix_sort_implIS3_Lb1EPKdPdPKlPlN2at6native12_GLOBAL__N_18offset_tEEE10hipError_tPvRmT1_PNSt15iterator_traitsISK_E10value_typeET2_T3_PNSL_ISQ_E10value_typeET4_jRbjT5_SW_jjP12ihipStream_tbEUlT_E1_NS1_11comp_targetILNS1_3genE8ELNS1_11target_archE1030ELNS1_3gpuE2ELNS1_3repE0EEENS1_59segmented_radix_sort_warp_sort_small_config_static_selectorELNS0_4arch9wavefront6targetE0EEEvSK_: ; @_ZN7rocprim17ROCPRIM_400000_NS6detail17trampoline_kernelINS0_14default_configENS1_36segmented_radix_sort_config_selectorIdlEEZNS1_25segmented_radix_sort_implIS3_Lb1EPKdPdPKlPlN2at6native12_GLOBAL__N_18offset_tEEE10hipError_tPvRmT1_PNSt15iterator_traitsISK_E10value_typeET2_T3_PNSL_ISQ_E10value_typeET4_jRbjT5_SW_jjP12ihipStream_tbEUlT_E1_NS1_11comp_targetILNS1_3genE8ELNS1_11target_archE1030ELNS1_3gpuE2ELNS1_3repE0EEENS1_59segmented_radix_sort_warp_sort_small_config_static_selectorELNS0_4arch9wavefront6targetE0EEEvSK_
; %bb.0:
	.section	.rodata,"a",@progbits
	.p2align	6, 0x0
	.amdhsa_kernel _ZN7rocprim17ROCPRIM_400000_NS6detail17trampoline_kernelINS0_14default_configENS1_36segmented_radix_sort_config_selectorIdlEEZNS1_25segmented_radix_sort_implIS3_Lb1EPKdPdPKlPlN2at6native12_GLOBAL__N_18offset_tEEE10hipError_tPvRmT1_PNSt15iterator_traitsISK_E10value_typeET2_T3_PNSL_ISQ_E10value_typeET4_jRbjT5_SW_jjP12ihipStream_tbEUlT_E1_NS1_11comp_targetILNS1_3genE8ELNS1_11target_archE1030ELNS1_3gpuE2ELNS1_3repE0EEENS1_59segmented_radix_sort_warp_sort_small_config_static_selectorELNS0_4arch9wavefront6targetE0EEEvSK_
		.amdhsa_group_segment_fixed_size 0
		.amdhsa_private_segment_fixed_size 0
		.amdhsa_kernarg_size 88
		.amdhsa_user_sgpr_count 15
		.amdhsa_user_sgpr_dispatch_ptr 0
		.amdhsa_user_sgpr_queue_ptr 0
		.amdhsa_user_sgpr_kernarg_segment_ptr 1
		.amdhsa_user_sgpr_dispatch_id 0
		.amdhsa_user_sgpr_private_segment_size 0
		.amdhsa_wavefront_size32 1
		.amdhsa_uses_dynamic_stack 0
		.amdhsa_enable_private_segment 0
		.amdhsa_system_sgpr_workgroup_id_x 1
		.amdhsa_system_sgpr_workgroup_id_y 0
		.amdhsa_system_sgpr_workgroup_id_z 0
		.amdhsa_system_sgpr_workgroup_info 0
		.amdhsa_system_vgpr_workitem_id 0
		.amdhsa_next_free_vgpr 1
		.amdhsa_next_free_sgpr 1
		.amdhsa_reserve_vcc 0
		.amdhsa_float_round_mode_32 0
		.amdhsa_float_round_mode_16_64 0
		.amdhsa_float_denorm_mode_32 3
		.amdhsa_float_denorm_mode_16_64 3
		.amdhsa_dx10_clamp 1
		.amdhsa_ieee_mode 1
		.amdhsa_fp16_overflow 0
		.amdhsa_workgroup_processor_mode 1
		.amdhsa_memory_ordered 1
		.amdhsa_forward_progress 0
		.amdhsa_shared_vgpr_count 0
		.amdhsa_exception_fp_ieee_invalid_op 0
		.amdhsa_exception_fp_denorm_src 0
		.amdhsa_exception_fp_ieee_div_zero 0
		.amdhsa_exception_fp_ieee_overflow 0
		.amdhsa_exception_fp_ieee_underflow 0
		.amdhsa_exception_fp_ieee_inexact 0
		.amdhsa_exception_int_div_zero 0
	.end_amdhsa_kernel
	.section	.text._ZN7rocprim17ROCPRIM_400000_NS6detail17trampoline_kernelINS0_14default_configENS1_36segmented_radix_sort_config_selectorIdlEEZNS1_25segmented_radix_sort_implIS3_Lb1EPKdPdPKlPlN2at6native12_GLOBAL__N_18offset_tEEE10hipError_tPvRmT1_PNSt15iterator_traitsISK_E10value_typeET2_T3_PNSL_ISQ_E10value_typeET4_jRbjT5_SW_jjP12ihipStream_tbEUlT_E1_NS1_11comp_targetILNS1_3genE8ELNS1_11target_archE1030ELNS1_3gpuE2ELNS1_3repE0EEENS1_59segmented_radix_sort_warp_sort_small_config_static_selectorELNS0_4arch9wavefront6targetE0EEEvSK_,"axG",@progbits,_ZN7rocprim17ROCPRIM_400000_NS6detail17trampoline_kernelINS0_14default_configENS1_36segmented_radix_sort_config_selectorIdlEEZNS1_25segmented_radix_sort_implIS3_Lb1EPKdPdPKlPlN2at6native12_GLOBAL__N_18offset_tEEE10hipError_tPvRmT1_PNSt15iterator_traitsISK_E10value_typeET2_T3_PNSL_ISQ_E10value_typeET4_jRbjT5_SW_jjP12ihipStream_tbEUlT_E1_NS1_11comp_targetILNS1_3genE8ELNS1_11target_archE1030ELNS1_3gpuE2ELNS1_3repE0EEENS1_59segmented_radix_sort_warp_sort_small_config_static_selectorELNS0_4arch9wavefront6targetE0EEEvSK_,comdat
.Lfunc_end1147:
	.size	_ZN7rocprim17ROCPRIM_400000_NS6detail17trampoline_kernelINS0_14default_configENS1_36segmented_radix_sort_config_selectorIdlEEZNS1_25segmented_radix_sort_implIS3_Lb1EPKdPdPKlPlN2at6native12_GLOBAL__N_18offset_tEEE10hipError_tPvRmT1_PNSt15iterator_traitsISK_E10value_typeET2_T3_PNSL_ISQ_E10value_typeET4_jRbjT5_SW_jjP12ihipStream_tbEUlT_E1_NS1_11comp_targetILNS1_3genE8ELNS1_11target_archE1030ELNS1_3gpuE2ELNS1_3repE0EEENS1_59segmented_radix_sort_warp_sort_small_config_static_selectorELNS0_4arch9wavefront6targetE0EEEvSK_, .Lfunc_end1147-_ZN7rocprim17ROCPRIM_400000_NS6detail17trampoline_kernelINS0_14default_configENS1_36segmented_radix_sort_config_selectorIdlEEZNS1_25segmented_radix_sort_implIS3_Lb1EPKdPdPKlPlN2at6native12_GLOBAL__N_18offset_tEEE10hipError_tPvRmT1_PNSt15iterator_traitsISK_E10value_typeET2_T3_PNSL_ISQ_E10value_typeET4_jRbjT5_SW_jjP12ihipStream_tbEUlT_E1_NS1_11comp_targetILNS1_3genE8ELNS1_11target_archE1030ELNS1_3gpuE2ELNS1_3repE0EEENS1_59segmented_radix_sort_warp_sort_small_config_static_selectorELNS0_4arch9wavefront6targetE0EEEvSK_
                                        ; -- End function
	.section	.AMDGPU.csdata,"",@progbits
; Kernel info:
; codeLenInByte = 0
; NumSgprs: 0
; NumVgprs: 0
; ScratchSize: 0
; MemoryBound: 0
; FloatMode: 240
; IeeeMode: 1
; LDSByteSize: 0 bytes/workgroup (compile time only)
; SGPRBlocks: 0
; VGPRBlocks: 0
; NumSGPRsForWavesPerEU: 1
; NumVGPRsForWavesPerEU: 1
; Occupancy: 16
; WaveLimiterHint : 0
; COMPUTE_PGM_RSRC2:SCRATCH_EN: 0
; COMPUTE_PGM_RSRC2:USER_SGPR: 15
; COMPUTE_PGM_RSRC2:TRAP_HANDLER: 0
; COMPUTE_PGM_RSRC2:TGID_X_EN: 1
; COMPUTE_PGM_RSRC2:TGID_Y_EN: 0
; COMPUTE_PGM_RSRC2:TGID_Z_EN: 0
; COMPUTE_PGM_RSRC2:TIDIG_COMP_CNT: 0
	.section	.text._ZN7rocprim17ROCPRIM_400000_NS6detail17trampoline_kernelINS0_14default_configENS1_36segmented_radix_sort_config_selectorIdlEEZNS1_25segmented_radix_sort_implIS3_Lb1EPKdPdPKlPlN2at6native12_GLOBAL__N_18offset_tEEE10hipError_tPvRmT1_PNSt15iterator_traitsISK_E10value_typeET2_T3_PNSL_ISQ_E10value_typeET4_jRbjT5_SW_jjP12ihipStream_tbEUlT_E2_NS1_11comp_targetILNS1_3genE0ELNS1_11target_archE4294967295ELNS1_3gpuE0ELNS1_3repE0EEENS1_30default_config_static_selectorELNS0_4arch9wavefront6targetE0EEEvSK_,"axG",@progbits,_ZN7rocprim17ROCPRIM_400000_NS6detail17trampoline_kernelINS0_14default_configENS1_36segmented_radix_sort_config_selectorIdlEEZNS1_25segmented_radix_sort_implIS3_Lb1EPKdPdPKlPlN2at6native12_GLOBAL__N_18offset_tEEE10hipError_tPvRmT1_PNSt15iterator_traitsISK_E10value_typeET2_T3_PNSL_ISQ_E10value_typeET4_jRbjT5_SW_jjP12ihipStream_tbEUlT_E2_NS1_11comp_targetILNS1_3genE0ELNS1_11target_archE4294967295ELNS1_3gpuE0ELNS1_3repE0EEENS1_30default_config_static_selectorELNS0_4arch9wavefront6targetE0EEEvSK_,comdat
	.globl	_ZN7rocprim17ROCPRIM_400000_NS6detail17trampoline_kernelINS0_14default_configENS1_36segmented_radix_sort_config_selectorIdlEEZNS1_25segmented_radix_sort_implIS3_Lb1EPKdPdPKlPlN2at6native12_GLOBAL__N_18offset_tEEE10hipError_tPvRmT1_PNSt15iterator_traitsISK_E10value_typeET2_T3_PNSL_ISQ_E10value_typeET4_jRbjT5_SW_jjP12ihipStream_tbEUlT_E2_NS1_11comp_targetILNS1_3genE0ELNS1_11target_archE4294967295ELNS1_3gpuE0ELNS1_3repE0EEENS1_30default_config_static_selectorELNS0_4arch9wavefront6targetE0EEEvSK_ ; -- Begin function _ZN7rocprim17ROCPRIM_400000_NS6detail17trampoline_kernelINS0_14default_configENS1_36segmented_radix_sort_config_selectorIdlEEZNS1_25segmented_radix_sort_implIS3_Lb1EPKdPdPKlPlN2at6native12_GLOBAL__N_18offset_tEEE10hipError_tPvRmT1_PNSt15iterator_traitsISK_E10value_typeET2_T3_PNSL_ISQ_E10value_typeET4_jRbjT5_SW_jjP12ihipStream_tbEUlT_E2_NS1_11comp_targetILNS1_3genE0ELNS1_11target_archE4294967295ELNS1_3gpuE0ELNS1_3repE0EEENS1_30default_config_static_selectorELNS0_4arch9wavefront6targetE0EEEvSK_
	.p2align	8
	.type	_ZN7rocprim17ROCPRIM_400000_NS6detail17trampoline_kernelINS0_14default_configENS1_36segmented_radix_sort_config_selectorIdlEEZNS1_25segmented_radix_sort_implIS3_Lb1EPKdPdPKlPlN2at6native12_GLOBAL__N_18offset_tEEE10hipError_tPvRmT1_PNSt15iterator_traitsISK_E10value_typeET2_T3_PNSL_ISQ_E10value_typeET4_jRbjT5_SW_jjP12ihipStream_tbEUlT_E2_NS1_11comp_targetILNS1_3genE0ELNS1_11target_archE4294967295ELNS1_3gpuE0ELNS1_3repE0EEENS1_30default_config_static_selectorELNS0_4arch9wavefront6targetE0EEEvSK_,@function
_ZN7rocprim17ROCPRIM_400000_NS6detail17trampoline_kernelINS0_14default_configENS1_36segmented_radix_sort_config_selectorIdlEEZNS1_25segmented_radix_sort_implIS3_Lb1EPKdPdPKlPlN2at6native12_GLOBAL__N_18offset_tEEE10hipError_tPvRmT1_PNSt15iterator_traitsISK_E10value_typeET2_T3_PNSL_ISQ_E10value_typeET4_jRbjT5_SW_jjP12ihipStream_tbEUlT_E2_NS1_11comp_targetILNS1_3genE0ELNS1_11target_archE4294967295ELNS1_3gpuE0ELNS1_3repE0EEENS1_30default_config_static_selectorELNS0_4arch9wavefront6targetE0EEEvSK_: ; @_ZN7rocprim17ROCPRIM_400000_NS6detail17trampoline_kernelINS0_14default_configENS1_36segmented_radix_sort_config_selectorIdlEEZNS1_25segmented_radix_sort_implIS3_Lb1EPKdPdPKlPlN2at6native12_GLOBAL__N_18offset_tEEE10hipError_tPvRmT1_PNSt15iterator_traitsISK_E10value_typeET2_T3_PNSL_ISQ_E10value_typeET4_jRbjT5_SW_jjP12ihipStream_tbEUlT_E2_NS1_11comp_targetILNS1_3genE0ELNS1_11target_archE4294967295ELNS1_3gpuE0ELNS1_3repE0EEENS1_30default_config_static_selectorELNS0_4arch9wavefront6targetE0EEEvSK_
; %bb.0:
	.section	.rodata,"a",@progbits
	.p2align	6, 0x0
	.amdhsa_kernel _ZN7rocprim17ROCPRIM_400000_NS6detail17trampoline_kernelINS0_14default_configENS1_36segmented_radix_sort_config_selectorIdlEEZNS1_25segmented_radix_sort_implIS3_Lb1EPKdPdPKlPlN2at6native12_GLOBAL__N_18offset_tEEE10hipError_tPvRmT1_PNSt15iterator_traitsISK_E10value_typeET2_T3_PNSL_ISQ_E10value_typeET4_jRbjT5_SW_jjP12ihipStream_tbEUlT_E2_NS1_11comp_targetILNS1_3genE0ELNS1_11target_archE4294967295ELNS1_3gpuE0ELNS1_3repE0EEENS1_30default_config_static_selectorELNS0_4arch9wavefront6targetE0EEEvSK_
		.amdhsa_group_segment_fixed_size 0
		.amdhsa_private_segment_fixed_size 0
		.amdhsa_kernarg_size 80
		.amdhsa_user_sgpr_count 15
		.amdhsa_user_sgpr_dispatch_ptr 0
		.amdhsa_user_sgpr_queue_ptr 0
		.amdhsa_user_sgpr_kernarg_segment_ptr 1
		.amdhsa_user_sgpr_dispatch_id 0
		.amdhsa_user_sgpr_private_segment_size 0
		.amdhsa_wavefront_size32 1
		.amdhsa_uses_dynamic_stack 0
		.amdhsa_enable_private_segment 0
		.amdhsa_system_sgpr_workgroup_id_x 1
		.amdhsa_system_sgpr_workgroup_id_y 0
		.amdhsa_system_sgpr_workgroup_id_z 0
		.amdhsa_system_sgpr_workgroup_info 0
		.amdhsa_system_vgpr_workitem_id 0
		.amdhsa_next_free_vgpr 1
		.amdhsa_next_free_sgpr 1
		.amdhsa_reserve_vcc 0
		.amdhsa_float_round_mode_32 0
		.amdhsa_float_round_mode_16_64 0
		.amdhsa_float_denorm_mode_32 3
		.amdhsa_float_denorm_mode_16_64 3
		.amdhsa_dx10_clamp 1
		.amdhsa_ieee_mode 1
		.amdhsa_fp16_overflow 0
		.amdhsa_workgroup_processor_mode 1
		.amdhsa_memory_ordered 1
		.amdhsa_forward_progress 0
		.amdhsa_shared_vgpr_count 0
		.amdhsa_exception_fp_ieee_invalid_op 0
		.amdhsa_exception_fp_denorm_src 0
		.amdhsa_exception_fp_ieee_div_zero 0
		.amdhsa_exception_fp_ieee_overflow 0
		.amdhsa_exception_fp_ieee_underflow 0
		.amdhsa_exception_fp_ieee_inexact 0
		.amdhsa_exception_int_div_zero 0
	.end_amdhsa_kernel
	.section	.text._ZN7rocprim17ROCPRIM_400000_NS6detail17trampoline_kernelINS0_14default_configENS1_36segmented_radix_sort_config_selectorIdlEEZNS1_25segmented_radix_sort_implIS3_Lb1EPKdPdPKlPlN2at6native12_GLOBAL__N_18offset_tEEE10hipError_tPvRmT1_PNSt15iterator_traitsISK_E10value_typeET2_T3_PNSL_ISQ_E10value_typeET4_jRbjT5_SW_jjP12ihipStream_tbEUlT_E2_NS1_11comp_targetILNS1_3genE0ELNS1_11target_archE4294967295ELNS1_3gpuE0ELNS1_3repE0EEENS1_30default_config_static_selectorELNS0_4arch9wavefront6targetE0EEEvSK_,"axG",@progbits,_ZN7rocprim17ROCPRIM_400000_NS6detail17trampoline_kernelINS0_14default_configENS1_36segmented_radix_sort_config_selectorIdlEEZNS1_25segmented_radix_sort_implIS3_Lb1EPKdPdPKlPlN2at6native12_GLOBAL__N_18offset_tEEE10hipError_tPvRmT1_PNSt15iterator_traitsISK_E10value_typeET2_T3_PNSL_ISQ_E10value_typeET4_jRbjT5_SW_jjP12ihipStream_tbEUlT_E2_NS1_11comp_targetILNS1_3genE0ELNS1_11target_archE4294967295ELNS1_3gpuE0ELNS1_3repE0EEENS1_30default_config_static_selectorELNS0_4arch9wavefront6targetE0EEEvSK_,comdat
.Lfunc_end1148:
	.size	_ZN7rocprim17ROCPRIM_400000_NS6detail17trampoline_kernelINS0_14default_configENS1_36segmented_radix_sort_config_selectorIdlEEZNS1_25segmented_radix_sort_implIS3_Lb1EPKdPdPKlPlN2at6native12_GLOBAL__N_18offset_tEEE10hipError_tPvRmT1_PNSt15iterator_traitsISK_E10value_typeET2_T3_PNSL_ISQ_E10value_typeET4_jRbjT5_SW_jjP12ihipStream_tbEUlT_E2_NS1_11comp_targetILNS1_3genE0ELNS1_11target_archE4294967295ELNS1_3gpuE0ELNS1_3repE0EEENS1_30default_config_static_selectorELNS0_4arch9wavefront6targetE0EEEvSK_, .Lfunc_end1148-_ZN7rocprim17ROCPRIM_400000_NS6detail17trampoline_kernelINS0_14default_configENS1_36segmented_radix_sort_config_selectorIdlEEZNS1_25segmented_radix_sort_implIS3_Lb1EPKdPdPKlPlN2at6native12_GLOBAL__N_18offset_tEEE10hipError_tPvRmT1_PNSt15iterator_traitsISK_E10value_typeET2_T3_PNSL_ISQ_E10value_typeET4_jRbjT5_SW_jjP12ihipStream_tbEUlT_E2_NS1_11comp_targetILNS1_3genE0ELNS1_11target_archE4294967295ELNS1_3gpuE0ELNS1_3repE0EEENS1_30default_config_static_selectorELNS0_4arch9wavefront6targetE0EEEvSK_
                                        ; -- End function
	.section	.AMDGPU.csdata,"",@progbits
; Kernel info:
; codeLenInByte = 0
; NumSgprs: 0
; NumVgprs: 0
; ScratchSize: 0
; MemoryBound: 0
; FloatMode: 240
; IeeeMode: 1
; LDSByteSize: 0 bytes/workgroup (compile time only)
; SGPRBlocks: 0
; VGPRBlocks: 0
; NumSGPRsForWavesPerEU: 1
; NumVGPRsForWavesPerEU: 1
; Occupancy: 16
; WaveLimiterHint : 0
; COMPUTE_PGM_RSRC2:SCRATCH_EN: 0
; COMPUTE_PGM_RSRC2:USER_SGPR: 15
; COMPUTE_PGM_RSRC2:TRAP_HANDLER: 0
; COMPUTE_PGM_RSRC2:TGID_X_EN: 1
; COMPUTE_PGM_RSRC2:TGID_Y_EN: 0
; COMPUTE_PGM_RSRC2:TGID_Z_EN: 0
; COMPUTE_PGM_RSRC2:TIDIG_COMP_CNT: 0
	.section	.text._ZN7rocprim17ROCPRIM_400000_NS6detail17trampoline_kernelINS0_14default_configENS1_36segmented_radix_sort_config_selectorIdlEEZNS1_25segmented_radix_sort_implIS3_Lb1EPKdPdPKlPlN2at6native12_GLOBAL__N_18offset_tEEE10hipError_tPvRmT1_PNSt15iterator_traitsISK_E10value_typeET2_T3_PNSL_ISQ_E10value_typeET4_jRbjT5_SW_jjP12ihipStream_tbEUlT_E2_NS1_11comp_targetILNS1_3genE5ELNS1_11target_archE942ELNS1_3gpuE9ELNS1_3repE0EEENS1_30default_config_static_selectorELNS0_4arch9wavefront6targetE0EEEvSK_,"axG",@progbits,_ZN7rocprim17ROCPRIM_400000_NS6detail17trampoline_kernelINS0_14default_configENS1_36segmented_radix_sort_config_selectorIdlEEZNS1_25segmented_radix_sort_implIS3_Lb1EPKdPdPKlPlN2at6native12_GLOBAL__N_18offset_tEEE10hipError_tPvRmT1_PNSt15iterator_traitsISK_E10value_typeET2_T3_PNSL_ISQ_E10value_typeET4_jRbjT5_SW_jjP12ihipStream_tbEUlT_E2_NS1_11comp_targetILNS1_3genE5ELNS1_11target_archE942ELNS1_3gpuE9ELNS1_3repE0EEENS1_30default_config_static_selectorELNS0_4arch9wavefront6targetE0EEEvSK_,comdat
	.globl	_ZN7rocprim17ROCPRIM_400000_NS6detail17trampoline_kernelINS0_14default_configENS1_36segmented_radix_sort_config_selectorIdlEEZNS1_25segmented_radix_sort_implIS3_Lb1EPKdPdPKlPlN2at6native12_GLOBAL__N_18offset_tEEE10hipError_tPvRmT1_PNSt15iterator_traitsISK_E10value_typeET2_T3_PNSL_ISQ_E10value_typeET4_jRbjT5_SW_jjP12ihipStream_tbEUlT_E2_NS1_11comp_targetILNS1_3genE5ELNS1_11target_archE942ELNS1_3gpuE9ELNS1_3repE0EEENS1_30default_config_static_selectorELNS0_4arch9wavefront6targetE0EEEvSK_ ; -- Begin function _ZN7rocprim17ROCPRIM_400000_NS6detail17trampoline_kernelINS0_14default_configENS1_36segmented_radix_sort_config_selectorIdlEEZNS1_25segmented_radix_sort_implIS3_Lb1EPKdPdPKlPlN2at6native12_GLOBAL__N_18offset_tEEE10hipError_tPvRmT1_PNSt15iterator_traitsISK_E10value_typeET2_T3_PNSL_ISQ_E10value_typeET4_jRbjT5_SW_jjP12ihipStream_tbEUlT_E2_NS1_11comp_targetILNS1_3genE5ELNS1_11target_archE942ELNS1_3gpuE9ELNS1_3repE0EEENS1_30default_config_static_selectorELNS0_4arch9wavefront6targetE0EEEvSK_
	.p2align	8
	.type	_ZN7rocprim17ROCPRIM_400000_NS6detail17trampoline_kernelINS0_14default_configENS1_36segmented_radix_sort_config_selectorIdlEEZNS1_25segmented_radix_sort_implIS3_Lb1EPKdPdPKlPlN2at6native12_GLOBAL__N_18offset_tEEE10hipError_tPvRmT1_PNSt15iterator_traitsISK_E10value_typeET2_T3_PNSL_ISQ_E10value_typeET4_jRbjT5_SW_jjP12ihipStream_tbEUlT_E2_NS1_11comp_targetILNS1_3genE5ELNS1_11target_archE942ELNS1_3gpuE9ELNS1_3repE0EEENS1_30default_config_static_selectorELNS0_4arch9wavefront6targetE0EEEvSK_,@function
_ZN7rocprim17ROCPRIM_400000_NS6detail17trampoline_kernelINS0_14default_configENS1_36segmented_radix_sort_config_selectorIdlEEZNS1_25segmented_radix_sort_implIS3_Lb1EPKdPdPKlPlN2at6native12_GLOBAL__N_18offset_tEEE10hipError_tPvRmT1_PNSt15iterator_traitsISK_E10value_typeET2_T3_PNSL_ISQ_E10value_typeET4_jRbjT5_SW_jjP12ihipStream_tbEUlT_E2_NS1_11comp_targetILNS1_3genE5ELNS1_11target_archE942ELNS1_3gpuE9ELNS1_3repE0EEENS1_30default_config_static_selectorELNS0_4arch9wavefront6targetE0EEEvSK_: ; @_ZN7rocprim17ROCPRIM_400000_NS6detail17trampoline_kernelINS0_14default_configENS1_36segmented_radix_sort_config_selectorIdlEEZNS1_25segmented_radix_sort_implIS3_Lb1EPKdPdPKlPlN2at6native12_GLOBAL__N_18offset_tEEE10hipError_tPvRmT1_PNSt15iterator_traitsISK_E10value_typeET2_T3_PNSL_ISQ_E10value_typeET4_jRbjT5_SW_jjP12ihipStream_tbEUlT_E2_NS1_11comp_targetILNS1_3genE5ELNS1_11target_archE942ELNS1_3gpuE9ELNS1_3repE0EEENS1_30default_config_static_selectorELNS0_4arch9wavefront6targetE0EEEvSK_
; %bb.0:
	.section	.rodata,"a",@progbits
	.p2align	6, 0x0
	.amdhsa_kernel _ZN7rocprim17ROCPRIM_400000_NS6detail17trampoline_kernelINS0_14default_configENS1_36segmented_radix_sort_config_selectorIdlEEZNS1_25segmented_radix_sort_implIS3_Lb1EPKdPdPKlPlN2at6native12_GLOBAL__N_18offset_tEEE10hipError_tPvRmT1_PNSt15iterator_traitsISK_E10value_typeET2_T3_PNSL_ISQ_E10value_typeET4_jRbjT5_SW_jjP12ihipStream_tbEUlT_E2_NS1_11comp_targetILNS1_3genE5ELNS1_11target_archE942ELNS1_3gpuE9ELNS1_3repE0EEENS1_30default_config_static_selectorELNS0_4arch9wavefront6targetE0EEEvSK_
		.amdhsa_group_segment_fixed_size 0
		.amdhsa_private_segment_fixed_size 0
		.amdhsa_kernarg_size 80
		.amdhsa_user_sgpr_count 15
		.amdhsa_user_sgpr_dispatch_ptr 0
		.amdhsa_user_sgpr_queue_ptr 0
		.amdhsa_user_sgpr_kernarg_segment_ptr 1
		.amdhsa_user_sgpr_dispatch_id 0
		.amdhsa_user_sgpr_private_segment_size 0
		.amdhsa_wavefront_size32 1
		.amdhsa_uses_dynamic_stack 0
		.amdhsa_enable_private_segment 0
		.amdhsa_system_sgpr_workgroup_id_x 1
		.amdhsa_system_sgpr_workgroup_id_y 0
		.amdhsa_system_sgpr_workgroup_id_z 0
		.amdhsa_system_sgpr_workgroup_info 0
		.amdhsa_system_vgpr_workitem_id 0
		.amdhsa_next_free_vgpr 1
		.amdhsa_next_free_sgpr 1
		.amdhsa_reserve_vcc 0
		.amdhsa_float_round_mode_32 0
		.amdhsa_float_round_mode_16_64 0
		.amdhsa_float_denorm_mode_32 3
		.amdhsa_float_denorm_mode_16_64 3
		.amdhsa_dx10_clamp 1
		.amdhsa_ieee_mode 1
		.amdhsa_fp16_overflow 0
		.amdhsa_workgroup_processor_mode 1
		.amdhsa_memory_ordered 1
		.amdhsa_forward_progress 0
		.amdhsa_shared_vgpr_count 0
		.amdhsa_exception_fp_ieee_invalid_op 0
		.amdhsa_exception_fp_denorm_src 0
		.amdhsa_exception_fp_ieee_div_zero 0
		.amdhsa_exception_fp_ieee_overflow 0
		.amdhsa_exception_fp_ieee_underflow 0
		.amdhsa_exception_fp_ieee_inexact 0
		.amdhsa_exception_int_div_zero 0
	.end_amdhsa_kernel
	.section	.text._ZN7rocprim17ROCPRIM_400000_NS6detail17trampoline_kernelINS0_14default_configENS1_36segmented_radix_sort_config_selectorIdlEEZNS1_25segmented_radix_sort_implIS3_Lb1EPKdPdPKlPlN2at6native12_GLOBAL__N_18offset_tEEE10hipError_tPvRmT1_PNSt15iterator_traitsISK_E10value_typeET2_T3_PNSL_ISQ_E10value_typeET4_jRbjT5_SW_jjP12ihipStream_tbEUlT_E2_NS1_11comp_targetILNS1_3genE5ELNS1_11target_archE942ELNS1_3gpuE9ELNS1_3repE0EEENS1_30default_config_static_selectorELNS0_4arch9wavefront6targetE0EEEvSK_,"axG",@progbits,_ZN7rocprim17ROCPRIM_400000_NS6detail17trampoline_kernelINS0_14default_configENS1_36segmented_radix_sort_config_selectorIdlEEZNS1_25segmented_radix_sort_implIS3_Lb1EPKdPdPKlPlN2at6native12_GLOBAL__N_18offset_tEEE10hipError_tPvRmT1_PNSt15iterator_traitsISK_E10value_typeET2_T3_PNSL_ISQ_E10value_typeET4_jRbjT5_SW_jjP12ihipStream_tbEUlT_E2_NS1_11comp_targetILNS1_3genE5ELNS1_11target_archE942ELNS1_3gpuE9ELNS1_3repE0EEENS1_30default_config_static_selectorELNS0_4arch9wavefront6targetE0EEEvSK_,comdat
.Lfunc_end1149:
	.size	_ZN7rocprim17ROCPRIM_400000_NS6detail17trampoline_kernelINS0_14default_configENS1_36segmented_radix_sort_config_selectorIdlEEZNS1_25segmented_radix_sort_implIS3_Lb1EPKdPdPKlPlN2at6native12_GLOBAL__N_18offset_tEEE10hipError_tPvRmT1_PNSt15iterator_traitsISK_E10value_typeET2_T3_PNSL_ISQ_E10value_typeET4_jRbjT5_SW_jjP12ihipStream_tbEUlT_E2_NS1_11comp_targetILNS1_3genE5ELNS1_11target_archE942ELNS1_3gpuE9ELNS1_3repE0EEENS1_30default_config_static_selectorELNS0_4arch9wavefront6targetE0EEEvSK_, .Lfunc_end1149-_ZN7rocprim17ROCPRIM_400000_NS6detail17trampoline_kernelINS0_14default_configENS1_36segmented_radix_sort_config_selectorIdlEEZNS1_25segmented_radix_sort_implIS3_Lb1EPKdPdPKlPlN2at6native12_GLOBAL__N_18offset_tEEE10hipError_tPvRmT1_PNSt15iterator_traitsISK_E10value_typeET2_T3_PNSL_ISQ_E10value_typeET4_jRbjT5_SW_jjP12ihipStream_tbEUlT_E2_NS1_11comp_targetILNS1_3genE5ELNS1_11target_archE942ELNS1_3gpuE9ELNS1_3repE0EEENS1_30default_config_static_selectorELNS0_4arch9wavefront6targetE0EEEvSK_
                                        ; -- End function
	.section	.AMDGPU.csdata,"",@progbits
; Kernel info:
; codeLenInByte = 0
; NumSgprs: 0
; NumVgprs: 0
; ScratchSize: 0
; MemoryBound: 0
; FloatMode: 240
; IeeeMode: 1
; LDSByteSize: 0 bytes/workgroup (compile time only)
; SGPRBlocks: 0
; VGPRBlocks: 0
; NumSGPRsForWavesPerEU: 1
; NumVGPRsForWavesPerEU: 1
; Occupancy: 16
; WaveLimiterHint : 0
; COMPUTE_PGM_RSRC2:SCRATCH_EN: 0
; COMPUTE_PGM_RSRC2:USER_SGPR: 15
; COMPUTE_PGM_RSRC2:TRAP_HANDLER: 0
; COMPUTE_PGM_RSRC2:TGID_X_EN: 1
; COMPUTE_PGM_RSRC2:TGID_Y_EN: 0
; COMPUTE_PGM_RSRC2:TGID_Z_EN: 0
; COMPUTE_PGM_RSRC2:TIDIG_COMP_CNT: 0
	.section	.text._ZN7rocprim17ROCPRIM_400000_NS6detail17trampoline_kernelINS0_14default_configENS1_36segmented_radix_sort_config_selectorIdlEEZNS1_25segmented_radix_sort_implIS3_Lb1EPKdPdPKlPlN2at6native12_GLOBAL__N_18offset_tEEE10hipError_tPvRmT1_PNSt15iterator_traitsISK_E10value_typeET2_T3_PNSL_ISQ_E10value_typeET4_jRbjT5_SW_jjP12ihipStream_tbEUlT_E2_NS1_11comp_targetILNS1_3genE4ELNS1_11target_archE910ELNS1_3gpuE8ELNS1_3repE0EEENS1_30default_config_static_selectorELNS0_4arch9wavefront6targetE0EEEvSK_,"axG",@progbits,_ZN7rocprim17ROCPRIM_400000_NS6detail17trampoline_kernelINS0_14default_configENS1_36segmented_radix_sort_config_selectorIdlEEZNS1_25segmented_radix_sort_implIS3_Lb1EPKdPdPKlPlN2at6native12_GLOBAL__N_18offset_tEEE10hipError_tPvRmT1_PNSt15iterator_traitsISK_E10value_typeET2_T3_PNSL_ISQ_E10value_typeET4_jRbjT5_SW_jjP12ihipStream_tbEUlT_E2_NS1_11comp_targetILNS1_3genE4ELNS1_11target_archE910ELNS1_3gpuE8ELNS1_3repE0EEENS1_30default_config_static_selectorELNS0_4arch9wavefront6targetE0EEEvSK_,comdat
	.globl	_ZN7rocprim17ROCPRIM_400000_NS6detail17trampoline_kernelINS0_14default_configENS1_36segmented_radix_sort_config_selectorIdlEEZNS1_25segmented_radix_sort_implIS3_Lb1EPKdPdPKlPlN2at6native12_GLOBAL__N_18offset_tEEE10hipError_tPvRmT1_PNSt15iterator_traitsISK_E10value_typeET2_T3_PNSL_ISQ_E10value_typeET4_jRbjT5_SW_jjP12ihipStream_tbEUlT_E2_NS1_11comp_targetILNS1_3genE4ELNS1_11target_archE910ELNS1_3gpuE8ELNS1_3repE0EEENS1_30default_config_static_selectorELNS0_4arch9wavefront6targetE0EEEvSK_ ; -- Begin function _ZN7rocprim17ROCPRIM_400000_NS6detail17trampoline_kernelINS0_14default_configENS1_36segmented_radix_sort_config_selectorIdlEEZNS1_25segmented_radix_sort_implIS3_Lb1EPKdPdPKlPlN2at6native12_GLOBAL__N_18offset_tEEE10hipError_tPvRmT1_PNSt15iterator_traitsISK_E10value_typeET2_T3_PNSL_ISQ_E10value_typeET4_jRbjT5_SW_jjP12ihipStream_tbEUlT_E2_NS1_11comp_targetILNS1_3genE4ELNS1_11target_archE910ELNS1_3gpuE8ELNS1_3repE0EEENS1_30default_config_static_selectorELNS0_4arch9wavefront6targetE0EEEvSK_
	.p2align	8
	.type	_ZN7rocprim17ROCPRIM_400000_NS6detail17trampoline_kernelINS0_14default_configENS1_36segmented_radix_sort_config_selectorIdlEEZNS1_25segmented_radix_sort_implIS3_Lb1EPKdPdPKlPlN2at6native12_GLOBAL__N_18offset_tEEE10hipError_tPvRmT1_PNSt15iterator_traitsISK_E10value_typeET2_T3_PNSL_ISQ_E10value_typeET4_jRbjT5_SW_jjP12ihipStream_tbEUlT_E2_NS1_11comp_targetILNS1_3genE4ELNS1_11target_archE910ELNS1_3gpuE8ELNS1_3repE0EEENS1_30default_config_static_selectorELNS0_4arch9wavefront6targetE0EEEvSK_,@function
_ZN7rocprim17ROCPRIM_400000_NS6detail17trampoline_kernelINS0_14default_configENS1_36segmented_radix_sort_config_selectorIdlEEZNS1_25segmented_radix_sort_implIS3_Lb1EPKdPdPKlPlN2at6native12_GLOBAL__N_18offset_tEEE10hipError_tPvRmT1_PNSt15iterator_traitsISK_E10value_typeET2_T3_PNSL_ISQ_E10value_typeET4_jRbjT5_SW_jjP12ihipStream_tbEUlT_E2_NS1_11comp_targetILNS1_3genE4ELNS1_11target_archE910ELNS1_3gpuE8ELNS1_3repE0EEENS1_30default_config_static_selectorELNS0_4arch9wavefront6targetE0EEEvSK_: ; @_ZN7rocprim17ROCPRIM_400000_NS6detail17trampoline_kernelINS0_14default_configENS1_36segmented_radix_sort_config_selectorIdlEEZNS1_25segmented_radix_sort_implIS3_Lb1EPKdPdPKlPlN2at6native12_GLOBAL__N_18offset_tEEE10hipError_tPvRmT1_PNSt15iterator_traitsISK_E10value_typeET2_T3_PNSL_ISQ_E10value_typeET4_jRbjT5_SW_jjP12ihipStream_tbEUlT_E2_NS1_11comp_targetILNS1_3genE4ELNS1_11target_archE910ELNS1_3gpuE8ELNS1_3repE0EEENS1_30default_config_static_selectorELNS0_4arch9wavefront6targetE0EEEvSK_
; %bb.0:
	.section	.rodata,"a",@progbits
	.p2align	6, 0x0
	.amdhsa_kernel _ZN7rocprim17ROCPRIM_400000_NS6detail17trampoline_kernelINS0_14default_configENS1_36segmented_radix_sort_config_selectorIdlEEZNS1_25segmented_radix_sort_implIS3_Lb1EPKdPdPKlPlN2at6native12_GLOBAL__N_18offset_tEEE10hipError_tPvRmT1_PNSt15iterator_traitsISK_E10value_typeET2_T3_PNSL_ISQ_E10value_typeET4_jRbjT5_SW_jjP12ihipStream_tbEUlT_E2_NS1_11comp_targetILNS1_3genE4ELNS1_11target_archE910ELNS1_3gpuE8ELNS1_3repE0EEENS1_30default_config_static_selectorELNS0_4arch9wavefront6targetE0EEEvSK_
		.amdhsa_group_segment_fixed_size 0
		.amdhsa_private_segment_fixed_size 0
		.amdhsa_kernarg_size 80
		.amdhsa_user_sgpr_count 15
		.amdhsa_user_sgpr_dispatch_ptr 0
		.amdhsa_user_sgpr_queue_ptr 0
		.amdhsa_user_sgpr_kernarg_segment_ptr 1
		.amdhsa_user_sgpr_dispatch_id 0
		.amdhsa_user_sgpr_private_segment_size 0
		.amdhsa_wavefront_size32 1
		.amdhsa_uses_dynamic_stack 0
		.amdhsa_enable_private_segment 0
		.amdhsa_system_sgpr_workgroup_id_x 1
		.amdhsa_system_sgpr_workgroup_id_y 0
		.amdhsa_system_sgpr_workgroup_id_z 0
		.amdhsa_system_sgpr_workgroup_info 0
		.amdhsa_system_vgpr_workitem_id 0
		.amdhsa_next_free_vgpr 1
		.amdhsa_next_free_sgpr 1
		.amdhsa_reserve_vcc 0
		.amdhsa_float_round_mode_32 0
		.amdhsa_float_round_mode_16_64 0
		.amdhsa_float_denorm_mode_32 3
		.amdhsa_float_denorm_mode_16_64 3
		.amdhsa_dx10_clamp 1
		.amdhsa_ieee_mode 1
		.amdhsa_fp16_overflow 0
		.amdhsa_workgroup_processor_mode 1
		.amdhsa_memory_ordered 1
		.amdhsa_forward_progress 0
		.amdhsa_shared_vgpr_count 0
		.amdhsa_exception_fp_ieee_invalid_op 0
		.amdhsa_exception_fp_denorm_src 0
		.amdhsa_exception_fp_ieee_div_zero 0
		.amdhsa_exception_fp_ieee_overflow 0
		.amdhsa_exception_fp_ieee_underflow 0
		.amdhsa_exception_fp_ieee_inexact 0
		.amdhsa_exception_int_div_zero 0
	.end_amdhsa_kernel
	.section	.text._ZN7rocprim17ROCPRIM_400000_NS6detail17trampoline_kernelINS0_14default_configENS1_36segmented_radix_sort_config_selectorIdlEEZNS1_25segmented_radix_sort_implIS3_Lb1EPKdPdPKlPlN2at6native12_GLOBAL__N_18offset_tEEE10hipError_tPvRmT1_PNSt15iterator_traitsISK_E10value_typeET2_T3_PNSL_ISQ_E10value_typeET4_jRbjT5_SW_jjP12ihipStream_tbEUlT_E2_NS1_11comp_targetILNS1_3genE4ELNS1_11target_archE910ELNS1_3gpuE8ELNS1_3repE0EEENS1_30default_config_static_selectorELNS0_4arch9wavefront6targetE0EEEvSK_,"axG",@progbits,_ZN7rocprim17ROCPRIM_400000_NS6detail17trampoline_kernelINS0_14default_configENS1_36segmented_radix_sort_config_selectorIdlEEZNS1_25segmented_radix_sort_implIS3_Lb1EPKdPdPKlPlN2at6native12_GLOBAL__N_18offset_tEEE10hipError_tPvRmT1_PNSt15iterator_traitsISK_E10value_typeET2_T3_PNSL_ISQ_E10value_typeET4_jRbjT5_SW_jjP12ihipStream_tbEUlT_E2_NS1_11comp_targetILNS1_3genE4ELNS1_11target_archE910ELNS1_3gpuE8ELNS1_3repE0EEENS1_30default_config_static_selectorELNS0_4arch9wavefront6targetE0EEEvSK_,comdat
.Lfunc_end1150:
	.size	_ZN7rocprim17ROCPRIM_400000_NS6detail17trampoline_kernelINS0_14default_configENS1_36segmented_radix_sort_config_selectorIdlEEZNS1_25segmented_radix_sort_implIS3_Lb1EPKdPdPKlPlN2at6native12_GLOBAL__N_18offset_tEEE10hipError_tPvRmT1_PNSt15iterator_traitsISK_E10value_typeET2_T3_PNSL_ISQ_E10value_typeET4_jRbjT5_SW_jjP12ihipStream_tbEUlT_E2_NS1_11comp_targetILNS1_3genE4ELNS1_11target_archE910ELNS1_3gpuE8ELNS1_3repE0EEENS1_30default_config_static_selectorELNS0_4arch9wavefront6targetE0EEEvSK_, .Lfunc_end1150-_ZN7rocprim17ROCPRIM_400000_NS6detail17trampoline_kernelINS0_14default_configENS1_36segmented_radix_sort_config_selectorIdlEEZNS1_25segmented_radix_sort_implIS3_Lb1EPKdPdPKlPlN2at6native12_GLOBAL__N_18offset_tEEE10hipError_tPvRmT1_PNSt15iterator_traitsISK_E10value_typeET2_T3_PNSL_ISQ_E10value_typeET4_jRbjT5_SW_jjP12ihipStream_tbEUlT_E2_NS1_11comp_targetILNS1_3genE4ELNS1_11target_archE910ELNS1_3gpuE8ELNS1_3repE0EEENS1_30default_config_static_selectorELNS0_4arch9wavefront6targetE0EEEvSK_
                                        ; -- End function
	.section	.AMDGPU.csdata,"",@progbits
; Kernel info:
; codeLenInByte = 0
; NumSgprs: 0
; NumVgprs: 0
; ScratchSize: 0
; MemoryBound: 0
; FloatMode: 240
; IeeeMode: 1
; LDSByteSize: 0 bytes/workgroup (compile time only)
; SGPRBlocks: 0
; VGPRBlocks: 0
; NumSGPRsForWavesPerEU: 1
; NumVGPRsForWavesPerEU: 1
; Occupancy: 16
; WaveLimiterHint : 0
; COMPUTE_PGM_RSRC2:SCRATCH_EN: 0
; COMPUTE_PGM_RSRC2:USER_SGPR: 15
; COMPUTE_PGM_RSRC2:TRAP_HANDLER: 0
; COMPUTE_PGM_RSRC2:TGID_X_EN: 1
; COMPUTE_PGM_RSRC2:TGID_Y_EN: 0
; COMPUTE_PGM_RSRC2:TGID_Z_EN: 0
; COMPUTE_PGM_RSRC2:TIDIG_COMP_CNT: 0
	.section	.text._ZN7rocprim17ROCPRIM_400000_NS6detail17trampoline_kernelINS0_14default_configENS1_36segmented_radix_sort_config_selectorIdlEEZNS1_25segmented_radix_sort_implIS3_Lb1EPKdPdPKlPlN2at6native12_GLOBAL__N_18offset_tEEE10hipError_tPvRmT1_PNSt15iterator_traitsISK_E10value_typeET2_T3_PNSL_ISQ_E10value_typeET4_jRbjT5_SW_jjP12ihipStream_tbEUlT_E2_NS1_11comp_targetILNS1_3genE3ELNS1_11target_archE908ELNS1_3gpuE7ELNS1_3repE0EEENS1_30default_config_static_selectorELNS0_4arch9wavefront6targetE0EEEvSK_,"axG",@progbits,_ZN7rocprim17ROCPRIM_400000_NS6detail17trampoline_kernelINS0_14default_configENS1_36segmented_radix_sort_config_selectorIdlEEZNS1_25segmented_radix_sort_implIS3_Lb1EPKdPdPKlPlN2at6native12_GLOBAL__N_18offset_tEEE10hipError_tPvRmT1_PNSt15iterator_traitsISK_E10value_typeET2_T3_PNSL_ISQ_E10value_typeET4_jRbjT5_SW_jjP12ihipStream_tbEUlT_E2_NS1_11comp_targetILNS1_3genE3ELNS1_11target_archE908ELNS1_3gpuE7ELNS1_3repE0EEENS1_30default_config_static_selectorELNS0_4arch9wavefront6targetE0EEEvSK_,comdat
	.globl	_ZN7rocprim17ROCPRIM_400000_NS6detail17trampoline_kernelINS0_14default_configENS1_36segmented_radix_sort_config_selectorIdlEEZNS1_25segmented_radix_sort_implIS3_Lb1EPKdPdPKlPlN2at6native12_GLOBAL__N_18offset_tEEE10hipError_tPvRmT1_PNSt15iterator_traitsISK_E10value_typeET2_T3_PNSL_ISQ_E10value_typeET4_jRbjT5_SW_jjP12ihipStream_tbEUlT_E2_NS1_11comp_targetILNS1_3genE3ELNS1_11target_archE908ELNS1_3gpuE7ELNS1_3repE0EEENS1_30default_config_static_selectorELNS0_4arch9wavefront6targetE0EEEvSK_ ; -- Begin function _ZN7rocprim17ROCPRIM_400000_NS6detail17trampoline_kernelINS0_14default_configENS1_36segmented_radix_sort_config_selectorIdlEEZNS1_25segmented_radix_sort_implIS3_Lb1EPKdPdPKlPlN2at6native12_GLOBAL__N_18offset_tEEE10hipError_tPvRmT1_PNSt15iterator_traitsISK_E10value_typeET2_T3_PNSL_ISQ_E10value_typeET4_jRbjT5_SW_jjP12ihipStream_tbEUlT_E2_NS1_11comp_targetILNS1_3genE3ELNS1_11target_archE908ELNS1_3gpuE7ELNS1_3repE0EEENS1_30default_config_static_selectorELNS0_4arch9wavefront6targetE0EEEvSK_
	.p2align	8
	.type	_ZN7rocprim17ROCPRIM_400000_NS6detail17trampoline_kernelINS0_14default_configENS1_36segmented_radix_sort_config_selectorIdlEEZNS1_25segmented_radix_sort_implIS3_Lb1EPKdPdPKlPlN2at6native12_GLOBAL__N_18offset_tEEE10hipError_tPvRmT1_PNSt15iterator_traitsISK_E10value_typeET2_T3_PNSL_ISQ_E10value_typeET4_jRbjT5_SW_jjP12ihipStream_tbEUlT_E2_NS1_11comp_targetILNS1_3genE3ELNS1_11target_archE908ELNS1_3gpuE7ELNS1_3repE0EEENS1_30default_config_static_selectorELNS0_4arch9wavefront6targetE0EEEvSK_,@function
_ZN7rocprim17ROCPRIM_400000_NS6detail17trampoline_kernelINS0_14default_configENS1_36segmented_radix_sort_config_selectorIdlEEZNS1_25segmented_radix_sort_implIS3_Lb1EPKdPdPKlPlN2at6native12_GLOBAL__N_18offset_tEEE10hipError_tPvRmT1_PNSt15iterator_traitsISK_E10value_typeET2_T3_PNSL_ISQ_E10value_typeET4_jRbjT5_SW_jjP12ihipStream_tbEUlT_E2_NS1_11comp_targetILNS1_3genE3ELNS1_11target_archE908ELNS1_3gpuE7ELNS1_3repE0EEENS1_30default_config_static_selectorELNS0_4arch9wavefront6targetE0EEEvSK_: ; @_ZN7rocprim17ROCPRIM_400000_NS6detail17trampoline_kernelINS0_14default_configENS1_36segmented_radix_sort_config_selectorIdlEEZNS1_25segmented_radix_sort_implIS3_Lb1EPKdPdPKlPlN2at6native12_GLOBAL__N_18offset_tEEE10hipError_tPvRmT1_PNSt15iterator_traitsISK_E10value_typeET2_T3_PNSL_ISQ_E10value_typeET4_jRbjT5_SW_jjP12ihipStream_tbEUlT_E2_NS1_11comp_targetILNS1_3genE3ELNS1_11target_archE908ELNS1_3gpuE7ELNS1_3repE0EEENS1_30default_config_static_selectorELNS0_4arch9wavefront6targetE0EEEvSK_
; %bb.0:
	.section	.rodata,"a",@progbits
	.p2align	6, 0x0
	.amdhsa_kernel _ZN7rocprim17ROCPRIM_400000_NS6detail17trampoline_kernelINS0_14default_configENS1_36segmented_radix_sort_config_selectorIdlEEZNS1_25segmented_radix_sort_implIS3_Lb1EPKdPdPKlPlN2at6native12_GLOBAL__N_18offset_tEEE10hipError_tPvRmT1_PNSt15iterator_traitsISK_E10value_typeET2_T3_PNSL_ISQ_E10value_typeET4_jRbjT5_SW_jjP12ihipStream_tbEUlT_E2_NS1_11comp_targetILNS1_3genE3ELNS1_11target_archE908ELNS1_3gpuE7ELNS1_3repE0EEENS1_30default_config_static_selectorELNS0_4arch9wavefront6targetE0EEEvSK_
		.amdhsa_group_segment_fixed_size 0
		.amdhsa_private_segment_fixed_size 0
		.amdhsa_kernarg_size 80
		.amdhsa_user_sgpr_count 15
		.amdhsa_user_sgpr_dispatch_ptr 0
		.amdhsa_user_sgpr_queue_ptr 0
		.amdhsa_user_sgpr_kernarg_segment_ptr 1
		.amdhsa_user_sgpr_dispatch_id 0
		.amdhsa_user_sgpr_private_segment_size 0
		.amdhsa_wavefront_size32 1
		.amdhsa_uses_dynamic_stack 0
		.amdhsa_enable_private_segment 0
		.amdhsa_system_sgpr_workgroup_id_x 1
		.amdhsa_system_sgpr_workgroup_id_y 0
		.amdhsa_system_sgpr_workgroup_id_z 0
		.amdhsa_system_sgpr_workgroup_info 0
		.amdhsa_system_vgpr_workitem_id 0
		.amdhsa_next_free_vgpr 1
		.amdhsa_next_free_sgpr 1
		.amdhsa_reserve_vcc 0
		.amdhsa_float_round_mode_32 0
		.amdhsa_float_round_mode_16_64 0
		.amdhsa_float_denorm_mode_32 3
		.amdhsa_float_denorm_mode_16_64 3
		.amdhsa_dx10_clamp 1
		.amdhsa_ieee_mode 1
		.amdhsa_fp16_overflow 0
		.amdhsa_workgroup_processor_mode 1
		.amdhsa_memory_ordered 1
		.amdhsa_forward_progress 0
		.amdhsa_shared_vgpr_count 0
		.amdhsa_exception_fp_ieee_invalid_op 0
		.amdhsa_exception_fp_denorm_src 0
		.amdhsa_exception_fp_ieee_div_zero 0
		.amdhsa_exception_fp_ieee_overflow 0
		.amdhsa_exception_fp_ieee_underflow 0
		.amdhsa_exception_fp_ieee_inexact 0
		.amdhsa_exception_int_div_zero 0
	.end_amdhsa_kernel
	.section	.text._ZN7rocprim17ROCPRIM_400000_NS6detail17trampoline_kernelINS0_14default_configENS1_36segmented_radix_sort_config_selectorIdlEEZNS1_25segmented_radix_sort_implIS3_Lb1EPKdPdPKlPlN2at6native12_GLOBAL__N_18offset_tEEE10hipError_tPvRmT1_PNSt15iterator_traitsISK_E10value_typeET2_T3_PNSL_ISQ_E10value_typeET4_jRbjT5_SW_jjP12ihipStream_tbEUlT_E2_NS1_11comp_targetILNS1_3genE3ELNS1_11target_archE908ELNS1_3gpuE7ELNS1_3repE0EEENS1_30default_config_static_selectorELNS0_4arch9wavefront6targetE0EEEvSK_,"axG",@progbits,_ZN7rocprim17ROCPRIM_400000_NS6detail17trampoline_kernelINS0_14default_configENS1_36segmented_radix_sort_config_selectorIdlEEZNS1_25segmented_radix_sort_implIS3_Lb1EPKdPdPKlPlN2at6native12_GLOBAL__N_18offset_tEEE10hipError_tPvRmT1_PNSt15iterator_traitsISK_E10value_typeET2_T3_PNSL_ISQ_E10value_typeET4_jRbjT5_SW_jjP12ihipStream_tbEUlT_E2_NS1_11comp_targetILNS1_3genE3ELNS1_11target_archE908ELNS1_3gpuE7ELNS1_3repE0EEENS1_30default_config_static_selectorELNS0_4arch9wavefront6targetE0EEEvSK_,comdat
.Lfunc_end1151:
	.size	_ZN7rocprim17ROCPRIM_400000_NS6detail17trampoline_kernelINS0_14default_configENS1_36segmented_radix_sort_config_selectorIdlEEZNS1_25segmented_radix_sort_implIS3_Lb1EPKdPdPKlPlN2at6native12_GLOBAL__N_18offset_tEEE10hipError_tPvRmT1_PNSt15iterator_traitsISK_E10value_typeET2_T3_PNSL_ISQ_E10value_typeET4_jRbjT5_SW_jjP12ihipStream_tbEUlT_E2_NS1_11comp_targetILNS1_3genE3ELNS1_11target_archE908ELNS1_3gpuE7ELNS1_3repE0EEENS1_30default_config_static_selectorELNS0_4arch9wavefront6targetE0EEEvSK_, .Lfunc_end1151-_ZN7rocprim17ROCPRIM_400000_NS6detail17trampoline_kernelINS0_14default_configENS1_36segmented_radix_sort_config_selectorIdlEEZNS1_25segmented_radix_sort_implIS3_Lb1EPKdPdPKlPlN2at6native12_GLOBAL__N_18offset_tEEE10hipError_tPvRmT1_PNSt15iterator_traitsISK_E10value_typeET2_T3_PNSL_ISQ_E10value_typeET4_jRbjT5_SW_jjP12ihipStream_tbEUlT_E2_NS1_11comp_targetILNS1_3genE3ELNS1_11target_archE908ELNS1_3gpuE7ELNS1_3repE0EEENS1_30default_config_static_selectorELNS0_4arch9wavefront6targetE0EEEvSK_
                                        ; -- End function
	.section	.AMDGPU.csdata,"",@progbits
; Kernel info:
; codeLenInByte = 0
; NumSgprs: 0
; NumVgprs: 0
; ScratchSize: 0
; MemoryBound: 0
; FloatMode: 240
; IeeeMode: 1
; LDSByteSize: 0 bytes/workgroup (compile time only)
; SGPRBlocks: 0
; VGPRBlocks: 0
; NumSGPRsForWavesPerEU: 1
; NumVGPRsForWavesPerEU: 1
; Occupancy: 16
; WaveLimiterHint : 0
; COMPUTE_PGM_RSRC2:SCRATCH_EN: 0
; COMPUTE_PGM_RSRC2:USER_SGPR: 15
; COMPUTE_PGM_RSRC2:TRAP_HANDLER: 0
; COMPUTE_PGM_RSRC2:TGID_X_EN: 1
; COMPUTE_PGM_RSRC2:TGID_Y_EN: 0
; COMPUTE_PGM_RSRC2:TGID_Z_EN: 0
; COMPUTE_PGM_RSRC2:TIDIG_COMP_CNT: 0
	.section	.text._ZN7rocprim17ROCPRIM_400000_NS6detail17trampoline_kernelINS0_14default_configENS1_36segmented_radix_sort_config_selectorIdlEEZNS1_25segmented_radix_sort_implIS3_Lb1EPKdPdPKlPlN2at6native12_GLOBAL__N_18offset_tEEE10hipError_tPvRmT1_PNSt15iterator_traitsISK_E10value_typeET2_T3_PNSL_ISQ_E10value_typeET4_jRbjT5_SW_jjP12ihipStream_tbEUlT_E2_NS1_11comp_targetILNS1_3genE2ELNS1_11target_archE906ELNS1_3gpuE6ELNS1_3repE0EEENS1_30default_config_static_selectorELNS0_4arch9wavefront6targetE0EEEvSK_,"axG",@progbits,_ZN7rocprim17ROCPRIM_400000_NS6detail17trampoline_kernelINS0_14default_configENS1_36segmented_radix_sort_config_selectorIdlEEZNS1_25segmented_radix_sort_implIS3_Lb1EPKdPdPKlPlN2at6native12_GLOBAL__N_18offset_tEEE10hipError_tPvRmT1_PNSt15iterator_traitsISK_E10value_typeET2_T3_PNSL_ISQ_E10value_typeET4_jRbjT5_SW_jjP12ihipStream_tbEUlT_E2_NS1_11comp_targetILNS1_3genE2ELNS1_11target_archE906ELNS1_3gpuE6ELNS1_3repE0EEENS1_30default_config_static_selectorELNS0_4arch9wavefront6targetE0EEEvSK_,comdat
	.globl	_ZN7rocprim17ROCPRIM_400000_NS6detail17trampoline_kernelINS0_14default_configENS1_36segmented_radix_sort_config_selectorIdlEEZNS1_25segmented_radix_sort_implIS3_Lb1EPKdPdPKlPlN2at6native12_GLOBAL__N_18offset_tEEE10hipError_tPvRmT1_PNSt15iterator_traitsISK_E10value_typeET2_T3_PNSL_ISQ_E10value_typeET4_jRbjT5_SW_jjP12ihipStream_tbEUlT_E2_NS1_11comp_targetILNS1_3genE2ELNS1_11target_archE906ELNS1_3gpuE6ELNS1_3repE0EEENS1_30default_config_static_selectorELNS0_4arch9wavefront6targetE0EEEvSK_ ; -- Begin function _ZN7rocprim17ROCPRIM_400000_NS6detail17trampoline_kernelINS0_14default_configENS1_36segmented_radix_sort_config_selectorIdlEEZNS1_25segmented_radix_sort_implIS3_Lb1EPKdPdPKlPlN2at6native12_GLOBAL__N_18offset_tEEE10hipError_tPvRmT1_PNSt15iterator_traitsISK_E10value_typeET2_T3_PNSL_ISQ_E10value_typeET4_jRbjT5_SW_jjP12ihipStream_tbEUlT_E2_NS1_11comp_targetILNS1_3genE2ELNS1_11target_archE906ELNS1_3gpuE6ELNS1_3repE0EEENS1_30default_config_static_selectorELNS0_4arch9wavefront6targetE0EEEvSK_
	.p2align	8
	.type	_ZN7rocprim17ROCPRIM_400000_NS6detail17trampoline_kernelINS0_14default_configENS1_36segmented_radix_sort_config_selectorIdlEEZNS1_25segmented_radix_sort_implIS3_Lb1EPKdPdPKlPlN2at6native12_GLOBAL__N_18offset_tEEE10hipError_tPvRmT1_PNSt15iterator_traitsISK_E10value_typeET2_T3_PNSL_ISQ_E10value_typeET4_jRbjT5_SW_jjP12ihipStream_tbEUlT_E2_NS1_11comp_targetILNS1_3genE2ELNS1_11target_archE906ELNS1_3gpuE6ELNS1_3repE0EEENS1_30default_config_static_selectorELNS0_4arch9wavefront6targetE0EEEvSK_,@function
_ZN7rocprim17ROCPRIM_400000_NS6detail17trampoline_kernelINS0_14default_configENS1_36segmented_radix_sort_config_selectorIdlEEZNS1_25segmented_radix_sort_implIS3_Lb1EPKdPdPKlPlN2at6native12_GLOBAL__N_18offset_tEEE10hipError_tPvRmT1_PNSt15iterator_traitsISK_E10value_typeET2_T3_PNSL_ISQ_E10value_typeET4_jRbjT5_SW_jjP12ihipStream_tbEUlT_E2_NS1_11comp_targetILNS1_3genE2ELNS1_11target_archE906ELNS1_3gpuE6ELNS1_3repE0EEENS1_30default_config_static_selectorELNS0_4arch9wavefront6targetE0EEEvSK_: ; @_ZN7rocprim17ROCPRIM_400000_NS6detail17trampoline_kernelINS0_14default_configENS1_36segmented_radix_sort_config_selectorIdlEEZNS1_25segmented_radix_sort_implIS3_Lb1EPKdPdPKlPlN2at6native12_GLOBAL__N_18offset_tEEE10hipError_tPvRmT1_PNSt15iterator_traitsISK_E10value_typeET2_T3_PNSL_ISQ_E10value_typeET4_jRbjT5_SW_jjP12ihipStream_tbEUlT_E2_NS1_11comp_targetILNS1_3genE2ELNS1_11target_archE906ELNS1_3gpuE6ELNS1_3repE0EEENS1_30default_config_static_selectorELNS0_4arch9wavefront6targetE0EEEvSK_
; %bb.0:
	.section	.rodata,"a",@progbits
	.p2align	6, 0x0
	.amdhsa_kernel _ZN7rocprim17ROCPRIM_400000_NS6detail17trampoline_kernelINS0_14default_configENS1_36segmented_radix_sort_config_selectorIdlEEZNS1_25segmented_radix_sort_implIS3_Lb1EPKdPdPKlPlN2at6native12_GLOBAL__N_18offset_tEEE10hipError_tPvRmT1_PNSt15iterator_traitsISK_E10value_typeET2_T3_PNSL_ISQ_E10value_typeET4_jRbjT5_SW_jjP12ihipStream_tbEUlT_E2_NS1_11comp_targetILNS1_3genE2ELNS1_11target_archE906ELNS1_3gpuE6ELNS1_3repE0EEENS1_30default_config_static_selectorELNS0_4arch9wavefront6targetE0EEEvSK_
		.amdhsa_group_segment_fixed_size 0
		.amdhsa_private_segment_fixed_size 0
		.amdhsa_kernarg_size 80
		.amdhsa_user_sgpr_count 15
		.amdhsa_user_sgpr_dispatch_ptr 0
		.amdhsa_user_sgpr_queue_ptr 0
		.amdhsa_user_sgpr_kernarg_segment_ptr 1
		.amdhsa_user_sgpr_dispatch_id 0
		.amdhsa_user_sgpr_private_segment_size 0
		.amdhsa_wavefront_size32 1
		.amdhsa_uses_dynamic_stack 0
		.amdhsa_enable_private_segment 0
		.amdhsa_system_sgpr_workgroup_id_x 1
		.amdhsa_system_sgpr_workgroup_id_y 0
		.amdhsa_system_sgpr_workgroup_id_z 0
		.amdhsa_system_sgpr_workgroup_info 0
		.amdhsa_system_vgpr_workitem_id 0
		.amdhsa_next_free_vgpr 1
		.amdhsa_next_free_sgpr 1
		.amdhsa_reserve_vcc 0
		.amdhsa_float_round_mode_32 0
		.amdhsa_float_round_mode_16_64 0
		.amdhsa_float_denorm_mode_32 3
		.amdhsa_float_denorm_mode_16_64 3
		.amdhsa_dx10_clamp 1
		.amdhsa_ieee_mode 1
		.amdhsa_fp16_overflow 0
		.amdhsa_workgroup_processor_mode 1
		.amdhsa_memory_ordered 1
		.amdhsa_forward_progress 0
		.amdhsa_shared_vgpr_count 0
		.amdhsa_exception_fp_ieee_invalid_op 0
		.amdhsa_exception_fp_denorm_src 0
		.amdhsa_exception_fp_ieee_div_zero 0
		.amdhsa_exception_fp_ieee_overflow 0
		.amdhsa_exception_fp_ieee_underflow 0
		.amdhsa_exception_fp_ieee_inexact 0
		.amdhsa_exception_int_div_zero 0
	.end_amdhsa_kernel
	.section	.text._ZN7rocprim17ROCPRIM_400000_NS6detail17trampoline_kernelINS0_14default_configENS1_36segmented_radix_sort_config_selectorIdlEEZNS1_25segmented_radix_sort_implIS3_Lb1EPKdPdPKlPlN2at6native12_GLOBAL__N_18offset_tEEE10hipError_tPvRmT1_PNSt15iterator_traitsISK_E10value_typeET2_T3_PNSL_ISQ_E10value_typeET4_jRbjT5_SW_jjP12ihipStream_tbEUlT_E2_NS1_11comp_targetILNS1_3genE2ELNS1_11target_archE906ELNS1_3gpuE6ELNS1_3repE0EEENS1_30default_config_static_selectorELNS0_4arch9wavefront6targetE0EEEvSK_,"axG",@progbits,_ZN7rocprim17ROCPRIM_400000_NS6detail17trampoline_kernelINS0_14default_configENS1_36segmented_radix_sort_config_selectorIdlEEZNS1_25segmented_radix_sort_implIS3_Lb1EPKdPdPKlPlN2at6native12_GLOBAL__N_18offset_tEEE10hipError_tPvRmT1_PNSt15iterator_traitsISK_E10value_typeET2_T3_PNSL_ISQ_E10value_typeET4_jRbjT5_SW_jjP12ihipStream_tbEUlT_E2_NS1_11comp_targetILNS1_3genE2ELNS1_11target_archE906ELNS1_3gpuE6ELNS1_3repE0EEENS1_30default_config_static_selectorELNS0_4arch9wavefront6targetE0EEEvSK_,comdat
.Lfunc_end1152:
	.size	_ZN7rocprim17ROCPRIM_400000_NS6detail17trampoline_kernelINS0_14default_configENS1_36segmented_radix_sort_config_selectorIdlEEZNS1_25segmented_radix_sort_implIS3_Lb1EPKdPdPKlPlN2at6native12_GLOBAL__N_18offset_tEEE10hipError_tPvRmT1_PNSt15iterator_traitsISK_E10value_typeET2_T3_PNSL_ISQ_E10value_typeET4_jRbjT5_SW_jjP12ihipStream_tbEUlT_E2_NS1_11comp_targetILNS1_3genE2ELNS1_11target_archE906ELNS1_3gpuE6ELNS1_3repE0EEENS1_30default_config_static_selectorELNS0_4arch9wavefront6targetE0EEEvSK_, .Lfunc_end1152-_ZN7rocprim17ROCPRIM_400000_NS6detail17trampoline_kernelINS0_14default_configENS1_36segmented_radix_sort_config_selectorIdlEEZNS1_25segmented_radix_sort_implIS3_Lb1EPKdPdPKlPlN2at6native12_GLOBAL__N_18offset_tEEE10hipError_tPvRmT1_PNSt15iterator_traitsISK_E10value_typeET2_T3_PNSL_ISQ_E10value_typeET4_jRbjT5_SW_jjP12ihipStream_tbEUlT_E2_NS1_11comp_targetILNS1_3genE2ELNS1_11target_archE906ELNS1_3gpuE6ELNS1_3repE0EEENS1_30default_config_static_selectorELNS0_4arch9wavefront6targetE0EEEvSK_
                                        ; -- End function
	.section	.AMDGPU.csdata,"",@progbits
; Kernel info:
; codeLenInByte = 0
; NumSgprs: 0
; NumVgprs: 0
; ScratchSize: 0
; MemoryBound: 0
; FloatMode: 240
; IeeeMode: 1
; LDSByteSize: 0 bytes/workgroup (compile time only)
; SGPRBlocks: 0
; VGPRBlocks: 0
; NumSGPRsForWavesPerEU: 1
; NumVGPRsForWavesPerEU: 1
; Occupancy: 16
; WaveLimiterHint : 0
; COMPUTE_PGM_RSRC2:SCRATCH_EN: 0
; COMPUTE_PGM_RSRC2:USER_SGPR: 15
; COMPUTE_PGM_RSRC2:TRAP_HANDLER: 0
; COMPUTE_PGM_RSRC2:TGID_X_EN: 1
; COMPUTE_PGM_RSRC2:TGID_Y_EN: 0
; COMPUTE_PGM_RSRC2:TGID_Z_EN: 0
; COMPUTE_PGM_RSRC2:TIDIG_COMP_CNT: 0
	.section	.text._ZN7rocprim17ROCPRIM_400000_NS6detail17trampoline_kernelINS0_14default_configENS1_36segmented_radix_sort_config_selectorIdlEEZNS1_25segmented_radix_sort_implIS3_Lb1EPKdPdPKlPlN2at6native12_GLOBAL__N_18offset_tEEE10hipError_tPvRmT1_PNSt15iterator_traitsISK_E10value_typeET2_T3_PNSL_ISQ_E10value_typeET4_jRbjT5_SW_jjP12ihipStream_tbEUlT_E2_NS1_11comp_targetILNS1_3genE10ELNS1_11target_archE1201ELNS1_3gpuE5ELNS1_3repE0EEENS1_30default_config_static_selectorELNS0_4arch9wavefront6targetE0EEEvSK_,"axG",@progbits,_ZN7rocprim17ROCPRIM_400000_NS6detail17trampoline_kernelINS0_14default_configENS1_36segmented_radix_sort_config_selectorIdlEEZNS1_25segmented_radix_sort_implIS3_Lb1EPKdPdPKlPlN2at6native12_GLOBAL__N_18offset_tEEE10hipError_tPvRmT1_PNSt15iterator_traitsISK_E10value_typeET2_T3_PNSL_ISQ_E10value_typeET4_jRbjT5_SW_jjP12ihipStream_tbEUlT_E2_NS1_11comp_targetILNS1_3genE10ELNS1_11target_archE1201ELNS1_3gpuE5ELNS1_3repE0EEENS1_30default_config_static_selectorELNS0_4arch9wavefront6targetE0EEEvSK_,comdat
	.globl	_ZN7rocprim17ROCPRIM_400000_NS6detail17trampoline_kernelINS0_14default_configENS1_36segmented_radix_sort_config_selectorIdlEEZNS1_25segmented_radix_sort_implIS3_Lb1EPKdPdPKlPlN2at6native12_GLOBAL__N_18offset_tEEE10hipError_tPvRmT1_PNSt15iterator_traitsISK_E10value_typeET2_T3_PNSL_ISQ_E10value_typeET4_jRbjT5_SW_jjP12ihipStream_tbEUlT_E2_NS1_11comp_targetILNS1_3genE10ELNS1_11target_archE1201ELNS1_3gpuE5ELNS1_3repE0EEENS1_30default_config_static_selectorELNS0_4arch9wavefront6targetE0EEEvSK_ ; -- Begin function _ZN7rocprim17ROCPRIM_400000_NS6detail17trampoline_kernelINS0_14default_configENS1_36segmented_radix_sort_config_selectorIdlEEZNS1_25segmented_radix_sort_implIS3_Lb1EPKdPdPKlPlN2at6native12_GLOBAL__N_18offset_tEEE10hipError_tPvRmT1_PNSt15iterator_traitsISK_E10value_typeET2_T3_PNSL_ISQ_E10value_typeET4_jRbjT5_SW_jjP12ihipStream_tbEUlT_E2_NS1_11comp_targetILNS1_3genE10ELNS1_11target_archE1201ELNS1_3gpuE5ELNS1_3repE0EEENS1_30default_config_static_selectorELNS0_4arch9wavefront6targetE0EEEvSK_
	.p2align	8
	.type	_ZN7rocprim17ROCPRIM_400000_NS6detail17trampoline_kernelINS0_14default_configENS1_36segmented_radix_sort_config_selectorIdlEEZNS1_25segmented_radix_sort_implIS3_Lb1EPKdPdPKlPlN2at6native12_GLOBAL__N_18offset_tEEE10hipError_tPvRmT1_PNSt15iterator_traitsISK_E10value_typeET2_T3_PNSL_ISQ_E10value_typeET4_jRbjT5_SW_jjP12ihipStream_tbEUlT_E2_NS1_11comp_targetILNS1_3genE10ELNS1_11target_archE1201ELNS1_3gpuE5ELNS1_3repE0EEENS1_30default_config_static_selectorELNS0_4arch9wavefront6targetE0EEEvSK_,@function
_ZN7rocprim17ROCPRIM_400000_NS6detail17trampoline_kernelINS0_14default_configENS1_36segmented_radix_sort_config_selectorIdlEEZNS1_25segmented_radix_sort_implIS3_Lb1EPKdPdPKlPlN2at6native12_GLOBAL__N_18offset_tEEE10hipError_tPvRmT1_PNSt15iterator_traitsISK_E10value_typeET2_T3_PNSL_ISQ_E10value_typeET4_jRbjT5_SW_jjP12ihipStream_tbEUlT_E2_NS1_11comp_targetILNS1_3genE10ELNS1_11target_archE1201ELNS1_3gpuE5ELNS1_3repE0EEENS1_30default_config_static_selectorELNS0_4arch9wavefront6targetE0EEEvSK_: ; @_ZN7rocprim17ROCPRIM_400000_NS6detail17trampoline_kernelINS0_14default_configENS1_36segmented_radix_sort_config_selectorIdlEEZNS1_25segmented_radix_sort_implIS3_Lb1EPKdPdPKlPlN2at6native12_GLOBAL__N_18offset_tEEE10hipError_tPvRmT1_PNSt15iterator_traitsISK_E10value_typeET2_T3_PNSL_ISQ_E10value_typeET4_jRbjT5_SW_jjP12ihipStream_tbEUlT_E2_NS1_11comp_targetILNS1_3genE10ELNS1_11target_archE1201ELNS1_3gpuE5ELNS1_3repE0EEENS1_30default_config_static_selectorELNS0_4arch9wavefront6targetE0EEEvSK_
; %bb.0:
	.section	.rodata,"a",@progbits
	.p2align	6, 0x0
	.amdhsa_kernel _ZN7rocprim17ROCPRIM_400000_NS6detail17trampoline_kernelINS0_14default_configENS1_36segmented_radix_sort_config_selectorIdlEEZNS1_25segmented_radix_sort_implIS3_Lb1EPKdPdPKlPlN2at6native12_GLOBAL__N_18offset_tEEE10hipError_tPvRmT1_PNSt15iterator_traitsISK_E10value_typeET2_T3_PNSL_ISQ_E10value_typeET4_jRbjT5_SW_jjP12ihipStream_tbEUlT_E2_NS1_11comp_targetILNS1_3genE10ELNS1_11target_archE1201ELNS1_3gpuE5ELNS1_3repE0EEENS1_30default_config_static_selectorELNS0_4arch9wavefront6targetE0EEEvSK_
		.amdhsa_group_segment_fixed_size 0
		.amdhsa_private_segment_fixed_size 0
		.amdhsa_kernarg_size 80
		.amdhsa_user_sgpr_count 15
		.amdhsa_user_sgpr_dispatch_ptr 0
		.amdhsa_user_sgpr_queue_ptr 0
		.amdhsa_user_sgpr_kernarg_segment_ptr 1
		.amdhsa_user_sgpr_dispatch_id 0
		.amdhsa_user_sgpr_private_segment_size 0
		.amdhsa_wavefront_size32 1
		.amdhsa_uses_dynamic_stack 0
		.amdhsa_enable_private_segment 0
		.amdhsa_system_sgpr_workgroup_id_x 1
		.amdhsa_system_sgpr_workgroup_id_y 0
		.amdhsa_system_sgpr_workgroup_id_z 0
		.amdhsa_system_sgpr_workgroup_info 0
		.amdhsa_system_vgpr_workitem_id 0
		.amdhsa_next_free_vgpr 1
		.amdhsa_next_free_sgpr 1
		.amdhsa_reserve_vcc 0
		.amdhsa_float_round_mode_32 0
		.amdhsa_float_round_mode_16_64 0
		.amdhsa_float_denorm_mode_32 3
		.amdhsa_float_denorm_mode_16_64 3
		.amdhsa_dx10_clamp 1
		.amdhsa_ieee_mode 1
		.amdhsa_fp16_overflow 0
		.amdhsa_workgroup_processor_mode 1
		.amdhsa_memory_ordered 1
		.amdhsa_forward_progress 0
		.amdhsa_shared_vgpr_count 0
		.amdhsa_exception_fp_ieee_invalid_op 0
		.amdhsa_exception_fp_denorm_src 0
		.amdhsa_exception_fp_ieee_div_zero 0
		.amdhsa_exception_fp_ieee_overflow 0
		.amdhsa_exception_fp_ieee_underflow 0
		.amdhsa_exception_fp_ieee_inexact 0
		.amdhsa_exception_int_div_zero 0
	.end_amdhsa_kernel
	.section	.text._ZN7rocprim17ROCPRIM_400000_NS6detail17trampoline_kernelINS0_14default_configENS1_36segmented_radix_sort_config_selectorIdlEEZNS1_25segmented_radix_sort_implIS3_Lb1EPKdPdPKlPlN2at6native12_GLOBAL__N_18offset_tEEE10hipError_tPvRmT1_PNSt15iterator_traitsISK_E10value_typeET2_T3_PNSL_ISQ_E10value_typeET4_jRbjT5_SW_jjP12ihipStream_tbEUlT_E2_NS1_11comp_targetILNS1_3genE10ELNS1_11target_archE1201ELNS1_3gpuE5ELNS1_3repE0EEENS1_30default_config_static_selectorELNS0_4arch9wavefront6targetE0EEEvSK_,"axG",@progbits,_ZN7rocprim17ROCPRIM_400000_NS6detail17trampoline_kernelINS0_14default_configENS1_36segmented_radix_sort_config_selectorIdlEEZNS1_25segmented_radix_sort_implIS3_Lb1EPKdPdPKlPlN2at6native12_GLOBAL__N_18offset_tEEE10hipError_tPvRmT1_PNSt15iterator_traitsISK_E10value_typeET2_T3_PNSL_ISQ_E10value_typeET4_jRbjT5_SW_jjP12ihipStream_tbEUlT_E2_NS1_11comp_targetILNS1_3genE10ELNS1_11target_archE1201ELNS1_3gpuE5ELNS1_3repE0EEENS1_30default_config_static_selectorELNS0_4arch9wavefront6targetE0EEEvSK_,comdat
.Lfunc_end1153:
	.size	_ZN7rocprim17ROCPRIM_400000_NS6detail17trampoline_kernelINS0_14default_configENS1_36segmented_radix_sort_config_selectorIdlEEZNS1_25segmented_radix_sort_implIS3_Lb1EPKdPdPKlPlN2at6native12_GLOBAL__N_18offset_tEEE10hipError_tPvRmT1_PNSt15iterator_traitsISK_E10value_typeET2_T3_PNSL_ISQ_E10value_typeET4_jRbjT5_SW_jjP12ihipStream_tbEUlT_E2_NS1_11comp_targetILNS1_3genE10ELNS1_11target_archE1201ELNS1_3gpuE5ELNS1_3repE0EEENS1_30default_config_static_selectorELNS0_4arch9wavefront6targetE0EEEvSK_, .Lfunc_end1153-_ZN7rocprim17ROCPRIM_400000_NS6detail17trampoline_kernelINS0_14default_configENS1_36segmented_radix_sort_config_selectorIdlEEZNS1_25segmented_radix_sort_implIS3_Lb1EPKdPdPKlPlN2at6native12_GLOBAL__N_18offset_tEEE10hipError_tPvRmT1_PNSt15iterator_traitsISK_E10value_typeET2_T3_PNSL_ISQ_E10value_typeET4_jRbjT5_SW_jjP12ihipStream_tbEUlT_E2_NS1_11comp_targetILNS1_3genE10ELNS1_11target_archE1201ELNS1_3gpuE5ELNS1_3repE0EEENS1_30default_config_static_selectorELNS0_4arch9wavefront6targetE0EEEvSK_
                                        ; -- End function
	.section	.AMDGPU.csdata,"",@progbits
; Kernel info:
; codeLenInByte = 0
; NumSgprs: 0
; NumVgprs: 0
; ScratchSize: 0
; MemoryBound: 0
; FloatMode: 240
; IeeeMode: 1
; LDSByteSize: 0 bytes/workgroup (compile time only)
; SGPRBlocks: 0
; VGPRBlocks: 0
; NumSGPRsForWavesPerEU: 1
; NumVGPRsForWavesPerEU: 1
; Occupancy: 16
; WaveLimiterHint : 0
; COMPUTE_PGM_RSRC2:SCRATCH_EN: 0
; COMPUTE_PGM_RSRC2:USER_SGPR: 15
; COMPUTE_PGM_RSRC2:TRAP_HANDLER: 0
; COMPUTE_PGM_RSRC2:TGID_X_EN: 1
; COMPUTE_PGM_RSRC2:TGID_Y_EN: 0
; COMPUTE_PGM_RSRC2:TGID_Z_EN: 0
; COMPUTE_PGM_RSRC2:TIDIG_COMP_CNT: 0
	.section	.text._ZN7rocprim17ROCPRIM_400000_NS6detail17trampoline_kernelINS0_14default_configENS1_36segmented_radix_sort_config_selectorIdlEEZNS1_25segmented_radix_sort_implIS3_Lb1EPKdPdPKlPlN2at6native12_GLOBAL__N_18offset_tEEE10hipError_tPvRmT1_PNSt15iterator_traitsISK_E10value_typeET2_T3_PNSL_ISQ_E10value_typeET4_jRbjT5_SW_jjP12ihipStream_tbEUlT_E2_NS1_11comp_targetILNS1_3genE10ELNS1_11target_archE1200ELNS1_3gpuE4ELNS1_3repE0EEENS1_30default_config_static_selectorELNS0_4arch9wavefront6targetE0EEEvSK_,"axG",@progbits,_ZN7rocprim17ROCPRIM_400000_NS6detail17trampoline_kernelINS0_14default_configENS1_36segmented_radix_sort_config_selectorIdlEEZNS1_25segmented_radix_sort_implIS3_Lb1EPKdPdPKlPlN2at6native12_GLOBAL__N_18offset_tEEE10hipError_tPvRmT1_PNSt15iterator_traitsISK_E10value_typeET2_T3_PNSL_ISQ_E10value_typeET4_jRbjT5_SW_jjP12ihipStream_tbEUlT_E2_NS1_11comp_targetILNS1_3genE10ELNS1_11target_archE1200ELNS1_3gpuE4ELNS1_3repE0EEENS1_30default_config_static_selectorELNS0_4arch9wavefront6targetE0EEEvSK_,comdat
	.globl	_ZN7rocprim17ROCPRIM_400000_NS6detail17trampoline_kernelINS0_14default_configENS1_36segmented_radix_sort_config_selectorIdlEEZNS1_25segmented_radix_sort_implIS3_Lb1EPKdPdPKlPlN2at6native12_GLOBAL__N_18offset_tEEE10hipError_tPvRmT1_PNSt15iterator_traitsISK_E10value_typeET2_T3_PNSL_ISQ_E10value_typeET4_jRbjT5_SW_jjP12ihipStream_tbEUlT_E2_NS1_11comp_targetILNS1_3genE10ELNS1_11target_archE1200ELNS1_3gpuE4ELNS1_3repE0EEENS1_30default_config_static_selectorELNS0_4arch9wavefront6targetE0EEEvSK_ ; -- Begin function _ZN7rocprim17ROCPRIM_400000_NS6detail17trampoline_kernelINS0_14default_configENS1_36segmented_radix_sort_config_selectorIdlEEZNS1_25segmented_radix_sort_implIS3_Lb1EPKdPdPKlPlN2at6native12_GLOBAL__N_18offset_tEEE10hipError_tPvRmT1_PNSt15iterator_traitsISK_E10value_typeET2_T3_PNSL_ISQ_E10value_typeET4_jRbjT5_SW_jjP12ihipStream_tbEUlT_E2_NS1_11comp_targetILNS1_3genE10ELNS1_11target_archE1200ELNS1_3gpuE4ELNS1_3repE0EEENS1_30default_config_static_selectorELNS0_4arch9wavefront6targetE0EEEvSK_
	.p2align	8
	.type	_ZN7rocprim17ROCPRIM_400000_NS6detail17trampoline_kernelINS0_14default_configENS1_36segmented_radix_sort_config_selectorIdlEEZNS1_25segmented_radix_sort_implIS3_Lb1EPKdPdPKlPlN2at6native12_GLOBAL__N_18offset_tEEE10hipError_tPvRmT1_PNSt15iterator_traitsISK_E10value_typeET2_T3_PNSL_ISQ_E10value_typeET4_jRbjT5_SW_jjP12ihipStream_tbEUlT_E2_NS1_11comp_targetILNS1_3genE10ELNS1_11target_archE1200ELNS1_3gpuE4ELNS1_3repE0EEENS1_30default_config_static_selectorELNS0_4arch9wavefront6targetE0EEEvSK_,@function
_ZN7rocprim17ROCPRIM_400000_NS6detail17trampoline_kernelINS0_14default_configENS1_36segmented_radix_sort_config_selectorIdlEEZNS1_25segmented_radix_sort_implIS3_Lb1EPKdPdPKlPlN2at6native12_GLOBAL__N_18offset_tEEE10hipError_tPvRmT1_PNSt15iterator_traitsISK_E10value_typeET2_T3_PNSL_ISQ_E10value_typeET4_jRbjT5_SW_jjP12ihipStream_tbEUlT_E2_NS1_11comp_targetILNS1_3genE10ELNS1_11target_archE1200ELNS1_3gpuE4ELNS1_3repE0EEENS1_30default_config_static_selectorELNS0_4arch9wavefront6targetE0EEEvSK_: ; @_ZN7rocprim17ROCPRIM_400000_NS6detail17trampoline_kernelINS0_14default_configENS1_36segmented_radix_sort_config_selectorIdlEEZNS1_25segmented_radix_sort_implIS3_Lb1EPKdPdPKlPlN2at6native12_GLOBAL__N_18offset_tEEE10hipError_tPvRmT1_PNSt15iterator_traitsISK_E10value_typeET2_T3_PNSL_ISQ_E10value_typeET4_jRbjT5_SW_jjP12ihipStream_tbEUlT_E2_NS1_11comp_targetILNS1_3genE10ELNS1_11target_archE1200ELNS1_3gpuE4ELNS1_3repE0EEENS1_30default_config_static_selectorELNS0_4arch9wavefront6targetE0EEEvSK_
; %bb.0:
	.section	.rodata,"a",@progbits
	.p2align	6, 0x0
	.amdhsa_kernel _ZN7rocprim17ROCPRIM_400000_NS6detail17trampoline_kernelINS0_14default_configENS1_36segmented_radix_sort_config_selectorIdlEEZNS1_25segmented_radix_sort_implIS3_Lb1EPKdPdPKlPlN2at6native12_GLOBAL__N_18offset_tEEE10hipError_tPvRmT1_PNSt15iterator_traitsISK_E10value_typeET2_T3_PNSL_ISQ_E10value_typeET4_jRbjT5_SW_jjP12ihipStream_tbEUlT_E2_NS1_11comp_targetILNS1_3genE10ELNS1_11target_archE1200ELNS1_3gpuE4ELNS1_3repE0EEENS1_30default_config_static_selectorELNS0_4arch9wavefront6targetE0EEEvSK_
		.amdhsa_group_segment_fixed_size 0
		.amdhsa_private_segment_fixed_size 0
		.amdhsa_kernarg_size 80
		.amdhsa_user_sgpr_count 15
		.amdhsa_user_sgpr_dispatch_ptr 0
		.amdhsa_user_sgpr_queue_ptr 0
		.amdhsa_user_sgpr_kernarg_segment_ptr 1
		.amdhsa_user_sgpr_dispatch_id 0
		.amdhsa_user_sgpr_private_segment_size 0
		.amdhsa_wavefront_size32 1
		.amdhsa_uses_dynamic_stack 0
		.amdhsa_enable_private_segment 0
		.amdhsa_system_sgpr_workgroup_id_x 1
		.amdhsa_system_sgpr_workgroup_id_y 0
		.amdhsa_system_sgpr_workgroup_id_z 0
		.amdhsa_system_sgpr_workgroup_info 0
		.amdhsa_system_vgpr_workitem_id 0
		.amdhsa_next_free_vgpr 1
		.amdhsa_next_free_sgpr 1
		.amdhsa_reserve_vcc 0
		.amdhsa_float_round_mode_32 0
		.amdhsa_float_round_mode_16_64 0
		.amdhsa_float_denorm_mode_32 3
		.amdhsa_float_denorm_mode_16_64 3
		.amdhsa_dx10_clamp 1
		.amdhsa_ieee_mode 1
		.amdhsa_fp16_overflow 0
		.amdhsa_workgroup_processor_mode 1
		.amdhsa_memory_ordered 1
		.amdhsa_forward_progress 0
		.amdhsa_shared_vgpr_count 0
		.amdhsa_exception_fp_ieee_invalid_op 0
		.amdhsa_exception_fp_denorm_src 0
		.amdhsa_exception_fp_ieee_div_zero 0
		.amdhsa_exception_fp_ieee_overflow 0
		.amdhsa_exception_fp_ieee_underflow 0
		.amdhsa_exception_fp_ieee_inexact 0
		.amdhsa_exception_int_div_zero 0
	.end_amdhsa_kernel
	.section	.text._ZN7rocprim17ROCPRIM_400000_NS6detail17trampoline_kernelINS0_14default_configENS1_36segmented_radix_sort_config_selectorIdlEEZNS1_25segmented_radix_sort_implIS3_Lb1EPKdPdPKlPlN2at6native12_GLOBAL__N_18offset_tEEE10hipError_tPvRmT1_PNSt15iterator_traitsISK_E10value_typeET2_T3_PNSL_ISQ_E10value_typeET4_jRbjT5_SW_jjP12ihipStream_tbEUlT_E2_NS1_11comp_targetILNS1_3genE10ELNS1_11target_archE1200ELNS1_3gpuE4ELNS1_3repE0EEENS1_30default_config_static_selectorELNS0_4arch9wavefront6targetE0EEEvSK_,"axG",@progbits,_ZN7rocprim17ROCPRIM_400000_NS6detail17trampoline_kernelINS0_14default_configENS1_36segmented_radix_sort_config_selectorIdlEEZNS1_25segmented_radix_sort_implIS3_Lb1EPKdPdPKlPlN2at6native12_GLOBAL__N_18offset_tEEE10hipError_tPvRmT1_PNSt15iterator_traitsISK_E10value_typeET2_T3_PNSL_ISQ_E10value_typeET4_jRbjT5_SW_jjP12ihipStream_tbEUlT_E2_NS1_11comp_targetILNS1_3genE10ELNS1_11target_archE1200ELNS1_3gpuE4ELNS1_3repE0EEENS1_30default_config_static_selectorELNS0_4arch9wavefront6targetE0EEEvSK_,comdat
.Lfunc_end1154:
	.size	_ZN7rocprim17ROCPRIM_400000_NS6detail17trampoline_kernelINS0_14default_configENS1_36segmented_radix_sort_config_selectorIdlEEZNS1_25segmented_radix_sort_implIS3_Lb1EPKdPdPKlPlN2at6native12_GLOBAL__N_18offset_tEEE10hipError_tPvRmT1_PNSt15iterator_traitsISK_E10value_typeET2_T3_PNSL_ISQ_E10value_typeET4_jRbjT5_SW_jjP12ihipStream_tbEUlT_E2_NS1_11comp_targetILNS1_3genE10ELNS1_11target_archE1200ELNS1_3gpuE4ELNS1_3repE0EEENS1_30default_config_static_selectorELNS0_4arch9wavefront6targetE0EEEvSK_, .Lfunc_end1154-_ZN7rocprim17ROCPRIM_400000_NS6detail17trampoline_kernelINS0_14default_configENS1_36segmented_radix_sort_config_selectorIdlEEZNS1_25segmented_radix_sort_implIS3_Lb1EPKdPdPKlPlN2at6native12_GLOBAL__N_18offset_tEEE10hipError_tPvRmT1_PNSt15iterator_traitsISK_E10value_typeET2_T3_PNSL_ISQ_E10value_typeET4_jRbjT5_SW_jjP12ihipStream_tbEUlT_E2_NS1_11comp_targetILNS1_3genE10ELNS1_11target_archE1200ELNS1_3gpuE4ELNS1_3repE0EEENS1_30default_config_static_selectorELNS0_4arch9wavefront6targetE0EEEvSK_
                                        ; -- End function
	.section	.AMDGPU.csdata,"",@progbits
; Kernel info:
; codeLenInByte = 0
; NumSgprs: 0
; NumVgprs: 0
; ScratchSize: 0
; MemoryBound: 0
; FloatMode: 240
; IeeeMode: 1
; LDSByteSize: 0 bytes/workgroup (compile time only)
; SGPRBlocks: 0
; VGPRBlocks: 0
; NumSGPRsForWavesPerEU: 1
; NumVGPRsForWavesPerEU: 1
; Occupancy: 16
; WaveLimiterHint : 0
; COMPUTE_PGM_RSRC2:SCRATCH_EN: 0
; COMPUTE_PGM_RSRC2:USER_SGPR: 15
; COMPUTE_PGM_RSRC2:TRAP_HANDLER: 0
; COMPUTE_PGM_RSRC2:TGID_X_EN: 1
; COMPUTE_PGM_RSRC2:TGID_Y_EN: 0
; COMPUTE_PGM_RSRC2:TGID_Z_EN: 0
; COMPUTE_PGM_RSRC2:TIDIG_COMP_CNT: 0
	.section	.text._ZN7rocprim17ROCPRIM_400000_NS6detail17trampoline_kernelINS0_14default_configENS1_36segmented_radix_sort_config_selectorIdlEEZNS1_25segmented_radix_sort_implIS3_Lb1EPKdPdPKlPlN2at6native12_GLOBAL__N_18offset_tEEE10hipError_tPvRmT1_PNSt15iterator_traitsISK_E10value_typeET2_T3_PNSL_ISQ_E10value_typeET4_jRbjT5_SW_jjP12ihipStream_tbEUlT_E2_NS1_11comp_targetILNS1_3genE9ELNS1_11target_archE1100ELNS1_3gpuE3ELNS1_3repE0EEENS1_30default_config_static_selectorELNS0_4arch9wavefront6targetE0EEEvSK_,"axG",@progbits,_ZN7rocprim17ROCPRIM_400000_NS6detail17trampoline_kernelINS0_14default_configENS1_36segmented_radix_sort_config_selectorIdlEEZNS1_25segmented_radix_sort_implIS3_Lb1EPKdPdPKlPlN2at6native12_GLOBAL__N_18offset_tEEE10hipError_tPvRmT1_PNSt15iterator_traitsISK_E10value_typeET2_T3_PNSL_ISQ_E10value_typeET4_jRbjT5_SW_jjP12ihipStream_tbEUlT_E2_NS1_11comp_targetILNS1_3genE9ELNS1_11target_archE1100ELNS1_3gpuE3ELNS1_3repE0EEENS1_30default_config_static_selectorELNS0_4arch9wavefront6targetE0EEEvSK_,comdat
	.globl	_ZN7rocprim17ROCPRIM_400000_NS6detail17trampoline_kernelINS0_14default_configENS1_36segmented_radix_sort_config_selectorIdlEEZNS1_25segmented_radix_sort_implIS3_Lb1EPKdPdPKlPlN2at6native12_GLOBAL__N_18offset_tEEE10hipError_tPvRmT1_PNSt15iterator_traitsISK_E10value_typeET2_T3_PNSL_ISQ_E10value_typeET4_jRbjT5_SW_jjP12ihipStream_tbEUlT_E2_NS1_11comp_targetILNS1_3genE9ELNS1_11target_archE1100ELNS1_3gpuE3ELNS1_3repE0EEENS1_30default_config_static_selectorELNS0_4arch9wavefront6targetE0EEEvSK_ ; -- Begin function _ZN7rocprim17ROCPRIM_400000_NS6detail17trampoline_kernelINS0_14default_configENS1_36segmented_radix_sort_config_selectorIdlEEZNS1_25segmented_radix_sort_implIS3_Lb1EPKdPdPKlPlN2at6native12_GLOBAL__N_18offset_tEEE10hipError_tPvRmT1_PNSt15iterator_traitsISK_E10value_typeET2_T3_PNSL_ISQ_E10value_typeET4_jRbjT5_SW_jjP12ihipStream_tbEUlT_E2_NS1_11comp_targetILNS1_3genE9ELNS1_11target_archE1100ELNS1_3gpuE3ELNS1_3repE0EEENS1_30default_config_static_selectorELNS0_4arch9wavefront6targetE0EEEvSK_
	.p2align	8
	.type	_ZN7rocprim17ROCPRIM_400000_NS6detail17trampoline_kernelINS0_14default_configENS1_36segmented_radix_sort_config_selectorIdlEEZNS1_25segmented_radix_sort_implIS3_Lb1EPKdPdPKlPlN2at6native12_GLOBAL__N_18offset_tEEE10hipError_tPvRmT1_PNSt15iterator_traitsISK_E10value_typeET2_T3_PNSL_ISQ_E10value_typeET4_jRbjT5_SW_jjP12ihipStream_tbEUlT_E2_NS1_11comp_targetILNS1_3genE9ELNS1_11target_archE1100ELNS1_3gpuE3ELNS1_3repE0EEENS1_30default_config_static_selectorELNS0_4arch9wavefront6targetE0EEEvSK_,@function
_ZN7rocprim17ROCPRIM_400000_NS6detail17trampoline_kernelINS0_14default_configENS1_36segmented_radix_sort_config_selectorIdlEEZNS1_25segmented_radix_sort_implIS3_Lb1EPKdPdPKlPlN2at6native12_GLOBAL__N_18offset_tEEE10hipError_tPvRmT1_PNSt15iterator_traitsISK_E10value_typeET2_T3_PNSL_ISQ_E10value_typeET4_jRbjT5_SW_jjP12ihipStream_tbEUlT_E2_NS1_11comp_targetILNS1_3genE9ELNS1_11target_archE1100ELNS1_3gpuE3ELNS1_3repE0EEENS1_30default_config_static_selectorELNS0_4arch9wavefront6targetE0EEEvSK_: ; @_ZN7rocprim17ROCPRIM_400000_NS6detail17trampoline_kernelINS0_14default_configENS1_36segmented_radix_sort_config_selectorIdlEEZNS1_25segmented_radix_sort_implIS3_Lb1EPKdPdPKlPlN2at6native12_GLOBAL__N_18offset_tEEE10hipError_tPvRmT1_PNSt15iterator_traitsISK_E10value_typeET2_T3_PNSL_ISQ_E10value_typeET4_jRbjT5_SW_jjP12ihipStream_tbEUlT_E2_NS1_11comp_targetILNS1_3genE9ELNS1_11target_archE1100ELNS1_3gpuE3ELNS1_3repE0EEENS1_30default_config_static_selectorELNS0_4arch9wavefront6targetE0EEEvSK_
; %bb.0:
	s_load_b128 s[4:7], s[0:1], 0x34
	s_mov_b32 s32, 0
	s_waitcnt lgkmcnt(0)
	s_add_i32 s60, s5, s14
	s_add_i32 s61, s7, s14
	s_mul_i32 s60, s60, s4
	s_mul_i32 s61, s61, s6
	s_delay_alu instid0(SALU_CYCLE_1)
	s_cmp_le_u32 s61, s60
	s_cbranch_scc1 .LBB1155_1199
; %bb.1:
	s_clause 0x3
	s_load_b32 s2, s[0:1], 0x30
	s_load_b128 s[52:55], s[0:1], 0x20
	s_load_b128 s[56:59], s[0:1], 0x44
	s_load_b256 s[44:51], s[0:1], 0x0
	s_waitcnt lgkmcnt(0)
	s_bitcmp1_b32 s2, 0
	s_mov_b32 s2, -1
	s_cselect_b32 s59, -1, 0
	s_sub_i32 s62, s61, s60
	s_delay_alu instid0(SALU_CYCLE_1)
	s_cmpk_lt_u32 s62, 0x1001
	s_cbranch_scc0 .LBB1155_12
; %bb.2:
	s_cmp_lt_u32 s62, 33
	s_cbranch_scc0 .LBB1155_6
; %bb.3:
	s_load_b32 s2, s[0:1], 0x5c
	v_bfe_u32 v1, v0, 10, 10
	v_bfe_u32 v2, v0, 20, 10
	s_mov_b32 s18, exec_lo
	s_waitcnt lgkmcnt(0)
	s_lshr_b32 s3, s2, 16
	s_and_b32 s2, s2, 0xffff
	v_mad_u32_u24 v4, v2, s3, v1
	v_and_b32_e32 v1, 0x3ff, v0
	s_delay_alu instid0(VALU_DEP_1) | instskip(NEXT) | instid1(VALU_DEP_1)
	v_mad_u64_u32 v[2:3], null, v4, s2, v[1:2]
	v_cmpx_gt_u32_e32 8, v2
	s_cbranch_execz .LBB1155_5
; %bb.4:
	s_bitcmp1_b32 s56, 0
	v_mov_b32_e32 v31, v0
	s_cselect_b32 s2, -1, 0
	v_dual_mov_b32 v40, v0 :: v_dual_mov_b32 v1, s45
	s_xor_b32 s4, s59, s2
	s_mov_b64 s[2:3], src_shared_base
	s_xor_b32 s2, s4, -1
	v_mov_b32_e32 v0, s44
	v_cndmask_b32_e64 v12, 0, 1, s2
	v_dual_mov_b32 v2, s46 :: v_dual_mov_b32 v3, s47
	v_dual_mov_b32 v4, s48 :: v_dual_mov_b32 v5, s49
	;; [unrolled: 1-line block ×7, first 2 shown]
	s_add_u32 s8, s0, 0x50
	s_addc_u32 s9, s1, 0
	s_mov_b32 s12, s14
	s_mov_b32 s13, s15
	s_getpc_b64 s[4:5]
	s_add_u32 s4, s4, _ZN7rocprim17ROCPRIM_400000_NS6detail26segmented_warp_sort_helperINS1_20WarpSortHelperConfigILj8ELj4ELj256EEEdlLi256ELb1EvE4sortIPKdPdPKlPlEEvT_S9_T0_T1_SC_T2_bjjjjRNS5_12storage_typeE@rel32@lo+4
	s_addc_u32 s5, s5, _ZN7rocprim17ROCPRIM_400000_NS6detail26segmented_warp_sort_helperINS1_20WarpSortHelperConfigILj8ELj4ELj256EEEdlLi256ELb1EvE4sortIPKdPdPKlPlEEvT_S9_T0_T1_SC_T2_bjjjjRNS5_12storage_typeE@rel32@hi+12
	s_mov_b64 s[16:17], s[0:1]
	s_mov_b32 s20, s15
	s_mov_b32 s19, s14
	s_swappc_b64 s[30:31], s[4:5]
	v_mov_b32_e32 v0, v40
	s_mov_b32 s14, s19
	s_mov_b32 s15, s20
	s_mov_b64 s[0:1], s[16:17]
.LBB1155_5:
	s_or_b32 exec_lo, exec_lo, s18
	s_mov_b32 s2, 0
.LBB1155_6:
	s_delay_alu instid0(SALU_CYCLE_1)
	s_and_not1_b32 vcc_lo, exec_lo, s2
	s_cbranch_vccnz .LBB1155_11
; %bb.7:
	v_cndmask_b32_e64 v1, 0, 1, s59
	s_and_b32 s2, s56, 1
	s_delay_alu instid0(VALU_DEP_1) | instid1(SALU_CYCLE_1)
	v_cmp_ne_u32_e32 vcc_lo, s2, v1
	s_mov_b32 s2, -1
	s_cbranch_vccnz .LBB1155_9
; %bb.8:
	s_mov_b64 s[2:3], src_shared_base
	v_mov_b32_e32 v31, v0
	v_dual_mov_b32 v40, v0 :: v_dual_mov_b32 v1, s45
	v_mov_b32_e32 v0, s44
	v_dual_mov_b32 v2, s48 :: v_dual_mov_b32 v3, s49
	v_dual_mov_b32 v4, s50 :: v_dual_mov_b32 v5, s51
	;; [unrolled: 1-line block ×6, first 2 shown]
	s_add_u32 s8, s0, 0x50
	s_addc_u32 s9, s1, 0
	s_mov_b32 s12, s14
	s_mov_b32 s13, s15
	s_getpc_b64 s[4:5]
	s_add_u32 s4, s4, _ZN7rocprim17ROCPRIM_400000_NS6detail40segmented_radix_sort_single_block_helperIdlLj256ELj16ELb1EE4sortIPKdPdPKlPlEEbT_T0_T1_T2_jjjjRNS3_12storage_typeE@rel32@lo+4
	s_addc_u32 s5, s5, _ZN7rocprim17ROCPRIM_400000_NS6detail40segmented_radix_sort_single_block_helperIdlLj256ELj16ELb1EE4sortIPKdPdPKlPlEEbT_T0_T1_T2_jjjjRNS3_12storage_typeE@rel32@hi+12
	s_mov_b64 s[34:35], s[0:1]
	s_mov_b32 s29, s15
	s_mov_b32 s33, s14
	s_swappc_b64 s[30:31], s[4:5]
	v_mov_b32_e32 v0, v40
	s_mov_b32 s14, s33
	s_mov_b32 s15, s29
	s_mov_b64 s[0:1], s[34:35]
	s_mov_b32 s2, 0
.LBB1155_9:
	s_delay_alu instid0(SALU_CYCLE_1)
	s_and_not1_b32 vcc_lo, exec_lo, s2
	s_cbranch_vccnz .LBB1155_11
; %bb.10:
	s_mov_b64 s[2:3], src_shared_base
	v_mov_b32_e32 v31, v0
	v_dual_mov_b32 v40, v0 :: v_dual_mov_b32 v1, s45
	v_mov_b32_e32 v0, s44
	v_dual_mov_b32 v2, s46 :: v_dual_mov_b32 v3, s47
	v_dual_mov_b32 v4, s50 :: v_dual_mov_b32 v5, s51
	;; [unrolled: 1-line block ×6, first 2 shown]
	s_add_u32 s8, s0, 0x50
	s_addc_u32 s9, s1, 0
	s_mov_b32 s12, s14
	s_mov_b32 s13, s15
	s_getpc_b64 s[4:5]
	s_add_u32 s4, s4, _ZN7rocprim17ROCPRIM_400000_NS6detail40segmented_radix_sort_single_block_helperIdlLj256ELj16ELb1EE4sortIPKdPdPKlPlEEbT_T0_T1_T2_jjjjRNS3_12storage_typeE@rel32@lo+4
	s_addc_u32 s5, s5, _ZN7rocprim17ROCPRIM_400000_NS6detail40segmented_radix_sort_single_block_helperIdlLj256ELj16ELb1EE4sortIPKdPdPKlPlEEbT_T0_T1_T2_jjjjRNS3_12storage_typeE@rel32@hi+12
	s_mov_b64 s[34:35], s[0:1]
	s_mov_b32 s33, s15
	s_mov_b32 s29, s14
	s_swappc_b64 s[30:31], s[4:5]
	v_mov_b32_e32 v0, v40
	s_mov_b32 s14, s29
	s_mov_b32 s15, s33
	s_mov_b64 s[0:1], s[34:35]
.LBB1155_11:
	s_mov_b32 s2, 0
.LBB1155_12:
	s_delay_alu instid0(SALU_CYCLE_1)
	s_and_not1_b32 vcc_lo, exec_lo, s2
	s_cbranch_vccnz .LBB1155_1199
; %bb.13:
	s_cmp_ge_u32 s57, s58
	s_cbranch_scc1 .LBB1155_1199
; %bb.14:
	v_and_b32_e32 v1, 0x3ff, v0
	v_mov_b32_e32 v3, 0
	v_bfe_u32 v101, v0, 20, 10
	s_add_u32 s36, s0, 0x50
	v_bfe_u32 v0, v0, 10, 10
	v_lshlrev_b32_e32 v76, 2, v1
	v_lshrrev_b32_e32 v4, 3, v1
	v_lshlrev_b32_e32 v6, 5, v1
	v_dual_mov_b32 v123, 1 :: v_dual_lshlrev_b32 v2, 3, v1
	s_delay_alu instid0(VALU_DEP_4) | instskip(NEXT) | instid1(VALU_DEP_4)
	v_mad_u32_u24 v96, v1, 12, v76
	v_and_b32_e32 v94, 28, v4
	v_lshlrev_b32_e32 v4, 4, v1
	v_or_b32_e32 v5, 31, v1
	v_or_b32_e32 v78, 0x200, v1
	v_mad_u32_u24 v102, v1, 20, v96
	v_or_b32_e32 v79, 0x300, v1
	v_and_b32_e32 v100, 0xe00, v4
	v_cmp_eq_u32_e64 s3, v5, v1
	v_mul_u32_u24_e32 v4, 9, v1
	v_sub_nc_u32_e32 v104, v102, v6
	v_add_nc_u32_e32 v5, 1, v1
	v_lshlrev_b32_e32 v6, 3, v100
	v_or_b32_e32 v83, 0x400, v1
	v_or_b32_e32 v84, 0x500, v1
	;; [unrolled: 1-line block ×4, first 2 shown]
	v_add_co_u32 v106, s7, s54, v6
	s_delay_alu instid0(VALU_DEP_1) | instskip(SKIP_1) | instid1(VALU_DEP_1)
	v_add_co_ci_u32_e64 v107, null, s55, 0, s7
	v_add_co_u32 v108, s7, s48, v6
	v_add_co_ci_u32_e64 v109, null, s49, 0, s7
	v_add_co_u32 v111, s7, s46, v2
	s_delay_alu instid0(VALU_DEP_1) | instskip(SKIP_1) | instid1(VALU_DEP_1)
	v_add_co_ci_u32_e64 v112, null, s47, 0, s7
	v_add_co_u32 v113, s7, s52, v6
	v_add_co_ci_u32_e64 v114, null, s53, 0, s7
	v_add_co_u32 v115, s7, s46, v6
	s_delay_alu instid0(VALU_DEP_1)
	v_add_co_ci_u32_e64 v116, null, s47, 0, s7
	v_add_co_u32 v117, s7, s44, v2
	v_or_b32_e32 v87, 0x800, v1
	v_or_b32_e32 v88, 0x900, v1
	;; [unrolled: 1-line block ×5, first 2 shown]
	v_lshl_add_u32 v103, v4, 2, 0x420
	v_mul_u32_u24_e32 v4, 9, v5
	v_add_co_ci_u32_e64 v118, null, s45, 0, s7
	v_add_co_u32 v119, s7, s50, v6
	v_add_co_u32 v81, s2, s48, v2
	v_add_co_ci_u32_e64 v120, null, s51, 0, s7
	v_add_co_u32 v121, s7, s44, v6
	v_or_b32_e32 v77, 0x100, v1
	v_and_b32_e32 v80, 3, v1
	v_add_co_ci_u32_e64 v82, null, s49, 0, s2
	v_or_b32_e32 v92, 0xd00, v1
	v_or_b32_e32 v93, 0xe00, v1
	;; [unrolled: 1-line block ×3, first 2 shown]
	v_cmp_gt_u32_e64 s2, 0x100, v1
	v_or_b32_e32 v97, 0x8400, v94
	v_cmp_gt_u32_e64 s4, 8, v1
	v_add_nc_u32_e32 v98, 0x8400, v76
	v_cmp_lt_u32_e64 s5, 31, v1
	v_add_nc_u32_e32 v99, 0x83fc, v94
	v_cmp_eq_u32_e64 s0, 0, v1
	v_cmp_ne_u32_e64 s6, 0x100, v5
	v_lshlrev_b32_e32 v105, 2, v4
	v_add_nc_u32_e32 v110, 0x400, v2
	v_add_co_ci_u32_e64 v122, null, s45, 0, s7
	v_lshlrev_b32_e32 v124, 3, v1
	v_lshlrev_b32_e32 v125, 3, v78
	;; [unrolled: 1-line block ×12, first 2 shown]
	v_mbcnt_lo_u32_b32 v136, -1, 0
	s_mov_b32 s34, 0
	s_brev_b32 s35, 1
	s_addc_u32 s37, s1, 0
	s_mov_b32 s40, s57
	s_mov_b32 s41, s57
	s_branch .LBB1155_17
.LBB1155_15:                            ;   in Loop: Header=BB1155_17 Depth=1
	s_waitcnt lgkmcnt(0)
	s_barrier
.LBB1155_16:                            ;   in Loop: Header=BB1155_17 Depth=1
	s_add_i32 s41, s41, 8
	buffer_gl0_inv
	s_cmp_ge_u32 s41, s58
	s_cbranch_scc1 .LBB1155_1199
.LBB1155_17:                            ; =>This Loop Header: Depth=1
                                        ;     Child Loop BB1155_21 Depth 2
                                        ;     Child Loop BB1155_103 Depth 2
	;; [unrolled: 1-line block ×8, first 2 shown]
	s_sub_i32 s1, s58, s41
	s_xor_b32 s59, s59, -1
	s_min_u32 s42, s1, 8
	s_cmp_lg_u32 s41, s57
	s_mov_b32 s1, -1
	ds_store_2addr_stride64_b32 v76, v3, v3 offset1:4
	ds_store_2addr_stride64_b32 v76, v3, v3 offset0:8 offset1:12
	s_waitcnt lgkmcnt(0)
	s_waitcnt_vscnt null, 0x0
	s_cbranch_scc0 .LBB1155_609
; %bb.18:                               ;   in Loop: Header=BB1155_17 Depth=1
	s_lshl_b32 s1, -1, s42
	s_and_b32 vcc_lo, exec_lo, s59
	s_not_b32 s43, s1
	s_mov_b32 s1, -1
	s_cbranch_vccz .LBB1155_313
; %bb.19:                               ;   in Loop: Header=BB1155_17 Depth=1
	s_mov_b32 s1, s62
	s_mov_b32 s8, s60
	s_barrier
	buffer_gl0_inv
                                        ; implicit-def: $vgpr34_vgpr35
                                        ; implicit-def: $vgpr4_vgpr5
                                        ; implicit-def: $vgpr6_vgpr7
                                        ; implicit-def: $vgpr8_vgpr9
                                        ; implicit-def: $vgpr10_vgpr11
                                        ; implicit-def: $vgpr12_vgpr13
                                        ; implicit-def: $vgpr14_vgpr15
                                        ; implicit-def: $vgpr16_vgpr17
                                        ; implicit-def: $vgpr18_vgpr19
                                        ; implicit-def: $vgpr20_vgpr21
                                        ; implicit-def: $vgpr22_vgpr23
                                        ; implicit-def: $vgpr24_vgpr25
                                        ; implicit-def: $vgpr26_vgpr27
                                        ; implicit-def: $vgpr28_vgpr29
                                        ; implicit-def: $vgpr30_vgpr31
                                        ; implicit-def: $vgpr32_vgpr33
	s_branch .LBB1155_21
.LBB1155_20:                            ;   in Loop: Header=BB1155_21 Depth=2
	s_or_b32 exec_lo, exec_lo, s8
	s_addk_i32 s1, 0xf000
	s_cmp_ge_u32 s7, s61
	s_mov_b32 s8, s7
	s_cbranch_scc1 .LBB1155_91
.LBB1155_21:                            ;   Parent Loop BB1155_17 Depth=1
                                        ; =>  This Inner Loop Header: Depth=2
	s_add_i32 s7, s8, 0x1000
	s_delay_alu instid0(SALU_CYCLE_1)
	s_cmp_gt_u32 s7, s61
	s_cbranch_scc1 .LBB1155_24
; %bb.22:                               ;   in Loop: Header=BB1155_21 Depth=2
	s_mov_b32 s9, 0
	s_movk_i32 s13, 0x1000
	s_lshl_b64 s[10:11], s[8:9], 3
	s_mov_b32 s12, -1
	v_add_co_u32 v36, vcc_lo, v81, s10
	v_add_co_ci_u32_e32 v37, vcc_lo, s11, v82, vcc_lo
	s_waitcnt vmcnt(12)
	s_delay_alu instid0(VALU_DEP_2) | instskip(NEXT) | instid1(VALU_DEP_2)
	v_add_co_u32 v42, vcc_lo, 0x1000, v36
	v_add_co_ci_u32_e32 v43, vcc_lo, 0, v37, vcc_lo
	s_waitcnt vmcnt(11)
	v_add_co_u32 v44, vcc_lo, 0x2000, v36
	v_add_co_ci_u32_e32 v45, vcc_lo, 0, v37, vcc_lo
	s_waitcnt vmcnt(1)
	v_add_co_u32 v50, vcc_lo, v36, 0x2000
	v_add_co_ci_u32_e32 v51, vcc_lo, 0, v37, vcc_lo
	v_add_co_u32 v52, vcc_lo, v36, 0x4000
	v_add_co_ci_u32_e32 v53, vcc_lo, 0, v37, vcc_lo
	;; [unrolled: 2-line block ×7, first 2 shown]
	s_waitcnt vmcnt(0)
	v_add_co_u32 v66, vcc_lo, 0x7000, v36
	v_add_co_ci_u32_e32 v67, vcc_lo, 0, v37, vcc_lo
	s_clause 0xe
	global_load_b64 v[38:39], v[36:37], off
	global_load_b64 v[40:41], v[36:37], off offset:2048
	global_load_b64 v[42:43], v[42:43], off offset:2048
	global_load_b64 v[44:45], v[44:45], off offset:2048
	global_load_b64 v[46:47], v[50:51], off
	global_load_b64 v[48:49], v[52:53], off offset:-4096
	global_load_b64 v[52:53], v[52:53], off
	global_load_b64 v[56:57], v[60:61], off offset:-4096
	global_load_b64 v[60:61], v[60:61], off
	global_load_b64 v[54:55], v[54:55], off offset:2048
	global_load_b64 v[58:59], v[58:59], off offset:2048
	;; [unrolled: 1-line block ×4, first 2 shown]
	global_load_b64 v[50:51], v[50:51], off offset:-4096
	global_load_b64 v[66:67], v[66:67], off
	v_add_co_u32 v36, vcc_lo, 0x7800, v36
	v_add_co_ci_u32_e32 v37, vcc_lo, 0, v37, vcc_lo
	s_cbranch_execz .LBB1155_25
; %bb.23:                               ;   in Loop: Header=BB1155_21 Depth=2
                                        ; implicit-def: $vgpr32_vgpr33
                                        ; implicit-def: $vgpr30_vgpr31
                                        ; implicit-def: $vgpr28_vgpr29
                                        ; implicit-def: $vgpr26_vgpr27
                                        ; implicit-def: $vgpr24_vgpr25
                                        ; implicit-def: $vgpr22_vgpr23
                                        ; implicit-def: $vgpr20_vgpr21
                                        ; implicit-def: $vgpr18_vgpr19
                                        ; implicit-def: $vgpr16_vgpr17
                                        ; implicit-def: $vgpr14_vgpr15
                                        ; implicit-def: $vgpr12_vgpr13
                                        ; implicit-def: $vgpr10_vgpr11
                                        ; implicit-def: $vgpr8_vgpr9
                                        ; implicit-def: $vgpr6_vgpr7
                                        ; implicit-def: $vgpr4_vgpr5
                                        ; implicit-def: $vgpr34_vgpr35
	v_mov_b32_e32 v2, s1
	s_and_saveexec_b32 s8, s12
	s_cbranch_execnz .LBB1155_44
	s_branch .LBB1155_45
.LBB1155_24:                            ;   in Loop: Header=BB1155_21 Depth=2
	s_mov_b32 s12, 0
                                        ; implicit-def: $sgpr13
                                        ; implicit-def: $vgpr38_vgpr39
                                        ; implicit-def: $vgpr40_vgpr41
                                        ; implicit-def: $vgpr50_vgpr51
                                        ; implicit-def: $vgpr42_vgpr43
                                        ; implicit-def: $vgpr46_vgpr47
                                        ; implicit-def: $vgpr44_vgpr45
                                        ; implicit-def: $vgpr48_vgpr49
                                        ; implicit-def: $vgpr54_vgpr55
                                        ; implicit-def: $vgpr52_vgpr53
                                        ; implicit-def: $vgpr58_vgpr59
                                        ; implicit-def: $vgpr56_vgpr57
                                        ; implicit-def: $vgpr62_vgpr63
                                        ; implicit-def: $vgpr60_vgpr61
                                        ; implicit-def: $vgpr64_vgpr65
                                        ; implicit-def: $vgpr66_vgpr67
                                        ; implicit-def: $vgpr36_vgpr37
.LBB1155_25:                            ;   in Loop: Header=BB1155_21 Depth=2
	s_mov_b32 s9, s34
	s_delay_alu instid0(SALU_CYCLE_1)
	s_lshl_b64 s[10:11], s[8:9], 3
	s_mov_b32 s9, exec_lo
	s_add_u32 s10, s48, s10
	s_addc_u32 s11, s49, s11
	v_cmpx_gt_u32_e64 s1, v1
	s_cbranch_execz .LBB1155_77
; %bb.26:                               ;   in Loop: Header=BB1155_21 Depth=2
	global_load_b64 v[32:33], v124, s[10:11]
	s_or_b32 exec_lo, exec_lo, s9
	s_delay_alu instid0(SALU_CYCLE_1)
	s_mov_b32 s9, exec_lo
	v_cmpx_gt_u32_e64 s1, v77
	s_cbranch_execnz .LBB1155_78
.LBB1155_27:                            ;   in Loop: Header=BB1155_21 Depth=2
	s_or_b32 exec_lo, exec_lo, s9
	s_delay_alu instid0(SALU_CYCLE_1)
	s_mov_b32 s9, exec_lo
	v_cmpx_gt_u32_e64 s1, v78
	s_cbranch_execz .LBB1155_79
.LBB1155_28:                            ;   in Loop: Header=BB1155_21 Depth=2
	global_load_b64 v[28:29], v125, s[10:11]
	s_or_b32 exec_lo, exec_lo, s9
	s_delay_alu instid0(SALU_CYCLE_1)
	s_mov_b32 s9, exec_lo
	v_cmpx_gt_u32_e64 s1, v79
	s_cbranch_execnz .LBB1155_80
.LBB1155_29:                            ;   in Loop: Header=BB1155_21 Depth=2
	s_or_b32 exec_lo, exec_lo, s9
	s_delay_alu instid0(SALU_CYCLE_1)
	s_mov_b32 s9, exec_lo
	v_cmpx_gt_u32_e64 s1, v83
	s_cbranch_execz .LBB1155_81
.LBB1155_30:                            ;   in Loop: Header=BB1155_21 Depth=2
	global_load_b64 v[24:25], v127, s[10:11]
	s_or_b32 exec_lo, exec_lo, s9
	s_delay_alu instid0(SALU_CYCLE_1)
	s_mov_b32 s9, exec_lo
	v_cmpx_gt_u32_e64 s1, v84
	s_cbranch_execnz .LBB1155_82
.LBB1155_31:                            ;   in Loop: Header=BB1155_21 Depth=2
	s_or_b32 exec_lo, exec_lo, s9
	s_delay_alu instid0(SALU_CYCLE_1)
	s_mov_b32 s9, exec_lo
	v_cmpx_gt_u32_e64 s1, v85
	s_cbranch_execz .LBB1155_83
.LBB1155_32:                            ;   in Loop: Header=BB1155_21 Depth=2
	global_load_b64 v[20:21], v129, s[10:11]
	s_or_b32 exec_lo, exec_lo, s9
	s_delay_alu instid0(SALU_CYCLE_1)
	s_mov_b32 s9, exec_lo
	v_cmpx_gt_u32_e64 s1, v86
	s_cbranch_execnz .LBB1155_84
.LBB1155_33:                            ;   in Loop: Header=BB1155_21 Depth=2
	s_or_b32 exec_lo, exec_lo, s9
	s_delay_alu instid0(SALU_CYCLE_1)
	s_mov_b32 s9, exec_lo
	v_cmpx_gt_u32_e64 s1, v87
	s_cbranch_execz .LBB1155_85
.LBB1155_34:                            ;   in Loop: Header=BB1155_21 Depth=2
	global_load_b64 v[16:17], v131, s[10:11]
	s_or_b32 exec_lo, exec_lo, s9
	s_delay_alu instid0(SALU_CYCLE_1)
	s_mov_b32 s9, exec_lo
	v_cmpx_gt_u32_e64 s1, v88
	s_cbranch_execnz .LBB1155_86
.LBB1155_35:                            ;   in Loop: Header=BB1155_21 Depth=2
	s_or_b32 exec_lo, exec_lo, s9
	s_delay_alu instid0(SALU_CYCLE_1)
	s_mov_b32 s9, exec_lo
	v_cmpx_gt_u32_e64 s1, v89
	s_cbranch_execz .LBB1155_87
.LBB1155_36:                            ;   in Loop: Header=BB1155_21 Depth=2
	global_load_b64 v[12:13], v133, s[10:11]
	s_or_b32 exec_lo, exec_lo, s9
	s_delay_alu instid0(SALU_CYCLE_1)
	s_mov_b32 s9, exec_lo
	v_cmpx_gt_u32_e64 s1, v90
	s_cbranch_execnz .LBB1155_88
.LBB1155_37:                            ;   in Loop: Header=BB1155_21 Depth=2
	s_or_b32 exec_lo, exec_lo, s9
	s_delay_alu instid0(SALU_CYCLE_1)
	s_mov_b32 s9, exec_lo
	v_cmpx_gt_u32_e64 s1, v91
	s_cbranch_execz .LBB1155_89
.LBB1155_38:                            ;   in Loop: Header=BB1155_21 Depth=2
	global_load_b64 v[8:9], v135, s[10:11]
	s_or_b32 exec_lo, exec_lo, s9
	s_delay_alu instid0(SALU_CYCLE_1)
	s_mov_b32 s9, exec_lo
	v_cmpx_gt_u32_e64 s1, v92
	s_cbranch_execnz .LBB1155_90
.LBB1155_39:                            ;   in Loop: Header=BB1155_21 Depth=2
	s_or_b32 exec_lo, exec_lo, s9
	s_delay_alu instid0(SALU_CYCLE_1)
	s_mov_b32 s9, exec_lo
	v_cmpx_gt_u32_e64 s1, v93
	s_cbranch_execz .LBB1155_41
.LBB1155_40:                            ;   in Loop: Header=BB1155_21 Depth=2
	v_lshlrev_b32_e32 v2, 3, v93
	global_load_b64 v[4:5], v2, s[10:11]
.LBB1155_41:                            ;   in Loop: Header=BB1155_21 Depth=2
	s_or_b32 exec_lo, exec_lo, s9
	s_delay_alu instid0(SALU_CYCLE_1)
	s_mov_b32 s9, exec_lo
                                        ; implicit-def: $sgpr13
                                        ; implicit-def: $vgpr36_vgpr37
	v_cmpx_gt_u32_e64 s1, v95
; %bb.42:                               ;   in Loop: Header=BB1155_21 Depth=2
	v_lshlrev_b32_e32 v2, 3, v95
	s_sub_i32 s13, s61, s8
	s_or_b32 s12, s12, exec_lo
                                        ; implicit-def: $vgpr34_vgpr35
	s_delay_alu instid0(VALU_DEP_1) | instskip(NEXT) | instid1(VALU_DEP_1)
	v_add_co_u32 v36, s10, s10, v2
	v_add_co_ci_u32_e64 v37, null, s11, 0, s10
; %bb.43:                               ;   in Loop: Header=BB1155_21 Depth=2
	s_or_b32 exec_lo, exec_lo, s9
	s_waitcnt vmcnt(0)
	v_dual_mov_b32 v39, v33 :: v_dual_mov_b32 v38, v32
	v_dual_mov_b32 v41, v31 :: v_dual_mov_b32 v40, v30
	;; [unrolled: 1-line block ×15, first 2 shown]
	v_mov_b32_e32 v2, s1
	s_and_saveexec_b32 s8, s12
	s_cbranch_execz .LBB1155_45
.LBB1155_44:                            ;   in Loop: Header=BB1155_21 Depth=2
	global_load_b64 v[34:35], v[36:37], off
	s_waitcnt vmcnt(1)
	v_mov_b32_e32 v4, v66
	v_mov_b32_e32 v6, v64
	;; [unrolled: 1-line block ×14, first 2 shown]
	v_dual_mov_b32 v32, v38 :: v_dual_mov_b32 v33, v39
	v_dual_mov_b32 v2, s13 :: v_dual_mov_b32 v5, v67
	v_mov_b32_e32 v7, v65
	v_mov_b32_e32 v9, v61
	;; [unrolled: 1-line block ×13, first 2 shown]
.LBB1155_45:                            ;   in Loop: Header=BB1155_21 Depth=2
	s_or_b32 exec_lo, exec_lo, s8
	s_delay_alu instid0(SALU_CYCLE_1)
	s_mov_b32 s8, exec_lo
	v_cmpx_lt_u32_e64 v1, v2
	s_cbranch_execz .LBB1155_61
; %bb.46:                               ;   in Loop: Header=BB1155_21 Depth=2
	v_cmp_gt_i64_e32 vcc_lo, 0, v[32:33]
	v_ashrrev_i32_e32 v36, 31, v33
	s_delay_alu instid0(VALU_DEP_1) | instskip(SKIP_1) | instid1(VALU_DEP_2)
	v_not_b32_e32 v36, v36
	v_cndmask_b32_e64 v37, 0x7fffffff, 0, vcc_lo
	v_xor_b32_e32 v36, v36, v32
	s_delay_alu instid0(VALU_DEP_2) | instskip(NEXT) | instid1(VALU_DEP_1)
	v_xor_b32_e32 v37, v37, v33
	v_cmp_ne_u64_e32 vcc_lo, s[34:35], v[36:37]
	v_cndmask_b32_e32 v37, 0x7fffffff, v37, vcc_lo
	v_cndmask_b32_e32 v36, -1, v36, vcc_lo
	s_delay_alu instid0(VALU_DEP_1) | instskip(SKIP_1) | instid1(VALU_DEP_2)
	v_lshrrev_b64 v[36:37], s41, v[36:37]
	v_lshlrev_b32_e32 v37, 2, v80
	v_and_b32_e32 v36, s43, v36
	s_delay_alu instid0(VALU_DEP_1) | instskip(SKIP_2) | instid1(SALU_CYCLE_1)
	v_lshl_or_b32 v36, v36, 4, v37
	ds_add_u32 v36, v123
	s_or_b32 exec_lo, exec_lo, s8
	s_mov_b32 s8, exec_lo
	v_cmpx_lt_u32_e64 v77, v2
	s_cbranch_execnz .LBB1155_62
.LBB1155_47:                            ;   in Loop: Header=BB1155_21 Depth=2
	s_or_b32 exec_lo, exec_lo, s8
	s_delay_alu instid0(SALU_CYCLE_1)
	s_mov_b32 s8, exec_lo
	v_cmpx_lt_u32_e64 v78, v2
	s_cbranch_execz .LBB1155_63
.LBB1155_48:                            ;   in Loop: Header=BB1155_21 Depth=2
	v_cmp_gt_i64_e32 vcc_lo, 0, v[28:29]
	v_ashrrev_i32_e32 v36, 31, v29
	s_delay_alu instid0(VALU_DEP_1) | instskip(SKIP_1) | instid1(VALU_DEP_2)
	v_not_b32_e32 v36, v36
	v_cndmask_b32_e64 v37, 0x7fffffff, 0, vcc_lo
	v_xor_b32_e32 v36, v36, v28
	s_delay_alu instid0(VALU_DEP_2) | instskip(NEXT) | instid1(VALU_DEP_1)
	v_xor_b32_e32 v37, v37, v29
	v_cmp_ne_u64_e32 vcc_lo, s[34:35], v[36:37]
	v_cndmask_b32_e32 v37, 0x7fffffff, v37, vcc_lo
	v_cndmask_b32_e32 v36, -1, v36, vcc_lo
	s_delay_alu instid0(VALU_DEP_1) | instskip(SKIP_1) | instid1(VALU_DEP_2)
	v_lshrrev_b64 v[36:37], s41, v[36:37]
	v_lshlrev_b32_e32 v37, 2, v80
	v_and_b32_e32 v36, s43, v36
	s_delay_alu instid0(VALU_DEP_1) | instskip(SKIP_2) | instid1(SALU_CYCLE_1)
	v_lshl_or_b32 v36, v36, 4, v37
	ds_add_u32 v36, v123
	s_or_b32 exec_lo, exec_lo, s8
	s_mov_b32 s8, exec_lo
	v_cmpx_lt_u32_e64 v79, v2
	s_cbranch_execnz .LBB1155_64
.LBB1155_49:                            ;   in Loop: Header=BB1155_21 Depth=2
	s_or_b32 exec_lo, exec_lo, s8
	s_delay_alu instid0(SALU_CYCLE_1)
	s_mov_b32 s8, exec_lo
	v_cmpx_lt_u32_e64 v83, v2
	s_cbranch_execz .LBB1155_65
.LBB1155_50:                            ;   in Loop: Header=BB1155_21 Depth=2
	v_cmp_gt_i64_e32 vcc_lo, 0, v[24:25]
	v_ashrrev_i32_e32 v36, 31, v25
	s_delay_alu instid0(VALU_DEP_1) | instskip(SKIP_1) | instid1(VALU_DEP_2)
	v_not_b32_e32 v36, v36
	v_cndmask_b32_e64 v37, 0x7fffffff, 0, vcc_lo
	v_xor_b32_e32 v36, v36, v24
	s_delay_alu instid0(VALU_DEP_2) | instskip(NEXT) | instid1(VALU_DEP_1)
	v_xor_b32_e32 v37, v37, v25
	v_cmp_ne_u64_e32 vcc_lo, s[34:35], v[36:37]
	v_cndmask_b32_e32 v37, 0x7fffffff, v37, vcc_lo
	v_cndmask_b32_e32 v36, -1, v36, vcc_lo
	s_delay_alu instid0(VALU_DEP_1) | instskip(SKIP_1) | instid1(VALU_DEP_2)
	v_lshrrev_b64 v[36:37], s41, v[36:37]
	v_lshlrev_b32_e32 v37, 2, v80
	v_and_b32_e32 v36, s43, v36
	s_delay_alu instid0(VALU_DEP_1) | instskip(SKIP_2) | instid1(SALU_CYCLE_1)
	v_lshl_or_b32 v36, v36, 4, v37
	ds_add_u32 v36, v123
	s_or_b32 exec_lo, exec_lo, s8
	s_mov_b32 s8, exec_lo
	v_cmpx_lt_u32_e64 v84, v2
	s_cbranch_execnz .LBB1155_66
.LBB1155_51:                            ;   in Loop: Header=BB1155_21 Depth=2
	s_or_b32 exec_lo, exec_lo, s8
	s_delay_alu instid0(SALU_CYCLE_1)
	s_mov_b32 s8, exec_lo
	v_cmpx_lt_u32_e64 v85, v2
	s_cbranch_execz .LBB1155_67
.LBB1155_52:                            ;   in Loop: Header=BB1155_21 Depth=2
	v_cmp_gt_i64_e32 vcc_lo, 0, v[20:21]
	v_ashrrev_i32_e32 v36, 31, v21
	s_delay_alu instid0(VALU_DEP_1) | instskip(SKIP_1) | instid1(VALU_DEP_2)
	v_not_b32_e32 v36, v36
	v_cndmask_b32_e64 v37, 0x7fffffff, 0, vcc_lo
	v_xor_b32_e32 v36, v36, v20
	s_delay_alu instid0(VALU_DEP_2) | instskip(NEXT) | instid1(VALU_DEP_1)
	v_xor_b32_e32 v37, v37, v21
	v_cmp_ne_u64_e32 vcc_lo, s[34:35], v[36:37]
	v_cndmask_b32_e32 v37, 0x7fffffff, v37, vcc_lo
	v_cndmask_b32_e32 v36, -1, v36, vcc_lo
	s_delay_alu instid0(VALU_DEP_1) | instskip(SKIP_1) | instid1(VALU_DEP_2)
	v_lshrrev_b64 v[36:37], s41, v[36:37]
	v_lshlrev_b32_e32 v37, 2, v80
	v_and_b32_e32 v36, s43, v36
	s_delay_alu instid0(VALU_DEP_1) | instskip(SKIP_2) | instid1(SALU_CYCLE_1)
	v_lshl_or_b32 v36, v36, 4, v37
	ds_add_u32 v36, v123
	s_or_b32 exec_lo, exec_lo, s8
	s_mov_b32 s8, exec_lo
	v_cmpx_lt_u32_e64 v86, v2
	s_cbranch_execnz .LBB1155_68
.LBB1155_53:                            ;   in Loop: Header=BB1155_21 Depth=2
	s_or_b32 exec_lo, exec_lo, s8
	s_delay_alu instid0(SALU_CYCLE_1)
	s_mov_b32 s8, exec_lo
	v_cmpx_lt_u32_e64 v87, v2
	s_cbranch_execz .LBB1155_69
.LBB1155_54:                            ;   in Loop: Header=BB1155_21 Depth=2
	v_cmp_gt_i64_e32 vcc_lo, 0, v[16:17]
	v_ashrrev_i32_e32 v36, 31, v17
	s_delay_alu instid0(VALU_DEP_1) | instskip(SKIP_1) | instid1(VALU_DEP_2)
	v_not_b32_e32 v36, v36
	v_cndmask_b32_e64 v37, 0x7fffffff, 0, vcc_lo
	v_xor_b32_e32 v36, v36, v16
	s_delay_alu instid0(VALU_DEP_2) | instskip(NEXT) | instid1(VALU_DEP_1)
	v_xor_b32_e32 v37, v37, v17
	v_cmp_ne_u64_e32 vcc_lo, s[34:35], v[36:37]
	v_cndmask_b32_e32 v37, 0x7fffffff, v37, vcc_lo
	v_cndmask_b32_e32 v36, -1, v36, vcc_lo
	s_delay_alu instid0(VALU_DEP_1) | instskip(SKIP_1) | instid1(VALU_DEP_2)
	v_lshrrev_b64 v[36:37], s41, v[36:37]
	v_lshlrev_b32_e32 v37, 2, v80
	v_and_b32_e32 v36, s43, v36
	s_delay_alu instid0(VALU_DEP_1) | instskip(SKIP_2) | instid1(SALU_CYCLE_1)
	v_lshl_or_b32 v36, v36, 4, v37
	ds_add_u32 v36, v123
	s_or_b32 exec_lo, exec_lo, s8
	s_mov_b32 s8, exec_lo
	v_cmpx_lt_u32_e64 v88, v2
	s_cbranch_execnz .LBB1155_70
.LBB1155_55:                            ;   in Loop: Header=BB1155_21 Depth=2
	s_or_b32 exec_lo, exec_lo, s8
	s_delay_alu instid0(SALU_CYCLE_1)
	s_mov_b32 s8, exec_lo
	v_cmpx_lt_u32_e64 v89, v2
	s_cbranch_execz .LBB1155_71
.LBB1155_56:                            ;   in Loop: Header=BB1155_21 Depth=2
	v_cmp_gt_i64_e32 vcc_lo, 0, v[12:13]
	v_ashrrev_i32_e32 v36, 31, v13
	s_delay_alu instid0(VALU_DEP_1) | instskip(SKIP_1) | instid1(VALU_DEP_2)
	v_not_b32_e32 v36, v36
	v_cndmask_b32_e64 v37, 0x7fffffff, 0, vcc_lo
	v_xor_b32_e32 v36, v36, v12
	s_delay_alu instid0(VALU_DEP_2) | instskip(NEXT) | instid1(VALU_DEP_1)
	v_xor_b32_e32 v37, v37, v13
	v_cmp_ne_u64_e32 vcc_lo, s[34:35], v[36:37]
	v_cndmask_b32_e32 v37, 0x7fffffff, v37, vcc_lo
	v_cndmask_b32_e32 v36, -1, v36, vcc_lo
	s_delay_alu instid0(VALU_DEP_1) | instskip(SKIP_1) | instid1(VALU_DEP_2)
	v_lshrrev_b64 v[36:37], s41, v[36:37]
	v_lshlrev_b32_e32 v37, 2, v80
	v_and_b32_e32 v36, s43, v36
	s_delay_alu instid0(VALU_DEP_1) | instskip(SKIP_2) | instid1(SALU_CYCLE_1)
	v_lshl_or_b32 v36, v36, 4, v37
	ds_add_u32 v36, v123
	s_or_b32 exec_lo, exec_lo, s8
	s_mov_b32 s8, exec_lo
	v_cmpx_lt_u32_e64 v90, v2
	s_cbranch_execnz .LBB1155_72
.LBB1155_57:                            ;   in Loop: Header=BB1155_21 Depth=2
	s_or_b32 exec_lo, exec_lo, s8
	s_delay_alu instid0(SALU_CYCLE_1)
	s_mov_b32 s8, exec_lo
	v_cmpx_lt_u32_e64 v91, v2
	s_cbranch_execz .LBB1155_73
.LBB1155_58:                            ;   in Loop: Header=BB1155_21 Depth=2
	v_cmp_gt_i64_e32 vcc_lo, 0, v[8:9]
	v_ashrrev_i32_e32 v36, 31, v9
	s_delay_alu instid0(VALU_DEP_1) | instskip(SKIP_1) | instid1(VALU_DEP_2)
	v_not_b32_e32 v36, v36
	v_cndmask_b32_e64 v37, 0x7fffffff, 0, vcc_lo
	v_xor_b32_e32 v36, v36, v8
	s_delay_alu instid0(VALU_DEP_2) | instskip(NEXT) | instid1(VALU_DEP_1)
	v_xor_b32_e32 v37, v37, v9
	v_cmp_ne_u64_e32 vcc_lo, s[34:35], v[36:37]
	v_cndmask_b32_e32 v37, 0x7fffffff, v37, vcc_lo
	v_cndmask_b32_e32 v36, -1, v36, vcc_lo
	s_delay_alu instid0(VALU_DEP_1) | instskip(SKIP_1) | instid1(VALU_DEP_2)
	v_lshrrev_b64 v[36:37], s41, v[36:37]
	v_lshlrev_b32_e32 v37, 2, v80
	v_and_b32_e32 v36, s43, v36
	s_delay_alu instid0(VALU_DEP_1) | instskip(SKIP_2) | instid1(SALU_CYCLE_1)
	v_lshl_or_b32 v36, v36, 4, v37
	ds_add_u32 v36, v123
	s_or_b32 exec_lo, exec_lo, s8
	s_mov_b32 s8, exec_lo
	v_cmpx_lt_u32_e64 v92, v2
	s_cbranch_execnz .LBB1155_74
.LBB1155_59:                            ;   in Loop: Header=BB1155_21 Depth=2
	s_or_b32 exec_lo, exec_lo, s8
	s_delay_alu instid0(SALU_CYCLE_1)
	s_mov_b32 s8, exec_lo
	v_cmpx_lt_u32_e64 v93, v2
	s_cbranch_execz .LBB1155_75
.LBB1155_60:                            ;   in Loop: Header=BB1155_21 Depth=2
	v_cmp_gt_i64_e32 vcc_lo, 0, v[4:5]
	v_ashrrev_i32_e32 v36, 31, v5
	s_delay_alu instid0(VALU_DEP_1) | instskip(SKIP_1) | instid1(VALU_DEP_2)
	v_not_b32_e32 v36, v36
	v_cndmask_b32_e64 v37, 0x7fffffff, 0, vcc_lo
	v_xor_b32_e32 v36, v36, v4
	s_delay_alu instid0(VALU_DEP_2) | instskip(NEXT) | instid1(VALU_DEP_1)
	v_xor_b32_e32 v37, v37, v5
	v_cmp_ne_u64_e32 vcc_lo, s[34:35], v[36:37]
	v_cndmask_b32_e32 v37, 0x7fffffff, v37, vcc_lo
	v_cndmask_b32_e32 v36, -1, v36, vcc_lo
	s_delay_alu instid0(VALU_DEP_1) | instskip(SKIP_1) | instid1(VALU_DEP_2)
	v_lshrrev_b64 v[36:37], s41, v[36:37]
	v_lshlrev_b32_e32 v37, 2, v80
	v_and_b32_e32 v36, s43, v36
	s_delay_alu instid0(VALU_DEP_1) | instskip(SKIP_2) | instid1(SALU_CYCLE_1)
	v_lshl_or_b32 v36, v36, 4, v37
	ds_add_u32 v36, v123
	s_or_b32 exec_lo, exec_lo, s8
	s_mov_b32 s8, exec_lo
	v_cmpx_lt_u32_e64 v95, v2
	s_cbranch_execz .LBB1155_20
	s_branch .LBB1155_76
.LBB1155_61:                            ;   in Loop: Header=BB1155_21 Depth=2
	s_or_b32 exec_lo, exec_lo, s8
	s_delay_alu instid0(SALU_CYCLE_1)
	s_mov_b32 s8, exec_lo
	v_cmpx_lt_u32_e64 v77, v2
	s_cbranch_execz .LBB1155_47
.LBB1155_62:                            ;   in Loop: Header=BB1155_21 Depth=2
	v_cmp_gt_i64_e32 vcc_lo, 0, v[30:31]
	v_ashrrev_i32_e32 v36, 31, v31
	s_delay_alu instid0(VALU_DEP_1) | instskip(SKIP_1) | instid1(VALU_DEP_2)
	v_not_b32_e32 v36, v36
	v_cndmask_b32_e64 v37, 0x7fffffff, 0, vcc_lo
	v_xor_b32_e32 v36, v36, v30
	s_delay_alu instid0(VALU_DEP_2) | instskip(NEXT) | instid1(VALU_DEP_1)
	v_xor_b32_e32 v37, v37, v31
	v_cmp_ne_u64_e32 vcc_lo, s[34:35], v[36:37]
	v_cndmask_b32_e32 v37, 0x7fffffff, v37, vcc_lo
	v_cndmask_b32_e32 v36, -1, v36, vcc_lo
	s_delay_alu instid0(VALU_DEP_1) | instskip(SKIP_1) | instid1(VALU_DEP_2)
	v_lshrrev_b64 v[36:37], s41, v[36:37]
	v_lshlrev_b32_e32 v37, 2, v80
	v_and_b32_e32 v36, s43, v36
	s_delay_alu instid0(VALU_DEP_1) | instskip(SKIP_2) | instid1(SALU_CYCLE_1)
	v_lshl_or_b32 v36, v36, 4, v37
	ds_add_u32 v36, v123
	s_or_b32 exec_lo, exec_lo, s8
	s_mov_b32 s8, exec_lo
	v_cmpx_lt_u32_e64 v78, v2
	s_cbranch_execnz .LBB1155_48
.LBB1155_63:                            ;   in Loop: Header=BB1155_21 Depth=2
	s_or_b32 exec_lo, exec_lo, s8
	s_delay_alu instid0(SALU_CYCLE_1)
	s_mov_b32 s8, exec_lo
	v_cmpx_lt_u32_e64 v79, v2
	s_cbranch_execz .LBB1155_49
.LBB1155_64:                            ;   in Loop: Header=BB1155_21 Depth=2
	v_cmp_gt_i64_e32 vcc_lo, 0, v[26:27]
	v_ashrrev_i32_e32 v36, 31, v27
	s_delay_alu instid0(VALU_DEP_1) | instskip(SKIP_1) | instid1(VALU_DEP_2)
	v_not_b32_e32 v36, v36
	v_cndmask_b32_e64 v37, 0x7fffffff, 0, vcc_lo
	v_xor_b32_e32 v36, v36, v26
	s_delay_alu instid0(VALU_DEP_2) | instskip(NEXT) | instid1(VALU_DEP_1)
	v_xor_b32_e32 v37, v37, v27
	v_cmp_ne_u64_e32 vcc_lo, s[34:35], v[36:37]
	v_cndmask_b32_e32 v37, 0x7fffffff, v37, vcc_lo
	v_cndmask_b32_e32 v36, -1, v36, vcc_lo
	s_delay_alu instid0(VALU_DEP_1) | instskip(SKIP_1) | instid1(VALU_DEP_2)
	v_lshrrev_b64 v[36:37], s41, v[36:37]
	v_lshlrev_b32_e32 v37, 2, v80
	v_and_b32_e32 v36, s43, v36
	s_delay_alu instid0(VALU_DEP_1) | instskip(SKIP_2) | instid1(SALU_CYCLE_1)
	v_lshl_or_b32 v36, v36, 4, v37
	ds_add_u32 v36, v123
	s_or_b32 exec_lo, exec_lo, s8
	s_mov_b32 s8, exec_lo
	v_cmpx_lt_u32_e64 v83, v2
	s_cbranch_execnz .LBB1155_50
.LBB1155_65:                            ;   in Loop: Header=BB1155_21 Depth=2
	s_or_b32 exec_lo, exec_lo, s8
	s_delay_alu instid0(SALU_CYCLE_1)
	s_mov_b32 s8, exec_lo
	v_cmpx_lt_u32_e64 v84, v2
	s_cbranch_execz .LBB1155_51
.LBB1155_66:                            ;   in Loop: Header=BB1155_21 Depth=2
	v_cmp_gt_i64_e32 vcc_lo, 0, v[22:23]
	v_ashrrev_i32_e32 v36, 31, v23
	s_delay_alu instid0(VALU_DEP_1) | instskip(SKIP_1) | instid1(VALU_DEP_2)
	v_not_b32_e32 v36, v36
	v_cndmask_b32_e64 v37, 0x7fffffff, 0, vcc_lo
	v_xor_b32_e32 v36, v36, v22
	s_delay_alu instid0(VALU_DEP_2) | instskip(NEXT) | instid1(VALU_DEP_1)
	v_xor_b32_e32 v37, v37, v23
	v_cmp_ne_u64_e32 vcc_lo, s[34:35], v[36:37]
	v_cndmask_b32_e32 v37, 0x7fffffff, v37, vcc_lo
	v_cndmask_b32_e32 v36, -1, v36, vcc_lo
	s_delay_alu instid0(VALU_DEP_1) | instskip(SKIP_1) | instid1(VALU_DEP_2)
	v_lshrrev_b64 v[36:37], s41, v[36:37]
	v_lshlrev_b32_e32 v37, 2, v80
	v_and_b32_e32 v36, s43, v36
	s_delay_alu instid0(VALU_DEP_1) | instskip(SKIP_2) | instid1(SALU_CYCLE_1)
	v_lshl_or_b32 v36, v36, 4, v37
	ds_add_u32 v36, v123
	s_or_b32 exec_lo, exec_lo, s8
	s_mov_b32 s8, exec_lo
	v_cmpx_lt_u32_e64 v85, v2
	s_cbranch_execnz .LBB1155_52
.LBB1155_67:                            ;   in Loop: Header=BB1155_21 Depth=2
	s_or_b32 exec_lo, exec_lo, s8
	s_delay_alu instid0(SALU_CYCLE_1)
	s_mov_b32 s8, exec_lo
	v_cmpx_lt_u32_e64 v86, v2
	s_cbranch_execz .LBB1155_53
.LBB1155_68:                            ;   in Loop: Header=BB1155_21 Depth=2
	v_cmp_gt_i64_e32 vcc_lo, 0, v[18:19]
	v_ashrrev_i32_e32 v36, 31, v19
	s_delay_alu instid0(VALU_DEP_1) | instskip(SKIP_1) | instid1(VALU_DEP_2)
	v_not_b32_e32 v36, v36
	v_cndmask_b32_e64 v37, 0x7fffffff, 0, vcc_lo
	v_xor_b32_e32 v36, v36, v18
	s_delay_alu instid0(VALU_DEP_2) | instskip(NEXT) | instid1(VALU_DEP_1)
	v_xor_b32_e32 v37, v37, v19
	v_cmp_ne_u64_e32 vcc_lo, s[34:35], v[36:37]
	v_cndmask_b32_e32 v37, 0x7fffffff, v37, vcc_lo
	v_cndmask_b32_e32 v36, -1, v36, vcc_lo
	s_delay_alu instid0(VALU_DEP_1) | instskip(SKIP_1) | instid1(VALU_DEP_2)
	v_lshrrev_b64 v[36:37], s41, v[36:37]
	v_lshlrev_b32_e32 v37, 2, v80
	v_and_b32_e32 v36, s43, v36
	s_delay_alu instid0(VALU_DEP_1) | instskip(SKIP_2) | instid1(SALU_CYCLE_1)
	v_lshl_or_b32 v36, v36, 4, v37
	ds_add_u32 v36, v123
	s_or_b32 exec_lo, exec_lo, s8
	s_mov_b32 s8, exec_lo
	v_cmpx_lt_u32_e64 v87, v2
	s_cbranch_execnz .LBB1155_54
.LBB1155_69:                            ;   in Loop: Header=BB1155_21 Depth=2
	s_or_b32 exec_lo, exec_lo, s8
	s_delay_alu instid0(SALU_CYCLE_1)
	s_mov_b32 s8, exec_lo
	v_cmpx_lt_u32_e64 v88, v2
	s_cbranch_execz .LBB1155_55
.LBB1155_70:                            ;   in Loop: Header=BB1155_21 Depth=2
	v_cmp_gt_i64_e32 vcc_lo, 0, v[14:15]
	v_ashrrev_i32_e32 v36, 31, v15
	s_delay_alu instid0(VALU_DEP_1) | instskip(SKIP_1) | instid1(VALU_DEP_2)
	v_not_b32_e32 v36, v36
	v_cndmask_b32_e64 v37, 0x7fffffff, 0, vcc_lo
	v_xor_b32_e32 v36, v36, v14
	s_delay_alu instid0(VALU_DEP_2) | instskip(NEXT) | instid1(VALU_DEP_1)
	v_xor_b32_e32 v37, v37, v15
	v_cmp_ne_u64_e32 vcc_lo, s[34:35], v[36:37]
	v_cndmask_b32_e32 v37, 0x7fffffff, v37, vcc_lo
	v_cndmask_b32_e32 v36, -1, v36, vcc_lo
	s_delay_alu instid0(VALU_DEP_1) | instskip(SKIP_1) | instid1(VALU_DEP_2)
	v_lshrrev_b64 v[36:37], s41, v[36:37]
	v_lshlrev_b32_e32 v37, 2, v80
	v_and_b32_e32 v36, s43, v36
	s_delay_alu instid0(VALU_DEP_1) | instskip(SKIP_2) | instid1(SALU_CYCLE_1)
	v_lshl_or_b32 v36, v36, 4, v37
	ds_add_u32 v36, v123
	s_or_b32 exec_lo, exec_lo, s8
	s_mov_b32 s8, exec_lo
	v_cmpx_lt_u32_e64 v89, v2
	s_cbranch_execnz .LBB1155_56
.LBB1155_71:                            ;   in Loop: Header=BB1155_21 Depth=2
	s_or_b32 exec_lo, exec_lo, s8
	s_delay_alu instid0(SALU_CYCLE_1)
	s_mov_b32 s8, exec_lo
	v_cmpx_lt_u32_e64 v90, v2
	s_cbranch_execz .LBB1155_57
.LBB1155_72:                            ;   in Loop: Header=BB1155_21 Depth=2
	v_cmp_gt_i64_e32 vcc_lo, 0, v[10:11]
	v_ashrrev_i32_e32 v36, 31, v11
	s_delay_alu instid0(VALU_DEP_1) | instskip(SKIP_1) | instid1(VALU_DEP_2)
	v_not_b32_e32 v36, v36
	v_cndmask_b32_e64 v37, 0x7fffffff, 0, vcc_lo
	v_xor_b32_e32 v36, v36, v10
	s_delay_alu instid0(VALU_DEP_2) | instskip(NEXT) | instid1(VALU_DEP_1)
	v_xor_b32_e32 v37, v37, v11
	v_cmp_ne_u64_e32 vcc_lo, s[34:35], v[36:37]
	v_cndmask_b32_e32 v37, 0x7fffffff, v37, vcc_lo
	v_cndmask_b32_e32 v36, -1, v36, vcc_lo
	s_delay_alu instid0(VALU_DEP_1) | instskip(SKIP_1) | instid1(VALU_DEP_2)
	v_lshrrev_b64 v[36:37], s41, v[36:37]
	v_lshlrev_b32_e32 v37, 2, v80
	v_and_b32_e32 v36, s43, v36
	s_delay_alu instid0(VALU_DEP_1) | instskip(SKIP_2) | instid1(SALU_CYCLE_1)
	v_lshl_or_b32 v36, v36, 4, v37
	ds_add_u32 v36, v123
	s_or_b32 exec_lo, exec_lo, s8
	s_mov_b32 s8, exec_lo
	v_cmpx_lt_u32_e64 v91, v2
	s_cbranch_execnz .LBB1155_58
.LBB1155_73:                            ;   in Loop: Header=BB1155_21 Depth=2
	s_or_b32 exec_lo, exec_lo, s8
	s_delay_alu instid0(SALU_CYCLE_1)
	s_mov_b32 s8, exec_lo
	v_cmpx_lt_u32_e64 v92, v2
	s_cbranch_execz .LBB1155_59
.LBB1155_74:                            ;   in Loop: Header=BB1155_21 Depth=2
	v_cmp_gt_i64_e32 vcc_lo, 0, v[6:7]
	v_ashrrev_i32_e32 v36, 31, v7
	s_delay_alu instid0(VALU_DEP_1) | instskip(SKIP_1) | instid1(VALU_DEP_2)
	v_not_b32_e32 v36, v36
	v_cndmask_b32_e64 v37, 0x7fffffff, 0, vcc_lo
	v_xor_b32_e32 v36, v36, v6
	s_delay_alu instid0(VALU_DEP_2) | instskip(NEXT) | instid1(VALU_DEP_1)
	v_xor_b32_e32 v37, v37, v7
	v_cmp_ne_u64_e32 vcc_lo, s[34:35], v[36:37]
	v_cndmask_b32_e32 v37, 0x7fffffff, v37, vcc_lo
	v_cndmask_b32_e32 v36, -1, v36, vcc_lo
	s_delay_alu instid0(VALU_DEP_1) | instskip(SKIP_1) | instid1(VALU_DEP_2)
	v_lshrrev_b64 v[36:37], s41, v[36:37]
	v_lshlrev_b32_e32 v37, 2, v80
	v_and_b32_e32 v36, s43, v36
	s_delay_alu instid0(VALU_DEP_1) | instskip(SKIP_2) | instid1(SALU_CYCLE_1)
	v_lshl_or_b32 v36, v36, 4, v37
	ds_add_u32 v36, v123
	s_or_b32 exec_lo, exec_lo, s8
	s_mov_b32 s8, exec_lo
	v_cmpx_lt_u32_e64 v93, v2
	s_cbranch_execnz .LBB1155_60
.LBB1155_75:                            ;   in Loop: Header=BB1155_21 Depth=2
	s_or_b32 exec_lo, exec_lo, s8
	s_delay_alu instid0(SALU_CYCLE_1)
	s_mov_b32 s8, exec_lo
	v_cmpx_lt_u32_e64 v95, v2
	s_cbranch_execz .LBB1155_20
.LBB1155_76:                            ;   in Loop: Header=BB1155_21 Depth=2
	s_waitcnt vmcnt(0)
	v_cmp_gt_i64_e32 vcc_lo, 0, v[34:35]
	v_ashrrev_i32_e32 v2, 31, v35
	s_delay_alu instid0(VALU_DEP_1) | instskip(SKIP_1) | instid1(VALU_DEP_1)
	v_not_b32_e32 v2, v2
	v_cndmask_b32_e64 v36, 0x7fffffff, 0, vcc_lo
	v_xor_b32_e32 v37, v36, v35
	s_delay_alu instid0(VALU_DEP_3) | instskip(NEXT) | instid1(VALU_DEP_1)
	v_xor_b32_e32 v36, v2, v34
	v_cmp_ne_u64_e32 vcc_lo, s[34:35], v[36:37]
	v_cndmask_b32_e32 v37, 0x7fffffff, v37, vcc_lo
	v_cndmask_b32_e32 v36, -1, v36, vcc_lo
	s_delay_alu instid0(VALU_DEP_1) | instskip(NEXT) | instid1(VALU_DEP_1)
	v_lshrrev_b64 v[36:37], s41, v[36:37]
	v_and_b32_e32 v2, s43, v36
	v_lshlrev_b32_e32 v36, 2, v80
	s_delay_alu instid0(VALU_DEP_1)
	v_lshl_or_b32 v2, v2, 4, v36
	ds_add_u32 v2, v123
	s_branch .LBB1155_20
.LBB1155_77:                            ;   in Loop: Header=BB1155_21 Depth=2
	s_or_b32 exec_lo, exec_lo, s9
	s_delay_alu instid0(SALU_CYCLE_1)
	s_mov_b32 s9, exec_lo
	v_cmpx_gt_u32_e64 s1, v77
	s_cbranch_execz .LBB1155_27
.LBB1155_78:                            ;   in Loop: Header=BB1155_21 Depth=2
	global_load_b64 v[30:31], v124, s[10:11] offset:2048
	s_or_b32 exec_lo, exec_lo, s9
	s_delay_alu instid0(SALU_CYCLE_1)
	s_mov_b32 s9, exec_lo
	v_cmpx_gt_u32_e64 s1, v78
	s_cbranch_execnz .LBB1155_28
.LBB1155_79:                            ;   in Loop: Header=BB1155_21 Depth=2
	s_or_b32 exec_lo, exec_lo, s9
	s_delay_alu instid0(SALU_CYCLE_1)
	s_mov_b32 s9, exec_lo
	v_cmpx_gt_u32_e64 s1, v79
	s_cbranch_execz .LBB1155_29
.LBB1155_80:                            ;   in Loop: Header=BB1155_21 Depth=2
	global_load_b64 v[26:27], v126, s[10:11]
	s_or_b32 exec_lo, exec_lo, s9
	s_delay_alu instid0(SALU_CYCLE_1)
	s_mov_b32 s9, exec_lo
	v_cmpx_gt_u32_e64 s1, v83
	s_cbranch_execnz .LBB1155_30
.LBB1155_81:                            ;   in Loop: Header=BB1155_21 Depth=2
	s_or_b32 exec_lo, exec_lo, s9
	s_delay_alu instid0(SALU_CYCLE_1)
	s_mov_b32 s9, exec_lo
	v_cmpx_gt_u32_e64 s1, v84
	s_cbranch_execz .LBB1155_31
.LBB1155_82:                            ;   in Loop: Header=BB1155_21 Depth=2
	global_load_b64 v[22:23], v128, s[10:11]
	s_or_b32 exec_lo, exec_lo, s9
	s_delay_alu instid0(SALU_CYCLE_1)
	s_mov_b32 s9, exec_lo
	v_cmpx_gt_u32_e64 s1, v85
	s_cbranch_execnz .LBB1155_32
.LBB1155_83:                            ;   in Loop: Header=BB1155_21 Depth=2
	s_or_b32 exec_lo, exec_lo, s9
	s_delay_alu instid0(SALU_CYCLE_1)
	s_mov_b32 s9, exec_lo
	v_cmpx_gt_u32_e64 s1, v86
	s_cbranch_execz .LBB1155_33
.LBB1155_84:                            ;   in Loop: Header=BB1155_21 Depth=2
	global_load_b64 v[18:19], v130, s[10:11]
	s_or_b32 exec_lo, exec_lo, s9
	s_delay_alu instid0(SALU_CYCLE_1)
	s_mov_b32 s9, exec_lo
	v_cmpx_gt_u32_e64 s1, v87
	s_cbranch_execnz .LBB1155_34
.LBB1155_85:                            ;   in Loop: Header=BB1155_21 Depth=2
	s_or_b32 exec_lo, exec_lo, s9
	s_delay_alu instid0(SALU_CYCLE_1)
	s_mov_b32 s9, exec_lo
	v_cmpx_gt_u32_e64 s1, v88
	s_cbranch_execz .LBB1155_35
.LBB1155_86:                            ;   in Loop: Header=BB1155_21 Depth=2
	global_load_b64 v[14:15], v132, s[10:11]
	s_or_b32 exec_lo, exec_lo, s9
	s_delay_alu instid0(SALU_CYCLE_1)
	s_mov_b32 s9, exec_lo
	v_cmpx_gt_u32_e64 s1, v89
	s_cbranch_execnz .LBB1155_36
.LBB1155_87:                            ;   in Loop: Header=BB1155_21 Depth=2
	s_or_b32 exec_lo, exec_lo, s9
	s_delay_alu instid0(SALU_CYCLE_1)
	s_mov_b32 s9, exec_lo
	v_cmpx_gt_u32_e64 s1, v90
	s_cbranch_execz .LBB1155_37
.LBB1155_88:                            ;   in Loop: Header=BB1155_21 Depth=2
	global_load_b64 v[10:11], v134, s[10:11]
	s_or_b32 exec_lo, exec_lo, s9
	s_delay_alu instid0(SALU_CYCLE_1)
	s_mov_b32 s9, exec_lo
	v_cmpx_gt_u32_e64 s1, v91
	s_cbranch_execnz .LBB1155_38
.LBB1155_89:                            ;   in Loop: Header=BB1155_21 Depth=2
	s_or_b32 exec_lo, exec_lo, s9
	s_delay_alu instid0(SALU_CYCLE_1)
	s_mov_b32 s9, exec_lo
	v_cmpx_gt_u32_e64 s1, v92
	s_cbranch_execz .LBB1155_39
.LBB1155_90:                            ;   in Loop: Header=BB1155_21 Depth=2
	v_lshlrev_b32_e32 v2, 3, v92
	global_load_b64 v[6:7], v2, s[10:11]
	s_or_b32 exec_lo, exec_lo, s9
	s_delay_alu instid0(SALU_CYCLE_1)
	s_mov_b32 s9, exec_lo
	v_cmpx_gt_u32_e64 s1, v93
	s_cbranch_execz .LBB1155_41
	s_branch .LBB1155_40
.LBB1155_91:                            ;   in Loop: Header=BB1155_17 Depth=1
	v_mov_b32_e32 v2, 0
	s_waitcnt vmcnt(0) lgkmcnt(0)
	s_barrier
	buffer_gl0_inv
	s_and_saveexec_b32 s1, s2
	s_cbranch_execz .LBB1155_93
; %bb.92:                               ;   in Loop: Header=BB1155_17 Depth=1
	ds_load_2addr_b64 v[4:7], v96 offset1:1
	s_waitcnt lgkmcnt(0)
	v_add_nc_u32_e32 v2, v5, v4
	s_delay_alu instid0(VALU_DEP_1)
	v_add3_u32 v2, v2, v6, v7
.LBB1155_93:                            ;   in Loop: Header=BB1155_17 Depth=1
	s_or_b32 exec_lo, exec_lo, s1
	v_and_b32_e32 v4, 15, v136
	s_delay_alu instid0(VALU_DEP_2) | instskip(SKIP_1) | instid1(VALU_DEP_3)
	v_mov_b32_dpp v5, v2 row_shr:1 row_mask:0xf bank_mask:0xf
	v_and_b32_e32 v6, 16, v136
	v_cmp_eq_u32_e64 s1, 0, v4
	v_cmp_lt_u32_e64 s7, 1, v4
	v_cmp_lt_u32_e64 s8, 3, v4
	;; [unrolled: 1-line block ×3, first 2 shown]
	v_cmp_eq_u32_e64 s10, 0, v6
	v_cndmask_b32_e64 v5, v5, 0, s1
	s_delay_alu instid0(VALU_DEP_1) | instskip(NEXT) | instid1(VALU_DEP_1)
	v_add_nc_u32_e32 v2, v5, v2
	v_mov_b32_dpp v5, v2 row_shr:2 row_mask:0xf bank_mask:0xf
	s_delay_alu instid0(VALU_DEP_1) | instskip(NEXT) | instid1(VALU_DEP_1)
	v_cndmask_b32_e64 v5, 0, v5, s7
	v_add_nc_u32_e32 v2, v2, v5
	s_delay_alu instid0(VALU_DEP_1) | instskip(NEXT) | instid1(VALU_DEP_1)
	v_mov_b32_dpp v5, v2 row_shr:4 row_mask:0xf bank_mask:0xf
	v_cndmask_b32_e64 v5, 0, v5, s8
	s_delay_alu instid0(VALU_DEP_1) | instskip(NEXT) | instid1(VALU_DEP_1)
	v_add_nc_u32_e32 v2, v2, v5
	v_mov_b32_dpp v5, v2 row_shr:8 row_mask:0xf bank_mask:0xf
	s_delay_alu instid0(VALU_DEP_1) | instskip(SKIP_1) | instid1(VALU_DEP_2)
	v_cndmask_b32_e64 v4, 0, v5, s9
	v_bfe_i32 v5, v136, 4, 1
	v_add_nc_u32_e32 v2, v2, v4
	ds_swizzle_b32 v4, v2 offset:swizzle(BROADCAST,32,15)
	s_waitcnt lgkmcnt(0)
	v_and_b32_e32 v4, v5, v4
	s_delay_alu instid0(VALU_DEP_1)
	v_add_nc_u32_e32 v4, v2, v4
	s_and_saveexec_b32 s11, s3
	s_cbranch_execz .LBB1155_95
; %bb.94:                               ;   in Loop: Header=BB1155_17 Depth=1
	ds_store_b32 v97, v4
.LBB1155_95:                            ;   in Loop: Header=BB1155_17 Depth=1
	s_or_b32 exec_lo, exec_lo, s11
	v_and_b32_e32 v2, 7, v136
	s_waitcnt lgkmcnt(0)
	s_barrier
	buffer_gl0_inv
	s_and_saveexec_b32 s11, s4
	s_cbranch_execz .LBB1155_97
; %bb.96:                               ;   in Loop: Header=BB1155_17 Depth=1
	ds_load_b32 v5, v98
	v_cmp_ne_u32_e32 vcc_lo, 0, v2
	s_waitcnt lgkmcnt(0)
	v_mov_b32_dpp v6, v5 row_shr:1 row_mask:0xf bank_mask:0xf
	s_delay_alu instid0(VALU_DEP_1) | instskip(SKIP_1) | instid1(VALU_DEP_2)
	v_cndmask_b32_e32 v6, 0, v6, vcc_lo
	v_cmp_lt_u32_e32 vcc_lo, 1, v2
	v_add_nc_u32_e32 v5, v6, v5
	s_delay_alu instid0(VALU_DEP_1) | instskip(NEXT) | instid1(VALU_DEP_1)
	v_mov_b32_dpp v6, v5 row_shr:2 row_mask:0xf bank_mask:0xf
	v_cndmask_b32_e32 v6, 0, v6, vcc_lo
	v_cmp_lt_u32_e32 vcc_lo, 3, v2
	s_delay_alu instid0(VALU_DEP_2) | instskip(NEXT) | instid1(VALU_DEP_1)
	v_add_nc_u32_e32 v5, v5, v6
	v_mov_b32_dpp v6, v5 row_shr:4 row_mask:0xf bank_mask:0xf
	s_delay_alu instid0(VALU_DEP_1) | instskip(NEXT) | instid1(VALU_DEP_1)
	v_cndmask_b32_e32 v6, 0, v6, vcc_lo
	v_add_nc_u32_e32 v5, v5, v6
	ds_store_b32 v98, v5
.LBB1155_97:                            ;   in Loop: Header=BB1155_17 Depth=1
	s_or_b32 exec_lo, exec_lo, s11
	v_mov_b32_e32 v5, 0
	s_waitcnt lgkmcnt(0)
	s_barrier
	buffer_gl0_inv
	s_and_saveexec_b32 s11, s5
	s_cbranch_execz .LBB1155_99
; %bb.98:                               ;   in Loop: Header=BB1155_17 Depth=1
	ds_load_b32 v5, v99
.LBB1155_99:                            ;   in Loop: Header=BB1155_17 Depth=1
	s_or_b32 exec_lo, exec_lo, s11
	v_add_nc_u32_e32 v6, -1, v136
	s_waitcnt lgkmcnt(0)
	v_add_nc_u32_e32 v4, v5, v4
	v_cmp_eq_u32_e64 s11, 0, v136
	s_barrier
	v_cmp_gt_i32_e32 vcc_lo, 0, v6
	buffer_gl0_inv
	v_cndmask_b32_e32 v6, v6, v136, vcc_lo
	s_delay_alu instid0(VALU_DEP_1)
	v_lshlrev_b32_e32 v137, 2, v6
	ds_bpermute_b32 v4, v137, v4
	s_and_saveexec_b32 s12, s2
	s_cbranch_execz .LBB1155_101
; %bb.100:                              ;   in Loop: Header=BB1155_17 Depth=1
	s_waitcnt lgkmcnt(0)
	v_cndmask_b32_e64 v4, v4, v5, s11
	s_delay_alu instid0(VALU_DEP_1)
	v_add_nc_u32_e32 v4, s60, v4
	ds_store_b32 v76, v4
.LBB1155_101:                           ;   in Loop: Header=BB1155_17 Depth=1
	s_or_b32 exec_lo, exec_lo, s12
	s_clause 0x1
	s_load_b32 s12, s[36:37], 0x4
	s_load_b32 s17, s[36:37], 0xc
	v_lshlrev_b32_e32 v6, 3, v136
	v_cmp_lt_u32_e64 s16, 3, v2
	v_or_b32_e32 v138, v136, v100
	s_mov_b32 s50, s62
	s_mov_b32 s38, s60
	v_add_co_u32 v139, vcc_lo, v106, v6
	v_add_co_ci_u32_e32 v140, vcc_lo, 0, v107, vcc_lo
	v_add_co_u32 v156, vcc_lo, v108, v6
	v_add_co_ci_u32_e32 v157, vcc_lo, 0, v109, vcc_lo
	v_or_b32_e32 v141, 32, v138
	s_delay_alu instid0(VALU_DEP_3)
	v_add_co_u32 v159, vcc_lo, 0xf00, v156
	v_or_b32_e32 v142, 64, v138
	v_or_b32_e32 v143, 0x60, v138
	s_waitcnt lgkmcnt(0)
	s_cmp_lt_u32 s15, s12
	v_or_b32_e32 v144, 0x80, v138
	s_cselect_b32 s12, 14, 20
	v_or_b32_e32 v145, 0xa0, v138
	s_add_u32 s12, s36, s12
	s_addc_u32 s13, s37, 0
	s_and_b32 s17, s17, 0xffff
	global_load_u16 v4, v3, s[12:13]
	v_cmp_eq_u32_e64 s12, 0, v2
	v_cmp_lt_u32_e64 s13, 1, v2
	v_or_b32_e32 v146, 0xc0, v138
	v_or_b32_e32 v147, 0xe0, v138
	;; [unrolled: 1-line block ×10, first 2 shown]
	v_add_co_ci_u32_e32 v160, vcc_lo, 0, v157, vcc_lo
                                        ; implicit-def: $vgpr6_vgpr7
                                        ; implicit-def: $vgpr8_vgpr9
                                        ; implicit-def: $vgpr10_vgpr11
                                        ; implicit-def: $vgpr12_vgpr13
                                        ; implicit-def: $vgpr14_vgpr15
                                        ; implicit-def: $vgpr16_vgpr17
                                        ; implicit-def: $vgpr18_vgpr19
                                        ; implicit-def: $vgpr20_vgpr21
                                        ; implicit-def: $vgpr22_vgpr23
                                        ; implicit-def: $vgpr24_vgpr25
                                        ; implicit-def: $vgpr26_vgpr27
                                        ; implicit-def: $vgpr28_vgpr29
                                        ; implicit-def: $vgpr30_vgpr31
                                        ; implicit-def: $vgpr32_vgpr33
                                        ; implicit-def: $vgpr34_vgpr35
                                        ; implicit-def: $vgpr161
                                        ; implicit-def: $vgpr162
                                        ; implicit-def: $vgpr163
                                        ; implicit-def: $vgpr164
                                        ; implicit-def: $vgpr165
                                        ; implicit-def: $vgpr166
                                        ; implicit-def: $vgpr167
                                        ; implicit-def: $vgpr168
                                        ; implicit-def: $vgpr169
                                        ; implicit-def: $vgpr170
                                        ; implicit-def: $vgpr171
                                        ; implicit-def: $vgpr172
                                        ; implicit-def: $vgpr173
                                        ; implicit-def: $vgpr174
                                        ; implicit-def: $vgpr175
                                        ; implicit-def: $vgpr176
	s_waitcnt vmcnt(0)
	v_mad_u32_u24 v2, v101, v4, v0
	s_delay_alu instid0(VALU_DEP_1) | instskip(NEXT) | instid1(VALU_DEP_1)
	v_mad_u64_u32 v[4:5], null, v2, s17, v[1:2]
	v_lshrrev_b32_e32 v158, 5, v4
                                        ; implicit-def: $vgpr4_vgpr5
	s_branch .LBB1155_103
.LBB1155_102:                           ;   in Loop: Header=BB1155_103 Depth=2
	s_or_b32 exec_lo, exec_lo, s17
	s_addk_i32 s50, 0xf000
	s_cmp_lt_u32 s51, s61
	s_mov_b32 s38, s51
	s_cbranch_scc0 .LBB1155_312
.LBB1155_103:                           ;   Parent Loop BB1155_17 Depth=1
                                        ; =>  This Inner Loop Header: Depth=2
	s_add_i32 s51, s38, 0x1000
	s_delay_alu instid0(SALU_CYCLE_1)
	s_cmp_gt_u32 s51, s61
	s_cbranch_scc1 .LBB1155_106
; %bb.104:                              ;   in Loop: Header=BB1155_103 Depth=2
	s_mov_b32 s39, 0
	s_mov_b32 s20, -1
	s_lshl_b64 s[18:19], s[38:39], 3
	s_movk_i32 s17, 0x1000
	v_add_co_u32 v40, vcc_lo, v156, s18
	v_add_co_ci_u32_e32 v41, vcc_lo, s19, v157, vcc_lo
	s_clause 0xe
	global_load_b64 v[36:37], v[40:41], off
	global_load_b64 v[38:39], v[40:41], off offset:256
	global_load_b64 v[44:45], v[40:41], off offset:512
	;; [unrolled: 1-line block ×14, first 2 shown]
	s_cbranch_execz .LBB1155_107
; %bb.105:                              ;   in Loop: Header=BB1155_103 Depth=2
                                        ; implicit-def: $sgpr18_sgpr19
	s_branch .LBB1155_138
.LBB1155_106:                           ;   in Loop: Header=BB1155_103 Depth=2
	s_mov_b32 s39, -1
	s_mov_b32 s20, 0
                                        ; implicit-def: $sgpr17
                                        ; implicit-def: $vgpr36_vgpr37
                                        ; implicit-def: $vgpr38_vgpr39
                                        ; implicit-def: $vgpr44_vgpr45
                                        ; implicit-def: $vgpr48_vgpr49
                                        ; implicit-def: $vgpr54_vgpr55
                                        ; implicit-def: $vgpr58_vgpr59
                                        ; implicit-def: $vgpr62_vgpr63
                                        ; implicit-def: $vgpr66_vgpr67
                                        ; implicit-def: $vgpr64_vgpr65
                                        ; implicit-def: $vgpr60_vgpr61
                                        ; implicit-def: $vgpr56_vgpr57
                                        ; implicit-def: $vgpr52_vgpr53
                                        ; implicit-def: $vgpr50_vgpr51
                                        ; implicit-def: $vgpr46_vgpr47
                                        ; implicit-def: $vgpr40_vgpr41
.LBB1155_107:                           ;   in Loop: Header=BB1155_103 Depth=2
	s_mov_b32 s39, s34
	s_waitcnt vmcnt(13)
	v_mov_b32_e32 v38, -1
	v_mov_b32_e32 v39, -1
	s_lshl_b64 s[18:19], s[38:39], 3
	s_delay_alu instid0(VALU_DEP_2) | instskip(SKIP_1) | instid1(VALU_DEP_3)
	v_mov_b32_e32 v36, v38
	v_add_co_u32 v42, vcc_lo, v156, s18
	v_mov_b32_e32 v37, v39
	v_add_co_ci_u32_e32 v43, vcc_lo, s19, v157, vcc_lo
	s_mov_b32 s17, exec_lo
	v_cmpx_gt_u32_e64 s50, v138
	s_cbranch_execz .LBB1155_109
; %bb.108:                              ;   in Loop: Header=BB1155_103 Depth=2
	global_load_b64 v[36:37], v[42:43], off
.LBB1155_109:                           ;   in Loop: Header=BB1155_103 Depth=2
	s_or_b32 exec_lo, exec_lo, s17
	s_delay_alu instid0(SALU_CYCLE_1)
	s_mov_b32 s17, exec_lo
	v_cmpx_gt_u32_e64 s50, v141
	s_cbranch_execz .LBB1155_111
; %bb.110:                              ;   in Loop: Header=BB1155_103 Depth=2
	global_load_b64 v[38:39], v[42:43], off offset:256
.LBB1155_111:                           ;   in Loop: Header=BB1155_103 Depth=2
	s_or_b32 exec_lo, exec_lo, s17
	s_waitcnt vmcnt(11)
	v_mov_b32_e32 v48, -1
	v_mov_b32_e32 v49, -1
	s_delay_alu instid0(VALU_DEP_2) | instskip(SKIP_1) | instid1(VALU_DEP_2)
	v_mov_b32_e32 v44, v48
	s_mov_b32 s17, exec_lo
	v_mov_b32_e32 v45, v49
	v_cmpx_gt_u32_e64 s50, v142
	s_cbranch_execz .LBB1155_113
; %bb.112:                              ;   in Loop: Header=BB1155_103 Depth=2
	global_load_b64 v[44:45], v[42:43], off offset:512
.LBB1155_113:                           ;   in Loop: Header=BB1155_103 Depth=2
	s_or_b32 exec_lo, exec_lo, s17
	s_delay_alu instid0(SALU_CYCLE_1)
	s_mov_b32 s17, exec_lo
	v_cmpx_gt_u32_e64 s50, v143
	s_cbranch_execz .LBB1155_115
; %bb.114:                              ;   in Loop: Header=BB1155_103 Depth=2
	global_load_b64 v[48:49], v[42:43], off offset:768
.LBB1155_115:                           ;   in Loop: Header=BB1155_103 Depth=2
	s_or_b32 exec_lo, exec_lo, s17
	s_waitcnt vmcnt(9)
	v_mov_b32_e32 v58, -1
	v_mov_b32_e32 v59, -1
	s_delay_alu instid0(VALU_DEP_2) | instskip(SKIP_1) | instid1(VALU_DEP_2)
	v_mov_b32_e32 v54, v58
	s_mov_b32 s17, exec_lo
	v_mov_b32_e32 v55, v59
	v_cmpx_gt_u32_e64 s50, v144
	s_cbranch_execz .LBB1155_117
; %bb.116:                              ;   in Loop: Header=BB1155_103 Depth=2
	global_load_b64 v[54:55], v[42:43], off offset:1024
.LBB1155_117:                           ;   in Loop: Header=BB1155_103 Depth=2
	s_or_b32 exec_lo, exec_lo, s17
	s_delay_alu instid0(SALU_CYCLE_1)
	s_mov_b32 s17, exec_lo
	v_cmpx_gt_u32_e64 s50, v145
	s_cbranch_execz .LBB1155_119
; %bb.118:                              ;   in Loop: Header=BB1155_103 Depth=2
	global_load_b64 v[58:59], v[42:43], off offset:1280
.LBB1155_119:                           ;   in Loop: Header=BB1155_103 Depth=2
	s_or_b32 exec_lo, exec_lo, s17
	s_waitcnt vmcnt(7)
	v_mov_b32_e32 v66, -1
	v_mov_b32_e32 v67, -1
	s_delay_alu instid0(VALU_DEP_2) | instskip(SKIP_1) | instid1(VALU_DEP_2)
	v_mov_b32_e32 v62, v66
	s_mov_b32 s17, exec_lo
	v_mov_b32_e32 v63, v67
	v_cmpx_gt_u32_e64 s50, v146
	s_cbranch_execz .LBB1155_121
; %bb.120:                              ;   in Loop: Header=BB1155_103 Depth=2
	global_load_b64 v[62:63], v[42:43], off offset:1536
.LBB1155_121:                           ;   in Loop: Header=BB1155_103 Depth=2
	s_or_b32 exec_lo, exec_lo, s17
	s_delay_alu instid0(SALU_CYCLE_1)
	s_mov_b32 s17, exec_lo
	v_cmpx_gt_u32_e64 s50, v147
	s_cbranch_execz .LBB1155_123
; %bb.122:                              ;   in Loop: Header=BB1155_103 Depth=2
	global_load_b64 v[66:67], v[42:43], off offset:1792
.LBB1155_123:                           ;   in Loop: Header=BB1155_103 Depth=2
	s_or_b32 exec_lo, exec_lo, s17
	s_waitcnt vmcnt(5)
	v_mov_b32_e32 v60, -1
	v_mov_b32_e32 v61, -1
	s_mov_b32 s17, exec_lo
	s_delay_alu instid0(VALU_DEP_1)
	v_dual_mov_b32 v65, v61 :: v_dual_mov_b32 v64, v60
	v_cmpx_gt_u32_e64 s50, v148
	s_cbranch_execz .LBB1155_125
; %bb.124:                              ;   in Loop: Header=BB1155_103 Depth=2
	global_load_b64 v[64:65], v[42:43], off offset:2048
.LBB1155_125:                           ;   in Loop: Header=BB1155_103 Depth=2
	s_or_b32 exec_lo, exec_lo, s17
	s_delay_alu instid0(SALU_CYCLE_1)
	s_mov_b32 s17, exec_lo
	v_cmpx_gt_u32_e64 s50, v149
	s_cbranch_execz .LBB1155_127
; %bb.126:                              ;   in Loop: Header=BB1155_103 Depth=2
	global_load_b64 v[60:61], v[42:43], off offset:2304
.LBB1155_127:                           ;   in Loop: Header=BB1155_103 Depth=2
	s_or_b32 exec_lo, exec_lo, s17
	s_waitcnt vmcnt(3)
	v_mov_b32_e32 v52, -1
	v_mov_b32_e32 v53, -1
	s_mov_b32 s17, exec_lo
	s_delay_alu instid0(VALU_DEP_1)
	v_dual_mov_b32 v57, v53 :: v_dual_mov_b32 v56, v52
	v_cmpx_gt_u32_e64 s50, v150
	s_cbranch_execz .LBB1155_129
; %bb.128:                              ;   in Loop: Header=BB1155_103 Depth=2
	global_load_b64 v[56:57], v[42:43], off offset:2560
.LBB1155_129:                           ;   in Loop: Header=BB1155_103 Depth=2
	;; [unrolled: 20-line block ×3, first 2 shown]
	s_or_b32 exec_lo, exec_lo, s17
	s_delay_alu instid0(SALU_CYCLE_1)
	s_mov_b32 s17, exec_lo
	v_cmpx_gt_u32_e64 s50, v153
	s_cbranch_execz .LBB1155_135
; %bb.134:                              ;   in Loop: Header=BB1155_103 Depth=2
	global_load_b64 v[46:47], v[42:43], off offset:3328
.LBB1155_135:                           ;   in Loop: Header=BB1155_103 Depth=2
	s_or_b32 exec_lo, exec_lo, s17
	s_waitcnt vmcnt(0)
	v_mov_b32_e32 v40, -1
	v_mov_b32_e32 v41, -1
	s_mov_b32 s17, exec_lo
	v_cmpx_gt_u32_e64 s50, v154
	s_cbranch_execz .LBB1155_137
; %bb.136:                              ;   in Loop: Header=BB1155_103 Depth=2
	global_load_b64 v[40:41], v[42:43], off offset:3584
.LBB1155_137:                           ;   in Loop: Header=BB1155_103 Depth=2
	s_or_b32 exec_lo, exec_lo, s17
	v_cmp_gt_u32_e64 s20, s50, v155
	s_sub_i32 s17, s61, s38
	s_mov_b64 s[18:19], -1
.LBB1155_138:                           ;   in Loop: Header=BB1155_103 Depth=2
	s_delay_alu instid0(SALU_CYCLE_1)
	v_dual_mov_b32 v43, s19 :: v_dual_mov_b32 v42, s18
	v_mov_b32_e32 v177, s50
	s_and_saveexec_b32 s18, s20
	s_cbranch_execz .LBB1155_140
; %bb.139:                              ;   in Loop: Header=BB1155_103 Depth=2
	s_lshl_b64 s[20:21], s[38:39], 3
	v_mov_b32_e32 v177, s17
	v_add_co_u32 v42, vcc_lo, v159, s20
	v_add_co_ci_u32_e32 v43, vcc_lo, s21, v160, vcc_lo
	global_load_b64 v[42:43], v[42:43], off
.LBB1155_140:                           ;   in Loop: Header=BB1155_103 Depth=2
	s_or_b32 exec_lo, exec_lo, s18
	s_waitcnt vmcnt(14)
	v_cmp_gt_i64_e32 vcc_lo, 0, v[36:37]
	v_ashrrev_i32_e32 v2, 31, v37
	ds_store_b32 v102, v3 offset:1056
	ds_store_2addr_b32 v103, v3, v3 offset0:1 offset1:2
	ds_store_2addr_b32 v103, v3, v3 offset0:3 offset1:4
	;; [unrolled: 1-line block ×4, first 2 shown]
	s_waitcnt vmcnt(0) lgkmcnt(0)
	s_barrier
	v_cndmask_b32_e64 v68, 0x7fffffff, 0, vcc_lo
	v_not_b32_e32 v2, v2
	buffer_gl0_inv
	; wave barrier
	v_xor_b32_e32 v37, v68, v37
	v_xor_b32_e32 v36, v2, v36
	s_delay_alu instid0(VALU_DEP_1) | instskip(SKIP_2) | instid1(VALU_DEP_1)
	v_cmp_ne_u64_e32 vcc_lo, s[34:35], v[36:37]
	v_cndmask_b32_e32 v69, 0x7fffffff, v37, vcc_lo
	v_cndmask_b32_e32 v68, -1, v36, vcc_lo
	v_lshrrev_b64 v[68:69], s41, v[68:69]
	s_delay_alu instid0(VALU_DEP_1) | instskip(NEXT) | instid1(VALU_DEP_1)
	v_and_b32_e32 v69, s43, v68
	v_lshlrev_b32_e32 v71, 28, v69
	v_and_b32_e32 v2, 1, v69
	v_lshlrev_b32_e32 v68, 30, v69
	v_lshlrev_b32_e32 v70, 29, v69
	;; [unrolled: 1-line block ×4, first 2 shown]
	v_add_co_u32 v2, s17, v2, -1
	s_delay_alu instid0(VALU_DEP_1)
	v_cndmask_b32_e64 v72, 0, 1, s17
	v_not_b32_e32 v178, v68
	v_cmp_gt_i32_e64 s17, 0, v68
	v_not_b32_e32 v68, v70
	v_lshlrev_b32_e32 v75, 25, v69
	v_cmp_ne_u32_e32 vcc_lo, 0, v72
	v_ashrrev_i32_e32 v178, 31, v178
	v_lshlrev_b32_e32 v72, 24, v69
	v_ashrrev_i32_e32 v68, 31, v68
	v_mad_u32_u24 v69, v69, 9, v158
	v_xor_b32_e32 v2, vcc_lo, v2
	v_cmp_gt_i32_e32 vcc_lo, 0, v70
	v_not_b32_e32 v70, v71
	v_xor_b32_e32 v178, s17, v178
	v_cmp_gt_i32_e64 s17, 0, v71
	v_and_b32_e32 v2, exec_lo, v2
	v_not_b32_e32 v71, v73
	v_ashrrev_i32_e32 v70, 31, v70
	v_xor_b32_e32 v68, vcc_lo, v68
	v_cmp_gt_i32_e32 vcc_lo, 0, v73
	v_and_b32_e32 v2, v2, v178
	v_not_b32_e32 v73, v74
	v_ashrrev_i32_e32 v71, 31, v71
	v_xor_b32_e32 v70, s17, v70
	v_cmp_gt_i32_e64 s17, 0, v74
	v_and_b32_e32 v2, v2, v68
	v_not_b32_e32 v68, v75
	v_ashrrev_i32_e32 v73, 31, v73
	v_xor_b32_e32 v71, vcc_lo, v71
	v_cmp_gt_i32_e32 vcc_lo, 0, v75
	v_and_b32_e32 v2, v2, v70
	v_not_b32_e32 v70, v72
	v_ashrrev_i32_e32 v68, 31, v68
	v_xor_b32_e32 v73, s17, v73
	v_cmp_gt_i32_e64 s17, 0, v72
	v_and_b32_e32 v2, v2, v71
	v_ashrrev_i32_e32 v70, 31, v70
	v_xor_b32_e32 v68, vcc_lo, v68
	v_lshl_add_u32 v178, v69, 2, 0x420
	s_delay_alu instid0(VALU_DEP_4) | instskip(NEXT) | instid1(VALU_DEP_4)
	v_and_b32_e32 v2, v2, v73
	v_xor_b32_e32 v70, s17, v70
	s_delay_alu instid0(VALU_DEP_2) | instskip(NEXT) | instid1(VALU_DEP_1)
	v_and_b32_e32 v2, v2, v68
	v_and_b32_e32 v68, v2, v70
	s_delay_alu instid0(VALU_DEP_1) | instskip(SKIP_1) | instid1(VALU_DEP_2)
	v_mbcnt_lo_u32_b32 v2, v68, 0
	v_cmp_ne_u32_e64 s17, 0, v68
	v_cmp_eq_u32_e32 vcc_lo, 0, v2
	s_delay_alu instid0(VALU_DEP_2) | instskip(NEXT) | instid1(SALU_CYCLE_1)
	s_and_b32 s18, s17, vcc_lo
	s_and_saveexec_b32 s17, s18
	s_cbranch_execz .LBB1155_142
; %bb.141:                              ;   in Loop: Header=BB1155_103 Depth=2
	v_bcnt_u32_b32 v68, v68, 0
	ds_store_b32 v178, v68
.LBB1155_142:                           ;   in Loop: Header=BB1155_103 Depth=2
	s_or_b32 exec_lo, exec_lo, s17
	v_cmp_gt_i64_e32 vcc_lo, 0, v[38:39]
	v_ashrrev_i32_e32 v68, 31, v39
	; wave barrier
	s_delay_alu instid0(VALU_DEP_1) | instskip(SKIP_1) | instid1(VALU_DEP_2)
	v_not_b32_e32 v68, v68
	v_cndmask_b32_e64 v69, 0x7fffffff, 0, vcc_lo
	v_xor_b32_e32 v38, v68, v38
	s_delay_alu instid0(VALU_DEP_2) | instskip(NEXT) | instid1(VALU_DEP_1)
	v_xor_b32_e32 v39, v69, v39
	v_cmp_ne_u64_e32 vcc_lo, s[34:35], v[38:39]
	v_cndmask_b32_e32 v69, 0x7fffffff, v39, vcc_lo
	v_cndmask_b32_e32 v68, -1, v38, vcc_lo
	s_delay_alu instid0(VALU_DEP_1) | instskip(NEXT) | instid1(VALU_DEP_1)
	v_lshrrev_b64 v[68:69], s41, v[68:69]
	v_and_b32_e32 v68, s43, v68
	s_delay_alu instid0(VALU_DEP_1)
	v_and_b32_e32 v69, 1, v68
	v_lshlrev_b32_e32 v70, 30, v68
	v_lshlrev_b32_e32 v71, 29, v68
	;; [unrolled: 1-line block ×4, first 2 shown]
	v_add_co_u32 v69, s17, v69, -1
	s_delay_alu instid0(VALU_DEP_1)
	v_cndmask_b32_e64 v73, 0, 1, s17
	v_not_b32_e32 v180, v70
	v_cmp_gt_i32_e64 s17, 0, v70
	v_not_b32_e32 v70, v71
	v_lshlrev_b32_e32 v75, 26, v68
	v_cmp_ne_u32_e32 vcc_lo, 0, v73
	v_ashrrev_i32_e32 v180, 31, v180
	v_lshlrev_b32_e32 v179, 25, v68
	v_ashrrev_i32_e32 v70, 31, v70
	v_lshlrev_b32_e32 v73, 24, v68
	v_xor_b32_e32 v69, vcc_lo, v69
	v_cmp_gt_i32_e32 vcc_lo, 0, v71
	v_not_b32_e32 v71, v72
	v_xor_b32_e32 v180, s17, v180
	v_cmp_gt_i32_e64 s17, 0, v72
	v_and_b32_e32 v69, exec_lo, v69
	v_not_b32_e32 v72, v74
	v_ashrrev_i32_e32 v71, 31, v71
	v_xor_b32_e32 v70, vcc_lo, v70
	v_cmp_gt_i32_e32 vcc_lo, 0, v74
	v_and_b32_e32 v69, v69, v180
	v_not_b32_e32 v74, v75
	v_ashrrev_i32_e32 v72, 31, v72
	v_xor_b32_e32 v71, s17, v71
	v_cmp_gt_i32_e64 s17, 0, v75
	v_and_b32_e32 v69, v69, v70
	v_not_b32_e32 v70, v179
	v_ashrrev_i32_e32 v74, 31, v74
	v_xor_b32_e32 v72, vcc_lo, v72
	v_cmp_gt_i32_e32 vcc_lo, 0, v179
	v_and_b32_e32 v69, v69, v71
	v_not_b32_e32 v71, v73
	v_ashrrev_i32_e32 v70, 31, v70
	v_xor_b32_e32 v74, s17, v74
	v_mul_u32_u24_e32 v68, 9, v68
	v_and_b32_e32 v69, v69, v72
	v_cmp_gt_i32_e64 s17, 0, v73
	v_ashrrev_i32_e32 v71, 31, v71
	v_xor_b32_e32 v70, vcc_lo, v70
	v_add_lshl_u32 v72, v68, v158, 2
	v_and_b32_e32 v69, v69, v74
	s_delay_alu instid0(VALU_DEP_4) | instskip(SKIP_3) | instid1(VALU_DEP_2)
	v_xor_b32_e32 v68, s17, v71
	ds_load_b32 v179, v72 offset:1056
	v_and_b32_e32 v69, v69, v70
	v_add_nc_u32_e32 v181, 0x420, v72
	; wave barrier
	v_and_b32_e32 v68, v69, v68
	s_delay_alu instid0(VALU_DEP_1) | instskip(SKIP_1) | instid1(VALU_DEP_2)
	v_mbcnt_lo_u32_b32 v180, v68, 0
	v_cmp_ne_u32_e64 s17, 0, v68
	v_cmp_eq_u32_e32 vcc_lo, 0, v180
	s_delay_alu instid0(VALU_DEP_2) | instskip(NEXT) | instid1(SALU_CYCLE_1)
	s_and_b32 s18, s17, vcc_lo
	s_and_saveexec_b32 s17, s18
	s_cbranch_execz .LBB1155_144
; %bb.143:                              ;   in Loop: Header=BB1155_103 Depth=2
	s_waitcnt lgkmcnt(0)
	v_bcnt_u32_b32 v68, v68, v179
	ds_store_b32 v181, v68
.LBB1155_144:                           ;   in Loop: Header=BB1155_103 Depth=2
	s_or_b32 exec_lo, exec_lo, s17
	v_cmp_gt_i64_e32 vcc_lo, 0, v[44:45]
	v_ashrrev_i32_e32 v68, 31, v45
	; wave barrier
	s_delay_alu instid0(VALU_DEP_1) | instskip(SKIP_1) | instid1(VALU_DEP_2)
	v_not_b32_e32 v68, v68
	v_cndmask_b32_e64 v69, 0x7fffffff, 0, vcc_lo
	v_xor_b32_e32 v44, v68, v44
	s_delay_alu instid0(VALU_DEP_2) | instskip(NEXT) | instid1(VALU_DEP_1)
	v_xor_b32_e32 v45, v69, v45
	v_cmp_ne_u64_e32 vcc_lo, s[34:35], v[44:45]
	v_cndmask_b32_e32 v69, 0x7fffffff, v45, vcc_lo
	v_cndmask_b32_e32 v68, -1, v44, vcc_lo
	s_delay_alu instid0(VALU_DEP_1) | instskip(NEXT) | instid1(VALU_DEP_1)
	v_lshrrev_b64 v[68:69], s41, v[68:69]
	v_and_b32_e32 v68, s43, v68
	s_delay_alu instid0(VALU_DEP_1)
	v_and_b32_e32 v69, 1, v68
	v_lshlrev_b32_e32 v70, 30, v68
	v_lshlrev_b32_e32 v71, 29, v68
	;; [unrolled: 1-line block ×4, first 2 shown]
	v_add_co_u32 v69, s17, v69, -1
	s_delay_alu instid0(VALU_DEP_1)
	v_cndmask_b32_e64 v73, 0, 1, s17
	v_not_b32_e32 v183, v70
	v_cmp_gt_i32_e64 s17, 0, v70
	v_not_b32_e32 v70, v71
	v_lshlrev_b32_e32 v75, 26, v68
	v_cmp_ne_u32_e32 vcc_lo, 0, v73
	v_ashrrev_i32_e32 v183, 31, v183
	v_lshlrev_b32_e32 v182, 25, v68
	v_ashrrev_i32_e32 v70, 31, v70
	v_lshlrev_b32_e32 v73, 24, v68
	v_xor_b32_e32 v69, vcc_lo, v69
	v_cmp_gt_i32_e32 vcc_lo, 0, v71
	v_not_b32_e32 v71, v72
	v_xor_b32_e32 v183, s17, v183
	v_cmp_gt_i32_e64 s17, 0, v72
	v_and_b32_e32 v69, exec_lo, v69
	v_not_b32_e32 v72, v74
	v_ashrrev_i32_e32 v71, 31, v71
	v_xor_b32_e32 v70, vcc_lo, v70
	v_cmp_gt_i32_e32 vcc_lo, 0, v74
	v_and_b32_e32 v69, v69, v183
	v_not_b32_e32 v74, v75
	v_ashrrev_i32_e32 v72, 31, v72
	v_xor_b32_e32 v71, s17, v71
	v_cmp_gt_i32_e64 s17, 0, v75
	v_and_b32_e32 v69, v69, v70
	v_not_b32_e32 v70, v182
	v_ashrrev_i32_e32 v74, 31, v74
	v_xor_b32_e32 v72, vcc_lo, v72
	v_cmp_gt_i32_e32 vcc_lo, 0, v182
	v_and_b32_e32 v69, v69, v71
	v_not_b32_e32 v71, v73
	v_ashrrev_i32_e32 v70, 31, v70
	v_xor_b32_e32 v74, s17, v74
	v_mul_u32_u24_e32 v68, 9, v68
	v_and_b32_e32 v69, v69, v72
	v_cmp_gt_i32_e64 s17, 0, v73
	v_ashrrev_i32_e32 v71, 31, v71
	v_xor_b32_e32 v70, vcc_lo, v70
	v_add_lshl_u32 v72, v68, v158, 2
	v_and_b32_e32 v69, v69, v74
	s_delay_alu instid0(VALU_DEP_4) | instskip(SKIP_3) | instid1(VALU_DEP_2)
	v_xor_b32_e32 v68, s17, v71
	ds_load_b32 v182, v72 offset:1056
	v_and_b32_e32 v69, v69, v70
	v_add_nc_u32_e32 v184, 0x420, v72
	; wave barrier
	v_and_b32_e32 v68, v69, v68
	s_delay_alu instid0(VALU_DEP_1) | instskip(SKIP_1) | instid1(VALU_DEP_2)
	v_mbcnt_lo_u32_b32 v183, v68, 0
	v_cmp_ne_u32_e64 s17, 0, v68
	v_cmp_eq_u32_e32 vcc_lo, 0, v183
	s_delay_alu instid0(VALU_DEP_2) | instskip(NEXT) | instid1(SALU_CYCLE_1)
	s_and_b32 s18, s17, vcc_lo
	s_and_saveexec_b32 s17, s18
	s_cbranch_execz .LBB1155_146
; %bb.145:                              ;   in Loop: Header=BB1155_103 Depth=2
	s_waitcnt lgkmcnt(0)
	v_bcnt_u32_b32 v68, v68, v182
	ds_store_b32 v184, v68
.LBB1155_146:                           ;   in Loop: Header=BB1155_103 Depth=2
	s_or_b32 exec_lo, exec_lo, s17
	v_cmp_gt_i64_e32 vcc_lo, 0, v[48:49]
	v_ashrrev_i32_e32 v68, 31, v49
	; wave barrier
	s_delay_alu instid0(VALU_DEP_1) | instskip(SKIP_1) | instid1(VALU_DEP_2)
	v_not_b32_e32 v68, v68
	v_cndmask_b32_e64 v69, 0x7fffffff, 0, vcc_lo
	v_xor_b32_e32 v48, v68, v48
	s_delay_alu instid0(VALU_DEP_2) | instskip(NEXT) | instid1(VALU_DEP_1)
	v_xor_b32_e32 v49, v69, v49
	v_cmp_ne_u64_e32 vcc_lo, s[34:35], v[48:49]
	v_cndmask_b32_e32 v69, 0x7fffffff, v49, vcc_lo
	v_cndmask_b32_e32 v68, -1, v48, vcc_lo
	s_delay_alu instid0(VALU_DEP_1) | instskip(NEXT) | instid1(VALU_DEP_1)
	v_lshrrev_b64 v[68:69], s41, v[68:69]
	v_and_b32_e32 v68, s43, v68
	s_delay_alu instid0(VALU_DEP_1)
	v_and_b32_e32 v69, 1, v68
	v_lshlrev_b32_e32 v70, 30, v68
	v_lshlrev_b32_e32 v71, 29, v68
	;; [unrolled: 1-line block ×4, first 2 shown]
	v_add_co_u32 v69, s17, v69, -1
	s_delay_alu instid0(VALU_DEP_1)
	v_cndmask_b32_e64 v73, 0, 1, s17
	v_not_b32_e32 v186, v70
	v_cmp_gt_i32_e64 s17, 0, v70
	v_not_b32_e32 v70, v71
	v_lshlrev_b32_e32 v75, 26, v68
	v_cmp_ne_u32_e32 vcc_lo, 0, v73
	v_ashrrev_i32_e32 v186, 31, v186
	v_lshlrev_b32_e32 v185, 25, v68
	v_ashrrev_i32_e32 v70, 31, v70
	v_lshlrev_b32_e32 v73, 24, v68
	v_xor_b32_e32 v69, vcc_lo, v69
	v_cmp_gt_i32_e32 vcc_lo, 0, v71
	v_not_b32_e32 v71, v72
	v_xor_b32_e32 v186, s17, v186
	v_cmp_gt_i32_e64 s17, 0, v72
	v_and_b32_e32 v69, exec_lo, v69
	v_not_b32_e32 v72, v74
	v_ashrrev_i32_e32 v71, 31, v71
	v_xor_b32_e32 v70, vcc_lo, v70
	v_cmp_gt_i32_e32 vcc_lo, 0, v74
	v_and_b32_e32 v69, v69, v186
	v_not_b32_e32 v74, v75
	v_ashrrev_i32_e32 v72, 31, v72
	v_xor_b32_e32 v71, s17, v71
	v_cmp_gt_i32_e64 s17, 0, v75
	v_and_b32_e32 v69, v69, v70
	v_not_b32_e32 v70, v185
	v_ashrrev_i32_e32 v74, 31, v74
	v_xor_b32_e32 v72, vcc_lo, v72
	v_cmp_gt_i32_e32 vcc_lo, 0, v185
	v_and_b32_e32 v69, v69, v71
	v_not_b32_e32 v71, v73
	v_ashrrev_i32_e32 v70, 31, v70
	v_xor_b32_e32 v74, s17, v74
	v_mul_u32_u24_e32 v68, 9, v68
	v_and_b32_e32 v69, v69, v72
	v_cmp_gt_i32_e64 s17, 0, v73
	v_ashrrev_i32_e32 v71, 31, v71
	v_xor_b32_e32 v70, vcc_lo, v70
	v_add_lshl_u32 v72, v68, v158, 2
	v_and_b32_e32 v69, v69, v74
	s_delay_alu instid0(VALU_DEP_4) | instskip(SKIP_3) | instid1(VALU_DEP_2)
	v_xor_b32_e32 v68, s17, v71
	ds_load_b32 v185, v72 offset:1056
	v_and_b32_e32 v69, v69, v70
	v_add_nc_u32_e32 v187, 0x420, v72
	; wave barrier
	v_and_b32_e32 v68, v69, v68
	s_delay_alu instid0(VALU_DEP_1) | instskip(SKIP_1) | instid1(VALU_DEP_2)
	v_mbcnt_lo_u32_b32 v186, v68, 0
	v_cmp_ne_u32_e64 s17, 0, v68
	v_cmp_eq_u32_e32 vcc_lo, 0, v186
	s_delay_alu instid0(VALU_DEP_2) | instskip(NEXT) | instid1(SALU_CYCLE_1)
	s_and_b32 s18, s17, vcc_lo
	s_and_saveexec_b32 s17, s18
	s_cbranch_execz .LBB1155_148
; %bb.147:                              ;   in Loop: Header=BB1155_103 Depth=2
	s_waitcnt lgkmcnt(0)
	v_bcnt_u32_b32 v68, v68, v185
	ds_store_b32 v187, v68
.LBB1155_148:                           ;   in Loop: Header=BB1155_103 Depth=2
	s_or_b32 exec_lo, exec_lo, s17
	v_cmp_gt_i64_e32 vcc_lo, 0, v[54:55]
	v_ashrrev_i32_e32 v68, 31, v55
	; wave barrier
	s_delay_alu instid0(VALU_DEP_1) | instskip(SKIP_1) | instid1(VALU_DEP_2)
	v_not_b32_e32 v68, v68
	v_cndmask_b32_e64 v69, 0x7fffffff, 0, vcc_lo
	v_xor_b32_e32 v54, v68, v54
	s_delay_alu instid0(VALU_DEP_2) | instskip(NEXT) | instid1(VALU_DEP_1)
	v_xor_b32_e32 v55, v69, v55
	v_cmp_ne_u64_e32 vcc_lo, s[34:35], v[54:55]
	v_cndmask_b32_e32 v69, 0x7fffffff, v55, vcc_lo
	v_cndmask_b32_e32 v68, -1, v54, vcc_lo
	s_delay_alu instid0(VALU_DEP_1) | instskip(NEXT) | instid1(VALU_DEP_1)
	v_lshrrev_b64 v[68:69], s41, v[68:69]
	v_and_b32_e32 v68, s43, v68
	s_delay_alu instid0(VALU_DEP_1)
	v_and_b32_e32 v69, 1, v68
	v_lshlrev_b32_e32 v70, 30, v68
	v_lshlrev_b32_e32 v71, 29, v68
	;; [unrolled: 1-line block ×4, first 2 shown]
	v_add_co_u32 v69, s17, v69, -1
	s_delay_alu instid0(VALU_DEP_1)
	v_cndmask_b32_e64 v73, 0, 1, s17
	v_not_b32_e32 v189, v70
	v_cmp_gt_i32_e64 s17, 0, v70
	v_not_b32_e32 v70, v71
	v_lshlrev_b32_e32 v75, 26, v68
	v_cmp_ne_u32_e32 vcc_lo, 0, v73
	v_ashrrev_i32_e32 v189, 31, v189
	v_lshlrev_b32_e32 v188, 25, v68
	v_ashrrev_i32_e32 v70, 31, v70
	v_lshlrev_b32_e32 v73, 24, v68
	v_xor_b32_e32 v69, vcc_lo, v69
	v_cmp_gt_i32_e32 vcc_lo, 0, v71
	v_not_b32_e32 v71, v72
	v_xor_b32_e32 v189, s17, v189
	v_cmp_gt_i32_e64 s17, 0, v72
	v_and_b32_e32 v69, exec_lo, v69
	v_not_b32_e32 v72, v74
	v_ashrrev_i32_e32 v71, 31, v71
	v_xor_b32_e32 v70, vcc_lo, v70
	v_cmp_gt_i32_e32 vcc_lo, 0, v74
	v_and_b32_e32 v69, v69, v189
	v_not_b32_e32 v74, v75
	v_ashrrev_i32_e32 v72, 31, v72
	v_xor_b32_e32 v71, s17, v71
	v_cmp_gt_i32_e64 s17, 0, v75
	v_and_b32_e32 v69, v69, v70
	v_not_b32_e32 v70, v188
	v_ashrrev_i32_e32 v74, 31, v74
	v_xor_b32_e32 v72, vcc_lo, v72
	v_cmp_gt_i32_e32 vcc_lo, 0, v188
	v_and_b32_e32 v69, v69, v71
	v_not_b32_e32 v71, v73
	v_ashrrev_i32_e32 v70, 31, v70
	v_xor_b32_e32 v74, s17, v74
	v_mul_u32_u24_e32 v68, 9, v68
	v_and_b32_e32 v69, v69, v72
	v_cmp_gt_i32_e64 s17, 0, v73
	v_ashrrev_i32_e32 v71, 31, v71
	v_xor_b32_e32 v70, vcc_lo, v70
	v_add_lshl_u32 v72, v68, v158, 2
	v_and_b32_e32 v69, v69, v74
	s_delay_alu instid0(VALU_DEP_4) | instskip(SKIP_3) | instid1(VALU_DEP_2)
	v_xor_b32_e32 v68, s17, v71
	ds_load_b32 v188, v72 offset:1056
	v_and_b32_e32 v69, v69, v70
	v_add_nc_u32_e32 v190, 0x420, v72
	; wave barrier
	v_and_b32_e32 v68, v69, v68
	s_delay_alu instid0(VALU_DEP_1) | instskip(SKIP_1) | instid1(VALU_DEP_2)
	v_mbcnt_lo_u32_b32 v189, v68, 0
	v_cmp_ne_u32_e64 s17, 0, v68
	v_cmp_eq_u32_e32 vcc_lo, 0, v189
	s_delay_alu instid0(VALU_DEP_2) | instskip(NEXT) | instid1(SALU_CYCLE_1)
	s_and_b32 s18, s17, vcc_lo
	s_and_saveexec_b32 s17, s18
	s_cbranch_execz .LBB1155_150
; %bb.149:                              ;   in Loop: Header=BB1155_103 Depth=2
	s_waitcnt lgkmcnt(0)
	v_bcnt_u32_b32 v68, v68, v188
	ds_store_b32 v190, v68
.LBB1155_150:                           ;   in Loop: Header=BB1155_103 Depth=2
	s_or_b32 exec_lo, exec_lo, s17
	v_cmp_gt_i64_e32 vcc_lo, 0, v[58:59]
	v_ashrrev_i32_e32 v68, 31, v59
	; wave barrier
	s_delay_alu instid0(VALU_DEP_1) | instskip(SKIP_1) | instid1(VALU_DEP_2)
	v_not_b32_e32 v68, v68
	v_cndmask_b32_e64 v69, 0x7fffffff, 0, vcc_lo
	v_xor_b32_e32 v58, v68, v58
	s_delay_alu instid0(VALU_DEP_2) | instskip(NEXT) | instid1(VALU_DEP_1)
	v_xor_b32_e32 v59, v69, v59
	v_cmp_ne_u64_e32 vcc_lo, s[34:35], v[58:59]
	v_cndmask_b32_e32 v69, 0x7fffffff, v59, vcc_lo
	v_cndmask_b32_e32 v68, -1, v58, vcc_lo
	s_delay_alu instid0(VALU_DEP_1) | instskip(NEXT) | instid1(VALU_DEP_1)
	v_lshrrev_b64 v[68:69], s41, v[68:69]
	v_and_b32_e32 v68, s43, v68
	s_delay_alu instid0(VALU_DEP_1)
	v_and_b32_e32 v69, 1, v68
	v_lshlrev_b32_e32 v70, 30, v68
	v_lshlrev_b32_e32 v71, 29, v68
	;; [unrolled: 1-line block ×4, first 2 shown]
	v_add_co_u32 v69, s17, v69, -1
	s_delay_alu instid0(VALU_DEP_1)
	v_cndmask_b32_e64 v73, 0, 1, s17
	v_not_b32_e32 v192, v70
	v_cmp_gt_i32_e64 s17, 0, v70
	v_not_b32_e32 v70, v71
	v_lshlrev_b32_e32 v75, 26, v68
	v_cmp_ne_u32_e32 vcc_lo, 0, v73
	v_ashrrev_i32_e32 v192, 31, v192
	v_lshlrev_b32_e32 v191, 25, v68
	v_ashrrev_i32_e32 v70, 31, v70
	v_lshlrev_b32_e32 v73, 24, v68
	v_xor_b32_e32 v69, vcc_lo, v69
	v_cmp_gt_i32_e32 vcc_lo, 0, v71
	v_not_b32_e32 v71, v72
	v_xor_b32_e32 v192, s17, v192
	v_cmp_gt_i32_e64 s17, 0, v72
	v_and_b32_e32 v69, exec_lo, v69
	v_not_b32_e32 v72, v74
	v_ashrrev_i32_e32 v71, 31, v71
	v_xor_b32_e32 v70, vcc_lo, v70
	v_cmp_gt_i32_e32 vcc_lo, 0, v74
	v_and_b32_e32 v69, v69, v192
	v_not_b32_e32 v74, v75
	v_ashrrev_i32_e32 v72, 31, v72
	v_xor_b32_e32 v71, s17, v71
	v_cmp_gt_i32_e64 s17, 0, v75
	v_and_b32_e32 v69, v69, v70
	v_not_b32_e32 v70, v191
	v_ashrrev_i32_e32 v74, 31, v74
	v_xor_b32_e32 v72, vcc_lo, v72
	v_cmp_gt_i32_e32 vcc_lo, 0, v191
	v_and_b32_e32 v69, v69, v71
	v_not_b32_e32 v71, v73
	v_ashrrev_i32_e32 v70, 31, v70
	v_xor_b32_e32 v74, s17, v74
	v_mul_u32_u24_e32 v68, 9, v68
	v_and_b32_e32 v69, v69, v72
	v_cmp_gt_i32_e64 s17, 0, v73
	v_ashrrev_i32_e32 v71, 31, v71
	v_xor_b32_e32 v70, vcc_lo, v70
	v_add_lshl_u32 v72, v68, v158, 2
	v_and_b32_e32 v69, v69, v74
	s_delay_alu instid0(VALU_DEP_4) | instskip(SKIP_3) | instid1(VALU_DEP_2)
	v_xor_b32_e32 v68, s17, v71
	ds_load_b32 v191, v72 offset:1056
	v_and_b32_e32 v69, v69, v70
	v_add_nc_u32_e32 v193, 0x420, v72
	; wave barrier
	v_and_b32_e32 v68, v69, v68
	s_delay_alu instid0(VALU_DEP_1) | instskip(SKIP_1) | instid1(VALU_DEP_2)
	v_mbcnt_lo_u32_b32 v192, v68, 0
	v_cmp_ne_u32_e64 s17, 0, v68
	v_cmp_eq_u32_e32 vcc_lo, 0, v192
	s_delay_alu instid0(VALU_DEP_2) | instskip(NEXT) | instid1(SALU_CYCLE_1)
	s_and_b32 s18, s17, vcc_lo
	s_and_saveexec_b32 s17, s18
	s_cbranch_execz .LBB1155_152
; %bb.151:                              ;   in Loop: Header=BB1155_103 Depth=2
	s_waitcnt lgkmcnt(0)
	v_bcnt_u32_b32 v68, v68, v191
	ds_store_b32 v193, v68
.LBB1155_152:                           ;   in Loop: Header=BB1155_103 Depth=2
	s_or_b32 exec_lo, exec_lo, s17
	v_cmp_gt_i64_e32 vcc_lo, 0, v[62:63]
	v_ashrrev_i32_e32 v68, 31, v63
	; wave barrier
	s_delay_alu instid0(VALU_DEP_1) | instskip(SKIP_1) | instid1(VALU_DEP_2)
	v_not_b32_e32 v68, v68
	v_cndmask_b32_e64 v69, 0x7fffffff, 0, vcc_lo
	v_xor_b32_e32 v62, v68, v62
	s_delay_alu instid0(VALU_DEP_2) | instskip(NEXT) | instid1(VALU_DEP_1)
	v_xor_b32_e32 v63, v69, v63
	v_cmp_ne_u64_e32 vcc_lo, s[34:35], v[62:63]
	v_cndmask_b32_e32 v69, 0x7fffffff, v63, vcc_lo
	v_cndmask_b32_e32 v68, -1, v62, vcc_lo
	s_delay_alu instid0(VALU_DEP_1) | instskip(NEXT) | instid1(VALU_DEP_1)
	v_lshrrev_b64 v[68:69], s41, v[68:69]
	v_and_b32_e32 v68, s43, v68
	s_delay_alu instid0(VALU_DEP_1)
	v_and_b32_e32 v69, 1, v68
	v_lshlrev_b32_e32 v70, 30, v68
	v_lshlrev_b32_e32 v71, 29, v68
	;; [unrolled: 1-line block ×4, first 2 shown]
	v_add_co_u32 v69, s17, v69, -1
	s_delay_alu instid0(VALU_DEP_1)
	v_cndmask_b32_e64 v73, 0, 1, s17
	v_not_b32_e32 v195, v70
	v_cmp_gt_i32_e64 s17, 0, v70
	v_not_b32_e32 v70, v71
	v_lshlrev_b32_e32 v75, 26, v68
	v_cmp_ne_u32_e32 vcc_lo, 0, v73
	v_ashrrev_i32_e32 v195, 31, v195
	v_lshlrev_b32_e32 v194, 25, v68
	v_ashrrev_i32_e32 v70, 31, v70
	v_lshlrev_b32_e32 v73, 24, v68
	v_xor_b32_e32 v69, vcc_lo, v69
	v_cmp_gt_i32_e32 vcc_lo, 0, v71
	v_not_b32_e32 v71, v72
	v_xor_b32_e32 v195, s17, v195
	v_cmp_gt_i32_e64 s17, 0, v72
	v_and_b32_e32 v69, exec_lo, v69
	v_not_b32_e32 v72, v74
	v_ashrrev_i32_e32 v71, 31, v71
	v_xor_b32_e32 v70, vcc_lo, v70
	v_cmp_gt_i32_e32 vcc_lo, 0, v74
	v_and_b32_e32 v69, v69, v195
	v_not_b32_e32 v74, v75
	v_ashrrev_i32_e32 v72, 31, v72
	v_xor_b32_e32 v71, s17, v71
	v_cmp_gt_i32_e64 s17, 0, v75
	v_and_b32_e32 v69, v69, v70
	v_not_b32_e32 v70, v194
	v_ashrrev_i32_e32 v74, 31, v74
	v_xor_b32_e32 v72, vcc_lo, v72
	v_cmp_gt_i32_e32 vcc_lo, 0, v194
	v_and_b32_e32 v69, v69, v71
	v_not_b32_e32 v71, v73
	v_ashrrev_i32_e32 v70, 31, v70
	v_xor_b32_e32 v74, s17, v74
	v_mul_u32_u24_e32 v68, 9, v68
	v_and_b32_e32 v69, v69, v72
	v_cmp_gt_i32_e64 s17, 0, v73
	v_ashrrev_i32_e32 v71, 31, v71
	v_xor_b32_e32 v70, vcc_lo, v70
	v_add_lshl_u32 v72, v68, v158, 2
	v_and_b32_e32 v69, v69, v74
	s_delay_alu instid0(VALU_DEP_4) | instskip(SKIP_3) | instid1(VALU_DEP_2)
	v_xor_b32_e32 v68, s17, v71
	ds_load_b32 v194, v72 offset:1056
	v_and_b32_e32 v69, v69, v70
	v_add_nc_u32_e32 v196, 0x420, v72
	; wave barrier
	v_and_b32_e32 v68, v69, v68
	s_delay_alu instid0(VALU_DEP_1) | instskip(SKIP_1) | instid1(VALU_DEP_2)
	v_mbcnt_lo_u32_b32 v195, v68, 0
	v_cmp_ne_u32_e64 s17, 0, v68
	v_cmp_eq_u32_e32 vcc_lo, 0, v195
	s_delay_alu instid0(VALU_DEP_2) | instskip(NEXT) | instid1(SALU_CYCLE_1)
	s_and_b32 s18, s17, vcc_lo
	s_and_saveexec_b32 s17, s18
	s_cbranch_execz .LBB1155_154
; %bb.153:                              ;   in Loop: Header=BB1155_103 Depth=2
	s_waitcnt lgkmcnt(0)
	v_bcnt_u32_b32 v68, v68, v194
	ds_store_b32 v196, v68
.LBB1155_154:                           ;   in Loop: Header=BB1155_103 Depth=2
	s_or_b32 exec_lo, exec_lo, s17
	v_cmp_gt_i64_e32 vcc_lo, 0, v[66:67]
	v_ashrrev_i32_e32 v68, 31, v67
	; wave barrier
	s_delay_alu instid0(VALU_DEP_1) | instskip(SKIP_1) | instid1(VALU_DEP_2)
	v_not_b32_e32 v68, v68
	v_cndmask_b32_e64 v69, 0x7fffffff, 0, vcc_lo
	v_xor_b32_e32 v66, v68, v66
	s_delay_alu instid0(VALU_DEP_2) | instskip(NEXT) | instid1(VALU_DEP_1)
	v_xor_b32_e32 v67, v69, v67
	v_cmp_ne_u64_e32 vcc_lo, s[34:35], v[66:67]
	v_cndmask_b32_e32 v69, 0x7fffffff, v67, vcc_lo
	v_cndmask_b32_e32 v68, -1, v66, vcc_lo
	s_delay_alu instid0(VALU_DEP_1) | instskip(NEXT) | instid1(VALU_DEP_1)
	v_lshrrev_b64 v[68:69], s41, v[68:69]
	v_and_b32_e32 v68, s43, v68
	s_delay_alu instid0(VALU_DEP_1)
	v_and_b32_e32 v69, 1, v68
	v_lshlrev_b32_e32 v70, 30, v68
	v_lshlrev_b32_e32 v71, 29, v68
	;; [unrolled: 1-line block ×4, first 2 shown]
	v_add_co_u32 v69, s17, v69, -1
	s_delay_alu instid0(VALU_DEP_1)
	v_cndmask_b32_e64 v73, 0, 1, s17
	v_not_b32_e32 v198, v70
	v_cmp_gt_i32_e64 s17, 0, v70
	v_not_b32_e32 v70, v71
	v_lshlrev_b32_e32 v75, 26, v68
	v_cmp_ne_u32_e32 vcc_lo, 0, v73
	v_ashrrev_i32_e32 v198, 31, v198
	v_lshlrev_b32_e32 v197, 25, v68
	v_ashrrev_i32_e32 v70, 31, v70
	v_lshlrev_b32_e32 v73, 24, v68
	v_xor_b32_e32 v69, vcc_lo, v69
	v_cmp_gt_i32_e32 vcc_lo, 0, v71
	v_not_b32_e32 v71, v72
	v_xor_b32_e32 v198, s17, v198
	v_cmp_gt_i32_e64 s17, 0, v72
	v_and_b32_e32 v69, exec_lo, v69
	v_not_b32_e32 v72, v74
	v_ashrrev_i32_e32 v71, 31, v71
	v_xor_b32_e32 v70, vcc_lo, v70
	v_cmp_gt_i32_e32 vcc_lo, 0, v74
	v_and_b32_e32 v69, v69, v198
	v_not_b32_e32 v74, v75
	v_ashrrev_i32_e32 v72, 31, v72
	v_xor_b32_e32 v71, s17, v71
	v_cmp_gt_i32_e64 s17, 0, v75
	v_and_b32_e32 v69, v69, v70
	v_not_b32_e32 v70, v197
	v_ashrrev_i32_e32 v74, 31, v74
	v_xor_b32_e32 v72, vcc_lo, v72
	v_cmp_gt_i32_e32 vcc_lo, 0, v197
	v_and_b32_e32 v69, v69, v71
	v_not_b32_e32 v71, v73
	v_ashrrev_i32_e32 v70, 31, v70
	v_xor_b32_e32 v74, s17, v74
	v_mul_u32_u24_e32 v68, 9, v68
	v_and_b32_e32 v69, v69, v72
	v_cmp_gt_i32_e64 s17, 0, v73
	v_ashrrev_i32_e32 v71, 31, v71
	v_xor_b32_e32 v70, vcc_lo, v70
	v_add_lshl_u32 v72, v68, v158, 2
	v_and_b32_e32 v69, v69, v74
	s_delay_alu instid0(VALU_DEP_4) | instskip(SKIP_3) | instid1(VALU_DEP_2)
	v_xor_b32_e32 v68, s17, v71
	ds_load_b32 v197, v72 offset:1056
	v_and_b32_e32 v69, v69, v70
	v_add_nc_u32_e32 v199, 0x420, v72
	; wave barrier
	v_and_b32_e32 v68, v69, v68
	s_delay_alu instid0(VALU_DEP_1) | instskip(SKIP_1) | instid1(VALU_DEP_2)
	v_mbcnt_lo_u32_b32 v198, v68, 0
	v_cmp_ne_u32_e64 s17, 0, v68
	v_cmp_eq_u32_e32 vcc_lo, 0, v198
	s_delay_alu instid0(VALU_DEP_2) | instskip(NEXT) | instid1(SALU_CYCLE_1)
	s_and_b32 s18, s17, vcc_lo
	s_and_saveexec_b32 s17, s18
	s_cbranch_execz .LBB1155_156
; %bb.155:                              ;   in Loop: Header=BB1155_103 Depth=2
	s_waitcnt lgkmcnt(0)
	v_bcnt_u32_b32 v68, v68, v197
	ds_store_b32 v199, v68
.LBB1155_156:                           ;   in Loop: Header=BB1155_103 Depth=2
	s_or_b32 exec_lo, exec_lo, s17
	v_cmp_gt_i64_e32 vcc_lo, 0, v[64:65]
	v_ashrrev_i32_e32 v68, 31, v65
	; wave barrier
	s_delay_alu instid0(VALU_DEP_1) | instskip(SKIP_1) | instid1(VALU_DEP_2)
	v_not_b32_e32 v68, v68
	v_cndmask_b32_e64 v69, 0x7fffffff, 0, vcc_lo
	v_xor_b32_e32 v64, v68, v64
	s_delay_alu instid0(VALU_DEP_2) | instskip(NEXT) | instid1(VALU_DEP_1)
	v_xor_b32_e32 v65, v69, v65
	v_cmp_ne_u64_e32 vcc_lo, s[34:35], v[64:65]
	v_cndmask_b32_e32 v69, 0x7fffffff, v65, vcc_lo
	v_cndmask_b32_e32 v68, -1, v64, vcc_lo
	s_delay_alu instid0(VALU_DEP_1) | instskip(NEXT) | instid1(VALU_DEP_1)
	v_lshrrev_b64 v[68:69], s41, v[68:69]
	v_and_b32_e32 v68, s43, v68
	s_delay_alu instid0(VALU_DEP_1)
	v_and_b32_e32 v69, 1, v68
	v_lshlrev_b32_e32 v70, 30, v68
	v_lshlrev_b32_e32 v71, 29, v68
	;; [unrolled: 1-line block ×4, first 2 shown]
	v_add_co_u32 v69, s17, v69, -1
	s_delay_alu instid0(VALU_DEP_1)
	v_cndmask_b32_e64 v73, 0, 1, s17
	v_not_b32_e32 v201, v70
	v_cmp_gt_i32_e64 s17, 0, v70
	v_not_b32_e32 v70, v71
	v_lshlrev_b32_e32 v75, 26, v68
	v_cmp_ne_u32_e32 vcc_lo, 0, v73
	v_ashrrev_i32_e32 v201, 31, v201
	v_lshlrev_b32_e32 v200, 25, v68
	v_ashrrev_i32_e32 v70, 31, v70
	v_lshlrev_b32_e32 v73, 24, v68
	v_xor_b32_e32 v69, vcc_lo, v69
	v_cmp_gt_i32_e32 vcc_lo, 0, v71
	v_not_b32_e32 v71, v72
	v_xor_b32_e32 v201, s17, v201
	v_cmp_gt_i32_e64 s17, 0, v72
	v_and_b32_e32 v69, exec_lo, v69
	v_not_b32_e32 v72, v74
	v_ashrrev_i32_e32 v71, 31, v71
	v_xor_b32_e32 v70, vcc_lo, v70
	v_cmp_gt_i32_e32 vcc_lo, 0, v74
	v_and_b32_e32 v69, v69, v201
	v_not_b32_e32 v74, v75
	v_ashrrev_i32_e32 v72, 31, v72
	v_xor_b32_e32 v71, s17, v71
	v_cmp_gt_i32_e64 s17, 0, v75
	v_and_b32_e32 v69, v69, v70
	v_not_b32_e32 v70, v200
	v_ashrrev_i32_e32 v74, 31, v74
	v_xor_b32_e32 v72, vcc_lo, v72
	v_cmp_gt_i32_e32 vcc_lo, 0, v200
	v_and_b32_e32 v69, v69, v71
	v_not_b32_e32 v71, v73
	v_ashrrev_i32_e32 v70, 31, v70
	v_xor_b32_e32 v74, s17, v74
	v_mul_u32_u24_e32 v68, 9, v68
	v_and_b32_e32 v69, v69, v72
	v_cmp_gt_i32_e64 s17, 0, v73
	v_ashrrev_i32_e32 v71, 31, v71
	v_xor_b32_e32 v70, vcc_lo, v70
	v_add_lshl_u32 v72, v68, v158, 2
	v_and_b32_e32 v69, v69, v74
	s_delay_alu instid0(VALU_DEP_4) | instskip(SKIP_3) | instid1(VALU_DEP_2)
	v_xor_b32_e32 v68, s17, v71
	ds_load_b32 v200, v72 offset:1056
	v_and_b32_e32 v69, v69, v70
	v_add_nc_u32_e32 v202, 0x420, v72
	; wave barrier
	v_and_b32_e32 v68, v69, v68
	s_delay_alu instid0(VALU_DEP_1) | instskip(SKIP_1) | instid1(VALU_DEP_2)
	v_mbcnt_lo_u32_b32 v201, v68, 0
	v_cmp_ne_u32_e64 s17, 0, v68
	v_cmp_eq_u32_e32 vcc_lo, 0, v201
	s_delay_alu instid0(VALU_DEP_2) | instskip(NEXT) | instid1(SALU_CYCLE_1)
	s_and_b32 s18, s17, vcc_lo
	s_and_saveexec_b32 s17, s18
	s_cbranch_execz .LBB1155_158
; %bb.157:                              ;   in Loop: Header=BB1155_103 Depth=2
	s_waitcnt lgkmcnt(0)
	v_bcnt_u32_b32 v68, v68, v200
	ds_store_b32 v202, v68
.LBB1155_158:                           ;   in Loop: Header=BB1155_103 Depth=2
	s_or_b32 exec_lo, exec_lo, s17
	v_cmp_gt_i64_e32 vcc_lo, 0, v[60:61]
	v_ashrrev_i32_e32 v68, 31, v61
	; wave barrier
	s_delay_alu instid0(VALU_DEP_1) | instskip(SKIP_1) | instid1(VALU_DEP_2)
	v_not_b32_e32 v68, v68
	v_cndmask_b32_e64 v69, 0x7fffffff, 0, vcc_lo
	v_xor_b32_e32 v60, v68, v60
	s_delay_alu instid0(VALU_DEP_2) | instskip(NEXT) | instid1(VALU_DEP_1)
	v_xor_b32_e32 v61, v69, v61
	v_cmp_ne_u64_e32 vcc_lo, s[34:35], v[60:61]
	v_cndmask_b32_e32 v69, 0x7fffffff, v61, vcc_lo
	v_cndmask_b32_e32 v68, -1, v60, vcc_lo
	s_delay_alu instid0(VALU_DEP_1) | instskip(NEXT) | instid1(VALU_DEP_1)
	v_lshrrev_b64 v[68:69], s41, v[68:69]
	v_and_b32_e32 v68, s43, v68
	s_delay_alu instid0(VALU_DEP_1)
	v_and_b32_e32 v69, 1, v68
	v_lshlrev_b32_e32 v70, 30, v68
	v_lshlrev_b32_e32 v71, 29, v68
	;; [unrolled: 1-line block ×4, first 2 shown]
	v_add_co_u32 v69, s17, v69, -1
	s_delay_alu instid0(VALU_DEP_1)
	v_cndmask_b32_e64 v73, 0, 1, s17
	v_not_b32_e32 v204, v70
	v_cmp_gt_i32_e64 s17, 0, v70
	v_not_b32_e32 v70, v71
	v_lshlrev_b32_e32 v75, 26, v68
	v_cmp_ne_u32_e32 vcc_lo, 0, v73
	v_ashrrev_i32_e32 v204, 31, v204
	v_lshlrev_b32_e32 v203, 25, v68
	v_ashrrev_i32_e32 v70, 31, v70
	v_lshlrev_b32_e32 v73, 24, v68
	v_xor_b32_e32 v69, vcc_lo, v69
	v_cmp_gt_i32_e32 vcc_lo, 0, v71
	v_not_b32_e32 v71, v72
	v_xor_b32_e32 v204, s17, v204
	v_cmp_gt_i32_e64 s17, 0, v72
	v_and_b32_e32 v69, exec_lo, v69
	v_not_b32_e32 v72, v74
	v_ashrrev_i32_e32 v71, 31, v71
	v_xor_b32_e32 v70, vcc_lo, v70
	v_cmp_gt_i32_e32 vcc_lo, 0, v74
	v_and_b32_e32 v69, v69, v204
	v_not_b32_e32 v74, v75
	v_ashrrev_i32_e32 v72, 31, v72
	v_xor_b32_e32 v71, s17, v71
	v_cmp_gt_i32_e64 s17, 0, v75
	v_and_b32_e32 v69, v69, v70
	v_not_b32_e32 v70, v203
	v_ashrrev_i32_e32 v74, 31, v74
	v_xor_b32_e32 v72, vcc_lo, v72
	v_cmp_gt_i32_e32 vcc_lo, 0, v203
	v_and_b32_e32 v69, v69, v71
	v_not_b32_e32 v71, v73
	v_ashrrev_i32_e32 v70, 31, v70
	v_xor_b32_e32 v74, s17, v74
	v_mul_u32_u24_e32 v68, 9, v68
	v_and_b32_e32 v69, v69, v72
	v_cmp_gt_i32_e64 s17, 0, v73
	v_ashrrev_i32_e32 v71, 31, v71
	v_xor_b32_e32 v70, vcc_lo, v70
	v_add_lshl_u32 v72, v68, v158, 2
	v_and_b32_e32 v69, v69, v74
	s_delay_alu instid0(VALU_DEP_4) | instskip(SKIP_3) | instid1(VALU_DEP_2)
	v_xor_b32_e32 v68, s17, v71
	ds_load_b32 v203, v72 offset:1056
	v_and_b32_e32 v69, v69, v70
	v_add_nc_u32_e32 v205, 0x420, v72
	; wave barrier
	v_and_b32_e32 v68, v69, v68
	s_delay_alu instid0(VALU_DEP_1) | instskip(SKIP_1) | instid1(VALU_DEP_2)
	v_mbcnt_lo_u32_b32 v204, v68, 0
	v_cmp_ne_u32_e64 s17, 0, v68
	v_cmp_eq_u32_e32 vcc_lo, 0, v204
	s_delay_alu instid0(VALU_DEP_2) | instskip(NEXT) | instid1(SALU_CYCLE_1)
	s_and_b32 s18, s17, vcc_lo
	s_and_saveexec_b32 s17, s18
	s_cbranch_execz .LBB1155_160
; %bb.159:                              ;   in Loop: Header=BB1155_103 Depth=2
	s_waitcnt lgkmcnt(0)
	v_bcnt_u32_b32 v68, v68, v203
	ds_store_b32 v205, v68
.LBB1155_160:                           ;   in Loop: Header=BB1155_103 Depth=2
	s_or_b32 exec_lo, exec_lo, s17
	v_cmp_gt_i64_e32 vcc_lo, 0, v[56:57]
	v_ashrrev_i32_e32 v68, 31, v57
	; wave barrier
	s_delay_alu instid0(VALU_DEP_1) | instskip(SKIP_1) | instid1(VALU_DEP_2)
	v_not_b32_e32 v68, v68
	v_cndmask_b32_e64 v69, 0x7fffffff, 0, vcc_lo
	v_xor_b32_e32 v56, v68, v56
	s_delay_alu instid0(VALU_DEP_2) | instskip(NEXT) | instid1(VALU_DEP_1)
	v_xor_b32_e32 v57, v69, v57
	v_cmp_ne_u64_e32 vcc_lo, s[34:35], v[56:57]
	v_cndmask_b32_e32 v69, 0x7fffffff, v57, vcc_lo
	v_cndmask_b32_e32 v68, -1, v56, vcc_lo
	s_delay_alu instid0(VALU_DEP_1) | instskip(NEXT) | instid1(VALU_DEP_1)
	v_lshrrev_b64 v[68:69], s41, v[68:69]
	v_and_b32_e32 v68, s43, v68
	s_delay_alu instid0(VALU_DEP_1)
	v_and_b32_e32 v69, 1, v68
	v_lshlrev_b32_e32 v70, 30, v68
	v_lshlrev_b32_e32 v71, 29, v68
	;; [unrolled: 1-line block ×4, first 2 shown]
	v_add_co_u32 v69, s17, v69, -1
	s_delay_alu instid0(VALU_DEP_1)
	v_cndmask_b32_e64 v73, 0, 1, s17
	v_not_b32_e32 v207, v70
	v_cmp_gt_i32_e64 s17, 0, v70
	v_not_b32_e32 v70, v71
	v_lshlrev_b32_e32 v75, 26, v68
	v_cmp_ne_u32_e32 vcc_lo, 0, v73
	v_ashrrev_i32_e32 v207, 31, v207
	v_lshlrev_b32_e32 v206, 25, v68
	v_ashrrev_i32_e32 v70, 31, v70
	v_lshlrev_b32_e32 v73, 24, v68
	v_xor_b32_e32 v69, vcc_lo, v69
	v_cmp_gt_i32_e32 vcc_lo, 0, v71
	v_not_b32_e32 v71, v72
	v_xor_b32_e32 v207, s17, v207
	v_cmp_gt_i32_e64 s17, 0, v72
	v_and_b32_e32 v69, exec_lo, v69
	v_not_b32_e32 v72, v74
	v_ashrrev_i32_e32 v71, 31, v71
	v_xor_b32_e32 v70, vcc_lo, v70
	v_cmp_gt_i32_e32 vcc_lo, 0, v74
	v_and_b32_e32 v69, v69, v207
	v_not_b32_e32 v74, v75
	v_ashrrev_i32_e32 v72, 31, v72
	v_xor_b32_e32 v71, s17, v71
	v_cmp_gt_i32_e64 s17, 0, v75
	v_and_b32_e32 v69, v69, v70
	v_not_b32_e32 v70, v206
	v_ashrrev_i32_e32 v74, 31, v74
	v_xor_b32_e32 v72, vcc_lo, v72
	v_cmp_gt_i32_e32 vcc_lo, 0, v206
	v_and_b32_e32 v69, v69, v71
	v_not_b32_e32 v71, v73
	v_ashrrev_i32_e32 v70, 31, v70
	v_xor_b32_e32 v74, s17, v74
	v_mul_u32_u24_e32 v68, 9, v68
	v_and_b32_e32 v69, v69, v72
	v_cmp_gt_i32_e64 s17, 0, v73
	v_ashrrev_i32_e32 v71, 31, v71
	v_xor_b32_e32 v70, vcc_lo, v70
	v_add_lshl_u32 v72, v68, v158, 2
	v_and_b32_e32 v69, v69, v74
	s_delay_alu instid0(VALU_DEP_4) | instskip(SKIP_3) | instid1(VALU_DEP_2)
	v_xor_b32_e32 v68, s17, v71
	ds_load_b32 v206, v72 offset:1056
	v_and_b32_e32 v69, v69, v70
	v_add_nc_u32_e32 v208, 0x420, v72
	; wave barrier
	v_and_b32_e32 v68, v69, v68
	s_delay_alu instid0(VALU_DEP_1) | instskip(SKIP_1) | instid1(VALU_DEP_2)
	v_mbcnt_lo_u32_b32 v207, v68, 0
	v_cmp_ne_u32_e64 s17, 0, v68
	v_cmp_eq_u32_e32 vcc_lo, 0, v207
	s_delay_alu instid0(VALU_DEP_2) | instskip(NEXT) | instid1(SALU_CYCLE_1)
	s_and_b32 s18, s17, vcc_lo
	s_and_saveexec_b32 s17, s18
	s_cbranch_execz .LBB1155_162
; %bb.161:                              ;   in Loop: Header=BB1155_103 Depth=2
	s_waitcnt lgkmcnt(0)
	v_bcnt_u32_b32 v68, v68, v206
	ds_store_b32 v208, v68
.LBB1155_162:                           ;   in Loop: Header=BB1155_103 Depth=2
	s_or_b32 exec_lo, exec_lo, s17
	v_cmp_gt_i64_e32 vcc_lo, 0, v[52:53]
	v_ashrrev_i32_e32 v68, 31, v53
	; wave barrier
	s_delay_alu instid0(VALU_DEP_1) | instskip(SKIP_1) | instid1(VALU_DEP_2)
	v_not_b32_e32 v68, v68
	v_cndmask_b32_e64 v69, 0x7fffffff, 0, vcc_lo
	v_xor_b32_e32 v52, v68, v52
	s_delay_alu instid0(VALU_DEP_2) | instskip(NEXT) | instid1(VALU_DEP_1)
	v_xor_b32_e32 v53, v69, v53
	v_cmp_ne_u64_e32 vcc_lo, s[34:35], v[52:53]
	v_cndmask_b32_e32 v69, 0x7fffffff, v53, vcc_lo
	v_cndmask_b32_e32 v68, -1, v52, vcc_lo
	s_delay_alu instid0(VALU_DEP_1) | instskip(NEXT) | instid1(VALU_DEP_1)
	v_lshrrev_b64 v[68:69], s41, v[68:69]
	v_and_b32_e32 v68, s43, v68
	s_delay_alu instid0(VALU_DEP_1)
	v_and_b32_e32 v69, 1, v68
	v_lshlrev_b32_e32 v70, 30, v68
	v_lshlrev_b32_e32 v71, 29, v68
	;; [unrolled: 1-line block ×4, first 2 shown]
	v_add_co_u32 v69, s17, v69, -1
	s_delay_alu instid0(VALU_DEP_1)
	v_cndmask_b32_e64 v73, 0, 1, s17
	v_not_b32_e32 v210, v70
	v_cmp_gt_i32_e64 s17, 0, v70
	v_not_b32_e32 v70, v71
	v_lshlrev_b32_e32 v75, 26, v68
	v_cmp_ne_u32_e32 vcc_lo, 0, v73
	v_ashrrev_i32_e32 v210, 31, v210
	v_lshlrev_b32_e32 v209, 25, v68
	v_ashrrev_i32_e32 v70, 31, v70
	v_lshlrev_b32_e32 v73, 24, v68
	v_xor_b32_e32 v69, vcc_lo, v69
	v_cmp_gt_i32_e32 vcc_lo, 0, v71
	v_not_b32_e32 v71, v72
	v_xor_b32_e32 v210, s17, v210
	v_cmp_gt_i32_e64 s17, 0, v72
	v_and_b32_e32 v69, exec_lo, v69
	v_not_b32_e32 v72, v74
	v_ashrrev_i32_e32 v71, 31, v71
	v_xor_b32_e32 v70, vcc_lo, v70
	v_cmp_gt_i32_e32 vcc_lo, 0, v74
	v_and_b32_e32 v69, v69, v210
	v_not_b32_e32 v74, v75
	v_ashrrev_i32_e32 v72, 31, v72
	v_xor_b32_e32 v71, s17, v71
	v_cmp_gt_i32_e64 s17, 0, v75
	v_and_b32_e32 v69, v69, v70
	v_not_b32_e32 v70, v209
	v_ashrrev_i32_e32 v74, 31, v74
	v_xor_b32_e32 v72, vcc_lo, v72
	v_cmp_gt_i32_e32 vcc_lo, 0, v209
	v_and_b32_e32 v69, v69, v71
	v_not_b32_e32 v71, v73
	v_ashrrev_i32_e32 v70, 31, v70
	v_xor_b32_e32 v74, s17, v74
	v_mul_u32_u24_e32 v68, 9, v68
	v_and_b32_e32 v69, v69, v72
	v_cmp_gt_i32_e64 s17, 0, v73
	v_ashrrev_i32_e32 v71, 31, v71
	v_xor_b32_e32 v70, vcc_lo, v70
	v_add_lshl_u32 v72, v68, v158, 2
	v_and_b32_e32 v69, v69, v74
	s_delay_alu instid0(VALU_DEP_4) | instskip(SKIP_3) | instid1(VALU_DEP_2)
	v_xor_b32_e32 v68, s17, v71
	ds_load_b32 v209, v72 offset:1056
	v_and_b32_e32 v69, v69, v70
	v_add_nc_u32_e32 v211, 0x420, v72
	; wave barrier
	v_and_b32_e32 v68, v69, v68
	s_delay_alu instid0(VALU_DEP_1) | instskip(SKIP_1) | instid1(VALU_DEP_2)
	v_mbcnt_lo_u32_b32 v210, v68, 0
	v_cmp_ne_u32_e64 s17, 0, v68
	v_cmp_eq_u32_e32 vcc_lo, 0, v210
	s_delay_alu instid0(VALU_DEP_2) | instskip(NEXT) | instid1(SALU_CYCLE_1)
	s_and_b32 s18, s17, vcc_lo
	s_and_saveexec_b32 s17, s18
	s_cbranch_execz .LBB1155_164
; %bb.163:                              ;   in Loop: Header=BB1155_103 Depth=2
	s_waitcnt lgkmcnt(0)
	v_bcnt_u32_b32 v68, v68, v209
	ds_store_b32 v211, v68
.LBB1155_164:                           ;   in Loop: Header=BB1155_103 Depth=2
	s_or_b32 exec_lo, exec_lo, s17
	v_cmp_gt_i64_e32 vcc_lo, 0, v[50:51]
	v_ashrrev_i32_e32 v68, 31, v51
	; wave barrier
	s_delay_alu instid0(VALU_DEP_1) | instskip(SKIP_1) | instid1(VALU_DEP_2)
	v_not_b32_e32 v68, v68
	v_cndmask_b32_e64 v69, 0x7fffffff, 0, vcc_lo
	v_xor_b32_e32 v50, v68, v50
	s_delay_alu instid0(VALU_DEP_2) | instskip(NEXT) | instid1(VALU_DEP_1)
	v_xor_b32_e32 v51, v69, v51
	v_cmp_ne_u64_e32 vcc_lo, s[34:35], v[50:51]
	v_cndmask_b32_e32 v69, 0x7fffffff, v51, vcc_lo
	v_cndmask_b32_e32 v68, -1, v50, vcc_lo
	s_delay_alu instid0(VALU_DEP_1) | instskip(NEXT) | instid1(VALU_DEP_1)
	v_lshrrev_b64 v[68:69], s41, v[68:69]
	v_and_b32_e32 v68, s43, v68
	s_delay_alu instid0(VALU_DEP_1)
	v_and_b32_e32 v69, 1, v68
	v_lshlrev_b32_e32 v70, 30, v68
	v_lshlrev_b32_e32 v71, 29, v68
	;; [unrolled: 1-line block ×4, first 2 shown]
	v_add_co_u32 v69, s17, v69, -1
	s_delay_alu instid0(VALU_DEP_1)
	v_cndmask_b32_e64 v73, 0, 1, s17
	v_not_b32_e32 v213, v70
	v_cmp_gt_i32_e64 s17, 0, v70
	v_not_b32_e32 v70, v71
	v_lshlrev_b32_e32 v75, 26, v68
	v_cmp_ne_u32_e32 vcc_lo, 0, v73
	v_ashrrev_i32_e32 v213, 31, v213
	v_lshlrev_b32_e32 v212, 25, v68
	v_ashrrev_i32_e32 v70, 31, v70
	v_lshlrev_b32_e32 v73, 24, v68
	v_xor_b32_e32 v69, vcc_lo, v69
	v_cmp_gt_i32_e32 vcc_lo, 0, v71
	v_not_b32_e32 v71, v72
	v_xor_b32_e32 v213, s17, v213
	v_cmp_gt_i32_e64 s17, 0, v72
	v_and_b32_e32 v69, exec_lo, v69
	v_not_b32_e32 v72, v74
	v_ashrrev_i32_e32 v71, 31, v71
	v_xor_b32_e32 v70, vcc_lo, v70
	v_cmp_gt_i32_e32 vcc_lo, 0, v74
	v_and_b32_e32 v69, v69, v213
	v_not_b32_e32 v74, v75
	v_ashrrev_i32_e32 v72, 31, v72
	v_xor_b32_e32 v71, s17, v71
	v_cmp_gt_i32_e64 s17, 0, v75
	v_and_b32_e32 v69, v69, v70
	v_not_b32_e32 v70, v212
	v_ashrrev_i32_e32 v74, 31, v74
	v_xor_b32_e32 v72, vcc_lo, v72
	v_cmp_gt_i32_e32 vcc_lo, 0, v212
	v_and_b32_e32 v69, v69, v71
	v_not_b32_e32 v71, v73
	v_ashrrev_i32_e32 v70, 31, v70
	v_xor_b32_e32 v74, s17, v74
	v_mul_u32_u24_e32 v68, 9, v68
	v_and_b32_e32 v69, v69, v72
	v_cmp_gt_i32_e64 s17, 0, v73
	v_ashrrev_i32_e32 v71, 31, v71
	v_xor_b32_e32 v70, vcc_lo, v70
	v_add_lshl_u32 v72, v68, v158, 2
	v_and_b32_e32 v69, v69, v74
	s_delay_alu instid0(VALU_DEP_4) | instskip(SKIP_3) | instid1(VALU_DEP_2)
	v_xor_b32_e32 v68, s17, v71
	ds_load_b32 v212, v72 offset:1056
	v_and_b32_e32 v69, v69, v70
	v_add_nc_u32_e32 v214, 0x420, v72
	; wave barrier
	v_and_b32_e32 v68, v69, v68
	s_delay_alu instid0(VALU_DEP_1) | instskip(SKIP_1) | instid1(VALU_DEP_2)
	v_mbcnt_lo_u32_b32 v213, v68, 0
	v_cmp_ne_u32_e64 s17, 0, v68
	v_cmp_eq_u32_e32 vcc_lo, 0, v213
	s_delay_alu instid0(VALU_DEP_2) | instskip(NEXT) | instid1(SALU_CYCLE_1)
	s_and_b32 s18, s17, vcc_lo
	s_and_saveexec_b32 s17, s18
	s_cbranch_execz .LBB1155_166
; %bb.165:                              ;   in Loop: Header=BB1155_103 Depth=2
	s_waitcnt lgkmcnt(0)
	v_bcnt_u32_b32 v68, v68, v212
	ds_store_b32 v214, v68
.LBB1155_166:                           ;   in Loop: Header=BB1155_103 Depth=2
	s_or_b32 exec_lo, exec_lo, s17
	v_cmp_gt_i64_e32 vcc_lo, 0, v[46:47]
	v_ashrrev_i32_e32 v68, 31, v47
	; wave barrier
	s_delay_alu instid0(VALU_DEP_1) | instskip(SKIP_1) | instid1(VALU_DEP_2)
	v_not_b32_e32 v68, v68
	v_cndmask_b32_e64 v69, 0x7fffffff, 0, vcc_lo
	v_xor_b32_e32 v46, v68, v46
	s_delay_alu instid0(VALU_DEP_2) | instskip(NEXT) | instid1(VALU_DEP_1)
	v_xor_b32_e32 v47, v69, v47
	v_cmp_ne_u64_e32 vcc_lo, s[34:35], v[46:47]
	v_cndmask_b32_e32 v69, 0x7fffffff, v47, vcc_lo
	v_cndmask_b32_e32 v68, -1, v46, vcc_lo
	s_delay_alu instid0(VALU_DEP_1) | instskip(NEXT) | instid1(VALU_DEP_1)
	v_lshrrev_b64 v[68:69], s41, v[68:69]
	v_and_b32_e32 v68, s43, v68
	s_delay_alu instid0(VALU_DEP_1)
	v_and_b32_e32 v69, 1, v68
	v_lshlrev_b32_e32 v70, 30, v68
	v_lshlrev_b32_e32 v71, 29, v68
	;; [unrolled: 1-line block ×4, first 2 shown]
	v_add_co_u32 v69, s17, v69, -1
	s_delay_alu instid0(VALU_DEP_1)
	v_cndmask_b32_e64 v73, 0, 1, s17
	v_not_b32_e32 v216, v70
	v_cmp_gt_i32_e64 s17, 0, v70
	v_not_b32_e32 v70, v71
	v_lshlrev_b32_e32 v75, 26, v68
	v_cmp_ne_u32_e32 vcc_lo, 0, v73
	v_ashrrev_i32_e32 v216, 31, v216
	v_lshlrev_b32_e32 v215, 25, v68
	v_ashrrev_i32_e32 v70, 31, v70
	v_lshlrev_b32_e32 v73, 24, v68
	v_xor_b32_e32 v69, vcc_lo, v69
	v_cmp_gt_i32_e32 vcc_lo, 0, v71
	v_not_b32_e32 v71, v72
	v_xor_b32_e32 v216, s17, v216
	v_cmp_gt_i32_e64 s17, 0, v72
	v_and_b32_e32 v69, exec_lo, v69
	v_not_b32_e32 v72, v74
	v_ashrrev_i32_e32 v71, 31, v71
	v_xor_b32_e32 v70, vcc_lo, v70
	v_cmp_gt_i32_e32 vcc_lo, 0, v74
	v_and_b32_e32 v69, v69, v216
	v_not_b32_e32 v74, v75
	v_ashrrev_i32_e32 v72, 31, v72
	v_xor_b32_e32 v71, s17, v71
	v_cmp_gt_i32_e64 s17, 0, v75
	v_and_b32_e32 v69, v69, v70
	v_not_b32_e32 v70, v215
	v_ashrrev_i32_e32 v74, 31, v74
	v_xor_b32_e32 v72, vcc_lo, v72
	v_cmp_gt_i32_e32 vcc_lo, 0, v215
	v_and_b32_e32 v69, v69, v71
	v_not_b32_e32 v71, v73
	v_ashrrev_i32_e32 v70, 31, v70
	v_xor_b32_e32 v74, s17, v74
	v_mul_u32_u24_e32 v68, 9, v68
	v_and_b32_e32 v69, v69, v72
	v_cmp_gt_i32_e64 s17, 0, v73
	v_ashrrev_i32_e32 v71, 31, v71
	v_xor_b32_e32 v70, vcc_lo, v70
	v_add_lshl_u32 v72, v68, v158, 2
	v_and_b32_e32 v69, v69, v74
	s_delay_alu instid0(VALU_DEP_4) | instskip(SKIP_3) | instid1(VALU_DEP_2)
	v_xor_b32_e32 v68, s17, v71
	ds_load_b32 v215, v72 offset:1056
	v_and_b32_e32 v69, v69, v70
	v_add_nc_u32_e32 v217, 0x420, v72
	; wave barrier
	v_and_b32_e32 v68, v69, v68
	s_delay_alu instid0(VALU_DEP_1) | instskip(SKIP_1) | instid1(VALU_DEP_2)
	v_mbcnt_lo_u32_b32 v216, v68, 0
	v_cmp_ne_u32_e64 s17, 0, v68
	v_cmp_eq_u32_e32 vcc_lo, 0, v216
	s_delay_alu instid0(VALU_DEP_2) | instskip(NEXT) | instid1(SALU_CYCLE_1)
	s_and_b32 s18, s17, vcc_lo
	s_and_saveexec_b32 s17, s18
	s_cbranch_execz .LBB1155_168
; %bb.167:                              ;   in Loop: Header=BB1155_103 Depth=2
	s_waitcnt lgkmcnt(0)
	v_bcnt_u32_b32 v68, v68, v215
	ds_store_b32 v217, v68
.LBB1155_168:                           ;   in Loop: Header=BB1155_103 Depth=2
	s_or_b32 exec_lo, exec_lo, s17
	v_cmp_gt_i64_e32 vcc_lo, 0, v[40:41]
	v_ashrrev_i32_e32 v68, 31, v41
	; wave barrier
	s_delay_alu instid0(VALU_DEP_1) | instskip(SKIP_1) | instid1(VALU_DEP_2)
	v_not_b32_e32 v68, v68
	v_cndmask_b32_e64 v69, 0x7fffffff, 0, vcc_lo
	v_xor_b32_e32 v40, v68, v40
	s_delay_alu instid0(VALU_DEP_2) | instskip(NEXT) | instid1(VALU_DEP_1)
	v_xor_b32_e32 v41, v69, v41
	v_cmp_ne_u64_e32 vcc_lo, s[34:35], v[40:41]
	v_cndmask_b32_e32 v69, 0x7fffffff, v41, vcc_lo
	v_cndmask_b32_e32 v68, -1, v40, vcc_lo
	s_delay_alu instid0(VALU_DEP_1) | instskip(NEXT) | instid1(VALU_DEP_1)
	v_lshrrev_b64 v[68:69], s41, v[68:69]
	v_and_b32_e32 v68, s43, v68
	s_delay_alu instid0(VALU_DEP_1)
	v_and_b32_e32 v69, 1, v68
	v_lshlrev_b32_e32 v70, 30, v68
	v_lshlrev_b32_e32 v71, 29, v68
	;; [unrolled: 1-line block ×4, first 2 shown]
	v_add_co_u32 v69, s17, v69, -1
	s_delay_alu instid0(VALU_DEP_1)
	v_cndmask_b32_e64 v73, 0, 1, s17
	v_not_b32_e32 v219, v70
	v_cmp_gt_i32_e64 s17, 0, v70
	v_not_b32_e32 v70, v71
	v_lshlrev_b32_e32 v75, 26, v68
	v_cmp_ne_u32_e32 vcc_lo, 0, v73
	v_ashrrev_i32_e32 v219, 31, v219
	v_lshlrev_b32_e32 v218, 25, v68
	v_ashrrev_i32_e32 v70, 31, v70
	v_lshlrev_b32_e32 v73, 24, v68
	v_xor_b32_e32 v69, vcc_lo, v69
	v_cmp_gt_i32_e32 vcc_lo, 0, v71
	v_not_b32_e32 v71, v72
	v_xor_b32_e32 v219, s17, v219
	v_cmp_gt_i32_e64 s17, 0, v72
	v_and_b32_e32 v69, exec_lo, v69
	v_not_b32_e32 v72, v74
	v_ashrrev_i32_e32 v71, 31, v71
	v_xor_b32_e32 v70, vcc_lo, v70
	v_cmp_gt_i32_e32 vcc_lo, 0, v74
	v_and_b32_e32 v69, v69, v219
	v_not_b32_e32 v74, v75
	v_ashrrev_i32_e32 v72, 31, v72
	v_xor_b32_e32 v71, s17, v71
	v_cmp_gt_i32_e64 s17, 0, v75
	v_and_b32_e32 v69, v69, v70
	v_not_b32_e32 v70, v218
	v_ashrrev_i32_e32 v74, 31, v74
	v_xor_b32_e32 v72, vcc_lo, v72
	v_cmp_gt_i32_e32 vcc_lo, 0, v218
	v_and_b32_e32 v69, v69, v71
	v_not_b32_e32 v71, v73
	v_ashrrev_i32_e32 v70, 31, v70
	v_xor_b32_e32 v74, s17, v74
	v_mul_u32_u24_e32 v68, 9, v68
	v_and_b32_e32 v69, v69, v72
	v_cmp_gt_i32_e64 s17, 0, v73
	v_ashrrev_i32_e32 v71, 31, v71
	v_xor_b32_e32 v70, vcc_lo, v70
	v_add_lshl_u32 v72, v68, v158, 2
	v_and_b32_e32 v69, v69, v74
	s_delay_alu instid0(VALU_DEP_4) | instskip(SKIP_3) | instid1(VALU_DEP_2)
	v_xor_b32_e32 v68, s17, v71
	ds_load_b32 v218, v72 offset:1056
	v_and_b32_e32 v69, v69, v70
	v_add_nc_u32_e32 v220, 0x420, v72
	; wave barrier
	v_and_b32_e32 v68, v69, v68
	s_delay_alu instid0(VALU_DEP_1) | instskip(SKIP_1) | instid1(VALU_DEP_2)
	v_mbcnt_lo_u32_b32 v219, v68, 0
	v_cmp_ne_u32_e64 s17, 0, v68
	v_cmp_eq_u32_e32 vcc_lo, 0, v219
	s_delay_alu instid0(VALU_DEP_2) | instskip(NEXT) | instid1(SALU_CYCLE_1)
	s_and_b32 s18, s17, vcc_lo
	s_and_saveexec_b32 s17, s18
	s_cbranch_execz .LBB1155_170
; %bb.169:                              ;   in Loop: Header=BB1155_103 Depth=2
	s_waitcnt lgkmcnt(0)
	v_bcnt_u32_b32 v68, v68, v218
	ds_store_b32 v220, v68
.LBB1155_170:                           ;   in Loop: Header=BB1155_103 Depth=2
	s_or_b32 exec_lo, exec_lo, s17
	v_cmp_gt_i64_e32 vcc_lo, 0, v[42:43]
	v_ashrrev_i32_e32 v68, 31, v43
	; wave barrier
	s_delay_alu instid0(VALU_DEP_1) | instskip(SKIP_1) | instid1(VALU_DEP_2)
	v_not_b32_e32 v68, v68
	v_cndmask_b32_e64 v69, 0x7fffffff, 0, vcc_lo
	v_xor_b32_e32 v42, v68, v42
	s_delay_alu instid0(VALU_DEP_2) | instskip(NEXT) | instid1(VALU_DEP_1)
	v_xor_b32_e32 v43, v69, v43
	v_cmp_ne_u64_e32 vcc_lo, s[34:35], v[42:43]
	v_cndmask_b32_e32 v69, 0x7fffffff, v43, vcc_lo
	v_cndmask_b32_e32 v68, -1, v42, vcc_lo
	s_delay_alu instid0(VALU_DEP_1) | instskip(NEXT) | instid1(VALU_DEP_1)
	v_lshrrev_b64 v[68:69], s41, v[68:69]
	v_and_b32_e32 v68, s43, v68
	s_delay_alu instid0(VALU_DEP_1)
	v_and_b32_e32 v69, 1, v68
	v_lshlrev_b32_e32 v70, 30, v68
	v_lshlrev_b32_e32 v71, 29, v68
	;; [unrolled: 1-line block ×4, first 2 shown]
	v_add_co_u32 v69, s17, v69, -1
	s_delay_alu instid0(VALU_DEP_1)
	v_cndmask_b32_e64 v73, 0, 1, s17
	v_not_b32_e32 v222, v70
	v_cmp_gt_i32_e64 s17, 0, v70
	v_not_b32_e32 v70, v71
	v_lshlrev_b32_e32 v75, 26, v68
	v_cmp_ne_u32_e32 vcc_lo, 0, v73
	v_ashrrev_i32_e32 v222, 31, v222
	v_lshlrev_b32_e32 v221, 25, v68
	v_ashrrev_i32_e32 v70, 31, v70
	v_lshlrev_b32_e32 v73, 24, v68
	v_xor_b32_e32 v69, vcc_lo, v69
	v_cmp_gt_i32_e32 vcc_lo, 0, v71
	v_not_b32_e32 v71, v72
	v_xor_b32_e32 v222, s17, v222
	v_cmp_gt_i32_e64 s17, 0, v72
	v_and_b32_e32 v69, exec_lo, v69
	v_not_b32_e32 v72, v74
	v_ashrrev_i32_e32 v71, 31, v71
	v_xor_b32_e32 v70, vcc_lo, v70
	v_cmp_gt_i32_e32 vcc_lo, 0, v74
	v_and_b32_e32 v69, v69, v222
	v_not_b32_e32 v74, v75
	v_ashrrev_i32_e32 v72, 31, v72
	v_xor_b32_e32 v71, s17, v71
	v_cmp_gt_i32_e64 s17, 0, v75
	v_and_b32_e32 v69, v69, v70
	v_not_b32_e32 v70, v221
	v_ashrrev_i32_e32 v74, 31, v74
	v_xor_b32_e32 v72, vcc_lo, v72
	v_cmp_gt_i32_e32 vcc_lo, 0, v221
	v_and_b32_e32 v69, v69, v71
	v_not_b32_e32 v71, v73
	v_ashrrev_i32_e32 v70, 31, v70
	v_xor_b32_e32 v74, s17, v74
	v_mul_u32_u24_e32 v68, 9, v68
	v_and_b32_e32 v69, v69, v72
	v_cmp_gt_i32_e64 s17, 0, v73
	v_ashrrev_i32_e32 v71, 31, v71
	v_xor_b32_e32 v70, vcc_lo, v70
	v_add_lshl_u32 v72, v68, v158, 2
	v_and_b32_e32 v69, v69, v74
	s_delay_alu instid0(VALU_DEP_4) | instskip(SKIP_3) | instid1(VALU_DEP_2)
	v_xor_b32_e32 v68, s17, v71
	ds_load_b32 v221, v72 offset:1056
	v_and_b32_e32 v69, v69, v70
	v_add_nc_u32_e32 v223, 0x420, v72
	; wave barrier
	v_and_b32_e32 v68, v69, v68
	s_delay_alu instid0(VALU_DEP_1) | instskip(SKIP_1) | instid1(VALU_DEP_2)
	v_mbcnt_lo_u32_b32 v222, v68, 0
	v_cmp_ne_u32_e64 s17, 0, v68
	v_cmp_eq_u32_e32 vcc_lo, 0, v222
	s_delay_alu instid0(VALU_DEP_2) | instskip(NEXT) | instid1(SALU_CYCLE_1)
	s_and_b32 s18, s17, vcc_lo
	s_and_saveexec_b32 s17, s18
	s_cbranch_execz .LBB1155_172
; %bb.171:                              ;   in Loop: Header=BB1155_103 Depth=2
	s_waitcnt lgkmcnt(0)
	v_bcnt_u32_b32 v68, v68, v221
	ds_store_b32 v223, v68
.LBB1155_172:                           ;   in Loop: Header=BB1155_103 Depth=2
	s_or_b32 exec_lo, exec_lo, s17
	; wave barrier
	s_waitcnt lgkmcnt(0)
	s_barrier
	buffer_gl0_inv
	ds_load_b32 v224, v102 offset:1056
	ds_load_2addr_b32 v[74:75], v103 offset0:1 offset1:2
	ds_load_2addr_b32 v[72:73], v103 offset0:3 offset1:4
	;; [unrolled: 1-line block ×4, first 2 shown]
	s_waitcnt lgkmcnt(3)
	v_add3_u32 v225, v74, v224, v75
	s_waitcnt lgkmcnt(2)
	s_delay_alu instid0(VALU_DEP_1) | instskip(SKIP_1) | instid1(VALU_DEP_1)
	v_add3_u32 v225, v225, v72, v73
	s_waitcnt lgkmcnt(1)
	v_add3_u32 v225, v225, v68, v69
	s_waitcnt lgkmcnt(0)
	s_delay_alu instid0(VALU_DEP_1) | instskip(NEXT) | instid1(VALU_DEP_1)
	v_add3_u32 v71, v225, v70, v71
	v_mov_b32_dpp v225, v71 row_shr:1 row_mask:0xf bank_mask:0xf
	s_delay_alu instid0(VALU_DEP_1) | instskip(NEXT) | instid1(VALU_DEP_1)
	v_cndmask_b32_e64 v225, v225, 0, s1
	v_add_nc_u32_e32 v71, v225, v71
	s_delay_alu instid0(VALU_DEP_1) | instskip(NEXT) | instid1(VALU_DEP_1)
	v_mov_b32_dpp v225, v71 row_shr:2 row_mask:0xf bank_mask:0xf
	v_cndmask_b32_e64 v225, 0, v225, s7
	s_delay_alu instid0(VALU_DEP_1) | instskip(NEXT) | instid1(VALU_DEP_1)
	v_add_nc_u32_e32 v71, v71, v225
	v_mov_b32_dpp v225, v71 row_shr:4 row_mask:0xf bank_mask:0xf
	s_delay_alu instid0(VALU_DEP_1) | instskip(NEXT) | instid1(VALU_DEP_1)
	v_cndmask_b32_e64 v225, 0, v225, s8
	v_add_nc_u32_e32 v71, v71, v225
	s_delay_alu instid0(VALU_DEP_1) | instskip(NEXT) | instid1(VALU_DEP_1)
	v_mov_b32_dpp v225, v71 row_shr:8 row_mask:0xf bank_mask:0xf
	v_cndmask_b32_e64 v225, 0, v225, s9
	s_delay_alu instid0(VALU_DEP_1) | instskip(SKIP_3) | instid1(VALU_DEP_1)
	v_add_nc_u32_e32 v71, v71, v225
	ds_swizzle_b32 v225, v71 offset:swizzle(BROADCAST,32,15)
	s_waitcnt lgkmcnt(0)
	v_cndmask_b32_e64 v225, v225, 0, s10
	v_add_nc_u32_e32 v71, v71, v225
	s_and_saveexec_b32 s17, s3
	s_cbranch_execz .LBB1155_174
; %bb.173:                              ;   in Loop: Header=BB1155_103 Depth=2
	ds_store_b32 v94, v71 offset:1024
.LBB1155_174:                           ;   in Loop: Header=BB1155_103 Depth=2
	s_or_b32 exec_lo, exec_lo, s17
	s_waitcnt lgkmcnt(0)
	s_barrier
	buffer_gl0_inv
	s_and_saveexec_b32 s17, s4
	s_cbranch_execz .LBB1155_176
; %bb.175:                              ;   in Loop: Header=BB1155_103 Depth=2
	ds_load_b32 v225, v104 offset:1024
	s_waitcnt lgkmcnt(0)
	v_mov_b32_dpp v226, v225 row_shr:1 row_mask:0xf bank_mask:0xf
	s_delay_alu instid0(VALU_DEP_1) | instskip(NEXT) | instid1(VALU_DEP_1)
	v_cndmask_b32_e64 v226, v226, 0, s12
	v_add_nc_u32_e32 v225, v226, v225
	s_delay_alu instid0(VALU_DEP_1) | instskip(NEXT) | instid1(VALU_DEP_1)
	v_mov_b32_dpp v226, v225 row_shr:2 row_mask:0xf bank_mask:0xf
	v_cndmask_b32_e64 v226, 0, v226, s13
	s_delay_alu instid0(VALU_DEP_1) | instskip(NEXT) | instid1(VALU_DEP_1)
	v_add_nc_u32_e32 v225, v225, v226
	v_mov_b32_dpp v226, v225 row_shr:4 row_mask:0xf bank_mask:0xf
	s_delay_alu instid0(VALU_DEP_1) | instskip(NEXT) | instid1(VALU_DEP_1)
	v_cndmask_b32_e64 v226, 0, v226, s16
	v_add_nc_u32_e32 v225, v225, v226
	ds_store_b32 v104, v225 offset:1024
.LBB1155_176:                           ;   in Loop: Header=BB1155_103 Depth=2
	s_or_b32 exec_lo, exec_lo, s17
	v_mov_b32_e32 v225, 0
	s_waitcnt lgkmcnt(0)
	s_barrier
	buffer_gl0_inv
	s_and_saveexec_b32 s17, s5
	s_cbranch_execz .LBB1155_178
; %bb.177:                              ;   in Loop: Header=BB1155_103 Depth=2
	ds_load_b32 v225, v94 offset:1020
.LBB1155_178:                           ;   in Loop: Header=BB1155_103 Depth=2
	s_or_b32 exec_lo, exec_lo, s17
	s_waitcnt lgkmcnt(0)
	v_add_nc_u32_e32 v71, v225, v71
	ds_bpermute_b32 v71, v137, v71
	s_waitcnt lgkmcnt(0)
	v_cndmask_b32_e64 v71, v71, v225, s11
	s_delay_alu instid0(VALU_DEP_1) | instskip(NEXT) | instid1(VALU_DEP_1)
	v_cndmask_b32_e64 v71, v71, 0, s0
	v_add_nc_u32_e32 v224, v71, v224
	s_delay_alu instid0(VALU_DEP_1) | instskip(NEXT) | instid1(VALU_DEP_1)
	v_add_nc_u32_e32 v74, v224, v74
	v_add_nc_u32_e32 v75, v74, v75
	s_delay_alu instid0(VALU_DEP_1) | instskip(NEXT) | instid1(VALU_DEP_1)
	v_add_nc_u32_e32 v72, v75, v72
	;; [unrolled: 3-line block ×3, first 2 shown]
	v_add_nc_u32_e32 v69, v68, v69
	s_delay_alu instid0(VALU_DEP_1)
	v_add_nc_u32_e32 v70, v69, v70
	ds_store_b32 v102, v71 offset:1056
	ds_store_2addr_b32 v103, v224, v74 offset0:1 offset1:2
	ds_store_2addr_b32 v103, v75, v72 offset0:3 offset1:4
	ds_store_2addr_b32 v103, v73, v68 offset0:5 offset1:6
	ds_store_2addr_b32 v103, v69, v70 offset0:7 offset1:8
	v_mov_b32_e32 v68, 0x1000
	s_waitcnt lgkmcnt(0)
	s_barrier
	buffer_gl0_inv
	ds_load_b32 v70, v181
	ds_load_b32 v71, v184
	ds_load_b32 v72, v187
	ds_load_b32 v73, v190
	ds_load_b32 v225, v193
	ds_load_b32 v224, v196
	ds_load_b32 v199, v199
	ds_load_b32 v196, v202
	ds_load_b32 v193, v205
	ds_load_b32 v190, v208
	ds_load_b32 v187, v211
	ds_load_b32 v184, v214
	ds_load_b32 v181, v217
	ds_load_b32 v75, v220
	ds_load_b32 v74, v223
	ds_load_b32 v69, v178
	ds_load_b32 v178, v102 offset:1056
	s_and_saveexec_b32 s17, s6
	s_cbranch_execz .LBB1155_180
; %bb.179:                              ;   in Loop: Header=BB1155_103 Depth=2
	ds_load_b32 v68, v105 offset:1056
.LBB1155_180:                           ;   in Loop: Header=BB1155_103 Depth=2
	s_or_b32 exec_lo, exec_lo, s17
	s_waitcnt lgkmcnt(0)
	s_barrier
	buffer_gl0_inv
	s_and_saveexec_b32 s17, s2
	s_cbranch_execz .LBB1155_182
; %bb.181:                              ;   in Loop: Header=BB1155_103 Depth=2
	ds_load_b32 v202, v76
	s_waitcnt lgkmcnt(0)
	v_sub_nc_u32_e32 v178, v202, v178
	ds_store_b32 v76, v178
.LBB1155_182:                           ;   in Loop: Header=BB1155_103 Depth=2
	s_or_b32 exec_lo, exec_lo, s17
	v_add_nc_u32_e32 v179, v180, v179
	v_add_lshl_u32 v69, v69, v2, 3
	v_add_nc_u32_e32 v2, v183, v182
	v_add_nc_u32_e32 v180, v186, v185
	;; [unrolled: 1-line block ×8, first 2 shown]
	v_add_lshl_u32 v70, v179, v70, 3
	v_add_lshl_u32 v71, v2, v71, 3
	v_add_nc_u32_e32 v200, v201, v200
	v_add_lshl_u32 v72, v180, v72, 3
	v_add_nc_u32_e32 v203, v204, v203
	;; [unrolled: 2-line block ×3, first 2 shown]
	v_add_nc_u32_e32 v202, v219, v218
	v_add_nc_u32_e32 v205, v216, v215
	;; [unrolled: 1-line block ×3, first 2 shown]
	ds_store_b64 v69, v[36:37] offset:1024
	ds_store_b64 v70, v[38:39] offset:1024
	v_add_lshl_u32 v38, v191, v225, 3
	ds_store_b64 v71, v[44:45] offset:1024
	ds_store_b64 v72, v[48:49] offset:1024
	;; [unrolled: 1-line block ×3, first 2 shown]
	v_add_lshl_u32 v39, v194, v224, 3
	v_add_lshl_u32 v44, v197, v199, 3
	;; [unrolled: 1-line block ×6, first 2 shown]
	ds_store_b64 v38, v[58:59] offset:1024
	ds_store_b64 v39, v[62:63] offset:1024
	;; [unrolled: 1-line block ×6, first 2 shown]
	v_add_lshl_u32 v55, v208, v184, 3
	v_add_lshl_u32 v56, v205, v181, 3
	;; [unrolled: 1-line block ×3, first 2 shown]
	ds_store_b64 v54, v[52:53] offset:1024
	v_add_lshl_u32 v52, v178, v74, 3
	v_cmp_lt_u32_e32 vcc_lo, v1, v177
	ds_store_b64 v55, v[50:51] offset:1024
	ds_store_b64 v56, v[46:47] offset:1024
	;; [unrolled: 1-line block ×4, first 2 shown]
	s_waitcnt lgkmcnt(0)
	s_barrier
	buffer_gl0_inv
	s_and_saveexec_b32 s18, vcc_lo
	s_cbranch_execz .LBB1155_198
; %bb.183:                              ;   in Loop: Header=BB1155_103 Depth=2
	v_add_nc_u32_e32 v2, v104, v76
	ds_load_b64 v[36:37], v2 offset:1024
	s_waitcnt lgkmcnt(0)
	v_cmp_ne_u64_e64 s17, s[34:35], v[36:37]
	s_delay_alu instid0(VALU_DEP_1) | instskip(SKIP_2) | instid1(VALU_DEP_2)
	v_cndmask_b32_e64 v41, 0x7fffffff, v37, s17
	v_cndmask_b32_e64 v40, -1, v36, s17
	v_cmp_gt_i64_e64 s17, 0, v[36:37]
	v_lshrrev_b64 v[40:41], s41, v[40:41]
	s_delay_alu instid0(VALU_DEP_2) | instskip(NEXT) | instid1(VALU_DEP_2)
	v_cndmask_b32_e64 v42, 0x7fffffff, 0, s17
	v_and_b32_e32 v2, s43, v40
	v_ashrrev_i32_e32 v40, 31, v37
	s_delay_alu instid0(VALU_DEP_3) | instskip(NEXT) | instid1(VALU_DEP_3)
	v_xor_b32_e32 v37, v42, v37
	v_lshlrev_b32_e32 v2, 2, v2
	s_delay_alu instid0(VALU_DEP_3) | instskip(SKIP_4) | instid1(VALU_DEP_1)
	v_not_b32_e32 v43, v40
	ds_load_b32 v2, v2
	v_xor_b32_e32 v36, v43, v36
	s_waitcnt lgkmcnt(0)
	v_add_nc_u32_e32 v2, v2, v1
	v_lshlrev_b64 v[40:41], 3, v[2:3]
	s_delay_alu instid0(VALU_DEP_1) | instskip(NEXT) | instid1(VALU_DEP_1)
	v_add_co_u32 v40, s17, s46, v40
	v_add_co_ci_u32_e64 v41, s17, s47, v41, s17
	global_store_b64 v[40:41], v[36:37], off
	s_or_b32 exec_lo, exec_lo, s18
	v_cmp_lt_u32_e64 s17, v77, v177
	s_delay_alu instid0(VALU_DEP_1)
	s_and_saveexec_b32 s19, s17
	s_cbranch_execnz .LBB1155_199
.LBB1155_184:                           ;   in Loop: Header=BB1155_103 Depth=2
	s_or_b32 exec_lo, exec_lo, s19
	v_cmp_lt_u32_e64 s18, v78, v177
	s_delay_alu instid0(VALU_DEP_1)
	s_and_saveexec_b32 s20, s18
	s_cbranch_execz .LBB1155_200
.LBB1155_185:                           ;   in Loop: Header=BB1155_103 Depth=2
	ds_load_b64 v[36:37], v110 offset:4096
	s_waitcnt lgkmcnt(0)
	v_cmp_ne_u64_e64 s19, s[34:35], v[36:37]
	s_delay_alu instid0(VALU_DEP_1) | instskip(SKIP_2) | instid1(VALU_DEP_2)
	v_cndmask_b32_e64 v41, 0x7fffffff, v37, s19
	v_cndmask_b32_e64 v40, -1, v36, s19
	v_cmp_gt_i64_e64 s19, 0, v[36:37]
	v_lshrrev_b64 v[40:41], s41, v[40:41]
	s_delay_alu instid0(VALU_DEP_2) | instskip(NEXT) | instid1(VALU_DEP_2)
	v_cndmask_b32_e64 v42, 0x7fffffff, 0, s19
	v_and_b32_e32 v2, s43, v40
	v_ashrrev_i32_e32 v40, 31, v37
	s_delay_alu instid0(VALU_DEP_3) | instskip(NEXT) | instid1(VALU_DEP_3)
	v_xor_b32_e32 v37, v42, v37
	v_lshlrev_b32_e32 v2, 2, v2
	s_delay_alu instid0(VALU_DEP_3) | instskip(SKIP_4) | instid1(VALU_DEP_1)
	v_not_b32_e32 v43, v40
	ds_load_b32 v2, v2
	v_xor_b32_e32 v36, v43, v36
	s_waitcnt lgkmcnt(0)
	v_add_nc_u32_e32 v2, v2, v78
	v_lshlrev_b64 v[40:41], 3, v[2:3]
	s_delay_alu instid0(VALU_DEP_1) | instskip(NEXT) | instid1(VALU_DEP_1)
	v_add_co_u32 v40, s19, s46, v40
	v_add_co_ci_u32_e64 v41, s19, s47, v41, s19
	global_store_b64 v[40:41], v[36:37], off
	s_or_b32 exec_lo, exec_lo, s20
	v_cmp_lt_u32_e64 s19, v79, v177
	s_delay_alu instid0(VALU_DEP_1)
	s_and_saveexec_b32 s21, s19
	s_cbranch_execnz .LBB1155_201
.LBB1155_186:                           ;   in Loop: Header=BB1155_103 Depth=2
	s_or_b32 exec_lo, exec_lo, s21
	v_cmp_lt_u32_e64 s20, v83, v177
	s_delay_alu instid0(VALU_DEP_1)
	s_and_saveexec_b32 s22, s20
	s_cbranch_execz .LBB1155_202
.LBB1155_187:                           ;   in Loop: Header=BB1155_103 Depth=2
	ds_load_b64 v[36:37], v110 offset:8192
	s_waitcnt lgkmcnt(0)
	v_cmp_ne_u64_e64 s21, s[34:35], v[36:37]
	s_delay_alu instid0(VALU_DEP_1) | instskip(SKIP_2) | instid1(VALU_DEP_2)
	v_cndmask_b32_e64 v41, 0x7fffffff, v37, s21
	v_cndmask_b32_e64 v40, -1, v36, s21
	v_cmp_gt_i64_e64 s21, 0, v[36:37]
	v_lshrrev_b64 v[40:41], s41, v[40:41]
	s_delay_alu instid0(VALU_DEP_2) | instskip(NEXT) | instid1(VALU_DEP_2)
	v_cndmask_b32_e64 v42, 0x7fffffff, 0, s21
	v_and_b32_e32 v2, s43, v40
	v_ashrrev_i32_e32 v40, 31, v37
	s_delay_alu instid0(VALU_DEP_3) | instskip(NEXT) | instid1(VALU_DEP_3)
	v_xor_b32_e32 v37, v42, v37
	v_lshlrev_b32_e32 v2, 2, v2
	s_delay_alu instid0(VALU_DEP_3) | instskip(SKIP_4) | instid1(VALU_DEP_1)
	v_not_b32_e32 v43, v40
	ds_load_b32 v2, v2
	v_xor_b32_e32 v36, v43, v36
	s_waitcnt lgkmcnt(0)
	v_add_nc_u32_e32 v2, v2, v83
	v_lshlrev_b64 v[40:41], 3, v[2:3]
	s_delay_alu instid0(VALU_DEP_1) | instskip(NEXT) | instid1(VALU_DEP_1)
	v_add_co_u32 v40, s21, s46, v40
	v_add_co_ci_u32_e64 v41, s21, s47, v41, s21
	global_store_b64 v[40:41], v[36:37], off
	s_or_b32 exec_lo, exec_lo, s22
	v_cmp_lt_u32_e64 s21, v84, v177
	s_delay_alu instid0(VALU_DEP_1)
	s_and_saveexec_b32 s23, s21
	s_cbranch_execnz .LBB1155_203
.LBB1155_188:                           ;   in Loop: Header=BB1155_103 Depth=2
	s_or_b32 exec_lo, exec_lo, s23
	v_cmp_lt_u32_e64 s22, v85, v177
	s_delay_alu instid0(VALU_DEP_1)
	s_and_saveexec_b32 s24, s22
	s_cbranch_execz .LBB1155_204
.LBB1155_189:                           ;   in Loop: Header=BB1155_103 Depth=2
	ds_load_b64 v[36:37], v110 offset:12288
	s_waitcnt lgkmcnt(0)
	v_cmp_ne_u64_e64 s23, s[34:35], v[36:37]
	s_delay_alu instid0(VALU_DEP_1) | instskip(SKIP_2) | instid1(VALU_DEP_2)
	v_cndmask_b32_e64 v41, 0x7fffffff, v37, s23
	v_cndmask_b32_e64 v40, -1, v36, s23
	v_cmp_gt_i64_e64 s23, 0, v[36:37]
	v_lshrrev_b64 v[40:41], s41, v[40:41]
	s_delay_alu instid0(VALU_DEP_2) | instskip(NEXT) | instid1(VALU_DEP_2)
	v_cndmask_b32_e64 v42, 0x7fffffff, 0, s23
	v_and_b32_e32 v2, s43, v40
	v_ashrrev_i32_e32 v40, 31, v37
	s_delay_alu instid0(VALU_DEP_3) | instskip(NEXT) | instid1(VALU_DEP_3)
	v_xor_b32_e32 v37, v42, v37
	v_lshlrev_b32_e32 v2, 2, v2
	s_delay_alu instid0(VALU_DEP_3) | instskip(SKIP_4) | instid1(VALU_DEP_1)
	v_not_b32_e32 v43, v40
	ds_load_b32 v2, v2
	v_xor_b32_e32 v36, v43, v36
	s_waitcnt lgkmcnt(0)
	v_add_nc_u32_e32 v2, v2, v85
	v_lshlrev_b64 v[40:41], 3, v[2:3]
	s_delay_alu instid0(VALU_DEP_1) | instskip(NEXT) | instid1(VALU_DEP_1)
	v_add_co_u32 v40, s23, s46, v40
	v_add_co_ci_u32_e64 v41, s23, s47, v41, s23
	global_store_b64 v[40:41], v[36:37], off
	s_or_b32 exec_lo, exec_lo, s24
	v_cmp_lt_u32_e64 s23, v86, v177
	s_delay_alu instid0(VALU_DEP_1)
	s_and_saveexec_b32 s25, s23
	s_cbranch_execnz .LBB1155_205
.LBB1155_190:                           ;   in Loop: Header=BB1155_103 Depth=2
	s_or_b32 exec_lo, exec_lo, s25
	v_cmp_lt_u32_e64 s24, v87, v177
	s_delay_alu instid0(VALU_DEP_1)
	s_and_saveexec_b32 s26, s24
	s_cbranch_execz .LBB1155_206
.LBB1155_191:                           ;   in Loop: Header=BB1155_103 Depth=2
	ds_load_b64 v[36:37], v110 offset:16384
	s_waitcnt lgkmcnt(0)
	v_cmp_ne_u64_e64 s25, s[34:35], v[36:37]
	s_delay_alu instid0(VALU_DEP_1) | instskip(SKIP_2) | instid1(VALU_DEP_2)
	v_cndmask_b32_e64 v41, 0x7fffffff, v37, s25
	v_cndmask_b32_e64 v40, -1, v36, s25
	v_cmp_gt_i64_e64 s25, 0, v[36:37]
	v_lshrrev_b64 v[40:41], s41, v[40:41]
	s_delay_alu instid0(VALU_DEP_2) | instskip(NEXT) | instid1(VALU_DEP_2)
	v_cndmask_b32_e64 v42, 0x7fffffff, 0, s25
	v_and_b32_e32 v2, s43, v40
	v_ashrrev_i32_e32 v40, 31, v37
	s_delay_alu instid0(VALU_DEP_3) | instskip(NEXT) | instid1(VALU_DEP_3)
	v_xor_b32_e32 v37, v42, v37
	v_lshlrev_b32_e32 v2, 2, v2
	s_delay_alu instid0(VALU_DEP_3) | instskip(SKIP_4) | instid1(VALU_DEP_1)
	v_not_b32_e32 v43, v40
	ds_load_b32 v2, v2
	v_xor_b32_e32 v36, v43, v36
	s_waitcnt lgkmcnt(0)
	v_add_nc_u32_e32 v2, v2, v87
	v_lshlrev_b64 v[40:41], 3, v[2:3]
	s_delay_alu instid0(VALU_DEP_1) | instskip(NEXT) | instid1(VALU_DEP_1)
	v_add_co_u32 v40, s25, s46, v40
	v_add_co_ci_u32_e64 v41, s25, s47, v41, s25
	global_store_b64 v[40:41], v[36:37], off
	s_or_b32 exec_lo, exec_lo, s26
	v_cmp_lt_u32_e64 s25, v88, v177
	s_delay_alu instid0(VALU_DEP_1)
	s_and_saveexec_b32 s27, s25
	s_cbranch_execnz .LBB1155_207
.LBB1155_192:                           ;   in Loop: Header=BB1155_103 Depth=2
	s_or_b32 exec_lo, exec_lo, s27
	v_cmp_lt_u32_e64 s26, v89, v177
	s_delay_alu instid0(VALU_DEP_1)
	s_and_saveexec_b32 s28, s26
	s_cbranch_execz .LBB1155_208
.LBB1155_193:                           ;   in Loop: Header=BB1155_103 Depth=2
	ds_load_b64 v[36:37], v110 offset:20480
	s_waitcnt lgkmcnt(0)
	v_cmp_ne_u64_e64 s27, s[34:35], v[36:37]
	s_delay_alu instid0(VALU_DEP_1) | instskip(SKIP_2) | instid1(VALU_DEP_2)
	v_cndmask_b32_e64 v41, 0x7fffffff, v37, s27
	v_cndmask_b32_e64 v40, -1, v36, s27
	v_cmp_gt_i64_e64 s27, 0, v[36:37]
	v_lshrrev_b64 v[40:41], s41, v[40:41]
	s_delay_alu instid0(VALU_DEP_2) | instskip(NEXT) | instid1(VALU_DEP_2)
	v_cndmask_b32_e64 v42, 0x7fffffff, 0, s27
	v_and_b32_e32 v2, s43, v40
	v_ashrrev_i32_e32 v40, 31, v37
	s_delay_alu instid0(VALU_DEP_3) | instskip(NEXT) | instid1(VALU_DEP_3)
	v_xor_b32_e32 v37, v42, v37
	v_lshlrev_b32_e32 v2, 2, v2
	s_delay_alu instid0(VALU_DEP_3) | instskip(SKIP_4) | instid1(VALU_DEP_1)
	v_not_b32_e32 v43, v40
	ds_load_b32 v2, v2
	v_xor_b32_e32 v36, v43, v36
	s_waitcnt lgkmcnt(0)
	v_add_nc_u32_e32 v2, v2, v89
	v_lshlrev_b64 v[40:41], 3, v[2:3]
	s_delay_alu instid0(VALU_DEP_1) | instskip(NEXT) | instid1(VALU_DEP_1)
	v_add_co_u32 v40, s27, s46, v40
	v_add_co_ci_u32_e64 v41, s27, s47, v41, s27
	global_store_b64 v[40:41], v[36:37], off
	s_or_b32 exec_lo, exec_lo, s28
	v_cmp_lt_u32_e64 s27, v90, v177
	s_delay_alu instid0(VALU_DEP_1)
	s_and_saveexec_b32 s29, s27
	s_cbranch_execnz .LBB1155_209
.LBB1155_194:                           ;   in Loop: Header=BB1155_103 Depth=2
	s_or_b32 exec_lo, exec_lo, s29
	v_cmp_lt_u32_e64 s28, v91, v177
	s_delay_alu instid0(VALU_DEP_1)
	s_and_saveexec_b32 s30, s28
	s_cbranch_execz .LBB1155_210
.LBB1155_195:                           ;   in Loop: Header=BB1155_103 Depth=2
	ds_load_b64 v[36:37], v110 offset:24576
	s_waitcnt lgkmcnt(0)
	v_cmp_ne_u64_e64 s29, s[34:35], v[36:37]
	s_delay_alu instid0(VALU_DEP_1) | instskip(SKIP_2) | instid1(VALU_DEP_2)
	v_cndmask_b32_e64 v41, 0x7fffffff, v37, s29
	v_cndmask_b32_e64 v40, -1, v36, s29
	v_cmp_gt_i64_e64 s29, 0, v[36:37]
	v_lshrrev_b64 v[40:41], s41, v[40:41]
	s_delay_alu instid0(VALU_DEP_2) | instskip(NEXT) | instid1(VALU_DEP_2)
	v_cndmask_b32_e64 v42, 0x7fffffff, 0, s29
	v_and_b32_e32 v2, s43, v40
	v_ashrrev_i32_e32 v40, 31, v37
	s_delay_alu instid0(VALU_DEP_3) | instskip(NEXT) | instid1(VALU_DEP_3)
	v_xor_b32_e32 v37, v42, v37
	v_lshlrev_b32_e32 v2, 2, v2
	s_delay_alu instid0(VALU_DEP_3) | instskip(SKIP_4) | instid1(VALU_DEP_1)
	v_not_b32_e32 v43, v40
	ds_load_b32 v2, v2
	v_xor_b32_e32 v36, v43, v36
	s_waitcnt lgkmcnt(0)
	v_add_nc_u32_e32 v2, v2, v91
	v_lshlrev_b64 v[40:41], 3, v[2:3]
	s_delay_alu instid0(VALU_DEP_1) | instskip(NEXT) | instid1(VALU_DEP_1)
	v_add_co_u32 v40, s29, s46, v40
	v_add_co_ci_u32_e64 v41, s29, s47, v41, s29
	global_store_b64 v[40:41], v[36:37], off
	s_or_b32 exec_lo, exec_lo, s30
	v_cmp_lt_u32_e64 s29, v92, v177
	s_delay_alu instid0(VALU_DEP_1)
	s_and_saveexec_b32 s31, s29
	s_cbranch_execnz .LBB1155_211
.LBB1155_196:                           ;   in Loop: Header=BB1155_103 Depth=2
	s_or_b32 exec_lo, exec_lo, s31
	v_cmp_lt_u32_e64 s30, v93, v177
	s_delay_alu instid0(VALU_DEP_1)
	s_and_saveexec_b32 s33, s30
	s_cbranch_execz .LBB1155_212
.LBB1155_197:                           ;   in Loop: Header=BB1155_103 Depth=2
	ds_load_b64 v[36:37], v110 offset:28672
	s_waitcnt lgkmcnt(0)
	v_cmp_ne_u64_e64 s31, s[34:35], v[36:37]
	s_delay_alu instid0(VALU_DEP_1) | instskip(SKIP_2) | instid1(VALU_DEP_2)
	v_cndmask_b32_e64 v41, 0x7fffffff, v37, s31
	v_cndmask_b32_e64 v40, -1, v36, s31
	v_cmp_gt_i64_e64 s31, 0, v[36:37]
	v_lshrrev_b64 v[40:41], s41, v[40:41]
	s_delay_alu instid0(VALU_DEP_2) | instskip(NEXT) | instid1(VALU_DEP_2)
	v_cndmask_b32_e64 v42, 0x7fffffff, 0, s31
	v_and_b32_e32 v2, s43, v40
	v_ashrrev_i32_e32 v40, 31, v37
	s_delay_alu instid0(VALU_DEP_3) | instskip(NEXT) | instid1(VALU_DEP_3)
	v_xor_b32_e32 v37, v42, v37
	v_lshlrev_b32_e32 v2, 2, v2
	s_delay_alu instid0(VALU_DEP_3) | instskip(SKIP_4) | instid1(VALU_DEP_1)
	v_not_b32_e32 v43, v40
	ds_load_b32 v2, v2
	v_xor_b32_e32 v36, v43, v36
	s_waitcnt lgkmcnt(0)
	v_add_nc_u32_e32 v2, v2, v93
	v_lshlrev_b64 v[40:41], 3, v[2:3]
	s_delay_alu instid0(VALU_DEP_1) | instskip(NEXT) | instid1(VALU_DEP_1)
	v_add_co_u32 v40, s31, s46, v40
	v_add_co_ci_u32_e64 v41, s31, s47, v41, s31
	global_store_b64 v[40:41], v[36:37], off
	s_or_b32 exec_lo, exec_lo, s33
	v_cmp_lt_u32_e64 s31, v95, v177
	s_delay_alu instid0(VALU_DEP_1)
	s_and_saveexec_b32 s39, s31
	s_cbranch_execnz .LBB1155_213
	s_branch .LBB1155_214
.LBB1155_198:                           ;   in Loop: Header=BB1155_103 Depth=2
	s_or_b32 exec_lo, exec_lo, s18
	v_cmp_lt_u32_e64 s17, v77, v177
	s_delay_alu instid0(VALU_DEP_1)
	s_and_saveexec_b32 s19, s17
	s_cbranch_execz .LBB1155_184
.LBB1155_199:                           ;   in Loop: Header=BB1155_103 Depth=2
	ds_load_b64 v[36:37], v110 offset:2048
	s_waitcnt lgkmcnt(0)
	v_cmp_ne_u64_e64 s18, s[34:35], v[36:37]
	s_delay_alu instid0(VALU_DEP_1) | instskip(SKIP_2) | instid1(VALU_DEP_2)
	v_cndmask_b32_e64 v41, 0x7fffffff, v37, s18
	v_cndmask_b32_e64 v40, -1, v36, s18
	v_cmp_gt_i64_e64 s18, 0, v[36:37]
	v_lshrrev_b64 v[40:41], s41, v[40:41]
	s_delay_alu instid0(VALU_DEP_2) | instskip(NEXT) | instid1(VALU_DEP_2)
	v_cndmask_b32_e64 v42, 0x7fffffff, 0, s18
	v_and_b32_e32 v2, s43, v40
	v_ashrrev_i32_e32 v40, 31, v37
	s_delay_alu instid0(VALU_DEP_3) | instskip(NEXT) | instid1(VALU_DEP_3)
	v_xor_b32_e32 v37, v42, v37
	v_lshlrev_b32_e32 v2, 2, v2
	s_delay_alu instid0(VALU_DEP_3) | instskip(SKIP_4) | instid1(VALU_DEP_1)
	v_not_b32_e32 v43, v40
	ds_load_b32 v2, v2
	v_xor_b32_e32 v36, v43, v36
	s_waitcnt lgkmcnt(0)
	v_add_nc_u32_e32 v2, v2, v77
	v_lshlrev_b64 v[40:41], 3, v[2:3]
	s_delay_alu instid0(VALU_DEP_1) | instskip(NEXT) | instid1(VALU_DEP_1)
	v_add_co_u32 v40, s18, s46, v40
	v_add_co_ci_u32_e64 v41, s18, s47, v41, s18
	global_store_b64 v[40:41], v[36:37], off
	s_or_b32 exec_lo, exec_lo, s19
	v_cmp_lt_u32_e64 s18, v78, v177
	s_delay_alu instid0(VALU_DEP_1)
	s_and_saveexec_b32 s20, s18
	s_cbranch_execnz .LBB1155_185
.LBB1155_200:                           ;   in Loop: Header=BB1155_103 Depth=2
	s_or_b32 exec_lo, exec_lo, s20
	v_cmp_lt_u32_e64 s19, v79, v177
	s_delay_alu instid0(VALU_DEP_1)
	s_and_saveexec_b32 s21, s19
	s_cbranch_execz .LBB1155_186
.LBB1155_201:                           ;   in Loop: Header=BB1155_103 Depth=2
	ds_load_b64 v[36:37], v110 offset:6144
	s_waitcnt lgkmcnt(0)
	v_cmp_ne_u64_e64 s20, s[34:35], v[36:37]
	s_delay_alu instid0(VALU_DEP_1) | instskip(SKIP_2) | instid1(VALU_DEP_2)
	v_cndmask_b32_e64 v41, 0x7fffffff, v37, s20
	v_cndmask_b32_e64 v40, -1, v36, s20
	v_cmp_gt_i64_e64 s20, 0, v[36:37]
	v_lshrrev_b64 v[40:41], s41, v[40:41]
	s_delay_alu instid0(VALU_DEP_2) | instskip(NEXT) | instid1(VALU_DEP_2)
	v_cndmask_b32_e64 v42, 0x7fffffff, 0, s20
	v_and_b32_e32 v2, s43, v40
	v_ashrrev_i32_e32 v40, 31, v37
	s_delay_alu instid0(VALU_DEP_3) | instskip(NEXT) | instid1(VALU_DEP_3)
	v_xor_b32_e32 v37, v42, v37
	v_lshlrev_b32_e32 v2, 2, v2
	s_delay_alu instid0(VALU_DEP_3) | instskip(SKIP_4) | instid1(VALU_DEP_1)
	v_not_b32_e32 v43, v40
	ds_load_b32 v2, v2
	v_xor_b32_e32 v36, v43, v36
	s_waitcnt lgkmcnt(0)
	v_add_nc_u32_e32 v2, v2, v79
	v_lshlrev_b64 v[40:41], 3, v[2:3]
	s_delay_alu instid0(VALU_DEP_1) | instskip(NEXT) | instid1(VALU_DEP_1)
	v_add_co_u32 v40, s20, s46, v40
	v_add_co_ci_u32_e64 v41, s20, s47, v41, s20
	global_store_b64 v[40:41], v[36:37], off
	s_or_b32 exec_lo, exec_lo, s21
	v_cmp_lt_u32_e64 s20, v83, v177
	s_delay_alu instid0(VALU_DEP_1)
	s_and_saveexec_b32 s22, s20
	s_cbranch_execnz .LBB1155_187
.LBB1155_202:                           ;   in Loop: Header=BB1155_103 Depth=2
	s_or_b32 exec_lo, exec_lo, s22
	v_cmp_lt_u32_e64 s21, v84, v177
	s_delay_alu instid0(VALU_DEP_1)
	s_and_saveexec_b32 s23, s21
	s_cbranch_execz .LBB1155_188
.LBB1155_203:                           ;   in Loop: Header=BB1155_103 Depth=2
	ds_load_b64 v[36:37], v110 offset:10240
	s_waitcnt lgkmcnt(0)
	v_cmp_ne_u64_e64 s22, s[34:35], v[36:37]
	s_delay_alu instid0(VALU_DEP_1) | instskip(SKIP_2) | instid1(VALU_DEP_2)
	v_cndmask_b32_e64 v41, 0x7fffffff, v37, s22
	v_cndmask_b32_e64 v40, -1, v36, s22
	v_cmp_gt_i64_e64 s22, 0, v[36:37]
	v_lshrrev_b64 v[40:41], s41, v[40:41]
	s_delay_alu instid0(VALU_DEP_2) | instskip(NEXT) | instid1(VALU_DEP_2)
	v_cndmask_b32_e64 v42, 0x7fffffff, 0, s22
	v_and_b32_e32 v2, s43, v40
	v_ashrrev_i32_e32 v40, 31, v37
	s_delay_alu instid0(VALU_DEP_3) | instskip(NEXT) | instid1(VALU_DEP_3)
	v_xor_b32_e32 v37, v42, v37
	v_lshlrev_b32_e32 v2, 2, v2
	s_delay_alu instid0(VALU_DEP_3) | instskip(SKIP_4) | instid1(VALU_DEP_1)
	v_not_b32_e32 v43, v40
	ds_load_b32 v2, v2
	v_xor_b32_e32 v36, v43, v36
	s_waitcnt lgkmcnt(0)
	v_add_nc_u32_e32 v2, v2, v84
	v_lshlrev_b64 v[40:41], 3, v[2:3]
	s_delay_alu instid0(VALU_DEP_1) | instskip(NEXT) | instid1(VALU_DEP_1)
	v_add_co_u32 v40, s22, s46, v40
	v_add_co_ci_u32_e64 v41, s22, s47, v41, s22
	global_store_b64 v[40:41], v[36:37], off
	s_or_b32 exec_lo, exec_lo, s23
	v_cmp_lt_u32_e64 s22, v85, v177
	s_delay_alu instid0(VALU_DEP_1)
	s_and_saveexec_b32 s24, s22
	s_cbranch_execnz .LBB1155_189
.LBB1155_204:                           ;   in Loop: Header=BB1155_103 Depth=2
	s_or_b32 exec_lo, exec_lo, s24
	v_cmp_lt_u32_e64 s23, v86, v177
	s_delay_alu instid0(VALU_DEP_1)
	s_and_saveexec_b32 s25, s23
	s_cbranch_execz .LBB1155_190
.LBB1155_205:                           ;   in Loop: Header=BB1155_103 Depth=2
	ds_load_b64 v[36:37], v110 offset:14336
	s_waitcnt lgkmcnt(0)
	v_cmp_ne_u64_e64 s24, s[34:35], v[36:37]
	s_delay_alu instid0(VALU_DEP_1) | instskip(SKIP_2) | instid1(VALU_DEP_2)
	v_cndmask_b32_e64 v41, 0x7fffffff, v37, s24
	v_cndmask_b32_e64 v40, -1, v36, s24
	v_cmp_gt_i64_e64 s24, 0, v[36:37]
	v_lshrrev_b64 v[40:41], s41, v[40:41]
	s_delay_alu instid0(VALU_DEP_2) | instskip(NEXT) | instid1(VALU_DEP_2)
	v_cndmask_b32_e64 v42, 0x7fffffff, 0, s24
	v_and_b32_e32 v2, s43, v40
	v_ashrrev_i32_e32 v40, 31, v37
	s_delay_alu instid0(VALU_DEP_3) | instskip(NEXT) | instid1(VALU_DEP_3)
	v_xor_b32_e32 v37, v42, v37
	v_lshlrev_b32_e32 v2, 2, v2
	s_delay_alu instid0(VALU_DEP_3) | instskip(SKIP_4) | instid1(VALU_DEP_1)
	v_not_b32_e32 v43, v40
	ds_load_b32 v2, v2
	v_xor_b32_e32 v36, v43, v36
	s_waitcnt lgkmcnt(0)
	v_add_nc_u32_e32 v2, v2, v86
	v_lshlrev_b64 v[40:41], 3, v[2:3]
	s_delay_alu instid0(VALU_DEP_1) | instskip(NEXT) | instid1(VALU_DEP_1)
	v_add_co_u32 v40, s24, s46, v40
	v_add_co_ci_u32_e64 v41, s24, s47, v41, s24
	global_store_b64 v[40:41], v[36:37], off
	s_or_b32 exec_lo, exec_lo, s25
	v_cmp_lt_u32_e64 s24, v87, v177
	s_delay_alu instid0(VALU_DEP_1)
	s_and_saveexec_b32 s26, s24
	s_cbranch_execnz .LBB1155_191
.LBB1155_206:                           ;   in Loop: Header=BB1155_103 Depth=2
	s_or_b32 exec_lo, exec_lo, s26
	v_cmp_lt_u32_e64 s25, v88, v177
	s_delay_alu instid0(VALU_DEP_1)
	s_and_saveexec_b32 s27, s25
	s_cbranch_execz .LBB1155_192
.LBB1155_207:                           ;   in Loop: Header=BB1155_103 Depth=2
	ds_load_b64 v[36:37], v110 offset:18432
	s_waitcnt lgkmcnt(0)
	v_cmp_ne_u64_e64 s26, s[34:35], v[36:37]
	s_delay_alu instid0(VALU_DEP_1) | instskip(SKIP_2) | instid1(VALU_DEP_2)
	v_cndmask_b32_e64 v41, 0x7fffffff, v37, s26
	v_cndmask_b32_e64 v40, -1, v36, s26
	v_cmp_gt_i64_e64 s26, 0, v[36:37]
	v_lshrrev_b64 v[40:41], s41, v[40:41]
	s_delay_alu instid0(VALU_DEP_2) | instskip(NEXT) | instid1(VALU_DEP_2)
	v_cndmask_b32_e64 v42, 0x7fffffff, 0, s26
	v_and_b32_e32 v2, s43, v40
	v_ashrrev_i32_e32 v40, 31, v37
	s_delay_alu instid0(VALU_DEP_3) | instskip(NEXT) | instid1(VALU_DEP_3)
	v_xor_b32_e32 v37, v42, v37
	v_lshlrev_b32_e32 v2, 2, v2
	s_delay_alu instid0(VALU_DEP_3) | instskip(SKIP_4) | instid1(VALU_DEP_1)
	v_not_b32_e32 v43, v40
	ds_load_b32 v2, v2
	v_xor_b32_e32 v36, v43, v36
	s_waitcnt lgkmcnt(0)
	v_add_nc_u32_e32 v2, v2, v88
	v_lshlrev_b64 v[40:41], 3, v[2:3]
	s_delay_alu instid0(VALU_DEP_1) | instskip(NEXT) | instid1(VALU_DEP_1)
	v_add_co_u32 v40, s26, s46, v40
	v_add_co_ci_u32_e64 v41, s26, s47, v41, s26
	global_store_b64 v[40:41], v[36:37], off
	s_or_b32 exec_lo, exec_lo, s27
	v_cmp_lt_u32_e64 s26, v89, v177
	s_delay_alu instid0(VALU_DEP_1)
	s_and_saveexec_b32 s28, s26
	s_cbranch_execnz .LBB1155_193
.LBB1155_208:                           ;   in Loop: Header=BB1155_103 Depth=2
	s_or_b32 exec_lo, exec_lo, s28
	v_cmp_lt_u32_e64 s27, v90, v177
	s_delay_alu instid0(VALU_DEP_1)
	s_and_saveexec_b32 s29, s27
	s_cbranch_execz .LBB1155_194
.LBB1155_209:                           ;   in Loop: Header=BB1155_103 Depth=2
	ds_load_b64 v[36:37], v110 offset:22528
	s_waitcnt lgkmcnt(0)
	v_cmp_ne_u64_e64 s28, s[34:35], v[36:37]
	s_delay_alu instid0(VALU_DEP_1) | instskip(SKIP_2) | instid1(VALU_DEP_2)
	v_cndmask_b32_e64 v41, 0x7fffffff, v37, s28
	v_cndmask_b32_e64 v40, -1, v36, s28
	v_cmp_gt_i64_e64 s28, 0, v[36:37]
	v_lshrrev_b64 v[40:41], s41, v[40:41]
	s_delay_alu instid0(VALU_DEP_2) | instskip(NEXT) | instid1(VALU_DEP_2)
	v_cndmask_b32_e64 v42, 0x7fffffff, 0, s28
	v_and_b32_e32 v2, s43, v40
	v_ashrrev_i32_e32 v40, 31, v37
	s_delay_alu instid0(VALU_DEP_3) | instskip(NEXT) | instid1(VALU_DEP_3)
	v_xor_b32_e32 v37, v42, v37
	v_lshlrev_b32_e32 v2, 2, v2
	s_delay_alu instid0(VALU_DEP_3) | instskip(SKIP_4) | instid1(VALU_DEP_1)
	v_not_b32_e32 v43, v40
	ds_load_b32 v2, v2
	v_xor_b32_e32 v36, v43, v36
	s_waitcnt lgkmcnt(0)
	v_add_nc_u32_e32 v2, v2, v90
	v_lshlrev_b64 v[40:41], 3, v[2:3]
	s_delay_alu instid0(VALU_DEP_1) | instskip(NEXT) | instid1(VALU_DEP_1)
	v_add_co_u32 v40, s28, s46, v40
	v_add_co_ci_u32_e64 v41, s28, s47, v41, s28
	global_store_b64 v[40:41], v[36:37], off
	s_or_b32 exec_lo, exec_lo, s29
	v_cmp_lt_u32_e64 s28, v91, v177
	s_delay_alu instid0(VALU_DEP_1)
	s_and_saveexec_b32 s30, s28
	s_cbranch_execnz .LBB1155_195
.LBB1155_210:                           ;   in Loop: Header=BB1155_103 Depth=2
	s_or_b32 exec_lo, exec_lo, s30
	v_cmp_lt_u32_e64 s29, v92, v177
	s_delay_alu instid0(VALU_DEP_1)
	s_and_saveexec_b32 s31, s29
	s_cbranch_execz .LBB1155_196
.LBB1155_211:                           ;   in Loop: Header=BB1155_103 Depth=2
	ds_load_b64 v[36:37], v110 offset:26624
	s_waitcnt lgkmcnt(0)
	v_cmp_ne_u64_e64 s30, s[34:35], v[36:37]
	s_delay_alu instid0(VALU_DEP_1) | instskip(SKIP_2) | instid1(VALU_DEP_2)
	v_cndmask_b32_e64 v41, 0x7fffffff, v37, s30
	v_cndmask_b32_e64 v40, -1, v36, s30
	v_cmp_gt_i64_e64 s30, 0, v[36:37]
	v_lshrrev_b64 v[40:41], s41, v[40:41]
	s_delay_alu instid0(VALU_DEP_2) | instskip(NEXT) | instid1(VALU_DEP_2)
	v_cndmask_b32_e64 v42, 0x7fffffff, 0, s30
	v_and_b32_e32 v2, s43, v40
	v_ashrrev_i32_e32 v40, 31, v37
	s_delay_alu instid0(VALU_DEP_3) | instskip(NEXT) | instid1(VALU_DEP_3)
	v_xor_b32_e32 v37, v42, v37
	v_lshlrev_b32_e32 v2, 2, v2
	s_delay_alu instid0(VALU_DEP_3) | instskip(SKIP_4) | instid1(VALU_DEP_1)
	v_not_b32_e32 v43, v40
	ds_load_b32 v2, v2
	v_xor_b32_e32 v36, v43, v36
	s_waitcnt lgkmcnt(0)
	v_add_nc_u32_e32 v2, v2, v92
	v_lshlrev_b64 v[40:41], 3, v[2:3]
	s_delay_alu instid0(VALU_DEP_1) | instskip(NEXT) | instid1(VALU_DEP_1)
	v_add_co_u32 v40, s30, s46, v40
	v_add_co_ci_u32_e64 v41, s30, s47, v41, s30
	global_store_b64 v[40:41], v[36:37], off
	s_or_b32 exec_lo, exec_lo, s31
	v_cmp_lt_u32_e64 s30, v93, v177
	s_delay_alu instid0(VALU_DEP_1)
	s_and_saveexec_b32 s33, s30
	s_cbranch_execnz .LBB1155_197
.LBB1155_212:                           ;   in Loop: Header=BB1155_103 Depth=2
	s_or_b32 exec_lo, exec_lo, s33
	v_cmp_lt_u32_e64 s31, v95, v177
	s_delay_alu instid0(VALU_DEP_1)
	s_and_saveexec_b32 s39, s31
	s_cbranch_execz .LBB1155_214
.LBB1155_213:                           ;   in Loop: Header=BB1155_103 Depth=2
	ds_load_b64 v[36:37], v110 offset:30720
	s_waitcnt lgkmcnt(0)
	v_cmp_ne_u64_e64 s33, s[34:35], v[36:37]
	s_delay_alu instid0(VALU_DEP_1) | instskip(SKIP_2) | instid1(VALU_DEP_2)
	v_cndmask_b32_e64 v41, 0x7fffffff, v37, s33
	v_cndmask_b32_e64 v40, -1, v36, s33
	v_cmp_gt_i64_e64 s33, 0, v[36:37]
	v_lshrrev_b64 v[40:41], s41, v[40:41]
	s_delay_alu instid0(VALU_DEP_2) | instskip(NEXT) | instid1(VALU_DEP_2)
	v_cndmask_b32_e64 v42, 0x7fffffff, 0, s33
	v_and_b32_e32 v2, s43, v40
	v_ashrrev_i32_e32 v40, 31, v37
	s_delay_alu instid0(VALU_DEP_3) | instskip(NEXT) | instid1(VALU_DEP_3)
	v_xor_b32_e32 v37, v42, v37
	v_lshlrev_b32_e32 v2, 2, v2
	s_delay_alu instid0(VALU_DEP_3) | instskip(SKIP_4) | instid1(VALU_DEP_1)
	v_not_b32_e32 v43, v40
	ds_load_b32 v2, v2
	v_xor_b32_e32 v36, v43, v36
	s_waitcnt lgkmcnt(0)
	v_add_nc_u32_e32 v2, v2, v95
	v_lshlrev_b64 v[40:41], 3, v[2:3]
	s_delay_alu instid0(VALU_DEP_1) | instskip(NEXT) | instid1(VALU_DEP_1)
	v_add_co_u32 v40, s33, s46, v40
	v_add_co_ci_u32_e64 v41, s33, s47, v41, s33
	global_store_b64 v[40:41], v[36:37], off
.LBB1155_214:                           ;   in Loop: Header=BB1155_103 Depth=2
	s_or_b32 exec_lo, exec_lo, s39
	s_mov_b32 s39, s34
	s_delay_alu instid0(SALU_CYCLE_1) | instskip(NEXT) | instid1(SALU_CYCLE_1)
	s_lshl_b64 s[38:39], s[38:39], 3
	v_add_co_u32 v36, s33, v139, s38
	s_delay_alu instid0(VALU_DEP_1) | instskip(SKIP_1) | instid1(VALU_DEP_1)
	v_add_co_ci_u32_e64 v37, s33, s39, v140, s33
	v_cmp_lt_u32_e64 s33, v138, v177
	s_and_saveexec_b32 s38, s33
	s_delay_alu instid0(SALU_CYCLE_1)
	s_xor_b32 s33, exec_lo, s38
	s_cbranch_execz .LBB1155_246
; %bb.215:                              ;   in Loop: Header=BB1155_103 Depth=2
	global_load_b64 v[34:35], v[36:37], off
	s_or_b32 exec_lo, exec_lo, s33
	s_delay_alu instid0(SALU_CYCLE_1)
	s_mov_b32 s38, exec_lo
	v_cmpx_lt_u32_e64 v141, v177
	s_cbranch_execnz .LBB1155_247
.LBB1155_216:                           ;   in Loop: Header=BB1155_103 Depth=2
	s_or_b32 exec_lo, exec_lo, s38
	s_delay_alu instid0(SALU_CYCLE_1)
	s_mov_b32 s38, exec_lo
	v_cmpx_lt_u32_e64 v142, v177
	s_cbranch_execz .LBB1155_248
.LBB1155_217:                           ;   in Loop: Header=BB1155_103 Depth=2
	global_load_b64 v[30:31], v[36:37], off offset:512
	s_or_b32 exec_lo, exec_lo, s38
	s_delay_alu instid0(SALU_CYCLE_1)
	s_mov_b32 s38, exec_lo
	v_cmpx_lt_u32_e64 v143, v177
	s_cbranch_execnz .LBB1155_249
.LBB1155_218:                           ;   in Loop: Header=BB1155_103 Depth=2
	s_or_b32 exec_lo, exec_lo, s38
	s_delay_alu instid0(SALU_CYCLE_1)
	s_mov_b32 s38, exec_lo
	v_cmpx_lt_u32_e64 v144, v177
	s_cbranch_execz .LBB1155_250
.LBB1155_219:                           ;   in Loop: Header=BB1155_103 Depth=2
	global_load_b64 v[26:27], v[36:37], off offset:1024
	s_or_b32 exec_lo, exec_lo, s38
	s_delay_alu instid0(SALU_CYCLE_1)
	s_mov_b32 s38, exec_lo
	v_cmpx_lt_u32_e64 v145, v177
	s_cbranch_execnz .LBB1155_251
.LBB1155_220:                           ;   in Loop: Header=BB1155_103 Depth=2
	s_or_b32 exec_lo, exec_lo, s38
	s_delay_alu instid0(SALU_CYCLE_1)
	s_mov_b32 s38, exec_lo
	v_cmpx_lt_u32_e64 v146, v177
	s_cbranch_execz .LBB1155_252
.LBB1155_221:                           ;   in Loop: Header=BB1155_103 Depth=2
	global_load_b64 v[22:23], v[36:37], off offset:1536
	s_or_b32 exec_lo, exec_lo, s38
	s_delay_alu instid0(SALU_CYCLE_1)
	s_mov_b32 s38, exec_lo
	v_cmpx_lt_u32_e64 v147, v177
	s_cbranch_execnz .LBB1155_253
.LBB1155_222:                           ;   in Loop: Header=BB1155_103 Depth=2
	s_or_b32 exec_lo, exec_lo, s38
	s_delay_alu instid0(SALU_CYCLE_1)
	s_mov_b32 s38, exec_lo
	v_cmpx_lt_u32_e64 v148, v177
	s_cbranch_execz .LBB1155_254
.LBB1155_223:                           ;   in Loop: Header=BB1155_103 Depth=2
	global_load_b64 v[18:19], v[36:37], off offset:2048
	s_or_b32 exec_lo, exec_lo, s38
	s_delay_alu instid0(SALU_CYCLE_1)
	s_mov_b32 s38, exec_lo
	v_cmpx_lt_u32_e64 v149, v177
	s_cbranch_execnz .LBB1155_255
.LBB1155_224:                           ;   in Loop: Header=BB1155_103 Depth=2
	s_or_b32 exec_lo, exec_lo, s38
	s_delay_alu instid0(SALU_CYCLE_1)
	s_mov_b32 s38, exec_lo
	v_cmpx_lt_u32_e64 v150, v177
	s_cbranch_execz .LBB1155_256
.LBB1155_225:                           ;   in Loop: Header=BB1155_103 Depth=2
	global_load_b64 v[14:15], v[36:37], off offset:2560
	s_or_b32 exec_lo, exec_lo, s38
	s_delay_alu instid0(SALU_CYCLE_1)
	s_mov_b32 s38, exec_lo
	v_cmpx_lt_u32_e64 v151, v177
	s_cbranch_execnz .LBB1155_257
.LBB1155_226:                           ;   in Loop: Header=BB1155_103 Depth=2
	s_or_b32 exec_lo, exec_lo, s38
	s_delay_alu instid0(SALU_CYCLE_1)
	s_mov_b32 s38, exec_lo
	v_cmpx_lt_u32_e64 v152, v177
	s_cbranch_execz .LBB1155_258
.LBB1155_227:                           ;   in Loop: Header=BB1155_103 Depth=2
	global_load_b64 v[10:11], v[36:37], off offset:3072
	s_or_b32 exec_lo, exec_lo, s38
	s_delay_alu instid0(SALU_CYCLE_1)
	s_mov_b32 s38, exec_lo
	v_cmpx_lt_u32_e64 v153, v177
	s_cbranch_execnz .LBB1155_259
.LBB1155_228:                           ;   in Loop: Header=BB1155_103 Depth=2
	s_or_b32 exec_lo, exec_lo, s38
	s_delay_alu instid0(SALU_CYCLE_1)
	s_mov_b32 s38, exec_lo
	v_cmpx_lt_u32_e64 v154, v177
	s_cbranch_execz .LBB1155_260
.LBB1155_229:                           ;   in Loop: Header=BB1155_103 Depth=2
	global_load_b64 v[6:7], v[36:37], off offset:3584
	s_or_b32 exec_lo, exec_lo, s38
	s_delay_alu instid0(SALU_CYCLE_1)
	s_mov_b32 s38, exec_lo
	v_cmpx_lt_u32_e64 v155, v177
	s_cbranch_execnz .LBB1155_261
.LBB1155_230:                           ;   in Loop: Header=BB1155_103 Depth=2
	s_or_b32 exec_lo, exec_lo, s38
	s_and_saveexec_b32 s38, vcc_lo
	s_cbranch_execz .LBB1155_262
.LBB1155_231:                           ;   in Loop: Header=BB1155_103 Depth=2
	v_add_nc_u32_e32 v2, v104, v76
	ds_load_b64 v[36:37], v2 offset:1024
	s_waitcnt lgkmcnt(0)
	v_cmp_ne_u64_e64 s33, s[34:35], v[36:37]
	s_delay_alu instid0(VALU_DEP_1) | instskip(SKIP_1) | instid1(VALU_DEP_1)
	v_cndmask_b32_e64 v37, 0x7fffffff, v37, s33
	v_cndmask_b32_e64 v36, -1, v36, s33
	v_lshrrev_b64 v[36:37], s41, v[36:37]
	s_delay_alu instid0(VALU_DEP_1)
	v_and_b32_e32 v176, s43, v36
	s_or_b32 exec_lo, exec_lo, s38
	s_and_saveexec_b32 s38, s17
	s_cbranch_execnz .LBB1155_263
.LBB1155_232:                           ;   in Loop: Header=BB1155_103 Depth=2
	s_or_b32 exec_lo, exec_lo, s38
	s_and_saveexec_b32 s38, s18
	s_cbranch_execz .LBB1155_264
.LBB1155_233:                           ;   in Loop: Header=BB1155_103 Depth=2
	ds_load_b64 v[36:37], v110 offset:4096
	s_waitcnt lgkmcnt(0)
	v_cmp_ne_u64_e64 s33, s[34:35], v[36:37]
	s_delay_alu instid0(VALU_DEP_1) | instskip(SKIP_1) | instid1(VALU_DEP_1)
	v_cndmask_b32_e64 v37, 0x7fffffff, v37, s33
	v_cndmask_b32_e64 v36, -1, v36, s33
	v_lshrrev_b64 v[36:37], s41, v[36:37]
	s_delay_alu instid0(VALU_DEP_1)
	v_and_b32_e32 v174, s43, v36
	s_or_b32 exec_lo, exec_lo, s38
	s_and_saveexec_b32 s38, s19
	s_cbranch_execnz .LBB1155_265
.LBB1155_234:                           ;   in Loop: Header=BB1155_103 Depth=2
	s_or_b32 exec_lo, exec_lo, s38
	s_and_saveexec_b32 s38, s20
	s_cbranch_execz .LBB1155_266
.LBB1155_235:                           ;   in Loop: Header=BB1155_103 Depth=2
	ds_load_b64 v[36:37], v110 offset:8192
	s_waitcnt lgkmcnt(0)
	v_cmp_ne_u64_e64 s33, s[34:35], v[36:37]
	s_delay_alu instid0(VALU_DEP_1) | instskip(SKIP_1) | instid1(VALU_DEP_1)
	v_cndmask_b32_e64 v37, 0x7fffffff, v37, s33
	v_cndmask_b32_e64 v36, -1, v36, s33
	v_lshrrev_b64 v[36:37], s41, v[36:37]
	s_delay_alu instid0(VALU_DEP_1)
	v_and_b32_e32 v172, s43, v36
	s_or_b32 exec_lo, exec_lo, s38
	s_and_saveexec_b32 s38, s21
	s_cbranch_execnz .LBB1155_267
.LBB1155_236:                           ;   in Loop: Header=BB1155_103 Depth=2
	s_or_b32 exec_lo, exec_lo, s38
	s_and_saveexec_b32 s38, s22
	s_cbranch_execz .LBB1155_268
.LBB1155_237:                           ;   in Loop: Header=BB1155_103 Depth=2
	ds_load_b64 v[36:37], v110 offset:12288
	s_waitcnt lgkmcnt(0)
	v_cmp_ne_u64_e64 s33, s[34:35], v[36:37]
	s_delay_alu instid0(VALU_DEP_1) | instskip(SKIP_1) | instid1(VALU_DEP_1)
	v_cndmask_b32_e64 v37, 0x7fffffff, v37, s33
	v_cndmask_b32_e64 v36, -1, v36, s33
	v_lshrrev_b64 v[36:37], s41, v[36:37]
	s_delay_alu instid0(VALU_DEP_1)
	v_and_b32_e32 v170, s43, v36
	s_or_b32 exec_lo, exec_lo, s38
	s_and_saveexec_b32 s38, s23
	s_cbranch_execnz .LBB1155_269
.LBB1155_238:                           ;   in Loop: Header=BB1155_103 Depth=2
	s_or_b32 exec_lo, exec_lo, s38
	s_and_saveexec_b32 s38, s24
	s_cbranch_execz .LBB1155_270
.LBB1155_239:                           ;   in Loop: Header=BB1155_103 Depth=2
	ds_load_b64 v[36:37], v110 offset:16384
	s_waitcnt lgkmcnt(0)
	v_cmp_ne_u64_e64 s33, s[34:35], v[36:37]
	s_delay_alu instid0(VALU_DEP_1) | instskip(SKIP_1) | instid1(VALU_DEP_1)
	v_cndmask_b32_e64 v37, 0x7fffffff, v37, s33
	v_cndmask_b32_e64 v36, -1, v36, s33
	v_lshrrev_b64 v[36:37], s41, v[36:37]
	s_delay_alu instid0(VALU_DEP_1)
	v_and_b32_e32 v168, s43, v36
	s_or_b32 exec_lo, exec_lo, s38
	s_and_saveexec_b32 s38, s25
	s_cbranch_execnz .LBB1155_271
.LBB1155_240:                           ;   in Loop: Header=BB1155_103 Depth=2
	s_or_b32 exec_lo, exec_lo, s38
	s_and_saveexec_b32 s38, s26
	s_cbranch_execz .LBB1155_272
.LBB1155_241:                           ;   in Loop: Header=BB1155_103 Depth=2
	ds_load_b64 v[36:37], v110 offset:20480
	s_waitcnt lgkmcnt(0)
	v_cmp_ne_u64_e64 s33, s[34:35], v[36:37]
	s_delay_alu instid0(VALU_DEP_1) | instskip(SKIP_1) | instid1(VALU_DEP_1)
	v_cndmask_b32_e64 v37, 0x7fffffff, v37, s33
	v_cndmask_b32_e64 v36, -1, v36, s33
	v_lshrrev_b64 v[36:37], s41, v[36:37]
	s_delay_alu instid0(VALU_DEP_1)
	v_and_b32_e32 v166, s43, v36
	s_or_b32 exec_lo, exec_lo, s38
	s_and_saveexec_b32 s38, s27
	s_cbranch_execnz .LBB1155_273
.LBB1155_242:                           ;   in Loop: Header=BB1155_103 Depth=2
	s_or_b32 exec_lo, exec_lo, s38
	s_and_saveexec_b32 s38, s28
	s_cbranch_execz .LBB1155_274
.LBB1155_243:                           ;   in Loop: Header=BB1155_103 Depth=2
	ds_load_b64 v[36:37], v110 offset:24576
	s_waitcnt lgkmcnt(0)
	v_cmp_ne_u64_e64 s33, s[34:35], v[36:37]
	s_delay_alu instid0(VALU_DEP_1) | instskip(SKIP_1) | instid1(VALU_DEP_1)
	v_cndmask_b32_e64 v37, 0x7fffffff, v37, s33
	v_cndmask_b32_e64 v36, -1, v36, s33
	v_lshrrev_b64 v[36:37], s41, v[36:37]
	s_delay_alu instid0(VALU_DEP_1)
	v_and_b32_e32 v164, s43, v36
	s_or_b32 exec_lo, exec_lo, s38
	s_and_saveexec_b32 s38, s29
	s_cbranch_execnz .LBB1155_275
.LBB1155_244:                           ;   in Loop: Header=BB1155_103 Depth=2
	s_or_b32 exec_lo, exec_lo, s38
	s_and_saveexec_b32 s38, s30
	s_cbranch_execz .LBB1155_276
.LBB1155_245:                           ;   in Loop: Header=BB1155_103 Depth=2
	ds_load_b64 v[36:37], v110 offset:28672
	s_waitcnt lgkmcnt(0)
	v_cmp_ne_u64_e64 s33, s[34:35], v[36:37]
	s_delay_alu instid0(VALU_DEP_1) | instskip(SKIP_1) | instid1(VALU_DEP_1)
	v_cndmask_b32_e64 v37, 0x7fffffff, v37, s33
	v_cndmask_b32_e64 v36, -1, v36, s33
	v_lshrrev_b64 v[36:37], s41, v[36:37]
	s_delay_alu instid0(VALU_DEP_1)
	v_and_b32_e32 v162, s43, v36
	s_or_b32 exec_lo, exec_lo, s38
	s_and_saveexec_b32 s38, s31
	s_cbranch_execnz .LBB1155_277
	s_branch .LBB1155_278
.LBB1155_246:                           ;   in Loop: Header=BB1155_103 Depth=2
	s_or_b32 exec_lo, exec_lo, s33
	s_delay_alu instid0(SALU_CYCLE_1)
	s_mov_b32 s38, exec_lo
	v_cmpx_lt_u32_e64 v141, v177
	s_cbranch_execz .LBB1155_216
.LBB1155_247:                           ;   in Loop: Header=BB1155_103 Depth=2
	global_load_b64 v[32:33], v[36:37], off offset:256
	s_or_b32 exec_lo, exec_lo, s38
	s_delay_alu instid0(SALU_CYCLE_1)
	s_mov_b32 s38, exec_lo
	v_cmpx_lt_u32_e64 v142, v177
	s_cbranch_execnz .LBB1155_217
.LBB1155_248:                           ;   in Loop: Header=BB1155_103 Depth=2
	s_or_b32 exec_lo, exec_lo, s38
	s_delay_alu instid0(SALU_CYCLE_1)
	s_mov_b32 s38, exec_lo
	v_cmpx_lt_u32_e64 v143, v177
	s_cbranch_execz .LBB1155_218
.LBB1155_249:                           ;   in Loop: Header=BB1155_103 Depth=2
	global_load_b64 v[28:29], v[36:37], off offset:768
	s_or_b32 exec_lo, exec_lo, s38
	s_delay_alu instid0(SALU_CYCLE_1)
	s_mov_b32 s38, exec_lo
	v_cmpx_lt_u32_e64 v144, v177
	s_cbranch_execnz .LBB1155_219
.LBB1155_250:                           ;   in Loop: Header=BB1155_103 Depth=2
	s_or_b32 exec_lo, exec_lo, s38
	s_delay_alu instid0(SALU_CYCLE_1)
	s_mov_b32 s38, exec_lo
	v_cmpx_lt_u32_e64 v145, v177
	s_cbranch_execz .LBB1155_220
.LBB1155_251:                           ;   in Loop: Header=BB1155_103 Depth=2
	global_load_b64 v[24:25], v[36:37], off offset:1280
	s_or_b32 exec_lo, exec_lo, s38
	s_delay_alu instid0(SALU_CYCLE_1)
	s_mov_b32 s38, exec_lo
	v_cmpx_lt_u32_e64 v146, v177
	s_cbranch_execnz .LBB1155_221
.LBB1155_252:                           ;   in Loop: Header=BB1155_103 Depth=2
	s_or_b32 exec_lo, exec_lo, s38
	s_delay_alu instid0(SALU_CYCLE_1)
	s_mov_b32 s38, exec_lo
	v_cmpx_lt_u32_e64 v147, v177
	s_cbranch_execz .LBB1155_222
.LBB1155_253:                           ;   in Loop: Header=BB1155_103 Depth=2
	global_load_b64 v[20:21], v[36:37], off offset:1792
	s_or_b32 exec_lo, exec_lo, s38
	s_delay_alu instid0(SALU_CYCLE_1)
	s_mov_b32 s38, exec_lo
	v_cmpx_lt_u32_e64 v148, v177
	s_cbranch_execnz .LBB1155_223
.LBB1155_254:                           ;   in Loop: Header=BB1155_103 Depth=2
	s_or_b32 exec_lo, exec_lo, s38
	s_delay_alu instid0(SALU_CYCLE_1)
	s_mov_b32 s38, exec_lo
	v_cmpx_lt_u32_e64 v149, v177
	s_cbranch_execz .LBB1155_224
.LBB1155_255:                           ;   in Loop: Header=BB1155_103 Depth=2
	global_load_b64 v[16:17], v[36:37], off offset:2304
	s_or_b32 exec_lo, exec_lo, s38
	s_delay_alu instid0(SALU_CYCLE_1)
	s_mov_b32 s38, exec_lo
	v_cmpx_lt_u32_e64 v150, v177
	s_cbranch_execnz .LBB1155_225
.LBB1155_256:                           ;   in Loop: Header=BB1155_103 Depth=2
	s_or_b32 exec_lo, exec_lo, s38
	s_delay_alu instid0(SALU_CYCLE_1)
	s_mov_b32 s38, exec_lo
	v_cmpx_lt_u32_e64 v151, v177
	s_cbranch_execz .LBB1155_226
.LBB1155_257:                           ;   in Loop: Header=BB1155_103 Depth=2
	global_load_b64 v[12:13], v[36:37], off offset:2816
	s_or_b32 exec_lo, exec_lo, s38
	s_delay_alu instid0(SALU_CYCLE_1)
	s_mov_b32 s38, exec_lo
	v_cmpx_lt_u32_e64 v152, v177
	s_cbranch_execnz .LBB1155_227
.LBB1155_258:                           ;   in Loop: Header=BB1155_103 Depth=2
	s_or_b32 exec_lo, exec_lo, s38
	s_delay_alu instid0(SALU_CYCLE_1)
	s_mov_b32 s38, exec_lo
	v_cmpx_lt_u32_e64 v153, v177
	s_cbranch_execz .LBB1155_228
.LBB1155_259:                           ;   in Loop: Header=BB1155_103 Depth=2
	global_load_b64 v[8:9], v[36:37], off offset:3328
	s_or_b32 exec_lo, exec_lo, s38
	s_delay_alu instid0(SALU_CYCLE_1)
	s_mov_b32 s38, exec_lo
	v_cmpx_lt_u32_e64 v154, v177
	s_cbranch_execnz .LBB1155_229
.LBB1155_260:                           ;   in Loop: Header=BB1155_103 Depth=2
	s_or_b32 exec_lo, exec_lo, s38
	s_delay_alu instid0(SALU_CYCLE_1)
	s_mov_b32 s38, exec_lo
	v_cmpx_lt_u32_e64 v155, v177
	s_cbranch_execz .LBB1155_230
.LBB1155_261:                           ;   in Loop: Header=BB1155_103 Depth=2
	global_load_b64 v[4:5], v[36:37], off offset:3840
	s_or_b32 exec_lo, exec_lo, s38
	s_and_saveexec_b32 s38, vcc_lo
	s_cbranch_execnz .LBB1155_231
.LBB1155_262:                           ;   in Loop: Header=BB1155_103 Depth=2
	s_or_b32 exec_lo, exec_lo, s38
	s_and_saveexec_b32 s38, s17
	s_cbranch_execz .LBB1155_232
.LBB1155_263:                           ;   in Loop: Header=BB1155_103 Depth=2
	ds_load_b64 v[36:37], v110 offset:2048
	s_waitcnt lgkmcnt(0)
	v_cmp_ne_u64_e64 s33, s[34:35], v[36:37]
	s_delay_alu instid0(VALU_DEP_1) | instskip(SKIP_1) | instid1(VALU_DEP_1)
	v_cndmask_b32_e64 v37, 0x7fffffff, v37, s33
	v_cndmask_b32_e64 v36, -1, v36, s33
	v_lshrrev_b64 v[36:37], s41, v[36:37]
	s_delay_alu instid0(VALU_DEP_1)
	v_and_b32_e32 v175, s43, v36
	s_or_b32 exec_lo, exec_lo, s38
	s_and_saveexec_b32 s38, s18
	s_cbranch_execnz .LBB1155_233
.LBB1155_264:                           ;   in Loop: Header=BB1155_103 Depth=2
	s_or_b32 exec_lo, exec_lo, s38
	s_and_saveexec_b32 s38, s19
	s_cbranch_execz .LBB1155_234
.LBB1155_265:                           ;   in Loop: Header=BB1155_103 Depth=2
	ds_load_b64 v[36:37], v110 offset:6144
	s_waitcnt lgkmcnt(0)
	v_cmp_ne_u64_e64 s33, s[34:35], v[36:37]
	s_delay_alu instid0(VALU_DEP_1) | instskip(SKIP_1) | instid1(VALU_DEP_1)
	v_cndmask_b32_e64 v37, 0x7fffffff, v37, s33
	v_cndmask_b32_e64 v36, -1, v36, s33
	v_lshrrev_b64 v[36:37], s41, v[36:37]
	s_delay_alu instid0(VALU_DEP_1)
	v_and_b32_e32 v173, s43, v36
	s_or_b32 exec_lo, exec_lo, s38
	s_and_saveexec_b32 s38, s20
	s_cbranch_execnz .LBB1155_235
.LBB1155_266:                           ;   in Loop: Header=BB1155_103 Depth=2
	s_or_b32 exec_lo, exec_lo, s38
	s_and_saveexec_b32 s38, s21
	s_cbranch_execz .LBB1155_236
.LBB1155_267:                           ;   in Loop: Header=BB1155_103 Depth=2
	ds_load_b64 v[36:37], v110 offset:10240
	s_waitcnt lgkmcnt(0)
	v_cmp_ne_u64_e64 s33, s[34:35], v[36:37]
	s_delay_alu instid0(VALU_DEP_1) | instskip(SKIP_1) | instid1(VALU_DEP_1)
	v_cndmask_b32_e64 v37, 0x7fffffff, v37, s33
	v_cndmask_b32_e64 v36, -1, v36, s33
	v_lshrrev_b64 v[36:37], s41, v[36:37]
	s_delay_alu instid0(VALU_DEP_1)
	v_and_b32_e32 v171, s43, v36
	s_or_b32 exec_lo, exec_lo, s38
	s_and_saveexec_b32 s38, s22
	s_cbranch_execnz .LBB1155_237
.LBB1155_268:                           ;   in Loop: Header=BB1155_103 Depth=2
	s_or_b32 exec_lo, exec_lo, s38
	s_and_saveexec_b32 s38, s23
	s_cbranch_execz .LBB1155_238
.LBB1155_269:                           ;   in Loop: Header=BB1155_103 Depth=2
	ds_load_b64 v[36:37], v110 offset:14336
	s_waitcnt lgkmcnt(0)
	v_cmp_ne_u64_e64 s33, s[34:35], v[36:37]
	s_delay_alu instid0(VALU_DEP_1) | instskip(SKIP_1) | instid1(VALU_DEP_1)
	v_cndmask_b32_e64 v37, 0x7fffffff, v37, s33
	v_cndmask_b32_e64 v36, -1, v36, s33
	v_lshrrev_b64 v[36:37], s41, v[36:37]
	s_delay_alu instid0(VALU_DEP_1)
	v_and_b32_e32 v169, s43, v36
	s_or_b32 exec_lo, exec_lo, s38
	s_and_saveexec_b32 s38, s24
	s_cbranch_execnz .LBB1155_239
.LBB1155_270:                           ;   in Loop: Header=BB1155_103 Depth=2
	s_or_b32 exec_lo, exec_lo, s38
	s_and_saveexec_b32 s38, s25
	s_cbranch_execz .LBB1155_240
.LBB1155_271:                           ;   in Loop: Header=BB1155_103 Depth=2
	ds_load_b64 v[36:37], v110 offset:18432
	s_waitcnt lgkmcnt(0)
	v_cmp_ne_u64_e64 s33, s[34:35], v[36:37]
	s_delay_alu instid0(VALU_DEP_1) | instskip(SKIP_1) | instid1(VALU_DEP_1)
	v_cndmask_b32_e64 v37, 0x7fffffff, v37, s33
	v_cndmask_b32_e64 v36, -1, v36, s33
	v_lshrrev_b64 v[36:37], s41, v[36:37]
	s_delay_alu instid0(VALU_DEP_1)
	v_and_b32_e32 v167, s43, v36
	s_or_b32 exec_lo, exec_lo, s38
	s_and_saveexec_b32 s38, s26
	s_cbranch_execnz .LBB1155_241
.LBB1155_272:                           ;   in Loop: Header=BB1155_103 Depth=2
	s_or_b32 exec_lo, exec_lo, s38
	s_and_saveexec_b32 s38, s27
	s_cbranch_execz .LBB1155_242
.LBB1155_273:                           ;   in Loop: Header=BB1155_103 Depth=2
	ds_load_b64 v[36:37], v110 offset:22528
	s_waitcnt lgkmcnt(0)
	v_cmp_ne_u64_e64 s33, s[34:35], v[36:37]
	s_delay_alu instid0(VALU_DEP_1) | instskip(SKIP_1) | instid1(VALU_DEP_1)
	v_cndmask_b32_e64 v37, 0x7fffffff, v37, s33
	v_cndmask_b32_e64 v36, -1, v36, s33
	v_lshrrev_b64 v[36:37], s41, v[36:37]
	s_delay_alu instid0(VALU_DEP_1)
	v_and_b32_e32 v165, s43, v36
	s_or_b32 exec_lo, exec_lo, s38
	s_and_saveexec_b32 s38, s28
	s_cbranch_execnz .LBB1155_243
.LBB1155_274:                           ;   in Loop: Header=BB1155_103 Depth=2
	s_or_b32 exec_lo, exec_lo, s38
	s_and_saveexec_b32 s38, s29
	s_cbranch_execz .LBB1155_244
.LBB1155_275:                           ;   in Loop: Header=BB1155_103 Depth=2
	ds_load_b64 v[36:37], v110 offset:26624
	s_waitcnt lgkmcnt(0)
	v_cmp_ne_u64_e64 s33, s[34:35], v[36:37]
	s_delay_alu instid0(VALU_DEP_1) | instskip(SKIP_1) | instid1(VALU_DEP_1)
	v_cndmask_b32_e64 v37, 0x7fffffff, v37, s33
	v_cndmask_b32_e64 v36, -1, v36, s33
	v_lshrrev_b64 v[36:37], s41, v[36:37]
	s_delay_alu instid0(VALU_DEP_1)
	v_and_b32_e32 v163, s43, v36
	s_or_b32 exec_lo, exec_lo, s38
	s_and_saveexec_b32 s38, s30
	s_cbranch_execnz .LBB1155_245
.LBB1155_276:                           ;   in Loop: Header=BB1155_103 Depth=2
	s_or_b32 exec_lo, exec_lo, s38
	s_and_saveexec_b32 s38, s31
	s_cbranch_execz .LBB1155_278
.LBB1155_277:                           ;   in Loop: Header=BB1155_103 Depth=2
	ds_load_b64 v[36:37], v110 offset:30720
	s_waitcnt lgkmcnt(0)
	v_cmp_ne_u64_e64 s33, s[34:35], v[36:37]
	s_delay_alu instid0(VALU_DEP_1) | instskip(SKIP_1) | instid1(VALU_DEP_1)
	v_cndmask_b32_e64 v37, 0x7fffffff, v37, s33
	v_cndmask_b32_e64 v36, -1, v36, s33
	v_lshrrev_b64 v[36:37], s41, v[36:37]
	s_delay_alu instid0(VALU_DEP_1)
	v_and_b32_e32 v161, s43, v36
.LBB1155_278:                           ;   in Loop: Header=BB1155_103 Depth=2
	s_or_b32 exec_lo, exec_lo, s38
	v_add_nc_u32_e32 v2, 0x400, v69
	v_add_nc_u32_e32 v36, 0x400, v70
	;; [unrolled: 1-line block ×16, first 2 shown]
	s_waitcnt vmcnt(0)
	s_waitcnt_vscnt null, 0x0
	s_barrier
	buffer_gl0_inv
	ds_store_b64 v2, v[34:35]
	ds_store_b64 v36, v[32:33]
	;; [unrolled: 1-line block ×16, first 2 shown]
	s_waitcnt lgkmcnt(0)
	s_barrier
	buffer_gl0_inv
	s_and_saveexec_b32 s33, vcc_lo
	s_cbranch_execz .LBB1155_294
; %bb.279:                              ;   in Loop: Header=BB1155_103 Depth=2
	v_lshlrev_b32_e32 v2, 2, v176
	v_add_nc_u32_e32 v36, v104, v76
	ds_load_b32 v2, v2
	ds_load_b64 v[36:37], v36 offset:1024
	s_waitcnt lgkmcnt(1)
	v_add_nc_u32_e32 v2, v2, v1
	s_delay_alu instid0(VALU_DEP_1) | instskip(NEXT) | instid1(VALU_DEP_1)
	v_lshlrev_b64 v[38:39], 3, v[2:3]
	v_add_co_u32 v38, vcc_lo, s52, v38
	s_delay_alu instid0(VALU_DEP_2)
	v_add_co_ci_u32_e32 v39, vcc_lo, s53, v39, vcc_lo
	s_waitcnt lgkmcnt(0)
	global_store_b64 v[38:39], v[36:37], off
	s_or_b32 exec_lo, exec_lo, s33
	s_and_saveexec_b32 s33, s17
	s_cbranch_execnz .LBB1155_295
.LBB1155_280:                           ;   in Loop: Header=BB1155_103 Depth=2
	s_or_b32 exec_lo, exec_lo, s33
	s_and_saveexec_b32 s17, s18
	s_cbranch_execz .LBB1155_296
.LBB1155_281:                           ;   in Loop: Header=BB1155_103 Depth=2
	v_lshlrev_b32_e32 v2, 2, v174
	ds_load_b32 v2, v2
	ds_load_b64 v[36:37], v110 offset:4096
	s_waitcnt lgkmcnt(1)
	v_add_nc_u32_e32 v2, v2, v78
	s_delay_alu instid0(VALU_DEP_1) | instskip(NEXT) | instid1(VALU_DEP_1)
	v_lshlrev_b64 v[38:39], 3, v[2:3]
	v_add_co_u32 v38, vcc_lo, s52, v38
	s_delay_alu instid0(VALU_DEP_2)
	v_add_co_ci_u32_e32 v39, vcc_lo, s53, v39, vcc_lo
	s_waitcnt lgkmcnt(0)
	global_store_b64 v[38:39], v[36:37], off
	s_or_b32 exec_lo, exec_lo, s17
	s_and_saveexec_b32 s17, s19
	s_cbranch_execnz .LBB1155_297
.LBB1155_282:                           ;   in Loop: Header=BB1155_103 Depth=2
	s_or_b32 exec_lo, exec_lo, s17
	s_and_saveexec_b32 s17, s20
	s_cbranch_execz .LBB1155_298
.LBB1155_283:                           ;   in Loop: Header=BB1155_103 Depth=2
	v_lshlrev_b32_e32 v2, 2, v172
	ds_load_b32 v2, v2
	ds_load_b64 v[36:37], v110 offset:8192
	s_waitcnt lgkmcnt(1)
	v_add_nc_u32_e32 v2, v2, v83
	s_delay_alu instid0(VALU_DEP_1) | instskip(NEXT) | instid1(VALU_DEP_1)
	v_lshlrev_b64 v[38:39], 3, v[2:3]
	v_add_co_u32 v38, vcc_lo, s52, v38
	s_delay_alu instid0(VALU_DEP_2)
	v_add_co_ci_u32_e32 v39, vcc_lo, s53, v39, vcc_lo
	s_waitcnt lgkmcnt(0)
	global_store_b64 v[38:39], v[36:37], off
	s_or_b32 exec_lo, exec_lo, s17
	s_and_saveexec_b32 s17, s21
	s_cbranch_execnz .LBB1155_299
.LBB1155_284:                           ;   in Loop: Header=BB1155_103 Depth=2
	s_or_b32 exec_lo, exec_lo, s17
	s_and_saveexec_b32 s17, s22
	s_cbranch_execz .LBB1155_300
.LBB1155_285:                           ;   in Loop: Header=BB1155_103 Depth=2
	v_lshlrev_b32_e32 v2, 2, v170
	ds_load_b32 v2, v2
	ds_load_b64 v[36:37], v110 offset:12288
	s_waitcnt lgkmcnt(1)
	v_add_nc_u32_e32 v2, v2, v85
	s_delay_alu instid0(VALU_DEP_1) | instskip(NEXT) | instid1(VALU_DEP_1)
	v_lshlrev_b64 v[38:39], 3, v[2:3]
	v_add_co_u32 v38, vcc_lo, s52, v38
	s_delay_alu instid0(VALU_DEP_2)
	v_add_co_ci_u32_e32 v39, vcc_lo, s53, v39, vcc_lo
	s_waitcnt lgkmcnt(0)
	global_store_b64 v[38:39], v[36:37], off
	s_or_b32 exec_lo, exec_lo, s17
	s_and_saveexec_b32 s17, s23
	s_cbranch_execnz .LBB1155_301
.LBB1155_286:                           ;   in Loop: Header=BB1155_103 Depth=2
	s_or_b32 exec_lo, exec_lo, s17
	s_and_saveexec_b32 s17, s24
	s_cbranch_execz .LBB1155_302
.LBB1155_287:                           ;   in Loop: Header=BB1155_103 Depth=2
	v_lshlrev_b32_e32 v2, 2, v168
	ds_load_b32 v2, v2
	ds_load_b64 v[36:37], v110 offset:16384
	s_waitcnt lgkmcnt(1)
	v_add_nc_u32_e32 v2, v2, v87
	s_delay_alu instid0(VALU_DEP_1) | instskip(NEXT) | instid1(VALU_DEP_1)
	v_lshlrev_b64 v[38:39], 3, v[2:3]
	v_add_co_u32 v38, vcc_lo, s52, v38
	s_delay_alu instid0(VALU_DEP_2)
	v_add_co_ci_u32_e32 v39, vcc_lo, s53, v39, vcc_lo
	s_waitcnt lgkmcnt(0)
	global_store_b64 v[38:39], v[36:37], off
	s_or_b32 exec_lo, exec_lo, s17
	s_and_saveexec_b32 s17, s25
	s_cbranch_execnz .LBB1155_303
.LBB1155_288:                           ;   in Loop: Header=BB1155_103 Depth=2
	s_or_b32 exec_lo, exec_lo, s17
	s_and_saveexec_b32 s17, s26
	s_cbranch_execz .LBB1155_304
.LBB1155_289:                           ;   in Loop: Header=BB1155_103 Depth=2
	v_lshlrev_b32_e32 v2, 2, v166
	ds_load_b32 v2, v2
	ds_load_b64 v[36:37], v110 offset:20480
	s_waitcnt lgkmcnt(1)
	v_add_nc_u32_e32 v2, v2, v89
	s_delay_alu instid0(VALU_DEP_1) | instskip(NEXT) | instid1(VALU_DEP_1)
	v_lshlrev_b64 v[38:39], 3, v[2:3]
	v_add_co_u32 v38, vcc_lo, s52, v38
	s_delay_alu instid0(VALU_DEP_2)
	v_add_co_ci_u32_e32 v39, vcc_lo, s53, v39, vcc_lo
	s_waitcnt lgkmcnt(0)
	global_store_b64 v[38:39], v[36:37], off
	s_or_b32 exec_lo, exec_lo, s17
	s_and_saveexec_b32 s17, s27
	s_cbranch_execnz .LBB1155_305
.LBB1155_290:                           ;   in Loop: Header=BB1155_103 Depth=2
	s_or_b32 exec_lo, exec_lo, s17
	s_and_saveexec_b32 s17, s28
	s_cbranch_execz .LBB1155_306
.LBB1155_291:                           ;   in Loop: Header=BB1155_103 Depth=2
	v_lshlrev_b32_e32 v2, 2, v164
	ds_load_b32 v2, v2
	ds_load_b64 v[36:37], v110 offset:24576
	s_waitcnt lgkmcnt(1)
	v_add_nc_u32_e32 v2, v2, v91
	s_delay_alu instid0(VALU_DEP_1) | instskip(NEXT) | instid1(VALU_DEP_1)
	v_lshlrev_b64 v[38:39], 3, v[2:3]
	v_add_co_u32 v38, vcc_lo, s52, v38
	s_delay_alu instid0(VALU_DEP_2)
	v_add_co_ci_u32_e32 v39, vcc_lo, s53, v39, vcc_lo
	s_waitcnt lgkmcnt(0)
	global_store_b64 v[38:39], v[36:37], off
	s_or_b32 exec_lo, exec_lo, s17
	s_and_saveexec_b32 s17, s29
	s_cbranch_execnz .LBB1155_307
.LBB1155_292:                           ;   in Loop: Header=BB1155_103 Depth=2
	s_or_b32 exec_lo, exec_lo, s17
	s_and_saveexec_b32 s17, s30
	s_cbranch_execz .LBB1155_308
.LBB1155_293:                           ;   in Loop: Header=BB1155_103 Depth=2
	v_lshlrev_b32_e32 v2, 2, v162
	ds_load_b32 v2, v2
	ds_load_b64 v[36:37], v110 offset:28672
	s_waitcnt lgkmcnt(1)
	v_add_nc_u32_e32 v2, v2, v93
	s_delay_alu instid0(VALU_DEP_1) | instskip(NEXT) | instid1(VALU_DEP_1)
	v_lshlrev_b64 v[38:39], 3, v[2:3]
	v_add_co_u32 v38, vcc_lo, s52, v38
	s_delay_alu instid0(VALU_DEP_2)
	v_add_co_ci_u32_e32 v39, vcc_lo, s53, v39, vcc_lo
	s_waitcnt lgkmcnt(0)
	global_store_b64 v[38:39], v[36:37], off
	s_or_b32 exec_lo, exec_lo, s17
	s_and_saveexec_b32 s17, s31
	s_cbranch_execnz .LBB1155_309
	s_branch .LBB1155_310
.LBB1155_294:                           ;   in Loop: Header=BB1155_103 Depth=2
	s_or_b32 exec_lo, exec_lo, s33
	s_and_saveexec_b32 s33, s17
	s_cbranch_execz .LBB1155_280
.LBB1155_295:                           ;   in Loop: Header=BB1155_103 Depth=2
	v_lshlrev_b32_e32 v2, 2, v175
	ds_load_b32 v2, v2
	ds_load_b64 v[36:37], v110 offset:2048
	s_waitcnt lgkmcnt(1)
	v_add_nc_u32_e32 v2, v2, v77
	s_delay_alu instid0(VALU_DEP_1) | instskip(NEXT) | instid1(VALU_DEP_1)
	v_lshlrev_b64 v[38:39], 3, v[2:3]
	v_add_co_u32 v38, vcc_lo, s52, v38
	s_delay_alu instid0(VALU_DEP_2)
	v_add_co_ci_u32_e32 v39, vcc_lo, s53, v39, vcc_lo
	s_waitcnt lgkmcnt(0)
	global_store_b64 v[38:39], v[36:37], off
	s_or_b32 exec_lo, exec_lo, s33
	s_and_saveexec_b32 s17, s18
	s_cbranch_execnz .LBB1155_281
.LBB1155_296:                           ;   in Loop: Header=BB1155_103 Depth=2
	s_or_b32 exec_lo, exec_lo, s17
	s_and_saveexec_b32 s17, s19
	s_cbranch_execz .LBB1155_282
.LBB1155_297:                           ;   in Loop: Header=BB1155_103 Depth=2
	v_lshlrev_b32_e32 v2, 2, v173
	ds_load_b32 v2, v2
	ds_load_b64 v[36:37], v110 offset:6144
	s_waitcnt lgkmcnt(1)
	v_add_nc_u32_e32 v2, v2, v79
	s_delay_alu instid0(VALU_DEP_1) | instskip(NEXT) | instid1(VALU_DEP_1)
	v_lshlrev_b64 v[38:39], 3, v[2:3]
	v_add_co_u32 v38, vcc_lo, s52, v38
	s_delay_alu instid0(VALU_DEP_2)
	v_add_co_ci_u32_e32 v39, vcc_lo, s53, v39, vcc_lo
	s_waitcnt lgkmcnt(0)
	global_store_b64 v[38:39], v[36:37], off
	s_or_b32 exec_lo, exec_lo, s17
	s_and_saveexec_b32 s17, s20
	s_cbranch_execnz .LBB1155_283
.LBB1155_298:                           ;   in Loop: Header=BB1155_103 Depth=2
	s_or_b32 exec_lo, exec_lo, s17
	s_and_saveexec_b32 s17, s21
	s_cbranch_execz .LBB1155_284
.LBB1155_299:                           ;   in Loop: Header=BB1155_103 Depth=2
	v_lshlrev_b32_e32 v2, 2, v171
	ds_load_b32 v2, v2
	ds_load_b64 v[36:37], v110 offset:10240
	s_waitcnt lgkmcnt(1)
	v_add_nc_u32_e32 v2, v2, v84
	s_delay_alu instid0(VALU_DEP_1) | instskip(NEXT) | instid1(VALU_DEP_1)
	v_lshlrev_b64 v[38:39], 3, v[2:3]
	v_add_co_u32 v38, vcc_lo, s52, v38
	s_delay_alu instid0(VALU_DEP_2)
	v_add_co_ci_u32_e32 v39, vcc_lo, s53, v39, vcc_lo
	s_waitcnt lgkmcnt(0)
	global_store_b64 v[38:39], v[36:37], off
	s_or_b32 exec_lo, exec_lo, s17
	s_and_saveexec_b32 s17, s22
	s_cbranch_execnz .LBB1155_285
.LBB1155_300:                           ;   in Loop: Header=BB1155_103 Depth=2
	s_or_b32 exec_lo, exec_lo, s17
	s_and_saveexec_b32 s17, s23
	s_cbranch_execz .LBB1155_286
.LBB1155_301:                           ;   in Loop: Header=BB1155_103 Depth=2
	v_lshlrev_b32_e32 v2, 2, v169
	ds_load_b32 v2, v2
	ds_load_b64 v[36:37], v110 offset:14336
	s_waitcnt lgkmcnt(1)
	v_add_nc_u32_e32 v2, v2, v86
	s_delay_alu instid0(VALU_DEP_1) | instskip(NEXT) | instid1(VALU_DEP_1)
	v_lshlrev_b64 v[38:39], 3, v[2:3]
	v_add_co_u32 v38, vcc_lo, s52, v38
	s_delay_alu instid0(VALU_DEP_2)
	v_add_co_ci_u32_e32 v39, vcc_lo, s53, v39, vcc_lo
	s_waitcnt lgkmcnt(0)
	global_store_b64 v[38:39], v[36:37], off
	s_or_b32 exec_lo, exec_lo, s17
	s_and_saveexec_b32 s17, s24
	s_cbranch_execnz .LBB1155_287
.LBB1155_302:                           ;   in Loop: Header=BB1155_103 Depth=2
	s_or_b32 exec_lo, exec_lo, s17
	s_and_saveexec_b32 s17, s25
	s_cbranch_execz .LBB1155_288
.LBB1155_303:                           ;   in Loop: Header=BB1155_103 Depth=2
	v_lshlrev_b32_e32 v2, 2, v167
	ds_load_b32 v2, v2
	ds_load_b64 v[36:37], v110 offset:18432
	s_waitcnt lgkmcnt(1)
	v_add_nc_u32_e32 v2, v2, v88
	s_delay_alu instid0(VALU_DEP_1) | instskip(NEXT) | instid1(VALU_DEP_1)
	v_lshlrev_b64 v[38:39], 3, v[2:3]
	v_add_co_u32 v38, vcc_lo, s52, v38
	s_delay_alu instid0(VALU_DEP_2)
	v_add_co_ci_u32_e32 v39, vcc_lo, s53, v39, vcc_lo
	s_waitcnt lgkmcnt(0)
	global_store_b64 v[38:39], v[36:37], off
	s_or_b32 exec_lo, exec_lo, s17
	s_and_saveexec_b32 s17, s26
	s_cbranch_execnz .LBB1155_289
.LBB1155_304:                           ;   in Loop: Header=BB1155_103 Depth=2
	s_or_b32 exec_lo, exec_lo, s17
	s_and_saveexec_b32 s17, s27
	s_cbranch_execz .LBB1155_290
.LBB1155_305:                           ;   in Loop: Header=BB1155_103 Depth=2
	v_lshlrev_b32_e32 v2, 2, v165
	ds_load_b32 v2, v2
	ds_load_b64 v[36:37], v110 offset:22528
	s_waitcnt lgkmcnt(1)
	v_add_nc_u32_e32 v2, v2, v90
	s_delay_alu instid0(VALU_DEP_1) | instskip(NEXT) | instid1(VALU_DEP_1)
	v_lshlrev_b64 v[38:39], 3, v[2:3]
	v_add_co_u32 v38, vcc_lo, s52, v38
	s_delay_alu instid0(VALU_DEP_2)
	v_add_co_ci_u32_e32 v39, vcc_lo, s53, v39, vcc_lo
	s_waitcnt lgkmcnt(0)
	global_store_b64 v[38:39], v[36:37], off
	s_or_b32 exec_lo, exec_lo, s17
	s_and_saveexec_b32 s17, s28
	s_cbranch_execnz .LBB1155_291
.LBB1155_306:                           ;   in Loop: Header=BB1155_103 Depth=2
	s_or_b32 exec_lo, exec_lo, s17
	s_and_saveexec_b32 s17, s29
	s_cbranch_execz .LBB1155_292
.LBB1155_307:                           ;   in Loop: Header=BB1155_103 Depth=2
	v_lshlrev_b32_e32 v2, 2, v163
	ds_load_b32 v2, v2
	ds_load_b64 v[36:37], v110 offset:26624
	s_waitcnt lgkmcnt(1)
	v_add_nc_u32_e32 v2, v2, v92
	s_delay_alu instid0(VALU_DEP_1) | instskip(NEXT) | instid1(VALU_DEP_1)
	v_lshlrev_b64 v[38:39], 3, v[2:3]
	v_add_co_u32 v38, vcc_lo, s52, v38
	s_delay_alu instid0(VALU_DEP_2)
	v_add_co_ci_u32_e32 v39, vcc_lo, s53, v39, vcc_lo
	s_waitcnt lgkmcnt(0)
	global_store_b64 v[38:39], v[36:37], off
	s_or_b32 exec_lo, exec_lo, s17
	s_and_saveexec_b32 s17, s30
	s_cbranch_execnz .LBB1155_293
.LBB1155_308:                           ;   in Loop: Header=BB1155_103 Depth=2
	s_or_b32 exec_lo, exec_lo, s17
	s_and_saveexec_b32 s17, s31
	s_cbranch_execz .LBB1155_310
.LBB1155_309:                           ;   in Loop: Header=BB1155_103 Depth=2
	v_lshlrev_b32_e32 v2, 2, v161
	ds_load_b32 v2, v2
	ds_load_b64 v[36:37], v110 offset:30720
	s_waitcnt lgkmcnt(1)
	v_add_nc_u32_e32 v2, v2, v95
	s_delay_alu instid0(VALU_DEP_1) | instskip(NEXT) | instid1(VALU_DEP_1)
	v_lshlrev_b64 v[38:39], 3, v[2:3]
	v_add_co_u32 v38, vcc_lo, s52, v38
	s_delay_alu instid0(VALU_DEP_2)
	v_add_co_ci_u32_e32 v39, vcc_lo, s53, v39, vcc_lo
	s_waitcnt lgkmcnt(0)
	global_store_b64 v[38:39], v[36:37], off
.LBB1155_310:                           ;   in Loop: Header=BB1155_103 Depth=2
	s_or_b32 exec_lo, exec_lo, s17
	s_waitcnt_vscnt null, 0x0
	s_barrier
	buffer_gl0_inv
	s_and_saveexec_b32 s17, s2
	s_cbranch_execz .LBB1155_102
; %bb.311:                              ;   in Loop: Header=BB1155_103 Depth=2
	ds_load_b32 v2, v76
	s_waitcnt lgkmcnt(0)
	v_add_nc_u32_e32 v2, v2, v68
	ds_store_b32 v76, v2
	s_branch .LBB1155_102
.LBB1155_312:                           ;   in Loop: Header=BB1155_17 Depth=1
	s_waitcnt lgkmcnt(0)
	s_mov_b32 s1, 0
	s_barrier
.LBB1155_313:                           ;   in Loop: Header=BB1155_17 Depth=1
	s_and_b32 vcc_lo, exec_lo, s1
	s_cbranch_vccz .LBB1155_608
; %bb.314:                              ;   in Loop: Header=BB1155_17 Depth=1
	s_mov_b32 s1, s62
	s_mov_b32 s8, s60
	s_barrier
	buffer_gl0_inv
                                        ; implicit-def: $vgpr34_vgpr35
                                        ; implicit-def: $vgpr4_vgpr5
                                        ; implicit-def: $vgpr6_vgpr7
                                        ; implicit-def: $vgpr8_vgpr9
                                        ; implicit-def: $vgpr10_vgpr11
                                        ; implicit-def: $vgpr12_vgpr13
                                        ; implicit-def: $vgpr14_vgpr15
                                        ; implicit-def: $vgpr16_vgpr17
                                        ; implicit-def: $vgpr18_vgpr19
                                        ; implicit-def: $vgpr20_vgpr21
                                        ; implicit-def: $vgpr22_vgpr23
                                        ; implicit-def: $vgpr24_vgpr25
                                        ; implicit-def: $vgpr26_vgpr27
                                        ; implicit-def: $vgpr28_vgpr29
                                        ; implicit-def: $vgpr30_vgpr31
                                        ; implicit-def: $vgpr32_vgpr33
	s_branch .LBB1155_316
.LBB1155_315:                           ;   in Loop: Header=BB1155_316 Depth=2
	s_or_b32 exec_lo, exec_lo, s8
	s_addk_i32 s1, 0xf000
	s_cmp_ge_u32 s7, s61
	s_mov_b32 s8, s7
	s_cbranch_scc1 .LBB1155_386
.LBB1155_316:                           ;   Parent Loop BB1155_17 Depth=1
                                        ; =>  This Inner Loop Header: Depth=2
	s_add_i32 s7, s8, 0x1000
	s_delay_alu instid0(SALU_CYCLE_1)
	s_cmp_gt_u32 s7, s61
	s_cbranch_scc1 .LBB1155_319
; %bb.317:                              ;   in Loop: Header=BB1155_316 Depth=2
	s_mov_b32 s9, 0
	s_movk_i32 s13, 0x1000
	s_lshl_b64 s[10:11], s[8:9], 3
	s_mov_b32 s12, -1
	v_add_co_u32 v36, vcc_lo, v111, s10
	v_add_co_ci_u32_e32 v37, vcc_lo, s11, v112, vcc_lo
	s_waitcnt vmcnt(12)
	s_delay_alu instid0(VALU_DEP_2) | instskip(NEXT) | instid1(VALU_DEP_2)
	v_add_co_u32 v42, vcc_lo, 0x1000, v36
	v_add_co_ci_u32_e32 v43, vcc_lo, 0, v37, vcc_lo
	s_waitcnt vmcnt(11)
	v_add_co_u32 v44, vcc_lo, 0x2000, v36
	v_add_co_ci_u32_e32 v45, vcc_lo, 0, v37, vcc_lo
	s_waitcnt vmcnt(1)
	v_add_co_u32 v50, vcc_lo, v36, 0x2000
	v_add_co_ci_u32_e32 v51, vcc_lo, 0, v37, vcc_lo
	v_add_co_u32 v52, vcc_lo, v36, 0x4000
	v_add_co_ci_u32_e32 v53, vcc_lo, 0, v37, vcc_lo
	;; [unrolled: 2-line block ×7, first 2 shown]
	s_waitcnt vmcnt(0)
	v_add_co_u32 v66, vcc_lo, 0x7000, v36
	v_add_co_ci_u32_e32 v67, vcc_lo, 0, v37, vcc_lo
	s_clause 0xe
	global_load_b64 v[38:39], v[36:37], off
	global_load_b64 v[40:41], v[36:37], off offset:2048
	global_load_b64 v[42:43], v[42:43], off offset:2048
	;; [unrolled: 1-line block ×3, first 2 shown]
	global_load_b64 v[46:47], v[50:51], off
	global_load_b64 v[48:49], v[52:53], off offset:-4096
	global_load_b64 v[52:53], v[52:53], off
	global_load_b64 v[56:57], v[60:61], off offset:-4096
	global_load_b64 v[60:61], v[60:61], off
	global_load_b64 v[54:55], v[54:55], off offset:2048
	global_load_b64 v[58:59], v[58:59], off offset:2048
	;; [unrolled: 1-line block ×4, first 2 shown]
	global_load_b64 v[50:51], v[50:51], off offset:-4096
	global_load_b64 v[66:67], v[66:67], off
	v_add_co_u32 v36, vcc_lo, 0x7800, v36
	v_add_co_ci_u32_e32 v37, vcc_lo, 0, v37, vcc_lo
	s_cbranch_execz .LBB1155_320
; %bb.318:                              ;   in Loop: Header=BB1155_316 Depth=2
                                        ; implicit-def: $vgpr32_vgpr33
                                        ; implicit-def: $vgpr30_vgpr31
                                        ; implicit-def: $vgpr28_vgpr29
                                        ; implicit-def: $vgpr26_vgpr27
                                        ; implicit-def: $vgpr24_vgpr25
                                        ; implicit-def: $vgpr22_vgpr23
                                        ; implicit-def: $vgpr20_vgpr21
                                        ; implicit-def: $vgpr18_vgpr19
                                        ; implicit-def: $vgpr16_vgpr17
                                        ; implicit-def: $vgpr14_vgpr15
                                        ; implicit-def: $vgpr12_vgpr13
                                        ; implicit-def: $vgpr10_vgpr11
                                        ; implicit-def: $vgpr8_vgpr9
                                        ; implicit-def: $vgpr6_vgpr7
                                        ; implicit-def: $vgpr4_vgpr5
                                        ; implicit-def: $vgpr34_vgpr35
	v_mov_b32_e32 v2, s1
	s_and_saveexec_b32 s8, s12
	s_cbranch_execnz .LBB1155_339
	s_branch .LBB1155_340
.LBB1155_319:                           ;   in Loop: Header=BB1155_316 Depth=2
	s_mov_b32 s12, 0
                                        ; implicit-def: $sgpr13
                                        ; implicit-def: $vgpr38_vgpr39
                                        ; implicit-def: $vgpr40_vgpr41
                                        ; implicit-def: $vgpr50_vgpr51
                                        ; implicit-def: $vgpr42_vgpr43
                                        ; implicit-def: $vgpr46_vgpr47
                                        ; implicit-def: $vgpr44_vgpr45
                                        ; implicit-def: $vgpr48_vgpr49
                                        ; implicit-def: $vgpr54_vgpr55
                                        ; implicit-def: $vgpr52_vgpr53
                                        ; implicit-def: $vgpr58_vgpr59
                                        ; implicit-def: $vgpr56_vgpr57
                                        ; implicit-def: $vgpr62_vgpr63
                                        ; implicit-def: $vgpr60_vgpr61
                                        ; implicit-def: $vgpr64_vgpr65
                                        ; implicit-def: $vgpr66_vgpr67
                                        ; implicit-def: $vgpr36_vgpr37
.LBB1155_320:                           ;   in Loop: Header=BB1155_316 Depth=2
	s_mov_b32 s9, s34
	s_delay_alu instid0(SALU_CYCLE_1)
	s_lshl_b64 s[10:11], s[8:9], 3
	s_mov_b32 s9, exec_lo
	s_add_u32 s10, s46, s10
	s_addc_u32 s11, s47, s11
	v_cmpx_gt_u32_e64 s1, v1
	s_cbranch_execz .LBB1155_372
; %bb.321:                              ;   in Loop: Header=BB1155_316 Depth=2
	global_load_b64 v[32:33], v124, s[10:11]
	s_or_b32 exec_lo, exec_lo, s9
	s_delay_alu instid0(SALU_CYCLE_1)
	s_mov_b32 s9, exec_lo
	v_cmpx_gt_u32_e64 s1, v77
	s_cbranch_execnz .LBB1155_373
.LBB1155_322:                           ;   in Loop: Header=BB1155_316 Depth=2
	s_or_b32 exec_lo, exec_lo, s9
	s_delay_alu instid0(SALU_CYCLE_1)
	s_mov_b32 s9, exec_lo
	v_cmpx_gt_u32_e64 s1, v78
	s_cbranch_execz .LBB1155_374
.LBB1155_323:                           ;   in Loop: Header=BB1155_316 Depth=2
	global_load_b64 v[28:29], v125, s[10:11]
	s_or_b32 exec_lo, exec_lo, s9
	s_delay_alu instid0(SALU_CYCLE_1)
	s_mov_b32 s9, exec_lo
	v_cmpx_gt_u32_e64 s1, v79
	s_cbranch_execnz .LBB1155_375
.LBB1155_324:                           ;   in Loop: Header=BB1155_316 Depth=2
	s_or_b32 exec_lo, exec_lo, s9
	s_delay_alu instid0(SALU_CYCLE_1)
	s_mov_b32 s9, exec_lo
	v_cmpx_gt_u32_e64 s1, v83
	s_cbranch_execz .LBB1155_376
.LBB1155_325:                           ;   in Loop: Header=BB1155_316 Depth=2
	global_load_b64 v[24:25], v127, s[10:11]
	s_or_b32 exec_lo, exec_lo, s9
	s_delay_alu instid0(SALU_CYCLE_1)
	s_mov_b32 s9, exec_lo
	v_cmpx_gt_u32_e64 s1, v84
	s_cbranch_execnz .LBB1155_377
.LBB1155_326:                           ;   in Loop: Header=BB1155_316 Depth=2
	s_or_b32 exec_lo, exec_lo, s9
	s_delay_alu instid0(SALU_CYCLE_1)
	s_mov_b32 s9, exec_lo
	v_cmpx_gt_u32_e64 s1, v85
	s_cbranch_execz .LBB1155_378
.LBB1155_327:                           ;   in Loop: Header=BB1155_316 Depth=2
	global_load_b64 v[20:21], v129, s[10:11]
	s_or_b32 exec_lo, exec_lo, s9
	s_delay_alu instid0(SALU_CYCLE_1)
	s_mov_b32 s9, exec_lo
	v_cmpx_gt_u32_e64 s1, v86
	s_cbranch_execnz .LBB1155_379
.LBB1155_328:                           ;   in Loop: Header=BB1155_316 Depth=2
	s_or_b32 exec_lo, exec_lo, s9
	s_delay_alu instid0(SALU_CYCLE_1)
	s_mov_b32 s9, exec_lo
	v_cmpx_gt_u32_e64 s1, v87
	s_cbranch_execz .LBB1155_380
.LBB1155_329:                           ;   in Loop: Header=BB1155_316 Depth=2
	global_load_b64 v[16:17], v131, s[10:11]
	s_or_b32 exec_lo, exec_lo, s9
	s_delay_alu instid0(SALU_CYCLE_1)
	s_mov_b32 s9, exec_lo
	v_cmpx_gt_u32_e64 s1, v88
	s_cbranch_execnz .LBB1155_381
.LBB1155_330:                           ;   in Loop: Header=BB1155_316 Depth=2
	s_or_b32 exec_lo, exec_lo, s9
	s_delay_alu instid0(SALU_CYCLE_1)
	s_mov_b32 s9, exec_lo
	v_cmpx_gt_u32_e64 s1, v89
	s_cbranch_execz .LBB1155_382
.LBB1155_331:                           ;   in Loop: Header=BB1155_316 Depth=2
	global_load_b64 v[12:13], v133, s[10:11]
	s_or_b32 exec_lo, exec_lo, s9
	s_delay_alu instid0(SALU_CYCLE_1)
	s_mov_b32 s9, exec_lo
	v_cmpx_gt_u32_e64 s1, v90
	s_cbranch_execnz .LBB1155_383
.LBB1155_332:                           ;   in Loop: Header=BB1155_316 Depth=2
	s_or_b32 exec_lo, exec_lo, s9
	s_delay_alu instid0(SALU_CYCLE_1)
	s_mov_b32 s9, exec_lo
	v_cmpx_gt_u32_e64 s1, v91
	s_cbranch_execz .LBB1155_384
.LBB1155_333:                           ;   in Loop: Header=BB1155_316 Depth=2
	global_load_b64 v[8:9], v135, s[10:11]
	s_or_b32 exec_lo, exec_lo, s9
	s_delay_alu instid0(SALU_CYCLE_1)
	s_mov_b32 s9, exec_lo
	v_cmpx_gt_u32_e64 s1, v92
	s_cbranch_execnz .LBB1155_385
.LBB1155_334:                           ;   in Loop: Header=BB1155_316 Depth=2
	s_or_b32 exec_lo, exec_lo, s9
	s_delay_alu instid0(SALU_CYCLE_1)
	s_mov_b32 s9, exec_lo
	v_cmpx_gt_u32_e64 s1, v93
	s_cbranch_execz .LBB1155_336
.LBB1155_335:                           ;   in Loop: Header=BB1155_316 Depth=2
	v_lshlrev_b32_e32 v2, 3, v93
	global_load_b64 v[4:5], v2, s[10:11]
.LBB1155_336:                           ;   in Loop: Header=BB1155_316 Depth=2
	s_or_b32 exec_lo, exec_lo, s9
	s_delay_alu instid0(SALU_CYCLE_1)
	s_mov_b32 s9, exec_lo
                                        ; implicit-def: $sgpr13
                                        ; implicit-def: $vgpr36_vgpr37
	v_cmpx_gt_u32_e64 s1, v95
; %bb.337:                              ;   in Loop: Header=BB1155_316 Depth=2
	v_lshlrev_b32_e32 v2, 3, v95
	s_sub_i32 s13, s61, s8
	s_or_b32 s12, s12, exec_lo
                                        ; implicit-def: $vgpr34_vgpr35
	s_delay_alu instid0(VALU_DEP_1) | instskip(NEXT) | instid1(VALU_DEP_1)
	v_add_co_u32 v36, s10, s10, v2
	v_add_co_ci_u32_e64 v37, null, s11, 0, s10
; %bb.338:                              ;   in Loop: Header=BB1155_316 Depth=2
	s_or_b32 exec_lo, exec_lo, s9
	s_waitcnt vmcnt(0)
	v_dual_mov_b32 v39, v33 :: v_dual_mov_b32 v38, v32
	v_dual_mov_b32 v41, v31 :: v_dual_mov_b32 v40, v30
	;; [unrolled: 1-line block ×15, first 2 shown]
	v_mov_b32_e32 v2, s1
	s_and_saveexec_b32 s8, s12
	s_cbranch_execz .LBB1155_340
.LBB1155_339:                           ;   in Loop: Header=BB1155_316 Depth=2
	global_load_b64 v[34:35], v[36:37], off
	s_waitcnt vmcnt(1)
	v_mov_b32_e32 v4, v66
	v_mov_b32_e32 v6, v64
	v_mov_b32_e32 v8, v60
	v_mov_b32_e32 v10, v62
	v_mov_b32_e32 v12, v56
	v_mov_b32_e32 v14, v58
	v_mov_b32_e32 v16, v52
	v_mov_b32_e32 v18, v54
	v_mov_b32_e32 v20, v48
	v_mov_b32_e32 v22, v44
	v_mov_b32_e32 v24, v46
	v_mov_b32_e32 v26, v42
	v_mov_b32_e32 v28, v50
	v_mov_b32_e32 v30, v40
	v_dual_mov_b32 v32, v38 :: v_dual_mov_b32 v33, v39
	v_dual_mov_b32 v2, s13 :: v_dual_mov_b32 v5, v67
	v_mov_b32_e32 v7, v65
	v_mov_b32_e32 v9, v61
	;; [unrolled: 1-line block ×13, first 2 shown]
.LBB1155_340:                           ;   in Loop: Header=BB1155_316 Depth=2
	s_or_b32 exec_lo, exec_lo, s8
	s_delay_alu instid0(SALU_CYCLE_1)
	s_mov_b32 s8, exec_lo
	v_cmpx_lt_u32_e64 v1, v2
	s_cbranch_execz .LBB1155_356
; %bb.341:                              ;   in Loop: Header=BB1155_316 Depth=2
	v_cmp_gt_i64_e32 vcc_lo, 0, v[32:33]
	v_ashrrev_i32_e32 v36, 31, v33
	s_delay_alu instid0(VALU_DEP_1) | instskip(SKIP_1) | instid1(VALU_DEP_2)
	v_not_b32_e32 v36, v36
	v_cndmask_b32_e64 v37, 0x7fffffff, 0, vcc_lo
	v_xor_b32_e32 v36, v36, v32
	s_delay_alu instid0(VALU_DEP_2) | instskip(NEXT) | instid1(VALU_DEP_1)
	v_xor_b32_e32 v37, v37, v33
	v_cmp_ne_u64_e32 vcc_lo, s[34:35], v[36:37]
	v_cndmask_b32_e32 v37, 0x7fffffff, v37, vcc_lo
	v_cndmask_b32_e32 v36, -1, v36, vcc_lo
	s_delay_alu instid0(VALU_DEP_1) | instskip(SKIP_1) | instid1(VALU_DEP_2)
	v_lshrrev_b64 v[36:37], s41, v[36:37]
	v_lshlrev_b32_e32 v37, 2, v80
	v_and_b32_e32 v36, s43, v36
	s_delay_alu instid0(VALU_DEP_1) | instskip(SKIP_2) | instid1(SALU_CYCLE_1)
	v_lshl_or_b32 v36, v36, 4, v37
	ds_add_u32 v36, v123
	s_or_b32 exec_lo, exec_lo, s8
	s_mov_b32 s8, exec_lo
	v_cmpx_lt_u32_e64 v77, v2
	s_cbranch_execnz .LBB1155_357
.LBB1155_342:                           ;   in Loop: Header=BB1155_316 Depth=2
	s_or_b32 exec_lo, exec_lo, s8
	s_delay_alu instid0(SALU_CYCLE_1)
	s_mov_b32 s8, exec_lo
	v_cmpx_lt_u32_e64 v78, v2
	s_cbranch_execz .LBB1155_358
.LBB1155_343:                           ;   in Loop: Header=BB1155_316 Depth=2
	v_cmp_gt_i64_e32 vcc_lo, 0, v[28:29]
	v_ashrrev_i32_e32 v36, 31, v29
	s_delay_alu instid0(VALU_DEP_1) | instskip(SKIP_1) | instid1(VALU_DEP_2)
	v_not_b32_e32 v36, v36
	v_cndmask_b32_e64 v37, 0x7fffffff, 0, vcc_lo
	v_xor_b32_e32 v36, v36, v28
	s_delay_alu instid0(VALU_DEP_2) | instskip(NEXT) | instid1(VALU_DEP_1)
	v_xor_b32_e32 v37, v37, v29
	v_cmp_ne_u64_e32 vcc_lo, s[34:35], v[36:37]
	v_cndmask_b32_e32 v37, 0x7fffffff, v37, vcc_lo
	v_cndmask_b32_e32 v36, -1, v36, vcc_lo
	s_delay_alu instid0(VALU_DEP_1) | instskip(SKIP_1) | instid1(VALU_DEP_2)
	v_lshrrev_b64 v[36:37], s41, v[36:37]
	v_lshlrev_b32_e32 v37, 2, v80
	v_and_b32_e32 v36, s43, v36
	s_delay_alu instid0(VALU_DEP_1) | instskip(SKIP_2) | instid1(SALU_CYCLE_1)
	v_lshl_or_b32 v36, v36, 4, v37
	ds_add_u32 v36, v123
	s_or_b32 exec_lo, exec_lo, s8
	s_mov_b32 s8, exec_lo
	v_cmpx_lt_u32_e64 v79, v2
	s_cbranch_execnz .LBB1155_359
.LBB1155_344:                           ;   in Loop: Header=BB1155_316 Depth=2
	s_or_b32 exec_lo, exec_lo, s8
	s_delay_alu instid0(SALU_CYCLE_1)
	s_mov_b32 s8, exec_lo
	v_cmpx_lt_u32_e64 v83, v2
	s_cbranch_execz .LBB1155_360
.LBB1155_345:                           ;   in Loop: Header=BB1155_316 Depth=2
	v_cmp_gt_i64_e32 vcc_lo, 0, v[24:25]
	v_ashrrev_i32_e32 v36, 31, v25
	s_delay_alu instid0(VALU_DEP_1) | instskip(SKIP_1) | instid1(VALU_DEP_2)
	v_not_b32_e32 v36, v36
	v_cndmask_b32_e64 v37, 0x7fffffff, 0, vcc_lo
	v_xor_b32_e32 v36, v36, v24
	s_delay_alu instid0(VALU_DEP_2) | instskip(NEXT) | instid1(VALU_DEP_1)
	v_xor_b32_e32 v37, v37, v25
	v_cmp_ne_u64_e32 vcc_lo, s[34:35], v[36:37]
	v_cndmask_b32_e32 v37, 0x7fffffff, v37, vcc_lo
	v_cndmask_b32_e32 v36, -1, v36, vcc_lo
	s_delay_alu instid0(VALU_DEP_1) | instskip(SKIP_1) | instid1(VALU_DEP_2)
	v_lshrrev_b64 v[36:37], s41, v[36:37]
	v_lshlrev_b32_e32 v37, 2, v80
	v_and_b32_e32 v36, s43, v36
	s_delay_alu instid0(VALU_DEP_1) | instskip(SKIP_2) | instid1(SALU_CYCLE_1)
	v_lshl_or_b32 v36, v36, 4, v37
	ds_add_u32 v36, v123
	s_or_b32 exec_lo, exec_lo, s8
	s_mov_b32 s8, exec_lo
	v_cmpx_lt_u32_e64 v84, v2
	s_cbranch_execnz .LBB1155_361
.LBB1155_346:                           ;   in Loop: Header=BB1155_316 Depth=2
	s_or_b32 exec_lo, exec_lo, s8
	s_delay_alu instid0(SALU_CYCLE_1)
	s_mov_b32 s8, exec_lo
	v_cmpx_lt_u32_e64 v85, v2
	s_cbranch_execz .LBB1155_362
.LBB1155_347:                           ;   in Loop: Header=BB1155_316 Depth=2
	v_cmp_gt_i64_e32 vcc_lo, 0, v[20:21]
	v_ashrrev_i32_e32 v36, 31, v21
	s_delay_alu instid0(VALU_DEP_1) | instskip(SKIP_1) | instid1(VALU_DEP_2)
	v_not_b32_e32 v36, v36
	v_cndmask_b32_e64 v37, 0x7fffffff, 0, vcc_lo
	v_xor_b32_e32 v36, v36, v20
	s_delay_alu instid0(VALU_DEP_2) | instskip(NEXT) | instid1(VALU_DEP_1)
	v_xor_b32_e32 v37, v37, v21
	v_cmp_ne_u64_e32 vcc_lo, s[34:35], v[36:37]
	v_cndmask_b32_e32 v37, 0x7fffffff, v37, vcc_lo
	v_cndmask_b32_e32 v36, -1, v36, vcc_lo
	s_delay_alu instid0(VALU_DEP_1) | instskip(SKIP_1) | instid1(VALU_DEP_2)
	v_lshrrev_b64 v[36:37], s41, v[36:37]
	v_lshlrev_b32_e32 v37, 2, v80
	v_and_b32_e32 v36, s43, v36
	s_delay_alu instid0(VALU_DEP_1) | instskip(SKIP_2) | instid1(SALU_CYCLE_1)
	v_lshl_or_b32 v36, v36, 4, v37
	ds_add_u32 v36, v123
	s_or_b32 exec_lo, exec_lo, s8
	s_mov_b32 s8, exec_lo
	v_cmpx_lt_u32_e64 v86, v2
	s_cbranch_execnz .LBB1155_363
.LBB1155_348:                           ;   in Loop: Header=BB1155_316 Depth=2
	s_or_b32 exec_lo, exec_lo, s8
	s_delay_alu instid0(SALU_CYCLE_1)
	s_mov_b32 s8, exec_lo
	v_cmpx_lt_u32_e64 v87, v2
	s_cbranch_execz .LBB1155_364
.LBB1155_349:                           ;   in Loop: Header=BB1155_316 Depth=2
	v_cmp_gt_i64_e32 vcc_lo, 0, v[16:17]
	v_ashrrev_i32_e32 v36, 31, v17
	s_delay_alu instid0(VALU_DEP_1) | instskip(SKIP_1) | instid1(VALU_DEP_2)
	v_not_b32_e32 v36, v36
	v_cndmask_b32_e64 v37, 0x7fffffff, 0, vcc_lo
	v_xor_b32_e32 v36, v36, v16
	s_delay_alu instid0(VALU_DEP_2) | instskip(NEXT) | instid1(VALU_DEP_1)
	v_xor_b32_e32 v37, v37, v17
	v_cmp_ne_u64_e32 vcc_lo, s[34:35], v[36:37]
	v_cndmask_b32_e32 v37, 0x7fffffff, v37, vcc_lo
	v_cndmask_b32_e32 v36, -1, v36, vcc_lo
	s_delay_alu instid0(VALU_DEP_1) | instskip(SKIP_1) | instid1(VALU_DEP_2)
	v_lshrrev_b64 v[36:37], s41, v[36:37]
	v_lshlrev_b32_e32 v37, 2, v80
	v_and_b32_e32 v36, s43, v36
	s_delay_alu instid0(VALU_DEP_1) | instskip(SKIP_2) | instid1(SALU_CYCLE_1)
	v_lshl_or_b32 v36, v36, 4, v37
	ds_add_u32 v36, v123
	s_or_b32 exec_lo, exec_lo, s8
	s_mov_b32 s8, exec_lo
	v_cmpx_lt_u32_e64 v88, v2
	s_cbranch_execnz .LBB1155_365
.LBB1155_350:                           ;   in Loop: Header=BB1155_316 Depth=2
	s_or_b32 exec_lo, exec_lo, s8
	s_delay_alu instid0(SALU_CYCLE_1)
	s_mov_b32 s8, exec_lo
	v_cmpx_lt_u32_e64 v89, v2
	s_cbranch_execz .LBB1155_366
.LBB1155_351:                           ;   in Loop: Header=BB1155_316 Depth=2
	v_cmp_gt_i64_e32 vcc_lo, 0, v[12:13]
	v_ashrrev_i32_e32 v36, 31, v13
	s_delay_alu instid0(VALU_DEP_1) | instskip(SKIP_1) | instid1(VALU_DEP_2)
	v_not_b32_e32 v36, v36
	v_cndmask_b32_e64 v37, 0x7fffffff, 0, vcc_lo
	v_xor_b32_e32 v36, v36, v12
	s_delay_alu instid0(VALU_DEP_2) | instskip(NEXT) | instid1(VALU_DEP_1)
	v_xor_b32_e32 v37, v37, v13
	v_cmp_ne_u64_e32 vcc_lo, s[34:35], v[36:37]
	v_cndmask_b32_e32 v37, 0x7fffffff, v37, vcc_lo
	v_cndmask_b32_e32 v36, -1, v36, vcc_lo
	s_delay_alu instid0(VALU_DEP_1) | instskip(SKIP_1) | instid1(VALU_DEP_2)
	v_lshrrev_b64 v[36:37], s41, v[36:37]
	v_lshlrev_b32_e32 v37, 2, v80
	v_and_b32_e32 v36, s43, v36
	s_delay_alu instid0(VALU_DEP_1) | instskip(SKIP_2) | instid1(SALU_CYCLE_1)
	v_lshl_or_b32 v36, v36, 4, v37
	ds_add_u32 v36, v123
	s_or_b32 exec_lo, exec_lo, s8
	s_mov_b32 s8, exec_lo
	v_cmpx_lt_u32_e64 v90, v2
	s_cbranch_execnz .LBB1155_367
.LBB1155_352:                           ;   in Loop: Header=BB1155_316 Depth=2
	s_or_b32 exec_lo, exec_lo, s8
	s_delay_alu instid0(SALU_CYCLE_1)
	s_mov_b32 s8, exec_lo
	v_cmpx_lt_u32_e64 v91, v2
	s_cbranch_execz .LBB1155_368
.LBB1155_353:                           ;   in Loop: Header=BB1155_316 Depth=2
	v_cmp_gt_i64_e32 vcc_lo, 0, v[8:9]
	v_ashrrev_i32_e32 v36, 31, v9
	s_delay_alu instid0(VALU_DEP_1) | instskip(SKIP_1) | instid1(VALU_DEP_2)
	v_not_b32_e32 v36, v36
	v_cndmask_b32_e64 v37, 0x7fffffff, 0, vcc_lo
	v_xor_b32_e32 v36, v36, v8
	s_delay_alu instid0(VALU_DEP_2) | instskip(NEXT) | instid1(VALU_DEP_1)
	v_xor_b32_e32 v37, v37, v9
	v_cmp_ne_u64_e32 vcc_lo, s[34:35], v[36:37]
	v_cndmask_b32_e32 v37, 0x7fffffff, v37, vcc_lo
	v_cndmask_b32_e32 v36, -1, v36, vcc_lo
	s_delay_alu instid0(VALU_DEP_1) | instskip(SKIP_1) | instid1(VALU_DEP_2)
	v_lshrrev_b64 v[36:37], s41, v[36:37]
	v_lshlrev_b32_e32 v37, 2, v80
	v_and_b32_e32 v36, s43, v36
	s_delay_alu instid0(VALU_DEP_1) | instskip(SKIP_2) | instid1(SALU_CYCLE_1)
	v_lshl_or_b32 v36, v36, 4, v37
	ds_add_u32 v36, v123
	s_or_b32 exec_lo, exec_lo, s8
	s_mov_b32 s8, exec_lo
	v_cmpx_lt_u32_e64 v92, v2
	s_cbranch_execnz .LBB1155_369
.LBB1155_354:                           ;   in Loop: Header=BB1155_316 Depth=2
	s_or_b32 exec_lo, exec_lo, s8
	s_delay_alu instid0(SALU_CYCLE_1)
	s_mov_b32 s8, exec_lo
	v_cmpx_lt_u32_e64 v93, v2
	s_cbranch_execz .LBB1155_370
.LBB1155_355:                           ;   in Loop: Header=BB1155_316 Depth=2
	v_cmp_gt_i64_e32 vcc_lo, 0, v[4:5]
	v_ashrrev_i32_e32 v36, 31, v5
	s_delay_alu instid0(VALU_DEP_1) | instskip(SKIP_1) | instid1(VALU_DEP_2)
	v_not_b32_e32 v36, v36
	v_cndmask_b32_e64 v37, 0x7fffffff, 0, vcc_lo
	v_xor_b32_e32 v36, v36, v4
	s_delay_alu instid0(VALU_DEP_2) | instskip(NEXT) | instid1(VALU_DEP_1)
	v_xor_b32_e32 v37, v37, v5
	v_cmp_ne_u64_e32 vcc_lo, s[34:35], v[36:37]
	v_cndmask_b32_e32 v37, 0x7fffffff, v37, vcc_lo
	v_cndmask_b32_e32 v36, -1, v36, vcc_lo
	s_delay_alu instid0(VALU_DEP_1) | instskip(SKIP_1) | instid1(VALU_DEP_2)
	v_lshrrev_b64 v[36:37], s41, v[36:37]
	v_lshlrev_b32_e32 v37, 2, v80
	v_and_b32_e32 v36, s43, v36
	s_delay_alu instid0(VALU_DEP_1) | instskip(SKIP_2) | instid1(SALU_CYCLE_1)
	v_lshl_or_b32 v36, v36, 4, v37
	ds_add_u32 v36, v123
	s_or_b32 exec_lo, exec_lo, s8
	s_mov_b32 s8, exec_lo
	v_cmpx_lt_u32_e64 v95, v2
	s_cbranch_execz .LBB1155_315
	s_branch .LBB1155_371
.LBB1155_356:                           ;   in Loop: Header=BB1155_316 Depth=2
	s_or_b32 exec_lo, exec_lo, s8
	s_delay_alu instid0(SALU_CYCLE_1)
	s_mov_b32 s8, exec_lo
	v_cmpx_lt_u32_e64 v77, v2
	s_cbranch_execz .LBB1155_342
.LBB1155_357:                           ;   in Loop: Header=BB1155_316 Depth=2
	v_cmp_gt_i64_e32 vcc_lo, 0, v[30:31]
	v_ashrrev_i32_e32 v36, 31, v31
	s_delay_alu instid0(VALU_DEP_1) | instskip(SKIP_1) | instid1(VALU_DEP_2)
	v_not_b32_e32 v36, v36
	v_cndmask_b32_e64 v37, 0x7fffffff, 0, vcc_lo
	v_xor_b32_e32 v36, v36, v30
	s_delay_alu instid0(VALU_DEP_2) | instskip(NEXT) | instid1(VALU_DEP_1)
	v_xor_b32_e32 v37, v37, v31
	v_cmp_ne_u64_e32 vcc_lo, s[34:35], v[36:37]
	v_cndmask_b32_e32 v37, 0x7fffffff, v37, vcc_lo
	v_cndmask_b32_e32 v36, -1, v36, vcc_lo
	s_delay_alu instid0(VALU_DEP_1) | instskip(SKIP_1) | instid1(VALU_DEP_2)
	v_lshrrev_b64 v[36:37], s41, v[36:37]
	v_lshlrev_b32_e32 v37, 2, v80
	v_and_b32_e32 v36, s43, v36
	s_delay_alu instid0(VALU_DEP_1) | instskip(SKIP_2) | instid1(SALU_CYCLE_1)
	v_lshl_or_b32 v36, v36, 4, v37
	ds_add_u32 v36, v123
	s_or_b32 exec_lo, exec_lo, s8
	s_mov_b32 s8, exec_lo
	v_cmpx_lt_u32_e64 v78, v2
	s_cbranch_execnz .LBB1155_343
.LBB1155_358:                           ;   in Loop: Header=BB1155_316 Depth=2
	s_or_b32 exec_lo, exec_lo, s8
	s_delay_alu instid0(SALU_CYCLE_1)
	s_mov_b32 s8, exec_lo
	v_cmpx_lt_u32_e64 v79, v2
	s_cbranch_execz .LBB1155_344
.LBB1155_359:                           ;   in Loop: Header=BB1155_316 Depth=2
	v_cmp_gt_i64_e32 vcc_lo, 0, v[26:27]
	v_ashrrev_i32_e32 v36, 31, v27
	s_delay_alu instid0(VALU_DEP_1) | instskip(SKIP_1) | instid1(VALU_DEP_2)
	v_not_b32_e32 v36, v36
	v_cndmask_b32_e64 v37, 0x7fffffff, 0, vcc_lo
	v_xor_b32_e32 v36, v36, v26
	s_delay_alu instid0(VALU_DEP_2) | instskip(NEXT) | instid1(VALU_DEP_1)
	v_xor_b32_e32 v37, v37, v27
	v_cmp_ne_u64_e32 vcc_lo, s[34:35], v[36:37]
	v_cndmask_b32_e32 v37, 0x7fffffff, v37, vcc_lo
	v_cndmask_b32_e32 v36, -1, v36, vcc_lo
	s_delay_alu instid0(VALU_DEP_1) | instskip(SKIP_1) | instid1(VALU_DEP_2)
	v_lshrrev_b64 v[36:37], s41, v[36:37]
	v_lshlrev_b32_e32 v37, 2, v80
	v_and_b32_e32 v36, s43, v36
	s_delay_alu instid0(VALU_DEP_1) | instskip(SKIP_2) | instid1(SALU_CYCLE_1)
	v_lshl_or_b32 v36, v36, 4, v37
	ds_add_u32 v36, v123
	s_or_b32 exec_lo, exec_lo, s8
	s_mov_b32 s8, exec_lo
	v_cmpx_lt_u32_e64 v83, v2
	s_cbranch_execnz .LBB1155_345
.LBB1155_360:                           ;   in Loop: Header=BB1155_316 Depth=2
	s_or_b32 exec_lo, exec_lo, s8
	s_delay_alu instid0(SALU_CYCLE_1)
	s_mov_b32 s8, exec_lo
	v_cmpx_lt_u32_e64 v84, v2
	s_cbranch_execz .LBB1155_346
.LBB1155_361:                           ;   in Loop: Header=BB1155_316 Depth=2
	v_cmp_gt_i64_e32 vcc_lo, 0, v[22:23]
	v_ashrrev_i32_e32 v36, 31, v23
	s_delay_alu instid0(VALU_DEP_1) | instskip(SKIP_1) | instid1(VALU_DEP_2)
	v_not_b32_e32 v36, v36
	v_cndmask_b32_e64 v37, 0x7fffffff, 0, vcc_lo
	v_xor_b32_e32 v36, v36, v22
	s_delay_alu instid0(VALU_DEP_2) | instskip(NEXT) | instid1(VALU_DEP_1)
	v_xor_b32_e32 v37, v37, v23
	v_cmp_ne_u64_e32 vcc_lo, s[34:35], v[36:37]
	v_cndmask_b32_e32 v37, 0x7fffffff, v37, vcc_lo
	v_cndmask_b32_e32 v36, -1, v36, vcc_lo
	s_delay_alu instid0(VALU_DEP_1) | instskip(SKIP_1) | instid1(VALU_DEP_2)
	v_lshrrev_b64 v[36:37], s41, v[36:37]
	v_lshlrev_b32_e32 v37, 2, v80
	v_and_b32_e32 v36, s43, v36
	s_delay_alu instid0(VALU_DEP_1) | instskip(SKIP_2) | instid1(SALU_CYCLE_1)
	v_lshl_or_b32 v36, v36, 4, v37
	ds_add_u32 v36, v123
	s_or_b32 exec_lo, exec_lo, s8
	s_mov_b32 s8, exec_lo
	v_cmpx_lt_u32_e64 v85, v2
	s_cbranch_execnz .LBB1155_347
.LBB1155_362:                           ;   in Loop: Header=BB1155_316 Depth=2
	s_or_b32 exec_lo, exec_lo, s8
	s_delay_alu instid0(SALU_CYCLE_1)
	s_mov_b32 s8, exec_lo
	v_cmpx_lt_u32_e64 v86, v2
	s_cbranch_execz .LBB1155_348
.LBB1155_363:                           ;   in Loop: Header=BB1155_316 Depth=2
	v_cmp_gt_i64_e32 vcc_lo, 0, v[18:19]
	v_ashrrev_i32_e32 v36, 31, v19
	s_delay_alu instid0(VALU_DEP_1) | instskip(SKIP_1) | instid1(VALU_DEP_2)
	v_not_b32_e32 v36, v36
	v_cndmask_b32_e64 v37, 0x7fffffff, 0, vcc_lo
	v_xor_b32_e32 v36, v36, v18
	s_delay_alu instid0(VALU_DEP_2) | instskip(NEXT) | instid1(VALU_DEP_1)
	v_xor_b32_e32 v37, v37, v19
	v_cmp_ne_u64_e32 vcc_lo, s[34:35], v[36:37]
	v_cndmask_b32_e32 v37, 0x7fffffff, v37, vcc_lo
	v_cndmask_b32_e32 v36, -1, v36, vcc_lo
	s_delay_alu instid0(VALU_DEP_1) | instskip(SKIP_1) | instid1(VALU_DEP_2)
	v_lshrrev_b64 v[36:37], s41, v[36:37]
	v_lshlrev_b32_e32 v37, 2, v80
	v_and_b32_e32 v36, s43, v36
	s_delay_alu instid0(VALU_DEP_1) | instskip(SKIP_2) | instid1(SALU_CYCLE_1)
	v_lshl_or_b32 v36, v36, 4, v37
	ds_add_u32 v36, v123
	s_or_b32 exec_lo, exec_lo, s8
	s_mov_b32 s8, exec_lo
	v_cmpx_lt_u32_e64 v87, v2
	s_cbranch_execnz .LBB1155_349
.LBB1155_364:                           ;   in Loop: Header=BB1155_316 Depth=2
	s_or_b32 exec_lo, exec_lo, s8
	s_delay_alu instid0(SALU_CYCLE_1)
	s_mov_b32 s8, exec_lo
	v_cmpx_lt_u32_e64 v88, v2
	s_cbranch_execz .LBB1155_350
.LBB1155_365:                           ;   in Loop: Header=BB1155_316 Depth=2
	v_cmp_gt_i64_e32 vcc_lo, 0, v[14:15]
	v_ashrrev_i32_e32 v36, 31, v15
	s_delay_alu instid0(VALU_DEP_1) | instskip(SKIP_1) | instid1(VALU_DEP_2)
	v_not_b32_e32 v36, v36
	v_cndmask_b32_e64 v37, 0x7fffffff, 0, vcc_lo
	v_xor_b32_e32 v36, v36, v14
	s_delay_alu instid0(VALU_DEP_2) | instskip(NEXT) | instid1(VALU_DEP_1)
	v_xor_b32_e32 v37, v37, v15
	v_cmp_ne_u64_e32 vcc_lo, s[34:35], v[36:37]
	v_cndmask_b32_e32 v37, 0x7fffffff, v37, vcc_lo
	v_cndmask_b32_e32 v36, -1, v36, vcc_lo
	s_delay_alu instid0(VALU_DEP_1) | instskip(SKIP_1) | instid1(VALU_DEP_2)
	v_lshrrev_b64 v[36:37], s41, v[36:37]
	v_lshlrev_b32_e32 v37, 2, v80
	v_and_b32_e32 v36, s43, v36
	s_delay_alu instid0(VALU_DEP_1) | instskip(SKIP_2) | instid1(SALU_CYCLE_1)
	v_lshl_or_b32 v36, v36, 4, v37
	ds_add_u32 v36, v123
	s_or_b32 exec_lo, exec_lo, s8
	s_mov_b32 s8, exec_lo
	v_cmpx_lt_u32_e64 v89, v2
	s_cbranch_execnz .LBB1155_351
.LBB1155_366:                           ;   in Loop: Header=BB1155_316 Depth=2
	s_or_b32 exec_lo, exec_lo, s8
	s_delay_alu instid0(SALU_CYCLE_1)
	s_mov_b32 s8, exec_lo
	v_cmpx_lt_u32_e64 v90, v2
	s_cbranch_execz .LBB1155_352
.LBB1155_367:                           ;   in Loop: Header=BB1155_316 Depth=2
	v_cmp_gt_i64_e32 vcc_lo, 0, v[10:11]
	v_ashrrev_i32_e32 v36, 31, v11
	s_delay_alu instid0(VALU_DEP_1) | instskip(SKIP_1) | instid1(VALU_DEP_2)
	v_not_b32_e32 v36, v36
	v_cndmask_b32_e64 v37, 0x7fffffff, 0, vcc_lo
	v_xor_b32_e32 v36, v36, v10
	s_delay_alu instid0(VALU_DEP_2) | instskip(NEXT) | instid1(VALU_DEP_1)
	v_xor_b32_e32 v37, v37, v11
	v_cmp_ne_u64_e32 vcc_lo, s[34:35], v[36:37]
	v_cndmask_b32_e32 v37, 0x7fffffff, v37, vcc_lo
	v_cndmask_b32_e32 v36, -1, v36, vcc_lo
	s_delay_alu instid0(VALU_DEP_1) | instskip(SKIP_1) | instid1(VALU_DEP_2)
	v_lshrrev_b64 v[36:37], s41, v[36:37]
	v_lshlrev_b32_e32 v37, 2, v80
	v_and_b32_e32 v36, s43, v36
	s_delay_alu instid0(VALU_DEP_1) | instskip(SKIP_2) | instid1(SALU_CYCLE_1)
	v_lshl_or_b32 v36, v36, 4, v37
	ds_add_u32 v36, v123
	s_or_b32 exec_lo, exec_lo, s8
	s_mov_b32 s8, exec_lo
	v_cmpx_lt_u32_e64 v91, v2
	s_cbranch_execnz .LBB1155_353
.LBB1155_368:                           ;   in Loop: Header=BB1155_316 Depth=2
	s_or_b32 exec_lo, exec_lo, s8
	s_delay_alu instid0(SALU_CYCLE_1)
	s_mov_b32 s8, exec_lo
	v_cmpx_lt_u32_e64 v92, v2
	s_cbranch_execz .LBB1155_354
.LBB1155_369:                           ;   in Loop: Header=BB1155_316 Depth=2
	v_cmp_gt_i64_e32 vcc_lo, 0, v[6:7]
	v_ashrrev_i32_e32 v36, 31, v7
	s_delay_alu instid0(VALU_DEP_1) | instskip(SKIP_1) | instid1(VALU_DEP_2)
	v_not_b32_e32 v36, v36
	v_cndmask_b32_e64 v37, 0x7fffffff, 0, vcc_lo
	v_xor_b32_e32 v36, v36, v6
	s_delay_alu instid0(VALU_DEP_2) | instskip(NEXT) | instid1(VALU_DEP_1)
	v_xor_b32_e32 v37, v37, v7
	v_cmp_ne_u64_e32 vcc_lo, s[34:35], v[36:37]
	v_cndmask_b32_e32 v37, 0x7fffffff, v37, vcc_lo
	v_cndmask_b32_e32 v36, -1, v36, vcc_lo
	s_delay_alu instid0(VALU_DEP_1) | instskip(SKIP_1) | instid1(VALU_DEP_2)
	v_lshrrev_b64 v[36:37], s41, v[36:37]
	v_lshlrev_b32_e32 v37, 2, v80
	v_and_b32_e32 v36, s43, v36
	s_delay_alu instid0(VALU_DEP_1) | instskip(SKIP_2) | instid1(SALU_CYCLE_1)
	v_lshl_or_b32 v36, v36, 4, v37
	ds_add_u32 v36, v123
	s_or_b32 exec_lo, exec_lo, s8
	s_mov_b32 s8, exec_lo
	v_cmpx_lt_u32_e64 v93, v2
	s_cbranch_execnz .LBB1155_355
.LBB1155_370:                           ;   in Loop: Header=BB1155_316 Depth=2
	s_or_b32 exec_lo, exec_lo, s8
	s_delay_alu instid0(SALU_CYCLE_1)
	s_mov_b32 s8, exec_lo
	v_cmpx_lt_u32_e64 v95, v2
	s_cbranch_execz .LBB1155_315
.LBB1155_371:                           ;   in Loop: Header=BB1155_316 Depth=2
	s_waitcnt vmcnt(0)
	v_cmp_gt_i64_e32 vcc_lo, 0, v[34:35]
	v_ashrrev_i32_e32 v2, 31, v35
	s_delay_alu instid0(VALU_DEP_1) | instskip(SKIP_1) | instid1(VALU_DEP_1)
	v_not_b32_e32 v2, v2
	v_cndmask_b32_e64 v36, 0x7fffffff, 0, vcc_lo
	v_xor_b32_e32 v37, v36, v35
	s_delay_alu instid0(VALU_DEP_3) | instskip(NEXT) | instid1(VALU_DEP_1)
	v_xor_b32_e32 v36, v2, v34
	v_cmp_ne_u64_e32 vcc_lo, s[34:35], v[36:37]
	v_cndmask_b32_e32 v37, 0x7fffffff, v37, vcc_lo
	v_cndmask_b32_e32 v36, -1, v36, vcc_lo
	s_delay_alu instid0(VALU_DEP_1) | instskip(NEXT) | instid1(VALU_DEP_1)
	v_lshrrev_b64 v[36:37], s41, v[36:37]
	v_and_b32_e32 v2, s43, v36
	v_lshlrev_b32_e32 v36, 2, v80
	s_delay_alu instid0(VALU_DEP_1)
	v_lshl_or_b32 v2, v2, 4, v36
	ds_add_u32 v2, v123
	s_branch .LBB1155_315
.LBB1155_372:                           ;   in Loop: Header=BB1155_316 Depth=2
	s_or_b32 exec_lo, exec_lo, s9
	s_delay_alu instid0(SALU_CYCLE_1)
	s_mov_b32 s9, exec_lo
	v_cmpx_gt_u32_e64 s1, v77
	s_cbranch_execz .LBB1155_322
.LBB1155_373:                           ;   in Loop: Header=BB1155_316 Depth=2
	global_load_b64 v[30:31], v124, s[10:11] offset:2048
	s_or_b32 exec_lo, exec_lo, s9
	s_delay_alu instid0(SALU_CYCLE_1)
	s_mov_b32 s9, exec_lo
	v_cmpx_gt_u32_e64 s1, v78
	s_cbranch_execnz .LBB1155_323
.LBB1155_374:                           ;   in Loop: Header=BB1155_316 Depth=2
	s_or_b32 exec_lo, exec_lo, s9
	s_delay_alu instid0(SALU_CYCLE_1)
	s_mov_b32 s9, exec_lo
	v_cmpx_gt_u32_e64 s1, v79
	s_cbranch_execz .LBB1155_324
.LBB1155_375:                           ;   in Loop: Header=BB1155_316 Depth=2
	global_load_b64 v[26:27], v126, s[10:11]
	s_or_b32 exec_lo, exec_lo, s9
	s_delay_alu instid0(SALU_CYCLE_1)
	s_mov_b32 s9, exec_lo
	v_cmpx_gt_u32_e64 s1, v83
	s_cbranch_execnz .LBB1155_325
.LBB1155_376:                           ;   in Loop: Header=BB1155_316 Depth=2
	s_or_b32 exec_lo, exec_lo, s9
	s_delay_alu instid0(SALU_CYCLE_1)
	s_mov_b32 s9, exec_lo
	v_cmpx_gt_u32_e64 s1, v84
	s_cbranch_execz .LBB1155_326
.LBB1155_377:                           ;   in Loop: Header=BB1155_316 Depth=2
	global_load_b64 v[22:23], v128, s[10:11]
	s_or_b32 exec_lo, exec_lo, s9
	s_delay_alu instid0(SALU_CYCLE_1)
	s_mov_b32 s9, exec_lo
	v_cmpx_gt_u32_e64 s1, v85
	s_cbranch_execnz .LBB1155_327
.LBB1155_378:                           ;   in Loop: Header=BB1155_316 Depth=2
	s_or_b32 exec_lo, exec_lo, s9
	s_delay_alu instid0(SALU_CYCLE_1)
	s_mov_b32 s9, exec_lo
	v_cmpx_gt_u32_e64 s1, v86
	s_cbranch_execz .LBB1155_328
.LBB1155_379:                           ;   in Loop: Header=BB1155_316 Depth=2
	global_load_b64 v[18:19], v130, s[10:11]
	s_or_b32 exec_lo, exec_lo, s9
	s_delay_alu instid0(SALU_CYCLE_1)
	s_mov_b32 s9, exec_lo
	v_cmpx_gt_u32_e64 s1, v87
	s_cbranch_execnz .LBB1155_329
.LBB1155_380:                           ;   in Loop: Header=BB1155_316 Depth=2
	s_or_b32 exec_lo, exec_lo, s9
	s_delay_alu instid0(SALU_CYCLE_1)
	s_mov_b32 s9, exec_lo
	v_cmpx_gt_u32_e64 s1, v88
	s_cbranch_execz .LBB1155_330
.LBB1155_381:                           ;   in Loop: Header=BB1155_316 Depth=2
	global_load_b64 v[14:15], v132, s[10:11]
	s_or_b32 exec_lo, exec_lo, s9
	s_delay_alu instid0(SALU_CYCLE_1)
	s_mov_b32 s9, exec_lo
	v_cmpx_gt_u32_e64 s1, v89
	s_cbranch_execnz .LBB1155_331
.LBB1155_382:                           ;   in Loop: Header=BB1155_316 Depth=2
	s_or_b32 exec_lo, exec_lo, s9
	s_delay_alu instid0(SALU_CYCLE_1)
	s_mov_b32 s9, exec_lo
	v_cmpx_gt_u32_e64 s1, v90
	s_cbranch_execz .LBB1155_332
.LBB1155_383:                           ;   in Loop: Header=BB1155_316 Depth=2
	global_load_b64 v[10:11], v134, s[10:11]
	s_or_b32 exec_lo, exec_lo, s9
	s_delay_alu instid0(SALU_CYCLE_1)
	s_mov_b32 s9, exec_lo
	v_cmpx_gt_u32_e64 s1, v91
	s_cbranch_execnz .LBB1155_333
.LBB1155_384:                           ;   in Loop: Header=BB1155_316 Depth=2
	s_or_b32 exec_lo, exec_lo, s9
	s_delay_alu instid0(SALU_CYCLE_1)
	s_mov_b32 s9, exec_lo
	v_cmpx_gt_u32_e64 s1, v92
	s_cbranch_execz .LBB1155_334
.LBB1155_385:                           ;   in Loop: Header=BB1155_316 Depth=2
	v_lshlrev_b32_e32 v2, 3, v92
	global_load_b64 v[6:7], v2, s[10:11]
	s_or_b32 exec_lo, exec_lo, s9
	s_delay_alu instid0(SALU_CYCLE_1)
	s_mov_b32 s9, exec_lo
	v_cmpx_gt_u32_e64 s1, v93
	s_cbranch_execz .LBB1155_336
	s_branch .LBB1155_335
.LBB1155_386:                           ;   in Loop: Header=BB1155_17 Depth=1
	v_mov_b32_e32 v2, 0
	s_waitcnt vmcnt(0) lgkmcnt(0)
	s_barrier
	buffer_gl0_inv
	s_and_saveexec_b32 s1, s2
	s_cbranch_execz .LBB1155_388
; %bb.387:                              ;   in Loop: Header=BB1155_17 Depth=1
	ds_load_2addr_b64 v[4:7], v96 offset1:1
	s_waitcnt lgkmcnt(0)
	v_add_nc_u32_e32 v2, v5, v4
	s_delay_alu instid0(VALU_DEP_1)
	v_add3_u32 v2, v2, v6, v7
.LBB1155_388:                           ;   in Loop: Header=BB1155_17 Depth=1
	s_or_b32 exec_lo, exec_lo, s1
	v_and_b32_e32 v4, 15, v136
	s_delay_alu instid0(VALU_DEP_2) | instskip(SKIP_1) | instid1(VALU_DEP_3)
	v_mov_b32_dpp v5, v2 row_shr:1 row_mask:0xf bank_mask:0xf
	v_and_b32_e32 v6, 16, v136
	v_cmp_eq_u32_e64 s1, 0, v4
	v_cmp_lt_u32_e64 s7, 1, v4
	v_cmp_lt_u32_e64 s8, 3, v4
	;; [unrolled: 1-line block ×3, first 2 shown]
	v_cmp_eq_u32_e64 s10, 0, v6
	v_cndmask_b32_e64 v5, v5, 0, s1
	s_delay_alu instid0(VALU_DEP_1) | instskip(NEXT) | instid1(VALU_DEP_1)
	v_add_nc_u32_e32 v2, v5, v2
	v_mov_b32_dpp v5, v2 row_shr:2 row_mask:0xf bank_mask:0xf
	s_delay_alu instid0(VALU_DEP_1) | instskip(NEXT) | instid1(VALU_DEP_1)
	v_cndmask_b32_e64 v5, 0, v5, s7
	v_add_nc_u32_e32 v2, v2, v5
	s_delay_alu instid0(VALU_DEP_1) | instskip(NEXT) | instid1(VALU_DEP_1)
	v_mov_b32_dpp v5, v2 row_shr:4 row_mask:0xf bank_mask:0xf
	v_cndmask_b32_e64 v5, 0, v5, s8
	s_delay_alu instid0(VALU_DEP_1) | instskip(NEXT) | instid1(VALU_DEP_1)
	v_add_nc_u32_e32 v2, v2, v5
	v_mov_b32_dpp v5, v2 row_shr:8 row_mask:0xf bank_mask:0xf
	s_delay_alu instid0(VALU_DEP_1) | instskip(SKIP_1) | instid1(VALU_DEP_2)
	v_cndmask_b32_e64 v4, 0, v5, s9
	v_bfe_i32 v5, v136, 4, 1
	v_add_nc_u32_e32 v2, v2, v4
	ds_swizzle_b32 v4, v2 offset:swizzle(BROADCAST,32,15)
	s_waitcnt lgkmcnt(0)
	v_and_b32_e32 v4, v5, v4
	s_delay_alu instid0(VALU_DEP_1)
	v_add_nc_u32_e32 v4, v2, v4
	s_and_saveexec_b32 s11, s3
	s_cbranch_execz .LBB1155_390
; %bb.389:                              ;   in Loop: Header=BB1155_17 Depth=1
	ds_store_b32 v97, v4
.LBB1155_390:                           ;   in Loop: Header=BB1155_17 Depth=1
	s_or_b32 exec_lo, exec_lo, s11
	v_and_b32_e32 v2, 7, v136
	s_waitcnt lgkmcnt(0)
	s_barrier
	buffer_gl0_inv
	s_and_saveexec_b32 s11, s4
	s_cbranch_execz .LBB1155_392
; %bb.391:                              ;   in Loop: Header=BB1155_17 Depth=1
	ds_load_b32 v5, v98
	v_cmp_ne_u32_e32 vcc_lo, 0, v2
	s_waitcnt lgkmcnt(0)
	v_mov_b32_dpp v6, v5 row_shr:1 row_mask:0xf bank_mask:0xf
	s_delay_alu instid0(VALU_DEP_1) | instskip(SKIP_1) | instid1(VALU_DEP_2)
	v_cndmask_b32_e32 v6, 0, v6, vcc_lo
	v_cmp_lt_u32_e32 vcc_lo, 1, v2
	v_add_nc_u32_e32 v5, v6, v5
	s_delay_alu instid0(VALU_DEP_1) | instskip(NEXT) | instid1(VALU_DEP_1)
	v_mov_b32_dpp v6, v5 row_shr:2 row_mask:0xf bank_mask:0xf
	v_cndmask_b32_e32 v6, 0, v6, vcc_lo
	v_cmp_lt_u32_e32 vcc_lo, 3, v2
	s_delay_alu instid0(VALU_DEP_2) | instskip(NEXT) | instid1(VALU_DEP_1)
	v_add_nc_u32_e32 v5, v5, v6
	v_mov_b32_dpp v6, v5 row_shr:4 row_mask:0xf bank_mask:0xf
	s_delay_alu instid0(VALU_DEP_1) | instskip(NEXT) | instid1(VALU_DEP_1)
	v_cndmask_b32_e32 v6, 0, v6, vcc_lo
	v_add_nc_u32_e32 v5, v5, v6
	ds_store_b32 v98, v5
.LBB1155_392:                           ;   in Loop: Header=BB1155_17 Depth=1
	s_or_b32 exec_lo, exec_lo, s11
	v_mov_b32_e32 v5, 0
	s_waitcnt lgkmcnt(0)
	s_barrier
	buffer_gl0_inv
	s_and_saveexec_b32 s11, s5
	s_cbranch_execz .LBB1155_394
; %bb.393:                              ;   in Loop: Header=BB1155_17 Depth=1
	ds_load_b32 v5, v99
.LBB1155_394:                           ;   in Loop: Header=BB1155_17 Depth=1
	s_or_b32 exec_lo, exec_lo, s11
	v_add_nc_u32_e32 v6, -1, v136
	s_waitcnt lgkmcnt(0)
	v_add_nc_u32_e32 v4, v5, v4
	v_cmp_eq_u32_e64 s11, 0, v136
	s_barrier
	v_cmp_gt_i32_e32 vcc_lo, 0, v6
	buffer_gl0_inv
	v_cndmask_b32_e32 v6, v6, v136, vcc_lo
	s_delay_alu instid0(VALU_DEP_1)
	v_lshlrev_b32_e32 v137, 2, v6
	ds_bpermute_b32 v4, v137, v4
	s_and_saveexec_b32 s12, s2
	s_cbranch_execz .LBB1155_396
; %bb.395:                              ;   in Loop: Header=BB1155_17 Depth=1
	s_waitcnt lgkmcnt(0)
	v_cndmask_b32_e64 v4, v4, v5, s11
	s_delay_alu instid0(VALU_DEP_1)
	v_add_nc_u32_e32 v4, s60, v4
	ds_store_b32 v76, v4
.LBB1155_396:                           ;   in Loop: Header=BB1155_17 Depth=1
	s_or_b32 exec_lo, exec_lo, s12
	s_load_b64 s[12:13], s[36:37], 0x0
	v_lshlrev_b32_e32 v7, 3, v136
	v_or_b32_e32 v138, v136, v100
	s_mov_b32 s50, s62
	s_mov_b32 s38, s60
                                        ; implicit-def: $vgpr8_vgpr9
                                        ; implicit-def: $vgpr10_vgpr11
                                        ; implicit-def: $vgpr12_vgpr13
                                        ; implicit-def: $vgpr14_vgpr15
                                        ; implicit-def: $vgpr16_vgpr17
                                        ; implicit-def: $vgpr18_vgpr19
                                        ; implicit-def: $vgpr20_vgpr21
                                        ; implicit-def: $vgpr22_vgpr23
                                        ; implicit-def: $vgpr24_vgpr25
                                        ; implicit-def: $vgpr26_vgpr27
                                        ; implicit-def: $vgpr28_vgpr29
                                        ; implicit-def: $vgpr30_vgpr31
                                        ; implicit-def: $vgpr32_vgpr33
                                        ; implicit-def: $vgpr34_vgpr35
                                        ; implicit-def: $vgpr161
                                        ; implicit-def: $vgpr162
                                        ; implicit-def: $vgpr163
                                        ; implicit-def: $vgpr164
                                        ; implicit-def: $vgpr165
                                        ; implicit-def: $vgpr166
                                        ; implicit-def: $vgpr167
                                        ; implicit-def: $vgpr168
                                        ; implicit-def: $vgpr169
                                        ; implicit-def: $vgpr170
                                        ; implicit-def: $vgpr171
                                        ; implicit-def: $vgpr172
                                        ; implicit-def: $vgpr173
                                        ; implicit-def: $vgpr174
                                        ; implicit-def: $vgpr175
                                        ; implicit-def: $vgpr176
	s_delay_alu instid0(VALU_DEP_2) | instskip(SKIP_4) | instid1(VALU_DEP_3)
	v_add_co_u32 v139, vcc_lo, v113, v7
	v_add_co_ci_u32_e32 v140, vcc_lo, 0, v114, vcc_lo
	v_add_co_u32 v156, vcc_lo, v115, v7
	v_add_co_ci_u32_e32 v157, vcc_lo, 0, v116, vcc_lo
	v_or_b32_e32 v141, 32, v138
	v_add_co_u32 v159, vcc_lo, 0xf00, v156
	v_or_b32_e32 v142, 64, v138
	v_or_b32_e32 v143, 0x60, v138
	;; [unrolled: 1-line block ×3, first 2 shown]
	s_waitcnt lgkmcnt(0)
	s_cmp_lt_u32 s15, s13
	v_or_b32_e32 v145, 0xa0, v138
	s_cselect_b32 s13, 14, 20
	v_or_b32_e32 v146, 0xc0, v138
	s_add_u32 s16, s36, s13
	s_addc_u32 s17, s37, 0
	s_cmp_lt_u32 s14, s12
	global_load_u16 v4, v3, s[16:17]
	s_cselect_b32 s12, 12, 18
	v_or_b32_e32 v147, 0xe0, v138
	s_add_u32 s12, s36, s12
	s_addc_u32 s13, s37, 0
	v_or_b32_e32 v148, 0x100, v138
	global_load_u16 v6, v3, s[12:13]
	v_cmp_eq_u32_e64 s12, 0, v2
	v_cmp_lt_u32_e64 s13, 1, v2
	v_cmp_lt_u32_e64 s16, 3, v2
	v_or_b32_e32 v149, 0x120, v138
	v_or_b32_e32 v150, 0x140, v138
	;; [unrolled: 1-line block ×7, first 2 shown]
	v_add_co_ci_u32_e32 v160, vcc_lo, 0, v157, vcc_lo
	s_waitcnt vmcnt(1)
	v_mad_u32_u24 v2, v101, v4, v0
	s_waitcnt vmcnt(0)
	s_delay_alu instid0(VALU_DEP_1) | instskip(NEXT) | instid1(VALU_DEP_1)
	v_mad_u64_u32 v[4:5], null, v2, v6, v[1:2]
                                        ; implicit-def: $vgpr6_vgpr7
	v_lshrrev_b32_e32 v158, 5, v4
                                        ; implicit-def: $vgpr4_vgpr5
	s_branch .LBB1155_398
.LBB1155_397:                           ;   in Loop: Header=BB1155_398 Depth=2
	s_or_b32 exec_lo, exec_lo, s17
	s_addk_i32 s50, 0xf000
	s_cmp_lt_u32 s51, s61
	s_mov_b32 s38, s51
	s_cbranch_scc0 .LBB1155_607
.LBB1155_398:                           ;   Parent Loop BB1155_17 Depth=1
                                        ; =>  This Inner Loop Header: Depth=2
	s_add_i32 s51, s38, 0x1000
	s_delay_alu instid0(SALU_CYCLE_1)
	s_cmp_gt_u32 s51, s61
	s_cbranch_scc1 .LBB1155_401
; %bb.399:                              ;   in Loop: Header=BB1155_398 Depth=2
	s_mov_b32 s39, 0
	s_mov_b32 s20, -1
	s_lshl_b64 s[18:19], s[38:39], 3
	s_movk_i32 s17, 0x1000
	v_add_co_u32 v40, vcc_lo, v156, s18
	v_add_co_ci_u32_e32 v41, vcc_lo, s19, v157, vcc_lo
	s_clause 0xe
	global_load_b64 v[36:37], v[40:41], off
	global_load_b64 v[38:39], v[40:41], off offset:256
	global_load_b64 v[44:45], v[40:41], off offset:512
	;; [unrolled: 1-line block ×14, first 2 shown]
	s_cbranch_execz .LBB1155_402
; %bb.400:                              ;   in Loop: Header=BB1155_398 Depth=2
                                        ; implicit-def: $sgpr18_sgpr19
	s_branch .LBB1155_433
.LBB1155_401:                           ;   in Loop: Header=BB1155_398 Depth=2
	s_mov_b32 s39, -1
	s_mov_b32 s20, 0
                                        ; implicit-def: $sgpr17
                                        ; implicit-def: $vgpr36_vgpr37
                                        ; implicit-def: $vgpr38_vgpr39
                                        ; implicit-def: $vgpr44_vgpr45
                                        ; implicit-def: $vgpr48_vgpr49
                                        ; implicit-def: $vgpr54_vgpr55
                                        ; implicit-def: $vgpr58_vgpr59
                                        ; implicit-def: $vgpr62_vgpr63
                                        ; implicit-def: $vgpr66_vgpr67
                                        ; implicit-def: $vgpr64_vgpr65
                                        ; implicit-def: $vgpr60_vgpr61
                                        ; implicit-def: $vgpr56_vgpr57
                                        ; implicit-def: $vgpr52_vgpr53
                                        ; implicit-def: $vgpr50_vgpr51
                                        ; implicit-def: $vgpr46_vgpr47
                                        ; implicit-def: $vgpr40_vgpr41
.LBB1155_402:                           ;   in Loop: Header=BB1155_398 Depth=2
	s_mov_b32 s39, s34
	s_waitcnt vmcnt(13)
	v_mov_b32_e32 v38, -1
	v_mov_b32_e32 v39, -1
	s_lshl_b64 s[18:19], s[38:39], 3
	s_delay_alu instid0(VALU_DEP_2) | instskip(SKIP_1) | instid1(VALU_DEP_3)
	v_mov_b32_e32 v36, v38
	v_add_co_u32 v42, vcc_lo, v156, s18
	v_mov_b32_e32 v37, v39
	v_add_co_ci_u32_e32 v43, vcc_lo, s19, v157, vcc_lo
	s_mov_b32 s17, exec_lo
	v_cmpx_gt_u32_e64 s50, v138
	s_cbranch_execz .LBB1155_404
; %bb.403:                              ;   in Loop: Header=BB1155_398 Depth=2
	global_load_b64 v[36:37], v[42:43], off
.LBB1155_404:                           ;   in Loop: Header=BB1155_398 Depth=2
	s_or_b32 exec_lo, exec_lo, s17
	s_delay_alu instid0(SALU_CYCLE_1)
	s_mov_b32 s17, exec_lo
	v_cmpx_gt_u32_e64 s50, v141
	s_cbranch_execz .LBB1155_406
; %bb.405:                              ;   in Loop: Header=BB1155_398 Depth=2
	global_load_b64 v[38:39], v[42:43], off offset:256
.LBB1155_406:                           ;   in Loop: Header=BB1155_398 Depth=2
	s_or_b32 exec_lo, exec_lo, s17
	s_waitcnt vmcnt(11)
	v_mov_b32_e32 v48, -1
	v_mov_b32_e32 v49, -1
	s_delay_alu instid0(VALU_DEP_2) | instskip(SKIP_1) | instid1(VALU_DEP_2)
	v_mov_b32_e32 v44, v48
	s_mov_b32 s17, exec_lo
	v_mov_b32_e32 v45, v49
	v_cmpx_gt_u32_e64 s50, v142
	s_cbranch_execz .LBB1155_408
; %bb.407:                              ;   in Loop: Header=BB1155_398 Depth=2
	global_load_b64 v[44:45], v[42:43], off offset:512
.LBB1155_408:                           ;   in Loop: Header=BB1155_398 Depth=2
	s_or_b32 exec_lo, exec_lo, s17
	s_delay_alu instid0(SALU_CYCLE_1)
	s_mov_b32 s17, exec_lo
	v_cmpx_gt_u32_e64 s50, v143
	s_cbranch_execz .LBB1155_410
; %bb.409:                              ;   in Loop: Header=BB1155_398 Depth=2
	global_load_b64 v[48:49], v[42:43], off offset:768
.LBB1155_410:                           ;   in Loop: Header=BB1155_398 Depth=2
	s_or_b32 exec_lo, exec_lo, s17
	s_waitcnt vmcnt(9)
	v_mov_b32_e32 v58, -1
	v_mov_b32_e32 v59, -1
	s_delay_alu instid0(VALU_DEP_2) | instskip(SKIP_1) | instid1(VALU_DEP_2)
	v_mov_b32_e32 v54, v58
	s_mov_b32 s17, exec_lo
	v_mov_b32_e32 v55, v59
	v_cmpx_gt_u32_e64 s50, v144
	s_cbranch_execz .LBB1155_412
; %bb.411:                              ;   in Loop: Header=BB1155_398 Depth=2
	global_load_b64 v[54:55], v[42:43], off offset:1024
.LBB1155_412:                           ;   in Loop: Header=BB1155_398 Depth=2
	;; [unrolled: 21-line block ×3, first 2 shown]
	s_or_b32 exec_lo, exec_lo, s17
	s_delay_alu instid0(SALU_CYCLE_1)
	s_mov_b32 s17, exec_lo
	v_cmpx_gt_u32_e64 s50, v147
	s_cbranch_execz .LBB1155_418
; %bb.417:                              ;   in Loop: Header=BB1155_398 Depth=2
	global_load_b64 v[66:67], v[42:43], off offset:1792
.LBB1155_418:                           ;   in Loop: Header=BB1155_398 Depth=2
	s_or_b32 exec_lo, exec_lo, s17
	s_waitcnt vmcnt(5)
	v_mov_b32_e32 v60, -1
	v_mov_b32_e32 v61, -1
	s_mov_b32 s17, exec_lo
	s_delay_alu instid0(VALU_DEP_1)
	v_dual_mov_b32 v65, v61 :: v_dual_mov_b32 v64, v60
	v_cmpx_gt_u32_e64 s50, v148
	s_cbranch_execz .LBB1155_420
; %bb.419:                              ;   in Loop: Header=BB1155_398 Depth=2
	global_load_b64 v[64:65], v[42:43], off offset:2048
.LBB1155_420:                           ;   in Loop: Header=BB1155_398 Depth=2
	s_or_b32 exec_lo, exec_lo, s17
	s_delay_alu instid0(SALU_CYCLE_1)
	s_mov_b32 s17, exec_lo
	v_cmpx_gt_u32_e64 s50, v149
	s_cbranch_execz .LBB1155_422
; %bb.421:                              ;   in Loop: Header=BB1155_398 Depth=2
	global_load_b64 v[60:61], v[42:43], off offset:2304
.LBB1155_422:                           ;   in Loop: Header=BB1155_398 Depth=2
	s_or_b32 exec_lo, exec_lo, s17
	s_waitcnt vmcnt(3)
	v_mov_b32_e32 v52, -1
	v_mov_b32_e32 v53, -1
	s_mov_b32 s17, exec_lo
	s_delay_alu instid0(VALU_DEP_1)
	v_dual_mov_b32 v57, v53 :: v_dual_mov_b32 v56, v52
	v_cmpx_gt_u32_e64 s50, v150
	s_cbranch_execz .LBB1155_424
; %bb.423:                              ;   in Loop: Header=BB1155_398 Depth=2
	global_load_b64 v[56:57], v[42:43], off offset:2560
.LBB1155_424:                           ;   in Loop: Header=BB1155_398 Depth=2
	;; [unrolled: 20-line block ×3, first 2 shown]
	s_or_b32 exec_lo, exec_lo, s17
	s_delay_alu instid0(SALU_CYCLE_1)
	s_mov_b32 s17, exec_lo
	v_cmpx_gt_u32_e64 s50, v153
	s_cbranch_execz .LBB1155_430
; %bb.429:                              ;   in Loop: Header=BB1155_398 Depth=2
	global_load_b64 v[46:47], v[42:43], off offset:3328
.LBB1155_430:                           ;   in Loop: Header=BB1155_398 Depth=2
	s_or_b32 exec_lo, exec_lo, s17
	s_waitcnt vmcnt(0)
	v_mov_b32_e32 v40, -1
	v_mov_b32_e32 v41, -1
	s_mov_b32 s17, exec_lo
	v_cmpx_gt_u32_e64 s50, v154
	s_cbranch_execz .LBB1155_432
; %bb.431:                              ;   in Loop: Header=BB1155_398 Depth=2
	global_load_b64 v[40:41], v[42:43], off offset:3584
.LBB1155_432:                           ;   in Loop: Header=BB1155_398 Depth=2
	s_or_b32 exec_lo, exec_lo, s17
	v_cmp_gt_u32_e64 s20, s50, v155
	s_sub_i32 s17, s61, s38
	s_mov_b64 s[18:19], -1
.LBB1155_433:                           ;   in Loop: Header=BB1155_398 Depth=2
	s_delay_alu instid0(SALU_CYCLE_1)
	v_dual_mov_b32 v43, s19 :: v_dual_mov_b32 v42, s18
	v_mov_b32_e32 v177, s50
	s_and_saveexec_b32 s18, s20
	s_cbranch_execz .LBB1155_435
; %bb.434:                              ;   in Loop: Header=BB1155_398 Depth=2
	s_lshl_b64 s[20:21], s[38:39], 3
	v_mov_b32_e32 v177, s17
	v_add_co_u32 v42, vcc_lo, v159, s20
	v_add_co_ci_u32_e32 v43, vcc_lo, s21, v160, vcc_lo
	global_load_b64 v[42:43], v[42:43], off
.LBB1155_435:                           ;   in Loop: Header=BB1155_398 Depth=2
	s_or_b32 exec_lo, exec_lo, s18
	s_waitcnt vmcnt(14)
	v_cmp_gt_i64_e32 vcc_lo, 0, v[36:37]
	v_ashrrev_i32_e32 v2, 31, v37
	ds_store_b32 v102, v3 offset:1056
	ds_store_2addr_b32 v103, v3, v3 offset0:1 offset1:2
	ds_store_2addr_b32 v103, v3, v3 offset0:3 offset1:4
	;; [unrolled: 1-line block ×4, first 2 shown]
	s_waitcnt vmcnt(0) lgkmcnt(0)
	s_barrier
	v_cndmask_b32_e64 v68, 0x7fffffff, 0, vcc_lo
	v_not_b32_e32 v2, v2
	buffer_gl0_inv
	; wave barrier
	v_xor_b32_e32 v37, v68, v37
	v_xor_b32_e32 v36, v2, v36
	s_delay_alu instid0(VALU_DEP_1) | instskip(SKIP_2) | instid1(VALU_DEP_1)
	v_cmp_ne_u64_e32 vcc_lo, s[34:35], v[36:37]
	v_cndmask_b32_e32 v69, 0x7fffffff, v37, vcc_lo
	v_cndmask_b32_e32 v68, -1, v36, vcc_lo
	v_lshrrev_b64 v[68:69], s41, v[68:69]
	s_delay_alu instid0(VALU_DEP_1) | instskip(NEXT) | instid1(VALU_DEP_1)
	v_and_b32_e32 v69, s43, v68
	v_lshlrev_b32_e32 v71, 28, v69
	v_and_b32_e32 v2, 1, v69
	v_lshlrev_b32_e32 v68, 30, v69
	v_lshlrev_b32_e32 v70, 29, v69
	;; [unrolled: 1-line block ×4, first 2 shown]
	v_add_co_u32 v2, s17, v2, -1
	s_delay_alu instid0(VALU_DEP_1)
	v_cndmask_b32_e64 v72, 0, 1, s17
	v_not_b32_e32 v178, v68
	v_cmp_gt_i32_e64 s17, 0, v68
	v_not_b32_e32 v68, v70
	v_lshlrev_b32_e32 v75, 25, v69
	v_cmp_ne_u32_e32 vcc_lo, 0, v72
	v_ashrrev_i32_e32 v178, 31, v178
	v_lshlrev_b32_e32 v72, 24, v69
	v_ashrrev_i32_e32 v68, 31, v68
	v_mad_u32_u24 v69, v69, 9, v158
	v_xor_b32_e32 v2, vcc_lo, v2
	v_cmp_gt_i32_e32 vcc_lo, 0, v70
	v_not_b32_e32 v70, v71
	v_xor_b32_e32 v178, s17, v178
	v_cmp_gt_i32_e64 s17, 0, v71
	v_and_b32_e32 v2, exec_lo, v2
	v_not_b32_e32 v71, v73
	v_ashrrev_i32_e32 v70, 31, v70
	v_xor_b32_e32 v68, vcc_lo, v68
	v_cmp_gt_i32_e32 vcc_lo, 0, v73
	v_and_b32_e32 v2, v2, v178
	v_not_b32_e32 v73, v74
	v_ashrrev_i32_e32 v71, 31, v71
	v_xor_b32_e32 v70, s17, v70
	v_cmp_gt_i32_e64 s17, 0, v74
	v_and_b32_e32 v2, v2, v68
	v_not_b32_e32 v68, v75
	v_ashrrev_i32_e32 v73, 31, v73
	v_xor_b32_e32 v71, vcc_lo, v71
	v_cmp_gt_i32_e32 vcc_lo, 0, v75
	v_and_b32_e32 v2, v2, v70
	v_not_b32_e32 v70, v72
	v_ashrrev_i32_e32 v68, 31, v68
	v_xor_b32_e32 v73, s17, v73
	v_cmp_gt_i32_e64 s17, 0, v72
	v_and_b32_e32 v2, v2, v71
	v_ashrrev_i32_e32 v70, 31, v70
	v_xor_b32_e32 v68, vcc_lo, v68
	v_lshl_add_u32 v178, v69, 2, 0x420
	s_delay_alu instid0(VALU_DEP_4) | instskip(NEXT) | instid1(VALU_DEP_4)
	v_and_b32_e32 v2, v2, v73
	v_xor_b32_e32 v70, s17, v70
	s_delay_alu instid0(VALU_DEP_2) | instskip(NEXT) | instid1(VALU_DEP_1)
	v_and_b32_e32 v2, v2, v68
	v_and_b32_e32 v68, v2, v70
	s_delay_alu instid0(VALU_DEP_1) | instskip(SKIP_1) | instid1(VALU_DEP_2)
	v_mbcnt_lo_u32_b32 v2, v68, 0
	v_cmp_ne_u32_e64 s17, 0, v68
	v_cmp_eq_u32_e32 vcc_lo, 0, v2
	s_delay_alu instid0(VALU_DEP_2) | instskip(NEXT) | instid1(SALU_CYCLE_1)
	s_and_b32 s18, s17, vcc_lo
	s_and_saveexec_b32 s17, s18
	s_cbranch_execz .LBB1155_437
; %bb.436:                              ;   in Loop: Header=BB1155_398 Depth=2
	v_bcnt_u32_b32 v68, v68, 0
	ds_store_b32 v178, v68
.LBB1155_437:                           ;   in Loop: Header=BB1155_398 Depth=2
	s_or_b32 exec_lo, exec_lo, s17
	v_cmp_gt_i64_e32 vcc_lo, 0, v[38:39]
	v_ashrrev_i32_e32 v68, 31, v39
	; wave barrier
	s_delay_alu instid0(VALU_DEP_1) | instskip(SKIP_1) | instid1(VALU_DEP_2)
	v_not_b32_e32 v68, v68
	v_cndmask_b32_e64 v69, 0x7fffffff, 0, vcc_lo
	v_xor_b32_e32 v38, v68, v38
	s_delay_alu instid0(VALU_DEP_2) | instskip(NEXT) | instid1(VALU_DEP_1)
	v_xor_b32_e32 v39, v69, v39
	v_cmp_ne_u64_e32 vcc_lo, s[34:35], v[38:39]
	v_cndmask_b32_e32 v69, 0x7fffffff, v39, vcc_lo
	v_cndmask_b32_e32 v68, -1, v38, vcc_lo
	s_delay_alu instid0(VALU_DEP_1) | instskip(NEXT) | instid1(VALU_DEP_1)
	v_lshrrev_b64 v[68:69], s41, v[68:69]
	v_and_b32_e32 v68, s43, v68
	s_delay_alu instid0(VALU_DEP_1)
	v_and_b32_e32 v69, 1, v68
	v_lshlrev_b32_e32 v70, 30, v68
	v_lshlrev_b32_e32 v71, 29, v68
	;; [unrolled: 1-line block ×4, first 2 shown]
	v_add_co_u32 v69, s17, v69, -1
	s_delay_alu instid0(VALU_DEP_1)
	v_cndmask_b32_e64 v73, 0, 1, s17
	v_not_b32_e32 v180, v70
	v_cmp_gt_i32_e64 s17, 0, v70
	v_not_b32_e32 v70, v71
	v_lshlrev_b32_e32 v75, 26, v68
	v_cmp_ne_u32_e32 vcc_lo, 0, v73
	v_ashrrev_i32_e32 v180, 31, v180
	v_lshlrev_b32_e32 v179, 25, v68
	v_ashrrev_i32_e32 v70, 31, v70
	v_lshlrev_b32_e32 v73, 24, v68
	v_xor_b32_e32 v69, vcc_lo, v69
	v_cmp_gt_i32_e32 vcc_lo, 0, v71
	v_not_b32_e32 v71, v72
	v_xor_b32_e32 v180, s17, v180
	v_cmp_gt_i32_e64 s17, 0, v72
	v_and_b32_e32 v69, exec_lo, v69
	v_not_b32_e32 v72, v74
	v_ashrrev_i32_e32 v71, 31, v71
	v_xor_b32_e32 v70, vcc_lo, v70
	v_cmp_gt_i32_e32 vcc_lo, 0, v74
	v_and_b32_e32 v69, v69, v180
	v_not_b32_e32 v74, v75
	v_ashrrev_i32_e32 v72, 31, v72
	v_xor_b32_e32 v71, s17, v71
	v_cmp_gt_i32_e64 s17, 0, v75
	v_and_b32_e32 v69, v69, v70
	v_not_b32_e32 v70, v179
	v_ashrrev_i32_e32 v74, 31, v74
	v_xor_b32_e32 v72, vcc_lo, v72
	v_cmp_gt_i32_e32 vcc_lo, 0, v179
	v_and_b32_e32 v69, v69, v71
	v_not_b32_e32 v71, v73
	v_ashrrev_i32_e32 v70, 31, v70
	v_xor_b32_e32 v74, s17, v74
	v_mul_u32_u24_e32 v68, 9, v68
	v_and_b32_e32 v69, v69, v72
	v_cmp_gt_i32_e64 s17, 0, v73
	v_ashrrev_i32_e32 v71, 31, v71
	v_xor_b32_e32 v70, vcc_lo, v70
	v_add_lshl_u32 v72, v68, v158, 2
	v_and_b32_e32 v69, v69, v74
	s_delay_alu instid0(VALU_DEP_4) | instskip(SKIP_3) | instid1(VALU_DEP_2)
	v_xor_b32_e32 v68, s17, v71
	ds_load_b32 v179, v72 offset:1056
	v_and_b32_e32 v69, v69, v70
	v_add_nc_u32_e32 v181, 0x420, v72
	; wave barrier
	v_and_b32_e32 v68, v69, v68
	s_delay_alu instid0(VALU_DEP_1) | instskip(SKIP_1) | instid1(VALU_DEP_2)
	v_mbcnt_lo_u32_b32 v180, v68, 0
	v_cmp_ne_u32_e64 s17, 0, v68
	v_cmp_eq_u32_e32 vcc_lo, 0, v180
	s_delay_alu instid0(VALU_DEP_2) | instskip(NEXT) | instid1(SALU_CYCLE_1)
	s_and_b32 s18, s17, vcc_lo
	s_and_saveexec_b32 s17, s18
	s_cbranch_execz .LBB1155_439
; %bb.438:                              ;   in Loop: Header=BB1155_398 Depth=2
	s_waitcnt lgkmcnt(0)
	v_bcnt_u32_b32 v68, v68, v179
	ds_store_b32 v181, v68
.LBB1155_439:                           ;   in Loop: Header=BB1155_398 Depth=2
	s_or_b32 exec_lo, exec_lo, s17
	v_cmp_gt_i64_e32 vcc_lo, 0, v[44:45]
	v_ashrrev_i32_e32 v68, 31, v45
	; wave barrier
	s_delay_alu instid0(VALU_DEP_1) | instskip(SKIP_1) | instid1(VALU_DEP_2)
	v_not_b32_e32 v68, v68
	v_cndmask_b32_e64 v69, 0x7fffffff, 0, vcc_lo
	v_xor_b32_e32 v44, v68, v44
	s_delay_alu instid0(VALU_DEP_2) | instskip(NEXT) | instid1(VALU_DEP_1)
	v_xor_b32_e32 v45, v69, v45
	v_cmp_ne_u64_e32 vcc_lo, s[34:35], v[44:45]
	v_cndmask_b32_e32 v69, 0x7fffffff, v45, vcc_lo
	v_cndmask_b32_e32 v68, -1, v44, vcc_lo
	s_delay_alu instid0(VALU_DEP_1) | instskip(NEXT) | instid1(VALU_DEP_1)
	v_lshrrev_b64 v[68:69], s41, v[68:69]
	v_and_b32_e32 v68, s43, v68
	s_delay_alu instid0(VALU_DEP_1)
	v_and_b32_e32 v69, 1, v68
	v_lshlrev_b32_e32 v70, 30, v68
	v_lshlrev_b32_e32 v71, 29, v68
	;; [unrolled: 1-line block ×4, first 2 shown]
	v_add_co_u32 v69, s17, v69, -1
	s_delay_alu instid0(VALU_DEP_1)
	v_cndmask_b32_e64 v73, 0, 1, s17
	v_not_b32_e32 v183, v70
	v_cmp_gt_i32_e64 s17, 0, v70
	v_not_b32_e32 v70, v71
	v_lshlrev_b32_e32 v75, 26, v68
	v_cmp_ne_u32_e32 vcc_lo, 0, v73
	v_ashrrev_i32_e32 v183, 31, v183
	v_lshlrev_b32_e32 v182, 25, v68
	v_ashrrev_i32_e32 v70, 31, v70
	v_lshlrev_b32_e32 v73, 24, v68
	v_xor_b32_e32 v69, vcc_lo, v69
	v_cmp_gt_i32_e32 vcc_lo, 0, v71
	v_not_b32_e32 v71, v72
	v_xor_b32_e32 v183, s17, v183
	v_cmp_gt_i32_e64 s17, 0, v72
	v_and_b32_e32 v69, exec_lo, v69
	v_not_b32_e32 v72, v74
	v_ashrrev_i32_e32 v71, 31, v71
	v_xor_b32_e32 v70, vcc_lo, v70
	v_cmp_gt_i32_e32 vcc_lo, 0, v74
	v_and_b32_e32 v69, v69, v183
	v_not_b32_e32 v74, v75
	v_ashrrev_i32_e32 v72, 31, v72
	v_xor_b32_e32 v71, s17, v71
	v_cmp_gt_i32_e64 s17, 0, v75
	v_and_b32_e32 v69, v69, v70
	v_not_b32_e32 v70, v182
	v_ashrrev_i32_e32 v74, 31, v74
	v_xor_b32_e32 v72, vcc_lo, v72
	v_cmp_gt_i32_e32 vcc_lo, 0, v182
	v_and_b32_e32 v69, v69, v71
	v_not_b32_e32 v71, v73
	v_ashrrev_i32_e32 v70, 31, v70
	v_xor_b32_e32 v74, s17, v74
	v_mul_u32_u24_e32 v68, 9, v68
	v_and_b32_e32 v69, v69, v72
	v_cmp_gt_i32_e64 s17, 0, v73
	v_ashrrev_i32_e32 v71, 31, v71
	v_xor_b32_e32 v70, vcc_lo, v70
	v_add_lshl_u32 v72, v68, v158, 2
	v_and_b32_e32 v69, v69, v74
	s_delay_alu instid0(VALU_DEP_4) | instskip(SKIP_3) | instid1(VALU_DEP_2)
	v_xor_b32_e32 v68, s17, v71
	ds_load_b32 v182, v72 offset:1056
	v_and_b32_e32 v69, v69, v70
	v_add_nc_u32_e32 v184, 0x420, v72
	; wave barrier
	v_and_b32_e32 v68, v69, v68
	s_delay_alu instid0(VALU_DEP_1) | instskip(SKIP_1) | instid1(VALU_DEP_2)
	v_mbcnt_lo_u32_b32 v183, v68, 0
	v_cmp_ne_u32_e64 s17, 0, v68
	v_cmp_eq_u32_e32 vcc_lo, 0, v183
	s_delay_alu instid0(VALU_DEP_2) | instskip(NEXT) | instid1(SALU_CYCLE_1)
	s_and_b32 s18, s17, vcc_lo
	s_and_saveexec_b32 s17, s18
	s_cbranch_execz .LBB1155_441
; %bb.440:                              ;   in Loop: Header=BB1155_398 Depth=2
	s_waitcnt lgkmcnt(0)
	v_bcnt_u32_b32 v68, v68, v182
	ds_store_b32 v184, v68
.LBB1155_441:                           ;   in Loop: Header=BB1155_398 Depth=2
	s_or_b32 exec_lo, exec_lo, s17
	v_cmp_gt_i64_e32 vcc_lo, 0, v[48:49]
	v_ashrrev_i32_e32 v68, 31, v49
	; wave barrier
	s_delay_alu instid0(VALU_DEP_1) | instskip(SKIP_1) | instid1(VALU_DEP_2)
	v_not_b32_e32 v68, v68
	v_cndmask_b32_e64 v69, 0x7fffffff, 0, vcc_lo
	v_xor_b32_e32 v48, v68, v48
	s_delay_alu instid0(VALU_DEP_2) | instskip(NEXT) | instid1(VALU_DEP_1)
	v_xor_b32_e32 v49, v69, v49
	v_cmp_ne_u64_e32 vcc_lo, s[34:35], v[48:49]
	v_cndmask_b32_e32 v69, 0x7fffffff, v49, vcc_lo
	v_cndmask_b32_e32 v68, -1, v48, vcc_lo
	s_delay_alu instid0(VALU_DEP_1) | instskip(NEXT) | instid1(VALU_DEP_1)
	v_lshrrev_b64 v[68:69], s41, v[68:69]
	v_and_b32_e32 v68, s43, v68
	s_delay_alu instid0(VALU_DEP_1)
	v_and_b32_e32 v69, 1, v68
	v_lshlrev_b32_e32 v70, 30, v68
	v_lshlrev_b32_e32 v71, 29, v68
	v_lshlrev_b32_e32 v72, 28, v68
	v_lshlrev_b32_e32 v74, 27, v68
	v_add_co_u32 v69, s17, v69, -1
	s_delay_alu instid0(VALU_DEP_1)
	v_cndmask_b32_e64 v73, 0, 1, s17
	v_not_b32_e32 v186, v70
	v_cmp_gt_i32_e64 s17, 0, v70
	v_not_b32_e32 v70, v71
	v_lshlrev_b32_e32 v75, 26, v68
	v_cmp_ne_u32_e32 vcc_lo, 0, v73
	v_ashrrev_i32_e32 v186, 31, v186
	v_lshlrev_b32_e32 v185, 25, v68
	v_ashrrev_i32_e32 v70, 31, v70
	v_lshlrev_b32_e32 v73, 24, v68
	v_xor_b32_e32 v69, vcc_lo, v69
	v_cmp_gt_i32_e32 vcc_lo, 0, v71
	v_not_b32_e32 v71, v72
	v_xor_b32_e32 v186, s17, v186
	v_cmp_gt_i32_e64 s17, 0, v72
	v_and_b32_e32 v69, exec_lo, v69
	v_not_b32_e32 v72, v74
	v_ashrrev_i32_e32 v71, 31, v71
	v_xor_b32_e32 v70, vcc_lo, v70
	v_cmp_gt_i32_e32 vcc_lo, 0, v74
	v_and_b32_e32 v69, v69, v186
	v_not_b32_e32 v74, v75
	v_ashrrev_i32_e32 v72, 31, v72
	v_xor_b32_e32 v71, s17, v71
	v_cmp_gt_i32_e64 s17, 0, v75
	v_and_b32_e32 v69, v69, v70
	v_not_b32_e32 v70, v185
	v_ashrrev_i32_e32 v74, 31, v74
	v_xor_b32_e32 v72, vcc_lo, v72
	v_cmp_gt_i32_e32 vcc_lo, 0, v185
	v_and_b32_e32 v69, v69, v71
	v_not_b32_e32 v71, v73
	v_ashrrev_i32_e32 v70, 31, v70
	v_xor_b32_e32 v74, s17, v74
	v_mul_u32_u24_e32 v68, 9, v68
	v_and_b32_e32 v69, v69, v72
	v_cmp_gt_i32_e64 s17, 0, v73
	v_ashrrev_i32_e32 v71, 31, v71
	v_xor_b32_e32 v70, vcc_lo, v70
	v_add_lshl_u32 v72, v68, v158, 2
	v_and_b32_e32 v69, v69, v74
	s_delay_alu instid0(VALU_DEP_4) | instskip(SKIP_3) | instid1(VALU_DEP_2)
	v_xor_b32_e32 v68, s17, v71
	ds_load_b32 v185, v72 offset:1056
	v_and_b32_e32 v69, v69, v70
	v_add_nc_u32_e32 v187, 0x420, v72
	; wave barrier
	v_and_b32_e32 v68, v69, v68
	s_delay_alu instid0(VALU_DEP_1) | instskip(SKIP_1) | instid1(VALU_DEP_2)
	v_mbcnt_lo_u32_b32 v186, v68, 0
	v_cmp_ne_u32_e64 s17, 0, v68
	v_cmp_eq_u32_e32 vcc_lo, 0, v186
	s_delay_alu instid0(VALU_DEP_2) | instskip(NEXT) | instid1(SALU_CYCLE_1)
	s_and_b32 s18, s17, vcc_lo
	s_and_saveexec_b32 s17, s18
	s_cbranch_execz .LBB1155_443
; %bb.442:                              ;   in Loop: Header=BB1155_398 Depth=2
	s_waitcnt lgkmcnt(0)
	v_bcnt_u32_b32 v68, v68, v185
	ds_store_b32 v187, v68
.LBB1155_443:                           ;   in Loop: Header=BB1155_398 Depth=2
	s_or_b32 exec_lo, exec_lo, s17
	v_cmp_gt_i64_e32 vcc_lo, 0, v[54:55]
	v_ashrrev_i32_e32 v68, 31, v55
	; wave barrier
	s_delay_alu instid0(VALU_DEP_1) | instskip(SKIP_1) | instid1(VALU_DEP_2)
	v_not_b32_e32 v68, v68
	v_cndmask_b32_e64 v69, 0x7fffffff, 0, vcc_lo
	v_xor_b32_e32 v54, v68, v54
	s_delay_alu instid0(VALU_DEP_2) | instskip(NEXT) | instid1(VALU_DEP_1)
	v_xor_b32_e32 v55, v69, v55
	v_cmp_ne_u64_e32 vcc_lo, s[34:35], v[54:55]
	v_cndmask_b32_e32 v69, 0x7fffffff, v55, vcc_lo
	v_cndmask_b32_e32 v68, -1, v54, vcc_lo
	s_delay_alu instid0(VALU_DEP_1) | instskip(NEXT) | instid1(VALU_DEP_1)
	v_lshrrev_b64 v[68:69], s41, v[68:69]
	v_and_b32_e32 v68, s43, v68
	s_delay_alu instid0(VALU_DEP_1)
	v_and_b32_e32 v69, 1, v68
	v_lshlrev_b32_e32 v70, 30, v68
	v_lshlrev_b32_e32 v71, 29, v68
	;; [unrolled: 1-line block ×4, first 2 shown]
	v_add_co_u32 v69, s17, v69, -1
	s_delay_alu instid0(VALU_DEP_1)
	v_cndmask_b32_e64 v73, 0, 1, s17
	v_not_b32_e32 v189, v70
	v_cmp_gt_i32_e64 s17, 0, v70
	v_not_b32_e32 v70, v71
	v_lshlrev_b32_e32 v75, 26, v68
	v_cmp_ne_u32_e32 vcc_lo, 0, v73
	v_ashrrev_i32_e32 v189, 31, v189
	v_lshlrev_b32_e32 v188, 25, v68
	v_ashrrev_i32_e32 v70, 31, v70
	v_lshlrev_b32_e32 v73, 24, v68
	v_xor_b32_e32 v69, vcc_lo, v69
	v_cmp_gt_i32_e32 vcc_lo, 0, v71
	v_not_b32_e32 v71, v72
	v_xor_b32_e32 v189, s17, v189
	v_cmp_gt_i32_e64 s17, 0, v72
	v_and_b32_e32 v69, exec_lo, v69
	v_not_b32_e32 v72, v74
	v_ashrrev_i32_e32 v71, 31, v71
	v_xor_b32_e32 v70, vcc_lo, v70
	v_cmp_gt_i32_e32 vcc_lo, 0, v74
	v_and_b32_e32 v69, v69, v189
	v_not_b32_e32 v74, v75
	v_ashrrev_i32_e32 v72, 31, v72
	v_xor_b32_e32 v71, s17, v71
	v_cmp_gt_i32_e64 s17, 0, v75
	v_and_b32_e32 v69, v69, v70
	v_not_b32_e32 v70, v188
	v_ashrrev_i32_e32 v74, 31, v74
	v_xor_b32_e32 v72, vcc_lo, v72
	v_cmp_gt_i32_e32 vcc_lo, 0, v188
	v_and_b32_e32 v69, v69, v71
	v_not_b32_e32 v71, v73
	v_ashrrev_i32_e32 v70, 31, v70
	v_xor_b32_e32 v74, s17, v74
	v_mul_u32_u24_e32 v68, 9, v68
	v_and_b32_e32 v69, v69, v72
	v_cmp_gt_i32_e64 s17, 0, v73
	v_ashrrev_i32_e32 v71, 31, v71
	v_xor_b32_e32 v70, vcc_lo, v70
	v_add_lshl_u32 v72, v68, v158, 2
	v_and_b32_e32 v69, v69, v74
	s_delay_alu instid0(VALU_DEP_4) | instskip(SKIP_3) | instid1(VALU_DEP_2)
	v_xor_b32_e32 v68, s17, v71
	ds_load_b32 v188, v72 offset:1056
	v_and_b32_e32 v69, v69, v70
	v_add_nc_u32_e32 v190, 0x420, v72
	; wave barrier
	v_and_b32_e32 v68, v69, v68
	s_delay_alu instid0(VALU_DEP_1) | instskip(SKIP_1) | instid1(VALU_DEP_2)
	v_mbcnt_lo_u32_b32 v189, v68, 0
	v_cmp_ne_u32_e64 s17, 0, v68
	v_cmp_eq_u32_e32 vcc_lo, 0, v189
	s_delay_alu instid0(VALU_DEP_2) | instskip(NEXT) | instid1(SALU_CYCLE_1)
	s_and_b32 s18, s17, vcc_lo
	s_and_saveexec_b32 s17, s18
	s_cbranch_execz .LBB1155_445
; %bb.444:                              ;   in Loop: Header=BB1155_398 Depth=2
	s_waitcnt lgkmcnt(0)
	v_bcnt_u32_b32 v68, v68, v188
	ds_store_b32 v190, v68
.LBB1155_445:                           ;   in Loop: Header=BB1155_398 Depth=2
	s_or_b32 exec_lo, exec_lo, s17
	v_cmp_gt_i64_e32 vcc_lo, 0, v[58:59]
	v_ashrrev_i32_e32 v68, 31, v59
	; wave barrier
	s_delay_alu instid0(VALU_DEP_1) | instskip(SKIP_1) | instid1(VALU_DEP_2)
	v_not_b32_e32 v68, v68
	v_cndmask_b32_e64 v69, 0x7fffffff, 0, vcc_lo
	v_xor_b32_e32 v58, v68, v58
	s_delay_alu instid0(VALU_DEP_2) | instskip(NEXT) | instid1(VALU_DEP_1)
	v_xor_b32_e32 v59, v69, v59
	v_cmp_ne_u64_e32 vcc_lo, s[34:35], v[58:59]
	v_cndmask_b32_e32 v69, 0x7fffffff, v59, vcc_lo
	v_cndmask_b32_e32 v68, -1, v58, vcc_lo
	s_delay_alu instid0(VALU_DEP_1) | instskip(NEXT) | instid1(VALU_DEP_1)
	v_lshrrev_b64 v[68:69], s41, v[68:69]
	v_and_b32_e32 v68, s43, v68
	s_delay_alu instid0(VALU_DEP_1)
	v_and_b32_e32 v69, 1, v68
	v_lshlrev_b32_e32 v70, 30, v68
	v_lshlrev_b32_e32 v71, 29, v68
	;; [unrolled: 1-line block ×4, first 2 shown]
	v_add_co_u32 v69, s17, v69, -1
	s_delay_alu instid0(VALU_DEP_1)
	v_cndmask_b32_e64 v73, 0, 1, s17
	v_not_b32_e32 v192, v70
	v_cmp_gt_i32_e64 s17, 0, v70
	v_not_b32_e32 v70, v71
	v_lshlrev_b32_e32 v75, 26, v68
	v_cmp_ne_u32_e32 vcc_lo, 0, v73
	v_ashrrev_i32_e32 v192, 31, v192
	v_lshlrev_b32_e32 v191, 25, v68
	v_ashrrev_i32_e32 v70, 31, v70
	v_lshlrev_b32_e32 v73, 24, v68
	v_xor_b32_e32 v69, vcc_lo, v69
	v_cmp_gt_i32_e32 vcc_lo, 0, v71
	v_not_b32_e32 v71, v72
	v_xor_b32_e32 v192, s17, v192
	v_cmp_gt_i32_e64 s17, 0, v72
	v_and_b32_e32 v69, exec_lo, v69
	v_not_b32_e32 v72, v74
	v_ashrrev_i32_e32 v71, 31, v71
	v_xor_b32_e32 v70, vcc_lo, v70
	v_cmp_gt_i32_e32 vcc_lo, 0, v74
	v_and_b32_e32 v69, v69, v192
	v_not_b32_e32 v74, v75
	v_ashrrev_i32_e32 v72, 31, v72
	v_xor_b32_e32 v71, s17, v71
	v_cmp_gt_i32_e64 s17, 0, v75
	v_and_b32_e32 v69, v69, v70
	v_not_b32_e32 v70, v191
	v_ashrrev_i32_e32 v74, 31, v74
	v_xor_b32_e32 v72, vcc_lo, v72
	v_cmp_gt_i32_e32 vcc_lo, 0, v191
	v_and_b32_e32 v69, v69, v71
	v_not_b32_e32 v71, v73
	v_ashrrev_i32_e32 v70, 31, v70
	v_xor_b32_e32 v74, s17, v74
	v_mul_u32_u24_e32 v68, 9, v68
	v_and_b32_e32 v69, v69, v72
	v_cmp_gt_i32_e64 s17, 0, v73
	v_ashrrev_i32_e32 v71, 31, v71
	v_xor_b32_e32 v70, vcc_lo, v70
	v_add_lshl_u32 v72, v68, v158, 2
	v_and_b32_e32 v69, v69, v74
	s_delay_alu instid0(VALU_DEP_4) | instskip(SKIP_3) | instid1(VALU_DEP_2)
	v_xor_b32_e32 v68, s17, v71
	ds_load_b32 v191, v72 offset:1056
	v_and_b32_e32 v69, v69, v70
	v_add_nc_u32_e32 v193, 0x420, v72
	; wave barrier
	v_and_b32_e32 v68, v69, v68
	s_delay_alu instid0(VALU_DEP_1) | instskip(SKIP_1) | instid1(VALU_DEP_2)
	v_mbcnt_lo_u32_b32 v192, v68, 0
	v_cmp_ne_u32_e64 s17, 0, v68
	v_cmp_eq_u32_e32 vcc_lo, 0, v192
	s_delay_alu instid0(VALU_DEP_2) | instskip(NEXT) | instid1(SALU_CYCLE_1)
	s_and_b32 s18, s17, vcc_lo
	s_and_saveexec_b32 s17, s18
	s_cbranch_execz .LBB1155_447
; %bb.446:                              ;   in Loop: Header=BB1155_398 Depth=2
	s_waitcnt lgkmcnt(0)
	v_bcnt_u32_b32 v68, v68, v191
	ds_store_b32 v193, v68
.LBB1155_447:                           ;   in Loop: Header=BB1155_398 Depth=2
	s_or_b32 exec_lo, exec_lo, s17
	v_cmp_gt_i64_e32 vcc_lo, 0, v[62:63]
	v_ashrrev_i32_e32 v68, 31, v63
	; wave barrier
	s_delay_alu instid0(VALU_DEP_1) | instskip(SKIP_1) | instid1(VALU_DEP_2)
	v_not_b32_e32 v68, v68
	v_cndmask_b32_e64 v69, 0x7fffffff, 0, vcc_lo
	v_xor_b32_e32 v62, v68, v62
	s_delay_alu instid0(VALU_DEP_2) | instskip(NEXT) | instid1(VALU_DEP_1)
	v_xor_b32_e32 v63, v69, v63
	v_cmp_ne_u64_e32 vcc_lo, s[34:35], v[62:63]
	v_cndmask_b32_e32 v69, 0x7fffffff, v63, vcc_lo
	v_cndmask_b32_e32 v68, -1, v62, vcc_lo
	s_delay_alu instid0(VALU_DEP_1) | instskip(NEXT) | instid1(VALU_DEP_1)
	v_lshrrev_b64 v[68:69], s41, v[68:69]
	v_and_b32_e32 v68, s43, v68
	s_delay_alu instid0(VALU_DEP_1)
	v_and_b32_e32 v69, 1, v68
	v_lshlrev_b32_e32 v70, 30, v68
	v_lshlrev_b32_e32 v71, 29, v68
	;; [unrolled: 1-line block ×4, first 2 shown]
	v_add_co_u32 v69, s17, v69, -1
	s_delay_alu instid0(VALU_DEP_1)
	v_cndmask_b32_e64 v73, 0, 1, s17
	v_not_b32_e32 v195, v70
	v_cmp_gt_i32_e64 s17, 0, v70
	v_not_b32_e32 v70, v71
	v_lshlrev_b32_e32 v75, 26, v68
	v_cmp_ne_u32_e32 vcc_lo, 0, v73
	v_ashrrev_i32_e32 v195, 31, v195
	v_lshlrev_b32_e32 v194, 25, v68
	v_ashrrev_i32_e32 v70, 31, v70
	v_lshlrev_b32_e32 v73, 24, v68
	v_xor_b32_e32 v69, vcc_lo, v69
	v_cmp_gt_i32_e32 vcc_lo, 0, v71
	v_not_b32_e32 v71, v72
	v_xor_b32_e32 v195, s17, v195
	v_cmp_gt_i32_e64 s17, 0, v72
	v_and_b32_e32 v69, exec_lo, v69
	v_not_b32_e32 v72, v74
	v_ashrrev_i32_e32 v71, 31, v71
	v_xor_b32_e32 v70, vcc_lo, v70
	v_cmp_gt_i32_e32 vcc_lo, 0, v74
	v_and_b32_e32 v69, v69, v195
	v_not_b32_e32 v74, v75
	v_ashrrev_i32_e32 v72, 31, v72
	v_xor_b32_e32 v71, s17, v71
	v_cmp_gt_i32_e64 s17, 0, v75
	v_and_b32_e32 v69, v69, v70
	v_not_b32_e32 v70, v194
	v_ashrrev_i32_e32 v74, 31, v74
	v_xor_b32_e32 v72, vcc_lo, v72
	v_cmp_gt_i32_e32 vcc_lo, 0, v194
	v_and_b32_e32 v69, v69, v71
	v_not_b32_e32 v71, v73
	v_ashrrev_i32_e32 v70, 31, v70
	v_xor_b32_e32 v74, s17, v74
	v_mul_u32_u24_e32 v68, 9, v68
	v_and_b32_e32 v69, v69, v72
	v_cmp_gt_i32_e64 s17, 0, v73
	v_ashrrev_i32_e32 v71, 31, v71
	v_xor_b32_e32 v70, vcc_lo, v70
	v_add_lshl_u32 v72, v68, v158, 2
	v_and_b32_e32 v69, v69, v74
	s_delay_alu instid0(VALU_DEP_4) | instskip(SKIP_3) | instid1(VALU_DEP_2)
	v_xor_b32_e32 v68, s17, v71
	ds_load_b32 v194, v72 offset:1056
	v_and_b32_e32 v69, v69, v70
	v_add_nc_u32_e32 v196, 0x420, v72
	; wave barrier
	v_and_b32_e32 v68, v69, v68
	s_delay_alu instid0(VALU_DEP_1) | instskip(SKIP_1) | instid1(VALU_DEP_2)
	v_mbcnt_lo_u32_b32 v195, v68, 0
	v_cmp_ne_u32_e64 s17, 0, v68
	v_cmp_eq_u32_e32 vcc_lo, 0, v195
	s_delay_alu instid0(VALU_DEP_2) | instskip(NEXT) | instid1(SALU_CYCLE_1)
	s_and_b32 s18, s17, vcc_lo
	s_and_saveexec_b32 s17, s18
	s_cbranch_execz .LBB1155_449
; %bb.448:                              ;   in Loop: Header=BB1155_398 Depth=2
	s_waitcnt lgkmcnt(0)
	v_bcnt_u32_b32 v68, v68, v194
	ds_store_b32 v196, v68
.LBB1155_449:                           ;   in Loop: Header=BB1155_398 Depth=2
	s_or_b32 exec_lo, exec_lo, s17
	v_cmp_gt_i64_e32 vcc_lo, 0, v[66:67]
	v_ashrrev_i32_e32 v68, 31, v67
	; wave barrier
	s_delay_alu instid0(VALU_DEP_1) | instskip(SKIP_1) | instid1(VALU_DEP_2)
	v_not_b32_e32 v68, v68
	v_cndmask_b32_e64 v69, 0x7fffffff, 0, vcc_lo
	v_xor_b32_e32 v66, v68, v66
	s_delay_alu instid0(VALU_DEP_2) | instskip(NEXT) | instid1(VALU_DEP_1)
	v_xor_b32_e32 v67, v69, v67
	v_cmp_ne_u64_e32 vcc_lo, s[34:35], v[66:67]
	v_cndmask_b32_e32 v69, 0x7fffffff, v67, vcc_lo
	v_cndmask_b32_e32 v68, -1, v66, vcc_lo
	s_delay_alu instid0(VALU_DEP_1) | instskip(NEXT) | instid1(VALU_DEP_1)
	v_lshrrev_b64 v[68:69], s41, v[68:69]
	v_and_b32_e32 v68, s43, v68
	s_delay_alu instid0(VALU_DEP_1)
	v_and_b32_e32 v69, 1, v68
	v_lshlrev_b32_e32 v70, 30, v68
	v_lshlrev_b32_e32 v71, 29, v68
	;; [unrolled: 1-line block ×4, first 2 shown]
	v_add_co_u32 v69, s17, v69, -1
	s_delay_alu instid0(VALU_DEP_1)
	v_cndmask_b32_e64 v73, 0, 1, s17
	v_not_b32_e32 v198, v70
	v_cmp_gt_i32_e64 s17, 0, v70
	v_not_b32_e32 v70, v71
	v_lshlrev_b32_e32 v75, 26, v68
	v_cmp_ne_u32_e32 vcc_lo, 0, v73
	v_ashrrev_i32_e32 v198, 31, v198
	v_lshlrev_b32_e32 v197, 25, v68
	v_ashrrev_i32_e32 v70, 31, v70
	v_lshlrev_b32_e32 v73, 24, v68
	v_xor_b32_e32 v69, vcc_lo, v69
	v_cmp_gt_i32_e32 vcc_lo, 0, v71
	v_not_b32_e32 v71, v72
	v_xor_b32_e32 v198, s17, v198
	v_cmp_gt_i32_e64 s17, 0, v72
	v_and_b32_e32 v69, exec_lo, v69
	v_not_b32_e32 v72, v74
	v_ashrrev_i32_e32 v71, 31, v71
	v_xor_b32_e32 v70, vcc_lo, v70
	v_cmp_gt_i32_e32 vcc_lo, 0, v74
	v_and_b32_e32 v69, v69, v198
	v_not_b32_e32 v74, v75
	v_ashrrev_i32_e32 v72, 31, v72
	v_xor_b32_e32 v71, s17, v71
	v_cmp_gt_i32_e64 s17, 0, v75
	v_and_b32_e32 v69, v69, v70
	v_not_b32_e32 v70, v197
	v_ashrrev_i32_e32 v74, 31, v74
	v_xor_b32_e32 v72, vcc_lo, v72
	v_cmp_gt_i32_e32 vcc_lo, 0, v197
	v_and_b32_e32 v69, v69, v71
	v_not_b32_e32 v71, v73
	v_ashrrev_i32_e32 v70, 31, v70
	v_xor_b32_e32 v74, s17, v74
	v_mul_u32_u24_e32 v68, 9, v68
	v_and_b32_e32 v69, v69, v72
	v_cmp_gt_i32_e64 s17, 0, v73
	v_ashrrev_i32_e32 v71, 31, v71
	v_xor_b32_e32 v70, vcc_lo, v70
	v_add_lshl_u32 v72, v68, v158, 2
	v_and_b32_e32 v69, v69, v74
	s_delay_alu instid0(VALU_DEP_4) | instskip(SKIP_3) | instid1(VALU_DEP_2)
	v_xor_b32_e32 v68, s17, v71
	ds_load_b32 v197, v72 offset:1056
	v_and_b32_e32 v69, v69, v70
	v_add_nc_u32_e32 v199, 0x420, v72
	; wave barrier
	v_and_b32_e32 v68, v69, v68
	s_delay_alu instid0(VALU_DEP_1) | instskip(SKIP_1) | instid1(VALU_DEP_2)
	v_mbcnt_lo_u32_b32 v198, v68, 0
	v_cmp_ne_u32_e64 s17, 0, v68
	v_cmp_eq_u32_e32 vcc_lo, 0, v198
	s_delay_alu instid0(VALU_DEP_2) | instskip(NEXT) | instid1(SALU_CYCLE_1)
	s_and_b32 s18, s17, vcc_lo
	s_and_saveexec_b32 s17, s18
	s_cbranch_execz .LBB1155_451
; %bb.450:                              ;   in Loop: Header=BB1155_398 Depth=2
	s_waitcnt lgkmcnt(0)
	v_bcnt_u32_b32 v68, v68, v197
	ds_store_b32 v199, v68
.LBB1155_451:                           ;   in Loop: Header=BB1155_398 Depth=2
	s_or_b32 exec_lo, exec_lo, s17
	v_cmp_gt_i64_e32 vcc_lo, 0, v[64:65]
	v_ashrrev_i32_e32 v68, 31, v65
	; wave barrier
	s_delay_alu instid0(VALU_DEP_1) | instskip(SKIP_1) | instid1(VALU_DEP_2)
	v_not_b32_e32 v68, v68
	v_cndmask_b32_e64 v69, 0x7fffffff, 0, vcc_lo
	v_xor_b32_e32 v64, v68, v64
	s_delay_alu instid0(VALU_DEP_2) | instskip(NEXT) | instid1(VALU_DEP_1)
	v_xor_b32_e32 v65, v69, v65
	v_cmp_ne_u64_e32 vcc_lo, s[34:35], v[64:65]
	v_cndmask_b32_e32 v69, 0x7fffffff, v65, vcc_lo
	v_cndmask_b32_e32 v68, -1, v64, vcc_lo
	s_delay_alu instid0(VALU_DEP_1) | instskip(NEXT) | instid1(VALU_DEP_1)
	v_lshrrev_b64 v[68:69], s41, v[68:69]
	v_and_b32_e32 v68, s43, v68
	s_delay_alu instid0(VALU_DEP_1)
	v_and_b32_e32 v69, 1, v68
	v_lshlrev_b32_e32 v70, 30, v68
	v_lshlrev_b32_e32 v71, 29, v68
	;; [unrolled: 1-line block ×4, first 2 shown]
	v_add_co_u32 v69, s17, v69, -1
	s_delay_alu instid0(VALU_DEP_1)
	v_cndmask_b32_e64 v73, 0, 1, s17
	v_not_b32_e32 v201, v70
	v_cmp_gt_i32_e64 s17, 0, v70
	v_not_b32_e32 v70, v71
	v_lshlrev_b32_e32 v75, 26, v68
	v_cmp_ne_u32_e32 vcc_lo, 0, v73
	v_ashrrev_i32_e32 v201, 31, v201
	v_lshlrev_b32_e32 v200, 25, v68
	v_ashrrev_i32_e32 v70, 31, v70
	v_lshlrev_b32_e32 v73, 24, v68
	v_xor_b32_e32 v69, vcc_lo, v69
	v_cmp_gt_i32_e32 vcc_lo, 0, v71
	v_not_b32_e32 v71, v72
	v_xor_b32_e32 v201, s17, v201
	v_cmp_gt_i32_e64 s17, 0, v72
	v_and_b32_e32 v69, exec_lo, v69
	v_not_b32_e32 v72, v74
	v_ashrrev_i32_e32 v71, 31, v71
	v_xor_b32_e32 v70, vcc_lo, v70
	v_cmp_gt_i32_e32 vcc_lo, 0, v74
	v_and_b32_e32 v69, v69, v201
	v_not_b32_e32 v74, v75
	v_ashrrev_i32_e32 v72, 31, v72
	v_xor_b32_e32 v71, s17, v71
	v_cmp_gt_i32_e64 s17, 0, v75
	v_and_b32_e32 v69, v69, v70
	v_not_b32_e32 v70, v200
	v_ashrrev_i32_e32 v74, 31, v74
	v_xor_b32_e32 v72, vcc_lo, v72
	v_cmp_gt_i32_e32 vcc_lo, 0, v200
	v_and_b32_e32 v69, v69, v71
	v_not_b32_e32 v71, v73
	v_ashrrev_i32_e32 v70, 31, v70
	v_xor_b32_e32 v74, s17, v74
	v_mul_u32_u24_e32 v68, 9, v68
	v_and_b32_e32 v69, v69, v72
	v_cmp_gt_i32_e64 s17, 0, v73
	v_ashrrev_i32_e32 v71, 31, v71
	v_xor_b32_e32 v70, vcc_lo, v70
	v_add_lshl_u32 v72, v68, v158, 2
	v_and_b32_e32 v69, v69, v74
	s_delay_alu instid0(VALU_DEP_4) | instskip(SKIP_3) | instid1(VALU_DEP_2)
	v_xor_b32_e32 v68, s17, v71
	ds_load_b32 v200, v72 offset:1056
	v_and_b32_e32 v69, v69, v70
	v_add_nc_u32_e32 v202, 0x420, v72
	; wave barrier
	v_and_b32_e32 v68, v69, v68
	s_delay_alu instid0(VALU_DEP_1) | instskip(SKIP_1) | instid1(VALU_DEP_2)
	v_mbcnt_lo_u32_b32 v201, v68, 0
	v_cmp_ne_u32_e64 s17, 0, v68
	v_cmp_eq_u32_e32 vcc_lo, 0, v201
	s_delay_alu instid0(VALU_DEP_2) | instskip(NEXT) | instid1(SALU_CYCLE_1)
	s_and_b32 s18, s17, vcc_lo
	s_and_saveexec_b32 s17, s18
	s_cbranch_execz .LBB1155_453
; %bb.452:                              ;   in Loop: Header=BB1155_398 Depth=2
	s_waitcnt lgkmcnt(0)
	v_bcnt_u32_b32 v68, v68, v200
	ds_store_b32 v202, v68
.LBB1155_453:                           ;   in Loop: Header=BB1155_398 Depth=2
	s_or_b32 exec_lo, exec_lo, s17
	v_cmp_gt_i64_e32 vcc_lo, 0, v[60:61]
	v_ashrrev_i32_e32 v68, 31, v61
	; wave barrier
	s_delay_alu instid0(VALU_DEP_1) | instskip(SKIP_1) | instid1(VALU_DEP_2)
	v_not_b32_e32 v68, v68
	v_cndmask_b32_e64 v69, 0x7fffffff, 0, vcc_lo
	v_xor_b32_e32 v60, v68, v60
	s_delay_alu instid0(VALU_DEP_2) | instskip(NEXT) | instid1(VALU_DEP_1)
	v_xor_b32_e32 v61, v69, v61
	v_cmp_ne_u64_e32 vcc_lo, s[34:35], v[60:61]
	v_cndmask_b32_e32 v69, 0x7fffffff, v61, vcc_lo
	v_cndmask_b32_e32 v68, -1, v60, vcc_lo
	s_delay_alu instid0(VALU_DEP_1) | instskip(NEXT) | instid1(VALU_DEP_1)
	v_lshrrev_b64 v[68:69], s41, v[68:69]
	v_and_b32_e32 v68, s43, v68
	s_delay_alu instid0(VALU_DEP_1)
	v_and_b32_e32 v69, 1, v68
	v_lshlrev_b32_e32 v70, 30, v68
	v_lshlrev_b32_e32 v71, 29, v68
	;; [unrolled: 1-line block ×4, first 2 shown]
	v_add_co_u32 v69, s17, v69, -1
	s_delay_alu instid0(VALU_DEP_1)
	v_cndmask_b32_e64 v73, 0, 1, s17
	v_not_b32_e32 v204, v70
	v_cmp_gt_i32_e64 s17, 0, v70
	v_not_b32_e32 v70, v71
	v_lshlrev_b32_e32 v75, 26, v68
	v_cmp_ne_u32_e32 vcc_lo, 0, v73
	v_ashrrev_i32_e32 v204, 31, v204
	v_lshlrev_b32_e32 v203, 25, v68
	v_ashrrev_i32_e32 v70, 31, v70
	v_lshlrev_b32_e32 v73, 24, v68
	v_xor_b32_e32 v69, vcc_lo, v69
	v_cmp_gt_i32_e32 vcc_lo, 0, v71
	v_not_b32_e32 v71, v72
	v_xor_b32_e32 v204, s17, v204
	v_cmp_gt_i32_e64 s17, 0, v72
	v_and_b32_e32 v69, exec_lo, v69
	v_not_b32_e32 v72, v74
	v_ashrrev_i32_e32 v71, 31, v71
	v_xor_b32_e32 v70, vcc_lo, v70
	v_cmp_gt_i32_e32 vcc_lo, 0, v74
	v_and_b32_e32 v69, v69, v204
	v_not_b32_e32 v74, v75
	v_ashrrev_i32_e32 v72, 31, v72
	v_xor_b32_e32 v71, s17, v71
	v_cmp_gt_i32_e64 s17, 0, v75
	v_and_b32_e32 v69, v69, v70
	v_not_b32_e32 v70, v203
	v_ashrrev_i32_e32 v74, 31, v74
	v_xor_b32_e32 v72, vcc_lo, v72
	v_cmp_gt_i32_e32 vcc_lo, 0, v203
	v_and_b32_e32 v69, v69, v71
	v_not_b32_e32 v71, v73
	v_ashrrev_i32_e32 v70, 31, v70
	v_xor_b32_e32 v74, s17, v74
	v_mul_u32_u24_e32 v68, 9, v68
	v_and_b32_e32 v69, v69, v72
	v_cmp_gt_i32_e64 s17, 0, v73
	v_ashrrev_i32_e32 v71, 31, v71
	v_xor_b32_e32 v70, vcc_lo, v70
	v_add_lshl_u32 v72, v68, v158, 2
	v_and_b32_e32 v69, v69, v74
	s_delay_alu instid0(VALU_DEP_4) | instskip(SKIP_3) | instid1(VALU_DEP_2)
	v_xor_b32_e32 v68, s17, v71
	ds_load_b32 v203, v72 offset:1056
	v_and_b32_e32 v69, v69, v70
	v_add_nc_u32_e32 v205, 0x420, v72
	; wave barrier
	v_and_b32_e32 v68, v69, v68
	s_delay_alu instid0(VALU_DEP_1) | instskip(SKIP_1) | instid1(VALU_DEP_2)
	v_mbcnt_lo_u32_b32 v204, v68, 0
	v_cmp_ne_u32_e64 s17, 0, v68
	v_cmp_eq_u32_e32 vcc_lo, 0, v204
	s_delay_alu instid0(VALU_DEP_2) | instskip(NEXT) | instid1(SALU_CYCLE_1)
	s_and_b32 s18, s17, vcc_lo
	s_and_saveexec_b32 s17, s18
	s_cbranch_execz .LBB1155_455
; %bb.454:                              ;   in Loop: Header=BB1155_398 Depth=2
	s_waitcnt lgkmcnt(0)
	v_bcnt_u32_b32 v68, v68, v203
	ds_store_b32 v205, v68
.LBB1155_455:                           ;   in Loop: Header=BB1155_398 Depth=2
	s_or_b32 exec_lo, exec_lo, s17
	v_cmp_gt_i64_e32 vcc_lo, 0, v[56:57]
	v_ashrrev_i32_e32 v68, 31, v57
	; wave barrier
	s_delay_alu instid0(VALU_DEP_1) | instskip(SKIP_1) | instid1(VALU_DEP_2)
	v_not_b32_e32 v68, v68
	v_cndmask_b32_e64 v69, 0x7fffffff, 0, vcc_lo
	v_xor_b32_e32 v56, v68, v56
	s_delay_alu instid0(VALU_DEP_2) | instskip(NEXT) | instid1(VALU_DEP_1)
	v_xor_b32_e32 v57, v69, v57
	v_cmp_ne_u64_e32 vcc_lo, s[34:35], v[56:57]
	v_cndmask_b32_e32 v69, 0x7fffffff, v57, vcc_lo
	v_cndmask_b32_e32 v68, -1, v56, vcc_lo
	s_delay_alu instid0(VALU_DEP_1) | instskip(NEXT) | instid1(VALU_DEP_1)
	v_lshrrev_b64 v[68:69], s41, v[68:69]
	v_and_b32_e32 v68, s43, v68
	s_delay_alu instid0(VALU_DEP_1)
	v_and_b32_e32 v69, 1, v68
	v_lshlrev_b32_e32 v70, 30, v68
	v_lshlrev_b32_e32 v71, 29, v68
	;; [unrolled: 1-line block ×4, first 2 shown]
	v_add_co_u32 v69, s17, v69, -1
	s_delay_alu instid0(VALU_DEP_1)
	v_cndmask_b32_e64 v73, 0, 1, s17
	v_not_b32_e32 v207, v70
	v_cmp_gt_i32_e64 s17, 0, v70
	v_not_b32_e32 v70, v71
	v_lshlrev_b32_e32 v75, 26, v68
	v_cmp_ne_u32_e32 vcc_lo, 0, v73
	v_ashrrev_i32_e32 v207, 31, v207
	v_lshlrev_b32_e32 v206, 25, v68
	v_ashrrev_i32_e32 v70, 31, v70
	v_lshlrev_b32_e32 v73, 24, v68
	v_xor_b32_e32 v69, vcc_lo, v69
	v_cmp_gt_i32_e32 vcc_lo, 0, v71
	v_not_b32_e32 v71, v72
	v_xor_b32_e32 v207, s17, v207
	v_cmp_gt_i32_e64 s17, 0, v72
	v_and_b32_e32 v69, exec_lo, v69
	v_not_b32_e32 v72, v74
	v_ashrrev_i32_e32 v71, 31, v71
	v_xor_b32_e32 v70, vcc_lo, v70
	v_cmp_gt_i32_e32 vcc_lo, 0, v74
	v_and_b32_e32 v69, v69, v207
	v_not_b32_e32 v74, v75
	v_ashrrev_i32_e32 v72, 31, v72
	v_xor_b32_e32 v71, s17, v71
	v_cmp_gt_i32_e64 s17, 0, v75
	v_and_b32_e32 v69, v69, v70
	v_not_b32_e32 v70, v206
	v_ashrrev_i32_e32 v74, 31, v74
	v_xor_b32_e32 v72, vcc_lo, v72
	v_cmp_gt_i32_e32 vcc_lo, 0, v206
	v_and_b32_e32 v69, v69, v71
	v_not_b32_e32 v71, v73
	v_ashrrev_i32_e32 v70, 31, v70
	v_xor_b32_e32 v74, s17, v74
	v_mul_u32_u24_e32 v68, 9, v68
	v_and_b32_e32 v69, v69, v72
	v_cmp_gt_i32_e64 s17, 0, v73
	v_ashrrev_i32_e32 v71, 31, v71
	v_xor_b32_e32 v70, vcc_lo, v70
	v_add_lshl_u32 v72, v68, v158, 2
	v_and_b32_e32 v69, v69, v74
	s_delay_alu instid0(VALU_DEP_4) | instskip(SKIP_3) | instid1(VALU_DEP_2)
	v_xor_b32_e32 v68, s17, v71
	ds_load_b32 v206, v72 offset:1056
	v_and_b32_e32 v69, v69, v70
	v_add_nc_u32_e32 v208, 0x420, v72
	; wave barrier
	v_and_b32_e32 v68, v69, v68
	s_delay_alu instid0(VALU_DEP_1) | instskip(SKIP_1) | instid1(VALU_DEP_2)
	v_mbcnt_lo_u32_b32 v207, v68, 0
	v_cmp_ne_u32_e64 s17, 0, v68
	v_cmp_eq_u32_e32 vcc_lo, 0, v207
	s_delay_alu instid0(VALU_DEP_2) | instskip(NEXT) | instid1(SALU_CYCLE_1)
	s_and_b32 s18, s17, vcc_lo
	s_and_saveexec_b32 s17, s18
	s_cbranch_execz .LBB1155_457
; %bb.456:                              ;   in Loop: Header=BB1155_398 Depth=2
	s_waitcnt lgkmcnt(0)
	v_bcnt_u32_b32 v68, v68, v206
	ds_store_b32 v208, v68
.LBB1155_457:                           ;   in Loop: Header=BB1155_398 Depth=2
	s_or_b32 exec_lo, exec_lo, s17
	v_cmp_gt_i64_e32 vcc_lo, 0, v[52:53]
	v_ashrrev_i32_e32 v68, 31, v53
	; wave barrier
	s_delay_alu instid0(VALU_DEP_1) | instskip(SKIP_1) | instid1(VALU_DEP_2)
	v_not_b32_e32 v68, v68
	v_cndmask_b32_e64 v69, 0x7fffffff, 0, vcc_lo
	v_xor_b32_e32 v52, v68, v52
	s_delay_alu instid0(VALU_DEP_2) | instskip(NEXT) | instid1(VALU_DEP_1)
	v_xor_b32_e32 v53, v69, v53
	v_cmp_ne_u64_e32 vcc_lo, s[34:35], v[52:53]
	v_cndmask_b32_e32 v69, 0x7fffffff, v53, vcc_lo
	v_cndmask_b32_e32 v68, -1, v52, vcc_lo
	s_delay_alu instid0(VALU_DEP_1) | instskip(NEXT) | instid1(VALU_DEP_1)
	v_lshrrev_b64 v[68:69], s41, v[68:69]
	v_and_b32_e32 v68, s43, v68
	s_delay_alu instid0(VALU_DEP_1)
	v_and_b32_e32 v69, 1, v68
	v_lshlrev_b32_e32 v70, 30, v68
	v_lshlrev_b32_e32 v71, 29, v68
	;; [unrolled: 1-line block ×4, first 2 shown]
	v_add_co_u32 v69, s17, v69, -1
	s_delay_alu instid0(VALU_DEP_1)
	v_cndmask_b32_e64 v73, 0, 1, s17
	v_not_b32_e32 v210, v70
	v_cmp_gt_i32_e64 s17, 0, v70
	v_not_b32_e32 v70, v71
	v_lshlrev_b32_e32 v75, 26, v68
	v_cmp_ne_u32_e32 vcc_lo, 0, v73
	v_ashrrev_i32_e32 v210, 31, v210
	v_lshlrev_b32_e32 v209, 25, v68
	v_ashrrev_i32_e32 v70, 31, v70
	v_lshlrev_b32_e32 v73, 24, v68
	v_xor_b32_e32 v69, vcc_lo, v69
	v_cmp_gt_i32_e32 vcc_lo, 0, v71
	v_not_b32_e32 v71, v72
	v_xor_b32_e32 v210, s17, v210
	v_cmp_gt_i32_e64 s17, 0, v72
	v_and_b32_e32 v69, exec_lo, v69
	v_not_b32_e32 v72, v74
	v_ashrrev_i32_e32 v71, 31, v71
	v_xor_b32_e32 v70, vcc_lo, v70
	v_cmp_gt_i32_e32 vcc_lo, 0, v74
	v_and_b32_e32 v69, v69, v210
	v_not_b32_e32 v74, v75
	v_ashrrev_i32_e32 v72, 31, v72
	v_xor_b32_e32 v71, s17, v71
	v_cmp_gt_i32_e64 s17, 0, v75
	v_and_b32_e32 v69, v69, v70
	v_not_b32_e32 v70, v209
	v_ashrrev_i32_e32 v74, 31, v74
	v_xor_b32_e32 v72, vcc_lo, v72
	v_cmp_gt_i32_e32 vcc_lo, 0, v209
	v_and_b32_e32 v69, v69, v71
	v_not_b32_e32 v71, v73
	v_ashrrev_i32_e32 v70, 31, v70
	v_xor_b32_e32 v74, s17, v74
	v_mul_u32_u24_e32 v68, 9, v68
	v_and_b32_e32 v69, v69, v72
	v_cmp_gt_i32_e64 s17, 0, v73
	v_ashrrev_i32_e32 v71, 31, v71
	v_xor_b32_e32 v70, vcc_lo, v70
	v_add_lshl_u32 v72, v68, v158, 2
	v_and_b32_e32 v69, v69, v74
	s_delay_alu instid0(VALU_DEP_4) | instskip(SKIP_3) | instid1(VALU_DEP_2)
	v_xor_b32_e32 v68, s17, v71
	ds_load_b32 v209, v72 offset:1056
	v_and_b32_e32 v69, v69, v70
	v_add_nc_u32_e32 v211, 0x420, v72
	; wave barrier
	v_and_b32_e32 v68, v69, v68
	s_delay_alu instid0(VALU_DEP_1) | instskip(SKIP_1) | instid1(VALU_DEP_2)
	v_mbcnt_lo_u32_b32 v210, v68, 0
	v_cmp_ne_u32_e64 s17, 0, v68
	v_cmp_eq_u32_e32 vcc_lo, 0, v210
	s_delay_alu instid0(VALU_DEP_2) | instskip(NEXT) | instid1(SALU_CYCLE_1)
	s_and_b32 s18, s17, vcc_lo
	s_and_saveexec_b32 s17, s18
	s_cbranch_execz .LBB1155_459
; %bb.458:                              ;   in Loop: Header=BB1155_398 Depth=2
	s_waitcnt lgkmcnt(0)
	v_bcnt_u32_b32 v68, v68, v209
	ds_store_b32 v211, v68
.LBB1155_459:                           ;   in Loop: Header=BB1155_398 Depth=2
	s_or_b32 exec_lo, exec_lo, s17
	v_cmp_gt_i64_e32 vcc_lo, 0, v[50:51]
	v_ashrrev_i32_e32 v68, 31, v51
	; wave barrier
	s_delay_alu instid0(VALU_DEP_1) | instskip(SKIP_1) | instid1(VALU_DEP_2)
	v_not_b32_e32 v68, v68
	v_cndmask_b32_e64 v69, 0x7fffffff, 0, vcc_lo
	v_xor_b32_e32 v50, v68, v50
	s_delay_alu instid0(VALU_DEP_2) | instskip(NEXT) | instid1(VALU_DEP_1)
	v_xor_b32_e32 v51, v69, v51
	v_cmp_ne_u64_e32 vcc_lo, s[34:35], v[50:51]
	v_cndmask_b32_e32 v69, 0x7fffffff, v51, vcc_lo
	v_cndmask_b32_e32 v68, -1, v50, vcc_lo
	s_delay_alu instid0(VALU_DEP_1) | instskip(NEXT) | instid1(VALU_DEP_1)
	v_lshrrev_b64 v[68:69], s41, v[68:69]
	v_and_b32_e32 v68, s43, v68
	s_delay_alu instid0(VALU_DEP_1)
	v_and_b32_e32 v69, 1, v68
	v_lshlrev_b32_e32 v70, 30, v68
	v_lshlrev_b32_e32 v71, 29, v68
	v_lshlrev_b32_e32 v72, 28, v68
	v_lshlrev_b32_e32 v74, 27, v68
	v_add_co_u32 v69, s17, v69, -1
	s_delay_alu instid0(VALU_DEP_1)
	v_cndmask_b32_e64 v73, 0, 1, s17
	v_not_b32_e32 v213, v70
	v_cmp_gt_i32_e64 s17, 0, v70
	v_not_b32_e32 v70, v71
	v_lshlrev_b32_e32 v75, 26, v68
	v_cmp_ne_u32_e32 vcc_lo, 0, v73
	v_ashrrev_i32_e32 v213, 31, v213
	v_lshlrev_b32_e32 v212, 25, v68
	v_ashrrev_i32_e32 v70, 31, v70
	v_lshlrev_b32_e32 v73, 24, v68
	v_xor_b32_e32 v69, vcc_lo, v69
	v_cmp_gt_i32_e32 vcc_lo, 0, v71
	v_not_b32_e32 v71, v72
	v_xor_b32_e32 v213, s17, v213
	v_cmp_gt_i32_e64 s17, 0, v72
	v_and_b32_e32 v69, exec_lo, v69
	v_not_b32_e32 v72, v74
	v_ashrrev_i32_e32 v71, 31, v71
	v_xor_b32_e32 v70, vcc_lo, v70
	v_cmp_gt_i32_e32 vcc_lo, 0, v74
	v_and_b32_e32 v69, v69, v213
	v_not_b32_e32 v74, v75
	v_ashrrev_i32_e32 v72, 31, v72
	v_xor_b32_e32 v71, s17, v71
	v_cmp_gt_i32_e64 s17, 0, v75
	v_and_b32_e32 v69, v69, v70
	v_not_b32_e32 v70, v212
	v_ashrrev_i32_e32 v74, 31, v74
	v_xor_b32_e32 v72, vcc_lo, v72
	v_cmp_gt_i32_e32 vcc_lo, 0, v212
	v_and_b32_e32 v69, v69, v71
	v_not_b32_e32 v71, v73
	v_ashrrev_i32_e32 v70, 31, v70
	v_xor_b32_e32 v74, s17, v74
	v_mul_u32_u24_e32 v68, 9, v68
	v_and_b32_e32 v69, v69, v72
	v_cmp_gt_i32_e64 s17, 0, v73
	v_ashrrev_i32_e32 v71, 31, v71
	v_xor_b32_e32 v70, vcc_lo, v70
	v_add_lshl_u32 v72, v68, v158, 2
	v_and_b32_e32 v69, v69, v74
	s_delay_alu instid0(VALU_DEP_4) | instskip(SKIP_3) | instid1(VALU_DEP_2)
	v_xor_b32_e32 v68, s17, v71
	ds_load_b32 v212, v72 offset:1056
	v_and_b32_e32 v69, v69, v70
	v_add_nc_u32_e32 v214, 0x420, v72
	; wave barrier
	v_and_b32_e32 v68, v69, v68
	s_delay_alu instid0(VALU_DEP_1) | instskip(SKIP_1) | instid1(VALU_DEP_2)
	v_mbcnt_lo_u32_b32 v213, v68, 0
	v_cmp_ne_u32_e64 s17, 0, v68
	v_cmp_eq_u32_e32 vcc_lo, 0, v213
	s_delay_alu instid0(VALU_DEP_2) | instskip(NEXT) | instid1(SALU_CYCLE_1)
	s_and_b32 s18, s17, vcc_lo
	s_and_saveexec_b32 s17, s18
	s_cbranch_execz .LBB1155_461
; %bb.460:                              ;   in Loop: Header=BB1155_398 Depth=2
	s_waitcnt lgkmcnt(0)
	v_bcnt_u32_b32 v68, v68, v212
	ds_store_b32 v214, v68
.LBB1155_461:                           ;   in Loop: Header=BB1155_398 Depth=2
	s_or_b32 exec_lo, exec_lo, s17
	v_cmp_gt_i64_e32 vcc_lo, 0, v[46:47]
	v_ashrrev_i32_e32 v68, 31, v47
	; wave barrier
	s_delay_alu instid0(VALU_DEP_1) | instskip(SKIP_1) | instid1(VALU_DEP_2)
	v_not_b32_e32 v68, v68
	v_cndmask_b32_e64 v69, 0x7fffffff, 0, vcc_lo
	v_xor_b32_e32 v46, v68, v46
	s_delay_alu instid0(VALU_DEP_2) | instskip(NEXT) | instid1(VALU_DEP_1)
	v_xor_b32_e32 v47, v69, v47
	v_cmp_ne_u64_e32 vcc_lo, s[34:35], v[46:47]
	v_cndmask_b32_e32 v69, 0x7fffffff, v47, vcc_lo
	v_cndmask_b32_e32 v68, -1, v46, vcc_lo
	s_delay_alu instid0(VALU_DEP_1) | instskip(NEXT) | instid1(VALU_DEP_1)
	v_lshrrev_b64 v[68:69], s41, v[68:69]
	v_and_b32_e32 v68, s43, v68
	s_delay_alu instid0(VALU_DEP_1)
	v_and_b32_e32 v69, 1, v68
	v_lshlrev_b32_e32 v70, 30, v68
	v_lshlrev_b32_e32 v71, 29, v68
	v_lshlrev_b32_e32 v72, 28, v68
	v_lshlrev_b32_e32 v74, 27, v68
	v_add_co_u32 v69, s17, v69, -1
	s_delay_alu instid0(VALU_DEP_1)
	v_cndmask_b32_e64 v73, 0, 1, s17
	v_not_b32_e32 v216, v70
	v_cmp_gt_i32_e64 s17, 0, v70
	v_not_b32_e32 v70, v71
	v_lshlrev_b32_e32 v75, 26, v68
	v_cmp_ne_u32_e32 vcc_lo, 0, v73
	v_ashrrev_i32_e32 v216, 31, v216
	v_lshlrev_b32_e32 v215, 25, v68
	v_ashrrev_i32_e32 v70, 31, v70
	v_lshlrev_b32_e32 v73, 24, v68
	v_xor_b32_e32 v69, vcc_lo, v69
	v_cmp_gt_i32_e32 vcc_lo, 0, v71
	v_not_b32_e32 v71, v72
	v_xor_b32_e32 v216, s17, v216
	v_cmp_gt_i32_e64 s17, 0, v72
	v_and_b32_e32 v69, exec_lo, v69
	v_not_b32_e32 v72, v74
	v_ashrrev_i32_e32 v71, 31, v71
	v_xor_b32_e32 v70, vcc_lo, v70
	v_cmp_gt_i32_e32 vcc_lo, 0, v74
	v_and_b32_e32 v69, v69, v216
	v_not_b32_e32 v74, v75
	v_ashrrev_i32_e32 v72, 31, v72
	v_xor_b32_e32 v71, s17, v71
	v_cmp_gt_i32_e64 s17, 0, v75
	v_and_b32_e32 v69, v69, v70
	v_not_b32_e32 v70, v215
	v_ashrrev_i32_e32 v74, 31, v74
	v_xor_b32_e32 v72, vcc_lo, v72
	v_cmp_gt_i32_e32 vcc_lo, 0, v215
	v_and_b32_e32 v69, v69, v71
	v_not_b32_e32 v71, v73
	v_ashrrev_i32_e32 v70, 31, v70
	v_xor_b32_e32 v74, s17, v74
	v_mul_u32_u24_e32 v68, 9, v68
	v_and_b32_e32 v69, v69, v72
	v_cmp_gt_i32_e64 s17, 0, v73
	v_ashrrev_i32_e32 v71, 31, v71
	v_xor_b32_e32 v70, vcc_lo, v70
	v_add_lshl_u32 v72, v68, v158, 2
	v_and_b32_e32 v69, v69, v74
	s_delay_alu instid0(VALU_DEP_4) | instskip(SKIP_3) | instid1(VALU_DEP_2)
	v_xor_b32_e32 v68, s17, v71
	ds_load_b32 v215, v72 offset:1056
	v_and_b32_e32 v69, v69, v70
	v_add_nc_u32_e32 v217, 0x420, v72
	; wave barrier
	v_and_b32_e32 v68, v69, v68
	s_delay_alu instid0(VALU_DEP_1) | instskip(SKIP_1) | instid1(VALU_DEP_2)
	v_mbcnt_lo_u32_b32 v216, v68, 0
	v_cmp_ne_u32_e64 s17, 0, v68
	v_cmp_eq_u32_e32 vcc_lo, 0, v216
	s_delay_alu instid0(VALU_DEP_2) | instskip(NEXT) | instid1(SALU_CYCLE_1)
	s_and_b32 s18, s17, vcc_lo
	s_and_saveexec_b32 s17, s18
	s_cbranch_execz .LBB1155_463
; %bb.462:                              ;   in Loop: Header=BB1155_398 Depth=2
	s_waitcnt lgkmcnt(0)
	v_bcnt_u32_b32 v68, v68, v215
	ds_store_b32 v217, v68
.LBB1155_463:                           ;   in Loop: Header=BB1155_398 Depth=2
	s_or_b32 exec_lo, exec_lo, s17
	v_cmp_gt_i64_e32 vcc_lo, 0, v[40:41]
	v_ashrrev_i32_e32 v68, 31, v41
	; wave barrier
	s_delay_alu instid0(VALU_DEP_1) | instskip(SKIP_1) | instid1(VALU_DEP_2)
	v_not_b32_e32 v68, v68
	v_cndmask_b32_e64 v69, 0x7fffffff, 0, vcc_lo
	v_xor_b32_e32 v40, v68, v40
	s_delay_alu instid0(VALU_DEP_2) | instskip(NEXT) | instid1(VALU_DEP_1)
	v_xor_b32_e32 v41, v69, v41
	v_cmp_ne_u64_e32 vcc_lo, s[34:35], v[40:41]
	v_cndmask_b32_e32 v69, 0x7fffffff, v41, vcc_lo
	v_cndmask_b32_e32 v68, -1, v40, vcc_lo
	s_delay_alu instid0(VALU_DEP_1) | instskip(NEXT) | instid1(VALU_DEP_1)
	v_lshrrev_b64 v[68:69], s41, v[68:69]
	v_and_b32_e32 v68, s43, v68
	s_delay_alu instid0(VALU_DEP_1)
	v_and_b32_e32 v69, 1, v68
	v_lshlrev_b32_e32 v70, 30, v68
	v_lshlrev_b32_e32 v71, 29, v68
	;; [unrolled: 1-line block ×4, first 2 shown]
	v_add_co_u32 v69, s17, v69, -1
	s_delay_alu instid0(VALU_DEP_1)
	v_cndmask_b32_e64 v73, 0, 1, s17
	v_not_b32_e32 v219, v70
	v_cmp_gt_i32_e64 s17, 0, v70
	v_not_b32_e32 v70, v71
	v_lshlrev_b32_e32 v75, 26, v68
	v_cmp_ne_u32_e32 vcc_lo, 0, v73
	v_ashrrev_i32_e32 v219, 31, v219
	v_lshlrev_b32_e32 v218, 25, v68
	v_ashrrev_i32_e32 v70, 31, v70
	v_lshlrev_b32_e32 v73, 24, v68
	v_xor_b32_e32 v69, vcc_lo, v69
	v_cmp_gt_i32_e32 vcc_lo, 0, v71
	v_not_b32_e32 v71, v72
	v_xor_b32_e32 v219, s17, v219
	v_cmp_gt_i32_e64 s17, 0, v72
	v_and_b32_e32 v69, exec_lo, v69
	v_not_b32_e32 v72, v74
	v_ashrrev_i32_e32 v71, 31, v71
	v_xor_b32_e32 v70, vcc_lo, v70
	v_cmp_gt_i32_e32 vcc_lo, 0, v74
	v_and_b32_e32 v69, v69, v219
	v_not_b32_e32 v74, v75
	v_ashrrev_i32_e32 v72, 31, v72
	v_xor_b32_e32 v71, s17, v71
	v_cmp_gt_i32_e64 s17, 0, v75
	v_and_b32_e32 v69, v69, v70
	v_not_b32_e32 v70, v218
	v_ashrrev_i32_e32 v74, 31, v74
	v_xor_b32_e32 v72, vcc_lo, v72
	v_cmp_gt_i32_e32 vcc_lo, 0, v218
	v_and_b32_e32 v69, v69, v71
	v_not_b32_e32 v71, v73
	v_ashrrev_i32_e32 v70, 31, v70
	v_xor_b32_e32 v74, s17, v74
	v_mul_u32_u24_e32 v68, 9, v68
	v_and_b32_e32 v69, v69, v72
	v_cmp_gt_i32_e64 s17, 0, v73
	v_ashrrev_i32_e32 v71, 31, v71
	v_xor_b32_e32 v70, vcc_lo, v70
	v_add_lshl_u32 v72, v68, v158, 2
	v_and_b32_e32 v69, v69, v74
	s_delay_alu instid0(VALU_DEP_4) | instskip(SKIP_3) | instid1(VALU_DEP_2)
	v_xor_b32_e32 v68, s17, v71
	ds_load_b32 v218, v72 offset:1056
	v_and_b32_e32 v69, v69, v70
	v_add_nc_u32_e32 v220, 0x420, v72
	; wave barrier
	v_and_b32_e32 v68, v69, v68
	s_delay_alu instid0(VALU_DEP_1) | instskip(SKIP_1) | instid1(VALU_DEP_2)
	v_mbcnt_lo_u32_b32 v219, v68, 0
	v_cmp_ne_u32_e64 s17, 0, v68
	v_cmp_eq_u32_e32 vcc_lo, 0, v219
	s_delay_alu instid0(VALU_DEP_2) | instskip(NEXT) | instid1(SALU_CYCLE_1)
	s_and_b32 s18, s17, vcc_lo
	s_and_saveexec_b32 s17, s18
	s_cbranch_execz .LBB1155_465
; %bb.464:                              ;   in Loop: Header=BB1155_398 Depth=2
	s_waitcnt lgkmcnt(0)
	v_bcnt_u32_b32 v68, v68, v218
	ds_store_b32 v220, v68
.LBB1155_465:                           ;   in Loop: Header=BB1155_398 Depth=2
	s_or_b32 exec_lo, exec_lo, s17
	v_cmp_gt_i64_e32 vcc_lo, 0, v[42:43]
	v_ashrrev_i32_e32 v68, 31, v43
	; wave barrier
	s_delay_alu instid0(VALU_DEP_1) | instskip(SKIP_1) | instid1(VALU_DEP_2)
	v_not_b32_e32 v68, v68
	v_cndmask_b32_e64 v69, 0x7fffffff, 0, vcc_lo
	v_xor_b32_e32 v42, v68, v42
	s_delay_alu instid0(VALU_DEP_2) | instskip(NEXT) | instid1(VALU_DEP_1)
	v_xor_b32_e32 v43, v69, v43
	v_cmp_ne_u64_e32 vcc_lo, s[34:35], v[42:43]
	v_cndmask_b32_e32 v69, 0x7fffffff, v43, vcc_lo
	v_cndmask_b32_e32 v68, -1, v42, vcc_lo
	s_delay_alu instid0(VALU_DEP_1) | instskip(NEXT) | instid1(VALU_DEP_1)
	v_lshrrev_b64 v[68:69], s41, v[68:69]
	v_and_b32_e32 v68, s43, v68
	s_delay_alu instid0(VALU_DEP_1)
	v_and_b32_e32 v69, 1, v68
	v_lshlrev_b32_e32 v70, 30, v68
	v_lshlrev_b32_e32 v71, 29, v68
	;; [unrolled: 1-line block ×4, first 2 shown]
	v_add_co_u32 v69, s17, v69, -1
	s_delay_alu instid0(VALU_DEP_1)
	v_cndmask_b32_e64 v73, 0, 1, s17
	v_not_b32_e32 v222, v70
	v_cmp_gt_i32_e64 s17, 0, v70
	v_not_b32_e32 v70, v71
	v_lshlrev_b32_e32 v75, 26, v68
	v_cmp_ne_u32_e32 vcc_lo, 0, v73
	v_ashrrev_i32_e32 v222, 31, v222
	v_lshlrev_b32_e32 v221, 25, v68
	v_ashrrev_i32_e32 v70, 31, v70
	v_lshlrev_b32_e32 v73, 24, v68
	v_xor_b32_e32 v69, vcc_lo, v69
	v_cmp_gt_i32_e32 vcc_lo, 0, v71
	v_not_b32_e32 v71, v72
	v_xor_b32_e32 v222, s17, v222
	v_cmp_gt_i32_e64 s17, 0, v72
	v_and_b32_e32 v69, exec_lo, v69
	v_not_b32_e32 v72, v74
	v_ashrrev_i32_e32 v71, 31, v71
	v_xor_b32_e32 v70, vcc_lo, v70
	v_cmp_gt_i32_e32 vcc_lo, 0, v74
	v_and_b32_e32 v69, v69, v222
	v_not_b32_e32 v74, v75
	v_ashrrev_i32_e32 v72, 31, v72
	v_xor_b32_e32 v71, s17, v71
	v_cmp_gt_i32_e64 s17, 0, v75
	v_and_b32_e32 v69, v69, v70
	v_not_b32_e32 v70, v221
	v_ashrrev_i32_e32 v74, 31, v74
	v_xor_b32_e32 v72, vcc_lo, v72
	v_cmp_gt_i32_e32 vcc_lo, 0, v221
	v_and_b32_e32 v69, v69, v71
	v_not_b32_e32 v71, v73
	v_ashrrev_i32_e32 v70, 31, v70
	v_xor_b32_e32 v74, s17, v74
	v_mul_u32_u24_e32 v68, 9, v68
	v_and_b32_e32 v69, v69, v72
	v_cmp_gt_i32_e64 s17, 0, v73
	v_ashrrev_i32_e32 v71, 31, v71
	v_xor_b32_e32 v70, vcc_lo, v70
	v_add_lshl_u32 v72, v68, v158, 2
	v_and_b32_e32 v69, v69, v74
	s_delay_alu instid0(VALU_DEP_4) | instskip(SKIP_3) | instid1(VALU_DEP_2)
	v_xor_b32_e32 v68, s17, v71
	ds_load_b32 v221, v72 offset:1056
	v_and_b32_e32 v69, v69, v70
	v_add_nc_u32_e32 v223, 0x420, v72
	; wave barrier
	v_and_b32_e32 v68, v69, v68
	s_delay_alu instid0(VALU_DEP_1) | instskip(SKIP_1) | instid1(VALU_DEP_2)
	v_mbcnt_lo_u32_b32 v222, v68, 0
	v_cmp_ne_u32_e64 s17, 0, v68
	v_cmp_eq_u32_e32 vcc_lo, 0, v222
	s_delay_alu instid0(VALU_DEP_2) | instskip(NEXT) | instid1(SALU_CYCLE_1)
	s_and_b32 s18, s17, vcc_lo
	s_and_saveexec_b32 s17, s18
	s_cbranch_execz .LBB1155_467
; %bb.466:                              ;   in Loop: Header=BB1155_398 Depth=2
	s_waitcnt lgkmcnt(0)
	v_bcnt_u32_b32 v68, v68, v221
	ds_store_b32 v223, v68
.LBB1155_467:                           ;   in Loop: Header=BB1155_398 Depth=2
	s_or_b32 exec_lo, exec_lo, s17
	; wave barrier
	s_waitcnt lgkmcnt(0)
	s_barrier
	buffer_gl0_inv
	ds_load_b32 v224, v102 offset:1056
	ds_load_2addr_b32 v[74:75], v103 offset0:1 offset1:2
	ds_load_2addr_b32 v[72:73], v103 offset0:3 offset1:4
	;; [unrolled: 1-line block ×4, first 2 shown]
	s_waitcnt lgkmcnt(3)
	v_add3_u32 v225, v74, v224, v75
	s_waitcnt lgkmcnt(2)
	s_delay_alu instid0(VALU_DEP_1) | instskip(SKIP_1) | instid1(VALU_DEP_1)
	v_add3_u32 v225, v225, v72, v73
	s_waitcnt lgkmcnt(1)
	v_add3_u32 v225, v225, v68, v69
	s_waitcnt lgkmcnt(0)
	s_delay_alu instid0(VALU_DEP_1) | instskip(NEXT) | instid1(VALU_DEP_1)
	v_add3_u32 v71, v225, v70, v71
	v_mov_b32_dpp v225, v71 row_shr:1 row_mask:0xf bank_mask:0xf
	s_delay_alu instid0(VALU_DEP_1) | instskip(NEXT) | instid1(VALU_DEP_1)
	v_cndmask_b32_e64 v225, v225, 0, s1
	v_add_nc_u32_e32 v71, v225, v71
	s_delay_alu instid0(VALU_DEP_1) | instskip(NEXT) | instid1(VALU_DEP_1)
	v_mov_b32_dpp v225, v71 row_shr:2 row_mask:0xf bank_mask:0xf
	v_cndmask_b32_e64 v225, 0, v225, s7
	s_delay_alu instid0(VALU_DEP_1) | instskip(NEXT) | instid1(VALU_DEP_1)
	v_add_nc_u32_e32 v71, v71, v225
	v_mov_b32_dpp v225, v71 row_shr:4 row_mask:0xf bank_mask:0xf
	s_delay_alu instid0(VALU_DEP_1) | instskip(NEXT) | instid1(VALU_DEP_1)
	v_cndmask_b32_e64 v225, 0, v225, s8
	v_add_nc_u32_e32 v71, v71, v225
	s_delay_alu instid0(VALU_DEP_1) | instskip(NEXT) | instid1(VALU_DEP_1)
	v_mov_b32_dpp v225, v71 row_shr:8 row_mask:0xf bank_mask:0xf
	v_cndmask_b32_e64 v225, 0, v225, s9
	s_delay_alu instid0(VALU_DEP_1) | instskip(SKIP_3) | instid1(VALU_DEP_1)
	v_add_nc_u32_e32 v71, v71, v225
	ds_swizzle_b32 v225, v71 offset:swizzle(BROADCAST,32,15)
	s_waitcnt lgkmcnt(0)
	v_cndmask_b32_e64 v225, v225, 0, s10
	v_add_nc_u32_e32 v71, v71, v225
	s_and_saveexec_b32 s17, s3
	s_cbranch_execz .LBB1155_469
; %bb.468:                              ;   in Loop: Header=BB1155_398 Depth=2
	ds_store_b32 v94, v71 offset:1024
.LBB1155_469:                           ;   in Loop: Header=BB1155_398 Depth=2
	s_or_b32 exec_lo, exec_lo, s17
	s_waitcnt lgkmcnt(0)
	s_barrier
	buffer_gl0_inv
	s_and_saveexec_b32 s17, s4
	s_cbranch_execz .LBB1155_471
; %bb.470:                              ;   in Loop: Header=BB1155_398 Depth=2
	ds_load_b32 v225, v104 offset:1024
	s_waitcnt lgkmcnt(0)
	v_mov_b32_dpp v226, v225 row_shr:1 row_mask:0xf bank_mask:0xf
	s_delay_alu instid0(VALU_DEP_1) | instskip(NEXT) | instid1(VALU_DEP_1)
	v_cndmask_b32_e64 v226, v226, 0, s12
	v_add_nc_u32_e32 v225, v226, v225
	s_delay_alu instid0(VALU_DEP_1) | instskip(NEXT) | instid1(VALU_DEP_1)
	v_mov_b32_dpp v226, v225 row_shr:2 row_mask:0xf bank_mask:0xf
	v_cndmask_b32_e64 v226, 0, v226, s13
	s_delay_alu instid0(VALU_DEP_1) | instskip(NEXT) | instid1(VALU_DEP_1)
	v_add_nc_u32_e32 v225, v225, v226
	v_mov_b32_dpp v226, v225 row_shr:4 row_mask:0xf bank_mask:0xf
	s_delay_alu instid0(VALU_DEP_1) | instskip(NEXT) | instid1(VALU_DEP_1)
	v_cndmask_b32_e64 v226, 0, v226, s16
	v_add_nc_u32_e32 v225, v225, v226
	ds_store_b32 v104, v225 offset:1024
.LBB1155_471:                           ;   in Loop: Header=BB1155_398 Depth=2
	s_or_b32 exec_lo, exec_lo, s17
	v_mov_b32_e32 v225, 0
	s_waitcnt lgkmcnt(0)
	s_barrier
	buffer_gl0_inv
	s_and_saveexec_b32 s17, s5
	s_cbranch_execz .LBB1155_473
; %bb.472:                              ;   in Loop: Header=BB1155_398 Depth=2
	ds_load_b32 v225, v94 offset:1020
.LBB1155_473:                           ;   in Loop: Header=BB1155_398 Depth=2
	s_or_b32 exec_lo, exec_lo, s17
	s_waitcnt lgkmcnt(0)
	v_add_nc_u32_e32 v71, v225, v71
	ds_bpermute_b32 v71, v137, v71
	s_waitcnt lgkmcnt(0)
	v_cndmask_b32_e64 v71, v71, v225, s11
	s_delay_alu instid0(VALU_DEP_1) | instskip(NEXT) | instid1(VALU_DEP_1)
	v_cndmask_b32_e64 v71, v71, 0, s0
	v_add_nc_u32_e32 v224, v71, v224
	s_delay_alu instid0(VALU_DEP_1) | instskip(NEXT) | instid1(VALU_DEP_1)
	v_add_nc_u32_e32 v74, v224, v74
	v_add_nc_u32_e32 v75, v74, v75
	s_delay_alu instid0(VALU_DEP_1) | instskip(NEXT) | instid1(VALU_DEP_1)
	v_add_nc_u32_e32 v72, v75, v72
	;; [unrolled: 3-line block ×3, first 2 shown]
	v_add_nc_u32_e32 v69, v68, v69
	s_delay_alu instid0(VALU_DEP_1)
	v_add_nc_u32_e32 v70, v69, v70
	ds_store_b32 v102, v71 offset:1056
	ds_store_2addr_b32 v103, v224, v74 offset0:1 offset1:2
	ds_store_2addr_b32 v103, v75, v72 offset0:3 offset1:4
	ds_store_2addr_b32 v103, v73, v68 offset0:5 offset1:6
	ds_store_2addr_b32 v103, v69, v70 offset0:7 offset1:8
	v_mov_b32_e32 v68, 0x1000
	s_waitcnt lgkmcnt(0)
	s_barrier
	buffer_gl0_inv
	ds_load_b32 v70, v181
	ds_load_b32 v71, v184
	;; [unrolled: 1-line block ×16, first 2 shown]
	ds_load_b32 v178, v102 offset:1056
	s_and_saveexec_b32 s17, s6
	s_cbranch_execz .LBB1155_475
; %bb.474:                              ;   in Loop: Header=BB1155_398 Depth=2
	ds_load_b32 v68, v105 offset:1056
.LBB1155_475:                           ;   in Loop: Header=BB1155_398 Depth=2
	s_or_b32 exec_lo, exec_lo, s17
	s_waitcnt lgkmcnt(0)
	s_barrier
	buffer_gl0_inv
	s_and_saveexec_b32 s17, s2
	s_cbranch_execz .LBB1155_477
; %bb.476:                              ;   in Loop: Header=BB1155_398 Depth=2
	ds_load_b32 v202, v76
	s_waitcnt lgkmcnt(0)
	v_sub_nc_u32_e32 v178, v202, v178
	ds_store_b32 v76, v178
.LBB1155_477:                           ;   in Loop: Header=BB1155_398 Depth=2
	s_or_b32 exec_lo, exec_lo, s17
	v_add_nc_u32_e32 v179, v180, v179
	v_add_lshl_u32 v69, v69, v2, 3
	v_add_nc_u32_e32 v2, v183, v182
	v_add_nc_u32_e32 v180, v186, v185
	;; [unrolled: 1-line block ×8, first 2 shown]
	v_add_lshl_u32 v70, v179, v70, 3
	v_add_lshl_u32 v71, v2, v71, 3
	v_add_nc_u32_e32 v200, v201, v200
	v_add_lshl_u32 v72, v180, v72, 3
	v_add_nc_u32_e32 v203, v204, v203
	;; [unrolled: 2-line block ×3, first 2 shown]
	v_add_nc_u32_e32 v202, v219, v218
	v_add_nc_u32_e32 v205, v216, v215
	;; [unrolled: 1-line block ×3, first 2 shown]
	ds_store_b64 v69, v[36:37] offset:1024
	ds_store_b64 v70, v[38:39] offset:1024
	v_add_lshl_u32 v38, v191, v225, 3
	ds_store_b64 v71, v[44:45] offset:1024
	ds_store_b64 v72, v[48:49] offset:1024
	;; [unrolled: 1-line block ×3, first 2 shown]
	v_add_lshl_u32 v39, v194, v224, 3
	v_add_lshl_u32 v44, v197, v199, 3
	;; [unrolled: 1-line block ×6, first 2 shown]
	ds_store_b64 v38, v[58:59] offset:1024
	ds_store_b64 v39, v[62:63] offset:1024
	;; [unrolled: 1-line block ×6, first 2 shown]
	v_add_lshl_u32 v55, v208, v184, 3
	v_add_lshl_u32 v56, v205, v181, 3
	;; [unrolled: 1-line block ×3, first 2 shown]
	ds_store_b64 v54, v[52:53] offset:1024
	v_add_lshl_u32 v52, v178, v74, 3
	v_cmp_lt_u32_e32 vcc_lo, v1, v177
	ds_store_b64 v55, v[50:51] offset:1024
	ds_store_b64 v56, v[46:47] offset:1024
	;; [unrolled: 1-line block ×4, first 2 shown]
	s_waitcnt lgkmcnt(0)
	s_barrier
	buffer_gl0_inv
	s_and_saveexec_b32 s18, vcc_lo
	s_cbranch_execz .LBB1155_493
; %bb.478:                              ;   in Loop: Header=BB1155_398 Depth=2
	v_add_nc_u32_e32 v2, v104, v76
	ds_load_b64 v[36:37], v2 offset:1024
	s_waitcnt lgkmcnt(0)
	v_cmp_ne_u64_e64 s17, s[34:35], v[36:37]
	s_delay_alu instid0(VALU_DEP_1) | instskip(SKIP_2) | instid1(VALU_DEP_2)
	v_cndmask_b32_e64 v41, 0x7fffffff, v37, s17
	v_cndmask_b32_e64 v40, -1, v36, s17
	v_cmp_gt_i64_e64 s17, 0, v[36:37]
	v_lshrrev_b64 v[40:41], s41, v[40:41]
	s_delay_alu instid0(VALU_DEP_2) | instskip(NEXT) | instid1(VALU_DEP_2)
	v_cndmask_b32_e64 v42, 0x7fffffff, 0, s17
	v_and_b32_e32 v2, s43, v40
	v_ashrrev_i32_e32 v40, 31, v37
	s_delay_alu instid0(VALU_DEP_3) | instskip(NEXT) | instid1(VALU_DEP_3)
	v_xor_b32_e32 v37, v42, v37
	v_lshlrev_b32_e32 v2, 2, v2
	s_delay_alu instid0(VALU_DEP_3) | instskip(SKIP_4) | instid1(VALU_DEP_1)
	v_not_b32_e32 v43, v40
	ds_load_b32 v2, v2
	v_xor_b32_e32 v36, v43, v36
	s_waitcnt lgkmcnt(0)
	v_add_nc_u32_e32 v2, v2, v1
	v_lshlrev_b64 v[40:41], 3, v[2:3]
	s_delay_alu instid0(VALU_DEP_1) | instskip(NEXT) | instid1(VALU_DEP_1)
	v_add_co_u32 v40, s17, s48, v40
	v_add_co_ci_u32_e64 v41, s17, s49, v41, s17
	global_store_b64 v[40:41], v[36:37], off
	s_or_b32 exec_lo, exec_lo, s18
	v_cmp_lt_u32_e64 s17, v77, v177
	s_delay_alu instid0(VALU_DEP_1)
	s_and_saveexec_b32 s19, s17
	s_cbranch_execnz .LBB1155_494
.LBB1155_479:                           ;   in Loop: Header=BB1155_398 Depth=2
	s_or_b32 exec_lo, exec_lo, s19
	v_cmp_lt_u32_e64 s18, v78, v177
	s_delay_alu instid0(VALU_DEP_1)
	s_and_saveexec_b32 s20, s18
	s_cbranch_execz .LBB1155_495
.LBB1155_480:                           ;   in Loop: Header=BB1155_398 Depth=2
	ds_load_b64 v[36:37], v110 offset:4096
	s_waitcnt lgkmcnt(0)
	v_cmp_ne_u64_e64 s19, s[34:35], v[36:37]
	s_delay_alu instid0(VALU_DEP_1) | instskip(SKIP_2) | instid1(VALU_DEP_2)
	v_cndmask_b32_e64 v41, 0x7fffffff, v37, s19
	v_cndmask_b32_e64 v40, -1, v36, s19
	v_cmp_gt_i64_e64 s19, 0, v[36:37]
	v_lshrrev_b64 v[40:41], s41, v[40:41]
	s_delay_alu instid0(VALU_DEP_2) | instskip(NEXT) | instid1(VALU_DEP_2)
	v_cndmask_b32_e64 v42, 0x7fffffff, 0, s19
	v_and_b32_e32 v2, s43, v40
	v_ashrrev_i32_e32 v40, 31, v37
	s_delay_alu instid0(VALU_DEP_3) | instskip(NEXT) | instid1(VALU_DEP_3)
	v_xor_b32_e32 v37, v42, v37
	v_lshlrev_b32_e32 v2, 2, v2
	s_delay_alu instid0(VALU_DEP_3) | instskip(SKIP_4) | instid1(VALU_DEP_1)
	v_not_b32_e32 v43, v40
	ds_load_b32 v2, v2
	v_xor_b32_e32 v36, v43, v36
	s_waitcnt lgkmcnt(0)
	v_add_nc_u32_e32 v2, v2, v78
	v_lshlrev_b64 v[40:41], 3, v[2:3]
	s_delay_alu instid0(VALU_DEP_1) | instskip(NEXT) | instid1(VALU_DEP_1)
	v_add_co_u32 v40, s19, s48, v40
	v_add_co_ci_u32_e64 v41, s19, s49, v41, s19
	global_store_b64 v[40:41], v[36:37], off
	s_or_b32 exec_lo, exec_lo, s20
	v_cmp_lt_u32_e64 s19, v79, v177
	s_delay_alu instid0(VALU_DEP_1)
	s_and_saveexec_b32 s21, s19
	s_cbranch_execnz .LBB1155_496
.LBB1155_481:                           ;   in Loop: Header=BB1155_398 Depth=2
	s_or_b32 exec_lo, exec_lo, s21
	v_cmp_lt_u32_e64 s20, v83, v177
	s_delay_alu instid0(VALU_DEP_1)
	s_and_saveexec_b32 s22, s20
	s_cbranch_execz .LBB1155_497
.LBB1155_482:                           ;   in Loop: Header=BB1155_398 Depth=2
	ds_load_b64 v[36:37], v110 offset:8192
	s_waitcnt lgkmcnt(0)
	v_cmp_ne_u64_e64 s21, s[34:35], v[36:37]
	s_delay_alu instid0(VALU_DEP_1) | instskip(SKIP_2) | instid1(VALU_DEP_2)
	v_cndmask_b32_e64 v41, 0x7fffffff, v37, s21
	v_cndmask_b32_e64 v40, -1, v36, s21
	v_cmp_gt_i64_e64 s21, 0, v[36:37]
	v_lshrrev_b64 v[40:41], s41, v[40:41]
	s_delay_alu instid0(VALU_DEP_2) | instskip(NEXT) | instid1(VALU_DEP_2)
	v_cndmask_b32_e64 v42, 0x7fffffff, 0, s21
	v_and_b32_e32 v2, s43, v40
	v_ashrrev_i32_e32 v40, 31, v37
	s_delay_alu instid0(VALU_DEP_3) | instskip(NEXT) | instid1(VALU_DEP_3)
	v_xor_b32_e32 v37, v42, v37
	v_lshlrev_b32_e32 v2, 2, v2
	s_delay_alu instid0(VALU_DEP_3) | instskip(SKIP_4) | instid1(VALU_DEP_1)
	v_not_b32_e32 v43, v40
	ds_load_b32 v2, v2
	v_xor_b32_e32 v36, v43, v36
	s_waitcnt lgkmcnt(0)
	v_add_nc_u32_e32 v2, v2, v83
	v_lshlrev_b64 v[40:41], 3, v[2:3]
	s_delay_alu instid0(VALU_DEP_1) | instskip(NEXT) | instid1(VALU_DEP_1)
	v_add_co_u32 v40, s21, s48, v40
	v_add_co_ci_u32_e64 v41, s21, s49, v41, s21
	global_store_b64 v[40:41], v[36:37], off
	s_or_b32 exec_lo, exec_lo, s22
	v_cmp_lt_u32_e64 s21, v84, v177
	s_delay_alu instid0(VALU_DEP_1)
	s_and_saveexec_b32 s23, s21
	s_cbranch_execnz .LBB1155_498
.LBB1155_483:                           ;   in Loop: Header=BB1155_398 Depth=2
	s_or_b32 exec_lo, exec_lo, s23
	v_cmp_lt_u32_e64 s22, v85, v177
	s_delay_alu instid0(VALU_DEP_1)
	s_and_saveexec_b32 s24, s22
	s_cbranch_execz .LBB1155_499
.LBB1155_484:                           ;   in Loop: Header=BB1155_398 Depth=2
	ds_load_b64 v[36:37], v110 offset:12288
	s_waitcnt lgkmcnt(0)
	v_cmp_ne_u64_e64 s23, s[34:35], v[36:37]
	s_delay_alu instid0(VALU_DEP_1) | instskip(SKIP_2) | instid1(VALU_DEP_2)
	v_cndmask_b32_e64 v41, 0x7fffffff, v37, s23
	v_cndmask_b32_e64 v40, -1, v36, s23
	v_cmp_gt_i64_e64 s23, 0, v[36:37]
	v_lshrrev_b64 v[40:41], s41, v[40:41]
	s_delay_alu instid0(VALU_DEP_2) | instskip(NEXT) | instid1(VALU_DEP_2)
	v_cndmask_b32_e64 v42, 0x7fffffff, 0, s23
	v_and_b32_e32 v2, s43, v40
	v_ashrrev_i32_e32 v40, 31, v37
	s_delay_alu instid0(VALU_DEP_3) | instskip(NEXT) | instid1(VALU_DEP_3)
	v_xor_b32_e32 v37, v42, v37
	v_lshlrev_b32_e32 v2, 2, v2
	s_delay_alu instid0(VALU_DEP_3) | instskip(SKIP_4) | instid1(VALU_DEP_1)
	v_not_b32_e32 v43, v40
	ds_load_b32 v2, v2
	v_xor_b32_e32 v36, v43, v36
	s_waitcnt lgkmcnt(0)
	v_add_nc_u32_e32 v2, v2, v85
	v_lshlrev_b64 v[40:41], 3, v[2:3]
	s_delay_alu instid0(VALU_DEP_1) | instskip(NEXT) | instid1(VALU_DEP_1)
	v_add_co_u32 v40, s23, s48, v40
	v_add_co_ci_u32_e64 v41, s23, s49, v41, s23
	global_store_b64 v[40:41], v[36:37], off
	s_or_b32 exec_lo, exec_lo, s24
	v_cmp_lt_u32_e64 s23, v86, v177
	s_delay_alu instid0(VALU_DEP_1)
	s_and_saveexec_b32 s25, s23
	s_cbranch_execnz .LBB1155_500
.LBB1155_485:                           ;   in Loop: Header=BB1155_398 Depth=2
	s_or_b32 exec_lo, exec_lo, s25
	v_cmp_lt_u32_e64 s24, v87, v177
	s_delay_alu instid0(VALU_DEP_1)
	s_and_saveexec_b32 s26, s24
	s_cbranch_execz .LBB1155_501
.LBB1155_486:                           ;   in Loop: Header=BB1155_398 Depth=2
	ds_load_b64 v[36:37], v110 offset:16384
	s_waitcnt lgkmcnt(0)
	v_cmp_ne_u64_e64 s25, s[34:35], v[36:37]
	s_delay_alu instid0(VALU_DEP_1) | instskip(SKIP_2) | instid1(VALU_DEP_2)
	v_cndmask_b32_e64 v41, 0x7fffffff, v37, s25
	v_cndmask_b32_e64 v40, -1, v36, s25
	v_cmp_gt_i64_e64 s25, 0, v[36:37]
	v_lshrrev_b64 v[40:41], s41, v[40:41]
	s_delay_alu instid0(VALU_DEP_2) | instskip(NEXT) | instid1(VALU_DEP_2)
	v_cndmask_b32_e64 v42, 0x7fffffff, 0, s25
	v_and_b32_e32 v2, s43, v40
	v_ashrrev_i32_e32 v40, 31, v37
	s_delay_alu instid0(VALU_DEP_3) | instskip(NEXT) | instid1(VALU_DEP_3)
	v_xor_b32_e32 v37, v42, v37
	v_lshlrev_b32_e32 v2, 2, v2
	s_delay_alu instid0(VALU_DEP_3) | instskip(SKIP_4) | instid1(VALU_DEP_1)
	v_not_b32_e32 v43, v40
	ds_load_b32 v2, v2
	v_xor_b32_e32 v36, v43, v36
	s_waitcnt lgkmcnt(0)
	v_add_nc_u32_e32 v2, v2, v87
	v_lshlrev_b64 v[40:41], 3, v[2:3]
	s_delay_alu instid0(VALU_DEP_1) | instskip(NEXT) | instid1(VALU_DEP_1)
	v_add_co_u32 v40, s25, s48, v40
	v_add_co_ci_u32_e64 v41, s25, s49, v41, s25
	global_store_b64 v[40:41], v[36:37], off
	s_or_b32 exec_lo, exec_lo, s26
	v_cmp_lt_u32_e64 s25, v88, v177
	s_delay_alu instid0(VALU_DEP_1)
	s_and_saveexec_b32 s27, s25
	s_cbranch_execnz .LBB1155_502
.LBB1155_487:                           ;   in Loop: Header=BB1155_398 Depth=2
	s_or_b32 exec_lo, exec_lo, s27
	v_cmp_lt_u32_e64 s26, v89, v177
	s_delay_alu instid0(VALU_DEP_1)
	s_and_saveexec_b32 s28, s26
	s_cbranch_execz .LBB1155_503
.LBB1155_488:                           ;   in Loop: Header=BB1155_398 Depth=2
	ds_load_b64 v[36:37], v110 offset:20480
	s_waitcnt lgkmcnt(0)
	v_cmp_ne_u64_e64 s27, s[34:35], v[36:37]
	s_delay_alu instid0(VALU_DEP_1) | instskip(SKIP_2) | instid1(VALU_DEP_2)
	v_cndmask_b32_e64 v41, 0x7fffffff, v37, s27
	v_cndmask_b32_e64 v40, -1, v36, s27
	v_cmp_gt_i64_e64 s27, 0, v[36:37]
	v_lshrrev_b64 v[40:41], s41, v[40:41]
	s_delay_alu instid0(VALU_DEP_2) | instskip(NEXT) | instid1(VALU_DEP_2)
	v_cndmask_b32_e64 v42, 0x7fffffff, 0, s27
	v_and_b32_e32 v2, s43, v40
	v_ashrrev_i32_e32 v40, 31, v37
	s_delay_alu instid0(VALU_DEP_3) | instskip(NEXT) | instid1(VALU_DEP_3)
	v_xor_b32_e32 v37, v42, v37
	v_lshlrev_b32_e32 v2, 2, v2
	s_delay_alu instid0(VALU_DEP_3) | instskip(SKIP_4) | instid1(VALU_DEP_1)
	v_not_b32_e32 v43, v40
	ds_load_b32 v2, v2
	v_xor_b32_e32 v36, v43, v36
	s_waitcnt lgkmcnt(0)
	v_add_nc_u32_e32 v2, v2, v89
	v_lshlrev_b64 v[40:41], 3, v[2:3]
	s_delay_alu instid0(VALU_DEP_1) | instskip(NEXT) | instid1(VALU_DEP_1)
	v_add_co_u32 v40, s27, s48, v40
	v_add_co_ci_u32_e64 v41, s27, s49, v41, s27
	global_store_b64 v[40:41], v[36:37], off
	s_or_b32 exec_lo, exec_lo, s28
	v_cmp_lt_u32_e64 s27, v90, v177
	s_delay_alu instid0(VALU_DEP_1)
	s_and_saveexec_b32 s29, s27
	s_cbranch_execnz .LBB1155_504
.LBB1155_489:                           ;   in Loop: Header=BB1155_398 Depth=2
	s_or_b32 exec_lo, exec_lo, s29
	v_cmp_lt_u32_e64 s28, v91, v177
	s_delay_alu instid0(VALU_DEP_1)
	s_and_saveexec_b32 s30, s28
	s_cbranch_execz .LBB1155_505
.LBB1155_490:                           ;   in Loop: Header=BB1155_398 Depth=2
	ds_load_b64 v[36:37], v110 offset:24576
	s_waitcnt lgkmcnt(0)
	v_cmp_ne_u64_e64 s29, s[34:35], v[36:37]
	s_delay_alu instid0(VALU_DEP_1) | instskip(SKIP_2) | instid1(VALU_DEP_2)
	v_cndmask_b32_e64 v41, 0x7fffffff, v37, s29
	v_cndmask_b32_e64 v40, -1, v36, s29
	v_cmp_gt_i64_e64 s29, 0, v[36:37]
	v_lshrrev_b64 v[40:41], s41, v[40:41]
	s_delay_alu instid0(VALU_DEP_2) | instskip(NEXT) | instid1(VALU_DEP_2)
	v_cndmask_b32_e64 v42, 0x7fffffff, 0, s29
	v_and_b32_e32 v2, s43, v40
	v_ashrrev_i32_e32 v40, 31, v37
	s_delay_alu instid0(VALU_DEP_3) | instskip(NEXT) | instid1(VALU_DEP_3)
	v_xor_b32_e32 v37, v42, v37
	v_lshlrev_b32_e32 v2, 2, v2
	s_delay_alu instid0(VALU_DEP_3) | instskip(SKIP_4) | instid1(VALU_DEP_1)
	v_not_b32_e32 v43, v40
	ds_load_b32 v2, v2
	v_xor_b32_e32 v36, v43, v36
	s_waitcnt lgkmcnt(0)
	v_add_nc_u32_e32 v2, v2, v91
	v_lshlrev_b64 v[40:41], 3, v[2:3]
	s_delay_alu instid0(VALU_DEP_1) | instskip(NEXT) | instid1(VALU_DEP_1)
	v_add_co_u32 v40, s29, s48, v40
	v_add_co_ci_u32_e64 v41, s29, s49, v41, s29
	global_store_b64 v[40:41], v[36:37], off
	s_or_b32 exec_lo, exec_lo, s30
	v_cmp_lt_u32_e64 s29, v92, v177
	s_delay_alu instid0(VALU_DEP_1)
	s_and_saveexec_b32 s31, s29
	s_cbranch_execnz .LBB1155_506
.LBB1155_491:                           ;   in Loop: Header=BB1155_398 Depth=2
	s_or_b32 exec_lo, exec_lo, s31
	v_cmp_lt_u32_e64 s30, v93, v177
	s_delay_alu instid0(VALU_DEP_1)
	s_and_saveexec_b32 s33, s30
	s_cbranch_execz .LBB1155_507
.LBB1155_492:                           ;   in Loop: Header=BB1155_398 Depth=2
	ds_load_b64 v[36:37], v110 offset:28672
	s_waitcnt lgkmcnt(0)
	v_cmp_ne_u64_e64 s31, s[34:35], v[36:37]
	s_delay_alu instid0(VALU_DEP_1) | instskip(SKIP_2) | instid1(VALU_DEP_2)
	v_cndmask_b32_e64 v41, 0x7fffffff, v37, s31
	v_cndmask_b32_e64 v40, -1, v36, s31
	v_cmp_gt_i64_e64 s31, 0, v[36:37]
	v_lshrrev_b64 v[40:41], s41, v[40:41]
	s_delay_alu instid0(VALU_DEP_2) | instskip(NEXT) | instid1(VALU_DEP_2)
	v_cndmask_b32_e64 v42, 0x7fffffff, 0, s31
	v_and_b32_e32 v2, s43, v40
	v_ashrrev_i32_e32 v40, 31, v37
	s_delay_alu instid0(VALU_DEP_3) | instskip(NEXT) | instid1(VALU_DEP_3)
	v_xor_b32_e32 v37, v42, v37
	v_lshlrev_b32_e32 v2, 2, v2
	s_delay_alu instid0(VALU_DEP_3) | instskip(SKIP_4) | instid1(VALU_DEP_1)
	v_not_b32_e32 v43, v40
	ds_load_b32 v2, v2
	v_xor_b32_e32 v36, v43, v36
	s_waitcnt lgkmcnt(0)
	v_add_nc_u32_e32 v2, v2, v93
	v_lshlrev_b64 v[40:41], 3, v[2:3]
	s_delay_alu instid0(VALU_DEP_1) | instskip(NEXT) | instid1(VALU_DEP_1)
	v_add_co_u32 v40, s31, s48, v40
	v_add_co_ci_u32_e64 v41, s31, s49, v41, s31
	global_store_b64 v[40:41], v[36:37], off
	s_or_b32 exec_lo, exec_lo, s33
	v_cmp_lt_u32_e64 s31, v95, v177
	s_delay_alu instid0(VALU_DEP_1)
	s_and_saveexec_b32 s39, s31
	s_cbranch_execnz .LBB1155_508
	s_branch .LBB1155_509
.LBB1155_493:                           ;   in Loop: Header=BB1155_398 Depth=2
	s_or_b32 exec_lo, exec_lo, s18
	v_cmp_lt_u32_e64 s17, v77, v177
	s_delay_alu instid0(VALU_DEP_1)
	s_and_saveexec_b32 s19, s17
	s_cbranch_execz .LBB1155_479
.LBB1155_494:                           ;   in Loop: Header=BB1155_398 Depth=2
	ds_load_b64 v[36:37], v110 offset:2048
	s_waitcnt lgkmcnt(0)
	v_cmp_ne_u64_e64 s18, s[34:35], v[36:37]
	s_delay_alu instid0(VALU_DEP_1) | instskip(SKIP_2) | instid1(VALU_DEP_2)
	v_cndmask_b32_e64 v41, 0x7fffffff, v37, s18
	v_cndmask_b32_e64 v40, -1, v36, s18
	v_cmp_gt_i64_e64 s18, 0, v[36:37]
	v_lshrrev_b64 v[40:41], s41, v[40:41]
	s_delay_alu instid0(VALU_DEP_2) | instskip(NEXT) | instid1(VALU_DEP_2)
	v_cndmask_b32_e64 v42, 0x7fffffff, 0, s18
	v_and_b32_e32 v2, s43, v40
	v_ashrrev_i32_e32 v40, 31, v37
	s_delay_alu instid0(VALU_DEP_3) | instskip(NEXT) | instid1(VALU_DEP_3)
	v_xor_b32_e32 v37, v42, v37
	v_lshlrev_b32_e32 v2, 2, v2
	s_delay_alu instid0(VALU_DEP_3) | instskip(SKIP_4) | instid1(VALU_DEP_1)
	v_not_b32_e32 v43, v40
	ds_load_b32 v2, v2
	v_xor_b32_e32 v36, v43, v36
	s_waitcnt lgkmcnt(0)
	v_add_nc_u32_e32 v2, v2, v77
	v_lshlrev_b64 v[40:41], 3, v[2:3]
	s_delay_alu instid0(VALU_DEP_1) | instskip(NEXT) | instid1(VALU_DEP_1)
	v_add_co_u32 v40, s18, s48, v40
	v_add_co_ci_u32_e64 v41, s18, s49, v41, s18
	global_store_b64 v[40:41], v[36:37], off
	s_or_b32 exec_lo, exec_lo, s19
	v_cmp_lt_u32_e64 s18, v78, v177
	s_delay_alu instid0(VALU_DEP_1)
	s_and_saveexec_b32 s20, s18
	s_cbranch_execnz .LBB1155_480
.LBB1155_495:                           ;   in Loop: Header=BB1155_398 Depth=2
	s_or_b32 exec_lo, exec_lo, s20
	v_cmp_lt_u32_e64 s19, v79, v177
	s_delay_alu instid0(VALU_DEP_1)
	s_and_saveexec_b32 s21, s19
	s_cbranch_execz .LBB1155_481
.LBB1155_496:                           ;   in Loop: Header=BB1155_398 Depth=2
	ds_load_b64 v[36:37], v110 offset:6144
	s_waitcnt lgkmcnt(0)
	v_cmp_ne_u64_e64 s20, s[34:35], v[36:37]
	s_delay_alu instid0(VALU_DEP_1) | instskip(SKIP_2) | instid1(VALU_DEP_2)
	v_cndmask_b32_e64 v41, 0x7fffffff, v37, s20
	v_cndmask_b32_e64 v40, -1, v36, s20
	v_cmp_gt_i64_e64 s20, 0, v[36:37]
	v_lshrrev_b64 v[40:41], s41, v[40:41]
	s_delay_alu instid0(VALU_DEP_2) | instskip(NEXT) | instid1(VALU_DEP_2)
	v_cndmask_b32_e64 v42, 0x7fffffff, 0, s20
	v_and_b32_e32 v2, s43, v40
	v_ashrrev_i32_e32 v40, 31, v37
	s_delay_alu instid0(VALU_DEP_3) | instskip(NEXT) | instid1(VALU_DEP_3)
	v_xor_b32_e32 v37, v42, v37
	v_lshlrev_b32_e32 v2, 2, v2
	s_delay_alu instid0(VALU_DEP_3) | instskip(SKIP_4) | instid1(VALU_DEP_1)
	v_not_b32_e32 v43, v40
	ds_load_b32 v2, v2
	v_xor_b32_e32 v36, v43, v36
	s_waitcnt lgkmcnt(0)
	v_add_nc_u32_e32 v2, v2, v79
	v_lshlrev_b64 v[40:41], 3, v[2:3]
	s_delay_alu instid0(VALU_DEP_1) | instskip(NEXT) | instid1(VALU_DEP_1)
	v_add_co_u32 v40, s20, s48, v40
	v_add_co_ci_u32_e64 v41, s20, s49, v41, s20
	global_store_b64 v[40:41], v[36:37], off
	s_or_b32 exec_lo, exec_lo, s21
	v_cmp_lt_u32_e64 s20, v83, v177
	s_delay_alu instid0(VALU_DEP_1)
	s_and_saveexec_b32 s22, s20
	s_cbranch_execnz .LBB1155_482
.LBB1155_497:                           ;   in Loop: Header=BB1155_398 Depth=2
	s_or_b32 exec_lo, exec_lo, s22
	v_cmp_lt_u32_e64 s21, v84, v177
	s_delay_alu instid0(VALU_DEP_1)
	s_and_saveexec_b32 s23, s21
	s_cbranch_execz .LBB1155_483
.LBB1155_498:                           ;   in Loop: Header=BB1155_398 Depth=2
	ds_load_b64 v[36:37], v110 offset:10240
	s_waitcnt lgkmcnt(0)
	v_cmp_ne_u64_e64 s22, s[34:35], v[36:37]
	s_delay_alu instid0(VALU_DEP_1) | instskip(SKIP_2) | instid1(VALU_DEP_2)
	v_cndmask_b32_e64 v41, 0x7fffffff, v37, s22
	v_cndmask_b32_e64 v40, -1, v36, s22
	v_cmp_gt_i64_e64 s22, 0, v[36:37]
	v_lshrrev_b64 v[40:41], s41, v[40:41]
	s_delay_alu instid0(VALU_DEP_2) | instskip(NEXT) | instid1(VALU_DEP_2)
	v_cndmask_b32_e64 v42, 0x7fffffff, 0, s22
	v_and_b32_e32 v2, s43, v40
	v_ashrrev_i32_e32 v40, 31, v37
	s_delay_alu instid0(VALU_DEP_3) | instskip(NEXT) | instid1(VALU_DEP_3)
	v_xor_b32_e32 v37, v42, v37
	v_lshlrev_b32_e32 v2, 2, v2
	s_delay_alu instid0(VALU_DEP_3) | instskip(SKIP_4) | instid1(VALU_DEP_1)
	v_not_b32_e32 v43, v40
	ds_load_b32 v2, v2
	v_xor_b32_e32 v36, v43, v36
	s_waitcnt lgkmcnt(0)
	v_add_nc_u32_e32 v2, v2, v84
	v_lshlrev_b64 v[40:41], 3, v[2:3]
	s_delay_alu instid0(VALU_DEP_1) | instskip(NEXT) | instid1(VALU_DEP_1)
	v_add_co_u32 v40, s22, s48, v40
	v_add_co_ci_u32_e64 v41, s22, s49, v41, s22
	global_store_b64 v[40:41], v[36:37], off
	s_or_b32 exec_lo, exec_lo, s23
	v_cmp_lt_u32_e64 s22, v85, v177
	s_delay_alu instid0(VALU_DEP_1)
	s_and_saveexec_b32 s24, s22
	s_cbranch_execnz .LBB1155_484
.LBB1155_499:                           ;   in Loop: Header=BB1155_398 Depth=2
	s_or_b32 exec_lo, exec_lo, s24
	v_cmp_lt_u32_e64 s23, v86, v177
	s_delay_alu instid0(VALU_DEP_1)
	s_and_saveexec_b32 s25, s23
	s_cbranch_execz .LBB1155_485
.LBB1155_500:                           ;   in Loop: Header=BB1155_398 Depth=2
	ds_load_b64 v[36:37], v110 offset:14336
	s_waitcnt lgkmcnt(0)
	v_cmp_ne_u64_e64 s24, s[34:35], v[36:37]
	s_delay_alu instid0(VALU_DEP_1) | instskip(SKIP_2) | instid1(VALU_DEP_2)
	v_cndmask_b32_e64 v41, 0x7fffffff, v37, s24
	v_cndmask_b32_e64 v40, -1, v36, s24
	v_cmp_gt_i64_e64 s24, 0, v[36:37]
	v_lshrrev_b64 v[40:41], s41, v[40:41]
	s_delay_alu instid0(VALU_DEP_2) | instskip(NEXT) | instid1(VALU_DEP_2)
	v_cndmask_b32_e64 v42, 0x7fffffff, 0, s24
	v_and_b32_e32 v2, s43, v40
	v_ashrrev_i32_e32 v40, 31, v37
	s_delay_alu instid0(VALU_DEP_3) | instskip(NEXT) | instid1(VALU_DEP_3)
	v_xor_b32_e32 v37, v42, v37
	v_lshlrev_b32_e32 v2, 2, v2
	s_delay_alu instid0(VALU_DEP_3) | instskip(SKIP_4) | instid1(VALU_DEP_1)
	v_not_b32_e32 v43, v40
	ds_load_b32 v2, v2
	v_xor_b32_e32 v36, v43, v36
	s_waitcnt lgkmcnt(0)
	v_add_nc_u32_e32 v2, v2, v86
	v_lshlrev_b64 v[40:41], 3, v[2:3]
	s_delay_alu instid0(VALU_DEP_1) | instskip(NEXT) | instid1(VALU_DEP_1)
	v_add_co_u32 v40, s24, s48, v40
	v_add_co_ci_u32_e64 v41, s24, s49, v41, s24
	global_store_b64 v[40:41], v[36:37], off
	s_or_b32 exec_lo, exec_lo, s25
	v_cmp_lt_u32_e64 s24, v87, v177
	s_delay_alu instid0(VALU_DEP_1)
	s_and_saveexec_b32 s26, s24
	s_cbranch_execnz .LBB1155_486
.LBB1155_501:                           ;   in Loop: Header=BB1155_398 Depth=2
	s_or_b32 exec_lo, exec_lo, s26
	v_cmp_lt_u32_e64 s25, v88, v177
	s_delay_alu instid0(VALU_DEP_1)
	s_and_saveexec_b32 s27, s25
	s_cbranch_execz .LBB1155_487
.LBB1155_502:                           ;   in Loop: Header=BB1155_398 Depth=2
	ds_load_b64 v[36:37], v110 offset:18432
	s_waitcnt lgkmcnt(0)
	v_cmp_ne_u64_e64 s26, s[34:35], v[36:37]
	s_delay_alu instid0(VALU_DEP_1) | instskip(SKIP_2) | instid1(VALU_DEP_2)
	v_cndmask_b32_e64 v41, 0x7fffffff, v37, s26
	v_cndmask_b32_e64 v40, -1, v36, s26
	v_cmp_gt_i64_e64 s26, 0, v[36:37]
	v_lshrrev_b64 v[40:41], s41, v[40:41]
	s_delay_alu instid0(VALU_DEP_2) | instskip(NEXT) | instid1(VALU_DEP_2)
	v_cndmask_b32_e64 v42, 0x7fffffff, 0, s26
	v_and_b32_e32 v2, s43, v40
	v_ashrrev_i32_e32 v40, 31, v37
	s_delay_alu instid0(VALU_DEP_3) | instskip(NEXT) | instid1(VALU_DEP_3)
	v_xor_b32_e32 v37, v42, v37
	v_lshlrev_b32_e32 v2, 2, v2
	s_delay_alu instid0(VALU_DEP_3) | instskip(SKIP_4) | instid1(VALU_DEP_1)
	v_not_b32_e32 v43, v40
	ds_load_b32 v2, v2
	v_xor_b32_e32 v36, v43, v36
	s_waitcnt lgkmcnt(0)
	v_add_nc_u32_e32 v2, v2, v88
	v_lshlrev_b64 v[40:41], 3, v[2:3]
	s_delay_alu instid0(VALU_DEP_1) | instskip(NEXT) | instid1(VALU_DEP_1)
	v_add_co_u32 v40, s26, s48, v40
	v_add_co_ci_u32_e64 v41, s26, s49, v41, s26
	global_store_b64 v[40:41], v[36:37], off
	s_or_b32 exec_lo, exec_lo, s27
	v_cmp_lt_u32_e64 s26, v89, v177
	s_delay_alu instid0(VALU_DEP_1)
	s_and_saveexec_b32 s28, s26
	s_cbranch_execnz .LBB1155_488
.LBB1155_503:                           ;   in Loop: Header=BB1155_398 Depth=2
	s_or_b32 exec_lo, exec_lo, s28
	v_cmp_lt_u32_e64 s27, v90, v177
	s_delay_alu instid0(VALU_DEP_1)
	s_and_saveexec_b32 s29, s27
	s_cbranch_execz .LBB1155_489
.LBB1155_504:                           ;   in Loop: Header=BB1155_398 Depth=2
	ds_load_b64 v[36:37], v110 offset:22528
	s_waitcnt lgkmcnt(0)
	v_cmp_ne_u64_e64 s28, s[34:35], v[36:37]
	s_delay_alu instid0(VALU_DEP_1) | instskip(SKIP_2) | instid1(VALU_DEP_2)
	v_cndmask_b32_e64 v41, 0x7fffffff, v37, s28
	v_cndmask_b32_e64 v40, -1, v36, s28
	v_cmp_gt_i64_e64 s28, 0, v[36:37]
	v_lshrrev_b64 v[40:41], s41, v[40:41]
	s_delay_alu instid0(VALU_DEP_2) | instskip(NEXT) | instid1(VALU_DEP_2)
	v_cndmask_b32_e64 v42, 0x7fffffff, 0, s28
	v_and_b32_e32 v2, s43, v40
	v_ashrrev_i32_e32 v40, 31, v37
	s_delay_alu instid0(VALU_DEP_3) | instskip(NEXT) | instid1(VALU_DEP_3)
	v_xor_b32_e32 v37, v42, v37
	v_lshlrev_b32_e32 v2, 2, v2
	s_delay_alu instid0(VALU_DEP_3) | instskip(SKIP_4) | instid1(VALU_DEP_1)
	v_not_b32_e32 v43, v40
	ds_load_b32 v2, v2
	v_xor_b32_e32 v36, v43, v36
	s_waitcnt lgkmcnt(0)
	v_add_nc_u32_e32 v2, v2, v90
	v_lshlrev_b64 v[40:41], 3, v[2:3]
	s_delay_alu instid0(VALU_DEP_1) | instskip(NEXT) | instid1(VALU_DEP_1)
	v_add_co_u32 v40, s28, s48, v40
	v_add_co_ci_u32_e64 v41, s28, s49, v41, s28
	global_store_b64 v[40:41], v[36:37], off
	s_or_b32 exec_lo, exec_lo, s29
	v_cmp_lt_u32_e64 s28, v91, v177
	s_delay_alu instid0(VALU_DEP_1)
	s_and_saveexec_b32 s30, s28
	s_cbranch_execnz .LBB1155_490
.LBB1155_505:                           ;   in Loop: Header=BB1155_398 Depth=2
	s_or_b32 exec_lo, exec_lo, s30
	v_cmp_lt_u32_e64 s29, v92, v177
	s_delay_alu instid0(VALU_DEP_1)
	s_and_saveexec_b32 s31, s29
	s_cbranch_execz .LBB1155_491
.LBB1155_506:                           ;   in Loop: Header=BB1155_398 Depth=2
	ds_load_b64 v[36:37], v110 offset:26624
	s_waitcnt lgkmcnt(0)
	v_cmp_ne_u64_e64 s30, s[34:35], v[36:37]
	s_delay_alu instid0(VALU_DEP_1) | instskip(SKIP_2) | instid1(VALU_DEP_2)
	v_cndmask_b32_e64 v41, 0x7fffffff, v37, s30
	v_cndmask_b32_e64 v40, -1, v36, s30
	v_cmp_gt_i64_e64 s30, 0, v[36:37]
	v_lshrrev_b64 v[40:41], s41, v[40:41]
	s_delay_alu instid0(VALU_DEP_2) | instskip(NEXT) | instid1(VALU_DEP_2)
	v_cndmask_b32_e64 v42, 0x7fffffff, 0, s30
	v_and_b32_e32 v2, s43, v40
	v_ashrrev_i32_e32 v40, 31, v37
	s_delay_alu instid0(VALU_DEP_3) | instskip(NEXT) | instid1(VALU_DEP_3)
	v_xor_b32_e32 v37, v42, v37
	v_lshlrev_b32_e32 v2, 2, v2
	s_delay_alu instid0(VALU_DEP_3) | instskip(SKIP_4) | instid1(VALU_DEP_1)
	v_not_b32_e32 v43, v40
	ds_load_b32 v2, v2
	v_xor_b32_e32 v36, v43, v36
	s_waitcnt lgkmcnt(0)
	v_add_nc_u32_e32 v2, v2, v92
	v_lshlrev_b64 v[40:41], 3, v[2:3]
	s_delay_alu instid0(VALU_DEP_1) | instskip(NEXT) | instid1(VALU_DEP_1)
	v_add_co_u32 v40, s30, s48, v40
	v_add_co_ci_u32_e64 v41, s30, s49, v41, s30
	global_store_b64 v[40:41], v[36:37], off
	s_or_b32 exec_lo, exec_lo, s31
	v_cmp_lt_u32_e64 s30, v93, v177
	s_delay_alu instid0(VALU_DEP_1)
	s_and_saveexec_b32 s33, s30
	s_cbranch_execnz .LBB1155_492
.LBB1155_507:                           ;   in Loop: Header=BB1155_398 Depth=2
	s_or_b32 exec_lo, exec_lo, s33
	v_cmp_lt_u32_e64 s31, v95, v177
	s_delay_alu instid0(VALU_DEP_1)
	s_and_saveexec_b32 s39, s31
	s_cbranch_execz .LBB1155_509
.LBB1155_508:                           ;   in Loop: Header=BB1155_398 Depth=2
	ds_load_b64 v[36:37], v110 offset:30720
	s_waitcnt lgkmcnt(0)
	v_cmp_ne_u64_e64 s33, s[34:35], v[36:37]
	s_delay_alu instid0(VALU_DEP_1) | instskip(SKIP_2) | instid1(VALU_DEP_2)
	v_cndmask_b32_e64 v41, 0x7fffffff, v37, s33
	v_cndmask_b32_e64 v40, -1, v36, s33
	v_cmp_gt_i64_e64 s33, 0, v[36:37]
	v_lshrrev_b64 v[40:41], s41, v[40:41]
	s_delay_alu instid0(VALU_DEP_2) | instskip(NEXT) | instid1(VALU_DEP_2)
	v_cndmask_b32_e64 v42, 0x7fffffff, 0, s33
	v_and_b32_e32 v2, s43, v40
	v_ashrrev_i32_e32 v40, 31, v37
	s_delay_alu instid0(VALU_DEP_3) | instskip(NEXT) | instid1(VALU_DEP_3)
	v_xor_b32_e32 v37, v42, v37
	v_lshlrev_b32_e32 v2, 2, v2
	s_delay_alu instid0(VALU_DEP_3) | instskip(SKIP_4) | instid1(VALU_DEP_1)
	v_not_b32_e32 v43, v40
	ds_load_b32 v2, v2
	v_xor_b32_e32 v36, v43, v36
	s_waitcnt lgkmcnt(0)
	v_add_nc_u32_e32 v2, v2, v95
	v_lshlrev_b64 v[40:41], 3, v[2:3]
	s_delay_alu instid0(VALU_DEP_1) | instskip(NEXT) | instid1(VALU_DEP_1)
	v_add_co_u32 v40, s33, s48, v40
	v_add_co_ci_u32_e64 v41, s33, s49, v41, s33
	global_store_b64 v[40:41], v[36:37], off
.LBB1155_509:                           ;   in Loop: Header=BB1155_398 Depth=2
	s_or_b32 exec_lo, exec_lo, s39
	s_mov_b32 s39, s34
	s_delay_alu instid0(SALU_CYCLE_1) | instskip(NEXT) | instid1(SALU_CYCLE_1)
	s_lshl_b64 s[38:39], s[38:39], 3
	v_add_co_u32 v36, s33, v139, s38
	s_delay_alu instid0(VALU_DEP_1) | instskip(SKIP_1) | instid1(VALU_DEP_1)
	v_add_co_ci_u32_e64 v37, s33, s39, v140, s33
	v_cmp_lt_u32_e64 s33, v138, v177
	s_and_saveexec_b32 s38, s33
	s_delay_alu instid0(SALU_CYCLE_1)
	s_xor_b32 s33, exec_lo, s38
	s_cbranch_execz .LBB1155_541
; %bb.510:                              ;   in Loop: Header=BB1155_398 Depth=2
	global_load_b64 v[34:35], v[36:37], off
	s_or_b32 exec_lo, exec_lo, s33
	s_delay_alu instid0(SALU_CYCLE_1)
	s_mov_b32 s38, exec_lo
	v_cmpx_lt_u32_e64 v141, v177
	s_cbranch_execnz .LBB1155_542
.LBB1155_511:                           ;   in Loop: Header=BB1155_398 Depth=2
	s_or_b32 exec_lo, exec_lo, s38
	s_delay_alu instid0(SALU_CYCLE_1)
	s_mov_b32 s38, exec_lo
	v_cmpx_lt_u32_e64 v142, v177
	s_cbranch_execz .LBB1155_543
.LBB1155_512:                           ;   in Loop: Header=BB1155_398 Depth=2
	global_load_b64 v[30:31], v[36:37], off offset:512
	s_or_b32 exec_lo, exec_lo, s38
	s_delay_alu instid0(SALU_CYCLE_1)
	s_mov_b32 s38, exec_lo
	v_cmpx_lt_u32_e64 v143, v177
	s_cbranch_execnz .LBB1155_544
.LBB1155_513:                           ;   in Loop: Header=BB1155_398 Depth=2
	s_or_b32 exec_lo, exec_lo, s38
	s_delay_alu instid0(SALU_CYCLE_1)
	s_mov_b32 s38, exec_lo
	v_cmpx_lt_u32_e64 v144, v177
	s_cbranch_execz .LBB1155_545
.LBB1155_514:                           ;   in Loop: Header=BB1155_398 Depth=2
	global_load_b64 v[26:27], v[36:37], off offset:1024
	s_or_b32 exec_lo, exec_lo, s38
	s_delay_alu instid0(SALU_CYCLE_1)
	s_mov_b32 s38, exec_lo
	v_cmpx_lt_u32_e64 v145, v177
	s_cbranch_execnz .LBB1155_546
.LBB1155_515:                           ;   in Loop: Header=BB1155_398 Depth=2
	s_or_b32 exec_lo, exec_lo, s38
	s_delay_alu instid0(SALU_CYCLE_1)
	s_mov_b32 s38, exec_lo
	v_cmpx_lt_u32_e64 v146, v177
	s_cbranch_execz .LBB1155_547
.LBB1155_516:                           ;   in Loop: Header=BB1155_398 Depth=2
	global_load_b64 v[22:23], v[36:37], off offset:1536
	s_or_b32 exec_lo, exec_lo, s38
	s_delay_alu instid0(SALU_CYCLE_1)
	s_mov_b32 s38, exec_lo
	v_cmpx_lt_u32_e64 v147, v177
	s_cbranch_execnz .LBB1155_548
.LBB1155_517:                           ;   in Loop: Header=BB1155_398 Depth=2
	s_or_b32 exec_lo, exec_lo, s38
	s_delay_alu instid0(SALU_CYCLE_1)
	s_mov_b32 s38, exec_lo
	v_cmpx_lt_u32_e64 v148, v177
	s_cbranch_execz .LBB1155_549
.LBB1155_518:                           ;   in Loop: Header=BB1155_398 Depth=2
	global_load_b64 v[18:19], v[36:37], off offset:2048
	s_or_b32 exec_lo, exec_lo, s38
	s_delay_alu instid0(SALU_CYCLE_1)
	s_mov_b32 s38, exec_lo
	v_cmpx_lt_u32_e64 v149, v177
	s_cbranch_execnz .LBB1155_550
.LBB1155_519:                           ;   in Loop: Header=BB1155_398 Depth=2
	s_or_b32 exec_lo, exec_lo, s38
	s_delay_alu instid0(SALU_CYCLE_1)
	s_mov_b32 s38, exec_lo
	v_cmpx_lt_u32_e64 v150, v177
	s_cbranch_execz .LBB1155_551
.LBB1155_520:                           ;   in Loop: Header=BB1155_398 Depth=2
	global_load_b64 v[14:15], v[36:37], off offset:2560
	s_or_b32 exec_lo, exec_lo, s38
	s_delay_alu instid0(SALU_CYCLE_1)
	s_mov_b32 s38, exec_lo
	v_cmpx_lt_u32_e64 v151, v177
	s_cbranch_execnz .LBB1155_552
.LBB1155_521:                           ;   in Loop: Header=BB1155_398 Depth=2
	s_or_b32 exec_lo, exec_lo, s38
	s_delay_alu instid0(SALU_CYCLE_1)
	s_mov_b32 s38, exec_lo
	v_cmpx_lt_u32_e64 v152, v177
	s_cbranch_execz .LBB1155_553
.LBB1155_522:                           ;   in Loop: Header=BB1155_398 Depth=2
	global_load_b64 v[10:11], v[36:37], off offset:3072
	s_or_b32 exec_lo, exec_lo, s38
	s_delay_alu instid0(SALU_CYCLE_1)
	s_mov_b32 s38, exec_lo
	v_cmpx_lt_u32_e64 v153, v177
	s_cbranch_execnz .LBB1155_554
.LBB1155_523:                           ;   in Loop: Header=BB1155_398 Depth=2
	s_or_b32 exec_lo, exec_lo, s38
	s_delay_alu instid0(SALU_CYCLE_1)
	s_mov_b32 s38, exec_lo
	v_cmpx_lt_u32_e64 v154, v177
	s_cbranch_execz .LBB1155_555
.LBB1155_524:                           ;   in Loop: Header=BB1155_398 Depth=2
	global_load_b64 v[6:7], v[36:37], off offset:3584
	s_or_b32 exec_lo, exec_lo, s38
	s_delay_alu instid0(SALU_CYCLE_1)
	s_mov_b32 s38, exec_lo
	v_cmpx_lt_u32_e64 v155, v177
	s_cbranch_execnz .LBB1155_556
.LBB1155_525:                           ;   in Loop: Header=BB1155_398 Depth=2
	s_or_b32 exec_lo, exec_lo, s38
	s_and_saveexec_b32 s38, vcc_lo
	s_cbranch_execz .LBB1155_557
.LBB1155_526:                           ;   in Loop: Header=BB1155_398 Depth=2
	v_add_nc_u32_e32 v2, v104, v76
	ds_load_b64 v[36:37], v2 offset:1024
	s_waitcnt lgkmcnt(0)
	v_cmp_ne_u64_e64 s33, s[34:35], v[36:37]
	s_delay_alu instid0(VALU_DEP_1) | instskip(SKIP_1) | instid1(VALU_DEP_1)
	v_cndmask_b32_e64 v37, 0x7fffffff, v37, s33
	v_cndmask_b32_e64 v36, -1, v36, s33
	v_lshrrev_b64 v[36:37], s41, v[36:37]
	s_delay_alu instid0(VALU_DEP_1)
	v_and_b32_e32 v176, s43, v36
	s_or_b32 exec_lo, exec_lo, s38
	s_and_saveexec_b32 s38, s17
	s_cbranch_execnz .LBB1155_558
.LBB1155_527:                           ;   in Loop: Header=BB1155_398 Depth=2
	s_or_b32 exec_lo, exec_lo, s38
	s_and_saveexec_b32 s38, s18
	s_cbranch_execz .LBB1155_559
.LBB1155_528:                           ;   in Loop: Header=BB1155_398 Depth=2
	ds_load_b64 v[36:37], v110 offset:4096
	s_waitcnt lgkmcnt(0)
	v_cmp_ne_u64_e64 s33, s[34:35], v[36:37]
	s_delay_alu instid0(VALU_DEP_1) | instskip(SKIP_1) | instid1(VALU_DEP_1)
	v_cndmask_b32_e64 v37, 0x7fffffff, v37, s33
	v_cndmask_b32_e64 v36, -1, v36, s33
	v_lshrrev_b64 v[36:37], s41, v[36:37]
	s_delay_alu instid0(VALU_DEP_1)
	v_and_b32_e32 v174, s43, v36
	s_or_b32 exec_lo, exec_lo, s38
	s_and_saveexec_b32 s38, s19
	s_cbranch_execnz .LBB1155_560
.LBB1155_529:                           ;   in Loop: Header=BB1155_398 Depth=2
	s_or_b32 exec_lo, exec_lo, s38
	s_and_saveexec_b32 s38, s20
	s_cbranch_execz .LBB1155_561
.LBB1155_530:                           ;   in Loop: Header=BB1155_398 Depth=2
	ds_load_b64 v[36:37], v110 offset:8192
	s_waitcnt lgkmcnt(0)
	v_cmp_ne_u64_e64 s33, s[34:35], v[36:37]
	s_delay_alu instid0(VALU_DEP_1) | instskip(SKIP_1) | instid1(VALU_DEP_1)
	v_cndmask_b32_e64 v37, 0x7fffffff, v37, s33
	v_cndmask_b32_e64 v36, -1, v36, s33
	v_lshrrev_b64 v[36:37], s41, v[36:37]
	s_delay_alu instid0(VALU_DEP_1)
	v_and_b32_e32 v172, s43, v36
	s_or_b32 exec_lo, exec_lo, s38
	s_and_saveexec_b32 s38, s21
	s_cbranch_execnz .LBB1155_562
.LBB1155_531:                           ;   in Loop: Header=BB1155_398 Depth=2
	s_or_b32 exec_lo, exec_lo, s38
	s_and_saveexec_b32 s38, s22
	s_cbranch_execz .LBB1155_563
.LBB1155_532:                           ;   in Loop: Header=BB1155_398 Depth=2
	ds_load_b64 v[36:37], v110 offset:12288
	s_waitcnt lgkmcnt(0)
	v_cmp_ne_u64_e64 s33, s[34:35], v[36:37]
	s_delay_alu instid0(VALU_DEP_1) | instskip(SKIP_1) | instid1(VALU_DEP_1)
	v_cndmask_b32_e64 v37, 0x7fffffff, v37, s33
	v_cndmask_b32_e64 v36, -1, v36, s33
	v_lshrrev_b64 v[36:37], s41, v[36:37]
	s_delay_alu instid0(VALU_DEP_1)
	v_and_b32_e32 v170, s43, v36
	s_or_b32 exec_lo, exec_lo, s38
	s_and_saveexec_b32 s38, s23
	s_cbranch_execnz .LBB1155_564
.LBB1155_533:                           ;   in Loop: Header=BB1155_398 Depth=2
	s_or_b32 exec_lo, exec_lo, s38
	s_and_saveexec_b32 s38, s24
	s_cbranch_execz .LBB1155_565
.LBB1155_534:                           ;   in Loop: Header=BB1155_398 Depth=2
	ds_load_b64 v[36:37], v110 offset:16384
	s_waitcnt lgkmcnt(0)
	v_cmp_ne_u64_e64 s33, s[34:35], v[36:37]
	s_delay_alu instid0(VALU_DEP_1) | instskip(SKIP_1) | instid1(VALU_DEP_1)
	v_cndmask_b32_e64 v37, 0x7fffffff, v37, s33
	v_cndmask_b32_e64 v36, -1, v36, s33
	v_lshrrev_b64 v[36:37], s41, v[36:37]
	s_delay_alu instid0(VALU_DEP_1)
	v_and_b32_e32 v168, s43, v36
	s_or_b32 exec_lo, exec_lo, s38
	s_and_saveexec_b32 s38, s25
	s_cbranch_execnz .LBB1155_566
.LBB1155_535:                           ;   in Loop: Header=BB1155_398 Depth=2
	s_or_b32 exec_lo, exec_lo, s38
	s_and_saveexec_b32 s38, s26
	s_cbranch_execz .LBB1155_567
.LBB1155_536:                           ;   in Loop: Header=BB1155_398 Depth=2
	ds_load_b64 v[36:37], v110 offset:20480
	s_waitcnt lgkmcnt(0)
	v_cmp_ne_u64_e64 s33, s[34:35], v[36:37]
	s_delay_alu instid0(VALU_DEP_1) | instskip(SKIP_1) | instid1(VALU_DEP_1)
	v_cndmask_b32_e64 v37, 0x7fffffff, v37, s33
	v_cndmask_b32_e64 v36, -1, v36, s33
	v_lshrrev_b64 v[36:37], s41, v[36:37]
	s_delay_alu instid0(VALU_DEP_1)
	v_and_b32_e32 v166, s43, v36
	s_or_b32 exec_lo, exec_lo, s38
	s_and_saveexec_b32 s38, s27
	s_cbranch_execnz .LBB1155_568
.LBB1155_537:                           ;   in Loop: Header=BB1155_398 Depth=2
	s_or_b32 exec_lo, exec_lo, s38
	s_and_saveexec_b32 s38, s28
	s_cbranch_execz .LBB1155_569
.LBB1155_538:                           ;   in Loop: Header=BB1155_398 Depth=2
	ds_load_b64 v[36:37], v110 offset:24576
	s_waitcnt lgkmcnt(0)
	v_cmp_ne_u64_e64 s33, s[34:35], v[36:37]
	s_delay_alu instid0(VALU_DEP_1) | instskip(SKIP_1) | instid1(VALU_DEP_1)
	v_cndmask_b32_e64 v37, 0x7fffffff, v37, s33
	v_cndmask_b32_e64 v36, -1, v36, s33
	v_lshrrev_b64 v[36:37], s41, v[36:37]
	s_delay_alu instid0(VALU_DEP_1)
	v_and_b32_e32 v164, s43, v36
	s_or_b32 exec_lo, exec_lo, s38
	s_and_saveexec_b32 s38, s29
	s_cbranch_execnz .LBB1155_570
.LBB1155_539:                           ;   in Loop: Header=BB1155_398 Depth=2
	s_or_b32 exec_lo, exec_lo, s38
	s_and_saveexec_b32 s38, s30
	s_cbranch_execz .LBB1155_571
.LBB1155_540:                           ;   in Loop: Header=BB1155_398 Depth=2
	ds_load_b64 v[36:37], v110 offset:28672
	s_waitcnt lgkmcnt(0)
	v_cmp_ne_u64_e64 s33, s[34:35], v[36:37]
	s_delay_alu instid0(VALU_DEP_1) | instskip(SKIP_1) | instid1(VALU_DEP_1)
	v_cndmask_b32_e64 v37, 0x7fffffff, v37, s33
	v_cndmask_b32_e64 v36, -1, v36, s33
	v_lshrrev_b64 v[36:37], s41, v[36:37]
	s_delay_alu instid0(VALU_DEP_1)
	v_and_b32_e32 v162, s43, v36
	s_or_b32 exec_lo, exec_lo, s38
	s_and_saveexec_b32 s38, s31
	s_cbranch_execnz .LBB1155_572
	s_branch .LBB1155_573
.LBB1155_541:                           ;   in Loop: Header=BB1155_398 Depth=2
	s_or_b32 exec_lo, exec_lo, s33
	s_delay_alu instid0(SALU_CYCLE_1)
	s_mov_b32 s38, exec_lo
	v_cmpx_lt_u32_e64 v141, v177
	s_cbranch_execz .LBB1155_511
.LBB1155_542:                           ;   in Loop: Header=BB1155_398 Depth=2
	global_load_b64 v[32:33], v[36:37], off offset:256
	s_or_b32 exec_lo, exec_lo, s38
	s_delay_alu instid0(SALU_CYCLE_1)
	s_mov_b32 s38, exec_lo
	v_cmpx_lt_u32_e64 v142, v177
	s_cbranch_execnz .LBB1155_512
.LBB1155_543:                           ;   in Loop: Header=BB1155_398 Depth=2
	s_or_b32 exec_lo, exec_lo, s38
	s_delay_alu instid0(SALU_CYCLE_1)
	s_mov_b32 s38, exec_lo
	v_cmpx_lt_u32_e64 v143, v177
	s_cbranch_execz .LBB1155_513
.LBB1155_544:                           ;   in Loop: Header=BB1155_398 Depth=2
	global_load_b64 v[28:29], v[36:37], off offset:768
	s_or_b32 exec_lo, exec_lo, s38
	s_delay_alu instid0(SALU_CYCLE_1)
	s_mov_b32 s38, exec_lo
	v_cmpx_lt_u32_e64 v144, v177
	s_cbranch_execnz .LBB1155_514
.LBB1155_545:                           ;   in Loop: Header=BB1155_398 Depth=2
	s_or_b32 exec_lo, exec_lo, s38
	s_delay_alu instid0(SALU_CYCLE_1)
	s_mov_b32 s38, exec_lo
	v_cmpx_lt_u32_e64 v145, v177
	s_cbranch_execz .LBB1155_515
.LBB1155_546:                           ;   in Loop: Header=BB1155_398 Depth=2
	global_load_b64 v[24:25], v[36:37], off offset:1280
	s_or_b32 exec_lo, exec_lo, s38
	s_delay_alu instid0(SALU_CYCLE_1)
	s_mov_b32 s38, exec_lo
	v_cmpx_lt_u32_e64 v146, v177
	s_cbranch_execnz .LBB1155_516
.LBB1155_547:                           ;   in Loop: Header=BB1155_398 Depth=2
	s_or_b32 exec_lo, exec_lo, s38
	s_delay_alu instid0(SALU_CYCLE_1)
	s_mov_b32 s38, exec_lo
	v_cmpx_lt_u32_e64 v147, v177
	s_cbranch_execz .LBB1155_517
.LBB1155_548:                           ;   in Loop: Header=BB1155_398 Depth=2
	global_load_b64 v[20:21], v[36:37], off offset:1792
	s_or_b32 exec_lo, exec_lo, s38
	s_delay_alu instid0(SALU_CYCLE_1)
	s_mov_b32 s38, exec_lo
	v_cmpx_lt_u32_e64 v148, v177
	s_cbranch_execnz .LBB1155_518
.LBB1155_549:                           ;   in Loop: Header=BB1155_398 Depth=2
	s_or_b32 exec_lo, exec_lo, s38
	s_delay_alu instid0(SALU_CYCLE_1)
	s_mov_b32 s38, exec_lo
	v_cmpx_lt_u32_e64 v149, v177
	s_cbranch_execz .LBB1155_519
.LBB1155_550:                           ;   in Loop: Header=BB1155_398 Depth=2
	global_load_b64 v[16:17], v[36:37], off offset:2304
	s_or_b32 exec_lo, exec_lo, s38
	s_delay_alu instid0(SALU_CYCLE_1)
	s_mov_b32 s38, exec_lo
	v_cmpx_lt_u32_e64 v150, v177
	s_cbranch_execnz .LBB1155_520
.LBB1155_551:                           ;   in Loop: Header=BB1155_398 Depth=2
	s_or_b32 exec_lo, exec_lo, s38
	s_delay_alu instid0(SALU_CYCLE_1)
	s_mov_b32 s38, exec_lo
	v_cmpx_lt_u32_e64 v151, v177
	s_cbranch_execz .LBB1155_521
.LBB1155_552:                           ;   in Loop: Header=BB1155_398 Depth=2
	global_load_b64 v[12:13], v[36:37], off offset:2816
	s_or_b32 exec_lo, exec_lo, s38
	s_delay_alu instid0(SALU_CYCLE_1)
	s_mov_b32 s38, exec_lo
	v_cmpx_lt_u32_e64 v152, v177
	s_cbranch_execnz .LBB1155_522
.LBB1155_553:                           ;   in Loop: Header=BB1155_398 Depth=2
	s_or_b32 exec_lo, exec_lo, s38
	s_delay_alu instid0(SALU_CYCLE_1)
	s_mov_b32 s38, exec_lo
	v_cmpx_lt_u32_e64 v153, v177
	s_cbranch_execz .LBB1155_523
.LBB1155_554:                           ;   in Loop: Header=BB1155_398 Depth=2
	global_load_b64 v[8:9], v[36:37], off offset:3328
	s_or_b32 exec_lo, exec_lo, s38
	s_delay_alu instid0(SALU_CYCLE_1)
	s_mov_b32 s38, exec_lo
	v_cmpx_lt_u32_e64 v154, v177
	s_cbranch_execnz .LBB1155_524
.LBB1155_555:                           ;   in Loop: Header=BB1155_398 Depth=2
	s_or_b32 exec_lo, exec_lo, s38
	s_delay_alu instid0(SALU_CYCLE_1)
	s_mov_b32 s38, exec_lo
	v_cmpx_lt_u32_e64 v155, v177
	s_cbranch_execz .LBB1155_525
.LBB1155_556:                           ;   in Loop: Header=BB1155_398 Depth=2
	global_load_b64 v[4:5], v[36:37], off offset:3840
	s_or_b32 exec_lo, exec_lo, s38
	s_and_saveexec_b32 s38, vcc_lo
	s_cbranch_execnz .LBB1155_526
.LBB1155_557:                           ;   in Loop: Header=BB1155_398 Depth=2
	s_or_b32 exec_lo, exec_lo, s38
	s_and_saveexec_b32 s38, s17
	s_cbranch_execz .LBB1155_527
.LBB1155_558:                           ;   in Loop: Header=BB1155_398 Depth=2
	ds_load_b64 v[36:37], v110 offset:2048
	s_waitcnt lgkmcnt(0)
	v_cmp_ne_u64_e64 s33, s[34:35], v[36:37]
	s_delay_alu instid0(VALU_DEP_1) | instskip(SKIP_1) | instid1(VALU_DEP_1)
	v_cndmask_b32_e64 v37, 0x7fffffff, v37, s33
	v_cndmask_b32_e64 v36, -1, v36, s33
	v_lshrrev_b64 v[36:37], s41, v[36:37]
	s_delay_alu instid0(VALU_DEP_1)
	v_and_b32_e32 v175, s43, v36
	s_or_b32 exec_lo, exec_lo, s38
	s_and_saveexec_b32 s38, s18
	s_cbranch_execnz .LBB1155_528
.LBB1155_559:                           ;   in Loop: Header=BB1155_398 Depth=2
	s_or_b32 exec_lo, exec_lo, s38
	s_and_saveexec_b32 s38, s19
	s_cbranch_execz .LBB1155_529
.LBB1155_560:                           ;   in Loop: Header=BB1155_398 Depth=2
	ds_load_b64 v[36:37], v110 offset:6144
	s_waitcnt lgkmcnt(0)
	v_cmp_ne_u64_e64 s33, s[34:35], v[36:37]
	s_delay_alu instid0(VALU_DEP_1) | instskip(SKIP_1) | instid1(VALU_DEP_1)
	v_cndmask_b32_e64 v37, 0x7fffffff, v37, s33
	v_cndmask_b32_e64 v36, -1, v36, s33
	v_lshrrev_b64 v[36:37], s41, v[36:37]
	s_delay_alu instid0(VALU_DEP_1)
	v_and_b32_e32 v173, s43, v36
	s_or_b32 exec_lo, exec_lo, s38
	s_and_saveexec_b32 s38, s20
	s_cbranch_execnz .LBB1155_530
.LBB1155_561:                           ;   in Loop: Header=BB1155_398 Depth=2
	s_or_b32 exec_lo, exec_lo, s38
	s_and_saveexec_b32 s38, s21
	s_cbranch_execz .LBB1155_531
.LBB1155_562:                           ;   in Loop: Header=BB1155_398 Depth=2
	ds_load_b64 v[36:37], v110 offset:10240
	s_waitcnt lgkmcnt(0)
	v_cmp_ne_u64_e64 s33, s[34:35], v[36:37]
	s_delay_alu instid0(VALU_DEP_1) | instskip(SKIP_1) | instid1(VALU_DEP_1)
	v_cndmask_b32_e64 v37, 0x7fffffff, v37, s33
	v_cndmask_b32_e64 v36, -1, v36, s33
	v_lshrrev_b64 v[36:37], s41, v[36:37]
	s_delay_alu instid0(VALU_DEP_1)
	v_and_b32_e32 v171, s43, v36
	s_or_b32 exec_lo, exec_lo, s38
	s_and_saveexec_b32 s38, s22
	s_cbranch_execnz .LBB1155_532
.LBB1155_563:                           ;   in Loop: Header=BB1155_398 Depth=2
	s_or_b32 exec_lo, exec_lo, s38
	s_and_saveexec_b32 s38, s23
	s_cbranch_execz .LBB1155_533
.LBB1155_564:                           ;   in Loop: Header=BB1155_398 Depth=2
	ds_load_b64 v[36:37], v110 offset:14336
	s_waitcnt lgkmcnt(0)
	v_cmp_ne_u64_e64 s33, s[34:35], v[36:37]
	s_delay_alu instid0(VALU_DEP_1) | instskip(SKIP_1) | instid1(VALU_DEP_1)
	v_cndmask_b32_e64 v37, 0x7fffffff, v37, s33
	v_cndmask_b32_e64 v36, -1, v36, s33
	v_lshrrev_b64 v[36:37], s41, v[36:37]
	s_delay_alu instid0(VALU_DEP_1)
	v_and_b32_e32 v169, s43, v36
	s_or_b32 exec_lo, exec_lo, s38
	s_and_saveexec_b32 s38, s24
	s_cbranch_execnz .LBB1155_534
.LBB1155_565:                           ;   in Loop: Header=BB1155_398 Depth=2
	s_or_b32 exec_lo, exec_lo, s38
	s_and_saveexec_b32 s38, s25
	s_cbranch_execz .LBB1155_535
.LBB1155_566:                           ;   in Loop: Header=BB1155_398 Depth=2
	ds_load_b64 v[36:37], v110 offset:18432
	s_waitcnt lgkmcnt(0)
	v_cmp_ne_u64_e64 s33, s[34:35], v[36:37]
	s_delay_alu instid0(VALU_DEP_1) | instskip(SKIP_1) | instid1(VALU_DEP_1)
	v_cndmask_b32_e64 v37, 0x7fffffff, v37, s33
	v_cndmask_b32_e64 v36, -1, v36, s33
	v_lshrrev_b64 v[36:37], s41, v[36:37]
	s_delay_alu instid0(VALU_DEP_1)
	v_and_b32_e32 v167, s43, v36
	s_or_b32 exec_lo, exec_lo, s38
	s_and_saveexec_b32 s38, s26
	s_cbranch_execnz .LBB1155_536
.LBB1155_567:                           ;   in Loop: Header=BB1155_398 Depth=2
	s_or_b32 exec_lo, exec_lo, s38
	s_and_saveexec_b32 s38, s27
	s_cbranch_execz .LBB1155_537
.LBB1155_568:                           ;   in Loop: Header=BB1155_398 Depth=2
	ds_load_b64 v[36:37], v110 offset:22528
	s_waitcnt lgkmcnt(0)
	v_cmp_ne_u64_e64 s33, s[34:35], v[36:37]
	s_delay_alu instid0(VALU_DEP_1) | instskip(SKIP_1) | instid1(VALU_DEP_1)
	v_cndmask_b32_e64 v37, 0x7fffffff, v37, s33
	v_cndmask_b32_e64 v36, -1, v36, s33
	v_lshrrev_b64 v[36:37], s41, v[36:37]
	s_delay_alu instid0(VALU_DEP_1)
	v_and_b32_e32 v165, s43, v36
	s_or_b32 exec_lo, exec_lo, s38
	s_and_saveexec_b32 s38, s28
	s_cbranch_execnz .LBB1155_538
.LBB1155_569:                           ;   in Loop: Header=BB1155_398 Depth=2
	s_or_b32 exec_lo, exec_lo, s38
	s_and_saveexec_b32 s38, s29
	s_cbranch_execz .LBB1155_539
.LBB1155_570:                           ;   in Loop: Header=BB1155_398 Depth=2
	ds_load_b64 v[36:37], v110 offset:26624
	s_waitcnt lgkmcnt(0)
	v_cmp_ne_u64_e64 s33, s[34:35], v[36:37]
	s_delay_alu instid0(VALU_DEP_1) | instskip(SKIP_1) | instid1(VALU_DEP_1)
	v_cndmask_b32_e64 v37, 0x7fffffff, v37, s33
	v_cndmask_b32_e64 v36, -1, v36, s33
	v_lshrrev_b64 v[36:37], s41, v[36:37]
	s_delay_alu instid0(VALU_DEP_1)
	v_and_b32_e32 v163, s43, v36
	s_or_b32 exec_lo, exec_lo, s38
	s_and_saveexec_b32 s38, s30
	s_cbranch_execnz .LBB1155_540
.LBB1155_571:                           ;   in Loop: Header=BB1155_398 Depth=2
	s_or_b32 exec_lo, exec_lo, s38
	s_and_saveexec_b32 s38, s31
	s_cbranch_execz .LBB1155_573
.LBB1155_572:                           ;   in Loop: Header=BB1155_398 Depth=2
	ds_load_b64 v[36:37], v110 offset:30720
	s_waitcnt lgkmcnt(0)
	v_cmp_ne_u64_e64 s33, s[34:35], v[36:37]
	s_delay_alu instid0(VALU_DEP_1) | instskip(SKIP_1) | instid1(VALU_DEP_1)
	v_cndmask_b32_e64 v37, 0x7fffffff, v37, s33
	v_cndmask_b32_e64 v36, -1, v36, s33
	v_lshrrev_b64 v[36:37], s41, v[36:37]
	s_delay_alu instid0(VALU_DEP_1)
	v_and_b32_e32 v161, s43, v36
.LBB1155_573:                           ;   in Loop: Header=BB1155_398 Depth=2
	s_or_b32 exec_lo, exec_lo, s38
	v_add_nc_u32_e32 v2, 0x400, v69
	v_add_nc_u32_e32 v36, 0x400, v70
	;; [unrolled: 1-line block ×16, first 2 shown]
	s_waitcnt vmcnt(0)
	s_waitcnt_vscnt null, 0x0
	s_barrier
	buffer_gl0_inv
	ds_store_b64 v2, v[34:35]
	ds_store_b64 v36, v[32:33]
	;; [unrolled: 1-line block ×16, first 2 shown]
	s_waitcnt lgkmcnt(0)
	s_barrier
	buffer_gl0_inv
	s_and_saveexec_b32 s33, vcc_lo
	s_cbranch_execz .LBB1155_589
; %bb.574:                              ;   in Loop: Header=BB1155_398 Depth=2
	v_lshlrev_b32_e32 v2, 2, v176
	v_add_nc_u32_e32 v36, v104, v76
	ds_load_b32 v2, v2
	ds_load_b64 v[36:37], v36 offset:1024
	s_waitcnt lgkmcnt(1)
	v_add_nc_u32_e32 v2, v2, v1
	s_delay_alu instid0(VALU_DEP_1) | instskip(NEXT) | instid1(VALU_DEP_1)
	v_lshlrev_b64 v[38:39], 3, v[2:3]
	v_add_co_u32 v38, vcc_lo, s54, v38
	s_delay_alu instid0(VALU_DEP_2)
	v_add_co_ci_u32_e32 v39, vcc_lo, s55, v39, vcc_lo
	s_waitcnt lgkmcnt(0)
	global_store_b64 v[38:39], v[36:37], off
	s_or_b32 exec_lo, exec_lo, s33
	s_and_saveexec_b32 s33, s17
	s_cbranch_execnz .LBB1155_590
.LBB1155_575:                           ;   in Loop: Header=BB1155_398 Depth=2
	s_or_b32 exec_lo, exec_lo, s33
	s_and_saveexec_b32 s17, s18
	s_cbranch_execz .LBB1155_591
.LBB1155_576:                           ;   in Loop: Header=BB1155_398 Depth=2
	v_lshlrev_b32_e32 v2, 2, v174
	ds_load_b32 v2, v2
	ds_load_b64 v[36:37], v110 offset:4096
	s_waitcnt lgkmcnt(1)
	v_add_nc_u32_e32 v2, v2, v78
	s_delay_alu instid0(VALU_DEP_1) | instskip(NEXT) | instid1(VALU_DEP_1)
	v_lshlrev_b64 v[38:39], 3, v[2:3]
	v_add_co_u32 v38, vcc_lo, s54, v38
	s_delay_alu instid0(VALU_DEP_2)
	v_add_co_ci_u32_e32 v39, vcc_lo, s55, v39, vcc_lo
	s_waitcnt lgkmcnt(0)
	global_store_b64 v[38:39], v[36:37], off
	s_or_b32 exec_lo, exec_lo, s17
	s_and_saveexec_b32 s17, s19
	s_cbranch_execnz .LBB1155_592
.LBB1155_577:                           ;   in Loop: Header=BB1155_398 Depth=2
	s_or_b32 exec_lo, exec_lo, s17
	s_and_saveexec_b32 s17, s20
	s_cbranch_execz .LBB1155_593
.LBB1155_578:                           ;   in Loop: Header=BB1155_398 Depth=2
	v_lshlrev_b32_e32 v2, 2, v172
	ds_load_b32 v2, v2
	ds_load_b64 v[36:37], v110 offset:8192
	s_waitcnt lgkmcnt(1)
	v_add_nc_u32_e32 v2, v2, v83
	s_delay_alu instid0(VALU_DEP_1) | instskip(NEXT) | instid1(VALU_DEP_1)
	v_lshlrev_b64 v[38:39], 3, v[2:3]
	v_add_co_u32 v38, vcc_lo, s54, v38
	s_delay_alu instid0(VALU_DEP_2)
	v_add_co_ci_u32_e32 v39, vcc_lo, s55, v39, vcc_lo
	s_waitcnt lgkmcnt(0)
	global_store_b64 v[38:39], v[36:37], off
	s_or_b32 exec_lo, exec_lo, s17
	s_and_saveexec_b32 s17, s21
	s_cbranch_execnz .LBB1155_594
.LBB1155_579:                           ;   in Loop: Header=BB1155_398 Depth=2
	s_or_b32 exec_lo, exec_lo, s17
	s_and_saveexec_b32 s17, s22
	s_cbranch_execz .LBB1155_595
.LBB1155_580:                           ;   in Loop: Header=BB1155_398 Depth=2
	v_lshlrev_b32_e32 v2, 2, v170
	ds_load_b32 v2, v2
	ds_load_b64 v[36:37], v110 offset:12288
	s_waitcnt lgkmcnt(1)
	v_add_nc_u32_e32 v2, v2, v85
	s_delay_alu instid0(VALU_DEP_1) | instskip(NEXT) | instid1(VALU_DEP_1)
	v_lshlrev_b64 v[38:39], 3, v[2:3]
	v_add_co_u32 v38, vcc_lo, s54, v38
	s_delay_alu instid0(VALU_DEP_2)
	v_add_co_ci_u32_e32 v39, vcc_lo, s55, v39, vcc_lo
	s_waitcnt lgkmcnt(0)
	global_store_b64 v[38:39], v[36:37], off
	s_or_b32 exec_lo, exec_lo, s17
	s_and_saveexec_b32 s17, s23
	s_cbranch_execnz .LBB1155_596
.LBB1155_581:                           ;   in Loop: Header=BB1155_398 Depth=2
	s_or_b32 exec_lo, exec_lo, s17
	s_and_saveexec_b32 s17, s24
	s_cbranch_execz .LBB1155_597
.LBB1155_582:                           ;   in Loop: Header=BB1155_398 Depth=2
	v_lshlrev_b32_e32 v2, 2, v168
	ds_load_b32 v2, v2
	ds_load_b64 v[36:37], v110 offset:16384
	s_waitcnt lgkmcnt(1)
	v_add_nc_u32_e32 v2, v2, v87
	s_delay_alu instid0(VALU_DEP_1) | instskip(NEXT) | instid1(VALU_DEP_1)
	v_lshlrev_b64 v[38:39], 3, v[2:3]
	v_add_co_u32 v38, vcc_lo, s54, v38
	s_delay_alu instid0(VALU_DEP_2)
	v_add_co_ci_u32_e32 v39, vcc_lo, s55, v39, vcc_lo
	s_waitcnt lgkmcnt(0)
	global_store_b64 v[38:39], v[36:37], off
	s_or_b32 exec_lo, exec_lo, s17
	s_and_saveexec_b32 s17, s25
	s_cbranch_execnz .LBB1155_598
.LBB1155_583:                           ;   in Loop: Header=BB1155_398 Depth=2
	s_or_b32 exec_lo, exec_lo, s17
	s_and_saveexec_b32 s17, s26
	s_cbranch_execz .LBB1155_599
.LBB1155_584:                           ;   in Loop: Header=BB1155_398 Depth=2
	v_lshlrev_b32_e32 v2, 2, v166
	ds_load_b32 v2, v2
	ds_load_b64 v[36:37], v110 offset:20480
	s_waitcnt lgkmcnt(1)
	v_add_nc_u32_e32 v2, v2, v89
	s_delay_alu instid0(VALU_DEP_1) | instskip(NEXT) | instid1(VALU_DEP_1)
	v_lshlrev_b64 v[38:39], 3, v[2:3]
	v_add_co_u32 v38, vcc_lo, s54, v38
	s_delay_alu instid0(VALU_DEP_2)
	v_add_co_ci_u32_e32 v39, vcc_lo, s55, v39, vcc_lo
	s_waitcnt lgkmcnt(0)
	global_store_b64 v[38:39], v[36:37], off
	s_or_b32 exec_lo, exec_lo, s17
	s_and_saveexec_b32 s17, s27
	s_cbranch_execnz .LBB1155_600
.LBB1155_585:                           ;   in Loop: Header=BB1155_398 Depth=2
	s_or_b32 exec_lo, exec_lo, s17
	s_and_saveexec_b32 s17, s28
	s_cbranch_execz .LBB1155_601
.LBB1155_586:                           ;   in Loop: Header=BB1155_398 Depth=2
	v_lshlrev_b32_e32 v2, 2, v164
	ds_load_b32 v2, v2
	ds_load_b64 v[36:37], v110 offset:24576
	s_waitcnt lgkmcnt(1)
	v_add_nc_u32_e32 v2, v2, v91
	s_delay_alu instid0(VALU_DEP_1) | instskip(NEXT) | instid1(VALU_DEP_1)
	v_lshlrev_b64 v[38:39], 3, v[2:3]
	v_add_co_u32 v38, vcc_lo, s54, v38
	s_delay_alu instid0(VALU_DEP_2)
	v_add_co_ci_u32_e32 v39, vcc_lo, s55, v39, vcc_lo
	s_waitcnt lgkmcnt(0)
	global_store_b64 v[38:39], v[36:37], off
	s_or_b32 exec_lo, exec_lo, s17
	s_and_saveexec_b32 s17, s29
	s_cbranch_execnz .LBB1155_602
.LBB1155_587:                           ;   in Loop: Header=BB1155_398 Depth=2
	s_or_b32 exec_lo, exec_lo, s17
	s_and_saveexec_b32 s17, s30
	s_cbranch_execz .LBB1155_603
.LBB1155_588:                           ;   in Loop: Header=BB1155_398 Depth=2
	v_lshlrev_b32_e32 v2, 2, v162
	ds_load_b32 v2, v2
	ds_load_b64 v[36:37], v110 offset:28672
	s_waitcnt lgkmcnt(1)
	v_add_nc_u32_e32 v2, v2, v93
	s_delay_alu instid0(VALU_DEP_1) | instskip(NEXT) | instid1(VALU_DEP_1)
	v_lshlrev_b64 v[38:39], 3, v[2:3]
	v_add_co_u32 v38, vcc_lo, s54, v38
	s_delay_alu instid0(VALU_DEP_2)
	v_add_co_ci_u32_e32 v39, vcc_lo, s55, v39, vcc_lo
	s_waitcnt lgkmcnt(0)
	global_store_b64 v[38:39], v[36:37], off
	s_or_b32 exec_lo, exec_lo, s17
	s_and_saveexec_b32 s17, s31
	s_cbranch_execnz .LBB1155_604
	s_branch .LBB1155_605
.LBB1155_589:                           ;   in Loop: Header=BB1155_398 Depth=2
	s_or_b32 exec_lo, exec_lo, s33
	s_and_saveexec_b32 s33, s17
	s_cbranch_execz .LBB1155_575
.LBB1155_590:                           ;   in Loop: Header=BB1155_398 Depth=2
	v_lshlrev_b32_e32 v2, 2, v175
	ds_load_b32 v2, v2
	ds_load_b64 v[36:37], v110 offset:2048
	s_waitcnt lgkmcnt(1)
	v_add_nc_u32_e32 v2, v2, v77
	s_delay_alu instid0(VALU_DEP_1) | instskip(NEXT) | instid1(VALU_DEP_1)
	v_lshlrev_b64 v[38:39], 3, v[2:3]
	v_add_co_u32 v38, vcc_lo, s54, v38
	s_delay_alu instid0(VALU_DEP_2)
	v_add_co_ci_u32_e32 v39, vcc_lo, s55, v39, vcc_lo
	s_waitcnt lgkmcnt(0)
	global_store_b64 v[38:39], v[36:37], off
	s_or_b32 exec_lo, exec_lo, s33
	s_and_saveexec_b32 s17, s18
	s_cbranch_execnz .LBB1155_576
.LBB1155_591:                           ;   in Loop: Header=BB1155_398 Depth=2
	s_or_b32 exec_lo, exec_lo, s17
	s_and_saveexec_b32 s17, s19
	s_cbranch_execz .LBB1155_577
.LBB1155_592:                           ;   in Loop: Header=BB1155_398 Depth=2
	v_lshlrev_b32_e32 v2, 2, v173
	ds_load_b32 v2, v2
	ds_load_b64 v[36:37], v110 offset:6144
	s_waitcnt lgkmcnt(1)
	v_add_nc_u32_e32 v2, v2, v79
	s_delay_alu instid0(VALU_DEP_1) | instskip(NEXT) | instid1(VALU_DEP_1)
	v_lshlrev_b64 v[38:39], 3, v[2:3]
	v_add_co_u32 v38, vcc_lo, s54, v38
	s_delay_alu instid0(VALU_DEP_2)
	v_add_co_ci_u32_e32 v39, vcc_lo, s55, v39, vcc_lo
	s_waitcnt lgkmcnt(0)
	global_store_b64 v[38:39], v[36:37], off
	s_or_b32 exec_lo, exec_lo, s17
	s_and_saveexec_b32 s17, s20
	s_cbranch_execnz .LBB1155_578
.LBB1155_593:                           ;   in Loop: Header=BB1155_398 Depth=2
	s_or_b32 exec_lo, exec_lo, s17
	s_and_saveexec_b32 s17, s21
	s_cbranch_execz .LBB1155_579
.LBB1155_594:                           ;   in Loop: Header=BB1155_398 Depth=2
	v_lshlrev_b32_e32 v2, 2, v171
	ds_load_b32 v2, v2
	ds_load_b64 v[36:37], v110 offset:10240
	s_waitcnt lgkmcnt(1)
	v_add_nc_u32_e32 v2, v2, v84
	s_delay_alu instid0(VALU_DEP_1) | instskip(NEXT) | instid1(VALU_DEP_1)
	v_lshlrev_b64 v[38:39], 3, v[2:3]
	v_add_co_u32 v38, vcc_lo, s54, v38
	s_delay_alu instid0(VALU_DEP_2)
	v_add_co_ci_u32_e32 v39, vcc_lo, s55, v39, vcc_lo
	s_waitcnt lgkmcnt(0)
	global_store_b64 v[38:39], v[36:37], off
	s_or_b32 exec_lo, exec_lo, s17
	s_and_saveexec_b32 s17, s22
	s_cbranch_execnz .LBB1155_580
.LBB1155_595:                           ;   in Loop: Header=BB1155_398 Depth=2
	s_or_b32 exec_lo, exec_lo, s17
	s_and_saveexec_b32 s17, s23
	s_cbranch_execz .LBB1155_581
.LBB1155_596:                           ;   in Loop: Header=BB1155_398 Depth=2
	v_lshlrev_b32_e32 v2, 2, v169
	ds_load_b32 v2, v2
	ds_load_b64 v[36:37], v110 offset:14336
	s_waitcnt lgkmcnt(1)
	v_add_nc_u32_e32 v2, v2, v86
	s_delay_alu instid0(VALU_DEP_1) | instskip(NEXT) | instid1(VALU_DEP_1)
	v_lshlrev_b64 v[38:39], 3, v[2:3]
	v_add_co_u32 v38, vcc_lo, s54, v38
	s_delay_alu instid0(VALU_DEP_2)
	v_add_co_ci_u32_e32 v39, vcc_lo, s55, v39, vcc_lo
	s_waitcnt lgkmcnt(0)
	global_store_b64 v[38:39], v[36:37], off
	s_or_b32 exec_lo, exec_lo, s17
	s_and_saveexec_b32 s17, s24
	s_cbranch_execnz .LBB1155_582
.LBB1155_597:                           ;   in Loop: Header=BB1155_398 Depth=2
	s_or_b32 exec_lo, exec_lo, s17
	s_and_saveexec_b32 s17, s25
	s_cbranch_execz .LBB1155_583
.LBB1155_598:                           ;   in Loop: Header=BB1155_398 Depth=2
	v_lshlrev_b32_e32 v2, 2, v167
	ds_load_b32 v2, v2
	ds_load_b64 v[36:37], v110 offset:18432
	s_waitcnt lgkmcnt(1)
	v_add_nc_u32_e32 v2, v2, v88
	s_delay_alu instid0(VALU_DEP_1) | instskip(NEXT) | instid1(VALU_DEP_1)
	v_lshlrev_b64 v[38:39], 3, v[2:3]
	v_add_co_u32 v38, vcc_lo, s54, v38
	s_delay_alu instid0(VALU_DEP_2)
	v_add_co_ci_u32_e32 v39, vcc_lo, s55, v39, vcc_lo
	s_waitcnt lgkmcnt(0)
	global_store_b64 v[38:39], v[36:37], off
	s_or_b32 exec_lo, exec_lo, s17
	s_and_saveexec_b32 s17, s26
	s_cbranch_execnz .LBB1155_584
.LBB1155_599:                           ;   in Loop: Header=BB1155_398 Depth=2
	s_or_b32 exec_lo, exec_lo, s17
	s_and_saveexec_b32 s17, s27
	s_cbranch_execz .LBB1155_585
.LBB1155_600:                           ;   in Loop: Header=BB1155_398 Depth=2
	v_lshlrev_b32_e32 v2, 2, v165
	ds_load_b32 v2, v2
	ds_load_b64 v[36:37], v110 offset:22528
	s_waitcnt lgkmcnt(1)
	v_add_nc_u32_e32 v2, v2, v90
	s_delay_alu instid0(VALU_DEP_1) | instskip(NEXT) | instid1(VALU_DEP_1)
	v_lshlrev_b64 v[38:39], 3, v[2:3]
	v_add_co_u32 v38, vcc_lo, s54, v38
	s_delay_alu instid0(VALU_DEP_2)
	v_add_co_ci_u32_e32 v39, vcc_lo, s55, v39, vcc_lo
	s_waitcnt lgkmcnt(0)
	global_store_b64 v[38:39], v[36:37], off
	s_or_b32 exec_lo, exec_lo, s17
	s_and_saveexec_b32 s17, s28
	s_cbranch_execnz .LBB1155_586
.LBB1155_601:                           ;   in Loop: Header=BB1155_398 Depth=2
	s_or_b32 exec_lo, exec_lo, s17
	s_and_saveexec_b32 s17, s29
	s_cbranch_execz .LBB1155_587
.LBB1155_602:                           ;   in Loop: Header=BB1155_398 Depth=2
	v_lshlrev_b32_e32 v2, 2, v163
	ds_load_b32 v2, v2
	ds_load_b64 v[36:37], v110 offset:26624
	s_waitcnt lgkmcnt(1)
	v_add_nc_u32_e32 v2, v2, v92
	s_delay_alu instid0(VALU_DEP_1) | instskip(NEXT) | instid1(VALU_DEP_1)
	v_lshlrev_b64 v[38:39], 3, v[2:3]
	v_add_co_u32 v38, vcc_lo, s54, v38
	s_delay_alu instid0(VALU_DEP_2)
	v_add_co_ci_u32_e32 v39, vcc_lo, s55, v39, vcc_lo
	s_waitcnt lgkmcnt(0)
	global_store_b64 v[38:39], v[36:37], off
	s_or_b32 exec_lo, exec_lo, s17
	s_and_saveexec_b32 s17, s30
	s_cbranch_execnz .LBB1155_588
.LBB1155_603:                           ;   in Loop: Header=BB1155_398 Depth=2
	s_or_b32 exec_lo, exec_lo, s17
	s_and_saveexec_b32 s17, s31
	s_cbranch_execz .LBB1155_605
.LBB1155_604:                           ;   in Loop: Header=BB1155_398 Depth=2
	v_lshlrev_b32_e32 v2, 2, v161
	ds_load_b32 v2, v2
	ds_load_b64 v[36:37], v110 offset:30720
	s_waitcnt lgkmcnt(1)
	v_add_nc_u32_e32 v2, v2, v95
	s_delay_alu instid0(VALU_DEP_1) | instskip(NEXT) | instid1(VALU_DEP_1)
	v_lshlrev_b64 v[38:39], 3, v[2:3]
	v_add_co_u32 v38, vcc_lo, s54, v38
	s_delay_alu instid0(VALU_DEP_2)
	v_add_co_ci_u32_e32 v39, vcc_lo, s55, v39, vcc_lo
	s_waitcnt lgkmcnt(0)
	global_store_b64 v[38:39], v[36:37], off
.LBB1155_605:                           ;   in Loop: Header=BB1155_398 Depth=2
	s_or_b32 exec_lo, exec_lo, s17
	s_waitcnt_vscnt null, 0x0
	s_barrier
	buffer_gl0_inv
	s_and_saveexec_b32 s17, s2
	s_cbranch_execz .LBB1155_397
; %bb.606:                              ;   in Loop: Header=BB1155_398 Depth=2
	ds_load_b32 v2, v76
	s_waitcnt lgkmcnt(0)
	v_add_nc_u32_e32 v2, v2, v68
	ds_store_b32 v76, v2
	s_branch .LBB1155_397
.LBB1155_607:                           ;   in Loop: Header=BB1155_17 Depth=1
	s_waitcnt lgkmcnt(0)
	s_barrier
.LBB1155_608:                           ;   in Loop: Header=BB1155_17 Depth=1
	s_mov_b32 s1, 0
.LBB1155_609:                           ;   in Loop: Header=BB1155_17 Depth=1
	s_delay_alu instid0(SALU_CYCLE_1)
	s_and_not1_b32 vcc_lo, exec_lo, s1
	s_cbranch_vccnz .LBB1155_16
; %bb.610:                              ;   in Loop: Header=BB1155_17 Depth=1
	s_lshl_b32 s1, -1, s42
	s_and_b32 vcc_lo, exec_lo, s59
	s_not_b32 s42, s1
	s_mov_b32 s1, -1
	s_cbranch_vccz .LBB1155_905
; %bb.611:                              ;   in Loop: Header=BB1155_17 Depth=1
	s_mov_b32 s1, s62
	s_mov_b32 s8, s60
	s_barrier
	buffer_gl0_inv
                                        ; implicit-def: $vgpr34_vgpr35
                                        ; implicit-def: $vgpr4_vgpr5
                                        ; implicit-def: $vgpr6_vgpr7
                                        ; implicit-def: $vgpr8_vgpr9
                                        ; implicit-def: $vgpr10_vgpr11
                                        ; implicit-def: $vgpr12_vgpr13
                                        ; implicit-def: $vgpr14_vgpr15
                                        ; implicit-def: $vgpr16_vgpr17
                                        ; implicit-def: $vgpr18_vgpr19
                                        ; implicit-def: $vgpr20_vgpr21
                                        ; implicit-def: $vgpr22_vgpr23
                                        ; implicit-def: $vgpr24_vgpr25
                                        ; implicit-def: $vgpr26_vgpr27
                                        ; implicit-def: $vgpr28_vgpr29
                                        ; implicit-def: $vgpr30_vgpr31
                                        ; implicit-def: $vgpr32_vgpr33
	s_branch .LBB1155_613
.LBB1155_612:                           ;   in Loop: Header=BB1155_613 Depth=2
	s_or_b32 exec_lo, exec_lo, s8
	s_addk_i32 s1, 0xf000
	s_cmp_ge_u32 s7, s61
	s_mov_b32 s8, s7
	s_cbranch_scc1 .LBB1155_683
.LBB1155_613:                           ;   Parent Loop BB1155_17 Depth=1
                                        ; =>  This Inner Loop Header: Depth=2
	s_add_i32 s7, s8, 0x1000
	s_delay_alu instid0(SALU_CYCLE_1)
	s_cmp_gt_u32 s7, s61
	s_cbranch_scc1 .LBB1155_616
; %bb.614:                              ;   in Loop: Header=BB1155_613 Depth=2
	s_mov_b32 s9, 0
	s_movk_i32 s13, 0x1000
	s_lshl_b64 s[10:11], s[8:9], 3
	s_mov_b32 s12, -1
	v_add_co_u32 v36, vcc_lo, v117, s10
	v_add_co_ci_u32_e32 v37, vcc_lo, s11, v118, vcc_lo
	s_waitcnt vmcnt(12)
	s_delay_alu instid0(VALU_DEP_2) | instskip(NEXT) | instid1(VALU_DEP_2)
	v_add_co_u32 v42, vcc_lo, 0x1000, v36
	v_add_co_ci_u32_e32 v43, vcc_lo, 0, v37, vcc_lo
	s_waitcnt vmcnt(11)
	v_add_co_u32 v44, vcc_lo, 0x2000, v36
	v_add_co_ci_u32_e32 v45, vcc_lo, 0, v37, vcc_lo
	s_waitcnt vmcnt(1)
	v_add_co_u32 v50, vcc_lo, v36, 0x2000
	v_add_co_ci_u32_e32 v51, vcc_lo, 0, v37, vcc_lo
	v_add_co_u32 v52, vcc_lo, v36, 0x4000
	v_add_co_ci_u32_e32 v53, vcc_lo, 0, v37, vcc_lo
	;; [unrolled: 2-line block ×7, first 2 shown]
	s_waitcnt vmcnt(0)
	v_add_co_u32 v66, vcc_lo, 0x7000, v36
	v_add_co_ci_u32_e32 v67, vcc_lo, 0, v37, vcc_lo
	s_clause 0xe
	global_load_b64 v[38:39], v[36:37], off
	global_load_b64 v[40:41], v[36:37], off offset:2048
	global_load_b64 v[42:43], v[42:43], off offset:2048
	;; [unrolled: 1-line block ×3, first 2 shown]
	global_load_b64 v[46:47], v[50:51], off
	global_load_b64 v[48:49], v[52:53], off offset:-4096
	global_load_b64 v[52:53], v[52:53], off
	global_load_b64 v[56:57], v[60:61], off offset:-4096
	global_load_b64 v[60:61], v[60:61], off
	global_load_b64 v[54:55], v[54:55], off offset:2048
	global_load_b64 v[58:59], v[58:59], off offset:2048
	global_load_b64 v[62:63], v[62:63], off offset:2048
	global_load_b64 v[64:65], v[64:65], off offset:2048
	global_load_b64 v[50:51], v[50:51], off offset:-4096
	global_load_b64 v[66:67], v[66:67], off
	v_add_co_u32 v36, vcc_lo, 0x7800, v36
	v_add_co_ci_u32_e32 v37, vcc_lo, 0, v37, vcc_lo
	s_cbranch_execz .LBB1155_617
; %bb.615:                              ;   in Loop: Header=BB1155_613 Depth=2
                                        ; implicit-def: $vgpr32_vgpr33
                                        ; implicit-def: $vgpr30_vgpr31
                                        ; implicit-def: $vgpr28_vgpr29
                                        ; implicit-def: $vgpr26_vgpr27
                                        ; implicit-def: $vgpr24_vgpr25
                                        ; implicit-def: $vgpr22_vgpr23
                                        ; implicit-def: $vgpr20_vgpr21
                                        ; implicit-def: $vgpr18_vgpr19
                                        ; implicit-def: $vgpr16_vgpr17
                                        ; implicit-def: $vgpr14_vgpr15
                                        ; implicit-def: $vgpr12_vgpr13
                                        ; implicit-def: $vgpr10_vgpr11
                                        ; implicit-def: $vgpr8_vgpr9
                                        ; implicit-def: $vgpr6_vgpr7
                                        ; implicit-def: $vgpr4_vgpr5
                                        ; implicit-def: $vgpr34_vgpr35
	v_mov_b32_e32 v2, s1
	s_and_saveexec_b32 s8, s12
	s_cbranch_execnz .LBB1155_636
	s_branch .LBB1155_637
.LBB1155_616:                           ;   in Loop: Header=BB1155_613 Depth=2
	s_mov_b32 s12, 0
                                        ; implicit-def: $sgpr13
                                        ; implicit-def: $vgpr38_vgpr39
                                        ; implicit-def: $vgpr40_vgpr41
                                        ; implicit-def: $vgpr50_vgpr51
                                        ; implicit-def: $vgpr42_vgpr43
                                        ; implicit-def: $vgpr46_vgpr47
                                        ; implicit-def: $vgpr44_vgpr45
                                        ; implicit-def: $vgpr48_vgpr49
                                        ; implicit-def: $vgpr54_vgpr55
                                        ; implicit-def: $vgpr52_vgpr53
                                        ; implicit-def: $vgpr58_vgpr59
                                        ; implicit-def: $vgpr56_vgpr57
                                        ; implicit-def: $vgpr62_vgpr63
                                        ; implicit-def: $vgpr60_vgpr61
                                        ; implicit-def: $vgpr64_vgpr65
                                        ; implicit-def: $vgpr66_vgpr67
                                        ; implicit-def: $vgpr36_vgpr37
.LBB1155_617:                           ;   in Loop: Header=BB1155_613 Depth=2
	s_mov_b32 s9, s34
	s_delay_alu instid0(SALU_CYCLE_1)
	s_lshl_b64 s[10:11], s[8:9], 3
	s_mov_b32 s9, exec_lo
	s_add_u32 s10, s44, s10
	s_addc_u32 s11, s45, s11
	v_cmpx_gt_u32_e64 s1, v1
	s_cbranch_execz .LBB1155_669
; %bb.618:                              ;   in Loop: Header=BB1155_613 Depth=2
	global_load_b64 v[32:33], v124, s[10:11]
	s_or_b32 exec_lo, exec_lo, s9
	s_delay_alu instid0(SALU_CYCLE_1)
	s_mov_b32 s9, exec_lo
	v_cmpx_gt_u32_e64 s1, v77
	s_cbranch_execnz .LBB1155_670
.LBB1155_619:                           ;   in Loop: Header=BB1155_613 Depth=2
	s_or_b32 exec_lo, exec_lo, s9
	s_delay_alu instid0(SALU_CYCLE_1)
	s_mov_b32 s9, exec_lo
	v_cmpx_gt_u32_e64 s1, v78
	s_cbranch_execz .LBB1155_671
.LBB1155_620:                           ;   in Loop: Header=BB1155_613 Depth=2
	global_load_b64 v[28:29], v125, s[10:11]
	s_or_b32 exec_lo, exec_lo, s9
	s_delay_alu instid0(SALU_CYCLE_1)
	s_mov_b32 s9, exec_lo
	v_cmpx_gt_u32_e64 s1, v79
	s_cbranch_execnz .LBB1155_672
.LBB1155_621:                           ;   in Loop: Header=BB1155_613 Depth=2
	s_or_b32 exec_lo, exec_lo, s9
	s_delay_alu instid0(SALU_CYCLE_1)
	s_mov_b32 s9, exec_lo
	v_cmpx_gt_u32_e64 s1, v83
	s_cbranch_execz .LBB1155_673
.LBB1155_622:                           ;   in Loop: Header=BB1155_613 Depth=2
	global_load_b64 v[24:25], v127, s[10:11]
	s_or_b32 exec_lo, exec_lo, s9
	s_delay_alu instid0(SALU_CYCLE_1)
	s_mov_b32 s9, exec_lo
	v_cmpx_gt_u32_e64 s1, v84
	s_cbranch_execnz .LBB1155_674
.LBB1155_623:                           ;   in Loop: Header=BB1155_613 Depth=2
	s_or_b32 exec_lo, exec_lo, s9
	s_delay_alu instid0(SALU_CYCLE_1)
	s_mov_b32 s9, exec_lo
	v_cmpx_gt_u32_e64 s1, v85
	s_cbranch_execz .LBB1155_675
.LBB1155_624:                           ;   in Loop: Header=BB1155_613 Depth=2
	global_load_b64 v[20:21], v129, s[10:11]
	s_or_b32 exec_lo, exec_lo, s9
	s_delay_alu instid0(SALU_CYCLE_1)
	s_mov_b32 s9, exec_lo
	v_cmpx_gt_u32_e64 s1, v86
	s_cbranch_execnz .LBB1155_676
.LBB1155_625:                           ;   in Loop: Header=BB1155_613 Depth=2
	s_or_b32 exec_lo, exec_lo, s9
	s_delay_alu instid0(SALU_CYCLE_1)
	s_mov_b32 s9, exec_lo
	v_cmpx_gt_u32_e64 s1, v87
	s_cbranch_execz .LBB1155_677
.LBB1155_626:                           ;   in Loop: Header=BB1155_613 Depth=2
	global_load_b64 v[16:17], v131, s[10:11]
	s_or_b32 exec_lo, exec_lo, s9
	s_delay_alu instid0(SALU_CYCLE_1)
	s_mov_b32 s9, exec_lo
	v_cmpx_gt_u32_e64 s1, v88
	s_cbranch_execnz .LBB1155_678
.LBB1155_627:                           ;   in Loop: Header=BB1155_613 Depth=2
	s_or_b32 exec_lo, exec_lo, s9
	s_delay_alu instid0(SALU_CYCLE_1)
	s_mov_b32 s9, exec_lo
	v_cmpx_gt_u32_e64 s1, v89
	s_cbranch_execz .LBB1155_679
.LBB1155_628:                           ;   in Loop: Header=BB1155_613 Depth=2
	global_load_b64 v[12:13], v133, s[10:11]
	s_or_b32 exec_lo, exec_lo, s9
	s_delay_alu instid0(SALU_CYCLE_1)
	s_mov_b32 s9, exec_lo
	v_cmpx_gt_u32_e64 s1, v90
	s_cbranch_execnz .LBB1155_680
.LBB1155_629:                           ;   in Loop: Header=BB1155_613 Depth=2
	s_or_b32 exec_lo, exec_lo, s9
	s_delay_alu instid0(SALU_CYCLE_1)
	s_mov_b32 s9, exec_lo
	v_cmpx_gt_u32_e64 s1, v91
	s_cbranch_execz .LBB1155_681
.LBB1155_630:                           ;   in Loop: Header=BB1155_613 Depth=2
	global_load_b64 v[8:9], v135, s[10:11]
	s_or_b32 exec_lo, exec_lo, s9
	s_delay_alu instid0(SALU_CYCLE_1)
	s_mov_b32 s9, exec_lo
	v_cmpx_gt_u32_e64 s1, v92
	s_cbranch_execnz .LBB1155_682
.LBB1155_631:                           ;   in Loop: Header=BB1155_613 Depth=2
	s_or_b32 exec_lo, exec_lo, s9
	s_delay_alu instid0(SALU_CYCLE_1)
	s_mov_b32 s9, exec_lo
	v_cmpx_gt_u32_e64 s1, v93
	s_cbranch_execz .LBB1155_633
.LBB1155_632:                           ;   in Loop: Header=BB1155_613 Depth=2
	v_lshlrev_b32_e32 v2, 3, v93
	global_load_b64 v[4:5], v2, s[10:11]
.LBB1155_633:                           ;   in Loop: Header=BB1155_613 Depth=2
	s_or_b32 exec_lo, exec_lo, s9
	s_delay_alu instid0(SALU_CYCLE_1)
	s_mov_b32 s9, exec_lo
                                        ; implicit-def: $sgpr13
                                        ; implicit-def: $vgpr36_vgpr37
	v_cmpx_gt_u32_e64 s1, v95
; %bb.634:                              ;   in Loop: Header=BB1155_613 Depth=2
	v_lshlrev_b32_e32 v2, 3, v95
	s_sub_i32 s13, s61, s8
	s_or_b32 s12, s12, exec_lo
                                        ; implicit-def: $vgpr34_vgpr35
	s_delay_alu instid0(VALU_DEP_1) | instskip(NEXT) | instid1(VALU_DEP_1)
	v_add_co_u32 v36, s10, s10, v2
	v_add_co_ci_u32_e64 v37, null, s11, 0, s10
; %bb.635:                              ;   in Loop: Header=BB1155_613 Depth=2
	s_or_b32 exec_lo, exec_lo, s9
	s_waitcnt vmcnt(0)
	v_dual_mov_b32 v39, v33 :: v_dual_mov_b32 v38, v32
	v_dual_mov_b32 v41, v31 :: v_dual_mov_b32 v40, v30
	;; [unrolled: 1-line block ×15, first 2 shown]
	v_mov_b32_e32 v2, s1
	s_and_saveexec_b32 s8, s12
	s_cbranch_execz .LBB1155_637
.LBB1155_636:                           ;   in Loop: Header=BB1155_613 Depth=2
	global_load_b64 v[34:35], v[36:37], off
	s_waitcnt vmcnt(1)
	v_mov_b32_e32 v4, v66
	v_mov_b32_e32 v6, v64
	;; [unrolled: 1-line block ×14, first 2 shown]
	v_dual_mov_b32 v32, v38 :: v_dual_mov_b32 v33, v39
	v_dual_mov_b32 v2, s13 :: v_dual_mov_b32 v5, v67
	v_mov_b32_e32 v7, v65
	v_mov_b32_e32 v9, v61
	;; [unrolled: 1-line block ×13, first 2 shown]
.LBB1155_637:                           ;   in Loop: Header=BB1155_613 Depth=2
	s_or_b32 exec_lo, exec_lo, s8
	s_delay_alu instid0(SALU_CYCLE_1)
	s_mov_b32 s8, exec_lo
	v_cmpx_lt_u32_e64 v1, v2
	s_cbranch_execz .LBB1155_653
; %bb.638:                              ;   in Loop: Header=BB1155_613 Depth=2
	v_cmp_gt_i64_e32 vcc_lo, 0, v[32:33]
	v_ashrrev_i32_e32 v36, 31, v33
	s_delay_alu instid0(VALU_DEP_1) | instskip(SKIP_1) | instid1(VALU_DEP_2)
	v_not_b32_e32 v36, v36
	v_cndmask_b32_e64 v37, 0x7fffffff, 0, vcc_lo
	v_xor_b32_e32 v36, v36, v32
	s_delay_alu instid0(VALU_DEP_2) | instskip(NEXT) | instid1(VALU_DEP_1)
	v_xor_b32_e32 v37, v37, v33
	v_cmp_ne_u64_e32 vcc_lo, s[34:35], v[36:37]
	v_cndmask_b32_e32 v37, 0x7fffffff, v37, vcc_lo
	v_cndmask_b32_e32 v36, -1, v36, vcc_lo
	s_delay_alu instid0(VALU_DEP_1) | instskip(SKIP_1) | instid1(VALU_DEP_2)
	v_lshrrev_b64 v[36:37], s40, v[36:37]
	v_lshlrev_b32_e32 v37, 2, v80
	v_and_b32_e32 v36, s42, v36
	s_delay_alu instid0(VALU_DEP_1) | instskip(SKIP_2) | instid1(SALU_CYCLE_1)
	v_lshl_or_b32 v36, v36, 4, v37
	ds_add_u32 v36, v123
	s_or_b32 exec_lo, exec_lo, s8
	s_mov_b32 s8, exec_lo
	v_cmpx_lt_u32_e64 v77, v2
	s_cbranch_execnz .LBB1155_654
.LBB1155_639:                           ;   in Loop: Header=BB1155_613 Depth=2
	s_or_b32 exec_lo, exec_lo, s8
	s_delay_alu instid0(SALU_CYCLE_1)
	s_mov_b32 s8, exec_lo
	v_cmpx_lt_u32_e64 v78, v2
	s_cbranch_execz .LBB1155_655
.LBB1155_640:                           ;   in Loop: Header=BB1155_613 Depth=2
	v_cmp_gt_i64_e32 vcc_lo, 0, v[28:29]
	v_ashrrev_i32_e32 v36, 31, v29
	s_delay_alu instid0(VALU_DEP_1) | instskip(SKIP_1) | instid1(VALU_DEP_2)
	v_not_b32_e32 v36, v36
	v_cndmask_b32_e64 v37, 0x7fffffff, 0, vcc_lo
	v_xor_b32_e32 v36, v36, v28
	s_delay_alu instid0(VALU_DEP_2) | instskip(NEXT) | instid1(VALU_DEP_1)
	v_xor_b32_e32 v37, v37, v29
	v_cmp_ne_u64_e32 vcc_lo, s[34:35], v[36:37]
	v_cndmask_b32_e32 v37, 0x7fffffff, v37, vcc_lo
	v_cndmask_b32_e32 v36, -1, v36, vcc_lo
	s_delay_alu instid0(VALU_DEP_1) | instskip(SKIP_1) | instid1(VALU_DEP_2)
	v_lshrrev_b64 v[36:37], s40, v[36:37]
	v_lshlrev_b32_e32 v37, 2, v80
	v_and_b32_e32 v36, s42, v36
	s_delay_alu instid0(VALU_DEP_1) | instskip(SKIP_2) | instid1(SALU_CYCLE_1)
	v_lshl_or_b32 v36, v36, 4, v37
	ds_add_u32 v36, v123
	s_or_b32 exec_lo, exec_lo, s8
	s_mov_b32 s8, exec_lo
	v_cmpx_lt_u32_e64 v79, v2
	s_cbranch_execnz .LBB1155_656
.LBB1155_641:                           ;   in Loop: Header=BB1155_613 Depth=2
	s_or_b32 exec_lo, exec_lo, s8
	s_delay_alu instid0(SALU_CYCLE_1)
	s_mov_b32 s8, exec_lo
	v_cmpx_lt_u32_e64 v83, v2
	s_cbranch_execz .LBB1155_657
.LBB1155_642:                           ;   in Loop: Header=BB1155_613 Depth=2
	v_cmp_gt_i64_e32 vcc_lo, 0, v[24:25]
	v_ashrrev_i32_e32 v36, 31, v25
	s_delay_alu instid0(VALU_DEP_1) | instskip(SKIP_1) | instid1(VALU_DEP_2)
	v_not_b32_e32 v36, v36
	v_cndmask_b32_e64 v37, 0x7fffffff, 0, vcc_lo
	v_xor_b32_e32 v36, v36, v24
	s_delay_alu instid0(VALU_DEP_2) | instskip(NEXT) | instid1(VALU_DEP_1)
	v_xor_b32_e32 v37, v37, v25
	v_cmp_ne_u64_e32 vcc_lo, s[34:35], v[36:37]
	v_cndmask_b32_e32 v37, 0x7fffffff, v37, vcc_lo
	v_cndmask_b32_e32 v36, -1, v36, vcc_lo
	s_delay_alu instid0(VALU_DEP_1) | instskip(SKIP_1) | instid1(VALU_DEP_2)
	v_lshrrev_b64 v[36:37], s40, v[36:37]
	v_lshlrev_b32_e32 v37, 2, v80
	v_and_b32_e32 v36, s42, v36
	s_delay_alu instid0(VALU_DEP_1) | instskip(SKIP_2) | instid1(SALU_CYCLE_1)
	v_lshl_or_b32 v36, v36, 4, v37
	ds_add_u32 v36, v123
	s_or_b32 exec_lo, exec_lo, s8
	s_mov_b32 s8, exec_lo
	v_cmpx_lt_u32_e64 v84, v2
	s_cbranch_execnz .LBB1155_658
.LBB1155_643:                           ;   in Loop: Header=BB1155_613 Depth=2
	s_or_b32 exec_lo, exec_lo, s8
	s_delay_alu instid0(SALU_CYCLE_1)
	s_mov_b32 s8, exec_lo
	v_cmpx_lt_u32_e64 v85, v2
	s_cbranch_execz .LBB1155_659
.LBB1155_644:                           ;   in Loop: Header=BB1155_613 Depth=2
	v_cmp_gt_i64_e32 vcc_lo, 0, v[20:21]
	v_ashrrev_i32_e32 v36, 31, v21
	s_delay_alu instid0(VALU_DEP_1) | instskip(SKIP_1) | instid1(VALU_DEP_2)
	v_not_b32_e32 v36, v36
	v_cndmask_b32_e64 v37, 0x7fffffff, 0, vcc_lo
	v_xor_b32_e32 v36, v36, v20
	s_delay_alu instid0(VALU_DEP_2) | instskip(NEXT) | instid1(VALU_DEP_1)
	v_xor_b32_e32 v37, v37, v21
	v_cmp_ne_u64_e32 vcc_lo, s[34:35], v[36:37]
	v_cndmask_b32_e32 v37, 0x7fffffff, v37, vcc_lo
	v_cndmask_b32_e32 v36, -1, v36, vcc_lo
	s_delay_alu instid0(VALU_DEP_1) | instskip(SKIP_1) | instid1(VALU_DEP_2)
	v_lshrrev_b64 v[36:37], s40, v[36:37]
	v_lshlrev_b32_e32 v37, 2, v80
	v_and_b32_e32 v36, s42, v36
	s_delay_alu instid0(VALU_DEP_1) | instskip(SKIP_2) | instid1(SALU_CYCLE_1)
	v_lshl_or_b32 v36, v36, 4, v37
	ds_add_u32 v36, v123
	s_or_b32 exec_lo, exec_lo, s8
	s_mov_b32 s8, exec_lo
	v_cmpx_lt_u32_e64 v86, v2
	s_cbranch_execnz .LBB1155_660
.LBB1155_645:                           ;   in Loop: Header=BB1155_613 Depth=2
	s_or_b32 exec_lo, exec_lo, s8
	s_delay_alu instid0(SALU_CYCLE_1)
	s_mov_b32 s8, exec_lo
	v_cmpx_lt_u32_e64 v87, v2
	s_cbranch_execz .LBB1155_661
.LBB1155_646:                           ;   in Loop: Header=BB1155_613 Depth=2
	v_cmp_gt_i64_e32 vcc_lo, 0, v[16:17]
	v_ashrrev_i32_e32 v36, 31, v17
	s_delay_alu instid0(VALU_DEP_1) | instskip(SKIP_1) | instid1(VALU_DEP_2)
	v_not_b32_e32 v36, v36
	v_cndmask_b32_e64 v37, 0x7fffffff, 0, vcc_lo
	v_xor_b32_e32 v36, v36, v16
	s_delay_alu instid0(VALU_DEP_2) | instskip(NEXT) | instid1(VALU_DEP_1)
	v_xor_b32_e32 v37, v37, v17
	v_cmp_ne_u64_e32 vcc_lo, s[34:35], v[36:37]
	v_cndmask_b32_e32 v37, 0x7fffffff, v37, vcc_lo
	v_cndmask_b32_e32 v36, -1, v36, vcc_lo
	s_delay_alu instid0(VALU_DEP_1) | instskip(SKIP_1) | instid1(VALU_DEP_2)
	v_lshrrev_b64 v[36:37], s40, v[36:37]
	v_lshlrev_b32_e32 v37, 2, v80
	v_and_b32_e32 v36, s42, v36
	s_delay_alu instid0(VALU_DEP_1) | instskip(SKIP_2) | instid1(SALU_CYCLE_1)
	v_lshl_or_b32 v36, v36, 4, v37
	ds_add_u32 v36, v123
	s_or_b32 exec_lo, exec_lo, s8
	s_mov_b32 s8, exec_lo
	v_cmpx_lt_u32_e64 v88, v2
	s_cbranch_execnz .LBB1155_662
.LBB1155_647:                           ;   in Loop: Header=BB1155_613 Depth=2
	s_or_b32 exec_lo, exec_lo, s8
	s_delay_alu instid0(SALU_CYCLE_1)
	s_mov_b32 s8, exec_lo
	v_cmpx_lt_u32_e64 v89, v2
	s_cbranch_execz .LBB1155_663
.LBB1155_648:                           ;   in Loop: Header=BB1155_613 Depth=2
	v_cmp_gt_i64_e32 vcc_lo, 0, v[12:13]
	v_ashrrev_i32_e32 v36, 31, v13
	s_delay_alu instid0(VALU_DEP_1) | instskip(SKIP_1) | instid1(VALU_DEP_2)
	v_not_b32_e32 v36, v36
	v_cndmask_b32_e64 v37, 0x7fffffff, 0, vcc_lo
	v_xor_b32_e32 v36, v36, v12
	s_delay_alu instid0(VALU_DEP_2) | instskip(NEXT) | instid1(VALU_DEP_1)
	v_xor_b32_e32 v37, v37, v13
	v_cmp_ne_u64_e32 vcc_lo, s[34:35], v[36:37]
	v_cndmask_b32_e32 v37, 0x7fffffff, v37, vcc_lo
	v_cndmask_b32_e32 v36, -1, v36, vcc_lo
	s_delay_alu instid0(VALU_DEP_1) | instskip(SKIP_1) | instid1(VALU_DEP_2)
	v_lshrrev_b64 v[36:37], s40, v[36:37]
	v_lshlrev_b32_e32 v37, 2, v80
	v_and_b32_e32 v36, s42, v36
	s_delay_alu instid0(VALU_DEP_1) | instskip(SKIP_2) | instid1(SALU_CYCLE_1)
	v_lshl_or_b32 v36, v36, 4, v37
	ds_add_u32 v36, v123
	s_or_b32 exec_lo, exec_lo, s8
	s_mov_b32 s8, exec_lo
	v_cmpx_lt_u32_e64 v90, v2
	s_cbranch_execnz .LBB1155_664
.LBB1155_649:                           ;   in Loop: Header=BB1155_613 Depth=2
	s_or_b32 exec_lo, exec_lo, s8
	s_delay_alu instid0(SALU_CYCLE_1)
	s_mov_b32 s8, exec_lo
	v_cmpx_lt_u32_e64 v91, v2
	s_cbranch_execz .LBB1155_665
.LBB1155_650:                           ;   in Loop: Header=BB1155_613 Depth=2
	v_cmp_gt_i64_e32 vcc_lo, 0, v[8:9]
	v_ashrrev_i32_e32 v36, 31, v9
	s_delay_alu instid0(VALU_DEP_1) | instskip(SKIP_1) | instid1(VALU_DEP_2)
	v_not_b32_e32 v36, v36
	v_cndmask_b32_e64 v37, 0x7fffffff, 0, vcc_lo
	v_xor_b32_e32 v36, v36, v8
	s_delay_alu instid0(VALU_DEP_2) | instskip(NEXT) | instid1(VALU_DEP_1)
	v_xor_b32_e32 v37, v37, v9
	v_cmp_ne_u64_e32 vcc_lo, s[34:35], v[36:37]
	v_cndmask_b32_e32 v37, 0x7fffffff, v37, vcc_lo
	v_cndmask_b32_e32 v36, -1, v36, vcc_lo
	s_delay_alu instid0(VALU_DEP_1) | instskip(SKIP_1) | instid1(VALU_DEP_2)
	v_lshrrev_b64 v[36:37], s40, v[36:37]
	v_lshlrev_b32_e32 v37, 2, v80
	v_and_b32_e32 v36, s42, v36
	s_delay_alu instid0(VALU_DEP_1) | instskip(SKIP_2) | instid1(SALU_CYCLE_1)
	v_lshl_or_b32 v36, v36, 4, v37
	ds_add_u32 v36, v123
	s_or_b32 exec_lo, exec_lo, s8
	s_mov_b32 s8, exec_lo
	v_cmpx_lt_u32_e64 v92, v2
	s_cbranch_execnz .LBB1155_666
.LBB1155_651:                           ;   in Loop: Header=BB1155_613 Depth=2
	s_or_b32 exec_lo, exec_lo, s8
	s_delay_alu instid0(SALU_CYCLE_1)
	s_mov_b32 s8, exec_lo
	v_cmpx_lt_u32_e64 v93, v2
	s_cbranch_execz .LBB1155_667
.LBB1155_652:                           ;   in Loop: Header=BB1155_613 Depth=2
	v_cmp_gt_i64_e32 vcc_lo, 0, v[4:5]
	v_ashrrev_i32_e32 v36, 31, v5
	s_delay_alu instid0(VALU_DEP_1) | instskip(SKIP_1) | instid1(VALU_DEP_2)
	v_not_b32_e32 v36, v36
	v_cndmask_b32_e64 v37, 0x7fffffff, 0, vcc_lo
	v_xor_b32_e32 v36, v36, v4
	s_delay_alu instid0(VALU_DEP_2) | instskip(NEXT) | instid1(VALU_DEP_1)
	v_xor_b32_e32 v37, v37, v5
	v_cmp_ne_u64_e32 vcc_lo, s[34:35], v[36:37]
	v_cndmask_b32_e32 v37, 0x7fffffff, v37, vcc_lo
	v_cndmask_b32_e32 v36, -1, v36, vcc_lo
	s_delay_alu instid0(VALU_DEP_1) | instskip(SKIP_1) | instid1(VALU_DEP_2)
	v_lshrrev_b64 v[36:37], s40, v[36:37]
	v_lshlrev_b32_e32 v37, 2, v80
	v_and_b32_e32 v36, s42, v36
	s_delay_alu instid0(VALU_DEP_1) | instskip(SKIP_2) | instid1(SALU_CYCLE_1)
	v_lshl_or_b32 v36, v36, 4, v37
	ds_add_u32 v36, v123
	s_or_b32 exec_lo, exec_lo, s8
	s_mov_b32 s8, exec_lo
	v_cmpx_lt_u32_e64 v95, v2
	s_cbranch_execz .LBB1155_612
	s_branch .LBB1155_668
.LBB1155_653:                           ;   in Loop: Header=BB1155_613 Depth=2
	s_or_b32 exec_lo, exec_lo, s8
	s_delay_alu instid0(SALU_CYCLE_1)
	s_mov_b32 s8, exec_lo
	v_cmpx_lt_u32_e64 v77, v2
	s_cbranch_execz .LBB1155_639
.LBB1155_654:                           ;   in Loop: Header=BB1155_613 Depth=2
	v_cmp_gt_i64_e32 vcc_lo, 0, v[30:31]
	v_ashrrev_i32_e32 v36, 31, v31
	s_delay_alu instid0(VALU_DEP_1) | instskip(SKIP_1) | instid1(VALU_DEP_2)
	v_not_b32_e32 v36, v36
	v_cndmask_b32_e64 v37, 0x7fffffff, 0, vcc_lo
	v_xor_b32_e32 v36, v36, v30
	s_delay_alu instid0(VALU_DEP_2) | instskip(NEXT) | instid1(VALU_DEP_1)
	v_xor_b32_e32 v37, v37, v31
	v_cmp_ne_u64_e32 vcc_lo, s[34:35], v[36:37]
	v_cndmask_b32_e32 v37, 0x7fffffff, v37, vcc_lo
	v_cndmask_b32_e32 v36, -1, v36, vcc_lo
	s_delay_alu instid0(VALU_DEP_1) | instskip(SKIP_1) | instid1(VALU_DEP_2)
	v_lshrrev_b64 v[36:37], s40, v[36:37]
	v_lshlrev_b32_e32 v37, 2, v80
	v_and_b32_e32 v36, s42, v36
	s_delay_alu instid0(VALU_DEP_1) | instskip(SKIP_2) | instid1(SALU_CYCLE_1)
	v_lshl_or_b32 v36, v36, 4, v37
	ds_add_u32 v36, v123
	s_or_b32 exec_lo, exec_lo, s8
	s_mov_b32 s8, exec_lo
	v_cmpx_lt_u32_e64 v78, v2
	s_cbranch_execnz .LBB1155_640
.LBB1155_655:                           ;   in Loop: Header=BB1155_613 Depth=2
	s_or_b32 exec_lo, exec_lo, s8
	s_delay_alu instid0(SALU_CYCLE_1)
	s_mov_b32 s8, exec_lo
	v_cmpx_lt_u32_e64 v79, v2
	s_cbranch_execz .LBB1155_641
.LBB1155_656:                           ;   in Loop: Header=BB1155_613 Depth=2
	v_cmp_gt_i64_e32 vcc_lo, 0, v[26:27]
	v_ashrrev_i32_e32 v36, 31, v27
	s_delay_alu instid0(VALU_DEP_1) | instskip(SKIP_1) | instid1(VALU_DEP_2)
	v_not_b32_e32 v36, v36
	v_cndmask_b32_e64 v37, 0x7fffffff, 0, vcc_lo
	v_xor_b32_e32 v36, v36, v26
	s_delay_alu instid0(VALU_DEP_2) | instskip(NEXT) | instid1(VALU_DEP_1)
	v_xor_b32_e32 v37, v37, v27
	v_cmp_ne_u64_e32 vcc_lo, s[34:35], v[36:37]
	v_cndmask_b32_e32 v37, 0x7fffffff, v37, vcc_lo
	v_cndmask_b32_e32 v36, -1, v36, vcc_lo
	s_delay_alu instid0(VALU_DEP_1) | instskip(SKIP_1) | instid1(VALU_DEP_2)
	v_lshrrev_b64 v[36:37], s40, v[36:37]
	v_lshlrev_b32_e32 v37, 2, v80
	v_and_b32_e32 v36, s42, v36
	s_delay_alu instid0(VALU_DEP_1) | instskip(SKIP_2) | instid1(SALU_CYCLE_1)
	v_lshl_or_b32 v36, v36, 4, v37
	ds_add_u32 v36, v123
	s_or_b32 exec_lo, exec_lo, s8
	s_mov_b32 s8, exec_lo
	v_cmpx_lt_u32_e64 v83, v2
	s_cbranch_execnz .LBB1155_642
.LBB1155_657:                           ;   in Loop: Header=BB1155_613 Depth=2
	s_or_b32 exec_lo, exec_lo, s8
	s_delay_alu instid0(SALU_CYCLE_1)
	s_mov_b32 s8, exec_lo
	v_cmpx_lt_u32_e64 v84, v2
	s_cbranch_execz .LBB1155_643
.LBB1155_658:                           ;   in Loop: Header=BB1155_613 Depth=2
	v_cmp_gt_i64_e32 vcc_lo, 0, v[22:23]
	v_ashrrev_i32_e32 v36, 31, v23
	s_delay_alu instid0(VALU_DEP_1) | instskip(SKIP_1) | instid1(VALU_DEP_2)
	v_not_b32_e32 v36, v36
	v_cndmask_b32_e64 v37, 0x7fffffff, 0, vcc_lo
	v_xor_b32_e32 v36, v36, v22
	s_delay_alu instid0(VALU_DEP_2) | instskip(NEXT) | instid1(VALU_DEP_1)
	v_xor_b32_e32 v37, v37, v23
	v_cmp_ne_u64_e32 vcc_lo, s[34:35], v[36:37]
	v_cndmask_b32_e32 v37, 0x7fffffff, v37, vcc_lo
	v_cndmask_b32_e32 v36, -1, v36, vcc_lo
	s_delay_alu instid0(VALU_DEP_1) | instskip(SKIP_1) | instid1(VALU_DEP_2)
	v_lshrrev_b64 v[36:37], s40, v[36:37]
	v_lshlrev_b32_e32 v37, 2, v80
	v_and_b32_e32 v36, s42, v36
	s_delay_alu instid0(VALU_DEP_1) | instskip(SKIP_2) | instid1(SALU_CYCLE_1)
	v_lshl_or_b32 v36, v36, 4, v37
	ds_add_u32 v36, v123
	s_or_b32 exec_lo, exec_lo, s8
	s_mov_b32 s8, exec_lo
	v_cmpx_lt_u32_e64 v85, v2
	s_cbranch_execnz .LBB1155_644
.LBB1155_659:                           ;   in Loop: Header=BB1155_613 Depth=2
	s_or_b32 exec_lo, exec_lo, s8
	s_delay_alu instid0(SALU_CYCLE_1)
	s_mov_b32 s8, exec_lo
	v_cmpx_lt_u32_e64 v86, v2
	s_cbranch_execz .LBB1155_645
.LBB1155_660:                           ;   in Loop: Header=BB1155_613 Depth=2
	v_cmp_gt_i64_e32 vcc_lo, 0, v[18:19]
	v_ashrrev_i32_e32 v36, 31, v19
	s_delay_alu instid0(VALU_DEP_1) | instskip(SKIP_1) | instid1(VALU_DEP_2)
	v_not_b32_e32 v36, v36
	v_cndmask_b32_e64 v37, 0x7fffffff, 0, vcc_lo
	v_xor_b32_e32 v36, v36, v18
	s_delay_alu instid0(VALU_DEP_2) | instskip(NEXT) | instid1(VALU_DEP_1)
	v_xor_b32_e32 v37, v37, v19
	v_cmp_ne_u64_e32 vcc_lo, s[34:35], v[36:37]
	v_cndmask_b32_e32 v37, 0x7fffffff, v37, vcc_lo
	v_cndmask_b32_e32 v36, -1, v36, vcc_lo
	s_delay_alu instid0(VALU_DEP_1) | instskip(SKIP_1) | instid1(VALU_DEP_2)
	v_lshrrev_b64 v[36:37], s40, v[36:37]
	v_lshlrev_b32_e32 v37, 2, v80
	v_and_b32_e32 v36, s42, v36
	s_delay_alu instid0(VALU_DEP_1) | instskip(SKIP_2) | instid1(SALU_CYCLE_1)
	v_lshl_or_b32 v36, v36, 4, v37
	ds_add_u32 v36, v123
	s_or_b32 exec_lo, exec_lo, s8
	s_mov_b32 s8, exec_lo
	v_cmpx_lt_u32_e64 v87, v2
	s_cbranch_execnz .LBB1155_646
.LBB1155_661:                           ;   in Loop: Header=BB1155_613 Depth=2
	s_or_b32 exec_lo, exec_lo, s8
	s_delay_alu instid0(SALU_CYCLE_1)
	s_mov_b32 s8, exec_lo
	v_cmpx_lt_u32_e64 v88, v2
	s_cbranch_execz .LBB1155_647
.LBB1155_662:                           ;   in Loop: Header=BB1155_613 Depth=2
	v_cmp_gt_i64_e32 vcc_lo, 0, v[14:15]
	v_ashrrev_i32_e32 v36, 31, v15
	s_delay_alu instid0(VALU_DEP_1) | instskip(SKIP_1) | instid1(VALU_DEP_2)
	v_not_b32_e32 v36, v36
	v_cndmask_b32_e64 v37, 0x7fffffff, 0, vcc_lo
	v_xor_b32_e32 v36, v36, v14
	s_delay_alu instid0(VALU_DEP_2) | instskip(NEXT) | instid1(VALU_DEP_1)
	v_xor_b32_e32 v37, v37, v15
	v_cmp_ne_u64_e32 vcc_lo, s[34:35], v[36:37]
	v_cndmask_b32_e32 v37, 0x7fffffff, v37, vcc_lo
	v_cndmask_b32_e32 v36, -1, v36, vcc_lo
	s_delay_alu instid0(VALU_DEP_1) | instskip(SKIP_1) | instid1(VALU_DEP_2)
	v_lshrrev_b64 v[36:37], s40, v[36:37]
	v_lshlrev_b32_e32 v37, 2, v80
	v_and_b32_e32 v36, s42, v36
	s_delay_alu instid0(VALU_DEP_1) | instskip(SKIP_2) | instid1(SALU_CYCLE_1)
	v_lshl_or_b32 v36, v36, 4, v37
	ds_add_u32 v36, v123
	s_or_b32 exec_lo, exec_lo, s8
	s_mov_b32 s8, exec_lo
	v_cmpx_lt_u32_e64 v89, v2
	s_cbranch_execnz .LBB1155_648
.LBB1155_663:                           ;   in Loop: Header=BB1155_613 Depth=2
	s_or_b32 exec_lo, exec_lo, s8
	s_delay_alu instid0(SALU_CYCLE_1)
	s_mov_b32 s8, exec_lo
	v_cmpx_lt_u32_e64 v90, v2
	s_cbranch_execz .LBB1155_649
.LBB1155_664:                           ;   in Loop: Header=BB1155_613 Depth=2
	v_cmp_gt_i64_e32 vcc_lo, 0, v[10:11]
	v_ashrrev_i32_e32 v36, 31, v11
	s_delay_alu instid0(VALU_DEP_1) | instskip(SKIP_1) | instid1(VALU_DEP_2)
	v_not_b32_e32 v36, v36
	v_cndmask_b32_e64 v37, 0x7fffffff, 0, vcc_lo
	v_xor_b32_e32 v36, v36, v10
	s_delay_alu instid0(VALU_DEP_2) | instskip(NEXT) | instid1(VALU_DEP_1)
	v_xor_b32_e32 v37, v37, v11
	v_cmp_ne_u64_e32 vcc_lo, s[34:35], v[36:37]
	v_cndmask_b32_e32 v37, 0x7fffffff, v37, vcc_lo
	v_cndmask_b32_e32 v36, -1, v36, vcc_lo
	s_delay_alu instid0(VALU_DEP_1) | instskip(SKIP_1) | instid1(VALU_DEP_2)
	v_lshrrev_b64 v[36:37], s40, v[36:37]
	v_lshlrev_b32_e32 v37, 2, v80
	v_and_b32_e32 v36, s42, v36
	s_delay_alu instid0(VALU_DEP_1) | instskip(SKIP_2) | instid1(SALU_CYCLE_1)
	v_lshl_or_b32 v36, v36, 4, v37
	ds_add_u32 v36, v123
	s_or_b32 exec_lo, exec_lo, s8
	s_mov_b32 s8, exec_lo
	v_cmpx_lt_u32_e64 v91, v2
	s_cbranch_execnz .LBB1155_650
.LBB1155_665:                           ;   in Loop: Header=BB1155_613 Depth=2
	s_or_b32 exec_lo, exec_lo, s8
	s_delay_alu instid0(SALU_CYCLE_1)
	s_mov_b32 s8, exec_lo
	v_cmpx_lt_u32_e64 v92, v2
	s_cbranch_execz .LBB1155_651
.LBB1155_666:                           ;   in Loop: Header=BB1155_613 Depth=2
	v_cmp_gt_i64_e32 vcc_lo, 0, v[6:7]
	v_ashrrev_i32_e32 v36, 31, v7
	s_delay_alu instid0(VALU_DEP_1) | instskip(SKIP_1) | instid1(VALU_DEP_2)
	v_not_b32_e32 v36, v36
	v_cndmask_b32_e64 v37, 0x7fffffff, 0, vcc_lo
	v_xor_b32_e32 v36, v36, v6
	s_delay_alu instid0(VALU_DEP_2) | instskip(NEXT) | instid1(VALU_DEP_1)
	v_xor_b32_e32 v37, v37, v7
	v_cmp_ne_u64_e32 vcc_lo, s[34:35], v[36:37]
	v_cndmask_b32_e32 v37, 0x7fffffff, v37, vcc_lo
	v_cndmask_b32_e32 v36, -1, v36, vcc_lo
	s_delay_alu instid0(VALU_DEP_1) | instskip(SKIP_1) | instid1(VALU_DEP_2)
	v_lshrrev_b64 v[36:37], s40, v[36:37]
	v_lshlrev_b32_e32 v37, 2, v80
	v_and_b32_e32 v36, s42, v36
	s_delay_alu instid0(VALU_DEP_1) | instskip(SKIP_2) | instid1(SALU_CYCLE_1)
	v_lshl_or_b32 v36, v36, 4, v37
	ds_add_u32 v36, v123
	s_or_b32 exec_lo, exec_lo, s8
	s_mov_b32 s8, exec_lo
	v_cmpx_lt_u32_e64 v93, v2
	s_cbranch_execnz .LBB1155_652
.LBB1155_667:                           ;   in Loop: Header=BB1155_613 Depth=2
	s_or_b32 exec_lo, exec_lo, s8
	s_delay_alu instid0(SALU_CYCLE_1)
	s_mov_b32 s8, exec_lo
	v_cmpx_lt_u32_e64 v95, v2
	s_cbranch_execz .LBB1155_612
.LBB1155_668:                           ;   in Loop: Header=BB1155_613 Depth=2
	s_waitcnt vmcnt(0)
	v_cmp_gt_i64_e32 vcc_lo, 0, v[34:35]
	v_ashrrev_i32_e32 v2, 31, v35
	s_delay_alu instid0(VALU_DEP_1) | instskip(SKIP_1) | instid1(VALU_DEP_1)
	v_not_b32_e32 v2, v2
	v_cndmask_b32_e64 v36, 0x7fffffff, 0, vcc_lo
	v_xor_b32_e32 v37, v36, v35
	s_delay_alu instid0(VALU_DEP_3) | instskip(NEXT) | instid1(VALU_DEP_1)
	v_xor_b32_e32 v36, v2, v34
	v_cmp_ne_u64_e32 vcc_lo, s[34:35], v[36:37]
	v_cndmask_b32_e32 v37, 0x7fffffff, v37, vcc_lo
	v_cndmask_b32_e32 v36, -1, v36, vcc_lo
	s_delay_alu instid0(VALU_DEP_1) | instskip(NEXT) | instid1(VALU_DEP_1)
	v_lshrrev_b64 v[36:37], s40, v[36:37]
	v_and_b32_e32 v2, s42, v36
	v_lshlrev_b32_e32 v36, 2, v80
	s_delay_alu instid0(VALU_DEP_1)
	v_lshl_or_b32 v2, v2, 4, v36
	ds_add_u32 v2, v123
	s_branch .LBB1155_612
.LBB1155_669:                           ;   in Loop: Header=BB1155_613 Depth=2
	s_or_b32 exec_lo, exec_lo, s9
	s_delay_alu instid0(SALU_CYCLE_1)
	s_mov_b32 s9, exec_lo
	v_cmpx_gt_u32_e64 s1, v77
	s_cbranch_execz .LBB1155_619
.LBB1155_670:                           ;   in Loop: Header=BB1155_613 Depth=2
	global_load_b64 v[30:31], v124, s[10:11] offset:2048
	s_or_b32 exec_lo, exec_lo, s9
	s_delay_alu instid0(SALU_CYCLE_1)
	s_mov_b32 s9, exec_lo
	v_cmpx_gt_u32_e64 s1, v78
	s_cbranch_execnz .LBB1155_620
.LBB1155_671:                           ;   in Loop: Header=BB1155_613 Depth=2
	s_or_b32 exec_lo, exec_lo, s9
	s_delay_alu instid0(SALU_CYCLE_1)
	s_mov_b32 s9, exec_lo
	v_cmpx_gt_u32_e64 s1, v79
	s_cbranch_execz .LBB1155_621
.LBB1155_672:                           ;   in Loop: Header=BB1155_613 Depth=2
	global_load_b64 v[26:27], v126, s[10:11]
	s_or_b32 exec_lo, exec_lo, s9
	s_delay_alu instid0(SALU_CYCLE_1)
	s_mov_b32 s9, exec_lo
	v_cmpx_gt_u32_e64 s1, v83
	s_cbranch_execnz .LBB1155_622
.LBB1155_673:                           ;   in Loop: Header=BB1155_613 Depth=2
	s_or_b32 exec_lo, exec_lo, s9
	s_delay_alu instid0(SALU_CYCLE_1)
	s_mov_b32 s9, exec_lo
	v_cmpx_gt_u32_e64 s1, v84
	s_cbranch_execz .LBB1155_623
.LBB1155_674:                           ;   in Loop: Header=BB1155_613 Depth=2
	global_load_b64 v[22:23], v128, s[10:11]
	s_or_b32 exec_lo, exec_lo, s9
	s_delay_alu instid0(SALU_CYCLE_1)
	s_mov_b32 s9, exec_lo
	v_cmpx_gt_u32_e64 s1, v85
	s_cbranch_execnz .LBB1155_624
.LBB1155_675:                           ;   in Loop: Header=BB1155_613 Depth=2
	s_or_b32 exec_lo, exec_lo, s9
	s_delay_alu instid0(SALU_CYCLE_1)
	s_mov_b32 s9, exec_lo
	v_cmpx_gt_u32_e64 s1, v86
	s_cbranch_execz .LBB1155_625
.LBB1155_676:                           ;   in Loop: Header=BB1155_613 Depth=2
	global_load_b64 v[18:19], v130, s[10:11]
	s_or_b32 exec_lo, exec_lo, s9
	s_delay_alu instid0(SALU_CYCLE_1)
	s_mov_b32 s9, exec_lo
	v_cmpx_gt_u32_e64 s1, v87
	s_cbranch_execnz .LBB1155_626
.LBB1155_677:                           ;   in Loop: Header=BB1155_613 Depth=2
	s_or_b32 exec_lo, exec_lo, s9
	s_delay_alu instid0(SALU_CYCLE_1)
	s_mov_b32 s9, exec_lo
	v_cmpx_gt_u32_e64 s1, v88
	s_cbranch_execz .LBB1155_627
.LBB1155_678:                           ;   in Loop: Header=BB1155_613 Depth=2
	global_load_b64 v[14:15], v132, s[10:11]
	s_or_b32 exec_lo, exec_lo, s9
	s_delay_alu instid0(SALU_CYCLE_1)
	s_mov_b32 s9, exec_lo
	v_cmpx_gt_u32_e64 s1, v89
	s_cbranch_execnz .LBB1155_628
.LBB1155_679:                           ;   in Loop: Header=BB1155_613 Depth=2
	s_or_b32 exec_lo, exec_lo, s9
	s_delay_alu instid0(SALU_CYCLE_1)
	s_mov_b32 s9, exec_lo
	v_cmpx_gt_u32_e64 s1, v90
	s_cbranch_execz .LBB1155_629
.LBB1155_680:                           ;   in Loop: Header=BB1155_613 Depth=2
	global_load_b64 v[10:11], v134, s[10:11]
	s_or_b32 exec_lo, exec_lo, s9
	s_delay_alu instid0(SALU_CYCLE_1)
	s_mov_b32 s9, exec_lo
	v_cmpx_gt_u32_e64 s1, v91
	s_cbranch_execnz .LBB1155_630
.LBB1155_681:                           ;   in Loop: Header=BB1155_613 Depth=2
	s_or_b32 exec_lo, exec_lo, s9
	s_delay_alu instid0(SALU_CYCLE_1)
	s_mov_b32 s9, exec_lo
	v_cmpx_gt_u32_e64 s1, v92
	s_cbranch_execz .LBB1155_631
.LBB1155_682:                           ;   in Loop: Header=BB1155_613 Depth=2
	v_lshlrev_b32_e32 v2, 3, v92
	global_load_b64 v[6:7], v2, s[10:11]
	s_or_b32 exec_lo, exec_lo, s9
	s_delay_alu instid0(SALU_CYCLE_1)
	s_mov_b32 s9, exec_lo
	v_cmpx_gt_u32_e64 s1, v93
	s_cbranch_execz .LBB1155_633
	s_branch .LBB1155_632
.LBB1155_683:                           ;   in Loop: Header=BB1155_17 Depth=1
	v_mov_b32_e32 v2, 0
	s_waitcnt vmcnt(0) lgkmcnt(0)
	s_barrier
	buffer_gl0_inv
	s_and_saveexec_b32 s1, s2
	s_cbranch_execz .LBB1155_685
; %bb.684:                              ;   in Loop: Header=BB1155_17 Depth=1
	ds_load_2addr_b64 v[4:7], v96 offset1:1
	s_waitcnt lgkmcnt(0)
	v_add_nc_u32_e32 v2, v5, v4
	s_delay_alu instid0(VALU_DEP_1)
	v_add3_u32 v2, v2, v6, v7
.LBB1155_685:                           ;   in Loop: Header=BB1155_17 Depth=1
	s_or_b32 exec_lo, exec_lo, s1
	v_and_b32_e32 v4, 15, v136
	s_delay_alu instid0(VALU_DEP_2) | instskip(SKIP_1) | instid1(VALU_DEP_3)
	v_mov_b32_dpp v5, v2 row_shr:1 row_mask:0xf bank_mask:0xf
	v_and_b32_e32 v6, 16, v136
	v_cmp_eq_u32_e64 s1, 0, v4
	v_cmp_lt_u32_e64 s7, 1, v4
	v_cmp_lt_u32_e64 s8, 3, v4
	;; [unrolled: 1-line block ×3, first 2 shown]
	v_cmp_eq_u32_e64 s10, 0, v6
	v_cndmask_b32_e64 v5, v5, 0, s1
	s_delay_alu instid0(VALU_DEP_1) | instskip(NEXT) | instid1(VALU_DEP_1)
	v_add_nc_u32_e32 v2, v5, v2
	v_mov_b32_dpp v5, v2 row_shr:2 row_mask:0xf bank_mask:0xf
	s_delay_alu instid0(VALU_DEP_1) | instskip(NEXT) | instid1(VALU_DEP_1)
	v_cndmask_b32_e64 v5, 0, v5, s7
	v_add_nc_u32_e32 v2, v2, v5
	s_delay_alu instid0(VALU_DEP_1) | instskip(NEXT) | instid1(VALU_DEP_1)
	v_mov_b32_dpp v5, v2 row_shr:4 row_mask:0xf bank_mask:0xf
	v_cndmask_b32_e64 v5, 0, v5, s8
	s_delay_alu instid0(VALU_DEP_1) | instskip(NEXT) | instid1(VALU_DEP_1)
	v_add_nc_u32_e32 v2, v2, v5
	v_mov_b32_dpp v5, v2 row_shr:8 row_mask:0xf bank_mask:0xf
	s_delay_alu instid0(VALU_DEP_1) | instskip(SKIP_1) | instid1(VALU_DEP_2)
	v_cndmask_b32_e64 v4, 0, v5, s9
	v_bfe_i32 v5, v136, 4, 1
	v_add_nc_u32_e32 v2, v2, v4
	ds_swizzle_b32 v4, v2 offset:swizzle(BROADCAST,32,15)
	s_waitcnt lgkmcnt(0)
	v_and_b32_e32 v4, v5, v4
	s_delay_alu instid0(VALU_DEP_1)
	v_add_nc_u32_e32 v4, v2, v4
	s_and_saveexec_b32 s11, s3
	s_cbranch_execz .LBB1155_687
; %bb.686:                              ;   in Loop: Header=BB1155_17 Depth=1
	ds_store_b32 v97, v4
.LBB1155_687:                           ;   in Loop: Header=BB1155_17 Depth=1
	s_or_b32 exec_lo, exec_lo, s11
	v_and_b32_e32 v2, 7, v136
	s_waitcnt lgkmcnt(0)
	s_barrier
	buffer_gl0_inv
	s_and_saveexec_b32 s11, s4
	s_cbranch_execz .LBB1155_689
; %bb.688:                              ;   in Loop: Header=BB1155_17 Depth=1
	ds_load_b32 v5, v98
	v_cmp_ne_u32_e32 vcc_lo, 0, v2
	s_waitcnt lgkmcnt(0)
	v_mov_b32_dpp v6, v5 row_shr:1 row_mask:0xf bank_mask:0xf
	s_delay_alu instid0(VALU_DEP_1) | instskip(SKIP_1) | instid1(VALU_DEP_2)
	v_cndmask_b32_e32 v6, 0, v6, vcc_lo
	v_cmp_lt_u32_e32 vcc_lo, 1, v2
	v_add_nc_u32_e32 v5, v6, v5
	s_delay_alu instid0(VALU_DEP_1) | instskip(NEXT) | instid1(VALU_DEP_1)
	v_mov_b32_dpp v6, v5 row_shr:2 row_mask:0xf bank_mask:0xf
	v_cndmask_b32_e32 v6, 0, v6, vcc_lo
	v_cmp_lt_u32_e32 vcc_lo, 3, v2
	s_delay_alu instid0(VALU_DEP_2) | instskip(NEXT) | instid1(VALU_DEP_1)
	v_add_nc_u32_e32 v5, v5, v6
	v_mov_b32_dpp v6, v5 row_shr:4 row_mask:0xf bank_mask:0xf
	s_delay_alu instid0(VALU_DEP_1) | instskip(NEXT) | instid1(VALU_DEP_1)
	v_cndmask_b32_e32 v6, 0, v6, vcc_lo
	v_add_nc_u32_e32 v5, v5, v6
	ds_store_b32 v98, v5
.LBB1155_689:                           ;   in Loop: Header=BB1155_17 Depth=1
	s_or_b32 exec_lo, exec_lo, s11
	v_mov_b32_e32 v5, 0
	s_waitcnt lgkmcnt(0)
	s_barrier
	buffer_gl0_inv
	s_and_saveexec_b32 s11, s5
	s_cbranch_execz .LBB1155_691
; %bb.690:                              ;   in Loop: Header=BB1155_17 Depth=1
	ds_load_b32 v5, v99
.LBB1155_691:                           ;   in Loop: Header=BB1155_17 Depth=1
	s_or_b32 exec_lo, exec_lo, s11
	v_add_nc_u32_e32 v6, -1, v136
	s_waitcnt lgkmcnt(0)
	v_add_nc_u32_e32 v4, v5, v4
	v_cmp_eq_u32_e64 s11, 0, v136
	s_barrier
	v_cmp_gt_i32_e32 vcc_lo, 0, v6
	buffer_gl0_inv
	v_cndmask_b32_e32 v6, v6, v136, vcc_lo
	s_delay_alu instid0(VALU_DEP_1)
	v_lshlrev_b32_e32 v137, 2, v6
	ds_bpermute_b32 v4, v137, v4
	s_and_saveexec_b32 s12, s2
	s_cbranch_execz .LBB1155_693
; %bb.692:                              ;   in Loop: Header=BB1155_17 Depth=1
	s_waitcnt lgkmcnt(0)
	v_cndmask_b32_e64 v4, v4, v5, s11
	s_delay_alu instid0(VALU_DEP_1)
	v_add_nc_u32_e32 v4, s60, v4
	ds_store_b32 v76, v4
.LBB1155_693:                           ;   in Loop: Header=BB1155_17 Depth=1
	s_or_b32 exec_lo, exec_lo, s12
	s_load_b64 s[12:13], s[36:37], 0x0
	v_lshlrev_b32_e32 v7, 3, v136
	v_or_b32_e32 v138, v136, v100
	s_mov_b32 s43, s62
	s_mov_b32 s38, s60
                                        ; implicit-def: $vgpr8_vgpr9
                                        ; implicit-def: $vgpr10_vgpr11
                                        ; implicit-def: $vgpr12_vgpr13
                                        ; implicit-def: $vgpr14_vgpr15
                                        ; implicit-def: $vgpr16_vgpr17
                                        ; implicit-def: $vgpr18_vgpr19
                                        ; implicit-def: $vgpr20_vgpr21
                                        ; implicit-def: $vgpr22_vgpr23
                                        ; implicit-def: $vgpr24_vgpr25
                                        ; implicit-def: $vgpr26_vgpr27
                                        ; implicit-def: $vgpr28_vgpr29
                                        ; implicit-def: $vgpr30_vgpr31
                                        ; implicit-def: $vgpr32_vgpr33
                                        ; implicit-def: $vgpr34_vgpr35
                                        ; implicit-def: $vgpr161
                                        ; implicit-def: $vgpr162
                                        ; implicit-def: $vgpr163
                                        ; implicit-def: $vgpr164
                                        ; implicit-def: $vgpr165
                                        ; implicit-def: $vgpr166
                                        ; implicit-def: $vgpr167
                                        ; implicit-def: $vgpr168
                                        ; implicit-def: $vgpr169
                                        ; implicit-def: $vgpr170
                                        ; implicit-def: $vgpr171
                                        ; implicit-def: $vgpr172
                                        ; implicit-def: $vgpr173
                                        ; implicit-def: $vgpr174
                                        ; implicit-def: $vgpr175
                                        ; implicit-def: $vgpr176
	s_delay_alu instid0(VALU_DEP_2) | instskip(SKIP_4) | instid1(VALU_DEP_3)
	v_add_co_u32 v139, vcc_lo, v119, v7
	v_add_co_ci_u32_e32 v140, vcc_lo, 0, v120, vcc_lo
	v_add_co_u32 v156, vcc_lo, v121, v7
	v_add_co_ci_u32_e32 v157, vcc_lo, 0, v122, vcc_lo
	v_or_b32_e32 v141, 32, v138
	v_add_co_u32 v159, vcc_lo, 0xf00, v156
	v_or_b32_e32 v142, 64, v138
	v_or_b32_e32 v143, 0x60, v138
	;; [unrolled: 1-line block ×3, first 2 shown]
	s_waitcnt lgkmcnt(0)
	s_cmp_lt_u32 s15, s13
	v_or_b32_e32 v145, 0xa0, v138
	s_cselect_b32 s13, 14, 20
	v_or_b32_e32 v146, 0xc0, v138
	s_add_u32 s16, s36, s13
	s_addc_u32 s17, s37, 0
	s_cmp_lt_u32 s14, s12
	global_load_u16 v4, v3, s[16:17]
	s_cselect_b32 s12, 12, 18
	v_or_b32_e32 v147, 0xe0, v138
	s_add_u32 s12, s36, s12
	s_addc_u32 s13, s37, 0
	v_or_b32_e32 v148, 0x100, v138
	global_load_u16 v6, v3, s[12:13]
	v_cmp_eq_u32_e64 s12, 0, v2
	v_cmp_lt_u32_e64 s13, 1, v2
	v_cmp_lt_u32_e64 s16, 3, v2
	v_or_b32_e32 v149, 0x120, v138
	v_or_b32_e32 v150, 0x140, v138
	;; [unrolled: 1-line block ×7, first 2 shown]
	v_add_co_ci_u32_e32 v160, vcc_lo, 0, v157, vcc_lo
	s_waitcnt vmcnt(1)
	v_mad_u32_u24 v2, v101, v4, v0
	s_waitcnt vmcnt(0)
	s_delay_alu instid0(VALU_DEP_1) | instskip(NEXT) | instid1(VALU_DEP_1)
	v_mad_u64_u32 v[4:5], null, v2, v6, v[1:2]
                                        ; implicit-def: $vgpr6_vgpr7
	v_lshrrev_b32_e32 v158, 5, v4
                                        ; implicit-def: $vgpr4_vgpr5
	s_branch .LBB1155_695
.LBB1155_694:                           ;   in Loop: Header=BB1155_695 Depth=2
	s_or_b32 exec_lo, exec_lo, s17
	s_addk_i32 s43, 0xf000
	s_cmp_lt_u32 s50, s61
	s_mov_b32 s38, s50
	s_cbranch_scc0 .LBB1155_904
.LBB1155_695:                           ;   Parent Loop BB1155_17 Depth=1
                                        ; =>  This Inner Loop Header: Depth=2
	s_add_i32 s50, s38, 0x1000
	s_delay_alu instid0(SALU_CYCLE_1)
	s_cmp_gt_u32 s50, s61
	s_cbranch_scc1 .LBB1155_698
; %bb.696:                              ;   in Loop: Header=BB1155_695 Depth=2
	s_mov_b32 s39, 0
	s_mov_b32 s20, -1
	s_lshl_b64 s[18:19], s[38:39], 3
	s_movk_i32 s17, 0x1000
	v_add_co_u32 v40, vcc_lo, v156, s18
	v_add_co_ci_u32_e32 v41, vcc_lo, s19, v157, vcc_lo
	s_clause 0xe
	global_load_b64 v[36:37], v[40:41], off
	global_load_b64 v[38:39], v[40:41], off offset:256
	global_load_b64 v[44:45], v[40:41], off offset:512
	;; [unrolled: 1-line block ×14, first 2 shown]
	s_cbranch_execz .LBB1155_699
; %bb.697:                              ;   in Loop: Header=BB1155_695 Depth=2
                                        ; implicit-def: $sgpr18_sgpr19
	s_branch .LBB1155_730
.LBB1155_698:                           ;   in Loop: Header=BB1155_695 Depth=2
	s_mov_b32 s39, -1
	s_mov_b32 s20, 0
                                        ; implicit-def: $sgpr17
                                        ; implicit-def: $vgpr36_vgpr37
                                        ; implicit-def: $vgpr38_vgpr39
                                        ; implicit-def: $vgpr44_vgpr45
                                        ; implicit-def: $vgpr48_vgpr49
                                        ; implicit-def: $vgpr54_vgpr55
                                        ; implicit-def: $vgpr58_vgpr59
                                        ; implicit-def: $vgpr62_vgpr63
                                        ; implicit-def: $vgpr66_vgpr67
                                        ; implicit-def: $vgpr64_vgpr65
                                        ; implicit-def: $vgpr60_vgpr61
                                        ; implicit-def: $vgpr56_vgpr57
                                        ; implicit-def: $vgpr52_vgpr53
                                        ; implicit-def: $vgpr50_vgpr51
                                        ; implicit-def: $vgpr46_vgpr47
                                        ; implicit-def: $vgpr40_vgpr41
.LBB1155_699:                           ;   in Loop: Header=BB1155_695 Depth=2
	s_mov_b32 s39, s34
	s_waitcnt vmcnt(13)
	v_mov_b32_e32 v38, -1
	v_mov_b32_e32 v39, -1
	s_lshl_b64 s[18:19], s[38:39], 3
	s_delay_alu instid0(VALU_DEP_2) | instskip(SKIP_1) | instid1(VALU_DEP_3)
	v_mov_b32_e32 v36, v38
	v_add_co_u32 v42, vcc_lo, v156, s18
	v_mov_b32_e32 v37, v39
	v_add_co_ci_u32_e32 v43, vcc_lo, s19, v157, vcc_lo
	s_mov_b32 s17, exec_lo
	v_cmpx_gt_u32_e64 s43, v138
	s_cbranch_execz .LBB1155_701
; %bb.700:                              ;   in Loop: Header=BB1155_695 Depth=2
	global_load_b64 v[36:37], v[42:43], off
.LBB1155_701:                           ;   in Loop: Header=BB1155_695 Depth=2
	s_or_b32 exec_lo, exec_lo, s17
	s_delay_alu instid0(SALU_CYCLE_1)
	s_mov_b32 s17, exec_lo
	v_cmpx_gt_u32_e64 s43, v141
	s_cbranch_execz .LBB1155_703
; %bb.702:                              ;   in Loop: Header=BB1155_695 Depth=2
	global_load_b64 v[38:39], v[42:43], off offset:256
.LBB1155_703:                           ;   in Loop: Header=BB1155_695 Depth=2
	s_or_b32 exec_lo, exec_lo, s17
	s_waitcnt vmcnt(11)
	v_mov_b32_e32 v48, -1
	v_mov_b32_e32 v49, -1
	s_delay_alu instid0(VALU_DEP_2) | instskip(SKIP_1) | instid1(VALU_DEP_2)
	v_mov_b32_e32 v44, v48
	s_mov_b32 s17, exec_lo
	v_mov_b32_e32 v45, v49
	v_cmpx_gt_u32_e64 s43, v142
	s_cbranch_execz .LBB1155_705
; %bb.704:                              ;   in Loop: Header=BB1155_695 Depth=2
	global_load_b64 v[44:45], v[42:43], off offset:512
.LBB1155_705:                           ;   in Loop: Header=BB1155_695 Depth=2
	s_or_b32 exec_lo, exec_lo, s17
	s_delay_alu instid0(SALU_CYCLE_1)
	s_mov_b32 s17, exec_lo
	v_cmpx_gt_u32_e64 s43, v143
	s_cbranch_execz .LBB1155_707
; %bb.706:                              ;   in Loop: Header=BB1155_695 Depth=2
	global_load_b64 v[48:49], v[42:43], off offset:768
.LBB1155_707:                           ;   in Loop: Header=BB1155_695 Depth=2
	s_or_b32 exec_lo, exec_lo, s17
	s_waitcnt vmcnt(9)
	v_mov_b32_e32 v58, -1
	v_mov_b32_e32 v59, -1
	s_delay_alu instid0(VALU_DEP_2) | instskip(SKIP_1) | instid1(VALU_DEP_2)
	v_mov_b32_e32 v54, v58
	s_mov_b32 s17, exec_lo
	v_mov_b32_e32 v55, v59
	v_cmpx_gt_u32_e64 s43, v144
	s_cbranch_execz .LBB1155_709
; %bb.708:                              ;   in Loop: Header=BB1155_695 Depth=2
	global_load_b64 v[54:55], v[42:43], off offset:1024
.LBB1155_709:                           ;   in Loop: Header=BB1155_695 Depth=2
	;; [unrolled: 21-line block ×3, first 2 shown]
	s_or_b32 exec_lo, exec_lo, s17
	s_delay_alu instid0(SALU_CYCLE_1)
	s_mov_b32 s17, exec_lo
	v_cmpx_gt_u32_e64 s43, v147
	s_cbranch_execz .LBB1155_715
; %bb.714:                              ;   in Loop: Header=BB1155_695 Depth=2
	global_load_b64 v[66:67], v[42:43], off offset:1792
.LBB1155_715:                           ;   in Loop: Header=BB1155_695 Depth=2
	s_or_b32 exec_lo, exec_lo, s17
	s_waitcnt vmcnt(5)
	v_mov_b32_e32 v60, -1
	v_mov_b32_e32 v61, -1
	s_mov_b32 s17, exec_lo
	s_delay_alu instid0(VALU_DEP_1)
	v_dual_mov_b32 v65, v61 :: v_dual_mov_b32 v64, v60
	v_cmpx_gt_u32_e64 s43, v148
	s_cbranch_execz .LBB1155_717
; %bb.716:                              ;   in Loop: Header=BB1155_695 Depth=2
	global_load_b64 v[64:65], v[42:43], off offset:2048
.LBB1155_717:                           ;   in Loop: Header=BB1155_695 Depth=2
	s_or_b32 exec_lo, exec_lo, s17
	s_delay_alu instid0(SALU_CYCLE_1)
	s_mov_b32 s17, exec_lo
	v_cmpx_gt_u32_e64 s43, v149
	s_cbranch_execz .LBB1155_719
; %bb.718:                              ;   in Loop: Header=BB1155_695 Depth=2
	global_load_b64 v[60:61], v[42:43], off offset:2304
.LBB1155_719:                           ;   in Loop: Header=BB1155_695 Depth=2
	s_or_b32 exec_lo, exec_lo, s17
	s_waitcnt vmcnt(3)
	v_mov_b32_e32 v52, -1
	v_mov_b32_e32 v53, -1
	s_mov_b32 s17, exec_lo
	s_delay_alu instid0(VALU_DEP_1)
	v_dual_mov_b32 v57, v53 :: v_dual_mov_b32 v56, v52
	v_cmpx_gt_u32_e64 s43, v150
	s_cbranch_execz .LBB1155_721
; %bb.720:                              ;   in Loop: Header=BB1155_695 Depth=2
	global_load_b64 v[56:57], v[42:43], off offset:2560
.LBB1155_721:                           ;   in Loop: Header=BB1155_695 Depth=2
	;; [unrolled: 20-line block ×3, first 2 shown]
	s_or_b32 exec_lo, exec_lo, s17
	s_delay_alu instid0(SALU_CYCLE_1)
	s_mov_b32 s17, exec_lo
	v_cmpx_gt_u32_e64 s43, v153
	s_cbranch_execz .LBB1155_727
; %bb.726:                              ;   in Loop: Header=BB1155_695 Depth=2
	global_load_b64 v[46:47], v[42:43], off offset:3328
.LBB1155_727:                           ;   in Loop: Header=BB1155_695 Depth=2
	s_or_b32 exec_lo, exec_lo, s17
	s_waitcnt vmcnt(0)
	v_mov_b32_e32 v40, -1
	v_mov_b32_e32 v41, -1
	s_mov_b32 s17, exec_lo
	v_cmpx_gt_u32_e64 s43, v154
	s_cbranch_execz .LBB1155_729
; %bb.728:                              ;   in Loop: Header=BB1155_695 Depth=2
	global_load_b64 v[40:41], v[42:43], off offset:3584
.LBB1155_729:                           ;   in Loop: Header=BB1155_695 Depth=2
	s_or_b32 exec_lo, exec_lo, s17
	v_cmp_gt_u32_e64 s20, s43, v155
	s_sub_i32 s17, s61, s38
	s_mov_b64 s[18:19], -1
.LBB1155_730:                           ;   in Loop: Header=BB1155_695 Depth=2
	s_delay_alu instid0(SALU_CYCLE_1)
	v_dual_mov_b32 v43, s19 :: v_dual_mov_b32 v42, s18
	v_mov_b32_e32 v177, s43
	s_and_saveexec_b32 s18, s20
	s_cbranch_execz .LBB1155_732
; %bb.731:                              ;   in Loop: Header=BB1155_695 Depth=2
	s_lshl_b64 s[20:21], s[38:39], 3
	v_mov_b32_e32 v177, s17
	v_add_co_u32 v42, vcc_lo, v159, s20
	v_add_co_ci_u32_e32 v43, vcc_lo, s21, v160, vcc_lo
	global_load_b64 v[42:43], v[42:43], off
.LBB1155_732:                           ;   in Loop: Header=BB1155_695 Depth=2
	s_or_b32 exec_lo, exec_lo, s18
	s_waitcnt vmcnt(14)
	v_cmp_gt_i64_e32 vcc_lo, 0, v[36:37]
	v_ashrrev_i32_e32 v2, 31, v37
	ds_store_b32 v102, v3 offset:1056
	ds_store_2addr_b32 v103, v3, v3 offset0:1 offset1:2
	ds_store_2addr_b32 v103, v3, v3 offset0:3 offset1:4
	;; [unrolled: 1-line block ×4, first 2 shown]
	s_waitcnt vmcnt(0) lgkmcnt(0)
	s_barrier
	v_cndmask_b32_e64 v68, 0x7fffffff, 0, vcc_lo
	v_not_b32_e32 v2, v2
	buffer_gl0_inv
	; wave barrier
	v_xor_b32_e32 v37, v68, v37
	v_xor_b32_e32 v36, v2, v36
	s_delay_alu instid0(VALU_DEP_1) | instskip(SKIP_2) | instid1(VALU_DEP_1)
	v_cmp_ne_u64_e32 vcc_lo, s[34:35], v[36:37]
	v_cndmask_b32_e32 v69, 0x7fffffff, v37, vcc_lo
	v_cndmask_b32_e32 v68, -1, v36, vcc_lo
	v_lshrrev_b64 v[68:69], s40, v[68:69]
	s_delay_alu instid0(VALU_DEP_1) | instskip(NEXT) | instid1(VALU_DEP_1)
	v_and_b32_e32 v69, s42, v68
	v_lshlrev_b32_e32 v71, 28, v69
	v_and_b32_e32 v2, 1, v69
	v_lshlrev_b32_e32 v68, 30, v69
	v_lshlrev_b32_e32 v70, 29, v69
	;; [unrolled: 1-line block ×4, first 2 shown]
	v_add_co_u32 v2, s17, v2, -1
	s_delay_alu instid0(VALU_DEP_1)
	v_cndmask_b32_e64 v72, 0, 1, s17
	v_not_b32_e32 v178, v68
	v_cmp_gt_i32_e64 s17, 0, v68
	v_not_b32_e32 v68, v70
	v_lshlrev_b32_e32 v75, 25, v69
	v_cmp_ne_u32_e32 vcc_lo, 0, v72
	v_ashrrev_i32_e32 v178, 31, v178
	v_lshlrev_b32_e32 v72, 24, v69
	v_ashrrev_i32_e32 v68, 31, v68
	v_mad_u32_u24 v69, v69, 9, v158
	v_xor_b32_e32 v2, vcc_lo, v2
	v_cmp_gt_i32_e32 vcc_lo, 0, v70
	v_not_b32_e32 v70, v71
	v_xor_b32_e32 v178, s17, v178
	v_cmp_gt_i32_e64 s17, 0, v71
	v_and_b32_e32 v2, exec_lo, v2
	v_not_b32_e32 v71, v73
	v_ashrrev_i32_e32 v70, 31, v70
	v_xor_b32_e32 v68, vcc_lo, v68
	v_cmp_gt_i32_e32 vcc_lo, 0, v73
	v_and_b32_e32 v2, v2, v178
	v_not_b32_e32 v73, v74
	v_ashrrev_i32_e32 v71, 31, v71
	v_xor_b32_e32 v70, s17, v70
	v_cmp_gt_i32_e64 s17, 0, v74
	v_and_b32_e32 v2, v2, v68
	v_not_b32_e32 v68, v75
	v_ashrrev_i32_e32 v73, 31, v73
	v_xor_b32_e32 v71, vcc_lo, v71
	v_cmp_gt_i32_e32 vcc_lo, 0, v75
	v_and_b32_e32 v2, v2, v70
	v_not_b32_e32 v70, v72
	v_ashrrev_i32_e32 v68, 31, v68
	v_xor_b32_e32 v73, s17, v73
	v_cmp_gt_i32_e64 s17, 0, v72
	v_and_b32_e32 v2, v2, v71
	v_ashrrev_i32_e32 v70, 31, v70
	v_xor_b32_e32 v68, vcc_lo, v68
	v_lshl_add_u32 v178, v69, 2, 0x420
	s_delay_alu instid0(VALU_DEP_4) | instskip(NEXT) | instid1(VALU_DEP_4)
	v_and_b32_e32 v2, v2, v73
	v_xor_b32_e32 v70, s17, v70
	s_delay_alu instid0(VALU_DEP_2) | instskip(NEXT) | instid1(VALU_DEP_1)
	v_and_b32_e32 v2, v2, v68
	v_and_b32_e32 v68, v2, v70
	s_delay_alu instid0(VALU_DEP_1) | instskip(SKIP_1) | instid1(VALU_DEP_2)
	v_mbcnt_lo_u32_b32 v2, v68, 0
	v_cmp_ne_u32_e64 s17, 0, v68
	v_cmp_eq_u32_e32 vcc_lo, 0, v2
	s_delay_alu instid0(VALU_DEP_2) | instskip(NEXT) | instid1(SALU_CYCLE_1)
	s_and_b32 s18, s17, vcc_lo
	s_and_saveexec_b32 s17, s18
	s_cbranch_execz .LBB1155_734
; %bb.733:                              ;   in Loop: Header=BB1155_695 Depth=2
	v_bcnt_u32_b32 v68, v68, 0
	ds_store_b32 v178, v68
.LBB1155_734:                           ;   in Loop: Header=BB1155_695 Depth=2
	s_or_b32 exec_lo, exec_lo, s17
	v_cmp_gt_i64_e32 vcc_lo, 0, v[38:39]
	v_ashrrev_i32_e32 v68, 31, v39
	; wave barrier
	s_delay_alu instid0(VALU_DEP_1) | instskip(SKIP_1) | instid1(VALU_DEP_2)
	v_not_b32_e32 v68, v68
	v_cndmask_b32_e64 v69, 0x7fffffff, 0, vcc_lo
	v_xor_b32_e32 v38, v68, v38
	s_delay_alu instid0(VALU_DEP_2) | instskip(NEXT) | instid1(VALU_DEP_1)
	v_xor_b32_e32 v39, v69, v39
	v_cmp_ne_u64_e32 vcc_lo, s[34:35], v[38:39]
	v_cndmask_b32_e32 v69, 0x7fffffff, v39, vcc_lo
	v_cndmask_b32_e32 v68, -1, v38, vcc_lo
	s_delay_alu instid0(VALU_DEP_1) | instskip(NEXT) | instid1(VALU_DEP_1)
	v_lshrrev_b64 v[68:69], s40, v[68:69]
	v_and_b32_e32 v68, s42, v68
	s_delay_alu instid0(VALU_DEP_1)
	v_and_b32_e32 v69, 1, v68
	v_lshlrev_b32_e32 v70, 30, v68
	v_lshlrev_b32_e32 v71, 29, v68
	;; [unrolled: 1-line block ×4, first 2 shown]
	v_add_co_u32 v69, s17, v69, -1
	s_delay_alu instid0(VALU_DEP_1)
	v_cndmask_b32_e64 v73, 0, 1, s17
	v_not_b32_e32 v180, v70
	v_cmp_gt_i32_e64 s17, 0, v70
	v_not_b32_e32 v70, v71
	v_lshlrev_b32_e32 v75, 26, v68
	v_cmp_ne_u32_e32 vcc_lo, 0, v73
	v_ashrrev_i32_e32 v180, 31, v180
	v_lshlrev_b32_e32 v179, 25, v68
	v_ashrrev_i32_e32 v70, 31, v70
	v_lshlrev_b32_e32 v73, 24, v68
	v_xor_b32_e32 v69, vcc_lo, v69
	v_cmp_gt_i32_e32 vcc_lo, 0, v71
	v_not_b32_e32 v71, v72
	v_xor_b32_e32 v180, s17, v180
	v_cmp_gt_i32_e64 s17, 0, v72
	v_and_b32_e32 v69, exec_lo, v69
	v_not_b32_e32 v72, v74
	v_ashrrev_i32_e32 v71, 31, v71
	v_xor_b32_e32 v70, vcc_lo, v70
	v_cmp_gt_i32_e32 vcc_lo, 0, v74
	v_and_b32_e32 v69, v69, v180
	v_not_b32_e32 v74, v75
	v_ashrrev_i32_e32 v72, 31, v72
	v_xor_b32_e32 v71, s17, v71
	v_cmp_gt_i32_e64 s17, 0, v75
	v_and_b32_e32 v69, v69, v70
	v_not_b32_e32 v70, v179
	v_ashrrev_i32_e32 v74, 31, v74
	v_xor_b32_e32 v72, vcc_lo, v72
	v_cmp_gt_i32_e32 vcc_lo, 0, v179
	v_and_b32_e32 v69, v69, v71
	v_not_b32_e32 v71, v73
	v_ashrrev_i32_e32 v70, 31, v70
	v_xor_b32_e32 v74, s17, v74
	v_mul_u32_u24_e32 v68, 9, v68
	v_and_b32_e32 v69, v69, v72
	v_cmp_gt_i32_e64 s17, 0, v73
	v_ashrrev_i32_e32 v71, 31, v71
	v_xor_b32_e32 v70, vcc_lo, v70
	v_add_lshl_u32 v72, v68, v158, 2
	v_and_b32_e32 v69, v69, v74
	s_delay_alu instid0(VALU_DEP_4) | instskip(SKIP_3) | instid1(VALU_DEP_2)
	v_xor_b32_e32 v68, s17, v71
	ds_load_b32 v179, v72 offset:1056
	v_and_b32_e32 v69, v69, v70
	v_add_nc_u32_e32 v181, 0x420, v72
	; wave barrier
	v_and_b32_e32 v68, v69, v68
	s_delay_alu instid0(VALU_DEP_1) | instskip(SKIP_1) | instid1(VALU_DEP_2)
	v_mbcnt_lo_u32_b32 v180, v68, 0
	v_cmp_ne_u32_e64 s17, 0, v68
	v_cmp_eq_u32_e32 vcc_lo, 0, v180
	s_delay_alu instid0(VALU_DEP_2) | instskip(NEXT) | instid1(SALU_CYCLE_1)
	s_and_b32 s18, s17, vcc_lo
	s_and_saveexec_b32 s17, s18
	s_cbranch_execz .LBB1155_736
; %bb.735:                              ;   in Loop: Header=BB1155_695 Depth=2
	s_waitcnt lgkmcnt(0)
	v_bcnt_u32_b32 v68, v68, v179
	ds_store_b32 v181, v68
.LBB1155_736:                           ;   in Loop: Header=BB1155_695 Depth=2
	s_or_b32 exec_lo, exec_lo, s17
	v_cmp_gt_i64_e32 vcc_lo, 0, v[44:45]
	v_ashrrev_i32_e32 v68, 31, v45
	; wave barrier
	s_delay_alu instid0(VALU_DEP_1) | instskip(SKIP_1) | instid1(VALU_DEP_2)
	v_not_b32_e32 v68, v68
	v_cndmask_b32_e64 v69, 0x7fffffff, 0, vcc_lo
	v_xor_b32_e32 v44, v68, v44
	s_delay_alu instid0(VALU_DEP_2) | instskip(NEXT) | instid1(VALU_DEP_1)
	v_xor_b32_e32 v45, v69, v45
	v_cmp_ne_u64_e32 vcc_lo, s[34:35], v[44:45]
	v_cndmask_b32_e32 v69, 0x7fffffff, v45, vcc_lo
	v_cndmask_b32_e32 v68, -1, v44, vcc_lo
	s_delay_alu instid0(VALU_DEP_1) | instskip(NEXT) | instid1(VALU_DEP_1)
	v_lshrrev_b64 v[68:69], s40, v[68:69]
	v_and_b32_e32 v68, s42, v68
	s_delay_alu instid0(VALU_DEP_1)
	v_and_b32_e32 v69, 1, v68
	v_lshlrev_b32_e32 v70, 30, v68
	v_lshlrev_b32_e32 v71, 29, v68
	;; [unrolled: 1-line block ×4, first 2 shown]
	v_add_co_u32 v69, s17, v69, -1
	s_delay_alu instid0(VALU_DEP_1)
	v_cndmask_b32_e64 v73, 0, 1, s17
	v_not_b32_e32 v183, v70
	v_cmp_gt_i32_e64 s17, 0, v70
	v_not_b32_e32 v70, v71
	v_lshlrev_b32_e32 v75, 26, v68
	v_cmp_ne_u32_e32 vcc_lo, 0, v73
	v_ashrrev_i32_e32 v183, 31, v183
	v_lshlrev_b32_e32 v182, 25, v68
	v_ashrrev_i32_e32 v70, 31, v70
	v_lshlrev_b32_e32 v73, 24, v68
	v_xor_b32_e32 v69, vcc_lo, v69
	v_cmp_gt_i32_e32 vcc_lo, 0, v71
	v_not_b32_e32 v71, v72
	v_xor_b32_e32 v183, s17, v183
	v_cmp_gt_i32_e64 s17, 0, v72
	v_and_b32_e32 v69, exec_lo, v69
	v_not_b32_e32 v72, v74
	v_ashrrev_i32_e32 v71, 31, v71
	v_xor_b32_e32 v70, vcc_lo, v70
	v_cmp_gt_i32_e32 vcc_lo, 0, v74
	v_and_b32_e32 v69, v69, v183
	v_not_b32_e32 v74, v75
	v_ashrrev_i32_e32 v72, 31, v72
	v_xor_b32_e32 v71, s17, v71
	v_cmp_gt_i32_e64 s17, 0, v75
	v_and_b32_e32 v69, v69, v70
	v_not_b32_e32 v70, v182
	v_ashrrev_i32_e32 v74, 31, v74
	v_xor_b32_e32 v72, vcc_lo, v72
	v_cmp_gt_i32_e32 vcc_lo, 0, v182
	v_and_b32_e32 v69, v69, v71
	v_not_b32_e32 v71, v73
	v_ashrrev_i32_e32 v70, 31, v70
	v_xor_b32_e32 v74, s17, v74
	v_mul_u32_u24_e32 v68, 9, v68
	v_and_b32_e32 v69, v69, v72
	v_cmp_gt_i32_e64 s17, 0, v73
	v_ashrrev_i32_e32 v71, 31, v71
	v_xor_b32_e32 v70, vcc_lo, v70
	v_add_lshl_u32 v72, v68, v158, 2
	v_and_b32_e32 v69, v69, v74
	s_delay_alu instid0(VALU_DEP_4) | instskip(SKIP_3) | instid1(VALU_DEP_2)
	v_xor_b32_e32 v68, s17, v71
	ds_load_b32 v182, v72 offset:1056
	v_and_b32_e32 v69, v69, v70
	v_add_nc_u32_e32 v184, 0x420, v72
	; wave barrier
	v_and_b32_e32 v68, v69, v68
	s_delay_alu instid0(VALU_DEP_1) | instskip(SKIP_1) | instid1(VALU_DEP_2)
	v_mbcnt_lo_u32_b32 v183, v68, 0
	v_cmp_ne_u32_e64 s17, 0, v68
	v_cmp_eq_u32_e32 vcc_lo, 0, v183
	s_delay_alu instid0(VALU_DEP_2) | instskip(NEXT) | instid1(SALU_CYCLE_1)
	s_and_b32 s18, s17, vcc_lo
	s_and_saveexec_b32 s17, s18
	s_cbranch_execz .LBB1155_738
; %bb.737:                              ;   in Loop: Header=BB1155_695 Depth=2
	s_waitcnt lgkmcnt(0)
	v_bcnt_u32_b32 v68, v68, v182
	ds_store_b32 v184, v68
.LBB1155_738:                           ;   in Loop: Header=BB1155_695 Depth=2
	s_or_b32 exec_lo, exec_lo, s17
	v_cmp_gt_i64_e32 vcc_lo, 0, v[48:49]
	v_ashrrev_i32_e32 v68, 31, v49
	; wave barrier
	s_delay_alu instid0(VALU_DEP_1) | instskip(SKIP_1) | instid1(VALU_DEP_2)
	v_not_b32_e32 v68, v68
	v_cndmask_b32_e64 v69, 0x7fffffff, 0, vcc_lo
	v_xor_b32_e32 v48, v68, v48
	s_delay_alu instid0(VALU_DEP_2) | instskip(NEXT) | instid1(VALU_DEP_1)
	v_xor_b32_e32 v49, v69, v49
	v_cmp_ne_u64_e32 vcc_lo, s[34:35], v[48:49]
	v_cndmask_b32_e32 v69, 0x7fffffff, v49, vcc_lo
	v_cndmask_b32_e32 v68, -1, v48, vcc_lo
	s_delay_alu instid0(VALU_DEP_1) | instskip(NEXT) | instid1(VALU_DEP_1)
	v_lshrrev_b64 v[68:69], s40, v[68:69]
	v_and_b32_e32 v68, s42, v68
	s_delay_alu instid0(VALU_DEP_1)
	v_and_b32_e32 v69, 1, v68
	v_lshlrev_b32_e32 v70, 30, v68
	v_lshlrev_b32_e32 v71, 29, v68
	;; [unrolled: 1-line block ×4, first 2 shown]
	v_add_co_u32 v69, s17, v69, -1
	s_delay_alu instid0(VALU_DEP_1)
	v_cndmask_b32_e64 v73, 0, 1, s17
	v_not_b32_e32 v186, v70
	v_cmp_gt_i32_e64 s17, 0, v70
	v_not_b32_e32 v70, v71
	v_lshlrev_b32_e32 v75, 26, v68
	v_cmp_ne_u32_e32 vcc_lo, 0, v73
	v_ashrrev_i32_e32 v186, 31, v186
	v_lshlrev_b32_e32 v185, 25, v68
	v_ashrrev_i32_e32 v70, 31, v70
	v_lshlrev_b32_e32 v73, 24, v68
	v_xor_b32_e32 v69, vcc_lo, v69
	v_cmp_gt_i32_e32 vcc_lo, 0, v71
	v_not_b32_e32 v71, v72
	v_xor_b32_e32 v186, s17, v186
	v_cmp_gt_i32_e64 s17, 0, v72
	v_and_b32_e32 v69, exec_lo, v69
	v_not_b32_e32 v72, v74
	v_ashrrev_i32_e32 v71, 31, v71
	v_xor_b32_e32 v70, vcc_lo, v70
	v_cmp_gt_i32_e32 vcc_lo, 0, v74
	v_and_b32_e32 v69, v69, v186
	v_not_b32_e32 v74, v75
	v_ashrrev_i32_e32 v72, 31, v72
	v_xor_b32_e32 v71, s17, v71
	v_cmp_gt_i32_e64 s17, 0, v75
	v_and_b32_e32 v69, v69, v70
	v_not_b32_e32 v70, v185
	v_ashrrev_i32_e32 v74, 31, v74
	v_xor_b32_e32 v72, vcc_lo, v72
	v_cmp_gt_i32_e32 vcc_lo, 0, v185
	v_and_b32_e32 v69, v69, v71
	v_not_b32_e32 v71, v73
	v_ashrrev_i32_e32 v70, 31, v70
	v_xor_b32_e32 v74, s17, v74
	v_mul_u32_u24_e32 v68, 9, v68
	v_and_b32_e32 v69, v69, v72
	v_cmp_gt_i32_e64 s17, 0, v73
	v_ashrrev_i32_e32 v71, 31, v71
	v_xor_b32_e32 v70, vcc_lo, v70
	v_add_lshl_u32 v72, v68, v158, 2
	v_and_b32_e32 v69, v69, v74
	s_delay_alu instid0(VALU_DEP_4) | instskip(SKIP_3) | instid1(VALU_DEP_2)
	v_xor_b32_e32 v68, s17, v71
	ds_load_b32 v185, v72 offset:1056
	v_and_b32_e32 v69, v69, v70
	v_add_nc_u32_e32 v187, 0x420, v72
	; wave barrier
	v_and_b32_e32 v68, v69, v68
	s_delay_alu instid0(VALU_DEP_1) | instskip(SKIP_1) | instid1(VALU_DEP_2)
	v_mbcnt_lo_u32_b32 v186, v68, 0
	v_cmp_ne_u32_e64 s17, 0, v68
	v_cmp_eq_u32_e32 vcc_lo, 0, v186
	s_delay_alu instid0(VALU_DEP_2) | instskip(NEXT) | instid1(SALU_CYCLE_1)
	s_and_b32 s18, s17, vcc_lo
	s_and_saveexec_b32 s17, s18
	s_cbranch_execz .LBB1155_740
; %bb.739:                              ;   in Loop: Header=BB1155_695 Depth=2
	s_waitcnt lgkmcnt(0)
	v_bcnt_u32_b32 v68, v68, v185
	ds_store_b32 v187, v68
.LBB1155_740:                           ;   in Loop: Header=BB1155_695 Depth=2
	s_or_b32 exec_lo, exec_lo, s17
	v_cmp_gt_i64_e32 vcc_lo, 0, v[54:55]
	v_ashrrev_i32_e32 v68, 31, v55
	; wave barrier
	s_delay_alu instid0(VALU_DEP_1) | instskip(SKIP_1) | instid1(VALU_DEP_2)
	v_not_b32_e32 v68, v68
	v_cndmask_b32_e64 v69, 0x7fffffff, 0, vcc_lo
	v_xor_b32_e32 v54, v68, v54
	s_delay_alu instid0(VALU_DEP_2) | instskip(NEXT) | instid1(VALU_DEP_1)
	v_xor_b32_e32 v55, v69, v55
	v_cmp_ne_u64_e32 vcc_lo, s[34:35], v[54:55]
	v_cndmask_b32_e32 v69, 0x7fffffff, v55, vcc_lo
	v_cndmask_b32_e32 v68, -1, v54, vcc_lo
	s_delay_alu instid0(VALU_DEP_1) | instskip(NEXT) | instid1(VALU_DEP_1)
	v_lshrrev_b64 v[68:69], s40, v[68:69]
	v_and_b32_e32 v68, s42, v68
	s_delay_alu instid0(VALU_DEP_1)
	v_and_b32_e32 v69, 1, v68
	v_lshlrev_b32_e32 v70, 30, v68
	v_lshlrev_b32_e32 v71, 29, v68
	;; [unrolled: 1-line block ×4, first 2 shown]
	v_add_co_u32 v69, s17, v69, -1
	s_delay_alu instid0(VALU_DEP_1)
	v_cndmask_b32_e64 v73, 0, 1, s17
	v_not_b32_e32 v189, v70
	v_cmp_gt_i32_e64 s17, 0, v70
	v_not_b32_e32 v70, v71
	v_lshlrev_b32_e32 v75, 26, v68
	v_cmp_ne_u32_e32 vcc_lo, 0, v73
	v_ashrrev_i32_e32 v189, 31, v189
	v_lshlrev_b32_e32 v188, 25, v68
	v_ashrrev_i32_e32 v70, 31, v70
	v_lshlrev_b32_e32 v73, 24, v68
	v_xor_b32_e32 v69, vcc_lo, v69
	v_cmp_gt_i32_e32 vcc_lo, 0, v71
	v_not_b32_e32 v71, v72
	v_xor_b32_e32 v189, s17, v189
	v_cmp_gt_i32_e64 s17, 0, v72
	v_and_b32_e32 v69, exec_lo, v69
	v_not_b32_e32 v72, v74
	v_ashrrev_i32_e32 v71, 31, v71
	v_xor_b32_e32 v70, vcc_lo, v70
	v_cmp_gt_i32_e32 vcc_lo, 0, v74
	v_and_b32_e32 v69, v69, v189
	v_not_b32_e32 v74, v75
	v_ashrrev_i32_e32 v72, 31, v72
	v_xor_b32_e32 v71, s17, v71
	v_cmp_gt_i32_e64 s17, 0, v75
	v_and_b32_e32 v69, v69, v70
	v_not_b32_e32 v70, v188
	v_ashrrev_i32_e32 v74, 31, v74
	v_xor_b32_e32 v72, vcc_lo, v72
	v_cmp_gt_i32_e32 vcc_lo, 0, v188
	v_and_b32_e32 v69, v69, v71
	v_not_b32_e32 v71, v73
	v_ashrrev_i32_e32 v70, 31, v70
	v_xor_b32_e32 v74, s17, v74
	v_mul_u32_u24_e32 v68, 9, v68
	v_and_b32_e32 v69, v69, v72
	v_cmp_gt_i32_e64 s17, 0, v73
	v_ashrrev_i32_e32 v71, 31, v71
	v_xor_b32_e32 v70, vcc_lo, v70
	v_add_lshl_u32 v72, v68, v158, 2
	v_and_b32_e32 v69, v69, v74
	s_delay_alu instid0(VALU_DEP_4) | instskip(SKIP_3) | instid1(VALU_DEP_2)
	v_xor_b32_e32 v68, s17, v71
	ds_load_b32 v188, v72 offset:1056
	v_and_b32_e32 v69, v69, v70
	v_add_nc_u32_e32 v190, 0x420, v72
	; wave barrier
	v_and_b32_e32 v68, v69, v68
	s_delay_alu instid0(VALU_DEP_1) | instskip(SKIP_1) | instid1(VALU_DEP_2)
	v_mbcnt_lo_u32_b32 v189, v68, 0
	v_cmp_ne_u32_e64 s17, 0, v68
	v_cmp_eq_u32_e32 vcc_lo, 0, v189
	s_delay_alu instid0(VALU_DEP_2) | instskip(NEXT) | instid1(SALU_CYCLE_1)
	s_and_b32 s18, s17, vcc_lo
	s_and_saveexec_b32 s17, s18
	s_cbranch_execz .LBB1155_742
; %bb.741:                              ;   in Loop: Header=BB1155_695 Depth=2
	s_waitcnt lgkmcnt(0)
	v_bcnt_u32_b32 v68, v68, v188
	ds_store_b32 v190, v68
.LBB1155_742:                           ;   in Loop: Header=BB1155_695 Depth=2
	s_or_b32 exec_lo, exec_lo, s17
	v_cmp_gt_i64_e32 vcc_lo, 0, v[58:59]
	v_ashrrev_i32_e32 v68, 31, v59
	; wave barrier
	s_delay_alu instid0(VALU_DEP_1) | instskip(SKIP_1) | instid1(VALU_DEP_2)
	v_not_b32_e32 v68, v68
	v_cndmask_b32_e64 v69, 0x7fffffff, 0, vcc_lo
	v_xor_b32_e32 v58, v68, v58
	s_delay_alu instid0(VALU_DEP_2) | instskip(NEXT) | instid1(VALU_DEP_1)
	v_xor_b32_e32 v59, v69, v59
	v_cmp_ne_u64_e32 vcc_lo, s[34:35], v[58:59]
	v_cndmask_b32_e32 v69, 0x7fffffff, v59, vcc_lo
	v_cndmask_b32_e32 v68, -1, v58, vcc_lo
	s_delay_alu instid0(VALU_DEP_1) | instskip(NEXT) | instid1(VALU_DEP_1)
	v_lshrrev_b64 v[68:69], s40, v[68:69]
	v_and_b32_e32 v68, s42, v68
	s_delay_alu instid0(VALU_DEP_1)
	v_and_b32_e32 v69, 1, v68
	v_lshlrev_b32_e32 v70, 30, v68
	v_lshlrev_b32_e32 v71, 29, v68
	v_lshlrev_b32_e32 v72, 28, v68
	v_lshlrev_b32_e32 v74, 27, v68
	v_add_co_u32 v69, s17, v69, -1
	s_delay_alu instid0(VALU_DEP_1)
	v_cndmask_b32_e64 v73, 0, 1, s17
	v_not_b32_e32 v192, v70
	v_cmp_gt_i32_e64 s17, 0, v70
	v_not_b32_e32 v70, v71
	v_lshlrev_b32_e32 v75, 26, v68
	v_cmp_ne_u32_e32 vcc_lo, 0, v73
	v_ashrrev_i32_e32 v192, 31, v192
	v_lshlrev_b32_e32 v191, 25, v68
	v_ashrrev_i32_e32 v70, 31, v70
	v_lshlrev_b32_e32 v73, 24, v68
	v_xor_b32_e32 v69, vcc_lo, v69
	v_cmp_gt_i32_e32 vcc_lo, 0, v71
	v_not_b32_e32 v71, v72
	v_xor_b32_e32 v192, s17, v192
	v_cmp_gt_i32_e64 s17, 0, v72
	v_and_b32_e32 v69, exec_lo, v69
	v_not_b32_e32 v72, v74
	v_ashrrev_i32_e32 v71, 31, v71
	v_xor_b32_e32 v70, vcc_lo, v70
	v_cmp_gt_i32_e32 vcc_lo, 0, v74
	v_and_b32_e32 v69, v69, v192
	v_not_b32_e32 v74, v75
	v_ashrrev_i32_e32 v72, 31, v72
	v_xor_b32_e32 v71, s17, v71
	v_cmp_gt_i32_e64 s17, 0, v75
	v_and_b32_e32 v69, v69, v70
	v_not_b32_e32 v70, v191
	v_ashrrev_i32_e32 v74, 31, v74
	v_xor_b32_e32 v72, vcc_lo, v72
	v_cmp_gt_i32_e32 vcc_lo, 0, v191
	v_and_b32_e32 v69, v69, v71
	v_not_b32_e32 v71, v73
	v_ashrrev_i32_e32 v70, 31, v70
	v_xor_b32_e32 v74, s17, v74
	v_mul_u32_u24_e32 v68, 9, v68
	v_and_b32_e32 v69, v69, v72
	v_cmp_gt_i32_e64 s17, 0, v73
	v_ashrrev_i32_e32 v71, 31, v71
	v_xor_b32_e32 v70, vcc_lo, v70
	v_add_lshl_u32 v72, v68, v158, 2
	v_and_b32_e32 v69, v69, v74
	s_delay_alu instid0(VALU_DEP_4) | instskip(SKIP_3) | instid1(VALU_DEP_2)
	v_xor_b32_e32 v68, s17, v71
	ds_load_b32 v191, v72 offset:1056
	v_and_b32_e32 v69, v69, v70
	v_add_nc_u32_e32 v193, 0x420, v72
	; wave barrier
	v_and_b32_e32 v68, v69, v68
	s_delay_alu instid0(VALU_DEP_1) | instskip(SKIP_1) | instid1(VALU_DEP_2)
	v_mbcnt_lo_u32_b32 v192, v68, 0
	v_cmp_ne_u32_e64 s17, 0, v68
	v_cmp_eq_u32_e32 vcc_lo, 0, v192
	s_delay_alu instid0(VALU_DEP_2) | instskip(NEXT) | instid1(SALU_CYCLE_1)
	s_and_b32 s18, s17, vcc_lo
	s_and_saveexec_b32 s17, s18
	s_cbranch_execz .LBB1155_744
; %bb.743:                              ;   in Loop: Header=BB1155_695 Depth=2
	s_waitcnt lgkmcnt(0)
	v_bcnt_u32_b32 v68, v68, v191
	ds_store_b32 v193, v68
.LBB1155_744:                           ;   in Loop: Header=BB1155_695 Depth=2
	s_or_b32 exec_lo, exec_lo, s17
	v_cmp_gt_i64_e32 vcc_lo, 0, v[62:63]
	v_ashrrev_i32_e32 v68, 31, v63
	; wave barrier
	s_delay_alu instid0(VALU_DEP_1) | instskip(SKIP_1) | instid1(VALU_DEP_2)
	v_not_b32_e32 v68, v68
	v_cndmask_b32_e64 v69, 0x7fffffff, 0, vcc_lo
	v_xor_b32_e32 v62, v68, v62
	s_delay_alu instid0(VALU_DEP_2) | instskip(NEXT) | instid1(VALU_DEP_1)
	v_xor_b32_e32 v63, v69, v63
	v_cmp_ne_u64_e32 vcc_lo, s[34:35], v[62:63]
	v_cndmask_b32_e32 v69, 0x7fffffff, v63, vcc_lo
	v_cndmask_b32_e32 v68, -1, v62, vcc_lo
	s_delay_alu instid0(VALU_DEP_1) | instskip(NEXT) | instid1(VALU_DEP_1)
	v_lshrrev_b64 v[68:69], s40, v[68:69]
	v_and_b32_e32 v68, s42, v68
	s_delay_alu instid0(VALU_DEP_1)
	v_and_b32_e32 v69, 1, v68
	v_lshlrev_b32_e32 v70, 30, v68
	v_lshlrev_b32_e32 v71, 29, v68
	;; [unrolled: 1-line block ×4, first 2 shown]
	v_add_co_u32 v69, s17, v69, -1
	s_delay_alu instid0(VALU_DEP_1)
	v_cndmask_b32_e64 v73, 0, 1, s17
	v_not_b32_e32 v195, v70
	v_cmp_gt_i32_e64 s17, 0, v70
	v_not_b32_e32 v70, v71
	v_lshlrev_b32_e32 v75, 26, v68
	v_cmp_ne_u32_e32 vcc_lo, 0, v73
	v_ashrrev_i32_e32 v195, 31, v195
	v_lshlrev_b32_e32 v194, 25, v68
	v_ashrrev_i32_e32 v70, 31, v70
	v_lshlrev_b32_e32 v73, 24, v68
	v_xor_b32_e32 v69, vcc_lo, v69
	v_cmp_gt_i32_e32 vcc_lo, 0, v71
	v_not_b32_e32 v71, v72
	v_xor_b32_e32 v195, s17, v195
	v_cmp_gt_i32_e64 s17, 0, v72
	v_and_b32_e32 v69, exec_lo, v69
	v_not_b32_e32 v72, v74
	v_ashrrev_i32_e32 v71, 31, v71
	v_xor_b32_e32 v70, vcc_lo, v70
	v_cmp_gt_i32_e32 vcc_lo, 0, v74
	v_and_b32_e32 v69, v69, v195
	v_not_b32_e32 v74, v75
	v_ashrrev_i32_e32 v72, 31, v72
	v_xor_b32_e32 v71, s17, v71
	v_cmp_gt_i32_e64 s17, 0, v75
	v_and_b32_e32 v69, v69, v70
	v_not_b32_e32 v70, v194
	v_ashrrev_i32_e32 v74, 31, v74
	v_xor_b32_e32 v72, vcc_lo, v72
	v_cmp_gt_i32_e32 vcc_lo, 0, v194
	v_and_b32_e32 v69, v69, v71
	v_not_b32_e32 v71, v73
	v_ashrrev_i32_e32 v70, 31, v70
	v_xor_b32_e32 v74, s17, v74
	v_mul_u32_u24_e32 v68, 9, v68
	v_and_b32_e32 v69, v69, v72
	v_cmp_gt_i32_e64 s17, 0, v73
	v_ashrrev_i32_e32 v71, 31, v71
	v_xor_b32_e32 v70, vcc_lo, v70
	v_add_lshl_u32 v72, v68, v158, 2
	v_and_b32_e32 v69, v69, v74
	s_delay_alu instid0(VALU_DEP_4) | instskip(SKIP_3) | instid1(VALU_DEP_2)
	v_xor_b32_e32 v68, s17, v71
	ds_load_b32 v194, v72 offset:1056
	v_and_b32_e32 v69, v69, v70
	v_add_nc_u32_e32 v196, 0x420, v72
	; wave barrier
	v_and_b32_e32 v68, v69, v68
	s_delay_alu instid0(VALU_DEP_1) | instskip(SKIP_1) | instid1(VALU_DEP_2)
	v_mbcnt_lo_u32_b32 v195, v68, 0
	v_cmp_ne_u32_e64 s17, 0, v68
	v_cmp_eq_u32_e32 vcc_lo, 0, v195
	s_delay_alu instid0(VALU_DEP_2) | instskip(NEXT) | instid1(SALU_CYCLE_1)
	s_and_b32 s18, s17, vcc_lo
	s_and_saveexec_b32 s17, s18
	s_cbranch_execz .LBB1155_746
; %bb.745:                              ;   in Loop: Header=BB1155_695 Depth=2
	s_waitcnt lgkmcnt(0)
	v_bcnt_u32_b32 v68, v68, v194
	ds_store_b32 v196, v68
.LBB1155_746:                           ;   in Loop: Header=BB1155_695 Depth=2
	s_or_b32 exec_lo, exec_lo, s17
	v_cmp_gt_i64_e32 vcc_lo, 0, v[66:67]
	v_ashrrev_i32_e32 v68, 31, v67
	; wave barrier
	s_delay_alu instid0(VALU_DEP_1) | instskip(SKIP_1) | instid1(VALU_DEP_2)
	v_not_b32_e32 v68, v68
	v_cndmask_b32_e64 v69, 0x7fffffff, 0, vcc_lo
	v_xor_b32_e32 v66, v68, v66
	s_delay_alu instid0(VALU_DEP_2) | instskip(NEXT) | instid1(VALU_DEP_1)
	v_xor_b32_e32 v67, v69, v67
	v_cmp_ne_u64_e32 vcc_lo, s[34:35], v[66:67]
	v_cndmask_b32_e32 v69, 0x7fffffff, v67, vcc_lo
	v_cndmask_b32_e32 v68, -1, v66, vcc_lo
	s_delay_alu instid0(VALU_DEP_1) | instskip(NEXT) | instid1(VALU_DEP_1)
	v_lshrrev_b64 v[68:69], s40, v[68:69]
	v_and_b32_e32 v68, s42, v68
	s_delay_alu instid0(VALU_DEP_1)
	v_and_b32_e32 v69, 1, v68
	v_lshlrev_b32_e32 v70, 30, v68
	v_lshlrev_b32_e32 v71, 29, v68
	;; [unrolled: 1-line block ×4, first 2 shown]
	v_add_co_u32 v69, s17, v69, -1
	s_delay_alu instid0(VALU_DEP_1)
	v_cndmask_b32_e64 v73, 0, 1, s17
	v_not_b32_e32 v198, v70
	v_cmp_gt_i32_e64 s17, 0, v70
	v_not_b32_e32 v70, v71
	v_lshlrev_b32_e32 v75, 26, v68
	v_cmp_ne_u32_e32 vcc_lo, 0, v73
	v_ashrrev_i32_e32 v198, 31, v198
	v_lshlrev_b32_e32 v197, 25, v68
	v_ashrrev_i32_e32 v70, 31, v70
	v_lshlrev_b32_e32 v73, 24, v68
	v_xor_b32_e32 v69, vcc_lo, v69
	v_cmp_gt_i32_e32 vcc_lo, 0, v71
	v_not_b32_e32 v71, v72
	v_xor_b32_e32 v198, s17, v198
	v_cmp_gt_i32_e64 s17, 0, v72
	v_and_b32_e32 v69, exec_lo, v69
	v_not_b32_e32 v72, v74
	v_ashrrev_i32_e32 v71, 31, v71
	v_xor_b32_e32 v70, vcc_lo, v70
	v_cmp_gt_i32_e32 vcc_lo, 0, v74
	v_and_b32_e32 v69, v69, v198
	v_not_b32_e32 v74, v75
	v_ashrrev_i32_e32 v72, 31, v72
	v_xor_b32_e32 v71, s17, v71
	v_cmp_gt_i32_e64 s17, 0, v75
	v_and_b32_e32 v69, v69, v70
	v_not_b32_e32 v70, v197
	v_ashrrev_i32_e32 v74, 31, v74
	v_xor_b32_e32 v72, vcc_lo, v72
	v_cmp_gt_i32_e32 vcc_lo, 0, v197
	v_and_b32_e32 v69, v69, v71
	v_not_b32_e32 v71, v73
	v_ashrrev_i32_e32 v70, 31, v70
	v_xor_b32_e32 v74, s17, v74
	v_mul_u32_u24_e32 v68, 9, v68
	v_and_b32_e32 v69, v69, v72
	v_cmp_gt_i32_e64 s17, 0, v73
	v_ashrrev_i32_e32 v71, 31, v71
	v_xor_b32_e32 v70, vcc_lo, v70
	v_add_lshl_u32 v72, v68, v158, 2
	v_and_b32_e32 v69, v69, v74
	s_delay_alu instid0(VALU_DEP_4) | instskip(SKIP_3) | instid1(VALU_DEP_2)
	v_xor_b32_e32 v68, s17, v71
	ds_load_b32 v197, v72 offset:1056
	v_and_b32_e32 v69, v69, v70
	v_add_nc_u32_e32 v199, 0x420, v72
	; wave barrier
	v_and_b32_e32 v68, v69, v68
	s_delay_alu instid0(VALU_DEP_1) | instskip(SKIP_1) | instid1(VALU_DEP_2)
	v_mbcnt_lo_u32_b32 v198, v68, 0
	v_cmp_ne_u32_e64 s17, 0, v68
	v_cmp_eq_u32_e32 vcc_lo, 0, v198
	s_delay_alu instid0(VALU_DEP_2) | instskip(NEXT) | instid1(SALU_CYCLE_1)
	s_and_b32 s18, s17, vcc_lo
	s_and_saveexec_b32 s17, s18
	s_cbranch_execz .LBB1155_748
; %bb.747:                              ;   in Loop: Header=BB1155_695 Depth=2
	s_waitcnt lgkmcnt(0)
	v_bcnt_u32_b32 v68, v68, v197
	ds_store_b32 v199, v68
.LBB1155_748:                           ;   in Loop: Header=BB1155_695 Depth=2
	s_or_b32 exec_lo, exec_lo, s17
	v_cmp_gt_i64_e32 vcc_lo, 0, v[64:65]
	v_ashrrev_i32_e32 v68, 31, v65
	; wave barrier
	s_delay_alu instid0(VALU_DEP_1) | instskip(SKIP_1) | instid1(VALU_DEP_2)
	v_not_b32_e32 v68, v68
	v_cndmask_b32_e64 v69, 0x7fffffff, 0, vcc_lo
	v_xor_b32_e32 v64, v68, v64
	s_delay_alu instid0(VALU_DEP_2) | instskip(NEXT) | instid1(VALU_DEP_1)
	v_xor_b32_e32 v65, v69, v65
	v_cmp_ne_u64_e32 vcc_lo, s[34:35], v[64:65]
	v_cndmask_b32_e32 v69, 0x7fffffff, v65, vcc_lo
	v_cndmask_b32_e32 v68, -1, v64, vcc_lo
	s_delay_alu instid0(VALU_DEP_1) | instskip(NEXT) | instid1(VALU_DEP_1)
	v_lshrrev_b64 v[68:69], s40, v[68:69]
	v_and_b32_e32 v68, s42, v68
	s_delay_alu instid0(VALU_DEP_1)
	v_and_b32_e32 v69, 1, v68
	v_lshlrev_b32_e32 v70, 30, v68
	v_lshlrev_b32_e32 v71, 29, v68
	v_lshlrev_b32_e32 v72, 28, v68
	v_lshlrev_b32_e32 v74, 27, v68
	v_add_co_u32 v69, s17, v69, -1
	s_delay_alu instid0(VALU_DEP_1)
	v_cndmask_b32_e64 v73, 0, 1, s17
	v_not_b32_e32 v201, v70
	v_cmp_gt_i32_e64 s17, 0, v70
	v_not_b32_e32 v70, v71
	v_lshlrev_b32_e32 v75, 26, v68
	v_cmp_ne_u32_e32 vcc_lo, 0, v73
	v_ashrrev_i32_e32 v201, 31, v201
	v_lshlrev_b32_e32 v200, 25, v68
	v_ashrrev_i32_e32 v70, 31, v70
	v_lshlrev_b32_e32 v73, 24, v68
	v_xor_b32_e32 v69, vcc_lo, v69
	v_cmp_gt_i32_e32 vcc_lo, 0, v71
	v_not_b32_e32 v71, v72
	v_xor_b32_e32 v201, s17, v201
	v_cmp_gt_i32_e64 s17, 0, v72
	v_and_b32_e32 v69, exec_lo, v69
	v_not_b32_e32 v72, v74
	v_ashrrev_i32_e32 v71, 31, v71
	v_xor_b32_e32 v70, vcc_lo, v70
	v_cmp_gt_i32_e32 vcc_lo, 0, v74
	v_and_b32_e32 v69, v69, v201
	v_not_b32_e32 v74, v75
	v_ashrrev_i32_e32 v72, 31, v72
	v_xor_b32_e32 v71, s17, v71
	v_cmp_gt_i32_e64 s17, 0, v75
	v_and_b32_e32 v69, v69, v70
	v_not_b32_e32 v70, v200
	v_ashrrev_i32_e32 v74, 31, v74
	v_xor_b32_e32 v72, vcc_lo, v72
	v_cmp_gt_i32_e32 vcc_lo, 0, v200
	v_and_b32_e32 v69, v69, v71
	v_not_b32_e32 v71, v73
	v_ashrrev_i32_e32 v70, 31, v70
	v_xor_b32_e32 v74, s17, v74
	v_mul_u32_u24_e32 v68, 9, v68
	v_and_b32_e32 v69, v69, v72
	v_cmp_gt_i32_e64 s17, 0, v73
	v_ashrrev_i32_e32 v71, 31, v71
	v_xor_b32_e32 v70, vcc_lo, v70
	v_add_lshl_u32 v72, v68, v158, 2
	v_and_b32_e32 v69, v69, v74
	s_delay_alu instid0(VALU_DEP_4) | instskip(SKIP_3) | instid1(VALU_DEP_2)
	v_xor_b32_e32 v68, s17, v71
	ds_load_b32 v200, v72 offset:1056
	v_and_b32_e32 v69, v69, v70
	v_add_nc_u32_e32 v202, 0x420, v72
	; wave barrier
	v_and_b32_e32 v68, v69, v68
	s_delay_alu instid0(VALU_DEP_1) | instskip(SKIP_1) | instid1(VALU_DEP_2)
	v_mbcnt_lo_u32_b32 v201, v68, 0
	v_cmp_ne_u32_e64 s17, 0, v68
	v_cmp_eq_u32_e32 vcc_lo, 0, v201
	s_delay_alu instid0(VALU_DEP_2) | instskip(NEXT) | instid1(SALU_CYCLE_1)
	s_and_b32 s18, s17, vcc_lo
	s_and_saveexec_b32 s17, s18
	s_cbranch_execz .LBB1155_750
; %bb.749:                              ;   in Loop: Header=BB1155_695 Depth=2
	s_waitcnt lgkmcnt(0)
	v_bcnt_u32_b32 v68, v68, v200
	ds_store_b32 v202, v68
.LBB1155_750:                           ;   in Loop: Header=BB1155_695 Depth=2
	s_or_b32 exec_lo, exec_lo, s17
	v_cmp_gt_i64_e32 vcc_lo, 0, v[60:61]
	v_ashrrev_i32_e32 v68, 31, v61
	; wave barrier
	s_delay_alu instid0(VALU_DEP_1) | instskip(SKIP_1) | instid1(VALU_DEP_2)
	v_not_b32_e32 v68, v68
	v_cndmask_b32_e64 v69, 0x7fffffff, 0, vcc_lo
	v_xor_b32_e32 v60, v68, v60
	s_delay_alu instid0(VALU_DEP_2) | instskip(NEXT) | instid1(VALU_DEP_1)
	v_xor_b32_e32 v61, v69, v61
	v_cmp_ne_u64_e32 vcc_lo, s[34:35], v[60:61]
	v_cndmask_b32_e32 v69, 0x7fffffff, v61, vcc_lo
	v_cndmask_b32_e32 v68, -1, v60, vcc_lo
	s_delay_alu instid0(VALU_DEP_1) | instskip(NEXT) | instid1(VALU_DEP_1)
	v_lshrrev_b64 v[68:69], s40, v[68:69]
	v_and_b32_e32 v68, s42, v68
	s_delay_alu instid0(VALU_DEP_1)
	v_and_b32_e32 v69, 1, v68
	v_lshlrev_b32_e32 v70, 30, v68
	v_lshlrev_b32_e32 v71, 29, v68
	;; [unrolled: 1-line block ×4, first 2 shown]
	v_add_co_u32 v69, s17, v69, -1
	s_delay_alu instid0(VALU_DEP_1)
	v_cndmask_b32_e64 v73, 0, 1, s17
	v_not_b32_e32 v204, v70
	v_cmp_gt_i32_e64 s17, 0, v70
	v_not_b32_e32 v70, v71
	v_lshlrev_b32_e32 v75, 26, v68
	v_cmp_ne_u32_e32 vcc_lo, 0, v73
	v_ashrrev_i32_e32 v204, 31, v204
	v_lshlrev_b32_e32 v203, 25, v68
	v_ashrrev_i32_e32 v70, 31, v70
	v_lshlrev_b32_e32 v73, 24, v68
	v_xor_b32_e32 v69, vcc_lo, v69
	v_cmp_gt_i32_e32 vcc_lo, 0, v71
	v_not_b32_e32 v71, v72
	v_xor_b32_e32 v204, s17, v204
	v_cmp_gt_i32_e64 s17, 0, v72
	v_and_b32_e32 v69, exec_lo, v69
	v_not_b32_e32 v72, v74
	v_ashrrev_i32_e32 v71, 31, v71
	v_xor_b32_e32 v70, vcc_lo, v70
	v_cmp_gt_i32_e32 vcc_lo, 0, v74
	v_and_b32_e32 v69, v69, v204
	v_not_b32_e32 v74, v75
	v_ashrrev_i32_e32 v72, 31, v72
	v_xor_b32_e32 v71, s17, v71
	v_cmp_gt_i32_e64 s17, 0, v75
	v_and_b32_e32 v69, v69, v70
	v_not_b32_e32 v70, v203
	v_ashrrev_i32_e32 v74, 31, v74
	v_xor_b32_e32 v72, vcc_lo, v72
	v_cmp_gt_i32_e32 vcc_lo, 0, v203
	v_and_b32_e32 v69, v69, v71
	v_not_b32_e32 v71, v73
	v_ashrrev_i32_e32 v70, 31, v70
	v_xor_b32_e32 v74, s17, v74
	v_mul_u32_u24_e32 v68, 9, v68
	v_and_b32_e32 v69, v69, v72
	v_cmp_gt_i32_e64 s17, 0, v73
	v_ashrrev_i32_e32 v71, 31, v71
	v_xor_b32_e32 v70, vcc_lo, v70
	v_add_lshl_u32 v72, v68, v158, 2
	v_and_b32_e32 v69, v69, v74
	s_delay_alu instid0(VALU_DEP_4) | instskip(SKIP_3) | instid1(VALU_DEP_2)
	v_xor_b32_e32 v68, s17, v71
	ds_load_b32 v203, v72 offset:1056
	v_and_b32_e32 v69, v69, v70
	v_add_nc_u32_e32 v205, 0x420, v72
	; wave barrier
	v_and_b32_e32 v68, v69, v68
	s_delay_alu instid0(VALU_DEP_1) | instskip(SKIP_1) | instid1(VALU_DEP_2)
	v_mbcnt_lo_u32_b32 v204, v68, 0
	v_cmp_ne_u32_e64 s17, 0, v68
	v_cmp_eq_u32_e32 vcc_lo, 0, v204
	s_delay_alu instid0(VALU_DEP_2) | instskip(NEXT) | instid1(SALU_CYCLE_1)
	s_and_b32 s18, s17, vcc_lo
	s_and_saveexec_b32 s17, s18
	s_cbranch_execz .LBB1155_752
; %bb.751:                              ;   in Loop: Header=BB1155_695 Depth=2
	s_waitcnt lgkmcnt(0)
	v_bcnt_u32_b32 v68, v68, v203
	ds_store_b32 v205, v68
.LBB1155_752:                           ;   in Loop: Header=BB1155_695 Depth=2
	s_or_b32 exec_lo, exec_lo, s17
	v_cmp_gt_i64_e32 vcc_lo, 0, v[56:57]
	v_ashrrev_i32_e32 v68, 31, v57
	; wave barrier
	s_delay_alu instid0(VALU_DEP_1) | instskip(SKIP_1) | instid1(VALU_DEP_2)
	v_not_b32_e32 v68, v68
	v_cndmask_b32_e64 v69, 0x7fffffff, 0, vcc_lo
	v_xor_b32_e32 v56, v68, v56
	s_delay_alu instid0(VALU_DEP_2) | instskip(NEXT) | instid1(VALU_DEP_1)
	v_xor_b32_e32 v57, v69, v57
	v_cmp_ne_u64_e32 vcc_lo, s[34:35], v[56:57]
	v_cndmask_b32_e32 v69, 0x7fffffff, v57, vcc_lo
	v_cndmask_b32_e32 v68, -1, v56, vcc_lo
	s_delay_alu instid0(VALU_DEP_1) | instskip(NEXT) | instid1(VALU_DEP_1)
	v_lshrrev_b64 v[68:69], s40, v[68:69]
	v_and_b32_e32 v68, s42, v68
	s_delay_alu instid0(VALU_DEP_1)
	v_and_b32_e32 v69, 1, v68
	v_lshlrev_b32_e32 v70, 30, v68
	v_lshlrev_b32_e32 v71, 29, v68
	;; [unrolled: 1-line block ×4, first 2 shown]
	v_add_co_u32 v69, s17, v69, -1
	s_delay_alu instid0(VALU_DEP_1)
	v_cndmask_b32_e64 v73, 0, 1, s17
	v_not_b32_e32 v207, v70
	v_cmp_gt_i32_e64 s17, 0, v70
	v_not_b32_e32 v70, v71
	v_lshlrev_b32_e32 v75, 26, v68
	v_cmp_ne_u32_e32 vcc_lo, 0, v73
	v_ashrrev_i32_e32 v207, 31, v207
	v_lshlrev_b32_e32 v206, 25, v68
	v_ashrrev_i32_e32 v70, 31, v70
	v_lshlrev_b32_e32 v73, 24, v68
	v_xor_b32_e32 v69, vcc_lo, v69
	v_cmp_gt_i32_e32 vcc_lo, 0, v71
	v_not_b32_e32 v71, v72
	v_xor_b32_e32 v207, s17, v207
	v_cmp_gt_i32_e64 s17, 0, v72
	v_and_b32_e32 v69, exec_lo, v69
	v_not_b32_e32 v72, v74
	v_ashrrev_i32_e32 v71, 31, v71
	v_xor_b32_e32 v70, vcc_lo, v70
	v_cmp_gt_i32_e32 vcc_lo, 0, v74
	v_and_b32_e32 v69, v69, v207
	v_not_b32_e32 v74, v75
	v_ashrrev_i32_e32 v72, 31, v72
	v_xor_b32_e32 v71, s17, v71
	v_cmp_gt_i32_e64 s17, 0, v75
	v_and_b32_e32 v69, v69, v70
	v_not_b32_e32 v70, v206
	v_ashrrev_i32_e32 v74, 31, v74
	v_xor_b32_e32 v72, vcc_lo, v72
	v_cmp_gt_i32_e32 vcc_lo, 0, v206
	v_and_b32_e32 v69, v69, v71
	v_not_b32_e32 v71, v73
	v_ashrrev_i32_e32 v70, 31, v70
	v_xor_b32_e32 v74, s17, v74
	v_mul_u32_u24_e32 v68, 9, v68
	v_and_b32_e32 v69, v69, v72
	v_cmp_gt_i32_e64 s17, 0, v73
	v_ashrrev_i32_e32 v71, 31, v71
	v_xor_b32_e32 v70, vcc_lo, v70
	v_add_lshl_u32 v72, v68, v158, 2
	v_and_b32_e32 v69, v69, v74
	s_delay_alu instid0(VALU_DEP_4) | instskip(SKIP_3) | instid1(VALU_DEP_2)
	v_xor_b32_e32 v68, s17, v71
	ds_load_b32 v206, v72 offset:1056
	v_and_b32_e32 v69, v69, v70
	v_add_nc_u32_e32 v208, 0x420, v72
	; wave barrier
	v_and_b32_e32 v68, v69, v68
	s_delay_alu instid0(VALU_DEP_1) | instskip(SKIP_1) | instid1(VALU_DEP_2)
	v_mbcnt_lo_u32_b32 v207, v68, 0
	v_cmp_ne_u32_e64 s17, 0, v68
	v_cmp_eq_u32_e32 vcc_lo, 0, v207
	s_delay_alu instid0(VALU_DEP_2) | instskip(NEXT) | instid1(SALU_CYCLE_1)
	s_and_b32 s18, s17, vcc_lo
	s_and_saveexec_b32 s17, s18
	s_cbranch_execz .LBB1155_754
; %bb.753:                              ;   in Loop: Header=BB1155_695 Depth=2
	s_waitcnt lgkmcnt(0)
	v_bcnt_u32_b32 v68, v68, v206
	ds_store_b32 v208, v68
.LBB1155_754:                           ;   in Loop: Header=BB1155_695 Depth=2
	s_or_b32 exec_lo, exec_lo, s17
	v_cmp_gt_i64_e32 vcc_lo, 0, v[52:53]
	v_ashrrev_i32_e32 v68, 31, v53
	; wave barrier
	s_delay_alu instid0(VALU_DEP_1) | instskip(SKIP_1) | instid1(VALU_DEP_2)
	v_not_b32_e32 v68, v68
	v_cndmask_b32_e64 v69, 0x7fffffff, 0, vcc_lo
	v_xor_b32_e32 v52, v68, v52
	s_delay_alu instid0(VALU_DEP_2) | instskip(NEXT) | instid1(VALU_DEP_1)
	v_xor_b32_e32 v53, v69, v53
	v_cmp_ne_u64_e32 vcc_lo, s[34:35], v[52:53]
	v_cndmask_b32_e32 v69, 0x7fffffff, v53, vcc_lo
	v_cndmask_b32_e32 v68, -1, v52, vcc_lo
	s_delay_alu instid0(VALU_DEP_1) | instskip(NEXT) | instid1(VALU_DEP_1)
	v_lshrrev_b64 v[68:69], s40, v[68:69]
	v_and_b32_e32 v68, s42, v68
	s_delay_alu instid0(VALU_DEP_1)
	v_and_b32_e32 v69, 1, v68
	v_lshlrev_b32_e32 v70, 30, v68
	v_lshlrev_b32_e32 v71, 29, v68
	;; [unrolled: 1-line block ×4, first 2 shown]
	v_add_co_u32 v69, s17, v69, -1
	s_delay_alu instid0(VALU_DEP_1)
	v_cndmask_b32_e64 v73, 0, 1, s17
	v_not_b32_e32 v210, v70
	v_cmp_gt_i32_e64 s17, 0, v70
	v_not_b32_e32 v70, v71
	v_lshlrev_b32_e32 v75, 26, v68
	v_cmp_ne_u32_e32 vcc_lo, 0, v73
	v_ashrrev_i32_e32 v210, 31, v210
	v_lshlrev_b32_e32 v209, 25, v68
	v_ashrrev_i32_e32 v70, 31, v70
	v_lshlrev_b32_e32 v73, 24, v68
	v_xor_b32_e32 v69, vcc_lo, v69
	v_cmp_gt_i32_e32 vcc_lo, 0, v71
	v_not_b32_e32 v71, v72
	v_xor_b32_e32 v210, s17, v210
	v_cmp_gt_i32_e64 s17, 0, v72
	v_and_b32_e32 v69, exec_lo, v69
	v_not_b32_e32 v72, v74
	v_ashrrev_i32_e32 v71, 31, v71
	v_xor_b32_e32 v70, vcc_lo, v70
	v_cmp_gt_i32_e32 vcc_lo, 0, v74
	v_and_b32_e32 v69, v69, v210
	v_not_b32_e32 v74, v75
	v_ashrrev_i32_e32 v72, 31, v72
	v_xor_b32_e32 v71, s17, v71
	v_cmp_gt_i32_e64 s17, 0, v75
	v_and_b32_e32 v69, v69, v70
	v_not_b32_e32 v70, v209
	v_ashrrev_i32_e32 v74, 31, v74
	v_xor_b32_e32 v72, vcc_lo, v72
	v_cmp_gt_i32_e32 vcc_lo, 0, v209
	v_and_b32_e32 v69, v69, v71
	v_not_b32_e32 v71, v73
	v_ashrrev_i32_e32 v70, 31, v70
	v_xor_b32_e32 v74, s17, v74
	v_mul_u32_u24_e32 v68, 9, v68
	v_and_b32_e32 v69, v69, v72
	v_cmp_gt_i32_e64 s17, 0, v73
	v_ashrrev_i32_e32 v71, 31, v71
	v_xor_b32_e32 v70, vcc_lo, v70
	v_add_lshl_u32 v72, v68, v158, 2
	v_and_b32_e32 v69, v69, v74
	s_delay_alu instid0(VALU_DEP_4) | instskip(SKIP_3) | instid1(VALU_DEP_2)
	v_xor_b32_e32 v68, s17, v71
	ds_load_b32 v209, v72 offset:1056
	v_and_b32_e32 v69, v69, v70
	v_add_nc_u32_e32 v211, 0x420, v72
	; wave barrier
	v_and_b32_e32 v68, v69, v68
	s_delay_alu instid0(VALU_DEP_1) | instskip(SKIP_1) | instid1(VALU_DEP_2)
	v_mbcnt_lo_u32_b32 v210, v68, 0
	v_cmp_ne_u32_e64 s17, 0, v68
	v_cmp_eq_u32_e32 vcc_lo, 0, v210
	s_delay_alu instid0(VALU_DEP_2) | instskip(NEXT) | instid1(SALU_CYCLE_1)
	s_and_b32 s18, s17, vcc_lo
	s_and_saveexec_b32 s17, s18
	s_cbranch_execz .LBB1155_756
; %bb.755:                              ;   in Loop: Header=BB1155_695 Depth=2
	s_waitcnt lgkmcnt(0)
	v_bcnt_u32_b32 v68, v68, v209
	ds_store_b32 v211, v68
.LBB1155_756:                           ;   in Loop: Header=BB1155_695 Depth=2
	s_or_b32 exec_lo, exec_lo, s17
	v_cmp_gt_i64_e32 vcc_lo, 0, v[50:51]
	v_ashrrev_i32_e32 v68, 31, v51
	; wave barrier
	s_delay_alu instid0(VALU_DEP_1) | instskip(SKIP_1) | instid1(VALU_DEP_2)
	v_not_b32_e32 v68, v68
	v_cndmask_b32_e64 v69, 0x7fffffff, 0, vcc_lo
	v_xor_b32_e32 v50, v68, v50
	s_delay_alu instid0(VALU_DEP_2) | instskip(NEXT) | instid1(VALU_DEP_1)
	v_xor_b32_e32 v51, v69, v51
	v_cmp_ne_u64_e32 vcc_lo, s[34:35], v[50:51]
	v_cndmask_b32_e32 v69, 0x7fffffff, v51, vcc_lo
	v_cndmask_b32_e32 v68, -1, v50, vcc_lo
	s_delay_alu instid0(VALU_DEP_1) | instskip(NEXT) | instid1(VALU_DEP_1)
	v_lshrrev_b64 v[68:69], s40, v[68:69]
	v_and_b32_e32 v68, s42, v68
	s_delay_alu instid0(VALU_DEP_1)
	v_and_b32_e32 v69, 1, v68
	v_lshlrev_b32_e32 v70, 30, v68
	v_lshlrev_b32_e32 v71, 29, v68
	;; [unrolled: 1-line block ×4, first 2 shown]
	v_add_co_u32 v69, s17, v69, -1
	s_delay_alu instid0(VALU_DEP_1)
	v_cndmask_b32_e64 v73, 0, 1, s17
	v_not_b32_e32 v213, v70
	v_cmp_gt_i32_e64 s17, 0, v70
	v_not_b32_e32 v70, v71
	v_lshlrev_b32_e32 v75, 26, v68
	v_cmp_ne_u32_e32 vcc_lo, 0, v73
	v_ashrrev_i32_e32 v213, 31, v213
	v_lshlrev_b32_e32 v212, 25, v68
	v_ashrrev_i32_e32 v70, 31, v70
	v_lshlrev_b32_e32 v73, 24, v68
	v_xor_b32_e32 v69, vcc_lo, v69
	v_cmp_gt_i32_e32 vcc_lo, 0, v71
	v_not_b32_e32 v71, v72
	v_xor_b32_e32 v213, s17, v213
	v_cmp_gt_i32_e64 s17, 0, v72
	v_and_b32_e32 v69, exec_lo, v69
	v_not_b32_e32 v72, v74
	v_ashrrev_i32_e32 v71, 31, v71
	v_xor_b32_e32 v70, vcc_lo, v70
	v_cmp_gt_i32_e32 vcc_lo, 0, v74
	v_and_b32_e32 v69, v69, v213
	v_not_b32_e32 v74, v75
	v_ashrrev_i32_e32 v72, 31, v72
	v_xor_b32_e32 v71, s17, v71
	v_cmp_gt_i32_e64 s17, 0, v75
	v_and_b32_e32 v69, v69, v70
	v_not_b32_e32 v70, v212
	v_ashrrev_i32_e32 v74, 31, v74
	v_xor_b32_e32 v72, vcc_lo, v72
	v_cmp_gt_i32_e32 vcc_lo, 0, v212
	v_and_b32_e32 v69, v69, v71
	v_not_b32_e32 v71, v73
	v_ashrrev_i32_e32 v70, 31, v70
	v_xor_b32_e32 v74, s17, v74
	v_mul_u32_u24_e32 v68, 9, v68
	v_and_b32_e32 v69, v69, v72
	v_cmp_gt_i32_e64 s17, 0, v73
	v_ashrrev_i32_e32 v71, 31, v71
	v_xor_b32_e32 v70, vcc_lo, v70
	v_add_lshl_u32 v72, v68, v158, 2
	v_and_b32_e32 v69, v69, v74
	s_delay_alu instid0(VALU_DEP_4) | instskip(SKIP_3) | instid1(VALU_DEP_2)
	v_xor_b32_e32 v68, s17, v71
	ds_load_b32 v212, v72 offset:1056
	v_and_b32_e32 v69, v69, v70
	v_add_nc_u32_e32 v214, 0x420, v72
	; wave barrier
	v_and_b32_e32 v68, v69, v68
	s_delay_alu instid0(VALU_DEP_1) | instskip(SKIP_1) | instid1(VALU_DEP_2)
	v_mbcnt_lo_u32_b32 v213, v68, 0
	v_cmp_ne_u32_e64 s17, 0, v68
	v_cmp_eq_u32_e32 vcc_lo, 0, v213
	s_delay_alu instid0(VALU_DEP_2) | instskip(NEXT) | instid1(SALU_CYCLE_1)
	s_and_b32 s18, s17, vcc_lo
	s_and_saveexec_b32 s17, s18
	s_cbranch_execz .LBB1155_758
; %bb.757:                              ;   in Loop: Header=BB1155_695 Depth=2
	s_waitcnt lgkmcnt(0)
	v_bcnt_u32_b32 v68, v68, v212
	ds_store_b32 v214, v68
.LBB1155_758:                           ;   in Loop: Header=BB1155_695 Depth=2
	s_or_b32 exec_lo, exec_lo, s17
	v_cmp_gt_i64_e32 vcc_lo, 0, v[46:47]
	v_ashrrev_i32_e32 v68, 31, v47
	; wave barrier
	s_delay_alu instid0(VALU_DEP_1) | instskip(SKIP_1) | instid1(VALU_DEP_2)
	v_not_b32_e32 v68, v68
	v_cndmask_b32_e64 v69, 0x7fffffff, 0, vcc_lo
	v_xor_b32_e32 v46, v68, v46
	s_delay_alu instid0(VALU_DEP_2) | instskip(NEXT) | instid1(VALU_DEP_1)
	v_xor_b32_e32 v47, v69, v47
	v_cmp_ne_u64_e32 vcc_lo, s[34:35], v[46:47]
	v_cndmask_b32_e32 v69, 0x7fffffff, v47, vcc_lo
	v_cndmask_b32_e32 v68, -1, v46, vcc_lo
	s_delay_alu instid0(VALU_DEP_1) | instskip(NEXT) | instid1(VALU_DEP_1)
	v_lshrrev_b64 v[68:69], s40, v[68:69]
	v_and_b32_e32 v68, s42, v68
	s_delay_alu instid0(VALU_DEP_1)
	v_and_b32_e32 v69, 1, v68
	v_lshlrev_b32_e32 v70, 30, v68
	v_lshlrev_b32_e32 v71, 29, v68
	;; [unrolled: 1-line block ×4, first 2 shown]
	v_add_co_u32 v69, s17, v69, -1
	s_delay_alu instid0(VALU_DEP_1)
	v_cndmask_b32_e64 v73, 0, 1, s17
	v_not_b32_e32 v216, v70
	v_cmp_gt_i32_e64 s17, 0, v70
	v_not_b32_e32 v70, v71
	v_lshlrev_b32_e32 v75, 26, v68
	v_cmp_ne_u32_e32 vcc_lo, 0, v73
	v_ashrrev_i32_e32 v216, 31, v216
	v_lshlrev_b32_e32 v215, 25, v68
	v_ashrrev_i32_e32 v70, 31, v70
	v_lshlrev_b32_e32 v73, 24, v68
	v_xor_b32_e32 v69, vcc_lo, v69
	v_cmp_gt_i32_e32 vcc_lo, 0, v71
	v_not_b32_e32 v71, v72
	v_xor_b32_e32 v216, s17, v216
	v_cmp_gt_i32_e64 s17, 0, v72
	v_and_b32_e32 v69, exec_lo, v69
	v_not_b32_e32 v72, v74
	v_ashrrev_i32_e32 v71, 31, v71
	v_xor_b32_e32 v70, vcc_lo, v70
	v_cmp_gt_i32_e32 vcc_lo, 0, v74
	v_and_b32_e32 v69, v69, v216
	v_not_b32_e32 v74, v75
	v_ashrrev_i32_e32 v72, 31, v72
	v_xor_b32_e32 v71, s17, v71
	v_cmp_gt_i32_e64 s17, 0, v75
	v_and_b32_e32 v69, v69, v70
	v_not_b32_e32 v70, v215
	v_ashrrev_i32_e32 v74, 31, v74
	v_xor_b32_e32 v72, vcc_lo, v72
	v_cmp_gt_i32_e32 vcc_lo, 0, v215
	v_and_b32_e32 v69, v69, v71
	v_not_b32_e32 v71, v73
	v_ashrrev_i32_e32 v70, 31, v70
	v_xor_b32_e32 v74, s17, v74
	v_mul_u32_u24_e32 v68, 9, v68
	v_and_b32_e32 v69, v69, v72
	v_cmp_gt_i32_e64 s17, 0, v73
	v_ashrrev_i32_e32 v71, 31, v71
	v_xor_b32_e32 v70, vcc_lo, v70
	v_add_lshl_u32 v72, v68, v158, 2
	v_and_b32_e32 v69, v69, v74
	s_delay_alu instid0(VALU_DEP_4) | instskip(SKIP_3) | instid1(VALU_DEP_2)
	v_xor_b32_e32 v68, s17, v71
	ds_load_b32 v215, v72 offset:1056
	v_and_b32_e32 v69, v69, v70
	v_add_nc_u32_e32 v217, 0x420, v72
	; wave barrier
	v_and_b32_e32 v68, v69, v68
	s_delay_alu instid0(VALU_DEP_1) | instskip(SKIP_1) | instid1(VALU_DEP_2)
	v_mbcnt_lo_u32_b32 v216, v68, 0
	v_cmp_ne_u32_e64 s17, 0, v68
	v_cmp_eq_u32_e32 vcc_lo, 0, v216
	s_delay_alu instid0(VALU_DEP_2) | instskip(NEXT) | instid1(SALU_CYCLE_1)
	s_and_b32 s18, s17, vcc_lo
	s_and_saveexec_b32 s17, s18
	s_cbranch_execz .LBB1155_760
; %bb.759:                              ;   in Loop: Header=BB1155_695 Depth=2
	s_waitcnt lgkmcnt(0)
	v_bcnt_u32_b32 v68, v68, v215
	ds_store_b32 v217, v68
.LBB1155_760:                           ;   in Loop: Header=BB1155_695 Depth=2
	s_or_b32 exec_lo, exec_lo, s17
	v_cmp_gt_i64_e32 vcc_lo, 0, v[40:41]
	v_ashrrev_i32_e32 v68, 31, v41
	; wave barrier
	s_delay_alu instid0(VALU_DEP_1) | instskip(SKIP_1) | instid1(VALU_DEP_2)
	v_not_b32_e32 v68, v68
	v_cndmask_b32_e64 v69, 0x7fffffff, 0, vcc_lo
	v_xor_b32_e32 v40, v68, v40
	s_delay_alu instid0(VALU_DEP_2) | instskip(NEXT) | instid1(VALU_DEP_1)
	v_xor_b32_e32 v41, v69, v41
	v_cmp_ne_u64_e32 vcc_lo, s[34:35], v[40:41]
	v_cndmask_b32_e32 v69, 0x7fffffff, v41, vcc_lo
	v_cndmask_b32_e32 v68, -1, v40, vcc_lo
	s_delay_alu instid0(VALU_DEP_1) | instskip(NEXT) | instid1(VALU_DEP_1)
	v_lshrrev_b64 v[68:69], s40, v[68:69]
	v_and_b32_e32 v68, s42, v68
	s_delay_alu instid0(VALU_DEP_1)
	v_and_b32_e32 v69, 1, v68
	v_lshlrev_b32_e32 v70, 30, v68
	v_lshlrev_b32_e32 v71, 29, v68
	v_lshlrev_b32_e32 v72, 28, v68
	v_lshlrev_b32_e32 v74, 27, v68
	v_add_co_u32 v69, s17, v69, -1
	s_delay_alu instid0(VALU_DEP_1)
	v_cndmask_b32_e64 v73, 0, 1, s17
	v_not_b32_e32 v219, v70
	v_cmp_gt_i32_e64 s17, 0, v70
	v_not_b32_e32 v70, v71
	v_lshlrev_b32_e32 v75, 26, v68
	v_cmp_ne_u32_e32 vcc_lo, 0, v73
	v_ashrrev_i32_e32 v219, 31, v219
	v_lshlrev_b32_e32 v218, 25, v68
	v_ashrrev_i32_e32 v70, 31, v70
	v_lshlrev_b32_e32 v73, 24, v68
	v_xor_b32_e32 v69, vcc_lo, v69
	v_cmp_gt_i32_e32 vcc_lo, 0, v71
	v_not_b32_e32 v71, v72
	v_xor_b32_e32 v219, s17, v219
	v_cmp_gt_i32_e64 s17, 0, v72
	v_and_b32_e32 v69, exec_lo, v69
	v_not_b32_e32 v72, v74
	v_ashrrev_i32_e32 v71, 31, v71
	v_xor_b32_e32 v70, vcc_lo, v70
	v_cmp_gt_i32_e32 vcc_lo, 0, v74
	v_and_b32_e32 v69, v69, v219
	v_not_b32_e32 v74, v75
	v_ashrrev_i32_e32 v72, 31, v72
	v_xor_b32_e32 v71, s17, v71
	v_cmp_gt_i32_e64 s17, 0, v75
	v_and_b32_e32 v69, v69, v70
	v_not_b32_e32 v70, v218
	v_ashrrev_i32_e32 v74, 31, v74
	v_xor_b32_e32 v72, vcc_lo, v72
	v_cmp_gt_i32_e32 vcc_lo, 0, v218
	v_and_b32_e32 v69, v69, v71
	v_not_b32_e32 v71, v73
	v_ashrrev_i32_e32 v70, 31, v70
	v_xor_b32_e32 v74, s17, v74
	v_mul_u32_u24_e32 v68, 9, v68
	v_and_b32_e32 v69, v69, v72
	v_cmp_gt_i32_e64 s17, 0, v73
	v_ashrrev_i32_e32 v71, 31, v71
	v_xor_b32_e32 v70, vcc_lo, v70
	v_add_lshl_u32 v72, v68, v158, 2
	v_and_b32_e32 v69, v69, v74
	s_delay_alu instid0(VALU_DEP_4) | instskip(SKIP_3) | instid1(VALU_DEP_2)
	v_xor_b32_e32 v68, s17, v71
	ds_load_b32 v218, v72 offset:1056
	v_and_b32_e32 v69, v69, v70
	v_add_nc_u32_e32 v220, 0x420, v72
	; wave barrier
	v_and_b32_e32 v68, v69, v68
	s_delay_alu instid0(VALU_DEP_1) | instskip(SKIP_1) | instid1(VALU_DEP_2)
	v_mbcnt_lo_u32_b32 v219, v68, 0
	v_cmp_ne_u32_e64 s17, 0, v68
	v_cmp_eq_u32_e32 vcc_lo, 0, v219
	s_delay_alu instid0(VALU_DEP_2) | instskip(NEXT) | instid1(SALU_CYCLE_1)
	s_and_b32 s18, s17, vcc_lo
	s_and_saveexec_b32 s17, s18
	s_cbranch_execz .LBB1155_762
; %bb.761:                              ;   in Loop: Header=BB1155_695 Depth=2
	s_waitcnt lgkmcnt(0)
	v_bcnt_u32_b32 v68, v68, v218
	ds_store_b32 v220, v68
.LBB1155_762:                           ;   in Loop: Header=BB1155_695 Depth=2
	s_or_b32 exec_lo, exec_lo, s17
	v_cmp_gt_i64_e32 vcc_lo, 0, v[42:43]
	v_ashrrev_i32_e32 v68, 31, v43
	; wave barrier
	s_delay_alu instid0(VALU_DEP_1) | instskip(SKIP_1) | instid1(VALU_DEP_2)
	v_not_b32_e32 v68, v68
	v_cndmask_b32_e64 v69, 0x7fffffff, 0, vcc_lo
	v_xor_b32_e32 v42, v68, v42
	s_delay_alu instid0(VALU_DEP_2) | instskip(NEXT) | instid1(VALU_DEP_1)
	v_xor_b32_e32 v43, v69, v43
	v_cmp_ne_u64_e32 vcc_lo, s[34:35], v[42:43]
	v_cndmask_b32_e32 v69, 0x7fffffff, v43, vcc_lo
	v_cndmask_b32_e32 v68, -1, v42, vcc_lo
	s_delay_alu instid0(VALU_DEP_1) | instskip(NEXT) | instid1(VALU_DEP_1)
	v_lshrrev_b64 v[68:69], s40, v[68:69]
	v_and_b32_e32 v68, s42, v68
	s_delay_alu instid0(VALU_DEP_1)
	v_and_b32_e32 v69, 1, v68
	v_lshlrev_b32_e32 v70, 30, v68
	v_lshlrev_b32_e32 v71, 29, v68
	;; [unrolled: 1-line block ×4, first 2 shown]
	v_add_co_u32 v69, s17, v69, -1
	s_delay_alu instid0(VALU_DEP_1)
	v_cndmask_b32_e64 v73, 0, 1, s17
	v_not_b32_e32 v222, v70
	v_cmp_gt_i32_e64 s17, 0, v70
	v_not_b32_e32 v70, v71
	v_lshlrev_b32_e32 v75, 26, v68
	v_cmp_ne_u32_e32 vcc_lo, 0, v73
	v_ashrrev_i32_e32 v222, 31, v222
	v_lshlrev_b32_e32 v221, 25, v68
	v_ashrrev_i32_e32 v70, 31, v70
	v_lshlrev_b32_e32 v73, 24, v68
	v_xor_b32_e32 v69, vcc_lo, v69
	v_cmp_gt_i32_e32 vcc_lo, 0, v71
	v_not_b32_e32 v71, v72
	v_xor_b32_e32 v222, s17, v222
	v_cmp_gt_i32_e64 s17, 0, v72
	v_and_b32_e32 v69, exec_lo, v69
	v_not_b32_e32 v72, v74
	v_ashrrev_i32_e32 v71, 31, v71
	v_xor_b32_e32 v70, vcc_lo, v70
	v_cmp_gt_i32_e32 vcc_lo, 0, v74
	v_and_b32_e32 v69, v69, v222
	v_not_b32_e32 v74, v75
	v_ashrrev_i32_e32 v72, 31, v72
	v_xor_b32_e32 v71, s17, v71
	v_cmp_gt_i32_e64 s17, 0, v75
	v_and_b32_e32 v69, v69, v70
	v_not_b32_e32 v70, v221
	v_ashrrev_i32_e32 v74, 31, v74
	v_xor_b32_e32 v72, vcc_lo, v72
	v_cmp_gt_i32_e32 vcc_lo, 0, v221
	v_and_b32_e32 v69, v69, v71
	v_not_b32_e32 v71, v73
	v_ashrrev_i32_e32 v70, 31, v70
	v_xor_b32_e32 v74, s17, v74
	v_mul_u32_u24_e32 v68, 9, v68
	v_and_b32_e32 v69, v69, v72
	v_cmp_gt_i32_e64 s17, 0, v73
	v_ashrrev_i32_e32 v71, 31, v71
	v_xor_b32_e32 v70, vcc_lo, v70
	v_add_lshl_u32 v72, v68, v158, 2
	v_and_b32_e32 v69, v69, v74
	s_delay_alu instid0(VALU_DEP_4) | instskip(SKIP_3) | instid1(VALU_DEP_2)
	v_xor_b32_e32 v68, s17, v71
	ds_load_b32 v221, v72 offset:1056
	v_and_b32_e32 v69, v69, v70
	v_add_nc_u32_e32 v223, 0x420, v72
	; wave barrier
	v_and_b32_e32 v68, v69, v68
	s_delay_alu instid0(VALU_DEP_1) | instskip(SKIP_1) | instid1(VALU_DEP_2)
	v_mbcnt_lo_u32_b32 v222, v68, 0
	v_cmp_ne_u32_e64 s17, 0, v68
	v_cmp_eq_u32_e32 vcc_lo, 0, v222
	s_delay_alu instid0(VALU_DEP_2) | instskip(NEXT) | instid1(SALU_CYCLE_1)
	s_and_b32 s18, s17, vcc_lo
	s_and_saveexec_b32 s17, s18
	s_cbranch_execz .LBB1155_764
; %bb.763:                              ;   in Loop: Header=BB1155_695 Depth=2
	s_waitcnt lgkmcnt(0)
	v_bcnt_u32_b32 v68, v68, v221
	ds_store_b32 v223, v68
.LBB1155_764:                           ;   in Loop: Header=BB1155_695 Depth=2
	s_or_b32 exec_lo, exec_lo, s17
	; wave barrier
	s_waitcnt lgkmcnt(0)
	s_barrier
	buffer_gl0_inv
	ds_load_b32 v224, v102 offset:1056
	ds_load_2addr_b32 v[74:75], v103 offset0:1 offset1:2
	ds_load_2addr_b32 v[72:73], v103 offset0:3 offset1:4
	ds_load_2addr_b32 v[68:69], v103 offset0:5 offset1:6
	ds_load_2addr_b32 v[70:71], v103 offset0:7 offset1:8
	s_waitcnt lgkmcnt(3)
	v_add3_u32 v225, v74, v224, v75
	s_waitcnt lgkmcnt(2)
	s_delay_alu instid0(VALU_DEP_1) | instskip(SKIP_1) | instid1(VALU_DEP_1)
	v_add3_u32 v225, v225, v72, v73
	s_waitcnt lgkmcnt(1)
	v_add3_u32 v225, v225, v68, v69
	s_waitcnt lgkmcnt(0)
	s_delay_alu instid0(VALU_DEP_1) | instskip(NEXT) | instid1(VALU_DEP_1)
	v_add3_u32 v71, v225, v70, v71
	v_mov_b32_dpp v225, v71 row_shr:1 row_mask:0xf bank_mask:0xf
	s_delay_alu instid0(VALU_DEP_1) | instskip(NEXT) | instid1(VALU_DEP_1)
	v_cndmask_b32_e64 v225, v225, 0, s1
	v_add_nc_u32_e32 v71, v225, v71
	s_delay_alu instid0(VALU_DEP_1) | instskip(NEXT) | instid1(VALU_DEP_1)
	v_mov_b32_dpp v225, v71 row_shr:2 row_mask:0xf bank_mask:0xf
	v_cndmask_b32_e64 v225, 0, v225, s7
	s_delay_alu instid0(VALU_DEP_1) | instskip(NEXT) | instid1(VALU_DEP_1)
	v_add_nc_u32_e32 v71, v71, v225
	v_mov_b32_dpp v225, v71 row_shr:4 row_mask:0xf bank_mask:0xf
	s_delay_alu instid0(VALU_DEP_1) | instskip(NEXT) | instid1(VALU_DEP_1)
	v_cndmask_b32_e64 v225, 0, v225, s8
	v_add_nc_u32_e32 v71, v71, v225
	s_delay_alu instid0(VALU_DEP_1) | instskip(NEXT) | instid1(VALU_DEP_1)
	v_mov_b32_dpp v225, v71 row_shr:8 row_mask:0xf bank_mask:0xf
	v_cndmask_b32_e64 v225, 0, v225, s9
	s_delay_alu instid0(VALU_DEP_1) | instskip(SKIP_3) | instid1(VALU_DEP_1)
	v_add_nc_u32_e32 v71, v71, v225
	ds_swizzle_b32 v225, v71 offset:swizzle(BROADCAST,32,15)
	s_waitcnt lgkmcnt(0)
	v_cndmask_b32_e64 v225, v225, 0, s10
	v_add_nc_u32_e32 v71, v71, v225
	s_and_saveexec_b32 s17, s3
	s_cbranch_execz .LBB1155_766
; %bb.765:                              ;   in Loop: Header=BB1155_695 Depth=2
	ds_store_b32 v94, v71 offset:1024
.LBB1155_766:                           ;   in Loop: Header=BB1155_695 Depth=2
	s_or_b32 exec_lo, exec_lo, s17
	s_waitcnt lgkmcnt(0)
	s_barrier
	buffer_gl0_inv
	s_and_saveexec_b32 s17, s4
	s_cbranch_execz .LBB1155_768
; %bb.767:                              ;   in Loop: Header=BB1155_695 Depth=2
	ds_load_b32 v225, v104 offset:1024
	s_waitcnt lgkmcnt(0)
	v_mov_b32_dpp v226, v225 row_shr:1 row_mask:0xf bank_mask:0xf
	s_delay_alu instid0(VALU_DEP_1) | instskip(NEXT) | instid1(VALU_DEP_1)
	v_cndmask_b32_e64 v226, v226, 0, s12
	v_add_nc_u32_e32 v225, v226, v225
	s_delay_alu instid0(VALU_DEP_1) | instskip(NEXT) | instid1(VALU_DEP_1)
	v_mov_b32_dpp v226, v225 row_shr:2 row_mask:0xf bank_mask:0xf
	v_cndmask_b32_e64 v226, 0, v226, s13
	s_delay_alu instid0(VALU_DEP_1) | instskip(NEXT) | instid1(VALU_DEP_1)
	v_add_nc_u32_e32 v225, v225, v226
	v_mov_b32_dpp v226, v225 row_shr:4 row_mask:0xf bank_mask:0xf
	s_delay_alu instid0(VALU_DEP_1) | instskip(NEXT) | instid1(VALU_DEP_1)
	v_cndmask_b32_e64 v226, 0, v226, s16
	v_add_nc_u32_e32 v225, v225, v226
	ds_store_b32 v104, v225 offset:1024
.LBB1155_768:                           ;   in Loop: Header=BB1155_695 Depth=2
	s_or_b32 exec_lo, exec_lo, s17
	v_mov_b32_e32 v225, 0
	s_waitcnt lgkmcnt(0)
	s_barrier
	buffer_gl0_inv
	s_and_saveexec_b32 s17, s5
	s_cbranch_execz .LBB1155_770
; %bb.769:                              ;   in Loop: Header=BB1155_695 Depth=2
	ds_load_b32 v225, v94 offset:1020
.LBB1155_770:                           ;   in Loop: Header=BB1155_695 Depth=2
	s_or_b32 exec_lo, exec_lo, s17
	s_waitcnt lgkmcnt(0)
	v_add_nc_u32_e32 v71, v225, v71
	ds_bpermute_b32 v71, v137, v71
	s_waitcnt lgkmcnt(0)
	v_cndmask_b32_e64 v71, v71, v225, s11
	s_delay_alu instid0(VALU_DEP_1) | instskip(NEXT) | instid1(VALU_DEP_1)
	v_cndmask_b32_e64 v71, v71, 0, s0
	v_add_nc_u32_e32 v224, v71, v224
	s_delay_alu instid0(VALU_DEP_1) | instskip(NEXT) | instid1(VALU_DEP_1)
	v_add_nc_u32_e32 v74, v224, v74
	v_add_nc_u32_e32 v75, v74, v75
	s_delay_alu instid0(VALU_DEP_1) | instskip(NEXT) | instid1(VALU_DEP_1)
	v_add_nc_u32_e32 v72, v75, v72
	;; [unrolled: 3-line block ×3, first 2 shown]
	v_add_nc_u32_e32 v69, v68, v69
	s_delay_alu instid0(VALU_DEP_1)
	v_add_nc_u32_e32 v70, v69, v70
	ds_store_b32 v102, v71 offset:1056
	ds_store_2addr_b32 v103, v224, v74 offset0:1 offset1:2
	ds_store_2addr_b32 v103, v75, v72 offset0:3 offset1:4
	;; [unrolled: 1-line block ×4, first 2 shown]
	v_mov_b32_e32 v68, 0x1000
	s_waitcnt lgkmcnt(0)
	s_barrier
	buffer_gl0_inv
	ds_load_b32 v70, v181
	ds_load_b32 v71, v184
	;; [unrolled: 1-line block ×16, first 2 shown]
	ds_load_b32 v178, v102 offset:1056
	s_and_saveexec_b32 s17, s6
	s_cbranch_execz .LBB1155_772
; %bb.771:                              ;   in Loop: Header=BB1155_695 Depth=2
	ds_load_b32 v68, v105 offset:1056
.LBB1155_772:                           ;   in Loop: Header=BB1155_695 Depth=2
	s_or_b32 exec_lo, exec_lo, s17
	s_waitcnt lgkmcnt(0)
	s_barrier
	buffer_gl0_inv
	s_and_saveexec_b32 s17, s2
	s_cbranch_execz .LBB1155_774
; %bb.773:                              ;   in Loop: Header=BB1155_695 Depth=2
	ds_load_b32 v202, v76
	s_waitcnt lgkmcnt(0)
	v_sub_nc_u32_e32 v178, v202, v178
	ds_store_b32 v76, v178
.LBB1155_774:                           ;   in Loop: Header=BB1155_695 Depth=2
	s_or_b32 exec_lo, exec_lo, s17
	v_add_nc_u32_e32 v179, v180, v179
	v_add_lshl_u32 v69, v69, v2, 3
	v_add_nc_u32_e32 v2, v183, v182
	v_add_nc_u32_e32 v180, v186, v185
	;; [unrolled: 1-line block ×8, first 2 shown]
	v_add_lshl_u32 v70, v179, v70, 3
	v_add_lshl_u32 v71, v2, v71, 3
	v_add_nc_u32_e32 v200, v201, v200
	v_add_lshl_u32 v72, v180, v72, 3
	v_add_nc_u32_e32 v203, v204, v203
	;; [unrolled: 2-line block ×3, first 2 shown]
	v_add_nc_u32_e32 v202, v219, v218
	v_add_nc_u32_e32 v205, v216, v215
	;; [unrolled: 1-line block ×3, first 2 shown]
	ds_store_b64 v69, v[36:37] offset:1024
	ds_store_b64 v70, v[38:39] offset:1024
	v_add_lshl_u32 v38, v191, v225, 3
	ds_store_b64 v71, v[44:45] offset:1024
	ds_store_b64 v72, v[48:49] offset:1024
	ds_store_b64 v73, v[54:55] offset:1024
	v_add_lshl_u32 v39, v194, v224, 3
	v_add_lshl_u32 v44, v197, v199, 3
	v_add_lshl_u32 v49, v206, v190, 3
	v_add_lshl_u32 v54, v209, v187, 3
	v_add_lshl_u32 v45, v200, v196, 3
	v_add_lshl_u32 v48, v203, v193, 3
	ds_store_b64 v38, v[58:59] offset:1024
	ds_store_b64 v39, v[62:63] offset:1024
	;; [unrolled: 1-line block ×6, first 2 shown]
	v_add_lshl_u32 v55, v208, v184, 3
	v_add_lshl_u32 v56, v205, v181, 3
	;; [unrolled: 1-line block ×3, first 2 shown]
	ds_store_b64 v54, v[52:53] offset:1024
	v_add_lshl_u32 v52, v178, v74, 3
	v_cmp_lt_u32_e32 vcc_lo, v1, v177
	ds_store_b64 v55, v[50:51] offset:1024
	ds_store_b64 v56, v[46:47] offset:1024
	;; [unrolled: 1-line block ×4, first 2 shown]
	s_waitcnt lgkmcnt(0)
	s_barrier
	buffer_gl0_inv
	s_and_saveexec_b32 s18, vcc_lo
	s_cbranch_execz .LBB1155_790
; %bb.775:                              ;   in Loop: Header=BB1155_695 Depth=2
	v_add_nc_u32_e32 v2, v104, v76
	ds_load_b64 v[36:37], v2 offset:1024
	s_waitcnt lgkmcnt(0)
	v_cmp_ne_u64_e64 s17, s[34:35], v[36:37]
	s_delay_alu instid0(VALU_DEP_1) | instskip(SKIP_2) | instid1(VALU_DEP_2)
	v_cndmask_b32_e64 v41, 0x7fffffff, v37, s17
	v_cndmask_b32_e64 v40, -1, v36, s17
	v_cmp_gt_i64_e64 s17, 0, v[36:37]
	v_lshrrev_b64 v[40:41], s40, v[40:41]
	s_delay_alu instid0(VALU_DEP_2) | instskip(NEXT) | instid1(VALU_DEP_2)
	v_cndmask_b32_e64 v42, 0x7fffffff, 0, s17
	v_and_b32_e32 v2, s42, v40
	v_ashrrev_i32_e32 v40, 31, v37
	s_delay_alu instid0(VALU_DEP_3) | instskip(NEXT) | instid1(VALU_DEP_3)
	v_xor_b32_e32 v37, v42, v37
	v_lshlrev_b32_e32 v2, 2, v2
	s_delay_alu instid0(VALU_DEP_3) | instskip(SKIP_4) | instid1(VALU_DEP_1)
	v_not_b32_e32 v43, v40
	ds_load_b32 v2, v2
	v_xor_b32_e32 v36, v43, v36
	s_waitcnt lgkmcnt(0)
	v_add_nc_u32_e32 v2, v2, v1
	v_lshlrev_b64 v[40:41], 3, v[2:3]
	s_delay_alu instid0(VALU_DEP_1) | instskip(NEXT) | instid1(VALU_DEP_1)
	v_add_co_u32 v40, s17, s46, v40
	v_add_co_ci_u32_e64 v41, s17, s47, v41, s17
	global_store_b64 v[40:41], v[36:37], off
	s_or_b32 exec_lo, exec_lo, s18
	v_cmp_lt_u32_e64 s17, v77, v177
	s_delay_alu instid0(VALU_DEP_1)
	s_and_saveexec_b32 s19, s17
	s_cbranch_execnz .LBB1155_791
.LBB1155_776:                           ;   in Loop: Header=BB1155_695 Depth=2
	s_or_b32 exec_lo, exec_lo, s19
	v_cmp_lt_u32_e64 s18, v78, v177
	s_delay_alu instid0(VALU_DEP_1)
	s_and_saveexec_b32 s20, s18
	s_cbranch_execz .LBB1155_792
.LBB1155_777:                           ;   in Loop: Header=BB1155_695 Depth=2
	ds_load_b64 v[36:37], v110 offset:4096
	s_waitcnt lgkmcnt(0)
	v_cmp_ne_u64_e64 s19, s[34:35], v[36:37]
	s_delay_alu instid0(VALU_DEP_1) | instskip(SKIP_2) | instid1(VALU_DEP_2)
	v_cndmask_b32_e64 v41, 0x7fffffff, v37, s19
	v_cndmask_b32_e64 v40, -1, v36, s19
	v_cmp_gt_i64_e64 s19, 0, v[36:37]
	v_lshrrev_b64 v[40:41], s40, v[40:41]
	s_delay_alu instid0(VALU_DEP_2) | instskip(NEXT) | instid1(VALU_DEP_2)
	v_cndmask_b32_e64 v42, 0x7fffffff, 0, s19
	v_and_b32_e32 v2, s42, v40
	v_ashrrev_i32_e32 v40, 31, v37
	s_delay_alu instid0(VALU_DEP_3) | instskip(NEXT) | instid1(VALU_DEP_3)
	v_xor_b32_e32 v37, v42, v37
	v_lshlrev_b32_e32 v2, 2, v2
	s_delay_alu instid0(VALU_DEP_3) | instskip(SKIP_4) | instid1(VALU_DEP_1)
	v_not_b32_e32 v43, v40
	ds_load_b32 v2, v2
	v_xor_b32_e32 v36, v43, v36
	s_waitcnt lgkmcnt(0)
	v_add_nc_u32_e32 v2, v2, v78
	v_lshlrev_b64 v[40:41], 3, v[2:3]
	s_delay_alu instid0(VALU_DEP_1) | instskip(NEXT) | instid1(VALU_DEP_1)
	v_add_co_u32 v40, s19, s46, v40
	v_add_co_ci_u32_e64 v41, s19, s47, v41, s19
	global_store_b64 v[40:41], v[36:37], off
	s_or_b32 exec_lo, exec_lo, s20
	v_cmp_lt_u32_e64 s19, v79, v177
	s_delay_alu instid0(VALU_DEP_1)
	s_and_saveexec_b32 s21, s19
	s_cbranch_execnz .LBB1155_793
.LBB1155_778:                           ;   in Loop: Header=BB1155_695 Depth=2
	s_or_b32 exec_lo, exec_lo, s21
	v_cmp_lt_u32_e64 s20, v83, v177
	s_delay_alu instid0(VALU_DEP_1)
	s_and_saveexec_b32 s22, s20
	s_cbranch_execz .LBB1155_794
.LBB1155_779:                           ;   in Loop: Header=BB1155_695 Depth=2
	ds_load_b64 v[36:37], v110 offset:8192
	s_waitcnt lgkmcnt(0)
	v_cmp_ne_u64_e64 s21, s[34:35], v[36:37]
	s_delay_alu instid0(VALU_DEP_1) | instskip(SKIP_2) | instid1(VALU_DEP_2)
	v_cndmask_b32_e64 v41, 0x7fffffff, v37, s21
	v_cndmask_b32_e64 v40, -1, v36, s21
	v_cmp_gt_i64_e64 s21, 0, v[36:37]
	v_lshrrev_b64 v[40:41], s40, v[40:41]
	s_delay_alu instid0(VALU_DEP_2) | instskip(NEXT) | instid1(VALU_DEP_2)
	v_cndmask_b32_e64 v42, 0x7fffffff, 0, s21
	v_and_b32_e32 v2, s42, v40
	v_ashrrev_i32_e32 v40, 31, v37
	s_delay_alu instid0(VALU_DEP_3) | instskip(NEXT) | instid1(VALU_DEP_3)
	v_xor_b32_e32 v37, v42, v37
	v_lshlrev_b32_e32 v2, 2, v2
	s_delay_alu instid0(VALU_DEP_3) | instskip(SKIP_4) | instid1(VALU_DEP_1)
	v_not_b32_e32 v43, v40
	ds_load_b32 v2, v2
	v_xor_b32_e32 v36, v43, v36
	s_waitcnt lgkmcnt(0)
	v_add_nc_u32_e32 v2, v2, v83
	v_lshlrev_b64 v[40:41], 3, v[2:3]
	s_delay_alu instid0(VALU_DEP_1) | instskip(NEXT) | instid1(VALU_DEP_1)
	v_add_co_u32 v40, s21, s46, v40
	v_add_co_ci_u32_e64 v41, s21, s47, v41, s21
	global_store_b64 v[40:41], v[36:37], off
	s_or_b32 exec_lo, exec_lo, s22
	v_cmp_lt_u32_e64 s21, v84, v177
	s_delay_alu instid0(VALU_DEP_1)
	s_and_saveexec_b32 s23, s21
	s_cbranch_execnz .LBB1155_795
.LBB1155_780:                           ;   in Loop: Header=BB1155_695 Depth=2
	s_or_b32 exec_lo, exec_lo, s23
	v_cmp_lt_u32_e64 s22, v85, v177
	s_delay_alu instid0(VALU_DEP_1)
	s_and_saveexec_b32 s24, s22
	s_cbranch_execz .LBB1155_796
.LBB1155_781:                           ;   in Loop: Header=BB1155_695 Depth=2
	ds_load_b64 v[36:37], v110 offset:12288
	s_waitcnt lgkmcnt(0)
	v_cmp_ne_u64_e64 s23, s[34:35], v[36:37]
	s_delay_alu instid0(VALU_DEP_1) | instskip(SKIP_2) | instid1(VALU_DEP_2)
	v_cndmask_b32_e64 v41, 0x7fffffff, v37, s23
	v_cndmask_b32_e64 v40, -1, v36, s23
	v_cmp_gt_i64_e64 s23, 0, v[36:37]
	v_lshrrev_b64 v[40:41], s40, v[40:41]
	s_delay_alu instid0(VALU_DEP_2) | instskip(NEXT) | instid1(VALU_DEP_2)
	v_cndmask_b32_e64 v42, 0x7fffffff, 0, s23
	v_and_b32_e32 v2, s42, v40
	v_ashrrev_i32_e32 v40, 31, v37
	s_delay_alu instid0(VALU_DEP_3) | instskip(NEXT) | instid1(VALU_DEP_3)
	v_xor_b32_e32 v37, v42, v37
	v_lshlrev_b32_e32 v2, 2, v2
	s_delay_alu instid0(VALU_DEP_3) | instskip(SKIP_4) | instid1(VALU_DEP_1)
	v_not_b32_e32 v43, v40
	ds_load_b32 v2, v2
	v_xor_b32_e32 v36, v43, v36
	s_waitcnt lgkmcnt(0)
	v_add_nc_u32_e32 v2, v2, v85
	v_lshlrev_b64 v[40:41], 3, v[2:3]
	s_delay_alu instid0(VALU_DEP_1) | instskip(NEXT) | instid1(VALU_DEP_1)
	v_add_co_u32 v40, s23, s46, v40
	v_add_co_ci_u32_e64 v41, s23, s47, v41, s23
	global_store_b64 v[40:41], v[36:37], off
	s_or_b32 exec_lo, exec_lo, s24
	v_cmp_lt_u32_e64 s23, v86, v177
	s_delay_alu instid0(VALU_DEP_1)
	s_and_saveexec_b32 s25, s23
	s_cbranch_execnz .LBB1155_797
.LBB1155_782:                           ;   in Loop: Header=BB1155_695 Depth=2
	s_or_b32 exec_lo, exec_lo, s25
	v_cmp_lt_u32_e64 s24, v87, v177
	s_delay_alu instid0(VALU_DEP_1)
	s_and_saveexec_b32 s26, s24
	s_cbranch_execz .LBB1155_798
.LBB1155_783:                           ;   in Loop: Header=BB1155_695 Depth=2
	ds_load_b64 v[36:37], v110 offset:16384
	s_waitcnt lgkmcnt(0)
	v_cmp_ne_u64_e64 s25, s[34:35], v[36:37]
	s_delay_alu instid0(VALU_DEP_1) | instskip(SKIP_2) | instid1(VALU_DEP_2)
	v_cndmask_b32_e64 v41, 0x7fffffff, v37, s25
	v_cndmask_b32_e64 v40, -1, v36, s25
	v_cmp_gt_i64_e64 s25, 0, v[36:37]
	v_lshrrev_b64 v[40:41], s40, v[40:41]
	s_delay_alu instid0(VALU_DEP_2) | instskip(NEXT) | instid1(VALU_DEP_2)
	v_cndmask_b32_e64 v42, 0x7fffffff, 0, s25
	v_and_b32_e32 v2, s42, v40
	v_ashrrev_i32_e32 v40, 31, v37
	s_delay_alu instid0(VALU_DEP_3) | instskip(NEXT) | instid1(VALU_DEP_3)
	v_xor_b32_e32 v37, v42, v37
	v_lshlrev_b32_e32 v2, 2, v2
	s_delay_alu instid0(VALU_DEP_3) | instskip(SKIP_4) | instid1(VALU_DEP_1)
	v_not_b32_e32 v43, v40
	ds_load_b32 v2, v2
	v_xor_b32_e32 v36, v43, v36
	s_waitcnt lgkmcnt(0)
	v_add_nc_u32_e32 v2, v2, v87
	v_lshlrev_b64 v[40:41], 3, v[2:3]
	s_delay_alu instid0(VALU_DEP_1) | instskip(NEXT) | instid1(VALU_DEP_1)
	v_add_co_u32 v40, s25, s46, v40
	v_add_co_ci_u32_e64 v41, s25, s47, v41, s25
	global_store_b64 v[40:41], v[36:37], off
	s_or_b32 exec_lo, exec_lo, s26
	v_cmp_lt_u32_e64 s25, v88, v177
	s_delay_alu instid0(VALU_DEP_1)
	s_and_saveexec_b32 s27, s25
	s_cbranch_execnz .LBB1155_799
.LBB1155_784:                           ;   in Loop: Header=BB1155_695 Depth=2
	s_or_b32 exec_lo, exec_lo, s27
	v_cmp_lt_u32_e64 s26, v89, v177
	s_delay_alu instid0(VALU_DEP_1)
	s_and_saveexec_b32 s28, s26
	s_cbranch_execz .LBB1155_800
.LBB1155_785:                           ;   in Loop: Header=BB1155_695 Depth=2
	ds_load_b64 v[36:37], v110 offset:20480
	s_waitcnt lgkmcnt(0)
	v_cmp_ne_u64_e64 s27, s[34:35], v[36:37]
	s_delay_alu instid0(VALU_DEP_1) | instskip(SKIP_2) | instid1(VALU_DEP_2)
	v_cndmask_b32_e64 v41, 0x7fffffff, v37, s27
	v_cndmask_b32_e64 v40, -1, v36, s27
	v_cmp_gt_i64_e64 s27, 0, v[36:37]
	v_lshrrev_b64 v[40:41], s40, v[40:41]
	s_delay_alu instid0(VALU_DEP_2) | instskip(NEXT) | instid1(VALU_DEP_2)
	v_cndmask_b32_e64 v42, 0x7fffffff, 0, s27
	v_and_b32_e32 v2, s42, v40
	v_ashrrev_i32_e32 v40, 31, v37
	s_delay_alu instid0(VALU_DEP_3) | instskip(NEXT) | instid1(VALU_DEP_3)
	v_xor_b32_e32 v37, v42, v37
	v_lshlrev_b32_e32 v2, 2, v2
	s_delay_alu instid0(VALU_DEP_3) | instskip(SKIP_4) | instid1(VALU_DEP_1)
	v_not_b32_e32 v43, v40
	ds_load_b32 v2, v2
	v_xor_b32_e32 v36, v43, v36
	s_waitcnt lgkmcnt(0)
	v_add_nc_u32_e32 v2, v2, v89
	v_lshlrev_b64 v[40:41], 3, v[2:3]
	s_delay_alu instid0(VALU_DEP_1) | instskip(NEXT) | instid1(VALU_DEP_1)
	v_add_co_u32 v40, s27, s46, v40
	v_add_co_ci_u32_e64 v41, s27, s47, v41, s27
	global_store_b64 v[40:41], v[36:37], off
	s_or_b32 exec_lo, exec_lo, s28
	v_cmp_lt_u32_e64 s27, v90, v177
	s_delay_alu instid0(VALU_DEP_1)
	s_and_saveexec_b32 s29, s27
	s_cbranch_execnz .LBB1155_801
.LBB1155_786:                           ;   in Loop: Header=BB1155_695 Depth=2
	s_or_b32 exec_lo, exec_lo, s29
	v_cmp_lt_u32_e64 s28, v91, v177
	s_delay_alu instid0(VALU_DEP_1)
	s_and_saveexec_b32 s30, s28
	s_cbranch_execz .LBB1155_802
.LBB1155_787:                           ;   in Loop: Header=BB1155_695 Depth=2
	ds_load_b64 v[36:37], v110 offset:24576
	s_waitcnt lgkmcnt(0)
	v_cmp_ne_u64_e64 s29, s[34:35], v[36:37]
	s_delay_alu instid0(VALU_DEP_1) | instskip(SKIP_2) | instid1(VALU_DEP_2)
	v_cndmask_b32_e64 v41, 0x7fffffff, v37, s29
	v_cndmask_b32_e64 v40, -1, v36, s29
	v_cmp_gt_i64_e64 s29, 0, v[36:37]
	v_lshrrev_b64 v[40:41], s40, v[40:41]
	s_delay_alu instid0(VALU_DEP_2) | instskip(NEXT) | instid1(VALU_DEP_2)
	v_cndmask_b32_e64 v42, 0x7fffffff, 0, s29
	v_and_b32_e32 v2, s42, v40
	v_ashrrev_i32_e32 v40, 31, v37
	s_delay_alu instid0(VALU_DEP_3) | instskip(NEXT) | instid1(VALU_DEP_3)
	v_xor_b32_e32 v37, v42, v37
	v_lshlrev_b32_e32 v2, 2, v2
	s_delay_alu instid0(VALU_DEP_3) | instskip(SKIP_4) | instid1(VALU_DEP_1)
	v_not_b32_e32 v43, v40
	ds_load_b32 v2, v2
	v_xor_b32_e32 v36, v43, v36
	s_waitcnt lgkmcnt(0)
	v_add_nc_u32_e32 v2, v2, v91
	v_lshlrev_b64 v[40:41], 3, v[2:3]
	s_delay_alu instid0(VALU_DEP_1) | instskip(NEXT) | instid1(VALU_DEP_1)
	v_add_co_u32 v40, s29, s46, v40
	v_add_co_ci_u32_e64 v41, s29, s47, v41, s29
	global_store_b64 v[40:41], v[36:37], off
	s_or_b32 exec_lo, exec_lo, s30
	v_cmp_lt_u32_e64 s29, v92, v177
	s_delay_alu instid0(VALU_DEP_1)
	s_and_saveexec_b32 s31, s29
	s_cbranch_execnz .LBB1155_803
.LBB1155_788:                           ;   in Loop: Header=BB1155_695 Depth=2
	s_or_b32 exec_lo, exec_lo, s31
	v_cmp_lt_u32_e64 s30, v93, v177
	s_delay_alu instid0(VALU_DEP_1)
	s_and_saveexec_b32 s33, s30
	s_cbranch_execz .LBB1155_804
.LBB1155_789:                           ;   in Loop: Header=BB1155_695 Depth=2
	ds_load_b64 v[36:37], v110 offset:28672
	s_waitcnt lgkmcnt(0)
	v_cmp_ne_u64_e64 s31, s[34:35], v[36:37]
	s_delay_alu instid0(VALU_DEP_1) | instskip(SKIP_2) | instid1(VALU_DEP_2)
	v_cndmask_b32_e64 v41, 0x7fffffff, v37, s31
	v_cndmask_b32_e64 v40, -1, v36, s31
	v_cmp_gt_i64_e64 s31, 0, v[36:37]
	v_lshrrev_b64 v[40:41], s40, v[40:41]
	s_delay_alu instid0(VALU_DEP_2) | instskip(NEXT) | instid1(VALU_DEP_2)
	v_cndmask_b32_e64 v42, 0x7fffffff, 0, s31
	v_and_b32_e32 v2, s42, v40
	v_ashrrev_i32_e32 v40, 31, v37
	s_delay_alu instid0(VALU_DEP_3) | instskip(NEXT) | instid1(VALU_DEP_3)
	v_xor_b32_e32 v37, v42, v37
	v_lshlrev_b32_e32 v2, 2, v2
	s_delay_alu instid0(VALU_DEP_3) | instskip(SKIP_4) | instid1(VALU_DEP_1)
	v_not_b32_e32 v43, v40
	ds_load_b32 v2, v2
	v_xor_b32_e32 v36, v43, v36
	s_waitcnt lgkmcnt(0)
	v_add_nc_u32_e32 v2, v2, v93
	v_lshlrev_b64 v[40:41], 3, v[2:3]
	s_delay_alu instid0(VALU_DEP_1) | instskip(NEXT) | instid1(VALU_DEP_1)
	v_add_co_u32 v40, s31, s46, v40
	v_add_co_ci_u32_e64 v41, s31, s47, v41, s31
	global_store_b64 v[40:41], v[36:37], off
	s_or_b32 exec_lo, exec_lo, s33
	v_cmp_lt_u32_e64 s31, v95, v177
	s_delay_alu instid0(VALU_DEP_1)
	s_and_saveexec_b32 s39, s31
	s_cbranch_execnz .LBB1155_805
	s_branch .LBB1155_806
.LBB1155_790:                           ;   in Loop: Header=BB1155_695 Depth=2
	s_or_b32 exec_lo, exec_lo, s18
	v_cmp_lt_u32_e64 s17, v77, v177
	s_delay_alu instid0(VALU_DEP_1)
	s_and_saveexec_b32 s19, s17
	s_cbranch_execz .LBB1155_776
.LBB1155_791:                           ;   in Loop: Header=BB1155_695 Depth=2
	ds_load_b64 v[36:37], v110 offset:2048
	s_waitcnt lgkmcnt(0)
	v_cmp_ne_u64_e64 s18, s[34:35], v[36:37]
	s_delay_alu instid0(VALU_DEP_1) | instskip(SKIP_2) | instid1(VALU_DEP_2)
	v_cndmask_b32_e64 v41, 0x7fffffff, v37, s18
	v_cndmask_b32_e64 v40, -1, v36, s18
	v_cmp_gt_i64_e64 s18, 0, v[36:37]
	v_lshrrev_b64 v[40:41], s40, v[40:41]
	s_delay_alu instid0(VALU_DEP_2) | instskip(NEXT) | instid1(VALU_DEP_2)
	v_cndmask_b32_e64 v42, 0x7fffffff, 0, s18
	v_and_b32_e32 v2, s42, v40
	v_ashrrev_i32_e32 v40, 31, v37
	s_delay_alu instid0(VALU_DEP_3) | instskip(NEXT) | instid1(VALU_DEP_3)
	v_xor_b32_e32 v37, v42, v37
	v_lshlrev_b32_e32 v2, 2, v2
	s_delay_alu instid0(VALU_DEP_3) | instskip(SKIP_4) | instid1(VALU_DEP_1)
	v_not_b32_e32 v43, v40
	ds_load_b32 v2, v2
	v_xor_b32_e32 v36, v43, v36
	s_waitcnt lgkmcnt(0)
	v_add_nc_u32_e32 v2, v2, v77
	v_lshlrev_b64 v[40:41], 3, v[2:3]
	s_delay_alu instid0(VALU_DEP_1) | instskip(NEXT) | instid1(VALU_DEP_1)
	v_add_co_u32 v40, s18, s46, v40
	v_add_co_ci_u32_e64 v41, s18, s47, v41, s18
	global_store_b64 v[40:41], v[36:37], off
	s_or_b32 exec_lo, exec_lo, s19
	v_cmp_lt_u32_e64 s18, v78, v177
	s_delay_alu instid0(VALU_DEP_1)
	s_and_saveexec_b32 s20, s18
	s_cbranch_execnz .LBB1155_777
.LBB1155_792:                           ;   in Loop: Header=BB1155_695 Depth=2
	s_or_b32 exec_lo, exec_lo, s20
	v_cmp_lt_u32_e64 s19, v79, v177
	s_delay_alu instid0(VALU_DEP_1)
	s_and_saveexec_b32 s21, s19
	s_cbranch_execz .LBB1155_778
.LBB1155_793:                           ;   in Loop: Header=BB1155_695 Depth=2
	ds_load_b64 v[36:37], v110 offset:6144
	s_waitcnt lgkmcnt(0)
	v_cmp_ne_u64_e64 s20, s[34:35], v[36:37]
	s_delay_alu instid0(VALU_DEP_1) | instskip(SKIP_2) | instid1(VALU_DEP_2)
	v_cndmask_b32_e64 v41, 0x7fffffff, v37, s20
	v_cndmask_b32_e64 v40, -1, v36, s20
	v_cmp_gt_i64_e64 s20, 0, v[36:37]
	v_lshrrev_b64 v[40:41], s40, v[40:41]
	s_delay_alu instid0(VALU_DEP_2) | instskip(NEXT) | instid1(VALU_DEP_2)
	v_cndmask_b32_e64 v42, 0x7fffffff, 0, s20
	v_and_b32_e32 v2, s42, v40
	v_ashrrev_i32_e32 v40, 31, v37
	s_delay_alu instid0(VALU_DEP_3) | instskip(NEXT) | instid1(VALU_DEP_3)
	v_xor_b32_e32 v37, v42, v37
	v_lshlrev_b32_e32 v2, 2, v2
	s_delay_alu instid0(VALU_DEP_3) | instskip(SKIP_4) | instid1(VALU_DEP_1)
	v_not_b32_e32 v43, v40
	ds_load_b32 v2, v2
	v_xor_b32_e32 v36, v43, v36
	s_waitcnt lgkmcnt(0)
	v_add_nc_u32_e32 v2, v2, v79
	v_lshlrev_b64 v[40:41], 3, v[2:3]
	s_delay_alu instid0(VALU_DEP_1) | instskip(NEXT) | instid1(VALU_DEP_1)
	v_add_co_u32 v40, s20, s46, v40
	v_add_co_ci_u32_e64 v41, s20, s47, v41, s20
	global_store_b64 v[40:41], v[36:37], off
	s_or_b32 exec_lo, exec_lo, s21
	v_cmp_lt_u32_e64 s20, v83, v177
	s_delay_alu instid0(VALU_DEP_1)
	s_and_saveexec_b32 s22, s20
	s_cbranch_execnz .LBB1155_779
.LBB1155_794:                           ;   in Loop: Header=BB1155_695 Depth=2
	s_or_b32 exec_lo, exec_lo, s22
	v_cmp_lt_u32_e64 s21, v84, v177
	s_delay_alu instid0(VALU_DEP_1)
	s_and_saveexec_b32 s23, s21
	s_cbranch_execz .LBB1155_780
.LBB1155_795:                           ;   in Loop: Header=BB1155_695 Depth=2
	ds_load_b64 v[36:37], v110 offset:10240
	s_waitcnt lgkmcnt(0)
	v_cmp_ne_u64_e64 s22, s[34:35], v[36:37]
	s_delay_alu instid0(VALU_DEP_1) | instskip(SKIP_2) | instid1(VALU_DEP_2)
	v_cndmask_b32_e64 v41, 0x7fffffff, v37, s22
	v_cndmask_b32_e64 v40, -1, v36, s22
	v_cmp_gt_i64_e64 s22, 0, v[36:37]
	v_lshrrev_b64 v[40:41], s40, v[40:41]
	s_delay_alu instid0(VALU_DEP_2) | instskip(NEXT) | instid1(VALU_DEP_2)
	v_cndmask_b32_e64 v42, 0x7fffffff, 0, s22
	v_and_b32_e32 v2, s42, v40
	v_ashrrev_i32_e32 v40, 31, v37
	s_delay_alu instid0(VALU_DEP_3) | instskip(NEXT) | instid1(VALU_DEP_3)
	v_xor_b32_e32 v37, v42, v37
	v_lshlrev_b32_e32 v2, 2, v2
	s_delay_alu instid0(VALU_DEP_3) | instskip(SKIP_4) | instid1(VALU_DEP_1)
	v_not_b32_e32 v43, v40
	ds_load_b32 v2, v2
	v_xor_b32_e32 v36, v43, v36
	s_waitcnt lgkmcnt(0)
	v_add_nc_u32_e32 v2, v2, v84
	v_lshlrev_b64 v[40:41], 3, v[2:3]
	s_delay_alu instid0(VALU_DEP_1) | instskip(NEXT) | instid1(VALU_DEP_1)
	v_add_co_u32 v40, s22, s46, v40
	v_add_co_ci_u32_e64 v41, s22, s47, v41, s22
	global_store_b64 v[40:41], v[36:37], off
	s_or_b32 exec_lo, exec_lo, s23
	v_cmp_lt_u32_e64 s22, v85, v177
	s_delay_alu instid0(VALU_DEP_1)
	s_and_saveexec_b32 s24, s22
	s_cbranch_execnz .LBB1155_781
.LBB1155_796:                           ;   in Loop: Header=BB1155_695 Depth=2
	s_or_b32 exec_lo, exec_lo, s24
	v_cmp_lt_u32_e64 s23, v86, v177
	s_delay_alu instid0(VALU_DEP_1)
	s_and_saveexec_b32 s25, s23
	s_cbranch_execz .LBB1155_782
.LBB1155_797:                           ;   in Loop: Header=BB1155_695 Depth=2
	ds_load_b64 v[36:37], v110 offset:14336
	s_waitcnt lgkmcnt(0)
	v_cmp_ne_u64_e64 s24, s[34:35], v[36:37]
	s_delay_alu instid0(VALU_DEP_1) | instskip(SKIP_2) | instid1(VALU_DEP_2)
	v_cndmask_b32_e64 v41, 0x7fffffff, v37, s24
	v_cndmask_b32_e64 v40, -1, v36, s24
	v_cmp_gt_i64_e64 s24, 0, v[36:37]
	v_lshrrev_b64 v[40:41], s40, v[40:41]
	s_delay_alu instid0(VALU_DEP_2) | instskip(NEXT) | instid1(VALU_DEP_2)
	v_cndmask_b32_e64 v42, 0x7fffffff, 0, s24
	v_and_b32_e32 v2, s42, v40
	v_ashrrev_i32_e32 v40, 31, v37
	s_delay_alu instid0(VALU_DEP_3) | instskip(NEXT) | instid1(VALU_DEP_3)
	v_xor_b32_e32 v37, v42, v37
	v_lshlrev_b32_e32 v2, 2, v2
	s_delay_alu instid0(VALU_DEP_3) | instskip(SKIP_4) | instid1(VALU_DEP_1)
	v_not_b32_e32 v43, v40
	ds_load_b32 v2, v2
	v_xor_b32_e32 v36, v43, v36
	s_waitcnt lgkmcnt(0)
	v_add_nc_u32_e32 v2, v2, v86
	v_lshlrev_b64 v[40:41], 3, v[2:3]
	s_delay_alu instid0(VALU_DEP_1) | instskip(NEXT) | instid1(VALU_DEP_1)
	v_add_co_u32 v40, s24, s46, v40
	v_add_co_ci_u32_e64 v41, s24, s47, v41, s24
	global_store_b64 v[40:41], v[36:37], off
	s_or_b32 exec_lo, exec_lo, s25
	v_cmp_lt_u32_e64 s24, v87, v177
	s_delay_alu instid0(VALU_DEP_1)
	s_and_saveexec_b32 s26, s24
	s_cbranch_execnz .LBB1155_783
.LBB1155_798:                           ;   in Loop: Header=BB1155_695 Depth=2
	s_or_b32 exec_lo, exec_lo, s26
	v_cmp_lt_u32_e64 s25, v88, v177
	s_delay_alu instid0(VALU_DEP_1)
	s_and_saveexec_b32 s27, s25
	s_cbranch_execz .LBB1155_784
.LBB1155_799:                           ;   in Loop: Header=BB1155_695 Depth=2
	ds_load_b64 v[36:37], v110 offset:18432
	s_waitcnt lgkmcnt(0)
	v_cmp_ne_u64_e64 s26, s[34:35], v[36:37]
	s_delay_alu instid0(VALU_DEP_1) | instskip(SKIP_2) | instid1(VALU_DEP_2)
	v_cndmask_b32_e64 v41, 0x7fffffff, v37, s26
	v_cndmask_b32_e64 v40, -1, v36, s26
	v_cmp_gt_i64_e64 s26, 0, v[36:37]
	v_lshrrev_b64 v[40:41], s40, v[40:41]
	s_delay_alu instid0(VALU_DEP_2) | instskip(NEXT) | instid1(VALU_DEP_2)
	v_cndmask_b32_e64 v42, 0x7fffffff, 0, s26
	v_and_b32_e32 v2, s42, v40
	v_ashrrev_i32_e32 v40, 31, v37
	s_delay_alu instid0(VALU_DEP_3) | instskip(NEXT) | instid1(VALU_DEP_3)
	v_xor_b32_e32 v37, v42, v37
	v_lshlrev_b32_e32 v2, 2, v2
	s_delay_alu instid0(VALU_DEP_3) | instskip(SKIP_4) | instid1(VALU_DEP_1)
	v_not_b32_e32 v43, v40
	ds_load_b32 v2, v2
	v_xor_b32_e32 v36, v43, v36
	s_waitcnt lgkmcnt(0)
	v_add_nc_u32_e32 v2, v2, v88
	v_lshlrev_b64 v[40:41], 3, v[2:3]
	s_delay_alu instid0(VALU_DEP_1) | instskip(NEXT) | instid1(VALU_DEP_1)
	v_add_co_u32 v40, s26, s46, v40
	v_add_co_ci_u32_e64 v41, s26, s47, v41, s26
	global_store_b64 v[40:41], v[36:37], off
	s_or_b32 exec_lo, exec_lo, s27
	v_cmp_lt_u32_e64 s26, v89, v177
	s_delay_alu instid0(VALU_DEP_1)
	s_and_saveexec_b32 s28, s26
	s_cbranch_execnz .LBB1155_785
.LBB1155_800:                           ;   in Loop: Header=BB1155_695 Depth=2
	s_or_b32 exec_lo, exec_lo, s28
	v_cmp_lt_u32_e64 s27, v90, v177
	s_delay_alu instid0(VALU_DEP_1)
	s_and_saveexec_b32 s29, s27
	s_cbranch_execz .LBB1155_786
.LBB1155_801:                           ;   in Loop: Header=BB1155_695 Depth=2
	ds_load_b64 v[36:37], v110 offset:22528
	s_waitcnt lgkmcnt(0)
	v_cmp_ne_u64_e64 s28, s[34:35], v[36:37]
	s_delay_alu instid0(VALU_DEP_1) | instskip(SKIP_2) | instid1(VALU_DEP_2)
	v_cndmask_b32_e64 v41, 0x7fffffff, v37, s28
	v_cndmask_b32_e64 v40, -1, v36, s28
	v_cmp_gt_i64_e64 s28, 0, v[36:37]
	v_lshrrev_b64 v[40:41], s40, v[40:41]
	s_delay_alu instid0(VALU_DEP_2) | instskip(NEXT) | instid1(VALU_DEP_2)
	v_cndmask_b32_e64 v42, 0x7fffffff, 0, s28
	v_and_b32_e32 v2, s42, v40
	v_ashrrev_i32_e32 v40, 31, v37
	s_delay_alu instid0(VALU_DEP_3) | instskip(NEXT) | instid1(VALU_DEP_3)
	v_xor_b32_e32 v37, v42, v37
	v_lshlrev_b32_e32 v2, 2, v2
	s_delay_alu instid0(VALU_DEP_3) | instskip(SKIP_4) | instid1(VALU_DEP_1)
	v_not_b32_e32 v43, v40
	ds_load_b32 v2, v2
	v_xor_b32_e32 v36, v43, v36
	s_waitcnt lgkmcnt(0)
	v_add_nc_u32_e32 v2, v2, v90
	v_lshlrev_b64 v[40:41], 3, v[2:3]
	s_delay_alu instid0(VALU_DEP_1) | instskip(NEXT) | instid1(VALU_DEP_1)
	v_add_co_u32 v40, s28, s46, v40
	v_add_co_ci_u32_e64 v41, s28, s47, v41, s28
	global_store_b64 v[40:41], v[36:37], off
	s_or_b32 exec_lo, exec_lo, s29
	v_cmp_lt_u32_e64 s28, v91, v177
	s_delay_alu instid0(VALU_DEP_1)
	s_and_saveexec_b32 s30, s28
	s_cbranch_execnz .LBB1155_787
.LBB1155_802:                           ;   in Loop: Header=BB1155_695 Depth=2
	s_or_b32 exec_lo, exec_lo, s30
	v_cmp_lt_u32_e64 s29, v92, v177
	s_delay_alu instid0(VALU_DEP_1)
	s_and_saveexec_b32 s31, s29
	s_cbranch_execz .LBB1155_788
.LBB1155_803:                           ;   in Loop: Header=BB1155_695 Depth=2
	ds_load_b64 v[36:37], v110 offset:26624
	s_waitcnt lgkmcnt(0)
	v_cmp_ne_u64_e64 s30, s[34:35], v[36:37]
	s_delay_alu instid0(VALU_DEP_1) | instskip(SKIP_2) | instid1(VALU_DEP_2)
	v_cndmask_b32_e64 v41, 0x7fffffff, v37, s30
	v_cndmask_b32_e64 v40, -1, v36, s30
	v_cmp_gt_i64_e64 s30, 0, v[36:37]
	v_lshrrev_b64 v[40:41], s40, v[40:41]
	s_delay_alu instid0(VALU_DEP_2) | instskip(NEXT) | instid1(VALU_DEP_2)
	v_cndmask_b32_e64 v42, 0x7fffffff, 0, s30
	v_and_b32_e32 v2, s42, v40
	v_ashrrev_i32_e32 v40, 31, v37
	s_delay_alu instid0(VALU_DEP_3) | instskip(NEXT) | instid1(VALU_DEP_3)
	v_xor_b32_e32 v37, v42, v37
	v_lshlrev_b32_e32 v2, 2, v2
	s_delay_alu instid0(VALU_DEP_3) | instskip(SKIP_4) | instid1(VALU_DEP_1)
	v_not_b32_e32 v43, v40
	ds_load_b32 v2, v2
	v_xor_b32_e32 v36, v43, v36
	s_waitcnt lgkmcnt(0)
	v_add_nc_u32_e32 v2, v2, v92
	v_lshlrev_b64 v[40:41], 3, v[2:3]
	s_delay_alu instid0(VALU_DEP_1) | instskip(NEXT) | instid1(VALU_DEP_1)
	v_add_co_u32 v40, s30, s46, v40
	v_add_co_ci_u32_e64 v41, s30, s47, v41, s30
	global_store_b64 v[40:41], v[36:37], off
	s_or_b32 exec_lo, exec_lo, s31
	v_cmp_lt_u32_e64 s30, v93, v177
	s_delay_alu instid0(VALU_DEP_1)
	s_and_saveexec_b32 s33, s30
	s_cbranch_execnz .LBB1155_789
.LBB1155_804:                           ;   in Loop: Header=BB1155_695 Depth=2
	s_or_b32 exec_lo, exec_lo, s33
	v_cmp_lt_u32_e64 s31, v95, v177
	s_delay_alu instid0(VALU_DEP_1)
	s_and_saveexec_b32 s39, s31
	s_cbranch_execz .LBB1155_806
.LBB1155_805:                           ;   in Loop: Header=BB1155_695 Depth=2
	ds_load_b64 v[36:37], v110 offset:30720
	s_waitcnt lgkmcnt(0)
	v_cmp_ne_u64_e64 s33, s[34:35], v[36:37]
	s_delay_alu instid0(VALU_DEP_1) | instskip(SKIP_2) | instid1(VALU_DEP_2)
	v_cndmask_b32_e64 v41, 0x7fffffff, v37, s33
	v_cndmask_b32_e64 v40, -1, v36, s33
	v_cmp_gt_i64_e64 s33, 0, v[36:37]
	v_lshrrev_b64 v[40:41], s40, v[40:41]
	s_delay_alu instid0(VALU_DEP_2) | instskip(NEXT) | instid1(VALU_DEP_2)
	v_cndmask_b32_e64 v42, 0x7fffffff, 0, s33
	v_and_b32_e32 v2, s42, v40
	v_ashrrev_i32_e32 v40, 31, v37
	s_delay_alu instid0(VALU_DEP_3) | instskip(NEXT) | instid1(VALU_DEP_3)
	v_xor_b32_e32 v37, v42, v37
	v_lshlrev_b32_e32 v2, 2, v2
	s_delay_alu instid0(VALU_DEP_3) | instskip(SKIP_4) | instid1(VALU_DEP_1)
	v_not_b32_e32 v43, v40
	ds_load_b32 v2, v2
	v_xor_b32_e32 v36, v43, v36
	s_waitcnt lgkmcnt(0)
	v_add_nc_u32_e32 v2, v2, v95
	v_lshlrev_b64 v[40:41], 3, v[2:3]
	s_delay_alu instid0(VALU_DEP_1) | instskip(NEXT) | instid1(VALU_DEP_1)
	v_add_co_u32 v40, s33, s46, v40
	v_add_co_ci_u32_e64 v41, s33, s47, v41, s33
	global_store_b64 v[40:41], v[36:37], off
.LBB1155_806:                           ;   in Loop: Header=BB1155_695 Depth=2
	s_or_b32 exec_lo, exec_lo, s39
	s_mov_b32 s39, s34
	s_delay_alu instid0(SALU_CYCLE_1) | instskip(NEXT) | instid1(SALU_CYCLE_1)
	s_lshl_b64 s[38:39], s[38:39], 3
	v_add_co_u32 v36, s33, v139, s38
	s_delay_alu instid0(VALU_DEP_1) | instskip(SKIP_1) | instid1(VALU_DEP_1)
	v_add_co_ci_u32_e64 v37, s33, s39, v140, s33
	v_cmp_lt_u32_e64 s33, v138, v177
	s_and_saveexec_b32 s38, s33
	s_delay_alu instid0(SALU_CYCLE_1)
	s_xor_b32 s33, exec_lo, s38
	s_cbranch_execz .LBB1155_838
; %bb.807:                              ;   in Loop: Header=BB1155_695 Depth=2
	global_load_b64 v[34:35], v[36:37], off
	s_or_b32 exec_lo, exec_lo, s33
	s_delay_alu instid0(SALU_CYCLE_1)
	s_mov_b32 s38, exec_lo
	v_cmpx_lt_u32_e64 v141, v177
	s_cbranch_execnz .LBB1155_839
.LBB1155_808:                           ;   in Loop: Header=BB1155_695 Depth=2
	s_or_b32 exec_lo, exec_lo, s38
	s_delay_alu instid0(SALU_CYCLE_1)
	s_mov_b32 s38, exec_lo
	v_cmpx_lt_u32_e64 v142, v177
	s_cbranch_execz .LBB1155_840
.LBB1155_809:                           ;   in Loop: Header=BB1155_695 Depth=2
	global_load_b64 v[30:31], v[36:37], off offset:512
	s_or_b32 exec_lo, exec_lo, s38
	s_delay_alu instid0(SALU_CYCLE_1)
	s_mov_b32 s38, exec_lo
	v_cmpx_lt_u32_e64 v143, v177
	s_cbranch_execnz .LBB1155_841
.LBB1155_810:                           ;   in Loop: Header=BB1155_695 Depth=2
	s_or_b32 exec_lo, exec_lo, s38
	s_delay_alu instid0(SALU_CYCLE_1)
	s_mov_b32 s38, exec_lo
	v_cmpx_lt_u32_e64 v144, v177
	s_cbranch_execz .LBB1155_842
.LBB1155_811:                           ;   in Loop: Header=BB1155_695 Depth=2
	global_load_b64 v[26:27], v[36:37], off offset:1024
	s_or_b32 exec_lo, exec_lo, s38
	s_delay_alu instid0(SALU_CYCLE_1)
	s_mov_b32 s38, exec_lo
	v_cmpx_lt_u32_e64 v145, v177
	s_cbranch_execnz .LBB1155_843
.LBB1155_812:                           ;   in Loop: Header=BB1155_695 Depth=2
	s_or_b32 exec_lo, exec_lo, s38
	s_delay_alu instid0(SALU_CYCLE_1)
	s_mov_b32 s38, exec_lo
	v_cmpx_lt_u32_e64 v146, v177
	s_cbranch_execz .LBB1155_844
.LBB1155_813:                           ;   in Loop: Header=BB1155_695 Depth=2
	global_load_b64 v[22:23], v[36:37], off offset:1536
	s_or_b32 exec_lo, exec_lo, s38
	s_delay_alu instid0(SALU_CYCLE_1)
	s_mov_b32 s38, exec_lo
	v_cmpx_lt_u32_e64 v147, v177
	s_cbranch_execnz .LBB1155_845
.LBB1155_814:                           ;   in Loop: Header=BB1155_695 Depth=2
	s_or_b32 exec_lo, exec_lo, s38
	s_delay_alu instid0(SALU_CYCLE_1)
	s_mov_b32 s38, exec_lo
	v_cmpx_lt_u32_e64 v148, v177
	s_cbranch_execz .LBB1155_846
.LBB1155_815:                           ;   in Loop: Header=BB1155_695 Depth=2
	global_load_b64 v[18:19], v[36:37], off offset:2048
	s_or_b32 exec_lo, exec_lo, s38
	s_delay_alu instid0(SALU_CYCLE_1)
	s_mov_b32 s38, exec_lo
	v_cmpx_lt_u32_e64 v149, v177
	s_cbranch_execnz .LBB1155_847
.LBB1155_816:                           ;   in Loop: Header=BB1155_695 Depth=2
	s_or_b32 exec_lo, exec_lo, s38
	s_delay_alu instid0(SALU_CYCLE_1)
	s_mov_b32 s38, exec_lo
	v_cmpx_lt_u32_e64 v150, v177
	s_cbranch_execz .LBB1155_848
.LBB1155_817:                           ;   in Loop: Header=BB1155_695 Depth=2
	global_load_b64 v[14:15], v[36:37], off offset:2560
	s_or_b32 exec_lo, exec_lo, s38
	s_delay_alu instid0(SALU_CYCLE_1)
	s_mov_b32 s38, exec_lo
	v_cmpx_lt_u32_e64 v151, v177
	s_cbranch_execnz .LBB1155_849
.LBB1155_818:                           ;   in Loop: Header=BB1155_695 Depth=2
	s_or_b32 exec_lo, exec_lo, s38
	s_delay_alu instid0(SALU_CYCLE_1)
	s_mov_b32 s38, exec_lo
	v_cmpx_lt_u32_e64 v152, v177
	s_cbranch_execz .LBB1155_850
.LBB1155_819:                           ;   in Loop: Header=BB1155_695 Depth=2
	global_load_b64 v[10:11], v[36:37], off offset:3072
	s_or_b32 exec_lo, exec_lo, s38
	s_delay_alu instid0(SALU_CYCLE_1)
	s_mov_b32 s38, exec_lo
	v_cmpx_lt_u32_e64 v153, v177
	s_cbranch_execnz .LBB1155_851
.LBB1155_820:                           ;   in Loop: Header=BB1155_695 Depth=2
	s_or_b32 exec_lo, exec_lo, s38
	s_delay_alu instid0(SALU_CYCLE_1)
	s_mov_b32 s38, exec_lo
	v_cmpx_lt_u32_e64 v154, v177
	s_cbranch_execz .LBB1155_852
.LBB1155_821:                           ;   in Loop: Header=BB1155_695 Depth=2
	global_load_b64 v[6:7], v[36:37], off offset:3584
	s_or_b32 exec_lo, exec_lo, s38
	s_delay_alu instid0(SALU_CYCLE_1)
	s_mov_b32 s38, exec_lo
	v_cmpx_lt_u32_e64 v155, v177
	s_cbranch_execnz .LBB1155_853
.LBB1155_822:                           ;   in Loop: Header=BB1155_695 Depth=2
	s_or_b32 exec_lo, exec_lo, s38
	s_and_saveexec_b32 s38, vcc_lo
	s_cbranch_execz .LBB1155_854
.LBB1155_823:                           ;   in Loop: Header=BB1155_695 Depth=2
	v_add_nc_u32_e32 v2, v104, v76
	ds_load_b64 v[36:37], v2 offset:1024
	s_waitcnt lgkmcnt(0)
	v_cmp_ne_u64_e64 s33, s[34:35], v[36:37]
	s_delay_alu instid0(VALU_DEP_1) | instskip(SKIP_1) | instid1(VALU_DEP_1)
	v_cndmask_b32_e64 v37, 0x7fffffff, v37, s33
	v_cndmask_b32_e64 v36, -1, v36, s33
	v_lshrrev_b64 v[36:37], s40, v[36:37]
	s_delay_alu instid0(VALU_DEP_1)
	v_and_b32_e32 v176, s42, v36
	s_or_b32 exec_lo, exec_lo, s38
	s_and_saveexec_b32 s38, s17
	s_cbranch_execnz .LBB1155_855
.LBB1155_824:                           ;   in Loop: Header=BB1155_695 Depth=2
	s_or_b32 exec_lo, exec_lo, s38
	s_and_saveexec_b32 s38, s18
	s_cbranch_execz .LBB1155_856
.LBB1155_825:                           ;   in Loop: Header=BB1155_695 Depth=2
	ds_load_b64 v[36:37], v110 offset:4096
	s_waitcnt lgkmcnt(0)
	v_cmp_ne_u64_e64 s33, s[34:35], v[36:37]
	s_delay_alu instid0(VALU_DEP_1) | instskip(SKIP_1) | instid1(VALU_DEP_1)
	v_cndmask_b32_e64 v37, 0x7fffffff, v37, s33
	v_cndmask_b32_e64 v36, -1, v36, s33
	v_lshrrev_b64 v[36:37], s40, v[36:37]
	s_delay_alu instid0(VALU_DEP_1)
	v_and_b32_e32 v174, s42, v36
	s_or_b32 exec_lo, exec_lo, s38
	s_and_saveexec_b32 s38, s19
	s_cbranch_execnz .LBB1155_857
.LBB1155_826:                           ;   in Loop: Header=BB1155_695 Depth=2
	s_or_b32 exec_lo, exec_lo, s38
	s_and_saveexec_b32 s38, s20
	s_cbranch_execz .LBB1155_858
.LBB1155_827:                           ;   in Loop: Header=BB1155_695 Depth=2
	ds_load_b64 v[36:37], v110 offset:8192
	s_waitcnt lgkmcnt(0)
	v_cmp_ne_u64_e64 s33, s[34:35], v[36:37]
	s_delay_alu instid0(VALU_DEP_1) | instskip(SKIP_1) | instid1(VALU_DEP_1)
	v_cndmask_b32_e64 v37, 0x7fffffff, v37, s33
	v_cndmask_b32_e64 v36, -1, v36, s33
	v_lshrrev_b64 v[36:37], s40, v[36:37]
	s_delay_alu instid0(VALU_DEP_1)
	v_and_b32_e32 v172, s42, v36
	s_or_b32 exec_lo, exec_lo, s38
	s_and_saveexec_b32 s38, s21
	s_cbranch_execnz .LBB1155_859
.LBB1155_828:                           ;   in Loop: Header=BB1155_695 Depth=2
	s_or_b32 exec_lo, exec_lo, s38
	s_and_saveexec_b32 s38, s22
	s_cbranch_execz .LBB1155_860
.LBB1155_829:                           ;   in Loop: Header=BB1155_695 Depth=2
	ds_load_b64 v[36:37], v110 offset:12288
	s_waitcnt lgkmcnt(0)
	v_cmp_ne_u64_e64 s33, s[34:35], v[36:37]
	s_delay_alu instid0(VALU_DEP_1) | instskip(SKIP_1) | instid1(VALU_DEP_1)
	v_cndmask_b32_e64 v37, 0x7fffffff, v37, s33
	v_cndmask_b32_e64 v36, -1, v36, s33
	v_lshrrev_b64 v[36:37], s40, v[36:37]
	s_delay_alu instid0(VALU_DEP_1)
	v_and_b32_e32 v170, s42, v36
	s_or_b32 exec_lo, exec_lo, s38
	s_and_saveexec_b32 s38, s23
	s_cbranch_execnz .LBB1155_861
.LBB1155_830:                           ;   in Loop: Header=BB1155_695 Depth=2
	s_or_b32 exec_lo, exec_lo, s38
	s_and_saveexec_b32 s38, s24
	s_cbranch_execz .LBB1155_862
.LBB1155_831:                           ;   in Loop: Header=BB1155_695 Depth=2
	ds_load_b64 v[36:37], v110 offset:16384
	s_waitcnt lgkmcnt(0)
	v_cmp_ne_u64_e64 s33, s[34:35], v[36:37]
	s_delay_alu instid0(VALU_DEP_1) | instskip(SKIP_1) | instid1(VALU_DEP_1)
	v_cndmask_b32_e64 v37, 0x7fffffff, v37, s33
	v_cndmask_b32_e64 v36, -1, v36, s33
	v_lshrrev_b64 v[36:37], s40, v[36:37]
	s_delay_alu instid0(VALU_DEP_1)
	v_and_b32_e32 v168, s42, v36
	s_or_b32 exec_lo, exec_lo, s38
	s_and_saveexec_b32 s38, s25
	s_cbranch_execnz .LBB1155_863
.LBB1155_832:                           ;   in Loop: Header=BB1155_695 Depth=2
	s_or_b32 exec_lo, exec_lo, s38
	s_and_saveexec_b32 s38, s26
	s_cbranch_execz .LBB1155_864
.LBB1155_833:                           ;   in Loop: Header=BB1155_695 Depth=2
	ds_load_b64 v[36:37], v110 offset:20480
	s_waitcnt lgkmcnt(0)
	v_cmp_ne_u64_e64 s33, s[34:35], v[36:37]
	s_delay_alu instid0(VALU_DEP_1) | instskip(SKIP_1) | instid1(VALU_DEP_1)
	v_cndmask_b32_e64 v37, 0x7fffffff, v37, s33
	v_cndmask_b32_e64 v36, -1, v36, s33
	v_lshrrev_b64 v[36:37], s40, v[36:37]
	s_delay_alu instid0(VALU_DEP_1)
	v_and_b32_e32 v166, s42, v36
	s_or_b32 exec_lo, exec_lo, s38
	s_and_saveexec_b32 s38, s27
	s_cbranch_execnz .LBB1155_865
.LBB1155_834:                           ;   in Loop: Header=BB1155_695 Depth=2
	s_or_b32 exec_lo, exec_lo, s38
	s_and_saveexec_b32 s38, s28
	s_cbranch_execz .LBB1155_866
.LBB1155_835:                           ;   in Loop: Header=BB1155_695 Depth=2
	ds_load_b64 v[36:37], v110 offset:24576
	s_waitcnt lgkmcnt(0)
	v_cmp_ne_u64_e64 s33, s[34:35], v[36:37]
	s_delay_alu instid0(VALU_DEP_1) | instskip(SKIP_1) | instid1(VALU_DEP_1)
	v_cndmask_b32_e64 v37, 0x7fffffff, v37, s33
	v_cndmask_b32_e64 v36, -1, v36, s33
	v_lshrrev_b64 v[36:37], s40, v[36:37]
	s_delay_alu instid0(VALU_DEP_1)
	v_and_b32_e32 v164, s42, v36
	s_or_b32 exec_lo, exec_lo, s38
	s_and_saveexec_b32 s38, s29
	s_cbranch_execnz .LBB1155_867
.LBB1155_836:                           ;   in Loop: Header=BB1155_695 Depth=2
	s_or_b32 exec_lo, exec_lo, s38
	s_and_saveexec_b32 s38, s30
	s_cbranch_execz .LBB1155_868
.LBB1155_837:                           ;   in Loop: Header=BB1155_695 Depth=2
	ds_load_b64 v[36:37], v110 offset:28672
	s_waitcnt lgkmcnt(0)
	v_cmp_ne_u64_e64 s33, s[34:35], v[36:37]
	s_delay_alu instid0(VALU_DEP_1) | instskip(SKIP_1) | instid1(VALU_DEP_1)
	v_cndmask_b32_e64 v37, 0x7fffffff, v37, s33
	v_cndmask_b32_e64 v36, -1, v36, s33
	v_lshrrev_b64 v[36:37], s40, v[36:37]
	s_delay_alu instid0(VALU_DEP_1)
	v_and_b32_e32 v162, s42, v36
	s_or_b32 exec_lo, exec_lo, s38
	s_and_saveexec_b32 s38, s31
	s_cbranch_execnz .LBB1155_869
	s_branch .LBB1155_870
.LBB1155_838:                           ;   in Loop: Header=BB1155_695 Depth=2
	s_or_b32 exec_lo, exec_lo, s33
	s_delay_alu instid0(SALU_CYCLE_1)
	s_mov_b32 s38, exec_lo
	v_cmpx_lt_u32_e64 v141, v177
	s_cbranch_execz .LBB1155_808
.LBB1155_839:                           ;   in Loop: Header=BB1155_695 Depth=2
	global_load_b64 v[32:33], v[36:37], off offset:256
	s_or_b32 exec_lo, exec_lo, s38
	s_delay_alu instid0(SALU_CYCLE_1)
	s_mov_b32 s38, exec_lo
	v_cmpx_lt_u32_e64 v142, v177
	s_cbranch_execnz .LBB1155_809
.LBB1155_840:                           ;   in Loop: Header=BB1155_695 Depth=2
	s_or_b32 exec_lo, exec_lo, s38
	s_delay_alu instid0(SALU_CYCLE_1)
	s_mov_b32 s38, exec_lo
	v_cmpx_lt_u32_e64 v143, v177
	s_cbranch_execz .LBB1155_810
.LBB1155_841:                           ;   in Loop: Header=BB1155_695 Depth=2
	global_load_b64 v[28:29], v[36:37], off offset:768
	s_or_b32 exec_lo, exec_lo, s38
	s_delay_alu instid0(SALU_CYCLE_1)
	s_mov_b32 s38, exec_lo
	v_cmpx_lt_u32_e64 v144, v177
	s_cbranch_execnz .LBB1155_811
.LBB1155_842:                           ;   in Loop: Header=BB1155_695 Depth=2
	s_or_b32 exec_lo, exec_lo, s38
	s_delay_alu instid0(SALU_CYCLE_1)
	s_mov_b32 s38, exec_lo
	v_cmpx_lt_u32_e64 v145, v177
	s_cbranch_execz .LBB1155_812
.LBB1155_843:                           ;   in Loop: Header=BB1155_695 Depth=2
	global_load_b64 v[24:25], v[36:37], off offset:1280
	s_or_b32 exec_lo, exec_lo, s38
	s_delay_alu instid0(SALU_CYCLE_1)
	s_mov_b32 s38, exec_lo
	v_cmpx_lt_u32_e64 v146, v177
	s_cbranch_execnz .LBB1155_813
.LBB1155_844:                           ;   in Loop: Header=BB1155_695 Depth=2
	s_or_b32 exec_lo, exec_lo, s38
	s_delay_alu instid0(SALU_CYCLE_1)
	s_mov_b32 s38, exec_lo
	v_cmpx_lt_u32_e64 v147, v177
	s_cbranch_execz .LBB1155_814
.LBB1155_845:                           ;   in Loop: Header=BB1155_695 Depth=2
	global_load_b64 v[20:21], v[36:37], off offset:1792
	s_or_b32 exec_lo, exec_lo, s38
	s_delay_alu instid0(SALU_CYCLE_1)
	s_mov_b32 s38, exec_lo
	v_cmpx_lt_u32_e64 v148, v177
	s_cbranch_execnz .LBB1155_815
.LBB1155_846:                           ;   in Loop: Header=BB1155_695 Depth=2
	s_or_b32 exec_lo, exec_lo, s38
	s_delay_alu instid0(SALU_CYCLE_1)
	s_mov_b32 s38, exec_lo
	v_cmpx_lt_u32_e64 v149, v177
	s_cbranch_execz .LBB1155_816
.LBB1155_847:                           ;   in Loop: Header=BB1155_695 Depth=2
	global_load_b64 v[16:17], v[36:37], off offset:2304
	s_or_b32 exec_lo, exec_lo, s38
	s_delay_alu instid0(SALU_CYCLE_1)
	s_mov_b32 s38, exec_lo
	v_cmpx_lt_u32_e64 v150, v177
	s_cbranch_execnz .LBB1155_817
.LBB1155_848:                           ;   in Loop: Header=BB1155_695 Depth=2
	s_or_b32 exec_lo, exec_lo, s38
	s_delay_alu instid0(SALU_CYCLE_1)
	s_mov_b32 s38, exec_lo
	v_cmpx_lt_u32_e64 v151, v177
	s_cbranch_execz .LBB1155_818
.LBB1155_849:                           ;   in Loop: Header=BB1155_695 Depth=2
	global_load_b64 v[12:13], v[36:37], off offset:2816
	s_or_b32 exec_lo, exec_lo, s38
	s_delay_alu instid0(SALU_CYCLE_1)
	s_mov_b32 s38, exec_lo
	v_cmpx_lt_u32_e64 v152, v177
	s_cbranch_execnz .LBB1155_819
.LBB1155_850:                           ;   in Loop: Header=BB1155_695 Depth=2
	s_or_b32 exec_lo, exec_lo, s38
	s_delay_alu instid0(SALU_CYCLE_1)
	s_mov_b32 s38, exec_lo
	v_cmpx_lt_u32_e64 v153, v177
	s_cbranch_execz .LBB1155_820
.LBB1155_851:                           ;   in Loop: Header=BB1155_695 Depth=2
	global_load_b64 v[8:9], v[36:37], off offset:3328
	s_or_b32 exec_lo, exec_lo, s38
	s_delay_alu instid0(SALU_CYCLE_1)
	s_mov_b32 s38, exec_lo
	v_cmpx_lt_u32_e64 v154, v177
	s_cbranch_execnz .LBB1155_821
.LBB1155_852:                           ;   in Loop: Header=BB1155_695 Depth=2
	s_or_b32 exec_lo, exec_lo, s38
	s_delay_alu instid0(SALU_CYCLE_1)
	s_mov_b32 s38, exec_lo
	v_cmpx_lt_u32_e64 v155, v177
	s_cbranch_execz .LBB1155_822
.LBB1155_853:                           ;   in Loop: Header=BB1155_695 Depth=2
	global_load_b64 v[4:5], v[36:37], off offset:3840
	s_or_b32 exec_lo, exec_lo, s38
	s_and_saveexec_b32 s38, vcc_lo
	s_cbranch_execnz .LBB1155_823
.LBB1155_854:                           ;   in Loop: Header=BB1155_695 Depth=2
	s_or_b32 exec_lo, exec_lo, s38
	s_and_saveexec_b32 s38, s17
	s_cbranch_execz .LBB1155_824
.LBB1155_855:                           ;   in Loop: Header=BB1155_695 Depth=2
	ds_load_b64 v[36:37], v110 offset:2048
	s_waitcnt lgkmcnt(0)
	v_cmp_ne_u64_e64 s33, s[34:35], v[36:37]
	s_delay_alu instid0(VALU_DEP_1) | instskip(SKIP_1) | instid1(VALU_DEP_1)
	v_cndmask_b32_e64 v37, 0x7fffffff, v37, s33
	v_cndmask_b32_e64 v36, -1, v36, s33
	v_lshrrev_b64 v[36:37], s40, v[36:37]
	s_delay_alu instid0(VALU_DEP_1)
	v_and_b32_e32 v175, s42, v36
	s_or_b32 exec_lo, exec_lo, s38
	s_and_saveexec_b32 s38, s18
	s_cbranch_execnz .LBB1155_825
.LBB1155_856:                           ;   in Loop: Header=BB1155_695 Depth=2
	s_or_b32 exec_lo, exec_lo, s38
	s_and_saveexec_b32 s38, s19
	s_cbranch_execz .LBB1155_826
.LBB1155_857:                           ;   in Loop: Header=BB1155_695 Depth=2
	ds_load_b64 v[36:37], v110 offset:6144
	s_waitcnt lgkmcnt(0)
	v_cmp_ne_u64_e64 s33, s[34:35], v[36:37]
	s_delay_alu instid0(VALU_DEP_1) | instskip(SKIP_1) | instid1(VALU_DEP_1)
	v_cndmask_b32_e64 v37, 0x7fffffff, v37, s33
	v_cndmask_b32_e64 v36, -1, v36, s33
	v_lshrrev_b64 v[36:37], s40, v[36:37]
	s_delay_alu instid0(VALU_DEP_1)
	v_and_b32_e32 v173, s42, v36
	s_or_b32 exec_lo, exec_lo, s38
	s_and_saveexec_b32 s38, s20
	s_cbranch_execnz .LBB1155_827
.LBB1155_858:                           ;   in Loop: Header=BB1155_695 Depth=2
	s_or_b32 exec_lo, exec_lo, s38
	s_and_saveexec_b32 s38, s21
	s_cbranch_execz .LBB1155_828
.LBB1155_859:                           ;   in Loop: Header=BB1155_695 Depth=2
	ds_load_b64 v[36:37], v110 offset:10240
	s_waitcnt lgkmcnt(0)
	v_cmp_ne_u64_e64 s33, s[34:35], v[36:37]
	s_delay_alu instid0(VALU_DEP_1) | instskip(SKIP_1) | instid1(VALU_DEP_1)
	v_cndmask_b32_e64 v37, 0x7fffffff, v37, s33
	v_cndmask_b32_e64 v36, -1, v36, s33
	v_lshrrev_b64 v[36:37], s40, v[36:37]
	s_delay_alu instid0(VALU_DEP_1)
	v_and_b32_e32 v171, s42, v36
	s_or_b32 exec_lo, exec_lo, s38
	s_and_saveexec_b32 s38, s22
	s_cbranch_execnz .LBB1155_829
.LBB1155_860:                           ;   in Loop: Header=BB1155_695 Depth=2
	s_or_b32 exec_lo, exec_lo, s38
	s_and_saveexec_b32 s38, s23
	s_cbranch_execz .LBB1155_830
.LBB1155_861:                           ;   in Loop: Header=BB1155_695 Depth=2
	ds_load_b64 v[36:37], v110 offset:14336
	s_waitcnt lgkmcnt(0)
	v_cmp_ne_u64_e64 s33, s[34:35], v[36:37]
	s_delay_alu instid0(VALU_DEP_1) | instskip(SKIP_1) | instid1(VALU_DEP_1)
	v_cndmask_b32_e64 v37, 0x7fffffff, v37, s33
	v_cndmask_b32_e64 v36, -1, v36, s33
	v_lshrrev_b64 v[36:37], s40, v[36:37]
	s_delay_alu instid0(VALU_DEP_1)
	v_and_b32_e32 v169, s42, v36
	s_or_b32 exec_lo, exec_lo, s38
	s_and_saveexec_b32 s38, s24
	s_cbranch_execnz .LBB1155_831
.LBB1155_862:                           ;   in Loop: Header=BB1155_695 Depth=2
	s_or_b32 exec_lo, exec_lo, s38
	s_and_saveexec_b32 s38, s25
	s_cbranch_execz .LBB1155_832
.LBB1155_863:                           ;   in Loop: Header=BB1155_695 Depth=2
	ds_load_b64 v[36:37], v110 offset:18432
	s_waitcnt lgkmcnt(0)
	v_cmp_ne_u64_e64 s33, s[34:35], v[36:37]
	s_delay_alu instid0(VALU_DEP_1) | instskip(SKIP_1) | instid1(VALU_DEP_1)
	v_cndmask_b32_e64 v37, 0x7fffffff, v37, s33
	v_cndmask_b32_e64 v36, -1, v36, s33
	v_lshrrev_b64 v[36:37], s40, v[36:37]
	s_delay_alu instid0(VALU_DEP_1)
	v_and_b32_e32 v167, s42, v36
	s_or_b32 exec_lo, exec_lo, s38
	s_and_saveexec_b32 s38, s26
	s_cbranch_execnz .LBB1155_833
.LBB1155_864:                           ;   in Loop: Header=BB1155_695 Depth=2
	s_or_b32 exec_lo, exec_lo, s38
	s_and_saveexec_b32 s38, s27
	s_cbranch_execz .LBB1155_834
.LBB1155_865:                           ;   in Loop: Header=BB1155_695 Depth=2
	ds_load_b64 v[36:37], v110 offset:22528
	s_waitcnt lgkmcnt(0)
	v_cmp_ne_u64_e64 s33, s[34:35], v[36:37]
	s_delay_alu instid0(VALU_DEP_1) | instskip(SKIP_1) | instid1(VALU_DEP_1)
	v_cndmask_b32_e64 v37, 0x7fffffff, v37, s33
	v_cndmask_b32_e64 v36, -1, v36, s33
	v_lshrrev_b64 v[36:37], s40, v[36:37]
	s_delay_alu instid0(VALU_DEP_1)
	v_and_b32_e32 v165, s42, v36
	s_or_b32 exec_lo, exec_lo, s38
	s_and_saveexec_b32 s38, s28
	s_cbranch_execnz .LBB1155_835
.LBB1155_866:                           ;   in Loop: Header=BB1155_695 Depth=2
	s_or_b32 exec_lo, exec_lo, s38
	s_and_saveexec_b32 s38, s29
	s_cbranch_execz .LBB1155_836
.LBB1155_867:                           ;   in Loop: Header=BB1155_695 Depth=2
	ds_load_b64 v[36:37], v110 offset:26624
	s_waitcnt lgkmcnt(0)
	v_cmp_ne_u64_e64 s33, s[34:35], v[36:37]
	s_delay_alu instid0(VALU_DEP_1) | instskip(SKIP_1) | instid1(VALU_DEP_1)
	v_cndmask_b32_e64 v37, 0x7fffffff, v37, s33
	v_cndmask_b32_e64 v36, -1, v36, s33
	v_lshrrev_b64 v[36:37], s40, v[36:37]
	s_delay_alu instid0(VALU_DEP_1)
	v_and_b32_e32 v163, s42, v36
	s_or_b32 exec_lo, exec_lo, s38
	s_and_saveexec_b32 s38, s30
	s_cbranch_execnz .LBB1155_837
.LBB1155_868:                           ;   in Loop: Header=BB1155_695 Depth=2
	s_or_b32 exec_lo, exec_lo, s38
	s_and_saveexec_b32 s38, s31
	s_cbranch_execz .LBB1155_870
.LBB1155_869:                           ;   in Loop: Header=BB1155_695 Depth=2
	ds_load_b64 v[36:37], v110 offset:30720
	s_waitcnt lgkmcnt(0)
	v_cmp_ne_u64_e64 s33, s[34:35], v[36:37]
	s_delay_alu instid0(VALU_DEP_1) | instskip(SKIP_1) | instid1(VALU_DEP_1)
	v_cndmask_b32_e64 v37, 0x7fffffff, v37, s33
	v_cndmask_b32_e64 v36, -1, v36, s33
	v_lshrrev_b64 v[36:37], s40, v[36:37]
	s_delay_alu instid0(VALU_DEP_1)
	v_and_b32_e32 v161, s42, v36
.LBB1155_870:                           ;   in Loop: Header=BB1155_695 Depth=2
	s_or_b32 exec_lo, exec_lo, s38
	v_add_nc_u32_e32 v2, 0x400, v69
	v_add_nc_u32_e32 v36, 0x400, v70
	;; [unrolled: 1-line block ×16, first 2 shown]
	s_waitcnt vmcnt(0)
	s_waitcnt_vscnt null, 0x0
	s_barrier
	buffer_gl0_inv
	ds_store_b64 v2, v[34:35]
	ds_store_b64 v36, v[32:33]
	;; [unrolled: 1-line block ×16, first 2 shown]
	s_waitcnt lgkmcnt(0)
	s_barrier
	buffer_gl0_inv
	s_and_saveexec_b32 s33, vcc_lo
	s_cbranch_execz .LBB1155_886
; %bb.871:                              ;   in Loop: Header=BB1155_695 Depth=2
	v_lshlrev_b32_e32 v2, 2, v176
	v_add_nc_u32_e32 v36, v104, v76
	ds_load_b32 v2, v2
	ds_load_b64 v[36:37], v36 offset:1024
	s_waitcnt lgkmcnt(1)
	v_add_nc_u32_e32 v2, v2, v1
	s_delay_alu instid0(VALU_DEP_1) | instskip(NEXT) | instid1(VALU_DEP_1)
	v_lshlrev_b64 v[38:39], 3, v[2:3]
	v_add_co_u32 v38, vcc_lo, s52, v38
	s_delay_alu instid0(VALU_DEP_2)
	v_add_co_ci_u32_e32 v39, vcc_lo, s53, v39, vcc_lo
	s_waitcnt lgkmcnt(0)
	global_store_b64 v[38:39], v[36:37], off
	s_or_b32 exec_lo, exec_lo, s33
	s_and_saveexec_b32 s33, s17
	s_cbranch_execnz .LBB1155_887
.LBB1155_872:                           ;   in Loop: Header=BB1155_695 Depth=2
	s_or_b32 exec_lo, exec_lo, s33
	s_and_saveexec_b32 s17, s18
	s_cbranch_execz .LBB1155_888
.LBB1155_873:                           ;   in Loop: Header=BB1155_695 Depth=2
	v_lshlrev_b32_e32 v2, 2, v174
	ds_load_b32 v2, v2
	ds_load_b64 v[36:37], v110 offset:4096
	s_waitcnt lgkmcnt(1)
	v_add_nc_u32_e32 v2, v2, v78
	s_delay_alu instid0(VALU_DEP_1) | instskip(NEXT) | instid1(VALU_DEP_1)
	v_lshlrev_b64 v[38:39], 3, v[2:3]
	v_add_co_u32 v38, vcc_lo, s52, v38
	s_delay_alu instid0(VALU_DEP_2)
	v_add_co_ci_u32_e32 v39, vcc_lo, s53, v39, vcc_lo
	s_waitcnt lgkmcnt(0)
	global_store_b64 v[38:39], v[36:37], off
	s_or_b32 exec_lo, exec_lo, s17
	s_and_saveexec_b32 s17, s19
	s_cbranch_execnz .LBB1155_889
.LBB1155_874:                           ;   in Loop: Header=BB1155_695 Depth=2
	s_or_b32 exec_lo, exec_lo, s17
	s_and_saveexec_b32 s17, s20
	s_cbranch_execz .LBB1155_890
.LBB1155_875:                           ;   in Loop: Header=BB1155_695 Depth=2
	v_lshlrev_b32_e32 v2, 2, v172
	ds_load_b32 v2, v2
	ds_load_b64 v[36:37], v110 offset:8192
	s_waitcnt lgkmcnt(1)
	v_add_nc_u32_e32 v2, v2, v83
	s_delay_alu instid0(VALU_DEP_1) | instskip(NEXT) | instid1(VALU_DEP_1)
	v_lshlrev_b64 v[38:39], 3, v[2:3]
	v_add_co_u32 v38, vcc_lo, s52, v38
	s_delay_alu instid0(VALU_DEP_2)
	v_add_co_ci_u32_e32 v39, vcc_lo, s53, v39, vcc_lo
	s_waitcnt lgkmcnt(0)
	global_store_b64 v[38:39], v[36:37], off
	s_or_b32 exec_lo, exec_lo, s17
	s_and_saveexec_b32 s17, s21
	s_cbranch_execnz .LBB1155_891
.LBB1155_876:                           ;   in Loop: Header=BB1155_695 Depth=2
	s_or_b32 exec_lo, exec_lo, s17
	s_and_saveexec_b32 s17, s22
	s_cbranch_execz .LBB1155_892
.LBB1155_877:                           ;   in Loop: Header=BB1155_695 Depth=2
	v_lshlrev_b32_e32 v2, 2, v170
	ds_load_b32 v2, v2
	ds_load_b64 v[36:37], v110 offset:12288
	s_waitcnt lgkmcnt(1)
	v_add_nc_u32_e32 v2, v2, v85
	s_delay_alu instid0(VALU_DEP_1) | instskip(NEXT) | instid1(VALU_DEP_1)
	v_lshlrev_b64 v[38:39], 3, v[2:3]
	v_add_co_u32 v38, vcc_lo, s52, v38
	s_delay_alu instid0(VALU_DEP_2)
	v_add_co_ci_u32_e32 v39, vcc_lo, s53, v39, vcc_lo
	s_waitcnt lgkmcnt(0)
	global_store_b64 v[38:39], v[36:37], off
	s_or_b32 exec_lo, exec_lo, s17
	s_and_saveexec_b32 s17, s23
	s_cbranch_execnz .LBB1155_893
.LBB1155_878:                           ;   in Loop: Header=BB1155_695 Depth=2
	s_or_b32 exec_lo, exec_lo, s17
	s_and_saveexec_b32 s17, s24
	s_cbranch_execz .LBB1155_894
.LBB1155_879:                           ;   in Loop: Header=BB1155_695 Depth=2
	v_lshlrev_b32_e32 v2, 2, v168
	ds_load_b32 v2, v2
	ds_load_b64 v[36:37], v110 offset:16384
	s_waitcnt lgkmcnt(1)
	v_add_nc_u32_e32 v2, v2, v87
	s_delay_alu instid0(VALU_DEP_1) | instskip(NEXT) | instid1(VALU_DEP_1)
	v_lshlrev_b64 v[38:39], 3, v[2:3]
	v_add_co_u32 v38, vcc_lo, s52, v38
	s_delay_alu instid0(VALU_DEP_2)
	v_add_co_ci_u32_e32 v39, vcc_lo, s53, v39, vcc_lo
	s_waitcnt lgkmcnt(0)
	global_store_b64 v[38:39], v[36:37], off
	s_or_b32 exec_lo, exec_lo, s17
	s_and_saveexec_b32 s17, s25
	s_cbranch_execnz .LBB1155_895
.LBB1155_880:                           ;   in Loop: Header=BB1155_695 Depth=2
	s_or_b32 exec_lo, exec_lo, s17
	s_and_saveexec_b32 s17, s26
	s_cbranch_execz .LBB1155_896
.LBB1155_881:                           ;   in Loop: Header=BB1155_695 Depth=2
	v_lshlrev_b32_e32 v2, 2, v166
	ds_load_b32 v2, v2
	ds_load_b64 v[36:37], v110 offset:20480
	s_waitcnt lgkmcnt(1)
	v_add_nc_u32_e32 v2, v2, v89
	s_delay_alu instid0(VALU_DEP_1) | instskip(NEXT) | instid1(VALU_DEP_1)
	v_lshlrev_b64 v[38:39], 3, v[2:3]
	v_add_co_u32 v38, vcc_lo, s52, v38
	s_delay_alu instid0(VALU_DEP_2)
	v_add_co_ci_u32_e32 v39, vcc_lo, s53, v39, vcc_lo
	s_waitcnt lgkmcnt(0)
	global_store_b64 v[38:39], v[36:37], off
	s_or_b32 exec_lo, exec_lo, s17
	s_and_saveexec_b32 s17, s27
	s_cbranch_execnz .LBB1155_897
.LBB1155_882:                           ;   in Loop: Header=BB1155_695 Depth=2
	s_or_b32 exec_lo, exec_lo, s17
	s_and_saveexec_b32 s17, s28
	s_cbranch_execz .LBB1155_898
.LBB1155_883:                           ;   in Loop: Header=BB1155_695 Depth=2
	v_lshlrev_b32_e32 v2, 2, v164
	ds_load_b32 v2, v2
	ds_load_b64 v[36:37], v110 offset:24576
	s_waitcnt lgkmcnt(1)
	v_add_nc_u32_e32 v2, v2, v91
	s_delay_alu instid0(VALU_DEP_1) | instskip(NEXT) | instid1(VALU_DEP_1)
	v_lshlrev_b64 v[38:39], 3, v[2:3]
	v_add_co_u32 v38, vcc_lo, s52, v38
	s_delay_alu instid0(VALU_DEP_2)
	v_add_co_ci_u32_e32 v39, vcc_lo, s53, v39, vcc_lo
	s_waitcnt lgkmcnt(0)
	global_store_b64 v[38:39], v[36:37], off
	s_or_b32 exec_lo, exec_lo, s17
	s_and_saveexec_b32 s17, s29
	s_cbranch_execnz .LBB1155_899
.LBB1155_884:                           ;   in Loop: Header=BB1155_695 Depth=2
	s_or_b32 exec_lo, exec_lo, s17
	s_and_saveexec_b32 s17, s30
	s_cbranch_execz .LBB1155_900
.LBB1155_885:                           ;   in Loop: Header=BB1155_695 Depth=2
	v_lshlrev_b32_e32 v2, 2, v162
	ds_load_b32 v2, v2
	ds_load_b64 v[36:37], v110 offset:28672
	s_waitcnt lgkmcnt(1)
	v_add_nc_u32_e32 v2, v2, v93
	s_delay_alu instid0(VALU_DEP_1) | instskip(NEXT) | instid1(VALU_DEP_1)
	v_lshlrev_b64 v[38:39], 3, v[2:3]
	v_add_co_u32 v38, vcc_lo, s52, v38
	s_delay_alu instid0(VALU_DEP_2)
	v_add_co_ci_u32_e32 v39, vcc_lo, s53, v39, vcc_lo
	s_waitcnt lgkmcnt(0)
	global_store_b64 v[38:39], v[36:37], off
	s_or_b32 exec_lo, exec_lo, s17
	s_and_saveexec_b32 s17, s31
	s_cbranch_execnz .LBB1155_901
	s_branch .LBB1155_902
.LBB1155_886:                           ;   in Loop: Header=BB1155_695 Depth=2
	s_or_b32 exec_lo, exec_lo, s33
	s_and_saveexec_b32 s33, s17
	s_cbranch_execz .LBB1155_872
.LBB1155_887:                           ;   in Loop: Header=BB1155_695 Depth=2
	v_lshlrev_b32_e32 v2, 2, v175
	ds_load_b32 v2, v2
	ds_load_b64 v[36:37], v110 offset:2048
	s_waitcnt lgkmcnt(1)
	v_add_nc_u32_e32 v2, v2, v77
	s_delay_alu instid0(VALU_DEP_1) | instskip(NEXT) | instid1(VALU_DEP_1)
	v_lshlrev_b64 v[38:39], 3, v[2:3]
	v_add_co_u32 v38, vcc_lo, s52, v38
	s_delay_alu instid0(VALU_DEP_2)
	v_add_co_ci_u32_e32 v39, vcc_lo, s53, v39, vcc_lo
	s_waitcnt lgkmcnt(0)
	global_store_b64 v[38:39], v[36:37], off
	s_or_b32 exec_lo, exec_lo, s33
	s_and_saveexec_b32 s17, s18
	s_cbranch_execnz .LBB1155_873
.LBB1155_888:                           ;   in Loop: Header=BB1155_695 Depth=2
	s_or_b32 exec_lo, exec_lo, s17
	s_and_saveexec_b32 s17, s19
	s_cbranch_execz .LBB1155_874
.LBB1155_889:                           ;   in Loop: Header=BB1155_695 Depth=2
	v_lshlrev_b32_e32 v2, 2, v173
	ds_load_b32 v2, v2
	ds_load_b64 v[36:37], v110 offset:6144
	s_waitcnt lgkmcnt(1)
	v_add_nc_u32_e32 v2, v2, v79
	s_delay_alu instid0(VALU_DEP_1) | instskip(NEXT) | instid1(VALU_DEP_1)
	v_lshlrev_b64 v[38:39], 3, v[2:3]
	v_add_co_u32 v38, vcc_lo, s52, v38
	s_delay_alu instid0(VALU_DEP_2)
	v_add_co_ci_u32_e32 v39, vcc_lo, s53, v39, vcc_lo
	s_waitcnt lgkmcnt(0)
	global_store_b64 v[38:39], v[36:37], off
	s_or_b32 exec_lo, exec_lo, s17
	s_and_saveexec_b32 s17, s20
	s_cbranch_execnz .LBB1155_875
.LBB1155_890:                           ;   in Loop: Header=BB1155_695 Depth=2
	s_or_b32 exec_lo, exec_lo, s17
	s_and_saveexec_b32 s17, s21
	s_cbranch_execz .LBB1155_876
.LBB1155_891:                           ;   in Loop: Header=BB1155_695 Depth=2
	v_lshlrev_b32_e32 v2, 2, v171
	ds_load_b32 v2, v2
	ds_load_b64 v[36:37], v110 offset:10240
	s_waitcnt lgkmcnt(1)
	v_add_nc_u32_e32 v2, v2, v84
	s_delay_alu instid0(VALU_DEP_1) | instskip(NEXT) | instid1(VALU_DEP_1)
	v_lshlrev_b64 v[38:39], 3, v[2:3]
	v_add_co_u32 v38, vcc_lo, s52, v38
	s_delay_alu instid0(VALU_DEP_2)
	v_add_co_ci_u32_e32 v39, vcc_lo, s53, v39, vcc_lo
	s_waitcnt lgkmcnt(0)
	global_store_b64 v[38:39], v[36:37], off
	s_or_b32 exec_lo, exec_lo, s17
	s_and_saveexec_b32 s17, s22
	s_cbranch_execnz .LBB1155_877
.LBB1155_892:                           ;   in Loop: Header=BB1155_695 Depth=2
	s_or_b32 exec_lo, exec_lo, s17
	s_and_saveexec_b32 s17, s23
	s_cbranch_execz .LBB1155_878
.LBB1155_893:                           ;   in Loop: Header=BB1155_695 Depth=2
	v_lshlrev_b32_e32 v2, 2, v169
	ds_load_b32 v2, v2
	ds_load_b64 v[36:37], v110 offset:14336
	s_waitcnt lgkmcnt(1)
	v_add_nc_u32_e32 v2, v2, v86
	s_delay_alu instid0(VALU_DEP_1) | instskip(NEXT) | instid1(VALU_DEP_1)
	v_lshlrev_b64 v[38:39], 3, v[2:3]
	v_add_co_u32 v38, vcc_lo, s52, v38
	s_delay_alu instid0(VALU_DEP_2)
	v_add_co_ci_u32_e32 v39, vcc_lo, s53, v39, vcc_lo
	s_waitcnt lgkmcnt(0)
	global_store_b64 v[38:39], v[36:37], off
	s_or_b32 exec_lo, exec_lo, s17
	s_and_saveexec_b32 s17, s24
	s_cbranch_execnz .LBB1155_879
.LBB1155_894:                           ;   in Loop: Header=BB1155_695 Depth=2
	s_or_b32 exec_lo, exec_lo, s17
	s_and_saveexec_b32 s17, s25
	s_cbranch_execz .LBB1155_880
.LBB1155_895:                           ;   in Loop: Header=BB1155_695 Depth=2
	v_lshlrev_b32_e32 v2, 2, v167
	ds_load_b32 v2, v2
	ds_load_b64 v[36:37], v110 offset:18432
	s_waitcnt lgkmcnt(1)
	v_add_nc_u32_e32 v2, v2, v88
	s_delay_alu instid0(VALU_DEP_1) | instskip(NEXT) | instid1(VALU_DEP_1)
	v_lshlrev_b64 v[38:39], 3, v[2:3]
	v_add_co_u32 v38, vcc_lo, s52, v38
	s_delay_alu instid0(VALU_DEP_2)
	v_add_co_ci_u32_e32 v39, vcc_lo, s53, v39, vcc_lo
	s_waitcnt lgkmcnt(0)
	global_store_b64 v[38:39], v[36:37], off
	s_or_b32 exec_lo, exec_lo, s17
	s_and_saveexec_b32 s17, s26
	s_cbranch_execnz .LBB1155_881
.LBB1155_896:                           ;   in Loop: Header=BB1155_695 Depth=2
	s_or_b32 exec_lo, exec_lo, s17
	s_and_saveexec_b32 s17, s27
	s_cbranch_execz .LBB1155_882
.LBB1155_897:                           ;   in Loop: Header=BB1155_695 Depth=2
	v_lshlrev_b32_e32 v2, 2, v165
	ds_load_b32 v2, v2
	ds_load_b64 v[36:37], v110 offset:22528
	s_waitcnt lgkmcnt(1)
	v_add_nc_u32_e32 v2, v2, v90
	s_delay_alu instid0(VALU_DEP_1) | instskip(NEXT) | instid1(VALU_DEP_1)
	v_lshlrev_b64 v[38:39], 3, v[2:3]
	v_add_co_u32 v38, vcc_lo, s52, v38
	s_delay_alu instid0(VALU_DEP_2)
	v_add_co_ci_u32_e32 v39, vcc_lo, s53, v39, vcc_lo
	s_waitcnt lgkmcnt(0)
	global_store_b64 v[38:39], v[36:37], off
	s_or_b32 exec_lo, exec_lo, s17
	s_and_saveexec_b32 s17, s28
	s_cbranch_execnz .LBB1155_883
.LBB1155_898:                           ;   in Loop: Header=BB1155_695 Depth=2
	s_or_b32 exec_lo, exec_lo, s17
	s_and_saveexec_b32 s17, s29
	s_cbranch_execz .LBB1155_884
.LBB1155_899:                           ;   in Loop: Header=BB1155_695 Depth=2
	v_lshlrev_b32_e32 v2, 2, v163
	ds_load_b32 v2, v2
	ds_load_b64 v[36:37], v110 offset:26624
	s_waitcnt lgkmcnt(1)
	v_add_nc_u32_e32 v2, v2, v92
	s_delay_alu instid0(VALU_DEP_1) | instskip(NEXT) | instid1(VALU_DEP_1)
	v_lshlrev_b64 v[38:39], 3, v[2:3]
	v_add_co_u32 v38, vcc_lo, s52, v38
	s_delay_alu instid0(VALU_DEP_2)
	v_add_co_ci_u32_e32 v39, vcc_lo, s53, v39, vcc_lo
	s_waitcnt lgkmcnt(0)
	global_store_b64 v[38:39], v[36:37], off
	s_or_b32 exec_lo, exec_lo, s17
	s_and_saveexec_b32 s17, s30
	s_cbranch_execnz .LBB1155_885
.LBB1155_900:                           ;   in Loop: Header=BB1155_695 Depth=2
	s_or_b32 exec_lo, exec_lo, s17
	s_and_saveexec_b32 s17, s31
	s_cbranch_execz .LBB1155_902
.LBB1155_901:                           ;   in Loop: Header=BB1155_695 Depth=2
	v_lshlrev_b32_e32 v2, 2, v161
	ds_load_b32 v2, v2
	ds_load_b64 v[36:37], v110 offset:30720
	s_waitcnt lgkmcnt(1)
	v_add_nc_u32_e32 v2, v2, v95
	s_delay_alu instid0(VALU_DEP_1) | instskip(NEXT) | instid1(VALU_DEP_1)
	v_lshlrev_b64 v[38:39], 3, v[2:3]
	v_add_co_u32 v38, vcc_lo, s52, v38
	s_delay_alu instid0(VALU_DEP_2)
	v_add_co_ci_u32_e32 v39, vcc_lo, s53, v39, vcc_lo
	s_waitcnt lgkmcnt(0)
	global_store_b64 v[38:39], v[36:37], off
.LBB1155_902:                           ;   in Loop: Header=BB1155_695 Depth=2
	s_or_b32 exec_lo, exec_lo, s17
	s_waitcnt_vscnt null, 0x0
	s_barrier
	buffer_gl0_inv
	s_and_saveexec_b32 s17, s2
	s_cbranch_execz .LBB1155_694
; %bb.903:                              ;   in Loop: Header=BB1155_695 Depth=2
	ds_load_b32 v2, v76
	s_waitcnt lgkmcnt(0)
	v_add_nc_u32_e32 v2, v2, v68
	ds_store_b32 v76, v2
	s_branch .LBB1155_694
.LBB1155_904:                           ;   in Loop: Header=BB1155_17 Depth=1
	s_waitcnt lgkmcnt(0)
	s_mov_b32 s1, 0
	s_barrier
.LBB1155_905:                           ;   in Loop: Header=BB1155_17 Depth=1
	s_and_b32 vcc_lo, exec_lo, s1
	s_cbranch_vccz .LBB1155_16
; %bb.906:                              ;   in Loop: Header=BB1155_17 Depth=1
	s_mov_b32 s1, s62
	s_mov_b32 s8, s60
	s_barrier
	buffer_gl0_inv
                                        ; implicit-def: $vgpr34_vgpr35
                                        ; implicit-def: $vgpr4_vgpr5
                                        ; implicit-def: $vgpr6_vgpr7
                                        ; implicit-def: $vgpr8_vgpr9
                                        ; implicit-def: $vgpr10_vgpr11
                                        ; implicit-def: $vgpr12_vgpr13
                                        ; implicit-def: $vgpr14_vgpr15
                                        ; implicit-def: $vgpr16_vgpr17
                                        ; implicit-def: $vgpr18_vgpr19
                                        ; implicit-def: $vgpr20_vgpr21
                                        ; implicit-def: $vgpr22_vgpr23
                                        ; implicit-def: $vgpr24_vgpr25
                                        ; implicit-def: $vgpr26_vgpr27
                                        ; implicit-def: $vgpr28_vgpr29
                                        ; implicit-def: $vgpr30_vgpr31
                                        ; implicit-def: $vgpr32_vgpr33
	s_branch .LBB1155_908
.LBB1155_907:                           ;   in Loop: Header=BB1155_908 Depth=2
	s_or_b32 exec_lo, exec_lo, s8
	s_addk_i32 s1, 0xf000
	s_cmp_ge_u32 s7, s61
	s_mov_b32 s8, s7
	s_cbranch_scc1 .LBB1155_978
.LBB1155_908:                           ;   Parent Loop BB1155_17 Depth=1
                                        ; =>  This Inner Loop Header: Depth=2
	s_add_i32 s7, s8, 0x1000
	s_delay_alu instid0(SALU_CYCLE_1)
	s_cmp_gt_u32 s7, s61
	s_cbranch_scc1 .LBB1155_911
; %bb.909:                              ;   in Loop: Header=BB1155_908 Depth=2
	s_mov_b32 s9, 0
	s_movk_i32 s13, 0x1000
	s_lshl_b64 s[10:11], s[8:9], 3
	s_mov_b32 s12, -1
	v_add_co_u32 v36, vcc_lo, v117, s10
	v_add_co_ci_u32_e32 v37, vcc_lo, s11, v118, vcc_lo
	s_waitcnt vmcnt(12)
	s_delay_alu instid0(VALU_DEP_2) | instskip(NEXT) | instid1(VALU_DEP_2)
	v_add_co_u32 v42, vcc_lo, 0x1000, v36
	v_add_co_ci_u32_e32 v43, vcc_lo, 0, v37, vcc_lo
	s_waitcnt vmcnt(11)
	v_add_co_u32 v44, vcc_lo, 0x2000, v36
	v_add_co_ci_u32_e32 v45, vcc_lo, 0, v37, vcc_lo
	s_waitcnt vmcnt(1)
	v_add_co_u32 v50, vcc_lo, v36, 0x2000
	v_add_co_ci_u32_e32 v51, vcc_lo, 0, v37, vcc_lo
	v_add_co_u32 v52, vcc_lo, v36, 0x4000
	v_add_co_ci_u32_e32 v53, vcc_lo, 0, v37, vcc_lo
	;; [unrolled: 2-line block ×7, first 2 shown]
	s_waitcnt vmcnt(0)
	v_add_co_u32 v66, vcc_lo, 0x7000, v36
	v_add_co_ci_u32_e32 v67, vcc_lo, 0, v37, vcc_lo
	s_clause 0xe
	global_load_b64 v[38:39], v[36:37], off
	global_load_b64 v[40:41], v[36:37], off offset:2048
	global_load_b64 v[42:43], v[42:43], off offset:2048
	;; [unrolled: 1-line block ×3, first 2 shown]
	global_load_b64 v[46:47], v[50:51], off
	global_load_b64 v[48:49], v[52:53], off offset:-4096
	global_load_b64 v[52:53], v[52:53], off
	global_load_b64 v[56:57], v[60:61], off offset:-4096
	global_load_b64 v[60:61], v[60:61], off
	global_load_b64 v[54:55], v[54:55], off offset:2048
	global_load_b64 v[58:59], v[58:59], off offset:2048
	;; [unrolled: 1-line block ×4, first 2 shown]
	global_load_b64 v[50:51], v[50:51], off offset:-4096
	global_load_b64 v[66:67], v[66:67], off
	v_add_co_u32 v36, vcc_lo, 0x7800, v36
	v_add_co_ci_u32_e32 v37, vcc_lo, 0, v37, vcc_lo
	s_cbranch_execz .LBB1155_912
; %bb.910:                              ;   in Loop: Header=BB1155_908 Depth=2
                                        ; implicit-def: $vgpr32_vgpr33
                                        ; implicit-def: $vgpr30_vgpr31
                                        ; implicit-def: $vgpr28_vgpr29
                                        ; implicit-def: $vgpr26_vgpr27
                                        ; implicit-def: $vgpr24_vgpr25
                                        ; implicit-def: $vgpr22_vgpr23
                                        ; implicit-def: $vgpr20_vgpr21
                                        ; implicit-def: $vgpr18_vgpr19
                                        ; implicit-def: $vgpr16_vgpr17
                                        ; implicit-def: $vgpr14_vgpr15
                                        ; implicit-def: $vgpr12_vgpr13
                                        ; implicit-def: $vgpr10_vgpr11
                                        ; implicit-def: $vgpr8_vgpr9
                                        ; implicit-def: $vgpr6_vgpr7
                                        ; implicit-def: $vgpr4_vgpr5
                                        ; implicit-def: $vgpr34_vgpr35
	v_mov_b32_e32 v2, s1
	s_and_saveexec_b32 s8, s12
	s_cbranch_execnz .LBB1155_931
	s_branch .LBB1155_932
.LBB1155_911:                           ;   in Loop: Header=BB1155_908 Depth=2
	s_mov_b32 s12, 0
                                        ; implicit-def: $sgpr13
                                        ; implicit-def: $vgpr38_vgpr39
                                        ; implicit-def: $vgpr40_vgpr41
                                        ; implicit-def: $vgpr50_vgpr51
                                        ; implicit-def: $vgpr42_vgpr43
                                        ; implicit-def: $vgpr46_vgpr47
                                        ; implicit-def: $vgpr44_vgpr45
                                        ; implicit-def: $vgpr48_vgpr49
                                        ; implicit-def: $vgpr54_vgpr55
                                        ; implicit-def: $vgpr52_vgpr53
                                        ; implicit-def: $vgpr58_vgpr59
                                        ; implicit-def: $vgpr56_vgpr57
                                        ; implicit-def: $vgpr62_vgpr63
                                        ; implicit-def: $vgpr60_vgpr61
                                        ; implicit-def: $vgpr64_vgpr65
                                        ; implicit-def: $vgpr66_vgpr67
                                        ; implicit-def: $vgpr36_vgpr37
.LBB1155_912:                           ;   in Loop: Header=BB1155_908 Depth=2
	s_mov_b32 s9, s34
	s_delay_alu instid0(SALU_CYCLE_1)
	s_lshl_b64 s[10:11], s[8:9], 3
	s_mov_b32 s9, exec_lo
	s_add_u32 s10, s44, s10
	s_addc_u32 s11, s45, s11
	v_cmpx_gt_u32_e64 s1, v1
	s_cbranch_execz .LBB1155_964
; %bb.913:                              ;   in Loop: Header=BB1155_908 Depth=2
	global_load_b64 v[32:33], v124, s[10:11]
	s_or_b32 exec_lo, exec_lo, s9
	s_delay_alu instid0(SALU_CYCLE_1)
	s_mov_b32 s9, exec_lo
	v_cmpx_gt_u32_e64 s1, v77
	s_cbranch_execnz .LBB1155_965
.LBB1155_914:                           ;   in Loop: Header=BB1155_908 Depth=2
	s_or_b32 exec_lo, exec_lo, s9
	s_delay_alu instid0(SALU_CYCLE_1)
	s_mov_b32 s9, exec_lo
	v_cmpx_gt_u32_e64 s1, v78
	s_cbranch_execz .LBB1155_966
.LBB1155_915:                           ;   in Loop: Header=BB1155_908 Depth=2
	global_load_b64 v[28:29], v125, s[10:11]
	s_or_b32 exec_lo, exec_lo, s9
	s_delay_alu instid0(SALU_CYCLE_1)
	s_mov_b32 s9, exec_lo
	v_cmpx_gt_u32_e64 s1, v79
	s_cbranch_execnz .LBB1155_967
.LBB1155_916:                           ;   in Loop: Header=BB1155_908 Depth=2
	s_or_b32 exec_lo, exec_lo, s9
	s_delay_alu instid0(SALU_CYCLE_1)
	s_mov_b32 s9, exec_lo
	v_cmpx_gt_u32_e64 s1, v83
	s_cbranch_execz .LBB1155_968
.LBB1155_917:                           ;   in Loop: Header=BB1155_908 Depth=2
	global_load_b64 v[24:25], v127, s[10:11]
	s_or_b32 exec_lo, exec_lo, s9
	s_delay_alu instid0(SALU_CYCLE_1)
	s_mov_b32 s9, exec_lo
	v_cmpx_gt_u32_e64 s1, v84
	s_cbranch_execnz .LBB1155_969
.LBB1155_918:                           ;   in Loop: Header=BB1155_908 Depth=2
	s_or_b32 exec_lo, exec_lo, s9
	s_delay_alu instid0(SALU_CYCLE_1)
	s_mov_b32 s9, exec_lo
	v_cmpx_gt_u32_e64 s1, v85
	s_cbranch_execz .LBB1155_970
.LBB1155_919:                           ;   in Loop: Header=BB1155_908 Depth=2
	global_load_b64 v[20:21], v129, s[10:11]
	s_or_b32 exec_lo, exec_lo, s9
	s_delay_alu instid0(SALU_CYCLE_1)
	s_mov_b32 s9, exec_lo
	v_cmpx_gt_u32_e64 s1, v86
	s_cbranch_execnz .LBB1155_971
.LBB1155_920:                           ;   in Loop: Header=BB1155_908 Depth=2
	s_or_b32 exec_lo, exec_lo, s9
	s_delay_alu instid0(SALU_CYCLE_1)
	s_mov_b32 s9, exec_lo
	v_cmpx_gt_u32_e64 s1, v87
	s_cbranch_execz .LBB1155_972
.LBB1155_921:                           ;   in Loop: Header=BB1155_908 Depth=2
	global_load_b64 v[16:17], v131, s[10:11]
	s_or_b32 exec_lo, exec_lo, s9
	s_delay_alu instid0(SALU_CYCLE_1)
	s_mov_b32 s9, exec_lo
	v_cmpx_gt_u32_e64 s1, v88
	s_cbranch_execnz .LBB1155_973
.LBB1155_922:                           ;   in Loop: Header=BB1155_908 Depth=2
	s_or_b32 exec_lo, exec_lo, s9
	s_delay_alu instid0(SALU_CYCLE_1)
	s_mov_b32 s9, exec_lo
	v_cmpx_gt_u32_e64 s1, v89
	s_cbranch_execz .LBB1155_974
.LBB1155_923:                           ;   in Loop: Header=BB1155_908 Depth=2
	global_load_b64 v[12:13], v133, s[10:11]
	s_or_b32 exec_lo, exec_lo, s9
	s_delay_alu instid0(SALU_CYCLE_1)
	s_mov_b32 s9, exec_lo
	v_cmpx_gt_u32_e64 s1, v90
	s_cbranch_execnz .LBB1155_975
.LBB1155_924:                           ;   in Loop: Header=BB1155_908 Depth=2
	s_or_b32 exec_lo, exec_lo, s9
	s_delay_alu instid0(SALU_CYCLE_1)
	s_mov_b32 s9, exec_lo
	v_cmpx_gt_u32_e64 s1, v91
	s_cbranch_execz .LBB1155_976
.LBB1155_925:                           ;   in Loop: Header=BB1155_908 Depth=2
	global_load_b64 v[8:9], v135, s[10:11]
	s_or_b32 exec_lo, exec_lo, s9
	s_delay_alu instid0(SALU_CYCLE_1)
	s_mov_b32 s9, exec_lo
	v_cmpx_gt_u32_e64 s1, v92
	s_cbranch_execnz .LBB1155_977
.LBB1155_926:                           ;   in Loop: Header=BB1155_908 Depth=2
	s_or_b32 exec_lo, exec_lo, s9
	s_delay_alu instid0(SALU_CYCLE_1)
	s_mov_b32 s9, exec_lo
	v_cmpx_gt_u32_e64 s1, v93
	s_cbranch_execz .LBB1155_928
.LBB1155_927:                           ;   in Loop: Header=BB1155_908 Depth=2
	v_lshlrev_b32_e32 v2, 3, v93
	global_load_b64 v[4:5], v2, s[10:11]
.LBB1155_928:                           ;   in Loop: Header=BB1155_908 Depth=2
	s_or_b32 exec_lo, exec_lo, s9
	s_delay_alu instid0(SALU_CYCLE_1)
	s_mov_b32 s9, exec_lo
                                        ; implicit-def: $sgpr13
                                        ; implicit-def: $vgpr36_vgpr37
	v_cmpx_gt_u32_e64 s1, v95
; %bb.929:                              ;   in Loop: Header=BB1155_908 Depth=2
	v_lshlrev_b32_e32 v2, 3, v95
	s_sub_i32 s13, s61, s8
	s_or_b32 s12, s12, exec_lo
                                        ; implicit-def: $vgpr34_vgpr35
	s_delay_alu instid0(VALU_DEP_1) | instskip(NEXT) | instid1(VALU_DEP_1)
	v_add_co_u32 v36, s10, s10, v2
	v_add_co_ci_u32_e64 v37, null, s11, 0, s10
; %bb.930:                              ;   in Loop: Header=BB1155_908 Depth=2
	s_or_b32 exec_lo, exec_lo, s9
	s_waitcnt vmcnt(0)
	v_dual_mov_b32 v39, v33 :: v_dual_mov_b32 v38, v32
	v_dual_mov_b32 v41, v31 :: v_dual_mov_b32 v40, v30
	v_dual_mov_b32 v51, v29 :: v_dual_mov_b32 v50, v28
	v_dual_mov_b32 v43, v27 :: v_dual_mov_b32 v42, v26
	v_dual_mov_b32 v47, v25 :: v_dual_mov_b32 v46, v24
	v_dual_mov_b32 v45, v23 :: v_dual_mov_b32 v44, v22
	v_dual_mov_b32 v49, v21 :: v_dual_mov_b32 v48, v20
	v_dual_mov_b32 v55, v19 :: v_dual_mov_b32 v54, v18
	v_dual_mov_b32 v53, v17 :: v_dual_mov_b32 v52, v16
	v_dual_mov_b32 v59, v15 :: v_dual_mov_b32 v58, v14
	v_dual_mov_b32 v57, v13 :: v_dual_mov_b32 v56, v12
	v_dual_mov_b32 v63, v11 :: v_dual_mov_b32 v62, v10
	v_dual_mov_b32 v61, v9 :: v_dual_mov_b32 v60, v8
	v_dual_mov_b32 v65, v7 :: v_dual_mov_b32 v64, v6
	v_dual_mov_b32 v67, v5 :: v_dual_mov_b32 v66, v4
	v_mov_b32_e32 v2, s1
	s_and_saveexec_b32 s8, s12
	s_cbranch_execz .LBB1155_932
.LBB1155_931:                           ;   in Loop: Header=BB1155_908 Depth=2
	global_load_b64 v[34:35], v[36:37], off
	s_waitcnt vmcnt(1)
	v_mov_b32_e32 v4, v66
	v_mov_b32_e32 v6, v64
	;; [unrolled: 1-line block ×14, first 2 shown]
	v_dual_mov_b32 v32, v38 :: v_dual_mov_b32 v33, v39
	v_dual_mov_b32 v2, s13 :: v_dual_mov_b32 v5, v67
	v_mov_b32_e32 v7, v65
	v_mov_b32_e32 v9, v61
	;; [unrolled: 1-line block ×13, first 2 shown]
.LBB1155_932:                           ;   in Loop: Header=BB1155_908 Depth=2
	s_or_b32 exec_lo, exec_lo, s8
	v_lshlrev_b32_e32 v36, 2, v80
	s_mov_b32 s8, exec_lo
	v_cmpx_lt_u32_e64 v1, v2
	s_cbranch_execz .LBB1155_948
; %bb.933:                              ;   in Loop: Header=BB1155_908 Depth=2
	v_cmp_gt_i64_e32 vcc_lo, 0, v[32:33]
	v_ashrrev_i32_e32 v37, 31, v33
	s_delay_alu instid0(VALU_DEP_1) | instskip(SKIP_2) | instid1(VALU_DEP_2)
	v_not_b32_e32 v37, v37
	s_waitcnt vmcnt(14)
	v_cndmask_b32_e64 v38, 0x7fffffff, 0, vcc_lo
	v_xor_b32_e32 v37, v37, v32
	s_delay_alu instid0(VALU_DEP_2) | instskip(NEXT) | instid1(VALU_DEP_1)
	v_xor_b32_e32 v38, v38, v33
	v_cmp_ne_u64_e32 vcc_lo, s[34:35], v[37:38]
	v_cndmask_b32_e32 v38, 0x7fffffff, v38, vcc_lo
	v_cndmask_b32_e32 v37, -1, v37, vcc_lo
	s_delay_alu instid0(VALU_DEP_1) | instskip(NEXT) | instid1(VALU_DEP_1)
	v_lshrrev_b64 v[37:38], s40, v[37:38]
	v_and_b32_e32 v37, s42, v37
	s_delay_alu instid0(VALU_DEP_1) | instskip(SKIP_2) | instid1(SALU_CYCLE_1)
	v_lshl_or_b32 v37, v37, 4, v36
	ds_add_u32 v37, v123
	s_or_b32 exec_lo, exec_lo, s8
	s_mov_b32 s8, exec_lo
	v_cmpx_lt_u32_e64 v77, v2
	s_cbranch_execnz .LBB1155_949
.LBB1155_934:                           ;   in Loop: Header=BB1155_908 Depth=2
	s_or_b32 exec_lo, exec_lo, s8
	s_delay_alu instid0(SALU_CYCLE_1)
	s_mov_b32 s8, exec_lo
	v_cmpx_lt_u32_e64 v78, v2
	s_cbranch_execz .LBB1155_950
.LBB1155_935:                           ;   in Loop: Header=BB1155_908 Depth=2
	v_cmp_gt_i64_e32 vcc_lo, 0, v[28:29]
	v_ashrrev_i32_e32 v37, 31, v29
	s_delay_alu instid0(VALU_DEP_1) | instskip(SKIP_2) | instid1(VALU_DEP_2)
	v_not_b32_e32 v37, v37
	s_waitcnt vmcnt(14)
	v_cndmask_b32_e64 v38, 0x7fffffff, 0, vcc_lo
	v_xor_b32_e32 v37, v37, v28
	s_delay_alu instid0(VALU_DEP_2) | instskip(NEXT) | instid1(VALU_DEP_1)
	v_xor_b32_e32 v38, v38, v29
	v_cmp_ne_u64_e32 vcc_lo, s[34:35], v[37:38]
	v_cndmask_b32_e32 v38, 0x7fffffff, v38, vcc_lo
	v_cndmask_b32_e32 v37, -1, v37, vcc_lo
	s_delay_alu instid0(VALU_DEP_1) | instskip(NEXT) | instid1(VALU_DEP_1)
	v_lshrrev_b64 v[37:38], s40, v[37:38]
	v_and_b32_e32 v37, s42, v37
	s_delay_alu instid0(VALU_DEP_1) | instskip(SKIP_2) | instid1(SALU_CYCLE_1)
	v_lshl_or_b32 v37, v37, 4, v36
	ds_add_u32 v37, v123
	s_or_b32 exec_lo, exec_lo, s8
	s_mov_b32 s8, exec_lo
	v_cmpx_lt_u32_e64 v79, v2
	s_cbranch_execnz .LBB1155_951
.LBB1155_936:                           ;   in Loop: Header=BB1155_908 Depth=2
	s_or_b32 exec_lo, exec_lo, s8
	s_delay_alu instid0(SALU_CYCLE_1)
	s_mov_b32 s8, exec_lo
	v_cmpx_lt_u32_e64 v83, v2
	s_cbranch_execz .LBB1155_952
.LBB1155_937:                           ;   in Loop: Header=BB1155_908 Depth=2
	v_cmp_gt_i64_e32 vcc_lo, 0, v[24:25]
	v_ashrrev_i32_e32 v37, 31, v25
	s_delay_alu instid0(VALU_DEP_1) | instskip(SKIP_2) | instid1(VALU_DEP_2)
	v_not_b32_e32 v37, v37
	s_waitcnt vmcnt(14)
	v_cndmask_b32_e64 v38, 0x7fffffff, 0, vcc_lo
	v_xor_b32_e32 v37, v37, v24
	s_delay_alu instid0(VALU_DEP_2) | instskip(NEXT) | instid1(VALU_DEP_1)
	v_xor_b32_e32 v38, v38, v25
	v_cmp_ne_u64_e32 vcc_lo, s[34:35], v[37:38]
	v_cndmask_b32_e32 v38, 0x7fffffff, v38, vcc_lo
	v_cndmask_b32_e32 v37, -1, v37, vcc_lo
	s_delay_alu instid0(VALU_DEP_1) | instskip(NEXT) | instid1(VALU_DEP_1)
	v_lshrrev_b64 v[37:38], s40, v[37:38]
	v_and_b32_e32 v37, s42, v37
	s_delay_alu instid0(VALU_DEP_1) | instskip(SKIP_2) | instid1(SALU_CYCLE_1)
	v_lshl_or_b32 v37, v37, 4, v36
	ds_add_u32 v37, v123
	s_or_b32 exec_lo, exec_lo, s8
	s_mov_b32 s8, exec_lo
	v_cmpx_lt_u32_e64 v84, v2
	s_cbranch_execnz .LBB1155_953
.LBB1155_938:                           ;   in Loop: Header=BB1155_908 Depth=2
	s_or_b32 exec_lo, exec_lo, s8
	s_delay_alu instid0(SALU_CYCLE_1)
	s_mov_b32 s8, exec_lo
	v_cmpx_lt_u32_e64 v85, v2
	s_cbranch_execz .LBB1155_954
.LBB1155_939:                           ;   in Loop: Header=BB1155_908 Depth=2
	v_cmp_gt_i64_e32 vcc_lo, 0, v[20:21]
	v_ashrrev_i32_e32 v37, 31, v21
	s_delay_alu instid0(VALU_DEP_1) | instskip(SKIP_2) | instid1(VALU_DEP_2)
	v_not_b32_e32 v37, v37
	s_waitcnt vmcnt(14)
	v_cndmask_b32_e64 v38, 0x7fffffff, 0, vcc_lo
	v_xor_b32_e32 v37, v37, v20
	s_delay_alu instid0(VALU_DEP_2) | instskip(NEXT) | instid1(VALU_DEP_1)
	v_xor_b32_e32 v38, v38, v21
	v_cmp_ne_u64_e32 vcc_lo, s[34:35], v[37:38]
	v_cndmask_b32_e32 v38, 0x7fffffff, v38, vcc_lo
	v_cndmask_b32_e32 v37, -1, v37, vcc_lo
	s_delay_alu instid0(VALU_DEP_1) | instskip(NEXT) | instid1(VALU_DEP_1)
	v_lshrrev_b64 v[37:38], s40, v[37:38]
	v_and_b32_e32 v37, s42, v37
	s_delay_alu instid0(VALU_DEP_1) | instskip(SKIP_2) | instid1(SALU_CYCLE_1)
	v_lshl_or_b32 v37, v37, 4, v36
	ds_add_u32 v37, v123
	s_or_b32 exec_lo, exec_lo, s8
	s_mov_b32 s8, exec_lo
	v_cmpx_lt_u32_e64 v86, v2
	s_cbranch_execnz .LBB1155_955
.LBB1155_940:                           ;   in Loop: Header=BB1155_908 Depth=2
	s_or_b32 exec_lo, exec_lo, s8
	s_delay_alu instid0(SALU_CYCLE_1)
	s_mov_b32 s8, exec_lo
	v_cmpx_lt_u32_e64 v87, v2
	s_cbranch_execz .LBB1155_956
.LBB1155_941:                           ;   in Loop: Header=BB1155_908 Depth=2
	v_cmp_gt_i64_e32 vcc_lo, 0, v[16:17]
	v_ashrrev_i32_e32 v37, 31, v17
	s_delay_alu instid0(VALU_DEP_1) | instskip(SKIP_2) | instid1(VALU_DEP_2)
	v_not_b32_e32 v37, v37
	s_waitcnt vmcnt(14)
	v_cndmask_b32_e64 v38, 0x7fffffff, 0, vcc_lo
	v_xor_b32_e32 v37, v37, v16
	s_delay_alu instid0(VALU_DEP_2) | instskip(NEXT) | instid1(VALU_DEP_1)
	v_xor_b32_e32 v38, v38, v17
	v_cmp_ne_u64_e32 vcc_lo, s[34:35], v[37:38]
	v_cndmask_b32_e32 v38, 0x7fffffff, v38, vcc_lo
	v_cndmask_b32_e32 v37, -1, v37, vcc_lo
	s_delay_alu instid0(VALU_DEP_1) | instskip(NEXT) | instid1(VALU_DEP_1)
	v_lshrrev_b64 v[37:38], s40, v[37:38]
	v_and_b32_e32 v37, s42, v37
	s_delay_alu instid0(VALU_DEP_1) | instskip(SKIP_2) | instid1(SALU_CYCLE_1)
	v_lshl_or_b32 v37, v37, 4, v36
	ds_add_u32 v37, v123
	s_or_b32 exec_lo, exec_lo, s8
	s_mov_b32 s8, exec_lo
	v_cmpx_lt_u32_e64 v88, v2
	s_cbranch_execnz .LBB1155_957
.LBB1155_942:                           ;   in Loop: Header=BB1155_908 Depth=2
	s_or_b32 exec_lo, exec_lo, s8
	s_delay_alu instid0(SALU_CYCLE_1)
	s_mov_b32 s8, exec_lo
	v_cmpx_lt_u32_e64 v89, v2
	s_cbranch_execz .LBB1155_958
.LBB1155_943:                           ;   in Loop: Header=BB1155_908 Depth=2
	v_cmp_gt_i64_e32 vcc_lo, 0, v[12:13]
	v_ashrrev_i32_e32 v37, 31, v13
	s_delay_alu instid0(VALU_DEP_1) | instskip(SKIP_2) | instid1(VALU_DEP_2)
	v_not_b32_e32 v37, v37
	s_waitcnt vmcnt(14)
	v_cndmask_b32_e64 v38, 0x7fffffff, 0, vcc_lo
	v_xor_b32_e32 v37, v37, v12
	s_delay_alu instid0(VALU_DEP_2) | instskip(NEXT) | instid1(VALU_DEP_1)
	v_xor_b32_e32 v38, v38, v13
	v_cmp_ne_u64_e32 vcc_lo, s[34:35], v[37:38]
	v_cndmask_b32_e32 v38, 0x7fffffff, v38, vcc_lo
	v_cndmask_b32_e32 v37, -1, v37, vcc_lo
	s_delay_alu instid0(VALU_DEP_1) | instskip(NEXT) | instid1(VALU_DEP_1)
	v_lshrrev_b64 v[37:38], s40, v[37:38]
	v_and_b32_e32 v37, s42, v37
	s_delay_alu instid0(VALU_DEP_1) | instskip(SKIP_2) | instid1(SALU_CYCLE_1)
	v_lshl_or_b32 v37, v37, 4, v36
	ds_add_u32 v37, v123
	s_or_b32 exec_lo, exec_lo, s8
	s_mov_b32 s8, exec_lo
	v_cmpx_lt_u32_e64 v90, v2
	s_cbranch_execnz .LBB1155_959
.LBB1155_944:                           ;   in Loop: Header=BB1155_908 Depth=2
	s_or_b32 exec_lo, exec_lo, s8
	s_delay_alu instid0(SALU_CYCLE_1)
	s_mov_b32 s8, exec_lo
	v_cmpx_lt_u32_e64 v91, v2
	s_cbranch_execz .LBB1155_960
.LBB1155_945:                           ;   in Loop: Header=BB1155_908 Depth=2
	v_cmp_gt_i64_e32 vcc_lo, 0, v[8:9]
	v_ashrrev_i32_e32 v37, 31, v9
	s_delay_alu instid0(VALU_DEP_1) | instskip(SKIP_2) | instid1(VALU_DEP_2)
	v_not_b32_e32 v37, v37
	s_waitcnt vmcnt(14)
	v_cndmask_b32_e64 v38, 0x7fffffff, 0, vcc_lo
	v_xor_b32_e32 v37, v37, v8
	s_delay_alu instid0(VALU_DEP_2) | instskip(NEXT) | instid1(VALU_DEP_1)
	v_xor_b32_e32 v38, v38, v9
	v_cmp_ne_u64_e32 vcc_lo, s[34:35], v[37:38]
	v_cndmask_b32_e32 v38, 0x7fffffff, v38, vcc_lo
	v_cndmask_b32_e32 v37, -1, v37, vcc_lo
	s_delay_alu instid0(VALU_DEP_1) | instskip(NEXT) | instid1(VALU_DEP_1)
	v_lshrrev_b64 v[37:38], s40, v[37:38]
	v_and_b32_e32 v37, s42, v37
	s_delay_alu instid0(VALU_DEP_1) | instskip(SKIP_2) | instid1(SALU_CYCLE_1)
	v_lshl_or_b32 v37, v37, 4, v36
	ds_add_u32 v37, v123
	s_or_b32 exec_lo, exec_lo, s8
	s_mov_b32 s8, exec_lo
	v_cmpx_lt_u32_e64 v92, v2
	s_cbranch_execnz .LBB1155_961
.LBB1155_946:                           ;   in Loop: Header=BB1155_908 Depth=2
	s_or_b32 exec_lo, exec_lo, s8
	s_delay_alu instid0(SALU_CYCLE_1)
	s_mov_b32 s8, exec_lo
	v_cmpx_lt_u32_e64 v93, v2
	s_cbranch_execz .LBB1155_962
.LBB1155_947:                           ;   in Loop: Header=BB1155_908 Depth=2
	v_cmp_gt_i64_e32 vcc_lo, 0, v[4:5]
	v_ashrrev_i32_e32 v37, 31, v5
	s_delay_alu instid0(VALU_DEP_1) | instskip(SKIP_2) | instid1(VALU_DEP_2)
	v_not_b32_e32 v37, v37
	s_waitcnt vmcnt(14)
	v_cndmask_b32_e64 v38, 0x7fffffff, 0, vcc_lo
	v_xor_b32_e32 v37, v37, v4
	s_delay_alu instid0(VALU_DEP_2) | instskip(NEXT) | instid1(VALU_DEP_1)
	v_xor_b32_e32 v38, v38, v5
	v_cmp_ne_u64_e32 vcc_lo, s[34:35], v[37:38]
	v_cndmask_b32_e32 v38, 0x7fffffff, v38, vcc_lo
	v_cndmask_b32_e32 v37, -1, v37, vcc_lo
	s_delay_alu instid0(VALU_DEP_1) | instskip(NEXT) | instid1(VALU_DEP_1)
	v_lshrrev_b64 v[37:38], s40, v[37:38]
	v_and_b32_e32 v37, s42, v37
	s_delay_alu instid0(VALU_DEP_1) | instskip(SKIP_2) | instid1(SALU_CYCLE_1)
	v_lshl_or_b32 v37, v37, 4, v36
	ds_add_u32 v37, v123
	s_or_b32 exec_lo, exec_lo, s8
	s_mov_b32 s8, exec_lo
	v_cmpx_lt_u32_e64 v95, v2
	s_cbranch_execz .LBB1155_907
	s_branch .LBB1155_963
.LBB1155_948:                           ;   in Loop: Header=BB1155_908 Depth=2
	s_or_b32 exec_lo, exec_lo, s8
	s_delay_alu instid0(SALU_CYCLE_1)
	s_mov_b32 s8, exec_lo
	v_cmpx_lt_u32_e64 v77, v2
	s_cbranch_execz .LBB1155_934
.LBB1155_949:                           ;   in Loop: Header=BB1155_908 Depth=2
	v_cmp_gt_i64_e32 vcc_lo, 0, v[30:31]
	v_ashrrev_i32_e32 v37, 31, v31
	s_delay_alu instid0(VALU_DEP_1) | instskip(SKIP_2) | instid1(VALU_DEP_2)
	v_not_b32_e32 v37, v37
	s_waitcnt vmcnt(14)
	v_cndmask_b32_e64 v38, 0x7fffffff, 0, vcc_lo
	v_xor_b32_e32 v37, v37, v30
	s_delay_alu instid0(VALU_DEP_2) | instskip(NEXT) | instid1(VALU_DEP_1)
	v_xor_b32_e32 v38, v38, v31
	v_cmp_ne_u64_e32 vcc_lo, s[34:35], v[37:38]
	v_cndmask_b32_e32 v38, 0x7fffffff, v38, vcc_lo
	v_cndmask_b32_e32 v37, -1, v37, vcc_lo
	s_delay_alu instid0(VALU_DEP_1) | instskip(NEXT) | instid1(VALU_DEP_1)
	v_lshrrev_b64 v[37:38], s40, v[37:38]
	v_and_b32_e32 v37, s42, v37
	s_delay_alu instid0(VALU_DEP_1) | instskip(SKIP_2) | instid1(SALU_CYCLE_1)
	v_lshl_or_b32 v37, v37, 4, v36
	ds_add_u32 v37, v123
	s_or_b32 exec_lo, exec_lo, s8
	s_mov_b32 s8, exec_lo
	v_cmpx_lt_u32_e64 v78, v2
	s_cbranch_execnz .LBB1155_935
.LBB1155_950:                           ;   in Loop: Header=BB1155_908 Depth=2
	s_or_b32 exec_lo, exec_lo, s8
	s_delay_alu instid0(SALU_CYCLE_1)
	s_mov_b32 s8, exec_lo
	v_cmpx_lt_u32_e64 v79, v2
	s_cbranch_execz .LBB1155_936
.LBB1155_951:                           ;   in Loop: Header=BB1155_908 Depth=2
	v_cmp_gt_i64_e32 vcc_lo, 0, v[26:27]
	v_ashrrev_i32_e32 v37, 31, v27
	s_delay_alu instid0(VALU_DEP_1) | instskip(SKIP_2) | instid1(VALU_DEP_2)
	v_not_b32_e32 v37, v37
	s_waitcnt vmcnt(14)
	v_cndmask_b32_e64 v38, 0x7fffffff, 0, vcc_lo
	v_xor_b32_e32 v37, v37, v26
	s_delay_alu instid0(VALU_DEP_2) | instskip(NEXT) | instid1(VALU_DEP_1)
	v_xor_b32_e32 v38, v38, v27
	v_cmp_ne_u64_e32 vcc_lo, s[34:35], v[37:38]
	v_cndmask_b32_e32 v38, 0x7fffffff, v38, vcc_lo
	v_cndmask_b32_e32 v37, -1, v37, vcc_lo
	s_delay_alu instid0(VALU_DEP_1) | instskip(NEXT) | instid1(VALU_DEP_1)
	v_lshrrev_b64 v[37:38], s40, v[37:38]
	v_and_b32_e32 v37, s42, v37
	s_delay_alu instid0(VALU_DEP_1) | instskip(SKIP_2) | instid1(SALU_CYCLE_1)
	v_lshl_or_b32 v37, v37, 4, v36
	ds_add_u32 v37, v123
	s_or_b32 exec_lo, exec_lo, s8
	s_mov_b32 s8, exec_lo
	v_cmpx_lt_u32_e64 v83, v2
	s_cbranch_execnz .LBB1155_937
.LBB1155_952:                           ;   in Loop: Header=BB1155_908 Depth=2
	s_or_b32 exec_lo, exec_lo, s8
	s_delay_alu instid0(SALU_CYCLE_1)
	s_mov_b32 s8, exec_lo
	v_cmpx_lt_u32_e64 v84, v2
	s_cbranch_execz .LBB1155_938
.LBB1155_953:                           ;   in Loop: Header=BB1155_908 Depth=2
	v_cmp_gt_i64_e32 vcc_lo, 0, v[22:23]
	v_ashrrev_i32_e32 v37, 31, v23
	s_delay_alu instid0(VALU_DEP_1) | instskip(SKIP_2) | instid1(VALU_DEP_2)
	v_not_b32_e32 v37, v37
	s_waitcnt vmcnt(14)
	v_cndmask_b32_e64 v38, 0x7fffffff, 0, vcc_lo
	v_xor_b32_e32 v37, v37, v22
	s_delay_alu instid0(VALU_DEP_2) | instskip(NEXT) | instid1(VALU_DEP_1)
	v_xor_b32_e32 v38, v38, v23
	v_cmp_ne_u64_e32 vcc_lo, s[34:35], v[37:38]
	v_cndmask_b32_e32 v38, 0x7fffffff, v38, vcc_lo
	v_cndmask_b32_e32 v37, -1, v37, vcc_lo
	s_delay_alu instid0(VALU_DEP_1) | instskip(NEXT) | instid1(VALU_DEP_1)
	v_lshrrev_b64 v[37:38], s40, v[37:38]
	v_and_b32_e32 v37, s42, v37
	s_delay_alu instid0(VALU_DEP_1) | instskip(SKIP_2) | instid1(SALU_CYCLE_1)
	v_lshl_or_b32 v37, v37, 4, v36
	ds_add_u32 v37, v123
	s_or_b32 exec_lo, exec_lo, s8
	s_mov_b32 s8, exec_lo
	v_cmpx_lt_u32_e64 v85, v2
	s_cbranch_execnz .LBB1155_939
.LBB1155_954:                           ;   in Loop: Header=BB1155_908 Depth=2
	s_or_b32 exec_lo, exec_lo, s8
	s_delay_alu instid0(SALU_CYCLE_1)
	s_mov_b32 s8, exec_lo
	v_cmpx_lt_u32_e64 v86, v2
	s_cbranch_execz .LBB1155_940
.LBB1155_955:                           ;   in Loop: Header=BB1155_908 Depth=2
	v_cmp_gt_i64_e32 vcc_lo, 0, v[18:19]
	v_ashrrev_i32_e32 v37, 31, v19
	s_delay_alu instid0(VALU_DEP_1) | instskip(SKIP_2) | instid1(VALU_DEP_2)
	v_not_b32_e32 v37, v37
	s_waitcnt vmcnt(14)
	v_cndmask_b32_e64 v38, 0x7fffffff, 0, vcc_lo
	v_xor_b32_e32 v37, v37, v18
	s_delay_alu instid0(VALU_DEP_2) | instskip(NEXT) | instid1(VALU_DEP_1)
	v_xor_b32_e32 v38, v38, v19
	v_cmp_ne_u64_e32 vcc_lo, s[34:35], v[37:38]
	v_cndmask_b32_e32 v38, 0x7fffffff, v38, vcc_lo
	v_cndmask_b32_e32 v37, -1, v37, vcc_lo
	s_delay_alu instid0(VALU_DEP_1) | instskip(NEXT) | instid1(VALU_DEP_1)
	v_lshrrev_b64 v[37:38], s40, v[37:38]
	v_and_b32_e32 v37, s42, v37
	s_delay_alu instid0(VALU_DEP_1) | instskip(SKIP_2) | instid1(SALU_CYCLE_1)
	v_lshl_or_b32 v37, v37, 4, v36
	ds_add_u32 v37, v123
	s_or_b32 exec_lo, exec_lo, s8
	s_mov_b32 s8, exec_lo
	v_cmpx_lt_u32_e64 v87, v2
	s_cbranch_execnz .LBB1155_941
.LBB1155_956:                           ;   in Loop: Header=BB1155_908 Depth=2
	s_or_b32 exec_lo, exec_lo, s8
	s_delay_alu instid0(SALU_CYCLE_1)
	s_mov_b32 s8, exec_lo
	v_cmpx_lt_u32_e64 v88, v2
	s_cbranch_execz .LBB1155_942
.LBB1155_957:                           ;   in Loop: Header=BB1155_908 Depth=2
	v_cmp_gt_i64_e32 vcc_lo, 0, v[14:15]
	v_ashrrev_i32_e32 v37, 31, v15
	s_delay_alu instid0(VALU_DEP_1) | instskip(SKIP_2) | instid1(VALU_DEP_2)
	v_not_b32_e32 v37, v37
	s_waitcnt vmcnt(14)
	v_cndmask_b32_e64 v38, 0x7fffffff, 0, vcc_lo
	v_xor_b32_e32 v37, v37, v14
	s_delay_alu instid0(VALU_DEP_2) | instskip(NEXT) | instid1(VALU_DEP_1)
	v_xor_b32_e32 v38, v38, v15
	v_cmp_ne_u64_e32 vcc_lo, s[34:35], v[37:38]
	v_cndmask_b32_e32 v38, 0x7fffffff, v38, vcc_lo
	v_cndmask_b32_e32 v37, -1, v37, vcc_lo
	s_delay_alu instid0(VALU_DEP_1) | instskip(NEXT) | instid1(VALU_DEP_1)
	v_lshrrev_b64 v[37:38], s40, v[37:38]
	v_and_b32_e32 v37, s42, v37
	s_delay_alu instid0(VALU_DEP_1) | instskip(SKIP_2) | instid1(SALU_CYCLE_1)
	v_lshl_or_b32 v37, v37, 4, v36
	ds_add_u32 v37, v123
	s_or_b32 exec_lo, exec_lo, s8
	s_mov_b32 s8, exec_lo
	v_cmpx_lt_u32_e64 v89, v2
	s_cbranch_execnz .LBB1155_943
.LBB1155_958:                           ;   in Loop: Header=BB1155_908 Depth=2
	s_or_b32 exec_lo, exec_lo, s8
	s_delay_alu instid0(SALU_CYCLE_1)
	s_mov_b32 s8, exec_lo
	v_cmpx_lt_u32_e64 v90, v2
	s_cbranch_execz .LBB1155_944
.LBB1155_959:                           ;   in Loop: Header=BB1155_908 Depth=2
	v_cmp_gt_i64_e32 vcc_lo, 0, v[10:11]
	v_ashrrev_i32_e32 v37, 31, v11
	s_delay_alu instid0(VALU_DEP_1) | instskip(SKIP_2) | instid1(VALU_DEP_2)
	v_not_b32_e32 v37, v37
	s_waitcnt vmcnt(14)
	v_cndmask_b32_e64 v38, 0x7fffffff, 0, vcc_lo
	v_xor_b32_e32 v37, v37, v10
	s_delay_alu instid0(VALU_DEP_2) | instskip(NEXT) | instid1(VALU_DEP_1)
	v_xor_b32_e32 v38, v38, v11
	v_cmp_ne_u64_e32 vcc_lo, s[34:35], v[37:38]
	v_cndmask_b32_e32 v38, 0x7fffffff, v38, vcc_lo
	v_cndmask_b32_e32 v37, -1, v37, vcc_lo
	s_delay_alu instid0(VALU_DEP_1) | instskip(NEXT) | instid1(VALU_DEP_1)
	v_lshrrev_b64 v[37:38], s40, v[37:38]
	v_and_b32_e32 v37, s42, v37
	s_delay_alu instid0(VALU_DEP_1) | instskip(SKIP_2) | instid1(SALU_CYCLE_1)
	v_lshl_or_b32 v37, v37, 4, v36
	ds_add_u32 v37, v123
	s_or_b32 exec_lo, exec_lo, s8
	s_mov_b32 s8, exec_lo
	v_cmpx_lt_u32_e64 v91, v2
	s_cbranch_execnz .LBB1155_945
.LBB1155_960:                           ;   in Loop: Header=BB1155_908 Depth=2
	s_or_b32 exec_lo, exec_lo, s8
	s_delay_alu instid0(SALU_CYCLE_1)
	s_mov_b32 s8, exec_lo
	v_cmpx_lt_u32_e64 v92, v2
	s_cbranch_execz .LBB1155_946
.LBB1155_961:                           ;   in Loop: Header=BB1155_908 Depth=2
	v_cmp_gt_i64_e32 vcc_lo, 0, v[6:7]
	v_ashrrev_i32_e32 v37, 31, v7
	s_delay_alu instid0(VALU_DEP_1) | instskip(SKIP_2) | instid1(VALU_DEP_2)
	v_not_b32_e32 v37, v37
	s_waitcnt vmcnt(14)
	v_cndmask_b32_e64 v38, 0x7fffffff, 0, vcc_lo
	v_xor_b32_e32 v37, v37, v6
	s_delay_alu instid0(VALU_DEP_2) | instskip(NEXT) | instid1(VALU_DEP_1)
	v_xor_b32_e32 v38, v38, v7
	v_cmp_ne_u64_e32 vcc_lo, s[34:35], v[37:38]
	v_cndmask_b32_e32 v38, 0x7fffffff, v38, vcc_lo
	v_cndmask_b32_e32 v37, -1, v37, vcc_lo
	s_delay_alu instid0(VALU_DEP_1) | instskip(NEXT) | instid1(VALU_DEP_1)
	v_lshrrev_b64 v[37:38], s40, v[37:38]
	v_and_b32_e32 v37, s42, v37
	s_delay_alu instid0(VALU_DEP_1) | instskip(SKIP_2) | instid1(SALU_CYCLE_1)
	v_lshl_or_b32 v37, v37, 4, v36
	ds_add_u32 v37, v123
	s_or_b32 exec_lo, exec_lo, s8
	s_mov_b32 s8, exec_lo
	v_cmpx_lt_u32_e64 v93, v2
	s_cbranch_execnz .LBB1155_947
.LBB1155_962:                           ;   in Loop: Header=BB1155_908 Depth=2
	s_or_b32 exec_lo, exec_lo, s8
	s_delay_alu instid0(SALU_CYCLE_1)
	s_mov_b32 s8, exec_lo
	v_cmpx_lt_u32_e64 v95, v2
	s_cbranch_execz .LBB1155_907
.LBB1155_963:                           ;   in Loop: Header=BB1155_908 Depth=2
	s_waitcnt vmcnt(0)
	v_cmp_gt_i64_e32 vcc_lo, 0, v[34:35]
	v_ashrrev_i32_e32 v2, 31, v35
	s_delay_alu instid0(VALU_DEP_1) | instskip(SKIP_1) | instid1(VALU_DEP_1)
	v_not_b32_e32 v2, v2
	v_cndmask_b32_e64 v37, 0x7fffffff, 0, vcc_lo
	v_xor_b32_e32 v38, v37, v35
	s_delay_alu instid0(VALU_DEP_3) | instskip(NEXT) | instid1(VALU_DEP_1)
	v_xor_b32_e32 v37, v2, v34
	v_cmp_ne_u64_e32 vcc_lo, s[34:35], v[37:38]
	v_cndmask_b32_e32 v38, 0x7fffffff, v38, vcc_lo
	v_cndmask_b32_e32 v37, -1, v37, vcc_lo
	s_delay_alu instid0(VALU_DEP_1) | instskip(NEXT) | instid1(VALU_DEP_1)
	v_lshrrev_b64 v[37:38], s40, v[37:38]
	v_and_b32_e32 v2, s42, v37
	s_delay_alu instid0(VALU_DEP_1)
	v_lshl_or_b32 v2, v2, 4, v36
	ds_add_u32 v2, v123
	s_branch .LBB1155_907
.LBB1155_964:                           ;   in Loop: Header=BB1155_908 Depth=2
	s_or_b32 exec_lo, exec_lo, s9
	s_delay_alu instid0(SALU_CYCLE_1)
	s_mov_b32 s9, exec_lo
	v_cmpx_gt_u32_e64 s1, v77
	s_cbranch_execz .LBB1155_914
.LBB1155_965:                           ;   in Loop: Header=BB1155_908 Depth=2
	global_load_b64 v[30:31], v124, s[10:11] offset:2048
	s_or_b32 exec_lo, exec_lo, s9
	s_delay_alu instid0(SALU_CYCLE_1)
	s_mov_b32 s9, exec_lo
	v_cmpx_gt_u32_e64 s1, v78
	s_cbranch_execnz .LBB1155_915
.LBB1155_966:                           ;   in Loop: Header=BB1155_908 Depth=2
	s_or_b32 exec_lo, exec_lo, s9
	s_delay_alu instid0(SALU_CYCLE_1)
	s_mov_b32 s9, exec_lo
	v_cmpx_gt_u32_e64 s1, v79
	s_cbranch_execz .LBB1155_916
.LBB1155_967:                           ;   in Loop: Header=BB1155_908 Depth=2
	global_load_b64 v[26:27], v126, s[10:11]
	s_or_b32 exec_lo, exec_lo, s9
	s_delay_alu instid0(SALU_CYCLE_1)
	s_mov_b32 s9, exec_lo
	v_cmpx_gt_u32_e64 s1, v83
	s_cbranch_execnz .LBB1155_917
.LBB1155_968:                           ;   in Loop: Header=BB1155_908 Depth=2
	s_or_b32 exec_lo, exec_lo, s9
	s_delay_alu instid0(SALU_CYCLE_1)
	s_mov_b32 s9, exec_lo
	v_cmpx_gt_u32_e64 s1, v84
	s_cbranch_execz .LBB1155_918
.LBB1155_969:                           ;   in Loop: Header=BB1155_908 Depth=2
	global_load_b64 v[22:23], v128, s[10:11]
	s_or_b32 exec_lo, exec_lo, s9
	s_delay_alu instid0(SALU_CYCLE_1)
	s_mov_b32 s9, exec_lo
	v_cmpx_gt_u32_e64 s1, v85
	s_cbranch_execnz .LBB1155_919
.LBB1155_970:                           ;   in Loop: Header=BB1155_908 Depth=2
	s_or_b32 exec_lo, exec_lo, s9
	s_delay_alu instid0(SALU_CYCLE_1)
	s_mov_b32 s9, exec_lo
	v_cmpx_gt_u32_e64 s1, v86
	s_cbranch_execz .LBB1155_920
.LBB1155_971:                           ;   in Loop: Header=BB1155_908 Depth=2
	global_load_b64 v[18:19], v130, s[10:11]
	s_or_b32 exec_lo, exec_lo, s9
	s_delay_alu instid0(SALU_CYCLE_1)
	s_mov_b32 s9, exec_lo
	v_cmpx_gt_u32_e64 s1, v87
	s_cbranch_execnz .LBB1155_921
.LBB1155_972:                           ;   in Loop: Header=BB1155_908 Depth=2
	s_or_b32 exec_lo, exec_lo, s9
	s_delay_alu instid0(SALU_CYCLE_1)
	s_mov_b32 s9, exec_lo
	v_cmpx_gt_u32_e64 s1, v88
	s_cbranch_execz .LBB1155_922
.LBB1155_973:                           ;   in Loop: Header=BB1155_908 Depth=2
	global_load_b64 v[14:15], v132, s[10:11]
	s_or_b32 exec_lo, exec_lo, s9
	s_delay_alu instid0(SALU_CYCLE_1)
	s_mov_b32 s9, exec_lo
	v_cmpx_gt_u32_e64 s1, v89
	s_cbranch_execnz .LBB1155_923
.LBB1155_974:                           ;   in Loop: Header=BB1155_908 Depth=2
	s_or_b32 exec_lo, exec_lo, s9
	s_delay_alu instid0(SALU_CYCLE_1)
	s_mov_b32 s9, exec_lo
	v_cmpx_gt_u32_e64 s1, v90
	s_cbranch_execz .LBB1155_924
.LBB1155_975:                           ;   in Loop: Header=BB1155_908 Depth=2
	global_load_b64 v[10:11], v134, s[10:11]
	s_or_b32 exec_lo, exec_lo, s9
	s_delay_alu instid0(SALU_CYCLE_1)
	s_mov_b32 s9, exec_lo
	v_cmpx_gt_u32_e64 s1, v91
	s_cbranch_execnz .LBB1155_925
.LBB1155_976:                           ;   in Loop: Header=BB1155_908 Depth=2
	s_or_b32 exec_lo, exec_lo, s9
	s_delay_alu instid0(SALU_CYCLE_1)
	s_mov_b32 s9, exec_lo
	v_cmpx_gt_u32_e64 s1, v92
	s_cbranch_execz .LBB1155_926
.LBB1155_977:                           ;   in Loop: Header=BB1155_908 Depth=2
	v_lshlrev_b32_e32 v2, 3, v92
	global_load_b64 v[6:7], v2, s[10:11]
	s_or_b32 exec_lo, exec_lo, s9
	s_delay_alu instid0(SALU_CYCLE_1)
	s_mov_b32 s9, exec_lo
	v_cmpx_gt_u32_e64 s1, v93
	s_cbranch_execz .LBB1155_928
	s_branch .LBB1155_927
.LBB1155_978:                           ;   in Loop: Header=BB1155_17 Depth=1
	v_mov_b32_e32 v2, 0
	s_waitcnt vmcnt(0) lgkmcnt(0)
	s_barrier
	buffer_gl0_inv
	s_and_saveexec_b32 s1, s2
	s_cbranch_execz .LBB1155_980
; %bb.979:                              ;   in Loop: Header=BB1155_17 Depth=1
	ds_load_2addr_b64 v[4:7], v96 offset1:1
	s_waitcnt lgkmcnt(0)
	v_add_nc_u32_e32 v2, v5, v4
	s_delay_alu instid0(VALU_DEP_1)
	v_add3_u32 v2, v2, v6, v7
.LBB1155_980:                           ;   in Loop: Header=BB1155_17 Depth=1
	s_or_b32 exec_lo, exec_lo, s1
	v_and_b32_e32 v4, 15, v136
	s_delay_alu instid0(VALU_DEP_2) | instskip(SKIP_1) | instid1(VALU_DEP_3)
	v_mov_b32_dpp v5, v2 row_shr:1 row_mask:0xf bank_mask:0xf
	v_and_b32_e32 v6, 16, v136
	v_cmp_eq_u32_e64 s1, 0, v4
	v_cmp_lt_u32_e64 s7, 1, v4
	v_cmp_lt_u32_e64 s8, 3, v4
	v_cmp_lt_u32_e64 s9, 7, v4
	v_cmp_eq_u32_e64 s10, 0, v6
	v_cndmask_b32_e64 v5, v5, 0, s1
	s_delay_alu instid0(VALU_DEP_1) | instskip(NEXT) | instid1(VALU_DEP_1)
	v_add_nc_u32_e32 v2, v5, v2
	v_mov_b32_dpp v5, v2 row_shr:2 row_mask:0xf bank_mask:0xf
	s_delay_alu instid0(VALU_DEP_1) | instskip(NEXT) | instid1(VALU_DEP_1)
	v_cndmask_b32_e64 v5, 0, v5, s7
	v_add_nc_u32_e32 v2, v2, v5
	s_delay_alu instid0(VALU_DEP_1) | instskip(NEXT) | instid1(VALU_DEP_1)
	v_mov_b32_dpp v5, v2 row_shr:4 row_mask:0xf bank_mask:0xf
	v_cndmask_b32_e64 v5, 0, v5, s8
	s_delay_alu instid0(VALU_DEP_1) | instskip(NEXT) | instid1(VALU_DEP_1)
	v_add_nc_u32_e32 v2, v2, v5
	v_mov_b32_dpp v5, v2 row_shr:8 row_mask:0xf bank_mask:0xf
	s_delay_alu instid0(VALU_DEP_1) | instskip(SKIP_1) | instid1(VALU_DEP_2)
	v_cndmask_b32_e64 v4, 0, v5, s9
	v_bfe_i32 v5, v136, 4, 1
	v_add_nc_u32_e32 v2, v2, v4
	ds_swizzle_b32 v4, v2 offset:swizzle(BROADCAST,32,15)
	s_waitcnt lgkmcnt(0)
	v_and_b32_e32 v4, v5, v4
	s_delay_alu instid0(VALU_DEP_1)
	v_add_nc_u32_e32 v4, v2, v4
	s_and_saveexec_b32 s11, s3
	s_cbranch_execz .LBB1155_982
; %bb.981:                              ;   in Loop: Header=BB1155_17 Depth=1
	ds_store_b32 v97, v4
.LBB1155_982:                           ;   in Loop: Header=BB1155_17 Depth=1
	s_or_b32 exec_lo, exec_lo, s11
	v_and_b32_e32 v2, 7, v136
	s_waitcnt lgkmcnt(0)
	s_barrier
	buffer_gl0_inv
	s_and_saveexec_b32 s11, s4
	s_cbranch_execz .LBB1155_984
; %bb.983:                              ;   in Loop: Header=BB1155_17 Depth=1
	ds_load_b32 v5, v98
	v_cmp_ne_u32_e32 vcc_lo, 0, v2
	s_waitcnt lgkmcnt(0)
	v_mov_b32_dpp v6, v5 row_shr:1 row_mask:0xf bank_mask:0xf
	s_delay_alu instid0(VALU_DEP_1) | instskip(SKIP_1) | instid1(VALU_DEP_2)
	v_cndmask_b32_e32 v6, 0, v6, vcc_lo
	v_cmp_lt_u32_e32 vcc_lo, 1, v2
	v_add_nc_u32_e32 v5, v6, v5
	s_delay_alu instid0(VALU_DEP_1) | instskip(NEXT) | instid1(VALU_DEP_1)
	v_mov_b32_dpp v6, v5 row_shr:2 row_mask:0xf bank_mask:0xf
	v_cndmask_b32_e32 v6, 0, v6, vcc_lo
	v_cmp_lt_u32_e32 vcc_lo, 3, v2
	s_delay_alu instid0(VALU_DEP_2) | instskip(NEXT) | instid1(VALU_DEP_1)
	v_add_nc_u32_e32 v5, v5, v6
	v_mov_b32_dpp v6, v5 row_shr:4 row_mask:0xf bank_mask:0xf
	s_delay_alu instid0(VALU_DEP_1) | instskip(NEXT) | instid1(VALU_DEP_1)
	v_cndmask_b32_e32 v6, 0, v6, vcc_lo
	v_add_nc_u32_e32 v5, v5, v6
	ds_store_b32 v98, v5
.LBB1155_984:                           ;   in Loop: Header=BB1155_17 Depth=1
	s_or_b32 exec_lo, exec_lo, s11
	v_mov_b32_e32 v5, 0
	s_waitcnt lgkmcnt(0)
	s_barrier
	buffer_gl0_inv
	s_and_saveexec_b32 s11, s5
	s_cbranch_execz .LBB1155_986
; %bb.985:                              ;   in Loop: Header=BB1155_17 Depth=1
	ds_load_b32 v5, v99
.LBB1155_986:                           ;   in Loop: Header=BB1155_17 Depth=1
	s_or_b32 exec_lo, exec_lo, s11
	v_add_nc_u32_e32 v6, -1, v136
	s_waitcnt lgkmcnt(0)
	v_add_nc_u32_e32 v4, v5, v4
	v_cmp_eq_u32_e64 s11, 0, v136
	s_barrier
	v_cmp_gt_i32_e32 vcc_lo, 0, v6
	buffer_gl0_inv
	v_cndmask_b32_e32 v6, v6, v136, vcc_lo
	s_delay_alu instid0(VALU_DEP_1)
	v_lshlrev_b32_e32 v137, 2, v6
	ds_bpermute_b32 v4, v137, v4
	s_and_saveexec_b32 s12, s2
	s_cbranch_execz .LBB1155_988
; %bb.987:                              ;   in Loop: Header=BB1155_17 Depth=1
	s_waitcnt lgkmcnt(0)
	v_cndmask_b32_e64 v4, v4, v5, s11
	s_delay_alu instid0(VALU_DEP_1)
	v_add_nc_u32_e32 v4, s60, v4
	ds_store_b32 v76, v4
.LBB1155_988:                           ;   in Loop: Header=BB1155_17 Depth=1
	s_or_b32 exec_lo, exec_lo, s12
	s_load_b64 s[12:13], s[36:37], 0x0
	v_lshlrev_b32_e32 v7, 3, v136
	v_or_b32_e32 v138, v136, v100
	s_mov_b32 s43, s62
	s_mov_b32 s38, s60
                                        ; implicit-def: $vgpr8_vgpr9
                                        ; implicit-def: $vgpr10_vgpr11
                                        ; implicit-def: $vgpr12_vgpr13
                                        ; implicit-def: $vgpr14_vgpr15
                                        ; implicit-def: $vgpr16_vgpr17
                                        ; implicit-def: $vgpr18_vgpr19
                                        ; implicit-def: $vgpr20_vgpr21
                                        ; implicit-def: $vgpr22_vgpr23
                                        ; implicit-def: $vgpr24_vgpr25
                                        ; implicit-def: $vgpr26_vgpr27
                                        ; implicit-def: $vgpr28_vgpr29
                                        ; implicit-def: $vgpr30_vgpr31
                                        ; implicit-def: $vgpr32_vgpr33
                                        ; implicit-def: $vgpr34_vgpr35
                                        ; implicit-def: $vgpr161
                                        ; implicit-def: $vgpr162
                                        ; implicit-def: $vgpr163
                                        ; implicit-def: $vgpr164
                                        ; implicit-def: $vgpr165
                                        ; implicit-def: $vgpr166
                                        ; implicit-def: $vgpr167
                                        ; implicit-def: $vgpr168
                                        ; implicit-def: $vgpr169
                                        ; implicit-def: $vgpr170
                                        ; implicit-def: $vgpr171
                                        ; implicit-def: $vgpr172
                                        ; implicit-def: $vgpr173
                                        ; implicit-def: $vgpr174
                                        ; implicit-def: $vgpr175
                                        ; implicit-def: $vgpr176
	s_delay_alu instid0(VALU_DEP_2) | instskip(SKIP_4) | instid1(VALU_DEP_3)
	v_add_co_u32 v139, vcc_lo, v119, v7
	v_add_co_ci_u32_e32 v140, vcc_lo, 0, v120, vcc_lo
	v_add_co_u32 v156, vcc_lo, v121, v7
	v_add_co_ci_u32_e32 v157, vcc_lo, 0, v122, vcc_lo
	v_or_b32_e32 v141, 32, v138
	v_add_co_u32 v159, vcc_lo, 0xf00, v156
	v_or_b32_e32 v142, 64, v138
	v_or_b32_e32 v143, 0x60, v138
	;; [unrolled: 1-line block ×3, first 2 shown]
	s_waitcnt lgkmcnt(0)
	s_cmp_lt_u32 s15, s13
	v_or_b32_e32 v145, 0xa0, v138
	s_cselect_b32 s13, 14, 20
	v_or_b32_e32 v146, 0xc0, v138
	s_add_u32 s16, s36, s13
	s_addc_u32 s17, s37, 0
	s_cmp_lt_u32 s14, s12
	global_load_u16 v4, v3, s[16:17]
	s_cselect_b32 s12, 12, 18
	v_or_b32_e32 v147, 0xe0, v138
	s_add_u32 s12, s36, s12
	s_addc_u32 s13, s37, 0
	v_or_b32_e32 v148, 0x100, v138
	global_load_u16 v6, v3, s[12:13]
	v_cmp_eq_u32_e64 s12, 0, v2
	v_cmp_lt_u32_e64 s13, 1, v2
	v_cmp_lt_u32_e64 s16, 3, v2
	v_or_b32_e32 v149, 0x120, v138
	v_or_b32_e32 v150, 0x140, v138
	;; [unrolled: 1-line block ×7, first 2 shown]
	v_add_co_ci_u32_e32 v160, vcc_lo, 0, v157, vcc_lo
	s_waitcnt vmcnt(1)
	v_mad_u32_u24 v2, v101, v4, v0
	s_waitcnt vmcnt(0)
	s_delay_alu instid0(VALU_DEP_1) | instskip(NEXT) | instid1(VALU_DEP_1)
	v_mad_u64_u32 v[4:5], null, v2, v6, v[1:2]
                                        ; implicit-def: $vgpr6_vgpr7
	v_lshrrev_b32_e32 v158, 5, v4
                                        ; implicit-def: $vgpr4_vgpr5
	s_branch .LBB1155_990
.LBB1155_989:                           ;   in Loop: Header=BB1155_990 Depth=2
	s_or_b32 exec_lo, exec_lo, s17
	s_addk_i32 s43, 0xf000
	s_cmp_lt_u32 s50, s61
	s_mov_b32 s38, s50
	s_cbranch_scc0 .LBB1155_15
.LBB1155_990:                           ;   Parent Loop BB1155_17 Depth=1
                                        ; =>  This Inner Loop Header: Depth=2
	s_add_i32 s50, s38, 0x1000
	s_delay_alu instid0(SALU_CYCLE_1)
	s_cmp_gt_u32 s50, s61
	s_cbranch_scc1 .LBB1155_993
; %bb.991:                              ;   in Loop: Header=BB1155_990 Depth=2
	s_mov_b32 s39, 0
	s_mov_b32 s20, -1
	s_lshl_b64 s[18:19], s[38:39], 3
	s_movk_i32 s17, 0x1000
	v_add_co_u32 v40, vcc_lo, v156, s18
	v_add_co_ci_u32_e32 v41, vcc_lo, s19, v157, vcc_lo
	s_clause 0xe
	global_load_b64 v[36:37], v[40:41], off
	global_load_b64 v[38:39], v[40:41], off offset:256
	global_load_b64 v[44:45], v[40:41], off offset:512
	;; [unrolled: 1-line block ×14, first 2 shown]
	s_cbranch_execz .LBB1155_994
; %bb.992:                              ;   in Loop: Header=BB1155_990 Depth=2
                                        ; implicit-def: $sgpr18_sgpr19
	s_branch .LBB1155_1025
.LBB1155_993:                           ;   in Loop: Header=BB1155_990 Depth=2
	s_mov_b32 s39, -1
	s_mov_b32 s20, 0
                                        ; implicit-def: $sgpr17
                                        ; implicit-def: $vgpr36_vgpr37
                                        ; implicit-def: $vgpr38_vgpr39
                                        ; implicit-def: $vgpr44_vgpr45
                                        ; implicit-def: $vgpr48_vgpr49
                                        ; implicit-def: $vgpr54_vgpr55
                                        ; implicit-def: $vgpr58_vgpr59
                                        ; implicit-def: $vgpr62_vgpr63
                                        ; implicit-def: $vgpr66_vgpr67
                                        ; implicit-def: $vgpr64_vgpr65
                                        ; implicit-def: $vgpr60_vgpr61
                                        ; implicit-def: $vgpr56_vgpr57
                                        ; implicit-def: $vgpr52_vgpr53
                                        ; implicit-def: $vgpr50_vgpr51
                                        ; implicit-def: $vgpr46_vgpr47
                                        ; implicit-def: $vgpr40_vgpr41
.LBB1155_994:                           ;   in Loop: Header=BB1155_990 Depth=2
	s_mov_b32 s39, s34
	s_waitcnt vmcnt(13)
	v_mov_b32_e32 v38, -1
	v_mov_b32_e32 v39, -1
	s_lshl_b64 s[18:19], s[38:39], 3
	s_delay_alu instid0(VALU_DEP_2) | instskip(SKIP_1) | instid1(VALU_DEP_3)
	v_mov_b32_e32 v36, v38
	v_add_co_u32 v42, vcc_lo, v156, s18
	v_mov_b32_e32 v37, v39
	v_add_co_ci_u32_e32 v43, vcc_lo, s19, v157, vcc_lo
	s_mov_b32 s17, exec_lo
	v_cmpx_gt_u32_e64 s43, v138
	s_cbranch_execz .LBB1155_996
; %bb.995:                              ;   in Loop: Header=BB1155_990 Depth=2
	global_load_b64 v[36:37], v[42:43], off
.LBB1155_996:                           ;   in Loop: Header=BB1155_990 Depth=2
	s_or_b32 exec_lo, exec_lo, s17
	s_delay_alu instid0(SALU_CYCLE_1)
	s_mov_b32 s17, exec_lo
	v_cmpx_gt_u32_e64 s43, v141
	s_cbranch_execz .LBB1155_998
; %bb.997:                              ;   in Loop: Header=BB1155_990 Depth=2
	global_load_b64 v[38:39], v[42:43], off offset:256
.LBB1155_998:                           ;   in Loop: Header=BB1155_990 Depth=2
	s_or_b32 exec_lo, exec_lo, s17
	s_waitcnt vmcnt(11)
	v_mov_b32_e32 v48, -1
	v_mov_b32_e32 v49, -1
	s_delay_alu instid0(VALU_DEP_2) | instskip(SKIP_1) | instid1(VALU_DEP_2)
	v_mov_b32_e32 v44, v48
	s_mov_b32 s17, exec_lo
	v_mov_b32_e32 v45, v49
	v_cmpx_gt_u32_e64 s43, v142
	s_cbranch_execz .LBB1155_1000
; %bb.999:                              ;   in Loop: Header=BB1155_990 Depth=2
	global_load_b64 v[44:45], v[42:43], off offset:512
.LBB1155_1000:                          ;   in Loop: Header=BB1155_990 Depth=2
	s_or_b32 exec_lo, exec_lo, s17
	s_delay_alu instid0(SALU_CYCLE_1)
	s_mov_b32 s17, exec_lo
	v_cmpx_gt_u32_e64 s43, v143
	s_cbranch_execz .LBB1155_1002
; %bb.1001:                             ;   in Loop: Header=BB1155_990 Depth=2
	global_load_b64 v[48:49], v[42:43], off offset:768
.LBB1155_1002:                          ;   in Loop: Header=BB1155_990 Depth=2
	s_or_b32 exec_lo, exec_lo, s17
	s_waitcnt vmcnt(9)
	v_mov_b32_e32 v58, -1
	v_mov_b32_e32 v59, -1
	s_delay_alu instid0(VALU_DEP_2) | instskip(SKIP_1) | instid1(VALU_DEP_2)
	v_mov_b32_e32 v54, v58
	s_mov_b32 s17, exec_lo
	v_mov_b32_e32 v55, v59
	v_cmpx_gt_u32_e64 s43, v144
	s_cbranch_execz .LBB1155_1004
; %bb.1003:                             ;   in Loop: Header=BB1155_990 Depth=2
	global_load_b64 v[54:55], v[42:43], off offset:1024
.LBB1155_1004:                          ;   in Loop: Header=BB1155_990 Depth=2
	s_or_b32 exec_lo, exec_lo, s17
	s_delay_alu instid0(SALU_CYCLE_1)
	s_mov_b32 s17, exec_lo
	v_cmpx_gt_u32_e64 s43, v145
	s_cbranch_execz .LBB1155_1006
; %bb.1005:                             ;   in Loop: Header=BB1155_990 Depth=2
	global_load_b64 v[58:59], v[42:43], off offset:1280
.LBB1155_1006:                          ;   in Loop: Header=BB1155_990 Depth=2
	s_or_b32 exec_lo, exec_lo, s17
	s_waitcnt vmcnt(7)
	v_mov_b32_e32 v66, -1
	v_mov_b32_e32 v67, -1
	s_delay_alu instid0(VALU_DEP_2) | instskip(SKIP_1) | instid1(VALU_DEP_2)
	v_mov_b32_e32 v62, v66
	s_mov_b32 s17, exec_lo
	v_mov_b32_e32 v63, v67
	v_cmpx_gt_u32_e64 s43, v146
	s_cbranch_execz .LBB1155_1008
; %bb.1007:                             ;   in Loop: Header=BB1155_990 Depth=2
	global_load_b64 v[62:63], v[42:43], off offset:1536
.LBB1155_1008:                          ;   in Loop: Header=BB1155_990 Depth=2
	s_or_b32 exec_lo, exec_lo, s17
	s_delay_alu instid0(SALU_CYCLE_1)
	s_mov_b32 s17, exec_lo
	v_cmpx_gt_u32_e64 s43, v147
	s_cbranch_execz .LBB1155_1010
; %bb.1009:                             ;   in Loop: Header=BB1155_990 Depth=2
	global_load_b64 v[66:67], v[42:43], off offset:1792
.LBB1155_1010:                          ;   in Loop: Header=BB1155_990 Depth=2
	s_or_b32 exec_lo, exec_lo, s17
	s_waitcnt vmcnt(5)
	v_mov_b32_e32 v60, -1
	v_mov_b32_e32 v61, -1
	s_mov_b32 s17, exec_lo
	s_delay_alu instid0(VALU_DEP_1)
	v_dual_mov_b32 v65, v61 :: v_dual_mov_b32 v64, v60
	v_cmpx_gt_u32_e64 s43, v148
	s_cbranch_execz .LBB1155_1012
; %bb.1011:                             ;   in Loop: Header=BB1155_990 Depth=2
	global_load_b64 v[64:65], v[42:43], off offset:2048
.LBB1155_1012:                          ;   in Loop: Header=BB1155_990 Depth=2
	s_or_b32 exec_lo, exec_lo, s17
	s_delay_alu instid0(SALU_CYCLE_1)
	s_mov_b32 s17, exec_lo
	v_cmpx_gt_u32_e64 s43, v149
	s_cbranch_execz .LBB1155_1014
; %bb.1013:                             ;   in Loop: Header=BB1155_990 Depth=2
	global_load_b64 v[60:61], v[42:43], off offset:2304
.LBB1155_1014:                          ;   in Loop: Header=BB1155_990 Depth=2
	s_or_b32 exec_lo, exec_lo, s17
	s_waitcnt vmcnt(3)
	v_mov_b32_e32 v52, -1
	v_mov_b32_e32 v53, -1
	s_mov_b32 s17, exec_lo
	s_delay_alu instid0(VALU_DEP_1)
	v_dual_mov_b32 v57, v53 :: v_dual_mov_b32 v56, v52
	;; [unrolled: 20-line block ×3, first 2 shown]
	v_cmpx_gt_u32_e64 s43, v152
	s_cbranch_execz .LBB1155_1020
; %bb.1019:                             ;   in Loop: Header=BB1155_990 Depth=2
	global_load_b64 v[50:51], v[42:43], off offset:3072
.LBB1155_1020:                          ;   in Loop: Header=BB1155_990 Depth=2
	s_or_b32 exec_lo, exec_lo, s17
	s_delay_alu instid0(SALU_CYCLE_1)
	s_mov_b32 s17, exec_lo
	v_cmpx_gt_u32_e64 s43, v153
	s_cbranch_execz .LBB1155_1022
; %bb.1021:                             ;   in Loop: Header=BB1155_990 Depth=2
	global_load_b64 v[46:47], v[42:43], off offset:3328
.LBB1155_1022:                          ;   in Loop: Header=BB1155_990 Depth=2
	s_or_b32 exec_lo, exec_lo, s17
	s_waitcnt vmcnt(0)
	v_mov_b32_e32 v40, -1
	v_mov_b32_e32 v41, -1
	s_mov_b32 s17, exec_lo
	v_cmpx_gt_u32_e64 s43, v154
	s_cbranch_execz .LBB1155_1024
; %bb.1023:                             ;   in Loop: Header=BB1155_990 Depth=2
	global_load_b64 v[40:41], v[42:43], off offset:3584
.LBB1155_1024:                          ;   in Loop: Header=BB1155_990 Depth=2
	s_or_b32 exec_lo, exec_lo, s17
	v_cmp_gt_u32_e64 s20, s43, v155
	s_sub_i32 s17, s61, s38
	s_mov_b64 s[18:19], -1
.LBB1155_1025:                          ;   in Loop: Header=BB1155_990 Depth=2
	s_delay_alu instid0(SALU_CYCLE_1)
	v_dual_mov_b32 v43, s19 :: v_dual_mov_b32 v42, s18
	v_mov_b32_e32 v177, s43
	s_and_saveexec_b32 s18, s20
	s_cbranch_execz .LBB1155_1027
; %bb.1026:                             ;   in Loop: Header=BB1155_990 Depth=2
	s_lshl_b64 s[20:21], s[38:39], 3
	v_mov_b32_e32 v177, s17
	v_add_co_u32 v42, vcc_lo, v159, s20
	v_add_co_ci_u32_e32 v43, vcc_lo, s21, v160, vcc_lo
	global_load_b64 v[42:43], v[42:43], off
.LBB1155_1027:                          ;   in Loop: Header=BB1155_990 Depth=2
	s_or_b32 exec_lo, exec_lo, s18
	s_waitcnt vmcnt(14)
	v_cmp_gt_i64_e32 vcc_lo, 0, v[36:37]
	v_ashrrev_i32_e32 v2, 31, v37
	ds_store_b32 v102, v3 offset:1056
	ds_store_2addr_b32 v103, v3, v3 offset0:1 offset1:2
	ds_store_2addr_b32 v103, v3, v3 offset0:3 offset1:4
	;; [unrolled: 1-line block ×4, first 2 shown]
	s_waitcnt vmcnt(0) lgkmcnt(0)
	s_barrier
	v_cndmask_b32_e64 v68, 0x7fffffff, 0, vcc_lo
	v_not_b32_e32 v2, v2
	buffer_gl0_inv
	; wave barrier
	v_xor_b32_e32 v37, v68, v37
	v_xor_b32_e32 v36, v2, v36
	s_delay_alu instid0(VALU_DEP_1) | instskip(SKIP_2) | instid1(VALU_DEP_1)
	v_cmp_ne_u64_e32 vcc_lo, s[34:35], v[36:37]
	v_cndmask_b32_e32 v69, 0x7fffffff, v37, vcc_lo
	v_cndmask_b32_e32 v68, -1, v36, vcc_lo
	v_lshrrev_b64 v[68:69], s40, v[68:69]
	s_delay_alu instid0(VALU_DEP_1) | instskip(NEXT) | instid1(VALU_DEP_1)
	v_and_b32_e32 v69, s42, v68
	v_lshlrev_b32_e32 v71, 28, v69
	v_and_b32_e32 v2, 1, v69
	v_lshlrev_b32_e32 v68, 30, v69
	v_lshlrev_b32_e32 v70, 29, v69
	;; [unrolled: 1-line block ×4, first 2 shown]
	v_add_co_u32 v2, s17, v2, -1
	s_delay_alu instid0(VALU_DEP_1)
	v_cndmask_b32_e64 v72, 0, 1, s17
	v_not_b32_e32 v178, v68
	v_cmp_gt_i32_e64 s17, 0, v68
	v_not_b32_e32 v68, v70
	v_lshlrev_b32_e32 v75, 25, v69
	v_cmp_ne_u32_e32 vcc_lo, 0, v72
	v_ashrrev_i32_e32 v178, 31, v178
	v_lshlrev_b32_e32 v72, 24, v69
	v_ashrrev_i32_e32 v68, 31, v68
	v_mad_u32_u24 v69, v69, 9, v158
	v_xor_b32_e32 v2, vcc_lo, v2
	v_cmp_gt_i32_e32 vcc_lo, 0, v70
	v_not_b32_e32 v70, v71
	v_xor_b32_e32 v178, s17, v178
	v_cmp_gt_i32_e64 s17, 0, v71
	v_and_b32_e32 v2, exec_lo, v2
	v_not_b32_e32 v71, v73
	v_ashrrev_i32_e32 v70, 31, v70
	v_xor_b32_e32 v68, vcc_lo, v68
	v_cmp_gt_i32_e32 vcc_lo, 0, v73
	v_and_b32_e32 v2, v2, v178
	v_not_b32_e32 v73, v74
	v_ashrrev_i32_e32 v71, 31, v71
	v_xor_b32_e32 v70, s17, v70
	v_cmp_gt_i32_e64 s17, 0, v74
	v_and_b32_e32 v2, v2, v68
	v_not_b32_e32 v68, v75
	v_ashrrev_i32_e32 v73, 31, v73
	v_xor_b32_e32 v71, vcc_lo, v71
	v_cmp_gt_i32_e32 vcc_lo, 0, v75
	v_and_b32_e32 v2, v2, v70
	v_not_b32_e32 v70, v72
	v_ashrrev_i32_e32 v68, 31, v68
	v_xor_b32_e32 v73, s17, v73
	v_cmp_gt_i32_e64 s17, 0, v72
	v_and_b32_e32 v2, v2, v71
	v_ashrrev_i32_e32 v70, 31, v70
	v_xor_b32_e32 v68, vcc_lo, v68
	v_lshl_add_u32 v178, v69, 2, 0x420
	s_delay_alu instid0(VALU_DEP_4) | instskip(NEXT) | instid1(VALU_DEP_4)
	v_and_b32_e32 v2, v2, v73
	v_xor_b32_e32 v70, s17, v70
	s_delay_alu instid0(VALU_DEP_2) | instskip(NEXT) | instid1(VALU_DEP_1)
	v_and_b32_e32 v2, v2, v68
	v_and_b32_e32 v68, v2, v70
	s_delay_alu instid0(VALU_DEP_1) | instskip(SKIP_1) | instid1(VALU_DEP_2)
	v_mbcnt_lo_u32_b32 v2, v68, 0
	v_cmp_ne_u32_e64 s17, 0, v68
	v_cmp_eq_u32_e32 vcc_lo, 0, v2
	s_delay_alu instid0(VALU_DEP_2) | instskip(NEXT) | instid1(SALU_CYCLE_1)
	s_and_b32 s18, s17, vcc_lo
	s_and_saveexec_b32 s17, s18
	s_cbranch_execz .LBB1155_1029
; %bb.1028:                             ;   in Loop: Header=BB1155_990 Depth=2
	v_bcnt_u32_b32 v68, v68, 0
	ds_store_b32 v178, v68
.LBB1155_1029:                          ;   in Loop: Header=BB1155_990 Depth=2
	s_or_b32 exec_lo, exec_lo, s17
	v_cmp_gt_i64_e32 vcc_lo, 0, v[38:39]
	v_ashrrev_i32_e32 v68, 31, v39
	; wave barrier
	s_delay_alu instid0(VALU_DEP_1) | instskip(SKIP_1) | instid1(VALU_DEP_2)
	v_not_b32_e32 v68, v68
	v_cndmask_b32_e64 v69, 0x7fffffff, 0, vcc_lo
	v_xor_b32_e32 v38, v68, v38
	s_delay_alu instid0(VALU_DEP_2) | instskip(NEXT) | instid1(VALU_DEP_1)
	v_xor_b32_e32 v39, v69, v39
	v_cmp_ne_u64_e32 vcc_lo, s[34:35], v[38:39]
	v_cndmask_b32_e32 v69, 0x7fffffff, v39, vcc_lo
	v_cndmask_b32_e32 v68, -1, v38, vcc_lo
	s_delay_alu instid0(VALU_DEP_1) | instskip(NEXT) | instid1(VALU_DEP_1)
	v_lshrrev_b64 v[68:69], s40, v[68:69]
	v_and_b32_e32 v68, s42, v68
	s_delay_alu instid0(VALU_DEP_1)
	v_and_b32_e32 v69, 1, v68
	v_lshlrev_b32_e32 v70, 30, v68
	v_lshlrev_b32_e32 v71, 29, v68
	v_lshlrev_b32_e32 v72, 28, v68
	v_lshlrev_b32_e32 v74, 27, v68
	v_add_co_u32 v69, s17, v69, -1
	s_delay_alu instid0(VALU_DEP_1)
	v_cndmask_b32_e64 v73, 0, 1, s17
	v_not_b32_e32 v180, v70
	v_cmp_gt_i32_e64 s17, 0, v70
	v_not_b32_e32 v70, v71
	v_lshlrev_b32_e32 v75, 26, v68
	v_cmp_ne_u32_e32 vcc_lo, 0, v73
	v_ashrrev_i32_e32 v180, 31, v180
	v_lshlrev_b32_e32 v179, 25, v68
	v_ashrrev_i32_e32 v70, 31, v70
	v_lshlrev_b32_e32 v73, 24, v68
	v_xor_b32_e32 v69, vcc_lo, v69
	v_cmp_gt_i32_e32 vcc_lo, 0, v71
	v_not_b32_e32 v71, v72
	v_xor_b32_e32 v180, s17, v180
	v_cmp_gt_i32_e64 s17, 0, v72
	v_and_b32_e32 v69, exec_lo, v69
	v_not_b32_e32 v72, v74
	v_ashrrev_i32_e32 v71, 31, v71
	v_xor_b32_e32 v70, vcc_lo, v70
	v_cmp_gt_i32_e32 vcc_lo, 0, v74
	v_and_b32_e32 v69, v69, v180
	v_not_b32_e32 v74, v75
	v_ashrrev_i32_e32 v72, 31, v72
	v_xor_b32_e32 v71, s17, v71
	v_cmp_gt_i32_e64 s17, 0, v75
	v_and_b32_e32 v69, v69, v70
	v_not_b32_e32 v70, v179
	v_ashrrev_i32_e32 v74, 31, v74
	v_xor_b32_e32 v72, vcc_lo, v72
	v_cmp_gt_i32_e32 vcc_lo, 0, v179
	v_and_b32_e32 v69, v69, v71
	v_not_b32_e32 v71, v73
	v_ashrrev_i32_e32 v70, 31, v70
	v_xor_b32_e32 v74, s17, v74
	v_mul_u32_u24_e32 v68, 9, v68
	v_and_b32_e32 v69, v69, v72
	v_cmp_gt_i32_e64 s17, 0, v73
	v_ashrrev_i32_e32 v71, 31, v71
	v_xor_b32_e32 v70, vcc_lo, v70
	v_add_lshl_u32 v72, v68, v158, 2
	v_and_b32_e32 v69, v69, v74
	s_delay_alu instid0(VALU_DEP_4) | instskip(SKIP_3) | instid1(VALU_DEP_2)
	v_xor_b32_e32 v68, s17, v71
	ds_load_b32 v179, v72 offset:1056
	v_and_b32_e32 v69, v69, v70
	v_add_nc_u32_e32 v181, 0x420, v72
	; wave barrier
	v_and_b32_e32 v68, v69, v68
	s_delay_alu instid0(VALU_DEP_1) | instskip(SKIP_1) | instid1(VALU_DEP_2)
	v_mbcnt_lo_u32_b32 v180, v68, 0
	v_cmp_ne_u32_e64 s17, 0, v68
	v_cmp_eq_u32_e32 vcc_lo, 0, v180
	s_delay_alu instid0(VALU_DEP_2) | instskip(NEXT) | instid1(SALU_CYCLE_1)
	s_and_b32 s18, s17, vcc_lo
	s_and_saveexec_b32 s17, s18
	s_cbranch_execz .LBB1155_1031
; %bb.1030:                             ;   in Loop: Header=BB1155_990 Depth=2
	s_waitcnt lgkmcnt(0)
	v_bcnt_u32_b32 v68, v68, v179
	ds_store_b32 v181, v68
.LBB1155_1031:                          ;   in Loop: Header=BB1155_990 Depth=2
	s_or_b32 exec_lo, exec_lo, s17
	v_cmp_gt_i64_e32 vcc_lo, 0, v[44:45]
	v_ashrrev_i32_e32 v68, 31, v45
	; wave barrier
	s_delay_alu instid0(VALU_DEP_1) | instskip(SKIP_1) | instid1(VALU_DEP_2)
	v_not_b32_e32 v68, v68
	v_cndmask_b32_e64 v69, 0x7fffffff, 0, vcc_lo
	v_xor_b32_e32 v44, v68, v44
	s_delay_alu instid0(VALU_DEP_2) | instskip(NEXT) | instid1(VALU_DEP_1)
	v_xor_b32_e32 v45, v69, v45
	v_cmp_ne_u64_e32 vcc_lo, s[34:35], v[44:45]
	v_cndmask_b32_e32 v69, 0x7fffffff, v45, vcc_lo
	v_cndmask_b32_e32 v68, -1, v44, vcc_lo
	s_delay_alu instid0(VALU_DEP_1) | instskip(NEXT) | instid1(VALU_DEP_1)
	v_lshrrev_b64 v[68:69], s40, v[68:69]
	v_and_b32_e32 v68, s42, v68
	s_delay_alu instid0(VALU_DEP_1)
	v_and_b32_e32 v69, 1, v68
	v_lshlrev_b32_e32 v70, 30, v68
	v_lshlrev_b32_e32 v71, 29, v68
	;; [unrolled: 1-line block ×4, first 2 shown]
	v_add_co_u32 v69, s17, v69, -1
	s_delay_alu instid0(VALU_DEP_1)
	v_cndmask_b32_e64 v73, 0, 1, s17
	v_not_b32_e32 v183, v70
	v_cmp_gt_i32_e64 s17, 0, v70
	v_not_b32_e32 v70, v71
	v_lshlrev_b32_e32 v75, 26, v68
	v_cmp_ne_u32_e32 vcc_lo, 0, v73
	v_ashrrev_i32_e32 v183, 31, v183
	v_lshlrev_b32_e32 v182, 25, v68
	v_ashrrev_i32_e32 v70, 31, v70
	v_lshlrev_b32_e32 v73, 24, v68
	v_xor_b32_e32 v69, vcc_lo, v69
	v_cmp_gt_i32_e32 vcc_lo, 0, v71
	v_not_b32_e32 v71, v72
	v_xor_b32_e32 v183, s17, v183
	v_cmp_gt_i32_e64 s17, 0, v72
	v_and_b32_e32 v69, exec_lo, v69
	v_not_b32_e32 v72, v74
	v_ashrrev_i32_e32 v71, 31, v71
	v_xor_b32_e32 v70, vcc_lo, v70
	v_cmp_gt_i32_e32 vcc_lo, 0, v74
	v_and_b32_e32 v69, v69, v183
	v_not_b32_e32 v74, v75
	v_ashrrev_i32_e32 v72, 31, v72
	v_xor_b32_e32 v71, s17, v71
	v_cmp_gt_i32_e64 s17, 0, v75
	v_and_b32_e32 v69, v69, v70
	v_not_b32_e32 v70, v182
	v_ashrrev_i32_e32 v74, 31, v74
	v_xor_b32_e32 v72, vcc_lo, v72
	v_cmp_gt_i32_e32 vcc_lo, 0, v182
	v_and_b32_e32 v69, v69, v71
	v_not_b32_e32 v71, v73
	v_ashrrev_i32_e32 v70, 31, v70
	v_xor_b32_e32 v74, s17, v74
	v_mul_u32_u24_e32 v68, 9, v68
	v_and_b32_e32 v69, v69, v72
	v_cmp_gt_i32_e64 s17, 0, v73
	v_ashrrev_i32_e32 v71, 31, v71
	v_xor_b32_e32 v70, vcc_lo, v70
	v_add_lshl_u32 v72, v68, v158, 2
	v_and_b32_e32 v69, v69, v74
	s_delay_alu instid0(VALU_DEP_4) | instskip(SKIP_3) | instid1(VALU_DEP_2)
	v_xor_b32_e32 v68, s17, v71
	ds_load_b32 v182, v72 offset:1056
	v_and_b32_e32 v69, v69, v70
	v_add_nc_u32_e32 v184, 0x420, v72
	; wave barrier
	v_and_b32_e32 v68, v69, v68
	s_delay_alu instid0(VALU_DEP_1) | instskip(SKIP_1) | instid1(VALU_DEP_2)
	v_mbcnt_lo_u32_b32 v183, v68, 0
	v_cmp_ne_u32_e64 s17, 0, v68
	v_cmp_eq_u32_e32 vcc_lo, 0, v183
	s_delay_alu instid0(VALU_DEP_2) | instskip(NEXT) | instid1(SALU_CYCLE_1)
	s_and_b32 s18, s17, vcc_lo
	s_and_saveexec_b32 s17, s18
	s_cbranch_execz .LBB1155_1033
; %bb.1032:                             ;   in Loop: Header=BB1155_990 Depth=2
	s_waitcnt lgkmcnt(0)
	v_bcnt_u32_b32 v68, v68, v182
	ds_store_b32 v184, v68
.LBB1155_1033:                          ;   in Loop: Header=BB1155_990 Depth=2
	s_or_b32 exec_lo, exec_lo, s17
	v_cmp_gt_i64_e32 vcc_lo, 0, v[48:49]
	v_ashrrev_i32_e32 v68, 31, v49
	; wave barrier
	s_delay_alu instid0(VALU_DEP_1) | instskip(SKIP_1) | instid1(VALU_DEP_2)
	v_not_b32_e32 v68, v68
	v_cndmask_b32_e64 v69, 0x7fffffff, 0, vcc_lo
	v_xor_b32_e32 v48, v68, v48
	s_delay_alu instid0(VALU_DEP_2) | instskip(NEXT) | instid1(VALU_DEP_1)
	v_xor_b32_e32 v49, v69, v49
	v_cmp_ne_u64_e32 vcc_lo, s[34:35], v[48:49]
	v_cndmask_b32_e32 v69, 0x7fffffff, v49, vcc_lo
	v_cndmask_b32_e32 v68, -1, v48, vcc_lo
	s_delay_alu instid0(VALU_DEP_1) | instskip(NEXT) | instid1(VALU_DEP_1)
	v_lshrrev_b64 v[68:69], s40, v[68:69]
	v_and_b32_e32 v68, s42, v68
	s_delay_alu instid0(VALU_DEP_1)
	v_and_b32_e32 v69, 1, v68
	v_lshlrev_b32_e32 v70, 30, v68
	v_lshlrev_b32_e32 v71, 29, v68
	;; [unrolled: 1-line block ×4, first 2 shown]
	v_add_co_u32 v69, s17, v69, -1
	s_delay_alu instid0(VALU_DEP_1)
	v_cndmask_b32_e64 v73, 0, 1, s17
	v_not_b32_e32 v186, v70
	v_cmp_gt_i32_e64 s17, 0, v70
	v_not_b32_e32 v70, v71
	v_lshlrev_b32_e32 v75, 26, v68
	v_cmp_ne_u32_e32 vcc_lo, 0, v73
	v_ashrrev_i32_e32 v186, 31, v186
	v_lshlrev_b32_e32 v185, 25, v68
	v_ashrrev_i32_e32 v70, 31, v70
	v_lshlrev_b32_e32 v73, 24, v68
	v_xor_b32_e32 v69, vcc_lo, v69
	v_cmp_gt_i32_e32 vcc_lo, 0, v71
	v_not_b32_e32 v71, v72
	v_xor_b32_e32 v186, s17, v186
	v_cmp_gt_i32_e64 s17, 0, v72
	v_and_b32_e32 v69, exec_lo, v69
	v_not_b32_e32 v72, v74
	v_ashrrev_i32_e32 v71, 31, v71
	v_xor_b32_e32 v70, vcc_lo, v70
	v_cmp_gt_i32_e32 vcc_lo, 0, v74
	v_and_b32_e32 v69, v69, v186
	v_not_b32_e32 v74, v75
	v_ashrrev_i32_e32 v72, 31, v72
	v_xor_b32_e32 v71, s17, v71
	v_cmp_gt_i32_e64 s17, 0, v75
	v_and_b32_e32 v69, v69, v70
	v_not_b32_e32 v70, v185
	v_ashrrev_i32_e32 v74, 31, v74
	v_xor_b32_e32 v72, vcc_lo, v72
	v_cmp_gt_i32_e32 vcc_lo, 0, v185
	v_and_b32_e32 v69, v69, v71
	v_not_b32_e32 v71, v73
	v_ashrrev_i32_e32 v70, 31, v70
	v_xor_b32_e32 v74, s17, v74
	v_mul_u32_u24_e32 v68, 9, v68
	v_and_b32_e32 v69, v69, v72
	v_cmp_gt_i32_e64 s17, 0, v73
	v_ashrrev_i32_e32 v71, 31, v71
	v_xor_b32_e32 v70, vcc_lo, v70
	v_add_lshl_u32 v72, v68, v158, 2
	v_and_b32_e32 v69, v69, v74
	s_delay_alu instid0(VALU_DEP_4) | instskip(SKIP_3) | instid1(VALU_DEP_2)
	v_xor_b32_e32 v68, s17, v71
	ds_load_b32 v185, v72 offset:1056
	v_and_b32_e32 v69, v69, v70
	v_add_nc_u32_e32 v187, 0x420, v72
	; wave barrier
	v_and_b32_e32 v68, v69, v68
	s_delay_alu instid0(VALU_DEP_1) | instskip(SKIP_1) | instid1(VALU_DEP_2)
	v_mbcnt_lo_u32_b32 v186, v68, 0
	v_cmp_ne_u32_e64 s17, 0, v68
	v_cmp_eq_u32_e32 vcc_lo, 0, v186
	s_delay_alu instid0(VALU_DEP_2) | instskip(NEXT) | instid1(SALU_CYCLE_1)
	s_and_b32 s18, s17, vcc_lo
	s_and_saveexec_b32 s17, s18
	s_cbranch_execz .LBB1155_1035
; %bb.1034:                             ;   in Loop: Header=BB1155_990 Depth=2
	s_waitcnt lgkmcnt(0)
	v_bcnt_u32_b32 v68, v68, v185
	ds_store_b32 v187, v68
.LBB1155_1035:                          ;   in Loop: Header=BB1155_990 Depth=2
	s_or_b32 exec_lo, exec_lo, s17
	v_cmp_gt_i64_e32 vcc_lo, 0, v[54:55]
	v_ashrrev_i32_e32 v68, 31, v55
	; wave barrier
	s_delay_alu instid0(VALU_DEP_1) | instskip(SKIP_1) | instid1(VALU_DEP_2)
	v_not_b32_e32 v68, v68
	v_cndmask_b32_e64 v69, 0x7fffffff, 0, vcc_lo
	v_xor_b32_e32 v54, v68, v54
	s_delay_alu instid0(VALU_DEP_2) | instskip(NEXT) | instid1(VALU_DEP_1)
	v_xor_b32_e32 v55, v69, v55
	v_cmp_ne_u64_e32 vcc_lo, s[34:35], v[54:55]
	v_cndmask_b32_e32 v69, 0x7fffffff, v55, vcc_lo
	v_cndmask_b32_e32 v68, -1, v54, vcc_lo
	s_delay_alu instid0(VALU_DEP_1) | instskip(NEXT) | instid1(VALU_DEP_1)
	v_lshrrev_b64 v[68:69], s40, v[68:69]
	v_and_b32_e32 v68, s42, v68
	s_delay_alu instid0(VALU_DEP_1)
	v_and_b32_e32 v69, 1, v68
	v_lshlrev_b32_e32 v70, 30, v68
	v_lshlrev_b32_e32 v71, 29, v68
	;; [unrolled: 1-line block ×4, first 2 shown]
	v_add_co_u32 v69, s17, v69, -1
	s_delay_alu instid0(VALU_DEP_1)
	v_cndmask_b32_e64 v73, 0, 1, s17
	v_not_b32_e32 v189, v70
	v_cmp_gt_i32_e64 s17, 0, v70
	v_not_b32_e32 v70, v71
	v_lshlrev_b32_e32 v75, 26, v68
	v_cmp_ne_u32_e32 vcc_lo, 0, v73
	v_ashrrev_i32_e32 v189, 31, v189
	v_lshlrev_b32_e32 v188, 25, v68
	v_ashrrev_i32_e32 v70, 31, v70
	v_lshlrev_b32_e32 v73, 24, v68
	v_xor_b32_e32 v69, vcc_lo, v69
	v_cmp_gt_i32_e32 vcc_lo, 0, v71
	v_not_b32_e32 v71, v72
	v_xor_b32_e32 v189, s17, v189
	v_cmp_gt_i32_e64 s17, 0, v72
	v_and_b32_e32 v69, exec_lo, v69
	v_not_b32_e32 v72, v74
	v_ashrrev_i32_e32 v71, 31, v71
	v_xor_b32_e32 v70, vcc_lo, v70
	v_cmp_gt_i32_e32 vcc_lo, 0, v74
	v_and_b32_e32 v69, v69, v189
	v_not_b32_e32 v74, v75
	v_ashrrev_i32_e32 v72, 31, v72
	v_xor_b32_e32 v71, s17, v71
	v_cmp_gt_i32_e64 s17, 0, v75
	v_and_b32_e32 v69, v69, v70
	v_not_b32_e32 v70, v188
	v_ashrrev_i32_e32 v74, 31, v74
	v_xor_b32_e32 v72, vcc_lo, v72
	v_cmp_gt_i32_e32 vcc_lo, 0, v188
	v_and_b32_e32 v69, v69, v71
	v_not_b32_e32 v71, v73
	v_ashrrev_i32_e32 v70, 31, v70
	v_xor_b32_e32 v74, s17, v74
	v_mul_u32_u24_e32 v68, 9, v68
	v_and_b32_e32 v69, v69, v72
	v_cmp_gt_i32_e64 s17, 0, v73
	v_ashrrev_i32_e32 v71, 31, v71
	v_xor_b32_e32 v70, vcc_lo, v70
	v_add_lshl_u32 v72, v68, v158, 2
	v_and_b32_e32 v69, v69, v74
	s_delay_alu instid0(VALU_DEP_4) | instskip(SKIP_3) | instid1(VALU_DEP_2)
	v_xor_b32_e32 v68, s17, v71
	ds_load_b32 v188, v72 offset:1056
	v_and_b32_e32 v69, v69, v70
	v_add_nc_u32_e32 v190, 0x420, v72
	; wave barrier
	v_and_b32_e32 v68, v69, v68
	s_delay_alu instid0(VALU_DEP_1) | instskip(SKIP_1) | instid1(VALU_DEP_2)
	v_mbcnt_lo_u32_b32 v189, v68, 0
	v_cmp_ne_u32_e64 s17, 0, v68
	v_cmp_eq_u32_e32 vcc_lo, 0, v189
	s_delay_alu instid0(VALU_DEP_2) | instskip(NEXT) | instid1(SALU_CYCLE_1)
	s_and_b32 s18, s17, vcc_lo
	s_and_saveexec_b32 s17, s18
	s_cbranch_execz .LBB1155_1037
; %bb.1036:                             ;   in Loop: Header=BB1155_990 Depth=2
	s_waitcnt lgkmcnt(0)
	v_bcnt_u32_b32 v68, v68, v188
	ds_store_b32 v190, v68
.LBB1155_1037:                          ;   in Loop: Header=BB1155_990 Depth=2
	s_or_b32 exec_lo, exec_lo, s17
	v_cmp_gt_i64_e32 vcc_lo, 0, v[58:59]
	v_ashrrev_i32_e32 v68, 31, v59
	; wave barrier
	s_delay_alu instid0(VALU_DEP_1) | instskip(SKIP_1) | instid1(VALU_DEP_2)
	v_not_b32_e32 v68, v68
	v_cndmask_b32_e64 v69, 0x7fffffff, 0, vcc_lo
	v_xor_b32_e32 v58, v68, v58
	s_delay_alu instid0(VALU_DEP_2) | instskip(NEXT) | instid1(VALU_DEP_1)
	v_xor_b32_e32 v59, v69, v59
	v_cmp_ne_u64_e32 vcc_lo, s[34:35], v[58:59]
	v_cndmask_b32_e32 v69, 0x7fffffff, v59, vcc_lo
	v_cndmask_b32_e32 v68, -1, v58, vcc_lo
	s_delay_alu instid0(VALU_DEP_1) | instskip(NEXT) | instid1(VALU_DEP_1)
	v_lshrrev_b64 v[68:69], s40, v[68:69]
	v_and_b32_e32 v68, s42, v68
	s_delay_alu instid0(VALU_DEP_1)
	v_and_b32_e32 v69, 1, v68
	v_lshlrev_b32_e32 v70, 30, v68
	v_lshlrev_b32_e32 v71, 29, v68
	;; [unrolled: 1-line block ×4, first 2 shown]
	v_add_co_u32 v69, s17, v69, -1
	s_delay_alu instid0(VALU_DEP_1)
	v_cndmask_b32_e64 v73, 0, 1, s17
	v_not_b32_e32 v192, v70
	v_cmp_gt_i32_e64 s17, 0, v70
	v_not_b32_e32 v70, v71
	v_lshlrev_b32_e32 v75, 26, v68
	v_cmp_ne_u32_e32 vcc_lo, 0, v73
	v_ashrrev_i32_e32 v192, 31, v192
	v_lshlrev_b32_e32 v191, 25, v68
	v_ashrrev_i32_e32 v70, 31, v70
	v_lshlrev_b32_e32 v73, 24, v68
	v_xor_b32_e32 v69, vcc_lo, v69
	v_cmp_gt_i32_e32 vcc_lo, 0, v71
	v_not_b32_e32 v71, v72
	v_xor_b32_e32 v192, s17, v192
	v_cmp_gt_i32_e64 s17, 0, v72
	v_and_b32_e32 v69, exec_lo, v69
	v_not_b32_e32 v72, v74
	v_ashrrev_i32_e32 v71, 31, v71
	v_xor_b32_e32 v70, vcc_lo, v70
	v_cmp_gt_i32_e32 vcc_lo, 0, v74
	v_and_b32_e32 v69, v69, v192
	v_not_b32_e32 v74, v75
	v_ashrrev_i32_e32 v72, 31, v72
	v_xor_b32_e32 v71, s17, v71
	v_cmp_gt_i32_e64 s17, 0, v75
	v_and_b32_e32 v69, v69, v70
	v_not_b32_e32 v70, v191
	v_ashrrev_i32_e32 v74, 31, v74
	v_xor_b32_e32 v72, vcc_lo, v72
	v_cmp_gt_i32_e32 vcc_lo, 0, v191
	v_and_b32_e32 v69, v69, v71
	v_not_b32_e32 v71, v73
	v_ashrrev_i32_e32 v70, 31, v70
	v_xor_b32_e32 v74, s17, v74
	v_mul_u32_u24_e32 v68, 9, v68
	v_and_b32_e32 v69, v69, v72
	v_cmp_gt_i32_e64 s17, 0, v73
	v_ashrrev_i32_e32 v71, 31, v71
	v_xor_b32_e32 v70, vcc_lo, v70
	v_add_lshl_u32 v72, v68, v158, 2
	v_and_b32_e32 v69, v69, v74
	s_delay_alu instid0(VALU_DEP_4) | instskip(SKIP_3) | instid1(VALU_DEP_2)
	v_xor_b32_e32 v68, s17, v71
	ds_load_b32 v191, v72 offset:1056
	v_and_b32_e32 v69, v69, v70
	v_add_nc_u32_e32 v193, 0x420, v72
	; wave barrier
	v_and_b32_e32 v68, v69, v68
	s_delay_alu instid0(VALU_DEP_1) | instskip(SKIP_1) | instid1(VALU_DEP_2)
	v_mbcnt_lo_u32_b32 v192, v68, 0
	v_cmp_ne_u32_e64 s17, 0, v68
	v_cmp_eq_u32_e32 vcc_lo, 0, v192
	s_delay_alu instid0(VALU_DEP_2) | instskip(NEXT) | instid1(SALU_CYCLE_1)
	s_and_b32 s18, s17, vcc_lo
	s_and_saveexec_b32 s17, s18
	s_cbranch_execz .LBB1155_1039
; %bb.1038:                             ;   in Loop: Header=BB1155_990 Depth=2
	s_waitcnt lgkmcnt(0)
	v_bcnt_u32_b32 v68, v68, v191
	ds_store_b32 v193, v68
.LBB1155_1039:                          ;   in Loop: Header=BB1155_990 Depth=2
	s_or_b32 exec_lo, exec_lo, s17
	v_cmp_gt_i64_e32 vcc_lo, 0, v[62:63]
	v_ashrrev_i32_e32 v68, 31, v63
	; wave barrier
	s_delay_alu instid0(VALU_DEP_1) | instskip(SKIP_1) | instid1(VALU_DEP_2)
	v_not_b32_e32 v68, v68
	v_cndmask_b32_e64 v69, 0x7fffffff, 0, vcc_lo
	v_xor_b32_e32 v62, v68, v62
	s_delay_alu instid0(VALU_DEP_2) | instskip(NEXT) | instid1(VALU_DEP_1)
	v_xor_b32_e32 v63, v69, v63
	v_cmp_ne_u64_e32 vcc_lo, s[34:35], v[62:63]
	v_cndmask_b32_e32 v69, 0x7fffffff, v63, vcc_lo
	v_cndmask_b32_e32 v68, -1, v62, vcc_lo
	s_delay_alu instid0(VALU_DEP_1) | instskip(NEXT) | instid1(VALU_DEP_1)
	v_lshrrev_b64 v[68:69], s40, v[68:69]
	v_and_b32_e32 v68, s42, v68
	s_delay_alu instid0(VALU_DEP_1)
	v_and_b32_e32 v69, 1, v68
	v_lshlrev_b32_e32 v70, 30, v68
	v_lshlrev_b32_e32 v71, 29, v68
	;; [unrolled: 1-line block ×4, first 2 shown]
	v_add_co_u32 v69, s17, v69, -1
	s_delay_alu instid0(VALU_DEP_1)
	v_cndmask_b32_e64 v73, 0, 1, s17
	v_not_b32_e32 v195, v70
	v_cmp_gt_i32_e64 s17, 0, v70
	v_not_b32_e32 v70, v71
	v_lshlrev_b32_e32 v75, 26, v68
	v_cmp_ne_u32_e32 vcc_lo, 0, v73
	v_ashrrev_i32_e32 v195, 31, v195
	v_lshlrev_b32_e32 v194, 25, v68
	v_ashrrev_i32_e32 v70, 31, v70
	v_lshlrev_b32_e32 v73, 24, v68
	v_xor_b32_e32 v69, vcc_lo, v69
	v_cmp_gt_i32_e32 vcc_lo, 0, v71
	v_not_b32_e32 v71, v72
	v_xor_b32_e32 v195, s17, v195
	v_cmp_gt_i32_e64 s17, 0, v72
	v_and_b32_e32 v69, exec_lo, v69
	v_not_b32_e32 v72, v74
	v_ashrrev_i32_e32 v71, 31, v71
	v_xor_b32_e32 v70, vcc_lo, v70
	v_cmp_gt_i32_e32 vcc_lo, 0, v74
	v_and_b32_e32 v69, v69, v195
	v_not_b32_e32 v74, v75
	v_ashrrev_i32_e32 v72, 31, v72
	v_xor_b32_e32 v71, s17, v71
	v_cmp_gt_i32_e64 s17, 0, v75
	v_and_b32_e32 v69, v69, v70
	v_not_b32_e32 v70, v194
	v_ashrrev_i32_e32 v74, 31, v74
	v_xor_b32_e32 v72, vcc_lo, v72
	v_cmp_gt_i32_e32 vcc_lo, 0, v194
	v_and_b32_e32 v69, v69, v71
	v_not_b32_e32 v71, v73
	v_ashrrev_i32_e32 v70, 31, v70
	v_xor_b32_e32 v74, s17, v74
	v_mul_u32_u24_e32 v68, 9, v68
	v_and_b32_e32 v69, v69, v72
	v_cmp_gt_i32_e64 s17, 0, v73
	v_ashrrev_i32_e32 v71, 31, v71
	v_xor_b32_e32 v70, vcc_lo, v70
	v_add_lshl_u32 v72, v68, v158, 2
	v_and_b32_e32 v69, v69, v74
	s_delay_alu instid0(VALU_DEP_4) | instskip(SKIP_3) | instid1(VALU_DEP_2)
	v_xor_b32_e32 v68, s17, v71
	ds_load_b32 v194, v72 offset:1056
	v_and_b32_e32 v69, v69, v70
	v_add_nc_u32_e32 v196, 0x420, v72
	; wave barrier
	v_and_b32_e32 v68, v69, v68
	s_delay_alu instid0(VALU_DEP_1) | instskip(SKIP_1) | instid1(VALU_DEP_2)
	v_mbcnt_lo_u32_b32 v195, v68, 0
	v_cmp_ne_u32_e64 s17, 0, v68
	v_cmp_eq_u32_e32 vcc_lo, 0, v195
	s_delay_alu instid0(VALU_DEP_2) | instskip(NEXT) | instid1(SALU_CYCLE_1)
	s_and_b32 s18, s17, vcc_lo
	s_and_saveexec_b32 s17, s18
	s_cbranch_execz .LBB1155_1041
; %bb.1040:                             ;   in Loop: Header=BB1155_990 Depth=2
	s_waitcnt lgkmcnt(0)
	v_bcnt_u32_b32 v68, v68, v194
	ds_store_b32 v196, v68
.LBB1155_1041:                          ;   in Loop: Header=BB1155_990 Depth=2
	s_or_b32 exec_lo, exec_lo, s17
	v_cmp_gt_i64_e32 vcc_lo, 0, v[66:67]
	v_ashrrev_i32_e32 v68, 31, v67
	; wave barrier
	s_delay_alu instid0(VALU_DEP_1) | instskip(SKIP_1) | instid1(VALU_DEP_2)
	v_not_b32_e32 v68, v68
	v_cndmask_b32_e64 v69, 0x7fffffff, 0, vcc_lo
	v_xor_b32_e32 v66, v68, v66
	s_delay_alu instid0(VALU_DEP_2) | instskip(NEXT) | instid1(VALU_DEP_1)
	v_xor_b32_e32 v67, v69, v67
	v_cmp_ne_u64_e32 vcc_lo, s[34:35], v[66:67]
	v_cndmask_b32_e32 v69, 0x7fffffff, v67, vcc_lo
	v_cndmask_b32_e32 v68, -1, v66, vcc_lo
	s_delay_alu instid0(VALU_DEP_1) | instskip(NEXT) | instid1(VALU_DEP_1)
	v_lshrrev_b64 v[68:69], s40, v[68:69]
	v_and_b32_e32 v68, s42, v68
	s_delay_alu instid0(VALU_DEP_1)
	v_and_b32_e32 v69, 1, v68
	v_lshlrev_b32_e32 v70, 30, v68
	v_lshlrev_b32_e32 v71, 29, v68
	;; [unrolled: 1-line block ×4, first 2 shown]
	v_add_co_u32 v69, s17, v69, -1
	s_delay_alu instid0(VALU_DEP_1)
	v_cndmask_b32_e64 v73, 0, 1, s17
	v_not_b32_e32 v198, v70
	v_cmp_gt_i32_e64 s17, 0, v70
	v_not_b32_e32 v70, v71
	v_lshlrev_b32_e32 v75, 26, v68
	v_cmp_ne_u32_e32 vcc_lo, 0, v73
	v_ashrrev_i32_e32 v198, 31, v198
	v_lshlrev_b32_e32 v197, 25, v68
	v_ashrrev_i32_e32 v70, 31, v70
	v_lshlrev_b32_e32 v73, 24, v68
	v_xor_b32_e32 v69, vcc_lo, v69
	v_cmp_gt_i32_e32 vcc_lo, 0, v71
	v_not_b32_e32 v71, v72
	v_xor_b32_e32 v198, s17, v198
	v_cmp_gt_i32_e64 s17, 0, v72
	v_and_b32_e32 v69, exec_lo, v69
	v_not_b32_e32 v72, v74
	v_ashrrev_i32_e32 v71, 31, v71
	v_xor_b32_e32 v70, vcc_lo, v70
	v_cmp_gt_i32_e32 vcc_lo, 0, v74
	v_and_b32_e32 v69, v69, v198
	v_not_b32_e32 v74, v75
	v_ashrrev_i32_e32 v72, 31, v72
	v_xor_b32_e32 v71, s17, v71
	v_cmp_gt_i32_e64 s17, 0, v75
	v_and_b32_e32 v69, v69, v70
	v_not_b32_e32 v70, v197
	v_ashrrev_i32_e32 v74, 31, v74
	v_xor_b32_e32 v72, vcc_lo, v72
	v_cmp_gt_i32_e32 vcc_lo, 0, v197
	v_and_b32_e32 v69, v69, v71
	v_not_b32_e32 v71, v73
	v_ashrrev_i32_e32 v70, 31, v70
	v_xor_b32_e32 v74, s17, v74
	v_mul_u32_u24_e32 v68, 9, v68
	v_and_b32_e32 v69, v69, v72
	v_cmp_gt_i32_e64 s17, 0, v73
	v_ashrrev_i32_e32 v71, 31, v71
	v_xor_b32_e32 v70, vcc_lo, v70
	v_add_lshl_u32 v72, v68, v158, 2
	v_and_b32_e32 v69, v69, v74
	s_delay_alu instid0(VALU_DEP_4) | instskip(SKIP_3) | instid1(VALU_DEP_2)
	v_xor_b32_e32 v68, s17, v71
	ds_load_b32 v197, v72 offset:1056
	v_and_b32_e32 v69, v69, v70
	v_add_nc_u32_e32 v199, 0x420, v72
	; wave barrier
	v_and_b32_e32 v68, v69, v68
	s_delay_alu instid0(VALU_DEP_1) | instskip(SKIP_1) | instid1(VALU_DEP_2)
	v_mbcnt_lo_u32_b32 v198, v68, 0
	v_cmp_ne_u32_e64 s17, 0, v68
	v_cmp_eq_u32_e32 vcc_lo, 0, v198
	s_delay_alu instid0(VALU_DEP_2) | instskip(NEXT) | instid1(SALU_CYCLE_1)
	s_and_b32 s18, s17, vcc_lo
	s_and_saveexec_b32 s17, s18
	s_cbranch_execz .LBB1155_1043
; %bb.1042:                             ;   in Loop: Header=BB1155_990 Depth=2
	s_waitcnt lgkmcnt(0)
	v_bcnt_u32_b32 v68, v68, v197
	ds_store_b32 v199, v68
.LBB1155_1043:                          ;   in Loop: Header=BB1155_990 Depth=2
	s_or_b32 exec_lo, exec_lo, s17
	v_cmp_gt_i64_e32 vcc_lo, 0, v[64:65]
	v_ashrrev_i32_e32 v68, 31, v65
	; wave barrier
	s_delay_alu instid0(VALU_DEP_1) | instskip(SKIP_1) | instid1(VALU_DEP_2)
	v_not_b32_e32 v68, v68
	v_cndmask_b32_e64 v69, 0x7fffffff, 0, vcc_lo
	v_xor_b32_e32 v64, v68, v64
	s_delay_alu instid0(VALU_DEP_2) | instskip(NEXT) | instid1(VALU_DEP_1)
	v_xor_b32_e32 v65, v69, v65
	v_cmp_ne_u64_e32 vcc_lo, s[34:35], v[64:65]
	v_cndmask_b32_e32 v69, 0x7fffffff, v65, vcc_lo
	v_cndmask_b32_e32 v68, -1, v64, vcc_lo
	s_delay_alu instid0(VALU_DEP_1) | instskip(NEXT) | instid1(VALU_DEP_1)
	v_lshrrev_b64 v[68:69], s40, v[68:69]
	v_and_b32_e32 v68, s42, v68
	s_delay_alu instid0(VALU_DEP_1)
	v_and_b32_e32 v69, 1, v68
	v_lshlrev_b32_e32 v70, 30, v68
	v_lshlrev_b32_e32 v71, 29, v68
	;; [unrolled: 1-line block ×4, first 2 shown]
	v_add_co_u32 v69, s17, v69, -1
	s_delay_alu instid0(VALU_DEP_1)
	v_cndmask_b32_e64 v73, 0, 1, s17
	v_not_b32_e32 v201, v70
	v_cmp_gt_i32_e64 s17, 0, v70
	v_not_b32_e32 v70, v71
	v_lshlrev_b32_e32 v75, 26, v68
	v_cmp_ne_u32_e32 vcc_lo, 0, v73
	v_ashrrev_i32_e32 v201, 31, v201
	v_lshlrev_b32_e32 v200, 25, v68
	v_ashrrev_i32_e32 v70, 31, v70
	v_lshlrev_b32_e32 v73, 24, v68
	v_xor_b32_e32 v69, vcc_lo, v69
	v_cmp_gt_i32_e32 vcc_lo, 0, v71
	v_not_b32_e32 v71, v72
	v_xor_b32_e32 v201, s17, v201
	v_cmp_gt_i32_e64 s17, 0, v72
	v_and_b32_e32 v69, exec_lo, v69
	v_not_b32_e32 v72, v74
	v_ashrrev_i32_e32 v71, 31, v71
	v_xor_b32_e32 v70, vcc_lo, v70
	v_cmp_gt_i32_e32 vcc_lo, 0, v74
	v_and_b32_e32 v69, v69, v201
	v_not_b32_e32 v74, v75
	v_ashrrev_i32_e32 v72, 31, v72
	v_xor_b32_e32 v71, s17, v71
	v_cmp_gt_i32_e64 s17, 0, v75
	v_and_b32_e32 v69, v69, v70
	v_not_b32_e32 v70, v200
	v_ashrrev_i32_e32 v74, 31, v74
	v_xor_b32_e32 v72, vcc_lo, v72
	v_cmp_gt_i32_e32 vcc_lo, 0, v200
	v_and_b32_e32 v69, v69, v71
	v_not_b32_e32 v71, v73
	v_ashrrev_i32_e32 v70, 31, v70
	v_xor_b32_e32 v74, s17, v74
	v_mul_u32_u24_e32 v68, 9, v68
	v_and_b32_e32 v69, v69, v72
	v_cmp_gt_i32_e64 s17, 0, v73
	v_ashrrev_i32_e32 v71, 31, v71
	v_xor_b32_e32 v70, vcc_lo, v70
	v_add_lshl_u32 v72, v68, v158, 2
	v_and_b32_e32 v69, v69, v74
	s_delay_alu instid0(VALU_DEP_4) | instskip(SKIP_3) | instid1(VALU_DEP_2)
	v_xor_b32_e32 v68, s17, v71
	ds_load_b32 v200, v72 offset:1056
	v_and_b32_e32 v69, v69, v70
	v_add_nc_u32_e32 v202, 0x420, v72
	; wave barrier
	v_and_b32_e32 v68, v69, v68
	s_delay_alu instid0(VALU_DEP_1) | instskip(SKIP_1) | instid1(VALU_DEP_2)
	v_mbcnt_lo_u32_b32 v201, v68, 0
	v_cmp_ne_u32_e64 s17, 0, v68
	v_cmp_eq_u32_e32 vcc_lo, 0, v201
	s_delay_alu instid0(VALU_DEP_2) | instskip(NEXT) | instid1(SALU_CYCLE_1)
	s_and_b32 s18, s17, vcc_lo
	s_and_saveexec_b32 s17, s18
	s_cbranch_execz .LBB1155_1045
; %bb.1044:                             ;   in Loop: Header=BB1155_990 Depth=2
	s_waitcnt lgkmcnt(0)
	v_bcnt_u32_b32 v68, v68, v200
	ds_store_b32 v202, v68
.LBB1155_1045:                          ;   in Loop: Header=BB1155_990 Depth=2
	s_or_b32 exec_lo, exec_lo, s17
	v_cmp_gt_i64_e32 vcc_lo, 0, v[60:61]
	v_ashrrev_i32_e32 v68, 31, v61
	; wave barrier
	s_delay_alu instid0(VALU_DEP_1) | instskip(SKIP_1) | instid1(VALU_DEP_2)
	v_not_b32_e32 v68, v68
	v_cndmask_b32_e64 v69, 0x7fffffff, 0, vcc_lo
	v_xor_b32_e32 v60, v68, v60
	s_delay_alu instid0(VALU_DEP_2) | instskip(NEXT) | instid1(VALU_DEP_1)
	v_xor_b32_e32 v61, v69, v61
	v_cmp_ne_u64_e32 vcc_lo, s[34:35], v[60:61]
	v_cndmask_b32_e32 v69, 0x7fffffff, v61, vcc_lo
	v_cndmask_b32_e32 v68, -1, v60, vcc_lo
	s_delay_alu instid0(VALU_DEP_1) | instskip(NEXT) | instid1(VALU_DEP_1)
	v_lshrrev_b64 v[68:69], s40, v[68:69]
	v_and_b32_e32 v68, s42, v68
	s_delay_alu instid0(VALU_DEP_1)
	v_and_b32_e32 v69, 1, v68
	v_lshlrev_b32_e32 v70, 30, v68
	v_lshlrev_b32_e32 v71, 29, v68
	;; [unrolled: 1-line block ×4, first 2 shown]
	v_add_co_u32 v69, s17, v69, -1
	s_delay_alu instid0(VALU_DEP_1)
	v_cndmask_b32_e64 v73, 0, 1, s17
	v_not_b32_e32 v204, v70
	v_cmp_gt_i32_e64 s17, 0, v70
	v_not_b32_e32 v70, v71
	v_lshlrev_b32_e32 v75, 26, v68
	v_cmp_ne_u32_e32 vcc_lo, 0, v73
	v_ashrrev_i32_e32 v204, 31, v204
	v_lshlrev_b32_e32 v203, 25, v68
	v_ashrrev_i32_e32 v70, 31, v70
	v_lshlrev_b32_e32 v73, 24, v68
	v_xor_b32_e32 v69, vcc_lo, v69
	v_cmp_gt_i32_e32 vcc_lo, 0, v71
	v_not_b32_e32 v71, v72
	v_xor_b32_e32 v204, s17, v204
	v_cmp_gt_i32_e64 s17, 0, v72
	v_and_b32_e32 v69, exec_lo, v69
	v_not_b32_e32 v72, v74
	v_ashrrev_i32_e32 v71, 31, v71
	v_xor_b32_e32 v70, vcc_lo, v70
	v_cmp_gt_i32_e32 vcc_lo, 0, v74
	v_and_b32_e32 v69, v69, v204
	v_not_b32_e32 v74, v75
	v_ashrrev_i32_e32 v72, 31, v72
	v_xor_b32_e32 v71, s17, v71
	v_cmp_gt_i32_e64 s17, 0, v75
	v_and_b32_e32 v69, v69, v70
	v_not_b32_e32 v70, v203
	v_ashrrev_i32_e32 v74, 31, v74
	v_xor_b32_e32 v72, vcc_lo, v72
	v_cmp_gt_i32_e32 vcc_lo, 0, v203
	v_and_b32_e32 v69, v69, v71
	v_not_b32_e32 v71, v73
	v_ashrrev_i32_e32 v70, 31, v70
	v_xor_b32_e32 v74, s17, v74
	v_mul_u32_u24_e32 v68, 9, v68
	v_and_b32_e32 v69, v69, v72
	v_cmp_gt_i32_e64 s17, 0, v73
	v_ashrrev_i32_e32 v71, 31, v71
	v_xor_b32_e32 v70, vcc_lo, v70
	v_add_lshl_u32 v72, v68, v158, 2
	v_and_b32_e32 v69, v69, v74
	s_delay_alu instid0(VALU_DEP_4) | instskip(SKIP_3) | instid1(VALU_DEP_2)
	v_xor_b32_e32 v68, s17, v71
	ds_load_b32 v203, v72 offset:1056
	v_and_b32_e32 v69, v69, v70
	v_add_nc_u32_e32 v205, 0x420, v72
	; wave barrier
	v_and_b32_e32 v68, v69, v68
	s_delay_alu instid0(VALU_DEP_1) | instskip(SKIP_1) | instid1(VALU_DEP_2)
	v_mbcnt_lo_u32_b32 v204, v68, 0
	v_cmp_ne_u32_e64 s17, 0, v68
	v_cmp_eq_u32_e32 vcc_lo, 0, v204
	s_delay_alu instid0(VALU_DEP_2) | instskip(NEXT) | instid1(SALU_CYCLE_1)
	s_and_b32 s18, s17, vcc_lo
	s_and_saveexec_b32 s17, s18
	s_cbranch_execz .LBB1155_1047
; %bb.1046:                             ;   in Loop: Header=BB1155_990 Depth=2
	s_waitcnt lgkmcnt(0)
	v_bcnt_u32_b32 v68, v68, v203
	ds_store_b32 v205, v68
.LBB1155_1047:                          ;   in Loop: Header=BB1155_990 Depth=2
	s_or_b32 exec_lo, exec_lo, s17
	v_cmp_gt_i64_e32 vcc_lo, 0, v[56:57]
	v_ashrrev_i32_e32 v68, 31, v57
	; wave barrier
	s_delay_alu instid0(VALU_DEP_1) | instskip(SKIP_1) | instid1(VALU_DEP_2)
	v_not_b32_e32 v68, v68
	v_cndmask_b32_e64 v69, 0x7fffffff, 0, vcc_lo
	v_xor_b32_e32 v56, v68, v56
	s_delay_alu instid0(VALU_DEP_2) | instskip(NEXT) | instid1(VALU_DEP_1)
	v_xor_b32_e32 v57, v69, v57
	v_cmp_ne_u64_e32 vcc_lo, s[34:35], v[56:57]
	v_cndmask_b32_e32 v69, 0x7fffffff, v57, vcc_lo
	v_cndmask_b32_e32 v68, -1, v56, vcc_lo
	s_delay_alu instid0(VALU_DEP_1) | instskip(NEXT) | instid1(VALU_DEP_1)
	v_lshrrev_b64 v[68:69], s40, v[68:69]
	v_and_b32_e32 v68, s42, v68
	s_delay_alu instid0(VALU_DEP_1)
	v_and_b32_e32 v69, 1, v68
	v_lshlrev_b32_e32 v70, 30, v68
	v_lshlrev_b32_e32 v71, 29, v68
	;; [unrolled: 1-line block ×4, first 2 shown]
	v_add_co_u32 v69, s17, v69, -1
	s_delay_alu instid0(VALU_DEP_1)
	v_cndmask_b32_e64 v73, 0, 1, s17
	v_not_b32_e32 v207, v70
	v_cmp_gt_i32_e64 s17, 0, v70
	v_not_b32_e32 v70, v71
	v_lshlrev_b32_e32 v75, 26, v68
	v_cmp_ne_u32_e32 vcc_lo, 0, v73
	v_ashrrev_i32_e32 v207, 31, v207
	v_lshlrev_b32_e32 v206, 25, v68
	v_ashrrev_i32_e32 v70, 31, v70
	v_lshlrev_b32_e32 v73, 24, v68
	v_xor_b32_e32 v69, vcc_lo, v69
	v_cmp_gt_i32_e32 vcc_lo, 0, v71
	v_not_b32_e32 v71, v72
	v_xor_b32_e32 v207, s17, v207
	v_cmp_gt_i32_e64 s17, 0, v72
	v_and_b32_e32 v69, exec_lo, v69
	v_not_b32_e32 v72, v74
	v_ashrrev_i32_e32 v71, 31, v71
	v_xor_b32_e32 v70, vcc_lo, v70
	v_cmp_gt_i32_e32 vcc_lo, 0, v74
	v_and_b32_e32 v69, v69, v207
	v_not_b32_e32 v74, v75
	v_ashrrev_i32_e32 v72, 31, v72
	v_xor_b32_e32 v71, s17, v71
	v_cmp_gt_i32_e64 s17, 0, v75
	v_and_b32_e32 v69, v69, v70
	v_not_b32_e32 v70, v206
	v_ashrrev_i32_e32 v74, 31, v74
	v_xor_b32_e32 v72, vcc_lo, v72
	v_cmp_gt_i32_e32 vcc_lo, 0, v206
	v_and_b32_e32 v69, v69, v71
	v_not_b32_e32 v71, v73
	v_ashrrev_i32_e32 v70, 31, v70
	v_xor_b32_e32 v74, s17, v74
	v_mul_u32_u24_e32 v68, 9, v68
	v_and_b32_e32 v69, v69, v72
	v_cmp_gt_i32_e64 s17, 0, v73
	v_ashrrev_i32_e32 v71, 31, v71
	v_xor_b32_e32 v70, vcc_lo, v70
	v_add_lshl_u32 v72, v68, v158, 2
	v_and_b32_e32 v69, v69, v74
	s_delay_alu instid0(VALU_DEP_4) | instskip(SKIP_3) | instid1(VALU_DEP_2)
	v_xor_b32_e32 v68, s17, v71
	ds_load_b32 v206, v72 offset:1056
	v_and_b32_e32 v69, v69, v70
	v_add_nc_u32_e32 v208, 0x420, v72
	; wave barrier
	v_and_b32_e32 v68, v69, v68
	s_delay_alu instid0(VALU_DEP_1) | instskip(SKIP_1) | instid1(VALU_DEP_2)
	v_mbcnt_lo_u32_b32 v207, v68, 0
	v_cmp_ne_u32_e64 s17, 0, v68
	v_cmp_eq_u32_e32 vcc_lo, 0, v207
	s_delay_alu instid0(VALU_DEP_2) | instskip(NEXT) | instid1(SALU_CYCLE_1)
	s_and_b32 s18, s17, vcc_lo
	s_and_saveexec_b32 s17, s18
	s_cbranch_execz .LBB1155_1049
; %bb.1048:                             ;   in Loop: Header=BB1155_990 Depth=2
	s_waitcnt lgkmcnt(0)
	v_bcnt_u32_b32 v68, v68, v206
	ds_store_b32 v208, v68
.LBB1155_1049:                          ;   in Loop: Header=BB1155_990 Depth=2
	s_or_b32 exec_lo, exec_lo, s17
	v_cmp_gt_i64_e32 vcc_lo, 0, v[52:53]
	v_ashrrev_i32_e32 v68, 31, v53
	; wave barrier
	s_delay_alu instid0(VALU_DEP_1) | instskip(SKIP_1) | instid1(VALU_DEP_2)
	v_not_b32_e32 v68, v68
	v_cndmask_b32_e64 v69, 0x7fffffff, 0, vcc_lo
	v_xor_b32_e32 v52, v68, v52
	s_delay_alu instid0(VALU_DEP_2) | instskip(NEXT) | instid1(VALU_DEP_1)
	v_xor_b32_e32 v53, v69, v53
	v_cmp_ne_u64_e32 vcc_lo, s[34:35], v[52:53]
	v_cndmask_b32_e32 v69, 0x7fffffff, v53, vcc_lo
	v_cndmask_b32_e32 v68, -1, v52, vcc_lo
	s_delay_alu instid0(VALU_DEP_1) | instskip(NEXT) | instid1(VALU_DEP_1)
	v_lshrrev_b64 v[68:69], s40, v[68:69]
	v_and_b32_e32 v68, s42, v68
	s_delay_alu instid0(VALU_DEP_1)
	v_and_b32_e32 v69, 1, v68
	v_lshlrev_b32_e32 v70, 30, v68
	v_lshlrev_b32_e32 v71, 29, v68
	;; [unrolled: 1-line block ×4, first 2 shown]
	v_add_co_u32 v69, s17, v69, -1
	s_delay_alu instid0(VALU_DEP_1)
	v_cndmask_b32_e64 v73, 0, 1, s17
	v_not_b32_e32 v210, v70
	v_cmp_gt_i32_e64 s17, 0, v70
	v_not_b32_e32 v70, v71
	v_lshlrev_b32_e32 v75, 26, v68
	v_cmp_ne_u32_e32 vcc_lo, 0, v73
	v_ashrrev_i32_e32 v210, 31, v210
	v_lshlrev_b32_e32 v209, 25, v68
	v_ashrrev_i32_e32 v70, 31, v70
	v_lshlrev_b32_e32 v73, 24, v68
	v_xor_b32_e32 v69, vcc_lo, v69
	v_cmp_gt_i32_e32 vcc_lo, 0, v71
	v_not_b32_e32 v71, v72
	v_xor_b32_e32 v210, s17, v210
	v_cmp_gt_i32_e64 s17, 0, v72
	v_and_b32_e32 v69, exec_lo, v69
	v_not_b32_e32 v72, v74
	v_ashrrev_i32_e32 v71, 31, v71
	v_xor_b32_e32 v70, vcc_lo, v70
	v_cmp_gt_i32_e32 vcc_lo, 0, v74
	v_and_b32_e32 v69, v69, v210
	v_not_b32_e32 v74, v75
	v_ashrrev_i32_e32 v72, 31, v72
	v_xor_b32_e32 v71, s17, v71
	v_cmp_gt_i32_e64 s17, 0, v75
	v_and_b32_e32 v69, v69, v70
	v_not_b32_e32 v70, v209
	v_ashrrev_i32_e32 v74, 31, v74
	v_xor_b32_e32 v72, vcc_lo, v72
	v_cmp_gt_i32_e32 vcc_lo, 0, v209
	v_and_b32_e32 v69, v69, v71
	v_not_b32_e32 v71, v73
	v_ashrrev_i32_e32 v70, 31, v70
	v_xor_b32_e32 v74, s17, v74
	v_mul_u32_u24_e32 v68, 9, v68
	v_and_b32_e32 v69, v69, v72
	v_cmp_gt_i32_e64 s17, 0, v73
	v_ashrrev_i32_e32 v71, 31, v71
	v_xor_b32_e32 v70, vcc_lo, v70
	v_add_lshl_u32 v72, v68, v158, 2
	v_and_b32_e32 v69, v69, v74
	s_delay_alu instid0(VALU_DEP_4) | instskip(SKIP_3) | instid1(VALU_DEP_2)
	v_xor_b32_e32 v68, s17, v71
	ds_load_b32 v209, v72 offset:1056
	v_and_b32_e32 v69, v69, v70
	v_add_nc_u32_e32 v211, 0x420, v72
	; wave barrier
	v_and_b32_e32 v68, v69, v68
	s_delay_alu instid0(VALU_DEP_1) | instskip(SKIP_1) | instid1(VALU_DEP_2)
	v_mbcnt_lo_u32_b32 v210, v68, 0
	v_cmp_ne_u32_e64 s17, 0, v68
	v_cmp_eq_u32_e32 vcc_lo, 0, v210
	s_delay_alu instid0(VALU_DEP_2) | instskip(NEXT) | instid1(SALU_CYCLE_1)
	s_and_b32 s18, s17, vcc_lo
	s_and_saveexec_b32 s17, s18
	s_cbranch_execz .LBB1155_1051
; %bb.1050:                             ;   in Loop: Header=BB1155_990 Depth=2
	s_waitcnt lgkmcnt(0)
	v_bcnt_u32_b32 v68, v68, v209
	ds_store_b32 v211, v68
.LBB1155_1051:                          ;   in Loop: Header=BB1155_990 Depth=2
	s_or_b32 exec_lo, exec_lo, s17
	v_cmp_gt_i64_e32 vcc_lo, 0, v[50:51]
	v_ashrrev_i32_e32 v68, 31, v51
	; wave barrier
	s_delay_alu instid0(VALU_DEP_1) | instskip(SKIP_1) | instid1(VALU_DEP_2)
	v_not_b32_e32 v68, v68
	v_cndmask_b32_e64 v69, 0x7fffffff, 0, vcc_lo
	v_xor_b32_e32 v50, v68, v50
	s_delay_alu instid0(VALU_DEP_2) | instskip(NEXT) | instid1(VALU_DEP_1)
	v_xor_b32_e32 v51, v69, v51
	v_cmp_ne_u64_e32 vcc_lo, s[34:35], v[50:51]
	v_cndmask_b32_e32 v69, 0x7fffffff, v51, vcc_lo
	v_cndmask_b32_e32 v68, -1, v50, vcc_lo
	s_delay_alu instid0(VALU_DEP_1) | instskip(NEXT) | instid1(VALU_DEP_1)
	v_lshrrev_b64 v[68:69], s40, v[68:69]
	v_and_b32_e32 v68, s42, v68
	s_delay_alu instid0(VALU_DEP_1)
	v_and_b32_e32 v69, 1, v68
	v_lshlrev_b32_e32 v70, 30, v68
	v_lshlrev_b32_e32 v71, 29, v68
	v_lshlrev_b32_e32 v72, 28, v68
	v_lshlrev_b32_e32 v74, 27, v68
	v_add_co_u32 v69, s17, v69, -1
	s_delay_alu instid0(VALU_DEP_1)
	v_cndmask_b32_e64 v73, 0, 1, s17
	v_not_b32_e32 v213, v70
	v_cmp_gt_i32_e64 s17, 0, v70
	v_not_b32_e32 v70, v71
	v_lshlrev_b32_e32 v75, 26, v68
	v_cmp_ne_u32_e32 vcc_lo, 0, v73
	v_ashrrev_i32_e32 v213, 31, v213
	v_lshlrev_b32_e32 v212, 25, v68
	v_ashrrev_i32_e32 v70, 31, v70
	v_lshlrev_b32_e32 v73, 24, v68
	v_xor_b32_e32 v69, vcc_lo, v69
	v_cmp_gt_i32_e32 vcc_lo, 0, v71
	v_not_b32_e32 v71, v72
	v_xor_b32_e32 v213, s17, v213
	v_cmp_gt_i32_e64 s17, 0, v72
	v_and_b32_e32 v69, exec_lo, v69
	v_not_b32_e32 v72, v74
	v_ashrrev_i32_e32 v71, 31, v71
	v_xor_b32_e32 v70, vcc_lo, v70
	v_cmp_gt_i32_e32 vcc_lo, 0, v74
	v_and_b32_e32 v69, v69, v213
	v_not_b32_e32 v74, v75
	v_ashrrev_i32_e32 v72, 31, v72
	v_xor_b32_e32 v71, s17, v71
	v_cmp_gt_i32_e64 s17, 0, v75
	v_and_b32_e32 v69, v69, v70
	v_not_b32_e32 v70, v212
	v_ashrrev_i32_e32 v74, 31, v74
	v_xor_b32_e32 v72, vcc_lo, v72
	v_cmp_gt_i32_e32 vcc_lo, 0, v212
	v_and_b32_e32 v69, v69, v71
	v_not_b32_e32 v71, v73
	v_ashrrev_i32_e32 v70, 31, v70
	v_xor_b32_e32 v74, s17, v74
	v_mul_u32_u24_e32 v68, 9, v68
	v_and_b32_e32 v69, v69, v72
	v_cmp_gt_i32_e64 s17, 0, v73
	v_ashrrev_i32_e32 v71, 31, v71
	v_xor_b32_e32 v70, vcc_lo, v70
	v_add_lshl_u32 v72, v68, v158, 2
	v_and_b32_e32 v69, v69, v74
	s_delay_alu instid0(VALU_DEP_4) | instskip(SKIP_3) | instid1(VALU_DEP_2)
	v_xor_b32_e32 v68, s17, v71
	ds_load_b32 v212, v72 offset:1056
	v_and_b32_e32 v69, v69, v70
	v_add_nc_u32_e32 v214, 0x420, v72
	; wave barrier
	v_and_b32_e32 v68, v69, v68
	s_delay_alu instid0(VALU_DEP_1) | instskip(SKIP_1) | instid1(VALU_DEP_2)
	v_mbcnt_lo_u32_b32 v213, v68, 0
	v_cmp_ne_u32_e64 s17, 0, v68
	v_cmp_eq_u32_e32 vcc_lo, 0, v213
	s_delay_alu instid0(VALU_DEP_2) | instskip(NEXT) | instid1(SALU_CYCLE_1)
	s_and_b32 s18, s17, vcc_lo
	s_and_saveexec_b32 s17, s18
	s_cbranch_execz .LBB1155_1053
; %bb.1052:                             ;   in Loop: Header=BB1155_990 Depth=2
	s_waitcnt lgkmcnt(0)
	v_bcnt_u32_b32 v68, v68, v212
	ds_store_b32 v214, v68
.LBB1155_1053:                          ;   in Loop: Header=BB1155_990 Depth=2
	s_or_b32 exec_lo, exec_lo, s17
	v_cmp_gt_i64_e32 vcc_lo, 0, v[46:47]
	v_ashrrev_i32_e32 v68, 31, v47
	; wave barrier
	s_delay_alu instid0(VALU_DEP_1) | instskip(SKIP_1) | instid1(VALU_DEP_2)
	v_not_b32_e32 v68, v68
	v_cndmask_b32_e64 v69, 0x7fffffff, 0, vcc_lo
	v_xor_b32_e32 v46, v68, v46
	s_delay_alu instid0(VALU_DEP_2) | instskip(NEXT) | instid1(VALU_DEP_1)
	v_xor_b32_e32 v47, v69, v47
	v_cmp_ne_u64_e32 vcc_lo, s[34:35], v[46:47]
	v_cndmask_b32_e32 v69, 0x7fffffff, v47, vcc_lo
	v_cndmask_b32_e32 v68, -1, v46, vcc_lo
	s_delay_alu instid0(VALU_DEP_1) | instskip(NEXT) | instid1(VALU_DEP_1)
	v_lshrrev_b64 v[68:69], s40, v[68:69]
	v_and_b32_e32 v68, s42, v68
	s_delay_alu instid0(VALU_DEP_1)
	v_and_b32_e32 v69, 1, v68
	v_lshlrev_b32_e32 v70, 30, v68
	v_lshlrev_b32_e32 v71, 29, v68
	;; [unrolled: 1-line block ×4, first 2 shown]
	v_add_co_u32 v69, s17, v69, -1
	s_delay_alu instid0(VALU_DEP_1)
	v_cndmask_b32_e64 v73, 0, 1, s17
	v_not_b32_e32 v216, v70
	v_cmp_gt_i32_e64 s17, 0, v70
	v_not_b32_e32 v70, v71
	v_lshlrev_b32_e32 v75, 26, v68
	v_cmp_ne_u32_e32 vcc_lo, 0, v73
	v_ashrrev_i32_e32 v216, 31, v216
	v_lshlrev_b32_e32 v215, 25, v68
	v_ashrrev_i32_e32 v70, 31, v70
	v_lshlrev_b32_e32 v73, 24, v68
	v_xor_b32_e32 v69, vcc_lo, v69
	v_cmp_gt_i32_e32 vcc_lo, 0, v71
	v_not_b32_e32 v71, v72
	v_xor_b32_e32 v216, s17, v216
	v_cmp_gt_i32_e64 s17, 0, v72
	v_and_b32_e32 v69, exec_lo, v69
	v_not_b32_e32 v72, v74
	v_ashrrev_i32_e32 v71, 31, v71
	v_xor_b32_e32 v70, vcc_lo, v70
	v_cmp_gt_i32_e32 vcc_lo, 0, v74
	v_and_b32_e32 v69, v69, v216
	v_not_b32_e32 v74, v75
	v_ashrrev_i32_e32 v72, 31, v72
	v_xor_b32_e32 v71, s17, v71
	v_cmp_gt_i32_e64 s17, 0, v75
	v_and_b32_e32 v69, v69, v70
	v_not_b32_e32 v70, v215
	v_ashrrev_i32_e32 v74, 31, v74
	v_xor_b32_e32 v72, vcc_lo, v72
	v_cmp_gt_i32_e32 vcc_lo, 0, v215
	v_and_b32_e32 v69, v69, v71
	v_not_b32_e32 v71, v73
	v_ashrrev_i32_e32 v70, 31, v70
	v_xor_b32_e32 v74, s17, v74
	v_mul_u32_u24_e32 v68, 9, v68
	v_and_b32_e32 v69, v69, v72
	v_cmp_gt_i32_e64 s17, 0, v73
	v_ashrrev_i32_e32 v71, 31, v71
	v_xor_b32_e32 v70, vcc_lo, v70
	v_add_lshl_u32 v72, v68, v158, 2
	v_and_b32_e32 v69, v69, v74
	s_delay_alu instid0(VALU_DEP_4) | instskip(SKIP_3) | instid1(VALU_DEP_2)
	v_xor_b32_e32 v68, s17, v71
	ds_load_b32 v215, v72 offset:1056
	v_and_b32_e32 v69, v69, v70
	v_add_nc_u32_e32 v217, 0x420, v72
	; wave barrier
	v_and_b32_e32 v68, v69, v68
	s_delay_alu instid0(VALU_DEP_1) | instskip(SKIP_1) | instid1(VALU_DEP_2)
	v_mbcnt_lo_u32_b32 v216, v68, 0
	v_cmp_ne_u32_e64 s17, 0, v68
	v_cmp_eq_u32_e32 vcc_lo, 0, v216
	s_delay_alu instid0(VALU_DEP_2) | instskip(NEXT) | instid1(SALU_CYCLE_1)
	s_and_b32 s18, s17, vcc_lo
	s_and_saveexec_b32 s17, s18
	s_cbranch_execz .LBB1155_1055
; %bb.1054:                             ;   in Loop: Header=BB1155_990 Depth=2
	s_waitcnt lgkmcnt(0)
	v_bcnt_u32_b32 v68, v68, v215
	ds_store_b32 v217, v68
.LBB1155_1055:                          ;   in Loop: Header=BB1155_990 Depth=2
	s_or_b32 exec_lo, exec_lo, s17
	v_cmp_gt_i64_e32 vcc_lo, 0, v[40:41]
	v_ashrrev_i32_e32 v68, 31, v41
	; wave barrier
	s_delay_alu instid0(VALU_DEP_1) | instskip(SKIP_1) | instid1(VALU_DEP_2)
	v_not_b32_e32 v68, v68
	v_cndmask_b32_e64 v69, 0x7fffffff, 0, vcc_lo
	v_xor_b32_e32 v40, v68, v40
	s_delay_alu instid0(VALU_DEP_2) | instskip(NEXT) | instid1(VALU_DEP_1)
	v_xor_b32_e32 v41, v69, v41
	v_cmp_ne_u64_e32 vcc_lo, s[34:35], v[40:41]
	v_cndmask_b32_e32 v69, 0x7fffffff, v41, vcc_lo
	v_cndmask_b32_e32 v68, -1, v40, vcc_lo
	s_delay_alu instid0(VALU_DEP_1) | instskip(NEXT) | instid1(VALU_DEP_1)
	v_lshrrev_b64 v[68:69], s40, v[68:69]
	v_and_b32_e32 v68, s42, v68
	s_delay_alu instid0(VALU_DEP_1)
	v_and_b32_e32 v69, 1, v68
	v_lshlrev_b32_e32 v70, 30, v68
	v_lshlrev_b32_e32 v71, 29, v68
	;; [unrolled: 1-line block ×4, first 2 shown]
	v_add_co_u32 v69, s17, v69, -1
	s_delay_alu instid0(VALU_DEP_1)
	v_cndmask_b32_e64 v73, 0, 1, s17
	v_not_b32_e32 v219, v70
	v_cmp_gt_i32_e64 s17, 0, v70
	v_not_b32_e32 v70, v71
	v_lshlrev_b32_e32 v75, 26, v68
	v_cmp_ne_u32_e32 vcc_lo, 0, v73
	v_ashrrev_i32_e32 v219, 31, v219
	v_lshlrev_b32_e32 v218, 25, v68
	v_ashrrev_i32_e32 v70, 31, v70
	v_lshlrev_b32_e32 v73, 24, v68
	v_xor_b32_e32 v69, vcc_lo, v69
	v_cmp_gt_i32_e32 vcc_lo, 0, v71
	v_not_b32_e32 v71, v72
	v_xor_b32_e32 v219, s17, v219
	v_cmp_gt_i32_e64 s17, 0, v72
	v_and_b32_e32 v69, exec_lo, v69
	v_not_b32_e32 v72, v74
	v_ashrrev_i32_e32 v71, 31, v71
	v_xor_b32_e32 v70, vcc_lo, v70
	v_cmp_gt_i32_e32 vcc_lo, 0, v74
	v_and_b32_e32 v69, v69, v219
	v_not_b32_e32 v74, v75
	v_ashrrev_i32_e32 v72, 31, v72
	v_xor_b32_e32 v71, s17, v71
	v_cmp_gt_i32_e64 s17, 0, v75
	v_and_b32_e32 v69, v69, v70
	v_not_b32_e32 v70, v218
	v_ashrrev_i32_e32 v74, 31, v74
	v_xor_b32_e32 v72, vcc_lo, v72
	v_cmp_gt_i32_e32 vcc_lo, 0, v218
	v_and_b32_e32 v69, v69, v71
	v_not_b32_e32 v71, v73
	v_ashrrev_i32_e32 v70, 31, v70
	v_xor_b32_e32 v74, s17, v74
	v_mul_u32_u24_e32 v68, 9, v68
	v_and_b32_e32 v69, v69, v72
	v_cmp_gt_i32_e64 s17, 0, v73
	v_ashrrev_i32_e32 v71, 31, v71
	v_xor_b32_e32 v70, vcc_lo, v70
	v_add_lshl_u32 v72, v68, v158, 2
	v_and_b32_e32 v69, v69, v74
	s_delay_alu instid0(VALU_DEP_4) | instskip(SKIP_3) | instid1(VALU_DEP_2)
	v_xor_b32_e32 v68, s17, v71
	ds_load_b32 v218, v72 offset:1056
	v_and_b32_e32 v69, v69, v70
	v_add_nc_u32_e32 v220, 0x420, v72
	; wave barrier
	v_and_b32_e32 v68, v69, v68
	s_delay_alu instid0(VALU_DEP_1) | instskip(SKIP_1) | instid1(VALU_DEP_2)
	v_mbcnt_lo_u32_b32 v219, v68, 0
	v_cmp_ne_u32_e64 s17, 0, v68
	v_cmp_eq_u32_e32 vcc_lo, 0, v219
	s_delay_alu instid0(VALU_DEP_2) | instskip(NEXT) | instid1(SALU_CYCLE_1)
	s_and_b32 s18, s17, vcc_lo
	s_and_saveexec_b32 s17, s18
	s_cbranch_execz .LBB1155_1057
; %bb.1056:                             ;   in Loop: Header=BB1155_990 Depth=2
	s_waitcnt lgkmcnt(0)
	v_bcnt_u32_b32 v68, v68, v218
	ds_store_b32 v220, v68
.LBB1155_1057:                          ;   in Loop: Header=BB1155_990 Depth=2
	s_or_b32 exec_lo, exec_lo, s17
	v_cmp_gt_i64_e32 vcc_lo, 0, v[42:43]
	v_ashrrev_i32_e32 v68, 31, v43
	; wave barrier
	s_delay_alu instid0(VALU_DEP_1) | instskip(SKIP_1) | instid1(VALU_DEP_2)
	v_not_b32_e32 v68, v68
	v_cndmask_b32_e64 v69, 0x7fffffff, 0, vcc_lo
	v_xor_b32_e32 v42, v68, v42
	s_delay_alu instid0(VALU_DEP_2) | instskip(NEXT) | instid1(VALU_DEP_1)
	v_xor_b32_e32 v43, v69, v43
	v_cmp_ne_u64_e32 vcc_lo, s[34:35], v[42:43]
	v_cndmask_b32_e32 v69, 0x7fffffff, v43, vcc_lo
	v_cndmask_b32_e32 v68, -1, v42, vcc_lo
	s_delay_alu instid0(VALU_DEP_1) | instskip(NEXT) | instid1(VALU_DEP_1)
	v_lshrrev_b64 v[68:69], s40, v[68:69]
	v_and_b32_e32 v68, s42, v68
	s_delay_alu instid0(VALU_DEP_1)
	v_and_b32_e32 v69, 1, v68
	v_lshlrev_b32_e32 v70, 30, v68
	v_lshlrev_b32_e32 v71, 29, v68
	;; [unrolled: 1-line block ×4, first 2 shown]
	v_add_co_u32 v69, s17, v69, -1
	s_delay_alu instid0(VALU_DEP_1)
	v_cndmask_b32_e64 v73, 0, 1, s17
	v_not_b32_e32 v222, v70
	v_cmp_gt_i32_e64 s17, 0, v70
	v_not_b32_e32 v70, v71
	v_lshlrev_b32_e32 v75, 26, v68
	v_cmp_ne_u32_e32 vcc_lo, 0, v73
	v_ashrrev_i32_e32 v222, 31, v222
	v_lshlrev_b32_e32 v221, 25, v68
	v_ashrrev_i32_e32 v70, 31, v70
	v_lshlrev_b32_e32 v73, 24, v68
	v_xor_b32_e32 v69, vcc_lo, v69
	v_cmp_gt_i32_e32 vcc_lo, 0, v71
	v_not_b32_e32 v71, v72
	v_xor_b32_e32 v222, s17, v222
	v_cmp_gt_i32_e64 s17, 0, v72
	v_and_b32_e32 v69, exec_lo, v69
	v_not_b32_e32 v72, v74
	v_ashrrev_i32_e32 v71, 31, v71
	v_xor_b32_e32 v70, vcc_lo, v70
	v_cmp_gt_i32_e32 vcc_lo, 0, v74
	v_and_b32_e32 v69, v69, v222
	v_not_b32_e32 v74, v75
	v_ashrrev_i32_e32 v72, 31, v72
	v_xor_b32_e32 v71, s17, v71
	v_cmp_gt_i32_e64 s17, 0, v75
	v_and_b32_e32 v69, v69, v70
	v_not_b32_e32 v70, v221
	v_ashrrev_i32_e32 v74, 31, v74
	v_xor_b32_e32 v72, vcc_lo, v72
	v_cmp_gt_i32_e32 vcc_lo, 0, v221
	v_and_b32_e32 v69, v69, v71
	v_not_b32_e32 v71, v73
	v_ashrrev_i32_e32 v70, 31, v70
	v_xor_b32_e32 v74, s17, v74
	v_mul_u32_u24_e32 v68, 9, v68
	v_and_b32_e32 v69, v69, v72
	v_cmp_gt_i32_e64 s17, 0, v73
	v_ashrrev_i32_e32 v71, 31, v71
	v_xor_b32_e32 v70, vcc_lo, v70
	v_add_lshl_u32 v72, v68, v158, 2
	v_and_b32_e32 v69, v69, v74
	s_delay_alu instid0(VALU_DEP_4) | instskip(SKIP_3) | instid1(VALU_DEP_2)
	v_xor_b32_e32 v68, s17, v71
	ds_load_b32 v221, v72 offset:1056
	v_and_b32_e32 v69, v69, v70
	v_add_nc_u32_e32 v223, 0x420, v72
	; wave barrier
	v_and_b32_e32 v68, v69, v68
	s_delay_alu instid0(VALU_DEP_1) | instskip(SKIP_1) | instid1(VALU_DEP_2)
	v_mbcnt_lo_u32_b32 v222, v68, 0
	v_cmp_ne_u32_e64 s17, 0, v68
	v_cmp_eq_u32_e32 vcc_lo, 0, v222
	s_delay_alu instid0(VALU_DEP_2) | instskip(NEXT) | instid1(SALU_CYCLE_1)
	s_and_b32 s18, s17, vcc_lo
	s_and_saveexec_b32 s17, s18
	s_cbranch_execz .LBB1155_1059
; %bb.1058:                             ;   in Loop: Header=BB1155_990 Depth=2
	s_waitcnt lgkmcnt(0)
	v_bcnt_u32_b32 v68, v68, v221
	ds_store_b32 v223, v68
.LBB1155_1059:                          ;   in Loop: Header=BB1155_990 Depth=2
	s_or_b32 exec_lo, exec_lo, s17
	; wave barrier
	s_waitcnt lgkmcnt(0)
	s_barrier
	buffer_gl0_inv
	ds_load_b32 v224, v102 offset:1056
	ds_load_2addr_b32 v[74:75], v103 offset0:1 offset1:2
	ds_load_2addr_b32 v[72:73], v103 offset0:3 offset1:4
	;; [unrolled: 1-line block ×4, first 2 shown]
	s_waitcnt lgkmcnt(3)
	v_add3_u32 v225, v74, v224, v75
	s_waitcnt lgkmcnt(2)
	s_delay_alu instid0(VALU_DEP_1) | instskip(SKIP_1) | instid1(VALU_DEP_1)
	v_add3_u32 v225, v225, v72, v73
	s_waitcnt lgkmcnt(1)
	v_add3_u32 v225, v225, v68, v69
	s_waitcnt lgkmcnt(0)
	s_delay_alu instid0(VALU_DEP_1) | instskip(NEXT) | instid1(VALU_DEP_1)
	v_add3_u32 v71, v225, v70, v71
	v_mov_b32_dpp v225, v71 row_shr:1 row_mask:0xf bank_mask:0xf
	s_delay_alu instid0(VALU_DEP_1) | instskip(NEXT) | instid1(VALU_DEP_1)
	v_cndmask_b32_e64 v225, v225, 0, s1
	v_add_nc_u32_e32 v71, v225, v71
	s_delay_alu instid0(VALU_DEP_1) | instskip(NEXT) | instid1(VALU_DEP_1)
	v_mov_b32_dpp v225, v71 row_shr:2 row_mask:0xf bank_mask:0xf
	v_cndmask_b32_e64 v225, 0, v225, s7
	s_delay_alu instid0(VALU_DEP_1) | instskip(NEXT) | instid1(VALU_DEP_1)
	v_add_nc_u32_e32 v71, v71, v225
	v_mov_b32_dpp v225, v71 row_shr:4 row_mask:0xf bank_mask:0xf
	s_delay_alu instid0(VALU_DEP_1) | instskip(NEXT) | instid1(VALU_DEP_1)
	v_cndmask_b32_e64 v225, 0, v225, s8
	v_add_nc_u32_e32 v71, v71, v225
	s_delay_alu instid0(VALU_DEP_1) | instskip(NEXT) | instid1(VALU_DEP_1)
	v_mov_b32_dpp v225, v71 row_shr:8 row_mask:0xf bank_mask:0xf
	v_cndmask_b32_e64 v225, 0, v225, s9
	s_delay_alu instid0(VALU_DEP_1) | instskip(SKIP_3) | instid1(VALU_DEP_1)
	v_add_nc_u32_e32 v71, v71, v225
	ds_swizzle_b32 v225, v71 offset:swizzle(BROADCAST,32,15)
	s_waitcnt lgkmcnt(0)
	v_cndmask_b32_e64 v225, v225, 0, s10
	v_add_nc_u32_e32 v71, v71, v225
	s_and_saveexec_b32 s17, s3
	s_cbranch_execz .LBB1155_1061
; %bb.1060:                             ;   in Loop: Header=BB1155_990 Depth=2
	ds_store_b32 v94, v71 offset:1024
.LBB1155_1061:                          ;   in Loop: Header=BB1155_990 Depth=2
	s_or_b32 exec_lo, exec_lo, s17
	s_waitcnt lgkmcnt(0)
	s_barrier
	buffer_gl0_inv
	s_and_saveexec_b32 s17, s4
	s_cbranch_execz .LBB1155_1063
; %bb.1062:                             ;   in Loop: Header=BB1155_990 Depth=2
	ds_load_b32 v225, v104 offset:1024
	s_waitcnt lgkmcnt(0)
	v_mov_b32_dpp v226, v225 row_shr:1 row_mask:0xf bank_mask:0xf
	s_delay_alu instid0(VALU_DEP_1) | instskip(NEXT) | instid1(VALU_DEP_1)
	v_cndmask_b32_e64 v226, v226, 0, s12
	v_add_nc_u32_e32 v225, v226, v225
	s_delay_alu instid0(VALU_DEP_1) | instskip(NEXT) | instid1(VALU_DEP_1)
	v_mov_b32_dpp v226, v225 row_shr:2 row_mask:0xf bank_mask:0xf
	v_cndmask_b32_e64 v226, 0, v226, s13
	s_delay_alu instid0(VALU_DEP_1) | instskip(NEXT) | instid1(VALU_DEP_1)
	v_add_nc_u32_e32 v225, v225, v226
	v_mov_b32_dpp v226, v225 row_shr:4 row_mask:0xf bank_mask:0xf
	s_delay_alu instid0(VALU_DEP_1) | instskip(NEXT) | instid1(VALU_DEP_1)
	v_cndmask_b32_e64 v226, 0, v226, s16
	v_add_nc_u32_e32 v225, v225, v226
	ds_store_b32 v104, v225 offset:1024
.LBB1155_1063:                          ;   in Loop: Header=BB1155_990 Depth=2
	s_or_b32 exec_lo, exec_lo, s17
	v_mov_b32_e32 v225, 0
	s_waitcnt lgkmcnt(0)
	s_barrier
	buffer_gl0_inv
	s_and_saveexec_b32 s17, s5
	s_cbranch_execz .LBB1155_1065
; %bb.1064:                             ;   in Loop: Header=BB1155_990 Depth=2
	ds_load_b32 v225, v94 offset:1020
.LBB1155_1065:                          ;   in Loop: Header=BB1155_990 Depth=2
	s_or_b32 exec_lo, exec_lo, s17
	s_waitcnt lgkmcnt(0)
	v_add_nc_u32_e32 v71, v225, v71
	ds_bpermute_b32 v71, v137, v71
	s_waitcnt lgkmcnt(0)
	v_cndmask_b32_e64 v71, v71, v225, s11
	s_delay_alu instid0(VALU_DEP_1) | instskip(NEXT) | instid1(VALU_DEP_1)
	v_cndmask_b32_e64 v71, v71, 0, s0
	v_add_nc_u32_e32 v224, v71, v224
	s_delay_alu instid0(VALU_DEP_1) | instskip(NEXT) | instid1(VALU_DEP_1)
	v_add_nc_u32_e32 v74, v224, v74
	v_add_nc_u32_e32 v75, v74, v75
	s_delay_alu instid0(VALU_DEP_1) | instskip(NEXT) | instid1(VALU_DEP_1)
	v_add_nc_u32_e32 v72, v75, v72
	v_add_nc_u32_e32 v73, v72, v73
	s_delay_alu instid0(VALU_DEP_1) | instskip(NEXT) | instid1(VALU_DEP_1)
	v_add_nc_u32_e32 v68, v73, v68
	v_add_nc_u32_e32 v69, v68, v69
	s_delay_alu instid0(VALU_DEP_1)
	v_add_nc_u32_e32 v70, v69, v70
	ds_store_b32 v102, v71 offset:1056
	ds_store_2addr_b32 v103, v224, v74 offset0:1 offset1:2
	ds_store_2addr_b32 v103, v75, v72 offset0:3 offset1:4
	;; [unrolled: 1-line block ×4, first 2 shown]
	v_mov_b32_e32 v68, 0x1000
	s_waitcnt lgkmcnt(0)
	s_barrier
	buffer_gl0_inv
	ds_load_b32 v70, v181
	ds_load_b32 v71, v184
	;; [unrolled: 1-line block ×16, first 2 shown]
	ds_load_b32 v178, v102 offset:1056
	s_and_saveexec_b32 s17, s6
	s_cbranch_execz .LBB1155_1067
; %bb.1066:                             ;   in Loop: Header=BB1155_990 Depth=2
	ds_load_b32 v68, v105 offset:1056
.LBB1155_1067:                          ;   in Loop: Header=BB1155_990 Depth=2
	s_or_b32 exec_lo, exec_lo, s17
	s_waitcnt lgkmcnt(0)
	s_barrier
	buffer_gl0_inv
	s_and_saveexec_b32 s17, s2
	s_cbranch_execz .LBB1155_1069
; %bb.1068:                             ;   in Loop: Header=BB1155_990 Depth=2
	ds_load_b32 v202, v76
	s_waitcnt lgkmcnt(0)
	v_sub_nc_u32_e32 v178, v202, v178
	ds_store_b32 v76, v178
.LBB1155_1069:                          ;   in Loop: Header=BB1155_990 Depth=2
	s_or_b32 exec_lo, exec_lo, s17
	v_add_nc_u32_e32 v179, v180, v179
	v_add_nc_u32_e32 v180, v183, v182
	v_add_lshl_u32 v69, v69, v2, 3
	v_add_nc_u32_e32 v2, v186, v185
	v_add_nc_u32_e32 v191, v192, v191
	;; [unrolled: 1-line block ×3, first 2 shown]
	v_add_lshl_u32 v70, v179, v70, 3
	v_add_lshl_u32 v71, v180, v71, 3
	v_add_nc_u32_e32 v209, v210, v209
	v_add_nc_u32_e32 v206, v207, v206
	v_add_nc_u32_e32 v200, v201, v200
	v_add_nc_u32_e32 v194, v195, v194
	v_add_lshl_u32 v72, v2, v72, 3
	v_add_nc_u32_e32 v208, v213, v212
	v_add_nc_u32_e32 v203, v204, v203
	;; [unrolled: 1-line block ×3, first 2 shown]
	ds_store_b64 v69, v[36:37] offset:1024
	v_add_lshl_u32 v73, v182, v73, 3
	ds_store_b64 v70, v[38:39] offset:1024
	ds_store_b64 v71, v[44:45] offset:1024
	v_add_lshl_u32 v39, v191, v225, 3
	v_add_nc_u32_e32 v178, v222, v221
	v_add_nc_u32_e32 v202, v219, v218
	;; [unrolled: 1-line block ×3, first 2 shown]
	ds_store_b64 v72, v[48:49] offset:1024
	ds_store_b64 v73, v[54:55] offset:1024
	v_add_lshl_u32 v44, v194, v224, 3
	v_add_lshl_u32 v48, v200, v196, 3
	v_add_lshl_u32 v54, v206, v190, 3
	v_add_lshl_u32 v55, v209, v187, 3
	v_add_lshl_u32 v45, v197, v199, 3
	ds_store_b64 v39, v[58:59] offset:1024
	v_add_lshl_u32 v49, v203, v193, 3
	v_add_lshl_u32 v58, v208, v184, 3
	ds_store_b64 v44, v[62:63] offset:1024
	ds_store_b64 v45, v[66:67] offset:1024
	ds_store_b64 v48, v[64:65] offset:1024
	ds_store_b64 v49, v[60:61] offset:1024
	ds_store_b64 v54, v[56:57] offset:1024
	v_add_lshl_u32 v56, v205, v181, 3
	v_add_lshl_u32 v57, v202, v75, 3
	ds_store_b64 v55, v[52:53] offset:1024
	ds_store_b64 v58, v[50:51] offset:1024
	v_add_lshl_u32 v50, v178, v74, 3
	v_cmp_lt_u32_e32 vcc_lo, v1, v177
	v_add_nc_u32_e32 v38, v104, v76
	ds_store_b64 v56, v[46:47] offset:1024
	ds_store_b64 v57, v[40:41] offset:1024
	;; [unrolled: 1-line block ×3, first 2 shown]
	s_waitcnt lgkmcnt(0)
	s_barrier
	buffer_gl0_inv
	s_and_saveexec_b32 s18, vcc_lo
	s_cbranch_execz .LBB1155_1085
; %bb.1070:                             ;   in Loop: Header=BB1155_990 Depth=2
	ds_load_b64 v[36:37], v38 offset:1024
	s_waitcnt lgkmcnt(0)
	v_cmp_ne_u64_e64 s17, s[34:35], v[36:37]
	s_delay_alu instid0(VALU_DEP_1) | instskip(SKIP_2) | instid1(VALU_DEP_2)
	v_cndmask_b32_e64 v41, 0x7fffffff, v37, s17
	v_cndmask_b32_e64 v40, -1, v36, s17
	v_cmp_gt_i64_e64 s17, 0, v[36:37]
	v_lshrrev_b64 v[40:41], s40, v[40:41]
	s_delay_alu instid0(VALU_DEP_2) | instskip(NEXT) | instid1(VALU_DEP_2)
	v_cndmask_b32_e64 v42, 0x7fffffff, 0, s17
	v_and_b32_e32 v2, s42, v40
	v_ashrrev_i32_e32 v40, 31, v37
	s_delay_alu instid0(VALU_DEP_3) | instskip(NEXT) | instid1(VALU_DEP_3)
	v_xor_b32_e32 v37, v42, v37
	v_lshlrev_b32_e32 v2, 2, v2
	s_delay_alu instid0(VALU_DEP_3) | instskip(SKIP_4) | instid1(VALU_DEP_1)
	v_not_b32_e32 v43, v40
	ds_load_b32 v2, v2
	v_xor_b32_e32 v36, v43, v36
	s_waitcnt lgkmcnt(0)
	v_add_nc_u32_e32 v2, v2, v1
	v_lshlrev_b64 v[40:41], 3, v[2:3]
	s_delay_alu instid0(VALU_DEP_1) | instskip(NEXT) | instid1(VALU_DEP_1)
	v_add_co_u32 v40, s17, s48, v40
	v_add_co_ci_u32_e64 v41, s17, s49, v41, s17
	global_store_b64 v[40:41], v[36:37], off
	s_or_b32 exec_lo, exec_lo, s18
	v_cmp_lt_u32_e64 s17, v77, v177
	s_delay_alu instid0(VALU_DEP_1)
	s_and_saveexec_b32 s19, s17
	s_cbranch_execnz .LBB1155_1086
.LBB1155_1071:                          ;   in Loop: Header=BB1155_990 Depth=2
	s_or_b32 exec_lo, exec_lo, s19
	v_cmp_lt_u32_e64 s18, v78, v177
	s_delay_alu instid0(VALU_DEP_1)
	s_and_saveexec_b32 s20, s18
	s_cbranch_execz .LBB1155_1087
.LBB1155_1072:                          ;   in Loop: Header=BB1155_990 Depth=2
	ds_load_b64 v[36:37], v110 offset:4096
	s_waitcnt lgkmcnt(0)
	v_cmp_ne_u64_e64 s19, s[34:35], v[36:37]
	s_delay_alu instid0(VALU_DEP_1) | instskip(SKIP_2) | instid1(VALU_DEP_2)
	v_cndmask_b32_e64 v41, 0x7fffffff, v37, s19
	v_cndmask_b32_e64 v40, -1, v36, s19
	v_cmp_gt_i64_e64 s19, 0, v[36:37]
	v_lshrrev_b64 v[40:41], s40, v[40:41]
	s_delay_alu instid0(VALU_DEP_2) | instskip(NEXT) | instid1(VALU_DEP_2)
	v_cndmask_b32_e64 v42, 0x7fffffff, 0, s19
	v_and_b32_e32 v2, s42, v40
	v_ashrrev_i32_e32 v40, 31, v37
	s_delay_alu instid0(VALU_DEP_3) | instskip(NEXT) | instid1(VALU_DEP_3)
	v_xor_b32_e32 v37, v42, v37
	v_lshlrev_b32_e32 v2, 2, v2
	s_delay_alu instid0(VALU_DEP_3) | instskip(SKIP_4) | instid1(VALU_DEP_1)
	v_not_b32_e32 v43, v40
	ds_load_b32 v2, v2
	v_xor_b32_e32 v36, v43, v36
	s_waitcnt lgkmcnt(0)
	v_add_nc_u32_e32 v2, v2, v78
	v_lshlrev_b64 v[40:41], 3, v[2:3]
	s_delay_alu instid0(VALU_DEP_1) | instskip(NEXT) | instid1(VALU_DEP_1)
	v_add_co_u32 v40, s19, s48, v40
	v_add_co_ci_u32_e64 v41, s19, s49, v41, s19
	global_store_b64 v[40:41], v[36:37], off
	s_or_b32 exec_lo, exec_lo, s20
	v_cmp_lt_u32_e64 s19, v79, v177
	s_delay_alu instid0(VALU_DEP_1)
	s_and_saveexec_b32 s21, s19
	s_cbranch_execnz .LBB1155_1088
.LBB1155_1073:                          ;   in Loop: Header=BB1155_990 Depth=2
	s_or_b32 exec_lo, exec_lo, s21
	v_cmp_lt_u32_e64 s20, v83, v177
	s_delay_alu instid0(VALU_DEP_1)
	s_and_saveexec_b32 s22, s20
	s_cbranch_execz .LBB1155_1089
.LBB1155_1074:                          ;   in Loop: Header=BB1155_990 Depth=2
	ds_load_b64 v[36:37], v110 offset:8192
	s_waitcnt lgkmcnt(0)
	v_cmp_ne_u64_e64 s21, s[34:35], v[36:37]
	s_delay_alu instid0(VALU_DEP_1) | instskip(SKIP_2) | instid1(VALU_DEP_2)
	v_cndmask_b32_e64 v41, 0x7fffffff, v37, s21
	v_cndmask_b32_e64 v40, -1, v36, s21
	v_cmp_gt_i64_e64 s21, 0, v[36:37]
	v_lshrrev_b64 v[40:41], s40, v[40:41]
	s_delay_alu instid0(VALU_DEP_2) | instskip(NEXT) | instid1(VALU_DEP_2)
	v_cndmask_b32_e64 v42, 0x7fffffff, 0, s21
	v_and_b32_e32 v2, s42, v40
	v_ashrrev_i32_e32 v40, 31, v37
	s_delay_alu instid0(VALU_DEP_3) | instskip(NEXT) | instid1(VALU_DEP_3)
	v_xor_b32_e32 v37, v42, v37
	v_lshlrev_b32_e32 v2, 2, v2
	s_delay_alu instid0(VALU_DEP_3) | instskip(SKIP_4) | instid1(VALU_DEP_1)
	v_not_b32_e32 v43, v40
	ds_load_b32 v2, v2
	v_xor_b32_e32 v36, v43, v36
	s_waitcnt lgkmcnt(0)
	v_add_nc_u32_e32 v2, v2, v83
	v_lshlrev_b64 v[40:41], 3, v[2:3]
	s_delay_alu instid0(VALU_DEP_1) | instskip(NEXT) | instid1(VALU_DEP_1)
	v_add_co_u32 v40, s21, s48, v40
	v_add_co_ci_u32_e64 v41, s21, s49, v41, s21
	global_store_b64 v[40:41], v[36:37], off
	s_or_b32 exec_lo, exec_lo, s22
	v_cmp_lt_u32_e64 s21, v84, v177
	s_delay_alu instid0(VALU_DEP_1)
	s_and_saveexec_b32 s23, s21
	s_cbranch_execnz .LBB1155_1090
.LBB1155_1075:                          ;   in Loop: Header=BB1155_990 Depth=2
	s_or_b32 exec_lo, exec_lo, s23
	v_cmp_lt_u32_e64 s22, v85, v177
	s_delay_alu instid0(VALU_DEP_1)
	s_and_saveexec_b32 s24, s22
	s_cbranch_execz .LBB1155_1091
.LBB1155_1076:                          ;   in Loop: Header=BB1155_990 Depth=2
	ds_load_b64 v[36:37], v110 offset:12288
	s_waitcnt lgkmcnt(0)
	v_cmp_ne_u64_e64 s23, s[34:35], v[36:37]
	s_delay_alu instid0(VALU_DEP_1) | instskip(SKIP_2) | instid1(VALU_DEP_2)
	v_cndmask_b32_e64 v41, 0x7fffffff, v37, s23
	v_cndmask_b32_e64 v40, -1, v36, s23
	v_cmp_gt_i64_e64 s23, 0, v[36:37]
	v_lshrrev_b64 v[40:41], s40, v[40:41]
	s_delay_alu instid0(VALU_DEP_2) | instskip(NEXT) | instid1(VALU_DEP_2)
	v_cndmask_b32_e64 v42, 0x7fffffff, 0, s23
	v_and_b32_e32 v2, s42, v40
	v_ashrrev_i32_e32 v40, 31, v37
	s_delay_alu instid0(VALU_DEP_3) | instskip(NEXT) | instid1(VALU_DEP_3)
	v_xor_b32_e32 v37, v42, v37
	v_lshlrev_b32_e32 v2, 2, v2
	s_delay_alu instid0(VALU_DEP_3) | instskip(SKIP_4) | instid1(VALU_DEP_1)
	v_not_b32_e32 v43, v40
	ds_load_b32 v2, v2
	v_xor_b32_e32 v36, v43, v36
	s_waitcnt lgkmcnt(0)
	v_add_nc_u32_e32 v2, v2, v85
	v_lshlrev_b64 v[40:41], 3, v[2:3]
	s_delay_alu instid0(VALU_DEP_1) | instskip(NEXT) | instid1(VALU_DEP_1)
	v_add_co_u32 v40, s23, s48, v40
	v_add_co_ci_u32_e64 v41, s23, s49, v41, s23
	global_store_b64 v[40:41], v[36:37], off
	s_or_b32 exec_lo, exec_lo, s24
	v_cmp_lt_u32_e64 s23, v86, v177
	s_delay_alu instid0(VALU_DEP_1)
	s_and_saveexec_b32 s25, s23
	s_cbranch_execnz .LBB1155_1092
.LBB1155_1077:                          ;   in Loop: Header=BB1155_990 Depth=2
	s_or_b32 exec_lo, exec_lo, s25
	v_cmp_lt_u32_e64 s24, v87, v177
	s_delay_alu instid0(VALU_DEP_1)
	s_and_saveexec_b32 s26, s24
	s_cbranch_execz .LBB1155_1093
.LBB1155_1078:                          ;   in Loop: Header=BB1155_990 Depth=2
	ds_load_b64 v[36:37], v110 offset:16384
	s_waitcnt lgkmcnt(0)
	v_cmp_ne_u64_e64 s25, s[34:35], v[36:37]
	s_delay_alu instid0(VALU_DEP_1) | instskip(SKIP_2) | instid1(VALU_DEP_2)
	v_cndmask_b32_e64 v41, 0x7fffffff, v37, s25
	v_cndmask_b32_e64 v40, -1, v36, s25
	v_cmp_gt_i64_e64 s25, 0, v[36:37]
	v_lshrrev_b64 v[40:41], s40, v[40:41]
	s_delay_alu instid0(VALU_DEP_2) | instskip(NEXT) | instid1(VALU_DEP_2)
	v_cndmask_b32_e64 v42, 0x7fffffff, 0, s25
	v_and_b32_e32 v2, s42, v40
	v_ashrrev_i32_e32 v40, 31, v37
	s_delay_alu instid0(VALU_DEP_3) | instskip(NEXT) | instid1(VALU_DEP_3)
	v_xor_b32_e32 v37, v42, v37
	v_lshlrev_b32_e32 v2, 2, v2
	s_delay_alu instid0(VALU_DEP_3) | instskip(SKIP_4) | instid1(VALU_DEP_1)
	v_not_b32_e32 v43, v40
	ds_load_b32 v2, v2
	v_xor_b32_e32 v36, v43, v36
	s_waitcnt lgkmcnt(0)
	v_add_nc_u32_e32 v2, v2, v87
	v_lshlrev_b64 v[40:41], 3, v[2:3]
	s_delay_alu instid0(VALU_DEP_1) | instskip(NEXT) | instid1(VALU_DEP_1)
	v_add_co_u32 v40, s25, s48, v40
	v_add_co_ci_u32_e64 v41, s25, s49, v41, s25
	global_store_b64 v[40:41], v[36:37], off
	s_or_b32 exec_lo, exec_lo, s26
	v_cmp_lt_u32_e64 s25, v88, v177
	s_delay_alu instid0(VALU_DEP_1)
	s_and_saveexec_b32 s27, s25
	s_cbranch_execnz .LBB1155_1094
.LBB1155_1079:                          ;   in Loop: Header=BB1155_990 Depth=2
	s_or_b32 exec_lo, exec_lo, s27
	v_cmp_lt_u32_e64 s26, v89, v177
	s_delay_alu instid0(VALU_DEP_1)
	s_and_saveexec_b32 s28, s26
	s_cbranch_execz .LBB1155_1095
.LBB1155_1080:                          ;   in Loop: Header=BB1155_990 Depth=2
	ds_load_b64 v[36:37], v110 offset:20480
	s_waitcnt lgkmcnt(0)
	v_cmp_ne_u64_e64 s27, s[34:35], v[36:37]
	s_delay_alu instid0(VALU_DEP_1) | instskip(SKIP_2) | instid1(VALU_DEP_2)
	v_cndmask_b32_e64 v41, 0x7fffffff, v37, s27
	v_cndmask_b32_e64 v40, -1, v36, s27
	v_cmp_gt_i64_e64 s27, 0, v[36:37]
	v_lshrrev_b64 v[40:41], s40, v[40:41]
	s_delay_alu instid0(VALU_DEP_2) | instskip(NEXT) | instid1(VALU_DEP_2)
	v_cndmask_b32_e64 v42, 0x7fffffff, 0, s27
	v_and_b32_e32 v2, s42, v40
	v_ashrrev_i32_e32 v40, 31, v37
	s_delay_alu instid0(VALU_DEP_3) | instskip(NEXT) | instid1(VALU_DEP_3)
	v_xor_b32_e32 v37, v42, v37
	v_lshlrev_b32_e32 v2, 2, v2
	s_delay_alu instid0(VALU_DEP_3) | instskip(SKIP_4) | instid1(VALU_DEP_1)
	v_not_b32_e32 v43, v40
	ds_load_b32 v2, v2
	v_xor_b32_e32 v36, v43, v36
	s_waitcnt lgkmcnt(0)
	v_add_nc_u32_e32 v2, v2, v89
	v_lshlrev_b64 v[40:41], 3, v[2:3]
	s_delay_alu instid0(VALU_DEP_1) | instskip(NEXT) | instid1(VALU_DEP_1)
	v_add_co_u32 v40, s27, s48, v40
	v_add_co_ci_u32_e64 v41, s27, s49, v41, s27
	global_store_b64 v[40:41], v[36:37], off
	s_or_b32 exec_lo, exec_lo, s28
	v_cmp_lt_u32_e64 s27, v90, v177
	s_delay_alu instid0(VALU_DEP_1)
	s_and_saveexec_b32 s29, s27
	s_cbranch_execnz .LBB1155_1096
.LBB1155_1081:                          ;   in Loop: Header=BB1155_990 Depth=2
	s_or_b32 exec_lo, exec_lo, s29
	v_cmp_lt_u32_e64 s28, v91, v177
	s_delay_alu instid0(VALU_DEP_1)
	s_and_saveexec_b32 s30, s28
	s_cbranch_execz .LBB1155_1097
.LBB1155_1082:                          ;   in Loop: Header=BB1155_990 Depth=2
	ds_load_b64 v[36:37], v110 offset:24576
	s_waitcnt lgkmcnt(0)
	v_cmp_ne_u64_e64 s29, s[34:35], v[36:37]
	s_delay_alu instid0(VALU_DEP_1) | instskip(SKIP_2) | instid1(VALU_DEP_2)
	v_cndmask_b32_e64 v41, 0x7fffffff, v37, s29
	v_cndmask_b32_e64 v40, -1, v36, s29
	v_cmp_gt_i64_e64 s29, 0, v[36:37]
	v_lshrrev_b64 v[40:41], s40, v[40:41]
	s_delay_alu instid0(VALU_DEP_2) | instskip(NEXT) | instid1(VALU_DEP_2)
	v_cndmask_b32_e64 v42, 0x7fffffff, 0, s29
	v_and_b32_e32 v2, s42, v40
	v_ashrrev_i32_e32 v40, 31, v37
	s_delay_alu instid0(VALU_DEP_3) | instskip(NEXT) | instid1(VALU_DEP_3)
	v_xor_b32_e32 v37, v42, v37
	v_lshlrev_b32_e32 v2, 2, v2
	s_delay_alu instid0(VALU_DEP_3) | instskip(SKIP_4) | instid1(VALU_DEP_1)
	v_not_b32_e32 v43, v40
	ds_load_b32 v2, v2
	v_xor_b32_e32 v36, v43, v36
	s_waitcnt lgkmcnt(0)
	v_add_nc_u32_e32 v2, v2, v91
	v_lshlrev_b64 v[40:41], 3, v[2:3]
	s_delay_alu instid0(VALU_DEP_1) | instskip(NEXT) | instid1(VALU_DEP_1)
	v_add_co_u32 v40, s29, s48, v40
	v_add_co_ci_u32_e64 v41, s29, s49, v41, s29
	global_store_b64 v[40:41], v[36:37], off
	s_or_b32 exec_lo, exec_lo, s30
	v_cmp_lt_u32_e64 s29, v92, v177
	s_delay_alu instid0(VALU_DEP_1)
	s_and_saveexec_b32 s31, s29
	s_cbranch_execnz .LBB1155_1098
.LBB1155_1083:                          ;   in Loop: Header=BB1155_990 Depth=2
	s_or_b32 exec_lo, exec_lo, s31
	v_cmp_lt_u32_e64 s30, v93, v177
	s_delay_alu instid0(VALU_DEP_1)
	s_and_saveexec_b32 s33, s30
	s_cbranch_execz .LBB1155_1099
.LBB1155_1084:                          ;   in Loop: Header=BB1155_990 Depth=2
	ds_load_b64 v[36:37], v110 offset:28672
	s_waitcnt lgkmcnt(0)
	v_cmp_ne_u64_e64 s31, s[34:35], v[36:37]
	s_delay_alu instid0(VALU_DEP_1) | instskip(SKIP_2) | instid1(VALU_DEP_2)
	v_cndmask_b32_e64 v41, 0x7fffffff, v37, s31
	v_cndmask_b32_e64 v40, -1, v36, s31
	v_cmp_gt_i64_e64 s31, 0, v[36:37]
	v_lshrrev_b64 v[40:41], s40, v[40:41]
	s_delay_alu instid0(VALU_DEP_2) | instskip(NEXT) | instid1(VALU_DEP_2)
	v_cndmask_b32_e64 v42, 0x7fffffff, 0, s31
	v_and_b32_e32 v2, s42, v40
	v_ashrrev_i32_e32 v40, 31, v37
	s_delay_alu instid0(VALU_DEP_3) | instskip(NEXT) | instid1(VALU_DEP_3)
	v_xor_b32_e32 v37, v42, v37
	v_lshlrev_b32_e32 v2, 2, v2
	s_delay_alu instid0(VALU_DEP_3) | instskip(SKIP_4) | instid1(VALU_DEP_1)
	v_not_b32_e32 v43, v40
	ds_load_b32 v2, v2
	v_xor_b32_e32 v36, v43, v36
	s_waitcnt lgkmcnt(0)
	v_add_nc_u32_e32 v2, v2, v93
	v_lshlrev_b64 v[40:41], 3, v[2:3]
	s_delay_alu instid0(VALU_DEP_1) | instskip(NEXT) | instid1(VALU_DEP_1)
	v_add_co_u32 v40, s31, s48, v40
	v_add_co_ci_u32_e64 v41, s31, s49, v41, s31
	global_store_b64 v[40:41], v[36:37], off
	s_or_b32 exec_lo, exec_lo, s33
	v_cmp_lt_u32_e64 s31, v95, v177
	s_delay_alu instid0(VALU_DEP_1)
	s_and_saveexec_b32 s39, s31
	s_cbranch_execnz .LBB1155_1100
	s_branch .LBB1155_1101
.LBB1155_1085:                          ;   in Loop: Header=BB1155_990 Depth=2
	s_or_b32 exec_lo, exec_lo, s18
	v_cmp_lt_u32_e64 s17, v77, v177
	s_delay_alu instid0(VALU_DEP_1)
	s_and_saveexec_b32 s19, s17
	s_cbranch_execz .LBB1155_1071
.LBB1155_1086:                          ;   in Loop: Header=BB1155_990 Depth=2
	ds_load_b64 v[36:37], v110 offset:2048
	s_waitcnt lgkmcnt(0)
	v_cmp_ne_u64_e64 s18, s[34:35], v[36:37]
	s_delay_alu instid0(VALU_DEP_1) | instskip(SKIP_2) | instid1(VALU_DEP_2)
	v_cndmask_b32_e64 v41, 0x7fffffff, v37, s18
	v_cndmask_b32_e64 v40, -1, v36, s18
	v_cmp_gt_i64_e64 s18, 0, v[36:37]
	v_lshrrev_b64 v[40:41], s40, v[40:41]
	s_delay_alu instid0(VALU_DEP_2) | instskip(NEXT) | instid1(VALU_DEP_2)
	v_cndmask_b32_e64 v42, 0x7fffffff, 0, s18
	v_and_b32_e32 v2, s42, v40
	v_ashrrev_i32_e32 v40, 31, v37
	s_delay_alu instid0(VALU_DEP_3) | instskip(NEXT) | instid1(VALU_DEP_3)
	v_xor_b32_e32 v37, v42, v37
	v_lshlrev_b32_e32 v2, 2, v2
	s_delay_alu instid0(VALU_DEP_3) | instskip(SKIP_4) | instid1(VALU_DEP_1)
	v_not_b32_e32 v43, v40
	ds_load_b32 v2, v2
	v_xor_b32_e32 v36, v43, v36
	s_waitcnt lgkmcnt(0)
	v_add_nc_u32_e32 v2, v2, v77
	v_lshlrev_b64 v[40:41], 3, v[2:3]
	s_delay_alu instid0(VALU_DEP_1) | instskip(NEXT) | instid1(VALU_DEP_1)
	v_add_co_u32 v40, s18, s48, v40
	v_add_co_ci_u32_e64 v41, s18, s49, v41, s18
	global_store_b64 v[40:41], v[36:37], off
	s_or_b32 exec_lo, exec_lo, s19
	v_cmp_lt_u32_e64 s18, v78, v177
	s_delay_alu instid0(VALU_DEP_1)
	s_and_saveexec_b32 s20, s18
	s_cbranch_execnz .LBB1155_1072
.LBB1155_1087:                          ;   in Loop: Header=BB1155_990 Depth=2
	s_or_b32 exec_lo, exec_lo, s20
	v_cmp_lt_u32_e64 s19, v79, v177
	s_delay_alu instid0(VALU_DEP_1)
	s_and_saveexec_b32 s21, s19
	s_cbranch_execz .LBB1155_1073
.LBB1155_1088:                          ;   in Loop: Header=BB1155_990 Depth=2
	ds_load_b64 v[36:37], v110 offset:6144
	s_waitcnt lgkmcnt(0)
	v_cmp_ne_u64_e64 s20, s[34:35], v[36:37]
	s_delay_alu instid0(VALU_DEP_1) | instskip(SKIP_2) | instid1(VALU_DEP_2)
	v_cndmask_b32_e64 v41, 0x7fffffff, v37, s20
	v_cndmask_b32_e64 v40, -1, v36, s20
	v_cmp_gt_i64_e64 s20, 0, v[36:37]
	v_lshrrev_b64 v[40:41], s40, v[40:41]
	s_delay_alu instid0(VALU_DEP_2) | instskip(NEXT) | instid1(VALU_DEP_2)
	v_cndmask_b32_e64 v42, 0x7fffffff, 0, s20
	v_and_b32_e32 v2, s42, v40
	v_ashrrev_i32_e32 v40, 31, v37
	s_delay_alu instid0(VALU_DEP_3) | instskip(NEXT) | instid1(VALU_DEP_3)
	v_xor_b32_e32 v37, v42, v37
	v_lshlrev_b32_e32 v2, 2, v2
	s_delay_alu instid0(VALU_DEP_3) | instskip(SKIP_4) | instid1(VALU_DEP_1)
	v_not_b32_e32 v43, v40
	ds_load_b32 v2, v2
	v_xor_b32_e32 v36, v43, v36
	s_waitcnt lgkmcnt(0)
	v_add_nc_u32_e32 v2, v2, v79
	v_lshlrev_b64 v[40:41], 3, v[2:3]
	s_delay_alu instid0(VALU_DEP_1) | instskip(NEXT) | instid1(VALU_DEP_1)
	v_add_co_u32 v40, s20, s48, v40
	v_add_co_ci_u32_e64 v41, s20, s49, v41, s20
	global_store_b64 v[40:41], v[36:37], off
	s_or_b32 exec_lo, exec_lo, s21
	v_cmp_lt_u32_e64 s20, v83, v177
	s_delay_alu instid0(VALU_DEP_1)
	s_and_saveexec_b32 s22, s20
	s_cbranch_execnz .LBB1155_1074
.LBB1155_1089:                          ;   in Loop: Header=BB1155_990 Depth=2
	s_or_b32 exec_lo, exec_lo, s22
	v_cmp_lt_u32_e64 s21, v84, v177
	s_delay_alu instid0(VALU_DEP_1)
	s_and_saveexec_b32 s23, s21
	s_cbranch_execz .LBB1155_1075
.LBB1155_1090:                          ;   in Loop: Header=BB1155_990 Depth=2
	ds_load_b64 v[36:37], v110 offset:10240
	s_waitcnt lgkmcnt(0)
	v_cmp_ne_u64_e64 s22, s[34:35], v[36:37]
	s_delay_alu instid0(VALU_DEP_1) | instskip(SKIP_2) | instid1(VALU_DEP_2)
	v_cndmask_b32_e64 v41, 0x7fffffff, v37, s22
	v_cndmask_b32_e64 v40, -1, v36, s22
	v_cmp_gt_i64_e64 s22, 0, v[36:37]
	v_lshrrev_b64 v[40:41], s40, v[40:41]
	s_delay_alu instid0(VALU_DEP_2) | instskip(NEXT) | instid1(VALU_DEP_2)
	v_cndmask_b32_e64 v42, 0x7fffffff, 0, s22
	v_and_b32_e32 v2, s42, v40
	v_ashrrev_i32_e32 v40, 31, v37
	s_delay_alu instid0(VALU_DEP_3) | instskip(NEXT) | instid1(VALU_DEP_3)
	v_xor_b32_e32 v37, v42, v37
	v_lshlrev_b32_e32 v2, 2, v2
	s_delay_alu instid0(VALU_DEP_3) | instskip(SKIP_4) | instid1(VALU_DEP_1)
	v_not_b32_e32 v43, v40
	ds_load_b32 v2, v2
	v_xor_b32_e32 v36, v43, v36
	s_waitcnt lgkmcnt(0)
	v_add_nc_u32_e32 v2, v2, v84
	v_lshlrev_b64 v[40:41], 3, v[2:3]
	s_delay_alu instid0(VALU_DEP_1) | instskip(NEXT) | instid1(VALU_DEP_1)
	v_add_co_u32 v40, s22, s48, v40
	v_add_co_ci_u32_e64 v41, s22, s49, v41, s22
	global_store_b64 v[40:41], v[36:37], off
	s_or_b32 exec_lo, exec_lo, s23
	v_cmp_lt_u32_e64 s22, v85, v177
	s_delay_alu instid0(VALU_DEP_1)
	s_and_saveexec_b32 s24, s22
	s_cbranch_execnz .LBB1155_1076
.LBB1155_1091:                          ;   in Loop: Header=BB1155_990 Depth=2
	s_or_b32 exec_lo, exec_lo, s24
	v_cmp_lt_u32_e64 s23, v86, v177
	s_delay_alu instid0(VALU_DEP_1)
	s_and_saveexec_b32 s25, s23
	s_cbranch_execz .LBB1155_1077
.LBB1155_1092:                          ;   in Loop: Header=BB1155_990 Depth=2
	ds_load_b64 v[36:37], v110 offset:14336
	s_waitcnt lgkmcnt(0)
	v_cmp_ne_u64_e64 s24, s[34:35], v[36:37]
	s_delay_alu instid0(VALU_DEP_1) | instskip(SKIP_2) | instid1(VALU_DEP_2)
	v_cndmask_b32_e64 v41, 0x7fffffff, v37, s24
	v_cndmask_b32_e64 v40, -1, v36, s24
	v_cmp_gt_i64_e64 s24, 0, v[36:37]
	v_lshrrev_b64 v[40:41], s40, v[40:41]
	s_delay_alu instid0(VALU_DEP_2) | instskip(NEXT) | instid1(VALU_DEP_2)
	v_cndmask_b32_e64 v42, 0x7fffffff, 0, s24
	v_and_b32_e32 v2, s42, v40
	v_ashrrev_i32_e32 v40, 31, v37
	s_delay_alu instid0(VALU_DEP_3) | instskip(NEXT) | instid1(VALU_DEP_3)
	v_xor_b32_e32 v37, v42, v37
	v_lshlrev_b32_e32 v2, 2, v2
	s_delay_alu instid0(VALU_DEP_3) | instskip(SKIP_4) | instid1(VALU_DEP_1)
	v_not_b32_e32 v43, v40
	ds_load_b32 v2, v2
	v_xor_b32_e32 v36, v43, v36
	s_waitcnt lgkmcnt(0)
	v_add_nc_u32_e32 v2, v2, v86
	v_lshlrev_b64 v[40:41], 3, v[2:3]
	s_delay_alu instid0(VALU_DEP_1) | instskip(NEXT) | instid1(VALU_DEP_1)
	v_add_co_u32 v40, s24, s48, v40
	v_add_co_ci_u32_e64 v41, s24, s49, v41, s24
	global_store_b64 v[40:41], v[36:37], off
	s_or_b32 exec_lo, exec_lo, s25
	v_cmp_lt_u32_e64 s24, v87, v177
	s_delay_alu instid0(VALU_DEP_1)
	s_and_saveexec_b32 s26, s24
	s_cbranch_execnz .LBB1155_1078
.LBB1155_1093:                          ;   in Loop: Header=BB1155_990 Depth=2
	s_or_b32 exec_lo, exec_lo, s26
	v_cmp_lt_u32_e64 s25, v88, v177
	s_delay_alu instid0(VALU_DEP_1)
	s_and_saveexec_b32 s27, s25
	s_cbranch_execz .LBB1155_1079
.LBB1155_1094:                          ;   in Loop: Header=BB1155_990 Depth=2
	ds_load_b64 v[36:37], v110 offset:18432
	s_waitcnt lgkmcnt(0)
	v_cmp_ne_u64_e64 s26, s[34:35], v[36:37]
	s_delay_alu instid0(VALU_DEP_1) | instskip(SKIP_2) | instid1(VALU_DEP_2)
	v_cndmask_b32_e64 v41, 0x7fffffff, v37, s26
	v_cndmask_b32_e64 v40, -1, v36, s26
	v_cmp_gt_i64_e64 s26, 0, v[36:37]
	v_lshrrev_b64 v[40:41], s40, v[40:41]
	s_delay_alu instid0(VALU_DEP_2) | instskip(NEXT) | instid1(VALU_DEP_2)
	v_cndmask_b32_e64 v42, 0x7fffffff, 0, s26
	v_and_b32_e32 v2, s42, v40
	v_ashrrev_i32_e32 v40, 31, v37
	s_delay_alu instid0(VALU_DEP_3) | instskip(NEXT) | instid1(VALU_DEP_3)
	v_xor_b32_e32 v37, v42, v37
	v_lshlrev_b32_e32 v2, 2, v2
	s_delay_alu instid0(VALU_DEP_3) | instskip(SKIP_4) | instid1(VALU_DEP_1)
	v_not_b32_e32 v43, v40
	ds_load_b32 v2, v2
	v_xor_b32_e32 v36, v43, v36
	s_waitcnt lgkmcnt(0)
	v_add_nc_u32_e32 v2, v2, v88
	v_lshlrev_b64 v[40:41], 3, v[2:3]
	s_delay_alu instid0(VALU_DEP_1) | instskip(NEXT) | instid1(VALU_DEP_1)
	v_add_co_u32 v40, s26, s48, v40
	v_add_co_ci_u32_e64 v41, s26, s49, v41, s26
	global_store_b64 v[40:41], v[36:37], off
	s_or_b32 exec_lo, exec_lo, s27
	v_cmp_lt_u32_e64 s26, v89, v177
	s_delay_alu instid0(VALU_DEP_1)
	s_and_saveexec_b32 s28, s26
	s_cbranch_execnz .LBB1155_1080
.LBB1155_1095:                          ;   in Loop: Header=BB1155_990 Depth=2
	s_or_b32 exec_lo, exec_lo, s28
	v_cmp_lt_u32_e64 s27, v90, v177
	s_delay_alu instid0(VALU_DEP_1)
	s_and_saveexec_b32 s29, s27
	s_cbranch_execz .LBB1155_1081
.LBB1155_1096:                          ;   in Loop: Header=BB1155_990 Depth=2
	ds_load_b64 v[36:37], v110 offset:22528
	s_waitcnt lgkmcnt(0)
	v_cmp_ne_u64_e64 s28, s[34:35], v[36:37]
	s_delay_alu instid0(VALU_DEP_1) | instskip(SKIP_2) | instid1(VALU_DEP_2)
	v_cndmask_b32_e64 v41, 0x7fffffff, v37, s28
	v_cndmask_b32_e64 v40, -1, v36, s28
	v_cmp_gt_i64_e64 s28, 0, v[36:37]
	v_lshrrev_b64 v[40:41], s40, v[40:41]
	s_delay_alu instid0(VALU_DEP_2) | instskip(NEXT) | instid1(VALU_DEP_2)
	v_cndmask_b32_e64 v42, 0x7fffffff, 0, s28
	v_and_b32_e32 v2, s42, v40
	v_ashrrev_i32_e32 v40, 31, v37
	s_delay_alu instid0(VALU_DEP_3) | instskip(NEXT) | instid1(VALU_DEP_3)
	v_xor_b32_e32 v37, v42, v37
	v_lshlrev_b32_e32 v2, 2, v2
	s_delay_alu instid0(VALU_DEP_3) | instskip(SKIP_4) | instid1(VALU_DEP_1)
	v_not_b32_e32 v43, v40
	ds_load_b32 v2, v2
	v_xor_b32_e32 v36, v43, v36
	s_waitcnt lgkmcnt(0)
	v_add_nc_u32_e32 v2, v2, v90
	v_lshlrev_b64 v[40:41], 3, v[2:3]
	s_delay_alu instid0(VALU_DEP_1) | instskip(NEXT) | instid1(VALU_DEP_1)
	v_add_co_u32 v40, s28, s48, v40
	v_add_co_ci_u32_e64 v41, s28, s49, v41, s28
	global_store_b64 v[40:41], v[36:37], off
	s_or_b32 exec_lo, exec_lo, s29
	v_cmp_lt_u32_e64 s28, v91, v177
	s_delay_alu instid0(VALU_DEP_1)
	s_and_saveexec_b32 s30, s28
	s_cbranch_execnz .LBB1155_1082
.LBB1155_1097:                          ;   in Loop: Header=BB1155_990 Depth=2
	s_or_b32 exec_lo, exec_lo, s30
	v_cmp_lt_u32_e64 s29, v92, v177
	s_delay_alu instid0(VALU_DEP_1)
	s_and_saveexec_b32 s31, s29
	s_cbranch_execz .LBB1155_1083
.LBB1155_1098:                          ;   in Loop: Header=BB1155_990 Depth=2
	ds_load_b64 v[36:37], v110 offset:26624
	s_waitcnt lgkmcnt(0)
	v_cmp_ne_u64_e64 s30, s[34:35], v[36:37]
	s_delay_alu instid0(VALU_DEP_1) | instskip(SKIP_2) | instid1(VALU_DEP_2)
	v_cndmask_b32_e64 v41, 0x7fffffff, v37, s30
	v_cndmask_b32_e64 v40, -1, v36, s30
	v_cmp_gt_i64_e64 s30, 0, v[36:37]
	v_lshrrev_b64 v[40:41], s40, v[40:41]
	s_delay_alu instid0(VALU_DEP_2) | instskip(NEXT) | instid1(VALU_DEP_2)
	v_cndmask_b32_e64 v42, 0x7fffffff, 0, s30
	v_and_b32_e32 v2, s42, v40
	v_ashrrev_i32_e32 v40, 31, v37
	s_delay_alu instid0(VALU_DEP_3) | instskip(NEXT) | instid1(VALU_DEP_3)
	v_xor_b32_e32 v37, v42, v37
	v_lshlrev_b32_e32 v2, 2, v2
	s_delay_alu instid0(VALU_DEP_3) | instskip(SKIP_4) | instid1(VALU_DEP_1)
	v_not_b32_e32 v43, v40
	ds_load_b32 v2, v2
	v_xor_b32_e32 v36, v43, v36
	s_waitcnt lgkmcnt(0)
	v_add_nc_u32_e32 v2, v2, v92
	v_lshlrev_b64 v[40:41], 3, v[2:3]
	s_delay_alu instid0(VALU_DEP_1) | instskip(NEXT) | instid1(VALU_DEP_1)
	v_add_co_u32 v40, s30, s48, v40
	v_add_co_ci_u32_e64 v41, s30, s49, v41, s30
	global_store_b64 v[40:41], v[36:37], off
	s_or_b32 exec_lo, exec_lo, s31
	v_cmp_lt_u32_e64 s30, v93, v177
	s_delay_alu instid0(VALU_DEP_1)
	s_and_saveexec_b32 s33, s30
	s_cbranch_execnz .LBB1155_1084
.LBB1155_1099:                          ;   in Loop: Header=BB1155_990 Depth=2
	s_or_b32 exec_lo, exec_lo, s33
	v_cmp_lt_u32_e64 s31, v95, v177
	s_delay_alu instid0(VALU_DEP_1)
	s_and_saveexec_b32 s39, s31
	s_cbranch_execz .LBB1155_1101
.LBB1155_1100:                          ;   in Loop: Header=BB1155_990 Depth=2
	ds_load_b64 v[36:37], v110 offset:30720
	s_waitcnt lgkmcnt(0)
	v_cmp_ne_u64_e64 s33, s[34:35], v[36:37]
	s_delay_alu instid0(VALU_DEP_1) | instskip(SKIP_2) | instid1(VALU_DEP_2)
	v_cndmask_b32_e64 v41, 0x7fffffff, v37, s33
	v_cndmask_b32_e64 v40, -1, v36, s33
	v_cmp_gt_i64_e64 s33, 0, v[36:37]
	v_lshrrev_b64 v[40:41], s40, v[40:41]
	s_delay_alu instid0(VALU_DEP_2) | instskip(NEXT) | instid1(VALU_DEP_2)
	v_cndmask_b32_e64 v42, 0x7fffffff, 0, s33
	v_and_b32_e32 v2, s42, v40
	v_ashrrev_i32_e32 v40, 31, v37
	s_delay_alu instid0(VALU_DEP_3) | instskip(NEXT) | instid1(VALU_DEP_3)
	v_xor_b32_e32 v37, v42, v37
	v_lshlrev_b32_e32 v2, 2, v2
	s_delay_alu instid0(VALU_DEP_3) | instskip(SKIP_4) | instid1(VALU_DEP_1)
	v_not_b32_e32 v43, v40
	ds_load_b32 v2, v2
	v_xor_b32_e32 v36, v43, v36
	s_waitcnt lgkmcnt(0)
	v_add_nc_u32_e32 v2, v2, v95
	v_lshlrev_b64 v[40:41], 3, v[2:3]
	s_delay_alu instid0(VALU_DEP_1) | instskip(NEXT) | instid1(VALU_DEP_1)
	v_add_co_u32 v40, s33, s48, v40
	v_add_co_ci_u32_e64 v41, s33, s49, v41, s33
	global_store_b64 v[40:41], v[36:37], off
.LBB1155_1101:                          ;   in Loop: Header=BB1155_990 Depth=2
	s_or_b32 exec_lo, exec_lo, s39
	s_mov_b32 s39, s34
	s_delay_alu instid0(SALU_CYCLE_1) | instskip(NEXT) | instid1(SALU_CYCLE_1)
	s_lshl_b64 s[38:39], s[38:39], 3
	v_add_co_u32 v36, s33, v139, s38
	s_delay_alu instid0(VALU_DEP_1) | instskip(SKIP_1) | instid1(VALU_DEP_1)
	v_add_co_ci_u32_e64 v37, s33, s39, v140, s33
	v_cmp_lt_u32_e64 s33, v138, v177
	s_and_saveexec_b32 s38, s33
	s_delay_alu instid0(SALU_CYCLE_1)
	s_xor_b32 s33, exec_lo, s38
	s_cbranch_execz .LBB1155_1133
; %bb.1102:                             ;   in Loop: Header=BB1155_990 Depth=2
	global_load_b64 v[34:35], v[36:37], off
	s_or_b32 exec_lo, exec_lo, s33
	s_delay_alu instid0(SALU_CYCLE_1)
	s_mov_b32 s38, exec_lo
	v_cmpx_lt_u32_e64 v141, v177
	s_cbranch_execnz .LBB1155_1134
.LBB1155_1103:                          ;   in Loop: Header=BB1155_990 Depth=2
	s_or_b32 exec_lo, exec_lo, s38
	s_delay_alu instid0(SALU_CYCLE_1)
	s_mov_b32 s38, exec_lo
	v_cmpx_lt_u32_e64 v142, v177
	s_cbranch_execz .LBB1155_1135
.LBB1155_1104:                          ;   in Loop: Header=BB1155_990 Depth=2
	global_load_b64 v[30:31], v[36:37], off offset:512
	s_or_b32 exec_lo, exec_lo, s38
	s_delay_alu instid0(SALU_CYCLE_1)
	s_mov_b32 s38, exec_lo
	v_cmpx_lt_u32_e64 v143, v177
	s_cbranch_execnz .LBB1155_1136
.LBB1155_1105:                          ;   in Loop: Header=BB1155_990 Depth=2
	s_or_b32 exec_lo, exec_lo, s38
	s_delay_alu instid0(SALU_CYCLE_1)
	s_mov_b32 s38, exec_lo
	v_cmpx_lt_u32_e64 v144, v177
	s_cbranch_execz .LBB1155_1137
.LBB1155_1106:                          ;   in Loop: Header=BB1155_990 Depth=2
	global_load_b64 v[26:27], v[36:37], off offset:1024
	s_or_b32 exec_lo, exec_lo, s38
	s_delay_alu instid0(SALU_CYCLE_1)
	s_mov_b32 s38, exec_lo
	v_cmpx_lt_u32_e64 v145, v177
	s_cbranch_execnz .LBB1155_1138
.LBB1155_1107:                          ;   in Loop: Header=BB1155_990 Depth=2
	s_or_b32 exec_lo, exec_lo, s38
	s_delay_alu instid0(SALU_CYCLE_1)
	s_mov_b32 s38, exec_lo
	v_cmpx_lt_u32_e64 v146, v177
	s_cbranch_execz .LBB1155_1139
.LBB1155_1108:                          ;   in Loop: Header=BB1155_990 Depth=2
	global_load_b64 v[22:23], v[36:37], off offset:1536
	s_or_b32 exec_lo, exec_lo, s38
	s_delay_alu instid0(SALU_CYCLE_1)
	s_mov_b32 s38, exec_lo
	v_cmpx_lt_u32_e64 v147, v177
	s_cbranch_execnz .LBB1155_1140
.LBB1155_1109:                          ;   in Loop: Header=BB1155_990 Depth=2
	s_or_b32 exec_lo, exec_lo, s38
	s_delay_alu instid0(SALU_CYCLE_1)
	s_mov_b32 s38, exec_lo
	v_cmpx_lt_u32_e64 v148, v177
	s_cbranch_execz .LBB1155_1141
.LBB1155_1110:                          ;   in Loop: Header=BB1155_990 Depth=2
	global_load_b64 v[18:19], v[36:37], off offset:2048
	s_or_b32 exec_lo, exec_lo, s38
	s_delay_alu instid0(SALU_CYCLE_1)
	s_mov_b32 s38, exec_lo
	v_cmpx_lt_u32_e64 v149, v177
	s_cbranch_execnz .LBB1155_1142
.LBB1155_1111:                          ;   in Loop: Header=BB1155_990 Depth=2
	s_or_b32 exec_lo, exec_lo, s38
	s_delay_alu instid0(SALU_CYCLE_1)
	s_mov_b32 s38, exec_lo
	v_cmpx_lt_u32_e64 v150, v177
	s_cbranch_execz .LBB1155_1143
.LBB1155_1112:                          ;   in Loop: Header=BB1155_990 Depth=2
	global_load_b64 v[14:15], v[36:37], off offset:2560
	s_or_b32 exec_lo, exec_lo, s38
	s_delay_alu instid0(SALU_CYCLE_1)
	s_mov_b32 s38, exec_lo
	v_cmpx_lt_u32_e64 v151, v177
	s_cbranch_execnz .LBB1155_1144
.LBB1155_1113:                          ;   in Loop: Header=BB1155_990 Depth=2
	s_or_b32 exec_lo, exec_lo, s38
	s_delay_alu instid0(SALU_CYCLE_1)
	s_mov_b32 s38, exec_lo
	v_cmpx_lt_u32_e64 v152, v177
	s_cbranch_execz .LBB1155_1145
.LBB1155_1114:                          ;   in Loop: Header=BB1155_990 Depth=2
	global_load_b64 v[10:11], v[36:37], off offset:3072
	s_or_b32 exec_lo, exec_lo, s38
	s_delay_alu instid0(SALU_CYCLE_1)
	s_mov_b32 s38, exec_lo
	v_cmpx_lt_u32_e64 v153, v177
	s_cbranch_execnz .LBB1155_1146
.LBB1155_1115:                          ;   in Loop: Header=BB1155_990 Depth=2
	s_or_b32 exec_lo, exec_lo, s38
	s_delay_alu instid0(SALU_CYCLE_1)
	s_mov_b32 s38, exec_lo
	v_cmpx_lt_u32_e64 v154, v177
	s_cbranch_execz .LBB1155_1147
.LBB1155_1116:                          ;   in Loop: Header=BB1155_990 Depth=2
	global_load_b64 v[6:7], v[36:37], off offset:3584
	s_or_b32 exec_lo, exec_lo, s38
	s_delay_alu instid0(SALU_CYCLE_1)
	s_mov_b32 s38, exec_lo
	v_cmpx_lt_u32_e64 v155, v177
	s_cbranch_execnz .LBB1155_1148
.LBB1155_1117:                          ;   in Loop: Header=BB1155_990 Depth=2
	s_or_b32 exec_lo, exec_lo, s38
	s_and_saveexec_b32 s38, vcc_lo
	s_cbranch_execz .LBB1155_1149
.LBB1155_1118:                          ;   in Loop: Header=BB1155_990 Depth=2
	ds_load_b64 v[36:37], v38 offset:1024
	s_waitcnt lgkmcnt(0)
	v_cmp_ne_u64_e64 s33, s[34:35], v[36:37]
	s_delay_alu instid0(VALU_DEP_1) | instskip(SKIP_1) | instid1(VALU_DEP_1)
	v_cndmask_b32_e64 v37, 0x7fffffff, v37, s33
	v_cndmask_b32_e64 v36, -1, v36, s33
	v_lshrrev_b64 v[36:37], s40, v[36:37]
	s_delay_alu instid0(VALU_DEP_1)
	v_and_b32_e32 v176, s42, v36
	s_or_b32 exec_lo, exec_lo, s38
	s_and_saveexec_b32 s38, s17
	s_cbranch_execnz .LBB1155_1150
.LBB1155_1119:                          ;   in Loop: Header=BB1155_990 Depth=2
	s_or_b32 exec_lo, exec_lo, s38
	s_and_saveexec_b32 s38, s18
	s_cbranch_execz .LBB1155_1151
.LBB1155_1120:                          ;   in Loop: Header=BB1155_990 Depth=2
	ds_load_b64 v[36:37], v110 offset:4096
	s_waitcnt lgkmcnt(0)
	v_cmp_ne_u64_e64 s33, s[34:35], v[36:37]
	s_delay_alu instid0(VALU_DEP_1) | instskip(SKIP_1) | instid1(VALU_DEP_1)
	v_cndmask_b32_e64 v37, 0x7fffffff, v37, s33
	v_cndmask_b32_e64 v36, -1, v36, s33
	v_lshrrev_b64 v[36:37], s40, v[36:37]
	s_delay_alu instid0(VALU_DEP_1)
	v_and_b32_e32 v174, s42, v36
	s_or_b32 exec_lo, exec_lo, s38
	s_and_saveexec_b32 s38, s19
	s_cbranch_execnz .LBB1155_1152
.LBB1155_1121:                          ;   in Loop: Header=BB1155_990 Depth=2
	s_or_b32 exec_lo, exec_lo, s38
	s_and_saveexec_b32 s38, s20
	s_cbranch_execz .LBB1155_1153
.LBB1155_1122:                          ;   in Loop: Header=BB1155_990 Depth=2
	ds_load_b64 v[36:37], v110 offset:8192
	s_waitcnt lgkmcnt(0)
	v_cmp_ne_u64_e64 s33, s[34:35], v[36:37]
	s_delay_alu instid0(VALU_DEP_1) | instskip(SKIP_1) | instid1(VALU_DEP_1)
	v_cndmask_b32_e64 v37, 0x7fffffff, v37, s33
	v_cndmask_b32_e64 v36, -1, v36, s33
	v_lshrrev_b64 v[36:37], s40, v[36:37]
	s_delay_alu instid0(VALU_DEP_1)
	v_and_b32_e32 v172, s42, v36
	s_or_b32 exec_lo, exec_lo, s38
	s_and_saveexec_b32 s38, s21
	s_cbranch_execnz .LBB1155_1154
.LBB1155_1123:                          ;   in Loop: Header=BB1155_990 Depth=2
	s_or_b32 exec_lo, exec_lo, s38
	s_and_saveexec_b32 s38, s22
	s_cbranch_execz .LBB1155_1155
.LBB1155_1124:                          ;   in Loop: Header=BB1155_990 Depth=2
	ds_load_b64 v[36:37], v110 offset:12288
	s_waitcnt lgkmcnt(0)
	v_cmp_ne_u64_e64 s33, s[34:35], v[36:37]
	s_delay_alu instid0(VALU_DEP_1) | instskip(SKIP_1) | instid1(VALU_DEP_1)
	v_cndmask_b32_e64 v37, 0x7fffffff, v37, s33
	v_cndmask_b32_e64 v36, -1, v36, s33
	v_lshrrev_b64 v[36:37], s40, v[36:37]
	s_delay_alu instid0(VALU_DEP_1)
	v_and_b32_e32 v170, s42, v36
	s_or_b32 exec_lo, exec_lo, s38
	s_and_saveexec_b32 s38, s23
	s_cbranch_execnz .LBB1155_1156
.LBB1155_1125:                          ;   in Loop: Header=BB1155_990 Depth=2
	s_or_b32 exec_lo, exec_lo, s38
	s_and_saveexec_b32 s38, s24
	s_cbranch_execz .LBB1155_1157
.LBB1155_1126:                          ;   in Loop: Header=BB1155_990 Depth=2
	ds_load_b64 v[36:37], v110 offset:16384
	s_waitcnt lgkmcnt(0)
	v_cmp_ne_u64_e64 s33, s[34:35], v[36:37]
	s_delay_alu instid0(VALU_DEP_1) | instskip(SKIP_1) | instid1(VALU_DEP_1)
	v_cndmask_b32_e64 v37, 0x7fffffff, v37, s33
	v_cndmask_b32_e64 v36, -1, v36, s33
	v_lshrrev_b64 v[36:37], s40, v[36:37]
	s_delay_alu instid0(VALU_DEP_1)
	v_and_b32_e32 v168, s42, v36
	s_or_b32 exec_lo, exec_lo, s38
	s_and_saveexec_b32 s38, s25
	s_cbranch_execnz .LBB1155_1158
.LBB1155_1127:                          ;   in Loop: Header=BB1155_990 Depth=2
	s_or_b32 exec_lo, exec_lo, s38
	s_and_saveexec_b32 s38, s26
	s_cbranch_execz .LBB1155_1159
.LBB1155_1128:                          ;   in Loop: Header=BB1155_990 Depth=2
	ds_load_b64 v[36:37], v110 offset:20480
	s_waitcnt lgkmcnt(0)
	v_cmp_ne_u64_e64 s33, s[34:35], v[36:37]
	s_delay_alu instid0(VALU_DEP_1) | instskip(SKIP_1) | instid1(VALU_DEP_1)
	v_cndmask_b32_e64 v37, 0x7fffffff, v37, s33
	v_cndmask_b32_e64 v36, -1, v36, s33
	v_lshrrev_b64 v[36:37], s40, v[36:37]
	s_delay_alu instid0(VALU_DEP_1)
	v_and_b32_e32 v166, s42, v36
	s_or_b32 exec_lo, exec_lo, s38
	s_and_saveexec_b32 s38, s27
	s_cbranch_execnz .LBB1155_1160
.LBB1155_1129:                          ;   in Loop: Header=BB1155_990 Depth=2
	s_or_b32 exec_lo, exec_lo, s38
	s_and_saveexec_b32 s38, s28
	s_cbranch_execz .LBB1155_1161
.LBB1155_1130:                          ;   in Loop: Header=BB1155_990 Depth=2
	ds_load_b64 v[36:37], v110 offset:24576
	s_waitcnt lgkmcnt(0)
	v_cmp_ne_u64_e64 s33, s[34:35], v[36:37]
	s_delay_alu instid0(VALU_DEP_1) | instskip(SKIP_1) | instid1(VALU_DEP_1)
	v_cndmask_b32_e64 v37, 0x7fffffff, v37, s33
	v_cndmask_b32_e64 v36, -1, v36, s33
	v_lshrrev_b64 v[36:37], s40, v[36:37]
	s_delay_alu instid0(VALU_DEP_1)
	v_and_b32_e32 v164, s42, v36
	s_or_b32 exec_lo, exec_lo, s38
	s_and_saveexec_b32 s38, s29
	s_cbranch_execnz .LBB1155_1162
.LBB1155_1131:                          ;   in Loop: Header=BB1155_990 Depth=2
	s_or_b32 exec_lo, exec_lo, s38
	s_and_saveexec_b32 s38, s30
	s_cbranch_execz .LBB1155_1163
.LBB1155_1132:                          ;   in Loop: Header=BB1155_990 Depth=2
	ds_load_b64 v[36:37], v110 offset:28672
	s_waitcnt lgkmcnt(0)
	v_cmp_ne_u64_e64 s33, s[34:35], v[36:37]
	s_delay_alu instid0(VALU_DEP_1) | instskip(SKIP_1) | instid1(VALU_DEP_1)
	v_cndmask_b32_e64 v37, 0x7fffffff, v37, s33
	v_cndmask_b32_e64 v36, -1, v36, s33
	v_lshrrev_b64 v[36:37], s40, v[36:37]
	s_delay_alu instid0(VALU_DEP_1)
	v_and_b32_e32 v162, s42, v36
	s_or_b32 exec_lo, exec_lo, s38
	s_and_saveexec_b32 s38, s31
	s_cbranch_execnz .LBB1155_1164
	s_branch .LBB1155_1165
.LBB1155_1133:                          ;   in Loop: Header=BB1155_990 Depth=2
	s_or_b32 exec_lo, exec_lo, s33
	s_delay_alu instid0(SALU_CYCLE_1)
	s_mov_b32 s38, exec_lo
	v_cmpx_lt_u32_e64 v141, v177
	s_cbranch_execz .LBB1155_1103
.LBB1155_1134:                          ;   in Loop: Header=BB1155_990 Depth=2
	global_load_b64 v[32:33], v[36:37], off offset:256
	s_or_b32 exec_lo, exec_lo, s38
	s_delay_alu instid0(SALU_CYCLE_1)
	s_mov_b32 s38, exec_lo
	v_cmpx_lt_u32_e64 v142, v177
	s_cbranch_execnz .LBB1155_1104
.LBB1155_1135:                          ;   in Loop: Header=BB1155_990 Depth=2
	s_or_b32 exec_lo, exec_lo, s38
	s_delay_alu instid0(SALU_CYCLE_1)
	s_mov_b32 s38, exec_lo
	v_cmpx_lt_u32_e64 v143, v177
	s_cbranch_execz .LBB1155_1105
.LBB1155_1136:                          ;   in Loop: Header=BB1155_990 Depth=2
	global_load_b64 v[28:29], v[36:37], off offset:768
	s_or_b32 exec_lo, exec_lo, s38
	s_delay_alu instid0(SALU_CYCLE_1)
	s_mov_b32 s38, exec_lo
	v_cmpx_lt_u32_e64 v144, v177
	s_cbranch_execnz .LBB1155_1106
.LBB1155_1137:                          ;   in Loop: Header=BB1155_990 Depth=2
	s_or_b32 exec_lo, exec_lo, s38
	s_delay_alu instid0(SALU_CYCLE_1)
	s_mov_b32 s38, exec_lo
	v_cmpx_lt_u32_e64 v145, v177
	s_cbranch_execz .LBB1155_1107
.LBB1155_1138:                          ;   in Loop: Header=BB1155_990 Depth=2
	global_load_b64 v[24:25], v[36:37], off offset:1280
	s_or_b32 exec_lo, exec_lo, s38
	s_delay_alu instid0(SALU_CYCLE_1)
	s_mov_b32 s38, exec_lo
	v_cmpx_lt_u32_e64 v146, v177
	s_cbranch_execnz .LBB1155_1108
.LBB1155_1139:                          ;   in Loop: Header=BB1155_990 Depth=2
	s_or_b32 exec_lo, exec_lo, s38
	s_delay_alu instid0(SALU_CYCLE_1)
	s_mov_b32 s38, exec_lo
	v_cmpx_lt_u32_e64 v147, v177
	s_cbranch_execz .LBB1155_1109
.LBB1155_1140:                          ;   in Loop: Header=BB1155_990 Depth=2
	global_load_b64 v[20:21], v[36:37], off offset:1792
	s_or_b32 exec_lo, exec_lo, s38
	s_delay_alu instid0(SALU_CYCLE_1)
	s_mov_b32 s38, exec_lo
	v_cmpx_lt_u32_e64 v148, v177
	s_cbranch_execnz .LBB1155_1110
.LBB1155_1141:                          ;   in Loop: Header=BB1155_990 Depth=2
	s_or_b32 exec_lo, exec_lo, s38
	s_delay_alu instid0(SALU_CYCLE_1)
	s_mov_b32 s38, exec_lo
	v_cmpx_lt_u32_e64 v149, v177
	s_cbranch_execz .LBB1155_1111
.LBB1155_1142:                          ;   in Loop: Header=BB1155_990 Depth=2
	global_load_b64 v[16:17], v[36:37], off offset:2304
	s_or_b32 exec_lo, exec_lo, s38
	s_delay_alu instid0(SALU_CYCLE_1)
	s_mov_b32 s38, exec_lo
	v_cmpx_lt_u32_e64 v150, v177
	s_cbranch_execnz .LBB1155_1112
.LBB1155_1143:                          ;   in Loop: Header=BB1155_990 Depth=2
	s_or_b32 exec_lo, exec_lo, s38
	s_delay_alu instid0(SALU_CYCLE_1)
	s_mov_b32 s38, exec_lo
	v_cmpx_lt_u32_e64 v151, v177
	s_cbranch_execz .LBB1155_1113
.LBB1155_1144:                          ;   in Loop: Header=BB1155_990 Depth=2
	global_load_b64 v[12:13], v[36:37], off offset:2816
	s_or_b32 exec_lo, exec_lo, s38
	s_delay_alu instid0(SALU_CYCLE_1)
	s_mov_b32 s38, exec_lo
	v_cmpx_lt_u32_e64 v152, v177
	s_cbranch_execnz .LBB1155_1114
.LBB1155_1145:                          ;   in Loop: Header=BB1155_990 Depth=2
	s_or_b32 exec_lo, exec_lo, s38
	s_delay_alu instid0(SALU_CYCLE_1)
	s_mov_b32 s38, exec_lo
	v_cmpx_lt_u32_e64 v153, v177
	s_cbranch_execz .LBB1155_1115
.LBB1155_1146:                          ;   in Loop: Header=BB1155_990 Depth=2
	global_load_b64 v[8:9], v[36:37], off offset:3328
	s_or_b32 exec_lo, exec_lo, s38
	s_delay_alu instid0(SALU_CYCLE_1)
	s_mov_b32 s38, exec_lo
	v_cmpx_lt_u32_e64 v154, v177
	s_cbranch_execnz .LBB1155_1116
.LBB1155_1147:                          ;   in Loop: Header=BB1155_990 Depth=2
	s_or_b32 exec_lo, exec_lo, s38
	s_delay_alu instid0(SALU_CYCLE_1)
	s_mov_b32 s38, exec_lo
	v_cmpx_lt_u32_e64 v155, v177
	s_cbranch_execz .LBB1155_1117
.LBB1155_1148:                          ;   in Loop: Header=BB1155_990 Depth=2
	global_load_b64 v[4:5], v[36:37], off offset:3840
	s_or_b32 exec_lo, exec_lo, s38
	s_and_saveexec_b32 s38, vcc_lo
	s_cbranch_execnz .LBB1155_1118
.LBB1155_1149:                          ;   in Loop: Header=BB1155_990 Depth=2
	s_or_b32 exec_lo, exec_lo, s38
	s_and_saveexec_b32 s38, s17
	s_cbranch_execz .LBB1155_1119
.LBB1155_1150:                          ;   in Loop: Header=BB1155_990 Depth=2
	ds_load_b64 v[36:37], v110 offset:2048
	s_waitcnt lgkmcnt(0)
	v_cmp_ne_u64_e64 s33, s[34:35], v[36:37]
	s_delay_alu instid0(VALU_DEP_1) | instskip(SKIP_1) | instid1(VALU_DEP_1)
	v_cndmask_b32_e64 v37, 0x7fffffff, v37, s33
	v_cndmask_b32_e64 v36, -1, v36, s33
	v_lshrrev_b64 v[36:37], s40, v[36:37]
	s_delay_alu instid0(VALU_DEP_1)
	v_and_b32_e32 v175, s42, v36
	s_or_b32 exec_lo, exec_lo, s38
	s_and_saveexec_b32 s38, s18
	s_cbranch_execnz .LBB1155_1120
.LBB1155_1151:                          ;   in Loop: Header=BB1155_990 Depth=2
	s_or_b32 exec_lo, exec_lo, s38
	s_and_saveexec_b32 s38, s19
	s_cbranch_execz .LBB1155_1121
.LBB1155_1152:                          ;   in Loop: Header=BB1155_990 Depth=2
	ds_load_b64 v[36:37], v110 offset:6144
	s_waitcnt lgkmcnt(0)
	v_cmp_ne_u64_e64 s33, s[34:35], v[36:37]
	s_delay_alu instid0(VALU_DEP_1) | instskip(SKIP_1) | instid1(VALU_DEP_1)
	v_cndmask_b32_e64 v37, 0x7fffffff, v37, s33
	v_cndmask_b32_e64 v36, -1, v36, s33
	v_lshrrev_b64 v[36:37], s40, v[36:37]
	s_delay_alu instid0(VALU_DEP_1)
	v_and_b32_e32 v173, s42, v36
	s_or_b32 exec_lo, exec_lo, s38
	s_and_saveexec_b32 s38, s20
	s_cbranch_execnz .LBB1155_1122
.LBB1155_1153:                          ;   in Loop: Header=BB1155_990 Depth=2
	s_or_b32 exec_lo, exec_lo, s38
	s_and_saveexec_b32 s38, s21
	s_cbranch_execz .LBB1155_1123
.LBB1155_1154:                          ;   in Loop: Header=BB1155_990 Depth=2
	ds_load_b64 v[36:37], v110 offset:10240
	s_waitcnt lgkmcnt(0)
	v_cmp_ne_u64_e64 s33, s[34:35], v[36:37]
	s_delay_alu instid0(VALU_DEP_1) | instskip(SKIP_1) | instid1(VALU_DEP_1)
	v_cndmask_b32_e64 v37, 0x7fffffff, v37, s33
	v_cndmask_b32_e64 v36, -1, v36, s33
	v_lshrrev_b64 v[36:37], s40, v[36:37]
	s_delay_alu instid0(VALU_DEP_1)
	v_and_b32_e32 v171, s42, v36
	s_or_b32 exec_lo, exec_lo, s38
	s_and_saveexec_b32 s38, s22
	s_cbranch_execnz .LBB1155_1124
.LBB1155_1155:                          ;   in Loop: Header=BB1155_990 Depth=2
	s_or_b32 exec_lo, exec_lo, s38
	s_and_saveexec_b32 s38, s23
	s_cbranch_execz .LBB1155_1125
.LBB1155_1156:                          ;   in Loop: Header=BB1155_990 Depth=2
	ds_load_b64 v[36:37], v110 offset:14336
	s_waitcnt lgkmcnt(0)
	v_cmp_ne_u64_e64 s33, s[34:35], v[36:37]
	s_delay_alu instid0(VALU_DEP_1) | instskip(SKIP_1) | instid1(VALU_DEP_1)
	v_cndmask_b32_e64 v37, 0x7fffffff, v37, s33
	v_cndmask_b32_e64 v36, -1, v36, s33
	v_lshrrev_b64 v[36:37], s40, v[36:37]
	s_delay_alu instid0(VALU_DEP_1)
	v_and_b32_e32 v169, s42, v36
	s_or_b32 exec_lo, exec_lo, s38
	s_and_saveexec_b32 s38, s24
	s_cbranch_execnz .LBB1155_1126
.LBB1155_1157:                          ;   in Loop: Header=BB1155_990 Depth=2
	s_or_b32 exec_lo, exec_lo, s38
	s_and_saveexec_b32 s38, s25
	s_cbranch_execz .LBB1155_1127
.LBB1155_1158:                          ;   in Loop: Header=BB1155_990 Depth=2
	ds_load_b64 v[36:37], v110 offset:18432
	s_waitcnt lgkmcnt(0)
	v_cmp_ne_u64_e64 s33, s[34:35], v[36:37]
	s_delay_alu instid0(VALU_DEP_1) | instskip(SKIP_1) | instid1(VALU_DEP_1)
	v_cndmask_b32_e64 v37, 0x7fffffff, v37, s33
	v_cndmask_b32_e64 v36, -1, v36, s33
	v_lshrrev_b64 v[36:37], s40, v[36:37]
	s_delay_alu instid0(VALU_DEP_1)
	v_and_b32_e32 v167, s42, v36
	s_or_b32 exec_lo, exec_lo, s38
	s_and_saveexec_b32 s38, s26
	s_cbranch_execnz .LBB1155_1128
.LBB1155_1159:                          ;   in Loop: Header=BB1155_990 Depth=2
	s_or_b32 exec_lo, exec_lo, s38
	s_and_saveexec_b32 s38, s27
	s_cbranch_execz .LBB1155_1129
.LBB1155_1160:                          ;   in Loop: Header=BB1155_990 Depth=2
	ds_load_b64 v[36:37], v110 offset:22528
	s_waitcnt lgkmcnt(0)
	v_cmp_ne_u64_e64 s33, s[34:35], v[36:37]
	s_delay_alu instid0(VALU_DEP_1) | instskip(SKIP_1) | instid1(VALU_DEP_1)
	v_cndmask_b32_e64 v37, 0x7fffffff, v37, s33
	v_cndmask_b32_e64 v36, -1, v36, s33
	v_lshrrev_b64 v[36:37], s40, v[36:37]
	s_delay_alu instid0(VALU_DEP_1)
	v_and_b32_e32 v165, s42, v36
	s_or_b32 exec_lo, exec_lo, s38
	s_and_saveexec_b32 s38, s28
	s_cbranch_execnz .LBB1155_1130
.LBB1155_1161:                          ;   in Loop: Header=BB1155_990 Depth=2
	s_or_b32 exec_lo, exec_lo, s38
	s_and_saveexec_b32 s38, s29
	s_cbranch_execz .LBB1155_1131
.LBB1155_1162:                          ;   in Loop: Header=BB1155_990 Depth=2
	ds_load_b64 v[36:37], v110 offset:26624
	s_waitcnt lgkmcnt(0)
	v_cmp_ne_u64_e64 s33, s[34:35], v[36:37]
	s_delay_alu instid0(VALU_DEP_1) | instskip(SKIP_1) | instid1(VALU_DEP_1)
	v_cndmask_b32_e64 v37, 0x7fffffff, v37, s33
	v_cndmask_b32_e64 v36, -1, v36, s33
	v_lshrrev_b64 v[36:37], s40, v[36:37]
	s_delay_alu instid0(VALU_DEP_1)
	v_and_b32_e32 v163, s42, v36
	s_or_b32 exec_lo, exec_lo, s38
	s_and_saveexec_b32 s38, s30
	s_cbranch_execnz .LBB1155_1132
.LBB1155_1163:                          ;   in Loop: Header=BB1155_990 Depth=2
	s_or_b32 exec_lo, exec_lo, s38
	s_and_saveexec_b32 s38, s31
	s_cbranch_execz .LBB1155_1165
.LBB1155_1164:                          ;   in Loop: Header=BB1155_990 Depth=2
	ds_load_b64 v[36:37], v110 offset:30720
	s_waitcnt lgkmcnt(0)
	v_cmp_ne_u64_e64 s33, s[34:35], v[36:37]
	s_delay_alu instid0(VALU_DEP_1) | instskip(SKIP_1) | instid1(VALU_DEP_1)
	v_cndmask_b32_e64 v37, 0x7fffffff, v37, s33
	v_cndmask_b32_e64 v36, -1, v36, s33
	v_lshrrev_b64 v[36:37], s40, v[36:37]
	s_delay_alu instid0(VALU_DEP_1)
	v_and_b32_e32 v161, s42, v36
.LBB1155_1165:                          ;   in Loop: Header=BB1155_990 Depth=2
	s_or_b32 exec_lo, exec_lo, s38
	v_add_nc_u32_e32 v2, 0x400, v69
	v_add_nc_u32_e32 v36, 0x400, v70
	;; [unrolled: 1-line block ×16, first 2 shown]
	s_waitcnt vmcnt(0)
	s_waitcnt_vscnt null, 0x0
	s_barrier
	buffer_gl0_inv
	ds_store_b64 v2, v[34:35]
	ds_store_b64 v36, v[32:33]
	;; [unrolled: 1-line block ×16, first 2 shown]
	s_waitcnt lgkmcnt(0)
	s_barrier
	buffer_gl0_inv
	s_and_saveexec_b32 s33, vcc_lo
	s_cbranch_execz .LBB1155_1181
; %bb.1166:                             ;   in Loop: Header=BB1155_990 Depth=2
	v_lshlrev_b32_e32 v2, 2, v176
	ds_load_b32 v2, v2
	ds_load_b64 v[36:37], v38 offset:1024
	s_waitcnt lgkmcnt(1)
	v_add_nc_u32_e32 v2, v2, v1
	s_delay_alu instid0(VALU_DEP_1) | instskip(NEXT) | instid1(VALU_DEP_1)
	v_lshlrev_b64 v[38:39], 3, v[2:3]
	v_add_co_u32 v38, vcc_lo, s54, v38
	s_delay_alu instid0(VALU_DEP_2)
	v_add_co_ci_u32_e32 v39, vcc_lo, s55, v39, vcc_lo
	s_waitcnt lgkmcnt(0)
	global_store_b64 v[38:39], v[36:37], off
	s_or_b32 exec_lo, exec_lo, s33
	s_and_saveexec_b32 s33, s17
	s_cbranch_execnz .LBB1155_1182
.LBB1155_1167:                          ;   in Loop: Header=BB1155_990 Depth=2
	s_or_b32 exec_lo, exec_lo, s33
	s_and_saveexec_b32 s17, s18
	s_cbranch_execz .LBB1155_1183
.LBB1155_1168:                          ;   in Loop: Header=BB1155_990 Depth=2
	v_lshlrev_b32_e32 v2, 2, v174
	ds_load_b32 v2, v2
	ds_load_b64 v[36:37], v110 offset:4096
	s_waitcnt lgkmcnt(1)
	v_add_nc_u32_e32 v2, v2, v78
	s_delay_alu instid0(VALU_DEP_1) | instskip(NEXT) | instid1(VALU_DEP_1)
	v_lshlrev_b64 v[38:39], 3, v[2:3]
	v_add_co_u32 v38, vcc_lo, s54, v38
	s_delay_alu instid0(VALU_DEP_2)
	v_add_co_ci_u32_e32 v39, vcc_lo, s55, v39, vcc_lo
	s_waitcnt lgkmcnt(0)
	global_store_b64 v[38:39], v[36:37], off
	s_or_b32 exec_lo, exec_lo, s17
	s_and_saveexec_b32 s17, s19
	s_cbranch_execnz .LBB1155_1184
.LBB1155_1169:                          ;   in Loop: Header=BB1155_990 Depth=2
	s_or_b32 exec_lo, exec_lo, s17
	s_and_saveexec_b32 s17, s20
	s_cbranch_execz .LBB1155_1185
.LBB1155_1170:                          ;   in Loop: Header=BB1155_990 Depth=2
	v_lshlrev_b32_e32 v2, 2, v172
	ds_load_b32 v2, v2
	ds_load_b64 v[36:37], v110 offset:8192
	s_waitcnt lgkmcnt(1)
	v_add_nc_u32_e32 v2, v2, v83
	s_delay_alu instid0(VALU_DEP_1) | instskip(NEXT) | instid1(VALU_DEP_1)
	v_lshlrev_b64 v[38:39], 3, v[2:3]
	v_add_co_u32 v38, vcc_lo, s54, v38
	s_delay_alu instid0(VALU_DEP_2)
	v_add_co_ci_u32_e32 v39, vcc_lo, s55, v39, vcc_lo
	s_waitcnt lgkmcnt(0)
	global_store_b64 v[38:39], v[36:37], off
	s_or_b32 exec_lo, exec_lo, s17
	s_and_saveexec_b32 s17, s21
	s_cbranch_execnz .LBB1155_1186
.LBB1155_1171:                          ;   in Loop: Header=BB1155_990 Depth=2
	s_or_b32 exec_lo, exec_lo, s17
	s_and_saveexec_b32 s17, s22
	s_cbranch_execz .LBB1155_1187
.LBB1155_1172:                          ;   in Loop: Header=BB1155_990 Depth=2
	v_lshlrev_b32_e32 v2, 2, v170
	ds_load_b32 v2, v2
	ds_load_b64 v[36:37], v110 offset:12288
	s_waitcnt lgkmcnt(1)
	v_add_nc_u32_e32 v2, v2, v85
	s_delay_alu instid0(VALU_DEP_1) | instskip(NEXT) | instid1(VALU_DEP_1)
	v_lshlrev_b64 v[38:39], 3, v[2:3]
	v_add_co_u32 v38, vcc_lo, s54, v38
	s_delay_alu instid0(VALU_DEP_2)
	v_add_co_ci_u32_e32 v39, vcc_lo, s55, v39, vcc_lo
	s_waitcnt lgkmcnt(0)
	global_store_b64 v[38:39], v[36:37], off
	s_or_b32 exec_lo, exec_lo, s17
	s_and_saveexec_b32 s17, s23
	s_cbranch_execnz .LBB1155_1188
.LBB1155_1173:                          ;   in Loop: Header=BB1155_990 Depth=2
	s_or_b32 exec_lo, exec_lo, s17
	s_and_saveexec_b32 s17, s24
	s_cbranch_execz .LBB1155_1189
.LBB1155_1174:                          ;   in Loop: Header=BB1155_990 Depth=2
	v_lshlrev_b32_e32 v2, 2, v168
	ds_load_b32 v2, v2
	ds_load_b64 v[36:37], v110 offset:16384
	s_waitcnt lgkmcnt(1)
	v_add_nc_u32_e32 v2, v2, v87
	s_delay_alu instid0(VALU_DEP_1) | instskip(NEXT) | instid1(VALU_DEP_1)
	v_lshlrev_b64 v[38:39], 3, v[2:3]
	v_add_co_u32 v38, vcc_lo, s54, v38
	s_delay_alu instid0(VALU_DEP_2)
	v_add_co_ci_u32_e32 v39, vcc_lo, s55, v39, vcc_lo
	s_waitcnt lgkmcnt(0)
	global_store_b64 v[38:39], v[36:37], off
	s_or_b32 exec_lo, exec_lo, s17
	s_and_saveexec_b32 s17, s25
	s_cbranch_execnz .LBB1155_1190
.LBB1155_1175:                          ;   in Loop: Header=BB1155_990 Depth=2
	s_or_b32 exec_lo, exec_lo, s17
	s_and_saveexec_b32 s17, s26
	s_cbranch_execz .LBB1155_1191
.LBB1155_1176:                          ;   in Loop: Header=BB1155_990 Depth=2
	v_lshlrev_b32_e32 v2, 2, v166
	ds_load_b32 v2, v2
	ds_load_b64 v[36:37], v110 offset:20480
	s_waitcnt lgkmcnt(1)
	v_add_nc_u32_e32 v2, v2, v89
	s_delay_alu instid0(VALU_DEP_1) | instskip(NEXT) | instid1(VALU_DEP_1)
	v_lshlrev_b64 v[38:39], 3, v[2:3]
	v_add_co_u32 v38, vcc_lo, s54, v38
	s_delay_alu instid0(VALU_DEP_2)
	v_add_co_ci_u32_e32 v39, vcc_lo, s55, v39, vcc_lo
	s_waitcnt lgkmcnt(0)
	global_store_b64 v[38:39], v[36:37], off
	s_or_b32 exec_lo, exec_lo, s17
	s_and_saveexec_b32 s17, s27
	s_cbranch_execnz .LBB1155_1192
.LBB1155_1177:                          ;   in Loop: Header=BB1155_990 Depth=2
	s_or_b32 exec_lo, exec_lo, s17
	s_and_saveexec_b32 s17, s28
	s_cbranch_execz .LBB1155_1193
.LBB1155_1178:                          ;   in Loop: Header=BB1155_990 Depth=2
	v_lshlrev_b32_e32 v2, 2, v164
	ds_load_b32 v2, v2
	ds_load_b64 v[36:37], v110 offset:24576
	s_waitcnt lgkmcnt(1)
	v_add_nc_u32_e32 v2, v2, v91
	s_delay_alu instid0(VALU_DEP_1) | instskip(NEXT) | instid1(VALU_DEP_1)
	v_lshlrev_b64 v[38:39], 3, v[2:3]
	v_add_co_u32 v38, vcc_lo, s54, v38
	s_delay_alu instid0(VALU_DEP_2)
	v_add_co_ci_u32_e32 v39, vcc_lo, s55, v39, vcc_lo
	s_waitcnt lgkmcnt(0)
	global_store_b64 v[38:39], v[36:37], off
	s_or_b32 exec_lo, exec_lo, s17
	s_and_saveexec_b32 s17, s29
	s_cbranch_execnz .LBB1155_1194
.LBB1155_1179:                          ;   in Loop: Header=BB1155_990 Depth=2
	s_or_b32 exec_lo, exec_lo, s17
	s_and_saveexec_b32 s17, s30
	s_cbranch_execz .LBB1155_1195
.LBB1155_1180:                          ;   in Loop: Header=BB1155_990 Depth=2
	v_lshlrev_b32_e32 v2, 2, v162
	ds_load_b32 v2, v2
	ds_load_b64 v[36:37], v110 offset:28672
	s_waitcnt lgkmcnt(1)
	v_add_nc_u32_e32 v2, v2, v93
	s_delay_alu instid0(VALU_DEP_1) | instskip(NEXT) | instid1(VALU_DEP_1)
	v_lshlrev_b64 v[38:39], 3, v[2:3]
	v_add_co_u32 v38, vcc_lo, s54, v38
	s_delay_alu instid0(VALU_DEP_2)
	v_add_co_ci_u32_e32 v39, vcc_lo, s55, v39, vcc_lo
	s_waitcnt lgkmcnt(0)
	global_store_b64 v[38:39], v[36:37], off
	s_or_b32 exec_lo, exec_lo, s17
	s_and_saveexec_b32 s17, s31
	s_cbranch_execnz .LBB1155_1196
	s_branch .LBB1155_1197
.LBB1155_1181:                          ;   in Loop: Header=BB1155_990 Depth=2
	s_or_b32 exec_lo, exec_lo, s33
	s_and_saveexec_b32 s33, s17
	s_cbranch_execz .LBB1155_1167
.LBB1155_1182:                          ;   in Loop: Header=BB1155_990 Depth=2
	v_lshlrev_b32_e32 v2, 2, v175
	ds_load_b32 v2, v2
	ds_load_b64 v[36:37], v110 offset:2048
	s_waitcnt lgkmcnt(1)
	v_add_nc_u32_e32 v2, v2, v77
	s_delay_alu instid0(VALU_DEP_1) | instskip(NEXT) | instid1(VALU_DEP_1)
	v_lshlrev_b64 v[38:39], 3, v[2:3]
	v_add_co_u32 v38, vcc_lo, s54, v38
	s_delay_alu instid0(VALU_DEP_2)
	v_add_co_ci_u32_e32 v39, vcc_lo, s55, v39, vcc_lo
	s_waitcnt lgkmcnt(0)
	global_store_b64 v[38:39], v[36:37], off
	s_or_b32 exec_lo, exec_lo, s33
	s_and_saveexec_b32 s17, s18
	s_cbranch_execnz .LBB1155_1168
.LBB1155_1183:                          ;   in Loop: Header=BB1155_990 Depth=2
	s_or_b32 exec_lo, exec_lo, s17
	s_and_saveexec_b32 s17, s19
	s_cbranch_execz .LBB1155_1169
.LBB1155_1184:                          ;   in Loop: Header=BB1155_990 Depth=2
	v_lshlrev_b32_e32 v2, 2, v173
	ds_load_b32 v2, v2
	ds_load_b64 v[36:37], v110 offset:6144
	s_waitcnt lgkmcnt(1)
	v_add_nc_u32_e32 v2, v2, v79
	s_delay_alu instid0(VALU_DEP_1) | instskip(NEXT) | instid1(VALU_DEP_1)
	v_lshlrev_b64 v[38:39], 3, v[2:3]
	v_add_co_u32 v38, vcc_lo, s54, v38
	s_delay_alu instid0(VALU_DEP_2)
	v_add_co_ci_u32_e32 v39, vcc_lo, s55, v39, vcc_lo
	s_waitcnt lgkmcnt(0)
	global_store_b64 v[38:39], v[36:37], off
	s_or_b32 exec_lo, exec_lo, s17
	s_and_saveexec_b32 s17, s20
	s_cbranch_execnz .LBB1155_1170
.LBB1155_1185:                          ;   in Loop: Header=BB1155_990 Depth=2
	s_or_b32 exec_lo, exec_lo, s17
	s_and_saveexec_b32 s17, s21
	s_cbranch_execz .LBB1155_1171
.LBB1155_1186:                          ;   in Loop: Header=BB1155_990 Depth=2
	v_lshlrev_b32_e32 v2, 2, v171
	ds_load_b32 v2, v2
	ds_load_b64 v[36:37], v110 offset:10240
	s_waitcnt lgkmcnt(1)
	v_add_nc_u32_e32 v2, v2, v84
	s_delay_alu instid0(VALU_DEP_1) | instskip(NEXT) | instid1(VALU_DEP_1)
	v_lshlrev_b64 v[38:39], 3, v[2:3]
	v_add_co_u32 v38, vcc_lo, s54, v38
	s_delay_alu instid0(VALU_DEP_2)
	v_add_co_ci_u32_e32 v39, vcc_lo, s55, v39, vcc_lo
	s_waitcnt lgkmcnt(0)
	global_store_b64 v[38:39], v[36:37], off
	s_or_b32 exec_lo, exec_lo, s17
	s_and_saveexec_b32 s17, s22
	s_cbranch_execnz .LBB1155_1172
.LBB1155_1187:                          ;   in Loop: Header=BB1155_990 Depth=2
	s_or_b32 exec_lo, exec_lo, s17
	s_and_saveexec_b32 s17, s23
	s_cbranch_execz .LBB1155_1173
.LBB1155_1188:                          ;   in Loop: Header=BB1155_990 Depth=2
	v_lshlrev_b32_e32 v2, 2, v169
	ds_load_b32 v2, v2
	ds_load_b64 v[36:37], v110 offset:14336
	s_waitcnt lgkmcnt(1)
	v_add_nc_u32_e32 v2, v2, v86
	s_delay_alu instid0(VALU_DEP_1) | instskip(NEXT) | instid1(VALU_DEP_1)
	v_lshlrev_b64 v[38:39], 3, v[2:3]
	v_add_co_u32 v38, vcc_lo, s54, v38
	s_delay_alu instid0(VALU_DEP_2)
	v_add_co_ci_u32_e32 v39, vcc_lo, s55, v39, vcc_lo
	s_waitcnt lgkmcnt(0)
	global_store_b64 v[38:39], v[36:37], off
	s_or_b32 exec_lo, exec_lo, s17
	s_and_saveexec_b32 s17, s24
	s_cbranch_execnz .LBB1155_1174
.LBB1155_1189:                          ;   in Loop: Header=BB1155_990 Depth=2
	s_or_b32 exec_lo, exec_lo, s17
	s_and_saveexec_b32 s17, s25
	s_cbranch_execz .LBB1155_1175
.LBB1155_1190:                          ;   in Loop: Header=BB1155_990 Depth=2
	v_lshlrev_b32_e32 v2, 2, v167
	ds_load_b32 v2, v2
	ds_load_b64 v[36:37], v110 offset:18432
	s_waitcnt lgkmcnt(1)
	v_add_nc_u32_e32 v2, v2, v88
	s_delay_alu instid0(VALU_DEP_1) | instskip(NEXT) | instid1(VALU_DEP_1)
	v_lshlrev_b64 v[38:39], 3, v[2:3]
	v_add_co_u32 v38, vcc_lo, s54, v38
	s_delay_alu instid0(VALU_DEP_2)
	v_add_co_ci_u32_e32 v39, vcc_lo, s55, v39, vcc_lo
	s_waitcnt lgkmcnt(0)
	global_store_b64 v[38:39], v[36:37], off
	s_or_b32 exec_lo, exec_lo, s17
	s_and_saveexec_b32 s17, s26
	s_cbranch_execnz .LBB1155_1176
.LBB1155_1191:                          ;   in Loop: Header=BB1155_990 Depth=2
	s_or_b32 exec_lo, exec_lo, s17
	s_and_saveexec_b32 s17, s27
	s_cbranch_execz .LBB1155_1177
.LBB1155_1192:                          ;   in Loop: Header=BB1155_990 Depth=2
	v_lshlrev_b32_e32 v2, 2, v165
	ds_load_b32 v2, v2
	ds_load_b64 v[36:37], v110 offset:22528
	s_waitcnt lgkmcnt(1)
	v_add_nc_u32_e32 v2, v2, v90
	s_delay_alu instid0(VALU_DEP_1) | instskip(NEXT) | instid1(VALU_DEP_1)
	v_lshlrev_b64 v[38:39], 3, v[2:3]
	v_add_co_u32 v38, vcc_lo, s54, v38
	s_delay_alu instid0(VALU_DEP_2)
	v_add_co_ci_u32_e32 v39, vcc_lo, s55, v39, vcc_lo
	s_waitcnt lgkmcnt(0)
	global_store_b64 v[38:39], v[36:37], off
	s_or_b32 exec_lo, exec_lo, s17
	s_and_saveexec_b32 s17, s28
	s_cbranch_execnz .LBB1155_1178
.LBB1155_1193:                          ;   in Loop: Header=BB1155_990 Depth=2
	s_or_b32 exec_lo, exec_lo, s17
	s_and_saveexec_b32 s17, s29
	s_cbranch_execz .LBB1155_1179
.LBB1155_1194:                          ;   in Loop: Header=BB1155_990 Depth=2
	v_lshlrev_b32_e32 v2, 2, v163
	ds_load_b32 v2, v2
	ds_load_b64 v[36:37], v110 offset:26624
	s_waitcnt lgkmcnt(1)
	v_add_nc_u32_e32 v2, v2, v92
	s_delay_alu instid0(VALU_DEP_1) | instskip(NEXT) | instid1(VALU_DEP_1)
	v_lshlrev_b64 v[38:39], 3, v[2:3]
	v_add_co_u32 v38, vcc_lo, s54, v38
	s_delay_alu instid0(VALU_DEP_2)
	v_add_co_ci_u32_e32 v39, vcc_lo, s55, v39, vcc_lo
	s_waitcnt lgkmcnt(0)
	global_store_b64 v[38:39], v[36:37], off
	s_or_b32 exec_lo, exec_lo, s17
	s_and_saveexec_b32 s17, s30
	s_cbranch_execnz .LBB1155_1180
.LBB1155_1195:                          ;   in Loop: Header=BB1155_990 Depth=2
	s_or_b32 exec_lo, exec_lo, s17
	s_and_saveexec_b32 s17, s31
	s_cbranch_execz .LBB1155_1197
.LBB1155_1196:                          ;   in Loop: Header=BB1155_990 Depth=2
	v_lshlrev_b32_e32 v2, 2, v161
	ds_load_b32 v2, v2
	ds_load_b64 v[36:37], v110 offset:30720
	s_waitcnt lgkmcnt(1)
	v_add_nc_u32_e32 v2, v2, v95
	s_delay_alu instid0(VALU_DEP_1) | instskip(NEXT) | instid1(VALU_DEP_1)
	v_lshlrev_b64 v[38:39], 3, v[2:3]
	v_add_co_u32 v38, vcc_lo, s54, v38
	s_delay_alu instid0(VALU_DEP_2)
	v_add_co_ci_u32_e32 v39, vcc_lo, s55, v39, vcc_lo
	s_waitcnt lgkmcnt(0)
	global_store_b64 v[38:39], v[36:37], off
.LBB1155_1197:                          ;   in Loop: Header=BB1155_990 Depth=2
	s_or_b32 exec_lo, exec_lo, s17
	s_waitcnt_vscnt null, 0x0
	s_barrier
	buffer_gl0_inv
	s_and_saveexec_b32 s17, s2
	s_cbranch_execz .LBB1155_989
; %bb.1198:                             ;   in Loop: Header=BB1155_990 Depth=2
	ds_load_b32 v2, v76
	s_waitcnt lgkmcnt(0)
	v_add_nc_u32_e32 v2, v2, v68
	ds_store_b32 v76, v2
	s_branch .LBB1155_989
.LBB1155_1199:
	s_endpgm
	.section	.rodata,"a",@progbits
	.p2align	6, 0x0
	.amdhsa_kernel _ZN7rocprim17ROCPRIM_400000_NS6detail17trampoline_kernelINS0_14default_configENS1_36segmented_radix_sort_config_selectorIdlEEZNS1_25segmented_radix_sort_implIS3_Lb1EPKdPdPKlPlN2at6native12_GLOBAL__N_18offset_tEEE10hipError_tPvRmT1_PNSt15iterator_traitsISK_E10value_typeET2_T3_PNSL_ISQ_E10value_typeET4_jRbjT5_SW_jjP12ihipStream_tbEUlT_E2_NS1_11comp_targetILNS1_3genE9ELNS1_11target_archE1100ELNS1_3gpuE3ELNS1_3repE0EEENS1_30default_config_static_selectorELNS0_4arch9wavefront6targetE0EEEvSK_
		.amdhsa_group_segment_fixed_size 33824
		.amdhsa_private_segment_fixed_size 200
		.amdhsa_kernarg_size 336
		.amdhsa_user_sgpr_count 14
		.amdhsa_user_sgpr_dispatch_ptr 0
		.amdhsa_user_sgpr_queue_ptr 0
		.amdhsa_user_sgpr_kernarg_segment_ptr 1
		.amdhsa_user_sgpr_dispatch_id 0
		.amdhsa_user_sgpr_private_segment_size 0
		.amdhsa_wavefront_size32 1
		.amdhsa_uses_dynamic_stack 0
		.amdhsa_enable_private_segment 1
		.amdhsa_system_sgpr_workgroup_id_x 1
		.amdhsa_system_sgpr_workgroup_id_y 1
		.amdhsa_system_sgpr_workgroup_id_z 0
		.amdhsa_system_sgpr_workgroup_info 0
		.amdhsa_system_vgpr_workitem_id 2
		.amdhsa_next_free_vgpr 248
		.amdhsa_next_free_sgpr 63
		.amdhsa_reserve_vcc 1
		.amdhsa_float_round_mode_32 0
		.amdhsa_float_round_mode_16_64 0
		.amdhsa_float_denorm_mode_32 3
		.amdhsa_float_denorm_mode_16_64 3
		.amdhsa_dx10_clamp 1
		.amdhsa_ieee_mode 1
		.amdhsa_fp16_overflow 0
		.amdhsa_workgroup_processor_mode 1
		.amdhsa_memory_ordered 1
		.amdhsa_forward_progress 0
		.amdhsa_shared_vgpr_count 0
		.amdhsa_exception_fp_ieee_invalid_op 0
		.amdhsa_exception_fp_denorm_src 0
		.amdhsa_exception_fp_ieee_div_zero 0
		.amdhsa_exception_fp_ieee_overflow 0
		.amdhsa_exception_fp_ieee_underflow 0
		.amdhsa_exception_fp_ieee_inexact 0
		.amdhsa_exception_int_div_zero 0
	.end_amdhsa_kernel
	.section	.text._ZN7rocprim17ROCPRIM_400000_NS6detail17trampoline_kernelINS0_14default_configENS1_36segmented_radix_sort_config_selectorIdlEEZNS1_25segmented_radix_sort_implIS3_Lb1EPKdPdPKlPlN2at6native12_GLOBAL__N_18offset_tEEE10hipError_tPvRmT1_PNSt15iterator_traitsISK_E10value_typeET2_T3_PNSL_ISQ_E10value_typeET4_jRbjT5_SW_jjP12ihipStream_tbEUlT_E2_NS1_11comp_targetILNS1_3genE9ELNS1_11target_archE1100ELNS1_3gpuE3ELNS1_3repE0EEENS1_30default_config_static_selectorELNS0_4arch9wavefront6targetE0EEEvSK_,"axG",@progbits,_ZN7rocprim17ROCPRIM_400000_NS6detail17trampoline_kernelINS0_14default_configENS1_36segmented_radix_sort_config_selectorIdlEEZNS1_25segmented_radix_sort_implIS3_Lb1EPKdPdPKlPlN2at6native12_GLOBAL__N_18offset_tEEE10hipError_tPvRmT1_PNSt15iterator_traitsISK_E10value_typeET2_T3_PNSL_ISQ_E10value_typeET4_jRbjT5_SW_jjP12ihipStream_tbEUlT_E2_NS1_11comp_targetILNS1_3genE9ELNS1_11target_archE1100ELNS1_3gpuE3ELNS1_3repE0EEENS1_30default_config_static_selectorELNS0_4arch9wavefront6targetE0EEEvSK_,comdat
.Lfunc_end1155:
	.size	_ZN7rocprim17ROCPRIM_400000_NS6detail17trampoline_kernelINS0_14default_configENS1_36segmented_radix_sort_config_selectorIdlEEZNS1_25segmented_radix_sort_implIS3_Lb1EPKdPdPKlPlN2at6native12_GLOBAL__N_18offset_tEEE10hipError_tPvRmT1_PNSt15iterator_traitsISK_E10value_typeET2_T3_PNSL_ISQ_E10value_typeET4_jRbjT5_SW_jjP12ihipStream_tbEUlT_E2_NS1_11comp_targetILNS1_3genE9ELNS1_11target_archE1100ELNS1_3gpuE3ELNS1_3repE0EEENS1_30default_config_static_selectorELNS0_4arch9wavefront6targetE0EEEvSK_, .Lfunc_end1155-_ZN7rocprim17ROCPRIM_400000_NS6detail17trampoline_kernelINS0_14default_configENS1_36segmented_radix_sort_config_selectorIdlEEZNS1_25segmented_radix_sort_implIS3_Lb1EPKdPdPKlPlN2at6native12_GLOBAL__N_18offset_tEEE10hipError_tPvRmT1_PNSt15iterator_traitsISK_E10value_typeET2_T3_PNSL_ISQ_E10value_typeET4_jRbjT5_SW_jjP12ihipStream_tbEUlT_E2_NS1_11comp_targetILNS1_3genE9ELNS1_11target_archE1100ELNS1_3gpuE3ELNS1_3repE0EEENS1_30default_config_static_selectorELNS0_4arch9wavefront6targetE0EEEvSK_
                                        ; -- End function
	.section	.AMDGPU.csdata,"",@progbits
; Kernel info:
; codeLenInByte = 83052
; NumSgprs: 65
; NumVgprs: 248
; ScratchSize: 200
; MemoryBound: 0
; FloatMode: 240
; IeeeMode: 1
; LDSByteSize: 33824 bytes/workgroup (compile time only)
; SGPRBlocks: 8
; VGPRBlocks: 30
; NumSGPRsForWavesPerEU: 65
; NumVGPRsForWavesPerEU: 248
; Occupancy: 5
; WaveLimiterHint : 1
; COMPUTE_PGM_RSRC2:SCRATCH_EN: 1
; COMPUTE_PGM_RSRC2:USER_SGPR: 14
; COMPUTE_PGM_RSRC2:TRAP_HANDLER: 0
; COMPUTE_PGM_RSRC2:TGID_X_EN: 1
; COMPUTE_PGM_RSRC2:TGID_Y_EN: 1
; COMPUTE_PGM_RSRC2:TGID_Z_EN: 0
; COMPUTE_PGM_RSRC2:TIDIG_COMP_CNT: 2
	.section	.text._ZN7rocprim17ROCPRIM_400000_NS6detail17trampoline_kernelINS0_14default_configENS1_36segmented_radix_sort_config_selectorIdlEEZNS1_25segmented_radix_sort_implIS3_Lb1EPKdPdPKlPlN2at6native12_GLOBAL__N_18offset_tEEE10hipError_tPvRmT1_PNSt15iterator_traitsISK_E10value_typeET2_T3_PNSL_ISQ_E10value_typeET4_jRbjT5_SW_jjP12ihipStream_tbEUlT_E2_NS1_11comp_targetILNS1_3genE8ELNS1_11target_archE1030ELNS1_3gpuE2ELNS1_3repE0EEENS1_30default_config_static_selectorELNS0_4arch9wavefront6targetE0EEEvSK_,"axG",@progbits,_ZN7rocprim17ROCPRIM_400000_NS6detail17trampoline_kernelINS0_14default_configENS1_36segmented_radix_sort_config_selectorIdlEEZNS1_25segmented_radix_sort_implIS3_Lb1EPKdPdPKlPlN2at6native12_GLOBAL__N_18offset_tEEE10hipError_tPvRmT1_PNSt15iterator_traitsISK_E10value_typeET2_T3_PNSL_ISQ_E10value_typeET4_jRbjT5_SW_jjP12ihipStream_tbEUlT_E2_NS1_11comp_targetILNS1_3genE8ELNS1_11target_archE1030ELNS1_3gpuE2ELNS1_3repE0EEENS1_30default_config_static_selectorELNS0_4arch9wavefront6targetE0EEEvSK_,comdat
	.globl	_ZN7rocprim17ROCPRIM_400000_NS6detail17trampoline_kernelINS0_14default_configENS1_36segmented_radix_sort_config_selectorIdlEEZNS1_25segmented_radix_sort_implIS3_Lb1EPKdPdPKlPlN2at6native12_GLOBAL__N_18offset_tEEE10hipError_tPvRmT1_PNSt15iterator_traitsISK_E10value_typeET2_T3_PNSL_ISQ_E10value_typeET4_jRbjT5_SW_jjP12ihipStream_tbEUlT_E2_NS1_11comp_targetILNS1_3genE8ELNS1_11target_archE1030ELNS1_3gpuE2ELNS1_3repE0EEENS1_30default_config_static_selectorELNS0_4arch9wavefront6targetE0EEEvSK_ ; -- Begin function _ZN7rocprim17ROCPRIM_400000_NS6detail17trampoline_kernelINS0_14default_configENS1_36segmented_radix_sort_config_selectorIdlEEZNS1_25segmented_radix_sort_implIS3_Lb1EPKdPdPKlPlN2at6native12_GLOBAL__N_18offset_tEEE10hipError_tPvRmT1_PNSt15iterator_traitsISK_E10value_typeET2_T3_PNSL_ISQ_E10value_typeET4_jRbjT5_SW_jjP12ihipStream_tbEUlT_E2_NS1_11comp_targetILNS1_3genE8ELNS1_11target_archE1030ELNS1_3gpuE2ELNS1_3repE0EEENS1_30default_config_static_selectorELNS0_4arch9wavefront6targetE0EEEvSK_
	.p2align	8
	.type	_ZN7rocprim17ROCPRIM_400000_NS6detail17trampoline_kernelINS0_14default_configENS1_36segmented_radix_sort_config_selectorIdlEEZNS1_25segmented_radix_sort_implIS3_Lb1EPKdPdPKlPlN2at6native12_GLOBAL__N_18offset_tEEE10hipError_tPvRmT1_PNSt15iterator_traitsISK_E10value_typeET2_T3_PNSL_ISQ_E10value_typeET4_jRbjT5_SW_jjP12ihipStream_tbEUlT_E2_NS1_11comp_targetILNS1_3genE8ELNS1_11target_archE1030ELNS1_3gpuE2ELNS1_3repE0EEENS1_30default_config_static_selectorELNS0_4arch9wavefront6targetE0EEEvSK_,@function
_ZN7rocprim17ROCPRIM_400000_NS6detail17trampoline_kernelINS0_14default_configENS1_36segmented_radix_sort_config_selectorIdlEEZNS1_25segmented_radix_sort_implIS3_Lb1EPKdPdPKlPlN2at6native12_GLOBAL__N_18offset_tEEE10hipError_tPvRmT1_PNSt15iterator_traitsISK_E10value_typeET2_T3_PNSL_ISQ_E10value_typeET4_jRbjT5_SW_jjP12ihipStream_tbEUlT_E2_NS1_11comp_targetILNS1_3genE8ELNS1_11target_archE1030ELNS1_3gpuE2ELNS1_3repE0EEENS1_30default_config_static_selectorELNS0_4arch9wavefront6targetE0EEEvSK_: ; @_ZN7rocprim17ROCPRIM_400000_NS6detail17trampoline_kernelINS0_14default_configENS1_36segmented_radix_sort_config_selectorIdlEEZNS1_25segmented_radix_sort_implIS3_Lb1EPKdPdPKlPlN2at6native12_GLOBAL__N_18offset_tEEE10hipError_tPvRmT1_PNSt15iterator_traitsISK_E10value_typeET2_T3_PNSL_ISQ_E10value_typeET4_jRbjT5_SW_jjP12ihipStream_tbEUlT_E2_NS1_11comp_targetILNS1_3genE8ELNS1_11target_archE1030ELNS1_3gpuE2ELNS1_3repE0EEENS1_30default_config_static_selectorELNS0_4arch9wavefront6targetE0EEEvSK_
; %bb.0:
	.section	.rodata,"a",@progbits
	.p2align	6, 0x0
	.amdhsa_kernel _ZN7rocprim17ROCPRIM_400000_NS6detail17trampoline_kernelINS0_14default_configENS1_36segmented_radix_sort_config_selectorIdlEEZNS1_25segmented_radix_sort_implIS3_Lb1EPKdPdPKlPlN2at6native12_GLOBAL__N_18offset_tEEE10hipError_tPvRmT1_PNSt15iterator_traitsISK_E10value_typeET2_T3_PNSL_ISQ_E10value_typeET4_jRbjT5_SW_jjP12ihipStream_tbEUlT_E2_NS1_11comp_targetILNS1_3genE8ELNS1_11target_archE1030ELNS1_3gpuE2ELNS1_3repE0EEENS1_30default_config_static_selectorELNS0_4arch9wavefront6targetE0EEEvSK_
		.amdhsa_group_segment_fixed_size 0
		.amdhsa_private_segment_fixed_size 0
		.amdhsa_kernarg_size 80
		.amdhsa_user_sgpr_count 15
		.amdhsa_user_sgpr_dispatch_ptr 0
		.amdhsa_user_sgpr_queue_ptr 0
		.amdhsa_user_sgpr_kernarg_segment_ptr 1
		.amdhsa_user_sgpr_dispatch_id 0
		.amdhsa_user_sgpr_private_segment_size 0
		.amdhsa_wavefront_size32 1
		.amdhsa_uses_dynamic_stack 0
		.amdhsa_enable_private_segment 0
		.amdhsa_system_sgpr_workgroup_id_x 1
		.amdhsa_system_sgpr_workgroup_id_y 0
		.amdhsa_system_sgpr_workgroup_id_z 0
		.amdhsa_system_sgpr_workgroup_info 0
		.amdhsa_system_vgpr_workitem_id 0
		.amdhsa_next_free_vgpr 1
		.amdhsa_next_free_sgpr 1
		.amdhsa_reserve_vcc 0
		.amdhsa_float_round_mode_32 0
		.amdhsa_float_round_mode_16_64 0
		.amdhsa_float_denorm_mode_32 3
		.amdhsa_float_denorm_mode_16_64 3
		.amdhsa_dx10_clamp 1
		.amdhsa_ieee_mode 1
		.amdhsa_fp16_overflow 0
		.amdhsa_workgroup_processor_mode 1
		.amdhsa_memory_ordered 1
		.amdhsa_forward_progress 0
		.amdhsa_shared_vgpr_count 0
		.amdhsa_exception_fp_ieee_invalid_op 0
		.amdhsa_exception_fp_denorm_src 0
		.amdhsa_exception_fp_ieee_div_zero 0
		.amdhsa_exception_fp_ieee_overflow 0
		.amdhsa_exception_fp_ieee_underflow 0
		.amdhsa_exception_fp_ieee_inexact 0
		.amdhsa_exception_int_div_zero 0
	.end_amdhsa_kernel
	.section	.text._ZN7rocprim17ROCPRIM_400000_NS6detail17trampoline_kernelINS0_14default_configENS1_36segmented_radix_sort_config_selectorIdlEEZNS1_25segmented_radix_sort_implIS3_Lb1EPKdPdPKlPlN2at6native12_GLOBAL__N_18offset_tEEE10hipError_tPvRmT1_PNSt15iterator_traitsISK_E10value_typeET2_T3_PNSL_ISQ_E10value_typeET4_jRbjT5_SW_jjP12ihipStream_tbEUlT_E2_NS1_11comp_targetILNS1_3genE8ELNS1_11target_archE1030ELNS1_3gpuE2ELNS1_3repE0EEENS1_30default_config_static_selectorELNS0_4arch9wavefront6targetE0EEEvSK_,"axG",@progbits,_ZN7rocprim17ROCPRIM_400000_NS6detail17trampoline_kernelINS0_14default_configENS1_36segmented_radix_sort_config_selectorIdlEEZNS1_25segmented_radix_sort_implIS3_Lb1EPKdPdPKlPlN2at6native12_GLOBAL__N_18offset_tEEE10hipError_tPvRmT1_PNSt15iterator_traitsISK_E10value_typeET2_T3_PNSL_ISQ_E10value_typeET4_jRbjT5_SW_jjP12ihipStream_tbEUlT_E2_NS1_11comp_targetILNS1_3genE8ELNS1_11target_archE1030ELNS1_3gpuE2ELNS1_3repE0EEENS1_30default_config_static_selectorELNS0_4arch9wavefront6targetE0EEEvSK_,comdat
.Lfunc_end1156:
	.size	_ZN7rocprim17ROCPRIM_400000_NS6detail17trampoline_kernelINS0_14default_configENS1_36segmented_radix_sort_config_selectorIdlEEZNS1_25segmented_radix_sort_implIS3_Lb1EPKdPdPKlPlN2at6native12_GLOBAL__N_18offset_tEEE10hipError_tPvRmT1_PNSt15iterator_traitsISK_E10value_typeET2_T3_PNSL_ISQ_E10value_typeET4_jRbjT5_SW_jjP12ihipStream_tbEUlT_E2_NS1_11comp_targetILNS1_3genE8ELNS1_11target_archE1030ELNS1_3gpuE2ELNS1_3repE0EEENS1_30default_config_static_selectorELNS0_4arch9wavefront6targetE0EEEvSK_, .Lfunc_end1156-_ZN7rocprim17ROCPRIM_400000_NS6detail17trampoline_kernelINS0_14default_configENS1_36segmented_radix_sort_config_selectorIdlEEZNS1_25segmented_radix_sort_implIS3_Lb1EPKdPdPKlPlN2at6native12_GLOBAL__N_18offset_tEEE10hipError_tPvRmT1_PNSt15iterator_traitsISK_E10value_typeET2_T3_PNSL_ISQ_E10value_typeET4_jRbjT5_SW_jjP12ihipStream_tbEUlT_E2_NS1_11comp_targetILNS1_3genE8ELNS1_11target_archE1030ELNS1_3gpuE2ELNS1_3repE0EEENS1_30default_config_static_selectorELNS0_4arch9wavefront6targetE0EEEvSK_
                                        ; -- End function
	.section	.AMDGPU.csdata,"",@progbits
; Kernel info:
; codeLenInByte = 0
; NumSgprs: 0
; NumVgprs: 0
; ScratchSize: 0
; MemoryBound: 0
; FloatMode: 240
; IeeeMode: 1
; LDSByteSize: 0 bytes/workgroup (compile time only)
; SGPRBlocks: 0
; VGPRBlocks: 0
; NumSGPRsForWavesPerEU: 1
; NumVGPRsForWavesPerEU: 1
; Occupancy: 16
; WaveLimiterHint : 0
; COMPUTE_PGM_RSRC2:SCRATCH_EN: 0
; COMPUTE_PGM_RSRC2:USER_SGPR: 15
; COMPUTE_PGM_RSRC2:TRAP_HANDLER: 0
; COMPUTE_PGM_RSRC2:TGID_X_EN: 1
; COMPUTE_PGM_RSRC2:TGID_Y_EN: 0
; COMPUTE_PGM_RSRC2:TGID_Z_EN: 0
; COMPUTE_PGM_RSRC2:TIDIG_COMP_CNT: 0
	.section	.text._ZN7rocprim17ROCPRIM_400000_NS6detail17trampoline_kernelINS0_13select_configILj256ELj13ELNS0_17block_load_methodE3ELS4_3ELS4_3ELNS0_20block_scan_algorithmE0ELj4294967295EEENS1_25partition_config_selectorILNS1_17partition_subalgoE4EjNS0_10empty_typeEbEEZZNS1_14partition_implILS8_4ELb0ES6_15HIP_vector_typeIjLj2EENS0_17counting_iteratorIjlEEPS9_SG_NS0_5tupleIJPjSI_NS0_16reverse_iteratorISI_EEEEENSH_IJSG_SG_SG_EEES9_SI_JZNS1_25segmented_radix_sort_implINS0_14default_configELb0EPKdPdPKlPlN2at6native12_GLOBAL__N_18offset_tEEE10hipError_tPvRmT1_PNSt15iterator_traitsIS12_E10value_typeET2_T3_PNS13_IS18_E10value_typeET4_jRbjT5_S1E_jjP12ihipStream_tbEUljE_ZNSN_ISO_Lb0ESQ_SR_ST_SU_SY_EESZ_S10_S11_S12_S16_S17_S18_S1B_S1C_jS1D_jS1E_S1E_jjS1G_bEUljE0_EEESZ_S10_S11_S18_S1C_S1E_T6_T7_T9_mT8_S1G_bDpT10_ENKUlT_T0_E_clISt17integral_constantIbLb0EES1U_EEDaS1P_S1Q_EUlS1P_E_NS1_11comp_targetILNS1_3genE0ELNS1_11target_archE4294967295ELNS1_3gpuE0ELNS1_3repE0EEENS1_30default_config_static_selectorELNS0_4arch9wavefront6targetE0EEEvS12_,"axG",@progbits,_ZN7rocprim17ROCPRIM_400000_NS6detail17trampoline_kernelINS0_13select_configILj256ELj13ELNS0_17block_load_methodE3ELS4_3ELS4_3ELNS0_20block_scan_algorithmE0ELj4294967295EEENS1_25partition_config_selectorILNS1_17partition_subalgoE4EjNS0_10empty_typeEbEEZZNS1_14partition_implILS8_4ELb0ES6_15HIP_vector_typeIjLj2EENS0_17counting_iteratorIjlEEPS9_SG_NS0_5tupleIJPjSI_NS0_16reverse_iteratorISI_EEEEENSH_IJSG_SG_SG_EEES9_SI_JZNS1_25segmented_radix_sort_implINS0_14default_configELb0EPKdPdPKlPlN2at6native12_GLOBAL__N_18offset_tEEE10hipError_tPvRmT1_PNSt15iterator_traitsIS12_E10value_typeET2_T3_PNS13_IS18_E10value_typeET4_jRbjT5_S1E_jjP12ihipStream_tbEUljE_ZNSN_ISO_Lb0ESQ_SR_ST_SU_SY_EESZ_S10_S11_S12_S16_S17_S18_S1B_S1C_jS1D_jS1E_S1E_jjS1G_bEUljE0_EEESZ_S10_S11_S18_S1C_S1E_T6_T7_T9_mT8_S1G_bDpT10_ENKUlT_T0_E_clISt17integral_constantIbLb0EES1U_EEDaS1P_S1Q_EUlS1P_E_NS1_11comp_targetILNS1_3genE0ELNS1_11target_archE4294967295ELNS1_3gpuE0ELNS1_3repE0EEENS1_30default_config_static_selectorELNS0_4arch9wavefront6targetE0EEEvS12_,comdat
	.globl	_ZN7rocprim17ROCPRIM_400000_NS6detail17trampoline_kernelINS0_13select_configILj256ELj13ELNS0_17block_load_methodE3ELS4_3ELS4_3ELNS0_20block_scan_algorithmE0ELj4294967295EEENS1_25partition_config_selectorILNS1_17partition_subalgoE4EjNS0_10empty_typeEbEEZZNS1_14partition_implILS8_4ELb0ES6_15HIP_vector_typeIjLj2EENS0_17counting_iteratorIjlEEPS9_SG_NS0_5tupleIJPjSI_NS0_16reverse_iteratorISI_EEEEENSH_IJSG_SG_SG_EEES9_SI_JZNS1_25segmented_radix_sort_implINS0_14default_configELb0EPKdPdPKlPlN2at6native12_GLOBAL__N_18offset_tEEE10hipError_tPvRmT1_PNSt15iterator_traitsIS12_E10value_typeET2_T3_PNS13_IS18_E10value_typeET4_jRbjT5_S1E_jjP12ihipStream_tbEUljE_ZNSN_ISO_Lb0ESQ_SR_ST_SU_SY_EESZ_S10_S11_S12_S16_S17_S18_S1B_S1C_jS1D_jS1E_S1E_jjS1G_bEUljE0_EEESZ_S10_S11_S18_S1C_S1E_T6_T7_T9_mT8_S1G_bDpT10_ENKUlT_T0_E_clISt17integral_constantIbLb0EES1U_EEDaS1P_S1Q_EUlS1P_E_NS1_11comp_targetILNS1_3genE0ELNS1_11target_archE4294967295ELNS1_3gpuE0ELNS1_3repE0EEENS1_30default_config_static_selectorELNS0_4arch9wavefront6targetE0EEEvS12_ ; -- Begin function _ZN7rocprim17ROCPRIM_400000_NS6detail17trampoline_kernelINS0_13select_configILj256ELj13ELNS0_17block_load_methodE3ELS4_3ELS4_3ELNS0_20block_scan_algorithmE0ELj4294967295EEENS1_25partition_config_selectorILNS1_17partition_subalgoE4EjNS0_10empty_typeEbEEZZNS1_14partition_implILS8_4ELb0ES6_15HIP_vector_typeIjLj2EENS0_17counting_iteratorIjlEEPS9_SG_NS0_5tupleIJPjSI_NS0_16reverse_iteratorISI_EEEEENSH_IJSG_SG_SG_EEES9_SI_JZNS1_25segmented_radix_sort_implINS0_14default_configELb0EPKdPdPKlPlN2at6native12_GLOBAL__N_18offset_tEEE10hipError_tPvRmT1_PNSt15iterator_traitsIS12_E10value_typeET2_T3_PNS13_IS18_E10value_typeET4_jRbjT5_S1E_jjP12ihipStream_tbEUljE_ZNSN_ISO_Lb0ESQ_SR_ST_SU_SY_EESZ_S10_S11_S12_S16_S17_S18_S1B_S1C_jS1D_jS1E_S1E_jjS1G_bEUljE0_EEESZ_S10_S11_S18_S1C_S1E_T6_T7_T9_mT8_S1G_bDpT10_ENKUlT_T0_E_clISt17integral_constantIbLb0EES1U_EEDaS1P_S1Q_EUlS1P_E_NS1_11comp_targetILNS1_3genE0ELNS1_11target_archE4294967295ELNS1_3gpuE0ELNS1_3repE0EEENS1_30default_config_static_selectorELNS0_4arch9wavefront6targetE0EEEvS12_
	.p2align	8
	.type	_ZN7rocprim17ROCPRIM_400000_NS6detail17trampoline_kernelINS0_13select_configILj256ELj13ELNS0_17block_load_methodE3ELS4_3ELS4_3ELNS0_20block_scan_algorithmE0ELj4294967295EEENS1_25partition_config_selectorILNS1_17partition_subalgoE4EjNS0_10empty_typeEbEEZZNS1_14partition_implILS8_4ELb0ES6_15HIP_vector_typeIjLj2EENS0_17counting_iteratorIjlEEPS9_SG_NS0_5tupleIJPjSI_NS0_16reverse_iteratorISI_EEEEENSH_IJSG_SG_SG_EEES9_SI_JZNS1_25segmented_radix_sort_implINS0_14default_configELb0EPKdPdPKlPlN2at6native12_GLOBAL__N_18offset_tEEE10hipError_tPvRmT1_PNSt15iterator_traitsIS12_E10value_typeET2_T3_PNS13_IS18_E10value_typeET4_jRbjT5_S1E_jjP12ihipStream_tbEUljE_ZNSN_ISO_Lb0ESQ_SR_ST_SU_SY_EESZ_S10_S11_S12_S16_S17_S18_S1B_S1C_jS1D_jS1E_S1E_jjS1G_bEUljE0_EEESZ_S10_S11_S18_S1C_S1E_T6_T7_T9_mT8_S1G_bDpT10_ENKUlT_T0_E_clISt17integral_constantIbLb0EES1U_EEDaS1P_S1Q_EUlS1P_E_NS1_11comp_targetILNS1_3genE0ELNS1_11target_archE4294967295ELNS1_3gpuE0ELNS1_3repE0EEENS1_30default_config_static_selectorELNS0_4arch9wavefront6targetE0EEEvS12_,@function
_ZN7rocprim17ROCPRIM_400000_NS6detail17trampoline_kernelINS0_13select_configILj256ELj13ELNS0_17block_load_methodE3ELS4_3ELS4_3ELNS0_20block_scan_algorithmE0ELj4294967295EEENS1_25partition_config_selectorILNS1_17partition_subalgoE4EjNS0_10empty_typeEbEEZZNS1_14partition_implILS8_4ELb0ES6_15HIP_vector_typeIjLj2EENS0_17counting_iteratorIjlEEPS9_SG_NS0_5tupleIJPjSI_NS0_16reverse_iteratorISI_EEEEENSH_IJSG_SG_SG_EEES9_SI_JZNS1_25segmented_radix_sort_implINS0_14default_configELb0EPKdPdPKlPlN2at6native12_GLOBAL__N_18offset_tEEE10hipError_tPvRmT1_PNSt15iterator_traitsIS12_E10value_typeET2_T3_PNS13_IS18_E10value_typeET4_jRbjT5_S1E_jjP12ihipStream_tbEUljE_ZNSN_ISO_Lb0ESQ_SR_ST_SU_SY_EESZ_S10_S11_S12_S16_S17_S18_S1B_S1C_jS1D_jS1E_S1E_jjS1G_bEUljE0_EEESZ_S10_S11_S18_S1C_S1E_T6_T7_T9_mT8_S1G_bDpT10_ENKUlT_T0_E_clISt17integral_constantIbLb0EES1U_EEDaS1P_S1Q_EUlS1P_E_NS1_11comp_targetILNS1_3genE0ELNS1_11target_archE4294967295ELNS1_3gpuE0ELNS1_3repE0EEENS1_30default_config_static_selectorELNS0_4arch9wavefront6targetE0EEEvS12_: ; @_ZN7rocprim17ROCPRIM_400000_NS6detail17trampoline_kernelINS0_13select_configILj256ELj13ELNS0_17block_load_methodE3ELS4_3ELS4_3ELNS0_20block_scan_algorithmE0ELj4294967295EEENS1_25partition_config_selectorILNS1_17partition_subalgoE4EjNS0_10empty_typeEbEEZZNS1_14partition_implILS8_4ELb0ES6_15HIP_vector_typeIjLj2EENS0_17counting_iteratorIjlEEPS9_SG_NS0_5tupleIJPjSI_NS0_16reverse_iteratorISI_EEEEENSH_IJSG_SG_SG_EEES9_SI_JZNS1_25segmented_radix_sort_implINS0_14default_configELb0EPKdPdPKlPlN2at6native12_GLOBAL__N_18offset_tEEE10hipError_tPvRmT1_PNSt15iterator_traitsIS12_E10value_typeET2_T3_PNS13_IS18_E10value_typeET4_jRbjT5_S1E_jjP12ihipStream_tbEUljE_ZNSN_ISO_Lb0ESQ_SR_ST_SU_SY_EESZ_S10_S11_S12_S16_S17_S18_S1B_S1C_jS1D_jS1E_S1E_jjS1G_bEUljE0_EEESZ_S10_S11_S18_S1C_S1E_T6_T7_T9_mT8_S1G_bDpT10_ENKUlT_T0_E_clISt17integral_constantIbLb0EES1U_EEDaS1P_S1Q_EUlS1P_E_NS1_11comp_targetILNS1_3genE0ELNS1_11target_archE4294967295ELNS1_3gpuE0ELNS1_3repE0EEENS1_30default_config_static_selectorELNS0_4arch9wavefront6targetE0EEEvS12_
; %bb.0:
	.section	.rodata,"a",@progbits
	.p2align	6, 0x0
	.amdhsa_kernel _ZN7rocprim17ROCPRIM_400000_NS6detail17trampoline_kernelINS0_13select_configILj256ELj13ELNS0_17block_load_methodE3ELS4_3ELS4_3ELNS0_20block_scan_algorithmE0ELj4294967295EEENS1_25partition_config_selectorILNS1_17partition_subalgoE4EjNS0_10empty_typeEbEEZZNS1_14partition_implILS8_4ELb0ES6_15HIP_vector_typeIjLj2EENS0_17counting_iteratorIjlEEPS9_SG_NS0_5tupleIJPjSI_NS0_16reverse_iteratorISI_EEEEENSH_IJSG_SG_SG_EEES9_SI_JZNS1_25segmented_radix_sort_implINS0_14default_configELb0EPKdPdPKlPlN2at6native12_GLOBAL__N_18offset_tEEE10hipError_tPvRmT1_PNSt15iterator_traitsIS12_E10value_typeET2_T3_PNS13_IS18_E10value_typeET4_jRbjT5_S1E_jjP12ihipStream_tbEUljE_ZNSN_ISO_Lb0ESQ_SR_ST_SU_SY_EESZ_S10_S11_S12_S16_S17_S18_S1B_S1C_jS1D_jS1E_S1E_jjS1G_bEUljE0_EEESZ_S10_S11_S18_S1C_S1E_T6_T7_T9_mT8_S1G_bDpT10_ENKUlT_T0_E_clISt17integral_constantIbLb0EES1U_EEDaS1P_S1Q_EUlS1P_E_NS1_11comp_targetILNS1_3genE0ELNS1_11target_archE4294967295ELNS1_3gpuE0ELNS1_3repE0EEENS1_30default_config_static_selectorELNS0_4arch9wavefront6targetE0EEEvS12_
		.amdhsa_group_segment_fixed_size 0
		.amdhsa_private_segment_fixed_size 0
		.amdhsa_kernarg_size 176
		.amdhsa_user_sgpr_count 15
		.amdhsa_user_sgpr_dispatch_ptr 0
		.amdhsa_user_sgpr_queue_ptr 0
		.amdhsa_user_sgpr_kernarg_segment_ptr 1
		.amdhsa_user_sgpr_dispatch_id 0
		.amdhsa_user_sgpr_private_segment_size 0
		.amdhsa_wavefront_size32 1
		.amdhsa_uses_dynamic_stack 0
		.amdhsa_enable_private_segment 0
		.amdhsa_system_sgpr_workgroup_id_x 1
		.amdhsa_system_sgpr_workgroup_id_y 0
		.amdhsa_system_sgpr_workgroup_id_z 0
		.amdhsa_system_sgpr_workgroup_info 0
		.amdhsa_system_vgpr_workitem_id 0
		.amdhsa_next_free_vgpr 1
		.amdhsa_next_free_sgpr 1
		.amdhsa_reserve_vcc 0
		.amdhsa_float_round_mode_32 0
		.amdhsa_float_round_mode_16_64 0
		.amdhsa_float_denorm_mode_32 3
		.amdhsa_float_denorm_mode_16_64 3
		.amdhsa_dx10_clamp 1
		.amdhsa_ieee_mode 1
		.amdhsa_fp16_overflow 0
		.amdhsa_workgroup_processor_mode 1
		.amdhsa_memory_ordered 1
		.amdhsa_forward_progress 0
		.amdhsa_shared_vgpr_count 0
		.amdhsa_exception_fp_ieee_invalid_op 0
		.amdhsa_exception_fp_denorm_src 0
		.amdhsa_exception_fp_ieee_div_zero 0
		.amdhsa_exception_fp_ieee_overflow 0
		.amdhsa_exception_fp_ieee_underflow 0
		.amdhsa_exception_fp_ieee_inexact 0
		.amdhsa_exception_int_div_zero 0
	.end_amdhsa_kernel
	.section	.text._ZN7rocprim17ROCPRIM_400000_NS6detail17trampoline_kernelINS0_13select_configILj256ELj13ELNS0_17block_load_methodE3ELS4_3ELS4_3ELNS0_20block_scan_algorithmE0ELj4294967295EEENS1_25partition_config_selectorILNS1_17partition_subalgoE4EjNS0_10empty_typeEbEEZZNS1_14partition_implILS8_4ELb0ES6_15HIP_vector_typeIjLj2EENS0_17counting_iteratorIjlEEPS9_SG_NS0_5tupleIJPjSI_NS0_16reverse_iteratorISI_EEEEENSH_IJSG_SG_SG_EEES9_SI_JZNS1_25segmented_radix_sort_implINS0_14default_configELb0EPKdPdPKlPlN2at6native12_GLOBAL__N_18offset_tEEE10hipError_tPvRmT1_PNSt15iterator_traitsIS12_E10value_typeET2_T3_PNS13_IS18_E10value_typeET4_jRbjT5_S1E_jjP12ihipStream_tbEUljE_ZNSN_ISO_Lb0ESQ_SR_ST_SU_SY_EESZ_S10_S11_S12_S16_S17_S18_S1B_S1C_jS1D_jS1E_S1E_jjS1G_bEUljE0_EEESZ_S10_S11_S18_S1C_S1E_T6_T7_T9_mT8_S1G_bDpT10_ENKUlT_T0_E_clISt17integral_constantIbLb0EES1U_EEDaS1P_S1Q_EUlS1P_E_NS1_11comp_targetILNS1_3genE0ELNS1_11target_archE4294967295ELNS1_3gpuE0ELNS1_3repE0EEENS1_30default_config_static_selectorELNS0_4arch9wavefront6targetE0EEEvS12_,"axG",@progbits,_ZN7rocprim17ROCPRIM_400000_NS6detail17trampoline_kernelINS0_13select_configILj256ELj13ELNS0_17block_load_methodE3ELS4_3ELS4_3ELNS0_20block_scan_algorithmE0ELj4294967295EEENS1_25partition_config_selectorILNS1_17partition_subalgoE4EjNS0_10empty_typeEbEEZZNS1_14partition_implILS8_4ELb0ES6_15HIP_vector_typeIjLj2EENS0_17counting_iteratorIjlEEPS9_SG_NS0_5tupleIJPjSI_NS0_16reverse_iteratorISI_EEEEENSH_IJSG_SG_SG_EEES9_SI_JZNS1_25segmented_radix_sort_implINS0_14default_configELb0EPKdPdPKlPlN2at6native12_GLOBAL__N_18offset_tEEE10hipError_tPvRmT1_PNSt15iterator_traitsIS12_E10value_typeET2_T3_PNS13_IS18_E10value_typeET4_jRbjT5_S1E_jjP12ihipStream_tbEUljE_ZNSN_ISO_Lb0ESQ_SR_ST_SU_SY_EESZ_S10_S11_S12_S16_S17_S18_S1B_S1C_jS1D_jS1E_S1E_jjS1G_bEUljE0_EEESZ_S10_S11_S18_S1C_S1E_T6_T7_T9_mT8_S1G_bDpT10_ENKUlT_T0_E_clISt17integral_constantIbLb0EES1U_EEDaS1P_S1Q_EUlS1P_E_NS1_11comp_targetILNS1_3genE0ELNS1_11target_archE4294967295ELNS1_3gpuE0ELNS1_3repE0EEENS1_30default_config_static_selectorELNS0_4arch9wavefront6targetE0EEEvS12_,comdat
.Lfunc_end1157:
	.size	_ZN7rocprim17ROCPRIM_400000_NS6detail17trampoline_kernelINS0_13select_configILj256ELj13ELNS0_17block_load_methodE3ELS4_3ELS4_3ELNS0_20block_scan_algorithmE0ELj4294967295EEENS1_25partition_config_selectorILNS1_17partition_subalgoE4EjNS0_10empty_typeEbEEZZNS1_14partition_implILS8_4ELb0ES6_15HIP_vector_typeIjLj2EENS0_17counting_iteratorIjlEEPS9_SG_NS0_5tupleIJPjSI_NS0_16reverse_iteratorISI_EEEEENSH_IJSG_SG_SG_EEES9_SI_JZNS1_25segmented_radix_sort_implINS0_14default_configELb0EPKdPdPKlPlN2at6native12_GLOBAL__N_18offset_tEEE10hipError_tPvRmT1_PNSt15iterator_traitsIS12_E10value_typeET2_T3_PNS13_IS18_E10value_typeET4_jRbjT5_S1E_jjP12ihipStream_tbEUljE_ZNSN_ISO_Lb0ESQ_SR_ST_SU_SY_EESZ_S10_S11_S12_S16_S17_S18_S1B_S1C_jS1D_jS1E_S1E_jjS1G_bEUljE0_EEESZ_S10_S11_S18_S1C_S1E_T6_T7_T9_mT8_S1G_bDpT10_ENKUlT_T0_E_clISt17integral_constantIbLb0EES1U_EEDaS1P_S1Q_EUlS1P_E_NS1_11comp_targetILNS1_3genE0ELNS1_11target_archE4294967295ELNS1_3gpuE0ELNS1_3repE0EEENS1_30default_config_static_selectorELNS0_4arch9wavefront6targetE0EEEvS12_, .Lfunc_end1157-_ZN7rocprim17ROCPRIM_400000_NS6detail17trampoline_kernelINS0_13select_configILj256ELj13ELNS0_17block_load_methodE3ELS4_3ELS4_3ELNS0_20block_scan_algorithmE0ELj4294967295EEENS1_25partition_config_selectorILNS1_17partition_subalgoE4EjNS0_10empty_typeEbEEZZNS1_14partition_implILS8_4ELb0ES6_15HIP_vector_typeIjLj2EENS0_17counting_iteratorIjlEEPS9_SG_NS0_5tupleIJPjSI_NS0_16reverse_iteratorISI_EEEEENSH_IJSG_SG_SG_EEES9_SI_JZNS1_25segmented_radix_sort_implINS0_14default_configELb0EPKdPdPKlPlN2at6native12_GLOBAL__N_18offset_tEEE10hipError_tPvRmT1_PNSt15iterator_traitsIS12_E10value_typeET2_T3_PNS13_IS18_E10value_typeET4_jRbjT5_S1E_jjP12ihipStream_tbEUljE_ZNSN_ISO_Lb0ESQ_SR_ST_SU_SY_EESZ_S10_S11_S12_S16_S17_S18_S1B_S1C_jS1D_jS1E_S1E_jjS1G_bEUljE0_EEESZ_S10_S11_S18_S1C_S1E_T6_T7_T9_mT8_S1G_bDpT10_ENKUlT_T0_E_clISt17integral_constantIbLb0EES1U_EEDaS1P_S1Q_EUlS1P_E_NS1_11comp_targetILNS1_3genE0ELNS1_11target_archE4294967295ELNS1_3gpuE0ELNS1_3repE0EEENS1_30default_config_static_selectorELNS0_4arch9wavefront6targetE0EEEvS12_
                                        ; -- End function
	.section	.AMDGPU.csdata,"",@progbits
; Kernel info:
; codeLenInByte = 0
; NumSgprs: 0
; NumVgprs: 0
; ScratchSize: 0
; MemoryBound: 0
; FloatMode: 240
; IeeeMode: 1
; LDSByteSize: 0 bytes/workgroup (compile time only)
; SGPRBlocks: 0
; VGPRBlocks: 0
; NumSGPRsForWavesPerEU: 1
; NumVGPRsForWavesPerEU: 1
; Occupancy: 16
; WaveLimiterHint : 0
; COMPUTE_PGM_RSRC2:SCRATCH_EN: 0
; COMPUTE_PGM_RSRC2:USER_SGPR: 15
; COMPUTE_PGM_RSRC2:TRAP_HANDLER: 0
; COMPUTE_PGM_RSRC2:TGID_X_EN: 1
; COMPUTE_PGM_RSRC2:TGID_Y_EN: 0
; COMPUTE_PGM_RSRC2:TGID_Z_EN: 0
; COMPUTE_PGM_RSRC2:TIDIG_COMP_CNT: 0
	.section	.text._ZN7rocprim17ROCPRIM_400000_NS6detail17trampoline_kernelINS0_13select_configILj256ELj13ELNS0_17block_load_methodE3ELS4_3ELS4_3ELNS0_20block_scan_algorithmE0ELj4294967295EEENS1_25partition_config_selectorILNS1_17partition_subalgoE4EjNS0_10empty_typeEbEEZZNS1_14partition_implILS8_4ELb0ES6_15HIP_vector_typeIjLj2EENS0_17counting_iteratorIjlEEPS9_SG_NS0_5tupleIJPjSI_NS0_16reverse_iteratorISI_EEEEENSH_IJSG_SG_SG_EEES9_SI_JZNS1_25segmented_radix_sort_implINS0_14default_configELb0EPKdPdPKlPlN2at6native12_GLOBAL__N_18offset_tEEE10hipError_tPvRmT1_PNSt15iterator_traitsIS12_E10value_typeET2_T3_PNS13_IS18_E10value_typeET4_jRbjT5_S1E_jjP12ihipStream_tbEUljE_ZNSN_ISO_Lb0ESQ_SR_ST_SU_SY_EESZ_S10_S11_S12_S16_S17_S18_S1B_S1C_jS1D_jS1E_S1E_jjS1G_bEUljE0_EEESZ_S10_S11_S18_S1C_S1E_T6_T7_T9_mT8_S1G_bDpT10_ENKUlT_T0_E_clISt17integral_constantIbLb0EES1U_EEDaS1P_S1Q_EUlS1P_E_NS1_11comp_targetILNS1_3genE5ELNS1_11target_archE942ELNS1_3gpuE9ELNS1_3repE0EEENS1_30default_config_static_selectorELNS0_4arch9wavefront6targetE0EEEvS12_,"axG",@progbits,_ZN7rocprim17ROCPRIM_400000_NS6detail17trampoline_kernelINS0_13select_configILj256ELj13ELNS0_17block_load_methodE3ELS4_3ELS4_3ELNS0_20block_scan_algorithmE0ELj4294967295EEENS1_25partition_config_selectorILNS1_17partition_subalgoE4EjNS0_10empty_typeEbEEZZNS1_14partition_implILS8_4ELb0ES6_15HIP_vector_typeIjLj2EENS0_17counting_iteratorIjlEEPS9_SG_NS0_5tupleIJPjSI_NS0_16reverse_iteratorISI_EEEEENSH_IJSG_SG_SG_EEES9_SI_JZNS1_25segmented_radix_sort_implINS0_14default_configELb0EPKdPdPKlPlN2at6native12_GLOBAL__N_18offset_tEEE10hipError_tPvRmT1_PNSt15iterator_traitsIS12_E10value_typeET2_T3_PNS13_IS18_E10value_typeET4_jRbjT5_S1E_jjP12ihipStream_tbEUljE_ZNSN_ISO_Lb0ESQ_SR_ST_SU_SY_EESZ_S10_S11_S12_S16_S17_S18_S1B_S1C_jS1D_jS1E_S1E_jjS1G_bEUljE0_EEESZ_S10_S11_S18_S1C_S1E_T6_T7_T9_mT8_S1G_bDpT10_ENKUlT_T0_E_clISt17integral_constantIbLb0EES1U_EEDaS1P_S1Q_EUlS1P_E_NS1_11comp_targetILNS1_3genE5ELNS1_11target_archE942ELNS1_3gpuE9ELNS1_3repE0EEENS1_30default_config_static_selectorELNS0_4arch9wavefront6targetE0EEEvS12_,comdat
	.globl	_ZN7rocprim17ROCPRIM_400000_NS6detail17trampoline_kernelINS0_13select_configILj256ELj13ELNS0_17block_load_methodE3ELS4_3ELS4_3ELNS0_20block_scan_algorithmE0ELj4294967295EEENS1_25partition_config_selectorILNS1_17partition_subalgoE4EjNS0_10empty_typeEbEEZZNS1_14partition_implILS8_4ELb0ES6_15HIP_vector_typeIjLj2EENS0_17counting_iteratorIjlEEPS9_SG_NS0_5tupleIJPjSI_NS0_16reverse_iteratorISI_EEEEENSH_IJSG_SG_SG_EEES9_SI_JZNS1_25segmented_radix_sort_implINS0_14default_configELb0EPKdPdPKlPlN2at6native12_GLOBAL__N_18offset_tEEE10hipError_tPvRmT1_PNSt15iterator_traitsIS12_E10value_typeET2_T3_PNS13_IS18_E10value_typeET4_jRbjT5_S1E_jjP12ihipStream_tbEUljE_ZNSN_ISO_Lb0ESQ_SR_ST_SU_SY_EESZ_S10_S11_S12_S16_S17_S18_S1B_S1C_jS1D_jS1E_S1E_jjS1G_bEUljE0_EEESZ_S10_S11_S18_S1C_S1E_T6_T7_T9_mT8_S1G_bDpT10_ENKUlT_T0_E_clISt17integral_constantIbLb0EES1U_EEDaS1P_S1Q_EUlS1P_E_NS1_11comp_targetILNS1_3genE5ELNS1_11target_archE942ELNS1_3gpuE9ELNS1_3repE0EEENS1_30default_config_static_selectorELNS0_4arch9wavefront6targetE0EEEvS12_ ; -- Begin function _ZN7rocprim17ROCPRIM_400000_NS6detail17trampoline_kernelINS0_13select_configILj256ELj13ELNS0_17block_load_methodE3ELS4_3ELS4_3ELNS0_20block_scan_algorithmE0ELj4294967295EEENS1_25partition_config_selectorILNS1_17partition_subalgoE4EjNS0_10empty_typeEbEEZZNS1_14partition_implILS8_4ELb0ES6_15HIP_vector_typeIjLj2EENS0_17counting_iteratorIjlEEPS9_SG_NS0_5tupleIJPjSI_NS0_16reverse_iteratorISI_EEEEENSH_IJSG_SG_SG_EEES9_SI_JZNS1_25segmented_radix_sort_implINS0_14default_configELb0EPKdPdPKlPlN2at6native12_GLOBAL__N_18offset_tEEE10hipError_tPvRmT1_PNSt15iterator_traitsIS12_E10value_typeET2_T3_PNS13_IS18_E10value_typeET4_jRbjT5_S1E_jjP12ihipStream_tbEUljE_ZNSN_ISO_Lb0ESQ_SR_ST_SU_SY_EESZ_S10_S11_S12_S16_S17_S18_S1B_S1C_jS1D_jS1E_S1E_jjS1G_bEUljE0_EEESZ_S10_S11_S18_S1C_S1E_T6_T7_T9_mT8_S1G_bDpT10_ENKUlT_T0_E_clISt17integral_constantIbLb0EES1U_EEDaS1P_S1Q_EUlS1P_E_NS1_11comp_targetILNS1_3genE5ELNS1_11target_archE942ELNS1_3gpuE9ELNS1_3repE0EEENS1_30default_config_static_selectorELNS0_4arch9wavefront6targetE0EEEvS12_
	.p2align	8
	.type	_ZN7rocprim17ROCPRIM_400000_NS6detail17trampoline_kernelINS0_13select_configILj256ELj13ELNS0_17block_load_methodE3ELS4_3ELS4_3ELNS0_20block_scan_algorithmE0ELj4294967295EEENS1_25partition_config_selectorILNS1_17partition_subalgoE4EjNS0_10empty_typeEbEEZZNS1_14partition_implILS8_4ELb0ES6_15HIP_vector_typeIjLj2EENS0_17counting_iteratorIjlEEPS9_SG_NS0_5tupleIJPjSI_NS0_16reverse_iteratorISI_EEEEENSH_IJSG_SG_SG_EEES9_SI_JZNS1_25segmented_radix_sort_implINS0_14default_configELb0EPKdPdPKlPlN2at6native12_GLOBAL__N_18offset_tEEE10hipError_tPvRmT1_PNSt15iterator_traitsIS12_E10value_typeET2_T3_PNS13_IS18_E10value_typeET4_jRbjT5_S1E_jjP12ihipStream_tbEUljE_ZNSN_ISO_Lb0ESQ_SR_ST_SU_SY_EESZ_S10_S11_S12_S16_S17_S18_S1B_S1C_jS1D_jS1E_S1E_jjS1G_bEUljE0_EEESZ_S10_S11_S18_S1C_S1E_T6_T7_T9_mT8_S1G_bDpT10_ENKUlT_T0_E_clISt17integral_constantIbLb0EES1U_EEDaS1P_S1Q_EUlS1P_E_NS1_11comp_targetILNS1_3genE5ELNS1_11target_archE942ELNS1_3gpuE9ELNS1_3repE0EEENS1_30default_config_static_selectorELNS0_4arch9wavefront6targetE0EEEvS12_,@function
_ZN7rocprim17ROCPRIM_400000_NS6detail17trampoline_kernelINS0_13select_configILj256ELj13ELNS0_17block_load_methodE3ELS4_3ELS4_3ELNS0_20block_scan_algorithmE0ELj4294967295EEENS1_25partition_config_selectorILNS1_17partition_subalgoE4EjNS0_10empty_typeEbEEZZNS1_14partition_implILS8_4ELb0ES6_15HIP_vector_typeIjLj2EENS0_17counting_iteratorIjlEEPS9_SG_NS0_5tupleIJPjSI_NS0_16reverse_iteratorISI_EEEEENSH_IJSG_SG_SG_EEES9_SI_JZNS1_25segmented_radix_sort_implINS0_14default_configELb0EPKdPdPKlPlN2at6native12_GLOBAL__N_18offset_tEEE10hipError_tPvRmT1_PNSt15iterator_traitsIS12_E10value_typeET2_T3_PNS13_IS18_E10value_typeET4_jRbjT5_S1E_jjP12ihipStream_tbEUljE_ZNSN_ISO_Lb0ESQ_SR_ST_SU_SY_EESZ_S10_S11_S12_S16_S17_S18_S1B_S1C_jS1D_jS1E_S1E_jjS1G_bEUljE0_EEESZ_S10_S11_S18_S1C_S1E_T6_T7_T9_mT8_S1G_bDpT10_ENKUlT_T0_E_clISt17integral_constantIbLb0EES1U_EEDaS1P_S1Q_EUlS1P_E_NS1_11comp_targetILNS1_3genE5ELNS1_11target_archE942ELNS1_3gpuE9ELNS1_3repE0EEENS1_30default_config_static_selectorELNS0_4arch9wavefront6targetE0EEEvS12_: ; @_ZN7rocprim17ROCPRIM_400000_NS6detail17trampoline_kernelINS0_13select_configILj256ELj13ELNS0_17block_load_methodE3ELS4_3ELS4_3ELNS0_20block_scan_algorithmE0ELj4294967295EEENS1_25partition_config_selectorILNS1_17partition_subalgoE4EjNS0_10empty_typeEbEEZZNS1_14partition_implILS8_4ELb0ES6_15HIP_vector_typeIjLj2EENS0_17counting_iteratorIjlEEPS9_SG_NS0_5tupleIJPjSI_NS0_16reverse_iteratorISI_EEEEENSH_IJSG_SG_SG_EEES9_SI_JZNS1_25segmented_radix_sort_implINS0_14default_configELb0EPKdPdPKlPlN2at6native12_GLOBAL__N_18offset_tEEE10hipError_tPvRmT1_PNSt15iterator_traitsIS12_E10value_typeET2_T3_PNS13_IS18_E10value_typeET4_jRbjT5_S1E_jjP12ihipStream_tbEUljE_ZNSN_ISO_Lb0ESQ_SR_ST_SU_SY_EESZ_S10_S11_S12_S16_S17_S18_S1B_S1C_jS1D_jS1E_S1E_jjS1G_bEUljE0_EEESZ_S10_S11_S18_S1C_S1E_T6_T7_T9_mT8_S1G_bDpT10_ENKUlT_T0_E_clISt17integral_constantIbLb0EES1U_EEDaS1P_S1Q_EUlS1P_E_NS1_11comp_targetILNS1_3genE5ELNS1_11target_archE942ELNS1_3gpuE9ELNS1_3repE0EEENS1_30default_config_static_selectorELNS0_4arch9wavefront6targetE0EEEvS12_
; %bb.0:
	.section	.rodata,"a",@progbits
	.p2align	6, 0x0
	.amdhsa_kernel _ZN7rocprim17ROCPRIM_400000_NS6detail17trampoline_kernelINS0_13select_configILj256ELj13ELNS0_17block_load_methodE3ELS4_3ELS4_3ELNS0_20block_scan_algorithmE0ELj4294967295EEENS1_25partition_config_selectorILNS1_17partition_subalgoE4EjNS0_10empty_typeEbEEZZNS1_14partition_implILS8_4ELb0ES6_15HIP_vector_typeIjLj2EENS0_17counting_iteratorIjlEEPS9_SG_NS0_5tupleIJPjSI_NS0_16reverse_iteratorISI_EEEEENSH_IJSG_SG_SG_EEES9_SI_JZNS1_25segmented_radix_sort_implINS0_14default_configELb0EPKdPdPKlPlN2at6native12_GLOBAL__N_18offset_tEEE10hipError_tPvRmT1_PNSt15iterator_traitsIS12_E10value_typeET2_T3_PNS13_IS18_E10value_typeET4_jRbjT5_S1E_jjP12ihipStream_tbEUljE_ZNSN_ISO_Lb0ESQ_SR_ST_SU_SY_EESZ_S10_S11_S12_S16_S17_S18_S1B_S1C_jS1D_jS1E_S1E_jjS1G_bEUljE0_EEESZ_S10_S11_S18_S1C_S1E_T6_T7_T9_mT8_S1G_bDpT10_ENKUlT_T0_E_clISt17integral_constantIbLb0EES1U_EEDaS1P_S1Q_EUlS1P_E_NS1_11comp_targetILNS1_3genE5ELNS1_11target_archE942ELNS1_3gpuE9ELNS1_3repE0EEENS1_30default_config_static_selectorELNS0_4arch9wavefront6targetE0EEEvS12_
		.amdhsa_group_segment_fixed_size 0
		.amdhsa_private_segment_fixed_size 0
		.amdhsa_kernarg_size 176
		.amdhsa_user_sgpr_count 15
		.amdhsa_user_sgpr_dispatch_ptr 0
		.amdhsa_user_sgpr_queue_ptr 0
		.amdhsa_user_sgpr_kernarg_segment_ptr 1
		.amdhsa_user_sgpr_dispatch_id 0
		.amdhsa_user_sgpr_private_segment_size 0
		.amdhsa_wavefront_size32 1
		.amdhsa_uses_dynamic_stack 0
		.amdhsa_enable_private_segment 0
		.amdhsa_system_sgpr_workgroup_id_x 1
		.amdhsa_system_sgpr_workgroup_id_y 0
		.amdhsa_system_sgpr_workgroup_id_z 0
		.amdhsa_system_sgpr_workgroup_info 0
		.amdhsa_system_vgpr_workitem_id 0
		.amdhsa_next_free_vgpr 1
		.amdhsa_next_free_sgpr 1
		.amdhsa_reserve_vcc 0
		.amdhsa_float_round_mode_32 0
		.amdhsa_float_round_mode_16_64 0
		.amdhsa_float_denorm_mode_32 3
		.amdhsa_float_denorm_mode_16_64 3
		.amdhsa_dx10_clamp 1
		.amdhsa_ieee_mode 1
		.amdhsa_fp16_overflow 0
		.amdhsa_workgroup_processor_mode 1
		.amdhsa_memory_ordered 1
		.amdhsa_forward_progress 0
		.amdhsa_shared_vgpr_count 0
		.amdhsa_exception_fp_ieee_invalid_op 0
		.amdhsa_exception_fp_denorm_src 0
		.amdhsa_exception_fp_ieee_div_zero 0
		.amdhsa_exception_fp_ieee_overflow 0
		.amdhsa_exception_fp_ieee_underflow 0
		.amdhsa_exception_fp_ieee_inexact 0
		.amdhsa_exception_int_div_zero 0
	.end_amdhsa_kernel
	.section	.text._ZN7rocprim17ROCPRIM_400000_NS6detail17trampoline_kernelINS0_13select_configILj256ELj13ELNS0_17block_load_methodE3ELS4_3ELS4_3ELNS0_20block_scan_algorithmE0ELj4294967295EEENS1_25partition_config_selectorILNS1_17partition_subalgoE4EjNS0_10empty_typeEbEEZZNS1_14partition_implILS8_4ELb0ES6_15HIP_vector_typeIjLj2EENS0_17counting_iteratorIjlEEPS9_SG_NS0_5tupleIJPjSI_NS0_16reverse_iteratorISI_EEEEENSH_IJSG_SG_SG_EEES9_SI_JZNS1_25segmented_radix_sort_implINS0_14default_configELb0EPKdPdPKlPlN2at6native12_GLOBAL__N_18offset_tEEE10hipError_tPvRmT1_PNSt15iterator_traitsIS12_E10value_typeET2_T3_PNS13_IS18_E10value_typeET4_jRbjT5_S1E_jjP12ihipStream_tbEUljE_ZNSN_ISO_Lb0ESQ_SR_ST_SU_SY_EESZ_S10_S11_S12_S16_S17_S18_S1B_S1C_jS1D_jS1E_S1E_jjS1G_bEUljE0_EEESZ_S10_S11_S18_S1C_S1E_T6_T7_T9_mT8_S1G_bDpT10_ENKUlT_T0_E_clISt17integral_constantIbLb0EES1U_EEDaS1P_S1Q_EUlS1P_E_NS1_11comp_targetILNS1_3genE5ELNS1_11target_archE942ELNS1_3gpuE9ELNS1_3repE0EEENS1_30default_config_static_selectorELNS0_4arch9wavefront6targetE0EEEvS12_,"axG",@progbits,_ZN7rocprim17ROCPRIM_400000_NS6detail17trampoline_kernelINS0_13select_configILj256ELj13ELNS0_17block_load_methodE3ELS4_3ELS4_3ELNS0_20block_scan_algorithmE0ELj4294967295EEENS1_25partition_config_selectorILNS1_17partition_subalgoE4EjNS0_10empty_typeEbEEZZNS1_14partition_implILS8_4ELb0ES6_15HIP_vector_typeIjLj2EENS0_17counting_iteratorIjlEEPS9_SG_NS0_5tupleIJPjSI_NS0_16reverse_iteratorISI_EEEEENSH_IJSG_SG_SG_EEES9_SI_JZNS1_25segmented_radix_sort_implINS0_14default_configELb0EPKdPdPKlPlN2at6native12_GLOBAL__N_18offset_tEEE10hipError_tPvRmT1_PNSt15iterator_traitsIS12_E10value_typeET2_T3_PNS13_IS18_E10value_typeET4_jRbjT5_S1E_jjP12ihipStream_tbEUljE_ZNSN_ISO_Lb0ESQ_SR_ST_SU_SY_EESZ_S10_S11_S12_S16_S17_S18_S1B_S1C_jS1D_jS1E_S1E_jjS1G_bEUljE0_EEESZ_S10_S11_S18_S1C_S1E_T6_T7_T9_mT8_S1G_bDpT10_ENKUlT_T0_E_clISt17integral_constantIbLb0EES1U_EEDaS1P_S1Q_EUlS1P_E_NS1_11comp_targetILNS1_3genE5ELNS1_11target_archE942ELNS1_3gpuE9ELNS1_3repE0EEENS1_30default_config_static_selectorELNS0_4arch9wavefront6targetE0EEEvS12_,comdat
.Lfunc_end1158:
	.size	_ZN7rocprim17ROCPRIM_400000_NS6detail17trampoline_kernelINS0_13select_configILj256ELj13ELNS0_17block_load_methodE3ELS4_3ELS4_3ELNS0_20block_scan_algorithmE0ELj4294967295EEENS1_25partition_config_selectorILNS1_17partition_subalgoE4EjNS0_10empty_typeEbEEZZNS1_14partition_implILS8_4ELb0ES6_15HIP_vector_typeIjLj2EENS0_17counting_iteratorIjlEEPS9_SG_NS0_5tupleIJPjSI_NS0_16reverse_iteratorISI_EEEEENSH_IJSG_SG_SG_EEES9_SI_JZNS1_25segmented_radix_sort_implINS0_14default_configELb0EPKdPdPKlPlN2at6native12_GLOBAL__N_18offset_tEEE10hipError_tPvRmT1_PNSt15iterator_traitsIS12_E10value_typeET2_T3_PNS13_IS18_E10value_typeET4_jRbjT5_S1E_jjP12ihipStream_tbEUljE_ZNSN_ISO_Lb0ESQ_SR_ST_SU_SY_EESZ_S10_S11_S12_S16_S17_S18_S1B_S1C_jS1D_jS1E_S1E_jjS1G_bEUljE0_EEESZ_S10_S11_S18_S1C_S1E_T6_T7_T9_mT8_S1G_bDpT10_ENKUlT_T0_E_clISt17integral_constantIbLb0EES1U_EEDaS1P_S1Q_EUlS1P_E_NS1_11comp_targetILNS1_3genE5ELNS1_11target_archE942ELNS1_3gpuE9ELNS1_3repE0EEENS1_30default_config_static_selectorELNS0_4arch9wavefront6targetE0EEEvS12_, .Lfunc_end1158-_ZN7rocprim17ROCPRIM_400000_NS6detail17trampoline_kernelINS0_13select_configILj256ELj13ELNS0_17block_load_methodE3ELS4_3ELS4_3ELNS0_20block_scan_algorithmE0ELj4294967295EEENS1_25partition_config_selectorILNS1_17partition_subalgoE4EjNS0_10empty_typeEbEEZZNS1_14partition_implILS8_4ELb0ES6_15HIP_vector_typeIjLj2EENS0_17counting_iteratorIjlEEPS9_SG_NS0_5tupleIJPjSI_NS0_16reverse_iteratorISI_EEEEENSH_IJSG_SG_SG_EEES9_SI_JZNS1_25segmented_radix_sort_implINS0_14default_configELb0EPKdPdPKlPlN2at6native12_GLOBAL__N_18offset_tEEE10hipError_tPvRmT1_PNSt15iterator_traitsIS12_E10value_typeET2_T3_PNS13_IS18_E10value_typeET4_jRbjT5_S1E_jjP12ihipStream_tbEUljE_ZNSN_ISO_Lb0ESQ_SR_ST_SU_SY_EESZ_S10_S11_S12_S16_S17_S18_S1B_S1C_jS1D_jS1E_S1E_jjS1G_bEUljE0_EEESZ_S10_S11_S18_S1C_S1E_T6_T7_T9_mT8_S1G_bDpT10_ENKUlT_T0_E_clISt17integral_constantIbLb0EES1U_EEDaS1P_S1Q_EUlS1P_E_NS1_11comp_targetILNS1_3genE5ELNS1_11target_archE942ELNS1_3gpuE9ELNS1_3repE0EEENS1_30default_config_static_selectorELNS0_4arch9wavefront6targetE0EEEvS12_
                                        ; -- End function
	.section	.AMDGPU.csdata,"",@progbits
; Kernel info:
; codeLenInByte = 0
; NumSgprs: 0
; NumVgprs: 0
; ScratchSize: 0
; MemoryBound: 0
; FloatMode: 240
; IeeeMode: 1
; LDSByteSize: 0 bytes/workgroup (compile time only)
; SGPRBlocks: 0
; VGPRBlocks: 0
; NumSGPRsForWavesPerEU: 1
; NumVGPRsForWavesPerEU: 1
; Occupancy: 16
; WaveLimiterHint : 0
; COMPUTE_PGM_RSRC2:SCRATCH_EN: 0
; COMPUTE_PGM_RSRC2:USER_SGPR: 15
; COMPUTE_PGM_RSRC2:TRAP_HANDLER: 0
; COMPUTE_PGM_RSRC2:TGID_X_EN: 1
; COMPUTE_PGM_RSRC2:TGID_Y_EN: 0
; COMPUTE_PGM_RSRC2:TGID_Z_EN: 0
; COMPUTE_PGM_RSRC2:TIDIG_COMP_CNT: 0
	.section	.text._ZN7rocprim17ROCPRIM_400000_NS6detail17trampoline_kernelINS0_13select_configILj256ELj13ELNS0_17block_load_methodE3ELS4_3ELS4_3ELNS0_20block_scan_algorithmE0ELj4294967295EEENS1_25partition_config_selectorILNS1_17partition_subalgoE4EjNS0_10empty_typeEbEEZZNS1_14partition_implILS8_4ELb0ES6_15HIP_vector_typeIjLj2EENS0_17counting_iteratorIjlEEPS9_SG_NS0_5tupleIJPjSI_NS0_16reverse_iteratorISI_EEEEENSH_IJSG_SG_SG_EEES9_SI_JZNS1_25segmented_radix_sort_implINS0_14default_configELb0EPKdPdPKlPlN2at6native12_GLOBAL__N_18offset_tEEE10hipError_tPvRmT1_PNSt15iterator_traitsIS12_E10value_typeET2_T3_PNS13_IS18_E10value_typeET4_jRbjT5_S1E_jjP12ihipStream_tbEUljE_ZNSN_ISO_Lb0ESQ_SR_ST_SU_SY_EESZ_S10_S11_S12_S16_S17_S18_S1B_S1C_jS1D_jS1E_S1E_jjS1G_bEUljE0_EEESZ_S10_S11_S18_S1C_S1E_T6_T7_T9_mT8_S1G_bDpT10_ENKUlT_T0_E_clISt17integral_constantIbLb0EES1U_EEDaS1P_S1Q_EUlS1P_E_NS1_11comp_targetILNS1_3genE4ELNS1_11target_archE910ELNS1_3gpuE8ELNS1_3repE0EEENS1_30default_config_static_selectorELNS0_4arch9wavefront6targetE0EEEvS12_,"axG",@progbits,_ZN7rocprim17ROCPRIM_400000_NS6detail17trampoline_kernelINS0_13select_configILj256ELj13ELNS0_17block_load_methodE3ELS4_3ELS4_3ELNS0_20block_scan_algorithmE0ELj4294967295EEENS1_25partition_config_selectorILNS1_17partition_subalgoE4EjNS0_10empty_typeEbEEZZNS1_14partition_implILS8_4ELb0ES6_15HIP_vector_typeIjLj2EENS0_17counting_iteratorIjlEEPS9_SG_NS0_5tupleIJPjSI_NS0_16reverse_iteratorISI_EEEEENSH_IJSG_SG_SG_EEES9_SI_JZNS1_25segmented_radix_sort_implINS0_14default_configELb0EPKdPdPKlPlN2at6native12_GLOBAL__N_18offset_tEEE10hipError_tPvRmT1_PNSt15iterator_traitsIS12_E10value_typeET2_T3_PNS13_IS18_E10value_typeET4_jRbjT5_S1E_jjP12ihipStream_tbEUljE_ZNSN_ISO_Lb0ESQ_SR_ST_SU_SY_EESZ_S10_S11_S12_S16_S17_S18_S1B_S1C_jS1D_jS1E_S1E_jjS1G_bEUljE0_EEESZ_S10_S11_S18_S1C_S1E_T6_T7_T9_mT8_S1G_bDpT10_ENKUlT_T0_E_clISt17integral_constantIbLb0EES1U_EEDaS1P_S1Q_EUlS1P_E_NS1_11comp_targetILNS1_3genE4ELNS1_11target_archE910ELNS1_3gpuE8ELNS1_3repE0EEENS1_30default_config_static_selectorELNS0_4arch9wavefront6targetE0EEEvS12_,comdat
	.globl	_ZN7rocprim17ROCPRIM_400000_NS6detail17trampoline_kernelINS0_13select_configILj256ELj13ELNS0_17block_load_methodE3ELS4_3ELS4_3ELNS0_20block_scan_algorithmE0ELj4294967295EEENS1_25partition_config_selectorILNS1_17partition_subalgoE4EjNS0_10empty_typeEbEEZZNS1_14partition_implILS8_4ELb0ES6_15HIP_vector_typeIjLj2EENS0_17counting_iteratorIjlEEPS9_SG_NS0_5tupleIJPjSI_NS0_16reverse_iteratorISI_EEEEENSH_IJSG_SG_SG_EEES9_SI_JZNS1_25segmented_radix_sort_implINS0_14default_configELb0EPKdPdPKlPlN2at6native12_GLOBAL__N_18offset_tEEE10hipError_tPvRmT1_PNSt15iterator_traitsIS12_E10value_typeET2_T3_PNS13_IS18_E10value_typeET4_jRbjT5_S1E_jjP12ihipStream_tbEUljE_ZNSN_ISO_Lb0ESQ_SR_ST_SU_SY_EESZ_S10_S11_S12_S16_S17_S18_S1B_S1C_jS1D_jS1E_S1E_jjS1G_bEUljE0_EEESZ_S10_S11_S18_S1C_S1E_T6_T7_T9_mT8_S1G_bDpT10_ENKUlT_T0_E_clISt17integral_constantIbLb0EES1U_EEDaS1P_S1Q_EUlS1P_E_NS1_11comp_targetILNS1_3genE4ELNS1_11target_archE910ELNS1_3gpuE8ELNS1_3repE0EEENS1_30default_config_static_selectorELNS0_4arch9wavefront6targetE0EEEvS12_ ; -- Begin function _ZN7rocprim17ROCPRIM_400000_NS6detail17trampoline_kernelINS0_13select_configILj256ELj13ELNS0_17block_load_methodE3ELS4_3ELS4_3ELNS0_20block_scan_algorithmE0ELj4294967295EEENS1_25partition_config_selectorILNS1_17partition_subalgoE4EjNS0_10empty_typeEbEEZZNS1_14partition_implILS8_4ELb0ES6_15HIP_vector_typeIjLj2EENS0_17counting_iteratorIjlEEPS9_SG_NS0_5tupleIJPjSI_NS0_16reverse_iteratorISI_EEEEENSH_IJSG_SG_SG_EEES9_SI_JZNS1_25segmented_radix_sort_implINS0_14default_configELb0EPKdPdPKlPlN2at6native12_GLOBAL__N_18offset_tEEE10hipError_tPvRmT1_PNSt15iterator_traitsIS12_E10value_typeET2_T3_PNS13_IS18_E10value_typeET4_jRbjT5_S1E_jjP12ihipStream_tbEUljE_ZNSN_ISO_Lb0ESQ_SR_ST_SU_SY_EESZ_S10_S11_S12_S16_S17_S18_S1B_S1C_jS1D_jS1E_S1E_jjS1G_bEUljE0_EEESZ_S10_S11_S18_S1C_S1E_T6_T7_T9_mT8_S1G_bDpT10_ENKUlT_T0_E_clISt17integral_constantIbLb0EES1U_EEDaS1P_S1Q_EUlS1P_E_NS1_11comp_targetILNS1_3genE4ELNS1_11target_archE910ELNS1_3gpuE8ELNS1_3repE0EEENS1_30default_config_static_selectorELNS0_4arch9wavefront6targetE0EEEvS12_
	.p2align	8
	.type	_ZN7rocprim17ROCPRIM_400000_NS6detail17trampoline_kernelINS0_13select_configILj256ELj13ELNS0_17block_load_methodE3ELS4_3ELS4_3ELNS0_20block_scan_algorithmE0ELj4294967295EEENS1_25partition_config_selectorILNS1_17partition_subalgoE4EjNS0_10empty_typeEbEEZZNS1_14partition_implILS8_4ELb0ES6_15HIP_vector_typeIjLj2EENS0_17counting_iteratorIjlEEPS9_SG_NS0_5tupleIJPjSI_NS0_16reverse_iteratorISI_EEEEENSH_IJSG_SG_SG_EEES9_SI_JZNS1_25segmented_radix_sort_implINS0_14default_configELb0EPKdPdPKlPlN2at6native12_GLOBAL__N_18offset_tEEE10hipError_tPvRmT1_PNSt15iterator_traitsIS12_E10value_typeET2_T3_PNS13_IS18_E10value_typeET4_jRbjT5_S1E_jjP12ihipStream_tbEUljE_ZNSN_ISO_Lb0ESQ_SR_ST_SU_SY_EESZ_S10_S11_S12_S16_S17_S18_S1B_S1C_jS1D_jS1E_S1E_jjS1G_bEUljE0_EEESZ_S10_S11_S18_S1C_S1E_T6_T7_T9_mT8_S1G_bDpT10_ENKUlT_T0_E_clISt17integral_constantIbLb0EES1U_EEDaS1P_S1Q_EUlS1P_E_NS1_11comp_targetILNS1_3genE4ELNS1_11target_archE910ELNS1_3gpuE8ELNS1_3repE0EEENS1_30default_config_static_selectorELNS0_4arch9wavefront6targetE0EEEvS12_,@function
_ZN7rocprim17ROCPRIM_400000_NS6detail17trampoline_kernelINS0_13select_configILj256ELj13ELNS0_17block_load_methodE3ELS4_3ELS4_3ELNS0_20block_scan_algorithmE0ELj4294967295EEENS1_25partition_config_selectorILNS1_17partition_subalgoE4EjNS0_10empty_typeEbEEZZNS1_14partition_implILS8_4ELb0ES6_15HIP_vector_typeIjLj2EENS0_17counting_iteratorIjlEEPS9_SG_NS0_5tupleIJPjSI_NS0_16reverse_iteratorISI_EEEEENSH_IJSG_SG_SG_EEES9_SI_JZNS1_25segmented_radix_sort_implINS0_14default_configELb0EPKdPdPKlPlN2at6native12_GLOBAL__N_18offset_tEEE10hipError_tPvRmT1_PNSt15iterator_traitsIS12_E10value_typeET2_T3_PNS13_IS18_E10value_typeET4_jRbjT5_S1E_jjP12ihipStream_tbEUljE_ZNSN_ISO_Lb0ESQ_SR_ST_SU_SY_EESZ_S10_S11_S12_S16_S17_S18_S1B_S1C_jS1D_jS1E_S1E_jjS1G_bEUljE0_EEESZ_S10_S11_S18_S1C_S1E_T6_T7_T9_mT8_S1G_bDpT10_ENKUlT_T0_E_clISt17integral_constantIbLb0EES1U_EEDaS1P_S1Q_EUlS1P_E_NS1_11comp_targetILNS1_3genE4ELNS1_11target_archE910ELNS1_3gpuE8ELNS1_3repE0EEENS1_30default_config_static_selectorELNS0_4arch9wavefront6targetE0EEEvS12_: ; @_ZN7rocprim17ROCPRIM_400000_NS6detail17trampoline_kernelINS0_13select_configILj256ELj13ELNS0_17block_load_methodE3ELS4_3ELS4_3ELNS0_20block_scan_algorithmE0ELj4294967295EEENS1_25partition_config_selectorILNS1_17partition_subalgoE4EjNS0_10empty_typeEbEEZZNS1_14partition_implILS8_4ELb0ES6_15HIP_vector_typeIjLj2EENS0_17counting_iteratorIjlEEPS9_SG_NS0_5tupleIJPjSI_NS0_16reverse_iteratorISI_EEEEENSH_IJSG_SG_SG_EEES9_SI_JZNS1_25segmented_radix_sort_implINS0_14default_configELb0EPKdPdPKlPlN2at6native12_GLOBAL__N_18offset_tEEE10hipError_tPvRmT1_PNSt15iterator_traitsIS12_E10value_typeET2_T3_PNS13_IS18_E10value_typeET4_jRbjT5_S1E_jjP12ihipStream_tbEUljE_ZNSN_ISO_Lb0ESQ_SR_ST_SU_SY_EESZ_S10_S11_S12_S16_S17_S18_S1B_S1C_jS1D_jS1E_S1E_jjS1G_bEUljE0_EEESZ_S10_S11_S18_S1C_S1E_T6_T7_T9_mT8_S1G_bDpT10_ENKUlT_T0_E_clISt17integral_constantIbLb0EES1U_EEDaS1P_S1Q_EUlS1P_E_NS1_11comp_targetILNS1_3genE4ELNS1_11target_archE910ELNS1_3gpuE8ELNS1_3repE0EEENS1_30default_config_static_selectorELNS0_4arch9wavefront6targetE0EEEvS12_
; %bb.0:
	.section	.rodata,"a",@progbits
	.p2align	6, 0x0
	.amdhsa_kernel _ZN7rocprim17ROCPRIM_400000_NS6detail17trampoline_kernelINS0_13select_configILj256ELj13ELNS0_17block_load_methodE3ELS4_3ELS4_3ELNS0_20block_scan_algorithmE0ELj4294967295EEENS1_25partition_config_selectorILNS1_17partition_subalgoE4EjNS0_10empty_typeEbEEZZNS1_14partition_implILS8_4ELb0ES6_15HIP_vector_typeIjLj2EENS0_17counting_iteratorIjlEEPS9_SG_NS0_5tupleIJPjSI_NS0_16reverse_iteratorISI_EEEEENSH_IJSG_SG_SG_EEES9_SI_JZNS1_25segmented_radix_sort_implINS0_14default_configELb0EPKdPdPKlPlN2at6native12_GLOBAL__N_18offset_tEEE10hipError_tPvRmT1_PNSt15iterator_traitsIS12_E10value_typeET2_T3_PNS13_IS18_E10value_typeET4_jRbjT5_S1E_jjP12ihipStream_tbEUljE_ZNSN_ISO_Lb0ESQ_SR_ST_SU_SY_EESZ_S10_S11_S12_S16_S17_S18_S1B_S1C_jS1D_jS1E_S1E_jjS1G_bEUljE0_EEESZ_S10_S11_S18_S1C_S1E_T6_T7_T9_mT8_S1G_bDpT10_ENKUlT_T0_E_clISt17integral_constantIbLb0EES1U_EEDaS1P_S1Q_EUlS1P_E_NS1_11comp_targetILNS1_3genE4ELNS1_11target_archE910ELNS1_3gpuE8ELNS1_3repE0EEENS1_30default_config_static_selectorELNS0_4arch9wavefront6targetE0EEEvS12_
		.amdhsa_group_segment_fixed_size 0
		.amdhsa_private_segment_fixed_size 0
		.amdhsa_kernarg_size 176
		.amdhsa_user_sgpr_count 15
		.amdhsa_user_sgpr_dispatch_ptr 0
		.amdhsa_user_sgpr_queue_ptr 0
		.amdhsa_user_sgpr_kernarg_segment_ptr 1
		.amdhsa_user_sgpr_dispatch_id 0
		.amdhsa_user_sgpr_private_segment_size 0
		.amdhsa_wavefront_size32 1
		.amdhsa_uses_dynamic_stack 0
		.amdhsa_enable_private_segment 0
		.amdhsa_system_sgpr_workgroup_id_x 1
		.amdhsa_system_sgpr_workgroup_id_y 0
		.amdhsa_system_sgpr_workgroup_id_z 0
		.amdhsa_system_sgpr_workgroup_info 0
		.amdhsa_system_vgpr_workitem_id 0
		.amdhsa_next_free_vgpr 1
		.amdhsa_next_free_sgpr 1
		.amdhsa_reserve_vcc 0
		.amdhsa_float_round_mode_32 0
		.amdhsa_float_round_mode_16_64 0
		.amdhsa_float_denorm_mode_32 3
		.amdhsa_float_denorm_mode_16_64 3
		.amdhsa_dx10_clamp 1
		.amdhsa_ieee_mode 1
		.amdhsa_fp16_overflow 0
		.amdhsa_workgroup_processor_mode 1
		.amdhsa_memory_ordered 1
		.amdhsa_forward_progress 0
		.amdhsa_shared_vgpr_count 0
		.amdhsa_exception_fp_ieee_invalid_op 0
		.amdhsa_exception_fp_denorm_src 0
		.amdhsa_exception_fp_ieee_div_zero 0
		.amdhsa_exception_fp_ieee_overflow 0
		.amdhsa_exception_fp_ieee_underflow 0
		.amdhsa_exception_fp_ieee_inexact 0
		.amdhsa_exception_int_div_zero 0
	.end_amdhsa_kernel
	.section	.text._ZN7rocprim17ROCPRIM_400000_NS6detail17trampoline_kernelINS0_13select_configILj256ELj13ELNS0_17block_load_methodE3ELS4_3ELS4_3ELNS0_20block_scan_algorithmE0ELj4294967295EEENS1_25partition_config_selectorILNS1_17partition_subalgoE4EjNS0_10empty_typeEbEEZZNS1_14partition_implILS8_4ELb0ES6_15HIP_vector_typeIjLj2EENS0_17counting_iteratorIjlEEPS9_SG_NS0_5tupleIJPjSI_NS0_16reverse_iteratorISI_EEEEENSH_IJSG_SG_SG_EEES9_SI_JZNS1_25segmented_radix_sort_implINS0_14default_configELb0EPKdPdPKlPlN2at6native12_GLOBAL__N_18offset_tEEE10hipError_tPvRmT1_PNSt15iterator_traitsIS12_E10value_typeET2_T3_PNS13_IS18_E10value_typeET4_jRbjT5_S1E_jjP12ihipStream_tbEUljE_ZNSN_ISO_Lb0ESQ_SR_ST_SU_SY_EESZ_S10_S11_S12_S16_S17_S18_S1B_S1C_jS1D_jS1E_S1E_jjS1G_bEUljE0_EEESZ_S10_S11_S18_S1C_S1E_T6_T7_T9_mT8_S1G_bDpT10_ENKUlT_T0_E_clISt17integral_constantIbLb0EES1U_EEDaS1P_S1Q_EUlS1P_E_NS1_11comp_targetILNS1_3genE4ELNS1_11target_archE910ELNS1_3gpuE8ELNS1_3repE0EEENS1_30default_config_static_selectorELNS0_4arch9wavefront6targetE0EEEvS12_,"axG",@progbits,_ZN7rocprim17ROCPRIM_400000_NS6detail17trampoline_kernelINS0_13select_configILj256ELj13ELNS0_17block_load_methodE3ELS4_3ELS4_3ELNS0_20block_scan_algorithmE0ELj4294967295EEENS1_25partition_config_selectorILNS1_17partition_subalgoE4EjNS0_10empty_typeEbEEZZNS1_14partition_implILS8_4ELb0ES6_15HIP_vector_typeIjLj2EENS0_17counting_iteratorIjlEEPS9_SG_NS0_5tupleIJPjSI_NS0_16reverse_iteratorISI_EEEEENSH_IJSG_SG_SG_EEES9_SI_JZNS1_25segmented_radix_sort_implINS0_14default_configELb0EPKdPdPKlPlN2at6native12_GLOBAL__N_18offset_tEEE10hipError_tPvRmT1_PNSt15iterator_traitsIS12_E10value_typeET2_T3_PNS13_IS18_E10value_typeET4_jRbjT5_S1E_jjP12ihipStream_tbEUljE_ZNSN_ISO_Lb0ESQ_SR_ST_SU_SY_EESZ_S10_S11_S12_S16_S17_S18_S1B_S1C_jS1D_jS1E_S1E_jjS1G_bEUljE0_EEESZ_S10_S11_S18_S1C_S1E_T6_T7_T9_mT8_S1G_bDpT10_ENKUlT_T0_E_clISt17integral_constantIbLb0EES1U_EEDaS1P_S1Q_EUlS1P_E_NS1_11comp_targetILNS1_3genE4ELNS1_11target_archE910ELNS1_3gpuE8ELNS1_3repE0EEENS1_30default_config_static_selectorELNS0_4arch9wavefront6targetE0EEEvS12_,comdat
.Lfunc_end1159:
	.size	_ZN7rocprim17ROCPRIM_400000_NS6detail17trampoline_kernelINS0_13select_configILj256ELj13ELNS0_17block_load_methodE3ELS4_3ELS4_3ELNS0_20block_scan_algorithmE0ELj4294967295EEENS1_25partition_config_selectorILNS1_17partition_subalgoE4EjNS0_10empty_typeEbEEZZNS1_14partition_implILS8_4ELb0ES6_15HIP_vector_typeIjLj2EENS0_17counting_iteratorIjlEEPS9_SG_NS0_5tupleIJPjSI_NS0_16reverse_iteratorISI_EEEEENSH_IJSG_SG_SG_EEES9_SI_JZNS1_25segmented_radix_sort_implINS0_14default_configELb0EPKdPdPKlPlN2at6native12_GLOBAL__N_18offset_tEEE10hipError_tPvRmT1_PNSt15iterator_traitsIS12_E10value_typeET2_T3_PNS13_IS18_E10value_typeET4_jRbjT5_S1E_jjP12ihipStream_tbEUljE_ZNSN_ISO_Lb0ESQ_SR_ST_SU_SY_EESZ_S10_S11_S12_S16_S17_S18_S1B_S1C_jS1D_jS1E_S1E_jjS1G_bEUljE0_EEESZ_S10_S11_S18_S1C_S1E_T6_T7_T9_mT8_S1G_bDpT10_ENKUlT_T0_E_clISt17integral_constantIbLb0EES1U_EEDaS1P_S1Q_EUlS1P_E_NS1_11comp_targetILNS1_3genE4ELNS1_11target_archE910ELNS1_3gpuE8ELNS1_3repE0EEENS1_30default_config_static_selectorELNS0_4arch9wavefront6targetE0EEEvS12_, .Lfunc_end1159-_ZN7rocprim17ROCPRIM_400000_NS6detail17trampoline_kernelINS0_13select_configILj256ELj13ELNS0_17block_load_methodE3ELS4_3ELS4_3ELNS0_20block_scan_algorithmE0ELj4294967295EEENS1_25partition_config_selectorILNS1_17partition_subalgoE4EjNS0_10empty_typeEbEEZZNS1_14partition_implILS8_4ELb0ES6_15HIP_vector_typeIjLj2EENS0_17counting_iteratorIjlEEPS9_SG_NS0_5tupleIJPjSI_NS0_16reverse_iteratorISI_EEEEENSH_IJSG_SG_SG_EEES9_SI_JZNS1_25segmented_radix_sort_implINS0_14default_configELb0EPKdPdPKlPlN2at6native12_GLOBAL__N_18offset_tEEE10hipError_tPvRmT1_PNSt15iterator_traitsIS12_E10value_typeET2_T3_PNS13_IS18_E10value_typeET4_jRbjT5_S1E_jjP12ihipStream_tbEUljE_ZNSN_ISO_Lb0ESQ_SR_ST_SU_SY_EESZ_S10_S11_S12_S16_S17_S18_S1B_S1C_jS1D_jS1E_S1E_jjS1G_bEUljE0_EEESZ_S10_S11_S18_S1C_S1E_T6_T7_T9_mT8_S1G_bDpT10_ENKUlT_T0_E_clISt17integral_constantIbLb0EES1U_EEDaS1P_S1Q_EUlS1P_E_NS1_11comp_targetILNS1_3genE4ELNS1_11target_archE910ELNS1_3gpuE8ELNS1_3repE0EEENS1_30default_config_static_selectorELNS0_4arch9wavefront6targetE0EEEvS12_
                                        ; -- End function
	.section	.AMDGPU.csdata,"",@progbits
; Kernel info:
; codeLenInByte = 0
; NumSgprs: 0
; NumVgprs: 0
; ScratchSize: 0
; MemoryBound: 0
; FloatMode: 240
; IeeeMode: 1
; LDSByteSize: 0 bytes/workgroup (compile time only)
; SGPRBlocks: 0
; VGPRBlocks: 0
; NumSGPRsForWavesPerEU: 1
; NumVGPRsForWavesPerEU: 1
; Occupancy: 16
; WaveLimiterHint : 0
; COMPUTE_PGM_RSRC2:SCRATCH_EN: 0
; COMPUTE_PGM_RSRC2:USER_SGPR: 15
; COMPUTE_PGM_RSRC2:TRAP_HANDLER: 0
; COMPUTE_PGM_RSRC2:TGID_X_EN: 1
; COMPUTE_PGM_RSRC2:TGID_Y_EN: 0
; COMPUTE_PGM_RSRC2:TGID_Z_EN: 0
; COMPUTE_PGM_RSRC2:TIDIG_COMP_CNT: 0
	.section	.text._ZN7rocprim17ROCPRIM_400000_NS6detail17trampoline_kernelINS0_13select_configILj256ELj13ELNS0_17block_load_methodE3ELS4_3ELS4_3ELNS0_20block_scan_algorithmE0ELj4294967295EEENS1_25partition_config_selectorILNS1_17partition_subalgoE4EjNS0_10empty_typeEbEEZZNS1_14partition_implILS8_4ELb0ES6_15HIP_vector_typeIjLj2EENS0_17counting_iteratorIjlEEPS9_SG_NS0_5tupleIJPjSI_NS0_16reverse_iteratorISI_EEEEENSH_IJSG_SG_SG_EEES9_SI_JZNS1_25segmented_radix_sort_implINS0_14default_configELb0EPKdPdPKlPlN2at6native12_GLOBAL__N_18offset_tEEE10hipError_tPvRmT1_PNSt15iterator_traitsIS12_E10value_typeET2_T3_PNS13_IS18_E10value_typeET4_jRbjT5_S1E_jjP12ihipStream_tbEUljE_ZNSN_ISO_Lb0ESQ_SR_ST_SU_SY_EESZ_S10_S11_S12_S16_S17_S18_S1B_S1C_jS1D_jS1E_S1E_jjS1G_bEUljE0_EEESZ_S10_S11_S18_S1C_S1E_T6_T7_T9_mT8_S1G_bDpT10_ENKUlT_T0_E_clISt17integral_constantIbLb0EES1U_EEDaS1P_S1Q_EUlS1P_E_NS1_11comp_targetILNS1_3genE3ELNS1_11target_archE908ELNS1_3gpuE7ELNS1_3repE0EEENS1_30default_config_static_selectorELNS0_4arch9wavefront6targetE0EEEvS12_,"axG",@progbits,_ZN7rocprim17ROCPRIM_400000_NS6detail17trampoline_kernelINS0_13select_configILj256ELj13ELNS0_17block_load_methodE3ELS4_3ELS4_3ELNS0_20block_scan_algorithmE0ELj4294967295EEENS1_25partition_config_selectorILNS1_17partition_subalgoE4EjNS0_10empty_typeEbEEZZNS1_14partition_implILS8_4ELb0ES6_15HIP_vector_typeIjLj2EENS0_17counting_iteratorIjlEEPS9_SG_NS0_5tupleIJPjSI_NS0_16reverse_iteratorISI_EEEEENSH_IJSG_SG_SG_EEES9_SI_JZNS1_25segmented_radix_sort_implINS0_14default_configELb0EPKdPdPKlPlN2at6native12_GLOBAL__N_18offset_tEEE10hipError_tPvRmT1_PNSt15iterator_traitsIS12_E10value_typeET2_T3_PNS13_IS18_E10value_typeET4_jRbjT5_S1E_jjP12ihipStream_tbEUljE_ZNSN_ISO_Lb0ESQ_SR_ST_SU_SY_EESZ_S10_S11_S12_S16_S17_S18_S1B_S1C_jS1D_jS1E_S1E_jjS1G_bEUljE0_EEESZ_S10_S11_S18_S1C_S1E_T6_T7_T9_mT8_S1G_bDpT10_ENKUlT_T0_E_clISt17integral_constantIbLb0EES1U_EEDaS1P_S1Q_EUlS1P_E_NS1_11comp_targetILNS1_3genE3ELNS1_11target_archE908ELNS1_3gpuE7ELNS1_3repE0EEENS1_30default_config_static_selectorELNS0_4arch9wavefront6targetE0EEEvS12_,comdat
	.globl	_ZN7rocprim17ROCPRIM_400000_NS6detail17trampoline_kernelINS0_13select_configILj256ELj13ELNS0_17block_load_methodE3ELS4_3ELS4_3ELNS0_20block_scan_algorithmE0ELj4294967295EEENS1_25partition_config_selectorILNS1_17partition_subalgoE4EjNS0_10empty_typeEbEEZZNS1_14partition_implILS8_4ELb0ES6_15HIP_vector_typeIjLj2EENS0_17counting_iteratorIjlEEPS9_SG_NS0_5tupleIJPjSI_NS0_16reverse_iteratorISI_EEEEENSH_IJSG_SG_SG_EEES9_SI_JZNS1_25segmented_radix_sort_implINS0_14default_configELb0EPKdPdPKlPlN2at6native12_GLOBAL__N_18offset_tEEE10hipError_tPvRmT1_PNSt15iterator_traitsIS12_E10value_typeET2_T3_PNS13_IS18_E10value_typeET4_jRbjT5_S1E_jjP12ihipStream_tbEUljE_ZNSN_ISO_Lb0ESQ_SR_ST_SU_SY_EESZ_S10_S11_S12_S16_S17_S18_S1B_S1C_jS1D_jS1E_S1E_jjS1G_bEUljE0_EEESZ_S10_S11_S18_S1C_S1E_T6_T7_T9_mT8_S1G_bDpT10_ENKUlT_T0_E_clISt17integral_constantIbLb0EES1U_EEDaS1P_S1Q_EUlS1P_E_NS1_11comp_targetILNS1_3genE3ELNS1_11target_archE908ELNS1_3gpuE7ELNS1_3repE0EEENS1_30default_config_static_selectorELNS0_4arch9wavefront6targetE0EEEvS12_ ; -- Begin function _ZN7rocprim17ROCPRIM_400000_NS6detail17trampoline_kernelINS0_13select_configILj256ELj13ELNS0_17block_load_methodE3ELS4_3ELS4_3ELNS0_20block_scan_algorithmE0ELj4294967295EEENS1_25partition_config_selectorILNS1_17partition_subalgoE4EjNS0_10empty_typeEbEEZZNS1_14partition_implILS8_4ELb0ES6_15HIP_vector_typeIjLj2EENS0_17counting_iteratorIjlEEPS9_SG_NS0_5tupleIJPjSI_NS0_16reverse_iteratorISI_EEEEENSH_IJSG_SG_SG_EEES9_SI_JZNS1_25segmented_radix_sort_implINS0_14default_configELb0EPKdPdPKlPlN2at6native12_GLOBAL__N_18offset_tEEE10hipError_tPvRmT1_PNSt15iterator_traitsIS12_E10value_typeET2_T3_PNS13_IS18_E10value_typeET4_jRbjT5_S1E_jjP12ihipStream_tbEUljE_ZNSN_ISO_Lb0ESQ_SR_ST_SU_SY_EESZ_S10_S11_S12_S16_S17_S18_S1B_S1C_jS1D_jS1E_S1E_jjS1G_bEUljE0_EEESZ_S10_S11_S18_S1C_S1E_T6_T7_T9_mT8_S1G_bDpT10_ENKUlT_T0_E_clISt17integral_constantIbLb0EES1U_EEDaS1P_S1Q_EUlS1P_E_NS1_11comp_targetILNS1_3genE3ELNS1_11target_archE908ELNS1_3gpuE7ELNS1_3repE0EEENS1_30default_config_static_selectorELNS0_4arch9wavefront6targetE0EEEvS12_
	.p2align	8
	.type	_ZN7rocprim17ROCPRIM_400000_NS6detail17trampoline_kernelINS0_13select_configILj256ELj13ELNS0_17block_load_methodE3ELS4_3ELS4_3ELNS0_20block_scan_algorithmE0ELj4294967295EEENS1_25partition_config_selectorILNS1_17partition_subalgoE4EjNS0_10empty_typeEbEEZZNS1_14partition_implILS8_4ELb0ES6_15HIP_vector_typeIjLj2EENS0_17counting_iteratorIjlEEPS9_SG_NS0_5tupleIJPjSI_NS0_16reverse_iteratorISI_EEEEENSH_IJSG_SG_SG_EEES9_SI_JZNS1_25segmented_radix_sort_implINS0_14default_configELb0EPKdPdPKlPlN2at6native12_GLOBAL__N_18offset_tEEE10hipError_tPvRmT1_PNSt15iterator_traitsIS12_E10value_typeET2_T3_PNS13_IS18_E10value_typeET4_jRbjT5_S1E_jjP12ihipStream_tbEUljE_ZNSN_ISO_Lb0ESQ_SR_ST_SU_SY_EESZ_S10_S11_S12_S16_S17_S18_S1B_S1C_jS1D_jS1E_S1E_jjS1G_bEUljE0_EEESZ_S10_S11_S18_S1C_S1E_T6_T7_T9_mT8_S1G_bDpT10_ENKUlT_T0_E_clISt17integral_constantIbLb0EES1U_EEDaS1P_S1Q_EUlS1P_E_NS1_11comp_targetILNS1_3genE3ELNS1_11target_archE908ELNS1_3gpuE7ELNS1_3repE0EEENS1_30default_config_static_selectorELNS0_4arch9wavefront6targetE0EEEvS12_,@function
_ZN7rocprim17ROCPRIM_400000_NS6detail17trampoline_kernelINS0_13select_configILj256ELj13ELNS0_17block_load_methodE3ELS4_3ELS4_3ELNS0_20block_scan_algorithmE0ELj4294967295EEENS1_25partition_config_selectorILNS1_17partition_subalgoE4EjNS0_10empty_typeEbEEZZNS1_14partition_implILS8_4ELb0ES6_15HIP_vector_typeIjLj2EENS0_17counting_iteratorIjlEEPS9_SG_NS0_5tupleIJPjSI_NS0_16reverse_iteratorISI_EEEEENSH_IJSG_SG_SG_EEES9_SI_JZNS1_25segmented_radix_sort_implINS0_14default_configELb0EPKdPdPKlPlN2at6native12_GLOBAL__N_18offset_tEEE10hipError_tPvRmT1_PNSt15iterator_traitsIS12_E10value_typeET2_T3_PNS13_IS18_E10value_typeET4_jRbjT5_S1E_jjP12ihipStream_tbEUljE_ZNSN_ISO_Lb0ESQ_SR_ST_SU_SY_EESZ_S10_S11_S12_S16_S17_S18_S1B_S1C_jS1D_jS1E_S1E_jjS1G_bEUljE0_EEESZ_S10_S11_S18_S1C_S1E_T6_T7_T9_mT8_S1G_bDpT10_ENKUlT_T0_E_clISt17integral_constantIbLb0EES1U_EEDaS1P_S1Q_EUlS1P_E_NS1_11comp_targetILNS1_3genE3ELNS1_11target_archE908ELNS1_3gpuE7ELNS1_3repE0EEENS1_30default_config_static_selectorELNS0_4arch9wavefront6targetE0EEEvS12_: ; @_ZN7rocprim17ROCPRIM_400000_NS6detail17trampoline_kernelINS0_13select_configILj256ELj13ELNS0_17block_load_methodE3ELS4_3ELS4_3ELNS0_20block_scan_algorithmE0ELj4294967295EEENS1_25partition_config_selectorILNS1_17partition_subalgoE4EjNS0_10empty_typeEbEEZZNS1_14partition_implILS8_4ELb0ES6_15HIP_vector_typeIjLj2EENS0_17counting_iteratorIjlEEPS9_SG_NS0_5tupleIJPjSI_NS0_16reverse_iteratorISI_EEEEENSH_IJSG_SG_SG_EEES9_SI_JZNS1_25segmented_radix_sort_implINS0_14default_configELb0EPKdPdPKlPlN2at6native12_GLOBAL__N_18offset_tEEE10hipError_tPvRmT1_PNSt15iterator_traitsIS12_E10value_typeET2_T3_PNS13_IS18_E10value_typeET4_jRbjT5_S1E_jjP12ihipStream_tbEUljE_ZNSN_ISO_Lb0ESQ_SR_ST_SU_SY_EESZ_S10_S11_S12_S16_S17_S18_S1B_S1C_jS1D_jS1E_S1E_jjS1G_bEUljE0_EEESZ_S10_S11_S18_S1C_S1E_T6_T7_T9_mT8_S1G_bDpT10_ENKUlT_T0_E_clISt17integral_constantIbLb0EES1U_EEDaS1P_S1Q_EUlS1P_E_NS1_11comp_targetILNS1_3genE3ELNS1_11target_archE908ELNS1_3gpuE7ELNS1_3repE0EEENS1_30default_config_static_selectorELNS0_4arch9wavefront6targetE0EEEvS12_
; %bb.0:
	.section	.rodata,"a",@progbits
	.p2align	6, 0x0
	.amdhsa_kernel _ZN7rocprim17ROCPRIM_400000_NS6detail17trampoline_kernelINS0_13select_configILj256ELj13ELNS0_17block_load_methodE3ELS4_3ELS4_3ELNS0_20block_scan_algorithmE0ELj4294967295EEENS1_25partition_config_selectorILNS1_17partition_subalgoE4EjNS0_10empty_typeEbEEZZNS1_14partition_implILS8_4ELb0ES6_15HIP_vector_typeIjLj2EENS0_17counting_iteratorIjlEEPS9_SG_NS0_5tupleIJPjSI_NS0_16reverse_iteratorISI_EEEEENSH_IJSG_SG_SG_EEES9_SI_JZNS1_25segmented_radix_sort_implINS0_14default_configELb0EPKdPdPKlPlN2at6native12_GLOBAL__N_18offset_tEEE10hipError_tPvRmT1_PNSt15iterator_traitsIS12_E10value_typeET2_T3_PNS13_IS18_E10value_typeET4_jRbjT5_S1E_jjP12ihipStream_tbEUljE_ZNSN_ISO_Lb0ESQ_SR_ST_SU_SY_EESZ_S10_S11_S12_S16_S17_S18_S1B_S1C_jS1D_jS1E_S1E_jjS1G_bEUljE0_EEESZ_S10_S11_S18_S1C_S1E_T6_T7_T9_mT8_S1G_bDpT10_ENKUlT_T0_E_clISt17integral_constantIbLb0EES1U_EEDaS1P_S1Q_EUlS1P_E_NS1_11comp_targetILNS1_3genE3ELNS1_11target_archE908ELNS1_3gpuE7ELNS1_3repE0EEENS1_30default_config_static_selectorELNS0_4arch9wavefront6targetE0EEEvS12_
		.amdhsa_group_segment_fixed_size 0
		.amdhsa_private_segment_fixed_size 0
		.amdhsa_kernarg_size 176
		.amdhsa_user_sgpr_count 15
		.amdhsa_user_sgpr_dispatch_ptr 0
		.amdhsa_user_sgpr_queue_ptr 0
		.amdhsa_user_sgpr_kernarg_segment_ptr 1
		.amdhsa_user_sgpr_dispatch_id 0
		.amdhsa_user_sgpr_private_segment_size 0
		.amdhsa_wavefront_size32 1
		.amdhsa_uses_dynamic_stack 0
		.amdhsa_enable_private_segment 0
		.amdhsa_system_sgpr_workgroup_id_x 1
		.amdhsa_system_sgpr_workgroup_id_y 0
		.amdhsa_system_sgpr_workgroup_id_z 0
		.amdhsa_system_sgpr_workgroup_info 0
		.amdhsa_system_vgpr_workitem_id 0
		.amdhsa_next_free_vgpr 1
		.amdhsa_next_free_sgpr 1
		.amdhsa_reserve_vcc 0
		.amdhsa_float_round_mode_32 0
		.amdhsa_float_round_mode_16_64 0
		.amdhsa_float_denorm_mode_32 3
		.amdhsa_float_denorm_mode_16_64 3
		.amdhsa_dx10_clamp 1
		.amdhsa_ieee_mode 1
		.amdhsa_fp16_overflow 0
		.amdhsa_workgroup_processor_mode 1
		.amdhsa_memory_ordered 1
		.amdhsa_forward_progress 0
		.amdhsa_shared_vgpr_count 0
		.amdhsa_exception_fp_ieee_invalid_op 0
		.amdhsa_exception_fp_denorm_src 0
		.amdhsa_exception_fp_ieee_div_zero 0
		.amdhsa_exception_fp_ieee_overflow 0
		.amdhsa_exception_fp_ieee_underflow 0
		.amdhsa_exception_fp_ieee_inexact 0
		.amdhsa_exception_int_div_zero 0
	.end_amdhsa_kernel
	.section	.text._ZN7rocprim17ROCPRIM_400000_NS6detail17trampoline_kernelINS0_13select_configILj256ELj13ELNS0_17block_load_methodE3ELS4_3ELS4_3ELNS0_20block_scan_algorithmE0ELj4294967295EEENS1_25partition_config_selectorILNS1_17partition_subalgoE4EjNS0_10empty_typeEbEEZZNS1_14partition_implILS8_4ELb0ES6_15HIP_vector_typeIjLj2EENS0_17counting_iteratorIjlEEPS9_SG_NS0_5tupleIJPjSI_NS0_16reverse_iteratorISI_EEEEENSH_IJSG_SG_SG_EEES9_SI_JZNS1_25segmented_radix_sort_implINS0_14default_configELb0EPKdPdPKlPlN2at6native12_GLOBAL__N_18offset_tEEE10hipError_tPvRmT1_PNSt15iterator_traitsIS12_E10value_typeET2_T3_PNS13_IS18_E10value_typeET4_jRbjT5_S1E_jjP12ihipStream_tbEUljE_ZNSN_ISO_Lb0ESQ_SR_ST_SU_SY_EESZ_S10_S11_S12_S16_S17_S18_S1B_S1C_jS1D_jS1E_S1E_jjS1G_bEUljE0_EEESZ_S10_S11_S18_S1C_S1E_T6_T7_T9_mT8_S1G_bDpT10_ENKUlT_T0_E_clISt17integral_constantIbLb0EES1U_EEDaS1P_S1Q_EUlS1P_E_NS1_11comp_targetILNS1_3genE3ELNS1_11target_archE908ELNS1_3gpuE7ELNS1_3repE0EEENS1_30default_config_static_selectorELNS0_4arch9wavefront6targetE0EEEvS12_,"axG",@progbits,_ZN7rocprim17ROCPRIM_400000_NS6detail17trampoline_kernelINS0_13select_configILj256ELj13ELNS0_17block_load_methodE3ELS4_3ELS4_3ELNS0_20block_scan_algorithmE0ELj4294967295EEENS1_25partition_config_selectorILNS1_17partition_subalgoE4EjNS0_10empty_typeEbEEZZNS1_14partition_implILS8_4ELb0ES6_15HIP_vector_typeIjLj2EENS0_17counting_iteratorIjlEEPS9_SG_NS0_5tupleIJPjSI_NS0_16reverse_iteratorISI_EEEEENSH_IJSG_SG_SG_EEES9_SI_JZNS1_25segmented_radix_sort_implINS0_14default_configELb0EPKdPdPKlPlN2at6native12_GLOBAL__N_18offset_tEEE10hipError_tPvRmT1_PNSt15iterator_traitsIS12_E10value_typeET2_T3_PNS13_IS18_E10value_typeET4_jRbjT5_S1E_jjP12ihipStream_tbEUljE_ZNSN_ISO_Lb0ESQ_SR_ST_SU_SY_EESZ_S10_S11_S12_S16_S17_S18_S1B_S1C_jS1D_jS1E_S1E_jjS1G_bEUljE0_EEESZ_S10_S11_S18_S1C_S1E_T6_T7_T9_mT8_S1G_bDpT10_ENKUlT_T0_E_clISt17integral_constantIbLb0EES1U_EEDaS1P_S1Q_EUlS1P_E_NS1_11comp_targetILNS1_3genE3ELNS1_11target_archE908ELNS1_3gpuE7ELNS1_3repE0EEENS1_30default_config_static_selectorELNS0_4arch9wavefront6targetE0EEEvS12_,comdat
.Lfunc_end1160:
	.size	_ZN7rocprim17ROCPRIM_400000_NS6detail17trampoline_kernelINS0_13select_configILj256ELj13ELNS0_17block_load_methodE3ELS4_3ELS4_3ELNS0_20block_scan_algorithmE0ELj4294967295EEENS1_25partition_config_selectorILNS1_17partition_subalgoE4EjNS0_10empty_typeEbEEZZNS1_14partition_implILS8_4ELb0ES6_15HIP_vector_typeIjLj2EENS0_17counting_iteratorIjlEEPS9_SG_NS0_5tupleIJPjSI_NS0_16reverse_iteratorISI_EEEEENSH_IJSG_SG_SG_EEES9_SI_JZNS1_25segmented_radix_sort_implINS0_14default_configELb0EPKdPdPKlPlN2at6native12_GLOBAL__N_18offset_tEEE10hipError_tPvRmT1_PNSt15iterator_traitsIS12_E10value_typeET2_T3_PNS13_IS18_E10value_typeET4_jRbjT5_S1E_jjP12ihipStream_tbEUljE_ZNSN_ISO_Lb0ESQ_SR_ST_SU_SY_EESZ_S10_S11_S12_S16_S17_S18_S1B_S1C_jS1D_jS1E_S1E_jjS1G_bEUljE0_EEESZ_S10_S11_S18_S1C_S1E_T6_T7_T9_mT8_S1G_bDpT10_ENKUlT_T0_E_clISt17integral_constantIbLb0EES1U_EEDaS1P_S1Q_EUlS1P_E_NS1_11comp_targetILNS1_3genE3ELNS1_11target_archE908ELNS1_3gpuE7ELNS1_3repE0EEENS1_30default_config_static_selectorELNS0_4arch9wavefront6targetE0EEEvS12_, .Lfunc_end1160-_ZN7rocprim17ROCPRIM_400000_NS6detail17trampoline_kernelINS0_13select_configILj256ELj13ELNS0_17block_load_methodE3ELS4_3ELS4_3ELNS0_20block_scan_algorithmE0ELj4294967295EEENS1_25partition_config_selectorILNS1_17partition_subalgoE4EjNS0_10empty_typeEbEEZZNS1_14partition_implILS8_4ELb0ES6_15HIP_vector_typeIjLj2EENS0_17counting_iteratorIjlEEPS9_SG_NS0_5tupleIJPjSI_NS0_16reverse_iteratorISI_EEEEENSH_IJSG_SG_SG_EEES9_SI_JZNS1_25segmented_radix_sort_implINS0_14default_configELb0EPKdPdPKlPlN2at6native12_GLOBAL__N_18offset_tEEE10hipError_tPvRmT1_PNSt15iterator_traitsIS12_E10value_typeET2_T3_PNS13_IS18_E10value_typeET4_jRbjT5_S1E_jjP12ihipStream_tbEUljE_ZNSN_ISO_Lb0ESQ_SR_ST_SU_SY_EESZ_S10_S11_S12_S16_S17_S18_S1B_S1C_jS1D_jS1E_S1E_jjS1G_bEUljE0_EEESZ_S10_S11_S18_S1C_S1E_T6_T7_T9_mT8_S1G_bDpT10_ENKUlT_T0_E_clISt17integral_constantIbLb0EES1U_EEDaS1P_S1Q_EUlS1P_E_NS1_11comp_targetILNS1_3genE3ELNS1_11target_archE908ELNS1_3gpuE7ELNS1_3repE0EEENS1_30default_config_static_selectorELNS0_4arch9wavefront6targetE0EEEvS12_
                                        ; -- End function
	.section	.AMDGPU.csdata,"",@progbits
; Kernel info:
; codeLenInByte = 0
; NumSgprs: 0
; NumVgprs: 0
; ScratchSize: 0
; MemoryBound: 0
; FloatMode: 240
; IeeeMode: 1
; LDSByteSize: 0 bytes/workgroup (compile time only)
; SGPRBlocks: 0
; VGPRBlocks: 0
; NumSGPRsForWavesPerEU: 1
; NumVGPRsForWavesPerEU: 1
; Occupancy: 16
; WaveLimiterHint : 0
; COMPUTE_PGM_RSRC2:SCRATCH_EN: 0
; COMPUTE_PGM_RSRC2:USER_SGPR: 15
; COMPUTE_PGM_RSRC2:TRAP_HANDLER: 0
; COMPUTE_PGM_RSRC2:TGID_X_EN: 1
; COMPUTE_PGM_RSRC2:TGID_Y_EN: 0
; COMPUTE_PGM_RSRC2:TGID_Z_EN: 0
; COMPUTE_PGM_RSRC2:TIDIG_COMP_CNT: 0
	.section	.text._ZN7rocprim17ROCPRIM_400000_NS6detail17trampoline_kernelINS0_13select_configILj256ELj13ELNS0_17block_load_methodE3ELS4_3ELS4_3ELNS0_20block_scan_algorithmE0ELj4294967295EEENS1_25partition_config_selectorILNS1_17partition_subalgoE4EjNS0_10empty_typeEbEEZZNS1_14partition_implILS8_4ELb0ES6_15HIP_vector_typeIjLj2EENS0_17counting_iteratorIjlEEPS9_SG_NS0_5tupleIJPjSI_NS0_16reverse_iteratorISI_EEEEENSH_IJSG_SG_SG_EEES9_SI_JZNS1_25segmented_radix_sort_implINS0_14default_configELb0EPKdPdPKlPlN2at6native12_GLOBAL__N_18offset_tEEE10hipError_tPvRmT1_PNSt15iterator_traitsIS12_E10value_typeET2_T3_PNS13_IS18_E10value_typeET4_jRbjT5_S1E_jjP12ihipStream_tbEUljE_ZNSN_ISO_Lb0ESQ_SR_ST_SU_SY_EESZ_S10_S11_S12_S16_S17_S18_S1B_S1C_jS1D_jS1E_S1E_jjS1G_bEUljE0_EEESZ_S10_S11_S18_S1C_S1E_T6_T7_T9_mT8_S1G_bDpT10_ENKUlT_T0_E_clISt17integral_constantIbLb0EES1U_EEDaS1P_S1Q_EUlS1P_E_NS1_11comp_targetILNS1_3genE2ELNS1_11target_archE906ELNS1_3gpuE6ELNS1_3repE0EEENS1_30default_config_static_selectorELNS0_4arch9wavefront6targetE0EEEvS12_,"axG",@progbits,_ZN7rocprim17ROCPRIM_400000_NS6detail17trampoline_kernelINS0_13select_configILj256ELj13ELNS0_17block_load_methodE3ELS4_3ELS4_3ELNS0_20block_scan_algorithmE0ELj4294967295EEENS1_25partition_config_selectorILNS1_17partition_subalgoE4EjNS0_10empty_typeEbEEZZNS1_14partition_implILS8_4ELb0ES6_15HIP_vector_typeIjLj2EENS0_17counting_iteratorIjlEEPS9_SG_NS0_5tupleIJPjSI_NS0_16reverse_iteratorISI_EEEEENSH_IJSG_SG_SG_EEES9_SI_JZNS1_25segmented_radix_sort_implINS0_14default_configELb0EPKdPdPKlPlN2at6native12_GLOBAL__N_18offset_tEEE10hipError_tPvRmT1_PNSt15iterator_traitsIS12_E10value_typeET2_T3_PNS13_IS18_E10value_typeET4_jRbjT5_S1E_jjP12ihipStream_tbEUljE_ZNSN_ISO_Lb0ESQ_SR_ST_SU_SY_EESZ_S10_S11_S12_S16_S17_S18_S1B_S1C_jS1D_jS1E_S1E_jjS1G_bEUljE0_EEESZ_S10_S11_S18_S1C_S1E_T6_T7_T9_mT8_S1G_bDpT10_ENKUlT_T0_E_clISt17integral_constantIbLb0EES1U_EEDaS1P_S1Q_EUlS1P_E_NS1_11comp_targetILNS1_3genE2ELNS1_11target_archE906ELNS1_3gpuE6ELNS1_3repE0EEENS1_30default_config_static_selectorELNS0_4arch9wavefront6targetE0EEEvS12_,comdat
	.globl	_ZN7rocprim17ROCPRIM_400000_NS6detail17trampoline_kernelINS0_13select_configILj256ELj13ELNS0_17block_load_methodE3ELS4_3ELS4_3ELNS0_20block_scan_algorithmE0ELj4294967295EEENS1_25partition_config_selectorILNS1_17partition_subalgoE4EjNS0_10empty_typeEbEEZZNS1_14partition_implILS8_4ELb0ES6_15HIP_vector_typeIjLj2EENS0_17counting_iteratorIjlEEPS9_SG_NS0_5tupleIJPjSI_NS0_16reverse_iteratorISI_EEEEENSH_IJSG_SG_SG_EEES9_SI_JZNS1_25segmented_radix_sort_implINS0_14default_configELb0EPKdPdPKlPlN2at6native12_GLOBAL__N_18offset_tEEE10hipError_tPvRmT1_PNSt15iterator_traitsIS12_E10value_typeET2_T3_PNS13_IS18_E10value_typeET4_jRbjT5_S1E_jjP12ihipStream_tbEUljE_ZNSN_ISO_Lb0ESQ_SR_ST_SU_SY_EESZ_S10_S11_S12_S16_S17_S18_S1B_S1C_jS1D_jS1E_S1E_jjS1G_bEUljE0_EEESZ_S10_S11_S18_S1C_S1E_T6_T7_T9_mT8_S1G_bDpT10_ENKUlT_T0_E_clISt17integral_constantIbLb0EES1U_EEDaS1P_S1Q_EUlS1P_E_NS1_11comp_targetILNS1_3genE2ELNS1_11target_archE906ELNS1_3gpuE6ELNS1_3repE0EEENS1_30default_config_static_selectorELNS0_4arch9wavefront6targetE0EEEvS12_ ; -- Begin function _ZN7rocprim17ROCPRIM_400000_NS6detail17trampoline_kernelINS0_13select_configILj256ELj13ELNS0_17block_load_methodE3ELS4_3ELS4_3ELNS0_20block_scan_algorithmE0ELj4294967295EEENS1_25partition_config_selectorILNS1_17partition_subalgoE4EjNS0_10empty_typeEbEEZZNS1_14partition_implILS8_4ELb0ES6_15HIP_vector_typeIjLj2EENS0_17counting_iteratorIjlEEPS9_SG_NS0_5tupleIJPjSI_NS0_16reverse_iteratorISI_EEEEENSH_IJSG_SG_SG_EEES9_SI_JZNS1_25segmented_radix_sort_implINS0_14default_configELb0EPKdPdPKlPlN2at6native12_GLOBAL__N_18offset_tEEE10hipError_tPvRmT1_PNSt15iterator_traitsIS12_E10value_typeET2_T3_PNS13_IS18_E10value_typeET4_jRbjT5_S1E_jjP12ihipStream_tbEUljE_ZNSN_ISO_Lb0ESQ_SR_ST_SU_SY_EESZ_S10_S11_S12_S16_S17_S18_S1B_S1C_jS1D_jS1E_S1E_jjS1G_bEUljE0_EEESZ_S10_S11_S18_S1C_S1E_T6_T7_T9_mT8_S1G_bDpT10_ENKUlT_T0_E_clISt17integral_constantIbLb0EES1U_EEDaS1P_S1Q_EUlS1P_E_NS1_11comp_targetILNS1_3genE2ELNS1_11target_archE906ELNS1_3gpuE6ELNS1_3repE0EEENS1_30default_config_static_selectorELNS0_4arch9wavefront6targetE0EEEvS12_
	.p2align	8
	.type	_ZN7rocprim17ROCPRIM_400000_NS6detail17trampoline_kernelINS0_13select_configILj256ELj13ELNS0_17block_load_methodE3ELS4_3ELS4_3ELNS0_20block_scan_algorithmE0ELj4294967295EEENS1_25partition_config_selectorILNS1_17partition_subalgoE4EjNS0_10empty_typeEbEEZZNS1_14partition_implILS8_4ELb0ES6_15HIP_vector_typeIjLj2EENS0_17counting_iteratorIjlEEPS9_SG_NS0_5tupleIJPjSI_NS0_16reverse_iteratorISI_EEEEENSH_IJSG_SG_SG_EEES9_SI_JZNS1_25segmented_radix_sort_implINS0_14default_configELb0EPKdPdPKlPlN2at6native12_GLOBAL__N_18offset_tEEE10hipError_tPvRmT1_PNSt15iterator_traitsIS12_E10value_typeET2_T3_PNS13_IS18_E10value_typeET4_jRbjT5_S1E_jjP12ihipStream_tbEUljE_ZNSN_ISO_Lb0ESQ_SR_ST_SU_SY_EESZ_S10_S11_S12_S16_S17_S18_S1B_S1C_jS1D_jS1E_S1E_jjS1G_bEUljE0_EEESZ_S10_S11_S18_S1C_S1E_T6_T7_T9_mT8_S1G_bDpT10_ENKUlT_T0_E_clISt17integral_constantIbLb0EES1U_EEDaS1P_S1Q_EUlS1P_E_NS1_11comp_targetILNS1_3genE2ELNS1_11target_archE906ELNS1_3gpuE6ELNS1_3repE0EEENS1_30default_config_static_selectorELNS0_4arch9wavefront6targetE0EEEvS12_,@function
_ZN7rocprim17ROCPRIM_400000_NS6detail17trampoline_kernelINS0_13select_configILj256ELj13ELNS0_17block_load_methodE3ELS4_3ELS4_3ELNS0_20block_scan_algorithmE0ELj4294967295EEENS1_25partition_config_selectorILNS1_17partition_subalgoE4EjNS0_10empty_typeEbEEZZNS1_14partition_implILS8_4ELb0ES6_15HIP_vector_typeIjLj2EENS0_17counting_iteratorIjlEEPS9_SG_NS0_5tupleIJPjSI_NS0_16reverse_iteratorISI_EEEEENSH_IJSG_SG_SG_EEES9_SI_JZNS1_25segmented_radix_sort_implINS0_14default_configELb0EPKdPdPKlPlN2at6native12_GLOBAL__N_18offset_tEEE10hipError_tPvRmT1_PNSt15iterator_traitsIS12_E10value_typeET2_T3_PNS13_IS18_E10value_typeET4_jRbjT5_S1E_jjP12ihipStream_tbEUljE_ZNSN_ISO_Lb0ESQ_SR_ST_SU_SY_EESZ_S10_S11_S12_S16_S17_S18_S1B_S1C_jS1D_jS1E_S1E_jjS1G_bEUljE0_EEESZ_S10_S11_S18_S1C_S1E_T6_T7_T9_mT8_S1G_bDpT10_ENKUlT_T0_E_clISt17integral_constantIbLb0EES1U_EEDaS1P_S1Q_EUlS1P_E_NS1_11comp_targetILNS1_3genE2ELNS1_11target_archE906ELNS1_3gpuE6ELNS1_3repE0EEENS1_30default_config_static_selectorELNS0_4arch9wavefront6targetE0EEEvS12_: ; @_ZN7rocprim17ROCPRIM_400000_NS6detail17trampoline_kernelINS0_13select_configILj256ELj13ELNS0_17block_load_methodE3ELS4_3ELS4_3ELNS0_20block_scan_algorithmE0ELj4294967295EEENS1_25partition_config_selectorILNS1_17partition_subalgoE4EjNS0_10empty_typeEbEEZZNS1_14partition_implILS8_4ELb0ES6_15HIP_vector_typeIjLj2EENS0_17counting_iteratorIjlEEPS9_SG_NS0_5tupleIJPjSI_NS0_16reverse_iteratorISI_EEEEENSH_IJSG_SG_SG_EEES9_SI_JZNS1_25segmented_radix_sort_implINS0_14default_configELb0EPKdPdPKlPlN2at6native12_GLOBAL__N_18offset_tEEE10hipError_tPvRmT1_PNSt15iterator_traitsIS12_E10value_typeET2_T3_PNS13_IS18_E10value_typeET4_jRbjT5_S1E_jjP12ihipStream_tbEUljE_ZNSN_ISO_Lb0ESQ_SR_ST_SU_SY_EESZ_S10_S11_S12_S16_S17_S18_S1B_S1C_jS1D_jS1E_S1E_jjS1G_bEUljE0_EEESZ_S10_S11_S18_S1C_S1E_T6_T7_T9_mT8_S1G_bDpT10_ENKUlT_T0_E_clISt17integral_constantIbLb0EES1U_EEDaS1P_S1Q_EUlS1P_E_NS1_11comp_targetILNS1_3genE2ELNS1_11target_archE906ELNS1_3gpuE6ELNS1_3repE0EEENS1_30default_config_static_selectorELNS0_4arch9wavefront6targetE0EEEvS12_
; %bb.0:
	.section	.rodata,"a",@progbits
	.p2align	6, 0x0
	.amdhsa_kernel _ZN7rocprim17ROCPRIM_400000_NS6detail17trampoline_kernelINS0_13select_configILj256ELj13ELNS0_17block_load_methodE3ELS4_3ELS4_3ELNS0_20block_scan_algorithmE0ELj4294967295EEENS1_25partition_config_selectorILNS1_17partition_subalgoE4EjNS0_10empty_typeEbEEZZNS1_14partition_implILS8_4ELb0ES6_15HIP_vector_typeIjLj2EENS0_17counting_iteratorIjlEEPS9_SG_NS0_5tupleIJPjSI_NS0_16reverse_iteratorISI_EEEEENSH_IJSG_SG_SG_EEES9_SI_JZNS1_25segmented_radix_sort_implINS0_14default_configELb0EPKdPdPKlPlN2at6native12_GLOBAL__N_18offset_tEEE10hipError_tPvRmT1_PNSt15iterator_traitsIS12_E10value_typeET2_T3_PNS13_IS18_E10value_typeET4_jRbjT5_S1E_jjP12ihipStream_tbEUljE_ZNSN_ISO_Lb0ESQ_SR_ST_SU_SY_EESZ_S10_S11_S12_S16_S17_S18_S1B_S1C_jS1D_jS1E_S1E_jjS1G_bEUljE0_EEESZ_S10_S11_S18_S1C_S1E_T6_T7_T9_mT8_S1G_bDpT10_ENKUlT_T0_E_clISt17integral_constantIbLb0EES1U_EEDaS1P_S1Q_EUlS1P_E_NS1_11comp_targetILNS1_3genE2ELNS1_11target_archE906ELNS1_3gpuE6ELNS1_3repE0EEENS1_30default_config_static_selectorELNS0_4arch9wavefront6targetE0EEEvS12_
		.amdhsa_group_segment_fixed_size 0
		.amdhsa_private_segment_fixed_size 0
		.amdhsa_kernarg_size 176
		.amdhsa_user_sgpr_count 15
		.amdhsa_user_sgpr_dispatch_ptr 0
		.amdhsa_user_sgpr_queue_ptr 0
		.amdhsa_user_sgpr_kernarg_segment_ptr 1
		.amdhsa_user_sgpr_dispatch_id 0
		.amdhsa_user_sgpr_private_segment_size 0
		.amdhsa_wavefront_size32 1
		.amdhsa_uses_dynamic_stack 0
		.amdhsa_enable_private_segment 0
		.amdhsa_system_sgpr_workgroup_id_x 1
		.amdhsa_system_sgpr_workgroup_id_y 0
		.amdhsa_system_sgpr_workgroup_id_z 0
		.amdhsa_system_sgpr_workgroup_info 0
		.amdhsa_system_vgpr_workitem_id 0
		.amdhsa_next_free_vgpr 1
		.amdhsa_next_free_sgpr 1
		.amdhsa_reserve_vcc 0
		.amdhsa_float_round_mode_32 0
		.amdhsa_float_round_mode_16_64 0
		.amdhsa_float_denorm_mode_32 3
		.amdhsa_float_denorm_mode_16_64 3
		.amdhsa_dx10_clamp 1
		.amdhsa_ieee_mode 1
		.amdhsa_fp16_overflow 0
		.amdhsa_workgroup_processor_mode 1
		.amdhsa_memory_ordered 1
		.amdhsa_forward_progress 0
		.amdhsa_shared_vgpr_count 0
		.amdhsa_exception_fp_ieee_invalid_op 0
		.amdhsa_exception_fp_denorm_src 0
		.amdhsa_exception_fp_ieee_div_zero 0
		.amdhsa_exception_fp_ieee_overflow 0
		.amdhsa_exception_fp_ieee_underflow 0
		.amdhsa_exception_fp_ieee_inexact 0
		.amdhsa_exception_int_div_zero 0
	.end_amdhsa_kernel
	.section	.text._ZN7rocprim17ROCPRIM_400000_NS6detail17trampoline_kernelINS0_13select_configILj256ELj13ELNS0_17block_load_methodE3ELS4_3ELS4_3ELNS0_20block_scan_algorithmE0ELj4294967295EEENS1_25partition_config_selectorILNS1_17partition_subalgoE4EjNS0_10empty_typeEbEEZZNS1_14partition_implILS8_4ELb0ES6_15HIP_vector_typeIjLj2EENS0_17counting_iteratorIjlEEPS9_SG_NS0_5tupleIJPjSI_NS0_16reverse_iteratorISI_EEEEENSH_IJSG_SG_SG_EEES9_SI_JZNS1_25segmented_radix_sort_implINS0_14default_configELb0EPKdPdPKlPlN2at6native12_GLOBAL__N_18offset_tEEE10hipError_tPvRmT1_PNSt15iterator_traitsIS12_E10value_typeET2_T3_PNS13_IS18_E10value_typeET4_jRbjT5_S1E_jjP12ihipStream_tbEUljE_ZNSN_ISO_Lb0ESQ_SR_ST_SU_SY_EESZ_S10_S11_S12_S16_S17_S18_S1B_S1C_jS1D_jS1E_S1E_jjS1G_bEUljE0_EEESZ_S10_S11_S18_S1C_S1E_T6_T7_T9_mT8_S1G_bDpT10_ENKUlT_T0_E_clISt17integral_constantIbLb0EES1U_EEDaS1P_S1Q_EUlS1P_E_NS1_11comp_targetILNS1_3genE2ELNS1_11target_archE906ELNS1_3gpuE6ELNS1_3repE0EEENS1_30default_config_static_selectorELNS0_4arch9wavefront6targetE0EEEvS12_,"axG",@progbits,_ZN7rocprim17ROCPRIM_400000_NS6detail17trampoline_kernelINS0_13select_configILj256ELj13ELNS0_17block_load_methodE3ELS4_3ELS4_3ELNS0_20block_scan_algorithmE0ELj4294967295EEENS1_25partition_config_selectorILNS1_17partition_subalgoE4EjNS0_10empty_typeEbEEZZNS1_14partition_implILS8_4ELb0ES6_15HIP_vector_typeIjLj2EENS0_17counting_iteratorIjlEEPS9_SG_NS0_5tupleIJPjSI_NS0_16reverse_iteratorISI_EEEEENSH_IJSG_SG_SG_EEES9_SI_JZNS1_25segmented_radix_sort_implINS0_14default_configELb0EPKdPdPKlPlN2at6native12_GLOBAL__N_18offset_tEEE10hipError_tPvRmT1_PNSt15iterator_traitsIS12_E10value_typeET2_T3_PNS13_IS18_E10value_typeET4_jRbjT5_S1E_jjP12ihipStream_tbEUljE_ZNSN_ISO_Lb0ESQ_SR_ST_SU_SY_EESZ_S10_S11_S12_S16_S17_S18_S1B_S1C_jS1D_jS1E_S1E_jjS1G_bEUljE0_EEESZ_S10_S11_S18_S1C_S1E_T6_T7_T9_mT8_S1G_bDpT10_ENKUlT_T0_E_clISt17integral_constantIbLb0EES1U_EEDaS1P_S1Q_EUlS1P_E_NS1_11comp_targetILNS1_3genE2ELNS1_11target_archE906ELNS1_3gpuE6ELNS1_3repE0EEENS1_30default_config_static_selectorELNS0_4arch9wavefront6targetE0EEEvS12_,comdat
.Lfunc_end1161:
	.size	_ZN7rocprim17ROCPRIM_400000_NS6detail17trampoline_kernelINS0_13select_configILj256ELj13ELNS0_17block_load_methodE3ELS4_3ELS4_3ELNS0_20block_scan_algorithmE0ELj4294967295EEENS1_25partition_config_selectorILNS1_17partition_subalgoE4EjNS0_10empty_typeEbEEZZNS1_14partition_implILS8_4ELb0ES6_15HIP_vector_typeIjLj2EENS0_17counting_iteratorIjlEEPS9_SG_NS0_5tupleIJPjSI_NS0_16reverse_iteratorISI_EEEEENSH_IJSG_SG_SG_EEES9_SI_JZNS1_25segmented_radix_sort_implINS0_14default_configELb0EPKdPdPKlPlN2at6native12_GLOBAL__N_18offset_tEEE10hipError_tPvRmT1_PNSt15iterator_traitsIS12_E10value_typeET2_T3_PNS13_IS18_E10value_typeET4_jRbjT5_S1E_jjP12ihipStream_tbEUljE_ZNSN_ISO_Lb0ESQ_SR_ST_SU_SY_EESZ_S10_S11_S12_S16_S17_S18_S1B_S1C_jS1D_jS1E_S1E_jjS1G_bEUljE0_EEESZ_S10_S11_S18_S1C_S1E_T6_T7_T9_mT8_S1G_bDpT10_ENKUlT_T0_E_clISt17integral_constantIbLb0EES1U_EEDaS1P_S1Q_EUlS1P_E_NS1_11comp_targetILNS1_3genE2ELNS1_11target_archE906ELNS1_3gpuE6ELNS1_3repE0EEENS1_30default_config_static_selectorELNS0_4arch9wavefront6targetE0EEEvS12_, .Lfunc_end1161-_ZN7rocprim17ROCPRIM_400000_NS6detail17trampoline_kernelINS0_13select_configILj256ELj13ELNS0_17block_load_methodE3ELS4_3ELS4_3ELNS0_20block_scan_algorithmE0ELj4294967295EEENS1_25partition_config_selectorILNS1_17partition_subalgoE4EjNS0_10empty_typeEbEEZZNS1_14partition_implILS8_4ELb0ES6_15HIP_vector_typeIjLj2EENS0_17counting_iteratorIjlEEPS9_SG_NS0_5tupleIJPjSI_NS0_16reverse_iteratorISI_EEEEENSH_IJSG_SG_SG_EEES9_SI_JZNS1_25segmented_radix_sort_implINS0_14default_configELb0EPKdPdPKlPlN2at6native12_GLOBAL__N_18offset_tEEE10hipError_tPvRmT1_PNSt15iterator_traitsIS12_E10value_typeET2_T3_PNS13_IS18_E10value_typeET4_jRbjT5_S1E_jjP12ihipStream_tbEUljE_ZNSN_ISO_Lb0ESQ_SR_ST_SU_SY_EESZ_S10_S11_S12_S16_S17_S18_S1B_S1C_jS1D_jS1E_S1E_jjS1G_bEUljE0_EEESZ_S10_S11_S18_S1C_S1E_T6_T7_T9_mT8_S1G_bDpT10_ENKUlT_T0_E_clISt17integral_constantIbLb0EES1U_EEDaS1P_S1Q_EUlS1P_E_NS1_11comp_targetILNS1_3genE2ELNS1_11target_archE906ELNS1_3gpuE6ELNS1_3repE0EEENS1_30default_config_static_selectorELNS0_4arch9wavefront6targetE0EEEvS12_
                                        ; -- End function
	.section	.AMDGPU.csdata,"",@progbits
; Kernel info:
; codeLenInByte = 0
; NumSgprs: 0
; NumVgprs: 0
; ScratchSize: 0
; MemoryBound: 0
; FloatMode: 240
; IeeeMode: 1
; LDSByteSize: 0 bytes/workgroup (compile time only)
; SGPRBlocks: 0
; VGPRBlocks: 0
; NumSGPRsForWavesPerEU: 1
; NumVGPRsForWavesPerEU: 1
; Occupancy: 16
; WaveLimiterHint : 0
; COMPUTE_PGM_RSRC2:SCRATCH_EN: 0
; COMPUTE_PGM_RSRC2:USER_SGPR: 15
; COMPUTE_PGM_RSRC2:TRAP_HANDLER: 0
; COMPUTE_PGM_RSRC2:TGID_X_EN: 1
; COMPUTE_PGM_RSRC2:TGID_Y_EN: 0
; COMPUTE_PGM_RSRC2:TGID_Z_EN: 0
; COMPUTE_PGM_RSRC2:TIDIG_COMP_CNT: 0
	.section	.text._ZN7rocprim17ROCPRIM_400000_NS6detail17trampoline_kernelINS0_13select_configILj256ELj13ELNS0_17block_load_methodE3ELS4_3ELS4_3ELNS0_20block_scan_algorithmE0ELj4294967295EEENS1_25partition_config_selectorILNS1_17partition_subalgoE4EjNS0_10empty_typeEbEEZZNS1_14partition_implILS8_4ELb0ES6_15HIP_vector_typeIjLj2EENS0_17counting_iteratorIjlEEPS9_SG_NS0_5tupleIJPjSI_NS0_16reverse_iteratorISI_EEEEENSH_IJSG_SG_SG_EEES9_SI_JZNS1_25segmented_radix_sort_implINS0_14default_configELb0EPKdPdPKlPlN2at6native12_GLOBAL__N_18offset_tEEE10hipError_tPvRmT1_PNSt15iterator_traitsIS12_E10value_typeET2_T3_PNS13_IS18_E10value_typeET4_jRbjT5_S1E_jjP12ihipStream_tbEUljE_ZNSN_ISO_Lb0ESQ_SR_ST_SU_SY_EESZ_S10_S11_S12_S16_S17_S18_S1B_S1C_jS1D_jS1E_S1E_jjS1G_bEUljE0_EEESZ_S10_S11_S18_S1C_S1E_T6_T7_T9_mT8_S1G_bDpT10_ENKUlT_T0_E_clISt17integral_constantIbLb0EES1U_EEDaS1P_S1Q_EUlS1P_E_NS1_11comp_targetILNS1_3genE10ELNS1_11target_archE1200ELNS1_3gpuE4ELNS1_3repE0EEENS1_30default_config_static_selectorELNS0_4arch9wavefront6targetE0EEEvS12_,"axG",@progbits,_ZN7rocprim17ROCPRIM_400000_NS6detail17trampoline_kernelINS0_13select_configILj256ELj13ELNS0_17block_load_methodE3ELS4_3ELS4_3ELNS0_20block_scan_algorithmE0ELj4294967295EEENS1_25partition_config_selectorILNS1_17partition_subalgoE4EjNS0_10empty_typeEbEEZZNS1_14partition_implILS8_4ELb0ES6_15HIP_vector_typeIjLj2EENS0_17counting_iteratorIjlEEPS9_SG_NS0_5tupleIJPjSI_NS0_16reverse_iteratorISI_EEEEENSH_IJSG_SG_SG_EEES9_SI_JZNS1_25segmented_radix_sort_implINS0_14default_configELb0EPKdPdPKlPlN2at6native12_GLOBAL__N_18offset_tEEE10hipError_tPvRmT1_PNSt15iterator_traitsIS12_E10value_typeET2_T3_PNS13_IS18_E10value_typeET4_jRbjT5_S1E_jjP12ihipStream_tbEUljE_ZNSN_ISO_Lb0ESQ_SR_ST_SU_SY_EESZ_S10_S11_S12_S16_S17_S18_S1B_S1C_jS1D_jS1E_S1E_jjS1G_bEUljE0_EEESZ_S10_S11_S18_S1C_S1E_T6_T7_T9_mT8_S1G_bDpT10_ENKUlT_T0_E_clISt17integral_constantIbLb0EES1U_EEDaS1P_S1Q_EUlS1P_E_NS1_11comp_targetILNS1_3genE10ELNS1_11target_archE1200ELNS1_3gpuE4ELNS1_3repE0EEENS1_30default_config_static_selectorELNS0_4arch9wavefront6targetE0EEEvS12_,comdat
	.globl	_ZN7rocprim17ROCPRIM_400000_NS6detail17trampoline_kernelINS0_13select_configILj256ELj13ELNS0_17block_load_methodE3ELS4_3ELS4_3ELNS0_20block_scan_algorithmE0ELj4294967295EEENS1_25partition_config_selectorILNS1_17partition_subalgoE4EjNS0_10empty_typeEbEEZZNS1_14partition_implILS8_4ELb0ES6_15HIP_vector_typeIjLj2EENS0_17counting_iteratorIjlEEPS9_SG_NS0_5tupleIJPjSI_NS0_16reverse_iteratorISI_EEEEENSH_IJSG_SG_SG_EEES9_SI_JZNS1_25segmented_radix_sort_implINS0_14default_configELb0EPKdPdPKlPlN2at6native12_GLOBAL__N_18offset_tEEE10hipError_tPvRmT1_PNSt15iterator_traitsIS12_E10value_typeET2_T3_PNS13_IS18_E10value_typeET4_jRbjT5_S1E_jjP12ihipStream_tbEUljE_ZNSN_ISO_Lb0ESQ_SR_ST_SU_SY_EESZ_S10_S11_S12_S16_S17_S18_S1B_S1C_jS1D_jS1E_S1E_jjS1G_bEUljE0_EEESZ_S10_S11_S18_S1C_S1E_T6_T7_T9_mT8_S1G_bDpT10_ENKUlT_T0_E_clISt17integral_constantIbLb0EES1U_EEDaS1P_S1Q_EUlS1P_E_NS1_11comp_targetILNS1_3genE10ELNS1_11target_archE1200ELNS1_3gpuE4ELNS1_3repE0EEENS1_30default_config_static_selectorELNS0_4arch9wavefront6targetE0EEEvS12_ ; -- Begin function _ZN7rocprim17ROCPRIM_400000_NS6detail17trampoline_kernelINS0_13select_configILj256ELj13ELNS0_17block_load_methodE3ELS4_3ELS4_3ELNS0_20block_scan_algorithmE0ELj4294967295EEENS1_25partition_config_selectorILNS1_17partition_subalgoE4EjNS0_10empty_typeEbEEZZNS1_14partition_implILS8_4ELb0ES6_15HIP_vector_typeIjLj2EENS0_17counting_iteratorIjlEEPS9_SG_NS0_5tupleIJPjSI_NS0_16reverse_iteratorISI_EEEEENSH_IJSG_SG_SG_EEES9_SI_JZNS1_25segmented_radix_sort_implINS0_14default_configELb0EPKdPdPKlPlN2at6native12_GLOBAL__N_18offset_tEEE10hipError_tPvRmT1_PNSt15iterator_traitsIS12_E10value_typeET2_T3_PNS13_IS18_E10value_typeET4_jRbjT5_S1E_jjP12ihipStream_tbEUljE_ZNSN_ISO_Lb0ESQ_SR_ST_SU_SY_EESZ_S10_S11_S12_S16_S17_S18_S1B_S1C_jS1D_jS1E_S1E_jjS1G_bEUljE0_EEESZ_S10_S11_S18_S1C_S1E_T6_T7_T9_mT8_S1G_bDpT10_ENKUlT_T0_E_clISt17integral_constantIbLb0EES1U_EEDaS1P_S1Q_EUlS1P_E_NS1_11comp_targetILNS1_3genE10ELNS1_11target_archE1200ELNS1_3gpuE4ELNS1_3repE0EEENS1_30default_config_static_selectorELNS0_4arch9wavefront6targetE0EEEvS12_
	.p2align	8
	.type	_ZN7rocprim17ROCPRIM_400000_NS6detail17trampoline_kernelINS0_13select_configILj256ELj13ELNS0_17block_load_methodE3ELS4_3ELS4_3ELNS0_20block_scan_algorithmE0ELj4294967295EEENS1_25partition_config_selectorILNS1_17partition_subalgoE4EjNS0_10empty_typeEbEEZZNS1_14partition_implILS8_4ELb0ES6_15HIP_vector_typeIjLj2EENS0_17counting_iteratorIjlEEPS9_SG_NS0_5tupleIJPjSI_NS0_16reverse_iteratorISI_EEEEENSH_IJSG_SG_SG_EEES9_SI_JZNS1_25segmented_radix_sort_implINS0_14default_configELb0EPKdPdPKlPlN2at6native12_GLOBAL__N_18offset_tEEE10hipError_tPvRmT1_PNSt15iterator_traitsIS12_E10value_typeET2_T3_PNS13_IS18_E10value_typeET4_jRbjT5_S1E_jjP12ihipStream_tbEUljE_ZNSN_ISO_Lb0ESQ_SR_ST_SU_SY_EESZ_S10_S11_S12_S16_S17_S18_S1B_S1C_jS1D_jS1E_S1E_jjS1G_bEUljE0_EEESZ_S10_S11_S18_S1C_S1E_T6_T7_T9_mT8_S1G_bDpT10_ENKUlT_T0_E_clISt17integral_constantIbLb0EES1U_EEDaS1P_S1Q_EUlS1P_E_NS1_11comp_targetILNS1_3genE10ELNS1_11target_archE1200ELNS1_3gpuE4ELNS1_3repE0EEENS1_30default_config_static_selectorELNS0_4arch9wavefront6targetE0EEEvS12_,@function
_ZN7rocprim17ROCPRIM_400000_NS6detail17trampoline_kernelINS0_13select_configILj256ELj13ELNS0_17block_load_methodE3ELS4_3ELS4_3ELNS0_20block_scan_algorithmE0ELj4294967295EEENS1_25partition_config_selectorILNS1_17partition_subalgoE4EjNS0_10empty_typeEbEEZZNS1_14partition_implILS8_4ELb0ES6_15HIP_vector_typeIjLj2EENS0_17counting_iteratorIjlEEPS9_SG_NS0_5tupleIJPjSI_NS0_16reverse_iteratorISI_EEEEENSH_IJSG_SG_SG_EEES9_SI_JZNS1_25segmented_radix_sort_implINS0_14default_configELb0EPKdPdPKlPlN2at6native12_GLOBAL__N_18offset_tEEE10hipError_tPvRmT1_PNSt15iterator_traitsIS12_E10value_typeET2_T3_PNS13_IS18_E10value_typeET4_jRbjT5_S1E_jjP12ihipStream_tbEUljE_ZNSN_ISO_Lb0ESQ_SR_ST_SU_SY_EESZ_S10_S11_S12_S16_S17_S18_S1B_S1C_jS1D_jS1E_S1E_jjS1G_bEUljE0_EEESZ_S10_S11_S18_S1C_S1E_T6_T7_T9_mT8_S1G_bDpT10_ENKUlT_T0_E_clISt17integral_constantIbLb0EES1U_EEDaS1P_S1Q_EUlS1P_E_NS1_11comp_targetILNS1_3genE10ELNS1_11target_archE1200ELNS1_3gpuE4ELNS1_3repE0EEENS1_30default_config_static_selectorELNS0_4arch9wavefront6targetE0EEEvS12_: ; @_ZN7rocprim17ROCPRIM_400000_NS6detail17trampoline_kernelINS0_13select_configILj256ELj13ELNS0_17block_load_methodE3ELS4_3ELS4_3ELNS0_20block_scan_algorithmE0ELj4294967295EEENS1_25partition_config_selectorILNS1_17partition_subalgoE4EjNS0_10empty_typeEbEEZZNS1_14partition_implILS8_4ELb0ES6_15HIP_vector_typeIjLj2EENS0_17counting_iteratorIjlEEPS9_SG_NS0_5tupleIJPjSI_NS0_16reverse_iteratorISI_EEEEENSH_IJSG_SG_SG_EEES9_SI_JZNS1_25segmented_radix_sort_implINS0_14default_configELb0EPKdPdPKlPlN2at6native12_GLOBAL__N_18offset_tEEE10hipError_tPvRmT1_PNSt15iterator_traitsIS12_E10value_typeET2_T3_PNS13_IS18_E10value_typeET4_jRbjT5_S1E_jjP12ihipStream_tbEUljE_ZNSN_ISO_Lb0ESQ_SR_ST_SU_SY_EESZ_S10_S11_S12_S16_S17_S18_S1B_S1C_jS1D_jS1E_S1E_jjS1G_bEUljE0_EEESZ_S10_S11_S18_S1C_S1E_T6_T7_T9_mT8_S1G_bDpT10_ENKUlT_T0_E_clISt17integral_constantIbLb0EES1U_EEDaS1P_S1Q_EUlS1P_E_NS1_11comp_targetILNS1_3genE10ELNS1_11target_archE1200ELNS1_3gpuE4ELNS1_3repE0EEENS1_30default_config_static_selectorELNS0_4arch9wavefront6targetE0EEEvS12_
; %bb.0:
	.section	.rodata,"a",@progbits
	.p2align	6, 0x0
	.amdhsa_kernel _ZN7rocprim17ROCPRIM_400000_NS6detail17trampoline_kernelINS0_13select_configILj256ELj13ELNS0_17block_load_methodE3ELS4_3ELS4_3ELNS0_20block_scan_algorithmE0ELj4294967295EEENS1_25partition_config_selectorILNS1_17partition_subalgoE4EjNS0_10empty_typeEbEEZZNS1_14partition_implILS8_4ELb0ES6_15HIP_vector_typeIjLj2EENS0_17counting_iteratorIjlEEPS9_SG_NS0_5tupleIJPjSI_NS0_16reverse_iteratorISI_EEEEENSH_IJSG_SG_SG_EEES9_SI_JZNS1_25segmented_radix_sort_implINS0_14default_configELb0EPKdPdPKlPlN2at6native12_GLOBAL__N_18offset_tEEE10hipError_tPvRmT1_PNSt15iterator_traitsIS12_E10value_typeET2_T3_PNS13_IS18_E10value_typeET4_jRbjT5_S1E_jjP12ihipStream_tbEUljE_ZNSN_ISO_Lb0ESQ_SR_ST_SU_SY_EESZ_S10_S11_S12_S16_S17_S18_S1B_S1C_jS1D_jS1E_S1E_jjS1G_bEUljE0_EEESZ_S10_S11_S18_S1C_S1E_T6_T7_T9_mT8_S1G_bDpT10_ENKUlT_T0_E_clISt17integral_constantIbLb0EES1U_EEDaS1P_S1Q_EUlS1P_E_NS1_11comp_targetILNS1_3genE10ELNS1_11target_archE1200ELNS1_3gpuE4ELNS1_3repE0EEENS1_30default_config_static_selectorELNS0_4arch9wavefront6targetE0EEEvS12_
		.amdhsa_group_segment_fixed_size 0
		.amdhsa_private_segment_fixed_size 0
		.amdhsa_kernarg_size 176
		.amdhsa_user_sgpr_count 15
		.amdhsa_user_sgpr_dispatch_ptr 0
		.amdhsa_user_sgpr_queue_ptr 0
		.amdhsa_user_sgpr_kernarg_segment_ptr 1
		.amdhsa_user_sgpr_dispatch_id 0
		.amdhsa_user_sgpr_private_segment_size 0
		.amdhsa_wavefront_size32 1
		.amdhsa_uses_dynamic_stack 0
		.amdhsa_enable_private_segment 0
		.amdhsa_system_sgpr_workgroup_id_x 1
		.amdhsa_system_sgpr_workgroup_id_y 0
		.amdhsa_system_sgpr_workgroup_id_z 0
		.amdhsa_system_sgpr_workgroup_info 0
		.amdhsa_system_vgpr_workitem_id 0
		.amdhsa_next_free_vgpr 1
		.amdhsa_next_free_sgpr 1
		.amdhsa_reserve_vcc 0
		.amdhsa_float_round_mode_32 0
		.amdhsa_float_round_mode_16_64 0
		.amdhsa_float_denorm_mode_32 3
		.amdhsa_float_denorm_mode_16_64 3
		.amdhsa_dx10_clamp 1
		.amdhsa_ieee_mode 1
		.amdhsa_fp16_overflow 0
		.amdhsa_workgroup_processor_mode 1
		.amdhsa_memory_ordered 1
		.amdhsa_forward_progress 0
		.amdhsa_shared_vgpr_count 0
		.amdhsa_exception_fp_ieee_invalid_op 0
		.amdhsa_exception_fp_denorm_src 0
		.amdhsa_exception_fp_ieee_div_zero 0
		.amdhsa_exception_fp_ieee_overflow 0
		.amdhsa_exception_fp_ieee_underflow 0
		.amdhsa_exception_fp_ieee_inexact 0
		.amdhsa_exception_int_div_zero 0
	.end_amdhsa_kernel
	.section	.text._ZN7rocprim17ROCPRIM_400000_NS6detail17trampoline_kernelINS0_13select_configILj256ELj13ELNS0_17block_load_methodE3ELS4_3ELS4_3ELNS0_20block_scan_algorithmE0ELj4294967295EEENS1_25partition_config_selectorILNS1_17partition_subalgoE4EjNS0_10empty_typeEbEEZZNS1_14partition_implILS8_4ELb0ES6_15HIP_vector_typeIjLj2EENS0_17counting_iteratorIjlEEPS9_SG_NS0_5tupleIJPjSI_NS0_16reverse_iteratorISI_EEEEENSH_IJSG_SG_SG_EEES9_SI_JZNS1_25segmented_radix_sort_implINS0_14default_configELb0EPKdPdPKlPlN2at6native12_GLOBAL__N_18offset_tEEE10hipError_tPvRmT1_PNSt15iterator_traitsIS12_E10value_typeET2_T3_PNS13_IS18_E10value_typeET4_jRbjT5_S1E_jjP12ihipStream_tbEUljE_ZNSN_ISO_Lb0ESQ_SR_ST_SU_SY_EESZ_S10_S11_S12_S16_S17_S18_S1B_S1C_jS1D_jS1E_S1E_jjS1G_bEUljE0_EEESZ_S10_S11_S18_S1C_S1E_T6_T7_T9_mT8_S1G_bDpT10_ENKUlT_T0_E_clISt17integral_constantIbLb0EES1U_EEDaS1P_S1Q_EUlS1P_E_NS1_11comp_targetILNS1_3genE10ELNS1_11target_archE1200ELNS1_3gpuE4ELNS1_3repE0EEENS1_30default_config_static_selectorELNS0_4arch9wavefront6targetE0EEEvS12_,"axG",@progbits,_ZN7rocprim17ROCPRIM_400000_NS6detail17trampoline_kernelINS0_13select_configILj256ELj13ELNS0_17block_load_methodE3ELS4_3ELS4_3ELNS0_20block_scan_algorithmE0ELj4294967295EEENS1_25partition_config_selectorILNS1_17partition_subalgoE4EjNS0_10empty_typeEbEEZZNS1_14partition_implILS8_4ELb0ES6_15HIP_vector_typeIjLj2EENS0_17counting_iteratorIjlEEPS9_SG_NS0_5tupleIJPjSI_NS0_16reverse_iteratorISI_EEEEENSH_IJSG_SG_SG_EEES9_SI_JZNS1_25segmented_radix_sort_implINS0_14default_configELb0EPKdPdPKlPlN2at6native12_GLOBAL__N_18offset_tEEE10hipError_tPvRmT1_PNSt15iterator_traitsIS12_E10value_typeET2_T3_PNS13_IS18_E10value_typeET4_jRbjT5_S1E_jjP12ihipStream_tbEUljE_ZNSN_ISO_Lb0ESQ_SR_ST_SU_SY_EESZ_S10_S11_S12_S16_S17_S18_S1B_S1C_jS1D_jS1E_S1E_jjS1G_bEUljE0_EEESZ_S10_S11_S18_S1C_S1E_T6_T7_T9_mT8_S1G_bDpT10_ENKUlT_T0_E_clISt17integral_constantIbLb0EES1U_EEDaS1P_S1Q_EUlS1P_E_NS1_11comp_targetILNS1_3genE10ELNS1_11target_archE1200ELNS1_3gpuE4ELNS1_3repE0EEENS1_30default_config_static_selectorELNS0_4arch9wavefront6targetE0EEEvS12_,comdat
.Lfunc_end1162:
	.size	_ZN7rocprim17ROCPRIM_400000_NS6detail17trampoline_kernelINS0_13select_configILj256ELj13ELNS0_17block_load_methodE3ELS4_3ELS4_3ELNS0_20block_scan_algorithmE0ELj4294967295EEENS1_25partition_config_selectorILNS1_17partition_subalgoE4EjNS0_10empty_typeEbEEZZNS1_14partition_implILS8_4ELb0ES6_15HIP_vector_typeIjLj2EENS0_17counting_iteratorIjlEEPS9_SG_NS0_5tupleIJPjSI_NS0_16reverse_iteratorISI_EEEEENSH_IJSG_SG_SG_EEES9_SI_JZNS1_25segmented_radix_sort_implINS0_14default_configELb0EPKdPdPKlPlN2at6native12_GLOBAL__N_18offset_tEEE10hipError_tPvRmT1_PNSt15iterator_traitsIS12_E10value_typeET2_T3_PNS13_IS18_E10value_typeET4_jRbjT5_S1E_jjP12ihipStream_tbEUljE_ZNSN_ISO_Lb0ESQ_SR_ST_SU_SY_EESZ_S10_S11_S12_S16_S17_S18_S1B_S1C_jS1D_jS1E_S1E_jjS1G_bEUljE0_EEESZ_S10_S11_S18_S1C_S1E_T6_T7_T9_mT8_S1G_bDpT10_ENKUlT_T0_E_clISt17integral_constantIbLb0EES1U_EEDaS1P_S1Q_EUlS1P_E_NS1_11comp_targetILNS1_3genE10ELNS1_11target_archE1200ELNS1_3gpuE4ELNS1_3repE0EEENS1_30default_config_static_selectorELNS0_4arch9wavefront6targetE0EEEvS12_, .Lfunc_end1162-_ZN7rocprim17ROCPRIM_400000_NS6detail17trampoline_kernelINS0_13select_configILj256ELj13ELNS0_17block_load_methodE3ELS4_3ELS4_3ELNS0_20block_scan_algorithmE0ELj4294967295EEENS1_25partition_config_selectorILNS1_17partition_subalgoE4EjNS0_10empty_typeEbEEZZNS1_14partition_implILS8_4ELb0ES6_15HIP_vector_typeIjLj2EENS0_17counting_iteratorIjlEEPS9_SG_NS0_5tupleIJPjSI_NS0_16reverse_iteratorISI_EEEEENSH_IJSG_SG_SG_EEES9_SI_JZNS1_25segmented_radix_sort_implINS0_14default_configELb0EPKdPdPKlPlN2at6native12_GLOBAL__N_18offset_tEEE10hipError_tPvRmT1_PNSt15iterator_traitsIS12_E10value_typeET2_T3_PNS13_IS18_E10value_typeET4_jRbjT5_S1E_jjP12ihipStream_tbEUljE_ZNSN_ISO_Lb0ESQ_SR_ST_SU_SY_EESZ_S10_S11_S12_S16_S17_S18_S1B_S1C_jS1D_jS1E_S1E_jjS1G_bEUljE0_EEESZ_S10_S11_S18_S1C_S1E_T6_T7_T9_mT8_S1G_bDpT10_ENKUlT_T0_E_clISt17integral_constantIbLb0EES1U_EEDaS1P_S1Q_EUlS1P_E_NS1_11comp_targetILNS1_3genE10ELNS1_11target_archE1200ELNS1_3gpuE4ELNS1_3repE0EEENS1_30default_config_static_selectorELNS0_4arch9wavefront6targetE0EEEvS12_
                                        ; -- End function
	.section	.AMDGPU.csdata,"",@progbits
; Kernel info:
; codeLenInByte = 0
; NumSgprs: 0
; NumVgprs: 0
; ScratchSize: 0
; MemoryBound: 0
; FloatMode: 240
; IeeeMode: 1
; LDSByteSize: 0 bytes/workgroup (compile time only)
; SGPRBlocks: 0
; VGPRBlocks: 0
; NumSGPRsForWavesPerEU: 1
; NumVGPRsForWavesPerEU: 1
; Occupancy: 16
; WaveLimiterHint : 0
; COMPUTE_PGM_RSRC2:SCRATCH_EN: 0
; COMPUTE_PGM_RSRC2:USER_SGPR: 15
; COMPUTE_PGM_RSRC2:TRAP_HANDLER: 0
; COMPUTE_PGM_RSRC2:TGID_X_EN: 1
; COMPUTE_PGM_RSRC2:TGID_Y_EN: 0
; COMPUTE_PGM_RSRC2:TGID_Z_EN: 0
; COMPUTE_PGM_RSRC2:TIDIG_COMP_CNT: 0
	.section	.text._ZN7rocprim17ROCPRIM_400000_NS6detail17trampoline_kernelINS0_13select_configILj256ELj13ELNS0_17block_load_methodE3ELS4_3ELS4_3ELNS0_20block_scan_algorithmE0ELj4294967295EEENS1_25partition_config_selectorILNS1_17partition_subalgoE4EjNS0_10empty_typeEbEEZZNS1_14partition_implILS8_4ELb0ES6_15HIP_vector_typeIjLj2EENS0_17counting_iteratorIjlEEPS9_SG_NS0_5tupleIJPjSI_NS0_16reverse_iteratorISI_EEEEENSH_IJSG_SG_SG_EEES9_SI_JZNS1_25segmented_radix_sort_implINS0_14default_configELb0EPKdPdPKlPlN2at6native12_GLOBAL__N_18offset_tEEE10hipError_tPvRmT1_PNSt15iterator_traitsIS12_E10value_typeET2_T3_PNS13_IS18_E10value_typeET4_jRbjT5_S1E_jjP12ihipStream_tbEUljE_ZNSN_ISO_Lb0ESQ_SR_ST_SU_SY_EESZ_S10_S11_S12_S16_S17_S18_S1B_S1C_jS1D_jS1E_S1E_jjS1G_bEUljE0_EEESZ_S10_S11_S18_S1C_S1E_T6_T7_T9_mT8_S1G_bDpT10_ENKUlT_T0_E_clISt17integral_constantIbLb0EES1U_EEDaS1P_S1Q_EUlS1P_E_NS1_11comp_targetILNS1_3genE9ELNS1_11target_archE1100ELNS1_3gpuE3ELNS1_3repE0EEENS1_30default_config_static_selectorELNS0_4arch9wavefront6targetE0EEEvS12_,"axG",@progbits,_ZN7rocprim17ROCPRIM_400000_NS6detail17trampoline_kernelINS0_13select_configILj256ELj13ELNS0_17block_load_methodE3ELS4_3ELS4_3ELNS0_20block_scan_algorithmE0ELj4294967295EEENS1_25partition_config_selectorILNS1_17partition_subalgoE4EjNS0_10empty_typeEbEEZZNS1_14partition_implILS8_4ELb0ES6_15HIP_vector_typeIjLj2EENS0_17counting_iteratorIjlEEPS9_SG_NS0_5tupleIJPjSI_NS0_16reverse_iteratorISI_EEEEENSH_IJSG_SG_SG_EEES9_SI_JZNS1_25segmented_radix_sort_implINS0_14default_configELb0EPKdPdPKlPlN2at6native12_GLOBAL__N_18offset_tEEE10hipError_tPvRmT1_PNSt15iterator_traitsIS12_E10value_typeET2_T3_PNS13_IS18_E10value_typeET4_jRbjT5_S1E_jjP12ihipStream_tbEUljE_ZNSN_ISO_Lb0ESQ_SR_ST_SU_SY_EESZ_S10_S11_S12_S16_S17_S18_S1B_S1C_jS1D_jS1E_S1E_jjS1G_bEUljE0_EEESZ_S10_S11_S18_S1C_S1E_T6_T7_T9_mT8_S1G_bDpT10_ENKUlT_T0_E_clISt17integral_constantIbLb0EES1U_EEDaS1P_S1Q_EUlS1P_E_NS1_11comp_targetILNS1_3genE9ELNS1_11target_archE1100ELNS1_3gpuE3ELNS1_3repE0EEENS1_30default_config_static_selectorELNS0_4arch9wavefront6targetE0EEEvS12_,comdat
	.globl	_ZN7rocprim17ROCPRIM_400000_NS6detail17trampoline_kernelINS0_13select_configILj256ELj13ELNS0_17block_load_methodE3ELS4_3ELS4_3ELNS0_20block_scan_algorithmE0ELj4294967295EEENS1_25partition_config_selectorILNS1_17partition_subalgoE4EjNS0_10empty_typeEbEEZZNS1_14partition_implILS8_4ELb0ES6_15HIP_vector_typeIjLj2EENS0_17counting_iteratorIjlEEPS9_SG_NS0_5tupleIJPjSI_NS0_16reverse_iteratorISI_EEEEENSH_IJSG_SG_SG_EEES9_SI_JZNS1_25segmented_radix_sort_implINS0_14default_configELb0EPKdPdPKlPlN2at6native12_GLOBAL__N_18offset_tEEE10hipError_tPvRmT1_PNSt15iterator_traitsIS12_E10value_typeET2_T3_PNS13_IS18_E10value_typeET4_jRbjT5_S1E_jjP12ihipStream_tbEUljE_ZNSN_ISO_Lb0ESQ_SR_ST_SU_SY_EESZ_S10_S11_S12_S16_S17_S18_S1B_S1C_jS1D_jS1E_S1E_jjS1G_bEUljE0_EEESZ_S10_S11_S18_S1C_S1E_T6_T7_T9_mT8_S1G_bDpT10_ENKUlT_T0_E_clISt17integral_constantIbLb0EES1U_EEDaS1P_S1Q_EUlS1P_E_NS1_11comp_targetILNS1_3genE9ELNS1_11target_archE1100ELNS1_3gpuE3ELNS1_3repE0EEENS1_30default_config_static_selectorELNS0_4arch9wavefront6targetE0EEEvS12_ ; -- Begin function _ZN7rocprim17ROCPRIM_400000_NS6detail17trampoline_kernelINS0_13select_configILj256ELj13ELNS0_17block_load_methodE3ELS4_3ELS4_3ELNS0_20block_scan_algorithmE0ELj4294967295EEENS1_25partition_config_selectorILNS1_17partition_subalgoE4EjNS0_10empty_typeEbEEZZNS1_14partition_implILS8_4ELb0ES6_15HIP_vector_typeIjLj2EENS0_17counting_iteratorIjlEEPS9_SG_NS0_5tupleIJPjSI_NS0_16reverse_iteratorISI_EEEEENSH_IJSG_SG_SG_EEES9_SI_JZNS1_25segmented_radix_sort_implINS0_14default_configELb0EPKdPdPKlPlN2at6native12_GLOBAL__N_18offset_tEEE10hipError_tPvRmT1_PNSt15iterator_traitsIS12_E10value_typeET2_T3_PNS13_IS18_E10value_typeET4_jRbjT5_S1E_jjP12ihipStream_tbEUljE_ZNSN_ISO_Lb0ESQ_SR_ST_SU_SY_EESZ_S10_S11_S12_S16_S17_S18_S1B_S1C_jS1D_jS1E_S1E_jjS1G_bEUljE0_EEESZ_S10_S11_S18_S1C_S1E_T6_T7_T9_mT8_S1G_bDpT10_ENKUlT_T0_E_clISt17integral_constantIbLb0EES1U_EEDaS1P_S1Q_EUlS1P_E_NS1_11comp_targetILNS1_3genE9ELNS1_11target_archE1100ELNS1_3gpuE3ELNS1_3repE0EEENS1_30default_config_static_selectorELNS0_4arch9wavefront6targetE0EEEvS12_
	.p2align	8
	.type	_ZN7rocprim17ROCPRIM_400000_NS6detail17trampoline_kernelINS0_13select_configILj256ELj13ELNS0_17block_load_methodE3ELS4_3ELS4_3ELNS0_20block_scan_algorithmE0ELj4294967295EEENS1_25partition_config_selectorILNS1_17partition_subalgoE4EjNS0_10empty_typeEbEEZZNS1_14partition_implILS8_4ELb0ES6_15HIP_vector_typeIjLj2EENS0_17counting_iteratorIjlEEPS9_SG_NS0_5tupleIJPjSI_NS0_16reverse_iteratorISI_EEEEENSH_IJSG_SG_SG_EEES9_SI_JZNS1_25segmented_radix_sort_implINS0_14default_configELb0EPKdPdPKlPlN2at6native12_GLOBAL__N_18offset_tEEE10hipError_tPvRmT1_PNSt15iterator_traitsIS12_E10value_typeET2_T3_PNS13_IS18_E10value_typeET4_jRbjT5_S1E_jjP12ihipStream_tbEUljE_ZNSN_ISO_Lb0ESQ_SR_ST_SU_SY_EESZ_S10_S11_S12_S16_S17_S18_S1B_S1C_jS1D_jS1E_S1E_jjS1G_bEUljE0_EEESZ_S10_S11_S18_S1C_S1E_T6_T7_T9_mT8_S1G_bDpT10_ENKUlT_T0_E_clISt17integral_constantIbLb0EES1U_EEDaS1P_S1Q_EUlS1P_E_NS1_11comp_targetILNS1_3genE9ELNS1_11target_archE1100ELNS1_3gpuE3ELNS1_3repE0EEENS1_30default_config_static_selectorELNS0_4arch9wavefront6targetE0EEEvS12_,@function
_ZN7rocprim17ROCPRIM_400000_NS6detail17trampoline_kernelINS0_13select_configILj256ELj13ELNS0_17block_load_methodE3ELS4_3ELS4_3ELNS0_20block_scan_algorithmE0ELj4294967295EEENS1_25partition_config_selectorILNS1_17partition_subalgoE4EjNS0_10empty_typeEbEEZZNS1_14partition_implILS8_4ELb0ES6_15HIP_vector_typeIjLj2EENS0_17counting_iteratorIjlEEPS9_SG_NS0_5tupleIJPjSI_NS0_16reverse_iteratorISI_EEEEENSH_IJSG_SG_SG_EEES9_SI_JZNS1_25segmented_radix_sort_implINS0_14default_configELb0EPKdPdPKlPlN2at6native12_GLOBAL__N_18offset_tEEE10hipError_tPvRmT1_PNSt15iterator_traitsIS12_E10value_typeET2_T3_PNS13_IS18_E10value_typeET4_jRbjT5_S1E_jjP12ihipStream_tbEUljE_ZNSN_ISO_Lb0ESQ_SR_ST_SU_SY_EESZ_S10_S11_S12_S16_S17_S18_S1B_S1C_jS1D_jS1E_S1E_jjS1G_bEUljE0_EEESZ_S10_S11_S18_S1C_S1E_T6_T7_T9_mT8_S1G_bDpT10_ENKUlT_T0_E_clISt17integral_constantIbLb0EES1U_EEDaS1P_S1Q_EUlS1P_E_NS1_11comp_targetILNS1_3genE9ELNS1_11target_archE1100ELNS1_3gpuE3ELNS1_3repE0EEENS1_30default_config_static_selectorELNS0_4arch9wavefront6targetE0EEEvS12_: ; @_ZN7rocprim17ROCPRIM_400000_NS6detail17trampoline_kernelINS0_13select_configILj256ELj13ELNS0_17block_load_methodE3ELS4_3ELS4_3ELNS0_20block_scan_algorithmE0ELj4294967295EEENS1_25partition_config_selectorILNS1_17partition_subalgoE4EjNS0_10empty_typeEbEEZZNS1_14partition_implILS8_4ELb0ES6_15HIP_vector_typeIjLj2EENS0_17counting_iteratorIjlEEPS9_SG_NS0_5tupleIJPjSI_NS0_16reverse_iteratorISI_EEEEENSH_IJSG_SG_SG_EEES9_SI_JZNS1_25segmented_radix_sort_implINS0_14default_configELb0EPKdPdPKlPlN2at6native12_GLOBAL__N_18offset_tEEE10hipError_tPvRmT1_PNSt15iterator_traitsIS12_E10value_typeET2_T3_PNS13_IS18_E10value_typeET4_jRbjT5_S1E_jjP12ihipStream_tbEUljE_ZNSN_ISO_Lb0ESQ_SR_ST_SU_SY_EESZ_S10_S11_S12_S16_S17_S18_S1B_S1C_jS1D_jS1E_S1E_jjS1G_bEUljE0_EEESZ_S10_S11_S18_S1C_S1E_T6_T7_T9_mT8_S1G_bDpT10_ENKUlT_T0_E_clISt17integral_constantIbLb0EES1U_EEDaS1P_S1Q_EUlS1P_E_NS1_11comp_targetILNS1_3genE9ELNS1_11target_archE1100ELNS1_3gpuE3ELNS1_3repE0EEENS1_30default_config_static_selectorELNS0_4arch9wavefront6targetE0EEEvS12_
; %bb.0:
	s_clause 0x6
	s_load_b32 s5, s[0:1], 0x80
	s_load_b64 s[34:35], s[0:1], 0x10
	s_load_b64 s[2:3], s[0:1], 0x68
	s_load_b32 s8, s[0:1], 0x8
	s_load_b128 s[24:27], s[0:1], 0x58
	s_load_b64 s[40:41], s[0:1], 0xa8
	s_load_b256 s[16:23], s[0:1], 0x88
	s_mul_i32 s33, s15, 0xd00
	s_waitcnt lgkmcnt(0)
	s_mul_i32 s4, s5, 0xd00
	s_add_i32 s5, s5, -1
	s_add_u32 s6, s34, s4
	s_addc_u32 s7, s35, 0
	s_load_b128 s[28:31], s[26:27], 0x0
	s_cmp_eq_u32 s15, s5
	v_cmp_lt_u64_e64 s3, s[6:7], s[2:3]
	s_cselect_b32 s14, -1, 0
	s_cmp_lg_u32 s15, s5
	s_cselect_b32 s5, -1, 0
	s_add_i32 s6, s8, s33
	s_delay_alu instid0(VALU_DEP_1) | instskip(SKIP_4) | instid1(VALU_DEP_1)
	s_or_b32 s3, s5, s3
	s_add_i32 s6, s6, s34
	s_and_b32 vcc_lo, exec_lo, s3
	v_add_nc_u32_e32 v1, s6, v0
	s_mov_b32 s5, -1
	v_add_nc_u32_e32 v2, 0x100, v1
	v_add_nc_u32_e32 v3, 0x200, v1
	;; [unrolled: 1-line block ×12, first 2 shown]
	s_cbranch_vccz .LBB1163_2
; %bb.1:
	v_lshlrev_b32_e32 v14, 2, v0
	s_mov_b32 s5, 0
	ds_store_2addr_stride64_b32 v14, v1, v2 offset1:4
	ds_store_2addr_stride64_b32 v14, v3, v4 offset0:8 offset1:12
	ds_store_2addr_stride64_b32 v14, v5, v6 offset0:16 offset1:20
	;; [unrolled: 1-line block ×5, first 2 shown]
	ds_store_b32 v14, v13 offset:12288
	s_waitcnt lgkmcnt(0)
	s_barrier
.LBB1163_2:
	s_and_not1_b32 vcc_lo, exec_lo, s5
	s_add_i32 s4, s4, s34
	s_cbranch_vccnz .LBB1163_4
; %bb.3:
	v_lshlrev_b32_e32 v14, 2, v0
	ds_store_2addr_stride64_b32 v14, v1, v2 offset1:4
	ds_store_2addr_stride64_b32 v14, v3, v4 offset0:8 offset1:12
	ds_store_2addr_stride64_b32 v14, v5, v6 offset0:16 offset1:20
	;; [unrolled: 1-line block ×5, first 2 shown]
	ds_store_b32 v14, v13 offset:12288
	s_waitcnt lgkmcnt(0)
	s_barrier
.LBB1163_4:
	v_mul_u32_u24_e32 v28, 13, v0
	s_clause 0x1
	s_load_b128 s[36:39], s[0:1], 0x28
	s_load_b64 s[26:27], s[0:1], 0x38
	s_waitcnt lgkmcnt(0)
	buffer_gl0_inv
	v_cndmask_b32_e64 v26, 0, 1, s3
	s_sub_i32 s44, s2, s4
	v_lshlrev_b32_e32 v1, 2, v28
	s_and_not1_b32 vcc_lo, exec_lo, s3
	ds_load_2addr_b32 v[16:17], v1 offset1:1
	ds_load_2addr_b32 v[14:15], v1 offset0:2 offset1:3
	ds_load_2addr_b32 v[12:13], v1 offset0:4 offset1:5
	;; [unrolled: 1-line block ×5, first 2 shown]
	ds_load_b32 v27, v1 offset:48
	s_waitcnt lgkmcnt(0)
	s_barrier
	buffer_gl0_inv
	s_cbranch_vccnz .LBB1163_32
; %bb.5:
	v_add_nc_u32_e32 v1, s17, v16
	v_add_nc_u32_e32 v2, s19, v16
	s_mov_b32 s46, 0
	s_mov_b32 s45, 0
	s_mov_b32 s3, exec_lo
	v_mul_lo_u32 v1, v1, s16
	v_mul_lo_u32 v2, v2, s18
	s_delay_alu instid0(VALU_DEP_1) | instskip(NEXT) | instid1(VALU_DEP_1)
	v_sub_nc_u32_e32 v1, v1, v2
	v_cmp_lt_u32_e32 vcc_lo, s20, v1
	v_cmpx_ge_u32_e64 s20, v1
; %bb.6:
	v_add_nc_u32_e32 v1, s22, v16
	v_add_nc_u32_e32 v2, s40, v16
	s_delay_alu instid0(VALU_DEP_2) | instskip(NEXT) | instid1(VALU_DEP_2)
	v_mul_lo_u32 v1, v1, s21
	v_mul_lo_u32 v2, v2, s23
	s_delay_alu instid0(VALU_DEP_1) | instskip(NEXT) | instid1(VALU_DEP_1)
	v_sub_nc_u32_e32 v1, v1, v2
	v_cmp_lt_u32_e64 s2, s41, v1
	s_delay_alu instid0(VALU_DEP_1)
	s_and_b32 s45, s2, exec_lo
; %bb.7:
	s_or_b32 exec_lo, exec_lo, s3
	v_add_nc_u32_e32 v1, s17, v17
	v_add_nc_u32_e32 v2, s19, v17
	s_mov_b32 s4, exec_lo
	s_delay_alu instid0(VALU_DEP_2) | instskip(NEXT) | instid1(VALU_DEP_2)
	v_mul_lo_u32 v1, v1, s16
	v_mul_lo_u32 v2, v2, s18
	s_delay_alu instid0(VALU_DEP_1) | instskip(NEXT) | instid1(VALU_DEP_1)
	v_sub_nc_u32_e32 v1, v1, v2
	v_cmp_lt_u32_e64 s2, s20, v1
	v_cmpx_ge_u32_e64 s20, v1
; %bb.8:
	v_add_nc_u32_e32 v1, s22, v17
	v_add_nc_u32_e32 v2, s40, v17
	s_delay_alu instid0(VALU_DEP_2) | instskip(NEXT) | instid1(VALU_DEP_2)
	v_mul_lo_u32 v1, v1, s21
	v_mul_lo_u32 v2, v2, s23
	s_delay_alu instid0(VALU_DEP_1) | instskip(NEXT) | instid1(VALU_DEP_1)
	v_sub_nc_u32_e32 v1, v1, v2
	v_cmp_lt_u32_e64 s3, s41, v1
	s_delay_alu instid0(VALU_DEP_1)
	s_and_b32 s46, s3, exec_lo
; %bb.9:
	s_or_b32 exec_lo, exec_lo, s4
	v_add_nc_u32_e32 v1, s17, v14
	v_add_nc_u32_e32 v2, s19, v14
	s_mov_b32 s48, 0
	s_mov_b32 s47, 0
	s_mov_b32 s5, exec_lo
	v_mul_lo_u32 v1, v1, s16
	v_mul_lo_u32 v2, v2, s18
	s_delay_alu instid0(VALU_DEP_1) | instskip(NEXT) | instid1(VALU_DEP_1)
	v_sub_nc_u32_e32 v1, v1, v2
	v_cmp_lt_u32_e64 s3, s20, v1
	v_cmpx_ge_u32_e64 s20, v1
; %bb.10:
	v_add_nc_u32_e32 v1, s22, v14
	v_add_nc_u32_e32 v2, s40, v14
	s_delay_alu instid0(VALU_DEP_2) | instskip(NEXT) | instid1(VALU_DEP_2)
	v_mul_lo_u32 v1, v1, s21
	v_mul_lo_u32 v2, v2, s23
	s_delay_alu instid0(VALU_DEP_1) | instskip(NEXT) | instid1(VALU_DEP_1)
	v_sub_nc_u32_e32 v1, v1, v2
	v_cmp_lt_u32_e64 s4, s41, v1
	s_delay_alu instid0(VALU_DEP_1)
	s_and_b32 s47, s4, exec_lo
; %bb.11:
	s_or_b32 exec_lo, exec_lo, s5
	v_add_nc_u32_e32 v1, s17, v15
	v_add_nc_u32_e32 v2, s19, v15
	s_mov_b32 s6, exec_lo
	s_delay_alu instid0(VALU_DEP_2) | instskip(NEXT) | instid1(VALU_DEP_2)
	v_mul_lo_u32 v1, v1, s16
	v_mul_lo_u32 v2, v2, s18
	s_delay_alu instid0(VALU_DEP_1) | instskip(NEXT) | instid1(VALU_DEP_1)
	v_sub_nc_u32_e32 v1, v1, v2
	v_cmp_lt_u32_e64 s4, s20, v1
	v_cmpx_ge_u32_e64 s20, v1
; %bb.12:
	v_add_nc_u32_e32 v1, s22, v15
	v_add_nc_u32_e32 v2, s40, v15
	s_delay_alu instid0(VALU_DEP_2) | instskip(NEXT) | instid1(VALU_DEP_2)
	v_mul_lo_u32 v1, v1, s21
	v_mul_lo_u32 v2, v2, s23
	s_delay_alu instid0(VALU_DEP_1) | instskip(NEXT) | instid1(VALU_DEP_1)
	v_sub_nc_u32_e32 v1, v1, v2
	v_cmp_lt_u32_e64 s5, s41, v1
	s_delay_alu instid0(VALU_DEP_1)
	s_and_b32 s48, s5, exec_lo
; %bb.13:
	s_or_b32 exec_lo, exec_lo, s6
	v_add_nc_u32_e32 v1, s17, v12
	v_add_nc_u32_e32 v2, s19, v12
	s_mov_b32 s50, 0
	s_mov_b32 s49, 0
	s_mov_b32 s7, exec_lo
	v_mul_lo_u32 v1, v1, s16
	v_mul_lo_u32 v2, v2, s18
	s_delay_alu instid0(VALU_DEP_1) | instskip(NEXT) | instid1(VALU_DEP_1)
	v_sub_nc_u32_e32 v1, v1, v2
	v_cmp_lt_u32_e64 s5, s20, v1
	;; [unrolled: 47-line block ×5, first 2 shown]
	v_cmpx_ge_u32_e64 s20, v1
; %bb.26:
	v_add_nc_u32_e32 v1, s22, v6
	v_add_nc_u32_e32 v2, s40, v6
	s_delay_alu instid0(VALU_DEP_2) | instskip(NEXT) | instid1(VALU_DEP_2)
	v_mul_lo_u32 v1, v1, s21
	v_mul_lo_u32 v2, v2, s23
	s_delay_alu instid0(VALU_DEP_1) | instskip(NEXT) | instid1(VALU_DEP_1)
	v_sub_nc_u32_e32 v1, v1, v2
	v_cmp_lt_u32_e64 s12, s41, v1
	s_delay_alu instid0(VALU_DEP_1)
	s_and_b32 s57, s12, exec_lo
; %bb.27:
	s_or_b32 exec_lo, exec_lo, s13
	v_add_nc_u32_e32 v1, s17, v7
	v_add_nc_u32_e32 v2, s19, v7
	s_mov_b32 s42, exec_lo
	s_delay_alu instid0(VALU_DEP_2) | instskip(NEXT) | instid1(VALU_DEP_2)
	v_mul_lo_u32 v1, v1, s16
	v_mul_lo_u32 v2, v2, s18
	s_delay_alu instid0(VALU_DEP_1) | instskip(NEXT) | instid1(VALU_DEP_1)
	v_sub_nc_u32_e32 v1, v1, v2
	v_cmp_lt_u32_e64 s12, s20, v1
	v_cmpx_ge_u32_e64 s20, v1
; %bb.28:
	v_add_nc_u32_e32 v1, s22, v7
	v_add_nc_u32_e32 v2, s40, v7
	s_delay_alu instid0(VALU_DEP_2) | instskip(NEXT) | instid1(VALU_DEP_2)
	v_mul_lo_u32 v1, v1, s21
	v_mul_lo_u32 v2, v2, s23
	s_delay_alu instid0(VALU_DEP_1) | instskip(NEXT) | instid1(VALU_DEP_1)
	v_sub_nc_u32_e32 v1, v1, v2
	v_cmp_lt_u32_e64 s13, s41, v1
	s_delay_alu instid0(VALU_DEP_1)
	s_and_b32 s56, s13, exec_lo
; %bb.29:
	s_or_b32 exec_lo, exec_lo, s42
	v_add_nc_u32_e32 v1, s17, v27
	v_add_nc_u32_e32 v2, s19, v27
	s_mov_b32 s42, -1
	s_mov_b32 s53, 0
	s_mov_b32 s43, 0
	v_mul_lo_u32 v1, v1, s16
	v_mul_lo_u32 v2, v2, s18
	s_mov_b32 s58, exec_lo
	s_delay_alu instid0(VALU_DEP_1) | instskip(NEXT) | instid1(VALU_DEP_1)
	v_sub_nc_u32_e32 v1, v1, v2
	v_cmpx_ge_u32_e64 s20, v1
; %bb.30:
	v_add_nc_u32_e32 v1, s22, v27
	v_add_nc_u32_e32 v2, s40, v27
	s_xor_b32 s42, exec_lo, -1
	s_delay_alu instid0(VALU_DEP_2) | instskip(NEXT) | instid1(VALU_DEP_2)
	v_mul_lo_u32 v1, v1, s21
	v_mul_lo_u32 v2, v2, s23
	s_delay_alu instid0(VALU_DEP_1) | instskip(NEXT) | instid1(VALU_DEP_1)
	v_sub_nc_u32_e32 v1, v1, v2
	v_cmp_lt_u32_e64 s13, s41, v1
	s_delay_alu instid0(VALU_DEP_1)
	s_and_b32 s43, s13, exec_lo
; %bb.31:
	s_or_b32 exec_lo, exec_lo, s58
	v_cndmask_b32_e64 v48, 0, 1, s57
	v_cndmask_b32_e64 v51, 0, 1, s12
	;; [unrolled: 1-line block ×22, first 2 shown]
	v_cndmask_b32_e64 v29, 0, 1, vcc_lo
	v_cndmask_b32_e64 v52, 0, 1, s56
	s_load_b64 s[4:5], s[0:1], 0x78
	s_and_b32 vcc_lo, exec_lo, s53
	s_add_i32 s3, s44, 0xd00
	s_cbranch_vccnz .LBB1163_33
	s_branch .LBB1163_86
.LBB1163_32:
                                        ; implicit-def: $sgpr42
                                        ; implicit-def: $sgpr43
                                        ; implicit-def: $vgpr52
                                        ; implicit-def: $vgpr48
                                        ; implicit-def: $vgpr47
                                        ; implicit-def: $vgpr45
                                        ; implicit-def: $vgpr43
                                        ; implicit-def: $vgpr40
                                        ; implicit-def: $vgpr39
                                        ; implicit-def: $vgpr37
                                        ; implicit-def: $vgpr35
                                        ; implicit-def: $vgpr29
                                        ; implicit-def: $vgpr33
                                        ; implicit-def: $vgpr31
                                        ; implicit-def: $vgpr32
                                        ; implicit-def: $vgpr38
                                        ; implicit-def: $vgpr41
                                        ; implicit-def: $vgpr42
                                        ; implicit-def: $vgpr44
                                        ; implicit-def: $vgpr46
                                        ; implicit-def: $vgpr49
                                        ; implicit-def: $vgpr50
                                        ; implicit-def: $vgpr51
                                        ; implicit-def: $vgpr30
                                        ; implicit-def: $vgpr34
                                        ; implicit-def: $vgpr36
	s_load_b64 s[4:5], s[0:1], 0x78
	s_add_i32 s3, s44, 0xd00
	s_cbranch_execz .LBB1163_86
.LBB1163_33:
	v_dual_mov_b32 v30, 0 :: v_dual_mov_b32 v29, 0
	s_mov_b32 s2, 0
	s_mov_b32 s1, exec_lo
	v_cmpx_gt_u32_e64 s3, v28
	s_cbranch_execz .LBB1163_37
; %bb.34:
	v_add_nc_u32_e32 v1, s17, v16
	v_add_nc_u32_e32 v2, s19, v16
	s_mov_b32 s6, exec_lo
	s_delay_alu instid0(VALU_DEP_2) | instskip(NEXT) | instid1(VALU_DEP_2)
	v_mul_lo_u32 v1, v1, s16
	v_mul_lo_u32 v2, v2, s18
	s_delay_alu instid0(VALU_DEP_1) | instskip(NEXT) | instid1(VALU_DEP_1)
	v_sub_nc_u32_e32 v1, v1, v2
	v_cmp_lt_u32_e32 vcc_lo, s20, v1
	v_cmpx_ge_u32_e64 s20, v1
; %bb.35:
	v_add_nc_u32_e32 v1, s22, v16
	v_add_nc_u32_e32 v2, s40, v16
	s_delay_alu instid0(VALU_DEP_2) | instskip(NEXT) | instid1(VALU_DEP_2)
	v_mul_lo_u32 v1, v1, s21
	v_mul_lo_u32 v2, v2, s23
	s_delay_alu instid0(VALU_DEP_1) | instskip(NEXT) | instid1(VALU_DEP_1)
	v_sub_nc_u32_e32 v1, v1, v2
	v_cmp_lt_u32_e64 s0, s41, v1
	s_delay_alu instid0(VALU_DEP_1)
	s_and_b32 s2, s0, exec_lo
; %bb.36:
	s_or_b32 exec_lo, exec_lo, s6
	v_cndmask_b32_e64 v29, 0, 1, vcc_lo
	v_cndmask_b32_e64 v30, 0, 1, s2
.LBB1163_37:
	s_or_b32 exec_lo, exec_lo, s1
	v_dual_mov_b32 v34, 0 :: v_dual_add_nc_u32 v1, 1, v28
	v_mov_b32_e32 v33, 0
	s_mov_b32 s2, 0
	s_mov_b32 s1, exec_lo
	s_delay_alu instid0(VALU_DEP_2)
	v_cmpx_gt_u32_e64 s3, v1
	s_cbranch_execz .LBB1163_41
; %bb.38:
	v_add_nc_u32_e32 v1, s17, v17
	v_add_nc_u32_e32 v2, s19, v17
	s_mov_b32 s6, exec_lo
	s_delay_alu instid0(VALU_DEP_2) | instskip(NEXT) | instid1(VALU_DEP_2)
	v_mul_lo_u32 v1, v1, s16
	v_mul_lo_u32 v2, v2, s18
	s_delay_alu instid0(VALU_DEP_1) | instskip(NEXT) | instid1(VALU_DEP_1)
	v_sub_nc_u32_e32 v1, v1, v2
	v_cmp_lt_u32_e32 vcc_lo, s20, v1
	v_cmpx_ge_u32_e64 s20, v1
; %bb.39:
	v_add_nc_u32_e32 v1, s22, v17
	v_add_nc_u32_e32 v2, s40, v17
	s_delay_alu instid0(VALU_DEP_2) | instskip(NEXT) | instid1(VALU_DEP_2)
	v_mul_lo_u32 v1, v1, s21
	v_mul_lo_u32 v2, v2, s23
	s_delay_alu instid0(VALU_DEP_1) | instskip(NEXT) | instid1(VALU_DEP_1)
	v_sub_nc_u32_e32 v1, v1, v2
	v_cmp_lt_u32_e64 s0, s41, v1
	s_delay_alu instid0(VALU_DEP_1)
	s_and_b32 s2, s0, exec_lo
; %bb.40:
	s_or_b32 exec_lo, exec_lo, s6
	v_cndmask_b32_e64 v33, 0, 1, vcc_lo
	v_cndmask_b32_e64 v34, 0, 1, s2
.LBB1163_41:
	s_or_b32 exec_lo, exec_lo, s1
	v_dual_mov_b32 v36, 0 :: v_dual_add_nc_u32 v1, 2, v28
	v_mov_b32_e32 v31, 0
	s_mov_b32 s2, 0
	s_mov_b32 s1, exec_lo
	s_delay_alu instid0(VALU_DEP_2)
	;; [unrolled: 35-line block ×4, first 2 shown]
	v_cmpx_gt_u32_e64 s3, v1
	s_cbranch_execz .LBB1163_53
; %bb.50:
	v_add_nc_u32_e32 v1, s17, v12
	v_add_nc_u32_e32 v2, s19, v12
	s_mov_b32 s6, exec_lo
	s_delay_alu instid0(VALU_DEP_2) | instskip(NEXT) | instid1(VALU_DEP_2)
	v_mul_lo_u32 v1, v1, s16
	v_mul_lo_u32 v2, v2, s18
	s_delay_alu instid0(VALU_DEP_1) | instskip(NEXT) | instid1(VALU_DEP_1)
	v_sub_nc_u32_e32 v1, v1, v2
	v_cmp_lt_u32_e32 vcc_lo, s20, v1
	v_cmpx_ge_u32_e64 s20, v1
; %bb.51:
	v_add_nc_u32_e32 v1, s22, v12
	v_add_nc_u32_e32 v2, s40, v12
	s_delay_alu instid0(VALU_DEP_2) | instskip(NEXT) | instid1(VALU_DEP_2)
	v_mul_lo_u32 v1, v1, s21
	v_mul_lo_u32 v2, v2, s23
	s_delay_alu instid0(VALU_DEP_1) | instskip(NEXT) | instid1(VALU_DEP_1)
	v_sub_nc_u32_e32 v1, v1, v2
	v_cmp_lt_u32_e64 s0, s41, v1
	s_delay_alu instid0(VALU_DEP_1)
	s_and_b32 s2, s0, exec_lo
; %bb.52:
	s_or_b32 exec_lo, exec_lo, s6
	v_cndmask_b32_e64 v38, 0, 1, vcc_lo
	v_cndmask_b32_e64 v37, 0, 1, s2
.LBB1163_53:
	s_or_b32 exec_lo, exec_lo, s1
	v_add_nc_u32_e32 v1, 5, v28
	v_mov_b32_e32 v39, 0
	v_mov_b32_e32 v41, 0
	s_mov_b32 s2, 0
	s_mov_b32 s1, exec_lo
	v_cmpx_gt_u32_e64 s3, v1
	s_cbranch_execz .LBB1163_57
; %bb.54:
	v_add_nc_u32_e32 v1, s17, v13
	v_add_nc_u32_e32 v2, s19, v13
	s_mov_b32 s6, exec_lo
	s_delay_alu instid0(VALU_DEP_2) | instskip(NEXT) | instid1(VALU_DEP_2)
	v_mul_lo_u32 v1, v1, s16
	v_mul_lo_u32 v2, v2, s18
	s_delay_alu instid0(VALU_DEP_1) | instskip(NEXT) | instid1(VALU_DEP_1)
	v_sub_nc_u32_e32 v1, v1, v2
	v_cmp_lt_u32_e32 vcc_lo, s20, v1
	v_cmpx_ge_u32_e64 s20, v1
; %bb.55:
	v_add_nc_u32_e32 v1, s22, v13
	v_add_nc_u32_e32 v2, s40, v13
	s_delay_alu instid0(VALU_DEP_2) | instskip(NEXT) | instid1(VALU_DEP_2)
	v_mul_lo_u32 v1, v1, s21
	v_mul_lo_u32 v2, v2, s23
	s_delay_alu instid0(VALU_DEP_1) | instskip(NEXT) | instid1(VALU_DEP_1)
	v_sub_nc_u32_e32 v1, v1, v2
	v_cmp_lt_u32_e64 s0, s41, v1
	s_delay_alu instid0(VALU_DEP_1)
	s_and_b32 s2, s0, exec_lo
; %bb.56:
	s_or_b32 exec_lo, exec_lo, s6
	v_cndmask_b32_e64 v41, 0, 1, vcc_lo
	v_cndmask_b32_e64 v39, 0, 1, s2
.LBB1163_57:
	s_or_b32 exec_lo, exec_lo, s1
	v_dual_mov_b32 v40, 0 :: v_dual_add_nc_u32 v1, 6, v28
	v_mov_b32_e32 v42, 0
	s_mov_b32 s2, 0
	s_mov_b32 s1, exec_lo
	s_delay_alu instid0(VALU_DEP_2)
	v_cmpx_gt_u32_e64 s3, v1
	s_cbranch_execz .LBB1163_61
; %bb.58:
	v_add_nc_u32_e32 v1, s17, v10
	v_add_nc_u32_e32 v2, s19, v10
	s_mov_b32 s6, exec_lo
	s_delay_alu instid0(VALU_DEP_2) | instskip(NEXT) | instid1(VALU_DEP_2)
	v_mul_lo_u32 v1, v1, s16
	v_mul_lo_u32 v2, v2, s18
	s_delay_alu instid0(VALU_DEP_1) | instskip(NEXT) | instid1(VALU_DEP_1)
	v_sub_nc_u32_e32 v1, v1, v2
	v_cmp_lt_u32_e32 vcc_lo, s20, v1
	v_cmpx_ge_u32_e64 s20, v1
; %bb.59:
	v_add_nc_u32_e32 v1, s22, v10
	v_add_nc_u32_e32 v2, s40, v10
	s_delay_alu instid0(VALU_DEP_2) | instskip(NEXT) | instid1(VALU_DEP_2)
	v_mul_lo_u32 v1, v1, s21
	v_mul_lo_u32 v2, v2, s23
	s_delay_alu instid0(VALU_DEP_1) | instskip(NEXT) | instid1(VALU_DEP_1)
	v_sub_nc_u32_e32 v1, v1, v2
	v_cmp_lt_u32_e64 s0, s41, v1
	s_delay_alu instid0(VALU_DEP_1)
	s_and_b32 s2, s0, exec_lo
; %bb.60:
	s_or_b32 exec_lo, exec_lo, s6
	v_cndmask_b32_e64 v42, 0, 1, vcc_lo
	v_cndmask_b32_e64 v40, 0, 1, s2
.LBB1163_61:
	s_or_b32 exec_lo, exec_lo, s1
	v_dual_mov_b32 v44, 0 :: v_dual_add_nc_u32 v1, 7, v28
	v_mov_b32_e32 v43, 0
	s_mov_b32 s2, 0
	s_mov_b32 s1, exec_lo
	s_delay_alu instid0(VALU_DEP_2)
	;; [unrolled: 35-line block ×3, first 2 shown]
	v_cmpx_gt_u32_e64 s3, v1
	s_cbranch_execz .LBB1163_69
; %bb.66:
	v_add_nc_u32_e32 v1, s17, v8
	v_add_nc_u32_e32 v2, s19, v8
	s_mov_b32 s6, exec_lo
	s_delay_alu instid0(VALU_DEP_2) | instskip(NEXT) | instid1(VALU_DEP_2)
	v_mul_lo_u32 v1, v1, s16
	v_mul_lo_u32 v2, v2, s18
	s_delay_alu instid0(VALU_DEP_1) | instskip(NEXT) | instid1(VALU_DEP_1)
	v_sub_nc_u32_e32 v1, v1, v2
	v_cmp_lt_u32_e32 vcc_lo, s20, v1
	v_cmpx_ge_u32_e64 s20, v1
; %bb.67:
	v_add_nc_u32_e32 v1, s22, v8
	v_add_nc_u32_e32 v2, s40, v8
	s_delay_alu instid0(VALU_DEP_2) | instskip(NEXT) | instid1(VALU_DEP_2)
	v_mul_lo_u32 v1, v1, s21
	v_mul_lo_u32 v2, v2, s23
	s_delay_alu instid0(VALU_DEP_1) | instskip(NEXT) | instid1(VALU_DEP_1)
	v_sub_nc_u32_e32 v1, v1, v2
	v_cmp_lt_u32_e64 s0, s41, v1
	s_delay_alu instid0(VALU_DEP_1)
	s_and_b32 s2, s0, exec_lo
; %bb.68:
	s_or_b32 exec_lo, exec_lo, s6
	v_cndmask_b32_e64 v46, 0, 1, vcc_lo
	v_cndmask_b32_e64 v45, 0, 1, s2
.LBB1163_69:
	s_or_b32 exec_lo, exec_lo, s1
	v_add_nc_u32_e32 v1, 9, v28
	v_mov_b32_e32 v47, 0
	v_mov_b32_e32 v49, 0
	s_mov_b32 s2, 0
	s_mov_b32 s1, exec_lo
	v_cmpx_gt_u32_e64 s3, v1
	s_cbranch_execz .LBB1163_73
; %bb.70:
	v_add_nc_u32_e32 v1, s17, v9
	v_add_nc_u32_e32 v2, s19, v9
	s_mov_b32 s6, exec_lo
	s_delay_alu instid0(VALU_DEP_2) | instskip(NEXT) | instid1(VALU_DEP_2)
	v_mul_lo_u32 v1, v1, s16
	v_mul_lo_u32 v2, v2, s18
	s_delay_alu instid0(VALU_DEP_1) | instskip(NEXT) | instid1(VALU_DEP_1)
	v_sub_nc_u32_e32 v1, v1, v2
	v_cmp_lt_u32_e32 vcc_lo, s20, v1
	v_cmpx_ge_u32_e64 s20, v1
; %bb.71:
	v_add_nc_u32_e32 v1, s22, v9
	v_add_nc_u32_e32 v2, s40, v9
	s_delay_alu instid0(VALU_DEP_2) | instskip(NEXT) | instid1(VALU_DEP_2)
	v_mul_lo_u32 v1, v1, s21
	v_mul_lo_u32 v2, v2, s23
	s_delay_alu instid0(VALU_DEP_1) | instskip(NEXT) | instid1(VALU_DEP_1)
	v_sub_nc_u32_e32 v1, v1, v2
	v_cmp_lt_u32_e64 s0, s41, v1
	s_delay_alu instid0(VALU_DEP_1)
	s_and_b32 s2, s0, exec_lo
; %bb.72:
	s_or_b32 exec_lo, exec_lo, s6
	v_cndmask_b32_e64 v49, 0, 1, vcc_lo
	v_cndmask_b32_e64 v47, 0, 1, s2
.LBB1163_73:
	s_or_b32 exec_lo, exec_lo, s1
	v_dual_mov_b32 v48, 0 :: v_dual_add_nc_u32 v1, 10, v28
	v_mov_b32_e32 v50, 0
	s_mov_b32 s2, 0
	s_mov_b32 s1, exec_lo
	s_delay_alu instid0(VALU_DEP_2)
	v_cmpx_gt_u32_e64 s3, v1
	s_cbranch_execz .LBB1163_77
; %bb.74:
	v_add_nc_u32_e32 v1, s17, v6
	v_add_nc_u32_e32 v2, s19, v6
	s_mov_b32 s6, exec_lo
	s_delay_alu instid0(VALU_DEP_2) | instskip(NEXT) | instid1(VALU_DEP_2)
	v_mul_lo_u32 v1, v1, s16
	v_mul_lo_u32 v2, v2, s18
	s_delay_alu instid0(VALU_DEP_1) | instskip(NEXT) | instid1(VALU_DEP_1)
	v_sub_nc_u32_e32 v1, v1, v2
	v_cmp_lt_u32_e32 vcc_lo, s20, v1
	v_cmpx_ge_u32_e64 s20, v1
; %bb.75:
	v_add_nc_u32_e32 v1, s22, v6
	v_add_nc_u32_e32 v2, s40, v6
	s_delay_alu instid0(VALU_DEP_2) | instskip(NEXT) | instid1(VALU_DEP_2)
	v_mul_lo_u32 v1, v1, s21
	v_mul_lo_u32 v2, v2, s23
	s_delay_alu instid0(VALU_DEP_1) | instskip(NEXT) | instid1(VALU_DEP_1)
	v_sub_nc_u32_e32 v1, v1, v2
	v_cmp_lt_u32_e64 s0, s41, v1
	s_delay_alu instid0(VALU_DEP_1)
	s_and_b32 s2, s0, exec_lo
; %bb.76:
	s_or_b32 exec_lo, exec_lo, s6
	v_cndmask_b32_e64 v50, 0, 1, vcc_lo
	v_cndmask_b32_e64 v48, 0, 1, s2
.LBB1163_77:
	s_or_b32 exec_lo, exec_lo, s1
	v_dual_mov_b32 v52, 0 :: v_dual_add_nc_u32 v1, 11, v28
	v_mov_b32_e32 v51, 0
	s_mov_b32 s2, 0
	s_mov_b32 s1, exec_lo
	s_delay_alu instid0(VALU_DEP_2)
	v_cmpx_gt_u32_e64 s3, v1
	s_cbranch_execz .LBB1163_81
; %bb.78:
	v_add_nc_u32_e32 v1, s17, v7
	v_add_nc_u32_e32 v2, s19, v7
	s_mov_b32 s6, exec_lo
	s_delay_alu instid0(VALU_DEP_2) | instskip(NEXT) | instid1(VALU_DEP_2)
	v_mul_lo_u32 v1, v1, s16
	v_mul_lo_u32 v2, v2, s18
	s_delay_alu instid0(VALU_DEP_1) | instskip(NEXT) | instid1(VALU_DEP_1)
	v_sub_nc_u32_e32 v1, v1, v2
	v_cmp_lt_u32_e32 vcc_lo, s20, v1
	v_cmpx_ge_u32_e64 s20, v1
; %bb.79:
	v_add_nc_u32_e32 v1, s22, v7
	v_add_nc_u32_e32 v2, s40, v7
	s_delay_alu instid0(VALU_DEP_2) | instskip(NEXT) | instid1(VALU_DEP_2)
	v_mul_lo_u32 v1, v1, s21
	v_mul_lo_u32 v2, v2, s23
	s_delay_alu instid0(VALU_DEP_1) | instskip(NEXT) | instid1(VALU_DEP_1)
	v_sub_nc_u32_e32 v1, v1, v2
	v_cmp_lt_u32_e64 s0, s41, v1
	s_delay_alu instid0(VALU_DEP_1)
	s_and_b32 s2, s0, exec_lo
; %bb.80:
	s_or_b32 exec_lo, exec_lo, s6
	v_cndmask_b32_e64 v51, 0, 1, vcc_lo
	v_cndmask_b32_e64 v52, 0, 1, s2
.LBB1163_81:
	s_or_b32 exec_lo, exec_lo, s1
	v_add_nc_u32_e32 v1, 12, v28
	s_mov_b32 s42, 0
	s_mov_b32 s43, 0
	s_mov_b32 s0, exec_lo
	s_delay_alu instid0(VALU_DEP_1)
	v_cmpx_gt_u32_e64 s3, v1
	s_cbranch_execz .LBB1163_85
; %bb.82:
	v_add_nc_u32_e32 v1, s17, v27
	v_add_nc_u32_e32 v2, s19, v27
	s_mov_b32 s2, -1
	s_mov_b32 s6, 0
	s_mov_b32 s1, exec_lo
	v_mul_lo_u32 v1, v1, s16
	v_mul_lo_u32 v2, v2, s18
	s_delay_alu instid0(VALU_DEP_1) | instskip(NEXT) | instid1(VALU_DEP_1)
	v_sub_nc_u32_e32 v1, v1, v2
	v_cmpx_ge_u32_e64 s20, v1
; %bb.83:
	v_add_nc_u32_e32 v1, s22, v27
	v_add_nc_u32_e32 v2, s40, v27
	s_xor_b32 s2, exec_lo, -1
	s_delay_alu instid0(VALU_DEP_2) | instskip(NEXT) | instid1(VALU_DEP_2)
	v_mul_lo_u32 v1, v1, s21
	v_mul_lo_u32 v2, v2, s23
	s_delay_alu instid0(VALU_DEP_1) | instskip(NEXT) | instid1(VALU_DEP_1)
	v_sub_nc_u32_e32 v1, v1, v2
	v_cmp_lt_u32_e32 vcc_lo, s41, v1
	s_and_b32 s6, vcc_lo, exec_lo
; %bb.84:
	s_or_b32 exec_lo, exec_lo, s1
	s_delay_alu instid0(SALU_CYCLE_1)
	s_and_b32 s43, s6, exec_lo
	s_and_b32 s42, s2, exec_lo
.LBB1163_85:
	s_or_b32 exec_lo, exec_lo, s0
.LBB1163_86:
	v_and_b32_e32 v75, 0xff, v29
	v_and_b32_e32 v76, 0xff, v30
	;; [unrolled: 1-line block ×10, first 2 shown]
	v_add3_u32 v1, v71, v73, v75
	v_add3_u32 v2, v72, v74, v76
	v_and_b32_e32 v65, 0xff, v41
	v_and_b32_e32 v66, 0xff, v39
	v_and_b32_e32 v61, 0xff, v42
	v_and_b32_e32 v62, 0xff, v40
	v_add3_u32 v1, v1, v69, v67
	v_add3_u32 v2, v2, v70, v68
	v_and_b32_e32 v63, 0xff, v44
	v_and_b32_e32 v64, 0xff, v43
	v_and_b32_e32 v59, 0xff, v46
	v_and_b32_e32 v60, 0xff, v45
	;; [unrolled: 6-line block ×3, first 2 shown]
	v_add3_u32 v1, v1, v63, v59
	v_add3_u32 v2, v2, v64, v60
	v_mbcnt_lo_u32_b32 v77, -1, 0
	v_and_b32_e32 v53, 0xff, v51
	v_and_b32_e32 v54, 0xff, v52
	v_cndmask_b32_e64 v3, 0, 1, s43
	v_add3_u32 v1, v1, v57, v55
	v_cndmask_b32_e64 v4, 0, 1, s42
	v_add3_u32 v2, v2, v58, v56
	v_and_b32_e32 v81, 15, v77
	v_and_b32_e32 v80, 16, v77
	v_lshrrev_b32_e32 v78, 5, v0
	v_add3_u32 v82, v1, v53, v4
	v_add3_u32 v83, v2, v54, v3
	v_cmp_eq_u32_e64 s1, 0, v81
	v_cmp_lt_u32_e64 s0, 1, v81
	v_cmp_lt_u32_e64 s2, 3, v81
	v_cmp_lt_u32_e32 vcc_lo, 7, v81
	v_or_b32_e32 v79, 31, v0
	s_cmp_lg_u32 s15, 0
	s_mov_b32 s6, -1
	s_cbranch_scc0 .LBB1163_114
; %bb.87:
	v_mov_b32_dpp v1, v83 row_shr:1 row_mask:0xf bank_mask:0xf
	v_mov_b32_dpp v2, v82 row_shr:1 row_mask:0xf bank_mask:0xf
	s_delay_alu instid0(VALU_DEP_2) | instskip(NEXT) | instid1(VALU_DEP_1)
	v_add_nc_u32_e32 v1, v1, v83
	v_cndmask_b32_e64 v1, v1, v83, s1
	s_delay_alu instid0(VALU_DEP_1) | instskip(NEXT) | instid1(VALU_DEP_1)
	v_mov_b32_dpp v3, v1 row_shr:2 row_mask:0xf bank_mask:0xf
	v_add_nc_u32_e32 v3, v1, v3
	s_delay_alu instid0(VALU_DEP_1) | instskip(NEXT) | instid1(VALU_DEP_1)
	v_cndmask_b32_e64 v1, v1, v3, s0
	v_mov_b32_dpp v3, v1 row_shr:4 row_mask:0xf bank_mask:0xf
	s_delay_alu instid0(VALU_DEP_1) | instskip(NEXT) | instid1(VALU_DEP_1)
	v_add_nc_u32_e32 v3, v1, v3
	v_cndmask_b32_e64 v1, v1, v3, s2
	s_delay_alu instid0(VALU_DEP_1) | instskip(NEXT) | instid1(VALU_DEP_1)
	v_mov_b32_dpp v3, v1 row_shr:8 row_mask:0xf bank_mask:0xf
	v_add_nc_u32_e32 v3, v1, v3
	s_delay_alu instid0(VALU_DEP_1) | instskip(NEXT) | instid1(VALU_DEP_1)
	v_dual_cndmask_b32 v1, v1, v3 :: v_dual_add_nc_u32 v2, v2, v82
	v_cndmask_b32_e64 v2, v2, v82, s1
	s_delay_alu instid0(VALU_DEP_1) | instskip(NEXT) | instid1(VALU_DEP_1)
	v_mov_b32_dpp v4, v2 row_shr:2 row_mask:0xf bank_mask:0xf
	v_add_nc_u32_e32 v4, v2, v4
	s_delay_alu instid0(VALU_DEP_1) | instskip(NEXT) | instid1(VALU_DEP_1)
	v_cndmask_b32_e64 v2, v2, v4, s0
	v_mov_b32_dpp v4, v2 row_shr:4 row_mask:0xf bank_mask:0xf
	s_delay_alu instid0(VALU_DEP_1) | instskip(NEXT) | instid1(VALU_DEP_1)
	v_add_nc_u32_e32 v4, v2, v4
	v_cndmask_b32_e64 v2, v2, v4, s2
	s_mov_b32 s2, exec_lo
	s_delay_alu instid0(VALU_DEP_1) | instskip(NEXT) | instid1(VALU_DEP_1)
	v_mov_b32_dpp v4, v2 row_shr:8 row_mask:0xf bank_mask:0xf
	v_add_nc_u32_e32 v4, v2, v4
	s_delay_alu instid0(VALU_DEP_1)
	v_cndmask_b32_e32 v3, v2, v4, vcc_lo
	ds_swizzle_b32 v2, v1 offset:swizzle(BROADCAST,32,15)
	v_cmp_eq_u32_e32 vcc_lo, 0, v80
	s_waitcnt lgkmcnt(0)
	v_add_nc_u32_e32 v2, v1, v2
	ds_swizzle_b32 v4, v3 offset:swizzle(BROADCAST,32,15)
	v_cndmask_b32_e32 v2, v2, v1, vcc_lo
	s_waitcnt lgkmcnt(0)
	v_add_nc_u32_e32 v4, v3, v4
	s_delay_alu instid0(VALU_DEP_1)
	v_cndmask_b32_e32 v1, v4, v3, vcc_lo
	v_cmpx_eq_u32_e64 v79, v0
	s_cbranch_execz .LBB1163_89
; %bb.88:
	v_lshlrev_b32_e32 v3, 3, v78
	ds_store_b64 v3, v[1:2]
.LBB1163_89:
	s_or_b32 exec_lo, exec_lo, s2
	s_delay_alu instid0(SALU_CYCLE_1)
	s_mov_b32 s2, exec_lo
	s_waitcnt lgkmcnt(0)
	s_barrier
	buffer_gl0_inv
	v_cmpx_gt_u32_e32 8, v0
	s_cbranch_execz .LBB1163_91
; %bb.90:
	v_lshlrev_b32_e32 v5, 3, v0
	ds_load_b64 v[3:4], v5
	s_waitcnt lgkmcnt(0)
	v_mov_b32_dpp v18, v3 row_shr:1 row_mask:0xf bank_mask:0xf
	v_mov_b32_dpp v19, v4 row_shr:1 row_mask:0xf bank_mask:0xf
	s_delay_alu instid0(VALU_DEP_2) | instskip(SKIP_1) | instid1(VALU_DEP_3)
	v_add_nc_u32_e32 v18, v18, v3
	v_and_b32_e32 v20, 7, v77
	v_add_nc_u32_e32 v19, v19, v4
	s_delay_alu instid0(VALU_DEP_2) | instskip(NEXT) | instid1(VALU_DEP_2)
	v_cmp_eq_u32_e32 vcc_lo, 0, v20
	v_dual_cndmask_b32 v4, v19, v4 :: v_dual_cndmask_b32 v3, v18, v3
	v_cmp_lt_u32_e32 vcc_lo, 1, v20
	s_delay_alu instid0(VALU_DEP_2) | instskip(NEXT) | instid1(VALU_DEP_3)
	v_mov_b32_dpp v19, v4 row_shr:2 row_mask:0xf bank_mask:0xf
	v_mov_b32_dpp v18, v3 row_shr:2 row_mask:0xf bank_mask:0xf
	s_delay_alu instid0(VALU_DEP_2) | instskip(NEXT) | instid1(VALU_DEP_2)
	v_add_nc_u32_e32 v19, v4, v19
	v_add_nc_u32_e32 v18, v3, v18
	s_delay_alu instid0(VALU_DEP_1) | instskip(SKIP_1) | instid1(VALU_DEP_2)
	v_dual_cndmask_b32 v4, v4, v19 :: v_dual_cndmask_b32 v3, v3, v18
	v_cmp_lt_u32_e32 vcc_lo, 3, v20
	v_mov_b32_dpp v19, v4 row_shr:4 row_mask:0xf bank_mask:0xf
	s_delay_alu instid0(VALU_DEP_3) | instskip(NEXT) | instid1(VALU_DEP_1)
	v_mov_b32_dpp v18, v3 row_shr:4 row_mask:0xf bank_mask:0xf
	v_dual_cndmask_b32 v19, 0, v19 :: v_dual_cndmask_b32 v18, 0, v18
	s_delay_alu instid0(VALU_DEP_1) | instskip(NEXT) | instid1(VALU_DEP_2)
	v_add_nc_u32_e32 v4, v19, v4
	v_add_nc_u32_e32 v3, v18, v3
	ds_store_b64 v5, v[3:4]
.LBB1163_91:
	s_or_b32 exec_lo, exec_lo, s2
	v_cmp_gt_u32_e32 vcc_lo, 32, v0
	v_cmp_lt_u32_e64 s2, 31, v0
	s_waitcnt lgkmcnt(0)
	s_barrier
	buffer_gl0_inv
                                        ; implicit-def: $vgpr19
	s_and_saveexec_b32 s6, s2
	s_delay_alu instid0(SALU_CYCLE_1)
	s_xor_b32 s2, exec_lo, s6
	s_cbranch_execz .LBB1163_93
; %bb.92:
	v_lshl_add_u32 v3, v78, 3, -8
	ds_load_b64 v[18:19], v3
	s_waitcnt lgkmcnt(0)
	v_add_nc_u32_e32 v2, v19, v2
	v_add_nc_u32_e32 v1, v18, v1
.LBB1163_93:
	s_and_not1_saveexec_b32 s2, s2
; %bb.94:
                                        ; implicit-def: $vgpr18
; %bb.95:
	s_delay_alu instid0(SALU_CYCLE_1) | instskip(SKIP_1) | instid1(VALU_DEP_1)
	s_or_b32 exec_lo, exec_lo, s2
	v_add_nc_u32_e32 v3, -1, v77
	v_cmp_gt_i32_e64 s2, 0, v3
	s_delay_alu instid0(VALU_DEP_1) | instskip(SKIP_1) | instid1(VALU_DEP_2)
	v_cndmask_b32_e64 v3, v3, v77, s2
	v_cmp_eq_u32_e64 s2, 0, v77
	v_lshlrev_b32_e32 v3, 2, v3
	ds_bpermute_b32 v84, v3, v1
	ds_bpermute_b32 v85, v3, v2
	s_and_saveexec_b32 s6, vcc_lo
	s_cbranch_execz .LBB1163_113
; %bb.96:
	v_mov_b32_e32 v4, 0
	ds_load_b64 v[1:2], v4 offset:56
	s_waitcnt lgkmcnt(0)
	v_readfirstlane_b32 s7, v2
	s_and_saveexec_b32 s8, s2
	s_cbranch_execz .LBB1163_98
; %bb.97:
	s_add_i32 s10, s15, 32
	s_mov_b32 s11, 0
	v_mov_b32_e32 v3, 1
	s_lshl_b64 s[12:13], s[10:11], 4
	s_mov_b32 s16, s11
	s_add_u32 s12, s4, s12
	s_addc_u32 s13, s5, s13
	s_and_b32 s17, s7, 0xff000000
	s_and_b32 s19, s7, 0xff0000
	s_mov_b32 s18, s11
	v_dual_mov_b32 v21, s13 :: v_dual_mov_b32 v20, s12
	s_or_b64 s[16:17], s[18:19], s[16:17]
	s_and_b32 s19, s7, 0xff00
	s_delay_alu instid0(SALU_CYCLE_1) | instskip(SKIP_1) | instid1(SALU_CYCLE_1)
	s_or_b64 s[16:17], s[16:17], s[18:19]
	s_and_b32 s19, s7, 0xff
	s_or_b64 s[10:11], s[16:17], s[18:19]
	s_delay_alu instid0(SALU_CYCLE_1)
	v_mov_b32_e32 v2, s11
	;;#ASMSTART
	global_store_dwordx4 v[20:21], v[1:4] off	
s_waitcnt vmcnt(0)
	;;#ASMEND
.LBB1163_98:
	s_or_b32 exec_lo, exec_lo, s8
	v_xad_u32 v20, v77, -1, s15
	s_mov_b32 s9, 0
	s_mov_b32 s8, exec_lo
	s_delay_alu instid0(VALU_DEP_1) | instskip(NEXT) | instid1(VALU_DEP_1)
	v_add_nc_u32_e32 v3, 32, v20
	v_lshlrev_b64 v[2:3], 4, v[3:4]
	s_delay_alu instid0(VALU_DEP_1) | instskip(NEXT) | instid1(VALU_DEP_2)
	v_add_co_u32 v21, vcc_lo, s4, v2
	v_add_co_ci_u32_e32 v22, vcc_lo, s5, v3, vcc_lo
	;;#ASMSTART
	global_load_dwordx4 v[2:5], v[21:22] off glc	
s_waitcnt vmcnt(0)
	;;#ASMEND
	v_and_b32_e32 v5, 0xff, v3
	v_and_b32_e32 v23, 0xff00, v3
	v_or3_b32 v2, v2, 0, 0
	v_and_b32_e32 v24, 0xff000000, v3
	v_and_b32_e32 v3, 0xff0000, v3
	s_delay_alu instid0(VALU_DEP_4) | instskip(SKIP_2) | instid1(VALU_DEP_3)
	v_or3_b32 v5, 0, v5, v23
	v_and_b32_e32 v23, 0xff, v4
	v_or3_b32 v2, v2, 0, 0
	v_or3_b32 v3, v5, v3, v24
	s_delay_alu instid0(VALU_DEP_3)
	v_cmpx_eq_u16_e32 0, v23
	s_cbranch_execz .LBB1163_101
.LBB1163_99:                            ; =>This Inner Loop Header: Depth=1
	;;#ASMSTART
	global_load_dwordx4 v[2:5], v[21:22] off glc	
s_waitcnt vmcnt(0)
	;;#ASMEND
	v_and_b32_e32 v5, 0xff, v4
	s_delay_alu instid0(VALU_DEP_1) | instskip(SKIP_1) | instid1(SALU_CYCLE_1)
	v_cmp_ne_u16_e32 vcc_lo, 0, v5
	s_or_b32 s9, vcc_lo, s9
	s_and_not1_b32 exec_lo, exec_lo, s9
	s_cbranch_execnz .LBB1163_99
; %bb.100:
	s_or_b32 exec_lo, exec_lo, s9
.LBB1163_101:
	s_delay_alu instid0(SALU_CYCLE_1)
	s_or_b32 exec_lo, exec_lo, s8
	v_cmp_ne_u32_e32 vcc_lo, 31, v77
	v_lshlrev_b32_e64 v87, v77, -1
	v_add_nc_u32_e32 v91, 4, v77
	v_add_nc_u32_e32 v93, 8, v77
	;; [unrolled: 1-line block ×3, first 2 shown]
	v_add_co_ci_u32_e32 v5, vcc_lo, 0, v77, vcc_lo
	s_delay_alu instid0(VALU_DEP_1)
	v_lshlrev_b32_e32 v86, 2, v5
	ds_bpermute_b32 v21, v86, v3
	ds_bpermute_b32 v5, v86, v2
	s_waitcnt lgkmcnt(1)
	v_add_nc_u32_e32 v21, v21, v3
	v_and_b32_e32 v22, 0xff, v4
	s_waitcnt lgkmcnt(0)
	v_add_nc_u32_e32 v5, v5, v2
	s_delay_alu instid0(VALU_DEP_2) | instskip(SKIP_2) | instid1(VALU_DEP_2)
	v_cmp_eq_u16_e32 vcc_lo, 2, v22
	v_and_or_b32 v22, vcc_lo, v87, 0x80000000
	v_cmp_gt_u32_e32 vcc_lo, 30, v77
	v_ctz_i32_b32_e32 v22, v22
	v_cndmask_b32_e64 v23, 0, 1, vcc_lo
	s_delay_alu instid0(VALU_DEP_2) | instskip(NEXT) | instid1(VALU_DEP_2)
	v_cmp_lt_u32_e32 vcc_lo, v77, v22
	v_dual_cndmask_b32 v2, v2, v5 :: v_dual_lshlrev_b32 v23, 1, v23
	s_delay_alu instid0(VALU_DEP_1)
	v_add_lshl_u32 v88, v23, v77, 2
	v_cndmask_b32_e32 v3, v3, v21, vcc_lo
	v_cmp_gt_u32_e32 vcc_lo, 28, v77
	ds_bpermute_b32 v5, v88, v2
	ds_bpermute_b32 v21, v88, v3
	v_cndmask_b32_e64 v23, 0, 1, vcc_lo
	s_waitcnt lgkmcnt(1)
	v_add_nc_u32_e32 v5, v2, v5
	v_add_nc_u32_e32 v89, 2, v77
	s_waitcnt lgkmcnt(0)
	v_add_nc_u32_e32 v21, v3, v21
	s_delay_alu instid0(VALU_DEP_2) | instskip(SKIP_1) | instid1(VALU_DEP_3)
	v_cmp_gt_u32_e32 vcc_lo, v89, v22
	v_dual_cndmask_b32 v2, v5, v2 :: v_dual_lshlrev_b32 v23, 2, v23
	v_cndmask_b32_e32 v3, v21, v3, vcc_lo
	v_cmp_gt_u32_e32 vcc_lo, 24, v77
	s_delay_alu instid0(VALU_DEP_3)
	v_add_lshl_u32 v90, v23, v77, 2
	v_cndmask_b32_e64 v23, 0, 1, vcc_lo
	v_cmp_gt_u32_e32 vcc_lo, v91, v22
	ds_bpermute_b32 v5, v90, v2
	ds_bpermute_b32 v21, v90, v3
	v_lshlrev_b32_e32 v23, 3, v23
	s_delay_alu instid0(VALU_DEP_1) | instskip(SKIP_3) | instid1(VALU_DEP_1)
	v_add_lshl_u32 v92, v23, v77, 2
	s_waitcnt lgkmcnt(1)
	v_add_nc_u32_e32 v5, v2, v5
	s_waitcnt lgkmcnt(0)
	v_dual_cndmask_b32 v2, v5, v2 :: v_dual_add_nc_u32 v21, v3, v21
	s_delay_alu instid0(VALU_DEP_1)
	v_cndmask_b32_e32 v3, v21, v3, vcc_lo
	v_cmp_gt_u32_e32 vcc_lo, 16, v77
	ds_bpermute_b32 v5, v92, v2
	ds_bpermute_b32 v21, v92, v3
	v_cndmask_b32_e64 v23, 0, 1, vcc_lo
	v_cmp_gt_u32_e32 vcc_lo, v93, v22
	s_delay_alu instid0(VALU_DEP_2) | instskip(NEXT) | instid1(VALU_DEP_1)
	v_lshlrev_b32_e32 v23, 4, v23
	v_add_lshl_u32 v94, v23, v77, 2
	s_waitcnt lgkmcnt(1)
	v_add_nc_u32_e32 v5, v2, v5
	s_waitcnt lgkmcnt(0)
	s_delay_alu instid0(VALU_DEP_1) | instskip(NEXT) | instid1(VALU_DEP_1)
	v_dual_cndmask_b32 v2, v5, v2 :: v_dual_add_nc_u32 v21, v3, v21
	v_cndmask_b32_e32 v3, v21, v3, vcc_lo
	v_cmp_le_u32_e32 vcc_lo, v95, v22
	ds_bpermute_b32 v5, v94, v2
	ds_bpermute_b32 v21, v94, v3
	s_waitcnt lgkmcnt(1)
	v_cndmask_b32_e32 v5, 0, v5, vcc_lo
	s_waitcnt lgkmcnt(0)
	s_delay_alu instid0(VALU_DEP_1) | instskip(NEXT) | instid1(VALU_DEP_1)
	v_dual_cndmask_b32 v21, 0, v21 :: v_dual_add_nc_u32 v2, v5, v2
	v_add_nc_u32_e32 v3, v21, v3
	v_mov_b32_e32 v21, 0
	s_branch .LBB1163_103
.LBB1163_102:                           ;   in Loop: Header=BB1163_103 Depth=1
	s_or_b32 exec_lo, exec_lo, s8
	ds_bpermute_b32 v5, v86, v2
	ds_bpermute_b32 v24, v86, v3
	v_subrev_nc_u32_e32 v20, 32, v20
	s_waitcnt lgkmcnt(1)
	v_add_nc_u32_e32 v5, v5, v2
	v_and_b32_e32 v25, 0xff, v4
	s_waitcnt lgkmcnt(0)
	v_add_nc_u32_e32 v24, v24, v3
	s_delay_alu instid0(VALU_DEP_2) | instskip(SKIP_1) | instid1(VALU_DEP_1)
	v_cmp_eq_u16_e32 vcc_lo, 2, v25
	v_and_or_b32 v25, vcc_lo, v87, 0x80000000
	v_ctz_i32_b32_e32 v25, v25
	s_delay_alu instid0(VALU_DEP_1)
	v_cmp_lt_u32_e32 vcc_lo, v77, v25
	v_cndmask_b32_e32 v2, v2, v5, vcc_lo
	ds_bpermute_b32 v5, v88, v2
	s_waitcnt lgkmcnt(0)
	v_add_nc_u32_e32 v5, v2, v5
	v_cndmask_b32_e32 v3, v3, v24, vcc_lo
	v_cmp_gt_u32_e32 vcc_lo, v89, v25
	s_delay_alu instid0(VALU_DEP_3)
	v_cndmask_b32_e32 v2, v5, v2, vcc_lo
	ds_bpermute_b32 v24, v88, v3
	ds_bpermute_b32 v5, v90, v2
	s_waitcnt lgkmcnt(1)
	v_add_nc_u32_e32 v24, v3, v24
	s_waitcnt lgkmcnt(0)
	v_add_nc_u32_e32 v5, v2, v5
	s_delay_alu instid0(VALU_DEP_2) | instskip(SKIP_1) | instid1(VALU_DEP_3)
	v_cndmask_b32_e32 v3, v24, v3, vcc_lo
	v_cmp_gt_u32_e32 vcc_lo, v91, v25
	v_cndmask_b32_e32 v2, v5, v2, vcc_lo
	ds_bpermute_b32 v24, v90, v3
	ds_bpermute_b32 v5, v92, v2
	s_waitcnt lgkmcnt(1)
	v_add_nc_u32_e32 v24, v3, v24
	s_waitcnt lgkmcnt(0)
	v_add_nc_u32_e32 v5, v2, v5
	s_delay_alu instid0(VALU_DEP_2) | instskip(SKIP_1) | instid1(VALU_DEP_3)
	v_cndmask_b32_e32 v3, v24, v3, vcc_lo
	v_cmp_gt_u32_e32 vcc_lo, v93, v25
	v_cndmask_b32_e32 v2, v5, v2, vcc_lo
	ds_bpermute_b32 v24, v92, v3
	ds_bpermute_b32 v5, v94, v2
	s_waitcnt lgkmcnt(1)
	v_add_nc_u32_e32 v24, v3, v24
	s_delay_alu instid0(VALU_DEP_1) | instskip(SKIP_4) | instid1(VALU_DEP_1)
	v_cndmask_b32_e32 v3, v24, v3, vcc_lo
	v_cmp_le_u32_e32 vcc_lo, v95, v25
	ds_bpermute_b32 v24, v94, v3
	s_waitcnt lgkmcnt(1)
	v_cndmask_b32_e32 v5, 0, v5, vcc_lo
	v_add3_u32 v2, v2, v22, v5
	s_waitcnt lgkmcnt(0)
	v_cndmask_b32_e32 v24, 0, v24, vcc_lo
	s_delay_alu instid0(VALU_DEP_1)
	v_add3_u32 v3, v3, v23, v24
.LBB1163_103:                           ; =>This Loop Header: Depth=1
                                        ;     Child Loop BB1163_106 Depth 2
	s_delay_alu instid0(VALU_DEP_1) | instskip(SKIP_1) | instid1(VALU_DEP_2)
	v_dual_mov_b32 v23, v3 :: v_dual_and_b32 v4, 0xff, v4
	v_mov_b32_e32 v22, v2
	v_cmp_ne_u16_e32 vcc_lo, 2, v4
	v_cndmask_b32_e64 v4, 0, 1, vcc_lo
	;;#ASMSTART
	;;#ASMEND
	s_delay_alu instid0(VALU_DEP_1)
	v_cmp_ne_u32_e32 vcc_lo, 0, v4
	s_cmp_lg_u32 vcc_lo, exec_lo
	s_cbranch_scc1 .LBB1163_108
; %bb.104:                              ;   in Loop: Header=BB1163_103 Depth=1
	v_lshlrev_b64 v[2:3], 4, v[20:21]
	s_mov_b32 s8, exec_lo
	s_delay_alu instid0(VALU_DEP_1) | instskip(NEXT) | instid1(VALU_DEP_2)
	v_add_co_u32 v24, vcc_lo, s4, v2
	v_add_co_ci_u32_e32 v25, vcc_lo, s5, v3, vcc_lo
	;;#ASMSTART
	global_load_dwordx4 v[2:5], v[24:25] off glc	
s_waitcnt vmcnt(0)
	;;#ASMEND
	v_and_b32_e32 v5, 0xff, v3
	v_and_b32_e32 v96, 0xff00, v3
	v_or3_b32 v2, v2, 0, 0
	v_and_b32_e32 v97, 0xff000000, v3
	v_and_b32_e32 v3, 0xff0000, v3
	s_delay_alu instid0(VALU_DEP_4) | instskip(SKIP_2) | instid1(VALU_DEP_3)
	v_or3_b32 v5, 0, v5, v96
	v_and_b32_e32 v96, 0xff, v4
	v_or3_b32 v2, v2, 0, 0
	v_or3_b32 v3, v5, v3, v97
	s_delay_alu instid0(VALU_DEP_3)
	v_cmpx_eq_u16_e32 0, v96
	s_cbranch_execz .LBB1163_102
; %bb.105:                              ;   in Loop: Header=BB1163_103 Depth=1
	s_mov_b32 s9, 0
.LBB1163_106:                           ;   Parent Loop BB1163_103 Depth=1
                                        ; =>  This Inner Loop Header: Depth=2
	;;#ASMSTART
	global_load_dwordx4 v[2:5], v[24:25] off glc	
s_waitcnt vmcnt(0)
	;;#ASMEND
	v_and_b32_e32 v5, 0xff, v4
	s_delay_alu instid0(VALU_DEP_1) | instskip(SKIP_1) | instid1(SALU_CYCLE_1)
	v_cmp_ne_u16_e32 vcc_lo, 0, v5
	s_or_b32 s9, vcc_lo, s9
	s_and_not1_b32 exec_lo, exec_lo, s9
	s_cbranch_execnz .LBB1163_106
; %bb.107:                              ;   in Loop: Header=BB1163_103 Depth=1
	s_or_b32 exec_lo, exec_lo, s9
	s_branch .LBB1163_102
.LBB1163_108:                           ;   in Loop: Header=BB1163_103 Depth=1
                                        ; implicit-def: $vgpr4
                                        ; implicit-def: $vgpr2_vgpr3
	s_cbranch_execz .LBB1163_103
; %bb.109:
	s_and_saveexec_b32 s8, s2
	s_cbranch_execnz .LBB1163_352
; %bb.110:
	s_or_b32 exec_lo, exec_lo, s8
	s_and_saveexec_b32 s8, s2
	s_cbranch_execnz .LBB1163_353
.LBB1163_111:
	s_or_b32 exec_lo, exec_lo, s8
	v_cmp_eq_u32_e32 vcc_lo, 0, v0
	s_and_b32 exec_lo, exec_lo, vcc_lo
	s_cbranch_execz .LBB1163_113
.LBB1163_112:
	v_mov_b32_e32 v1, 0
	ds_store_b64 v1, v[22:23] offset:56
.LBB1163_113:
	s_or_b32 exec_lo, exec_lo, s6
	v_cmp_eq_u32_e32 vcc_lo, 0, v0
	v_mov_b32_e32 v1, 0
	s_waitcnt lgkmcnt(0)
	s_barrier
	buffer_gl0_inv
	v_add_nc_u32_e64 v3, 0x3400, 0
	ds_load_b64 v[20:21], v1 offset:56
	s_waitcnt lgkmcnt(0)
	s_barrier
	buffer_gl0_inv
	ds_load_2addr_b32 v[1:2], v3 offset1:2
	ds_load_2addr_b32 v[3:4], v3 offset0:4 offset1:6
	v_cndmask_b32_e64 v5, v84, v18, s2
	v_cndmask_b32_e64 v18, v85, v19, s2
	s_delay_alu instid0(VALU_DEP_2) | instskip(NEXT) | instid1(VALU_DEP_1)
	v_add_nc_u32_e32 v19, v20, v5
	v_dual_cndmask_b32 v20, v19, v20 :: v_dual_add_nc_u32 v5, v21, v18
	s_delay_alu instid0(VALU_DEP_1)
	v_cndmask_b32_e32 v5, v5, v21, vcc_lo
	s_branch .LBB1163_124
.LBB1163_114:
                                        ; implicit-def: $vgpr5
                                        ; implicit-def: $vgpr3
                                        ; implicit-def: $vgpr1
                                        ; implicit-def: $vgpr20_vgpr21
	s_and_b32 vcc_lo, exec_lo, s6
	s_cbranch_vccz .LBB1163_124
; %bb.115:
	s_waitcnt lgkmcnt(0)
	v_mov_b32_dpp v2, v83 row_shr:1 row_mask:0xf bank_mask:0xf
	v_cmp_lt_u32_e32 vcc_lo, 3, v81
	v_mov_b32_dpp v1, v82 row_shr:1 row_mask:0xf bank_mask:0xf
	s_delay_alu instid0(VALU_DEP_3) | instskip(NEXT) | instid1(VALU_DEP_1)
	v_add_nc_u32_e32 v2, v2, v83
	v_cndmask_b32_e64 v2, v2, v83, s1
	s_delay_alu instid0(VALU_DEP_1) | instskip(NEXT) | instid1(VALU_DEP_1)
	v_mov_b32_dpp v4, v2 row_shr:2 row_mask:0xf bank_mask:0xf
	v_add_nc_u32_e32 v4, v2, v4
	s_delay_alu instid0(VALU_DEP_1) | instskip(NEXT) | instid1(VALU_DEP_1)
	v_cndmask_b32_e64 v2, v2, v4, s0
	v_mov_b32_dpp v4, v2 row_shr:4 row_mask:0xf bank_mask:0xf
	s_delay_alu instid0(VALU_DEP_1) | instskip(NEXT) | instid1(VALU_DEP_1)
	v_add_nc_u32_e32 v4, v2, v4
	v_dual_cndmask_b32 v2, v2, v4 :: v_dual_add_nc_u32 v1, v1, v82
	s_delay_alu instid0(VALU_DEP_1) | instskip(NEXT) | instid1(VALU_DEP_2)
	v_cndmask_b32_e64 v1, v1, v82, s1
	v_mov_b32_dpp v4, v2 row_shr:8 row_mask:0xf bank_mask:0xf
	s_delay_alu instid0(VALU_DEP_2) | instskip(NEXT) | instid1(VALU_DEP_2)
	v_mov_b32_dpp v3, v1 row_shr:2 row_mask:0xf bank_mask:0xf
	v_add_nc_u32_e32 v4, v2, v4
	s_delay_alu instid0(VALU_DEP_2) | instskip(NEXT) | instid1(VALU_DEP_1)
	v_add_nc_u32_e32 v3, v1, v3
	v_cndmask_b32_e64 v1, v1, v3, s0
	s_mov_b32 s0, exec_lo
	s_delay_alu instid0(VALU_DEP_1) | instskip(NEXT) | instid1(VALU_DEP_1)
	v_mov_b32_dpp v3, v1 row_shr:4 row_mask:0xf bank_mask:0xf
	v_add_nc_u32_e32 v3, v1, v3
	s_delay_alu instid0(VALU_DEP_1) | instskip(SKIP_1) | instid1(VALU_DEP_2)
	v_cndmask_b32_e32 v1, v1, v3, vcc_lo
	v_cmp_lt_u32_e32 vcc_lo, 7, v81
	v_mov_b32_dpp v3, v1 row_shr:8 row_mask:0xf bank_mask:0xf
	s_delay_alu instid0(VALU_DEP_1) | instskip(NEXT) | instid1(VALU_DEP_1)
	v_dual_cndmask_b32 v2, v2, v4 :: v_dual_add_nc_u32 v3, v1, v3
	v_cndmask_b32_e32 v1, v1, v3, vcc_lo
	ds_swizzle_b32 v3, v2 offset:swizzle(BROADCAST,32,15)
	v_cmp_eq_u32_e32 vcc_lo, 0, v80
	ds_swizzle_b32 v4, v1 offset:swizzle(BROADCAST,32,15)
	s_waitcnt lgkmcnt(1)
	v_add_nc_u32_e32 v3, v2, v3
	s_waitcnt lgkmcnt(0)
	v_add_nc_u32_e32 v4, v1, v4
	s_delay_alu instid0(VALU_DEP_1)
	v_dual_cndmask_b32 v2, v3, v2 :: v_dual_cndmask_b32 v1, v4, v1
	v_cmpx_eq_u32_e64 v79, v0
	s_cbranch_execz .LBB1163_117
; %bb.116:
	v_lshlrev_b32_e32 v3, 3, v78
	ds_store_b64 v3, v[1:2]
.LBB1163_117:
	s_or_b32 exec_lo, exec_lo, s0
	s_delay_alu instid0(SALU_CYCLE_1)
	s_mov_b32 s0, exec_lo
	s_waitcnt lgkmcnt(0)
	s_barrier
	buffer_gl0_inv
	v_cmpx_gt_u32_e32 8, v0
	s_cbranch_execz .LBB1163_119
; %bb.118:
	v_lshlrev_b32_e32 v5, 3, v0
	ds_load_b64 v[3:4], v5
	s_waitcnt lgkmcnt(0)
	v_mov_b32_dpp v18, v3 row_shr:1 row_mask:0xf bank_mask:0xf
	v_mov_b32_dpp v19, v4 row_shr:1 row_mask:0xf bank_mask:0xf
	s_delay_alu instid0(VALU_DEP_2) | instskip(SKIP_1) | instid1(VALU_DEP_3)
	v_add_nc_u32_e32 v18, v18, v3
	v_and_b32_e32 v20, 7, v77
	v_add_nc_u32_e32 v19, v19, v4
	s_delay_alu instid0(VALU_DEP_2) | instskip(NEXT) | instid1(VALU_DEP_2)
	v_cmp_eq_u32_e32 vcc_lo, 0, v20
	v_dual_cndmask_b32 v4, v19, v4 :: v_dual_cndmask_b32 v3, v18, v3
	v_cmp_lt_u32_e32 vcc_lo, 1, v20
	s_delay_alu instid0(VALU_DEP_2) | instskip(NEXT) | instid1(VALU_DEP_3)
	v_mov_b32_dpp v19, v4 row_shr:2 row_mask:0xf bank_mask:0xf
	v_mov_b32_dpp v18, v3 row_shr:2 row_mask:0xf bank_mask:0xf
	s_delay_alu instid0(VALU_DEP_2) | instskip(NEXT) | instid1(VALU_DEP_2)
	v_add_nc_u32_e32 v19, v4, v19
	v_add_nc_u32_e32 v18, v3, v18
	s_delay_alu instid0(VALU_DEP_1) | instskip(SKIP_1) | instid1(VALU_DEP_2)
	v_dual_cndmask_b32 v4, v4, v19 :: v_dual_cndmask_b32 v3, v3, v18
	v_cmp_lt_u32_e32 vcc_lo, 3, v20
	v_mov_b32_dpp v19, v4 row_shr:4 row_mask:0xf bank_mask:0xf
	s_delay_alu instid0(VALU_DEP_3) | instskip(NEXT) | instid1(VALU_DEP_1)
	v_mov_b32_dpp v18, v3 row_shr:4 row_mask:0xf bank_mask:0xf
	v_dual_cndmask_b32 v19, 0, v19 :: v_dual_cndmask_b32 v18, 0, v18
	s_delay_alu instid0(VALU_DEP_1) | instskip(NEXT) | instid1(VALU_DEP_2)
	v_add_nc_u32_e32 v4, v19, v4
	v_add_nc_u32_e32 v3, v18, v3
	ds_store_b64 v5, v[3:4]
.LBB1163_119:
	s_or_b32 exec_lo, exec_lo, s0
	v_dual_mov_b32 v3, 0 :: v_dual_mov_b32 v18, 0
	v_mov_b32_e32 v19, 0
	s_mov_b32 s0, exec_lo
	s_waitcnt lgkmcnt(0)
	s_barrier
	buffer_gl0_inv
	v_cmpx_lt_u32_e32 31, v0
	s_cbranch_execz .LBB1163_121
; %bb.120:
	v_lshl_add_u32 v4, v78, 3, -8
	ds_load_b64 v[18:19], v4
.LBB1163_121:
	s_or_b32 exec_lo, exec_lo, s0
	v_add_nc_u32_e32 v4, -1, v77
	s_waitcnt lgkmcnt(0)
	v_add_nc_u32_e32 v20, v19, v2
	v_add_nc_u32_e32 v5, v18, v1
	ds_load_b64 v[1:2], v3 offset:56
	v_cmp_gt_i32_e32 vcc_lo, 0, v4
	v_cndmask_b32_e32 v4, v4, v77, vcc_lo
	v_cmp_eq_u32_e32 vcc_lo, 0, v0
	s_delay_alu instid0(VALU_DEP_2)
	v_lshlrev_b32_e32 v4, 2, v4
	ds_bpermute_b32 v5, v4, v5
	ds_bpermute_b32 v20, v4, v20
	s_waitcnt lgkmcnt(2)
	v_readfirstlane_b32 s1, v2
	s_and_saveexec_b32 s0, vcc_lo
	s_cbranch_execz .LBB1163_123
; %bb.122:
	s_mov_b32 s6, 0
	s_add_u32 s4, s4, 0x200
	s_addc_u32 s5, s5, 0
	s_and_b32 s7, s1, 0xff000000
	s_and_b32 s9, s1, 0xff0000
	s_mov_b32 s8, s6
	v_mov_b32_e32 v22, s5
	s_or_b64 s[8:9], s[8:9], s[6:7]
	s_and_b32 s7, s1, 0xff00
	v_dual_mov_b32 v4, 0 :: v_dual_mov_b32 v21, s4
	s_or_b64 s[8:9], s[8:9], s[6:7]
	s_and_b32 s7, s1, 0xff
	v_mov_b32_e32 v3, 2
	s_or_b64 s[6:7], s[8:9], s[6:7]
	s_delay_alu instid0(SALU_CYCLE_1)
	v_mov_b32_e32 v2, s7
	;;#ASMSTART
	global_store_dwordx4 v[21:22], v[1:4] off	
s_waitcnt vmcnt(0)
	;;#ASMEND
.LBB1163_123:
	s_or_b32 exec_lo, exec_lo, s0
	v_cmp_eq_u32_e64 s0, 0, v77
	v_dual_mov_b32 v3, 0 :: v_dual_mov_b32 v2, s1
	s_waitcnt lgkmcnt(0)
	s_barrier
	s_delay_alu instid0(VALU_DEP_2)
	v_cndmask_b32_e64 v4, v5, v18, s0
	v_cndmask_b32_e64 v5, v20, v19, s0
	buffer_gl0_inv
	v_cndmask_b32_e64 v20, v4, 0, vcc_lo
	v_cndmask_b32_e64 v5, v5, 0, vcc_lo
	v_mov_b32_e32 v4, 0
.LBB1163_124:
	v_and_b32_e32 v30, 1, v30
	v_and_b32_e32 v34, 1, v34
	;; [unrolled: 1-line block ×4, first 2 shown]
	s_waitcnt lgkmcnt(0)
	v_add_co_u32 v18, s0, s28, v3
	v_cmp_eq_u32_e32 vcc_lo, 1, v30
	v_add_nc_u32_e32 v22, v5, v76
	v_sub_nc_u32_e32 v5, v5, v4
	v_add_co_ci_u32_e64 v19, null, s29, 0, s0
	s_mov_b32 s2, -1
	s_delay_alu instid0(VALU_DEP_3) | instskip(SKIP_3) | instid1(VALU_DEP_3)
	v_add_nc_u32_e32 v24, v22, v72
	v_sub_nc_u32_e32 v22, v22, v4
	v_add_nc_u32_e32 v5, v5, v1
	v_sub_co_u32 v72, s0, s30, v1
	v_add_nc_u32_e32 v22, v22, v1
	v_add_nc_u32_e32 v21, v20, v75
	v_sub_nc_u32_e32 v20, v20, v3
	s_delay_alu instid0(VALU_DEP_2)
	v_add_nc_u32_e32 v23, v21, v71
	v_add_nc_u32_e32 v71, v24, v74
	v_lshlrev_b32_e32 v74, 1, v1
	v_sub_nc_u32_e32 v21, v21, v3
	v_add_nc_u32_e32 v75, v20, v5
	v_sub_nc_u32_e32 v24, v24, v4
	s_delay_alu instid0(VALU_DEP_4) | instskip(NEXT) | instid1(VALU_DEP_4)
	v_add3_u32 v28, v74, v2, v28
	v_add_nc_u32_e32 v76, v22, v21
	s_delay_alu instid0(VALU_DEP_3) | instskip(NEXT) | instid1(VALU_DEP_3)
	v_add_nc_u32_e32 v24, v24, v1
	v_sub_nc_u32_e32 v75, v28, v75
	s_delay_alu instid0(VALU_DEP_3) | instskip(NEXT) | instid1(VALU_DEP_1)
	v_sub_nc_u32_e32 v76, v28, v76
	v_dual_cndmask_b32 v5, v75, v5 :: v_dual_add_nc_u32 v30, 1, v76
	v_cmp_eq_u32_e32 vcc_lo, 1, v34
	s_delay_alu instid0(VALU_DEP_2) | instskip(SKIP_1) | instid1(VALU_DEP_4)
	v_cndmask_b32_e32 v22, v30, v22, vcc_lo
	v_cmp_eq_u32_e32 vcc_lo, 1, v29
	v_cndmask_b32_e32 v5, v5, v20, vcc_lo
	v_and_b32_e32 v20, 1, v36
	v_cmp_eq_u32_e32 vcc_lo, 1, v33
	s_delay_alu instid0(VALU_DEP_3) | instskip(SKIP_1) | instid1(VALU_DEP_4)
	v_lshlrev_b32_e32 v5, 2, v5
	v_cndmask_b32_e32 v21, v22, v21, vcc_lo
	v_cmp_eq_u32_e32 vcc_lo, 1, v20
	v_add_nc_u32_e32 v25, v23, v73
	v_sub_nc_u32_e32 v23, v23, v3
	v_and_b32_e32 v22, 1, v31
	v_sub_co_ci_u32_e64 v73, null, s31, 0, s0
	v_and_b32_e32 v31, 1, v32
	s_delay_alu instid0(VALU_DEP_4) | instskip(NEXT) | instid1(VALU_DEP_1)
	v_add_nc_u32_e32 v77, v24, v23
	v_sub_nc_u32_e32 v75, v28, v77
	s_delay_alu instid0(VALU_DEP_1) | instskip(NEXT) | instid1(VALU_DEP_1)
	v_add_nc_u32_e32 v29, 2, v75
	v_cndmask_b32_e32 v20, v29, v24, vcc_lo
	v_sub_nc_u32_e32 v24, v71, v4
	v_cmp_eq_u32_e32 vcc_lo, 1, v22
	v_add_nc_u32_e32 v69, v25, v69
	v_lshlrev_b32_e32 v29, 2, v21
	ds_store_b32 v5, v16
	ds_store_b32 v29, v17
	v_cndmask_b32_e32 v22, v20, v23, vcc_lo
	v_sub_nc_u32_e32 v23, v25, v3
	v_add_nc_u32_e32 v24, v24, v1
	v_add_co_u32 v20, vcc_lo, v72, v4
	s_delay_alu instid0(VALU_DEP_4) | instskip(SKIP_1) | instid1(VALU_DEP_4)
	v_lshlrev_b32_e32 v5, 2, v22
	v_and_b32_e32 v22, 1, v35
	v_add_nc_u32_e32 v25, v23, v24
	v_add_co_ci_u32_e32 v21, vcc_lo, 0, v73, vcc_lo
	ds_store_b32 v5, v14
	v_cmp_eq_u32_e32 vcc_lo, 1, v22
	v_sub_nc_u32_e32 v17, v28, v25
	v_sub_nc_u32_e32 v29, v69, v3
	v_add_nc_u32_e32 v67, v69, v67
	s_delay_alu instid0(VALU_DEP_3) | instskip(NEXT) | instid1(VALU_DEP_2)
	v_add_nc_u32_e32 v17, 3, v17
	v_sub_nc_u32_e32 v30, v67, v3
	s_delay_alu instid0(VALU_DEP_2) | instskip(SKIP_2) | instid1(VALU_DEP_3)
	v_cndmask_b32_e32 v17, v17, v24, vcc_lo
	v_cmp_eq_u32_e32 vcc_lo, 1, v31
	v_and_b32_e32 v24, 1, v39
	v_cndmask_b32_e32 v14, v17, v23, vcc_lo
	v_add_nc_u32_e32 v70, v71, v70
	v_and_b32_e32 v23, 1, v38
	s_delay_alu instid0(VALU_DEP_3) | instskip(NEXT) | instid1(VALU_DEP_3)
	v_lshlrev_b32_e32 v14, 2, v14
	v_add_nc_u32_e32 v68, v70, v68
	v_sub_nc_u32_e32 v16, v70, v4
	ds_store_b32 v14, v15
	v_sub_nc_u32_e32 v25, v68, v4
	v_add_nc_u32_e32 v16, v16, v1
	s_delay_alu instid0(VALU_DEP_2) | instskip(NEXT) | instid1(VALU_DEP_2)
	v_add_nc_u32_e32 v25, v25, v1
	v_add_nc_u32_e32 v32, v29, v16
	s_delay_alu instid0(VALU_DEP_2) | instskip(NEXT) | instid1(VALU_DEP_2)
	v_add_nc_u32_e32 v22, v30, v25
	v_sub_nc_u32_e32 v5, v28, v32
	s_delay_alu instid0(VALU_DEP_2) | instskip(SKIP_1) | instid1(VALU_DEP_3)
	v_sub_nc_u32_e32 v17, v28, v22
	v_and_b32_e32 v22, 1, v37
	v_add_nc_u32_e32 v5, 4, v5
	s_delay_alu instid0(VALU_DEP_3) | instskip(NEXT) | instid1(VALU_DEP_3)
	v_add_nc_u32_e32 v17, 5, v17
	v_cmp_eq_u32_e32 vcc_lo, 1, v22
	s_delay_alu instid0(VALU_DEP_3)
	v_cndmask_b32_e32 v5, v5, v16, vcc_lo
	v_cmp_eq_u32_e32 vcc_lo, 1, v24
	v_and_b32_e32 v16, 1, v41
	v_cndmask_b32_e32 v17, v17, v25, vcc_lo
	v_cmp_eq_u32_e32 vcc_lo, 1, v23
	v_cndmask_b32_e32 v5, v5, v29, vcc_lo
	s_delay_alu instid0(VALU_DEP_4) | instskip(SKIP_1) | instid1(VALU_DEP_3)
	v_cmp_eq_u32_e32 vcc_lo, 1, v16
	v_add_nc_u32_e32 v66, v68, v66
	v_dual_cndmask_b32 v16, v17, v30 :: v_dual_lshlrev_b32 v5, 2, v5
	s_delay_alu instid0(VALU_DEP_2) | instskip(SKIP_1) | instid1(VALU_DEP_3)
	v_sub_nc_u32_e32 v22, v66, v4
	v_add_nc_u32_e32 v62, v66, v62
	v_lshlrev_b32_e32 v16, 2, v16
	ds_store_b32 v5, v12
	ds_store_b32 v16, v13
	v_and_b32_e32 v12, 1, v40
	v_add_nc_u32_e32 v22, v22, v1
	v_add_nc_u32_e32 v64, v62, v64
	v_sub_nc_u32_e32 v17, v62, v4
	v_and_b32_e32 v16, 1, v43
	v_cmp_eq_u32_e32 vcc_lo, 1, v12
	v_add_nc_u32_e32 v65, v67, v65
	v_sub_nc_u32_e32 v15, v64, v4
	v_add_nc_u32_e32 v17, v17, v1
	s_delay_alu instid0(VALU_DEP_3) | instskip(NEXT) | instid1(VALU_DEP_3)
	v_sub_nc_u32_e32 v23, v65, v3
	v_add_nc_u32_e32 v15, v15, v1
	s_delay_alu instid0(VALU_DEP_2) | instskip(NEXT) | instid1(VALU_DEP_1)
	v_add_nc_u32_e32 v24, v23, v22
	v_sub_nc_u32_e32 v14, v28, v24
	v_and_b32_e32 v24, 1, v48
	s_delay_alu instid0(VALU_DEP_2) | instskip(SKIP_1) | instid1(VALU_DEP_2)
	v_add_nc_u32_e32 v13, 6, v14
	v_and_b32_e32 v14, 1, v42
	v_cndmask_b32_e32 v12, v13, v22, vcc_lo
	v_add_nc_u32_e32 v61, v65, v61
	s_delay_alu instid0(VALU_DEP_3) | instskip(SKIP_1) | instid1(VALU_DEP_3)
	v_cmp_eq_u32_e32 vcc_lo, 1, v14
	v_and_b32_e32 v22, 1, v44
	v_sub_nc_u32_e32 v25, v61, v3
	v_add_nc_u32_e32 v63, v61, v63
	v_cndmask_b32_e32 v12, v12, v23, vcc_lo
	v_cmp_eq_u32_e32 vcc_lo, 1, v16
	v_and_b32_e32 v23, 1, v46
	v_add_nc_u32_e32 v5, v25, v17
	v_sub_nc_u32_e32 v13, v63, v3
	v_lshlrev_b32_e32 v12, 2, v12
	v_add_nc_u32_e32 v59, v63, v59
	s_delay_alu instid0(VALU_DEP_4) | instskip(NEXT) | instid1(VALU_DEP_4)
	v_sub_nc_u32_e32 v5, v28, v5
	v_add_nc_u32_e32 v14, v13, v15
	s_delay_alu instid0(VALU_DEP_3) | instskip(NEXT) | instid1(VALU_DEP_3)
	v_add_nc_u32_e32 v57, v59, v57
	v_add_nc_u32_e32 v5, 7, v5
	s_delay_alu instid0(VALU_DEP_3) | instskip(NEXT) | instid1(VALU_DEP_3)
	v_sub_nc_u32_e32 v14, v28, v14
	v_add_nc_u32_e32 v55, v57, v55
	s_delay_alu instid0(VALU_DEP_3)
	v_cndmask_b32_e32 v5, v5, v17, vcc_lo
	v_cmp_eq_u32_e32 vcc_lo, 1, v22
	v_and_b32_e32 v17, 1, v45
	v_add_nc_u32_e32 v14, 8, v14
	v_sub_nc_u32_e32 v22, v59, v3
	v_add_nc_u32_e32 v53, v55, v53
	v_cndmask_b32_e32 v5, v5, v25, vcc_lo
	v_cmp_eq_u32_e32 vcc_lo, 1, v17
	v_sub_nc_u32_e32 v17, v55, v3
	v_and_b32_e32 v25, 1, v52
	s_delay_alu instid0(VALU_DEP_4)
	v_dual_cndmask_b32 v14, v14, v15 :: v_dual_lshlrev_b32 v5, 2, v5
	v_cmp_eq_u32_e32 vcc_lo, 1, v23
	v_add_nc_u32_e32 v60, v64, v60
	ds_store_b32 v12, v10
	ds_store_b32 v5, v11
	v_and_b32_e32 v11, 1, v49
	v_cndmask_b32_e32 v5, v14, v13, vcc_lo
	v_sub_nc_u32_e32 v16, v60, v4
	v_add_nc_u32_e32 v58, v60, v58
	v_and_b32_e32 v13, 1, v47
	s_delay_alu instid0(VALU_DEP_4) | instskip(NEXT) | instid1(VALU_DEP_4)
	v_lshlrev_b32_e32 v5, 2, v5
	v_add_nc_u32_e32 v16, v16, v1
	s_delay_alu instid0(VALU_DEP_4) | instskip(SKIP_2) | instid1(VALU_DEP_4)
	v_add_nc_u32_e32 v56, v58, v56
	v_sub_nc_u32_e32 v12, v58, v4
	v_cmp_eq_u32_e32 vcc_lo, 1, v13
	v_add_nc_u32_e32 v15, v22, v16
	s_delay_alu instid0(VALU_DEP_4) | instskip(NEXT) | instid1(VALU_DEP_4)
	v_sub_nc_u32_e32 v14, v56, v4
	v_add_nc_u32_e32 v12, v12, v1
	v_add_nc_u32_e32 v54, v56, v54
	s_delay_alu instid0(VALU_DEP_4) | instskip(SKIP_2) | instid1(VALU_DEP_4)
	v_sub_nc_u32_e32 v10, v28, v15
	v_sub_nc_u32_e32 v15, v57, v3
	v_add_nc_u32_e32 v14, v14, v1
	v_sub_nc_u32_e32 v23, v54, v4
	v_sub_nc_u32_e32 v3, v53, v3
	v_add_nc_u32_e32 v10, 9, v10
	v_add_nc_u32_e32 v13, v15, v12
	s_delay_alu instid0(VALU_DEP_2) | instskip(SKIP_2) | instid1(VALU_DEP_4)
	v_dual_cndmask_b32 v10, v10, v16 :: v_dual_add_nc_u32 v23, v23, v1
	v_add_nc_u32_e32 v16, v17, v14
	v_cmp_eq_u32_e32 vcc_lo, 1, v11
	v_sub_nc_u32_e32 v11, v28, v13
	v_and_b32_e32 v13, 1, v50
	s_delay_alu instid0(VALU_DEP_4) | instskip(NEXT) | instid1(VALU_DEP_3)
	v_sub_nc_u32_e32 v16, v28, v16
	v_dual_cndmask_b32 v10, v10, v22 :: v_dual_add_nc_u32 v11, 10, v11
	v_cmp_eq_u32_e32 vcc_lo, 1, v24
	v_add_nc_u32_e32 v22, v3, v23
	s_delay_alu instid0(VALU_DEP_4) | instskip(NEXT) | instid1(VALU_DEP_4)
	v_add_nc_u32_e32 v16, 11, v16
	v_dual_cndmask_b32 v11, v11, v12 :: v_dual_lshlrev_b32 v10, 2, v10
	v_cmp_eq_u32_e32 vcc_lo, 1, v25
	s_delay_alu instid0(VALU_DEP_4) | instskip(SKIP_3) | instid1(VALU_DEP_4)
	v_sub_nc_u32_e32 v22, v28, v22
	v_and_b32_e32 v12, 1, v51
	v_cndmask_b32_e32 v14, v16, v14, vcc_lo
	v_cmp_eq_u32_e32 vcc_lo, 1, v13
	v_dual_cndmask_b32 v11, v11, v15 :: v_dual_add_nc_u32 v16, 12, v22
	s_delay_alu instid0(VALU_DEP_4) | instskip(NEXT) | instid1(VALU_DEP_2)
	v_cmp_eq_u32_e32 vcc_lo, 1, v12
	v_cndmask_b32_e64 v13, v16, v23, s43
	s_delay_alu instid0(VALU_DEP_3) | instskip(NEXT) | instid1(VALU_DEP_2)
	v_dual_cndmask_b32 v12, v14, v17 :: v_dual_lshlrev_b32 v11, 2, v11
	v_cndmask_b32_e64 v3, v13, v3, s42
	s_delay_alu instid0(VALU_DEP_2)
	v_lshlrev_b32_e32 v12, 2, v12
	ds_store_b32 v5, v8
	ds_store_b32 v10, v9
	;; [unrolled: 1-line block ×4, first 2 shown]
	v_lshlrev_b32_e32 v3, 2, v3
	v_add_co_u32 v5, s0, v2, v74
	s_delay_alu instid0(VALU_DEP_1) | instskip(SKIP_4) | instid1(VALU_DEP_2)
	v_add_co_ci_u32_e64 v6, null, 0, 0, s0
	ds_store_b32 v3, v27
	v_add_co_u32 v3, vcc_lo, v5, v20
	v_add_co_ci_u32_e32 v5, vcc_lo, v6, v21, vcc_lo
	s_add_u32 s0, s34, s33
	v_add_co_u32 v3, vcc_lo, v3, v18
	s_delay_alu instid0(VALU_DEP_2) | instskip(SKIP_1) | instid1(VALU_DEP_2)
	v_add_co_ci_u32_e32 v5, vcc_lo, v5, v19, vcc_lo
	s_addc_u32 s1, s35, 0
	v_sub_co_u32 v3, vcc_lo, s0, v3
	s_delay_alu instid0(VALU_DEP_2)
	v_sub_co_ci_u32_e32 v9, vcc_lo, s1, v5, vcc_lo
	v_lshlrev_b64 v[5:6], 2, v[20:21]
	v_lshlrev_b64 v[7:8], 2, v[18:19]
	v_add_nc_u32_e32 v10, v1, v2
	s_add_u32 s1, s26, -4
	s_waitcnt lgkmcnt(0)
	s_barrier
	v_add_co_u32 v5, vcc_lo, s38, v5
	v_add_co_ci_u32_e32 v6, vcc_lo, s39, v6, vcc_lo
	v_cmp_ne_u32_e32 vcc_lo, 1, v26
	v_add_co_u32 v7, s0, s36, v7
	s_delay_alu instid0(VALU_DEP_1)
	v_add_co_ci_u32_e64 v8, s0, s37, v8, s0
	s_addc_u32 s0, s27, -1
	buffer_gl0_inv
	s_cbranch_vccz .LBB1163_128
; %bb.125:
	s_and_b32 vcc_lo, exec_lo, s2
	s_cbranch_vccnz .LBB1163_233
.LBB1163_126:
	v_cmp_eq_u32_e32 vcc_lo, 0, v0
	s_and_b32 s0, vcc_lo, s14
	s_delay_alu instid0(SALU_CYCLE_1)
	s_and_saveexec_b32 s1, s0
	s_cbranch_execnz .LBB1163_351
.LBB1163_127:
	s_nop 0
	s_sendmsg sendmsg(MSG_DEALLOC_VGPRS)
	s_endpgm
.LBB1163_128:
	s_mov_b32 s2, exec_lo
	v_cmpx_le_u32_e64 v1, v0
	s_xor_b32 s2, exec_lo, s2
	s_cbranch_execz .LBB1163_134
; %bb.129:
	s_mov_b32 s4, exec_lo
	v_cmpx_le_u32_e64 v10, v0
	s_xor_b32 s4, exec_lo, s4
	s_cbranch_execz .LBB1163_131
; %bb.130:
	v_lshlrev_b32_e32 v11, 2, v0
	ds_load_b32 v13, v11
	v_add_co_u32 v11, vcc_lo, v3, v0
	v_add_co_ci_u32_e32 v12, vcc_lo, 0, v9, vcc_lo
	s_delay_alu instid0(VALU_DEP_1) | instskip(NEXT) | instid1(VALU_DEP_1)
	v_lshlrev_b64 v[11:12], 2, v[11:12]
	v_sub_co_u32 v11, vcc_lo, s26, v11
	s_delay_alu instid0(VALU_DEP_2)
	v_sub_co_ci_u32_e32 v12, vcc_lo, s27, v12, vcc_lo
	s_waitcnt lgkmcnt(0)
	global_store_b32 v[11:12], v13, off offset:-4
.LBB1163_131:
	s_and_not1_saveexec_b32 s4, s4
	s_cbranch_execz .LBB1163_133
; %bb.132:
	v_lshlrev_b32_e32 v11, 2, v0
	v_readfirstlane_b32 s6, v5
	v_readfirstlane_b32 s7, v6
	ds_load_b32 v12, v11
	s_waitcnt lgkmcnt(0)
	global_store_b32 v11, v12, s[6:7]
.LBB1163_133:
	s_or_b32 exec_lo, exec_lo, s4
.LBB1163_134:
	s_and_not1_saveexec_b32 s2, s2
	s_cbranch_execz .LBB1163_136
; %bb.135:
	v_lshlrev_b32_e32 v11, 2, v0
	v_readfirstlane_b32 s4, v7
	v_readfirstlane_b32 s5, v8
	ds_load_b32 v12, v11
	s_waitcnt lgkmcnt(0)
	global_store_b32 v11, v12, s[4:5]
.LBB1163_136:
	s_or_b32 exec_lo, exec_lo, s2
	v_or_b32_e32 v11, 0x100, v0
	s_mov_b32 s2, exec_lo
	s_delay_alu instid0(VALU_DEP_1)
	v_cmpx_le_u32_e64 v1, v11
	s_xor_b32 s2, exec_lo, s2
	s_cbranch_execz .LBB1163_142
; %bb.137:
	s_mov_b32 s4, exec_lo
	v_cmpx_le_u32_e64 v10, v11
	s_xor_b32 s4, exec_lo, s4
	s_cbranch_execz .LBB1163_139
; %bb.138:
	v_lshlrev_b32_e32 v11, 2, v0
	ds_load_b32 v13, v11 offset:1024
	v_add_co_u32 v11, vcc_lo, v3, v0
	v_add_co_ci_u32_e32 v12, vcc_lo, 0, v9, vcc_lo
	s_delay_alu instid0(VALU_DEP_1) | instskip(NEXT) | instid1(VALU_DEP_1)
	v_lshlrev_b64 v[11:12], 2, v[11:12]
	v_sub_co_u32 v11, vcc_lo, s1, v11
	s_delay_alu instid0(VALU_DEP_2)
	v_sub_co_ci_u32_e32 v12, vcc_lo, s0, v12, vcc_lo
	s_waitcnt lgkmcnt(0)
	global_store_b32 v[11:12], v13, off offset:-1024
.LBB1163_139:
	s_and_not1_saveexec_b32 s4, s4
	s_cbranch_execz .LBB1163_141
; %bb.140:
	v_lshlrev_b32_e32 v11, 2, v0
	v_readfirstlane_b32 s6, v5
	v_readfirstlane_b32 s7, v6
	ds_load_b32 v12, v11 offset:1024
	s_waitcnt lgkmcnt(0)
	global_store_b32 v11, v12, s[6:7] offset:1024
.LBB1163_141:
	s_or_b32 exec_lo, exec_lo, s4
.LBB1163_142:
	s_and_not1_saveexec_b32 s2, s2
	s_cbranch_execz .LBB1163_144
; %bb.143:
	v_lshlrev_b32_e32 v11, 2, v0
	v_readfirstlane_b32 s4, v7
	v_readfirstlane_b32 s5, v8
	ds_load_b32 v12, v11 offset:1024
	s_waitcnt lgkmcnt(0)
	global_store_b32 v11, v12, s[4:5] offset:1024
.LBB1163_144:
	s_or_b32 exec_lo, exec_lo, s2
	v_or_b32_e32 v11, 0x200, v0
	s_mov_b32 s2, exec_lo
	s_delay_alu instid0(VALU_DEP_1)
	v_cmpx_le_u32_e64 v1, v11
	s_xor_b32 s2, exec_lo, s2
	s_cbranch_execz .LBB1163_150
; %bb.145:
	s_mov_b32 s4, exec_lo
	v_cmpx_le_u32_e64 v10, v11
	s_xor_b32 s4, exec_lo, s4
	s_cbranch_execz .LBB1163_147
; %bb.146:
	v_lshlrev_b32_e32 v11, 2, v0
	ds_load_b32 v13, v11 offset:2048
	v_add_co_u32 v11, vcc_lo, v3, v0
	v_add_co_ci_u32_e32 v12, vcc_lo, 0, v9, vcc_lo
	s_delay_alu instid0(VALU_DEP_1) | instskip(NEXT) | instid1(VALU_DEP_1)
	v_lshlrev_b64 v[11:12], 2, v[11:12]
	v_sub_co_u32 v11, vcc_lo, s1, v11
	s_delay_alu instid0(VALU_DEP_2)
	v_sub_co_ci_u32_e32 v12, vcc_lo, s0, v12, vcc_lo
	s_waitcnt lgkmcnt(0)
	global_store_b32 v[11:12], v13, off offset:-2048
.LBB1163_147:
	s_and_not1_saveexec_b32 s4, s4
	s_cbranch_execz .LBB1163_149
; %bb.148:
	v_lshlrev_b32_e32 v11, 2, v0
	v_readfirstlane_b32 s6, v5
	v_readfirstlane_b32 s7, v6
	ds_load_b32 v12, v11 offset:2048
	s_waitcnt lgkmcnt(0)
	global_store_b32 v11, v12, s[6:7] offset:2048
.LBB1163_149:
	s_or_b32 exec_lo, exec_lo, s4
.LBB1163_150:
	s_and_not1_saveexec_b32 s2, s2
	s_cbranch_execz .LBB1163_152
; %bb.151:
	v_lshlrev_b32_e32 v11, 2, v0
	v_readfirstlane_b32 s4, v7
	v_readfirstlane_b32 s5, v8
	ds_load_b32 v12, v11 offset:2048
	s_waitcnt lgkmcnt(0)
	global_store_b32 v11, v12, s[4:5] offset:2048
.LBB1163_152:
	;; [unrolled: 47-line block ×3, first 2 shown]
	s_or_b32 exec_lo, exec_lo, s2
	v_or_b32_e32 v11, 0x400, v0
	s_mov_b32 s2, exec_lo
	s_delay_alu instid0(VALU_DEP_1)
	v_cmpx_le_u32_e64 v1, v11
	s_xor_b32 s2, exec_lo, s2
	s_cbranch_execz .LBB1163_166
; %bb.161:
	s_mov_b32 s4, exec_lo
	v_cmpx_le_u32_e64 v10, v11
	s_xor_b32 s4, exec_lo, s4
	s_cbranch_execz .LBB1163_163
; %bb.162:
	v_lshlrev_b32_e32 v11, 2, v0
	ds_load_b32 v13, v11 offset:4096
	v_add_co_u32 v11, vcc_lo, v3, v0
	v_add_co_ci_u32_e32 v12, vcc_lo, 0, v9, vcc_lo
	s_delay_alu instid0(VALU_DEP_1) | instskip(NEXT) | instid1(VALU_DEP_1)
	v_lshlrev_b64 v[11:12], 2, v[11:12]
	v_sub_co_u32 v11, vcc_lo, s1, v11
	s_delay_alu instid0(VALU_DEP_2)
	v_sub_co_ci_u32_e32 v12, vcc_lo, s0, v12, vcc_lo
	s_waitcnt lgkmcnt(0)
	global_store_b32 v[11:12], v13, off offset:-4096
                                        ; implicit-def: $vgpr11
.LBB1163_163:
	s_and_not1_saveexec_b32 s4, s4
	s_cbranch_execz .LBB1163_165
; %bb.164:
	v_lshlrev_b32_e32 v12, 2, v0
	v_lshlrev_b32_e32 v11, 2, v11
	v_readfirstlane_b32 s6, v5
	v_readfirstlane_b32 s7, v6
	ds_load_b32 v12, v12 offset:4096
	s_waitcnt lgkmcnt(0)
	global_store_b32 v11, v12, s[6:7]
.LBB1163_165:
	s_or_b32 exec_lo, exec_lo, s4
                                        ; implicit-def: $vgpr11
.LBB1163_166:
	s_and_not1_saveexec_b32 s2, s2
	s_cbranch_execz .LBB1163_168
; %bb.167:
	v_lshlrev_b32_e32 v12, 2, v0
	v_lshlrev_b32_e32 v11, 2, v11
	v_readfirstlane_b32 s4, v7
	v_readfirstlane_b32 s5, v8
	ds_load_b32 v12, v12 offset:4096
	s_waitcnt lgkmcnt(0)
	global_store_b32 v11, v12, s[4:5]
.LBB1163_168:
	s_or_b32 exec_lo, exec_lo, s2
	v_or_b32_e32 v11, 0x500, v0
	s_mov_b32 s2, exec_lo
	s_delay_alu instid0(VALU_DEP_1)
	v_cmpx_le_u32_e64 v1, v11
	s_xor_b32 s2, exec_lo, s2
	s_cbranch_execz .LBB1163_174
; %bb.169:
	s_mov_b32 s4, exec_lo
	v_cmpx_le_u32_e64 v10, v11
	s_xor_b32 s4, exec_lo, s4
	s_cbranch_execz .LBB1163_171
; %bb.170:
	v_lshlrev_b32_e32 v12, 2, v0
	v_add_co_u32 v11, vcc_lo, v3, v11
	ds_load_b32 v13, v12 offset:5120
	v_add_co_ci_u32_e32 v12, vcc_lo, 0, v9, vcc_lo
	s_delay_alu instid0(VALU_DEP_1) | instskip(NEXT) | instid1(VALU_DEP_1)
	v_lshlrev_b64 v[11:12], 2, v[11:12]
	v_sub_co_u32 v11, vcc_lo, s1, v11
	s_delay_alu instid0(VALU_DEP_2)
	v_sub_co_ci_u32_e32 v12, vcc_lo, s0, v12, vcc_lo
	s_waitcnt lgkmcnt(0)
	global_store_b32 v[11:12], v13, off
                                        ; implicit-def: $vgpr11
.LBB1163_171:
	s_and_not1_saveexec_b32 s4, s4
	s_cbranch_execz .LBB1163_173
; %bb.172:
	v_lshlrev_b32_e32 v12, 2, v0
	v_lshlrev_b32_e32 v11, 2, v11
	v_readfirstlane_b32 s6, v5
	v_readfirstlane_b32 s7, v6
	ds_load_b32 v12, v12 offset:5120
	s_waitcnt lgkmcnt(0)
	global_store_b32 v11, v12, s[6:7]
.LBB1163_173:
	s_or_b32 exec_lo, exec_lo, s4
                                        ; implicit-def: $vgpr11
.LBB1163_174:
	s_and_not1_saveexec_b32 s2, s2
	s_cbranch_execz .LBB1163_176
; %bb.175:
	v_lshlrev_b32_e32 v12, 2, v0
	v_lshlrev_b32_e32 v11, 2, v11
	v_readfirstlane_b32 s4, v7
	v_readfirstlane_b32 s5, v8
	ds_load_b32 v12, v12 offset:5120
	s_waitcnt lgkmcnt(0)
	global_store_b32 v11, v12, s[4:5]
.LBB1163_176:
	s_or_b32 exec_lo, exec_lo, s2
	v_or_b32_e32 v11, 0x600, v0
	s_mov_b32 s2, exec_lo
	s_delay_alu instid0(VALU_DEP_1)
	v_cmpx_le_u32_e64 v1, v11
	s_xor_b32 s2, exec_lo, s2
	s_cbranch_execz .LBB1163_182
; %bb.177:
	s_mov_b32 s4, exec_lo
	v_cmpx_le_u32_e64 v10, v11
	s_xor_b32 s4, exec_lo, s4
	s_cbranch_execz .LBB1163_179
; %bb.178:
	v_lshlrev_b32_e32 v12, 2, v0
	v_add_co_u32 v11, vcc_lo, v3, v11
	ds_load_b32 v13, v12 offset:6144
	v_add_co_ci_u32_e32 v12, vcc_lo, 0, v9, vcc_lo
	s_delay_alu instid0(VALU_DEP_1) | instskip(NEXT) | instid1(VALU_DEP_1)
	v_lshlrev_b64 v[11:12], 2, v[11:12]
	v_sub_co_u32 v11, vcc_lo, s1, v11
	s_delay_alu instid0(VALU_DEP_2)
	v_sub_co_ci_u32_e32 v12, vcc_lo, s0, v12, vcc_lo
	s_waitcnt lgkmcnt(0)
	global_store_b32 v[11:12], v13, off
                                        ; implicit-def: $vgpr11
.LBB1163_179:
	s_and_not1_saveexec_b32 s4, s4
	s_cbranch_execz .LBB1163_181
; %bb.180:
	v_lshlrev_b32_e32 v12, 2, v0
	v_lshlrev_b32_e32 v11, 2, v11
	v_readfirstlane_b32 s6, v5
	v_readfirstlane_b32 s7, v6
	ds_load_b32 v12, v12 offset:6144
	s_waitcnt lgkmcnt(0)
	global_store_b32 v11, v12, s[6:7]
.LBB1163_181:
	s_or_b32 exec_lo, exec_lo, s4
                                        ; implicit-def: $vgpr11
.LBB1163_182:
	;; [unrolled: 51-line block ×8, first 2 shown]
	s_and_not1_saveexec_b32 s2, s2
	s_cbranch_execz .LBB1163_232
; %bb.231:
	v_lshlrev_b32_e32 v12, 2, v0
	v_lshlrev_b32_e32 v11, 2, v11
	v_readfirstlane_b32 s4, v7
	v_readfirstlane_b32 s5, v8
	ds_load_b32 v12, v12 offset:12288
	s_waitcnt lgkmcnt(0)
	global_store_b32 v11, v12, s[4:5]
.LBB1163_232:
	s_or_b32 exec_lo, exec_lo, s2
	s_branch .LBB1163_126
.LBB1163_233:
	s_mov_b32 s2, exec_lo
	v_cmpx_gt_u32_e64 s3, v0
	s_cbranch_execz .LBB1163_242
; %bb.234:
	s_mov_b32 s4, exec_lo
	v_cmpx_le_u32_e64 v1, v0
	s_xor_b32 s4, exec_lo, s4
	s_cbranch_execz .LBB1163_240
; %bb.235:
	s_mov_b32 s5, exec_lo
	v_cmpx_le_u32_e64 v10, v0
	s_xor_b32 s5, exec_lo, s5
	s_cbranch_execz .LBB1163_237
; %bb.236:
	v_lshlrev_b32_e32 v11, 2, v0
	ds_load_b32 v13, v11
	v_add_co_u32 v11, vcc_lo, v3, v0
	v_add_co_ci_u32_e32 v12, vcc_lo, 0, v9, vcc_lo
	s_delay_alu instid0(VALU_DEP_1) | instskip(NEXT) | instid1(VALU_DEP_1)
	v_lshlrev_b64 v[11:12], 2, v[11:12]
	v_sub_co_u32 v11, vcc_lo, s26, v11
	s_delay_alu instid0(VALU_DEP_2)
	v_sub_co_ci_u32_e32 v12, vcc_lo, s27, v12, vcc_lo
	s_waitcnt lgkmcnt(0)
	global_store_b32 v[11:12], v13, off offset:-4
.LBB1163_237:
	s_and_not1_saveexec_b32 s5, s5
	s_cbranch_execz .LBB1163_239
; %bb.238:
	v_lshlrev_b32_e32 v11, 2, v0
	v_readfirstlane_b32 s6, v5
	v_readfirstlane_b32 s7, v6
	ds_load_b32 v12, v11
	s_waitcnt lgkmcnt(0)
	global_store_b32 v11, v12, s[6:7]
.LBB1163_239:
	s_or_b32 exec_lo, exec_lo, s5
.LBB1163_240:
	s_and_not1_saveexec_b32 s4, s4
	s_cbranch_execz .LBB1163_242
; %bb.241:
	v_lshlrev_b32_e32 v11, 2, v0
	v_readfirstlane_b32 s4, v7
	v_readfirstlane_b32 s5, v8
	ds_load_b32 v12, v11
	s_waitcnt lgkmcnt(0)
	global_store_b32 v11, v12, s[4:5]
.LBB1163_242:
	s_or_b32 exec_lo, exec_lo, s2
	v_or_b32_e32 v11, 0x100, v0
	s_mov_b32 s2, exec_lo
	s_delay_alu instid0(VALU_DEP_1)
	v_cmpx_gt_u32_e64 s3, v11
	s_cbranch_execz .LBB1163_251
; %bb.243:
	s_mov_b32 s4, exec_lo
	v_cmpx_le_u32_e64 v1, v11
	s_xor_b32 s4, exec_lo, s4
	s_cbranch_execz .LBB1163_249
; %bb.244:
	s_mov_b32 s5, exec_lo
	v_cmpx_le_u32_e64 v10, v11
	s_xor_b32 s5, exec_lo, s5
	s_cbranch_execz .LBB1163_246
; %bb.245:
	v_lshlrev_b32_e32 v11, 2, v0
	ds_load_b32 v13, v11 offset:1024
	v_add_co_u32 v11, vcc_lo, v3, v0
	v_add_co_ci_u32_e32 v12, vcc_lo, 0, v9, vcc_lo
	s_delay_alu instid0(VALU_DEP_1) | instskip(NEXT) | instid1(VALU_DEP_1)
	v_lshlrev_b64 v[11:12], 2, v[11:12]
	v_sub_co_u32 v11, vcc_lo, s1, v11
	s_delay_alu instid0(VALU_DEP_2)
	v_sub_co_ci_u32_e32 v12, vcc_lo, s0, v12, vcc_lo
	s_waitcnt lgkmcnt(0)
	global_store_b32 v[11:12], v13, off offset:-1024
.LBB1163_246:
	s_and_not1_saveexec_b32 s5, s5
	s_cbranch_execz .LBB1163_248
; %bb.247:
	v_lshlrev_b32_e32 v11, 2, v0
	v_readfirstlane_b32 s6, v5
	v_readfirstlane_b32 s7, v6
	ds_load_b32 v12, v11 offset:1024
	s_waitcnt lgkmcnt(0)
	global_store_b32 v11, v12, s[6:7] offset:1024
.LBB1163_248:
	s_or_b32 exec_lo, exec_lo, s5
.LBB1163_249:
	s_and_not1_saveexec_b32 s4, s4
	s_cbranch_execz .LBB1163_251
; %bb.250:
	v_lshlrev_b32_e32 v11, 2, v0
	v_readfirstlane_b32 s4, v7
	v_readfirstlane_b32 s5, v8
	ds_load_b32 v12, v11 offset:1024
	s_waitcnt lgkmcnt(0)
	global_store_b32 v11, v12, s[4:5] offset:1024
.LBB1163_251:
	s_or_b32 exec_lo, exec_lo, s2
	v_or_b32_e32 v11, 0x200, v0
	s_mov_b32 s2, exec_lo
	s_delay_alu instid0(VALU_DEP_1)
	v_cmpx_gt_u32_e64 s3, v11
	s_cbranch_execz .LBB1163_260
; %bb.252:
	s_mov_b32 s4, exec_lo
	v_cmpx_le_u32_e64 v1, v11
	s_xor_b32 s4, exec_lo, s4
	s_cbranch_execz .LBB1163_258
; %bb.253:
	s_mov_b32 s5, exec_lo
	v_cmpx_le_u32_e64 v10, v11
	s_xor_b32 s5, exec_lo, s5
	s_cbranch_execz .LBB1163_255
; %bb.254:
	v_lshlrev_b32_e32 v11, 2, v0
	ds_load_b32 v13, v11 offset:2048
	v_add_co_u32 v11, vcc_lo, v3, v0
	v_add_co_ci_u32_e32 v12, vcc_lo, 0, v9, vcc_lo
	s_delay_alu instid0(VALU_DEP_1) | instskip(NEXT) | instid1(VALU_DEP_1)
	v_lshlrev_b64 v[11:12], 2, v[11:12]
	v_sub_co_u32 v11, vcc_lo, s1, v11
	s_delay_alu instid0(VALU_DEP_2)
	v_sub_co_ci_u32_e32 v12, vcc_lo, s0, v12, vcc_lo
	s_waitcnt lgkmcnt(0)
	global_store_b32 v[11:12], v13, off offset:-2048
.LBB1163_255:
	s_and_not1_saveexec_b32 s5, s5
	s_cbranch_execz .LBB1163_257
; %bb.256:
	v_lshlrev_b32_e32 v11, 2, v0
	v_readfirstlane_b32 s6, v5
	v_readfirstlane_b32 s7, v6
	ds_load_b32 v12, v11 offset:2048
	s_waitcnt lgkmcnt(0)
	global_store_b32 v11, v12, s[6:7] offset:2048
.LBB1163_257:
	s_or_b32 exec_lo, exec_lo, s5
.LBB1163_258:
	s_and_not1_saveexec_b32 s4, s4
	s_cbranch_execz .LBB1163_260
; %bb.259:
	v_lshlrev_b32_e32 v11, 2, v0
	v_readfirstlane_b32 s4, v7
	v_readfirstlane_b32 s5, v8
	ds_load_b32 v12, v11 offset:2048
	s_waitcnt lgkmcnt(0)
	global_store_b32 v11, v12, s[4:5] offset:2048
.LBB1163_260:
	;; [unrolled: 51-line block ×3, first 2 shown]
	s_or_b32 exec_lo, exec_lo, s2
	v_or_b32_e32 v11, 0x400, v0
	s_mov_b32 s2, exec_lo
	s_delay_alu instid0(VALU_DEP_1)
	v_cmpx_gt_u32_e64 s3, v11
	s_cbranch_execz .LBB1163_278
; %bb.270:
	s_mov_b32 s4, exec_lo
	v_cmpx_le_u32_e64 v1, v11
	s_xor_b32 s4, exec_lo, s4
	s_cbranch_execz .LBB1163_276
; %bb.271:
	s_mov_b32 s5, exec_lo
	v_cmpx_le_u32_e64 v10, v11
	s_xor_b32 s5, exec_lo, s5
	s_cbranch_execz .LBB1163_273
; %bb.272:
	v_lshlrev_b32_e32 v11, 2, v0
	ds_load_b32 v13, v11 offset:4096
	v_add_co_u32 v11, vcc_lo, v3, v0
	v_add_co_ci_u32_e32 v12, vcc_lo, 0, v9, vcc_lo
	s_delay_alu instid0(VALU_DEP_1) | instskip(NEXT) | instid1(VALU_DEP_1)
	v_lshlrev_b64 v[11:12], 2, v[11:12]
	v_sub_co_u32 v11, vcc_lo, s1, v11
	s_delay_alu instid0(VALU_DEP_2)
	v_sub_co_ci_u32_e32 v12, vcc_lo, s0, v12, vcc_lo
	s_waitcnt lgkmcnt(0)
	global_store_b32 v[11:12], v13, off offset:-4096
                                        ; implicit-def: $vgpr11
.LBB1163_273:
	s_and_not1_saveexec_b32 s5, s5
	s_cbranch_execz .LBB1163_275
; %bb.274:
	v_lshlrev_b32_e32 v12, 2, v0
	v_lshlrev_b32_e32 v11, 2, v11
	v_readfirstlane_b32 s6, v5
	v_readfirstlane_b32 s7, v6
	ds_load_b32 v12, v12 offset:4096
	s_waitcnt lgkmcnt(0)
	global_store_b32 v11, v12, s[6:7]
.LBB1163_275:
	s_or_b32 exec_lo, exec_lo, s5
                                        ; implicit-def: $vgpr11
.LBB1163_276:
	s_and_not1_saveexec_b32 s4, s4
	s_cbranch_execz .LBB1163_278
; %bb.277:
	v_lshlrev_b32_e32 v12, 2, v0
	v_lshlrev_b32_e32 v11, 2, v11
	v_readfirstlane_b32 s4, v7
	v_readfirstlane_b32 s5, v8
	ds_load_b32 v12, v12 offset:4096
	s_waitcnt lgkmcnt(0)
	global_store_b32 v11, v12, s[4:5]
.LBB1163_278:
	s_or_b32 exec_lo, exec_lo, s2
	v_or_b32_e32 v11, 0x500, v0
	s_mov_b32 s2, exec_lo
	s_delay_alu instid0(VALU_DEP_1)
	v_cmpx_gt_u32_e64 s3, v11
	s_cbranch_execz .LBB1163_287
; %bb.279:
	s_mov_b32 s4, exec_lo
	v_cmpx_le_u32_e64 v1, v11
	s_xor_b32 s4, exec_lo, s4
	s_cbranch_execz .LBB1163_285
; %bb.280:
	s_mov_b32 s5, exec_lo
	v_cmpx_le_u32_e64 v10, v11
	s_xor_b32 s5, exec_lo, s5
	s_cbranch_execz .LBB1163_282
; %bb.281:
	v_lshlrev_b32_e32 v12, 2, v0
	v_add_co_u32 v11, vcc_lo, v3, v11
	ds_load_b32 v13, v12 offset:5120
	v_add_co_ci_u32_e32 v12, vcc_lo, 0, v9, vcc_lo
	s_delay_alu instid0(VALU_DEP_1) | instskip(NEXT) | instid1(VALU_DEP_1)
	v_lshlrev_b64 v[11:12], 2, v[11:12]
	v_sub_co_u32 v11, vcc_lo, s1, v11
	s_delay_alu instid0(VALU_DEP_2)
	v_sub_co_ci_u32_e32 v12, vcc_lo, s0, v12, vcc_lo
	s_waitcnt lgkmcnt(0)
	global_store_b32 v[11:12], v13, off
                                        ; implicit-def: $vgpr11
.LBB1163_282:
	s_and_not1_saveexec_b32 s5, s5
	s_cbranch_execz .LBB1163_284
; %bb.283:
	v_lshlrev_b32_e32 v12, 2, v0
	v_lshlrev_b32_e32 v11, 2, v11
	v_readfirstlane_b32 s6, v5
	v_readfirstlane_b32 s7, v6
	ds_load_b32 v12, v12 offset:5120
	s_waitcnt lgkmcnt(0)
	global_store_b32 v11, v12, s[6:7]
.LBB1163_284:
	s_or_b32 exec_lo, exec_lo, s5
                                        ; implicit-def: $vgpr11
.LBB1163_285:
	s_and_not1_saveexec_b32 s4, s4
	s_cbranch_execz .LBB1163_287
; %bb.286:
	v_lshlrev_b32_e32 v12, 2, v0
	v_lshlrev_b32_e32 v11, 2, v11
	v_readfirstlane_b32 s4, v7
	v_readfirstlane_b32 s5, v8
	ds_load_b32 v12, v12 offset:5120
	s_waitcnt lgkmcnt(0)
	global_store_b32 v11, v12, s[4:5]
.LBB1163_287:
	s_or_b32 exec_lo, exec_lo, s2
	v_or_b32_e32 v11, 0x600, v0
	s_mov_b32 s2, exec_lo
	s_delay_alu instid0(VALU_DEP_1)
	v_cmpx_gt_u32_e64 s3, v11
	s_cbranch_execz .LBB1163_296
; %bb.288:
	s_mov_b32 s4, exec_lo
	v_cmpx_le_u32_e64 v1, v11
	s_xor_b32 s4, exec_lo, s4
	s_cbranch_execz .LBB1163_294
; %bb.289:
	s_mov_b32 s5, exec_lo
	v_cmpx_le_u32_e64 v10, v11
	s_xor_b32 s5, exec_lo, s5
	s_cbranch_execz .LBB1163_291
; %bb.290:
	v_lshlrev_b32_e32 v12, 2, v0
	v_add_co_u32 v11, vcc_lo, v3, v11
	ds_load_b32 v13, v12 offset:6144
	v_add_co_ci_u32_e32 v12, vcc_lo, 0, v9, vcc_lo
	s_delay_alu instid0(VALU_DEP_1) | instskip(NEXT) | instid1(VALU_DEP_1)
	v_lshlrev_b64 v[11:12], 2, v[11:12]
	v_sub_co_u32 v11, vcc_lo, s1, v11
	s_delay_alu instid0(VALU_DEP_2)
	v_sub_co_ci_u32_e32 v12, vcc_lo, s0, v12, vcc_lo
	s_waitcnt lgkmcnt(0)
	global_store_b32 v[11:12], v13, off
                                        ; implicit-def: $vgpr11
.LBB1163_291:
	s_and_not1_saveexec_b32 s5, s5
	s_cbranch_execz .LBB1163_293
; %bb.292:
	v_lshlrev_b32_e32 v12, 2, v0
	v_lshlrev_b32_e32 v11, 2, v11
	v_readfirstlane_b32 s6, v5
	v_readfirstlane_b32 s7, v6
	ds_load_b32 v12, v12 offset:6144
	s_waitcnt lgkmcnt(0)
	global_store_b32 v11, v12, s[6:7]
.LBB1163_293:
	s_or_b32 exec_lo, exec_lo, s5
                                        ; implicit-def: $vgpr11
.LBB1163_294:
	s_and_not1_saveexec_b32 s4, s4
	s_cbranch_execz .LBB1163_296
; %bb.295:
	v_lshlrev_b32_e32 v12, 2, v0
	v_lshlrev_b32_e32 v11, 2, v11
	v_readfirstlane_b32 s4, v7
	v_readfirstlane_b32 s5, v8
	ds_load_b32 v12, v12 offset:6144
	s_waitcnt lgkmcnt(0)
	global_store_b32 v11, v12, s[4:5]
.LBB1163_296:
	;; [unrolled: 55-line block ×7, first 2 shown]
	s_or_b32 exec_lo, exec_lo, s2
	v_or_b32_e32 v11, 0xc00, v0
	s_mov_b32 s2, exec_lo
	s_delay_alu instid0(VALU_DEP_1)
	v_cmpx_gt_u32_e64 s3, v11
	s_cbranch_execz .LBB1163_350
; %bb.342:
	s_mov_b32 s3, exec_lo
	v_cmpx_le_u32_e64 v1, v11
	s_xor_b32 s3, exec_lo, s3
	s_cbranch_execz .LBB1163_348
; %bb.343:
	s_mov_b32 s4, exec_lo
	v_cmpx_le_u32_e64 v10, v11
	s_xor_b32 s4, exec_lo, s4
	s_cbranch_execz .LBB1163_345
; %bb.344:
	v_lshlrev_b32_e32 v5, 2, v0
	ds_load_b32 v7, v5 offset:12288
	v_add_co_u32 v5, vcc_lo, v3, v11
	v_add_co_ci_u32_e32 v6, vcc_lo, 0, v9, vcc_lo
                                        ; implicit-def: $vgpr11
	s_delay_alu instid0(VALU_DEP_1) | instskip(NEXT) | instid1(VALU_DEP_1)
	v_lshlrev_b64 v[5:6], 2, v[5:6]
	v_sub_co_u32 v5, vcc_lo, s1, v5
	s_delay_alu instid0(VALU_DEP_2)
	v_sub_co_ci_u32_e32 v6, vcc_lo, s0, v6, vcc_lo
	s_waitcnt lgkmcnt(0)
	global_store_b32 v[5:6], v7, off
                                        ; implicit-def: $vgpr5_vgpr6
.LBB1163_345:
	s_and_not1_saveexec_b32 s0, s4
	s_cbranch_execz .LBB1163_347
; %bb.346:
	v_lshlrev_b32_e32 v3, 2, v0
	v_lshlrev_b32_e32 v7, 2, v11
	v_readfirstlane_b32 s4, v5
	v_readfirstlane_b32 s5, v6
	ds_load_b32 v3, v3 offset:12288
	s_waitcnt lgkmcnt(0)
	global_store_b32 v7, v3, s[4:5]
.LBB1163_347:
	s_or_b32 exec_lo, exec_lo, s0
                                        ; implicit-def: $vgpr11
                                        ; implicit-def: $vgpr7_vgpr8
.LBB1163_348:
	s_and_not1_saveexec_b32 s0, s3
	s_cbranch_execz .LBB1163_350
; %bb.349:
	v_lshlrev_b32_e32 v3, 2, v0
	v_lshlrev_b32_e32 v5, 2, v11
	v_readfirstlane_b32 s0, v7
	v_readfirstlane_b32 s1, v8
	ds_load_b32 v3, v3 offset:12288
	s_waitcnt lgkmcnt(0)
	global_store_b32 v5, v3, s[0:1]
.LBB1163_350:
	s_or_b32 exec_lo, exec_lo, s2
	v_cmp_eq_u32_e32 vcc_lo, 0, v0
	s_and_b32 s0, vcc_lo, s14
	s_delay_alu instid0(SALU_CYCLE_1)
	s_and_saveexec_b32 s1, s0
	s_cbranch_execz .LBB1163_127
.LBB1163_351:
	v_add_co_u32 v2, s0, s30, v2
	s_delay_alu instid0(VALU_DEP_1) | instskip(SKIP_2) | instid1(VALU_DEP_4)
	v_add_co_ci_u32_e64 v3, null, s31, 0, s0
	v_add_co_u32 v0, vcc_lo, v18, v1
	v_add_co_ci_u32_e32 v1, vcc_lo, 0, v19, vcc_lo
	v_add_co_u32 v2, vcc_lo, v2, v4
	v_mov_b32_e32 v5, 0
	v_add_co_ci_u32_e32 v3, vcc_lo, 0, v3, vcc_lo
	global_store_b128 v5, v[0:3], s[24:25]
	s_nop 0
	s_sendmsg sendmsg(MSG_DEALLOC_VGPRS)
	s_endpgm
.LBB1163_352:
	v_add_nc_u32_e32 v3, s7, v23
	s_add_i32 s10, s15, 32
	s_mov_b32 s11, 0
	v_dual_mov_b32 v5, 0 :: v_dual_add_nc_u32 v2, v22, v1
	s_lshl_b64 s[10:11], s[10:11], 4
	v_and_b32_e32 v20, 0xff0000, v3
	s_add_u32 s10, s4, s10
	s_addc_u32 s11, s5, s11
	v_and_b32_e32 v4, 0xff000000, v3
	s_delay_alu instid0(VALU_DEP_1) | instskip(SKIP_2) | instid1(VALU_DEP_1)
	v_or_b32_e32 v20, v20, v4
	v_dual_mov_b32 v4, 2 :: v_dual_and_b32 v21, 0xff00, v3
	v_and_b32_e32 v3, 0xff, v3
	v_or3_b32 v3, v20, v21, v3
	v_dual_mov_b32 v21, s11 :: v_dual_mov_b32 v20, s10
	;;#ASMSTART
	global_store_dwordx4 v[20:21], v[2:5] off	
s_waitcnt vmcnt(0)
	;;#ASMEND
	s_or_b32 exec_lo, exec_lo, s8
	s_and_saveexec_b32 s8, s2
	s_cbranch_execz .LBB1163_111
.LBB1163_353:
	v_mov_b32_e32 v2, s7
	v_add_nc_u32_e64 v3, 0x3400, 0
	ds_store_2addr_b32 v3, v1, v2 offset1:2
	ds_store_2addr_b32 v3, v22, v23 offset0:4 offset1:6
	s_or_b32 exec_lo, exec_lo, s8
	v_cmp_eq_u32_e32 vcc_lo, 0, v0
	s_and_b32 exec_lo, exec_lo, vcc_lo
	s_cbranch_execnz .LBB1163_112
	s_branch .LBB1163_113
	.section	.rodata,"a",@progbits
	.p2align	6, 0x0
	.amdhsa_kernel _ZN7rocprim17ROCPRIM_400000_NS6detail17trampoline_kernelINS0_13select_configILj256ELj13ELNS0_17block_load_methodE3ELS4_3ELS4_3ELNS0_20block_scan_algorithmE0ELj4294967295EEENS1_25partition_config_selectorILNS1_17partition_subalgoE4EjNS0_10empty_typeEbEEZZNS1_14partition_implILS8_4ELb0ES6_15HIP_vector_typeIjLj2EENS0_17counting_iteratorIjlEEPS9_SG_NS0_5tupleIJPjSI_NS0_16reverse_iteratorISI_EEEEENSH_IJSG_SG_SG_EEES9_SI_JZNS1_25segmented_radix_sort_implINS0_14default_configELb0EPKdPdPKlPlN2at6native12_GLOBAL__N_18offset_tEEE10hipError_tPvRmT1_PNSt15iterator_traitsIS12_E10value_typeET2_T3_PNS13_IS18_E10value_typeET4_jRbjT5_S1E_jjP12ihipStream_tbEUljE_ZNSN_ISO_Lb0ESQ_SR_ST_SU_SY_EESZ_S10_S11_S12_S16_S17_S18_S1B_S1C_jS1D_jS1E_S1E_jjS1G_bEUljE0_EEESZ_S10_S11_S18_S1C_S1E_T6_T7_T9_mT8_S1G_bDpT10_ENKUlT_T0_E_clISt17integral_constantIbLb0EES1U_EEDaS1P_S1Q_EUlS1P_E_NS1_11comp_targetILNS1_3genE9ELNS1_11target_archE1100ELNS1_3gpuE3ELNS1_3repE0EEENS1_30default_config_static_selectorELNS0_4arch9wavefront6targetE0EEEvS12_
		.amdhsa_group_segment_fixed_size 13340
		.amdhsa_private_segment_fixed_size 0
		.amdhsa_kernarg_size 176
		.amdhsa_user_sgpr_count 15
		.amdhsa_user_sgpr_dispatch_ptr 0
		.amdhsa_user_sgpr_queue_ptr 0
		.amdhsa_user_sgpr_kernarg_segment_ptr 1
		.amdhsa_user_sgpr_dispatch_id 0
		.amdhsa_user_sgpr_private_segment_size 0
		.amdhsa_wavefront_size32 1
		.amdhsa_uses_dynamic_stack 0
		.amdhsa_enable_private_segment 0
		.amdhsa_system_sgpr_workgroup_id_x 1
		.amdhsa_system_sgpr_workgroup_id_y 0
		.amdhsa_system_sgpr_workgroup_id_z 0
		.amdhsa_system_sgpr_workgroup_info 0
		.amdhsa_system_vgpr_workitem_id 0
		.amdhsa_next_free_vgpr 98
		.amdhsa_next_free_sgpr 59
		.amdhsa_reserve_vcc 1
		.amdhsa_float_round_mode_32 0
		.amdhsa_float_round_mode_16_64 0
		.amdhsa_float_denorm_mode_32 3
		.amdhsa_float_denorm_mode_16_64 3
		.amdhsa_dx10_clamp 1
		.amdhsa_ieee_mode 1
		.amdhsa_fp16_overflow 0
		.amdhsa_workgroup_processor_mode 1
		.amdhsa_memory_ordered 1
		.amdhsa_forward_progress 0
		.amdhsa_shared_vgpr_count 0
		.amdhsa_exception_fp_ieee_invalid_op 0
		.amdhsa_exception_fp_denorm_src 0
		.amdhsa_exception_fp_ieee_div_zero 0
		.amdhsa_exception_fp_ieee_overflow 0
		.amdhsa_exception_fp_ieee_underflow 0
		.amdhsa_exception_fp_ieee_inexact 0
		.amdhsa_exception_int_div_zero 0
	.end_amdhsa_kernel
	.section	.text._ZN7rocprim17ROCPRIM_400000_NS6detail17trampoline_kernelINS0_13select_configILj256ELj13ELNS0_17block_load_methodE3ELS4_3ELS4_3ELNS0_20block_scan_algorithmE0ELj4294967295EEENS1_25partition_config_selectorILNS1_17partition_subalgoE4EjNS0_10empty_typeEbEEZZNS1_14partition_implILS8_4ELb0ES6_15HIP_vector_typeIjLj2EENS0_17counting_iteratorIjlEEPS9_SG_NS0_5tupleIJPjSI_NS0_16reverse_iteratorISI_EEEEENSH_IJSG_SG_SG_EEES9_SI_JZNS1_25segmented_radix_sort_implINS0_14default_configELb0EPKdPdPKlPlN2at6native12_GLOBAL__N_18offset_tEEE10hipError_tPvRmT1_PNSt15iterator_traitsIS12_E10value_typeET2_T3_PNS13_IS18_E10value_typeET4_jRbjT5_S1E_jjP12ihipStream_tbEUljE_ZNSN_ISO_Lb0ESQ_SR_ST_SU_SY_EESZ_S10_S11_S12_S16_S17_S18_S1B_S1C_jS1D_jS1E_S1E_jjS1G_bEUljE0_EEESZ_S10_S11_S18_S1C_S1E_T6_T7_T9_mT8_S1G_bDpT10_ENKUlT_T0_E_clISt17integral_constantIbLb0EES1U_EEDaS1P_S1Q_EUlS1P_E_NS1_11comp_targetILNS1_3genE9ELNS1_11target_archE1100ELNS1_3gpuE3ELNS1_3repE0EEENS1_30default_config_static_selectorELNS0_4arch9wavefront6targetE0EEEvS12_,"axG",@progbits,_ZN7rocprim17ROCPRIM_400000_NS6detail17trampoline_kernelINS0_13select_configILj256ELj13ELNS0_17block_load_methodE3ELS4_3ELS4_3ELNS0_20block_scan_algorithmE0ELj4294967295EEENS1_25partition_config_selectorILNS1_17partition_subalgoE4EjNS0_10empty_typeEbEEZZNS1_14partition_implILS8_4ELb0ES6_15HIP_vector_typeIjLj2EENS0_17counting_iteratorIjlEEPS9_SG_NS0_5tupleIJPjSI_NS0_16reverse_iteratorISI_EEEEENSH_IJSG_SG_SG_EEES9_SI_JZNS1_25segmented_radix_sort_implINS0_14default_configELb0EPKdPdPKlPlN2at6native12_GLOBAL__N_18offset_tEEE10hipError_tPvRmT1_PNSt15iterator_traitsIS12_E10value_typeET2_T3_PNS13_IS18_E10value_typeET4_jRbjT5_S1E_jjP12ihipStream_tbEUljE_ZNSN_ISO_Lb0ESQ_SR_ST_SU_SY_EESZ_S10_S11_S12_S16_S17_S18_S1B_S1C_jS1D_jS1E_S1E_jjS1G_bEUljE0_EEESZ_S10_S11_S18_S1C_S1E_T6_T7_T9_mT8_S1G_bDpT10_ENKUlT_T0_E_clISt17integral_constantIbLb0EES1U_EEDaS1P_S1Q_EUlS1P_E_NS1_11comp_targetILNS1_3genE9ELNS1_11target_archE1100ELNS1_3gpuE3ELNS1_3repE0EEENS1_30default_config_static_selectorELNS0_4arch9wavefront6targetE0EEEvS12_,comdat
.Lfunc_end1163:
	.size	_ZN7rocprim17ROCPRIM_400000_NS6detail17trampoline_kernelINS0_13select_configILj256ELj13ELNS0_17block_load_methodE3ELS4_3ELS4_3ELNS0_20block_scan_algorithmE0ELj4294967295EEENS1_25partition_config_selectorILNS1_17partition_subalgoE4EjNS0_10empty_typeEbEEZZNS1_14partition_implILS8_4ELb0ES6_15HIP_vector_typeIjLj2EENS0_17counting_iteratorIjlEEPS9_SG_NS0_5tupleIJPjSI_NS0_16reverse_iteratorISI_EEEEENSH_IJSG_SG_SG_EEES9_SI_JZNS1_25segmented_radix_sort_implINS0_14default_configELb0EPKdPdPKlPlN2at6native12_GLOBAL__N_18offset_tEEE10hipError_tPvRmT1_PNSt15iterator_traitsIS12_E10value_typeET2_T3_PNS13_IS18_E10value_typeET4_jRbjT5_S1E_jjP12ihipStream_tbEUljE_ZNSN_ISO_Lb0ESQ_SR_ST_SU_SY_EESZ_S10_S11_S12_S16_S17_S18_S1B_S1C_jS1D_jS1E_S1E_jjS1G_bEUljE0_EEESZ_S10_S11_S18_S1C_S1E_T6_T7_T9_mT8_S1G_bDpT10_ENKUlT_T0_E_clISt17integral_constantIbLb0EES1U_EEDaS1P_S1Q_EUlS1P_E_NS1_11comp_targetILNS1_3genE9ELNS1_11target_archE1100ELNS1_3gpuE3ELNS1_3repE0EEENS1_30default_config_static_selectorELNS0_4arch9wavefront6targetE0EEEvS12_, .Lfunc_end1163-_ZN7rocprim17ROCPRIM_400000_NS6detail17trampoline_kernelINS0_13select_configILj256ELj13ELNS0_17block_load_methodE3ELS4_3ELS4_3ELNS0_20block_scan_algorithmE0ELj4294967295EEENS1_25partition_config_selectorILNS1_17partition_subalgoE4EjNS0_10empty_typeEbEEZZNS1_14partition_implILS8_4ELb0ES6_15HIP_vector_typeIjLj2EENS0_17counting_iteratorIjlEEPS9_SG_NS0_5tupleIJPjSI_NS0_16reverse_iteratorISI_EEEEENSH_IJSG_SG_SG_EEES9_SI_JZNS1_25segmented_radix_sort_implINS0_14default_configELb0EPKdPdPKlPlN2at6native12_GLOBAL__N_18offset_tEEE10hipError_tPvRmT1_PNSt15iterator_traitsIS12_E10value_typeET2_T3_PNS13_IS18_E10value_typeET4_jRbjT5_S1E_jjP12ihipStream_tbEUljE_ZNSN_ISO_Lb0ESQ_SR_ST_SU_SY_EESZ_S10_S11_S12_S16_S17_S18_S1B_S1C_jS1D_jS1E_S1E_jjS1G_bEUljE0_EEESZ_S10_S11_S18_S1C_S1E_T6_T7_T9_mT8_S1G_bDpT10_ENKUlT_T0_E_clISt17integral_constantIbLb0EES1U_EEDaS1P_S1Q_EUlS1P_E_NS1_11comp_targetILNS1_3genE9ELNS1_11target_archE1100ELNS1_3gpuE3ELNS1_3repE0EEENS1_30default_config_static_selectorELNS0_4arch9wavefront6targetE0EEEvS12_
                                        ; -- End function
	.section	.AMDGPU.csdata,"",@progbits
; Kernel info:
; codeLenInByte = 14984
; NumSgprs: 61
; NumVgprs: 98
; ScratchSize: 0
; MemoryBound: 0
; FloatMode: 240
; IeeeMode: 1
; LDSByteSize: 13340 bytes/workgroup (compile time only)
; SGPRBlocks: 7
; VGPRBlocks: 12
; NumSGPRsForWavesPerEU: 61
; NumVGPRsForWavesPerEU: 98
; Occupancy: 12
; WaveLimiterHint : 1
; COMPUTE_PGM_RSRC2:SCRATCH_EN: 0
; COMPUTE_PGM_RSRC2:USER_SGPR: 15
; COMPUTE_PGM_RSRC2:TRAP_HANDLER: 0
; COMPUTE_PGM_RSRC2:TGID_X_EN: 1
; COMPUTE_PGM_RSRC2:TGID_Y_EN: 0
; COMPUTE_PGM_RSRC2:TGID_Z_EN: 0
; COMPUTE_PGM_RSRC2:TIDIG_COMP_CNT: 0
	.section	.text._ZN7rocprim17ROCPRIM_400000_NS6detail17trampoline_kernelINS0_13select_configILj256ELj13ELNS0_17block_load_methodE3ELS4_3ELS4_3ELNS0_20block_scan_algorithmE0ELj4294967295EEENS1_25partition_config_selectorILNS1_17partition_subalgoE4EjNS0_10empty_typeEbEEZZNS1_14partition_implILS8_4ELb0ES6_15HIP_vector_typeIjLj2EENS0_17counting_iteratorIjlEEPS9_SG_NS0_5tupleIJPjSI_NS0_16reverse_iteratorISI_EEEEENSH_IJSG_SG_SG_EEES9_SI_JZNS1_25segmented_radix_sort_implINS0_14default_configELb0EPKdPdPKlPlN2at6native12_GLOBAL__N_18offset_tEEE10hipError_tPvRmT1_PNSt15iterator_traitsIS12_E10value_typeET2_T3_PNS13_IS18_E10value_typeET4_jRbjT5_S1E_jjP12ihipStream_tbEUljE_ZNSN_ISO_Lb0ESQ_SR_ST_SU_SY_EESZ_S10_S11_S12_S16_S17_S18_S1B_S1C_jS1D_jS1E_S1E_jjS1G_bEUljE0_EEESZ_S10_S11_S18_S1C_S1E_T6_T7_T9_mT8_S1G_bDpT10_ENKUlT_T0_E_clISt17integral_constantIbLb0EES1U_EEDaS1P_S1Q_EUlS1P_E_NS1_11comp_targetILNS1_3genE8ELNS1_11target_archE1030ELNS1_3gpuE2ELNS1_3repE0EEENS1_30default_config_static_selectorELNS0_4arch9wavefront6targetE0EEEvS12_,"axG",@progbits,_ZN7rocprim17ROCPRIM_400000_NS6detail17trampoline_kernelINS0_13select_configILj256ELj13ELNS0_17block_load_methodE3ELS4_3ELS4_3ELNS0_20block_scan_algorithmE0ELj4294967295EEENS1_25partition_config_selectorILNS1_17partition_subalgoE4EjNS0_10empty_typeEbEEZZNS1_14partition_implILS8_4ELb0ES6_15HIP_vector_typeIjLj2EENS0_17counting_iteratorIjlEEPS9_SG_NS0_5tupleIJPjSI_NS0_16reverse_iteratorISI_EEEEENSH_IJSG_SG_SG_EEES9_SI_JZNS1_25segmented_radix_sort_implINS0_14default_configELb0EPKdPdPKlPlN2at6native12_GLOBAL__N_18offset_tEEE10hipError_tPvRmT1_PNSt15iterator_traitsIS12_E10value_typeET2_T3_PNS13_IS18_E10value_typeET4_jRbjT5_S1E_jjP12ihipStream_tbEUljE_ZNSN_ISO_Lb0ESQ_SR_ST_SU_SY_EESZ_S10_S11_S12_S16_S17_S18_S1B_S1C_jS1D_jS1E_S1E_jjS1G_bEUljE0_EEESZ_S10_S11_S18_S1C_S1E_T6_T7_T9_mT8_S1G_bDpT10_ENKUlT_T0_E_clISt17integral_constantIbLb0EES1U_EEDaS1P_S1Q_EUlS1P_E_NS1_11comp_targetILNS1_3genE8ELNS1_11target_archE1030ELNS1_3gpuE2ELNS1_3repE0EEENS1_30default_config_static_selectorELNS0_4arch9wavefront6targetE0EEEvS12_,comdat
	.globl	_ZN7rocprim17ROCPRIM_400000_NS6detail17trampoline_kernelINS0_13select_configILj256ELj13ELNS0_17block_load_methodE3ELS4_3ELS4_3ELNS0_20block_scan_algorithmE0ELj4294967295EEENS1_25partition_config_selectorILNS1_17partition_subalgoE4EjNS0_10empty_typeEbEEZZNS1_14partition_implILS8_4ELb0ES6_15HIP_vector_typeIjLj2EENS0_17counting_iteratorIjlEEPS9_SG_NS0_5tupleIJPjSI_NS0_16reverse_iteratorISI_EEEEENSH_IJSG_SG_SG_EEES9_SI_JZNS1_25segmented_radix_sort_implINS0_14default_configELb0EPKdPdPKlPlN2at6native12_GLOBAL__N_18offset_tEEE10hipError_tPvRmT1_PNSt15iterator_traitsIS12_E10value_typeET2_T3_PNS13_IS18_E10value_typeET4_jRbjT5_S1E_jjP12ihipStream_tbEUljE_ZNSN_ISO_Lb0ESQ_SR_ST_SU_SY_EESZ_S10_S11_S12_S16_S17_S18_S1B_S1C_jS1D_jS1E_S1E_jjS1G_bEUljE0_EEESZ_S10_S11_S18_S1C_S1E_T6_T7_T9_mT8_S1G_bDpT10_ENKUlT_T0_E_clISt17integral_constantIbLb0EES1U_EEDaS1P_S1Q_EUlS1P_E_NS1_11comp_targetILNS1_3genE8ELNS1_11target_archE1030ELNS1_3gpuE2ELNS1_3repE0EEENS1_30default_config_static_selectorELNS0_4arch9wavefront6targetE0EEEvS12_ ; -- Begin function _ZN7rocprim17ROCPRIM_400000_NS6detail17trampoline_kernelINS0_13select_configILj256ELj13ELNS0_17block_load_methodE3ELS4_3ELS4_3ELNS0_20block_scan_algorithmE0ELj4294967295EEENS1_25partition_config_selectorILNS1_17partition_subalgoE4EjNS0_10empty_typeEbEEZZNS1_14partition_implILS8_4ELb0ES6_15HIP_vector_typeIjLj2EENS0_17counting_iteratorIjlEEPS9_SG_NS0_5tupleIJPjSI_NS0_16reverse_iteratorISI_EEEEENSH_IJSG_SG_SG_EEES9_SI_JZNS1_25segmented_radix_sort_implINS0_14default_configELb0EPKdPdPKlPlN2at6native12_GLOBAL__N_18offset_tEEE10hipError_tPvRmT1_PNSt15iterator_traitsIS12_E10value_typeET2_T3_PNS13_IS18_E10value_typeET4_jRbjT5_S1E_jjP12ihipStream_tbEUljE_ZNSN_ISO_Lb0ESQ_SR_ST_SU_SY_EESZ_S10_S11_S12_S16_S17_S18_S1B_S1C_jS1D_jS1E_S1E_jjS1G_bEUljE0_EEESZ_S10_S11_S18_S1C_S1E_T6_T7_T9_mT8_S1G_bDpT10_ENKUlT_T0_E_clISt17integral_constantIbLb0EES1U_EEDaS1P_S1Q_EUlS1P_E_NS1_11comp_targetILNS1_3genE8ELNS1_11target_archE1030ELNS1_3gpuE2ELNS1_3repE0EEENS1_30default_config_static_selectorELNS0_4arch9wavefront6targetE0EEEvS12_
	.p2align	8
	.type	_ZN7rocprim17ROCPRIM_400000_NS6detail17trampoline_kernelINS0_13select_configILj256ELj13ELNS0_17block_load_methodE3ELS4_3ELS4_3ELNS0_20block_scan_algorithmE0ELj4294967295EEENS1_25partition_config_selectorILNS1_17partition_subalgoE4EjNS0_10empty_typeEbEEZZNS1_14partition_implILS8_4ELb0ES6_15HIP_vector_typeIjLj2EENS0_17counting_iteratorIjlEEPS9_SG_NS0_5tupleIJPjSI_NS0_16reverse_iteratorISI_EEEEENSH_IJSG_SG_SG_EEES9_SI_JZNS1_25segmented_radix_sort_implINS0_14default_configELb0EPKdPdPKlPlN2at6native12_GLOBAL__N_18offset_tEEE10hipError_tPvRmT1_PNSt15iterator_traitsIS12_E10value_typeET2_T3_PNS13_IS18_E10value_typeET4_jRbjT5_S1E_jjP12ihipStream_tbEUljE_ZNSN_ISO_Lb0ESQ_SR_ST_SU_SY_EESZ_S10_S11_S12_S16_S17_S18_S1B_S1C_jS1D_jS1E_S1E_jjS1G_bEUljE0_EEESZ_S10_S11_S18_S1C_S1E_T6_T7_T9_mT8_S1G_bDpT10_ENKUlT_T0_E_clISt17integral_constantIbLb0EES1U_EEDaS1P_S1Q_EUlS1P_E_NS1_11comp_targetILNS1_3genE8ELNS1_11target_archE1030ELNS1_3gpuE2ELNS1_3repE0EEENS1_30default_config_static_selectorELNS0_4arch9wavefront6targetE0EEEvS12_,@function
_ZN7rocprim17ROCPRIM_400000_NS6detail17trampoline_kernelINS0_13select_configILj256ELj13ELNS0_17block_load_methodE3ELS4_3ELS4_3ELNS0_20block_scan_algorithmE0ELj4294967295EEENS1_25partition_config_selectorILNS1_17partition_subalgoE4EjNS0_10empty_typeEbEEZZNS1_14partition_implILS8_4ELb0ES6_15HIP_vector_typeIjLj2EENS0_17counting_iteratorIjlEEPS9_SG_NS0_5tupleIJPjSI_NS0_16reverse_iteratorISI_EEEEENSH_IJSG_SG_SG_EEES9_SI_JZNS1_25segmented_radix_sort_implINS0_14default_configELb0EPKdPdPKlPlN2at6native12_GLOBAL__N_18offset_tEEE10hipError_tPvRmT1_PNSt15iterator_traitsIS12_E10value_typeET2_T3_PNS13_IS18_E10value_typeET4_jRbjT5_S1E_jjP12ihipStream_tbEUljE_ZNSN_ISO_Lb0ESQ_SR_ST_SU_SY_EESZ_S10_S11_S12_S16_S17_S18_S1B_S1C_jS1D_jS1E_S1E_jjS1G_bEUljE0_EEESZ_S10_S11_S18_S1C_S1E_T6_T7_T9_mT8_S1G_bDpT10_ENKUlT_T0_E_clISt17integral_constantIbLb0EES1U_EEDaS1P_S1Q_EUlS1P_E_NS1_11comp_targetILNS1_3genE8ELNS1_11target_archE1030ELNS1_3gpuE2ELNS1_3repE0EEENS1_30default_config_static_selectorELNS0_4arch9wavefront6targetE0EEEvS12_: ; @_ZN7rocprim17ROCPRIM_400000_NS6detail17trampoline_kernelINS0_13select_configILj256ELj13ELNS0_17block_load_methodE3ELS4_3ELS4_3ELNS0_20block_scan_algorithmE0ELj4294967295EEENS1_25partition_config_selectorILNS1_17partition_subalgoE4EjNS0_10empty_typeEbEEZZNS1_14partition_implILS8_4ELb0ES6_15HIP_vector_typeIjLj2EENS0_17counting_iteratorIjlEEPS9_SG_NS0_5tupleIJPjSI_NS0_16reverse_iteratorISI_EEEEENSH_IJSG_SG_SG_EEES9_SI_JZNS1_25segmented_radix_sort_implINS0_14default_configELb0EPKdPdPKlPlN2at6native12_GLOBAL__N_18offset_tEEE10hipError_tPvRmT1_PNSt15iterator_traitsIS12_E10value_typeET2_T3_PNS13_IS18_E10value_typeET4_jRbjT5_S1E_jjP12ihipStream_tbEUljE_ZNSN_ISO_Lb0ESQ_SR_ST_SU_SY_EESZ_S10_S11_S12_S16_S17_S18_S1B_S1C_jS1D_jS1E_S1E_jjS1G_bEUljE0_EEESZ_S10_S11_S18_S1C_S1E_T6_T7_T9_mT8_S1G_bDpT10_ENKUlT_T0_E_clISt17integral_constantIbLb0EES1U_EEDaS1P_S1Q_EUlS1P_E_NS1_11comp_targetILNS1_3genE8ELNS1_11target_archE1030ELNS1_3gpuE2ELNS1_3repE0EEENS1_30default_config_static_selectorELNS0_4arch9wavefront6targetE0EEEvS12_
; %bb.0:
	.section	.rodata,"a",@progbits
	.p2align	6, 0x0
	.amdhsa_kernel _ZN7rocprim17ROCPRIM_400000_NS6detail17trampoline_kernelINS0_13select_configILj256ELj13ELNS0_17block_load_methodE3ELS4_3ELS4_3ELNS0_20block_scan_algorithmE0ELj4294967295EEENS1_25partition_config_selectorILNS1_17partition_subalgoE4EjNS0_10empty_typeEbEEZZNS1_14partition_implILS8_4ELb0ES6_15HIP_vector_typeIjLj2EENS0_17counting_iteratorIjlEEPS9_SG_NS0_5tupleIJPjSI_NS0_16reverse_iteratorISI_EEEEENSH_IJSG_SG_SG_EEES9_SI_JZNS1_25segmented_radix_sort_implINS0_14default_configELb0EPKdPdPKlPlN2at6native12_GLOBAL__N_18offset_tEEE10hipError_tPvRmT1_PNSt15iterator_traitsIS12_E10value_typeET2_T3_PNS13_IS18_E10value_typeET4_jRbjT5_S1E_jjP12ihipStream_tbEUljE_ZNSN_ISO_Lb0ESQ_SR_ST_SU_SY_EESZ_S10_S11_S12_S16_S17_S18_S1B_S1C_jS1D_jS1E_S1E_jjS1G_bEUljE0_EEESZ_S10_S11_S18_S1C_S1E_T6_T7_T9_mT8_S1G_bDpT10_ENKUlT_T0_E_clISt17integral_constantIbLb0EES1U_EEDaS1P_S1Q_EUlS1P_E_NS1_11comp_targetILNS1_3genE8ELNS1_11target_archE1030ELNS1_3gpuE2ELNS1_3repE0EEENS1_30default_config_static_selectorELNS0_4arch9wavefront6targetE0EEEvS12_
		.amdhsa_group_segment_fixed_size 0
		.amdhsa_private_segment_fixed_size 0
		.amdhsa_kernarg_size 176
		.amdhsa_user_sgpr_count 15
		.amdhsa_user_sgpr_dispatch_ptr 0
		.amdhsa_user_sgpr_queue_ptr 0
		.amdhsa_user_sgpr_kernarg_segment_ptr 1
		.amdhsa_user_sgpr_dispatch_id 0
		.amdhsa_user_sgpr_private_segment_size 0
		.amdhsa_wavefront_size32 1
		.amdhsa_uses_dynamic_stack 0
		.amdhsa_enable_private_segment 0
		.amdhsa_system_sgpr_workgroup_id_x 1
		.amdhsa_system_sgpr_workgroup_id_y 0
		.amdhsa_system_sgpr_workgroup_id_z 0
		.amdhsa_system_sgpr_workgroup_info 0
		.amdhsa_system_vgpr_workitem_id 0
		.amdhsa_next_free_vgpr 1
		.amdhsa_next_free_sgpr 1
		.amdhsa_reserve_vcc 0
		.amdhsa_float_round_mode_32 0
		.amdhsa_float_round_mode_16_64 0
		.amdhsa_float_denorm_mode_32 3
		.amdhsa_float_denorm_mode_16_64 3
		.amdhsa_dx10_clamp 1
		.amdhsa_ieee_mode 1
		.amdhsa_fp16_overflow 0
		.amdhsa_workgroup_processor_mode 1
		.amdhsa_memory_ordered 1
		.amdhsa_forward_progress 0
		.amdhsa_shared_vgpr_count 0
		.amdhsa_exception_fp_ieee_invalid_op 0
		.amdhsa_exception_fp_denorm_src 0
		.amdhsa_exception_fp_ieee_div_zero 0
		.amdhsa_exception_fp_ieee_overflow 0
		.amdhsa_exception_fp_ieee_underflow 0
		.amdhsa_exception_fp_ieee_inexact 0
		.amdhsa_exception_int_div_zero 0
	.end_amdhsa_kernel
	.section	.text._ZN7rocprim17ROCPRIM_400000_NS6detail17trampoline_kernelINS0_13select_configILj256ELj13ELNS0_17block_load_methodE3ELS4_3ELS4_3ELNS0_20block_scan_algorithmE0ELj4294967295EEENS1_25partition_config_selectorILNS1_17partition_subalgoE4EjNS0_10empty_typeEbEEZZNS1_14partition_implILS8_4ELb0ES6_15HIP_vector_typeIjLj2EENS0_17counting_iteratorIjlEEPS9_SG_NS0_5tupleIJPjSI_NS0_16reverse_iteratorISI_EEEEENSH_IJSG_SG_SG_EEES9_SI_JZNS1_25segmented_radix_sort_implINS0_14default_configELb0EPKdPdPKlPlN2at6native12_GLOBAL__N_18offset_tEEE10hipError_tPvRmT1_PNSt15iterator_traitsIS12_E10value_typeET2_T3_PNS13_IS18_E10value_typeET4_jRbjT5_S1E_jjP12ihipStream_tbEUljE_ZNSN_ISO_Lb0ESQ_SR_ST_SU_SY_EESZ_S10_S11_S12_S16_S17_S18_S1B_S1C_jS1D_jS1E_S1E_jjS1G_bEUljE0_EEESZ_S10_S11_S18_S1C_S1E_T6_T7_T9_mT8_S1G_bDpT10_ENKUlT_T0_E_clISt17integral_constantIbLb0EES1U_EEDaS1P_S1Q_EUlS1P_E_NS1_11comp_targetILNS1_3genE8ELNS1_11target_archE1030ELNS1_3gpuE2ELNS1_3repE0EEENS1_30default_config_static_selectorELNS0_4arch9wavefront6targetE0EEEvS12_,"axG",@progbits,_ZN7rocprim17ROCPRIM_400000_NS6detail17trampoline_kernelINS0_13select_configILj256ELj13ELNS0_17block_load_methodE3ELS4_3ELS4_3ELNS0_20block_scan_algorithmE0ELj4294967295EEENS1_25partition_config_selectorILNS1_17partition_subalgoE4EjNS0_10empty_typeEbEEZZNS1_14partition_implILS8_4ELb0ES6_15HIP_vector_typeIjLj2EENS0_17counting_iteratorIjlEEPS9_SG_NS0_5tupleIJPjSI_NS0_16reverse_iteratorISI_EEEEENSH_IJSG_SG_SG_EEES9_SI_JZNS1_25segmented_radix_sort_implINS0_14default_configELb0EPKdPdPKlPlN2at6native12_GLOBAL__N_18offset_tEEE10hipError_tPvRmT1_PNSt15iterator_traitsIS12_E10value_typeET2_T3_PNS13_IS18_E10value_typeET4_jRbjT5_S1E_jjP12ihipStream_tbEUljE_ZNSN_ISO_Lb0ESQ_SR_ST_SU_SY_EESZ_S10_S11_S12_S16_S17_S18_S1B_S1C_jS1D_jS1E_S1E_jjS1G_bEUljE0_EEESZ_S10_S11_S18_S1C_S1E_T6_T7_T9_mT8_S1G_bDpT10_ENKUlT_T0_E_clISt17integral_constantIbLb0EES1U_EEDaS1P_S1Q_EUlS1P_E_NS1_11comp_targetILNS1_3genE8ELNS1_11target_archE1030ELNS1_3gpuE2ELNS1_3repE0EEENS1_30default_config_static_selectorELNS0_4arch9wavefront6targetE0EEEvS12_,comdat
.Lfunc_end1164:
	.size	_ZN7rocprim17ROCPRIM_400000_NS6detail17trampoline_kernelINS0_13select_configILj256ELj13ELNS0_17block_load_methodE3ELS4_3ELS4_3ELNS0_20block_scan_algorithmE0ELj4294967295EEENS1_25partition_config_selectorILNS1_17partition_subalgoE4EjNS0_10empty_typeEbEEZZNS1_14partition_implILS8_4ELb0ES6_15HIP_vector_typeIjLj2EENS0_17counting_iteratorIjlEEPS9_SG_NS0_5tupleIJPjSI_NS0_16reverse_iteratorISI_EEEEENSH_IJSG_SG_SG_EEES9_SI_JZNS1_25segmented_radix_sort_implINS0_14default_configELb0EPKdPdPKlPlN2at6native12_GLOBAL__N_18offset_tEEE10hipError_tPvRmT1_PNSt15iterator_traitsIS12_E10value_typeET2_T3_PNS13_IS18_E10value_typeET4_jRbjT5_S1E_jjP12ihipStream_tbEUljE_ZNSN_ISO_Lb0ESQ_SR_ST_SU_SY_EESZ_S10_S11_S12_S16_S17_S18_S1B_S1C_jS1D_jS1E_S1E_jjS1G_bEUljE0_EEESZ_S10_S11_S18_S1C_S1E_T6_T7_T9_mT8_S1G_bDpT10_ENKUlT_T0_E_clISt17integral_constantIbLb0EES1U_EEDaS1P_S1Q_EUlS1P_E_NS1_11comp_targetILNS1_3genE8ELNS1_11target_archE1030ELNS1_3gpuE2ELNS1_3repE0EEENS1_30default_config_static_selectorELNS0_4arch9wavefront6targetE0EEEvS12_, .Lfunc_end1164-_ZN7rocprim17ROCPRIM_400000_NS6detail17trampoline_kernelINS0_13select_configILj256ELj13ELNS0_17block_load_methodE3ELS4_3ELS4_3ELNS0_20block_scan_algorithmE0ELj4294967295EEENS1_25partition_config_selectorILNS1_17partition_subalgoE4EjNS0_10empty_typeEbEEZZNS1_14partition_implILS8_4ELb0ES6_15HIP_vector_typeIjLj2EENS0_17counting_iteratorIjlEEPS9_SG_NS0_5tupleIJPjSI_NS0_16reverse_iteratorISI_EEEEENSH_IJSG_SG_SG_EEES9_SI_JZNS1_25segmented_radix_sort_implINS0_14default_configELb0EPKdPdPKlPlN2at6native12_GLOBAL__N_18offset_tEEE10hipError_tPvRmT1_PNSt15iterator_traitsIS12_E10value_typeET2_T3_PNS13_IS18_E10value_typeET4_jRbjT5_S1E_jjP12ihipStream_tbEUljE_ZNSN_ISO_Lb0ESQ_SR_ST_SU_SY_EESZ_S10_S11_S12_S16_S17_S18_S1B_S1C_jS1D_jS1E_S1E_jjS1G_bEUljE0_EEESZ_S10_S11_S18_S1C_S1E_T6_T7_T9_mT8_S1G_bDpT10_ENKUlT_T0_E_clISt17integral_constantIbLb0EES1U_EEDaS1P_S1Q_EUlS1P_E_NS1_11comp_targetILNS1_3genE8ELNS1_11target_archE1030ELNS1_3gpuE2ELNS1_3repE0EEENS1_30default_config_static_selectorELNS0_4arch9wavefront6targetE0EEEvS12_
                                        ; -- End function
	.section	.AMDGPU.csdata,"",@progbits
; Kernel info:
; codeLenInByte = 0
; NumSgprs: 0
; NumVgprs: 0
; ScratchSize: 0
; MemoryBound: 0
; FloatMode: 240
; IeeeMode: 1
; LDSByteSize: 0 bytes/workgroup (compile time only)
; SGPRBlocks: 0
; VGPRBlocks: 0
; NumSGPRsForWavesPerEU: 1
; NumVGPRsForWavesPerEU: 1
; Occupancy: 16
; WaveLimiterHint : 0
; COMPUTE_PGM_RSRC2:SCRATCH_EN: 0
; COMPUTE_PGM_RSRC2:USER_SGPR: 15
; COMPUTE_PGM_RSRC2:TRAP_HANDLER: 0
; COMPUTE_PGM_RSRC2:TGID_X_EN: 1
; COMPUTE_PGM_RSRC2:TGID_Y_EN: 0
; COMPUTE_PGM_RSRC2:TGID_Z_EN: 0
; COMPUTE_PGM_RSRC2:TIDIG_COMP_CNT: 0
	.section	.text._ZN7rocprim17ROCPRIM_400000_NS6detail17trampoline_kernelINS0_13select_configILj256ELj13ELNS0_17block_load_methodE3ELS4_3ELS4_3ELNS0_20block_scan_algorithmE0ELj4294967295EEENS1_25partition_config_selectorILNS1_17partition_subalgoE4EjNS0_10empty_typeEbEEZZNS1_14partition_implILS8_4ELb0ES6_15HIP_vector_typeIjLj2EENS0_17counting_iteratorIjlEEPS9_SG_NS0_5tupleIJPjSI_NS0_16reverse_iteratorISI_EEEEENSH_IJSG_SG_SG_EEES9_SI_JZNS1_25segmented_radix_sort_implINS0_14default_configELb0EPKdPdPKlPlN2at6native12_GLOBAL__N_18offset_tEEE10hipError_tPvRmT1_PNSt15iterator_traitsIS12_E10value_typeET2_T3_PNS13_IS18_E10value_typeET4_jRbjT5_S1E_jjP12ihipStream_tbEUljE_ZNSN_ISO_Lb0ESQ_SR_ST_SU_SY_EESZ_S10_S11_S12_S16_S17_S18_S1B_S1C_jS1D_jS1E_S1E_jjS1G_bEUljE0_EEESZ_S10_S11_S18_S1C_S1E_T6_T7_T9_mT8_S1G_bDpT10_ENKUlT_T0_E_clISt17integral_constantIbLb1EES1U_EEDaS1P_S1Q_EUlS1P_E_NS1_11comp_targetILNS1_3genE0ELNS1_11target_archE4294967295ELNS1_3gpuE0ELNS1_3repE0EEENS1_30default_config_static_selectorELNS0_4arch9wavefront6targetE0EEEvS12_,"axG",@progbits,_ZN7rocprim17ROCPRIM_400000_NS6detail17trampoline_kernelINS0_13select_configILj256ELj13ELNS0_17block_load_methodE3ELS4_3ELS4_3ELNS0_20block_scan_algorithmE0ELj4294967295EEENS1_25partition_config_selectorILNS1_17partition_subalgoE4EjNS0_10empty_typeEbEEZZNS1_14partition_implILS8_4ELb0ES6_15HIP_vector_typeIjLj2EENS0_17counting_iteratorIjlEEPS9_SG_NS0_5tupleIJPjSI_NS0_16reverse_iteratorISI_EEEEENSH_IJSG_SG_SG_EEES9_SI_JZNS1_25segmented_radix_sort_implINS0_14default_configELb0EPKdPdPKlPlN2at6native12_GLOBAL__N_18offset_tEEE10hipError_tPvRmT1_PNSt15iterator_traitsIS12_E10value_typeET2_T3_PNS13_IS18_E10value_typeET4_jRbjT5_S1E_jjP12ihipStream_tbEUljE_ZNSN_ISO_Lb0ESQ_SR_ST_SU_SY_EESZ_S10_S11_S12_S16_S17_S18_S1B_S1C_jS1D_jS1E_S1E_jjS1G_bEUljE0_EEESZ_S10_S11_S18_S1C_S1E_T6_T7_T9_mT8_S1G_bDpT10_ENKUlT_T0_E_clISt17integral_constantIbLb1EES1U_EEDaS1P_S1Q_EUlS1P_E_NS1_11comp_targetILNS1_3genE0ELNS1_11target_archE4294967295ELNS1_3gpuE0ELNS1_3repE0EEENS1_30default_config_static_selectorELNS0_4arch9wavefront6targetE0EEEvS12_,comdat
	.globl	_ZN7rocprim17ROCPRIM_400000_NS6detail17trampoline_kernelINS0_13select_configILj256ELj13ELNS0_17block_load_methodE3ELS4_3ELS4_3ELNS0_20block_scan_algorithmE0ELj4294967295EEENS1_25partition_config_selectorILNS1_17partition_subalgoE4EjNS0_10empty_typeEbEEZZNS1_14partition_implILS8_4ELb0ES6_15HIP_vector_typeIjLj2EENS0_17counting_iteratorIjlEEPS9_SG_NS0_5tupleIJPjSI_NS0_16reverse_iteratorISI_EEEEENSH_IJSG_SG_SG_EEES9_SI_JZNS1_25segmented_radix_sort_implINS0_14default_configELb0EPKdPdPKlPlN2at6native12_GLOBAL__N_18offset_tEEE10hipError_tPvRmT1_PNSt15iterator_traitsIS12_E10value_typeET2_T3_PNS13_IS18_E10value_typeET4_jRbjT5_S1E_jjP12ihipStream_tbEUljE_ZNSN_ISO_Lb0ESQ_SR_ST_SU_SY_EESZ_S10_S11_S12_S16_S17_S18_S1B_S1C_jS1D_jS1E_S1E_jjS1G_bEUljE0_EEESZ_S10_S11_S18_S1C_S1E_T6_T7_T9_mT8_S1G_bDpT10_ENKUlT_T0_E_clISt17integral_constantIbLb1EES1U_EEDaS1P_S1Q_EUlS1P_E_NS1_11comp_targetILNS1_3genE0ELNS1_11target_archE4294967295ELNS1_3gpuE0ELNS1_3repE0EEENS1_30default_config_static_selectorELNS0_4arch9wavefront6targetE0EEEvS12_ ; -- Begin function _ZN7rocprim17ROCPRIM_400000_NS6detail17trampoline_kernelINS0_13select_configILj256ELj13ELNS0_17block_load_methodE3ELS4_3ELS4_3ELNS0_20block_scan_algorithmE0ELj4294967295EEENS1_25partition_config_selectorILNS1_17partition_subalgoE4EjNS0_10empty_typeEbEEZZNS1_14partition_implILS8_4ELb0ES6_15HIP_vector_typeIjLj2EENS0_17counting_iteratorIjlEEPS9_SG_NS0_5tupleIJPjSI_NS0_16reverse_iteratorISI_EEEEENSH_IJSG_SG_SG_EEES9_SI_JZNS1_25segmented_radix_sort_implINS0_14default_configELb0EPKdPdPKlPlN2at6native12_GLOBAL__N_18offset_tEEE10hipError_tPvRmT1_PNSt15iterator_traitsIS12_E10value_typeET2_T3_PNS13_IS18_E10value_typeET4_jRbjT5_S1E_jjP12ihipStream_tbEUljE_ZNSN_ISO_Lb0ESQ_SR_ST_SU_SY_EESZ_S10_S11_S12_S16_S17_S18_S1B_S1C_jS1D_jS1E_S1E_jjS1G_bEUljE0_EEESZ_S10_S11_S18_S1C_S1E_T6_T7_T9_mT8_S1G_bDpT10_ENKUlT_T0_E_clISt17integral_constantIbLb1EES1U_EEDaS1P_S1Q_EUlS1P_E_NS1_11comp_targetILNS1_3genE0ELNS1_11target_archE4294967295ELNS1_3gpuE0ELNS1_3repE0EEENS1_30default_config_static_selectorELNS0_4arch9wavefront6targetE0EEEvS12_
	.p2align	8
	.type	_ZN7rocprim17ROCPRIM_400000_NS6detail17trampoline_kernelINS0_13select_configILj256ELj13ELNS0_17block_load_methodE3ELS4_3ELS4_3ELNS0_20block_scan_algorithmE0ELj4294967295EEENS1_25partition_config_selectorILNS1_17partition_subalgoE4EjNS0_10empty_typeEbEEZZNS1_14partition_implILS8_4ELb0ES6_15HIP_vector_typeIjLj2EENS0_17counting_iteratorIjlEEPS9_SG_NS0_5tupleIJPjSI_NS0_16reverse_iteratorISI_EEEEENSH_IJSG_SG_SG_EEES9_SI_JZNS1_25segmented_radix_sort_implINS0_14default_configELb0EPKdPdPKlPlN2at6native12_GLOBAL__N_18offset_tEEE10hipError_tPvRmT1_PNSt15iterator_traitsIS12_E10value_typeET2_T3_PNS13_IS18_E10value_typeET4_jRbjT5_S1E_jjP12ihipStream_tbEUljE_ZNSN_ISO_Lb0ESQ_SR_ST_SU_SY_EESZ_S10_S11_S12_S16_S17_S18_S1B_S1C_jS1D_jS1E_S1E_jjS1G_bEUljE0_EEESZ_S10_S11_S18_S1C_S1E_T6_T7_T9_mT8_S1G_bDpT10_ENKUlT_T0_E_clISt17integral_constantIbLb1EES1U_EEDaS1P_S1Q_EUlS1P_E_NS1_11comp_targetILNS1_3genE0ELNS1_11target_archE4294967295ELNS1_3gpuE0ELNS1_3repE0EEENS1_30default_config_static_selectorELNS0_4arch9wavefront6targetE0EEEvS12_,@function
_ZN7rocprim17ROCPRIM_400000_NS6detail17trampoline_kernelINS0_13select_configILj256ELj13ELNS0_17block_load_methodE3ELS4_3ELS4_3ELNS0_20block_scan_algorithmE0ELj4294967295EEENS1_25partition_config_selectorILNS1_17partition_subalgoE4EjNS0_10empty_typeEbEEZZNS1_14partition_implILS8_4ELb0ES6_15HIP_vector_typeIjLj2EENS0_17counting_iteratorIjlEEPS9_SG_NS0_5tupleIJPjSI_NS0_16reverse_iteratorISI_EEEEENSH_IJSG_SG_SG_EEES9_SI_JZNS1_25segmented_radix_sort_implINS0_14default_configELb0EPKdPdPKlPlN2at6native12_GLOBAL__N_18offset_tEEE10hipError_tPvRmT1_PNSt15iterator_traitsIS12_E10value_typeET2_T3_PNS13_IS18_E10value_typeET4_jRbjT5_S1E_jjP12ihipStream_tbEUljE_ZNSN_ISO_Lb0ESQ_SR_ST_SU_SY_EESZ_S10_S11_S12_S16_S17_S18_S1B_S1C_jS1D_jS1E_S1E_jjS1G_bEUljE0_EEESZ_S10_S11_S18_S1C_S1E_T6_T7_T9_mT8_S1G_bDpT10_ENKUlT_T0_E_clISt17integral_constantIbLb1EES1U_EEDaS1P_S1Q_EUlS1P_E_NS1_11comp_targetILNS1_3genE0ELNS1_11target_archE4294967295ELNS1_3gpuE0ELNS1_3repE0EEENS1_30default_config_static_selectorELNS0_4arch9wavefront6targetE0EEEvS12_: ; @_ZN7rocprim17ROCPRIM_400000_NS6detail17trampoline_kernelINS0_13select_configILj256ELj13ELNS0_17block_load_methodE3ELS4_3ELS4_3ELNS0_20block_scan_algorithmE0ELj4294967295EEENS1_25partition_config_selectorILNS1_17partition_subalgoE4EjNS0_10empty_typeEbEEZZNS1_14partition_implILS8_4ELb0ES6_15HIP_vector_typeIjLj2EENS0_17counting_iteratorIjlEEPS9_SG_NS0_5tupleIJPjSI_NS0_16reverse_iteratorISI_EEEEENSH_IJSG_SG_SG_EEES9_SI_JZNS1_25segmented_radix_sort_implINS0_14default_configELb0EPKdPdPKlPlN2at6native12_GLOBAL__N_18offset_tEEE10hipError_tPvRmT1_PNSt15iterator_traitsIS12_E10value_typeET2_T3_PNS13_IS18_E10value_typeET4_jRbjT5_S1E_jjP12ihipStream_tbEUljE_ZNSN_ISO_Lb0ESQ_SR_ST_SU_SY_EESZ_S10_S11_S12_S16_S17_S18_S1B_S1C_jS1D_jS1E_S1E_jjS1G_bEUljE0_EEESZ_S10_S11_S18_S1C_S1E_T6_T7_T9_mT8_S1G_bDpT10_ENKUlT_T0_E_clISt17integral_constantIbLb1EES1U_EEDaS1P_S1Q_EUlS1P_E_NS1_11comp_targetILNS1_3genE0ELNS1_11target_archE4294967295ELNS1_3gpuE0ELNS1_3repE0EEENS1_30default_config_static_selectorELNS0_4arch9wavefront6targetE0EEEvS12_
; %bb.0:
	.section	.rodata,"a",@progbits
	.p2align	6, 0x0
	.amdhsa_kernel _ZN7rocprim17ROCPRIM_400000_NS6detail17trampoline_kernelINS0_13select_configILj256ELj13ELNS0_17block_load_methodE3ELS4_3ELS4_3ELNS0_20block_scan_algorithmE0ELj4294967295EEENS1_25partition_config_selectorILNS1_17partition_subalgoE4EjNS0_10empty_typeEbEEZZNS1_14partition_implILS8_4ELb0ES6_15HIP_vector_typeIjLj2EENS0_17counting_iteratorIjlEEPS9_SG_NS0_5tupleIJPjSI_NS0_16reverse_iteratorISI_EEEEENSH_IJSG_SG_SG_EEES9_SI_JZNS1_25segmented_radix_sort_implINS0_14default_configELb0EPKdPdPKlPlN2at6native12_GLOBAL__N_18offset_tEEE10hipError_tPvRmT1_PNSt15iterator_traitsIS12_E10value_typeET2_T3_PNS13_IS18_E10value_typeET4_jRbjT5_S1E_jjP12ihipStream_tbEUljE_ZNSN_ISO_Lb0ESQ_SR_ST_SU_SY_EESZ_S10_S11_S12_S16_S17_S18_S1B_S1C_jS1D_jS1E_S1E_jjS1G_bEUljE0_EEESZ_S10_S11_S18_S1C_S1E_T6_T7_T9_mT8_S1G_bDpT10_ENKUlT_T0_E_clISt17integral_constantIbLb1EES1U_EEDaS1P_S1Q_EUlS1P_E_NS1_11comp_targetILNS1_3genE0ELNS1_11target_archE4294967295ELNS1_3gpuE0ELNS1_3repE0EEENS1_30default_config_static_selectorELNS0_4arch9wavefront6targetE0EEEvS12_
		.amdhsa_group_segment_fixed_size 0
		.amdhsa_private_segment_fixed_size 0
		.amdhsa_kernarg_size 184
		.amdhsa_user_sgpr_count 15
		.amdhsa_user_sgpr_dispatch_ptr 0
		.amdhsa_user_sgpr_queue_ptr 0
		.amdhsa_user_sgpr_kernarg_segment_ptr 1
		.amdhsa_user_sgpr_dispatch_id 0
		.amdhsa_user_sgpr_private_segment_size 0
		.amdhsa_wavefront_size32 1
		.amdhsa_uses_dynamic_stack 0
		.amdhsa_enable_private_segment 0
		.amdhsa_system_sgpr_workgroup_id_x 1
		.amdhsa_system_sgpr_workgroup_id_y 0
		.amdhsa_system_sgpr_workgroup_id_z 0
		.amdhsa_system_sgpr_workgroup_info 0
		.amdhsa_system_vgpr_workitem_id 0
		.amdhsa_next_free_vgpr 1
		.amdhsa_next_free_sgpr 1
		.amdhsa_reserve_vcc 0
		.amdhsa_float_round_mode_32 0
		.amdhsa_float_round_mode_16_64 0
		.amdhsa_float_denorm_mode_32 3
		.amdhsa_float_denorm_mode_16_64 3
		.amdhsa_dx10_clamp 1
		.amdhsa_ieee_mode 1
		.amdhsa_fp16_overflow 0
		.amdhsa_workgroup_processor_mode 1
		.amdhsa_memory_ordered 1
		.amdhsa_forward_progress 0
		.amdhsa_shared_vgpr_count 0
		.amdhsa_exception_fp_ieee_invalid_op 0
		.amdhsa_exception_fp_denorm_src 0
		.amdhsa_exception_fp_ieee_div_zero 0
		.amdhsa_exception_fp_ieee_overflow 0
		.amdhsa_exception_fp_ieee_underflow 0
		.amdhsa_exception_fp_ieee_inexact 0
		.amdhsa_exception_int_div_zero 0
	.end_amdhsa_kernel
	.section	.text._ZN7rocprim17ROCPRIM_400000_NS6detail17trampoline_kernelINS0_13select_configILj256ELj13ELNS0_17block_load_methodE3ELS4_3ELS4_3ELNS0_20block_scan_algorithmE0ELj4294967295EEENS1_25partition_config_selectorILNS1_17partition_subalgoE4EjNS0_10empty_typeEbEEZZNS1_14partition_implILS8_4ELb0ES6_15HIP_vector_typeIjLj2EENS0_17counting_iteratorIjlEEPS9_SG_NS0_5tupleIJPjSI_NS0_16reverse_iteratorISI_EEEEENSH_IJSG_SG_SG_EEES9_SI_JZNS1_25segmented_radix_sort_implINS0_14default_configELb0EPKdPdPKlPlN2at6native12_GLOBAL__N_18offset_tEEE10hipError_tPvRmT1_PNSt15iterator_traitsIS12_E10value_typeET2_T3_PNS13_IS18_E10value_typeET4_jRbjT5_S1E_jjP12ihipStream_tbEUljE_ZNSN_ISO_Lb0ESQ_SR_ST_SU_SY_EESZ_S10_S11_S12_S16_S17_S18_S1B_S1C_jS1D_jS1E_S1E_jjS1G_bEUljE0_EEESZ_S10_S11_S18_S1C_S1E_T6_T7_T9_mT8_S1G_bDpT10_ENKUlT_T0_E_clISt17integral_constantIbLb1EES1U_EEDaS1P_S1Q_EUlS1P_E_NS1_11comp_targetILNS1_3genE0ELNS1_11target_archE4294967295ELNS1_3gpuE0ELNS1_3repE0EEENS1_30default_config_static_selectorELNS0_4arch9wavefront6targetE0EEEvS12_,"axG",@progbits,_ZN7rocprim17ROCPRIM_400000_NS6detail17trampoline_kernelINS0_13select_configILj256ELj13ELNS0_17block_load_methodE3ELS4_3ELS4_3ELNS0_20block_scan_algorithmE0ELj4294967295EEENS1_25partition_config_selectorILNS1_17partition_subalgoE4EjNS0_10empty_typeEbEEZZNS1_14partition_implILS8_4ELb0ES6_15HIP_vector_typeIjLj2EENS0_17counting_iteratorIjlEEPS9_SG_NS0_5tupleIJPjSI_NS0_16reverse_iteratorISI_EEEEENSH_IJSG_SG_SG_EEES9_SI_JZNS1_25segmented_radix_sort_implINS0_14default_configELb0EPKdPdPKlPlN2at6native12_GLOBAL__N_18offset_tEEE10hipError_tPvRmT1_PNSt15iterator_traitsIS12_E10value_typeET2_T3_PNS13_IS18_E10value_typeET4_jRbjT5_S1E_jjP12ihipStream_tbEUljE_ZNSN_ISO_Lb0ESQ_SR_ST_SU_SY_EESZ_S10_S11_S12_S16_S17_S18_S1B_S1C_jS1D_jS1E_S1E_jjS1G_bEUljE0_EEESZ_S10_S11_S18_S1C_S1E_T6_T7_T9_mT8_S1G_bDpT10_ENKUlT_T0_E_clISt17integral_constantIbLb1EES1U_EEDaS1P_S1Q_EUlS1P_E_NS1_11comp_targetILNS1_3genE0ELNS1_11target_archE4294967295ELNS1_3gpuE0ELNS1_3repE0EEENS1_30default_config_static_selectorELNS0_4arch9wavefront6targetE0EEEvS12_,comdat
.Lfunc_end1165:
	.size	_ZN7rocprim17ROCPRIM_400000_NS6detail17trampoline_kernelINS0_13select_configILj256ELj13ELNS0_17block_load_methodE3ELS4_3ELS4_3ELNS0_20block_scan_algorithmE0ELj4294967295EEENS1_25partition_config_selectorILNS1_17partition_subalgoE4EjNS0_10empty_typeEbEEZZNS1_14partition_implILS8_4ELb0ES6_15HIP_vector_typeIjLj2EENS0_17counting_iteratorIjlEEPS9_SG_NS0_5tupleIJPjSI_NS0_16reverse_iteratorISI_EEEEENSH_IJSG_SG_SG_EEES9_SI_JZNS1_25segmented_radix_sort_implINS0_14default_configELb0EPKdPdPKlPlN2at6native12_GLOBAL__N_18offset_tEEE10hipError_tPvRmT1_PNSt15iterator_traitsIS12_E10value_typeET2_T3_PNS13_IS18_E10value_typeET4_jRbjT5_S1E_jjP12ihipStream_tbEUljE_ZNSN_ISO_Lb0ESQ_SR_ST_SU_SY_EESZ_S10_S11_S12_S16_S17_S18_S1B_S1C_jS1D_jS1E_S1E_jjS1G_bEUljE0_EEESZ_S10_S11_S18_S1C_S1E_T6_T7_T9_mT8_S1G_bDpT10_ENKUlT_T0_E_clISt17integral_constantIbLb1EES1U_EEDaS1P_S1Q_EUlS1P_E_NS1_11comp_targetILNS1_3genE0ELNS1_11target_archE4294967295ELNS1_3gpuE0ELNS1_3repE0EEENS1_30default_config_static_selectorELNS0_4arch9wavefront6targetE0EEEvS12_, .Lfunc_end1165-_ZN7rocprim17ROCPRIM_400000_NS6detail17trampoline_kernelINS0_13select_configILj256ELj13ELNS0_17block_load_methodE3ELS4_3ELS4_3ELNS0_20block_scan_algorithmE0ELj4294967295EEENS1_25partition_config_selectorILNS1_17partition_subalgoE4EjNS0_10empty_typeEbEEZZNS1_14partition_implILS8_4ELb0ES6_15HIP_vector_typeIjLj2EENS0_17counting_iteratorIjlEEPS9_SG_NS0_5tupleIJPjSI_NS0_16reverse_iteratorISI_EEEEENSH_IJSG_SG_SG_EEES9_SI_JZNS1_25segmented_radix_sort_implINS0_14default_configELb0EPKdPdPKlPlN2at6native12_GLOBAL__N_18offset_tEEE10hipError_tPvRmT1_PNSt15iterator_traitsIS12_E10value_typeET2_T3_PNS13_IS18_E10value_typeET4_jRbjT5_S1E_jjP12ihipStream_tbEUljE_ZNSN_ISO_Lb0ESQ_SR_ST_SU_SY_EESZ_S10_S11_S12_S16_S17_S18_S1B_S1C_jS1D_jS1E_S1E_jjS1G_bEUljE0_EEESZ_S10_S11_S18_S1C_S1E_T6_T7_T9_mT8_S1G_bDpT10_ENKUlT_T0_E_clISt17integral_constantIbLb1EES1U_EEDaS1P_S1Q_EUlS1P_E_NS1_11comp_targetILNS1_3genE0ELNS1_11target_archE4294967295ELNS1_3gpuE0ELNS1_3repE0EEENS1_30default_config_static_selectorELNS0_4arch9wavefront6targetE0EEEvS12_
                                        ; -- End function
	.section	.AMDGPU.csdata,"",@progbits
; Kernel info:
; codeLenInByte = 0
; NumSgprs: 0
; NumVgprs: 0
; ScratchSize: 0
; MemoryBound: 0
; FloatMode: 240
; IeeeMode: 1
; LDSByteSize: 0 bytes/workgroup (compile time only)
; SGPRBlocks: 0
; VGPRBlocks: 0
; NumSGPRsForWavesPerEU: 1
; NumVGPRsForWavesPerEU: 1
; Occupancy: 16
; WaveLimiterHint : 0
; COMPUTE_PGM_RSRC2:SCRATCH_EN: 0
; COMPUTE_PGM_RSRC2:USER_SGPR: 15
; COMPUTE_PGM_RSRC2:TRAP_HANDLER: 0
; COMPUTE_PGM_RSRC2:TGID_X_EN: 1
; COMPUTE_PGM_RSRC2:TGID_Y_EN: 0
; COMPUTE_PGM_RSRC2:TGID_Z_EN: 0
; COMPUTE_PGM_RSRC2:TIDIG_COMP_CNT: 0
	.section	.text._ZN7rocprim17ROCPRIM_400000_NS6detail17trampoline_kernelINS0_13select_configILj256ELj13ELNS0_17block_load_methodE3ELS4_3ELS4_3ELNS0_20block_scan_algorithmE0ELj4294967295EEENS1_25partition_config_selectorILNS1_17partition_subalgoE4EjNS0_10empty_typeEbEEZZNS1_14partition_implILS8_4ELb0ES6_15HIP_vector_typeIjLj2EENS0_17counting_iteratorIjlEEPS9_SG_NS0_5tupleIJPjSI_NS0_16reverse_iteratorISI_EEEEENSH_IJSG_SG_SG_EEES9_SI_JZNS1_25segmented_radix_sort_implINS0_14default_configELb0EPKdPdPKlPlN2at6native12_GLOBAL__N_18offset_tEEE10hipError_tPvRmT1_PNSt15iterator_traitsIS12_E10value_typeET2_T3_PNS13_IS18_E10value_typeET4_jRbjT5_S1E_jjP12ihipStream_tbEUljE_ZNSN_ISO_Lb0ESQ_SR_ST_SU_SY_EESZ_S10_S11_S12_S16_S17_S18_S1B_S1C_jS1D_jS1E_S1E_jjS1G_bEUljE0_EEESZ_S10_S11_S18_S1C_S1E_T6_T7_T9_mT8_S1G_bDpT10_ENKUlT_T0_E_clISt17integral_constantIbLb1EES1U_EEDaS1P_S1Q_EUlS1P_E_NS1_11comp_targetILNS1_3genE5ELNS1_11target_archE942ELNS1_3gpuE9ELNS1_3repE0EEENS1_30default_config_static_selectorELNS0_4arch9wavefront6targetE0EEEvS12_,"axG",@progbits,_ZN7rocprim17ROCPRIM_400000_NS6detail17trampoline_kernelINS0_13select_configILj256ELj13ELNS0_17block_load_methodE3ELS4_3ELS4_3ELNS0_20block_scan_algorithmE0ELj4294967295EEENS1_25partition_config_selectorILNS1_17partition_subalgoE4EjNS0_10empty_typeEbEEZZNS1_14partition_implILS8_4ELb0ES6_15HIP_vector_typeIjLj2EENS0_17counting_iteratorIjlEEPS9_SG_NS0_5tupleIJPjSI_NS0_16reverse_iteratorISI_EEEEENSH_IJSG_SG_SG_EEES9_SI_JZNS1_25segmented_radix_sort_implINS0_14default_configELb0EPKdPdPKlPlN2at6native12_GLOBAL__N_18offset_tEEE10hipError_tPvRmT1_PNSt15iterator_traitsIS12_E10value_typeET2_T3_PNS13_IS18_E10value_typeET4_jRbjT5_S1E_jjP12ihipStream_tbEUljE_ZNSN_ISO_Lb0ESQ_SR_ST_SU_SY_EESZ_S10_S11_S12_S16_S17_S18_S1B_S1C_jS1D_jS1E_S1E_jjS1G_bEUljE0_EEESZ_S10_S11_S18_S1C_S1E_T6_T7_T9_mT8_S1G_bDpT10_ENKUlT_T0_E_clISt17integral_constantIbLb1EES1U_EEDaS1P_S1Q_EUlS1P_E_NS1_11comp_targetILNS1_3genE5ELNS1_11target_archE942ELNS1_3gpuE9ELNS1_3repE0EEENS1_30default_config_static_selectorELNS0_4arch9wavefront6targetE0EEEvS12_,comdat
	.globl	_ZN7rocprim17ROCPRIM_400000_NS6detail17trampoline_kernelINS0_13select_configILj256ELj13ELNS0_17block_load_methodE3ELS4_3ELS4_3ELNS0_20block_scan_algorithmE0ELj4294967295EEENS1_25partition_config_selectorILNS1_17partition_subalgoE4EjNS0_10empty_typeEbEEZZNS1_14partition_implILS8_4ELb0ES6_15HIP_vector_typeIjLj2EENS0_17counting_iteratorIjlEEPS9_SG_NS0_5tupleIJPjSI_NS0_16reverse_iteratorISI_EEEEENSH_IJSG_SG_SG_EEES9_SI_JZNS1_25segmented_radix_sort_implINS0_14default_configELb0EPKdPdPKlPlN2at6native12_GLOBAL__N_18offset_tEEE10hipError_tPvRmT1_PNSt15iterator_traitsIS12_E10value_typeET2_T3_PNS13_IS18_E10value_typeET4_jRbjT5_S1E_jjP12ihipStream_tbEUljE_ZNSN_ISO_Lb0ESQ_SR_ST_SU_SY_EESZ_S10_S11_S12_S16_S17_S18_S1B_S1C_jS1D_jS1E_S1E_jjS1G_bEUljE0_EEESZ_S10_S11_S18_S1C_S1E_T6_T7_T9_mT8_S1G_bDpT10_ENKUlT_T0_E_clISt17integral_constantIbLb1EES1U_EEDaS1P_S1Q_EUlS1P_E_NS1_11comp_targetILNS1_3genE5ELNS1_11target_archE942ELNS1_3gpuE9ELNS1_3repE0EEENS1_30default_config_static_selectorELNS0_4arch9wavefront6targetE0EEEvS12_ ; -- Begin function _ZN7rocprim17ROCPRIM_400000_NS6detail17trampoline_kernelINS0_13select_configILj256ELj13ELNS0_17block_load_methodE3ELS4_3ELS4_3ELNS0_20block_scan_algorithmE0ELj4294967295EEENS1_25partition_config_selectorILNS1_17partition_subalgoE4EjNS0_10empty_typeEbEEZZNS1_14partition_implILS8_4ELb0ES6_15HIP_vector_typeIjLj2EENS0_17counting_iteratorIjlEEPS9_SG_NS0_5tupleIJPjSI_NS0_16reverse_iteratorISI_EEEEENSH_IJSG_SG_SG_EEES9_SI_JZNS1_25segmented_radix_sort_implINS0_14default_configELb0EPKdPdPKlPlN2at6native12_GLOBAL__N_18offset_tEEE10hipError_tPvRmT1_PNSt15iterator_traitsIS12_E10value_typeET2_T3_PNS13_IS18_E10value_typeET4_jRbjT5_S1E_jjP12ihipStream_tbEUljE_ZNSN_ISO_Lb0ESQ_SR_ST_SU_SY_EESZ_S10_S11_S12_S16_S17_S18_S1B_S1C_jS1D_jS1E_S1E_jjS1G_bEUljE0_EEESZ_S10_S11_S18_S1C_S1E_T6_T7_T9_mT8_S1G_bDpT10_ENKUlT_T0_E_clISt17integral_constantIbLb1EES1U_EEDaS1P_S1Q_EUlS1P_E_NS1_11comp_targetILNS1_3genE5ELNS1_11target_archE942ELNS1_3gpuE9ELNS1_3repE0EEENS1_30default_config_static_selectorELNS0_4arch9wavefront6targetE0EEEvS12_
	.p2align	8
	.type	_ZN7rocprim17ROCPRIM_400000_NS6detail17trampoline_kernelINS0_13select_configILj256ELj13ELNS0_17block_load_methodE3ELS4_3ELS4_3ELNS0_20block_scan_algorithmE0ELj4294967295EEENS1_25partition_config_selectorILNS1_17partition_subalgoE4EjNS0_10empty_typeEbEEZZNS1_14partition_implILS8_4ELb0ES6_15HIP_vector_typeIjLj2EENS0_17counting_iteratorIjlEEPS9_SG_NS0_5tupleIJPjSI_NS0_16reverse_iteratorISI_EEEEENSH_IJSG_SG_SG_EEES9_SI_JZNS1_25segmented_radix_sort_implINS0_14default_configELb0EPKdPdPKlPlN2at6native12_GLOBAL__N_18offset_tEEE10hipError_tPvRmT1_PNSt15iterator_traitsIS12_E10value_typeET2_T3_PNS13_IS18_E10value_typeET4_jRbjT5_S1E_jjP12ihipStream_tbEUljE_ZNSN_ISO_Lb0ESQ_SR_ST_SU_SY_EESZ_S10_S11_S12_S16_S17_S18_S1B_S1C_jS1D_jS1E_S1E_jjS1G_bEUljE0_EEESZ_S10_S11_S18_S1C_S1E_T6_T7_T9_mT8_S1G_bDpT10_ENKUlT_T0_E_clISt17integral_constantIbLb1EES1U_EEDaS1P_S1Q_EUlS1P_E_NS1_11comp_targetILNS1_3genE5ELNS1_11target_archE942ELNS1_3gpuE9ELNS1_3repE0EEENS1_30default_config_static_selectorELNS0_4arch9wavefront6targetE0EEEvS12_,@function
_ZN7rocprim17ROCPRIM_400000_NS6detail17trampoline_kernelINS0_13select_configILj256ELj13ELNS0_17block_load_methodE3ELS4_3ELS4_3ELNS0_20block_scan_algorithmE0ELj4294967295EEENS1_25partition_config_selectorILNS1_17partition_subalgoE4EjNS0_10empty_typeEbEEZZNS1_14partition_implILS8_4ELb0ES6_15HIP_vector_typeIjLj2EENS0_17counting_iteratorIjlEEPS9_SG_NS0_5tupleIJPjSI_NS0_16reverse_iteratorISI_EEEEENSH_IJSG_SG_SG_EEES9_SI_JZNS1_25segmented_radix_sort_implINS0_14default_configELb0EPKdPdPKlPlN2at6native12_GLOBAL__N_18offset_tEEE10hipError_tPvRmT1_PNSt15iterator_traitsIS12_E10value_typeET2_T3_PNS13_IS18_E10value_typeET4_jRbjT5_S1E_jjP12ihipStream_tbEUljE_ZNSN_ISO_Lb0ESQ_SR_ST_SU_SY_EESZ_S10_S11_S12_S16_S17_S18_S1B_S1C_jS1D_jS1E_S1E_jjS1G_bEUljE0_EEESZ_S10_S11_S18_S1C_S1E_T6_T7_T9_mT8_S1G_bDpT10_ENKUlT_T0_E_clISt17integral_constantIbLb1EES1U_EEDaS1P_S1Q_EUlS1P_E_NS1_11comp_targetILNS1_3genE5ELNS1_11target_archE942ELNS1_3gpuE9ELNS1_3repE0EEENS1_30default_config_static_selectorELNS0_4arch9wavefront6targetE0EEEvS12_: ; @_ZN7rocprim17ROCPRIM_400000_NS6detail17trampoline_kernelINS0_13select_configILj256ELj13ELNS0_17block_load_methodE3ELS4_3ELS4_3ELNS0_20block_scan_algorithmE0ELj4294967295EEENS1_25partition_config_selectorILNS1_17partition_subalgoE4EjNS0_10empty_typeEbEEZZNS1_14partition_implILS8_4ELb0ES6_15HIP_vector_typeIjLj2EENS0_17counting_iteratorIjlEEPS9_SG_NS0_5tupleIJPjSI_NS0_16reverse_iteratorISI_EEEEENSH_IJSG_SG_SG_EEES9_SI_JZNS1_25segmented_radix_sort_implINS0_14default_configELb0EPKdPdPKlPlN2at6native12_GLOBAL__N_18offset_tEEE10hipError_tPvRmT1_PNSt15iterator_traitsIS12_E10value_typeET2_T3_PNS13_IS18_E10value_typeET4_jRbjT5_S1E_jjP12ihipStream_tbEUljE_ZNSN_ISO_Lb0ESQ_SR_ST_SU_SY_EESZ_S10_S11_S12_S16_S17_S18_S1B_S1C_jS1D_jS1E_S1E_jjS1G_bEUljE0_EEESZ_S10_S11_S18_S1C_S1E_T6_T7_T9_mT8_S1G_bDpT10_ENKUlT_T0_E_clISt17integral_constantIbLb1EES1U_EEDaS1P_S1Q_EUlS1P_E_NS1_11comp_targetILNS1_3genE5ELNS1_11target_archE942ELNS1_3gpuE9ELNS1_3repE0EEENS1_30default_config_static_selectorELNS0_4arch9wavefront6targetE0EEEvS12_
; %bb.0:
	.section	.rodata,"a",@progbits
	.p2align	6, 0x0
	.amdhsa_kernel _ZN7rocprim17ROCPRIM_400000_NS6detail17trampoline_kernelINS0_13select_configILj256ELj13ELNS0_17block_load_methodE3ELS4_3ELS4_3ELNS0_20block_scan_algorithmE0ELj4294967295EEENS1_25partition_config_selectorILNS1_17partition_subalgoE4EjNS0_10empty_typeEbEEZZNS1_14partition_implILS8_4ELb0ES6_15HIP_vector_typeIjLj2EENS0_17counting_iteratorIjlEEPS9_SG_NS0_5tupleIJPjSI_NS0_16reverse_iteratorISI_EEEEENSH_IJSG_SG_SG_EEES9_SI_JZNS1_25segmented_radix_sort_implINS0_14default_configELb0EPKdPdPKlPlN2at6native12_GLOBAL__N_18offset_tEEE10hipError_tPvRmT1_PNSt15iterator_traitsIS12_E10value_typeET2_T3_PNS13_IS18_E10value_typeET4_jRbjT5_S1E_jjP12ihipStream_tbEUljE_ZNSN_ISO_Lb0ESQ_SR_ST_SU_SY_EESZ_S10_S11_S12_S16_S17_S18_S1B_S1C_jS1D_jS1E_S1E_jjS1G_bEUljE0_EEESZ_S10_S11_S18_S1C_S1E_T6_T7_T9_mT8_S1G_bDpT10_ENKUlT_T0_E_clISt17integral_constantIbLb1EES1U_EEDaS1P_S1Q_EUlS1P_E_NS1_11comp_targetILNS1_3genE5ELNS1_11target_archE942ELNS1_3gpuE9ELNS1_3repE0EEENS1_30default_config_static_selectorELNS0_4arch9wavefront6targetE0EEEvS12_
		.amdhsa_group_segment_fixed_size 0
		.amdhsa_private_segment_fixed_size 0
		.amdhsa_kernarg_size 184
		.amdhsa_user_sgpr_count 15
		.amdhsa_user_sgpr_dispatch_ptr 0
		.amdhsa_user_sgpr_queue_ptr 0
		.amdhsa_user_sgpr_kernarg_segment_ptr 1
		.amdhsa_user_sgpr_dispatch_id 0
		.amdhsa_user_sgpr_private_segment_size 0
		.amdhsa_wavefront_size32 1
		.amdhsa_uses_dynamic_stack 0
		.amdhsa_enable_private_segment 0
		.amdhsa_system_sgpr_workgroup_id_x 1
		.amdhsa_system_sgpr_workgroup_id_y 0
		.amdhsa_system_sgpr_workgroup_id_z 0
		.amdhsa_system_sgpr_workgroup_info 0
		.amdhsa_system_vgpr_workitem_id 0
		.amdhsa_next_free_vgpr 1
		.amdhsa_next_free_sgpr 1
		.amdhsa_reserve_vcc 0
		.amdhsa_float_round_mode_32 0
		.amdhsa_float_round_mode_16_64 0
		.amdhsa_float_denorm_mode_32 3
		.amdhsa_float_denorm_mode_16_64 3
		.amdhsa_dx10_clamp 1
		.amdhsa_ieee_mode 1
		.amdhsa_fp16_overflow 0
		.amdhsa_workgroup_processor_mode 1
		.amdhsa_memory_ordered 1
		.amdhsa_forward_progress 0
		.amdhsa_shared_vgpr_count 0
		.amdhsa_exception_fp_ieee_invalid_op 0
		.amdhsa_exception_fp_denorm_src 0
		.amdhsa_exception_fp_ieee_div_zero 0
		.amdhsa_exception_fp_ieee_overflow 0
		.amdhsa_exception_fp_ieee_underflow 0
		.amdhsa_exception_fp_ieee_inexact 0
		.amdhsa_exception_int_div_zero 0
	.end_amdhsa_kernel
	.section	.text._ZN7rocprim17ROCPRIM_400000_NS6detail17trampoline_kernelINS0_13select_configILj256ELj13ELNS0_17block_load_methodE3ELS4_3ELS4_3ELNS0_20block_scan_algorithmE0ELj4294967295EEENS1_25partition_config_selectorILNS1_17partition_subalgoE4EjNS0_10empty_typeEbEEZZNS1_14partition_implILS8_4ELb0ES6_15HIP_vector_typeIjLj2EENS0_17counting_iteratorIjlEEPS9_SG_NS0_5tupleIJPjSI_NS0_16reverse_iteratorISI_EEEEENSH_IJSG_SG_SG_EEES9_SI_JZNS1_25segmented_radix_sort_implINS0_14default_configELb0EPKdPdPKlPlN2at6native12_GLOBAL__N_18offset_tEEE10hipError_tPvRmT1_PNSt15iterator_traitsIS12_E10value_typeET2_T3_PNS13_IS18_E10value_typeET4_jRbjT5_S1E_jjP12ihipStream_tbEUljE_ZNSN_ISO_Lb0ESQ_SR_ST_SU_SY_EESZ_S10_S11_S12_S16_S17_S18_S1B_S1C_jS1D_jS1E_S1E_jjS1G_bEUljE0_EEESZ_S10_S11_S18_S1C_S1E_T6_T7_T9_mT8_S1G_bDpT10_ENKUlT_T0_E_clISt17integral_constantIbLb1EES1U_EEDaS1P_S1Q_EUlS1P_E_NS1_11comp_targetILNS1_3genE5ELNS1_11target_archE942ELNS1_3gpuE9ELNS1_3repE0EEENS1_30default_config_static_selectorELNS0_4arch9wavefront6targetE0EEEvS12_,"axG",@progbits,_ZN7rocprim17ROCPRIM_400000_NS6detail17trampoline_kernelINS0_13select_configILj256ELj13ELNS0_17block_load_methodE3ELS4_3ELS4_3ELNS0_20block_scan_algorithmE0ELj4294967295EEENS1_25partition_config_selectorILNS1_17partition_subalgoE4EjNS0_10empty_typeEbEEZZNS1_14partition_implILS8_4ELb0ES6_15HIP_vector_typeIjLj2EENS0_17counting_iteratorIjlEEPS9_SG_NS0_5tupleIJPjSI_NS0_16reverse_iteratorISI_EEEEENSH_IJSG_SG_SG_EEES9_SI_JZNS1_25segmented_radix_sort_implINS0_14default_configELb0EPKdPdPKlPlN2at6native12_GLOBAL__N_18offset_tEEE10hipError_tPvRmT1_PNSt15iterator_traitsIS12_E10value_typeET2_T3_PNS13_IS18_E10value_typeET4_jRbjT5_S1E_jjP12ihipStream_tbEUljE_ZNSN_ISO_Lb0ESQ_SR_ST_SU_SY_EESZ_S10_S11_S12_S16_S17_S18_S1B_S1C_jS1D_jS1E_S1E_jjS1G_bEUljE0_EEESZ_S10_S11_S18_S1C_S1E_T6_T7_T9_mT8_S1G_bDpT10_ENKUlT_T0_E_clISt17integral_constantIbLb1EES1U_EEDaS1P_S1Q_EUlS1P_E_NS1_11comp_targetILNS1_3genE5ELNS1_11target_archE942ELNS1_3gpuE9ELNS1_3repE0EEENS1_30default_config_static_selectorELNS0_4arch9wavefront6targetE0EEEvS12_,comdat
.Lfunc_end1166:
	.size	_ZN7rocprim17ROCPRIM_400000_NS6detail17trampoline_kernelINS0_13select_configILj256ELj13ELNS0_17block_load_methodE3ELS4_3ELS4_3ELNS0_20block_scan_algorithmE0ELj4294967295EEENS1_25partition_config_selectorILNS1_17partition_subalgoE4EjNS0_10empty_typeEbEEZZNS1_14partition_implILS8_4ELb0ES6_15HIP_vector_typeIjLj2EENS0_17counting_iteratorIjlEEPS9_SG_NS0_5tupleIJPjSI_NS0_16reverse_iteratorISI_EEEEENSH_IJSG_SG_SG_EEES9_SI_JZNS1_25segmented_radix_sort_implINS0_14default_configELb0EPKdPdPKlPlN2at6native12_GLOBAL__N_18offset_tEEE10hipError_tPvRmT1_PNSt15iterator_traitsIS12_E10value_typeET2_T3_PNS13_IS18_E10value_typeET4_jRbjT5_S1E_jjP12ihipStream_tbEUljE_ZNSN_ISO_Lb0ESQ_SR_ST_SU_SY_EESZ_S10_S11_S12_S16_S17_S18_S1B_S1C_jS1D_jS1E_S1E_jjS1G_bEUljE0_EEESZ_S10_S11_S18_S1C_S1E_T6_T7_T9_mT8_S1G_bDpT10_ENKUlT_T0_E_clISt17integral_constantIbLb1EES1U_EEDaS1P_S1Q_EUlS1P_E_NS1_11comp_targetILNS1_3genE5ELNS1_11target_archE942ELNS1_3gpuE9ELNS1_3repE0EEENS1_30default_config_static_selectorELNS0_4arch9wavefront6targetE0EEEvS12_, .Lfunc_end1166-_ZN7rocprim17ROCPRIM_400000_NS6detail17trampoline_kernelINS0_13select_configILj256ELj13ELNS0_17block_load_methodE3ELS4_3ELS4_3ELNS0_20block_scan_algorithmE0ELj4294967295EEENS1_25partition_config_selectorILNS1_17partition_subalgoE4EjNS0_10empty_typeEbEEZZNS1_14partition_implILS8_4ELb0ES6_15HIP_vector_typeIjLj2EENS0_17counting_iteratorIjlEEPS9_SG_NS0_5tupleIJPjSI_NS0_16reverse_iteratorISI_EEEEENSH_IJSG_SG_SG_EEES9_SI_JZNS1_25segmented_radix_sort_implINS0_14default_configELb0EPKdPdPKlPlN2at6native12_GLOBAL__N_18offset_tEEE10hipError_tPvRmT1_PNSt15iterator_traitsIS12_E10value_typeET2_T3_PNS13_IS18_E10value_typeET4_jRbjT5_S1E_jjP12ihipStream_tbEUljE_ZNSN_ISO_Lb0ESQ_SR_ST_SU_SY_EESZ_S10_S11_S12_S16_S17_S18_S1B_S1C_jS1D_jS1E_S1E_jjS1G_bEUljE0_EEESZ_S10_S11_S18_S1C_S1E_T6_T7_T9_mT8_S1G_bDpT10_ENKUlT_T0_E_clISt17integral_constantIbLb1EES1U_EEDaS1P_S1Q_EUlS1P_E_NS1_11comp_targetILNS1_3genE5ELNS1_11target_archE942ELNS1_3gpuE9ELNS1_3repE0EEENS1_30default_config_static_selectorELNS0_4arch9wavefront6targetE0EEEvS12_
                                        ; -- End function
	.section	.AMDGPU.csdata,"",@progbits
; Kernel info:
; codeLenInByte = 0
; NumSgprs: 0
; NumVgprs: 0
; ScratchSize: 0
; MemoryBound: 0
; FloatMode: 240
; IeeeMode: 1
; LDSByteSize: 0 bytes/workgroup (compile time only)
; SGPRBlocks: 0
; VGPRBlocks: 0
; NumSGPRsForWavesPerEU: 1
; NumVGPRsForWavesPerEU: 1
; Occupancy: 16
; WaveLimiterHint : 0
; COMPUTE_PGM_RSRC2:SCRATCH_EN: 0
; COMPUTE_PGM_RSRC2:USER_SGPR: 15
; COMPUTE_PGM_RSRC2:TRAP_HANDLER: 0
; COMPUTE_PGM_RSRC2:TGID_X_EN: 1
; COMPUTE_PGM_RSRC2:TGID_Y_EN: 0
; COMPUTE_PGM_RSRC2:TGID_Z_EN: 0
; COMPUTE_PGM_RSRC2:TIDIG_COMP_CNT: 0
	.section	.text._ZN7rocprim17ROCPRIM_400000_NS6detail17trampoline_kernelINS0_13select_configILj256ELj13ELNS0_17block_load_methodE3ELS4_3ELS4_3ELNS0_20block_scan_algorithmE0ELj4294967295EEENS1_25partition_config_selectorILNS1_17partition_subalgoE4EjNS0_10empty_typeEbEEZZNS1_14partition_implILS8_4ELb0ES6_15HIP_vector_typeIjLj2EENS0_17counting_iteratorIjlEEPS9_SG_NS0_5tupleIJPjSI_NS0_16reverse_iteratorISI_EEEEENSH_IJSG_SG_SG_EEES9_SI_JZNS1_25segmented_radix_sort_implINS0_14default_configELb0EPKdPdPKlPlN2at6native12_GLOBAL__N_18offset_tEEE10hipError_tPvRmT1_PNSt15iterator_traitsIS12_E10value_typeET2_T3_PNS13_IS18_E10value_typeET4_jRbjT5_S1E_jjP12ihipStream_tbEUljE_ZNSN_ISO_Lb0ESQ_SR_ST_SU_SY_EESZ_S10_S11_S12_S16_S17_S18_S1B_S1C_jS1D_jS1E_S1E_jjS1G_bEUljE0_EEESZ_S10_S11_S18_S1C_S1E_T6_T7_T9_mT8_S1G_bDpT10_ENKUlT_T0_E_clISt17integral_constantIbLb1EES1U_EEDaS1P_S1Q_EUlS1P_E_NS1_11comp_targetILNS1_3genE4ELNS1_11target_archE910ELNS1_3gpuE8ELNS1_3repE0EEENS1_30default_config_static_selectorELNS0_4arch9wavefront6targetE0EEEvS12_,"axG",@progbits,_ZN7rocprim17ROCPRIM_400000_NS6detail17trampoline_kernelINS0_13select_configILj256ELj13ELNS0_17block_load_methodE3ELS4_3ELS4_3ELNS0_20block_scan_algorithmE0ELj4294967295EEENS1_25partition_config_selectorILNS1_17partition_subalgoE4EjNS0_10empty_typeEbEEZZNS1_14partition_implILS8_4ELb0ES6_15HIP_vector_typeIjLj2EENS0_17counting_iteratorIjlEEPS9_SG_NS0_5tupleIJPjSI_NS0_16reverse_iteratorISI_EEEEENSH_IJSG_SG_SG_EEES9_SI_JZNS1_25segmented_radix_sort_implINS0_14default_configELb0EPKdPdPKlPlN2at6native12_GLOBAL__N_18offset_tEEE10hipError_tPvRmT1_PNSt15iterator_traitsIS12_E10value_typeET2_T3_PNS13_IS18_E10value_typeET4_jRbjT5_S1E_jjP12ihipStream_tbEUljE_ZNSN_ISO_Lb0ESQ_SR_ST_SU_SY_EESZ_S10_S11_S12_S16_S17_S18_S1B_S1C_jS1D_jS1E_S1E_jjS1G_bEUljE0_EEESZ_S10_S11_S18_S1C_S1E_T6_T7_T9_mT8_S1G_bDpT10_ENKUlT_T0_E_clISt17integral_constantIbLb1EES1U_EEDaS1P_S1Q_EUlS1P_E_NS1_11comp_targetILNS1_3genE4ELNS1_11target_archE910ELNS1_3gpuE8ELNS1_3repE0EEENS1_30default_config_static_selectorELNS0_4arch9wavefront6targetE0EEEvS12_,comdat
	.globl	_ZN7rocprim17ROCPRIM_400000_NS6detail17trampoline_kernelINS0_13select_configILj256ELj13ELNS0_17block_load_methodE3ELS4_3ELS4_3ELNS0_20block_scan_algorithmE0ELj4294967295EEENS1_25partition_config_selectorILNS1_17partition_subalgoE4EjNS0_10empty_typeEbEEZZNS1_14partition_implILS8_4ELb0ES6_15HIP_vector_typeIjLj2EENS0_17counting_iteratorIjlEEPS9_SG_NS0_5tupleIJPjSI_NS0_16reverse_iteratorISI_EEEEENSH_IJSG_SG_SG_EEES9_SI_JZNS1_25segmented_radix_sort_implINS0_14default_configELb0EPKdPdPKlPlN2at6native12_GLOBAL__N_18offset_tEEE10hipError_tPvRmT1_PNSt15iterator_traitsIS12_E10value_typeET2_T3_PNS13_IS18_E10value_typeET4_jRbjT5_S1E_jjP12ihipStream_tbEUljE_ZNSN_ISO_Lb0ESQ_SR_ST_SU_SY_EESZ_S10_S11_S12_S16_S17_S18_S1B_S1C_jS1D_jS1E_S1E_jjS1G_bEUljE0_EEESZ_S10_S11_S18_S1C_S1E_T6_T7_T9_mT8_S1G_bDpT10_ENKUlT_T0_E_clISt17integral_constantIbLb1EES1U_EEDaS1P_S1Q_EUlS1P_E_NS1_11comp_targetILNS1_3genE4ELNS1_11target_archE910ELNS1_3gpuE8ELNS1_3repE0EEENS1_30default_config_static_selectorELNS0_4arch9wavefront6targetE0EEEvS12_ ; -- Begin function _ZN7rocprim17ROCPRIM_400000_NS6detail17trampoline_kernelINS0_13select_configILj256ELj13ELNS0_17block_load_methodE3ELS4_3ELS4_3ELNS0_20block_scan_algorithmE0ELj4294967295EEENS1_25partition_config_selectorILNS1_17partition_subalgoE4EjNS0_10empty_typeEbEEZZNS1_14partition_implILS8_4ELb0ES6_15HIP_vector_typeIjLj2EENS0_17counting_iteratorIjlEEPS9_SG_NS0_5tupleIJPjSI_NS0_16reverse_iteratorISI_EEEEENSH_IJSG_SG_SG_EEES9_SI_JZNS1_25segmented_radix_sort_implINS0_14default_configELb0EPKdPdPKlPlN2at6native12_GLOBAL__N_18offset_tEEE10hipError_tPvRmT1_PNSt15iterator_traitsIS12_E10value_typeET2_T3_PNS13_IS18_E10value_typeET4_jRbjT5_S1E_jjP12ihipStream_tbEUljE_ZNSN_ISO_Lb0ESQ_SR_ST_SU_SY_EESZ_S10_S11_S12_S16_S17_S18_S1B_S1C_jS1D_jS1E_S1E_jjS1G_bEUljE0_EEESZ_S10_S11_S18_S1C_S1E_T6_T7_T9_mT8_S1G_bDpT10_ENKUlT_T0_E_clISt17integral_constantIbLb1EES1U_EEDaS1P_S1Q_EUlS1P_E_NS1_11comp_targetILNS1_3genE4ELNS1_11target_archE910ELNS1_3gpuE8ELNS1_3repE0EEENS1_30default_config_static_selectorELNS0_4arch9wavefront6targetE0EEEvS12_
	.p2align	8
	.type	_ZN7rocprim17ROCPRIM_400000_NS6detail17trampoline_kernelINS0_13select_configILj256ELj13ELNS0_17block_load_methodE3ELS4_3ELS4_3ELNS0_20block_scan_algorithmE0ELj4294967295EEENS1_25partition_config_selectorILNS1_17partition_subalgoE4EjNS0_10empty_typeEbEEZZNS1_14partition_implILS8_4ELb0ES6_15HIP_vector_typeIjLj2EENS0_17counting_iteratorIjlEEPS9_SG_NS0_5tupleIJPjSI_NS0_16reverse_iteratorISI_EEEEENSH_IJSG_SG_SG_EEES9_SI_JZNS1_25segmented_radix_sort_implINS0_14default_configELb0EPKdPdPKlPlN2at6native12_GLOBAL__N_18offset_tEEE10hipError_tPvRmT1_PNSt15iterator_traitsIS12_E10value_typeET2_T3_PNS13_IS18_E10value_typeET4_jRbjT5_S1E_jjP12ihipStream_tbEUljE_ZNSN_ISO_Lb0ESQ_SR_ST_SU_SY_EESZ_S10_S11_S12_S16_S17_S18_S1B_S1C_jS1D_jS1E_S1E_jjS1G_bEUljE0_EEESZ_S10_S11_S18_S1C_S1E_T6_T7_T9_mT8_S1G_bDpT10_ENKUlT_T0_E_clISt17integral_constantIbLb1EES1U_EEDaS1P_S1Q_EUlS1P_E_NS1_11comp_targetILNS1_3genE4ELNS1_11target_archE910ELNS1_3gpuE8ELNS1_3repE0EEENS1_30default_config_static_selectorELNS0_4arch9wavefront6targetE0EEEvS12_,@function
_ZN7rocprim17ROCPRIM_400000_NS6detail17trampoline_kernelINS0_13select_configILj256ELj13ELNS0_17block_load_methodE3ELS4_3ELS4_3ELNS0_20block_scan_algorithmE0ELj4294967295EEENS1_25partition_config_selectorILNS1_17partition_subalgoE4EjNS0_10empty_typeEbEEZZNS1_14partition_implILS8_4ELb0ES6_15HIP_vector_typeIjLj2EENS0_17counting_iteratorIjlEEPS9_SG_NS0_5tupleIJPjSI_NS0_16reverse_iteratorISI_EEEEENSH_IJSG_SG_SG_EEES9_SI_JZNS1_25segmented_radix_sort_implINS0_14default_configELb0EPKdPdPKlPlN2at6native12_GLOBAL__N_18offset_tEEE10hipError_tPvRmT1_PNSt15iterator_traitsIS12_E10value_typeET2_T3_PNS13_IS18_E10value_typeET4_jRbjT5_S1E_jjP12ihipStream_tbEUljE_ZNSN_ISO_Lb0ESQ_SR_ST_SU_SY_EESZ_S10_S11_S12_S16_S17_S18_S1B_S1C_jS1D_jS1E_S1E_jjS1G_bEUljE0_EEESZ_S10_S11_S18_S1C_S1E_T6_T7_T9_mT8_S1G_bDpT10_ENKUlT_T0_E_clISt17integral_constantIbLb1EES1U_EEDaS1P_S1Q_EUlS1P_E_NS1_11comp_targetILNS1_3genE4ELNS1_11target_archE910ELNS1_3gpuE8ELNS1_3repE0EEENS1_30default_config_static_selectorELNS0_4arch9wavefront6targetE0EEEvS12_: ; @_ZN7rocprim17ROCPRIM_400000_NS6detail17trampoline_kernelINS0_13select_configILj256ELj13ELNS0_17block_load_methodE3ELS4_3ELS4_3ELNS0_20block_scan_algorithmE0ELj4294967295EEENS1_25partition_config_selectorILNS1_17partition_subalgoE4EjNS0_10empty_typeEbEEZZNS1_14partition_implILS8_4ELb0ES6_15HIP_vector_typeIjLj2EENS0_17counting_iteratorIjlEEPS9_SG_NS0_5tupleIJPjSI_NS0_16reverse_iteratorISI_EEEEENSH_IJSG_SG_SG_EEES9_SI_JZNS1_25segmented_radix_sort_implINS0_14default_configELb0EPKdPdPKlPlN2at6native12_GLOBAL__N_18offset_tEEE10hipError_tPvRmT1_PNSt15iterator_traitsIS12_E10value_typeET2_T3_PNS13_IS18_E10value_typeET4_jRbjT5_S1E_jjP12ihipStream_tbEUljE_ZNSN_ISO_Lb0ESQ_SR_ST_SU_SY_EESZ_S10_S11_S12_S16_S17_S18_S1B_S1C_jS1D_jS1E_S1E_jjS1G_bEUljE0_EEESZ_S10_S11_S18_S1C_S1E_T6_T7_T9_mT8_S1G_bDpT10_ENKUlT_T0_E_clISt17integral_constantIbLb1EES1U_EEDaS1P_S1Q_EUlS1P_E_NS1_11comp_targetILNS1_3genE4ELNS1_11target_archE910ELNS1_3gpuE8ELNS1_3repE0EEENS1_30default_config_static_selectorELNS0_4arch9wavefront6targetE0EEEvS12_
; %bb.0:
	.section	.rodata,"a",@progbits
	.p2align	6, 0x0
	.amdhsa_kernel _ZN7rocprim17ROCPRIM_400000_NS6detail17trampoline_kernelINS0_13select_configILj256ELj13ELNS0_17block_load_methodE3ELS4_3ELS4_3ELNS0_20block_scan_algorithmE0ELj4294967295EEENS1_25partition_config_selectorILNS1_17partition_subalgoE4EjNS0_10empty_typeEbEEZZNS1_14partition_implILS8_4ELb0ES6_15HIP_vector_typeIjLj2EENS0_17counting_iteratorIjlEEPS9_SG_NS0_5tupleIJPjSI_NS0_16reverse_iteratorISI_EEEEENSH_IJSG_SG_SG_EEES9_SI_JZNS1_25segmented_radix_sort_implINS0_14default_configELb0EPKdPdPKlPlN2at6native12_GLOBAL__N_18offset_tEEE10hipError_tPvRmT1_PNSt15iterator_traitsIS12_E10value_typeET2_T3_PNS13_IS18_E10value_typeET4_jRbjT5_S1E_jjP12ihipStream_tbEUljE_ZNSN_ISO_Lb0ESQ_SR_ST_SU_SY_EESZ_S10_S11_S12_S16_S17_S18_S1B_S1C_jS1D_jS1E_S1E_jjS1G_bEUljE0_EEESZ_S10_S11_S18_S1C_S1E_T6_T7_T9_mT8_S1G_bDpT10_ENKUlT_T0_E_clISt17integral_constantIbLb1EES1U_EEDaS1P_S1Q_EUlS1P_E_NS1_11comp_targetILNS1_3genE4ELNS1_11target_archE910ELNS1_3gpuE8ELNS1_3repE0EEENS1_30default_config_static_selectorELNS0_4arch9wavefront6targetE0EEEvS12_
		.amdhsa_group_segment_fixed_size 0
		.amdhsa_private_segment_fixed_size 0
		.amdhsa_kernarg_size 184
		.amdhsa_user_sgpr_count 15
		.amdhsa_user_sgpr_dispatch_ptr 0
		.amdhsa_user_sgpr_queue_ptr 0
		.amdhsa_user_sgpr_kernarg_segment_ptr 1
		.amdhsa_user_sgpr_dispatch_id 0
		.amdhsa_user_sgpr_private_segment_size 0
		.amdhsa_wavefront_size32 1
		.amdhsa_uses_dynamic_stack 0
		.amdhsa_enable_private_segment 0
		.amdhsa_system_sgpr_workgroup_id_x 1
		.amdhsa_system_sgpr_workgroup_id_y 0
		.amdhsa_system_sgpr_workgroup_id_z 0
		.amdhsa_system_sgpr_workgroup_info 0
		.amdhsa_system_vgpr_workitem_id 0
		.amdhsa_next_free_vgpr 1
		.amdhsa_next_free_sgpr 1
		.amdhsa_reserve_vcc 0
		.amdhsa_float_round_mode_32 0
		.amdhsa_float_round_mode_16_64 0
		.amdhsa_float_denorm_mode_32 3
		.amdhsa_float_denorm_mode_16_64 3
		.amdhsa_dx10_clamp 1
		.amdhsa_ieee_mode 1
		.amdhsa_fp16_overflow 0
		.amdhsa_workgroup_processor_mode 1
		.amdhsa_memory_ordered 1
		.amdhsa_forward_progress 0
		.amdhsa_shared_vgpr_count 0
		.amdhsa_exception_fp_ieee_invalid_op 0
		.amdhsa_exception_fp_denorm_src 0
		.amdhsa_exception_fp_ieee_div_zero 0
		.amdhsa_exception_fp_ieee_overflow 0
		.amdhsa_exception_fp_ieee_underflow 0
		.amdhsa_exception_fp_ieee_inexact 0
		.amdhsa_exception_int_div_zero 0
	.end_amdhsa_kernel
	.section	.text._ZN7rocprim17ROCPRIM_400000_NS6detail17trampoline_kernelINS0_13select_configILj256ELj13ELNS0_17block_load_methodE3ELS4_3ELS4_3ELNS0_20block_scan_algorithmE0ELj4294967295EEENS1_25partition_config_selectorILNS1_17partition_subalgoE4EjNS0_10empty_typeEbEEZZNS1_14partition_implILS8_4ELb0ES6_15HIP_vector_typeIjLj2EENS0_17counting_iteratorIjlEEPS9_SG_NS0_5tupleIJPjSI_NS0_16reverse_iteratorISI_EEEEENSH_IJSG_SG_SG_EEES9_SI_JZNS1_25segmented_radix_sort_implINS0_14default_configELb0EPKdPdPKlPlN2at6native12_GLOBAL__N_18offset_tEEE10hipError_tPvRmT1_PNSt15iterator_traitsIS12_E10value_typeET2_T3_PNS13_IS18_E10value_typeET4_jRbjT5_S1E_jjP12ihipStream_tbEUljE_ZNSN_ISO_Lb0ESQ_SR_ST_SU_SY_EESZ_S10_S11_S12_S16_S17_S18_S1B_S1C_jS1D_jS1E_S1E_jjS1G_bEUljE0_EEESZ_S10_S11_S18_S1C_S1E_T6_T7_T9_mT8_S1G_bDpT10_ENKUlT_T0_E_clISt17integral_constantIbLb1EES1U_EEDaS1P_S1Q_EUlS1P_E_NS1_11comp_targetILNS1_3genE4ELNS1_11target_archE910ELNS1_3gpuE8ELNS1_3repE0EEENS1_30default_config_static_selectorELNS0_4arch9wavefront6targetE0EEEvS12_,"axG",@progbits,_ZN7rocprim17ROCPRIM_400000_NS6detail17trampoline_kernelINS0_13select_configILj256ELj13ELNS0_17block_load_methodE3ELS4_3ELS4_3ELNS0_20block_scan_algorithmE0ELj4294967295EEENS1_25partition_config_selectorILNS1_17partition_subalgoE4EjNS0_10empty_typeEbEEZZNS1_14partition_implILS8_4ELb0ES6_15HIP_vector_typeIjLj2EENS0_17counting_iteratorIjlEEPS9_SG_NS0_5tupleIJPjSI_NS0_16reverse_iteratorISI_EEEEENSH_IJSG_SG_SG_EEES9_SI_JZNS1_25segmented_radix_sort_implINS0_14default_configELb0EPKdPdPKlPlN2at6native12_GLOBAL__N_18offset_tEEE10hipError_tPvRmT1_PNSt15iterator_traitsIS12_E10value_typeET2_T3_PNS13_IS18_E10value_typeET4_jRbjT5_S1E_jjP12ihipStream_tbEUljE_ZNSN_ISO_Lb0ESQ_SR_ST_SU_SY_EESZ_S10_S11_S12_S16_S17_S18_S1B_S1C_jS1D_jS1E_S1E_jjS1G_bEUljE0_EEESZ_S10_S11_S18_S1C_S1E_T6_T7_T9_mT8_S1G_bDpT10_ENKUlT_T0_E_clISt17integral_constantIbLb1EES1U_EEDaS1P_S1Q_EUlS1P_E_NS1_11comp_targetILNS1_3genE4ELNS1_11target_archE910ELNS1_3gpuE8ELNS1_3repE0EEENS1_30default_config_static_selectorELNS0_4arch9wavefront6targetE0EEEvS12_,comdat
.Lfunc_end1167:
	.size	_ZN7rocprim17ROCPRIM_400000_NS6detail17trampoline_kernelINS0_13select_configILj256ELj13ELNS0_17block_load_methodE3ELS4_3ELS4_3ELNS0_20block_scan_algorithmE0ELj4294967295EEENS1_25partition_config_selectorILNS1_17partition_subalgoE4EjNS0_10empty_typeEbEEZZNS1_14partition_implILS8_4ELb0ES6_15HIP_vector_typeIjLj2EENS0_17counting_iteratorIjlEEPS9_SG_NS0_5tupleIJPjSI_NS0_16reverse_iteratorISI_EEEEENSH_IJSG_SG_SG_EEES9_SI_JZNS1_25segmented_radix_sort_implINS0_14default_configELb0EPKdPdPKlPlN2at6native12_GLOBAL__N_18offset_tEEE10hipError_tPvRmT1_PNSt15iterator_traitsIS12_E10value_typeET2_T3_PNS13_IS18_E10value_typeET4_jRbjT5_S1E_jjP12ihipStream_tbEUljE_ZNSN_ISO_Lb0ESQ_SR_ST_SU_SY_EESZ_S10_S11_S12_S16_S17_S18_S1B_S1C_jS1D_jS1E_S1E_jjS1G_bEUljE0_EEESZ_S10_S11_S18_S1C_S1E_T6_T7_T9_mT8_S1G_bDpT10_ENKUlT_T0_E_clISt17integral_constantIbLb1EES1U_EEDaS1P_S1Q_EUlS1P_E_NS1_11comp_targetILNS1_3genE4ELNS1_11target_archE910ELNS1_3gpuE8ELNS1_3repE0EEENS1_30default_config_static_selectorELNS0_4arch9wavefront6targetE0EEEvS12_, .Lfunc_end1167-_ZN7rocprim17ROCPRIM_400000_NS6detail17trampoline_kernelINS0_13select_configILj256ELj13ELNS0_17block_load_methodE3ELS4_3ELS4_3ELNS0_20block_scan_algorithmE0ELj4294967295EEENS1_25partition_config_selectorILNS1_17partition_subalgoE4EjNS0_10empty_typeEbEEZZNS1_14partition_implILS8_4ELb0ES6_15HIP_vector_typeIjLj2EENS0_17counting_iteratorIjlEEPS9_SG_NS0_5tupleIJPjSI_NS0_16reverse_iteratorISI_EEEEENSH_IJSG_SG_SG_EEES9_SI_JZNS1_25segmented_radix_sort_implINS0_14default_configELb0EPKdPdPKlPlN2at6native12_GLOBAL__N_18offset_tEEE10hipError_tPvRmT1_PNSt15iterator_traitsIS12_E10value_typeET2_T3_PNS13_IS18_E10value_typeET4_jRbjT5_S1E_jjP12ihipStream_tbEUljE_ZNSN_ISO_Lb0ESQ_SR_ST_SU_SY_EESZ_S10_S11_S12_S16_S17_S18_S1B_S1C_jS1D_jS1E_S1E_jjS1G_bEUljE0_EEESZ_S10_S11_S18_S1C_S1E_T6_T7_T9_mT8_S1G_bDpT10_ENKUlT_T0_E_clISt17integral_constantIbLb1EES1U_EEDaS1P_S1Q_EUlS1P_E_NS1_11comp_targetILNS1_3genE4ELNS1_11target_archE910ELNS1_3gpuE8ELNS1_3repE0EEENS1_30default_config_static_selectorELNS0_4arch9wavefront6targetE0EEEvS12_
                                        ; -- End function
	.section	.AMDGPU.csdata,"",@progbits
; Kernel info:
; codeLenInByte = 0
; NumSgprs: 0
; NumVgprs: 0
; ScratchSize: 0
; MemoryBound: 0
; FloatMode: 240
; IeeeMode: 1
; LDSByteSize: 0 bytes/workgroup (compile time only)
; SGPRBlocks: 0
; VGPRBlocks: 0
; NumSGPRsForWavesPerEU: 1
; NumVGPRsForWavesPerEU: 1
; Occupancy: 16
; WaveLimiterHint : 0
; COMPUTE_PGM_RSRC2:SCRATCH_EN: 0
; COMPUTE_PGM_RSRC2:USER_SGPR: 15
; COMPUTE_PGM_RSRC2:TRAP_HANDLER: 0
; COMPUTE_PGM_RSRC2:TGID_X_EN: 1
; COMPUTE_PGM_RSRC2:TGID_Y_EN: 0
; COMPUTE_PGM_RSRC2:TGID_Z_EN: 0
; COMPUTE_PGM_RSRC2:TIDIG_COMP_CNT: 0
	.section	.text._ZN7rocprim17ROCPRIM_400000_NS6detail17trampoline_kernelINS0_13select_configILj256ELj13ELNS0_17block_load_methodE3ELS4_3ELS4_3ELNS0_20block_scan_algorithmE0ELj4294967295EEENS1_25partition_config_selectorILNS1_17partition_subalgoE4EjNS0_10empty_typeEbEEZZNS1_14partition_implILS8_4ELb0ES6_15HIP_vector_typeIjLj2EENS0_17counting_iteratorIjlEEPS9_SG_NS0_5tupleIJPjSI_NS0_16reverse_iteratorISI_EEEEENSH_IJSG_SG_SG_EEES9_SI_JZNS1_25segmented_radix_sort_implINS0_14default_configELb0EPKdPdPKlPlN2at6native12_GLOBAL__N_18offset_tEEE10hipError_tPvRmT1_PNSt15iterator_traitsIS12_E10value_typeET2_T3_PNS13_IS18_E10value_typeET4_jRbjT5_S1E_jjP12ihipStream_tbEUljE_ZNSN_ISO_Lb0ESQ_SR_ST_SU_SY_EESZ_S10_S11_S12_S16_S17_S18_S1B_S1C_jS1D_jS1E_S1E_jjS1G_bEUljE0_EEESZ_S10_S11_S18_S1C_S1E_T6_T7_T9_mT8_S1G_bDpT10_ENKUlT_T0_E_clISt17integral_constantIbLb1EES1U_EEDaS1P_S1Q_EUlS1P_E_NS1_11comp_targetILNS1_3genE3ELNS1_11target_archE908ELNS1_3gpuE7ELNS1_3repE0EEENS1_30default_config_static_selectorELNS0_4arch9wavefront6targetE0EEEvS12_,"axG",@progbits,_ZN7rocprim17ROCPRIM_400000_NS6detail17trampoline_kernelINS0_13select_configILj256ELj13ELNS0_17block_load_methodE3ELS4_3ELS4_3ELNS0_20block_scan_algorithmE0ELj4294967295EEENS1_25partition_config_selectorILNS1_17partition_subalgoE4EjNS0_10empty_typeEbEEZZNS1_14partition_implILS8_4ELb0ES6_15HIP_vector_typeIjLj2EENS0_17counting_iteratorIjlEEPS9_SG_NS0_5tupleIJPjSI_NS0_16reverse_iteratorISI_EEEEENSH_IJSG_SG_SG_EEES9_SI_JZNS1_25segmented_radix_sort_implINS0_14default_configELb0EPKdPdPKlPlN2at6native12_GLOBAL__N_18offset_tEEE10hipError_tPvRmT1_PNSt15iterator_traitsIS12_E10value_typeET2_T3_PNS13_IS18_E10value_typeET4_jRbjT5_S1E_jjP12ihipStream_tbEUljE_ZNSN_ISO_Lb0ESQ_SR_ST_SU_SY_EESZ_S10_S11_S12_S16_S17_S18_S1B_S1C_jS1D_jS1E_S1E_jjS1G_bEUljE0_EEESZ_S10_S11_S18_S1C_S1E_T6_T7_T9_mT8_S1G_bDpT10_ENKUlT_T0_E_clISt17integral_constantIbLb1EES1U_EEDaS1P_S1Q_EUlS1P_E_NS1_11comp_targetILNS1_3genE3ELNS1_11target_archE908ELNS1_3gpuE7ELNS1_3repE0EEENS1_30default_config_static_selectorELNS0_4arch9wavefront6targetE0EEEvS12_,comdat
	.globl	_ZN7rocprim17ROCPRIM_400000_NS6detail17trampoline_kernelINS0_13select_configILj256ELj13ELNS0_17block_load_methodE3ELS4_3ELS4_3ELNS0_20block_scan_algorithmE0ELj4294967295EEENS1_25partition_config_selectorILNS1_17partition_subalgoE4EjNS0_10empty_typeEbEEZZNS1_14partition_implILS8_4ELb0ES6_15HIP_vector_typeIjLj2EENS0_17counting_iteratorIjlEEPS9_SG_NS0_5tupleIJPjSI_NS0_16reverse_iteratorISI_EEEEENSH_IJSG_SG_SG_EEES9_SI_JZNS1_25segmented_radix_sort_implINS0_14default_configELb0EPKdPdPKlPlN2at6native12_GLOBAL__N_18offset_tEEE10hipError_tPvRmT1_PNSt15iterator_traitsIS12_E10value_typeET2_T3_PNS13_IS18_E10value_typeET4_jRbjT5_S1E_jjP12ihipStream_tbEUljE_ZNSN_ISO_Lb0ESQ_SR_ST_SU_SY_EESZ_S10_S11_S12_S16_S17_S18_S1B_S1C_jS1D_jS1E_S1E_jjS1G_bEUljE0_EEESZ_S10_S11_S18_S1C_S1E_T6_T7_T9_mT8_S1G_bDpT10_ENKUlT_T0_E_clISt17integral_constantIbLb1EES1U_EEDaS1P_S1Q_EUlS1P_E_NS1_11comp_targetILNS1_3genE3ELNS1_11target_archE908ELNS1_3gpuE7ELNS1_3repE0EEENS1_30default_config_static_selectorELNS0_4arch9wavefront6targetE0EEEvS12_ ; -- Begin function _ZN7rocprim17ROCPRIM_400000_NS6detail17trampoline_kernelINS0_13select_configILj256ELj13ELNS0_17block_load_methodE3ELS4_3ELS4_3ELNS0_20block_scan_algorithmE0ELj4294967295EEENS1_25partition_config_selectorILNS1_17partition_subalgoE4EjNS0_10empty_typeEbEEZZNS1_14partition_implILS8_4ELb0ES6_15HIP_vector_typeIjLj2EENS0_17counting_iteratorIjlEEPS9_SG_NS0_5tupleIJPjSI_NS0_16reverse_iteratorISI_EEEEENSH_IJSG_SG_SG_EEES9_SI_JZNS1_25segmented_radix_sort_implINS0_14default_configELb0EPKdPdPKlPlN2at6native12_GLOBAL__N_18offset_tEEE10hipError_tPvRmT1_PNSt15iterator_traitsIS12_E10value_typeET2_T3_PNS13_IS18_E10value_typeET4_jRbjT5_S1E_jjP12ihipStream_tbEUljE_ZNSN_ISO_Lb0ESQ_SR_ST_SU_SY_EESZ_S10_S11_S12_S16_S17_S18_S1B_S1C_jS1D_jS1E_S1E_jjS1G_bEUljE0_EEESZ_S10_S11_S18_S1C_S1E_T6_T7_T9_mT8_S1G_bDpT10_ENKUlT_T0_E_clISt17integral_constantIbLb1EES1U_EEDaS1P_S1Q_EUlS1P_E_NS1_11comp_targetILNS1_3genE3ELNS1_11target_archE908ELNS1_3gpuE7ELNS1_3repE0EEENS1_30default_config_static_selectorELNS0_4arch9wavefront6targetE0EEEvS12_
	.p2align	8
	.type	_ZN7rocprim17ROCPRIM_400000_NS6detail17trampoline_kernelINS0_13select_configILj256ELj13ELNS0_17block_load_methodE3ELS4_3ELS4_3ELNS0_20block_scan_algorithmE0ELj4294967295EEENS1_25partition_config_selectorILNS1_17partition_subalgoE4EjNS0_10empty_typeEbEEZZNS1_14partition_implILS8_4ELb0ES6_15HIP_vector_typeIjLj2EENS0_17counting_iteratorIjlEEPS9_SG_NS0_5tupleIJPjSI_NS0_16reverse_iteratorISI_EEEEENSH_IJSG_SG_SG_EEES9_SI_JZNS1_25segmented_radix_sort_implINS0_14default_configELb0EPKdPdPKlPlN2at6native12_GLOBAL__N_18offset_tEEE10hipError_tPvRmT1_PNSt15iterator_traitsIS12_E10value_typeET2_T3_PNS13_IS18_E10value_typeET4_jRbjT5_S1E_jjP12ihipStream_tbEUljE_ZNSN_ISO_Lb0ESQ_SR_ST_SU_SY_EESZ_S10_S11_S12_S16_S17_S18_S1B_S1C_jS1D_jS1E_S1E_jjS1G_bEUljE0_EEESZ_S10_S11_S18_S1C_S1E_T6_T7_T9_mT8_S1G_bDpT10_ENKUlT_T0_E_clISt17integral_constantIbLb1EES1U_EEDaS1P_S1Q_EUlS1P_E_NS1_11comp_targetILNS1_3genE3ELNS1_11target_archE908ELNS1_3gpuE7ELNS1_3repE0EEENS1_30default_config_static_selectorELNS0_4arch9wavefront6targetE0EEEvS12_,@function
_ZN7rocprim17ROCPRIM_400000_NS6detail17trampoline_kernelINS0_13select_configILj256ELj13ELNS0_17block_load_methodE3ELS4_3ELS4_3ELNS0_20block_scan_algorithmE0ELj4294967295EEENS1_25partition_config_selectorILNS1_17partition_subalgoE4EjNS0_10empty_typeEbEEZZNS1_14partition_implILS8_4ELb0ES6_15HIP_vector_typeIjLj2EENS0_17counting_iteratorIjlEEPS9_SG_NS0_5tupleIJPjSI_NS0_16reverse_iteratorISI_EEEEENSH_IJSG_SG_SG_EEES9_SI_JZNS1_25segmented_radix_sort_implINS0_14default_configELb0EPKdPdPKlPlN2at6native12_GLOBAL__N_18offset_tEEE10hipError_tPvRmT1_PNSt15iterator_traitsIS12_E10value_typeET2_T3_PNS13_IS18_E10value_typeET4_jRbjT5_S1E_jjP12ihipStream_tbEUljE_ZNSN_ISO_Lb0ESQ_SR_ST_SU_SY_EESZ_S10_S11_S12_S16_S17_S18_S1B_S1C_jS1D_jS1E_S1E_jjS1G_bEUljE0_EEESZ_S10_S11_S18_S1C_S1E_T6_T7_T9_mT8_S1G_bDpT10_ENKUlT_T0_E_clISt17integral_constantIbLb1EES1U_EEDaS1P_S1Q_EUlS1P_E_NS1_11comp_targetILNS1_3genE3ELNS1_11target_archE908ELNS1_3gpuE7ELNS1_3repE0EEENS1_30default_config_static_selectorELNS0_4arch9wavefront6targetE0EEEvS12_: ; @_ZN7rocprim17ROCPRIM_400000_NS6detail17trampoline_kernelINS0_13select_configILj256ELj13ELNS0_17block_load_methodE3ELS4_3ELS4_3ELNS0_20block_scan_algorithmE0ELj4294967295EEENS1_25partition_config_selectorILNS1_17partition_subalgoE4EjNS0_10empty_typeEbEEZZNS1_14partition_implILS8_4ELb0ES6_15HIP_vector_typeIjLj2EENS0_17counting_iteratorIjlEEPS9_SG_NS0_5tupleIJPjSI_NS0_16reverse_iteratorISI_EEEEENSH_IJSG_SG_SG_EEES9_SI_JZNS1_25segmented_radix_sort_implINS0_14default_configELb0EPKdPdPKlPlN2at6native12_GLOBAL__N_18offset_tEEE10hipError_tPvRmT1_PNSt15iterator_traitsIS12_E10value_typeET2_T3_PNS13_IS18_E10value_typeET4_jRbjT5_S1E_jjP12ihipStream_tbEUljE_ZNSN_ISO_Lb0ESQ_SR_ST_SU_SY_EESZ_S10_S11_S12_S16_S17_S18_S1B_S1C_jS1D_jS1E_S1E_jjS1G_bEUljE0_EEESZ_S10_S11_S18_S1C_S1E_T6_T7_T9_mT8_S1G_bDpT10_ENKUlT_T0_E_clISt17integral_constantIbLb1EES1U_EEDaS1P_S1Q_EUlS1P_E_NS1_11comp_targetILNS1_3genE3ELNS1_11target_archE908ELNS1_3gpuE7ELNS1_3repE0EEENS1_30default_config_static_selectorELNS0_4arch9wavefront6targetE0EEEvS12_
; %bb.0:
	.section	.rodata,"a",@progbits
	.p2align	6, 0x0
	.amdhsa_kernel _ZN7rocprim17ROCPRIM_400000_NS6detail17trampoline_kernelINS0_13select_configILj256ELj13ELNS0_17block_load_methodE3ELS4_3ELS4_3ELNS0_20block_scan_algorithmE0ELj4294967295EEENS1_25partition_config_selectorILNS1_17partition_subalgoE4EjNS0_10empty_typeEbEEZZNS1_14partition_implILS8_4ELb0ES6_15HIP_vector_typeIjLj2EENS0_17counting_iteratorIjlEEPS9_SG_NS0_5tupleIJPjSI_NS0_16reverse_iteratorISI_EEEEENSH_IJSG_SG_SG_EEES9_SI_JZNS1_25segmented_radix_sort_implINS0_14default_configELb0EPKdPdPKlPlN2at6native12_GLOBAL__N_18offset_tEEE10hipError_tPvRmT1_PNSt15iterator_traitsIS12_E10value_typeET2_T3_PNS13_IS18_E10value_typeET4_jRbjT5_S1E_jjP12ihipStream_tbEUljE_ZNSN_ISO_Lb0ESQ_SR_ST_SU_SY_EESZ_S10_S11_S12_S16_S17_S18_S1B_S1C_jS1D_jS1E_S1E_jjS1G_bEUljE0_EEESZ_S10_S11_S18_S1C_S1E_T6_T7_T9_mT8_S1G_bDpT10_ENKUlT_T0_E_clISt17integral_constantIbLb1EES1U_EEDaS1P_S1Q_EUlS1P_E_NS1_11comp_targetILNS1_3genE3ELNS1_11target_archE908ELNS1_3gpuE7ELNS1_3repE0EEENS1_30default_config_static_selectorELNS0_4arch9wavefront6targetE0EEEvS12_
		.amdhsa_group_segment_fixed_size 0
		.amdhsa_private_segment_fixed_size 0
		.amdhsa_kernarg_size 184
		.amdhsa_user_sgpr_count 15
		.amdhsa_user_sgpr_dispatch_ptr 0
		.amdhsa_user_sgpr_queue_ptr 0
		.amdhsa_user_sgpr_kernarg_segment_ptr 1
		.amdhsa_user_sgpr_dispatch_id 0
		.amdhsa_user_sgpr_private_segment_size 0
		.amdhsa_wavefront_size32 1
		.amdhsa_uses_dynamic_stack 0
		.amdhsa_enable_private_segment 0
		.amdhsa_system_sgpr_workgroup_id_x 1
		.amdhsa_system_sgpr_workgroup_id_y 0
		.amdhsa_system_sgpr_workgroup_id_z 0
		.amdhsa_system_sgpr_workgroup_info 0
		.amdhsa_system_vgpr_workitem_id 0
		.amdhsa_next_free_vgpr 1
		.amdhsa_next_free_sgpr 1
		.amdhsa_reserve_vcc 0
		.amdhsa_float_round_mode_32 0
		.amdhsa_float_round_mode_16_64 0
		.amdhsa_float_denorm_mode_32 3
		.amdhsa_float_denorm_mode_16_64 3
		.amdhsa_dx10_clamp 1
		.amdhsa_ieee_mode 1
		.amdhsa_fp16_overflow 0
		.amdhsa_workgroup_processor_mode 1
		.amdhsa_memory_ordered 1
		.amdhsa_forward_progress 0
		.amdhsa_shared_vgpr_count 0
		.amdhsa_exception_fp_ieee_invalid_op 0
		.amdhsa_exception_fp_denorm_src 0
		.amdhsa_exception_fp_ieee_div_zero 0
		.amdhsa_exception_fp_ieee_overflow 0
		.amdhsa_exception_fp_ieee_underflow 0
		.amdhsa_exception_fp_ieee_inexact 0
		.amdhsa_exception_int_div_zero 0
	.end_amdhsa_kernel
	.section	.text._ZN7rocprim17ROCPRIM_400000_NS6detail17trampoline_kernelINS0_13select_configILj256ELj13ELNS0_17block_load_methodE3ELS4_3ELS4_3ELNS0_20block_scan_algorithmE0ELj4294967295EEENS1_25partition_config_selectorILNS1_17partition_subalgoE4EjNS0_10empty_typeEbEEZZNS1_14partition_implILS8_4ELb0ES6_15HIP_vector_typeIjLj2EENS0_17counting_iteratorIjlEEPS9_SG_NS0_5tupleIJPjSI_NS0_16reverse_iteratorISI_EEEEENSH_IJSG_SG_SG_EEES9_SI_JZNS1_25segmented_radix_sort_implINS0_14default_configELb0EPKdPdPKlPlN2at6native12_GLOBAL__N_18offset_tEEE10hipError_tPvRmT1_PNSt15iterator_traitsIS12_E10value_typeET2_T3_PNS13_IS18_E10value_typeET4_jRbjT5_S1E_jjP12ihipStream_tbEUljE_ZNSN_ISO_Lb0ESQ_SR_ST_SU_SY_EESZ_S10_S11_S12_S16_S17_S18_S1B_S1C_jS1D_jS1E_S1E_jjS1G_bEUljE0_EEESZ_S10_S11_S18_S1C_S1E_T6_T7_T9_mT8_S1G_bDpT10_ENKUlT_T0_E_clISt17integral_constantIbLb1EES1U_EEDaS1P_S1Q_EUlS1P_E_NS1_11comp_targetILNS1_3genE3ELNS1_11target_archE908ELNS1_3gpuE7ELNS1_3repE0EEENS1_30default_config_static_selectorELNS0_4arch9wavefront6targetE0EEEvS12_,"axG",@progbits,_ZN7rocprim17ROCPRIM_400000_NS6detail17trampoline_kernelINS0_13select_configILj256ELj13ELNS0_17block_load_methodE3ELS4_3ELS4_3ELNS0_20block_scan_algorithmE0ELj4294967295EEENS1_25partition_config_selectorILNS1_17partition_subalgoE4EjNS0_10empty_typeEbEEZZNS1_14partition_implILS8_4ELb0ES6_15HIP_vector_typeIjLj2EENS0_17counting_iteratorIjlEEPS9_SG_NS0_5tupleIJPjSI_NS0_16reverse_iteratorISI_EEEEENSH_IJSG_SG_SG_EEES9_SI_JZNS1_25segmented_radix_sort_implINS0_14default_configELb0EPKdPdPKlPlN2at6native12_GLOBAL__N_18offset_tEEE10hipError_tPvRmT1_PNSt15iterator_traitsIS12_E10value_typeET2_T3_PNS13_IS18_E10value_typeET4_jRbjT5_S1E_jjP12ihipStream_tbEUljE_ZNSN_ISO_Lb0ESQ_SR_ST_SU_SY_EESZ_S10_S11_S12_S16_S17_S18_S1B_S1C_jS1D_jS1E_S1E_jjS1G_bEUljE0_EEESZ_S10_S11_S18_S1C_S1E_T6_T7_T9_mT8_S1G_bDpT10_ENKUlT_T0_E_clISt17integral_constantIbLb1EES1U_EEDaS1P_S1Q_EUlS1P_E_NS1_11comp_targetILNS1_3genE3ELNS1_11target_archE908ELNS1_3gpuE7ELNS1_3repE0EEENS1_30default_config_static_selectorELNS0_4arch9wavefront6targetE0EEEvS12_,comdat
.Lfunc_end1168:
	.size	_ZN7rocprim17ROCPRIM_400000_NS6detail17trampoline_kernelINS0_13select_configILj256ELj13ELNS0_17block_load_methodE3ELS4_3ELS4_3ELNS0_20block_scan_algorithmE0ELj4294967295EEENS1_25partition_config_selectorILNS1_17partition_subalgoE4EjNS0_10empty_typeEbEEZZNS1_14partition_implILS8_4ELb0ES6_15HIP_vector_typeIjLj2EENS0_17counting_iteratorIjlEEPS9_SG_NS0_5tupleIJPjSI_NS0_16reverse_iteratorISI_EEEEENSH_IJSG_SG_SG_EEES9_SI_JZNS1_25segmented_radix_sort_implINS0_14default_configELb0EPKdPdPKlPlN2at6native12_GLOBAL__N_18offset_tEEE10hipError_tPvRmT1_PNSt15iterator_traitsIS12_E10value_typeET2_T3_PNS13_IS18_E10value_typeET4_jRbjT5_S1E_jjP12ihipStream_tbEUljE_ZNSN_ISO_Lb0ESQ_SR_ST_SU_SY_EESZ_S10_S11_S12_S16_S17_S18_S1B_S1C_jS1D_jS1E_S1E_jjS1G_bEUljE0_EEESZ_S10_S11_S18_S1C_S1E_T6_T7_T9_mT8_S1G_bDpT10_ENKUlT_T0_E_clISt17integral_constantIbLb1EES1U_EEDaS1P_S1Q_EUlS1P_E_NS1_11comp_targetILNS1_3genE3ELNS1_11target_archE908ELNS1_3gpuE7ELNS1_3repE0EEENS1_30default_config_static_selectorELNS0_4arch9wavefront6targetE0EEEvS12_, .Lfunc_end1168-_ZN7rocprim17ROCPRIM_400000_NS6detail17trampoline_kernelINS0_13select_configILj256ELj13ELNS0_17block_load_methodE3ELS4_3ELS4_3ELNS0_20block_scan_algorithmE0ELj4294967295EEENS1_25partition_config_selectorILNS1_17partition_subalgoE4EjNS0_10empty_typeEbEEZZNS1_14partition_implILS8_4ELb0ES6_15HIP_vector_typeIjLj2EENS0_17counting_iteratorIjlEEPS9_SG_NS0_5tupleIJPjSI_NS0_16reverse_iteratorISI_EEEEENSH_IJSG_SG_SG_EEES9_SI_JZNS1_25segmented_radix_sort_implINS0_14default_configELb0EPKdPdPKlPlN2at6native12_GLOBAL__N_18offset_tEEE10hipError_tPvRmT1_PNSt15iterator_traitsIS12_E10value_typeET2_T3_PNS13_IS18_E10value_typeET4_jRbjT5_S1E_jjP12ihipStream_tbEUljE_ZNSN_ISO_Lb0ESQ_SR_ST_SU_SY_EESZ_S10_S11_S12_S16_S17_S18_S1B_S1C_jS1D_jS1E_S1E_jjS1G_bEUljE0_EEESZ_S10_S11_S18_S1C_S1E_T6_T7_T9_mT8_S1G_bDpT10_ENKUlT_T0_E_clISt17integral_constantIbLb1EES1U_EEDaS1P_S1Q_EUlS1P_E_NS1_11comp_targetILNS1_3genE3ELNS1_11target_archE908ELNS1_3gpuE7ELNS1_3repE0EEENS1_30default_config_static_selectorELNS0_4arch9wavefront6targetE0EEEvS12_
                                        ; -- End function
	.section	.AMDGPU.csdata,"",@progbits
; Kernel info:
; codeLenInByte = 0
; NumSgprs: 0
; NumVgprs: 0
; ScratchSize: 0
; MemoryBound: 0
; FloatMode: 240
; IeeeMode: 1
; LDSByteSize: 0 bytes/workgroup (compile time only)
; SGPRBlocks: 0
; VGPRBlocks: 0
; NumSGPRsForWavesPerEU: 1
; NumVGPRsForWavesPerEU: 1
; Occupancy: 16
; WaveLimiterHint : 0
; COMPUTE_PGM_RSRC2:SCRATCH_EN: 0
; COMPUTE_PGM_RSRC2:USER_SGPR: 15
; COMPUTE_PGM_RSRC2:TRAP_HANDLER: 0
; COMPUTE_PGM_RSRC2:TGID_X_EN: 1
; COMPUTE_PGM_RSRC2:TGID_Y_EN: 0
; COMPUTE_PGM_RSRC2:TGID_Z_EN: 0
; COMPUTE_PGM_RSRC2:TIDIG_COMP_CNT: 0
	.section	.text._ZN7rocprim17ROCPRIM_400000_NS6detail17trampoline_kernelINS0_13select_configILj256ELj13ELNS0_17block_load_methodE3ELS4_3ELS4_3ELNS0_20block_scan_algorithmE0ELj4294967295EEENS1_25partition_config_selectorILNS1_17partition_subalgoE4EjNS0_10empty_typeEbEEZZNS1_14partition_implILS8_4ELb0ES6_15HIP_vector_typeIjLj2EENS0_17counting_iteratorIjlEEPS9_SG_NS0_5tupleIJPjSI_NS0_16reverse_iteratorISI_EEEEENSH_IJSG_SG_SG_EEES9_SI_JZNS1_25segmented_radix_sort_implINS0_14default_configELb0EPKdPdPKlPlN2at6native12_GLOBAL__N_18offset_tEEE10hipError_tPvRmT1_PNSt15iterator_traitsIS12_E10value_typeET2_T3_PNS13_IS18_E10value_typeET4_jRbjT5_S1E_jjP12ihipStream_tbEUljE_ZNSN_ISO_Lb0ESQ_SR_ST_SU_SY_EESZ_S10_S11_S12_S16_S17_S18_S1B_S1C_jS1D_jS1E_S1E_jjS1G_bEUljE0_EEESZ_S10_S11_S18_S1C_S1E_T6_T7_T9_mT8_S1G_bDpT10_ENKUlT_T0_E_clISt17integral_constantIbLb1EES1U_EEDaS1P_S1Q_EUlS1P_E_NS1_11comp_targetILNS1_3genE2ELNS1_11target_archE906ELNS1_3gpuE6ELNS1_3repE0EEENS1_30default_config_static_selectorELNS0_4arch9wavefront6targetE0EEEvS12_,"axG",@progbits,_ZN7rocprim17ROCPRIM_400000_NS6detail17trampoline_kernelINS0_13select_configILj256ELj13ELNS0_17block_load_methodE3ELS4_3ELS4_3ELNS0_20block_scan_algorithmE0ELj4294967295EEENS1_25partition_config_selectorILNS1_17partition_subalgoE4EjNS0_10empty_typeEbEEZZNS1_14partition_implILS8_4ELb0ES6_15HIP_vector_typeIjLj2EENS0_17counting_iteratorIjlEEPS9_SG_NS0_5tupleIJPjSI_NS0_16reverse_iteratorISI_EEEEENSH_IJSG_SG_SG_EEES9_SI_JZNS1_25segmented_radix_sort_implINS0_14default_configELb0EPKdPdPKlPlN2at6native12_GLOBAL__N_18offset_tEEE10hipError_tPvRmT1_PNSt15iterator_traitsIS12_E10value_typeET2_T3_PNS13_IS18_E10value_typeET4_jRbjT5_S1E_jjP12ihipStream_tbEUljE_ZNSN_ISO_Lb0ESQ_SR_ST_SU_SY_EESZ_S10_S11_S12_S16_S17_S18_S1B_S1C_jS1D_jS1E_S1E_jjS1G_bEUljE0_EEESZ_S10_S11_S18_S1C_S1E_T6_T7_T9_mT8_S1G_bDpT10_ENKUlT_T0_E_clISt17integral_constantIbLb1EES1U_EEDaS1P_S1Q_EUlS1P_E_NS1_11comp_targetILNS1_3genE2ELNS1_11target_archE906ELNS1_3gpuE6ELNS1_3repE0EEENS1_30default_config_static_selectorELNS0_4arch9wavefront6targetE0EEEvS12_,comdat
	.globl	_ZN7rocprim17ROCPRIM_400000_NS6detail17trampoline_kernelINS0_13select_configILj256ELj13ELNS0_17block_load_methodE3ELS4_3ELS4_3ELNS0_20block_scan_algorithmE0ELj4294967295EEENS1_25partition_config_selectorILNS1_17partition_subalgoE4EjNS0_10empty_typeEbEEZZNS1_14partition_implILS8_4ELb0ES6_15HIP_vector_typeIjLj2EENS0_17counting_iteratorIjlEEPS9_SG_NS0_5tupleIJPjSI_NS0_16reverse_iteratorISI_EEEEENSH_IJSG_SG_SG_EEES9_SI_JZNS1_25segmented_radix_sort_implINS0_14default_configELb0EPKdPdPKlPlN2at6native12_GLOBAL__N_18offset_tEEE10hipError_tPvRmT1_PNSt15iterator_traitsIS12_E10value_typeET2_T3_PNS13_IS18_E10value_typeET4_jRbjT5_S1E_jjP12ihipStream_tbEUljE_ZNSN_ISO_Lb0ESQ_SR_ST_SU_SY_EESZ_S10_S11_S12_S16_S17_S18_S1B_S1C_jS1D_jS1E_S1E_jjS1G_bEUljE0_EEESZ_S10_S11_S18_S1C_S1E_T6_T7_T9_mT8_S1G_bDpT10_ENKUlT_T0_E_clISt17integral_constantIbLb1EES1U_EEDaS1P_S1Q_EUlS1P_E_NS1_11comp_targetILNS1_3genE2ELNS1_11target_archE906ELNS1_3gpuE6ELNS1_3repE0EEENS1_30default_config_static_selectorELNS0_4arch9wavefront6targetE0EEEvS12_ ; -- Begin function _ZN7rocprim17ROCPRIM_400000_NS6detail17trampoline_kernelINS0_13select_configILj256ELj13ELNS0_17block_load_methodE3ELS4_3ELS4_3ELNS0_20block_scan_algorithmE0ELj4294967295EEENS1_25partition_config_selectorILNS1_17partition_subalgoE4EjNS0_10empty_typeEbEEZZNS1_14partition_implILS8_4ELb0ES6_15HIP_vector_typeIjLj2EENS0_17counting_iteratorIjlEEPS9_SG_NS0_5tupleIJPjSI_NS0_16reverse_iteratorISI_EEEEENSH_IJSG_SG_SG_EEES9_SI_JZNS1_25segmented_radix_sort_implINS0_14default_configELb0EPKdPdPKlPlN2at6native12_GLOBAL__N_18offset_tEEE10hipError_tPvRmT1_PNSt15iterator_traitsIS12_E10value_typeET2_T3_PNS13_IS18_E10value_typeET4_jRbjT5_S1E_jjP12ihipStream_tbEUljE_ZNSN_ISO_Lb0ESQ_SR_ST_SU_SY_EESZ_S10_S11_S12_S16_S17_S18_S1B_S1C_jS1D_jS1E_S1E_jjS1G_bEUljE0_EEESZ_S10_S11_S18_S1C_S1E_T6_T7_T9_mT8_S1G_bDpT10_ENKUlT_T0_E_clISt17integral_constantIbLb1EES1U_EEDaS1P_S1Q_EUlS1P_E_NS1_11comp_targetILNS1_3genE2ELNS1_11target_archE906ELNS1_3gpuE6ELNS1_3repE0EEENS1_30default_config_static_selectorELNS0_4arch9wavefront6targetE0EEEvS12_
	.p2align	8
	.type	_ZN7rocprim17ROCPRIM_400000_NS6detail17trampoline_kernelINS0_13select_configILj256ELj13ELNS0_17block_load_methodE3ELS4_3ELS4_3ELNS0_20block_scan_algorithmE0ELj4294967295EEENS1_25partition_config_selectorILNS1_17partition_subalgoE4EjNS0_10empty_typeEbEEZZNS1_14partition_implILS8_4ELb0ES6_15HIP_vector_typeIjLj2EENS0_17counting_iteratorIjlEEPS9_SG_NS0_5tupleIJPjSI_NS0_16reverse_iteratorISI_EEEEENSH_IJSG_SG_SG_EEES9_SI_JZNS1_25segmented_radix_sort_implINS0_14default_configELb0EPKdPdPKlPlN2at6native12_GLOBAL__N_18offset_tEEE10hipError_tPvRmT1_PNSt15iterator_traitsIS12_E10value_typeET2_T3_PNS13_IS18_E10value_typeET4_jRbjT5_S1E_jjP12ihipStream_tbEUljE_ZNSN_ISO_Lb0ESQ_SR_ST_SU_SY_EESZ_S10_S11_S12_S16_S17_S18_S1B_S1C_jS1D_jS1E_S1E_jjS1G_bEUljE0_EEESZ_S10_S11_S18_S1C_S1E_T6_T7_T9_mT8_S1G_bDpT10_ENKUlT_T0_E_clISt17integral_constantIbLb1EES1U_EEDaS1P_S1Q_EUlS1P_E_NS1_11comp_targetILNS1_3genE2ELNS1_11target_archE906ELNS1_3gpuE6ELNS1_3repE0EEENS1_30default_config_static_selectorELNS0_4arch9wavefront6targetE0EEEvS12_,@function
_ZN7rocprim17ROCPRIM_400000_NS6detail17trampoline_kernelINS0_13select_configILj256ELj13ELNS0_17block_load_methodE3ELS4_3ELS4_3ELNS0_20block_scan_algorithmE0ELj4294967295EEENS1_25partition_config_selectorILNS1_17partition_subalgoE4EjNS0_10empty_typeEbEEZZNS1_14partition_implILS8_4ELb0ES6_15HIP_vector_typeIjLj2EENS0_17counting_iteratorIjlEEPS9_SG_NS0_5tupleIJPjSI_NS0_16reverse_iteratorISI_EEEEENSH_IJSG_SG_SG_EEES9_SI_JZNS1_25segmented_radix_sort_implINS0_14default_configELb0EPKdPdPKlPlN2at6native12_GLOBAL__N_18offset_tEEE10hipError_tPvRmT1_PNSt15iterator_traitsIS12_E10value_typeET2_T3_PNS13_IS18_E10value_typeET4_jRbjT5_S1E_jjP12ihipStream_tbEUljE_ZNSN_ISO_Lb0ESQ_SR_ST_SU_SY_EESZ_S10_S11_S12_S16_S17_S18_S1B_S1C_jS1D_jS1E_S1E_jjS1G_bEUljE0_EEESZ_S10_S11_S18_S1C_S1E_T6_T7_T9_mT8_S1G_bDpT10_ENKUlT_T0_E_clISt17integral_constantIbLb1EES1U_EEDaS1P_S1Q_EUlS1P_E_NS1_11comp_targetILNS1_3genE2ELNS1_11target_archE906ELNS1_3gpuE6ELNS1_3repE0EEENS1_30default_config_static_selectorELNS0_4arch9wavefront6targetE0EEEvS12_: ; @_ZN7rocprim17ROCPRIM_400000_NS6detail17trampoline_kernelINS0_13select_configILj256ELj13ELNS0_17block_load_methodE3ELS4_3ELS4_3ELNS0_20block_scan_algorithmE0ELj4294967295EEENS1_25partition_config_selectorILNS1_17partition_subalgoE4EjNS0_10empty_typeEbEEZZNS1_14partition_implILS8_4ELb0ES6_15HIP_vector_typeIjLj2EENS0_17counting_iteratorIjlEEPS9_SG_NS0_5tupleIJPjSI_NS0_16reverse_iteratorISI_EEEEENSH_IJSG_SG_SG_EEES9_SI_JZNS1_25segmented_radix_sort_implINS0_14default_configELb0EPKdPdPKlPlN2at6native12_GLOBAL__N_18offset_tEEE10hipError_tPvRmT1_PNSt15iterator_traitsIS12_E10value_typeET2_T3_PNS13_IS18_E10value_typeET4_jRbjT5_S1E_jjP12ihipStream_tbEUljE_ZNSN_ISO_Lb0ESQ_SR_ST_SU_SY_EESZ_S10_S11_S12_S16_S17_S18_S1B_S1C_jS1D_jS1E_S1E_jjS1G_bEUljE0_EEESZ_S10_S11_S18_S1C_S1E_T6_T7_T9_mT8_S1G_bDpT10_ENKUlT_T0_E_clISt17integral_constantIbLb1EES1U_EEDaS1P_S1Q_EUlS1P_E_NS1_11comp_targetILNS1_3genE2ELNS1_11target_archE906ELNS1_3gpuE6ELNS1_3repE0EEENS1_30default_config_static_selectorELNS0_4arch9wavefront6targetE0EEEvS12_
; %bb.0:
	.section	.rodata,"a",@progbits
	.p2align	6, 0x0
	.amdhsa_kernel _ZN7rocprim17ROCPRIM_400000_NS6detail17trampoline_kernelINS0_13select_configILj256ELj13ELNS0_17block_load_methodE3ELS4_3ELS4_3ELNS0_20block_scan_algorithmE0ELj4294967295EEENS1_25partition_config_selectorILNS1_17partition_subalgoE4EjNS0_10empty_typeEbEEZZNS1_14partition_implILS8_4ELb0ES6_15HIP_vector_typeIjLj2EENS0_17counting_iteratorIjlEEPS9_SG_NS0_5tupleIJPjSI_NS0_16reverse_iteratorISI_EEEEENSH_IJSG_SG_SG_EEES9_SI_JZNS1_25segmented_radix_sort_implINS0_14default_configELb0EPKdPdPKlPlN2at6native12_GLOBAL__N_18offset_tEEE10hipError_tPvRmT1_PNSt15iterator_traitsIS12_E10value_typeET2_T3_PNS13_IS18_E10value_typeET4_jRbjT5_S1E_jjP12ihipStream_tbEUljE_ZNSN_ISO_Lb0ESQ_SR_ST_SU_SY_EESZ_S10_S11_S12_S16_S17_S18_S1B_S1C_jS1D_jS1E_S1E_jjS1G_bEUljE0_EEESZ_S10_S11_S18_S1C_S1E_T6_T7_T9_mT8_S1G_bDpT10_ENKUlT_T0_E_clISt17integral_constantIbLb1EES1U_EEDaS1P_S1Q_EUlS1P_E_NS1_11comp_targetILNS1_3genE2ELNS1_11target_archE906ELNS1_3gpuE6ELNS1_3repE0EEENS1_30default_config_static_selectorELNS0_4arch9wavefront6targetE0EEEvS12_
		.amdhsa_group_segment_fixed_size 0
		.amdhsa_private_segment_fixed_size 0
		.amdhsa_kernarg_size 184
		.amdhsa_user_sgpr_count 15
		.amdhsa_user_sgpr_dispatch_ptr 0
		.amdhsa_user_sgpr_queue_ptr 0
		.amdhsa_user_sgpr_kernarg_segment_ptr 1
		.amdhsa_user_sgpr_dispatch_id 0
		.amdhsa_user_sgpr_private_segment_size 0
		.amdhsa_wavefront_size32 1
		.amdhsa_uses_dynamic_stack 0
		.amdhsa_enable_private_segment 0
		.amdhsa_system_sgpr_workgroup_id_x 1
		.amdhsa_system_sgpr_workgroup_id_y 0
		.amdhsa_system_sgpr_workgroup_id_z 0
		.amdhsa_system_sgpr_workgroup_info 0
		.amdhsa_system_vgpr_workitem_id 0
		.amdhsa_next_free_vgpr 1
		.amdhsa_next_free_sgpr 1
		.amdhsa_reserve_vcc 0
		.amdhsa_float_round_mode_32 0
		.amdhsa_float_round_mode_16_64 0
		.amdhsa_float_denorm_mode_32 3
		.amdhsa_float_denorm_mode_16_64 3
		.amdhsa_dx10_clamp 1
		.amdhsa_ieee_mode 1
		.amdhsa_fp16_overflow 0
		.amdhsa_workgroup_processor_mode 1
		.amdhsa_memory_ordered 1
		.amdhsa_forward_progress 0
		.amdhsa_shared_vgpr_count 0
		.amdhsa_exception_fp_ieee_invalid_op 0
		.amdhsa_exception_fp_denorm_src 0
		.amdhsa_exception_fp_ieee_div_zero 0
		.amdhsa_exception_fp_ieee_overflow 0
		.amdhsa_exception_fp_ieee_underflow 0
		.amdhsa_exception_fp_ieee_inexact 0
		.amdhsa_exception_int_div_zero 0
	.end_amdhsa_kernel
	.section	.text._ZN7rocprim17ROCPRIM_400000_NS6detail17trampoline_kernelINS0_13select_configILj256ELj13ELNS0_17block_load_methodE3ELS4_3ELS4_3ELNS0_20block_scan_algorithmE0ELj4294967295EEENS1_25partition_config_selectorILNS1_17partition_subalgoE4EjNS0_10empty_typeEbEEZZNS1_14partition_implILS8_4ELb0ES6_15HIP_vector_typeIjLj2EENS0_17counting_iteratorIjlEEPS9_SG_NS0_5tupleIJPjSI_NS0_16reverse_iteratorISI_EEEEENSH_IJSG_SG_SG_EEES9_SI_JZNS1_25segmented_radix_sort_implINS0_14default_configELb0EPKdPdPKlPlN2at6native12_GLOBAL__N_18offset_tEEE10hipError_tPvRmT1_PNSt15iterator_traitsIS12_E10value_typeET2_T3_PNS13_IS18_E10value_typeET4_jRbjT5_S1E_jjP12ihipStream_tbEUljE_ZNSN_ISO_Lb0ESQ_SR_ST_SU_SY_EESZ_S10_S11_S12_S16_S17_S18_S1B_S1C_jS1D_jS1E_S1E_jjS1G_bEUljE0_EEESZ_S10_S11_S18_S1C_S1E_T6_T7_T9_mT8_S1G_bDpT10_ENKUlT_T0_E_clISt17integral_constantIbLb1EES1U_EEDaS1P_S1Q_EUlS1P_E_NS1_11comp_targetILNS1_3genE2ELNS1_11target_archE906ELNS1_3gpuE6ELNS1_3repE0EEENS1_30default_config_static_selectorELNS0_4arch9wavefront6targetE0EEEvS12_,"axG",@progbits,_ZN7rocprim17ROCPRIM_400000_NS6detail17trampoline_kernelINS0_13select_configILj256ELj13ELNS0_17block_load_methodE3ELS4_3ELS4_3ELNS0_20block_scan_algorithmE0ELj4294967295EEENS1_25partition_config_selectorILNS1_17partition_subalgoE4EjNS0_10empty_typeEbEEZZNS1_14partition_implILS8_4ELb0ES6_15HIP_vector_typeIjLj2EENS0_17counting_iteratorIjlEEPS9_SG_NS0_5tupleIJPjSI_NS0_16reverse_iteratorISI_EEEEENSH_IJSG_SG_SG_EEES9_SI_JZNS1_25segmented_radix_sort_implINS0_14default_configELb0EPKdPdPKlPlN2at6native12_GLOBAL__N_18offset_tEEE10hipError_tPvRmT1_PNSt15iterator_traitsIS12_E10value_typeET2_T3_PNS13_IS18_E10value_typeET4_jRbjT5_S1E_jjP12ihipStream_tbEUljE_ZNSN_ISO_Lb0ESQ_SR_ST_SU_SY_EESZ_S10_S11_S12_S16_S17_S18_S1B_S1C_jS1D_jS1E_S1E_jjS1G_bEUljE0_EEESZ_S10_S11_S18_S1C_S1E_T6_T7_T9_mT8_S1G_bDpT10_ENKUlT_T0_E_clISt17integral_constantIbLb1EES1U_EEDaS1P_S1Q_EUlS1P_E_NS1_11comp_targetILNS1_3genE2ELNS1_11target_archE906ELNS1_3gpuE6ELNS1_3repE0EEENS1_30default_config_static_selectorELNS0_4arch9wavefront6targetE0EEEvS12_,comdat
.Lfunc_end1169:
	.size	_ZN7rocprim17ROCPRIM_400000_NS6detail17trampoline_kernelINS0_13select_configILj256ELj13ELNS0_17block_load_methodE3ELS4_3ELS4_3ELNS0_20block_scan_algorithmE0ELj4294967295EEENS1_25partition_config_selectorILNS1_17partition_subalgoE4EjNS0_10empty_typeEbEEZZNS1_14partition_implILS8_4ELb0ES6_15HIP_vector_typeIjLj2EENS0_17counting_iteratorIjlEEPS9_SG_NS0_5tupleIJPjSI_NS0_16reverse_iteratorISI_EEEEENSH_IJSG_SG_SG_EEES9_SI_JZNS1_25segmented_radix_sort_implINS0_14default_configELb0EPKdPdPKlPlN2at6native12_GLOBAL__N_18offset_tEEE10hipError_tPvRmT1_PNSt15iterator_traitsIS12_E10value_typeET2_T3_PNS13_IS18_E10value_typeET4_jRbjT5_S1E_jjP12ihipStream_tbEUljE_ZNSN_ISO_Lb0ESQ_SR_ST_SU_SY_EESZ_S10_S11_S12_S16_S17_S18_S1B_S1C_jS1D_jS1E_S1E_jjS1G_bEUljE0_EEESZ_S10_S11_S18_S1C_S1E_T6_T7_T9_mT8_S1G_bDpT10_ENKUlT_T0_E_clISt17integral_constantIbLb1EES1U_EEDaS1P_S1Q_EUlS1P_E_NS1_11comp_targetILNS1_3genE2ELNS1_11target_archE906ELNS1_3gpuE6ELNS1_3repE0EEENS1_30default_config_static_selectorELNS0_4arch9wavefront6targetE0EEEvS12_, .Lfunc_end1169-_ZN7rocprim17ROCPRIM_400000_NS6detail17trampoline_kernelINS0_13select_configILj256ELj13ELNS0_17block_load_methodE3ELS4_3ELS4_3ELNS0_20block_scan_algorithmE0ELj4294967295EEENS1_25partition_config_selectorILNS1_17partition_subalgoE4EjNS0_10empty_typeEbEEZZNS1_14partition_implILS8_4ELb0ES6_15HIP_vector_typeIjLj2EENS0_17counting_iteratorIjlEEPS9_SG_NS0_5tupleIJPjSI_NS0_16reverse_iteratorISI_EEEEENSH_IJSG_SG_SG_EEES9_SI_JZNS1_25segmented_radix_sort_implINS0_14default_configELb0EPKdPdPKlPlN2at6native12_GLOBAL__N_18offset_tEEE10hipError_tPvRmT1_PNSt15iterator_traitsIS12_E10value_typeET2_T3_PNS13_IS18_E10value_typeET4_jRbjT5_S1E_jjP12ihipStream_tbEUljE_ZNSN_ISO_Lb0ESQ_SR_ST_SU_SY_EESZ_S10_S11_S12_S16_S17_S18_S1B_S1C_jS1D_jS1E_S1E_jjS1G_bEUljE0_EEESZ_S10_S11_S18_S1C_S1E_T6_T7_T9_mT8_S1G_bDpT10_ENKUlT_T0_E_clISt17integral_constantIbLb1EES1U_EEDaS1P_S1Q_EUlS1P_E_NS1_11comp_targetILNS1_3genE2ELNS1_11target_archE906ELNS1_3gpuE6ELNS1_3repE0EEENS1_30default_config_static_selectorELNS0_4arch9wavefront6targetE0EEEvS12_
                                        ; -- End function
	.section	.AMDGPU.csdata,"",@progbits
; Kernel info:
; codeLenInByte = 0
; NumSgprs: 0
; NumVgprs: 0
; ScratchSize: 0
; MemoryBound: 0
; FloatMode: 240
; IeeeMode: 1
; LDSByteSize: 0 bytes/workgroup (compile time only)
; SGPRBlocks: 0
; VGPRBlocks: 0
; NumSGPRsForWavesPerEU: 1
; NumVGPRsForWavesPerEU: 1
; Occupancy: 16
; WaveLimiterHint : 0
; COMPUTE_PGM_RSRC2:SCRATCH_EN: 0
; COMPUTE_PGM_RSRC2:USER_SGPR: 15
; COMPUTE_PGM_RSRC2:TRAP_HANDLER: 0
; COMPUTE_PGM_RSRC2:TGID_X_EN: 1
; COMPUTE_PGM_RSRC2:TGID_Y_EN: 0
; COMPUTE_PGM_RSRC2:TGID_Z_EN: 0
; COMPUTE_PGM_RSRC2:TIDIG_COMP_CNT: 0
	.section	.text._ZN7rocprim17ROCPRIM_400000_NS6detail17trampoline_kernelINS0_13select_configILj256ELj13ELNS0_17block_load_methodE3ELS4_3ELS4_3ELNS0_20block_scan_algorithmE0ELj4294967295EEENS1_25partition_config_selectorILNS1_17partition_subalgoE4EjNS0_10empty_typeEbEEZZNS1_14partition_implILS8_4ELb0ES6_15HIP_vector_typeIjLj2EENS0_17counting_iteratorIjlEEPS9_SG_NS0_5tupleIJPjSI_NS0_16reverse_iteratorISI_EEEEENSH_IJSG_SG_SG_EEES9_SI_JZNS1_25segmented_radix_sort_implINS0_14default_configELb0EPKdPdPKlPlN2at6native12_GLOBAL__N_18offset_tEEE10hipError_tPvRmT1_PNSt15iterator_traitsIS12_E10value_typeET2_T3_PNS13_IS18_E10value_typeET4_jRbjT5_S1E_jjP12ihipStream_tbEUljE_ZNSN_ISO_Lb0ESQ_SR_ST_SU_SY_EESZ_S10_S11_S12_S16_S17_S18_S1B_S1C_jS1D_jS1E_S1E_jjS1G_bEUljE0_EEESZ_S10_S11_S18_S1C_S1E_T6_T7_T9_mT8_S1G_bDpT10_ENKUlT_T0_E_clISt17integral_constantIbLb1EES1U_EEDaS1P_S1Q_EUlS1P_E_NS1_11comp_targetILNS1_3genE10ELNS1_11target_archE1200ELNS1_3gpuE4ELNS1_3repE0EEENS1_30default_config_static_selectorELNS0_4arch9wavefront6targetE0EEEvS12_,"axG",@progbits,_ZN7rocprim17ROCPRIM_400000_NS6detail17trampoline_kernelINS0_13select_configILj256ELj13ELNS0_17block_load_methodE3ELS4_3ELS4_3ELNS0_20block_scan_algorithmE0ELj4294967295EEENS1_25partition_config_selectorILNS1_17partition_subalgoE4EjNS0_10empty_typeEbEEZZNS1_14partition_implILS8_4ELb0ES6_15HIP_vector_typeIjLj2EENS0_17counting_iteratorIjlEEPS9_SG_NS0_5tupleIJPjSI_NS0_16reverse_iteratorISI_EEEEENSH_IJSG_SG_SG_EEES9_SI_JZNS1_25segmented_radix_sort_implINS0_14default_configELb0EPKdPdPKlPlN2at6native12_GLOBAL__N_18offset_tEEE10hipError_tPvRmT1_PNSt15iterator_traitsIS12_E10value_typeET2_T3_PNS13_IS18_E10value_typeET4_jRbjT5_S1E_jjP12ihipStream_tbEUljE_ZNSN_ISO_Lb0ESQ_SR_ST_SU_SY_EESZ_S10_S11_S12_S16_S17_S18_S1B_S1C_jS1D_jS1E_S1E_jjS1G_bEUljE0_EEESZ_S10_S11_S18_S1C_S1E_T6_T7_T9_mT8_S1G_bDpT10_ENKUlT_T0_E_clISt17integral_constantIbLb1EES1U_EEDaS1P_S1Q_EUlS1P_E_NS1_11comp_targetILNS1_3genE10ELNS1_11target_archE1200ELNS1_3gpuE4ELNS1_3repE0EEENS1_30default_config_static_selectorELNS0_4arch9wavefront6targetE0EEEvS12_,comdat
	.globl	_ZN7rocprim17ROCPRIM_400000_NS6detail17trampoline_kernelINS0_13select_configILj256ELj13ELNS0_17block_load_methodE3ELS4_3ELS4_3ELNS0_20block_scan_algorithmE0ELj4294967295EEENS1_25partition_config_selectorILNS1_17partition_subalgoE4EjNS0_10empty_typeEbEEZZNS1_14partition_implILS8_4ELb0ES6_15HIP_vector_typeIjLj2EENS0_17counting_iteratorIjlEEPS9_SG_NS0_5tupleIJPjSI_NS0_16reverse_iteratorISI_EEEEENSH_IJSG_SG_SG_EEES9_SI_JZNS1_25segmented_radix_sort_implINS0_14default_configELb0EPKdPdPKlPlN2at6native12_GLOBAL__N_18offset_tEEE10hipError_tPvRmT1_PNSt15iterator_traitsIS12_E10value_typeET2_T3_PNS13_IS18_E10value_typeET4_jRbjT5_S1E_jjP12ihipStream_tbEUljE_ZNSN_ISO_Lb0ESQ_SR_ST_SU_SY_EESZ_S10_S11_S12_S16_S17_S18_S1B_S1C_jS1D_jS1E_S1E_jjS1G_bEUljE0_EEESZ_S10_S11_S18_S1C_S1E_T6_T7_T9_mT8_S1G_bDpT10_ENKUlT_T0_E_clISt17integral_constantIbLb1EES1U_EEDaS1P_S1Q_EUlS1P_E_NS1_11comp_targetILNS1_3genE10ELNS1_11target_archE1200ELNS1_3gpuE4ELNS1_3repE0EEENS1_30default_config_static_selectorELNS0_4arch9wavefront6targetE0EEEvS12_ ; -- Begin function _ZN7rocprim17ROCPRIM_400000_NS6detail17trampoline_kernelINS0_13select_configILj256ELj13ELNS0_17block_load_methodE3ELS4_3ELS4_3ELNS0_20block_scan_algorithmE0ELj4294967295EEENS1_25partition_config_selectorILNS1_17partition_subalgoE4EjNS0_10empty_typeEbEEZZNS1_14partition_implILS8_4ELb0ES6_15HIP_vector_typeIjLj2EENS0_17counting_iteratorIjlEEPS9_SG_NS0_5tupleIJPjSI_NS0_16reverse_iteratorISI_EEEEENSH_IJSG_SG_SG_EEES9_SI_JZNS1_25segmented_radix_sort_implINS0_14default_configELb0EPKdPdPKlPlN2at6native12_GLOBAL__N_18offset_tEEE10hipError_tPvRmT1_PNSt15iterator_traitsIS12_E10value_typeET2_T3_PNS13_IS18_E10value_typeET4_jRbjT5_S1E_jjP12ihipStream_tbEUljE_ZNSN_ISO_Lb0ESQ_SR_ST_SU_SY_EESZ_S10_S11_S12_S16_S17_S18_S1B_S1C_jS1D_jS1E_S1E_jjS1G_bEUljE0_EEESZ_S10_S11_S18_S1C_S1E_T6_T7_T9_mT8_S1G_bDpT10_ENKUlT_T0_E_clISt17integral_constantIbLb1EES1U_EEDaS1P_S1Q_EUlS1P_E_NS1_11comp_targetILNS1_3genE10ELNS1_11target_archE1200ELNS1_3gpuE4ELNS1_3repE0EEENS1_30default_config_static_selectorELNS0_4arch9wavefront6targetE0EEEvS12_
	.p2align	8
	.type	_ZN7rocprim17ROCPRIM_400000_NS6detail17trampoline_kernelINS0_13select_configILj256ELj13ELNS0_17block_load_methodE3ELS4_3ELS4_3ELNS0_20block_scan_algorithmE0ELj4294967295EEENS1_25partition_config_selectorILNS1_17partition_subalgoE4EjNS0_10empty_typeEbEEZZNS1_14partition_implILS8_4ELb0ES6_15HIP_vector_typeIjLj2EENS0_17counting_iteratorIjlEEPS9_SG_NS0_5tupleIJPjSI_NS0_16reverse_iteratorISI_EEEEENSH_IJSG_SG_SG_EEES9_SI_JZNS1_25segmented_radix_sort_implINS0_14default_configELb0EPKdPdPKlPlN2at6native12_GLOBAL__N_18offset_tEEE10hipError_tPvRmT1_PNSt15iterator_traitsIS12_E10value_typeET2_T3_PNS13_IS18_E10value_typeET4_jRbjT5_S1E_jjP12ihipStream_tbEUljE_ZNSN_ISO_Lb0ESQ_SR_ST_SU_SY_EESZ_S10_S11_S12_S16_S17_S18_S1B_S1C_jS1D_jS1E_S1E_jjS1G_bEUljE0_EEESZ_S10_S11_S18_S1C_S1E_T6_T7_T9_mT8_S1G_bDpT10_ENKUlT_T0_E_clISt17integral_constantIbLb1EES1U_EEDaS1P_S1Q_EUlS1P_E_NS1_11comp_targetILNS1_3genE10ELNS1_11target_archE1200ELNS1_3gpuE4ELNS1_3repE0EEENS1_30default_config_static_selectorELNS0_4arch9wavefront6targetE0EEEvS12_,@function
_ZN7rocprim17ROCPRIM_400000_NS6detail17trampoline_kernelINS0_13select_configILj256ELj13ELNS0_17block_load_methodE3ELS4_3ELS4_3ELNS0_20block_scan_algorithmE0ELj4294967295EEENS1_25partition_config_selectorILNS1_17partition_subalgoE4EjNS0_10empty_typeEbEEZZNS1_14partition_implILS8_4ELb0ES6_15HIP_vector_typeIjLj2EENS0_17counting_iteratorIjlEEPS9_SG_NS0_5tupleIJPjSI_NS0_16reverse_iteratorISI_EEEEENSH_IJSG_SG_SG_EEES9_SI_JZNS1_25segmented_radix_sort_implINS0_14default_configELb0EPKdPdPKlPlN2at6native12_GLOBAL__N_18offset_tEEE10hipError_tPvRmT1_PNSt15iterator_traitsIS12_E10value_typeET2_T3_PNS13_IS18_E10value_typeET4_jRbjT5_S1E_jjP12ihipStream_tbEUljE_ZNSN_ISO_Lb0ESQ_SR_ST_SU_SY_EESZ_S10_S11_S12_S16_S17_S18_S1B_S1C_jS1D_jS1E_S1E_jjS1G_bEUljE0_EEESZ_S10_S11_S18_S1C_S1E_T6_T7_T9_mT8_S1G_bDpT10_ENKUlT_T0_E_clISt17integral_constantIbLb1EES1U_EEDaS1P_S1Q_EUlS1P_E_NS1_11comp_targetILNS1_3genE10ELNS1_11target_archE1200ELNS1_3gpuE4ELNS1_3repE0EEENS1_30default_config_static_selectorELNS0_4arch9wavefront6targetE0EEEvS12_: ; @_ZN7rocprim17ROCPRIM_400000_NS6detail17trampoline_kernelINS0_13select_configILj256ELj13ELNS0_17block_load_methodE3ELS4_3ELS4_3ELNS0_20block_scan_algorithmE0ELj4294967295EEENS1_25partition_config_selectorILNS1_17partition_subalgoE4EjNS0_10empty_typeEbEEZZNS1_14partition_implILS8_4ELb0ES6_15HIP_vector_typeIjLj2EENS0_17counting_iteratorIjlEEPS9_SG_NS0_5tupleIJPjSI_NS0_16reverse_iteratorISI_EEEEENSH_IJSG_SG_SG_EEES9_SI_JZNS1_25segmented_radix_sort_implINS0_14default_configELb0EPKdPdPKlPlN2at6native12_GLOBAL__N_18offset_tEEE10hipError_tPvRmT1_PNSt15iterator_traitsIS12_E10value_typeET2_T3_PNS13_IS18_E10value_typeET4_jRbjT5_S1E_jjP12ihipStream_tbEUljE_ZNSN_ISO_Lb0ESQ_SR_ST_SU_SY_EESZ_S10_S11_S12_S16_S17_S18_S1B_S1C_jS1D_jS1E_S1E_jjS1G_bEUljE0_EEESZ_S10_S11_S18_S1C_S1E_T6_T7_T9_mT8_S1G_bDpT10_ENKUlT_T0_E_clISt17integral_constantIbLb1EES1U_EEDaS1P_S1Q_EUlS1P_E_NS1_11comp_targetILNS1_3genE10ELNS1_11target_archE1200ELNS1_3gpuE4ELNS1_3repE0EEENS1_30default_config_static_selectorELNS0_4arch9wavefront6targetE0EEEvS12_
; %bb.0:
	.section	.rodata,"a",@progbits
	.p2align	6, 0x0
	.amdhsa_kernel _ZN7rocprim17ROCPRIM_400000_NS6detail17trampoline_kernelINS0_13select_configILj256ELj13ELNS0_17block_load_methodE3ELS4_3ELS4_3ELNS0_20block_scan_algorithmE0ELj4294967295EEENS1_25partition_config_selectorILNS1_17partition_subalgoE4EjNS0_10empty_typeEbEEZZNS1_14partition_implILS8_4ELb0ES6_15HIP_vector_typeIjLj2EENS0_17counting_iteratorIjlEEPS9_SG_NS0_5tupleIJPjSI_NS0_16reverse_iteratorISI_EEEEENSH_IJSG_SG_SG_EEES9_SI_JZNS1_25segmented_radix_sort_implINS0_14default_configELb0EPKdPdPKlPlN2at6native12_GLOBAL__N_18offset_tEEE10hipError_tPvRmT1_PNSt15iterator_traitsIS12_E10value_typeET2_T3_PNS13_IS18_E10value_typeET4_jRbjT5_S1E_jjP12ihipStream_tbEUljE_ZNSN_ISO_Lb0ESQ_SR_ST_SU_SY_EESZ_S10_S11_S12_S16_S17_S18_S1B_S1C_jS1D_jS1E_S1E_jjS1G_bEUljE0_EEESZ_S10_S11_S18_S1C_S1E_T6_T7_T9_mT8_S1G_bDpT10_ENKUlT_T0_E_clISt17integral_constantIbLb1EES1U_EEDaS1P_S1Q_EUlS1P_E_NS1_11comp_targetILNS1_3genE10ELNS1_11target_archE1200ELNS1_3gpuE4ELNS1_3repE0EEENS1_30default_config_static_selectorELNS0_4arch9wavefront6targetE0EEEvS12_
		.amdhsa_group_segment_fixed_size 0
		.amdhsa_private_segment_fixed_size 0
		.amdhsa_kernarg_size 184
		.amdhsa_user_sgpr_count 15
		.amdhsa_user_sgpr_dispatch_ptr 0
		.amdhsa_user_sgpr_queue_ptr 0
		.amdhsa_user_sgpr_kernarg_segment_ptr 1
		.amdhsa_user_sgpr_dispatch_id 0
		.amdhsa_user_sgpr_private_segment_size 0
		.amdhsa_wavefront_size32 1
		.amdhsa_uses_dynamic_stack 0
		.amdhsa_enable_private_segment 0
		.amdhsa_system_sgpr_workgroup_id_x 1
		.amdhsa_system_sgpr_workgroup_id_y 0
		.amdhsa_system_sgpr_workgroup_id_z 0
		.amdhsa_system_sgpr_workgroup_info 0
		.amdhsa_system_vgpr_workitem_id 0
		.amdhsa_next_free_vgpr 1
		.amdhsa_next_free_sgpr 1
		.amdhsa_reserve_vcc 0
		.amdhsa_float_round_mode_32 0
		.amdhsa_float_round_mode_16_64 0
		.amdhsa_float_denorm_mode_32 3
		.amdhsa_float_denorm_mode_16_64 3
		.amdhsa_dx10_clamp 1
		.amdhsa_ieee_mode 1
		.amdhsa_fp16_overflow 0
		.amdhsa_workgroup_processor_mode 1
		.amdhsa_memory_ordered 1
		.amdhsa_forward_progress 0
		.amdhsa_shared_vgpr_count 0
		.amdhsa_exception_fp_ieee_invalid_op 0
		.amdhsa_exception_fp_denorm_src 0
		.amdhsa_exception_fp_ieee_div_zero 0
		.amdhsa_exception_fp_ieee_overflow 0
		.amdhsa_exception_fp_ieee_underflow 0
		.amdhsa_exception_fp_ieee_inexact 0
		.amdhsa_exception_int_div_zero 0
	.end_amdhsa_kernel
	.section	.text._ZN7rocprim17ROCPRIM_400000_NS6detail17trampoline_kernelINS0_13select_configILj256ELj13ELNS0_17block_load_methodE3ELS4_3ELS4_3ELNS0_20block_scan_algorithmE0ELj4294967295EEENS1_25partition_config_selectorILNS1_17partition_subalgoE4EjNS0_10empty_typeEbEEZZNS1_14partition_implILS8_4ELb0ES6_15HIP_vector_typeIjLj2EENS0_17counting_iteratorIjlEEPS9_SG_NS0_5tupleIJPjSI_NS0_16reverse_iteratorISI_EEEEENSH_IJSG_SG_SG_EEES9_SI_JZNS1_25segmented_radix_sort_implINS0_14default_configELb0EPKdPdPKlPlN2at6native12_GLOBAL__N_18offset_tEEE10hipError_tPvRmT1_PNSt15iterator_traitsIS12_E10value_typeET2_T3_PNS13_IS18_E10value_typeET4_jRbjT5_S1E_jjP12ihipStream_tbEUljE_ZNSN_ISO_Lb0ESQ_SR_ST_SU_SY_EESZ_S10_S11_S12_S16_S17_S18_S1B_S1C_jS1D_jS1E_S1E_jjS1G_bEUljE0_EEESZ_S10_S11_S18_S1C_S1E_T6_T7_T9_mT8_S1G_bDpT10_ENKUlT_T0_E_clISt17integral_constantIbLb1EES1U_EEDaS1P_S1Q_EUlS1P_E_NS1_11comp_targetILNS1_3genE10ELNS1_11target_archE1200ELNS1_3gpuE4ELNS1_3repE0EEENS1_30default_config_static_selectorELNS0_4arch9wavefront6targetE0EEEvS12_,"axG",@progbits,_ZN7rocprim17ROCPRIM_400000_NS6detail17trampoline_kernelINS0_13select_configILj256ELj13ELNS0_17block_load_methodE3ELS4_3ELS4_3ELNS0_20block_scan_algorithmE0ELj4294967295EEENS1_25partition_config_selectorILNS1_17partition_subalgoE4EjNS0_10empty_typeEbEEZZNS1_14partition_implILS8_4ELb0ES6_15HIP_vector_typeIjLj2EENS0_17counting_iteratorIjlEEPS9_SG_NS0_5tupleIJPjSI_NS0_16reverse_iteratorISI_EEEEENSH_IJSG_SG_SG_EEES9_SI_JZNS1_25segmented_radix_sort_implINS0_14default_configELb0EPKdPdPKlPlN2at6native12_GLOBAL__N_18offset_tEEE10hipError_tPvRmT1_PNSt15iterator_traitsIS12_E10value_typeET2_T3_PNS13_IS18_E10value_typeET4_jRbjT5_S1E_jjP12ihipStream_tbEUljE_ZNSN_ISO_Lb0ESQ_SR_ST_SU_SY_EESZ_S10_S11_S12_S16_S17_S18_S1B_S1C_jS1D_jS1E_S1E_jjS1G_bEUljE0_EEESZ_S10_S11_S18_S1C_S1E_T6_T7_T9_mT8_S1G_bDpT10_ENKUlT_T0_E_clISt17integral_constantIbLb1EES1U_EEDaS1P_S1Q_EUlS1P_E_NS1_11comp_targetILNS1_3genE10ELNS1_11target_archE1200ELNS1_3gpuE4ELNS1_3repE0EEENS1_30default_config_static_selectorELNS0_4arch9wavefront6targetE0EEEvS12_,comdat
.Lfunc_end1170:
	.size	_ZN7rocprim17ROCPRIM_400000_NS6detail17trampoline_kernelINS0_13select_configILj256ELj13ELNS0_17block_load_methodE3ELS4_3ELS4_3ELNS0_20block_scan_algorithmE0ELj4294967295EEENS1_25partition_config_selectorILNS1_17partition_subalgoE4EjNS0_10empty_typeEbEEZZNS1_14partition_implILS8_4ELb0ES6_15HIP_vector_typeIjLj2EENS0_17counting_iteratorIjlEEPS9_SG_NS0_5tupleIJPjSI_NS0_16reverse_iteratorISI_EEEEENSH_IJSG_SG_SG_EEES9_SI_JZNS1_25segmented_radix_sort_implINS0_14default_configELb0EPKdPdPKlPlN2at6native12_GLOBAL__N_18offset_tEEE10hipError_tPvRmT1_PNSt15iterator_traitsIS12_E10value_typeET2_T3_PNS13_IS18_E10value_typeET4_jRbjT5_S1E_jjP12ihipStream_tbEUljE_ZNSN_ISO_Lb0ESQ_SR_ST_SU_SY_EESZ_S10_S11_S12_S16_S17_S18_S1B_S1C_jS1D_jS1E_S1E_jjS1G_bEUljE0_EEESZ_S10_S11_S18_S1C_S1E_T6_T7_T9_mT8_S1G_bDpT10_ENKUlT_T0_E_clISt17integral_constantIbLb1EES1U_EEDaS1P_S1Q_EUlS1P_E_NS1_11comp_targetILNS1_3genE10ELNS1_11target_archE1200ELNS1_3gpuE4ELNS1_3repE0EEENS1_30default_config_static_selectorELNS0_4arch9wavefront6targetE0EEEvS12_, .Lfunc_end1170-_ZN7rocprim17ROCPRIM_400000_NS6detail17trampoline_kernelINS0_13select_configILj256ELj13ELNS0_17block_load_methodE3ELS4_3ELS4_3ELNS0_20block_scan_algorithmE0ELj4294967295EEENS1_25partition_config_selectorILNS1_17partition_subalgoE4EjNS0_10empty_typeEbEEZZNS1_14partition_implILS8_4ELb0ES6_15HIP_vector_typeIjLj2EENS0_17counting_iteratorIjlEEPS9_SG_NS0_5tupleIJPjSI_NS0_16reverse_iteratorISI_EEEEENSH_IJSG_SG_SG_EEES9_SI_JZNS1_25segmented_radix_sort_implINS0_14default_configELb0EPKdPdPKlPlN2at6native12_GLOBAL__N_18offset_tEEE10hipError_tPvRmT1_PNSt15iterator_traitsIS12_E10value_typeET2_T3_PNS13_IS18_E10value_typeET4_jRbjT5_S1E_jjP12ihipStream_tbEUljE_ZNSN_ISO_Lb0ESQ_SR_ST_SU_SY_EESZ_S10_S11_S12_S16_S17_S18_S1B_S1C_jS1D_jS1E_S1E_jjS1G_bEUljE0_EEESZ_S10_S11_S18_S1C_S1E_T6_T7_T9_mT8_S1G_bDpT10_ENKUlT_T0_E_clISt17integral_constantIbLb1EES1U_EEDaS1P_S1Q_EUlS1P_E_NS1_11comp_targetILNS1_3genE10ELNS1_11target_archE1200ELNS1_3gpuE4ELNS1_3repE0EEENS1_30default_config_static_selectorELNS0_4arch9wavefront6targetE0EEEvS12_
                                        ; -- End function
	.section	.AMDGPU.csdata,"",@progbits
; Kernel info:
; codeLenInByte = 0
; NumSgprs: 0
; NumVgprs: 0
; ScratchSize: 0
; MemoryBound: 0
; FloatMode: 240
; IeeeMode: 1
; LDSByteSize: 0 bytes/workgroup (compile time only)
; SGPRBlocks: 0
; VGPRBlocks: 0
; NumSGPRsForWavesPerEU: 1
; NumVGPRsForWavesPerEU: 1
; Occupancy: 16
; WaveLimiterHint : 0
; COMPUTE_PGM_RSRC2:SCRATCH_EN: 0
; COMPUTE_PGM_RSRC2:USER_SGPR: 15
; COMPUTE_PGM_RSRC2:TRAP_HANDLER: 0
; COMPUTE_PGM_RSRC2:TGID_X_EN: 1
; COMPUTE_PGM_RSRC2:TGID_Y_EN: 0
; COMPUTE_PGM_RSRC2:TGID_Z_EN: 0
; COMPUTE_PGM_RSRC2:TIDIG_COMP_CNT: 0
	.section	.text._ZN7rocprim17ROCPRIM_400000_NS6detail17trampoline_kernelINS0_13select_configILj256ELj13ELNS0_17block_load_methodE3ELS4_3ELS4_3ELNS0_20block_scan_algorithmE0ELj4294967295EEENS1_25partition_config_selectorILNS1_17partition_subalgoE4EjNS0_10empty_typeEbEEZZNS1_14partition_implILS8_4ELb0ES6_15HIP_vector_typeIjLj2EENS0_17counting_iteratorIjlEEPS9_SG_NS0_5tupleIJPjSI_NS0_16reverse_iteratorISI_EEEEENSH_IJSG_SG_SG_EEES9_SI_JZNS1_25segmented_radix_sort_implINS0_14default_configELb0EPKdPdPKlPlN2at6native12_GLOBAL__N_18offset_tEEE10hipError_tPvRmT1_PNSt15iterator_traitsIS12_E10value_typeET2_T3_PNS13_IS18_E10value_typeET4_jRbjT5_S1E_jjP12ihipStream_tbEUljE_ZNSN_ISO_Lb0ESQ_SR_ST_SU_SY_EESZ_S10_S11_S12_S16_S17_S18_S1B_S1C_jS1D_jS1E_S1E_jjS1G_bEUljE0_EEESZ_S10_S11_S18_S1C_S1E_T6_T7_T9_mT8_S1G_bDpT10_ENKUlT_T0_E_clISt17integral_constantIbLb1EES1U_EEDaS1P_S1Q_EUlS1P_E_NS1_11comp_targetILNS1_3genE9ELNS1_11target_archE1100ELNS1_3gpuE3ELNS1_3repE0EEENS1_30default_config_static_selectorELNS0_4arch9wavefront6targetE0EEEvS12_,"axG",@progbits,_ZN7rocprim17ROCPRIM_400000_NS6detail17trampoline_kernelINS0_13select_configILj256ELj13ELNS0_17block_load_methodE3ELS4_3ELS4_3ELNS0_20block_scan_algorithmE0ELj4294967295EEENS1_25partition_config_selectorILNS1_17partition_subalgoE4EjNS0_10empty_typeEbEEZZNS1_14partition_implILS8_4ELb0ES6_15HIP_vector_typeIjLj2EENS0_17counting_iteratorIjlEEPS9_SG_NS0_5tupleIJPjSI_NS0_16reverse_iteratorISI_EEEEENSH_IJSG_SG_SG_EEES9_SI_JZNS1_25segmented_radix_sort_implINS0_14default_configELb0EPKdPdPKlPlN2at6native12_GLOBAL__N_18offset_tEEE10hipError_tPvRmT1_PNSt15iterator_traitsIS12_E10value_typeET2_T3_PNS13_IS18_E10value_typeET4_jRbjT5_S1E_jjP12ihipStream_tbEUljE_ZNSN_ISO_Lb0ESQ_SR_ST_SU_SY_EESZ_S10_S11_S12_S16_S17_S18_S1B_S1C_jS1D_jS1E_S1E_jjS1G_bEUljE0_EEESZ_S10_S11_S18_S1C_S1E_T6_T7_T9_mT8_S1G_bDpT10_ENKUlT_T0_E_clISt17integral_constantIbLb1EES1U_EEDaS1P_S1Q_EUlS1P_E_NS1_11comp_targetILNS1_3genE9ELNS1_11target_archE1100ELNS1_3gpuE3ELNS1_3repE0EEENS1_30default_config_static_selectorELNS0_4arch9wavefront6targetE0EEEvS12_,comdat
	.globl	_ZN7rocprim17ROCPRIM_400000_NS6detail17trampoline_kernelINS0_13select_configILj256ELj13ELNS0_17block_load_methodE3ELS4_3ELS4_3ELNS0_20block_scan_algorithmE0ELj4294967295EEENS1_25partition_config_selectorILNS1_17partition_subalgoE4EjNS0_10empty_typeEbEEZZNS1_14partition_implILS8_4ELb0ES6_15HIP_vector_typeIjLj2EENS0_17counting_iteratorIjlEEPS9_SG_NS0_5tupleIJPjSI_NS0_16reverse_iteratorISI_EEEEENSH_IJSG_SG_SG_EEES9_SI_JZNS1_25segmented_radix_sort_implINS0_14default_configELb0EPKdPdPKlPlN2at6native12_GLOBAL__N_18offset_tEEE10hipError_tPvRmT1_PNSt15iterator_traitsIS12_E10value_typeET2_T3_PNS13_IS18_E10value_typeET4_jRbjT5_S1E_jjP12ihipStream_tbEUljE_ZNSN_ISO_Lb0ESQ_SR_ST_SU_SY_EESZ_S10_S11_S12_S16_S17_S18_S1B_S1C_jS1D_jS1E_S1E_jjS1G_bEUljE0_EEESZ_S10_S11_S18_S1C_S1E_T6_T7_T9_mT8_S1G_bDpT10_ENKUlT_T0_E_clISt17integral_constantIbLb1EES1U_EEDaS1P_S1Q_EUlS1P_E_NS1_11comp_targetILNS1_3genE9ELNS1_11target_archE1100ELNS1_3gpuE3ELNS1_3repE0EEENS1_30default_config_static_selectorELNS0_4arch9wavefront6targetE0EEEvS12_ ; -- Begin function _ZN7rocprim17ROCPRIM_400000_NS6detail17trampoline_kernelINS0_13select_configILj256ELj13ELNS0_17block_load_methodE3ELS4_3ELS4_3ELNS0_20block_scan_algorithmE0ELj4294967295EEENS1_25partition_config_selectorILNS1_17partition_subalgoE4EjNS0_10empty_typeEbEEZZNS1_14partition_implILS8_4ELb0ES6_15HIP_vector_typeIjLj2EENS0_17counting_iteratorIjlEEPS9_SG_NS0_5tupleIJPjSI_NS0_16reverse_iteratorISI_EEEEENSH_IJSG_SG_SG_EEES9_SI_JZNS1_25segmented_radix_sort_implINS0_14default_configELb0EPKdPdPKlPlN2at6native12_GLOBAL__N_18offset_tEEE10hipError_tPvRmT1_PNSt15iterator_traitsIS12_E10value_typeET2_T3_PNS13_IS18_E10value_typeET4_jRbjT5_S1E_jjP12ihipStream_tbEUljE_ZNSN_ISO_Lb0ESQ_SR_ST_SU_SY_EESZ_S10_S11_S12_S16_S17_S18_S1B_S1C_jS1D_jS1E_S1E_jjS1G_bEUljE0_EEESZ_S10_S11_S18_S1C_S1E_T6_T7_T9_mT8_S1G_bDpT10_ENKUlT_T0_E_clISt17integral_constantIbLb1EES1U_EEDaS1P_S1Q_EUlS1P_E_NS1_11comp_targetILNS1_3genE9ELNS1_11target_archE1100ELNS1_3gpuE3ELNS1_3repE0EEENS1_30default_config_static_selectorELNS0_4arch9wavefront6targetE0EEEvS12_
	.p2align	8
	.type	_ZN7rocprim17ROCPRIM_400000_NS6detail17trampoline_kernelINS0_13select_configILj256ELj13ELNS0_17block_load_methodE3ELS4_3ELS4_3ELNS0_20block_scan_algorithmE0ELj4294967295EEENS1_25partition_config_selectorILNS1_17partition_subalgoE4EjNS0_10empty_typeEbEEZZNS1_14partition_implILS8_4ELb0ES6_15HIP_vector_typeIjLj2EENS0_17counting_iteratorIjlEEPS9_SG_NS0_5tupleIJPjSI_NS0_16reverse_iteratorISI_EEEEENSH_IJSG_SG_SG_EEES9_SI_JZNS1_25segmented_radix_sort_implINS0_14default_configELb0EPKdPdPKlPlN2at6native12_GLOBAL__N_18offset_tEEE10hipError_tPvRmT1_PNSt15iterator_traitsIS12_E10value_typeET2_T3_PNS13_IS18_E10value_typeET4_jRbjT5_S1E_jjP12ihipStream_tbEUljE_ZNSN_ISO_Lb0ESQ_SR_ST_SU_SY_EESZ_S10_S11_S12_S16_S17_S18_S1B_S1C_jS1D_jS1E_S1E_jjS1G_bEUljE0_EEESZ_S10_S11_S18_S1C_S1E_T6_T7_T9_mT8_S1G_bDpT10_ENKUlT_T0_E_clISt17integral_constantIbLb1EES1U_EEDaS1P_S1Q_EUlS1P_E_NS1_11comp_targetILNS1_3genE9ELNS1_11target_archE1100ELNS1_3gpuE3ELNS1_3repE0EEENS1_30default_config_static_selectorELNS0_4arch9wavefront6targetE0EEEvS12_,@function
_ZN7rocprim17ROCPRIM_400000_NS6detail17trampoline_kernelINS0_13select_configILj256ELj13ELNS0_17block_load_methodE3ELS4_3ELS4_3ELNS0_20block_scan_algorithmE0ELj4294967295EEENS1_25partition_config_selectorILNS1_17partition_subalgoE4EjNS0_10empty_typeEbEEZZNS1_14partition_implILS8_4ELb0ES6_15HIP_vector_typeIjLj2EENS0_17counting_iteratorIjlEEPS9_SG_NS0_5tupleIJPjSI_NS0_16reverse_iteratorISI_EEEEENSH_IJSG_SG_SG_EEES9_SI_JZNS1_25segmented_radix_sort_implINS0_14default_configELb0EPKdPdPKlPlN2at6native12_GLOBAL__N_18offset_tEEE10hipError_tPvRmT1_PNSt15iterator_traitsIS12_E10value_typeET2_T3_PNS13_IS18_E10value_typeET4_jRbjT5_S1E_jjP12ihipStream_tbEUljE_ZNSN_ISO_Lb0ESQ_SR_ST_SU_SY_EESZ_S10_S11_S12_S16_S17_S18_S1B_S1C_jS1D_jS1E_S1E_jjS1G_bEUljE0_EEESZ_S10_S11_S18_S1C_S1E_T6_T7_T9_mT8_S1G_bDpT10_ENKUlT_T0_E_clISt17integral_constantIbLb1EES1U_EEDaS1P_S1Q_EUlS1P_E_NS1_11comp_targetILNS1_3genE9ELNS1_11target_archE1100ELNS1_3gpuE3ELNS1_3repE0EEENS1_30default_config_static_selectorELNS0_4arch9wavefront6targetE0EEEvS12_: ; @_ZN7rocprim17ROCPRIM_400000_NS6detail17trampoline_kernelINS0_13select_configILj256ELj13ELNS0_17block_load_methodE3ELS4_3ELS4_3ELNS0_20block_scan_algorithmE0ELj4294967295EEENS1_25partition_config_selectorILNS1_17partition_subalgoE4EjNS0_10empty_typeEbEEZZNS1_14partition_implILS8_4ELb0ES6_15HIP_vector_typeIjLj2EENS0_17counting_iteratorIjlEEPS9_SG_NS0_5tupleIJPjSI_NS0_16reverse_iteratorISI_EEEEENSH_IJSG_SG_SG_EEES9_SI_JZNS1_25segmented_radix_sort_implINS0_14default_configELb0EPKdPdPKlPlN2at6native12_GLOBAL__N_18offset_tEEE10hipError_tPvRmT1_PNSt15iterator_traitsIS12_E10value_typeET2_T3_PNS13_IS18_E10value_typeET4_jRbjT5_S1E_jjP12ihipStream_tbEUljE_ZNSN_ISO_Lb0ESQ_SR_ST_SU_SY_EESZ_S10_S11_S12_S16_S17_S18_S1B_S1C_jS1D_jS1E_S1E_jjS1G_bEUljE0_EEESZ_S10_S11_S18_S1C_S1E_T6_T7_T9_mT8_S1G_bDpT10_ENKUlT_T0_E_clISt17integral_constantIbLb1EES1U_EEDaS1P_S1Q_EUlS1P_E_NS1_11comp_targetILNS1_3genE9ELNS1_11target_archE1100ELNS1_3gpuE3ELNS1_3repE0EEENS1_30default_config_static_selectorELNS0_4arch9wavefront6targetE0EEEvS12_
; %bb.0:
	s_clause 0x7
	s_load_b64 s[34:35], s[0:1], 0x10
	s_load_b128 s[28:31], s[0:1], 0x28
	s_load_b64 s[14:15], s[0:1], 0x38
	s_load_b128 s[24:27], s[0:1], 0x58
	s_load_b64 s[4:5], s[0:1], 0x68
	s_load_b64 s[36:37], s[0:1], 0x78
	s_load_b64 s[38:39], s[0:1], 0xb0
	s_load_b256 s[16:23], s[0:1], 0x90
	v_cmp_eq_u32_e64 s2, 0, v0
	s_delay_alu instid0(VALU_DEP_1)
	s_and_saveexec_b32 s3, s2
	s_cbranch_execz .LBB1171_4
; %bb.1:
	s_mov_b32 s7, exec_lo
	s_mov_b32 s6, exec_lo
	v_mbcnt_lo_u32_b32 v1, s7, 0
                                        ; implicit-def: $vgpr2
	s_delay_alu instid0(VALU_DEP_1)
	v_cmpx_eq_u32_e32 0, v1
	s_cbranch_execz .LBB1171_3
; %bb.2:
	s_load_b64 s[8:9], s[0:1], 0x88
	s_bcnt1_i32_b32 s7, s7
	s_delay_alu instid0(SALU_CYCLE_1)
	v_dual_mov_b32 v2, 0 :: v_dual_mov_b32 v3, s7
	s_waitcnt lgkmcnt(0)
	global_atomic_add_u32 v2, v2, v3, s[8:9] glc
.LBB1171_3:
	s_or_b32 exec_lo, exec_lo, s6
	s_waitcnt vmcnt(0)
	v_readfirstlane_b32 s6, v2
	s_delay_alu instid0(VALU_DEP_1)
	v_dual_mov_b32 v2, 0 :: v_dual_add_nc_u32 v1, s6, v1
	ds_store_b32 v2, v1
.LBB1171_4:
	s_or_b32 exec_lo, exec_lo, s3
	v_mov_b32_e32 v1, 0
	s_clause 0x1
	s_load_b32 s3, s[0:1], 0x8
	s_load_b32 s0, s[0:1], 0x80
	s_waitcnt lgkmcnt(0)
	s_barrier
	buffer_gl0_inv
	ds_load_b32 v5, v1
	s_waitcnt lgkmcnt(0)
	s_barrier
	buffer_gl0_inv
	global_load_b128 v[1:4], v1, s[26:27]
	s_add_i32 s3, s3, s34
	s_mul_i32 s1, s0, 0xd00
	s_add_i32 s0, s0, -1
	s_add_u32 s6, s34, s1
	s_addc_u32 s7, s35, 0
	v_mul_lo_u32 v30, 0xd00, v5
	v_readfirstlane_b32 s26, v5
	v_cmp_lt_u64_e64 s5, s[6:7], s[4:5]
	v_cmp_ne_u32_e32 vcc_lo, s0, v5
	s_delay_alu instid0(VALU_DEP_3) | instskip(SKIP_1) | instid1(VALU_DEP_4)
	s_cmp_eq_u32 s26, s0
	s_cselect_b32 s13, -1, 0
	v_add3_u32 v5, v30, s3, v0
	s_delay_alu instid0(VALU_DEP_3) | instskip(SKIP_2) | instid1(VALU_DEP_1)
	s_or_b32 s0, s5, vcc_lo
	s_mov_b32 s3, -1
	s_and_b32 vcc_lo, exec_lo, s0
	v_add_nc_u32_e32 v6, 0x100, v5
	v_add_nc_u32_e32 v7, 0x200, v5
	;; [unrolled: 1-line block ×12, first 2 shown]
	s_cbranch_vccz .LBB1171_6
; %bb.5:
	v_lshlrev_b32_e32 v18, 2, v0
	s_mov_b32 s3, 0
	ds_store_2addr_stride64_b32 v18, v5, v6 offset1:4
	ds_store_2addr_stride64_b32 v18, v7, v8 offset0:8 offset1:12
	ds_store_2addr_stride64_b32 v18, v9, v10 offset0:16 offset1:20
	;; [unrolled: 1-line block ×5, first 2 shown]
	ds_store_b32 v18, v17 offset:12288
	s_waitcnt vmcnt(0) lgkmcnt(0)
	s_barrier
.LBB1171_6:
	s_and_not1_b32 vcc_lo, exec_lo, s3
	s_add_i32 s1, s1, s34
	s_cbranch_vccnz .LBB1171_8
; %bb.7:
	v_lshlrev_b32_e32 v18, 2, v0
	ds_store_2addr_stride64_b32 v18, v5, v6 offset1:4
	ds_store_2addr_stride64_b32 v18, v7, v8 offset0:8 offset1:12
	ds_store_2addr_stride64_b32 v18, v9, v10 offset0:16 offset1:20
	;; [unrolled: 1-line block ×5, first 2 shown]
	ds_store_b32 v18, v17 offset:12288
	s_waitcnt vmcnt(0) lgkmcnt(0)
	s_barrier
.LBB1171_8:
	v_mul_u32_u24_e32 v33, 13, v0
	s_waitcnt vmcnt(0)
	buffer_gl0_inv
	v_cndmask_b32_e64 v31, 0, 1, s0
	s_sub_i32 s40, s4, s1
	s_and_not1_b32 vcc_lo, exec_lo, s0
	v_lshlrev_b32_e32 v5, 2, v33
	ds_load_2addr_b32 v[20:21], v5 offset1:1
	ds_load_2addr_b32 v[18:19], v5 offset0:2 offset1:3
	ds_load_2addr_b32 v[16:17], v5 offset0:4 offset1:5
	;; [unrolled: 1-line block ×5, first 2 shown]
	ds_load_b32 v32, v5 offset:48
	s_waitcnt lgkmcnt(0)
	s_barrier
	buffer_gl0_inv
	s_cbranch_vccnz .LBB1171_36
; %bb.9:
	v_add_nc_u32_e32 v5, s17, v20
	v_add_nc_u32_e32 v6, s19, v20
	s_mov_b32 s42, 0
	s_mov_b32 s41, 0
	s_mov_b32 s1, exec_lo
	v_mul_lo_u32 v5, v5, s16
	v_mul_lo_u32 v6, v6, s18
	s_delay_alu instid0(VALU_DEP_1) | instskip(NEXT) | instid1(VALU_DEP_1)
	v_sub_nc_u32_e32 v5, v5, v6
	v_cmp_lt_u32_e32 vcc_lo, s20, v5
	v_cmpx_ge_u32_e64 s20, v5
; %bb.10:
	v_add_nc_u32_e32 v5, s22, v20
	v_add_nc_u32_e32 v6, s38, v20
	s_delay_alu instid0(VALU_DEP_2) | instskip(NEXT) | instid1(VALU_DEP_2)
	v_mul_lo_u32 v5, v5, s21
	v_mul_lo_u32 v6, v6, s23
	s_delay_alu instid0(VALU_DEP_1) | instskip(NEXT) | instid1(VALU_DEP_1)
	v_sub_nc_u32_e32 v5, v5, v6
	v_cmp_lt_u32_e64 s0, s39, v5
	s_delay_alu instid0(VALU_DEP_1)
	s_and_b32 s41, s0, exec_lo
; %bb.11:
	s_or_b32 exec_lo, exec_lo, s1
	v_add_nc_u32_e32 v5, s17, v21
	v_add_nc_u32_e32 v6, s19, v21
	s_mov_b32 s3, exec_lo
	s_delay_alu instid0(VALU_DEP_2) | instskip(NEXT) | instid1(VALU_DEP_2)
	v_mul_lo_u32 v5, v5, s16
	v_mul_lo_u32 v6, v6, s18
	s_delay_alu instid0(VALU_DEP_1) | instskip(NEXT) | instid1(VALU_DEP_1)
	v_sub_nc_u32_e32 v5, v5, v6
	v_cmp_lt_u32_e64 s0, s20, v5
	v_cmpx_ge_u32_e64 s20, v5
; %bb.12:
	v_add_nc_u32_e32 v5, s22, v21
	v_add_nc_u32_e32 v6, s38, v21
	s_delay_alu instid0(VALU_DEP_2) | instskip(NEXT) | instid1(VALU_DEP_2)
	v_mul_lo_u32 v5, v5, s21
	v_mul_lo_u32 v6, v6, s23
	s_delay_alu instid0(VALU_DEP_1) | instskip(NEXT) | instid1(VALU_DEP_1)
	v_sub_nc_u32_e32 v5, v5, v6
	v_cmp_lt_u32_e64 s1, s39, v5
	s_delay_alu instid0(VALU_DEP_1)
	s_and_b32 s42, s1, exec_lo
; %bb.13:
	s_or_b32 exec_lo, exec_lo, s3
	v_add_nc_u32_e32 v5, s17, v18
	v_add_nc_u32_e32 v6, s19, v18
	s_mov_b32 s44, 0
	s_mov_b32 s43, 0
	s_mov_b32 s4, exec_lo
	v_mul_lo_u32 v5, v5, s16
	v_mul_lo_u32 v6, v6, s18
	s_delay_alu instid0(VALU_DEP_1) | instskip(NEXT) | instid1(VALU_DEP_1)
	v_sub_nc_u32_e32 v5, v5, v6
	v_cmp_lt_u32_e64 s1, s20, v5
	v_cmpx_ge_u32_e64 s20, v5
; %bb.14:
	v_add_nc_u32_e32 v5, s22, v18
	v_add_nc_u32_e32 v6, s38, v18
	s_delay_alu instid0(VALU_DEP_2) | instskip(NEXT) | instid1(VALU_DEP_2)
	v_mul_lo_u32 v5, v5, s21
	v_mul_lo_u32 v6, v6, s23
	s_delay_alu instid0(VALU_DEP_1) | instskip(NEXT) | instid1(VALU_DEP_1)
	v_sub_nc_u32_e32 v5, v5, v6
	v_cmp_lt_u32_e64 s3, s39, v5
	s_delay_alu instid0(VALU_DEP_1)
	s_and_b32 s43, s3, exec_lo
; %bb.15:
	s_or_b32 exec_lo, exec_lo, s4
	v_add_nc_u32_e32 v5, s17, v19
	v_add_nc_u32_e32 v6, s19, v19
	s_mov_b32 s5, exec_lo
	s_delay_alu instid0(VALU_DEP_2) | instskip(NEXT) | instid1(VALU_DEP_2)
	v_mul_lo_u32 v5, v5, s16
	v_mul_lo_u32 v6, v6, s18
	s_delay_alu instid0(VALU_DEP_1) | instskip(NEXT) | instid1(VALU_DEP_1)
	v_sub_nc_u32_e32 v5, v5, v6
	v_cmp_lt_u32_e64 s3, s20, v5
	v_cmpx_ge_u32_e64 s20, v5
; %bb.16:
	v_add_nc_u32_e32 v5, s22, v19
	v_add_nc_u32_e32 v6, s38, v19
	s_delay_alu instid0(VALU_DEP_2) | instskip(NEXT) | instid1(VALU_DEP_2)
	v_mul_lo_u32 v5, v5, s21
	v_mul_lo_u32 v6, v6, s23
	s_delay_alu instid0(VALU_DEP_1) | instskip(NEXT) | instid1(VALU_DEP_1)
	v_sub_nc_u32_e32 v5, v5, v6
	v_cmp_lt_u32_e64 s4, s39, v5
	s_delay_alu instid0(VALU_DEP_1)
	s_and_b32 s44, s4, exec_lo
; %bb.17:
	s_or_b32 exec_lo, exec_lo, s5
	v_add_nc_u32_e32 v5, s17, v16
	v_add_nc_u32_e32 v6, s19, v16
	s_mov_b32 s46, 0
	s_mov_b32 s45, 0
	s_mov_b32 s6, exec_lo
	v_mul_lo_u32 v5, v5, s16
	v_mul_lo_u32 v6, v6, s18
	s_delay_alu instid0(VALU_DEP_1) | instskip(NEXT) | instid1(VALU_DEP_1)
	v_sub_nc_u32_e32 v5, v5, v6
	v_cmp_lt_u32_e64 s4, s20, v5
	;; [unrolled: 47-line block ×5, first 2 shown]
	v_cmpx_ge_u32_e64 s20, v5
; %bb.30:
	v_add_nc_u32_e32 v5, s22, v10
	v_add_nc_u32_e32 v6, s38, v10
	s_delay_alu instid0(VALU_DEP_2) | instskip(NEXT) | instid1(VALU_DEP_2)
	v_mul_lo_u32 v5, v5, s21
	v_mul_lo_u32 v6, v6, s23
	s_delay_alu instid0(VALU_DEP_1) | instskip(NEXT) | instid1(VALU_DEP_1)
	v_sub_nc_u32_e32 v5, v5, v6
	v_cmp_lt_u32_e64 s11, s39, v5
	s_delay_alu instid0(VALU_DEP_1)
	s_and_b32 s53, s11, exec_lo
; %bb.31:
	s_or_b32 exec_lo, exec_lo, s12
	v_add_nc_u32_e32 v5, s17, v11
	v_add_nc_u32_e32 v6, s19, v11
	s_mov_b32 s27, exec_lo
	s_delay_alu instid0(VALU_DEP_2) | instskip(NEXT) | instid1(VALU_DEP_2)
	v_mul_lo_u32 v5, v5, s16
	v_mul_lo_u32 v6, v6, s18
	s_delay_alu instid0(VALU_DEP_1) | instskip(NEXT) | instid1(VALU_DEP_1)
	v_sub_nc_u32_e32 v5, v5, v6
	v_cmp_lt_u32_e64 s11, s20, v5
	v_cmpx_ge_u32_e64 s20, v5
; %bb.32:
	v_add_nc_u32_e32 v5, s22, v11
	v_add_nc_u32_e32 v6, s38, v11
	s_delay_alu instid0(VALU_DEP_2) | instskip(NEXT) | instid1(VALU_DEP_2)
	v_mul_lo_u32 v5, v5, s21
	v_mul_lo_u32 v6, v6, s23
	s_delay_alu instid0(VALU_DEP_1) | instskip(NEXT) | instid1(VALU_DEP_1)
	v_sub_nc_u32_e32 v5, v5, v6
	v_cmp_lt_u32_e64 s12, s39, v5
	s_delay_alu instid0(VALU_DEP_1)
	s_and_b32 s52, s12, exec_lo
; %bb.33:
	s_or_b32 exec_lo, exec_lo, s27
	v_add_nc_u32_e32 v5, s17, v32
	v_add_nc_u32_e32 v6, s19, v32
	s_mov_b32 s27, -1
	s_mov_b32 s49, 0
	s_mov_b32 s33, 0
	v_mul_lo_u32 v5, v5, s16
	v_mul_lo_u32 v6, v6, s18
	s_mov_b32 s54, exec_lo
	s_delay_alu instid0(VALU_DEP_1) | instskip(NEXT) | instid1(VALU_DEP_1)
	v_sub_nc_u32_e32 v5, v5, v6
	v_cmpx_ge_u32_e64 s20, v5
; %bb.34:
	v_add_nc_u32_e32 v5, s22, v32
	v_add_nc_u32_e32 v6, s38, v32
	s_xor_b32 s27, exec_lo, -1
	s_delay_alu instid0(VALU_DEP_2) | instskip(NEXT) | instid1(VALU_DEP_2)
	v_mul_lo_u32 v5, v5, s21
	v_mul_lo_u32 v6, v6, s23
	s_delay_alu instid0(VALU_DEP_1) | instskip(NEXT) | instid1(VALU_DEP_1)
	v_sub_nc_u32_e32 v5, v5, v6
	v_cmp_lt_u32_e64 s12, s39, v5
	s_delay_alu instid0(VALU_DEP_1)
	s_and_b32 s33, s12, exec_lo
; %bb.35:
	s_or_b32 exec_lo, exec_lo, s54
	v_cndmask_b32_e64 v53, 0, 1, s53
	v_cndmask_b32_e64 v56, 0, 1, s11
	;; [unrolled: 1-line block ×22, first 2 shown]
	v_cndmask_b32_e64 v34, 0, 1, vcc_lo
	v_cndmask_b32_e64 v57, 0, 1, s52
	s_and_b32 vcc_lo, exec_lo, s49
	s_add_i32 s4, s40, 0xd00
	s_cbranch_vccnz .LBB1171_37
	s_branch .LBB1171_90
.LBB1171_36:
                                        ; implicit-def: $sgpr27
                                        ; implicit-def: $sgpr33
                                        ; implicit-def: $vgpr57
                                        ; implicit-def: $vgpr53
                                        ; implicit-def: $vgpr52
                                        ; implicit-def: $vgpr50
                                        ; implicit-def: $vgpr48
                                        ; implicit-def: $vgpr46
                                        ; implicit-def: $vgpr44
                                        ; implicit-def: $vgpr42
                                        ; implicit-def: $vgpr39
                                        ; implicit-def: $vgpr34
                                        ; implicit-def: $vgpr37
                                        ; implicit-def: $vgpr36
                                        ; implicit-def: $vgpr41
                                        ; implicit-def: $vgpr43
                                        ; implicit-def: $vgpr45
                                        ; implicit-def: $vgpr47
                                        ; implicit-def: $vgpr49
                                        ; implicit-def: $vgpr51
                                        ; implicit-def: $vgpr54
                                        ; implicit-def: $vgpr55
                                        ; implicit-def: $vgpr56
                                        ; implicit-def: $vgpr35
                                        ; implicit-def: $vgpr40
                                        ; implicit-def: $vgpr38
	s_add_i32 s4, s40, 0xd00
	s_cbranch_execz .LBB1171_90
.LBB1171_37:
	v_dual_mov_b32 v35, 0 :: v_dual_mov_b32 v34, 0
	s_mov_b32 s3, 0
	s_mov_b32 s1, exec_lo
	v_cmpx_gt_u32_e64 s4, v33
	s_cbranch_execz .LBB1171_41
; %bb.38:
	v_add_nc_u32_e32 v5, s17, v20
	v_add_nc_u32_e32 v6, s19, v20
	s_mov_b32 s5, exec_lo
	s_delay_alu instid0(VALU_DEP_2) | instskip(NEXT) | instid1(VALU_DEP_2)
	v_mul_lo_u32 v5, v5, s16
	v_mul_lo_u32 v6, v6, s18
	s_delay_alu instid0(VALU_DEP_1) | instskip(NEXT) | instid1(VALU_DEP_1)
	v_sub_nc_u32_e32 v5, v5, v6
	v_cmp_lt_u32_e32 vcc_lo, s20, v5
	v_cmpx_ge_u32_e64 s20, v5
; %bb.39:
	v_add_nc_u32_e32 v5, s22, v20
	v_add_nc_u32_e32 v6, s38, v20
	s_delay_alu instid0(VALU_DEP_2) | instskip(NEXT) | instid1(VALU_DEP_2)
	v_mul_lo_u32 v5, v5, s21
	v_mul_lo_u32 v6, v6, s23
	s_delay_alu instid0(VALU_DEP_1) | instskip(NEXT) | instid1(VALU_DEP_1)
	v_sub_nc_u32_e32 v5, v5, v6
	v_cmp_lt_u32_e64 s0, s39, v5
	s_delay_alu instid0(VALU_DEP_1)
	s_and_b32 s3, s0, exec_lo
; %bb.40:
	s_or_b32 exec_lo, exec_lo, s5
	v_cndmask_b32_e64 v34, 0, 1, vcc_lo
	v_cndmask_b32_e64 v35, 0, 1, s3
.LBB1171_41:
	s_or_b32 exec_lo, exec_lo, s1
	v_dual_mov_b32 v40, 0 :: v_dual_add_nc_u32 v5, 1, v33
	v_mov_b32_e32 v37, 0
	s_mov_b32 s3, 0
	s_mov_b32 s1, exec_lo
	s_delay_alu instid0(VALU_DEP_2)
	v_cmpx_gt_u32_e64 s4, v5
	s_cbranch_execz .LBB1171_45
; %bb.42:
	v_add_nc_u32_e32 v5, s17, v21
	v_add_nc_u32_e32 v6, s19, v21
	s_mov_b32 s5, exec_lo
	s_delay_alu instid0(VALU_DEP_2) | instskip(NEXT) | instid1(VALU_DEP_2)
	v_mul_lo_u32 v5, v5, s16
	v_mul_lo_u32 v6, v6, s18
	s_delay_alu instid0(VALU_DEP_1) | instskip(NEXT) | instid1(VALU_DEP_1)
	v_sub_nc_u32_e32 v5, v5, v6
	v_cmp_lt_u32_e32 vcc_lo, s20, v5
	v_cmpx_ge_u32_e64 s20, v5
; %bb.43:
	v_add_nc_u32_e32 v5, s22, v21
	v_add_nc_u32_e32 v6, s38, v21
	s_delay_alu instid0(VALU_DEP_2) | instskip(NEXT) | instid1(VALU_DEP_2)
	v_mul_lo_u32 v5, v5, s21
	v_mul_lo_u32 v6, v6, s23
	s_delay_alu instid0(VALU_DEP_1) | instskip(NEXT) | instid1(VALU_DEP_1)
	v_sub_nc_u32_e32 v5, v5, v6
	v_cmp_lt_u32_e64 s0, s39, v5
	s_delay_alu instid0(VALU_DEP_1)
	s_and_b32 s3, s0, exec_lo
; %bb.44:
	s_or_b32 exec_lo, exec_lo, s5
	v_cndmask_b32_e64 v37, 0, 1, vcc_lo
	v_cndmask_b32_e64 v40, 0, 1, s3
.LBB1171_45:
	s_or_b32 exec_lo, exec_lo, s1
	v_dual_mov_b32 v36, 0 :: v_dual_add_nc_u32 v5, 2, v33
	v_mov_b32_e32 v38, 0
	s_mov_b32 s3, 0
	s_mov_b32 s1, exec_lo
	s_delay_alu instid0(VALU_DEP_2)
	v_cmpx_gt_u32_e64 s4, v5
	s_cbranch_execz .LBB1171_49
; %bb.46:
	v_add_nc_u32_e32 v5, s17, v18
	v_add_nc_u32_e32 v6, s19, v18
	s_mov_b32 s5, exec_lo
	s_delay_alu instid0(VALU_DEP_2) | instskip(NEXT) | instid1(VALU_DEP_2)
	v_mul_lo_u32 v5, v5, s16
	v_mul_lo_u32 v6, v6, s18
	s_delay_alu instid0(VALU_DEP_1) | instskip(NEXT) | instid1(VALU_DEP_1)
	v_sub_nc_u32_e32 v5, v5, v6
	v_cmp_lt_u32_e32 vcc_lo, s20, v5
	v_cmpx_ge_u32_e64 s20, v5
; %bb.47:
	v_add_nc_u32_e32 v5, s22, v18
	v_add_nc_u32_e32 v6, s38, v18
	s_delay_alu instid0(VALU_DEP_2) | instskip(NEXT) | instid1(VALU_DEP_2)
	v_mul_lo_u32 v5, v5, s21
	v_mul_lo_u32 v6, v6, s23
	s_delay_alu instid0(VALU_DEP_1) | instskip(NEXT) | instid1(VALU_DEP_1)
	v_sub_nc_u32_e32 v5, v5, v6
	v_cmp_lt_u32_e64 s0, s39, v5
	s_delay_alu instid0(VALU_DEP_1)
	s_and_b32 s3, s0, exec_lo
; %bb.48:
	s_or_b32 exec_lo, exec_lo, s5
	v_cndmask_b32_e64 v36, 0, 1, vcc_lo
	v_cndmask_b32_e64 v38, 0, 1, s3
.LBB1171_49:
	s_or_b32 exec_lo, exec_lo, s1
	v_add_nc_u32_e32 v5, 3, v33
	v_mov_b32_e32 v39, 0
	v_mov_b32_e32 v41, 0
	s_mov_b32 s3, 0
	s_mov_b32 s1, exec_lo
	v_cmpx_gt_u32_e64 s4, v5
	s_cbranch_execz .LBB1171_53
; %bb.50:
	v_add_nc_u32_e32 v5, s17, v19
	v_add_nc_u32_e32 v6, s19, v19
	s_mov_b32 s5, exec_lo
	s_delay_alu instid0(VALU_DEP_2) | instskip(NEXT) | instid1(VALU_DEP_2)
	v_mul_lo_u32 v5, v5, s16
	v_mul_lo_u32 v6, v6, s18
	s_delay_alu instid0(VALU_DEP_1) | instskip(NEXT) | instid1(VALU_DEP_1)
	v_sub_nc_u32_e32 v5, v5, v6
	v_cmp_lt_u32_e32 vcc_lo, s20, v5
	v_cmpx_ge_u32_e64 s20, v5
; %bb.51:
	v_add_nc_u32_e32 v5, s22, v19
	v_add_nc_u32_e32 v6, s38, v19
	s_delay_alu instid0(VALU_DEP_2) | instskip(NEXT) | instid1(VALU_DEP_2)
	v_mul_lo_u32 v5, v5, s21
	v_mul_lo_u32 v6, v6, s23
	s_delay_alu instid0(VALU_DEP_1) | instskip(NEXT) | instid1(VALU_DEP_1)
	v_sub_nc_u32_e32 v5, v5, v6
	v_cmp_lt_u32_e64 s0, s39, v5
	s_delay_alu instid0(VALU_DEP_1)
	s_and_b32 s3, s0, exec_lo
; %bb.52:
	s_or_b32 exec_lo, exec_lo, s5
	v_cndmask_b32_e64 v41, 0, 1, vcc_lo
	v_cndmask_b32_e64 v39, 0, 1, s3
.LBB1171_53:
	s_or_b32 exec_lo, exec_lo, s1
	v_dual_mov_b32 v42, 0 :: v_dual_add_nc_u32 v5, 4, v33
	v_mov_b32_e32 v43, 0
	s_mov_b32 s3, 0
	s_mov_b32 s1, exec_lo
	s_delay_alu instid0(VALU_DEP_2)
	v_cmpx_gt_u32_e64 s4, v5
	s_cbranch_execz .LBB1171_57
; %bb.54:
	v_add_nc_u32_e32 v5, s17, v16
	v_add_nc_u32_e32 v6, s19, v16
	s_mov_b32 s5, exec_lo
	s_delay_alu instid0(VALU_DEP_2) | instskip(NEXT) | instid1(VALU_DEP_2)
	v_mul_lo_u32 v5, v5, s16
	v_mul_lo_u32 v6, v6, s18
	s_delay_alu instid0(VALU_DEP_1) | instskip(NEXT) | instid1(VALU_DEP_1)
	v_sub_nc_u32_e32 v5, v5, v6
	v_cmp_lt_u32_e32 vcc_lo, s20, v5
	v_cmpx_ge_u32_e64 s20, v5
; %bb.55:
	v_add_nc_u32_e32 v5, s22, v16
	v_add_nc_u32_e32 v6, s38, v16
	s_delay_alu instid0(VALU_DEP_2) | instskip(NEXT) | instid1(VALU_DEP_2)
	v_mul_lo_u32 v5, v5, s21
	v_mul_lo_u32 v6, v6, s23
	s_delay_alu instid0(VALU_DEP_1) | instskip(NEXT) | instid1(VALU_DEP_1)
	v_sub_nc_u32_e32 v5, v5, v6
	v_cmp_lt_u32_e64 s0, s39, v5
	s_delay_alu instid0(VALU_DEP_1)
	s_and_b32 s3, s0, exec_lo
; %bb.56:
	s_or_b32 exec_lo, exec_lo, s5
	v_cndmask_b32_e64 v43, 0, 1, vcc_lo
	v_cndmask_b32_e64 v42, 0, 1, s3
.LBB1171_57:
	s_or_b32 exec_lo, exec_lo, s1
	v_dual_mov_b32 v44, 0 :: v_dual_add_nc_u32 v5, 5, v33
	v_mov_b32_e32 v45, 0
	s_mov_b32 s3, 0
	s_mov_b32 s1, exec_lo
	s_delay_alu instid0(VALU_DEP_2)
	;; [unrolled: 35-line block ×6, first 2 shown]
	v_cmpx_gt_u32_e64 s4, v5
	s_cbranch_execz .LBB1171_77
; %bb.74:
	v_add_nc_u32_e32 v5, s17, v13
	v_add_nc_u32_e32 v6, s19, v13
	s_mov_b32 s5, exec_lo
	s_delay_alu instid0(VALU_DEP_2) | instskip(NEXT) | instid1(VALU_DEP_2)
	v_mul_lo_u32 v5, v5, s16
	v_mul_lo_u32 v6, v6, s18
	s_delay_alu instid0(VALU_DEP_1) | instskip(NEXT) | instid1(VALU_DEP_1)
	v_sub_nc_u32_e32 v5, v5, v6
	v_cmp_lt_u32_e32 vcc_lo, s20, v5
	v_cmpx_ge_u32_e64 s20, v5
; %bb.75:
	v_add_nc_u32_e32 v5, s22, v13
	v_add_nc_u32_e32 v6, s38, v13
	s_delay_alu instid0(VALU_DEP_2) | instskip(NEXT) | instid1(VALU_DEP_2)
	v_mul_lo_u32 v5, v5, s21
	v_mul_lo_u32 v6, v6, s23
	s_delay_alu instid0(VALU_DEP_1) | instskip(NEXT) | instid1(VALU_DEP_1)
	v_sub_nc_u32_e32 v5, v5, v6
	v_cmp_lt_u32_e64 s0, s39, v5
	s_delay_alu instid0(VALU_DEP_1)
	s_and_b32 s3, s0, exec_lo
; %bb.76:
	s_or_b32 exec_lo, exec_lo, s5
	v_cndmask_b32_e64 v54, 0, 1, vcc_lo
	v_cndmask_b32_e64 v52, 0, 1, s3
.LBB1171_77:
	s_or_b32 exec_lo, exec_lo, s1
	v_add_nc_u32_e32 v5, 10, v33
	v_mov_b32_e32 v53, 0
	v_mov_b32_e32 v55, 0
	s_mov_b32 s3, 0
	s_mov_b32 s1, exec_lo
	v_cmpx_gt_u32_e64 s4, v5
	s_cbranch_execz .LBB1171_81
; %bb.78:
	v_add_nc_u32_e32 v5, s17, v10
	v_add_nc_u32_e32 v6, s19, v10
	s_mov_b32 s5, exec_lo
	s_delay_alu instid0(VALU_DEP_2) | instskip(NEXT) | instid1(VALU_DEP_2)
	v_mul_lo_u32 v5, v5, s16
	v_mul_lo_u32 v6, v6, s18
	s_delay_alu instid0(VALU_DEP_1) | instskip(NEXT) | instid1(VALU_DEP_1)
	v_sub_nc_u32_e32 v5, v5, v6
	v_cmp_lt_u32_e32 vcc_lo, s20, v5
	v_cmpx_ge_u32_e64 s20, v5
; %bb.79:
	v_add_nc_u32_e32 v5, s22, v10
	v_add_nc_u32_e32 v6, s38, v10
	s_delay_alu instid0(VALU_DEP_2) | instskip(NEXT) | instid1(VALU_DEP_2)
	v_mul_lo_u32 v5, v5, s21
	v_mul_lo_u32 v6, v6, s23
	s_delay_alu instid0(VALU_DEP_1) | instskip(NEXT) | instid1(VALU_DEP_1)
	v_sub_nc_u32_e32 v5, v5, v6
	v_cmp_lt_u32_e64 s0, s39, v5
	s_delay_alu instid0(VALU_DEP_1)
	s_and_b32 s3, s0, exec_lo
; %bb.80:
	s_or_b32 exec_lo, exec_lo, s5
	v_cndmask_b32_e64 v55, 0, 1, vcc_lo
	v_cndmask_b32_e64 v53, 0, 1, s3
.LBB1171_81:
	s_or_b32 exec_lo, exec_lo, s1
	v_dual_mov_b32 v56, 0 :: v_dual_add_nc_u32 v5, 11, v33
	v_mov_b32_e32 v57, 0
	s_mov_b32 s3, 0
	s_mov_b32 s1, exec_lo
	s_delay_alu instid0(VALU_DEP_2)
	v_cmpx_gt_u32_e64 s4, v5
	s_cbranch_execz .LBB1171_85
; %bb.82:
	v_add_nc_u32_e32 v5, s17, v11
	v_add_nc_u32_e32 v6, s19, v11
	s_mov_b32 s5, exec_lo
	s_delay_alu instid0(VALU_DEP_2) | instskip(NEXT) | instid1(VALU_DEP_2)
	v_mul_lo_u32 v5, v5, s16
	v_mul_lo_u32 v6, v6, s18
	s_delay_alu instid0(VALU_DEP_1) | instskip(NEXT) | instid1(VALU_DEP_1)
	v_sub_nc_u32_e32 v5, v5, v6
	v_cmp_lt_u32_e32 vcc_lo, s20, v5
	v_cmpx_ge_u32_e64 s20, v5
; %bb.83:
	v_add_nc_u32_e32 v5, s22, v11
	v_add_nc_u32_e32 v6, s38, v11
	s_delay_alu instid0(VALU_DEP_2) | instskip(NEXT) | instid1(VALU_DEP_2)
	v_mul_lo_u32 v5, v5, s21
	v_mul_lo_u32 v6, v6, s23
	s_delay_alu instid0(VALU_DEP_1) | instskip(NEXT) | instid1(VALU_DEP_1)
	v_sub_nc_u32_e32 v5, v5, v6
	v_cmp_lt_u32_e64 s0, s39, v5
	s_delay_alu instid0(VALU_DEP_1)
	s_and_b32 s3, s0, exec_lo
; %bb.84:
	s_or_b32 exec_lo, exec_lo, s5
	v_cndmask_b32_e64 v56, 0, 1, vcc_lo
	v_cndmask_b32_e64 v57, 0, 1, s3
.LBB1171_85:
	s_or_b32 exec_lo, exec_lo, s1
	v_add_nc_u32_e32 v5, 12, v33
	s_mov_b32 s27, 0
	s_mov_b32 s33, 0
	s_mov_b32 s0, exec_lo
	s_delay_alu instid0(VALU_DEP_1)
	v_cmpx_gt_u32_e64 s4, v5
	s_cbranch_execz .LBB1171_89
; %bb.86:
	v_add_nc_u32_e32 v5, s17, v32
	v_add_nc_u32_e32 v6, s19, v32
	s_mov_b32 s3, -1
	s_mov_b32 s5, 0
	s_mov_b32 s1, exec_lo
	v_mul_lo_u32 v5, v5, s16
	v_mul_lo_u32 v6, v6, s18
	s_delay_alu instid0(VALU_DEP_1) | instskip(NEXT) | instid1(VALU_DEP_1)
	v_sub_nc_u32_e32 v5, v5, v6
	v_cmpx_ge_u32_e64 s20, v5
; %bb.87:
	v_add_nc_u32_e32 v5, s22, v32
	v_add_nc_u32_e32 v6, s38, v32
	s_xor_b32 s3, exec_lo, -1
	s_delay_alu instid0(VALU_DEP_2) | instskip(NEXT) | instid1(VALU_DEP_2)
	v_mul_lo_u32 v5, v5, s21
	v_mul_lo_u32 v6, v6, s23
	s_delay_alu instid0(VALU_DEP_1) | instskip(NEXT) | instid1(VALU_DEP_1)
	v_sub_nc_u32_e32 v5, v5, v6
	v_cmp_lt_u32_e32 vcc_lo, s39, v5
	s_and_b32 s5, vcc_lo, exec_lo
; %bb.88:
	s_or_b32 exec_lo, exec_lo, s1
	s_delay_alu instid0(SALU_CYCLE_1)
	s_and_b32 s33, s5, exec_lo
	s_and_b32 s27, s3, exec_lo
.LBB1171_89:
	s_or_b32 exec_lo, exec_lo, s0
.LBB1171_90:
	v_and_b32_e32 v80, 0xff, v34
	v_and_b32_e32 v81, 0xff, v35
	;; [unrolled: 1-line block ×10, first 2 shown]
	v_add3_u32 v5, v76, v78, v80
	v_add3_u32 v6, v77, v79, v81
	v_and_b32_e32 v70, 0xff, v45
	v_and_b32_e32 v71, 0xff, v44
	v_and_b32_e32 v64, 0xff, v47
	v_and_b32_e32 v65, 0xff, v46
	v_add3_u32 v5, v5, v74, v72
	v_add3_u32 v6, v6, v75, v73
	v_and_b32_e32 v68, 0xff, v49
	v_and_b32_e32 v69, 0xff, v48
	v_and_b32_e32 v66, 0xff, v51
	v_and_b32_e32 v67, 0xff, v50
	;; [unrolled: 6-line block ×3, first 2 shown]
	v_add3_u32 v5, v5, v68, v66
	v_add3_u32 v6, v6, v69, v67
	v_mbcnt_lo_u32_b32 v82, -1, 0
	v_and_b32_e32 v58, 0xff, v56
	v_and_b32_e32 v59, 0xff, v57
	v_cndmask_b32_e64 v7, 0, 1, s33
	v_add3_u32 v5, v5, v61, v60
	v_cndmask_b32_e64 v8, 0, 1, s27
	v_add3_u32 v6, v6, v62, v63
	v_and_b32_e32 v86, 15, v82
	v_and_b32_e32 v85, 16, v82
	v_lshrrev_b32_e32 v83, 5, v0
	v_add3_u32 v87, v5, v58, v8
	v_add3_u32 v88, v6, v59, v7
	v_cmp_eq_u32_e64 s1, 0, v86
	v_cmp_lt_u32_e64 s0, 1, v86
	v_cmp_lt_u32_e64 s3, 3, v86
	v_cmp_lt_u32_e32 vcc_lo, 7, v86
	v_or_b32_e32 v84, 31, v0
	s_cmp_lg_u32 s26, 0
	s_mov_b32 s5, -1
	s_cbranch_scc0 .LBB1171_123
; %bb.91:
	v_mov_b32_dpp v5, v88 row_shr:1 row_mask:0xf bank_mask:0xf
	v_mov_b32_dpp v6, v87 row_shr:1 row_mask:0xf bank_mask:0xf
	s_delay_alu instid0(VALU_DEP_2) | instskip(NEXT) | instid1(VALU_DEP_2)
	v_add_nc_u32_e32 v5, v5, v88
	v_add_nc_u32_e32 v6, v6, v87
	s_delay_alu instid0(VALU_DEP_2) | instskip(NEXT) | instid1(VALU_DEP_2)
	v_cndmask_b32_e64 v5, v5, v88, s1
	v_cndmask_b32_e64 v6, v6, v87, s1
	s_delay_alu instid0(VALU_DEP_2) | instskip(NEXT) | instid1(VALU_DEP_2)
	v_mov_b32_dpp v7, v5 row_shr:2 row_mask:0xf bank_mask:0xf
	v_mov_b32_dpp v8, v6 row_shr:2 row_mask:0xf bank_mask:0xf
	s_delay_alu instid0(VALU_DEP_2) | instskip(NEXT) | instid1(VALU_DEP_1)
	v_add_nc_u32_e32 v7, v5, v7
	v_cndmask_b32_e64 v5, v5, v7, s0
	s_delay_alu instid0(VALU_DEP_1) | instskip(NEXT) | instid1(VALU_DEP_1)
	v_mov_b32_dpp v7, v5 row_shr:4 row_mask:0xf bank_mask:0xf
	v_add_nc_u32_e32 v7, v5, v7
	s_delay_alu instid0(VALU_DEP_1) | instskip(NEXT) | instid1(VALU_DEP_1)
	v_cndmask_b32_e64 v5, v5, v7, s3
	v_mov_b32_dpp v7, v5 row_shr:8 row_mask:0xf bank_mask:0xf
	s_delay_alu instid0(VALU_DEP_1) | instskip(NEXT) | instid1(VALU_DEP_1)
	v_add_nc_u32_e32 v7, v5, v7
	v_dual_cndmask_b32 v5, v5, v7 :: v_dual_add_nc_u32 v8, v6, v8
	s_delay_alu instid0(VALU_DEP_1) | instskip(NEXT) | instid1(VALU_DEP_1)
	v_cndmask_b32_e64 v6, v6, v8, s0
	v_mov_b32_dpp v8, v6 row_shr:4 row_mask:0xf bank_mask:0xf
	s_delay_alu instid0(VALU_DEP_1) | instskip(NEXT) | instid1(VALU_DEP_1)
	v_add_nc_u32_e32 v8, v6, v8
	v_cndmask_b32_e64 v6, v6, v8, s3
	s_mov_b32 s3, exec_lo
	s_delay_alu instid0(VALU_DEP_1) | instskip(NEXT) | instid1(VALU_DEP_1)
	v_mov_b32_dpp v8, v6 row_shr:8 row_mask:0xf bank_mask:0xf
	v_add_nc_u32_e32 v8, v6, v8
	s_delay_alu instid0(VALU_DEP_1)
	v_cndmask_b32_e32 v7, v6, v8, vcc_lo
	ds_swizzle_b32 v6, v5 offset:swizzle(BROADCAST,32,15)
	v_cmp_eq_u32_e32 vcc_lo, 0, v85
	s_waitcnt lgkmcnt(0)
	v_add_nc_u32_e32 v6, v5, v6
	ds_swizzle_b32 v8, v7 offset:swizzle(BROADCAST,32,15)
	v_cndmask_b32_e32 v6, v6, v5, vcc_lo
	s_waitcnt lgkmcnt(0)
	v_add_nc_u32_e32 v8, v7, v8
	s_delay_alu instid0(VALU_DEP_1)
	v_cndmask_b32_e32 v5, v8, v7, vcc_lo
	v_cmpx_eq_u32_e64 v84, v0
	s_cbranch_execz .LBB1171_93
; %bb.92:
	v_lshlrev_b32_e32 v7, 3, v83
	ds_store_b64 v7, v[5:6]
.LBB1171_93:
	s_or_b32 exec_lo, exec_lo, s3
	s_delay_alu instid0(SALU_CYCLE_1)
	s_mov_b32 s3, exec_lo
	s_waitcnt lgkmcnt(0)
	s_barrier
	buffer_gl0_inv
	v_cmpx_gt_u32_e32 8, v0
	s_cbranch_execz .LBB1171_95
; %bb.94:
	v_lshlrev_b32_e32 v9, 3, v0
	ds_load_b64 v[7:8], v9
	s_waitcnt lgkmcnt(0)
	v_mov_b32_dpp v22, v7 row_shr:1 row_mask:0xf bank_mask:0xf
	v_mov_b32_dpp v23, v8 row_shr:1 row_mask:0xf bank_mask:0xf
	s_delay_alu instid0(VALU_DEP_2) | instskip(SKIP_1) | instid1(VALU_DEP_3)
	v_add_nc_u32_e32 v22, v22, v7
	v_and_b32_e32 v24, 7, v82
	v_add_nc_u32_e32 v23, v23, v8
	s_delay_alu instid0(VALU_DEP_2) | instskip(NEXT) | instid1(VALU_DEP_2)
	v_cmp_eq_u32_e32 vcc_lo, 0, v24
	v_dual_cndmask_b32 v8, v23, v8 :: v_dual_cndmask_b32 v7, v22, v7
	v_cmp_lt_u32_e32 vcc_lo, 1, v24
	s_delay_alu instid0(VALU_DEP_2) | instskip(NEXT) | instid1(VALU_DEP_3)
	v_mov_b32_dpp v23, v8 row_shr:2 row_mask:0xf bank_mask:0xf
	v_mov_b32_dpp v22, v7 row_shr:2 row_mask:0xf bank_mask:0xf
	s_delay_alu instid0(VALU_DEP_2) | instskip(NEXT) | instid1(VALU_DEP_2)
	v_add_nc_u32_e32 v23, v8, v23
	v_add_nc_u32_e32 v22, v7, v22
	s_delay_alu instid0(VALU_DEP_1) | instskip(SKIP_1) | instid1(VALU_DEP_2)
	v_dual_cndmask_b32 v8, v8, v23 :: v_dual_cndmask_b32 v7, v7, v22
	v_cmp_lt_u32_e32 vcc_lo, 3, v24
	v_mov_b32_dpp v23, v8 row_shr:4 row_mask:0xf bank_mask:0xf
	s_delay_alu instid0(VALU_DEP_3) | instskip(NEXT) | instid1(VALU_DEP_1)
	v_mov_b32_dpp v22, v7 row_shr:4 row_mask:0xf bank_mask:0xf
	v_dual_cndmask_b32 v23, 0, v23 :: v_dual_cndmask_b32 v22, 0, v22
	s_delay_alu instid0(VALU_DEP_1) | instskip(NEXT) | instid1(VALU_DEP_2)
	v_add_nc_u32_e32 v8, v23, v8
	v_add_nc_u32_e32 v7, v22, v7
	ds_store_b64 v9, v[7:8]
.LBB1171_95:
	s_or_b32 exec_lo, exec_lo, s3
	v_cmp_gt_u32_e32 vcc_lo, 32, v0
	v_cmp_lt_u32_e64 s3, 31, v0
	s_waitcnt lgkmcnt(0)
	s_barrier
	buffer_gl0_inv
                                        ; implicit-def: $vgpr23
	s_and_saveexec_b32 s5, s3
	s_delay_alu instid0(SALU_CYCLE_1)
	s_xor_b32 s3, exec_lo, s5
	s_cbranch_execz .LBB1171_97
; %bb.96:
	v_lshl_add_u32 v7, v83, 3, -8
	ds_load_b64 v[22:23], v7
	s_waitcnt lgkmcnt(0)
	v_add_nc_u32_e32 v6, v23, v6
	v_add_nc_u32_e32 v5, v22, v5
.LBB1171_97:
	s_and_not1_saveexec_b32 s3, s3
; %bb.98:
                                        ; implicit-def: $vgpr22
; %bb.99:
	s_delay_alu instid0(SALU_CYCLE_1) | instskip(SKIP_1) | instid1(VALU_DEP_1)
	s_or_b32 exec_lo, exec_lo, s3
	v_add_nc_u32_e32 v7, -1, v82
	v_cmp_gt_i32_e64 s3, 0, v7
	s_delay_alu instid0(VALU_DEP_1) | instskip(SKIP_1) | instid1(VALU_DEP_2)
	v_cndmask_b32_e64 v7, v7, v82, s3
	v_cmp_eq_u32_e64 s3, 0, v82
	v_lshlrev_b32_e32 v7, 2, v7
	ds_bpermute_b32 v89, v7, v5
	ds_bpermute_b32 v90, v7, v6
	s_and_saveexec_b32 s5, vcc_lo
	s_cbranch_execz .LBB1171_122
; %bb.100:
	v_mov_b32_e32 v8, 0
	ds_load_b64 v[5:6], v8 offset:56
	s_waitcnt lgkmcnt(0)
	v_readfirstlane_b32 s6, v6
	s_and_saveexec_b32 s7, s3
	s_cbranch_execz .LBB1171_102
; %bb.101:
	s_add_i32 s8, s26, 32
	s_mov_b32 s9, 0
	v_mov_b32_e32 v7, 1
	s_lshl_b64 s[10:11], s[8:9], 4
	s_mov_b32 s16, s9
	s_add_u32 s10, s36, s10
	s_addc_u32 s11, s37, s11
	s_and_b32 s17, s6, 0xff000000
	s_and_b32 s19, s6, 0xff0000
	s_mov_b32 s18, s9
	v_dual_mov_b32 v25, s11 :: v_dual_mov_b32 v24, s10
	s_or_b64 s[16:17], s[18:19], s[16:17]
	s_and_b32 s19, s6, 0xff00
	s_delay_alu instid0(SALU_CYCLE_1) | instskip(SKIP_1) | instid1(SALU_CYCLE_1)
	s_or_b64 s[16:17], s[16:17], s[18:19]
	s_and_b32 s19, s6, 0xff
	s_or_b64 s[8:9], s[16:17], s[18:19]
	s_delay_alu instid0(SALU_CYCLE_1)
	v_mov_b32_e32 v6, s9
	;;#ASMSTART
	global_store_dwordx4 v[24:25], v[5:8] off	
s_waitcnt vmcnt(0)
	;;#ASMEND
.LBB1171_102:
	s_or_b32 exec_lo, exec_lo, s7
	v_xad_u32 v24, v82, -1, s26
	s_mov_b32 s8, 0
	s_mov_b32 s7, exec_lo
	s_delay_alu instid0(VALU_DEP_1) | instskip(NEXT) | instid1(VALU_DEP_1)
	v_add_nc_u32_e32 v7, 32, v24
	v_lshlrev_b64 v[6:7], 4, v[7:8]
	s_delay_alu instid0(VALU_DEP_1) | instskip(NEXT) | instid1(VALU_DEP_2)
	v_add_co_u32 v25, vcc_lo, s36, v6
	v_add_co_ci_u32_e32 v26, vcc_lo, s37, v7, vcc_lo
	;;#ASMSTART
	global_load_dwordx4 v[6:9], v[25:26] off glc	
s_waitcnt vmcnt(0)
	;;#ASMEND
	v_and_b32_e32 v9, 0xff, v7
	v_and_b32_e32 v27, 0xff00, v7
	v_or3_b32 v6, v6, 0, 0
	v_and_b32_e32 v28, 0xff000000, v7
	v_and_b32_e32 v7, 0xff0000, v7
	s_delay_alu instid0(VALU_DEP_4) | instskip(SKIP_2) | instid1(VALU_DEP_3)
	v_or3_b32 v9, 0, v9, v27
	v_and_b32_e32 v27, 0xff, v8
	v_or3_b32 v6, v6, 0, 0
	v_or3_b32 v7, v9, v7, v28
	s_delay_alu instid0(VALU_DEP_3)
	v_cmpx_eq_u16_e32 0, v27
	s_cbranch_execz .LBB1171_108
; %bb.103:
	s_mov_b32 s9, 1
	.p2align	6
.LBB1171_104:                           ; =>This Loop Header: Depth=1
                                        ;     Child Loop BB1171_105 Depth 2
	s_delay_alu instid0(SALU_CYCLE_1)
	s_max_u32 s10, s9, 1
.LBB1171_105:                           ;   Parent Loop BB1171_104 Depth=1
                                        ; =>  This Inner Loop Header: Depth=2
	s_delay_alu instid0(SALU_CYCLE_1)
	s_add_i32 s10, s10, -1
	s_sleep 1
	s_cmp_eq_u32 s10, 0
	s_cbranch_scc0 .LBB1171_105
; %bb.106:                              ;   in Loop: Header=BB1171_104 Depth=1
	;;#ASMSTART
	global_load_dwordx4 v[6:9], v[25:26] off glc	
s_waitcnt vmcnt(0)
	;;#ASMEND
	v_and_b32_e32 v9, 0xff, v8
	s_cmp_lt_u32 s9, 32
	s_cselect_b32 s10, -1, 0
	s_delay_alu instid0(SALU_CYCLE_1) | instskip(NEXT) | instid1(VALU_DEP_1)
	s_cmp_lg_u32 s10, 0
	v_cmp_ne_u16_e32 vcc_lo, 0, v9
	s_addc_u32 s9, s9, 0
	s_or_b32 s8, vcc_lo, s8
	s_delay_alu instid0(SALU_CYCLE_1)
	s_and_not1_b32 exec_lo, exec_lo, s8
	s_cbranch_execnz .LBB1171_104
; %bb.107:
	s_or_b32 exec_lo, exec_lo, s8
.LBB1171_108:
	s_delay_alu instid0(SALU_CYCLE_1) | instskip(SKIP_3) | instid1(VALU_DEP_1)
	s_or_b32 exec_lo, exec_lo, s7
	v_cmp_ne_u32_e32 vcc_lo, 31, v82
	v_lshlrev_b32_e64 v92, v82, -1
	v_add_co_ci_u32_e32 v9, vcc_lo, 0, v82, vcc_lo
	v_lshlrev_b32_e32 v91, 2, v9
	ds_bpermute_b32 v25, v91, v7
	ds_bpermute_b32 v9, v91, v6
	s_waitcnt lgkmcnt(1)
	v_add_nc_u32_e32 v25, v25, v7
	v_and_b32_e32 v26, 0xff, v8
	s_waitcnt lgkmcnt(0)
	v_add_nc_u32_e32 v9, v9, v6
	s_delay_alu instid0(VALU_DEP_2) | instskip(SKIP_2) | instid1(VALU_DEP_2)
	v_cmp_eq_u16_e32 vcc_lo, 2, v26
	v_and_or_b32 v26, vcc_lo, v92, 0x80000000
	v_cmp_gt_u32_e32 vcc_lo, 30, v82
	v_ctz_i32_b32_e32 v26, v26
	v_cndmask_b32_e64 v27, 0, 1, vcc_lo
	s_delay_alu instid0(VALU_DEP_2) | instskip(NEXT) | instid1(VALU_DEP_2)
	v_cmp_lt_u32_e32 vcc_lo, v82, v26
	v_dual_cndmask_b32 v6, v6, v9 :: v_dual_lshlrev_b32 v27, 1, v27
	s_delay_alu instid0(VALU_DEP_1)
	v_add_lshl_u32 v93, v27, v82, 2
	v_cndmask_b32_e32 v7, v7, v25, vcc_lo
	v_cmp_gt_u32_e32 vcc_lo, 28, v82
	ds_bpermute_b32 v9, v93, v6
	ds_bpermute_b32 v25, v93, v7
	v_cndmask_b32_e64 v27, 0, 1, vcc_lo
	s_waitcnt lgkmcnt(1)
	v_add_nc_u32_e32 v9, v6, v9
	s_waitcnt lgkmcnt(0)
	v_add_nc_u32_e32 v25, v7, v25
	v_add_nc_u32_e32 v94, 2, v82
	s_delay_alu instid0(VALU_DEP_1) | instskip(NEXT) | instid1(VALU_DEP_3)
	v_cmp_gt_u32_e32 vcc_lo, v94, v26
	v_cndmask_b32_e32 v7, v25, v7, vcc_lo
	v_dual_cndmask_b32 v6, v9, v6 :: v_dual_lshlrev_b32 v27, 2, v27
	v_cmp_gt_u32_e32 vcc_lo, 24, v82
	s_delay_alu instid0(VALU_DEP_2) | instskip(SKIP_4) | instid1(VALU_DEP_1)
	v_add_lshl_u32 v95, v27, v82, 2
	v_cndmask_b32_e64 v27, 0, 1, vcc_lo
	ds_bpermute_b32 v25, v95, v7
	ds_bpermute_b32 v9, v95, v6
	v_lshlrev_b32_e32 v27, 3, v27
	v_add_lshl_u32 v97, v27, v82, 2
	s_waitcnt lgkmcnt(1)
	v_add_nc_u32_e32 v25, v7, v25
	v_add_nc_u32_e32 v96, 4, v82
	s_waitcnt lgkmcnt(0)
	v_add_nc_u32_e32 v9, v6, v9
	s_delay_alu instid0(VALU_DEP_2) | instskip(SKIP_1) | instid1(VALU_DEP_3)
	v_cmp_gt_u32_e32 vcc_lo, v96, v26
	v_cndmask_b32_e32 v7, v25, v7, vcc_lo
	v_cndmask_b32_e32 v6, v9, v6, vcc_lo
	v_cmp_gt_u32_e32 vcc_lo, 16, v82
	ds_bpermute_b32 v25, v97, v7
	ds_bpermute_b32 v9, v97, v6
	v_cndmask_b32_e64 v27, 0, 1, vcc_lo
	s_delay_alu instid0(VALU_DEP_1) | instskip(NEXT) | instid1(VALU_DEP_1)
	v_lshlrev_b32_e32 v27, 4, v27
	v_add_lshl_u32 v99, v27, v82, 2
	s_waitcnt lgkmcnt(1)
	v_add_nc_u32_e32 v25, v7, v25
	v_add_nc_u32_e32 v98, 8, v82
	s_waitcnt lgkmcnt(0)
	v_add_nc_u32_e32 v9, v6, v9
	s_delay_alu instid0(VALU_DEP_2) | instskip(SKIP_1) | instid1(VALU_DEP_3)
	v_cmp_gt_u32_e32 vcc_lo, v98, v26
	v_cndmask_b32_e32 v7, v25, v7, vcc_lo
	v_cndmask_b32_e32 v6, v9, v6, vcc_lo
	ds_bpermute_b32 v25, v99, v7
	ds_bpermute_b32 v9, v99, v6
	v_add_nc_u32_e32 v100, 16, v82
	s_delay_alu instid0(VALU_DEP_1) | instskip(SKIP_2) | instid1(VALU_DEP_1)
	v_cmp_le_u32_e32 vcc_lo, v100, v26
	s_waitcnt lgkmcnt(0)
	v_cndmask_b32_e32 v9, 0, v9, vcc_lo
	v_dual_cndmask_b32 v25, 0, v25 :: v_dual_add_nc_u32 v6, v9, v6
	s_delay_alu instid0(VALU_DEP_1)
	v_add_nc_u32_e32 v7, v25, v7
	v_mov_b32_e32 v25, 0
	s_branch .LBB1171_110
.LBB1171_109:                           ;   in Loop: Header=BB1171_110 Depth=1
	s_or_b32 exec_lo, exec_lo, s7
	ds_bpermute_b32 v9, v91, v6
	ds_bpermute_b32 v28, v91, v7
	v_subrev_nc_u32_e32 v24, 32, v24
	s_waitcnt lgkmcnt(1)
	v_add_nc_u32_e32 v9, v9, v6
	v_and_b32_e32 v29, 0xff, v8
	s_waitcnt lgkmcnt(0)
	v_add_nc_u32_e32 v28, v28, v7
	s_delay_alu instid0(VALU_DEP_2) | instskip(SKIP_1) | instid1(VALU_DEP_1)
	v_cmp_eq_u16_e32 vcc_lo, 2, v29
	v_and_or_b32 v29, vcc_lo, v92, 0x80000000
	v_ctz_i32_b32_e32 v29, v29
	s_delay_alu instid0(VALU_DEP_1)
	v_cmp_lt_u32_e32 vcc_lo, v82, v29
	v_cndmask_b32_e32 v6, v6, v9, vcc_lo
	ds_bpermute_b32 v9, v93, v6
	s_waitcnt lgkmcnt(0)
	v_add_nc_u32_e32 v9, v6, v9
	v_cndmask_b32_e32 v7, v7, v28, vcc_lo
	v_cmp_gt_u32_e32 vcc_lo, v94, v29
	s_delay_alu instid0(VALU_DEP_3)
	v_cndmask_b32_e32 v6, v9, v6, vcc_lo
	ds_bpermute_b32 v28, v93, v7
	ds_bpermute_b32 v9, v95, v6
	s_waitcnt lgkmcnt(1)
	v_add_nc_u32_e32 v28, v7, v28
	s_waitcnt lgkmcnt(0)
	v_add_nc_u32_e32 v9, v6, v9
	s_delay_alu instid0(VALU_DEP_2) | instskip(SKIP_1) | instid1(VALU_DEP_3)
	v_cndmask_b32_e32 v7, v28, v7, vcc_lo
	v_cmp_gt_u32_e32 vcc_lo, v96, v29
	v_cndmask_b32_e32 v6, v9, v6, vcc_lo
	ds_bpermute_b32 v28, v95, v7
	ds_bpermute_b32 v9, v97, v6
	s_waitcnt lgkmcnt(1)
	v_add_nc_u32_e32 v28, v7, v28
	s_waitcnt lgkmcnt(0)
	v_add_nc_u32_e32 v9, v6, v9
	s_delay_alu instid0(VALU_DEP_2) | instskip(SKIP_1) | instid1(VALU_DEP_3)
	v_cndmask_b32_e32 v7, v28, v7, vcc_lo
	v_cmp_gt_u32_e32 vcc_lo, v98, v29
	v_cndmask_b32_e32 v6, v9, v6, vcc_lo
	ds_bpermute_b32 v28, v97, v7
	ds_bpermute_b32 v9, v99, v6
	s_waitcnt lgkmcnt(1)
	v_add_nc_u32_e32 v28, v7, v28
	s_delay_alu instid0(VALU_DEP_1) | instskip(SKIP_4) | instid1(VALU_DEP_1)
	v_cndmask_b32_e32 v7, v28, v7, vcc_lo
	v_cmp_le_u32_e32 vcc_lo, v100, v29
	ds_bpermute_b32 v28, v99, v7
	s_waitcnt lgkmcnt(1)
	v_cndmask_b32_e32 v9, 0, v9, vcc_lo
	v_add3_u32 v6, v6, v26, v9
	s_waitcnt lgkmcnt(0)
	v_cndmask_b32_e32 v28, 0, v28, vcc_lo
	s_delay_alu instid0(VALU_DEP_1)
	v_add3_u32 v7, v7, v27, v28
.LBB1171_110:                           ; =>This Loop Header: Depth=1
                                        ;     Child Loop BB1171_113 Depth 2
                                        ;       Child Loop BB1171_114 Depth 3
	s_delay_alu instid0(VALU_DEP_1) | instskip(SKIP_1) | instid1(VALU_DEP_2)
	v_dual_mov_b32 v27, v7 :: v_dual_and_b32 v8, 0xff, v8
	v_mov_b32_e32 v26, v6
	v_cmp_ne_u16_e32 vcc_lo, 2, v8
	v_cndmask_b32_e64 v8, 0, 1, vcc_lo
	;;#ASMSTART
	;;#ASMEND
	s_delay_alu instid0(VALU_DEP_1)
	v_cmp_ne_u32_e32 vcc_lo, 0, v8
	s_cmp_lg_u32 vcc_lo, exec_lo
	s_cbranch_scc1 .LBB1171_117
; %bb.111:                              ;   in Loop: Header=BB1171_110 Depth=1
	v_lshlrev_b64 v[6:7], 4, v[24:25]
	s_mov_b32 s7, exec_lo
	s_delay_alu instid0(VALU_DEP_1) | instskip(NEXT) | instid1(VALU_DEP_2)
	v_add_co_u32 v28, vcc_lo, s36, v6
	v_add_co_ci_u32_e32 v29, vcc_lo, s37, v7, vcc_lo
	;;#ASMSTART
	global_load_dwordx4 v[6:9], v[28:29] off glc	
s_waitcnt vmcnt(0)
	;;#ASMEND
	v_and_b32_e32 v9, 0xff, v7
	v_and_b32_e32 v101, 0xff00, v7
	v_or3_b32 v6, v6, 0, 0
	v_and_b32_e32 v102, 0xff000000, v7
	v_and_b32_e32 v7, 0xff0000, v7
	s_delay_alu instid0(VALU_DEP_4) | instskip(SKIP_2) | instid1(VALU_DEP_3)
	v_or3_b32 v9, 0, v9, v101
	v_and_b32_e32 v101, 0xff, v8
	v_or3_b32 v6, v6, 0, 0
	v_or3_b32 v7, v9, v7, v102
	s_delay_alu instid0(VALU_DEP_3)
	v_cmpx_eq_u16_e32 0, v101
	s_cbranch_execz .LBB1171_109
; %bb.112:                              ;   in Loop: Header=BB1171_110 Depth=1
	s_mov_b32 s9, 1
	s_mov_b32 s8, 0
	.p2align	6
.LBB1171_113:                           ;   Parent Loop BB1171_110 Depth=1
                                        ; =>  This Loop Header: Depth=2
                                        ;       Child Loop BB1171_114 Depth 3
	s_max_u32 s10, s9, 1
.LBB1171_114:                           ;   Parent Loop BB1171_110 Depth=1
                                        ;     Parent Loop BB1171_113 Depth=2
                                        ; =>    This Inner Loop Header: Depth=3
	s_delay_alu instid0(SALU_CYCLE_1)
	s_add_i32 s10, s10, -1
	s_sleep 1
	s_cmp_eq_u32 s10, 0
	s_cbranch_scc0 .LBB1171_114
; %bb.115:                              ;   in Loop: Header=BB1171_113 Depth=2
	;;#ASMSTART
	global_load_dwordx4 v[6:9], v[28:29] off glc	
s_waitcnt vmcnt(0)
	;;#ASMEND
	v_and_b32_e32 v9, 0xff, v8
	s_cmp_lt_u32 s9, 32
	s_cselect_b32 s10, -1, 0
	s_delay_alu instid0(SALU_CYCLE_1) | instskip(NEXT) | instid1(VALU_DEP_1)
	s_cmp_lg_u32 s10, 0
	v_cmp_ne_u16_e32 vcc_lo, 0, v9
	s_addc_u32 s9, s9, 0
	s_or_b32 s8, vcc_lo, s8
	s_delay_alu instid0(SALU_CYCLE_1)
	s_and_not1_b32 exec_lo, exec_lo, s8
	s_cbranch_execnz .LBB1171_113
; %bb.116:                              ;   in Loop: Header=BB1171_110 Depth=1
	s_or_b32 exec_lo, exec_lo, s8
	s_branch .LBB1171_109
.LBB1171_117:                           ;   in Loop: Header=BB1171_110 Depth=1
                                        ; implicit-def: $vgpr8
                                        ; implicit-def: $vgpr6_vgpr7
	s_cbranch_execz .LBB1171_110
; %bb.118:
	s_and_saveexec_b32 s7, s3
	s_cbranch_execnz .LBB1171_361
; %bb.119:
	s_or_b32 exec_lo, exec_lo, s7
	s_and_saveexec_b32 s7, s3
	s_cbranch_execnz .LBB1171_362
.LBB1171_120:
	s_or_b32 exec_lo, exec_lo, s7
	s_delay_alu instid0(SALU_CYCLE_1)
	s_and_b32 exec_lo, exec_lo, s2
	s_cbranch_execz .LBB1171_122
.LBB1171_121:
	v_mov_b32_e32 v5, 0
	ds_store_b64 v5, v[26:27] offset:56
.LBB1171_122:
	s_or_b32 exec_lo, exec_lo, s5
	s_waitcnt lgkmcnt(1)
	v_cndmask_b32_e64 v22, v89, v22, s3
	v_mov_b32_e32 v5, 0
	s_waitcnt lgkmcnt(0)
	s_barrier
	buffer_gl0_inv
	v_add_nc_u32_e64 v7, 0x3400, 0
	ds_load_b64 v[24:25], v5 offset:56
	s_waitcnt lgkmcnt(0)
	s_barrier
	buffer_gl0_inv
	ds_load_2addr_b32 v[5:6], v7 offset1:2
	ds_load_2addr_b32 v[7:8], v7 offset0:4 offset1:6
	v_cndmask_b32_e64 v9, v90, v23, s3
	v_add_nc_u32_e32 v22, v24, v22
	s_delay_alu instid0(VALU_DEP_2) | instskip(NEXT) | instid1(VALU_DEP_2)
	v_add_nc_u32_e32 v9, v25, v9
	v_cndmask_b32_e64 v22, v22, v24, s2
	s_delay_alu instid0(VALU_DEP_2)
	v_cndmask_b32_e64 v9, v9, v25, s2
	s_branch .LBB1171_133
.LBB1171_123:
                                        ; implicit-def: $vgpr9
                                        ; implicit-def: $vgpr7
                                        ; implicit-def: $vgpr5
                                        ; implicit-def: $vgpr22_vgpr23
	s_and_b32 vcc_lo, exec_lo, s5
	s_cbranch_vccz .LBB1171_133
; %bb.124:
	s_waitcnt lgkmcnt(1)
	v_mov_b32_dpp v6, v88 row_shr:1 row_mask:0xf bank_mask:0xf
	v_cmp_lt_u32_e32 vcc_lo, 3, v86
	v_mov_b32_dpp v5, v87 row_shr:1 row_mask:0xf bank_mask:0xf
	s_delay_alu instid0(VALU_DEP_3) | instskip(NEXT) | instid1(VALU_DEP_1)
	v_add_nc_u32_e32 v6, v6, v88
	v_cndmask_b32_e64 v6, v6, v88, s1
	s_waitcnt lgkmcnt(0)
	s_delay_alu instid0(VALU_DEP_1) | instskip(NEXT) | instid1(VALU_DEP_1)
	v_mov_b32_dpp v8, v6 row_shr:2 row_mask:0xf bank_mask:0xf
	v_add_nc_u32_e32 v8, v6, v8
	s_delay_alu instid0(VALU_DEP_1) | instskip(NEXT) | instid1(VALU_DEP_1)
	v_cndmask_b32_e64 v6, v6, v8, s0
	v_mov_b32_dpp v8, v6 row_shr:4 row_mask:0xf bank_mask:0xf
	s_delay_alu instid0(VALU_DEP_1) | instskip(NEXT) | instid1(VALU_DEP_1)
	v_add_nc_u32_e32 v8, v6, v8
	v_dual_cndmask_b32 v6, v6, v8 :: v_dual_add_nc_u32 v5, v5, v87
	s_delay_alu instid0(VALU_DEP_1) | instskip(NEXT) | instid1(VALU_DEP_2)
	v_cndmask_b32_e64 v5, v5, v87, s1
	v_mov_b32_dpp v8, v6 row_shr:8 row_mask:0xf bank_mask:0xf
	s_delay_alu instid0(VALU_DEP_2) | instskip(NEXT) | instid1(VALU_DEP_2)
	v_mov_b32_dpp v7, v5 row_shr:2 row_mask:0xf bank_mask:0xf
	v_add_nc_u32_e32 v8, v6, v8
	s_delay_alu instid0(VALU_DEP_2) | instskip(NEXT) | instid1(VALU_DEP_1)
	v_add_nc_u32_e32 v7, v5, v7
	v_cndmask_b32_e64 v5, v5, v7, s0
	s_mov_b32 s0, exec_lo
	s_delay_alu instid0(VALU_DEP_1) | instskip(NEXT) | instid1(VALU_DEP_1)
	v_mov_b32_dpp v7, v5 row_shr:4 row_mask:0xf bank_mask:0xf
	v_add_nc_u32_e32 v7, v5, v7
	s_delay_alu instid0(VALU_DEP_1) | instskip(SKIP_1) | instid1(VALU_DEP_2)
	v_cndmask_b32_e32 v5, v5, v7, vcc_lo
	v_cmp_lt_u32_e32 vcc_lo, 7, v86
	v_mov_b32_dpp v7, v5 row_shr:8 row_mask:0xf bank_mask:0xf
	s_delay_alu instid0(VALU_DEP_1) | instskip(NEXT) | instid1(VALU_DEP_1)
	v_dual_cndmask_b32 v6, v6, v8 :: v_dual_add_nc_u32 v7, v5, v7
	v_cndmask_b32_e32 v5, v5, v7, vcc_lo
	ds_swizzle_b32 v7, v6 offset:swizzle(BROADCAST,32,15)
	v_cmp_eq_u32_e32 vcc_lo, 0, v85
	ds_swizzle_b32 v8, v5 offset:swizzle(BROADCAST,32,15)
	s_waitcnt lgkmcnt(1)
	v_add_nc_u32_e32 v7, v6, v7
	s_waitcnt lgkmcnt(0)
	v_add_nc_u32_e32 v8, v5, v8
	s_delay_alu instid0(VALU_DEP_1)
	v_dual_cndmask_b32 v6, v7, v6 :: v_dual_cndmask_b32 v5, v8, v5
	v_cmpx_eq_u32_e64 v84, v0
	s_cbranch_execz .LBB1171_126
; %bb.125:
	v_lshlrev_b32_e32 v7, 3, v83
	ds_store_b64 v7, v[5:6]
.LBB1171_126:
	s_or_b32 exec_lo, exec_lo, s0
	s_delay_alu instid0(SALU_CYCLE_1)
	s_mov_b32 s0, exec_lo
	s_waitcnt lgkmcnt(0)
	s_barrier
	buffer_gl0_inv
	v_cmpx_gt_u32_e32 8, v0
	s_cbranch_execz .LBB1171_128
; %bb.127:
	v_lshlrev_b32_e32 v9, 3, v0
	ds_load_b64 v[7:8], v9
	s_waitcnt lgkmcnt(0)
	v_mov_b32_dpp v22, v7 row_shr:1 row_mask:0xf bank_mask:0xf
	v_mov_b32_dpp v23, v8 row_shr:1 row_mask:0xf bank_mask:0xf
	s_delay_alu instid0(VALU_DEP_2) | instskip(SKIP_1) | instid1(VALU_DEP_3)
	v_add_nc_u32_e32 v22, v22, v7
	v_and_b32_e32 v24, 7, v82
	v_add_nc_u32_e32 v23, v23, v8
	s_delay_alu instid0(VALU_DEP_2) | instskip(NEXT) | instid1(VALU_DEP_2)
	v_cmp_eq_u32_e32 vcc_lo, 0, v24
	v_dual_cndmask_b32 v8, v23, v8 :: v_dual_cndmask_b32 v7, v22, v7
	v_cmp_lt_u32_e32 vcc_lo, 1, v24
	s_delay_alu instid0(VALU_DEP_2) | instskip(NEXT) | instid1(VALU_DEP_3)
	v_mov_b32_dpp v23, v8 row_shr:2 row_mask:0xf bank_mask:0xf
	v_mov_b32_dpp v22, v7 row_shr:2 row_mask:0xf bank_mask:0xf
	s_delay_alu instid0(VALU_DEP_2) | instskip(NEXT) | instid1(VALU_DEP_2)
	v_add_nc_u32_e32 v23, v8, v23
	v_add_nc_u32_e32 v22, v7, v22
	s_delay_alu instid0(VALU_DEP_1) | instskip(SKIP_1) | instid1(VALU_DEP_2)
	v_dual_cndmask_b32 v8, v8, v23 :: v_dual_cndmask_b32 v7, v7, v22
	v_cmp_lt_u32_e32 vcc_lo, 3, v24
	v_mov_b32_dpp v23, v8 row_shr:4 row_mask:0xf bank_mask:0xf
	s_delay_alu instid0(VALU_DEP_3) | instskip(NEXT) | instid1(VALU_DEP_1)
	v_mov_b32_dpp v22, v7 row_shr:4 row_mask:0xf bank_mask:0xf
	v_dual_cndmask_b32 v23, 0, v23 :: v_dual_cndmask_b32 v22, 0, v22
	s_delay_alu instid0(VALU_DEP_1) | instskip(NEXT) | instid1(VALU_DEP_2)
	v_add_nc_u32_e32 v8, v23, v8
	v_add_nc_u32_e32 v7, v22, v7
	ds_store_b64 v9, v[7:8]
.LBB1171_128:
	s_or_b32 exec_lo, exec_lo, s0
	v_dual_mov_b32 v7, 0 :: v_dual_mov_b32 v22, 0
	v_mov_b32_e32 v23, 0
	s_mov_b32 s0, exec_lo
	s_waitcnt lgkmcnt(0)
	s_barrier
	buffer_gl0_inv
	v_cmpx_lt_u32_e32 31, v0
	s_cbranch_execz .LBB1171_130
; %bb.129:
	v_lshl_add_u32 v8, v83, 3, -8
	ds_load_b64 v[22:23], v8
.LBB1171_130:
	s_or_b32 exec_lo, exec_lo, s0
	v_add_nc_u32_e32 v8, -1, v82
	s_waitcnt lgkmcnt(0)
	v_add_nc_u32_e32 v24, v23, v6
	v_add_nc_u32_e32 v9, v22, v5
	ds_load_b64 v[5:6], v7 offset:56
	v_cmp_gt_i32_e32 vcc_lo, 0, v8
	v_cndmask_b32_e32 v8, v8, v82, vcc_lo
	s_delay_alu instid0(VALU_DEP_1)
	v_lshlrev_b32_e32 v8, 2, v8
	ds_bpermute_b32 v9, v8, v9
	ds_bpermute_b32 v24, v8, v24
	s_waitcnt lgkmcnt(2)
	v_readfirstlane_b32 s0, v6
	s_and_saveexec_b32 s1, s2
	s_cbranch_execz .LBB1171_132
; %bb.131:
	s_mov_b32 s8, 0
	s_add_u32 s6, s36, 0x200
	s_addc_u32 s7, s37, 0
	s_and_b32 s9, s0, 0xff000000
	s_and_b32 s11, s0, 0xff0000
	s_mov_b32 s10, s8
	v_mov_b32_e32 v26, s7
	s_or_b64 s[10:11], s[10:11], s[8:9]
	s_and_b32 s9, s0, 0xff00
	v_dual_mov_b32 v8, 0 :: v_dual_mov_b32 v25, s6
	s_or_b64 s[10:11], s[10:11], s[8:9]
	s_and_b32 s9, s0, 0xff
	v_mov_b32_e32 v7, 2
	s_or_b64 s[8:9], s[10:11], s[8:9]
	s_delay_alu instid0(SALU_CYCLE_1)
	v_mov_b32_e32 v6, s9
	;;#ASMSTART
	global_store_dwordx4 v[25:26], v[5:8] off	
s_waitcnt vmcnt(0)
	;;#ASMEND
.LBB1171_132:
	s_or_b32 exec_lo, exec_lo, s1
	v_cmp_eq_u32_e32 vcc_lo, 0, v82
	v_dual_mov_b32 v7, 0 :: v_dual_mov_b32 v6, s0
	s_waitcnt lgkmcnt(0)
	s_barrier
	v_dual_cndmask_b32 v8, v9, v22 :: v_dual_cndmask_b32 v9, v24, v23
	buffer_gl0_inv
	v_cndmask_b32_e64 v22, v8, 0, s2
	v_cndmask_b32_e64 v9, v9, 0, s2
	v_mov_b32_e32 v8, 0
.LBB1171_133:
	s_delay_alu instid0(VALU_DEP_1) | instskip(SKIP_1) | instid1(VALU_DEP_2)
	v_add_nc_u32_e32 v24, v9, v81
	s_waitcnt lgkmcnt(0)
	v_sub_nc_u32_e32 v9, v9, v8
	v_add_co_u32 v1, vcc_lo, v1, v7
	v_and_b32_e32 v35, 1, v35
	v_add_nc_u32_e32 v26, v24, v77
	v_sub_nc_u32_e32 v24, v24, v8
	v_lshlrev_b32_e32 v77, 1, v5
	v_add_nc_u32_e32 v9, v9, v5
	v_add_co_ci_u32_e32 v2, vcc_lo, 0, v2, vcc_lo
	v_add_nc_u32_e32 v28, v26, v79
	s_delay_alu instid0(VALU_DEP_4)
	v_add3_u32 v33, v77, v6, v33
	v_and_b32_e32 v40, 1, v40
	v_and_b32_e32 v37, 1, v37
	;; [unrolled: 1-line block ×3, first 2 shown]
	v_add_nc_u32_e32 v29, v28, v75
	v_sub_nc_u32_e32 v28, v28, v8
	v_sub_co_u32 v75, vcc_lo, v3, v5
	s_add_u32 s1, s14, -4
	s_delay_alu instid0(VALU_DEP_3) | instskip(SKIP_4) | instid1(VALU_DEP_3)
	v_add_nc_u32_e32 v73, v29, v73
	v_sub_nc_u32_e32 v29, v29, v8
	v_add_nc_u32_e32 v28, v28, v5
	v_add_nc_u32_e32 v24, v24, v5
	s_mov_b32 s3, -1
	v_add_nc_u32_e32 v29, v29, v5
	v_add_nc_u32_e32 v23, v22, v80
	v_sub_nc_u32_e32 v22, v22, v7
	s_delay_alu instid0(VALU_DEP_2) | instskip(SKIP_3) | instid1(VALU_DEP_3)
	v_add_nc_u32_e32 v25, v23, v76
	v_sub_nc_u32_e32 v23, v23, v7
	v_subrev_co_ci_u32_e32 v76, vcc_lo, 0, v4, vcc_lo
	v_cmp_eq_u32_e32 vcc_lo, 1, v35
	v_add_nc_u32_e32 v79, v24, v23
	s_delay_alu instid0(VALU_DEP_1) | instskip(NEXT) | instid1(VALU_DEP_1)
	v_sub_nc_u32_e32 v79, v33, v79
	v_add_nc_u32_e32 v79, 1, v79
	v_add_nc_u32_e32 v27, v25, v78
	;; [unrolled: 1-line block ×3, first 2 shown]
	s_delay_alu instid0(VALU_DEP_1) | instskip(NEXT) | instid1(VALU_DEP_1)
	v_sub_nc_u32_e32 v78, v33, v78
	v_dual_cndmask_b32 v9, v78, v9 :: v_dual_and_b32 v34, 1, v34
	v_cmp_eq_u32_e32 vcc_lo, 1, v40
	v_cndmask_b32_e32 v24, v79, v24, vcc_lo
	s_delay_alu instid0(VALU_DEP_3) | instskip(NEXT) | instid1(VALU_DEP_4)
	v_cmp_eq_u32_e32 vcc_lo, 1, v34
	v_cndmask_b32_e32 v9, v9, v22, vcc_lo
	v_sub_nc_u32_e32 v26, v26, v8
	v_cmp_eq_u32_e32 vcc_lo, 1, v37
	v_and_b32_e32 v37, 1, v38
	s_delay_alu instid0(VALU_DEP_4) | instskip(NEXT) | instid1(VALU_DEP_4)
	v_lshlrev_b32_e32 v9, 2, v9
	v_add_nc_u32_e32 v26, v26, v5
	v_cndmask_b32_e32 v24, v24, v23, vcc_lo
	v_sub_nc_u32_e32 v25, v25, v7
	v_add_co_u32 v22, vcc_lo, v75, v8
	v_add_co_ci_u32_e32 v23, vcc_lo, 0, v76, vcc_lo
	s_delay_alu instid0(VALU_DEP_3)
	v_add_nc_u32_e32 v34, v26, v25
	v_cmp_eq_u32_e32 vcc_lo, 1, v37
	v_lshlrev_b32_e32 v24, 2, v24
	ds_store_b32 v9, v20
	v_sub_nc_u32_e32 v34, v33, v34
	ds_store_b32 v24, v21
	v_and_b32_e32 v24, 1, v39
	v_add_nc_u32_e32 v34, 2, v34
	s_delay_alu instid0(VALU_DEP_1) | instskip(SKIP_3) | instid1(VALU_DEP_4)
	v_cndmask_b32_e32 v26, v34, v26, vcc_lo
	v_cmp_eq_u32_e32 vcc_lo, 1, v36
	v_add_nc_u32_e32 v74, v27, v74
	v_sub_nc_u32_e32 v27, v27, v7
	v_cndmask_b32_e32 v25, v26, v25, vcc_lo
	s_delay_alu instid0(VALU_DEP_3) | instskip(NEXT) | instid1(VALU_DEP_3)
	v_sub_nc_u32_e32 v37, v74, v7
	v_add_nc_u32_e32 v34, v27, v28
	v_cmp_eq_u32_e32 vcc_lo, 1, v24
	v_sub_nc_u32_e32 v26, v73, v8
	v_lshlrev_b32_e32 v21, 2, v25
	v_and_b32_e32 v25, 1, v41
	v_sub_nc_u32_e32 v9, v33, v34
	v_add_nc_u32_e32 v20, v37, v29
	v_and_b32_e32 v24, 1, v42
	v_add_nc_u32_e32 v26, v26, v5
	ds_store_b32 v21, v18
	v_add_nc_u32_e32 v9, 3, v9
	v_sub_nc_u32_e32 v20, v33, v20
	s_delay_alu instid0(VALU_DEP_2) | instskip(SKIP_2) | instid1(VALU_DEP_4)
	v_cndmask_b32_e32 v9, v9, v28, vcc_lo
	v_cmp_eq_u32_e32 vcc_lo, 1, v25
	v_add_nc_u32_e32 v72, v74, v72
	v_add_nc_u32_e32 v20, 4, v20
	v_and_b32_e32 v25, 1, v43
	v_cndmask_b32_e32 v9, v9, v27, vcc_lo
	s_delay_alu instid0(VALU_DEP_4)
	v_sub_nc_u32_e32 v28, v72, v7
	v_cmp_eq_u32_e32 vcc_lo, 1, v24
	v_and_b32_e32 v24, 1, v44
	v_add_nc_u32_e32 v70, v72, v70
	v_lshlrev_b32_e32 v9, 2, v9
	v_add_nc_u32_e32 v27, v28, v26
	v_cndmask_b32_e32 v20, v20, v29, vcc_lo
	v_cmp_eq_u32_e32 vcc_lo, 1, v25
	v_and_b32_e32 v25, 1, v45
	v_add_nc_u32_e32 v64, v70, v64
	v_sub_nc_u32_e32 v18, v33, v27
	v_sub_nc_u32_e32 v27, v70, v7
	v_cndmask_b32_e32 v20, v20, v37, vcc_lo
	v_cmp_eq_u32_e32 vcc_lo, 1, v24
	ds_store_b32 v9, v19
	v_add_nc_u32_e32 v18, 5, v18
	v_and_b32_e32 v19, 1, v46
	v_lshlrev_b32_e32 v20, 2, v20
	v_add_nc_u32_e32 v68, v64, v68
	s_delay_alu instid0(VALU_DEP_4)
	v_cndmask_b32_e32 v18, v18, v26, vcc_lo
	v_cmp_eq_u32_e32 vcc_lo, 1, v25
	v_sub_nc_u32_e32 v25, v64, v7
	ds_store_b32 v20, v16
	v_and_b32_e32 v20, 1, v49
	v_add_nc_u32_e32 v66, v68, v66
	v_dual_cndmask_b32 v18, v18, v28 :: v_dual_add_nc_u32 v71, v73, v71
	v_cmp_eq_u32_e32 vcc_lo, 1, v19
	v_and_b32_e32 v19, 1, v48
	s_delay_alu instid0(VALU_DEP_4) | instskip(NEXT) | instid1(VALU_DEP_4)
	v_add_nc_u32_e32 v61, v66, v61
	v_lshlrev_b32_e32 v18, 2, v18
	v_add_nc_u32_e32 v65, v71, v65
	v_sub_nc_u32_e32 v21, v71, v8
	s_delay_alu instid0(VALU_DEP_4)
	v_add_nc_u32_e32 v60, v61, v60
	ds_store_b32 v18, v17
	v_sub_nc_u32_e32 v24, v65, v8
	v_add_nc_u32_e32 v21, v21, v5
	v_add_nc_u32_e32 v69, v65, v69
	v_and_b32_e32 v17, 1, v47
	s_delay_alu instid0(VALU_DEP_4) | instskip(NEXT) | instid1(VALU_DEP_4)
	v_add_nc_u32_e32 v24, v24, v5
	v_add_nc_u32_e32 v26, v27, v21
	s_delay_alu instid0(VALU_DEP_4) | instskip(NEXT) | instid1(VALU_DEP_3)
	v_sub_nc_u32_e32 v18, v69, v8
	v_add_nc_u32_e32 v16, v25, v24
	s_delay_alu instid0(VALU_DEP_3) | instskip(NEXT) | instid1(VALU_DEP_3)
	v_sub_nc_u32_e32 v9, v33, v26
	v_add_nc_u32_e32 v18, v18, v5
	v_sub_nc_u32_e32 v26, v60, v7
	s_delay_alu instid0(VALU_DEP_4) | instskip(NEXT) | instid1(VALU_DEP_4)
	v_sub_nc_u32_e32 v16, v33, v16
	v_add_nc_u32_e32 v9, 6, v9
	s_delay_alu instid0(VALU_DEP_1) | instskip(SKIP_2) | instid1(VALU_DEP_3)
	v_dual_cndmask_b32 v9, v9, v21 :: v_dual_add_nc_u32 v16, 7, v16
	v_cmp_eq_u32_e32 vcc_lo, 1, v19
	v_sub_nc_u32_e32 v21, v68, v7
	v_cndmask_b32_e32 v16, v16, v24, vcc_lo
	v_cmp_eq_u32_e32 vcc_lo, 1, v17
	s_delay_alu instid0(VALU_DEP_3) | instskip(SKIP_3) | instid1(VALU_DEP_4)
	v_add_nc_u32_e32 v17, v21, v18
	v_cndmask_b32_e32 v9, v9, v27, vcc_lo
	v_cmp_eq_u32_e32 vcc_lo, 1, v20
	v_add_nc_u32_e32 v67, v69, v67
	v_sub_nc_u32_e32 v17, v33, v17
	v_sub_nc_u32_e32 v20, v66, v7
	v_lshlrev_b32_e32 v9, 2, v9
	v_cndmask_b32_e32 v16, v16, v25, vcc_lo
	v_sub_nc_u32_e32 v19, v67, v8
	v_add_nc_u32_e32 v62, v67, v62
	v_sub_nc_u32_e32 v25, v61, v7
	ds_store_b32 v9, v14
	v_and_b32_e32 v9, 1, v50
	v_add_nc_u32_e32 v19, v19, v5
	v_add_nc_u32_e32 v14, 8, v17
	v_lshlrev_b32_e32 v16, 2, v16
	v_add_nc_u32_e32 v63, v62, v63
	v_cmp_eq_u32_e32 vcc_lo, 1, v9
	v_add_nc_u32_e32 v17, v20, v19
	ds_store_b32 v16, v15
	v_and_b32_e32 v15, 1, v51
	v_cndmask_b32_e32 v9, v14, v18, vcc_lo
	v_sub_nc_u32_e32 v14, v33, v17
	v_and_b32_e32 v18, 1, v52
	v_sub_nc_u32_e32 v17, v62, v8
	v_and_b32_e32 v16, 1, v54
	v_sub_nc_u32_e32 v24, v63, v8
	v_add_nc_u32_e32 v14, 9, v14
	v_cmp_eq_u32_e32 vcc_lo, 1, v18
	v_add_nc_u32_e32 v17, v17, v5
	v_add_nc_u32_e32 v35, v63, v59
	;; [unrolled: 1-line block ×3, first 2 shown]
	v_cndmask_b32_e32 v14, v14, v19, vcc_lo
	v_cmp_eq_u32_e32 vcc_lo, 1, v15
	v_add_nc_u32_e32 v15, v25, v17
	s_delay_alu instid0(VALU_DEP_4)
	v_add_nc_u32_e32 v18, v26, v24
	v_and_b32_e32 v19, 1, v55
	v_cndmask_b32_e32 v9, v9, v21, vcc_lo
	v_cmp_eq_u32_e32 vcc_lo, 1, v16
	v_sub_nc_u32_e32 v15, v33, v15
	v_sub_nc_u32_e32 v18, v33, v18
	v_and_b32_e32 v21, 1, v57
	v_sub_nc_u32_e32 v16, v35, v8
	v_cndmask_b32_e32 v14, v14, v20, vcc_lo
	v_and_b32_e32 v20, 1, v53
	v_add_nc_u32_e32 v15, 10, v15
	v_add_nc_u32_e32 v18, 11, v18
	;; [unrolled: 1-line block ×3, first 2 shown]
	v_lshlrev_b32_e32 v9, 2, v9
	v_cmp_eq_u32_e32 vcc_lo, 1, v20
	v_dual_cndmask_b32 v15, v15, v17 :: v_dual_lshlrev_b32 v14, 2, v14
	v_cmp_eq_u32_e32 vcc_lo, 1, v21
	v_and_b32_e32 v17, 1, v56
	v_cndmask_b32_e32 v18, v18, v24, vcc_lo
	v_cmp_eq_u32_e32 vcc_lo, 1, v19
	v_cndmask_b32_e32 v15, v15, v25, vcc_lo
	s_delay_alu instid0(VALU_DEP_4) | instskip(NEXT) | instid1(VALU_DEP_2)
	v_cmp_eq_u32_e32 vcc_lo, 1, v17
	v_lshlrev_b32_e32 v15, 2, v15
	v_cndmask_b32_e32 v17, v18, v26, vcc_lo
	v_add_nc_u32_e32 v40, v60, v58
	s_delay_alu instid0(VALU_DEP_2) | instskip(NEXT) | instid1(VALU_DEP_2)
	v_lshlrev_b32_e32 v17, 2, v17
	v_sub_nc_u32_e32 v7, v40, v7
	ds_store_b32 v9, v12
	ds_store_b32 v14, v13
	;; [unrolled: 1-line block ×4, first 2 shown]
	v_add_co_u32 v9, s0, v6, v77
	s_delay_alu instid0(VALU_DEP_1) | instskip(SKIP_1) | instid1(VALU_DEP_3)
	v_add_co_ci_u32_e64 v10, null, 0, 0, s0
	v_add_nc_u32_e32 v27, v7, v16
	v_add_co_u32 v9, vcc_lo, v9, v22
	s_delay_alu instid0(VALU_DEP_3) | instskip(NEXT) | instid1(VALU_DEP_3)
	v_add_co_ci_u32_e32 v10, vcc_lo, v10, v23, vcc_lo
	v_sub_nc_u32_e32 v20, v33, v27
	v_add_co_u32 v11, s0, s34, v30
	s_delay_alu instid0(VALU_DEP_4) | instskip(NEXT) | instid1(VALU_DEP_3)
	v_add_co_u32 v9, vcc_lo, v9, v1
	v_add_nc_u32_e32 v18, 12, v20
	v_add_co_ci_u32_e64 v12, null, s35, 0, s0
	v_add_co_ci_u32_e32 v10, vcc_lo, v10, v2, vcc_lo
	s_delay_alu instid0(VALU_DEP_3) | instskip(SKIP_1) | instid1(VALU_DEP_2)
	v_cndmask_b32_e64 v16, v18, v16, s33
	v_add_nc_u32_e32 v14, v5, v6
	v_cndmask_b32_e64 v7, v16, v7, s27
	s_delay_alu instid0(VALU_DEP_1)
	v_lshlrev_b32_e32 v7, 2, v7
	ds_store_b32 v7, v32
	v_sub_co_u32 v7, vcc_lo, v11, v9
	v_sub_co_ci_u32_e32 v13, vcc_lo, v12, v10, vcc_lo
	v_lshlrev_b64 v[9:10], 2, v[22:23]
	v_lshlrev_b64 v[11:12], 2, v[1:2]
	s_waitcnt lgkmcnt(0)
	s_barrier
	buffer_gl0_inv
	v_add_co_u32 v9, vcc_lo, s30, v9
	v_add_co_ci_u32_e32 v10, vcc_lo, s31, v10, vcc_lo
	v_cmp_ne_u32_e32 vcc_lo, 1, v31
	v_add_co_u32 v11, s0, s28, v11
	s_delay_alu instid0(VALU_DEP_1)
	v_add_co_ci_u32_e64 v12, s0, s29, v12, s0
	s_addc_u32 s0, s15, -1
	s_cbranch_vccz .LBB1171_137
; %bb.134:
	s_and_b32 vcc_lo, exec_lo, s3
	s_cbranch_vccnz .LBB1171_242
.LBB1171_135:
	s_and_b32 s0, s2, s13
	s_delay_alu instid0(SALU_CYCLE_1)
	s_and_saveexec_b32 s1, s0
	s_cbranch_execnz .LBB1171_360
.LBB1171_136:
	s_nop 0
	s_sendmsg sendmsg(MSG_DEALLOC_VGPRS)
	s_endpgm
.LBB1171_137:
	s_mov_b32 s3, exec_lo
	v_cmpx_le_u32_e64 v5, v0
	s_xor_b32 s3, exec_lo, s3
	s_cbranch_execz .LBB1171_143
; %bb.138:
	s_mov_b32 s5, exec_lo
	v_cmpx_le_u32_e64 v14, v0
	s_xor_b32 s5, exec_lo, s5
	s_cbranch_execz .LBB1171_140
; %bb.139:
	v_lshlrev_b32_e32 v15, 2, v0
	ds_load_b32 v17, v15
	v_add_co_u32 v15, vcc_lo, v7, v0
	v_add_co_ci_u32_e32 v16, vcc_lo, 0, v13, vcc_lo
	s_delay_alu instid0(VALU_DEP_1) | instskip(NEXT) | instid1(VALU_DEP_1)
	v_lshlrev_b64 v[15:16], 2, v[15:16]
	v_sub_co_u32 v15, vcc_lo, s14, v15
	s_delay_alu instid0(VALU_DEP_2)
	v_sub_co_ci_u32_e32 v16, vcc_lo, s15, v16, vcc_lo
	s_waitcnt lgkmcnt(0)
	global_store_b32 v[15:16], v17, off offset:-4
.LBB1171_140:
	s_and_not1_saveexec_b32 s5, s5
	s_cbranch_execz .LBB1171_142
; %bb.141:
	v_lshlrev_b32_e32 v15, 2, v0
	v_readfirstlane_b32 s6, v9
	v_readfirstlane_b32 s7, v10
	ds_load_b32 v16, v15
	s_waitcnt lgkmcnt(0)
	global_store_b32 v15, v16, s[6:7]
.LBB1171_142:
	s_or_b32 exec_lo, exec_lo, s5
.LBB1171_143:
	s_and_not1_saveexec_b32 s3, s3
	s_cbranch_execz .LBB1171_145
; %bb.144:
	v_lshlrev_b32_e32 v15, 2, v0
	v_readfirstlane_b32 s6, v11
	v_readfirstlane_b32 s7, v12
	ds_load_b32 v16, v15
	s_waitcnt lgkmcnt(0)
	global_store_b32 v15, v16, s[6:7]
.LBB1171_145:
	s_or_b32 exec_lo, exec_lo, s3
	v_or_b32_e32 v15, 0x100, v0
	s_mov_b32 s3, exec_lo
	s_delay_alu instid0(VALU_DEP_1)
	v_cmpx_le_u32_e64 v5, v15
	s_xor_b32 s3, exec_lo, s3
	s_cbranch_execz .LBB1171_151
; %bb.146:
	s_mov_b32 s5, exec_lo
	v_cmpx_le_u32_e64 v14, v15
	s_xor_b32 s5, exec_lo, s5
	s_cbranch_execz .LBB1171_148
; %bb.147:
	v_lshlrev_b32_e32 v15, 2, v0
	ds_load_b32 v17, v15 offset:1024
	v_add_co_u32 v15, vcc_lo, v7, v0
	v_add_co_ci_u32_e32 v16, vcc_lo, 0, v13, vcc_lo
	s_delay_alu instid0(VALU_DEP_1) | instskip(NEXT) | instid1(VALU_DEP_1)
	v_lshlrev_b64 v[15:16], 2, v[15:16]
	v_sub_co_u32 v15, vcc_lo, s1, v15
	s_delay_alu instid0(VALU_DEP_2)
	v_sub_co_ci_u32_e32 v16, vcc_lo, s0, v16, vcc_lo
	s_waitcnt lgkmcnt(0)
	global_store_b32 v[15:16], v17, off offset:-1024
.LBB1171_148:
	s_and_not1_saveexec_b32 s5, s5
	s_cbranch_execz .LBB1171_150
; %bb.149:
	v_lshlrev_b32_e32 v15, 2, v0
	v_readfirstlane_b32 s6, v9
	v_readfirstlane_b32 s7, v10
	ds_load_b32 v16, v15 offset:1024
	s_waitcnt lgkmcnt(0)
	global_store_b32 v15, v16, s[6:7] offset:1024
.LBB1171_150:
	s_or_b32 exec_lo, exec_lo, s5
.LBB1171_151:
	s_and_not1_saveexec_b32 s3, s3
	s_cbranch_execz .LBB1171_153
; %bb.152:
	v_lshlrev_b32_e32 v15, 2, v0
	v_readfirstlane_b32 s6, v11
	v_readfirstlane_b32 s7, v12
	ds_load_b32 v16, v15 offset:1024
	s_waitcnt lgkmcnt(0)
	global_store_b32 v15, v16, s[6:7] offset:1024
.LBB1171_153:
	s_or_b32 exec_lo, exec_lo, s3
	v_or_b32_e32 v15, 0x200, v0
	s_mov_b32 s3, exec_lo
	s_delay_alu instid0(VALU_DEP_1)
	v_cmpx_le_u32_e64 v5, v15
	s_xor_b32 s3, exec_lo, s3
	s_cbranch_execz .LBB1171_159
; %bb.154:
	s_mov_b32 s5, exec_lo
	v_cmpx_le_u32_e64 v14, v15
	s_xor_b32 s5, exec_lo, s5
	s_cbranch_execz .LBB1171_156
; %bb.155:
	v_lshlrev_b32_e32 v15, 2, v0
	ds_load_b32 v17, v15 offset:2048
	v_add_co_u32 v15, vcc_lo, v7, v0
	v_add_co_ci_u32_e32 v16, vcc_lo, 0, v13, vcc_lo
	s_delay_alu instid0(VALU_DEP_1) | instskip(NEXT) | instid1(VALU_DEP_1)
	v_lshlrev_b64 v[15:16], 2, v[15:16]
	v_sub_co_u32 v15, vcc_lo, s1, v15
	s_delay_alu instid0(VALU_DEP_2)
	v_sub_co_ci_u32_e32 v16, vcc_lo, s0, v16, vcc_lo
	s_waitcnt lgkmcnt(0)
	global_store_b32 v[15:16], v17, off offset:-2048
.LBB1171_156:
	s_and_not1_saveexec_b32 s5, s5
	s_cbranch_execz .LBB1171_158
; %bb.157:
	v_lshlrev_b32_e32 v15, 2, v0
	v_readfirstlane_b32 s6, v9
	v_readfirstlane_b32 s7, v10
	ds_load_b32 v16, v15 offset:2048
	s_waitcnt lgkmcnt(0)
	global_store_b32 v15, v16, s[6:7] offset:2048
.LBB1171_158:
	s_or_b32 exec_lo, exec_lo, s5
.LBB1171_159:
	s_and_not1_saveexec_b32 s3, s3
	s_cbranch_execz .LBB1171_161
; %bb.160:
	v_lshlrev_b32_e32 v15, 2, v0
	v_readfirstlane_b32 s6, v11
	v_readfirstlane_b32 s7, v12
	ds_load_b32 v16, v15 offset:2048
	s_waitcnt lgkmcnt(0)
	global_store_b32 v15, v16, s[6:7] offset:2048
.LBB1171_161:
	;; [unrolled: 47-line block ×3, first 2 shown]
	s_or_b32 exec_lo, exec_lo, s3
	v_or_b32_e32 v15, 0x400, v0
	s_mov_b32 s3, exec_lo
	s_delay_alu instid0(VALU_DEP_1)
	v_cmpx_le_u32_e64 v5, v15
	s_xor_b32 s3, exec_lo, s3
	s_cbranch_execz .LBB1171_175
; %bb.170:
	s_mov_b32 s5, exec_lo
	v_cmpx_le_u32_e64 v14, v15
	s_xor_b32 s5, exec_lo, s5
	s_cbranch_execz .LBB1171_172
; %bb.171:
	v_lshlrev_b32_e32 v15, 2, v0
	ds_load_b32 v17, v15 offset:4096
	v_add_co_u32 v15, vcc_lo, v7, v0
	v_add_co_ci_u32_e32 v16, vcc_lo, 0, v13, vcc_lo
	s_delay_alu instid0(VALU_DEP_1) | instskip(NEXT) | instid1(VALU_DEP_1)
	v_lshlrev_b64 v[15:16], 2, v[15:16]
	v_sub_co_u32 v15, vcc_lo, s1, v15
	s_delay_alu instid0(VALU_DEP_2)
	v_sub_co_ci_u32_e32 v16, vcc_lo, s0, v16, vcc_lo
	s_waitcnt lgkmcnt(0)
	global_store_b32 v[15:16], v17, off offset:-4096
                                        ; implicit-def: $vgpr15
.LBB1171_172:
	s_and_not1_saveexec_b32 s5, s5
	s_cbranch_execz .LBB1171_174
; %bb.173:
	v_lshlrev_b32_e32 v16, 2, v0
	v_lshlrev_b32_e32 v15, 2, v15
	v_readfirstlane_b32 s6, v9
	v_readfirstlane_b32 s7, v10
	ds_load_b32 v16, v16 offset:4096
	s_waitcnt lgkmcnt(0)
	global_store_b32 v15, v16, s[6:7]
.LBB1171_174:
	s_or_b32 exec_lo, exec_lo, s5
                                        ; implicit-def: $vgpr15
.LBB1171_175:
	s_and_not1_saveexec_b32 s3, s3
	s_cbranch_execz .LBB1171_177
; %bb.176:
	v_lshlrev_b32_e32 v16, 2, v0
	v_lshlrev_b32_e32 v15, 2, v15
	v_readfirstlane_b32 s6, v11
	v_readfirstlane_b32 s7, v12
	ds_load_b32 v16, v16 offset:4096
	s_waitcnt lgkmcnt(0)
	global_store_b32 v15, v16, s[6:7]
.LBB1171_177:
	s_or_b32 exec_lo, exec_lo, s3
	v_or_b32_e32 v15, 0x500, v0
	s_mov_b32 s3, exec_lo
	s_delay_alu instid0(VALU_DEP_1)
	v_cmpx_le_u32_e64 v5, v15
	s_xor_b32 s3, exec_lo, s3
	s_cbranch_execz .LBB1171_183
; %bb.178:
	s_mov_b32 s5, exec_lo
	v_cmpx_le_u32_e64 v14, v15
	s_xor_b32 s5, exec_lo, s5
	s_cbranch_execz .LBB1171_180
; %bb.179:
	v_lshlrev_b32_e32 v16, 2, v0
	v_add_co_u32 v15, vcc_lo, v7, v15
	ds_load_b32 v17, v16 offset:5120
	v_add_co_ci_u32_e32 v16, vcc_lo, 0, v13, vcc_lo
	s_delay_alu instid0(VALU_DEP_1) | instskip(NEXT) | instid1(VALU_DEP_1)
	v_lshlrev_b64 v[15:16], 2, v[15:16]
	v_sub_co_u32 v15, vcc_lo, s1, v15
	s_delay_alu instid0(VALU_DEP_2)
	v_sub_co_ci_u32_e32 v16, vcc_lo, s0, v16, vcc_lo
	s_waitcnt lgkmcnt(0)
	global_store_b32 v[15:16], v17, off
                                        ; implicit-def: $vgpr15
.LBB1171_180:
	s_and_not1_saveexec_b32 s5, s5
	s_cbranch_execz .LBB1171_182
; %bb.181:
	v_lshlrev_b32_e32 v16, 2, v0
	v_lshlrev_b32_e32 v15, 2, v15
	v_readfirstlane_b32 s6, v9
	v_readfirstlane_b32 s7, v10
	ds_load_b32 v16, v16 offset:5120
	s_waitcnt lgkmcnt(0)
	global_store_b32 v15, v16, s[6:7]
.LBB1171_182:
	s_or_b32 exec_lo, exec_lo, s5
                                        ; implicit-def: $vgpr15
.LBB1171_183:
	s_and_not1_saveexec_b32 s3, s3
	s_cbranch_execz .LBB1171_185
; %bb.184:
	v_lshlrev_b32_e32 v16, 2, v0
	v_lshlrev_b32_e32 v15, 2, v15
	v_readfirstlane_b32 s6, v11
	v_readfirstlane_b32 s7, v12
	ds_load_b32 v16, v16 offset:5120
	s_waitcnt lgkmcnt(0)
	global_store_b32 v15, v16, s[6:7]
.LBB1171_185:
	s_or_b32 exec_lo, exec_lo, s3
	v_or_b32_e32 v15, 0x600, v0
	s_mov_b32 s3, exec_lo
	s_delay_alu instid0(VALU_DEP_1)
	v_cmpx_le_u32_e64 v5, v15
	s_xor_b32 s3, exec_lo, s3
	s_cbranch_execz .LBB1171_191
; %bb.186:
	s_mov_b32 s5, exec_lo
	v_cmpx_le_u32_e64 v14, v15
	s_xor_b32 s5, exec_lo, s5
	s_cbranch_execz .LBB1171_188
; %bb.187:
	v_lshlrev_b32_e32 v16, 2, v0
	v_add_co_u32 v15, vcc_lo, v7, v15
	ds_load_b32 v17, v16 offset:6144
	v_add_co_ci_u32_e32 v16, vcc_lo, 0, v13, vcc_lo
	s_delay_alu instid0(VALU_DEP_1) | instskip(NEXT) | instid1(VALU_DEP_1)
	v_lshlrev_b64 v[15:16], 2, v[15:16]
	v_sub_co_u32 v15, vcc_lo, s1, v15
	s_delay_alu instid0(VALU_DEP_2)
	v_sub_co_ci_u32_e32 v16, vcc_lo, s0, v16, vcc_lo
	s_waitcnt lgkmcnt(0)
	global_store_b32 v[15:16], v17, off
                                        ; implicit-def: $vgpr15
.LBB1171_188:
	s_and_not1_saveexec_b32 s5, s5
	s_cbranch_execz .LBB1171_190
; %bb.189:
	v_lshlrev_b32_e32 v16, 2, v0
	v_lshlrev_b32_e32 v15, 2, v15
	v_readfirstlane_b32 s6, v9
	v_readfirstlane_b32 s7, v10
	ds_load_b32 v16, v16 offset:6144
	s_waitcnt lgkmcnt(0)
	global_store_b32 v15, v16, s[6:7]
.LBB1171_190:
	s_or_b32 exec_lo, exec_lo, s5
                                        ; implicit-def: $vgpr15
.LBB1171_191:
	;; [unrolled: 51-line block ×8, first 2 shown]
	s_and_not1_saveexec_b32 s3, s3
	s_cbranch_execz .LBB1171_241
; %bb.240:
	v_lshlrev_b32_e32 v16, 2, v0
	v_lshlrev_b32_e32 v15, 2, v15
	v_readfirstlane_b32 s6, v11
	v_readfirstlane_b32 s7, v12
	ds_load_b32 v16, v16 offset:12288
	s_waitcnt lgkmcnt(0)
	global_store_b32 v15, v16, s[6:7]
.LBB1171_241:
	s_or_b32 exec_lo, exec_lo, s3
	s_branch .LBB1171_135
.LBB1171_242:
	s_mov_b32 s3, exec_lo
	v_cmpx_gt_u32_e64 s4, v0
	s_cbranch_execz .LBB1171_251
; %bb.243:
	s_mov_b32 s5, exec_lo
	v_cmpx_le_u32_e64 v5, v0
	s_xor_b32 s5, exec_lo, s5
	s_cbranch_execz .LBB1171_249
; %bb.244:
	s_mov_b32 s6, exec_lo
	v_cmpx_le_u32_e64 v14, v0
	s_xor_b32 s6, exec_lo, s6
	s_cbranch_execz .LBB1171_246
; %bb.245:
	v_lshlrev_b32_e32 v15, 2, v0
	ds_load_b32 v17, v15
	v_add_co_u32 v15, vcc_lo, v7, v0
	v_add_co_ci_u32_e32 v16, vcc_lo, 0, v13, vcc_lo
	s_delay_alu instid0(VALU_DEP_1) | instskip(NEXT) | instid1(VALU_DEP_1)
	v_lshlrev_b64 v[15:16], 2, v[15:16]
	v_sub_co_u32 v15, vcc_lo, s14, v15
	s_delay_alu instid0(VALU_DEP_2)
	v_sub_co_ci_u32_e32 v16, vcc_lo, s15, v16, vcc_lo
	s_waitcnt lgkmcnt(0)
	global_store_b32 v[15:16], v17, off offset:-4
.LBB1171_246:
	s_and_not1_saveexec_b32 s6, s6
	s_cbranch_execz .LBB1171_248
; %bb.247:
	v_lshlrev_b32_e32 v15, 2, v0
	v_readfirstlane_b32 s8, v9
	v_readfirstlane_b32 s9, v10
	ds_load_b32 v16, v15
	s_waitcnt lgkmcnt(0)
	global_store_b32 v15, v16, s[8:9]
.LBB1171_248:
	s_or_b32 exec_lo, exec_lo, s6
.LBB1171_249:
	s_and_not1_saveexec_b32 s5, s5
	s_cbranch_execz .LBB1171_251
; %bb.250:
	v_lshlrev_b32_e32 v15, 2, v0
	v_readfirstlane_b32 s6, v11
	v_readfirstlane_b32 s7, v12
	ds_load_b32 v16, v15
	s_waitcnt lgkmcnt(0)
	global_store_b32 v15, v16, s[6:7]
.LBB1171_251:
	s_or_b32 exec_lo, exec_lo, s3
	v_or_b32_e32 v15, 0x100, v0
	s_mov_b32 s3, exec_lo
	s_delay_alu instid0(VALU_DEP_1)
	v_cmpx_gt_u32_e64 s4, v15
	s_cbranch_execz .LBB1171_260
; %bb.252:
	s_mov_b32 s5, exec_lo
	v_cmpx_le_u32_e64 v5, v15
	s_xor_b32 s5, exec_lo, s5
	s_cbranch_execz .LBB1171_258
; %bb.253:
	s_mov_b32 s6, exec_lo
	v_cmpx_le_u32_e64 v14, v15
	s_xor_b32 s6, exec_lo, s6
	s_cbranch_execz .LBB1171_255
; %bb.254:
	v_lshlrev_b32_e32 v15, 2, v0
	ds_load_b32 v17, v15 offset:1024
	v_add_co_u32 v15, vcc_lo, v7, v0
	v_add_co_ci_u32_e32 v16, vcc_lo, 0, v13, vcc_lo
	s_delay_alu instid0(VALU_DEP_1) | instskip(NEXT) | instid1(VALU_DEP_1)
	v_lshlrev_b64 v[15:16], 2, v[15:16]
	v_sub_co_u32 v15, vcc_lo, s1, v15
	s_delay_alu instid0(VALU_DEP_2)
	v_sub_co_ci_u32_e32 v16, vcc_lo, s0, v16, vcc_lo
	s_waitcnt lgkmcnt(0)
	global_store_b32 v[15:16], v17, off offset:-1024
.LBB1171_255:
	s_and_not1_saveexec_b32 s6, s6
	s_cbranch_execz .LBB1171_257
; %bb.256:
	v_lshlrev_b32_e32 v15, 2, v0
	v_readfirstlane_b32 s8, v9
	v_readfirstlane_b32 s9, v10
	ds_load_b32 v16, v15 offset:1024
	s_waitcnt lgkmcnt(0)
	global_store_b32 v15, v16, s[8:9] offset:1024
.LBB1171_257:
	s_or_b32 exec_lo, exec_lo, s6
.LBB1171_258:
	s_and_not1_saveexec_b32 s5, s5
	s_cbranch_execz .LBB1171_260
; %bb.259:
	v_lshlrev_b32_e32 v15, 2, v0
	v_readfirstlane_b32 s6, v11
	v_readfirstlane_b32 s7, v12
	ds_load_b32 v16, v15 offset:1024
	s_waitcnt lgkmcnt(0)
	global_store_b32 v15, v16, s[6:7] offset:1024
.LBB1171_260:
	s_or_b32 exec_lo, exec_lo, s3
	v_or_b32_e32 v15, 0x200, v0
	s_mov_b32 s3, exec_lo
	s_delay_alu instid0(VALU_DEP_1)
	v_cmpx_gt_u32_e64 s4, v15
	s_cbranch_execz .LBB1171_269
; %bb.261:
	s_mov_b32 s5, exec_lo
	v_cmpx_le_u32_e64 v5, v15
	s_xor_b32 s5, exec_lo, s5
	s_cbranch_execz .LBB1171_267
; %bb.262:
	s_mov_b32 s6, exec_lo
	v_cmpx_le_u32_e64 v14, v15
	s_xor_b32 s6, exec_lo, s6
	s_cbranch_execz .LBB1171_264
; %bb.263:
	v_lshlrev_b32_e32 v15, 2, v0
	ds_load_b32 v17, v15 offset:2048
	v_add_co_u32 v15, vcc_lo, v7, v0
	v_add_co_ci_u32_e32 v16, vcc_lo, 0, v13, vcc_lo
	s_delay_alu instid0(VALU_DEP_1) | instskip(NEXT) | instid1(VALU_DEP_1)
	v_lshlrev_b64 v[15:16], 2, v[15:16]
	v_sub_co_u32 v15, vcc_lo, s1, v15
	s_delay_alu instid0(VALU_DEP_2)
	v_sub_co_ci_u32_e32 v16, vcc_lo, s0, v16, vcc_lo
	s_waitcnt lgkmcnt(0)
	global_store_b32 v[15:16], v17, off offset:-2048
.LBB1171_264:
	s_and_not1_saveexec_b32 s6, s6
	s_cbranch_execz .LBB1171_266
; %bb.265:
	v_lshlrev_b32_e32 v15, 2, v0
	v_readfirstlane_b32 s8, v9
	v_readfirstlane_b32 s9, v10
	ds_load_b32 v16, v15 offset:2048
	s_waitcnt lgkmcnt(0)
	global_store_b32 v15, v16, s[8:9] offset:2048
.LBB1171_266:
	s_or_b32 exec_lo, exec_lo, s6
.LBB1171_267:
	s_and_not1_saveexec_b32 s5, s5
	s_cbranch_execz .LBB1171_269
; %bb.268:
	v_lshlrev_b32_e32 v15, 2, v0
	v_readfirstlane_b32 s6, v11
	v_readfirstlane_b32 s7, v12
	ds_load_b32 v16, v15 offset:2048
	s_waitcnt lgkmcnt(0)
	global_store_b32 v15, v16, s[6:7] offset:2048
.LBB1171_269:
	;; [unrolled: 51-line block ×3, first 2 shown]
	s_or_b32 exec_lo, exec_lo, s3
	v_or_b32_e32 v15, 0x400, v0
	s_mov_b32 s3, exec_lo
	s_delay_alu instid0(VALU_DEP_1)
	v_cmpx_gt_u32_e64 s4, v15
	s_cbranch_execz .LBB1171_287
; %bb.279:
	s_mov_b32 s5, exec_lo
	v_cmpx_le_u32_e64 v5, v15
	s_xor_b32 s5, exec_lo, s5
	s_cbranch_execz .LBB1171_285
; %bb.280:
	s_mov_b32 s6, exec_lo
	v_cmpx_le_u32_e64 v14, v15
	s_xor_b32 s6, exec_lo, s6
	s_cbranch_execz .LBB1171_282
; %bb.281:
	v_lshlrev_b32_e32 v15, 2, v0
	ds_load_b32 v17, v15 offset:4096
	v_add_co_u32 v15, vcc_lo, v7, v0
	v_add_co_ci_u32_e32 v16, vcc_lo, 0, v13, vcc_lo
	s_delay_alu instid0(VALU_DEP_1) | instskip(NEXT) | instid1(VALU_DEP_1)
	v_lshlrev_b64 v[15:16], 2, v[15:16]
	v_sub_co_u32 v15, vcc_lo, s1, v15
	s_delay_alu instid0(VALU_DEP_2)
	v_sub_co_ci_u32_e32 v16, vcc_lo, s0, v16, vcc_lo
	s_waitcnt lgkmcnt(0)
	global_store_b32 v[15:16], v17, off offset:-4096
                                        ; implicit-def: $vgpr15
.LBB1171_282:
	s_and_not1_saveexec_b32 s6, s6
	s_cbranch_execz .LBB1171_284
; %bb.283:
	v_lshlrev_b32_e32 v16, 2, v0
	v_lshlrev_b32_e32 v15, 2, v15
	v_readfirstlane_b32 s8, v9
	v_readfirstlane_b32 s9, v10
	ds_load_b32 v16, v16 offset:4096
	s_waitcnt lgkmcnt(0)
	global_store_b32 v15, v16, s[8:9]
.LBB1171_284:
	s_or_b32 exec_lo, exec_lo, s6
                                        ; implicit-def: $vgpr15
.LBB1171_285:
	s_and_not1_saveexec_b32 s5, s5
	s_cbranch_execz .LBB1171_287
; %bb.286:
	v_lshlrev_b32_e32 v16, 2, v0
	v_lshlrev_b32_e32 v15, 2, v15
	v_readfirstlane_b32 s6, v11
	v_readfirstlane_b32 s7, v12
	ds_load_b32 v16, v16 offset:4096
	s_waitcnt lgkmcnt(0)
	global_store_b32 v15, v16, s[6:7]
.LBB1171_287:
	s_or_b32 exec_lo, exec_lo, s3
	v_or_b32_e32 v15, 0x500, v0
	s_mov_b32 s3, exec_lo
	s_delay_alu instid0(VALU_DEP_1)
	v_cmpx_gt_u32_e64 s4, v15
	s_cbranch_execz .LBB1171_296
; %bb.288:
	s_mov_b32 s5, exec_lo
	v_cmpx_le_u32_e64 v5, v15
	s_xor_b32 s5, exec_lo, s5
	s_cbranch_execz .LBB1171_294
; %bb.289:
	s_mov_b32 s6, exec_lo
	v_cmpx_le_u32_e64 v14, v15
	s_xor_b32 s6, exec_lo, s6
	s_cbranch_execz .LBB1171_291
; %bb.290:
	v_lshlrev_b32_e32 v16, 2, v0
	v_add_co_u32 v15, vcc_lo, v7, v15
	ds_load_b32 v17, v16 offset:5120
	v_add_co_ci_u32_e32 v16, vcc_lo, 0, v13, vcc_lo
	s_delay_alu instid0(VALU_DEP_1) | instskip(NEXT) | instid1(VALU_DEP_1)
	v_lshlrev_b64 v[15:16], 2, v[15:16]
	v_sub_co_u32 v15, vcc_lo, s1, v15
	s_delay_alu instid0(VALU_DEP_2)
	v_sub_co_ci_u32_e32 v16, vcc_lo, s0, v16, vcc_lo
	s_waitcnt lgkmcnt(0)
	global_store_b32 v[15:16], v17, off
                                        ; implicit-def: $vgpr15
.LBB1171_291:
	s_and_not1_saveexec_b32 s6, s6
	s_cbranch_execz .LBB1171_293
; %bb.292:
	v_lshlrev_b32_e32 v16, 2, v0
	v_lshlrev_b32_e32 v15, 2, v15
	v_readfirstlane_b32 s8, v9
	v_readfirstlane_b32 s9, v10
	ds_load_b32 v16, v16 offset:5120
	s_waitcnt lgkmcnt(0)
	global_store_b32 v15, v16, s[8:9]
.LBB1171_293:
	s_or_b32 exec_lo, exec_lo, s6
                                        ; implicit-def: $vgpr15
.LBB1171_294:
	s_and_not1_saveexec_b32 s5, s5
	s_cbranch_execz .LBB1171_296
; %bb.295:
	v_lshlrev_b32_e32 v16, 2, v0
	v_lshlrev_b32_e32 v15, 2, v15
	v_readfirstlane_b32 s6, v11
	v_readfirstlane_b32 s7, v12
	ds_load_b32 v16, v16 offset:5120
	s_waitcnt lgkmcnt(0)
	global_store_b32 v15, v16, s[6:7]
.LBB1171_296:
	s_or_b32 exec_lo, exec_lo, s3
	v_or_b32_e32 v15, 0x600, v0
	s_mov_b32 s3, exec_lo
	s_delay_alu instid0(VALU_DEP_1)
	v_cmpx_gt_u32_e64 s4, v15
	s_cbranch_execz .LBB1171_305
; %bb.297:
	s_mov_b32 s5, exec_lo
	v_cmpx_le_u32_e64 v5, v15
	s_xor_b32 s5, exec_lo, s5
	s_cbranch_execz .LBB1171_303
; %bb.298:
	s_mov_b32 s6, exec_lo
	v_cmpx_le_u32_e64 v14, v15
	s_xor_b32 s6, exec_lo, s6
	s_cbranch_execz .LBB1171_300
; %bb.299:
	v_lshlrev_b32_e32 v16, 2, v0
	v_add_co_u32 v15, vcc_lo, v7, v15
	ds_load_b32 v17, v16 offset:6144
	v_add_co_ci_u32_e32 v16, vcc_lo, 0, v13, vcc_lo
	s_delay_alu instid0(VALU_DEP_1) | instskip(NEXT) | instid1(VALU_DEP_1)
	v_lshlrev_b64 v[15:16], 2, v[15:16]
	v_sub_co_u32 v15, vcc_lo, s1, v15
	s_delay_alu instid0(VALU_DEP_2)
	v_sub_co_ci_u32_e32 v16, vcc_lo, s0, v16, vcc_lo
	s_waitcnt lgkmcnt(0)
	global_store_b32 v[15:16], v17, off
                                        ; implicit-def: $vgpr15
.LBB1171_300:
	s_and_not1_saveexec_b32 s6, s6
	s_cbranch_execz .LBB1171_302
; %bb.301:
	v_lshlrev_b32_e32 v16, 2, v0
	v_lshlrev_b32_e32 v15, 2, v15
	v_readfirstlane_b32 s8, v9
	v_readfirstlane_b32 s9, v10
	ds_load_b32 v16, v16 offset:6144
	s_waitcnt lgkmcnt(0)
	global_store_b32 v15, v16, s[8:9]
.LBB1171_302:
	s_or_b32 exec_lo, exec_lo, s6
                                        ; implicit-def: $vgpr15
.LBB1171_303:
	s_and_not1_saveexec_b32 s5, s5
	s_cbranch_execz .LBB1171_305
; %bb.304:
	v_lshlrev_b32_e32 v16, 2, v0
	v_lshlrev_b32_e32 v15, 2, v15
	v_readfirstlane_b32 s6, v11
	v_readfirstlane_b32 s7, v12
	ds_load_b32 v16, v16 offset:6144
	s_waitcnt lgkmcnt(0)
	global_store_b32 v15, v16, s[6:7]
.LBB1171_305:
	;; [unrolled: 55-line block ×7, first 2 shown]
	s_or_b32 exec_lo, exec_lo, s3
	v_or_b32_e32 v15, 0xc00, v0
	s_mov_b32 s3, exec_lo
	s_delay_alu instid0(VALU_DEP_1)
	v_cmpx_gt_u32_e64 s4, v15
	s_cbranch_execz .LBB1171_359
; %bb.351:
	s_mov_b32 s4, exec_lo
	v_cmpx_le_u32_e64 v5, v15
	s_xor_b32 s4, exec_lo, s4
	s_cbranch_execz .LBB1171_357
; %bb.352:
	s_mov_b32 s5, exec_lo
	v_cmpx_le_u32_e64 v14, v15
	s_xor_b32 s5, exec_lo, s5
	s_cbranch_execz .LBB1171_354
; %bb.353:
	v_lshlrev_b32_e32 v0, 2, v0
	v_add_co_u32 v9, vcc_lo, v7, v15
	v_add_co_ci_u32_e32 v10, vcc_lo, 0, v13, vcc_lo
	ds_load_b32 v0, v0 offset:12288
                                        ; implicit-def: $vgpr15
	v_lshlrev_b64 v[9:10], 2, v[9:10]
	s_delay_alu instid0(VALU_DEP_1) | instskip(NEXT) | instid1(VALU_DEP_2)
	v_sub_co_u32 v9, vcc_lo, s1, v9
	v_sub_co_ci_u32_e32 v10, vcc_lo, s0, v10, vcc_lo
	s_waitcnt lgkmcnt(0)
	global_store_b32 v[9:10], v0, off
                                        ; implicit-def: $vgpr0
                                        ; implicit-def: $vgpr9_vgpr10
.LBB1171_354:
	s_and_not1_saveexec_b32 s0, s5
	s_cbranch_execz .LBB1171_356
; %bb.355:
	v_lshlrev_b32_e32 v0, 2, v0
	v_lshlrev_b32_e32 v7, 2, v15
	v_readfirstlane_b32 s6, v9
	v_readfirstlane_b32 s7, v10
	ds_load_b32 v0, v0 offset:12288
	s_waitcnt lgkmcnt(0)
	global_store_b32 v7, v0, s[6:7]
.LBB1171_356:
	s_or_b32 exec_lo, exec_lo, s0
                                        ; implicit-def: $vgpr0
                                        ; implicit-def: $vgpr15
                                        ; implicit-def: $vgpr11_vgpr12
.LBB1171_357:
	s_and_not1_saveexec_b32 s0, s4
	s_cbranch_execz .LBB1171_359
; %bb.358:
	v_lshlrev_b32_e32 v0, 2, v0
	v_lshlrev_b32_e32 v7, 2, v15
	v_readfirstlane_b32 s0, v11
	v_readfirstlane_b32 s1, v12
	ds_load_b32 v0, v0 offset:12288
	s_waitcnt lgkmcnt(0)
	global_store_b32 v7, v0, s[0:1]
.LBB1171_359:
	s_or_b32 exec_lo, exec_lo, s3
	s_and_b32 s0, s2, s13
	s_delay_alu instid0(SALU_CYCLE_1)
	s_and_saveexec_b32 s1, s0
	s_cbranch_execz .LBB1171_136
.LBB1171_360:
	v_add_co_u32 v3, vcc_lo, v3, v6
	v_add_co_ci_u32_e32 v4, vcc_lo, 0, v4, vcc_lo
	v_add_co_u32 v0, vcc_lo, v1, v5
	v_add_co_ci_u32_e32 v1, vcc_lo, 0, v2, vcc_lo
	s_delay_alu instid0(VALU_DEP_4)
	v_add_co_u32 v2, vcc_lo, v3, v8
	v_mov_b32_e32 v7, 0
	v_add_co_ci_u32_e32 v3, vcc_lo, 0, v4, vcc_lo
	global_store_b128 v7, v[0:3], s[24:25]
	s_nop 0
	s_sendmsg sendmsg(MSG_DEALLOC_VGPRS)
	s_endpgm
.LBB1171_361:
	v_add_nc_u32_e32 v7, s6, v27
	s_add_i32 s8, s26, 32
	s_mov_b32 s9, 0
	v_dual_mov_b32 v9, 0 :: v_dual_add_nc_u32 v6, v26, v5
	s_lshl_b64 s[8:9], s[8:9], 4
	v_and_b32_e32 v24, 0xff0000, v7
	s_add_u32 s8, s36, s8
	s_addc_u32 s9, s37, s9
	v_and_b32_e32 v8, 0xff000000, v7
	s_delay_alu instid0(VALU_DEP_1) | instskip(SKIP_2) | instid1(VALU_DEP_1)
	v_or_b32_e32 v24, v24, v8
	v_dual_mov_b32 v8, 2 :: v_dual_and_b32 v25, 0xff00, v7
	v_and_b32_e32 v7, 0xff, v7
	v_or3_b32 v7, v24, v25, v7
	v_dual_mov_b32 v25, s9 :: v_dual_mov_b32 v24, s8
	;;#ASMSTART
	global_store_dwordx4 v[24:25], v[6:9] off	
s_waitcnt vmcnt(0)
	;;#ASMEND
	s_or_b32 exec_lo, exec_lo, s7
	s_and_saveexec_b32 s7, s3
	s_cbranch_execz .LBB1171_120
.LBB1171_362:
	v_mov_b32_e32 v6, s6
	v_add_nc_u32_e64 v7, 0x3400, 0
	ds_store_2addr_b32 v7, v5, v6 offset1:2
	ds_store_2addr_b32 v7, v26, v27 offset0:4 offset1:6
	s_or_b32 exec_lo, exec_lo, s7
	s_delay_alu instid0(SALU_CYCLE_1)
	s_and_b32 exec_lo, exec_lo, s2
	s_cbranch_execnz .LBB1171_121
	s_branch .LBB1171_122
	.section	.rodata,"a",@progbits
	.p2align	6, 0x0
	.amdhsa_kernel _ZN7rocprim17ROCPRIM_400000_NS6detail17trampoline_kernelINS0_13select_configILj256ELj13ELNS0_17block_load_methodE3ELS4_3ELS4_3ELNS0_20block_scan_algorithmE0ELj4294967295EEENS1_25partition_config_selectorILNS1_17partition_subalgoE4EjNS0_10empty_typeEbEEZZNS1_14partition_implILS8_4ELb0ES6_15HIP_vector_typeIjLj2EENS0_17counting_iteratorIjlEEPS9_SG_NS0_5tupleIJPjSI_NS0_16reverse_iteratorISI_EEEEENSH_IJSG_SG_SG_EEES9_SI_JZNS1_25segmented_radix_sort_implINS0_14default_configELb0EPKdPdPKlPlN2at6native12_GLOBAL__N_18offset_tEEE10hipError_tPvRmT1_PNSt15iterator_traitsIS12_E10value_typeET2_T3_PNS13_IS18_E10value_typeET4_jRbjT5_S1E_jjP12ihipStream_tbEUljE_ZNSN_ISO_Lb0ESQ_SR_ST_SU_SY_EESZ_S10_S11_S12_S16_S17_S18_S1B_S1C_jS1D_jS1E_S1E_jjS1G_bEUljE0_EEESZ_S10_S11_S18_S1C_S1E_T6_T7_T9_mT8_S1G_bDpT10_ENKUlT_T0_E_clISt17integral_constantIbLb1EES1U_EEDaS1P_S1Q_EUlS1P_E_NS1_11comp_targetILNS1_3genE9ELNS1_11target_archE1100ELNS1_3gpuE3ELNS1_3repE0EEENS1_30default_config_static_selectorELNS0_4arch9wavefront6targetE0EEEvS12_
		.amdhsa_group_segment_fixed_size 13340
		.amdhsa_private_segment_fixed_size 0
		.amdhsa_kernarg_size 184
		.amdhsa_user_sgpr_count 15
		.amdhsa_user_sgpr_dispatch_ptr 0
		.amdhsa_user_sgpr_queue_ptr 0
		.amdhsa_user_sgpr_kernarg_segment_ptr 1
		.amdhsa_user_sgpr_dispatch_id 0
		.amdhsa_user_sgpr_private_segment_size 0
		.amdhsa_wavefront_size32 1
		.amdhsa_uses_dynamic_stack 0
		.amdhsa_enable_private_segment 0
		.amdhsa_system_sgpr_workgroup_id_x 1
		.amdhsa_system_sgpr_workgroup_id_y 0
		.amdhsa_system_sgpr_workgroup_id_z 0
		.amdhsa_system_sgpr_workgroup_info 0
		.amdhsa_system_vgpr_workitem_id 0
		.amdhsa_next_free_vgpr 103
		.amdhsa_next_free_sgpr 55
		.amdhsa_reserve_vcc 1
		.amdhsa_float_round_mode_32 0
		.amdhsa_float_round_mode_16_64 0
		.amdhsa_float_denorm_mode_32 3
		.amdhsa_float_denorm_mode_16_64 3
		.amdhsa_dx10_clamp 1
		.amdhsa_ieee_mode 1
		.amdhsa_fp16_overflow 0
		.amdhsa_workgroup_processor_mode 1
		.amdhsa_memory_ordered 1
		.amdhsa_forward_progress 0
		.amdhsa_shared_vgpr_count 0
		.amdhsa_exception_fp_ieee_invalid_op 0
		.amdhsa_exception_fp_denorm_src 0
		.amdhsa_exception_fp_ieee_div_zero 0
		.amdhsa_exception_fp_ieee_overflow 0
		.amdhsa_exception_fp_ieee_underflow 0
		.amdhsa_exception_fp_ieee_inexact 0
		.amdhsa_exception_int_div_zero 0
	.end_amdhsa_kernel
	.section	.text._ZN7rocprim17ROCPRIM_400000_NS6detail17trampoline_kernelINS0_13select_configILj256ELj13ELNS0_17block_load_methodE3ELS4_3ELS4_3ELNS0_20block_scan_algorithmE0ELj4294967295EEENS1_25partition_config_selectorILNS1_17partition_subalgoE4EjNS0_10empty_typeEbEEZZNS1_14partition_implILS8_4ELb0ES6_15HIP_vector_typeIjLj2EENS0_17counting_iteratorIjlEEPS9_SG_NS0_5tupleIJPjSI_NS0_16reverse_iteratorISI_EEEEENSH_IJSG_SG_SG_EEES9_SI_JZNS1_25segmented_radix_sort_implINS0_14default_configELb0EPKdPdPKlPlN2at6native12_GLOBAL__N_18offset_tEEE10hipError_tPvRmT1_PNSt15iterator_traitsIS12_E10value_typeET2_T3_PNS13_IS18_E10value_typeET4_jRbjT5_S1E_jjP12ihipStream_tbEUljE_ZNSN_ISO_Lb0ESQ_SR_ST_SU_SY_EESZ_S10_S11_S12_S16_S17_S18_S1B_S1C_jS1D_jS1E_S1E_jjS1G_bEUljE0_EEESZ_S10_S11_S18_S1C_S1E_T6_T7_T9_mT8_S1G_bDpT10_ENKUlT_T0_E_clISt17integral_constantIbLb1EES1U_EEDaS1P_S1Q_EUlS1P_E_NS1_11comp_targetILNS1_3genE9ELNS1_11target_archE1100ELNS1_3gpuE3ELNS1_3repE0EEENS1_30default_config_static_selectorELNS0_4arch9wavefront6targetE0EEEvS12_,"axG",@progbits,_ZN7rocprim17ROCPRIM_400000_NS6detail17trampoline_kernelINS0_13select_configILj256ELj13ELNS0_17block_load_methodE3ELS4_3ELS4_3ELNS0_20block_scan_algorithmE0ELj4294967295EEENS1_25partition_config_selectorILNS1_17partition_subalgoE4EjNS0_10empty_typeEbEEZZNS1_14partition_implILS8_4ELb0ES6_15HIP_vector_typeIjLj2EENS0_17counting_iteratorIjlEEPS9_SG_NS0_5tupleIJPjSI_NS0_16reverse_iteratorISI_EEEEENSH_IJSG_SG_SG_EEES9_SI_JZNS1_25segmented_radix_sort_implINS0_14default_configELb0EPKdPdPKlPlN2at6native12_GLOBAL__N_18offset_tEEE10hipError_tPvRmT1_PNSt15iterator_traitsIS12_E10value_typeET2_T3_PNS13_IS18_E10value_typeET4_jRbjT5_S1E_jjP12ihipStream_tbEUljE_ZNSN_ISO_Lb0ESQ_SR_ST_SU_SY_EESZ_S10_S11_S12_S16_S17_S18_S1B_S1C_jS1D_jS1E_S1E_jjS1G_bEUljE0_EEESZ_S10_S11_S18_S1C_S1E_T6_T7_T9_mT8_S1G_bDpT10_ENKUlT_T0_E_clISt17integral_constantIbLb1EES1U_EEDaS1P_S1Q_EUlS1P_E_NS1_11comp_targetILNS1_3genE9ELNS1_11target_archE1100ELNS1_3gpuE3ELNS1_3repE0EEENS1_30default_config_static_selectorELNS0_4arch9wavefront6targetE0EEEvS12_,comdat
.Lfunc_end1171:
	.size	_ZN7rocprim17ROCPRIM_400000_NS6detail17trampoline_kernelINS0_13select_configILj256ELj13ELNS0_17block_load_methodE3ELS4_3ELS4_3ELNS0_20block_scan_algorithmE0ELj4294967295EEENS1_25partition_config_selectorILNS1_17partition_subalgoE4EjNS0_10empty_typeEbEEZZNS1_14partition_implILS8_4ELb0ES6_15HIP_vector_typeIjLj2EENS0_17counting_iteratorIjlEEPS9_SG_NS0_5tupleIJPjSI_NS0_16reverse_iteratorISI_EEEEENSH_IJSG_SG_SG_EEES9_SI_JZNS1_25segmented_radix_sort_implINS0_14default_configELb0EPKdPdPKlPlN2at6native12_GLOBAL__N_18offset_tEEE10hipError_tPvRmT1_PNSt15iterator_traitsIS12_E10value_typeET2_T3_PNS13_IS18_E10value_typeET4_jRbjT5_S1E_jjP12ihipStream_tbEUljE_ZNSN_ISO_Lb0ESQ_SR_ST_SU_SY_EESZ_S10_S11_S12_S16_S17_S18_S1B_S1C_jS1D_jS1E_S1E_jjS1G_bEUljE0_EEESZ_S10_S11_S18_S1C_S1E_T6_T7_T9_mT8_S1G_bDpT10_ENKUlT_T0_E_clISt17integral_constantIbLb1EES1U_EEDaS1P_S1Q_EUlS1P_E_NS1_11comp_targetILNS1_3genE9ELNS1_11target_archE1100ELNS1_3gpuE3ELNS1_3repE0EEENS1_30default_config_static_selectorELNS0_4arch9wavefront6targetE0EEEvS12_, .Lfunc_end1171-_ZN7rocprim17ROCPRIM_400000_NS6detail17trampoline_kernelINS0_13select_configILj256ELj13ELNS0_17block_load_methodE3ELS4_3ELS4_3ELNS0_20block_scan_algorithmE0ELj4294967295EEENS1_25partition_config_selectorILNS1_17partition_subalgoE4EjNS0_10empty_typeEbEEZZNS1_14partition_implILS8_4ELb0ES6_15HIP_vector_typeIjLj2EENS0_17counting_iteratorIjlEEPS9_SG_NS0_5tupleIJPjSI_NS0_16reverse_iteratorISI_EEEEENSH_IJSG_SG_SG_EEES9_SI_JZNS1_25segmented_radix_sort_implINS0_14default_configELb0EPKdPdPKlPlN2at6native12_GLOBAL__N_18offset_tEEE10hipError_tPvRmT1_PNSt15iterator_traitsIS12_E10value_typeET2_T3_PNS13_IS18_E10value_typeET4_jRbjT5_S1E_jjP12ihipStream_tbEUljE_ZNSN_ISO_Lb0ESQ_SR_ST_SU_SY_EESZ_S10_S11_S12_S16_S17_S18_S1B_S1C_jS1D_jS1E_S1E_jjS1G_bEUljE0_EEESZ_S10_S11_S18_S1C_S1E_T6_T7_T9_mT8_S1G_bDpT10_ENKUlT_T0_E_clISt17integral_constantIbLb1EES1U_EEDaS1P_S1Q_EUlS1P_E_NS1_11comp_targetILNS1_3genE9ELNS1_11target_archE1100ELNS1_3gpuE3ELNS1_3repE0EEENS1_30default_config_static_selectorELNS0_4arch9wavefront6targetE0EEEvS12_
                                        ; -- End function
	.section	.AMDGPU.csdata,"",@progbits
; Kernel info:
; codeLenInByte = 15160
; NumSgprs: 57
; NumVgprs: 103
; ScratchSize: 0
; MemoryBound: 0
; FloatMode: 240
; IeeeMode: 1
; LDSByteSize: 13340 bytes/workgroup (compile time only)
; SGPRBlocks: 7
; VGPRBlocks: 12
; NumSGPRsForWavesPerEU: 57
; NumVGPRsForWavesPerEU: 103
; Occupancy: 12
; WaveLimiterHint : 1
; COMPUTE_PGM_RSRC2:SCRATCH_EN: 0
; COMPUTE_PGM_RSRC2:USER_SGPR: 15
; COMPUTE_PGM_RSRC2:TRAP_HANDLER: 0
; COMPUTE_PGM_RSRC2:TGID_X_EN: 1
; COMPUTE_PGM_RSRC2:TGID_Y_EN: 0
; COMPUTE_PGM_RSRC2:TGID_Z_EN: 0
; COMPUTE_PGM_RSRC2:TIDIG_COMP_CNT: 0
	.section	.text._ZN7rocprim17ROCPRIM_400000_NS6detail17trampoline_kernelINS0_13select_configILj256ELj13ELNS0_17block_load_methodE3ELS4_3ELS4_3ELNS0_20block_scan_algorithmE0ELj4294967295EEENS1_25partition_config_selectorILNS1_17partition_subalgoE4EjNS0_10empty_typeEbEEZZNS1_14partition_implILS8_4ELb0ES6_15HIP_vector_typeIjLj2EENS0_17counting_iteratorIjlEEPS9_SG_NS0_5tupleIJPjSI_NS0_16reverse_iteratorISI_EEEEENSH_IJSG_SG_SG_EEES9_SI_JZNS1_25segmented_radix_sort_implINS0_14default_configELb0EPKdPdPKlPlN2at6native12_GLOBAL__N_18offset_tEEE10hipError_tPvRmT1_PNSt15iterator_traitsIS12_E10value_typeET2_T3_PNS13_IS18_E10value_typeET4_jRbjT5_S1E_jjP12ihipStream_tbEUljE_ZNSN_ISO_Lb0ESQ_SR_ST_SU_SY_EESZ_S10_S11_S12_S16_S17_S18_S1B_S1C_jS1D_jS1E_S1E_jjS1G_bEUljE0_EEESZ_S10_S11_S18_S1C_S1E_T6_T7_T9_mT8_S1G_bDpT10_ENKUlT_T0_E_clISt17integral_constantIbLb1EES1U_EEDaS1P_S1Q_EUlS1P_E_NS1_11comp_targetILNS1_3genE8ELNS1_11target_archE1030ELNS1_3gpuE2ELNS1_3repE0EEENS1_30default_config_static_selectorELNS0_4arch9wavefront6targetE0EEEvS12_,"axG",@progbits,_ZN7rocprim17ROCPRIM_400000_NS6detail17trampoline_kernelINS0_13select_configILj256ELj13ELNS0_17block_load_methodE3ELS4_3ELS4_3ELNS0_20block_scan_algorithmE0ELj4294967295EEENS1_25partition_config_selectorILNS1_17partition_subalgoE4EjNS0_10empty_typeEbEEZZNS1_14partition_implILS8_4ELb0ES6_15HIP_vector_typeIjLj2EENS0_17counting_iteratorIjlEEPS9_SG_NS0_5tupleIJPjSI_NS0_16reverse_iteratorISI_EEEEENSH_IJSG_SG_SG_EEES9_SI_JZNS1_25segmented_radix_sort_implINS0_14default_configELb0EPKdPdPKlPlN2at6native12_GLOBAL__N_18offset_tEEE10hipError_tPvRmT1_PNSt15iterator_traitsIS12_E10value_typeET2_T3_PNS13_IS18_E10value_typeET4_jRbjT5_S1E_jjP12ihipStream_tbEUljE_ZNSN_ISO_Lb0ESQ_SR_ST_SU_SY_EESZ_S10_S11_S12_S16_S17_S18_S1B_S1C_jS1D_jS1E_S1E_jjS1G_bEUljE0_EEESZ_S10_S11_S18_S1C_S1E_T6_T7_T9_mT8_S1G_bDpT10_ENKUlT_T0_E_clISt17integral_constantIbLb1EES1U_EEDaS1P_S1Q_EUlS1P_E_NS1_11comp_targetILNS1_3genE8ELNS1_11target_archE1030ELNS1_3gpuE2ELNS1_3repE0EEENS1_30default_config_static_selectorELNS0_4arch9wavefront6targetE0EEEvS12_,comdat
	.globl	_ZN7rocprim17ROCPRIM_400000_NS6detail17trampoline_kernelINS0_13select_configILj256ELj13ELNS0_17block_load_methodE3ELS4_3ELS4_3ELNS0_20block_scan_algorithmE0ELj4294967295EEENS1_25partition_config_selectorILNS1_17partition_subalgoE4EjNS0_10empty_typeEbEEZZNS1_14partition_implILS8_4ELb0ES6_15HIP_vector_typeIjLj2EENS0_17counting_iteratorIjlEEPS9_SG_NS0_5tupleIJPjSI_NS0_16reverse_iteratorISI_EEEEENSH_IJSG_SG_SG_EEES9_SI_JZNS1_25segmented_radix_sort_implINS0_14default_configELb0EPKdPdPKlPlN2at6native12_GLOBAL__N_18offset_tEEE10hipError_tPvRmT1_PNSt15iterator_traitsIS12_E10value_typeET2_T3_PNS13_IS18_E10value_typeET4_jRbjT5_S1E_jjP12ihipStream_tbEUljE_ZNSN_ISO_Lb0ESQ_SR_ST_SU_SY_EESZ_S10_S11_S12_S16_S17_S18_S1B_S1C_jS1D_jS1E_S1E_jjS1G_bEUljE0_EEESZ_S10_S11_S18_S1C_S1E_T6_T7_T9_mT8_S1G_bDpT10_ENKUlT_T0_E_clISt17integral_constantIbLb1EES1U_EEDaS1P_S1Q_EUlS1P_E_NS1_11comp_targetILNS1_3genE8ELNS1_11target_archE1030ELNS1_3gpuE2ELNS1_3repE0EEENS1_30default_config_static_selectorELNS0_4arch9wavefront6targetE0EEEvS12_ ; -- Begin function _ZN7rocprim17ROCPRIM_400000_NS6detail17trampoline_kernelINS0_13select_configILj256ELj13ELNS0_17block_load_methodE3ELS4_3ELS4_3ELNS0_20block_scan_algorithmE0ELj4294967295EEENS1_25partition_config_selectorILNS1_17partition_subalgoE4EjNS0_10empty_typeEbEEZZNS1_14partition_implILS8_4ELb0ES6_15HIP_vector_typeIjLj2EENS0_17counting_iteratorIjlEEPS9_SG_NS0_5tupleIJPjSI_NS0_16reverse_iteratorISI_EEEEENSH_IJSG_SG_SG_EEES9_SI_JZNS1_25segmented_radix_sort_implINS0_14default_configELb0EPKdPdPKlPlN2at6native12_GLOBAL__N_18offset_tEEE10hipError_tPvRmT1_PNSt15iterator_traitsIS12_E10value_typeET2_T3_PNS13_IS18_E10value_typeET4_jRbjT5_S1E_jjP12ihipStream_tbEUljE_ZNSN_ISO_Lb0ESQ_SR_ST_SU_SY_EESZ_S10_S11_S12_S16_S17_S18_S1B_S1C_jS1D_jS1E_S1E_jjS1G_bEUljE0_EEESZ_S10_S11_S18_S1C_S1E_T6_T7_T9_mT8_S1G_bDpT10_ENKUlT_T0_E_clISt17integral_constantIbLb1EES1U_EEDaS1P_S1Q_EUlS1P_E_NS1_11comp_targetILNS1_3genE8ELNS1_11target_archE1030ELNS1_3gpuE2ELNS1_3repE0EEENS1_30default_config_static_selectorELNS0_4arch9wavefront6targetE0EEEvS12_
	.p2align	8
	.type	_ZN7rocprim17ROCPRIM_400000_NS6detail17trampoline_kernelINS0_13select_configILj256ELj13ELNS0_17block_load_methodE3ELS4_3ELS4_3ELNS0_20block_scan_algorithmE0ELj4294967295EEENS1_25partition_config_selectorILNS1_17partition_subalgoE4EjNS0_10empty_typeEbEEZZNS1_14partition_implILS8_4ELb0ES6_15HIP_vector_typeIjLj2EENS0_17counting_iteratorIjlEEPS9_SG_NS0_5tupleIJPjSI_NS0_16reverse_iteratorISI_EEEEENSH_IJSG_SG_SG_EEES9_SI_JZNS1_25segmented_radix_sort_implINS0_14default_configELb0EPKdPdPKlPlN2at6native12_GLOBAL__N_18offset_tEEE10hipError_tPvRmT1_PNSt15iterator_traitsIS12_E10value_typeET2_T3_PNS13_IS18_E10value_typeET4_jRbjT5_S1E_jjP12ihipStream_tbEUljE_ZNSN_ISO_Lb0ESQ_SR_ST_SU_SY_EESZ_S10_S11_S12_S16_S17_S18_S1B_S1C_jS1D_jS1E_S1E_jjS1G_bEUljE0_EEESZ_S10_S11_S18_S1C_S1E_T6_T7_T9_mT8_S1G_bDpT10_ENKUlT_T0_E_clISt17integral_constantIbLb1EES1U_EEDaS1P_S1Q_EUlS1P_E_NS1_11comp_targetILNS1_3genE8ELNS1_11target_archE1030ELNS1_3gpuE2ELNS1_3repE0EEENS1_30default_config_static_selectorELNS0_4arch9wavefront6targetE0EEEvS12_,@function
_ZN7rocprim17ROCPRIM_400000_NS6detail17trampoline_kernelINS0_13select_configILj256ELj13ELNS0_17block_load_methodE3ELS4_3ELS4_3ELNS0_20block_scan_algorithmE0ELj4294967295EEENS1_25partition_config_selectorILNS1_17partition_subalgoE4EjNS0_10empty_typeEbEEZZNS1_14partition_implILS8_4ELb0ES6_15HIP_vector_typeIjLj2EENS0_17counting_iteratorIjlEEPS9_SG_NS0_5tupleIJPjSI_NS0_16reverse_iteratorISI_EEEEENSH_IJSG_SG_SG_EEES9_SI_JZNS1_25segmented_radix_sort_implINS0_14default_configELb0EPKdPdPKlPlN2at6native12_GLOBAL__N_18offset_tEEE10hipError_tPvRmT1_PNSt15iterator_traitsIS12_E10value_typeET2_T3_PNS13_IS18_E10value_typeET4_jRbjT5_S1E_jjP12ihipStream_tbEUljE_ZNSN_ISO_Lb0ESQ_SR_ST_SU_SY_EESZ_S10_S11_S12_S16_S17_S18_S1B_S1C_jS1D_jS1E_S1E_jjS1G_bEUljE0_EEESZ_S10_S11_S18_S1C_S1E_T6_T7_T9_mT8_S1G_bDpT10_ENKUlT_T0_E_clISt17integral_constantIbLb1EES1U_EEDaS1P_S1Q_EUlS1P_E_NS1_11comp_targetILNS1_3genE8ELNS1_11target_archE1030ELNS1_3gpuE2ELNS1_3repE0EEENS1_30default_config_static_selectorELNS0_4arch9wavefront6targetE0EEEvS12_: ; @_ZN7rocprim17ROCPRIM_400000_NS6detail17trampoline_kernelINS0_13select_configILj256ELj13ELNS0_17block_load_methodE3ELS4_3ELS4_3ELNS0_20block_scan_algorithmE0ELj4294967295EEENS1_25partition_config_selectorILNS1_17partition_subalgoE4EjNS0_10empty_typeEbEEZZNS1_14partition_implILS8_4ELb0ES6_15HIP_vector_typeIjLj2EENS0_17counting_iteratorIjlEEPS9_SG_NS0_5tupleIJPjSI_NS0_16reverse_iteratorISI_EEEEENSH_IJSG_SG_SG_EEES9_SI_JZNS1_25segmented_radix_sort_implINS0_14default_configELb0EPKdPdPKlPlN2at6native12_GLOBAL__N_18offset_tEEE10hipError_tPvRmT1_PNSt15iterator_traitsIS12_E10value_typeET2_T3_PNS13_IS18_E10value_typeET4_jRbjT5_S1E_jjP12ihipStream_tbEUljE_ZNSN_ISO_Lb0ESQ_SR_ST_SU_SY_EESZ_S10_S11_S12_S16_S17_S18_S1B_S1C_jS1D_jS1E_S1E_jjS1G_bEUljE0_EEESZ_S10_S11_S18_S1C_S1E_T6_T7_T9_mT8_S1G_bDpT10_ENKUlT_T0_E_clISt17integral_constantIbLb1EES1U_EEDaS1P_S1Q_EUlS1P_E_NS1_11comp_targetILNS1_3genE8ELNS1_11target_archE1030ELNS1_3gpuE2ELNS1_3repE0EEENS1_30default_config_static_selectorELNS0_4arch9wavefront6targetE0EEEvS12_
; %bb.0:
	.section	.rodata,"a",@progbits
	.p2align	6, 0x0
	.amdhsa_kernel _ZN7rocprim17ROCPRIM_400000_NS6detail17trampoline_kernelINS0_13select_configILj256ELj13ELNS0_17block_load_methodE3ELS4_3ELS4_3ELNS0_20block_scan_algorithmE0ELj4294967295EEENS1_25partition_config_selectorILNS1_17partition_subalgoE4EjNS0_10empty_typeEbEEZZNS1_14partition_implILS8_4ELb0ES6_15HIP_vector_typeIjLj2EENS0_17counting_iteratorIjlEEPS9_SG_NS0_5tupleIJPjSI_NS0_16reverse_iteratorISI_EEEEENSH_IJSG_SG_SG_EEES9_SI_JZNS1_25segmented_radix_sort_implINS0_14default_configELb0EPKdPdPKlPlN2at6native12_GLOBAL__N_18offset_tEEE10hipError_tPvRmT1_PNSt15iterator_traitsIS12_E10value_typeET2_T3_PNS13_IS18_E10value_typeET4_jRbjT5_S1E_jjP12ihipStream_tbEUljE_ZNSN_ISO_Lb0ESQ_SR_ST_SU_SY_EESZ_S10_S11_S12_S16_S17_S18_S1B_S1C_jS1D_jS1E_S1E_jjS1G_bEUljE0_EEESZ_S10_S11_S18_S1C_S1E_T6_T7_T9_mT8_S1G_bDpT10_ENKUlT_T0_E_clISt17integral_constantIbLb1EES1U_EEDaS1P_S1Q_EUlS1P_E_NS1_11comp_targetILNS1_3genE8ELNS1_11target_archE1030ELNS1_3gpuE2ELNS1_3repE0EEENS1_30default_config_static_selectorELNS0_4arch9wavefront6targetE0EEEvS12_
		.amdhsa_group_segment_fixed_size 0
		.amdhsa_private_segment_fixed_size 0
		.amdhsa_kernarg_size 184
		.amdhsa_user_sgpr_count 15
		.amdhsa_user_sgpr_dispatch_ptr 0
		.amdhsa_user_sgpr_queue_ptr 0
		.amdhsa_user_sgpr_kernarg_segment_ptr 1
		.amdhsa_user_sgpr_dispatch_id 0
		.amdhsa_user_sgpr_private_segment_size 0
		.amdhsa_wavefront_size32 1
		.amdhsa_uses_dynamic_stack 0
		.amdhsa_enable_private_segment 0
		.amdhsa_system_sgpr_workgroup_id_x 1
		.amdhsa_system_sgpr_workgroup_id_y 0
		.amdhsa_system_sgpr_workgroup_id_z 0
		.amdhsa_system_sgpr_workgroup_info 0
		.amdhsa_system_vgpr_workitem_id 0
		.amdhsa_next_free_vgpr 1
		.amdhsa_next_free_sgpr 1
		.amdhsa_reserve_vcc 0
		.amdhsa_float_round_mode_32 0
		.amdhsa_float_round_mode_16_64 0
		.amdhsa_float_denorm_mode_32 3
		.amdhsa_float_denorm_mode_16_64 3
		.amdhsa_dx10_clamp 1
		.amdhsa_ieee_mode 1
		.amdhsa_fp16_overflow 0
		.amdhsa_workgroup_processor_mode 1
		.amdhsa_memory_ordered 1
		.amdhsa_forward_progress 0
		.amdhsa_shared_vgpr_count 0
		.amdhsa_exception_fp_ieee_invalid_op 0
		.amdhsa_exception_fp_denorm_src 0
		.amdhsa_exception_fp_ieee_div_zero 0
		.amdhsa_exception_fp_ieee_overflow 0
		.amdhsa_exception_fp_ieee_underflow 0
		.amdhsa_exception_fp_ieee_inexact 0
		.amdhsa_exception_int_div_zero 0
	.end_amdhsa_kernel
	.section	.text._ZN7rocprim17ROCPRIM_400000_NS6detail17trampoline_kernelINS0_13select_configILj256ELj13ELNS0_17block_load_methodE3ELS4_3ELS4_3ELNS0_20block_scan_algorithmE0ELj4294967295EEENS1_25partition_config_selectorILNS1_17partition_subalgoE4EjNS0_10empty_typeEbEEZZNS1_14partition_implILS8_4ELb0ES6_15HIP_vector_typeIjLj2EENS0_17counting_iteratorIjlEEPS9_SG_NS0_5tupleIJPjSI_NS0_16reverse_iteratorISI_EEEEENSH_IJSG_SG_SG_EEES9_SI_JZNS1_25segmented_radix_sort_implINS0_14default_configELb0EPKdPdPKlPlN2at6native12_GLOBAL__N_18offset_tEEE10hipError_tPvRmT1_PNSt15iterator_traitsIS12_E10value_typeET2_T3_PNS13_IS18_E10value_typeET4_jRbjT5_S1E_jjP12ihipStream_tbEUljE_ZNSN_ISO_Lb0ESQ_SR_ST_SU_SY_EESZ_S10_S11_S12_S16_S17_S18_S1B_S1C_jS1D_jS1E_S1E_jjS1G_bEUljE0_EEESZ_S10_S11_S18_S1C_S1E_T6_T7_T9_mT8_S1G_bDpT10_ENKUlT_T0_E_clISt17integral_constantIbLb1EES1U_EEDaS1P_S1Q_EUlS1P_E_NS1_11comp_targetILNS1_3genE8ELNS1_11target_archE1030ELNS1_3gpuE2ELNS1_3repE0EEENS1_30default_config_static_selectorELNS0_4arch9wavefront6targetE0EEEvS12_,"axG",@progbits,_ZN7rocprim17ROCPRIM_400000_NS6detail17trampoline_kernelINS0_13select_configILj256ELj13ELNS0_17block_load_methodE3ELS4_3ELS4_3ELNS0_20block_scan_algorithmE0ELj4294967295EEENS1_25partition_config_selectorILNS1_17partition_subalgoE4EjNS0_10empty_typeEbEEZZNS1_14partition_implILS8_4ELb0ES6_15HIP_vector_typeIjLj2EENS0_17counting_iteratorIjlEEPS9_SG_NS0_5tupleIJPjSI_NS0_16reverse_iteratorISI_EEEEENSH_IJSG_SG_SG_EEES9_SI_JZNS1_25segmented_radix_sort_implINS0_14default_configELb0EPKdPdPKlPlN2at6native12_GLOBAL__N_18offset_tEEE10hipError_tPvRmT1_PNSt15iterator_traitsIS12_E10value_typeET2_T3_PNS13_IS18_E10value_typeET4_jRbjT5_S1E_jjP12ihipStream_tbEUljE_ZNSN_ISO_Lb0ESQ_SR_ST_SU_SY_EESZ_S10_S11_S12_S16_S17_S18_S1B_S1C_jS1D_jS1E_S1E_jjS1G_bEUljE0_EEESZ_S10_S11_S18_S1C_S1E_T6_T7_T9_mT8_S1G_bDpT10_ENKUlT_T0_E_clISt17integral_constantIbLb1EES1U_EEDaS1P_S1Q_EUlS1P_E_NS1_11comp_targetILNS1_3genE8ELNS1_11target_archE1030ELNS1_3gpuE2ELNS1_3repE0EEENS1_30default_config_static_selectorELNS0_4arch9wavefront6targetE0EEEvS12_,comdat
.Lfunc_end1172:
	.size	_ZN7rocprim17ROCPRIM_400000_NS6detail17trampoline_kernelINS0_13select_configILj256ELj13ELNS0_17block_load_methodE3ELS4_3ELS4_3ELNS0_20block_scan_algorithmE0ELj4294967295EEENS1_25partition_config_selectorILNS1_17partition_subalgoE4EjNS0_10empty_typeEbEEZZNS1_14partition_implILS8_4ELb0ES6_15HIP_vector_typeIjLj2EENS0_17counting_iteratorIjlEEPS9_SG_NS0_5tupleIJPjSI_NS0_16reverse_iteratorISI_EEEEENSH_IJSG_SG_SG_EEES9_SI_JZNS1_25segmented_radix_sort_implINS0_14default_configELb0EPKdPdPKlPlN2at6native12_GLOBAL__N_18offset_tEEE10hipError_tPvRmT1_PNSt15iterator_traitsIS12_E10value_typeET2_T3_PNS13_IS18_E10value_typeET4_jRbjT5_S1E_jjP12ihipStream_tbEUljE_ZNSN_ISO_Lb0ESQ_SR_ST_SU_SY_EESZ_S10_S11_S12_S16_S17_S18_S1B_S1C_jS1D_jS1E_S1E_jjS1G_bEUljE0_EEESZ_S10_S11_S18_S1C_S1E_T6_T7_T9_mT8_S1G_bDpT10_ENKUlT_T0_E_clISt17integral_constantIbLb1EES1U_EEDaS1P_S1Q_EUlS1P_E_NS1_11comp_targetILNS1_3genE8ELNS1_11target_archE1030ELNS1_3gpuE2ELNS1_3repE0EEENS1_30default_config_static_selectorELNS0_4arch9wavefront6targetE0EEEvS12_, .Lfunc_end1172-_ZN7rocprim17ROCPRIM_400000_NS6detail17trampoline_kernelINS0_13select_configILj256ELj13ELNS0_17block_load_methodE3ELS4_3ELS4_3ELNS0_20block_scan_algorithmE0ELj4294967295EEENS1_25partition_config_selectorILNS1_17partition_subalgoE4EjNS0_10empty_typeEbEEZZNS1_14partition_implILS8_4ELb0ES6_15HIP_vector_typeIjLj2EENS0_17counting_iteratorIjlEEPS9_SG_NS0_5tupleIJPjSI_NS0_16reverse_iteratorISI_EEEEENSH_IJSG_SG_SG_EEES9_SI_JZNS1_25segmented_radix_sort_implINS0_14default_configELb0EPKdPdPKlPlN2at6native12_GLOBAL__N_18offset_tEEE10hipError_tPvRmT1_PNSt15iterator_traitsIS12_E10value_typeET2_T3_PNS13_IS18_E10value_typeET4_jRbjT5_S1E_jjP12ihipStream_tbEUljE_ZNSN_ISO_Lb0ESQ_SR_ST_SU_SY_EESZ_S10_S11_S12_S16_S17_S18_S1B_S1C_jS1D_jS1E_S1E_jjS1G_bEUljE0_EEESZ_S10_S11_S18_S1C_S1E_T6_T7_T9_mT8_S1G_bDpT10_ENKUlT_T0_E_clISt17integral_constantIbLb1EES1U_EEDaS1P_S1Q_EUlS1P_E_NS1_11comp_targetILNS1_3genE8ELNS1_11target_archE1030ELNS1_3gpuE2ELNS1_3repE0EEENS1_30default_config_static_selectorELNS0_4arch9wavefront6targetE0EEEvS12_
                                        ; -- End function
	.section	.AMDGPU.csdata,"",@progbits
; Kernel info:
; codeLenInByte = 0
; NumSgprs: 0
; NumVgprs: 0
; ScratchSize: 0
; MemoryBound: 0
; FloatMode: 240
; IeeeMode: 1
; LDSByteSize: 0 bytes/workgroup (compile time only)
; SGPRBlocks: 0
; VGPRBlocks: 0
; NumSGPRsForWavesPerEU: 1
; NumVGPRsForWavesPerEU: 1
; Occupancy: 16
; WaveLimiterHint : 0
; COMPUTE_PGM_RSRC2:SCRATCH_EN: 0
; COMPUTE_PGM_RSRC2:USER_SGPR: 15
; COMPUTE_PGM_RSRC2:TRAP_HANDLER: 0
; COMPUTE_PGM_RSRC2:TGID_X_EN: 1
; COMPUTE_PGM_RSRC2:TGID_Y_EN: 0
; COMPUTE_PGM_RSRC2:TGID_Z_EN: 0
; COMPUTE_PGM_RSRC2:TIDIG_COMP_CNT: 0
	.section	.text._ZN7rocprim17ROCPRIM_400000_NS6detail17trampoline_kernelINS0_13select_configILj256ELj13ELNS0_17block_load_methodE3ELS4_3ELS4_3ELNS0_20block_scan_algorithmE0ELj4294967295EEENS1_25partition_config_selectorILNS1_17partition_subalgoE4EjNS0_10empty_typeEbEEZZNS1_14partition_implILS8_4ELb0ES6_15HIP_vector_typeIjLj2EENS0_17counting_iteratorIjlEEPS9_SG_NS0_5tupleIJPjSI_NS0_16reverse_iteratorISI_EEEEENSH_IJSG_SG_SG_EEES9_SI_JZNS1_25segmented_radix_sort_implINS0_14default_configELb0EPKdPdPKlPlN2at6native12_GLOBAL__N_18offset_tEEE10hipError_tPvRmT1_PNSt15iterator_traitsIS12_E10value_typeET2_T3_PNS13_IS18_E10value_typeET4_jRbjT5_S1E_jjP12ihipStream_tbEUljE_ZNSN_ISO_Lb0ESQ_SR_ST_SU_SY_EESZ_S10_S11_S12_S16_S17_S18_S1B_S1C_jS1D_jS1E_S1E_jjS1G_bEUljE0_EEESZ_S10_S11_S18_S1C_S1E_T6_T7_T9_mT8_S1G_bDpT10_ENKUlT_T0_E_clISt17integral_constantIbLb1EES1T_IbLb0EEEEDaS1P_S1Q_EUlS1P_E_NS1_11comp_targetILNS1_3genE0ELNS1_11target_archE4294967295ELNS1_3gpuE0ELNS1_3repE0EEENS1_30default_config_static_selectorELNS0_4arch9wavefront6targetE0EEEvS12_,"axG",@progbits,_ZN7rocprim17ROCPRIM_400000_NS6detail17trampoline_kernelINS0_13select_configILj256ELj13ELNS0_17block_load_methodE3ELS4_3ELS4_3ELNS0_20block_scan_algorithmE0ELj4294967295EEENS1_25partition_config_selectorILNS1_17partition_subalgoE4EjNS0_10empty_typeEbEEZZNS1_14partition_implILS8_4ELb0ES6_15HIP_vector_typeIjLj2EENS0_17counting_iteratorIjlEEPS9_SG_NS0_5tupleIJPjSI_NS0_16reverse_iteratorISI_EEEEENSH_IJSG_SG_SG_EEES9_SI_JZNS1_25segmented_radix_sort_implINS0_14default_configELb0EPKdPdPKlPlN2at6native12_GLOBAL__N_18offset_tEEE10hipError_tPvRmT1_PNSt15iterator_traitsIS12_E10value_typeET2_T3_PNS13_IS18_E10value_typeET4_jRbjT5_S1E_jjP12ihipStream_tbEUljE_ZNSN_ISO_Lb0ESQ_SR_ST_SU_SY_EESZ_S10_S11_S12_S16_S17_S18_S1B_S1C_jS1D_jS1E_S1E_jjS1G_bEUljE0_EEESZ_S10_S11_S18_S1C_S1E_T6_T7_T9_mT8_S1G_bDpT10_ENKUlT_T0_E_clISt17integral_constantIbLb1EES1T_IbLb0EEEEDaS1P_S1Q_EUlS1P_E_NS1_11comp_targetILNS1_3genE0ELNS1_11target_archE4294967295ELNS1_3gpuE0ELNS1_3repE0EEENS1_30default_config_static_selectorELNS0_4arch9wavefront6targetE0EEEvS12_,comdat
	.globl	_ZN7rocprim17ROCPRIM_400000_NS6detail17trampoline_kernelINS0_13select_configILj256ELj13ELNS0_17block_load_methodE3ELS4_3ELS4_3ELNS0_20block_scan_algorithmE0ELj4294967295EEENS1_25partition_config_selectorILNS1_17partition_subalgoE4EjNS0_10empty_typeEbEEZZNS1_14partition_implILS8_4ELb0ES6_15HIP_vector_typeIjLj2EENS0_17counting_iteratorIjlEEPS9_SG_NS0_5tupleIJPjSI_NS0_16reverse_iteratorISI_EEEEENSH_IJSG_SG_SG_EEES9_SI_JZNS1_25segmented_radix_sort_implINS0_14default_configELb0EPKdPdPKlPlN2at6native12_GLOBAL__N_18offset_tEEE10hipError_tPvRmT1_PNSt15iterator_traitsIS12_E10value_typeET2_T3_PNS13_IS18_E10value_typeET4_jRbjT5_S1E_jjP12ihipStream_tbEUljE_ZNSN_ISO_Lb0ESQ_SR_ST_SU_SY_EESZ_S10_S11_S12_S16_S17_S18_S1B_S1C_jS1D_jS1E_S1E_jjS1G_bEUljE0_EEESZ_S10_S11_S18_S1C_S1E_T6_T7_T9_mT8_S1G_bDpT10_ENKUlT_T0_E_clISt17integral_constantIbLb1EES1T_IbLb0EEEEDaS1P_S1Q_EUlS1P_E_NS1_11comp_targetILNS1_3genE0ELNS1_11target_archE4294967295ELNS1_3gpuE0ELNS1_3repE0EEENS1_30default_config_static_selectorELNS0_4arch9wavefront6targetE0EEEvS12_ ; -- Begin function _ZN7rocprim17ROCPRIM_400000_NS6detail17trampoline_kernelINS0_13select_configILj256ELj13ELNS0_17block_load_methodE3ELS4_3ELS4_3ELNS0_20block_scan_algorithmE0ELj4294967295EEENS1_25partition_config_selectorILNS1_17partition_subalgoE4EjNS0_10empty_typeEbEEZZNS1_14partition_implILS8_4ELb0ES6_15HIP_vector_typeIjLj2EENS0_17counting_iteratorIjlEEPS9_SG_NS0_5tupleIJPjSI_NS0_16reverse_iteratorISI_EEEEENSH_IJSG_SG_SG_EEES9_SI_JZNS1_25segmented_radix_sort_implINS0_14default_configELb0EPKdPdPKlPlN2at6native12_GLOBAL__N_18offset_tEEE10hipError_tPvRmT1_PNSt15iterator_traitsIS12_E10value_typeET2_T3_PNS13_IS18_E10value_typeET4_jRbjT5_S1E_jjP12ihipStream_tbEUljE_ZNSN_ISO_Lb0ESQ_SR_ST_SU_SY_EESZ_S10_S11_S12_S16_S17_S18_S1B_S1C_jS1D_jS1E_S1E_jjS1G_bEUljE0_EEESZ_S10_S11_S18_S1C_S1E_T6_T7_T9_mT8_S1G_bDpT10_ENKUlT_T0_E_clISt17integral_constantIbLb1EES1T_IbLb0EEEEDaS1P_S1Q_EUlS1P_E_NS1_11comp_targetILNS1_3genE0ELNS1_11target_archE4294967295ELNS1_3gpuE0ELNS1_3repE0EEENS1_30default_config_static_selectorELNS0_4arch9wavefront6targetE0EEEvS12_
	.p2align	8
	.type	_ZN7rocprim17ROCPRIM_400000_NS6detail17trampoline_kernelINS0_13select_configILj256ELj13ELNS0_17block_load_methodE3ELS4_3ELS4_3ELNS0_20block_scan_algorithmE0ELj4294967295EEENS1_25partition_config_selectorILNS1_17partition_subalgoE4EjNS0_10empty_typeEbEEZZNS1_14partition_implILS8_4ELb0ES6_15HIP_vector_typeIjLj2EENS0_17counting_iteratorIjlEEPS9_SG_NS0_5tupleIJPjSI_NS0_16reverse_iteratorISI_EEEEENSH_IJSG_SG_SG_EEES9_SI_JZNS1_25segmented_radix_sort_implINS0_14default_configELb0EPKdPdPKlPlN2at6native12_GLOBAL__N_18offset_tEEE10hipError_tPvRmT1_PNSt15iterator_traitsIS12_E10value_typeET2_T3_PNS13_IS18_E10value_typeET4_jRbjT5_S1E_jjP12ihipStream_tbEUljE_ZNSN_ISO_Lb0ESQ_SR_ST_SU_SY_EESZ_S10_S11_S12_S16_S17_S18_S1B_S1C_jS1D_jS1E_S1E_jjS1G_bEUljE0_EEESZ_S10_S11_S18_S1C_S1E_T6_T7_T9_mT8_S1G_bDpT10_ENKUlT_T0_E_clISt17integral_constantIbLb1EES1T_IbLb0EEEEDaS1P_S1Q_EUlS1P_E_NS1_11comp_targetILNS1_3genE0ELNS1_11target_archE4294967295ELNS1_3gpuE0ELNS1_3repE0EEENS1_30default_config_static_selectorELNS0_4arch9wavefront6targetE0EEEvS12_,@function
_ZN7rocprim17ROCPRIM_400000_NS6detail17trampoline_kernelINS0_13select_configILj256ELj13ELNS0_17block_load_methodE3ELS4_3ELS4_3ELNS0_20block_scan_algorithmE0ELj4294967295EEENS1_25partition_config_selectorILNS1_17partition_subalgoE4EjNS0_10empty_typeEbEEZZNS1_14partition_implILS8_4ELb0ES6_15HIP_vector_typeIjLj2EENS0_17counting_iteratorIjlEEPS9_SG_NS0_5tupleIJPjSI_NS0_16reverse_iteratorISI_EEEEENSH_IJSG_SG_SG_EEES9_SI_JZNS1_25segmented_radix_sort_implINS0_14default_configELb0EPKdPdPKlPlN2at6native12_GLOBAL__N_18offset_tEEE10hipError_tPvRmT1_PNSt15iterator_traitsIS12_E10value_typeET2_T3_PNS13_IS18_E10value_typeET4_jRbjT5_S1E_jjP12ihipStream_tbEUljE_ZNSN_ISO_Lb0ESQ_SR_ST_SU_SY_EESZ_S10_S11_S12_S16_S17_S18_S1B_S1C_jS1D_jS1E_S1E_jjS1G_bEUljE0_EEESZ_S10_S11_S18_S1C_S1E_T6_T7_T9_mT8_S1G_bDpT10_ENKUlT_T0_E_clISt17integral_constantIbLb1EES1T_IbLb0EEEEDaS1P_S1Q_EUlS1P_E_NS1_11comp_targetILNS1_3genE0ELNS1_11target_archE4294967295ELNS1_3gpuE0ELNS1_3repE0EEENS1_30default_config_static_selectorELNS0_4arch9wavefront6targetE0EEEvS12_: ; @_ZN7rocprim17ROCPRIM_400000_NS6detail17trampoline_kernelINS0_13select_configILj256ELj13ELNS0_17block_load_methodE3ELS4_3ELS4_3ELNS0_20block_scan_algorithmE0ELj4294967295EEENS1_25partition_config_selectorILNS1_17partition_subalgoE4EjNS0_10empty_typeEbEEZZNS1_14partition_implILS8_4ELb0ES6_15HIP_vector_typeIjLj2EENS0_17counting_iteratorIjlEEPS9_SG_NS0_5tupleIJPjSI_NS0_16reverse_iteratorISI_EEEEENSH_IJSG_SG_SG_EEES9_SI_JZNS1_25segmented_radix_sort_implINS0_14default_configELb0EPKdPdPKlPlN2at6native12_GLOBAL__N_18offset_tEEE10hipError_tPvRmT1_PNSt15iterator_traitsIS12_E10value_typeET2_T3_PNS13_IS18_E10value_typeET4_jRbjT5_S1E_jjP12ihipStream_tbEUljE_ZNSN_ISO_Lb0ESQ_SR_ST_SU_SY_EESZ_S10_S11_S12_S16_S17_S18_S1B_S1C_jS1D_jS1E_S1E_jjS1G_bEUljE0_EEESZ_S10_S11_S18_S1C_S1E_T6_T7_T9_mT8_S1G_bDpT10_ENKUlT_T0_E_clISt17integral_constantIbLb1EES1T_IbLb0EEEEDaS1P_S1Q_EUlS1P_E_NS1_11comp_targetILNS1_3genE0ELNS1_11target_archE4294967295ELNS1_3gpuE0ELNS1_3repE0EEENS1_30default_config_static_selectorELNS0_4arch9wavefront6targetE0EEEvS12_
; %bb.0:
	.section	.rodata,"a",@progbits
	.p2align	6, 0x0
	.amdhsa_kernel _ZN7rocprim17ROCPRIM_400000_NS6detail17trampoline_kernelINS0_13select_configILj256ELj13ELNS0_17block_load_methodE3ELS4_3ELS4_3ELNS0_20block_scan_algorithmE0ELj4294967295EEENS1_25partition_config_selectorILNS1_17partition_subalgoE4EjNS0_10empty_typeEbEEZZNS1_14partition_implILS8_4ELb0ES6_15HIP_vector_typeIjLj2EENS0_17counting_iteratorIjlEEPS9_SG_NS0_5tupleIJPjSI_NS0_16reverse_iteratorISI_EEEEENSH_IJSG_SG_SG_EEES9_SI_JZNS1_25segmented_radix_sort_implINS0_14default_configELb0EPKdPdPKlPlN2at6native12_GLOBAL__N_18offset_tEEE10hipError_tPvRmT1_PNSt15iterator_traitsIS12_E10value_typeET2_T3_PNS13_IS18_E10value_typeET4_jRbjT5_S1E_jjP12ihipStream_tbEUljE_ZNSN_ISO_Lb0ESQ_SR_ST_SU_SY_EESZ_S10_S11_S12_S16_S17_S18_S1B_S1C_jS1D_jS1E_S1E_jjS1G_bEUljE0_EEESZ_S10_S11_S18_S1C_S1E_T6_T7_T9_mT8_S1G_bDpT10_ENKUlT_T0_E_clISt17integral_constantIbLb1EES1T_IbLb0EEEEDaS1P_S1Q_EUlS1P_E_NS1_11comp_targetILNS1_3genE0ELNS1_11target_archE4294967295ELNS1_3gpuE0ELNS1_3repE0EEENS1_30default_config_static_selectorELNS0_4arch9wavefront6targetE0EEEvS12_
		.amdhsa_group_segment_fixed_size 0
		.amdhsa_private_segment_fixed_size 0
		.amdhsa_kernarg_size 176
		.amdhsa_user_sgpr_count 15
		.amdhsa_user_sgpr_dispatch_ptr 0
		.amdhsa_user_sgpr_queue_ptr 0
		.amdhsa_user_sgpr_kernarg_segment_ptr 1
		.amdhsa_user_sgpr_dispatch_id 0
		.amdhsa_user_sgpr_private_segment_size 0
		.amdhsa_wavefront_size32 1
		.amdhsa_uses_dynamic_stack 0
		.amdhsa_enable_private_segment 0
		.amdhsa_system_sgpr_workgroup_id_x 1
		.amdhsa_system_sgpr_workgroup_id_y 0
		.amdhsa_system_sgpr_workgroup_id_z 0
		.amdhsa_system_sgpr_workgroup_info 0
		.amdhsa_system_vgpr_workitem_id 0
		.amdhsa_next_free_vgpr 1
		.amdhsa_next_free_sgpr 1
		.amdhsa_reserve_vcc 0
		.amdhsa_float_round_mode_32 0
		.amdhsa_float_round_mode_16_64 0
		.amdhsa_float_denorm_mode_32 3
		.amdhsa_float_denorm_mode_16_64 3
		.amdhsa_dx10_clamp 1
		.amdhsa_ieee_mode 1
		.amdhsa_fp16_overflow 0
		.amdhsa_workgroup_processor_mode 1
		.amdhsa_memory_ordered 1
		.amdhsa_forward_progress 0
		.amdhsa_shared_vgpr_count 0
		.amdhsa_exception_fp_ieee_invalid_op 0
		.amdhsa_exception_fp_denorm_src 0
		.amdhsa_exception_fp_ieee_div_zero 0
		.amdhsa_exception_fp_ieee_overflow 0
		.amdhsa_exception_fp_ieee_underflow 0
		.amdhsa_exception_fp_ieee_inexact 0
		.amdhsa_exception_int_div_zero 0
	.end_amdhsa_kernel
	.section	.text._ZN7rocprim17ROCPRIM_400000_NS6detail17trampoline_kernelINS0_13select_configILj256ELj13ELNS0_17block_load_methodE3ELS4_3ELS4_3ELNS0_20block_scan_algorithmE0ELj4294967295EEENS1_25partition_config_selectorILNS1_17partition_subalgoE4EjNS0_10empty_typeEbEEZZNS1_14partition_implILS8_4ELb0ES6_15HIP_vector_typeIjLj2EENS0_17counting_iteratorIjlEEPS9_SG_NS0_5tupleIJPjSI_NS0_16reverse_iteratorISI_EEEEENSH_IJSG_SG_SG_EEES9_SI_JZNS1_25segmented_radix_sort_implINS0_14default_configELb0EPKdPdPKlPlN2at6native12_GLOBAL__N_18offset_tEEE10hipError_tPvRmT1_PNSt15iterator_traitsIS12_E10value_typeET2_T3_PNS13_IS18_E10value_typeET4_jRbjT5_S1E_jjP12ihipStream_tbEUljE_ZNSN_ISO_Lb0ESQ_SR_ST_SU_SY_EESZ_S10_S11_S12_S16_S17_S18_S1B_S1C_jS1D_jS1E_S1E_jjS1G_bEUljE0_EEESZ_S10_S11_S18_S1C_S1E_T6_T7_T9_mT8_S1G_bDpT10_ENKUlT_T0_E_clISt17integral_constantIbLb1EES1T_IbLb0EEEEDaS1P_S1Q_EUlS1P_E_NS1_11comp_targetILNS1_3genE0ELNS1_11target_archE4294967295ELNS1_3gpuE0ELNS1_3repE0EEENS1_30default_config_static_selectorELNS0_4arch9wavefront6targetE0EEEvS12_,"axG",@progbits,_ZN7rocprim17ROCPRIM_400000_NS6detail17trampoline_kernelINS0_13select_configILj256ELj13ELNS0_17block_load_methodE3ELS4_3ELS4_3ELNS0_20block_scan_algorithmE0ELj4294967295EEENS1_25partition_config_selectorILNS1_17partition_subalgoE4EjNS0_10empty_typeEbEEZZNS1_14partition_implILS8_4ELb0ES6_15HIP_vector_typeIjLj2EENS0_17counting_iteratorIjlEEPS9_SG_NS0_5tupleIJPjSI_NS0_16reverse_iteratorISI_EEEEENSH_IJSG_SG_SG_EEES9_SI_JZNS1_25segmented_radix_sort_implINS0_14default_configELb0EPKdPdPKlPlN2at6native12_GLOBAL__N_18offset_tEEE10hipError_tPvRmT1_PNSt15iterator_traitsIS12_E10value_typeET2_T3_PNS13_IS18_E10value_typeET4_jRbjT5_S1E_jjP12ihipStream_tbEUljE_ZNSN_ISO_Lb0ESQ_SR_ST_SU_SY_EESZ_S10_S11_S12_S16_S17_S18_S1B_S1C_jS1D_jS1E_S1E_jjS1G_bEUljE0_EEESZ_S10_S11_S18_S1C_S1E_T6_T7_T9_mT8_S1G_bDpT10_ENKUlT_T0_E_clISt17integral_constantIbLb1EES1T_IbLb0EEEEDaS1P_S1Q_EUlS1P_E_NS1_11comp_targetILNS1_3genE0ELNS1_11target_archE4294967295ELNS1_3gpuE0ELNS1_3repE0EEENS1_30default_config_static_selectorELNS0_4arch9wavefront6targetE0EEEvS12_,comdat
.Lfunc_end1173:
	.size	_ZN7rocprim17ROCPRIM_400000_NS6detail17trampoline_kernelINS0_13select_configILj256ELj13ELNS0_17block_load_methodE3ELS4_3ELS4_3ELNS0_20block_scan_algorithmE0ELj4294967295EEENS1_25partition_config_selectorILNS1_17partition_subalgoE4EjNS0_10empty_typeEbEEZZNS1_14partition_implILS8_4ELb0ES6_15HIP_vector_typeIjLj2EENS0_17counting_iteratorIjlEEPS9_SG_NS0_5tupleIJPjSI_NS0_16reverse_iteratorISI_EEEEENSH_IJSG_SG_SG_EEES9_SI_JZNS1_25segmented_radix_sort_implINS0_14default_configELb0EPKdPdPKlPlN2at6native12_GLOBAL__N_18offset_tEEE10hipError_tPvRmT1_PNSt15iterator_traitsIS12_E10value_typeET2_T3_PNS13_IS18_E10value_typeET4_jRbjT5_S1E_jjP12ihipStream_tbEUljE_ZNSN_ISO_Lb0ESQ_SR_ST_SU_SY_EESZ_S10_S11_S12_S16_S17_S18_S1B_S1C_jS1D_jS1E_S1E_jjS1G_bEUljE0_EEESZ_S10_S11_S18_S1C_S1E_T6_T7_T9_mT8_S1G_bDpT10_ENKUlT_T0_E_clISt17integral_constantIbLb1EES1T_IbLb0EEEEDaS1P_S1Q_EUlS1P_E_NS1_11comp_targetILNS1_3genE0ELNS1_11target_archE4294967295ELNS1_3gpuE0ELNS1_3repE0EEENS1_30default_config_static_selectorELNS0_4arch9wavefront6targetE0EEEvS12_, .Lfunc_end1173-_ZN7rocprim17ROCPRIM_400000_NS6detail17trampoline_kernelINS0_13select_configILj256ELj13ELNS0_17block_load_methodE3ELS4_3ELS4_3ELNS0_20block_scan_algorithmE0ELj4294967295EEENS1_25partition_config_selectorILNS1_17partition_subalgoE4EjNS0_10empty_typeEbEEZZNS1_14partition_implILS8_4ELb0ES6_15HIP_vector_typeIjLj2EENS0_17counting_iteratorIjlEEPS9_SG_NS0_5tupleIJPjSI_NS0_16reverse_iteratorISI_EEEEENSH_IJSG_SG_SG_EEES9_SI_JZNS1_25segmented_radix_sort_implINS0_14default_configELb0EPKdPdPKlPlN2at6native12_GLOBAL__N_18offset_tEEE10hipError_tPvRmT1_PNSt15iterator_traitsIS12_E10value_typeET2_T3_PNS13_IS18_E10value_typeET4_jRbjT5_S1E_jjP12ihipStream_tbEUljE_ZNSN_ISO_Lb0ESQ_SR_ST_SU_SY_EESZ_S10_S11_S12_S16_S17_S18_S1B_S1C_jS1D_jS1E_S1E_jjS1G_bEUljE0_EEESZ_S10_S11_S18_S1C_S1E_T6_T7_T9_mT8_S1G_bDpT10_ENKUlT_T0_E_clISt17integral_constantIbLb1EES1T_IbLb0EEEEDaS1P_S1Q_EUlS1P_E_NS1_11comp_targetILNS1_3genE0ELNS1_11target_archE4294967295ELNS1_3gpuE0ELNS1_3repE0EEENS1_30default_config_static_selectorELNS0_4arch9wavefront6targetE0EEEvS12_
                                        ; -- End function
	.section	.AMDGPU.csdata,"",@progbits
; Kernel info:
; codeLenInByte = 0
; NumSgprs: 0
; NumVgprs: 0
; ScratchSize: 0
; MemoryBound: 0
; FloatMode: 240
; IeeeMode: 1
; LDSByteSize: 0 bytes/workgroup (compile time only)
; SGPRBlocks: 0
; VGPRBlocks: 0
; NumSGPRsForWavesPerEU: 1
; NumVGPRsForWavesPerEU: 1
; Occupancy: 16
; WaveLimiterHint : 0
; COMPUTE_PGM_RSRC2:SCRATCH_EN: 0
; COMPUTE_PGM_RSRC2:USER_SGPR: 15
; COMPUTE_PGM_RSRC2:TRAP_HANDLER: 0
; COMPUTE_PGM_RSRC2:TGID_X_EN: 1
; COMPUTE_PGM_RSRC2:TGID_Y_EN: 0
; COMPUTE_PGM_RSRC2:TGID_Z_EN: 0
; COMPUTE_PGM_RSRC2:TIDIG_COMP_CNT: 0
	.section	.text._ZN7rocprim17ROCPRIM_400000_NS6detail17trampoline_kernelINS0_13select_configILj256ELj13ELNS0_17block_load_methodE3ELS4_3ELS4_3ELNS0_20block_scan_algorithmE0ELj4294967295EEENS1_25partition_config_selectorILNS1_17partition_subalgoE4EjNS0_10empty_typeEbEEZZNS1_14partition_implILS8_4ELb0ES6_15HIP_vector_typeIjLj2EENS0_17counting_iteratorIjlEEPS9_SG_NS0_5tupleIJPjSI_NS0_16reverse_iteratorISI_EEEEENSH_IJSG_SG_SG_EEES9_SI_JZNS1_25segmented_radix_sort_implINS0_14default_configELb0EPKdPdPKlPlN2at6native12_GLOBAL__N_18offset_tEEE10hipError_tPvRmT1_PNSt15iterator_traitsIS12_E10value_typeET2_T3_PNS13_IS18_E10value_typeET4_jRbjT5_S1E_jjP12ihipStream_tbEUljE_ZNSN_ISO_Lb0ESQ_SR_ST_SU_SY_EESZ_S10_S11_S12_S16_S17_S18_S1B_S1C_jS1D_jS1E_S1E_jjS1G_bEUljE0_EEESZ_S10_S11_S18_S1C_S1E_T6_T7_T9_mT8_S1G_bDpT10_ENKUlT_T0_E_clISt17integral_constantIbLb1EES1T_IbLb0EEEEDaS1P_S1Q_EUlS1P_E_NS1_11comp_targetILNS1_3genE5ELNS1_11target_archE942ELNS1_3gpuE9ELNS1_3repE0EEENS1_30default_config_static_selectorELNS0_4arch9wavefront6targetE0EEEvS12_,"axG",@progbits,_ZN7rocprim17ROCPRIM_400000_NS6detail17trampoline_kernelINS0_13select_configILj256ELj13ELNS0_17block_load_methodE3ELS4_3ELS4_3ELNS0_20block_scan_algorithmE0ELj4294967295EEENS1_25partition_config_selectorILNS1_17partition_subalgoE4EjNS0_10empty_typeEbEEZZNS1_14partition_implILS8_4ELb0ES6_15HIP_vector_typeIjLj2EENS0_17counting_iteratorIjlEEPS9_SG_NS0_5tupleIJPjSI_NS0_16reverse_iteratorISI_EEEEENSH_IJSG_SG_SG_EEES9_SI_JZNS1_25segmented_radix_sort_implINS0_14default_configELb0EPKdPdPKlPlN2at6native12_GLOBAL__N_18offset_tEEE10hipError_tPvRmT1_PNSt15iterator_traitsIS12_E10value_typeET2_T3_PNS13_IS18_E10value_typeET4_jRbjT5_S1E_jjP12ihipStream_tbEUljE_ZNSN_ISO_Lb0ESQ_SR_ST_SU_SY_EESZ_S10_S11_S12_S16_S17_S18_S1B_S1C_jS1D_jS1E_S1E_jjS1G_bEUljE0_EEESZ_S10_S11_S18_S1C_S1E_T6_T7_T9_mT8_S1G_bDpT10_ENKUlT_T0_E_clISt17integral_constantIbLb1EES1T_IbLb0EEEEDaS1P_S1Q_EUlS1P_E_NS1_11comp_targetILNS1_3genE5ELNS1_11target_archE942ELNS1_3gpuE9ELNS1_3repE0EEENS1_30default_config_static_selectorELNS0_4arch9wavefront6targetE0EEEvS12_,comdat
	.globl	_ZN7rocprim17ROCPRIM_400000_NS6detail17trampoline_kernelINS0_13select_configILj256ELj13ELNS0_17block_load_methodE3ELS4_3ELS4_3ELNS0_20block_scan_algorithmE0ELj4294967295EEENS1_25partition_config_selectorILNS1_17partition_subalgoE4EjNS0_10empty_typeEbEEZZNS1_14partition_implILS8_4ELb0ES6_15HIP_vector_typeIjLj2EENS0_17counting_iteratorIjlEEPS9_SG_NS0_5tupleIJPjSI_NS0_16reverse_iteratorISI_EEEEENSH_IJSG_SG_SG_EEES9_SI_JZNS1_25segmented_radix_sort_implINS0_14default_configELb0EPKdPdPKlPlN2at6native12_GLOBAL__N_18offset_tEEE10hipError_tPvRmT1_PNSt15iterator_traitsIS12_E10value_typeET2_T3_PNS13_IS18_E10value_typeET4_jRbjT5_S1E_jjP12ihipStream_tbEUljE_ZNSN_ISO_Lb0ESQ_SR_ST_SU_SY_EESZ_S10_S11_S12_S16_S17_S18_S1B_S1C_jS1D_jS1E_S1E_jjS1G_bEUljE0_EEESZ_S10_S11_S18_S1C_S1E_T6_T7_T9_mT8_S1G_bDpT10_ENKUlT_T0_E_clISt17integral_constantIbLb1EES1T_IbLb0EEEEDaS1P_S1Q_EUlS1P_E_NS1_11comp_targetILNS1_3genE5ELNS1_11target_archE942ELNS1_3gpuE9ELNS1_3repE0EEENS1_30default_config_static_selectorELNS0_4arch9wavefront6targetE0EEEvS12_ ; -- Begin function _ZN7rocprim17ROCPRIM_400000_NS6detail17trampoline_kernelINS0_13select_configILj256ELj13ELNS0_17block_load_methodE3ELS4_3ELS4_3ELNS0_20block_scan_algorithmE0ELj4294967295EEENS1_25partition_config_selectorILNS1_17partition_subalgoE4EjNS0_10empty_typeEbEEZZNS1_14partition_implILS8_4ELb0ES6_15HIP_vector_typeIjLj2EENS0_17counting_iteratorIjlEEPS9_SG_NS0_5tupleIJPjSI_NS0_16reverse_iteratorISI_EEEEENSH_IJSG_SG_SG_EEES9_SI_JZNS1_25segmented_radix_sort_implINS0_14default_configELb0EPKdPdPKlPlN2at6native12_GLOBAL__N_18offset_tEEE10hipError_tPvRmT1_PNSt15iterator_traitsIS12_E10value_typeET2_T3_PNS13_IS18_E10value_typeET4_jRbjT5_S1E_jjP12ihipStream_tbEUljE_ZNSN_ISO_Lb0ESQ_SR_ST_SU_SY_EESZ_S10_S11_S12_S16_S17_S18_S1B_S1C_jS1D_jS1E_S1E_jjS1G_bEUljE0_EEESZ_S10_S11_S18_S1C_S1E_T6_T7_T9_mT8_S1G_bDpT10_ENKUlT_T0_E_clISt17integral_constantIbLb1EES1T_IbLb0EEEEDaS1P_S1Q_EUlS1P_E_NS1_11comp_targetILNS1_3genE5ELNS1_11target_archE942ELNS1_3gpuE9ELNS1_3repE0EEENS1_30default_config_static_selectorELNS0_4arch9wavefront6targetE0EEEvS12_
	.p2align	8
	.type	_ZN7rocprim17ROCPRIM_400000_NS6detail17trampoline_kernelINS0_13select_configILj256ELj13ELNS0_17block_load_methodE3ELS4_3ELS4_3ELNS0_20block_scan_algorithmE0ELj4294967295EEENS1_25partition_config_selectorILNS1_17partition_subalgoE4EjNS0_10empty_typeEbEEZZNS1_14partition_implILS8_4ELb0ES6_15HIP_vector_typeIjLj2EENS0_17counting_iteratorIjlEEPS9_SG_NS0_5tupleIJPjSI_NS0_16reverse_iteratorISI_EEEEENSH_IJSG_SG_SG_EEES9_SI_JZNS1_25segmented_radix_sort_implINS0_14default_configELb0EPKdPdPKlPlN2at6native12_GLOBAL__N_18offset_tEEE10hipError_tPvRmT1_PNSt15iterator_traitsIS12_E10value_typeET2_T3_PNS13_IS18_E10value_typeET4_jRbjT5_S1E_jjP12ihipStream_tbEUljE_ZNSN_ISO_Lb0ESQ_SR_ST_SU_SY_EESZ_S10_S11_S12_S16_S17_S18_S1B_S1C_jS1D_jS1E_S1E_jjS1G_bEUljE0_EEESZ_S10_S11_S18_S1C_S1E_T6_T7_T9_mT8_S1G_bDpT10_ENKUlT_T0_E_clISt17integral_constantIbLb1EES1T_IbLb0EEEEDaS1P_S1Q_EUlS1P_E_NS1_11comp_targetILNS1_3genE5ELNS1_11target_archE942ELNS1_3gpuE9ELNS1_3repE0EEENS1_30default_config_static_selectorELNS0_4arch9wavefront6targetE0EEEvS12_,@function
_ZN7rocprim17ROCPRIM_400000_NS6detail17trampoline_kernelINS0_13select_configILj256ELj13ELNS0_17block_load_methodE3ELS4_3ELS4_3ELNS0_20block_scan_algorithmE0ELj4294967295EEENS1_25partition_config_selectorILNS1_17partition_subalgoE4EjNS0_10empty_typeEbEEZZNS1_14partition_implILS8_4ELb0ES6_15HIP_vector_typeIjLj2EENS0_17counting_iteratorIjlEEPS9_SG_NS0_5tupleIJPjSI_NS0_16reverse_iteratorISI_EEEEENSH_IJSG_SG_SG_EEES9_SI_JZNS1_25segmented_radix_sort_implINS0_14default_configELb0EPKdPdPKlPlN2at6native12_GLOBAL__N_18offset_tEEE10hipError_tPvRmT1_PNSt15iterator_traitsIS12_E10value_typeET2_T3_PNS13_IS18_E10value_typeET4_jRbjT5_S1E_jjP12ihipStream_tbEUljE_ZNSN_ISO_Lb0ESQ_SR_ST_SU_SY_EESZ_S10_S11_S12_S16_S17_S18_S1B_S1C_jS1D_jS1E_S1E_jjS1G_bEUljE0_EEESZ_S10_S11_S18_S1C_S1E_T6_T7_T9_mT8_S1G_bDpT10_ENKUlT_T0_E_clISt17integral_constantIbLb1EES1T_IbLb0EEEEDaS1P_S1Q_EUlS1P_E_NS1_11comp_targetILNS1_3genE5ELNS1_11target_archE942ELNS1_3gpuE9ELNS1_3repE0EEENS1_30default_config_static_selectorELNS0_4arch9wavefront6targetE0EEEvS12_: ; @_ZN7rocprim17ROCPRIM_400000_NS6detail17trampoline_kernelINS0_13select_configILj256ELj13ELNS0_17block_load_methodE3ELS4_3ELS4_3ELNS0_20block_scan_algorithmE0ELj4294967295EEENS1_25partition_config_selectorILNS1_17partition_subalgoE4EjNS0_10empty_typeEbEEZZNS1_14partition_implILS8_4ELb0ES6_15HIP_vector_typeIjLj2EENS0_17counting_iteratorIjlEEPS9_SG_NS0_5tupleIJPjSI_NS0_16reverse_iteratorISI_EEEEENSH_IJSG_SG_SG_EEES9_SI_JZNS1_25segmented_radix_sort_implINS0_14default_configELb0EPKdPdPKlPlN2at6native12_GLOBAL__N_18offset_tEEE10hipError_tPvRmT1_PNSt15iterator_traitsIS12_E10value_typeET2_T3_PNS13_IS18_E10value_typeET4_jRbjT5_S1E_jjP12ihipStream_tbEUljE_ZNSN_ISO_Lb0ESQ_SR_ST_SU_SY_EESZ_S10_S11_S12_S16_S17_S18_S1B_S1C_jS1D_jS1E_S1E_jjS1G_bEUljE0_EEESZ_S10_S11_S18_S1C_S1E_T6_T7_T9_mT8_S1G_bDpT10_ENKUlT_T0_E_clISt17integral_constantIbLb1EES1T_IbLb0EEEEDaS1P_S1Q_EUlS1P_E_NS1_11comp_targetILNS1_3genE5ELNS1_11target_archE942ELNS1_3gpuE9ELNS1_3repE0EEENS1_30default_config_static_selectorELNS0_4arch9wavefront6targetE0EEEvS12_
; %bb.0:
	.section	.rodata,"a",@progbits
	.p2align	6, 0x0
	.amdhsa_kernel _ZN7rocprim17ROCPRIM_400000_NS6detail17trampoline_kernelINS0_13select_configILj256ELj13ELNS0_17block_load_methodE3ELS4_3ELS4_3ELNS0_20block_scan_algorithmE0ELj4294967295EEENS1_25partition_config_selectorILNS1_17partition_subalgoE4EjNS0_10empty_typeEbEEZZNS1_14partition_implILS8_4ELb0ES6_15HIP_vector_typeIjLj2EENS0_17counting_iteratorIjlEEPS9_SG_NS0_5tupleIJPjSI_NS0_16reverse_iteratorISI_EEEEENSH_IJSG_SG_SG_EEES9_SI_JZNS1_25segmented_radix_sort_implINS0_14default_configELb0EPKdPdPKlPlN2at6native12_GLOBAL__N_18offset_tEEE10hipError_tPvRmT1_PNSt15iterator_traitsIS12_E10value_typeET2_T3_PNS13_IS18_E10value_typeET4_jRbjT5_S1E_jjP12ihipStream_tbEUljE_ZNSN_ISO_Lb0ESQ_SR_ST_SU_SY_EESZ_S10_S11_S12_S16_S17_S18_S1B_S1C_jS1D_jS1E_S1E_jjS1G_bEUljE0_EEESZ_S10_S11_S18_S1C_S1E_T6_T7_T9_mT8_S1G_bDpT10_ENKUlT_T0_E_clISt17integral_constantIbLb1EES1T_IbLb0EEEEDaS1P_S1Q_EUlS1P_E_NS1_11comp_targetILNS1_3genE5ELNS1_11target_archE942ELNS1_3gpuE9ELNS1_3repE0EEENS1_30default_config_static_selectorELNS0_4arch9wavefront6targetE0EEEvS12_
		.amdhsa_group_segment_fixed_size 0
		.amdhsa_private_segment_fixed_size 0
		.amdhsa_kernarg_size 176
		.amdhsa_user_sgpr_count 15
		.amdhsa_user_sgpr_dispatch_ptr 0
		.amdhsa_user_sgpr_queue_ptr 0
		.amdhsa_user_sgpr_kernarg_segment_ptr 1
		.amdhsa_user_sgpr_dispatch_id 0
		.amdhsa_user_sgpr_private_segment_size 0
		.amdhsa_wavefront_size32 1
		.amdhsa_uses_dynamic_stack 0
		.amdhsa_enable_private_segment 0
		.amdhsa_system_sgpr_workgroup_id_x 1
		.amdhsa_system_sgpr_workgroup_id_y 0
		.amdhsa_system_sgpr_workgroup_id_z 0
		.amdhsa_system_sgpr_workgroup_info 0
		.amdhsa_system_vgpr_workitem_id 0
		.amdhsa_next_free_vgpr 1
		.amdhsa_next_free_sgpr 1
		.amdhsa_reserve_vcc 0
		.amdhsa_float_round_mode_32 0
		.amdhsa_float_round_mode_16_64 0
		.amdhsa_float_denorm_mode_32 3
		.amdhsa_float_denorm_mode_16_64 3
		.amdhsa_dx10_clamp 1
		.amdhsa_ieee_mode 1
		.amdhsa_fp16_overflow 0
		.amdhsa_workgroup_processor_mode 1
		.amdhsa_memory_ordered 1
		.amdhsa_forward_progress 0
		.amdhsa_shared_vgpr_count 0
		.amdhsa_exception_fp_ieee_invalid_op 0
		.amdhsa_exception_fp_denorm_src 0
		.amdhsa_exception_fp_ieee_div_zero 0
		.amdhsa_exception_fp_ieee_overflow 0
		.amdhsa_exception_fp_ieee_underflow 0
		.amdhsa_exception_fp_ieee_inexact 0
		.amdhsa_exception_int_div_zero 0
	.end_amdhsa_kernel
	.section	.text._ZN7rocprim17ROCPRIM_400000_NS6detail17trampoline_kernelINS0_13select_configILj256ELj13ELNS0_17block_load_methodE3ELS4_3ELS4_3ELNS0_20block_scan_algorithmE0ELj4294967295EEENS1_25partition_config_selectorILNS1_17partition_subalgoE4EjNS0_10empty_typeEbEEZZNS1_14partition_implILS8_4ELb0ES6_15HIP_vector_typeIjLj2EENS0_17counting_iteratorIjlEEPS9_SG_NS0_5tupleIJPjSI_NS0_16reverse_iteratorISI_EEEEENSH_IJSG_SG_SG_EEES9_SI_JZNS1_25segmented_radix_sort_implINS0_14default_configELb0EPKdPdPKlPlN2at6native12_GLOBAL__N_18offset_tEEE10hipError_tPvRmT1_PNSt15iterator_traitsIS12_E10value_typeET2_T3_PNS13_IS18_E10value_typeET4_jRbjT5_S1E_jjP12ihipStream_tbEUljE_ZNSN_ISO_Lb0ESQ_SR_ST_SU_SY_EESZ_S10_S11_S12_S16_S17_S18_S1B_S1C_jS1D_jS1E_S1E_jjS1G_bEUljE0_EEESZ_S10_S11_S18_S1C_S1E_T6_T7_T9_mT8_S1G_bDpT10_ENKUlT_T0_E_clISt17integral_constantIbLb1EES1T_IbLb0EEEEDaS1P_S1Q_EUlS1P_E_NS1_11comp_targetILNS1_3genE5ELNS1_11target_archE942ELNS1_3gpuE9ELNS1_3repE0EEENS1_30default_config_static_selectorELNS0_4arch9wavefront6targetE0EEEvS12_,"axG",@progbits,_ZN7rocprim17ROCPRIM_400000_NS6detail17trampoline_kernelINS0_13select_configILj256ELj13ELNS0_17block_load_methodE3ELS4_3ELS4_3ELNS0_20block_scan_algorithmE0ELj4294967295EEENS1_25partition_config_selectorILNS1_17partition_subalgoE4EjNS0_10empty_typeEbEEZZNS1_14partition_implILS8_4ELb0ES6_15HIP_vector_typeIjLj2EENS0_17counting_iteratorIjlEEPS9_SG_NS0_5tupleIJPjSI_NS0_16reverse_iteratorISI_EEEEENSH_IJSG_SG_SG_EEES9_SI_JZNS1_25segmented_radix_sort_implINS0_14default_configELb0EPKdPdPKlPlN2at6native12_GLOBAL__N_18offset_tEEE10hipError_tPvRmT1_PNSt15iterator_traitsIS12_E10value_typeET2_T3_PNS13_IS18_E10value_typeET4_jRbjT5_S1E_jjP12ihipStream_tbEUljE_ZNSN_ISO_Lb0ESQ_SR_ST_SU_SY_EESZ_S10_S11_S12_S16_S17_S18_S1B_S1C_jS1D_jS1E_S1E_jjS1G_bEUljE0_EEESZ_S10_S11_S18_S1C_S1E_T6_T7_T9_mT8_S1G_bDpT10_ENKUlT_T0_E_clISt17integral_constantIbLb1EES1T_IbLb0EEEEDaS1P_S1Q_EUlS1P_E_NS1_11comp_targetILNS1_3genE5ELNS1_11target_archE942ELNS1_3gpuE9ELNS1_3repE0EEENS1_30default_config_static_selectorELNS0_4arch9wavefront6targetE0EEEvS12_,comdat
.Lfunc_end1174:
	.size	_ZN7rocprim17ROCPRIM_400000_NS6detail17trampoline_kernelINS0_13select_configILj256ELj13ELNS0_17block_load_methodE3ELS4_3ELS4_3ELNS0_20block_scan_algorithmE0ELj4294967295EEENS1_25partition_config_selectorILNS1_17partition_subalgoE4EjNS0_10empty_typeEbEEZZNS1_14partition_implILS8_4ELb0ES6_15HIP_vector_typeIjLj2EENS0_17counting_iteratorIjlEEPS9_SG_NS0_5tupleIJPjSI_NS0_16reverse_iteratorISI_EEEEENSH_IJSG_SG_SG_EEES9_SI_JZNS1_25segmented_radix_sort_implINS0_14default_configELb0EPKdPdPKlPlN2at6native12_GLOBAL__N_18offset_tEEE10hipError_tPvRmT1_PNSt15iterator_traitsIS12_E10value_typeET2_T3_PNS13_IS18_E10value_typeET4_jRbjT5_S1E_jjP12ihipStream_tbEUljE_ZNSN_ISO_Lb0ESQ_SR_ST_SU_SY_EESZ_S10_S11_S12_S16_S17_S18_S1B_S1C_jS1D_jS1E_S1E_jjS1G_bEUljE0_EEESZ_S10_S11_S18_S1C_S1E_T6_T7_T9_mT8_S1G_bDpT10_ENKUlT_T0_E_clISt17integral_constantIbLb1EES1T_IbLb0EEEEDaS1P_S1Q_EUlS1P_E_NS1_11comp_targetILNS1_3genE5ELNS1_11target_archE942ELNS1_3gpuE9ELNS1_3repE0EEENS1_30default_config_static_selectorELNS0_4arch9wavefront6targetE0EEEvS12_, .Lfunc_end1174-_ZN7rocprim17ROCPRIM_400000_NS6detail17trampoline_kernelINS0_13select_configILj256ELj13ELNS0_17block_load_methodE3ELS4_3ELS4_3ELNS0_20block_scan_algorithmE0ELj4294967295EEENS1_25partition_config_selectorILNS1_17partition_subalgoE4EjNS0_10empty_typeEbEEZZNS1_14partition_implILS8_4ELb0ES6_15HIP_vector_typeIjLj2EENS0_17counting_iteratorIjlEEPS9_SG_NS0_5tupleIJPjSI_NS0_16reverse_iteratorISI_EEEEENSH_IJSG_SG_SG_EEES9_SI_JZNS1_25segmented_radix_sort_implINS0_14default_configELb0EPKdPdPKlPlN2at6native12_GLOBAL__N_18offset_tEEE10hipError_tPvRmT1_PNSt15iterator_traitsIS12_E10value_typeET2_T3_PNS13_IS18_E10value_typeET4_jRbjT5_S1E_jjP12ihipStream_tbEUljE_ZNSN_ISO_Lb0ESQ_SR_ST_SU_SY_EESZ_S10_S11_S12_S16_S17_S18_S1B_S1C_jS1D_jS1E_S1E_jjS1G_bEUljE0_EEESZ_S10_S11_S18_S1C_S1E_T6_T7_T9_mT8_S1G_bDpT10_ENKUlT_T0_E_clISt17integral_constantIbLb1EES1T_IbLb0EEEEDaS1P_S1Q_EUlS1P_E_NS1_11comp_targetILNS1_3genE5ELNS1_11target_archE942ELNS1_3gpuE9ELNS1_3repE0EEENS1_30default_config_static_selectorELNS0_4arch9wavefront6targetE0EEEvS12_
                                        ; -- End function
	.section	.AMDGPU.csdata,"",@progbits
; Kernel info:
; codeLenInByte = 0
; NumSgprs: 0
; NumVgprs: 0
; ScratchSize: 0
; MemoryBound: 0
; FloatMode: 240
; IeeeMode: 1
; LDSByteSize: 0 bytes/workgroup (compile time only)
; SGPRBlocks: 0
; VGPRBlocks: 0
; NumSGPRsForWavesPerEU: 1
; NumVGPRsForWavesPerEU: 1
; Occupancy: 16
; WaveLimiterHint : 0
; COMPUTE_PGM_RSRC2:SCRATCH_EN: 0
; COMPUTE_PGM_RSRC2:USER_SGPR: 15
; COMPUTE_PGM_RSRC2:TRAP_HANDLER: 0
; COMPUTE_PGM_RSRC2:TGID_X_EN: 1
; COMPUTE_PGM_RSRC2:TGID_Y_EN: 0
; COMPUTE_PGM_RSRC2:TGID_Z_EN: 0
; COMPUTE_PGM_RSRC2:TIDIG_COMP_CNT: 0
	.section	.text._ZN7rocprim17ROCPRIM_400000_NS6detail17trampoline_kernelINS0_13select_configILj256ELj13ELNS0_17block_load_methodE3ELS4_3ELS4_3ELNS0_20block_scan_algorithmE0ELj4294967295EEENS1_25partition_config_selectorILNS1_17partition_subalgoE4EjNS0_10empty_typeEbEEZZNS1_14partition_implILS8_4ELb0ES6_15HIP_vector_typeIjLj2EENS0_17counting_iteratorIjlEEPS9_SG_NS0_5tupleIJPjSI_NS0_16reverse_iteratorISI_EEEEENSH_IJSG_SG_SG_EEES9_SI_JZNS1_25segmented_radix_sort_implINS0_14default_configELb0EPKdPdPKlPlN2at6native12_GLOBAL__N_18offset_tEEE10hipError_tPvRmT1_PNSt15iterator_traitsIS12_E10value_typeET2_T3_PNS13_IS18_E10value_typeET4_jRbjT5_S1E_jjP12ihipStream_tbEUljE_ZNSN_ISO_Lb0ESQ_SR_ST_SU_SY_EESZ_S10_S11_S12_S16_S17_S18_S1B_S1C_jS1D_jS1E_S1E_jjS1G_bEUljE0_EEESZ_S10_S11_S18_S1C_S1E_T6_T7_T9_mT8_S1G_bDpT10_ENKUlT_T0_E_clISt17integral_constantIbLb1EES1T_IbLb0EEEEDaS1P_S1Q_EUlS1P_E_NS1_11comp_targetILNS1_3genE4ELNS1_11target_archE910ELNS1_3gpuE8ELNS1_3repE0EEENS1_30default_config_static_selectorELNS0_4arch9wavefront6targetE0EEEvS12_,"axG",@progbits,_ZN7rocprim17ROCPRIM_400000_NS6detail17trampoline_kernelINS0_13select_configILj256ELj13ELNS0_17block_load_methodE3ELS4_3ELS4_3ELNS0_20block_scan_algorithmE0ELj4294967295EEENS1_25partition_config_selectorILNS1_17partition_subalgoE4EjNS0_10empty_typeEbEEZZNS1_14partition_implILS8_4ELb0ES6_15HIP_vector_typeIjLj2EENS0_17counting_iteratorIjlEEPS9_SG_NS0_5tupleIJPjSI_NS0_16reverse_iteratorISI_EEEEENSH_IJSG_SG_SG_EEES9_SI_JZNS1_25segmented_radix_sort_implINS0_14default_configELb0EPKdPdPKlPlN2at6native12_GLOBAL__N_18offset_tEEE10hipError_tPvRmT1_PNSt15iterator_traitsIS12_E10value_typeET2_T3_PNS13_IS18_E10value_typeET4_jRbjT5_S1E_jjP12ihipStream_tbEUljE_ZNSN_ISO_Lb0ESQ_SR_ST_SU_SY_EESZ_S10_S11_S12_S16_S17_S18_S1B_S1C_jS1D_jS1E_S1E_jjS1G_bEUljE0_EEESZ_S10_S11_S18_S1C_S1E_T6_T7_T9_mT8_S1G_bDpT10_ENKUlT_T0_E_clISt17integral_constantIbLb1EES1T_IbLb0EEEEDaS1P_S1Q_EUlS1P_E_NS1_11comp_targetILNS1_3genE4ELNS1_11target_archE910ELNS1_3gpuE8ELNS1_3repE0EEENS1_30default_config_static_selectorELNS0_4arch9wavefront6targetE0EEEvS12_,comdat
	.globl	_ZN7rocprim17ROCPRIM_400000_NS6detail17trampoline_kernelINS0_13select_configILj256ELj13ELNS0_17block_load_methodE3ELS4_3ELS4_3ELNS0_20block_scan_algorithmE0ELj4294967295EEENS1_25partition_config_selectorILNS1_17partition_subalgoE4EjNS0_10empty_typeEbEEZZNS1_14partition_implILS8_4ELb0ES6_15HIP_vector_typeIjLj2EENS0_17counting_iteratorIjlEEPS9_SG_NS0_5tupleIJPjSI_NS0_16reverse_iteratorISI_EEEEENSH_IJSG_SG_SG_EEES9_SI_JZNS1_25segmented_radix_sort_implINS0_14default_configELb0EPKdPdPKlPlN2at6native12_GLOBAL__N_18offset_tEEE10hipError_tPvRmT1_PNSt15iterator_traitsIS12_E10value_typeET2_T3_PNS13_IS18_E10value_typeET4_jRbjT5_S1E_jjP12ihipStream_tbEUljE_ZNSN_ISO_Lb0ESQ_SR_ST_SU_SY_EESZ_S10_S11_S12_S16_S17_S18_S1B_S1C_jS1D_jS1E_S1E_jjS1G_bEUljE0_EEESZ_S10_S11_S18_S1C_S1E_T6_T7_T9_mT8_S1G_bDpT10_ENKUlT_T0_E_clISt17integral_constantIbLb1EES1T_IbLb0EEEEDaS1P_S1Q_EUlS1P_E_NS1_11comp_targetILNS1_3genE4ELNS1_11target_archE910ELNS1_3gpuE8ELNS1_3repE0EEENS1_30default_config_static_selectorELNS0_4arch9wavefront6targetE0EEEvS12_ ; -- Begin function _ZN7rocprim17ROCPRIM_400000_NS6detail17trampoline_kernelINS0_13select_configILj256ELj13ELNS0_17block_load_methodE3ELS4_3ELS4_3ELNS0_20block_scan_algorithmE0ELj4294967295EEENS1_25partition_config_selectorILNS1_17partition_subalgoE4EjNS0_10empty_typeEbEEZZNS1_14partition_implILS8_4ELb0ES6_15HIP_vector_typeIjLj2EENS0_17counting_iteratorIjlEEPS9_SG_NS0_5tupleIJPjSI_NS0_16reverse_iteratorISI_EEEEENSH_IJSG_SG_SG_EEES9_SI_JZNS1_25segmented_radix_sort_implINS0_14default_configELb0EPKdPdPKlPlN2at6native12_GLOBAL__N_18offset_tEEE10hipError_tPvRmT1_PNSt15iterator_traitsIS12_E10value_typeET2_T3_PNS13_IS18_E10value_typeET4_jRbjT5_S1E_jjP12ihipStream_tbEUljE_ZNSN_ISO_Lb0ESQ_SR_ST_SU_SY_EESZ_S10_S11_S12_S16_S17_S18_S1B_S1C_jS1D_jS1E_S1E_jjS1G_bEUljE0_EEESZ_S10_S11_S18_S1C_S1E_T6_T7_T9_mT8_S1G_bDpT10_ENKUlT_T0_E_clISt17integral_constantIbLb1EES1T_IbLb0EEEEDaS1P_S1Q_EUlS1P_E_NS1_11comp_targetILNS1_3genE4ELNS1_11target_archE910ELNS1_3gpuE8ELNS1_3repE0EEENS1_30default_config_static_selectorELNS0_4arch9wavefront6targetE0EEEvS12_
	.p2align	8
	.type	_ZN7rocprim17ROCPRIM_400000_NS6detail17trampoline_kernelINS0_13select_configILj256ELj13ELNS0_17block_load_methodE3ELS4_3ELS4_3ELNS0_20block_scan_algorithmE0ELj4294967295EEENS1_25partition_config_selectorILNS1_17partition_subalgoE4EjNS0_10empty_typeEbEEZZNS1_14partition_implILS8_4ELb0ES6_15HIP_vector_typeIjLj2EENS0_17counting_iteratorIjlEEPS9_SG_NS0_5tupleIJPjSI_NS0_16reverse_iteratorISI_EEEEENSH_IJSG_SG_SG_EEES9_SI_JZNS1_25segmented_radix_sort_implINS0_14default_configELb0EPKdPdPKlPlN2at6native12_GLOBAL__N_18offset_tEEE10hipError_tPvRmT1_PNSt15iterator_traitsIS12_E10value_typeET2_T3_PNS13_IS18_E10value_typeET4_jRbjT5_S1E_jjP12ihipStream_tbEUljE_ZNSN_ISO_Lb0ESQ_SR_ST_SU_SY_EESZ_S10_S11_S12_S16_S17_S18_S1B_S1C_jS1D_jS1E_S1E_jjS1G_bEUljE0_EEESZ_S10_S11_S18_S1C_S1E_T6_T7_T9_mT8_S1G_bDpT10_ENKUlT_T0_E_clISt17integral_constantIbLb1EES1T_IbLb0EEEEDaS1P_S1Q_EUlS1P_E_NS1_11comp_targetILNS1_3genE4ELNS1_11target_archE910ELNS1_3gpuE8ELNS1_3repE0EEENS1_30default_config_static_selectorELNS0_4arch9wavefront6targetE0EEEvS12_,@function
_ZN7rocprim17ROCPRIM_400000_NS6detail17trampoline_kernelINS0_13select_configILj256ELj13ELNS0_17block_load_methodE3ELS4_3ELS4_3ELNS0_20block_scan_algorithmE0ELj4294967295EEENS1_25partition_config_selectorILNS1_17partition_subalgoE4EjNS0_10empty_typeEbEEZZNS1_14partition_implILS8_4ELb0ES6_15HIP_vector_typeIjLj2EENS0_17counting_iteratorIjlEEPS9_SG_NS0_5tupleIJPjSI_NS0_16reverse_iteratorISI_EEEEENSH_IJSG_SG_SG_EEES9_SI_JZNS1_25segmented_radix_sort_implINS0_14default_configELb0EPKdPdPKlPlN2at6native12_GLOBAL__N_18offset_tEEE10hipError_tPvRmT1_PNSt15iterator_traitsIS12_E10value_typeET2_T3_PNS13_IS18_E10value_typeET4_jRbjT5_S1E_jjP12ihipStream_tbEUljE_ZNSN_ISO_Lb0ESQ_SR_ST_SU_SY_EESZ_S10_S11_S12_S16_S17_S18_S1B_S1C_jS1D_jS1E_S1E_jjS1G_bEUljE0_EEESZ_S10_S11_S18_S1C_S1E_T6_T7_T9_mT8_S1G_bDpT10_ENKUlT_T0_E_clISt17integral_constantIbLb1EES1T_IbLb0EEEEDaS1P_S1Q_EUlS1P_E_NS1_11comp_targetILNS1_3genE4ELNS1_11target_archE910ELNS1_3gpuE8ELNS1_3repE0EEENS1_30default_config_static_selectorELNS0_4arch9wavefront6targetE0EEEvS12_: ; @_ZN7rocprim17ROCPRIM_400000_NS6detail17trampoline_kernelINS0_13select_configILj256ELj13ELNS0_17block_load_methodE3ELS4_3ELS4_3ELNS0_20block_scan_algorithmE0ELj4294967295EEENS1_25partition_config_selectorILNS1_17partition_subalgoE4EjNS0_10empty_typeEbEEZZNS1_14partition_implILS8_4ELb0ES6_15HIP_vector_typeIjLj2EENS0_17counting_iteratorIjlEEPS9_SG_NS0_5tupleIJPjSI_NS0_16reverse_iteratorISI_EEEEENSH_IJSG_SG_SG_EEES9_SI_JZNS1_25segmented_radix_sort_implINS0_14default_configELb0EPKdPdPKlPlN2at6native12_GLOBAL__N_18offset_tEEE10hipError_tPvRmT1_PNSt15iterator_traitsIS12_E10value_typeET2_T3_PNS13_IS18_E10value_typeET4_jRbjT5_S1E_jjP12ihipStream_tbEUljE_ZNSN_ISO_Lb0ESQ_SR_ST_SU_SY_EESZ_S10_S11_S12_S16_S17_S18_S1B_S1C_jS1D_jS1E_S1E_jjS1G_bEUljE0_EEESZ_S10_S11_S18_S1C_S1E_T6_T7_T9_mT8_S1G_bDpT10_ENKUlT_T0_E_clISt17integral_constantIbLb1EES1T_IbLb0EEEEDaS1P_S1Q_EUlS1P_E_NS1_11comp_targetILNS1_3genE4ELNS1_11target_archE910ELNS1_3gpuE8ELNS1_3repE0EEENS1_30default_config_static_selectorELNS0_4arch9wavefront6targetE0EEEvS12_
; %bb.0:
	.section	.rodata,"a",@progbits
	.p2align	6, 0x0
	.amdhsa_kernel _ZN7rocprim17ROCPRIM_400000_NS6detail17trampoline_kernelINS0_13select_configILj256ELj13ELNS0_17block_load_methodE3ELS4_3ELS4_3ELNS0_20block_scan_algorithmE0ELj4294967295EEENS1_25partition_config_selectorILNS1_17partition_subalgoE4EjNS0_10empty_typeEbEEZZNS1_14partition_implILS8_4ELb0ES6_15HIP_vector_typeIjLj2EENS0_17counting_iteratorIjlEEPS9_SG_NS0_5tupleIJPjSI_NS0_16reverse_iteratorISI_EEEEENSH_IJSG_SG_SG_EEES9_SI_JZNS1_25segmented_radix_sort_implINS0_14default_configELb0EPKdPdPKlPlN2at6native12_GLOBAL__N_18offset_tEEE10hipError_tPvRmT1_PNSt15iterator_traitsIS12_E10value_typeET2_T3_PNS13_IS18_E10value_typeET4_jRbjT5_S1E_jjP12ihipStream_tbEUljE_ZNSN_ISO_Lb0ESQ_SR_ST_SU_SY_EESZ_S10_S11_S12_S16_S17_S18_S1B_S1C_jS1D_jS1E_S1E_jjS1G_bEUljE0_EEESZ_S10_S11_S18_S1C_S1E_T6_T7_T9_mT8_S1G_bDpT10_ENKUlT_T0_E_clISt17integral_constantIbLb1EES1T_IbLb0EEEEDaS1P_S1Q_EUlS1P_E_NS1_11comp_targetILNS1_3genE4ELNS1_11target_archE910ELNS1_3gpuE8ELNS1_3repE0EEENS1_30default_config_static_selectorELNS0_4arch9wavefront6targetE0EEEvS12_
		.amdhsa_group_segment_fixed_size 0
		.amdhsa_private_segment_fixed_size 0
		.amdhsa_kernarg_size 176
		.amdhsa_user_sgpr_count 15
		.amdhsa_user_sgpr_dispatch_ptr 0
		.amdhsa_user_sgpr_queue_ptr 0
		.amdhsa_user_sgpr_kernarg_segment_ptr 1
		.amdhsa_user_sgpr_dispatch_id 0
		.amdhsa_user_sgpr_private_segment_size 0
		.amdhsa_wavefront_size32 1
		.amdhsa_uses_dynamic_stack 0
		.amdhsa_enable_private_segment 0
		.amdhsa_system_sgpr_workgroup_id_x 1
		.amdhsa_system_sgpr_workgroup_id_y 0
		.amdhsa_system_sgpr_workgroup_id_z 0
		.amdhsa_system_sgpr_workgroup_info 0
		.amdhsa_system_vgpr_workitem_id 0
		.amdhsa_next_free_vgpr 1
		.amdhsa_next_free_sgpr 1
		.amdhsa_reserve_vcc 0
		.amdhsa_float_round_mode_32 0
		.amdhsa_float_round_mode_16_64 0
		.amdhsa_float_denorm_mode_32 3
		.amdhsa_float_denorm_mode_16_64 3
		.amdhsa_dx10_clamp 1
		.amdhsa_ieee_mode 1
		.amdhsa_fp16_overflow 0
		.amdhsa_workgroup_processor_mode 1
		.amdhsa_memory_ordered 1
		.amdhsa_forward_progress 0
		.amdhsa_shared_vgpr_count 0
		.amdhsa_exception_fp_ieee_invalid_op 0
		.amdhsa_exception_fp_denorm_src 0
		.amdhsa_exception_fp_ieee_div_zero 0
		.amdhsa_exception_fp_ieee_overflow 0
		.amdhsa_exception_fp_ieee_underflow 0
		.amdhsa_exception_fp_ieee_inexact 0
		.amdhsa_exception_int_div_zero 0
	.end_amdhsa_kernel
	.section	.text._ZN7rocprim17ROCPRIM_400000_NS6detail17trampoline_kernelINS0_13select_configILj256ELj13ELNS0_17block_load_methodE3ELS4_3ELS4_3ELNS0_20block_scan_algorithmE0ELj4294967295EEENS1_25partition_config_selectorILNS1_17partition_subalgoE4EjNS0_10empty_typeEbEEZZNS1_14partition_implILS8_4ELb0ES6_15HIP_vector_typeIjLj2EENS0_17counting_iteratorIjlEEPS9_SG_NS0_5tupleIJPjSI_NS0_16reverse_iteratorISI_EEEEENSH_IJSG_SG_SG_EEES9_SI_JZNS1_25segmented_radix_sort_implINS0_14default_configELb0EPKdPdPKlPlN2at6native12_GLOBAL__N_18offset_tEEE10hipError_tPvRmT1_PNSt15iterator_traitsIS12_E10value_typeET2_T3_PNS13_IS18_E10value_typeET4_jRbjT5_S1E_jjP12ihipStream_tbEUljE_ZNSN_ISO_Lb0ESQ_SR_ST_SU_SY_EESZ_S10_S11_S12_S16_S17_S18_S1B_S1C_jS1D_jS1E_S1E_jjS1G_bEUljE0_EEESZ_S10_S11_S18_S1C_S1E_T6_T7_T9_mT8_S1G_bDpT10_ENKUlT_T0_E_clISt17integral_constantIbLb1EES1T_IbLb0EEEEDaS1P_S1Q_EUlS1P_E_NS1_11comp_targetILNS1_3genE4ELNS1_11target_archE910ELNS1_3gpuE8ELNS1_3repE0EEENS1_30default_config_static_selectorELNS0_4arch9wavefront6targetE0EEEvS12_,"axG",@progbits,_ZN7rocprim17ROCPRIM_400000_NS6detail17trampoline_kernelINS0_13select_configILj256ELj13ELNS0_17block_load_methodE3ELS4_3ELS4_3ELNS0_20block_scan_algorithmE0ELj4294967295EEENS1_25partition_config_selectorILNS1_17partition_subalgoE4EjNS0_10empty_typeEbEEZZNS1_14partition_implILS8_4ELb0ES6_15HIP_vector_typeIjLj2EENS0_17counting_iteratorIjlEEPS9_SG_NS0_5tupleIJPjSI_NS0_16reverse_iteratorISI_EEEEENSH_IJSG_SG_SG_EEES9_SI_JZNS1_25segmented_radix_sort_implINS0_14default_configELb0EPKdPdPKlPlN2at6native12_GLOBAL__N_18offset_tEEE10hipError_tPvRmT1_PNSt15iterator_traitsIS12_E10value_typeET2_T3_PNS13_IS18_E10value_typeET4_jRbjT5_S1E_jjP12ihipStream_tbEUljE_ZNSN_ISO_Lb0ESQ_SR_ST_SU_SY_EESZ_S10_S11_S12_S16_S17_S18_S1B_S1C_jS1D_jS1E_S1E_jjS1G_bEUljE0_EEESZ_S10_S11_S18_S1C_S1E_T6_T7_T9_mT8_S1G_bDpT10_ENKUlT_T0_E_clISt17integral_constantIbLb1EES1T_IbLb0EEEEDaS1P_S1Q_EUlS1P_E_NS1_11comp_targetILNS1_3genE4ELNS1_11target_archE910ELNS1_3gpuE8ELNS1_3repE0EEENS1_30default_config_static_selectorELNS0_4arch9wavefront6targetE0EEEvS12_,comdat
.Lfunc_end1175:
	.size	_ZN7rocprim17ROCPRIM_400000_NS6detail17trampoline_kernelINS0_13select_configILj256ELj13ELNS0_17block_load_methodE3ELS4_3ELS4_3ELNS0_20block_scan_algorithmE0ELj4294967295EEENS1_25partition_config_selectorILNS1_17partition_subalgoE4EjNS0_10empty_typeEbEEZZNS1_14partition_implILS8_4ELb0ES6_15HIP_vector_typeIjLj2EENS0_17counting_iteratorIjlEEPS9_SG_NS0_5tupleIJPjSI_NS0_16reverse_iteratorISI_EEEEENSH_IJSG_SG_SG_EEES9_SI_JZNS1_25segmented_radix_sort_implINS0_14default_configELb0EPKdPdPKlPlN2at6native12_GLOBAL__N_18offset_tEEE10hipError_tPvRmT1_PNSt15iterator_traitsIS12_E10value_typeET2_T3_PNS13_IS18_E10value_typeET4_jRbjT5_S1E_jjP12ihipStream_tbEUljE_ZNSN_ISO_Lb0ESQ_SR_ST_SU_SY_EESZ_S10_S11_S12_S16_S17_S18_S1B_S1C_jS1D_jS1E_S1E_jjS1G_bEUljE0_EEESZ_S10_S11_S18_S1C_S1E_T6_T7_T9_mT8_S1G_bDpT10_ENKUlT_T0_E_clISt17integral_constantIbLb1EES1T_IbLb0EEEEDaS1P_S1Q_EUlS1P_E_NS1_11comp_targetILNS1_3genE4ELNS1_11target_archE910ELNS1_3gpuE8ELNS1_3repE0EEENS1_30default_config_static_selectorELNS0_4arch9wavefront6targetE0EEEvS12_, .Lfunc_end1175-_ZN7rocprim17ROCPRIM_400000_NS6detail17trampoline_kernelINS0_13select_configILj256ELj13ELNS0_17block_load_methodE3ELS4_3ELS4_3ELNS0_20block_scan_algorithmE0ELj4294967295EEENS1_25partition_config_selectorILNS1_17partition_subalgoE4EjNS0_10empty_typeEbEEZZNS1_14partition_implILS8_4ELb0ES6_15HIP_vector_typeIjLj2EENS0_17counting_iteratorIjlEEPS9_SG_NS0_5tupleIJPjSI_NS0_16reverse_iteratorISI_EEEEENSH_IJSG_SG_SG_EEES9_SI_JZNS1_25segmented_radix_sort_implINS0_14default_configELb0EPKdPdPKlPlN2at6native12_GLOBAL__N_18offset_tEEE10hipError_tPvRmT1_PNSt15iterator_traitsIS12_E10value_typeET2_T3_PNS13_IS18_E10value_typeET4_jRbjT5_S1E_jjP12ihipStream_tbEUljE_ZNSN_ISO_Lb0ESQ_SR_ST_SU_SY_EESZ_S10_S11_S12_S16_S17_S18_S1B_S1C_jS1D_jS1E_S1E_jjS1G_bEUljE0_EEESZ_S10_S11_S18_S1C_S1E_T6_T7_T9_mT8_S1G_bDpT10_ENKUlT_T0_E_clISt17integral_constantIbLb1EES1T_IbLb0EEEEDaS1P_S1Q_EUlS1P_E_NS1_11comp_targetILNS1_3genE4ELNS1_11target_archE910ELNS1_3gpuE8ELNS1_3repE0EEENS1_30default_config_static_selectorELNS0_4arch9wavefront6targetE0EEEvS12_
                                        ; -- End function
	.section	.AMDGPU.csdata,"",@progbits
; Kernel info:
; codeLenInByte = 0
; NumSgprs: 0
; NumVgprs: 0
; ScratchSize: 0
; MemoryBound: 0
; FloatMode: 240
; IeeeMode: 1
; LDSByteSize: 0 bytes/workgroup (compile time only)
; SGPRBlocks: 0
; VGPRBlocks: 0
; NumSGPRsForWavesPerEU: 1
; NumVGPRsForWavesPerEU: 1
; Occupancy: 16
; WaveLimiterHint : 0
; COMPUTE_PGM_RSRC2:SCRATCH_EN: 0
; COMPUTE_PGM_RSRC2:USER_SGPR: 15
; COMPUTE_PGM_RSRC2:TRAP_HANDLER: 0
; COMPUTE_PGM_RSRC2:TGID_X_EN: 1
; COMPUTE_PGM_RSRC2:TGID_Y_EN: 0
; COMPUTE_PGM_RSRC2:TGID_Z_EN: 0
; COMPUTE_PGM_RSRC2:TIDIG_COMP_CNT: 0
	.section	.text._ZN7rocprim17ROCPRIM_400000_NS6detail17trampoline_kernelINS0_13select_configILj256ELj13ELNS0_17block_load_methodE3ELS4_3ELS4_3ELNS0_20block_scan_algorithmE0ELj4294967295EEENS1_25partition_config_selectorILNS1_17partition_subalgoE4EjNS0_10empty_typeEbEEZZNS1_14partition_implILS8_4ELb0ES6_15HIP_vector_typeIjLj2EENS0_17counting_iteratorIjlEEPS9_SG_NS0_5tupleIJPjSI_NS0_16reverse_iteratorISI_EEEEENSH_IJSG_SG_SG_EEES9_SI_JZNS1_25segmented_radix_sort_implINS0_14default_configELb0EPKdPdPKlPlN2at6native12_GLOBAL__N_18offset_tEEE10hipError_tPvRmT1_PNSt15iterator_traitsIS12_E10value_typeET2_T3_PNS13_IS18_E10value_typeET4_jRbjT5_S1E_jjP12ihipStream_tbEUljE_ZNSN_ISO_Lb0ESQ_SR_ST_SU_SY_EESZ_S10_S11_S12_S16_S17_S18_S1B_S1C_jS1D_jS1E_S1E_jjS1G_bEUljE0_EEESZ_S10_S11_S18_S1C_S1E_T6_T7_T9_mT8_S1G_bDpT10_ENKUlT_T0_E_clISt17integral_constantIbLb1EES1T_IbLb0EEEEDaS1P_S1Q_EUlS1P_E_NS1_11comp_targetILNS1_3genE3ELNS1_11target_archE908ELNS1_3gpuE7ELNS1_3repE0EEENS1_30default_config_static_selectorELNS0_4arch9wavefront6targetE0EEEvS12_,"axG",@progbits,_ZN7rocprim17ROCPRIM_400000_NS6detail17trampoline_kernelINS0_13select_configILj256ELj13ELNS0_17block_load_methodE3ELS4_3ELS4_3ELNS0_20block_scan_algorithmE0ELj4294967295EEENS1_25partition_config_selectorILNS1_17partition_subalgoE4EjNS0_10empty_typeEbEEZZNS1_14partition_implILS8_4ELb0ES6_15HIP_vector_typeIjLj2EENS0_17counting_iteratorIjlEEPS9_SG_NS0_5tupleIJPjSI_NS0_16reverse_iteratorISI_EEEEENSH_IJSG_SG_SG_EEES9_SI_JZNS1_25segmented_radix_sort_implINS0_14default_configELb0EPKdPdPKlPlN2at6native12_GLOBAL__N_18offset_tEEE10hipError_tPvRmT1_PNSt15iterator_traitsIS12_E10value_typeET2_T3_PNS13_IS18_E10value_typeET4_jRbjT5_S1E_jjP12ihipStream_tbEUljE_ZNSN_ISO_Lb0ESQ_SR_ST_SU_SY_EESZ_S10_S11_S12_S16_S17_S18_S1B_S1C_jS1D_jS1E_S1E_jjS1G_bEUljE0_EEESZ_S10_S11_S18_S1C_S1E_T6_T7_T9_mT8_S1G_bDpT10_ENKUlT_T0_E_clISt17integral_constantIbLb1EES1T_IbLb0EEEEDaS1P_S1Q_EUlS1P_E_NS1_11comp_targetILNS1_3genE3ELNS1_11target_archE908ELNS1_3gpuE7ELNS1_3repE0EEENS1_30default_config_static_selectorELNS0_4arch9wavefront6targetE0EEEvS12_,comdat
	.globl	_ZN7rocprim17ROCPRIM_400000_NS6detail17trampoline_kernelINS0_13select_configILj256ELj13ELNS0_17block_load_methodE3ELS4_3ELS4_3ELNS0_20block_scan_algorithmE0ELj4294967295EEENS1_25partition_config_selectorILNS1_17partition_subalgoE4EjNS0_10empty_typeEbEEZZNS1_14partition_implILS8_4ELb0ES6_15HIP_vector_typeIjLj2EENS0_17counting_iteratorIjlEEPS9_SG_NS0_5tupleIJPjSI_NS0_16reverse_iteratorISI_EEEEENSH_IJSG_SG_SG_EEES9_SI_JZNS1_25segmented_radix_sort_implINS0_14default_configELb0EPKdPdPKlPlN2at6native12_GLOBAL__N_18offset_tEEE10hipError_tPvRmT1_PNSt15iterator_traitsIS12_E10value_typeET2_T3_PNS13_IS18_E10value_typeET4_jRbjT5_S1E_jjP12ihipStream_tbEUljE_ZNSN_ISO_Lb0ESQ_SR_ST_SU_SY_EESZ_S10_S11_S12_S16_S17_S18_S1B_S1C_jS1D_jS1E_S1E_jjS1G_bEUljE0_EEESZ_S10_S11_S18_S1C_S1E_T6_T7_T9_mT8_S1G_bDpT10_ENKUlT_T0_E_clISt17integral_constantIbLb1EES1T_IbLb0EEEEDaS1P_S1Q_EUlS1P_E_NS1_11comp_targetILNS1_3genE3ELNS1_11target_archE908ELNS1_3gpuE7ELNS1_3repE0EEENS1_30default_config_static_selectorELNS0_4arch9wavefront6targetE0EEEvS12_ ; -- Begin function _ZN7rocprim17ROCPRIM_400000_NS6detail17trampoline_kernelINS0_13select_configILj256ELj13ELNS0_17block_load_methodE3ELS4_3ELS4_3ELNS0_20block_scan_algorithmE0ELj4294967295EEENS1_25partition_config_selectorILNS1_17partition_subalgoE4EjNS0_10empty_typeEbEEZZNS1_14partition_implILS8_4ELb0ES6_15HIP_vector_typeIjLj2EENS0_17counting_iteratorIjlEEPS9_SG_NS0_5tupleIJPjSI_NS0_16reverse_iteratorISI_EEEEENSH_IJSG_SG_SG_EEES9_SI_JZNS1_25segmented_radix_sort_implINS0_14default_configELb0EPKdPdPKlPlN2at6native12_GLOBAL__N_18offset_tEEE10hipError_tPvRmT1_PNSt15iterator_traitsIS12_E10value_typeET2_T3_PNS13_IS18_E10value_typeET4_jRbjT5_S1E_jjP12ihipStream_tbEUljE_ZNSN_ISO_Lb0ESQ_SR_ST_SU_SY_EESZ_S10_S11_S12_S16_S17_S18_S1B_S1C_jS1D_jS1E_S1E_jjS1G_bEUljE0_EEESZ_S10_S11_S18_S1C_S1E_T6_T7_T9_mT8_S1G_bDpT10_ENKUlT_T0_E_clISt17integral_constantIbLb1EES1T_IbLb0EEEEDaS1P_S1Q_EUlS1P_E_NS1_11comp_targetILNS1_3genE3ELNS1_11target_archE908ELNS1_3gpuE7ELNS1_3repE0EEENS1_30default_config_static_selectorELNS0_4arch9wavefront6targetE0EEEvS12_
	.p2align	8
	.type	_ZN7rocprim17ROCPRIM_400000_NS6detail17trampoline_kernelINS0_13select_configILj256ELj13ELNS0_17block_load_methodE3ELS4_3ELS4_3ELNS0_20block_scan_algorithmE0ELj4294967295EEENS1_25partition_config_selectorILNS1_17partition_subalgoE4EjNS0_10empty_typeEbEEZZNS1_14partition_implILS8_4ELb0ES6_15HIP_vector_typeIjLj2EENS0_17counting_iteratorIjlEEPS9_SG_NS0_5tupleIJPjSI_NS0_16reverse_iteratorISI_EEEEENSH_IJSG_SG_SG_EEES9_SI_JZNS1_25segmented_radix_sort_implINS0_14default_configELb0EPKdPdPKlPlN2at6native12_GLOBAL__N_18offset_tEEE10hipError_tPvRmT1_PNSt15iterator_traitsIS12_E10value_typeET2_T3_PNS13_IS18_E10value_typeET4_jRbjT5_S1E_jjP12ihipStream_tbEUljE_ZNSN_ISO_Lb0ESQ_SR_ST_SU_SY_EESZ_S10_S11_S12_S16_S17_S18_S1B_S1C_jS1D_jS1E_S1E_jjS1G_bEUljE0_EEESZ_S10_S11_S18_S1C_S1E_T6_T7_T9_mT8_S1G_bDpT10_ENKUlT_T0_E_clISt17integral_constantIbLb1EES1T_IbLb0EEEEDaS1P_S1Q_EUlS1P_E_NS1_11comp_targetILNS1_3genE3ELNS1_11target_archE908ELNS1_3gpuE7ELNS1_3repE0EEENS1_30default_config_static_selectorELNS0_4arch9wavefront6targetE0EEEvS12_,@function
_ZN7rocprim17ROCPRIM_400000_NS6detail17trampoline_kernelINS0_13select_configILj256ELj13ELNS0_17block_load_methodE3ELS4_3ELS4_3ELNS0_20block_scan_algorithmE0ELj4294967295EEENS1_25partition_config_selectorILNS1_17partition_subalgoE4EjNS0_10empty_typeEbEEZZNS1_14partition_implILS8_4ELb0ES6_15HIP_vector_typeIjLj2EENS0_17counting_iteratorIjlEEPS9_SG_NS0_5tupleIJPjSI_NS0_16reverse_iteratorISI_EEEEENSH_IJSG_SG_SG_EEES9_SI_JZNS1_25segmented_radix_sort_implINS0_14default_configELb0EPKdPdPKlPlN2at6native12_GLOBAL__N_18offset_tEEE10hipError_tPvRmT1_PNSt15iterator_traitsIS12_E10value_typeET2_T3_PNS13_IS18_E10value_typeET4_jRbjT5_S1E_jjP12ihipStream_tbEUljE_ZNSN_ISO_Lb0ESQ_SR_ST_SU_SY_EESZ_S10_S11_S12_S16_S17_S18_S1B_S1C_jS1D_jS1E_S1E_jjS1G_bEUljE0_EEESZ_S10_S11_S18_S1C_S1E_T6_T7_T9_mT8_S1G_bDpT10_ENKUlT_T0_E_clISt17integral_constantIbLb1EES1T_IbLb0EEEEDaS1P_S1Q_EUlS1P_E_NS1_11comp_targetILNS1_3genE3ELNS1_11target_archE908ELNS1_3gpuE7ELNS1_3repE0EEENS1_30default_config_static_selectorELNS0_4arch9wavefront6targetE0EEEvS12_: ; @_ZN7rocprim17ROCPRIM_400000_NS6detail17trampoline_kernelINS0_13select_configILj256ELj13ELNS0_17block_load_methodE3ELS4_3ELS4_3ELNS0_20block_scan_algorithmE0ELj4294967295EEENS1_25partition_config_selectorILNS1_17partition_subalgoE4EjNS0_10empty_typeEbEEZZNS1_14partition_implILS8_4ELb0ES6_15HIP_vector_typeIjLj2EENS0_17counting_iteratorIjlEEPS9_SG_NS0_5tupleIJPjSI_NS0_16reverse_iteratorISI_EEEEENSH_IJSG_SG_SG_EEES9_SI_JZNS1_25segmented_radix_sort_implINS0_14default_configELb0EPKdPdPKlPlN2at6native12_GLOBAL__N_18offset_tEEE10hipError_tPvRmT1_PNSt15iterator_traitsIS12_E10value_typeET2_T3_PNS13_IS18_E10value_typeET4_jRbjT5_S1E_jjP12ihipStream_tbEUljE_ZNSN_ISO_Lb0ESQ_SR_ST_SU_SY_EESZ_S10_S11_S12_S16_S17_S18_S1B_S1C_jS1D_jS1E_S1E_jjS1G_bEUljE0_EEESZ_S10_S11_S18_S1C_S1E_T6_T7_T9_mT8_S1G_bDpT10_ENKUlT_T0_E_clISt17integral_constantIbLb1EES1T_IbLb0EEEEDaS1P_S1Q_EUlS1P_E_NS1_11comp_targetILNS1_3genE3ELNS1_11target_archE908ELNS1_3gpuE7ELNS1_3repE0EEENS1_30default_config_static_selectorELNS0_4arch9wavefront6targetE0EEEvS12_
; %bb.0:
	.section	.rodata,"a",@progbits
	.p2align	6, 0x0
	.amdhsa_kernel _ZN7rocprim17ROCPRIM_400000_NS6detail17trampoline_kernelINS0_13select_configILj256ELj13ELNS0_17block_load_methodE3ELS4_3ELS4_3ELNS0_20block_scan_algorithmE0ELj4294967295EEENS1_25partition_config_selectorILNS1_17partition_subalgoE4EjNS0_10empty_typeEbEEZZNS1_14partition_implILS8_4ELb0ES6_15HIP_vector_typeIjLj2EENS0_17counting_iteratorIjlEEPS9_SG_NS0_5tupleIJPjSI_NS0_16reverse_iteratorISI_EEEEENSH_IJSG_SG_SG_EEES9_SI_JZNS1_25segmented_radix_sort_implINS0_14default_configELb0EPKdPdPKlPlN2at6native12_GLOBAL__N_18offset_tEEE10hipError_tPvRmT1_PNSt15iterator_traitsIS12_E10value_typeET2_T3_PNS13_IS18_E10value_typeET4_jRbjT5_S1E_jjP12ihipStream_tbEUljE_ZNSN_ISO_Lb0ESQ_SR_ST_SU_SY_EESZ_S10_S11_S12_S16_S17_S18_S1B_S1C_jS1D_jS1E_S1E_jjS1G_bEUljE0_EEESZ_S10_S11_S18_S1C_S1E_T6_T7_T9_mT8_S1G_bDpT10_ENKUlT_T0_E_clISt17integral_constantIbLb1EES1T_IbLb0EEEEDaS1P_S1Q_EUlS1P_E_NS1_11comp_targetILNS1_3genE3ELNS1_11target_archE908ELNS1_3gpuE7ELNS1_3repE0EEENS1_30default_config_static_selectorELNS0_4arch9wavefront6targetE0EEEvS12_
		.amdhsa_group_segment_fixed_size 0
		.amdhsa_private_segment_fixed_size 0
		.amdhsa_kernarg_size 176
		.amdhsa_user_sgpr_count 15
		.amdhsa_user_sgpr_dispatch_ptr 0
		.amdhsa_user_sgpr_queue_ptr 0
		.amdhsa_user_sgpr_kernarg_segment_ptr 1
		.amdhsa_user_sgpr_dispatch_id 0
		.amdhsa_user_sgpr_private_segment_size 0
		.amdhsa_wavefront_size32 1
		.amdhsa_uses_dynamic_stack 0
		.amdhsa_enable_private_segment 0
		.amdhsa_system_sgpr_workgroup_id_x 1
		.amdhsa_system_sgpr_workgroup_id_y 0
		.amdhsa_system_sgpr_workgroup_id_z 0
		.amdhsa_system_sgpr_workgroup_info 0
		.amdhsa_system_vgpr_workitem_id 0
		.amdhsa_next_free_vgpr 1
		.amdhsa_next_free_sgpr 1
		.amdhsa_reserve_vcc 0
		.amdhsa_float_round_mode_32 0
		.amdhsa_float_round_mode_16_64 0
		.amdhsa_float_denorm_mode_32 3
		.amdhsa_float_denorm_mode_16_64 3
		.amdhsa_dx10_clamp 1
		.amdhsa_ieee_mode 1
		.amdhsa_fp16_overflow 0
		.amdhsa_workgroup_processor_mode 1
		.amdhsa_memory_ordered 1
		.amdhsa_forward_progress 0
		.amdhsa_shared_vgpr_count 0
		.amdhsa_exception_fp_ieee_invalid_op 0
		.amdhsa_exception_fp_denorm_src 0
		.amdhsa_exception_fp_ieee_div_zero 0
		.amdhsa_exception_fp_ieee_overflow 0
		.amdhsa_exception_fp_ieee_underflow 0
		.amdhsa_exception_fp_ieee_inexact 0
		.amdhsa_exception_int_div_zero 0
	.end_amdhsa_kernel
	.section	.text._ZN7rocprim17ROCPRIM_400000_NS6detail17trampoline_kernelINS0_13select_configILj256ELj13ELNS0_17block_load_methodE3ELS4_3ELS4_3ELNS0_20block_scan_algorithmE0ELj4294967295EEENS1_25partition_config_selectorILNS1_17partition_subalgoE4EjNS0_10empty_typeEbEEZZNS1_14partition_implILS8_4ELb0ES6_15HIP_vector_typeIjLj2EENS0_17counting_iteratorIjlEEPS9_SG_NS0_5tupleIJPjSI_NS0_16reverse_iteratorISI_EEEEENSH_IJSG_SG_SG_EEES9_SI_JZNS1_25segmented_radix_sort_implINS0_14default_configELb0EPKdPdPKlPlN2at6native12_GLOBAL__N_18offset_tEEE10hipError_tPvRmT1_PNSt15iterator_traitsIS12_E10value_typeET2_T3_PNS13_IS18_E10value_typeET4_jRbjT5_S1E_jjP12ihipStream_tbEUljE_ZNSN_ISO_Lb0ESQ_SR_ST_SU_SY_EESZ_S10_S11_S12_S16_S17_S18_S1B_S1C_jS1D_jS1E_S1E_jjS1G_bEUljE0_EEESZ_S10_S11_S18_S1C_S1E_T6_T7_T9_mT8_S1G_bDpT10_ENKUlT_T0_E_clISt17integral_constantIbLb1EES1T_IbLb0EEEEDaS1P_S1Q_EUlS1P_E_NS1_11comp_targetILNS1_3genE3ELNS1_11target_archE908ELNS1_3gpuE7ELNS1_3repE0EEENS1_30default_config_static_selectorELNS0_4arch9wavefront6targetE0EEEvS12_,"axG",@progbits,_ZN7rocprim17ROCPRIM_400000_NS6detail17trampoline_kernelINS0_13select_configILj256ELj13ELNS0_17block_load_methodE3ELS4_3ELS4_3ELNS0_20block_scan_algorithmE0ELj4294967295EEENS1_25partition_config_selectorILNS1_17partition_subalgoE4EjNS0_10empty_typeEbEEZZNS1_14partition_implILS8_4ELb0ES6_15HIP_vector_typeIjLj2EENS0_17counting_iteratorIjlEEPS9_SG_NS0_5tupleIJPjSI_NS0_16reverse_iteratorISI_EEEEENSH_IJSG_SG_SG_EEES9_SI_JZNS1_25segmented_radix_sort_implINS0_14default_configELb0EPKdPdPKlPlN2at6native12_GLOBAL__N_18offset_tEEE10hipError_tPvRmT1_PNSt15iterator_traitsIS12_E10value_typeET2_T3_PNS13_IS18_E10value_typeET4_jRbjT5_S1E_jjP12ihipStream_tbEUljE_ZNSN_ISO_Lb0ESQ_SR_ST_SU_SY_EESZ_S10_S11_S12_S16_S17_S18_S1B_S1C_jS1D_jS1E_S1E_jjS1G_bEUljE0_EEESZ_S10_S11_S18_S1C_S1E_T6_T7_T9_mT8_S1G_bDpT10_ENKUlT_T0_E_clISt17integral_constantIbLb1EES1T_IbLb0EEEEDaS1P_S1Q_EUlS1P_E_NS1_11comp_targetILNS1_3genE3ELNS1_11target_archE908ELNS1_3gpuE7ELNS1_3repE0EEENS1_30default_config_static_selectorELNS0_4arch9wavefront6targetE0EEEvS12_,comdat
.Lfunc_end1176:
	.size	_ZN7rocprim17ROCPRIM_400000_NS6detail17trampoline_kernelINS0_13select_configILj256ELj13ELNS0_17block_load_methodE3ELS4_3ELS4_3ELNS0_20block_scan_algorithmE0ELj4294967295EEENS1_25partition_config_selectorILNS1_17partition_subalgoE4EjNS0_10empty_typeEbEEZZNS1_14partition_implILS8_4ELb0ES6_15HIP_vector_typeIjLj2EENS0_17counting_iteratorIjlEEPS9_SG_NS0_5tupleIJPjSI_NS0_16reverse_iteratorISI_EEEEENSH_IJSG_SG_SG_EEES9_SI_JZNS1_25segmented_radix_sort_implINS0_14default_configELb0EPKdPdPKlPlN2at6native12_GLOBAL__N_18offset_tEEE10hipError_tPvRmT1_PNSt15iterator_traitsIS12_E10value_typeET2_T3_PNS13_IS18_E10value_typeET4_jRbjT5_S1E_jjP12ihipStream_tbEUljE_ZNSN_ISO_Lb0ESQ_SR_ST_SU_SY_EESZ_S10_S11_S12_S16_S17_S18_S1B_S1C_jS1D_jS1E_S1E_jjS1G_bEUljE0_EEESZ_S10_S11_S18_S1C_S1E_T6_T7_T9_mT8_S1G_bDpT10_ENKUlT_T0_E_clISt17integral_constantIbLb1EES1T_IbLb0EEEEDaS1P_S1Q_EUlS1P_E_NS1_11comp_targetILNS1_3genE3ELNS1_11target_archE908ELNS1_3gpuE7ELNS1_3repE0EEENS1_30default_config_static_selectorELNS0_4arch9wavefront6targetE0EEEvS12_, .Lfunc_end1176-_ZN7rocprim17ROCPRIM_400000_NS6detail17trampoline_kernelINS0_13select_configILj256ELj13ELNS0_17block_load_methodE3ELS4_3ELS4_3ELNS0_20block_scan_algorithmE0ELj4294967295EEENS1_25partition_config_selectorILNS1_17partition_subalgoE4EjNS0_10empty_typeEbEEZZNS1_14partition_implILS8_4ELb0ES6_15HIP_vector_typeIjLj2EENS0_17counting_iteratorIjlEEPS9_SG_NS0_5tupleIJPjSI_NS0_16reverse_iteratorISI_EEEEENSH_IJSG_SG_SG_EEES9_SI_JZNS1_25segmented_radix_sort_implINS0_14default_configELb0EPKdPdPKlPlN2at6native12_GLOBAL__N_18offset_tEEE10hipError_tPvRmT1_PNSt15iterator_traitsIS12_E10value_typeET2_T3_PNS13_IS18_E10value_typeET4_jRbjT5_S1E_jjP12ihipStream_tbEUljE_ZNSN_ISO_Lb0ESQ_SR_ST_SU_SY_EESZ_S10_S11_S12_S16_S17_S18_S1B_S1C_jS1D_jS1E_S1E_jjS1G_bEUljE0_EEESZ_S10_S11_S18_S1C_S1E_T6_T7_T9_mT8_S1G_bDpT10_ENKUlT_T0_E_clISt17integral_constantIbLb1EES1T_IbLb0EEEEDaS1P_S1Q_EUlS1P_E_NS1_11comp_targetILNS1_3genE3ELNS1_11target_archE908ELNS1_3gpuE7ELNS1_3repE0EEENS1_30default_config_static_selectorELNS0_4arch9wavefront6targetE0EEEvS12_
                                        ; -- End function
	.section	.AMDGPU.csdata,"",@progbits
; Kernel info:
; codeLenInByte = 0
; NumSgprs: 0
; NumVgprs: 0
; ScratchSize: 0
; MemoryBound: 0
; FloatMode: 240
; IeeeMode: 1
; LDSByteSize: 0 bytes/workgroup (compile time only)
; SGPRBlocks: 0
; VGPRBlocks: 0
; NumSGPRsForWavesPerEU: 1
; NumVGPRsForWavesPerEU: 1
; Occupancy: 16
; WaveLimiterHint : 0
; COMPUTE_PGM_RSRC2:SCRATCH_EN: 0
; COMPUTE_PGM_RSRC2:USER_SGPR: 15
; COMPUTE_PGM_RSRC2:TRAP_HANDLER: 0
; COMPUTE_PGM_RSRC2:TGID_X_EN: 1
; COMPUTE_PGM_RSRC2:TGID_Y_EN: 0
; COMPUTE_PGM_RSRC2:TGID_Z_EN: 0
; COMPUTE_PGM_RSRC2:TIDIG_COMP_CNT: 0
	.section	.text._ZN7rocprim17ROCPRIM_400000_NS6detail17trampoline_kernelINS0_13select_configILj256ELj13ELNS0_17block_load_methodE3ELS4_3ELS4_3ELNS0_20block_scan_algorithmE0ELj4294967295EEENS1_25partition_config_selectorILNS1_17partition_subalgoE4EjNS0_10empty_typeEbEEZZNS1_14partition_implILS8_4ELb0ES6_15HIP_vector_typeIjLj2EENS0_17counting_iteratorIjlEEPS9_SG_NS0_5tupleIJPjSI_NS0_16reverse_iteratorISI_EEEEENSH_IJSG_SG_SG_EEES9_SI_JZNS1_25segmented_radix_sort_implINS0_14default_configELb0EPKdPdPKlPlN2at6native12_GLOBAL__N_18offset_tEEE10hipError_tPvRmT1_PNSt15iterator_traitsIS12_E10value_typeET2_T3_PNS13_IS18_E10value_typeET4_jRbjT5_S1E_jjP12ihipStream_tbEUljE_ZNSN_ISO_Lb0ESQ_SR_ST_SU_SY_EESZ_S10_S11_S12_S16_S17_S18_S1B_S1C_jS1D_jS1E_S1E_jjS1G_bEUljE0_EEESZ_S10_S11_S18_S1C_S1E_T6_T7_T9_mT8_S1G_bDpT10_ENKUlT_T0_E_clISt17integral_constantIbLb1EES1T_IbLb0EEEEDaS1P_S1Q_EUlS1P_E_NS1_11comp_targetILNS1_3genE2ELNS1_11target_archE906ELNS1_3gpuE6ELNS1_3repE0EEENS1_30default_config_static_selectorELNS0_4arch9wavefront6targetE0EEEvS12_,"axG",@progbits,_ZN7rocprim17ROCPRIM_400000_NS6detail17trampoline_kernelINS0_13select_configILj256ELj13ELNS0_17block_load_methodE3ELS4_3ELS4_3ELNS0_20block_scan_algorithmE0ELj4294967295EEENS1_25partition_config_selectorILNS1_17partition_subalgoE4EjNS0_10empty_typeEbEEZZNS1_14partition_implILS8_4ELb0ES6_15HIP_vector_typeIjLj2EENS0_17counting_iteratorIjlEEPS9_SG_NS0_5tupleIJPjSI_NS0_16reverse_iteratorISI_EEEEENSH_IJSG_SG_SG_EEES9_SI_JZNS1_25segmented_radix_sort_implINS0_14default_configELb0EPKdPdPKlPlN2at6native12_GLOBAL__N_18offset_tEEE10hipError_tPvRmT1_PNSt15iterator_traitsIS12_E10value_typeET2_T3_PNS13_IS18_E10value_typeET4_jRbjT5_S1E_jjP12ihipStream_tbEUljE_ZNSN_ISO_Lb0ESQ_SR_ST_SU_SY_EESZ_S10_S11_S12_S16_S17_S18_S1B_S1C_jS1D_jS1E_S1E_jjS1G_bEUljE0_EEESZ_S10_S11_S18_S1C_S1E_T6_T7_T9_mT8_S1G_bDpT10_ENKUlT_T0_E_clISt17integral_constantIbLb1EES1T_IbLb0EEEEDaS1P_S1Q_EUlS1P_E_NS1_11comp_targetILNS1_3genE2ELNS1_11target_archE906ELNS1_3gpuE6ELNS1_3repE0EEENS1_30default_config_static_selectorELNS0_4arch9wavefront6targetE0EEEvS12_,comdat
	.globl	_ZN7rocprim17ROCPRIM_400000_NS6detail17trampoline_kernelINS0_13select_configILj256ELj13ELNS0_17block_load_methodE3ELS4_3ELS4_3ELNS0_20block_scan_algorithmE0ELj4294967295EEENS1_25partition_config_selectorILNS1_17partition_subalgoE4EjNS0_10empty_typeEbEEZZNS1_14partition_implILS8_4ELb0ES6_15HIP_vector_typeIjLj2EENS0_17counting_iteratorIjlEEPS9_SG_NS0_5tupleIJPjSI_NS0_16reverse_iteratorISI_EEEEENSH_IJSG_SG_SG_EEES9_SI_JZNS1_25segmented_radix_sort_implINS0_14default_configELb0EPKdPdPKlPlN2at6native12_GLOBAL__N_18offset_tEEE10hipError_tPvRmT1_PNSt15iterator_traitsIS12_E10value_typeET2_T3_PNS13_IS18_E10value_typeET4_jRbjT5_S1E_jjP12ihipStream_tbEUljE_ZNSN_ISO_Lb0ESQ_SR_ST_SU_SY_EESZ_S10_S11_S12_S16_S17_S18_S1B_S1C_jS1D_jS1E_S1E_jjS1G_bEUljE0_EEESZ_S10_S11_S18_S1C_S1E_T6_T7_T9_mT8_S1G_bDpT10_ENKUlT_T0_E_clISt17integral_constantIbLb1EES1T_IbLb0EEEEDaS1P_S1Q_EUlS1P_E_NS1_11comp_targetILNS1_3genE2ELNS1_11target_archE906ELNS1_3gpuE6ELNS1_3repE0EEENS1_30default_config_static_selectorELNS0_4arch9wavefront6targetE0EEEvS12_ ; -- Begin function _ZN7rocprim17ROCPRIM_400000_NS6detail17trampoline_kernelINS0_13select_configILj256ELj13ELNS0_17block_load_methodE3ELS4_3ELS4_3ELNS0_20block_scan_algorithmE0ELj4294967295EEENS1_25partition_config_selectorILNS1_17partition_subalgoE4EjNS0_10empty_typeEbEEZZNS1_14partition_implILS8_4ELb0ES6_15HIP_vector_typeIjLj2EENS0_17counting_iteratorIjlEEPS9_SG_NS0_5tupleIJPjSI_NS0_16reverse_iteratorISI_EEEEENSH_IJSG_SG_SG_EEES9_SI_JZNS1_25segmented_radix_sort_implINS0_14default_configELb0EPKdPdPKlPlN2at6native12_GLOBAL__N_18offset_tEEE10hipError_tPvRmT1_PNSt15iterator_traitsIS12_E10value_typeET2_T3_PNS13_IS18_E10value_typeET4_jRbjT5_S1E_jjP12ihipStream_tbEUljE_ZNSN_ISO_Lb0ESQ_SR_ST_SU_SY_EESZ_S10_S11_S12_S16_S17_S18_S1B_S1C_jS1D_jS1E_S1E_jjS1G_bEUljE0_EEESZ_S10_S11_S18_S1C_S1E_T6_T7_T9_mT8_S1G_bDpT10_ENKUlT_T0_E_clISt17integral_constantIbLb1EES1T_IbLb0EEEEDaS1P_S1Q_EUlS1P_E_NS1_11comp_targetILNS1_3genE2ELNS1_11target_archE906ELNS1_3gpuE6ELNS1_3repE0EEENS1_30default_config_static_selectorELNS0_4arch9wavefront6targetE0EEEvS12_
	.p2align	8
	.type	_ZN7rocprim17ROCPRIM_400000_NS6detail17trampoline_kernelINS0_13select_configILj256ELj13ELNS0_17block_load_methodE3ELS4_3ELS4_3ELNS0_20block_scan_algorithmE0ELj4294967295EEENS1_25partition_config_selectorILNS1_17partition_subalgoE4EjNS0_10empty_typeEbEEZZNS1_14partition_implILS8_4ELb0ES6_15HIP_vector_typeIjLj2EENS0_17counting_iteratorIjlEEPS9_SG_NS0_5tupleIJPjSI_NS0_16reverse_iteratorISI_EEEEENSH_IJSG_SG_SG_EEES9_SI_JZNS1_25segmented_radix_sort_implINS0_14default_configELb0EPKdPdPKlPlN2at6native12_GLOBAL__N_18offset_tEEE10hipError_tPvRmT1_PNSt15iterator_traitsIS12_E10value_typeET2_T3_PNS13_IS18_E10value_typeET4_jRbjT5_S1E_jjP12ihipStream_tbEUljE_ZNSN_ISO_Lb0ESQ_SR_ST_SU_SY_EESZ_S10_S11_S12_S16_S17_S18_S1B_S1C_jS1D_jS1E_S1E_jjS1G_bEUljE0_EEESZ_S10_S11_S18_S1C_S1E_T6_T7_T9_mT8_S1G_bDpT10_ENKUlT_T0_E_clISt17integral_constantIbLb1EES1T_IbLb0EEEEDaS1P_S1Q_EUlS1P_E_NS1_11comp_targetILNS1_3genE2ELNS1_11target_archE906ELNS1_3gpuE6ELNS1_3repE0EEENS1_30default_config_static_selectorELNS0_4arch9wavefront6targetE0EEEvS12_,@function
_ZN7rocprim17ROCPRIM_400000_NS6detail17trampoline_kernelINS0_13select_configILj256ELj13ELNS0_17block_load_methodE3ELS4_3ELS4_3ELNS0_20block_scan_algorithmE0ELj4294967295EEENS1_25partition_config_selectorILNS1_17partition_subalgoE4EjNS0_10empty_typeEbEEZZNS1_14partition_implILS8_4ELb0ES6_15HIP_vector_typeIjLj2EENS0_17counting_iteratorIjlEEPS9_SG_NS0_5tupleIJPjSI_NS0_16reverse_iteratorISI_EEEEENSH_IJSG_SG_SG_EEES9_SI_JZNS1_25segmented_radix_sort_implINS0_14default_configELb0EPKdPdPKlPlN2at6native12_GLOBAL__N_18offset_tEEE10hipError_tPvRmT1_PNSt15iterator_traitsIS12_E10value_typeET2_T3_PNS13_IS18_E10value_typeET4_jRbjT5_S1E_jjP12ihipStream_tbEUljE_ZNSN_ISO_Lb0ESQ_SR_ST_SU_SY_EESZ_S10_S11_S12_S16_S17_S18_S1B_S1C_jS1D_jS1E_S1E_jjS1G_bEUljE0_EEESZ_S10_S11_S18_S1C_S1E_T6_T7_T9_mT8_S1G_bDpT10_ENKUlT_T0_E_clISt17integral_constantIbLb1EES1T_IbLb0EEEEDaS1P_S1Q_EUlS1P_E_NS1_11comp_targetILNS1_3genE2ELNS1_11target_archE906ELNS1_3gpuE6ELNS1_3repE0EEENS1_30default_config_static_selectorELNS0_4arch9wavefront6targetE0EEEvS12_: ; @_ZN7rocprim17ROCPRIM_400000_NS6detail17trampoline_kernelINS0_13select_configILj256ELj13ELNS0_17block_load_methodE3ELS4_3ELS4_3ELNS0_20block_scan_algorithmE0ELj4294967295EEENS1_25partition_config_selectorILNS1_17partition_subalgoE4EjNS0_10empty_typeEbEEZZNS1_14partition_implILS8_4ELb0ES6_15HIP_vector_typeIjLj2EENS0_17counting_iteratorIjlEEPS9_SG_NS0_5tupleIJPjSI_NS0_16reverse_iteratorISI_EEEEENSH_IJSG_SG_SG_EEES9_SI_JZNS1_25segmented_radix_sort_implINS0_14default_configELb0EPKdPdPKlPlN2at6native12_GLOBAL__N_18offset_tEEE10hipError_tPvRmT1_PNSt15iterator_traitsIS12_E10value_typeET2_T3_PNS13_IS18_E10value_typeET4_jRbjT5_S1E_jjP12ihipStream_tbEUljE_ZNSN_ISO_Lb0ESQ_SR_ST_SU_SY_EESZ_S10_S11_S12_S16_S17_S18_S1B_S1C_jS1D_jS1E_S1E_jjS1G_bEUljE0_EEESZ_S10_S11_S18_S1C_S1E_T6_T7_T9_mT8_S1G_bDpT10_ENKUlT_T0_E_clISt17integral_constantIbLb1EES1T_IbLb0EEEEDaS1P_S1Q_EUlS1P_E_NS1_11comp_targetILNS1_3genE2ELNS1_11target_archE906ELNS1_3gpuE6ELNS1_3repE0EEENS1_30default_config_static_selectorELNS0_4arch9wavefront6targetE0EEEvS12_
; %bb.0:
	.section	.rodata,"a",@progbits
	.p2align	6, 0x0
	.amdhsa_kernel _ZN7rocprim17ROCPRIM_400000_NS6detail17trampoline_kernelINS0_13select_configILj256ELj13ELNS0_17block_load_methodE3ELS4_3ELS4_3ELNS0_20block_scan_algorithmE0ELj4294967295EEENS1_25partition_config_selectorILNS1_17partition_subalgoE4EjNS0_10empty_typeEbEEZZNS1_14partition_implILS8_4ELb0ES6_15HIP_vector_typeIjLj2EENS0_17counting_iteratorIjlEEPS9_SG_NS0_5tupleIJPjSI_NS0_16reverse_iteratorISI_EEEEENSH_IJSG_SG_SG_EEES9_SI_JZNS1_25segmented_radix_sort_implINS0_14default_configELb0EPKdPdPKlPlN2at6native12_GLOBAL__N_18offset_tEEE10hipError_tPvRmT1_PNSt15iterator_traitsIS12_E10value_typeET2_T3_PNS13_IS18_E10value_typeET4_jRbjT5_S1E_jjP12ihipStream_tbEUljE_ZNSN_ISO_Lb0ESQ_SR_ST_SU_SY_EESZ_S10_S11_S12_S16_S17_S18_S1B_S1C_jS1D_jS1E_S1E_jjS1G_bEUljE0_EEESZ_S10_S11_S18_S1C_S1E_T6_T7_T9_mT8_S1G_bDpT10_ENKUlT_T0_E_clISt17integral_constantIbLb1EES1T_IbLb0EEEEDaS1P_S1Q_EUlS1P_E_NS1_11comp_targetILNS1_3genE2ELNS1_11target_archE906ELNS1_3gpuE6ELNS1_3repE0EEENS1_30default_config_static_selectorELNS0_4arch9wavefront6targetE0EEEvS12_
		.amdhsa_group_segment_fixed_size 0
		.amdhsa_private_segment_fixed_size 0
		.amdhsa_kernarg_size 176
		.amdhsa_user_sgpr_count 15
		.amdhsa_user_sgpr_dispatch_ptr 0
		.amdhsa_user_sgpr_queue_ptr 0
		.amdhsa_user_sgpr_kernarg_segment_ptr 1
		.amdhsa_user_sgpr_dispatch_id 0
		.amdhsa_user_sgpr_private_segment_size 0
		.amdhsa_wavefront_size32 1
		.amdhsa_uses_dynamic_stack 0
		.amdhsa_enable_private_segment 0
		.amdhsa_system_sgpr_workgroup_id_x 1
		.amdhsa_system_sgpr_workgroup_id_y 0
		.amdhsa_system_sgpr_workgroup_id_z 0
		.amdhsa_system_sgpr_workgroup_info 0
		.amdhsa_system_vgpr_workitem_id 0
		.amdhsa_next_free_vgpr 1
		.amdhsa_next_free_sgpr 1
		.amdhsa_reserve_vcc 0
		.amdhsa_float_round_mode_32 0
		.amdhsa_float_round_mode_16_64 0
		.amdhsa_float_denorm_mode_32 3
		.amdhsa_float_denorm_mode_16_64 3
		.amdhsa_dx10_clamp 1
		.amdhsa_ieee_mode 1
		.amdhsa_fp16_overflow 0
		.amdhsa_workgroup_processor_mode 1
		.amdhsa_memory_ordered 1
		.amdhsa_forward_progress 0
		.amdhsa_shared_vgpr_count 0
		.amdhsa_exception_fp_ieee_invalid_op 0
		.amdhsa_exception_fp_denorm_src 0
		.amdhsa_exception_fp_ieee_div_zero 0
		.amdhsa_exception_fp_ieee_overflow 0
		.amdhsa_exception_fp_ieee_underflow 0
		.amdhsa_exception_fp_ieee_inexact 0
		.amdhsa_exception_int_div_zero 0
	.end_amdhsa_kernel
	.section	.text._ZN7rocprim17ROCPRIM_400000_NS6detail17trampoline_kernelINS0_13select_configILj256ELj13ELNS0_17block_load_methodE3ELS4_3ELS4_3ELNS0_20block_scan_algorithmE0ELj4294967295EEENS1_25partition_config_selectorILNS1_17partition_subalgoE4EjNS0_10empty_typeEbEEZZNS1_14partition_implILS8_4ELb0ES6_15HIP_vector_typeIjLj2EENS0_17counting_iteratorIjlEEPS9_SG_NS0_5tupleIJPjSI_NS0_16reverse_iteratorISI_EEEEENSH_IJSG_SG_SG_EEES9_SI_JZNS1_25segmented_radix_sort_implINS0_14default_configELb0EPKdPdPKlPlN2at6native12_GLOBAL__N_18offset_tEEE10hipError_tPvRmT1_PNSt15iterator_traitsIS12_E10value_typeET2_T3_PNS13_IS18_E10value_typeET4_jRbjT5_S1E_jjP12ihipStream_tbEUljE_ZNSN_ISO_Lb0ESQ_SR_ST_SU_SY_EESZ_S10_S11_S12_S16_S17_S18_S1B_S1C_jS1D_jS1E_S1E_jjS1G_bEUljE0_EEESZ_S10_S11_S18_S1C_S1E_T6_T7_T9_mT8_S1G_bDpT10_ENKUlT_T0_E_clISt17integral_constantIbLb1EES1T_IbLb0EEEEDaS1P_S1Q_EUlS1P_E_NS1_11comp_targetILNS1_3genE2ELNS1_11target_archE906ELNS1_3gpuE6ELNS1_3repE0EEENS1_30default_config_static_selectorELNS0_4arch9wavefront6targetE0EEEvS12_,"axG",@progbits,_ZN7rocprim17ROCPRIM_400000_NS6detail17trampoline_kernelINS0_13select_configILj256ELj13ELNS0_17block_load_methodE3ELS4_3ELS4_3ELNS0_20block_scan_algorithmE0ELj4294967295EEENS1_25partition_config_selectorILNS1_17partition_subalgoE4EjNS0_10empty_typeEbEEZZNS1_14partition_implILS8_4ELb0ES6_15HIP_vector_typeIjLj2EENS0_17counting_iteratorIjlEEPS9_SG_NS0_5tupleIJPjSI_NS0_16reverse_iteratorISI_EEEEENSH_IJSG_SG_SG_EEES9_SI_JZNS1_25segmented_radix_sort_implINS0_14default_configELb0EPKdPdPKlPlN2at6native12_GLOBAL__N_18offset_tEEE10hipError_tPvRmT1_PNSt15iterator_traitsIS12_E10value_typeET2_T3_PNS13_IS18_E10value_typeET4_jRbjT5_S1E_jjP12ihipStream_tbEUljE_ZNSN_ISO_Lb0ESQ_SR_ST_SU_SY_EESZ_S10_S11_S12_S16_S17_S18_S1B_S1C_jS1D_jS1E_S1E_jjS1G_bEUljE0_EEESZ_S10_S11_S18_S1C_S1E_T6_T7_T9_mT8_S1G_bDpT10_ENKUlT_T0_E_clISt17integral_constantIbLb1EES1T_IbLb0EEEEDaS1P_S1Q_EUlS1P_E_NS1_11comp_targetILNS1_3genE2ELNS1_11target_archE906ELNS1_3gpuE6ELNS1_3repE0EEENS1_30default_config_static_selectorELNS0_4arch9wavefront6targetE0EEEvS12_,comdat
.Lfunc_end1177:
	.size	_ZN7rocprim17ROCPRIM_400000_NS6detail17trampoline_kernelINS0_13select_configILj256ELj13ELNS0_17block_load_methodE3ELS4_3ELS4_3ELNS0_20block_scan_algorithmE0ELj4294967295EEENS1_25partition_config_selectorILNS1_17partition_subalgoE4EjNS0_10empty_typeEbEEZZNS1_14partition_implILS8_4ELb0ES6_15HIP_vector_typeIjLj2EENS0_17counting_iteratorIjlEEPS9_SG_NS0_5tupleIJPjSI_NS0_16reverse_iteratorISI_EEEEENSH_IJSG_SG_SG_EEES9_SI_JZNS1_25segmented_radix_sort_implINS0_14default_configELb0EPKdPdPKlPlN2at6native12_GLOBAL__N_18offset_tEEE10hipError_tPvRmT1_PNSt15iterator_traitsIS12_E10value_typeET2_T3_PNS13_IS18_E10value_typeET4_jRbjT5_S1E_jjP12ihipStream_tbEUljE_ZNSN_ISO_Lb0ESQ_SR_ST_SU_SY_EESZ_S10_S11_S12_S16_S17_S18_S1B_S1C_jS1D_jS1E_S1E_jjS1G_bEUljE0_EEESZ_S10_S11_S18_S1C_S1E_T6_T7_T9_mT8_S1G_bDpT10_ENKUlT_T0_E_clISt17integral_constantIbLb1EES1T_IbLb0EEEEDaS1P_S1Q_EUlS1P_E_NS1_11comp_targetILNS1_3genE2ELNS1_11target_archE906ELNS1_3gpuE6ELNS1_3repE0EEENS1_30default_config_static_selectorELNS0_4arch9wavefront6targetE0EEEvS12_, .Lfunc_end1177-_ZN7rocprim17ROCPRIM_400000_NS6detail17trampoline_kernelINS0_13select_configILj256ELj13ELNS0_17block_load_methodE3ELS4_3ELS4_3ELNS0_20block_scan_algorithmE0ELj4294967295EEENS1_25partition_config_selectorILNS1_17partition_subalgoE4EjNS0_10empty_typeEbEEZZNS1_14partition_implILS8_4ELb0ES6_15HIP_vector_typeIjLj2EENS0_17counting_iteratorIjlEEPS9_SG_NS0_5tupleIJPjSI_NS0_16reverse_iteratorISI_EEEEENSH_IJSG_SG_SG_EEES9_SI_JZNS1_25segmented_radix_sort_implINS0_14default_configELb0EPKdPdPKlPlN2at6native12_GLOBAL__N_18offset_tEEE10hipError_tPvRmT1_PNSt15iterator_traitsIS12_E10value_typeET2_T3_PNS13_IS18_E10value_typeET4_jRbjT5_S1E_jjP12ihipStream_tbEUljE_ZNSN_ISO_Lb0ESQ_SR_ST_SU_SY_EESZ_S10_S11_S12_S16_S17_S18_S1B_S1C_jS1D_jS1E_S1E_jjS1G_bEUljE0_EEESZ_S10_S11_S18_S1C_S1E_T6_T7_T9_mT8_S1G_bDpT10_ENKUlT_T0_E_clISt17integral_constantIbLb1EES1T_IbLb0EEEEDaS1P_S1Q_EUlS1P_E_NS1_11comp_targetILNS1_3genE2ELNS1_11target_archE906ELNS1_3gpuE6ELNS1_3repE0EEENS1_30default_config_static_selectorELNS0_4arch9wavefront6targetE0EEEvS12_
                                        ; -- End function
	.section	.AMDGPU.csdata,"",@progbits
; Kernel info:
; codeLenInByte = 0
; NumSgprs: 0
; NumVgprs: 0
; ScratchSize: 0
; MemoryBound: 0
; FloatMode: 240
; IeeeMode: 1
; LDSByteSize: 0 bytes/workgroup (compile time only)
; SGPRBlocks: 0
; VGPRBlocks: 0
; NumSGPRsForWavesPerEU: 1
; NumVGPRsForWavesPerEU: 1
; Occupancy: 16
; WaveLimiterHint : 0
; COMPUTE_PGM_RSRC2:SCRATCH_EN: 0
; COMPUTE_PGM_RSRC2:USER_SGPR: 15
; COMPUTE_PGM_RSRC2:TRAP_HANDLER: 0
; COMPUTE_PGM_RSRC2:TGID_X_EN: 1
; COMPUTE_PGM_RSRC2:TGID_Y_EN: 0
; COMPUTE_PGM_RSRC2:TGID_Z_EN: 0
; COMPUTE_PGM_RSRC2:TIDIG_COMP_CNT: 0
	.section	.text._ZN7rocprim17ROCPRIM_400000_NS6detail17trampoline_kernelINS0_13select_configILj256ELj13ELNS0_17block_load_methodE3ELS4_3ELS4_3ELNS0_20block_scan_algorithmE0ELj4294967295EEENS1_25partition_config_selectorILNS1_17partition_subalgoE4EjNS0_10empty_typeEbEEZZNS1_14partition_implILS8_4ELb0ES6_15HIP_vector_typeIjLj2EENS0_17counting_iteratorIjlEEPS9_SG_NS0_5tupleIJPjSI_NS0_16reverse_iteratorISI_EEEEENSH_IJSG_SG_SG_EEES9_SI_JZNS1_25segmented_radix_sort_implINS0_14default_configELb0EPKdPdPKlPlN2at6native12_GLOBAL__N_18offset_tEEE10hipError_tPvRmT1_PNSt15iterator_traitsIS12_E10value_typeET2_T3_PNS13_IS18_E10value_typeET4_jRbjT5_S1E_jjP12ihipStream_tbEUljE_ZNSN_ISO_Lb0ESQ_SR_ST_SU_SY_EESZ_S10_S11_S12_S16_S17_S18_S1B_S1C_jS1D_jS1E_S1E_jjS1G_bEUljE0_EEESZ_S10_S11_S18_S1C_S1E_T6_T7_T9_mT8_S1G_bDpT10_ENKUlT_T0_E_clISt17integral_constantIbLb1EES1T_IbLb0EEEEDaS1P_S1Q_EUlS1P_E_NS1_11comp_targetILNS1_3genE10ELNS1_11target_archE1200ELNS1_3gpuE4ELNS1_3repE0EEENS1_30default_config_static_selectorELNS0_4arch9wavefront6targetE0EEEvS12_,"axG",@progbits,_ZN7rocprim17ROCPRIM_400000_NS6detail17trampoline_kernelINS0_13select_configILj256ELj13ELNS0_17block_load_methodE3ELS4_3ELS4_3ELNS0_20block_scan_algorithmE0ELj4294967295EEENS1_25partition_config_selectorILNS1_17partition_subalgoE4EjNS0_10empty_typeEbEEZZNS1_14partition_implILS8_4ELb0ES6_15HIP_vector_typeIjLj2EENS0_17counting_iteratorIjlEEPS9_SG_NS0_5tupleIJPjSI_NS0_16reverse_iteratorISI_EEEEENSH_IJSG_SG_SG_EEES9_SI_JZNS1_25segmented_radix_sort_implINS0_14default_configELb0EPKdPdPKlPlN2at6native12_GLOBAL__N_18offset_tEEE10hipError_tPvRmT1_PNSt15iterator_traitsIS12_E10value_typeET2_T3_PNS13_IS18_E10value_typeET4_jRbjT5_S1E_jjP12ihipStream_tbEUljE_ZNSN_ISO_Lb0ESQ_SR_ST_SU_SY_EESZ_S10_S11_S12_S16_S17_S18_S1B_S1C_jS1D_jS1E_S1E_jjS1G_bEUljE0_EEESZ_S10_S11_S18_S1C_S1E_T6_T7_T9_mT8_S1G_bDpT10_ENKUlT_T0_E_clISt17integral_constantIbLb1EES1T_IbLb0EEEEDaS1P_S1Q_EUlS1P_E_NS1_11comp_targetILNS1_3genE10ELNS1_11target_archE1200ELNS1_3gpuE4ELNS1_3repE0EEENS1_30default_config_static_selectorELNS0_4arch9wavefront6targetE0EEEvS12_,comdat
	.globl	_ZN7rocprim17ROCPRIM_400000_NS6detail17trampoline_kernelINS0_13select_configILj256ELj13ELNS0_17block_load_methodE3ELS4_3ELS4_3ELNS0_20block_scan_algorithmE0ELj4294967295EEENS1_25partition_config_selectorILNS1_17partition_subalgoE4EjNS0_10empty_typeEbEEZZNS1_14partition_implILS8_4ELb0ES6_15HIP_vector_typeIjLj2EENS0_17counting_iteratorIjlEEPS9_SG_NS0_5tupleIJPjSI_NS0_16reverse_iteratorISI_EEEEENSH_IJSG_SG_SG_EEES9_SI_JZNS1_25segmented_radix_sort_implINS0_14default_configELb0EPKdPdPKlPlN2at6native12_GLOBAL__N_18offset_tEEE10hipError_tPvRmT1_PNSt15iterator_traitsIS12_E10value_typeET2_T3_PNS13_IS18_E10value_typeET4_jRbjT5_S1E_jjP12ihipStream_tbEUljE_ZNSN_ISO_Lb0ESQ_SR_ST_SU_SY_EESZ_S10_S11_S12_S16_S17_S18_S1B_S1C_jS1D_jS1E_S1E_jjS1G_bEUljE0_EEESZ_S10_S11_S18_S1C_S1E_T6_T7_T9_mT8_S1G_bDpT10_ENKUlT_T0_E_clISt17integral_constantIbLb1EES1T_IbLb0EEEEDaS1P_S1Q_EUlS1P_E_NS1_11comp_targetILNS1_3genE10ELNS1_11target_archE1200ELNS1_3gpuE4ELNS1_3repE0EEENS1_30default_config_static_selectorELNS0_4arch9wavefront6targetE0EEEvS12_ ; -- Begin function _ZN7rocprim17ROCPRIM_400000_NS6detail17trampoline_kernelINS0_13select_configILj256ELj13ELNS0_17block_load_methodE3ELS4_3ELS4_3ELNS0_20block_scan_algorithmE0ELj4294967295EEENS1_25partition_config_selectorILNS1_17partition_subalgoE4EjNS0_10empty_typeEbEEZZNS1_14partition_implILS8_4ELb0ES6_15HIP_vector_typeIjLj2EENS0_17counting_iteratorIjlEEPS9_SG_NS0_5tupleIJPjSI_NS0_16reverse_iteratorISI_EEEEENSH_IJSG_SG_SG_EEES9_SI_JZNS1_25segmented_radix_sort_implINS0_14default_configELb0EPKdPdPKlPlN2at6native12_GLOBAL__N_18offset_tEEE10hipError_tPvRmT1_PNSt15iterator_traitsIS12_E10value_typeET2_T3_PNS13_IS18_E10value_typeET4_jRbjT5_S1E_jjP12ihipStream_tbEUljE_ZNSN_ISO_Lb0ESQ_SR_ST_SU_SY_EESZ_S10_S11_S12_S16_S17_S18_S1B_S1C_jS1D_jS1E_S1E_jjS1G_bEUljE0_EEESZ_S10_S11_S18_S1C_S1E_T6_T7_T9_mT8_S1G_bDpT10_ENKUlT_T0_E_clISt17integral_constantIbLb1EES1T_IbLb0EEEEDaS1P_S1Q_EUlS1P_E_NS1_11comp_targetILNS1_3genE10ELNS1_11target_archE1200ELNS1_3gpuE4ELNS1_3repE0EEENS1_30default_config_static_selectorELNS0_4arch9wavefront6targetE0EEEvS12_
	.p2align	8
	.type	_ZN7rocprim17ROCPRIM_400000_NS6detail17trampoline_kernelINS0_13select_configILj256ELj13ELNS0_17block_load_methodE3ELS4_3ELS4_3ELNS0_20block_scan_algorithmE0ELj4294967295EEENS1_25partition_config_selectorILNS1_17partition_subalgoE4EjNS0_10empty_typeEbEEZZNS1_14partition_implILS8_4ELb0ES6_15HIP_vector_typeIjLj2EENS0_17counting_iteratorIjlEEPS9_SG_NS0_5tupleIJPjSI_NS0_16reverse_iteratorISI_EEEEENSH_IJSG_SG_SG_EEES9_SI_JZNS1_25segmented_radix_sort_implINS0_14default_configELb0EPKdPdPKlPlN2at6native12_GLOBAL__N_18offset_tEEE10hipError_tPvRmT1_PNSt15iterator_traitsIS12_E10value_typeET2_T3_PNS13_IS18_E10value_typeET4_jRbjT5_S1E_jjP12ihipStream_tbEUljE_ZNSN_ISO_Lb0ESQ_SR_ST_SU_SY_EESZ_S10_S11_S12_S16_S17_S18_S1B_S1C_jS1D_jS1E_S1E_jjS1G_bEUljE0_EEESZ_S10_S11_S18_S1C_S1E_T6_T7_T9_mT8_S1G_bDpT10_ENKUlT_T0_E_clISt17integral_constantIbLb1EES1T_IbLb0EEEEDaS1P_S1Q_EUlS1P_E_NS1_11comp_targetILNS1_3genE10ELNS1_11target_archE1200ELNS1_3gpuE4ELNS1_3repE0EEENS1_30default_config_static_selectorELNS0_4arch9wavefront6targetE0EEEvS12_,@function
_ZN7rocprim17ROCPRIM_400000_NS6detail17trampoline_kernelINS0_13select_configILj256ELj13ELNS0_17block_load_methodE3ELS4_3ELS4_3ELNS0_20block_scan_algorithmE0ELj4294967295EEENS1_25partition_config_selectorILNS1_17partition_subalgoE4EjNS0_10empty_typeEbEEZZNS1_14partition_implILS8_4ELb0ES6_15HIP_vector_typeIjLj2EENS0_17counting_iteratorIjlEEPS9_SG_NS0_5tupleIJPjSI_NS0_16reverse_iteratorISI_EEEEENSH_IJSG_SG_SG_EEES9_SI_JZNS1_25segmented_radix_sort_implINS0_14default_configELb0EPKdPdPKlPlN2at6native12_GLOBAL__N_18offset_tEEE10hipError_tPvRmT1_PNSt15iterator_traitsIS12_E10value_typeET2_T3_PNS13_IS18_E10value_typeET4_jRbjT5_S1E_jjP12ihipStream_tbEUljE_ZNSN_ISO_Lb0ESQ_SR_ST_SU_SY_EESZ_S10_S11_S12_S16_S17_S18_S1B_S1C_jS1D_jS1E_S1E_jjS1G_bEUljE0_EEESZ_S10_S11_S18_S1C_S1E_T6_T7_T9_mT8_S1G_bDpT10_ENKUlT_T0_E_clISt17integral_constantIbLb1EES1T_IbLb0EEEEDaS1P_S1Q_EUlS1P_E_NS1_11comp_targetILNS1_3genE10ELNS1_11target_archE1200ELNS1_3gpuE4ELNS1_3repE0EEENS1_30default_config_static_selectorELNS0_4arch9wavefront6targetE0EEEvS12_: ; @_ZN7rocprim17ROCPRIM_400000_NS6detail17trampoline_kernelINS0_13select_configILj256ELj13ELNS0_17block_load_methodE3ELS4_3ELS4_3ELNS0_20block_scan_algorithmE0ELj4294967295EEENS1_25partition_config_selectorILNS1_17partition_subalgoE4EjNS0_10empty_typeEbEEZZNS1_14partition_implILS8_4ELb0ES6_15HIP_vector_typeIjLj2EENS0_17counting_iteratorIjlEEPS9_SG_NS0_5tupleIJPjSI_NS0_16reverse_iteratorISI_EEEEENSH_IJSG_SG_SG_EEES9_SI_JZNS1_25segmented_radix_sort_implINS0_14default_configELb0EPKdPdPKlPlN2at6native12_GLOBAL__N_18offset_tEEE10hipError_tPvRmT1_PNSt15iterator_traitsIS12_E10value_typeET2_T3_PNS13_IS18_E10value_typeET4_jRbjT5_S1E_jjP12ihipStream_tbEUljE_ZNSN_ISO_Lb0ESQ_SR_ST_SU_SY_EESZ_S10_S11_S12_S16_S17_S18_S1B_S1C_jS1D_jS1E_S1E_jjS1G_bEUljE0_EEESZ_S10_S11_S18_S1C_S1E_T6_T7_T9_mT8_S1G_bDpT10_ENKUlT_T0_E_clISt17integral_constantIbLb1EES1T_IbLb0EEEEDaS1P_S1Q_EUlS1P_E_NS1_11comp_targetILNS1_3genE10ELNS1_11target_archE1200ELNS1_3gpuE4ELNS1_3repE0EEENS1_30default_config_static_selectorELNS0_4arch9wavefront6targetE0EEEvS12_
; %bb.0:
	.section	.rodata,"a",@progbits
	.p2align	6, 0x0
	.amdhsa_kernel _ZN7rocprim17ROCPRIM_400000_NS6detail17trampoline_kernelINS0_13select_configILj256ELj13ELNS0_17block_load_methodE3ELS4_3ELS4_3ELNS0_20block_scan_algorithmE0ELj4294967295EEENS1_25partition_config_selectorILNS1_17partition_subalgoE4EjNS0_10empty_typeEbEEZZNS1_14partition_implILS8_4ELb0ES6_15HIP_vector_typeIjLj2EENS0_17counting_iteratorIjlEEPS9_SG_NS0_5tupleIJPjSI_NS0_16reverse_iteratorISI_EEEEENSH_IJSG_SG_SG_EEES9_SI_JZNS1_25segmented_radix_sort_implINS0_14default_configELb0EPKdPdPKlPlN2at6native12_GLOBAL__N_18offset_tEEE10hipError_tPvRmT1_PNSt15iterator_traitsIS12_E10value_typeET2_T3_PNS13_IS18_E10value_typeET4_jRbjT5_S1E_jjP12ihipStream_tbEUljE_ZNSN_ISO_Lb0ESQ_SR_ST_SU_SY_EESZ_S10_S11_S12_S16_S17_S18_S1B_S1C_jS1D_jS1E_S1E_jjS1G_bEUljE0_EEESZ_S10_S11_S18_S1C_S1E_T6_T7_T9_mT8_S1G_bDpT10_ENKUlT_T0_E_clISt17integral_constantIbLb1EES1T_IbLb0EEEEDaS1P_S1Q_EUlS1P_E_NS1_11comp_targetILNS1_3genE10ELNS1_11target_archE1200ELNS1_3gpuE4ELNS1_3repE0EEENS1_30default_config_static_selectorELNS0_4arch9wavefront6targetE0EEEvS12_
		.amdhsa_group_segment_fixed_size 0
		.amdhsa_private_segment_fixed_size 0
		.amdhsa_kernarg_size 176
		.amdhsa_user_sgpr_count 15
		.amdhsa_user_sgpr_dispatch_ptr 0
		.amdhsa_user_sgpr_queue_ptr 0
		.amdhsa_user_sgpr_kernarg_segment_ptr 1
		.amdhsa_user_sgpr_dispatch_id 0
		.amdhsa_user_sgpr_private_segment_size 0
		.amdhsa_wavefront_size32 1
		.amdhsa_uses_dynamic_stack 0
		.amdhsa_enable_private_segment 0
		.amdhsa_system_sgpr_workgroup_id_x 1
		.amdhsa_system_sgpr_workgroup_id_y 0
		.amdhsa_system_sgpr_workgroup_id_z 0
		.amdhsa_system_sgpr_workgroup_info 0
		.amdhsa_system_vgpr_workitem_id 0
		.amdhsa_next_free_vgpr 1
		.amdhsa_next_free_sgpr 1
		.amdhsa_reserve_vcc 0
		.amdhsa_float_round_mode_32 0
		.amdhsa_float_round_mode_16_64 0
		.amdhsa_float_denorm_mode_32 3
		.amdhsa_float_denorm_mode_16_64 3
		.amdhsa_dx10_clamp 1
		.amdhsa_ieee_mode 1
		.amdhsa_fp16_overflow 0
		.amdhsa_workgroup_processor_mode 1
		.amdhsa_memory_ordered 1
		.amdhsa_forward_progress 0
		.amdhsa_shared_vgpr_count 0
		.amdhsa_exception_fp_ieee_invalid_op 0
		.amdhsa_exception_fp_denorm_src 0
		.amdhsa_exception_fp_ieee_div_zero 0
		.amdhsa_exception_fp_ieee_overflow 0
		.amdhsa_exception_fp_ieee_underflow 0
		.amdhsa_exception_fp_ieee_inexact 0
		.amdhsa_exception_int_div_zero 0
	.end_amdhsa_kernel
	.section	.text._ZN7rocprim17ROCPRIM_400000_NS6detail17trampoline_kernelINS0_13select_configILj256ELj13ELNS0_17block_load_methodE3ELS4_3ELS4_3ELNS0_20block_scan_algorithmE0ELj4294967295EEENS1_25partition_config_selectorILNS1_17partition_subalgoE4EjNS0_10empty_typeEbEEZZNS1_14partition_implILS8_4ELb0ES6_15HIP_vector_typeIjLj2EENS0_17counting_iteratorIjlEEPS9_SG_NS0_5tupleIJPjSI_NS0_16reverse_iteratorISI_EEEEENSH_IJSG_SG_SG_EEES9_SI_JZNS1_25segmented_radix_sort_implINS0_14default_configELb0EPKdPdPKlPlN2at6native12_GLOBAL__N_18offset_tEEE10hipError_tPvRmT1_PNSt15iterator_traitsIS12_E10value_typeET2_T3_PNS13_IS18_E10value_typeET4_jRbjT5_S1E_jjP12ihipStream_tbEUljE_ZNSN_ISO_Lb0ESQ_SR_ST_SU_SY_EESZ_S10_S11_S12_S16_S17_S18_S1B_S1C_jS1D_jS1E_S1E_jjS1G_bEUljE0_EEESZ_S10_S11_S18_S1C_S1E_T6_T7_T9_mT8_S1G_bDpT10_ENKUlT_T0_E_clISt17integral_constantIbLb1EES1T_IbLb0EEEEDaS1P_S1Q_EUlS1P_E_NS1_11comp_targetILNS1_3genE10ELNS1_11target_archE1200ELNS1_3gpuE4ELNS1_3repE0EEENS1_30default_config_static_selectorELNS0_4arch9wavefront6targetE0EEEvS12_,"axG",@progbits,_ZN7rocprim17ROCPRIM_400000_NS6detail17trampoline_kernelINS0_13select_configILj256ELj13ELNS0_17block_load_methodE3ELS4_3ELS4_3ELNS0_20block_scan_algorithmE0ELj4294967295EEENS1_25partition_config_selectorILNS1_17partition_subalgoE4EjNS0_10empty_typeEbEEZZNS1_14partition_implILS8_4ELb0ES6_15HIP_vector_typeIjLj2EENS0_17counting_iteratorIjlEEPS9_SG_NS0_5tupleIJPjSI_NS0_16reverse_iteratorISI_EEEEENSH_IJSG_SG_SG_EEES9_SI_JZNS1_25segmented_radix_sort_implINS0_14default_configELb0EPKdPdPKlPlN2at6native12_GLOBAL__N_18offset_tEEE10hipError_tPvRmT1_PNSt15iterator_traitsIS12_E10value_typeET2_T3_PNS13_IS18_E10value_typeET4_jRbjT5_S1E_jjP12ihipStream_tbEUljE_ZNSN_ISO_Lb0ESQ_SR_ST_SU_SY_EESZ_S10_S11_S12_S16_S17_S18_S1B_S1C_jS1D_jS1E_S1E_jjS1G_bEUljE0_EEESZ_S10_S11_S18_S1C_S1E_T6_T7_T9_mT8_S1G_bDpT10_ENKUlT_T0_E_clISt17integral_constantIbLb1EES1T_IbLb0EEEEDaS1P_S1Q_EUlS1P_E_NS1_11comp_targetILNS1_3genE10ELNS1_11target_archE1200ELNS1_3gpuE4ELNS1_3repE0EEENS1_30default_config_static_selectorELNS0_4arch9wavefront6targetE0EEEvS12_,comdat
.Lfunc_end1178:
	.size	_ZN7rocprim17ROCPRIM_400000_NS6detail17trampoline_kernelINS0_13select_configILj256ELj13ELNS0_17block_load_methodE3ELS4_3ELS4_3ELNS0_20block_scan_algorithmE0ELj4294967295EEENS1_25partition_config_selectorILNS1_17partition_subalgoE4EjNS0_10empty_typeEbEEZZNS1_14partition_implILS8_4ELb0ES6_15HIP_vector_typeIjLj2EENS0_17counting_iteratorIjlEEPS9_SG_NS0_5tupleIJPjSI_NS0_16reverse_iteratorISI_EEEEENSH_IJSG_SG_SG_EEES9_SI_JZNS1_25segmented_radix_sort_implINS0_14default_configELb0EPKdPdPKlPlN2at6native12_GLOBAL__N_18offset_tEEE10hipError_tPvRmT1_PNSt15iterator_traitsIS12_E10value_typeET2_T3_PNS13_IS18_E10value_typeET4_jRbjT5_S1E_jjP12ihipStream_tbEUljE_ZNSN_ISO_Lb0ESQ_SR_ST_SU_SY_EESZ_S10_S11_S12_S16_S17_S18_S1B_S1C_jS1D_jS1E_S1E_jjS1G_bEUljE0_EEESZ_S10_S11_S18_S1C_S1E_T6_T7_T9_mT8_S1G_bDpT10_ENKUlT_T0_E_clISt17integral_constantIbLb1EES1T_IbLb0EEEEDaS1P_S1Q_EUlS1P_E_NS1_11comp_targetILNS1_3genE10ELNS1_11target_archE1200ELNS1_3gpuE4ELNS1_3repE0EEENS1_30default_config_static_selectorELNS0_4arch9wavefront6targetE0EEEvS12_, .Lfunc_end1178-_ZN7rocprim17ROCPRIM_400000_NS6detail17trampoline_kernelINS0_13select_configILj256ELj13ELNS0_17block_load_methodE3ELS4_3ELS4_3ELNS0_20block_scan_algorithmE0ELj4294967295EEENS1_25partition_config_selectorILNS1_17partition_subalgoE4EjNS0_10empty_typeEbEEZZNS1_14partition_implILS8_4ELb0ES6_15HIP_vector_typeIjLj2EENS0_17counting_iteratorIjlEEPS9_SG_NS0_5tupleIJPjSI_NS0_16reverse_iteratorISI_EEEEENSH_IJSG_SG_SG_EEES9_SI_JZNS1_25segmented_radix_sort_implINS0_14default_configELb0EPKdPdPKlPlN2at6native12_GLOBAL__N_18offset_tEEE10hipError_tPvRmT1_PNSt15iterator_traitsIS12_E10value_typeET2_T3_PNS13_IS18_E10value_typeET4_jRbjT5_S1E_jjP12ihipStream_tbEUljE_ZNSN_ISO_Lb0ESQ_SR_ST_SU_SY_EESZ_S10_S11_S12_S16_S17_S18_S1B_S1C_jS1D_jS1E_S1E_jjS1G_bEUljE0_EEESZ_S10_S11_S18_S1C_S1E_T6_T7_T9_mT8_S1G_bDpT10_ENKUlT_T0_E_clISt17integral_constantIbLb1EES1T_IbLb0EEEEDaS1P_S1Q_EUlS1P_E_NS1_11comp_targetILNS1_3genE10ELNS1_11target_archE1200ELNS1_3gpuE4ELNS1_3repE0EEENS1_30default_config_static_selectorELNS0_4arch9wavefront6targetE0EEEvS12_
                                        ; -- End function
	.section	.AMDGPU.csdata,"",@progbits
; Kernel info:
; codeLenInByte = 0
; NumSgprs: 0
; NumVgprs: 0
; ScratchSize: 0
; MemoryBound: 0
; FloatMode: 240
; IeeeMode: 1
; LDSByteSize: 0 bytes/workgroup (compile time only)
; SGPRBlocks: 0
; VGPRBlocks: 0
; NumSGPRsForWavesPerEU: 1
; NumVGPRsForWavesPerEU: 1
; Occupancy: 16
; WaveLimiterHint : 0
; COMPUTE_PGM_RSRC2:SCRATCH_EN: 0
; COMPUTE_PGM_RSRC2:USER_SGPR: 15
; COMPUTE_PGM_RSRC2:TRAP_HANDLER: 0
; COMPUTE_PGM_RSRC2:TGID_X_EN: 1
; COMPUTE_PGM_RSRC2:TGID_Y_EN: 0
; COMPUTE_PGM_RSRC2:TGID_Z_EN: 0
; COMPUTE_PGM_RSRC2:TIDIG_COMP_CNT: 0
	.section	.text._ZN7rocprim17ROCPRIM_400000_NS6detail17trampoline_kernelINS0_13select_configILj256ELj13ELNS0_17block_load_methodE3ELS4_3ELS4_3ELNS0_20block_scan_algorithmE0ELj4294967295EEENS1_25partition_config_selectorILNS1_17partition_subalgoE4EjNS0_10empty_typeEbEEZZNS1_14partition_implILS8_4ELb0ES6_15HIP_vector_typeIjLj2EENS0_17counting_iteratorIjlEEPS9_SG_NS0_5tupleIJPjSI_NS0_16reverse_iteratorISI_EEEEENSH_IJSG_SG_SG_EEES9_SI_JZNS1_25segmented_radix_sort_implINS0_14default_configELb0EPKdPdPKlPlN2at6native12_GLOBAL__N_18offset_tEEE10hipError_tPvRmT1_PNSt15iterator_traitsIS12_E10value_typeET2_T3_PNS13_IS18_E10value_typeET4_jRbjT5_S1E_jjP12ihipStream_tbEUljE_ZNSN_ISO_Lb0ESQ_SR_ST_SU_SY_EESZ_S10_S11_S12_S16_S17_S18_S1B_S1C_jS1D_jS1E_S1E_jjS1G_bEUljE0_EEESZ_S10_S11_S18_S1C_S1E_T6_T7_T9_mT8_S1G_bDpT10_ENKUlT_T0_E_clISt17integral_constantIbLb1EES1T_IbLb0EEEEDaS1P_S1Q_EUlS1P_E_NS1_11comp_targetILNS1_3genE9ELNS1_11target_archE1100ELNS1_3gpuE3ELNS1_3repE0EEENS1_30default_config_static_selectorELNS0_4arch9wavefront6targetE0EEEvS12_,"axG",@progbits,_ZN7rocprim17ROCPRIM_400000_NS6detail17trampoline_kernelINS0_13select_configILj256ELj13ELNS0_17block_load_methodE3ELS4_3ELS4_3ELNS0_20block_scan_algorithmE0ELj4294967295EEENS1_25partition_config_selectorILNS1_17partition_subalgoE4EjNS0_10empty_typeEbEEZZNS1_14partition_implILS8_4ELb0ES6_15HIP_vector_typeIjLj2EENS0_17counting_iteratorIjlEEPS9_SG_NS0_5tupleIJPjSI_NS0_16reverse_iteratorISI_EEEEENSH_IJSG_SG_SG_EEES9_SI_JZNS1_25segmented_radix_sort_implINS0_14default_configELb0EPKdPdPKlPlN2at6native12_GLOBAL__N_18offset_tEEE10hipError_tPvRmT1_PNSt15iterator_traitsIS12_E10value_typeET2_T3_PNS13_IS18_E10value_typeET4_jRbjT5_S1E_jjP12ihipStream_tbEUljE_ZNSN_ISO_Lb0ESQ_SR_ST_SU_SY_EESZ_S10_S11_S12_S16_S17_S18_S1B_S1C_jS1D_jS1E_S1E_jjS1G_bEUljE0_EEESZ_S10_S11_S18_S1C_S1E_T6_T7_T9_mT8_S1G_bDpT10_ENKUlT_T0_E_clISt17integral_constantIbLb1EES1T_IbLb0EEEEDaS1P_S1Q_EUlS1P_E_NS1_11comp_targetILNS1_3genE9ELNS1_11target_archE1100ELNS1_3gpuE3ELNS1_3repE0EEENS1_30default_config_static_selectorELNS0_4arch9wavefront6targetE0EEEvS12_,comdat
	.globl	_ZN7rocprim17ROCPRIM_400000_NS6detail17trampoline_kernelINS0_13select_configILj256ELj13ELNS0_17block_load_methodE3ELS4_3ELS4_3ELNS0_20block_scan_algorithmE0ELj4294967295EEENS1_25partition_config_selectorILNS1_17partition_subalgoE4EjNS0_10empty_typeEbEEZZNS1_14partition_implILS8_4ELb0ES6_15HIP_vector_typeIjLj2EENS0_17counting_iteratorIjlEEPS9_SG_NS0_5tupleIJPjSI_NS0_16reverse_iteratorISI_EEEEENSH_IJSG_SG_SG_EEES9_SI_JZNS1_25segmented_radix_sort_implINS0_14default_configELb0EPKdPdPKlPlN2at6native12_GLOBAL__N_18offset_tEEE10hipError_tPvRmT1_PNSt15iterator_traitsIS12_E10value_typeET2_T3_PNS13_IS18_E10value_typeET4_jRbjT5_S1E_jjP12ihipStream_tbEUljE_ZNSN_ISO_Lb0ESQ_SR_ST_SU_SY_EESZ_S10_S11_S12_S16_S17_S18_S1B_S1C_jS1D_jS1E_S1E_jjS1G_bEUljE0_EEESZ_S10_S11_S18_S1C_S1E_T6_T7_T9_mT8_S1G_bDpT10_ENKUlT_T0_E_clISt17integral_constantIbLb1EES1T_IbLb0EEEEDaS1P_S1Q_EUlS1P_E_NS1_11comp_targetILNS1_3genE9ELNS1_11target_archE1100ELNS1_3gpuE3ELNS1_3repE0EEENS1_30default_config_static_selectorELNS0_4arch9wavefront6targetE0EEEvS12_ ; -- Begin function _ZN7rocprim17ROCPRIM_400000_NS6detail17trampoline_kernelINS0_13select_configILj256ELj13ELNS0_17block_load_methodE3ELS4_3ELS4_3ELNS0_20block_scan_algorithmE0ELj4294967295EEENS1_25partition_config_selectorILNS1_17partition_subalgoE4EjNS0_10empty_typeEbEEZZNS1_14partition_implILS8_4ELb0ES6_15HIP_vector_typeIjLj2EENS0_17counting_iteratorIjlEEPS9_SG_NS0_5tupleIJPjSI_NS0_16reverse_iteratorISI_EEEEENSH_IJSG_SG_SG_EEES9_SI_JZNS1_25segmented_radix_sort_implINS0_14default_configELb0EPKdPdPKlPlN2at6native12_GLOBAL__N_18offset_tEEE10hipError_tPvRmT1_PNSt15iterator_traitsIS12_E10value_typeET2_T3_PNS13_IS18_E10value_typeET4_jRbjT5_S1E_jjP12ihipStream_tbEUljE_ZNSN_ISO_Lb0ESQ_SR_ST_SU_SY_EESZ_S10_S11_S12_S16_S17_S18_S1B_S1C_jS1D_jS1E_S1E_jjS1G_bEUljE0_EEESZ_S10_S11_S18_S1C_S1E_T6_T7_T9_mT8_S1G_bDpT10_ENKUlT_T0_E_clISt17integral_constantIbLb1EES1T_IbLb0EEEEDaS1P_S1Q_EUlS1P_E_NS1_11comp_targetILNS1_3genE9ELNS1_11target_archE1100ELNS1_3gpuE3ELNS1_3repE0EEENS1_30default_config_static_selectorELNS0_4arch9wavefront6targetE0EEEvS12_
	.p2align	8
	.type	_ZN7rocprim17ROCPRIM_400000_NS6detail17trampoline_kernelINS0_13select_configILj256ELj13ELNS0_17block_load_methodE3ELS4_3ELS4_3ELNS0_20block_scan_algorithmE0ELj4294967295EEENS1_25partition_config_selectorILNS1_17partition_subalgoE4EjNS0_10empty_typeEbEEZZNS1_14partition_implILS8_4ELb0ES6_15HIP_vector_typeIjLj2EENS0_17counting_iteratorIjlEEPS9_SG_NS0_5tupleIJPjSI_NS0_16reverse_iteratorISI_EEEEENSH_IJSG_SG_SG_EEES9_SI_JZNS1_25segmented_radix_sort_implINS0_14default_configELb0EPKdPdPKlPlN2at6native12_GLOBAL__N_18offset_tEEE10hipError_tPvRmT1_PNSt15iterator_traitsIS12_E10value_typeET2_T3_PNS13_IS18_E10value_typeET4_jRbjT5_S1E_jjP12ihipStream_tbEUljE_ZNSN_ISO_Lb0ESQ_SR_ST_SU_SY_EESZ_S10_S11_S12_S16_S17_S18_S1B_S1C_jS1D_jS1E_S1E_jjS1G_bEUljE0_EEESZ_S10_S11_S18_S1C_S1E_T6_T7_T9_mT8_S1G_bDpT10_ENKUlT_T0_E_clISt17integral_constantIbLb1EES1T_IbLb0EEEEDaS1P_S1Q_EUlS1P_E_NS1_11comp_targetILNS1_3genE9ELNS1_11target_archE1100ELNS1_3gpuE3ELNS1_3repE0EEENS1_30default_config_static_selectorELNS0_4arch9wavefront6targetE0EEEvS12_,@function
_ZN7rocprim17ROCPRIM_400000_NS6detail17trampoline_kernelINS0_13select_configILj256ELj13ELNS0_17block_load_methodE3ELS4_3ELS4_3ELNS0_20block_scan_algorithmE0ELj4294967295EEENS1_25partition_config_selectorILNS1_17partition_subalgoE4EjNS0_10empty_typeEbEEZZNS1_14partition_implILS8_4ELb0ES6_15HIP_vector_typeIjLj2EENS0_17counting_iteratorIjlEEPS9_SG_NS0_5tupleIJPjSI_NS0_16reverse_iteratorISI_EEEEENSH_IJSG_SG_SG_EEES9_SI_JZNS1_25segmented_radix_sort_implINS0_14default_configELb0EPKdPdPKlPlN2at6native12_GLOBAL__N_18offset_tEEE10hipError_tPvRmT1_PNSt15iterator_traitsIS12_E10value_typeET2_T3_PNS13_IS18_E10value_typeET4_jRbjT5_S1E_jjP12ihipStream_tbEUljE_ZNSN_ISO_Lb0ESQ_SR_ST_SU_SY_EESZ_S10_S11_S12_S16_S17_S18_S1B_S1C_jS1D_jS1E_S1E_jjS1G_bEUljE0_EEESZ_S10_S11_S18_S1C_S1E_T6_T7_T9_mT8_S1G_bDpT10_ENKUlT_T0_E_clISt17integral_constantIbLb1EES1T_IbLb0EEEEDaS1P_S1Q_EUlS1P_E_NS1_11comp_targetILNS1_3genE9ELNS1_11target_archE1100ELNS1_3gpuE3ELNS1_3repE0EEENS1_30default_config_static_selectorELNS0_4arch9wavefront6targetE0EEEvS12_: ; @_ZN7rocprim17ROCPRIM_400000_NS6detail17trampoline_kernelINS0_13select_configILj256ELj13ELNS0_17block_load_methodE3ELS4_3ELS4_3ELNS0_20block_scan_algorithmE0ELj4294967295EEENS1_25partition_config_selectorILNS1_17partition_subalgoE4EjNS0_10empty_typeEbEEZZNS1_14partition_implILS8_4ELb0ES6_15HIP_vector_typeIjLj2EENS0_17counting_iteratorIjlEEPS9_SG_NS0_5tupleIJPjSI_NS0_16reverse_iteratorISI_EEEEENSH_IJSG_SG_SG_EEES9_SI_JZNS1_25segmented_radix_sort_implINS0_14default_configELb0EPKdPdPKlPlN2at6native12_GLOBAL__N_18offset_tEEE10hipError_tPvRmT1_PNSt15iterator_traitsIS12_E10value_typeET2_T3_PNS13_IS18_E10value_typeET4_jRbjT5_S1E_jjP12ihipStream_tbEUljE_ZNSN_ISO_Lb0ESQ_SR_ST_SU_SY_EESZ_S10_S11_S12_S16_S17_S18_S1B_S1C_jS1D_jS1E_S1E_jjS1G_bEUljE0_EEESZ_S10_S11_S18_S1C_S1E_T6_T7_T9_mT8_S1G_bDpT10_ENKUlT_T0_E_clISt17integral_constantIbLb1EES1T_IbLb0EEEEDaS1P_S1Q_EUlS1P_E_NS1_11comp_targetILNS1_3genE9ELNS1_11target_archE1100ELNS1_3gpuE3ELNS1_3repE0EEENS1_30default_config_static_selectorELNS0_4arch9wavefront6targetE0EEEvS12_
; %bb.0:
	s_clause 0x6
	s_load_b32 s5, s[0:1], 0x80
	s_load_b64 s[34:35], s[0:1], 0x10
	s_load_b64 s[2:3], s[0:1], 0x68
	s_load_b32 s8, s[0:1], 0x8
	s_load_b128 s[24:27], s[0:1], 0x58
	s_load_b64 s[40:41], s[0:1], 0xa8
	s_load_b256 s[16:23], s[0:1], 0x88
	s_mul_i32 s33, s15, 0xd00
	s_waitcnt lgkmcnt(0)
	s_mul_i32 s4, s5, 0xd00
	s_add_i32 s5, s5, -1
	s_add_u32 s6, s34, s4
	s_addc_u32 s7, s35, 0
	s_load_b128 s[28:31], s[26:27], 0x0
	s_cmp_eq_u32 s15, s5
	v_cmp_lt_u64_e64 s3, s[6:7], s[2:3]
	s_cselect_b32 s14, -1, 0
	s_cmp_lg_u32 s15, s5
	s_cselect_b32 s5, -1, 0
	s_add_i32 s6, s8, s33
	s_delay_alu instid0(VALU_DEP_1) | instskip(SKIP_4) | instid1(VALU_DEP_1)
	s_or_b32 s3, s5, s3
	s_add_i32 s6, s6, s34
	s_and_b32 vcc_lo, exec_lo, s3
	v_add_nc_u32_e32 v1, s6, v0
	s_mov_b32 s5, -1
	v_add_nc_u32_e32 v2, 0x100, v1
	v_add_nc_u32_e32 v3, 0x200, v1
	;; [unrolled: 1-line block ×12, first 2 shown]
	s_cbranch_vccz .LBB1179_2
; %bb.1:
	v_lshlrev_b32_e32 v14, 2, v0
	s_mov_b32 s5, 0
	ds_store_2addr_stride64_b32 v14, v1, v2 offset1:4
	ds_store_2addr_stride64_b32 v14, v3, v4 offset0:8 offset1:12
	ds_store_2addr_stride64_b32 v14, v5, v6 offset0:16 offset1:20
	;; [unrolled: 1-line block ×5, first 2 shown]
	ds_store_b32 v14, v13 offset:12288
	s_waitcnt lgkmcnt(0)
	s_barrier
.LBB1179_2:
	s_and_not1_b32 vcc_lo, exec_lo, s5
	s_add_i32 s4, s4, s34
	s_cbranch_vccnz .LBB1179_4
; %bb.3:
	v_lshlrev_b32_e32 v14, 2, v0
	ds_store_2addr_stride64_b32 v14, v1, v2 offset1:4
	ds_store_2addr_stride64_b32 v14, v3, v4 offset0:8 offset1:12
	ds_store_2addr_stride64_b32 v14, v5, v6 offset0:16 offset1:20
	;; [unrolled: 1-line block ×5, first 2 shown]
	ds_store_b32 v14, v13 offset:12288
	s_waitcnt lgkmcnt(0)
	s_barrier
.LBB1179_4:
	v_mul_u32_u24_e32 v28, 13, v0
	s_clause 0x1
	s_load_b128 s[36:39], s[0:1], 0x28
	s_load_b64 s[26:27], s[0:1], 0x38
	s_waitcnt lgkmcnt(0)
	buffer_gl0_inv
	v_cndmask_b32_e64 v26, 0, 1, s3
	s_sub_i32 s44, s2, s4
	v_lshlrev_b32_e32 v1, 2, v28
	s_and_not1_b32 vcc_lo, exec_lo, s3
	ds_load_2addr_b32 v[16:17], v1 offset1:1
	ds_load_2addr_b32 v[14:15], v1 offset0:2 offset1:3
	ds_load_2addr_b32 v[12:13], v1 offset0:4 offset1:5
	;; [unrolled: 1-line block ×5, first 2 shown]
	ds_load_b32 v27, v1 offset:48
	s_waitcnt lgkmcnt(0)
	s_barrier
	buffer_gl0_inv
	s_cbranch_vccnz .LBB1179_32
; %bb.5:
	v_add_nc_u32_e32 v1, s17, v16
	v_add_nc_u32_e32 v2, s19, v16
	s_mov_b32 s46, 0
	s_mov_b32 s45, 0
	s_mov_b32 s3, exec_lo
	v_mul_lo_u32 v1, v1, s16
	v_mul_lo_u32 v2, v2, s18
	s_delay_alu instid0(VALU_DEP_1) | instskip(NEXT) | instid1(VALU_DEP_1)
	v_sub_nc_u32_e32 v1, v1, v2
	v_cmp_lt_u32_e32 vcc_lo, s20, v1
	v_cmpx_ge_u32_e64 s20, v1
; %bb.6:
	v_add_nc_u32_e32 v1, s22, v16
	v_add_nc_u32_e32 v2, s40, v16
	s_delay_alu instid0(VALU_DEP_2) | instskip(NEXT) | instid1(VALU_DEP_2)
	v_mul_lo_u32 v1, v1, s21
	v_mul_lo_u32 v2, v2, s23
	s_delay_alu instid0(VALU_DEP_1) | instskip(NEXT) | instid1(VALU_DEP_1)
	v_sub_nc_u32_e32 v1, v1, v2
	v_cmp_lt_u32_e64 s2, s41, v1
	s_delay_alu instid0(VALU_DEP_1)
	s_and_b32 s45, s2, exec_lo
; %bb.7:
	s_or_b32 exec_lo, exec_lo, s3
	v_add_nc_u32_e32 v1, s17, v17
	v_add_nc_u32_e32 v2, s19, v17
	s_mov_b32 s4, exec_lo
	s_delay_alu instid0(VALU_DEP_2) | instskip(NEXT) | instid1(VALU_DEP_2)
	v_mul_lo_u32 v1, v1, s16
	v_mul_lo_u32 v2, v2, s18
	s_delay_alu instid0(VALU_DEP_1) | instskip(NEXT) | instid1(VALU_DEP_1)
	v_sub_nc_u32_e32 v1, v1, v2
	v_cmp_lt_u32_e64 s2, s20, v1
	v_cmpx_ge_u32_e64 s20, v1
; %bb.8:
	v_add_nc_u32_e32 v1, s22, v17
	v_add_nc_u32_e32 v2, s40, v17
	s_delay_alu instid0(VALU_DEP_2) | instskip(NEXT) | instid1(VALU_DEP_2)
	v_mul_lo_u32 v1, v1, s21
	v_mul_lo_u32 v2, v2, s23
	s_delay_alu instid0(VALU_DEP_1) | instskip(NEXT) | instid1(VALU_DEP_1)
	v_sub_nc_u32_e32 v1, v1, v2
	v_cmp_lt_u32_e64 s3, s41, v1
	s_delay_alu instid0(VALU_DEP_1)
	s_and_b32 s46, s3, exec_lo
; %bb.9:
	s_or_b32 exec_lo, exec_lo, s4
	v_add_nc_u32_e32 v1, s17, v14
	v_add_nc_u32_e32 v2, s19, v14
	s_mov_b32 s48, 0
	s_mov_b32 s47, 0
	s_mov_b32 s5, exec_lo
	v_mul_lo_u32 v1, v1, s16
	v_mul_lo_u32 v2, v2, s18
	s_delay_alu instid0(VALU_DEP_1) | instskip(NEXT) | instid1(VALU_DEP_1)
	v_sub_nc_u32_e32 v1, v1, v2
	v_cmp_lt_u32_e64 s3, s20, v1
	v_cmpx_ge_u32_e64 s20, v1
; %bb.10:
	v_add_nc_u32_e32 v1, s22, v14
	v_add_nc_u32_e32 v2, s40, v14
	s_delay_alu instid0(VALU_DEP_2) | instskip(NEXT) | instid1(VALU_DEP_2)
	v_mul_lo_u32 v1, v1, s21
	v_mul_lo_u32 v2, v2, s23
	s_delay_alu instid0(VALU_DEP_1) | instskip(NEXT) | instid1(VALU_DEP_1)
	v_sub_nc_u32_e32 v1, v1, v2
	v_cmp_lt_u32_e64 s4, s41, v1
	s_delay_alu instid0(VALU_DEP_1)
	s_and_b32 s47, s4, exec_lo
; %bb.11:
	s_or_b32 exec_lo, exec_lo, s5
	v_add_nc_u32_e32 v1, s17, v15
	v_add_nc_u32_e32 v2, s19, v15
	s_mov_b32 s6, exec_lo
	s_delay_alu instid0(VALU_DEP_2) | instskip(NEXT) | instid1(VALU_DEP_2)
	v_mul_lo_u32 v1, v1, s16
	v_mul_lo_u32 v2, v2, s18
	s_delay_alu instid0(VALU_DEP_1) | instskip(NEXT) | instid1(VALU_DEP_1)
	v_sub_nc_u32_e32 v1, v1, v2
	v_cmp_lt_u32_e64 s4, s20, v1
	v_cmpx_ge_u32_e64 s20, v1
; %bb.12:
	v_add_nc_u32_e32 v1, s22, v15
	v_add_nc_u32_e32 v2, s40, v15
	s_delay_alu instid0(VALU_DEP_2) | instskip(NEXT) | instid1(VALU_DEP_2)
	v_mul_lo_u32 v1, v1, s21
	v_mul_lo_u32 v2, v2, s23
	s_delay_alu instid0(VALU_DEP_1) | instskip(NEXT) | instid1(VALU_DEP_1)
	v_sub_nc_u32_e32 v1, v1, v2
	v_cmp_lt_u32_e64 s5, s41, v1
	s_delay_alu instid0(VALU_DEP_1)
	s_and_b32 s48, s5, exec_lo
; %bb.13:
	s_or_b32 exec_lo, exec_lo, s6
	v_add_nc_u32_e32 v1, s17, v12
	v_add_nc_u32_e32 v2, s19, v12
	s_mov_b32 s50, 0
	s_mov_b32 s49, 0
	s_mov_b32 s7, exec_lo
	v_mul_lo_u32 v1, v1, s16
	v_mul_lo_u32 v2, v2, s18
	s_delay_alu instid0(VALU_DEP_1) | instskip(NEXT) | instid1(VALU_DEP_1)
	v_sub_nc_u32_e32 v1, v1, v2
	v_cmp_lt_u32_e64 s5, s20, v1
	;; [unrolled: 47-line block ×5, first 2 shown]
	v_cmpx_ge_u32_e64 s20, v1
; %bb.26:
	v_add_nc_u32_e32 v1, s22, v6
	v_add_nc_u32_e32 v2, s40, v6
	s_delay_alu instid0(VALU_DEP_2) | instskip(NEXT) | instid1(VALU_DEP_2)
	v_mul_lo_u32 v1, v1, s21
	v_mul_lo_u32 v2, v2, s23
	s_delay_alu instid0(VALU_DEP_1) | instskip(NEXT) | instid1(VALU_DEP_1)
	v_sub_nc_u32_e32 v1, v1, v2
	v_cmp_lt_u32_e64 s12, s41, v1
	s_delay_alu instid0(VALU_DEP_1)
	s_and_b32 s57, s12, exec_lo
; %bb.27:
	s_or_b32 exec_lo, exec_lo, s13
	v_add_nc_u32_e32 v1, s17, v7
	v_add_nc_u32_e32 v2, s19, v7
	s_mov_b32 s42, exec_lo
	s_delay_alu instid0(VALU_DEP_2) | instskip(NEXT) | instid1(VALU_DEP_2)
	v_mul_lo_u32 v1, v1, s16
	v_mul_lo_u32 v2, v2, s18
	s_delay_alu instid0(VALU_DEP_1) | instskip(NEXT) | instid1(VALU_DEP_1)
	v_sub_nc_u32_e32 v1, v1, v2
	v_cmp_lt_u32_e64 s12, s20, v1
	v_cmpx_ge_u32_e64 s20, v1
; %bb.28:
	v_add_nc_u32_e32 v1, s22, v7
	v_add_nc_u32_e32 v2, s40, v7
	s_delay_alu instid0(VALU_DEP_2) | instskip(NEXT) | instid1(VALU_DEP_2)
	v_mul_lo_u32 v1, v1, s21
	v_mul_lo_u32 v2, v2, s23
	s_delay_alu instid0(VALU_DEP_1) | instskip(NEXT) | instid1(VALU_DEP_1)
	v_sub_nc_u32_e32 v1, v1, v2
	v_cmp_lt_u32_e64 s13, s41, v1
	s_delay_alu instid0(VALU_DEP_1)
	s_and_b32 s56, s13, exec_lo
; %bb.29:
	s_or_b32 exec_lo, exec_lo, s42
	v_add_nc_u32_e32 v1, s17, v27
	v_add_nc_u32_e32 v2, s19, v27
	s_mov_b32 s42, -1
	s_mov_b32 s53, 0
	s_mov_b32 s43, 0
	v_mul_lo_u32 v1, v1, s16
	v_mul_lo_u32 v2, v2, s18
	s_mov_b32 s58, exec_lo
	s_delay_alu instid0(VALU_DEP_1) | instskip(NEXT) | instid1(VALU_DEP_1)
	v_sub_nc_u32_e32 v1, v1, v2
	v_cmpx_ge_u32_e64 s20, v1
; %bb.30:
	v_add_nc_u32_e32 v1, s22, v27
	v_add_nc_u32_e32 v2, s40, v27
	s_xor_b32 s42, exec_lo, -1
	s_delay_alu instid0(VALU_DEP_2) | instskip(NEXT) | instid1(VALU_DEP_2)
	v_mul_lo_u32 v1, v1, s21
	v_mul_lo_u32 v2, v2, s23
	s_delay_alu instid0(VALU_DEP_1) | instskip(NEXT) | instid1(VALU_DEP_1)
	v_sub_nc_u32_e32 v1, v1, v2
	v_cmp_lt_u32_e64 s13, s41, v1
	s_delay_alu instid0(VALU_DEP_1)
	s_and_b32 s43, s13, exec_lo
; %bb.31:
	s_or_b32 exec_lo, exec_lo, s58
	v_cndmask_b32_e64 v48, 0, 1, s57
	v_cndmask_b32_e64 v51, 0, 1, s12
	;; [unrolled: 1-line block ×22, first 2 shown]
	v_cndmask_b32_e64 v29, 0, 1, vcc_lo
	v_cndmask_b32_e64 v52, 0, 1, s56
	s_load_b64 s[4:5], s[0:1], 0x78
	s_and_b32 vcc_lo, exec_lo, s53
	s_add_i32 s3, s44, 0xd00
	s_cbranch_vccnz .LBB1179_33
	s_branch .LBB1179_86
.LBB1179_32:
                                        ; implicit-def: $sgpr42
                                        ; implicit-def: $sgpr43
                                        ; implicit-def: $vgpr52
                                        ; implicit-def: $vgpr48
                                        ; implicit-def: $vgpr47
                                        ; implicit-def: $vgpr45
                                        ; implicit-def: $vgpr43
                                        ; implicit-def: $vgpr40
                                        ; implicit-def: $vgpr39
                                        ; implicit-def: $vgpr37
                                        ; implicit-def: $vgpr35
                                        ; implicit-def: $vgpr29
                                        ; implicit-def: $vgpr33
                                        ; implicit-def: $vgpr31
                                        ; implicit-def: $vgpr32
                                        ; implicit-def: $vgpr38
                                        ; implicit-def: $vgpr41
                                        ; implicit-def: $vgpr42
                                        ; implicit-def: $vgpr44
                                        ; implicit-def: $vgpr46
                                        ; implicit-def: $vgpr49
                                        ; implicit-def: $vgpr50
                                        ; implicit-def: $vgpr51
                                        ; implicit-def: $vgpr30
                                        ; implicit-def: $vgpr34
                                        ; implicit-def: $vgpr36
	s_load_b64 s[4:5], s[0:1], 0x78
	s_add_i32 s3, s44, 0xd00
	s_cbranch_execz .LBB1179_86
.LBB1179_33:
	v_dual_mov_b32 v30, 0 :: v_dual_mov_b32 v29, 0
	s_mov_b32 s2, 0
	s_mov_b32 s1, exec_lo
	v_cmpx_gt_u32_e64 s3, v28
	s_cbranch_execz .LBB1179_37
; %bb.34:
	v_add_nc_u32_e32 v1, s17, v16
	v_add_nc_u32_e32 v2, s19, v16
	s_mov_b32 s6, exec_lo
	s_delay_alu instid0(VALU_DEP_2) | instskip(NEXT) | instid1(VALU_DEP_2)
	v_mul_lo_u32 v1, v1, s16
	v_mul_lo_u32 v2, v2, s18
	s_delay_alu instid0(VALU_DEP_1) | instskip(NEXT) | instid1(VALU_DEP_1)
	v_sub_nc_u32_e32 v1, v1, v2
	v_cmp_lt_u32_e32 vcc_lo, s20, v1
	v_cmpx_ge_u32_e64 s20, v1
; %bb.35:
	v_add_nc_u32_e32 v1, s22, v16
	v_add_nc_u32_e32 v2, s40, v16
	s_delay_alu instid0(VALU_DEP_2) | instskip(NEXT) | instid1(VALU_DEP_2)
	v_mul_lo_u32 v1, v1, s21
	v_mul_lo_u32 v2, v2, s23
	s_delay_alu instid0(VALU_DEP_1) | instskip(NEXT) | instid1(VALU_DEP_1)
	v_sub_nc_u32_e32 v1, v1, v2
	v_cmp_lt_u32_e64 s0, s41, v1
	s_delay_alu instid0(VALU_DEP_1)
	s_and_b32 s2, s0, exec_lo
; %bb.36:
	s_or_b32 exec_lo, exec_lo, s6
	v_cndmask_b32_e64 v29, 0, 1, vcc_lo
	v_cndmask_b32_e64 v30, 0, 1, s2
.LBB1179_37:
	s_or_b32 exec_lo, exec_lo, s1
	v_dual_mov_b32 v34, 0 :: v_dual_add_nc_u32 v1, 1, v28
	v_mov_b32_e32 v33, 0
	s_mov_b32 s2, 0
	s_mov_b32 s1, exec_lo
	s_delay_alu instid0(VALU_DEP_2)
	v_cmpx_gt_u32_e64 s3, v1
	s_cbranch_execz .LBB1179_41
; %bb.38:
	v_add_nc_u32_e32 v1, s17, v17
	v_add_nc_u32_e32 v2, s19, v17
	s_mov_b32 s6, exec_lo
	s_delay_alu instid0(VALU_DEP_2) | instskip(NEXT) | instid1(VALU_DEP_2)
	v_mul_lo_u32 v1, v1, s16
	v_mul_lo_u32 v2, v2, s18
	s_delay_alu instid0(VALU_DEP_1) | instskip(NEXT) | instid1(VALU_DEP_1)
	v_sub_nc_u32_e32 v1, v1, v2
	v_cmp_lt_u32_e32 vcc_lo, s20, v1
	v_cmpx_ge_u32_e64 s20, v1
; %bb.39:
	v_add_nc_u32_e32 v1, s22, v17
	v_add_nc_u32_e32 v2, s40, v17
	s_delay_alu instid0(VALU_DEP_2) | instskip(NEXT) | instid1(VALU_DEP_2)
	v_mul_lo_u32 v1, v1, s21
	v_mul_lo_u32 v2, v2, s23
	s_delay_alu instid0(VALU_DEP_1) | instskip(NEXT) | instid1(VALU_DEP_1)
	v_sub_nc_u32_e32 v1, v1, v2
	v_cmp_lt_u32_e64 s0, s41, v1
	s_delay_alu instid0(VALU_DEP_1)
	s_and_b32 s2, s0, exec_lo
; %bb.40:
	s_or_b32 exec_lo, exec_lo, s6
	v_cndmask_b32_e64 v33, 0, 1, vcc_lo
	v_cndmask_b32_e64 v34, 0, 1, s2
.LBB1179_41:
	s_or_b32 exec_lo, exec_lo, s1
	v_dual_mov_b32 v36, 0 :: v_dual_add_nc_u32 v1, 2, v28
	v_mov_b32_e32 v31, 0
	s_mov_b32 s2, 0
	s_mov_b32 s1, exec_lo
	s_delay_alu instid0(VALU_DEP_2)
	;; [unrolled: 35-line block ×4, first 2 shown]
	v_cmpx_gt_u32_e64 s3, v1
	s_cbranch_execz .LBB1179_53
; %bb.50:
	v_add_nc_u32_e32 v1, s17, v12
	v_add_nc_u32_e32 v2, s19, v12
	s_mov_b32 s6, exec_lo
	s_delay_alu instid0(VALU_DEP_2) | instskip(NEXT) | instid1(VALU_DEP_2)
	v_mul_lo_u32 v1, v1, s16
	v_mul_lo_u32 v2, v2, s18
	s_delay_alu instid0(VALU_DEP_1) | instskip(NEXT) | instid1(VALU_DEP_1)
	v_sub_nc_u32_e32 v1, v1, v2
	v_cmp_lt_u32_e32 vcc_lo, s20, v1
	v_cmpx_ge_u32_e64 s20, v1
; %bb.51:
	v_add_nc_u32_e32 v1, s22, v12
	v_add_nc_u32_e32 v2, s40, v12
	s_delay_alu instid0(VALU_DEP_2) | instskip(NEXT) | instid1(VALU_DEP_2)
	v_mul_lo_u32 v1, v1, s21
	v_mul_lo_u32 v2, v2, s23
	s_delay_alu instid0(VALU_DEP_1) | instskip(NEXT) | instid1(VALU_DEP_1)
	v_sub_nc_u32_e32 v1, v1, v2
	v_cmp_lt_u32_e64 s0, s41, v1
	s_delay_alu instid0(VALU_DEP_1)
	s_and_b32 s2, s0, exec_lo
; %bb.52:
	s_or_b32 exec_lo, exec_lo, s6
	v_cndmask_b32_e64 v38, 0, 1, vcc_lo
	v_cndmask_b32_e64 v37, 0, 1, s2
.LBB1179_53:
	s_or_b32 exec_lo, exec_lo, s1
	v_add_nc_u32_e32 v1, 5, v28
	v_mov_b32_e32 v39, 0
	v_mov_b32_e32 v41, 0
	s_mov_b32 s2, 0
	s_mov_b32 s1, exec_lo
	v_cmpx_gt_u32_e64 s3, v1
	s_cbranch_execz .LBB1179_57
; %bb.54:
	v_add_nc_u32_e32 v1, s17, v13
	v_add_nc_u32_e32 v2, s19, v13
	s_mov_b32 s6, exec_lo
	s_delay_alu instid0(VALU_DEP_2) | instskip(NEXT) | instid1(VALU_DEP_2)
	v_mul_lo_u32 v1, v1, s16
	v_mul_lo_u32 v2, v2, s18
	s_delay_alu instid0(VALU_DEP_1) | instskip(NEXT) | instid1(VALU_DEP_1)
	v_sub_nc_u32_e32 v1, v1, v2
	v_cmp_lt_u32_e32 vcc_lo, s20, v1
	v_cmpx_ge_u32_e64 s20, v1
; %bb.55:
	v_add_nc_u32_e32 v1, s22, v13
	v_add_nc_u32_e32 v2, s40, v13
	s_delay_alu instid0(VALU_DEP_2) | instskip(NEXT) | instid1(VALU_DEP_2)
	v_mul_lo_u32 v1, v1, s21
	v_mul_lo_u32 v2, v2, s23
	s_delay_alu instid0(VALU_DEP_1) | instskip(NEXT) | instid1(VALU_DEP_1)
	v_sub_nc_u32_e32 v1, v1, v2
	v_cmp_lt_u32_e64 s0, s41, v1
	s_delay_alu instid0(VALU_DEP_1)
	s_and_b32 s2, s0, exec_lo
; %bb.56:
	s_or_b32 exec_lo, exec_lo, s6
	v_cndmask_b32_e64 v41, 0, 1, vcc_lo
	v_cndmask_b32_e64 v39, 0, 1, s2
.LBB1179_57:
	s_or_b32 exec_lo, exec_lo, s1
	v_dual_mov_b32 v40, 0 :: v_dual_add_nc_u32 v1, 6, v28
	v_mov_b32_e32 v42, 0
	s_mov_b32 s2, 0
	s_mov_b32 s1, exec_lo
	s_delay_alu instid0(VALU_DEP_2)
	v_cmpx_gt_u32_e64 s3, v1
	s_cbranch_execz .LBB1179_61
; %bb.58:
	v_add_nc_u32_e32 v1, s17, v10
	v_add_nc_u32_e32 v2, s19, v10
	s_mov_b32 s6, exec_lo
	s_delay_alu instid0(VALU_DEP_2) | instskip(NEXT) | instid1(VALU_DEP_2)
	v_mul_lo_u32 v1, v1, s16
	v_mul_lo_u32 v2, v2, s18
	s_delay_alu instid0(VALU_DEP_1) | instskip(NEXT) | instid1(VALU_DEP_1)
	v_sub_nc_u32_e32 v1, v1, v2
	v_cmp_lt_u32_e32 vcc_lo, s20, v1
	v_cmpx_ge_u32_e64 s20, v1
; %bb.59:
	v_add_nc_u32_e32 v1, s22, v10
	v_add_nc_u32_e32 v2, s40, v10
	s_delay_alu instid0(VALU_DEP_2) | instskip(NEXT) | instid1(VALU_DEP_2)
	v_mul_lo_u32 v1, v1, s21
	v_mul_lo_u32 v2, v2, s23
	s_delay_alu instid0(VALU_DEP_1) | instskip(NEXT) | instid1(VALU_DEP_1)
	v_sub_nc_u32_e32 v1, v1, v2
	v_cmp_lt_u32_e64 s0, s41, v1
	s_delay_alu instid0(VALU_DEP_1)
	s_and_b32 s2, s0, exec_lo
; %bb.60:
	s_or_b32 exec_lo, exec_lo, s6
	v_cndmask_b32_e64 v42, 0, 1, vcc_lo
	v_cndmask_b32_e64 v40, 0, 1, s2
.LBB1179_61:
	s_or_b32 exec_lo, exec_lo, s1
	v_dual_mov_b32 v44, 0 :: v_dual_add_nc_u32 v1, 7, v28
	v_mov_b32_e32 v43, 0
	s_mov_b32 s2, 0
	s_mov_b32 s1, exec_lo
	s_delay_alu instid0(VALU_DEP_2)
	;; [unrolled: 35-line block ×3, first 2 shown]
	v_cmpx_gt_u32_e64 s3, v1
	s_cbranch_execz .LBB1179_69
; %bb.66:
	v_add_nc_u32_e32 v1, s17, v8
	v_add_nc_u32_e32 v2, s19, v8
	s_mov_b32 s6, exec_lo
	s_delay_alu instid0(VALU_DEP_2) | instskip(NEXT) | instid1(VALU_DEP_2)
	v_mul_lo_u32 v1, v1, s16
	v_mul_lo_u32 v2, v2, s18
	s_delay_alu instid0(VALU_DEP_1) | instskip(NEXT) | instid1(VALU_DEP_1)
	v_sub_nc_u32_e32 v1, v1, v2
	v_cmp_lt_u32_e32 vcc_lo, s20, v1
	v_cmpx_ge_u32_e64 s20, v1
; %bb.67:
	v_add_nc_u32_e32 v1, s22, v8
	v_add_nc_u32_e32 v2, s40, v8
	s_delay_alu instid0(VALU_DEP_2) | instskip(NEXT) | instid1(VALU_DEP_2)
	v_mul_lo_u32 v1, v1, s21
	v_mul_lo_u32 v2, v2, s23
	s_delay_alu instid0(VALU_DEP_1) | instskip(NEXT) | instid1(VALU_DEP_1)
	v_sub_nc_u32_e32 v1, v1, v2
	v_cmp_lt_u32_e64 s0, s41, v1
	s_delay_alu instid0(VALU_DEP_1)
	s_and_b32 s2, s0, exec_lo
; %bb.68:
	s_or_b32 exec_lo, exec_lo, s6
	v_cndmask_b32_e64 v46, 0, 1, vcc_lo
	v_cndmask_b32_e64 v45, 0, 1, s2
.LBB1179_69:
	s_or_b32 exec_lo, exec_lo, s1
	v_add_nc_u32_e32 v1, 9, v28
	v_mov_b32_e32 v47, 0
	v_mov_b32_e32 v49, 0
	s_mov_b32 s2, 0
	s_mov_b32 s1, exec_lo
	v_cmpx_gt_u32_e64 s3, v1
	s_cbranch_execz .LBB1179_73
; %bb.70:
	v_add_nc_u32_e32 v1, s17, v9
	v_add_nc_u32_e32 v2, s19, v9
	s_mov_b32 s6, exec_lo
	s_delay_alu instid0(VALU_DEP_2) | instskip(NEXT) | instid1(VALU_DEP_2)
	v_mul_lo_u32 v1, v1, s16
	v_mul_lo_u32 v2, v2, s18
	s_delay_alu instid0(VALU_DEP_1) | instskip(NEXT) | instid1(VALU_DEP_1)
	v_sub_nc_u32_e32 v1, v1, v2
	v_cmp_lt_u32_e32 vcc_lo, s20, v1
	v_cmpx_ge_u32_e64 s20, v1
; %bb.71:
	v_add_nc_u32_e32 v1, s22, v9
	v_add_nc_u32_e32 v2, s40, v9
	s_delay_alu instid0(VALU_DEP_2) | instskip(NEXT) | instid1(VALU_DEP_2)
	v_mul_lo_u32 v1, v1, s21
	v_mul_lo_u32 v2, v2, s23
	s_delay_alu instid0(VALU_DEP_1) | instskip(NEXT) | instid1(VALU_DEP_1)
	v_sub_nc_u32_e32 v1, v1, v2
	v_cmp_lt_u32_e64 s0, s41, v1
	s_delay_alu instid0(VALU_DEP_1)
	s_and_b32 s2, s0, exec_lo
; %bb.72:
	s_or_b32 exec_lo, exec_lo, s6
	v_cndmask_b32_e64 v49, 0, 1, vcc_lo
	v_cndmask_b32_e64 v47, 0, 1, s2
.LBB1179_73:
	s_or_b32 exec_lo, exec_lo, s1
	v_dual_mov_b32 v48, 0 :: v_dual_add_nc_u32 v1, 10, v28
	v_mov_b32_e32 v50, 0
	s_mov_b32 s2, 0
	s_mov_b32 s1, exec_lo
	s_delay_alu instid0(VALU_DEP_2)
	v_cmpx_gt_u32_e64 s3, v1
	s_cbranch_execz .LBB1179_77
; %bb.74:
	v_add_nc_u32_e32 v1, s17, v6
	v_add_nc_u32_e32 v2, s19, v6
	s_mov_b32 s6, exec_lo
	s_delay_alu instid0(VALU_DEP_2) | instskip(NEXT) | instid1(VALU_DEP_2)
	v_mul_lo_u32 v1, v1, s16
	v_mul_lo_u32 v2, v2, s18
	s_delay_alu instid0(VALU_DEP_1) | instskip(NEXT) | instid1(VALU_DEP_1)
	v_sub_nc_u32_e32 v1, v1, v2
	v_cmp_lt_u32_e32 vcc_lo, s20, v1
	v_cmpx_ge_u32_e64 s20, v1
; %bb.75:
	v_add_nc_u32_e32 v1, s22, v6
	v_add_nc_u32_e32 v2, s40, v6
	s_delay_alu instid0(VALU_DEP_2) | instskip(NEXT) | instid1(VALU_DEP_2)
	v_mul_lo_u32 v1, v1, s21
	v_mul_lo_u32 v2, v2, s23
	s_delay_alu instid0(VALU_DEP_1) | instskip(NEXT) | instid1(VALU_DEP_1)
	v_sub_nc_u32_e32 v1, v1, v2
	v_cmp_lt_u32_e64 s0, s41, v1
	s_delay_alu instid0(VALU_DEP_1)
	s_and_b32 s2, s0, exec_lo
; %bb.76:
	s_or_b32 exec_lo, exec_lo, s6
	v_cndmask_b32_e64 v50, 0, 1, vcc_lo
	v_cndmask_b32_e64 v48, 0, 1, s2
.LBB1179_77:
	s_or_b32 exec_lo, exec_lo, s1
	v_dual_mov_b32 v52, 0 :: v_dual_add_nc_u32 v1, 11, v28
	v_mov_b32_e32 v51, 0
	s_mov_b32 s2, 0
	s_mov_b32 s1, exec_lo
	s_delay_alu instid0(VALU_DEP_2)
	v_cmpx_gt_u32_e64 s3, v1
	s_cbranch_execz .LBB1179_81
; %bb.78:
	v_add_nc_u32_e32 v1, s17, v7
	v_add_nc_u32_e32 v2, s19, v7
	s_mov_b32 s6, exec_lo
	s_delay_alu instid0(VALU_DEP_2) | instskip(NEXT) | instid1(VALU_DEP_2)
	v_mul_lo_u32 v1, v1, s16
	v_mul_lo_u32 v2, v2, s18
	s_delay_alu instid0(VALU_DEP_1) | instskip(NEXT) | instid1(VALU_DEP_1)
	v_sub_nc_u32_e32 v1, v1, v2
	v_cmp_lt_u32_e32 vcc_lo, s20, v1
	v_cmpx_ge_u32_e64 s20, v1
; %bb.79:
	v_add_nc_u32_e32 v1, s22, v7
	v_add_nc_u32_e32 v2, s40, v7
	s_delay_alu instid0(VALU_DEP_2) | instskip(NEXT) | instid1(VALU_DEP_2)
	v_mul_lo_u32 v1, v1, s21
	v_mul_lo_u32 v2, v2, s23
	s_delay_alu instid0(VALU_DEP_1) | instskip(NEXT) | instid1(VALU_DEP_1)
	v_sub_nc_u32_e32 v1, v1, v2
	v_cmp_lt_u32_e64 s0, s41, v1
	s_delay_alu instid0(VALU_DEP_1)
	s_and_b32 s2, s0, exec_lo
; %bb.80:
	s_or_b32 exec_lo, exec_lo, s6
	v_cndmask_b32_e64 v51, 0, 1, vcc_lo
	v_cndmask_b32_e64 v52, 0, 1, s2
.LBB1179_81:
	s_or_b32 exec_lo, exec_lo, s1
	v_add_nc_u32_e32 v1, 12, v28
	s_mov_b32 s42, 0
	s_mov_b32 s43, 0
	s_mov_b32 s0, exec_lo
	s_delay_alu instid0(VALU_DEP_1)
	v_cmpx_gt_u32_e64 s3, v1
	s_cbranch_execz .LBB1179_85
; %bb.82:
	v_add_nc_u32_e32 v1, s17, v27
	v_add_nc_u32_e32 v2, s19, v27
	s_mov_b32 s2, -1
	s_mov_b32 s6, 0
	s_mov_b32 s1, exec_lo
	v_mul_lo_u32 v1, v1, s16
	v_mul_lo_u32 v2, v2, s18
	s_delay_alu instid0(VALU_DEP_1) | instskip(NEXT) | instid1(VALU_DEP_1)
	v_sub_nc_u32_e32 v1, v1, v2
	v_cmpx_ge_u32_e64 s20, v1
; %bb.83:
	v_add_nc_u32_e32 v1, s22, v27
	v_add_nc_u32_e32 v2, s40, v27
	s_xor_b32 s2, exec_lo, -1
	s_delay_alu instid0(VALU_DEP_2) | instskip(NEXT) | instid1(VALU_DEP_2)
	v_mul_lo_u32 v1, v1, s21
	v_mul_lo_u32 v2, v2, s23
	s_delay_alu instid0(VALU_DEP_1) | instskip(NEXT) | instid1(VALU_DEP_1)
	v_sub_nc_u32_e32 v1, v1, v2
	v_cmp_lt_u32_e32 vcc_lo, s41, v1
	s_and_b32 s6, vcc_lo, exec_lo
; %bb.84:
	s_or_b32 exec_lo, exec_lo, s1
	s_delay_alu instid0(SALU_CYCLE_1)
	s_and_b32 s43, s6, exec_lo
	s_and_b32 s42, s2, exec_lo
.LBB1179_85:
	s_or_b32 exec_lo, exec_lo, s0
.LBB1179_86:
	v_and_b32_e32 v75, 0xff, v29
	v_and_b32_e32 v76, 0xff, v30
	;; [unrolled: 1-line block ×10, first 2 shown]
	v_add3_u32 v1, v71, v73, v75
	v_add3_u32 v2, v72, v74, v76
	v_and_b32_e32 v65, 0xff, v41
	v_and_b32_e32 v66, 0xff, v39
	v_and_b32_e32 v61, 0xff, v42
	v_and_b32_e32 v62, 0xff, v40
	v_add3_u32 v1, v1, v69, v67
	v_add3_u32 v2, v2, v70, v68
	v_and_b32_e32 v63, 0xff, v44
	v_and_b32_e32 v64, 0xff, v43
	v_and_b32_e32 v59, 0xff, v46
	v_and_b32_e32 v60, 0xff, v45
	;; [unrolled: 6-line block ×3, first 2 shown]
	v_add3_u32 v1, v1, v63, v59
	v_add3_u32 v2, v2, v64, v60
	v_mbcnt_lo_u32_b32 v77, -1, 0
	v_and_b32_e32 v53, 0xff, v51
	v_and_b32_e32 v54, 0xff, v52
	v_cndmask_b32_e64 v3, 0, 1, s43
	v_add3_u32 v1, v1, v57, v55
	v_cndmask_b32_e64 v4, 0, 1, s42
	v_add3_u32 v2, v2, v58, v56
	v_and_b32_e32 v81, 15, v77
	v_and_b32_e32 v80, 16, v77
	v_lshrrev_b32_e32 v78, 5, v0
	v_add3_u32 v82, v1, v53, v4
	v_add3_u32 v83, v2, v54, v3
	v_cmp_eq_u32_e64 s1, 0, v81
	v_cmp_lt_u32_e64 s0, 1, v81
	v_cmp_lt_u32_e64 s2, 3, v81
	v_cmp_lt_u32_e32 vcc_lo, 7, v81
	v_or_b32_e32 v79, 31, v0
	s_cmp_lg_u32 s15, 0
	s_mov_b32 s6, -1
	s_cbranch_scc0 .LBB1179_119
; %bb.87:
	v_mov_b32_dpp v1, v83 row_shr:1 row_mask:0xf bank_mask:0xf
	v_mov_b32_dpp v2, v82 row_shr:1 row_mask:0xf bank_mask:0xf
	s_delay_alu instid0(VALU_DEP_2) | instskip(NEXT) | instid1(VALU_DEP_1)
	v_add_nc_u32_e32 v1, v1, v83
	v_cndmask_b32_e64 v1, v1, v83, s1
	s_delay_alu instid0(VALU_DEP_1) | instskip(NEXT) | instid1(VALU_DEP_1)
	v_mov_b32_dpp v3, v1 row_shr:2 row_mask:0xf bank_mask:0xf
	v_add_nc_u32_e32 v3, v1, v3
	s_delay_alu instid0(VALU_DEP_1) | instskip(NEXT) | instid1(VALU_DEP_1)
	v_cndmask_b32_e64 v1, v1, v3, s0
	v_mov_b32_dpp v3, v1 row_shr:4 row_mask:0xf bank_mask:0xf
	s_delay_alu instid0(VALU_DEP_1) | instskip(NEXT) | instid1(VALU_DEP_1)
	v_add_nc_u32_e32 v3, v1, v3
	v_cndmask_b32_e64 v1, v1, v3, s2
	s_delay_alu instid0(VALU_DEP_1) | instskip(NEXT) | instid1(VALU_DEP_1)
	v_mov_b32_dpp v3, v1 row_shr:8 row_mask:0xf bank_mask:0xf
	v_add_nc_u32_e32 v3, v1, v3
	s_delay_alu instid0(VALU_DEP_1) | instskip(NEXT) | instid1(VALU_DEP_1)
	v_dual_cndmask_b32 v1, v1, v3 :: v_dual_add_nc_u32 v2, v2, v82
	v_cndmask_b32_e64 v2, v2, v82, s1
	s_delay_alu instid0(VALU_DEP_1) | instskip(NEXT) | instid1(VALU_DEP_1)
	v_mov_b32_dpp v4, v2 row_shr:2 row_mask:0xf bank_mask:0xf
	v_add_nc_u32_e32 v4, v2, v4
	s_delay_alu instid0(VALU_DEP_1) | instskip(NEXT) | instid1(VALU_DEP_1)
	v_cndmask_b32_e64 v2, v2, v4, s0
	v_mov_b32_dpp v4, v2 row_shr:4 row_mask:0xf bank_mask:0xf
	s_delay_alu instid0(VALU_DEP_1) | instskip(NEXT) | instid1(VALU_DEP_1)
	v_add_nc_u32_e32 v4, v2, v4
	v_cndmask_b32_e64 v2, v2, v4, s2
	s_mov_b32 s2, exec_lo
	s_delay_alu instid0(VALU_DEP_1) | instskip(NEXT) | instid1(VALU_DEP_1)
	v_mov_b32_dpp v4, v2 row_shr:8 row_mask:0xf bank_mask:0xf
	v_add_nc_u32_e32 v4, v2, v4
	s_delay_alu instid0(VALU_DEP_1)
	v_cndmask_b32_e32 v3, v2, v4, vcc_lo
	ds_swizzle_b32 v2, v1 offset:swizzle(BROADCAST,32,15)
	v_cmp_eq_u32_e32 vcc_lo, 0, v80
	s_waitcnt lgkmcnt(0)
	v_add_nc_u32_e32 v2, v1, v2
	ds_swizzle_b32 v4, v3 offset:swizzle(BROADCAST,32,15)
	v_cndmask_b32_e32 v2, v2, v1, vcc_lo
	s_waitcnt lgkmcnt(0)
	v_add_nc_u32_e32 v4, v3, v4
	s_delay_alu instid0(VALU_DEP_1)
	v_cndmask_b32_e32 v1, v4, v3, vcc_lo
	v_cmpx_eq_u32_e64 v79, v0
	s_cbranch_execz .LBB1179_89
; %bb.88:
	v_lshlrev_b32_e32 v3, 3, v78
	ds_store_b64 v3, v[1:2]
.LBB1179_89:
	s_or_b32 exec_lo, exec_lo, s2
	s_delay_alu instid0(SALU_CYCLE_1)
	s_mov_b32 s2, exec_lo
	s_waitcnt lgkmcnt(0)
	s_barrier
	buffer_gl0_inv
	v_cmpx_gt_u32_e32 8, v0
	s_cbranch_execz .LBB1179_91
; %bb.90:
	v_lshlrev_b32_e32 v5, 3, v0
	ds_load_b64 v[3:4], v5
	s_waitcnt lgkmcnt(0)
	v_mov_b32_dpp v18, v3 row_shr:1 row_mask:0xf bank_mask:0xf
	v_mov_b32_dpp v19, v4 row_shr:1 row_mask:0xf bank_mask:0xf
	s_delay_alu instid0(VALU_DEP_2) | instskip(SKIP_1) | instid1(VALU_DEP_3)
	v_add_nc_u32_e32 v18, v18, v3
	v_and_b32_e32 v20, 7, v77
	v_add_nc_u32_e32 v19, v19, v4
	s_delay_alu instid0(VALU_DEP_2) | instskip(NEXT) | instid1(VALU_DEP_2)
	v_cmp_eq_u32_e32 vcc_lo, 0, v20
	v_dual_cndmask_b32 v4, v19, v4 :: v_dual_cndmask_b32 v3, v18, v3
	v_cmp_lt_u32_e32 vcc_lo, 1, v20
	s_delay_alu instid0(VALU_DEP_2) | instskip(NEXT) | instid1(VALU_DEP_3)
	v_mov_b32_dpp v19, v4 row_shr:2 row_mask:0xf bank_mask:0xf
	v_mov_b32_dpp v18, v3 row_shr:2 row_mask:0xf bank_mask:0xf
	s_delay_alu instid0(VALU_DEP_2) | instskip(NEXT) | instid1(VALU_DEP_2)
	v_add_nc_u32_e32 v19, v4, v19
	v_add_nc_u32_e32 v18, v3, v18
	s_delay_alu instid0(VALU_DEP_1) | instskip(SKIP_1) | instid1(VALU_DEP_2)
	v_dual_cndmask_b32 v4, v4, v19 :: v_dual_cndmask_b32 v3, v3, v18
	v_cmp_lt_u32_e32 vcc_lo, 3, v20
	v_mov_b32_dpp v19, v4 row_shr:4 row_mask:0xf bank_mask:0xf
	s_delay_alu instid0(VALU_DEP_3) | instskip(NEXT) | instid1(VALU_DEP_1)
	v_mov_b32_dpp v18, v3 row_shr:4 row_mask:0xf bank_mask:0xf
	v_dual_cndmask_b32 v19, 0, v19 :: v_dual_cndmask_b32 v18, 0, v18
	s_delay_alu instid0(VALU_DEP_1) | instskip(NEXT) | instid1(VALU_DEP_2)
	v_add_nc_u32_e32 v4, v19, v4
	v_add_nc_u32_e32 v3, v18, v3
	ds_store_b64 v5, v[3:4]
.LBB1179_91:
	s_or_b32 exec_lo, exec_lo, s2
	v_cmp_gt_u32_e32 vcc_lo, 32, v0
	v_cmp_lt_u32_e64 s2, 31, v0
	s_waitcnt lgkmcnt(0)
	s_barrier
	buffer_gl0_inv
                                        ; implicit-def: $vgpr19
	s_and_saveexec_b32 s6, s2
	s_delay_alu instid0(SALU_CYCLE_1)
	s_xor_b32 s2, exec_lo, s6
	s_cbranch_execz .LBB1179_93
; %bb.92:
	v_lshl_add_u32 v3, v78, 3, -8
	ds_load_b64 v[18:19], v3
	s_waitcnt lgkmcnt(0)
	v_add_nc_u32_e32 v2, v19, v2
	v_add_nc_u32_e32 v1, v18, v1
.LBB1179_93:
	s_and_not1_saveexec_b32 s2, s2
; %bb.94:
                                        ; implicit-def: $vgpr18
; %bb.95:
	s_delay_alu instid0(SALU_CYCLE_1) | instskip(SKIP_1) | instid1(VALU_DEP_1)
	s_or_b32 exec_lo, exec_lo, s2
	v_add_nc_u32_e32 v3, -1, v77
	v_cmp_gt_i32_e64 s2, 0, v3
	s_delay_alu instid0(VALU_DEP_1) | instskip(SKIP_1) | instid1(VALU_DEP_2)
	v_cndmask_b32_e64 v3, v3, v77, s2
	v_cmp_eq_u32_e64 s2, 0, v77
	v_lshlrev_b32_e32 v3, 2, v3
	ds_bpermute_b32 v84, v3, v1
	ds_bpermute_b32 v85, v3, v2
	s_and_saveexec_b32 s6, vcc_lo
	s_cbranch_execz .LBB1179_118
; %bb.96:
	v_mov_b32_e32 v4, 0
	ds_load_b64 v[1:2], v4 offset:56
	s_waitcnt lgkmcnt(0)
	v_readfirstlane_b32 s7, v2
	s_and_saveexec_b32 s8, s2
	s_cbranch_execz .LBB1179_98
; %bb.97:
	s_add_i32 s10, s15, 32
	s_mov_b32 s11, 0
	v_mov_b32_e32 v3, 1
	s_lshl_b64 s[12:13], s[10:11], 4
	s_mov_b32 s16, s11
	s_add_u32 s12, s4, s12
	s_addc_u32 s13, s5, s13
	s_and_b32 s17, s7, 0xff000000
	s_and_b32 s19, s7, 0xff0000
	s_mov_b32 s18, s11
	v_dual_mov_b32 v21, s13 :: v_dual_mov_b32 v20, s12
	s_or_b64 s[16:17], s[18:19], s[16:17]
	s_and_b32 s19, s7, 0xff00
	s_delay_alu instid0(SALU_CYCLE_1) | instskip(SKIP_1) | instid1(SALU_CYCLE_1)
	s_or_b64 s[16:17], s[16:17], s[18:19]
	s_and_b32 s19, s7, 0xff
	s_or_b64 s[10:11], s[16:17], s[18:19]
	s_delay_alu instid0(SALU_CYCLE_1)
	v_mov_b32_e32 v2, s11
	;;#ASMSTART
	global_store_dwordx4 v[20:21], v[1:4] off	
s_waitcnt vmcnt(0)
	;;#ASMEND
.LBB1179_98:
	s_or_b32 exec_lo, exec_lo, s8
	v_xad_u32 v20, v77, -1, s15
	s_mov_b32 s9, 0
	s_mov_b32 s8, exec_lo
	s_delay_alu instid0(VALU_DEP_1) | instskip(NEXT) | instid1(VALU_DEP_1)
	v_add_nc_u32_e32 v3, 32, v20
	v_lshlrev_b64 v[2:3], 4, v[3:4]
	s_delay_alu instid0(VALU_DEP_1) | instskip(NEXT) | instid1(VALU_DEP_2)
	v_add_co_u32 v21, vcc_lo, s4, v2
	v_add_co_ci_u32_e32 v22, vcc_lo, s5, v3, vcc_lo
	;;#ASMSTART
	global_load_dwordx4 v[2:5], v[21:22] off glc	
s_waitcnt vmcnt(0)
	;;#ASMEND
	v_and_b32_e32 v5, 0xff, v3
	v_and_b32_e32 v23, 0xff00, v3
	v_or3_b32 v2, v2, 0, 0
	v_and_b32_e32 v24, 0xff000000, v3
	v_and_b32_e32 v3, 0xff0000, v3
	s_delay_alu instid0(VALU_DEP_4) | instskip(SKIP_2) | instid1(VALU_DEP_3)
	v_or3_b32 v5, 0, v5, v23
	v_and_b32_e32 v23, 0xff, v4
	v_or3_b32 v2, v2, 0, 0
	v_or3_b32 v3, v5, v3, v24
	s_delay_alu instid0(VALU_DEP_3)
	v_cmpx_eq_u16_e32 0, v23
	s_cbranch_execz .LBB1179_104
; %bb.99:
	s_mov_b32 s10, 1
	.p2align	6
.LBB1179_100:                           ; =>This Loop Header: Depth=1
                                        ;     Child Loop BB1179_101 Depth 2
	s_delay_alu instid0(SALU_CYCLE_1)
	s_max_u32 s11, s10, 1
.LBB1179_101:                           ;   Parent Loop BB1179_100 Depth=1
                                        ; =>  This Inner Loop Header: Depth=2
	s_delay_alu instid0(SALU_CYCLE_1)
	s_add_i32 s11, s11, -1
	s_sleep 1
	s_cmp_eq_u32 s11, 0
	s_cbranch_scc0 .LBB1179_101
; %bb.102:                              ;   in Loop: Header=BB1179_100 Depth=1
	;;#ASMSTART
	global_load_dwordx4 v[2:5], v[21:22] off glc	
s_waitcnt vmcnt(0)
	;;#ASMEND
	v_and_b32_e32 v5, 0xff, v4
	s_cmp_lt_u32 s10, 32
	s_cselect_b32 s11, -1, 0
	s_delay_alu instid0(SALU_CYCLE_1) | instskip(NEXT) | instid1(VALU_DEP_1)
	s_cmp_lg_u32 s11, 0
	v_cmp_ne_u16_e32 vcc_lo, 0, v5
	s_addc_u32 s10, s10, 0
	s_or_b32 s9, vcc_lo, s9
	s_delay_alu instid0(SALU_CYCLE_1)
	s_and_not1_b32 exec_lo, exec_lo, s9
	s_cbranch_execnz .LBB1179_100
; %bb.103:
	s_or_b32 exec_lo, exec_lo, s9
.LBB1179_104:
	s_delay_alu instid0(SALU_CYCLE_1)
	s_or_b32 exec_lo, exec_lo, s8
	v_cmp_ne_u32_e32 vcc_lo, 31, v77
	v_lshlrev_b32_e64 v87, v77, -1
	v_add_nc_u32_e32 v91, 4, v77
	v_add_nc_u32_e32 v93, 8, v77
	;; [unrolled: 1-line block ×3, first 2 shown]
	v_add_co_ci_u32_e32 v5, vcc_lo, 0, v77, vcc_lo
	s_delay_alu instid0(VALU_DEP_1)
	v_lshlrev_b32_e32 v86, 2, v5
	ds_bpermute_b32 v21, v86, v3
	ds_bpermute_b32 v5, v86, v2
	s_waitcnt lgkmcnt(1)
	v_add_nc_u32_e32 v21, v21, v3
	v_and_b32_e32 v22, 0xff, v4
	s_waitcnt lgkmcnt(0)
	v_add_nc_u32_e32 v5, v5, v2
	s_delay_alu instid0(VALU_DEP_2) | instskip(SKIP_2) | instid1(VALU_DEP_2)
	v_cmp_eq_u16_e32 vcc_lo, 2, v22
	v_and_or_b32 v22, vcc_lo, v87, 0x80000000
	v_cmp_gt_u32_e32 vcc_lo, 30, v77
	v_ctz_i32_b32_e32 v22, v22
	v_cndmask_b32_e64 v23, 0, 1, vcc_lo
	s_delay_alu instid0(VALU_DEP_2) | instskip(NEXT) | instid1(VALU_DEP_2)
	v_cmp_lt_u32_e32 vcc_lo, v77, v22
	v_dual_cndmask_b32 v2, v2, v5 :: v_dual_lshlrev_b32 v23, 1, v23
	s_delay_alu instid0(VALU_DEP_1)
	v_add_lshl_u32 v88, v23, v77, 2
	v_cndmask_b32_e32 v3, v3, v21, vcc_lo
	v_cmp_gt_u32_e32 vcc_lo, 28, v77
	ds_bpermute_b32 v5, v88, v2
	ds_bpermute_b32 v21, v88, v3
	v_cndmask_b32_e64 v23, 0, 1, vcc_lo
	s_waitcnt lgkmcnt(1)
	v_add_nc_u32_e32 v5, v2, v5
	v_add_nc_u32_e32 v89, 2, v77
	s_waitcnt lgkmcnt(0)
	v_add_nc_u32_e32 v21, v3, v21
	s_delay_alu instid0(VALU_DEP_2) | instskip(SKIP_1) | instid1(VALU_DEP_3)
	v_cmp_gt_u32_e32 vcc_lo, v89, v22
	v_dual_cndmask_b32 v2, v5, v2 :: v_dual_lshlrev_b32 v23, 2, v23
	v_cndmask_b32_e32 v3, v21, v3, vcc_lo
	v_cmp_gt_u32_e32 vcc_lo, 24, v77
	s_delay_alu instid0(VALU_DEP_3)
	v_add_lshl_u32 v90, v23, v77, 2
	v_cndmask_b32_e64 v23, 0, 1, vcc_lo
	v_cmp_gt_u32_e32 vcc_lo, v91, v22
	ds_bpermute_b32 v5, v90, v2
	ds_bpermute_b32 v21, v90, v3
	v_lshlrev_b32_e32 v23, 3, v23
	s_delay_alu instid0(VALU_DEP_1) | instskip(SKIP_3) | instid1(VALU_DEP_1)
	v_add_lshl_u32 v92, v23, v77, 2
	s_waitcnt lgkmcnt(1)
	v_add_nc_u32_e32 v5, v2, v5
	s_waitcnt lgkmcnt(0)
	v_dual_cndmask_b32 v2, v5, v2 :: v_dual_add_nc_u32 v21, v3, v21
	s_delay_alu instid0(VALU_DEP_1)
	v_cndmask_b32_e32 v3, v21, v3, vcc_lo
	v_cmp_gt_u32_e32 vcc_lo, 16, v77
	ds_bpermute_b32 v5, v92, v2
	ds_bpermute_b32 v21, v92, v3
	v_cndmask_b32_e64 v23, 0, 1, vcc_lo
	v_cmp_gt_u32_e32 vcc_lo, v93, v22
	s_delay_alu instid0(VALU_DEP_2) | instskip(NEXT) | instid1(VALU_DEP_1)
	v_lshlrev_b32_e32 v23, 4, v23
	v_add_lshl_u32 v94, v23, v77, 2
	s_waitcnt lgkmcnt(1)
	v_add_nc_u32_e32 v5, v2, v5
	s_waitcnt lgkmcnt(0)
	s_delay_alu instid0(VALU_DEP_1) | instskip(NEXT) | instid1(VALU_DEP_1)
	v_dual_cndmask_b32 v2, v5, v2 :: v_dual_add_nc_u32 v21, v3, v21
	v_cndmask_b32_e32 v3, v21, v3, vcc_lo
	v_cmp_le_u32_e32 vcc_lo, v95, v22
	ds_bpermute_b32 v5, v94, v2
	ds_bpermute_b32 v21, v94, v3
	s_waitcnt lgkmcnt(1)
	v_cndmask_b32_e32 v5, 0, v5, vcc_lo
	s_waitcnt lgkmcnt(0)
	s_delay_alu instid0(VALU_DEP_1) | instskip(NEXT) | instid1(VALU_DEP_1)
	v_dual_cndmask_b32 v21, 0, v21 :: v_dual_add_nc_u32 v2, v5, v2
	v_add_nc_u32_e32 v3, v21, v3
	v_mov_b32_e32 v21, 0
	s_branch .LBB1179_106
.LBB1179_105:                           ;   in Loop: Header=BB1179_106 Depth=1
	s_or_b32 exec_lo, exec_lo, s8
	ds_bpermute_b32 v5, v86, v2
	ds_bpermute_b32 v24, v86, v3
	v_subrev_nc_u32_e32 v20, 32, v20
	s_waitcnt lgkmcnt(1)
	v_add_nc_u32_e32 v5, v5, v2
	v_and_b32_e32 v25, 0xff, v4
	s_waitcnt lgkmcnt(0)
	v_add_nc_u32_e32 v24, v24, v3
	s_delay_alu instid0(VALU_DEP_2) | instskip(SKIP_1) | instid1(VALU_DEP_1)
	v_cmp_eq_u16_e32 vcc_lo, 2, v25
	v_and_or_b32 v25, vcc_lo, v87, 0x80000000
	v_ctz_i32_b32_e32 v25, v25
	s_delay_alu instid0(VALU_DEP_1)
	v_cmp_lt_u32_e32 vcc_lo, v77, v25
	v_cndmask_b32_e32 v2, v2, v5, vcc_lo
	ds_bpermute_b32 v5, v88, v2
	s_waitcnt lgkmcnt(0)
	v_add_nc_u32_e32 v5, v2, v5
	v_cndmask_b32_e32 v3, v3, v24, vcc_lo
	v_cmp_gt_u32_e32 vcc_lo, v89, v25
	s_delay_alu instid0(VALU_DEP_3)
	v_cndmask_b32_e32 v2, v5, v2, vcc_lo
	ds_bpermute_b32 v24, v88, v3
	ds_bpermute_b32 v5, v90, v2
	s_waitcnt lgkmcnt(1)
	v_add_nc_u32_e32 v24, v3, v24
	s_waitcnt lgkmcnt(0)
	v_add_nc_u32_e32 v5, v2, v5
	s_delay_alu instid0(VALU_DEP_2) | instskip(SKIP_1) | instid1(VALU_DEP_3)
	v_cndmask_b32_e32 v3, v24, v3, vcc_lo
	v_cmp_gt_u32_e32 vcc_lo, v91, v25
	v_cndmask_b32_e32 v2, v5, v2, vcc_lo
	ds_bpermute_b32 v24, v90, v3
	ds_bpermute_b32 v5, v92, v2
	s_waitcnt lgkmcnt(1)
	v_add_nc_u32_e32 v24, v3, v24
	s_waitcnt lgkmcnt(0)
	v_add_nc_u32_e32 v5, v2, v5
	s_delay_alu instid0(VALU_DEP_2) | instskip(SKIP_1) | instid1(VALU_DEP_3)
	v_cndmask_b32_e32 v3, v24, v3, vcc_lo
	v_cmp_gt_u32_e32 vcc_lo, v93, v25
	v_cndmask_b32_e32 v2, v5, v2, vcc_lo
	ds_bpermute_b32 v24, v92, v3
	ds_bpermute_b32 v5, v94, v2
	s_waitcnt lgkmcnt(1)
	v_add_nc_u32_e32 v24, v3, v24
	s_delay_alu instid0(VALU_DEP_1) | instskip(SKIP_4) | instid1(VALU_DEP_1)
	v_cndmask_b32_e32 v3, v24, v3, vcc_lo
	v_cmp_le_u32_e32 vcc_lo, v95, v25
	ds_bpermute_b32 v24, v94, v3
	s_waitcnt lgkmcnt(1)
	v_cndmask_b32_e32 v5, 0, v5, vcc_lo
	v_add3_u32 v2, v2, v22, v5
	s_waitcnt lgkmcnt(0)
	v_cndmask_b32_e32 v24, 0, v24, vcc_lo
	s_delay_alu instid0(VALU_DEP_1)
	v_add3_u32 v3, v3, v23, v24
.LBB1179_106:                           ; =>This Loop Header: Depth=1
                                        ;     Child Loop BB1179_109 Depth 2
                                        ;       Child Loop BB1179_110 Depth 3
	s_delay_alu instid0(VALU_DEP_1) | instskip(SKIP_1) | instid1(VALU_DEP_2)
	v_dual_mov_b32 v23, v3 :: v_dual_and_b32 v4, 0xff, v4
	v_mov_b32_e32 v22, v2
	v_cmp_ne_u16_e32 vcc_lo, 2, v4
	v_cndmask_b32_e64 v4, 0, 1, vcc_lo
	;;#ASMSTART
	;;#ASMEND
	s_delay_alu instid0(VALU_DEP_1)
	v_cmp_ne_u32_e32 vcc_lo, 0, v4
	s_cmp_lg_u32 vcc_lo, exec_lo
	s_cbranch_scc1 .LBB1179_113
; %bb.107:                              ;   in Loop: Header=BB1179_106 Depth=1
	v_lshlrev_b64 v[2:3], 4, v[20:21]
	s_mov_b32 s8, exec_lo
	s_delay_alu instid0(VALU_DEP_1) | instskip(NEXT) | instid1(VALU_DEP_2)
	v_add_co_u32 v24, vcc_lo, s4, v2
	v_add_co_ci_u32_e32 v25, vcc_lo, s5, v3, vcc_lo
	;;#ASMSTART
	global_load_dwordx4 v[2:5], v[24:25] off glc	
s_waitcnt vmcnt(0)
	;;#ASMEND
	v_and_b32_e32 v5, 0xff, v3
	v_and_b32_e32 v96, 0xff00, v3
	v_or3_b32 v2, v2, 0, 0
	v_and_b32_e32 v97, 0xff000000, v3
	v_and_b32_e32 v3, 0xff0000, v3
	s_delay_alu instid0(VALU_DEP_4) | instskip(SKIP_2) | instid1(VALU_DEP_3)
	v_or3_b32 v5, 0, v5, v96
	v_and_b32_e32 v96, 0xff, v4
	v_or3_b32 v2, v2, 0, 0
	v_or3_b32 v3, v5, v3, v97
	s_delay_alu instid0(VALU_DEP_3)
	v_cmpx_eq_u16_e32 0, v96
	s_cbranch_execz .LBB1179_105
; %bb.108:                              ;   in Loop: Header=BB1179_106 Depth=1
	s_mov_b32 s10, 1
	s_mov_b32 s9, 0
	.p2align	6
.LBB1179_109:                           ;   Parent Loop BB1179_106 Depth=1
                                        ; =>  This Loop Header: Depth=2
                                        ;       Child Loop BB1179_110 Depth 3
	s_max_u32 s11, s10, 1
.LBB1179_110:                           ;   Parent Loop BB1179_106 Depth=1
                                        ;     Parent Loop BB1179_109 Depth=2
                                        ; =>    This Inner Loop Header: Depth=3
	s_delay_alu instid0(SALU_CYCLE_1)
	s_add_i32 s11, s11, -1
	s_sleep 1
	s_cmp_eq_u32 s11, 0
	s_cbranch_scc0 .LBB1179_110
; %bb.111:                              ;   in Loop: Header=BB1179_109 Depth=2
	;;#ASMSTART
	global_load_dwordx4 v[2:5], v[24:25] off glc	
s_waitcnt vmcnt(0)
	;;#ASMEND
	v_and_b32_e32 v5, 0xff, v4
	s_cmp_lt_u32 s10, 32
	s_cselect_b32 s11, -1, 0
	s_delay_alu instid0(SALU_CYCLE_1) | instskip(NEXT) | instid1(VALU_DEP_1)
	s_cmp_lg_u32 s11, 0
	v_cmp_ne_u16_e32 vcc_lo, 0, v5
	s_addc_u32 s10, s10, 0
	s_or_b32 s9, vcc_lo, s9
	s_delay_alu instid0(SALU_CYCLE_1)
	s_and_not1_b32 exec_lo, exec_lo, s9
	s_cbranch_execnz .LBB1179_109
; %bb.112:                              ;   in Loop: Header=BB1179_106 Depth=1
	s_or_b32 exec_lo, exec_lo, s9
	s_branch .LBB1179_105
.LBB1179_113:                           ;   in Loop: Header=BB1179_106 Depth=1
                                        ; implicit-def: $vgpr4
                                        ; implicit-def: $vgpr2_vgpr3
	s_cbranch_execz .LBB1179_106
; %bb.114:
	s_and_saveexec_b32 s8, s2
	s_cbranch_execnz .LBB1179_357
; %bb.115:
	s_or_b32 exec_lo, exec_lo, s8
	s_and_saveexec_b32 s8, s2
	s_cbranch_execnz .LBB1179_358
.LBB1179_116:
	s_or_b32 exec_lo, exec_lo, s8
	v_cmp_eq_u32_e32 vcc_lo, 0, v0
	s_and_b32 exec_lo, exec_lo, vcc_lo
	s_cbranch_execz .LBB1179_118
.LBB1179_117:
	v_mov_b32_e32 v1, 0
	ds_store_b64 v1, v[22:23] offset:56
.LBB1179_118:
	s_or_b32 exec_lo, exec_lo, s6
	v_cmp_eq_u32_e32 vcc_lo, 0, v0
	v_mov_b32_e32 v1, 0
	s_waitcnt lgkmcnt(0)
	s_barrier
	buffer_gl0_inv
	v_add_nc_u32_e64 v3, 0x3400, 0
	ds_load_b64 v[20:21], v1 offset:56
	s_waitcnt lgkmcnt(0)
	s_barrier
	buffer_gl0_inv
	ds_load_2addr_b32 v[1:2], v3 offset1:2
	ds_load_2addr_b32 v[3:4], v3 offset0:4 offset1:6
	v_cndmask_b32_e64 v5, v84, v18, s2
	v_cndmask_b32_e64 v18, v85, v19, s2
	s_delay_alu instid0(VALU_DEP_2) | instskip(NEXT) | instid1(VALU_DEP_1)
	v_add_nc_u32_e32 v19, v20, v5
	v_dual_cndmask_b32 v20, v19, v20 :: v_dual_add_nc_u32 v5, v21, v18
	s_delay_alu instid0(VALU_DEP_1)
	v_cndmask_b32_e32 v5, v5, v21, vcc_lo
	s_branch .LBB1179_129
.LBB1179_119:
                                        ; implicit-def: $vgpr5
                                        ; implicit-def: $vgpr3
                                        ; implicit-def: $vgpr1
                                        ; implicit-def: $vgpr20_vgpr21
	s_and_b32 vcc_lo, exec_lo, s6
	s_cbranch_vccz .LBB1179_129
; %bb.120:
	s_waitcnt lgkmcnt(0)
	v_mov_b32_dpp v2, v83 row_shr:1 row_mask:0xf bank_mask:0xf
	v_cmp_lt_u32_e32 vcc_lo, 3, v81
	v_mov_b32_dpp v1, v82 row_shr:1 row_mask:0xf bank_mask:0xf
	s_delay_alu instid0(VALU_DEP_3) | instskip(NEXT) | instid1(VALU_DEP_1)
	v_add_nc_u32_e32 v2, v2, v83
	v_cndmask_b32_e64 v2, v2, v83, s1
	s_delay_alu instid0(VALU_DEP_1) | instskip(NEXT) | instid1(VALU_DEP_1)
	v_mov_b32_dpp v4, v2 row_shr:2 row_mask:0xf bank_mask:0xf
	v_add_nc_u32_e32 v4, v2, v4
	s_delay_alu instid0(VALU_DEP_1) | instskip(NEXT) | instid1(VALU_DEP_1)
	v_cndmask_b32_e64 v2, v2, v4, s0
	v_mov_b32_dpp v4, v2 row_shr:4 row_mask:0xf bank_mask:0xf
	s_delay_alu instid0(VALU_DEP_1) | instskip(NEXT) | instid1(VALU_DEP_1)
	v_add_nc_u32_e32 v4, v2, v4
	v_dual_cndmask_b32 v2, v2, v4 :: v_dual_add_nc_u32 v1, v1, v82
	s_delay_alu instid0(VALU_DEP_1) | instskip(NEXT) | instid1(VALU_DEP_2)
	v_cndmask_b32_e64 v1, v1, v82, s1
	v_mov_b32_dpp v4, v2 row_shr:8 row_mask:0xf bank_mask:0xf
	s_delay_alu instid0(VALU_DEP_2) | instskip(NEXT) | instid1(VALU_DEP_2)
	v_mov_b32_dpp v3, v1 row_shr:2 row_mask:0xf bank_mask:0xf
	v_add_nc_u32_e32 v4, v2, v4
	s_delay_alu instid0(VALU_DEP_2) | instskip(NEXT) | instid1(VALU_DEP_1)
	v_add_nc_u32_e32 v3, v1, v3
	v_cndmask_b32_e64 v1, v1, v3, s0
	s_mov_b32 s0, exec_lo
	s_delay_alu instid0(VALU_DEP_1) | instskip(NEXT) | instid1(VALU_DEP_1)
	v_mov_b32_dpp v3, v1 row_shr:4 row_mask:0xf bank_mask:0xf
	v_add_nc_u32_e32 v3, v1, v3
	s_delay_alu instid0(VALU_DEP_1) | instskip(SKIP_1) | instid1(VALU_DEP_2)
	v_cndmask_b32_e32 v1, v1, v3, vcc_lo
	v_cmp_lt_u32_e32 vcc_lo, 7, v81
	v_mov_b32_dpp v3, v1 row_shr:8 row_mask:0xf bank_mask:0xf
	s_delay_alu instid0(VALU_DEP_1) | instskip(NEXT) | instid1(VALU_DEP_1)
	v_dual_cndmask_b32 v2, v2, v4 :: v_dual_add_nc_u32 v3, v1, v3
	v_cndmask_b32_e32 v1, v1, v3, vcc_lo
	ds_swizzle_b32 v3, v2 offset:swizzle(BROADCAST,32,15)
	v_cmp_eq_u32_e32 vcc_lo, 0, v80
	ds_swizzle_b32 v4, v1 offset:swizzle(BROADCAST,32,15)
	s_waitcnt lgkmcnt(1)
	v_add_nc_u32_e32 v3, v2, v3
	s_waitcnt lgkmcnt(0)
	v_add_nc_u32_e32 v4, v1, v4
	s_delay_alu instid0(VALU_DEP_1)
	v_dual_cndmask_b32 v2, v3, v2 :: v_dual_cndmask_b32 v1, v4, v1
	v_cmpx_eq_u32_e64 v79, v0
	s_cbranch_execz .LBB1179_122
; %bb.121:
	v_lshlrev_b32_e32 v3, 3, v78
	ds_store_b64 v3, v[1:2]
.LBB1179_122:
	s_or_b32 exec_lo, exec_lo, s0
	s_delay_alu instid0(SALU_CYCLE_1)
	s_mov_b32 s0, exec_lo
	s_waitcnt lgkmcnt(0)
	s_barrier
	buffer_gl0_inv
	v_cmpx_gt_u32_e32 8, v0
	s_cbranch_execz .LBB1179_124
; %bb.123:
	v_lshlrev_b32_e32 v5, 3, v0
	ds_load_b64 v[3:4], v5
	s_waitcnt lgkmcnt(0)
	v_mov_b32_dpp v18, v3 row_shr:1 row_mask:0xf bank_mask:0xf
	v_mov_b32_dpp v19, v4 row_shr:1 row_mask:0xf bank_mask:0xf
	s_delay_alu instid0(VALU_DEP_2) | instskip(SKIP_1) | instid1(VALU_DEP_3)
	v_add_nc_u32_e32 v18, v18, v3
	v_and_b32_e32 v20, 7, v77
	v_add_nc_u32_e32 v19, v19, v4
	s_delay_alu instid0(VALU_DEP_2) | instskip(NEXT) | instid1(VALU_DEP_2)
	v_cmp_eq_u32_e32 vcc_lo, 0, v20
	v_dual_cndmask_b32 v4, v19, v4 :: v_dual_cndmask_b32 v3, v18, v3
	v_cmp_lt_u32_e32 vcc_lo, 1, v20
	s_delay_alu instid0(VALU_DEP_2) | instskip(NEXT) | instid1(VALU_DEP_3)
	v_mov_b32_dpp v19, v4 row_shr:2 row_mask:0xf bank_mask:0xf
	v_mov_b32_dpp v18, v3 row_shr:2 row_mask:0xf bank_mask:0xf
	s_delay_alu instid0(VALU_DEP_2) | instskip(NEXT) | instid1(VALU_DEP_2)
	v_add_nc_u32_e32 v19, v4, v19
	v_add_nc_u32_e32 v18, v3, v18
	s_delay_alu instid0(VALU_DEP_1) | instskip(SKIP_1) | instid1(VALU_DEP_2)
	v_dual_cndmask_b32 v4, v4, v19 :: v_dual_cndmask_b32 v3, v3, v18
	v_cmp_lt_u32_e32 vcc_lo, 3, v20
	v_mov_b32_dpp v19, v4 row_shr:4 row_mask:0xf bank_mask:0xf
	s_delay_alu instid0(VALU_DEP_3) | instskip(NEXT) | instid1(VALU_DEP_1)
	v_mov_b32_dpp v18, v3 row_shr:4 row_mask:0xf bank_mask:0xf
	v_dual_cndmask_b32 v19, 0, v19 :: v_dual_cndmask_b32 v18, 0, v18
	s_delay_alu instid0(VALU_DEP_1) | instskip(NEXT) | instid1(VALU_DEP_2)
	v_add_nc_u32_e32 v4, v19, v4
	v_add_nc_u32_e32 v3, v18, v3
	ds_store_b64 v5, v[3:4]
.LBB1179_124:
	s_or_b32 exec_lo, exec_lo, s0
	v_dual_mov_b32 v3, 0 :: v_dual_mov_b32 v18, 0
	v_mov_b32_e32 v19, 0
	s_mov_b32 s0, exec_lo
	s_waitcnt lgkmcnt(0)
	s_barrier
	buffer_gl0_inv
	v_cmpx_lt_u32_e32 31, v0
	s_cbranch_execz .LBB1179_126
; %bb.125:
	v_lshl_add_u32 v4, v78, 3, -8
	ds_load_b64 v[18:19], v4
.LBB1179_126:
	s_or_b32 exec_lo, exec_lo, s0
	v_add_nc_u32_e32 v4, -1, v77
	s_waitcnt lgkmcnt(0)
	v_add_nc_u32_e32 v20, v19, v2
	v_add_nc_u32_e32 v5, v18, v1
	ds_load_b64 v[1:2], v3 offset:56
	v_cmp_gt_i32_e32 vcc_lo, 0, v4
	v_cndmask_b32_e32 v4, v4, v77, vcc_lo
	v_cmp_eq_u32_e32 vcc_lo, 0, v0
	s_delay_alu instid0(VALU_DEP_2)
	v_lshlrev_b32_e32 v4, 2, v4
	ds_bpermute_b32 v5, v4, v5
	ds_bpermute_b32 v20, v4, v20
	s_waitcnt lgkmcnt(2)
	v_readfirstlane_b32 s1, v2
	s_and_saveexec_b32 s0, vcc_lo
	s_cbranch_execz .LBB1179_128
; %bb.127:
	s_mov_b32 s6, 0
	s_add_u32 s4, s4, 0x200
	s_addc_u32 s5, s5, 0
	s_and_b32 s7, s1, 0xff000000
	s_and_b32 s9, s1, 0xff0000
	s_mov_b32 s8, s6
	v_mov_b32_e32 v22, s5
	s_or_b64 s[8:9], s[8:9], s[6:7]
	s_and_b32 s7, s1, 0xff00
	v_dual_mov_b32 v4, 0 :: v_dual_mov_b32 v21, s4
	s_or_b64 s[8:9], s[8:9], s[6:7]
	s_and_b32 s7, s1, 0xff
	v_mov_b32_e32 v3, 2
	s_or_b64 s[6:7], s[8:9], s[6:7]
	s_delay_alu instid0(SALU_CYCLE_1)
	v_mov_b32_e32 v2, s7
	;;#ASMSTART
	global_store_dwordx4 v[21:22], v[1:4] off	
s_waitcnt vmcnt(0)
	;;#ASMEND
.LBB1179_128:
	s_or_b32 exec_lo, exec_lo, s0
	v_cmp_eq_u32_e64 s0, 0, v77
	v_dual_mov_b32 v3, 0 :: v_dual_mov_b32 v2, s1
	s_waitcnt lgkmcnt(0)
	s_barrier
	s_delay_alu instid0(VALU_DEP_2)
	v_cndmask_b32_e64 v4, v5, v18, s0
	v_cndmask_b32_e64 v5, v20, v19, s0
	buffer_gl0_inv
	v_cndmask_b32_e64 v20, v4, 0, vcc_lo
	v_cndmask_b32_e64 v5, v5, 0, vcc_lo
	v_mov_b32_e32 v4, 0
.LBB1179_129:
	v_and_b32_e32 v30, 1, v30
	v_and_b32_e32 v34, 1, v34
	;; [unrolled: 1-line block ×4, first 2 shown]
	s_waitcnt lgkmcnt(0)
	v_add_co_u32 v18, s0, s28, v3
	v_cmp_eq_u32_e32 vcc_lo, 1, v30
	v_add_nc_u32_e32 v22, v5, v76
	v_sub_nc_u32_e32 v5, v5, v4
	v_add_co_ci_u32_e64 v19, null, s29, 0, s0
	s_mov_b32 s2, -1
	s_delay_alu instid0(VALU_DEP_3) | instskip(SKIP_3) | instid1(VALU_DEP_3)
	v_add_nc_u32_e32 v24, v22, v72
	v_sub_nc_u32_e32 v22, v22, v4
	v_add_nc_u32_e32 v5, v5, v1
	v_sub_co_u32 v72, s0, s30, v1
	v_add_nc_u32_e32 v22, v22, v1
	v_add_nc_u32_e32 v21, v20, v75
	v_sub_nc_u32_e32 v20, v20, v3
	s_delay_alu instid0(VALU_DEP_2)
	v_add_nc_u32_e32 v23, v21, v71
	v_add_nc_u32_e32 v71, v24, v74
	v_lshlrev_b32_e32 v74, 1, v1
	v_sub_nc_u32_e32 v21, v21, v3
	v_add_nc_u32_e32 v75, v20, v5
	v_sub_nc_u32_e32 v24, v24, v4
	s_delay_alu instid0(VALU_DEP_4) | instskip(NEXT) | instid1(VALU_DEP_4)
	v_add3_u32 v28, v74, v2, v28
	v_add_nc_u32_e32 v76, v22, v21
	s_delay_alu instid0(VALU_DEP_3) | instskip(NEXT) | instid1(VALU_DEP_3)
	v_add_nc_u32_e32 v24, v24, v1
	v_sub_nc_u32_e32 v75, v28, v75
	s_delay_alu instid0(VALU_DEP_3) | instskip(NEXT) | instid1(VALU_DEP_1)
	v_sub_nc_u32_e32 v76, v28, v76
	v_dual_cndmask_b32 v5, v75, v5 :: v_dual_add_nc_u32 v30, 1, v76
	v_cmp_eq_u32_e32 vcc_lo, 1, v34
	s_delay_alu instid0(VALU_DEP_2) | instskip(SKIP_1) | instid1(VALU_DEP_4)
	v_cndmask_b32_e32 v22, v30, v22, vcc_lo
	v_cmp_eq_u32_e32 vcc_lo, 1, v29
	v_cndmask_b32_e32 v5, v5, v20, vcc_lo
	v_and_b32_e32 v20, 1, v36
	v_cmp_eq_u32_e32 vcc_lo, 1, v33
	s_delay_alu instid0(VALU_DEP_3) | instskip(SKIP_1) | instid1(VALU_DEP_4)
	v_lshlrev_b32_e32 v5, 2, v5
	v_cndmask_b32_e32 v21, v22, v21, vcc_lo
	v_cmp_eq_u32_e32 vcc_lo, 1, v20
	v_add_nc_u32_e32 v25, v23, v73
	v_sub_nc_u32_e32 v23, v23, v3
	v_and_b32_e32 v22, 1, v31
	v_sub_co_ci_u32_e64 v73, null, s31, 0, s0
	v_and_b32_e32 v31, 1, v32
	s_delay_alu instid0(VALU_DEP_4) | instskip(NEXT) | instid1(VALU_DEP_1)
	v_add_nc_u32_e32 v77, v24, v23
	v_sub_nc_u32_e32 v75, v28, v77
	s_delay_alu instid0(VALU_DEP_1) | instskip(NEXT) | instid1(VALU_DEP_1)
	v_add_nc_u32_e32 v29, 2, v75
	v_cndmask_b32_e32 v20, v29, v24, vcc_lo
	v_sub_nc_u32_e32 v24, v71, v4
	v_cmp_eq_u32_e32 vcc_lo, 1, v22
	v_add_nc_u32_e32 v69, v25, v69
	v_lshlrev_b32_e32 v29, 2, v21
	ds_store_b32 v5, v16
	ds_store_b32 v29, v17
	v_cndmask_b32_e32 v22, v20, v23, vcc_lo
	v_sub_nc_u32_e32 v23, v25, v3
	v_add_nc_u32_e32 v24, v24, v1
	v_add_co_u32 v20, vcc_lo, v72, v4
	s_delay_alu instid0(VALU_DEP_4) | instskip(SKIP_1) | instid1(VALU_DEP_4)
	v_lshlrev_b32_e32 v5, 2, v22
	v_and_b32_e32 v22, 1, v35
	v_add_nc_u32_e32 v25, v23, v24
	v_add_co_ci_u32_e32 v21, vcc_lo, 0, v73, vcc_lo
	ds_store_b32 v5, v14
	v_cmp_eq_u32_e32 vcc_lo, 1, v22
	v_sub_nc_u32_e32 v17, v28, v25
	v_sub_nc_u32_e32 v29, v69, v3
	v_add_nc_u32_e32 v67, v69, v67
	s_delay_alu instid0(VALU_DEP_3) | instskip(NEXT) | instid1(VALU_DEP_2)
	v_add_nc_u32_e32 v17, 3, v17
	v_sub_nc_u32_e32 v30, v67, v3
	s_delay_alu instid0(VALU_DEP_2) | instskip(SKIP_2) | instid1(VALU_DEP_3)
	v_cndmask_b32_e32 v17, v17, v24, vcc_lo
	v_cmp_eq_u32_e32 vcc_lo, 1, v31
	v_and_b32_e32 v24, 1, v39
	v_cndmask_b32_e32 v14, v17, v23, vcc_lo
	v_add_nc_u32_e32 v70, v71, v70
	v_and_b32_e32 v23, 1, v38
	s_delay_alu instid0(VALU_DEP_3) | instskip(NEXT) | instid1(VALU_DEP_3)
	v_lshlrev_b32_e32 v14, 2, v14
	v_add_nc_u32_e32 v68, v70, v68
	v_sub_nc_u32_e32 v16, v70, v4
	ds_store_b32 v14, v15
	v_sub_nc_u32_e32 v25, v68, v4
	v_add_nc_u32_e32 v16, v16, v1
	s_delay_alu instid0(VALU_DEP_2) | instskip(NEXT) | instid1(VALU_DEP_2)
	v_add_nc_u32_e32 v25, v25, v1
	v_add_nc_u32_e32 v32, v29, v16
	s_delay_alu instid0(VALU_DEP_2) | instskip(NEXT) | instid1(VALU_DEP_2)
	v_add_nc_u32_e32 v22, v30, v25
	v_sub_nc_u32_e32 v5, v28, v32
	s_delay_alu instid0(VALU_DEP_2) | instskip(SKIP_1) | instid1(VALU_DEP_3)
	v_sub_nc_u32_e32 v17, v28, v22
	v_and_b32_e32 v22, 1, v37
	v_add_nc_u32_e32 v5, 4, v5
	s_delay_alu instid0(VALU_DEP_3) | instskip(NEXT) | instid1(VALU_DEP_3)
	v_add_nc_u32_e32 v17, 5, v17
	v_cmp_eq_u32_e32 vcc_lo, 1, v22
	s_delay_alu instid0(VALU_DEP_3)
	v_cndmask_b32_e32 v5, v5, v16, vcc_lo
	v_cmp_eq_u32_e32 vcc_lo, 1, v24
	v_and_b32_e32 v16, 1, v41
	v_cndmask_b32_e32 v17, v17, v25, vcc_lo
	v_cmp_eq_u32_e32 vcc_lo, 1, v23
	v_cndmask_b32_e32 v5, v5, v29, vcc_lo
	s_delay_alu instid0(VALU_DEP_4) | instskip(SKIP_1) | instid1(VALU_DEP_3)
	v_cmp_eq_u32_e32 vcc_lo, 1, v16
	v_add_nc_u32_e32 v66, v68, v66
	v_dual_cndmask_b32 v16, v17, v30 :: v_dual_lshlrev_b32 v5, 2, v5
	s_delay_alu instid0(VALU_DEP_2) | instskip(SKIP_1) | instid1(VALU_DEP_3)
	v_sub_nc_u32_e32 v22, v66, v4
	v_add_nc_u32_e32 v62, v66, v62
	v_lshlrev_b32_e32 v16, 2, v16
	ds_store_b32 v5, v12
	ds_store_b32 v16, v13
	v_and_b32_e32 v12, 1, v40
	v_add_nc_u32_e32 v22, v22, v1
	v_add_nc_u32_e32 v64, v62, v64
	v_sub_nc_u32_e32 v17, v62, v4
	v_and_b32_e32 v16, 1, v43
	v_cmp_eq_u32_e32 vcc_lo, 1, v12
	v_add_nc_u32_e32 v65, v67, v65
	v_sub_nc_u32_e32 v15, v64, v4
	v_add_nc_u32_e32 v17, v17, v1
	s_delay_alu instid0(VALU_DEP_3) | instskip(NEXT) | instid1(VALU_DEP_3)
	v_sub_nc_u32_e32 v23, v65, v3
	v_add_nc_u32_e32 v15, v15, v1
	s_delay_alu instid0(VALU_DEP_2) | instskip(NEXT) | instid1(VALU_DEP_1)
	v_add_nc_u32_e32 v24, v23, v22
	v_sub_nc_u32_e32 v14, v28, v24
	v_and_b32_e32 v24, 1, v48
	s_delay_alu instid0(VALU_DEP_2) | instskip(SKIP_1) | instid1(VALU_DEP_2)
	v_add_nc_u32_e32 v13, 6, v14
	v_and_b32_e32 v14, 1, v42
	v_cndmask_b32_e32 v12, v13, v22, vcc_lo
	v_add_nc_u32_e32 v61, v65, v61
	s_delay_alu instid0(VALU_DEP_3) | instskip(SKIP_1) | instid1(VALU_DEP_3)
	v_cmp_eq_u32_e32 vcc_lo, 1, v14
	v_and_b32_e32 v22, 1, v44
	v_sub_nc_u32_e32 v25, v61, v3
	v_add_nc_u32_e32 v63, v61, v63
	v_cndmask_b32_e32 v12, v12, v23, vcc_lo
	v_cmp_eq_u32_e32 vcc_lo, 1, v16
	v_and_b32_e32 v23, 1, v46
	v_add_nc_u32_e32 v5, v25, v17
	v_sub_nc_u32_e32 v13, v63, v3
	v_lshlrev_b32_e32 v12, 2, v12
	v_add_nc_u32_e32 v59, v63, v59
	s_delay_alu instid0(VALU_DEP_4) | instskip(NEXT) | instid1(VALU_DEP_4)
	v_sub_nc_u32_e32 v5, v28, v5
	v_add_nc_u32_e32 v14, v13, v15
	s_delay_alu instid0(VALU_DEP_3) | instskip(NEXT) | instid1(VALU_DEP_3)
	v_add_nc_u32_e32 v57, v59, v57
	v_add_nc_u32_e32 v5, 7, v5
	s_delay_alu instid0(VALU_DEP_3) | instskip(NEXT) | instid1(VALU_DEP_3)
	v_sub_nc_u32_e32 v14, v28, v14
	v_add_nc_u32_e32 v55, v57, v55
	s_delay_alu instid0(VALU_DEP_3)
	v_cndmask_b32_e32 v5, v5, v17, vcc_lo
	v_cmp_eq_u32_e32 vcc_lo, 1, v22
	v_and_b32_e32 v17, 1, v45
	v_add_nc_u32_e32 v14, 8, v14
	v_sub_nc_u32_e32 v22, v59, v3
	v_add_nc_u32_e32 v53, v55, v53
	v_cndmask_b32_e32 v5, v5, v25, vcc_lo
	v_cmp_eq_u32_e32 vcc_lo, 1, v17
	v_sub_nc_u32_e32 v17, v55, v3
	v_and_b32_e32 v25, 1, v52
	s_delay_alu instid0(VALU_DEP_4)
	v_dual_cndmask_b32 v14, v14, v15 :: v_dual_lshlrev_b32 v5, 2, v5
	v_cmp_eq_u32_e32 vcc_lo, 1, v23
	v_add_nc_u32_e32 v60, v64, v60
	ds_store_b32 v12, v10
	ds_store_b32 v5, v11
	v_and_b32_e32 v11, 1, v49
	v_cndmask_b32_e32 v5, v14, v13, vcc_lo
	v_sub_nc_u32_e32 v16, v60, v4
	v_add_nc_u32_e32 v58, v60, v58
	v_and_b32_e32 v13, 1, v47
	s_delay_alu instid0(VALU_DEP_4) | instskip(NEXT) | instid1(VALU_DEP_4)
	v_lshlrev_b32_e32 v5, 2, v5
	v_add_nc_u32_e32 v16, v16, v1
	s_delay_alu instid0(VALU_DEP_4) | instskip(SKIP_2) | instid1(VALU_DEP_4)
	v_add_nc_u32_e32 v56, v58, v56
	v_sub_nc_u32_e32 v12, v58, v4
	v_cmp_eq_u32_e32 vcc_lo, 1, v13
	v_add_nc_u32_e32 v15, v22, v16
	s_delay_alu instid0(VALU_DEP_4) | instskip(NEXT) | instid1(VALU_DEP_4)
	v_sub_nc_u32_e32 v14, v56, v4
	v_add_nc_u32_e32 v12, v12, v1
	v_add_nc_u32_e32 v54, v56, v54
	s_delay_alu instid0(VALU_DEP_4) | instskip(SKIP_2) | instid1(VALU_DEP_4)
	v_sub_nc_u32_e32 v10, v28, v15
	v_sub_nc_u32_e32 v15, v57, v3
	v_add_nc_u32_e32 v14, v14, v1
	v_sub_nc_u32_e32 v23, v54, v4
	v_sub_nc_u32_e32 v3, v53, v3
	v_add_nc_u32_e32 v10, 9, v10
	v_add_nc_u32_e32 v13, v15, v12
	s_delay_alu instid0(VALU_DEP_2) | instskip(SKIP_2) | instid1(VALU_DEP_4)
	v_dual_cndmask_b32 v10, v10, v16 :: v_dual_add_nc_u32 v23, v23, v1
	v_add_nc_u32_e32 v16, v17, v14
	v_cmp_eq_u32_e32 vcc_lo, 1, v11
	v_sub_nc_u32_e32 v11, v28, v13
	v_and_b32_e32 v13, 1, v50
	s_delay_alu instid0(VALU_DEP_4) | instskip(NEXT) | instid1(VALU_DEP_3)
	v_sub_nc_u32_e32 v16, v28, v16
	v_dual_cndmask_b32 v10, v10, v22 :: v_dual_add_nc_u32 v11, 10, v11
	v_cmp_eq_u32_e32 vcc_lo, 1, v24
	v_add_nc_u32_e32 v22, v3, v23
	s_delay_alu instid0(VALU_DEP_4) | instskip(NEXT) | instid1(VALU_DEP_4)
	v_add_nc_u32_e32 v16, 11, v16
	v_dual_cndmask_b32 v11, v11, v12 :: v_dual_lshlrev_b32 v10, 2, v10
	v_cmp_eq_u32_e32 vcc_lo, 1, v25
	s_delay_alu instid0(VALU_DEP_4) | instskip(SKIP_3) | instid1(VALU_DEP_4)
	v_sub_nc_u32_e32 v22, v28, v22
	v_and_b32_e32 v12, 1, v51
	v_cndmask_b32_e32 v14, v16, v14, vcc_lo
	v_cmp_eq_u32_e32 vcc_lo, 1, v13
	v_dual_cndmask_b32 v11, v11, v15 :: v_dual_add_nc_u32 v16, 12, v22
	s_delay_alu instid0(VALU_DEP_4) | instskip(NEXT) | instid1(VALU_DEP_2)
	v_cmp_eq_u32_e32 vcc_lo, 1, v12
	v_cndmask_b32_e64 v13, v16, v23, s43
	s_delay_alu instid0(VALU_DEP_3) | instskip(NEXT) | instid1(VALU_DEP_2)
	v_dual_cndmask_b32 v12, v14, v17 :: v_dual_lshlrev_b32 v11, 2, v11
	v_cndmask_b32_e64 v3, v13, v3, s42
	s_delay_alu instid0(VALU_DEP_2)
	v_lshlrev_b32_e32 v12, 2, v12
	ds_store_b32 v5, v8
	ds_store_b32 v10, v9
	ds_store_b32 v11, v6
	ds_store_b32 v12, v7
	v_lshlrev_b32_e32 v3, 2, v3
	v_add_co_u32 v5, s0, v2, v74
	s_delay_alu instid0(VALU_DEP_1) | instskip(SKIP_4) | instid1(VALU_DEP_2)
	v_add_co_ci_u32_e64 v6, null, 0, 0, s0
	ds_store_b32 v3, v27
	v_add_co_u32 v3, vcc_lo, v5, v20
	v_add_co_ci_u32_e32 v5, vcc_lo, v6, v21, vcc_lo
	s_add_u32 s0, s34, s33
	v_add_co_u32 v3, vcc_lo, v3, v18
	s_delay_alu instid0(VALU_DEP_2) | instskip(SKIP_1) | instid1(VALU_DEP_2)
	v_add_co_ci_u32_e32 v5, vcc_lo, v5, v19, vcc_lo
	s_addc_u32 s1, s35, 0
	v_sub_co_u32 v3, vcc_lo, s0, v3
	s_delay_alu instid0(VALU_DEP_2)
	v_sub_co_ci_u32_e32 v9, vcc_lo, s1, v5, vcc_lo
	v_lshlrev_b64 v[5:6], 2, v[20:21]
	v_lshlrev_b64 v[7:8], 2, v[18:19]
	v_add_nc_u32_e32 v10, v1, v2
	s_add_u32 s1, s26, -4
	s_waitcnt lgkmcnt(0)
	s_barrier
	v_add_co_u32 v5, vcc_lo, s38, v5
	v_add_co_ci_u32_e32 v6, vcc_lo, s39, v6, vcc_lo
	v_cmp_ne_u32_e32 vcc_lo, 1, v26
	v_add_co_u32 v7, s0, s36, v7
	s_delay_alu instid0(VALU_DEP_1)
	v_add_co_ci_u32_e64 v8, s0, s37, v8, s0
	s_addc_u32 s0, s27, -1
	buffer_gl0_inv
	s_cbranch_vccz .LBB1179_133
; %bb.130:
	s_and_b32 vcc_lo, exec_lo, s2
	s_cbranch_vccnz .LBB1179_238
.LBB1179_131:
	v_cmp_eq_u32_e32 vcc_lo, 0, v0
	s_and_b32 s0, vcc_lo, s14
	s_delay_alu instid0(SALU_CYCLE_1)
	s_and_saveexec_b32 s1, s0
	s_cbranch_execnz .LBB1179_356
.LBB1179_132:
	s_nop 0
	s_sendmsg sendmsg(MSG_DEALLOC_VGPRS)
	s_endpgm
.LBB1179_133:
	s_mov_b32 s2, exec_lo
	v_cmpx_le_u32_e64 v1, v0
	s_xor_b32 s2, exec_lo, s2
	s_cbranch_execz .LBB1179_139
; %bb.134:
	s_mov_b32 s4, exec_lo
	v_cmpx_le_u32_e64 v10, v0
	s_xor_b32 s4, exec_lo, s4
	s_cbranch_execz .LBB1179_136
; %bb.135:
	v_lshlrev_b32_e32 v11, 2, v0
	ds_load_b32 v13, v11
	v_add_co_u32 v11, vcc_lo, v3, v0
	v_add_co_ci_u32_e32 v12, vcc_lo, 0, v9, vcc_lo
	s_delay_alu instid0(VALU_DEP_1) | instskip(NEXT) | instid1(VALU_DEP_1)
	v_lshlrev_b64 v[11:12], 2, v[11:12]
	v_sub_co_u32 v11, vcc_lo, s26, v11
	s_delay_alu instid0(VALU_DEP_2)
	v_sub_co_ci_u32_e32 v12, vcc_lo, s27, v12, vcc_lo
	s_waitcnt lgkmcnt(0)
	global_store_b32 v[11:12], v13, off offset:-4
.LBB1179_136:
	s_and_not1_saveexec_b32 s4, s4
	s_cbranch_execz .LBB1179_138
; %bb.137:
	v_lshlrev_b32_e32 v11, 2, v0
	v_readfirstlane_b32 s6, v5
	v_readfirstlane_b32 s7, v6
	ds_load_b32 v12, v11
	s_waitcnt lgkmcnt(0)
	global_store_b32 v11, v12, s[6:7]
.LBB1179_138:
	s_or_b32 exec_lo, exec_lo, s4
.LBB1179_139:
	s_and_not1_saveexec_b32 s2, s2
	s_cbranch_execz .LBB1179_141
; %bb.140:
	v_lshlrev_b32_e32 v11, 2, v0
	v_readfirstlane_b32 s4, v7
	v_readfirstlane_b32 s5, v8
	ds_load_b32 v12, v11
	s_waitcnt lgkmcnt(0)
	global_store_b32 v11, v12, s[4:5]
.LBB1179_141:
	s_or_b32 exec_lo, exec_lo, s2
	v_or_b32_e32 v11, 0x100, v0
	s_mov_b32 s2, exec_lo
	s_delay_alu instid0(VALU_DEP_1)
	v_cmpx_le_u32_e64 v1, v11
	s_xor_b32 s2, exec_lo, s2
	s_cbranch_execz .LBB1179_147
; %bb.142:
	s_mov_b32 s4, exec_lo
	v_cmpx_le_u32_e64 v10, v11
	s_xor_b32 s4, exec_lo, s4
	s_cbranch_execz .LBB1179_144
; %bb.143:
	v_lshlrev_b32_e32 v11, 2, v0
	ds_load_b32 v13, v11 offset:1024
	v_add_co_u32 v11, vcc_lo, v3, v0
	v_add_co_ci_u32_e32 v12, vcc_lo, 0, v9, vcc_lo
	s_delay_alu instid0(VALU_DEP_1) | instskip(NEXT) | instid1(VALU_DEP_1)
	v_lshlrev_b64 v[11:12], 2, v[11:12]
	v_sub_co_u32 v11, vcc_lo, s1, v11
	s_delay_alu instid0(VALU_DEP_2)
	v_sub_co_ci_u32_e32 v12, vcc_lo, s0, v12, vcc_lo
	s_waitcnt lgkmcnt(0)
	global_store_b32 v[11:12], v13, off offset:-1024
.LBB1179_144:
	s_and_not1_saveexec_b32 s4, s4
	s_cbranch_execz .LBB1179_146
; %bb.145:
	v_lshlrev_b32_e32 v11, 2, v0
	v_readfirstlane_b32 s6, v5
	v_readfirstlane_b32 s7, v6
	ds_load_b32 v12, v11 offset:1024
	s_waitcnt lgkmcnt(0)
	global_store_b32 v11, v12, s[6:7] offset:1024
.LBB1179_146:
	s_or_b32 exec_lo, exec_lo, s4
.LBB1179_147:
	s_and_not1_saveexec_b32 s2, s2
	s_cbranch_execz .LBB1179_149
; %bb.148:
	v_lshlrev_b32_e32 v11, 2, v0
	v_readfirstlane_b32 s4, v7
	v_readfirstlane_b32 s5, v8
	ds_load_b32 v12, v11 offset:1024
	s_waitcnt lgkmcnt(0)
	global_store_b32 v11, v12, s[4:5] offset:1024
.LBB1179_149:
	s_or_b32 exec_lo, exec_lo, s2
	v_or_b32_e32 v11, 0x200, v0
	s_mov_b32 s2, exec_lo
	s_delay_alu instid0(VALU_DEP_1)
	v_cmpx_le_u32_e64 v1, v11
	s_xor_b32 s2, exec_lo, s2
	s_cbranch_execz .LBB1179_155
; %bb.150:
	s_mov_b32 s4, exec_lo
	v_cmpx_le_u32_e64 v10, v11
	s_xor_b32 s4, exec_lo, s4
	s_cbranch_execz .LBB1179_152
; %bb.151:
	v_lshlrev_b32_e32 v11, 2, v0
	ds_load_b32 v13, v11 offset:2048
	v_add_co_u32 v11, vcc_lo, v3, v0
	v_add_co_ci_u32_e32 v12, vcc_lo, 0, v9, vcc_lo
	s_delay_alu instid0(VALU_DEP_1) | instskip(NEXT) | instid1(VALU_DEP_1)
	v_lshlrev_b64 v[11:12], 2, v[11:12]
	v_sub_co_u32 v11, vcc_lo, s1, v11
	s_delay_alu instid0(VALU_DEP_2)
	v_sub_co_ci_u32_e32 v12, vcc_lo, s0, v12, vcc_lo
	s_waitcnt lgkmcnt(0)
	global_store_b32 v[11:12], v13, off offset:-2048
.LBB1179_152:
	s_and_not1_saveexec_b32 s4, s4
	s_cbranch_execz .LBB1179_154
; %bb.153:
	v_lshlrev_b32_e32 v11, 2, v0
	v_readfirstlane_b32 s6, v5
	v_readfirstlane_b32 s7, v6
	ds_load_b32 v12, v11 offset:2048
	s_waitcnt lgkmcnt(0)
	global_store_b32 v11, v12, s[6:7] offset:2048
.LBB1179_154:
	s_or_b32 exec_lo, exec_lo, s4
.LBB1179_155:
	s_and_not1_saveexec_b32 s2, s2
	s_cbranch_execz .LBB1179_157
; %bb.156:
	v_lshlrev_b32_e32 v11, 2, v0
	v_readfirstlane_b32 s4, v7
	v_readfirstlane_b32 s5, v8
	ds_load_b32 v12, v11 offset:2048
	s_waitcnt lgkmcnt(0)
	global_store_b32 v11, v12, s[4:5] offset:2048
.LBB1179_157:
	;; [unrolled: 47-line block ×3, first 2 shown]
	s_or_b32 exec_lo, exec_lo, s2
	v_or_b32_e32 v11, 0x400, v0
	s_mov_b32 s2, exec_lo
	s_delay_alu instid0(VALU_DEP_1)
	v_cmpx_le_u32_e64 v1, v11
	s_xor_b32 s2, exec_lo, s2
	s_cbranch_execz .LBB1179_171
; %bb.166:
	s_mov_b32 s4, exec_lo
	v_cmpx_le_u32_e64 v10, v11
	s_xor_b32 s4, exec_lo, s4
	s_cbranch_execz .LBB1179_168
; %bb.167:
	v_lshlrev_b32_e32 v11, 2, v0
	ds_load_b32 v13, v11 offset:4096
	v_add_co_u32 v11, vcc_lo, v3, v0
	v_add_co_ci_u32_e32 v12, vcc_lo, 0, v9, vcc_lo
	s_delay_alu instid0(VALU_DEP_1) | instskip(NEXT) | instid1(VALU_DEP_1)
	v_lshlrev_b64 v[11:12], 2, v[11:12]
	v_sub_co_u32 v11, vcc_lo, s1, v11
	s_delay_alu instid0(VALU_DEP_2)
	v_sub_co_ci_u32_e32 v12, vcc_lo, s0, v12, vcc_lo
	s_waitcnt lgkmcnt(0)
	global_store_b32 v[11:12], v13, off offset:-4096
                                        ; implicit-def: $vgpr11
.LBB1179_168:
	s_and_not1_saveexec_b32 s4, s4
	s_cbranch_execz .LBB1179_170
; %bb.169:
	v_lshlrev_b32_e32 v12, 2, v0
	v_lshlrev_b32_e32 v11, 2, v11
	v_readfirstlane_b32 s6, v5
	v_readfirstlane_b32 s7, v6
	ds_load_b32 v12, v12 offset:4096
	s_waitcnt lgkmcnt(0)
	global_store_b32 v11, v12, s[6:7]
.LBB1179_170:
	s_or_b32 exec_lo, exec_lo, s4
                                        ; implicit-def: $vgpr11
.LBB1179_171:
	s_and_not1_saveexec_b32 s2, s2
	s_cbranch_execz .LBB1179_173
; %bb.172:
	v_lshlrev_b32_e32 v12, 2, v0
	v_lshlrev_b32_e32 v11, 2, v11
	v_readfirstlane_b32 s4, v7
	v_readfirstlane_b32 s5, v8
	ds_load_b32 v12, v12 offset:4096
	s_waitcnt lgkmcnt(0)
	global_store_b32 v11, v12, s[4:5]
.LBB1179_173:
	s_or_b32 exec_lo, exec_lo, s2
	v_or_b32_e32 v11, 0x500, v0
	s_mov_b32 s2, exec_lo
	s_delay_alu instid0(VALU_DEP_1)
	v_cmpx_le_u32_e64 v1, v11
	s_xor_b32 s2, exec_lo, s2
	s_cbranch_execz .LBB1179_179
; %bb.174:
	s_mov_b32 s4, exec_lo
	v_cmpx_le_u32_e64 v10, v11
	s_xor_b32 s4, exec_lo, s4
	s_cbranch_execz .LBB1179_176
; %bb.175:
	v_lshlrev_b32_e32 v12, 2, v0
	v_add_co_u32 v11, vcc_lo, v3, v11
	ds_load_b32 v13, v12 offset:5120
	v_add_co_ci_u32_e32 v12, vcc_lo, 0, v9, vcc_lo
	s_delay_alu instid0(VALU_DEP_1) | instskip(NEXT) | instid1(VALU_DEP_1)
	v_lshlrev_b64 v[11:12], 2, v[11:12]
	v_sub_co_u32 v11, vcc_lo, s1, v11
	s_delay_alu instid0(VALU_DEP_2)
	v_sub_co_ci_u32_e32 v12, vcc_lo, s0, v12, vcc_lo
	s_waitcnt lgkmcnt(0)
	global_store_b32 v[11:12], v13, off
                                        ; implicit-def: $vgpr11
.LBB1179_176:
	s_and_not1_saveexec_b32 s4, s4
	s_cbranch_execz .LBB1179_178
; %bb.177:
	v_lshlrev_b32_e32 v12, 2, v0
	v_lshlrev_b32_e32 v11, 2, v11
	v_readfirstlane_b32 s6, v5
	v_readfirstlane_b32 s7, v6
	ds_load_b32 v12, v12 offset:5120
	s_waitcnt lgkmcnt(0)
	global_store_b32 v11, v12, s[6:7]
.LBB1179_178:
	s_or_b32 exec_lo, exec_lo, s4
                                        ; implicit-def: $vgpr11
.LBB1179_179:
	s_and_not1_saveexec_b32 s2, s2
	s_cbranch_execz .LBB1179_181
; %bb.180:
	v_lshlrev_b32_e32 v12, 2, v0
	v_lshlrev_b32_e32 v11, 2, v11
	v_readfirstlane_b32 s4, v7
	v_readfirstlane_b32 s5, v8
	ds_load_b32 v12, v12 offset:5120
	s_waitcnt lgkmcnt(0)
	global_store_b32 v11, v12, s[4:5]
.LBB1179_181:
	s_or_b32 exec_lo, exec_lo, s2
	v_or_b32_e32 v11, 0x600, v0
	s_mov_b32 s2, exec_lo
	s_delay_alu instid0(VALU_DEP_1)
	v_cmpx_le_u32_e64 v1, v11
	s_xor_b32 s2, exec_lo, s2
	s_cbranch_execz .LBB1179_187
; %bb.182:
	s_mov_b32 s4, exec_lo
	v_cmpx_le_u32_e64 v10, v11
	s_xor_b32 s4, exec_lo, s4
	s_cbranch_execz .LBB1179_184
; %bb.183:
	v_lshlrev_b32_e32 v12, 2, v0
	v_add_co_u32 v11, vcc_lo, v3, v11
	ds_load_b32 v13, v12 offset:6144
	v_add_co_ci_u32_e32 v12, vcc_lo, 0, v9, vcc_lo
	s_delay_alu instid0(VALU_DEP_1) | instskip(NEXT) | instid1(VALU_DEP_1)
	v_lshlrev_b64 v[11:12], 2, v[11:12]
	v_sub_co_u32 v11, vcc_lo, s1, v11
	s_delay_alu instid0(VALU_DEP_2)
	v_sub_co_ci_u32_e32 v12, vcc_lo, s0, v12, vcc_lo
	s_waitcnt lgkmcnt(0)
	global_store_b32 v[11:12], v13, off
                                        ; implicit-def: $vgpr11
.LBB1179_184:
	s_and_not1_saveexec_b32 s4, s4
	s_cbranch_execz .LBB1179_186
; %bb.185:
	v_lshlrev_b32_e32 v12, 2, v0
	v_lshlrev_b32_e32 v11, 2, v11
	v_readfirstlane_b32 s6, v5
	v_readfirstlane_b32 s7, v6
	ds_load_b32 v12, v12 offset:6144
	s_waitcnt lgkmcnt(0)
	global_store_b32 v11, v12, s[6:7]
.LBB1179_186:
	s_or_b32 exec_lo, exec_lo, s4
                                        ; implicit-def: $vgpr11
.LBB1179_187:
	;; [unrolled: 51-line block ×8, first 2 shown]
	s_and_not1_saveexec_b32 s2, s2
	s_cbranch_execz .LBB1179_237
; %bb.236:
	v_lshlrev_b32_e32 v12, 2, v0
	v_lshlrev_b32_e32 v11, 2, v11
	v_readfirstlane_b32 s4, v7
	v_readfirstlane_b32 s5, v8
	ds_load_b32 v12, v12 offset:12288
	s_waitcnt lgkmcnt(0)
	global_store_b32 v11, v12, s[4:5]
.LBB1179_237:
	s_or_b32 exec_lo, exec_lo, s2
	s_branch .LBB1179_131
.LBB1179_238:
	s_mov_b32 s2, exec_lo
	v_cmpx_gt_u32_e64 s3, v0
	s_cbranch_execz .LBB1179_247
; %bb.239:
	s_mov_b32 s4, exec_lo
	v_cmpx_le_u32_e64 v1, v0
	s_xor_b32 s4, exec_lo, s4
	s_cbranch_execz .LBB1179_245
; %bb.240:
	s_mov_b32 s5, exec_lo
	v_cmpx_le_u32_e64 v10, v0
	s_xor_b32 s5, exec_lo, s5
	s_cbranch_execz .LBB1179_242
; %bb.241:
	v_lshlrev_b32_e32 v11, 2, v0
	ds_load_b32 v13, v11
	v_add_co_u32 v11, vcc_lo, v3, v0
	v_add_co_ci_u32_e32 v12, vcc_lo, 0, v9, vcc_lo
	s_delay_alu instid0(VALU_DEP_1) | instskip(NEXT) | instid1(VALU_DEP_1)
	v_lshlrev_b64 v[11:12], 2, v[11:12]
	v_sub_co_u32 v11, vcc_lo, s26, v11
	s_delay_alu instid0(VALU_DEP_2)
	v_sub_co_ci_u32_e32 v12, vcc_lo, s27, v12, vcc_lo
	s_waitcnt lgkmcnt(0)
	global_store_b32 v[11:12], v13, off offset:-4
.LBB1179_242:
	s_and_not1_saveexec_b32 s5, s5
	s_cbranch_execz .LBB1179_244
; %bb.243:
	v_lshlrev_b32_e32 v11, 2, v0
	v_readfirstlane_b32 s6, v5
	v_readfirstlane_b32 s7, v6
	ds_load_b32 v12, v11
	s_waitcnt lgkmcnt(0)
	global_store_b32 v11, v12, s[6:7]
.LBB1179_244:
	s_or_b32 exec_lo, exec_lo, s5
.LBB1179_245:
	s_and_not1_saveexec_b32 s4, s4
	s_cbranch_execz .LBB1179_247
; %bb.246:
	v_lshlrev_b32_e32 v11, 2, v0
	v_readfirstlane_b32 s4, v7
	v_readfirstlane_b32 s5, v8
	ds_load_b32 v12, v11
	s_waitcnt lgkmcnt(0)
	global_store_b32 v11, v12, s[4:5]
.LBB1179_247:
	s_or_b32 exec_lo, exec_lo, s2
	v_or_b32_e32 v11, 0x100, v0
	s_mov_b32 s2, exec_lo
	s_delay_alu instid0(VALU_DEP_1)
	v_cmpx_gt_u32_e64 s3, v11
	s_cbranch_execz .LBB1179_256
; %bb.248:
	s_mov_b32 s4, exec_lo
	v_cmpx_le_u32_e64 v1, v11
	s_xor_b32 s4, exec_lo, s4
	s_cbranch_execz .LBB1179_254
; %bb.249:
	s_mov_b32 s5, exec_lo
	v_cmpx_le_u32_e64 v10, v11
	s_xor_b32 s5, exec_lo, s5
	s_cbranch_execz .LBB1179_251
; %bb.250:
	v_lshlrev_b32_e32 v11, 2, v0
	ds_load_b32 v13, v11 offset:1024
	v_add_co_u32 v11, vcc_lo, v3, v0
	v_add_co_ci_u32_e32 v12, vcc_lo, 0, v9, vcc_lo
	s_delay_alu instid0(VALU_DEP_1) | instskip(NEXT) | instid1(VALU_DEP_1)
	v_lshlrev_b64 v[11:12], 2, v[11:12]
	v_sub_co_u32 v11, vcc_lo, s1, v11
	s_delay_alu instid0(VALU_DEP_2)
	v_sub_co_ci_u32_e32 v12, vcc_lo, s0, v12, vcc_lo
	s_waitcnt lgkmcnt(0)
	global_store_b32 v[11:12], v13, off offset:-1024
.LBB1179_251:
	s_and_not1_saveexec_b32 s5, s5
	s_cbranch_execz .LBB1179_253
; %bb.252:
	v_lshlrev_b32_e32 v11, 2, v0
	v_readfirstlane_b32 s6, v5
	v_readfirstlane_b32 s7, v6
	ds_load_b32 v12, v11 offset:1024
	s_waitcnt lgkmcnt(0)
	global_store_b32 v11, v12, s[6:7] offset:1024
.LBB1179_253:
	s_or_b32 exec_lo, exec_lo, s5
.LBB1179_254:
	s_and_not1_saveexec_b32 s4, s4
	s_cbranch_execz .LBB1179_256
; %bb.255:
	v_lshlrev_b32_e32 v11, 2, v0
	v_readfirstlane_b32 s4, v7
	v_readfirstlane_b32 s5, v8
	ds_load_b32 v12, v11 offset:1024
	s_waitcnt lgkmcnt(0)
	global_store_b32 v11, v12, s[4:5] offset:1024
.LBB1179_256:
	s_or_b32 exec_lo, exec_lo, s2
	v_or_b32_e32 v11, 0x200, v0
	s_mov_b32 s2, exec_lo
	s_delay_alu instid0(VALU_DEP_1)
	v_cmpx_gt_u32_e64 s3, v11
	s_cbranch_execz .LBB1179_265
; %bb.257:
	s_mov_b32 s4, exec_lo
	v_cmpx_le_u32_e64 v1, v11
	s_xor_b32 s4, exec_lo, s4
	s_cbranch_execz .LBB1179_263
; %bb.258:
	s_mov_b32 s5, exec_lo
	v_cmpx_le_u32_e64 v10, v11
	s_xor_b32 s5, exec_lo, s5
	s_cbranch_execz .LBB1179_260
; %bb.259:
	v_lshlrev_b32_e32 v11, 2, v0
	ds_load_b32 v13, v11 offset:2048
	v_add_co_u32 v11, vcc_lo, v3, v0
	v_add_co_ci_u32_e32 v12, vcc_lo, 0, v9, vcc_lo
	s_delay_alu instid0(VALU_DEP_1) | instskip(NEXT) | instid1(VALU_DEP_1)
	v_lshlrev_b64 v[11:12], 2, v[11:12]
	v_sub_co_u32 v11, vcc_lo, s1, v11
	s_delay_alu instid0(VALU_DEP_2)
	v_sub_co_ci_u32_e32 v12, vcc_lo, s0, v12, vcc_lo
	s_waitcnt lgkmcnt(0)
	global_store_b32 v[11:12], v13, off offset:-2048
.LBB1179_260:
	s_and_not1_saveexec_b32 s5, s5
	s_cbranch_execz .LBB1179_262
; %bb.261:
	v_lshlrev_b32_e32 v11, 2, v0
	v_readfirstlane_b32 s6, v5
	v_readfirstlane_b32 s7, v6
	ds_load_b32 v12, v11 offset:2048
	s_waitcnt lgkmcnt(0)
	global_store_b32 v11, v12, s[6:7] offset:2048
.LBB1179_262:
	s_or_b32 exec_lo, exec_lo, s5
.LBB1179_263:
	s_and_not1_saveexec_b32 s4, s4
	s_cbranch_execz .LBB1179_265
; %bb.264:
	v_lshlrev_b32_e32 v11, 2, v0
	v_readfirstlane_b32 s4, v7
	v_readfirstlane_b32 s5, v8
	ds_load_b32 v12, v11 offset:2048
	s_waitcnt lgkmcnt(0)
	global_store_b32 v11, v12, s[4:5] offset:2048
.LBB1179_265:
	;; [unrolled: 51-line block ×3, first 2 shown]
	s_or_b32 exec_lo, exec_lo, s2
	v_or_b32_e32 v11, 0x400, v0
	s_mov_b32 s2, exec_lo
	s_delay_alu instid0(VALU_DEP_1)
	v_cmpx_gt_u32_e64 s3, v11
	s_cbranch_execz .LBB1179_283
; %bb.275:
	s_mov_b32 s4, exec_lo
	v_cmpx_le_u32_e64 v1, v11
	s_xor_b32 s4, exec_lo, s4
	s_cbranch_execz .LBB1179_281
; %bb.276:
	s_mov_b32 s5, exec_lo
	v_cmpx_le_u32_e64 v10, v11
	s_xor_b32 s5, exec_lo, s5
	s_cbranch_execz .LBB1179_278
; %bb.277:
	v_lshlrev_b32_e32 v11, 2, v0
	ds_load_b32 v13, v11 offset:4096
	v_add_co_u32 v11, vcc_lo, v3, v0
	v_add_co_ci_u32_e32 v12, vcc_lo, 0, v9, vcc_lo
	s_delay_alu instid0(VALU_DEP_1) | instskip(NEXT) | instid1(VALU_DEP_1)
	v_lshlrev_b64 v[11:12], 2, v[11:12]
	v_sub_co_u32 v11, vcc_lo, s1, v11
	s_delay_alu instid0(VALU_DEP_2)
	v_sub_co_ci_u32_e32 v12, vcc_lo, s0, v12, vcc_lo
	s_waitcnt lgkmcnt(0)
	global_store_b32 v[11:12], v13, off offset:-4096
                                        ; implicit-def: $vgpr11
.LBB1179_278:
	s_and_not1_saveexec_b32 s5, s5
	s_cbranch_execz .LBB1179_280
; %bb.279:
	v_lshlrev_b32_e32 v12, 2, v0
	v_lshlrev_b32_e32 v11, 2, v11
	v_readfirstlane_b32 s6, v5
	v_readfirstlane_b32 s7, v6
	ds_load_b32 v12, v12 offset:4096
	s_waitcnt lgkmcnt(0)
	global_store_b32 v11, v12, s[6:7]
.LBB1179_280:
	s_or_b32 exec_lo, exec_lo, s5
                                        ; implicit-def: $vgpr11
.LBB1179_281:
	s_and_not1_saveexec_b32 s4, s4
	s_cbranch_execz .LBB1179_283
; %bb.282:
	v_lshlrev_b32_e32 v12, 2, v0
	v_lshlrev_b32_e32 v11, 2, v11
	v_readfirstlane_b32 s4, v7
	v_readfirstlane_b32 s5, v8
	ds_load_b32 v12, v12 offset:4096
	s_waitcnt lgkmcnt(0)
	global_store_b32 v11, v12, s[4:5]
.LBB1179_283:
	s_or_b32 exec_lo, exec_lo, s2
	v_or_b32_e32 v11, 0x500, v0
	s_mov_b32 s2, exec_lo
	s_delay_alu instid0(VALU_DEP_1)
	v_cmpx_gt_u32_e64 s3, v11
	s_cbranch_execz .LBB1179_292
; %bb.284:
	s_mov_b32 s4, exec_lo
	v_cmpx_le_u32_e64 v1, v11
	s_xor_b32 s4, exec_lo, s4
	s_cbranch_execz .LBB1179_290
; %bb.285:
	s_mov_b32 s5, exec_lo
	v_cmpx_le_u32_e64 v10, v11
	s_xor_b32 s5, exec_lo, s5
	s_cbranch_execz .LBB1179_287
; %bb.286:
	v_lshlrev_b32_e32 v12, 2, v0
	v_add_co_u32 v11, vcc_lo, v3, v11
	ds_load_b32 v13, v12 offset:5120
	v_add_co_ci_u32_e32 v12, vcc_lo, 0, v9, vcc_lo
	s_delay_alu instid0(VALU_DEP_1) | instskip(NEXT) | instid1(VALU_DEP_1)
	v_lshlrev_b64 v[11:12], 2, v[11:12]
	v_sub_co_u32 v11, vcc_lo, s1, v11
	s_delay_alu instid0(VALU_DEP_2)
	v_sub_co_ci_u32_e32 v12, vcc_lo, s0, v12, vcc_lo
	s_waitcnt lgkmcnt(0)
	global_store_b32 v[11:12], v13, off
                                        ; implicit-def: $vgpr11
.LBB1179_287:
	s_and_not1_saveexec_b32 s5, s5
	s_cbranch_execz .LBB1179_289
; %bb.288:
	v_lshlrev_b32_e32 v12, 2, v0
	v_lshlrev_b32_e32 v11, 2, v11
	v_readfirstlane_b32 s6, v5
	v_readfirstlane_b32 s7, v6
	ds_load_b32 v12, v12 offset:5120
	s_waitcnt lgkmcnt(0)
	global_store_b32 v11, v12, s[6:7]
.LBB1179_289:
	s_or_b32 exec_lo, exec_lo, s5
                                        ; implicit-def: $vgpr11
.LBB1179_290:
	s_and_not1_saveexec_b32 s4, s4
	s_cbranch_execz .LBB1179_292
; %bb.291:
	v_lshlrev_b32_e32 v12, 2, v0
	v_lshlrev_b32_e32 v11, 2, v11
	v_readfirstlane_b32 s4, v7
	v_readfirstlane_b32 s5, v8
	ds_load_b32 v12, v12 offset:5120
	s_waitcnt lgkmcnt(0)
	global_store_b32 v11, v12, s[4:5]
.LBB1179_292:
	s_or_b32 exec_lo, exec_lo, s2
	v_or_b32_e32 v11, 0x600, v0
	s_mov_b32 s2, exec_lo
	s_delay_alu instid0(VALU_DEP_1)
	v_cmpx_gt_u32_e64 s3, v11
	s_cbranch_execz .LBB1179_301
; %bb.293:
	s_mov_b32 s4, exec_lo
	v_cmpx_le_u32_e64 v1, v11
	s_xor_b32 s4, exec_lo, s4
	s_cbranch_execz .LBB1179_299
; %bb.294:
	s_mov_b32 s5, exec_lo
	v_cmpx_le_u32_e64 v10, v11
	s_xor_b32 s5, exec_lo, s5
	s_cbranch_execz .LBB1179_296
; %bb.295:
	v_lshlrev_b32_e32 v12, 2, v0
	v_add_co_u32 v11, vcc_lo, v3, v11
	ds_load_b32 v13, v12 offset:6144
	v_add_co_ci_u32_e32 v12, vcc_lo, 0, v9, vcc_lo
	s_delay_alu instid0(VALU_DEP_1) | instskip(NEXT) | instid1(VALU_DEP_1)
	v_lshlrev_b64 v[11:12], 2, v[11:12]
	v_sub_co_u32 v11, vcc_lo, s1, v11
	s_delay_alu instid0(VALU_DEP_2)
	v_sub_co_ci_u32_e32 v12, vcc_lo, s0, v12, vcc_lo
	s_waitcnt lgkmcnt(0)
	global_store_b32 v[11:12], v13, off
                                        ; implicit-def: $vgpr11
.LBB1179_296:
	s_and_not1_saveexec_b32 s5, s5
	s_cbranch_execz .LBB1179_298
; %bb.297:
	v_lshlrev_b32_e32 v12, 2, v0
	v_lshlrev_b32_e32 v11, 2, v11
	v_readfirstlane_b32 s6, v5
	v_readfirstlane_b32 s7, v6
	ds_load_b32 v12, v12 offset:6144
	s_waitcnt lgkmcnt(0)
	global_store_b32 v11, v12, s[6:7]
.LBB1179_298:
	s_or_b32 exec_lo, exec_lo, s5
                                        ; implicit-def: $vgpr11
.LBB1179_299:
	s_and_not1_saveexec_b32 s4, s4
	s_cbranch_execz .LBB1179_301
; %bb.300:
	v_lshlrev_b32_e32 v12, 2, v0
	v_lshlrev_b32_e32 v11, 2, v11
	v_readfirstlane_b32 s4, v7
	v_readfirstlane_b32 s5, v8
	ds_load_b32 v12, v12 offset:6144
	s_waitcnt lgkmcnt(0)
	global_store_b32 v11, v12, s[4:5]
.LBB1179_301:
	;; [unrolled: 55-line block ×7, first 2 shown]
	s_or_b32 exec_lo, exec_lo, s2
	v_or_b32_e32 v11, 0xc00, v0
	s_mov_b32 s2, exec_lo
	s_delay_alu instid0(VALU_DEP_1)
	v_cmpx_gt_u32_e64 s3, v11
	s_cbranch_execz .LBB1179_355
; %bb.347:
	s_mov_b32 s3, exec_lo
	v_cmpx_le_u32_e64 v1, v11
	s_xor_b32 s3, exec_lo, s3
	s_cbranch_execz .LBB1179_353
; %bb.348:
	s_mov_b32 s4, exec_lo
	v_cmpx_le_u32_e64 v10, v11
	s_xor_b32 s4, exec_lo, s4
	s_cbranch_execz .LBB1179_350
; %bb.349:
	v_lshlrev_b32_e32 v5, 2, v0
	ds_load_b32 v7, v5 offset:12288
	v_add_co_u32 v5, vcc_lo, v3, v11
	v_add_co_ci_u32_e32 v6, vcc_lo, 0, v9, vcc_lo
                                        ; implicit-def: $vgpr11
	s_delay_alu instid0(VALU_DEP_1) | instskip(NEXT) | instid1(VALU_DEP_1)
	v_lshlrev_b64 v[5:6], 2, v[5:6]
	v_sub_co_u32 v5, vcc_lo, s1, v5
	s_delay_alu instid0(VALU_DEP_2)
	v_sub_co_ci_u32_e32 v6, vcc_lo, s0, v6, vcc_lo
	s_waitcnt lgkmcnt(0)
	global_store_b32 v[5:6], v7, off
                                        ; implicit-def: $vgpr5_vgpr6
.LBB1179_350:
	s_and_not1_saveexec_b32 s0, s4
	s_cbranch_execz .LBB1179_352
; %bb.351:
	v_lshlrev_b32_e32 v3, 2, v0
	v_lshlrev_b32_e32 v7, 2, v11
	v_readfirstlane_b32 s4, v5
	v_readfirstlane_b32 s5, v6
	ds_load_b32 v3, v3 offset:12288
	s_waitcnt lgkmcnt(0)
	global_store_b32 v7, v3, s[4:5]
.LBB1179_352:
	s_or_b32 exec_lo, exec_lo, s0
                                        ; implicit-def: $vgpr11
                                        ; implicit-def: $vgpr7_vgpr8
.LBB1179_353:
	s_and_not1_saveexec_b32 s0, s3
	s_cbranch_execz .LBB1179_355
; %bb.354:
	v_lshlrev_b32_e32 v3, 2, v0
	v_lshlrev_b32_e32 v5, 2, v11
	v_readfirstlane_b32 s0, v7
	v_readfirstlane_b32 s1, v8
	ds_load_b32 v3, v3 offset:12288
	s_waitcnt lgkmcnt(0)
	global_store_b32 v5, v3, s[0:1]
.LBB1179_355:
	s_or_b32 exec_lo, exec_lo, s2
	v_cmp_eq_u32_e32 vcc_lo, 0, v0
	s_and_b32 s0, vcc_lo, s14
	s_delay_alu instid0(SALU_CYCLE_1)
	s_and_saveexec_b32 s1, s0
	s_cbranch_execz .LBB1179_132
.LBB1179_356:
	v_add_co_u32 v2, s0, s30, v2
	s_delay_alu instid0(VALU_DEP_1) | instskip(SKIP_2) | instid1(VALU_DEP_4)
	v_add_co_ci_u32_e64 v3, null, s31, 0, s0
	v_add_co_u32 v0, vcc_lo, v18, v1
	v_add_co_ci_u32_e32 v1, vcc_lo, 0, v19, vcc_lo
	v_add_co_u32 v2, vcc_lo, v2, v4
	v_mov_b32_e32 v5, 0
	v_add_co_ci_u32_e32 v3, vcc_lo, 0, v3, vcc_lo
	global_store_b128 v5, v[0:3], s[24:25]
	s_nop 0
	s_sendmsg sendmsg(MSG_DEALLOC_VGPRS)
	s_endpgm
.LBB1179_357:
	v_add_nc_u32_e32 v3, s7, v23
	s_add_i32 s10, s15, 32
	s_mov_b32 s11, 0
	v_dual_mov_b32 v5, 0 :: v_dual_add_nc_u32 v2, v22, v1
	s_lshl_b64 s[10:11], s[10:11], 4
	v_and_b32_e32 v20, 0xff0000, v3
	s_add_u32 s10, s4, s10
	s_addc_u32 s11, s5, s11
	v_and_b32_e32 v4, 0xff000000, v3
	s_delay_alu instid0(VALU_DEP_1) | instskip(SKIP_2) | instid1(VALU_DEP_1)
	v_or_b32_e32 v20, v20, v4
	v_dual_mov_b32 v4, 2 :: v_dual_and_b32 v21, 0xff00, v3
	v_and_b32_e32 v3, 0xff, v3
	v_or3_b32 v3, v20, v21, v3
	v_dual_mov_b32 v21, s11 :: v_dual_mov_b32 v20, s10
	;;#ASMSTART
	global_store_dwordx4 v[20:21], v[2:5] off	
s_waitcnt vmcnt(0)
	;;#ASMEND
	s_or_b32 exec_lo, exec_lo, s8
	s_and_saveexec_b32 s8, s2
	s_cbranch_execz .LBB1179_116
.LBB1179_358:
	v_mov_b32_e32 v2, s7
	v_add_nc_u32_e64 v3, 0x3400, 0
	ds_store_2addr_b32 v3, v1, v2 offset1:2
	ds_store_2addr_b32 v3, v22, v23 offset0:4 offset1:6
	s_or_b32 exec_lo, exec_lo, s8
	v_cmp_eq_u32_e32 vcc_lo, 0, v0
	s_and_b32 exec_lo, exec_lo, vcc_lo
	s_cbranch_execnz .LBB1179_117
	s_branch .LBB1179_118
	.section	.rodata,"a",@progbits
	.p2align	6, 0x0
	.amdhsa_kernel _ZN7rocprim17ROCPRIM_400000_NS6detail17trampoline_kernelINS0_13select_configILj256ELj13ELNS0_17block_load_methodE3ELS4_3ELS4_3ELNS0_20block_scan_algorithmE0ELj4294967295EEENS1_25partition_config_selectorILNS1_17partition_subalgoE4EjNS0_10empty_typeEbEEZZNS1_14partition_implILS8_4ELb0ES6_15HIP_vector_typeIjLj2EENS0_17counting_iteratorIjlEEPS9_SG_NS0_5tupleIJPjSI_NS0_16reverse_iteratorISI_EEEEENSH_IJSG_SG_SG_EEES9_SI_JZNS1_25segmented_radix_sort_implINS0_14default_configELb0EPKdPdPKlPlN2at6native12_GLOBAL__N_18offset_tEEE10hipError_tPvRmT1_PNSt15iterator_traitsIS12_E10value_typeET2_T3_PNS13_IS18_E10value_typeET4_jRbjT5_S1E_jjP12ihipStream_tbEUljE_ZNSN_ISO_Lb0ESQ_SR_ST_SU_SY_EESZ_S10_S11_S12_S16_S17_S18_S1B_S1C_jS1D_jS1E_S1E_jjS1G_bEUljE0_EEESZ_S10_S11_S18_S1C_S1E_T6_T7_T9_mT8_S1G_bDpT10_ENKUlT_T0_E_clISt17integral_constantIbLb1EES1T_IbLb0EEEEDaS1P_S1Q_EUlS1P_E_NS1_11comp_targetILNS1_3genE9ELNS1_11target_archE1100ELNS1_3gpuE3ELNS1_3repE0EEENS1_30default_config_static_selectorELNS0_4arch9wavefront6targetE0EEEvS12_
		.amdhsa_group_segment_fixed_size 13340
		.amdhsa_private_segment_fixed_size 0
		.amdhsa_kernarg_size 176
		.amdhsa_user_sgpr_count 15
		.amdhsa_user_sgpr_dispatch_ptr 0
		.amdhsa_user_sgpr_queue_ptr 0
		.amdhsa_user_sgpr_kernarg_segment_ptr 1
		.amdhsa_user_sgpr_dispatch_id 0
		.amdhsa_user_sgpr_private_segment_size 0
		.amdhsa_wavefront_size32 1
		.amdhsa_uses_dynamic_stack 0
		.amdhsa_enable_private_segment 0
		.amdhsa_system_sgpr_workgroup_id_x 1
		.amdhsa_system_sgpr_workgroup_id_y 0
		.amdhsa_system_sgpr_workgroup_id_z 0
		.amdhsa_system_sgpr_workgroup_info 0
		.amdhsa_system_vgpr_workitem_id 0
		.amdhsa_next_free_vgpr 98
		.amdhsa_next_free_sgpr 59
		.amdhsa_reserve_vcc 1
		.amdhsa_float_round_mode_32 0
		.amdhsa_float_round_mode_16_64 0
		.amdhsa_float_denorm_mode_32 3
		.amdhsa_float_denorm_mode_16_64 3
		.amdhsa_dx10_clamp 1
		.amdhsa_ieee_mode 1
		.amdhsa_fp16_overflow 0
		.amdhsa_workgroup_processor_mode 1
		.amdhsa_memory_ordered 1
		.amdhsa_forward_progress 0
		.amdhsa_shared_vgpr_count 0
		.amdhsa_exception_fp_ieee_invalid_op 0
		.amdhsa_exception_fp_denorm_src 0
		.amdhsa_exception_fp_ieee_div_zero 0
		.amdhsa_exception_fp_ieee_overflow 0
		.amdhsa_exception_fp_ieee_underflow 0
		.amdhsa_exception_fp_ieee_inexact 0
		.amdhsa_exception_int_div_zero 0
	.end_amdhsa_kernel
	.section	.text._ZN7rocprim17ROCPRIM_400000_NS6detail17trampoline_kernelINS0_13select_configILj256ELj13ELNS0_17block_load_methodE3ELS4_3ELS4_3ELNS0_20block_scan_algorithmE0ELj4294967295EEENS1_25partition_config_selectorILNS1_17partition_subalgoE4EjNS0_10empty_typeEbEEZZNS1_14partition_implILS8_4ELb0ES6_15HIP_vector_typeIjLj2EENS0_17counting_iteratorIjlEEPS9_SG_NS0_5tupleIJPjSI_NS0_16reverse_iteratorISI_EEEEENSH_IJSG_SG_SG_EEES9_SI_JZNS1_25segmented_radix_sort_implINS0_14default_configELb0EPKdPdPKlPlN2at6native12_GLOBAL__N_18offset_tEEE10hipError_tPvRmT1_PNSt15iterator_traitsIS12_E10value_typeET2_T3_PNS13_IS18_E10value_typeET4_jRbjT5_S1E_jjP12ihipStream_tbEUljE_ZNSN_ISO_Lb0ESQ_SR_ST_SU_SY_EESZ_S10_S11_S12_S16_S17_S18_S1B_S1C_jS1D_jS1E_S1E_jjS1G_bEUljE0_EEESZ_S10_S11_S18_S1C_S1E_T6_T7_T9_mT8_S1G_bDpT10_ENKUlT_T0_E_clISt17integral_constantIbLb1EES1T_IbLb0EEEEDaS1P_S1Q_EUlS1P_E_NS1_11comp_targetILNS1_3genE9ELNS1_11target_archE1100ELNS1_3gpuE3ELNS1_3repE0EEENS1_30default_config_static_selectorELNS0_4arch9wavefront6targetE0EEEvS12_,"axG",@progbits,_ZN7rocprim17ROCPRIM_400000_NS6detail17trampoline_kernelINS0_13select_configILj256ELj13ELNS0_17block_load_methodE3ELS4_3ELS4_3ELNS0_20block_scan_algorithmE0ELj4294967295EEENS1_25partition_config_selectorILNS1_17partition_subalgoE4EjNS0_10empty_typeEbEEZZNS1_14partition_implILS8_4ELb0ES6_15HIP_vector_typeIjLj2EENS0_17counting_iteratorIjlEEPS9_SG_NS0_5tupleIJPjSI_NS0_16reverse_iteratorISI_EEEEENSH_IJSG_SG_SG_EEES9_SI_JZNS1_25segmented_radix_sort_implINS0_14default_configELb0EPKdPdPKlPlN2at6native12_GLOBAL__N_18offset_tEEE10hipError_tPvRmT1_PNSt15iterator_traitsIS12_E10value_typeET2_T3_PNS13_IS18_E10value_typeET4_jRbjT5_S1E_jjP12ihipStream_tbEUljE_ZNSN_ISO_Lb0ESQ_SR_ST_SU_SY_EESZ_S10_S11_S12_S16_S17_S18_S1B_S1C_jS1D_jS1E_S1E_jjS1G_bEUljE0_EEESZ_S10_S11_S18_S1C_S1E_T6_T7_T9_mT8_S1G_bDpT10_ENKUlT_T0_E_clISt17integral_constantIbLb1EES1T_IbLb0EEEEDaS1P_S1Q_EUlS1P_E_NS1_11comp_targetILNS1_3genE9ELNS1_11target_archE1100ELNS1_3gpuE3ELNS1_3repE0EEENS1_30default_config_static_selectorELNS0_4arch9wavefront6targetE0EEEvS12_,comdat
.Lfunc_end1179:
	.size	_ZN7rocprim17ROCPRIM_400000_NS6detail17trampoline_kernelINS0_13select_configILj256ELj13ELNS0_17block_load_methodE3ELS4_3ELS4_3ELNS0_20block_scan_algorithmE0ELj4294967295EEENS1_25partition_config_selectorILNS1_17partition_subalgoE4EjNS0_10empty_typeEbEEZZNS1_14partition_implILS8_4ELb0ES6_15HIP_vector_typeIjLj2EENS0_17counting_iteratorIjlEEPS9_SG_NS0_5tupleIJPjSI_NS0_16reverse_iteratorISI_EEEEENSH_IJSG_SG_SG_EEES9_SI_JZNS1_25segmented_radix_sort_implINS0_14default_configELb0EPKdPdPKlPlN2at6native12_GLOBAL__N_18offset_tEEE10hipError_tPvRmT1_PNSt15iterator_traitsIS12_E10value_typeET2_T3_PNS13_IS18_E10value_typeET4_jRbjT5_S1E_jjP12ihipStream_tbEUljE_ZNSN_ISO_Lb0ESQ_SR_ST_SU_SY_EESZ_S10_S11_S12_S16_S17_S18_S1B_S1C_jS1D_jS1E_S1E_jjS1G_bEUljE0_EEESZ_S10_S11_S18_S1C_S1E_T6_T7_T9_mT8_S1G_bDpT10_ENKUlT_T0_E_clISt17integral_constantIbLb1EES1T_IbLb0EEEEDaS1P_S1Q_EUlS1P_E_NS1_11comp_targetILNS1_3genE9ELNS1_11target_archE1100ELNS1_3gpuE3ELNS1_3repE0EEENS1_30default_config_static_selectorELNS0_4arch9wavefront6targetE0EEEvS12_, .Lfunc_end1179-_ZN7rocprim17ROCPRIM_400000_NS6detail17trampoline_kernelINS0_13select_configILj256ELj13ELNS0_17block_load_methodE3ELS4_3ELS4_3ELNS0_20block_scan_algorithmE0ELj4294967295EEENS1_25partition_config_selectorILNS1_17partition_subalgoE4EjNS0_10empty_typeEbEEZZNS1_14partition_implILS8_4ELb0ES6_15HIP_vector_typeIjLj2EENS0_17counting_iteratorIjlEEPS9_SG_NS0_5tupleIJPjSI_NS0_16reverse_iteratorISI_EEEEENSH_IJSG_SG_SG_EEES9_SI_JZNS1_25segmented_radix_sort_implINS0_14default_configELb0EPKdPdPKlPlN2at6native12_GLOBAL__N_18offset_tEEE10hipError_tPvRmT1_PNSt15iterator_traitsIS12_E10value_typeET2_T3_PNS13_IS18_E10value_typeET4_jRbjT5_S1E_jjP12ihipStream_tbEUljE_ZNSN_ISO_Lb0ESQ_SR_ST_SU_SY_EESZ_S10_S11_S12_S16_S17_S18_S1B_S1C_jS1D_jS1E_S1E_jjS1G_bEUljE0_EEESZ_S10_S11_S18_S1C_S1E_T6_T7_T9_mT8_S1G_bDpT10_ENKUlT_T0_E_clISt17integral_constantIbLb1EES1T_IbLb0EEEEDaS1P_S1Q_EUlS1P_E_NS1_11comp_targetILNS1_3genE9ELNS1_11target_archE1100ELNS1_3gpuE3ELNS1_3repE0EEENS1_30default_config_static_selectorELNS0_4arch9wavefront6targetE0EEEvS12_
                                        ; -- End function
	.section	.AMDGPU.csdata,"",@progbits
; Kernel info:
; codeLenInByte = 15084
; NumSgprs: 61
; NumVgprs: 98
; ScratchSize: 0
; MemoryBound: 0
; FloatMode: 240
; IeeeMode: 1
; LDSByteSize: 13340 bytes/workgroup (compile time only)
; SGPRBlocks: 7
; VGPRBlocks: 12
; NumSGPRsForWavesPerEU: 61
; NumVGPRsForWavesPerEU: 98
; Occupancy: 12
; WaveLimiterHint : 1
; COMPUTE_PGM_RSRC2:SCRATCH_EN: 0
; COMPUTE_PGM_RSRC2:USER_SGPR: 15
; COMPUTE_PGM_RSRC2:TRAP_HANDLER: 0
; COMPUTE_PGM_RSRC2:TGID_X_EN: 1
; COMPUTE_PGM_RSRC2:TGID_Y_EN: 0
; COMPUTE_PGM_RSRC2:TGID_Z_EN: 0
; COMPUTE_PGM_RSRC2:TIDIG_COMP_CNT: 0
	.section	.text._ZN7rocprim17ROCPRIM_400000_NS6detail17trampoline_kernelINS0_13select_configILj256ELj13ELNS0_17block_load_methodE3ELS4_3ELS4_3ELNS0_20block_scan_algorithmE0ELj4294967295EEENS1_25partition_config_selectorILNS1_17partition_subalgoE4EjNS0_10empty_typeEbEEZZNS1_14partition_implILS8_4ELb0ES6_15HIP_vector_typeIjLj2EENS0_17counting_iteratorIjlEEPS9_SG_NS0_5tupleIJPjSI_NS0_16reverse_iteratorISI_EEEEENSH_IJSG_SG_SG_EEES9_SI_JZNS1_25segmented_radix_sort_implINS0_14default_configELb0EPKdPdPKlPlN2at6native12_GLOBAL__N_18offset_tEEE10hipError_tPvRmT1_PNSt15iterator_traitsIS12_E10value_typeET2_T3_PNS13_IS18_E10value_typeET4_jRbjT5_S1E_jjP12ihipStream_tbEUljE_ZNSN_ISO_Lb0ESQ_SR_ST_SU_SY_EESZ_S10_S11_S12_S16_S17_S18_S1B_S1C_jS1D_jS1E_S1E_jjS1G_bEUljE0_EEESZ_S10_S11_S18_S1C_S1E_T6_T7_T9_mT8_S1G_bDpT10_ENKUlT_T0_E_clISt17integral_constantIbLb1EES1T_IbLb0EEEEDaS1P_S1Q_EUlS1P_E_NS1_11comp_targetILNS1_3genE8ELNS1_11target_archE1030ELNS1_3gpuE2ELNS1_3repE0EEENS1_30default_config_static_selectorELNS0_4arch9wavefront6targetE0EEEvS12_,"axG",@progbits,_ZN7rocprim17ROCPRIM_400000_NS6detail17trampoline_kernelINS0_13select_configILj256ELj13ELNS0_17block_load_methodE3ELS4_3ELS4_3ELNS0_20block_scan_algorithmE0ELj4294967295EEENS1_25partition_config_selectorILNS1_17partition_subalgoE4EjNS0_10empty_typeEbEEZZNS1_14partition_implILS8_4ELb0ES6_15HIP_vector_typeIjLj2EENS0_17counting_iteratorIjlEEPS9_SG_NS0_5tupleIJPjSI_NS0_16reverse_iteratorISI_EEEEENSH_IJSG_SG_SG_EEES9_SI_JZNS1_25segmented_radix_sort_implINS0_14default_configELb0EPKdPdPKlPlN2at6native12_GLOBAL__N_18offset_tEEE10hipError_tPvRmT1_PNSt15iterator_traitsIS12_E10value_typeET2_T3_PNS13_IS18_E10value_typeET4_jRbjT5_S1E_jjP12ihipStream_tbEUljE_ZNSN_ISO_Lb0ESQ_SR_ST_SU_SY_EESZ_S10_S11_S12_S16_S17_S18_S1B_S1C_jS1D_jS1E_S1E_jjS1G_bEUljE0_EEESZ_S10_S11_S18_S1C_S1E_T6_T7_T9_mT8_S1G_bDpT10_ENKUlT_T0_E_clISt17integral_constantIbLb1EES1T_IbLb0EEEEDaS1P_S1Q_EUlS1P_E_NS1_11comp_targetILNS1_3genE8ELNS1_11target_archE1030ELNS1_3gpuE2ELNS1_3repE0EEENS1_30default_config_static_selectorELNS0_4arch9wavefront6targetE0EEEvS12_,comdat
	.globl	_ZN7rocprim17ROCPRIM_400000_NS6detail17trampoline_kernelINS0_13select_configILj256ELj13ELNS0_17block_load_methodE3ELS4_3ELS4_3ELNS0_20block_scan_algorithmE0ELj4294967295EEENS1_25partition_config_selectorILNS1_17partition_subalgoE4EjNS0_10empty_typeEbEEZZNS1_14partition_implILS8_4ELb0ES6_15HIP_vector_typeIjLj2EENS0_17counting_iteratorIjlEEPS9_SG_NS0_5tupleIJPjSI_NS0_16reverse_iteratorISI_EEEEENSH_IJSG_SG_SG_EEES9_SI_JZNS1_25segmented_radix_sort_implINS0_14default_configELb0EPKdPdPKlPlN2at6native12_GLOBAL__N_18offset_tEEE10hipError_tPvRmT1_PNSt15iterator_traitsIS12_E10value_typeET2_T3_PNS13_IS18_E10value_typeET4_jRbjT5_S1E_jjP12ihipStream_tbEUljE_ZNSN_ISO_Lb0ESQ_SR_ST_SU_SY_EESZ_S10_S11_S12_S16_S17_S18_S1B_S1C_jS1D_jS1E_S1E_jjS1G_bEUljE0_EEESZ_S10_S11_S18_S1C_S1E_T6_T7_T9_mT8_S1G_bDpT10_ENKUlT_T0_E_clISt17integral_constantIbLb1EES1T_IbLb0EEEEDaS1P_S1Q_EUlS1P_E_NS1_11comp_targetILNS1_3genE8ELNS1_11target_archE1030ELNS1_3gpuE2ELNS1_3repE0EEENS1_30default_config_static_selectorELNS0_4arch9wavefront6targetE0EEEvS12_ ; -- Begin function _ZN7rocprim17ROCPRIM_400000_NS6detail17trampoline_kernelINS0_13select_configILj256ELj13ELNS0_17block_load_methodE3ELS4_3ELS4_3ELNS0_20block_scan_algorithmE0ELj4294967295EEENS1_25partition_config_selectorILNS1_17partition_subalgoE4EjNS0_10empty_typeEbEEZZNS1_14partition_implILS8_4ELb0ES6_15HIP_vector_typeIjLj2EENS0_17counting_iteratorIjlEEPS9_SG_NS0_5tupleIJPjSI_NS0_16reverse_iteratorISI_EEEEENSH_IJSG_SG_SG_EEES9_SI_JZNS1_25segmented_radix_sort_implINS0_14default_configELb0EPKdPdPKlPlN2at6native12_GLOBAL__N_18offset_tEEE10hipError_tPvRmT1_PNSt15iterator_traitsIS12_E10value_typeET2_T3_PNS13_IS18_E10value_typeET4_jRbjT5_S1E_jjP12ihipStream_tbEUljE_ZNSN_ISO_Lb0ESQ_SR_ST_SU_SY_EESZ_S10_S11_S12_S16_S17_S18_S1B_S1C_jS1D_jS1E_S1E_jjS1G_bEUljE0_EEESZ_S10_S11_S18_S1C_S1E_T6_T7_T9_mT8_S1G_bDpT10_ENKUlT_T0_E_clISt17integral_constantIbLb1EES1T_IbLb0EEEEDaS1P_S1Q_EUlS1P_E_NS1_11comp_targetILNS1_3genE8ELNS1_11target_archE1030ELNS1_3gpuE2ELNS1_3repE0EEENS1_30default_config_static_selectorELNS0_4arch9wavefront6targetE0EEEvS12_
	.p2align	8
	.type	_ZN7rocprim17ROCPRIM_400000_NS6detail17trampoline_kernelINS0_13select_configILj256ELj13ELNS0_17block_load_methodE3ELS4_3ELS4_3ELNS0_20block_scan_algorithmE0ELj4294967295EEENS1_25partition_config_selectorILNS1_17partition_subalgoE4EjNS0_10empty_typeEbEEZZNS1_14partition_implILS8_4ELb0ES6_15HIP_vector_typeIjLj2EENS0_17counting_iteratorIjlEEPS9_SG_NS0_5tupleIJPjSI_NS0_16reverse_iteratorISI_EEEEENSH_IJSG_SG_SG_EEES9_SI_JZNS1_25segmented_radix_sort_implINS0_14default_configELb0EPKdPdPKlPlN2at6native12_GLOBAL__N_18offset_tEEE10hipError_tPvRmT1_PNSt15iterator_traitsIS12_E10value_typeET2_T3_PNS13_IS18_E10value_typeET4_jRbjT5_S1E_jjP12ihipStream_tbEUljE_ZNSN_ISO_Lb0ESQ_SR_ST_SU_SY_EESZ_S10_S11_S12_S16_S17_S18_S1B_S1C_jS1D_jS1E_S1E_jjS1G_bEUljE0_EEESZ_S10_S11_S18_S1C_S1E_T6_T7_T9_mT8_S1G_bDpT10_ENKUlT_T0_E_clISt17integral_constantIbLb1EES1T_IbLb0EEEEDaS1P_S1Q_EUlS1P_E_NS1_11comp_targetILNS1_3genE8ELNS1_11target_archE1030ELNS1_3gpuE2ELNS1_3repE0EEENS1_30default_config_static_selectorELNS0_4arch9wavefront6targetE0EEEvS12_,@function
_ZN7rocprim17ROCPRIM_400000_NS6detail17trampoline_kernelINS0_13select_configILj256ELj13ELNS0_17block_load_methodE3ELS4_3ELS4_3ELNS0_20block_scan_algorithmE0ELj4294967295EEENS1_25partition_config_selectorILNS1_17partition_subalgoE4EjNS0_10empty_typeEbEEZZNS1_14partition_implILS8_4ELb0ES6_15HIP_vector_typeIjLj2EENS0_17counting_iteratorIjlEEPS9_SG_NS0_5tupleIJPjSI_NS0_16reverse_iteratorISI_EEEEENSH_IJSG_SG_SG_EEES9_SI_JZNS1_25segmented_radix_sort_implINS0_14default_configELb0EPKdPdPKlPlN2at6native12_GLOBAL__N_18offset_tEEE10hipError_tPvRmT1_PNSt15iterator_traitsIS12_E10value_typeET2_T3_PNS13_IS18_E10value_typeET4_jRbjT5_S1E_jjP12ihipStream_tbEUljE_ZNSN_ISO_Lb0ESQ_SR_ST_SU_SY_EESZ_S10_S11_S12_S16_S17_S18_S1B_S1C_jS1D_jS1E_S1E_jjS1G_bEUljE0_EEESZ_S10_S11_S18_S1C_S1E_T6_T7_T9_mT8_S1G_bDpT10_ENKUlT_T0_E_clISt17integral_constantIbLb1EES1T_IbLb0EEEEDaS1P_S1Q_EUlS1P_E_NS1_11comp_targetILNS1_3genE8ELNS1_11target_archE1030ELNS1_3gpuE2ELNS1_3repE0EEENS1_30default_config_static_selectorELNS0_4arch9wavefront6targetE0EEEvS12_: ; @_ZN7rocprim17ROCPRIM_400000_NS6detail17trampoline_kernelINS0_13select_configILj256ELj13ELNS0_17block_load_methodE3ELS4_3ELS4_3ELNS0_20block_scan_algorithmE0ELj4294967295EEENS1_25partition_config_selectorILNS1_17partition_subalgoE4EjNS0_10empty_typeEbEEZZNS1_14partition_implILS8_4ELb0ES6_15HIP_vector_typeIjLj2EENS0_17counting_iteratorIjlEEPS9_SG_NS0_5tupleIJPjSI_NS0_16reverse_iteratorISI_EEEEENSH_IJSG_SG_SG_EEES9_SI_JZNS1_25segmented_radix_sort_implINS0_14default_configELb0EPKdPdPKlPlN2at6native12_GLOBAL__N_18offset_tEEE10hipError_tPvRmT1_PNSt15iterator_traitsIS12_E10value_typeET2_T3_PNS13_IS18_E10value_typeET4_jRbjT5_S1E_jjP12ihipStream_tbEUljE_ZNSN_ISO_Lb0ESQ_SR_ST_SU_SY_EESZ_S10_S11_S12_S16_S17_S18_S1B_S1C_jS1D_jS1E_S1E_jjS1G_bEUljE0_EEESZ_S10_S11_S18_S1C_S1E_T6_T7_T9_mT8_S1G_bDpT10_ENKUlT_T0_E_clISt17integral_constantIbLb1EES1T_IbLb0EEEEDaS1P_S1Q_EUlS1P_E_NS1_11comp_targetILNS1_3genE8ELNS1_11target_archE1030ELNS1_3gpuE2ELNS1_3repE0EEENS1_30default_config_static_selectorELNS0_4arch9wavefront6targetE0EEEvS12_
; %bb.0:
	.section	.rodata,"a",@progbits
	.p2align	6, 0x0
	.amdhsa_kernel _ZN7rocprim17ROCPRIM_400000_NS6detail17trampoline_kernelINS0_13select_configILj256ELj13ELNS0_17block_load_methodE3ELS4_3ELS4_3ELNS0_20block_scan_algorithmE0ELj4294967295EEENS1_25partition_config_selectorILNS1_17partition_subalgoE4EjNS0_10empty_typeEbEEZZNS1_14partition_implILS8_4ELb0ES6_15HIP_vector_typeIjLj2EENS0_17counting_iteratorIjlEEPS9_SG_NS0_5tupleIJPjSI_NS0_16reverse_iteratorISI_EEEEENSH_IJSG_SG_SG_EEES9_SI_JZNS1_25segmented_radix_sort_implINS0_14default_configELb0EPKdPdPKlPlN2at6native12_GLOBAL__N_18offset_tEEE10hipError_tPvRmT1_PNSt15iterator_traitsIS12_E10value_typeET2_T3_PNS13_IS18_E10value_typeET4_jRbjT5_S1E_jjP12ihipStream_tbEUljE_ZNSN_ISO_Lb0ESQ_SR_ST_SU_SY_EESZ_S10_S11_S12_S16_S17_S18_S1B_S1C_jS1D_jS1E_S1E_jjS1G_bEUljE0_EEESZ_S10_S11_S18_S1C_S1E_T6_T7_T9_mT8_S1G_bDpT10_ENKUlT_T0_E_clISt17integral_constantIbLb1EES1T_IbLb0EEEEDaS1P_S1Q_EUlS1P_E_NS1_11comp_targetILNS1_3genE8ELNS1_11target_archE1030ELNS1_3gpuE2ELNS1_3repE0EEENS1_30default_config_static_selectorELNS0_4arch9wavefront6targetE0EEEvS12_
		.amdhsa_group_segment_fixed_size 0
		.amdhsa_private_segment_fixed_size 0
		.amdhsa_kernarg_size 176
		.amdhsa_user_sgpr_count 15
		.amdhsa_user_sgpr_dispatch_ptr 0
		.amdhsa_user_sgpr_queue_ptr 0
		.amdhsa_user_sgpr_kernarg_segment_ptr 1
		.amdhsa_user_sgpr_dispatch_id 0
		.amdhsa_user_sgpr_private_segment_size 0
		.amdhsa_wavefront_size32 1
		.amdhsa_uses_dynamic_stack 0
		.amdhsa_enable_private_segment 0
		.amdhsa_system_sgpr_workgroup_id_x 1
		.amdhsa_system_sgpr_workgroup_id_y 0
		.amdhsa_system_sgpr_workgroup_id_z 0
		.amdhsa_system_sgpr_workgroup_info 0
		.amdhsa_system_vgpr_workitem_id 0
		.amdhsa_next_free_vgpr 1
		.amdhsa_next_free_sgpr 1
		.amdhsa_reserve_vcc 0
		.amdhsa_float_round_mode_32 0
		.amdhsa_float_round_mode_16_64 0
		.amdhsa_float_denorm_mode_32 3
		.amdhsa_float_denorm_mode_16_64 3
		.amdhsa_dx10_clamp 1
		.amdhsa_ieee_mode 1
		.amdhsa_fp16_overflow 0
		.amdhsa_workgroup_processor_mode 1
		.amdhsa_memory_ordered 1
		.amdhsa_forward_progress 0
		.amdhsa_shared_vgpr_count 0
		.amdhsa_exception_fp_ieee_invalid_op 0
		.amdhsa_exception_fp_denorm_src 0
		.amdhsa_exception_fp_ieee_div_zero 0
		.amdhsa_exception_fp_ieee_overflow 0
		.amdhsa_exception_fp_ieee_underflow 0
		.amdhsa_exception_fp_ieee_inexact 0
		.amdhsa_exception_int_div_zero 0
	.end_amdhsa_kernel
	.section	.text._ZN7rocprim17ROCPRIM_400000_NS6detail17trampoline_kernelINS0_13select_configILj256ELj13ELNS0_17block_load_methodE3ELS4_3ELS4_3ELNS0_20block_scan_algorithmE0ELj4294967295EEENS1_25partition_config_selectorILNS1_17partition_subalgoE4EjNS0_10empty_typeEbEEZZNS1_14partition_implILS8_4ELb0ES6_15HIP_vector_typeIjLj2EENS0_17counting_iteratorIjlEEPS9_SG_NS0_5tupleIJPjSI_NS0_16reverse_iteratorISI_EEEEENSH_IJSG_SG_SG_EEES9_SI_JZNS1_25segmented_radix_sort_implINS0_14default_configELb0EPKdPdPKlPlN2at6native12_GLOBAL__N_18offset_tEEE10hipError_tPvRmT1_PNSt15iterator_traitsIS12_E10value_typeET2_T3_PNS13_IS18_E10value_typeET4_jRbjT5_S1E_jjP12ihipStream_tbEUljE_ZNSN_ISO_Lb0ESQ_SR_ST_SU_SY_EESZ_S10_S11_S12_S16_S17_S18_S1B_S1C_jS1D_jS1E_S1E_jjS1G_bEUljE0_EEESZ_S10_S11_S18_S1C_S1E_T6_T7_T9_mT8_S1G_bDpT10_ENKUlT_T0_E_clISt17integral_constantIbLb1EES1T_IbLb0EEEEDaS1P_S1Q_EUlS1P_E_NS1_11comp_targetILNS1_3genE8ELNS1_11target_archE1030ELNS1_3gpuE2ELNS1_3repE0EEENS1_30default_config_static_selectorELNS0_4arch9wavefront6targetE0EEEvS12_,"axG",@progbits,_ZN7rocprim17ROCPRIM_400000_NS6detail17trampoline_kernelINS0_13select_configILj256ELj13ELNS0_17block_load_methodE3ELS4_3ELS4_3ELNS0_20block_scan_algorithmE0ELj4294967295EEENS1_25partition_config_selectorILNS1_17partition_subalgoE4EjNS0_10empty_typeEbEEZZNS1_14partition_implILS8_4ELb0ES6_15HIP_vector_typeIjLj2EENS0_17counting_iteratorIjlEEPS9_SG_NS0_5tupleIJPjSI_NS0_16reverse_iteratorISI_EEEEENSH_IJSG_SG_SG_EEES9_SI_JZNS1_25segmented_radix_sort_implINS0_14default_configELb0EPKdPdPKlPlN2at6native12_GLOBAL__N_18offset_tEEE10hipError_tPvRmT1_PNSt15iterator_traitsIS12_E10value_typeET2_T3_PNS13_IS18_E10value_typeET4_jRbjT5_S1E_jjP12ihipStream_tbEUljE_ZNSN_ISO_Lb0ESQ_SR_ST_SU_SY_EESZ_S10_S11_S12_S16_S17_S18_S1B_S1C_jS1D_jS1E_S1E_jjS1G_bEUljE0_EEESZ_S10_S11_S18_S1C_S1E_T6_T7_T9_mT8_S1G_bDpT10_ENKUlT_T0_E_clISt17integral_constantIbLb1EES1T_IbLb0EEEEDaS1P_S1Q_EUlS1P_E_NS1_11comp_targetILNS1_3genE8ELNS1_11target_archE1030ELNS1_3gpuE2ELNS1_3repE0EEENS1_30default_config_static_selectorELNS0_4arch9wavefront6targetE0EEEvS12_,comdat
.Lfunc_end1180:
	.size	_ZN7rocprim17ROCPRIM_400000_NS6detail17trampoline_kernelINS0_13select_configILj256ELj13ELNS0_17block_load_methodE3ELS4_3ELS4_3ELNS0_20block_scan_algorithmE0ELj4294967295EEENS1_25partition_config_selectorILNS1_17partition_subalgoE4EjNS0_10empty_typeEbEEZZNS1_14partition_implILS8_4ELb0ES6_15HIP_vector_typeIjLj2EENS0_17counting_iteratorIjlEEPS9_SG_NS0_5tupleIJPjSI_NS0_16reverse_iteratorISI_EEEEENSH_IJSG_SG_SG_EEES9_SI_JZNS1_25segmented_radix_sort_implINS0_14default_configELb0EPKdPdPKlPlN2at6native12_GLOBAL__N_18offset_tEEE10hipError_tPvRmT1_PNSt15iterator_traitsIS12_E10value_typeET2_T3_PNS13_IS18_E10value_typeET4_jRbjT5_S1E_jjP12ihipStream_tbEUljE_ZNSN_ISO_Lb0ESQ_SR_ST_SU_SY_EESZ_S10_S11_S12_S16_S17_S18_S1B_S1C_jS1D_jS1E_S1E_jjS1G_bEUljE0_EEESZ_S10_S11_S18_S1C_S1E_T6_T7_T9_mT8_S1G_bDpT10_ENKUlT_T0_E_clISt17integral_constantIbLb1EES1T_IbLb0EEEEDaS1P_S1Q_EUlS1P_E_NS1_11comp_targetILNS1_3genE8ELNS1_11target_archE1030ELNS1_3gpuE2ELNS1_3repE0EEENS1_30default_config_static_selectorELNS0_4arch9wavefront6targetE0EEEvS12_, .Lfunc_end1180-_ZN7rocprim17ROCPRIM_400000_NS6detail17trampoline_kernelINS0_13select_configILj256ELj13ELNS0_17block_load_methodE3ELS4_3ELS4_3ELNS0_20block_scan_algorithmE0ELj4294967295EEENS1_25partition_config_selectorILNS1_17partition_subalgoE4EjNS0_10empty_typeEbEEZZNS1_14partition_implILS8_4ELb0ES6_15HIP_vector_typeIjLj2EENS0_17counting_iteratorIjlEEPS9_SG_NS0_5tupleIJPjSI_NS0_16reverse_iteratorISI_EEEEENSH_IJSG_SG_SG_EEES9_SI_JZNS1_25segmented_radix_sort_implINS0_14default_configELb0EPKdPdPKlPlN2at6native12_GLOBAL__N_18offset_tEEE10hipError_tPvRmT1_PNSt15iterator_traitsIS12_E10value_typeET2_T3_PNS13_IS18_E10value_typeET4_jRbjT5_S1E_jjP12ihipStream_tbEUljE_ZNSN_ISO_Lb0ESQ_SR_ST_SU_SY_EESZ_S10_S11_S12_S16_S17_S18_S1B_S1C_jS1D_jS1E_S1E_jjS1G_bEUljE0_EEESZ_S10_S11_S18_S1C_S1E_T6_T7_T9_mT8_S1G_bDpT10_ENKUlT_T0_E_clISt17integral_constantIbLb1EES1T_IbLb0EEEEDaS1P_S1Q_EUlS1P_E_NS1_11comp_targetILNS1_3genE8ELNS1_11target_archE1030ELNS1_3gpuE2ELNS1_3repE0EEENS1_30default_config_static_selectorELNS0_4arch9wavefront6targetE0EEEvS12_
                                        ; -- End function
	.section	.AMDGPU.csdata,"",@progbits
; Kernel info:
; codeLenInByte = 0
; NumSgprs: 0
; NumVgprs: 0
; ScratchSize: 0
; MemoryBound: 0
; FloatMode: 240
; IeeeMode: 1
; LDSByteSize: 0 bytes/workgroup (compile time only)
; SGPRBlocks: 0
; VGPRBlocks: 0
; NumSGPRsForWavesPerEU: 1
; NumVGPRsForWavesPerEU: 1
; Occupancy: 16
; WaveLimiterHint : 0
; COMPUTE_PGM_RSRC2:SCRATCH_EN: 0
; COMPUTE_PGM_RSRC2:USER_SGPR: 15
; COMPUTE_PGM_RSRC2:TRAP_HANDLER: 0
; COMPUTE_PGM_RSRC2:TGID_X_EN: 1
; COMPUTE_PGM_RSRC2:TGID_Y_EN: 0
; COMPUTE_PGM_RSRC2:TGID_Z_EN: 0
; COMPUTE_PGM_RSRC2:TIDIG_COMP_CNT: 0
	.section	.text._ZN7rocprim17ROCPRIM_400000_NS6detail17trampoline_kernelINS0_13select_configILj256ELj13ELNS0_17block_load_methodE3ELS4_3ELS4_3ELNS0_20block_scan_algorithmE0ELj4294967295EEENS1_25partition_config_selectorILNS1_17partition_subalgoE4EjNS0_10empty_typeEbEEZZNS1_14partition_implILS8_4ELb0ES6_15HIP_vector_typeIjLj2EENS0_17counting_iteratorIjlEEPS9_SG_NS0_5tupleIJPjSI_NS0_16reverse_iteratorISI_EEEEENSH_IJSG_SG_SG_EEES9_SI_JZNS1_25segmented_radix_sort_implINS0_14default_configELb0EPKdPdPKlPlN2at6native12_GLOBAL__N_18offset_tEEE10hipError_tPvRmT1_PNSt15iterator_traitsIS12_E10value_typeET2_T3_PNS13_IS18_E10value_typeET4_jRbjT5_S1E_jjP12ihipStream_tbEUljE_ZNSN_ISO_Lb0ESQ_SR_ST_SU_SY_EESZ_S10_S11_S12_S16_S17_S18_S1B_S1C_jS1D_jS1E_S1E_jjS1G_bEUljE0_EEESZ_S10_S11_S18_S1C_S1E_T6_T7_T9_mT8_S1G_bDpT10_ENKUlT_T0_E_clISt17integral_constantIbLb0EES1T_IbLb1EEEEDaS1P_S1Q_EUlS1P_E_NS1_11comp_targetILNS1_3genE0ELNS1_11target_archE4294967295ELNS1_3gpuE0ELNS1_3repE0EEENS1_30default_config_static_selectorELNS0_4arch9wavefront6targetE0EEEvS12_,"axG",@progbits,_ZN7rocprim17ROCPRIM_400000_NS6detail17trampoline_kernelINS0_13select_configILj256ELj13ELNS0_17block_load_methodE3ELS4_3ELS4_3ELNS0_20block_scan_algorithmE0ELj4294967295EEENS1_25partition_config_selectorILNS1_17partition_subalgoE4EjNS0_10empty_typeEbEEZZNS1_14partition_implILS8_4ELb0ES6_15HIP_vector_typeIjLj2EENS0_17counting_iteratorIjlEEPS9_SG_NS0_5tupleIJPjSI_NS0_16reverse_iteratorISI_EEEEENSH_IJSG_SG_SG_EEES9_SI_JZNS1_25segmented_radix_sort_implINS0_14default_configELb0EPKdPdPKlPlN2at6native12_GLOBAL__N_18offset_tEEE10hipError_tPvRmT1_PNSt15iterator_traitsIS12_E10value_typeET2_T3_PNS13_IS18_E10value_typeET4_jRbjT5_S1E_jjP12ihipStream_tbEUljE_ZNSN_ISO_Lb0ESQ_SR_ST_SU_SY_EESZ_S10_S11_S12_S16_S17_S18_S1B_S1C_jS1D_jS1E_S1E_jjS1G_bEUljE0_EEESZ_S10_S11_S18_S1C_S1E_T6_T7_T9_mT8_S1G_bDpT10_ENKUlT_T0_E_clISt17integral_constantIbLb0EES1T_IbLb1EEEEDaS1P_S1Q_EUlS1P_E_NS1_11comp_targetILNS1_3genE0ELNS1_11target_archE4294967295ELNS1_3gpuE0ELNS1_3repE0EEENS1_30default_config_static_selectorELNS0_4arch9wavefront6targetE0EEEvS12_,comdat
	.globl	_ZN7rocprim17ROCPRIM_400000_NS6detail17trampoline_kernelINS0_13select_configILj256ELj13ELNS0_17block_load_methodE3ELS4_3ELS4_3ELNS0_20block_scan_algorithmE0ELj4294967295EEENS1_25partition_config_selectorILNS1_17partition_subalgoE4EjNS0_10empty_typeEbEEZZNS1_14partition_implILS8_4ELb0ES6_15HIP_vector_typeIjLj2EENS0_17counting_iteratorIjlEEPS9_SG_NS0_5tupleIJPjSI_NS0_16reverse_iteratorISI_EEEEENSH_IJSG_SG_SG_EEES9_SI_JZNS1_25segmented_radix_sort_implINS0_14default_configELb0EPKdPdPKlPlN2at6native12_GLOBAL__N_18offset_tEEE10hipError_tPvRmT1_PNSt15iterator_traitsIS12_E10value_typeET2_T3_PNS13_IS18_E10value_typeET4_jRbjT5_S1E_jjP12ihipStream_tbEUljE_ZNSN_ISO_Lb0ESQ_SR_ST_SU_SY_EESZ_S10_S11_S12_S16_S17_S18_S1B_S1C_jS1D_jS1E_S1E_jjS1G_bEUljE0_EEESZ_S10_S11_S18_S1C_S1E_T6_T7_T9_mT8_S1G_bDpT10_ENKUlT_T0_E_clISt17integral_constantIbLb0EES1T_IbLb1EEEEDaS1P_S1Q_EUlS1P_E_NS1_11comp_targetILNS1_3genE0ELNS1_11target_archE4294967295ELNS1_3gpuE0ELNS1_3repE0EEENS1_30default_config_static_selectorELNS0_4arch9wavefront6targetE0EEEvS12_ ; -- Begin function _ZN7rocprim17ROCPRIM_400000_NS6detail17trampoline_kernelINS0_13select_configILj256ELj13ELNS0_17block_load_methodE3ELS4_3ELS4_3ELNS0_20block_scan_algorithmE0ELj4294967295EEENS1_25partition_config_selectorILNS1_17partition_subalgoE4EjNS0_10empty_typeEbEEZZNS1_14partition_implILS8_4ELb0ES6_15HIP_vector_typeIjLj2EENS0_17counting_iteratorIjlEEPS9_SG_NS0_5tupleIJPjSI_NS0_16reverse_iteratorISI_EEEEENSH_IJSG_SG_SG_EEES9_SI_JZNS1_25segmented_radix_sort_implINS0_14default_configELb0EPKdPdPKlPlN2at6native12_GLOBAL__N_18offset_tEEE10hipError_tPvRmT1_PNSt15iterator_traitsIS12_E10value_typeET2_T3_PNS13_IS18_E10value_typeET4_jRbjT5_S1E_jjP12ihipStream_tbEUljE_ZNSN_ISO_Lb0ESQ_SR_ST_SU_SY_EESZ_S10_S11_S12_S16_S17_S18_S1B_S1C_jS1D_jS1E_S1E_jjS1G_bEUljE0_EEESZ_S10_S11_S18_S1C_S1E_T6_T7_T9_mT8_S1G_bDpT10_ENKUlT_T0_E_clISt17integral_constantIbLb0EES1T_IbLb1EEEEDaS1P_S1Q_EUlS1P_E_NS1_11comp_targetILNS1_3genE0ELNS1_11target_archE4294967295ELNS1_3gpuE0ELNS1_3repE0EEENS1_30default_config_static_selectorELNS0_4arch9wavefront6targetE0EEEvS12_
	.p2align	8
	.type	_ZN7rocprim17ROCPRIM_400000_NS6detail17trampoline_kernelINS0_13select_configILj256ELj13ELNS0_17block_load_methodE3ELS4_3ELS4_3ELNS0_20block_scan_algorithmE0ELj4294967295EEENS1_25partition_config_selectorILNS1_17partition_subalgoE4EjNS0_10empty_typeEbEEZZNS1_14partition_implILS8_4ELb0ES6_15HIP_vector_typeIjLj2EENS0_17counting_iteratorIjlEEPS9_SG_NS0_5tupleIJPjSI_NS0_16reverse_iteratorISI_EEEEENSH_IJSG_SG_SG_EEES9_SI_JZNS1_25segmented_radix_sort_implINS0_14default_configELb0EPKdPdPKlPlN2at6native12_GLOBAL__N_18offset_tEEE10hipError_tPvRmT1_PNSt15iterator_traitsIS12_E10value_typeET2_T3_PNS13_IS18_E10value_typeET4_jRbjT5_S1E_jjP12ihipStream_tbEUljE_ZNSN_ISO_Lb0ESQ_SR_ST_SU_SY_EESZ_S10_S11_S12_S16_S17_S18_S1B_S1C_jS1D_jS1E_S1E_jjS1G_bEUljE0_EEESZ_S10_S11_S18_S1C_S1E_T6_T7_T9_mT8_S1G_bDpT10_ENKUlT_T0_E_clISt17integral_constantIbLb0EES1T_IbLb1EEEEDaS1P_S1Q_EUlS1P_E_NS1_11comp_targetILNS1_3genE0ELNS1_11target_archE4294967295ELNS1_3gpuE0ELNS1_3repE0EEENS1_30default_config_static_selectorELNS0_4arch9wavefront6targetE0EEEvS12_,@function
_ZN7rocprim17ROCPRIM_400000_NS6detail17trampoline_kernelINS0_13select_configILj256ELj13ELNS0_17block_load_methodE3ELS4_3ELS4_3ELNS0_20block_scan_algorithmE0ELj4294967295EEENS1_25partition_config_selectorILNS1_17partition_subalgoE4EjNS0_10empty_typeEbEEZZNS1_14partition_implILS8_4ELb0ES6_15HIP_vector_typeIjLj2EENS0_17counting_iteratorIjlEEPS9_SG_NS0_5tupleIJPjSI_NS0_16reverse_iteratorISI_EEEEENSH_IJSG_SG_SG_EEES9_SI_JZNS1_25segmented_radix_sort_implINS0_14default_configELb0EPKdPdPKlPlN2at6native12_GLOBAL__N_18offset_tEEE10hipError_tPvRmT1_PNSt15iterator_traitsIS12_E10value_typeET2_T3_PNS13_IS18_E10value_typeET4_jRbjT5_S1E_jjP12ihipStream_tbEUljE_ZNSN_ISO_Lb0ESQ_SR_ST_SU_SY_EESZ_S10_S11_S12_S16_S17_S18_S1B_S1C_jS1D_jS1E_S1E_jjS1G_bEUljE0_EEESZ_S10_S11_S18_S1C_S1E_T6_T7_T9_mT8_S1G_bDpT10_ENKUlT_T0_E_clISt17integral_constantIbLb0EES1T_IbLb1EEEEDaS1P_S1Q_EUlS1P_E_NS1_11comp_targetILNS1_3genE0ELNS1_11target_archE4294967295ELNS1_3gpuE0ELNS1_3repE0EEENS1_30default_config_static_selectorELNS0_4arch9wavefront6targetE0EEEvS12_: ; @_ZN7rocprim17ROCPRIM_400000_NS6detail17trampoline_kernelINS0_13select_configILj256ELj13ELNS0_17block_load_methodE3ELS4_3ELS4_3ELNS0_20block_scan_algorithmE0ELj4294967295EEENS1_25partition_config_selectorILNS1_17partition_subalgoE4EjNS0_10empty_typeEbEEZZNS1_14partition_implILS8_4ELb0ES6_15HIP_vector_typeIjLj2EENS0_17counting_iteratorIjlEEPS9_SG_NS0_5tupleIJPjSI_NS0_16reverse_iteratorISI_EEEEENSH_IJSG_SG_SG_EEES9_SI_JZNS1_25segmented_radix_sort_implINS0_14default_configELb0EPKdPdPKlPlN2at6native12_GLOBAL__N_18offset_tEEE10hipError_tPvRmT1_PNSt15iterator_traitsIS12_E10value_typeET2_T3_PNS13_IS18_E10value_typeET4_jRbjT5_S1E_jjP12ihipStream_tbEUljE_ZNSN_ISO_Lb0ESQ_SR_ST_SU_SY_EESZ_S10_S11_S12_S16_S17_S18_S1B_S1C_jS1D_jS1E_S1E_jjS1G_bEUljE0_EEESZ_S10_S11_S18_S1C_S1E_T6_T7_T9_mT8_S1G_bDpT10_ENKUlT_T0_E_clISt17integral_constantIbLb0EES1T_IbLb1EEEEDaS1P_S1Q_EUlS1P_E_NS1_11comp_targetILNS1_3genE0ELNS1_11target_archE4294967295ELNS1_3gpuE0ELNS1_3repE0EEENS1_30default_config_static_selectorELNS0_4arch9wavefront6targetE0EEEvS12_
; %bb.0:
	.section	.rodata,"a",@progbits
	.p2align	6, 0x0
	.amdhsa_kernel _ZN7rocprim17ROCPRIM_400000_NS6detail17trampoline_kernelINS0_13select_configILj256ELj13ELNS0_17block_load_methodE3ELS4_3ELS4_3ELNS0_20block_scan_algorithmE0ELj4294967295EEENS1_25partition_config_selectorILNS1_17partition_subalgoE4EjNS0_10empty_typeEbEEZZNS1_14partition_implILS8_4ELb0ES6_15HIP_vector_typeIjLj2EENS0_17counting_iteratorIjlEEPS9_SG_NS0_5tupleIJPjSI_NS0_16reverse_iteratorISI_EEEEENSH_IJSG_SG_SG_EEES9_SI_JZNS1_25segmented_radix_sort_implINS0_14default_configELb0EPKdPdPKlPlN2at6native12_GLOBAL__N_18offset_tEEE10hipError_tPvRmT1_PNSt15iterator_traitsIS12_E10value_typeET2_T3_PNS13_IS18_E10value_typeET4_jRbjT5_S1E_jjP12ihipStream_tbEUljE_ZNSN_ISO_Lb0ESQ_SR_ST_SU_SY_EESZ_S10_S11_S12_S16_S17_S18_S1B_S1C_jS1D_jS1E_S1E_jjS1G_bEUljE0_EEESZ_S10_S11_S18_S1C_S1E_T6_T7_T9_mT8_S1G_bDpT10_ENKUlT_T0_E_clISt17integral_constantIbLb0EES1T_IbLb1EEEEDaS1P_S1Q_EUlS1P_E_NS1_11comp_targetILNS1_3genE0ELNS1_11target_archE4294967295ELNS1_3gpuE0ELNS1_3repE0EEENS1_30default_config_static_selectorELNS0_4arch9wavefront6targetE0EEEvS12_
		.amdhsa_group_segment_fixed_size 0
		.amdhsa_private_segment_fixed_size 0
		.amdhsa_kernarg_size 184
		.amdhsa_user_sgpr_count 15
		.amdhsa_user_sgpr_dispatch_ptr 0
		.amdhsa_user_sgpr_queue_ptr 0
		.amdhsa_user_sgpr_kernarg_segment_ptr 1
		.amdhsa_user_sgpr_dispatch_id 0
		.amdhsa_user_sgpr_private_segment_size 0
		.amdhsa_wavefront_size32 1
		.amdhsa_uses_dynamic_stack 0
		.amdhsa_enable_private_segment 0
		.amdhsa_system_sgpr_workgroup_id_x 1
		.amdhsa_system_sgpr_workgroup_id_y 0
		.amdhsa_system_sgpr_workgroup_id_z 0
		.amdhsa_system_sgpr_workgroup_info 0
		.amdhsa_system_vgpr_workitem_id 0
		.amdhsa_next_free_vgpr 1
		.amdhsa_next_free_sgpr 1
		.amdhsa_reserve_vcc 0
		.amdhsa_float_round_mode_32 0
		.amdhsa_float_round_mode_16_64 0
		.amdhsa_float_denorm_mode_32 3
		.amdhsa_float_denorm_mode_16_64 3
		.amdhsa_dx10_clamp 1
		.amdhsa_ieee_mode 1
		.amdhsa_fp16_overflow 0
		.amdhsa_workgroup_processor_mode 1
		.amdhsa_memory_ordered 1
		.amdhsa_forward_progress 0
		.amdhsa_shared_vgpr_count 0
		.amdhsa_exception_fp_ieee_invalid_op 0
		.amdhsa_exception_fp_denorm_src 0
		.amdhsa_exception_fp_ieee_div_zero 0
		.amdhsa_exception_fp_ieee_overflow 0
		.amdhsa_exception_fp_ieee_underflow 0
		.amdhsa_exception_fp_ieee_inexact 0
		.amdhsa_exception_int_div_zero 0
	.end_amdhsa_kernel
	.section	.text._ZN7rocprim17ROCPRIM_400000_NS6detail17trampoline_kernelINS0_13select_configILj256ELj13ELNS0_17block_load_methodE3ELS4_3ELS4_3ELNS0_20block_scan_algorithmE0ELj4294967295EEENS1_25partition_config_selectorILNS1_17partition_subalgoE4EjNS0_10empty_typeEbEEZZNS1_14partition_implILS8_4ELb0ES6_15HIP_vector_typeIjLj2EENS0_17counting_iteratorIjlEEPS9_SG_NS0_5tupleIJPjSI_NS0_16reverse_iteratorISI_EEEEENSH_IJSG_SG_SG_EEES9_SI_JZNS1_25segmented_radix_sort_implINS0_14default_configELb0EPKdPdPKlPlN2at6native12_GLOBAL__N_18offset_tEEE10hipError_tPvRmT1_PNSt15iterator_traitsIS12_E10value_typeET2_T3_PNS13_IS18_E10value_typeET4_jRbjT5_S1E_jjP12ihipStream_tbEUljE_ZNSN_ISO_Lb0ESQ_SR_ST_SU_SY_EESZ_S10_S11_S12_S16_S17_S18_S1B_S1C_jS1D_jS1E_S1E_jjS1G_bEUljE0_EEESZ_S10_S11_S18_S1C_S1E_T6_T7_T9_mT8_S1G_bDpT10_ENKUlT_T0_E_clISt17integral_constantIbLb0EES1T_IbLb1EEEEDaS1P_S1Q_EUlS1P_E_NS1_11comp_targetILNS1_3genE0ELNS1_11target_archE4294967295ELNS1_3gpuE0ELNS1_3repE0EEENS1_30default_config_static_selectorELNS0_4arch9wavefront6targetE0EEEvS12_,"axG",@progbits,_ZN7rocprim17ROCPRIM_400000_NS6detail17trampoline_kernelINS0_13select_configILj256ELj13ELNS0_17block_load_methodE3ELS4_3ELS4_3ELNS0_20block_scan_algorithmE0ELj4294967295EEENS1_25partition_config_selectorILNS1_17partition_subalgoE4EjNS0_10empty_typeEbEEZZNS1_14partition_implILS8_4ELb0ES6_15HIP_vector_typeIjLj2EENS0_17counting_iteratorIjlEEPS9_SG_NS0_5tupleIJPjSI_NS0_16reverse_iteratorISI_EEEEENSH_IJSG_SG_SG_EEES9_SI_JZNS1_25segmented_radix_sort_implINS0_14default_configELb0EPKdPdPKlPlN2at6native12_GLOBAL__N_18offset_tEEE10hipError_tPvRmT1_PNSt15iterator_traitsIS12_E10value_typeET2_T3_PNS13_IS18_E10value_typeET4_jRbjT5_S1E_jjP12ihipStream_tbEUljE_ZNSN_ISO_Lb0ESQ_SR_ST_SU_SY_EESZ_S10_S11_S12_S16_S17_S18_S1B_S1C_jS1D_jS1E_S1E_jjS1G_bEUljE0_EEESZ_S10_S11_S18_S1C_S1E_T6_T7_T9_mT8_S1G_bDpT10_ENKUlT_T0_E_clISt17integral_constantIbLb0EES1T_IbLb1EEEEDaS1P_S1Q_EUlS1P_E_NS1_11comp_targetILNS1_3genE0ELNS1_11target_archE4294967295ELNS1_3gpuE0ELNS1_3repE0EEENS1_30default_config_static_selectorELNS0_4arch9wavefront6targetE0EEEvS12_,comdat
.Lfunc_end1181:
	.size	_ZN7rocprim17ROCPRIM_400000_NS6detail17trampoline_kernelINS0_13select_configILj256ELj13ELNS0_17block_load_methodE3ELS4_3ELS4_3ELNS0_20block_scan_algorithmE0ELj4294967295EEENS1_25partition_config_selectorILNS1_17partition_subalgoE4EjNS0_10empty_typeEbEEZZNS1_14partition_implILS8_4ELb0ES6_15HIP_vector_typeIjLj2EENS0_17counting_iteratorIjlEEPS9_SG_NS0_5tupleIJPjSI_NS0_16reverse_iteratorISI_EEEEENSH_IJSG_SG_SG_EEES9_SI_JZNS1_25segmented_radix_sort_implINS0_14default_configELb0EPKdPdPKlPlN2at6native12_GLOBAL__N_18offset_tEEE10hipError_tPvRmT1_PNSt15iterator_traitsIS12_E10value_typeET2_T3_PNS13_IS18_E10value_typeET4_jRbjT5_S1E_jjP12ihipStream_tbEUljE_ZNSN_ISO_Lb0ESQ_SR_ST_SU_SY_EESZ_S10_S11_S12_S16_S17_S18_S1B_S1C_jS1D_jS1E_S1E_jjS1G_bEUljE0_EEESZ_S10_S11_S18_S1C_S1E_T6_T7_T9_mT8_S1G_bDpT10_ENKUlT_T0_E_clISt17integral_constantIbLb0EES1T_IbLb1EEEEDaS1P_S1Q_EUlS1P_E_NS1_11comp_targetILNS1_3genE0ELNS1_11target_archE4294967295ELNS1_3gpuE0ELNS1_3repE0EEENS1_30default_config_static_selectorELNS0_4arch9wavefront6targetE0EEEvS12_, .Lfunc_end1181-_ZN7rocprim17ROCPRIM_400000_NS6detail17trampoline_kernelINS0_13select_configILj256ELj13ELNS0_17block_load_methodE3ELS4_3ELS4_3ELNS0_20block_scan_algorithmE0ELj4294967295EEENS1_25partition_config_selectorILNS1_17partition_subalgoE4EjNS0_10empty_typeEbEEZZNS1_14partition_implILS8_4ELb0ES6_15HIP_vector_typeIjLj2EENS0_17counting_iteratorIjlEEPS9_SG_NS0_5tupleIJPjSI_NS0_16reverse_iteratorISI_EEEEENSH_IJSG_SG_SG_EEES9_SI_JZNS1_25segmented_radix_sort_implINS0_14default_configELb0EPKdPdPKlPlN2at6native12_GLOBAL__N_18offset_tEEE10hipError_tPvRmT1_PNSt15iterator_traitsIS12_E10value_typeET2_T3_PNS13_IS18_E10value_typeET4_jRbjT5_S1E_jjP12ihipStream_tbEUljE_ZNSN_ISO_Lb0ESQ_SR_ST_SU_SY_EESZ_S10_S11_S12_S16_S17_S18_S1B_S1C_jS1D_jS1E_S1E_jjS1G_bEUljE0_EEESZ_S10_S11_S18_S1C_S1E_T6_T7_T9_mT8_S1G_bDpT10_ENKUlT_T0_E_clISt17integral_constantIbLb0EES1T_IbLb1EEEEDaS1P_S1Q_EUlS1P_E_NS1_11comp_targetILNS1_3genE0ELNS1_11target_archE4294967295ELNS1_3gpuE0ELNS1_3repE0EEENS1_30default_config_static_selectorELNS0_4arch9wavefront6targetE0EEEvS12_
                                        ; -- End function
	.section	.AMDGPU.csdata,"",@progbits
; Kernel info:
; codeLenInByte = 0
; NumSgprs: 0
; NumVgprs: 0
; ScratchSize: 0
; MemoryBound: 0
; FloatMode: 240
; IeeeMode: 1
; LDSByteSize: 0 bytes/workgroup (compile time only)
; SGPRBlocks: 0
; VGPRBlocks: 0
; NumSGPRsForWavesPerEU: 1
; NumVGPRsForWavesPerEU: 1
; Occupancy: 16
; WaveLimiterHint : 0
; COMPUTE_PGM_RSRC2:SCRATCH_EN: 0
; COMPUTE_PGM_RSRC2:USER_SGPR: 15
; COMPUTE_PGM_RSRC2:TRAP_HANDLER: 0
; COMPUTE_PGM_RSRC2:TGID_X_EN: 1
; COMPUTE_PGM_RSRC2:TGID_Y_EN: 0
; COMPUTE_PGM_RSRC2:TGID_Z_EN: 0
; COMPUTE_PGM_RSRC2:TIDIG_COMP_CNT: 0
	.section	.text._ZN7rocprim17ROCPRIM_400000_NS6detail17trampoline_kernelINS0_13select_configILj256ELj13ELNS0_17block_load_methodE3ELS4_3ELS4_3ELNS0_20block_scan_algorithmE0ELj4294967295EEENS1_25partition_config_selectorILNS1_17partition_subalgoE4EjNS0_10empty_typeEbEEZZNS1_14partition_implILS8_4ELb0ES6_15HIP_vector_typeIjLj2EENS0_17counting_iteratorIjlEEPS9_SG_NS0_5tupleIJPjSI_NS0_16reverse_iteratorISI_EEEEENSH_IJSG_SG_SG_EEES9_SI_JZNS1_25segmented_radix_sort_implINS0_14default_configELb0EPKdPdPKlPlN2at6native12_GLOBAL__N_18offset_tEEE10hipError_tPvRmT1_PNSt15iterator_traitsIS12_E10value_typeET2_T3_PNS13_IS18_E10value_typeET4_jRbjT5_S1E_jjP12ihipStream_tbEUljE_ZNSN_ISO_Lb0ESQ_SR_ST_SU_SY_EESZ_S10_S11_S12_S16_S17_S18_S1B_S1C_jS1D_jS1E_S1E_jjS1G_bEUljE0_EEESZ_S10_S11_S18_S1C_S1E_T6_T7_T9_mT8_S1G_bDpT10_ENKUlT_T0_E_clISt17integral_constantIbLb0EES1T_IbLb1EEEEDaS1P_S1Q_EUlS1P_E_NS1_11comp_targetILNS1_3genE5ELNS1_11target_archE942ELNS1_3gpuE9ELNS1_3repE0EEENS1_30default_config_static_selectorELNS0_4arch9wavefront6targetE0EEEvS12_,"axG",@progbits,_ZN7rocprim17ROCPRIM_400000_NS6detail17trampoline_kernelINS0_13select_configILj256ELj13ELNS0_17block_load_methodE3ELS4_3ELS4_3ELNS0_20block_scan_algorithmE0ELj4294967295EEENS1_25partition_config_selectorILNS1_17partition_subalgoE4EjNS0_10empty_typeEbEEZZNS1_14partition_implILS8_4ELb0ES6_15HIP_vector_typeIjLj2EENS0_17counting_iteratorIjlEEPS9_SG_NS0_5tupleIJPjSI_NS0_16reverse_iteratorISI_EEEEENSH_IJSG_SG_SG_EEES9_SI_JZNS1_25segmented_radix_sort_implINS0_14default_configELb0EPKdPdPKlPlN2at6native12_GLOBAL__N_18offset_tEEE10hipError_tPvRmT1_PNSt15iterator_traitsIS12_E10value_typeET2_T3_PNS13_IS18_E10value_typeET4_jRbjT5_S1E_jjP12ihipStream_tbEUljE_ZNSN_ISO_Lb0ESQ_SR_ST_SU_SY_EESZ_S10_S11_S12_S16_S17_S18_S1B_S1C_jS1D_jS1E_S1E_jjS1G_bEUljE0_EEESZ_S10_S11_S18_S1C_S1E_T6_T7_T9_mT8_S1G_bDpT10_ENKUlT_T0_E_clISt17integral_constantIbLb0EES1T_IbLb1EEEEDaS1P_S1Q_EUlS1P_E_NS1_11comp_targetILNS1_3genE5ELNS1_11target_archE942ELNS1_3gpuE9ELNS1_3repE0EEENS1_30default_config_static_selectorELNS0_4arch9wavefront6targetE0EEEvS12_,comdat
	.globl	_ZN7rocprim17ROCPRIM_400000_NS6detail17trampoline_kernelINS0_13select_configILj256ELj13ELNS0_17block_load_methodE3ELS4_3ELS4_3ELNS0_20block_scan_algorithmE0ELj4294967295EEENS1_25partition_config_selectorILNS1_17partition_subalgoE4EjNS0_10empty_typeEbEEZZNS1_14partition_implILS8_4ELb0ES6_15HIP_vector_typeIjLj2EENS0_17counting_iteratorIjlEEPS9_SG_NS0_5tupleIJPjSI_NS0_16reverse_iteratorISI_EEEEENSH_IJSG_SG_SG_EEES9_SI_JZNS1_25segmented_radix_sort_implINS0_14default_configELb0EPKdPdPKlPlN2at6native12_GLOBAL__N_18offset_tEEE10hipError_tPvRmT1_PNSt15iterator_traitsIS12_E10value_typeET2_T3_PNS13_IS18_E10value_typeET4_jRbjT5_S1E_jjP12ihipStream_tbEUljE_ZNSN_ISO_Lb0ESQ_SR_ST_SU_SY_EESZ_S10_S11_S12_S16_S17_S18_S1B_S1C_jS1D_jS1E_S1E_jjS1G_bEUljE0_EEESZ_S10_S11_S18_S1C_S1E_T6_T7_T9_mT8_S1G_bDpT10_ENKUlT_T0_E_clISt17integral_constantIbLb0EES1T_IbLb1EEEEDaS1P_S1Q_EUlS1P_E_NS1_11comp_targetILNS1_3genE5ELNS1_11target_archE942ELNS1_3gpuE9ELNS1_3repE0EEENS1_30default_config_static_selectorELNS0_4arch9wavefront6targetE0EEEvS12_ ; -- Begin function _ZN7rocprim17ROCPRIM_400000_NS6detail17trampoline_kernelINS0_13select_configILj256ELj13ELNS0_17block_load_methodE3ELS4_3ELS4_3ELNS0_20block_scan_algorithmE0ELj4294967295EEENS1_25partition_config_selectorILNS1_17partition_subalgoE4EjNS0_10empty_typeEbEEZZNS1_14partition_implILS8_4ELb0ES6_15HIP_vector_typeIjLj2EENS0_17counting_iteratorIjlEEPS9_SG_NS0_5tupleIJPjSI_NS0_16reverse_iteratorISI_EEEEENSH_IJSG_SG_SG_EEES9_SI_JZNS1_25segmented_radix_sort_implINS0_14default_configELb0EPKdPdPKlPlN2at6native12_GLOBAL__N_18offset_tEEE10hipError_tPvRmT1_PNSt15iterator_traitsIS12_E10value_typeET2_T3_PNS13_IS18_E10value_typeET4_jRbjT5_S1E_jjP12ihipStream_tbEUljE_ZNSN_ISO_Lb0ESQ_SR_ST_SU_SY_EESZ_S10_S11_S12_S16_S17_S18_S1B_S1C_jS1D_jS1E_S1E_jjS1G_bEUljE0_EEESZ_S10_S11_S18_S1C_S1E_T6_T7_T9_mT8_S1G_bDpT10_ENKUlT_T0_E_clISt17integral_constantIbLb0EES1T_IbLb1EEEEDaS1P_S1Q_EUlS1P_E_NS1_11comp_targetILNS1_3genE5ELNS1_11target_archE942ELNS1_3gpuE9ELNS1_3repE0EEENS1_30default_config_static_selectorELNS0_4arch9wavefront6targetE0EEEvS12_
	.p2align	8
	.type	_ZN7rocprim17ROCPRIM_400000_NS6detail17trampoline_kernelINS0_13select_configILj256ELj13ELNS0_17block_load_methodE3ELS4_3ELS4_3ELNS0_20block_scan_algorithmE0ELj4294967295EEENS1_25partition_config_selectorILNS1_17partition_subalgoE4EjNS0_10empty_typeEbEEZZNS1_14partition_implILS8_4ELb0ES6_15HIP_vector_typeIjLj2EENS0_17counting_iteratorIjlEEPS9_SG_NS0_5tupleIJPjSI_NS0_16reverse_iteratorISI_EEEEENSH_IJSG_SG_SG_EEES9_SI_JZNS1_25segmented_radix_sort_implINS0_14default_configELb0EPKdPdPKlPlN2at6native12_GLOBAL__N_18offset_tEEE10hipError_tPvRmT1_PNSt15iterator_traitsIS12_E10value_typeET2_T3_PNS13_IS18_E10value_typeET4_jRbjT5_S1E_jjP12ihipStream_tbEUljE_ZNSN_ISO_Lb0ESQ_SR_ST_SU_SY_EESZ_S10_S11_S12_S16_S17_S18_S1B_S1C_jS1D_jS1E_S1E_jjS1G_bEUljE0_EEESZ_S10_S11_S18_S1C_S1E_T6_T7_T9_mT8_S1G_bDpT10_ENKUlT_T0_E_clISt17integral_constantIbLb0EES1T_IbLb1EEEEDaS1P_S1Q_EUlS1P_E_NS1_11comp_targetILNS1_3genE5ELNS1_11target_archE942ELNS1_3gpuE9ELNS1_3repE0EEENS1_30default_config_static_selectorELNS0_4arch9wavefront6targetE0EEEvS12_,@function
_ZN7rocprim17ROCPRIM_400000_NS6detail17trampoline_kernelINS0_13select_configILj256ELj13ELNS0_17block_load_methodE3ELS4_3ELS4_3ELNS0_20block_scan_algorithmE0ELj4294967295EEENS1_25partition_config_selectorILNS1_17partition_subalgoE4EjNS0_10empty_typeEbEEZZNS1_14partition_implILS8_4ELb0ES6_15HIP_vector_typeIjLj2EENS0_17counting_iteratorIjlEEPS9_SG_NS0_5tupleIJPjSI_NS0_16reverse_iteratorISI_EEEEENSH_IJSG_SG_SG_EEES9_SI_JZNS1_25segmented_radix_sort_implINS0_14default_configELb0EPKdPdPKlPlN2at6native12_GLOBAL__N_18offset_tEEE10hipError_tPvRmT1_PNSt15iterator_traitsIS12_E10value_typeET2_T3_PNS13_IS18_E10value_typeET4_jRbjT5_S1E_jjP12ihipStream_tbEUljE_ZNSN_ISO_Lb0ESQ_SR_ST_SU_SY_EESZ_S10_S11_S12_S16_S17_S18_S1B_S1C_jS1D_jS1E_S1E_jjS1G_bEUljE0_EEESZ_S10_S11_S18_S1C_S1E_T6_T7_T9_mT8_S1G_bDpT10_ENKUlT_T0_E_clISt17integral_constantIbLb0EES1T_IbLb1EEEEDaS1P_S1Q_EUlS1P_E_NS1_11comp_targetILNS1_3genE5ELNS1_11target_archE942ELNS1_3gpuE9ELNS1_3repE0EEENS1_30default_config_static_selectorELNS0_4arch9wavefront6targetE0EEEvS12_: ; @_ZN7rocprim17ROCPRIM_400000_NS6detail17trampoline_kernelINS0_13select_configILj256ELj13ELNS0_17block_load_methodE3ELS4_3ELS4_3ELNS0_20block_scan_algorithmE0ELj4294967295EEENS1_25partition_config_selectorILNS1_17partition_subalgoE4EjNS0_10empty_typeEbEEZZNS1_14partition_implILS8_4ELb0ES6_15HIP_vector_typeIjLj2EENS0_17counting_iteratorIjlEEPS9_SG_NS0_5tupleIJPjSI_NS0_16reverse_iteratorISI_EEEEENSH_IJSG_SG_SG_EEES9_SI_JZNS1_25segmented_radix_sort_implINS0_14default_configELb0EPKdPdPKlPlN2at6native12_GLOBAL__N_18offset_tEEE10hipError_tPvRmT1_PNSt15iterator_traitsIS12_E10value_typeET2_T3_PNS13_IS18_E10value_typeET4_jRbjT5_S1E_jjP12ihipStream_tbEUljE_ZNSN_ISO_Lb0ESQ_SR_ST_SU_SY_EESZ_S10_S11_S12_S16_S17_S18_S1B_S1C_jS1D_jS1E_S1E_jjS1G_bEUljE0_EEESZ_S10_S11_S18_S1C_S1E_T6_T7_T9_mT8_S1G_bDpT10_ENKUlT_T0_E_clISt17integral_constantIbLb0EES1T_IbLb1EEEEDaS1P_S1Q_EUlS1P_E_NS1_11comp_targetILNS1_3genE5ELNS1_11target_archE942ELNS1_3gpuE9ELNS1_3repE0EEENS1_30default_config_static_selectorELNS0_4arch9wavefront6targetE0EEEvS12_
; %bb.0:
	.section	.rodata,"a",@progbits
	.p2align	6, 0x0
	.amdhsa_kernel _ZN7rocprim17ROCPRIM_400000_NS6detail17trampoline_kernelINS0_13select_configILj256ELj13ELNS0_17block_load_methodE3ELS4_3ELS4_3ELNS0_20block_scan_algorithmE0ELj4294967295EEENS1_25partition_config_selectorILNS1_17partition_subalgoE4EjNS0_10empty_typeEbEEZZNS1_14partition_implILS8_4ELb0ES6_15HIP_vector_typeIjLj2EENS0_17counting_iteratorIjlEEPS9_SG_NS0_5tupleIJPjSI_NS0_16reverse_iteratorISI_EEEEENSH_IJSG_SG_SG_EEES9_SI_JZNS1_25segmented_radix_sort_implINS0_14default_configELb0EPKdPdPKlPlN2at6native12_GLOBAL__N_18offset_tEEE10hipError_tPvRmT1_PNSt15iterator_traitsIS12_E10value_typeET2_T3_PNS13_IS18_E10value_typeET4_jRbjT5_S1E_jjP12ihipStream_tbEUljE_ZNSN_ISO_Lb0ESQ_SR_ST_SU_SY_EESZ_S10_S11_S12_S16_S17_S18_S1B_S1C_jS1D_jS1E_S1E_jjS1G_bEUljE0_EEESZ_S10_S11_S18_S1C_S1E_T6_T7_T9_mT8_S1G_bDpT10_ENKUlT_T0_E_clISt17integral_constantIbLb0EES1T_IbLb1EEEEDaS1P_S1Q_EUlS1P_E_NS1_11comp_targetILNS1_3genE5ELNS1_11target_archE942ELNS1_3gpuE9ELNS1_3repE0EEENS1_30default_config_static_selectorELNS0_4arch9wavefront6targetE0EEEvS12_
		.amdhsa_group_segment_fixed_size 0
		.amdhsa_private_segment_fixed_size 0
		.amdhsa_kernarg_size 184
		.amdhsa_user_sgpr_count 15
		.amdhsa_user_sgpr_dispatch_ptr 0
		.amdhsa_user_sgpr_queue_ptr 0
		.amdhsa_user_sgpr_kernarg_segment_ptr 1
		.amdhsa_user_sgpr_dispatch_id 0
		.amdhsa_user_sgpr_private_segment_size 0
		.amdhsa_wavefront_size32 1
		.amdhsa_uses_dynamic_stack 0
		.amdhsa_enable_private_segment 0
		.amdhsa_system_sgpr_workgroup_id_x 1
		.amdhsa_system_sgpr_workgroup_id_y 0
		.amdhsa_system_sgpr_workgroup_id_z 0
		.amdhsa_system_sgpr_workgroup_info 0
		.amdhsa_system_vgpr_workitem_id 0
		.amdhsa_next_free_vgpr 1
		.amdhsa_next_free_sgpr 1
		.amdhsa_reserve_vcc 0
		.amdhsa_float_round_mode_32 0
		.amdhsa_float_round_mode_16_64 0
		.amdhsa_float_denorm_mode_32 3
		.amdhsa_float_denorm_mode_16_64 3
		.amdhsa_dx10_clamp 1
		.amdhsa_ieee_mode 1
		.amdhsa_fp16_overflow 0
		.amdhsa_workgroup_processor_mode 1
		.amdhsa_memory_ordered 1
		.amdhsa_forward_progress 0
		.amdhsa_shared_vgpr_count 0
		.amdhsa_exception_fp_ieee_invalid_op 0
		.amdhsa_exception_fp_denorm_src 0
		.amdhsa_exception_fp_ieee_div_zero 0
		.amdhsa_exception_fp_ieee_overflow 0
		.amdhsa_exception_fp_ieee_underflow 0
		.amdhsa_exception_fp_ieee_inexact 0
		.amdhsa_exception_int_div_zero 0
	.end_amdhsa_kernel
	.section	.text._ZN7rocprim17ROCPRIM_400000_NS6detail17trampoline_kernelINS0_13select_configILj256ELj13ELNS0_17block_load_methodE3ELS4_3ELS4_3ELNS0_20block_scan_algorithmE0ELj4294967295EEENS1_25partition_config_selectorILNS1_17partition_subalgoE4EjNS0_10empty_typeEbEEZZNS1_14partition_implILS8_4ELb0ES6_15HIP_vector_typeIjLj2EENS0_17counting_iteratorIjlEEPS9_SG_NS0_5tupleIJPjSI_NS0_16reverse_iteratorISI_EEEEENSH_IJSG_SG_SG_EEES9_SI_JZNS1_25segmented_radix_sort_implINS0_14default_configELb0EPKdPdPKlPlN2at6native12_GLOBAL__N_18offset_tEEE10hipError_tPvRmT1_PNSt15iterator_traitsIS12_E10value_typeET2_T3_PNS13_IS18_E10value_typeET4_jRbjT5_S1E_jjP12ihipStream_tbEUljE_ZNSN_ISO_Lb0ESQ_SR_ST_SU_SY_EESZ_S10_S11_S12_S16_S17_S18_S1B_S1C_jS1D_jS1E_S1E_jjS1G_bEUljE0_EEESZ_S10_S11_S18_S1C_S1E_T6_T7_T9_mT8_S1G_bDpT10_ENKUlT_T0_E_clISt17integral_constantIbLb0EES1T_IbLb1EEEEDaS1P_S1Q_EUlS1P_E_NS1_11comp_targetILNS1_3genE5ELNS1_11target_archE942ELNS1_3gpuE9ELNS1_3repE0EEENS1_30default_config_static_selectorELNS0_4arch9wavefront6targetE0EEEvS12_,"axG",@progbits,_ZN7rocprim17ROCPRIM_400000_NS6detail17trampoline_kernelINS0_13select_configILj256ELj13ELNS0_17block_load_methodE3ELS4_3ELS4_3ELNS0_20block_scan_algorithmE0ELj4294967295EEENS1_25partition_config_selectorILNS1_17partition_subalgoE4EjNS0_10empty_typeEbEEZZNS1_14partition_implILS8_4ELb0ES6_15HIP_vector_typeIjLj2EENS0_17counting_iteratorIjlEEPS9_SG_NS0_5tupleIJPjSI_NS0_16reverse_iteratorISI_EEEEENSH_IJSG_SG_SG_EEES9_SI_JZNS1_25segmented_radix_sort_implINS0_14default_configELb0EPKdPdPKlPlN2at6native12_GLOBAL__N_18offset_tEEE10hipError_tPvRmT1_PNSt15iterator_traitsIS12_E10value_typeET2_T3_PNS13_IS18_E10value_typeET4_jRbjT5_S1E_jjP12ihipStream_tbEUljE_ZNSN_ISO_Lb0ESQ_SR_ST_SU_SY_EESZ_S10_S11_S12_S16_S17_S18_S1B_S1C_jS1D_jS1E_S1E_jjS1G_bEUljE0_EEESZ_S10_S11_S18_S1C_S1E_T6_T7_T9_mT8_S1G_bDpT10_ENKUlT_T0_E_clISt17integral_constantIbLb0EES1T_IbLb1EEEEDaS1P_S1Q_EUlS1P_E_NS1_11comp_targetILNS1_3genE5ELNS1_11target_archE942ELNS1_3gpuE9ELNS1_3repE0EEENS1_30default_config_static_selectorELNS0_4arch9wavefront6targetE0EEEvS12_,comdat
.Lfunc_end1182:
	.size	_ZN7rocprim17ROCPRIM_400000_NS6detail17trampoline_kernelINS0_13select_configILj256ELj13ELNS0_17block_load_methodE3ELS4_3ELS4_3ELNS0_20block_scan_algorithmE0ELj4294967295EEENS1_25partition_config_selectorILNS1_17partition_subalgoE4EjNS0_10empty_typeEbEEZZNS1_14partition_implILS8_4ELb0ES6_15HIP_vector_typeIjLj2EENS0_17counting_iteratorIjlEEPS9_SG_NS0_5tupleIJPjSI_NS0_16reverse_iteratorISI_EEEEENSH_IJSG_SG_SG_EEES9_SI_JZNS1_25segmented_radix_sort_implINS0_14default_configELb0EPKdPdPKlPlN2at6native12_GLOBAL__N_18offset_tEEE10hipError_tPvRmT1_PNSt15iterator_traitsIS12_E10value_typeET2_T3_PNS13_IS18_E10value_typeET4_jRbjT5_S1E_jjP12ihipStream_tbEUljE_ZNSN_ISO_Lb0ESQ_SR_ST_SU_SY_EESZ_S10_S11_S12_S16_S17_S18_S1B_S1C_jS1D_jS1E_S1E_jjS1G_bEUljE0_EEESZ_S10_S11_S18_S1C_S1E_T6_T7_T9_mT8_S1G_bDpT10_ENKUlT_T0_E_clISt17integral_constantIbLb0EES1T_IbLb1EEEEDaS1P_S1Q_EUlS1P_E_NS1_11comp_targetILNS1_3genE5ELNS1_11target_archE942ELNS1_3gpuE9ELNS1_3repE0EEENS1_30default_config_static_selectorELNS0_4arch9wavefront6targetE0EEEvS12_, .Lfunc_end1182-_ZN7rocprim17ROCPRIM_400000_NS6detail17trampoline_kernelINS0_13select_configILj256ELj13ELNS0_17block_load_methodE3ELS4_3ELS4_3ELNS0_20block_scan_algorithmE0ELj4294967295EEENS1_25partition_config_selectorILNS1_17partition_subalgoE4EjNS0_10empty_typeEbEEZZNS1_14partition_implILS8_4ELb0ES6_15HIP_vector_typeIjLj2EENS0_17counting_iteratorIjlEEPS9_SG_NS0_5tupleIJPjSI_NS0_16reverse_iteratorISI_EEEEENSH_IJSG_SG_SG_EEES9_SI_JZNS1_25segmented_radix_sort_implINS0_14default_configELb0EPKdPdPKlPlN2at6native12_GLOBAL__N_18offset_tEEE10hipError_tPvRmT1_PNSt15iterator_traitsIS12_E10value_typeET2_T3_PNS13_IS18_E10value_typeET4_jRbjT5_S1E_jjP12ihipStream_tbEUljE_ZNSN_ISO_Lb0ESQ_SR_ST_SU_SY_EESZ_S10_S11_S12_S16_S17_S18_S1B_S1C_jS1D_jS1E_S1E_jjS1G_bEUljE0_EEESZ_S10_S11_S18_S1C_S1E_T6_T7_T9_mT8_S1G_bDpT10_ENKUlT_T0_E_clISt17integral_constantIbLb0EES1T_IbLb1EEEEDaS1P_S1Q_EUlS1P_E_NS1_11comp_targetILNS1_3genE5ELNS1_11target_archE942ELNS1_3gpuE9ELNS1_3repE0EEENS1_30default_config_static_selectorELNS0_4arch9wavefront6targetE0EEEvS12_
                                        ; -- End function
	.section	.AMDGPU.csdata,"",@progbits
; Kernel info:
; codeLenInByte = 0
; NumSgprs: 0
; NumVgprs: 0
; ScratchSize: 0
; MemoryBound: 0
; FloatMode: 240
; IeeeMode: 1
; LDSByteSize: 0 bytes/workgroup (compile time only)
; SGPRBlocks: 0
; VGPRBlocks: 0
; NumSGPRsForWavesPerEU: 1
; NumVGPRsForWavesPerEU: 1
; Occupancy: 16
; WaveLimiterHint : 0
; COMPUTE_PGM_RSRC2:SCRATCH_EN: 0
; COMPUTE_PGM_RSRC2:USER_SGPR: 15
; COMPUTE_PGM_RSRC2:TRAP_HANDLER: 0
; COMPUTE_PGM_RSRC2:TGID_X_EN: 1
; COMPUTE_PGM_RSRC2:TGID_Y_EN: 0
; COMPUTE_PGM_RSRC2:TGID_Z_EN: 0
; COMPUTE_PGM_RSRC2:TIDIG_COMP_CNT: 0
	.section	.text._ZN7rocprim17ROCPRIM_400000_NS6detail17trampoline_kernelINS0_13select_configILj256ELj13ELNS0_17block_load_methodE3ELS4_3ELS4_3ELNS0_20block_scan_algorithmE0ELj4294967295EEENS1_25partition_config_selectorILNS1_17partition_subalgoE4EjNS0_10empty_typeEbEEZZNS1_14partition_implILS8_4ELb0ES6_15HIP_vector_typeIjLj2EENS0_17counting_iteratorIjlEEPS9_SG_NS0_5tupleIJPjSI_NS0_16reverse_iteratorISI_EEEEENSH_IJSG_SG_SG_EEES9_SI_JZNS1_25segmented_radix_sort_implINS0_14default_configELb0EPKdPdPKlPlN2at6native12_GLOBAL__N_18offset_tEEE10hipError_tPvRmT1_PNSt15iterator_traitsIS12_E10value_typeET2_T3_PNS13_IS18_E10value_typeET4_jRbjT5_S1E_jjP12ihipStream_tbEUljE_ZNSN_ISO_Lb0ESQ_SR_ST_SU_SY_EESZ_S10_S11_S12_S16_S17_S18_S1B_S1C_jS1D_jS1E_S1E_jjS1G_bEUljE0_EEESZ_S10_S11_S18_S1C_S1E_T6_T7_T9_mT8_S1G_bDpT10_ENKUlT_T0_E_clISt17integral_constantIbLb0EES1T_IbLb1EEEEDaS1P_S1Q_EUlS1P_E_NS1_11comp_targetILNS1_3genE4ELNS1_11target_archE910ELNS1_3gpuE8ELNS1_3repE0EEENS1_30default_config_static_selectorELNS0_4arch9wavefront6targetE0EEEvS12_,"axG",@progbits,_ZN7rocprim17ROCPRIM_400000_NS6detail17trampoline_kernelINS0_13select_configILj256ELj13ELNS0_17block_load_methodE3ELS4_3ELS4_3ELNS0_20block_scan_algorithmE0ELj4294967295EEENS1_25partition_config_selectorILNS1_17partition_subalgoE4EjNS0_10empty_typeEbEEZZNS1_14partition_implILS8_4ELb0ES6_15HIP_vector_typeIjLj2EENS0_17counting_iteratorIjlEEPS9_SG_NS0_5tupleIJPjSI_NS0_16reverse_iteratorISI_EEEEENSH_IJSG_SG_SG_EEES9_SI_JZNS1_25segmented_radix_sort_implINS0_14default_configELb0EPKdPdPKlPlN2at6native12_GLOBAL__N_18offset_tEEE10hipError_tPvRmT1_PNSt15iterator_traitsIS12_E10value_typeET2_T3_PNS13_IS18_E10value_typeET4_jRbjT5_S1E_jjP12ihipStream_tbEUljE_ZNSN_ISO_Lb0ESQ_SR_ST_SU_SY_EESZ_S10_S11_S12_S16_S17_S18_S1B_S1C_jS1D_jS1E_S1E_jjS1G_bEUljE0_EEESZ_S10_S11_S18_S1C_S1E_T6_T7_T9_mT8_S1G_bDpT10_ENKUlT_T0_E_clISt17integral_constantIbLb0EES1T_IbLb1EEEEDaS1P_S1Q_EUlS1P_E_NS1_11comp_targetILNS1_3genE4ELNS1_11target_archE910ELNS1_3gpuE8ELNS1_3repE0EEENS1_30default_config_static_selectorELNS0_4arch9wavefront6targetE0EEEvS12_,comdat
	.globl	_ZN7rocprim17ROCPRIM_400000_NS6detail17trampoline_kernelINS0_13select_configILj256ELj13ELNS0_17block_load_methodE3ELS4_3ELS4_3ELNS0_20block_scan_algorithmE0ELj4294967295EEENS1_25partition_config_selectorILNS1_17partition_subalgoE4EjNS0_10empty_typeEbEEZZNS1_14partition_implILS8_4ELb0ES6_15HIP_vector_typeIjLj2EENS0_17counting_iteratorIjlEEPS9_SG_NS0_5tupleIJPjSI_NS0_16reverse_iteratorISI_EEEEENSH_IJSG_SG_SG_EEES9_SI_JZNS1_25segmented_radix_sort_implINS0_14default_configELb0EPKdPdPKlPlN2at6native12_GLOBAL__N_18offset_tEEE10hipError_tPvRmT1_PNSt15iterator_traitsIS12_E10value_typeET2_T3_PNS13_IS18_E10value_typeET4_jRbjT5_S1E_jjP12ihipStream_tbEUljE_ZNSN_ISO_Lb0ESQ_SR_ST_SU_SY_EESZ_S10_S11_S12_S16_S17_S18_S1B_S1C_jS1D_jS1E_S1E_jjS1G_bEUljE0_EEESZ_S10_S11_S18_S1C_S1E_T6_T7_T9_mT8_S1G_bDpT10_ENKUlT_T0_E_clISt17integral_constantIbLb0EES1T_IbLb1EEEEDaS1P_S1Q_EUlS1P_E_NS1_11comp_targetILNS1_3genE4ELNS1_11target_archE910ELNS1_3gpuE8ELNS1_3repE0EEENS1_30default_config_static_selectorELNS0_4arch9wavefront6targetE0EEEvS12_ ; -- Begin function _ZN7rocprim17ROCPRIM_400000_NS6detail17trampoline_kernelINS0_13select_configILj256ELj13ELNS0_17block_load_methodE3ELS4_3ELS4_3ELNS0_20block_scan_algorithmE0ELj4294967295EEENS1_25partition_config_selectorILNS1_17partition_subalgoE4EjNS0_10empty_typeEbEEZZNS1_14partition_implILS8_4ELb0ES6_15HIP_vector_typeIjLj2EENS0_17counting_iteratorIjlEEPS9_SG_NS0_5tupleIJPjSI_NS0_16reverse_iteratorISI_EEEEENSH_IJSG_SG_SG_EEES9_SI_JZNS1_25segmented_radix_sort_implINS0_14default_configELb0EPKdPdPKlPlN2at6native12_GLOBAL__N_18offset_tEEE10hipError_tPvRmT1_PNSt15iterator_traitsIS12_E10value_typeET2_T3_PNS13_IS18_E10value_typeET4_jRbjT5_S1E_jjP12ihipStream_tbEUljE_ZNSN_ISO_Lb0ESQ_SR_ST_SU_SY_EESZ_S10_S11_S12_S16_S17_S18_S1B_S1C_jS1D_jS1E_S1E_jjS1G_bEUljE0_EEESZ_S10_S11_S18_S1C_S1E_T6_T7_T9_mT8_S1G_bDpT10_ENKUlT_T0_E_clISt17integral_constantIbLb0EES1T_IbLb1EEEEDaS1P_S1Q_EUlS1P_E_NS1_11comp_targetILNS1_3genE4ELNS1_11target_archE910ELNS1_3gpuE8ELNS1_3repE0EEENS1_30default_config_static_selectorELNS0_4arch9wavefront6targetE0EEEvS12_
	.p2align	8
	.type	_ZN7rocprim17ROCPRIM_400000_NS6detail17trampoline_kernelINS0_13select_configILj256ELj13ELNS0_17block_load_methodE3ELS4_3ELS4_3ELNS0_20block_scan_algorithmE0ELj4294967295EEENS1_25partition_config_selectorILNS1_17partition_subalgoE4EjNS0_10empty_typeEbEEZZNS1_14partition_implILS8_4ELb0ES6_15HIP_vector_typeIjLj2EENS0_17counting_iteratorIjlEEPS9_SG_NS0_5tupleIJPjSI_NS0_16reverse_iteratorISI_EEEEENSH_IJSG_SG_SG_EEES9_SI_JZNS1_25segmented_radix_sort_implINS0_14default_configELb0EPKdPdPKlPlN2at6native12_GLOBAL__N_18offset_tEEE10hipError_tPvRmT1_PNSt15iterator_traitsIS12_E10value_typeET2_T3_PNS13_IS18_E10value_typeET4_jRbjT5_S1E_jjP12ihipStream_tbEUljE_ZNSN_ISO_Lb0ESQ_SR_ST_SU_SY_EESZ_S10_S11_S12_S16_S17_S18_S1B_S1C_jS1D_jS1E_S1E_jjS1G_bEUljE0_EEESZ_S10_S11_S18_S1C_S1E_T6_T7_T9_mT8_S1G_bDpT10_ENKUlT_T0_E_clISt17integral_constantIbLb0EES1T_IbLb1EEEEDaS1P_S1Q_EUlS1P_E_NS1_11comp_targetILNS1_3genE4ELNS1_11target_archE910ELNS1_3gpuE8ELNS1_3repE0EEENS1_30default_config_static_selectorELNS0_4arch9wavefront6targetE0EEEvS12_,@function
_ZN7rocprim17ROCPRIM_400000_NS6detail17trampoline_kernelINS0_13select_configILj256ELj13ELNS0_17block_load_methodE3ELS4_3ELS4_3ELNS0_20block_scan_algorithmE0ELj4294967295EEENS1_25partition_config_selectorILNS1_17partition_subalgoE4EjNS0_10empty_typeEbEEZZNS1_14partition_implILS8_4ELb0ES6_15HIP_vector_typeIjLj2EENS0_17counting_iteratorIjlEEPS9_SG_NS0_5tupleIJPjSI_NS0_16reverse_iteratorISI_EEEEENSH_IJSG_SG_SG_EEES9_SI_JZNS1_25segmented_radix_sort_implINS0_14default_configELb0EPKdPdPKlPlN2at6native12_GLOBAL__N_18offset_tEEE10hipError_tPvRmT1_PNSt15iterator_traitsIS12_E10value_typeET2_T3_PNS13_IS18_E10value_typeET4_jRbjT5_S1E_jjP12ihipStream_tbEUljE_ZNSN_ISO_Lb0ESQ_SR_ST_SU_SY_EESZ_S10_S11_S12_S16_S17_S18_S1B_S1C_jS1D_jS1E_S1E_jjS1G_bEUljE0_EEESZ_S10_S11_S18_S1C_S1E_T6_T7_T9_mT8_S1G_bDpT10_ENKUlT_T0_E_clISt17integral_constantIbLb0EES1T_IbLb1EEEEDaS1P_S1Q_EUlS1P_E_NS1_11comp_targetILNS1_3genE4ELNS1_11target_archE910ELNS1_3gpuE8ELNS1_3repE0EEENS1_30default_config_static_selectorELNS0_4arch9wavefront6targetE0EEEvS12_: ; @_ZN7rocprim17ROCPRIM_400000_NS6detail17trampoline_kernelINS0_13select_configILj256ELj13ELNS0_17block_load_methodE3ELS4_3ELS4_3ELNS0_20block_scan_algorithmE0ELj4294967295EEENS1_25partition_config_selectorILNS1_17partition_subalgoE4EjNS0_10empty_typeEbEEZZNS1_14partition_implILS8_4ELb0ES6_15HIP_vector_typeIjLj2EENS0_17counting_iteratorIjlEEPS9_SG_NS0_5tupleIJPjSI_NS0_16reverse_iteratorISI_EEEEENSH_IJSG_SG_SG_EEES9_SI_JZNS1_25segmented_radix_sort_implINS0_14default_configELb0EPKdPdPKlPlN2at6native12_GLOBAL__N_18offset_tEEE10hipError_tPvRmT1_PNSt15iterator_traitsIS12_E10value_typeET2_T3_PNS13_IS18_E10value_typeET4_jRbjT5_S1E_jjP12ihipStream_tbEUljE_ZNSN_ISO_Lb0ESQ_SR_ST_SU_SY_EESZ_S10_S11_S12_S16_S17_S18_S1B_S1C_jS1D_jS1E_S1E_jjS1G_bEUljE0_EEESZ_S10_S11_S18_S1C_S1E_T6_T7_T9_mT8_S1G_bDpT10_ENKUlT_T0_E_clISt17integral_constantIbLb0EES1T_IbLb1EEEEDaS1P_S1Q_EUlS1P_E_NS1_11comp_targetILNS1_3genE4ELNS1_11target_archE910ELNS1_3gpuE8ELNS1_3repE0EEENS1_30default_config_static_selectorELNS0_4arch9wavefront6targetE0EEEvS12_
; %bb.0:
	.section	.rodata,"a",@progbits
	.p2align	6, 0x0
	.amdhsa_kernel _ZN7rocprim17ROCPRIM_400000_NS6detail17trampoline_kernelINS0_13select_configILj256ELj13ELNS0_17block_load_methodE3ELS4_3ELS4_3ELNS0_20block_scan_algorithmE0ELj4294967295EEENS1_25partition_config_selectorILNS1_17partition_subalgoE4EjNS0_10empty_typeEbEEZZNS1_14partition_implILS8_4ELb0ES6_15HIP_vector_typeIjLj2EENS0_17counting_iteratorIjlEEPS9_SG_NS0_5tupleIJPjSI_NS0_16reverse_iteratorISI_EEEEENSH_IJSG_SG_SG_EEES9_SI_JZNS1_25segmented_radix_sort_implINS0_14default_configELb0EPKdPdPKlPlN2at6native12_GLOBAL__N_18offset_tEEE10hipError_tPvRmT1_PNSt15iterator_traitsIS12_E10value_typeET2_T3_PNS13_IS18_E10value_typeET4_jRbjT5_S1E_jjP12ihipStream_tbEUljE_ZNSN_ISO_Lb0ESQ_SR_ST_SU_SY_EESZ_S10_S11_S12_S16_S17_S18_S1B_S1C_jS1D_jS1E_S1E_jjS1G_bEUljE0_EEESZ_S10_S11_S18_S1C_S1E_T6_T7_T9_mT8_S1G_bDpT10_ENKUlT_T0_E_clISt17integral_constantIbLb0EES1T_IbLb1EEEEDaS1P_S1Q_EUlS1P_E_NS1_11comp_targetILNS1_3genE4ELNS1_11target_archE910ELNS1_3gpuE8ELNS1_3repE0EEENS1_30default_config_static_selectorELNS0_4arch9wavefront6targetE0EEEvS12_
		.amdhsa_group_segment_fixed_size 0
		.amdhsa_private_segment_fixed_size 0
		.amdhsa_kernarg_size 184
		.amdhsa_user_sgpr_count 15
		.amdhsa_user_sgpr_dispatch_ptr 0
		.amdhsa_user_sgpr_queue_ptr 0
		.amdhsa_user_sgpr_kernarg_segment_ptr 1
		.amdhsa_user_sgpr_dispatch_id 0
		.amdhsa_user_sgpr_private_segment_size 0
		.amdhsa_wavefront_size32 1
		.amdhsa_uses_dynamic_stack 0
		.amdhsa_enable_private_segment 0
		.amdhsa_system_sgpr_workgroup_id_x 1
		.amdhsa_system_sgpr_workgroup_id_y 0
		.amdhsa_system_sgpr_workgroup_id_z 0
		.amdhsa_system_sgpr_workgroup_info 0
		.amdhsa_system_vgpr_workitem_id 0
		.amdhsa_next_free_vgpr 1
		.amdhsa_next_free_sgpr 1
		.amdhsa_reserve_vcc 0
		.amdhsa_float_round_mode_32 0
		.amdhsa_float_round_mode_16_64 0
		.amdhsa_float_denorm_mode_32 3
		.amdhsa_float_denorm_mode_16_64 3
		.amdhsa_dx10_clamp 1
		.amdhsa_ieee_mode 1
		.amdhsa_fp16_overflow 0
		.amdhsa_workgroup_processor_mode 1
		.amdhsa_memory_ordered 1
		.amdhsa_forward_progress 0
		.amdhsa_shared_vgpr_count 0
		.amdhsa_exception_fp_ieee_invalid_op 0
		.amdhsa_exception_fp_denorm_src 0
		.amdhsa_exception_fp_ieee_div_zero 0
		.amdhsa_exception_fp_ieee_overflow 0
		.amdhsa_exception_fp_ieee_underflow 0
		.amdhsa_exception_fp_ieee_inexact 0
		.amdhsa_exception_int_div_zero 0
	.end_amdhsa_kernel
	.section	.text._ZN7rocprim17ROCPRIM_400000_NS6detail17trampoline_kernelINS0_13select_configILj256ELj13ELNS0_17block_load_methodE3ELS4_3ELS4_3ELNS0_20block_scan_algorithmE0ELj4294967295EEENS1_25partition_config_selectorILNS1_17partition_subalgoE4EjNS0_10empty_typeEbEEZZNS1_14partition_implILS8_4ELb0ES6_15HIP_vector_typeIjLj2EENS0_17counting_iteratorIjlEEPS9_SG_NS0_5tupleIJPjSI_NS0_16reverse_iteratorISI_EEEEENSH_IJSG_SG_SG_EEES9_SI_JZNS1_25segmented_radix_sort_implINS0_14default_configELb0EPKdPdPKlPlN2at6native12_GLOBAL__N_18offset_tEEE10hipError_tPvRmT1_PNSt15iterator_traitsIS12_E10value_typeET2_T3_PNS13_IS18_E10value_typeET4_jRbjT5_S1E_jjP12ihipStream_tbEUljE_ZNSN_ISO_Lb0ESQ_SR_ST_SU_SY_EESZ_S10_S11_S12_S16_S17_S18_S1B_S1C_jS1D_jS1E_S1E_jjS1G_bEUljE0_EEESZ_S10_S11_S18_S1C_S1E_T6_T7_T9_mT8_S1G_bDpT10_ENKUlT_T0_E_clISt17integral_constantIbLb0EES1T_IbLb1EEEEDaS1P_S1Q_EUlS1P_E_NS1_11comp_targetILNS1_3genE4ELNS1_11target_archE910ELNS1_3gpuE8ELNS1_3repE0EEENS1_30default_config_static_selectorELNS0_4arch9wavefront6targetE0EEEvS12_,"axG",@progbits,_ZN7rocprim17ROCPRIM_400000_NS6detail17trampoline_kernelINS0_13select_configILj256ELj13ELNS0_17block_load_methodE3ELS4_3ELS4_3ELNS0_20block_scan_algorithmE0ELj4294967295EEENS1_25partition_config_selectorILNS1_17partition_subalgoE4EjNS0_10empty_typeEbEEZZNS1_14partition_implILS8_4ELb0ES6_15HIP_vector_typeIjLj2EENS0_17counting_iteratorIjlEEPS9_SG_NS0_5tupleIJPjSI_NS0_16reverse_iteratorISI_EEEEENSH_IJSG_SG_SG_EEES9_SI_JZNS1_25segmented_radix_sort_implINS0_14default_configELb0EPKdPdPKlPlN2at6native12_GLOBAL__N_18offset_tEEE10hipError_tPvRmT1_PNSt15iterator_traitsIS12_E10value_typeET2_T3_PNS13_IS18_E10value_typeET4_jRbjT5_S1E_jjP12ihipStream_tbEUljE_ZNSN_ISO_Lb0ESQ_SR_ST_SU_SY_EESZ_S10_S11_S12_S16_S17_S18_S1B_S1C_jS1D_jS1E_S1E_jjS1G_bEUljE0_EEESZ_S10_S11_S18_S1C_S1E_T6_T7_T9_mT8_S1G_bDpT10_ENKUlT_T0_E_clISt17integral_constantIbLb0EES1T_IbLb1EEEEDaS1P_S1Q_EUlS1P_E_NS1_11comp_targetILNS1_3genE4ELNS1_11target_archE910ELNS1_3gpuE8ELNS1_3repE0EEENS1_30default_config_static_selectorELNS0_4arch9wavefront6targetE0EEEvS12_,comdat
.Lfunc_end1183:
	.size	_ZN7rocprim17ROCPRIM_400000_NS6detail17trampoline_kernelINS0_13select_configILj256ELj13ELNS0_17block_load_methodE3ELS4_3ELS4_3ELNS0_20block_scan_algorithmE0ELj4294967295EEENS1_25partition_config_selectorILNS1_17partition_subalgoE4EjNS0_10empty_typeEbEEZZNS1_14partition_implILS8_4ELb0ES6_15HIP_vector_typeIjLj2EENS0_17counting_iteratorIjlEEPS9_SG_NS0_5tupleIJPjSI_NS0_16reverse_iteratorISI_EEEEENSH_IJSG_SG_SG_EEES9_SI_JZNS1_25segmented_radix_sort_implINS0_14default_configELb0EPKdPdPKlPlN2at6native12_GLOBAL__N_18offset_tEEE10hipError_tPvRmT1_PNSt15iterator_traitsIS12_E10value_typeET2_T3_PNS13_IS18_E10value_typeET4_jRbjT5_S1E_jjP12ihipStream_tbEUljE_ZNSN_ISO_Lb0ESQ_SR_ST_SU_SY_EESZ_S10_S11_S12_S16_S17_S18_S1B_S1C_jS1D_jS1E_S1E_jjS1G_bEUljE0_EEESZ_S10_S11_S18_S1C_S1E_T6_T7_T9_mT8_S1G_bDpT10_ENKUlT_T0_E_clISt17integral_constantIbLb0EES1T_IbLb1EEEEDaS1P_S1Q_EUlS1P_E_NS1_11comp_targetILNS1_3genE4ELNS1_11target_archE910ELNS1_3gpuE8ELNS1_3repE0EEENS1_30default_config_static_selectorELNS0_4arch9wavefront6targetE0EEEvS12_, .Lfunc_end1183-_ZN7rocprim17ROCPRIM_400000_NS6detail17trampoline_kernelINS0_13select_configILj256ELj13ELNS0_17block_load_methodE3ELS4_3ELS4_3ELNS0_20block_scan_algorithmE0ELj4294967295EEENS1_25partition_config_selectorILNS1_17partition_subalgoE4EjNS0_10empty_typeEbEEZZNS1_14partition_implILS8_4ELb0ES6_15HIP_vector_typeIjLj2EENS0_17counting_iteratorIjlEEPS9_SG_NS0_5tupleIJPjSI_NS0_16reverse_iteratorISI_EEEEENSH_IJSG_SG_SG_EEES9_SI_JZNS1_25segmented_radix_sort_implINS0_14default_configELb0EPKdPdPKlPlN2at6native12_GLOBAL__N_18offset_tEEE10hipError_tPvRmT1_PNSt15iterator_traitsIS12_E10value_typeET2_T3_PNS13_IS18_E10value_typeET4_jRbjT5_S1E_jjP12ihipStream_tbEUljE_ZNSN_ISO_Lb0ESQ_SR_ST_SU_SY_EESZ_S10_S11_S12_S16_S17_S18_S1B_S1C_jS1D_jS1E_S1E_jjS1G_bEUljE0_EEESZ_S10_S11_S18_S1C_S1E_T6_T7_T9_mT8_S1G_bDpT10_ENKUlT_T0_E_clISt17integral_constantIbLb0EES1T_IbLb1EEEEDaS1P_S1Q_EUlS1P_E_NS1_11comp_targetILNS1_3genE4ELNS1_11target_archE910ELNS1_3gpuE8ELNS1_3repE0EEENS1_30default_config_static_selectorELNS0_4arch9wavefront6targetE0EEEvS12_
                                        ; -- End function
	.section	.AMDGPU.csdata,"",@progbits
; Kernel info:
; codeLenInByte = 0
; NumSgprs: 0
; NumVgprs: 0
; ScratchSize: 0
; MemoryBound: 0
; FloatMode: 240
; IeeeMode: 1
; LDSByteSize: 0 bytes/workgroup (compile time only)
; SGPRBlocks: 0
; VGPRBlocks: 0
; NumSGPRsForWavesPerEU: 1
; NumVGPRsForWavesPerEU: 1
; Occupancy: 16
; WaveLimiterHint : 0
; COMPUTE_PGM_RSRC2:SCRATCH_EN: 0
; COMPUTE_PGM_RSRC2:USER_SGPR: 15
; COMPUTE_PGM_RSRC2:TRAP_HANDLER: 0
; COMPUTE_PGM_RSRC2:TGID_X_EN: 1
; COMPUTE_PGM_RSRC2:TGID_Y_EN: 0
; COMPUTE_PGM_RSRC2:TGID_Z_EN: 0
; COMPUTE_PGM_RSRC2:TIDIG_COMP_CNT: 0
	.section	.text._ZN7rocprim17ROCPRIM_400000_NS6detail17trampoline_kernelINS0_13select_configILj256ELj13ELNS0_17block_load_methodE3ELS4_3ELS4_3ELNS0_20block_scan_algorithmE0ELj4294967295EEENS1_25partition_config_selectorILNS1_17partition_subalgoE4EjNS0_10empty_typeEbEEZZNS1_14partition_implILS8_4ELb0ES6_15HIP_vector_typeIjLj2EENS0_17counting_iteratorIjlEEPS9_SG_NS0_5tupleIJPjSI_NS0_16reverse_iteratorISI_EEEEENSH_IJSG_SG_SG_EEES9_SI_JZNS1_25segmented_radix_sort_implINS0_14default_configELb0EPKdPdPKlPlN2at6native12_GLOBAL__N_18offset_tEEE10hipError_tPvRmT1_PNSt15iterator_traitsIS12_E10value_typeET2_T3_PNS13_IS18_E10value_typeET4_jRbjT5_S1E_jjP12ihipStream_tbEUljE_ZNSN_ISO_Lb0ESQ_SR_ST_SU_SY_EESZ_S10_S11_S12_S16_S17_S18_S1B_S1C_jS1D_jS1E_S1E_jjS1G_bEUljE0_EEESZ_S10_S11_S18_S1C_S1E_T6_T7_T9_mT8_S1G_bDpT10_ENKUlT_T0_E_clISt17integral_constantIbLb0EES1T_IbLb1EEEEDaS1P_S1Q_EUlS1P_E_NS1_11comp_targetILNS1_3genE3ELNS1_11target_archE908ELNS1_3gpuE7ELNS1_3repE0EEENS1_30default_config_static_selectorELNS0_4arch9wavefront6targetE0EEEvS12_,"axG",@progbits,_ZN7rocprim17ROCPRIM_400000_NS6detail17trampoline_kernelINS0_13select_configILj256ELj13ELNS0_17block_load_methodE3ELS4_3ELS4_3ELNS0_20block_scan_algorithmE0ELj4294967295EEENS1_25partition_config_selectorILNS1_17partition_subalgoE4EjNS0_10empty_typeEbEEZZNS1_14partition_implILS8_4ELb0ES6_15HIP_vector_typeIjLj2EENS0_17counting_iteratorIjlEEPS9_SG_NS0_5tupleIJPjSI_NS0_16reverse_iteratorISI_EEEEENSH_IJSG_SG_SG_EEES9_SI_JZNS1_25segmented_radix_sort_implINS0_14default_configELb0EPKdPdPKlPlN2at6native12_GLOBAL__N_18offset_tEEE10hipError_tPvRmT1_PNSt15iterator_traitsIS12_E10value_typeET2_T3_PNS13_IS18_E10value_typeET4_jRbjT5_S1E_jjP12ihipStream_tbEUljE_ZNSN_ISO_Lb0ESQ_SR_ST_SU_SY_EESZ_S10_S11_S12_S16_S17_S18_S1B_S1C_jS1D_jS1E_S1E_jjS1G_bEUljE0_EEESZ_S10_S11_S18_S1C_S1E_T6_T7_T9_mT8_S1G_bDpT10_ENKUlT_T0_E_clISt17integral_constantIbLb0EES1T_IbLb1EEEEDaS1P_S1Q_EUlS1P_E_NS1_11comp_targetILNS1_3genE3ELNS1_11target_archE908ELNS1_3gpuE7ELNS1_3repE0EEENS1_30default_config_static_selectorELNS0_4arch9wavefront6targetE0EEEvS12_,comdat
	.globl	_ZN7rocprim17ROCPRIM_400000_NS6detail17trampoline_kernelINS0_13select_configILj256ELj13ELNS0_17block_load_methodE3ELS4_3ELS4_3ELNS0_20block_scan_algorithmE0ELj4294967295EEENS1_25partition_config_selectorILNS1_17partition_subalgoE4EjNS0_10empty_typeEbEEZZNS1_14partition_implILS8_4ELb0ES6_15HIP_vector_typeIjLj2EENS0_17counting_iteratorIjlEEPS9_SG_NS0_5tupleIJPjSI_NS0_16reverse_iteratorISI_EEEEENSH_IJSG_SG_SG_EEES9_SI_JZNS1_25segmented_radix_sort_implINS0_14default_configELb0EPKdPdPKlPlN2at6native12_GLOBAL__N_18offset_tEEE10hipError_tPvRmT1_PNSt15iterator_traitsIS12_E10value_typeET2_T3_PNS13_IS18_E10value_typeET4_jRbjT5_S1E_jjP12ihipStream_tbEUljE_ZNSN_ISO_Lb0ESQ_SR_ST_SU_SY_EESZ_S10_S11_S12_S16_S17_S18_S1B_S1C_jS1D_jS1E_S1E_jjS1G_bEUljE0_EEESZ_S10_S11_S18_S1C_S1E_T6_T7_T9_mT8_S1G_bDpT10_ENKUlT_T0_E_clISt17integral_constantIbLb0EES1T_IbLb1EEEEDaS1P_S1Q_EUlS1P_E_NS1_11comp_targetILNS1_3genE3ELNS1_11target_archE908ELNS1_3gpuE7ELNS1_3repE0EEENS1_30default_config_static_selectorELNS0_4arch9wavefront6targetE0EEEvS12_ ; -- Begin function _ZN7rocprim17ROCPRIM_400000_NS6detail17trampoline_kernelINS0_13select_configILj256ELj13ELNS0_17block_load_methodE3ELS4_3ELS4_3ELNS0_20block_scan_algorithmE0ELj4294967295EEENS1_25partition_config_selectorILNS1_17partition_subalgoE4EjNS0_10empty_typeEbEEZZNS1_14partition_implILS8_4ELb0ES6_15HIP_vector_typeIjLj2EENS0_17counting_iteratorIjlEEPS9_SG_NS0_5tupleIJPjSI_NS0_16reverse_iteratorISI_EEEEENSH_IJSG_SG_SG_EEES9_SI_JZNS1_25segmented_radix_sort_implINS0_14default_configELb0EPKdPdPKlPlN2at6native12_GLOBAL__N_18offset_tEEE10hipError_tPvRmT1_PNSt15iterator_traitsIS12_E10value_typeET2_T3_PNS13_IS18_E10value_typeET4_jRbjT5_S1E_jjP12ihipStream_tbEUljE_ZNSN_ISO_Lb0ESQ_SR_ST_SU_SY_EESZ_S10_S11_S12_S16_S17_S18_S1B_S1C_jS1D_jS1E_S1E_jjS1G_bEUljE0_EEESZ_S10_S11_S18_S1C_S1E_T6_T7_T9_mT8_S1G_bDpT10_ENKUlT_T0_E_clISt17integral_constantIbLb0EES1T_IbLb1EEEEDaS1P_S1Q_EUlS1P_E_NS1_11comp_targetILNS1_3genE3ELNS1_11target_archE908ELNS1_3gpuE7ELNS1_3repE0EEENS1_30default_config_static_selectorELNS0_4arch9wavefront6targetE0EEEvS12_
	.p2align	8
	.type	_ZN7rocprim17ROCPRIM_400000_NS6detail17trampoline_kernelINS0_13select_configILj256ELj13ELNS0_17block_load_methodE3ELS4_3ELS4_3ELNS0_20block_scan_algorithmE0ELj4294967295EEENS1_25partition_config_selectorILNS1_17partition_subalgoE4EjNS0_10empty_typeEbEEZZNS1_14partition_implILS8_4ELb0ES6_15HIP_vector_typeIjLj2EENS0_17counting_iteratorIjlEEPS9_SG_NS0_5tupleIJPjSI_NS0_16reverse_iteratorISI_EEEEENSH_IJSG_SG_SG_EEES9_SI_JZNS1_25segmented_radix_sort_implINS0_14default_configELb0EPKdPdPKlPlN2at6native12_GLOBAL__N_18offset_tEEE10hipError_tPvRmT1_PNSt15iterator_traitsIS12_E10value_typeET2_T3_PNS13_IS18_E10value_typeET4_jRbjT5_S1E_jjP12ihipStream_tbEUljE_ZNSN_ISO_Lb0ESQ_SR_ST_SU_SY_EESZ_S10_S11_S12_S16_S17_S18_S1B_S1C_jS1D_jS1E_S1E_jjS1G_bEUljE0_EEESZ_S10_S11_S18_S1C_S1E_T6_T7_T9_mT8_S1G_bDpT10_ENKUlT_T0_E_clISt17integral_constantIbLb0EES1T_IbLb1EEEEDaS1P_S1Q_EUlS1P_E_NS1_11comp_targetILNS1_3genE3ELNS1_11target_archE908ELNS1_3gpuE7ELNS1_3repE0EEENS1_30default_config_static_selectorELNS0_4arch9wavefront6targetE0EEEvS12_,@function
_ZN7rocprim17ROCPRIM_400000_NS6detail17trampoline_kernelINS0_13select_configILj256ELj13ELNS0_17block_load_methodE3ELS4_3ELS4_3ELNS0_20block_scan_algorithmE0ELj4294967295EEENS1_25partition_config_selectorILNS1_17partition_subalgoE4EjNS0_10empty_typeEbEEZZNS1_14partition_implILS8_4ELb0ES6_15HIP_vector_typeIjLj2EENS0_17counting_iteratorIjlEEPS9_SG_NS0_5tupleIJPjSI_NS0_16reverse_iteratorISI_EEEEENSH_IJSG_SG_SG_EEES9_SI_JZNS1_25segmented_radix_sort_implINS0_14default_configELb0EPKdPdPKlPlN2at6native12_GLOBAL__N_18offset_tEEE10hipError_tPvRmT1_PNSt15iterator_traitsIS12_E10value_typeET2_T3_PNS13_IS18_E10value_typeET4_jRbjT5_S1E_jjP12ihipStream_tbEUljE_ZNSN_ISO_Lb0ESQ_SR_ST_SU_SY_EESZ_S10_S11_S12_S16_S17_S18_S1B_S1C_jS1D_jS1E_S1E_jjS1G_bEUljE0_EEESZ_S10_S11_S18_S1C_S1E_T6_T7_T9_mT8_S1G_bDpT10_ENKUlT_T0_E_clISt17integral_constantIbLb0EES1T_IbLb1EEEEDaS1P_S1Q_EUlS1P_E_NS1_11comp_targetILNS1_3genE3ELNS1_11target_archE908ELNS1_3gpuE7ELNS1_3repE0EEENS1_30default_config_static_selectorELNS0_4arch9wavefront6targetE0EEEvS12_: ; @_ZN7rocprim17ROCPRIM_400000_NS6detail17trampoline_kernelINS0_13select_configILj256ELj13ELNS0_17block_load_methodE3ELS4_3ELS4_3ELNS0_20block_scan_algorithmE0ELj4294967295EEENS1_25partition_config_selectorILNS1_17partition_subalgoE4EjNS0_10empty_typeEbEEZZNS1_14partition_implILS8_4ELb0ES6_15HIP_vector_typeIjLj2EENS0_17counting_iteratorIjlEEPS9_SG_NS0_5tupleIJPjSI_NS0_16reverse_iteratorISI_EEEEENSH_IJSG_SG_SG_EEES9_SI_JZNS1_25segmented_radix_sort_implINS0_14default_configELb0EPKdPdPKlPlN2at6native12_GLOBAL__N_18offset_tEEE10hipError_tPvRmT1_PNSt15iterator_traitsIS12_E10value_typeET2_T3_PNS13_IS18_E10value_typeET4_jRbjT5_S1E_jjP12ihipStream_tbEUljE_ZNSN_ISO_Lb0ESQ_SR_ST_SU_SY_EESZ_S10_S11_S12_S16_S17_S18_S1B_S1C_jS1D_jS1E_S1E_jjS1G_bEUljE0_EEESZ_S10_S11_S18_S1C_S1E_T6_T7_T9_mT8_S1G_bDpT10_ENKUlT_T0_E_clISt17integral_constantIbLb0EES1T_IbLb1EEEEDaS1P_S1Q_EUlS1P_E_NS1_11comp_targetILNS1_3genE3ELNS1_11target_archE908ELNS1_3gpuE7ELNS1_3repE0EEENS1_30default_config_static_selectorELNS0_4arch9wavefront6targetE0EEEvS12_
; %bb.0:
	.section	.rodata,"a",@progbits
	.p2align	6, 0x0
	.amdhsa_kernel _ZN7rocprim17ROCPRIM_400000_NS6detail17trampoline_kernelINS0_13select_configILj256ELj13ELNS0_17block_load_methodE3ELS4_3ELS4_3ELNS0_20block_scan_algorithmE0ELj4294967295EEENS1_25partition_config_selectorILNS1_17partition_subalgoE4EjNS0_10empty_typeEbEEZZNS1_14partition_implILS8_4ELb0ES6_15HIP_vector_typeIjLj2EENS0_17counting_iteratorIjlEEPS9_SG_NS0_5tupleIJPjSI_NS0_16reverse_iteratorISI_EEEEENSH_IJSG_SG_SG_EEES9_SI_JZNS1_25segmented_radix_sort_implINS0_14default_configELb0EPKdPdPKlPlN2at6native12_GLOBAL__N_18offset_tEEE10hipError_tPvRmT1_PNSt15iterator_traitsIS12_E10value_typeET2_T3_PNS13_IS18_E10value_typeET4_jRbjT5_S1E_jjP12ihipStream_tbEUljE_ZNSN_ISO_Lb0ESQ_SR_ST_SU_SY_EESZ_S10_S11_S12_S16_S17_S18_S1B_S1C_jS1D_jS1E_S1E_jjS1G_bEUljE0_EEESZ_S10_S11_S18_S1C_S1E_T6_T7_T9_mT8_S1G_bDpT10_ENKUlT_T0_E_clISt17integral_constantIbLb0EES1T_IbLb1EEEEDaS1P_S1Q_EUlS1P_E_NS1_11comp_targetILNS1_3genE3ELNS1_11target_archE908ELNS1_3gpuE7ELNS1_3repE0EEENS1_30default_config_static_selectorELNS0_4arch9wavefront6targetE0EEEvS12_
		.amdhsa_group_segment_fixed_size 0
		.amdhsa_private_segment_fixed_size 0
		.amdhsa_kernarg_size 184
		.amdhsa_user_sgpr_count 15
		.amdhsa_user_sgpr_dispatch_ptr 0
		.amdhsa_user_sgpr_queue_ptr 0
		.amdhsa_user_sgpr_kernarg_segment_ptr 1
		.amdhsa_user_sgpr_dispatch_id 0
		.amdhsa_user_sgpr_private_segment_size 0
		.amdhsa_wavefront_size32 1
		.amdhsa_uses_dynamic_stack 0
		.amdhsa_enable_private_segment 0
		.amdhsa_system_sgpr_workgroup_id_x 1
		.amdhsa_system_sgpr_workgroup_id_y 0
		.amdhsa_system_sgpr_workgroup_id_z 0
		.amdhsa_system_sgpr_workgroup_info 0
		.amdhsa_system_vgpr_workitem_id 0
		.amdhsa_next_free_vgpr 1
		.amdhsa_next_free_sgpr 1
		.amdhsa_reserve_vcc 0
		.amdhsa_float_round_mode_32 0
		.amdhsa_float_round_mode_16_64 0
		.amdhsa_float_denorm_mode_32 3
		.amdhsa_float_denorm_mode_16_64 3
		.amdhsa_dx10_clamp 1
		.amdhsa_ieee_mode 1
		.amdhsa_fp16_overflow 0
		.amdhsa_workgroup_processor_mode 1
		.amdhsa_memory_ordered 1
		.amdhsa_forward_progress 0
		.amdhsa_shared_vgpr_count 0
		.amdhsa_exception_fp_ieee_invalid_op 0
		.amdhsa_exception_fp_denorm_src 0
		.amdhsa_exception_fp_ieee_div_zero 0
		.amdhsa_exception_fp_ieee_overflow 0
		.amdhsa_exception_fp_ieee_underflow 0
		.amdhsa_exception_fp_ieee_inexact 0
		.amdhsa_exception_int_div_zero 0
	.end_amdhsa_kernel
	.section	.text._ZN7rocprim17ROCPRIM_400000_NS6detail17trampoline_kernelINS0_13select_configILj256ELj13ELNS0_17block_load_methodE3ELS4_3ELS4_3ELNS0_20block_scan_algorithmE0ELj4294967295EEENS1_25partition_config_selectorILNS1_17partition_subalgoE4EjNS0_10empty_typeEbEEZZNS1_14partition_implILS8_4ELb0ES6_15HIP_vector_typeIjLj2EENS0_17counting_iteratorIjlEEPS9_SG_NS0_5tupleIJPjSI_NS0_16reverse_iteratorISI_EEEEENSH_IJSG_SG_SG_EEES9_SI_JZNS1_25segmented_radix_sort_implINS0_14default_configELb0EPKdPdPKlPlN2at6native12_GLOBAL__N_18offset_tEEE10hipError_tPvRmT1_PNSt15iterator_traitsIS12_E10value_typeET2_T3_PNS13_IS18_E10value_typeET4_jRbjT5_S1E_jjP12ihipStream_tbEUljE_ZNSN_ISO_Lb0ESQ_SR_ST_SU_SY_EESZ_S10_S11_S12_S16_S17_S18_S1B_S1C_jS1D_jS1E_S1E_jjS1G_bEUljE0_EEESZ_S10_S11_S18_S1C_S1E_T6_T7_T9_mT8_S1G_bDpT10_ENKUlT_T0_E_clISt17integral_constantIbLb0EES1T_IbLb1EEEEDaS1P_S1Q_EUlS1P_E_NS1_11comp_targetILNS1_3genE3ELNS1_11target_archE908ELNS1_3gpuE7ELNS1_3repE0EEENS1_30default_config_static_selectorELNS0_4arch9wavefront6targetE0EEEvS12_,"axG",@progbits,_ZN7rocprim17ROCPRIM_400000_NS6detail17trampoline_kernelINS0_13select_configILj256ELj13ELNS0_17block_load_methodE3ELS4_3ELS4_3ELNS0_20block_scan_algorithmE0ELj4294967295EEENS1_25partition_config_selectorILNS1_17partition_subalgoE4EjNS0_10empty_typeEbEEZZNS1_14partition_implILS8_4ELb0ES6_15HIP_vector_typeIjLj2EENS0_17counting_iteratorIjlEEPS9_SG_NS0_5tupleIJPjSI_NS0_16reverse_iteratorISI_EEEEENSH_IJSG_SG_SG_EEES9_SI_JZNS1_25segmented_radix_sort_implINS0_14default_configELb0EPKdPdPKlPlN2at6native12_GLOBAL__N_18offset_tEEE10hipError_tPvRmT1_PNSt15iterator_traitsIS12_E10value_typeET2_T3_PNS13_IS18_E10value_typeET4_jRbjT5_S1E_jjP12ihipStream_tbEUljE_ZNSN_ISO_Lb0ESQ_SR_ST_SU_SY_EESZ_S10_S11_S12_S16_S17_S18_S1B_S1C_jS1D_jS1E_S1E_jjS1G_bEUljE0_EEESZ_S10_S11_S18_S1C_S1E_T6_T7_T9_mT8_S1G_bDpT10_ENKUlT_T0_E_clISt17integral_constantIbLb0EES1T_IbLb1EEEEDaS1P_S1Q_EUlS1P_E_NS1_11comp_targetILNS1_3genE3ELNS1_11target_archE908ELNS1_3gpuE7ELNS1_3repE0EEENS1_30default_config_static_selectorELNS0_4arch9wavefront6targetE0EEEvS12_,comdat
.Lfunc_end1184:
	.size	_ZN7rocprim17ROCPRIM_400000_NS6detail17trampoline_kernelINS0_13select_configILj256ELj13ELNS0_17block_load_methodE3ELS4_3ELS4_3ELNS0_20block_scan_algorithmE0ELj4294967295EEENS1_25partition_config_selectorILNS1_17partition_subalgoE4EjNS0_10empty_typeEbEEZZNS1_14partition_implILS8_4ELb0ES6_15HIP_vector_typeIjLj2EENS0_17counting_iteratorIjlEEPS9_SG_NS0_5tupleIJPjSI_NS0_16reverse_iteratorISI_EEEEENSH_IJSG_SG_SG_EEES9_SI_JZNS1_25segmented_radix_sort_implINS0_14default_configELb0EPKdPdPKlPlN2at6native12_GLOBAL__N_18offset_tEEE10hipError_tPvRmT1_PNSt15iterator_traitsIS12_E10value_typeET2_T3_PNS13_IS18_E10value_typeET4_jRbjT5_S1E_jjP12ihipStream_tbEUljE_ZNSN_ISO_Lb0ESQ_SR_ST_SU_SY_EESZ_S10_S11_S12_S16_S17_S18_S1B_S1C_jS1D_jS1E_S1E_jjS1G_bEUljE0_EEESZ_S10_S11_S18_S1C_S1E_T6_T7_T9_mT8_S1G_bDpT10_ENKUlT_T0_E_clISt17integral_constantIbLb0EES1T_IbLb1EEEEDaS1P_S1Q_EUlS1P_E_NS1_11comp_targetILNS1_3genE3ELNS1_11target_archE908ELNS1_3gpuE7ELNS1_3repE0EEENS1_30default_config_static_selectorELNS0_4arch9wavefront6targetE0EEEvS12_, .Lfunc_end1184-_ZN7rocprim17ROCPRIM_400000_NS6detail17trampoline_kernelINS0_13select_configILj256ELj13ELNS0_17block_load_methodE3ELS4_3ELS4_3ELNS0_20block_scan_algorithmE0ELj4294967295EEENS1_25partition_config_selectorILNS1_17partition_subalgoE4EjNS0_10empty_typeEbEEZZNS1_14partition_implILS8_4ELb0ES6_15HIP_vector_typeIjLj2EENS0_17counting_iteratorIjlEEPS9_SG_NS0_5tupleIJPjSI_NS0_16reverse_iteratorISI_EEEEENSH_IJSG_SG_SG_EEES9_SI_JZNS1_25segmented_radix_sort_implINS0_14default_configELb0EPKdPdPKlPlN2at6native12_GLOBAL__N_18offset_tEEE10hipError_tPvRmT1_PNSt15iterator_traitsIS12_E10value_typeET2_T3_PNS13_IS18_E10value_typeET4_jRbjT5_S1E_jjP12ihipStream_tbEUljE_ZNSN_ISO_Lb0ESQ_SR_ST_SU_SY_EESZ_S10_S11_S12_S16_S17_S18_S1B_S1C_jS1D_jS1E_S1E_jjS1G_bEUljE0_EEESZ_S10_S11_S18_S1C_S1E_T6_T7_T9_mT8_S1G_bDpT10_ENKUlT_T0_E_clISt17integral_constantIbLb0EES1T_IbLb1EEEEDaS1P_S1Q_EUlS1P_E_NS1_11comp_targetILNS1_3genE3ELNS1_11target_archE908ELNS1_3gpuE7ELNS1_3repE0EEENS1_30default_config_static_selectorELNS0_4arch9wavefront6targetE0EEEvS12_
                                        ; -- End function
	.section	.AMDGPU.csdata,"",@progbits
; Kernel info:
; codeLenInByte = 0
; NumSgprs: 0
; NumVgprs: 0
; ScratchSize: 0
; MemoryBound: 0
; FloatMode: 240
; IeeeMode: 1
; LDSByteSize: 0 bytes/workgroup (compile time only)
; SGPRBlocks: 0
; VGPRBlocks: 0
; NumSGPRsForWavesPerEU: 1
; NumVGPRsForWavesPerEU: 1
; Occupancy: 16
; WaveLimiterHint : 0
; COMPUTE_PGM_RSRC2:SCRATCH_EN: 0
; COMPUTE_PGM_RSRC2:USER_SGPR: 15
; COMPUTE_PGM_RSRC2:TRAP_HANDLER: 0
; COMPUTE_PGM_RSRC2:TGID_X_EN: 1
; COMPUTE_PGM_RSRC2:TGID_Y_EN: 0
; COMPUTE_PGM_RSRC2:TGID_Z_EN: 0
; COMPUTE_PGM_RSRC2:TIDIG_COMP_CNT: 0
	.section	.text._ZN7rocprim17ROCPRIM_400000_NS6detail17trampoline_kernelINS0_13select_configILj256ELj13ELNS0_17block_load_methodE3ELS4_3ELS4_3ELNS0_20block_scan_algorithmE0ELj4294967295EEENS1_25partition_config_selectorILNS1_17partition_subalgoE4EjNS0_10empty_typeEbEEZZNS1_14partition_implILS8_4ELb0ES6_15HIP_vector_typeIjLj2EENS0_17counting_iteratorIjlEEPS9_SG_NS0_5tupleIJPjSI_NS0_16reverse_iteratorISI_EEEEENSH_IJSG_SG_SG_EEES9_SI_JZNS1_25segmented_radix_sort_implINS0_14default_configELb0EPKdPdPKlPlN2at6native12_GLOBAL__N_18offset_tEEE10hipError_tPvRmT1_PNSt15iterator_traitsIS12_E10value_typeET2_T3_PNS13_IS18_E10value_typeET4_jRbjT5_S1E_jjP12ihipStream_tbEUljE_ZNSN_ISO_Lb0ESQ_SR_ST_SU_SY_EESZ_S10_S11_S12_S16_S17_S18_S1B_S1C_jS1D_jS1E_S1E_jjS1G_bEUljE0_EEESZ_S10_S11_S18_S1C_S1E_T6_T7_T9_mT8_S1G_bDpT10_ENKUlT_T0_E_clISt17integral_constantIbLb0EES1T_IbLb1EEEEDaS1P_S1Q_EUlS1P_E_NS1_11comp_targetILNS1_3genE2ELNS1_11target_archE906ELNS1_3gpuE6ELNS1_3repE0EEENS1_30default_config_static_selectorELNS0_4arch9wavefront6targetE0EEEvS12_,"axG",@progbits,_ZN7rocprim17ROCPRIM_400000_NS6detail17trampoline_kernelINS0_13select_configILj256ELj13ELNS0_17block_load_methodE3ELS4_3ELS4_3ELNS0_20block_scan_algorithmE0ELj4294967295EEENS1_25partition_config_selectorILNS1_17partition_subalgoE4EjNS0_10empty_typeEbEEZZNS1_14partition_implILS8_4ELb0ES6_15HIP_vector_typeIjLj2EENS0_17counting_iteratorIjlEEPS9_SG_NS0_5tupleIJPjSI_NS0_16reverse_iteratorISI_EEEEENSH_IJSG_SG_SG_EEES9_SI_JZNS1_25segmented_radix_sort_implINS0_14default_configELb0EPKdPdPKlPlN2at6native12_GLOBAL__N_18offset_tEEE10hipError_tPvRmT1_PNSt15iterator_traitsIS12_E10value_typeET2_T3_PNS13_IS18_E10value_typeET4_jRbjT5_S1E_jjP12ihipStream_tbEUljE_ZNSN_ISO_Lb0ESQ_SR_ST_SU_SY_EESZ_S10_S11_S12_S16_S17_S18_S1B_S1C_jS1D_jS1E_S1E_jjS1G_bEUljE0_EEESZ_S10_S11_S18_S1C_S1E_T6_T7_T9_mT8_S1G_bDpT10_ENKUlT_T0_E_clISt17integral_constantIbLb0EES1T_IbLb1EEEEDaS1P_S1Q_EUlS1P_E_NS1_11comp_targetILNS1_3genE2ELNS1_11target_archE906ELNS1_3gpuE6ELNS1_3repE0EEENS1_30default_config_static_selectorELNS0_4arch9wavefront6targetE0EEEvS12_,comdat
	.globl	_ZN7rocprim17ROCPRIM_400000_NS6detail17trampoline_kernelINS0_13select_configILj256ELj13ELNS0_17block_load_methodE3ELS4_3ELS4_3ELNS0_20block_scan_algorithmE0ELj4294967295EEENS1_25partition_config_selectorILNS1_17partition_subalgoE4EjNS0_10empty_typeEbEEZZNS1_14partition_implILS8_4ELb0ES6_15HIP_vector_typeIjLj2EENS0_17counting_iteratorIjlEEPS9_SG_NS0_5tupleIJPjSI_NS0_16reverse_iteratorISI_EEEEENSH_IJSG_SG_SG_EEES9_SI_JZNS1_25segmented_radix_sort_implINS0_14default_configELb0EPKdPdPKlPlN2at6native12_GLOBAL__N_18offset_tEEE10hipError_tPvRmT1_PNSt15iterator_traitsIS12_E10value_typeET2_T3_PNS13_IS18_E10value_typeET4_jRbjT5_S1E_jjP12ihipStream_tbEUljE_ZNSN_ISO_Lb0ESQ_SR_ST_SU_SY_EESZ_S10_S11_S12_S16_S17_S18_S1B_S1C_jS1D_jS1E_S1E_jjS1G_bEUljE0_EEESZ_S10_S11_S18_S1C_S1E_T6_T7_T9_mT8_S1G_bDpT10_ENKUlT_T0_E_clISt17integral_constantIbLb0EES1T_IbLb1EEEEDaS1P_S1Q_EUlS1P_E_NS1_11comp_targetILNS1_3genE2ELNS1_11target_archE906ELNS1_3gpuE6ELNS1_3repE0EEENS1_30default_config_static_selectorELNS0_4arch9wavefront6targetE0EEEvS12_ ; -- Begin function _ZN7rocprim17ROCPRIM_400000_NS6detail17trampoline_kernelINS0_13select_configILj256ELj13ELNS0_17block_load_methodE3ELS4_3ELS4_3ELNS0_20block_scan_algorithmE0ELj4294967295EEENS1_25partition_config_selectorILNS1_17partition_subalgoE4EjNS0_10empty_typeEbEEZZNS1_14partition_implILS8_4ELb0ES6_15HIP_vector_typeIjLj2EENS0_17counting_iteratorIjlEEPS9_SG_NS0_5tupleIJPjSI_NS0_16reverse_iteratorISI_EEEEENSH_IJSG_SG_SG_EEES9_SI_JZNS1_25segmented_radix_sort_implINS0_14default_configELb0EPKdPdPKlPlN2at6native12_GLOBAL__N_18offset_tEEE10hipError_tPvRmT1_PNSt15iterator_traitsIS12_E10value_typeET2_T3_PNS13_IS18_E10value_typeET4_jRbjT5_S1E_jjP12ihipStream_tbEUljE_ZNSN_ISO_Lb0ESQ_SR_ST_SU_SY_EESZ_S10_S11_S12_S16_S17_S18_S1B_S1C_jS1D_jS1E_S1E_jjS1G_bEUljE0_EEESZ_S10_S11_S18_S1C_S1E_T6_T7_T9_mT8_S1G_bDpT10_ENKUlT_T0_E_clISt17integral_constantIbLb0EES1T_IbLb1EEEEDaS1P_S1Q_EUlS1P_E_NS1_11comp_targetILNS1_3genE2ELNS1_11target_archE906ELNS1_3gpuE6ELNS1_3repE0EEENS1_30default_config_static_selectorELNS0_4arch9wavefront6targetE0EEEvS12_
	.p2align	8
	.type	_ZN7rocprim17ROCPRIM_400000_NS6detail17trampoline_kernelINS0_13select_configILj256ELj13ELNS0_17block_load_methodE3ELS4_3ELS4_3ELNS0_20block_scan_algorithmE0ELj4294967295EEENS1_25partition_config_selectorILNS1_17partition_subalgoE4EjNS0_10empty_typeEbEEZZNS1_14partition_implILS8_4ELb0ES6_15HIP_vector_typeIjLj2EENS0_17counting_iteratorIjlEEPS9_SG_NS0_5tupleIJPjSI_NS0_16reverse_iteratorISI_EEEEENSH_IJSG_SG_SG_EEES9_SI_JZNS1_25segmented_radix_sort_implINS0_14default_configELb0EPKdPdPKlPlN2at6native12_GLOBAL__N_18offset_tEEE10hipError_tPvRmT1_PNSt15iterator_traitsIS12_E10value_typeET2_T3_PNS13_IS18_E10value_typeET4_jRbjT5_S1E_jjP12ihipStream_tbEUljE_ZNSN_ISO_Lb0ESQ_SR_ST_SU_SY_EESZ_S10_S11_S12_S16_S17_S18_S1B_S1C_jS1D_jS1E_S1E_jjS1G_bEUljE0_EEESZ_S10_S11_S18_S1C_S1E_T6_T7_T9_mT8_S1G_bDpT10_ENKUlT_T0_E_clISt17integral_constantIbLb0EES1T_IbLb1EEEEDaS1P_S1Q_EUlS1P_E_NS1_11comp_targetILNS1_3genE2ELNS1_11target_archE906ELNS1_3gpuE6ELNS1_3repE0EEENS1_30default_config_static_selectorELNS0_4arch9wavefront6targetE0EEEvS12_,@function
_ZN7rocprim17ROCPRIM_400000_NS6detail17trampoline_kernelINS0_13select_configILj256ELj13ELNS0_17block_load_methodE3ELS4_3ELS4_3ELNS0_20block_scan_algorithmE0ELj4294967295EEENS1_25partition_config_selectorILNS1_17partition_subalgoE4EjNS0_10empty_typeEbEEZZNS1_14partition_implILS8_4ELb0ES6_15HIP_vector_typeIjLj2EENS0_17counting_iteratorIjlEEPS9_SG_NS0_5tupleIJPjSI_NS0_16reverse_iteratorISI_EEEEENSH_IJSG_SG_SG_EEES9_SI_JZNS1_25segmented_radix_sort_implINS0_14default_configELb0EPKdPdPKlPlN2at6native12_GLOBAL__N_18offset_tEEE10hipError_tPvRmT1_PNSt15iterator_traitsIS12_E10value_typeET2_T3_PNS13_IS18_E10value_typeET4_jRbjT5_S1E_jjP12ihipStream_tbEUljE_ZNSN_ISO_Lb0ESQ_SR_ST_SU_SY_EESZ_S10_S11_S12_S16_S17_S18_S1B_S1C_jS1D_jS1E_S1E_jjS1G_bEUljE0_EEESZ_S10_S11_S18_S1C_S1E_T6_T7_T9_mT8_S1G_bDpT10_ENKUlT_T0_E_clISt17integral_constantIbLb0EES1T_IbLb1EEEEDaS1P_S1Q_EUlS1P_E_NS1_11comp_targetILNS1_3genE2ELNS1_11target_archE906ELNS1_3gpuE6ELNS1_3repE0EEENS1_30default_config_static_selectorELNS0_4arch9wavefront6targetE0EEEvS12_: ; @_ZN7rocprim17ROCPRIM_400000_NS6detail17trampoline_kernelINS0_13select_configILj256ELj13ELNS0_17block_load_methodE3ELS4_3ELS4_3ELNS0_20block_scan_algorithmE0ELj4294967295EEENS1_25partition_config_selectorILNS1_17partition_subalgoE4EjNS0_10empty_typeEbEEZZNS1_14partition_implILS8_4ELb0ES6_15HIP_vector_typeIjLj2EENS0_17counting_iteratorIjlEEPS9_SG_NS0_5tupleIJPjSI_NS0_16reverse_iteratorISI_EEEEENSH_IJSG_SG_SG_EEES9_SI_JZNS1_25segmented_radix_sort_implINS0_14default_configELb0EPKdPdPKlPlN2at6native12_GLOBAL__N_18offset_tEEE10hipError_tPvRmT1_PNSt15iterator_traitsIS12_E10value_typeET2_T3_PNS13_IS18_E10value_typeET4_jRbjT5_S1E_jjP12ihipStream_tbEUljE_ZNSN_ISO_Lb0ESQ_SR_ST_SU_SY_EESZ_S10_S11_S12_S16_S17_S18_S1B_S1C_jS1D_jS1E_S1E_jjS1G_bEUljE0_EEESZ_S10_S11_S18_S1C_S1E_T6_T7_T9_mT8_S1G_bDpT10_ENKUlT_T0_E_clISt17integral_constantIbLb0EES1T_IbLb1EEEEDaS1P_S1Q_EUlS1P_E_NS1_11comp_targetILNS1_3genE2ELNS1_11target_archE906ELNS1_3gpuE6ELNS1_3repE0EEENS1_30default_config_static_selectorELNS0_4arch9wavefront6targetE0EEEvS12_
; %bb.0:
	.section	.rodata,"a",@progbits
	.p2align	6, 0x0
	.amdhsa_kernel _ZN7rocprim17ROCPRIM_400000_NS6detail17trampoline_kernelINS0_13select_configILj256ELj13ELNS0_17block_load_methodE3ELS4_3ELS4_3ELNS0_20block_scan_algorithmE0ELj4294967295EEENS1_25partition_config_selectorILNS1_17partition_subalgoE4EjNS0_10empty_typeEbEEZZNS1_14partition_implILS8_4ELb0ES6_15HIP_vector_typeIjLj2EENS0_17counting_iteratorIjlEEPS9_SG_NS0_5tupleIJPjSI_NS0_16reverse_iteratorISI_EEEEENSH_IJSG_SG_SG_EEES9_SI_JZNS1_25segmented_radix_sort_implINS0_14default_configELb0EPKdPdPKlPlN2at6native12_GLOBAL__N_18offset_tEEE10hipError_tPvRmT1_PNSt15iterator_traitsIS12_E10value_typeET2_T3_PNS13_IS18_E10value_typeET4_jRbjT5_S1E_jjP12ihipStream_tbEUljE_ZNSN_ISO_Lb0ESQ_SR_ST_SU_SY_EESZ_S10_S11_S12_S16_S17_S18_S1B_S1C_jS1D_jS1E_S1E_jjS1G_bEUljE0_EEESZ_S10_S11_S18_S1C_S1E_T6_T7_T9_mT8_S1G_bDpT10_ENKUlT_T0_E_clISt17integral_constantIbLb0EES1T_IbLb1EEEEDaS1P_S1Q_EUlS1P_E_NS1_11comp_targetILNS1_3genE2ELNS1_11target_archE906ELNS1_3gpuE6ELNS1_3repE0EEENS1_30default_config_static_selectorELNS0_4arch9wavefront6targetE0EEEvS12_
		.amdhsa_group_segment_fixed_size 0
		.amdhsa_private_segment_fixed_size 0
		.amdhsa_kernarg_size 184
		.amdhsa_user_sgpr_count 15
		.amdhsa_user_sgpr_dispatch_ptr 0
		.amdhsa_user_sgpr_queue_ptr 0
		.amdhsa_user_sgpr_kernarg_segment_ptr 1
		.amdhsa_user_sgpr_dispatch_id 0
		.amdhsa_user_sgpr_private_segment_size 0
		.amdhsa_wavefront_size32 1
		.amdhsa_uses_dynamic_stack 0
		.amdhsa_enable_private_segment 0
		.amdhsa_system_sgpr_workgroup_id_x 1
		.amdhsa_system_sgpr_workgroup_id_y 0
		.amdhsa_system_sgpr_workgroup_id_z 0
		.amdhsa_system_sgpr_workgroup_info 0
		.amdhsa_system_vgpr_workitem_id 0
		.amdhsa_next_free_vgpr 1
		.amdhsa_next_free_sgpr 1
		.amdhsa_reserve_vcc 0
		.amdhsa_float_round_mode_32 0
		.amdhsa_float_round_mode_16_64 0
		.amdhsa_float_denorm_mode_32 3
		.amdhsa_float_denorm_mode_16_64 3
		.amdhsa_dx10_clamp 1
		.amdhsa_ieee_mode 1
		.amdhsa_fp16_overflow 0
		.amdhsa_workgroup_processor_mode 1
		.amdhsa_memory_ordered 1
		.amdhsa_forward_progress 0
		.amdhsa_shared_vgpr_count 0
		.amdhsa_exception_fp_ieee_invalid_op 0
		.amdhsa_exception_fp_denorm_src 0
		.amdhsa_exception_fp_ieee_div_zero 0
		.amdhsa_exception_fp_ieee_overflow 0
		.amdhsa_exception_fp_ieee_underflow 0
		.amdhsa_exception_fp_ieee_inexact 0
		.amdhsa_exception_int_div_zero 0
	.end_amdhsa_kernel
	.section	.text._ZN7rocprim17ROCPRIM_400000_NS6detail17trampoline_kernelINS0_13select_configILj256ELj13ELNS0_17block_load_methodE3ELS4_3ELS4_3ELNS0_20block_scan_algorithmE0ELj4294967295EEENS1_25partition_config_selectorILNS1_17partition_subalgoE4EjNS0_10empty_typeEbEEZZNS1_14partition_implILS8_4ELb0ES6_15HIP_vector_typeIjLj2EENS0_17counting_iteratorIjlEEPS9_SG_NS0_5tupleIJPjSI_NS0_16reverse_iteratorISI_EEEEENSH_IJSG_SG_SG_EEES9_SI_JZNS1_25segmented_radix_sort_implINS0_14default_configELb0EPKdPdPKlPlN2at6native12_GLOBAL__N_18offset_tEEE10hipError_tPvRmT1_PNSt15iterator_traitsIS12_E10value_typeET2_T3_PNS13_IS18_E10value_typeET4_jRbjT5_S1E_jjP12ihipStream_tbEUljE_ZNSN_ISO_Lb0ESQ_SR_ST_SU_SY_EESZ_S10_S11_S12_S16_S17_S18_S1B_S1C_jS1D_jS1E_S1E_jjS1G_bEUljE0_EEESZ_S10_S11_S18_S1C_S1E_T6_T7_T9_mT8_S1G_bDpT10_ENKUlT_T0_E_clISt17integral_constantIbLb0EES1T_IbLb1EEEEDaS1P_S1Q_EUlS1P_E_NS1_11comp_targetILNS1_3genE2ELNS1_11target_archE906ELNS1_3gpuE6ELNS1_3repE0EEENS1_30default_config_static_selectorELNS0_4arch9wavefront6targetE0EEEvS12_,"axG",@progbits,_ZN7rocprim17ROCPRIM_400000_NS6detail17trampoline_kernelINS0_13select_configILj256ELj13ELNS0_17block_load_methodE3ELS4_3ELS4_3ELNS0_20block_scan_algorithmE0ELj4294967295EEENS1_25partition_config_selectorILNS1_17partition_subalgoE4EjNS0_10empty_typeEbEEZZNS1_14partition_implILS8_4ELb0ES6_15HIP_vector_typeIjLj2EENS0_17counting_iteratorIjlEEPS9_SG_NS0_5tupleIJPjSI_NS0_16reverse_iteratorISI_EEEEENSH_IJSG_SG_SG_EEES9_SI_JZNS1_25segmented_radix_sort_implINS0_14default_configELb0EPKdPdPKlPlN2at6native12_GLOBAL__N_18offset_tEEE10hipError_tPvRmT1_PNSt15iterator_traitsIS12_E10value_typeET2_T3_PNS13_IS18_E10value_typeET4_jRbjT5_S1E_jjP12ihipStream_tbEUljE_ZNSN_ISO_Lb0ESQ_SR_ST_SU_SY_EESZ_S10_S11_S12_S16_S17_S18_S1B_S1C_jS1D_jS1E_S1E_jjS1G_bEUljE0_EEESZ_S10_S11_S18_S1C_S1E_T6_T7_T9_mT8_S1G_bDpT10_ENKUlT_T0_E_clISt17integral_constantIbLb0EES1T_IbLb1EEEEDaS1P_S1Q_EUlS1P_E_NS1_11comp_targetILNS1_3genE2ELNS1_11target_archE906ELNS1_3gpuE6ELNS1_3repE0EEENS1_30default_config_static_selectorELNS0_4arch9wavefront6targetE0EEEvS12_,comdat
.Lfunc_end1185:
	.size	_ZN7rocprim17ROCPRIM_400000_NS6detail17trampoline_kernelINS0_13select_configILj256ELj13ELNS0_17block_load_methodE3ELS4_3ELS4_3ELNS0_20block_scan_algorithmE0ELj4294967295EEENS1_25partition_config_selectorILNS1_17partition_subalgoE4EjNS0_10empty_typeEbEEZZNS1_14partition_implILS8_4ELb0ES6_15HIP_vector_typeIjLj2EENS0_17counting_iteratorIjlEEPS9_SG_NS0_5tupleIJPjSI_NS0_16reverse_iteratorISI_EEEEENSH_IJSG_SG_SG_EEES9_SI_JZNS1_25segmented_radix_sort_implINS0_14default_configELb0EPKdPdPKlPlN2at6native12_GLOBAL__N_18offset_tEEE10hipError_tPvRmT1_PNSt15iterator_traitsIS12_E10value_typeET2_T3_PNS13_IS18_E10value_typeET4_jRbjT5_S1E_jjP12ihipStream_tbEUljE_ZNSN_ISO_Lb0ESQ_SR_ST_SU_SY_EESZ_S10_S11_S12_S16_S17_S18_S1B_S1C_jS1D_jS1E_S1E_jjS1G_bEUljE0_EEESZ_S10_S11_S18_S1C_S1E_T6_T7_T9_mT8_S1G_bDpT10_ENKUlT_T0_E_clISt17integral_constantIbLb0EES1T_IbLb1EEEEDaS1P_S1Q_EUlS1P_E_NS1_11comp_targetILNS1_3genE2ELNS1_11target_archE906ELNS1_3gpuE6ELNS1_3repE0EEENS1_30default_config_static_selectorELNS0_4arch9wavefront6targetE0EEEvS12_, .Lfunc_end1185-_ZN7rocprim17ROCPRIM_400000_NS6detail17trampoline_kernelINS0_13select_configILj256ELj13ELNS0_17block_load_methodE3ELS4_3ELS4_3ELNS0_20block_scan_algorithmE0ELj4294967295EEENS1_25partition_config_selectorILNS1_17partition_subalgoE4EjNS0_10empty_typeEbEEZZNS1_14partition_implILS8_4ELb0ES6_15HIP_vector_typeIjLj2EENS0_17counting_iteratorIjlEEPS9_SG_NS0_5tupleIJPjSI_NS0_16reverse_iteratorISI_EEEEENSH_IJSG_SG_SG_EEES9_SI_JZNS1_25segmented_radix_sort_implINS0_14default_configELb0EPKdPdPKlPlN2at6native12_GLOBAL__N_18offset_tEEE10hipError_tPvRmT1_PNSt15iterator_traitsIS12_E10value_typeET2_T3_PNS13_IS18_E10value_typeET4_jRbjT5_S1E_jjP12ihipStream_tbEUljE_ZNSN_ISO_Lb0ESQ_SR_ST_SU_SY_EESZ_S10_S11_S12_S16_S17_S18_S1B_S1C_jS1D_jS1E_S1E_jjS1G_bEUljE0_EEESZ_S10_S11_S18_S1C_S1E_T6_T7_T9_mT8_S1G_bDpT10_ENKUlT_T0_E_clISt17integral_constantIbLb0EES1T_IbLb1EEEEDaS1P_S1Q_EUlS1P_E_NS1_11comp_targetILNS1_3genE2ELNS1_11target_archE906ELNS1_3gpuE6ELNS1_3repE0EEENS1_30default_config_static_selectorELNS0_4arch9wavefront6targetE0EEEvS12_
                                        ; -- End function
	.section	.AMDGPU.csdata,"",@progbits
; Kernel info:
; codeLenInByte = 0
; NumSgprs: 0
; NumVgprs: 0
; ScratchSize: 0
; MemoryBound: 0
; FloatMode: 240
; IeeeMode: 1
; LDSByteSize: 0 bytes/workgroup (compile time only)
; SGPRBlocks: 0
; VGPRBlocks: 0
; NumSGPRsForWavesPerEU: 1
; NumVGPRsForWavesPerEU: 1
; Occupancy: 16
; WaveLimiterHint : 0
; COMPUTE_PGM_RSRC2:SCRATCH_EN: 0
; COMPUTE_PGM_RSRC2:USER_SGPR: 15
; COMPUTE_PGM_RSRC2:TRAP_HANDLER: 0
; COMPUTE_PGM_RSRC2:TGID_X_EN: 1
; COMPUTE_PGM_RSRC2:TGID_Y_EN: 0
; COMPUTE_PGM_RSRC2:TGID_Z_EN: 0
; COMPUTE_PGM_RSRC2:TIDIG_COMP_CNT: 0
	.section	.text._ZN7rocprim17ROCPRIM_400000_NS6detail17trampoline_kernelINS0_13select_configILj256ELj13ELNS0_17block_load_methodE3ELS4_3ELS4_3ELNS0_20block_scan_algorithmE0ELj4294967295EEENS1_25partition_config_selectorILNS1_17partition_subalgoE4EjNS0_10empty_typeEbEEZZNS1_14partition_implILS8_4ELb0ES6_15HIP_vector_typeIjLj2EENS0_17counting_iteratorIjlEEPS9_SG_NS0_5tupleIJPjSI_NS0_16reverse_iteratorISI_EEEEENSH_IJSG_SG_SG_EEES9_SI_JZNS1_25segmented_radix_sort_implINS0_14default_configELb0EPKdPdPKlPlN2at6native12_GLOBAL__N_18offset_tEEE10hipError_tPvRmT1_PNSt15iterator_traitsIS12_E10value_typeET2_T3_PNS13_IS18_E10value_typeET4_jRbjT5_S1E_jjP12ihipStream_tbEUljE_ZNSN_ISO_Lb0ESQ_SR_ST_SU_SY_EESZ_S10_S11_S12_S16_S17_S18_S1B_S1C_jS1D_jS1E_S1E_jjS1G_bEUljE0_EEESZ_S10_S11_S18_S1C_S1E_T6_T7_T9_mT8_S1G_bDpT10_ENKUlT_T0_E_clISt17integral_constantIbLb0EES1T_IbLb1EEEEDaS1P_S1Q_EUlS1P_E_NS1_11comp_targetILNS1_3genE10ELNS1_11target_archE1200ELNS1_3gpuE4ELNS1_3repE0EEENS1_30default_config_static_selectorELNS0_4arch9wavefront6targetE0EEEvS12_,"axG",@progbits,_ZN7rocprim17ROCPRIM_400000_NS6detail17trampoline_kernelINS0_13select_configILj256ELj13ELNS0_17block_load_methodE3ELS4_3ELS4_3ELNS0_20block_scan_algorithmE0ELj4294967295EEENS1_25partition_config_selectorILNS1_17partition_subalgoE4EjNS0_10empty_typeEbEEZZNS1_14partition_implILS8_4ELb0ES6_15HIP_vector_typeIjLj2EENS0_17counting_iteratorIjlEEPS9_SG_NS0_5tupleIJPjSI_NS0_16reverse_iteratorISI_EEEEENSH_IJSG_SG_SG_EEES9_SI_JZNS1_25segmented_radix_sort_implINS0_14default_configELb0EPKdPdPKlPlN2at6native12_GLOBAL__N_18offset_tEEE10hipError_tPvRmT1_PNSt15iterator_traitsIS12_E10value_typeET2_T3_PNS13_IS18_E10value_typeET4_jRbjT5_S1E_jjP12ihipStream_tbEUljE_ZNSN_ISO_Lb0ESQ_SR_ST_SU_SY_EESZ_S10_S11_S12_S16_S17_S18_S1B_S1C_jS1D_jS1E_S1E_jjS1G_bEUljE0_EEESZ_S10_S11_S18_S1C_S1E_T6_T7_T9_mT8_S1G_bDpT10_ENKUlT_T0_E_clISt17integral_constantIbLb0EES1T_IbLb1EEEEDaS1P_S1Q_EUlS1P_E_NS1_11comp_targetILNS1_3genE10ELNS1_11target_archE1200ELNS1_3gpuE4ELNS1_3repE0EEENS1_30default_config_static_selectorELNS0_4arch9wavefront6targetE0EEEvS12_,comdat
	.globl	_ZN7rocprim17ROCPRIM_400000_NS6detail17trampoline_kernelINS0_13select_configILj256ELj13ELNS0_17block_load_methodE3ELS4_3ELS4_3ELNS0_20block_scan_algorithmE0ELj4294967295EEENS1_25partition_config_selectorILNS1_17partition_subalgoE4EjNS0_10empty_typeEbEEZZNS1_14partition_implILS8_4ELb0ES6_15HIP_vector_typeIjLj2EENS0_17counting_iteratorIjlEEPS9_SG_NS0_5tupleIJPjSI_NS0_16reverse_iteratorISI_EEEEENSH_IJSG_SG_SG_EEES9_SI_JZNS1_25segmented_radix_sort_implINS0_14default_configELb0EPKdPdPKlPlN2at6native12_GLOBAL__N_18offset_tEEE10hipError_tPvRmT1_PNSt15iterator_traitsIS12_E10value_typeET2_T3_PNS13_IS18_E10value_typeET4_jRbjT5_S1E_jjP12ihipStream_tbEUljE_ZNSN_ISO_Lb0ESQ_SR_ST_SU_SY_EESZ_S10_S11_S12_S16_S17_S18_S1B_S1C_jS1D_jS1E_S1E_jjS1G_bEUljE0_EEESZ_S10_S11_S18_S1C_S1E_T6_T7_T9_mT8_S1G_bDpT10_ENKUlT_T0_E_clISt17integral_constantIbLb0EES1T_IbLb1EEEEDaS1P_S1Q_EUlS1P_E_NS1_11comp_targetILNS1_3genE10ELNS1_11target_archE1200ELNS1_3gpuE4ELNS1_3repE0EEENS1_30default_config_static_selectorELNS0_4arch9wavefront6targetE0EEEvS12_ ; -- Begin function _ZN7rocprim17ROCPRIM_400000_NS6detail17trampoline_kernelINS0_13select_configILj256ELj13ELNS0_17block_load_methodE3ELS4_3ELS4_3ELNS0_20block_scan_algorithmE0ELj4294967295EEENS1_25partition_config_selectorILNS1_17partition_subalgoE4EjNS0_10empty_typeEbEEZZNS1_14partition_implILS8_4ELb0ES6_15HIP_vector_typeIjLj2EENS0_17counting_iteratorIjlEEPS9_SG_NS0_5tupleIJPjSI_NS0_16reverse_iteratorISI_EEEEENSH_IJSG_SG_SG_EEES9_SI_JZNS1_25segmented_radix_sort_implINS0_14default_configELb0EPKdPdPKlPlN2at6native12_GLOBAL__N_18offset_tEEE10hipError_tPvRmT1_PNSt15iterator_traitsIS12_E10value_typeET2_T3_PNS13_IS18_E10value_typeET4_jRbjT5_S1E_jjP12ihipStream_tbEUljE_ZNSN_ISO_Lb0ESQ_SR_ST_SU_SY_EESZ_S10_S11_S12_S16_S17_S18_S1B_S1C_jS1D_jS1E_S1E_jjS1G_bEUljE0_EEESZ_S10_S11_S18_S1C_S1E_T6_T7_T9_mT8_S1G_bDpT10_ENKUlT_T0_E_clISt17integral_constantIbLb0EES1T_IbLb1EEEEDaS1P_S1Q_EUlS1P_E_NS1_11comp_targetILNS1_3genE10ELNS1_11target_archE1200ELNS1_3gpuE4ELNS1_3repE0EEENS1_30default_config_static_selectorELNS0_4arch9wavefront6targetE0EEEvS12_
	.p2align	8
	.type	_ZN7rocprim17ROCPRIM_400000_NS6detail17trampoline_kernelINS0_13select_configILj256ELj13ELNS0_17block_load_methodE3ELS4_3ELS4_3ELNS0_20block_scan_algorithmE0ELj4294967295EEENS1_25partition_config_selectorILNS1_17partition_subalgoE4EjNS0_10empty_typeEbEEZZNS1_14partition_implILS8_4ELb0ES6_15HIP_vector_typeIjLj2EENS0_17counting_iteratorIjlEEPS9_SG_NS0_5tupleIJPjSI_NS0_16reverse_iteratorISI_EEEEENSH_IJSG_SG_SG_EEES9_SI_JZNS1_25segmented_radix_sort_implINS0_14default_configELb0EPKdPdPKlPlN2at6native12_GLOBAL__N_18offset_tEEE10hipError_tPvRmT1_PNSt15iterator_traitsIS12_E10value_typeET2_T3_PNS13_IS18_E10value_typeET4_jRbjT5_S1E_jjP12ihipStream_tbEUljE_ZNSN_ISO_Lb0ESQ_SR_ST_SU_SY_EESZ_S10_S11_S12_S16_S17_S18_S1B_S1C_jS1D_jS1E_S1E_jjS1G_bEUljE0_EEESZ_S10_S11_S18_S1C_S1E_T6_T7_T9_mT8_S1G_bDpT10_ENKUlT_T0_E_clISt17integral_constantIbLb0EES1T_IbLb1EEEEDaS1P_S1Q_EUlS1P_E_NS1_11comp_targetILNS1_3genE10ELNS1_11target_archE1200ELNS1_3gpuE4ELNS1_3repE0EEENS1_30default_config_static_selectorELNS0_4arch9wavefront6targetE0EEEvS12_,@function
_ZN7rocprim17ROCPRIM_400000_NS6detail17trampoline_kernelINS0_13select_configILj256ELj13ELNS0_17block_load_methodE3ELS4_3ELS4_3ELNS0_20block_scan_algorithmE0ELj4294967295EEENS1_25partition_config_selectorILNS1_17partition_subalgoE4EjNS0_10empty_typeEbEEZZNS1_14partition_implILS8_4ELb0ES6_15HIP_vector_typeIjLj2EENS0_17counting_iteratorIjlEEPS9_SG_NS0_5tupleIJPjSI_NS0_16reverse_iteratorISI_EEEEENSH_IJSG_SG_SG_EEES9_SI_JZNS1_25segmented_radix_sort_implINS0_14default_configELb0EPKdPdPKlPlN2at6native12_GLOBAL__N_18offset_tEEE10hipError_tPvRmT1_PNSt15iterator_traitsIS12_E10value_typeET2_T3_PNS13_IS18_E10value_typeET4_jRbjT5_S1E_jjP12ihipStream_tbEUljE_ZNSN_ISO_Lb0ESQ_SR_ST_SU_SY_EESZ_S10_S11_S12_S16_S17_S18_S1B_S1C_jS1D_jS1E_S1E_jjS1G_bEUljE0_EEESZ_S10_S11_S18_S1C_S1E_T6_T7_T9_mT8_S1G_bDpT10_ENKUlT_T0_E_clISt17integral_constantIbLb0EES1T_IbLb1EEEEDaS1P_S1Q_EUlS1P_E_NS1_11comp_targetILNS1_3genE10ELNS1_11target_archE1200ELNS1_3gpuE4ELNS1_3repE0EEENS1_30default_config_static_selectorELNS0_4arch9wavefront6targetE0EEEvS12_: ; @_ZN7rocprim17ROCPRIM_400000_NS6detail17trampoline_kernelINS0_13select_configILj256ELj13ELNS0_17block_load_methodE3ELS4_3ELS4_3ELNS0_20block_scan_algorithmE0ELj4294967295EEENS1_25partition_config_selectorILNS1_17partition_subalgoE4EjNS0_10empty_typeEbEEZZNS1_14partition_implILS8_4ELb0ES6_15HIP_vector_typeIjLj2EENS0_17counting_iteratorIjlEEPS9_SG_NS0_5tupleIJPjSI_NS0_16reverse_iteratorISI_EEEEENSH_IJSG_SG_SG_EEES9_SI_JZNS1_25segmented_radix_sort_implINS0_14default_configELb0EPKdPdPKlPlN2at6native12_GLOBAL__N_18offset_tEEE10hipError_tPvRmT1_PNSt15iterator_traitsIS12_E10value_typeET2_T3_PNS13_IS18_E10value_typeET4_jRbjT5_S1E_jjP12ihipStream_tbEUljE_ZNSN_ISO_Lb0ESQ_SR_ST_SU_SY_EESZ_S10_S11_S12_S16_S17_S18_S1B_S1C_jS1D_jS1E_S1E_jjS1G_bEUljE0_EEESZ_S10_S11_S18_S1C_S1E_T6_T7_T9_mT8_S1G_bDpT10_ENKUlT_T0_E_clISt17integral_constantIbLb0EES1T_IbLb1EEEEDaS1P_S1Q_EUlS1P_E_NS1_11comp_targetILNS1_3genE10ELNS1_11target_archE1200ELNS1_3gpuE4ELNS1_3repE0EEENS1_30default_config_static_selectorELNS0_4arch9wavefront6targetE0EEEvS12_
; %bb.0:
	.section	.rodata,"a",@progbits
	.p2align	6, 0x0
	.amdhsa_kernel _ZN7rocprim17ROCPRIM_400000_NS6detail17trampoline_kernelINS0_13select_configILj256ELj13ELNS0_17block_load_methodE3ELS4_3ELS4_3ELNS0_20block_scan_algorithmE0ELj4294967295EEENS1_25partition_config_selectorILNS1_17partition_subalgoE4EjNS0_10empty_typeEbEEZZNS1_14partition_implILS8_4ELb0ES6_15HIP_vector_typeIjLj2EENS0_17counting_iteratorIjlEEPS9_SG_NS0_5tupleIJPjSI_NS0_16reverse_iteratorISI_EEEEENSH_IJSG_SG_SG_EEES9_SI_JZNS1_25segmented_radix_sort_implINS0_14default_configELb0EPKdPdPKlPlN2at6native12_GLOBAL__N_18offset_tEEE10hipError_tPvRmT1_PNSt15iterator_traitsIS12_E10value_typeET2_T3_PNS13_IS18_E10value_typeET4_jRbjT5_S1E_jjP12ihipStream_tbEUljE_ZNSN_ISO_Lb0ESQ_SR_ST_SU_SY_EESZ_S10_S11_S12_S16_S17_S18_S1B_S1C_jS1D_jS1E_S1E_jjS1G_bEUljE0_EEESZ_S10_S11_S18_S1C_S1E_T6_T7_T9_mT8_S1G_bDpT10_ENKUlT_T0_E_clISt17integral_constantIbLb0EES1T_IbLb1EEEEDaS1P_S1Q_EUlS1P_E_NS1_11comp_targetILNS1_3genE10ELNS1_11target_archE1200ELNS1_3gpuE4ELNS1_3repE0EEENS1_30default_config_static_selectorELNS0_4arch9wavefront6targetE0EEEvS12_
		.amdhsa_group_segment_fixed_size 0
		.amdhsa_private_segment_fixed_size 0
		.amdhsa_kernarg_size 184
		.amdhsa_user_sgpr_count 15
		.amdhsa_user_sgpr_dispatch_ptr 0
		.amdhsa_user_sgpr_queue_ptr 0
		.amdhsa_user_sgpr_kernarg_segment_ptr 1
		.amdhsa_user_sgpr_dispatch_id 0
		.amdhsa_user_sgpr_private_segment_size 0
		.amdhsa_wavefront_size32 1
		.amdhsa_uses_dynamic_stack 0
		.amdhsa_enable_private_segment 0
		.amdhsa_system_sgpr_workgroup_id_x 1
		.amdhsa_system_sgpr_workgroup_id_y 0
		.amdhsa_system_sgpr_workgroup_id_z 0
		.amdhsa_system_sgpr_workgroup_info 0
		.amdhsa_system_vgpr_workitem_id 0
		.amdhsa_next_free_vgpr 1
		.amdhsa_next_free_sgpr 1
		.amdhsa_reserve_vcc 0
		.amdhsa_float_round_mode_32 0
		.amdhsa_float_round_mode_16_64 0
		.amdhsa_float_denorm_mode_32 3
		.amdhsa_float_denorm_mode_16_64 3
		.amdhsa_dx10_clamp 1
		.amdhsa_ieee_mode 1
		.amdhsa_fp16_overflow 0
		.amdhsa_workgroup_processor_mode 1
		.amdhsa_memory_ordered 1
		.amdhsa_forward_progress 0
		.amdhsa_shared_vgpr_count 0
		.amdhsa_exception_fp_ieee_invalid_op 0
		.amdhsa_exception_fp_denorm_src 0
		.amdhsa_exception_fp_ieee_div_zero 0
		.amdhsa_exception_fp_ieee_overflow 0
		.amdhsa_exception_fp_ieee_underflow 0
		.amdhsa_exception_fp_ieee_inexact 0
		.amdhsa_exception_int_div_zero 0
	.end_amdhsa_kernel
	.section	.text._ZN7rocprim17ROCPRIM_400000_NS6detail17trampoline_kernelINS0_13select_configILj256ELj13ELNS0_17block_load_methodE3ELS4_3ELS4_3ELNS0_20block_scan_algorithmE0ELj4294967295EEENS1_25partition_config_selectorILNS1_17partition_subalgoE4EjNS0_10empty_typeEbEEZZNS1_14partition_implILS8_4ELb0ES6_15HIP_vector_typeIjLj2EENS0_17counting_iteratorIjlEEPS9_SG_NS0_5tupleIJPjSI_NS0_16reverse_iteratorISI_EEEEENSH_IJSG_SG_SG_EEES9_SI_JZNS1_25segmented_radix_sort_implINS0_14default_configELb0EPKdPdPKlPlN2at6native12_GLOBAL__N_18offset_tEEE10hipError_tPvRmT1_PNSt15iterator_traitsIS12_E10value_typeET2_T3_PNS13_IS18_E10value_typeET4_jRbjT5_S1E_jjP12ihipStream_tbEUljE_ZNSN_ISO_Lb0ESQ_SR_ST_SU_SY_EESZ_S10_S11_S12_S16_S17_S18_S1B_S1C_jS1D_jS1E_S1E_jjS1G_bEUljE0_EEESZ_S10_S11_S18_S1C_S1E_T6_T7_T9_mT8_S1G_bDpT10_ENKUlT_T0_E_clISt17integral_constantIbLb0EES1T_IbLb1EEEEDaS1P_S1Q_EUlS1P_E_NS1_11comp_targetILNS1_3genE10ELNS1_11target_archE1200ELNS1_3gpuE4ELNS1_3repE0EEENS1_30default_config_static_selectorELNS0_4arch9wavefront6targetE0EEEvS12_,"axG",@progbits,_ZN7rocprim17ROCPRIM_400000_NS6detail17trampoline_kernelINS0_13select_configILj256ELj13ELNS0_17block_load_methodE3ELS4_3ELS4_3ELNS0_20block_scan_algorithmE0ELj4294967295EEENS1_25partition_config_selectorILNS1_17partition_subalgoE4EjNS0_10empty_typeEbEEZZNS1_14partition_implILS8_4ELb0ES6_15HIP_vector_typeIjLj2EENS0_17counting_iteratorIjlEEPS9_SG_NS0_5tupleIJPjSI_NS0_16reverse_iteratorISI_EEEEENSH_IJSG_SG_SG_EEES9_SI_JZNS1_25segmented_radix_sort_implINS0_14default_configELb0EPKdPdPKlPlN2at6native12_GLOBAL__N_18offset_tEEE10hipError_tPvRmT1_PNSt15iterator_traitsIS12_E10value_typeET2_T3_PNS13_IS18_E10value_typeET4_jRbjT5_S1E_jjP12ihipStream_tbEUljE_ZNSN_ISO_Lb0ESQ_SR_ST_SU_SY_EESZ_S10_S11_S12_S16_S17_S18_S1B_S1C_jS1D_jS1E_S1E_jjS1G_bEUljE0_EEESZ_S10_S11_S18_S1C_S1E_T6_T7_T9_mT8_S1G_bDpT10_ENKUlT_T0_E_clISt17integral_constantIbLb0EES1T_IbLb1EEEEDaS1P_S1Q_EUlS1P_E_NS1_11comp_targetILNS1_3genE10ELNS1_11target_archE1200ELNS1_3gpuE4ELNS1_3repE0EEENS1_30default_config_static_selectorELNS0_4arch9wavefront6targetE0EEEvS12_,comdat
.Lfunc_end1186:
	.size	_ZN7rocprim17ROCPRIM_400000_NS6detail17trampoline_kernelINS0_13select_configILj256ELj13ELNS0_17block_load_methodE3ELS4_3ELS4_3ELNS0_20block_scan_algorithmE0ELj4294967295EEENS1_25partition_config_selectorILNS1_17partition_subalgoE4EjNS0_10empty_typeEbEEZZNS1_14partition_implILS8_4ELb0ES6_15HIP_vector_typeIjLj2EENS0_17counting_iteratorIjlEEPS9_SG_NS0_5tupleIJPjSI_NS0_16reverse_iteratorISI_EEEEENSH_IJSG_SG_SG_EEES9_SI_JZNS1_25segmented_radix_sort_implINS0_14default_configELb0EPKdPdPKlPlN2at6native12_GLOBAL__N_18offset_tEEE10hipError_tPvRmT1_PNSt15iterator_traitsIS12_E10value_typeET2_T3_PNS13_IS18_E10value_typeET4_jRbjT5_S1E_jjP12ihipStream_tbEUljE_ZNSN_ISO_Lb0ESQ_SR_ST_SU_SY_EESZ_S10_S11_S12_S16_S17_S18_S1B_S1C_jS1D_jS1E_S1E_jjS1G_bEUljE0_EEESZ_S10_S11_S18_S1C_S1E_T6_T7_T9_mT8_S1G_bDpT10_ENKUlT_T0_E_clISt17integral_constantIbLb0EES1T_IbLb1EEEEDaS1P_S1Q_EUlS1P_E_NS1_11comp_targetILNS1_3genE10ELNS1_11target_archE1200ELNS1_3gpuE4ELNS1_3repE0EEENS1_30default_config_static_selectorELNS0_4arch9wavefront6targetE0EEEvS12_, .Lfunc_end1186-_ZN7rocprim17ROCPRIM_400000_NS6detail17trampoline_kernelINS0_13select_configILj256ELj13ELNS0_17block_load_methodE3ELS4_3ELS4_3ELNS0_20block_scan_algorithmE0ELj4294967295EEENS1_25partition_config_selectorILNS1_17partition_subalgoE4EjNS0_10empty_typeEbEEZZNS1_14partition_implILS8_4ELb0ES6_15HIP_vector_typeIjLj2EENS0_17counting_iteratorIjlEEPS9_SG_NS0_5tupleIJPjSI_NS0_16reverse_iteratorISI_EEEEENSH_IJSG_SG_SG_EEES9_SI_JZNS1_25segmented_radix_sort_implINS0_14default_configELb0EPKdPdPKlPlN2at6native12_GLOBAL__N_18offset_tEEE10hipError_tPvRmT1_PNSt15iterator_traitsIS12_E10value_typeET2_T3_PNS13_IS18_E10value_typeET4_jRbjT5_S1E_jjP12ihipStream_tbEUljE_ZNSN_ISO_Lb0ESQ_SR_ST_SU_SY_EESZ_S10_S11_S12_S16_S17_S18_S1B_S1C_jS1D_jS1E_S1E_jjS1G_bEUljE0_EEESZ_S10_S11_S18_S1C_S1E_T6_T7_T9_mT8_S1G_bDpT10_ENKUlT_T0_E_clISt17integral_constantIbLb0EES1T_IbLb1EEEEDaS1P_S1Q_EUlS1P_E_NS1_11comp_targetILNS1_3genE10ELNS1_11target_archE1200ELNS1_3gpuE4ELNS1_3repE0EEENS1_30default_config_static_selectorELNS0_4arch9wavefront6targetE0EEEvS12_
                                        ; -- End function
	.section	.AMDGPU.csdata,"",@progbits
; Kernel info:
; codeLenInByte = 0
; NumSgprs: 0
; NumVgprs: 0
; ScratchSize: 0
; MemoryBound: 0
; FloatMode: 240
; IeeeMode: 1
; LDSByteSize: 0 bytes/workgroup (compile time only)
; SGPRBlocks: 0
; VGPRBlocks: 0
; NumSGPRsForWavesPerEU: 1
; NumVGPRsForWavesPerEU: 1
; Occupancy: 16
; WaveLimiterHint : 0
; COMPUTE_PGM_RSRC2:SCRATCH_EN: 0
; COMPUTE_PGM_RSRC2:USER_SGPR: 15
; COMPUTE_PGM_RSRC2:TRAP_HANDLER: 0
; COMPUTE_PGM_RSRC2:TGID_X_EN: 1
; COMPUTE_PGM_RSRC2:TGID_Y_EN: 0
; COMPUTE_PGM_RSRC2:TGID_Z_EN: 0
; COMPUTE_PGM_RSRC2:TIDIG_COMP_CNT: 0
	.section	.text._ZN7rocprim17ROCPRIM_400000_NS6detail17trampoline_kernelINS0_13select_configILj256ELj13ELNS0_17block_load_methodE3ELS4_3ELS4_3ELNS0_20block_scan_algorithmE0ELj4294967295EEENS1_25partition_config_selectorILNS1_17partition_subalgoE4EjNS0_10empty_typeEbEEZZNS1_14partition_implILS8_4ELb0ES6_15HIP_vector_typeIjLj2EENS0_17counting_iteratorIjlEEPS9_SG_NS0_5tupleIJPjSI_NS0_16reverse_iteratorISI_EEEEENSH_IJSG_SG_SG_EEES9_SI_JZNS1_25segmented_radix_sort_implINS0_14default_configELb0EPKdPdPKlPlN2at6native12_GLOBAL__N_18offset_tEEE10hipError_tPvRmT1_PNSt15iterator_traitsIS12_E10value_typeET2_T3_PNS13_IS18_E10value_typeET4_jRbjT5_S1E_jjP12ihipStream_tbEUljE_ZNSN_ISO_Lb0ESQ_SR_ST_SU_SY_EESZ_S10_S11_S12_S16_S17_S18_S1B_S1C_jS1D_jS1E_S1E_jjS1G_bEUljE0_EEESZ_S10_S11_S18_S1C_S1E_T6_T7_T9_mT8_S1G_bDpT10_ENKUlT_T0_E_clISt17integral_constantIbLb0EES1T_IbLb1EEEEDaS1P_S1Q_EUlS1P_E_NS1_11comp_targetILNS1_3genE9ELNS1_11target_archE1100ELNS1_3gpuE3ELNS1_3repE0EEENS1_30default_config_static_selectorELNS0_4arch9wavefront6targetE0EEEvS12_,"axG",@progbits,_ZN7rocprim17ROCPRIM_400000_NS6detail17trampoline_kernelINS0_13select_configILj256ELj13ELNS0_17block_load_methodE3ELS4_3ELS4_3ELNS0_20block_scan_algorithmE0ELj4294967295EEENS1_25partition_config_selectorILNS1_17partition_subalgoE4EjNS0_10empty_typeEbEEZZNS1_14partition_implILS8_4ELb0ES6_15HIP_vector_typeIjLj2EENS0_17counting_iteratorIjlEEPS9_SG_NS0_5tupleIJPjSI_NS0_16reverse_iteratorISI_EEEEENSH_IJSG_SG_SG_EEES9_SI_JZNS1_25segmented_radix_sort_implINS0_14default_configELb0EPKdPdPKlPlN2at6native12_GLOBAL__N_18offset_tEEE10hipError_tPvRmT1_PNSt15iterator_traitsIS12_E10value_typeET2_T3_PNS13_IS18_E10value_typeET4_jRbjT5_S1E_jjP12ihipStream_tbEUljE_ZNSN_ISO_Lb0ESQ_SR_ST_SU_SY_EESZ_S10_S11_S12_S16_S17_S18_S1B_S1C_jS1D_jS1E_S1E_jjS1G_bEUljE0_EEESZ_S10_S11_S18_S1C_S1E_T6_T7_T9_mT8_S1G_bDpT10_ENKUlT_T0_E_clISt17integral_constantIbLb0EES1T_IbLb1EEEEDaS1P_S1Q_EUlS1P_E_NS1_11comp_targetILNS1_3genE9ELNS1_11target_archE1100ELNS1_3gpuE3ELNS1_3repE0EEENS1_30default_config_static_selectorELNS0_4arch9wavefront6targetE0EEEvS12_,comdat
	.globl	_ZN7rocprim17ROCPRIM_400000_NS6detail17trampoline_kernelINS0_13select_configILj256ELj13ELNS0_17block_load_methodE3ELS4_3ELS4_3ELNS0_20block_scan_algorithmE0ELj4294967295EEENS1_25partition_config_selectorILNS1_17partition_subalgoE4EjNS0_10empty_typeEbEEZZNS1_14partition_implILS8_4ELb0ES6_15HIP_vector_typeIjLj2EENS0_17counting_iteratorIjlEEPS9_SG_NS0_5tupleIJPjSI_NS0_16reverse_iteratorISI_EEEEENSH_IJSG_SG_SG_EEES9_SI_JZNS1_25segmented_radix_sort_implINS0_14default_configELb0EPKdPdPKlPlN2at6native12_GLOBAL__N_18offset_tEEE10hipError_tPvRmT1_PNSt15iterator_traitsIS12_E10value_typeET2_T3_PNS13_IS18_E10value_typeET4_jRbjT5_S1E_jjP12ihipStream_tbEUljE_ZNSN_ISO_Lb0ESQ_SR_ST_SU_SY_EESZ_S10_S11_S12_S16_S17_S18_S1B_S1C_jS1D_jS1E_S1E_jjS1G_bEUljE0_EEESZ_S10_S11_S18_S1C_S1E_T6_T7_T9_mT8_S1G_bDpT10_ENKUlT_T0_E_clISt17integral_constantIbLb0EES1T_IbLb1EEEEDaS1P_S1Q_EUlS1P_E_NS1_11comp_targetILNS1_3genE9ELNS1_11target_archE1100ELNS1_3gpuE3ELNS1_3repE0EEENS1_30default_config_static_selectorELNS0_4arch9wavefront6targetE0EEEvS12_ ; -- Begin function _ZN7rocprim17ROCPRIM_400000_NS6detail17trampoline_kernelINS0_13select_configILj256ELj13ELNS0_17block_load_methodE3ELS4_3ELS4_3ELNS0_20block_scan_algorithmE0ELj4294967295EEENS1_25partition_config_selectorILNS1_17partition_subalgoE4EjNS0_10empty_typeEbEEZZNS1_14partition_implILS8_4ELb0ES6_15HIP_vector_typeIjLj2EENS0_17counting_iteratorIjlEEPS9_SG_NS0_5tupleIJPjSI_NS0_16reverse_iteratorISI_EEEEENSH_IJSG_SG_SG_EEES9_SI_JZNS1_25segmented_radix_sort_implINS0_14default_configELb0EPKdPdPKlPlN2at6native12_GLOBAL__N_18offset_tEEE10hipError_tPvRmT1_PNSt15iterator_traitsIS12_E10value_typeET2_T3_PNS13_IS18_E10value_typeET4_jRbjT5_S1E_jjP12ihipStream_tbEUljE_ZNSN_ISO_Lb0ESQ_SR_ST_SU_SY_EESZ_S10_S11_S12_S16_S17_S18_S1B_S1C_jS1D_jS1E_S1E_jjS1G_bEUljE0_EEESZ_S10_S11_S18_S1C_S1E_T6_T7_T9_mT8_S1G_bDpT10_ENKUlT_T0_E_clISt17integral_constantIbLb0EES1T_IbLb1EEEEDaS1P_S1Q_EUlS1P_E_NS1_11comp_targetILNS1_3genE9ELNS1_11target_archE1100ELNS1_3gpuE3ELNS1_3repE0EEENS1_30default_config_static_selectorELNS0_4arch9wavefront6targetE0EEEvS12_
	.p2align	8
	.type	_ZN7rocprim17ROCPRIM_400000_NS6detail17trampoline_kernelINS0_13select_configILj256ELj13ELNS0_17block_load_methodE3ELS4_3ELS4_3ELNS0_20block_scan_algorithmE0ELj4294967295EEENS1_25partition_config_selectorILNS1_17partition_subalgoE4EjNS0_10empty_typeEbEEZZNS1_14partition_implILS8_4ELb0ES6_15HIP_vector_typeIjLj2EENS0_17counting_iteratorIjlEEPS9_SG_NS0_5tupleIJPjSI_NS0_16reverse_iteratorISI_EEEEENSH_IJSG_SG_SG_EEES9_SI_JZNS1_25segmented_radix_sort_implINS0_14default_configELb0EPKdPdPKlPlN2at6native12_GLOBAL__N_18offset_tEEE10hipError_tPvRmT1_PNSt15iterator_traitsIS12_E10value_typeET2_T3_PNS13_IS18_E10value_typeET4_jRbjT5_S1E_jjP12ihipStream_tbEUljE_ZNSN_ISO_Lb0ESQ_SR_ST_SU_SY_EESZ_S10_S11_S12_S16_S17_S18_S1B_S1C_jS1D_jS1E_S1E_jjS1G_bEUljE0_EEESZ_S10_S11_S18_S1C_S1E_T6_T7_T9_mT8_S1G_bDpT10_ENKUlT_T0_E_clISt17integral_constantIbLb0EES1T_IbLb1EEEEDaS1P_S1Q_EUlS1P_E_NS1_11comp_targetILNS1_3genE9ELNS1_11target_archE1100ELNS1_3gpuE3ELNS1_3repE0EEENS1_30default_config_static_selectorELNS0_4arch9wavefront6targetE0EEEvS12_,@function
_ZN7rocprim17ROCPRIM_400000_NS6detail17trampoline_kernelINS0_13select_configILj256ELj13ELNS0_17block_load_methodE3ELS4_3ELS4_3ELNS0_20block_scan_algorithmE0ELj4294967295EEENS1_25partition_config_selectorILNS1_17partition_subalgoE4EjNS0_10empty_typeEbEEZZNS1_14partition_implILS8_4ELb0ES6_15HIP_vector_typeIjLj2EENS0_17counting_iteratorIjlEEPS9_SG_NS0_5tupleIJPjSI_NS0_16reverse_iteratorISI_EEEEENSH_IJSG_SG_SG_EEES9_SI_JZNS1_25segmented_radix_sort_implINS0_14default_configELb0EPKdPdPKlPlN2at6native12_GLOBAL__N_18offset_tEEE10hipError_tPvRmT1_PNSt15iterator_traitsIS12_E10value_typeET2_T3_PNS13_IS18_E10value_typeET4_jRbjT5_S1E_jjP12ihipStream_tbEUljE_ZNSN_ISO_Lb0ESQ_SR_ST_SU_SY_EESZ_S10_S11_S12_S16_S17_S18_S1B_S1C_jS1D_jS1E_S1E_jjS1G_bEUljE0_EEESZ_S10_S11_S18_S1C_S1E_T6_T7_T9_mT8_S1G_bDpT10_ENKUlT_T0_E_clISt17integral_constantIbLb0EES1T_IbLb1EEEEDaS1P_S1Q_EUlS1P_E_NS1_11comp_targetILNS1_3genE9ELNS1_11target_archE1100ELNS1_3gpuE3ELNS1_3repE0EEENS1_30default_config_static_selectorELNS0_4arch9wavefront6targetE0EEEvS12_: ; @_ZN7rocprim17ROCPRIM_400000_NS6detail17trampoline_kernelINS0_13select_configILj256ELj13ELNS0_17block_load_methodE3ELS4_3ELS4_3ELNS0_20block_scan_algorithmE0ELj4294967295EEENS1_25partition_config_selectorILNS1_17partition_subalgoE4EjNS0_10empty_typeEbEEZZNS1_14partition_implILS8_4ELb0ES6_15HIP_vector_typeIjLj2EENS0_17counting_iteratorIjlEEPS9_SG_NS0_5tupleIJPjSI_NS0_16reverse_iteratorISI_EEEEENSH_IJSG_SG_SG_EEES9_SI_JZNS1_25segmented_radix_sort_implINS0_14default_configELb0EPKdPdPKlPlN2at6native12_GLOBAL__N_18offset_tEEE10hipError_tPvRmT1_PNSt15iterator_traitsIS12_E10value_typeET2_T3_PNS13_IS18_E10value_typeET4_jRbjT5_S1E_jjP12ihipStream_tbEUljE_ZNSN_ISO_Lb0ESQ_SR_ST_SU_SY_EESZ_S10_S11_S12_S16_S17_S18_S1B_S1C_jS1D_jS1E_S1E_jjS1G_bEUljE0_EEESZ_S10_S11_S18_S1C_S1E_T6_T7_T9_mT8_S1G_bDpT10_ENKUlT_T0_E_clISt17integral_constantIbLb0EES1T_IbLb1EEEEDaS1P_S1Q_EUlS1P_E_NS1_11comp_targetILNS1_3genE9ELNS1_11target_archE1100ELNS1_3gpuE3ELNS1_3repE0EEENS1_30default_config_static_selectorELNS0_4arch9wavefront6targetE0EEEvS12_
; %bb.0:
	s_clause 0x7
	s_load_b64 s[34:35], s[0:1], 0x10
	s_load_b128 s[28:31], s[0:1], 0x28
	s_load_b64 s[14:15], s[0:1], 0x38
	s_load_b128 s[24:27], s[0:1], 0x58
	s_load_b64 s[4:5], s[0:1], 0x68
	s_load_b64 s[36:37], s[0:1], 0x78
	;; [unrolled: 1-line block ×3, first 2 shown]
	s_load_b256 s[16:23], s[0:1], 0x90
	v_cmp_eq_u32_e64 s2, 0, v0
	s_delay_alu instid0(VALU_DEP_1)
	s_and_saveexec_b32 s3, s2
	s_cbranch_execz .LBB1187_4
; %bb.1:
	s_mov_b32 s7, exec_lo
	s_mov_b32 s6, exec_lo
	v_mbcnt_lo_u32_b32 v1, s7, 0
                                        ; implicit-def: $vgpr2
	s_delay_alu instid0(VALU_DEP_1)
	v_cmpx_eq_u32_e32 0, v1
	s_cbranch_execz .LBB1187_3
; %bb.2:
	s_load_b64 s[8:9], s[0:1], 0x88
	s_bcnt1_i32_b32 s7, s7
	s_delay_alu instid0(SALU_CYCLE_1)
	v_dual_mov_b32 v2, 0 :: v_dual_mov_b32 v3, s7
	s_waitcnt lgkmcnt(0)
	global_atomic_add_u32 v2, v2, v3, s[8:9] glc
.LBB1187_3:
	s_or_b32 exec_lo, exec_lo, s6
	s_waitcnt vmcnt(0)
	v_readfirstlane_b32 s6, v2
	s_delay_alu instid0(VALU_DEP_1)
	v_dual_mov_b32 v2, 0 :: v_dual_add_nc_u32 v1, s6, v1
	ds_store_b32 v2, v1
.LBB1187_4:
	s_or_b32 exec_lo, exec_lo, s3
	v_mov_b32_e32 v1, 0
	s_clause 0x1
	s_load_b32 s3, s[0:1], 0x8
	s_load_b32 s0, s[0:1], 0x80
	s_waitcnt lgkmcnt(0)
	s_barrier
	buffer_gl0_inv
	ds_load_b32 v5, v1
	s_waitcnt lgkmcnt(0)
	s_barrier
	buffer_gl0_inv
	global_load_b128 v[1:4], v1, s[26:27]
	s_add_i32 s3, s3, s34
	s_mul_i32 s1, s0, 0xd00
	s_add_i32 s0, s0, -1
	s_add_u32 s6, s34, s1
	s_addc_u32 s7, s35, 0
	v_mul_lo_u32 v30, 0xd00, v5
	v_readfirstlane_b32 s26, v5
	v_cmp_lt_u64_e64 s5, s[6:7], s[4:5]
	v_cmp_ne_u32_e32 vcc_lo, s0, v5
	s_delay_alu instid0(VALU_DEP_3) | instskip(SKIP_1) | instid1(VALU_DEP_4)
	s_cmp_eq_u32 s26, s0
	s_cselect_b32 s13, -1, 0
	v_add3_u32 v5, v30, s3, v0
	s_delay_alu instid0(VALU_DEP_3) | instskip(SKIP_2) | instid1(VALU_DEP_1)
	s_or_b32 s0, s5, vcc_lo
	s_mov_b32 s3, -1
	s_and_b32 vcc_lo, exec_lo, s0
	v_add_nc_u32_e32 v6, 0x100, v5
	v_add_nc_u32_e32 v7, 0x200, v5
	;; [unrolled: 1-line block ×12, first 2 shown]
	s_cbranch_vccz .LBB1187_6
; %bb.5:
	v_lshlrev_b32_e32 v18, 2, v0
	s_mov_b32 s3, 0
	ds_store_2addr_stride64_b32 v18, v5, v6 offset1:4
	ds_store_2addr_stride64_b32 v18, v7, v8 offset0:8 offset1:12
	ds_store_2addr_stride64_b32 v18, v9, v10 offset0:16 offset1:20
	;; [unrolled: 1-line block ×5, first 2 shown]
	ds_store_b32 v18, v17 offset:12288
	s_waitcnt vmcnt(0) lgkmcnt(0)
	s_barrier
.LBB1187_6:
	s_and_not1_b32 vcc_lo, exec_lo, s3
	s_add_i32 s1, s1, s34
	s_cbranch_vccnz .LBB1187_8
; %bb.7:
	v_lshlrev_b32_e32 v18, 2, v0
	ds_store_2addr_stride64_b32 v18, v5, v6 offset1:4
	ds_store_2addr_stride64_b32 v18, v7, v8 offset0:8 offset1:12
	ds_store_2addr_stride64_b32 v18, v9, v10 offset0:16 offset1:20
	ds_store_2addr_stride64_b32 v18, v11, v12 offset0:24 offset1:28
	ds_store_2addr_stride64_b32 v18, v13, v14 offset0:32 offset1:36
	ds_store_2addr_stride64_b32 v18, v15, v16 offset0:40 offset1:44
	ds_store_b32 v18, v17 offset:12288
	s_waitcnt vmcnt(0) lgkmcnt(0)
	s_barrier
.LBB1187_8:
	v_mul_u32_u24_e32 v33, 13, v0
	s_waitcnt vmcnt(0)
	buffer_gl0_inv
	v_cndmask_b32_e64 v31, 0, 1, s0
	s_sub_i32 s40, s4, s1
	s_and_not1_b32 vcc_lo, exec_lo, s0
	v_lshlrev_b32_e32 v5, 2, v33
	ds_load_2addr_b32 v[20:21], v5 offset1:1
	ds_load_2addr_b32 v[18:19], v5 offset0:2 offset1:3
	ds_load_2addr_b32 v[16:17], v5 offset0:4 offset1:5
	;; [unrolled: 1-line block ×5, first 2 shown]
	ds_load_b32 v32, v5 offset:48
	s_waitcnt lgkmcnt(0)
	s_barrier
	buffer_gl0_inv
	s_cbranch_vccnz .LBB1187_36
; %bb.9:
	v_add_nc_u32_e32 v5, s17, v20
	v_add_nc_u32_e32 v6, s19, v20
	s_mov_b32 s42, 0
	s_mov_b32 s41, 0
	s_mov_b32 s1, exec_lo
	v_mul_lo_u32 v5, v5, s16
	v_mul_lo_u32 v6, v6, s18
	s_delay_alu instid0(VALU_DEP_1) | instskip(NEXT) | instid1(VALU_DEP_1)
	v_sub_nc_u32_e32 v5, v5, v6
	v_cmp_lt_u32_e32 vcc_lo, s20, v5
	v_cmpx_ge_u32_e64 s20, v5
; %bb.10:
	v_add_nc_u32_e32 v5, s22, v20
	v_add_nc_u32_e32 v6, s38, v20
	s_delay_alu instid0(VALU_DEP_2) | instskip(NEXT) | instid1(VALU_DEP_2)
	v_mul_lo_u32 v5, v5, s21
	v_mul_lo_u32 v6, v6, s23
	s_delay_alu instid0(VALU_DEP_1) | instskip(NEXT) | instid1(VALU_DEP_1)
	v_sub_nc_u32_e32 v5, v5, v6
	v_cmp_lt_u32_e64 s0, s39, v5
	s_delay_alu instid0(VALU_DEP_1)
	s_and_b32 s41, s0, exec_lo
; %bb.11:
	s_or_b32 exec_lo, exec_lo, s1
	v_add_nc_u32_e32 v5, s17, v21
	v_add_nc_u32_e32 v6, s19, v21
	s_mov_b32 s3, exec_lo
	s_delay_alu instid0(VALU_DEP_2) | instskip(NEXT) | instid1(VALU_DEP_2)
	v_mul_lo_u32 v5, v5, s16
	v_mul_lo_u32 v6, v6, s18
	s_delay_alu instid0(VALU_DEP_1) | instskip(NEXT) | instid1(VALU_DEP_1)
	v_sub_nc_u32_e32 v5, v5, v6
	v_cmp_lt_u32_e64 s0, s20, v5
	v_cmpx_ge_u32_e64 s20, v5
; %bb.12:
	v_add_nc_u32_e32 v5, s22, v21
	v_add_nc_u32_e32 v6, s38, v21
	s_delay_alu instid0(VALU_DEP_2) | instskip(NEXT) | instid1(VALU_DEP_2)
	v_mul_lo_u32 v5, v5, s21
	v_mul_lo_u32 v6, v6, s23
	s_delay_alu instid0(VALU_DEP_1) | instskip(NEXT) | instid1(VALU_DEP_1)
	v_sub_nc_u32_e32 v5, v5, v6
	v_cmp_lt_u32_e64 s1, s39, v5
	s_delay_alu instid0(VALU_DEP_1)
	s_and_b32 s42, s1, exec_lo
; %bb.13:
	s_or_b32 exec_lo, exec_lo, s3
	v_add_nc_u32_e32 v5, s17, v18
	v_add_nc_u32_e32 v6, s19, v18
	s_mov_b32 s44, 0
	s_mov_b32 s43, 0
	s_mov_b32 s4, exec_lo
	v_mul_lo_u32 v5, v5, s16
	v_mul_lo_u32 v6, v6, s18
	s_delay_alu instid0(VALU_DEP_1) | instskip(NEXT) | instid1(VALU_DEP_1)
	v_sub_nc_u32_e32 v5, v5, v6
	v_cmp_lt_u32_e64 s1, s20, v5
	v_cmpx_ge_u32_e64 s20, v5
; %bb.14:
	v_add_nc_u32_e32 v5, s22, v18
	v_add_nc_u32_e32 v6, s38, v18
	s_delay_alu instid0(VALU_DEP_2) | instskip(NEXT) | instid1(VALU_DEP_2)
	v_mul_lo_u32 v5, v5, s21
	v_mul_lo_u32 v6, v6, s23
	s_delay_alu instid0(VALU_DEP_1) | instskip(NEXT) | instid1(VALU_DEP_1)
	v_sub_nc_u32_e32 v5, v5, v6
	v_cmp_lt_u32_e64 s3, s39, v5
	s_delay_alu instid0(VALU_DEP_1)
	s_and_b32 s43, s3, exec_lo
; %bb.15:
	s_or_b32 exec_lo, exec_lo, s4
	v_add_nc_u32_e32 v5, s17, v19
	v_add_nc_u32_e32 v6, s19, v19
	s_mov_b32 s5, exec_lo
	s_delay_alu instid0(VALU_DEP_2) | instskip(NEXT) | instid1(VALU_DEP_2)
	v_mul_lo_u32 v5, v5, s16
	v_mul_lo_u32 v6, v6, s18
	s_delay_alu instid0(VALU_DEP_1) | instskip(NEXT) | instid1(VALU_DEP_1)
	v_sub_nc_u32_e32 v5, v5, v6
	v_cmp_lt_u32_e64 s3, s20, v5
	v_cmpx_ge_u32_e64 s20, v5
; %bb.16:
	v_add_nc_u32_e32 v5, s22, v19
	v_add_nc_u32_e32 v6, s38, v19
	s_delay_alu instid0(VALU_DEP_2) | instskip(NEXT) | instid1(VALU_DEP_2)
	v_mul_lo_u32 v5, v5, s21
	v_mul_lo_u32 v6, v6, s23
	s_delay_alu instid0(VALU_DEP_1) | instskip(NEXT) | instid1(VALU_DEP_1)
	v_sub_nc_u32_e32 v5, v5, v6
	v_cmp_lt_u32_e64 s4, s39, v5
	s_delay_alu instid0(VALU_DEP_1)
	s_and_b32 s44, s4, exec_lo
; %bb.17:
	s_or_b32 exec_lo, exec_lo, s5
	v_add_nc_u32_e32 v5, s17, v16
	v_add_nc_u32_e32 v6, s19, v16
	s_mov_b32 s46, 0
	s_mov_b32 s45, 0
	s_mov_b32 s6, exec_lo
	v_mul_lo_u32 v5, v5, s16
	v_mul_lo_u32 v6, v6, s18
	s_delay_alu instid0(VALU_DEP_1) | instskip(NEXT) | instid1(VALU_DEP_1)
	v_sub_nc_u32_e32 v5, v5, v6
	v_cmp_lt_u32_e64 s4, s20, v5
	;; [unrolled: 47-line block ×5, first 2 shown]
	v_cmpx_ge_u32_e64 s20, v5
; %bb.30:
	v_add_nc_u32_e32 v5, s22, v10
	v_add_nc_u32_e32 v6, s38, v10
	s_delay_alu instid0(VALU_DEP_2) | instskip(NEXT) | instid1(VALU_DEP_2)
	v_mul_lo_u32 v5, v5, s21
	v_mul_lo_u32 v6, v6, s23
	s_delay_alu instid0(VALU_DEP_1) | instskip(NEXT) | instid1(VALU_DEP_1)
	v_sub_nc_u32_e32 v5, v5, v6
	v_cmp_lt_u32_e64 s11, s39, v5
	s_delay_alu instid0(VALU_DEP_1)
	s_and_b32 s53, s11, exec_lo
; %bb.31:
	s_or_b32 exec_lo, exec_lo, s12
	v_add_nc_u32_e32 v5, s17, v11
	v_add_nc_u32_e32 v6, s19, v11
	s_mov_b32 s27, exec_lo
	s_delay_alu instid0(VALU_DEP_2) | instskip(NEXT) | instid1(VALU_DEP_2)
	v_mul_lo_u32 v5, v5, s16
	v_mul_lo_u32 v6, v6, s18
	s_delay_alu instid0(VALU_DEP_1) | instskip(NEXT) | instid1(VALU_DEP_1)
	v_sub_nc_u32_e32 v5, v5, v6
	v_cmp_lt_u32_e64 s11, s20, v5
	v_cmpx_ge_u32_e64 s20, v5
; %bb.32:
	v_add_nc_u32_e32 v5, s22, v11
	v_add_nc_u32_e32 v6, s38, v11
	s_delay_alu instid0(VALU_DEP_2) | instskip(NEXT) | instid1(VALU_DEP_2)
	v_mul_lo_u32 v5, v5, s21
	v_mul_lo_u32 v6, v6, s23
	s_delay_alu instid0(VALU_DEP_1) | instskip(NEXT) | instid1(VALU_DEP_1)
	v_sub_nc_u32_e32 v5, v5, v6
	v_cmp_lt_u32_e64 s12, s39, v5
	s_delay_alu instid0(VALU_DEP_1)
	s_and_b32 s52, s12, exec_lo
; %bb.33:
	s_or_b32 exec_lo, exec_lo, s27
	v_add_nc_u32_e32 v5, s17, v32
	v_add_nc_u32_e32 v6, s19, v32
	s_mov_b32 s27, -1
	s_mov_b32 s49, 0
	s_mov_b32 s33, 0
	v_mul_lo_u32 v5, v5, s16
	v_mul_lo_u32 v6, v6, s18
	s_mov_b32 s54, exec_lo
	s_delay_alu instid0(VALU_DEP_1) | instskip(NEXT) | instid1(VALU_DEP_1)
	v_sub_nc_u32_e32 v5, v5, v6
	v_cmpx_ge_u32_e64 s20, v5
; %bb.34:
	v_add_nc_u32_e32 v5, s22, v32
	v_add_nc_u32_e32 v6, s38, v32
	s_xor_b32 s27, exec_lo, -1
	s_delay_alu instid0(VALU_DEP_2) | instskip(NEXT) | instid1(VALU_DEP_2)
	v_mul_lo_u32 v5, v5, s21
	v_mul_lo_u32 v6, v6, s23
	s_delay_alu instid0(VALU_DEP_1) | instskip(NEXT) | instid1(VALU_DEP_1)
	v_sub_nc_u32_e32 v5, v5, v6
	v_cmp_lt_u32_e64 s12, s39, v5
	s_delay_alu instid0(VALU_DEP_1)
	s_and_b32 s33, s12, exec_lo
; %bb.35:
	s_or_b32 exec_lo, exec_lo, s54
	v_cndmask_b32_e64 v53, 0, 1, s53
	v_cndmask_b32_e64 v56, 0, 1, s11
	;; [unrolled: 1-line block ×22, first 2 shown]
	v_cndmask_b32_e64 v34, 0, 1, vcc_lo
	v_cndmask_b32_e64 v57, 0, 1, s52
	s_and_b32 vcc_lo, exec_lo, s49
	s_add_i32 s4, s40, 0xd00
	s_cbranch_vccnz .LBB1187_37
	s_branch .LBB1187_90
.LBB1187_36:
                                        ; implicit-def: $sgpr27
                                        ; implicit-def: $sgpr33
                                        ; implicit-def: $vgpr57
                                        ; implicit-def: $vgpr53
                                        ; implicit-def: $vgpr52
                                        ; implicit-def: $vgpr50
                                        ; implicit-def: $vgpr48
                                        ; implicit-def: $vgpr46
                                        ; implicit-def: $vgpr44
                                        ; implicit-def: $vgpr42
                                        ; implicit-def: $vgpr39
                                        ; implicit-def: $vgpr34
                                        ; implicit-def: $vgpr37
                                        ; implicit-def: $vgpr36
                                        ; implicit-def: $vgpr41
                                        ; implicit-def: $vgpr43
                                        ; implicit-def: $vgpr45
                                        ; implicit-def: $vgpr47
                                        ; implicit-def: $vgpr49
                                        ; implicit-def: $vgpr51
                                        ; implicit-def: $vgpr54
                                        ; implicit-def: $vgpr55
                                        ; implicit-def: $vgpr56
                                        ; implicit-def: $vgpr35
                                        ; implicit-def: $vgpr40
                                        ; implicit-def: $vgpr38
	s_add_i32 s4, s40, 0xd00
	s_cbranch_execz .LBB1187_90
.LBB1187_37:
	v_dual_mov_b32 v35, 0 :: v_dual_mov_b32 v34, 0
	s_mov_b32 s3, 0
	s_mov_b32 s1, exec_lo
	v_cmpx_gt_u32_e64 s4, v33
	s_cbranch_execz .LBB1187_41
; %bb.38:
	v_add_nc_u32_e32 v5, s17, v20
	v_add_nc_u32_e32 v6, s19, v20
	s_mov_b32 s5, exec_lo
	s_delay_alu instid0(VALU_DEP_2) | instskip(NEXT) | instid1(VALU_DEP_2)
	v_mul_lo_u32 v5, v5, s16
	v_mul_lo_u32 v6, v6, s18
	s_delay_alu instid0(VALU_DEP_1) | instskip(NEXT) | instid1(VALU_DEP_1)
	v_sub_nc_u32_e32 v5, v5, v6
	v_cmp_lt_u32_e32 vcc_lo, s20, v5
	v_cmpx_ge_u32_e64 s20, v5
; %bb.39:
	v_add_nc_u32_e32 v5, s22, v20
	v_add_nc_u32_e32 v6, s38, v20
	s_delay_alu instid0(VALU_DEP_2) | instskip(NEXT) | instid1(VALU_DEP_2)
	v_mul_lo_u32 v5, v5, s21
	v_mul_lo_u32 v6, v6, s23
	s_delay_alu instid0(VALU_DEP_1) | instskip(NEXT) | instid1(VALU_DEP_1)
	v_sub_nc_u32_e32 v5, v5, v6
	v_cmp_lt_u32_e64 s0, s39, v5
	s_delay_alu instid0(VALU_DEP_1)
	s_and_b32 s3, s0, exec_lo
; %bb.40:
	s_or_b32 exec_lo, exec_lo, s5
	v_cndmask_b32_e64 v34, 0, 1, vcc_lo
	v_cndmask_b32_e64 v35, 0, 1, s3
.LBB1187_41:
	s_or_b32 exec_lo, exec_lo, s1
	v_dual_mov_b32 v40, 0 :: v_dual_add_nc_u32 v5, 1, v33
	v_mov_b32_e32 v37, 0
	s_mov_b32 s3, 0
	s_mov_b32 s1, exec_lo
	s_delay_alu instid0(VALU_DEP_2)
	v_cmpx_gt_u32_e64 s4, v5
	s_cbranch_execz .LBB1187_45
; %bb.42:
	v_add_nc_u32_e32 v5, s17, v21
	v_add_nc_u32_e32 v6, s19, v21
	s_mov_b32 s5, exec_lo
	s_delay_alu instid0(VALU_DEP_2) | instskip(NEXT) | instid1(VALU_DEP_2)
	v_mul_lo_u32 v5, v5, s16
	v_mul_lo_u32 v6, v6, s18
	s_delay_alu instid0(VALU_DEP_1) | instskip(NEXT) | instid1(VALU_DEP_1)
	v_sub_nc_u32_e32 v5, v5, v6
	v_cmp_lt_u32_e32 vcc_lo, s20, v5
	v_cmpx_ge_u32_e64 s20, v5
; %bb.43:
	v_add_nc_u32_e32 v5, s22, v21
	v_add_nc_u32_e32 v6, s38, v21
	s_delay_alu instid0(VALU_DEP_2) | instskip(NEXT) | instid1(VALU_DEP_2)
	v_mul_lo_u32 v5, v5, s21
	v_mul_lo_u32 v6, v6, s23
	s_delay_alu instid0(VALU_DEP_1) | instskip(NEXT) | instid1(VALU_DEP_1)
	v_sub_nc_u32_e32 v5, v5, v6
	v_cmp_lt_u32_e64 s0, s39, v5
	s_delay_alu instid0(VALU_DEP_1)
	s_and_b32 s3, s0, exec_lo
; %bb.44:
	s_or_b32 exec_lo, exec_lo, s5
	v_cndmask_b32_e64 v37, 0, 1, vcc_lo
	v_cndmask_b32_e64 v40, 0, 1, s3
.LBB1187_45:
	s_or_b32 exec_lo, exec_lo, s1
	v_dual_mov_b32 v36, 0 :: v_dual_add_nc_u32 v5, 2, v33
	v_mov_b32_e32 v38, 0
	s_mov_b32 s3, 0
	s_mov_b32 s1, exec_lo
	s_delay_alu instid0(VALU_DEP_2)
	v_cmpx_gt_u32_e64 s4, v5
	s_cbranch_execz .LBB1187_49
; %bb.46:
	v_add_nc_u32_e32 v5, s17, v18
	v_add_nc_u32_e32 v6, s19, v18
	s_mov_b32 s5, exec_lo
	s_delay_alu instid0(VALU_DEP_2) | instskip(NEXT) | instid1(VALU_DEP_2)
	v_mul_lo_u32 v5, v5, s16
	v_mul_lo_u32 v6, v6, s18
	s_delay_alu instid0(VALU_DEP_1) | instskip(NEXT) | instid1(VALU_DEP_1)
	v_sub_nc_u32_e32 v5, v5, v6
	v_cmp_lt_u32_e32 vcc_lo, s20, v5
	v_cmpx_ge_u32_e64 s20, v5
; %bb.47:
	v_add_nc_u32_e32 v5, s22, v18
	v_add_nc_u32_e32 v6, s38, v18
	s_delay_alu instid0(VALU_DEP_2) | instskip(NEXT) | instid1(VALU_DEP_2)
	v_mul_lo_u32 v5, v5, s21
	v_mul_lo_u32 v6, v6, s23
	s_delay_alu instid0(VALU_DEP_1) | instskip(NEXT) | instid1(VALU_DEP_1)
	v_sub_nc_u32_e32 v5, v5, v6
	v_cmp_lt_u32_e64 s0, s39, v5
	s_delay_alu instid0(VALU_DEP_1)
	s_and_b32 s3, s0, exec_lo
; %bb.48:
	s_or_b32 exec_lo, exec_lo, s5
	v_cndmask_b32_e64 v36, 0, 1, vcc_lo
	v_cndmask_b32_e64 v38, 0, 1, s3
.LBB1187_49:
	s_or_b32 exec_lo, exec_lo, s1
	v_add_nc_u32_e32 v5, 3, v33
	v_mov_b32_e32 v39, 0
	v_mov_b32_e32 v41, 0
	s_mov_b32 s3, 0
	s_mov_b32 s1, exec_lo
	v_cmpx_gt_u32_e64 s4, v5
	s_cbranch_execz .LBB1187_53
; %bb.50:
	v_add_nc_u32_e32 v5, s17, v19
	v_add_nc_u32_e32 v6, s19, v19
	s_mov_b32 s5, exec_lo
	s_delay_alu instid0(VALU_DEP_2) | instskip(NEXT) | instid1(VALU_DEP_2)
	v_mul_lo_u32 v5, v5, s16
	v_mul_lo_u32 v6, v6, s18
	s_delay_alu instid0(VALU_DEP_1) | instskip(NEXT) | instid1(VALU_DEP_1)
	v_sub_nc_u32_e32 v5, v5, v6
	v_cmp_lt_u32_e32 vcc_lo, s20, v5
	v_cmpx_ge_u32_e64 s20, v5
; %bb.51:
	v_add_nc_u32_e32 v5, s22, v19
	v_add_nc_u32_e32 v6, s38, v19
	s_delay_alu instid0(VALU_DEP_2) | instskip(NEXT) | instid1(VALU_DEP_2)
	v_mul_lo_u32 v5, v5, s21
	v_mul_lo_u32 v6, v6, s23
	s_delay_alu instid0(VALU_DEP_1) | instskip(NEXT) | instid1(VALU_DEP_1)
	v_sub_nc_u32_e32 v5, v5, v6
	v_cmp_lt_u32_e64 s0, s39, v5
	s_delay_alu instid0(VALU_DEP_1)
	s_and_b32 s3, s0, exec_lo
; %bb.52:
	s_or_b32 exec_lo, exec_lo, s5
	v_cndmask_b32_e64 v41, 0, 1, vcc_lo
	v_cndmask_b32_e64 v39, 0, 1, s3
.LBB1187_53:
	s_or_b32 exec_lo, exec_lo, s1
	v_dual_mov_b32 v42, 0 :: v_dual_add_nc_u32 v5, 4, v33
	v_mov_b32_e32 v43, 0
	s_mov_b32 s3, 0
	s_mov_b32 s1, exec_lo
	s_delay_alu instid0(VALU_DEP_2)
	v_cmpx_gt_u32_e64 s4, v5
	s_cbranch_execz .LBB1187_57
; %bb.54:
	v_add_nc_u32_e32 v5, s17, v16
	v_add_nc_u32_e32 v6, s19, v16
	s_mov_b32 s5, exec_lo
	s_delay_alu instid0(VALU_DEP_2) | instskip(NEXT) | instid1(VALU_DEP_2)
	v_mul_lo_u32 v5, v5, s16
	v_mul_lo_u32 v6, v6, s18
	s_delay_alu instid0(VALU_DEP_1) | instskip(NEXT) | instid1(VALU_DEP_1)
	v_sub_nc_u32_e32 v5, v5, v6
	v_cmp_lt_u32_e32 vcc_lo, s20, v5
	v_cmpx_ge_u32_e64 s20, v5
; %bb.55:
	v_add_nc_u32_e32 v5, s22, v16
	v_add_nc_u32_e32 v6, s38, v16
	s_delay_alu instid0(VALU_DEP_2) | instskip(NEXT) | instid1(VALU_DEP_2)
	v_mul_lo_u32 v5, v5, s21
	v_mul_lo_u32 v6, v6, s23
	s_delay_alu instid0(VALU_DEP_1) | instskip(NEXT) | instid1(VALU_DEP_1)
	v_sub_nc_u32_e32 v5, v5, v6
	v_cmp_lt_u32_e64 s0, s39, v5
	s_delay_alu instid0(VALU_DEP_1)
	s_and_b32 s3, s0, exec_lo
; %bb.56:
	s_or_b32 exec_lo, exec_lo, s5
	v_cndmask_b32_e64 v43, 0, 1, vcc_lo
	v_cndmask_b32_e64 v42, 0, 1, s3
.LBB1187_57:
	s_or_b32 exec_lo, exec_lo, s1
	v_dual_mov_b32 v44, 0 :: v_dual_add_nc_u32 v5, 5, v33
	v_mov_b32_e32 v45, 0
	s_mov_b32 s3, 0
	s_mov_b32 s1, exec_lo
	s_delay_alu instid0(VALU_DEP_2)
	;; [unrolled: 35-line block ×6, first 2 shown]
	v_cmpx_gt_u32_e64 s4, v5
	s_cbranch_execz .LBB1187_77
; %bb.74:
	v_add_nc_u32_e32 v5, s17, v13
	v_add_nc_u32_e32 v6, s19, v13
	s_mov_b32 s5, exec_lo
	s_delay_alu instid0(VALU_DEP_2) | instskip(NEXT) | instid1(VALU_DEP_2)
	v_mul_lo_u32 v5, v5, s16
	v_mul_lo_u32 v6, v6, s18
	s_delay_alu instid0(VALU_DEP_1) | instskip(NEXT) | instid1(VALU_DEP_1)
	v_sub_nc_u32_e32 v5, v5, v6
	v_cmp_lt_u32_e32 vcc_lo, s20, v5
	v_cmpx_ge_u32_e64 s20, v5
; %bb.75:
	v_add_nc_u32_e32 v5, s22, v13
	v_add_nc_u32_e32 v6, s38, v13
	s_delay_alu instid0(VALU_DEP_2) | instskip(NEXT) | instid1(VALU_DEP_2)
	v_mul_lo_u32 v5, v5, s21
	v_mul_lo_u32 v6, v6, s23
	s_delay_alu instid0(VALU_DEP_1) | instskip(NEXT) | instid1(VALU_DEP_1)
	v_sub_nc_u32_e32 v5, v5, v6
	v_cmp_lt_u32_e64 s0, s39, v5
	s_delay_alu instid0(VALU_DEP_1)
	s_and_b32 s3, s0, exec_lo
; %bb.76:
	s_or_b32 exec_lo, exec_lo, s5
	v_cndmask_b32_e64 v54, 0, 1, vcc_lo
	v_cndmask_b32_e64 v52, 0, 1, s3
.LBB1187_77:
	s_or_b32 exec_lo, exec_lo, s1
	v_add_nc_u32_e32 v5, 10, v33
	v_mov_b32_e32 v53, 0
	v_mov_b32_e32 v55, 0
	s_mov_b32 s3, 0
	s_mov_b32 s1, exec_lo
	v_cmpx_gt_u32_e64 s4, v5
	s_cbranch_execz .LBB1187_81
; %bb.78:
	v_add_nc_u32_e32 v5, s17, v10
	v_add_nc_u32_e32 v6, s19, v10
	s_mov_b32 s5, exec_lo
	s_delay_alu instid0(VALU_DEP_2) | instskip(NEXT) | instid1(VALU_DEP_2)
	v_mul_lo_u32 v5, v5, s16
	v_mul_lo_u32 v6, v6, s18
	s_delay_alu instid0(VALU_DEP_1) | instskip(NEXT) | instid1(VALU_DEP_1)
	v_sub_nc_u32_e32 v5, v5, v6
	v_cmp_lt_u32_e32 vcc_lo, s20, v5
	v_cmpx_ge_u32_e64 s20, v5
; %bb.79:
	v_add_nc_u32_e32 v5, s22, v10
	v_add_nc_u32_e32 v6, s38, v10
	s_delay_alu instid0(VALU_DEP_2) | instskip(NEXT) | instid1(VALU_DEP_2)
	v_mul_lo_u32 v5, v5, s21
	v_mul_lo_u32 v6, v6, s23
	s_delay_alu instid0(VALU_DEP_1) | instskip(NEXT) | instid1(VALU_DEP_1)
	v_sub_nc_u32_e32 v5, v5, v6
	v_cmp_lt_u32_e64 s0, s39, v5
	s_delay_alu instid0(VALU_DEP_1)
	s_and_b32 s3, s0, exec_lo
; %bb.80:
	s_or_b32 exec_lo, exec_lo, s5
	v_cndmask_b32_e64 v55, 0, 1, vcc_lo
	v_cndmask_b32_e64 v53, 0, 1, s3
.LBB1187_81:
	s_or_b32 exec_lo, exec_lo, s1
	v_dual_mov_b32 v56, 0 :: v_dual_add_nc_u32 v5, 11, v33
	v_mov_b32_e32 v57, 0
	s_mov_b32 s3, 0
	s_mov_b32 s1, exec_lo
	s_delay_alu instid0(VALU_DEP_2)
	v_cmpx_gt_u32_e64 s4, v5
	s_cbranch_execz .LBB1187_85
; %bb.82:
	v_add_nc_u32_e32 v5, s17, v11
	v_add_nc_u32_e32 v6, s19, v11
	s_mov_b32 s5, exec_lo
	s_delay_alu instid0(VALU_DEP_2) | instskip(NEXT) | instid1(VALU_DEP_2)
	v_mul_lo_u32 v5, v5, s16
	v_mul_lo_u32 v6, v6, s18
	s_delay_alu instid0(VALU_DEP_1) | instskip(NEXT) | instid1(VALU_DEP_1)
	v_sub_nc_u32_e32 v5, v5, v6
	v_cmp_lt_u32_e32 vcc_lo, s20, v5
	v_cmpx_ge_u32_e64 s20, v5
; %bb.83:
	v_add_nc_u32_e32 v5, s22, v11
	v_add_nc_u32_e32 v6, s38, v11
	s_delay_alu instid0(VALU_DEP_2) | instskip(NEXT) | instid1(VALU_DEP_2)
	v_mul_lo_u32 v5, v5, s21
	v_mul_lo_u32 v6, v6, s23
	s_delay_alu instid0(VALU_DEP_1) | instskip(NEXT) | instid1(VALU_DEP_1)
	v_sub_nc_u32_e32 v5, v5, v6
	v_cmp_lt_u32_e64 s0, s39, v5
	s_delay_alu instid0(VALU_DEP_1)
	s_and_b32 s3, s0, exec_lo
; %bb.84:
	s_or_b32 exec_lo, exec_lo, s5
	v_cndmask_b32_e64 v56, 0, 1, vcc_lo
	v_cndmask_b32_e64 v57, 0, 1, s3
.LBB1187_85:
	s_or_b32 exec_lo, exec_lo, s1
	v_add_nc_u32_e32 v5, 12, v33
	s_mov_b32 s27, 0
	s_mov_b32 s33, 0
	s_mov_b32 s0, exec_lo
	s_delay_alu instid0(VALU_DEP_1)
	v_cmpx_gt_u32_e64 s4, v5
	s_cbranch_execz .LBB1187_89
; %bb.86:
	v_add_nc_u32_e32 v5, s17, v32
	v_add_nc_u32_e32 v6, s19, v32
	s_mov_b32 s3, -1
	s_mov_b32 s5, 0
	s_mov_b32 s1, exec_lo
	v_mul_lo_u32 v5, v5, s16
	v_mul_lo_u32 v6, v6, s18
	s_delay_alu instid0(VALU_DEP_1) | instskip(NEXT) | instid1(VALU_DEP_1)
	v_sub_nc_u32_e32 v5, v5, v6
	v_cmpx_ge_u32_e64 s20, v5
; %bb.87:
	v_add_nc_u32_e32 v5, s22, v32
	v_add_nc_u32_e32 v6, s38, v32
	s_xor_b32 s3, exec_lo, -1
	s_delay_alu instid0(VALU_DEP_2) | instskip(NEXT) | instid1(VALU_DEP_2)
	v_mul_lo_u32 v5, v5, s21
	v_mul_lo_u32 v6, v6, s23
	s_delay_alu instid0(VALU_DEP_1) | instskip(NEXT) | instid1(VALU_DEP_1)
	v_sub_nc_u32_e32 v5, v5, v6
	v_cmp_lt_u32_e32 vcc_lo, s39, v5
	s_and_b32 s5, vcc_lo, exec_lo
; %bb.88:
	s_or_b32 exec_lo, exec_lo, s1
	s_delay_alu instid0(SALU_CYCLE_1)
	s_and_b32 s33, s5, exec_lo
	s_and_b32 s27, s3, exec_lo
.LBB1187_89:
	s_or_b32 exec_lo, exec_lo, s0
.LBB1187_90:
	v_and_b32_e32 v80, 0xff, v34
	v_and_b32_e32 v81, 0xff, v35
	;; [unrolled: 1-line block ×10, first 2 shown]
	v_add3_u32 v5, v76, v78, v80
	v_add3_u32 v6, v77, v79, v81
	v_and_b32_e32 v70, 0xff, v45
	v_and_b32_e32 v71, 0xff, v44
	v_and_b32_e32 v64, 0xff, v47
	v_and_b32_e32 v65, 0xff, v46
	v_add3_u32 v5, v5, v74, v72
	v_add3_u32 v6, v6, v75, v73
	v_and_b32_e32 v68, 0xff, v49
	v_and_b32_e32 v69, 0xff, v48
	v_and_b32_e32 v66, 0xff, v51
	v_and_b32_e32 v67, 0xff, v50
	;; [unrolled: 6-line block ×3, first 2 shown]
	v_add3_u32 v5, v5, v68, v66
	v_add3_u32 v6, v6, v69, v67
	v_mbcnt_lo_u32_b32 v82, -1, 0
	v_and_b32_e32 v58, 0xff, v56
	v_and_b32_e32 v59, 0xff, v57
	v_cndmask_b32_e64 v7, 0, 1, s33
	v_add3_u32 v5, v5, v61, v60
	v_cndmask_b32_e64 v8, 0, 1, s27
	v_add3_u32 v6, v6, v62, v63
	v_and_b32_e32 v86, 15, v82
	v_and_b32_e32 v85, 16, v82
	v_lshrrev_b32_e32 v83, 5, v0
	v_add3_u32 v87, v5, v58, v8
	v_add3_u32 v88, v6, v59, v7
	v_cmp_eq_u32_e64 s1, 0, v86
	v_cmp_lt_u32_e64 s0, 1, v86
	v_cmp_lt_u32_e64 s3, 3, v86
	v_cmp_lt_u32_e32 vcc_lo, 7, v86
	v_or_b32_e32 v84, 31, v0
	s_cmp_lg_u32 s26, 0
	s_mov_b32 s5, -1
	s_cbranch_scc0 .LBB1187_118
; %bb.91:
	v_mov_b32_dpp v5, v88 row_shr:1 row_mask:0xf bank_mask:0xf
	v_mov_b32_dpp v6, v87 row_shr:1 row_mask:0xf bank_mask:0xf
	s_delay_alu instid0(VALU_DEP_2) | instskip(NEXT) | instid1(VALU_DEP_2)
	v_add_nc_u32_e32 v5, v5, v88
	v_add_nc_u32_e32 v6, v6, v87
	s_delay_alu instid0(VALU_DEP_2) | instskip(NEXT) | instid1(VALU_DEP_2)
	v_cndmask_b32_e64 v5, v5, v88, s1
	v_cndmask_b32_e64 v6, v6, v87, s1
	s_delay_alu instid0(VALU_DEP_2) | instskip(NEXT) | instid1(VALU_DEP_2)
	v_mov_b32_dpp v7, v5 row_shr:2 row_mask:0xf bank_mask:0xf
	v_mov_b32_dpp v8, v6 row_shr:2 row_mask:0xf bank_mask:0xf
	s_delay_alu instid0(VALU_DEP_2) | instskip(NEXT) | instid1(VALU_DEP_1)
	v_add_nc_u32_e32 v7, v5, v7
	v_cndmask_b32_e64 v5, v5, v7, s0
	s_delay_alu instid0(VALU_DEP_1) | instskip(NEXT) | instid1(VALU_DEP_1)
	v_mov_b32_dpp v7, v5 row_shr:4 row_mask:0xf bank_mask:0xf
	v_add_nc_u32_e32 v7, v5, v7
	s_delay_alu instid0(VALU_DEP_1) | instskip(NEXT) | instid1(VALU_DEP_1)
	v_cndmask_b32_e64 v5, v5, v7, s3
	v_mov_b32_dpp v7, v5 row_shr:8 row_mask:0xf bank_mask:0xf
	s_delay_alu instid0(VALU_DEP_1) | instskip(NEXT) | instid1(VALU_DEP_1)
	v_add_nc_u32_e32 v7, v5, v7
	v_dual_cndmask_b32 v5, v5, v7 :: v_dual_add_nc_u32 v8, v6, v8
	s_delay_alu instid0(VALU_DEP_1) | instskip(NEXT) | instid1(VALU_DEP_1)
	v_cndmask_b32_e64 v6, v6, v8, s0
	v_mov_b32_dpp v8, v6 row_shr:4 row_mask:0xf bank_mask:0xf
	s_delay_alu instid0(VALU_DEP_1) | instskip(NEXT) | instid1(VALU_DEP_1)
	v_add_nc_u32_e32 v8, v6, v8
	v_cndmask_b32_e64 v6, v6, v8, s3
	s_mov_b32 s3, exec_lo
	s_delay_alu instid0(VALU_DEP_1) | instskip(NEXT) | instid1(VALU_DEP_1)
	v_mov_b32_dpp v8, v6 row_shr:8 row_mask:0xf bank_mask:0xf
	v_add_nc_u32_e32 v8, v6, v8
	s_delay_alu instid0(VALU_DEP_1)
	v_cndmask_b32_e32 v7, v6, v8, vcc_lo
	ds_swizzle_b32 v6, v5 offset:swizzle(BROADCAST,32,15)
	v_cmp_eq_u32_e32 vcc_lo, 0, v85
	s_waitcnt lgkmcnt(0)
	v_add_nc_u32_e32 v6, v5, v6
	ds_swizzle_b32 v8, v7 offset:swizzle(BROADCAST,32,15)
	v_cndmask_b32_e32 v6, v6, v5, vcc_lo
	s_waitcnt lgkmcnt(0)
	v_add_nc_u32_e32 v8, v7, v8
	s_delay_alu instid0(VALU_DEP_1)
	v_cndmask_b32_e32 v5, v8, v7, vcc_lo
	v_cmpx_eq_u32_e64 v84, v0
	s_cbranch_execz .LBB1187_93
; %bb.92:
	v_lshlrev_b32_e32 v7, 3, v83
	ds_store_b64 v7, v[5:6]
.LBB1187_93:
	s_or_b32 exec_lo, exec_lo, s3
	s_delay_alu instid0(SALU_CYCLE_1)
	s_mov_b32 s3, exec_lo
	s_waitcnt lgkmcnt(0)
	s_barrier
	buffer_gl0_inv
	v_cmpx_gt_u32_e32 8, v0
	s_cbranch_execz .LBB1187_95
; %bb.94:
	v_lshlrev_b32_e32 v9, 3, v0
	ds_load_b64 v[7:8], v9
	s_waitcnt lgkmcnt(0)
	v_mov_b32_dpp v22, v7 row_shr:1 row_mask:0xf bank_mask:0xf
	v_mov_b32_dpp v23, v8 row_shr:1 row_mask:0xf bank_mask:0xf
	s_delay_alu instid0(VALU_DEP_2) | instskip(SKIP_1) | instid1(VALU_DEP_3)
	v_add_nc_u32_e32 v22, v22, v7
	v_and_b32_e32 v24, 7, v82
	v_add_nc_u32_e32 v23, v23, v8
	s_delay_alu instid0(VALU_DEP_2) | instskip(NEXT) | instid1(VALU_DEP_2)
	v_cmp_eq_u32_e32 vcc_lo, 0, v24
	v_dual_cndmask_b32 v8, v23, v8 :: v_dual_cndmask_b32 v7, v22, v7
	v_cmp_lt_u32_e32 vcc_lo, 1, v24
	s_delay_alu instid0(VALU_DEP_2) | instskip(NEXT) | instid1(VALU_DEP_3)
	v_mov_b32_dpp v23, v8 row_shr:2 row_mask:0xf bank_mask:0xf
	v_mov_b32_dpp v22, v7 row_shr:2 row_mask:0xf bank_mask:0xf
	s_delay_alu instid0(VALU_DEP_2) | instskip(NEXT) | instid1(VALU_DEP_2)
	v_add_nc_u32_e32 v23, v8, v23
	v_add_nc_u32_e32 v22, v7, v22
	s_delay_alu instid0(VALU_DEP_1) | instskip(SKIP_1) | instid1(VALU_DEP_2)
	v_dual_cndmask_b32 v8, v8, v23 :: v_dual_cndmask_b32 v7, v7, v22
	v_cmp_lt_u32_e32 vcc_lo, 3, v24
	v_mov_b32_dpp v23, v8 row_shr:4 row_mask:0xf bank_mask:0xf
	s_delay_alu instid0(VALU_DEP_3) | instskip(NEXT) | instid1(VALU_DEP_1)
	v_mov_b32_dpp v22, v7 row_shr:4 row_mask:0xf bank_mask:0xf
	v_dual_cndmask_b32 v23, 0, v23 :: v_dual_cndmask_b32 v22, 0, v22
	s_delay_alu instid0(VALU_DEP_1) | instskip(NEXT) | instid1(VALU_DEP_2)
	v_add_nc_u32_e32 v8, v23, v8
	v_add_nc_u32_e32 v7, v22, v7
	ds_store_b64 v9, v[7:8]
.LBB1187_95:
	s_or_b32 exec_lo, exec_lo, s3
	v_cmp_gt_u32_e32 vcc_lo, 32, v0
	v_cmp_lt_u32_e64 s3, 31, v0
	s_waitcnt lgkmcnt(0)
	s_barrier
	buffer_gl0_inv
                                        ; implicit-def: $vgpr23
	s_and_saveexec_b32 s5, s3
	s_delay_alu instid0(SALU_CYCLE_1)
	s_xor_b32 s3, exec_lo, s5
	s_cbranch_execz .LBB1187_97
; %bb.96:
	v_lshl_add_u32 v7, v83, 3, -8
	ds_load_b64 v[22:23], v7
	s_waitcnt lgkmcnt(0)
	v_add_nc_u32_e32 v6, v23, v6
	v_add_nc_u32_e32 v5, v22, v5
.LBB1187_97:
	s_and_not1_saveexec_b32 s3, s3
; %bb.98:
                                        ; implicit-def: $vgpr22
; %bb.99:
	s_delay_alu instid0(SALU_CYCLE_1) | instskip(SKIP_1) | instid1(VALU_DEP_1)
	s_or_b32 exec_lo, exec_lo, s3
	v_add_nc_u32_e32 v7, -1, v82
	v_cmp_gt_i32_e64 s3, 0, v7
	s_delay_alu instid0(VALU_DEP_1) | instskip(SKIP_1) | instid1(VALU_DEP_2)
	v_cndmask_b32_e64 v7, v7, v82, s3
	v_cmp_eq_u32_e64 s3, 0, v82
	v_lshlrev_b32_e32 v7, 2, v7
	ds_bpermute_b32 v89, v7, v5
	ds_bpermute_b32 v90, v7, v6
	s_and_saveexec_b32 s5, vcc_lo
	s_cbranch_execz .LBB1187_117
; %bb.100:
	v_mov_b32_e32 v8, 0
	ds_load_b64 v[5:6], v8 offset:56
	s_waitcnt lgkmcnt(0)
	v_readfirstlane_b32 s6, v6
	s_and_saveexec_b32 s7, s3
	s_cbranch_execz .LBB1187_102
; %bb.101:
	s_add_i32 s8, s26, 32
	s_mov_b32 s9, 0
	v_mov_b32_e32 v7, 1
	s_lshl_b64 s[10:11], s[8:9], 4
	s_mov_b32 s16, s9
	s_add_u32 s10, s36, s10
	s_addc_u32 s11, s37, s11
	s_and_b32 s17, s6, 0xff000000
	s_and_b32 s19, s6, 0xff0000
	s_mov_b32 s18, s9
	v_dual_mov_b32 v25, s11 :: v_dual_mov_b32 v24, s10
	s_or_b64 s[16:17], s[18:19], s[16:17]
	s_and_b32 s19, s6, 0xff00
	s_delay_alu instid0(SALU_CYCLE_1) | instskip(SKIP_1) | instid1(SALU_CYCLE_1)
	s_or_b64 s[16:17], s[16:17], s[18:19]
	s_and_b32 s19, s6, 0xff
	s_or_b64 s[8:9], s[16:17], s[18:19]
	s_delay_alu instid0(SALU_CYCLE_1)
	v_mov_b32_e32 v6, s9
	;;#ASMSTART
	global_store_dwordx4 v[24:25], v[5:8] off	
s_waitcnt vmcnt(0)
	;;#ASMEND
.LBB1187_102:
	s_or_b32 exec_lo, exec_lo, s7
	v_xad_u32 v24, v82, -1, s26
	s_mov_b32 s8, 0
	s_mov_b32 s7, exec_lo
	s_delay_alu instid0(VALU_DEP_1) | instskip(NEXT) | instid1(VALU_DEP_1)
	v_add_nc_u32_e32 v7, 32, v24
	v_lshlrev_b64 v[6:7], 4, v[7:8]
	s_delay_alu instid0(VALU_DEP_1) | instskip(NEXT) | instid1(VALU_DEP_2)
	v_add_co_u32 v25, vcc_lo, s36, v6
	v_add_co_ci_u32_e32 v26, vcc_lo, s37, v7, vcc_lo
	;;#ASMSTART
	global_load_dwordx4 v[6:9], v[25:26] off glc	
s_waitcnt vmcnt(0)
	;;#ASMEND
	v_and_b32_e32 v9, 0xff, v7
	v_and_b32_e32 v27, 0xff00, v7
	v_or3_b32 v6, v6, 0, 0
	v_and_b32_e32 v28, 0xff000000, v7
	v_and_b32_e32 v7, 0xff0000, v7
	s_delay_alu instid0(VALU_DEP_4) | instskip(SKIP_2) | instid1(VALU_DEP_3)
	v_or3_b32 v9, 0, v9, v27
	v_and_b32_e32 v27, 0xff, v8
	v_or3_b32 v6, v6, 0, 0
	v_or3_b32 v7, v9, v7, v28
	s_delay_alu instid0(VALU_DEP_3)
	v_cmpx_eq_u16_e32 0, v27
	s_cbranch_execz .LBB1187_105
.LBB1187_103:                           ; =>This Inner Loop Header: Depth=1
	;;#ASMSTART
	global_load_dwordx4 v[6:9], v[25:26] off glc	
s_waitcnt vmcnt(0)
	;;#ASMEND
	v_and_b32_e32 v9, 0xff, v8
	s_delay_alu instid0(VALU_DEP_1) | instskip(SKIP_1) | instid1(SALU_CYCLE_1)
	v_cmp_ne_u16_e32 vcc_lo, 0, v9
	s_or_b32 s8, vcc_lo, s8
	s_and_not1_b32 exec_lo, exec_lo, s8
	s_cbranch_execnz .LBB1187_103
; %bb.104:
	s_or_b32 exec_lo, exec_lo, s8
.LBB1187_105:
	s_delay_alu instid0(SALU_CYCLE_1) | instskip(SKIP_3) | instid1(VALU_DEP_1)
	s_or_b32 exec_lo, exec_lo, s7
	v_cmp_ne_u32_e32 vcc_lo, 31, v82
	v_lshlrev_b32_e64 v92, v82, -1
	v_add_co_ci_u32_e32 v9, vcc_lo, 0, v82, vcc_lo
	v_lshlrev_b32_e32 v91, 2, v9
	ds_bpermute_b32 v25, v91, v7
	ds_bpermute_b32 v9, v91, v6
	s_waitcnt lgkmcnt(1)
	v_add_nc_u32_e32 v25, v25, v7
	v_and_b32_e32 v26, 0xff, v8
	s_waitcnt lgkmcnt(0)
	v_add_nc_u32_e32 v9, v9, v6
	s_delay_alu instid0(VALU_DEP_2) | instskip(SKIP_2) | instid1(VALU_DEP_2)
	v_cmp_eq_u16_e32 vcc_lo, 2, v26
	v_and_or_b32 v26, vcc_lo, v92, 0x80000000
	v_cmp_gt_u32_e32 vcc_lo, 30, v82
	v_ctz_i32_b32_e32 v26, v26
	v_cndmask_b32_e64 v27, 0, 1, vcc_lo
	s_delay_alu instid0(VALU_DEP_2) | instskip(NEXT) | instid1(VALU_DEP_2)
	v_cmp_lt_u32_e32 vcc_lo, v82, v26
	v_dual_cndmask_b32 v6, v6, v9 :: v_dual_lshlrev_b32 v27, 1, v27
	s_delay_alu instid0(VALU_DEP_1)
	v_add_lshl_u32 v93, v27, v82, 2
	v_cndmask_b32_e32 v7, v7, v25, vcc_lo
	v_cmp_gt_u32_e32 vcc_lo, 28, v82
	ds_bpermute_b32 v9, v93, v6
	ds_bpermute_b32 v25, v93, v7
	v_cndmask_b32_e64 v27, 0, 1, vcc_lo
	s_waitcnt lgkmcnt(1)
	v_add_nc_u32_e32 v9, v6, v9
	s_waitcnt lgkmcnt(0)
	v_add_nc_u32_e32 v25, v7, v25
	v_add_nc_u32_e32 v94, 2, v82
	s_delay_alu instid0(VALU_DEP_1) | instskip(NEXT) | instid1(VALU_DEP_3)
	v_cmp_gt_u32_e32 vcc_lo, v94, v26
	v_cndmask_b32_e32 v7, v25, v7, vcc_lo
	v_dual_cndmask_b32 v6, v9, v6 :: v_dual_lshlrev_b32 v27, 2, v27
	v_cmp_gt_u32_e32 vcc_lo, 24, v82
	s_delay_alu instid0(VALU_DEP_2) | instskip(SKIP_4) | instid1(VALU_DEP_1)
	v_add_lshl_u32 v95, v27, v82, 2
	v_cndmask_b32_e64 v27, 0, 1, vcc_lo
	ds_bpermute_b32 v25, v95, v7
	ds_bpermute_b32 v9, v95, v6
	v_lshlrev_b32_e32 v27, 3, v27
	v_add_lshl_u32 v97, v27, v82, 2
	s_waitcnt lgkmcnt(1)
	v_add_nc_u32_e32 v25, v7, v25
	v_add_nc_u32_e32 v96, 4, v82
	s_waitcnt lgkmcnt(0)
	v_add_nc_u32_e32 v9, v6, v9
	s_delay_alu instid0(VALU_DEP_2) | instskip(SKIP_1) | instid1(VALU_DEP_3)
	v_cmp_gt_u32_e32 vcc_lo, v96, v26
	v_cndmask_b32_e32 v7, v25, v7, vcc_lo
	v_cndmask_b32_e32 v6, v9, v6, vcc_lo
	v_cmp_gt_u32_e32 vcc_lo, 16, v82
	ds_bpermute_b32 v25, v97, v7
	ds_bpermute_b32 v9, v97, v6
	v_cndmask_b32_e64 v27, 0, 1, vcc_lo
	s_delay_alu instid0(VALU_DEP_1) | instskip(NEXT) | instid1(VALU_DEP_1)
	v_lshlrev_b32_e32 v27, 4, v27
	v_add_lshl_u32 v99, v27, v82, 2
	s_waitcnt lgkmcnt(1)
	v_add_nc_u32_e32 v25, v7, v25
	v_add_nc_u32_e32 v98, 8, v82
	s_waitcnt lgkmcnt(0)
	v_add_nc_u32_e32 v9, v6, v9
	s_delay_alu instid0(VALU_DEP_2) | instskip(SKIP_1) | instid1(VALU_DEP_3)
	v_cmp_gt_u32_e32 vcc_lo, v98, v26
	v_cndmask_b32_e32 v7, v25, v7, vcc_lo
	v_cndmask_b32_e32 v6, v9, v6, vcc_lo
	ds_bpermute_b32 v25, v99, v7
	ds_bpermute_b32 v9, v99, v6
	v_add_nc_u32_e32 v100, 16, v82
	s_delay_alu instid0(VALU_DEP_1) | instskip(SKIP_2) | instid1(VALU_DEP_1)
	v_cmp_le_u32_e32 vcc_lo, v100, v26
	s_waitcnt lgkmcnt(0)
	v_cndmask_b32_e32 v9, 0, v9, vcc_lo
	v_dual_cndmask_b32 v25, 0, v25 :: v_dual_add_nc_u32 v6, v9, v6
	s_delay_alu instid0(VALU_DEP_1)
	v_add_nc_u32_e32 v7, v25, v7
	v_mov_b32_e32 v25, 0
	s_branch .LBB1187_107
.LBB1187_106:                           ;   in Loop: Header=BB1187_107 Depth=1
	s_or_b32 exec_lo, exec_lo, s7
	ds_bpermute_b32 v9, v91, v6
	ds_bpermute_b32 v28, v91, v7
	v_subrev_nc_u32_e32 v24, 32, v24
	s_waitcnt lgkmcnt(1)
	v_add_nc_u32_e32 v9, v9, v6
	v_and_b32_e32 v29, 0xff, v8
	s_waitcnt lgkmcnt(0)
	v_add_nc_u32_e32 v28, v28, v7
	s_delay_alu instid0(VALU_DEP_2) | instskip(SKIP_1) | instid1(VALU_DEP_1)
	v_cmp_eq_u16_e32 vcc_lo, 2, v29
	v_and_or_b32 v29, vcc_lo, v92, 0x80000000
	v_ctz_i32_b32_e32 v29, v29
	s_delay_alu instid0(VALU_DEP_1)
	v_cmp_lt_u32_e32 vcc_lo, v82, v29
	v_cndmask_b32_e32 v6, v6, v9, vcc_lo
	ds_bpermute_b32 v9, v93, v6
	s_waitcnt lgkmcnt(0)
	v_add_nc_u32_e32 v9, v6, v9
	v_cndmask_b32_e32 v7, v7, v28, vcc_lo
	v_cmp_gt_u32_e32 vcc_lo, v94, v29
	s_delay_alu instid0(VALU_DEP_3)
	v_cndmask_b32_e32 v6, v9, v6, vcc_lo
	ds_bpermute_b32 v28, v93, v7
	ds_bpermute_b32 v9, v95, v6
	s_waitcnt lgkmcnt(1)
	v_add_nc_u32_e32 v28, v7, v28
	s_waitcnt lgkmcnt(0)
	v_add_nc_u32_e32 v9, v6, v9
	s_delay_alu instid0(VALU_DEP_2) | instskip(SKIP_1) | instid1(VALU_DEP_3)
	v_cndmask_b32_e32 v7, v28, v7, vcc_lo
	v_cmp_gt_u32_e32 vcc_lo, v96, v29
	v_cndmask_b32_e32 v6, v9, v6, vcc_lo
	ds_bpermute_b32 v28, v95, v7
	ds_bpermute_b32 v9, v97, v6
	s_waitcnt lgkmcnt(1)
	v_add_nc_u32_e32 v28, v7, v28
	s_waitcnt lgkmcnt(0)
	v_add_nc_u32_e32 v9, v6, v9
	s_delay_alu instid0(VALU_DEP_2) | instskip(SKIP_1) | instid1(VALU_DEP_3)
	v_cndmask_b32_e32 v7, v28, v7, vcc_lo
	v_cmp_gt_u32_e32 vcc_lo, v98, v29
	v_cndmask_b32_e32 v6, v9, v6, vcc_lo
	ds_bpermute_b32 v28, v97, v7
	ds_bpermute_b32 v9, v99, v6
	s_waitcnt lgkmcnt(1)
	v_add_nc_u32_e32 v28, v7, v28
	s_delay_alu instid0(VALU_DEP_1) | instskip(SKIP_4) | instid1(VALU_DEP_1)
	v_cndmask_b32_e32 v7, v28, v7, vcc_lo
	v_cmp_le_u32_e32 vcc_lo, v100, v29
	ds_bpermute_b32 v28, v99, v7
	s_waitcnt lgkmcnt(1)
	v_cndmask_b32_e32 v9, 0, v9, vcc_lo
	v_add3_u32 v6, v6, v26, v9
	s_waitcnt lgkmcnt(0)
	v_cndmask_b32_e32 v28, 0, v28, vcc_lo
	s_delay_alu instid0(VALU_DEP_1)
	v_add3_u32 v7, v7, v27, v28
.LBB1187_107:                           ; =>This Loop Header: Depth=1
                                        ;     Child Loop BB1187_110 Depth 2
	s_delay_alu instid0(VALU_DEP_1) | instskip(SKIP_1) | instid1(VALU_DEP_2)
	v_dual_mov_b32 v27, v7 :: v_dual_and_b32 v8, 0xff, v8
	v_mov_b32_e32 v26, v6
	v_cmp_ne_u16_e32 vcc_lo, 2, v8
	v_cndmask_b32_e64 v8, 0, 1, vcc_lo
	;;#ASMSTART
	;;#ASMEND
	s_delay_alu instid0(VALU_DEP_1)
	v_cmp_ne_u32_e32 vcc_lo, 0, v8
	s_cmp_lg_u32 vcc_lo, exec_lo
	s_cbranch_scc1 .LBB1187_112
; %bb.108:                              ;   in Loop: Header=BB1187_107 Depth=1
	v_lshlrev_b64 v[6:7], 4, v[24:25]
	s_mov_b32 s7, exec_lo
	s_delay_alu instid0(VALU_DEP_1) | instskip(NEXT) | instid1(VALU_DEP_2)
	v_add_co_u32 v28, vcc_lo, s36, v6
	v_add_co_ci_u32_e32 v29, vcc_lo, s37, v7, vcc_lo
	;;#ASMSTART
	global_load_dwordx4 v[6:9], v[28:29] off glc	
s_waitcnt vmcnt(0)
	;;#ASMEND
	v_and_b32_e32 v9, 0xff, v7
	v_and_b32_e32 v101, 0xff00, v7
	v_or3_b32 v6, v6, 0, 0
	v_and_b32_e32 v102, 0xff000000, v7
	v_and_b32_e32 v7, 0xff0000, v7
	s_delay_alu instid0(VALU_DEP_4) | instskip(SKIP_2) | instid1(VALU_DEP_3)
	v_or3_b32 v9, 0, v9, v101
	v_and_b32_e32 v101, 0xff, v8
	v_or3_b32 v6, v6, 0, 0
	v_or3_b32 v7, v9, v7, v102
	s_delay_alu instid0(VALU_DEP_3)
	v_cmpx_eq_u16_e32 0, v101
	s_cbranch_execz .LBB1187_106
; %bb.109:                              ;   in Loop: Header=BB1187_107 Depth=1
	s_mov_b32 s8, 0
.LBB1187_110:                           ;   Parent Loop BB1187_107 Depth=1
                                        ; =>  This Inner Loop Header: Depth=2
	;;#ASMSTART
	global_load_dwordx4 v[6:9], v[28:29] off glc	
s_waitcnt vmcnt(0)
	;;#ASMEND
	v_and_b32_e32 v9, 0xff, v8
	s_delay_alu instid0(VALU_DEP_1) | instskip(SKIP_1) | instid1(SALU_CYCLE_1)
	v_cmp_ne_u16_e32 vcc_lo, 0, v9
	s_or_b32 s8, vcc_lo, s8
	s_and_not1_b32 exec_lo, exec_lo, s8
	s_cbranch_execnz .LBB1187_110
; %bb.111:                              ;   in Loop: Header=BB1187_107 Depth=1
	s_or_b32 exec_lo, exec_lo, s8
	s_branch .LBB1187_106
.LBB1187_112:                           ;   in Loop: Header=BB1187_107 Depth=1
                                        ; implicit-def: $vgpr8
                                        ; implicit-def: $vgpr6_vgpr7
	s_cbranch_execz .LBB1187_107
; %bb.113:
	s_and_saveexec_b32 s7, s3
	s_cbranch_execnz .LBB1187_356
; %bb.114:
	s_or_b32 exec_lo, exec_lo, s7
	s_and_saveexec_b32 s7, s3
	s_cbranch_execnz .LBB1187_357
.LBB1187_115:
	s_or_b32 exec_lo, exec_lo, s7
	s_delay_alu instid0(SALU_CYCLE_1)
	s_and_b32 exec_lo, exec_lo, s2
	s_cbranch_execz .LBB1187_117
.LBB1187_116:
	v_mov_b32_e32 v5, 0
	ds_store_b64 v5, v[26:27] offset:56
.LBB1187_117:
	s_or_b32 exec_lo, exec_lo, s5
	s_waitcnt lgkmcnt(1)
	v_cndmask_b32_e64 v22, v89, v22, s3
	v_mov_b32_e32 v5, 0
	s_waitcnt lgkmcnt(0)
	s_barrier
	buffer_gl0_inv
	v_add_nc_u32_e64 v7, 0x3400, 0
	ds_load_b64 v[24:25], v5 offset:56
	s_waitcnt lgkmcnt(0)
	s_barrier
	buffer_gl0_inv
	ds_load_2addr_b32 v[5:6], v7 offset1:2
	ds_load_2addr_b32 v[7:8], v7 offset0:4 offset1:6
	v_cndmask_b32_e64 v9, v90, v23, s3
	v_add_nc_u32_e32 v22, v24, v22
	s_delay_alu instid0(VALU_DEP_2) | instskip(NEXT) | instid1(VALU_DEP_2)
	v_add_nc_u32_e32 v9, v25, v9
	v_cndmask_b32_e64 v22, v22, v24, s2
	s_delay_alu instid0(VALU_DEP_2)
	v_cndmask_b32_e64 v9, v9, v25, s2
	s_branch .LBB1187_128
.LBB1187_118:
                                        ; implicit-def: $vgpr9
                                        ; implicit-def: $vgpr7
                                        ; implicit-def: $vgpr5
                                        ; implicit-def: $vgpr22_vgpr23
	s_and_b32 vcc_lo, exec_lo, s5
	s_cbranch_vccz .LBB1187_128
; %bb.119:
	s_waitcnt lgkmcnt(1)
	v_mov_b32_dpp v6, v88 row_shr:1 row_mask:0xf bank_mask:0xf
	v_cmp_lt_u32_e32 vcc_lo, 3, v86
	v_mov_b32_dpp v5, v87 row_shr:1 row_mask:0xf bank_mask:0xf
	s_delay_alu instid0(VALU_DEP_3) | instskip(NEXT) | instid1(VALU_DEP_1)
	v_add_nc_u32_e32 v6, v6, v88
	v_cndmask_b32_e64 v6, v6, v88, s1
	s_waitcnt lgkmcnt(0)
	s_delay_alu instid0(VALU_DEP_1) | instskip(NEXT) | instid1(VALU_DEP_1)
	v_mov_b32_dpp v8, v6 row_shr:2 row_mask:0xf bank_mask:0xf
	v_add_nc_u32_e32 v8, v6, v8
	s_delay_alu instid0(VALU_DEP_1) | instskip(NEXT) | instid1(VALU_DEP_1)
	v_cndmask_b32_e64 v6, v6, v8, s0
	v_mov_b32_dpp v8, v6 row_shr:4 row_mask:0xf bank_mask:0xf
	s_delay_alu instid0(VALU_DEP_1) | instskip(NEXT) | instid1(VALU_DEP_1)
	v_add_nc_u32_e32 v8, v6, v8
	v_dual_cndmask_b32 v6, v6, v8 :: v_dual_add_nc_u32 v5, v5, v87
	s_delay_alu instid0(VALU_DEP_1) | instskip(NEXT) | instid1(VALU_DEP_2)
	v_cndmask_b32_e64 v5, v5, v87, s1
	v_mov_b32_dpp v8, v6 row_shr:8 row_mask:0xf bank_mask:0xf
	s_delay_alu instid0(VALU_DEP_2) | instskip(NEXT) | instid1(VALU_DEP_2)
	v_mov_b32_dpp v7, v5 row_shr:2 row_mask:0xf bank_mask:0xf
	v_add_nc_u32_e32 v8, v6, v8
	s_delay_alu instid0(VALU_DEP_2) | instskip(NEXT) | instid1(VALU_DEP_1)
	v_add_nc_u32_e32 v7, v5, v7
	v_cndmask_b32_e64 v5, v5, v7, s0
	s_mov_b32 s0, exec_lo
	s_delay_alu instid0(VALU_DEP_1) | instskip(NEXT) | instid1(VALU_DEP_1)
	v_mov_b32_dpp v7, v5 row_shr:4 row_mask:0xf bank_mask:0xf
	v_add_nc_u32_e32 v7, v5, v7
	s_delay_alu instid0(VALU_DEP_1) | instskip(SKIP_1) | instid1(VALU_DEP_2)
	v_cndmask_b32_e32 v5, v5, v7, vcc_lo
	v_cmp_lt_u32_e32 vcc_lo, 7, v86
	v_mov_b32_dpp v7, v5 row_shr:8 row_mask:0xf bank_mask:0xf
	s_delay_alu instid0(VALU_DEP_1) | instskip(NEXT) | instid1(VALU_DEP_1)
	v_dual_cndmask_b32 v6, v6, v8 :: v_dual_add_nc_u32 v7, v5, v7
	v_cndmask_b32_e32 v5, v5, v7, vcc_lo
	ds_swizzle_b32 v7, v6 offset:swizzle(BROADCAST,32,15)
	v_cmp_eq_u32_e32 vcc_lo, 0, v85
	ds_swizzle_b32 v8, v5 offset:swizzle(BROADCAST,32,15)
	s_waitcnt lgkmcnt(1)
	v_add_nc_u32_e32 v7, v6, v7
	s_waitcnt lgkmcnt(0)
	v_add_nc_u32_e32 v8, v5, v8
	s_delay_alu instid0(VALU_DEP_1)
	v_dual_cndmask_b32 v6, v7, v6 :: v_dual_cndmask_b32 v5, v8, v5
	v_cmpx_eq_u32_e64 v84, v0
	s_cbranch_execz .LBB1187_121
; %bb.120:
	v_lshlrev_b32_e32 v7, 3, v83
	ds_store_b64 v7, v[5:6]
.LBB1187_121:
	s_or_b32 exec_lo, exec_lo, s0
	s_delay_alu instid0(SALU_CYCLE_1)
	s_mov_b32 s0, exec_lo
	s_waitcnt lgkmcnt(0)
	s_barrier
	buffer_gl0_inv
	v_cmpx_gt_u32_e32 8, v0
	s_cbranch_execz .LBB1187_123
; %bb.122:
	v_lshlrev_b32_e32 v9, 3, v0
	ds_load_b64 v[7:8], v9
	s_waitcnt lgkmcnt(0)
	v_mov_b32_dpp v22, v7 row_shr:1 row_mask:0xf bank_mask:0xf
	v_mov_b32_dpp v23, v8 row_shr:1 row_mask:0xf bank_mask:0xf
	s_delay_alu instid0(VALU_DEP_2) | instskip(SKIP_1) | instid1(VALU_DEP_3)
	v_add_nc_u32_e32 v22, v22, v7
	v_and_b32_e32 v24, 7, v82
	v_add_nc_u32_e32 v23, v23, v8
	s_delay_alu instid0(VALU_DEP_2) | instskip(NEXT) | instid1(VALU_DEP_2)
	v_cmp_eq_u32_e32 vcc_lo, 0, v24
	v_dual_cndmask_b32 v8, v23, v8 :: v_dual_cndmask_b32 v7, v22, v7
	v_cmp_lt_u32_e32 vcc_lo, 1, v24
	s_delay_alu instid0(VALU_DEP_2) | instskip(NEXT) | instid1(VALU_DEP_3)
	v_mov_b32_dpp v23, v8 row_shr:2 row_mask:0xf bank_mask:0xf
	v_mov_b32_dpp v22, v7 row_shr:2 row_mask:0xf bank_mask:0xf
	s_delay_alu instid0(VALU_DEP_2) | instskip(NEXT) | instid1(VALU_DEP_2)
	v_add_nc_u32_e32 v23, v8, v23
	v_add_nc_u32_e32 v22, v7, v22
	s_delay_alu instid0(VALU_DEP_1) | instskip(SKIP_1) | instid1(VALU_DEP_2)
	v_dual_cndmask_b32 v8, v8, v23 :: v_dual_cndmask_b32 v7, v7, v22
	v_cmp_lt_u32_e32 vcc_lo, 3, v24
	v_mov_b32_dpp v23, v8 row_shr:4 row_mask:0xf bank_mask:0xf
	s_delay_alu instid0(VALU_DEP_3) | instskip(NEXT) | instid1(VALU_DEP_1)
	v_mov_b32_dpp v22, v7 row_shr:4 row_mask:0xf bank_mask:0xf
	v_dual_cndmask_b32 v23, 0, v23 :: v_dual_cndmask_b32 v22, 0, v22
	s_delay_alu instid0(VALU_DEP_1) | instskip(NEXT) | instid1(VALU_DEP_2)
	v_add_nc_u32_e32 v8, v23, v8
	v_add_nc_u32_e32 v7, v22, v7
	ds_store_b64 v9, v[7:8]
.LBB1187_123:
	s_or_b32 exec_lo, exec_lo, s0
	v_dual_mov_b32 v7, 0 :: v_dual_mov_b32 v22, 0
	v_mov_b32_e32 v23, 0
	s_mov_b32 s0, exec_lo
	s_waitcnt lgkmcnt(0)
	s_barrier
	buffer_gl0_inv
	v_cmpx_lt_u32_e32 31, v0
	s_cbranch_execz .LBB1187_125
; %bb.124:
	v_lshl_add_u32 v8, v83, 3, -8
	ds_load_b64 v[22:23], v8
.LBB1187_125:
	s_or_b32 exec_lo, exec_lo, s0
	v_add_nc_u32_e32 v8, -1, v82
	s_waitcnt lgkmcnt(0)
	v_add_nc_u32_e32 v24, v23, v6
	v_add_nc_u32_e32 v9, v22, v5
	ds_load_b64 v[5:6], v7 offset:56
	v_cmp_gt_i32_e32 vcc_lo, 0, v8
	v_cndmask_b32_e32 v8, v8, v82, vcc_lo
	s_delay_alu instid0(VALU_DEP_1)
	v_lshlrev_b32_e32 v8, 2, v8
	ds_bpermute_b32 v9, v8, v9
	ds_bpermute_b32 v24, v8, v24
	s_waitcnt lgkmcnt(2)
	v_readfirstlane_b32 s0, v6
	s_and_saveexec_b32 s1, s2
	s_cbranch_execz .LBB1187_127
; %bb.126:
	s_mov_b32 s8, 0
	s_add_u32 s6, s36, 0x200
	s_addc_u32 s7, s37, 0
	s_and_b32 s9, s0, 0xff000000
	s_and_b32 s11, s0, 0xff0000
	s_mov_b32 s10, s8
	v_mov_b32_e32 v26, s7
	s_or_b64 s[10:11], s[10:11], s[8:9]
	s_and_b32 s9, s0, 0xff00
	v_dual_mov_b32 v8, 0 :: v_dual_mov_b32 v25, s6
	s_or_b64 s[10:11], s[10:11], s[8:9]
	s_and_b32 s9, s0, 0xff
	v_mov_b32_e32 v7, 2
	s_or_b64 s[8:9], s[10:11], s[8:9]
	s_delay_alu instid0(SALU_CYCLE_1)
	v_mov_b32_e32 v6, s9
	;;#ASMSTART
	global_store_dwordx4 v[25:26], v[5:8] off	
s_waitcnt vmcnt(0)
	;;#ASMEND
.LBB1187_127:
	s_or_b32 exec_lo, exec_lo, s1
	v_cmp_eq_u32_e32 vcc_lo, 0, v82
	v_dual_mov_b32 v7, 0 :: v_dual_mov_b32 v6, s0
	s_waitcnt lgkmcnt(0)
	s_barrier
	v_dual_cndmask_b32 v8, v9, v22 :: v_dual_cndmask_b32 v9, v24, v23
	buffer_gl0_inv
	v_cndmask_b32_e64 v22, v8, 0, s2
	v_cndmask_b32_e64 v9, v9, 0, s2
	v_mov_b32_e32 v8, 0
.LBB1187_128:
	s_delay_alu instid0(VALU_DEP_1) | instskip(SKIP_1) | instid1(VALU_DEP_2)
	v_add_nc_u32_e32 v24, v9, v81
	s_waitcnt lgkmcnt(0)
	v_sub_nc_u32_e32 v9, v9, v8
	v_add_co_u32 v1, vcc_lo, v1, v7
	v_and_b32_e32 v35, 1, v35
	v_add_nc_u32_e32 v26, v24, v77
	v_sub_nc_u32_e32 v24, v24, v8
	v_lshlrev_b32_e32 v77, 1, v5
	v_add_nc_u32_e32 v9, v9, v5
	v_add_co_ci_u32_e32 v2, vcc_lo, 0, v2, vcc_lo
	v_add_nc_u32_e32 v28, v26, v79
	s_delay_alu instid0(VALU_DEP_4)
	v_add3_u32 v33, v77, v6, v33
	v_and_b32_e32 v40, 1, v40
	v_and_b32_e32 v37, 1, v37
	;; [unrolled: 1-line block ×3, first 2 shown]
	v_add_nc_u32_e32 v29, v28, v75
	v_sub_nc_u32_e32 v28, v28, v8
	v_sub_co_u32 v75, vcc_lo, v3, v5
	s_add_u32 s1, s14, -4
	s_delay_alu instid0(VALU_DEP_3) | instskip(SKIP_4) | instid1(VALU_DEP_3)
	v_add_nc_u32_e32 v73, v29, v73
	v_sub_nc_u32_e32 v29, v29, v8
	v_add_nc_u32_e32 v28, v28, v5
	v_add_nc_u32_e32 v24, v24, v5
	s_mov_b32 s3, -1
	v_add_nc_u32_e32 v29, v29, v5
	v_add_nc_u32_e32 v23, v22, v80
	v_sub_nc_u32_e32 v22, v22, v7
	s_delay_alu instid0(VALU_DEP_2) | instskip(SKIP_3) | instid1(VALU_DEP_3)
	v_add_nc_u32_e32 v25, v23, v76
	v_sub_nc_u32_e32 v23, v23, v7
	v_subrev_co_ci_u32_e32 v76, vcc_lo, 0, v4, vcc_lo
	v_cmp_eq_u32_e32 vcc_lo, 1, v35
	v_add_nc_u32_e32 v79, v24, v23
	s_delay_alu instid0(VALU_DEP_1) | instskip(NEXT) | instid1(VALU_DEP_1)
	v_sub_nc_u32_e32 v79, v33, v79
	v_add_nc_u32_e32 v79, 1, v79
	v_add_nc_u32_e32 v27, v25, v78
	;; [unrolled: 1-line block ×3, first 2 shown]
	s_delay_alu instid0(VALU_DEP_1) | instskip(NEXT) | instid1(VALU_DEP_1)
	v_sub_nc_u32_e32 v78, v33, v78
	v_dual_cndmask_b32 v9, v78, v9 :: v_dual_and_b32 v34, 1, v34
	v_cmp_eq_u32_e32 vcc_lo, 1, v40
	v_cndmask_b32_e32 v24, v79, v24, vcc_lo
	s_delay_alu instid0(VALU_DEP_3) | instskip(NEXT) | instid1(VALU_DEP_4)
	v_cmp_eq_u32_e32 vcc_lo, 1, v34
	v_cndmask_b32_e32 v9, v9, v22, vcc_lo
	v_sub_nc_u32_e32 v26, v26, v8
	v_cmp_eq_u32_e32 vcc_lo, 1, v37
	v_and_b32_e32 v37, 1, v38
	s_delay_alu instid0(VALU_DEP_4) | instskip(NEXT) | instid1(VALU_DEP_4)
	v_lshlrev_b32_e32 v9, 2, v9
	v_add_nc_u32_e32 v26, v26, v5
	v_cndmask_b32_e32 v24, v24, v23, vcc_lo
	v_sub_nc_u32_e32 v25, v25, v7
	v_add_co_u32 v22, vcc_lo, v75, v8
	v_add_co_ci_u32_e32 v23, vcc_lo, 0, v76, vcc_lo
	s_delay_alu instid0(VALU_DEP_3)
	v_add_nc_u32_e32 v34, v26, v25
	v_cmp_eq_u32_e32 vcc_lo, 1, v37
	v_lshlrev_b32_e32 v24, 2, v24
	ds_store_b32 v9, v20
	v_sub_nc_u32_e32 v34, v33, v34
	ds_store_b32 v24, v21
	v_and_b32_e32 v24, 1, v39
	v_add_nc_u32_e32 v34, 2, v34
	s_delay_alu instid0(VALU_DEP_1) | instskip(SKIP_3) | instid1(VALU_DEP_4)
	v_cndmask_b32_e32 v26, v34, v26, vcc_lo
	v_cmp_eq_u32_e32 vcc_lo, 1, v36
	v_add_nc_u32_e32 v74, v27, v74
	v_sub_nc_u32_e32 v27, v27, v7
	v_cndmask_b32_e32 v25, v26, v25, vcc_lo
	s_delay_alu instid0(VALU_DEP_3) | instskip(NEXT) | instid1(VALU_DEP_3)
	v_sub_nc_u32_e32 v37, v74, v7
	v_add_nc_u32_e32 v34, v27, v28
	v_cmp_eq_u32_e32 vcc_lo, 1, v24
	v_sub_nc_u32_e32 v26, v73, v8
	v_lshlrev_b32_e32 v21, 2, v25
	v_and_b32_e32 v25, 1, v41
	v_sub_nc_u32_e32 v9, v33, v34
	v_add_nc_u32_e32 v20, v37, v29
	v_and_b32_e32 v24, 1, v42
	v_add_nc_u32_e32 v26, v26, v5
	ds_store_b32 v21, v18
	v_add_nc_u32_e32 v9, 3, v9
	v_sub_nc_u32_e32 v20, v33, v20
	s_delay_alu instid0(VALU_DEP_2) | instskip(SKIP_2) | instid1(VALU_DEP_4)
	v_cndmask_b32_e32 v9, v9, v28, vcc_lo
	v_cmp_eq_u32_e32 vcc_lo, 1, v25
	v_add_nc_u32_e32 v72, v74, v72
	v_add_nc_u32_e32 v20, 4, v20
	v_and_b32_e32 v25, 1, v43
	v_cndmask_b32_e32 v9, v9, v27, vcc_lo
	s_delay_alu instid0(VALU_DEP_4)
	v_sub_nc_u32_e32 v28, v72, v7
	v_cmp_eq_u32_e32 vcc_lo, 1, v24
	v_and_b32_e32 v24, 1, v44
	v_add_nc_u32_e32 v70, v72, v70
	v_lshlrev_b32_e32 v9, 2, v9
	v_add_nc_u32_e32 v27, v28, v26
	v_cndmask_b32_e32 v20, v20, v29, vcc_lo
	v_cmp_eq_u32_e32 vcc_lo, 1, v25
	v_and_b32_e32 v25, 1, v45
	v_add_nc_u32_e32 v64, v70, v64
	v_sub_nc_u32_e32 v18, v33, v27
	v_sub_nc_u32_e32 v27, v70, v7
	v_cndmask_b32_e32 v20, v20, v37, vcc_lo
	v_cmp_eq_u32_e32 vcc_lo, 1, v24
	ds_store_b32 v9, v19
	v_add_nc_u32_e32 v18, 5, v18
	v_and_b32_e32 v19, 1, v46
	v_lshlrev_b32_e32 v20, 2, v20
	v_add_nc_u32_e32 v68, v64, v68
	s_delay_alu instid0(VALU_DEP_4)
	v_cndmask_b32_e32 v18, v18, v26, vcc_lo
	v_cmp_eq_u32_e32 vcc_lo, 1, v25
	v_sub_nc_u32_e32 v25, v64, v7
	ds_store_b32 v20, v16
	v_and_b32_e32 v20, 1, v49
	v_add_nc_u32_e32 v66, v68, v66
	v_dual_cndmask_b32 v18, v18, v28 :: v_dual_add_nc_u32 v71, v73, v71
	v_cmp_eq_u32_e32 vcc_lo, 1, v19
	v_and_b32_e32 v19, 1, v48
	s_delay_alu instid0(VALU_DEP_4) | instskip(NEXT) | instid1(VALU_DEP_4)
	v_add_nc_u32_e32 v61, v66, v61
	v_lshlrev_b32_e32 v18, 2, v18
	v_add_nc_u32_e32 v65, v71, v65
	v_sub_nc_u32_e32 v21, v71, v8
	s_delay_alu instid0(VALU_DEP_4)
	v_add_nc_u32_e32 v60, v61, v60
	ds_store_b32 v18, v17
	v_sub_nc_u32_e32 v24, v65, v8
	v_add_nc_u32_e32 v21, v21, v5
	v_add_nc_u32_e32 v69, v65, v69
	v_and_b32_e32 v17, 1, v47
	s_delay_alu instid0(VALU_DEP_4) | instskip(NEXT) | instid1(VALU_DEP_4)
	v_add_nc_u32_e32 v24, v24, v5
	v_add_nc_u32_e32 v26, v27, v21
	s_delay_alu instid0(VALU_DEP_4) | instskip(NEXT) | instid1(VALU_DEP_3)
	v_sub_nc_u32_e32 v18, v69, v8
	v_add_nc_u32_e32 v16, v25, v24
	s_delay_alu instid0(VALU_DEP_3) | instskip(NEXT) | instid1(VALU_DEP_3)
	v_sub_nc_u32_e32 v9, v33, v26
	v_add_nc_u32_e32 v18, v18, v5
	v_sub_nc_u32_e32 v26, v60, v7
	s_delay_alu instid0(VALU_DEP_4) | instskip(NEXT) | instid1(VALU_DEP_4)
	v_sub_nc_u32_e32 v16, v33, v16
	v_add_nc_u32_e32 v9, 6, v9
	s_delay_alu instid0(VALU_DEP_1) | instskip(SKIP_2) | instid1(VALU_DEP_3)
	v_dual_cndmask_b32 v9, v9, v21 :: v_dual_add_nc_u32 v16, 7, v16
	v_cmp_eq_u32_e32 vcc_lo, 1, v19
	v_sub_nc_u32_e32 v21, v68, v7
	v_cndmask_b32_e32 v16, v16, v24, vcc_lo
	v_cmp_eq_u32_e32 vcc_lo, 1, v17
	s_delay_alu instid0(VALU_DEP_3) | instskip(SKIP_3) | instid1(VALU_DEP_4)
	v_add_nc_u32_e32 v17, v21, v18
	v_cndmask_b32_e32 v9, v9, v27, vcc_lo
	v_cmp_eq_u32_e32 vcc_lo, 1, v20
	v_add_nc_u32_e32 v67, v69, v67
	v_sub_nc_u32_e32 v17, v33, v17
	v_sub_nc_u32_e32 v20, v66, v7
	v_lshlrev_b32_e32 v9, 2, v9
	v_cndmask_b32_e32 v16, v16, v25, vcc_lo
	v_sub_nc_u32_e32 v19, v67, v8
	v_add_nc_u32_e32 v62, v67, v62
	v_sub_nc_u32_e32 v25, v61, v7
	ds_store_b32 v9, v14
	v_and_b32_e32 v9, 1, v50
	v_add_nc_u32_e32 v19, v19, v5
	v_add_nc_u32_e32 v14, 8, v17
	v_lshlrev_b32_e32 v16, 2, v16
	v_add_nc_u32_e32 v63, v62, v63
	v_cmp_eq_u32_e32 vcc_lo, 1, v9
	v_add_nc_u32_e32 v17, v20, v19
	ds_store_b32 v16, v15
	v_and_b32_e32 v15, 1, v51
	v_cndmask_b32_e32 v9, v14, v18, vcc_lo
	v_sub_nc_u32_e32 v14, v33, v17
	v_and_b32_e32 v18, 1, v52
	v_sub_nc_u32_e32 v17, v62, v8
	v_and_b32_e32 v16, 1, v54
	v_sub_nc_u32_e32 v24, v63, v8
	v_add_nc_u32_e32 v14, 9, v14
	v_cmp_eq_u32_e32 vcc_lo, 1, v18
	v_add_nc_u32_e32 v17, v17, v5
	v_add_nc_u32_e32 v35, v63, v59
	;; [unrolled: 1-line block ×3, first 2 shown]
	v_cndmask_b32_e32 v14, v14, v19, vcc_lo
	v_cmp_eq_u32_e32 vcc_lo, 1, v15
	v_add_nc_u32_e32 v15, v25, v17
	s_delay_alu instid0(VALU_DEP_4)
	v_add_nc_u32_e32 v18, v26, v24
	v_and_b32_e32 v19, 1, v55
	v_cndmask_b32_e32 v9, v9, v21, vcc_lo
	v_cmp_eq_u32_e32 vcc_lo, 1, v16
	v_sub_nc_u32_e32 v15, v33, v15
	v_sub_nc_u32_e32 v18, v33, v18
	v_and_b32_e32 v21, 1, v57
	v_sub_nc_u32_e32 v16, v35, v8
	v_cndmask_b32_e32 v14, v14, v20, vcc_lo
	v_and_b32_e32 v20, 1, v53
	v_add_nc_u32_e32 v15, 10, v15
	v_add_nc_u32_e32 v18, 11, v18
	;; [unrolled: 1-line block ×3, first 2 shown]
	v_lshlrev_b32_e32 v9, 2, v9
	v_cmp_eq_u32_e32 vcc_lo, 1, v20
	v_dual_cndmask_b32 v15, v15, v17 :: v_dual_lshlrev_b32 v14, 2, v14
	v_cmp_eq_u32_e32 vcc_lo, 1, v21
	v_and_b32_e32 v17, 1, v56
	v_cndmask_b32_e32 v18, v18, v24, vcc_lo
	v_cmp_eq_u32_e32 vcc_lo, 1, v19
	v_cndmask_b32_e32 v15, v15, v25, vcc_lo
	s_delay_alu instid0(VALU_DEP_4) | instskip(NEXT) | instid1(VALU_DEP_2)
	v_cmp_eq_u32_e32 vcc_lo, 1, v17
	v_lshlrev_b32_e32 v15, 2, v15
	v_cndmask_b32_e32 v17, v18, v26, vcc_lo
	v_add_nc_u32_e32 v40, v60, v58
	s_delay_alu instid0(VALU_DEP_2) | instskip(NEXT) | instid1(VALU_DEP_2)
	v_lshlrev_b32_e32 v17, 2, v17
	v_sub_nc_u32_e32 v7, v40, v7
	ds_store_b32 v9, v12
	ds_store_b32 v14, v13
	ds_store_b32 v15, v10
	ds_store_b32 v17, v11
	v_add_co_u32 v9, s0, v6, v77
	s_delay_alu instid0(VALU_DEP_1) | instskip(SKIP_1) | instid1(VALU_DEP_3)
	v_add_co_ci_u32_e64 v10, null, 0, 0, s0
	v_add_nc_u32_e32 v27, v7, v16
	v_add_co_u32 v9, vcc_lo, v9, v22
	s_delay_alu instid0(VALU_DEP_3) | instskip(NEXT) | instid1(VALU_DEP_3)
	v_add_co_ci_u32_e32 v10, vcc_lo, v10, v23, vcc_lo
	v_sub_nc_u32_e32 v20, v33, v27
	v_add_co_u32 v11, s0, s34, v30
	s_delay_alu instid0(VALU_DEP_4) | instskip(NEXT) | instid1(VALU_DEP_3)
	v_add_co_u32 v9, vcc_lo, v9, v1
	v_add_nc_u32_e32 v18, 12, v20
	v_add_co_ci_u32_e64 v12, null, s35, 0, s0
	v_add_co_ci_u32_e32 v10, vcc_lo, v10, v2, vcc_lo
	s_delay_alu instid0(VALU_DEP_3) | instskip(SKIP_1) | instid1(VALU_DEP_2)
	v_cndmask_b32_e64 v16, v18, v16, s33
	v_add_nc_u32_e32 v14, v5, v6
	v_cndmask_b32_e64 v7, v16, v7, s27
	s_delay_alu instid0(VALU_DEP_1)
	v_lshlrev_b32_e32 v7, 2, v7
	ds_store_b32 v7, v32
	v_sub_co_u32 v7, vcc_lo, v11, v9
	v_sub_co_ci_u32_e32 v13, vcc_lo, v12, v10, vcc_lo
	v_lshlrev_b64 v[9:10], 2, v[22:23]
	v_lshlrev_b64 v[11:12], 2, v[1:2]
	s_waitcnt lgkmcnt(0)
	s_barrier
	buffer_gl0_inv
	v_add_co_u32 v9, vcc_lo, s30, v9
	v_add_co_ci_u32_e32 v10, vcc_lo, s31, v10, vcc_lo
	v_cmp_ne_u32_e32 vcc_lo, 1, v31
	v_add_co_u32 v11, s0, s28, v11
	s_delay_alu instid0(VALU_DEP_1)
	v_add_co_ci_u32_e64 v12, s0, s29, v12, s0
	s_addc_u32 s0, s15, -1
	s_cbranch_vccz .LBB1187_132
; %bb.129:
	s_and_b32 vcc_lo, exec_lo, s3
	s_cbranch_vccnz .LBB1187_237
.LBB1187_130:
	s_and_b32 s0, s2, s13
	s_delay_alu instid0(SALU_CYCLE_1)
	s_and_saveexec_b32 s1, s0
	s_cbranch_execnz .LBB1187_355
.LBB1187_131:
	s_nop 0
	s_sendmsg sendmsg(MSG_DEALLOC_VGPRS)
	s_endpgm
.LBB1187_132:
	s_mov_b32 s3, exec_lo
	v_cmpx_le_u32_e64 v5, v0
	s_xor_b32 s3, exec_lo, s3
	s_cbranch_execz .LBB1187_138
; %bb.133:
	s_mov_b32 s5, exec_lo
	v_cmpx_le_u32_e64 v14, v0
	s_xor_b32 s5, exec_lo, s5
	s_cbranch_execz .LBB1187_135
; %bb.134:
	v_lshlrev_b32_e32 v15, 2, v0
	ds_load_b32 v17, v15
	v_add_co_u32 v15, vcc_lo, v7, v0
	v_add_co_ci_u32_e32 v16, vcc_lo, 0, v13, vcc_lo
	s_delay_alu instid0(VALU_DEP_1) | instskip(NEXT) | instid1(VALU_DEP_1)
	v_lshlrev_b64 v[15:16], 2, v[15:16]
	v_sub_co_u32 v15, vcc_lo, s14, v15
	s_delay_alu instid0(VALU_DEP_2)
	v_sub_co_ci_u32_e32 v16, vcc_lo, s15, v16, vcc_lo
	s_waitcnt lgkmcnt(0)
	global_store_b32 v[15:16], v17, off offset:-4
.LBB1187_135:
	s_and_not1_saveexec_b32 s5, s5
	s_cbranch_execz .LBB1187_137
; %bb.136:
	v_lshlrev_b32_e32 v15, 2, v0
	v_readfirstlane_b32 s6, v9
	v_readfirstlane_b32 s7, v10
	ds_load_b32 v16, v15
	s_waitcnt lgkmcnt(0)
	global_store_b32 v15, v16, s[6:7]
.LBB1187_137:
	s_or_b32 exec_lo, exec_lo, s5
.LBB1187_138:
	s_and_not1_saveexec_b32 s3, s3
	s_cbranch_execz .LBB1187_140
; %bb.139:
	v_lshlrev_b32_e32 v15, 2, v0
	v_readfirstlane_b32 s6, v11
	v_readfirstlane_b32 s7, v12
	ds_load_b32 v16, v15
	s_waitcnt lgkmcnt(0)
	global_store_b32 v15, v16, s[6:7]
.LBB1187_140:
	s_or_b32 exec_lo, exec_lo, s3
	v_or_b32_e32 v15, 0x100, v0
	s_mov_b32 s3, exec_lo
	s_delay_alu instid0(VALU_DEP_1)
	v_cmpx_le_u32_e64 v5, v15
	s_xor_b32 s3, exec_lo, s3
	s_cbranch_execz .LBB1187_146
; %bb.141:
	s_mov_b32 s5, exec_lo
	v_cmpx_le_u32_e64 v14, v15
	s_xor_b32 s5, exec_lo, s5
	s_cbranch_execz .LBB1187_143
; %bb.142:
	v_lshlrev_b32_e32 v15, 2, v0
	ds_load_b32 v17, v15 offset:1024
	v_add_co_u32 v15, vcc_lo, v7, v0
	v_add_co_ci_u32_e32 v16, vcc_lo, 0, v13, vcc_lo
	s_delay_alu instid0(VALU_DEP_1) | instskip(NEXT) | instid1(VALU_DEP_1)
	v_lshlrev_b64 v[15:16], 2, v[15:16]
	v_sub_co_u32 v15, vcc_lo, s1, v15
	s_delay_alu instid0(VALU_DEP_2)
	v_sub_co_ci_u32_e32 v16, vcc_lo, s0, v16, vcc_lo
	s_waitcnt lgkmcnt(0)
	global_store_b32 v[15:16], v17, off offset:-1024
.LBB1187_143:
	s_and_not1_saveexec_b32 s5, s5
	s_cbranch_execz .LBB1187_145
; %bb.144:
	v_lshlrev_b32_e32 v15, 2, v0
	v_readfirstlane_b32 s6, v9
	v_readfirstlane_b32 s7, v10
	ds_load_b32 v16, v15 offset:1024
	s_waitcnt lgkmcnt(0)
	global_store_b32 v15, v16, s[6:7] offset:1024
.LBB1187_145:
	s_or_b32 exec_lo, exec_lo, s5
.LBB1187_146:
	s_and_not1_saveexec_b32 s3, s3
	s_cbranch_execz .LBB1187_148
; %bb.147:
	v_lshlrev_b32_e32 v15, 2, v0
	v_readfirstlane_b32 s6, v11
	v_readfirstlane_b32 s7, v12
	ds_load_b32 v16, v15 offset:1024
	s_waitcnt lgkmcnt(0)
	global_store_b32 v15, v16, s[6:7] offset:1024
.LBB1187_148:
	s_or_b32 exec_lo, exec_lo, s3
	v_or_b32_e32 v15, 0x200, v0
	s_mov_b32 s3, exec_lo
	s_delay_alu instid0(VALU_DEP_1)
	v_cmpx_le_u32_e64 v5, v15
	s_xor_b32 s3, exec_lo, s3
	s_cbranch_execz .LBB1187_154
; %bb.149:
	s_mov_b32 s5, exec_lo
	v_cmpx_le_u32_e64 v14, v15
	s_xor_b32 s5, exec_lo, s5
	s_cbranch_execz .LBB1187_151
; %bb.150:
	v_lshlrev_b32_e32 v15, 2, v0
	ds_load_b32 v17, v15 offset:2048
	v_add_co_u32 v15, vcc_lo, v7, v0
	v_add_co_ci_u32_e32 v16, vcc_lo, 0, v13, vcc_lo
	s_delay_alu instid0(VALU_DEP_1) | instskip(NEXT) | instid1(VALU_DEP_1)
	v_lshlrev_b64 v[15:16], 2, v[15:16]
	v_sub_co_u32 v15, vcc_lo, s1, v15
	s_delay_alu instid0(VALU_DEP_2)
	v_sub_co_ci_u32_e32 v16, vcc_lo, s0, v16, vcc_lo
	s_waitcnt lgkmcnt(0)
	global_store_b32 v[15:16], v17, off offset:-2048
.LBB1187_151:
	s_and_not1_saveexec_b32 s5, s5
	s_cbranch_execz .LBB1187_153
; %bb.152:
	v_lshlrev_b32_e32 v15, 2, v0
	v_readfirstlane_b32 s6, v9
	v_readfirstlane_b32 s7, v10
	ds_load_b32 v16, v15 offset:2048
	s_waitcnt lgkmcnt(0)
	global_store_b32 v15, v16, s[6:7] offset:2048
.LBB1187_153:
	s_or_b32 exec_lo, exec_lo, s5
.LBB1187_154:
	s_and_not1_saveexec_b32 s3, s3
	s_cbranch_execz .LBB1187_156
; %bb.155:
	v_lshlrev_b32_e32 v15, 2, v0
	v_readfirstlane_b32 s6, v11
	v_readfirstlane_b32 s7, v12
	ds_load_b32 v16, v15 offset:2048
	s_waitcnt lgkmcnt(0)
	global_store_b32 v15, v16, s[6:7] offset:2048
.LBB1187_156:
	;; [unrolled: 47-line block ×3, first 2 shown]
	s_or_b32 exec_lo, exec_lo, s3
	v_or_b32_e32 v15, 0x400, v0
	s_mov_b32 s3, exec_lo
	s_delay_alu instid0(VALU_DEP_1)
	v_cmpx_le_u32_e64 v5, v15
	s_xor_b32 s3, exec_lo, s3
	s_cbranch_execz .LBB1187_170
; %bb.165:
	s_mov_b32 s5, exec_lo
	v_cmpx_le_u32_e64 v14, v15
	s_xor_b32 s5, exec_lo, s5
	s_cbranch_execz .LBB1187_167
; %bb.166:
	v_lshlrev_b32_e32 v15, 2, v0
	ds_load_b32 v17, v15 offset:4096
	v_add_co_u32 v15, vcc_lo, v7, v0
	v_add_co_ci_u32_e32 v16, vcc_lo, 0, v13, vcc_lo
	s_delay_alu instid0(VALU_DEP_1) | instskip(NEXT) | instid1(VALU_DEP_1)
	v_lshlrev_b64 v[15:16], 2, v[15:16]
	v_sub_co_u32 v15, vcc_lo, s1, v15
	s_delay_alu instid0(VALU_DEP_2)
	v_sub_co_ci_u32_e32 v16, vcc_lo, s0, v16, vcc_lo
	s_waitcnt lgkmcnt(0)
	global_store_b32 v[15:16], v17, off offset:-4096
                                        ; implicit-def: $vgpr15
.LBB1187_167:
	s_and_not1_saveexec_b32 s5, s5
	s_cbranch_execz .LBB1187_169
; %bb.168:
	v_lshlrev_b32_e32 v16, 2, v0
	v_lshlrev_b32_e32 v15, 2, v15
	v_readfirstlane_b32 s6, v9
	v_readfirstlane_b32 s7, v10
	ds_load_b32 v16, v16 offset:4096
	s_waitcnt lgkmcnt(0)
	global_store_b32 v15, v16, s[6:7]
.LBB1187_169:
	s_or_b32 exec_lo, exec_lo, s5
                                        ; implicit-def: $vgpr15
.LBB1187_170:
	s_and_not1_saveexec_b32 s3, s3
	s_cbranch_execz .LBB1187_172
; %bb.171:
	v_lshlrev_b32_e32 v16, 2, v0
	v_lshlrev_b32_e32 v15, 2, v15
	v_readfirstlane_b32 s6, v11
	v_readfirstlane_b32 s7, v12
	ds_load_b32 v16, v16 offset:4096
	s_waitcnt lgkmcnt(0)
	global_store_b32 v15, v16, s[6:7]
.LBB1187_172:
	s_or_b32 exec_lo, exec_lo, s3
	v_or_b32_e32 v15, 0x500, v0
	s_mov_b32 s3, exec_lo
	s_delay_alu instid0(VALU_DEP_1)
	v_cmpx_le_u32_e64 v5, v15
	s_xor_b32 s3, exec_lo, s3
	s_cbranch_execz .LBB1187_178
; %bb.173:
	s_mov_b32 s5, exec_lo
	v_cmpx_le_u32_e64 v14, v15
	s_xor_b32 s5, exec_lo, s5
	s_cbranch_execz .LBB1187_175
; %bb.174:
	v_lshlrev_b32_e32 v16, 2, v0
	v_add_co_u32 v15, vcc_lo, v7, v15
	ds_load_b32 v17, v16 offset:5120
	v_add_co_ci_u32_e32 v16, vcc_lo, 0, v13, vcc_lo
	s_delay_alu instid0(VALU_DEP_1) | instskip(NEXT) | instid1(VALU_DEP_1)
	v_lshlrev_b64 v[15:16], 2, v[15:16]
	v_sub_co_u32 v15, vcc_lo, s1, v15
	s_delay_alu instid0(VALU_DEP_2)
	v_sub_co_ci_u32_e32 v16, vcc_lo, s0, v16, vcc_lo
	s_waitcnt lgkmcnt(0)
	global_store_b32 v[15:16], v17, off
                                        ; implicit-def: $vgpr15
.LBB1187_175:
	s_and_not1_saveexec_b32 s5, s5
	s_cbranch_execz .LBB1187_177
; %bb.176:
	v_lshlrev_b32_e32 v16, 2, v0
	v_lshlrev_b32_e32 v15, 2, v15
	v_readfirstlane_b32 s6, v9
	v_readfirstlane_b32 s7, v10
	ds_load_b32 v16, v16 offset:5120
	s_waitcnt lgkmcnt(0)
	global_store_b32 v15, v16, s[6:7]
.LBB1187_177:
	s_or_b32 exec_lo, exec_lo, s5
                                        ; implicit-def: $vgpr15
.LBB1187_178:
	s_and_not1_saveexec_b32 s3, s3
	s_cbranch_execz .LBB1187_180
; %bb.179:
	v_lshlrev_b32_e32 v16, 2, v0
	v_lshlrev_b32_e32 v15, 2, v15
	v_readfirstlane_b32 s6, v11
	v_readfirstlane_b32 s7, v12
	ds_load_b32 v16, v16 offset:5120
	s_waitcnt lgkmcnt(0)
	global_store_b32 v15, v16, s[6:7]
.LBB1187_180:
	s_or_b32 exec_lo, exec_lo, s3
	v_or_b32_e32 v15, 0x600, v0
	s_mov_b32 s3, exec_lo
	s_delay_alu instid0(VALU_DEP_1)
	v_cmpx_le_u32_e64 v5, v15
	s_xor_b32 s3, exec_lo, s3
	s_cbranch_execz .LBB1187_186
; %bb.181:
	s_mov_b32 s5, exec_lo
	v_cmpx_le_u32_e64 v14, v15
	s_xor_b32 s5, exec_lo, s5
	s_cbranch_execz .LBB1187_183
; %bb.182:
	v_lshlrev_b32_e32 v16, 2, v0
	v_add_co_u32 v15, vcc_lo, v7, v15
	ds_load_b32 v17, v16 offset:6144
	v_add_co_ci_u32_e32 v16, vcc_lo, 0, v13, vcc_lo
	s_delay_alu instid0(VALU_DEP_1) | instskip(NEXT) | instid1(VALU_DEP_1)
	v_lshlrev_b64 v[15:16], 2, v[15:16]
	v_sub_co_u32 v15, vcc_lo, s1, v15
	s_delay_alu instid0(VALU_DEP_2)
	v_sub_co_ci_u32_e32 v16, vcc_lo, s0, v16, vcc_lo
	s_waitcnt lgkmcnt(0)
	global_store_b32 v[15:16], v17, off
                                        ; implicit-def: $vgpr15
.LBB1187_183:
	s_and_not1_saveexec_b32 s5, s5
	s_cbranch_execz .LBB1187_185
; %bb.184:
	v_lshlrev_b32_e32 v16, 2, v0
	v_lshlrev_b32_e32 v15, 2, v15
	v_readfirstlane_b32 s6, v9
	v_readfirstlane_b32 s7, v10
	ds_load_b32 v16, v16 offset:6144
	s_waitcnt lgkmcnt(0)
	global_store_b32 v15, v16, s[6:7]
.LBB1187_185:
	s_or_b32 exec_lo, exec_lo, s5
                                        ; implicit-def: $vgpr15
.LBB1187_186:
	;; [unrolled: 51-line block ×8, first 2 shown]
	s_and_not1_saveexec_b32 s3, s3
	s_cbranch_execz .LBB1187_236
; %bb.235:
	v_lshlrev_b32_e32 v16, 2, v0
	v_lshlrev_b32_e32 v15, 2, v15
	v_readfirstlane_b32 s6, v11
	v_readfirstlane_b32 s7, v12
	ds_load_b32 v16, v16 offset:12288
	s_waitcnt lgkmcnt(0)
	global_store_b32 v15, v16, s[6:7]
.LBB1187_236:
	s_or_b32 exec_lo, exec_lo, s3
	s_branch .LBB1187_130
.LBB1187_237:
	s_mov_b32 s3, exec_lo
	v_cmpx_gt_u32_e64 s4, v0
	s_cbranch_execz .LBB1187_246
; %bb.238:
	s_mov_b32 s5, exec_lo
	v_cmpx_le_u32_e64 v5, v0
	s_xor_b32 s5, exec_lo, s5
	s_cbranch_execz .LBB1187_244
; %bb.239:
	s_mov_b32 s6, exec_lo
	v_cmpx_le_u32_e64 v14, v0
	s_xor_b32 s6, exec_lo, s6
	s_cbranch_execz .LBB1187_241
; %bb.240:
	v_lshlrev_b32_e32 v15, 2, v0
	ds_load_b32 v17, v15
	v_add_co_u32 v15, vcc_lo, v7, v0
	v_add_co_ci_u32_e32 v16, vcc_lo, 0, v13, vcc_lo
	s_delay_alu instid0(VALU_DEP_1) | instskip(NEXT) | instid1(VALU_DEP_1)
	v_lshlrev_b64 v[15:16], 2, v[15:16]
	v_sub_co_u32 v15, vcc_lo, s14, v15
	s_delay_alu instid0(VALU_DEP_2)
	v_sub_co_ci_u32_e32 v16, vcc_lo, s15, v16, vcc_lo
	s_waitcnt lgkmcnt(0)
	global_store_b32 v[15:16], v17, off offset:-4
.LBB1187_241:
	s_and_not1_saveexec_b32 s6, s6
	s_cbranch_execz .LBB1187_243
; %bb.242:
	v_lshlrev_b32_e32 v15, 2, v0
	v_readfirstlane_b32 s8, v9
	v_readfirstlane_b32 s9, v10
	ds_load_b32 v16, v15
	s_waitcnt lgkmcnt(0)
	global_store_b32 v15, v16, s[8:9]
.LBB1187_243:
	s_or_b32 exec_lo, exec_lo, s6
.LBB1187_244:
	s_and_not1_saveexec_b32 s5, s5
	s_cbranch_execz .LBB1187_246
; %bb.245:
	v_lshlrev_b32_e32 v15, 2, v0
	v_readfirstlane_b32 s6, v11
	v_readfirstlane_b32 s7, v12
	ds_load_b32 v16, v15
	s_waitcnt lgkmcnt(0)
	global_store_b32 v15, v16, s[6:7]
.LBB1187_246:
	s_or_b32 exec_lo, exec_lo, s3
	v_or_b32_e32 v15, 0x100, v0
	s_mov_b32 s3, exec_lo
	s_delay_alu instid0(VALU_DEP_1)
	v_cmpx_gt_u32_e64 s4, v15
	s_cbranch_execz .LBB1187_255
; %bb.247:
	s_mov_b32 s5, exec_lo
	v_cmpx_le_u32_e64 v5, v15
	s_xor_b32 s5, exec_lo, s5
	s_cbranch_execz .LBB1187_253
; %bb.248:
	s_mov_b32 s6, exec_lo
	v_cmpx_le_u32_e64 v14, v15
	s_xor_b32 s6, exec_lo, s6
	s_cbranch_execz .LBB1187_250
; %bb.249:
	v_lshlrev_b32_e32 v15, 2, v0
	ds_load_b32 v17, v15 offset:1024
	v_add_co_u32 v15, vcc_lo, v7, v0
	v_add_co_ci_u32_e32 v16, vcc_lo, 0, v13, vcc_lo
	s_delay_alu instid0(VALU_DEP_1) | instskip(NEXT) | instid1(VALU_DEP_1)
	v_lshlrev_b64 v[15:16], 2, v[15:16]
	v_sub_co_u32 v15, vcc_lo, s1, v15
	s_delay_alu instid0(VALU_DEP_2)
	v_sub_co_ci_u32_e32 v16, vcc_lo, s0, v16, vcc_lo
	s_waitcnt lgkmcnt(0)
	global_store_b32 v[15:16], v17, off offset:-1024
.LBB1187_250:
	s_and_not1_saveexec_b32 s6, s6
	s_cbranch_execz .LBB1187_252
; %bb.251:
	v_lshlrev_b32_e32 v15, 2, v0
	v_readfirstlane_b32 s8, v9
	v_readfirstlane_b32 s9, v10
	ds_load_b32 v16, v15 offset:1024
	s_waitcnt lgkmcnt(0)
	global_store_b32 v15, v16, s[8:9] offset:1024
.LBB1187_252:
	s_or_b32 exec_lo, exec_lo, s6
.LBB1187_253:
	s_and_not1_saveexec_b32 s5, s5
	s_cbranch_execz .LBB1187_255
; %bb.254:
	v_lshlrev_b32_e32 v15, 2, v0
	v_readfirstlane_b32 s6, v11
	v_readfirstlane_b32 s7, v12
	ds_load_b32 v16, v15 offset:1024
	s_waitcnt lgkmcnt(0)
	global_store_b32 v15, v16, s[6:7] offset:1024
.LBB1187_255:
	s_or_b32 exec_lo, exec_lo, s3
	v_or_b32_e32 v15, 0x200, v0
	s_mov_b32 s3, exec_lo
	s_delay_alu instid0(VALU_DEP_1)
	v_cmpx_gt_u32_e64 s4, v15
	s_cbranch_execz .LBB1187_264
; %bb.256:
	s_mov_b32 s5, exec_lo
	v_cmpx_le_u32_e64 v5, v15
	s_xor_b32 s5, exec_lo, s5
	s_cbranch_execz .LBB1187_262
; %bb.257:
	s_mov_b32 s6, exec_lo
	v_cmpx_le_u32_e64 v14, v15
	s_xor_b32 s6, exec_lo, s6
	s_cbranch_execz .LBB1187_259
; %bb.258:
	v_lshlrev_b32_e32 v15, 2, v0
	ds_load_b32 v17, v15 offset:2048
	v_add_co_u32 v15, vcc_lo, v7, v0
	v_add_co_ci_u32_e32 v16, vcc_lo, 0, v13, vcc_lo
	s_delay_alu instid0(VALU_DEP_1) | instskip(NEXT) | instid1(VALU_DEP_1)
	v_lshlrev_b64 v[15:16], 2, v[15:16]
	v_sub_co_u32 v15, vcc_lo, s1, v15
	s_delay_alu instid0(VALU_DEP_2)
	v_sub_co_ci_u32_e32 v16, vcc_lo, s0, v16, vcc_lo
	s_waitcnt lgkmcnt(0)
	global_store_b32 v[15:16], v17, off offset:-2048
.LBB1187_259:
	s_and_not1_saveexec_b32 s6, s6
	s_cbranch_execz .LBB1187_261
; %bb.260:
	v_lshlrev_b32_e32 v15, 2, v0
	v_readfirstlane_b32 s8, v9
	v_readfirstlane_b32 s9, v10
	ds_load_b32 v16, v15 offset:2048
	s_waitcnt lgkmcnt(0)
	global_store_b32 v15, v16, s[8:9] offset:2048
.LBB1187_261:
	s_or_b32 exec_lo, exec_lo, s6
.LBB1187_262:
	s_and_not1_saveexec_b32 s5, s5
	s_cbranch_execz .LBB1187_264
; %bb.263:
	v_lshlrev_b32_e32 v15, 2, v0
	v_readfirstlane_b32 s6, v11
	v_readfirstlane_b32 s7, v12
	ds_load_b32 v16, v15 offset:2048
	s_waitcnt lgkmcnt(0)
	global_store_b32 v15, v16, s[6:7] offset:2048
.LBB1187_264:
	;; [unrolled: 51-line block ×3, first 2 shown]
	s_or_b32 exec_lo, exec_lo, s3
	v_or_b32_e32 v15, 0x400, v0
	s_mov_b32 s3, exec_lo
	s_delay_alu instid0(VALU_DEP_1)
	v_cmpx_gt_u32_e64 s4, v15
	s_cbranch_execz .LBB1187_282
; %bb.274:
	s_mov_b32 s5, exec_lo
	v_cmpx_le_u32_e64 v5, v15
	s_xor_b32 s5, exec_lo, s5
	s_cbranch_execz .LBB1187_280
; %bb.275:
	s_mov_b32 s6, exec_lo
	v_cmpx_le_u32_e64 v14, v15
	s_xor_b32 s6, exec_lo, s6
	s_cbranch_execz .LBB1187_277
; %bb.276:
	v_lshlrev_b32_e32 v15, 2, v0
	ds_load_b32 v17, v15 offset:4096
	v_add_co_u32 v15, vcc_lo, v7, v0
	v_add_co_ci_u32_e32 v16, vcc_lo, 0, v13, vcc_lo
	s_delay_alu instid0(VALU_DEP_1) | instskip(NEXT) | instid1(VALU_DEP_1)
	v_lshlrev_b64 v[15:16], 2, v[15:16]
	v_sub_co_u32 v15, vcc_lo, s1, v15
	s_delay_alu instid0(VALU_DEP_2)
	v_sub_co_ci_u32_e32 v16, vcc_lo, s0, v16, vcc_lo
	s_waitcnt lgkmcnt(0)
	global_store_b32 v[15:16], v17, off offset:-4096
                                        ; implicit-def: $vgpr15
.LBB1187_277:
	s_and_not1_saveexec_b32 s6, s6
	s_cbranch_execz .LBB1187_279
; %bb.278:
	v_lshlrev_b32_e32 v16, 2, v0
	v_lshlrev_b32_e32 v15, 2, v15
	v_readfirstlane_b32 s8, v9
	v_readfirstlane_b32 s9, v10
	ds_load_b32 v16, v16 offset:4096
	s_waitcnt lgkmcnt(0)
	global_store_b32 v15, v16, s[8:9]
.LBB1187_279:
	s_or_b32 exec_lo, exec_lo, s6
                                        ; implicit-def: $vgpr15
.LBB1187_280:
	s_and_not1_saveexec_b32 s5, s5
	s_cbranch_execz .LBB1187_282
; %bb.281:
	v_lshlrev_b32_e32 v16, 2, v0
	v_lshlrev_b32_e32 v15, 2, v15
	v_readfirstlane_b32 s6, v11
	v_readfirstlane_b32 s7, v12
	ds_load_b32 v16, v16 offset:4096
	s_waitcnt lgkmcnt(0)
	global_store_b32 v15, v16, s[6:7]
.LBB1187_282:
	s_or_b32 exec_lo, exec_lo, s3
	v_or_b32_e32 v15, 0x500, v0
	s_mov_b32 s3, exec_lo
	s_delay_alu instid0(VALU_DEP_1)
	v_cmpx_gt_u32_e64 s4, v15
	s_cbranch_execz .LBB1187_291
; %bb.283:
	s_mov_b32 s5, exec_lo
	v_cmpx_le_u32_e64 v5, v15
	s_xor_b32 s5, exec_lo, s5
	s_cbranch_execz .LBB1187_289
; %bb.284:
	s_mov_b32 s6, exec_lo
	v_cmpx_le_u32_e64 v14, v15
	s_xor_b32 s6, exec_lo, s6
	s_cbranch_execz .LBB1187_286
; %bb.285:
	v_lshlrev_b32_e32 v16, 2, v0
	v_add_co_u32 v15, vcc_lo, v7, v15
	ds_load_b32 v17, v16 offset:5120
	v_add_co_ci_u32_e32 v16, vcc_lo, 0, v13, vcc_lo
	s_delay_alu instid0(VALU_DEP_1) | instskip(NEXT) | instid1(VALU_DEP_1)
	v_lshlrev_b64 v[15:16], 2, v[15:16]
	v_sub_co_u32 v15, vcc_lo, s1, v15
	s_delay_alu instid0(VALU_DEP_2)
	v_sub_co_ci_u32_e32 v16, vcc_lo, s0, v16, vcc_lo
	s_waitcnt lgkmcnt(0)
	global_store_b32 v[15:16], v17, off
                                        ; implicit-def: $vgpr15
.LBB1187_286:
	s_and_not1_saveexec_b32 s6, s6
	s_cbranch_execz .LBB1187_288
; %bb.287:
	v_lshlrev_b32_e32 v16, 2, v0
	v_lshlrev_b32_e32 v15, 2, v15
	v_readfirstlane_b32 s8, v9
	v_readfirstlane_b32 s9, v10
	ds_load_b32 v16, v16 offset:5120
	s_waitcnt lgkmcnt(0)
	global_store_b32 v15, v16, s[8:9]
.LBB1187_288:
	s_or_b32 exec_lo, exec_lo, s6
                                        ; implicit-def: $vgpr15
.LBB1187_289:
	s_and_not1_saveexec_b32 s5, s5
	s_cbranch_execz .LBB1187_291
; %bb.290:
	v_lshlrev_b32_e32 v16, 2, v0
	v_lshlrev_b32_e32 v15, 2, v15
	v_readfirstlane_b32 s6, v11
	v_readfirstlane_b32 s7, v12
	ds_load_b32 v16, v16 offset:5120
	s_waitcnt lgkmcnt(0)
	global_store_b32 v15, v16, s[6:7]
.LBB1187_291:
	s_or_b32 exec_lo, exec_lo, s3
	v_or_b32_e32 v15, 0x600, v0
	s_mov_b32 s3, exec_lo
	s_delay_alu instid0(VALU_DEP_1)
	v_cmpx_gt_u32_e64 s4, v15
	s_cbranch_execz .LBB1187_300
; %bb.292:
	s_mov_b32 s5, exec_lo
	v_cmpx_le_u32_e64 v5, v15
	s_xor_b32 s5, exec_lo, s5
	s_cbranch_execz .LBB1187_298
; %bb.293:
	s_mov_b32 s6, exec_lo
	v_cmpx_le_u32_e64 v14, v15
	s_xor_b32 s6, exec_lo, s6
	s_cbranch_execz .LBB1187_295
; %bb.294:
	v_lshlrev_b32_e32 v16, 2, v0
	v_add_co_u32 v15, vcc_lo, v7, v15
	ds_load_b32 v17, v16 offset:6144
	v_add_co_ci_u32_e32 v16, vcc_lo, 0, v13, vcc_lo
	s_delay_alu instid0(VALU_DEP_1) | instskip(NEXT) | instid1(VALU_DEP_1)
	v_lshlrev_b64 v[15:16], 2, v[15:16]
	v_sub_co_u32 v15, vcc_lo, s1, v15
	s_delay_alu instid0(VALU_DEP_2)
	v_sub_co_ci_u32_e32 v16, vcc_lo, s0, v16, vcc_lo
	s_waitcnt lgkmcnt(0)
	global_store_b32 v[15:16], v17, off
                                        ; implicit-def: $vgpr15
.LBB1187_295:
	s_and_not1_saveexec_b32 s6, s6
	s_cbranch_execz .LBB1187_297
; %bb.296:
	v_lshlrev_b32_e32 v16, 2, v0
	v_lshlrev_b32_e32 v15, 2, v15
	v_readfirstlane_b32 s8, v9
	v_readfirstlane_b32 s9, v10
	ds_load_b32 v16, v16 offset:6144
	s_waitcnt lgkmcnt(0)
	global_store_b32 v15, v16, s[8:9]
.LBB1187_297:
	s_or_b32 exec_lo, exec_lo, s6
                                        ; implicit-def: $vgpr15
.LBB1187_298:
	s_and_not1_saveexec_b32 s5, s5
	s_cbranch_execz .LBB1187_300
; %bb.299:
	v_lshlrev_b32_e32 v16, 2, v0
	v_lshlrev_b32_e32 v15, 2, v15
	v_readfirstlane_b32 s6, v11
	v_readfirstlane_b32 s7, v12
	ds_load_b32 v16, v16 offset:6144
	s_waitcnt lgkmcnt(0)
	global_store_b32 v15, v16, s[6:7]
.LBB1187_300:
	;; [unrolled: 55-line block ×7, first 2 shown]
	s_or_b32 exec_lo, exec_lo, s3
	v_or_b32_e32 v15, 0xc00, v0
	s_mov_b32 s3, exec_lo
	s_delay_alu instid0(VALU_DEP_1)
	v_cmpx_gt_u32_e64 s4, v15
	s_cbranch_execz .LBB1187_354
; %bb.346:
	s_mov_b32 s4, exec_lo
	v_cmpx_le_u32_e64 v5, v15
	s_xor_b32 s4, exec_lo, s4
	s_cbranch_execz .LBB1187_352
; %bb.347:
	s_mov_b32 s5, exec_lo
	v_cmpx_le_u32_e64 v14, v15
	s_xor_b32 s5, exec_lo, s5
	s_cbranch_execz .LBB1187_349
; %bb.348:
	v_lshlrev_b32_e32 v0, 2, v0
	v_add_co_u32 v9, vcc_lo, v7, v15
	v_add_co_ci_u32_e32 v10, vcc_lo, 0, v13, vcc_lo
	ds_load_b32 v0, v0 offset:12288
                                        ; implicit-def: $vgpr15
	v_lshlrev_b64 v[9:10], 2, v[9:10]
	s_delay_alu instid0(VALU_DEP_1) | instskip(NEXT) | instid1(VALU_DEP_2)
	v_sub_co_u32 v9, vcc_lo, s1, v9
	v_sub_co_ci_u32_e32 v10, vcc_lo, s0, v10, vcc_lo
	s_waitcnt lgkmcnt(0)
	global_store_b32 v[9:10], v0, off
                                        ; implicit-def: $vgpr0
                                        ; implicit-def: $vgpr9_vgpr10
.LBB1187_349:
	s_and_not1_saveexec_b32 s0, s5
	s_cbranch_execz .LBB1187_351
; %bb.350:
	v_lshlrev_b32_e32 v0, 2, v0
	v_lshlrev_b32_e32 v7, 2, v15
	v_readfirstlane_b32 s6, v9
	v_readfirstlane_b32 s7, v10
	ds_load_b32 v0, v0 offset:12288
	s_waitcnt lgkmcnt(0)
	global_store_b32 v7, v0, s[6:7]
.LBB1187_351:
	s_or_b32 exec_lo, exec_lo, s0
                                        ; implicit-def: $vgpr0
                                        ; implicit-def: $vgpr15
                                        ; implicit-def: $vgpr11_vgpr12
.LBB1187_352:
	s_and_not1_saveexec_b32 s0, s4
	s_cbranch_execz .LBB1187_354
; %bb.353:
	v_lshlrev_b32_e32 v0, 2, v0
	v_lshlrev_b32_e32 v7, 2, v15
	v_readfirstlane_b32 s0, v11
	v_readfirstlane_b32 s1, v12
	ds_load_b32 v0, v0 offset:12288
	s_waitcnt lgkmcnt(0)
	global_store_b32 v7, v0, s[0:1]
.LBB1187_354:
	s_or_b32 exec_lo, exec_lo, s3
	s_and_b32 s0, s2, s13
	s_delay_alu instid0(SALU_CYCLE_1)
	s_and_saveexec_b32 s1, s0
	s_cbranch_execz .LBB1187_131
.LBB1187_355:
	v_add_co_u32 v3, vcc_lo, v3, v6
	v_add_co_ci_u32_e32 v4, vcc_lo, 0, v4, vcc_lo
	v_add_co_u32 v0, vcc_lo, v1, v5
	v_add_co_ci_u32_e32 v1, vcc_lo, 0, v2, vcc_lo
	s_delay_alu instid0(VALU_DEP_4)
	v_add_co_u32 v2, vcc_lo, v3, v8
	v_mov_b32_e32 v7, 0
	v_add_co_ci_u32_e32 v3, vcc_lo, 0, v4, vcc_lo
	global_store_b128 v7, v[0:3], s[24:25]
	s_nop 0
	s_sendmsg sendmsg(MSG_DEALLOC_VGPRS)
	s_endpgm
.LBB1187_356:
	v_add_nc_u32_e32 v7, s6, v27
	s_add_i32 s8, s26, 32
	s_mov_b32 s9, 0
	v_dual_mov_b32 v9, 0 :: v_dual_add_nc_u32 v6, v26, v5
	s_lshl_b64 s[8:9], s[8:9], 4
	v_and_b32_e32 v24, 0xff0000, v7
	s_add_u32 s8, s36, s8
	s_addc_u32 s9, s37, s9
	v_and_b32_e32 v8, 0xff000000, v7
	s_delay_alu instid0(VALU_DEP_1) | instskip(SKIP_2) | instid1(VALU_DEP_1)
	v_or_b32_e32 v24, v24, v8
	v_dual_mov_b32 v8, 2 :: v_dual_and_b32 v25, 0xff00, v7
	v_and_b32_e32 v7, 0xff, v7
	v_or3_b32 v7, v24, v25, v7
	v_dual_mov_b32 v25, s9 :: v_dual_mov_b32 v24, s8
	;;#ASMSTART
	global_store_dwordx4 v[24:25], v[6:9] off	
s_waitcnt vmcnt(0)
	;;#ASMEND
	s_or_b32 exec_lo, exec_lo, s7
	s_and_saveexec_b32 s7, s3
	s_cbranch_execz .LBB1187_115
.LBB1187_357:
	v_mov_b32_e32 v6, s6
	v_add_nc_u32_e64 v7, 0x3400, 0
	ds_store_2addr_b32 v7, v5, v6 offset1:2
	ds_store_2addr_b32 v7, v26, v27 offset0:4 offset1:6
	s_or_b32 exec_lo, exec_lo, s7
	s_delay_alu instid0(SALU_CYCLE_1)
	s_and_b32 exec_lo, exec_lo, s2
	s_cbranch_execnz .LBB1187_116
	s_branch .LBB1187_117
	.section	.rodata,"a",@progbits
	.p2align	6, 0x0
	.amdhsa_kernel _ZN7rocprim17ROCPRIM_400000_NS6detail17trampoline_kernelINS0_13select_configILj256ELj13ELNS0_17block_load_methodE3ELS4_3ELS4_3ELNS0_20block_scan_algorithmE0ELj4294967295EEENS1_25partition_config_selectorILNS1_17partition_subalgoE4EjNS0_10empty_typeEbEEZZNS1_14partition_implILS8_4ELb0ES6_15HIP_vector_typeIjLj2EENS0_17counting_iteratorIjlEEPS9_SG_NS0_5tupleIJPjSI_NS0_16reverse_iteratorISI_EEEEENSH_IJSG_SG_SG_EEES9_SI_JZNS1_25segmented_radix_sort_implINS0_14default_configELb0EPKdPdPKlPlN2at6native12_GLOBAL__N_18offset_tEEE10hipError_tPvRmT1_PNSt15iterator_traitsIS12_E10value_typeET2_T3_PNS13_IS18_E10value_typeET4_jRbjT5_S1E_jjP12ihipStream_tbEUljE_ZNSN_ISO_Lb0ESQ_SR_ST_SU_SY_EESZ_S10_S11_S12_S16_S17_S18_S1B_S1C_jS1D_jS1E_S1E_jjS1G_bEUljE0_EEESZ_S10_S11_S18_S1C_S1E_T6_T7_T9_mT8_S1G_bDpT10_ENKUlT_T0_E_clISt17integral_constantIbLb0EES1T_IbLb1EEEEDaS1P_S1Q_EUlS1P_E_NS1_11comp_targetILNS1_3genE9ELNS1_11target_archE1100ELNS1_3gpuE3ELNS1_3repE0EEENS1_30default_config_static_selectorELNS0_4arch9wavefront6targetE0EEEvS12_
		.amdhsa_group_segment_fixed_size 13340
		.amdhsa_private_segment_fixed_size 0
		.amdhsa_kernarg_size 184
		.amdhsa_user_sgpr_count 15
		.amdhsa_user_sgpr_dispatch_ptr 0
		.amdhsa_user_sgpr_queue_ptr 0
		.amdhsa_user_sgpr_kernarg_segment_ptr 1
		.amdhsa_user_sgpr_dispatch_id 0
		.amdhsa_user_sgpr_private_segment_size 0
		.amdhsa_wavefront_size32 1
		.amdhsa_uses_dynamic_stack 0
		.amdhsa_enable_private_segment 0
		.amdhsa_system_sgpr_workgroup_id_x 1
		.amdhsa_system_sgpr_workgroup_id_y 0
		.amdhsa_system_sgpr_workgroup_id_z 0
		.amdhsa_system_sgpr_workgroup_info 0
		.amdhsa_system_vgpr_workitem_id 0
		.amdhsa_next_free_vgpr 103
		.amdhsa_next_free_sgpr 55
		.amdhsa_reserve_vcc 1
		.amdhsa_float_round_mode_32 0
		.amdhsa_float_round_mode_16_64 0
		.amdhsa_float_denorm_mode_32 3
		.amdhsa_float_denorm_mode_16_64 3
		.amdhsa_dx10_clamp 1
		.amdhsa_ieee_mode 1
		.amdhsa_fp16_overflow 0
		.amdhsa_workgroup_processor_mode 1
		.amdhsa_memory_ordered 1
		.amdhsa_forward_progress 0
		.amdhsa_shared_vgpr_count 0
		.amdhsa_exception_fp_ieee_invalid_op 0
		.amdhsa_exception_fp_denorm_src 0
		.amdhsa_exception_fp_ieee_div_zero 0
		.amdhsa_exception_fp_ieee_overflow 0
		.amdhsa_exception_fp_ieee_underflow 0
		.amdhsa_exception_fp_ieee_inexact 0
		.amdhsa_exception_int_div_zero 0
	.end_amdhsa_kernel
	.section	.text._ZN7rocprim17ROCPRIM_400000_NS6detail17trampoline_kernelINS0_13select_configILj256ELj13ELNS0_17block_load_methodE3ELS4_3ELS4_3ELNS0_20block_scan_algorithmE0ELj4294967295EEENS1_25partition_config_selectorILNS1_17partition_subalgoE4EjNS0_10empty_typeEbEEZZNS1_14partition_implILS8_4ELb0ES6_15HIP_vector_typeIjLj2EENS0_17counting_iteratorIjlEEPS9_SG_NS0_5tupleIJPjSI_NS0_16reverse_iteratorISI_EEEEENSH_IJSG_SG_SG_EEES9_SI_JZNS1_25segmented_radix_sort_implINS0_14default_configELb0EPKdPdPKlPlN2at6native12_GLOBAL__N_18offset_tEEE10hipError_tPvRmT1_PNSt15iterator_traitsIS12_E10value_typeET2_T3_PNS13_IS18_E10value_typeET4_jRbjT5_S1E_jjP12ihipStream_tbEUljE_ZNSN_ISO_Lb0ESQ_SR_ST_SU_SY_EESZ_S10_S11_S12_S16_S17_S18_S1B_S1C_jS1D_jS1E_S1E_jjS1G_bEUljE0_EEESZ_S10_S11_S18_S1C_S1E_T6_T7_T9_mT8_S1G_bDpT10_ENKUlT_T0_E_clISt17integral_constantIbLb0EES1T_IbLb1EEEEDaS1P_S1Q_EUlS1P_E_NS1_11comp_targetILNS1_3genE9ELNS1_11target_archE1100ELNS1_3gpuE3ELNS1_3repE0EEENS1_30default_config_static_selectorELNS0_4arch9wavefront6targetE0EEEvS12_,"axG",@progbits,_ZN7rocprim17ROCPRIM_400000_NS6detail17trampoline_kernelINS0_13select_configILj256ELj13ELNS0_17block_load_methodE3ELS4_3ELS4_3ELNS0_20block_scan_algorithmE0ELj4294967295EEENS1_25partition_config_selectorILNS1_17partition_subalgoE4EjNS0_10empty_typeEbEEZZNS1_14partition_implILS8_4ELb0ES6_15HIP_vector_typeIjLj2EENS0_17counting_iteratorIjlEEPS9_SG_NS0_5tupleIJPjSI_NS0_16reverse_iteratorISI_EEEEENSH_IJSG_SG_SG_EEES9_SI_JZNS1_25segmented_radix_sort_implINS0_14default_configELb0EPKdPdPKlPlN2at6native12_GLOBAL__N_18offset_tEEE10hipError_tPvRmT1_PNSt15iterator_traitsIS12_E10value_typeET2_T3_PNS13_IS18_E10value_typeET4_jRbjT5_S1E_jjP12ihipStream_tbEUljE_ZNSN_ISO_Lb0ESQ_SR_ST_SU_SY_EESZ_S10_S11_S12_S16_S17_S18_S1B_S1C_jS1D_jS1E_S1E_jjS1G_bEUljE0_EEESZ_S10_S11_S18_S1C_S1E_T6_T7_T9_mT8_S1G_bDpT10_ENKUlT_T0_E_clISt17integral_constantIbLb0EES1T_IbLb1EEEEDaS1P_S1Q_EUlS1P_E_NS1_11comp_targetILNS1_3genE9ELNS1_11target_archE1100ELNS1_3gpuE3ELNS1_3repE0EEENS1_30default_config_static_selectorELNS0_4arch9wavefront6targetE0EEEvS12_,comdat
.Lfunc_end1187:
	.size	_ZN7rocprim17ROCPRIM_400000_NS6detail17trampoline_kernelINS0_13select_configILj256ELj13ELNS0_17block_load_methodE3ELS4_3ELS4_3ELNS0_20block_scan_algorithmE0ELj4294967295EEENS1_25partition_config_selectorILNS1_17partition_subalgoE4EjNS0_10empty_typeEbEEZZNS1_14partition_implILS8_4ELb0ES6_15HIP_vector_typeIjLj2EENS0_17counting_iteratorIjlEEPS9_SG_NS0_5tupleIJPjSI_NS0_16reverse_iteratorISI_EEEEENSH_IJSG_SG_SG_EEES9_SI_JZNS1_25segmented_radix_sort_implINS0_14default_configELb0EPKdPdPKlPlN2at6native12_GLOBAL__N_18offset_tEEE10hipError_tPvRmT1_PNSt15iterator_traitsIS12_E10value_typeET2_T3_PNS13_IS18_E10value_typeET4_jRbjT5_S1E_jjP12ihipStream_tbEUljE_ZNSN_ISO_Lb0ESQ_SR_ST_SU_SY_EESZ_S10_S11_S12_S16_S17_S18_S1B_S1C_jS1D_jS1E_S1E_jjS1G_bEUljE0_EEESZ_S10_S11_S18_S1C_S1E_T6_T7_T9_mT8_S1G_bDpT10_ENKUlT_T0_E_clISt17integral_constantIbLb0EES1T_IbLb1EEEEDaS1P_S1Q_EUlS1P_E_NS1_11comp_targetILNS1_3genE9ELNS1_11target_archE1100ELNS1_3gpuE3ELNS1_3repE0EEENS1_30default_config_static_selectorELNS0_4arch9wavefront6targetE0EEEvS12_, .Lfunc_end1187-_ZN7rocprim17ROCPRIM_400000_NS6detail17trampoline_kernelINS0_13select_configILj256ELj13ELNS0_17block_load_methodE3ELS4_3ELS4_3ELNS0_20block_scan_algorithmE0ELj4294967295EEENS1_25partition_config_selectorILNS1_17partition_subalgoE4EjNS0_10empty_typeEbEEZZNS1_14partition_implILS8_4ELb0ES6_15HIP_vector_typeIjLj2EENS0_17counting_iteratorIjlEEPS9_SG_NS0_5tupleIJPjSI_NS0_16reverse_iteratorISI_EEEEENSH_IJSG_SG_SG_EEES9_SI_JZNS1_25segmented_radix_sort_implINS0_14default_configELb0EPKdPdPKlPlN2at6native12_GLOBAL__N_18offset_tEEE10hipError_tPvRmT1_PNSt15iterator_traitsIS12_E10value_typeET2_T3_PNS13_IS18_E10value_typeET4_jRbjT5_S1E_jjP12ihipStream_tbEUljE_ZNSN_ISO_Lb0ESQ_SR_ST_SU_SY_EESZ_S10_S11_S12_S16_S17_S18_S1B_S1C_jS1D_jS1E_S1E_jjS1G_bEUljE0_EEESZ_S10_S11_S18_S1C_S1E_T6_T7_T9_mT8_S1G_bDpT10_ENKUlT_T0_E_clISt17integral_constantIbLb0EES1T_IbLb1EEEEDaS1P_S1Q_EUlS1P_E_NS1_11comp_targetILNS1_3genE9ELNS1_11target_archE1100ELNS1_3gpuE3ELNS1_3repE0EEENS1_30default_config_static_selectorELNS0_4arch9wavefront6targetE0EEEvS12_
                                        ; -- End function
	.section	.AMDGPU.csdata,"",@progbits
; Kernel info:
; codeLenInByte = 15060
; NumSgprs: 57
; NumVgprs: 103
; ScratchSize: 0
; MemoryBound: 0
; FloatMode: 240
; IeeeMode: 1
; LDSByteSize: 13340 bytes/workgroup (compile time only)
; SGPRBlocks: 7
; VGPRBlocks: 12
; NumSGPRsForWavesPerEU: 57
; NumVGPRsForWavesPerEU: 103
; Occupancy: 12
; WaveLimiterHint : 1
; COMPUTE_PGM_RSRC2:SCRATCH_EN: 0
; COMPUTE_PGM_RSRC2:USER_SGPR: 15
; COMPUTE_PGM_RSRC2:TRAP_HANDLER: 0
; COMPUTE_PGM_RSRC2:TGID_X_EN: 1
; COMPUTE_PGM_RSRC2:TGID_Y_EN: 0
; COMPUTE_PGM_RSRC2:TGID_Z_EN: 0
; COMPUTE_PGM_RSRC2:TIDIG_COMP_CNT: 0
	.section	.text._ZN7rocprim17ROCPRIM_400000_NS6detail17trampoline_kernelINS0_13select_configILj256ELj13ELNS0_17block_load_methodE3ELS4_3ELS4_3ELNS0_20block_scan_algorithmE0ELj4294967295EEENS1_25partition_config_selectorILNS1_17partition_subalgoE4EjNS0_10empty_typeEbEEZZNS1_14partition_implILS8_4ELb0ES6_15HIP_vector_typeIjLj2EENS0_17counting_iteratorIjlEEPS9_SG_NS0_5tupleIJPjSI_NS0_16reverse_iteratorISI_EEEEENSH_IJSG_SG_SG_EEES9_SI_JZNS1_25segmented_radix_sort_implINS0_14default_configELb0EPKdPdPKlPlN2at6native12_GLOBAL__N_18offset_tEEE10hipError_tPvRmT1_PNSt15iterator_traitsIS12_E10value_typeET2_T3_PNS13_IS18_E10value_typeET4_jRbjT5_S1E_jjP12ihipStream_tbEUljE_ZNSN_ISO_Lb0ESQ_SR_ST_SU_SY_EESZ_S10_S11_S12_S16_S17_S18_S1B_S1C_jS1D_jS1E_S1E_jjS1G_bEUljE0_EEESZ_S10_S11_S18_S1C_S1E_T6_T7_T9_mT8_S1G_bDpT10_ENKUlT_T0_E_clISt17integral_constantIbLb0EES1T_IbLb1EEEEDaS1P_S1Q_EUlS1P_E_NS1_11comp_targetILNS1_3genE8ELNS1_11target_archE1030ELNS1_3gpuE2ELNS1_3repE0EEENS1_30default_config_static_selectorELNS0_4arch9wavefront6targetE0EEEvS12_,"axG",@progbits,_ZN7rocprim17ROCPRIM_400000_NS6detail17trampoline_kernelINS0_13select_configILj256ELj13ELNS0_17block_load_methodE3ELS4_3ELS4_3ELNS0_20block_scan_algorithmE0ELj4294967295EEENS1_25partition_config_selectorILNS1_17partition_subalgoE4EjNS0_10empty_typeEbEEZZNS1_14partition_implILS8_4ELb0ES6_15HIP_vector_typeIjLj2EENS0_17counting_iteratorIjlEEPS9_SG_NS0_5tupleIJPjSI_NS0_16reverse_iteratorISI_EEEEENSH_IJSG_SG_SG_EEES9_SI_JZNS1_25segmented_radix_sort_implINS0_14default_configELb0EPKdPdPKlPlN2at6native12_GLOBAL__N_18offset_tEEE10hipError_tPvRmT1_PNSt15iterator_traitsIS12_E10value_typeET2_T3_PNS13_IS18_E10value_typeET4_jRbjT5_S1E_jjP12ihipStream_tbEUljE_ZNSN_ISO_Lb0ESQ_SR_ST_SU_SY_EESZ_S10_S11_S12_S16_S17_S18_S1B_S1C_jS1D_jS1E_S1E_jjS1G_bEUljE0_EEESZ_S10_S11_S18_S1C_S1E_T6_T7_T9_mT8_S1G_bDpT10_ENKUlT_T0_E_clISt17integral_constantIbLb0EES1T_IbLb1EEEEDaS1P_S1Q_EUlS1P_E_NS1_11comp_targetILNS1_3genE8ELNS1_11target_archE1030ELNS1_3gpuE2ELNS1_3repE0EEENS1_30default_config_static_selectorELNS0_4arch9wavefront6targetE0EEEvS12_,comdat
	.globl	_ZN7rocprim17ROCPRIM_400000_NS6detail17trampoline_kernelINS0_13select_configILj256ELj13ELNS0_17block_load_methodE3ELS4_3ELS4_3ELNS0_20block_scan_algorithmE0ELj4294967295EEENS1_25partition_config_selectorILNS1_17partition_subalgoE4EjNS0_10empty_typeEbEEZZNS1_14partition_implILS8_4ELb0ES6_15HIP_vector_typeIjLj2EENS0_17counting_iteratorIjlEEPS9_SG_NS0_5tupleIJPjSI_NS0_16reverse_iteratorISI_EEEEENSH_IJSG_SG_SG_EEES9_SI_JZNS1_25segmented_radix_sort_implINS0_14default_configELb0EPKdPdPKlPlN2at6native12_GLOBAL__N_18offset_tEEE10hipError_tPvRmT1_PNSt15iterator_traitsIS12_E10value_typeET2_T3_PNS13_IS18_E10value_typeET4_jRbjT5_S1E_jjP12ihipStream_tbEUljE_ZNSN_ISO_Lb0ESQ_SR_ST_SU_SY_EESZ_S10_S11_S12_S16_S17_S18_S1B_S1C_jS1D_jS1E_S1E_jjS1G_bEUljE0_EEESZ_S10_S11_S18_S1C_S1E_T6_T7_T9_mT8_S1G_bDpT10_ENKUlT_T0_E_clISt17integral_constantIbLb0EES1T_IbLb1EEEEDaS1P_S1Q_EUlS1P_E_NS1_11comp_targetILNS1_3genE8ELNS1_11target_archE1030ELNS1_3gpuE2ELNS1_3repE0EEENS1_30default_config_static_selectorELNS0_4arch9wavefront6targetE0EEEvS12_ ; -- Begin function _ZN7rocprim17ROCPRIM_400000_NS6detail17trampoline_kernelINS0_13select_configILj256ELj13ELNS0_17block_load_methodE3ELS4_3ELS4_3ELNS0_20block_scan_algorithmE0ELj4294967295EEENS1_25partition_config_selectorILNS1_17partition_subalgoE4EjNS0_10empty_typeEbEEZZNS1_14partition_implILS8_4ELb0ES6_15HIP_vector_typeIjLj2EENS0_17counting_iteratorIjlEEPS9_SG_NS0_5tupleIJPjSI_NS0_16reverse_iteratorISI_EEEEENSH_IJSG_SG_SG_EEES9_SI_JZNS1_25segmented_radix_sort_implINS0_14default_configELb0EPKdPdPKlPlN2at6native12_GLOBAL__N_18offset_tEEE10hipError_tPvRmT1_PNSt15iterator_traitsIS12_E10value_typeET2_T3_PNS13_IS18_E10value_typeET4_jRbjT5_S1E_jjP12ihipStream_tbEUljE_ZNSN_ISO_Lb0ESQ_SR_ST_SU_SY_EESZ_S10_S11_S12_S16_S17_S18_S1B_S1C_jS1D_jS1E_S1E_jjS1G_bEUljE0_EEESZ_S10_S11_S18_S1C_S1E_T6_T7_T9_mT8_S1G_bDpT10_ENKUlT_T0_E_clISt17integral_constantIbLb0EES1T_IbLb1EEEEDaS1P_S1Q_EUlS1P_E_NS1_11comp_targetILNS1_3genE8ELNS1_11target_archE1030ELNS1_3gpuE2ELNS1_3repE0EEENS1_30default_config_static_selectorELNS0_4arch9wavefront6targetE0EEEvS12_
	.p2align	8
	.type	_ZN7rocprim17ROCPRIM_400000_NS6detail17trampoline_kernelINS0_13select_configILj256ELj13ELNS0_17block_load_methodE3ELS4_3ELS4_3ELNS0_20block_scan_algorithmE0ELj4294967295EEENS1_25partition_config_selectorILNS1_17partition_subalgoE4EjNS0_10empty_typeEbEEZZNS1_14partition_implILS8_4ELb0ES6_15HIP_vector_typeIjLj2EENS0_17counting_iteratorIjlEEPS9_SG_NS0_5tupleIJPjSI_NS0_16reverse_iteratorISI_EEEEENSH_IJSG_SG_SG_EEES9_SI_JZNS1_25segmented_radix_sort_implINS0_14default_configELb0EPKdPdPKlPlN2at6native12_GLOBAL__N_18offset_tEEE10hipError_tPvRmT1_PNSt15iterator_traitsIS12_E10value_typeET2_T3_PNS13_IS18_E10value_typeET4_jRbjT5_S1E_jjP12ihipStream_tbEUljE_ZNSN_ISO_Lb0ESQ_SR_ST_SU_SY_EESZ_S10_S11_S12_S16_S17_S18_S1B_S1C_jS1D_jS1E_S1E_jjS1G_bEUljE0_EEESZ_S10_S11_S18_S1C_S1E_T6_T7_T9_mT8_S1G_bDpT10_ENKUlT_T0_E_clISt17integral_constantIbLb0EES1T_IbLb1EEEEDaS1P_S1Q_EUlS1P_E_NS1_11comp_targetILNS1_3genE8ELNS1_11target_archE1030ELNS1_3gpuE2ELNS1_3repE0EEENS1_30default_config_static_selectorELNS0_4arch9wavefront6targetE0EEEvS12_,@function
_ZN7rocprim17ROCPRIM_400000_NS6detail17trampoline_kernelINS0_13select_configILj256ELj13ELNS0_17block_load_methodE3ELS4_3ELS4_3ELNS0_20block_scan_algorithmE0ELj4294967295EEENS1_25partition_config_selectorILNS1_17partition_subalgoE4EjNS0_10empty_typeEbEEZZNS1_14partition_implILS8_4ELb0ES6_15HIP_vector_typeIjLj2EENS0_17counting_iteratorIjlEEPS9_SG_NS0_5tupleIJPjSI_NS0_16reverse_iteratorISI_EEEEENSH_IJSG_SG_SG_EEES9_SI_JZNS1_25segmented_radix_sort_implINS0_14default_configELb0EPKdPdPKlPlN2at6native12_GLOBAL__N_18offset_tEEE10hipError_tPvRmT1_PNSt15iterator_traitsIS12_E10value_typeET2_T3_PNS13_IS18_E10value_typeET4_jRbjT5_S1E_jjP12ihipStream_tbEUljE_ZNSN_ISO_Lb0ESQ_SR_ST_SU_SY_EESZ_S10_S11_S12_S16_S17_S18_S1B_S1C_jS1D_jS1E_S1E_jjS1G_bEUljE0_EEESZ_S10_S11_S18_S1C_S1E_T6_T7_T9_mT8_S1G_bDpT10_ENKUlT_T0_E_clISt17integral_constantIbLb0EES1T_IbLb1EEEEDaS1P_S1Q_EUlS1P_E_NS1_11comp_targetILNS1_3genE8ELNS1_11target_archE1030ELNS1_3gpuE2ELNS1_3repE0EEENS1_30default_config_static_selectorELNS0_4arch9wavefront6targetE0EEEvS12_: ; @_ZN7rocprim17ROCPRIM_400000_NS6detail17trampoline_kernelINS0_13select_configILj256ELj13ELNS0_17block_load_methodE3ELS4_3ELS4_3ELNS0_20block_scan_algorithmE0ELj4294967295EEENS1_25partition_config_selectorILNS1_17partition_subalgoE4EjNS0_10empty_typeEbEEZZNS1_14partition_implILS8_4ELb0ES6_15HIP_vector_typeIjLj2EENS0_17counting_iteratorIjlEEPS9_SG_NS0_5tupleIJPjSI_NS0_16reverse_iteratorISI_EEEEENSH_IJSG_SG_SG_EEES9_SI_JZNS1_25segmented_radix_sort_implINS0_14default_configELb0EPKdPdPKlPlN2at6native12_GLOBAL__N_18offset_tEEE10hipError_tPvRmT1_PNSt15iterator_traitsIS12_E10value_typeET2_T3_PNS13_IS18_E10value_typeET4_jRbjT5_S1E_jjP12ihipStream_tbEUljE_ZNSN_ISO_Lb0ESQ_SR_ST_SU_SY_EESZ_S10_S11_S12_S16_S17_S18_S1B_S1C_jS1D_jS1E_S1E_jjS1G_bEUljE0_EEESZ_S10_S11_S18_S1C_S1E_T6_T7_T9_mT8_S1G_bDpT10_ENKUlT_T0_E_clISt17integral_constantIbLb0EES1T_IbLb1EEEEDaS1P_S1Q_EUlS1P_E_NS1_11comp_targetILNS1_3genE8ELNS1_11target_archE1030ELNS1_3gpuE2ELNS1_3repE0EEENS1_30default_config_static_selectorELNS0_4arch9wavefront6targetE0EEEvS12_
; %bb.0:
	.section	.rodata,"a",@progbits
	.p2align	6, 0x0
	.amdhsa_kernel _ZN7rocprim17ROCPRIM_400000_NS6detail17trampoline_kernelINS0_13select_configILj256ELj13ELNS0_17block_load_methodE3ELS4_3ELS4_3ELNS0_20block_scan_algorithmE0ELj4294967295EEENS1_25partition_config_selectorILNS1_17partition_subalgoE4EjNS0_10empty_typeEbEEZZNS1_14partition_implILS8_4ELb0ES6_15HIP_vector_typeIjLj2EENS0_17counting_iteratorIjlEEPS9_SG_NS0_5tupleIJPjSI_NS0_16reverse_iteratorISI_EEEEENSH_IJSG_SG_SG_EEES9_SI_JZNS1_25segmented_radix_sort_implINS0_14default_configELb0EPKdPdPKlPlN2at6native12_GLOBAL__N_18offset_tEEE10hipError_tPvRmT1_PNSt15iterator_traitsIS12_E10value_typeET2_T3_PNS13_IS18_E10value_typeET4_jRbjT5_S1E_jjP12ihipStream_tbEUljE_ZNSN_ISO_Lb0ESQ_SR_ST_SU_SY_EESZ_S10_S11_S12_S16_S17_S18_S1B_S1C_jS1D_jS1E_S1E_jjS1G_bEUljE0_EEESZ_S10_S11_S18_S1C_S1E_T6_T7_T9_mT8_S1G_bDpT10_ENKUlT_T0_E_clISt17integral_constantIbLb0EES1T_IbLb1EEEEDaS1P_S1Q_EUlS1P_E_NS1_11comp_targetILNS1_3genE8ELNS1_11target_archE1030ELNS1_3gpuE2ELNS1_3repE0EEENS1_30default_config_static_selectorELNS0_4arch9wavefront6targetE0EEEvS12_
		.amdhsa_group_segment_fixed_size 0
		.amdhsa_private_segment_fixed_size 0
		.amdhsa_kernarg_size 184
		.amdhsa_user_sgpr_count 15
		.amdhsa_user_sgpr_dispatch_ptr 0
		.amdhsa_user_sgpr_queue_ptr 0
		.amdhsa_user_sgpr_kernarg_segment_ptr 1
		.amdhsa_user_sgpr_dispatch_id 0
		.amdhsa_user_sgpr_private_segment_size 0
		.amdhsa_wavefront_size32 1
		.amdhsa_uses_dynamic_stack 0
		.amdhsa_enable_private_segment 0
		.amdhsa_system_sgpr_workgroup_id_x 1
		.amdhsa_system_sgpr_workgroup_id_y 0
		.amdhsa_system_sgpr_workgroup_id_z 0
		.amdhsa_system_sgpr_workgroup_info 0
		.amdhsa_system_vgpr_workitem_id 0
		.amdhsa_next_free_vgpr 1
		.amdhsa_next_free_sgpr 1
		.amdhsa_reserve_vcc 0
		.amdhsa_float_round_mode_32 0
		.amdhsa_float_round_mode_16_64 0
		.amdhsa_float_denorm_mode_32 3
		.amdhsa_float_denorm_mode_16_64 3
		.amdhsa_dx10_clamp 1
		.amdhsa_ieee_mode 1
		.amdhsa_fp16_overflow 0
		.amdhsa_workgroup_processor_mode 1
		.amdhsa_memory_ordered 1
		.amdhsa_forward_progress 0
		.amdhsa_shared_vgpr_count 0
		.amdhsa_exception_fp_ieee_invalid_op 0
		.amdhsa_exception_fp_denorm_src 0
		.amdhsa_exception_fp_ieee_div_zero 0
		.amdhsa_exception_fp_ieee_overflow 0
		.amdhsa_exception_fp_ieee_underflow 0
		.amdhsa_exception_fp_ieee_inexact 0
		.amdhsa_exception_int_div_zero 0
	.end_amdhsa_kernel
	.section	.text._ZN7rocprim17ROCPRIM_400000_NS6detail17trampoline_kernelINS0_13select_configILj256ELj13ELNS0_17block_load_methodE3ELS4_3ELS4_3ELNS0_20block_scan_algorithmE0ELj4294967295EEENS1_25partition_config_selectorILNS1_17partition_subalgoE4EjNS0_10empty_typeEbEEZZNS1_14partition_implILS8_4ELb0ES6_15HIP_vector_typeIjLj2EENS0_17counting_iteratorIjlEEPS9_SG_NS0_5tupleIJPjSI_NS0_16reverse_iteratorISI_EEEEENSH_IJSG_SG_SG_EEES9_SI_JZNS1_25segmented_radix_sort_implINS0_14default_configELb0EPKdPdPKlPlN2at6native12_GLOBAL__N_18offset_tEEE10hipError_tPvRmT1_PNSt15iterator_traitsIS12_E10value_typeET2_T3_PNS13_IS18_E10value_typeET4_jRbjT5_S1E_jjP12ihipStream_tbEUljE_ZNSN_ISO_Lb0ESQ_SR_ST_SU_SY_EESZ_S10_S11_S12_S16_S17_S18_S1B_S1C_jS1D_jS1E_S1E_jjS1G_bEUljE0_EEESZ_S10_S11_S18_S1C_S1E_T6_T7_T9_mT8_S1G_bDpT10_ENKUlT_T0_E_clISt17integral_constantIbLb0EES1T_IbLb1EEEEDaS1P_S1Q_EUlS1P_E_NS1_11comp_targetILNS1_3genE8ELNS1_11target_archE1030ELNS1_3gpuE2ELNS1_3repE0EEENS1_30default_config_static_selectorELNS0_4arch9wavefront6targetE0EEEvS12_,"axG",@progbits,_ZN7rocprim17ROCPRIM_400000_NS6detail17trampoline_kernelINS0_13select_configILj256ELj13ELNS0_17block_load_methodE3ELS4_3ELS4_3ELNS0_20block_scan_algorithmE0ELj4294967295EEENS1_25partition_config_selectorILNS1_17partition_subalgoE4EjNS0_10empty_typeEbEEZZNS1_14partition_implILS8_4ELb0ES6_15HIP_vector_typeIjLj2EENS0_17counting_iteratorIjlEEPS9_SG_NS0_5tupleIJPjSI_NS0_16reverse_iteratorISI_EEEEENSH_IJSG_SG_SG_EEES9_SI_JZNS1_25segmented_radix_sort_implINS0_14default_configELb0EPKdPdPKlPlN2at6native12_GLOBAL__N_18offset_tEEE10hipError_tPvRmT1_PNSt15iterator_traitsIS12_E10value_typeET2_T3_PNS13_IS18_E10value_typeET4_jRbjT5_S1E_jjP12ihipStream_tbEUljE_ZNSN_ISO_Lb0ESQ_SR_ST_SU_SY_EESZ_S10_S11_S12_S16_S17_S18_S1B_S1C_jS1D_jS1E_S1E_jjS1G_bEUljE0_EEESZ_S10_S11_S18_S1C_S1E_T6_T7_T9_mT8_S1G_bDpT10_ENKUlT_T0_E_clISt17integral_constantIbLb0EES1T_IbLb1EEEEDaS1P_S1Q_EUlS1P_E_NS1_11comp_targetILNS1_3genE8ELNS1_11target_archE1030ELNS1_3gpuE2ELNS1_3repE0EEENS1_30default_config_static_selectorELNS0_4arch9wavefront6targetE0EEEvS12_,comdat
.Lfunc_end1188:
	.size	_ZN7rocprim17ROCPRIM_400000_NS6detail17trampoline_kernelINS0_13select_configILj256ELj13ELNS0_17block_load_methodE3ELS4_3ELS4_3ELNS0_20block_scan_algorithmE0ELj4294967295EEENS1_25partition_config_selectorILNS1_17partition_subalgoE4EjNS0_10empty_typeEbEEZZNS1_14partition_implILS8_4ELb0ES6_15HIP_vector_typeIjLj2EENS0_17counting_iteratorIjlEEPS9_SG_NS0_5tupleIJPjSI_NS0_16reverse_iteratorISI_EEEEENSH_IJSG_SG_SG_EEES9_SI_JZNS1_25segmented_radix_sort_implINS0_14default_configELb0EPKdPdPKlPlN2at6native12_GLOBAL__N_18offset_tEEE10hipError_tPvRmT1_PNSt15iterator_traitsIS12_E10value_typeET2_T3_PNS13_IS18_E10value_typeET4_jRbjT5_S1E_jjP12ihipStream_tbEUljE_ZNSN_ISO_Lb0ESQ_SR_ST_SU_SY_EESZ_S10_S11_S12_S16_S17_S18_S1B_S1C_jS1D_jS1E_S1E_jjS1G_bEUljE0_EEESZ_S10_S11_S18_S1C_S1E_T6_T7_T9_mT8_S1G_bDpT10_ENKUlT_T0_E_clISt17integral_constantIbLb0EES1T_IbLb1EEEEDaS1P_S1Q_EUlS1P_E_NS1_11comp_targetILNS1_3genE8ELNS1_11target_archE1030ELNS1_3gpuE2ELNS1_3repE0EEENS1_30default_config_static_selectorELNS0_4arch9wavefront6targetE0EEEvS12_, .Lfunc_end1188-_ZN7rocprim17ROCPRIM_400000_NS6detail17trampoline_kernelINS0_13select_configILj256ELj13ELNS0_17block_load_methodE3ELS4_3ELS4_3ELNS0_20block_scan_algorithmE0ELj4294967295EEENS1_25partition_config_selectorILNS1_17partition_subalgoE4EjNS0_10empty_typeEbEEZZNS1_14partition_implILS8_4ELb0ES6_15HIP_vector_typeIjLj2EENS0_17counting_iteratorIjlEEPS9_SG_NS0_5tupleIJPjSI_NS0_16reverse_iteratorISI_EEEEENSH_IJSG_SG_SG_EEES9_SI_JZNS1_25segmented_radix_sort_implINS0_14default_configELb0EPKdPdPKlPlN2at6native12_GLOBAL__N_18offset_tEEE10hipError_tPvRmT1_PNSt15iterator_traitsIS12_E10value_typeET2_T3_PNS13_IS18_E10value_typeET4_jRbjT5_S1E_jjP12ihipStream_tbEUljE_ZNSN_ISO_Lb0ESQ_SR_ST_SU_SY_EESZ_S10_S11_S12_S16_S17_S18_S1B_S1C_jS1D_jS1E_S1E_jjS1G_bEUljE0_EEESZ_S10_S11_S18_S1C_S1E_T6_T7_T9_mT8_S1G_bDpT10_ENKUlT_T0_E_clISt17integral_constantIbLb0EES1T_IbLb1EEEEDaS1P_S1Q_EUlS1P_E_NS1_11comp_targetILNS1_3genE8ELNS1_11target_archE1030ELNS1_3gpuE2ELNS1_3repE0EEENS1_30default_config_static_selectorELNS0_4arch9wavefront6targetE0EEEvS12_
                                        ; -- End function
	.section	.AMDGPU.csdata,"",@progbits
; Kernel info:
; codeLenInByte = 0
; NumSgprs: 0
; NumVgprs: 0
; ScratchSize: 0
; MemoryBound: 0
; FloatMode: 240
; IeeeMode: 1
; LDSByteSize: 0 bytes/workgroup (compile time only)
; SGPRBlocks: 0
; VGPRBlocks: 0
; NumSGPRsForWavesPerEU: 1
; NumVGPRsForWavesPerEU: 1
; Occupancy: 16
; WaveLimiterHint : 0
; COMPUTE_PGM_RSRC2:SCRATCH_EN: 0
; COMPUTE_PGM_RSRC2:USER_SGPR: 15
; COMPUTE_PGM_RSRC2:TRAP_HANDLER: 0
; COMPUTE_PGM_RSRC2:TGID_X_EN: 1
; COMPUTE_PGM_RSRC2:TGID_Y_EN: 0
; COMPUTE_PGM_RSRC2:TGID_Z_EN: 0
; COMPUTE_PGM_RSRC2:TIDIG_COMP_CNT: 0
	.section	.text._ZN7rocprim17ROCPRIM_400000_NS6detail17trampoline_kernelINS0_13select_configILj256ELj13ELNS0_17block_load_methodE3ELS4_3ELS4_3ELNS0_20block_scan_algorithmE0ELj4294967295EEENS1_25partition_config_selectorILNS1_17partition_subalgoE3EjNS0_10empty_typeEbEEZZNS1_14partition_implILS8_3ELb0ES6_jNS0_17counting_iteratorIjlEEPS9_SE_NS0_5tupleIJPjSE_EEENSF_IJSE_SE_EEES9_SG_JZNS1_25segmented_radix_sort_implINS0_14default_configELb0EPKdPdPKlPlN2at6native12_GLOBAL__N_18offset_tEEE10hipError_tPvRmT1_PNSt15iterator_traitsISY_E10value_typeET2_T3_PNSZ_IS14_E10value_typeET4_jRbjT5_S1A_jjP12ihipStream_tbEUljE_EEESV_SW_SX_S14_S18_S1A_T6_T7_T9_mT8_S1C_bDpT10_ENKUlT_T0_E_clISt17integral_constantIbLb0EES1P_EEDaS1K_S1L_EUlS1K_E_NS1_11comp_targetILNS1_3genE0ELNS1_11target_archE4294967295ELNS1_3gpuE0ELNS1_3repE0EEENS1_30default_config_static_selectorELNS0_4arch9wavefront6targetE0EEEvSY_,"axG",@progbits,_ZN7rocprim17ROCPRIM_400000_NS6detail17trampoline_kernelINS0_13select_configILj256ELj13ELNS0_17block_load_methodE3ELS4_3ELS4_3ELNS0_20block_scan_algorithmE0ELj4294967295EEENS1_25partition_config_selectorILNS1_17partition_subalgoE3EjNS0_10empty_typeEbEEZZNS1_14partition_implILS8_3ELb0ES6_jNS0_17counting_iteratorIjlEEPS9_SE_NS0_5tupleIJPjSE_EEENSF_IJSE_SE_EEES9_SG_JZNS1_25segmented_radix_sort_implINS0_14default_configELb0EPKdPdPKlPlN2at6native12_GLOBAL__N_18offset_tEEE10hipError_tPvRmT1_PNSt15iterator_traitsISY_E10value_typeET2_T3_PNSZ_IS14_E10value_typeET4_jRbjT5_S1A_jjP12ihipStream_tbEUljE_EEESV_SW_SX_S14_S18_S1A_T6_T7_T9_mT8_S1C_bDpT10_ENKUlT_T0_E_clISt17integral_constantIbLb0EES1P_EEDaS1K_S1L_EUlS1K_E_NS1_11comp_targetILNS1_3genE0ELNS1_11target_archE4294967295ELNS1_3gpuE0ELNS1_3repE0EEENS1_30default_config_static_selectorELNS0_4arch9wavefront6targetE0EEEvSY_,comdat
	.globl	_ZN7rocprim17ROCPRIM_400000_NS6detail17trampoline_kernelINS0_13select_configILj256ELj13ELNS0_17block_load_methodE3ELS4_3ELS4_3ELNS0_20block_scan_algorithmE0ELj4294967295EEENS1_25partition_config_selectorILNS1_17partition_subalgoE3EjNS0_10empty_typeEbEEZZNS1_14partition_implILS8_3ELb0ES6_jNS0_17counting_iteratorIjlEEPS9_SE_NS0_5tupleIJPjSE_EEENSF_IJSE_SE_EEES9_SG_JZNS1_25segmented_radix_sort_implINS0_14default_configELb0EPKdPdPKlPlN2at6native12_GLOBAL__N_18offset_tEEE10hipError_tPvRmT1_PNSt15iterator_traitsISY_E10value_typeET2_T3_PNSZ_IS14_E10value_typeET4_jRbjT5_S1A_jjP12ihipStream_tbEUljE_EEESV_SW_SX_S14_S18_S1A_T6_T7_T9_mT8_S1C_bDpT10_ENKUlT_T0_E_clISt17integral_constantIbLb0EES1P_EEDaS1K_S1L_EUlS1K_E_NS1_11comp_targetILNS1_3genE0ELNS1_11target_archE4294967295ELNS1_3gpuE0ELNS1_3repE0EEENS1_30default_config_static_selectorELNS0_4arch9wavefront6targetE0EEEvSY_ ; -- Begin function _ZN7rocprim17ROCPRIM_400000_NS6detail17trampoline_kernelINS0_13select_configILj256ELj13ELNS0_17block_load_methodE3ELS4_3ELS4_3ELNS0_20block_scan_algorithmE0ELj4294967295EEENS1_25partition_config_selectorILNS1_17partition_subalgoE3EjNS0_10empty_typeEbEEZZNS1_14partition_implILS8_3ELb0ES6_jNS0_17counting_iteratorIjlEEPS9_SE_NS0_5tupleIJPjSE_EEENSF_IJSE_SE_EEES9_SG_JZNS1_25segmented_radix_sort_implINS0_14default_configELb0EPKdPdPKlPlN2at6native12_GLOBAL__N_18offset_tEEE10hipError_tPvRmT1_PNSt15iterator_traitsISY_E10value_typeET2_T3_PNSZ_IS14_E10value_typeET4_jRbjT5_S1A_jjP12ihipStream_tbEUljE_EEESV_SW_SX_S14_S18_S1A_T6_T7_T9_mT8_S1C_bDpT10_ENKUlT_T0_E_clISt17integral_constantIbLb0EES1P_EEDaS1K_S1L_EUlS1K_E_NS1_11comp_targetILNS1_3genE0ELNS1_11target_archE4294967295ELNS1_3gpuE0ELNS1_3repE0EEENS1_30default_config_static_selectorELNS0_4arch9wavefront6targetE0EEEvSY_
	.p2align	8
	.type	_ZN7rocprim17ROCPRIM_400000_NS6detail17trampoline_kernelINS0_13select_configILj256ELj13ELNS0_17block_load_methodE3ELS4_3ELS4_3ELNS0_20block_scan_algorithmE0ELj4294967295EEENS1_25partition_config_selectorILNS1_17partition_subalgoE3EjNS0_10empty_typeEbEEZZNS1_14partition_implILS8_3ELb0ES6_jNS0_17counting_iteratorIjlEEPS9_SE_NS0_5tupleIJPjSE_EEENSF_IJSE_SE_EEES9_SG_JZNS1_25segmented_radix_sort_implINS0_14default_configELb0EPKdPdPKlPlN2at6native12_GLOBAL__N_18offset_tEEE10hipError_tPvRmT1_PNSt15iterator_traitsISY_E10value_typeET2_T3_PNSZ_IS14_E10value_typeET4_jRbjT5_S1A_jjP12ihipStream_tbEUljE_EEESV_SW_SX_S14_S18_S1A_T6_T7_T9_mT8_S1C_bDpT10_ENKUlT_T0_E_clISt17integral_constantIbLb0EES1P_EEDaS1K_S1L_EUlS1K_E_NS1_11comp_targetILNS1_3genE0ELNS1_11target_archE4294967295ELNS1_3gpuE0ELNS1_3repE0EEENS1_30default_config_static_selectorELNS0_4arch9wavefront6targetE0EEEvSY_,@function
_ZN7rocprim17ROCPRIM_400000_NS6detail17trampoline_kernelINS0_13select_configILj256ELj13ELNS0_17block_load_methodE3ELS4_3ELS4_3ELNS0_20block_scan_algorithmE0ELj4294967295EEENS1_25partition_config_selectorILNS1_17partition_subalgoE3EjNS0_10empty_typeEbEEZZNS1_14partition_implILS8_3ELb0ES6_jNS0_17counting_iteratorIjlEEPS9_SE_NS0_5tupleIJPjSE_EEENSF_IJSE_SE_EEES9_SG_JZNS1_25segmented_radix_sort_implINS0_14default_configELb0EPKdPdPKlPlN2at6native12_GLOBAL__N_18offset_tEEE10hipError_tPvRmT1_PNSt15iterator_traitsISY_E10value_typeET2_T3_PNSZ_IS14_E10value_typeET4_jRbjT5_S1A_jjP12ihipStream_tbEUljE_EEESV_SW_SX_S14_S18_S1A_T6_T7_T9_mT8_S1C_bDpT10_ENKUlT_T0_E_clISt17integral_constantIbLb0EES1P_EEDaS1K_S1L_EUlS1K_E_NS1_11comp_targetILNS1_3genE0ELNS1_11target_archE4294967295ELNS1_3gpuE0ELNS1_3repE0EEENS1_30default_config_static_selectorELNS0_4arch9wavefront6targetE0EEEvSY_: ; @_ZN7rocprim17ROCPRIM_400000_NS6detail17trampoline_kernelINS0_13select_configILj256ELj13ELNS0_17block_load_methodE3ELS4_3ELS4_3ELNS0_20block_scan_algorithmE0ELj4294967295EEENS1_25partition_config_selectorILNS1_17partition_subalgoE3EjNS0_10empty_typeEbEEZZNS1_14partition_implILS8_3ELb0ES6_jNS0_17counting_iteratorIjlEEPS9_SE_NS0_5tupleIJPjSE_EEENSF_IJSE_SE_EEES9_SG_JZNS1_25segmented_radix_sort_implINS0_14default_configELb0EPKdPdPKlPlN2at6native12_GLOBAL__N_18offset_tEEE10hipError_tPvRmT1_PNSt15iterator_traitsISY_E10value_typeET2_T3_PNSZ_IS14_E10value_typeET4_jRbjT5_S1A_jjP12ihipStream_tbEUljE_EEESV_SW_SX_S14_S18_S1A_T6_T7_T9_mT8_S1C_bDpT10_ENKUlT_T0_E_clISt17integral_constantIbLb0EES1P_EEDaS1K_S1L_EUlS1K_E_NS1_11comp_targetILNS1_3genE0ELNS1_11target_archE4294967295ELNS1_3gpuE0ELNS1_3repE0EEENS1_30default_config_static_selectorELNS0_4arch9wavefront6targetE0EEEvSY_
; %bb.0:
	.section	.rodata,"a",@progbits
	.p2align	6, 0x0
	.amdhsa_kernel _ZN7rocprim17ROCPRIM_400000_NS6detail17trampoline_kernelINS0_13select_configILj256ELj13ELNS0_17block_load_methodE3ELS4_3ELS4_3ELNS0_20block_scan_algorithmE0ELj4294967295EEENS1_25partition_config_selectorILNS1_17partition_subalgoE3EjNS0_10empty_typeEbEEZZNS1_14partition_implILS8_3ELb0ES6_jNS0_17counting_iteratorIjlEEPS9_SE_NS0_5tupleIJPjSE_EEENSF_IJSE_SE_EEES9_SG_JZNS1_25segmented_radix_sort_implINS0_14default_configELb0EPKdPdPKlPlN2at6native12_GLOBAL__N_18offset_tEEE10hipError_tPvRmT1_PNSt15iterator_traitsISY_E10value_typeET2_T3_PNSZ_IS14_E10value_typeET4_jRbjT5_S1A_jjP12ihipStream_tbEUljE_EEESV_SW_SX_S14_S18_S1A_T6_T7_T9_mT8_S1C_bDpT10_ENKUlT_T0_E_clISt17integral_constantIbLb0EES1P_EEDaS1K_S1L_EUlS1K_E_NS1_11comp_targetILNS1_3genE0ELNS1_11target_archE4294967295ELNS1_3gpuE0ELNS1_3repE0EEENS1_30default_config_static_selectorELNS0_4arch9wavefront6targetE0EEEvSY_
		.amdhsa_group_segment_fixed_size 0
		.amdhsa_private_segment_fixed_size 0
		.amdhsa_kernarg_size 144
		.amdhsa_user_sgpr_count 15
		.amdhsa_user_sgpr_dispatch_ptr 0
		.amdhsa_user_sgpr_queue_ptr 0
		.amdhsa_user_sgpr_kernarg_segment_ptr 1
		.amdhsa_user_sgpr_dispatch_id 0
		.amdhsa_user_sgpr_private_segment_size 0
		.amdhsa_wavefront_size32 1
		.amdhsa_uses_dynamic_stack 0
		.amdhsa_enable_private_segment 0
		.amdhsa_system_sgpr_workgroup_id_x 1
		.amdhsa_system_sgpr_workgroup_id_y 0
		.amdhsa_system_sgpr_workgroup_id_z 0
		.amdhsa_system_sgpr_workgroup_info 0
		.amdhsa_system_vgpr_workitem_id 0
		.amdhsa_next_free_vgpr 1
		.amdhsa_next_free_sgpr 1
		.amdhsa_reserve_vcc 0
		.amdhsa_float_round_mode_32 0
		.amdhsa_float_round_mode_16_64 0
		.amdhsa_float_denorm_mode_32 3
		.amdhsa_float_denorm_mode_16_64 3
		.amdhsa_dx10_clamp 1
		.amdhsa_ieee_mode 1
		.amdhsa_fp16_overflow 0
		.amdhsa_workgroup_processor_mode 1
		.amdhsa_memory_ordered 1
		.amdhsa_forward_progress 0
		.amdhsa_shared_vgpr_count 0
		.amdhsa_exception_fp_ieee_invalid_op 0
		.amdhsa_exception_fp_denorm_src 0
		.amdhsa_exception_fp_ieee_div_zero 0
		.amdhsa_exception_fp_ieee_overflow 0
		.amdhsa_exception_fp_ieee_underflow 0
		.amdhsa_exception_fp_ieee_inexact 0
		.amdhsa_exception_int_div_zero 0
	.end_amdhsa_kernel
	.section	.text._ZN7rocprim17ROCPRIM_400000_NS6detail17trampoline_kernelINS0_13select_configILj256ELj13ELNS0_17block_load_methodE3ELS4_3ELS4_3ELNS0_20block_scan_algorithmE0ELj4294967295EEENS1_25partition_config_selectorILNS1_17partition_subalgoE3EjNS0_10empty_typeEbEEZZNS1_14partition_implILS8_3ELb0ES6_jNS0_17counting_iteratorIjlEEPS9_SE_NS0_5tupleIJPjSE_EEENSF_IJSE_SE_EEES9_SG_JZNS1_25segmented_radix_sort_implINS0_14default_configELb0EPKdPdPKlPlN2at6native12_GLOBAL__N_18offset_tEEE10hipError_tPvRmT1_PNSt15iterator_traitsISY_E10value_typeET2_T3_PNSZ_IS14_E10value_typeET4_jRbjT5_S1A_jjP12ihipStream_tbEUljE_EEESV_SW_SX_S14_S18_S1A_T6_T7_T9_mT8_S1C_bDpT10_ENKUlT_T0_E_clISt17integral_constantIbLb0EES1P_EEDaS1K_S1L_EUlS1K_E_NS1_11comp_targetILNS1_3genE0ELNS1_11target_archE4294967295ELNS1_3gpuE0ELNS1_3repE0EEENS1_30default_config_static_selectorELNS0_4arch9wavefront6targetE0EEEvSY_,"axG",@progbits,_ZN7rocprim17ROCPRIM_400000_NS6detail17trampoline_kernelINS0_13select_configILj256ELj13ELNS0_17block_load_methodE3ELS4_3ELS4_3ELNS0_20block_scan_algorithmE0ELj4294967295EEENS1_25partition_config_selectorILNS1_17partition_subalgoE3EjNS0_10empty_typeEbEEZZNS1_14partition_implILS8_3ELb0ES6_jNS0_17counting_iteratorIjlEEPS9_SE_NS0_5tupleIJPjSE_EEENSF_IJSE_SE_EEES9_SG_JZNS1_25segmented_radix_sort_implINS0_14default_configELb0EPKdPdPKlPlN2at6native12_GLOBAL__N_18offset_tEEE10hipError_tPvRmT1_PNSt15iterator_traitsISY_E10value_typeET2_T3_PNSZ_IS14_E10value_typeET4_jRbjT5_S1A_jjP12ihipStream_tbEUljE_EEESV_SW_SX_S14_S18_S1A_T6_T7_T9_mT8_S1C_bDpT10_ENKUlT_T0_E_clISt17integral_constantIbLb0EES1P_EEDaS1K_S1L_EUlS1K_E_NS1_11comp_targetILNS1_3genE0ELNS1_11target_archE4294967295ELNS1_3gpuE0ELNS1_3repE0EEENS1_30default_config_static_selectorELNS0_4arch9wavefront6targetE0EEEvSY_,comdat
.Lfunc_end1189:
	.size	_ZN7rocprim17ROCPRIM_400000_NS6detail17trampoline_kernelINS0_13select_configILj256ELj13ELNS0_17block_load_methodE3ELS4_3ELS4_3ELNS0_20block_scan_algorithmE0ELj4294967295EEENS1_25partition_config_selectorILNS1_17partition_subalgoE3EjNS0_10empty_typeEbEEZZNS1_14partition_implILS8_3ELb0ES6_jNS0_17counting_iteratorIjlEEPS9_SE_NS0_5tupleIJPjSE_EEENSF_IJSE_SE_EEES9_SG_JZNS1_25segmented_radix_sort_implINS0_14default_configELb0EPKdPdPKlPlN2at6native12_GLOBAL__N_18offset_tEEE10hipError_tPvRmT1_PNSt15iterator_traitsISY_E10value_typeET2_T3_PNSZ_IS14_E10value_typeET4_jRbjT5_S1A_jjP12ihipStream_tbEUljE_EEESV_SW_SX_S14_S18_S1A_T6_T7_T9_mT8_S1C_bDpT10_ENKUlT_T0_E_clISt17integral_constantIbLb0EES1P_EEDaS1K_S1L_EUlS1K_E_NS1_11comp_targetILNS1_3genE0ELNS1_11target_archE4294967295ELNS1_3gpuE0ELNS1_3repE0EEENS1_30default_config_static_selectorELNS0_4arch9wavefront6targetE0EEEvSY_, .Lfunc_end1189-_ZN7rocprim17ROCPRIM_400000_NS6detail17trampoline_kernelINS0_13select_configILj256ELj13ELNS0_17block_load_methodE3ELS4_3ELS4_3ELNS0_20block_scan_algorithmE0ELj4294967295EEENS1_25partition_config_selectorILNS1_17partition_subalgoE3EjNS0_10empty_typeEbEEZZNS1_14partition_implILS8_3ELb0ES6_jNS0_17counting_iteratorIjlEEPS9_SE_NS0_5tupleIJPjSE_EEENSF_IJSE_SE_EEES9_SG_JZNS1_25segmented_radix_sort_implINS0_14default_configELb0EPKdPdPKlPlN2at6native12_GLOBAL__N_18offset_tEEE10hipError_tPvRmT1_PNSt15iterator_traitsISY_E10value_typeET2_T3_PNSZ_IS14_E10value_typeET4_jRbjT5_S1A_jjP12ihipStream_tbEUljE_EEESV_SW_SX_S14_S18_S1A_T6_T7_T9_mT8_S1C_bDpT10_ENKUlT_T0_E_clISt17integral_constantIbLb0EES1P_EEDaS1K_S1L_EUlS1K_E_NS1_11comp_targetILNS1_3genE0ELNS1_11target_archE4294967295ELNS1_3gpuE0ELNS1_3repE0EEENS1_30default_config_static_selectorELNS0_4arch9wavefront6targetE0EEEvSY_
                                        ; -- End function
	.section	.AMDGPU.csdata,"",@progbits
; Kernel info:
; codeLenInByte = 0
; NumSgprs: 0
; NumVgprs: 0
; ScratchSize: 0
; MemoryBound: 0
; FloatMode: 240
; IeeeMode: 1
; LDSByteSize: 0 bytes/workgroup (compile time only)
; SGPRBlocks: 0
; VGPRBlocks: 0
; NumSGPRsForWavesPerEU: 1
; NumVGPRsForWavesPerEU: 1
; Occupancy: 16
; WaveLimiterHint : 0
; COMPUTE_PGM_RSRC2:SCRATCH_EN: 0
; COMPUTE_PGM_RSRC2:USER_SGPR: 15
; COMPUTE_PGM_RSRC2:TRAP_HANDLER: 0
; COMPUTE_PGM_RSRC2:TGID_X_EN: 1
; COMPUTE_PGM_RSRC2:TGID_Y_EN: 0
; COMPUTE_PGM_RSRC2:TGID_Z_EN: 0
; COMPUTE_PGM_RSRC2:TIDIG_COMP_CNT: 0
	.section	.text._ZN7rocprim17ROCPRIM_400000_NS6detail17trampoline_kernelINS0_13select_configILj256ELj13ELNS0_17block_load_methodE3ELS4_3ELS4_3ELNS0_20block_scan_algorithmE0ELj4294967295EEENS1_25partition_config_selectorILNS1_17partition_subalgoE3EjNS0_10empty_typeEbEEZZNS1_14partition_implILS8_3ELb0ES6_jNS0_17counting_iteratorIjlEEPS9_SE_NS0_5tupleIJPjSE_EEENSF_IJSE_SE_EEES9_SG_JZNS1_25segmented_radix_sort_implINS0_14default_configELb0EPKdPdPKlPlN2at6native12_GLOBAL__N_18offset_tEEE10hipError_tPvRmT1_PNSt15iterator_traitsISY_E10value_typeET2_T3_PNSZ_IS14_E10value_typeET4_jRbjT5_S1A_jjP12ihipStream_tbEUljE_EEESV_SW_SX_S14_S18_S1A_T6_T7_T9_mT8_S1C_bDpT10_ENKUlT_T0_E_clISt17integral_constantIbLb0EES1P_EEDaS1K_S1L_EUlS1K_E_NS1_11comp_targetILNS1_3genE5ELNS1_11target_archE942ELNS1_3gpuE9ELNS1_3repE0EEENS1_30default_config_static_selectorELNS0_4arch9wavefront6targetE0EEEvSY_,"axG",@progbits,_ZN7rocprim17ROCPRIM_400000_NS6detail17trampoline_kernelINS0_13select_configILj256ELj13ELNS0_17block_load_methodE3ELS4_3ELS4_3ELNS0_20block_scan_algorithmE0ELj4294967295EEENS1_25partition_config_selectorILNS1_17partition_subalgoE3EjNS0_10empty_typeEbEEZZNS1_14partition_implILS8_3ELb0ES6_jNS0_17counting_iteratorIjlEEPS9_SE_NS0_5tupleIJPjSE_EEENSF_IJSE_SE_EEES9_SG_JZNS1_25segmented_radix_sort_implINS0_14default_configELb0EPKdPdPKlPlN2at6native12_GLOBAL__N_18offset_tEEE10hipError_tPvRmT1_PNSt15iterator_traitsISY_E10value_typeET2_T3_PNSZ_IS14_E10value_typeET4_jRbjT5_S1A_jjP12ihipStream_tbEUljE_EEESV_SW_SX_S14_S18_S1A_T6_T7_T9_mT8_S1C_bDpT10_ENKUlT_T0_E_clISt17integral_constantIbLb0EES1P_EEDaS1K_S1L_EUlS1K_E_NS1_11comp_targetILNS1_3genE5ELNS1_11target_archE942ELNS1_3gpuE9ELNS1_3repE0EEENS1_30default_config_static_selectorELNS0_4arch9wavefront6targetE0EEEvSY_,comdat
	.globl	_ZN7rocprim17ROCPRIM_400000_NS6detail17trampoline_kernelINS0_13select_configILj256ELj13ELNS0_17block_load_methodE3ELS4_3ELS4_3ELNS0_20block_scan_algorithmE0ELj4294967295EEENS1_25partition_config_selectorILNS1_17partition_subalgoE3EjNS0_10empty_typeEbEEZZNS1_14partition_implILS8_3ELb0ES6_jNS0_17counting_iteratorIjlEEPS9_SE_NS0_5tupleIJPjSE_EEENSF_IJSE_SE_EEES9_SG_JZNS1_25segmented_radix_sort_implINS0_14default_configELb0EPKdPdPKlPlN2at6native12_GLOBAL__N_18offset_tEEE10hipError_tPvRmT1_PNSt15iterator_traitsISY_E10value_typeET2_T3_PNSZ_IS14_E10value_typeET4_jRbjT5_S1A_jjP12ihipStream_tbEUljE_EEESV_SW_SX_S14_S18_S1A_T6_T7_T9_mT8_S1C_bDpT10_ENKUlT_T0_E_clISt17integral_constantIbLb0EES1P_EEDaS1K_S1L_EUlS1K_E_NS1_11comp_targetILNS1_3genE5ELNS1_11target_archE942ELNS1_3gpuE9ELNS1_3repE0EEENS1_30default_config_static_selectorELNS0_4arch9wavefront6targetE0EEEvSY_ ; -- Begin function _ZN7rocprim17ROCPRIM_400000_NS6detail17trampoline_kernelINS0_13select_configILj256ELj13ELNS0_17block_load_methodE3ELS4_3ELS4_3ELNS0_20block_scan_algorithmE0ELj4294967295EEENS1_25partition_config_selectorILNS1_17partition_subalgoE3EjNS0_10empty_typeEbEEZZNS1_14partition_implILS8_3ELb0ES6_jNS0_17counting_iteratorIjlEEPS9_SE_NS0_5tupleIJPjSE_EEENSF_IJSE_SE_EEES9_SG_JZNS1_25segmented_radix_sort_implINS0_14default_configELb0EPKdPdPKlPlN2at6native12_GLOBAL__N_18offset_tEEE10hipError_tPvRmT1_PNSt15iterator_traitsISY_E10value_typeET2_T3_PNSZ_IS14_E10value_typeET4_jRbjT5_S1A_jjP12ihipStream_tbEUljE_EEESV_SW_SX_S14_S18_S1A_T6_T7_T9_mT8_S1C_bDpT10_ENKUlT_T0_E_clISt17integral_constantIbLb0EES1P_EEDaS1K_S1L_EUlS1K_E_NS1_11comp_targetILNS1_3genE5ELNS1_11target_archE942ELNS1_3gpuE9ELNS1_3repE0EEENS1_30default_config_static_selectorELNS0_4arch9wavefront6targetE0EEEvSY_
	.p2align	8
	.type	_ZN7rocprim17ROCPRIM_400000_NS6detail17trampoline_kernelINS0_13select_configILj256ELj13ELNS0_17block_load_methodE3ELS4_3ELS4_3ELNS0_20block_scan_algorithmE0ELj4294967295EEENS1_25partition_config_selectorILNS1_17partition_subalgoE3EjNS0_10empty_typeEbEEZZNS1_14partition_implILS8_3ELb0ES6_jNS0_17counting_iteratorIjlEEPS9_SE_NS0_5tupleIJPjSE_EEENSF_IJSE_SE_EEES9_SG_JZNS1_25segmented_radix_sort_implINS0_14default_configELb0EPKdPdPKlPlN2at6native12_GLOBAL__N_18offset_tEEE10hipError_tPvRmT1_PNSt15iterator_traitsISY_E10value_typeET2_T3_PNSZ_IS14_E10value_typeET4_jRbjT5_S1A_jjP12ihipStream_tbEUljE_EEESV_SW_SX_S14_S18_S1A_T6_T7_T9_mT8_S1C_bDpT10_ENKUlT_T0_E_clISt17integral_constantIbLb0EES1P_EEDaS1K_S1L_EUlS1K_E_NS1_11comp_targetILNS1_3genE5ELNS1_11target_archE942ELNS1_3gpuE9ELNS1_3repE0EEENS1_30default_config_static_selectorELNS0_4arch9wavefront6targetE0EEEvSY_,@function
_ZN7rocprim17ROCPRIM_400000_NS6detail17trampoline_kernelINS0_13select_configILj256ELj13ELNS0_17block_load_methodE3ELS4_3ELS4_3ELNS0_20block_scan_algorithmE0ELj4294967295EEENS1_25partition_config_selectorILNS1_17partition_subalgoE3EjNS0_10empty_typeEbEEZZNS1_14partition_implILS8_3ELb0ES6_jNS0_17counting_iteratorIjlEEPS9_SE_NS0_5tupleIJPjSE_EEENSF_IJSE_SE_EEES9_SG_JZNS1_25segmented_radix_sort_implINS0_14default_configELb0EPKdPdPKlPlN2at6native12_GLOBAL__N_18offset_tEEE10hipError_tPvRmT1_PNSt15iterator_traitsISY_E10value_typeET2_T3_PNSZ_IS14_E10value_typeET4_jRbjT5_S1A_jjP12ihipStream_tbEUljE_EEESV_SW_SX_S14_S18_S1A_T6_T7_T9_mT8_S1C_bDpT10_ENKUlT_T0_E_clISt17integral_constantIbLb0EES1P_EEDaS1K_S1L_EUlS1K_E_NS1_11comp_targetILNS1_3genE5ELNS1_11target_archE942ELNS1_3gpuE9ELNS1_3repE0EEENS1_30default_config_static_selectorELNS0_4arch9wavefront6targetE0EEEvSY_: ; @_ZN7rocprim17ROCPRIM_400000_NS6detail17trampoline_kernelINS0_13select_configILj256ELj13ELNS0_17block_load_methodE3ELS4_3ELS4_3ELNS0_20block_scan_algorithmE0ELj4294967295EEENS1_25partition_config_selectorILNS1_17partition_subalgoE3EjNS0_10empty_typeEbEEZZNS1_14partition_implILS8_3ELb0ES6_jNS0_17counting_iteratorIjlEEPS9_SE_NS0_5tupleIJPjSE_EEENSF_IJSE_SE_EEES9_SG_JZNS1_25segmented_radix_sort_implINS0_14default_configELb0EPKdPdPKlPlN2at6native12_GLOBAL__N_18offset_tEEE10hipError_tPvRmT1_PNSt15iterator_traitsISY_E10value_typeET2_T3_PNSZ_IS14_E10value_typeET4_jRbjT5_S1A_jjP12ihipStream_tbEUljE_EEESV_SW_SX_S14_S18_S1A_T6_T7_T9_mT8_S1C_bDpT10_ENKUlT_T0_E_clISt17integral_constantIbLb0EES1P_EEDaS1K_S1L_EUlS1K_E_NS1_11comp_targetILNS1_3genE5ELNS1_11target_archE942ELNS1_3gpuE9ELNS1_3repE0EEENS1_30default_config_static_selectorELNS0_4arch9wavefront6targetE0EEEvSY_
; %bb.0:
	.section	.rodata,"a",@progbits
	.p2align	6, 0x0
	.amdhsa_kernel _ZN7rocprim17ROCPRIM_400000_NS6detail17trampoline_kernelINS0_13select_configILj256ELj13ELNS0_17block_load_methodE3ELS4_3ELS4_3ELNS0_20block_scan_algorithmE0ELj4294967295EEENS1_25partition_config_selectorILNS1_17partition_subalgoE3EjNS0_10empty_typeEbEEZZNS1_14partition_implILS8_3ELb0ES6_jNS0_17counting_iteratorIjlEEPS9_SE_NS0_5tupleIJPjSE_EEENSF_IJSE_SE_EEES9_SG_JZNS1_25segmented_radix_sort_implINS0_14default_configELb0EPKdPdPKlPlN2at6native12_GLOBAL__N_18offset_tEEE10hipError_tPvRmT1_PNSt15iterator_traitsISY_E10value_typeET2_T3_PNSZ_IS14_E10value_typeET4_jRbjT5_S1A_jjP12ihipStream_tbEUljE_EEESV_SW_SX_S14_S18_S1A_T6_T7_T9_mT8_S1C_bDpT10_ENKUlT_T0_E_clISt17integral_constantIbLb0EES1P_EEDaS1K_S1L_EUlS1K_E_NS1_11comp_targetILNS1_3genE5ELNS1_11target_archE942ELNS1_3gpuE9ELNS1_3repE0EEENS1_30default_config_static_selectorELNS0_4arch9wavefront6targetE0EEEvSY_
		.amdhsa_group_segment_fixed_size 0
		.amdhsa_private_segment_fixed_size 0
		.amdhsa_kernarg_size 144
		.amdhsa_user_sgpr_count 15
		.amdhsa_user_sgpr_dispatch_ptr 0
		.amdhsa_user_sgpr_queue_ptr 0
		.amdhsa_user_sgpr_kernarg_segment_ptr 1
		.amdhsa_user_sgpr_dispatch_id 0
		.amdhsa_user_sgpr_private_segment_size 0
		.amdhsa_wavefront_size32 1
		.amdhsa_uses_dynamic_stack 0
		.amdhsa_enable_private_segment 0
		.amdhsa_system_sgpr_workgroup_id_x 1
		.amdhsa_system_sgpr_workgroup_id_y 0
		.amdhsa_system_sgpr_workgroup_id_z 0
		.amdhsa_system_sgpr_workgroup_info 0
		.amdhsa_system_vgpr_workitem_id 0
		.amdhsa_next_free_vgpr 1
		.amdhsa_next_free_sgpr 1
		.amdhsa_reserve_vcc 0
		.amdhsa_float_round_mode_32 0
		.amdhsa_float_round_mode_16_64 0
		.amdhsa_float_denorm_mode_32 3
		.amdhsa_float_denorm_mode_16_64 3
		.amdhsa_dx10_clamp 1
		.amdhsa_ieee_mode 1
		.amdhsa_fp16_overflow 0
		.amdhsa_workgroup_processor_mode 1
		.amdhsa_memory_ordered 1
		.amdhsa_forward_progress 0
		.amdhsa_shared_vgpr_count 0
		.amdhsa_exception_fp_ieee_invalid_op 0
		.amdhsa_exception_fp_denorm_src 0
		.amdhsa_exception_fp_ieee_div_zero 0
		.amdhsa_exception_fp_ieee_overflow 0
		.amdhsa_exception_fp_ieee_underflow 0
		.amdhsa_exception_fp_ieee_inexact 0
		.amdhsa_exception_int_div_zero 0
	.end_amdhsa_kernel
	.section	.text._ZN7rocprim17ROCPRIM_400000_NS6detail17trampoline_kernelINS0_13select_configILj256ELj13ELNS0_17block_load_methodE3ELS4_3ELS4_3ELNS0_20block_scan_algorithmE0ELj4294967295EEENS1_25partition_config_selectorILNS1_17partition_subalgoE3EjNS0_10empty_typeEbEEZZNS1_14partition_implILS8_3ELb0ES6_jNS0_17counting_iteratorIjlEEPS9_SE_NS0_5tupleIJPjSE_EEENSF_IJSE_SE_EEES9_SG_JZNS1_25segmented_radix_sort_implINS0_14default_configELb0EPKdPdPKlPlN2at6native12_GLOBAL__N_18offset_tEEE10hipError_tPvRmT1_PNSt15iterator_traitsISY_E10value_typeET2_T3_PNSZ_IS14_E10value_typeET4_jRbjT5_S1A_jjP12ihipStream_tbEUljE_EEESV_SW_SX_S14_S18_S1A_T6_T7_T9_mT8_S1C_bDpT10_ENKUlT_T0_E_clISt17integral_constantIbLb0EES1P_EEDaS1K_S1L_EUlS1K_E_NS1_11comp_targetILNS1_3genE5ELNS1_11target_archE942ELNS1_3gpuE9ELNS1_3repE0EEENS1_30default_config_static_selectorELNS0_4arch9wavefront6targetE0EEEvSY_,"axG",@progbits,_ZN7rocprim17ROCPRIM_400000_NS6detail17trampoline_kernelINS0_13select_configILj256ELj13ELNS0_17block_load_methodE3ELS4_3ELS4_3ELNS0_20block_scan_algorithmE0ELj4294967295EEENS1_25partition_config_selectorILNS1_17partition_subalgoE3EjNS0_10empty_typeEbEEZZNS1_14partition_implILS8_3ELb0ES6_jNS0_17counting_iteratorIjlEEPS9_SE_NS0_5tupleIJPjSE_EEENSF_IJSE_SE_EEES9_SG_JZNS1_25segmented_radix_sort_implINS0_14default_configELb0EPKdPdPKlPlN2at6native12_GLOBAL__N_18offset_tEEE10hipError_tPvRmT1_PNSt15iterator_traitsISY_E10value_typeET2_T3_PNSZ_IS14_E10value_typeET4_jRbjT5_S1A_jjP12ihipStream_tbEUljE_EEESV_SW_SX_S14_S18_S1A_T6_T7_T9_mT8_S1C_bDpT10_ENKUlT_T0_E_clISt17integral_constantIbLb0EES1P_EEDaS1K_S1L_EUlS1K_E_NS1_11comp_targetILNS1_3genE5ELNS1_11target_archE942ELNS1_3gpuE9ELNS1_3repE0EEENS1_30default_config_static_selectorELNS0_4arch9wavefront6targetE0EEEvSY_,comdat
.Lfunc_end1190:
	.size	_ZN7rocprim17ROCPRIM_400000_NS6detail17trampoline_kernelINS0_13select_configILj256ELj13ELNS0_17block_load_methodE3ELS4_3ELS4_3ELNS0_20block_scan_algorithmE0ELj4294967295EEENS1_25partition_config_selectorILNS1_17partition_subalgoE3EjNS0_10empty_typeEbEEZZNS1_14partition_implILS8_3ELb0ES6_jNS0_17counting_iteratorIjlEEPS9_SE_NS0_5tupleIJPjSE_EEENSF_IJSE_SE_EEES9_SG_JZNS1_25segmented_radix_sort_implINS0_14default_configELb0EPKdPdPKlPlN2at6native12_GLOBAL__N_18offset_tEEE10hipError_tPvRmT1_PNSt15iterator_traitsISY_E10value_typeET2_T3_PNSZ_IS14_E10value_typeET4_jRbjT5_S1A_jjP12ihipStream_tbEUljE_EEESV_SW_SX_S14_S18_S1A_T6_T7_T9_mT8_S1C_bDpT10_ENKUlT_T0_E_clISt17integral_constantIbLb0EES1P_EEDaS1K_S1L_EUlS1K_E_NS1_11comp_targetILNS1_3genE5ELNS1_11target_archE942ELNS1_3gpuE9ELNS1_3repE0EEENS1_30default_config_static_selectorELNS0_4arch9wavefront6targetE0EEEvSY_, .Lfunc_end1190-_ZN7rocprim17ROCPRIM_400000_NS6detail17trampoline_kernelINS0_13select_configILj256ELj13ELNS0_17block_load_methodE3ELS4_3ELS4_3ELNS0_20block_scan_algorithmE0ELj4294967295EEENS1_25partition_config_selectorILNS1_17partition_subalgoE3EjNS0_10empty_typeEbEEZZNS1_14partition_implILS8_3ELb0ES6_jNS0_17counting_iteratorIjlEEPS9_SE_NS0_5tupleIJPjSE_EEENSF_IJSE_SE_EEES9_SG_JZNS1_25segmented_radix_sort_implINS0_14default_configELb0EPKdPdPKlPlN2at6native12_GLOBAL__N_18offset_tEEE10hipError_tPvRmT1_PNSt15iterator_traitsISY_E10value_typeET2_T3_PNSZ_IS14_E10value_typeET4_jRbjT5_S1A_jjP12ihipStream_tbEUljE_EEESV_SW_SX_S14_S18_S1A_T6_T7_T9_mT8_S1C_bDpT10_ENKUlT_T0_E_clISt17integral_constantIbLb0EES1P_EEDaS1K_S1L_EUlS1K_E_NS1_11comp_targetILNS1_3genE5ELNS1_11target_archE942ELNS1_3gpuE9ELNS1_3repE0EEENS1_30default_config_static_selectorELNS0_4arch9wavefront6targetE0EEEvSY_
                                        ; -- End function
	.section	.AMDGPU.csdata,"",@progbits
; Kernel info:
; codeLenInByte = 0
; NumSgprs: 0
; NumVgprs: 0
; ScratchSize: 0
; MemoryBound: 0
; FloatMode: 240
; IeeeMode: 1
; LDSByteSize: 0 bytes/workgroup (compile time only)
; SGPRBlocks: 0
; VGPRBlocks: 0
; NumSGPRsForWavesPerEU: 1
; NumVGPRsForWavesPerEU: 1
; Occupancy: 16
; WaveLimiterHint : 0
; COMPUTE_PGM_RSRC2:SCRATCH_EN: 0
; COMPUTE_PGM_RSRC2:USER_SGPR: 15
; COMPUTE_PGM_RSRC2:TRAP_HANDLER: 0
; COMPUTE_PGM_RSRC2:TGID_X_EN: 1
; COMPUTE_PGM_RSRC2:TGID_Y_EN: 0
; COMPUTE_PGM_RSRC2:TGID_Z_EN: 0
; COMPUTE_PGM_RSRC2:TIDIG_COMP_CNT: 0
	.section	.text._ZN7rocprim17ROCPRIM_400000_NS6detail17trampoline_kernelINS0_13select_configILj256ELj13ELNS0_17block_load_methodE3ELS4_3ELS4_3ELNS0_20block_scan_algorithmE0ELj4294967295EEENS1_25partition_config_selectorILNS1_17partition_subalgoE3EjNS0_10empty_typeEbEEZZNS1_14partition_implILS8_3ELb0ES6_jNS0_17counting_iteratorIjlEEPS9_SE_NS0_5tupleIJPjSE_EEENSF_IJSE_SE_EEES9_SG_JZNS1_25segmented_radix_sort_implINS0_14default_configELb0EPKdPdPKlPlN2at6native12_GLOBAL__N_18offset_tEEE10hipError_tPvRmT1_PNSt15iterator_traitsISY_E10value_typeET2_T3_PNSZ_IS14_E10value_typeET4_jRbjT5_S1A_jjP12ihipStream_tbEUljE_EEESV_SW_SX_S14_S18_S1A_T6_T7_T9_mT8_S1C_bDpT10_ENKUlT_T0_E_clISt17integral_constantIbLb0EES1P_EEDaS1K_S1L_EUlS1K_E_NS1_11comp_targetILNS1_3genE4ELNS1_11target_archE910ELNS1_3gpuE8ELNS1_3repE0EEENS1_30default_config_static_selectorELNS0_4arch9wavefront6targetE0EEEvSY_,"axG",@progbits,_ZN7rocprim17ROCPRIM_400000_NS6detail17trampoline_kernelINS0_13select_configILj256ELj13ELNS0_17block_load_methodE3ELS4_3ELS4_3ELNS0_20block_scan_algorithmE0ELj4294967295EEENS1_25partition_config_selectorILNS1_17partition_subalgoE3EjNS0_10empty_typeEbEEZZNS1_14partition_implILS8_3ELb0ES6_jNS0_17counting_iteratorIjlEEPS9_SE_NS0_5tupleIJPjSE_EEENSF_IJSE_SE_EEES9_SG_JZNS1_25segmented_radix_sort_implINS0_14default_configELb0EPKdPdPKlPlN2at6native12_GLOBAL__N_18offset_tEEE10hipError_tPvRmT1_PNSt15iterator_traitsISY_E10value_typeET2_T3_PNSZ_IS14_E10value_typeET4_jRbjT5_S1A_jjP12ihipStream_tbEUljE_EEESV_SW_SX_S14_S18_S1A_T6_T7_T9_mT8_S1C_bDpT10_ENKUlT_T0_E_clISt17integral_constantIbLb0EES1P_EEDaS1K_S1L_EUlS1K_E_NS1_11comp_targetILNS1_3genE4ELNS1_11target_archE910ELNS1_3gpuE8ELNS1_3repE0EEENS1_30default_config_static_selectorELNS0_4arch9wavefront6targetE0EEEvSY_,comdat
	.globl	_ZN7rocprim17ROCPRIM_400000_NS6detail17trampoline_kernelINS0_13select_configILj256ELj13ELNS0_17block_load_methodE3ELS4_3ELS4_3ELNS0_20block_scan_algorithmE0ELj4294967295EEENS1_25partition_config_selectorILNS1_17partition_subalgoE3EjNS0_10empty_typeEbEEZZNS1_14partition_implILS8_3ELb0ES6_jNS0_17counting_iteratorIjlEEPS9_SE_NS0_5tupleIJPjSE_EEENSF_IJSE_SE_EEES9_SG_JZNS1_25segmented_radix_sort_implINS0_14default_configELb0EPKdPdPKlPlN2at6native12_GLOBAL__N_18offset_tEEE10hipError_tPvRmT1_PNSt15iterator_traitsISY_E10value_typeET2_T3_PNSZ_IS14_E10value_typeET4_jRbjT5_S1A_jjP12ihipStream_tbEUljE_EEESV_SW_SX_S14_S18_S1A_T6_T7_T9_mT8_S1C_bDpT10_ENKUlT_T0_E_clISt17integral_constantIbLb0EES1P_EEDaS1K_S1L_EUlS1K_E_NS1_11comp_targetILNS1_3genE4ELNS1_11target_archE910ELNS1_3gpuE8ELNS1_3repE0EEENS1_30default_config_static_selectorELNS0_4arch9wavefront6targetE0EEEvSY_ ; -- Begin function _ZN7rocprim17ROCPRIM_400000_NS6detail17trampoline_kernelINS0_13select_configILj256ELj13ELNS0_17block_load_methodE3ELS4_3ELS4_3ELNS0_20block_scan_algorithmE0ELj4294967295EEENS1_25partition_config_selectorILNS1_17partition_subalgoE3EjNS0_10empty_typeEbEEZZNS1_14partition_implILS8_3ELb0ES6_jNS0_17counting_iteratorIjlEEPS9_SE_NS0_5tupleIJPjSE_EEENSF_IJSE_SE_EEES9_SG_JZNS1_25segmented_radix_sort_implINS0_14default_configELb0EPKdPdPKlPlN2at6native12_GLOBAL__N_18offset_tEEE10hipError_tPvRmT1_PNSt15iterator_traitsISY_E10value_typeET2_T3_PNSZ_IS14_E10value_typeET4_jRbjT5_S1A_jjP12ihipStream_tbEUljE_EEESV_SW_SX_S14_S18_S1A_T6_T7_T9_mT8_S1C_bDpT10_ENKUlT_T0_E_clISt17integral_constantIbLb0EES1P_EEDaS1K_S1L_EUlS1K_E_NS1_11comp_targetILNS1_3genE4ELNS1_11target_archE910ELNS1_3gpuE8ELNS1_3repE0EEENS1_30default_config_static_selectorELNS0_4arch9wavefront6targetE0EEEvSY_
	.p2align	8
	.type	_ZN7rocprim17ROCPRIM_400000_NS6detail17trampoline_kernelINS0_13select_configILj256ELj13ELNS0_17block_load_methodE3ELS4_3ELS4_3ELNS0_20block_scan_algorithmE0ELj4294967295EEENS1_25partition_config_selectorILNS1_17partition_subalgoE3EjNS0_10empty_typeEbEEZZNS1_14partition_implILS8_3ELb0ES6_jNS0_17counting_iteratorIjlEEPS9_SE_NS0_5tupleIJPjSE_EEENSF_IJSE_SE_EEES9_SG_JZNS1_25segmented_radix_sort_implINS0_14default_configELb0EPKdPdPKlPlN2at6native12_GLOBAL__N_18offset_tEEE10hipError_tPvRmT1_PNSt15iterator_traitsISY_E10value_typeET2_T3_PNSZ_IS14_E10value_typeET4_jRbjT5_S1A_jjP12ihipStream_tbEUljE_EEESV_SW_SX_S14_S18_S1A_T6_T7_T9_mT8_S1C_bDpT10_ENKUlT_T0_E_clISt17integral_constantIbLb0EES1P_EEDaS1K_S1L_EUlS1K_E_NS1_11comp_targetILNS1_3genE4ELNS1_11target_archE910ELNS1_3gpuE8ELNS1_3repE0EEENS1_30default_config_static_selectorELNS0_4arch9wavefront6targetE0EEEvSY_,@function
_ZN7rocprim17ROCPRIM_400000_NS6detail17trampoline_kernelINS0_13select_configILj256ELj13ELNS0_17block_load_methodE3ELS4_3ELS4_3ELNS0_20block_scan_algorithmE0ELj4294967295EEENS1_25partition_config_selectorILNS1_17partition_subalgoE3EjNS0_10empty_typeEbEEZZNS1_14partition_implILS8_3ELb0ES6_jNS0_17counting_iteratorIjlEEPS9_SE_NS0_5tupleIJPjSE_EEENSF_IJSE_SE_EEES9_SG_JZNS1_25segmented_radix_sort_implINS0_14default_configELb0EPKdPdPKlPlN2at6native12_GLOBAL__N_18offset_tEEE10hipError_tPvRmT1_PNSt15iterator_traitsISY_E10value_typeET2_T3_PNSZ_IS14_E10value_typeET4_jRbjT5_S1A_jjP12ihipStream_tbEUljE_EEESV_SW_SX_S14_S18_S1A_T6_T7_T9_mT8_S1C_bDpT10_ENKUlT_T0_E_clISt17integral_constantIbLb0EES1P_EEDaS1K_S1L_EUlS1K_E_NS1_11comp_targetILNS1_3genE4ELNS1_11target_archE910ELNS1_3gpuE8ELNS1_3repE0EEENS1_30default_config_static_selectorELNS0_4arch9wavefront6targetE0EEEvSY_: ; @_ZN7rocprim17ROCPRIM_400000_NS6detail17trampoline_kernelINS0_13select_configILj256ELj13ELNS0_17block_load_methodE3ELS4_3ELS4_3ELNS0_20block_scan_algorithmE0ELj4294967295EEENS1_25partition_config_selectorILNS1_17partition_subalgoE3EjNS0_10empty_typeEbEEZZNS1_14partition_implILS8_3ELb0ES6_jNS0_17counting_iteratorIjlEEPS9_SE_NS0_5tupleIJPjSE_EEENSF_IJSE_SE_EEES9_SG_JZNS1_25segmented_radix_sort_implINS0_14default_configELb0EPKdPdPKlPlN2at6native12_GLOBAL__N_18offset_tEEE10hipError_tPvRmT1_PNSt15iterator_traitsISY_E10value_typeET2_T3_PNSZ_IS14_E10value_typeET4_jRbjT5_S1A_jjP12ihipStream_tbEUljE_EEESV_SW_SX_S14_S18_S1A_T6_T7_T9_mT8_S1C_bDpT10_ENKUlT_T0_E_clISt17integral_constantIbLb0EES1P_EEDaS1K_S1L_EUlS1K_E_NS1_11comp_targetILNS1_3genE4ELNS1_11target_archE910ELNS1_3gpuE8ELNS1_3repE0EEENS1_30default_config_static_selectorELNS0_4arch9wavefront6targetE0EEEvSY_
; %bb.0:
	.section	.rodata,"a",@progbits
	.p2align	6, 0x0
	.amdhsa_kernel _ZN7rocprim17ROCPRIM_400000_NS6detail17trampoline_kernelINS0_13select_configILj256ELj13ELNS0_17block_load_methodE3ELS4_3ELS4_3ELNS0_20block_scan_algorithmE0ELj4294967295EEENS1_25partition_config_selectorILNS1_17partition_subalgoE3EjNS0_10empty_typeEbEEZZNS1_14partition_implILS8_3ELb0ES6_jNS0_17counting_iteratorIjlEEPS9_SE_NS0_5tupleIJPjSE_EEENSF_IJSE_SE_EEES9_SG_JZNS1_25segmented_radix_sort_implINS0_14default_configELb0EPKdPdPKlPlN2at6native12_GLOBAL__N_18offset_tEEE10hipError_tPvRmT1_PNSt15iterator_traitsISY_E10value_typeET2_T3_PNSZ_IS14_E10value_typeET4_jRbjT5_S1A_jjP12ihipStream_tbEUljE_EEESV_SW_SX_S14_S18_S1A_T6_T7_T9_mT8_S1C_bDpT10_ENKUlT_T0_E_clISt17integral_constantIbLb0EES1P_EEDaS1K_S1L_EUlS1K_E_NS1_11comp_targetILNS1_3genE4ELNS1_11target_archE910ELNS1_3gpuE8ELNS1_3repE0EEENS1_30default_config_static_selectorELNS0_4arch9wavefront6targetE0EEEvSY_
		.amdhsa_group_segment_fixed_size 0
		.amdhsa_private_segment_fixed_size 0
		.amdhsa_kernarg_size 144
		.amdhsa_user_sgpr_count 15
		.amdhsa_user_sgpr_dispatch_ptr 0
		.amdhsa_user_sgpr_queue_ptr 0
		.amdhsa_user_sgpr_kernarg_segment_ptr 1
		.amdhsa_user_sgpr_dispatch_id 0
		.amdhsa_user_sgpr_private_segment_size 0
		.amdhsa_wavefront_size32 1
		.amdhsa_uses_dynamic_stack 0
		.amdhsa_enable_private_segment 0
		.amdhsa_system_sgpr_workgroup_id_x 1
		.amdhsa_system_sgpr_workgroup_id_y 0
		.amdhsa_system_sgpr_workgroup_id_z 0
		.amdhsa_system_sgpr_workgroup_info 0
		.amdhsa_system_vgpr_workitem_id 0
		.amdhsa_next_free_vgpr 1
		.amdhsa_next_free_sgpr 1
		.amdhsa_reserve_vcc 0
		.amdhsa_float_round_mode_32 0
		.amdhsa_float_round_mode_16_64 0
		.amdhsa_float_denorm_mode_32 3
		.amdhsa_float_denorm_mode_16_64 3
		.amdhsa_dx10_clamp 1
		.amdhsa_ieee_mode 1
		.amdhsa_fp16_overflow 0
		.amdhsa_workgroup_processor_mode 1
		.amdhsa_memory_ordered 1
		.amdhsa_forward_progress 0
		.amdhsa_shared_vgpr_count 0
		.amdhsa_exception_fp_ieee_invalid_op 0
		.amdhsa_exception_fp_denorm_src 0
		.amdhsa_exception_fp_ieee_div_zero 0
		.amdhsa_exception_fp_ieee_overflow 0
		.amdhsa_exception_fp_ieee_underflow 0
		.amdhsa_exception_fp_ieee_inexact 0
		.amdhsa_exception_int_div_zero 0
	.end_amdhsa_kernel
	.section	.text._ZN7rocprim17ROCPRIM_400000_NS6detail17trampoline_kernelINS0_13select_configILj256ELj13ELNS0_17block_load_methodE3ELS4_3ELS4_3ELNS0_20block_scan_algorithmE0ELj4294967295EEENS1_25partition_config_selectorILNS1_17partition_subalgoE3EjNS0_10empty_typeEbEEZZNS1_14partition_implILS8_3ELb0ES6_jNS0_17counting_iteratorIjlEEPS9_SE_NS0_5tupleIJPjSE_EEENSF_IJSE_SE_EEES9_SG_JZNS1_25segmented_radix_sort_implINS0_14default_configELb0EPKdPdPKlPlN2at6native12_GLOBAL__N_18offset_tEEE10hipError_tPvRmT1_PNSt15iterator_traitsISY_E10value_typeET2_T3_PNSZ_IS14_E10value_typeET4_jRbjT5_S1A_jjP12ihipStream_tbEUljE_EEESV_SW_SX_S14_S18_S1A_T6_T7_T9_mT8_S1C_bDpT10_ENKUlT_T0_E_clISt17integral_constantIbLb0EES1P_EEDaS1K_S1L_EUlS1K_E_NS1_11comp_targetILNS1_3genE4ELNS1_11target_archE910ELNS1_3gpuE8ELNS1_3repE0EEENS1_30default_config_static_selectorELNS0_4arch9wavefront6targetE0EEEvSY_,"axG",@progbits,_ZN7rocprim17ROCPRIM_400000_NS6detail17trampoline_kernelINS0_13select_configILj256ELj13ELNS0_17block_load_methodE3ELS4_3ELS4_3ELNS0_20block_scan_algorithmE0ELj4294967295EEENS1_25partition_config_selectorILNS1_17partition_subalgoE3EjNS0_10empty_typeEbEEZZNS1_14partition_implILS8_3ELb0ES6_jNS0_17counting_iteratorIjlEEPS9_SE_NS0_5tupleIJPjSE_EEENSF_IJSE_SE_EEES9_SG_JZNS1_25segmented_radix_sort_implINS0_14default_configELb0EPKdPdPKlPlN2at6native12_GLOBAL__N_18offset_tEEE10hipError_tPvRmT1_PNSt15iterator_traitsISY_E10value_typeET2_T3_PNSZ_IS14_E10value_typeET4_jRbjT5_S1A_jjP12ihipStream_tbEUljE_EEESV_SW_SX_S14_S18_S1A_T6_T7_T9_mT8_S1C_bDpT10_ENKUlT_T0_E_clISt17integral_constantIbLb0EES1P_EEDaS1K_S1L_EUlS1K_E_NS1_11comp_targetILNS1_3genE4ELNS1_11target_archE910ELNS1_3gpuE8ELNS1_3repE0EEENS1_30default_config_static_selectorELNS0_4arch9wavefront6targetE0EEEvSY_,comdat
.Lfunc_end1191:
	.size	_ZN7rocprim17ROCPRIM_400000_NS6detail17trampoline_kernelINS0_13select_configILj256ELj13ELNS0_17block_load_methodE3ELS4_3ELS4_3ELNS0_20block_scan_algorithmE0ELj4294967295EEENS1_25partition_config_selectorILNS1_17partition_subalgoE3EjNS0_10empty_typeEbEEZZNS1_14partition_implILS8_3ELb0ES6_jNS0_17counting_iteratorIjlEEPS9_SE_NS0_5tupleIJPjSE_EEENSF_IJSE_SE_EEES9_SG_JZNS1_25segmented_radix_sort_implINS0_14default_configELb0EPKdPdPKlPlN2at6native12_GLOBAL__N_18offset_tEEE10hipError_tPvRmT1_PNSt15iterator_traitsISY_E10value_typeET2_T3_PNSZ_IS14_E10value_typeET4_jRbjT5_S1A_jjP12ihipStream_tbEUljE_EEESV_SW_SX_S14_S18_S1A_T6_T7_T9_mT8_S1C_bDpT10_ENKUlT_T0_E_clISt17integral_constantIbLb0EES1P_EEDaS1K_S1L_EUlS1K_E_NS1_11comp_targetILNS1_3genE4ELNS1_11target_archE910ELNS1_3gpuE8ELNS1_3repE0EEENS1_30default_config_static_selectorELNS0_4arch9wavefront6targetE0EEEvSY_, .Lfunc_end1191-_ZN7rocprim17ROCPRIM_400000_NS6detail17trampoline_kernelINS0_13select_configILj256ELj13ELNS0_17block_load_methodE3ELS4_3ELS4_3ELNS0_20block_scan_algorithmE0ELj4294967295EEENS1_25partition_config_selectorILNS1_17partition_subalgoE3EjNS0_10empty_typeEbEEZZNS1_14partition_implILS8_3ELb0ES6_jNS0_17counting_iteratorIjlEEPS9_SE_NS0_5tupleIJPjSE_EEENSF_IJSE_SE_EEES9_SG_JZNS1_25segmented_radix_sort_implINS0_14default_configELb0EPKdPdPKlPlN2at6native12_GLOBAL__N_18offset_tEEE10hipError_tPvRmT1_PNSt15iterator_traitsISY_E10value_typeET2_T3_PNSZ_IS14_E10value_typeET4_jRbjT5_S1A_jjP12ihipStream_tbEUljE_EEESV_SW_SX_S14_S18_S1A_T6_T7_T9_mT8_S1C_bDpT10_ENKUlT_T0_E_clISt17integral_constantIbLb0EES1P_EEDaS1K_S1L_EUlS1K_E_NS1_11comp_targetILNS1_3genE4ELNS1_11target_archE910ELNS1_3gpuE8ELNS1_3repE0EEENS1_30default_config_static_selectorELNS0_4arch9wavefront6targetE0EEEvSY_
                                        ; -- End function
	.section	.AMDGPU.csdata,"",@progbits
; Kernel info:
; codeLenInByte = 0
; NumSgprs: 0
; NumVgprs: 0
; ScratchSize: 0
; MemoryBound: 0
; FloatMode: 240
; IeeeMode: 1
; LDSByteSize: 0 bytes/workgroup (compile time only)
; SGPRBlocks: 0
; VGPRBlocks: 0
; NumSGPRsForWavesPerEU: 1
; NumVGPRsForWavesPerEU: 1
; Occupancy: 16
; WaveLimiterHint : 0
; COMPUTE_PGM_RSRC2:SCRATCH_EN: 0
; COMPUTE_PGM_RSRC2:USER_SGPR: 15
; COMPUTE_PGM_RSRC2:TRAP_HANDLER: 0
; COMPUTE_PGM_RSRC2:TGID_X_EN: 1
; COMPUTE_PGM_RSRC2:TGID_Y_EN: 0
; COMPUTE_PGM_RSRC2:TGID_Z_EN: 0
; COMPUTE_PGM_RSRC2:TIDIG_COMP_CNT: 0
	.section	.text._ZN7rocprim17ROCPRIM_400000_NS6detail17trampoline_kernelINS0_13select_configILj256ELj13ELNS0_17block_load_methodE3ELS4_3ELS4_3ELNS0_20block_scan_algorithmE0ELj4294967295EEENS1_25partition_config_selectorILNS1_17partition_subalgoE3EjNS0_10empty_typeEbEEZZNS1_14partition_implILS8_3ELb0ES6_jNS0_17counting_iteratorIjlEEPS9_SE_NS0_5tupleIJPjSE_EEENSF_IJSE_SE_EEES9_SG_JZNS1_25segmented_radix_sort_implINS0_14default_configELb0EPKdPdPKlPlN2at6native12_GLOBAL__N_18offset_tEEE10hipError_tPvRmT1_PNSt15iterator_traitsISY_E10value_typeET2_T3_PNSZ_IS14_E10value_typeET4_jRbjT5_S1A_jjP12ihipStream_tbEUljE_EEESV_SW_SX_S14_S18_S1A_T6_T7_T9_mT8_S1C_bDpT10_ENKUlT_T0_E_clISt17integral_constantIbLb0EES1P_EEDaS1K_S1L_EUlS1K_E_NS1_11comp_targetILNS1_3genE3ELNS1_11target_archE908ELNS1_3gpuE7ELNS1_3repE0EEENS1_30default_config_static_selectorELNS0_4arch9wavefront6targetE0EEEvSY_,"axG",@progbits,_ZN7rocprim17ROCPRIM_400000_NS6detail17trampoline_kernelINS0_13select_configILj256ELj13ELNS0_17block_load_methodE3ELS4_3ELS4_3ELNS0_20block_scan_algorithmE0ELj4294967295EEENS1_25partition_config_selectorILNS1_17partition_subalgoE3EjNS0_10empty_typeEbEEZZNS1_14partition_implILS8_3ELb0ES6_jNS0_17counting_iteratorIjlEEPS9_SE_NS0_5tupleIJPjSE_EEENSF_IJSE_SE_EEES9_SG_JZNS1_25segmented_radix_sort_implINS0_14default_configELb0EPKdPdPKlPlN2at6native12_GLOBAL__N_18offset_tEEE10hipError_tPvRmT1_PNSt15iterator_traitsISY_E10value_typeET2_T3_PNSZ_IS14_E10value_typeET4_jRbjT5_S1A_jjP12ihipStream_tbEUljE_EEESV_SW_SX_S14_S18_S1A_T6_T7_T9_mT8_S1C_bDpT10_ENKUlT_T0_E_clISt17integral_constantIbLb0EES1P_EEDaS1K_S1L_EUlS1K_E_NS1_11comp_targetILNS1_3genE3ELNS1_11target_archE908ELNS1_3gpuE7ELNS1_3repE0EEENS1_30default_config_static_selectorELNS0_4arch9wavefront6targetE0EEEvSY_,comdat
	.globl	_ZN7rocprim17ROCPRIM_400000_NS6detail17trampoline_kernelINS0_13select_configILj256ELj13ELNS0_17block_load_methodE3ELS4_3ELS4_3ELNS0_20block_scan_algorithmE0ELj4294967295EEENS1_25partition_config_selectorILNS1_17partition_subalgoE3EjNS0_10empty_typeEbEEZZNS1_14partition_implILS8_3ELb0ES6_jNS0_17counting_iteratorIjlEEPS9_SE_NS0_5tupleIJPjSE_EEENSF_IJSE_SE_EEES9_SG_JZNS1_25segmented_radix_sort_implINS0_14default_configELb0EPKdPdPKlPlN2at6native12_GLOBAL__N_18offset_tEEE10hipError_tPvRmT1_PNSt15iterator_traitsISY_E10value_typeET2_T3_PNSZ_IS14_E10value_typeET4_jRbjT5_S1A_jjP12ihipStream_tbEUljE_EEESV_SW_SX_S14_S18_S1A_T6_T7_T9_mT8_S1C_bDpT10_ENKUlT_T0_E_clISt17integral_constantIbLb0EES1P_EEDaS1K_S1L_EUlS1K_E_NS1_11comp_targetILNS1_3genE3ELNS1_11target_archE908ELNS1_3gpuE7ELNS1_3repE0EEENS1_30default_config_static_selectorELNS0_4arch9wavefront6targetE0EEEvSY_ ; -- Begin function _ZN7rocprim17ROCPRIM_400000_NS6detail17trampoline_kernelINS0_13select_configILj256ELj13ELNS0_17block_load_methodE3ELS4_3ELS4_3ELNS0_20block_scan_algorithmE0ELj4294967295EEENS1_25partition_config_selectorILNS1_17partition_subalgoE3EjNS0_10empty_typeEbEEZZNS1_14partition_implILS8_3ELb0ES6_jNS0_17counting_iteratorIjlEEPS9_SE_NS0_5tupleIJPjSE_EEENSF_IJSE_SE_EEES9_SG_JZNS1_25segmented_radix_sort_implINS0_14default_configELb0EPKdPdPKlPlN2at6native12_GLOBAL__N_18offset_tEEE10hipError_tPvRmT1_PNSt15iterator_traitsISY_E10value_typeET2_T3_PNSZ_IS14_E10value_typeET4_jRbjT5_S1A_jjP12ihipStream_tbEUljE_EEESV_SW_SX_S14_S18_S1A_T6_T7_T9_mT8_S1C_bDpT10_ENKUlT_T0_E_clISt17integral_constantIbLb0EES1P_EEDaS1K_S1L_EUlS1K_E_NS1_11comp_targetILNS1_3genE3ELNS1_11target_archE908ELNS1_3gpuE7ELNS1_3repE0EEENS1_30default_config_static_selectorELNS0_4arch9wavefront6targetE0EEEvSY_
	.p2align	8
	.type	_ZN7rocprim17ROCPRIM_400000_NS6detail17trampoline_kernelINS0_13select_configILj256ELj13ELNS0_17block_load_methodE3ELS4_3ELS4_3ELNS0_20block_scan_algorithmE0ELj4294967295EEENS1_25partition_config_selectorILNS1_17partition_subalgoE3EjNS0_10empty_typeEbEEZZNS1_14partition_implILS8_3ELb0ES6_jNS0_17counting_iteratorIjlEEPS9_SE_NS0_5tupleIJPjSE_EEENSF_IJSE_SE_EEES9_SG_JZNS1_25segmented_radix_sort_implINS0_14default_configELb0EPKdPdPKlPlN2at6native12_GLOBAL__N_18offset_tEEE10hipError_tPvRmT1_PNSt15iterator_traitsISY_E10value_typeET2_T3_PNSZ_IS14_E10value_typeET4_jRbjT5_S1A_jjP12ihipStream_tbEUljE_EEESV_SW_SX_S14_S18_S1A_T6_T7_T9_mT8_S1C_bDpT10_ENKUlT_T0_E_clISt17integral_constantIbLb0EES1P_EEDaS1K_S1L_EUlS1K_E_NS1_11comp_targetILNS1_3genE3ELNS1_11target_archE908ELNS1_3gpuE7ELNS1_3repE0EEENS1_30default_config_static_selectorELNS0_4arch9wavefront6targetE0EEEvSY_,@function
_ZN7rocprim17ROCPRIM_400000_NS6detail17trampoline_kernelINS0_13select_configILj256ELj13ELNS0_17block_load_methodE3ELS4_3ELS4_3ELNS0_20block_scan_algorithmE0ELj4294967295EEENS1_25partition_config_selectorILNS1_17partition_subalgoE3EjNS0_10empty_typeEbEEZZNS1_14partition_implILS8_3ELb0ES6_jNS0_17counting_iteratorIjlEEPS9_SE_NS0_5tupleIJPjSE_EEENSF_IJSE_SE_EEES9_SG_JZNS1_25segmented_radix_sort_implINS0_14default_configELb0EPKdPdPKlPlN2at6native12_GLOBAL__N_18offset_tEEE10hipError_tPvRmT1_PNSt15iterator_traitsISY_E10value_typeET2_T3_PNSZ_IS14_E10value_typeET4_jRbjT5_S1A_jjP12ihipStream_tbEUljE_EEESV_SW_SX_S14_S18_S1A_T6_T7_T9_mT8_S1C_bDpT10_ENKUlT_T0_E_clISt17integral_constantIbLb0EES1P_EEDaS1K_S1L_EUlS1K_E_NS1_11comp_targetILNS1_3genE3ELNS1_11target_archE908ELNS1_3gpuE7ELNS1_3repE0EEENS1_30default_config_static_selectorELNS0_4arch9wavefront6targetE0EEEvSY_: ; @_ZN7rocprim17ROCPRIM_400000_NS6detail17trampoline_kernelINS0_13select_configILj256ELj13ELNS0_17block_load_methodE3ELS4_3ELS4_3ELNS0_20block_scan_algorithmE0ELj4294967295EEENS1_25partition_config_selectorILNS1_17partition_subalgoE3EjNS0_10empty_typeEbEEZZNS1_14partition_implILS8_3ELb0ES6_jNS0_17counting_iteratorIjlEEPS9_SE_NS0_5tupleIJPjSE_EEENSF_IJSE_SE_EEES9_SG_JZNS1_25segmented_radix_sort_implINS0_14default_configELb0EPKdPdPKlPlN2at6native12_GLOBAL__N_18offset_tEEE10hipError_tPvRmT1_PNSt15iterator_traitsISY_E10value_typeET2_T3_PNSZ_IS14_E10value_typeET4_jRbjT5_S1A_jjP12ihipStream_tbEUljE_EEESV_SW_SX_S14_S18_S1A_T6_T7_T9_mT8_S1C_bDpT10_ENKUlT_T0_E_clISt17integral_constantIbLb0EES1P_EEDaS1K_S1L_EUlS1K_E_NS1_11comp_targetILNS1_3genE3ELNS1_11target_archE908ELNS1_3gpuE7ELNS1_3repE0EEENS1_30default_config_static_selectorELNS0_4arch9wavefront6targetE0EEEvSY_
; %bb.0:
	.section	.rodata,"a",@progbits
	.p2align	6, 0x0
	.amdhsa_kernel _ZN7rocprim17ROCPRIM_400000_NS6detail17trampoline_kernelINS0_13select_configILj256ELj13ELNS0_17block_load_methodE3ELS4_3ELS4_3ELNS0_20block_scan_algorithmE0ELj4294967295EEENS1_25partition_config_selectorILNS1_17partition_subalgoE3EjNS0_10empty_typeEbEEZZNS1_14partition_implILS8_3ELb0ES6_jNS0_17counting_iteratorIjlEEPS9_SE_NS0_5tupleIJPjSE_EEENSF_IJSE_SE_EEES9_SG_JZNS1_25segmented_radix_sort_implINS0_14default_configELb0EPKdPdPKlPlN2at6native12_GLOBAL__N_18offset_tEEE10hipError_tPvRmT1_PNSt15iterator_traitsISY_E10value_typeET2_T3_PNSZ_IS14_E10value_typeET4_jRbjT5_S1A_jjP12ihipStream_tbEUljE_EEESV_SW_SX_S14_S18_S1A_T6_T7_T9_mT8_S1C_bDpT10_ENKUlT_T0_E_clISt17integral_constantIbLb0EES1P_EEDaS1K_S1L_EUlS1K_E_NS1_11comp_targetILNS1_3genE3ELNS1_11target_archE908ELNS1_3gpuE7ELNS1_3repE0EEENS1_30default_config_static_selectorELNS0_4arch9wavefront6targetE0EEEvSY_
		.amdhsa_group_segment_fixed_size 0
		.amdhsa_private_segment_fixed_size 0
		.amdhsa_kernarg_size 144
		.amdhsa_user_sgpr_count 15
		.amdhsa_user_sgpr_dispatch_ptr 0
		.amdhsa_user_sgpr_queue_ptr 0
		.amdhsa_user_sgpr_kernarg_segment_ptr 1
		.amdhsa_user_sgpr_dispatch_id 0
		.amdhsa_user_sgpr_private_segment_size 0
		.amdhsa_wavefront_size32 1
		.amdhsa_uses_dynamic_stack 0
		.amdhsa_enable_private_segment 0
		.amdhsa_system_sgpr_workgroup_id_x 1
		.amdhsa_system_sgpr_workgroup_id_y 0
		.amdhsa_system_sgpr_workgroup_id_z 0
		.amdhsa_system_sgpr_workgroup_info 0
		.amdhsa_system_vgpr_workitem_id 0
		.amdhsa_next_free_vgpr 1
		.amdhsa_next_free_sgpr 1
		.amdhsa_reserve_vcc 0
		.amdhsa_float_round_mode_32 0
		.amdhsa_float_round_mode_16_64 0
		.amdhsa_float_denorm_mode_32 3
		.amdhsa_float_denorm_mode_16_64 3
		.amdhsa_dx10_clamp 1
		.amdhsa_ieee_mode 1
		.amdhsa_fp16_overflow 0
		.amdhsa_workgroup_processor_mode 1
		.amdhsa_memory_ordered 1
		.amdhsa_forward_progress 0
		.amdhsa_shared_vgpr_count 0
		.amdhsa_exception_fp_ieee_invalid_op 0
		.amdhsa_exception_fp_denorm_src 0
		.amdhsa_exception_fp_ieee_div_zero 0
		.amdhsa_exception_fp_ieee_overflow 0
		.amdhsa_exception_fp_ieee_underflow 0
		.amdhsa_exception_fp_ieee_inexact 0
		.amdhsa_exception_int_div_zero 0
	.end_amdhsa_kernel
	.section	.text._ZN7rocprim17ROCPRIM_400000_NS6detail17trampoline_kernelINS0_13select_configILj256ELj13ELNS0_17block_load_methodE3ELS4_3ELS4_3ELNS0_20block_scan_algorithmE0ELj4294967295EEENS1_25partition_config_selectorILNS1_17partition_subalgoE3EjNS0_10empty_typeEbEEZZNS1_14partition_implILS8_3ELb0ES6_jNS0_17counting_iteratorIjlEEPS9_SE_NS0_5tupleIJPjSE_EEENSF_IJSE_SE_EEES9_SG_JZNS1_25segmented_radix_sort_implINS0_14default_configELb0EPKdPdPKlPlN2at6native12_GLOBAL__N_18offset_tEEE10hipError_tPvRmT1_PNSt15iterator_traitsISY_E10value_typeET2_T3_PNSZ_IS14_E10value_typeET4_jRbjT5_S1A_jjP12ihipStream_tbEUljE_EEESV_SW_SX_S14_S18_S1A_T6_T7_T9_mT8_S1C_bDpT10_ENKUlT_T0_E_clISt17integral_constantIbLb0EES1P_EEDaS1K_S1L_EUlS1K_E_NS1_11comp_targetILNS1_3genE3ELNS1_11target_archE908ELNS1_3gpuE7ELNS1_3repE0EEENS1_30default_config_static_selectorELNS0_4arch9wavefront6targetE0EEEvSY_,"axG",@progbits,_ZN7rocprim17ROCPRIM_400000_NS6detail17trampoline_kernelINS0_13select_configILj256ELj13ELNS0_17block_load_methodE3ELS4_3ELS4_3ELNS0_20block_scan_algorithmE0ELj4294967295EEENS1_25partition_config_selectorILNS1_17partition_subalgoE3EjNS0_10empty_typeEbEEZZNS1_14partition_implILS8_3ELb0ES6_jNS0_17counting_iteratorIjlEEPS9_SE_NS0_5tupleIJPjSE_EEENSF_IJSE_SE_EEES9_SG_JZNS1_25segmented_radix_sort_implINS0_14default_configELb0EPKdPdPKlPlN2at6native12_GLOBAL__N_18offset_tEEE10hipError_tPvRmT1_PNSt15iterator_traitsISY_E10value_typeET2_T3_PNSZ_IS14_E10value_typeET4_jRbjT5_S1A_jjP12ihipStream_tbEUljE_EEESV_SW_SX_S14_S18_S1A_T6_T7_T9_mT8_S1C_bDpT10_ENKUlT_T0_E_clISt17integral_constantIbLb0EES1P_EEDaS1K_S1L_EUlS1K_E_NS1_11comp_targetILNS1_3genE3ELNS1_11target_archE908ELNS1_3gpuE7ELNS1_3repE0EEENS1_30default_config_static_selectorELNS0_4arch9wavefront6targetE0EEEvSY_,comdat
.Lfunc_end1192:
	.size	_ZN7rocprim17ROCPRIM_400000_NS6detail17trampoline_kernelINS0_13select_configILj256ELj13ELNS0_17block_load_methodE3ELS4_3ELS4_3ELNS0_20block_scan_algorithmE0ELj4294967295EEENS1_25partition_config_selectorILNS1_17partition_subalgoE3EjNS0_10empty_typeEbEEZZNS1_14partition_implILS8_3ELb0ES6_jNS0_17counting_iteratorIjlEEPS9_SE_NS0_5tupleIJPjSE_EEENSF_IJSE_SE_EEES9_SG_JZNS1_25segmented_radix_sort_implINS0_14default_configELb0EPKdPdPKlPlN2at6native12_GLOBAL__N_18offset_tEEE10hipError_tPvRmT1_PNSt15iterator_traitsISY_E10value_typeET2_T3_PNSZ_IS14_E10value_typeET4_jRbjT5_S1A_jjP12ihipStream_tbEUljE_EEESV_SW_SX_S14_S18_S1A_T6_T7_T9_mT8_S1C_bDpT10_ENKUlT_T0_E_clISt17integral_constantIbLb0EES1P_EEDaS1K_S1L_EUlS1K_E_NS1_11comp_targetILNS1_3genE3ELNS1_11target_archE908ELNS1_3gpuE7ELNS1_3repE0EEENS1_30default_config_static_selectorELNS0_4arch9wavefront6targetE0EEEvSY_, .Lfunc_end1192-_ZN7rocprim17ROCPRIM_400000_NS6detail17trampoline_kernelINS0_13select_configILj256ELj13ELNS0_17block_load_methodE3ELS4_3ELS4_3ELNS0_20block_scan_algorithmE0ELj4294967295EEENS1_25partition_config_selectorILNS1_17partition_subalgoE3EjNS0_10empty_typeEbEEZZNS1_14partition_implILS8_3ELb0ES6_jNS0_17counting_iteratorIjlEEPS9_SE_NS0_5tupleIJPjSE_EEENSF_IJSE_SE_EEES9_SG_JZNS1_25segmented_radix_sort_implINS0_14default_configELb0EPKdPdPKlPlN2at6native12_GLOBAL__N_18offset_tEEE10hipError_tPvRmT1_PNSt15iterator_traitsISY_E10value_typeET2_T3_PNSZ_IS14_E10value_typeET4_jRbjT5_S1A_jjP12ihipStream_tbEUljE_EEESV_SW_SX_S14_S18_S1A_T6_T7_T9_mT8_S1C_bDpT10_ENKUlT_T0_E_clISt17integral_constantIbLb0EES1P_EEDaS1K_S1L_EUlS1K_E_NS1_11comp_targetILNS1_3genE3ELNS1_11target_archE908ELNS1_3gpuE7ELNS1_3repE0EEENS1_30default_config_static_selectorELNS0_4arch9wavefront6targetE0EEEvSY_
                                        ; -- End function
	.section	.AMDGPU.csdata,"",@progbits
; Kernel info:
; codeLenInByte = 0
; NumSgprs: 0
; NumVgprs: 0
; ScratchSize: 0
; MemoryBound: 0
; FloatMode: 240
; IeeeMode: 1
; LDSByteSize: 0 bytes/workgroup (compile time only)
; SGPRBlocks: 0
; VGPRBlocks: 0
; NumSGPRsForWavesPerEU: 1
; NumVGPRsForWavesPerEU: 1
; Occupancy: 16
; WaveLimiterHint : 0
; COMPUTE_PGM_RSRC2:SCRATCH_EN: 0
; COMPUTE_PGM_RSRC2:USER_SGPR: 15
; COMPUTE_PGM_RSRC2:TRAP_HANDLER: 0
; COMPUTE_PGM_RSRC2:TGID_X_EN: 1
; COMPUTE_PGM_RSRC2:TGID_Y_EN: 0
; COMPUTE_PGM_RSRC2:TGID_Z_EN: 0
; COMPUTE_PGM_RSRC2:TIDIG_COMP_CNT: 0
	.section	.text._ZN7rocprim17ROCPRIM_400000_NS6detail17trampoline_kernelINS0_13select_configILj256ELj13ELNS0_17block_load_methodE3ELS4_3ELS4_3ELNS0_20block_scan_algorithmE0ELj4294967295EEENS1_25partition_config_selectorILNS1_17partition_subalgoE3EjNS0_10empty_typeEbEEZZNS1_14partition_implILS8_3ELb0ES6_jNS0_17counting_iteratorIjlEEPS9_SE_NS0_5tupleIJPjSE_EEENSF_IJSE_SE_EEES9_SG_JZNS1_25segmented_radix_sort_implINS0_14default_configELb0EPKdPdPKlPlN2at6native12_GLOBAL__N_18offset_tEEE10hipError_tPvRmT1_PNSt15iterator_traitsISY_E10value_typeET2_T3_PNSZ_IS14_E10value_typeET4_jRbjT5_S1A_jjP12ihipStream_tbEUljE_EEESV_SW_SX_S14_S18_S1A_T6_T7_T9_mT8_S1C_bDpT10_ENKUlT_T0_E_clISt17integral_constantIbLb0EES1P_EEDaS1K_S1L_EUlS1K_E_NS1_11comp_targetILNS1_3genE2ELNS1_11target_archE906ELNS1_3gpuE6ELNS1_3repE0EEENS1_30default_config_static_selectorELNS0_4arch9wavefront6targetE0EEEvSY_,"axG",@progbits,_ZN7rocprim17ROCPRIM_400000_NS6detail17trampoline_kernelINS0_13select_configILj256ELj13ELNS0_17block_load_methodE3ELS4_3ELS4_3ELNS0_20block_scan_algorithmE0ELj4294967295EEENS1_25partition_config_selectorILNS1_17partition_subalgoE3EjNS0_10empty_typeEbEEZZNS1_14partition_implILS8_3ELb0ES6_jNS0_17counting_iteratorIjlEEPS9_SE_NS0_5tupleIJPjSE_EEENSF_IJSE_SE_EEES9_SG_JZNS1_25segmented_radix_sort_implINS0_14default_configELb0EPKdPdPKlPlN2at6native12_GLOBAL__N_18offset_tEEE10hipError_tPvRmT1_PNSt15iterator_traitsISY_E10value_typeET2_T3_PNSZ_IS14_E10value_typeET4_jRbjT5_S1A_jjP12ihipStream_tbEUljE_EEESV_SW_SX_S14_S18_S1A_T6_T7_T9_mT8_S1C_bDpT10_ENKUlT_T0_E_clISt17integral_constantIbLb0EES1P_EEDaS1K_S1L_EUlS1K_E_NS1_11comp_targetILNS1_3genE2ELNS1_11target_archE906ELNS1_3gpuE6ELNS1_3repE0EEENS1_30default_config_static_selectorELNS0_4arch9wavefront6targetE0EEEvSY_,comdat
	.globl	_ZN7rocprim17ROCPRIM_400000_NS6detail17trampoline_kernelINS0_13select_configILj256ELj13ELNS0_17block_load_methodE3ELS4_3ELS4_3ELNS0_20block_scan_algorithmE0ELj4294967295EEENS1_25partition_config_selectorILNS1_17partition_subalgoE3EjNS0_10empty_typeEbEEZZNS1_14partition_implILS8_3ELb0ES6_jNS0_17counting_iteratorIjlEEPS9_SE_NS0_5tupleIJPjSE_EEENSF_IJSE_SE_EEES9_SG_JZNS1_25segmented_radix_sort_implINS0_14default_configELb0EPKdPdPKlPlN2at6native12_GLOBAL__N_18offset_tEEE10hipError_tPvRmT1_PNSt15iterator_traitsISY_E10value_typeET2_T3_PNSZ_IS14_E10value_typeET4_jRbjT5_S1A_jjP12ihipStream_tbEUljE_EEESV_SW_SX_S14_S18_S1A_T6_T7_T9_mT8_S1C_bDpT10_ENKUlT_T0_E_clISt17integral_constantIbLb0EES1P_EEDaS1K_S1L_EUlS1K_E_NS1_11comp_targetILNS1_3genE2ELNS1_11target_archE906ELNS1_3gpuE6ELNS1_3repE0EEENS1_30default_config_static_selectorELNS0_4arch9wavefront6targetE0EEEvSY_ ; -- Begin function _ZN7rocprim17ROCPRIM_400000_NS6detail17trampoline_kernelINS0_13select_configILj256ELj13ELNS0_17block_load_methodE3ELS4_3ELS4_3ELNS0_20block_scan_algorithmE0ELj4294967295EEENS1_25partition_config_selectorILNS1_17partition_subalgoE3EjNS0_10empty_typeEbEEZZNS1_14partition_implILS8_3ELb0ES6_jNS0_17counting_iteratorIjlEEPS9_SE_NS0_5tupleIJPjSE_EEENSF_IJSE_SE_EEES9_SG_JZNS1_25segmented_radix_sort_implINS0_14default_configELb0EPKdPdPKlPlN2at6native12_GLOBAL__N_18offset_tEEE10hipError_tPvRmT1_PNSt15iterator_traitsISY_E10value_typeET2_T3_PNSZ_IS14_E10value_typeET4_jRbjT5_S1A_jjP12ihipStream_tbEUljE_EEESV_SW_SX_S14_S18_S1A_T6_T7_T9_mT8_S1C_bDpT10_ENKUlT_T0_E_clISt17integral_constantIbLb0EES1P_EEDaS1K_S1L_EUlS1K_E_NS1_11comp_targetILNS1_3genE2ELNS1_11target_archE906ELNS1_3gpuE6ELNS1_3repE0EEENS1_30default_config_static_selectorELNS0_4arch9wavefront6targetE0EEEvSY_
	.p2align	8
	.type	_ZN7rocprim17ROCPRIM_400000_NS6detail17trampoline_kernelINS0_13select_configILj256ELj13ELNS0_17block_load_methodE3ELS4_3ELS4_3ELNS0_20block_scan_algorithmE0ELj4294967295EEENS1_25partition_config_selectorILNS1_17partition_subalgoE3EjNS0_10empty_typeEbEEZZNS1_14partition_implILS8_3ELb0ES6_jNS0_17counting_iteratorIjlEEPS9_SE_NS0_5tupleIJPjSE_EEENSF_IJSE_SE_EEES9_SG_JZNS1_25segmented_radix_sort_implINS0_14default_configELb0EPKdPdPKlPlN2at6native12_GLOBAL__N_18offset_tEEE10hipError_tPvRmT1_PNSt15iterator_traitsISY_E10value_typeET2_T3_PNSZ_IS14_E10value_typeET4_jRbjT5_S1A_jjP12ihipStream_tbEUljE_EEESV_SW_SX_S14_S18_S1A_T6_T7_T9_mT8_S1C_bDpT10_ENKUlT_T0_E_clISt17integral_constantIbLb0EES1P_EEDaS1K_S1L_EUlS1K_E_NS1_11comp_targetILNS1_3genE2ELNS1_11target_archE906ELNS1_3gpuE6ELNS1_3repE0EEENS1_30default_config_static_selectorELNS0_4arch9wavefront6targetE0EEEvSY_,@function
_ZN7rocprim17ROCPRIM_400000_NS6detail17trampoline_kernelINS0_13select_configILj256ELj13ELNS0_17block_load_methodE3ELS4_3ELS4_3ELNS0_20block_scan_algorithmE0ELj4294967295EEENS1_25partition_config_selectorILNS1_17partition_subalgoE3EjNS0_10empty_typeEbEEZZNS1_14partition_implILS8_3ELb0ES6_jNS0_17counting_iteratorIjlEEPS9_SE_NS0_5tupleIJPjSE_EEENSF_IJSE_SE_EEES9_SG_JZNS1_25segmented_radix_sort_implINS0_14default_configELb0EPKdPdPKlPlN2at6native12_GLOBAL__N_18offset_tEEE10hipError_tPvRmT1_PNSt15iterator_traitsISY_E10value_typeET2_T3_PNSZ_IS14_E10value_typeET4_jRbjT5_S1A_jjP12ihipStream_tbEUljE_EEESV_SW_SX_S14_S18_S1A_T6_T7_T9_mT8_S1C_bDpT10_ENKUlT_T0_E_clISt17integral_constantIbLb0EES1P_EEDaS1K_S1L_EUlS1K_E_NS1_11comp_targetILNS1_3genE2ELNS1_11target_archE906ELNS1_3gpuE6ELNS1_3repE0EEENS1_30default_config_static_selectorELNS0_4arch9wavefront6targetE0EEEvSY_: ; @_ZN7rocprim17ROCPRIM_400000_NS6detail17trampoline_kernelINS0_13select_configILj256ELj13ELNS0_17block_load_methodE3ELS4_3ELS4_3ELNS0_20block_scan_algorithmE0ELj4294967295EEENS1_25partition_config_selectorILNS1_17partition_subalgoE3EjNS0_10empty_typeEbEEZZNS1_14partition_implILS8_3ELb0ES6_jNS0_17counting_iteratorIjlEEPS9_SE_NS0_5tupleIJPjSE_EEENSF_IJSE_SE_EEES9_SG_JZNS1_25segmented_radix_sort_implINS0_14default_configELb0EPKdPdPKlPlN2at6native12_GLOBAL__N_18offset_tEEE10hipError_tPvRmT1_PNSt15iterator_traitsISY_E10value_typeET2_T3_PNSZ_IS14_E10value_typeET4_jRbjT5_S1A_jjP12ihipStream_tbEUljE_EEESV_SW_SX_S14_S18_S1A_T6_T7_T9_mT8_S1C_bDpT10_ENKUlT_T0_E_clISt17integral_constantIbLb0EES1P_EEDaS1K_S1L_EUlS1K_E_NS1_11comp_targetILNS1_3genE2ELNS1_11target_archE906ELNS1_3gpuE6ELNS1_3repE0EEENS1_30default_config_static_selectorELNS0_4arch9wavefront6targetE0EEEvSY_
; %bb.0:
	.section	.rodata,"a",@progbits
	.p2align	6, 0x0
	.amdhsa_kernel _ZN7rocprim17ROCPRIM_400000_NS6detail17trampoline_kernelINS0_13select_configILj256ELj13ELNS0_17block_load_methodE3ELS4_3ELS4_3ELNS0_20block_scan_algorithmE0ELj4294967295EEENS1_25partition_config_selectorILNS1_17partition_subalgoE3EjNS0_10empty_typeEbEEZZNS1_14partition_implILS8_3ELb0ES6_jNS0_17counting_iteratorIjlEEPS9_SE_NS0_5tupleIJPjSE_EEENSF_IJSE_SE_EEES9_SG_JZNS1_25segmented_radix_sort_implINS0_14default_configELb0EPKdPdPKlPlN2at6native12_GLOBAL__N_18offset_tEEE10hipError_tPvRmT1_PNSt15iterator_traitsISY_E10value_typeET2_T3_PNSZ_IS14_E10value_typeET4_jRbjT5_S1A_jjP12ihipStream_tbEUljE_EEESV_SW_SX_S14_S18_S1A_T6_T7_T9_mT8_S1C_bDpT10_ENKUlT_T0_E_clISt17integral_constantIbLb0EES1P_EEDaS1K_S1L_EUlS1K_E_NS1_11comp_targetILNS1_3genE2ELNS1_11target_archE906ELNS1_3gpuE6ELNS1_3repE0EEENS1_30default_config_static_selectorELNS0_4arch9wavefront6targetE0EEEvSY_
		.amdhsa_group_segment_fixed_size 0
		.amdhsa_private_segment_fixed_size 0
		.amdhsa_kernarg_size 144
		.amdhsa_user_sgpr_count 15
		.amdhsa_user_sgpr_dispatch_ptr 0
		.amdhsa_user_sgpr_queue_ptr 0
		.amdhsa_user_sgpr_kernarg_segment_ptr 1
		.amdhsa_user_sgpr_dispatch_id 0
		.amdhsa_user_sgpr_private_segment_size 0
		.amdhsa_wavefront_size32 1
		.amdhsa_uses_dynamic_stack 0
		.amdhsa_enable_private_segment 0
		.amdhsa_system_sgpr_workgroup_id_x 1
		.amdhsa_system_sgpr_workgroup_id_y 0
		.amdhsa_system_sgpr_workgroup_id_z 0
		.amdhsa_system_sgpr_workgroup_info 0
		.amdhsa_system_vgpr_workitem_id 0
		.amdhsa_next_free_vgpr 1
		.amdhsa_next_free_sgpr 1
		.amdhsa_reserve_vcc 0
		.amdhsa_float_round_mode_32 0
		.amdhsa_float_round_mode_16_64 0
		.amdhsa_float_denorm_mode_32 3
		.amdhsa_float_denorm_mode_16_64 3
		.amdhsa_dx10_clamp 1
		.amdhsa_ieee_mode 1
		.amdhsa_fp16_overflow 0
		.amdhsa_workgroup_processor_mode 1
		.amdhsa_memory_ordered 1
		.amdhsa_forward_progress 0
		.amdhsa_shared_vgpr_count 0
		.amdhsa_exception_fp_ieee_invalid_op 0
		.amdhsa_exception_fp_denorm_src 0
		.amdhsa_exception_fp_ieee_div_zero 0
		.amdhsa_exception_fp_ieee_overflow 0
		.amdhsa_exception_fp_ieee_underflow 0
		.amdhsa_exception_fp_ieee_inexact 0
		.amdhsa_exception_int_div_zero 0
	.end_amdhsa_kernel
	.section	.text._ZN7rocprim17ROCPRIM_400000_NS6detail17trampoline_kernelINS0_13select_configILj256ELj13ELNS0_17block_load_methodE3ELS4_3ELS4_3ELNS0_20block_scan_algorithmE0ELj4294967295EEENS1_25partition_config_selectorILNS1_17partition_subalgoE3EjNS0_10empty_typeEbEEZZNS1_14partition_implILS8_3ELb0ES6_jNS0_17counting_iteratorIjlEEPS9_SE_NS0_5tupleIJPjSE_EEENSF_IJSE_SE_EEES9_SG_JZNS1_25segmented_radix_sort_implINS0_14default_configELb0EPKdPdPKlPlN2at6native12_GLOBAL__N_18offset_tEEE10hipError_tPvRmT1_PNSt15iterator_traitsISY_E10value_typeET2_T3_PNSZ_IS14_E10value_typeET4_jRbjT5_S1A_jjP12ihipStream_tbEUljE_EEESV_SW_SX_S14_S18_S1A_T6_T7_T9_mT8_S1C_bDpT10_ENKUlT_T0_E_clISt17integral_constantIbLb0EES1P_EEDaS1K_S1L_EUlS1K_E_NS1_11comp_targetILNS1_3genE2ELNS1_11target_archE906ELNS1_3gpuE6ELNS1_3repE0EEENS1_30default_config_static_selectorELNS0_4arch9wavefront6targetE0EEEvSY_,"axG",@progbits,_ZN7rocprim17ROCPRIM_400000_NS6detail17trampoline_kernelINS0_13select_configILj256ELj13ELNS0_17block_load_methodE3ELS4_3ELS4_3ELNS0_20block_scan_algorithmE0ELj4294967295EEENS1_25partition_config_selectorILNS1_17partition_subalgoE3EjNS0_10empty_typeEbEEZZNS1_14partition_implILS8_3ELb0ES6_jNS0_17counting_iteratorIjlEEPS9_SE_NS0_5tupleIJPjSE_EEENSF_IJSE_SE_EEES9_SG_JZNS1_25segmented_radix_sort_implINS0_14default_configELb0EPKdPdPKlPlN2at6native12_GLOBAL__N_18offset_tEEE10hipError_tPvRmT1_PNSt15iterator_traitsISY_E10value_typeET2_T3_PNSZ_IS14_E10value_typeET4_jRbjT5_S1A_jjP12ihipStream_tbEUljE_EEESV_SW_SX_S14_S18_S1A_T6_T7_T9_mT8_S1C_bDpT10_ENKUlT_T0_E_clISt17integral_constantIbLb0EES1P_EEDaS1K_S1L_EUlS1K_E_NS1_11comp_targetILNS1_3genE2ELNS1_11target_archE906ELNS1_3gpuE6ELNS1_3repE0EEENS1_30default_config_static_selectorELNS0_4arch9wavefront6targetE0EEEvSY_,comdat
.Lfunc_end1193:
	.size	_ZN7rocprim17ROCPRIM_400000_NS6detail17trampoline_kernelINS0_13select_configILj256ELj13ELNS0_17block_load_methodE3ELS4_3ELS4_3ELNS0_20block_scan_algorithmE0ELj4294967295EEENS1_25partition_config_selectorILNS1_17partition_subalgoE3EjNS0_10empty_typeEbEEZZNS1_14partition_implILS8_3ELb0ES6_jNS0_17counting_iteratorIjlEEPS9_SE_NS0_5tupleIJPjSE_EEENSF_IJSE_SE_EEES9_SG_JZNS1_25segmented_radix_sort_implINS0_14default_configELb0EPKdPdPKlPlN2at6native12_GLOBAL__N_18offset_tEEE10hipError_tPvRmT1_PNSt15iterator_traitsISY_E10value_typeET2_T3_PNSZ_IS14_E10value_typeET4_jRbjT5_S1A_jjP12ihipStream_tbEUljE_EEESV_SW_SX_S14_S18_S1A_T6_T7_T9_mT8_S1C_bDpT10_ENKUlT_T0_E_clISt17integral_constantIbLb0EES1P_EEDaS1K_S1L_EUlS1K_E_NS1_11comp_targetILNS1_3genE2ELNS1_11target_archE906ELNS1_3gpuE6ELNS1_3repE0EEENS1_30default_config_static_selectorELNS0_4arch9wavefront6targetE0EEEvSY_, .Lfunc_end1193-_ZN7rocprim17ROCPRIM_400000_NS6detail17trampoline_kernelINS0_13select_configILj256ELj13ELNS0_17block_load_methodE3ELS4_3ELS4_3ELNS0_20block_scan_algorithmE0ELj4294967295EEENS1_25partition_config_selectorILNS1_17partition_subalgoE3EjNS0_10empty_typeEbEEZZNS1_14partition_implILS8_3ELb0ES6_jNS0_17counting_iteratorIjlEEPS9_SE_NS0_5tupleIJPjSE_EEENSF_IJSE_SE_EEES9_SG_JZNS1_25segmented_radix_sort_implINS0_14default_configELb0EPKdPdPKlPlN2at6native12_GLOBAL__N_18offset_tEEE10hipError_tPvRmT1_PNSt15iterator_traitsISY_E10value_typeET2_T3_PNSZ_IS14_E10value_typeET4_jRbjT5_S1A_jjP12ihipStream_tbEUljE_EEESV_SW_SX_S14_S18_S1A_T6_T7_T9_mT8_S1C_bDpT10_ENKUlT_T0_E_clISt17integral_constantIbLb0EES1P_EEDaS1K_S1L_EUlS1K_E_NS1_11comp_targetILNS1_3genE2ELNS1_11target_archE906ELNS1_3gpuE6ELNS1_3repE0EEENS1_30default_config_static_selectorELNS0_4arch9wavefront6targetE0EEEvSY_
                                        ; -- End function
	.section	.AMDGPU.csdata,"",@progbits
; Kernel info:
; codeLenInByte = 0
; NumSgprs: 0
; NumVgprs: 0
; ScratchSize: 0
; MemoryBound: 0
; FloatMode: 240
; IeeeMode: 1
; LDSByteSize: 0 bytes/workgroup (compile time only)
; SGPRBlocks: 0
; VGPRBlocks: 0
; NumSGPRsForWavesPerEU: 1
; NumVGPRsForWavesPerEU: 1
; Occupancy: 16
; WaveLimiterHint : 0
; COMPUTE_PGM_RSRC2:SCRATCH_EN: 0
; COMPUTE_PGM_RSRC2:USER_SGPR: 15
; COMPUTE_PGM_RSRC2:TRAP_HANDLER: 0
; COMPUTE_PGM_RSRC2:TGID_X_EN: 1
; COMPUTE_PGM_RSRC2:TGID_Y_EN: 0
; COMPUTE_PGM_RSRC2:TGID_Z_EN: 0
; COMPUTE_PGM_RSRC2:TIDIG_COMP_CNT: 0
	.section	.text._ZN7rocprim17ROCPRIM_400000_NS6detail17trampoline_kernelINS0_13select_configILj256ELj13ELNS0_17block_load_methodE3ELS4_3ELS4_3ELNS0_20block_scan_algorithmE0ELj4294967295EEENS1_25partition_config_selectorILNS1_17partition_subalgoE3EjNS0_10empty_typeEbEEZZNS1_14partition_implILS8_3ELb0ES6_jNS0_17counting_iteratorIjlEEPS9_SE_NS0_5tupleIJPjSE_EEENSF_IJSE_SE_EEES9_SG_JZNS1_25segmented_radix_sort_implINS0_14default_configELb0EPKdPdPKlPlN2at6native12_GLOBAL__N_18offset_tEEE10hipError_tPvRmT1_PNSt15iterator_traitsISY_E10value_typeET2_T3_PNSZ_IS14_E10value_typeET4_jRbjT5_S1A_jjP12ihipStream_tbEUljE_EEESV_SW_SX_S14_S18_S1A_T6_T7_T9_mT8_S1C_bDpT10_ENKUlT_T0_E_clISt17integral_constantIbLb0EES1P_EEDaS1K_S1L_EUlS1K_E_NS1_11comp_targetILNS1_3genE10ELNS1_11target_archE1200ELNS1_3gpuE4ELNS1_3repE0EEENS1_30default_config_static_selectorELNS0_4arch9wavefront6targetE0EEEvSY_,"axG",@progbits,_ZN7rocprim17ROCPRIM_400000_NS6detail17trampoline_kernelINS0_13select_configILj256ELj13ELNS0_17block_load_methodE3ELS4_3ELS4_3ELNS0_20block_scan_algorithmE0ELj4294967295EEENS1_25partition_config_selectorILNS1_17partition_subalgoE3EjNS0_10empty_typeEbEEZZNS1_14partition_implILS8_3ELb0ES6_jNS0_17counting_iteratorIjlEEPS9_SE_NS0_5tupleIJPjSE_EEENSF_IJSE_SE_EEES9_SG_JZNS1_25segmented_radix_sort_implINS0_14default_configELb0EPKdPdPKlPlN2at6native12_GLOBAL__N_18offset_tEEE10hipError_tPvRmT1_PNSt15iterator_traitsISY_E10value_typeET2_T3_PNSZ_IS14_E10value_typeET4_jRbjT5_S1A_jjP12ihipStream_tbEUljE_EEESV_SW_SX_S14_S18_S1A_T6_T7_T9_mT8_S1C_bDpT10_ENKUlT_T0_E_clISt17integral_constantIbLb0EES1P_EEDaS1K_S1L_EUlS1K_E_NS1_11comp_targetILNS1_3genE10ELNS1_11target_archE1200ELNS1_3gpuE4ELNS1_3repE0EEENS1_30default_config_static_selectorELNS0_4arch9wavefront6targetE0EEEvSY_,comdat
	.globl	_ZN7rocprim17ROCPRIM_400000_NS6detail17trampoline_kernelINS0_13select_configILj256ELj13ELNS0_17block_load_methodE3ELS4_3ELS4_3ELNS0_20block_scan_algorithmE0ELj4294967295EEENS1_25partition_config_selectorILNS1_17partition_subalgoE3EjNS0_10empty_typeEbEEZZNS1_14partition_implILS8_3ELb0ES6_jNS0_17counting_iteratorIjlEEPS9_SE_NS0_5tupleIJPjSE_EEENSF_IJSE_SE_EEES9_SG_JZNS1_25segmented_radix_sort_implINS0_14default_configELb0EPKdPdPKlPlN2at6native12_GLOBAL__N_18offset_tEEE10hipError_tPvRmT1_PNSt15iterator_traitsISY_E10value_typeET2_T3_PNSZ_IS14_E10value_typeET4_jRbjT5_S1A_jjP12ihipStream_tbEUljE_EEESV_SW_SX_S14_S18_S1A_T6_T7_T9_mT8_S1C_bDpT10_ENKUlT_T0_E_clISt17integral_constantIbLb0EES1P_EEDaS1K_S1L_EUlS1K_E_NS1_11comp_targetILNS1_3genE10ELNS1_11target_archE1200ELNS1_3gpuE4ELNS1_3repE0EEENS1_30default_config_static_selectorELNS0_4arch9wavefront6targetE0EEEvSY_ ; -- Begin function _ZN7rocprim17ROCPRIM_400000_NS6detail17trampoline_kernelINS0_13select_configILj256ELj13ELNS0_17block_load_methodE3ELS4_3ELS4_3ELNS0_20block_scan_algorithmE0ELj4294967295EEENS1_25partition_config_selectorILNS1_17partition_subalgoE3EjNS0_10empty_typeEbEEZZNS1_14partition_implILS8_3ELb0ES6_jNS0_17counting_iteratorIjlEEPS9_SE_NS0_5tupleIJPjSE_EEENSF_IJSE_SE_EEES9_SG_JZNS1_25segmented_radix_sort_implINS0_14default_configELb0EPKdPdPKlPlN2at6native12_GLOBAL__N_18offset_tEEE10hipError_tPvRmT1_PNSt15iterator_traitsISY_E10value_typeET2_T3_PNSZ_IS14_E10value_typeET4_jRbjT5_S1A_jjP12ihipStream_tbEUljE_EEESV_SW_SX_S14_S18_S1A_T6_T7_T9_mT8_S1C_bDpT10_ENKUlT_T0_E_clISt17integral_constantIbLb0EES1P_EEDaS1K_S1L_EUlS1K_E_NS1_11comp_targetILNS1_3genE10ELNS1_11target_archE1200ELNS1_3gpuE4ELNS1_3repE0EEENS1_30default_config_static_selectorELNS0_4arch9wavefront6targetE0EEEvSY_
	.p2align	8
	.type	_ZN7rocprim17ROCPRIM_400000_NS6detail17trampoline_kernelINS0_13select_configILj256ELj13ELNS0_17block_load_methodE3ELS4_3ELS4_3ELNS0_20block_scan_algorithmE0ELj4294967295EEENS1_25partition_config_selectorILNS1_17partition_subalgoE3EjNS0_10empty_typeEbEEZZNS1_14partition_implILS8_3ELb0ES6_jNS0_17counting_iteratorIjlEEPS9_SE_NS0_5tupleIJPjSE_EEENSF_IJSE_SE_EEES9_SG_JZNS1_25segmented_radix_sort_implINS0_14default_configELb0EPKdPdPKlPlN2at6native12_GLOBAL__N_18offset_tEEE10hipError_tPvRmT1_PNSt15iterator_traitsISY_E10value_typeET2_T3_PNSZ_IS14_E10value_typeET4_jRbjT5_S1A_jjP12ihipStream_tbEUljE_EEESV_SW_SX_S14_S18_S1A_T6_T7_T9_mT8_S1C_bDpT10_ENKUlT_T0_E_clISt17integral_constantIbLb0EES1P_EEDaS1K_S1L_EUlS1K_E_NS1_11comp_targetILNS1_3genE10ELNS1_11target_archE1200ELNS1_3gpuE4ELNS1_3repE0EEENS1_30default_config_static_selectorELNS0_4arch9wavefront6targetE0EEEvSY_,@function
_ZN7rocprim17ROCPRIM_400000_NS6detail17trampoline_kernelINS0_13select_configILj256ELj13ELNS0_17block_load_methodE3ELS4_3ELS4_3ELNS0_20block_scan_algorithmE0ELj4294967295EEENS1_25partition_config_selectorILNS1_17partition_subalgoE3EjNS0_10empty_typeEbEEZZNS1_14partition_implILS8_3ELb0ES6_jNS0_17counting_iteratorIjlEEPS9_SE_NS0_5tupleIJPjSE_EEENSF_IJSE_SE_EEES9_SG_JZNS1_25segmented_radix_sort_implINS0_14default_configELb0EPKdPdPKlPlN2at6native12_GLOBAL__N_18offset_tEEE10hipError_tPvRmT1_PNSt15iterator_traitsISY_E10value_typeET2_T3_PNSZ_IS14_E10value_typeET4_jRbjT5_S1A_jjP12ihipStream_tbEUljE_EEESV_SW_SX_S14_S18_S1A_T6_T7_T9_mT8_S1C_bDpT10_ENKUlT_T0_E_clISt17integral_constantIbLb0EES1P_EEDaS1K_S1L_EUlS1K_E_NS1_11comp_targetILNS1_3genE10ELNS1_11target_archE1200ELNS1_3gpuE4ELNS1_3repE0EEENS1_30default_config_static_selectorELNS0_4arch9wavefront6targetE0EEEvSY_: ; @_ZN7rocprim17ROCPRIM_400000_NS6detail17trampoline_kernelINS0_13select_configILj256ELj13ELNS0_17block_load_methodE3ELS4_3ELS4_3ELNS0_20block_scan_algorithmE0ELj4294967295EEENS1_25partition_config_selectorILNS1_17partition_subalgoE3EjNS0_10empty_typeEbEEZZNS1_14partition_implILS8_3ELb0ES6_jNS0_17counting_iteratorIjlEEPS9_SE_NS0_5tupleIJPjSE_EEENSF_IJSE_SE_EEES9_SG_JZNS1_25segmented_radix_sort_implINS0_14default_configELb0EPKdPdPKlPlN2at6native12_GLOBAL__N_18offset_tEEE10hipError_tPvRmT1_PNSt15iterator_traitsISY_E10value_typeET2_T3_PNSZ_IS14_E10value_typeET4_jRbjT5_S1A_jjP12ihipStream_tbEUljE_EEESV_SW_SX_S14_S18_S1A_T6_T7_T9_mT8_S1C_bDpT10_ENKUlT_T0_E_clISt17integral_constantIbLb0EES1P_EEDaS1K_S1L_EUlS1K_E_NS1_11comp_targetILNS1_3genE10ELNS1_11target_archE1200ELNS1_3gpuE4ELNS1_3repE0EEENS1_30default_config_static_selectorELNS0_4arch9wavefront6targetE0EEEvSY_
; %bb.0:
	.section	.rodata,"a",@progbits
	.p2align	6, 0x0
	.amdhsa_kernel _ZN7rocprim17ROCPRIM_400000_NS6detail17trampoline_kernelINS0_13select_configILj256ELj13ELNS0_17block_load_methodE3ELS4_3ELS4_3ELNS0_20block_scan_algorithmE0ELj4294967295EEENS1_25partition_config_selectorILNS1_17partition_subalgoE3EjNS0_10empty_typeEbEEZZNS1_14partition_implILS8_3ELb0ES6_jNS0_17counting_iteratorIjlEEPS9_SE_NS0_5tupleIJPjSE_EEENSF_IJSE_SE_EEES9_SG_JZNS1_25segmented_radix_sort_implINS0_14default_configELb0EPKdPdPKlPlN2at6native12_GLOBAL__N_18offset_tEEE10hipError_tPvRmT1_PNSt15iterator_traitsISY_E10value_typeET2_T3_PNSZ_IS14_E10value_typeET4_jRbjT5_S1A_jjP12ihipStream_tbEUljE_EEESV_SW_SX_S14_S18_S1A_T6_T7_T9_mT8_S1C_bDpT10_ENKUlT_T0_E_clISt17integral_constantIbLb0EES1P_EEDaS1K_S1L_EUlS1K_E_NS1_11comp_targetILNS1_3genE10ELNS1_11target_archE1200ELNS1_3gpuE4ELNS1_3repE0EEENS1_30default_config_static_selectorELNS0_4arch9wavefront6targetE0EEEvSY_
		.amdhsa_group_segment_fixed_size 0
		.amdhsa_private_segment_fixed_size 0
		.amdhsa_kernarg_size 144
		.amdhsa_user_sgpr_count 15
		.amdhsa_user_sgpr_dispatch_ptr 0
		.amdhsa_user_sgpr_queue_ptr 0
		.amdhsa_user_sgpr_kernarg_segment_ptr 1
		.amdhsa_user_sgpr_dispatch_id 0
		.amdhsa_user_sgpr_private_segment_size 0
		.amdhsa_wavefront_size32 1
		.amdhsa_uses_dynamic_stack 0
		.amdhsa_enable_private_segment 0
		.amdhsa_system_sgpr_workgroup_id_x 1
		.amdhsa_system_sgpr_workgroup_id_y 0
		.amdhsa_system_sgpr_workgroup_id_z 0
		.amdhsa_system_sgpr_workgroup_info 0
		.amdhsa_system_vgpr_workitem_id 0
		.amdhsa_next_free_vgpr 1
		.amdhsa_next_free_sgpr 1
		.amdhsa_reserve_vcc 0
		.amdhsa_float_round_mode_32 0
		.amdhsa_float_round_mode_16_64 0
		.amdhsa_float_denorm_mode_32 3
		.amdhsa_float_denorm_mode_16_64 3
		.amdhsa_dx10_clamp 1
		.amdhsa_ieee_mode 1
		.amdhsa_fp16_overflow 0
		.amdhsa_workgroup_processor_mode 1
		.amdhsa_memory_ordered 1
		.amdhsa_forward_progress 0
		.amdhsa_shared_vgpr_count 0
		.amdhsa_exception_fp_ieee_invalid_op 0
		.amdhsa_exception_fp_denorm_src 0
		.amdhsa_exception_fp_ieee_div_zero 0
		.amdhsa_exception_fp_ieee_overflow 0
		.amdhsa_exception_fp_ieee_underflow 0
		.amdhsa_exception_fp_ieee_inexact 0
		.amdhsa_exception_int_div_zero 0
	.end_amdhsa_kernel
	.section	.text._ZN7rocprim17ROCPRIM_400000_NS6detail17trampoline_kernelINS0_13select_configILj256ELj13ELNS0_17block_load_methodE3ELS4_3ELS4_3ELNS0_20block_scan_algorithmE0ELj4294967295EEENS1_25partition_config_selectorILNS1_17partition_subalgoE3EjNS0_10empty_typeEbEEZZNS1_14partition_implILS8_3ELb0ES6_jNS0_17counting_iteratorIjlEEPS9_SE_NS0_5tupleIJPjSE_EEENSF_IJSE_SE_EEES9_SG_JZNS1_25segmented_radix_sort_implINS0_14default_configELb0EPKdPdPKlPlN2at6native12_GLOBAL__N_18offset_tEEE10hipError_tPvRmT1_PNSt15iterator_traitsISY_E10value_typeET2_T3_PNSZ_IS14_E10value_typeET4_jRbjT5_S1A_jjP12ihipStream_tbEUljE_EEESV_SW_SX_S14_S18_S1A_T6_T7_T9_mT8_S1C_bDpT10_ENKUlT_T0_E_clISt17integral_constantIbLb0EES1P_EEDaS1K_S1L_EUlS1K_E_NS1_11comp_targetILNS1_3genE10ELNS1_11target_archE1200ELNS1_3gpuE4ELNS1_3repE0EEENS1_30default_config_static_selectorELNS0_4arch9wavefront6targetE0EEEvSY_,"axG",@progbits,_ZN7rocprim17ROCPRIM_400000_NS6detail17trampoline_kernelINS0_13select_configILj256ELj13ELNS0_17block_load_methodE3ELS4_3ELS4_3ELNS0_20block_scan_algorithmE0ELj4294967295EEENS1_25partition_config_selectorILNS1_17partition_subalgoE3EjNS0_10empty_typeEbEEZZNS1_14partition_implILS8_3ELb0ES6_jNS0_17counting_iteratorIjlEEPS9_SE_NS0_5tupleIJPjSE_EEENSF_IJSE_SE_EEES9_SG_JZNS1_25segmented_radix_sort_implINS0_14default_configELb0EPKdPdPKlPlN2at6native12_GLOBAL__N_18offset_tEEE10hipError_tPvRmT1_PNSt15iterator_traitsISY_E10value_typeET2_T3_PNSZ_IS14_E10value_typeET4_jRbjT5_S1A_jjP12ihipStream_tbEUljE_EEESV_SW_SX_S14_S18_S1A_T6_T7_T9_mT8_S1C_bDpT10_ENKUlT_T0_E_clISt17integral_constantIbLb0EES1P_EEDaS1K_S1L_EUlS1K_E_NS1_11comp_targetILNS1_3genE10ELNS1_11target_archE1200ELNS1_3gpuE4ELNS1_3repE0EEENS1_30default_config_static_selectorELNS0_4arch9wavefront6targetE0EEEvSY_,comdat
.Lfunc_end1194:
	.size	_ZN7rocprim17ROCPRIM_400000_NS6detail17trampoline_kernelINS0_13select_configILj256ELj13ELNS0_17block_load_methodE3ELS4_3ELS4_3ELNS0_20block_scan_algorithmE0ELj4294967295EEENS1_25partition_config_selectorILNS1_17partition_subalgoE3EjNS0_10empty_typeEbEEZZNS1_14partition_implILS8_3ELb0ES6_jNS0_17counting_iteratorIjlEEPS9_SE_NS0_5tupleIJPjSE_EEENSF_IJSE_SE_EEES9_SG_JZNS1_25segmented_radix_sort_implINS0_14default_configELb0EPKdPdPKlPlN2at6native12_GLOBAL__N_18offset_tEEE10hipError_tPvRmT1_PNSt15iterator_traitsISY_E10value_typeET2_T3_PNSZ_IS14_E10value_typeET4_jRbjT5_S1A_jjP12ihipStream_tbEUljE_EEESV_SW_SX_S14_S18_S1A_T6_T7_T9_mT8_S1C_bDpT10_ENKUlT_T0_E_clISt17integral_constantIbLb0EES1P_EEDaS1K_S1L_EUlS1K_E_NS1_11comp_targetILNS1_3genE10ELNS1_11target_archE1200ELNS1_3gpuE4ELNS1_3repE0EEENS1_30default_config_static_selectorELNS0_4arch9wavefront6targetE0EEEvSY_, .Lfunc_end1194-_ZN7rocprim17ROCPRIM_400000_NS6detail17trampoline_kernelINS0_13select_configILj256ELj13ELNS0_17block_load_methodE3ELS4_3ELS4_3ELNS0_20block_scan_algorithmE0ELj4294967295EEENS1_25partition_config_selectorILNS1_17partition_subalgoE3EjNS0_10empty_typeEbEEZZNS1_14partition_implILS8_3ELb0ES6_jNS0_17counting_iteratorIjlEEPS9_SE_NS0_5tupleIJPjSE_EEENSF_IJSE_SE_EEES9_SG_JZNS1_25segmented_radix_sort_implINS0_14default_configELb0EPKdPdPKlPlN2at6native12_GLOBAL__N_18offset_tEEE10hipError_tPvRmT1_PNSt15iterator_traitsISY_E10value_typeET2_T3_PNSZ_IS14_E10value_typeET4_jRbjT5_S1A_jjP12ihipStream_tbEUljE_EEESV_SW_SX_S14_S18_S1A_T6_T7_T9_mT8_S1C_bDpT10_ENKUlT_T0_E_clISt17integral_constantIbLb0EES1P_EEDaS1K_S1L_EUlS1K_E_NS1_11comp_targetILNS1_3genE10ELNS1_11target_archE1200ELNS1_3gpuE4ELNS1_3repE0EEENS1_30default_config_static_selectorELNS0_4arch9wavefront6targetE0EEEvSY_
                                        ; -- End function
	.section	.AMDGPU.csdata,"",@progbits
; Kernel info:
; codeLenInByte = 0
; NumSgprs: 0
; NumVgprs: 0
; ScratchSize: 0
; MemoryBound: 0
; FloatMode: 240
; IeeeMode: 1
; LDSByteSize: 0 bytes/workgroup (compile time only)
; SGPRBlocks: 0
; VGPRBlocks: 0
; NumSGPRsForWavesPerEU: 1
; NumVGPRsForWavesPerEU: 1
; Occupancy: 16
; WaveLimiterHint : 0
; COMPUTE_PGM_RSRC2:SCRATCH_EN: 0
; COMPUTE_PGM_RSRC2:USER_SGPR: 15
; COMPUTE_PGM_RSRC2:TRAP_HANDLER: 0
; COMPUTE_PGM_RSRC2:TGID_X_EN: 1
; COMPUTE_PGM_RSRC2:TGID_Y_EN: 0
; COMPUTE_PGM_RSRC2:TGID_Z_EN: 0
; COMPUTE_PGM_RSRC2:TIDIG_COMP_CNT: 0
	.section	.text._ZN7rocprim17ROCPRIM_400000_NS6detail17trampoline_kernelINS0_13select_configILj256ELj13ELNS0_17block_load_methodE3ELS4_3ELS4_3ELNS0_20block_scan_algorithmE0ELj4294967295EEENS1_25partition_config_selectorILNS1_17partition_subalgoE3EjNS0_10empty_typeEbEEZZNS1_14partition_implILS8_3ELb0ES6_jNS0_17counting_iteratorIjlEEPS9_SE_NS0_5tupleIJPjSE_EEENSF_IJSE_SE_EEES9_SG_JZNS1_25segmented_radix_sort_implINS0_14default_configELb0EPKdPdPKlPlN2at6native12_GLOBAL__N_18offset_tEEE10hipError_tPvRmT1_PNSt15iterator_traitsISY_E10value_typeET2_T3_PNSZ_IS14_E10value_typeET4_jRbjT5_S1A_jjP12ihipStream_tbEUljE_EEESV_SW_SX_S14_S18_S1A_T6_T7_T9_mT8_S1C_bDpT10_ENKUlT_T0_E_clISt17integral_constantIbLb0EES1P_EEDaS1K_S1L_EUlS1K_E_NS1_11comp_targetILNS1_3genE9ELNS1_11target_archE1100ELNS1_3gpuE3ELNS1_3repE0EEENS1_30default_config_static_selectorELNS0_4arch9wavefront6targetE0EEEvSY_,"axG",@progbits,_ZN7rocprim17ROCPRIM_400000_NS6detail17trampoline_kernelINS0_13select_configILj256ELj13ELNS0_17block_load_methodE3ELS4_3ELS4_3ELNS0_20block_scan_algorithmE0ELj4294967295EEENS1_25partition_config_selectorILNS1_17partition_subalgoE3EjNS0_10empty_typeEbEEZZNS1_14partition_implILS8_3ELb0ES6_jNS0_17counting_iteratorIjlEEPS9_SE_NS0_5tupleIJPjSE_EEENSF_IJSE_SE_EEES9_SG_JZNS1_25segmented_radix_sort_implINS0_14default_configELb0EPKdPdPKlPlN2at6native12_GLOBAL__N_18offset_tEEE10hipError_tPvRmT1_PNSt15iterator_traitsISY_E10value_typeET2_T3_PNSZ_IS14_E10value_typeET4_jRbjT5_S1A_jjP12ihipStream_tbEUljE_EEESV_SW_SX_S14_S18_S1A_T6_T7_T9_mT8_S1C_bDpT10_ENKUlT_T0_E_clISt17integral_constantIbLb0EES1P_EEDaS1K_S1L_EUlS1K_E_NS1_11comp_targetILNS1_3genE9ELNS1_11target_archE1100ELNS1_3gpuE3ELNS1_3repE0EEENS1_30default_config_static_selectorELNS0_4arch9wavefront6targetE0EEEvSY_,comdat
	.globl	_ZN7rocprim17ROCPRIM_400000_NS6detail17trampoline_kernelINS0_13select_configILj256ELj13ELNS0_17block_load_methodE3ELS4_3ELS4_3ELNS0_20block_scan_algorithmE0ELj4294967295EEENS1_25partition_config_selectorILNS1_17partition_subalgoE3EjNS0_10empty_typeEbEEZZNS1_14partition_implILS8_3ELb0ES6_jNS0_17counting_iteratorIjlEEPS9_SE_NS0_5tupleIJPjSE_EEENSF_IJSE_SE_EEES9_SG_JZNS1_25segmented_radix_sort_implINS0_14default_configELb0EPKdPdPKlPlN2at6native12_GLOBAL__N_18offset_tEEE10hipError_tPvRmT1_PNSt15iterator_traitsISY_E10value_typeET2_T3_PNSZ_IS14_E10value_typeET4_jRbjT5_S1A_jjP12ihipStream_tbEUljE_EEESV_SW_SX_S14_S18_S1A_T6_T7_T9_mT8_S1C_bDpT10_ENKUlT_T0_E_clISt17integral_constantIbLb0EES1P_EEDaS1K_S1L_EUlS1K_E_NS1_11comp_targetILNS1_3genE9ELNS1_11target_archE1100ELNS1_3gpuE3ELNS1_3repE0EEENS1_30default_config_static_selectorELNS0_4arch9wavefront6targetE0EEEvSY_ ; -- Begin function _ZN7rocprim17ROCPRIM_400000_NS6detail17trampoline_kernelINS0_13select_configILj256ELj13ELNS0_17block_load_methodE3ELS4_3ELS4_3ELNS0_20block_scan_algorithmE0ELj4294967295EEENS1_25partition_config_selectorILNS1_17partition_subalgoE3EjNS0_10empty_typeEbEEZZNS1_14partition_implILS8_3ELb0ES6_jNS0_17counting_iteratorIjlEEPS9_SE_NS0_5tupleIJPjSE_EEENSF_IJSE_SE_EEES9_SG_JZNS1_25segmented_radix_sort_implINS0_14default_configELb0EPKdPdPKlPlN2at6native12_GLOBAL__N_18offset_tEEE10hipError_tPvRmT1_PNSt15iterator_traitsISY_E10value_typeET2_T3_PNSZ_IS14_E10value_typeET4_jRbjT5_S1A_jjP12ihipStream_tbEUljE_EEESV_SW_SX_S14_S18_S1A_T6_T7_T9_mT8_S1C_bDpT10_ENKUlT_T0_E_clISt17integral_constantIbLb0EES1P_EEDaS1K_S1L_EUlS1K_E_NS1_11comp_targetILNS1_3genE9ELNS1_11target_archE1100ELNS1_3gpuE3ELNS1_3repE0EEENS1_30default_config_static_selectorELNS0_4arch9wavefront6targetE0EEEvSY_
	.p2align	8
	.type	_ZN7rocprim17ROCPRIM_400000_NS6detail17trampoline_kernelINS0_13select_configILj256ELj13ELNS0_17block_load_methodE3ELS4_3ELS4_3ELNS0_20block_scan_algorithmE0ELj4294967295EEENS1_25partition_config_selectorILNS1_17partition_subalgoE3EjNS0_10empty_typeEbEEZZNS1_14partition_implILS8_3ELb0ES6_jNS0_17counting_iteratorIjlEEPS9_SE_NS0_5tupleIJPjSE_EEENSF_IJSE_SE_EEES9_SG_JZNS1_25segmented_radix_sort_implINS0_14default_configELb0EPKdPdPKlPlN2at6native12_GLOBAL__N_18offset_tEEE10hipError_tPvRmT1_PNSt15iterator_traitsISY_E10value_typeET2_T3_PNSZ_IS14_E10value_typeET4_jRbjT5_S1A_jjP12ihipStream_tbEUljE_EEESV_SW_SX_S14_S18_S1A_T6_T7_T9_mT8_S1C_bDpT10_ENKUlT_T0_E_clISt17integral_constantIbLb0EES1P_EEDaS1K_S1L_EUlS1K_E_NS1_11comp_targetILNS1_3genE9ELNS1_11target_archE1100ELNS1_3gpuE3ELNS1_3repE0EEENS1_30default_config_static_selectorELNS0_4arch9wavefront6targetE0EEEvSY_,@function
_ZN7rocprim17ROCPRIM_400000_NS6detail17trampoline_kernelINS0_13select_configILj256ELj13ELNS0_17block_load_methodE3ELS4_3ELS4_3ELNS0_20block_scan_algorithmE0ELj4294967295EEENS1_25partition_config_selectorILNS1_17partition_subalgoE3EjNS0_10empty_typeEbEEZZNS1_14partition_implILS8_3ELb0ES6_jNS0_17counting_iteratorIjlEEPS9_SE_NS0_5tupleIJPjSE_EEENSF_IJSE_SE_EEES9_SG_JZNS1_25segmented_radix_sort_implINS0_14default_configELb0EPKdPdPKlPlN2at6native12_GLOBAL__N_18offset_tEEE10hipError_tPvRmT1_PNSt15iterator_traitsISY_E10value_typeET2_T3_PNSZ_IS14_E10value_typeET4_jRbjT5_S1A_jjP12ihipStream_tbEUljE_EEESV_SW_SX_S14_S18_S1A_T6_T7_T9_mT8_S1C_bDpT10_ENKUlT_T0_E_clISt17integral_constantIbLb0EES1P_EEDaS1K_S1L_EUlS1K_E_NS1_11comp_targetILNS1_3genE9ELNS1_11target_archE1100ELNS1_3gpuE3ELNS1_3repE0EEENS1_30default_config_static_selectorELNS0_4arch9wavefront6targetE0EEEvSY_: ; @_ZN7rocprim17ROCPRIM_400000_NS6detail17trampoline_kernelINS0_13select_configILj256ELj13ELNS0_17block_load_methodE3ELS4_3ELS4_3ELNS0_20block_scan_algorithmE0ELj4294967295EEENS1_25partition_config_selectorILNS1_17partition_subalgoE3EjNS0_10empty_typeEbEEZZNS1_14partition_implILS8_3ELb0ES6_jNS0_17counting_iteratorIjlEEPS9_SE_NS0_5tupleIJPjSE_EEENSF_IJSE_SE_EEES9_SG_JZNS1_25segmented_radix_sort_implINS0_14default_configELb0EPKdPdPKlPlN2at6native12_GLOBAL__N_18offset_tEEE10hipError_tPvRmT1_PNSt15iterator_traitsISY_E10value_typeET2_T3_PNSZ_IS14_E10value_typeET4_jRbjT5_S1A_jjP12ihipStream_tbEUljE_EEESV_SW_SX_S14_S18_S1A_T6_T7_T9_mT8_S1C_bDpT10_ENKUlT_T0_E_clISt17integral_constantIbLb0EES1P_EEDaS1K_S1L_EUlS1K_E_NS1_11comp_targetILNS1_3genE9ELNS1_11target_archE1100ELNS1_3gpuE3ELNS1_3repE0EEENS1_30default_config_static_selectorELNS0_4arch9wavefront6targetE0EEEvSY_
; %bb.0:
	s_clause 0x5
	s_load_b32 s2, s[0:1], 0x70
	s_load_b64 s[16:17], s[0:1], 0x10
	s_load_b64 s[12:13], s[0:1], 0x58
	s_load_b32 s18, s[0:1], 0x8
	s_load_b128 s[8:11], s[0:1], 0x48
	s_load_b128 s[4:7], s[0:1], 0x78
	s_mul_i32 s23, s15, 0xd00
	v_lshlrev_b32_e32 v30, 2, v0
	s_waitcnt lgkmcnt(0)
	s_mul_i32 s20, s2, 0xd00
	s_add_i32 s19, s2, -1
	s_add_u32 s2, s16, s20
	s_addc_u32 s3, s17, 0
	s_cmp_eq_u32 s15, s19
	v_cmp_lt_u64_e64 s3, s[2:3], s[12:13]
	s_cselect_b32 s14, -1, 0
	s_cmp_lg_u32 s15, s19
	s_cselect_b32 s21, -1, 0
	s_add_i32 s2, s18, s23
	s_delay_alu instid0(VALU_DEP_1)
	s_or_b32 s3, s21, s3
	s_add_i32 s18, s2, s16
	s_load_b32 s2, s[0:1], 0x88
	v_add_nc_u32_e32 v1, s18, v0
	s_load_b64 s[18:19], s[10:11], 0x0
	s_and_b32 vcc_lo, exec_lo, s3
	s_mov_b32 s10, -1
	s_delay_alu instid0(VALU_DEP_1)
	v_add_nc_u32_e32 v2, 0x100, v1
	v_add_nc_u32_e32 v3, 0x200, v1
	;; [unrolled: 1-line block ×12, first 2 shown]
	s_cbranch_vccz .LBB1195_2
; %bb.1:
	ds_store_2addr_stride64_b32 v30, v1, v2 offset1:4
	ds_store_2addr_stride64_b32 v30, v3, v4 offset0:8 offset1:12
	ds_store_2addr_stride64_b32 v30, v5, v6 offset0:16 offset1:20
	ds_store_2addr_stride64_b32 v30, v7, v8 offset0:24 offset1:28
	ds_store_2addr_stride64_b32 v30, v9, v10 offset0:32 offset1:36
	ds_store_2addr_stride64_b32 v30, v11, v12 offset0:40 offset1:44
	ds_store_b32 v30, v13 offset:12288
	s_waitcnt lgkmcnt(0)
	s_mov_b32 s10, 0
	s_barrier
.LBB1195_2:
	s_and_not1_b32 vcc_lo, exec_lo, s10
	s_add_i32 s20, s20, s16
	s_cbranch_vccnz .LBB1195_4
; %bb.3:
	ds_store_2addr_stride64_b32 v30, v1, v2 offset1:4
	ds_store_2addr_stride64_b32 v30, v3, v4 offset0:8 offset1:12
	ds_store_2addr_stride64_b32 v30, v5, v6 offset0:16 offset1:20
	ds_store_2addr_stride64_b32 v30, v7, v8 offset0:24 offset1:28
	ds_store_2addr_stride64_b32 v30, v9, v10 offset0:32 offset1:36
	ds_store_2addr_stride64_b32 v30, v11, v12 offset0:40 offset1:44
	ds_store_b32 v30, v13 offset:12288
	s_waitcnt lgkmcnt(0)
	s_barrier
.LBB1195_4:
	v_mul_u32_u24_e32 v33, 13, v0
	s_waitcnt lgkmcnt(0)
	buffer_gl0_inv
	v_cndmask_b32_e64 v31, 0, 1, s3
	s_sub_i32 s22, s12, s20
	s_and_not1_b32 vcc_lo, exec_lo, s3
	v_lshlrev_b32_e32 v1, 2, v33
	ds_load_2addr_b32 v[28:29], v1 offset1:1
	ds_load_2addr_b32 v[26:27], v1 offset0:2 offset1:3
	ds_load_2addr_b32 v[24:25], v1 offset0:4 offset1:5
	ds_load_2addr_b32 v[22:23], v1 offset0:6 offset1:7
	ds_load_2addr_b32 v[20:21], v1 offset0:8 offset1:9
	ds_load_2addr_b32 v[18:19], v1 offset0:10 offset1:11
	ds_load_b32 v32, v1 offset:48
	s_waitcnt lgkmcnt(0)
	s_barrier
	buffer_gl0_inv
	s_cbranch_vccnz .LBB1195_6
; %bb.5:
	v_add_nc_u32_e32 v1, s5, v28
	v_add_nc_u32_e32 v2, s7, v28
	;; [unrolled: 1-line block ×5, first 2 shown]
	v_mul_lo_u32 v1, v1, s4
	v_mul_lo_u32 v2, v2, s6
	;; [unrolled: 1-line block ×4, first 2 shown]
	v_add_nc_u32_e32 v6, s7, v26
	v_add_nc_u32_e32 v7, s5, v27
	;; [unrolled: 1-line block ×3, first 2 shown]
	v_mul_lo_u32 v5, v5, s4
	v_add_nc_u32_e32 v9, s5, v22
	v_sub_nc_u32_e32 v1, v1, v2
	v_mul_lo_u32 v2, v6, s6
	v_sub_nc_u32_e32 v3, v3, v4
	v_mul_lo_u32 v4, v7, s4
	v_mul_lo_u32 v6, v8, s6
	v_add_nc_u32_e32 v7, s5, v24
	v_cmp_lt_u32_e32 vcc_lo, s2, v1
	v_add_nc_u32_e32 v8, s5, v25
	v_add_nc_u32_e32 v10, s7, v22
	v_sub_nc_u32_e32 v2, v5, v2
	v_add_nc_u32_e32 v5, s7, v24
	v_cndmask_b32_e64 v1, 0, 1, vcc_lo
	v_sub_nc_u32_e32 v4, v4, v6
	v_mul_lo_u32 v6, v7, s4
	v_add_nc_u32_e32 v7, s7, v25
	v_cmp_lt_u32_e32 vcc_lo, s2, v3
	v_mul_lo_u32 v5, v5, s6
	v_mul_lo_u32 v8, v8, s4
	;; [unrolled: 1-line block ×4, first 2 shown]
	v_cndmask_b32_e64 v3, 0, 1, vcc_lo
	v_cmp_lt_u32_e32 vcc_lo, s2, v2
	v_mul_lo_u32 v10, v10, s6
	v_add_nc_u32_e32 v11, s5, v20
	v_sub_nc_u32_e32 v5, v6, v5
	v_add_nc_u32_e32 v12, s7, v20
	v_cndmask_b32_e64 v2, 0, 1, vcc_lo
	v_sub_nc_u32_e32 v6, v8, v7
	v_add_nc_u32_e32 v7, s5, v23
	v_add_nc_u32_e32 v8, s7, v23
	v_cmp_lt_u32_e32 vcc_lo, s2, v4
	v_sub_nc_u32_e32 v9, v9, v10
	v_mul_lo_u32 v10, v11, s4
	v_mul_lo_u32 v7, v7, s4
	;; [unrolled: 1-line block ×4, first 2 shown]
	v_cndmask_b32_e64 v4, 0, 1, vcc_lo
	v_cmp_lt_u32_e32 vcc_lo, s2, v5
	v_add_nc_u32_e32 v12, s5, v21
	v_add_nc_u32_e32 v13, s7, v18
	;; [unrolled: 1-line block ×4, first 2 shown]
	v_cndmask_b32_e64 v5, 0, 1, vcc_lo
	v_cmp_lt_u32_e32 vcc_lo, s2, v6
	v_sub_nc_u32_e32 v7, v7, v8
	v_sub_nc_u32_e32 v8, v10, v11
	v_add_nc_u32_e32 v11, s7, v21
	v_mul_lo_u32 v10, v12, s4
	v_cndmask_b32_e64 v6, 0, 1, vcc_lo
	v_cmp_lt_u32_e32 vcc_lo, s2, v9
	v_add_nc_u32_e32 v12, s5, v18
	v_mul_lo_u32 v11, v11, s6
	v_mul_lo_u32 v13, v13, s6
	;; [unrolled: 1-line block ×3, first 2 shown]
	v_cndmask_b32_e64 v9, 0, 1, vcc_lo
	v_cmp_lt_u32_e32 vcc_lo, s2, v7
	v_mul_lo_u32 v12, v12, s4
	v_mul_lo_u32 v15, v15, s6
	v_lshlrev_b16 v3, 8, v3
	v_sub_nc_u32_e32 v10, v10, v11
	v_cndmask_b32_e64 v7, 0, 1, vcc_lo
	v_cmp_lt_u32_e32 vcc_lo, s2, v8
	v_add_nc_u32_e32 v11, s5, v32
	v_or_b32_e32 v1, v1, v3
	v_sub_nc_u32_e32 v12, v12, v13
	v_sub_nc_u32_e32 v13, v14, v15
	v_cndmask_b32_e64 v8, 0, 1, vcc_lo
	v_cmp_lt_u32_e32 vcc_lo, s2, v10
	v_add_nc_u32_e32 v16, s7, v32
	v_mul_lo_u32 v11, v11, s4
	v_lshlrev_b16 v4, 8, v4
	v_lshlrev_b16 v6, 8, v6
	v_cndmask_b32_e64 v10, 0, 1, vcc_lo
	v_cmp_lt_u32_e32 vcc_lo, s2, v12
	v_mul_lo_u32 v14, v16, s6
	v_lshlrev_b16 v7, 8, v7
	v_or_b32_e32 v2, v2, v4
	v_lshlrev_b16 v10, 8, v10
	v_cndmask_b32_e64 v3, 0, 1, vcc_lo
	v_cmp_lt_u32_e32 vcc_lo, s2, v13
	v_or_b32_e32 v4, v5, v6
	v_or_b32_e32 v5, v9, v7
	v_sub_nc_u32_e32 v11, v11, v14
	v_or_b32_e32 v6, v8, v10
	v_cndmask_b32_e64 v12, 0, 1, vcc_lo
	v_and_b32_e32 v1, 0xffff, v1
	v_lshlrev_b32_e32 v2, 16, v2
	v_and_b32_e32 v4, 0xffff, v4
	v_lshlrev_b32_e32 v5, 16, v5
	v_lshlrev_b16 v12, 8, v12
	v_and_b32_e32 v6, 0xffff, v6
	v_cmp_lt_u32_e32 vcc_lo, s2, v11
	v_or_b32_e32 v39, v1, v2
	v_or_b32_e32 v37, v4, v5
	;; [unrolled: 1-line block ×3, first 2 shown]
	s_mov_b32 s3, 0
	v_cndmask_b32_e64 v34, 0, 1, vcc_lo
	s_delay_alu instid0(VALU_DEP_2) | instskip(NEXT) | instid1(VALU_DEP_1)
	v_lshlrev_b32_e32 v3, 16, v3
	v_or_b32_e32 v35, v6, v3
	s_branch .LBB1195_7
.LBB1195_6:
	s_mov_b32 s3, -1
                                        ; implicit-def: $vgpr34
                                        ; implicit-def: $vgpr35
                                        ; implicit-def: $vgpr37
                                        ; implicit-def: $vgpr39
.LBB1195_7:
	s_clause 0x1
	s_load_b64 s[10:11], s[0:1], 0x28
	s_load_b64 s[20:21], s[0:1], 0x68
	s_and_not1_b32 vcc_lo, exec_lo, s3
	s_addk_i32 s22, 0xd00
	s_cbranch_vccnz .LBB1195_35
; %bb.8:
	v_dual_mov_b32 v2, 0 :: v_dual_mov_b32 v1, 0
	s_mov_b32 s0, exec_lo
	v_cmpx_gt_u32_e64 s22, v33
; %bb.9:
	v_add_nc_u32_e32 v1, s5, v28
	v_add_nc_u32_e32 v3, s7, v28
	s_delay_alu instid0(VALU_DEP_2) | instskip(NEXT) | instid1(VALU_DEP_2)
	v_mul_lo_u32 v1, v1, s4
	v_mul_lo_u32 v3, v3, s6
	s_delay_alu instid0(VALU_DEP_1) | instskip(NEXT) | instid1(VALU_DEP_1)
	v_sub_nc_u32_e32 v1, v1, v3
	v_cmp_lt_u32_e32 vcc_lo, s2, v1
	v_cndmask_b32_e64 v1, 0, 1, vcc_lo
; %bb.10:
	s_or_b32 exec_lo, exec_lo, s0
	v_add_nc_u32_e32 v3, 1, v33
	s_mov_b32 s0, exec_lo
	s_delay_alu instid0(VALU_DEP_1)
	v_cmpx_gt_u32_e64 s22, v3
; %bb.11:
	v_add_nc_u32_e32 v2, s5, v29
	v_add_nc_u32_e32 v3, s7, v29
	s_delay_alu instid0(VALU_DEP_2) | instskip(NEXT) | instid1(VALU_DEP_2)
	v_mul_lo_u32 v2, v2, s4
	v_mul_lo_u32 v3, v3, s6
	s_delay_alu instid0(VALU_DEP_1) | instskip(NEXT) | instid1(VALU_DEP_1)
	v_sub_nc_u32_e32 v2, v2, v3
	v_cmp_lt_u32_e32 vcc_lo, s2, v2
	v_cndmask_b32_e64 v2, 0, 1, vcc_lo
; %bb.12:
	s_or_b32 exec_lo, exec_lo, s0
	v_dual_mov_b32 v4, 0 :: v_dual_add_nc_u32 v3, 2, v33
	s_delay_alu instid0(VALU_DEP_1)
	v_cmp_gt_u32_e32 vcc_lo, s22, v3
	v_mov_b32_e32 v3, 0
	s_and_saveexec_b32 s0, vcc_lo
; %bb.13:
	v_add_nc_u32_e32 v3, s5, v26
	v_add_nc_u32_e32 v5, s7, v26
	s_delay_alu instid0(VALU_DEP_2) | instskip(NEXT) | instid1(VALU_DEP_2)
	v_mul_lo_u32 v3, v3, s4
	v_mul_lo_u32 v5, v5, s6
	s_delay_alu instid0(VALU_DEP_1) | instskip(NEXT) | instid1(VALU_DEP_1)
	v_sub_nc_u32_e32 v3, v3, v5
	v_cmp_lt_u32_e32 vcc_lo, s2, v3
	v_cndmask_b32_e64 v3, 0, 1, vcc_lo
; %bb.14:
	s_or_b32 exec_lo, exec_lo, s0
	v_add_nc_u32_e32 v5, 3, v33
	s_mov_b32 s0, exec_lo
	s_delay_alu instid0(VALU_DEP_1)
	v_cmpx_gt_u32_e64 s22, v5
; %bb.15:
	v_add_nc_u32_e32 v4, s5, v27
	v_add_nc_u32_e32 v5, s7, v27
	s_delay_alu instid0(VALU_DEP_2) | instskip(NEXT) | instid1(VALU_DEP_2)
	v_mul_lo_u32 v4, v4, s4
	v_mul_lo_u32 v5, v5, s6
	s_delay_alu instid0(VALU_DEP_1) | instskip(NEXT) | instid1(VALU_DEP_1)
	v_sub_nc_u32_e32 v4, v4, v5
	v_cmp_lt_u32_e32 vcc_lo, s2, v4
	v_cndmask_b32_e64 v4, 0, 1, vcc_lo
; %bb.16:
	s_or_b32 exec_lo, exec_lo, s0
	v_dual_mov_b32 v6, 0 :: v_dual_add_nc_u32 v5, 4, v33
	s_delay_alu instid0(VALU_DEP_1)
	v_cmp_gt_u32_e32 vcc_lo, s22, v5
	v_mov_b32_e32 v5, 0
	s_and_saveexec_b32 s0, vcc_lo
	;; [unrolled: 33-line block ×5, first 2 shown]
; %bb.29:
	v_add_nc_u32_e32 v11, s5, v18
	v_add_nc_u32_e32 v13, s7, v18
	s_delay_alu instid0(VALU_DEP_2) | instskip(NEXT) | instid1(VALU_DEP_2)
	v_mul_lo_u32 v11, v11, s4
	v_mul_lo_u32 v13, v13, s6
	s_delay_alu instid0(VALU_DEP_1) | instskip(NEXT) | instid1(VALU_DEP_1)
	v_sub_nc_u32_e32 v11, v11, v13
	v_cmp_lt_u32_e32 vcc_lo, s2, v11
	v_cndmask_b32_e64 v11, 0, 1, vcc_lo
; %bb.30:
	s_or_b32 exec_lo, exec_lo, s0
	v_add_nc_u32_e32 v13, 11, v33
	s_mov_b32 s0, exec_lo
	s_delay_alu instid0(VALU_DEP_1)
	v_cmpx_gt_u32_e64 s22, v13
; %bb.31:
	v_add_nc_u32_e32 v12, s5, v19
	v_add_nc_u32_e32 v13, s7, v19
	s_delay_alu instid0(VALU_DEP_2) | instskip(NEXT) | instid1(VALU_DEP_2)
	v_mul_lo_u32 v12, v12, s4
	v_mul_lo_u32 v13, v13, s6
	s_delay_alu instid0(VALU_DEP_1) | instskip(NEXT) | instid1(VALU_DEP_1)
	v_sub_nc_u32_e32 v12, v12, v13
	v_cmp_lt_u32_e32 vcc_lo, s2, v12
	v_cndmask_b32_e64 v12, 0, 1, vcc_lo
; %bb.32:
	s_or_b32 exec_lo, exec_lo, s0
	v_dual_mov_b32 v34, 0 :: v_dual_add_nc_u32 v13, 12, v33
	s_mov_b32 s0, exec_lo
	s_delay_alu instid0(VALU_DEP_1)
	v_cmpx_gt_u32_e64 s22, v13
; %bb.33:
	v_add_nc_u32_e32 v13, s5, v32
	v_add_nc_u32_e32 v14, s7, v32
	s_delay_alu instid0(VALU_DEP_2) | instskip(NEXT) | instid1(VALU_DEP_2)
	v_mul_lo_u32 v13, v13, s4
	v_mul_lo_u32 v14, v14, s6
	s_delay_alu instid0(VALU_DEP_1) | instskip(NEXT) | instid1(VALU_DEP_1)
	v_sub_nc_u32_e32 v13, v13, v14
	v_cmp_lt_u32_e32 vcc_lo, s2, v13
	v_cndmask_b32_e64 v34, 0, 1, vcc_lo
; %bb.34:
	s_or_b32 exec_lo, exec_lo, s0
	v_lshlrev_b16 v2, 8, v2
	v_lshlrev_b16 v4, 8, v4
	;; [unrolled: 1-line block ×5, first 2 shown]
	v_or_b32_e32 v1, v1, v2
	v_lshlrev_b16 v2, 8, v12
	v_or_b32_e32 v3, v3, v4
	v_or_b32_e32 v4, v5, v6
	;; [unrolled: 1-line block ×5, first 2 shown]
	v_and_b32_e32 v1, 0xffff, v1
	v_lshlrev_b32_e32 v3, 16, v3
	v_and_b32_e32 v4, 0xffff, v4
	v_lshlrev_b32_e32 v5, 16, v5
	;; [unrolled: 2-line block ×3, first 2 shown]
	v_or_b32_e32 v39, v1, v3
	s_delay_alu instid0(VALU_DEP_4) | instskip(NEXT) | instid1(VALU_DEP_3)
	v_or_b32_e32 v37, v4, v5
	v_or_b32_e32 v35, v6, v2
.LBB1195_35:
	s_delay_alu instid0(VALU_DEP_3)
	v_and_b32_e32 v41, 0xff, v39
	v_bfe_u32 v42, v39, 8, 8
	v_bfe_u32 v43, v39, 16, 8
	v_lshrrev_b32_e32 v40, 24, v39
	v_and_b32_e32 v44, 0xff, v37
	v_bfe_u32 v45, v37, 8, 8
	v_bfe_u32 v46, v37, 16, 8
	v_add3_u32 v1, v42, v41, v43
	v_lshrrev_b32_e32 v38, 24, v37
	v_and_b32_e32 v47, 0xff, v35
	v_bfe_u32 v48, v35, 8, 8
	v_mbcnt_lo_u32_b32 v50, -1, 0
	v_add3_u32 v1, v1, v40, v44
	v_bfe_u32 v49, v35, 16, 8
	v_lshrrev_b32_e32 v36, 24, v35
	v_and_b32_e32 v2, 0xff, v34
	v_and_b32_e32 v3, 15, v50
	v_add3_u32 v1, v1, v45, v46
	v_or_b32_e32 v4, 31, v0
	v_and_b32_e32 v5, 16, v50
	v_lshrrev_b32_e32 v51, 5, v0
	v_cmp_eq_u32_e64 s5, 0, v3
	v_add3_u32 v1, v1, v38, v47
	v_cmp_lt_u32_e64 s4, 1, v3
	v_cmp_lt_u32_e64 s3, 3, v3
	;; [unrolled: 1-line block ×3, first 2 shown]
	v_cmp_eq_u32_e64 s1, 0, v5
	v_add3_u32 v1, v1, v48, v49
	v_cmp_eq_u32_e64 s0, v4, v0
	s_cmp_lg_u32 s15, 0
	s_mov_b32 s6, -1
	s_delay_alu instid0(VALU_DEP_2)
	v_add3_u32 v52, v1, v36, v2
	s_cbranch_scc0 .LBB1195_61
; %bb.36:
	s_delay_alu instid0(VALU_DEP_1) | instskip(NEXT) | instid1(VALU_DEP_1)
	v_mov_b32_dpp v1, v52 row_shr:1 row_mask:0xf bank_mask:0xf
	v_cndmask_b32_e64 v1, v1, 0, s5
	s_delay_alu instid0(VALU_DEP_1) | instskip(NEXT) | instid1(VALU_DEP_1)
	v_add_nc_u32_e32 v1, v1, v52
	v_mov_b32_dpp v2, v1 row_shr:2 row_mask:0xf bank_mask:0xf
	s_delay_alu instid0(VALU_DEP_1) | instskip(NEXT) | instid1(VALU_DEP_1)
	v_cndmask_b32_e64 v2, 0, v2, s4
	v_add_nc_u32_e32 v1, v1, v2
	s_delay_alu instid0(VALU_DEP_1) | instskip(NEXT) | instid1(VALU_DEP_1)
	v_mov_b32_dpp v2, v1 row_shr:4 row_mask:0xf bank_mask:0xf
	v_cndmask_b32_e64 v2, 0, v2, s3
	s_delay_alu instid0(VALU_DEP_1) | instskip(NEXT) | instid1(VALU_DEP_1)
	v_add_nc_u32_e32 v1, v1, v2
	v_mov_b32_dpp v2, v1 row_shr:8 row_mask:0xf bank_mask:0xf
	s_delay_alu instid0(VALU_DEP_1) | instskip(NEXT) | instid1(VALU_DEP_1)
	v_cndmask_b32_e64 v2, 0, v2, s2
	v_add_nc_u32_e32 v1, v1, v2
	ds_swizzle_b32 v2, v1 offset:swizzle(BROADCAST,32,15)
	s_waitcnt lgkmcnt(0)
	v_cndmask_b32_e64 v2, v2, 0, s1
	s_delay_alu instid0(VALU_DEP_1)
	v_add_nc_u32_e32 v1, v1, v2
	s_and_saveexec_b32 s6, s0
	s_cbranch_execz .LBB1195_38
; %bb.37:
	v_lshlrev_b32_e32 v2, 2, v51
	ds_store_b32 v2, v1
.LBB1195_38:
	s_or_b32 exec_lo, exec_lo, s6
	s_delay_alu instid0(SALU_CYCLE_1)
	s_mov_b32 s6, exec_lo
	s_waitcnt lgkmcnt(0)
	s_barrier
	buffer_gl0_inv
	v_cmpx_gt_u32_e32 8, v0
	s_cbranch_execz .LBB1195_40
; %bb.39:
	ds_load_b32 v2, v30
	s_waitcnt lgkmcnt(0)
	v_mov_b32_dpp v4, v2 row_shr:1 row_mask:0xf bank_mask:0xf
	v_and_b32_e32 v3, 7, v50
	s_delay_alu instid0(VALU_DEP_1) | instskip(NEXT) | instid1(VALU_DEP_3)
	v_cmp_ne_u32_e32 vcc_lo, 0, v3
	v_cndmask_b32_e32 v4, 0, v4, vcc_lo
	v_cmp_lt_u32_e32 vcc_lo, 1, v3
	s_delay_alu instid0(VALU_DEP_2) | instskip(NEXT) | instid1(VALU_DEP_1)
	v_add_nc_u32_e32 v2, v4, v2
	v_mov_b32_dpp v4, v2 row_shr:2 row_mask:0xf bank_mask:0xf
	s_delay_alu instid0(VALU_DEP_1) | instskip(SKIP_1) | instid1(VALU_DEP_2)
	v_cndmask_b32_e32 v4, 0, v4, vcc_lo
	v_cmp_lt_u32_e32 vcc_lo, 3, v3
	v_add_nc_u32_e32 v2, v2, v4
	s_delay_alu instid0(VALU_DEP_1) | instskip(NEXT) | instid1(VALU_DEP_1)
	v_mov_b32_dpp v4, v2 row_shr:4 row_mask:0xf bank_mask:0xf
	v_cndmask_b32_e32 v3, 0, v4, vcc_lo
	s_delay_alu instid0(VALU_DEP_1)
	v_add_nc_u32_e32 v2, v2, v3
	ds_store_b32 v30, v2
.LBB1195_40:
	s_or_b32 exec_lo, exec_lo, s6
	v_cmp_gt_u32_e32 vcc_lo, 32, v0
	s_mov_b32 s7, exec_lo
	s_waitcnt lgkmcnt(0)
	s_barrier
	buffer_gl0_inv
                                        ; implicit-def: $vgpr8
	v_cmpx_lt_u32_e32 31, v0
	s_cbranch_execz .LBB1195_42
; %bb.41:
	v_lshl_add_u32 v2, v51, 2, -4
	ds_load_b32 v8, v2
	s_waitcnt lgkmcnt(0)
	v_add_nc_u32_e32 v1, v8, v1
.LBB1195_42:
	s_or_b32 exec_lo, exec_lo, s7
	v_add_nc_u32_e32 v2, -1, v50
	s_delay_alu instid0(VALU_DEP_1) | instskip(NEXT) | instid1(VALU_DEP_1)
	v_cmp_gt_i32_e64 s6, 0, v2
	v_cndmask_b32_e64 v2, v2, v50, s6
	v_cmp_eq_u32_e64 s6, 0, v50
	s_delay_alu instid0(VALU_DEP_2)
	v_lshlrev_b32_e32 v2, 2, v2
	ds_bpermute_b32 v9, v2, v1
	s_and_saveexec_b32 s7, vcc_lo
	s_cbranch_execz .LBB1195_60
; %bb.43:
	v_mov_b32_e32 v4, 0
	ds_load_b32 v1, v4 offset:28
	s_and_saveexec_b32 s24, s6
	s_cbranch_execz .LBB1195_45
; %bb.44:
	s_add_i32 s26, s15, 32
	s_mov_b32 s27, 0
	v_mov_b32_e32 v2, 1
	s_lshl_b64 s[26:27], s[26:27], 3
	s_delay_alu instid0(SALU_CYCLE_1)
	s_add_u32 s26, s20, s26
	s_addc_u32 s27, s21, s27
	s_waitcnt lgkmcnt(0)
	global_store_b64 v4, v[1:2], s[26:27]
.LBB1195_45:
	s_or_b32 exec_lo, exec_lo, s24
	v_xad_u32 v2, v50, -1, s15
	s_mov_b32 s25, 0
	s_mov_b32 s24, exec_lo
	s_delay_alu instid0(VALU_DEP_1) | instskip(NEXT) | instid1(VALU_DEP_1)
	v_add_nc_u32_e32 v3, 32, v2
	v_lshlrev_b64 v[3:4], 3, v[3:4]
	s_delay_alu instid0(VALU_DEP_1) | instskip(NEXT) | instid1(VALU_DEP_2)
	v_add_co_u32 v6, vcc_lo, s20, v3
	v_add_co_ci_u32_e32 v7, vcc_lo, s21, v4, vcc_lo
	global_load_b64 v[4:5], v[6:7], off glc
	s_waitcnt vmcnt(0)
	v_and_b32_e32 v3, 0xff, v5
	s_delay_alu instid0(VALU_DEP_1)
	v_cmpx_eq_u16_e32 0, v3
	s_cbranch_execz .LBB1195_48
.LBB1195_46:                            ; =>This Inner Loop Header: Depth=1
	global_load_b64 v[4:5], v[6:7], off glc
	s_waitcnt vmcnt(0)
	v_and_b32_e32 v3, 0xff, v5
	s_delay_alu instid0(VALU_DEP_1) | instskip(SKIP_1) | instid1(SALU_CYCLE_1)
	v_cmp_ne_u16_e32 vcc_lo, 0, v3
	s_or_b32 s25, vcc_lo, s25
	s_and_not1_b32 exec_lo, exec_lo, s25
	s_cbranch_execnz .LBB1195_46
; %bb.47:
	s_or_b32 exec_lo, exec_lo, s25
.LBB1195_48:
	s_delay_alu instid0(SALU_CYCLE_1)
	s_or_b32 exec_lo, exec_lo, s24
	v_cmp_ne_u32_e32 vcc_lo, 31, v50
	v_lshlrev_b32_e64 v11, v50, -1
	v_add_nc_u32_e32 v13, 2, v50
	v_add_nc_u32_e32 v16, 4, v50
	;; [unrolled: 1-line block ×3, first 2 shown]
	v_add_co_ci_u32_e32 v3, vcc_lo, 0, v50, vcc_lo
	v_add_nc_u32_e32 v55, 16, v50
	s_delay_alu instid0(VALU_DEP_2) | instskip(SKIP_2) | instid1(VALU_DEP_1)
	v_lshlrev_b32_e32 v10, 2, v3
	ds_bpermute_b32 v6, v10, v4
	v_and_b32_e32 v3, 0xff, v5
	v_cmp_eq_u16_e32 vcc_lo, 2, v3
	v_and_or_b32 v3, vcc_lo, v11, 0x80000000
	v_cmp_gt_u32_e32 vcc_lo, 30, v50
	s_delay_alu instid0(VALU_DEP_2) | instskip(SKIP_1) | instid1(VALU_DEP_2)
	v_ctz_i32_b32_e32 v3, v3
	v_cndmask_b32_e64 v7, 0, 1, vcc_lo
	v_cmp_lt_u32_e32 vcc_lo, v50, v3
	s_waitcnt lgkmcnt(0)
	s_delay_alu instid0(VALU_DEP_2) | instskip(NEXT) | instid1(VALU_DEP_1)
	v_dual_cndmask_b32 v6, 0, v6 :: v_dual_lshlrev_b32 v7, 1, v7
	v_add_lshl_u32 v12, v7, v50, 2
	v_cmp_gt_u32_e32 vcc_lo, 28, v50
	s_delay_alu instid0(VALU_DEP_3) | instskip(SKIP_4) | instid1(VALU_DEP_1)
	v_add_nc_u32_e32 v4, v6, v4
	v_cndmask_b32_e64 v7, 0, 1, vcc_lo
	v_cmp_le_u32_e32 vcc_lo, v13, v3
	ds_bpermute_b32 v6, v12, v4
	v_lshlrev_b32_e32 v7, 2, v7
	v_add_lshl_u32 v14, v7, v50, 2
	s_waitcnt lgkmcnt(0)
	v_cndmask_b32_e32 v6, 0, v6, vcc_lo
	v_cmp_gt_u32_e32 vcc_lo, 24, v50
	s_delay_alu instid0(VALU_DEP_2) | instskip(SKIP_4) | instid1(VALU_DEP_1)
	v_add_nc_u32_e32 v4, v4, v6
	v_cndmask_b32_e64 v7, 0, 1, vcc_lo
	v_cmp_le_u32_e32 vcc_lo, v16, v3
	ds_bpermute_b32 v6, v14, v4
	v_lshlrev_b32_e32 v7, 3, v7
	v_add_lshl_u32 v17, v7, v50, 2
	s_waitcnt lgkmcnt(0)
	v_cndmask_b32_e32 v6, 0, v6, vcc_lo
	v_cmp_gt_u32_e32 vcc_lo, 16, v50
	s_delay_alu instid0(VALU_DEP_2) | instskip(SKIP_4) | instid1(VALU_DEP_1)
	v_add_nc_u32_e32 v4, v4, v6
	v_cndmask_b32_e64 v7, 0, 1, vcc_lo
	v_cmp_le_u32_e32 vcc_lo, v53, v3
	ds_bpermute_b32 v6, v17, v4
	v_lshlrev_b32_e32 v7, 4, v7
	v_add_lshl_u32 v54, v7, v50, 2
	s_waitcnt lgkmcnt(0)
	v_cndmask_b32_e32 v6, 0, v6, vcc_lo
	v_cmp_le_u32_e32 vcc_lo, v55, v3
	s_delay_alu instid0(VALU_DEP_2) | instskip(SKIP_3) | instid1(VALU_DEP_1)
	v_add_nc_u32_e32 v4, v4, v6
	ds_bpermute_b32 v6, v54, v4
	s_waitcnt lgkmcnt(0)
	v_cndmask_b32_e32 v3, 0, v6, vcc_lo
	v_dual_mov_b32 v3, 0 :: v_dual_add_nc_u32 v4, v4, v3
	s_branch .LBB1195_50
.LBB1195_49:                            ;   in Loop: Header=BB1195_50 Depth=1
	s_or_b32 exec_lo, exec_lo, s24
	ds_bpermute_b32 v7, v10, v4
	v_and_b32_e32 v6, 0xff, v5
	v_subrev_nc_u32_e32 v2, 32, v2
	s_delay_alu instid0(VALU_DEP_2) | instskip(SKIP_1) | instid1(VALU_DEP_1)
	v_cmp_eq_u16_e32 vcc_lo, 2, v6
	v_and_or_b32 v6, vcc_lo, v11, 0x80000000
	v_ctz_i32_b32_e32 v6, v6
	s_delay_alu instid0(VALU_DEP_1) | instskip(SKIP_3) | instid1(VALU_DEP_2)
	v_cmp_lt_u32_e32 vcc_lo, v50, v6
	s_waitcnt lgkmcnt(0)
	v_cndmask_b32_e32 v7, 0, v7, vcc_lo
	v_cmp_le_u32_e32 vcc_lo, v13, v6
	v_add_nc_u32_e32 v4, v7, v4
	ds_bpermute_b32 v7, v12, v4
	s_waitcnt lgkmcnt(0)
	v_cndmask_b32_e32 v7, 0, v7, vcc_lo
	v_cmp_le_u32_e32 vcc_lo, v16, v6
	s_delay_alu instid0(VALU_DEP_2) | instskip(SKIP_4) | instid1(VALU_DEP_2)
	v_add_nc_u32_e32 v4, v4, v7
	ds_bpermute_b32 v7, v14, v4
	s_waitcnt lgkmcnt(0)
	v_cndmask_b32_e32 v7, 0, v7, vcc_lo
	v_cmp_le_u32_e32 vcc_lo, v53, v6
	v_add_nc_u32_e32 v4, v4, v7
	ds_bpermute_b32 v7, v17, v4
	s_waitcnt lgkmcnt(0)
	v_cndmask_b32_e32 v7, 0, v7, vcc_lo
	v_cmp_le_u32_e32 vcc_lo, v55, v6
	s_delay_alu instid0(VALU_DEP_2) | instskip(SKIP_3) | instid1(VALU_DEP_1)
	v_add_nc_u32_e32 v4, v4, v7
	ds_bpermute_b32 v7, v54, v4
	s_waitcnt lgkmcnt(0)
	v_cndmask_b32_e32 v6, 0, v7, vcc_lo
	v_add3_u32 v4, v6, v15, v4
.LBB1195_50:                            ; =>This Loop Header: Depth=1
                                        ;     Child Loop BB1195_53 Depth 2
	v_and_b32_e32 v5, 0xff, v5
	s_delay_alu instid0(VALU_DEP_2) | instskip(NEXT) | instid1(VALU_DEP_2)
	v_mov_b32_e32 v15, v4
	v_cmp_ne_u16_e32 vcc_lo, 2, v5
	v_cndmask_b32_e64 v5, 0, 1, vcc_lo
	;;#ASMSTART
	;;#ASMEND
	s_delay_alu instid0(VALU_DEP_1)
	v_cmp_ne_u32_e32 vcc_lo, 0, v5
	s_cmp_lg_u32 vcc_lo, exec_lo
	s_cbranch_scc1 .LBB1195_55
; %bb.51:                               ;   in Loop: Header=BB1195_50 Depth=1
	v_lshlrev_b64 v[4:5], 3, v[2:3]
	s_mov_b32 s24, exec_lo
	s_delay_alu instid0(VALU_DEP_1) | instskip(NEXT) | instid1(VALU_DEP_2)
	v_add_co_u32 v6, vcc_lo, s20, v4
	v_add_co_ci_u32_e32 v7, vcc_lo, s21, v5, vcc_lo
	global_load_b64 v[4:5], v[6:7], off glc
	s_waitcnt vmcnt(0)
	v_and_b32_e32 v56, 0xff, v5
	s_delay_alu instid0(VALU_DEP_1)
	v_cmpx_eq_u16_e32 0, v56
	s_cbranch_execz .LBB1195_49
; %bb.52:                               ;   in Loop: Header=BB1195_50 Depth=1
	s_mov_b32 s25, 0
.LBB1195_53:                            ;   Parent Loop BB1195_50 Depth=1
                                        ; =>  This Inner Loop Header: Depth=2
	global_load_b64 v[4:5], v[6:7], off glc
	s_waitcnt vmcnt(0)
	v_and_b32_e32 v56, 0xff, v5
	s_delay_alu instid0(VALU_DEP_1) | instskip(SKIP_1) | instid1(SALU_CYCLE_1)
	v_cmp_ne_u16_e32 vcc_lo, 0, v56
	s_or_b32 s25, vcc_lo, s25
	s_and_not1_b32 exec_lo, exec_lo, s25
	s_cbranch_execnz .LBB1195_53
; %bb.54:                               ;   in Loop: Header=BB1195_50 Depth=1
	s_or_b32 exec_lo, exec_lo, s25
	s_branch .LBB1195_49
.LBB1195_55:                            ;   in Loop: Header=BB1195_50 Depth=1
                                        ; implicit-def: $vgpr4
                                        ; implicit-def: $vgpr5
	s_cbranch_execz .LBB1195_50
; %bb.56:
	s_and_saveexec_b32 s24, s6
	s_cbranch_execz .LBB1195_58
; %bb.57:
	s_add_i32 s26, s15, 32
	s_mov_b32 s27, 0
	v_dual_mov_b32 v3, 2 :: v_dual_add_nc_u32 v2, v15, v1
	s_lshl_b64 s[26:27], s[26:27], 3
	v_mov_b32_e32 v4, 0
	v_add_nc_u32_e64 v5, 0x3400, 0
	s_add_u32 s26, s20, s26
	s_addc_u32 s27, s21, s27
	global_store_b64 v4, v[2:3], s[26:27]
	ds_store_2addr_b32 v5, v1, v15 offset1:2
.LBB1195_58:
	s_or_b32 exec_lo, exec_lo, s24
	v_cmp_eq_u32_e32 vcc_lo, 0, v0
	s_and_b32 exec_lo, exec_lo, vcc_lo
	s_cbranch_execz .LBB1195_60
; %bb.59:
	v_mov_b32_e32 v1, 0
	ds_store_b32 v1, v15 offset:28
.LBB1195_60:
	s_or_b32 exec_lo, exec_lo, s7
	s_waitcnt lgkmcnt(0)
	v_cndmask_b32_e64 v2, v9, v8, s6
	v_cmp_ne_u32_e32 vcc_lo, 0, v0
	v_mov_b32_e32 v1, 0
	s_waitcnt_vscnt null, 0x0
	s_barrier
	buffer_gl0_inv
	v_cndmask_b32_e32 v2, 0, v2, vcc_lo
	ds_load_b32 v1, v1 offset:28
	v_add_nc_u32_e64 v11, 0x3400, 0
	s_waitcnt lgkmcnt(0)
	s_barrier
	buffer_gl0_inv
	ds_load_2addr_b32 v[16:17], v11 offset1:2
	v_add_nc_u32_e32 v1, v1, v2
	s_delay_alu instid0(VALU_DEP_1) | instskip(NEXT) | instid1(VALU_DEP_1)
	v_add_nc_u32_e32 v2, v1, v41
	v_add_nc_u32_e32 v3, v2, v42
	s_delay_alu instid0(VALU_DEP_1) | instskip(NEXT) | instid1(VALU_DEP_1)
	v_add_nc_u32_e32 v4, v3, v43
	;; [unrolled: 3-line block ×6, first 2 shown]
	v_add_nc_u32_e32 v13, v12, v36
	s_branch .LBB1195_71
.LBB1195_61:
                                        ; implicit-def: $vgpr17
                                        ; implicit-def: $vgpr1_vgpr2_vgpr3_vgpr4_vgpr5_vgpr6_vgpr7_vgpr8_vgpr9_vgpr10_vgpr11_vgpr12_vgpr13_vgpr14_vgpr15_vgpr16
	s_and_b32 vcc_lo, exec_lo, s6
	s_cbranch_vccz .LBB1195_71
; %bb.62:
	s_delay_alu instid0(VALU_DEP_1) | instskip(NEXT) | instid1(VALU_DEP_1)
	v_mov_b32_dpp v1, v52 row_shr:1 row_mask:0xf bank_mask:0xf
	v_cndmask_b32_e64 v1, v1, 0, s5
	s_delay_alu instid0(VALU_DEP_1) | instskip(NEXT) | instid1(VALU_DEP_1)
	v_add_nc_u32_e32 v1, v1, v52
	v_mov_b32_dpp v2, v1 row_shr:2 row_mask:0xf bank_mask:0xf
	s_delay_alu instid0(VALU_DEP_1) | instskip(NEXT) | instid1(VALU_DEP_1)
	v_cndmask_b32_e64 v2, 0, v2, s4
	v_add_nc_u32_e32 v1, v1, v2
	s_delay_alu instid0(VALU_DEP_1) | instskip(NEXT) | instid1(VALU_DEP_1)
	v_mov_b32_dpp v2, v1 row_shr:4 row_mask:0xf bank_mask:0xf
	v_cndmask_b32_e64 v2, 0, v2, s3
	s_delay_alu instid0(VALU_DEP_1) | instskip(NEXT) | instid1(VALU_DEP_1)
	v_add_nc_u32_e32 v1, v1, v2
	v_mov_b32_dpp v2, v1 row_shr:8 row_mask:0xf bank_mask:0xf
	s_delay_alu instid0(VALU_DEP_1) | instskip(NEXT) | instid1(VALU_DEP_1)
	v_cndmask_b32_e64 v2, 0, v2, s2
	v_add_nc_u32_e32 v1, v1, v2
	ds_swizzle_b32 v2, v1 offset:swizzle(BROADCAST,32,15)
	s_waitcnt lgkmcnt(0)
	v_cndmask_b32_e64 v2, v2, 0, s1
	s_delay_alu instid0(VALU_DEP_1)
	v_add_nc_u32_e32 v1, v1, v2
	s_and_saveexec_b32 s1, s0
	s_cbranch_execz .LBB1195_64
; %bb.63:
	v_lshlrev_b32_e32 v2, 2, v51
	ds_store_b32 v2, v1
.LBB1195_64:
	s_or_b32 exec_lo, exec_lo, s1
	s_delay_alu instid0(SALU_CYCLE_1)
	s_mov_b32 s0, exec_lo
	s_waitcnt lgkmcnt(0)
	s_barrier
	buffer_gl0_inv
	v_cmpx_gt_u32_e32 8, v0
	s_cbranch_execz .LBB1195_66
; %bb.65:
	ds_load_b32 v2, v30
	s_waitcnt lgkmcnt(0)
	v_mov_b32_dpp v4, v2 row_shr:1 row_mask:0xf bank_mask:0xf
	v_and_b32_e32 v3, 7, v50
	s_delay_alu instid0(VALU_DEP_1) | instskip(NEXT) | instid1(VALU_DEP_3)
	v_cmp_ne_u32_e32 vcc_lo, 0, v3
	v_cndmask_b32_e32 v4, 0, v4, vcc_lo
	v_cmp_lt_u32_e32 vcc_lo, 1, v3
	s_delay_alu instid0(VALU_DEP_2) | instskip(NEXT) | instid1(VALU_DEP_1)
	v_add_nc_u32_e32 v2, v4, v2
	v_mov_b32_dpp v4, v2 row_shr:2 row_mask:0xf bank_mask:0xf
	s_delay_alu instid0(VALU_DEP_1) | instskip(SKIP_1) | instid1(VALU_DEP_2)
	v_cndmask_b32_e32 v4, 0, v4, vcc_lo
	v_cmp_lt_u32_e32 vcc_lo, 3, v3
	v_add_nc_u32_e32 v2, v2, v4
	s_delay_alu instid0(VALU_DEP_1) | instskip(NEXT) | instid1(VALU_DEP_1)
	v_mov_b32_dpp v4, v2 row_shr:4 row_mask:0xf bank_mask:0xf
	v_cndmask_b32_e32 v3, 0, v4, vcc_lo
	s_delay_alu instid0(VALU_DEP_1)
	v_add_nc_u32_e32 v2, v2, v3
	ds_store_b32 v30, v2
.LBB1195_66:
	s_or_b32 exec_lo, exec_lo, s0
	v_dual_mov_b32 v3, 0 :: v_dual_mov_b32 v2, 0
	s_mov_b32 s0, exec_lo
	s_waitcnt lgkmcnt(0)
	s_barrier
	buffer_gl0_inv
	v_cmpx_lt_u32_e32 31, v0
	s_cbranch_execz .LBB1195_68
; %bb.67:
	v_lshl_add_u32 v2, v51, 2, -4
	ds_load_b32 v2, v2
.LBB1195_68:
	s_or_b32 exec_lo, exec_lo, s0
	v_add_nc_u32_e32 v4, -1, v50
	ds_load_b32 v16, v3 offset:28
	s_waitcnt lgkmcnt(1)
	v_add_nc_u32_e32 v1, v2, v1
	v_cmp_gt_i32_e32 vcc_lo, 0, v4
	v_cndmask_b32_e32 v4, v4, v50, vcc_lo
	v_cmp_eq_u32_e32 vcc_lo, 0, v0
	s_delay_alu instid0(VALU_DEP_2)
	v_lshlrev_b32_e32 v4, 2, v4
	ds_bpermute_b32 v1, v4, v1
	s_and_saveexec_b32 s0, vcc_lo
	s_cbranch_execz .LBB1195_70
; %bb.69:
	v_mov_b32_e32 v3, 0
	v_mov_b32_e32 v17, 2
	s_waitcnt lgkmcnt(1)
	global_store_b64 v3, v[16:17], s[20:21] offset:256
.LBB1195_70:
	s_or_b32 exec_lo, exec_lo, s0
	v_cmp_eq_u32_e64 s0, 0, v50
	s_waitcnt lgkmcnt(0)
	s_waitcnt_vscnt null, 0x0
	s_barrier
	buffer_gl0_inv
	v_mov_b32_e32 v17, 0
	v_cndmask_b32_e64 v1, v1, v2, s0
	s_delay_alu instid0(VALU_DEP_1) | instskip(NEXT) | instid1(VALU_DEP_1)
	v_cndmask_b32_e64 v1, v1, 0, vcc_lo
	v_add_nc_u32_e32 v2, v1, v41
	s_delay_alu instid0(VALU_DEP_1) | instskip(NEXT) | instid1(VALU_DEP_1)
	v_add_nc_u32_e32 v3, v2, v42
	v_add_nc_u32_e32 v4, v3, v43
	s_delay_alu instid0(VALU_DEP_1) | instskip(NEXT) | instid1(VALU_DEP_1)
	v_add_nc_u32_e32 v5, v4, v40
	;; [unrolled: 3-line block ×5, first 2 shown]
	v_add_nc_u32_e32 v12, v11, v49
	s_delay_alu instid0(VALU_DEP_1)
	v_add_nc_u32_e32 v13, v12, v36
.LBB1195_71:
	v_lshrrev_b32_e32 v44, 8, v39
	v_lshrrev_b32_e32 v43, 16, v39
	s_waitcnt lgkmcnt(0)
	v_sub_nc_u32_e32 v1, v1, v17
	v_and_b32_e32 v39, 1, v39
	v_sub_nc_u32_e32 v3, v3, v17
	v_add_nc_u32_e32 v33, v16, v33
	v_sub_nc_u32_e32 v2, v2, v17
	v_sub_nc_u32_e32 v4, v4, v17
	v_cmp_eq_u32_e32 vcc_lo, 1, v39
	v_and_b32_e32 v39, 1, v43
	v_sub_nc_u32_e32 v45, v33, v1
	v_and_b32_e32 v44, 1, v44
	v_sub_nc_u32_e32 v43, v33, v2
	v_lshrrev_b32_e32 v42, 8, v37
	v_lshrrev_b32_e32 v41, 16, v37
	v_cndmask_b32_e32 v1, v45, v1, vcc_lo
	v_sub_nc_u32_e32 v45, v33, v3
	v_add_nc_u32_e32 v43, 1, v43
	v_cmp_eq_u32_e32 vcc_lo, 1, v44
	v_and_b32_e32 v40, 1, v40
	v_lshlrev_b32_e32 v1, 2, v1
	v_add_nc_u32_e32 v45, 2, v45
	v_lshrrev_b32_e32 v15, 8, v35
	v_lshrrev_b32_e32 v14, 16, v35
	ds_store_b32 v1, v28
	v_cndmask_b32_e32 v1, v43, v2, vcc_lo
	v_cmp_eq_u32_e32 vcc_lo, 1, v39
	v_or_b32_e32 v28, 0x500, v0
	s_delay_alu instid0(VALU_DEP_3)
	v_dual_cndmask_b32 v2, v45, v3 :: v_dual_lshlrev_b32 v1, 2, v1
	v_sub_nc_u32_e32 v46, v33, v4
	v_cmp_eq_u32_e32 vcc_lo, 1, v40
	ds_store_b32 v1, v29
	v_lshlrev_b32_e32 v2, 2, v2
	v_add_nc_u32_e32 v46, 3, v46
	v_or_b32_e32 v29, 0x400, v0
	s_delay_alu instid0(VALU_DEP_2) | instskip(SKIP_2) | instid1(VALU_DEP_3)
	v_cndmask_b32_e32 v3, v46, v4, vcc_lo
	v_sub_nc_u32_e32 v4, v5, v17
	v_sub_nc_u32_e32 v5, v6, v17
	v_lshlrev_b32_e32 v3, 2, v3
	s_delay_alu instid0(VALU_DEP_3) | instskip(NEXT) | instid1(VALU_DEP_3)
	v_sub_nc_u32_e32 v1, v33, v4
	v_sub_nc_u32_e32 v6, v33, v5
	ds_store_b32 v2, v26
	ds_store_b32 v3, v27
	v_and_b32_e32 v2, 1, v37
	v_add_nc_u32_e32 v1, 4, v1
	v_add_nc_u32_e32 v3, 5, v6
	v_sub_nc_u32_e32 v6, v7, v17
	v_and_b32_e32 v7, 1, v42
	v_cmp_eq_u32_e32 vcc_lo, 1, v2
	v_sub_nc_u32_e32 v2, v8, v17
	v_and_b32_e32 v8, 1, v38
	v_or_b32_e32 v27, 0x600, v0
	v_or_b32_e32 v26, 0x700, v0
	v_cndmask_b32_e32 v1, v1, v4, vcc_lo
	v_sub_nc_u32_e32 v4, v33, v6
	v_cmp_eq_u32_e32 vcc_lo, 1, v7
	v_and_b32_e32 v7, 1, v41
	s_delay_alu instid0(VALU_DEP_4) | instskip(NEXT) | instid1(VALU_DEP_4)
	v_lshlrev_b32_e32 v1, 2, v1
	v_dual_cndmask_b32 v3, v3, v5 :: v_dual_add_nc_u32 v4, 6, v4
	v_sub_nc_u32_e32 v5, v33, v2
	s_delay_alu instid0(VALU_DEP_4) | instskip(SKIP_1) | instid1(VALU_DEP_4)
	v_cmp_eq_u32_e32 vcc_lo, 1, v7
	v_sub_nc_u32_e32 v7, v13, v17
	v_lshlrev_b32_e32 v3, 2, v3
	s_delay_alu instid0(VALU_DEP_4)
	v_dual_cndmask_b32 v4, v4, v6 :: v_dual_add_nc_u32 v5, 7, v5
	v_cmp_eq_u32_e32 vcc_lo, 1, v8
	v_sub_nc_u32_e32 v6, v9, v17
	ds_store_b32 v1, v24
	ds_store_b32 v3, v25
	v_or_b32_e32 v25, 0x800, v0
	v_dual_cndmask_b32 v2, v5, v2 :: v_dual_lshlrev_b32 v3, 2, v4
	v_and_b32_e32 v5, 1, v35
	v_sub_nc_u32_e32 v1, v33, v6
	v_sub_nc_u32_e32 v4, v10, v17
	v_and_b32_e32 v10, 1, v36
	v_or_b32_e32 v24, 0x900, v0
	v_cmp_eq_u32_e32 vcc_lo, 1, v5
	v_sub_nc_u32_e32 v5, v12, v17
	v_add_nc_u32_e32 v1, 8, v1
	s_delay_alu instid0(VALU_DEP_2) | instskip(NEXT) | instid1(VALU_DEP_2)
	v_sub_nc_u32_e32 v9, v33, v5
	v_dual_cndmask_b32 v1, v1, v6 :: v_dual_and_b32 v6, 1, v15
	v_add_co_u32 v15, s0, s18, v17
	s_delay_alu instid0(VALU_DEP_3)
	v_add_nc_u32_e32 v9, 11, v9
	v_lshlrev_b32_e32 v2, 2, v2
	ds_store_b32 v3, v22
	ds_store_b32 v2, v23
	v_sub_nc_u32_e32 v3, v11, v17
	v_sub_nc_u32_e32 v2, v33, v4
	v_cmp_eq_u32_e32 vcc_lo, 1, v6
	v_and_b32_e32 v11, 1, v34
	v_lshlrev_b32_e32 v1, 2, v1
	v_sub_nc_u32_e32 v8, v33, v3
	v_add_nc_u32_e32 v2, 9, v2
	v_add_co_ci_u32_e64 v17, null, s19, 0, s0
	s_add_u32 s0, s16, s23
	s_delay_alu instid0(VALU_DEP_3)
	v_add_nc_u32_e32 v6, 10, v8
	v_and_b32_e32 v8, 1, v14
	v_cndmask_b32_e32 v2, v2, v4, vcc_lo
	v_sub_nc_u32_e32 v4, v33, v7
	s_addc_u32 s1, s17, 0
	s_sub_u32 s0, s12, s0
	v_cmp_eq_u32_e32 vcc_lo, 1, v8
	v_lshlrev_b32_e32 v2, 2, v2
	v_add_nc_u32_e32 v4, 12, v4
	s_subb_u32 s1, s13, s1
	v_add_co_u32 v13, s0, s0, v16
	v_cndmask_b32_e32 v3, v6, v3, vcc_lo
	v_cmp_eq_u32_e32 vcc_lo, 1, v10
	v_add_co_ci_u32_e64 v14, null, s1, 0, s0
	v_or_b32_e32 v34, 0x100, v0
	s_delay_alu instid0(VALU_DEP_4)
	v_lshlrev_b32_e32 v3, 2, v3
	v_cndmask_b32_e32 v5, v9, v5, vcc_lo
	v_cmp_eq_u32_e32 vcc_lo, 1, v11
	v_or_b32_e32 v33, 0x200, v0
	v_or_b32_e32 v23, 0xa00, v0
	;; [unrolled: 1-line block ×3, first 2 shown]
	v_dual_cndmask_b32 v4, v4, v7 :: v_dual_lshlrev_b32 v5, 2, v5
	v_cmp_ne_u32_e32 vcc_lo, 1, v31
	s_delay_alu instid0(VALU_DEP_2)
	v_lshlrev_b32_e32 v4, 2, v4
	ds_store_b32 v1, v20
	ds_store_b32 v2, v21
	;; [unrolled: 1-line block ×5, first 2 shown]
	s_waitcnt lgkmcnt(0)
	s_barrier
	buffer_gl0_inv
	ds_load_2addr_stride64_b32 v[11:12], v30 offset1:4
	ds_load_2addr_stride64_b32 v[9:10], v30 offset0:8 offset1:12
	ds_load_2addr_stride64_b32 v[7:8], v30 offset0:16 offset1:20
	;; [unrolled: 1-line block ×5, first 2 shown]
	ds_load_b32 v18, v30 offset:12288
	v_add_co_u32 v20, s0, v13, v15
	v_or_b32_e32 v32, 0x300, v0
	v_or_b32_e32 v19, 0xc00, v0
	v_add_co_ci_u32_e64 v21, s0, v14, v17, s0
	s_mov_b32 s0, 0
	s_cbranch_vccnz .LBB1195_125
; %bb.72:
	s_mov_b32 s0, exec_lo
                                        ; implicit-def: $vgpr13_vgpr14
	v_cmpx_ge_u32_e64 v0, v16
	s_xor_b32 s0, exec_lo, s0
; %bb.73:
	v_not_b32_e32 v13, v0
	s_delay_alu instid0(VALU_DEP_1) | instskip(SKIP_1) | instid1(VALU_DEP_2)
	v_ashrrev_i32_e32 v14, 31, v13
	v_add_co_u32 v13, vcc_lo, v20, v13
	v_add_co_ci_u32_e32 v14, vcc_lo, v21, v14, vcc_lo
; %bb.74:
	s_and_not1_saveexec_b32 s0, s0
; %bb.75:
	v_add_co_u32 v13, vcc_lo, v15, v0
	v_add_co_ci_u32_e32 v14, vcc_lo, 0, v17, vcc_lo
; %bb.76:
	s_or_b32 exec_lo, exec_lo, s0
	s_delay_alu instid0(VALU_DEP_1) | instskip(SKIP_1) | instid1(VALU_DEP_1)
	v_lshlrev_b64 v[13:14], 2, v[13:14]
	s_mov_b32 s0, exec_lo
	v_add_co_u32 v13, vcc_lo, s10, v13
	s_delay_alu instid0(VALU_DEP_2)
	v_add_co_ci_u32_e32 v14, vcc_lo, s11, v14, vcc_lo
	s_waitcnt lgkmcnt(6)
	global_store_b32 v[13:14], v11, off
                                        ; implicit-def: $vgpr13_vgpr14
	v_cmpx_ge_u32_e64 v34, v16
	s_xor_b32 s0, exec_lo, s0
; %bb.77:
	v_xor_b32_e32 v13, 0xfffffeff, v0
	s_delay_alu instid0(VALU_DEP_1) | instskip(SKIP_1) | instid1(VALU_DEP_2)
	v_ashrrev_i32_e32 v14, 31, v13
	v_add_co_u32 v13, vcc_lo, v20, v13
	v_add_co_ci_u32_e32 v14, vcc_lo, v21, v14, vcc_lo
; %bb.78:
	s_and_not1_saveexec_b32 s0, s0
; %bb.79:
	v_add_co_u32 v13, vcc_lo, v15, v34
	v_add_co_ci_u32_e32 v14, vcc_lo, 0, v17, vcc_lo
; %bb.80:
	s_or_b32 exec_lo, exec_lo, s0
	s_delay_alu instid0(VALU_DEP_1) | instskip(SKIP_1) | instid1(VALU_DEP_1)
	v_lshlrev_b64 v[13:14], 2, v[13:14]
	s_mov_b32 s0, exec_lo
	v_add_co_u32 v13, vcc_lo, s10, v13
	s_delay_alu instid0(VALU_DEP_2)
	v_add_co_ci_u32_e32 v14, vcc_lo, s11, v14, vcc_lo
	global_store_b32 v[13:14], v12, off
                                        ; implicit-def: $vgpr13_vgpr14
	v_cmpx_ge_u32_e64 v33, v16
	s_xor_b32 s0, exec_lo, s0
; %bb.81:
	v_xor_b32_e32 v13, 0xfffffdff, v0
	s_delay_alu instid0(VALU_DEP_1) | instskip(SKIP_1) | instid1(VALU_DEP_2)
	v_ashrrev_i32_e32 v14, 31, v13
	v_add_co_u32 v13, vcc_lo, v20, v13
	v_add_co_ci_u32_e32 v14, vcc_lo, v21, v14, vcc_lo
; %bb.82:
	s_and_not1_saveexec_b32 s0, s0
; %bb.83:
	v_add_co_u32 v13, vcc_lo, v15, v33
	v_add_co_ci_u32_e32 v14, vcc_lo, 0, v17, vcc_lo
; %bb.84:
	s_or_b32 exec_lo, exec_lo, s0
	s_delay_alu instid0(VALU_DEP_1) | instskip(SKIP_1) | instid1(VALU_DEP_1)
	v_lshlrev_b64 v[13:14], 2, v[13:14]
	s_mov_b32 s0, exec_lo
	v_add_co_u32 v13, vcc_lo, s10, v13
	s_delay_alu instid0(VALU_DEP_2)
	v_add_co_ci_u32_e32 v14, vcc_lo, s11, v14, vcc_lo
	s_waitcnt lgkmcnt(5)
	global_store_b32 v[13:14], v9, off
                                        ; implicit-def: $vgpr13_vgpr14
	v_cmpx_ge_u32_e64 v32, v16
	s_xor_b32 s0, exec_lo, s0
; %bb.85:
	v_xor_b32_e32 v13, 0xfffffcff, v0
	s_delay_alu instid0(VALU_DEP_1) | instskip(SKIP_1) | instid1(VALU_DEP_2)
	v_ashrrev_i32_e32 v14, 31, v13
	v_add_co_u32 v13, vcc_lo, v20, v13
	v_add_co_ci_u32_e32 v14, vcc_lo, v21, v14, vcc_lo
; %bb.86:
	s_and_not1_saveexec_b32 s0, s0
; %bb.87:
	v_add_co_u32 v13, vcc_lo, v15, v32
	v_add_co_ci_u32_e32 v14, vcc_lo, 0, v17, vcc_lo
; %bb.88:
	s_or_b32 exec_lo, exec_lo, s0
	s_delay_alu instid0(VALU_DEP_1) | instskip(SKIP_1) | instid1(VALU_DEP_1)
	v_lshlrev_b64 v[13:14], 2, v[13:14]
	s_mov_b32 s0, exec_lo
	v_add_co_u32 v13, vcc_lo, s10, v13
	s_delay_alu instid0(VALU_DEP_2)
	v_add_co_ci_u32_e32 v14, vcc_lo, s11, v14, vcc_lo
	global_store_b32 v[13:14], v10, off
                                        ; implicit-def: $vgpr13_vgpr14
	v_cmpx_ge_u32_e64 v29, v16
	s_xor_b32 s0, exec_lo, s0
; %bb.89:
	v_xor_b32_e32 v13, 0xfffffbff, v0
	;; [unrolled: 47-line block ×6, first 2 shown]
	s_delay_alu instid0(VALU_DEP_1) | instskip(SKIP_1) | instid1(VALU_DEP_2)
	v_ashrrev_i32_e32 v14, 31, v13
	v_add_co_u32 v13, vcc_lo, v20, v13
	v_add_co_ci_u32_e32 v14, vcc_lo, v21, v14, vcc_lo
; %bb.122:
	s_and_not1_saveexec_b32 s0, s0
; %bb.123:
	v_add_co_u32 v13, vcc_lo, v15, v19
	v_add_co_ci_u32_e32 v14, vcc_lo, 0, v17, vcc_lo
; %bb.124:
	s_or_b32 exec_lo, exec_lo, s0
	s_mov_b32 s0, -1
	s_branch .LBB1195_205
.LBB1195_125:
                                        ; implicit-def: $vgpr13_vgpr14
	s_cbranch_execz .LBB1195_205
; %bb.126:
	s_mov_b32 s1, exec_lo
	v_cmpx_gt_u32_e64 s22, v0
	s_cbranch_execz .LBB1195_162
; %bb.127:
	s_mov_b32 s2, exec_lo
                                        ; implicit-def: $vgpr13_vgpr14
	v_cmpx_ge_u32_e64 v0, v16
	s_xor_b32 s2, exec_lo, s2
; %bb.128:
	v_not_b32_e32 v13, v0
	s_delay_alu instid0(VALU_DEP_1) | instskip(SKIP_1) | instid1(VALU_DEP_2)
	v_ashrrev_i32_e32 v14, 31, v13
	v_add_co_u32 v13, vcc_lo, v20, v13
	v_add_co_ci_u32_e32 v14, vcc_lo, v21, v14, vcc_lo
; %bb.129:
	s_and_not1_saveexec_b32 s2, s2
; %bb.130:
	v_add_co_u32 v13, vcc_lo, v15, v0
	v_add_co_ci_u32_e32 v14, vcc_lo, 0, v17, vcc_lo
; %bb.131:
	s_or_b32 exec_lo, exec_lo, s2
	s_delay_alu instid0(VALU_DEP_1) | instskip(NEXT) | instid1(VALU_DEP_1)
	v_lshlrev_b64 v[13:14], 2, v[13:14]
	v_add_co_u32 v13, vcc_lo, s10, v13
	s_delay_alu instid0(VALU_DEP_2) | instskip(SKIP_3) | instid1(SALU_CYCLE_1)
	v_add_co_ci_u32_e32 v14, vcc_lo, s11, v14, vcc_lo
	s_waitcnt lgkmcnt(6)
	global_store_b32 v[13:14], v11, off
	s_or_b32 exec_lo, exec_lo, s1
	s_mov_b32 s1, exec_lo
	v_cmpx_gt_u32_e64 s22, v34
	s_cbranch_execnz .LBB1195_163
.LBB1195_132:
	s_or_b32 exec_lo, exec_lo, s1
	s_delay_alu instid0(SALU_CYCLE_1)
	s_mov_b32 s1, exec_lo
	v_cmpx_gt_u32_e64 s22, v33
	s_cbranch_execz .LBB1195_168
.LBB1195_133:
	s_mov_b32 s2, exec_lo
                                        ; implicit-def: $vgpr11_vgpr12
	v_cmpx_ge_u32_e64 v33, v16
	s_xor_b32 s2, exec_lo, s2
	s_cbranch_execz .LBB1195_135
; %bb.134:
	s_waitcnt lgkmcnt(6)
	v_xor_b32_e32 v11, 0xfffffdff, v0
                                        ; implicit-def: $vgpr33
	s_delay_alu instid0(VALU_DEP_1) | instskip(SKIP_1) | instid1(VALU_DEP_2)
	v_ashrrev_i32_e32 v12, 31, v11
	v_add_co_u32 v11, vcc_lo, v20, v11
	v_add_co_ci_u32_e32 v12, vcc_lo, v21, v12, vcc_lo
.LBB1195_135:
	s_and_not1_saveexec_b32 s2, s2
	s_cbranch_execz .LBB1195_137
; %bb.136:
	s_waitcnt lgkmcnt(6)
	v_add_co_u32 v11, vcc_lo, v15, v33
	v_add_co_ci_u32_e32 v12, vcc_lo, 0, v17, vcc_lo
.LBB1195_137:
	s_or_b32 exec_lo, exec_lo, s2
	s_waitcnt lgkmcnt(6)
	s_delay_alu instid0(VALU_DEP_1) | instskip(NEXT) | instid1(VALU_DEP_1)
	v_lshlrev_b64 v[11:12], 2, v[11:12]
	v_add_co_u32 v11, vcc_lo, s10, v11
	s_delay_alu instid0(VALU_DEP_2) | instskip(SKIP_3) | instid1(SALU_CYCLE_1)
	v_add_co_ci_u32_e32 v12, vcc_lo, s11, v12, vcc_lo
	s_waitcnt lgkmcnt(5)
	global_store_b32 v[11:12], v9, off
	s_or_b32 exec_lo, exec_lo, s1
	s_mov_b32 s1, exec_lo
	v_cmpx_gt_u32_e64 s22, v32
	s_cbranch_execnz .LBB1195_169
.LBB1195_138:
	s_or_b32 exec_lo, exec_lo, s1
	s_delay_alu instid0(SALU_CYCLE_1)
	s_mov_b32 s1, exec_lo
	v_cmpx_gt_u32_e64 s22, v29
	s_cbranch_execz .LBB1195_174
.LBB1195_139:
	s_mov_b32 s2, exec_lo
                                        ; implicit-def: $vgpr9_vgpr10
	v_cmpx_ge_u32_e64 v29, v16
	s_xor_b32 s2, exec_lo, s2
	s_cbranch_execz .LBB1195_141
; %bb.140:
	s_waitcnt lgkmcnt(5)
	v_xor_b32_e32 v9, 0xfffffbff, v0
                                        ; implicit-def: $vgpr29
	s_delay_alu instid0(VALU_DEP_1) | instskip(SKIP_1) | instid1(VALU_DEP_2)
	v_ashrrev_i32_e32 v10, 31, v9
	v_add_co_u32 v9, vcc_lo, v20, v9
	v_add_co_ci_u32_e32 v10, vcc_lo, v21, v10, vcc_lo
.LBB1195_141:
	s_and_not1_saveexec_b32 s2, s2
	s_cbranch_execz .LBB1195_143
; %bb.142:
	s_waitcnt lgkmcnt(5)
	v_add_co_u32 v9, vcc_lo, v15, v29
	v_add_co_ci_u32_e32 v10, vcc_lo, 0, v17, vcc_lo
.LBB1195_143:
	s_or_b32 exec_lo, exec_lo, s2
	s_waitcnt lgkmcnt(5)
	s_delay_alu instid0(VALU_DEP_1) | instskip(NEXT) | instid1(VALU_DEP_1)
	v_lshlrev_b64 v[9:10], 2, v[9:10]
	v_add_co_u32 v9, vcc_lo, s10, v9
	s_delay_alu instid0(VALU_DEP_2) | instskip(SKIP_3) | instid1(SALU_CYCLE_1)
	v_add_co_ci_u32_e32 v10, vcc_lo, s11, v10, vcc_lo
	s_waitcnt lgkmcnt(4)
	global_store_b32 v[9:10], v7, off
	s_or_b32 exec_lo, exec_lo, s1
	s_mov_b32 s1, exec_lo
	v_cmpx_gt_u32_e64 s22, v28
	s_cbranch_execnz .LBB1195_175
.LBB1195_144:
	s_or_b32 exec_lo, exec_lo, s1
	s_delay_alu instid0(SALU_CYCLE_1)
	s_mov_b32 s1, exec_lo
	v_cmpx_gt_u32_e64 s22, v27
	s_cbranch_execz .LBB1195_180
.LBB1195_145:
	s_mov_b32 s2, exec_lo
                                        ; implicit-def: $vgpr7_vgpr8
	v_cmpx_ge_u32_e64 v27, v16
	s_xor_b32 s2, exec_lo, s2
	s_cbranch_execz .LBB1195_147
; %bb.146:
	s_waitcnt lgkmcnt(4)
	v_xor_b32_e32 v7, 0xfffff9ff, v0
                                        ; implicit-def: $vgpr27
	s_delay_alu instid0(VALU_DEP_1) | instskip(SKIP_1) | instid1(VALU_DEP_2)
	v_ashrrev_i32_e32 v8, 31, v7
	v_add_co_u32 v7, vcc_lo, v20, v7
	v_add_co_ci_u32_e32 v8, vcc_lo, v21, v8, vcc_lo
.LBB1195_147:
	s_and_not1_saveexec_b32 s2, s2
	s_cbranch_execz .LBB1195_149
; %bb.148:
	s_waitcnt lgkmcnt(4)
	v_add_co_u32 v7, vcc_lo, v15, v27
	v_add_co_ci_u32_e32 v8, vcc_lo, 0, v17, vcc_lo
.LBB1195_149:
	s_or_b32 exec_lo, exec_lo, s2
	s_waitcnt lgkmcnt(4)
	s_delay_alu instid0(VALU_DEP_1) | instskip(NEXT) | instid1(VALU_DEP_1)
	v_lshlrev_b64 v[7:8], 2, v[7:8]
	v_add_co_u32 v7, vcc_lo, s10, v7
	s_delay_alu instid0(VALU_DEP_2) | instskip(SKIP_3) | instid1(SALU_CYCLE_1)
	v_add_co_ci_u32_e32 v8, vcc_lo, s11, v8, vcc_lo
	s_waitcnt lgkmcnt(3)
	global_store_b32 v[7:8], v5, off
	s_or_b32 exec_lo, exec_lo, s1
	s_mov_b32 s1, exec_lo
	v_cmpx_gt_u32_e64 s22, v26
	s_cbranch_execnz .LBB1195_181
.LBB1195_150:
	s_or_b32 exec_lo, exec_lo, s1
	s_delay_alu instid0(SALU_CYCLE_1)
	s_mov_b32 s1, exec_lo
	v_cmpx_gt_u32_e64 s22, v25
	s_cbranch_execz .LBB1195_186
.LBB1195_151:
	s_mov_b32 s2, exec_lo
                                        ; implicit-def: $vgpr5_vgpr6
	v_cmpx_ge_u32_e64 v25, v16
	s_xor_b32 s2, exec_lo, s2
	s_cbranch_execz .LBB1195_153
; %bb.152:
	s_waitcnt lgkmcnt(3)
	v_xor_b32_e32 v5, 0xfffff7ff, v0
                                        ; implicit-def: $vgpr25
	s_delay_alu instid0(VALU_DEP_1) | instskip(SKIP_1) | instid1(VALU_DEP_2)
	v_ashrrev_i32_e32 v6, 31, v5
	v_add_co_u32 v5, vcc_lo, v20, v5
	v_add_co_ci_u32_e32 v6, vcc_lo, v21, v6, vcc_lo
.LBB1195_153:
	s_and_not1_saveexec_b32 s2, s2
	s_cbranch_execz .LBB1195_155
; %bb.154:
	s_waitcnt lgkmcnt(3)
	v_add_co_u32 v5, vcc_lo, v15, v25
	v_add_co_ci_u32_e32 v6, vcc_lo, 0, v17, vcc_lo
.LBB1195_155:
	s_or_b32 exec_lo, exec_lo, s2
	s_waitcnt lgkmcnt(3)
	s_delay_alu instid0(VALU_DEP_1) | instskip(NEXT) | instid1(VALU_DEP_1)
	v_lshlrev_b64 v[5:6], 2, v[5:6]
	v_add_co_u32 v5, vcc_lo, s10, v5
	s_delay_alu instid0(VALU_DEP_2) | instskip(SKIP_3) | instid1(SALU_CYCLE_1)
	v_add_co_ci_u32_e32 v6, vcc_lo, s11, v6, vcc_lo
	s_waitcnt lgkmcnt(2)
	global_store_b32 v[5:6], v3, off
	s_or_b32 exec_lo, exec_lo, s1
	s_mov_b32 s1, exec_lo
	v_cmpx_gt_u32_e64 s22, v24
	s_cbranch_execnz .LBB1195_187
.LBB1195_156:
	s_or_b32 exec_lo, exec_lo, s1
	s_delay_alu instid0(SALU_CYCLE_1)
	s_mov_b32 s1, exec_lo
	v_cmpx_gt_u32_e64 s22, v23
	s_cbranch_execz .LBB1195_192
.LBB1195_157:
	s_mov_b32 s2, exec_lo
                                        ; implicit-def: $vgpr3_vgpr4
	v_cmpx_ge_u32_e64 v23, v16
	s_xor_b32 s2, exec_lo, s2
	s_cbranch_execz .LBB1195_159
; %bb.158:
	s_waitcnt lgkmcnt(2)
	v_xor_b32_e32 v3, 0xfffff5ff, v0
                                        ; implicit-def: $vgpr23
	s_delay_alu instid0(VALU_DEP_1) | instskip(SKIP_1) | instid1(VALU_DEP_2)
	v_ashrrev_i32_e32 v4, 31, v3
	v_add_co_u32 v3, vcc_lo, v20, v3
	v_add_co_ci_u32_e32 v4, vcc_lo, v21, v4, vcc_lo
.LBB1195_159:
	s_and_not1_saveexec_b32 s2, s2
	s_cbranch_execz .LBB1195_161
; %bb.160:
	s_waitcnt lgkmcnt(2)
	v_add_co_u32 v3, vcc_lo, v15, v23
	v_add_co_ci_u32_e32 v4, vcc_lo, 0, v17, vcc_lo
.LBB1195_161:
	s_or_b32 exec_lo, exec_lo, s2
	s_waitcnt lgkmcnt(2)
	s_delay_alu instid0(VALU_DEP_1) | instskip(NEXT) | instid1(VALU_DEP_1)
	v_lshlrev_b64 v[3:4], 2, v[3:4]
	v_add_co_u32 v3, vcc_lo, s10, v3
	s_delay_alu instid0(VALU_DEP_2) | instskip(SKIP_3) | instid1(SALU_CYCLE_1)
	v_add_co_ci_u32_e32 v4, vcc_lo, s11, v4, vcc_lo
	s_waitcnt lgkmcnt(1)
	global_store_b32 v[3:4], v1, off
	s_or_b32 exec_lo, exec_lo, s1
	s_mov_b32 s1, exec_lo
	v_cmpx_gt_u32_e64 s22, v22
	s_cbranch_execz .LBB1195_198
	s_branch .LBB1195_193
.LBB1195_162:
	s_or_b32 exec_lo, exec_lo, s1
	s_delay_alu instid0(SALU_CYCLE_1)
	s_mov_b32 s1, exec_lo
	v_cmpx_gt_u32_e64 s22, v34
	s_cbranch_execz .LBB1195_132
.LBB1195_163:
	s_mov_b32 s2, exec_lo
                                        ; implicit-def: $vgpr13_vgpr14
	v_cmpx_ge_u32_e64 v34, v16
	s_xor_b32 s2, exec_lo, s2
	s_cbranch_execz .LBB1195_165
; %bb.164:
	s_waitcnt lgkmcnt(6)
	v_xor_b32_e32 v11, 0xfffffeff, v0
                                        ; implicit-def: $vgpr34
	s_delay_alu instid0(VALU_DEP_1) | instskip(SKIP_1) | instid1(VALU_DEP_2)
	v_ashrrev_i32_e32 v14, 31, v11
	v_add_co_u32 v13, vcc_lo, v20, v11
	v_add_co_ci_u32_e32 v14, vcc_lo, v21, v14, vcc_lo
.LBB1195_165:
	s_and_not1_saveexec_b32 s2, s2
; %bb.166:
	v_add_co_u32 v13, vcc_lo, v15, v34
	v_add_co_ci_u32_e32 v14, vcc_lo, 0, v17, vcc_lo
; %bb.167:
	s_or_b32 exec_lo, exec_lo, s2
	s_delay_alu instid0(VALU_DEP_1) | instskip(NEXT) | instid1(VALU_DEP_1)
	v_lshlrev_b64 v[13:14], 2, v[13:14]
	v_add_co_u32 v13, vcc_lo, s10, v13
	s_delay_alu instid0(VALU_DEP_2) | instskip(SKIP_3) | instid1(SALU_CYCLE_1)
	v_add_co_ci_u32_e32 v14, vcc_lo, s11, v14, vcc_lo
	s_waitcnt lgkmcnt(6)
	global_store_b32 v[13:14], v12, off
	s_or_b32 exec_lo, exec_lo, s1
	s_mov_b32 s1, exec_lo
	v_cmpx_gt_u32_e64 s22, v33
	s_cbranch_execnz .LBB1195_133
.LBB1195_168:
	s_or_b32 exec_lo, exec_lo, s1
	s_delay_alu instid0(SALU_CYCLE_1)
	s_mov_b32 s1, exec_lo
	v_cmpx_gt_u32_e64 s22, v32
	s_cbranch_execz .LBB1195_138
.LBB1195_169:
	s_mov_b32 s2, exec_lo
                                        ; implicit-def: $vgpr11_vgpr12
	v_cmpx_ge_u32_e64 v32, v16
	s_xor_b32 s2, exec_lo, s2
	s_cbranch_execz .LBB1195_171
; %bb.170:
	s_waitcnt lgkmcnt(5)
	v_xor_b32_e32 v9, 0xfffffcff, v0
                                        ; implicit-def: $vgpr32
	s_delay_alu instid0(VALU_DEP_1) | instskip(SKIP_1) | instid1(VALU_DEP_2)
	v_ashrrev_i32_e32 v12, 31, v9
	v_add_co_u32 v11, vcc_lo, v20, v9
	v_add_co_ci_u32_e32 v12, vcc_lo, v21, v12, vcc_lo
.LBB1195_171:
	s_and_not1_saveexec_b32 s2, s2
	s_cbranch_execz .LBB1195_173
; %bb.172:
	s_waitcnt lgkmcnt(6)
	v_add_co_u32 v11, vcc_lo, v15, v32
	v_add_co_ci_u32_e32 v12, vcc_lo, 0, v17, vcc_lo
.LBB1195_173:
	s_or_b32 exec_lo, exec_lo, s2
	s_waitcnt lgkmcnt(6)
	s_delay_alu instid0(VALU_DEP_1) | instskip(NEXT) | instid1(VALU_DEP_1)
	v_lshlrev_b64 v[11:12], 2, v[11:12]
	v_add_co_u32 v11, vcc_lo, s10, v11
	s_delay_alu instid0(VALU_DEP_2) | instskip(SKIP_3) | instid1(SALU_CYCLE_1)
	v_add_co_ci_u32_e32 v12, vcc_lo, s11, v12, vcc_lo
	s_waitcnt lgkmcnt(5)
	global_store_b32 v[11:12], v10, off
	s_or_b32 exec_lo, exec_lo, s1
	s_mov_b32 s1, exec_lo
	v_cmpx_gt_u32_e64 s22, v29
	s_cbranch_execnz .LBB1195_139
.LBB1195_174:
	s_or_b32 exec_lo, exec_lo, s1
	s_delay_alu instid0(SALU_CYCLE_1)
	s_mov_b32 s1, exec_lo
	v_cmpx_gt_u32_e64 s22, v28
	s_cbranch_execz .LBB1195_144
.LBB1195_175:
	s_mov_b32 s2, exec_lo
                                        ; implicit-def: $vgpr9_vgpr10
	v_cmpx_ge_u32_e64 v28, v16
	s_xor_b32 s2, exec_lo, s2
	s_cbranch_execz .LBB1195_177
; %bb.176:
	s_waitcnt lgkmcnt(4)
	v_xor_b32_e32 v7, 0xfffffaff, v0
                                        ; implicit-def: $vgpr28
	s_delay_alu instid0(VALU_DEP_1) | instskip(SKIP_1) | instid1(VALU_DEP_2)
	v_ashrrev_i32_e32 v10, 31, v7
	v_add_co_u32 v9, vcc_lo, v20, v7
	v_add_co_ci_u32_e32 v10, vcc_lo, v21, v10, vcc_lo
.LBB1195_177:
	s_and_not1_saveexec_b32 s2, s2
	s_cbranch_execz .LBB1195_179
; %bb.178:
	s_waitcnt lgkmcnt(5)
	v_add_co_u32 v9, vcc_lo, v15, v28
	v_add_co_ci_u32_e32 v10, vcc_lo, 0, v17, vcc_lo
.LBB1195_179:
	s_or_b32 exec_lo, exec_lo, s2
	s_waitcnt lgkmcnt(5)
	s_delay_alu instid0(VALU_DEP_1) | instskip(NEXT) | instid1(VALU_DEP_1)
	v_lshlrev_b64 v[9:10], 2, v[9:10]
	v_add_co_u32 v9, vcc_lo, s10, v9
	s_delay_alu instid0(VALU_DEP_2) | instskip(SKIP_3) | instid1(SALU_CYCLE_1)
	v_add_co_ci_u32_e32 v10, vcc_lo, s11, v10, vcc_lo
	s_waitcnt lgkmcnt(4)
	global_store_b32 v[9:10], v8, off
	s_or_b32 exec_lo, exec_lo, s1
	s_mov_b32 s1, exec_lo
	v_cmpx_gt_u32_e64 s22, v27
	s_cbranch_execnz .LBB1195_145
.LBB1195_180:
	s_or_b32 exec_lo, exec_lo, s1
	s_delay_alu instid0(SALU_CYCLE_1)
	s_mov_b32 s1, exec_lo
	v_cmpx_gt_u32_e64 s22, v26
	s_cbranch_execz .LBB1195_150
.LBB1195_181:
	s_mov_b32 s2, exec_lo
                                        ; implicit-def: $vgpr7_vgpr8
	v_cmpx_ge_u32_e64 v26, v16
	s_xor_b32 s2, exec_lo, s2
	s_cbranch_execz .LBB1195_183
; %bb.182:
	s_waitcnt lgkmcnt(3)
	v_xor_b32_e32 v5, 0xfffff8ff, v0
                                        ; implicit-def: $vgpr26
	s_delay_alu instid0(VALU_DEP_1) | instskip(SKIP_1) | instid1(VALU_DEP_2)
	v_ashrrev_i32_e32 v8, 31, v5
	v_add_co_u32 v7, vcc_lo, v20, v5
	v_add_co_ci_u32_e32 v8, vcc_lo, v21, v8, vcc_lo
.LBB1195_183:
	s_and_not1_saveexec_b32 s2, s2
	s_cbranch_execz .LBB1195_185
; %bb.184:
	s_waitcnt lgkmcnt(4)
	v_add_co_u32 v7, vcc_lo, v15, v26
	v_add_co_ci_u32_e32 v8, vcc_lo, 0, v17, vcc_lo
.LBB1195_185:
	s_or_b32 exec_lo, exec_lo, s2
	s_waitcnt lgkmcnt(4)
	s_delay_alu instid0(VALU_DEP_1) | instskip(NEXT) | instid1(VALU_DEP_1)
	v_lshlrev_b64 v[7:8], 2, v[7:8]
	v_add_co_u32 v7, vcc_lo, s10, v7
	s_delay_alu instid0(VALU_DEP_2) | instskip(SKIP_3) | instid1(SALU_CYCLE_1)
	v_add_co_ci_u32_e32 v8, vcc_lo, s11, v8, vcc_lo
	s_waitcnt lgkmcnt(3)
	global_store_b32 v[7:8], v6, off
	s_or_b32 exec_lo, exec_lo, s1
	s_mov_b32 s1, exec_lo
	v_cmpx_gt_u32_e64 s22, v25
	s_cbranch_execnz .LBB1195_151
.LBB1195_186:
	s_or_b32 exec_lo, exec_lo, s1
	s_delay_alu instid0(SALU_CYCLE_1)
	s_mov_b32 s1, exec_lo
	v_cmpx_gt_u32_e64 s22, v24
	s_cbranch_execz .LBB1195_156
.LBB1195_187:
	s_mov_b32 s2, exec_lo
                                        ; implicit-def: $vgpr5_vgpr6
	v_cmpx_ge_u32_e64 v24, v16
	s_xor_b32 s2, exec_lo, s2
	s_cbranch_execz .LBB1195_189
; %bb.188:
	s_waitcnt lgkmcnt(2)
	v_xor_b32_e32 v3, 0xfffff6ff, v0
                                        ; implicit-def: $vgpr24
	s_delay_alu instid0(VALU_DEP_1) | instskip(SKIP_1) | instid1(VALU_DEP_2)
	v_ashrrev_i32_e32 v6, 31, v3
	v_add_co_u32 v5, vcc_lo, v20, v3
	v_add_co_ci_u32_e32 v6, vcc_lo, v21, v6, vcc_lo
.LBB1195_189:
	s_and_not1_saveexec_b32 s2, s2
	s_cbranch_execz .LBB1195_191
; %bb.190:
	s_waitcnt lgkmcnt(3)
	v_add_co_u32 v5, vcc_lo, v15, v24
	v_add_co_ci_u32_e32 v6, vcc_lo, 0, v17, vcc_lo
.LBB1195_191:
	s_or_b32 exec_lo, exec_lo, s2
	s_waitcnt lgkmcnt(3)
	s_delay_alu instid0(VALU_DEP_1) | instskip(NEXT) | instid1(VALU_DEP_1)
	v_lshlrev_b64 v[5:6], 2, v[5:6]
	v_add_co_u32 v5, vcc_lo, s10, v5
	s_delay_alu instid0(VALU_DEP_2) | instskip(SKIP_3) | instid1(SALU_CYCLE_1)
	v_add_co_ci_u32_e32 v6, vcc_lo, s11, v6, vcc_lo
	s_waitcnt lgkmcnt(2)
	global_store_b32 v[5:6], v4, off
	s_or_b32 exec_lo, exec_lo, s1
	s_mov_b32 s1, exec_lo
	v_cmpx_gt_u32_e64 s22, v23
	s_cbranch_execnz .LBB1195_157
.LBB1195_192:
	s_or_b32 exec_lo, exec_lo, s1
	s_delay_alu instid0(SALU_CYCLE_1)
	s_mov_b32 s1, exec_lo
	v_cmpx_gt_u32_e64 s22, v22
	s_cbranch_execz .LBB1195_198
.LBB1195_193:
	s_mov_b32 s2, exec_lo
                                        ; implicit-def: $vgpr3_vgpr4
	v_cmpx_ge_u32_e64 v22, v16
	s_xor_b32 s2, exec_lo, s2
	s_cbranch_execz .LBB1195_195
; %bb.194:
	s_waitcnt lgkmcnt(1)
	v_xor_b32_e32 v1, 0xfffff4ff, v0
                                        ; implicit-def: $vgpr22
	s_delay_alu instid0(VALU_DEP_1) | instskip(SKIP_1) | instid1(VALU_DEP_2)
	v_ashrrev_i32_e32 v4, 31, v1
	v_add_co_u32 v3, vcc_lo, v20, v1
	v_add_co_ci_u32_e32 v4, vcc_lo, v21, v4, vcc_lo
.LBB1195_195:
	s_and_not1_saveexec_b32 s2, s2
	s_cbranch_execz .LBB1195_197
; %bb.196:
	s_waitcnt lgkmcnt(2)
	v_add_co_u32 v3, vcc_lo, v15, v22
	v_add_co_ci_u32_e32 v4, vcc_lo, 0, v17, vcc_lo
.LBB1195_197:
	s_or_b32 exec_lo, exec_lo, s2
	s_waitcnt lgkmcnt(2)
	s_delay_alu instid0(VALU_DEP_1) | instskip(NEXT) | instid1(VALU_DEP_1)
	v_lshlrev_b64 v[3:4], 2, v[3:4]
	v_add_co_u32 v3, vcc_lo, s10, v3
	s_delay_alu instid0(VALU_DEP_2)
	v_add_co_ci_u32_e32 v4, vcc_lo, s11, v4, vcc_lo
	s_waitcnt lgkmcnt(1)
	global_store_b32 v[3:4], v2, off
.LBB1195_198:
	s_or_b32 exec_lo, exec_lo, s1
	s_delay_alu instid0(SALU_CYCLE_1)
	s_mov_b32 s1, exec_lo
                                        ; implicit-def: $vgpr13_vgpr14
	v_cmpx_gt_u32_e64 s22, v19
	s_cbranch_execz .LBB1195_204
; %bb.199:
	s_mov_b32 s2, exec_lo
                                        ; implicit-def: $vgpr13_vgpr14
	v_cmpx_ge_u32_e64 v19, v16
	s_xor_b32 s2, exec_lo, s2
	s_cbranch_execz .LBB1195_201
; %bb.200:
	s_waitcnt lgkmcnt(1)
	v_xor_b32_e32 v1, 0xfffff3ff, v0
                                        ; implicit-def: $vgpr19
	s_delay_alu instid0(VALU_DEP_1) | instskip(SKIP_1) | instid1(VALU_DEP_2)
	v_ashrrev_i32_e32 v2, 31, v1
	v_add_co_u32 v13, vcc_lo, v20, v1
	v_add_co_ci_u32_e32 v14, vcc_lo, v21, v2, vcc_lo
.LBB1195_201:
	s_and_not1_saveexec_b32 s2, s2
; %bb.202:
	v_add_co_u32 v13, vcc_lo, v15, v19
	v_add_co_ci_u32_e32 v14, vcc_lo, 0, v17, vcc_lo
; %bb.203:
	s_or_b32 exec_lo, exec_lo, s2
	s_delay_alu instid0(SALU_CYCLE_1)
	s_or_b32 s0, s0, exec_lo
.LBB1195_204:
	s_or_b32 exec_lo, exec_lo, s1
.LBB1195_205:
	s_and_saveexec_b32 s1, s0
	s_cbranch_execz .LBB1195_207
; %bb.206:
	s_waitcnt lgkmcnt(1)
	v_lshlrev_b64 v[1:2], 2, v[13:14]
	s_delay_alu instid0(VALU_DEP_1) | instskip(NEXT) | instid1(VALU_DEP_2)
	v_add_co_u32 v1, vcc_lo, s10, v1
	v_add_co_ci_u32_e32 v2, vcc_lo, s11, v2, vcc_lo
	s_waitcnt lgkmcnt(0)
	global_store_b32 v[1:2], v18, off
.LBB1195_207:
	s_or_b32 exec_lo, exec_lo, s1
	v_cmp_eq_u32_e32 vcc_lo, 0, v0
	s_and_b32 s0, vcc_lo, s14
	s_delay_alu instid0(SALU_CYCLE_1)
	s_and_saveexec_b32 s1, s0
	s_cbranch_execz .LBB1195_209
; %bb.208:
	v_add_co_u32 v0, vcc_lo, v15, v16
	s_waitcnt lgkmcnt(1)
	v_mov_b32_e32 v2, 0
	v_add_co_ci_u32_e32 v1, vcc_lo, 0, v17, vcc_lo
	global_store_b64 v2, v[0:1], s[8:9]
.LBB1195_209:
	s_nop 0
	s_sendmsg sendmsg(MSG_DEALLOC_VGPRS)
	s_endpgm
	.section	.rodata,"a",@progbits
	.p2align	6, 0x0
	.amdhsa_kernel _ZN7rocprim17ROCPRIM_400000_NS6detail17trampoline_kernelINS0_13select_configILj256ELj13ELNS0_17block_load_methodE3ELS4_3ELS4_3ELNS0_20block_scan_algorithmE0ELj4294967295EEENS1_25partition_config_selectorILNS1_17partition_subalgoE3EjNS0_10empty_typeEbEEZZNS1_14partition_implILS8_3ELb0ES6_jNS0_17counting_iteratorIjlEEPS9_SE_NS0_5tupleIJPjSE_EEENSF_IJSE_SE_EEES9_SG_JZNS1_25segmented_radix_sort_implINS0_14default_configELb0EPKdPdPKlPlN2at6native12_GLOBAL__N_18offset_tEEE10hipError_tPvRmT1_PNSt15iterator_traitsISY_E10value_typeET2_T3_PNSZ_IS14_E10value_typeET4_jRbjT5_S1A_jjP12ihipStream_tbEUljE_EEESV_SW_SX_S14_S18_S1A_T6_T7_T9_mT8_S1C_bDpT10_ENKUlT_T0_E_clISt17integral_constantIbLb0EES1P_EEDaS1K_S1L_EUlS1K_E_NS1_11comp_targetILNS1_3genE9ELNS1_11target_archE1100ELNS1_3gpuE3ELNS1_3repE0EEENS1_30default_config_static_selectorELNS0_4arch9wavefront6targetE0EEEvSY_
		.amdhsa_group_segment_fixed_size 13324
		.amdhsa_private_segment_fixed_size 0
		.amdhsa_kernarg_size 144
		.amdhsa_user_sgpr_count 15
		.amdhsa_user_sgpr_dispatch_ptr 0
		.amdhsa_user_sgpr_queue_ptr 0
		.amdhsa_user_sgpr_kernarg_segment_ptr 1
		.amdhsa_user_sgpr_dispatch_id 0
		.amdhsa_user_sgpr_private_segment_size 0
		.amdhsa_wavefront_size32 1
		.amdhsa_uses_dynamic_stack 0
		.amdhsa_enable_private_segment 0
		.amdhsa_system_sgpr_workgroup_id_x 1
		.amdhsa_system_sgpr_workgroup_id_y 0
		.amdhsa_system_sgpr_workgroup_id_z 0
		.amdhsa_system_sgpr_workgroup_info 0
		.amdhsa_system_vgpr_workitem_id 0
		.amdhsa_next_free_vgpr 57
		.amdhsa_next_free_sgpr 28
		.amdhsa_reserve_vcc 1
		.amdhsa_float_round_mode_32 0
		.amdhsa_float_round_mode_16_64 0
		.amdhsa_float_denorm_mode_32 3
		.amdhsa_float_denorm_mode_16_64 3
		.amdhsa_dx10_clamp 1
		.amdhsa_ieee_mode 1
		.amdhsa_fp16_overflow 0
		.amdhsa_workgroup_processor_mode 1
		.amdhsa_memory_ordered 1
		.amdhsa_forward_progress 0
		.amdhsa_shared_vgpr_count 0
		.amdhsa_exception_fp_ieee_invalid_op 0
		.amdhsa_exception_fp_denorm_src 0
		.amdhsa_exception_fp_ieee_div_zero 0
		.amdhsa_exception_fp_ieee_overflow 0
		.amdhsa_exception_fp_ieee_underflow 0
		.amdhsa_exception_fp_ieee_inexact 0
		.amdhsa_exception_int_div_zero 0
	.end_amdhsa_kernel
	.section	.text._ZN7rocprim17ROCPRIM_400000_NS6detail17trampoline_kernelINS0_13select_configILj256ELj13ELNS0_17block_load_methodE3ELS4_3ELS4_3ELNS0_20block_scan_algorithmE0ELj4294967295EEENS1_25partition_config_selectorILNS1_17partition_subalgoE3EjNS0_10empty_typeEbEEZZNS1_14partition_implILS8_3ELb0ES6_jNS0_17counting_iteratorIjlEEPS9_SE_NS0_5tupleIJPjSE_EEENSF_IJSE_SE_EEES9_SG_JZNS1_25segmented_radix_sort_implINS0_14default_configELb0EPKdPdPKlPlN2at6native12_GLOBAL__N_18offset_tEEE10hipError_tPvRmT1_PNSt15iterator_traitsISY_E10value_typeET2_T3_PNSZ_IS14_E10value_typeET4_jRbjT5_S1A_jjP12ihipStream_tbEUljE_EEESV_SW_SX_S14_S18_S1A_T6_T7_T9_mT8_S1C_bDpT10_ENKUlT_T0_E_clISt17integral_constantIbLb0EES1P_EEDaS1K_S1L_EUlS1K_E_NS1_11comp_targetILNS1_3genE9ELNS1_11target_archE1100ELNS1_3gpuE3ELNS1_3repE0EEENS1_30default_config_static_selectorELNS0_4arch9wavefront6targetE0EEEvSY_,"axG",@progbits,_ZN7rocprim17ROCPRIM_400000_NS6detail17trampoline_kernelINS0_13select_configILj256ELj13ELNS0_17block_load_methodE3ELS4_3ELS4_3ELNS0_20block_scan_algorithmE0ELj4294967295EEENS1_25partition_config_selectorILNS1_17partition_subalgoE3EjNS0_10empty_typeEbEEZZNS1_14partition_implILS8_3ELb0ES6_jNS0_17counting_iteratorIjlEEPS9_SE_NS0_5tupleIJPjSE_EEENSF_IJSE_SE_EEES9_SG_JZNS1_25segmented_radix_sort_implINS0_14default_configELb0EPKdPdPKlPlN2at6native12_GLOBAL__N_18offset_tEEE10hipError_tPvRmT1_PNSt15iterator_traitsISY_E10value_typeET2_T3_PNSZ_IS14_E10value_typeET4_jRbjT5_S1A_jjP12ihipStream_tbEUljE_EEESV_SW_SX_S14_S18_S1A_T6_T7_T9_mT8_S1C_bDpT10_ENKUlT_T0_E_clISt17integral_constantIbLb0EES1P_EEDaS1K_S1L_EUlS1K_E_NS1_11comp_targetILNS1_3genE9ELNS1_11target_archE1100ELNS1_3gpuE3ELNS1_3repE0EEENS1_30default_config_static_selectorELNS0_4arch9wavefront6targetE0EEEvSY_,comdat
.Lfunc_end1195:
	.size	_ZN7rocprim17ROCPRIM_400000_NS6detail17trampoline_kernelINS0_13select_configILj256ELj13ELNS0_17block_load_methodE3ELS4_3ELS4_3ELNS0_20block_scan_algorithmE0ELj4294967295EEENS1_25partition_config_selectorILNS1_17partition_subalgoE3EjNS0_10empty_typeEbEEZZNS1_14partition_implILS8_3ELb0ES6_jNS0_17counting_iteratorIjlEEPS9_SE_NS0_5tupleIJPjSE_EEENSF_IJSE_SE_EEES9_SG_JZNS1_25segmented_radix_sort_implINS0_14default_configELb0EPKdPdPKlPlN2at6native12_GLOBAL__N_18offset_tEEE10hipError_tPvRmT1_PNSt15iterator_traitsISY_E10value_typeET2_T3_PNSZ_IS14_E10value_typeET4_jRbjT5_S1A_jjP12ihipStream_tbEUljE_EEESV_SW_SX_S14_S18_S1A_T6_T7_T9_mT8_S1C_bDpT10_ENKUlT_T0_E_clISt17integral_constantIbLb0EES1P_EEDaS1K_S1L_EUlS1K_E_NS1_11comp_targetILNS1_3genE9ELNS1_11target_archE1100ELNS1_3gpuE3ELNS1_3repE0EEENS1_30default_config_static_selectorELNS0_4arch9wavefront6targetE0EEEvSY_, .Lfunc_end1195-_ZN7rocprim17ROCPRIM_400000_NS6detail17trampoline_kernelINS0_13select_configILj256ELj13ELNS0_17block_load_methodE3ELS4_3ELS4_3ELNS0_20block_scan_algorithmE0ELj4294967295EEENS1_25partition_config_selectorILNS1_17partition_subalgoE3EjNS0_10empty_typeEbEEZZNS1_14partition_implILS8_3ELb0ES6_jNS0_17counting_iteratorIjlEEPS9_SE_NS0_5tupleIJPjSE_EEENSF_IJSE_SE_EEES9_SG_JZNS1_25segmented_radix_sort_implINS0_14default_configELb0EPKdPdPKlPlN2at6native12_GLOBAL__N_18offset_tEEE10hipError_tPvRmT1_PNSt15iterator_traitsISY_E10value_typeET2_T3_PNSZ_IS14_E10value_typeET4_jRbjT5_S1A_jjP12ihipStream_tbEUljE_EEESV_SW_SX_S14_S18_S1A_T6_T7_T9_mT8_S1C_bDpT10_ENKUlT_T0_E_clISt17integral_constantIbLb0EES1P_EEDaS1K_S1L_EUlS1K_E_NS1_11comp_targetILNS1_3genE9ELNS1_11target_archE1100ELNS1_3gpuE3ELNS1_3repE0EEENS1_30default_config_static_selectorELNS0_4arch9wavefront6targetE0EEEvSY_
                                        ; -- End function
	.section	.AMDGPU.csdata,"",@progbits
; Kernel info:
; codeLenInByte = 8864
; NumSgprs: 30
; NumVgprs: 57
; ScratchSize: 0
; MemoryBound: 0
; FloatMode: 240
; IeeeMode: 1
; LDSByteSize: 13324 bytes/workgroup (compile time only)
; SGPRBlocks: 3
; VGPRBlocks: 7
; NumSGPRsForWavesPerEU: 30
; NumVGPRsForWavesPerEU: 57
; Occupancy: 16
; WaveLimiterHint : 0
; COMPUTE_PGM_RSRC2:SCRATCH_EN: 0
; COMPUTE_PGM_RSRC2:USER_SGPR: 15
; COMPUTE_PGM_RSRC2:TRAP_HANDLER: 0
; COMPUTE_PGM_RSRC2:TGID_X_EN: 1
; COMPUTE_PGM_RSRC2:TGID_Y_EN: 0
; COMPUTE_PGM_RSRC2:TGID_Z_EN: 0
; COMPUTE_PGM_RSRC2:TIDIG_COMP_CNT: 0
	.section	.text._ZN7rocprim17ROCPRIM_400000_NS6detail17trampoline_kernelINS0_13select_configILj256ELj13ELNS0_17block_load_methodE3ELS4_3ELS4_3ELNS0_20block_scan_algorithmE0ELj4294967295EEENS1_25partition_config_selectorILNS1_17partition_subalgoE3EjNS0_10empty_typeEbEEZZNS1_14partition_implILS8_3ELb0ES6_jNS0_17counting_iteratorIjlEEPS9_SE_NS0_5tupleIJPjSE_EEENSF_IJSE_SE_EEES9_SG_JZNS1_25segmented_radix_sort_implINS0_14default_configELb0EPKdPdPKlPlN2at6native12_GLOBAL__N_18offset_tEEE10hipError_tPvRmT1_PNSt15iterator_traitsISY_E10value_typeET2_T3_PNSZ_IS14_E10value_typeET4_jRbjT5_S1A_jjP12ihipStream_tbEUljE_EEESV_SW_SX_S14_S18_S1A_T6_T7_T9_mT8_S1C_bDpT10_ENKUlT_T0_E_clISt17integral_constantIbLb0EES1P_EEDaS1K_S1L_EUlS1K_E_NS1_11comp_targetILNS1_3genE8ELNS1_11target_archE1030ELNS1_3gpuE2ELNS1_3repE0EEENS1_30default_config_static_selectorELNS0_4arch9wavefront6targetE0EEEvSY_,"axG",@progbits,_ZN7rocprim17ROCPRIM_400000_NS6detail17trampoline_kernelINS0_13select_configILj256ELj13ELNS0_17block_load_methodE3ELS4_3ELS4_3ELNS0_20block_scan_algorithmE0ELj4294967295EEENS1_25partition_config_selectorILNS1_17partition_subalgoE3EjNS0_10empty_typeEbEEZZNS1_14partition_implILS8_3ELb0ES6_jNS0_17counting_iteratorIjlEEPS9_SE_NS0_5tupleIJPjSE_EEENSF_IJSE_SE_EEES9_SG_JZNS1_25segmented_radix_sort_implINS0_14default_configELb0EPKdPdPKlPlN2at6native12_GLOBAL__N_18offset_tEEE10hipError_tPvRmT1_PNSt15iterator_traitsISY_E10value_typeET2_T3_PNSZ_IS14_E10value_typeET4_jRbjT5_S1A_jjP12ihipStream_tbEUljE_EEESV_SW_SX_S14_S18_S1A_T6_T7_T9_mT8_S1C_bDpT10_ENKUlT_T0_E_clISt17integral_constantIbLb0EES1P_EEDaS1K_S1L_EUlS1K_E_NS1_11comp_targetILNS1_3genE8ELNS1_11target_archE1030ELNS1_3gpuE2ELNS1_3repE0EEENS1_30default_config_static_selectorELNS0_4arch9wavefront6targetE0EEEvSY_,comdat
	.globl	_ZN7rocprim17ROCPRIM_400000_NS6detail17trampoline_kernelINS0_13select_configILj256ELj13ELNS0_17block_load_methodE3ELS4_3ELS4_3ELNS0_20block_scan_algorithmE0ELj4294967295EEENS1_25partition_config_selectorILNS1_17partition_subalgoE3EjNS0_10empty_typeEbEEZZNS1_14partition_implILS8_3ELb0ES6_jNS0_17counting_iteratorIjlEEPS9_SE_NS0_5tupleIJPjSE_EEENSF_IJSE_SE_EEES9_SG_JZNS1_25segmented_radix_sort_implINS0_14default_configELb0EPKdPdPKlPlN2at6native12_GLOBAL__N_18offset_tEEE10hipError_tPvRmT1_PNSt15iterator_traitsISY_E10value_typeET2_T3_PNSZ_IS14_E10value_typeET4_jRbjT5_S1A_jjP12ihipStream_tbEUljE_EEESV_SW_SX_S14_S18_S1A_T6_T7_T9_mT8_S1C_bDpT10_ENKUlT_T0_E_clISt17integral_constantIbLb0EES1P_EEDaS1K_S1L_EUlS1K_E_NS1_11comp_targetILNS1_3genE8ELNS1_11target_archE1030ELNS1_3gpuE2ELNS1_3repE0EEENS1_30default_config_static_selectorELNS0_4arch9wavefront6targetE0EEEvSY_ ; -- Begin function _ZN7rocprim17ROCPRIM_400000_NS6detail17trampoline_kernelINS0_13select_configILj256ELj13ELNS0_17block_load_methodE3ELS4_3ELS4_3ELNS0_20block_scan_algorithmE0ELj4294967295EEENS1_25partition_config_selectorILNS1_17partition_subalgoE3EjNS0_10empty_typeEbEEZZNS1_14partition_implILS8_3ELb0ES6_jNS0_17counting_iteratorIjlEEPS9_SE_NS0_5tupleIJPjSE_EEENSF_IJSE_SE_EEES9_SG_JZNS1_25segmented_radix_sort_implINS0_14default_configELb0EPKdPdPKlPlN2at6native12_GLOBAL__N_18offset_tEEE10hipError_tPvRmT1_PNSt15iterator_traitsISY_E10value_typeET2_T3_PNSZ_IS14_E10value_typeET4_jRbjT5_S1A_jjP12ihipStream_tbEUljE_EEESV_SW_SX_S14_S18_S1A_T6_T7_T9_mT8_S1C_bDpT10_ENKUlT_T0_E_clISt17integral_constantIbLb0EES1P_EEDaS1K_S1L_EUlS1K_E_NS1_11comp_targetILNS1_3genE8ELNS1_11target_archE1030ELNS1_3gpuE2ELNS1_3repE0EEENS1_30default_config_static_selectorELNS0_4arch9wavefront6targetE0EEEvSY_
	.p2align	8
	.type	_ZN7rocprim17ROCPRIM_400000_NS6detail17trampoline_kernelINS0_13select_configILj256ELj13ELNS0_17block_load_methodE3ELS4_3ELS4_3ELNS0_20block_scan_algorithmE0ELj4294967295EEENS1_25partition_config_selectorILNS1_17partition_subalgoE3EjNS0_10empty_typeEbEEZZNS1_14partition_implILS8_3ELb0ES6_jNS0_17counting_iteratorIjlEEPS9_SE_NS0_5tupleIJPjSE_EEENSF_IJSE_SE_EEES9_SG_JZNS1_25segmented_radix_sort_implINS0_14default_configELb0EPKdPdPKlPlN2at6native12_GLOBAL__N_18offset_tEEE10hipError_tPvRmT1_PNSt15iterator_traitsISY_E10value_typeET2_T3_PNSZ_IS14_E10value_typeET4_jRbjT5_S1A_jjP12ihipStream_tbEUljE_EEESV_SW_SX_S14_S18_S1A_T6_T7_T9_mT8_S1C_bDpT10_ENKUlT_T0_E_clISt17integral_constantIbLb0EES1P_EEDaS1K_S1L_EUlS1K_E_NS1_11comp_targetILNS1_3genE8ELNS1_11target_archE1030ELNS1_3gpuE2ELNS1_3repE0EEENS1_30default_config_static_selectorELNS0_4arch9wavefront6targetE0EEEvSY_,@function
_ZN7rocprim17ROCPRIM_400000_NS6detail17trampoline_kernelINS0_13select_configILj256ELj13ELNS0_17block_load_methodE3ELS4_3ELS4_3ELNS0_20block_scan_algorithmE0ELj4294967295EEENS1_25partition_config_selectorILNS1_17partition_subalgoE3EjNS0_10empty_typeEbEEZZNS1_14partition_implILS8_3ELb0ES6_jNS0_17counting_iteratorIjlEEPS9_SE_NS0_5tupleIJPjSE_EEENSF_IJSE_SE_EEES9_SG_JZNS1_25segmented_radix_sort_implINS0_14default_configELb0EPKdPdPKlPlN2at6native12_GLOBAL__N_18offset_tEEE10hipError_tPvRmT1_PNSt15iterator_traitsISY_E10value_typeET2_T3_PNSZ_IS14_E10value_typeET4_jRbjT5_S1A_jjP12ihipStream_tbEUljE_EEESV_SW_SX_S14_S18_S1A_T6_T7_T9_mT8_S1C_bDpT10_ENKUlT_T0_E_clISt17integral_constantIbLb0EES1P_EEDaS1K_S1L_EUlS1K_E_NS1_11comp_targetILNS1_3genE8ELNS1_11target_archE1030ELNS1_3gpuE2ELNS1_3repE0EEENS1_30default_config_static_selectorELNS0_4arch9wavefront6targetE0EEEvSY_: ; @_ZN7rocprim17ROCPRIM_400000_NS6detail17trampoline_kernelINS0_13select_configILj256ELj13ELNS0_17block_load_methodE3ELS4_3ELS4_3ELNS0_20block_scan_algorithmE0ELj4294967295EEENS1_25partition_config_selectorILNS1_17partition_subalgoE3EjNS0_10empty_typeEbEEZZNS1_14partition_implILS8_3ELb0ES6_jNS0_17counting_iteratorIjlEEPS9_SE_NS0_5tupleIJPjSE_EEENSF_IJSE_SE_EEES9_SG_JZNS1_25segmented_radix_sort_implINS0_14default_configELb0EPKdPdPKlPlN2at6native12_GLOBAL__N_18offset_tEEE10hipError_tPvRmT1_PNSt15iterator_traitsISY_E10value_typeET2_T3_PNSZ_IS14_E10value_typeET4_jRbjT5_S1A_jjP12ihipStream_tbEUljE_EEESV_SW_SX_S14_S18_S1A_T6_T7_T9_mT8_S1C_bDpT10_ENKUlT_T0_E_clISt17integral_constantIbLb0EES1P_EEDaS1K_S1L_EUlS1K_E_NS1_11comp_targetILNS1_3genE8ELNS1_11target_archE1030ELNS1_3gpuE2ELNS1_3repE0EEENS1_30default_config_static_selectorELNS0_4arch9wavefront6targetE0EEEvSY_
; %bb.0:
	.section	.rodata,"a",@progbits
	.p2align	6, 0x0
	.amdhsa_kernel _ZN7rocprim17ROCPRIM_400000_NS6detail17trampoline_kernelINS0_13select_configILj256ELj13ELNS0_17block_load_methodE3ELS4_3ELS4_3ELNS0_20block_scan_algorithmE0ELj4294967295EEENS1_25partition_config_selectorILNS1_17partition_subalgoE3EjNS0_10empty_typeEbEEZZNS1_14partition_implILS8_3ELb0ES6_jNS0_17counting_iteratorIjlEEPS9_SE_NS0_5tupleIJPjSE_EEENSF_IJSE_SE_EEES9_SG_JZNS1_25segmented_radix_sort_implINS0_14default_configELb0EPKdPdPKlPlN2at6native12_GLOBAL__N_18offset_tEEE10hipError_tPvRmT1_PNSt15iterator_traitsISY_E10value_typeET2_T3_PNSZ_IS14_E10value_typeET4_jRbjT5_S1A_jjP12ihipStream_tbEUljE_EEESV_SW_SX_S14_S18_S1A_T6_T7_T9_mT8_S1C_bDpT10_ENKUlT_T0_E_clISt17integral_constantIbLb0EES1P_EEDaS1K_S1L_EUlS1K_E_NS1_11comp_targetILNS1_3genE8ELNS1_11target_archE1030ELNS1_3gpuE2ELNS1_3repE0EEENS1_30default_config_static_selectorELNS0_4arch9wavefront6targetE0EEEvSY_
		.amdhsa_group_segment_fixed_size 0
		.amdhsa_private_segment_fixed_size 0
		.amdhsa_kernarg_size 144
		.amdhsa_user_sgpr_count 15
		.amdhsa_user_sgpr_dispatch_ptr 0
		.amdhsa_user_sgpr_queue_ptr 0
		.amdhsa_user_sgpr_kernarg_segment_ptr 1
		.amdhsa_user_sgpr_dispatch_id 0
		.amdhsa_user_sgpr_private_segment_size 0
		.amdhsa_wavefront_size32 1
		.amdhsa_uses_dynamic_stack 0
		.amdhsa_enable_private_segment 0
		.amdhsa_system_sgpr_workgroup_id_x 1
		.amdhsa_system_sgpr_workgroup_id_y 0
		.amdhsa_system_sgpr_workgroup_id_z 0
		.amdhsa_system_sgpr_workgroup_info 0
		.amdhsa_system_vgpr_workitem_id 0
		.amdhsa_next_free_vgpr 1
		.amdhsa_next_free_sgpr 1
		.amdhsa_reserve_vcc 0
		.amdhsa_float_round_mode_32 0
		.amdhsa_float_round_mode_16_64 0
		.amdhsa_float_denorm_mode_32 3
		.amdhsa_float_denorm_mode_16_64 3
		.amdhsa_dx10_clamp 1
		.amdhsa_ieee_mode 1
		.amdhsa_fp16_overflow 0
		.amdhsa_workgroup_processor_mode 1
		.amdhsa_memory_ordered 1
		.amdhsa_forward_progress 0
		.amdhsa_shared_vgpr_count 0
		.amdhsa_exception_fp_ieee_invalid_op 0
		.amdhsa_exception_fp_denorm_src 0
		.amdhsa_exception_fp_ieee_div_zero 0
		.amdhsa_exception_fp_ieee_overflow 0
		.amdhsa_exception_fp_ieee_underflow 0
		.amdhsa_exception_fp_ieee_inexact 0
		.amdhsa_exception_int_div_zero 0
	.end_amdhsa_kernel
	.section	.text._ZN7rocprim17ROCPRIM_400000_NS6detail17trampoline_kernelINS0_13select_configILj256ELj13ELNS0_17block_load_methodE3ELS4_3ELS4_3ELNS0_20block_scan_algorithmE0ELj4294967295EEENS1_25partition_config_selectorILNS1_17partition_subalgoE3EjNS0_10empty_typeEbEEZZNS1_14partition_implILS8_3ELb0ES6_jNS0_17counting_iteratorIjlEEPS9_SE_NS0_5tupleIJPjSE_EEENSF_IJSE_SE_EEES9_SG_JZNS1_25segmented_radix_sort_implINS0_14default_configELb0EPKdPdPKlPlN2at6native12_GLOBAL__N_18offset_tEEE10hipError_tPvRmT1_PNSt15iterator_traitsISY_E10value_typeET2_T3_PNSZ_IS14_E10value_typeET4_jRbjT5_S1A_jjP12ihipStream_tbEUljE_EEESV_SW_SX_S14_S18_S1A_T6_T7_T9_mT8_S1C_bDpT10_ENKUlT_T0_E_clISt17integral_constantIbLb0EES1P_EEDaS1K_S1L_EUlS1K_E_NS1_11comp_targetILNS1_3genE8ELNS1_11target_archE1030ELNS1_3gpuE2ELNS1_3repE0EEENS1_30default_config_static_selectorELNS0_4arch9wavefront6targetE0EEEvSY_,"axG",@progbits,_ZN7rocprim17ROCPRIM_400000_NS6detail17trampoline_kernelINS0_13select_configILj256ELj13ELNS0_17block_load_methodE3ELS4_3ELS4_3ELNS0_20block_scan_algorithmE0ELj4294967295EEENS1_25partition_config_selectorILNS1_17partition_subalgoE3EjNS0_10empty_typeEbEEZZNS1_14partition_implILS8_3ELb0ES6_jNS0_17counting_iteratorIjlEEPS9_SE_NS0_5tupleIJPjSE_EEENSF_IJSE_SE_EEES9_SG_JZNS1_25segmented_radix_sort_implINS0_14default_configELb0EPKdPdPKlPlN2at6native12_GLOBAL__N_18offset_tEEE10hipError_tPvRmT1_PNSt15iterator_traitsISY_E10value_typeET2_T3_PNSZ_IS14_E10value_typeET4_jRbjT5_S1A_jjP12ihipStream_tbEUljE_EEESV_SW_SX_S14_S18_S1A_T6_T7_T9_mT8_S1C_bDpT10_ENKUlT_T0_E_clISt17integral_constantIbLb0EES1P_EEDaS1K_S1L_EUlS1K_E_NS1_11comp_targetILNS1_3genE8ELNS1_11target_archE1030ELNS1_3gpuE2ELNS1_3repE0EEENS1_30default_config_static_selectorELNS0_4arch9wavefront6targetE0EEEvSY_,comdat
.Lfunc_end1196:
	.size	_ZN7rocprim17ROCPRIM_400000_NS6detail17trampoline_kernelINS0_13select_configILj256ELj13ELNS0_17block_load_methodE3ELS4_3ELS4_3ELNS0_20block_scan_algorithmE0ELj4294967295EEENS1_25partition_config_selectorILNS1_17partition_subalgoE3EjNS0_10empty_typeEbEEZZNS1_14partition_implILS8_3ELb0ES6_jNS0_17counting_iteratorIjlEEPS9_SE_NS0_5tupleIJPjSE_EEENSF_IJSE_SE_EEES9_SG_JZNS1_25segmented_radix_sort_implINS0_14default_configELb0EPKdPdPKlPlN2at6native12_GLOBAL__N_18offset_tEEE10hipError_tPvRmT1_PNSt15iterator_traitsISY_E10value_typeET2_T3_PNSZ_IS14_E10value_typeET4_jRbjT5_S1A_jjP12ihipStream_tbEUljE_EEESV_SW_SX_S14_S18_S1A_T6_T7_T9_mT8_S1C_bDpT10_ENKUlT_T0_E_clISt17integral_constantIbLb0EES1P_EEDaS1K_S1L_EUlS1K_E_NS1_11comp_targetILNS1_3genE8ELNS1_11target_archE1030ELNS1_3gpuE2ELNS1_3repE0EEENS1_30default_config_static_selectorELNS0_4arch9wavefront6targetE0EEEvSY_, .Lfunc_end1196-_ZN7rocprim17ROCPRIM_400000_NS6detail17trampoline_kernelINS0_13select_configILj256ELj13ELNS0_17block_load_methodE3ELS4_3ELS4_3ELNS0_20block_scan_algorithmE0ELj4294967295EEENS1_25partition_config_selectorILNS1_17partition_subalgoE3EjNS0_10empty_typeEbEEZZNS1_14partition_implILS8_3ELb0ES6_jNS0_17counting_iteratorIjlEEPS9_SE_NS0_5tupleIJPjSE_EEENSF_IJSE_SE_EEES9_SG_JZNS1_25segmented_radix_sort_implINS0_14default_configELb0EPKdPdPKlPlN2at6native12_GLOBAL__N_18offset_tEEE10hipError_tPvRmT1_PNSt15iterator_traitsISY_E10value_typeET2_T3_PNSZ_IS14_E10value_typeET4_jRbjT5_S1A_jjP12ihipStream_tbEUljE_EEESV_SW_SX_S14_S18_S1A_T6_T7_T9_mT8_S1C_bDpT10_ENKUlT_T0_E_clISt17integral_constantIbLb0EES1P_EEDaS1K_S1L_EUlS1K_E_NS1_11comp_targetILNS1_3genE8ELNS1_11target_archE1030ELNS1_3gpuE2ELNS1_3repE0EEENS1_30default_config_static_selectorELNS0_4arch9wavefront6targetE0EEEvSY_
                                        ; -- End function
	.section	.AMDGPU.csdata,"",@progbits
; Kernel info:
; codeLenInByte = 0
; NumSgprs: 0
; NumVgprs: 0
; ScratchSize: 0
; MemoryBound: 0
; FloatMode: 240
; IeeeMode: 1
; LDSByteSize: 0 bytes/workgroup (compile time only)
; SGPRBlocks: 0
; VGPRBlocks: 0
; NumSGPRsForWavesPerEU: 1
; NumVGPRsForWavesPerEU: 1
; Occupancy: 16
; WaveLimiterHint : 0
; COMPUTE_PGM_RSRC2:SCRATCH_EN: 0
; COMPUTE_PGM_RSRC2:USER_SGPR: 15
; COMPUTE_PGM_RSRC2:TRAP_HANDLER: 0
; COMPUTE_PGM_RSRC2:TGID_X_EN: 1
; COMPUTE_PGM_RSRC2:TGID_Y_EN: 0
; COMPUTE_PGM_RSRC2:TGID_Z_EN: 0
; COMPUTE_PGM_RSRC2:TIDIG_COMP_CNT: 0
	.section	.text._ZN7rocprim17ROCPRIM_400000_NS6detail17trampoline_kernelINS0_13select_configILj256ELj13ELNS0_17block_load_methodE3ELS4_3ELS4_3ELNS0_20block_scan_algorithmE0ELj4294967295EEENS1_25partition_config_selectorILNS1_17partition_subalgoE3EjNS0_10empty_typeEbEEZZNS1_14partition_implILS8_3ELb0ES6_jNS0_17counting_iteratorIjlEEPS9_SE_NS0_5tupleIJPjSE_EEENSF_IJSE_SE_EEES9_SG_JZNS1_25segmented_radix_sort_implINS0_14default_configELb0EPKdPdPKlPlN2at6native12_GLOBAL__N_18offset_tEEE10hipError_tPvRmT1_PNSt15iterator_traitsISY_E10value_typeET2_T3_PNSZ_IS14_E10value_typeET4_jRbjT5_S1A_jjP12ihipStream_tbEUljE_EEESV_SW_SX_S14_S18_S1A_T6_T7_T9_mT8_S1C_bDpT10_ENKUlT_T0_E_clISt17integral_constantIbLb1EES1P_EEDaS1K_S1L_EUlS1K_E_NS1_11comp_targetILNS1_3genE0ELNS1_11target_archE4294967295ELNS1_3gpuE0ELNS1_3repE0EEENS1_30default_config_static_selectorELNS0_4arch9wavefront6targetE0EEEvSY_,"axG",@progbits,_ZN7rocprim17ROCPRIM_400000_NS6detail17trampoline_kernelINS0_13select_configILj256ELj13ELNS0_17block_load_methodE3ELS4_3ELS4_3ELNS0_20block_scan_algorithmE0ELj4294967295EEENS1_25partition_config_selectorILNS1_17partition_subalgoE3EjNS0_10empty_typeEbEEZZNS1_14partition_implILS8_3ELb0ES6_jNS0_17counting_iteratorIjlEEPS9_SE_NS0_5tupleIJPjSE_EEENSF_IJSE_SE_EEES9_SG_JZNS1_25segmented_radix_sort_implINS0_14default_configELb0EPKdPdPKlPlN2at6native12_GLOBAL__N_18offset_tEEE10hipError_tPvRmT1_PNSt15iterator_traitsISY_E10value_typeET2_T3_PNSZ_IS14_E10value_typeET4_jRbjT5_S1A_jjP12ihipStream_tbEUljE_EEESV_SW_SX_S14_S18_S1A_T6_T7_T9_mT8_S1C_bDpT10_ENKUlT_T0_E_clISt17integral_constantIbLb1EES1P_EEDaS1K_S1L_EUlS1K_E_NS1_11comp_targetILNS1_3genE0ELNS1_11target_archE4294967295ELNS1_3gpuE0ELNS1_3repE0EEENS1_30default_config_static_selectorELNS0_4arch9wavefront6targetE0EEEvSY_,comdat
	.globl	_ZN7rocprim17ROCPRIM_400000_NS6detail17trampoline_kernelINS0_13select_configILj256ELj13ELNS0_17block_load_methodE3ELS4_3ELS4_3ELNS0_20block_scan_algorithmE0ELj4294967295EEENS1_25partition_config_selectorILNS1_17partition_subalgoE3EjNS0_10empty_typeEbEEZZNS1_14partition_implILS8_3ELb0ES6_jNS0_17counting_iteratorIjlEEPS9_SE_NS0_5tupleIJPjSE_EEENSF_IJSE_SE_EEES9_SG_JZNS1_25segmented_radix_sort_implINS0_14default_configELb0EPKdPdPKlPlN2at6native12_GLOBAL__N_18offset_tEEE10hipError_tPvRmT1_PNSt15iterator_traitsISY_E10value_typeET2_T3_PNSZ_IS14_E10value_typeET4_jRbjT5_S1A_jjP12ihipStream_tbEUljE_EEESV_SW_SX_S14_S18_S1A_T6_T7_T9_mT8_S1C_bDpT10_ENKUlT_T0_E_clISt17integral_constantIbLb1EES1P_EEDaS1K_S1L_EUlS1K_E_NS1_11comp_targetILNS1_3genE0ELNS1_11target_archE4294967295ELNS1_3gpuE0ELNS1_3repE0EEENS1_30default_config_static_selectorELNS0_4arch9wavefront6targetE0EEEvSY_ ; -- Begin function _ZN7rocprim17ROCPRIM_400000_NS6detail17trampoline_kernelINS0_13select_configILj256ELj13ELNS0_17block_load_methodE3ELS4_3ELS4_3ELNS0_20block_scan_algorithmE0ELj4294967295EEENS1_25partition_config_selectorILNS1_17partition_subalgoE3EjNS0_10empty_typeEbEEZZNS1_14partition_implILS8_3ELb0ES6_jNS0_17counting_iteratorIjlEEPS9_SE_NS0_5tupleIJPjSE_EEENSF_IJSE_SE_EEES9_SG_JZNS1_25segmented_radix_sort_implINS0_14default_configELb0EPKdPdPKlPlN2at6native12_GLOBAL__N_18offset_tEEE10hipError_tPvRmT1_PNSt15iterator_traitsISY_E10value_typeET2_T3_PNSZ_IS14_E10value_typeET4_jRbjT5_S1A_jjP12ihipStream_tbEUljE_EEESV_SW_SX_S14_S18_S1A_T6_T7_T9_mT8_S1C_bDpT10_ENKUlT_T0_E_clISt17integral_constantIbLb1EES1P_EEDaS1K_S1L_EUlS1K_E_NS1_11comp_targetILNS1_3genE0ELNS1_11target_archE4294967295ELNS1_3gpuE0ELNS1_3repE0EEENS1_30default_config_static_selectorELNS0_4arch9wavefront6targetE0EEEvSY_
	.p2align	8
	.type	_ZN7rocprim17ROCPRIM_400000_NS6detail17trampoline_kernelINS0_13select_configILj256ELj13ELNS0_17block_load_methodE3ELS4_3ELS4_3ELNS0_20block_scan_algorithmE0ELj4294967295EEENS1_25partition_config_selectorILNS1_17partition_subalgoE3EjNS0_10empty_typeEbEEZZNS1_14partition_implILS8_3ELb0ES6_jNS0_17counting_iteratorIjlEEPS9_SE_NS0_5tupleIJPjSE_EEENSF_IJSE_SE_EEES9_SG_JZNS1_25segmented_radix_sort_implINS0_14default_configELb0EPKdPdPKlPlN2at6native12_GLOBAL__N_18offset_tEEE10hipError_tPvRmT1_PNSt15iterator_traitsISY_E10value_typeET2_T3_PNSZ_IS14_E10value_typeET4_jRbjT5_S1A_jjP12ihipStream_tbEUljE_EEESV_SW_SX_S14_S18_S1A_T6_T7_T9_mT8_S1C_bDpT10_ENKUlT_T0_E_clISt17integral_constantIbLb1EES1P_EEDaS1K_S1L_EUlS1K_E_NS1_11comp_targetILNS1_3genE0ELNS1_11target_archE4294967295ELNS1_3gpuE0ELNS1_3repE0EEENS1_30default_config_static_selectorELNS0_4arch9wavefront6targetE0EEEvSY_,@function
_ZN7rocprim17ROCPRIM_400000_NS6detail17trampoline_kernelINS0_13select_configILj256ELj13ELNS0_17block_load_methodE3ELS4_3ELS4_3ELNS0_20block_scan_algorithmE0ELj4294967295EEENS1_25partition_config_selectorILNS1_17partition_subalgoE3EjNS0_10empty_typeEbEEZZNS1_14partition_implILS8_3ELb0ES6_jNS0_17counting_iteratorIjlEEPS9_SE_NS0_5tupleIJPjSE_EEENSF_IJSE_SE_EEES9_SG_JZNS1_25segmented_radix_sort_implINS0_14default_configELb0EPKdPdPKlPlN2at6native12_GLOBAL__N_18offset_tEEE10hipError_tPvRmT1_PNSt15iterator_traitsISY_E10value_typeET2_T3_PNSZ_IS14_E10value_typeET4_jRbjT5_S1A_jjP12ihipStream_tbEUljE_EEESV_SW_SX_S14_S18_S1A_T6_T7_T9_mT8_S1C_bDpT10_ENKUlT_T0_E_clISt17integral_constantIbLb1EES1P_EEDaS1K_S1L_EUlS1K_E_NS1_11comp_targetILNS1_3genE0ELNS1_11target_archE4294967295ELNS1_3gpuE0ELNS1_3repE0EEENS1_30default_config_static_selectorELNS0_4arch9wavefront6targetE0EEEvSY_: ; @_ZN7rocprim17ROCPRIM_400000_NS6detail17trampoline_kernelINS0_13select_configILj256ELj13ELNS0_17block_load_methodE3ELS4_3ELS4_3ELNS0_20block_scan_algorithmE0ELj4294967295EEENS1_25partition_config_selectorILNS1_17partition_subalgoE3EjNS0_10empty_typeEbEEZZNS1_14partition_implILS8_3ELb0ES6_jNS0_17counting_iteratorIjlEEPS9_SE_NS0_5tupleIJPjSE_EEENSF_IJSE_SE_EEES9_SG_JZNS1_25segmented_radix_sort_implINS0_14default_configELb0EPKdPdPKlPlN2at6native12_GLOBAL__N_18offset_tEEE10hipError_tPvRmT1_PNSt15iterator_traitsISY_E10value_typeET2_T3_PNSZ_IS14_E10value_typeET4_jRbjT5_S1A_jjP12ihipStream_tbEUljE_EEESV_SW_SX_S14_S18_S1A_T6_T7_T9_mT8_S1C_bDpT10_ENKUlT_T0_E_clISt17integral_constantIbLb1EES1P_EEDaS1K_S1L_EUlS1K_E_NS1_11comp_targetILNS1_3genE0ELNS1_11target_archE4294967295ELNS1_3gpuE0ELNS1_3repE0EEENS1_30default_config_static_selectorELNS0_4arch9wavefront6targetE0EEEvSY_
; %bb.0:
	.section	.rodata,"a",@progbits
	.p2align	6, 0x0
	.amdhsa_kernel _ZN7rocprim17ROCPRIM_400000_NS6detail17trampoline_kernelINS0_13select_configILj256ELj13ELNS0_17block_load_methodE3ELS4_3ELS4_3ELNS0_20block_scan_algorithmE0ELj4294967295EEENS1_25partition_config_selectorILNS1_17partition_subalgoE3EjNS0_10empty_typeEbEEZZNS1_14partition_implILS8_3ELb0ES6_jNS0_17counting_iteratorIjlEEPS9_SE_NS0_5tupleIJPjSE_EEENSF_IJSE_SE_EEES9_SG_JZNS1_25segmented_radix_sort_implINS0_14default_configELb0EPKdPdPKlPlN2at6native12_GLOBAL__N_18offset_tEEE10hipError_tPvRmT1_PNSt15iterator_traitsISY_E10value_typeET2_T3_PNSZ_IS14_E10value_typeET4_jRbjT5_S1A_jjP12ihipStream_tbEUljE_EEESV_SW_SX_S14_S18_S1A_T6_T7_T9_mT8_S1C_bDpT10_ENKUlT_T0_E_clISt17integral_constantIbLb1EES1P_EEDaS1K_S1L_EUlS1K_E_NS1_11comp_targetILNS1_3genE0ELNS1_11target_archE4294967295ELNS1_3gpuE0ELNS1_3repE0EEENS1_30default_config_static_selectorELNS0_4arch9wavefront6targetE0EEEvSY_
		.amdhsa_group_segment_fixed_size 0
		.amdhsa_private_segment_fixed_size 0
		.amdhsa_kernarg_size 152
		.amdhsa_user_sgpr_count 15
		.amdhsa_user_sgpr_dispatch_ptr 0
		.amdhsa_user_sgpr_queue_ptr 0
		.amdhsa_user_sgpr_kernarg_segment_ptr 1
		.amdhsa_user_sgpr_dispatch_id 0
		.amdhsa_user_sgpr_private_segment_size 0
		.amdhsa_wavefront_size32 1
		.amdhsa_uses_dynamic_stack 0
		.amdhsa_enable_private_segment 0
		.amdhsa_system_sgpr_workgroup_id_x 1
		.amdhsa_system_sgpr_workgroup_id_y 0
		.amdhsa_system_sgpr_workgroup_id_z 0
		.amdhsa_system_sgpr_workgroup_info 0
		.amdhsa_system_vgpr_workitem_id 0
		.amdhsa_next_free_vgpr 1
		.amdhsa_next_free_sgpr 1
		.amdhsa_reserve_vcc 0
		.amdhsa_float_round_mode_32 0
		.amdhsa_float_round_mode_16_64 0
		.amdhsa_float_denorm_mode_32 3
		.amdhsa_float_denorm_mode_16_64 3
		.amdhsa_dx10_clamp 1
		.amdhsa_ieee_mode 1
		.amdhsa_fp16_overflow 0
		.amdhsa_workgroup_processor_mode 1
		.amdhsa_memory_ordered 1
		.amdhsa_forward_progress 0
		.amdhsa_shared_vgpr_count 0
		.amdhsa_exception_fp_ieee_invalid_op 0
		.amdhsa_exception_fp_denorm_src 0
		.amdhsa_exception_fp_ieee_div_zero 0
		.amdhsa_exception_fp_ieee_overflow 0
		.amdhsa_exception_fp_ieee_underflow 0
		.amdhsa_exception_fp_ieee_inexact 0
		.amdhsa_exception_int_div_zero 0
	.end_amdhsa_kernel
	.section	.text._ZN7rocprim17ROCPRIM_400000_NS6detail17trampoline_kernelINS0_13select_configILj256ELj13ELNS0_17block_load_methodE3ELS4_3ELS4_3ELNS0_20block_scan_algorithmE0ELj4294967295EEENS1_25partition_config_selectorILNS1_17partition_subalgoE3EjNS0_10empty_typeEbEEZZNS1_14partition_implILS8_3ELb0ES6_jNS0_17counting_iteratorIjlEEPS9_SE_NS0_5tupleIJPjSE_EEENSF_IJSE_SE_EEES9_SG_JZNS1_25segmented_radix_sort_implINS0_14default_configELb0EPKdPdPKlPlN2at6native12_GLOBAL__N_18offset_tEEE10hipError_tPvRmT1_PNSt15iterator_traitsISY_E10value_typeET2_T3_PNSZ_IS14_E10value_typeET4_jRbjT5_S1A_jjP12ihipStream_tbEUljE_EEESV_SW_SX_S14_S18_S1A_T6_T7_T9_mT8_S1C_bDpT10_ENKUlT_T0_E_clISt17integral_constantIbLb1EES1P_EEDaS1K_S1L_EUlS1K_E_NS1_11comp_targetILNS1_3genE0ELNS1_11target_archE4294967295ELNS1_3gpuE0ELNS1_3repE0EEENS1_30default_config_static_selectorELNS0_4arch9wavefront6targetE0EEEvSY_,"axG",@progbits,_ZN7rocprim17ROCPRIM_400000_NS6detail17trampoline_kernelINS0_13select_configILj256ELj13ELNS0_17block_load_methodE3ELS4_3ELS4_3ELNS0_20block_scan_algorithmE0ELj4294967295EEENS1_25partition_config_selectorILNS1_17partition_subalgoE3EjNS0_10empty_typeEbEEZZNS1_14partition_implILS8_3ELb0ES6_jNS0_17counting_iteratorIjlEEPS9_SE_NS0_5tupleIJPjSE_EEENSF_IJSE_SE_EEES9_SG_JZNS1_25segmented_radix_sort_implINS0_14default_configELb0EPKdPdPKlPlN2at6native12_GLOBAL__N_18offset_tEEE10hipError_tPvRmT1_PNSt15iterator_traitsISY_E10value_typeET2_T3_PNSZ_IS14_E10value_typeET4_jRbjT5_S1A_jjP12ihipStream_tbEUljE_EEESV_SW_SX_S14_S18_S1A_T6_T7_T9_mT8_S1C_bDpT10_ENKUlT_T0_E_clISt17integral_constantIbLb1EES1P_EEDaS1K_S1L_EUlS1K_E_NS1_11comp_targetILNS1_3genE0ELNS1_11target_archE4294967295ELNS1_3gpuE0ELNS1_3repE0EEENS1_30default_config_static_selectorELNS0_4arch9wavefront6targetE0EEEvSY_,comdat
.Lfunc_end1197:
	.size	_ZN7rocprim17ROCPRIM_400000_NS6detail17trampoline_kernelINS0_13select_configILj256ELj13ELNS0_17block_load_methodE3ELS4_3ELS4_3ELNS0_20block_scan_algorithmE0ELj4294967295EEENS1_25partition_config_selectorILNS1_17partition_subalgoE3EjNS0_10empty_typeEbEEZZNS1_14partition_implILS8_3ELb0ES6_jNS0_17counting_iteratorIjlEEPS9_SE_NS0_5tupleIJPjSE_EEENSF_IJSE_SE_EEES9_SG_JZNS1_25segmented_radix_sort_implINS0_14default_configELb0EPKdPdPKlPlN2at6native12_GLOBAL__N_18offset_tEEE10hipError_tPvRmT1_PNSt15iterator_traitsISY_E10value_typeET2_T3_PNSZ_IS14_E10value_typeET4_jRbjT5_S1A_jjP12ihipStream_tbEUljE_EEESV_SW_SX_S14_S18_S1A_T6_T7_T9_mT8_S1C_bDpT10_ENKUlT_T0_E_clISt17integral_constantIbLb1EES1P_EEDaS1K_S1L_EUlS1K_E_NS1_11comp_targetILNS1_3genE0ELNS1_11target_archE4294967295ELNS1_3gpuE0ELNS1_3repE0EEENS1_30default_config_static_selectorELNS0_4arch9wavefront6targetE0EEEvSY_, .Lfunc_end1197-_ZN7rocprim17ROCPRIM_400000_NS6detail17trampoline_kernelINS0_13select_configILj256ELj13ELNS0_17block_load_methodE3ELS4_3ELS4_3ELNS0_20block_scan_algorithmE0ELj4294967295EEENS1_25partition_config_selectorILNS1_17partition_subalgoE3EjNS0_10empty_typeEbEEZZNS1_14partition_implILS8_3ELb0ES6_jNS0_17counting_iteratorIjlEEPS9_SE_NS0_5tupleIJPjSE_EEENSF_IJSE_SE_EEES9_SG_JZNS1_25segmented_radix_sort_implINS0_14default_configELb0EPKdPdPKlPlN2at6native12_GLOBAL__N_18offset_tEEE10hipError_tPvRmT1_PNSt15iterator_traitsISY_E10value_typeET2_T3_PNSZ_IS14_E10value_typeET4_jRbjT5_S1A_jjP12ihipStream_tbEUljE_EEESV_SW_SX_S14_S18_S1A_T6_T7_T9_mT8_S1C_bDpT10_ENKUlT_T0_E_clISt17integral_constantIbLb1EES1P_EEDaS1K_S1L_EUlS1K_E_NS1_11comp_targetILNS1_3genE0ELNS1_11target_archE4294967295ELNS1_3gpuE0ELNS1_3repE0EEENS1_30default_config_static_selectorELNS0_4arch9wavefront6targetE0EEEvSY_
                                        ; -- End function
	.section	.AMDGPU.csdata,"",@progbits
; Kernel info:
; codeLenInByte = 0
; NumSgprs: 0
; NumVgprs: 0
; ScratchSize: 0
; MemoryBound: 0
; FloatMode: 240
; IeeeMode: 1
; LDSByteSize: 0 bytes/workgroup (compile time only)
; SGPRBlocks: 0
; VGPRBlocks: 0
; NumSGPRsForWavesPerEU: 1
; NumVGPRsForWavesPerEU: 1
; Occupancy: 16
; WaveLimiterHint : 0
; COMPUTE_PGM_RSRC2:SCRATCH_EN: 0
; COMPUTE_PGM_RSRC2:USER_SGPR: 15
; COMPUTE_PGM_RSRC2:TRAP_HANDLER: 0
; COMPUTE_PGM_RSRC2:TGID_X_EN: 1
; COMPUTE_PGM_RSRC2:TGID_Y_EN: 0
; COMPUTE_PGM_RSRC2:TGID_Z_EN: 0
; COMPUTE_PGM_RSRC2:TIDIG_COMP_CNT: 0
	.section	.text._ZN7rocprim17ROCPRIM_400000_NS6detail17trampoline_kernelINS0_13select_configILj256ELj13ELNS0_17block_load_methodE3ELS4_3ELS4_3ELNS0_20block_scan_algorithmE0ELj4294967295EEENS1_25partition_config_selectorILNS1_17partition_subalgoE3EjNS0_10empty_typeEbEEZZNS1_14partition_implILS8_3ELb0ES6_jNS0_17counting_iteratorIjlEEPS9_SE_NS0_5tupleIJPjSE_EEENSF_IJSE_SE_EEES9_SG_JZNS1_25segmented_radix_sort_implINS0_14default_configELb0EPKdPdPKlPlN2at6native12_GLOBAL__N_18offset_tEEE10hipError_tPvRmT1_PNSt15iterator_traitsISY_E10value_typeET2_T3_PNSZ_IS14_E10value_typeET4_jRbjT5_S1A_jjP12ihipStream_tbEUljE_EEESV_SW_SX_S14_S18_S1A_T6_T7_T9_mT8_S1C_bDpT10_ENKUlT_T0_E_clISt17integral_constantIbLb1EES1P_EEDaS1K_S1L_EUlS1K_E_NS1_11comp_targetILNS1_3genE5ELNS1_11target_archE942ELNS1_3gpuE9ELNS1_3repE0EEENS1_30default_config_static_selectorELNS0_4arch9wavefront6targetE0EEEvSY_,"axG",@progbits,_ZN7rocprim17ROCPRIM_400000_NS6detail17trampoline_kernelINS0_13select_configILj256ELj13ELNS0_17block_load_methodE3ELS4_3ELS4_3ELNS0_20block_scan_algorithmE0ELj4294967295EEENS1_25partition_config_selectorILNS1_17partition_subalgoE3EjNS0_10empty_typeEbEEZZNS1_14partition_implILS8_3ELb0ES6_jNS0_17counting_iteratorIjlEEPS9_SE_NS0_5tupleIJPjSE_EEENSF_IJSE_SE_EEES9_SG_JZNS1_25segmented_radix_sort_implINS0_14default_configELb0EPKdPdPKlPlN2at6native12_GLOBAL__N_18offset_tEEE10hipError_tPvRmT1_PNSt15iterator_traitsISY_E10value_typeET2_T3_PNSZ_IS14_E10value_typeET4_jRbjT5_S1A_jjP12ihipStream_tbEUljE_EEESV_SW_SX_S14_S18_S1A_T6_T7_T9_mT8_S1C_bDpT10_ENKUlT_T0_E_clISt17integral_constantIbLb1EES1P_EEDaS1K_S1L_EUlS1K_E_NS1_11comp_targetILNS1_3genE5ELNS1_11target_archE942ELNS1_3gpuE9ELNS1_3repE0EEENS1_30default_config_static_selectorELNS0_4arch9wavefront6targetE0EEEvSY_,comdat
	.globl	_ZN7rocprim17ROCPRIM_400000_NS6detail17trampoline_kernelINS0_13select_configILj256ELj13ELNS0_17block_load_methodE3ELS4_3ELS4_3ELNS0_20block_scan_algorithmE0ELj4294967295EEENS1_25partition_config_selectorILNS1_17partition_subalgoE3EjNS0_10empty_typeEbEEZZNS1_14partition_implILS8_3ELb0ES6_jNS0_17counting_iteratorIjlEEPS9_SE_NS0_5tupleIJPjSE_EEENSF_IJSE_SE_EEES9_SG_JZNS1_25segmented_radix_sort_implINS0_14default_configELb0EPKdPdPKlPlN2at6native12_GLOBAL__N_18offset_tEEE10hipError_tPvRmT1_PNSt15iterator_traitsISY_E10value_typeET2_T3_PNSZ_IS14_E10value_typeET4_jRbjT5_S1A_jjP12ihipStream_tbEUljE_EEESV_SW_SX_S14_S18_S1A_T6_T7_T9_mT8_S1C_bDpT10_ENKUlT_T0_E_clISt17integral_constantIbLb1EES1P_EEDaS1K_S1L_EUlS1K_E_NS1_11comp_targetILNS1_3genE5ELNS1_11target_archE942ELNS1_3gpuE9ELNS1_3repE0EEENS1_30default_config_static_selectorELNS0_4arch9wavefront6targetE0EEEvSY_ ; -- Begin function _ZN7rocprim17ROCPRIM_400000_NS6detail17trampoline_kernelINS0_13select_configILj256ELj13ELNS0_17block_load_methodE3ELS4_3ELS4_3ELNS0_20block_scan_algorithmE0ELj4294967295EEENS1_25partition_config_selectorILNS1_17partition_subalgoE3EjNS0_10empty_typeEbEEZZNS1_14partition_implILS8_3ELb0ES6_jNS0_17counting_iteratorIjlEEPS9_SE_NS0_5tupleIJPjSE_EEENSF_IJSE_SE_EEES9_SG_JZNS1_25segmented_radix_sort_implINS0_14default_configELb0EPKdPdPKlPlN2at6native12_GLOBAL__N_18offset_tEEE10hipError_tPvRmT1_PNSt15iterator_traitsISY_E10value_typeET2_T3_PNSZ_IS14_E10value_typeET4_jRbjT5_S1A_jjP12ihipStream_tbEUljE_EEESV_SW_SX_S14_S18_S1A_T6_T7_T9_mT8_S1C_bDpT10_ENKUlT_T0_E_clISt17integral_constantIbLb1EES1P_EEDaS1K_S1L_EUlS1K_E_NS1_11comp_targetILNS1_3genE5ELNS1_11target_archE942ELNS1_3gpuE9ELNS1_3repE0EEENS1_30default_config_static_selectorELNS0_4arch9wavefront6targetE0EEEvSY_
	.p2align	8
	.type	_ZN7rocprim17ROCPRIM_400000_NS6detail17trampoline_kernelINS0_13select_configILj256ELj13ELNS0_17block_load_methodE3ELS4_3ELS4_3ELNS0_20block_scan_algorithmE0ELj4294967295EEENS1_25partition_config_selectorILNS1_17partition_subalgoE3EjNS0_10empty_typeEbEEZZNS1_14partition_implILS8_3ELb0ES6_jNS0_17counting_iteratorIjlEEPS9_SE_NS0_5tupleIJPjSE_EEENSF_IJSE_SE_EEES9_SG_JZNS1_25segmented_radix_sort_implINS0_14default_configELb0EPKdPdPKlPlN2at6native12_GLOBAL__N_18offset_tEEE10hipError_tPvRmT1_PNSt15iterator_traitsISY_E10value_typeET2_T3_PNSZ_IS14_E10value_typeET4_jRbjT5_S1A_jjP12ihipStream_tbEUljE_EEESV_SW_SX_S14_S18_S1A_T6_T7_T9_mT8_S1C_bDpT10_ENKUlT_T0_E_clISt17integral_constantIbLb1EES1P_EEDaS1K_S1L_EUlS1K_E_NS1_11comp_targetILNS1_3genE5ELNS1_11target_archE942ELNS1_3gpuE9ELNS1_3repE0EEENS1_30default_config_static_selectorELNS0_4arch9wavefront6targetE0EEEvSY_,@function
_ZN7rocprim17ROCPRIM_400000_NS6detail17trampoline_kernelINS0_13select_configILj256ELj13ELNS0_17block_load_methodE3ELS4_3ELS4_3ELNS0_20block_scan_algorithmE0ELj4294967295EEENS1_25partition_config_selectorILNS1_17partition_subalgoE3EjNS0_10empty_typeEbEEZZNS1_14partition_implILS8_3ELb0ES6_jNS0_17counting_iteratorIjlEEPS9_SE_NS0_5tupleIJPjSE_EEENSF_IJSE_SE_EEES9_SG_JZNS1_25segmented_radix_sort_implINS0_14default_configELb0EPKdPdPKlPlN2at6native12_GLOBAL__N_18offset_tEEE10hipError_tPvRmT1_PNSt15iterator_traitsISY_E10value_typeET2_T3_PNSZ_IS14_E10value_typeET4_jRbjT5_S1A_jjP12ihipStream_tbEUljE_EEESV_SW_SX_S14_S18_S1A_T6_T7_T9_mT8_S1C_bDpT10_ENKUlT_T0_E_clISt17integral_constantIbLb1EES1P_EEDaS1K_S1L_EUlS1K_E_NS1_11comp_targetILNS1_3genE5ELNS1_11target_archE942ELNS1_3gpuE9ELNS1_3repE0EEENS1_30default_config_static_selectorELNS0_4arch9wavefront6targetE0EEEvSY_: ; @_ZN7rocprim17ROCPRIM_400000_NS6detail17trampoline_kernelINS0_13select_configILj256ELj13ELNS0_17block_load_methodE3ELS4_3ELS4_3ELNS0_20block_scan_algorithmE0ELj4294967295EEENS1_25partition_config_selectorILNS1_17partition_subalgoE3EjNS0_10empty_typeEbEEZZNS1_14partition_implILS8_3ELb0ES6_jNS0_17counting_iteratorIjlEEPS9_SE_NS0_5tupleIJPjSE_EEENSF_IJSE_SE_EEES9_SG_JZNS1_25segmented_radix_sort_implINS0_14default_configELb0EPKdPdPKlPlN2at6native12_GLOBAL__N_18offset_tEEE10hipError_tPvRmT1_PNSt15iterator_traitsISY_E10value_typeET2_T3_PNSZ_IS14_E10value_typeET4_jRbjT5_S1A_jjP12ihipStream_tbEUljE_EEESV_SW_SX_S14_S18_S1A_T6_T7_T9_mT8_S1C_bDpT10_ENKUlT_T0_E_clISt17integral_constantIbLb1EES1P_EEDaS1K_S1L_EUlS1K_E_NS1_11comp_targetILNS1_3genE5ELNS1_11target_archE942ELNS1_3gpuE9ELNS1_3repE0EEENS1_30default_config_static_selectorELNS0_4arch9wavefront6targetE0EEEvSY_
; %bb.0:
	.section	.rodata,"a",@progbits
	.p2align	6, 0x0
	.amdhsa_kernel _ZN7rocprim17ROCPRIM_400000_NS6detail17trampoline_kernelINS0_13select_configILj256ELj13ELNS0_17block_load_methodE3ELS4_3ELS4_3ELNS0_20block_scan_algorithmE0ELj4294967295EEENS1_25partition_config_selectorILNS1_17partition_subalgoE3EjNS0_10empty_typeEbEEZZNS1_14partition_implILS8_3ELb0ES6_jNS0_17counting_iteratorIjlEEPS9_SE_NS0_5tupleIJPjSE_EEENSF_IJSE_SE_EEES9_SG_JZNS1_25segmented_radix_sort_implINS0_14default_configELb0EPKdPdPKlPlN2at6native12_GLOBAL__N_18offset_tEEE10hipError_tPvRmT1_PNSt15iterator_traitsISY_E10value_typeET2_T3_PNSZ_IS14_E10value_typeET4_jRbjT5_S1A_jjP12ihipStream_tbEUljE_EEESV_SW_SX_S14_S18_S1A_T6_T7_T9_mT8_S1C_bDpT10_ENKUlT_T0_E_clISt17integral_constantIbLb1EES1P_EEDaS1K_S1L_EUlS1K_E_NS1_11comp_targetILNS1_3genE5ELNS1_11target_archE942ELNS1_3gpuE9ELNS1_3repE0EEENS1_30default_config_static_selectorELNS0_4arch9wavefront6targetE0EEEvSY_
		.amdhsa_group_segment_fixed_size 0
		.amdhsa_private_segment_fixed_size 0
		.amdhsa_kernarg_size 152
		.amdhsa_user_sgpr_count 15
		.amdhsa_user_sgpr_dispatch_ptr 0
		.amdhsa_user_sgpr_queue_ptr 0
		.amdhsa_user_sgpr_kernarg_segment_ptr 1
		.amdhsa_user_sgpr_dispatch_id 0
		.amdhsa_user_sgpr_private_segment_size 0
		.amdhsa_wavefront_size32 1
		.amdhsa_uses_dynamic_stack 0
		.amdhsa_enable_private_segment 0
		.amdhsa_system_sgpr_workgroup_id_x 1
		.amdhsa_system_sgpr_workgroup_id_y 0
		.amdhsa_system_sgpr_workgroup_id_z 0
		.amdhsa_system_sgpr_workgroup_info 0
		.amdhsa_system_vgpr_workitem_id 0
		.amdhsa_next_free_vgpr 1
		.amdhsa_next_free_sgpr 1
		.amdhsa_reserve_vcc 0
		.amdhsa_float_round_mode_32 0
		.amdhsa_float_round_mode_16_64 0
		.amdhsa_float_denorm_mode_32 3
		.amdhsa_float_denorm_mode_16_64 3
		.amdhsa_dx10_clamp 1
		.amdhsa_ieee_mode 1
		.amdhsa_fp16_overflow 0
		.amdhsa_workgroup_processor_mode 1
		.amdhsa_memory_ordered 1
		.amdhsa_forward_progress 0
		.amdhsa_shared_vgpr_count 0
		.amdhsa_exception_fp_ieee_invalid_op 0
		.amdhsa_exception_fp_denorm_src 0
		.amdhsa_exception_fp_ieee_div_zero 0
		.amdhsa_exception_fp_ieee_overflow 0
		.amdhsa_exception_fp_ieee_underflow 0
		.amdhsa_exception_fp_ieee_inexact 0
		.amdhsa_exception_int_div_zero 0
	.end_amdhsa_kernel
	.section	.text._ZN7rocprim17ROCPRIM_400000_NS6detail17trampoline_kernelINS0_13select_configILj256ELj13ELNS0_17block_load_methodE3ELS4_3ELS4_3ELNS0_20block_scan_algorithmE0ELj4294967295EEENS1_25partition_config_selectorILNS1_17partition_subalgoE3EjNS0_10empty_typeEbEEZZNS1_14partition_implILS8_3ELb0ES6_jNS0_17counting_iteratorIjlEEPS9_SE_NS0_5tupleIJPjSE_EEENSF_IJSE_SE_EEES9_SG_JZNS1_25segmented_radix_sort_implINS0_14default_configELb0EPKdPdPKlPlN2at6native12_GLOBAL__N_18offset_tEEE10hipError_tPvRmT1_PNSt15iterator_traitsISY_E10value_typeET2_T3_PNSZ_IS14_E10value_typeET4_jRbjT5_S1A_jjP12ihipStream_tbEUljE_EEESV_SW_SX_S14_S18_S1A_T6_T7_T9_mT8_S1C_bDpT10_ENKUlT_T0_E_clISt17integral_constantIbLb1EES1P_EEDaS1K_S1L_EUlS1K_E_NS1_11comp_targetILNS1_3genE5ELNS1_11target_archE942ELNS1_3gpuE9ELNS1_3repE0EEENS1_30default_config_static_selectorELNS0_4arch9wavefront6targetE0EEEvSY_,"axG",@progbits,_ZN7rocprim17ROCPRIM_400000_NS6detail17trampoline_kernelINS0_13select_configILj256ELj13ELNS0_17block_load_methodE3ELS4_3ELS4_3ELNS0_20block_scan_algorithmE0ELj4294967295EEENS1_25partition_config_selectorILNS1_17partition_subalgoE3EjNS0_10empty_typeEbEEZZNS1_14partition_implILS8_3ELb0ES6_jNS0_17counting_iteratorIjlEEPS9_SE_NS0_5tupleIJPjSE_EEENSF_IJSE_SE_EEES9_SG_JZNS1_25segmented_radix_sort_implINS0_14default_configELb0EPKdPdPKlPlN2at6native12_GLOBAL__N_18offset_tEEE10hipError_tPvRmT1_PNSt15iterator_traitsISY_E10value_typeET2_T3_PNSZ_IS14_E10value_typeET4_jRbjT5_S1A_jjP12ihipStream_tbEUljE_EEESV_SW_SX_S14_S18_S1A_T6_T7_T9_mT8_S1C_bDpT10_ENKUlT_T0_E_clISt17integral_constantIbLb1EES1P_EEDaS1K_S1L_EUlS1K_E_NS1_11comp_targetILNS1_3genE5ELNS1_11target_archE942ELNS1_3gpuE9ELNS1_3repE0EEENS1_30default_config_static_selectorELNS0_4arch9wavefront6targetE0EEEvSY_,comdat
.Lfunc_end1198:
	.size	_ZN7rocprim17ROCPRIM_400000_NS6detail17trampoline_kernelINS0_13select_configILj256ELj13ELNS0_17block_load_methodE3ELS4_3ELS4_3ELNS0_20block_scan_algorithmE0ELj4294967295EEENS1_25partition_config_selectorILNS1_17partition_subalgoE3EjNS0_10empty_typeEbEEZZNS1_14partition_implILS8_3ELb0ES6_jNS0_17counting_iteratorIjlEEPS9_SE_NS0_5tupleIJPjSE_EEENSF_IJSE_SE_EEES9_SG_JZNS1_25segmented_radix_sort_implINS0_14default_configELb0EPKdPdPKlPlN2at6native12_GLOBAL__N_18offset_tEEE10hipError_tPvRmT1_PNSt15iterator_traitsISY_E10value_typeET2_T3_PNSZ_IS14_E10value_typeET4_jRbjT5_S1A_jjP12ihipStream_tbEUljE_EEESV_SW_SX_S14_S18_S1A_T6_T7_T9_mT8_S1C_bDpT10_ENKUlT_T0_E_clISt17integral_constantIbLb1EES1P_EEDaS1K_S1L_EUlS1K_E_NS1_11comp_targetILNS1_3genE5ELNS1_11target_archE942ELNS1_3gpuE9ELNS1_3repE0EEENS1_30default_config_static_selectorELNS0_4arch9wavefront6targetE0EEEvSY_, .Lfunc_end1198-_ZN7rocprim17ROCPRIM_400000_NS6detail17trampoline_kernelINS0_13select_configILj256ELj13ELNS0_17block_load_methodE3ELS4_3ELS4_3ELNS0_20block_scan_algorithmE0ELj4294967295EEENS1_25partition_config_selectorILNS1_17partition_subalgoE3EjNS0_10empty_typeEbEEZZNS1_14partition_implILS8_3ELb0ES6_jNS0_17counting_iteratorIjlEEPS9_SE_NS0_5tupleIJPjSE_EEENSF_IJSE_SE_EEES9_SG_JZNS1_25segmented_radix_sort_implINS0_14default_configELb0EPKdPdPKlPlN2at6native12_GLOBAL__N_18offset_tEEE10hipError_tPvRmT1_PNSt15iterator_traitsISY_E10value_typeET2_T3_PNSZ_IS14_E10value_typeET4_jRbjT5_S1A_jjP12ihipStream_tbEUljE_EEESV_SW_SX_S14_S18_S1A_T6_T7_T9_mT8_S1C_bDpT10_ENKUlT_T0_E_clISt17integral_constantIbLb1EES1P_EEDaS1K_S1L_EUlS1K_E_NS1_11comp_targetILNS1_3genE5ELNS1_11target_archE942ELNS1_3gpuE9ELNS1_3repE0EEENS1_30default_config_static_selectorELNS0_4arch9wavefront6targetE0EEEvSY_
                                        ; -- End function
	.section	.AMDGPU.csdata,"",@progbits
; Kernel info:
; codeLenInByte = 0
; NumSgprs: 0
; NumVgprs: 0
; ScratchSize: 0
; MemoryBound: 0
; FloatMode: 240
; IeeeMode: 1
; LDSByteSize: 0 bytes/workgroup (compile time only)
; SGPRBlocks: 0
; VGPRBlocks: 0
; NumSGPRsForWavesPerEU: 1
; NumVGPRsForWavesPerEU: 1
; Occupancy: 16
; WaveLimiterHint : 0
; COMPUTE_PGM_RSRC2:SCRATCH_EN: 0
; COMPUTE_PGM_RSRC2:USER_SGPR: 15
; COMPUTE_PGM_RSRC2:TRAP_HANDLER: 0
; COMPUTE_PGM_RSRC2:TGID_X_EN: 1
; COMPUTE_PGM_RSRC2:TGID_Y_EN: 0
; COMPUTE_PGM_RSRC2:TGID_Z_EN: 0
; COMPUTE_PGM_RSRC2:TIDIG_COMP_CNT: 0
	.section	.text._ZN7rocprim17ROCPRIM_400000_NS6detail17trampoline_kernelINS0_13select_configILj256ELj13ELNS0_17block_load_methodE3ELS4_3ELS4_3ELNS0_20block_scan_algorithmE0ELj4294967295EEENS1_25partition_config_selectorILNS1_17partition_subalgoE3EjNS0_10empty_typeEbEEZZNS1_14partition_implILS8_3ELb0ES6_jNS0_17counting_iteratorIjlEEPS9_SE_NS0_5tupleIJPjSE_EEENSF_IJSE_SE_EEES9_SG_JZNS1_25segmented_radix_sort_implINS0_14default_configELb0EPKdPdPKlPlN2at6native12_GLOBAL__N_18offset_tEEE10hipError_tPvRmT1_PNSt15iterator_traitsISY_E10value_typeET2_T3_PNSZ_IS14_E10value_typeET4_jRbjT5_S1A_jjP12ihipStream_tbEUljE_EEESV_SW_SX_S14_S18_S1A_T6_T7_T9_mT8_S1C_bDpT10_ENKUlT_T0_E_clISt17integral_constantIbLb1EES1P_EEDaS1K_S1L_EUlS1K_E_NS1_11comp_targetILNS1_3genE4ELNS1_11target_archE910ELNS1_3gpuE8ELNS1_3repE0EEENS1_30default_config_static_selectorELNS0_4arch9wavefront6targetE0EEEvSY_,"axG",@progbits,_ZN7rocprim17ROCPRIM_400000_NS6detail17trampoline_kernelINS0_13select_configILj256ELj13ELNS0_17block_load_methodE3ELS4_3ELS4_3ELNS0_20block_scan_algorithmE0ELj4294967295EEENS1_25partition_config_selectorILNS1_17partition_subalgoE3EjNS0_10empty_typeEbEEZZNS1_14partition_implILS8_3ELb0ES6_jNS0_17counting_iteratorIjlEEPS9_SE_NS0_5tupleIJPjSE_EEENSF_IJSE_SE_EEES9_SG_JZNS1_25segmented_radix_sort_implINS0_14default_configELb0EPKdPdPKlPlN2at6native12_GLOBAL__N_18offset_tEEE10hipError_tPvRmT1_PNSt15iterator_traitsISY_E10value_typeET2_T3_PNSZ_IS14_E10value_typeET4_jRbjT5_S1A_jjP12ihipStream_tbEUljE_EEESV_SW_SX_S14_S18_S1A_T6_T7_T9_mT8_S1C_bDpT10_ENKUlT_T0_E_clISt17integral_constantIbLb1EES1P_EEDaS1K_S1L_EUlS1K_E_NS1_11comp_targetILNS1_3genE4ELNS1_11target_archE910ELNS1_3gpuE8ELNS1_3repE0EEENS1_30default_config_static_selectorELNS0_4arch9wavefront6targetE0EEEvSY_,comdat
	.globl	_ZN7rocprim17ROCPRIM_400000_NS6detail17trampoline_kernelINS0_13select_configILj256ELj13ELNS0_17block_load_methodE3ELS4_3ELS4_3ELNS0_20block_scan_algorithmE0ELj4294967295EEENS1_25partition_config_selectorILNS1_17partition_subalgoE3EjNS0_10empty_typeEbEEZZNS1_14partition_implILS8_3ELb0ES6_jNS0_17counting_iteratorIjlEEPS9_SE_NS0_5tupleIJPjSE_EEENSF_IJSE_SE_EEES9_SG_JZNS1_25segmented_radix_sort_implINS0_14default_configELb0EPKdPdPKlPlN2at6native12_GLOBAL__N_18offset_tEEE10hipError_tPvRmT1_PNSt15iterator_traitsISY_E10value_typeET2_T3_PNSZ_IS14_E10value_typeET4_jRbjT5_S1A_jjP12ihipStream_tbEUljE_EEESV_SW_SX_S14_S18_S1A_T6_T7_T9_mT8_S1C_bDpT10_ENKUlT_T0_E_clISt17integral_constantIbLb1EES1P_EEDaS1K_S1L_EUlS1K_E_NS1_11comp_targetILNS1_3genE4ELNS1_11target_archE910ELNS1_3gpuE8ELNS1_3repE0EEENS1_30default_config_static_selectorELNS0_4arch9wavefront6targetE0EEEvSY_ ; -- Begin function _ZN7rocprim17ROCPRIM_400000_NS6detail17trampoline_kernelINS0_13select_configILj256ELj13ELNS0_17block_load_methodE3ELS4_3ELS4_3ELNS0_20block_scan_algorithmE0ELj4294967295EEENS1_25partition_config_selectorILNS1_17partition_subalgoE3EjNS0_10empty_typeEbEEZZNS1_14partition_implILS8_3ELb0ES6_jNS0_17counting_iteratorIjlEEPS9_SE_NS0_5tupleIJPjSE_EEENSF_IJSE_SE_EEES9_SG_JZNS1_25segmented_radix_sort_implINS0_14default_configELb0EPKdPdPKlPlN2at6native12_GLOBAL__N_18offset_tEEE10hipError_tPvRmT1_PNSt15iterator_traitsISY_E10value_typeET2_T3_PNSZ_IS14_E10value_typeET4_jRbjT5_S1A_jjP12ihipStream_tbEUljE_EEESV_SW_SX_S14_S18_S1A_T6_T7_T9_mT8_S1C_bDpT10_ENKUlT_T0_E_clISt17integral_constantIbLb1EES1P_EEDaS1K_S1L_EUlS1K_E_NS1_11comp_targetILNS1_3genE4ELNS1_11target_archE910ELNS1_3gpuE8ELNS1_3repE0EEENS1_30default_config_static_selectorELNS0_4arch9wavefront6targetE0EEEvSY_
	.p2align	8
	.type	_ZN7rocprim17ROCPRIM_400000_NS6detail17trampoline_kernelINS0_13select_configILj256ELj13ELNS0_17block_load_methodE3ELS4_3ELS4_3ELNS0_20block_scan_algorithmE0ELj4294967295EEENS1_25partition_config_selectorILNS1_17partition_subalgoE3EjNS0_10empty_typeEbEEZZNS1_14partition_implILS8_3ELb0ES6_jNS0_17counting_iteratorIjlEEPS9_SE_NS0_5tupleIJPjSE_EEENSF_IJSE_SE_EEES9_SG_JZNS1_25segmented_radix_sort_implINS0_14default_configELb0EPKdPdPKlPlN2at6native12_GLOBAL__N_18offset_tEEE10hipError_tPvRmT1_PNSt15iterator_traitsISY_E10value_typeET2_T3_PNSZ_IS14_E10value_typeET4_jRbjT5_S1A_jjP12ihipStream_tbEUljE_EEESV_SW_SX_S14_S18_S1A_T6_T7_T9_mT8_S1C_bDpT10_ENKUlT_T0_E_clISt17integral_constantIbLb1EES1P_EEDaS1K_S1L_EUlS1K_E_NS1_11comp_targetILNS1_3genE4ELNS1_11target_archE910ELNS1_3gpuE8ELNS1_3repE0EEENS1_30default_config_static_selectorELNS0_4arch9wavefront6targetE0EEEvSY_,@function
_ZN7rocprim17ROCPRIM_400000_NS6detail17trampoline_kernelINS0_13select_configILj256ELj13ELNS0_17block_load_methodE3ELS4_3ELS4_3ELNS0_20block_scan_algorithmE0ELj4294967295EEENS1_25partition_config_selectorILNS1_17partition_subalgoE3EjNS0_10empty_typeEbEEZZNS1_14partition_implILS8_3ELb0ES6_jNS0_17counting_iteratorIjlEEPS9_SE_NS0_5tupleIJPjSE_EEENSF_IJSE_SE_EEES9_SG_JZNS1_25segmented_radix_sort_implINS0_14default_configELb0EPKdPdPKlPlN2at6native12_GLOBAL__N_18offset_tEEE10hipError_tPvRmT1_PNSt15iterator_traitsISY_E10value_typeET2_T3_PNSZ_IS14_E10value_typeET4_jRbjT5_S1A_jjP12ihipStream_tbEUljE_EEESV_SW_SX_S14_S18_S1A_T6_T7_T9_mT8_S1C_bDpT10_ENKUlT_T0_E_clISt17integral_constantIbLb1EES1P_EEDaS1K_S1L_EUlS1K_E_NS1_11comp_targetILNS1_3genE4ELNS1_11target_archE910ELNS1_3gpuE8ELNS1_3repE0EEENS1_30default_config_static_selectorELNS0_4arch9wavefront6targetE0EEEvSY_: ; @_ZN7rocprim17ROCPRIM_400000_NS6detail17trampoline_kernelINS0_13select_configILj256ELj13ELNS0_17block_load_methodE3ELS4_3ELS4_3ELNS0_20block_scan_algorithmE0ELj4294967295EEENS1_25partition_config_selectorILNS1_17partition_subalgoE3EjNS0_10empty_typeEbEEZZNS1_14partition_implILS8_3ELb0ES6_jNS0_17counting_iteratorIjlEEPS9_SE_NS0_5tupleIJPjSE_EEENSF_IJSE_SE_EEES9_SG_JZNS1_25segmented_radix_sort_implINS0_14default_configELb0EPKdPdPKlPlN2at6native12_GLOBAL__N_18offset_tEEE10hipError_tPvRmT1_PNSt15iterator_traitsISY_E10value_typeET2_T3_PNSZ_IS14_E10value_typeET4_jRbjT5_S1A_jjP12ihipStream_tbEUljE_EEESV_SW_SX_S14_S18_S1A_T6_T7_T9_mT8_S1C_bDpT10_ENKUlT_T0_E_clISt17integral_constantIbLb1EES1P_EEDaS1K_S1L_EUlS1K_E_NS1_11comp_targetILNS1_3genE4ELNS1_11target_archE910ELNS1_3gpuE8ELNS1_3repE0EEENS1_30default_config_static_selectorELNS0_4arch9wavefront6targetE0EEEvSY_
; %bb.0:
	.section	.rodata,"a",@progbits
	.p2align	6, 0x0
	.amdhsa_kernel _ZN7rocprim17ROCPRIM_400000_NS6detail17trampoline_kernelINS0_13select_configILj256ELj13ELNS0_17block_load_methodE3ELS4_3ELS4_3ELNS0_20block_scan_algorithmE0ELj4294967295EEENS1_25partition_config_selectorILNS1_17partition_subalgoE3EjNS0_10empty_typeEbEEZZNS1_14partition_implILS8_3ELb0ES6_jNS0_17counting_iteratorIjlEEPS9_SE_NS0_5tupleIJPjSE_EEENSF_IJSE_SE_EEES9_SG_JZNS1_25segmented_radix_sort_implINS0_14default_configELb0EPKdPdPKlPlN2at6native12_GLOBAL__N_18offset_tEEE10hipError_tPvRmT1_PNSt15iterator_traitsISY_E10value_typeET2_T3_PNSZ_IS14_E10value_typeET4_jRbjT5_S1A_jjP12ihipStream_tbEUljE_EEESV_SW_SX_S14_S18_S1A_T6_T7_T9_mT8_S1C_bDpT10_ENKUlT_T0_E_clISt17integral_constantIbLb1EES1P_EEDaS1K_S1L_EUlS1K_E_NS1_11comp_targetILNS1_3genE4ELNS1_11target_archE910ELNS1_3gpuE8ELNS1_3repE0EEENS1_30default_config_static_selectorELNS0_4arch9wavefront6targetE0EEEvSY_
		.amdhsa_group_segment_fixed_size 0
		.amdhsa_private_segment_fixed_size 0
		.amdhsa_kernarg_size 152
		.amdhsa_user_sgpr_count 15
		.amdhsa_user_sgpr_dispatch_ptr 0
		.amdhsa_user_sgpr_queue_ptr 0
		.amdhsa_user_sgpr_kernarg_segment_ptr 1
		.amdhsa_user_sgpr_dispatch_id 0
		.amdhsa_user_sgpr_private_segment_size 0
		.amdhsa_wavefront_size32 1
		.amdhsa_uses_dynamic_stack 0
		.amdhsa_enable_private_segment 0
		.amdhsa_system_sgpr_workgroup_id_x 1
		.amdhsa_system_sgpr_workgroup_id_y 0
		.amdhsa_system_sgpr_workgroup_id_z 0
		.amdhsa_system_sgpr_workgroup_info 0
		.amdhsa_system_vgpr_workitem_id 0
		.amdhsa_next_free_vgpr 1
		.amdhsa_next_free_sgpr 1
		.amdhsa_reserve_vcc 0
		.amdhsa_float_round_mode_32 0
		.amdhsa_float_round_mode_16_64 0
		.amdhsa_float_denorm_mode_32 3
		.amdhsa_float_denorm_mode_16_64 3
		.amdhsa_dx10_clamp 1
		.amdhsa_ieee_mode 1
		.amdhsa_fp16_overflow 0
		.amdhsa_workgroup_processor_mode 1
		.amdhsa_memory_ordered 1
		.amdhsa_forward_progress 0
		.amdhsa_shared_vgpr_count 0
		.amdhsa_exception_fp_ieee_invalid_op 0
		.amdhsa_exception_fp_denorm_src 0
		.amdhsa_exception_fp_ieee_div_zero 0
		.amdhsa_exception_fp_ieee_overflow 0
		.amdhsa_exception_fp_ieee_underflow 0
		.amdhsa_exception_fp_ieee_inexact 0
		.amdhsa_exception_int_div_zero 0
	.end_amdhsa_kernel
	.section	.text._ZN7rocprim17ROCPRIM_400000_NS6detail17trampoline_kernelINS0_13select_configILj256ELj13ELNS0_17block_load_methodE3ELS4_3ELS4_3ELNS0_20block_scan_algorithmE0ELj4294967295EEENS1_25partition_config_selectorILNS1_17partition_subalgoE3EjNS0_10empty_typeEbEEZZNS1_14partition_implILS8_3ELb0ES6_jNS0_17counting_iteratorIjlEEPS9_SE_NS0_5tupleIJPjSE_EEENSF_IJSE_SE_EEES9_SG_JZNS1_25segmented_radix_sort_implINS0_14default_configELb0EPKdPdPKlPlN2at6native12_GLOBAL__N_18offset_tEEE10hipError_tPvRmT1_PNSt15iterator_traitsISY_E10value_typeET2_T3_PNSZ_IS14_E10value_typeET4_jRbjT5_S1A_jjP12ihipStream_tbEUljE_EEESV_SW_SX_S14_S18_S1A_T6_T7_T9_mT8_S1C_bDpT10_ENKUlT_T0_E_clISt17integral_constantIbLb1EES1P_EEDaS1K_S1L_EUlS1K_E_NS1_11comp_targetILNS1_3genE4ELNS1_11target_archE910ELNS1_3gpuE8ELNS1_3repE0EEENS1_30default_config_static_selectorELNS0_4arch9wavefront6targetE0EEEvSY_,"axG",@progbits,_ZN7rocprim17ROCPRIM_400000_NS6detail17trampoline_kernelINS0_13select_configILj256ELj13ELNS0_17block_load_methodE3ELS4_3ELS4_3ELNS0_20block_scan_algorithmE0ELj4294967295EEENS1_25partition_config_selectorILNS1_17partition_subalgoE3EjNS0_10empty_typeEbEEZZNS1_14partition_implILS8_3ELb0ES6_jNS0_17counting_iteratorIjlEEPS9_SE_NS0_5tupleIJPjSE_EEENSF_IJSE_SE_EEES9_SG_JZNS1_25segmented_radix_sort_implINS0_14default_configELb0EPKdPdPKlPlN2at6native12_GLOBAL__N_18offset_tEEE10hipError_tPvRmT1_PNSt15iterator_traitsISY_E10value_typeET2_T3_PNSZ_IS14_E10value_typeET4_jRbjT5_S1A_jjP12ihipStream_tbEUljE_EEESV_SW_SX_S14_S18_S1A_T6_T7_T9_mT8_S1C_bDpT10_ENKUlT_T0_E_clISt17integral_constantIbLb1EES1P_EEDaS1K_S1L_EUlS1K_E_NS1_11comp_targetILNS1_3genE4ELNS1_11target_archE910ELNS1_3gpuE8ELNS1_3repE0EEENS1_30default_config_static_selectorELNS0_4arch9wavefront6targetE0EEEvSY_,comdat
.Lfunc_end1199:
	.size	_ZN7rocprim17ROCPRIM_400000_NS6detail17trampoline_kernelINS0_13select_configILj256ELj13ELNS0_17block_load_methodE3ELS4_3ELS4_3ELNS0_20block_scan_algorithmE0ELj4294967295EEENS1_25partition_config_selectorILNS1_17partition_subalgoE3EjNS0_10empty_typeEbEEZZNS1_14partition_implILS8_3ELb0ES6_jNS0_17counting_iteratorIjlEEPS9_SE_NS0_5tupleIJPjSE_EEENSF_IJSE_SE_EEES9_SG_JZNS1_25segmented_radix_sort_implINS0_14default_configELb0EPKdPdPKlPlN2at6native12_GLOBAL__N_18offset_tEEE10hipError_tPvRmT1_PNSt15iterator_traitsISY_E10value_typeET2_T3_PNSZ_IS14_E10value_typeET4_jRbjT5_S1A_jjP12ihipStream_tbEUljE_EEESV_SW_SX_S14_S18_S1A_T6_T7_T9_mT8_S1C_bDpT10_ENKUlT_T0_E_clISt17integral_constantIbLb1EES1P_EEDaS1K_S1L_EUlS1K_E_NS1_11comp_targetILNS1_3genE4ELNS1_11target_archE910ELNS1_3gpuE8ELNS1_3repE0EEENS1_30default_config_static_selectorELNS0_4arch9wavefront6targetE0EEEvSY_, .Lfunc_end1199-_ZN7rocprim17ROCPRIM_400000_NS6detail17trampoline_kernelINS0_13select_configILj256ELj13ELNS0_17block_load_methodE3ELS4_3ELS4_3ELNS0_20block_scan_algorithmE0ELj4294967295EEENS1_25partition_config_selectorILNS1_17partition_subalgoE3EjNS0_10empty_typeEbEEZZNS1_14partition_implILS8_3ELb0ES6_jNS0_17counting_iteratorIjlEEPS9_SE_NS0_5tupleIJPjSE_EEENSF_IJSE_SE_EEES9_SG_JZNS1_25segmented_radix_sort_implINS0_14default_configELb0EPKdPdPKlPlN2at6native12_GLOBAL__N_18offset_tEEE10hipError_tPvRmT1_PNSt15iterator_traitsISY_E10value_typeET2_T3_PNSZ_IS14_E10value_typeET4_jRbjT5_S1A_jjP12ihipStream_tbEUljE_EEESV_SW_SX_S14_S18_S1A_T6_T7_T9_mT8_S1C_bDpT10_ENKUlT_T0_E_clISt17integral_constantIbLb1EES1P_EEDaS1K_S1L_EUlS1K_E_NS1_11comp_targetILNS1_3genE4ELNS1_11target_archE910ELNS1_3gpuE8ELNS1_3repE0EEENS1_30default_config_static_selectorELNS0_4arch9wavefront6targetE0EEEvSY_
                                        ; -- End function
	.section	.AMDGPU.csdata,"",@progbits
; Kernel info:
; codeLenInByte = 0
; NumSgprs: 0
; NumVgprs: 0
; ScratchSize: 0
; MemoryBound: 0
; FloatMode: 240
; IeeeMode: 1
; LDSByteSize: 0 bytes/workgroup (compile time only)
; SGPRBlocks: 0
; VGPRBlocks: 0
; NumSGPRsForWavesPerEU: 1
; NumVGPRsForWavesPerEU: 1
; Occupancy: 16
; WaveLimiterHint : 0
; COMPUTE_PGM_RSRC2:SCRATCH_EN: 0
; COMPUTE_PGM_RSRC2:USER_SGPR: 15
; COMPUTE_PGM_RSRC2:TRAP_HANDLER: 0
; COMPUTE_PGM_RSRC2:TGID_X_EN: 1
; COMPUTE_PGM_RSRC2:TGID_Y_EN: 0
; COMPUTE_PGM_RSRC2:TGID_Z_EN: 0
; COMPUTE_PGM_RSRC2:TIDIG_COMP_CNT: 0
	.section	.text._ZN7rocprim17ROCPRIM_400000_NS6detail17trampoline_kernelINS0_13select_configILj256ELj13ELNS0_17block_load_methodE3ELS4_3ELS4_3ELNS0_20block_scan_algorithmE0ELj4294967295EEENS1_25partition_config_selectorILNS1_17partition_subalgoE3EjNS0_10empty_typeEbEEZZNS1_14partition_implILS8_3ELb0ES6_jNS0_17counting_iteratorIjlEEPS9_SE_NS0_5tupleIJPjSE_EEENSF_IJSE_SE_EEES9_SG_JZNS1_25segmented_radix_sort_implINS0_14default_configELb0EPKdPdPKlPlN2at6native12_GLOBAL__N_18offset_tEEE10hipError_tPvRmT1_PNSt15iterator_traitsISY_E10value_typeET2_T3_PNSZ_IS14_E10value_typeET4_jRbjT5_S1A_jjP12ihipStream_tbEUljE_EEESV_SW_SX_S14_S18_S1A_T6_T7_T9_mT8_S1C_bDpT10_ENKUlT_T0_E_clISt17integral_constantIbLb1EES1P_EEDaS1K_S1L_EUlS1K_E_NS1_11comp_targetILNS1_3genE3ELNS1_11target_archE908ELNS1_3gpuE7ELNS1_3repE0EEENS1_30default_config_static_selectorELNS0_4arch9wavefront6targetE0EEEvSY_,"axG",@progbits,_ZN7rocprim17ROCPRIM_400000_NS6detail17trampoline_kernelINS0_13select_configILj256ELj13ELNS0_17block_load_methodE3ELS4_3ELS4_3ELNS0_20block_scan_algorithmE0ELj4294967295EEENS1_25partition_config_selectorILNS1_17partition_subalgoE3EjNS0_10empty_typeEbEEZZNS1_14partition_implILS8_3ELb0ES6_jNS0_17counting_iteratorIjlEEPS9_SE_NS0_5tupleIJPjSE_EEENSF_IJSE_SE_EEES9_SG_JZNS1_25segmented_radix_sort_implINS0_14default_configELb0EPKdPdPKlPlN2at6native12_GLOBAL__N_18offset_tEEE10hipError_tPvRmT1_PNSt15iterator_traitsISY_E10value_typeET2_T3_PNSZ_IS14_E10value_typeET4_jRbjT5_S1A_jjP12ihipStream_tbEUljE_EEESV_SW_SX_S14_S18_S1A_T6_T7_T9_mT8_S1C_bDpT10_ENKUlT_T0_E_clISt17integral_constantIbLb1EES1P_EEDaS1K_S1L_EUlS1K_E_NS1_11comp_targetILNS1_3genE3ELNS1_11target_archE908ELNS1_3gpuE7ELNS1_3repE0EEENS1_30default_config_static_selectorELNS0_4arch9wavefront6targetE0EEEvSY_,comdat
	.globl	_ZN7rocprim17ROCPRIM_400000_NS6detail17trampoline_kernelINS0_13select_configILj256ELj13ELNS0_17block_load_methodE3ELS4_3ELS4_3ELNS0_20block_scan_algorithmE0ELj4294967295EEENS1_25partition_config_selectorILNS1_17partition_subalgoE3EjNS0_10empty_typeEbEEZZNS1_14partition_implILS8_3ELb0ES6_jNS0_17counting_iteratorIjlEEPS9_SE_NS0_5tupleIJPjSE_EEENSF_IJSE_SE_EEES9_SG_JZNS1_25segmented_radix_sort_implINS0_14default_configELb0EPKdPdPKlPlN2at6native12_GLOBAL__N_18offset_tEEE10hipError_tPvRmT1_PNSt15iterator_traitsISY_E10value_typeET2_T3_PNSZ_IS14_E10value_typeET4_jRbjT5_S1A_jjP12ihipStream_tbEUljE_EEESV_SW_SX_S14_S18_S1A_T6_T7_T9_mT8_S1C_bDpT10_ENKUlT_T0_E_clISt17integral_constantIbLb1EES1P_EEDaS1K_S1L_EUlS1K_E_NS1_11comp_targetILNS1_3genE3ELNS1_11target_archE908ELNS1_3gpuE7ELNS1_3repE0EEENS1_30default_config_static_selectorELNS0_4arch9wavefront6targetE0EEEvSY_ ; -- Begin function _ZN7rocprim17ROCPRIM_400000_NS6detail17trampoline_kernelINS0_13select_configILj256ELj13ELNS0_17block_load_methodE3ELS4_3ELS4_3ELNS0_20block_scan_algorithmE0ELj4294967295EEENS1_25partition_config_selectorILNS1_17partition_subalgoE3EjNS0_10empty_typeEbEEZZNS1_14partition_implILS8_3ELb0ES6_jNS0_17counting_iteratorIjlEEPS9_SE_NS0_5tupleIJPjSE_EEENSF_IJSE_SE_EEES9_SG_JZNS1_25segmented_radix_sort_implINS0_14default_configELb0EPKdPdPKlPlN2at6native12_GLOBAL__N_18offset_tEEE10hipError_tPvRmT1_PNSt15iterator_traitsISY_E10value_typeET2_T3_PNSZ_IS14_E10value_typeET4_jRbjT5_S1A_jjP12ihipStream_tbEUljE_EEESV_SW_SX_S14_S18_S1A_T6_T7_T9_mT8_S1C_bDpT10_ENKUlT_T0_E_clISt17integral_constantIbLb1EES1P_EEDaS1K_S1L_EUlS1K_E_NS1_11comp_targetILNS1_3genE3ELNS1_11target_archE908ELNS1_3gpuE7ELNS1_3repE0EEENS1_30default_config_static_selectorELNS0_4arch9wavefront6targetE0EEEvSY_
	.p2align	8
	.type	_ZN7rocprim17ROCPRIM_400000_NS6detail17trampoline_kernelINS0_13select_configILj256ELj13ELNS0_17block_load_methodE3ELS4_3ELS4_3ELNS0_20block_scan_algorithmE0ELj4294967295EEENS1_25partition_config_selectorILNS1_17partition_subalgoE3EjNS0_10empty_typeEbEEZZNS1_14partition_implILS8_3ELb0ES6_jNS0_17counting_iteratorIjlEEPS9_SE_NS0_5tupleIJPjSE_EEENSF_IJSE_SE_EEES9_SG_JZNS1_25segmented_radix_sort_implINS0_14default_configELb0EPKdPdPKlPlN2at6native12_GLOBAL__N_18offset_tEEE10hipError_tPvRmT1_PNSt15iterator_traitsISY_E10value_typeET2_T3_PNSZ_IS14_E10value_typeET4_jRbjT5_S1A_jjP12ihipStream_tbEUljE_EEESV_SW_SX_S14_S18_S1A_T6_T7_T9_mT8_S1C_bDpT10_ENKUlT_T0_E_clISt17integral_constantIbLb1EES1P_EEDaS1K_S1L_EUlS1K_E_NS1_11comp_targetILNS1_3genE3ELNS1_11target_archE908ELNS1_3gpuE7ELNS1_3repE0EEENS1_30default_config_static_selectorELNS0_4arch9wavefront6targetE0EEEvSY_,@function
_ZN7rocprim17ROCPRIM_400000_NS6detail17trampoline_kernelINS0_13select_configILj256ELj13ELNS0_17block_load_methodE3ELS4_3ELS4_3ELNS0_20block_scan_algorithmE0ELj4294967295EEENS1_25partition_config_selectorILNS1_17partition_subalgoE3EjNS0_10empty_typeEbEEZZNS1_14partition_implILS8_3ELb0ES6_jNS0_17counting_iteratorIjlEEPS9_SE_NS0_5tupleIJPjSE_EEENSF_IJSE_SE_EEES9_SG_JZNS1_25segmented_radix_sort_implINS0_14default_configELb0EPKdPdPKlPlN2at6native12_GLOBAL__N_18offset_tEEE10hipError_tPvRmT1_PNSt15iterator_traitsISY_E10value_typeET2_T3_PNSZ_IS14_E10value_typeET4_jRbjT5_S1A_jjP12ihipStream_tbEUljE_EEESV_SW_SX_S14_S18_S1A_T6_T7_T9_mT8_S1C_bDpT10_ENKUlT_T0_E_clISt17integral_constantIbLb1EES1P_EEDaS1K_S1L_EUlS1K_E_NS1_11comp_targetILNS1_3genE3ELNS1_11target_archE908ELNS1_3gpuE7ELNS1_3repE0EEENS1_30default_config_static_selectorELNS0_4arch9wavefront6targetE0EEEvSY_: ; @_ZN7rocprim17ROCPRIM_400000_NS6detail17trampoline_kernelINS0_13select_configILj256ELj13ELNS0_17block_load_methodE3ELS4_3ELS4_3ELNS0_20block_scan_algorithmE0ELj4294967295EEENS1_25partition_config_selectorILNS1_17partition_subalgoE3EjNS0_10empty_typeEbEEZZNS1_14partition_implILS8_3ELb0ES6_jNS0_17counting_iteratorIjlEEPS9_SE_NS0_5tupleIJPjSE_EEENSF_IJSE_SE_EEES9_SG_JZNS1_25segmented_radix_sort_implINS0_14default_configELb0EPKdPdPKlPlN2at6native12_GLOBAL__N_18offset_tEEE10hipError_tPvRmT1_PNSt15iterator_traitsISY_E10value_typeET2_T3_PNSZ_IS14_E10value_typeET4_jRbjT5_S1A_jjP12ihipStream_tbEUljE_EEESV_SW_SX_S14_S18_S1A_T6_T7_T9_mT8_S1C_bDpT10_ENKUlT_T0_E_clISt17integral_constantIbLb1EES1P_EEDaS1K_S1L_EUlS1K_E_NS1_11comp_targetILNS1_3genE3ELNS1_11target_archE908ELNS1_3gpuE7ELNS1_3repE0EEENS1_30default_config_static_selectorELNS0_4arch9wavefront6targetE0EEEvSY_
; %bb.0:
	.section	.rodata,"a",@progbits
	.p2align	6, 0x0
	.amdhsa_kernel _ZN7rocprim17ROCPRIM_400000_NS6detail17trampoline_kernelINS0_13select_configILj256ELj13ELNS0_17block_load_methodE3ELS4_3ELS4_3ELNS0_20block_scan_algorithmE0ELj4294967295EEENS1_25partition_config_selectorILNS1_17partition_subalgoE3EjNS0_10empty_typeEbEEZZNS1_14partition_implILS8_3ELb0ES6_jNS0_17counting_iteratorIjlEEPS9_SE_NS0_5tupleIJPjSE_EEENSF_IJSE_SE_EEES9_SG_JZNS1_25segmented_radix_sort_implINS0_14default_configELb0EPKdPdPKlPlN2at6native12_GLOBAL__N_18offset_tEEE10hipError_tPvRmT1_PNSt15iterator_traitsISY_E10value_typeET2_T3_PNSZ_IS14_E10value_typeET4_jRbjT5_S1A_jjP12ihipStream_tbEUljE_EEESV_SW_SX_S14_S18_S1A_T6_T7_T9_mT8_S1C_bDpT10_ENKUlT_T0_E_clISt17integral_constantIbLb1EES1P_EEDaS1K_S1L_EUlS1K_E_NS1_11comp_targetILNS1_3genE3ELNS1_11target_archE908ELNS1_3gpuE7ELNS1_3repE0EEENS1_30default_config_static_selectorELNS0_4arch9wavefront6targetE0EEEvSY_
		.amdhsa_group_segment_fixed_size 0
		.amdhsa_private_segment_fixed_size 0
		.amdhsa_kernarg_size 152
		.amdhsa_user_sgpr_count 15
		.amdhsa_user_sgpr_dispatch_ptr 0
		.amdhsa_user_sgpr_queue_ptr 0
		.amdhsa_user_sgpr_kernarg_segment_ptr 1
		.amdhsa_user_sgpr_dispatch_id 0
		.amdhsa_user_sgpr_private_segment_size 0
		.amdhsa_wavefront_size32 1
		.amdhsa_uses_dynamic_stack 0
		.amdhsa_enable_private_segment 0
		.amdhsa_system_sgpr_workgroup_id_x 1
		.amdhsa_system_sgpr_workgroup_id_y 0
		.amdhsa_system_sgpr_workgroup_id_z 0
		.amdhsa_system_sgpr_workgroup_info 0
		.amdhsa_system_vgpr_workitem_id 0
		.amdhsa_next_free_vgpr 1
		.amdhsa_next_free_sgpr 1
		.amdhsa_reserve_vcc 0
		.amdhsa_float_round_mode_32 0
		.amdhsa_float_round_mode_16_64 0
		.amdhsa_float_denorm_mode_32 3
		.amdhsa_float_denorm_mode_16_64 3
		.amdhsa_dx10_clamp 1
		.amdhsa_ieee_mode 1
		.amdhsa_fp16_overflow 0
		.amdhsa_workgroup_processor_mode 1
		.amdhsa_memory_ordered 1
		.amdhsa_forward_progress 0
		.amdhsa_shared_vgpr_count 0
		.amdhsa_exception_fp_ieee_invalid_op 0
		.amdhsa_exception_fp_denorm_src 0
		.amdhsa_exception_fp_ieee_div_zero 0
		.amdhsa_exception_fp_ieee_overflow 0
		.amdhsa_exception_fp_ieee_underflow 0
		.amdhsa_exception_fp_ieee_inexact 0
		.amdhsa_exception_int_div_zero 0
	.end_amdhsa_kernel
	.section	.text._ZN7rocprim17ROCPRIM_400000_NS6detail17trampoline_kernelINS0_13select_configILj256ELj13ELNS0_17block_load_methodE3ELS4_3ELS4_3ELNS0_20block_scan_algorithmE0ELj4294967295EEENS1_25partition_config_selectorILNS1_17partition_subalgoE3EjNS0_10empty_typeEbEEZZNS1_14partition_implILS8_3ELb0ES6_jNS0_17counting_iteratorIjlEEPS9_SE_NS0_5tupleIJPjSE_EEENSF_IJSE_SE_EEES9_SG_JZNS1_25segmented_radix_sort_implINS0_14default_configELb0EPKdPdPKlPlN2at6native12_GLOBAL__N_18offset_tEEE10hipError_tPvRmT1_PNSt15iterator_traitsISY_E10value_typeET2_T3_PNSZ_IS14_E10value_typeET4_jRbjT5_S1A_jjP12ihipStream_tbEUljE_EEESV_SW_SX_S14_S18_S1A_T6_T7_T9_mT8_S1C_bDpT10_ENKUlT_T0_E_clISt17integral_constantIbLb1EES1P_EEDaS1K_S1L_EUlS1K_E_NS1_11comp_targetILNS1_3genE3ELNS1_11target_archE908ELNS1_3gpuE7ELNS1_3repE0EEENS1_30default_config_static_selectorELNS0_4arch9wavefront6targetE0EEEvSY_,"axG",@progbits,_ZN7rocprim17ROCPRIM_400000_NS6detail17trampoline_kernelINS0_13select_configILj256ELj13ELNS0_17block_load_methodE3ELS4_3ELS4_3ELNS0_20block_scan_algorithmE0ELj4294967295EEENS1_25partition_config_selectorILNS1_17partition_subalgoE3EjNS0_10empty_typeEbEEZZNS1_14partition_implILS8_3ELb0ES6_jNS0_17counting_iteratorIjlEEPS9_SE_NS0_5tupleIJPjSE_EEENSF_IJSE_SE_EEES9_SG_JZNS1_25segmented_radix_sort_implINS0_14default_configELb0EPKdPdPKlPlN2at6native12_GLOBAL__N_18offset_tEEE10hipError_tPvRmT1_PNSt15iterator_traitsISY_E10value_typeET2_T3_PNSZ_IS14_E10value_typeET4_jRbjT5_S1A_jjP12ihipStream_tbEUljE_EEESV_SW_SX_S14_S18_S1A_T6_T7_T9_mT8_S1C_bDpT10_ENKUlT_T0_E_clISt17integral_constantIbLb1EES1P_EEDaS1K_S1L_EUlS1K_E_NS1_11comp_targetILNS1_3genE3ELNS1_11target_archE908ELNS1_3gpuE7ELNS1_3repE0EEENS1_30default_config_static_selectorELNS0_4arch9wavefront6targetE0EEEvSY_,comdat
.Lfunc_end1200:
	.size	_ZN7rocprim17ROCPRIM_400000_NS6detail17trampoline_kernelINS0_13select_configILj256ELj13ELNS0_17block_load_methodE3ELS4_3ELS4_3ELNS0_20block_scan_algorithmE0ELj4294967295EEENS1_25partition_config_selectorILNS1_17partition_subalgoE3EjNS0_10empty_typeEbEEZZNS1_14partition_implILS8_3ELb0ES6_jNS0_17counting_iteratorIjlEEPS9_SE_NS0_5tupleIJPjSE_EEENSF_IJSE_SE_EEES9_SG_JZNS1_25segmented_radix_sort_implINS0_14default_configELb0EPKdPdPKlPlN2at6native12_GLOBAL__N_18offset_tEEE10hipError_tPvRmT1_PNSt15iterator_traitsISY_E10value_typeET2_T3_PNSZ_IS14_E10value_typeET4_jRbjT5_S1A_jjP12ihipStream_tbEUljE_EEESV_SW_SX_S14_S18_S1A_T6_T7_T9_mT8_S1C_bDpT10_ENKUlT_T0_E_clISt17integral_constantIbLb1EES1P_EEDaS1K_S1L_EUlS1K_E_NS1_11comp_targetILNS1_3genE3ELNS1_11target_archE908ELNS1_3gpuE7ELNS1_3repE0EEENS1_30default_config_static_selectorELNS0_4arch9wavefront6targetE0EEEvSY_, .Lfunc_end1200-_ZN7rocprim17ROCPRIM_400000_NS6detail17trampoline_kernelINS0_13select_configILj256ELj13ELNS0_17block_load_methodE3ELS4_3ELS4_3ELNS0_20block_scan_algorithmE0ELj4294967295EEENS1_25partition_config_selectorILNS1_17partition_subalgoE3EjNS0_10empty_typeEbEEZZNS1_14partition_implILS8_3ELb0ES6_jNS0_17counting_iteratorIjlEEPS9_SE_NS0_5tupleIJPjSE_EEENSF_IJSE_SE_EEES9_SG_JZNS1_25segmented_radix_sort_implINS0_14default_configELb0EPKdPdPKlPlN2at6native12_GLOBAL__N_18offset_tEEE10hipError_tPvRmT1_PNSt15iterator_traitsISY_E10value_typeET2_T3_PNSZ_IS14_E10value_typeET4_jRbjT5_S1A_jjP12ihipStream_tbEUljE_EEESV_SW_SX_S14_S18_S1A_T6_T7_T9_mT8_S1C_bDpT10_ENKUlT_T0_E_clISt17integral_constantIbLb1EES1P_EEDaS1K_S1L_EUlS1K_E_NS1_11comp_targetILNS1_3genE3ELNS1_11target_archE908ELNS1_3gpuE7ELNS1_3repE0EEENS1_30default_config_static_selectorELNS0_4arch9wavefront6targetE0EEEvSY_
                                        ; -- End function
	.section	.AMDGPU.csdata,"",@progbits
; Kernel info:
; codeLenInByte = 0
; NumSgprs: 0
; NumVgprs: 0
; ScratchSize: 0
; MemoryBound: 0
; FloatMode: 240
; IeeeMode: 1
; LDSByteSize: 0 bytes/workgroup (compile time only)
; SGPRBlocks: 0
; VGPRBlocks: 0
; NumSGPRsForWavesPerEU: 1
; NumVGPRsForWavesPerEU: 1
; Occupancy: 16
; WaveLimiterHint : 0
; COMPUTE_PGM_RSRC2:SCRATCH_EN: 0
; COMPUTE_PGM_RSRC2:USER_SGPR: 15
; COMPUTE_PGM_RSRC2:TRAP_HANDLER: 0
; COMPUTE_PGM_RSRC2:TGID_X_EN: 1
; COMPUTE_PGM_RSRC2:TGID_Y_EN: 0
; COMPUTE_PGM_RSRC2:TGID_Z_EN: 0
; COMPUTE_PGM_RSRC2:TIDIG_COMP_CNT: 0
	.section	.text._ZN7rocprim17ROCPRIM_400000_NS6detail17trampoline_kernelINS0_13select_configILj256ELj13ELNS0_17block_load_methodE3ELS4_3ELS4_3ELNS0_20block_scan_algorithmE0ELj4294967295EEENS1_25partition_config_selectorILNS1_17partition_subalgoE3EjNS0_10empty_typeEbEEZZNS1_14partition_implILS8_3ELb0ES6_jNS0_17counting_iteratorIjlEEPS9_SE_NS0_5tupleIJPjSE_EEENSF_IJSE_SE_EEES9_SG_JZNS1_25segmented_radix_sort_implINS0_14default_configELb0EPKdPdPKlPlN2at6native12_GLOBAL__N_18offset_tEEE10hipError_tPvRmT1_PNSt15iterator_traitsISY_E10value_typeET2_T3_PNSZ_IS14_E10value_typeET4_jRbjT5_S1A_jjP12ihipStream_tbEUljE_EEESV_SW_SX_S14_S18_S1A_T6_T7_T9_mT8_S1C_bDpT10_ENKUlT_T0_E_clISt17integral_constantIbLb1EES1P_EEDaS1K_S1L_EUlS1K_E_NS1_11comp_targetILNS1_3genE2ELNS1_11target_archE906ELNS1_3gpuE6ELNS1_3repE0EEENS1_30default_config_static_selectorELNS0_4arch9wavefront6targetE0EEEvSY_,"axG",@progbits,_ZN7rocprim17ROCPRIM_400000_NS6detail17trampoline_kernelINS0_13select_configILj256ELj13ELNS0_17block_load_methodE3ELS4_3ELS4_3ELNS0_20block_scan_algorithmE0ELj4294967295EEENS1_25partition_config_selectorILNS1_17partition_subalgoE3EjNS0_10empty_typeEbEEZZNS1_14partition_implILS8_3ELb0ES6_jNS0_17counting_iteratorIjlEEPS9_SE_NS0_5tupleIJPjSE_EEENSF_IJSE_SE_EEES9_SG_JZNS1_25segmented_radix_sort_implINS0_14default_configELb0EPKdPdPKlPlN2at6native12_GLOBAL__N_18offset_tEEE10hipError_tPvRmT1_PNSt15iterator_traitsISY_E10value_typeET2_T3_PNSZ_IS14_E10value_typeET4_jRbjT5_S1A_jjP12ihipStream_tbEUljE_EEESV_SW_SX_S14_S18_S1A_T6_T7_T9_mT8_S1C_bDpT10_ENKUlT_T0_E_clISt17integral_constantIbLb1EES1P_EEDaS1K_S1L_EUlS1K_E_NS1_11comp_targetILNS1_3genE2ELNS1_11target_archE906ELNS1_3gpuE6ELNS1_3repE0EEENS1_30default_config_static_selectorELNS0_4arch9wavefront6targetE0EEEvSY_,comdat
	.globl	_ZN7rocprim17ROCPRIM_400000_NS6detail17trampoline_kernelINS0_13select_configILj256ELj13ELNS0_17block_load_methodE3ELS4_3ELS4_3ELNS0_20block_scan_algorithmE0ELj4294967295EEENS1_25partition_config_selectorILNS1_17partition_subalgoE3EjNS0_10empty_typeEbEEZZNS1_14partition_implILS8_3ELb0ES6_jNS0_17counting_iteratorIjlEEPS9_SE_NS0_5tupleIJPjSE_EEENSF_IJSE_SE_EEES9_SG_JZNS1_25segmented_radix_sort_implINS0_14default_configELb0EPKdPdPKlPlN2at6native12_GLOBAL__N_18offset_tEEE10hipError_tPvRmT1_PNSt15iterator_traitsISY_E10value_typeET2_T3_PNSZ_IS14_E10value_typeET4_jRbjT5_S1A_jjP12ihipStream_tbEUljE_EEESV_SW_SX_S14_S18_S1A_T6_T7_T9_mT8_S1C_bDpT10_ENKUlT_T0_E_clISt17integral_constantIbLb1EES1P_EEDaS1K_S1L_EUlS1K_E_NS1_11comp_targetILNS1_3genE2ELNS1_11target_archE906ELNS1_3gpuE6ELNS1_3repE0EEENS1_30default_config_static_selectorELNS0_4arch9wavefront6targetE0EEEvSY_ ; -- Begin function _ZN7rocprim17ROCPRIM_400000_NS6detail17trampoline_kernelINS0_13select_configILj256ELj13ELNS0_17block_load_methodE3ELS4_3ELS4_3ELNS0_20block_scan_algorithmE0ELj4294967295EEENS1_25partition_config_selectorILNS1_17partition_subalgoE3EjNS0_10empty_typeEbEEZZNS1_14partition_implILS8_3ELb0ES6_jNS0_17counting_iteratorIjlEEPS9_SE_NS0_5tupleIJPjSE_EEENSF_IJSE_SE_EEES9_SG_JZNS1_25segmented_radix_sort_implINS0_14default_configELb0EPKdPdPKlPlN2at6native12_GLOBAL__N_18offset_tEEE10hipError_tPvRmT1_PNSt15iterator_traitsISY_E10value_typeET2_T3_PNSZ_IS14_E10value_typeET4_jRbjT5_S1A_jjP12ihipStream_tbEUljE_EEESV_SW_SX_S14_S18_S1A_T6_T7_T9_mT8_S1C_bDpT10_ENKUlT_T0_E_clISt17integral_constantIbLb1EES1P_EEDaS1K_S1L_EUlS1K_E_NS1_11comp_targetILNS1_3genE2ELNS1_11target_archE906ELNS1_3gpuE6ELNS1_3repE0EEENS1_30default_config_static_selectorELNS0_4arch9wavefront6targetE0EEEvSY_
	.p2align	8
	.type	_ZN7rocprim17ROCPRIM_400000_NS6detail17trampoline_kernelINS0_13select_configILj256ELj13ELNS0_17block_load_methodE3ELS4_3ELS4_3ELNS0_20block_scan_algorithmE0ELj4294967295EEENS1_25partition_config_selectorILNS1_17partition_subalgoE3EjNS0_10empty_typeEbEEZZNS1_14partition_implILS8_3ELb0ES6_jNS0_17counting_iteratorIjlEEPS9_SE_NS0_5tupleIJPjSE_EEENSF_IJSE_SE_EEES9_SG_JZNS1_25segmented_radix_sort_implINS0_14default_configELb0EPKdPdPKlPlN2at6native12_GLOBAL__N_18offset_tEEE10hipError_tPvRmT1_PNSt15iterator_traitsISY_E10value_typeET2_T3_PNSZ_IS14_E10value_typeET4_jRbjT5_S1A_jjP12ihipStream_tbEUljE_EEESV_SW_SX_S14_S18_S1A_T6_T7_T9_mT8_S1C_bDpT10_ENKUlT_T0_E_clISt17integral_constantIbLb1EES1P_EEDaS1K_S1L_EUlS1K_E_NS1_11comp_targetILNS1_3genE2ELNS1_11target_archE906ELNS1_3gpuE6ELNS1_3repE0EEENS1_30default_config_static_selectorELNS0_4arch9wavefront6targetE0EEEvSY_,@function
_ZN7rocprim17ROCPRIM_400000_NS6detail17trampoline_kernelINS0_13select_configILj256ELj13ELNS0_17block_load_methodE3ELS4_3ELS4_3ELNS0_20block_scan_algorithmE0ELj4294967295EEENS1_25partition_config_selectorILNS1_17partition_subalgoE3EjNS0_10empty_typeEbEEZZNS1_14partition_implILS8_3ELb0ES6_jNS0_17counting_iteratorIjlEEPS9_SE_NS0_5tupleIJPjSE_EEENSF_IJSE_SE_EEES9_SG_JZNS1_25segmented_radix_sort_implINS0_14default_configELb0EPKdPdPKlPlN2at6native12_GLOBAL__N_18offset_tEEE10hipError_tPvRmT1_PNSt15iterator_traitsISY_E10value_typeET2_T3_PNSZ_IS14_E10value_typeET4_jRbjT5_S1A_jjP12ihipStream_tbEUljE_EEESV_SW_SX_S14_S18_S1A_T6_T7_T9_mT8_S1C_bDpT10_ENKUlT_T0_E_clISt17integral_constantIbLb1EES1P_EEDaS1K_S1L_EUlS1K_E_NS1_11comp_targetILNS1_3genE2ELNS1_11target_archE906ELNS1_3gpuE6ELNS1_3repE0EEENS1_30default_config_static_selectorELNS0_4arch9wavefront6targetE0EEEvSY_: ; @_ZN7rocprim17ROCPRIM_400000_NS6detail17trampoline_kernelINS0_13select_configILj256ELj13ELNS0_17block_load_methodE3ELS4_3ELS4_3ELNS0_20block_scan_algorithmE0ELj4294967295EEENS1_25partition_config_selectorILNS1_17partition_subalgoE3EjNS0_10empty_typeEbEEZZNS1_14partition_implILS8_3ELb0ES6_jNS0_17counting_iteratorIjlEEPS9_SE_NS0_5tupleIJPjSE_EEENSF_IJSE_SE_EEES9_SG_JZNS1_25segmented_radix_sort_implINS0_14default_configELb0EPKdPdPKlPlN2at6native12_GLOBAL__N_18offset_tEEE10hipError_tPvRmT1_PNSt15iterator_traitsISY_E10value_typeET2_T3_PNSZ_IS14_E10value_typeET4_jRbjT5_S1A_jjP12ihipStream_tbEUljE_EEESV_SW_SX_S14_S18_S1A_T6_T7_T9_mT8_S1C_bDpT10_ENKUlT_T0_E_clISt17integral_constantIbLb1EES1P_EEDaS1K_S1L_EUlS1K_E_NS1_11comp_targetILNS1_3genE2ELNS1_11target_archE906ELNS1_3gpuE6ELNS1_3repE0EEENS1_30default_config_static_selectorELNS0_4arch9wavefront6targetE0EEEvSY_
; %bb.0:
	.section	.rodata,"a",@progbits
	.p2align	6, 0x0
	.amdhsa_kernel _ZN7rocprim17ROCPRIM_400000_NS6detail17trampoline_kernelINS0_13select_configILj256ELj13ELNS0_17block_load_methodE3ELS4_3ELS4_3ELNS0_20block_scan_algorithmE0ELj4294967295EEENS1_25partition_config_selectorILNS1_17partition_subalgoE3EjNS0_10empty_typeEbEEZZNS1_14partition_implILS8_3ELb0ES6_jNS0_17counting_iteratorIjlEEPS9_SE_NS0_5tupleIJPjSE_EEENSF_IJSE_SE_EEES9_SG_JZNS1_25segmented_radix_sort_implINS0_14default_configELb0EPKdPdPKlPlN2at6native12_GLOBAL__N_18offset_tEEE10hipError_tPvRmT1_PNSt15iterator_traitsISY_E10value_typeET2_T3_PNSZ_IS14_E10value_typeET4_jRbjT5_S1A_jjP12ihipStream_tbEUljE_EEESV_SW_SX_S14_S18_S1A_T6_T7_T9_mT8_S1C_bDpT10_ENKUlT_T0_E_clISt17integral_constantIbLb1EES1P_EEDaS1K_S1L_EUlS1K_E_NS1_11comp_targetILNS1_3genE2ELNS1_11target_archE906ELNS1_3gpuE6ELNS1_3repE0EEENS1_30default_config_static_selectorELNS0_4arch9wavefront6targetE0EEEvSY_
		.amdhsa_group_segment_fixed_size 0
		.amdhsa_private_segment_fixed_size 0
		.amdhsa_kernarg_size 152
		.amdhsa_user_sgpr_count 15
		.amdhsa_user_sgpr_dispatch_ptr 0
		.amdhsa_user_sgpr_queue_ptr 0
		.amdhsa_user_sgpr_kernarg_segment_ptr 1
		.amdhsa_user_sgpr_dispatch_id 0
		.amdhsa_user_sgpr_private_segment_size 0
		.amdhsa_wavefront_size32 1
		.amdhsa_uses_dynamic_stack 0
		.amdhsa_enable_private_segment 0
		.amdhsa_system_sgpr_workgroup_id_x 1
		.amdhsa_system_sgpr_workgroup_id_y 0
		.amdhsa_system_sgpr_workgroup_id_z 0
		.amdhsa_system_sgpr_workgroup_info 0
		.amdhsa_system_vgpr_workitem_id 0
		.amdhsa_next_free_vgpr 1
		.amdhsa_next_free_sgpr 1
		.amdhsa_reserve_vcc 0
		.amdhsa_float_round_mode_32 0
		.amdhsa_float_round_mode_16_64 0
		.amdhsa_float_denorm_mode_32 3
		.amdhsa_float_denorm_mode_16_64 3
		.amdhsa_dx10_clamp 1
		.amdhsa_ieee_mode 1
		.amdhsa_fp16_overflow 0
		.amdhsa_workgroup_processor_mode 1
		.amdhsa_memory_ordered 1
		.amdhsa_forward_progress 0
		.amdhsa_shared_vgpr_count 0
		.amdhsa_exception_fp_ieee_invalid_op 0
		.amdhsa_exception_fp_denorm_src 0
		.amdhsa_exception_fp_ieee_div_zero 0
		.amdhsa_exception_fp_ieee_overflow 0
		.amdhsa_exception_fp_ieee_underflow 0
		.amdhsa_exception_fp_ieee_inexact 0
		.amdhsa_exception_int_div_zero 0
	.end_amdhsa_kernel
	.section	.text._ZN7rocprim17ROCPRIM_400000_NS6detail17trampoline_kernelINS0_13select_configILj256ELj13ELNS0_17block_load_methodE3ELS4_3ELS4_3ELNS0_20block_scan_algorithmE0ELj4294967295EEENS1_25partition_config_selectorILNS1_17partition_subalgoE3EjNS0_10empty_typeEbEEZZNS1_14partition_implILS8_3ELb0ES6_jNS0_17counting_iteratorIjlEEPS9_SE_NS0_5tupleIJPjSE_EEENSF_IJSE_SE_EEES9_SG_JZNS1_25segmented_radix_sort_implINS0_14default_configELb0EPKdPdPKlPlN2at6native12_GLOBAL__N_18offset_tEEE10hipError_tPvRmT1_PNSt15iterator_traitsISY_E10value_typeET2_T3_PNSZ_IS14_E10value_typeET4_jRbjT5_S1A_jjP12ihipStream_tbEUljE_EEESV_SW_SX_S14_S18_S1A_T6_T7_T9_mT8_S1C_bDpT10_ENKUlT_T0_E_clISt17integral_constantIbLb1EES1P_EEDaS1K_S1L_EUlS1K_E_NS1_11comp_targetILNS1_3genE2ELNS1_11target_archE906ELNS1_3gpuE6ELNS1_3repE0EEENS1_30default_config_static_selectorELNS0_4arch9wavefront6targetE0EEEvSY_,"axG",@progbits,_ZN7rocprim17ROCPRIM_400000_NS6detail17trampoline_kernelINS0_13select_configILj256ELj13ELNS0_17block_load_methodE3ELS4_3ELS4_3ELNS0_20block_scan_algorithmE0ELj4294967295EEENS1_25partition_config_selectorILNS1_17partition_subalgoE3EjNS0_10empty_typeEbEEZZNS1_14partition_implILS8_3ELb0ES6_jNS0_17counting_iteratorIjlEEPS9_SE_NS0_5tupleIJPjSE_EEENSF_IJSE_SE_EEES9_SG_JZNS1_25segmented_radix_sort_implINS0_14default_configELb0EPKdPdPKlPlN2at6native12_GLOBAL__N_18offset_tEEE10hipError_tPvRmT1_PNSt15iterator_traitsISY_E10value_typeET2_T3_PNSZ_IS14_E10value_typeET4_jRbjT5_S1A_jjP12ihipStream_tbEUljE_EEESV_SW_SX_S14_S18_S1A_T6_T7_T9_mT8_S1C_bDpT10_ENKUlT_T0_E_clISt17integral_constantIbLb1EES1P_EEDaS1K_S1L_EUlS1K_E_NS1_11comp_targetILNS1_3genE2ELNS1_11target_archE906ELNS1_3gpuE6ELNS1_3repE0EEENS1_30default_config_static_selectorELNS0_4arch9wavefront6targetE0EEEvSY_,comdat
.Lfunc_end1201:
	.size	_ZN7rocprim17ROCPRIM_400000_NS6detail17trampoline_kernelINS0_13select_configILj256ELj13ELNS0_17block_load_methodE3ELS4_3ELS4_3ELNS0_20block_scan_algorithmE0ELj4294967295EEENS1_25partition_config_selectorILNS1_17partition_subalgoE3EjNS0_10empty_typeEbEEZZNS1_14partition_implILS8_3ELb0ES6_jNS0_17counting_iteratorIjlEEPS9_SE_NS0_5tupleIJPjSE_EEENSF_IJSE_SE_EEES9_SG_JZNS1_25segmented_radix_sort_implINS0_14default_configELb0EPKdPdPKlPlN2at6native12_GLOBAL__N_18offset_tEEE10hipError_tPvRmT1_PNSt15iterator_traitsISY_E10value_typeET2_T3_PNSZ_IS14_E10value_typeET4_jRbjT5_S1A_jjP12ihipStream_tbEUljE_EEESV_SW_SX_S14_S18_S1A_T6_T7_T9_mT8_S1C_bDpT10_ENKUlT_T0_E_clISt17integral_constantIbLb1EES1P_EEDaS1K_S1L_EUlS1K_E_NS1_11comp_targetILNS1_3genE2ELNS1_11target_archE906ELNS1_3gpuE6ELNS1_3repE0EEENS1_30default_config_static_selectorELNS0_4arch9wavefront6targetE0EEEvSY_, .Lfunc_end1201-_ZN7rocprim17ROCPRIM_400000_NS6detail17trampoline_kernelINS0_13select_configILj256ELj13ELNS0_17block_load_methodE3ELS4_3ELS4_3ELNS0_20block_scan_algorithmE0ELj4294967295EEENS1_25partition_config_selectorILNS1_17partition_subalgoE3EjNS0_10empty_typeEbEEZZNS1_14partition_implILS8_3ELb0ES6_jNS0_17counting_iteratorIjlEEPS9_SE_NS0_5tupleIJPjSE_EEENSF_IJSE_SE_EEES9_SG_JZNS1_25segmented_radix_sort_implINS0_14default_configELb0EPKdPdPKlPlN2at6native12_GLOBAL__N_18offset_tEEE10hipError_tPvRmT1_PNSt15iterator_traitsISY_E10value_typeET2_T3_PNSZ_IS14_E10value_typeET4_jRbjT5_S1A_jjP12ihipStream_tbEUljE_EEESV_SW_SX_S14_S18_S1A_T6_T7_T9_mT8_S1C_bDpT10_ENKUlT_T0_E_clISt17integral_constantIbLb1EES1P_EEDaS1K_S1L_EUlS1K_E_NS1_11comp_targetILNS1_3genE2ELNS1_11target_archE906ELNS1_3gpuE6ELNS1_3repE0EEENS1_30default_config_static_selectorELNS0_4arch9wavefront6targetE0EEEvSY_
                                        ; -- End function
	.section	.AMDGPU.csdata,"",@progbits
; Kernel info:
; codeLenInByte = 0
; NumSgprs: 0
; NumVgprs: 0
; ScratchSize: 0
; MemoryBound: 0
; FloatMode: 240
; IeeeMode: 1
; LDSByteSize: 0 bytes/workgroup (compile time only)
; SGPRBlocks: 0
; VGPRBlocks: 0
; NumSGPRsForWavesPerEU: 1
; NumVGPRsForWavesPerEU: 1
; Occupancy: 16
; WaveLimiterHint : 0
; COMPUTE_PGM_RSRC2:SCRATCH_EN: 0
; COMPUTE_PGM_RSRC2:USER_SGPR: 15
; COMPUTE_PGM_RSRC2:TRAP_HANDLER: 0
; COMPUTE_PGM_RSRC2:TGID_X_EN: 1
; COMPUTE_PGM_RSRC2:TGID_Y_EN: 0
; COMPUTE_PGM_RSRC2:TGID_Z_EN: 0
; COMPUTE_PGM_RSRC2:TIDIG_COMP_CNT: 0
	.section	.text._ZN7rocprim17ROCPRIM_400000_NS6detail17trampoline_kernelINS0_13select_configILj256ELj13ELNS0_17block_load_methodE3ELS4_3ELS4_3ELNS0_20block_scan_algorithmE0ELj4294967295EEENS1_25partition_config_selectorILNS1_17partition_subalgoE3EjNS0_10empty_typeEbEEZZNS1_14partition_implILS8_3ELb0ES6_jNS0_17counting_iteratorIjlEEPS9_SE_NS0_5tupleIJPjSE_EEENSF_IJSE_SE_EEES9_SG_JZNS1_25segmented_radix_sort_implINS0_14default_configELb0EPKdPdPKlPlN2at6native12_GLOBAL__N_18offset_tEEE10hipError_tPvRmT1_PNSt15iterator_traitsISY_E10value_typeET2_T3_PNSZ_IS14_E10value_typeET4_jRbjT5_S1A_jjP12ihipStream_tbEUljE_EEESV_SW_SX_S14_S18_S1A_T6_T7_T9_mT8_S1C_bDpT10_ENKUlT_T0_E_clISt17integral_constantIbLb1EES1P_EEDaS1K_S1L_EUlS1K_E_NS1_11comp_targetILNS1_3genE10ELNS1_11target_archE1200ELNS1_3gpuE4ELNS1_3repE0EEENS1_30default_config_static_selectorELNS0_4arch9wavefront6targetE0EEEvSY_,"axG",@progbits,_ZN7rocprim17ROCPRIM_400000_NS6detail17trampoline_kernelINS0_13select_configILj256ELj13ELNS0_17block_load_methodE3ELS4_3ELS4_3ELNS0_20block_scan_algorithmE0ELj4294967295EEENS1_25partition_config_selectorILNS1_17partition_subalgoE3EjNS0_10empty_typeEbEEZZNS1_14partition_implILS8_3ELb0ES6_jNS0_17counting_iteratorIjlEEPS9_SE_NS0_5tupleIJPjSE_EEENSF_IJSE_SE_EEES9_SG_JZNS1_25segmented_radix_sort_implINS0_14default_configELb0EPKdPdPKlPlN2at6native12_GLOBAL__N_18offset_tEEE10hipError_tPvRmT1_PNSt15iterator_traitsISY_E10value_typeET2_T3_PNSZ_IS14_E10value_typeET4_jRbjT5_S1A_jjP12ihipStream_tbEUljE_EEESV_SW_SX_S14_S18_S1A_T6_T7_T9_mT8_S1C_bDpT10_ENKUlT_T0_E_clISt17integral_constantIbLb1EES1P_EEDaS1K_S1L_EUlS1K_E_NS1_11comp_targetILNS1_3genE10ELNS1_11target_archE1200ELNS1_3gpuE4ELNS1_3repE0EEENS1_30default_config_static_selectorELNS0_4arch9wavefront6targetE0EEEvSY_,comdat
	.globl	_ZN7rocprim17ROCPRIM_400000_NS6detail17trampoline_kernelINS0_13select_configILj256ELj13ELNS0_17block_load_methodE3ELS4_3ELS4_3ELNS0_20block_scan_algorithmE0ELj4294967295EEENS1_25partition_config_selectorILNS1_17partition_subalgoE3EjNS0_10empty_typeEbEEZZNS1_14partition_implILS8_3ELb0ES6_jNS0_17counting_iteratorIjlEEPS9_SE_NS0_5tupleIJPjSE_EEENSF_IJSE_SE_EEES9_SG_JZNS1_25segmented_radix_sort_implINS0_14default_configELb0EPKdPdPKlPlN2at6native12_GLOBAL__N_18offset_tEEE10hipError_tPvRmT1_PNSt15iterator_traitsISY_E10value_typeET2_T3_PNSZ_IS14_E10value_typeET4_jRbjT5_S1A_jjP12ihipStream_tbEUljE_EEESV_SW_SX_S14_S18_S1A_T6_T7_T9_mT8_S1C_bDpT10_ENKUlT_T0_E_clISt17integral_constantIbLb1EES1P_EEDaS1K_S1L_EUlS1K_E_NS1_11comp_targetILNS1_3genE10ELNS1_11target_archE1200ELNS1_3gpuE4ELNS1_3repE0EEENS1_30default_config_static_selectorELNS0_4arch9wavefront6targetE0EEEvSY_ ; -- Begin function _ZN7rocprim17ROCPRIM_400000_NS6detail17trampoline_kernelINS0_13select_configILj256ELj13ELNS0_17block_load_methodE3ELS4_3ELS4_3ELNS0_20block_scan_algorithmE0ELj4294967295EEENS1_25partition_config_selectorILNS1_17partition_subalgoE3EjNS0_10empty_typeEbEEZZNS1_14partition_implILS8_3ELb0ES6_jNS0_17counting_iteratorIjlEEPS9_SE_NS0_5tupleIJPjSE_EEENSF_IJSE_SE_EEES9_SG_JZNS1_25segmented_radix_sort_implINS0_14default_configELb0EPKdPdPKlPlN2at6native12_GLOBAL__N_18offset_tEEE10hipError_tPvRmT1_PNSt15iterator_traitsISY_E10value_typeET2_T3_PNSZ_IS14_E10value_typeET4_jRbjT5_S1A_jjP12ihipStream_tbEUljE_EEESV_SW_SX_S14_S18_S1A_T6_T7_T9_mT8_S1C_bDpT10_ENKUlT_T0_E_clISt17integral_constantIbLb1EES1P_EEDaS1K_S1L_EUlS1K_E_NS1_11comp_targetILNS1_3genE10ELNS1_11target_archE1200ELNS1_3gpuE4ELNS1_3repE0EEENS1_30default_config_static_selectorELNS0_4arch9wavefront6targetE0EEEvSY_
	.p2align	8
	.type	_ZN7rocprim17ROCPRIM_400000_NS6detail17trampoline_kernelINS0_13select_configILj256ELj13ELNS0_17block_load_methodE3ELS4_3ELS4_3ELNS0_20block_scan_algorithmE0ELj4294967295EEENS1_25partition_config_selectorILNS1_17partition_subalgoE3EjNS0_10empty_typeEbEEZZNS1_14partition_implILS8_3ELb0ES6_jNS0_17counting_iteratorIjlEEPS9_SE_NS0_5tupleIJPjSE_EEENSF_IJSE_SE_EEES9_SG_JZNS1_25segmented_radix_sort_implINS0_14default_configELb0EPKdPdPKlPlN2at6native12_GLOBAL__N_18offset_tEEE10hipError_tPvRmT1_PNSt15iterator_traitsISY_E10value_typeET2_T3_PNSZ_IS14_E10value_typeET4_jRbjT5_S1A_jjP12ihipStream_tbEUljE_EEESV_SW_SX_S14_S18_S1A_T6_T7_T9_mT8_S1C_bDpT10_ENKUlT_T0_E_clISt17integral_constantIbLb1EES1P_EEDaS1K_S1L_EUlS1K_E_NS1_11comp_targetILNS1_3genE10ELNS1_11target_archE1200ELNS1_3gpuE4ELNS1_3repE0EEENS1_30default_config_static_selectorELNS0_4arch9wavefront6targetE0EEEvSY_,@function
_ZN7rocprim17ROCPRIM_400000_NS6detail17trampoline_kernelINS0_13select_configILj256ELj13ELNS0_17block_load_methodE3ELS4_3ELS4_3ELNS0_20block_scan_algorithmE0ELj4294967295EEENS1_25partition_config_selectorILNS1_17partition_subalgoE3EjNS0_10empty_typeEbEEZZNS1_14partition_implILS8_3ELb0ES6_jNS0_17counting_iteratorIjlEEPS9_SE_NS0_5tupleIJPjSE_EEENSF_IJSE_SE_EEES9_SG_JZNS1_25segmented_radix_sort_implINS0_14default_configELb0EPKdPdPKlPlN2at6native12_GLOBAL__N_18offset_tEEE10hipError_tPvRmT1_PNSt15iterator_traitsISY_E10value_typeET2_T3_PNSZ_IS14_E10value_typeET4_jRbjT5_S1A_jjP12ihipStream_tbEUljE_EEESV_SW_SX_S14_S18_S1A_T6_T7_T9_mT8_S1C_bDpT10_ENKUlT_T0_E_clISt17integral_constantIbLb1EES1P_EEDaS1K_S1L_EUlS1K_E_NS1_11comp_targetILNS1_3genE10ELNS1_11target_archE1200ELNS1_3gpuE4ELNS1_3repE0EEENS1_30default_config_static_selectorELNS0_4arch9wavefront6targetE0EEEvSY_: ; @_ZN7rocprim17ROCPRIM_400000_NS6detail17trampoline_kernelINS0_13select_configILj256ELj13ELNS0_17block_load_methodE3ELS4_3ELS4_3ELNS0_20block_scan_algorithmE0ELj4294967295EEENS1_25partition_config_selectorILNS1_17partition_subalgoE3EjNS0_10empty_typeEbEEZZNS1_14partition_implILS8_3ELb0ES6_jNS0_17counting_iteratorIjlEEPS9_SE_NS0_5tupleIJPjSE_EEENSF_IJSE_SE_EEES9_SG_JZNS1_25segmented_radix_sort_implINS0_14default_configELb0EPKdPdPKlPlN2at6native12_GLOBAL__N_18offset_tEEE10hipError_tPvRmT1_PNSt15iterator_traitsISY_E10value_typeET2_T3_PNSZ_IS14_E10value_typeET4_jRbjT5_S1A_jjP12ihipStream_tbEUljE_EEESV_SW_SX_S14_S18_S1A_T6_T7_T9_mT8_S1C_bDpT10_ENKUlT_T0_E_clISt17integral_constantIbLb1EES1P_EEDaS1K_S1L_EUlS1K_E_NS1_11comp_targetILNS1_3genE10ELNS1_11target_archE1200ELNS1_3gpuE4ELNS1_3repE0EEENS1_30default_config_static_selectorELNS0_4arch9wavefront6targetE0EEEvSY_
; %bb.0:
	.section	.rodata,"a",@progbits
	.p2align	6, 0x0
	.amdhsa_kernel _ZN7rocprim17ROCPRIM_400000_NS6detail17trampoline_kernelINS0_13select_configILj256ELj13ELNS0_17block_load_methodE3ELS4_3ELS4_3ELNS0_20block_scan_algorithmE0ELj4294967295EEENS1_25partition_config_selectorILNS1_17partition_subalgoE3EjNS0_10empty_typeEbEEZZNS1_14partition_implILS8_3ELb0ES6_jNS0_17counting_iteratorIjlEEPS9_SE_NS0_5tupleIJPjSE_EEENSF_IJSE_SE_EEES9_SG_JZNS1_25segmented_radix_sort_implINS0_14default_configELb0EPKdPdPKlPlN2at6native12_GLOBAL__N_18offset_tEEE10hipError_tPvRmT1_PNSt15iterator_traitsISY_E10value_typeET2_T3_PNSZ_IS14_E10value_typeET4_jRbjT5_S1A_jjP12ihipStream_tbEUljE_EEESV_SW_SX_S14_S18_S1A_T6_T7_T9_mT8_S1C_bDpT10_ENKUlT_T0_E_clISt17integral_constantIbLb1EES1P_EEDaS1K_S1L_EUlS1K_E_NS1_11comp_targetILNS1_3genE10ELNS1_11target_archE1200ELNS1_3gpuE4ELNS1_3repE0EEENS1_30default_config_static_selectorELNS0_4arch9wavefront6targetE0EEEvSY_
		.amdhsa_group_segment_fixed_size 0
		.amdhsa_private_segment_fixed_size 0
		.amdhsa_kernarg_size 152
		.amdhsa_user_sgpr_count 15
		.amdhsa_user_sgpr_dispatch_ptr 0
		.amdhsa_user_sgpr_queue_ptr 0
		.amdhsa_user_sgpr_kernarg_segment_ptr 1
		.amdhsa_user_sgpr_dispatch_id 0
		.amdhsa_user_sgpr_private_segment_size 0
		.amdhsa_wavefront_size32 1
		.amdhsa_uses_dynamic_stack 0
		.amdhsa_enable_private_segment 0
		.amdhsa_system_sgpr_workgroup_id_x 1
		.amdhsa_system_sgpr_workgroup_id_y 0
		.amdhsa_system_sgpr_workgroup_id_z 0
		.amdhsa_system_sgpr_workgroup_info 0
		.amdhsa_system_vgpr_workitem_id 0
		.amdhsa_next_free_vgpr 1
		.amdhsa_next_free_sgpr 1
		.amdhsa_reserve_vcc 0
		.amdhsa_float_round_mode_32 0
		.amdhsa_float_round_mode_16_64 0
		.amdhsa_float_denorm_mode_32 3
		.amdhsa_float_denorm_mode_16_64 3
		.amdhsa_dx10_clamp 1
		.amdhsa_ieee_mode 1
		.amdhsa_fp16_overflow 0
		.amdhsa_workgroup_processor_mode 1
		.amdhsa_memory_ordered 1
		.amdhsa_forward_progress 0
		.amdhsa_shared_vgpr_count 0
		.amdhsa_exception_fp_ieee_invalid_op 0
		.amdhsa_exception_fp_denorm_src 0
		.amdhsa_exception_fp_ieee_div_zero 0
		.amdhsa_exception_fp_ieee_overflow 0
		.amdhsa_exception_fp_ieee_underflow 0
		.amdhsa_exception_fp_ieee_inexact 0
		.amdhsa_exception_int_div_zero 0
	.end_amdhsa_kernel
	.section	.text._ZN7rocprim17ROCPRIM_400000_NS6detail17trampoline_kernelINS0_13select_configILj256ELj13ELNS0_17block_load_methodE3ELS4_3ELS4_3ELNS0_20block_scan_algorithmE0ELj4294967295EEENS1_25partition_config_selectorILNS1_17partition_subalgoE3EjNS0_10empty_typeEbEEZZNS1_14partition_implILS8_3ELb0ES6_jNS0_17counting_iteratorIjlEEPS9_SE_NS0_5tupleIJPjSE_EEENSF_IJSE_SE_EEES9_SG_JZNS1_25segmented_radix_sort_implINS0_14default_configELb0EPKdPdPKlPlN2at6native12_GLOBAL__N_18offset_tEEE10hipError_tPvRmT1_PNSt15iterator_traitsISY_E10value_typeET2_T3_PNSZ_IS14_E10value_typeET4_jRbjT5_S1A_jjP12ihipStream_tbEUljE_EEESV_SW_SX_S14_S18_S1A_T6_T7_T9_mT8_S1C_bDpT10_ENKUlT_T0_E_clISt17integral_constantIbLb1EES1P_EEDaS1K_S1L_EUlS1K_E_NS1_11comp_targetILNS1_3genE10ELNS1_11target_archE1200ELNS1_3gpuE4ELNS1_3repE0EEENS1_30default_config_static_selectorELNS0_4arch9wavefront6targetE0EEEvSY_,"axG",@progbits,_ZN7rocprim17ROCPRIM_400000_NS6detail17trampoline_kernelINS0_13select_configILj256ELj13ELNS0_17block_load_methodE3ELS4_3ELS4_3ELNS0_20block_scan_algorithmE0ELj4294967295EEENS1_25partition_config_selectorILNS1_17partition_subalgoE3EjNS0_10empty_typeEbEEZZNS1_14partition_implILS8_3ELb0ES6_jNS0_17counting_iteratorIjlEEPS9_SE_NS0_5tupleIJPjSE_EEENSF_IJSE_SE_EEES9_SG_JZNS1_25segmented_radix_sort_implINS0_14default_configELb0EPKdPdPKlPlN2at6native12_GLOBAL__N_18offset_tEEE10hipError_tPvRmT1_PNSt15iterator_traitsISY_E10value_typeET2_T3_PNSZ_IS14_E10value_typeET4_jRbjT5_S1A_jjP12ihipStream_tbEUljE_EEESV_SW_SX_S14_S18_S1A_T6_T7_T9_mT8_S1C_bDpT10_ENKUlT_T0_E_clISt17integral_constantIbLb1EES1P_EEDaS1K_S1L_EUlS1K_E_NS1_11comp_targetILNS1_3genE10ELNS1_11target_archE1200ELNS1_3gpuE4ELNS1_3repE0EEENS1_30default_config_static_selectorELNS0_4arch9wavefront6targetE0EEEvSY_,comdat
.Lfunc_end1202:
	.size	_ZN7rocprim17ROCPRIM_400000_NS6detail17trampoline_kernelINS0_13select_configILj256ELj13ELNS0_17block_load_methodE3ELS4_3ELS4_3ELNS0_20block_scan_algorithmE0ELj4294967295EEENS1_25partition_config_selectorILNS1_17partition_subalgoE3EjNS0_10empty_typeEbEEZZNS1_14partition_implILS8_3ELb0ES6_jNS0_17counting_iteratorIjlEEPS9_SE_NS0_5tupleIJPjSE_EEENSF_IJSE_SE_EEES9_SG_JZNS1_25segmented_radix_sort_implINS0_14default_configELb0EPKdPdPKlPlN2at6native12_GLOBAL__N_18offset_tEEE10hipError_tPvRmT1_PNSt15iterator_traitsISY_E10value_typeET2_T3_PNSZ_IS14_E10value_typeET4_jRbjT5_S1A_jjP12ihipStream_tbEUljE_EEESV_SW_SX_S14_S18_S1A_T6_T7_T9_mT8_S1C_bDpT10_ENKUlT_T0_E_clISt17integral_constantIbLb1EES1P_EEDaS1K_S1L_EUlS1K_E_NS1_11comp_targetILNS1_3genE10ELNS1_11target_archE1200ELNS1_3gpuE4ELNS1_3repE0EEENS1_30default_config_static_selectorELNS0_4arch9wavefront6targetE0EEEvSY_, .Lfunc_end1202-_ZN7rocprim17ROCPRIM_400000_NS6detail17trampoline_kernelINS0_13select_configILj256ELj13ELNS0_17block_load_methodE3ELS4_3ELS4_3ELNS0_20block_scan_algorithmE0ELj4294967295EEENS1_25partition_config_selectorILNS1_17partition_subalgoE3EjNS0_10empty_typeEbEEZZNS1_14partition_implILS8_3ELb0ES6_jNS0_17counting_iteratorIjlEEPS9_SE_NS0_5tupleIJPjSE_EEENSF_IJSE_SE_EEES9_SG_JZNS1_25segmented_radix_sort_implINS0_14default_configELb0EPKdPdPKlPlN2at6native12_GLOBAL__N_18offset_tEEE10hipError_tPvRmT1_PNSt15iterator_traitsISY_E10value_typeET2_T3_PNSZ_IS14_E10value_typeET4_jRbjT5_S1A_jjP12ihipStream_tbEUljE_EEESV_SW_SX_S14_S18_S1A_T6_T7_T9_mT8_S1C_bDpT10_ENKUlT_T0_E_clISt17integral_constantIbLb1EES1P_EEDaS1K_S1L_EUlS1K_E_NS1_11comp_targetILNS1_3genE10ELNS1_11target_archE1200ELNS1_3gpuE4ELNS1_3repE0EEENS1_30default_config_static_selectorELNS0_4arch9wavefront6targetE0EEEvSY_
                                        ; -- End function
	.section	.AMDGPU.csdata,"",@progbits
; Kernel info:
; codeLenInByte = 0
; NumSgprs: 0
; NumVgprs: 0
; ScratchSize: 0
; MemoryBound: 0
; FloatMode: 240
; IeeeMode: 1
; LDSByteSize: 0 bytes/workgroup (compile time only)
; SGPRBlocks: 0
; VGPRBlocks: 0
; NumSGPRsForWavesPerEU: 1
; NumVGPRsForWavesPerEU: 1
; Occupancy: 16
; WaveLimiterHint : 0
; COMPUTE_PGM_RSRC2:SCRATCH_EN: 0
; COMPUTE_PGM_RSRC2:USER_SGPR: 15
; COMPUTE_PGM_RSRC2:TRAP_HANDLER: 0
; COMPUTE_PGM_RSRC2:TGID_X_EN: 1
; COMPUTE_PGM_RSRC2:TGID_Y_EN: 0
; COMPUTE_PGM_RSRC2:TGID_Z_EN: 0
; COMPUTE_PGM_RSRC2:TIDIG_COMP_CNT: 0
	.section	.text._ZN7rocprim17ROCPRIM_400000_NS6detail17trampoline_kernelINS0_13select_configILj256ELj13ELNS0_17block_load_methodE3ELS4_3ELS4_3ELNS0_20block_scan_algorithmE0ELj4294967295EEENS1_25partition_config_selectorILNS1_17partition_subalgoE3EjNS0_10empty_typeEbEEZZNS1_14partition_implILS8_3ELb0ES6_jNS0_17counting_iteratorIjlEEPS9_SE_NS0_5tupleIJPjSE_EEENSF_IJSE_SE_EEES9_SG_JZNS1_25segmented_radix_sort_implINS0_14default_configELb0EPKdPdPKlPlN2at6native12_GLOBAL__N_18offset_tEEE10hipError_tPvRmT1_PNSt15iterator_traitsISY_E10value_typeET2_T3_PNSZ_IS14_E10value_typeET4_jRbjT5_S1A_jjP12ihipStream_tbEUljE_EEESV_SW_SX_S14_S18_S1A_T6_T7_T9_mT8_S1C_bDpT10_ENKUlT_T0_E_clISt17integral_constantIbLb1EES1P_EEDaS1K_S1L_EUlS1K_E_NS1_11comp_targetILNS1_3genE9ELNS1_11target_archE1100ELNS1_3gpuE3ELNS1_3repE0EEENS1_30default_config_static_selectorELNS0_4arch9wavefront6targetE0EEEvSY_,"axG",@progbits,_ZN7rocprim17ROCPRIM_400000_NS6detail17trampoline_kernelINS0_13select_configILj256ELj13ELNS0_17block_load_methodE3ELS4_3ELS4_3ELNS0_20block_scan_algorithmE0ELj4294967295EEENS1_25partition_config_selectorILNS1_17partition_subalgoE3EjNS0_10empty_typeEbEEZZNS1_14partition_implILS8_3ELb0ES6_jNS0_17counting_iteratorIjlEEPS9_SE_NS0_5tupleIJPjSE_EEENSF_IJSE_SE_EEES9_SG_JZNS1_25segmented_radix_sort_implINS0_14default_configELb0EPKdPdPKlPlN2at6native12_GLOBAL__N_18offset_tEEE10hipError_tPvRmT1_PNSt15iterator_traitsISY_E10value_typeET2_T3_PNSZ_IS14_E10value_typeET4_jRbjT5_S1A_jjP12ihipStream_tbEUljE_EEESV_SW_SX_S14_S18_S1A_T6_T7_T9_mT8_S1C_bDpT10_ENKUlT_T0_E_clISt17integral_constantIbLb1EES1P_EEDaS1K_S1L_EUlS1K_E_NS1_11comp_targetILNS1_3genE9ELNS1_11target_archE1100ELNS1_3gpuE3ELNS1_3repE0EEENS1_30default_config_static_selectorELNS0_4arch9wavefront6targetE0EEEvSY_,comdat
	.globl	_ZN7rocprim17ROCPRIM_400000_NS6detail17trampoline_kernelINS0_13select_configILj256ELj13ELNS0_17block_load_methodE3ELS4_3ELS4_3ELNS0_20block_scan_algorithmE0ELj4294967295EEENS1_25partition_config_selectorILNS1_17partition_subalgoE3EjNS0_10empty_typeEbEEZZNS1_14partition_implILS8_3ELb0ES6_jNS0_17counting_iteratorIjlEEPS9_SE_NS0_5tupleIJPjSE_EEENSF_IJSE_SE_EEES9_SG_JZNS1_25segmented_radix_sort_implINS0_14default_configELb0EPKdPdPKlPlN2at6native12_GLOBAL__N_18offset_tEEE10hipError_tPvRmT1_PNSt15iterator_traitsISY_E10value_typeET2_T3_PNSZ_IS14_E10value_typeET4_jRbjT5_S1A_jjP12ihipStream_tbEUljE_EEESV_SW_SX_S14_S18_S1A_T6_T7_T9_mT8_S1C_bDpT10_ENKUlT_T0_E_clISt17integral_constantIbLb1EES1P_EEDaS1K_S1L_EUlS1K_E_NS1_11comp_targetILNS1_3genE9ELNS1_11target_archE1100ELNS1_3gpuE3ELNS1_3repE0EEENS1_30default_config_static_selectorELNS0_4arch9wavefront6targetE0EEEvSY_ ; -- Begin function _ZN7rocprim17ROCPRIM_400000_NS6detail17trampoline_kernelINS0_13select_configILj256ELj13ELNS0_17block_load_methodE3ELS4_3ELS4_3ELNS0_20block_scan_algorithmE0ELj4294967295EEENS1_25partition_config_selectorILNS1_17partition_subalgoE3EjNS0_10empty_typeEbEEZZNS1_14partition_implILS8_3ELb0ES6_jNS0_17counting_iteratorIjlEEPS9_SE_NS0_5tupleIJPjSE_EEENSF_IJSE_SE_EEES9_SG_JZNS1_25segmented_radix_sort_implINS0_14default_configELb0EPKdPdPKlPlN2at6native12_GLOBAL__N_18offset_tEEE10hipError_tPvRmT1_PNSt15iterator_traitsISY_E10value_typeET2_T3_PNSZ_IS14_E10value_typeET4_jRbjT5_S1A_jjP12ihipStream_tbEUljE_EEESV_SW_SX_S14_S18_S1A_T6_T7_T9_mT8_S1C_bDpT10_ENKUlT_T0_E_clISt17integral_constantIbLb1EES1P_EEDaS1K_S1L_EUlS1K_E_NS1_11comp_targetILNS1_3genE9ELNS1_11target_archE1100ELNS1_3gpuE3ELNS1_3repE0EEENS1_30default_config_static_selectorELNS0_4arch9wavefront6targetE0EEEvSY_
	.p2align	8
	.type	_ZN7rocprim17ROCPRIM_400000_NS6detail17trampoline_kernelINS0_13select_configILj256ELj13ELNS0_17block_load_methodE3ELS4_3ELS4_3ELNS0_20block_scan_algorithmE0ELj4294967295EEENS1_25partition_config_selectorILNS1_17partition_subalgoE3EjNS0_10empty_typeEbEEZZNS1_14partition_implILS8_3ELb0ES6_jNS0_17counting_iteratorIjlEEPS9_SE_NS0_5tupleIJPjSE_EEENSF_IJSE_SE_EEES9_SG_JZNS1_25segmented_radix_sort_implINS0_14default_configELb0EPKdPdPKlPlN2at6native12_GLOBAL__N_18offset_tEEE10hipError_tPvRmT1_PNSt15iterator_traitsISY_E10value_typeET2_T3_PNSZ_IS14_E10value_typeET4_jRbjT5_S1A_jjP12ihipStream_tbEUljE_EEESV_SW_SX_S14_S18_S1A_T6_T7_T9_mT8_S1C_bDpT10_ENKUlT_T0_E_clISt17integral_constantIbLb1EES1P_EEDaS1K_S1L_EUlS1K_E_NS1_11comp_targetILNS1_3genE9ELNS1_11target_archE1100ELNS1_3gpuE3ELNS1_3repE0EEENS1_30default_config_static_selectorELNS0_4arch9wavefront6targetE0EEEvSY_,@function
_ZN7rocprim17ROCPRIM_400000_NS6detail17trampoline_kernelINS0_13select_configILj256ELj13ELNS0_17block_load_methodE3ELS4_3ELS4_3ELNS0_20block_scan_algorithmE0ELj4294967295EEENS1_25partition_config_selectorILNS1_17partition_subalgoE3EjNS0_10empty_typeEbEEZZNS1_14partition_implILS8_3ELb0ES6_jNS0_17counting_iteratorIjlEEPS9_SE_NS0_5tupleIJPjSE_EEENSF_IJSE_SE_EEES9_SG_JZNS1_25segmented_radix_sort_implINS0_14default_configELb0EPKdPdPKlPlN2at6native12_GLOBAL__N_18offset_tEEE10hipError_tPvRmT1_PNSt15iterator_traitsISY_E10value_typeET2_T3_PNSZ_IS14_E10value_typeET4_jRbjT5_S1A_jjP12ihipStream_tbEUljE_EEESV_SW_SX_S14_S18_S1A_T6_T7_T9_mT8_S1C_bDpT10_ENKUlT_T0_E_clISt17integral_constantIbLb1EES1P_EEDaS1K_S1L_EUlS1K_E_NS1_11comp_targetILNS1_3genE9ELNS1_11target_archE1100ELNS1_3gpuE3ELNS1_3repE0EEENS1_30default_config_static_selectorELNS0_4arch9wavefront6targetE0EEEvSY_: ; @_ZN7rocprim17ROCPRIM_400000_NS6detail17trampoline_kernelINS0_13select_configILj256ELj13ELNS0_17block_load_methodE3ELS4_3ELS4_3ELNS0_20block_scan_algorithmE0ELj4294967295EEENS1_25partition_config_selectorILNS1_17partition_subalgoE3EjNS0_10empty_typeEbEEZZNS1_14partition_implILS8_3ELb0ES6_jNS0_17counting_iteratorIjlEEPS9_SE_NS0_5tupleIJPjSE_EEENSF_IJSE_SE_EEES9_SG_JZNS1_25segmented_radix_sort_implINS0_14default_configELb0EPKdPdPKlPlN2at6native12_GLOBAL__N_18offset_tEEE10hipError_tPvRmT1_PNSt15iterator_traitsISY_E10value_typeET2_T3_PNSZ_IS14_E10value_typeET4_jRbjT5_S1A_jjP12ihipStream_tbEUljE_EEESV_SW_SX_S14_S18_S1A_T6_T7_T9_mT8_S1C_bDpT10_ENKUlT_T0_E_clISt17integral_constantIbLb1EES1P_EEDaS1K_S1L_EUlS1K_E_NS1_11comp_targetILNS1_3genE9ELNS1_11target_archE1100ELNS1_3gpuE3ELNS1_3repE0EEENS1_30default_config_static_selectorELNS0_4arch9wavefront6targetE0EEEvSY_
; %bb.0:
	s_clause 0x6
	s_load_b64 s[16:17], s[0:1], 0x10
	s_load_b64 s[12:13], s[0:1], 0x28
	;; [unrolled: 1-line block ×3, first 2 shown]
	s_load_b128 s[8:11], s[0:1], 0x48
	s_load_b32 s3, s[0:1], 0x90
	s_load_b64 s[18:19], s[0:1], 0x68
	s_load_b128 s[4:7], s[0:1], 0x80
	v_cmp_eq_u32_e64 s2, 0, v0
	s_delay_alu instid0(VALU_DEP_1)
	s_and_saveexec_b32 s20, s2
	s_cbranch_execz .LBB1203_4
; %bb.1:
	s_mov_b32 s22, exec_lo
	s_mov_b32 s21, exec_lo
	v_mbcnt_lo_u32_b32 v1, s22, 0
                                        ; implicit-def: $vgpr2
	s_delay_alu instid0(VALU_DEP_1)
	v_cmpx_eq_u32_e32 0, v1
	s_cbranch_execz .LBB1203_3
; %bb.2:
	s_load_b64 s[24:25], s[0:1], 0x78
	s_bcnt1_i32_b32 s22, s22
	s_delay_alu instid0(SALU_CYCLE_1)
	v_dual_mov_b32 v2, 0 :: v_dual_mov_b32 v3, s22
	s_waitcnt lgkmcnt(0)
	global_atomic_add_u32 v2, v2, v3, s[24:25] glc
.LBB1203_3:
	s_or_b32 exec_lo, exec_lo, s21
	s_waitcnt vmcnt(0)
	v_readfirstlane_b32 s21, v2
	s_delay_alu instid0(VALU_DEP_1)
	v_dual_mov_b32 v2, 0 :: v_dual_add_nc_u32 v1, s21, v1
	ds_store_b32 v2, v1
.LBB1203_4:
	s_or_b32 exec_lo, exec_lo, s20
	v_mov_b32_e32 v1, 0
	s_clause 0x1
	s_load_b32 s20, s[0:1], 0x8
	s_load_b32 s0, s[0:1], 0x70
	s_waitcnt lgkmcnt(0)
	s_barrier
	buffer_gl0_inv
	ds_load_b32 v2, v1
	s_waitcnt lgkmcnt(0)
	s_barrier
	buffer_gl0_inv
	global_load_b64 v[18:19], v1, s[10:11]
	v_lshlrev_b32_e32 v33, 2, v0
	s_add_i32 s21, s20, s16
	s_mul_i32 s1, s0, 0xd00
	s_add_i32 s0, s0, -1
	s_add_u32 s10, s16, s1
	s_addc_u32 s11, s17, 0
	v_mul_lo_u32 v32, 0xd00, v2
	v_readfirstlane_b32 s20, v2
	v_cmp_lt_u64_e64 s11, s[10:11], s[14:15]
	v_cmp_ne_u32_e32 vcc_lo, s0, v2
	s_delay_alu instid0(VALU_DEP_3) | instskip(SKIP_1) | instid1(VALU_DEP_4)
	s_cmp_eq_u32 s20, s0
	s_cselect_b32 s10, -1, 0
	v_add3_u32 v1, v32, s21, v0
	s_delay_alu instid0(VALU_DEP_3) | instskip(SKIP_2) | instid1(VALU_DEP_1)
	s_or_b32 s0, s11, vcc_lo
	s_mov_b32 s11, -1
	s_and_b32 vcc_lo, exec_lo, s0
	v_add_nc_u32_e32 v2, 0x100, v1
	v_add_nc_u32_e32 v3, 0x200, v1
	;; [unrolled: 1-line block ×12, first 2 shown]
	s_cbranch_vccz .LBB1203_6
; %bb.5:
	ds_store_2addr_stride64_b32 v33, v1, v2 offset1:4
	ds_store_2addr_stride64_b32 v33, v3, v4 offset0:8 offset1:12
	ds_store_2addr_stride64_b32 v33, v5, v6 offset0:16 offset1:20
	;; [unrolled: 1-line block ×5, first 2 shown]
	ds_store_b32 v33, v13 offset:12288
	s_waitcnt vmcnt(0) lgkmcnt(0)
	s_mov_b32 s11, 0
	s_barrier
.LBB1203_6:
	s_and_not1_b32 vcc_lo, exec_lo, s11
	s_add_i32 s1, s1, s16
	s_cbranch_vccnz .LBB1203_8
; %bb.7:
	ds_store_2addr_stride64_b32 v33, v1, v2 offset1:4
	ds_store_2addr_stride64_b32 v33, v3, v4 offset0:8 offset1:12
	ds_store_2addr_stride64_b32 v33, v5, v6 offset0:16 offset1:20
	;; [unrolled: 1-line block ×5, first 2 shown]
	ds_store_b32 v33, v13 offset:12288
	s_waitcnt vmcnt(0) lgkmcnt(0)
	s_barrier
.LBB1203_8:
	v_mul_u32_u24_e32 v36, 13, v0
	s_waitcnt vmcnt(0)
	buffer_gl0_inv
	v_cndmask_b32_e64 v34, 0, 1, s0
	s_sub_i32 s11, s14, s1
	s_and_not1_b32 vcc_lo, exec_lo, s0
	v_lshlrev_b32_e32 v1, 2, v36
	ds_load_2addr_b32 v[30:31], v1 offset1:1
	ds_load_2addr_b32 v[28:29], v1 offset0:2 offset1:3
	ds_load_2addr_b32 v[26:27], v1 offset0:4 offset1:5
	;; [unrolled: 1-line block ×5, first 2 shown]
	ds_load_b32 v35, v1 offset:48
	s_waitcnt lgkmcnt(0)
	s_barrier
	buffer_gl0_inv
	s_cbranch_vccnz .LBB1203_10
; %bb.9:
	v_add_nc_u32_e32 v1, s5, v30
	v_add_nc_u32_e32 v2, s7, v30
	;; [unrolled: 1-line block ×5, first 2 shown]
	v_mul_lo_u32 v1, v1, s4
	v_mul_lo_u32 v2, v2, s6
	;; [unrolled: 1-line block ×4, first 2 shown]
	v_add_nc_u32_e32 v6, s7, v28
	v_add_nc_u32_e32 v7, s5, v29
	v_add_nc_u32_e32 v8, s7, v29
	v_mul_lo_u32 v5, v5, s4
	v_add_nc_u32_e32 v9, s5, v24
	v_sub_nc_u32_e32 v1, v1, v2
	v_mul_lo_u32 v2, v6, s6
	v_sub_nc_u32_e32 v3, v3, v4
	v_mul_lo_u32 v4, v7, s4
	v_mul_lo_u32 v6, v8, s6
	v_add_nc_u32_e32 v7, s5, v26
	v_cmp_lt_u32_e32 vcc_lo, s3, v1
	v_add_nc_u32_e32 v8, s5, v27
	v_add_nc_u32_e32 v10, s7, v24
	v_sub_nc_u32_e32 v2, v5, v2
	v_add_nc_u32_e32 v5, s7, v26
	v_cndmask_b32_e64 v1, 0, 1, vcc_lo
	v_sub_nc_u32_e32 v4, v4, v6
	v_mul_lo_u32 v6, v7, s4
	v_add_nc_u32_e32 v7, s7, v27
	v_cmp_lt_u32_e32 vcc_lo, s3, v3
	v_mul_lo_u32 v5, v5, s6
	v_mul_lo_u32 v8, v8, s4
	;; [unrolled: 1-line block ×4, first 2 shown]
	v_cndmask_b32_e64 v3, 0, 1, vcc_lo
	v_cmp_lt_u32_e32 vcc_lo, s3, v2
	v_mul_lo_u32 v10, v10, s6
	v_add_nc_u32_e32 v11, s5, v22
	v_sub_nc_u32_e32 v5, v6, v5
	v_add_nc_u32_e32 v12, s7, v22
	v_cndmask_b32_e64 v2, 0, 1, vcc_lo
	v_sub_nc_u32_e32 v6, v8, v7
	v_add_nc_u32_e32 v7, s5, v25
	v_add_nc_u32_e32 v8, s7, v25
	v_cmp_lt_u32_e32 vcc_lo, s3, v4
	v_sub_nc_u32_e32 v9, v9, v10
	v_mul_lo_u32 v10, v11, s4
	v_mul_lo_u32 v7, v7, s4
	;; [unrolled: 1-line block ×4, first 2 shown]
	v_cndmask_b32_e64 v4, 0, 1, vcc_lo
	v_cmp_lt_u32_e32 vcc_lo, s3, v5
	v_add_nc_u32_e32 v12, s5, v23
	v_add_nc_u32_e32 v13, s7, v20
	;; [unrolled: 1-line block ×4, first 2 shown]
	v_cndmask_b32_e64 v5, 0, 1, vcc_lo
	v_cmp_lt_u32_e32 vcc_lo, s3, v6
	v_sub_nc_u32_e32 v7, v7, v8
	v_sub_nc_u32_e32 v8, v10, v11
	v_add_nc_u32_e32 v11, s7, v23
	v_mul_lo_u32 v10, v12, s4
	v_cndmask_b32_e64 v6, 0, 1, vcc_lo
	v_cmp_lt_u32_e32 vcc_lo, s3, v9
	v_add_nc_u32_e32 v12, s5, v20
	v_mul_lo_u32 v11, v11, s6
	v_mul_lo_u32 v13, v13, s6
	;; [unrolled: 1-line block ×3, first 2 shown]
	v_cndmask_b32_e64 v9, 0, 1, vcc_lo
	v_cmp_lt_u32_e32 vcc_lo, s3, v7
	v_mul_lo_u32 v12, v12, s4
	v_mul_lo_u32 v15, v15, s6
	v_lshlrev_b16 v3, 8, v3
	v_sub_nc_u32_e32 v10, v10, v11
	v_cndmask_b32_e64 v7, 0, 1, vcc_lo
	v_cmp_lt_u32_e32 vcc_lo, s3, v8
	v_add_nc_u32_e32 v11, s5, v35
	v_or_b32_e32 v1, v1, v3
	v_sub_nc_u32_e32 v12, v12, v13
	v_sub_nc_u32_e32 v13, v14, v15
	v_cndmask_b32_e64 v8, 0, 1, vcc_lo
	v_cmp_lt_u32_e32 vcc_lo, s3, v10
	v_add_nc_u32_e32 v16, s7, v35
	v_mul_lo_u32 v11, v11, s4
	v_lshlrev_b16 v4, 8, v4
	v_lshlrev_b16 v6, 8, v6
	v_cndmask_b32_e64 v10, 0, 1, vcc_lo
	v_cmp_lt_u32_e32 vcc_lo, s3, v12
	v_mul_lo_u32 v14, v16, s6
	v_lshlrev_b16 v7, 8, v7
	v_or_b32_e32 v2, v2, v4
	v_lshlrev_b16 v10, 8, v10
	v_cndmask_b32_e64 v3, 0, 1, vcc_lo
	v_cmp_lt_u32_e32 vcc_lo, s3, v13
	v_or_b32_e32 v4, v5, v6
	v_or_b32_e32 v5, v9, v7
	v_sub_nc_u32_e32 v11, v11, v14
	v_or_b32_e32 v6, v8, v10
	v_cndmask_b32_e64 v12, 0, 1, vcc_lo
	v_and_b32_e32 v1, 0xffff, v1
	v_lshlrev_b32_e32 v2, 16, v2
	v_and_b32_e32 v4, 0xffff, v4
	v_lshlrev_b32_e32 v5, 16, v5
	v_lshlrev_b16 v12, 8, v12
	v_and_b32_e32 v6, 0xffff, v6
	v_cmp_lt_u32_e32 vcc_lo, s3, v11
	v_or_b32_e32 v42, v1, v2
	v_or_b32_e32 v40, v4, v5
	;; [unrolled: 1-line block ×3, first 2 shown]
	v_cndmask_b32_e64 v37, 0, 1, vcc_lo
	s_delay_alu instid0(VALU_DEP_2) | instskip(NEXT) | instid1(VALU_DEP_1)
	v_lshlrev_b32_e32 v3, 16, v3
	v_or_b32_e32 v38, v6, v3
	s_addk_i32 s11, 0xd00
	s_cbranch_execz .LBB1203_11
	s_branch .LBB1203_38
.LBB1203_10:
                                        ; implicit-def: $vgpr37
                                        ; implicit-def: $vgpr38
                                        ; implicit-def: $vgpr40
                                        ; implicit-def: $vgpr42
	s_addk_i32 s11, 0xd00
.LBB1203_11:
	v_dual_mov_b32 v2, 0 :: v_dual_mov_b32 v1, 0
	s_mov_b32 s0, exec_lo
	v_cmpx_gt_u32_e64 s11, v36
; %bb.12:
	v_add_nc_u32_e32 v1, s5, v30
	v_add_nc_u32_e32 v3, s7, v30
	s_delay_alu instid0(VALU_DEP_2) | instskip(NEXT) | instid1(VALU_DEP_2)
	v_mul_lo_u32 v1, v1, s4
	v_mul_lo_u32 v3, v3, s6
	s_delay_alu instid0(VALU_DEP_1) | instskip(NEXT) | instid1(VALU_DEP_1)
	v_sub_nc_u32_e32 v1, v1, v3
	v_cmp_lt_u32_e32 vcc_lo, s3, v1
	v_cndmask_b32_e64 v1, 0, 1, vcc_lo
; %bb.13:
	s_or_b32 exec_lo, exec_lo, s0
	v_add_nc_u32_e32 v3, 1, v36
	s_mov_b32 s0, exec_lo
	s_delay_alu instid0(VALU_DEP_1)
	v_cmpx_gt_u32_e64 s11, v3
; %bb.14:
	v_add_nc_u32_e32 v2, s5, v31
	v_add_nc_u32_e32 v3, s7, v31
	s_delay_alu instid0(VALU_DEP_2) | instskip(NEXT) | instid1(VALU_DEP_2)
	v_mul_lo_u32 v2, v2, s4
	v_mul_lo_u32 v3, v3, s6
	s_delay_alu instid0(VALU_DEP_1) | instskip(NEXT) | instid1(VALU_DEP_1)
	v_sub_nc_u32_e32 v2, v2, v3
	v_cmp_lt_u32_e32 vcc_lo, s3, v2
	v_cndmask_b32_e64 v2, 0, 1, vcc_lo
; %bb.15:
	s_or_b32 exec_lo, exec_lo, s0
	v_dual_mov_b32 v4, 0 :: v_dual_add_nc_u32 v3, 2, v36
	s_delay_alu instid0(VALU_DEP_1)
	v_cmp_gt_u32_e32 vcc_lo, s11, v3
	v_mov_b32_e32 v3, 0
	s_and_saveexec_b32 s0, vcc_lo
; %bb.16:
	v_add_nc_u32_e32 v3, s5, v28
	v_add_nc_u32_e32 v5, s7, v28
	s_delay_alu instid0(VALU_DEP_2) | instskip(NEXT) | instid1(VALU_DEP_2)
	v_mul_lo_u32 v3, v3, s4
	v_mul_lo_u32 v5, v5, s6
	s_delay_alu instid0(VALU_DEP_1) | instskip(NEXT) | instid1(VALU_DEP_1)
	v_sub_nc_u32_e32 v3, v3, v5
	v_cmp_lt_u32_e32 vcc_lo, s3, v3
	v_cndmask_b32_e64 v3, 0, 1, vcc_lo
; %bb.17:
	s_or_b32 exec_lo, exec_lo, s0
	v_add_nc_u32_e32 v5, 3, v36
	s_mov_b32 s0, exec_lo
	s_delay_alu instid0(VALU_DEP_1)
	v_cmpx_gt_u32_e64 s11, v5
; %bb.18:
	v_add_nc_u32_e32 v4, s5, v29
	v_add_nc_u32_e32 v5, s7, v29
	s_delay_alu instid0(VALU_DEP_2) | instskip(NEXT) | instid1(VALU_DEP_2)
	v_mul_lo_u32 v4, v4, s4
	v_mul_lo_u32 v5, v5, s6
	s_delay_alu instid0(VALU_DEP_1) | instskip(NEXT) | instid1(VALU_DEP_1)
	v_sub_nc_u32_e32 v4, v4, v5
	v_cmp_lt_u32_e32 vcc_lo, s3, v4
	v_cndmask_b32_e64 v4, 0, 1, vcc_lo
; %bb.19:
	s_or_b32 exec_lo, exec_lo, s0
	v_dual_mov_b32 v6, 0 :: v_dual_add_nc_u32 v5, 4, v36
	s_delay_alu instid0(VALU_DEP_1)
	v_cmp_gt_u32_e32 vcc_lo, s11, v5
	v_mov_b32_e32 v5, 0
	s_and_saveexec_b32 s0, vcc_lo
	;; [unrolled: 33-line block ×5, first 2 shown]
; %bb.32:
	v_add_nc_u32_e32 v11, s5, v20
	v_add_nc_u32_e32 v13, s7, v20
	s_delay_alu instid0(VALU_DEP_2) | instskip(NEXT) | instid1(VALU_DEP_2)
	v_mul_lo_u32 v11, v11, s4
	v_mul_lo_u32 v13, v13, s6
	s_delay_alu instid0(VALU_DEP_1) | instskip(NEXT) | instid1(VALU_DEP_1)
	v_sub_nc_u32_e32 v11, v11, v13
	v_cmp_lt_u32_e32 vcc_lo, s3, v11
	v_cndmask_b32_e64 v11, 0, 1, vcc_lo
; %bb.33:
	s_or_b32 exec_lo, exec_lo, s0
	v_add_nc_u32_e32 v13, 11, v36
	s_mov_b32 s0, exec_lo
	s_delay_alu instid0(VALU_DEP_1)
	v_cmpx_gt_u32_e64 s11, v13
; %bb.34:
	v_add_nc_u32_e32 v12, s5, v21
	v_add_nc_u32_e32 v13, s7, v21
	s_delay_alu instid0(VALU_DEP_2) | instskip(NEXT) | instid1(VALU_DEP_2)
	v_mul_lo_u32 v12, v12, s4
	v_mul_lo_u32 v13, v13, s6
	s_delay_alu instid0(VALU_DEP_1) | instskip(NEXT) | instid1(VALU_DEP_1)
	v_sub_nc_u32_e32 v12, v12, v13
	v_cmp_lt_u32_e32 vcc_lo, s3, v12
	v_cndmask_b32_e64 v12, 0, 1, vcc_lo
; %bb.35:
	s_or_b32 exec_lo, exec_lo, s0
	v_add_nc_u32_e32 v13, 12, v36
	v_mov_b32_e32 v37, 0
	s_mov_b32 s0, exec_lo
	s_delay_alu instid0(VALU_DEP_2)
	v_cmpx_gt_u32_e64 s11, v13
; %bb.36:
	v_add_nc_u32_e32 v13, s5, v35
	v_add_nc_u32_e32 v14, s7, v35
	s_delay_alu instid0(VALU_DEP_2) | instskip(NEXT) | instid1(VALU_DEP_2)
	v_mul_lo_u32 v13, v13, s4
	v_mul_lo_u32 v14, v14, s6
	s_delay_alu instid0(VALU_DEP_1) | instskip(NEXT) | instid1(VALU_DEP_1)
	v_sub_nc_u32_e32 v13, v13, v14
	v_cmp_lt_u32_e32 vcc_lo, s3, v13
	v_cndmask_b32_e64 v37, 0, 1, vcc_lo
; %bb.37:
	s_or_b32 exec_lo, exec_lo, s0
	v_lshlrev_b16 v2, 8, v2
	v_lshlrev_b16 v4, 8, v4
	v_lshlrev_b16 v6, 8, v6
	v_lshlrev_b16 v8, 8, v8
	v_lshlrev_b16 v10, 8, v10
	v_or_b32_e32 v1, v1, v2
	v_lshlrev_b16 v2, 8, v12
	v_or_b32_e32 v3, v3, v4
	v_or_b32_e32 v4, v5, v6
	;; [unrolled: 1-line block ×5, first 2 shown]
	v_and_b32_e32 v1, 0xffff, v1
	v_lshlrev_b32_e32 v3, 16, v3
	v_and_b32_e32 v4, 0xffff, v4
	v_lshlrev_b32_e32 v5, 16, v5
	;; [unrolled: 2-line block ×3, first 2 shown]
	v_or_b32_e32 v42, v1, v3
	s_delay_alu instid0(VALU_DEP_4) | instskip(NEXT) | instid1(VALU_DEP_3)
	v_or_b32_e32 v40, v4, v5
	v_or_b32_e32 v38, v6, v2
.LBB1203_38:
	s_delay_alu instid0(VALU_DEP_3)
	v_and_b32_e32 v44, 0xff, v42
	v_bfe_u32 v45, v42, 8, 8
	v_bfe_u32 v46, v42, 16, 8
	v_lshrrev_b32_e32 v43, 24, v42
	v_and_b32_e32 v47, 0xff, v40
	v_bfe_u32 v48, v40, 8, 8
	v_bfe_u32 v49, v40, 16, 8
	v_add3_u32 v1, v45, v44, v46
	v_lshrrev_b32_e32 v41, 24, v40
	v_and_b32_e32 v50, 0xff, v38
	v_bfe_u32 v51, v38, 8, 8
	v_mbcnt_lo_u32_b32 v53, -1, 0
	v_add3_u32 v1, v1, v43, v47
	v_bfe_u32 v52, v38, 16, 8
	v_lshrrev_b32_e32 v39, 24, v38
	v_and_b32_e32 v2, 0xff, v37
	v_and_b32_e32 v3, 15, v53
	v_add3_u32 v1, v1, v48, v49
	v_or_b32_e32 v4, 31, v0
	v_and_b32_e32 v5, 16, v53
	v_lshrrev_b32_e32 v54, 5, v0
	v_cmp_eq_u32_e64 s6, 0, v3
	v_add3_u32 v1, v1, v41, v50
	v_cmp_lt_u32_e64 s5, 1, v3
	v_cmp_lt_u32_e64 s4, 3, v3
	;; [unrolled: 1-line block ×3, first 2 shown]
	v_cmp_eq_u32_e64 s1, 0, v5
	v_add3_u32 v1, v1, v51, v52
	v_cmp_eq_u32_e64 s0, v4, v0
	s_cmp_lg_u32 s20, 0
	s_mov_b32 s7, -1
	s_delay_alu instid0(VALU_DEP_2)
	v_add3_u32 v55, v1, v39, v2
	s_cbranch_scc0 .LBB1203_69
; %bb.39:
	s_delay_alu instid0(VALU_DEP_1) | instskip(NEXT) | instid1(VALU_DEP_1)
	v_mov_b32_dpp v1, v55 row_shr:1 row_mask:0xf bank_mask:0xf
	v_cndmask_b32_e64 v1, v1, 0, s6
	s_delay_alu instid0(VALU_DEP_1) | instskip(NEXT) | instid1(VALU_DEP_1)
	v_add_nc_u32_e32 v1, v1, v55
	v_mov_b32_dpp v2, v1 row_shr:2 row_mask:0xf bank_mask:0xf
	s_delay_alu instid0(VALU_DEP_1) | instskip(NEXT) | instid1(VALU_DEP_1)
	v_cndmask_b32_e64 v2, 0, v2, s5
	v_add_nc_u32_e32 v1, v1, v2
	s_delay_alu instid0(VALU_DEP_1) | instskip(NEXT) | instid1(VALU_DEP_1)
	v_mov_b32_dpp v2, v1 row_shr:4 row_mask:0xf bank_mask:0xf
	v_cndmask_b32_e64 v2, 0, v2, s4
	s_delay_alu instid0(VALU_DEP_1) | instskip(NEXT) | instid1(VALU_DEP_1)
	v_add_nc_u32_e32 v1, v1, v2
	v_mov_b32_dpp v2, v1 row_shr:8 row_mask:0xf bank_mask:0xf
	s_delay_alu instid0(VALU_DEP_1) | instskip(NEXT) | instid1(VALU_DEP_1)
	v_cndmask_b32_e64 v2, 0, v2, s3
	v_add_nc_u32_e32 v1, v1, v2
	ds_swizzle_b32 v2, v1 offset:swizzle(BROADCAST,32,15)
	s_waitcnt lgkmcnt(0)
	v_cndmask_b32_e64 v2, v2, 0, s1
	s_delay_alu instid0(VALU_DEP_1)
	v_add_nc_u32_e32 v1, v1, v2
	s_and_saveexec_b32 s7, s0
	s_cbranch_execz .LBB1203_41
; %bb.40:
	v_lshlrev_b32_e32 v2, 2, v54
	ds_store_b32 v2, v1
.LBB1203_41:
	s_or_b32 exec_lo, exec_lo, s7
	s_delay_alu instid0(SALU_CYCLE_1)
	s_mov_b32 s7, exec_lo
	s_waitcnt lgkmcnt(0)
	s_barrier
	buffer_gl0_inv
	v_cmpx_gt_u32_e32 8, v0
	s_cbranch_execz .LBB1203_43
; %bb.42:
	ds_load_b32 v2, v33
	s_waitcnt lgkmcnt(0)
	v_mov_b32_dpp v4, v2 row_shr:1 row_mask:0xf bank_mask:0xf
	v_and_b32_e32 v3, 7, v53
	s_delay_alu instid0(VALU_DEP_1) | instskip(NEXT) | instid1(VALU_DEP_3)
	v_cmp_ne_u32_e32 vcc_lo, 0, v3
	v_cndmask_b32_e32 v4, 0, v4, vcc_lo
	v_cmp_lt_u32_e32 vcc_lo, 1, v3
	s_delay_alu instid0(VALU_DEP_2) | instskip(NEXT) | instid1(VALU_DEP_1)
	v_add_nc_u32_e32 v2, v4, v2
	v_mov_b32_dpp v4, v2 row_shr:2 row_mask:0xf bank_mask:0xf
	s_delay_alu instid0(VALU_DEP_1) | instskip(SKIP_1) | instid1(VALU_DEP_2)
	v_cndmask_b32_e32 v4, 0, v4, vcc_lo
	v_cmp_lt_u32_e32 vcc_lo, 3, v3
	v_add_nc_u32_e32 v2, v2, v4
	s_delay_alu instid0(VALU_DEP_1) | instskip(NEXT) | instid1(VALU_DEP_1)
	v_mov_b32_dpp v4, v2 row_shr:4 row_mask:0xf bank_mask:0xf
	v_cndmask_b32_e32 v3, 0, v4, vcc_lo
	s_delay_alu instid0(VALU_DEP_1)
	v_add_nc_u32_e32 v2, v2, v3
	ds_store_b32 v33, v2
.LBB1203_43:
	s_or_b32 exec_lo, exec_lo, s7
	v_cmp_gt_u32_e32 vcc_lo, 32, v0
	s_mov_b32 s21, exec_lo
	s_waitcnt lgkmcnt(0)
	s_barrier
	buffer_gl0_inv
                                        ; implicit-def: $vgpr8
	v_cmpx_lt_u32_e32 31, v0
	s_cbranch_execz .LBB1203_45
; %bb.44:
	v_lshl_add_u32 v2, v54, 2, -4
	ds_load_b32 v8, v2
	s_waitcnt lgkmcnt(0)
	v_add_nc_u32_e32 v1, v8, v1
.LBB1203_45:
	s_or_b32 exec_lo, exec_lo, s21
	v_add_nc_u32_e32 v2, -1, v53
	s_delay_alu instid0(VALU_DEP_1) | instskip(NEXT) | instid1(VALU_DEP_1)
	v_cmp_gt_i32_e64 s7, 0, v2
	v_cndmask_b32_e64 v2, v2, v53, s7
	v_cmp_eq_u32_e64 s7, 0, v53
	s_delay_alu instid0(VALU_DEP_2)
	v_lshlrev_b32_e32 v2, 2, v2
	ds_bpermute_b32 v9, v2, v1
	s_and_saveexec_b32 s21, vcc_lo
	s_cbranch_execz .LBB1203_68
; %bb.46:
	v_mov_b32_e32 v4, 0
	ds_load_b32 v1, v4 offset:28
	s_and_saveexec_b32 s22, s7
	s_cbranch_execz .LBB1203_48
; %bb.47:
	s_add_i32 s24, s20, 32
	s_mov_b32 s25, 0
	v_mov_b32_e32 v2, 1
	s_lshl_b64 s[24:25], s[24:25], 3
	s_delay_alu instid0(SALU_CYCLE_1)
	s_add_u32 s24, s18, s24
	s_addc_u32 s25, s19, s25
	s_waitcnt lgkmcnt(0)
	global_store_b64 v4, v[1:2], s[24:25]
.LBB1203_48:
	s_or_b32 exec_lo, exec_lo, s22
	v_xad_u32 v2, v53, -1, s20
	s_mov_b32 s23, 0
	s_mov_b32 s22, exec_lo
	s_delay_alu instid0(VALU_DEP_1) | instskip(NEXT) | instid1(VALU_DEP_1)
	v_add_nc_u32_e32 v3, 32, v2
	v_lshlrev_b64 v[3:4], 3, v[3:4]
	s_delay_alu instid0(VALU_DEP_1) | instskip(NEXT) | instid1(VALU_DEP_2)
	v_add_co_u32 v6, vcc_lo, s18, v3
	v_add_co_ci_u32_e32 v7, vcc_lo, s19, v4, vcc_lo
	global_load_b64 v[4:5], v[6:7], off glc
	s_waitcnt vmcnt(0)
	v_and_b32_e32 v3, 0xff, v5
	s_delay_alu instid0(VALU_DEP_1)
	v_cmpx_eq_u16_e32 0, v3
	s_cbranch_execz .LBB1203_54
; %bb.49:
	s_mov_b32 s24, 1
	.p2align	6
.LBB1203_50:                            ; =>This Loop Header: Depth=1
                                        ;     Child Loop BB1203_51 Depth 2
	s_delay_alu instid0(SALU_CYCLE_1)
	s_max_u32 s25, s24, 1
.LBB1203_51:                            ;   Parent Loop BB1203_50 Depth=1
                                        ; =>  This Inner Loop Header: Depth=2
	s_delay_alu instid0(SALU_CYCLE_1)
	s_add_i32 s25, s25, -1
	s_sleep 1
	s_cmp_eq_u32 s25, 0
	s_cbranch_scc0 .LBB1203_51
; %bb.52:                               ;   in Loop: Header=BB1203_50 Depth=1
	global_load_b64 v[4:5], v[6:7], off glc
	s_cmp_lt_u32 s24, 32
	s_cselect_b32 s25, -1, 0
	s_delay_alu instid0(SALU_CYCLE_1) | instskip(SKIP_3) | instid1(VALU_DEP_1)
	s_cmp_lg_u32 s25, 0
	s_addc_u32 s24, s24, 0
	s_waitcnt vmcnt(0)
	v_and_b32_e32 v3, 0xff, v5
	v_cmp_ne_u16_e32 vcc_lo, 0, v3
	s_or_b32 s23, vcc_lo, s23
	s_delay_alu instid0(SALU_CYCLE_1)
	s_and_not1_b32 exec_lo, exec_lo, s23
	s_cbranch_execnz .LBB1203_50
; %bb.53:
	s_or_b32 exec_lo, exec_lo, s23
.LBB1203_54:
	s_delay_alu instid0(SALU_CYCLE_1)
	s_or_b32 exec_lo, exec_lo, s22
	v_cmp_ne_u32_e32 vcc_lo, 31, v53
	v_lshlrev_b32_e64 v11, v53, -1
	v_add_nc_u32_e32 v13, 2, v53
	v_add_nc_u32_e32 v15, 4, v53
	;; [unrolled: 1-line block ×3, first 2 shown]
	v_add_co_ci_u32_e32 v3, vcc_lo, 0, v53, vcc_lo
	v_add_nc_u32_e32 v58, 16, v53
	s_delay_alu instid0(VALU_DEP_2) | instskip(SKIP_2) | instid1(VALU_DEP_1)
	v_lshlrev_b32_e32 v10, 2, v3
	ds_bpermute_b32 v6, v10, v4
	v_and_b32_e32 v3, 0xff, v5
	v_cmp_eq_u16_e32 vcc_lo, 2, v3
	v_and_or_b32 v3, vcc_lo, v11, 0x80000000
	v_cmp_gt_u32_e32 vcc_lo, 30, v53
	s_delay_alu instid0(VALU_DEP_2) | instskip(SKIP_1) | instid1(VALU_DEP_2)
	v_ctz_i32_b32_e32 v3, v3
	v_cndmask_b32_e64 v7, 0, 1, vcc_lo
	v_cmp_lt_u32_e32 vcc_lo, v53, v3
	s_waitcnt lgkmcnt(0)
	s_delay_alu instid0(VALU_DEP_2) | instskip(NEXT) | instid1(VALU_DEP_1)
	v_dual_cndmask_b32 v6, 0, v6 :: v_dual_lshlrev_b32 v7, 1, v7
	v_add_lshl_u32 v12, v7, v53, 2
	v_cmp_gt_u32_e32 vcc_lo, 28, v53
	s_delay_alu instid0(VALU_DEP_3) | instskip(SKIP_4) | instid1(VALU_DEP_1)
	v_add_nc_u32_e32 v4, v6, v4
	v_cndmask_b32_e64 v7, 0, 1, vcc_lo
	v_cmp_le_u32_e32 vcc_lo, v13, v3
	ds_bpermute_b32 v6, v12, v4
	v_lshlrev_b32_e32 v7, 2, v7
	v_add_lshl_u32 v14, v7, v53, 2
	s_waitcnt lgkmcnt(0)
	v_cndmask_b32_e32 v6, 0, v6, vcc_lo
	v_cmp_gt_u32_e32 vcc_lo, 24, v53
	s_delay_alu instid0(VALU_DEP_2) | instskip(SKIP_4) | instid1(VALU_DEP_1)
	v_add_nc_u32_e32 v4, v4, v6
	v_cndmask_b32_e64 v7, 0, 1, vcc_lo
	v_cmp_le_u32_e32 vcc_lo, v15, v3
	ds_bpermute_b32 v6, v14, v4
	v_lshlrev_b32_e32 v7, 3, v7
	v_add_lshl_u32 v17, v7, v53, 2
	s_waitcnt lgkmcnt(0)
	v_cndmask_b32_e32 v6, 0, v6, vcc_lo
	v_cmp_gt_u32_e32 vcc_lo, 16, v53
	s_delay_alu instid0(VALU_DEP_2) | instskip(SKIP_4) | instid1(VALU_DEP_1)
	v_add_nc_u32_e32 v4, v4, v6
	v_cndmask_b32_e64 v7, 0, 1, vcc_lo
	v_cmp_le_u32_e32 vcc_lo, v56, v3
	ds_bpermute_b32 v6, v17, v4
	v_lshlrev_b32_e32 v7, 4, v7
	v_add_lshl_u32 v57, v7, v53, 2
	s_waitcnt lgkmcnt(0)
	v_cndmask_b32_e32 v6, 0, v6, vcc_lo
	v_cmp_le_u32_e32 vcc_lo, v58, v3
	s_delay_alu instid0(VALU_DEP_2) | instskip(SKIP_3) | instid1(VALU_DEP_1)
	v_add_nc_u32_e32 v4, v4, v6
	ds_bpermute_b32 v6, v57, v4
	s_waitcnt lgkmcnt(0)
	v_cndmask_b32_e32 v3, 0, v6, vcc_lo
	v_dual_mov_b32 v3, 0 :: v_dual_add_nc_u32 v4, v4, v3
	s_branch .LBB1203_56
.LBB1203_55:                            ;   in Loop: Header=BB1203_56 Depth=1
	s_or_b32 exec_lo, exec_lo, s22
	ds_bpermute_b32 v7, v10, v4
	v_and_b32_e32 v6, 0xff, v5
	v_subrev_nc_u32_e32 v2, 32, v2
	s_delay_alu instid0(VALU_DEP_2) | instskip(SKIP_1) | instid1(VALU_DEP_1)
	v_cmp_eq_u16_e32 vcc_lo, 2, v6
	v_and_or_b32 v6, vcc_lo, v11, 0x80000000
	v_ctz_i32_b32_e32 v6, v6
	s_delay_alu instid0(VALU_DEP_1) | instskip(SKIP_3) | instid1(VALU_DEP_2)
	v_cmp_lt_u32_e32 vcc_lo, v53, v6
	s_waitcnt lgkmcnt(0)
	v_cndmask_b32_e32 v7, 0, v7, vcc_lo
	v_cmp_le_u32_e32 vcc_lo, v13, v6
	v_add_nc_u32_e32 v4, v7, v4
	ds_bpermute_b32 v7, v12, v4
	s_waitcnt lgkmcnt(0)
	v_cndmask_b32_e32 v7, 0, v7, vcc_lo
	v_cmp_le_u32_e32 vcc_lo, v15, v6
	s_delay_alu instid0(VALU_DEP_2) | instskip(SKIP_4) | instid1(VALU_DEP_2)
	v_add_nc_u32_e32 v4, v4, v7
	ds_bpermute_b32 v7, v14, v4
	s_waitcnt lgkmcnt(0)
	v_cndmask_b32_e32 v7, 0, v7, vcc_lo
	v_cmp_le_u32_e32 vcc_lo, v56, v6
	v_add_nc_u32_e32 v4, v4, v7
	ds_bpermute_b32 v7, v17, v4
	s_waitcnt lgkmcnt(0)
	v_cndmask_b32_e32 v7, 0, v7, vcc_lo
	v_cmp_le_u32_e32 vcc_lo, v58, v6
	s_delay_alu instid0(VALU_DEP_2) | instskip(SKIP_3) | instid1(VALU_DEP_1)
	v_add_nc_u32_e32 v4, v4, v7
	ds_bpermute_b32 v7, v57, v4
	s_waitcnt lgkmcnt(0)
	v_cndmask_b32_e32 v6, 0, v7, vcc_lo
	v_add3_u32 v4, v6, v16, v4
.LBB1203_56:                            ; =>This Loop Header: Depth=1
                                        ;     Child Loop BB1203_59 Depth 2
                                        ;       Child Loop BB1203_60 Depth 3
	s_delay_alu instid0(VALU_DEP_1) | instskip(NEXT) | instid1(VALU_DEP_1)
	v_dual_mov_b32 v16, v4 :: v_dual_and_b32 v5, 0xff, v5
	v_cmp_ne_u16_e32 vcc_lo, 2, v5
	v_cndmask_b32_e64 v5, 0, 1, vcc_lo
	;;#ASMSTART
	;;#ASMEND
	s_delay_alu instid0(VALU_DEP_1)
	v_cmp_ne_u32_e32 vcc_lo, 0, v5
	s_cmp_lg_u32 vcc_lo, exec_lo
	s_cbranch_scc1 .LBB1203_63
; %bb.57:                               ;   in Loop: Header=BB1203_56 Depth=1
	v_lshlrev_b64 v[4:5], 3, v[2:3]
	s_mov_b32 s22, exec_lo
	s_delay_alu instid0(VALU_DEP_1) | instskip(NEXT) | instid1(VALU_DEP_2)
	v_add_co_u32 v6, vcc_lo, s18, v4
	v_add_co_ci_u32_e32 v7, vcc_lo, s19, v5, vcc_lo
	global_load_b64 v[4:5], v[6:7], off glc
	s_waitcnt vmcnt(0)
	v_and_b32_e32 v59, 0xff, v5
	s_delay_alu instid0(VALU_DEP_1)
	v_cmpx_eq_u16_e32 0, v59
	s_cbranch_execz .LBB1203_55
; %bb.58:                               ;   in Loop: Header=BB1203_56 Depth=1
	s_mov_b32 s24, 1
	s_mov_b32 s23, 0
	.p2align	6
.LBB1203_59:                            ;   Parent Loop BB1203_56 Depth=1
                                        ; =>  This Loop Header: Depth=2
                                        ;       Child Loop BB1203_60 Depth 3
	s_max_u32 s25, s24, 1
.LBB1203_60:                            ;   Parent Loop BB1203_56 Depth=1
                                        ;     Parent Loop BB1203_59 Depth=2
                                        ; =>    This Inner Loop Header: Depth=3
	s_delay_alu instid0(SALU_CYCLE_1)
	s_add_i32 s25, s25, -1
	s_sleep 1
	s_cmp_eq_u32 s25, 0
	s_cbranch_scc0 .LBB1203_60
; %bb.61:                               ;   in Loop: Header=BB1203_59 Depth=2
	global_load_b64 v[4:5], v[6:7], off glc
	s_cmp_lt_u32 s24, 32
	s_cselect_b32 s25, -1, 0
	s_delay_alu instid0(SALU_CYCLE_1) | instskip(SKIP_3) | instid1(VALU_DEP_1)
	s_cmp_lg_u32 s25, 0
	s_addc_u32 s24, s24, 0
	s_waitcnt vmcnt(0)
	v_and_b32_e32 v59, 0xff, v5
	v_cmp_ne_u16_e32 vcc_lo, 0, v59
	s_or_b32 s23, vcc_lo, s23
	s_delay_alu instid0(SALU_CYCLE_1)
	s_and_not1_b32 exec_lo, exec_lo, s23
	s_cbranch_execnz .LBB1203_59
; %bb.62:                               ;   in Loop: Header=BB1203_56 Depth=1
	s_or_b32 exec_lo, exec_lo, s23
	s_branch .LBB1203_55
.LBB1203_63:                            ;   in Loop: Header=BB1203_56 Depth=1
                                        ; implicit-def: $vgpr4
                                        ; implicit-def: $vgpr5
	s_cbranch_execz .LBB1203_56
; %bb.64:
	s_and_saveexec_b32 s22, s7
	s_cbranch_execz .LBB1203_66
; %bb.65:
	s_add_i32 s24, s20, 32
	s_mov_b32 s25, 0
	v_dual_mov_b32 v3, 2 :: v_dual_add_nc_u32 v2, v16, v1
	s_lshl_b64 s[24:25], s[24:25], 3
	v_mov_b32_e32 v4, 0
	v_add_nc_u32_e64 v5, 0x3400, 0
	s_add_u32 s24, s18, s24
	s_addc_u32 s25, s19, s25
	global_store_b64 v4, v[2:3], s[24:25]
	ds_store_2addr_b32 v5, v1, v16 offset1:2
.LBB1203_66:
	s_or_b32 exec_lo, exec_lo, s22
	s_delay_alu instid0(SALU_CYCLE_1)
	s_and_b32 exec_lo, exec_lo, s2
	s_cbranch_execz .LBB1203_68
; %bb.67:
	v_mov_b32_e32 v1, 0
	ds_store_b32 v1, v16 offset:28
.LBB1203_68:
	s_or_b32 exec_lo, exec_lo, s21
	v_mov_b32_e32 v1, 0
	s_waitcnt lgkmcnt(0)
	s_waitcnt_vscnt null, 0x0
	s_barrier
	buffer_gl0_inv
	v_cndmask_b32_e64 v2, v9, v8, s7
	ds_load_b32 v1, v1 offset:28
	v_add_nc_u32_e64 v11, 0x3400, 0
	s_waitcnt lgkmcnt(0)
	s_barrier
	v_cndmask_b32_e64 v2, v2, 0, s2
	buffer_gl0_inv
	ds_load_2addr_b32 v[16:17], v11 offset1:2
	v_add_nc_u32_e32 v1, v1, v2
	s_delay_alu instid0(VALU_DEP_1) | instskip(NEXT) | instid1(VALU_DEP_1)
	v_add_nc_u32_e32 v2, v1, v44
	v_add_nc_u32_e32 v3, v2, v45
	s_delay_alu instid0(VALU_DEP_1) | instskip(NEXT) | instid1(VALU_DEP_1)
	v_add_nc_u32_e32 v4, v3, v46
	;; [unrolled: 3-line block ×6, first 2 shown]
	v_add_nc_u32_e32 v13, v12, v39
	s_branch .LBB1203_79
.LBB1203_69:
                                        ; implicit-def: $vgpr17
                                        ; implicit-def: $vgpr1_vgpr2_vgpr3_vgpr4_vgpr5_vgpr6_vgpr7_vgpr8_vgpr9_vgpr10_vgpr11_vgpr12_vgpr13_vgpr14_vgpr15_vgpr16
	s_and_b32 vcc_lo, exec_lo, s7
	s_cbranch_vccz .LBB1203_79
; %bb.70:
	s_delay_alu instid0(VALU_DEP_1) | instskip(NEXT) | instid1(VALU_DEP_1)
	v_mov_b32_dpp v1, v55 row_shr:1 row_mask:0xf bank_mask:0xf
	v_cndmask_b32_e64 v1, v1, 0, s6
	s_delay_alu instid0(VALU_DEP_1) | instskip(NEXT) | instid1(VALU_DEP_1)
	v_add_nc_u32_e32 v1, v1, v55
	v_mov_b32_dpp v2, v1 row_shr:2 row_mask:0xf bank_mask:0xf
	s_delay_alu instid0(VALU_DEP_1) | instskip(NEXT) | instid1(VALU_DEP_1)
	v_cndmask_b32_e64 v2, 0, v2, s5
	v_add_nc_u32_e32 v1, v1, v2
	s_delay_alu instid0(VALU_DEP_1) | instskip(NEXT) | instid1(VALU_DEP_1)
	v_mov_b32_dpp v2, v1 row_shr:4 row_mask:0xf bank_mask:0xf
	v_cndmask_b32_e64 v2, 0, v2, s4
	s_delay_alu instid0(VALU_DEP_1) | instskip(NEXT) | instid1(VALU_DEP_1)
	v_add_nc_u32_e32 v1, v1, v2
	v_mov_b32_dpp v2, v1 row_shr:8 row_mask:0xf bank_mask:0xf
	s_delay_alu instid0(VALU_DEP_1) | instskip(NEXT) | instid1(VALU_DEP_1)
	v_cndmask_b32_e64 v2, 0, v2, s3
	v_add_nc_u32_e32 v1, v1, v2
	ds_swizzle_b32 v2, v1 offset:swizzle(BROADCAST,32,15)
	s_waitcnt lgkmcnt(0)
	v_cndmask_b32_e64 v2, v2, 0, s1
	s_delay_alu instid0(VALU_DEP_1)
	v_add_nc_u32_e32 v1, v1, v2
	s_and_saveexec_b32 s1, s0
	s_cbranch_execz .LBB1203_72
; %bb.71:
	v_lshlrev_b32_e32 v2, 2, v54
	ds_store_b32 v2, v1
.LBB1203_72:
	s_or_b32 exec_lo, exec_lo, s1
	s_delay_alu instid0(SALU_CYCLE_1)
	s_mov_b32 s0, exec_lo
	s_waitcnt lgkmcnt(0)
	s_barrier
	buffer_gl0_inv
	v_cmpx_gt_u32_e32 8, v0
	s_cbranch_execz .LBB1203_74
; %bb.73:
	ds_load_b32 v2, v33
	s_waitcnt lgkmcnt(0)
	v_mov_b32_dpp v4, v2 row_shr:1 row_mask:0xf bank_mask:0xf
	v_and_b32_e32 v3, 7, v53
	s_delay_alu instid0(VALU_DEP_1) | instskip(NEXT) | instid1(VALU_DEP_3)
	v_cmp_ne_u32_e32 vcc_lo, 0, v3
	v_cndmask_b32_e32 v4, 0, v4, vcc_lo
	v_cmp_lt_u32_e32 vcc_lo, 1, v3
	s_delay_alu instid0(VALU_DEP_2) | instskip(NEXT) | instid1(VALU_DEP_1)
	v_add_nc_u32_e32 v2, v4, v2
	v_mov_b32_dpp v4, v2 row_shr:2 row_mask:0xf bank_mask:0xf
	s_delay_alu instid0(VALU_DEP_1) | instskip(SKIP_1) | instid1(VALU_DEP_2)
	v_cndmask_b32_e32 v4, 0, v4, vcc_lo
	v_cmp_lt_u32_e32 vcc_lo, 3, v3
	v_add_nc_u32_e32 v2, v2, v4
	s_delay_alu instid0(VALU_DEP_1) | instskip(NEXT) | instid1(VALU_DEP_1)
	v_mov_b32_dpp v4, v2 row_shr:4 row_mask:0xf bank_mask:0xf
	v_cndmask_b32_e32 v3, 0, v4, vcc_lo
	s_delay_alu instid0(VALU_DEP_1)
	v_add_nc_u32_e32 v2, v2, v3
	ds_store_b32 v33, v2
.LBB1203_74:
	s_or_b32 exec_lo, exec_lo, s0
	v_dual_mov_b32 v3, 0 :: v_dual_mov_b32 v2, 0
	s_mov_b32 s0, exec_lo
	s_waitcnt lgkmcnt(0)
	s_barrier
	buffer_gl0_inv
	v_cmpx_lt_u32_e32 31, v0
	s_cbranch_execz .LBB1203_76
; %bb.75:
	v_lshl_add_u32 v2, v54, 2, -4
	ds_load_b32 v2, v2
.LBB1203_76:
	s_or_b32 exec_lo, exec_lo, s0
	v_add_nc_u32_e32 v4, -1, v53
	s_waitcnt lgkmcnt(0)
	v_add_nc_u32_e32 v1, v2, v1
	ds_load_b32 v16, v3 offset:28
	v_cmp_gt_i32_e32 vcc_lo, 0, v4
	v_cndmask_b32_e32 v4, v4, v53, vcc_lo
	s_delay_alu instid0(VALU_DEP_1)
	v_lshlrev_b32_e32 v4, 2, v4
	ds_bpermute_b32 v1, v4, v1
	s_and_saveexec_b32 s0, s2
	s_cbranch_execz .LBB1203_78
; %bb.77:
	v_mov_b32_e32 v3, 0
	v_mov_b32_e32 v17, 2
	s_waitcnt lgkmcnt(1)
	global_store_b64 v3, v[16:17], s[18:19] offset:256
.LBB1203_78:
	s_or_b32 exec_lo, exec_lo, s0
	v_cmp_eq_u32_e32 vcc_lo, 0, v53
	s_waitcnt lgkmcnt(0)
	s_waitcnt_vscnt null, 0x0
	s_barrier
	buffer_gl0_inv
	v_mov_b32_e32 v17, 0
	v_cndmask_b32_e32 v1, v1, v2, vcc_lo
	s_delay_alu instid0(VALU_DEP_1) | instskip(NEXT) | instid1(VALU_DEP_1)
	v_cndmask_b32_e64 v1, v1, 0, s2
	v_add_nc_u32_e32 v2, v1, v44
	s_delay_alu instid0(VALU_DEP_1) | instskip(NEXT) | instid1(VALU_DEP_1)
	v_add_nc_u32_e32 v3, v2, v45
	v_add_nc_u32_e32 v4, v3, v46
	s_delay_alu instid0(VALU_DEP_1) | instskip(NEXT) | instid1(VALU_DEP_1)
	v_add_nc_u32_e32 v5, v4, v43
	v_add_nc_u32_e32 v6, v5, v47
	s_delay_alu instid0(VALU_DEP_1) | instskip(NEXT) | instid1(VALU_DEP_1)
	v_add_nc_u32_e32 v7, v6, v48
	v_add_nc_u32_e32 v8, v7, v49
	s_delay_alu instid0(VALU_DEP_1) | instskip(NEXT) | instid1(VALU_DEP_1)
	v_add_nc_u32_e32 v9, v8, v41
	v_add_nc_u32_e32 v10, v9, v50
	s_delay_alu instid0(VALU_DEP_1) | instskip(NEXT) | instid1(VALU_DEP_1)
	v_add_nc_u32_e32 v11, v10, v51
	v_add_nc_u32_e32 v12, v11, v52
	s_delay_alu instid0(VALU_DEP_1)
	v_add_nc_u32_e32 v13, v12, v39
.LBB1203_79:
	s_waitcnt lgkmcnt(0)
	v_sub_nc_u32_e32 v1, v1, v17
	v_sub_nc_u32_e32 v2, v2, v17
	v_add_nc_u32_e32 v36, v16, v36
	v_lshrrev_b32_e32 v47, 8, v42
	v_lshrrev_b32_e32 v46, 16, v42
	v_sub_nc_u32_e32 v4, v4, v17
	v_sub_nc_u32_e32 v3, v3, v17
	;; [unrolled: 1-line block ×3, first 2 shown]
	v_and_b32_e32 v42, 1, v42
	v_and_b32_e32 v47, 1, v47
	;; [unrolled: 1-line block ×3, first 2 shown]
	v_lshrrev_b32_e32 v45, 8, v40
	v_lshrrev_b32_e32 v44, 16, v40
	v_cmp_eq_u32_e32 vcc_lo, 1, v42
	v_and_b32_e32 v42, 1, v46
	v_sub_nc_u32_e32 v46, v36, v2
	v_lshrrev_b32_e32 v15, 8, v38
	v_lshrrev_b32_e32 v14, 16, v38
	v_cndmask_b32_e32 v1, v48, v1, vcc_lo
	v_cmp_eq_u32_e32 vcc_lo, 1, v47
	v_add_nc_u32_e32 v46, 1, v46
	s_delay_alu instid0(VALU_DEP_3)
	v_lshlrev_b32_e32 v1, 2, v1
	ds_store_b32 v1, v30
	v_cndmask_b32_e32 v1, v46, v2, vcc_lo
	v_sub_nc_u32_e32 v48, v36, v3
	v_sub_nc_u32_e32 v49, v36, v4
	v_cmp_eq_u32_e32 vcc_lo, 1, v42
	v_or_b32_e32 v30, 0x300, v0
	v_lshlrev_b32_e32 v1, 2, v1
	v_add_nc_u32_e32 v48, 2, v48
	v_add_nc_u32_e32 v49, 3, v49
	ds_store_b32 v1, v31
	v_cndmask_b32_e32 v2, v48, v3, vcc_lo
	v_cmp_eq_u32_e32 vcc_lo, 1, v43
	v_or_b32_e32 v31, 0x200, v0
	s_delay_alu instid0(VALU_DEP_3) | instskip(SKIP_2) | instid1(VALU_DEP_3)
	v_dual_cndmask_b32 v3, v49, v4 :: v_dual_lshlrev_b32 v2, 2, v2
	v_sub_nc_u32_e32 v4, v5, v17
	v_sub_nc_u32_e32 v5, v6, v17
	v_lshlrev_b32_e32 v3, 2, v3
	s_delay_alu instid0(VALU_DEP_3) | instskip(NEXT) | instid1(VALU_DEP_3)
	v_sub_nc_u32_e32 v1, v36, v4
	v_sub_nc_u32_e32 v6, v36, v5
	ds_store_b32 v2, v28
	ds_store_b32 v3, v29
	v_and_b32_e32 v2, 1, v40
	v_add_nc_u32_e32 v1, 4, v1
	v_add_nc_u32_e32 v3, 5, v6
	v_sub_nc_u32_e32 v6, v7, v17
	v_and_b32_e32 v7, 1, v45
	v_cmp_eq_u32_e32 vcc_lo, 1, v2
	v_sub_nc_u32_e32 v2, v8, v17
	v_and_b32_e32 v8, 1, v41
	v_or_b32_e32 v29, 0x400, v0
	v_or_b32_e32 v28, 0x500, v0
	v_cndmask_b32_e32 v1, v1, v4, vcc_lo
	v_sub_nc_u32_e32 v4, v36, v6
	v_cmp_eq_u32_e32 vcc_lo, 1, v7
	v_and_b32_e32 v7, 1, v44
	s_delay_alu instid0(VALU_DEP_4) | instskip(NEXT) | instid1(VALU_DEP_4)
	v_lshlrev_b32_e32 v1, 2, v1
	v_dual_cndmask_b32 v3, v3, v5 :: v_dual_add_nc_u32 v4, 6, v4
	v_sub_nc_u32_e32 v5, v36, v2
	s_delay_alu instid0(VALU_DEP_4) | instskip(SKIP_2) | instid1(VALU_DEP_4)
	v_cmp_eq_u32_e32 vcc_lo, 1, v7
	v_sub_nc_u32_e32 v7, v13, v17
	v_add_co_u32 v13, s0, s16, v32
	v_dual_cndmask_b32 v4, v4, v6 :: v_dual_add_nc_u32 v5, 7, v5
	v_cmp_eq_u32_e32 vcc_lo, 1, v8
	v_sub_nc_u32_e32 v6, v9, v17
	v_lshlrev_b32_e32 v3, 2, v3
	ds_store_b32 v1, v26
	ds_store_b32 v3, v27
	v_cndmask_b32_e32 v2, v5, v2, vcc_lo
	v_sub_nc_u32_e32 v1, v36, v6
	v_lshlrev_b32_e32 v3, 2, v4
	v_and_b32_e32 v5, 1, v38
	v_sub_nc_u32_e32 v4, v10, v17
	v_lshlrev_b32_e32 v2, 2, v2
	v_add_nc_u32_e32 v1, 8, v1
	ds_store_b32 v3, v24
	ds_store_b32 v2, v25
	v_cmp_eq_u32_e32 vcc_lo, 1, v5
	v_sub_nc_u32_e32 v3, v11, v17
	v_sub_nc_u32_e32 v2, v36, v4
	;; [unrolled: 1-line block ×3, first 2 shown]
	v_dual_cndmask_b32 v1, v1, v6 :: v_dual_and_b32 v10, 1, v39
	v_and_b32_e32 v6, 1, v15
	v_sub_nc_u32_e32 v8, v36, v3
	v_add_nc_u32_e32 v2, 9, v2
	v_sub_nc_u32_e32 v9, v36, v5
	v_and_b32_e32 v11, 1, v37
	v_cmp_eq_u32_e32 vcc_lo, 1, v6
	v_add_nc_u32_e32 v6, 10, v8
	v_and_b32_e32 v8, 1, v14
	v_add_nc_u32_e32 v9, 11, v9
	v_dual_cndmask_b32 v2, v2, v4 :: v_dual_lshlrev_b32 v1, 2, v1
	v_sub_nc_u32_e32 v4, v36, v7
	s_delay_alu instid0(VALU_DEP_4) | instskip(SKIP_1) | instid1(VALU_DEP_4)
	v_cmp_eq_u32_e32 vcc_lo, 1, v8
	v_add_co_ci_u32_e64 v14, null, s17, 0, s0
	v_lshlrev_b32_e32 v2, 2, v2
	s_delay_alu instid0(VALU_DEP_4)
	v_dual_cndmask_b32 v3, v6, v3 :: v_dual_add_nc_u32 v4, 12, v4
	v_cmp_eq_u32_e32 vcc_lo, 1, v10
	v_or_b32_e32 v27, 0x600, v0
	v_or_b32_e32 v26, 0x700, v0
	;; [unrolled: 1-line block ×3, first 2 shown]
	v_lshlrev_b32_e32 v3, 2, v3
	v_cndmask_b32_e32 v5, v9, v5, vcc_lo
	v_cmp_eq_u32_e32 vcc_lo, 1, v11
	v_or_b32_e32 v24, 0x900, v0
	s_delay_alu instid0(VALU_DEP_3) | instskip(SKIP_2) | instid1(VALU_DEP_3)
	v_dual_cndmask_b32 v4, v4, v7 :: v_dual_lshlrev_b32 v5, 2, v5
	v_sub_co_u32 v13, vcc_lo, s14, v13
	v_sub_co_ci_u32_e32 v14, vcc_lo, s15, v14, vcc_lo
	v_lshlrev_b32_e32 v4, 2, v4
	ds_store_b32 v1, v22
	ds_store_b32 v2, v23
	;; [unrolled: 1-line block ×5, first 2 shown]
	s_waitcnt lgkmcnt(0)
	s_barrier
	buffer_gl0_inv
	ds_load_2addr_stride64_b32 v[11:12], v33 offset1:4
	ds_load_2addr_stride64_b32 v[9:10], v33 offset0:8 offset1:12
	ds_load_2addr_stride64_b32 v[7:8], v33 offset0:16 offset1:20
	;; [unrolled: 1-line block ×5, first 2 shown]
	ds_load_b32 v20, v33 offset:12288
	v_add_co_u32 v15, vcc_lo, v18, v17
	v_add_co_ci_u32_e32 v17, vcc_lo, 0, v19, vcc_lo
	v_add_co_u32 v13, vcc_lo, v13, v16
	v_add_co_ci_u32_e32 v14, vcc_lo, 0, v14, vcc_lo
	v_cmp_ne_u32_e32 vcc_lo, 1, v34
	s_delay_alu instid0(VALU_DEP_3)
	v_add_co_u32 v18, s0, v13, v15
	v_or_b32_e32 v35, 0x100, v0
	v_or_b32_e32 v23, 0xa00, v0
	;; [unrolled: 1-line block ×4, first 2 shown]
	v_add_co_ci_u32_e64 v19, s0, v14, v17, s0
	s_mov_b32 s0, 0
	s_cbranch_vccnz .LBB1203_136
; %bb.80:
	s_mov_b32 s0, exec_lo
                                        ; implicit-def: $vgpr13_vgpr14
	v_cmpx_ge_u32_e64 v0, v16
	s_xor_b32 s0, exec_lo, s0
; %bb.81:
	v_not_b32_e32 v13, v0
	s_delay_alu instid0(VALU_DEP_1) | instskip(SKIP_1) | instid1(VALU_DEP_2)
	v_ashrrev_i32_e32 v14, 31, v13
	v_add_co_u32 v13, vcc_lo, v18, v13
	v_add_co_ci_u32_e32 v14, vcc_lo, v19, v14, vcc_lo
; %bb.82:
	s_and_not1_saveexec_b32 s0, s0
; %bb.83:
	v_add_co_u32 v13, vcc_lo, v15, v0
	v_add_co_ci_u32_e32 v14, vcc_lo, 0, v17, vcc_lo
; %bb.84:
	s_or_b32 exec_lo, exec_lo, s0
	s_delay_alu instid0(VALU_DEP_1) | instskip(SKIP_1) | instid1(VALU_DEP_1)
	v_lshlrev_b64 v[13:14], 2, v[13:14]
	s_mov_b32 s0, exec_lo
	v_add_co_u32 v13, vcc_lo, s12, v13
	s_delay_alu instid0(VALU_DEP_2)
	v_add_co_ci_u32_e32 v14, vcc_lo, s13, v14, vcc_lo
	s_waitcnt lgkmcnt(6)
	global_store_b32 v[13:14], v11, off
                                        ; implicit-def: $vgpr13_vgpr14
	v_cmpx_ge_u32_e64 v35, v16
	s_xor_b32 s0, exec_lo, s0
; %bb.85:
	v_xor_b32_e32 v13, 0xfffffeff, v0
	s_delay_alu instid0(VALU_DEP_1) | instskip(SKIP_1) | instid1(VALU_DEP_2)
	v_ashrrev_i32_e32 v14, 31, v13
	v_add_co_u32 v13, vcc_lo, v18, v13
	v_add_co_ci_u32_e32 v14, vcc_lo, v19, v14, vcc_lo
; %bb.86:
	s_and_not1_saveexec_b32 s0, s0
; %bb.87:
	v_add_co_u32 v13, vcc_lo, v15, v35
	v_add_co_ci_u32_e32 v14, vcc_lo, 0, v17, vcc_lo
; %bb.88:
	s_or_b32 exec_lo, exec_lo, s0
	s_delay_alu instid0(VALU_DEP_1) | instskip(SKIP_1) | instid1(VALU_DEP_1)
	v_lshlrev_b64 v[13:14], 2, v[13:14]
	s_mov_b32 s0, exec_lo
	v_add_co_u32 v13, vcc_lo, s12, v13
	s_delay_alu instid0(VALU_DEP_2)
	v_add_co_ci_u32_e32 v14, vcc_lo, s13, v14, vcc_lo
	global_store_b32 v[13:14], v12, off
                                        ; implicit-def: $vgpr13_vgpr14
	v_cmpx_ge_u32_e64 v31, v16
	s_xor_b32 s0, exec_lo, s0
; %bb.89:
	v_xor_b32_e32 v13, 0xfffffdff, v0
	s_delay_alu instid0(VALU_DEP_1) | instskip(SKIP_1) | instid1(VALU_DEP_2)
	v_ashrrev_i32_e32 v14, 31, v13
	v_add_co_u32 v13, vcc_lo, v18, v13
	v_add_co_ci_u32_e32 v14, vcc_lo, v19, v14, vcc_lo
; %bb.90:
	s_and_not1_saveexec_b32 s0, s0
; %bb.91:
	v_add_co_u32 v13, vcc_lo, v15, v31
	v_add_co_ci_u32_e32 v14, vcc_lo, 0, v17, vcc_lo
; %bb.92:
	s_or_b32 exec_lo, exec_lo, s0
	s_delay_alu instid0(VALU_DEP_1) | instskip(SKIP_1) | instid1(VALU_DEP_1)
	v_lshlrev_b64 v[13:14], 2, v[13:14]
	s_mov_b32 s0, exec_lo
	v_add_co_u32 v13, vcc_lo, s12, v13
	s_delay_alu instid0(VALU_DEP_2)
	v_add_co_ci_u32_e32 v14, vcc_lo, s13, v14, vcc_lo
	s_waitcnt lgkmcnt(5)
	global_store_b32 v[13:14], v9, off
                                        ; implicit-def: $vgpr13_vgpr14
	v_cmpx_ge_u32_e64 v30, v16
	s_xor_b32 s0, exec_lo, s0
; %bb.93:
	v_xor_b32_e32 v13, 0xfffffcff, v0
	s_delay_alu instid0(VALU_DEP_1) | instskip(SKIP_1) | instid1(VALU_DEP_2)
	v_ashrrev_i32_e32 v14, 31, v13
	v_add_co_u32 v13, vcc_lo, v18, v13
	v_add_co_ci_u32_e32 v14, vcc_lo, v19, v14, vcc_lo
; %bb.94:
	s_and_not1_saveexec_b32 s0, s0
; %bb.95:
	v_add_co_u32 v13, vcc_lo, v15, v30
	v_add_co_ci_u32_e32 v14, vcc_lo, 0, v17, vcc_lo
; %bb.96:
	s_or_b32 exec_lo, exec_lo, s0
	s_delay_alu instid0(VALU_DEP_1) | instskip(SKIP_1) | instid1(VALU_DEP_1)
	v_lshlrev_b64 v[13:14], 2, v[13:14]
	s_mov_b32 s0, exec_lo
	v_add_co_u32 v13, vcc_lo, s12, v13
	s_delay_alu instid0(VALU_DEP_2)
	v_add_co_ci_u32_e32 v14, vcc_lo, s13, v14, vcc_lo
	global_store_b32 v[13:14], v10, off
                                        ; implicit-def: $vgpr13_vgpr14
	v_cmpx_ge_u32_e64 v29, v16
	s_xor_b32 s0, exec_lo, s0
; %bb.97:
	v_xor_b32_e32 v13, 0xfffffbff, v0
	;; [unrolled: 47-line block ×6, first 2 shown]
	s_delay_alu instid0(VALU_DEP_1) | instskip(SKIP_1) | instid1(VALU_DEP_2)
	v_ashrrev_i32_e32 v14, 31, v13
	v_add_co_u32 v13, vcc_lo, v18, v13
	v_add_co_ci_u32_e32 v14, vcc_lo, v19, v14, vcc_lo
; %bb.130:
	s_and_not1_saveexec_b32 s0, s0
; %bb.131:
	v_add_co_u32 v13, vcc_lo, v15, v21
	v_add_co_ci_u32_e32 v14, vcc_lo, 0, v17, vcc_lo
; %bb.132:
	s_or_b32 exec_lo, exec_lo, s0
	s_mov_b32 s0, -1
.LBB1203_133:
	s_delay_alu instid0(SALU_CYCLE_1)
	s_and_saveexec_b32 s1, s0
	s_cbranch_execz .LBB1203_216
.LBB1203_134:
	s_waitcnt lgkmcnt(1)
	v_lshlrev_b64 v[0:1], 2, v[13:14]
	s_delay_alu instid0(VALU_DEP_1) | instskip(NEXT) | instid1(VALU_DEP_2)
	v_add_co_u32 v0, vcc_lo, s12, v0
	v_add_co_ci_u32_e32 v1, vcc_lo, s13, v1, vcc_lo
	s_waitcnt lgkmcnt(0)
	global_store_b32 v[0:1], v20, off
	s_or_b32 exec_lo, exec_lo, s1
	s_and_b32 s0, s2, s10
	s_delay_alu instid0(SALU_CYCLE_1)
	s_and_saveexec_b32 s1, s0
	s_cbranch_execnz .LBB1203_217
.LBB1203_135:
	s_nop 0
	s_sendmsg sendmsg(MSG_DEALLOC_VGPRS)
	s_endpgm
.LBB1203_136:
                                        ; implicit-def: $vgpr13_vgpr14
	s_cbranch_execz .LBB1203_133
; %bb.137:
	s_mov_b32 s1, exec_lo
	v_cmpx_gt_u32_e64 s11, v0
	s_cbranch_execz .LBB1203_173
; %bb.138:
	s_mov_b32 s3, exec_lo
                                        ; implicit-def: $vgpr13_vgpr14
	v_cmpx_ge_u32_e64 v0, v16
	s_xor_b32 s3, exec_lo, s3
; %bb.139:
	v_not_b32_e32 v13, v0
	s_delay_alu instid0(VALU_DEP_1) | instskip(SKIP_1) | instid1(VALU_DEP_2)
	v_ashrrev_i32_e32 v14, 31, v13
	v_add_co_u32 v13, vcc_lo, v18, v13
	v_add_co_ci_u32_e32 v14, vcc_lo, v19, v14, vcc_lo
; %bb.140:
	s_and_not1_saveexec_b32 s3, s3
; %bb.141:
	v_add_co_u32 v13, vcc_lo, v15, v0
	v_add_co_ci_u32_e32 v14, vcc_lo, 0, v17, vcc_lo
; %bb.142:
	s_or_b32 exec_lo, exec_lo, s3
	s_delay_alu instid0(VALU_DEP_1) | instskip(NEXT) | instid1(VALU_DEP_1)
	v_lshlrev_b64 v[13:14], 2, v[13:14]
	v_add_co_u32 v13, vcc_lo, s12, v13
	s_delay_alu instid0(VALU_DEP_2) | instskip(SKIP_3) | instid1(SALU_CYCLE_1)
	v_add_co_ci_u32_e32 v14, vcc_lo, s13, v14, vcc_lo
	s_waitcnt lgkmcnt(6)
	global_store_b32 v[13:14], v11, off
	s_or_b32 exec_lo, exec_lo, s1
	s_mov_b32 s1, exec_lo
	v_cmpx_gt_u32_e64 s11, v35
	s_cbranch_execnz .LBB1203_174
.LBB1203_143:
	s_or_b32 exec_lo, exec_lo, s1
	s_delay_alu instid0(SALU_CYCLE_1)
	s_mov_b32 s1, exec_lo
	v_cmpx_gt_u32_e64 s11, v31
	s_cbranch_execz .LBB1203_179
.LBB1203_144:
	s_mov_b32 s3, exec_lo
                                        ; implicit-def: $vgpr11_vgpr12
	v_cmpx_ge_u32_e64 v31, v16
	s_xor_b32 s3, exec_lo, s3
	s_cbranch_execz .LBB1203_146
; %bb.145:
	s_waitcnt lgkmcnt(6)
	v_xor_b32_e32 v11, 0xfffffdff, v0
                                        ; implicit-def: $vgpr31
	s_delay_alu instid0(VALU_DEP_1) | instskip(SKIP_1) | instid1(VALU_DEP_2)
	v_ashrrev_i32_e32 v12, 31, v11
	v_add_co_u32 v11, vcc_lo, v18, v11
	v_add_co_ci_u32_e32 v12, vcc_lo, v19, v12, vcc_lo
.LBB1203_146:
	s_and_not1_saveexec_b32 s3, s3
	s_cbranch_execz .LBB1203_148
; %bb.147:
	s_waitcnt lgkmcnt(6)
	v_add_co_u32 v11, vcc_lo, v15, v31
	v_add_co_ci_u32_e32 v12, vcc_lo, 0, v17, vcc_lo
.LBB1203_148:
	s_or_b32 exec_lo, exec_lo, s3
	s_waitcnt lgkmcnt(6)
	s_delay_alu instid0(VALU_DEP_1) | instskip(NEXT) | instid1(VALU_DEP_1)
	v_lshlrev_b64 v[11:12], 2, v[11:12]
	v_add_co_u32 v11, vcc_lo, s12, v11
	s_delay_alu instid0(VALU_DEP_2) | instskip(SKIP_3) | instid1(SALU_CYCLE_1)
	v_add_co_ci_u32_e32 v12, vcc_lo, s13, v12, vcc_lo
	s_waitcnt lgkmcnt(5)
	global_store_b32 v[11:12], v9, off
	s_or_b32 exec_lo, exec_lo, s1
	s_mov_b32 s1, exec_lo
	v_cmpx_gt_u32_e64 s11, v30
	s_cbranch_execnz .LBB1203_180
.LBB1203_149:
	s_or_b32 exec_lo, exec_lo, s1
	s_delay_alu instid0(SALU_CYCLE_1)
	s_mov_b32 s1, exec_lo
	v_cmpx_gt_u32_e64 s11, v29
	s_cbranch_execz .LBB1203_185
.LBB1203_150:
	s_mov_b32 s3, exec_lo
                                        ; implicit-def: $vgpr9_vgpr10
	v_cmpx_ge_u32_e64 v29, v16
	s_xor_b32 s3, exec_lo, s3
	s_cbranch_execz .LBB1203_152
; %bb.151:
	s_waitcnt lgkmcnt(5)
	v_xor_b32_e32 v9, 0xfffffbff, v0
                                        ; implicit-def: $vgpr29
	s_delay_alu instid0(VALU_DEP_1) | instskip(SKIP_1) | instid1(VALU_DEP_2)
	v_ashrrev_i32_e32 v10, 31, v9
	v_add_co_u32 v9, vcc_lo, v18, v9
	v_add_co_ci_u32_e32 v10, vcc_lo, v19, v10, vcc_lo
.LBB1203_152:
	s_and_not1_saveexec_b32 s3, s3
	s_cbranch_execz .LBB1203_154
; %bb.153:
	s_waitcnt lgkmcnt(5)
	v_add_co_u32 v9, vcc_lo, v15, v29
	v_add_co_ci_u32_e32 v10, vcc_lo, 0, v17, vcc_lo
.LBB1203_154:
	s_or_b32 exec_lo, exec_lo, s3
	s_waitcnt lgkmcnt(5)
	s_delay_alu instid0(VALU_DEP_1) | instskip(NEXT) | instid1(VALU_DEP_1)
	v_lshlrev_b64 v[9:10], 2, v[9:10]
	v_add_co_u32 v9, vcc_lo, s12, v9
	s_delay_alu instid0(VALU_DEP_2) | instskip(SKIP_3) | instid1(SALU_CYCLE_1)
	v_add_co_ci_u32_e32 v10, vcc_lo, s13, v10, vcc_lo
	s_waitcnt lgkmcnt(4)
	global_store_b32 v[9:10], v7, off
	s_or_b32 exec_lo, exec_lo, s1
	s_mov_b32 s1, exec_lo
	v_cmpx_gt_u32_e64 s11, v28
	s_cbranch_execnz .LBB1203_186
.LBB1203_155:
	s_or_b32 exec_lo, exec_lo, s1
	s_delay_alu instid0(SALU_CYCLE_1)
	s_mov_b32 s1, exec_lo
	v_cmpx_gt_u32_e64 s11, v27
	s_cbranch_execz .LBB1203_191
.LBB1203_156:
	s_mov_b32 s3, exec_lo
                                        ; implicit-def: $vgpr7_vgpr8
	v_cmpx_ge_u32_e64 v27, v16
	s_xor_b32 s3, exec_lo, s3
	s_cbranch_execz .LBB1203_158
; %bb.157:
	s_waitcnt lgkmcnt(4)
	v_xor_b32_e32 v7, 0xfffff9ff, v0
                                        ; implicit-def: $vgpr27
	s_delay_alu instid0(VALU_DEP_1) | instskip(SKIP_1) | instid1(VALU_DEP_2)
	v_ashrrev_i32_e32 v8, 31, v7
	v_add_co_u32 v7, vcc_lo, v18, v7
	v_add_co_ci_u32_e32 v8, vcc_lo, v19, v8, vcc_lo
.LBB1203_158:
	s_and_not1_saveexec_b32 s3, s3
	s_cbranch_execz .LBB1203_160
; %bb.159:
	s_waitcnt lgkmcnt(4)
	v_add_co_u32 v7, vcc_lo, v15, v27
	v_add_co_ci_u32_e32 v8, vcc_lo, 0, v17, vcc_lo
.LBB1203_160:
	s_or_b32 exec_lo, exec_lo, s3
	s_waitcnt lgkmcnt(4)
	s_delay_alu instid0(VALU_DEP_1) | instskip(NEXT) | instid1(VALU_DEP_1)
	v_lshlrev_b64 v[7:8], 2, v[7:8]
	v_add_co_u32 v7, vcc_lo, s12, v7
	s_delay_alu instid0(VALU_DEP_2) | instskip(SKIP_3) | instid1(SALU_CYCLE_1)
	v_add_co_ci_u32_e32 v8, vcc_lo, s13, v8, vcc_lo
	s_waitcnt lgkmcnt(3)
	global_store_b32 v[7:8], v5, off
	s_or_b32 exec_lo, exec_lo, s1
	s_mov_b32 s1, exec_lo
	v_cmpx_gt_u32_e64 s11, v26
	s_cbranch_execnz .LBB1203_192
.LBB1203_161:
	s_or_b32 exec_lo, exec_lo, s1
	s_delay_alu instid0(SALU_CYCLE_1)
	s_mov_b32 s1, exec_lo
	v_cmpx_gt_u32_e64 s11, v25
	s_cbranch_execz .LBB1203_197
.LBB1203_162:
	s_mov_b32 s3, exec_lo
                                        ; implicit-def: $vgpr5_vgpr6
	v_cmpx_ge_u32_e64 v25, v16
	s_xor_b32 s3, exec_lo, s3
	s_cbranch_execz .LBB1203_164
; %bb.163:
	s_waitcnt lgkmcnt(3)
	v_xor_b32_e32 v5, 0xfffff7ff, v0
                                        ; implicit-def: $vgpr25
	s_delay_alu instid0(VALU_DEP_1) | instskip(SKIP_1) | instid1(VALU_DEP_2)
	v_ashrrev_i32_e32 v6, 31, v5
	v_add_co_u32 v5, vcc_lo, v18, v5
	v_add_co_ci_u32_e32 v6, vcc_lo, v19, v6, vcc_lo
.LBB1203_164:
	s_and_not1_saveexec_b32 s3, s3
	s_cbranch_execz .LBB1203_166
; %bb.165:
	s_waitcnt lgkmcnt(3)
	v_add_co_u32 v5, vcc_lo, v15, v25
	v_add_co_ci_u32_e32 v6, vcc_lo, 0, v17, vcc_lo
.LBB1203_166:
	s_or_b32 exec_lo, exec_lo, s3
	s_waitcnt lgkmcnt(3)
	s_delay_alu instid0(VALU_DEP_1) | instskip(NEXT) | instid1(VALU_DEP_1)
	v_lshlrev_b64 v[5:6], 2, v[5:6]
	v_add_co_u32 v5, vcc_lo, s12, v5
	s_delay_alu instid0(VALU_DEP_2) | instskip(SKIP_3) | instid1(SALU_CYCLE_1)
	v_add_co_ci_u32_e32 v6, vcc_lo, s13, v6, vcc_lo
	s_waitcnt lgkmcnt(2)
	global_store_b32 v[5:6], v3, off
	s_or_b32 exec_lo, exec_lo, s1
	s_mov_b32 s1, exec_lo
	v_cmpx_gt_u32_e64 s11, v24
	s_cbranch_execnz .LBB1203_198
.LBB1203_167:
	s_or_b32 exec_lo, exec_lo, s1
	s_delay_alu instid0(SALU_CYCLE_1)
	s_mov_b32 s1, exec_lo
	v_cmpx_gt_u32_e64 s11, v23
	s_cbranch_execz .LBB1203_203
.LBB1203_168:
	s_mov_b32 s3, exec_lo
                                        ; implicit-def: $vgpr3_vgpr4
	v_cmpx_ge_u32_e64 v23, v16
	s_xor_b32 s3, exec_lo, s3
	s_cbranch_execz .LBB1203_170
; %bb.169:
	s_waitcnt lgkmcnt(2)
	v_xor_b32_e32 v3, 0xfffff5ff, v0
                                        ; implicit-def: $vgpr23
	s_delay_alu instid0(VALU_DEP_1) | instskip(SKIP_1) | instid1(VALU_DEP_2)
	v_ashrrev_i32_e32 v4, 31, v3
	v_add_co_u32 v3, vcc_lo, v18, v3
	v_add_co_ci_u32_e32 v4, vcc_lo, v19, v4, vcc_lo
.LBB1203_170:
	s_and_not1_saveexec_b32 s3, s3
	s_cbranch_execz .LBB1203_172
; %bb.171:
	s_waitcnt lgkmcnt(2)
	v_add_co_u32 v3, vcc_lo, v15, v23
	v_add_co_ci_u32_e32 v4, vcc_lo, 0, v17, vcc_lo
.LBB1203_172:
	s_or_b32 exec_lo, exec_lo, s3
	s_waitcnt lgkmcnt(2)
	s_delay_alu instid0(VALU_DEP_1) | instskip(NEXT) | instid1(VALU_DEP_1)
	v_lshlrev_b64 v[3:4], 2, v[3:4]
	v_add_co_u32 v3, vcc_lo, s12, v3
	s_delay_alu instid0(VALU_DEP_2) | instskip(SKIP_3) | instid1(SALU_CYCLE_1)
	v_add_co_ci_u32_e32 v4, vcc_lo, s13, v4, vcc_lo
	s_waitcnt lgkmcnt(1)
	global_store_b32 v[3:4], v1, off
	s_or_b32 exec_lo, exec_lo, s1
	s_mov_b32 s1, exec_lo
	v_cmpx_gt_u32_e64 s11, v22
	s_cbranch_execz .LBB1203_209
	s_branch .LBB1203_204
.LBB1203_173:
	s_or_b32 exec_lo, exec_lo, s1
	s_delay_alu instid0(SALU_CYCLE_1)
	s_mov_b32 s1, exec_lo
	v_cmpx_gt_u32_e64 s11, v35
	s_cbranch_execz .LBB1203_143
.LBB1203_174:
	s_mov_b32 s3, exec_lo
                                        ; implicit-def: $vgpr13_vgpr14
	v_cmpx_ge_u32_e64 v35, v16
	s_xor_b32 s3, exec_lo, s3
	s_cbranch_execz .LBB1203_176
; %bb.175:
	s_waitcnt lgkmcnt(6)
	v_xor_b32_e32 v11, 0xfffffeff, v0
                                        ; implicit-def: $vgpr35
	s_delay_alu instid0(VALU_DEP_1) | instskip(SKIP_1) | instid1(VALU_DEP_2)
	v_ashrrev_i32_e32 v14, 31, v11
	v_add_co_u32 v13, vcc_lo, v18, v11
	v_add_co_ci_u32_e32 v14, vcc_lo, v19, v14, vcc_lo
.LBB1203_176:
	s_and_not1_saveexec_b32 s3, s3
; %bb.177:
	v_add_co_u32 v13, vcc_lo, v15, v35
	v_add_co_ci_u32_e32 v14, vcc_lo, 0, v17, vcc_lo
; %bb.178:
	s_or_b32 exec_lo, exec_lo, s3
	s_delay_alu instid0(VALU_DEP_1) | instskip(NEXT) | instid1(VALU_DEP_1)
	v_lshlrev_b64 v[13:14], 2, v[13:14]
	v_add_co_u32 v13, vcc_lo, s12, v13
	s_delay_alu instid0(VALU_DEP_2) | instskip(SKIP_3) | instid1(SALU_CYCLE_1)
	v_add_co_ci_u32_e32 v14, vcc_lo, s13, v14, vcc_lo
	s_waitcnt lgkmcnt(6)
	global_store_b32 v[13:14], v12, off
	s_or_b32 exec_lo, exec_lo, s1
	s_mov_b32 s1, exec_lo
	v_cmpx_gt_u32_e64 s11, v31
	s_cbranch_execnz .LBB1203_144
.LBB1203_179:
	s_or_b32 exec_lo, exec_lo, s1
	s_delay_alu instid0(SALU_CYCLE_1)
	s_mov_b32 s1, exec_lo
	v_cmpx_gt_u32_e64 s11, v30
	s_cbranch_execz .LBB1203_149
.LBB1203_180:
	s_mov_b32 s3, exec_lo
                                        ; implicit-def: $vgpr11_vgpr12
	v_cmpx_ge_u32_e64 v30, v16
	s_xor_b32 s3, exec_lo, s3
	s_cbranch_execz .LBB1203_182
; %bb.181:
	s_waitcnt lgkmcnt(5)
	v_xor_b32_e32 v9, 0xfffffcff, v0
                                        ; implicit-def: $vgpr30
	s_delay_alu instid0(VALU_DEP_1) | instskip(SKIP_1) | instid1(VALU_DEP_2)
	v_ashrrev_i32_e32 v12, 31, v9
	v_add_co_u32 v11, vcc_lo, v18, v9
	v_add_co_ci_u32_e32 v12, vcc_lo, v19, v12, vcc_lo
.LBB1203_182:
	s_and_not1_saveexec_b32 s3, s3
	s_cbranch_execz .LBB1203_184
; %bb.183:
	s_waitcnt lgkmcnt(6)
	v_add_co_u32 v11, vcc_lo, v15, v30
	v_add_co_ci_u32_e32 v12, vcc_lo, 0, v17, vcc_lo
.LBB1203_184:
	s_or_b32 exec_lo, exec_lo, s3
	s_waitcnt lgkmcnt(6)
	s_delay_alu instid0(VALU_DEP_1) | instskip(NEXT) | instid1(VALU_DEP_1)
	v_lshlrev_b64 v[11:12], 2, v[11:12]
	v_add_co_u32 v11, vcc_lo, s12, v11
	s_delay_alu instid0(VALU_DEP_2) | instskip(SKIP_3) | instid1(SALU_CYCLE_1)
	v_add_co_ci_u32_e32 v12, vcc_lo, s13, v12, vcc_lo
	s_waitcnt lgkmcnt(5)
	global_store_b32 v[11:12], v10, off
	s_or_b32 exec_lo, exec_lo, s1
	s_mov_b32 s1, exec_lo
	v_cmpx_gt_u32_e64 s11, v29
	s_cbranch_execnz .LBB1203_150
.LBB1203_185:
	s_or_b32 exec_lo, exec_lo, s1
	s_delay_alu instid0(SALU_CYCLE_1)
	s_mov_b32 s1, exec_lo
	v_cmpx_gt_u32_e64 s11, v28
	s_cbranch_execz .LBB1203_155
.LBB1203_186:
	s_mov_b32 s3, exec_lo
                                        ; implicit-def: $vgpr9_vgpr10
	v_cmpx_ge_u32_e64 v28, v16
	s_xor_b32 s3, exec_lo, s3
	s_cbranch_execz .LBB1203_188
; %bb.187:
	s_waitcnt lgkmcnt(4)
	v_xor_b32_e32 v7, 0xfffffaff, v0
                                        ; implicit-def: $vgpr28
	s_delay_alu instid0(VALU_DEP_1) | instskip(SKIP_1) | instid1(VALU_DEP_2)
	v_ashrrev_i32_e32 v10, 31, v7
	v_add_co_u32 v9, vcc_lo, v18, v7
	v_add_co_ci_u32_e32 v10, vcc_lo, v19, v10, vcc_lo
.LBB1203_188:
	s_and_not1_saveexec_b32 s3, s3
	s_cbranch_execz .LBB1203_190
; %bb.189:
	s_waitcnt lgkmcnt(5)
	v_add_co_u32 v9, vcc_lo, v15, v28
	v_add_co_ci_u32_e32 v10, vcc_lo, 0, v17, vcc_lo
.LBB1203_190:
	s_or_b32 exec_lo, exec_lo, s3
	s_waitcnt lgkmcnt(5)
	s_delay_alu instid0(VALU_DEP_1) | instskip(NEXT) | instid1(VALU_DEP_1)
	v_lshlrev_b64 v[9:10], 2, v[9:10]
	v_add_co_u32 v9, vcc_lo, s12, v9
	s_delay_alu instid0(VALU_DEP_2) | instskip(SKIP_3) | instid1(SALU_CYCLE_1)
	v_add_co_ci_u32_e32 v10, vcc_lo, s13, v10, vcc_lo
	s_waitcnt lgkmcnt(4)
	global_store_b32 v[9:10], v8, off
	s_or_b32 exec_lo, exec_lo, s1
	s_mov_b32 s1, exec_lo
	v_cmpx_gt_u32_e64 s11, v27
	s_cbranch_execnz .LBB1203_156
.LBB1203_191:
	s_or_b32 exec_lo, exec_lo, s1
	s_delay_alu instid0(SALU_CYCLE_1)
	s_mov_b32 s1, exec_lo
	v_cmpx_gt_u32_e64 s11, v26
	s_cbranch_execz .LBB1203_161
.LBB1203_192:
	s_mov_b32 s3, exec_lo
                                        ; implicit-def: $vgpr7_vgpr8
	v_cmpx_ge_u32_e64 v26, v16
	s_xor_b32 s3, exec_lo, s3
	s_cbranch_execz .LBB1203_194
; %bb.193:
	s_waitcnt lgkmcnt(3)
	v_xor_b32_e32 v5, 0xfffff8ff, v0
                                        ; implicit-def: $vgpr26
	s_delay_alu instid0(VALU_DEP_1) | instskip(SKIP_1) | instid1(VALU_DEP_2)
	v_ashrrev_i32_e32 v8, 31, v5
	v_add_co_u32 v7, vcc_lo, v18, v5
	v_add_co_ci_u32_e32 v8, vcc_lo, v19, v8, vcc_lo
.LBB1203_194:
	s_and_not1_saveexec_b32 s3, s3
	s_cbranch_execz .LBB1203_196
; %bb.195:
	s_waitcnt lgkmcnt(4)
	v_add_co_u32 v7, vcc_lo, v15, v26
	v_add_co_ci_u32_e32 v8, vcc_lo, 0, v17, vcc_lo
.LBB1203_196:
	s_or_b32 exec_lo, exec_lo, s3
	s_waitcnt lgkmcnt(4)
	s_delay_alu instid0(VALU_DEP_1) | instskip(NEXT) | instid1(VALU_DEP_1)
	v_lshlrev_b64 v[7:8], 2, v[7:8]
	v_add_co_u32 v7, vcc_lo, s12, v7
	s_delay_alu instid0(VALU_DEP_2) | instskip(SKIP_3) | instid1(SALU_CYCLE_1)
	v_add_co_ci_u32_e32 v8, vcc_lo, s13, v8, vcc_lo
	s_waitcnt lgkmcnt(3)
	global_store_b32 v[7:8], v6, off
	s_or_b32 exec_lo, exec_lo, s1
	s_mov_b32 s1, exec_lo
	v_cmpx_gt_u32_e64 s11, v25
	s_cbranch_execnz .LBB1203_162
.LBB1203_197:
	s_or_b32 exec_lo, exec_lo, s1
	s_delay_alu instid0(SALU_CYCLE_1)
	s_mov_b32 s1, exec_lo
	v_cmpx_gt_u32_e64 s11, v24
	s_cbranch_execz .LBB1203_167
.LBB1203_198:
	s_mov_b32 s3, exec_lo
                                        ; implicit-def: $vgpr5_vgpr6
	v_cmpx_ge_u32_e64 v24, v16
	s_xor_b32 s3, exec_lo, s3
	s_cbranch_execz .LBB1203_200
; %bb.199:
	s_waitcnt lgkmcnt(2)
	v_xor_b32_e32 v3, 0xfffff6ff, v0
                                        ; implicit-def: $vgpr24
	s_delay_alu instid0(VALU_DEP_1) | instskip(SKIP_1) | instid1(VALU_DEP_2)
	v_ashrrev_i32_e32 v6, 31, v3
	v_add_co_u32 v5, vcc_lo, v18, v3
	v_add_co_ci_u32_e32 v6, vcc_lo, v19, v6, vcc_lo
.LBB1203_200:
	s_and_not1_saveexec_b32 s3, s3
	s_cbranch_execz .LBB1203_202
; %bb.201:
	s_waitcnt lgkmcnt(3)
	v_add_co_u32 v5, vcc_lo, v15, v24
	v_add_co_ci_u32_e32 v6, vcc_lo, 0, v17, vcc_lo
.LBB1203_202:
	s_or_b32 exec_lo, exec_lo, s3
	s_waitcnt lgkmcnt(3)
	s_delay_alu instid0(VALU_DEP_1) | instskip(NEXT) | instid1(VALU_DEP_1)
	v_lshlrev_b64 v[5:6], 2, v[5:6]
	v_add_co_u32 v5, vcc_lo, s12, v5
	s_delay_alu instid0(VALU_DEP_2) | instskip(SKIP_3) | instid1(SALU_CYCLE_1)
	v_add_co_ci_u32_e32 v6, vcc_lo, s13, v6, vcc_lo
	s_waitcnt lgkmcnt(2)
	global_store_b32 v[5:6], v4, off
	s_or_b32 exec_lo, exec_lo, s1
	s_mov_b32 s1, exec_lo
	v_cmpx_gt_u32_e64 s11, v23
	s_cbranch_execnz .LBB1203_168
.LBB1203_203:
	s_or_b32 exec_lo, exec_lo, s1
	s_delay_alu instid0(SALU_CYCLE_1)
	s_mov_b32 s1, exec_lo
	v_cmpx_gt_u32_e64 s11, v22
	s_cbranch_execz .LBB1203_209
.LBB1203_204:
	s_mov_b32 s3, exec_lo
                                        ; implicit-def: $vgpr3_vgpr4
	v_cmpx_ge_u32_e64 v22, v16
	s_xor_b32 s3, exec_lo, s3
	s_cbranch_execz .LBB1203_206
; %bb.205:
	s_waitcnt lgkmcnt(1)
	v_xor_b32_e32 v1, 0xfffff4ff, v0
                                        ; implicit-def: $vgpr22
	s_delay_alu instid0(VALU_DEP_1) | instskip(SKIP_1) | instid1(VALU_DEP_2)
	v_ashrrev_i32_e32 v4, 31, v1
	v_add_co_u32 v3, vcc_lo, v18, v1
	v_add_co_ci_u32_e32 v4, vcc_lo, v19, v4, vcc_lo
.LBB1203_206:
	s_and_not1_saveexec_b32 s3, s3
	s_cbranch_execz .LBB1203_208
; %bb.207:
	s_waitcnt lgkmcnt(2)
	v_add_co_u32 v3, vcc_lo, v15, v22
	v_add_co_ci_u32_e32 v4, vcc_lo, 0, v17, vcc_lo
.LBB1203_208:
	s_or_b32 exec_lo, exec_lo, s3
	s_waitcnt lgkmcnt(2)
	s_delay_alu instid0(VALU_DEP_1) | instskip(NEXT) | instid1(VALU_DEP_1)
	v_lshlrev_b64 v[3:4], 2, v[3:4]
	v_add_co_u32 v3, vcc_lo, s12, v3
	s_delay_alu instid0(VALU_DEP_2)
	v_add_co_ci_u32_e32 v4, vcc_lo, s13, v4, vcc_lo
	s_waitcnt lgkmcnt(1)
	global_store_b32 v[3:4], v2, off
.LBB1203_209:
	s_or_b32 exec_lo, exec_lo, s1
	s_delay_alu instid0(SALU_CYCLE_1)
	s_mov_b32 s1, exec_lo
                                        ; implicit-def: $vgpr13_vgpr14
	v_cmpx_gt_u32_e64 s11, v21
	s_cbranch_execz .LBB1203_215
; %bb.210:
	s_mov_b32 s3, exec_lo
                                        ; implicit-def: $vgpr13_vgpr14
	v_cmpx_ge_u32_e64 v21, v16
	s_xor_b32 s3, exec_lo, s3
	s_cbranch_execz .LBB1203_212
; %bb.211:
	v_xor_b32_e32 v0, 0xfffff3ff, v0
                                        ; implicit-def: $vgpr21
	s_waitcnt lgkmcnt(1)
	s_delay_alu instid0(VALU_DEP_1) | instskip(SKIP_1) | instid1(VALU_DEP_2)
	v_ashrrev_i32_e32 v1, 31, v0
	v_add_co_u32 v13, vcc_lo, v18, v0
	v_add_co_ci_u32_e32 v14, vcc_lo, v19, v1, vcc_lo
.LBB1203_212:
	s_and_not1_saveexec_b32 s3, s3
; %bb.213:
	v_add_co_u32 v13, vcc_lo, v15, v21
	v_add_co_ci_u32_e32 v14, vcc_lo, 0, v17, vcc_lo
; %bb.214:
	s_or_b32 exec_lo, exec_lo, s3
	s_delay_alu instid0(SALU_CYCLE_1)
	s_or_b32 s0, s0, exec_lo
.LBB1203_215:
	s_or_b32 exec_lo, exec_lo, s1
	s_and_saveexec_b32 s1, s0
	s_cbranch_execnz .LBB1203_134
.LBB1203_216:
	s_or_b32 exec_lo, exec_lo, s1
	s_and_b32 s0, s2, s10
	s_delay_alu instid0(SALU_CYCLE_1)
	s_and_saveexec_b32 s1, s0
	s_cbranch_execz .LBB1203_135
.LBB1203_217:
	v_add_co_u32 v0, vcc_lo, v15, v16
	s_waitcnt lgkmcnt(1)
	v_mov_b32_e32 v2, 0
	v_add_co_ci_u32_e32 v1, vcc_lo, 0, v17, vcc_lo
	global_store_b64 v2, v[0:1], s[8:9]
	s_nop 0
	s_sendmsg sendmsg(MSG_DEALLOC_VGPRS)
	s_endpgm
	.section	.rodata,"a",@progbits
	.p2align	6, 0x0
	.amdhsa_kernel _ZN7rocprim17ROCPRIM_400000_NS6detail17trampoline_kernelINS0_13select_configILj256ELj13ELNS0_17block_load_methodE3ELS4_3ELS4_3ELNS0_20block_scan_algorithmE0ELj4294967295EEENS1_25partition_config_selectorILNS1_17partition_subalgoE3EjNS0_10empty_typeEbEEZZNS1_14partition_implILS8_3ELb0ES6_jNS0_17counting_iteratorIjlEEPS9_SE_NS0_5tupleIJPjSE_EEENSF_IJSE_SE_EEES9_SG_JZNS1_25segmented_radix_sort_implINS0_14default_configELb0EPKdPdPKlPlN2at6native12_GLOBAL__N_18offset_tEEE10hipError_tPvRmT1_PNSt15iterator_traitsISY_E10value_typeET2_T3_PNSZ_IS14_E10value_typeET4_jRbjT5_S1A_jjP12ihipStream_tbEUljE_EEESV_SW_SX_S14_S18_S1A_T6_T7_T9_mT8_S1C_bDpT10_ENKUlT_T0_E_clISt17integral_constantIbLb1EES1P_EEDaS1K_S1L_EUlS1K_E_NS1_11comp_targetILNS1_3genE9ELNS1_11target_archE1100ELNS1_3gpuE3ELNS1_3repE0EEENS1_30default_config_static_selectorELNS0_4arch9wavefront6targetE0EEEvSY_
		.amdhsa_group_segment_fixed_size 13324
		.amdhsa_private_segment_fixed_size 0
		.amdhsa_kernarg_size 152
		.amdhsa_user_sgpr_count 15
		.amdhsa_user_sgpr_dispatch_ptr 0
		.amdhsa_user_sgpr_queue_ptr 0
		.amdhsa_user_sgpr_kernarg_segment_ptr 1
		.amdhsa_user_sgpr_dispatch_id 0
		.amdhsa_user_sgpr_private_segment_size 0
		.amdhsa_wavefront_size32 1
		.amdhsa_uses_dynamic_stack 0
		.amdhsa_enable_private_segment 0
		.amdhsa_system_sgpr_workgroup_id_x 1
		.amdhsa_system_sgpr_workgroup_id_y 0
		.amdhsa_system_sgpr_workgroup_id_z 0
		.amdhsa_system_sgpr_workgroup_info 0
		.amdhsa_system_vgpr_workitem_id 0
		.amdhsa_next_free_vgpr 60
		.amdhsa_next_free_sgpr 26
		.amdhsa_reserve_vcc 1
		.amdhsa_float_round_mode_32 0
		.amdhsa_float_round_mode_16_64 0
		.amdhsa_float_denorm_mode_32 3
		.amdhsa_float_denorm_mode_16_64 3
		.amdhsa_dx10_clamp 1
		.amdhsa_ieee_mode 1
		.amdhsa_fp16_overflow 0
		.amdhsa_workgroup_processor_mode 1
		.amdhsa_memory_ordered 1
		.amdhsa_forward_progress 0
		.amdhsa_shared_vgpr_count 0
		.amdhsa_exception_fp_ieee_invalid_op 0
		.amdhsa_exception_fp_denorm_src 0
		.amdhsa_exception_fp_ieee_div_zero 0
		.amdhsa_exception_fp_ieee_overflow 0
		.amdhsa_exception_fp_ieee_underflow 0
		.amdhsa_exception_fp_ieee_inexact 0
		.amdhsa_exception_int_div_zero 0
	.end_amdhsa_kernel
	.section	.text._ZN7rocprim17ROCPRIM_400000_NS6detail17trampoline_kernelINS0_13select_configILj256ELj13ELNS0_17block_load_methodE3ELS4_3ELS4_3ELNS0_20block_scan_algorithmE0ELj4294967295EEENS1_25partition_config_selectorILNS1_17partition_subalgoE3EjNS0_10empty_typeEbEEZZNS1_14partition_implILS8_3ELb0ES6_jNS0_17counting_iteratorIjlEEPS9_SE_NS0_5tupleIJPjSE_EEENSF_IJSE_SE_EEES9_SG_JZNS1_25segmented_radix_sort_implINS0_14default_configELb0EPKdPdPKlPlN2at6native12_GLOBAL__N_18offset_tEEE10hipError_tPvRmT1_PNSt15iterator_traitsISY_E10value_typeET2_T3_PNSZ_IS14_E10value_typeET4_jRbjT5_S1A_jjP12ihipStream_tbEUljE_EEESV_SW_SX_S14_S18_S1A_T6_T7_T9_mT8_S1C_bDpT10_ENKUlT_T0_E_clISt17integral_constantIbLb1EES1P_EEDaS1K_S1L_EUlS1K_E_NS1_11comp_targetILNS1_3genE9ELNS1_11target_archE1100ELNS1_3gpuE3ELNS1_3repE0EEENS1_30default_config_static_selectorELNS0_4arch9wavefront6targetE0EEEvSY_,"axG",@progbits,_ZN7rocprim17ROCPRIM_400000_NS6detail17trampoline_kernelINS0_13select_configILj256ELj13ELNS0_17block_load_methodE3ELS4_3ELS4_3ELNS0_20block_scan_algorithmE0ELj4294967295EEENS1_25partition_config_selectorILNS1_17partition_subalgoE3EjNS0_10empty_typeEbEEZZNS1_14partition_implILS8_3ELb0ES6_jNS0_17counting_iteratorIjlEEPS9_SE_NS0_5tupleIJPjSE_EEENSF_IJSE_SE_EEES9_SG_JZNS1_25segmented_radix_sort_implINS0_14default_configELb0EPKdPdPKlPlN2at6native12_GLOBAL__N_18offset_tEEE10hipError_tPvRmT1_PNSt15iterator_traitsISY_E10value_typeET2_T3_PNSZ_IS14_E10value_typeET4_jRbjT5_S1A_jjP12ihipStream_tbEUljE_EEESV_SW_SX_S14_S18_S1A_T6_T7_T9_mT8_S1C_bDpT10_ENKUlT_T0_E_clISt17integral_constantIbLb1EES1P_EEDaS1K_S1L_EUlS1K_E_NS1_11comp_targetILNS1_3genE9ELNS1_11target_archE1100ELNS1_3gpuE3ELNS1_3repE0EEENS1_30default_config_static_selectorELNS0_4arch9wavefront6targetE0EEEvSY_,comdat
.Lfunc_end1203:
	.size	_ZN7rocprim17ROCPRIM_400000_NS6detail17trampoline_kernelINS0_13select_configILj256ELj13ELNS0_17block_load_methodE3ELS4_3ELS4_3ELNS0_20block_scan_algorithmE0ELj4294967295EEENS1_25partition_config_selectorILNS1_17partition_subalgoE3EjNS0_10empty_typeEbEEZZNS1_14partition_implILS8_3ELb0ES6_jNS0_17counting_iteratorIjlEEPS9_SE_NS0_5tupleIJPjSE_EEENSF_IJSE_SE_EEES9_SG_JZNS1_25segmented_radix_sort_implINS0_14default_configELb0EPKdPdPKlPlN2at6native12_GLOBAL__N_18offset_tEEE10hipError_tPvRmT1_PNSt15iterator_traitsISY_E10value_typeET2_T3_PNSZ_IS14_E10value_typeET4_jRbjT5_S1A_jjP12ihipStream_tbEUljE_EEESV_SW_SX_S14_S18_S1A_T6_T7_T9_mT8_S1C_bDpT10_ENKUlT_T0_E_clISt17integral_constantIbLb1EES1P_EEDaS1K_S1L_EUlS1K_E_NS1_11comp_targetILNS1_3genE9ELNS1_11target_archE1100ELNS1_3gpuE3ELNS1_3repE0EEENS1_30default_config_static_selectorELNS0_4arch9wavefront6targetE0EEEvSY_, .Lfunc_end1203-_ZN7rocprim17ROCPRIM_400000_NS6detail17trampoline_kernelINS0_13select_configILj256ELj13ELNS0_17block_load_methodE3ELS4_3ELS4_3ELNS0_20block_scan_algorithmE0ELj4294967295EEENS1_25partition_config_selectorILNS1_17partition_subalgoE3EjNS0_10empty_typeEbEEZZNS1_14partition_implILS8_3ELb0ES6_jNS0_17counting_iteratorIjlEEPS9_SE_NS0_5tupleIJPjSE_EEENSF_IJSE_SE_EEES9_SG_JZNS1_25segmented_radix_sort_implINS0_14default_configELb0EPKdPdPKlPlN2at6native12_GLOBAL__N_18offset_tEEE10hipError_tPvRmT1_PNSt15iterator_traitsISY_E10value_typeET2_T3_PNSZ_IS14_E10value_typeET4_jRbjT5_S1A_jjP12ihipStream_tbEUljE_EEESV_SW_SX_S14_S18_S1A_T6_T7_T9_mT8_S1C_bDpT10_ENKUlT_T0_E_clISt17integral_constantIbLb1EES1P_EEDaS1K_S1L_EUlS1K_E_NS1_11comp_targetILNS1_3genE9ELNS1_11target_archE1100ELNS1_3gpuE3ELNS1_3repE0EEENS1_30default_config_static_selectorELNS0_4arch9wavefront6targetE0EEEvSY_
                                        ; -- End function
	.section	.AMDGPU.csdata,"",@progbits
; Kernel info:
; codeLenInByte = 9140
; NumSgprs: 28
; NumVgprs: 60
; ScratchSize: 0
; MemoryBound: 0
; FloatMode: 240
; IeeeMode: 1
; LDSByteSize: 13324 bytes/workgroup (compile time only)
; SGPRBlocks: 3
; VGPRBlocks: 7
; NumSGPRsForWavesPerEU: 28
; NumVGPRsForWavesPerEU: 60
; Occupancy: 16
; WaveLimiterHint : 0
; COMPUTE_PGM_RSRC2:SCRATCH_EN: 0
; COMPUTE_PGM_RSRC2:USER_SGPR: 15
; COMPUTE_PGM_RSRC2:TRAP_HANDLER: 0
; COMPUTE_PGM_RSRC2:TGID_X_EN: 1
; COMPUTE_PGM_RSRC2:TGID_Y_EN: 0
; COMPUTE_PGM_RSRC2:TGID_Z_EN: 0
; COMPUTE_PGM_RSRC2:TIDIG_COMP_CNT: 0
	.section	.text._ZN7rocprim17ROCPRIM_400000_NS6detail17trampoline_kernelINS0_13select_configILj256ELj13ELNS0_17block_load_methodE3ELS4_3ELS4_3ELNS0_20block_scan_algorithmE0ELj4294967295EEENS1_25partition_config_selectorILNS1_17partition_subalgoE3EjNS0_10empty_typeEbEEZZNS1_14partition_implILS8_3ELb0ES6_jNS0_17counting_iteratorIjlEEPS9_SE_NS0_5tupleIJPjSE_EEENSF_IJSE_SE_EEES9_SG_JZNS1_25segmented_radix_sort_implINS0_14default_configELb0EPKdPdPKlPlN2at6native12_GLOBAL__N_18offset_tEEE10hipError_tPvRmT1_PNSt15iterator_traitsISY_E10value_typeET2_T3_PNSZ_IS14_E10value_typeET4_jRbjT5_S1A_jjP12ihipStream_tbEUljE_EEESV_SW_SX_S14_S18_S1A_T6_T7_T9_mT8_S1C_bDpT10_ENKUlT_T0_E_clISt17integral_constantIbLb1EES1P_EEDaS1K_S1L_EUlS1K_E_NS1_11comp_targetILNS1_3genE8ELNS1_11target_archE1030ELNS1_3gpuE2ELNS1_3repE0EEENS1_30default_config_static_selectorELNS0_4arch9wavefront6targetE0EEEvSY_,"axG",@progbits,_ZN7rocprim17ROCPRIM_400000_NS6detail17trampoline_kernelINS0_13select_configILj256ELj13ELNS0_17block_load_methodE3ELS4_3ELS4_3ELNS0_20block_scan_algorithmE0ELj4294967295EEENS1_25partition_config_selectorILNS1_17partition_subalgoE3EjNS0_10empty_typeEbEEZZNS1_14partition_implILS8_3ELb0ES6_jNS0_17counting_iteratorIjlEEPS9_SE_NS0_5tupleIJPjSE_EEENSF_IJSE_SE_EEES9_SG_JZNS1_25segmented_radix_sort_implINS0_14default_configELb0EPKdPdPKlPlN2at6native12_GLOBAL__N_18offset_tEEE10hipError_tPvRmT1_PNSt15iterator_traitsISY_E10value_typeET2_T3_PNSZ_IS14_E10value_typeET4_jRbjT5_S1A_jjP12ihipStream_tbEUljE_EEESV_SW_SX_S14_S18_S1A_T6_T7_T9_mT8_S1C_bDpT10_ENKUlT_T0_E_clISt17integral_constantIbLb1EES1P_EEDaS1K_S1L_EUlS1K_E_NS1_11comp_targetILNS1_3genE8ELNS1_11target_archE1030ELNS1_3gpuE2ELNS1_3repE0EEENS1_30default_config_static_selectorELNS0_4arch9wavefront6targetE0EEEvSY_,comdat
	.globl	_ZN7rocprim17ROCPRIM_400000_NS6detail17trampoline_kernelINS0_13select_configILj256ELj13ELNS0_17block_load_methodE3ELS4_3ELS4_3ELNS0_20block_scan_algorithmE0ELj4294967295EEENS1_25partition_config_selectorILNS1_17partition_subalgoE3EjNS0_10empty_typeEbEEZZNS1_14partition_implILS8_3ELb0ES6_jNS0_17counting_iteratorIjlEEPS9_SE_NS0_5tupleIJPjSE_EEENSF_IJSE_SE_EEES9_SG_JZNS1_25segmented_radix_sort_implINS0_14default_configELb0EPKdPdPKlPlN2at6native12_GLOBAL__N_18offset_tEEE10hipError_tPvRmT1_PNSt15iterator_traitsISY_E10value_typeET2_T3_PNSZ_IS14_E10value_typeET4_jRbjT5_S1A_jjP12ihipStream_tbEUljE_EEESV_SW_SX_S14_S18_S1A_T6_T7_T9_mT8_S1C_bDpT10_ENKUlT_T0_E_clISt17integral_constantIbLb1EES1P_EEDaS1K_S1L_EUlS1K_E_NS1_11comp_targetILNS1_3genE8ELNS1_11target_archE1030ELNS1_3gpuE2ELNS1_3repE0EEENS1_30default_config_static_selectorELNS0_4arch9wavefront6targetE0EEEvSY_ ; -- Begin function _ZN7rocprim17ROCPRIM_400000_NS6detail17trampoline_kernelINS0_13select_configILj256ELj13ELNS0_17block_load_methodE3ELS4_3ELS4_3ELNS0_20block_scan_algorithmE0ELj4294967295EEENS1_25partition_config_selectorILNS1_17partition_subalgoE3EjNS0_10empty_typeEbEEZZNS1_14partition_implILS8_3ELb0ES6_jNS0_17counting_iteratorIjlEEPS9_SE_NS0_5tupleIJPjSE_EEENSF_IJSE_SE_EEES9_SG_JZNS1_25segmented_radix_sort_implINS0_14default_configELb0EPKdPdPKlPlN2at6native12_GLOBAL__N_18offset_tEEE10hipError_tPvRmT1_PNSt15iterator_traitsISY_E10value_typeET2_T3_PNSZ_IS14_E10value_typeET4_jRbjT5_S1A_jjP12ihipStream_tbEUljE_EEESV_SW_SX_S14_S18_S1A_T6_T7_T9_mT8_S1C_bDpT10_ENKUlT_T0_E_clISt17integral_constantIbLb1EES1P_EEDaS1K_S1L_EUlS1K_E_NS1_11comp_targetILNS1_3genE8ELNS1_11target_archE1030ELNS1_3gpuE2ELNS1_3repE0EEENS1_30default_config_static_selectorELNS0_4arch9wavefront6targetE0EEEvSY_
	.p2align	8
	.type	_ZN7rocprim17ROCPRIM_400000_NS6detail17trampoline_kernelINS0_13select_configILj256ELj13ELNS0_17block_load_methodE3ELS4_3ELS4_3ELNS0_20block_scan_algorithmE0ELj4294967295EEENS1_25partition_config_selectorILNS1_17partition_subalgoE3EjNS0_10empty_typeEbEEZZNS1_14partition_implILS8_3ELb0ES6_jNS0_17counting_iteratorIjlEEPS9_SE_NS0_5tupleIJPjSE_EEENSF_IJSE_SE_EEES9_SG_JZNS1_25segmented_radix_sort_implINS0_14default_configELb0EPKdPdPKlPlN2at6native12_GLOBAL__N_18offset_tEEE10hipError_tPvRmT1_PNSt15iterator_traitsISY_E10value_typeET2_T3_PNSZ_IS14_E10value_typeET4_jRbjT5_S1A_jjP12ihipStream_tbEUljE_EEESV_SW_SX_S14_S18_S1A_T6_T7_T9_mT8_S1C_bDpT10_ENKUlT_T0_E_clISt17integral_constantIbLb1EES1P_EEDaS1K_S1L_EUlS1K_E_NS1_11comp_targetILNS1_3genE8ELNS1_11target_archE1030ELNS1_3gpuE2ELNS1_3repE0EEENS1_30default_config_static_selectorELNS0_4arch9wavefront6targetE0EEEvSY_,@function
_ZN7rocprim17ROCPRIM_400000_NS6detail17trampoline_kernelINS0_13select_configILj256ELj13ELNS0_17block_load_methodE3ELS4_3ELS4_3ELNS0_20block_scan_algorithmE0ELj4294967295EEENS1_25partition_config_selectorILNS1_17partition_subalgoE3EjNS0_10empty_typeEbEEZZNS1_14partition_implILS8_3ELb0ES6_jNS0_17counting_iteratorIjlEEPS9_SE_NS0_5tupleIJPjSE_EEENSF_IJSE_SE_EEES9_SG_JZNS1_25segmented_radix_sort_implINS0_14default_configELb0EPKdPdPKlPlN2at6native12_GLOBAL__N_18offset_tEEE10hipError_tPvRmT1_PNSt15iterator_traitsISY_E10value_typeET2_T3_PNSZ_IS14_E10value_typeET4_jRbjT5_S1A_jjP12ihipStream_tbEUljE_EEESV_SW_SX_S14_S18_S1A_T6_T7_T9_mT8_S1C_bDpT10_ENKUlT_T0_E_clISt17integral_constantIbLb1EES1P_EEDaS1K_S1L_EUlS1K_E_NS1_11comp_targetILNS1_3genE8ELNS1_11target_archE1030ELNS1_3gpuE2ELNS1_3repE0EEENS1_30default_config_static_selectorELNS0_4arch9wavefront6targetE0EEEvSY_: ; @_ZN7rocprim17ROCPRIM_400000_NS6detail17trampoline_kernelINS0_13select_configILj256ELj13ELNS0_17block_load_methodE3ELS4_3ELS4_3ELNS0_20block_scan_algorithmE0ELj4294967295EEENS1_25partition_config_selectorILNS1_17partition_subalgoE3EjNS0_10empty_typeEbEEZZNS1_14partition_implILS8_3ELb0ES6_jNS0_17counting_iteratorIjlEEPS9_SE_NS0_5tupleIJPjSE_EEENSF_IJSE_SE_EEES9_SG_JZNS1_25segmented_radix_sort_implINS0_14default_configELb0EPKdPdPKlPlN2at6native12_GLOBAL__N_18offset_tEEE10hipError_tPvRmT1_PNSt15iterator_traitsISY_E10value_typeET2_T3_PNSZ_IS14_E10value_typeET4_jRbjT5_S1A_jjP12ihipStream_tbEUljE_EEESV_SW_SX_S14_S18_S1A_T6_T7_T9_mT8_S1C_bDpT10_ENKUlT_T0_E_clISt17integral_constantIbLb1EES1P_EEDaS1K_S1L_EUlS1K_E_NS1_11comp_targetILNS1_3genE8ELNS1_11target_archE1030ELNS1_3gpuE2ELNS1_3repE0EEENS1_30default_config_static_selectorELNS0_4arch9wavefront6targetE0EEEvSY_
; %bb.0:
	.section	.rodata,"a",@progbits
	.p2align	6, 0x0
	.amdhsa_kernel _ZN7rocprim17ROCPRIM_400000_NS6detail17trampoline_kernelINS0_13select_configILj256ELj13ELNS0_17block_load_methodE3ELS4_3ELS4_3ELNS0_20block_scan_algorithmE0ELj4294967295EEENS1_25partition_config_selectorILNS1_17partition_subalgoE3EjNS0_10empty_typeEbEEZZNS1_14partition_implILS8_3ELb0ES6_jNS0_17counting_iteratorIjlEEPS9_SE_NS0_5tupleIJPjSE_EEENSF_IJSE_SE_EEES9_SG_JZNS1_25segmented_radix_sort_implINS0_14default_configELb0EPKdPdPKlPlN2at6native12_GLOBAL__N_18offset_tEEE10hipError_tPvRmT1_PNSt15iterator_traitsISY_E10value_typeET2_T3_PNSZ_IS14_E10value_typeET4_jRbjT5_S1A_jjP12ihipStream_tbEUljE_EEESV_SW_SX_S14_S18_S1A_T6_T7_T9_mT8_S1C_bDpT10_ENKUlT_T0_E_clISt17integral_constantIbLb1EES1P_EEDaS1K_S1L_EUlS1K_E_NS1_11comp_targetILNS1_3genE8ELNS1_11target_archE1030ELNS1_3gpuE2ELNS1_3repE0EEENS1_30default_config_static_selectorELNS0_4arch9wavefront6targetE0EEEvSY_
		.amdhsa_group_segment_fixed_size 0
		.amdhsa_private_segment_fixed_size 0
		.amdhsa_kernarg_size 152
		.amdhsa_user_sgpr_count 15
		.amdhsa_user_sgpr_dispatch_ptr 0
		.amdhsa_user_sgpr_queue_ptr 0
		.amdhsa_user_sgpr_kernarg_segment_ptr 1
		.amdhsa_user_sgpr_dispatch_id 0
		.amdhsa_user_sgpr_private_segment_size 0
		.amdhsa_wavefront_size32 1
		.amdhsa_uses_dynamic_stack 0
		.amdhsa_enable_private_segment 0
		.amdhsa_system_sgpr_workgroup_id_x 1
		.amdhsa_system_sgpr_workgroup_id_y 0
		.amdhsa_system_sgpr_workgroup_id_z 0
		.amdhsa_system_sgpr_workgroup_info 0
		.amdhsa_system_vgpr_workitem_id 0
		.amdhsa_next_free_vgpr 1
		.amdhsa_next_free_sgpr 1
		.amdhsa_reserve_vcc 0
		.amdhsa_float_round_mode_32 0
		.amdhsa_float_round_mode_16_64 0
		.amdhsa_float_denorm_mode_32 3
		.amdhsa_float_denorm_mode_16_64 3
		.amdhsa_dx10_clamp 1
		.amdhsa_ieee_mode 1
		.amdhsa_fp16_overflow 0
		.amdhsa_workgroup_processor_mode 1
		.amdhsa_memory_ordered 1
		.amdhsa_forward_progress 0
		.amdhsa_shared_vgpr_count 0
		.amdhsa_exception_fp_ieee_invalid_op 0
		.amdhsa_exception_fp_denorm_src 0
		.amdhsa_exception_fp_ieee_div_zero 0
		.amdhsa_exception_fp_ieee_overflow 0
		.amdhsa_exception_fp_ieee_underflow 0
		.amdhsa_exception_fp_ieee_inexact 0
		.amdhsa_exception_int_div_zero 0
	.end_amdhsa_kernel
	.section	.text._ZN7rocprim17ROCPRIM_400000_NS6detail17trampoline_kernelINS0_13select_configILj256ELj13ELNS0_17block_load_methodE3ELS4_3ELS4_3ELNS0_20block_scan_algorithmE0ELj4294967295EEENS1_25partition_config_selectorILNS1_17partition_subalgoE3EjNS0_10empty_typeEbEEZZNS1_14partition_implILS8_3ELb0ES6_jNS0_17counting_iteratorIjlEEPS9_SE_NS0_5tupleIJPjSE_EEENSF_IJSE_SE_EEES9_SG_JZNS1_25segmented_radix_sort_implINS0_14default_configELb0EPKdPdPKlPlN2at6native12_GLOBAL__N_18offset_tEEE10hipError_tPvRmT1_PNSt15iterator_traitsISY_E10value_typeET2_T3_PNSZ_IS14_E10value_typeET4_jRbjT5_S1A_jjP12ihipStream_tbEUljE_EEESV_SW_SX_S14_S18_S1A_T6_T7_T9_mT8_S1C_bDpT10_ENKUlT_T0_E_clISt17integral_constantIbLb1EES1P_EEDaS1K_S1L_EUlS1K_E_NS1_11comp_targetILNS1_3genE8ELNS1_11target_archE1030ELNS1_3gpuE2ELNS1_3repE0EEENS1_30default_config_static_selectorELNS0_4arch9wavefront6targetE0EEEvSY_,"axG",@progbits,_ZN7rocprim17ROCPRIM_400000_NS6detail17trampoline_kernelINS0_13select_configILj256ELj13ELNS0_17block_load_methodE3ELS4_3ELS4_3ELNS0_20block_scan_algorithmE0ELj4294967295EEENS1_25partition_config_selectorILNS1_17partition_subalgoE3EjNS0_10empty_typeEbEEZZNS1_14partition_implILS8_3ELb0ES6_jNS0_17counting_iteratorIjlEEPS9_SE_NS0_5tupleIJPjSE_EEENSF_IJSE_SE_EEES9_SG_JZNS1_25segmented_radix_sort_implINS0_14default_configELb0EPKdPdPKlPlN2at6native12_GLOBAL__N_18offset_tEEE10hipError_tPvRmT1_PNSt15iterator_traitsISY_E10value_typeET2_T3_PNSZ_IS14_E10value_typeET4_jRbjT5_S1A_jjP12ihipStream_tbEUljE_EEESV_SW_SX_S14_S18_S1A_T6_T7_T9_mT8_S1C_bDpT10_ENKUlT_T0_E_clISt17integral_constantIbLb1EES1P_EEDaS1K_S1L_EUlS1K_E_NS1_11comp_targetILNS1_3genE8ELNS1_11target_archE1030ELNS1_3gpuE2ELNS1_3repE0EEENS1_30default_config_static_selectorELNS0_4arch9wavefront6targetE0EEEvSY_,comdat
.Lfunc_end1204:
	.size	_ZN7rocprim17ROCPRIM_400000_NS6detail17trampoline_kernelINS0_13select_configILj256ELj13ELNS0_17block_load_methodE3ELS4_3ELS4_3ELNS0_20block_scan_algorithmE0ELj4294967295EEENS1_25partition_config_selectorILNS1_17partition_subalgoE3EjNS0_10empty_typeEbEEZZNS1_14partition_implILS8_3ELb0ES6_jNS0_17counting_iteratorIjlEEPS9_SE_NS0_5tupleIJPjSE_EEENSF_IJSE_SE_EEES9_SG_JZNS1_25segmented_radix_sort_implINS0_14default_configELb0EPKdPdPKlPlN2at6native12_GLOBAL__N_18offset_tEEE10hipError_tPvRmT1_PNSt15iterator_traitsISY_E10value_typeET2_T3_PNSZ_IS14_E10value_typeET4_jRbjT5_S1A_jjP12ihipStream_tbEUljE_EEESV_SW_SX_S14_S18_S1A_T6_T7_T9_mT8_S1C_bDpT10_ENKUlT_T0_E_clISt17integral_constantIbLb1EES1P_EEDaS1K_S1L_EUlS1K_E_NS1_11comp_targetILNS1_3genE8ELNS1_11target_archE1030ELNS1_3gpuE2ELNS1_3repE0EEENS1_30default_config_static_selectorELNS0_4arch9wavefront6targetE0EEEvSY_, .Lfunc_end1204-_ZN7rocprim17ROCPRIM_400000_NS6detail17trampoline_kernelINS0_13select_configILj256ELj13ELNS0_17block_load_methodE3ELS4_3ELS4_3ELNS0_20block_scan_algorithmE0ELj4294967295EEENS1_25partition_config_selectorILNS1_17partition_subalgoE3EjNS0_10empty_typeEbEEZZNS1_14partition_implILS8_3ELb0ES6_jNS0_17counting_iteratorIjlEEPS9_SE_NS0_5tupleIJPjSE_EEENSF_IJSE_SE_EEES9_SG_JZNS1_25segmented_radix_sort_implINS0_14default_configELb0EPKdPdPKlPlN2at6native12_GLOBAL__N_18offset_tEEE10hipError_tPvRmT1_PNSt15iterator_traitsISY_E10value_typeET2_T3_PNSZ_IS14_E10value_typeET4_jRbjT5_S1A_jjP12ihipStream_tbEUljE_EEESV_SW_SX_S14_S18_S1A_T6_T7_T9_mT8_S1C_bDpT10_ENKUlT_T0_E_clISt17integral_constantIbLb1EES1P_EEDaS1K_S1L_EUlS1K_E_NS1_11comp_targetILNS1_3genE8ELNS1_11target_archE1030ELNS1_3gpuE2ELNS1_3repE0EEENS1_30default_config_static_selectorELNS0_4arch9wavefront6targetE0EEEvSY_
                                        ; -- End function
	.section	.AMDGPU.csdata,"",@progbits
; Kernel info:
; codeLenInByte = 0
; NumSgprs: 0
; NumVgprs: 0
; ScratchSize: 0
; MemoryBound: 0
; FloatMode: 240
; IeeeMode: 1
; LDSByteSize: 0 bytes/workgroup (compile time only)
; SGPRBlocks: 0
; VGPRBlocks: 0
; NumSGPRsForWavesPerEU: 1
; NumVGPRsForWavesPerEU: 1
; Occupancy: 16
; WaveLimiterHint : 0
; COMPUTE_PGM_RSRC2:SCRATCH_EN: 0
; COMPUTE_PGM_RSRC2:USER_SGPR: 15
; COMPUTE_PGM_RSRC2:TRAP_HANDLER: 0
; COMPUTE_PGM_RSRC2:TGID_X_EN: 1
; COMPUTE_PGM_RSRC2:TGID_Y_EN: 0
; COMPUTE_PGM_RSRC2:TGID_Z_EN: 0
; COMPUTE_PGM_RSRC2:TIDIG_COMP_CNT: 0
	.section	.text._ZN7rocprim17ROCPRIM_400000_NS6detail17trampoline_kernelINS0_13select_configILj256ELj13ELNS0_17block_load_methodE3ELS4_3ELS4_3ELNS0_20block_scan_algorithmE0ELj4294967295EEENS1_25partition_config_selectorILNS1_17partition_subalgoE3EjNS0_10empty_typeEbEEZZNS1_14partition_implILS8_3ELb0ES6_jNS0_17counting_iteratorIjlEEPS9_SE_NS0_5tupleIJPjSE_EEENSF_IJSE_SE_EEES9_SG_JZNS1_25segmented_radix_sort_implINS0_14default_configELb0EPKdPdPKlPlN2at6native12_GLOBAL__N_18offset_tEEE10hipError_tPvRmT1_PNSt15iterator_traitsISY_E10value_typeET2_T3_PNSZ_IS14_E10value_typeET4_jRbjT5_S1A_jjP12ihipStream_tbEUljE_EEESV_SW_SX_S14_S18_S1A_T6_T7_T9_mT8_S1C_bDpT10_ENKUlT_T0_E_clISt17integral_constantIbLb1EES1O_IbLb0EEEEDaS1K_S1L_EUlS1K_E_NS1_11comp_targetILNS1_3genE0ELNS1_11target_archE4294967295ELNS1_3gpuE0ELNS1_3repE0EEENS1_30default_config_static_selectorELNS0_4arch9wavefront6targetE0EEEvSY_,"axG",@progbits,_ZN7rocprim17ROCPRIM_400000_NS6detail17trampoline_kernelINS0_13select_configILj256ELj13ELNS0_17block_load_methodE3ELS4_3ELS4_3ELNS0_20block_scan_algorithmE0ELj4294967295EEENS1_25partition_config_selectorILNS1_17partition_subalgoE3EjNS0_10empty_typeEbEEZZNS1_14partition_implILS8_3ELb0ES6_jNS0_17counting_iteratorIjlEEPS9_SE_NS0_5tupleIJPjSE_EEENSF_IJSE_SE_EEES9_SG_JZNS1_25segmented_radix_sort_implINS0_14default_configELb0EPKdPdPKlPlN2at6native12_GLOBAL__N_18offset_tEEE10hipError_tPvRmT1_PNSt15iterator_traitsISY_E10value_typeET2_T3_PNSZ_IS14_E10value_typeET4_jRbjT5_S1A_jjP12ihipStream_tbEUljE_EEESV_SW_SX_S14_S18_S1A_T6_T7_T9_mT8_S1C_bDpT10_ENKUlT_T0_E_clISt17integral_constantIbLb1EES1O_IbLb0EEEEDaS1K_S1L_EUlS1K_E_NS1_11comp_targetILNS1_3genE0ELNS1_11target_archE4294967295ELNS1_3gpuE0ELNS1_3repE0EEENS1_30default_config_static_selectorELNS0_4arch9wavefront6targetE0EEEvSY_,comdat
	.globl	_ZN7rocprim17ROCPRIM_400000_NS6detail17trampoline_kernelINS0_13select_configILj256ELj13ELNS0_17block_load_methodE3ELS4_3ELS4_3ELNS0_20block_scan_algorithmE0ELj4294967295EEENS1_25partition_config_selectorILNS1_17partition_subalgoE3EjNS0_10empty_typeEbEEZZNS1_14partition_implILS8_3ELb0ES6_jNS0_17counting_iteratorIjlEEPS9_SE_NS0_5tupleIJPjSE_EEENSF_IJSE_SE_EEES9_SG_JZNS1_25segmented_radix_sort_implINS0_14default_configELb0EPKdPdPKlPlN2at6native12_GLOBAL__N_18offset_tEEE10hipError_tPvRmT1_PNSt15iterator_traitsISY_E10value_typeET2_T3_PNSZ_IS14_E10value_typeET4_jRbjT5_S1A_jjP12ihipStream_tbEUljE_EEESV_SW_SX_S14_S18_S1A_T6_T7_T9_mT8_S1C_bDpT10_ENKUlT_T0_E_clISt17integral_constantIbLb1EES1O_IbLb0EEEEDaS1K_S1L_EUlS1K_E_NS1_11comp_targetILNS1_3genE0ELNS1_11target_archE4294967295ELNS1_3gpuE0ELNS1_3repE0EEENS1_30default_config_static_selectorELNS0_4arch9wavefront6targetE0EEEvSY_ ; -- Begin function _ZN7rocprim17ROCPRIM_400000_NS6detail17trampoline_kernelINS0_13select_configILj256ELj13ELNS0_17block_load_methodE3ELS4_3ELS4_3ELNS0_20block_scan_algorithmE0ELj4294967295EEENS1_25partition_config_selectorILNS1_17partition_subalgoE3EjNS0_10empty_typeEbEEZZNS1_14partition_implILS8_3ELb0ES6_jNS0_17counting_iteratorIjlEEPS9_SE_NS0_5tupleIJPjSE_EEENSF_IJSE_SE_EEES9_SG_JZNS1_25segmented_radix_sort_implINS0_14default_configELb0EPKdPdPKlPlN2at6native12_GLOBAL__N_18offset_tEEE10hipError_tPvRmT1_PNSt15iterator_traitsISY_E10value_typeET2_T3_PNSZ_IS14_E10value_typeET4_jRbjT5_S1A_jjP12ihipStream_tbEUljE_EEESV_SW_SX_S14_S18_S1A_T6_T7_T9_mT8_S1C_bDpT10_ENKUlT_T0_E_clISt17integral_constantIbLb1EES1O_IbLb0EEEEDaS1K_S1L_EUlS1K_E_NS1_11comp_targetILNS1_3genE0ELNS1_11target_archE4294967295ELNS1_3gpuE0ELNS1_3repE0EEENS1_30default_config_static_selectorELNS0_4arch9wavefront6targetE0EEEvSY_
	.p2align	8
	.type	_ZN7rocprim17ROCPRIM_400000_NS6detail17trampoline_kernelINS0_13select_configILj256ELj13ELNS0_17block_load_methodE3ELS4_3ELS4_3ELNS0_20block_scan_algorithmE0ELj4294967295EEENS1_25partition_config_selectorILNS1_17partition_subalgoE3EjNS0_10empty_typeEbEEZZNS1_14partition_implILS8_3ELb0ES6_jNS0_17counting_iteratorIjlEEPS9_SE_NS0_5tupleIJPjSE_EEENSF_IJSE_SE_EEES9_SG_JZNS1_25segmented_radix_sort_implINS0_14default_configELb0EPKdPdPKlPlN2at6native12_GLOBAL__N_18offset_tEEE10hipError_tPvRmT1_PNSt15iterator_traitsISY_E10value_typeET2_T3_PNSZ_IS14_E10value_typeET4_jRbjT5_S1A_jjP12ihipStream_tbEUljE_EEESV_SW_SX_S14_S18_S1A_T6_T7_T9_mT8_S1C_bDpT10_ENKUlT_T0_E_clISt17integral_constantIbLb1EES1O_IbLb0EEEEDaS1K_S1L_EUlS1K_E_NS1_11comp_targetILNS1_3genE0ELNS1_11target_archE4294967295ELNS1_3gpuE0ELNS1_3repE0EEENS1_30default_config_static_selectorELNS0_4arch9wavefront6targetE0EEEvSY_,@function
_ZN7rocprim17ROCPRIM_400000_NS6detail17trampoline_kernelINS0_13select_configILj256ELj13ELNS0_17block_load_methodE3ELS4_3ELS4_3ELNS0_20block_scan_algorithmE0ELj4294967295EEENS1_25partition_config_selectorILNS1_17partition_subalgoE3EjNS0_10empty_typeEbEEZZNS1_14partition_implILS8_3ELb0ES6_jNS0_17counting_iteratorIjlEEPS9_SE_NS0_5tupleIJPjSE_EEENSF_IJSE_SE_EEES9_SG_JZNS1_25segmented_radix_sort_implINS0_14default_configELb0EPKdPdPKlPlN2at6native12_GLOBAL__N_18offset_tEEE10hipError_tPvRmT1_PNSt15iterator_traitsISY_E10value_typeET2_T3_PNSZ_IS14_E10value_typeET4_jRbjT5_S1A_jjP12ihipStream_tbEUljE_EEESV_SW_SX_S14_S18_S1A_T6_T7_T9_mT8_S1C_bDpT10_ENKUlT_T0_E_clISt17integral_constantIbLb1EES1O_IbLb0EEEEDaS1K_S1L_EUlS1K_E_NS1_11comp_targetILNS1_3genE0ELNS1_11target_archE4294967295ELNS1_3gpuE0ELNS1_3repE0EEENS1_30default_config_static_selectorELNS0_4arch9wavefront6targetE0EEEvSY_: ; @_ZN7rocprim17ROCPRIM_400000_NS6detail17trampoline_kernelINS0_13select_configILj256ELj13ELNS0_17block_load_methodE3ELS4_3ELS4_3ELNS0_20block_scan_algorithmE0ELj4294967295EEENS1_25partition_config_selectorILNS1_17partition_subalgoE3EjNS0_10empty_typeEbEEZZNS1_14partition_implILS8_3ELb0ES6_jNS0_17counting_iteratorIjlEEPS9_SE_NS0_5tupleIJPjSE_EEENSF_IJSE_SE_EEES9_SG_JZNS1_25segmented_radix_sort_implINS0_14default_configELb0EPKdPdPKlPlN2at6native12_GLOBAL__N_18offset_tEEE10hipError_tPvRmT1_PNSt15iterator_traitsISY_E10value_typeET2_T3_PNSZ_IS14_E10value_typeET4_jRbjT5_S1A_jjP12ihipStream_tbEUljE_EEESV_SW_SX_S14_S18_S1A_T6_T7_T9_mT8_S1C_bDpT10_ENKUlT_T0_E_clISt17integral_constantIbLb1EES1O_IbLb0EEEEDaS1K_S1L_EUlS1K_E_NS1_11comp_targetILNS1_3genE0ELNS1_11target_archE4294967295ELNS1_3gpuE0ELNS1_3repE0EEENS1_30default_config_static_selectorELNS0_4arch9wavefront6targetE0EEEvSY_
; %bb.0:
	.section	.rodata,"a",@progbits
	.p2align	6, 0x0
	.amdhsa_kernel _ZN7rocprim17ROCPRIM_400000_NS6detail17trampoline_kernelINS0_13select_configILj256ELj13ELNS0_17block_load_methodE3ELS4_3ELS4_3ELNS0_20block_scan_algorithmE0ELj4294967295EEENS1_25partition_config_selectorILNS1_17partition_subalgoE3EjNS0_10empty_typeEbEEZZNS1_14partition_implILS8_3ELb0ES6_jNS0_17counting_iteratorIjlEEPS9_SE_NS0_5tupleIJPjSE_EEENSF_IJSE_SE_EEES9_SG_JZNS1_25segmented_radix_sort_implINS0_14default_configELb0EPKdPdPKlPlN2at6native12_GLOBAL__N_18offset_tEEE10hipError_tPvRmT1_PNSt15iterator_traitsISY_E10value_typeET2_T3_PNSZ_IS14_E10value_typeET4_jRbjT5_S1A_jjP12ihipStream_tbEUljE_EEESV_SW_SX_S14_S18_S1A_T6_T7_T9_mT8_S1C_bDpT10_ENKUlT_T0_E_clISt17integral_constantIbLb1EES1O_IbLb0EEEEDaS1K_S1L_EUlS1K_E_NS1_11comp_targetILNS1_3genE0ELNS1_11target_archE4294967295ELNS1_3gpuE0ELNS1_3repE0EEENS1_30default_config_static_selectorELNS0_4arch9wavefront6targetE0EEEvSY_
		.amdhsa_group_segment_fixed_size 0
		.amdhsa_private_segment_fixed_size 0
		.amdhsa_kernarg_size 144
		.amdhsa_user_sgpr_count 15
		.amdhsa_user_sgpr_dispatch_ptr 0
		.amdhsa_user_sgpr_queue_ptr 0
		.amdhsa_user_sgpr_kernarg_segment_ptr 1
		.amdhsa_user_sgpr_dispatch_id 0
		.amdhsa_user_sgpr_private_segment_size 0
		.amdhsa_wavefront_size32 1
		.amdhsa_uses_dynamic_stack 0
		.amdhsa_enable_private_segment 0
		.amdhsa_system_sgpr_workgroup_id_x 1
		.amdhsa_system_sgpr_workgroup_id_y 0
		.amdhsa_system_sgpr_workgroup_id_z 0
		.amdhsa_system_sgpr_workgroup_info 0
		.amdhsa_system_vgpr_workitem_id 0
		.amdhsa_next_free_vgpr 1
		.amdhsa_next_free_sgpr 1
		.amdhsa_reserve_vcc 0
		.amdhsa_float_round_mode_32 0
		.amdhsa_float_round_mode_16_64 0
		.amdhsa_float_denorm_mode_32 3
		.amdhsa_float_denorm_mode_16_64 3
		.amdhsa_dx10_clamp 1
		.amdhsa_ieee_mode 1
		.amdhsa_fp16_overflow 0
		.amdhsa_workgroup_processor_mode 1
		.amdhsa_memory_ordered 1
		.amdhsa_forward_progress 0
		.amdhsa_shared_vgpr_count 0
		.amdhsa_exception_fp_ieee_invalid_op 0
		.amdhsa_exception_fp_denorm_src 0
		.amdhsa_exception_fp_ieee_div_zero 0
		.amdhsa_exception_fp_ieee_overflow 0
		.amdhsa_exception_fp_ieee_underflow 0
		.amdhsa_exception_fp_ieee_inexact 0
		.amdhsa_exception_int_div_zero 0
	.end_amdhsa_kernel
	.section	.text._ZN7rocprim17ROCPRIM_400000_NS6detail17trampoline_kernelINS0_13select_configILj256ELj13ELNS0_17block_load_methodE3ELS4_3ELS4_3ELNS0_20block_scan_algorithmE0ELj4294967295EEENS1_25partition_config_selectorILNS1_17partition_subalgoE3EjNS0_10empty_typeEbEEZZNS1_14partition_implILS8_3ELb0ES6_jNS0_17counting_iteratorIjlEEPS9_SE_NS0_5tupleIJPjSE_EEENSF_IJSE_SE_EEES9_SG_JZNS1_25segmented_radix_sort_implINS0_14default_configELb0EPKdPdPKlPlN2at6native12_GLOBAL__N_18offset_tEEE10hipError_tPvRmT1_PNSt15iterator_traitsISY_E10value_typeET2_T3_PNSZ_IS14_E10value_typeET4_jRbjT5_S1A_jjP12ihipStream_tbEUljE_EEESV_SW_SX_S14_S18_S1A_T6_T7_T9_mT8_S1C_bDpT10_ENKUlT_T0_E_clISt17integral_constantIbLb1EES1O_IbLb0EEEEDaS1K_S1L_EUlS1K_E_NS1_11comp_targetILNS1_3genE0ELNS1_11target_archE4294967295ELNS1_3gpuE0ELNS1_3repE0EEENS1_30default_config_static_selectorELNS0_4arch9wavefront6targetE0EEEvSY_,"axG",@progbits,_ZN7rocprim17ROCPRIM_400000_NS6detail17trampoline_kernelINS0_13select_configILj256ELj13ELNS0_17block_load_methodE3ELS4_3ELS4_3ELNS0_20block_scan_algorithmE0ELj4294967295EEENS1_25partition_config_selectorILNS1_17partition_subalgoE3EjNS0_10empty_typeEbEEZZNS1_14partition_implILS8_3ELb0ES6_jNS0_17counting_iteratorIjlEEPS9_SE_NS0_5tupleIJPjSE_EEENSF_IJSE_SE_EEES9_SG_JZNS1_25segmented_radix_sort_implINS0_14default_configELb0EPKdPdPKlPlN2at6native12_GLOBAL__N_18offset_tEEE10hipError_tPvRmT1_PNSt15iterator_traitsISY_E10value_typeET2_T3_PNSZ_IS14_E10value_typeET4_jRbjT5_S1A_jjP12ihipStream_tbEUljE_EEESV_SW_SX_S14_S18_S1A_T6_T7_T9_mT8_S1C_bDpT10_ENKUlT_T0_E_clISt17integral_constantIbLb1EES1O_IbLb0EEEEDaS1K_S1L_EUlS1K_E_NS1_11comp_targetILNS1_3genE0ELNS1_11target_archE4294967295ELNS1_3gpuE0ELNS1_3repE0EEENS1_30default_config_static_selectorELNS0_4arch9wavefront6targetE0EEEvSY_,comdat
.Lfunc_end1205:
	.size	_ZN7rocprim17ROCPRIM_400000_NS6detail17trampoline_kernelINS0_13select_configILj256ELj13ELNS0_17block_load_methodE3ELS4_3ELS4_3ELNS0_20block_scan_algorithmE0ELj4294967295EEENS1_25partition_config_selectorILNS1_17partition_subalgoE3EjNS0_10empty_typeEbEEZZNS1_14partition_implILS8_3ELb0ES6_jNS0_17counting_iteratorIjlEEPS9_SE_NS0_5tupleIJPjSE_EEENSF_IJSE_SE_EEES9_SG_JZNS1_25segmented_radix_sort_implINS0_14default_configELb0EPKdPdPKlPlN2at6native12_GLOBAL__N_18offset_tEEE10hipError_tPvRmT1_PNSt15iterator_traitsISY_E10value_typeET2_T3_PNSZ_IS14_E10value_typeET4_jRbjT5_S1A_jjP12ihipStream_tbEUljE_EEESV_SW_SX_S14_S18_S1A_T6_T7_T9_mT8_S1C_bDpT10_ENKUlT_T0_E_clISt17integral_constantIbLb1EES1O_IbLb0EEEEDaS1K_S1L_EUlS1K_E_NS1_11comp_targetILNS1_3genE0ELNS1_11target_archE4294967295ELNS1_3gpuE0ELNS1_3repE0EEENS1_30default_config_static_selectorELNS0_4arch9wavefront6targetE0EEEvSY_, .Lfunc_end1205-_ZN7rocprim17ROCPRIM_400000_NS6detail17trampoline_kernelINS0_13select_configILj256ELj13ELNS0_17block_load_methodE3ELS4_3ELS4_3ELNS0_20block_scan_algorithmE0ELj4294967295EEENS1_25partition_config_selectorILNS1_17partition_subalgoE3EjNS0_10empty_typeEbEEZZNS1_14partition_implILS8_3ELb0ES6_jNS0_17counting_iteratorIjlEEPS9_SE_NS0_5tupleIJPjSE_EEENSF_IJSE_SE_EEES9_SG_JZNS1_25segmented_radix_sort_implINS0_14default_configELb0EPKdPdPKlPlN2at6native12_GLOBAL__N_18offset_tEEE10hipError_tPvRmT1_PNSt15iterator_traitsISY_E10value_typeET2_T3_PNSZ_IS14_E10value_typeET4_jRbjT5_S1A_jjP12ihipStream_tbEUljE_EEESV_SW_SX_S14_S18_S1A_T6_T7_T9_mT8_S1C_bDpT10_ENKUlT_T0_E_clISt17integral_constantIbLb1EES1O_IbLb0EEEEDaS1K_S1L_EUlS1K_E_NS1_11comp_targetILNS1_3genE0ELNS1_11target_archE4294967295ELNS1_3gpuE0ELNS1_3repE0EEENS1_30default_config_static_selectorELNS0_4arch9wavefront6targetE0EEEvSY_
                                        ; -- End function
	.section	.AMDGPU.csdata,"",@progbits
; Kernel info:
; codeLenInByte = 0
; NumSgprs: 0
; NumVgprs: 0
; ScratchSize: 0
; MemoryBound: 0
; FloatMode: 240
; IeeeMode: 1
; LDSByteSize: 0 bytes/workgroup (compile time only)
; SGPRBlocks: 0
; VGPRBlocks: 0
; NumSGPRsForWavesPerEU: 1
; NumVGPRsForWavesPerEU: 1
; Occupancy: 16
; WaveLimiterHint : 0
; COMPUTE_PGM_RSRC2:SCRATCH_EN: 0
; COMPUTE_PGM_RSRC2:USER_SGPR: 15
; COMPUTE_PGM_RSRC2:TRAP_HANDLER: 0
; COMPUTE_PGM_RSRC2:TGID_X_EN: 1
; COMPUTE_PGM_RSRC2:TGID_Y_EN: 0
; COMPUTE_PGM_RSRC2:TGID_Z_EN: 0
; COMPUTE_PGM_RSRC2:TIDIG_COMP_CNT: 0
	.section	.text._ZN7rocprim17ROCPRIM_400000_NS6detail17trampoline_kernelINS0_13select_configILj256ELj13ELNS0_17block_load_methodE3ELS4_3ELS4_3ELNS0_20block_scan_algorithmE0ELj4294967295EEENS1_25partition_config_selectorILNS1_17partition_subalgoE3EjNS0_10empty_typeEbEEZZNS1_14partition_implILS8_3ELb0ES6_jNS0_17counting_iteratorIjlEEPS9_SE_NS0_5tupleIJPjSE_EEENSF_IJSE_SE_EEES9_SG_JZNS1_25segmented_radix_sort_implINS0_14default_configELb0EPKdPdPKlPlN2at6native12_GLOBAL__N_18offset_tEEE10hipError_tPvRmT1_PNSt15iterator_traitsISY_E10value_typeET2_T3_PNSZ_IS14_E10value_typeET4_jRbjT5_S1A_jjP12ihipStream_tbEUljE_EEESV_SW_SX_S14_S18_S1A_T6_T7_T9_mT8_S1C_bDpT10_ENKUlT_T0_E_clISt17integral_constantIbLb1EES1O_IbLb0EEEEDaS1K_S1L_EUlS1K_E_NS1_11comp_targetILNS1_3genE5ELNS1_11target_archE942ELNS1_3gpuE9ELNS1_3repE0EEENS1_30default_config_static_selectorELNS0_4arch9wavefront6targetE0EEEvSY_,"axG",@progbits,_ZN7rocprim17ROCPRIM_400000_NS6detail17trampoline_kernelINS0_13select_configILj256ELj13ELNS0_17block_load_methodE3ELS4_3ELS4_3ELNS0_20block_scan_algorithmE0ELj4294967295EEENS1_25partition_config_selectorILNS1_17partition_subalgoE3EjNS0_10empty_typeEbEEZZNS1_14partition_implILS8_3ELb0ES6_jNS0_17counting_iteratorIjlEEPS9_SE_NS0_5tupleIJPjSE_EEENSF_IJSE_SE_EEES9_SG_JZNS1_25segmented_radix_sort_implINS0_14default_configELb0EPKdPdPKlPlN2at6native12_GLOBAL__N_18offset_tEEE10hipError_tPvRmT1_PNSt15iterator_traitsISY_E10value_typeET2_T3_PNSZ_IS14_E10value_typeET4_jRbjT5_S1A_jjP12ihipStream_tbEUljE_EEESV_SW_SX_S14_S18_S1A_T6_T7_T9_mT8_S1C_bDpT10_ENKUlT_T0_E_clISt17integral_constantIbLb1EES1O_IbLb0EEEEDaS1K_S1L_EUlS1K_E_NS1_11comp_targetILNS1_3genE5ELNS1_11target_archE942ELNS1_3gpuE9ELNS1_3repE0EEENS1_30default_config_static_selectorELNS0_4arch9wavefront6targetE0EEEvSY_,comdat
	.globl	_ZN7rocprim17ROCPRIM_400000_NS6detail17trampoline_kernelINS0_13select_configILj256ELj13ELNS0_17block_load_methodE3ELS4_3ELS4_3ELNS0_20block_scan_algorithmE0ELj4294967295EEENS1_25partition_config_selectorILNS1_17partition_subalgoE3EjNS0_10empty_typeEbEEZZNS1_14partition_implILS8_3ELb0ES6_jNS0_17counting_iteratorIjlEEPS9_SE_NS0_5tupleIJPjSE_EEENSF_IJSE_SE_EEES9_SG_JZNS1_25segmented_radix_sort_implINS0_14default_configELb0EPKdPdPKlPlN2at6native12_GLOBAL__N_18offset_tEEE10hipError_tPvRmT1_PNSt15iterator_traitsISY_E10value_typeET2_T3_PNSZ_IS14_E10value_typeET4_jRbjT5_S1A_jjP12ihipStream_tbEUljE_EEESV_SW_SX_S14_S18_S1A_T6_T7_T9_mT8_S1C_bDpT10_ENKUlT_T0_E_clISt17integral_constantIbLb1EES1O_IbLb0EEEEDaS1K_S1L_EUlS1K_E_NS1_11comp_targetILNS1_3genE5ELNS1_11target_archE942ELNS1_3gpuE9ELNS1_3repE0EEENS1_30default_config_static_selectorELNS0_4arch9wavefront6targetE0EEEvSY_ ; -- Begin function _ZN7rocprim17ROCPRIM_400000_NS6detail17trampoline_kernelINS0_13select_configILj256ELj13ELNS0_17block_load_methodE3ELS4_3ELS4_3ELNS0_20block_scan_algorithmE0ELj4294967295EEENS1_25partition_config_selectorILNS1_17partition_subalgoE3EjNS0_10empty_typeEbEEZZNS1_14partition_implILS8_3ELb0ES6_jNS0_17counting_iteratorIjlEEPS9_SE_NS0_5tupleIJPjSE_EEENSF_IJSE_SE_EEES9_SG_JZNS1_25segmented_radix_sort_implINS0_14default_configELb0EPKdPdPKlPlN2at6native12_GLOBAL__N_18offset_tEEE10hipError_tPvRmT1_PNSt15iterator_traitsISY_E10value_typeET2_T3_PNSZ_IS14_E10value_typeET4_jRbjT5_S1A_jjP12ihipStream_tbEUljE_EEESV_SW_SX_S14_S18_S1A_T6_T7_T9_mT8_S1C_bDpT10_ENKUlT_T0_E_clISt17integral_constantIbLb1EES1O_IbLb0EEEEDaS1K_S1L_EUlS1K_E_NS1_11comp_targetILNS1_3genE5ELNS1_11target_archE942ELNS1_3gpuE9ELNS1_3repE0EEENS1_30default_config_static_selectorELNS0_4arch9wavefront6targetE0EEEvSY_
	.p2align	8
	.type	_ZN7rocprim17ROCPRIM_400000_NS6detail17trampoline_kernelINS0_13select_configILj256ELj13ELNS0_17block_load_methodE3ELS4_3ELS4_3ELNS0_20block_scan_algorithmE0ELj4294967295EEENS1_25partition_config_selectorILNS1_17partition_subalgoE3EjNS0_10empty_typeEbEEZZNS1_14partition_implILS8_3ELb0ES6_jNS0_17counting_iteratorIjlEEPS9_SE_NS0_5tupleIJPjSE_EEENSF_IJSE_SE_EEES9_SG_JZNS1_25segmented_radix_sort_implINS0_14default_configELb0EPKdPdPKlPlN2at6native12_GLOBAL__N_18offset_tEEE10hipError_tPvRmT1_PNSt15iterator_traitsISY_E10value_typeET2_T3_PNSZ_IS14_E10value_typeET4_jRbjT5_S1A_jjP12ihipStream_tbEUljE_EEESV_SW_SX_S14_S18_S1A_T6_T7_T9_mT8_S1C_bDpT10_ENKUlT_T0_E_clISt17integral_constantIbLb1EES1O_IbLb0EEEEDaS1K_S1L_EUlS1K_E_NS1_11comp_targetILNS1_3genE5ELNS1_11target_archE942ELNS1_3gpuE9ELNS1_3repE0EEENS1_30default_config_static_selectorELNS0_4arch9wavefront6targetE0EEEvSY_,@function
_ZN7rocprim17ROCPRIM_400000_NS6detail17trampoline_kernelINS0_13select_configILj256ELj13ELNS0_17block_load_methodE3ELS4_3ELS4_3ELNS0_20block_scan_algorithmE0ELj4294967295EEENS1_25partition_config_selectorILNS1_17partition_subalgoE3EjNS0_10empty_typeEbEEZZNS1_14partition_implILS8_3ELb0ES6_jNS0_17counting_iteratorIjlEEPS9_SE_NS0_5tupleIJPjSE_EEENSF_IJSE_SE_EEES9_SG_JZNS1_25segmented_radix_sort_implINS0_14default_configELb0EPKdPdPKlPlN2at6native12_GLOBAL__N_18offset_tEEE10hipError_tPvRmT1_PNSt15iterator_traitsISY_E10value_typeET2_T3_PNSZ_IS14_E10value_typeET4_jRbjT5_S1A_jjP12ihipStream_tbEUljE_EEESV_SW_SX_S14_S18_S1A_T6_T7_T9_mT8_S1C_bDpT10_ENKUlT_T0_E_clISt17integral_constantIbLb1EES1O_IbLb0EEEEDaS1K_S1L_EUlS1K_E_NS1_11comp_targetILNS1_3genE5ELNS1_11target_archE942ELNS1_3gpuE9ELNS1_3repE0EEENS1_30default_config_static_selectorELNS0_4arch9wavefront6targetE0EEEvSY_: ; @_ZN7rocprim17ROCPRIM_400000_NS6detail17trampoline_kernelINS0_13select_configILj256ELj13ELNS0_17block_load_methodE3ELS4_3ELS4_3ELNS0_20block_scan_algorithmE0ELj4294967295EEENS1_25partition_config_selectorILNS1_17partition_subalgoE3EjNS0_10empty_typeEbEEZZNS1_14partition_implILS8_3ELb0ES6_jNS0_17counting_iteratorIjlEEPS9_SE_NS0_5tupleIJPjSE_EEENSF_IJSE_SE_EEES9_SG_JZNS1_25segmented_radix_sort_implINS0_14default_configELb0EPKdPdPKlPlN2at6native12_GLOBAL__N_18offset_tEEE10hipError_tPvRmT1_PNSt15iterator_traitsISY_E10value_typeET2_T3_PNSZ_IS14_E10value_typeET4_jRbjT5_S1A_jjP12ihipStream_tbEUljE_EEESV_SW_SX_S14_S18_S1A_T6_T7_T9_mT8_S1C_bDpT10_ENKUlT_T0_E_clISt17integral_constantIbLb1EES1O_IbLb0EEEEDaS1K_S1L_EUlS1K_E_NS1_11comp_targetILNS1_3genE5ELNS1_11target_archE942ELNS1_3gpuE9ELNS1_3repE0EEENS1_30default_config_static_selectorELNS0_4arch9wavefront6targetE0EEEvSY_
; %bb.0:
	.section	.rodata,"a",@progbits
	.p2align	6, 0x0
	.amdhsa_kernel _ZN7rocprim17ROCPRIM_400000_NS6detail17trampoline_kernelINS0_13select_configILj256ELj13ELNS0_17block_load_methodE3ELS4_3ELS4_3ELNS0_20block_scan_algorithmE0ELj4294967295EEENS1_25partition_config_selectorILNS1_17partition_subalgoE3EjNS0_10empty_typeEbEEZZNS1_14partition_implILS8_3ELb0ES6_jNS0_17counting_iteratorIjlEEPS9_SE_NS0_5tupleIJPjSE_EEENSF_IJSE_SE_EEES9_SG_JZNS1_25segmented_radix_sort_implINS0_14default_configELb0EPKdPdPKlPlN2at6native12_GLOBAL__N_18offset_tEEE10hipError_tPvRmT1_PNSt15iterator_traitsISY_E10value_typeET2_T3_PNSZ_IS14_E10value_typeET4_jRbjT5_S1A_jjP12ihipStream_tbEUljE_EEESV_SW_SX_S14_S18_S1A_T6_T7_T9_mT8_S1C_bDpT10_ENKUlT_T0_E_clISt17integral_constantIbLb1EES1O_IbLb0EEEEDaS1K_S1L_EUlS1K_E_NS1_11comp_targetILNS1_3genE5ELNS1_11target_archE942ELNS1_3gpuE9ELNS1_3repE0EEENS1_30default_config_static_selectorELNS0_4arch9wavefront6targetE0EEEvSY_
		.amdhsa_group_segment_fixed_size 0
		.amdhsa_private_segment_fixed_size 0
		.amdhsa_kernarg_size 144
		.amdhsa_user_sgpr_count 15
		.amdhsa_user_sgpr_dispatch_ptr 0
		.amdhsa_user_sgpr_queue_ptr 0
		.amdhsa_user_sgpr_kernarg_segment_ptr 1
		.amdhsa_user_sgpr_dispatch_id 0
		.amdhsa_user_sgpr_private_segment_size 0
		.amdhsa_wavefront_size32 1
		.amdhsa_uses_dynamic_stack 0
		.amdhsa_enable_private_segment 0
		.amdhsa_system_sgpr_workgroup_id_x 1
		.amdhsa_system_sgpr_workgroup_id_y 0
		.amdhsa_system_sgpr_workgroup_id_z 0
		.amdhsa_system_sgpr_workgroup_info 0
		.amdhsa_system_vgpr_workitem_id 0
		.amdhsa_next_free_vgpr 1
		.amdhsa_next_free_sgpr 1
		.amdhsa_reserve_vcc 0
		.amdhsa_float_round_mode_32 0
		.amdhsa_float_round_mode_16_64 0
		.amdhsa_float_denorm_mode_32 3
		.amdhsa_float_denorm_mode_16_64 3
		.amdhsa_dx10_clamp 1
		.amdhsa_ieee_mode 1
		.amdhsa_fp16_overflow 0
		.amdhsa_workgroup_processor_mode 1
		.amdhsa_memory_ordered 1
		.amdhsa_forward_progress 0
		.amdhsa_shared_vgpr_count 0
		.amdhsa_exception_fp_ieee_invalid_op 0
		.amdhsa_exception_fp_denorm_src 0
		.amdhsa_exception_fp_ieee_div_zero 0
		.amdhsa_exception_fp_ieee_overflow 0
		.amdhsa_exception_fp_ieee_underflow 0
		.amdhsa_exception_fp_ieee_inexact 0
		.amdhsa_exception_int_div_zero 0
	.end_amdhsa_kernel
	.section	.text._ZN7rocprim17ROCPRIM_400000_NS6detail17trampoline_kernelINS0_13select_configILj256ELj13ELNS0_17block_load_methodE3ELS4_3ELS4_3ELNS0_20block_scan_algorithmE0ELj4294967295EEENS1_25partition_config_selectorILNS1_17partition_subalgoE3EjNS0_10empty_typeEbEEZZNS1_14partition_implILS8_3ELb0ES6_jNS0_17counting_iteratorIjlEEPS9_SE_NS0_5tupleIJPjSE_EEENSF_IJSE_SE_EEES9_SG_JZNS1_25segmented_radix_sort_implINS0_14default_configELb0EPKdPdPKlPlN2at6native12_GLOBAL__N_18offset_tEEE10hipError_tPvRmT1_PNSt15iterator_traitsISY_E10value_typeET2_T3_PNSZ_IS14_E10value_typeET4_jRbjT5_S1A_jjP12ihipStream_tbEUljE_EEESV_SW_SX_S14_S18_S1A_T6_T7_T9_mT8_S1C_bDpT10_ENKUlT_T0_E_clISt17integral_constantIbLb1EES1O_IbLb0EEEEDaS1K_S1L_EUlS1K_E_NS1_11comp_targetILNS1_3genE5ELNS1_11target_archE942ELNS1_3gpuE9ELNS1_3repE0EEENS1_30default_config_static_selectorELNS0_4arch9wavefront6targetE0EEEvSY_,"axG",@progbits,_ZN7rocprim17ROCPRIM_400000_NS6detail17trampoline_kernelINS0_13select_configILj256ELj13ELNS0_17block_load_methodE3ELS4_3ELS4_3ELNS0_20block_scan_algorithmE0ELj4294967295EEENS1_25partition_config_selectorILNS1_17partition_subalgoE3EjNS0_10empty_typeEbEEZZNS1_14partition_implILS8_3ELb0ES6_jNS0_17counting_iteratorIjlEEPS9_SE_NS0_5tupleIJPjSE_EEENSF_IJSE_SE_EEES9_SG_JZNS1_25segmented_radix_sort_implINS0_14default_configELb0EPKdPdPKlPlN2at6native12_GLOBAL__N_18offset_tEEE10hipError_tPvRmT1_PNSt15iterator_traitsISY_E10value_typeET2_T3_PNSZ_IS14_E10value_typeET4_jRbjT5_S1A_jjP12ihipStream_tbEUljE_EEESV_SW_SX_S14_S18_S1A_T6_T7_T9_mT8_S1C_bDpT10_ENKUlT_T0_E_clISt17integral_constantIbLb1EES1O_IbLb0EEEEDaS1K_S1L_EUlS1K_E_NS1_11comp_targetILNS1_3genE5ELNS1_11target_archE942ELNS1_3gpuE9ELNS1_3repE0EEENS1_30default_config_static_selectorELNS0_4arch9wavefront6targetE0EEEvSY_,comdat
.Lfunc_end1206:
	.size	_ZN7rocprim17ROCPRIM_400000_NS6detail17trampoline_kernelINS0_13select_configILj256ELj13ELNS0_17block_load_methodE3ELS4_3ELS4_3ELNS0_20block_scan_algorithmE0ELj4294967295EEENS1_25partition_config_selectorILNS1_17partition_subalgoE3EjNS0_10empty_typeEbEEZZNS1_14partition_implILS8_3ELb0ES6_jNS0_17counting_iteratorIjlEEPS9_SE_NS0_5tupleIJPjSE_EEENSF_IJSE_SE_EEES9_SG_JZNS1_25segmented_radix_sort_implINS0_14default_configELb0EPKdPdPKlPlN2at6native12_GLOBAL__N_18offset_tEEE10hipError_tPvRmT1_PNSt15iterator_traitsISY_E10value_typeET2_T3_PNSZ_IS14_E10value_typeET4_jRbjT5_S1A_jjP12ihipStream_tbEUljE_EEESV_SW_SX_S14_S18_S1A_T6_T7_T9_mT8_S1C_bDpT10_ENKUlT_T0_E_clISt17integral_constantIbLb1EES1O_IbLb0EEEEDaS1K_S1L_EUlS1K_E_NS1_11comp_targetILNS1_3genE5ELNS1_11target_archE942ELNS1_3gpuE9ELNS1_3repE0EEENS1_30default_config_static_selectorELNS0_4arch9wavefront6targetE0EEEvSY_, .Lfunc_end1206-_ZN7rocprim17ROCPRIM_400000_NS6detail17trampoline_kernelINS0_13select_configILj256ELj13ELNS0_17block_load_methodE3ELS4_3ELS4_3ELNS0_20block_scan_algorithmE0ELj4294967295EEENS1_25partition_config_selectorILNS1_17partition_subalgoE3EjNS0_10empty_typeEbEEZZNS1_14partition_implILS8_3ELb0ES6_jNS0_17counting_iteratorIjlEEPS9_SE_NS0_5tupleIJPjSE_EEENSF_IJSE_SE_EEES9_SG_JZNS1_25segmented_radix_sort_implINS0_14default_configELb0EPKdPdPKlPlN2at6native12_GLOBAL__N_18offset_tEEE10hipError_tPvRmT1_PNSt15iterator_traitsISY_E10value_typeET2_T3_PNSZ_IS14_E10value_typeET4_jRbjT5_S1A_jjP12ihipStream_tbEUljE_EEESV_SW_SX_S14_S18_S1A_T6_T7_T9_mT8_S1C_bDpT10_ENKUlT_T0_E_clISt17integral_constantIbLb1EES1O_IbLb0EEEEDaS1K_S1L_EUlS1K_E_NS1_11comp_targetILNS1_3genE5ELNS1_11target_archE942ELNS1_3gpuE9ELNS1_3repE0EEENS1_30default_config_static_selectorELNS0_4arch9wavefront6targetE0EEEvSY_
                                        ; -- End function
	.section	.AMDGPU.csdata,"",@progbits
; Kernel info:
; codeLenInByte = 0
; NumSgprs: 0
; NumVgprs: 0
; ScratchSize: 0
; MemoryBound: 0
; FloatMode: 240
; IeeeMode: 1
; LDSByteSize: 0 bytes/workgroup (compile time only)
; SGPRBlocks: 0
; VGPRBlocks: 0
; NumSGPRsForWavesPerEU: 1
; NumVGPRsForWavesPerEU: 1
; Occupancy: 16
; WaveLimiterHint : 0
; COMPUTE_PGM_RSRC2:SCRATCH_EN: 0
; COMPUTE_PGM_RSRC2:USER_SGPR: 15
; COMPUTE_PGM_RSRC2:TRAP_HANDLER: 0
; COMPUTE_PGM_RSRC2:TGID_X_EN: 1
; COMPUTE_PGM_RSRC2:TGID_Y_EN: 0
; COMPUTE_PGM_RSRC2:TGID_Z_EN: 0
; COMPUTE_PGM_RSRC2:TIDIG_COMP_CNT: 0
	.section	.text._ZN7rocprim17ROCPRIM_400000_NS6detail17trampoline_kernelINS0_13select_configILj256ELj13ELNS0_17block_load_methodE3ELS4_3ELS4_3ELNS0_20block_scan_algorithmE0ELj4294967295EEENS1_25partition_config_selectorILNS1_17partition_subalgoE3EjNS0_10empty_typeEbEEZZNS1_14partition_implILS8_3ELb0ES6_jNS0_17counting_iteratorIjlEEPS9_SE_NS0_5tupleIJPjSE_EEENSF_IJSE_SE_EEES9_SG_JZNS1_25segmented_radix_sort_implINS0_14default_configELb0EPKdPdPKlPlN2at6native12_GLOBAL__N_18offset_tEEE10hipError_tPvRmT1_PNSt15iterator_traitsISY_E10value_typeET2_T3_PNSZ_IS14_E10value_typeET4_jRbjT5_S1A_jjP12ihipStream_tbEUljE_EEESV_SW_SX_S14_S18_S1A_T6_T7_T9_mT8_S1C_bDpT10_ENKUlT_T0_E_clISt17integral_constantIbLb1EES1O_IbLb0EEEEDaS1K_S1L_EUlS1K_E_NS1_11comp_targetILNS1_3genE4ELNS1_11target_archE910ELNS1_3gpuE8ELNS1_3repE0EEENS1_30default_config_static_selectorELNS0_4arch9wavefront6targetE0EEEvSY_,"axG",@progbits,_ZN7rocprim17ROCPRIM_400000_NS6detail17trampoline_kernelINS0_13select_configILj256ELj13ELNS0_17block_load_methodE3ELS4_3ELS4_3ELNS0_20block_scan_algorithmE0ELj4294967295EEENS1_25partition_config_selectorILNS1_17partition_subalgoE3EjNS0_10empty_typeEbEEZZNS1_14partition_implILS8_3ELb0ES6_jNS0_17counting_iteratorIjlEEPS9_SE_NS0_5tupleIJPjSE_EEENSF_IJSE_SE_EEES9_SG_JZNS1_25segmented_radix_sort_implINS0_14default_configELb0EPKdPdPKlPlN2at6native12_GLOBAL__N_18offset_tEEE10hipError_tPvRmT1_PNSt15iterator_traitsISY_E10value_typeET2_T3_PNSZ_IS14_E10value_typeET4_jRbjT5_S1A_jjP12ihipStream_tbEUljE_EEESV_SW_SX_S14_S18_S1A_T6_T7_T9_mT8_S1C_bDpT10_ENKUlT_T0_E_clISt17integral_constantIbLb1EES1O_IbLb0EEEEDaS1K_S1L_EUlS1K_E_NS1_11comp_targetILNS1_3genE4ELNS1_11target_archE910ELNS1_3gpuE8ELNS1_3repE0EEENS1_30default_config_static_selectorELNS0_4arch9wavefront6targetE0EEEvSY_,comdat
	.globl	_ZN7rocprim17ROCPRIM_400000_NS6detail17trampoline_kernelINS0_13select_configILj256ELj13ELNS0_17block_load_methodE3ELS4_3ELS4_3ELNS0_20block_scan_algorithmE0ELj4294967295EEENS1_25partition_config_selectorILNS1_17partition_subalgoE3EjNS0_10empty_typeEbEEZZNS1_14partition_implILS8_3ELb0ES6_jNS0_17counting_iteratorIjlEEPS9_SE_NS0_5tupleIJPjSE_EEENSF_IJSE_SE_EEES9_SG_JZNS1_25segmented_radix_sort_implINS0_14default_configELb0EPKdPdPKlPlN2at6native12_GLOBAL__N_18offset_tEEE10hipError_tPvRmT1_PNSt15iterator_traitsISY_E10value_typeET2_T3_PNSZ_IS14_E10value_typeET4_jRbjT5_S1A_jjP12ihipStream_tbEUljE_EEESV_SW_SX_S14_S18_S1A_T6_T7_T9_mT8_S1C_bDpT10_ENKUlT_T0_E_clISt17integral_constantIbLb1EES1O_IbLb0EEEEDaS1K_S1L_EUlS1K_E_NS1_11comp_targetILNS1_3genE4ELNS1_11target_archE910ELNS1_3gpuE8ELNS1_3repE0EEENS1_30default_config_static_selectorELNS0_4arch9wavefront6targetE0EEEvSY_ ; -- Begin function _ZN7rocprim17ROCPRIM_400000_NS6detail17trampoline_kernelINS0_13select_configILj256ELj13ELNS0_17block_load_methodE3ELS4_3ELS4_3ELNS0_20block_scan_algorithmE0ELj4294967295EEENS1_25partition_config_selectorILNS1_17partition_subalgoE3EjNS0_10empty_typeEbEEZZNS1_14partition_implILS8_3ELb0ES6_jNS0_17counting_iteratorIjlEEPS9_SE_NS0_5tupleIJPjSE_EEENSF_IJSE_SE_EEES9_SG_JZNS1_25segmented_radix_sort_implINS0_14default_configELb0EPKdPdPKlPlN2at6native12_GLOBAL__N_18offset_tEEE10hipError_tPvRmT1_PNSt15iterator_traitsISY_E10value_typeET2_T3_PNSZ_IS14_E10value_typeET4_jRbjT5_S1A_jjP12ihipStream_tbEUljE_EEESV_SW_SX_S14_S18_S1A_T6_T7_T9_mT8_S1C_bDpT10_ENKUlT_T0_E_clISt17integral_constantIbLb1EES1O_IbLb0EEEEDaS1K_S1L_EUlS1K_E_NS1_11comp_targetILNS1_3genE4ELNS1_11target_archE910ELNS1_3gpuE8ELNS1_3repE0EEENS1_30default_config_static_selectorELNS0_4arch9wavefront6targetE0EEEvSY_
	.p2align	8
	.type	_ZN7rocprim17ROCPRIM_400000_NS6detail17trampoline_kernelINS0_13select_configILj256ELj13ELNS0_17block_load_methodE3ELS4_3ELS4_3ELNS0_20block_scan_algorithmE0ELj4294967295EEENS1_25partition_config_selectorILNS1_17partition_subalgoE3EjNS0_10empty_typeEbEEZZNS1_14partition_implILS8_3ELb0ES6_jNS0_17counting_iteratorIjlEEPS9_SE_NS0_5tupleIJPjSE_EEENSF_IJSE_SE_EEES9_SG_JZNS1_25segmented_radix_sort_implINS0_14default_configELb0EPKdPdPKlPlN2at6native12_GLOBAL__N_18offset_tEEE10hipError_tPvRmT1_PNSt15iterator_traitsISY_E10value_typeET2_T3_PNSZ_IS14_E10value_typeET4_jRbjT5_S1A_jjP12ihipStream_tbEUljE_EEESV_SW_SX_S14_S18_S1A_T6_T7_T9_mT8_S1C_bDpT10_ENKUlT_T0_E_clISt17integral_constantIbLb1EES1O_IbLb0EEEEDaS1K_S1L_EUlS1K_E_NS1_11comp_targetILNS1_3genE4ELNS1_11target_archE910ELNS1_3gpuE8ELNS1_3repE0EEENS1_30default_config_static_selectorELNS0_4arch9wavefront6targetE0EEEvSY_,@function
_ZN7rocprim17ROCPRIM_400000_NS6detail17trampoline_kernelINS0_13select_configILj256ELj13ELNS0_17block_load_methodE3ELS4_3ELS4_3ELNS0_20block_scan_algorithmE0ELj4294967295EEENS1_25partition_config_selectorILNS1_17partition_subalgoE3EjNS0_10empty_typeEbEEZZNS1_14partition_implILS8_3ELb0ES6_jNS0_17counting_iteratorIjlEEPS9_SE_NS0_5tupleIJPjSE_EEENSF_IJSE_SE_EEES9_SG_JZNS1_25segmented_radix_sort_implINS0_14default_configELb0EPKdPdPKlPlN2at6native12_GLOBAL__N_18offset_tEEE10hipError_tPvRmT1_PNSt15iterator_traitsISY_E10value_typeET2_T3_PNSZ_IS14_E10value_typeET4_jRbjT5_S1A_jjP12ihipStream_tbEUljE_EEESV_SW_SX_S14_S18_S1A_T6_T7_T9_mT8_S1C_bDpT10_ENKUlT_T0_E_clISt17integral_constantIbLb1EES1O_IbLb0EEEEDaS1K_S1L_EUlS1K_E_NS1_11comp_targetILNS1_3genE4ELNS1_11target_archE910ELNS1_3gpuE8ELNS1_3repE0EEENS1_30default_config_static_selectorELNS0_4arch9wavefront6targetE0EEEvSY_: ; @_ZN7rocprim17ROCPRIM_400000_NS6detail17trampoline_kernelINS0_13select_configILj256ELj13ELNS0_17block_load_methodE3ELS4_3ELS4_3ELNS0_20block_scan_algorithmE0ELj4294967295EEENS1_25partition_config_selectorILNS1_17partition_subalgoE3EjNS0_10empty_typeEbEEZZNS1_14partition_implILS8_3ELb0ES6_jNS0_17counting_iteratorIjlEEPS9_SE_NS0_5tupleIJPjSE_EEENSF_IJSE_SE_EEES9_SG_JZNS1_25segmented_radix_sort_implINS0_14default_configELb0EPKdPdPKlPlN2at6native12_GLOBAL__N_18offset_tEEE10hipError_tPvRmT1_PNSt15iterator_traitsISY_E10value_typeET2_T3_PNSZ_IS14_E10value_typeET4_jRbjT5_S1A_jjP12ihipStream_tbEUljE_EEESV_SW_SX_S14_S18_S1A_T6_T7_T9_mT8_S1C_bDpT10_ENKUlT_T0_E_clISt17integral_constantIbLb1EES1O_IbLb0EEEEDaS1K_S1L_EUlS1K_E_NS1_11comp_targetILNS1_3genE4ELNS1_11target_archE910ELNS1_3gpuE8ELNS1_3repE0EEENS1_30default_config_static_selectorELNS0_4arch9wavefront6targetE0EEEvSY_
; %bb.0:
	.section	.rodata,"a",@progbits
	.p2align	6, 0x0
	.amdhsa_kernel _ZN7rocprim17ROCPRIM_400000_NS6detail17trampoline_kernelINS0_13select_configILj256ELj13ELNS0_17block_load_methodE3ELS4_3ELS4_3ELNS0_20block_scan_algorithmE0ELj4294967295EEENS1_25partition_config_selectorILNS1_17partition_subalgoE3EjNS0_10empty_typeEbEEZZNS1_14partition_implILS8_3ELb0ES6_jNS0_17counting_iteratorIjlEEPS9_SE_NS0_5tupleIJPjSE_EEENSF_IJSE_SE_EEES9_SG_JZNS1_25segmented_radix_sort_implINS0_14default_configELb0EPKdPdPKlPlN2at6native12_GLOBAL__N_18offset_tEEE10hipError_tPvRmT1_PNSt15iterator_traitsISY_E10value_typeET2_T3_PNSZ_IS14_E10value_typeET4_jRbjT5_S1A_jjP12ihipStream_tbEUljE_EEESV_SW_SX_S14_S18_S1A_T6_T7_T9_mT8_S1C_bDpT10_ENKUlT_T0_E_clISt17integral_constantIbLb1EES1O_IbLb0EEEEDaS1K_S1L_EUlS1K_E_NS1_11comp_targetILNS1_3genE4ELNS1_11target_archE910ELNS1_3gpuE8ELNS1_3repE0EEENS1_30default_config_static_selectorELNS0_4arch9wavefront6targetE0EEEvSY_
		.amdhsa_group_segment_fixed_size 0
		.amdhsa_private_segment_fixed_size 0
		.amdhsa_kernarg_size 144
		.amdhsa_user_sgpr_count 15
		.amdhsa_user_sgpr_dispatch_ptr 0
		.amdhsa_user_sgpr_queue_ptr 0
		.amdhsa_user_sgpr_kernarg_segment_ptr 1
		.amdhsa_user_sgpr_dispatch_id 0
		.amdhsa_user_sgpr_private_segment_size 0
		.amdhsa_wavefront_size32 1
		.amdhsa_uses_dynamic_stack 0
		.amdhsa_enable_private_segment 0
		.amdhsa_system_sgpr_workgroup_id_x 1
		.amdhsa_system_sgpr_workgroup_id_y 0
		.amdhsa_system_sgpr_workgroup_id_z 0
		.amdhsa_system_sgpr_workgroup_info 0
		.amdhsa_system_vgpr_workitem_id 0
		.amdhsa_next_free_vgpr 1
		.amdhsa_next_free_sgpr 1
		.amdhsa_reserve_vcc 0
		.amdhsa_float_round_mode_32 0
		.amdhsa_float_round_mode_16_64 0
		.amdhsa_float_denorm_mode_32 3
		.amdhsa_float_denorm_mode_16_64 3
		.amdhsa_dx10_clamp 1
		.amdhsa_ieee_mode 1
		.amdhsa_fp16_overflow 0
		.amdhsa_workgroup_processor_mode 1
		.amdhsa_memory_ordered 1
		.amdhsa_forward_progress 0
		.amdhsa_shared_vgpr_count 0
		.amdhsa_exception_fp_ieee_invalid_op 0
		.amdhsa_exception_fp_denorm_src 0
		.amdhsa_exception_fp_ieee_div_zero 0
		.amdhsa_exception_fp_ieee_overflow 0
		.amdhsa_exception_fp_ieee_underflow 0
		.amdhsa_exception_fp_ieee_inexact 0
		.amdhsa_exception_int_div_zero 0
	.end_amdhsa_kernel
	.section	.text._ZN7rocprim17ROCPRIM_400000_NS6detail17trampoline_kernelINS0_13select_configILj256ELj13ELNS0_17block_load_methodE3ELS4_3ELS4_3ELNS0_20block_scan_algorithmE0ELj4294967295EEENS1_25partition_config_selectorILNS1_17partition_subalgoE3EjNS0_10empty_typeEbEEZZNS1_14partition_implILS8_3ELb0ES6_jNS0_17counting_iteratorIjlEEPS9_SE_NS0_5tupleIJPjSE_EEENSF_IJSE_SE_EEES9_SG_JZNS1_25segmented_radix_sort_implINS0_14default_configELb0EPKdPdPKlPlN2at6native12_GLOBAL__N_18offset_tEEE10hipError_tPvRmT1_PNSt15iterator_traitsISY_E10value_typeET2_T3_PNSZ_IS14_E10value_typeET4_jRbjT5_S1A_jjP12ihipStream_tbEUljE_EEESV_SW_SX_S14_S18_S1A_T6_T7_T9_mT8_S1C_bDpT10_ENKUlT_T0_E_clISt17integral_constantIbLb1EES1O_IbLb0EEEEDaS1K_S1L_EUlS1K_E_NS1_11comp_targetILNS1_3genE4ELNS1_11target_archE910ELNS1_3gpuE8ELNS1_3repE0EEENS1_30default_config_static_selectorELNS0_4arch9wavefront6targetE0EEEvSY_,"axG",@progbits,_ZN7rocprim17ROCPRIM_400000_NS6detail17trampoline_kernelINS0_13select_configILj256ELj13ELNS0_17block_load_methodE3ELS4_3ELS4_3ELNS0_20block_scan_algorithmE0ELj4294967295EEENS1_25partition_config_selectorILNS1_17partition_subalgoE3EjNS0_10empty_typeEbEEZZNS1_14partition_implILS8_3ELb0ES6_jNS0_17counting_iteratorIjlEEPS9_SE_NS0_5tupleIJPjSE_EEENSF_IJSE_SE_EEES9_SG_JZNS1_25segmented_radix_sort_implINS0_14default_configELb0EPKdPdPKlPlN2at6native12_GLOBAL__N_18offset_tEEE10hipError_tPvRmT1_PNSt15iterator_traitsISY_E10value_typeET2_T3_PNSZ_IS14_E10value_typeET4_jRbjT5_S1A_jjP12ihipStream_tbEUljE_EEESV_SW_SX_S14_S18_S1A_T6_T7_T9_mT8_S1C_bDpT10_ENKUlT_T0_E_clISt17integral_constantIbLb1EES1O_IbLb0EEEEDaS1K_S1L_EUlS1K_E_NS1_11comp_targetILNS1_3genE4ELNS1_11target_archE910ELNS1_3gpuE8ELNS1_3repE0EEENS1_30default_config_static_selectorELNS0_4arch9wavefront6targetE0EEEvSY_,comdat
.Lfunc_end1207:
	.size	_ZN7rocprim17ROCPRIM_400000_NS6detail17trampoline_kernelINS0_13select_configILj256ELj13ELNS0_17block_load_methodE3ELS4_3ELS4_3ELNS0_20block_scan_algorithmE0ELj4294967295EEENS1_25partition_config_selectorILNS1_17partition_subalgoE3EjNS0_10empty_typeEbEEZZNS1_14partition_implILS8_3ELb0ES6_jNS0_17counting_iteratorIjlEEPS9_SE_NS0_5tupleIJPjSE_EEENSF_IJSE_SE_EEES9_SG_JZNS1_25segmented_radix_sort_implINS0_14default_configELb0EPKdPdPKlPlN2at6native12_GLOBAL__N_18offset_tEEE10hipError_tPvRmT1_PNSt15iterator_traitsISY_E10value_typeET2_T3_PNSZ_IS14_E10value_typeET4_jRbjT5_S1A_jjP12ihipStream_tbEUljE_EEESV_SW_SX_S14_S18_S1A_T6_T7_T9_mT8_S1C_bDpT10_ENKUlT_T0_E_clISt17integral_constantIbLb1EES1O_IbLb0EEEEDaS1K_S1L_EUlS1K_E_NS1_11comp_targetILNS1_3genE4ELNS1_11target_archE910ELNS1_3gpuE8ELNS1_3repE0EEENS1_30default_config_static_selectorELNS0_4arch9wavefront6targetE0EEEvSY_, .Lfunc_end1207-_ZN7rocprim17ROCPRIM_400000_NS6detail17trampoline_kernelINS0_13select_configILj256ELj13ELNS0_17block_load_methodE3ELS4_3ELS4_3ELNS0_20block_scan_algorithmE0ELj4294967295EEENS1_25partition_config_selectorILNS1_17partition_subalgoE3EjNS0_10empty_typeEbEEZZNS1_14partition_implILS8_3ELb0ES6_jNS0_17counting_iteratorIjlEEPS9_SE_NS0_5tupleIJPjSE_EEENSF_IJSE_SE_EEES9_SG_JZNS1_25segmented_radix_sort_implINS0_14default_configELb0EPKdPdPKlPlN2at6native12_GLOBAL__N_18offset_tEEE10hipError_tPvRmT1_PNSt15iterator_traitsISY_E10value_typeET2_T3_PNSZ_IS14_E10value_typeET4_jRbjT5_S1A_jjP12ihipStream_tbEUljE_EEESV_SW_SX_S14_S18_S1A_T6_T7_T9_mT8_S1C_bDpT10_ENKUlT_T0_E_clISt17integral_constantIbLb1EES1O_IbLb0EEEEDaS1K_S1L_EUlS1K_E_NS1_11comp_targetILNS1_3genE4ELNS1_11target_archE910ELNS1_3gpuE8ELNS1_3repE0EEENS1_30default_config_static_selectorELNS0_4arch9wavefront6targetE0EEEvSY_
                                        ; -- End function
	.section	.AMDGPU.csdata,"",@progbits
; Kernel info:
; codeLenInByte = 0
; NumSgprs: 0
; NumVgprs: 0
; ScratchSize: 0
; MemoryBound: 0
; FloatMode: 240
; IeeeMode: 1
; LDSByteSize: 0 bytes/workgroup (compile time only)
; SGPRBlocks: 0
; VGPRBlocks: 0
; NumSGPRsForWavesPerEU: 1
; NumVGPRsForWavesPerEU: 1
; Occupancy: 16
; WaveLimiterHint : 0
; COMPUTE_PGM_RSRC2:SCRATCH_EN: 0
; COMPUTE_PGM_RSRC2:USER_SGPR: 15
; COMPUTE_PGM_RSRC2:TRAP_HANDLER: 0
; COMPUTE_PGM_RSRC2:TGID_X_EN: 1
; COMPUTE_PGM_RSRC2:TGID_Y_EN: 0
; COMPUTE_PGM_RSRC2:TGID_Z_EN: 0
; COMPUTE_PGM_RSRC2:TIDIG_COMP_CNT: 0
	.section	.text._ZN7rocprim17ROCPRIM_400000_NS6detail17trampoline_kernelINS0_13select_configILj256ELj13ELNS0_17block_load_methodE3ELS4_3ELS4_3ELNS0_20block_scan_algorithmE0ELj4294967295EEENS1_25partition_config_selectorILNS1_17partition_subalgoE3EjNS0_10empty_typeEbEEZZNS1_14partition_implILS8_3ELb0ES6_jNS0_17counting_iteratorIjlEEPS9_SE_NS0_5tupleIJPjSE_EEENSF_IJSE_SE_EEES9_SG_JZNS1_25segmented_radix_sort_implINS0_14default_configELb0EPKdPdPKlPlN2at6native12_GLOBAL__N_18offset_tEEE10hipError_tPvRmT1_PNSt15iterator_traitsISY_E10value_typeET2_T3_PNSZ_IS14_E10value_typeET4_jRbjT5_S1A_jjP12ihipStream_tbEUljE_EEESV_SW_SX_S14_S18_S1A_T6_T7_T9_mT8_S1C_bDpT10_ENKUlT_T0_E_clISt17integral_constantIbLb1EES1O_IbLb0EEEEDaS1K_S1L_EUlS1K_E_NS1_11comp_targetILNS1_3genE3ELNS1_11target_archE908ELNS1_3gpuE7ELNS1_3repE0EEENS1_30default_config_static_selectorELNS0_4arch9wavefront6targetE0EEEvSY_,"axG",@progbits,_ZN7rocprim17ROCPRIM_400000_NS6detail17trampoline_kernelINS0_13select_configILj256ELj13ELNS0_17block_load_methodE3ELS4_3ELS4_3ELNS0_20block_scan_algorithmE0ELj4294967295EEENS1_25partition_config_selectorILNS1_17partition_subalgoE3EjNS0_10empty_typeEbEEZZNS1_14partition_implILS8_3ELb0ES6_jNS0_17counting_iteratorIjlEEPS9_SE_NS0_5tupleIJPjSE_EEENSF_IJSE_SE_EEES9_SG_JZNS1_25segmented_radix_sort_implINS0_14default_configELb0EPKdPdPKlPlN2at6native12_GLOBAL__N_18offset_tEEE10hipError_tPvRmT1_PNSt15iterator_traitsISY_E10value_typeET2_T3_PNSZ_IS14_E10value_typeET4_jRbjT5_S1A_jjP12ihipStream_tbEUljE_EEESV_SW_SX_S14_S18_S1A_T6_T7_T9_mT8_S1C_bDpT10_ENKUlT_T0_E_clISt17integral_constantIbLb1EES1O_IbLb0EEEEDaS1K_S1L_EUlS1K_E_NS1_11comp_targetILNS1_3genE3ELNS1_11target_archE908ELNS1_3gpuE7ELNS1_3repE0EEENS1_30default_config_static_selectorELNS0_4arch9wavefront6targetE0EEEvSY_,comdat
	.globl	_ZN7rocprim17ROCPRIM_400000_NS6detail17trampoline_kernelINS0_13select_configILj256ELj13ELNS0_17block_load_methodE3ELS4_3ELS4_3ELNS0_20block_scan_algorithmE0ELj4294967295EEENS1_25partition_config_selectorILNS1_17partition_subalgoE3EjNS0_10empty_typeEbEEZZNS1_14partition_implILS8_3ELb0ES6_jNS0_17counting_iteratorIjlEEPS9_SE_NS0_5tupleIJPjSE_EEENSF_IJSE_SE_EEES9_SG_JZNS1_25segmented_radix_sort_implINS0_14default_configELb0EPKdPdPKlPlN2at6native12_GLOBAL__N_18offset_tEEE10hipError_tPvRmT1_PNSt15iterator_traitsISY_E10value_typeET2_T3_PNSZ_IS14_E10value_typeET4_jRbjT5_S1A_jjP12ihipStream_tbEUljE_EEESV_SW_SX_S14_S18_S1A_T6_T7_T9_mT8_S1C_bDpT10_ENKUlT_T0_E_clISt17integral_constantIbLb1EES1O_IbLb0EEEEDaS1K_S1L_EUlS1K_E_NS1_11comp_targetILNS1_3genE3ELNS1_11target_archE908ELNS1_3gpuE7ELNS1_3repE0EEENS1_30default_config_static_selectorELNS0_4arch9wavefront6targetE0EEEvSY_ ; -- Begin function _ZN7rocprim17ROCPRIM_400000_NS6detail17trampoline_kernelINS0_13select_configILj256ELj13ELNS0_17block_load_methodE3ELS4_3ELS4_3ELNS0_20block_scan_algorithmE0ELj4294967295EEENS1_25partition_config_selectorILNS1_17partition_subalgoE3EjNS0_10empty_typeEbEEZZNS1_14partition_implILS8_3ELb0ES6_jNS0_17counting_iteratorIjlEEPS9_SE_NS0_5tupleIJPjSE_EEENSF_IJSE_SE_EEES9_SG_JZNS1_25segmented_radix_sort_implINS0_14default_configELb0EPKdPdPKlPlN2at6native12_GLOBAL__N_18offset_tEEE10hipError_tPvRmT1_PNSt15iterator_traitsISY_E10value_typeET2_T3_PNSZ_IS14_E10value_typeET4_jRbjT5_S1A_jjP12ihipStream_tbEUljE_EEESV_SW_SX_S14_S18_S1A_T6_T7_T9_mT8_S1C_bDpT10_ENKUlT_T0_E_clISt17integral_constantIbLb1EES1O_IbLb0EEEEDaS1K_S1L_EUlS1K_E_NS1_11comp_targetILNS1_3genE3ELNS1_11target_archE908ELNS1_3gpuE7ELNS1_3repE0EEENS1_30default_config_static_selectorELNS0_4arch9wavefront6targetE0EEEvSY_
	.p2align	8
	.type	_ZN7rocprim17ROCPRIM_400000_NS6detail17trampoline_kernelINS0_13select_configILj256ELj13ELNS0_17block_load_methodE3ELS4_3ELS4_3ELNS0_20block_scan_algorithmE0ELj4294967295EEENS1_25partition_config_selectorILNS1_17partition_subalgoE3EjNS0_10empty_typeEbEEZZNS1_14partition_implILS8_3ELb0ES6_jNS0_17counting_iteratorIjlEEPS9_SE_NS0_5tupleIJPjSE_EEENSF_IJSE_SE_EEES9_SG_JZNS1_25segmented_radix_sort_implINS0_14default_configELb0EPKdPdPKlPlN2at6native12_GLOBAL__N_18offset_tEEE10hipError_tPvRmT1_PNSt15iterator_traitsISY_E10value_typeET2_T3_PNSZ_IS14_E10value_typeET4_jRbjT5_S1A_jjP12ihipStream_tbEUljE_EEESV_SW_SX_S14_S18_S1A_T6_T7_T9_mT8_S1C_bDpT10_ENKUlT_T0_E_clISt17integral_constantIbLb1EES1O_IbLb0EEEEDaS1K_S1L_EUlS1K_E_NS1_11comp_targetILNS1_3genE3ELNS1_11target_archE908ELNS1_3gpuE7ELNS1_3repE0EEENS1_30default_config_static_selectorELNS0_4arch9wavefront6targetE0EEEvSY_,@function
_ZN7rocprim17ROCPRIM_400000_NS6detail17trampoline_kernelINS0_13select_configILj256ELj13ELNS0_17block_load_methodE3ELS4_3ELS4_3ELNS0_20block_scan_algorithmE0ELj4294967295EEENS1_25partition_config_selectorILNS1_17partition_subalgoE3EjNS0_10empty_typeEbEEZZNS1_14partition_implILS8_3ELb0ES6_jNS0_17counting_iteratorIjlEEPS9_SE_NS0_5tupleIJPjSE_EEENSF_IJSE_SE_EEES9_SG_JZNS1_25segmented_radix_sort_implINS0_14default_configELb0EPKdPdPKlPlN2at6native12_GLOBAL__N_18offset_tEEE10hipError_tPvRmT1_PNSt15iterator_traitsISY_E10value_typeET2_T3_PNSZ_IS14_E10value_typeET4_jRbjT5_S1A_jjP12ihipStream_tbEUljE_EEESV_SW_SX_S14_S18_S1A_T6_T7_T9_mT8_S1C_bDpT10_ENKUlT_T0_E_clISt17integral_constantIbLb1EES1O_IbLb0EEEEDaS1K_S1L_EUlS1K_E_NS1_11comp_targetILNS1_3genE3ELNS1_11target_archE908ELNS1_3gpuE7ELNS1_3repE0EEENS1_30default_config_static_selectorELNS0_4arch9wavefront6targetE0EEEvSY_: ; @_ZN7rocprim17ROCPRIM_400000_NS6detail17trampoline_kernelINS0_13select_configILj256ELj13ELNS0_17block_load_methodE3ELS4_3ELS4_3ELNS0_20block_scan_algorithmE0ELj4294967295EEENS1_25partition_config_selectorILNS1_17partition_subalgoE3EjNS0_10empty_typeEbEEZZNS1_14partition_implILS8_3ELb0ES6_jNS0_17counting_iteratorIjlEEPS9_SE_NS0_5tupleIJPjSE_EEENSF_IJSE_SE_EEES9_SG_JZNS1_25segmented_radix_sort_implINS0_14default_configELb0EPKdPdPKlPlN2at6native12_GLOBAL__N_18offset_tEEE10hipError_tPvRmT1_PNSt15iterator_traitsISY_E10value_typeET2_T3_PNSZ_IS14_E10value_typeET4_jRbjT5_S1A_jjP12ihipStream_tbEUljE_EEESV_SW_SX_S14_S18_S1A_T6_T7_T9_mT8_S1C_bDpT10_ENKUlT_T0_E_clISt17integral_constantIbLb1EES1O_IbLb0EEEEDaS1K_S1L_EUlS1K_E_NS1_11comp_targetILNS1_3genE3ELNS1_11target_archE908ELNS1_3gpuE7ELNS1_3repE0EEENS1_30default_config_static_selectorELNS0_4arch9wavefront6targetE0EEEvSY_
; %bb.0:
	.section	.rodata,"a",@progbits
	.p2align	6, 0x0
	.amdhsa_kernel _ZN7rocprim17ROCPRIM_400000_NS6detail17trampoline_kernelINS0_13select_configILj256ELj13ELNS0_17block_load_methodE3ELS4_3ELS4_3ELNS0_20block_scan_algorithmE0ELj4294967295EEENS1_25partition_config_selectorILNS1_17partition_subalgoE3EjNS0_10empty_typeEbEEZZNS1_14partition_implILS8_3ELb0ES6_jNS0_17counting_iteratorIjlEEPS9_SE_NS0_5tupleIJPjSE_EEENSF_IJSE_SE_EEES9_SG_JZNS1_25segmented_radix_sort_implINS0_14default_configELb0EPKdPdPKlPlN2at6native12_GLOBAL__N_18offset_tEEE10hipError_tPvRmT1_PNSt15iterator_traitsISY_E10value_typeET2_T3_PNSZ_IS14_E10value_typeET4_jRbjT5_S1A_jjP12ihipStream_tbEUljE_EEESV_SW_SX_S14_S18_S1A_T6_T7_T9_mT8_S1C_bDpT10_ENKUlT_T0_E_clISt17integral_constantIbLb1EES1O_IbLb0EEEEDaS1K_S1L_EUlS1K_E_NS1_11comp_targetILNS1_3genE3ELNS1_11target_archE908ELNS1_3gpuE7ELNS1_3repE0EEENS1_30default_config_static_selectorELNS0_4arch9wavefront6targetE0EEEvSY_
		.amdhsa_group_segment_fixed_size 0
		.amdhsa_private_segment_fixed_size 0
		.amdhsa_kernarg_size 144
		.amdhsa_user_sgpr_count 15
		.amdhsa_user_sgpr_dispatch_ptr 0
		.amdhsa_user_sgpr_queue_ptr 0
		.amdhsa_user_sgpr_kernarg_segment_ptr 1
		.amdhsa_user_sgpr_dispatch_id 0
		.amdhsa_user_sgpr_private_segment_size 0
		.amdhsa_wavefront_size32 1
		.amdhsa_uses_dynamic_stack 0
		.amdhsa_enable_private_segment 0
		.amdhsa_system_sgpr_workgroup_id_x 1
		.amdhsa_system_sgpr_workgroup_id_y 0
		.amdhsa_system_sgpr_workgroup_id_z 0
		.amdhsa_system_sgpr_workgroup_info 0
		.amdhsa_system_vgpr_workitem_id 0
		.amdhsa_next_free_vgpr 1
		.amdhsa_next_free_sgpr 1
		.amdhsa_reserve_vcc 0
		.amdhsa_float_round_mode_32 0
		.amdhsa_float_round_mode_16_64 0
		.amdhsa_float_denorm_mode_32 3
		.amdhsa_float_denorm_mode_16_64 3
		.amdhsa_dx10_clamp 1
		.amdhsa_ieee_mode 1
		.amdhsa_fp16_overflow 0
		.amdhsa_workgroup_processor_mode 1
		.amdhsa_memory_ordered 1
		.amdhsa_forward_progress 0
		.amdhsa_shared_vgpr_count 0
		.amdhsa_exception_fp_ieee_invalid_op 0
		.amdhsa_exception_fp_denorm_src 0
		.amdhsa_exception_fp_ieee_div_zero 0
		.amdhsa_exception_fp_ieee_overflow 0
		.amdhsa_exception_fp_ieee_underflow 0
		.amdhsa_exception_fp_ieee_inexact 0
		.amdhsa_exception_int_div_zero 0
	.end_amdhsa_kernel
	.section	.text._ZN7rocprim17ROCPRIM_400000_NS6detail17trampoline_kernelINS0_13select_configILj256ELj13ELNS0_17block_load_methodE3ELS4_3ELS4_3ELNS0_20block_scan_algorithmE0ELj4294967295EEENS1_25partition_config_selectorILNS1_17partition_subalgoE3EjNS0_10empty_typeEbEEZZNS1_14partition_implILS8_3ELb0ES6_jNS0_17counting_iteratorIjlEEPS9_SE_NS0_5tupleIJPjSE_EEENSF_IJSE_SE_EEES9_SG_JZNS1_25segmented_radix_sort_implINS0_14default_configELb0EPKdPdPKlPlN2at6native12_GLOBAL__N_18offset_tEEE10hipError_tPvRmT1_PNSt15iterator_traitsISY_E10value_typeET2_T3_PNSZ_IS14_E10value_typeET4_jRbjT5_S1A_jjP12ihipStream_tbEUljE_EEESV_SW_SX_S14_S18_S1A_T6_T7_T9_mT8_S1C_bDpT10_ENKUlT_T0_E_clISt17integral_constantIbLb1EES1O_IbLb0EEEEDaS1K_S1L_EUlS1K_E_NS1_11comp_targetILNS1_3genE3ELNS1_11target_archE908ELNS1_3gpuE7ELNS1_3repE0EEENS1_30default_config_static_selectorELNS0_4arch9wavefront6targetE0EEEvSY_,"axG",@progbits,_ZN7rocprim17ROCPRIM_400000_NS6detail17trampoline_kernelINS0_13select_configILj256ELj13ELNS0_17block_load_methodE3ELS4_3ELS4_3ELNS0_20block_scan_algorithmE0ELj4294967295EEENS1_25partition_config_selectorILNS1_17partition_subalgoE3EjNS0_10empty_typeEbEEZZNS1_14partition_implILS8_3ELb0ES6_jNS0_17counting_iteratorIjlEEPS9_SE_NS0_5tupleIJPjSE_EEENSF_IJSE_SE_EEES9_SG_JZNS1_25segmented_radix_sort_implINS0_14default_configELb0EPKdPdPKlPlN2at6native12_GLOBAL__N_18offset_tEEE10hipError_tPvRmT1_PNSt15iterator_traitsISY_E10value_typeET2_T3_PNSZ_IS14_E10value_typeET4_jRbjT5_S1A_jjP12ihipStream_tbEUljE_EEESV_SW_SX_S14_S18_S1A_T6_T7_T9_mT8_S1C_bDpT10_ENKUlT_T0_E_clISt17integral_constantIbLb1EES1O_IbLb0EEEEDaS1K_S1L_EUlS1K_E_NS1_11comp_targetILNS1_3genE3ELNS1_11target_archE908ELNS1_3gpuE7ELNS1_3repE0EEENS1_30default_config_static_selectorELNS0_4arch9wavefront6targetE0EEEvSY_,comdat
.Lfunc_end1208:
	.size	_ZN7rocprim17ROCPRIM_400000_NS6detail17trampoline_kernelINS0_13select_configILj256ELj13ELNS0_17block_load_methodE3ELS4_3ELS4_3ELNS0_20block_scan_algorithmE0ELj4294967295EEENS1_25partition_config_selectorILNS1_17partition_subalgoE3EjNS0_10empty_typeEbEEZZNS1_14partition_implILS8_3ELb0ES6_jNS0_17counting_iteratorIjlEEPS9_SE_NS0_5tupleIJPjSE_EEENSF_IJSE_SE_EEES9_SG_JZNS1_25segmented_radix_sort_implINS0_14default_configELb0EPKdPdPKlPlN2at6native12_GLOBAL__N_18offset_tEEE10hipError_tPvRmT1_PNSt15iterator_traitsISY_E10value_typeET2_T3_PNSZ_IS14_E10value_typeET4_jRbjT5_S1A_jjP12ihipStream_tbEUljE_EEESV_SW_SX_S14_S18_S1A_T6_T7_T9_mT8_S1C_bDpT10_ENKUlT_T0_E_clISt17integral_constantIbLb1EES1O_IbLb0EEEEDaS1K_S1L_EUlS1K_E_NS1_11comp_targetILNS1_3genE3ELNS1_11target_archE908ELNS1_3gpuE7ELNS1_3repE0EEENS1_30default_config_static_selectorELNS0_4arch9wavefront6targetE0EEEvSY_, .Lfunc_end1208-_ZN7rocprim17ROCPRIM_400000_NS6detail17trampoline_kernelINS0_13select_configILj256ELj13ELNS0_17block_load_methodE3ELS4_3ELS4_3ELNS0_20block_scan_algorithmE0ELj4294967295EEENS1_25partition_config_selectorILNS1_17partition_subalgoE3EjNS0_10empty_typeEbEEZZNS1_14partition_implILS8_3ELb0ES6_jNS0_17counting_iteratorIjlEEPS9_SE_NS0_5tupleIJPjSE_EEENSF_IJSE_SE_EEES9_SG_JZNS1_25segmented_radix_sort_implINS0_14default_configELb0EPKdPdPKlPlN2at6native12_GLOBAL__N_18offset_tEEE10hipError_tPvRmT1_PNSt15iterator_traitsISY_E10value_typeET2_T3_PNSZ_IS14_E10value_typeET4_jRbjT5_S1A_jjP12ihipStream_tbEUljE_EEESV_SW_SX_S14_S18_S1A_T6_T7_T9_mT8_S1C_bDpT10_ENKUlT_T0_E_clISt17integral_constantIbLb1EES1O_IbLb0EEEEDaS1K_S1L_EUlS1K_E_NS1_11comp_targetILNS1_3genE3ELNS1_11target_archE908ELNS1_3gpuE7ELNS1_3repE0EEENS1_30default_config_static_selectorELNS0_4arch9wavefront6targetE0EEEvSY_
                                        ; -- End function
	.section	.AMDGPU.csdata,"",@progbits
; Kernel info:
; codeLenInByte = 0
; NumSgprs: 0
; NumVgprs: 0
; ScratchSize: 0
; MemoryBound: 0
; FloatMode: 240
; IeeeMode: 1
; LDSByteSize: 0 bytes/workgroup (compile time only)
; SGPRBlocks: 0
; VGPRBlocks: 0
; NumSGPRsForWavesPerEU: 1
; NumVGPRsForWavesPerEU: 1
; Occupancy: 16
; WaveLimiterHint : 0
; COMPUTE_PGM_RSRC2:SCRATCH_EN: 0
; COMPUTE_PGM_RSRC2:USER_SGPR: 15
; COMPUTE_PGM_RSRC2:TRAP_HANDLER: 0
; COMPUTE_PGM_RSRC2:TGID_X_EN: 1
; COMPUTE_PGM_RSRC2:TGID_Y_EN: 0
; COMPUTE_PGM_RSRC2:TGID_Z_EN: 0
; COMPUTE_PGM_RSRC2:TIDIG_COMP_CNT: 0
	.section	.text._ZN7rocprim17ROCPRIM_400000_NS6detail17trampoline_kernelINS0_13select_configILj256ELj13ELNS0_17block_load_methodE3ELS4_3ELS4_3ELNS0_20block_scan_algorithmE0ELj4294967295EEENS1_25partition_config_selectorILNS1_17partition_subalgoE3EjNS0_10empty_typeEbEEZZNS1_14partition_implILS8_3ELb0ES6_jNS0_17counting_iteratorIjlEEPS9_SE_NS0_5tupleIJPjSE_EEENSF_IJSE_SE_EEES9_SG_JZNS1_25segmented_radix_sort_implINS0_14default_configELb0EPKdPdPKlPlN2at6native12_GLOBAL__N_18offset_tEEE10hipError_tPvRmT1_PNSt15iterator_traitsISY_E10value_typeET2_T3_PNSZ_IS14_E10value_typeET4_jRbjT5_S1A_jjP12ihipStream_tbEUljE_EEESV_SW_SX_S14_S18_S1A_T6_T7_T9_mT8_S1C_bDpT10_ENKUlT_T0_E_clISt17integral_constantIbLb1EES1O_IbLb0EEEEDaS1K_S1L_EUlS1K_E_NS1_11comp_targetILNS1_3genE2ELNS1_11target_archE906ELNS1_3gpuE6ELNS1_3repE0EEENS1_30default_config_static_selectorELNS0_4arch9wavefront6targetE0EEEvSY_,"axG",@progbits,_ZN7rocprim17ROCPRIM_400000_NS6detail17trampoline_kernelINS0_13select_configILj256ELj13ELNS0_17block_load_methodE3ELS4_3ELS4_3ELNS0_20block_scan_algorithmE0ELj4294967295EEENS1_25partition_config_selectorILNS1_17partition_subalgoE3EjNS0_10empty_typeEbEEZZNS1_14partition_implILS8_3ELb0ES6_jNS0_17counting_iteratorIjlEEPS9_SE_NS0_5tupleIJPjSE_EEENSF_IJSE_SE_EEES9_SG_JZNS1_25segmented_radix_sort_implINS0_14default_configELb0EPKdPdPKlPlN2at6native12_GLOBAL__N_18offset_tEEE10hipError_tPvRmT1_PNSt15iterator_traitsISY_E10value_typeET2_T3_PNSZ_IS14_E10value_typeET4_jRbjT5_S1A_jjP12ihipStream_tbEUljE_EEESV_SW_SX_S14_S18_S1A_T6_T7_T9_mT8_S1C_bDpT10_ENKUlT_T0_E_clISt17integral_constantIbLb1EES1O_IbLb0EEEEDaS1K_S1L_EUlS1K_E_NS1_11comp_targetILNS1_3genE2ELNS1_11target_archE906ELNS1_3gpuE6ELNS1_3repE0EEENS1_30default_config_static_selectorELNS0_4arch9wavefront6targetE0EEEvSY_,comdat
	.globl	_ZN7rocprim17ROCPRIM_400000_NS6detail17trampoline_kernelINS0_13select_configILj256ELj13ELNS0_17block_load_methodE3ELS4_3ELS4_3ELNS0_20block_scan_algorithmE0ELj4294967295EEENS1_25partition_config_selectorILNS1_17partition_subalgoE3EjNS0_10empty_typeEbEEZZNS1_14partition_implILS8_3ELb0ES6_jNS0_17counting_iteratorIjlEEPS9_SE_NS0_5tupleIJPjSE_EEENSF_IJSE_SE_EEES9_SG_JZNS1_25segmented_radix_sort_implINS0_14default_configELb0EPKdPdPKlPlN2at6native12_GLOBAL__N_18offset_tEEE10hipError_tPvRmT1_PNSt15iterator_traitsISY_E10value_typeET2_T3_PNSZ_IS14_E10value_typeET4_jRbjT5_S1A_jjP12ihipStream_tbEUljE_EEESV_SW_SX_S14_S18_S1A_T6_T7_T9_mT8_S1C_bDpT10_ENKUlT_T0_E_clISt17integral_constantIbLb1EES1O_IbLb0EEEEDaS1K_S1L_EUlS1K_E_NS1_11comp_targetILNS1_3genE2ELNS1_11target_archE906ELNS1_3gpuE6ELNS1_3repE0EEENS1_30default_config_static_selectorELNS0_4arch9wavefront6targetE0EEEvSY_ ; -- Begin function _ZN7rocprim17ROCPRIM_400000_NS6detail17trampoline_kernelINS0_13select_configILj256ELj13ELNS0_17block_load_methodE3ELS4_3ELS4_3ELNS0_20block_scan_algorithmE0ELj4294967295EEENS1_25partition_config_selectorILNS1_17partition_subalgoE3EjNS0_10empty_typeEbEEZZNS1_14partition_implILS8_3ELb0ES6_jNS0_17counting_iteratorIjlEEPS9_SE_NS0_5tupleIJPjSE_EEENSF_IJSE_SE_EEES9_SG_JZNS1_25segmented_radix_sort_implINS0_14default_configELb0EPKdPdPKlPlN2at6native12_GLOBAL__N_18offset_tEEE10hipError_tPvRmT1_PNSt15iterator_traitsISY_E10value_typeET2_T3_PNSZ_IS14_E10value_typeET4_jRbjT5_S1A_jjP12ihipStream_tbEUljE_EEESV_SW_SX_S14_S18_S1A_T6_T7_T9_mT8_S1C_bDpT10_ENKUlT_T0_E_clISt17integral_constantIbLb1EES1O_IbLb0EEEEDaS1K_S1L_EUlS1K_E_NS1_11comp_targetILNS1_3genE2ELNS1_11target_archE906ELNS1_3gpuE6ELNS1_3repE0EEENS1_30default_config_static_selectorELNS0_4arch9wavefront6targetE0EEEvSY_
	.p2align	8
	.type	_ZN7rocprim17ROCPRIM_400000_NS6detail17trampoline_kernelINS0_13select_configILj256ELj13ELNS0_17block_load_methodE3ELS4_3ELS4_3ELNS0_20block_scan_algorithmE0ELj4294967295EEENS1_25partition_config_selectorILNS1_17partition_subalgoE3EjNS0_10empty_typeEbEEZZNS1_14partition_implILS8_3ELb0ES6_jNS0_17counting_iteratorIjlEEPS9_SE_NS0_5tupleIJPjSE_EEENSF_IJSE_SE_EEES9_SG_JZNS1_25segmented_radix_sort_implINS0_14default_configELb0EPKdPdPKlPlN2at6native12_GLOBAL__N_18offset_tEEE10hipError_tPvRmT1_PNSt15iterator_traitsISY_E10value_typeET2_T3_PNSZ_IS14_E10value_typeET4_jRbjT5_S1A_jjP12ihipStream_tbEUljE_EEESV_SW_SX_S14_S18_S1A_T6_T7_T9_mT8_S1C_bDpT10_ENKUlT_T0_E_clISt17integral_constantIbLb1EES1O_IbLb0EEEEDaS1K_S1L_EUlS1K_E_NS1_11comp_targetILNS1_3genE2ELNS1_11target_archE906ELNS1_3gpuE6ELNS1_3repE0EEENS1_30default_config_static_selectorELNS0_4arch9wavefront6targetE0EEEvSY_,@function
_ZN7rocprim17ROCPRIM_400000_NS6detail17trampoline_kernelINS0_13select_configILj256ELj13ELNS0_17block_load_methodE3ELS4_3ELS4_3ELNS0_20block_scan_algorithmE0ELj4294967295EEENS1_25partition_config_selectorILNS1_17partition_subalgoE3EjNS0_10empty_typeEbEEZZNS1_14partition_implILS8_3ELb0ES6_jNS0_17counting_iteratorIjlEEPS9_SE_NS0_5tupleIJPjSE_EEENSF_IJSE_SE_EEES9_SG_JZNS1_25segmented_radix_sort_implINS0_14default_configELb0EPKdPdPKlPlN2at6native12_GLOBAL__N_18offset_tEEE10hipError_tPvRmT1_PNSt15iterator_traitsISY_E10value_typeET2_T3_PNSZ_IS14_E10value_typeET4_jRbjT5_S1A_jjP12ihipStream_tbEUljE_EEESV_SW_SX_S14_S18_S1A_T6_T7_T9_mT8_S1C_bDpT10_ENKUlT_T0_E_clISt17integral_constantIbLb1EES1O_IbLb0EEEEDaS1K_S1L_EUlS1K_E_NS1_11comp_targetILNS1_3genE2ELNS1_11target_archE906ELNS1_3gpuE6ELNS1_3repE0EEENS1_30default_config_static_selectorELNS0_4arch9wavefront6targetE0EEEvSY_: ; @_ZN7rocprim17ROCPRIM_400000_NS6detail17trampoline_kernelINS0_13select_configILj256ELj13ELNS0_17block_load_methodE3ELS4_3ELS4_3ELNS0_20block_scan_algorithmE0ELj4294967295EEENS1_25partition_config_selectorILNS1_17partition_subalgoE3EjNS0_10empty_typeEbEEZZNS1_14partition_implILS8_3ELb0ES6_jNS0_17counting_iteratorIjlEEPS9_SE_NS0_5tupleIJPjSE_EEENSF_IJSE_SE_EEES9_SG_JZNS1_25segmented_radix_sort_implINS0_14default_configELb0EPKdPdPKlPlN2at6native12_GLOBAL__N_18offset_tEEE10hipError_tPvRmT1_PNSt15iterator_traitsISY_E10value_typeET2_T3_PNSZ_IS14_E10value_typeET4_jRbjT5_S1A_jjP12ihipStream_tbEUljE_EEESV_SW_SX_S14_S18_S1A_T6_T7_T9_mT8_S1C_bDpT10_ENKUlT_T0_E_clISt17integral_constantIbLb1EES1O_IbLb0EEEEDaS1K_S1L_EUlS1K_E_NS1_11comp_targetILNS1_3genE2ELNS1_11target_archE906ELNS1_3gpuE6ELNS1_3repE0EEENS1_30default_config_static_selectorELNS0_4arch9wavefront6targetE0EEEvSY_
; %bb.0:
	.section	.rodata,"a",@progbits
	.p2align	6, 0x0
	.amdhsa_kernel _ZN7rocprim17ROCPRIM_400000_NS6detail17trampoline_kernelINS0_13select_configILj256ELj13ELNS0_17block_load_methodE3ELS4_3ELS4_3ELNS0_20block_scan_algorithmE0ELj4294967295EEENS1_25partition_config_selectorILNS1_17partition_subalgoE3EjNS0_10empty_typeEbEEZZNS1_14partition_implILS8_3ELb0ES6_jNS0_17counting_iteratorIjlEEPS9_SE_NS0_5tupleIJPjSE_EEENSF_IJSE_SE_EEES9_SG_JZNS1_25segmented_radix_sort_implINS0_14default_configELb0EPKdPdPKlPlN2at6native12_GLOBAL__N_18offset_tEEE10hipError_tPvRmT1_PNSt15iterator_traitsISY_E10value_typeET2_T3_PNSZ_IS14_E10value_typeET4_jRbjT5_S1A_jjP12ihipStream_tbEUljE_EEESV_SW_SX_S14_S18_S1A_T6_T7_T9_mT8_S1C_bDpT10_ENKUlT_T0_E_clISt17integral_constantIbLb1EES1O_IbLb0EEEEDaS1K_S1L_EUlS1K_E_NS1_11comp_targetILNS1_3genE2ELNS1_11target_archE906ELNS1_3gpuE6ELNS1_3repE0EEENS1_30default_config_static_selectorELNS0_4arch9wavefront6targetE0EEEvSY_
		.amdhsa_group_segment_fixed_size 0
		.amdhsa_private_segment_fixed_size 0
		.amdhsa_kernarg_size 144
		.amdhsa_user_sgpr_count 15
		.amdhsa_user_sgpr_dispatch_ptr 0
		.amdhsa_user_sgpr_queue_ptr 0
		.amdhsa_user_sgpr_kernarg_segment_ptr 1
		.amdhsa_user_sgpr_dispatch_id 0
		.amdhsa_user_sgpr_private_segment_size 0
		.amdhsa_wavefront_size32 1
		.amdhsa_uses_dynamic_stack 0
		.amdhsa_enable_private_segment 0
		.amdhsa_system_sgpr_workgroup_id_x 1
		.amdhsa_system_sgpr_workgroup_id_y 0
		.amdhsa_system_sgpr_workgroup_id_z 0
		.amdhsa_system_sgpr_workgroup_info 0
		.amdhsa_system_vgpr_workitem_id 0
		.amdhsa_next_free_vgpr 1
		.amdhsa_next_free_sgpr 1
		.amdhsa_reserve_vcc 0
		.amdhsa_float_round_mode_32 0
		.amdhsa_float_round_mode_16_64 0
		.amdhsa_float_denorm_mode_32 3
		.amdhsa_float_denorm_mode_16_64 3
		.amdhsa_dx10_clamp 1
		.amdhsa_ieee_mode 1
		.amdhsa_fp16_overflow 0
		.amdhsa_workgroup_processor_mode 1
		.amdhsa_memory_ordered 1
		.amdhsa_forward_progress 0
		.amdhsa_shared_vgpr_count 0
		.amdhsa_exception_fp_ieee_invalid_op 0
		.amdhsa_exception_fp_denorm_src 0
		.amdhsa_exception_fp_ieee_div_zero 0
		.amdhsa_exception_fp_ieee_overflow 0
		.amdhsa_exception_fp_ieee_underflow 0
		.amdhsa_exception_fp_ieee_inexact 0
		.amdhsa_exception_int_div_zero 0
	.end_amdhsa_kernel
	.section	.text._ZN7rocprim17ROCPRIM_400000_NS6detail17trampoline_kernelINS0_13select_configILj256ELj13ELNS0_17block_load_methodE3ELS4_3ELS4_3ELNS0_20block_scan_algorithmE0ELj4294967295EEENS1_25partition_config_selectorILNS1_17partition_subalgoE3EjNS0_10empty_typeEbEEZZNS1_14partition_implILS8_3ELb0ES6_jNS0_17counting_iteratorIjlEEPS9_SE_NS0_5tupleIJPjSE_EEENSF_IJSE_SE_EEES9_SG_JZNS1_25segmented_radix_sort_implINS0_14default_configELb0EPKdPdPKlPlN2at6native12_GLOBAL__N_18offset_tEEE10hipError_tPvRmT1_PNSt15iterator_traitsISY_E10value_typeET2_T3_PNSZ_IS14_E10value_typeET4_jRbjT5_S1A_jjP12ihipStream_tbEUljE_EEESV_SW_SX_S14_S18_S1A_T6_T7_T9_mT8_S1C_bDpT10_ENKUlT_T0_E_clISt17integral_constantIbLb1EES1O_IbLb0EEEEDaS1K_S1L_EUlS1K_E_NS1_11comp_targetILNS1_3genE2ELNS1_11target_archE906ELNS1_3gpuE6ELNS1_3repE0EEENS1_30default_config_static_selectorELNS0_4arch9wavefront6targetE0EEEvSY_,"axG",@progbits,_ZN7rocprim17ROCPRIM_400000_NS6detail17trampoline_kernelINS0_13select_configILj256ELj13ELNS0_17block_load_methodE3ELS4_3ELS4_3ELNS0_20block_scan_algorithmE0ELj4294967295EEENS1_25partition_config_selectorILNS1_17partition_subalgoE3EjNS0_10empty_typeEbEEZZNS1_14partition_implILS8_3ELb0ES6_jNS0_17counting_iteratorIjlEEPS9_SE_NS0_5tupleIJPjSE_EEENSF_IJSE_SE_EEES9_SG_JZNS1_25segmented_radix_sort_implINS0_14default_configELb0EPKdPdPKlPlN2at6native12_GLOBAL__N_18offset_tEEE10hipError_tPvRmT1_PNSt15iterator_traitsISY_E10value_typeET2_T3_PNSZ_IS14_E10value_typeET4_jRbjT5_S1A_jjP12ihipStream_tbEUljE_EEESV_SW_SX_S14_S18_S1A_T6_T7_T9_mT8_S1C_bDpT10_ENKUlT_T0_E_clISt17integral_constantIbLb1EES1O_IbLb0EEEEDaS1K_S1L_EUlS1K_E_NS1_11comp_targetILNS1_3genE2ELNS1_11target_archE906ELNS1_3gpuE6ELNS1_3repE0EEENS1_30default_config_static_selectorELNS0_4arch9wavefront6targetE0EEEvSY_,comdat
.Lfunc_end1209:
	.size	_ZN7rocprim17ROCPRIM_400000_NS6detail17trampoline_kernelINS0_13select_configILj256ELj13ELNS0_17block_load_methodE3ELS4_3ELS4_3ELNS0_20block_scan_algorithmE0ELj4294967295EEENS1_25partition_config_selectorILNS1_17partition_subalgoE3EjNS0_10empty_typeEbEEZZNS1_14partition_implILS8_3ELb0ES6_jNS0_17counting_iteratorIjlEEPS9_SE_NS0_5tupleIJPjSE_EEENSF_IJSE_SE_EEES9_SG_JZNS1_25segmented_radix_sort_implINS0_14default_configELb0EPKdPdPKlPlN2at6native12_GLOBAL__N_18offset_tEEE10hipError_tPvRmT1_PNSt15iterator_traitsISY_E10value_typeET2_T3_PNSZ_IS14_E10value_typeET4_jRbjT5_S1A_jjP12ihipStream_tbEUljE_EEESV_SW_SX_S14_S18_S1A_T6_T7_T9_mT8_S1C_bDpT10_ENKUlT_T0_E_clISt17integral_constantIbLb1EES1O_IbLb0EEEEDaS1K_S1L_EUlS1K_E_NS1_11comp_targetILNS1_3genE2ELNS1_11target_archE906ELNS1_3gpuE6ELNS1_3repE0EEENS1_30default_config_static_selectorELNS0_4arch9wavefront6targetE0EEEvSY_, .Lfunc_end1209-_ZN7rocprim17ROCPRIM_400000_NS6detail17trampoline_kernelINS0_13select_configILj256ELj13ELNS0_17block_load_methodE3ELS4_3ELS4_3ELNS0_20block_scan_algorithmE0ELj4294967295EEENS1_25partition_config_selectorILNS1_17partition_subalgoE3EjNS0_10empty_typeEbEEZZNS1_14partition_implILS8_3ELb0ES6_jNS0_17counting_iteratorIjlEEPS9_SE_NS0_5tupleIJPjSE_EEENSF_IJSE_SE_EEES9_SG_JZNS1_25segmented_radix_sort_implINS0_14default_configELb0EPKdPdPKlPlN2at6native12_GLOBAL__N_18offset_tEEE10hipError_tPvRmT1_PNSt15iterator_traitsISY_E10value_typeET2_T3_PNSZ_IS14_E10value_typeET4_jRbjT5_S1A_jjP12ihipStream_tbEUljE_EEESV_SW_SX_S14_S18_S1A_T6_T7_T9_mT8_S1C_bDpT10_ENKUlT_T0_E_clISt17integral_constantIbLb1EES1O_IbLb0EEEEDaS1K_S1L_EUlS1K_E_NS1_11comp_targetILNS1_3genE2ELNS1_11target_archE906ELNS1_3gpuE6ELNS1_3repE0EEENS1_30default_config_static_selectorELNS0_4arch9wavefront6targetE0EEEvSY_
                                        ; -- End function
	.section	.AMDGPU.csdata,"",@progbits
; Kernel info:
; codeLenInByte = 0
; NumSgprs: 0
; NumVgprs: 0
; ScratchSize: 0
; MemoryBound: 0
; FloatMode: 240
; IeeeMode: 1
; LDSByteSize: 0 bytes/workgroup (compile time only)
; SGPRBlocks: 0
; VGPRBlocks: 0
; NumSGPRsForWavesPerEU: 1
; NumVGPRsForWavesPerEU: 1
; Occupancy: 16
; WaveLimiterHint : 0
; COMPUTE_PGM_RSRC2:SCRATCH_EN: 0
; COMPUTE_PGM_RSRC2:USER_SGPR: 15
; COMPUTE_PGM_RSRC2:TRAP_HANDLER: 0
; COMPUTE_PGM_RSRC2:TGID_X_EN: 1
; COMPUTE_PGM_RSRC2:TGID_Y_EN: 0
; COMPUTE_PGM_RSRC2:TGID_Z_EN: 0
; COMPUTE_PGM_RSRC2:TIDIG_COMP_CNT: 0
	.section	.text._ZN7rocprim17ROCPRIM_400000_NS6detail17trampoline_kernelINS0_13select_configILj256ELj13ELNS0_17block_load_methodE3ELS4_3ELS4_3ELNS0_20block_scan_algorithmE0ELj4294967295EEENS1_25partition_config_selectorILNS1_17partition_subalgoE3EjNS0_10empty_typeEbEEZZNS1_14partition_implILS8_3ELb0ES6_jNS0_17counting_iteratorIjlEEPS9_SE_NS0_5tupleIJPjSE_EEENSF_IJSE_SE_EEES9_SG_JZNS1_25segmented_radix_sort_implINS0_14default_configELb0EPKdPdPKlPlN2at6native12_GLOBAL__N_18offset_tEEE10hipError_tPvRmT1_PNSt15iterator_traitsISY_E10value_typeET2_T3_PNSZ_IS14_E10value_typeET4_jRbjT5_S1A_jjP12ihipStream_tbEUljE_EEESV_SW_SX_S14_S18_S1A_T6_T7_T9_mT8_S1C_bDpT10_ENKUlT_T0_E_clISt17integral_constantIbLb1EES1O_IbLb0EEEEDaS1K_S1L_EUlS1K_E_NS1_11comp_targetILNS1_3genE10ELNS1_11target_archE1200ELNS1_3gpuE4ELNS1_3repE0EEENS1_30default_config_static_selectorELNS0_4arch9wavefront6targetE0EEEvSY_,"axG",@progbits,_ZN7rocprim17ROCPRIM_400000_NS6detail17trampoline_kernelINS0_13select_configILj256ELj13ELNS0_17block_load_methodE3ELS4_3ELS4_3ELNS0_20block_scan_algorithmE0ELj4294967295EEENS1_25partition_config_selectorILNS1_17partition_subalgoE3EjNS0_10empty_typeEbEEZZNS1_14partition_implILS8_3ELb0ES6_jNS0_17counting_iteratorIjlEEPS9_SE_NS0_5tupleIJPjSE_EEENSF_IJSE_SE_EEES9_SG_JZNS1_25segmented_radix_sort_implINS0_14default_configELb0EPKdPdPKlPlN2at6native12_GLOBAL__N_18offset_tEEE10hipError_tPvRmT1_PNSt15iterator_traitsISY_E10value_typeET2_T3_PNSZ_IS14_E10value_typeET4_jRbjT5_S1A_jjP12ihipStream_tbEUljE_EEESV_SW_SX_S14_S18_S1A_T6_T7_T9_mT8_S1C_bDpT10_ENKUlT_T0_E_clISt17integral_constantIbLb1EES1O_IbLb0EEEEDaS1K_S1L_EUlS1K_E_NS1_11comp_targetILNS1_3genE10ELNS1_11target_archE1200ELNS1_3gpuE4ELNS1_3repE0EEENS1_30default_config_static_selectorELNS0_4arch9wavefront6targetE0EEEvSY_,comdat
	.globl	_ZN7rocprim17ROCPRIM_400000_NS6detail17trampoline_kernelINS0_13select_configILj256ELj13ELNS0_17block_load_methodE3ELS4_3ELS4_3ELNS0_20block_scan_algorithmE0ELj4294967295EEENS1_25partition_config_selectorILNS1_17partition_subalgoE3EjNS0_10empty_typeEbEEZZNS1_14partition_implILS8_3ELb0ES6_jNS0_17counting_iteratorIjlEEPS9_SE_NS0_5tupleIJPjSE_EEENSF_IJSE_SE_EEES9_SG_JZNS1_25segmented_radix_sort_implINS0_14default_configELb0EPKdPdPKlPlN2at6native12_GLOBAL__N_18offset_tEEE10hipError_tPvRmT1_PNSt15iterator_traitsISY_E10value_typeET2_T3_PNSZ_IS14_E10value_typeET4_jRbjT5_S1A_jjP12ihipStream_tbEUljE_EEESV_SW_SX_S14_S18_S1A_T6_T7_T9_mT8_S1C_bDpT10_ENKUlT_T0_E_clISt17integral_constantIbLb1EES1O_IbLb0EEEEDaS1K_S1L_EUlS1K_E_NS1_11comp_targetILNS1_3genE10ELNS1_11target_archE1200ELNS1_3gpuE4ELNS1_3repE0EEENS1_30default_config_static_selectorELNS0_4arch9wavefront6targetE0EEEvSY_ ; -- Begin function _ZN7rocprim17ROCPRIM_400000_NS6detail17trampoline_kernelINS0_13select_configILj256ELj13ELNS0_17block_load_methodE3ELS4_3ELS4_3ELNS0_20block_scan_algorithmE0ELj4294967295EEENS1_25partition_config_selectorILNS1_17partition_subalgoE3EjNS0_10empty_typeEbEEZZNS1_14partition_implILS8_3ELb0ES6_jNS0_17counting_iteratorIjlEEPS9_SE_NS0_5tupleIJPjSE_EEENSF_IJSE_SE_EEES9_SG_JZNS1_25segmented_radix_sort_implINS0_14default_configELb0EPKdPdPKlPlN2at6native12_GLOBAL__N_18offset_tEEE10hipError_tPvRmT1_PNSt15iterator_traitsISY_E10value_typeET2_T3_PNSZ_IS14_E10value_typeET4_jRbjT5_S1A_jjP12ihipStream_tbEUljE_EEESV_SW_SX_S14_S18_S1A_T6_T7_T9_mT8_S1C_bDpT10_ENKUlT_T0_E_clISt17integral_constantIbLb1EES1O_IbLb0EEEEDaS1K_S1L_EUlS1K_E_NS1_11comp_targetILNS1_3genE10ELNS1_11target_archE1200ELNS1_3gpuE4ELNS1_3repE0EEENS1_30default_config_static_selectorELNS0_4arch9wavefront6targetE0EEEvSY_
	.p2align	8
	.type	_ZN7rocprim17ROCPRIM_400000_NS6detail17trampoline_kernelINS0_13select_configILj256ELj13ELNS0_17block_load_methodE3ELS4_3ELS4_3ELNS0_20block_scan_algorithmE0ELj4294967295EEENS1_25partition_config_selectorILNS1_17partition_subalgoE3EjNS0_10empty_typeEbEEZZNS1_14partition_implILS8_3ELb0ES6_jNS0_17counting_iteratorIjlEEPS9_SE_NS0_5tupleIJPjSE_EEENSF_IJSE_SE_EEES9_SG_JZNS1_25segmented_radix_sort_implINS0_14default_configELb0EPKdPdPKlPlN2at6native12_GLOBAL__N_18offset_tEEE10hipError_tPvRmT1_PNSt15iterator_traitsISY_E10value_typeET2_T3_PNSZ_IS14_E10value_typeET4_jRbjT5_S1A_jjP12ihipStream_tbEUljE_EEESV_SW_SX_S14_S18_S1A_T6_T7_T9_mT8_S1C_bDpT10_ENKUlT_T0_E_clISt17integral_constantIbLb1EES1O_IbLb0EEEEDaS1K_S1L_EUlS1K_E_NS1_11comp_targetILNS1_3genE10ELNS1_11target_archE1200ELNS1_3gpuE4ELNS1_3repE0EEENS1_30default_config_static_selectorELNS0_4arch9wavefront6targetE0EEEvSY_,@function
_ZN7rocprim17ROCPRIM_400000_NS6detail17trampoline_kernelINS0_13select_configILj256ELj13ELNS0_17block_load_methodE3ELS4_3ELS4_3ELNS0_20block_scan_algorithmE0ELj4294967295EEENS1_25partition_config_selectorILNS1_17partition_subalgoE3EjNS0_10empty_typeEbEEZZNS1_14partition_implILS8_3ELb0ES6_jNS0_17counting_iteratorIjlEEPS9_SE_NS0_5tupleIJPjSE_EEENSF_IJSE_SE_EEES9_SG_JZNS1_25segmented_radix_sort_implINS0_14default_configELb0EPKdPdPKlPlN2at6native12_GLOBAL__N_18offset_tEEE10hipError_tPvRmT1_PNSt15iterator_traitsISY_E10value_typeET2_T3_PNSZ_IS14_E10value_typeET4_jRbjT5_S1A_jjP12ihipStream_tbEUljE_EEESV_SW_SX_S14_S18_S1A_T6_T7_T9_mT8_S1C_bDpT10_ENKUlT_T0_E_clISt17integral_constantIbLb1EES1O_IbLb0EEEEDaS1K_S1L_EUlS1K_E_NS1_11comp_targetILNS1_3genE10ELNS1_11target_archE1200ELNS1_3gpuE4ELNS1_3repE0EEENS1_30default_config_static_selectorELNS0_4arch9wavefront6targetE0EEEvSY_: ; @_ZN7rocprim17ROCPRIM_400000_NS6detail17trampoline_kernelINS0_13select_configILj256ELj13ELNS0_17block_load_methodE3ELS4_3ELS4_3ELNS0_20block_scan_algorithmE0ELj4294967295EEENS1_25partition_config_selectorILNS1_17partition_subalgoE3EjNS0_10empty_typeEbEEZZNS1_14partition_implILS8_3ELb0ES6_jNS0_17counting_iteratorIjlEEPS9_SE_NS0_5tupleIJPjSE_EEENSF_IJSE_SE_EEES9_SG_JZNS1_25segmented_radix_sort_implINS0_14default_configELb0EPKdPdPKlPlN2at6native12_GLOBAL__N_18offset_tEEE10hipError_tPvRmT1_PNSt15iterator_traitsISY_E10value_typeET2_T3_PNSZ_IS14_E10value_typeET4_jRbjT5_S1A_jjP12ihipStream_tbEUljE_EEESV_SW_SX_S14_S18_S1A_T6_T7_T9_mT8_S1C_bDpT10_ENKUlT_T0_E_clISt17integral_constantIbLb1EES1O_IbLb0EEEEDaS1K_S1L_EUlS1K_E_NS1_11comp_targetILNS1_3genE10ELNS1_11target_archE1200ELNS1_3gpuE4ELNS1_3repE0EEENS1_30default_config_static_selectorELNS0_4arch9wavefront6targetE0EEEvSY_
; %bb.0:
	.section	.rodata,"a",@progbits
	.p2align	6, 0x0
	.amdhsa_kernel _ZN7rocprim17ROCPRIM_400000_NS6detail17trampoline_kernelINS0_13select_configILj256ELj13ELNS0_17block_load_methodE3ELS4_3ELS4_3ELNS0_20block_scan_algorithmE0ELj4294967295EEENS1_25partition_config_selectorILNS1_17partition_subalgoE3EjNS0_10empty_typeEbEEZZNS1_14partition_implILS8_3ELb0ES6_jNS0_17counting_iteratorIjlEEPS9_SE_NS0_5tupleIJPjSE_EEENSF_IJSE_SE_EEES9_SG_JZNS1_25segmented_radix_sort_implINS0_14default_configELb0EPKdPdPKlPlN2at6native12_GLOBAL__N_18offset_tEEE10hipError_tPvRmT1_PNSt15iterator_traitsISY_E10value_typeET2_T3_PNSZ_IS14_E10value_typeET4_jRbjT5_S1A_jjP12ihipStream_tbEUljE_EEESV_SW_SX_S14_S18_S1A_T6_T7_T9_mT8_S1C_bDpT10_ENKUlT_T0_E_clISt17integral_constantIbLb1EES1O_IbLb0EEEEDaS1K_S1L_EUlS1K_E_NS1_11comp_targetILNS1_3genE10ELNS1_11target_archE1200ELNS1_3gpuE4ELNS1_3repE0EEENS1_30default_config_static_selectorELNS0_4arch9wavefront6targetE0EEEvSY_
		.amdhsa_group_segment_fixed_size 0
		.amdhsa_private_segment_fixed_size 0
		.amdhsa_kernarg_size 144
		.amdhsa_user_sgpr_count 15
		.amdhsa_user_sgpr_dispatch_ptr 0
		.amdhsa_user_sgpr_queue_ptr 0
		.amdhsa_user_sgpr_kernarg_segment_ptr 1
		.amdhsa_user_sgpr_dispatch_id 0
		.amdhsa_user_sgpr_private_segment_size 0
		.amdhsa_wavefront_size32 1
		.amdhsa_uses_dynamic_stack 0
		.amdhsa_enable_private_segment 0
		.amdhsa_system_sgpr_workgroup_id_x 1
		.amdhsa_system_sgpr_workgroup_id_y 0
		.amdhsa_system_sgpr_workgroup_id_z 0
		.amdhsa_system_sgpr_workgroup_info 0
		.amdhsa_system_vgpr_workitem_id 0
		.amdhsa_next_free_vgpr 1
		.amdhsa_next_free_sgpr 1
		.amdhsa_reserve_vcc 0
		.amdhsa_float_round_mode_32 0
		.amdhsa_float_round_mode_16_64 0
		.amdhsa_float_denorm_mode_32 3
		.amdhsa_float_denorm_mode_16_64 3
		.amdhsa_dx10_clamp 1
		.amdhsa_ieee_mode 1
		.amdhsa_fp16_overflow 0
		.amdhsa_workgroup_processor_mode 1
		.amdhsa_memory_ordered 1
		.amdhsa_forward_progress 0
		.amdhsa_shared_vgpr_count 0
		.amdhsa_exception_fp_ieee_invalid_op 0
		.amdhsa_exception_fp_denorm_src 0
		.amdhsa_exception_fp_ieee_div_zero 0
		.amdhsa_exception_fp_ieee_overflow 0
		.amdhsa_exception_fp_ieee_underflow 0
		.amdhsa_exception_fp_ieee_inexact 0
		.amdhsa_exception_int_div_zero 0
	.end_amdhsa_kernel
	.section	.text._ZN7rocprim17ROCPRIM_400000_NS6detail17trampoline_kernelINS0_13select_configILj256ELj13ELNS0_17block_load_methodE3ELS4_3ELS4_3ELNS0_20block_scan_algorithmE0ELj4294967295EEENS1_25partition_config_selectorILNS1_17partition_subalgoE3EjNS0_10empty_typeEbEEZZNS1_14partition_implILS8_3ELb0ES6_jNS0_17counting_iteratorIjlEEPS9_SE_NS0_5tupleIJPjSE_EEENSF_IJSE_SE_EEES9_SG_JZNS1_25segmented_radix_sort_implINS0_14default_configELb0EPKdPdPKlPlN2at6native12_GLOBAL__N_18offset_tEEE10hipError_tPvRmT1_PNSt15iterator_traitsISY_E10value_typeET2_T3_PNSZ_IS14_E10value_typeET4_jRbjT5_S1A_jjP12ihipStream_tbEUljE_EEESV_SW_SX_S14_S18_S1A_T6_T7_T9_mT8_S1C_bDpT10_ENKUlT_T0_E_clISt17integral_constantIbLb1EES1O_IbLb0EEEEDaS1K_S1L_EUlS1K_E_NS1_11comp_targetILNS1_3genE10ELNS1_11target_archE1200ELNS1_3gpuE4ELNS1_3repE0EEENS1_30default_config_static_selectorELNS0_4arch9wavefront6targetE0EEEvSY_,"axG",@progbits,_ZN7rocprim17ROCPRIM_400000_NS6detail17trampoline_kernelINS0_13select_configILj256ELj13ELNS0_17block_load_methodE3ELS4_3ELS4_3ELNS0_20block_scan_algorithmE0ELj4294967295EEENS1_25partition_config_selectorILNS1_17partition_subalgoE3EjNS0_10empty_typeEbEEZZNS1_14partition_implILS8_3ELb0ES6_jNS0_17counting_iteratorIjlEEPS9_SE_NS0_5tupleIJPjSE_EEENSF_IJSE_SE_EEES9_SG_JZNS1_25segmented_radix_sort_implINS0_14default_configELb0EPKdPdPKlPlN2at6native12_GLOBAL__N_18offset_tEEE10hipError_tPvRmT1_PNSt15iterator_traitsISY_E10value_typeET2_T3_PNSZ_IS14_E10value_typeET4_jRbjT5_S1A_jjP12ihipStream_tbEUljE_EEESV_SW_SX_S14_S18_S1A_T6_T7_T9_mT8_S1C_bDpT10_ENKUlT_T0_E_clISt17integral_constantIbLb1EES1O_IbLb0EEEEDaS1K_S1L_EUlS1K_E_NS1_11comp_targetILNS1_3genE10ELNS1_11target_archE1200ELNS1_3gpuE4ELNS1_3repE0EEENS1_30default_config_static_selectorELNS0_4arch9wavefront6targetE0EEEvSY_,comdat
.Lfunc_end1210:
	.size	_ZN7rocprim17ROCPRIM_400000_NS6detail17trampoline_kernelINS0_13select_configILj256ELj13ELNS0_17block_load_methodE3ELS4_3ELS4_3ELNS0_20block_scan_algorithmE0ELj4294967295EEENS1_25partition_config_selectorILNS1_17partition_subalgoE3EjNS0_10empty_typeEbEEZZNS1_14partition_implILS8_3ELb0ES6_jNS0_17counting_iteratorIjlEEPS9_SE_NS0_5tupleIJPjSE_EEENSF_IJSE_SE_EEES9_SG_JZNS1_25segmented_radix_sort_implINS0_14default_configELb0EPKdPdPKlPlN2at6native12_GLOBAL__N_18offset_tEEE10hipError_tPvRmT1_PNSt15iterator_traitsISY_E10value_typeET2_T3_PNSZ_IS14_E10value_typeET4_jRbjT5_S1A_jjP12ihipStream_tbEUljE_EEESV_SW_SX_S14_S18_S1A_T6_T7_T9_mT8_S1C_bDpT10_ENKUlT_T0_E_clISt17integral_constantIbLb1EES1O_IbLb0EEEEDaS1K_S1L_EUlS1K_E_NS1_11comp_targetILNS1_3genE10ELNS1_11target_archE1200ELNS1_3gpuE4ELNS1_3repE0EEENS1_30default_config_static_selectorELNS0_4arch9wavefront6targetE0EEEvSY_, .Lfunc_end1210-_ZN7rocprim17ROCPRIM_400000_NS6detail17trampoline_kernelINS0_13select_configILj256ELj13ELNS0_17block_load_methodE3ELS4_3ELS4_3ELNS0_20block_scan_algorithmE0ELj4294967295EEENS1_25partition_config_selectorILNS1_17partition_subalgoE3EjNS0_10empty_typeEbEEZZNS1_14partition_implILS8_3ELb0ES6_jNS0_17counting_iteratorIjlEEPS9_SE_NS0_5tupleIJPjSE_EEENSF_IJSE_SE_EEES9_SG_JZNS1_25segmented_radix_sort_implINS0_14default_configELb0EPKdPdPKlPlN2at6native12_GLOBAL__N_18offset_tEEE10hipError_tPvRmT1_PNSt15iterator_traitsISY_E10value_typeET2_T3_PNSZ_IS14_E10value_typeET4_jRbjT5_S1A_jjP12ihipStream_tbEUljE_EEESV_SW_SX_S14_S18_S1A_T6_T7_T9_mT8_S1C_bDpT10_ENKUlT_T0_E_clISt17integral_constantIbLb1EES1O_IbLb0EEEEDaS1K_S1L_EUlS1K_E_NS1_11comp_targetILNS1_3genE10ELNS1_11target_archE1200ELNS1_3gpuE4ELNS1_3repE0EEENS1_30default_config_static_selectorELNS0_4arch9wavefront6targetE0EEEvSY_
                                        ; -- End function
	.section	.AMDGPU.csdata,"",@progbits
; Kernel info:
; codeLenInByte = 0
; NumSgprs: 0
; NumVgprs: 0
; ScratchSize: 0
; MemoryBound: 0
; FloatMode: 240
; IeeeMode: 1
; LDSByteSize: 0 bytes/workgroup (compile time only)
; SGPRBlocks: 0
; VGPRBlocks: 0
; NumSGPRsForWavesPerEU: 1
; NumVGPRsForWavesPerEU: 1
; Occupancy: 16
; WaveLimiterHint : 0
; COMPUTE_PGM_RSRC2:SCRATCH_EN: 0
; COMPUTE_PGM_RSRC2:USER_SGPR: 15
; COMPUTE_PGM_RSRC2:TRAP_HANDLER: 0
; COMPUTE_PGM_RSRC2:TGID_X_EN: 1
; COMPUTE_PGM_RSRC2:TGID_Y_EN: 0
; COMPUTE_PGM_RSRC2:TGID_Z_EN: 0
; COMPUTE_PGM_RSRC2:TIDIG_COMP_CNT: 0
	.section	.text._ZN7rocprim17ROCPRIM_400000_NS6detail17trampoline_kernelINS0_13select_configILj256ELj13ELNS0_17block_load_methodE3ELS4_3ELS4_3ELNS0_20block_scan_algorithmE0ELj4294967295EEENS1_25partition_config_selectorILNS1_17partition_subalgoE3EjNS0_10empty_typeEbEEZZNS1_14partition_implILS8_3ELb0ES6_jNS0_17counting_iteratorIjlEEPS9_SE_NS0_5tupleIJPjSE_EEENSF_IJSE_SE_EEES9_SG_JZNS1_25segmented_radix_sort_implINS0_14default_configELb0EPKdPdPKlPlN2at6native12_GLOBAL__N_18offset_tEEE10hipError_tPvRmT1_PNSt15iterator_traitsISY_E10value_typeET2_T3_PNSZ_IS14_E10value_typeET4_jRbjT5_S1A_jjP12ihipStream_tbEUljE_EEESV_SW_SX_S14_S18_S1A_T6_T7_T9_mT8_S1C_bDpT10_ENKUlT_T0_E_clISt17integral_constantIbLb1EES1O_IbLb0EEEEDaS1K_S1L_EUlS1K_E_NS1_11comp_targetILNS1_3genE9ELNS1_11target_archE1100ELNS1_3gpuE3ELNS1_3repE0EEENS1_30default_config_static_selectorELNS0_4arch9wavefront6targetE0EEEvSY_,"axG",@progbits,_ZN7rocprim17ROCPRIM_400000_NS6detail17trampoline_kernelINS0_13select_configILj256ELj13ELNS0_17block_load_methodE3ELS4_3ELS4_3ELNS0_20block_scan_algorithmE0ELj4294967295EEENS1_25partition_config_selectorILNS1_17partition_subalgoE3EjNS0_10empty_typeEbEEZZNS1_14partition_implILS8_3ELb0ES6_jNS0_17counting_iteratorIjlEEPS9_SE_NS0_5tupleIJPjSE_EEENSF_IJSE_SE_EEES9_SG_JZNS1_25segmented_radix_sort_implINS0_14default_configELb0EPKdPdPKlPlN2at6native12_GLOBAL__N_18offset_tEEE10hipError_tPvRmT1_PNSt15iterator_traitsISY_E10value_typeET2_T3_PNSZ_IS14_E10value_typeET4_jRbjT5_S1A_jjP12ihipStream_tbEUljE_EEESV_SW_SX_S14_S18_S1A_T6_T7_T9_mT8_S1C_bDpT10_ENKUlT_T0_E_clISt17integral_constantIbLb1EES1O_IbLb0EEEEDaS1K_S1L_EUlS1K_E_NS1_11comp_targetILNS1_3genE9ELNS1_11target_archE1100ELNS1_3gpuE3ELNS1_3repE0EEENS1_30default_config_static_selectorELNS0_4arch9wavefront6targetE0EEEvSY_,comdat
	.globl	_ZN7rocprim17ROCPRIM_400000_NS6detail17trampoline_kernelINS0_13select_configILj256ELj13ELNS0_17block_load_methodE3ELS4_3ELS4_3ELNS0_20block_scan_algorithmE0ELj4294967295EEENS1_25partition_config_selectorILNS1_17partition_subalgoE3EjNS0_10empty_typeEbEEZZNS1_14partition_implILS8_3ELb0ES6_jNS0_17counting_iteratorIjlEEPS9_SE_NS0_5tupleIJPjSE_EEENSF_IJSE_SE_EEES9_SG_JZNS1_25segmented_radix_sort_implINS0_14default_configELb0EPKdPdPKlPlN2at6native12_GLOBAL__N_18offset_tEEE10hipError_tPvRmT1_PNSt15iterator_traitsISY_E10value_typeET2_T3_PNSZ_IS14_E10value_typeET4_jRbjT5_S1A_jjP12ihipStream_tbEUljE_EEESV_SW_SX_S14_S18_S1A_T6_T7_T9_mT8_S1C_bDpT10_ENKUlT_T0_E_clISt17integral_constantIbLb1EES1O_IbLb0EEEEDaS1K_S1L_EUlS1K_E_NS1_11comp_targetILNS1_3genE9ELNS1_11target_archE1100ELNS1_3gpuE3ELNS1_3repE0EEENS1_30default_config_static_selectorELNS0_4arch9wavefront6targetE0EEEvSY_ ; -- Begin function _ZN7rocprim17ROCPRIM_400000_NS6detail17trampoline_kernelINS0_13select_configILj256ELj13ELNS0_17block_load_methodE3ELS4_3ELS4_3ELNS0_20block_scan_algorithmE0ELj4294967295EEENS1_25partition_config_selectorILNS1_17partition_subalgoE3EjNS0_10empty_typeEbEEZZNS1_14partition_implILS8_3ELb0ES6_jNS0_17counting_iteratorIjlEEPS9_SE_NS0_5tupleIJPjSE_EEENSF_IJSE_SE_EEES9_SG_JZNS1_25segmented_radix_sort_implINS0_14default_configELb0EPKdPdPKlPlN2at6native12_GLOBAL__N_18offset_tEEE10hipError_tPvRmT1_PNSt15iterator_traitsISY_E10value_typeET2_T3_PNSZ_IS14_E10value_typeET4_jRbjT5_S1A_jjP12ihipStream_tbEUljE_EEESV_SW_SX_S14_S18_S1A_T6_T7_T9_mT8_S1C_bDpT10_ENKUlT_T0_E_clISt17integral_constantIbLb1EES1O_IbLb0EEEEDaS1K_S1L_EUlS1K_E_NS1_11comp_targetILNS1_3genE9ELNS1_11target_archE1100ELNS1_3gpuE3ELNS1_3repE0EEENS1_30default_config_static_selectorELNS0_4arch9wavefront6targetE0EEEvSY_
	.p2align	8
	.type	_ZN7rocprim17ROCPRIM_400000_NS6detail17trampoline_kernelINS0_13select_configILj256ELj13ELNS0_17block_load_methodE3ELS4_3ELS4_3ELNS0_20block_scan_algorithmE0ELj4294967295EEENS1_25partition_config_selectorILNS1_17partition_subalgoE3EjNS0_10empty_typeEbEEZZNS1_14partition_implILS8_3ELb0ES6_jNS0_17counting_iteratorIjlEEPS9_SE_NS0_5tupleIJPjSE_EEENSF_IJSE_SE_EEES9_SG_JZNS1_25segmented_radix_sort_implINS0_14default_configELb0EPKdPdPKlPlN2at6native12_GLOBAL__N_18offset_tEEE10hipError_tPvRmT1_PNSt15iterator_traitsISY_E10value_typeET2_T3_PNSZ_IS14_E10value_typeET4_jRbjT5_S1A_jjP12ihipStream_tbEUljE_EEESV_SW_SX_S14_S18_S1A_T6_T7_T9_mT8_S1C_bDpT10_ENKUlT_T0_E_clISt17integral_constantIbLb1EES1O_IbLb0EEEEDaS1K_S1L_EUlS1K_E_NS1_11comp_targetILNS1_3genE9ELNS1_11target_archE1100ELNS1_3gpuE3ELNS1_3repE0EEENS1_30default_config_static_selectorELNS0_4arch9wavefront6targetE0EEEvSY_,@function
_ZN7rocprim17ROCPRIM_400000_NS6detail17trampoline_kernelINS0_13select_configILj256ELj13ELNS0_17block_load_methodE3ELS4_3ELS4_3ELNS0_20block_scan_algorithmE0ELj4294967295EEENS1_25partition_config_selectorILNS1_17partition_subalgoE3EjNS0_10empty_typeEbEEZZNS1_14partition_implILS8_3ELb0ES6_jNS0_17counting_iteratorIjlEEPS9_SE_NS0_5tupleIJPjSE_EEENSF_IJSE_SE_EEES9_SG_JZNS1_25segmented_radix_sort_implINS0_14default_configELb0EPKdPdPKlPlN2at6native12_GLOBAL__N_18offset_tEEE10hipError_tPvRmT1_PNSt15iterator_traitsISY_E10value_typeET2_T3_PNSZ_IS14_E10value_typeET4_jRbjT5_S1A_jjP12ihipStream_tbEUljE_EEESV_SW_SX_S14_S18_S1A_T6_T7_T9_mT8_S1C_bDpT10_ENKUlT_T0_E_clISt17integral_constantIbLb1EES1O_IbLb0EEEEDaS1K_S1L_EUlS1K_E_NS1_11comp_targetILNS1_3genE9ELNS1_11target_archE1100ELNS1_3gpuE3ELNS1_3repE0EEENS1_30default_config_static_selectorELNS0_4arch9wavefront6targetE0EEEvSY_: ; @_ZN7rocprim17ROCPRIM_400000_NS6detail17trampoline_kernelINS0_13select_configILj256ELj13ELNS0_17block_load_methodE3ELS4_3ELS4_3ELNS0_20block_scan_algorithmE0ELj4294967295EEENS1_25partition_config_selectorILNS1_17partition_subalgoE3EjNS0_10empty_typeEbEEZZNS1_14partition_implILS8_3ELb0ES6_jNS0_17counting_iteratorIjlEEPS9_SE_NS0_5tupleIJPjSE_EEENSF_IJSE_SE_EEES9_SG_JZNS1_25segmented_radix_sort_implINS0_14default_configELb0EPKdPdPKlPlN2at6native12_GLOBAL__N_18offset_tEEE10hipError_tPvRmT1_PNSt15iterator_traitsISY_E10value_typeET2_T3_PNSZ_IS14_E10value_typeET4_jRbjT5_S1A_jjP12ihipStream_tbEUljE_EEESV_SW_SX_S14_S18_S1A_T6_T7_T9_mT8_S1C_bDpT10_ENKUlT_T0_E_clISt17integral_constantIbLb1EES1O_IbLb0EEEEDaS1K_S1L_EUlS1K_E_NS1_11comp_targetILNS1_3genE9ELNS1_11target_archE1100ELNS1_3gpuE3ELNS1_3repE0EEENS1_30default_config_static_selectorELNS0_4arch9wavefront6targetE0EEEvSY_
; %bb.0:
	s_clause 0x5
	s_load_b32 s2, s[0:1], 0x70
	s_load_b64 s[16:17], s[0:1], 0x10
	s_load_b64 s[12:13], s[0:1], 0x58
	s_load_b32 s18, s[0:1], 0x8
	s_load_b128 s[8:11], s[0:1], 0x48
	s_load_b128 s[4:7], s[0:1], 0x78
	s_mul_i32 s23, s15, 0xd00
	v_lshlrev_b32_e32 v30, 2, v0
	s_waitcnt lgkmcnt(0)
	s_mul_i32 s20, s2, 0xd00
	s_add_i32 s19, s2, -1
	s_add_u32 s2, s16, s20
	s_addc_u32 s3, s17, 0
	s_cmp_eq_u32 s15, s19
	v_cmp_lt_u64_e64 s3, s[2:3], s[12:13]
	s_cselect_b32 s14, -1, 0
	s_cmp_lg_u32 s15, s19
	s_cselect_b32 s21, -1, 0
	s_add_i32 s2, s18, s23
	s_delay_alu instid0(VALU_DEP_1)
	s_or_b32 s3, s21, s3
	s_add_i32 s18, s2, s16
	s_load_b32 s2, s[0:1], 0x88
	v_add_nc_u32_e32 v1, s18, v0
	s_load_b64 s[18:19], s[10:11], 0x0
	s_and_b32 vcc_lo, exec_lo, s3
	s_mov_b32 s10, -1
	s_delay_alu instid0(VALU_DEP_1)
	v_add_nc_u32_e32 v2, 0x100, v1
	v_add_nc_u32_e32 v3, 0x200, v1
	;; [unrolled: 1-line block ×12, first 2 shown]
	s_cbranch_vccz .LBB1211_2
; %bb.1:
	ds_store_2addr_stride64_b32 v30, v1, v2 offset1:4
	ds_store_2addr_stride64_b32 v30, v3, v4 offset0:8 offset1:12
	ds_store_2addr_stride64_b32 v30, v5, v6 offset0:16 offset1:20
	;; [unrolled: 1-line block ×5, first 2 shown]
	ds_store_b32 v30, v13 offset:12288
	s_waitcnt lgkmcnt(0)
	s_mov_b32 s10, 0
	s_barrier
.LBB1211_2:
	s_and_not1_b32 vcc_lo, exec_lo, s10
	s_add_i32 s20, s20, s16
	s_cbranch_vccnz .LBB1211_4
; %bb.3:
	ds_store_2addr_stride64_b32 v30, v1, v2 offset1:4
	ds_store_2addr_stride64_b32 v30, v3, v4 offset0:8 offset1:12
	ds_store_2addr_stride64_b32 v30, v5, v6 offset0:16 offset1:20
	;; [unrolled: 1-line block ×5, first 2 shown]
	ds_store_b32 v30, v13 offset:12288
	s_waitcnt lgkmcnt(0)
	s_barrier
.LBB1211_4:
	v_mul_u32_u24_e32 v33, 13, v0
	s_waitcnt lgkmcnt(0)
	buffer_gl0_inv
	v_cndmask_b32_e64 v31, 0, 1, s3
	s_sub_i32 s22, s12, s20
	s_and_not1_b32 vcc_lo, exec_lo, s3
	v_lshlrev_b32_e32 v1, 2, v33
	ds_load_2addr_b32 v[28:29], v1 offset1:1
	ds_load_2addr_b32 v[26:27], v1 offset0:2 offset1:3
	ds_load_2addr_b32 v[24:25], v1 offset0:4 offset1:5
	;; [unrolled: 1-line block ×5, first 2 shown]
	ds_load_b32 v32, v1 offset:48
	s_waitcnt lgkmcnt(0)
	s_barrier
	buffer_gl0_inv
	s_cbranch_vccnz .LBB1211_6
; %bb.5:
	v_add_nc_u32_e32 v1, s5, v28
	v_add_nc_u32_e32 v2, s7, v28
	;; [unrolled: 1-line block ×5, first 2 shown]
	v_mul_lo_u32 v1, v1, s4
	v_mul_lo_u32 v2, v2, s6
	;; [unrolled: 1-line block ×4, first 2 shown]
	v_add_nc_u32_e32 v6, s7, v26
	v_add_nc_u32_e32 v7, s5, v27
	;; [unrolled: 1-line block ×3, first 2 shown]
	v_mul_lo_u32 v5, v5, s4
	v_add_nc_u32_e32 v9, s5, v22
	v_sub_nc_u32_e32 v1, v1, v2
	v_mul_lo_u32 v2, v6, s6
	v_sub_nc_u32_e32 v3, v3, v4
	v_mul_lo_u32 v4, v7, s4
	v_mul_lo_u32 v6, v8, s6
	v_add_nc_u32_e32 v7, s5, v24
	v_cmp_lt_u32_e32 vcc_lo, s2, v1
	v_add_nc_u32_e32 v8, s5, v25
	v_add_nc_u32_e32 v10, s7, v22
	v_sub_nc_u32_e32 v2, v5, v2
	v_add_nc_u32_e32 v5, s7, v24
	v_cndmask_b32_e64 v1, 0, 1, vcc_lo
	v_sub_nc_u32_e32 v4, v4, v6
	v_mul_lo_u32 v6, v7, s4
	v_add_nc_u32_e32 v7, s7, v25
	v_cmp_lt_u32_e32 vcc_lo, s2, v3
	v_mul_lo_u32 v5, v5, s6
	v_mul_lo_u32 v8, v8, s4
	v_mul_lo_u32 v9, v9, s4
	v_mul_lo_u32 v7, v7, s6
	v_cndmask_b32_e64 v3, 0, 1, vcc_lo
	v_cmp_lt_u32_e32 vcc_lo, s2, v2
	v_mul_lo_u32 v10, v10, s6
	v_add_nc_u32_e32 v11, s5, v20
	v_sub_nc_u32_e32 v5, v6, v5
	v_add_nc_u32_e32 v12, s7, v20
	v_cndmask_b32_e64 v2, 0, 1, vcc_lo
	v_sub_nc_u32_e32 v6, v8, v7
	v_add_nc_u32_e32 v7, s5, v23
	v_add_nc_u32_e32 v8, s7, v23
	v_cmp_lt_u32_e32 vcc_lo, s2, v4
	v_sub_nc_u32_e32 v9, v9, v10
	v_mul_lo_u32 v10, v11, s4
	v_mul_lo_u32 v7, v7, s4
	;; [unrolled: 1-line block ×4, first 2 shown]
	v_cndmask_b32_e64 v4, 0, 1, vcc_lo
	v_cmp_lt_u32_e32 vcc_lo, s2, v5
	v_add_nc_u32_e32 v12, s5, v21
	v_add_nc_u32_e32 v13, s7, v18
	;; [unrolled: 1-line block ×4, first 2 shown]
	v_cndmask_b32_e64 v5, 0, 1, vcc_lo
	v_cmp_lt_u32_e32 vcc_lo, s2, v6
	v_sub_nc_u32_e32 v7, v7, v8
	v_sub_nc_u32_e32 v8, v10, v11
	v_add_nc_u32_e32 v11, s7, v21
	v_mul_lo_u32 v10, v12, s4
	v_cndmask_b32_e64 v6, 0, 1, vcc_lo
	v_cmp_lt_u32_e32 vcc_lo, s2, v9
	v_add_nc_u32_e32 v12, s5, v18
	v_mul_lo_u32 v11, v11, s6
	v_mul_lo_u32 v13, v13, s6
	;; [unrolled: 1-line block ×3, first 2 shown]
	v_cndmask_b32_e64 v9, 0, 1, vcc_lo
	v_cmp_lt_u32_e32 vcc_lo, s2, v7
	v_mul_lo_u32 v12, v12, s4
	v_mul_lo_u32 v15, v15, s6
	v_lshlrev_b16 v3, 8, v3
	v_sub_nc_u32_e32 v10, v10, v11
	v_cndmask_b32_e64 v7, 0, 1, vcc_lo
	v_cmp_lt_u32_e32 vcc_lo, s2, v8
	v_add_nc_u32_e32 v11, s5, v32
	v_or_b32_e32 v1, v1, v3
	v_sub_nc_u32_e32 v12, v12, v13
	v_sub_nc_u32_e32 v13, v14, v15
	v_cndmask_b32_e64 v8, 0, 1, vcc_lo
	v_cmp_lt_u32_e32 vcc_lo, s2, v10
	v_add_nc_u32_e32 v16, s7, v32
	v_mul_lo_u32 v11, v11, s4
	v_lshlrev_b16 v4, 8, v4
	v_lshlrev_b16 v6, 8, v6
	v_cndmask_b32_e64 v10, 0, 1, vcc_lo
	v_cmp_lt_u32_e32 vcc_lo, s2, v12
	v_mul_lo_u32 v14, v16, s6
	v_lshlrev_b16 v7, 8, v7
	v_or_b32_e32 v2, v2, v4
	v_lshlrev_b16 v10, 8, v10
	v_cndmask_b32_e64 v3, 0, 1, vcc_lo
	v_cmp_lt_u32_e32 vcc_lo, s2, v13
	v_or_b32_e32 v4, v5, v6
	v_or_b32_e32 v5, v9, v7
	v_sub_nc_u32_e32 v11, v11, v14
	v_or_b32_e32 v6, v8, v10
	v_cndmask_b32_e64 v12, 0, 1, vcc_lo
	v_and_b32_e32 v1, 0xffff, v1
	v_lshlrev_b32_e32 v2, 16, v2
	v_and_b32_e32 v4, 0xffff, v4
	v_lshlrev_b32_e32 v5, 16, v5
	v_lshlrev_b16 v12, 8, v12
	v_and_b32_e32 v6, 0xffff, v6
	v_cmp_lt_u32_e32 vcc_lo, s2, v11
	v_or_b32_e32 v39, v1, v2
	v_or_b32_e32 v37, v4, v5
	;; [unrolled: 1-line block ×3, first 2 shown]
	s_mov_b32 s3, 0
	v_cndmask_b32_e64 v34, 0, 1, vcc_lo
	s_delay_alu instid0(VALU_DEP_2) | instskip(NEXT) | instid1(VALU_DEP_1)
	v_lshlrev_b32_e32 v3, 16, v3
	v_or_b32_e32 v35, v6, v3
	s_branch .LBB1211_7
.LBB1211_6:
	s_mov_b32 s3, -1
                                        ; implicit-def: $vgpr34
                                        ; implicit-def: $vgpr35
                                        ; implicit-def: $vgpr37
                                        ; implicit-def: $vgpr39
.LBB1211_7:
	s_clause 0x1
	s_load_b64 s[10:11], s[0:1], 0x28
	s_load_b64 s[20:21], s[0:1], 0x68
	s_and_not1_b32 vcc_lo, exec_lo, s3
	s_addk_i32 s22, 0xd00
	s_cbranch_vccnz .LBB1211_35
; %bb.8:
	v_dual_mov_b32 v2, 0 :: v_dual_mov_b32 v1, 0
	s_mov_b32 s0, exec_lo
	v_cmpx_gt_u32_e64 s22, v33
; %bb.9:
	v_add_nc_u32_e32 v1, s5, v28
	v_add_nc_u32_e32 v3, s7, v28
	s_delay_alu instid0(VALU_DEP_2) | instskip(NEXT) | instid1(VALU_DEP_2)
	v_mul_lo_u32 v1, v1, s4
	v_mul_lo_u32 v3, v3, s6
	s_delay_alu instid0(VALU_DEP_1) | instskip(NEXT) | instid1(VALU_DEP_1)
	v_sub_nc_u32_e32 v1, v1, v3
	v_cmp_lt_u32_e32 vcc_lo, s2, v1
	v_cndmask_b32_e64 v1, 0, 1, vcc_lo
; %bb.10:
	s_or_b32 exec_lo, exec_lo, s0
	v_add_nc_u32_e32 v3, 1, v33
	s_mov_b32 s0, exec_lo
	s_delay_alu instid0(VALU_DEP_1)
	v_cmpx_gt_u32_e64 s22, v3
; %bb.11:
	v_add_nc_u32_e32 v2, s5, v29
	v_add_nc_u32_e32 v3, s7, v29
	s_delay_alu instid0(VALU_DEP_2) | instskip(NEXT) | instid1(VALU_DEP_2)
	v_mul_lo_u32 v2, v2, s4
	v_mul_lo_u32 v3, v3, s6
	s_delay_alu instid0(VALU_DEP_1) | instskip(NEXT) | instid1(VALU_DEP_1)
	v_sub_nc_u32_e32 v2, v2, v3
	v_cmp_lt_u32_e32 vcc_lo, s2, v2
	v_cndmask_b32_e64 v2, 0, 1, vcc_lo
; %bb.12:
	s_or_b32 exec_lo, exec_lo, s0
	v_dual_mov_b32 v4, 0 :: v_dual_add_nc_u32 v3, 2, v33
	s_delay_alu instid0(VALU_DEP_1)
	v_cmp_gt_u32_e32 vcc_lo, s22, v3
	v_mov_b32_e32 v3, 0
	s_and_saveexec_b32 s0, vcc_lo
; %bb.13:
	v_add_nc_u32_e32 v3, s5, v26
	v_add_nc_u32_e32 v5, s7, v26
	s_delay_alu instid0(VALU_DEP_2) | instskip(NEXT) | instid1(VALU_DEP_2)
	v_mul_lo_u32 v3, v3, s4
	v_mul_lo_u32 v5, v5, s6
	s_delay_alu instid0(VALU_DEP_1) | instskip(NEXT) | instid1(VALU_DEP_1)
	v_sub_nc_u32_e32 v3, v3, v5
	v_cmp_lt_u32_e32 vcc_lo, s2, v3
	v_cndmask_b32_e64 v3, 0, 1, vcc_lo
; %bb.14:
	s_or_b32 exec_lo, exec_lo, s0
	v_add_nc_u32_e32 v5, 3, v33
	s_mov_b32 s0, exec_lo
	s_delay_alu instid0(VALU_DEP_1)
	v_cmpx_gt_u32_e64 s22, v5
; %bb.15:
	v_add_nc_u32_e32 v4, s5, v27
	v_add_nc_u32_e32 v5, s7, v27
	s_delay_alu instid0(VALU_DEP_2) | instskip(NEXT) | instid1(VALU_DEP_2)
	v_mul_lo_u32 v4, v4, s4
	v_mul_lo_u32 v5, v5, s6
	s_delay_alu instid0(VALU_DEP_1) | instskip(NEXT) | instid1(VALU_DEP_1)
	v_sub_nc_u32_e32 v4, v4, v5
	v_cmp_lt_u32_e32 vcc_lo, s2, v4
	v_cndmask_b32_e64 v4, 0, 1, vcc_lo
; %bb.16:
	s_or_b32 exec_lo, exec_lo, s0
	v_dual_mov_b32 v6, 0 :: v_dual_add_nc_u32 v5, 4, v33
	s_delay_alu instid0(VALU_DEP_1)
	v_cmp_gt_u32_e32 vcc_lo, s22, v5
	v_mov_b32_e32 v5, 0
	s_and_saveexec_b32 s0, vcc_lo
	;; [unrolled: 33-line block ×5, first 2 shown]
; %bb.29:
	v_add_nc_u32_e32 v11, s5, v18
	v_add_nc_u32_e32 v13, s7, v18
	s_delay_alu instid0(VALU_DEP_2) | instskip(NEXT) | instid1(VALU_DEP_2)
	v_mul_lo_u32 v11, v11, s4
	v_mul_lo_u32 v13, v13, s6
	s_delay_alu instid0(VALU_DEP_1) | instskip(NEXT) | instid1(VALU_DEP_1)
	v_sub_nc_u32_e32 v11, v11, v13
	v_cmp_lt_u32_e32 vcc_lo, s2, v11
	v_cndmask_b32_e64 v11, 0, 1, vcc_lo
; %bb.30:
	s_or_b32 exec_lo, exec_lo, s0
	v_add_nc_u32_e32 v13, 11, v33
	s_mov_b32 s0, exec_lo
	s_delay_alu instid0(VALU_DEP_1)
	v_cmpx_gt_u32_e64 s22, v13
; %bb.31:
	v_add_nc_u32_e32 v12, s5, v19
	v_add_nc_u32_e32 v13, s7, v19
	s_delay_alu instid0(VALU_DEP_2) | instskip(NEXT) | instid1(VALU_DEP_2)
	v_mul_lo_u32 v12, v12, s4
	v_mul_lo_u32 v13, v13, s6
	s_delay_alu instid0(VALU_DEP_1) | instskip(NEXT) | instid1(VALU_DEP_1)
	v_sub_nc_u32_e32 v12, v12, v13
	v_cmp_lt_u32_e32 vcc_lo, s2, v12
	v_cndmask_b32_e64 v12, 0, 1, vcc_lo
; %bb.32:
	s_or_b32 exec_lo, exec_lo, s0
	v_dual_mov_b32 v34, 0 :: v_dual_add_nc_u32 v13, 12, v33
	s_mov_b32 s0, exec_lo
	s_delay_alu instid0(VALU_DEP_1)
	v_cmpx_gt_u32_e64 s22, v13
; %bb.33:
	v_add_nc_u32_e32 v13, s5, v32
	v_add_nc_u32_e32 v14, s7, v32
	s_delay_alu instid0(VALU_DEP_2) | instskip(NEXT) | instid1(VALU_DEP_2)
	v_mul_lo_u32 v13, v13, s4
	v_mul_lo_u32 v14, v14, s6
	s_delay_alu instid0(VALU_DEP_1) | instskip(NEXT) | instid1(VALU_DEP_1)
	v_sub_nc_u32_e32 v13, v13, v14
	v_cmp_lt_u32_e32 vcc_lo, s2, v13
	v_cndmask_b32_e64 v34, 0, 1, vcc_lo
; %bb.34:
	s_or_b32 exec_lo, exec_lo, s0
	v_lshlrev_b16 v2, 8, v2
	v_lshlrev_b16 v4, 8, v4
	;; [unrolled: 1-line block ×5, first 2 shown]
	v_or_b32_e32 v1, v1, v2
	v_lshlrev_b16 v2, 8, v12
	v_or_b32_e32 v3, v3, v4
	v_or_b32_e32 v4, v5, v6
	;; [unrolled: 1-line block ×5, first 2 shown]
	v_and_b32_e32 v1, 0xffff, v1
	v_lshlrev_b32_e32 v3, 16, v3
	v_and_b32_e32 v4, 0xffff, v4
	v_lshlrev_b32_e32 v5, 16, v5
	;; [unrolled: 2-line block ×3, first 2 shown]
	v_or_b32_e32 v39, v1, v3
	s_delay_alu instid0(VALU_DEP_4) | instskip(NEXT) | instid1(VALU_DEP_3)
	v_or_b32_e32 v37, v4, v5
	v_or_b32_e32 v35, v6, v2
.LBB1211_35:
	s_delay_alu instid0(VALU_DEP_3)
	v_and_b32_e32 v41, 0xff, v39
	v_bfe_u32 v42, v39, 8, 8
	v_bfe_u32 v43, v39, 16, 8
	v_lshrrev_b32_e32 v40, 24, v39
	v_and_b32_e32 v44, 0xff, v37
	v_bfe_u32 v45, v37, 8, 8
	v_bfe_u32 v46, v37, 16, 8
	v_add3_u32 v1, v42, v41, v43
	v_lshrrev_b32_e32 v38, 24, v37
	v_and_b32_e32 v47, 0xff, v35
	v_bfe_u32 v48, v35, 8, 8
	v_mbcnt_lo_u32_b32 v50, -1, 0
	v_add3_u32 v1, v1, v40, v44
	v_bfe_u32 v49, v35, 16, 8
	v_lshrrev_b32_e32 v36, 24, v35
	v_and_b32_e32 v2, 0xff, v34
	v_and_b32_e32 v3, 15, v50
	v_add3_u32 v1, v1, v45, v46
	v_or_b32_e32 v4, 31, v0
	v_and_b32_e32 v5, 16, v50
	v_lshrrev_b32_e32 v51, 5, v0
	v_cmp_eq_u32_e64 s5, 0, v3
	v_add3_u32 v1, v1, v38, v47
	v_cmp_lt_u32_e64 s4, 1, v3
	v_cmp_lt_u32_e64 s3, 3, v3
	;; [unrolled: 1-line block ×3, first 2 shown]
	v_cmp_eq_u32_e64 s1, 0, v5
	v_add3_u32 v1, v1, v48, v49
	v_cmp_eq_u32_e64 s0, v4, v0
	s_cmp_lg_u32 s15, 0
	s_mov_b32 s6, -1
	s_delay_alu instid0(VALU_DEP_2)
	v_add3_u32 v52, v1, v36, v2
	s_cbranch_scc0 .LBB1211_66
; %bb.36:
	s_delay_alu instid0(VALU_DEP_1) | instskip(NEXT) | instid1(VALU_DEP_1)
	v_mov_b32_dpp v1, v52 row_shr:1 row_mask:0xf bank_mask:0xf
	v_cndmask_b32_e64 v1, v1, 0, s5
	s_delay_alu instid0(VALU_DEP_1) | instskip(NEXT) | instid1(VALU_DEP_1)
	v_add_nc_u32_e32 v1, v1, v52
	v_mov_b32_dpp v2, v1 row_shr:2 row_mask:0xf bank_mask:0xf
	s_delay_alu instid0(VALU_DEP_1) | instskip(NEXT) | instid1(VALU_DEP_1)
	v_cndmask_b32_e64 v2, 0, v2, s4
	v_add_nc_u32_e32 v1, v1, v2
	s_delay_alu instid0(VALU_DEP_1) | instskip(NEXT) | instid1(VALU_DEP_1)
	v_mov_b32_dpp v2, v1 row_shr:4 row_mask:0xf bank_mask:0xf
	v_cndmask_b32_e64 v2, 0, v2, s3
	s_delay_alu instid0(VALU_DEP_1) | instskip(NEXT) | instid1(VALU_DEP_1)
	v_add_nc_u32_e32 v1, v1, v2
	v_mov_b32_dpp v2, v1 row_shr:8 row_mask:0xf bank_mask:0xf
	s_delay_alu instid0(VALU_DEP_1) | instskip(NEXT) | instid1(VALU_DEP_1)
	v_cndmask_b32_e64 v2, 0, v2, s2
	v_add_nc_u32_e32 v1, v1, v2
	ds_swizzle_b32 v2, v1 offset:swizzle(BROADCAST,32,15)
	s_waitcnt lgkmcnt(0)
	v_cndmask_b32_e64 v2, v2, 0, s1
	s_delay_alu instid0(VALU_DEP_1)
	v_add_nc_u32_e32 v1, v1, v2
	s_and_saveexec_b32 s6, s0
	s_cbranch_execz .LBB1211_38
; %bb.37:
	v_lshlrev_b32_e32 v2, 2, v51
	ds_store_b32 v2, v1
.LBB1211_38:
	s_or_b32 exec_lo, exec_lo, s6
	s_delay_alu instid0(SALU_CYCLE_1)
	s_mov_b32 s6, exec_lo
	s_waitcnt lgkmcnt(0)
	s_barrier
	buffer_gl0_inv
	v_cmpx_gt_u32_e32 8, v0
	s_cbranch_execz .LBB1211_40
; %bb.39:
	ds_load_b32 v2, v30
	s_waitcnt lgkmcnt(0)
	v_mov_b32_dpp v4, v2 row_shr:1 row_mask:0xf bank_mask:0xf
	v_and_b32_e32 v3, 7, v50
	s_delay_alu instid0(VALU_DEP_1) | instskip(NEXT) | instid1(VALU_DEP_3)
	v_cmp_ne_u32_e32 vcc_lo, 0, v3
	v_cndmask_b32_e32 v4, 0, v4, vcc_lo
	v_cmp_lt_u32_e32 vcc_lo, 1, v3
	s_delay_alu instid0(VALU_DEP_2) | instskip(NEXT) | instid1(VALU_DEP_1)
	v_add_nc_u32_e32 v2, v4, v2
	v_mov_b32_dpp v4, v2 row_shr:2 row_mask:0xf bank_mask:0xf
	s_delay_alu instid0(VALU_DEP_1) | instskip(SKIP_1) | instid1(VALU_DEP_2)
	v_cndmask_b32_e32 v4, 0, v4, vcc_lo
	v_cmp_lt_u32_e32 vcc_lo, 3, v3
	v_add_nc_u32_e32 v2, v2, v4
	s_delay_alu instid0(VALU_DEP_1) | instskip(NEXT) | instid1(VALU_DEP_1)
	v_mov_b32_dpp v4, v2 row_shr:4 row_mask:0xf bank_mask:0xf
	v_cndmask_b32_e32 v3, 0, v4, vcc_lo
	s_delay_alu instid0(VALU_DEP_1)
	v_add_nc_u32_e32 v2, v2, v3
	ds_store_b32 v30, v2
.LBB1211_40:
	s_or_b32 exec_lo, exec_lo, s6
	v_cmp_gt_u32_e32 vcc_lo, 32, v0
	s_mov_b32 s7, exec_lo
	s_waitcnt lgkmcnt(0)
	s_barrier
	buffer_gl0_inv
                                        ; implicit-def: $vgpr8
	v_cmpx_lt_u32_e32 31, v0
	s_cbranch_execz .LBB1211_42
; %bb.41:
	v_lshl_add_u32 v2, v51, 2, -4
	ds_load_b32 v8, v2
	s_waitcnt lgkmcnt(0)
	v_add_nc_u32_e32 v1, v8, v1
.LBB1211_42:
	s_or_b32 exec_lo, exec_lo, s7
	v_add_nc_u32_e32 v2, -1, v50
	s_delay_alu instid0(VALU_DEP_1) | instskip(NEXT) | instid1(VALU_DEP_1)
	v_cmp_gt_i32_e64 s6, 0, v2
	v_cndmask_b32_e64 v2, v2, v50, s6
	v_cmp_eq_u32_e64 s6, 0, v50
	s_delay_alu instid0(VALU_DEP_2)
	v_lshlrev_b32_e32 v2, 2, v2
	ds_bpermute_b32 v9, v2, v1
	s_and_saveexec_b32 s7, vcc_lo
	s_cbranch_execz .LBB1211_65
; %bb.43:
	v_mov_b32_e32 v4, 0
	ds_load_b32 v1, v4 offset:28
	s_and_saveexec_b32 s24, s6
	s_cbranch_execz .LBB1211_45
; %bb.44:
	s_add_i32 s26, s15, 32
	s_mov_b32 s27, 0
	v_mov_b32_e32 v2, 1
	s_lshl_b64 s[26:27], s[26:27], 3
	s_delay_alu instid0(SALU_CYCLE_1)
	s_add_u32 s26, s20, s26
	s_addc_u32 s27, s21, s27
	s_waitcnt lgkmcnt(0)
	global_store_b64 v4, v[1:2], s[26:27]
.LBB1211_45:
	s_or_b32 exec_lo, exec_lo, s24
	v_xad_u32 v2, v50, -1, s15
	s_mov_b32 s25, 0
	s_mov_b32 s24, exec_lo
	s_delay_alu instid0(VALU_DEP_1) | instskip(NEXT) | instid1(VALU_DEP_1)
	v_add_nc_u32_e32 v3, 32, v2
	v_lshlrev_b64 v[3:4], 3, v[3:4]
	s_delay_alu instid0(VALU_DEP_1) | instskip(NEXT) | instid1(VALU_DEP_2)
	v_add_co_u32 v6, vcc_lo, s20, v3
	v_add_co_ci_u32_e32 v7, vcc_lo, s21, v4, vcc_lo
	global_load_b64 v[4:5], v[6:7], off glc
	s_waitcnt vmcnt(0)
	v_and_b32_e32 v3, 0xff, v5
	s_delay_alu instid0(VALU_DEP_1)
	v_cmpx_eq_u16_e32 0, v3
	s_cbranch_execz .LBB1211_51
; %bb.46:
	s_mov_b32 s26, 1
	.p2align	6
.LBB1211_47:                            ; =>This Loop Header: Depth=1
                                        ;     Child Loop BB1211_48 Depth 2
	s_delay_alu instid0(SALU_CYCLE_1)
	s_max_u32 s27, s26, 1
.LBB1211_48:                            ;   Parent Loop BB1211_47 Depth=1
                                        ; =>  This Inner Loop Header: Depth=2
	s_delay_alu instid0(SALU_CYCLE_1)
	s_add_i32 s27, s27, -1
	s_sleep 1
	s_cmp_eq_u32 s27, 0
	s_cbranch_scc0 .LBB1211_48
; %bb.49:                               ;   in Loop: Header=BB1211_47 Depth=1
	global_load_b64 v[4:5], v[6:7], off glc
	s_cmp_lt_u32 s26, 32
	s_cselect_b32 s27, -1, 0
	s_delay_alu instid0(SALU_CYCLE_1) | instskip(SKIP_3) | instid1(VALU_DEP_1)
	s_cmp_lg_u32 s27, 0
	s_addc_u32 s26, s26, 0
	s_waitcnt vmcnt(0)
	v_and_b32_e32 v3, 0xff, v5
	v_cmp_ne_u16_e32 vcc_lo, 0, v3
	s_or_b32 s25, vcc_lo, s25
	s_delay_alu instid0(SALU_CYCLE_1)
	s_and_not1_b32 exec_lo, exec_lo, s25
	s_cbranch_execnz .LBB1211_47
; %bb.50:
	s_or_b32 exec_lo, exec_lo, s25
.LBB1211_51:
	s_delay_alu instid0(SALU_CYCLE_1)
	s_or_b32 exec_lo, exec_lo, s24
	v_cmp_ne_u32_e32 vcc_lo, 31, v50
	v_lshlrev_b32_e64 v11, v50, -1
	v_add_nc_u32_e32 v13, 2, v50
	v_add_nc_u32_e32 v16, 4, v50
	;; [unrolled: 1-line block ×3, first 2 shown]
	v_add_co_ci_u32_e32 v3, vcc_lo, 0, v50, vcc_lo
	v_add_nc_u32_e32 v55, 16, v50
	s_delay_alu instid0(VALU_DEP_2) | instskip(SKIP_2) | instid1(VALU_DEP_1)
	v_lshlrev_b32_e32 v10, 2, v3
	ds_bpermute_b32 v6, v10, v4
	v_and_b32_e32 v3, 0xff, v5
	v_cmp_eq_u16_e32 vcc_lo, 2, v3
	v_and_or_b32 v3, vcc_lo, v11, 0x80000000
	v_cmp_gt_u32_e32 vcc_lo, 30, v50
	s_delay_alu instid0(VALU_DEP_2) | instskip(SKIP_1) | instid1(VALU_DEP_2)
	v_ctz_i32_b32_e32 v3, v3
	v_cndmask_b32_e64 v7, 0, 1, vcc_lo
	v_cmp_lt_u32_e32 vcc_lo, v50, v3
	s_waitcnt lgkmcnt(0)
	s_delay_alu instid0(VALU_DEP_2) | instskip(NEXT) | instid1(VALU_DEP_1)
	v_dual_cndmask_b32 v6, 0, v6 :: v_dual_lshlrev_b32 v7, 1, v7
	v_add_lshl_u32 v12, v7, v50, 2
	v_cmp_gt_u32_e32 vcc_lo, 28, v50
	s_delay_alu instid0(VALU_DEP_3) | instskip(SKIP_4) | instid1(VALU_DEP_1)
	v_add_nc_u32_e32 v4, v6, v4
	v_cndmask_b32_e64 v7, 0, 1, vcc_lo
	v_cmp_le_u32_e32 vcc_lo, v13, v3
	ds_bpermute_b32 v6, v12, v4
	v_lshlrev_b32_e32 v7, 2, v7
	v_add_lshl_u32 v14, v7, v50, 2
	s_waitcnt lgkmcnt(0)
	v_cndmask_b32_e32 v6, 0, v6, vcc_lo
	v_cmp_gt_u32_e32 vcc_lo, 24, v50
	s_delay_alu instid0(VALU_DEP_2) | instskip(SKIP_4) | instid1(VALU_DEP_1)
	v_add_nc_u32_e32 v4, v4, v6
	v_cndmask_b32_e64 v7, 0, 1, vcc_lo
	v_cmp_le_u32_e32 vcc_lo, v16, v3
	ds_bpermute_b32 v6, v14, v4
	v_lshlrev_b32_e32 v7, 3, v7
	v_add_lshl_u32 v17, v7, v50, 2
	s_waitcnt lgkmcnt(0)
	v_cndmask_b32_e32 v6, 0, v6, vcc_lo
	v_cmp_gt_u32_e32 vcc_lo, 16, v50
	s_delay_alu instid0(VALU_DEP_2) | instskip(SKIP_4) | instid1(VALU_DEP_1)
	v_add_nc_u32_e32 v4, v4, v6
	v_cndmask_b32_e64 v7, 0, 1, vcc_lo
	v_cmp_le_u32_e32 vcc_lo, v53, v3
	ds_bpermute_b32 v6, v17, v4
	v_lshlrev_b32_e32 v7, 4, v7
	v_add_lshl_u32 v54, v7, v50, 2
	s_waitcnt lgkmcnt(0)
	v_cndmask_b32_e32 v6, 0, v6, vcc_lo
	v_cmp_le_u32_e32 vcc_lo, v55, v3
	s_delay_alu instid0(VALU_DEP_2) | instskip(SKIP_3) | instid1(VALU_DEP_1)
	v_add_nc_u32_e32 v4, v4, v6
	ds_bpermute_b32 v6, v54, v4
	s_waitcnt lgkmcnt(0)
	v_cndmask_b32_e32 v3, 0, v6, vcc_lo
	v_dual_mov_b32 v3, 0 :: v_dual_add_nc_u32 v4, v4, v3
	s_branch .LBB1211_53
.LBB1211_52:                            ;   in Loop: Header=BB1211_53 Depth=1
	s_or_b32 exec_lo, exec_lo, s24
	ds_bpermute_b32 v7, v10, v4
	v_and_b32_e32 v6, 0xff, v5
	v_subrev_nc_u32_e32 v2, 32, v2
	s_delay_alu instid0(VALU_DEP_2) | instskip(SKIP_1) | instid1(VALU_DEP_1)
	v_cmp_eq_u16_e32 vcc_lo, 2, v6
	v_and_or_b32 v6, vcc_lo, v11, 0x80000000
	v_ctz_i32_b32_e32 v6, v6
	s_delay_alu instid0(VALU_DEP_1) | instskip(SKIP_3) | instid1(VALU_DEP_2)
	v_cmp_lt_u32_e32 vcc_lo, v50, v6
	s_waitcnt lgkmcnt(0)
	v_cndmask_b32_e32 v7, 0, v7, vcc_lo
	v_cmp_le_u32_e32 vcc_lo, v13, v6
	v_add_nc_u32_e32 v4, v7, v4
	ds_bpermute_b32 v7, v12, v4
	s_waitcnt lgkmcnt(0)
	v_cndmask_b32_e32 v7, 0, v7, vcc_lo
	v_cmp_le_u32_e32 vcc_lo, v16, v6
	s_delay_alu instid0(VALU_DEP_2) | instskip(SKIP_4) | instid1(VALU_DEP_2)
	v_add_nc_u32_e32 v4, v4, v7
	ds_bpermute_b32 v7, v14, v4
	s_waitcnt lgkmcnt(0)
	v_cndmask_b32_e32 v7, 0, v7, vcc_lo
	v_cmp_le_u32_e32 vcc_lo, v53, v6
	v_add_nc_u32_e32 v4, v4, v7
	ds_bpermute_b32 v7, v17, v4
	s_waitcnt lgkmcnt(0)
	v_cndmask_b32_e32 v7, 0, v7, vcc_lo
	v_cmp_le_u32_e32 vcc_lo, v55, v6
	s_delay_alu instid0(VALU_DEP_2) | instskip(SKIP_3) | instid1(VALU_DEP_1)
	v_add_nc_u32_e32 v4, v4, v7
	ds_bpermute_b32 v7, v54, v4
	s_waitcnt lgkmcnt(0)
	v_cndmask_b32_e32 v6, 0, v7, vcc_lo
	v_add3_u32 v4, v6, v15, v4
.LBB1211_53:                            ; =>This Loop Header: Depth=1
                                        ;     Child Loop BB1211_56 Depth 2
                                        ;       Child Loop BB1211_57 Depth 3
	v_and_b32_e32 v5, 0xff, v5
	s_delay_alu instid0(VALU_DEP_2) | instskip(NEXT) | instid1(VALU_DEP_2)
	v_mov_b32_e32 v15, v4
	v_cmp_ne_u16_e32 vcc_lo, 2, v5
	v_cndmask_b32_e64 v5, 0, 1, vcc_lo
	;;#ASMSTART
	;;#ASMEND
	s_delay_alu instid0(VALU_DEP_1)
	v_cmp_ne_u32_e32 vcc_lo, 0, v5
	s_cmp_lg_u32 vcc_lo, exec_lo
	s_cbranch_scc1 .LBB1211_60
; %bb.54:                               ;   in Loop: Header=BB1211_53 Depth=1
	v_lshlrev_b64 v[4:5], 3, v[2:3]
	s_mov_b32 s24, exec_lo
	s_delay_alu instid0(VALU_DEP_1) | instskip(NEXT) | instid1(VALU_DEP_2)
	v_add_co_u32 v6, vcc_lo, s20, v4
	v_add_co_ci_u32_e32 v7, vcc_lo, s21, v5, vcc_lo
	global_load_b64 v[4:5], v[6:7], off glc
	s_waitcnt vmcnt(0)
	v_and_b32_e32 v56, 0xff, v5
	s_delay_alu instid0(VALU_DEP_1)
	v_cmpx_eq_u16_e32 0, v56
	s_cbranch_execz .LBB1211_52
; %bb.55:                               ;   in Loop: Header=BB1211_53 Depth=1
	s_mov_b32 s26, 1
	s_mov_b32 s25, 0
	.p2align	6
.LBB1211_56:                            ;   Parent Loop BB1211_53 Depth=1
                                        ; =>  This Loop Header: Depth=2
                                        ;       Child Loop BB1211_57 Depth 3
	s_max_u32 s27, s26, 1
.LBB1211_57:                            ;   Parent Loop BB1211_53 Depth=1
                                        ;     Parent Loop BB1211_56 Depth=2
                                        ; =>    This Inner Loop Header: Depth=3
	s_delay_alu instid0(SALU_CYCLE_1)
	s_add_i32 s27, s27, -1
	s_sleep 1
	s_cmp_eq_u32 s27, 0
	s_cbranch_scc0 .LBB1211_57
; %bb.58:                               ;   in Loop: Header=BB1211_56 Depth=2
	global_load_b64 v[4:5], v[6:7], off glc
	s_cmp_lt_u32 s26, 32
	s_cselect_b32 s27, -1, 0
	s_delay_alu instid0(SALU_CYCLE_1) | instskip(SKIP_3) | instid1(VALU_DEP_1)
	s_cmp_lg_u32 s27, 0
	s_addc_u32 s26, s26, 0
	s_waitcnt vmcnt(0)
	v_and_b32_e32 v56, 0xff, v5
	v_cmp_ne_u16_e32 vcc_lo, 0, v56
	s_or_b32 s25, vcc_lo, s25
	s_delay_alu instid0(SALU_CYCLE_1)
	s_and_not1_b32 exec_lo, exec_lo, s25
	s_cbranch_execnz .LBB1211_56
; %bb.59:                               ;   in Loop: Header=BB1211_53 Depth=1
	s_or_b32 exec_lo, exec_lo, s25
	s_branch .LBB1211_52
.LBB1211_60:                            ;   in Loop: Header=BB1211_53 Depth=1
                                        ; implicit-def: $vgpr4
                                        ; implicit-def: $vgpr5
	s_cbranch_execz .LBB1211_53
; %bb.61:
	s_and_saveexec_b32 s24, s6
	s_cbranch_execz .LBB1211_63
; %bb.62:
	s_add_i32 s26, s15, 32
	s_mov_b32 s27, 0
	v_dual_mov_b32 v3, 2 :: v_dual_add_nc_u32 v2, v15, v1
	s_lshl_b64 s[26:27], s[26:27], 3
	v_mov_b32_e32 v4, 0
	v_add_nc_u32_e64 v5, 0x3400, 0
	s_add_u32 s26, s20, s26
	s_addc_u32 s27, s21, s27
	global_store_b64 v4, v[2:3], s[26:27]
	ds_store_2addr_b32 v5, v1, v15 offset1:2
.LBB1211_63:
	s_or_b32 exec_lo, exec_lo, s24
	v_cmp_eq_u32_e32 vcc_lo, 0, v0
	s_and_b32 exec_lo, exec_lo, vcc_lo
	s_cbranch_execz .LBB1211_65
; %bb.64:
	v_mov_b32_e32 v1, 0
	ds_store_b32 v1, v15 offset:28
.LBB1211_65:
	s_or_b32 exec_lo, exec_lo, s7
	s_waitcnt lgkmcnt(0)
	v_cndmask_b32_e64 v2, v9, v8, s6
	v_cmp_ne_u32_e32 vcc_lo, 0, v0
	v_mov_b32_e32 v1, 0
	s_waitcnt_vscnt null, 0x0
	s_barrier
	buffer_gl0_inv
	v_cndmask_b32_e32 v2, 0, v2, vcc_lo
	ds_load_b32 v1, v1 offset:28
	v_add_nc_u32_e64 v11, 0x3400, 0
	s_waitcnt lgkmcnt(0)
	s_barrier
	buffer_gl0_inv
	ds_load_2addr_b32 v[16:17], v11 offset1:2
	v_add_nc_u32_e32 v1, v1, v2
	s_delay_alu instid0(VALU_DEP_1) | instskip(NEXT) | instid1(VALU_DEP_1)
	v_add_nc_u32_e32 v2, v1, v41
	v_add_nc_u32_e32 v3, v2, v42
	s_delay_alu instid0(VALU_DEP_1) | instskip(NEXT) | instid1(VALU_DEP_1)
	v_add_nc_u32_e32 v4, v3, v43
	;; [unrolled: 3-line block ×6, first 2 shown]
	v_add_nc_u32_e32 v13, v12, v36
	s_branch .LBB1211_76
.LBB1211_66:
                                        ; implicit-def: $vgpr17
                                        ; implicit-def: $vgpr1_vgpr2_vgpr3_vgpr4_vgpr5_vgpr6_vgpr7_vgpr8_vgpr9_vgpr10_vgpr11_vgpr12_vgpr13_vgpr14_vgpr15_vgpr16
	s_and_b32 vcc_lo, exec_lo, s6
	s_cbranch_vccz .LBB1211_76
; %bb.67:
	s_delay_alu instid0(VALU_DEP_1) | instskip(NEXT) | instid1(VALU_DEP_1)
	v_mov_b32_dpp v1, v52 row_shr:1 row_mask:0xf bank_mask:0xf
	v_cndmask_b32_e64 v1, v1, 0, s5
	s_delay_alu instid0(VALU_DEP_1) | instskip(NEXT) | instid1(VALU_DEP_1)
	v_add_nc_u32_e32 v1, v1, v52
	v_mov_b32_dpp v2, v1 row_shr:2 row_mask:0xf bank_mask:0xf
	s_delay_alu instid0(VALU_DEP_1) | instskip(NEXT) | instid1(VALU_DEP_1)
	v_cndmask_b32_e64 v2, 0, v2, s4
	v_add_nc_u32_e32 v1, v1, v2
	s_delay_alu instid0(VALU_DEP_1) | instskip(NEXT) | instid1(VALU_DEP_1)
	v_mov_b32_dpp v2, v1 row_shr:4 row_mask:0xf bank_mask:0xf
	v_cndmask_b32_e64 v2, 0, v2, s3
	s_delay_alu instid0(VALU_DEP_1) | instskip(NEXT) | instid1(VALU_DEP_1)
	v_add_nc_u32_e32 v1, v1, v2
	v_mov_b32_dpp v2, v1 row_shr:8 row_mask:0xf bank_mask:0xf
	s_delay_alu instid0(VALU_DEP_1) | instskip(NEXT) | instid1(VALU_DEP_1)
	v_cndmask_b32_e64 v2, 0, v2, s2
	v_add_nc_u32_e32 v1, v1, v2
	ds_swizzle_b32 v2, v1 offset:swizzle(BROADCAST,32,15)
	s_waitcnt lgkmcnt(0)
	v_cndmask_b32_e64 v2, v2, 0, s1
	s_delay_alu instid0(VALU_DEP_1)
	v_add_nc_u32_e32 v1, v1, v2
	s_and_saveexec_b32 s1, s0
	s_cbranch_execz .LBB1211_69
; %bb.68:
	v_lshlrev_b32_e32 v2, 2, v51
	ds_store_b32 v2, v1
.LBB1211_69:
	s_or_b32 exec_lo, exec_lo, s1
	s_delay_alu instid0(SALU_CYCLE_1)
	s_mov_b32 s0, exec_lo
	s_waitcnt lgkmcnt(0)
	s_barrier
	buffer_gl0_inv
	v_cmpx_gt_u32_e32 8, v0
	s_cbranch_execz .LBB1211_71
; %bb.70:
	ds_load_b32 v2, v30
	s_waitcnt lgkmcnt(0)
	v_mov_b32_dpp v4, v2 row_shr:1 row_mask:0xf bank_mask:0xf
	v_and_b32_e32 v3, 7, v50
	s_delay_alu instid0(VALU_DEP_1) | instskip(NEXT) | instid1(VALU_DEP_3)
	v_cmp_ne_u32_e32 vcc_lo, 0, v3
	v_cndmask_b32_e32 v4, 0, v4, vcc_lo
	v_cmp_lt_u32_e32 vcc_lo, 1, v3
	s_delay_alu instid0(VALU_DEP_2) | instskip(NEXT) | instid1(VALU_DEP_1)
	v_add_nc_u32_e32 v2, v4, v2
	v_mov_b32_dpp v4, v2 row_shr:2 row_mask:0xf bank_mask:0xf
	s_delay_alu instid0(VALU_DEP_1) | instskip(SKIP_1) | instid1(VALU_DEP_2)
	v_cndmask_b32_e32 v4, 0, v4, vcc_lo
	v_cmp_lt_u32_e32 vcc_lo, 3, v3
	v_add_nc_u32_e32 v2, v2, v4
	s_delay_alu instid0(VALU_DEP_1) | instskip(NEXT) | instid1(VALU_DEP_1)
	v_mov_b32_dpp v4, v2 row_shr:4 row_mask:0xf bank_mask:0xf
	v_cndmask_b32_e32 v3, 0, v4, vcc_lo
	s_delay_alu instid0(VALU_DEP_1)
	v_add_nc_u32_e32 v2, v2, v3
	ds_store_b32 v30, v2
.LBB1211_71:
	s_or_b32 exec_lo, exec_lo, s0
	v_dual_mov_b32 v3, 0 :: v_dual_mov_b32 v2, 0
	s_mov_b32 s0, exec_lo
	s_waitcnt lgkmcnt(0)
	s_barrier
	buffer_gl0_inv
	v_cmpx_lt_u32_e32 31, v0
	s_cbranch_execz .LBB1211_73
; %bb.72:
	v_lshl_add_u32 v2, v51, 2, -4
	ds_load_b32 v2, v2
.LBB1211_73:
	s_or_b32 exec_lo, exec_lo, s0
	v_add_nc_u32_e32 v4, -1, v50
	ds_load_b32 v16, v3 offset:28
	s_waitcnt lgkmcnt(1)
	v_add_nc_u32_e32 v1, v2, v1
	v_cmp_gt_i32_e32 vcc_lo, 0, v4
	v_cndmask_b32_e32 v4, v4, v50, vcc_lo
	v_cmp_eq_u32_e32 vcc_lo, 0, v0
	s_delay_alu instid0(VALU_DEP_2)
	v_lshlrev_b32_e32 v4, 2, v4
	ds_bpermute_b32 v1, v4, v1
	s_and_saveexec_b32 s0, vcc_lo
	s_cbranch_execz .LBB1211_75
; %bb.74:
	v_mov_b32_e32 v3, 0
	v_mov_b32_e32 v17, 2
	s_waitcnt lgkmcnt(1)
	global_store_b64 v3, v[16:17], s[20:21] offset:256
.LBB1211_75:
	s_or_b32 exec_lo, exec_lo, s0
	v_cmp_eq_u32_e64 s0, 0, v50
	s_waitcnt lgkmcnt(0)
	s_waitcnt_vscnt null, 0x0
	s_barrier
	buffer_gl0_inv
	v_mov_b32_e32 v17, 0
	v_cndmask_b32_e64 v1, v1, v2, s0
	s_delay_alu instid0(VALU_DEP_1) | instskip(NEXT) | instid1(VALU_DEP_1)
	v_cndmask_b32_e64 v1, v1, 0, vcc_lo
	v_add_nc_u32_e32 v2, v1, v41
	s_delay_alu instid0(VALU_DEP_1) | instskip(NEXT) | instid1(VALU_DEP_1)
	v_add_nc_u32_e32 v3, v2, v42
	v_add_nc_u32_e32 v4, v3, v43
	s_delay_alu instid0(VALU_DEP_1) | instskip(NEXT) | instid1(VALU_DEP_1)
	v_add_nc_u32_e32 v5, v4, v40
	;; [unrolled: 3-line block ×5, first 2 shown]
	v_add_nc_u32_e32 v12, v11, v49
	s_delay_alu instid0(VALU_DEP_1)
	v_add_nc_u32_e32 v13, v12, v36
.LBB1211_76:
	v_lshrrev_b32_e32 v44, 8, v39
	v_lshrrev_b32_e32 v43, 16, v39
	s_waitcnt lgkmcnt(0)
	v_sub_nc_u32_e32 v1, v1, v17
	v_and_b32_e32 v39, 1, v39
	v_sub_nc_u32_e32 v3, v3, v17
	v_add_nc_u32_e32 v33, v16, v33
	v_sub_nc_u32_e32 v2, v2, v17
	v_sub_nc_u32_e32 v4, v4, v17
	v_cmp_eq_u32_e32 vcc_lo, 1, v39
	v_and_b32_e32 v39, 1, v43
	v_sub_nc_u32_e32 v45, v33, v1
	v_and_b32_e32 v44, 1, v44
	v_sub_nc_u32_e32 v43, v33, v2
	v_lshrrev_b32_e32 v42, 8, v37
	v_lshrrev_b32_e32 v41, 16, v37
	v_cndmask_b32_e32 v1, v45, v1, vcc_lo
	v_sub_nc_u32_e32 v45, v33, v3
	v_add_nc_u32_e32 v43, 1, v43
	v_cmp_eq_u32_e32 vcc_lo, 1, v44
	v_and_b32_e32 v40, 1, v40
	v_lshlrev_b32_e32 v1, 2, v1
	v_add_nc_u32_e32 v45, 2, v45
	v_lshrrev_b32_e32 v15, 8, v35
	v_lshrrev_b32_e32 v14, 16, v35
	ds_store_b32 v1, v28
	v_cndmask_b32_e32 v1, v43, v2, vcc_lo
	v_cmp_eq_u32_e32 vcc_lo, 1, v39
	v_or_b32_e32 v28, 0x500, v0
	s_delay_alu instid0(VALU_DEP_3)
	v_dual_cndmask_b32 v2, v45, v3 :: v_dual_lshlrev_b32 v1, 2, v1
	v_sub_nc_u32_e32 v46, v33, v4
	v_cmp_eq_u32_e32 vcc_lo, 1, v40
	ds_store_b32 v1, v29
	v_lshlrev_b32_e32 v2, 2, v2
	v_add_nc_u32_e32 v46, 3, v46
	v_or_b32_e32 v29, 0x400, v0
	s_delay_alu instid0(VALU_DEP_2) | instskip(SKIP_2) | instid1(VALU_DEP_3)
	v_cndmask_b32_e32 v3, v46, v4, vcc_lo
	v_sub_nc_u32_e32 v4, v5, v17
	v_sub_nc_u32_e32 v5, v6, v17
	v_lshlrev_b32_e32 v3, 2, v3
	s_delay_alu instid0(VALU_DEP_3) | instskip(NEXT) | instid1(VALU_DEP_3)
	v_sub_nc_u32_e32 v1, v33, v4
	v_sub_nc_u32_e32 v6, v33, v5
	ds_store_b32 v2, v26
	ds_store_b32 v3, v27
	v_and_b32_e32 v2, 1, v37
	v_add_nc_u32_e32 v1, 4, v1
	v_add_nc_u32_e32 v3, 5, v6
	v_sub_nc_u32_e32 v6, v7, v17
	v_and_b32_e32 v7, 1, v42
	v_cmp_eq_u32_e32 vcc_lo, 1, v2
	v_sub_nc_u32_e32 v2, v8, v17
	v_and_b32_e32 v8, 1, v38
	v_or_b32_e32 v27, 0x600, v0
	v_or_b32_e32 v26, 0x700, v0
	v_cndmask_b32_e32 v1, v1, v4, vcc_lo
	v_sub_nc_u32_e32 v4, v33, v6
	v_cmp_eq_u32_e32 vcc_lo, 1, v7
	v_and_b32_e32 v7, 1, v41
	s_delay_alu instid0(VALU_DEP_4) | instskip(NEXT) | instid1(VALU_DEP_4)
	v_lshlrev_b32_e32 v1, 2, v1
	v_dual_cndmask_b32 v3, v3, v5 :: v_dual_add_nc_u32 v4, 6, v4
	v_sub_nc_u32_e32 v5, v33, v2
	s_delay_alu instid0(VALU_DEP_4) | instskip(SKIP_1) | instid1(VALU_DEP_4)
	v_cmp_eq_u32_e32 vcc_lo, 1, v7
	v_sub_nc_u32_e32 v7, v13, v17
	v_lshlrev_b32_e32 v3, 2, v3
	s_delay_alu instid0(VALU_DEP_4)
	v_dual_cndmask_b32 v4, v4, v6 :: v_dual_add_nc_u32 v5, 7, v5
	v_cmp_eq_u32_e32 vcc_lo, 1, v8
	v_sub_nc_u32_e32 v6, v9, v17
	ds_store_b32 v1, v24
	ds_store_b32 v3, v25
	v_or_b32_e32 v25, 0x800, v0
	v_dual_cndmask_b32 v2, v5, v2 :: v_dual_lshlrev_b32 v3, 2, v4
	v_and_b32_e32 v5, 1, v35
	v_sub_nc_u32_e32 v1, v33, v6
	v_sub_nc_u32_e32 v4, v10, v17
	v_and_b32_e32 v10, 1, v36
	v_or_b32_e32 v24, 0x900, v0
	v_cmp_eq_u32_e32 vcc_lo, 1, v5
	v_sub_nc_u32_e32 v5, v12, v17
	v_add_nc_u32_e32 v1, 8, v1
	s_delay_alu instid0(VALU_DEP_2) | instskip(NEXT) | instid1(VALU_DEP_2)
	v_sub_nc_u32_e32 v9, v33, v5
	v_dual_cndmask_b32 v1, v1, v6 :: v_dual_and_b32 v6, 1, v15
	v_add_co_u32 v15, s0, s18, v17
	s_delay_alu instid0(VALU_DEP_3)
	v_add_nc_u32_e32 v9, 11, v9
	v_lshlrev_b32_e32 v2, 2, v2
	ds_store_b32 v3, v22
	ds_store_b32 v2, v23
	v_sub_nc_u32_e32 v3, v11, v17
	v_sub_nc_u32_e32 v2, v33, v4
	v_cmp_eq_u32_e32 vcc_lo, 1, v6
	v_and_b32_e32 v11, 1, v34
	v_lshlrev_b32_e32 v1, 2, v1
	v_sub_nc_u32_e32 v8, v33, v3
	v_add_nc_u32_e32 v2, 9, v2
	v_add_co_ci_u32_e64 v17, null, s19, 0, s0
	s_add_u32 s0, s16, s23
	s_delay_alu instid0(VALU_DEP_3)
	v_add_nc_u32_e32 v6, 10, v8
	v_and_b32_e32 v8, 1, v14
	v_cndmask_b32_e32 v2, v2, v4, vcc_lo
	v_sub_nc_u32_e32 v4, v33, v7
	s_addc_u32 s1, s17, 0
	s_sub_u32 s0, s12, s0
	v_cmp_eq_u32_e32 vcc_lo, 1, v8
	v_lshlrev_b32_e32 v2, 2, v2
	v_add_nc_u32_e32 v4, 12, v4
	s_subb_u32 s1, s13, s1
	v_add_co_u32 v13, s0, s0, v16
	v_cndmask_b32_e32 v3, v6, v3, vcc_lo
	v_cmp_eq_u32_e32 vcc_lo, 1, v10
	v_add_co_ci_u32_e64 v14, null, s1, 0, s0
	v_or_b32_e32 v34, 0x100, v0
	s_delay_alu instid0(VALU_DEP_4)
	v_lshlrev_b32_e32 v3, 2, v3
	v_cndmask_b32_e32 v5, v9, v5, vcc_lo
	v_cmp_eq_u32_e32 vcc_lo, 1, v11
	v_or_b32_e32 v33, 0x200, v0
	v_or_b32_e32 v23, 0xa00, v0
	;; [unrolled: 1-line block ×3, first 2 shown]
	v_dual_cndmask_b32 v4, v4, v7 :: v_dual_lshlrev_b32 v5, 2, v5
	v_cmp_ne_u32_e32 vcc_lo, 1, v31
	s_delay_alu instid0(VALU_DEP_2)
	v_lshlrev_b32_e32 v4, 2, v4
	ds_store_b32 v1, v20
	ds_store_b32 v2, v21
	;; [unrolled: 1-line block ×5, first 2 shown]
	s_waitcnt lgkmcnt(0)
	s_barrier
	buffer_gl0_inv
	ds_load_2addr_stride64_b32 v[11:12], v30 offset1:4
	ds_load_2addr_stride64_b32 v[9:10], v30 offset0:8 offset1:12
	ds_load_2addr_stride64_b32 v[7:8], v30 offset0:16 offset1:20
	ds_load_2addr_stride64_b32 v[5:6], v30 offset0:24 offset1:28
	ds_load_2addr_stride64_b32 v[3:4], v30 offset0:32 offset1:36
	ds_load_2addr_stride64_b32 v[1:2], v30 offset0:40 offset1:44
	ds_load_b32 v18, v30 offset:12288
	v_add_co_u32 v20, s0, v13, v15
	v_or_b32_e32 v32, 0x300, v0
	v_or_b32_e32 v19, 0xc00, v0
	v_add_co_ci_u32_e64 v21, s0, v14, v17, s0
	s_mov_b32 s0, 0
	s_cbranch_vccnz .LBB1211_130
; %bb.77:
	s_mov_b32 s0, exec_lo
                                        ; implicit-def: $vgpr13_vgpr14
	v_cmpx_ge_u32_e64 v0, v16
	s_xor_b32 s0, exec_lo, s0
; %bb.78:
	v_not_b32_e32 v13, v0
	s_delay_alu instid0(VALU_DEP_1) | instskip(SKIP_1) | instid1(VALU_DEP_2)
	v_ashrrev_i32_e32 v14, 31, v13
	v_add_co_u32 v13, vcc_lo, v20, v13
	v_add_co_ci_u32_e32 v14, vcc_lo, v21, v14, vcc_lo
; %bb.79:
	s_and_not1_saveexec_b32 s0, s0
; %bb.80:
	v_add_co_u32 v13, vcc_lo, v15, v0
	v_add_co_ci_u32_e32 v14, vcc_lo, 0, v17, vcc_lo
; %bb.81:
	s_or_b32 exec_lo, exec_lo, s0
	s_delay_alu instid0(VALU_DEP_1) | instskip(SKIP_1) | instid1(VALU_DEP_1)
	v_lshlrev_b64 v[13:14], 2, v[13:14]
	s_mov_b32 s0, exec_lo
	v_add_co_u32 v13, vcc_lo, s10, v13
	s_delay_alu instid0(VALU_DEP_2)
	v_add_co_ci_u32_e32 v14, vcc_lo, s11, v14, vcc_lo
	s_waitcnt lgkmcnt(6)
	global_store_b32 v[13:14], v11, off
                                        ; implicit-def: $vgpr13_vgpr14
	v_cmpx_ge_u32_e64 v34, v16
	s_xor_b32 s0, exec_lo, s0
; %bb.82:
	v_xor_b32_e32 v13, 0xfffffeff, v0
	s_delay_alu instid0(VALU_DEP_1) | instskip(SKIP_1) | instid1(VALU_DEP_2)
	v_ashrrev_i32_e32 v14, 31, v13
	v_add_co_u32 v13, vcc_lo, v20, v13
	v_add_co_ci_u32_e32 v14, vcc_lo, v21, v14, vcc_lo
; %bb.83:
	s_and_not1_saveexec_b32 s0, s0
; %bb.84:
	v_add_co_u32 v13, vcc_lo, v15, v34
	v_add_co_ci_u32_e32 v14, vcc_lo, 0, v17, vcc_lo
; %bb.85:
	s_or_b32 exec_lo, exec_lo, s0
	s_delay_alu instid0(VALU_DEP_1) | instskip(SKIP_1) | instid1(VALU_DEP_1)
	v_lshlrev_b64 v[13:14], 2, v[13:14]
	s_mov_b32 s0, exec_lo
	v_add_co_u32 v13, vcc_lo, s10, v13
	s_delay_alu instid0(VALU_DEP_2)
	v_add_co_ci_u32_e32 v14, vcc_lo, s11, v14, vcc_lo
	global_store_b32 v[13:14], v12, off
                                        ; implicit-def: $vgpr13_vgpr14
	v_cmpx_ge_u32_e64 v33, v16
	s_xor_b32 s0, exec_lo, s0
; %bb.86:
	v_xor_b32_e32 v13, 0xfffffdff, v0
	s_delay_alu instid0(VALU_DEP_1) | instskip(SKIP_1) | instid1(VALU_DEP_2)
	v_ashrrev_i32_e32 v14, 31, v13
	v_add_co_u32 v13, vcc_lo, v20, v13
	v_add_co_ci_u32_e32 v14, vcc_lo, v21, v14, vcc_lo
; %bb.87:
	s_and_not1_saveexec_b32 s0, s0
; %bb.88:
	v_add_co_u32 v13, vcc_lo, v15, v33
	v_add_co_ci_u32_e32 v14, vcc_lo, 0, v17, vcc_lo
; %bb.89:
	s_or_b32 exec_lo, exec_lo, s0
	s_delay_alu instid0(VALU_DEP_1) | instskip(SKIP_1) | instid1(VALU_DEP_1)
	v_lshlrev_b64 v[13:14], 2, v[13:14]
	s_mov_b32 s0, exec_lo
	v_add_co_u32 v13, vcc_lo, s10, v13
	s_delay_alu instid0(VALU_DEP_2)
	v_add_co_ci_u32_e32 v14, vcc_lo, s11, v14, vcc_lo
	s_waitcnt lgkmcnt(5)
	global_store_b32 v[13:14], v9, off
                                        ; implicit-def: $vgpr13_vgpr14
	v_cmpx_ge_u32_e64 v32, v16
	s_xor_b32 s0, exec_lo, s0
; %bb.90:
	v_xor_b32_e32 v13, 0xfffffcff, v0
	s_delay_alu instid0(VALU_DEP_1) | instskip(SKIP_1) | instid1(VALU_DEP_2)
	v_ashrrev_i32_e32 v14, 31, v13
	v_add_co_u32 v13, vcc_lo, v20, v13
	v_add_co_ci_u32_e32 v14, vcc_lo, v21, v14, vcc_lo
; %bb.91:
	s_and_not1_saveexec_b32 s0, s0
; %bb.92:
	v_add_co_u32 v13, vcc_lo, v15, v32
	v_add_co_ci_u32_e32 v14, vcc_lo, 0, v17, vcc_lo
; %bb.93:
	s_or_b32 exec_lo, exec_lo, s0
	s_delay_alu instid0(VALU_DEP_1) | instskip(SKIP_1) | instid1(VALU_DEP_1)
	v_lshlrev_b64 v[13:14], 2, v[13:14]
	s_mov_b32 s0, exec_lo
	v_add_co_u32 v13, vcc_lo, s10, v13
	s_delay_alu instid0(VALU_DEP_2)
	v_add_co_ci_u32_e32 v14, vcc_lo, s11, v14, vcc_lo
	global_store_b32 v[13:14], v10, off
                                        ; implicit-def: $vgpr13_vgpr14
	v_cmpx_ge_u32_e64 v29, v16
	s_xor_b32 s0, exec_lo, s0
; %bb.94:
	v_xor_b32_e32 v13, 0xfffffbff, v0
	;; [unrolled: 47-line block ×6, first 2 shown]
	s_delay_alu instid0(VALU_DEP_1) | instskip(SKIP_1) | instid1(VALU_DEP_2)
	v_ashrrev_i32_e32 v14, 31, v13
	v_add_co_u32 v13, vcc_lo, v20, v13
	v_add_co_ci_u32_e32 v14, vcc_lo, v21, v14, vcc_lo
; %bb.127:
	s_and_not1_saveexec_b32 s0, s0
; %bb.128:
	v_add_co_u32 v13, vcc_lo, v15, v19
	v_add_co_ci_u32_e32 v14, vcc_lo, 0, v17, vcc_lo
; %bb.129:
	s_or_b32 exec_lo, exec_lo, s0
	s_mov_b32 s0, -1
	s_branch .LBB1211_210
.LBB1211_130:
                                        ; implicit-def: $vgpr13_vgpr14
	s_cbranch_execz .LBB1211_210
; %bb.131:
	s_mov_b32 s1, exec_lo
	v_cmpx_gt_u32_e64 s22, v0
	s_cbranch_execz .LBB1211_167
; %bb.132:
	s_mov_b32 s2, exec_lo
                                        ; implicit-def: $vgpr13_vgpr14
	v_cmpx_ge_u32_e64 v0, v16
	s_xor_b32 s2, exec_lo, s2
; %bb.133:
	v_not_b32_e32 v13, v0
	s_delay_alu instid0(VALU_DEP_1) | instskip(SKIP_1) | instid1(VALU_DEP_2)
	v_ashrrev_i32_e32 v14, 31, v13
	v_add_co_u32 v13, vcc_lo, v20, v13
	v_add_co_ci_u32_e32 v14, vcc_lo, v21, v14, vcc_lo
; %bb.134:
	s_and_not1_saveexec_b32 s2, s2
; %bb.135:
	v_add_co_u32 v13, vcc_lo, v15, v0
	v_add_co_ci_u32_e32 v14, vcc_lo, 0, v17, vcc_lo
; %bb.136:
	s_or_b32 exec_lo, exec_lo, s2
	s_delay_alu instid0(VALU_DEP_1) | instskip(NEXT) | instid1(VALU_DEP_1)
	v_lshlrev_b64 v[13:14], 2, v[13:14]
	v_add_co_u32 v13, vcc_lo, s10, v13
	s_delay_alu instid0(VALU_DEP_2) | instskip(SKIP_3) | instid1(SALU_CYCLE_1)
	v_add_co_ci_u32_e32 v14, vcc_lo, s11, v14, vcc_lo
	s_waitcnt lgkmcnt(6)
	global_store_b32 v[13:14], v11, off
	s_or_b32 exec_lo, exec_lo, s1
	s_mov_b32 s1, exec_lo
	v_cmpx_gt_u32_e64 s22, v34
	s_cbranch_execnz .LBB1211_168
.LBB1211_137:
	s_or_b32 exec_lo, exec_lo, s1
	s_delay_alu instid0(SALU_CYCLE_1)
	s_mov_b32 s1, exec_lo
	v_cmpx_gt_u32_e64 s22, v33
	s_cbranch_execz .LBB1211_173
.LBB1211_138:
	s_mov_b32 s2, exec_lo
                                        ; implicit-def: $vgpr11_vgpr12
	v_cmpx_ge_u32_e64 v33, v16
	s_xor_b32 s2, exec_lo, s2
	s_cbranch_execz .LBB1211_140
; %bb.139:
	s_waitcnt lgkmcnt(6)
	v_xor_b32_e32 v11, 0xfffffdff, v0
                                        ; implicit-def: $vgpr33
	s_delay_alu instid0(VALU_DEP_1) | instskip(SKIP_1) | instid1(VALU_DEP_2)
	v_ashrrev_i32_e32 v12, 31, v11
	v_add_co_u32 v11, vcc_lo, v20, v11
	v_add_co_ci_u32_e32 v12, vcc_lo, v21, v12, vcc_lo
.LBB1211_140:
	s_and_not1_saveexec_b32 s2, s2
	s_cbranch_execz .LBB1211_142
; %bb.141:
	s_waitcnt lgkmcnt(6)
	v_add_co_u32 v11, vcc_lo, v15, v33
	v_add_co_ci_u32_e32 v12, vcc_lo, 0, v17, vcc_lo
.LBB1211_142:
	s_or_b32 exec_lo, exec_lo, s2
	s_waitcnt lgkmcnt(6)
	s_delay_alu instid0(VALU_DEP_1) | instskip(NEXT) | instid1(VALU_DEP_1)
	v_lshlrev_b64 v[11:12], 2, v[11:12]
	v_add_co_u32 v11, vcc_lo, s10, v11
	s_delay_alu instid0(VALU_DEP_2) | instskip(SKIP_3) | instid1(SALU_CYCLE_1)
	v_add_co_ci_u32_e32 v12, vcc_lo, s11, v12, vcc_lo
	s_waitcnt lgkmcnt(5)
	global_store_b32 v[11:12], v9, off
	s_or_b32 exec_lo, exec_lo, s1
	s_mov_b32 s1, exec_lo
	v_cmpx_gt_u32_e64 s22, v32
	s_cbranch_execnz .LBB1211_174
.LBB1211_143:
	s_or_b32 exec_lo, exec_lo, s1
	s_delay_alu instid0(SALU_CYCLE_1)
	s_mov_b32 s1, exec_lo
	v_cmpx_gt_u32_e64 s22, v29
	s_cbranch_execz .LBB1211_179
.LBB1211_144:
	s_mov_b32 s2, exec_lo
                                        ; implicit-def: $vgpr9_vgpr10
	v_cmpx_ge_u32_e64 v29, v16
	s_xor_b32 s2, exec_lo, s2
	s_cbranch_execz .LBB1211_146
; %bb.145:
	s_waitcnt lgkmcnt(5)
	v_xor_b32_e32 v9, 0xfffffbff, v0
                                        ; implicit-def: $vgpr29
	s_delay_alu instid0(VALU_DEP_1) | instskip(SKIP_1) | instid1(VALU_DEP_2)
	v_ashrrev_i32_e32 v10, 31, v9
	v_add_co_u32 v9, vcc_lo, v20, v9
	v_add_co_ci_u32_e32 v10, vcc_lo, v21, v10, vcc_lo
.LBB1211_146:
	s_and_not1_saveexec_b32 s2, s2
	s_cbranch_execz .LBB1211_148
; %bb.147:
	s_waitcnt lgkmcnt(5)
	v_add_co_u32 v9, vcc_lo, v15, v29
	v_add_co_ci_u32_e32 v10, vcc_lo, 0, v17, vcc_lo
.LBB1211_148:
	s_or_b32 exec_lo, exec_lo, s2
	s_waitcnt lgkmcnt(5)
	s_delay_alu instid0(VALU_DEP_1) | instskip(NEXT) | instid1(VALU_DEP_1)
	v_lshlrev_b64 v[9:10], 2, v[9:10]
	v_add_co_u32 v9, vcc_lo, s10, v9
	s_delay_alu instid0(VALU_DEP_2) | instskip(SKIP_3) | instid1(SALU_CYCLE_1)
	v_add_co_ci_u32_e32 v10, vcc_lo, s11, v10, vcc_lo
	s_waitcnt lgkmcnt(4)
	global_store_b32 v[9:10], v7, off
	s_or_b32 exec_lo, exec_lo, s1
	s_mov_b32 s1, exec_lo
	v_cmpx_gt_u32_e64 s22, v28
	s_cbranch_execnz .LBB1211_180
.LBB1211_149:
	s_or_b32 exec_lo, exec_lo, s1
	s_delay_alu instid0(SALU_CYCLE_1)
	s_mov_b32 s1, exec_lo
	v_cmpx_gt_u32_e64 s22, v27
	s_cbranch_execz .LBB1211_185
.LBB1211_150:
	s_mov_b32 s2, exec_lo
                                        ; implicit-def: $vgpr7_vgpr8
	v_cmpx_ge_u32_e64 v27, v16
	s_xor_b32 s2, exec_lo, s2
	s_cbranch_execz .LBB1211_152
; %bb.151:
	s_waitcnt lgkmcnt(4)
	v_xor_b32_e32 v7, 0xfffff9ff, v0
                                        ; implicit-def: $vgpr27
	s_delay_alu instid0(VALU_DEP_1) | instskip(SKIP_1) | instid1(VALU_DEP_2)
	v_ashrrev_i32_e32 v8, 31, v7
	v_add_co_u32 v7, vcc_lo, v20, v7
	v_add_co_ci_u32_e32 v8, vcc_lo, v21, v8, vcc_lo
.LBB1211_152:
	s_and_not1_saveexec_b32 s2, s2
	s_cbranch_execz .LBB1211_154
; %bb.153:
	s_waitcnt lgkmcnt(4)
	v_add_co_u32 v7, vcc_lo, v15, v27
	v_add_co_ci_u32_e32 v8, vcc_lo, 0, v17, vcc_lo
.LBB1211_154:
	s_or_b32 exec_lo, exec_lo, s2
	s_waitcnt lgkmcnt(4)
	s_delay_alu instid0(VALU_DEP_1) | instskip(NEXT) | instid1(VALU_DEP_1)
	v_lshlrev_b64 v[7:8], 2, v[7:8]
	v_add_co_u32 v7, vcc_lo, s10, v7
	s_delay_alu instid0(VALU_DEP_2) | instskip(SKIP_3) | instid1(SALU_CYCLE_1)
	v_add_co_ci_u32_e32 v8, vcc_lo, s11, v8, vcc_lo
	s_waitcnt lgkmcnt(3)
	global_store_b32 v[7:8], v5, off
	s_or_b32 exec_lo, exec_lo, s1
	s_mov_b32 s1, exec_lo
	v_cmpx_gt_u32_e64 s22, v26
	s_cbranch_execnz .LBB1211_186
.LBB1211_155:
	s_or_b32 exec_lo, exec_lo, s1
	s_delay_alu instid0(SALU_CYCLE_1)
	s_mov_b32 s1, exec_lo
	v_cmpx_gt_u32_e64 s22, v25
	s_cbranch_execz .LBB1211_191
.LBB1211_156:
	s_mov_b32 s2, exec_lo
                                        ; implicit-def: $vgpr5_vgpr6
	v_cmpx_ge_u32_e64 v25, v16
	s_xor_b32 s2, exec_lo, s2
	s_cbranch_execz .LBB1211_158
; %bb.157:
	s_waitcnt lgkmcnt(3)
	v_xor_b32_e32 v5, 0xfffff7ff, v0
                                        ; implicit-def: $vgpr25
	s_delay_alu instid0(VALU_DEP_1) | instskip(SKIP_1) | instid1(VALU_DEP_2)
	v_ashrrev_i32_e32 v6, 31, v5
	v_add_co_u32 v5, vcc_lo, v20, v5
	v_add_co_ci_u32_e32 v6, vcc_lo, v21, v6, vcc_lo
.LBB1211_158:
	s_and_not1_saveexec_b32 s2, s2
	s_cbranch_execz .LBB1211_160
; %bb.159:
	s_waitcnt lgkmcnt(3)
	v_add_co_u32 v5, vcc_lo, v15, v25
	v_add_co_ci_u32_e32 v6, vcc_lo, 0, v17, vcc_lo
.LBB1211_160:
	s_or_b32 exec_lo, exec_lo, s2
	s_waitcnt lgkmcnt(3)
	s_delay_alu instid0(VALU_DEP_1) | instskip(NEXT) | instid1(VALU_DEP_1)
	v_lshlrev_b64 v[5:6], 2, v[5:6]
	v_add_co_u32 v5, vcc_lo, s10, v5
	s_delay_alu instid0(VALU_DEP_2) | instskip(SKIP_3) | instid1(SALU_CYCLE_1)
	v_add_co_ci_u32_e32 v6, vcc_lo, s11, v6, vcc_lo
	s_waitcnt lgkmcnt(2)
	global_store_b32 v[5:6], v3, off
	s_or_b32 exec_lo, exec_lo, s1
	s_mov_b32 s1, exec_lo
	v_cmpx_gt_u32_e64 s22, v24
	s_cbranch_execnz .LBB1211_192
.LBB1211_161:
	s_or_b32 exec_lo, exec_lo, s1
	s_delay_alu instid0(SALU_CYCLE_1)
	s_mov_b32 s1, exec_lo
	v_cmpx_gt_u32_e64 s22, v23
	s_cbranch_execz .LBB1211_197
.LBB1211_162:
	s_mov_b32 s2, exec_lo
                                        ; implicit-def: $vgpr3_vgpr4
	v_cmpx_ge_u32_e64 v23, v16
	s_xor_b32 s2, exec_lo, s2
	s_cbranch_execz .LBB1211_164
; %bb.163:
	s_waitcnt lgkmcnt(2)
	v_xor_b32_e32 v3, 0xfffff5ff, v0
                                        ; implicit-def: $vgpr23
	s_delay_alu instid0(VALU_DEP_1) | instskip(SKIP_1) | instid1(VALU_DEP_2)
	v_ashrrev_i32_e32 v4, 31, v3
	v_add_co_u32 v3, vcc_lo, v20, v3
	v_add_co_ci_u32_e32 v4, vcc_lo, v21, v4, vcc_lo
.LBB1211_164:
	s_and_not1_saveexec_b32 s2, s2
	s_cbranch_execz .LBB1211_166
; %bb.165:
	s_waitcnt lgkmcnt(2)
	v_add_co_u32 v3, vcc_lo, v15, v23
	v_add_co_ci_u32_e32 v4, vcc_lo, 0, v17, vcc_lo
.LBB1211_166:
	s_or_b32 exec_lo, exec_lo, s2
	s_waitcnt lgkmcnt(2)
	s_delay_alu instid0(VALU_DEP_1) | instskip(NEXT) | instid1(VALU_DEP_1)
	v_lshlrev_b64 v[3:4], 2, v[3:4]
	v_add_co_u32 v3, vcc_lo, s10, v3
	s_delay_alu instid0(VALU_DEP_2) | instskip(SKIP_3) | instid1(SALU_CYCLE_1)
	v_add_co_ci_u32_e32 v4, vcc_lo, s11, v4, vcc_lo
	s_waitcnt lgkmcnt(1)
	global_store_b32 v[3:4], v1, off
	s_or_b32 exec_lo, exec_lo, s1
	s_mov_b32 s1, exec_lo
	v_cmpx_gt_u32_e64 s22, v22
	s_cbranch_execz .LBB1211_203
	s_branch .LBB1211_198
.LBB1211_167:
	s_or_b32 exec_lo, exec_lo, s1
	s_delay_alu instid0(SALU_CYCLE_1)
	s_mov_b32 s1, exec_lo
	v_cmpx_gt_u32_e64 s22, v34
	s_cbranch_execz .LBB1211_137
.LBB1211_168:
	s_mov_b32 s2, exec_lo
                                        ; implicit-def: $vgpr13_vgpr14
	v_cmpx_ge_u32_e64 v34, v16
	s_xor_b32 s2, exec_lo, s2
	s_cbranch_execz .LBB1211_170
; %bb.169:
	s_waitcnt lgkmcnt(6)
	v_xor_b32_e32 v11, 0xfffffeff, v0
                                        ; implicit-def: $vgpr34
	s_delay_alu instid0(VALU_DEP_1) | instskip(SKIP_1) | instid1(VALU_DEP_2)
	v_ashrrev_i32_e32 v14, 31, v11
	v_add_co_u32 v13, vcc_lo, v20, v11
	v_add_co_ci_u32_e32 v14, vcc_lo, v21, v14, vcc_lo
.LBB1211_170:
	s_and_not1_saveexec_b32 s2, s2
; %bb.171:
	v_add_co_u32 v13, vcc_lo, v15, v34
	v_add_co_ci_u32_e32 v14, vcc_lo, 0, v17, vcc_lo
; %bb.172:
	s_or_b32 exec_lo, exec_lo, s2
	s_delay_alu instid0(VALU_DEP_1) | instskip(NEXT) | instid1(VALU_DEP_1)
	v_lshlrev_b64 v[13:14], 2, v[13:14]
	v_add_co_u32 v13, vcc_lo, s10, v13
	s_delay_alu instid0(VALU_DEP_2) | instskip(SKIP_3) | instid1(SALU_CYCLE_1)
	v_add_co_ci_u32_e32 v14, vcc_lo, s11, v14, vcc_lo
	s_waitcnt lgkmcnt(6)
	global_store_b32 v[13:14], v12, off
	s_or_b32 exec_lo, exec_lo, s1
	s_mov_b32 s1, exec_lo
	v_cmpx_gt_u32_e64 s22, v33
	s_cbranch_execnz .LBB1211_138
.LBB1211_173:
	s_or_b32 exec_lo, exec_lo, s1
	s_delay_alu instid0(SALU_CYCLE_1)
	s_mov_b32 s1, exec_lo
	v_cmpx_gt_u32_e64 s22, v32
	s_cbranch_execz .LBB1211_143
.LBB1211_174:
	s_mov_b32 s2, exec_lo
                                        ; implicit-def: $vgpr11_vgpr12
	v_cmpx_ge_u32_e64 v32, v16
	s_xor_b32 s2, exec_lo, s2
	s_cbranch_execz .LBB1211_176
; %bb.175:
	s_waitcnt lgkmcnt(5)
	v_xor_b32_e32 v9, 0xfffffcff, v0
                                        ; implicit-def: $vgpr32
	s_delay_alu instid0(VALU_DEP_1) | instskip(SKIP_1) | instid1(VALU_DEP_2)
	v_ashrrev_i32_e32 v12, 31, v9
	v_add_co_u32 v11, vcc_lo, v20, v9
	v_add_co_ci_u32_e32 v12, vcc_lo, v21, v12, vcc_lo
.LBB1211_176:
	s_and_not1_saveexec_b32 s2, s2
	s_cbranch_execz .LBB1211_178
; %bb.177:
	s_waitcnt lgkmcnt(6)
	v_add_co_u32 v11, vcc_lo, v15, v32
	v_add_co_ci_u32_e32 v12, vcc_lo, 0, v17, vcc_lo
.LBB1211_178:
	s_or_b32 exec_lo, exec_lo, s2
	s_waitcnt lgkmcnt(6)
	s_delay_alu instid0(VALU_DEP_1) | instskip(NEXT) | instid1(VALU_DEP_1)
	v_lshlrev_b64 v[11:12], 2, v[11:12]
	v_add_co_u32 v11, vcc_lo, s10, v11
	s_delay_alu instid0(VALU_DEP_2) | instskip(SKIP_3) | instid1(SALU_CYCLE_1)
	v_add_co_ci_u32_e32 v12, vcc_lo, s11, v12, vcc_lo
	s_waitcnt lgkmcnt(5)
	global_store_b32 v[11:12], v10, off
	s_or_b32 exec_lo, exec_lo, s1
	s_mov_b32 s1, exec_lo
	v_cmpx_gt_u32_e64 s22, v29
	s_cbranch_execnz .LBB1211_144
.LBB1211_179:
	s_or_b32 exec_lo, exec_lo, s1
	s_delay_alu instid0(SALU_CYCLE_1)
	s_mov_b32 s1, exec_lo
	v_cmpx_gt_u32_e64 s22, v28
	s_cbranch_execz .LBB1211_149
.LBB1211_180:
	s_mov_b32 s2, exec_lo
                                        ; implicit-def: $vgpr9_vgpr10
	v_cmpx_ge_u32_e64 v28, v16
	s_xor_b32 s2, exec_lo, s2
	s_cbranch_execz .LBB1211_182
; %bb.181:
	s_waitcnt lgkmcnt(4)
	v_xor_b32_e32 v7, 0xfffffaff, v0
                                        ; implicit-def: $vgpr28
	s_delay_alu instid0(VALU_DEP_1) | instskip(SKIP_1) | instid1(VALU_DEP_2)
	v_ashrrev_i32_e32 v10, 31, v7
	v_add_co_u32 v9, vcc_lo, v20, v7
	v_add_co_ci_u32_e32 v10, vcc_lo, v21, v10, vcc_lo
.LBB1211_182:
	s_and_not1_saveexec_b32 s2, s2
	s_cbranch_execz .LBB1211_184
; %bb.183:
	s_waitcnt lgkmcnt(5)
	v_add_co_u32 v9, vcc_lo, v15, v28
	v_add_co_ci_u32_e32 v10, vcc_lo, 0, v17, vcc_lo
.LBB1211_184:
	s_or_b32 exec_lo, exec_lo, s2
	s_waitcnt lgkmcnt(5)
	s_delay_alu instid0(VALU_DEP_1) | instskip(NEXT) | instid1(VALU_DEP_1)
	v_lshlrev_b64 v[9:10], 2, v[9:10]
	v_add_co_u32 v9, vcc_lo, s10, v9
	s_delay_alu instid0(VALU_DEP_2) | instskip(SKIP_3) | instid1(SALU_CYCLE_1)
	v_add_co_ci_u32_e32 v10, vcc_lo, s11, v10, vcc_lo
	s_waitcnt lgkmcnt(4)
	global_store_b32 v[9:10], v8, off
	s_or_b32 exec_lo, exec_lo, s1
	s_mov_b32 s1, exec_lo
	v_cmpx_gt_u32_e64 s22, v27
	s_cbranch_execnz .LBB1211_150
.LBB1211_185:
	s_or_b32 exec_lo, exec_lo, s1
	s_delay_alu instid0(SALU_CYCLE_1)
	s_mov_b32 s1, exec_lo
	v_cmpx_gt_u32_e64 s22, v26
	s_cbranch_execz .LBB1211_155
.LBB1211_186:
	s_mov_b32 s2, exec_lo
                                        ; implicit-def: $vgpr7_vgpr8
	v_cmpx_ge_u32_e64 v26, v16
	s_xor_b32 s2, exec_lo, s2
	s_cbranch_execz .LBB1211_188
; %bb.187:
	s_waitcnt lgkmcnt(3)
	v_xor_b32_e32 v5, 0xfffff8ff, v0
                                        ; implicit-def: $vgpr26
	s_delay_alu instid0(VALU_DEP_1) | instskip(SKIP_1) | instid1(VALU_DEP_2)
	v_ashrrev_i32_e32 v8, 31, v5
	v_add_co_u32 v7, vcc_lo, v20, v5
	v_add_co_ci_u32_e32 v8, vcc_lo, v21, v8, vcc_lo
.LBB1211_188:
	s_and_not1_saveexec_b32 s2, s2
	s_cbranch_execz .LBB1211_190
; %bb.189:
	s_waitcnt lgkmcnt(4)
	v_add_co_u32 v7, vcc_lo, v15, v26
	v_add_co_ci_u32_e32 v8, vcc_lo, 0, v17, vcc_lo
.LBB1211_190:
	s_or_b32 exec_lo, exec_lo, s2
	s_waitcnt lgkmcnt(4)
	s_delay_alu instid0(VALU_DEP_1) | instskip(NEXT) | instid1(VALU_DEP_1)
	v_lshlrev_b64 v[7:8], 2, v[7:8]
	v_add_co_u32 v7, vcc_lo, s10, v7
	s_delay_alu instid0(VALU_DEP_2) | instskip(SKIP_3) | instid1(SALU_CYCLE_1)
	v_add_co_ci_u32_e32 v8, vcc_lo, s11, v8, vcc_lo
	s_waitcnt lgkmcnt(3)
	global_store_b32 v[7:8], v6, off
	s_or_b32 exec_lo, exec_lo, s1
	s_mov_b32 s1, exec_lo
	v_cmpx_gt_u32_e64 s22, v25
	s_cbranch_execnz .LBB1211_156
.LBB1211_191:
	s_or_b32 exec_lo, exec_lo, s1
	s_delay_alu instid0(SALU_CYCLE_1)
	s_mov_b32 s1, exec_lo
	v_cmpx_gt_u32_e64 s22, v24
	s_cbranch_execz .LBB1211_161
.LBB1211_192:
	s_mov_b32 s2, exec_lo
                                        ; implicit-def: $vgpr5_vgpr6
	v_cmpx_ge_u32_e64 v24, v16
	s_xor_b32 s2, exec_lo, s2
	s_cbranch_execz .LBB1211_194
; %bb.193:
	s_waitcnt lgkmcnt(2)
	v_xor_b32_e32 v3, 0xfffff6ff, v0
                                        ; implicit-def: $vgpr24
	s_delay_alu instid0(VALU_DEP_1) | instskip(SKIP_1) | instid1(VALU_DEP_2)
	v_ashrrev_i32_e32 v6, 31, v3
	v_add_co_u32 v5, vcc_lo, v20, v3
	v_add_co_ci_u32_e32 v6, vcc_lo, v21, v6, vcc_lo
.LBB1211_194:
	s_and_not1_saveexec_b32 s2, s2
	s_cbranch_execz .LBB1211_196
; %bb.195:
	s_waitcnt lgkmcnt(3)
	v_add_co_u32 v5, vcc_lo, v15, v24
	v_add_co_ci_u32_e32 v6, vcc_lo, 0, v17, vcc_lo
.LBB1211_196:
	s_or_b32 exec_lo, exec_lo, s2
	s_waitcnt lgkmcnt(3)
	s_delay_alu instid0(VALU_DEP_1) | instskip(NEXT) | instid1(VALU_DEP_1)
	v_lshlrev_b64 v[5:6], 2, v[5:6]
	v_add_co_u32 v5, vcc_lo, s10, v5
	s_delay_alu instid0(VALU_DEP_2) | instskip(SKIP_3) | instid1(SALU_CYCLE_1)
	v_add_co_ci_u32_e32 v6, vcc_lo, s11, v6, vcc_lo
	s_waitcnt lgkmcnt(2)
	global_store_b32 v[5:6], v4, off
	s_or_b32 exec_lo, exec_lo, s1
	s_mov_b32 s1, exec_lo
	v_cmpx_gt_u32_e64 s22, v23
	s_cbranch_execnz .LBB1211_162
.LBB1211_197:
	s_or_b32 exec_lo, exec_lo, s1
	s_delay_alu instid0(SALU_CYCLE_1)
	s_mov_b32 s1, exec_lo
	v_cmpx_gt_u32_e64 s22, v22
	s_cbranch_execz .LBB1211_203
.LBB1211_198:
	s_mov_b32 s2, exec_lo
                                        ; implicit-def: $vgpr3_vgpr4
	v_cmpx_ge_u32_e64 v22, v16
	s_xor_b32 s2, exec_lo, s2
	s_cbranch_execz .LBB1211_200
; %bb.199:
	s_waitcnt lgkmcnt(1)
	v_xor_b32_e32 v1, 0xfffff4ff, v0
                                        ; implicit-def: $vgpr22
	s_delay_alu instid0(VALU_DEP_1) | instskip(SKIP_1) | instid1(VALU_DEP_2)
	v_ashrrev_i32_e32 v4, 31, v1
	v_add_co_u32 v3, vcc_lo, v20, v1
	v_add_co_ci_u32_e32 v4, vcc_lo, v21, v4, vcc_lo
.LBB1211_200:
	s_and_not1_saveexec_b32 s2, s2
	s_cbranch_execz .LBB1211_202
; %bb.201:
	s_waitcnt lgkmcnt(2)
	v_add_co_u32 v3, vcc_lo, v15, v22
	v_add_co_ci_u32_e32 v4, vcc_lo, 0, v17, vcc_lo
.LBB1211_202:
	s_or_b32 exec_lo, exec_lo, s2
	s_waitcnt lgkmcnt(2)
	s_delay_alu instid0(VALU_DEP_1) | instskip(NEXT) | instid1(VALU_DEP_1)
	v_lshlrev_b64 v[3:4], 2, v[3:4]
	v_add_co_u32 v3, vcc_lo, s10, v3
	s_delay_alu instid0(VALU_DEP_2)
	v_add_co_ci_u32_e32 v4, vcc_lo, s11, v4, vcc_lo
	s_waitcnt lgkmcnt(1)
	global_store_b32 v[3:4], v2, off
.LBB1211_203:
	s_or_b32 exec_lo, exec_lo, s1
	s_delay_alu instid0(SALU_CYCLE_1)
	s_mov_b32 s1, exec_lo
                                        ; implicit-def: $vgpr13_vgpr14
	v_cmpx_gt_u32_e64 s22, v19
	s_cbranch_execz .LBB1211_209
; %bb.204:
	s_mov_b32 s2, exec_lo
                                        ; implicit-def: $vgpr13_vgpr14
	v_cmpx_ge_u32_e64 v19, v16
	s_xor_b32 s2, exec_lo, s2
	s_cbranch_execz .LBB1211_206
; %bb.205:
	s_waitcnt lgkmcnt(1)
	v_xor_b32_e32 v1, 0xfffff3ff, v0
                                        ; implicit-def: $vgpr19
	s_delay_alu instid0(VALU_DEP_1) | instskip(SKIP_1) | instid1(VALU_DEP_2)
	v_ashrrev_i32_e32 v2, 31, v1
	v_add_co_u32 v13, vcc_lo, v20, v1
	v_add_co_ci_u32_e32 v14, vcc_lo, v21, v2, vcc_lo
.LBB1211_206:
	s_and_not1_saveexec_b32 s2, s2
; %bb.207:
	v_add_co_u32 v13, vcc_lo, v15, v19
	v_add_co_ci_u32_e32 v14, vcc_lo, 0, v17, vcc_lo
; %bb.208:
	s_or_b32 exec_lo, exec_lo, s2
	s_delay_alu instid0(SALU_CYCLE_1)
	s_or_b32 s0, s0, exec_lo
.LBB1211_209:
	s_or_b32 exec_lo, exec_lo, s1
.LBB1211_210:
	s_and_saveexec_b32 s1, s0
	s_cbranch_execz .LBB1211_212
; %bb.211:
	s_waitcnt lgkmcnt(1)
	v_lshlrev_b64 v[1:2], 2, v[13:14]
	s_delay_alu instid0(VALU_DEP_1) | instskip(NEXT) | instid1(VALU_DEP_2)
	v_add_co_u32 v1, vcc_lo, s10, v1
	v_add_co_ci_u32_e32 v2, vcc_lo, s11, v2, vcc_lo
	s_waitcnt lgkmcnt(0)
	global_store_b32 v[1:2], v18, off
.LBB1211_212:
	s_or_b32 exec_lo, exec_lo, s1
	v_cmp_eq_u32_e32 vcc_lo, 0, v0
	s_and_b32 s0, vcc_lo, s14
	s_delay_alu instid0(SALU_CYCLE_1)
	s_and_saveexec_b32 s1, s0
	s_cbranch_execz .LBB1211_214
; %bb.213:
	v_add_co_u32 v0, vcc_lo, v15, v16
	s_waitcnt lgkmcnt(1)
	v_mov_b32_e32 v2, 0
	v_add_co_ci_u32_e32 v1, vcc_lo, 0, v17, vcc_lo
	global_store_b64 v2, v[0:1], s[8:9]
.LBB1211_214:
	s_nop 0
	s_sendmsg sendmsg(MSG_DEALLOC_VGPRS)
	s_endpgm
	.section	.rodata,"a",@progbits
	.p2align	6, 0x0
	.amdhsa_kernel _ZN7rocprim17ROCPRIM_400000_NS6detail17trampoline_kernelINS0_13select_configILj256ELj13ELNS0_17block_load_methodE3ELS4_3ELS4_3ELNS0_20block_scan_algorithmE0ELj4294967295EEENS1_25partition_config_selectorILNS1_17partition_subalgoE3EjNS0_10empty_typeEbEEZZNS1_14partition_implILS8_3ELb0ES6_jNS0_17counting_iteratorIjlEEPS9_SE_NS0_5tupleIJPjSE_EEENSF_IJSE_SE_EEES9_SG_JZNS1_25segmented_radix_sort_implINS0_14default_configELb0EPKdPdPKlPlN2at6native12_GLOBAL__N_18offset_tEEE10hipError_tPvRmT1_PNSt15iterator_traitsISY_E10value_typeET2_T3_PNSZ_IS14_E10value_typeET4_jRbjT5_S1A_jjP12ihipStream_tbEUljE_EEESV_SW_SX_S14_S18_S1A_T6_T7_T9_mT8_S1C_bDpT10_ENKUlT_T0_E_clISt17integral_constantIbLb1EES1O_IbLb0EEEEDaS1K_S1L_EUlS1K_E_NS1_11comp_targetILNS1_3genE9ELNS1_11target_archE1100ELNS1_3gpuE3ELNS1_3repE0EEENS1_30default_config_static_selectorELNS0_4arch9wavefront6targetE0EEEvSY_
		.amdhsa_group_segment_fixed_size 13324
		.amdhsa_private_segment_fixed_size 0
		.amdhsa_kernarg_size 144
		.amdhsa_user_sgpr_count 15
		.amdhsa_user_sgpr_dispatch_ptr 0
		.amdhsa_user_sgpr_queue_ptr 0
		.amdhsa_user_sgpr_kernarg_segment_ptr 1
		.amdhsa_user_sgpr_dispatch_id 0
		.amdhsa_user_sgpr_private_segment_size 0
		.amdhsa_wavefront_size32 1
		.amdhsa_uses_dynamic_stack 0
		.amdhsa_enable_private_segment 0
		.amdhsa_system_sgpr_workgroup_id_x 1
		.amdhsa_system_sgpr_workgroup_id_y 0
		.amdhsa_system_sgpr_workgroup_id_z 0
		.amdhsa_system_sgpr_workgroup_info 0
		.amdhsa_system_vgpr_workitem_id 0
		.amdhsa_next_free_vgpr 57
		.amdhsa_next_free_sgpr 28
		.amdhsa_reserve_vcc 1
		.amdhsa_float_round_mode_32 0
		.amdhsa_float_round_mode_16_64 0
		.amdhsa_float_denorm_mode_32 3
		.amdhsa_float_denorm_mode_16_64 3
		.amdhsa_dx10_clamp 1
		.amdhsa_ieee_mode 1
		.amdhsa_fp16_overflow 0
		.amdhsa_workgroup_processor_mode 1
		.amdhsa_memory_ordered 1
		.amdhsa_forward_progress 0
		.amdhsa_shared_vgpr_count 0
		.amdhsa_exception_fp_ieee_invalid_op 0
		.amdhsa_exception_fp_denorm_src 0
		.amdhsa_exception_fp_ieee_div_zero 0
		.amdhsa_exception_fp_ieee_overflow 0
		.amdhsa_exception_fp_ieee_underflow 0
		.amdhsa_exception_fp_ieee_inexact 0
		.amdhsa_exception_int_div_zero 0
	.end_amdhsa_kernel
	.section	.text._ZN7rocprim17ROCPRIM_400000_NS6detail17trampoline_kernelINS0_13select_configILj256ELj13ELNS0_17block_load_methodE3ELS4_3ELS4_3ELNS0_20block_scan_algorithmE0ELj4294967295EEENS1_25partition_config_selectorILNS1_17partition_subalgoE3EjNS0_10empty_typeEbEEZZNS1_14partition_implILS8_3ELb0ES6_jNS0_17counting_iteratorIjlEEPS9_SE_NS0_5tupleIJPjSE_EEENSF_IJSE_SE_EEES9_SG_JZNS1_25segmented_radix_sort_implINS0_14default_configELb0EPKdPdPKlPlN2at6native12_GLOBAL__N_18offset_tEEE10hipError_tPvRmT1_PNSt15iterator_traitsISY_E10value_typeET2_T3_PNSZ_IS14_E10value_typeET4_jRbjT5_S1A_jjP12ihipStream_tbEUljE_EEESV_SW_SX_S14_S18_S1A_T6_T7_T9_mT8_S1C_bDpT10_ENKUlT_T0_E_clISt17integral_constantIbLb1EES1O_IbLb0EEEEDaS1K_S1L_EUlS1K_E_NS1_11comp_targetILNS1_3genE9ELNS1_11target_archE1100ELNS1_3gpuE3ELNS1_3repE0EEENS1_30default_config_static_selectorELNS0_4arch9wavefront6targetE0EEEvSY_,"axG",@progbits,_ZN7rocprim17ROCPRIM_400000_NS6detail17trampoline_kernelINS0_13select_configILj256ELj13ELNS0_17block_load_methodE3ELS4_3ELS4_3ELNS0_20block_scan_algorithmE0ELj4294967295EEENS1_25partition_config_selectorILNS1_17partition_subalgoE3EjNS0_10empty_typeEbEEZZNS1_14partition_implILS8_3ELb0ES6_jNS0_17counting_iteratorIjlEEPS9_SE_NS0_5tupleIJPjSE_EEENSF_IJSE_SE_EEES9_SG_JZNS1_25segmented_radix_sort_implINS0_14default_configELb0EPKdPdPKlPlN2at6native12_GLOBAL__N_18offset_tEEE10hipError_tPvRmT1_PNSt15iterator_traitsISY_E10value_typeET2_T3_PNSZ_IS14_E10value_typeET4_jRbjT5_S1A_jjP12ihipStream_tbEUljE_EEESV_SW_SX_S14_S18_S1A_T6_T7_T9_mT8_S1C_bDpT10_ENKUlT_T0_E_clISt17integral_constantIbLb1EES1O_IbLb0EEEEDaS1K_S1L_EUlS1K_E_NS1_11comp_targetILNS1_3genE9ELNS1_11target_archE1100ELNS1_3gpuE3ELNS1_3repE0EEENS1_30default_config_static_selectorELNS0_4arch9wavefront6targetE0EEEvSY_,comdat
.Lfunc_end1211:
	.size	_ZN7rocprim17ROCPRIM_400000_NS6detail17trampoline_kernelINS0_13select_configILj256ELj13ELNS0_17block_load_methodE3ELS4_3ELS4_3ELNS0_20block_scan_algorithmE0ELj4294967295EEENS1_25partition_config_selectorILNS1_17partition_subalgoE3EjNS0_10empty_typeEbEEZZNS1_14partition_implILS8_3ELb0ES6_jNS0_17counting_iteratorIjlEEPS9_SE_NS0_5tupleIJPjSE_EEENSF_IJSE_SE_EEES9_SG_JZNS1_25segmented_radix_sort_implINS0_14default_configELb0EPKdPdPKlPlN2at6native12_GLOBAL__N_18offset_tEEE10hipError_tPvRmT1_PNSt15iterator_traitsISY_E10value_typeET2_T3_PNSZ_IS14_E10value_typeET4_jRbjT5_S1A_jjP12ihipStream_tbEUljE_EEESV_SW_SX_S14_S18_S1A_T6_T7_T9_mT8_S1C_bDpT10_ENKUlT_T0_E_clISt17integral_constantIbLb1EES1O_IbLb0EEEEDaS1K_S1L_EUlS1K_E_NS1_11comp_targetILNS1_3genE9ELNS1_11target_archE1100ELNS1_3gpuE3ELNS1_3repE0EEENS1_30default_config_static_selectorELNS0_4arch9wavefront6targetE0EEEvSY_, .Lfunc_end1211-_ZN7rocprim17ROCPRIM_400000_NS6detail17trampoline_kernelINS0_13select_configILj256ELj13ELNS0_17block_load_methodE3ELS4_3ELS4_3ELNS0_20block_scan_algorithmE0ELj4294967295EEENS1_25partition_config_selectorILNS1_17partition_subalgoE3EjNS0_10empty_typeEbEEZZNS1_14partition_implILS8_3ELb0ES6_jNS0_17counting_iteratorIjlEEPS9_SE_NS0_5tupleIJPjSE_EEENSF_IJSE_SE_EEES9_SG_JZNS1_25segmented_radix_sort_implINS0_14default_configELb0EPKdPdPKlPlN2at6native12_GLOBAL__N_18offset_tEEE10hipError_tPvRmT1_PNSt15iterator_traitsISY_E10value_typeET2_T3_PNSZ_IS14_E10value_typeET4_jRbjT5_S1A_jjP12ihipStream_tbEUljE_EEESV_SW_SX_S14_S18_S1A_T6_T7_T9_mT8_S1C_bDpT10_ENKUlT_T0_E_clISt17integral_constantIbLb1EES1O_IbLb0EEEEDaS1K_S1L_EUlS1K_E_NS1_11comp_targetILNS1_3genE9ELNS1_11target_archE1100ELNS1_3gpuE3ELNS1_3repE0EEENS1_30default_config_static_selectorELNS0_4arch9wavefront6targetE0EEEvSY_
                                        ; -- End function
	.section	.AMDGPU.csdata,"",@progbits
; Kernel info:
; codeLenInByte = 8964
; NumSgprs: 30
; NumVgprs: 57
; ScratchSize: 0
; MemoryBound: 0
; FloatMode: 240
; IeeeMode: 1
; LDSByteSize: 13324 bytes/workgroup (compile time only)
; SGPRBlocks: 3
; VGPRBlocks: 7
; NumSGPRsForWavesPerEU: 30
; NumVGPRsForWavesPerEU: 57
; Occupancy: 16
; WaveLimiterHint : 0
; COMPUTE_PGM_RSRC2:SCRATCH_EN: 0
; COMPUTE_PGM_RSRC2:USER_SGPR: 15
; COMPUTE_PGM_RSRC2:TRAP_HANDLER: 0
; COMPUTE_PGM_RSRC2:TGID_X_EN: 1
; COMPUTE_PGM_RSRC2:TGID_Y_EN: 0
; COMPUTE_PGM_RSRC2:TGID_Z_EN: 0
; COMPUTE_PGM_RSRC2:TIDIG_COMP_CNT: 0
	.section	.text._ZN7rocprim17ROCPRIM_400000_NS6detail17trampoline_kernelINS0_13select_configILj256ELj13ELNS0_17block_load_methodE3ELS4_3ELS4_3ELNS0_20block_scan_algorithmE0ELj4294967295EEENS1_25partition_config_selectorILNS1_17partition_subalgoE3EjNS0_10empty_typeEbEEZZNS1_14partition_implILS8_3ELb0ES6_jNS0_17counting_iteratorIjlEEPS9_SE_NS0_5tupleIJPjSE_EEENSF_IJSE_SE_EEES9_SG_JZNS1_25segmented_radix_sort_implINS0_14default_configELb0EPKdPdPKlPlN2at6native12_GLOBAL__N_18offset_tEEE10hipError_tPvRmT1_PNSt15iterator_traitsISY_E10value_typeET2_T3_PNSZ_IS14_E10value_typeET4_jRbjT5_S1A_jjP12ihipStream_tbEUljE_EEESV_SW_SX_S14_S18_S1A_T6_T7_T9_mT8_S1C_bDpT10_ENKUlT_T0_E_clISt17integral_constantIbLb1EES1O_IbLb0EEEEDaS1K_S1L_EUlS1K_E_NS1_11comp_targetILNS1_3genE8ELNS1_11target_archE1030ELNS1_3gpuE2ELNS1_3repE0EEENS1_30default_config_static_selectorELNS0_4arch9wavefront6targetE0EEEvSY_,"axG",@progbits,_ZN7rocprim17ROCPRIM_400000_NS6detail17trampoline_kernelINS0_13select_configILj256ELj13ELNS0_17block_load_methodE3ELS4_3ELS4_3ELNS0_20block_scan_algorithmE0ELj4294967295EEENS1_25partition_config_selectorILNS1_17partition_subalgoE3EjNS0_10empty_typeEbEEZZNS1_14partition_implILS8_3ELb0ES6_jNS0_17counting_iteratorIjlEEPS9_SE_NS0_5tupleIJPjSE_EEENSF_IJSE_SE_EEES9_SG_JZNS1_25segmented_radix_sort_implINS0_14default_configELb0EPKdPdPKlPlN2at6native12_GLOBAL__N_18offset_tEEE10hipError_tPvRmT1_PNSt15iterator_traitsISY_E10value_typeET2_T3_PNSZ_IS14_E10value_typeET4_jRbjT5_S1A_jjP12ihipStream_tbEUljE_EEESV_SW_SX_S14_S18_S1A_T6_T7_T9_mT8_S1C_bDpT10_ENKUlT_T0_E_clISt17integral_constantIbLb1EES1O_IbLb0EEEEDaS1K_S1L_EUlS1K_E_NS1_11comp_targetILNS1_3genE8ELNS1_11target_archE1030ELNS1_3gpuE2ELNS1_3repE0EEENS1_30default_config_static_selectorELNS0_4arch9wavefront6targetE0EEEvSY_,comdat
	.globl	_ZN7rocprim17ROCPRIM_400000_NS6detail17trampoline_kernelINS0_13select_configILj256ELj13ELNS0_17block_load_methodE3ELS4_3ELS4_3ELNS0_20block_scan_algorithmE0ELj4294967295EEENS1_25partition_config_selectorILNS1_17partition_subalgoE3EjNS0_10empty_typeEbEEZZNS1_14partition_implILS8_3ELb0ES6_jNS0_17counting_iteratorIjlEEPS9_SE_NS0_5tupleIJPjSE_EEENSF_IJSE_SE_EEES9_SG_JZNS1_25segmented_radix_sort_implINS0_14default_configELb0EPKdPdPKlPlN2at6native12_GLOBAL__N_18offset_tEEE10hipError_tPvRmT1_PNSt15iterator_traitsISY_E10value_typeET2_T3_PNSZ_IS14_E10value_typeET4_jRbjT5_S1A_jjP12ihipStream_tbEUljE_EEESV_SW_SX_S14_S18_S1A_T6_T7_T9_mT8_S1C_bDpT10_ENKUlT_T0_E_clISt17integral_constantIbLb1EES1O_IbLb0EEEEDaS1K_S1L_EUlS1K_E_NS1_11comp_targetILNS1_3genE8ELNS1_11target_archE1030ELNS1_3gpuE2ELNS1_3repE0EEENS1_30default_config_static_selectorELNS0_4arch9wavefront6targetE0EEEvSY_ ; -- Begin function _ZN7rocprim17ROCPRIM_400000_NS6detail17trampoline_kernelINS0_13select_configILj256ELj13ELNS0_17block_load_methodE3ELS4_3ELS4_3ELNS0_20block_scan_algorithmE0ELj4294967295EEENS1_25partition_config_selectorILNS1_17partition_subalgoE3EjNS0_10empty_typeEbEEZZNS1_14partition_implILS8_3ELb0ES6_jNS0_17counting_iteratorIjlEEPS9_SE_NS0_5tupleIJPjSE_EEENSF_IJSE_SE_EEES9_SG_JZNS1_25segmented_radix_sort_implINS0_14default_configELb0EPKdPdPKlPlN2at6native12_GLOBAL__N_18offset_tEEE10hipError_tPvRmT1_PNSt15iterator_traitsISY_E10value_typeET2_T3_PNSZ_IS14_E10value_typeET4_jRbjT5_S1A_jjP12ihipStream_tbEUljE_EEESV_SW_SX_S14_S18_S1A_T6_T7_T9_mT8_S1C_bDpT10_ENKUlT_T0_E_clISt17integral_constantIbLb1EES1O_IbLb0EEEEDaS1K_S1L_EUlS1K_E_NS1_11comp_targetILNS1_3genE8ELNS1_11target_archE1030ELNS1_3gpuE2ELNS1_3repE0EEENS1_30default_config_static_selectorELNS0_4arch9wavefront6targetE0EEEvSY_
	.p2align	8
	.type	_ZN7rocprim17ROCPRIM_400000_NS6detail17trampoline_kernelINS0_13select_configILj256ELj13ELNS0_17block_load_methodE3ELS4_3ELS4_3ELNS0_20block_scan_algorithmE0ELj4294967295EEENS1_25partition_config_selectorILNS1_17partition_subalgoE3EjNS0_10empty_typeEbEEZZNS1_14partition_implILS8_3ELb0ES6_jNS0_17counting_iteratorIjlEEPS9_SE_NS0_5tupleIJPjSE_EEENSF_IJSE_SE_EEES9_SG_JZNS1_25segmented_radix_sort_implINS0_14default_configELb0EPKdPdPKlPlN2at6native12_GLOBAL__N_18offset_tEEE10hipError_tPvRmT1_PNSt15iterator_traitsISY_E10value_typeET2_T3_PNSZ_IS14_E10value_typeET4_jRbjT5_S1A_jjP12ihipStream_tbEUljE_EEESV_SW_SX_S14_S18_S1A_T6_T7_T9_mT8_S1C_bDpT10_ENKUlT_T0_E_clISt17integral_constantIbLb1EES1O_IbLb0EEEEDaS1K_S1L_EUlS1K_E_NS1_11comp_targetILNS1_3genE8ELNS1_11target_archE1030ELNS1_3gpuE2ELNS1_3repE0EEENS1_30default_config_static_selectorELNS0_4arch9wavefront6targetE0EEEvSY_,@function
_ZN7rocprim17ROCPRIM_400000_NS6detail17trampoline_kernelINS0_13select_configILj256ELj13ELNS0_17block_load_methodE3ELS4_3ELS4_3ELNS0_20block_scan_algorithmE0ELj4294967295EEENS1_25partition_config_selectorILNS1_17partition_subalgoE3EjNS0_10empty_typeEbEEZZNS1_14partition_implILS8_3ELb0ES6_jNS0_17counting_iteratorIjlEEPS9_SE_NS0_5tupleIJPjSE_EEENSF_IJSE_SE_EEES9_SG_JZNS1_25segmented_radix_sort_implINS0_14default_configELb0EPKdPdPKlPlN2at6native12_GLOBAL__N_18offset_tEEE10hipError_tPvRmT1_PNSt15iterator_traitsISY_E10value_typeET2_T3_PNSZ_IS14_E10value_typeET4_jRbjT5_S1A_jjP12ihipStream_tbEUljE_EEESV_SW_SX_S14_S18_S1A_T6_T7_T9_mT8_S1C_bDpT10_ENKUlT_T0_E_clISt17integral_constantIbLb1EES1O_IbLb0EEEEDaS1K_S1L_EUlS1K_E_NS1_11comp_targetILNS1_3genE8ELNS1_11target_archE1030ELNS1_3gpuE2ELNS1_3repE0EEENS1_30default_config_static_selectorELNS0_4arch9wavefront6targetE0EEEvSY_: ; @_ZN7rocprim17ROCPRIM_400000_NS6detail17trampoline_kernelINS0_13select_configILj256ELj13ELNS0_17block_load_methodE3ELS4_3ELS4_3ELNS0_20block_scan_algorithmE0ELj4294967295EEENS1_25partition_config_selectorILNS1_17partition_subalgoE3EjNS0_10empty_typeEbEEZZNS1_14partition_implILS8_3ELb0ES6_jNS0_17counting_iteratorIjlEEPS9_SE_NS0_5tupleIJPjSE_EEENSF_IJSE_SE_EEES9_SG_JZNS1_25segmented_radix_sort_implINS0_14default_configELb0EPKdPdPKlPlN2at6native12_GLOBAL__N_18offset_tEEE10hipError_tPvRmT1_PNSt15iterator_traitsISY_E10value_typeET2_T3_PNSZ_IS14_E10value_typeET4_jRbjT5_S1A_jjP12ihipStream_tbEUljE_EEESV_SW_SX_S14_S18_S1A_T6_T7_T9_mT8_S1C_bDpT10_ENKUlT_T0_E_clISt17integral_constantIbLb1EES1O_IbLb0EEEEDaS1K_S1L_EUlS1K_E_NS1_11comp_targetILNS1_3genE8ELNS1_11target_archE1030ELNS1_3gpuE2ELNS1_3repE0EEENS1_30default_config_static_selectorELNS0_4arch9wavefront6targetE0EEEvSY_
; %bb.0:
	.section	.rodata,"a",@progbits
	.p2align	6, 0x0
	.amdhsa_kernel _ZN7rocprim17ROCPRIM_400000_NS6detail17trampoline_kernelINS0_13select_configILj256ELj13ELNS0_17block_load_methodE3ELS4_3ELS4_3ELNS0_20block_scan_algorithmE0ELj4294967295EEENS1_25partition_config_selectorILNS1_17partition_subalgoE3EjNS0_10empty_typeEbEEZZNS1_14partition_implILS8_3ELb0ES6_jNS0_17counting_iteratorIjlEEPS9_SE_NS0_5tupleIJPjSE_EEENSF_IJSE_SE_EEES9_SG_JZNS1_25segmented_radix_sort_implINS0_14default_configELb0EPKdPdPKlPlN2at6native12_GLOBAL__N_18offset_tEEE10hipError_tPvRmT1_PNSt15iterator_traitsISY_E10value_typeET2_T3_PNSZ_IS14_E10value_typeET4_jRbjT5_S1A_jjP12ihipStream_tbEUljE_EEESV_SW_SX_S14_S18_S1A_T6_T7_T9_mT8_S1C_bDpT10_ENKUlT_T0_E_clISt17integral_constantIbLb1EES1O_IbLb0EEEEDaS1K_S1L_EUlS1K_E_NS1_11comp_targetILNS1_3genE8ELNS1_11target_archE1030ELNS1_3gpuE2ELNS1_3repE0EEENS1_30default_config_static_selectorELNS0_4arch9wavefront6targetE0EEEvSY_
		.amdhsa_group_segment_fixed_size 0
		.amdhsa_private_segment_fixed_size 0
		.amdhsa_kernarg_size 144
		.amdhsa_user_sgpr_count 15
		.amdhsa_user_sgpr_dispatch_ptr 0
		.amdhsa_user_sgpr_queue_ptr 0
		.amdhsa_user_sgpr_kernarg_segment_ptr 1
		.amdhsa_user_sgpr_dispatch_id 0
		.amdhsa_user_sgpr_private_segment_size 0
		.amdhsa_wavefront_size32 1
		.amdhsa_uses_dynamic_stack 0
		.amdhsa_enable_private_segment 0
		.amdhsa_system_sgpr_workgroup_id_x 1
		.amdhsa_system_sgpr_workgroup_id_y 0
		.amdhsa_system_sgpr_workgroup_id_z 0
		.amdhsa_system_sgpr_workgroup_info 0
		.amdhsa_system_vgpr_workitem_id 0
		.amdhsa_next_free_vgpr 1
		.amdhsa_next_free_sgpr 1
		.amdhsa_reserve_vcc 0
		.amdhsa_float_round_mode_32 0
		.amdhsa_float_round_mode_16_64 0
		.amdhsa_float_denorm_mode_32 3
		.amdhsa_float_denorm_mode_16_64 3
		.amdhsa_dx10_clamp 1
		.amdhsa_ieee_mode 1
		.amdhsa_fp16_overflow 0
		.amdhsa_workgroup_processor_mode 1
		.amdhsa_memory_ordered 1
		.amdhsa_forward_progress 0
		.amdhsa_shared_vgpr_count 0
		.amdhsa_exception_fp_ieee_invalid_op 0
		.amdhsa_exception_fp_denorm_src 0
		.amdhsa_exception_fp_ieee_div_zero 0
		.amdhsa_exception_fp_ieee_overflow 0
		.amdhsa_exception_fp_ieee_underflow 0
		.amdhsa_exception_fp_ieee_inexact 0
		.amdhsa_exception_int_div_zero 0
	.end_amdhsa_kernel
	.section	.text._ZN7rocprim17ROCPRIM_400000_NS6detail17trampoline_kernelINS0_13select_configILj256ELj13ELNS0_17block_load_methodE3ELS4_3ELS4_3ELNS0_20block_scan_algorithmE0ELj4294967295EEENS1_25partition_config_selectorILNS1_17partition_subalgoE3EjNS0_10empty_typeEbEEZZNS1_14partition_implILS8_3ELb0ES6_jNS0_17counting_iteratorIjlEEPS9_SE_NS0_5tupleIJPjSE_EEENSF_IJSE_SE_EEES9_SG_JZNS1_25segmented_radix_sort_implINS0_14default_configELb0EPKdPdPKlPlN2at6native12_GLOBAL__N_18offset_tEEE10hipError_tPvRmT1_PNSt15iterator_traitsISY_E10value_typeET2_T3_PNSZ_IS14_E10value_typeET4_jRbjT5_S1A_jjP12ihipStream_tbEUljE_EEESV_SW_SX_S14_S18_S1A_T6_T7_T9_mT8_S1C_bDpT10_ENKUlT_T0_E_clISt17integral_constantIbLb1EES1O_IbLb0EEEEDaS1K_S1L_EUlS1K_E_NS1_11comp_targetILNS1_3genE8ELNS1_11target_archE1030ELNS1_3gpuE2ELNS1_3repE0EEENS1_30default_config_static_selectorELNS0_4arch9wavefront6targetE0EEEvSY_,"axG",@progbits,_ZN7rocprim17ROCPRIM_400000_NS6detail17trampoline_kernelINS0_13select_configILj256ELj13ELNS0_17block_load_methodE3ELS4_3ELS4_3ELNS0_20block_scan_algorithmE0ELj4294967295EEENS1_25partition_config_selectorILNS1_17partition_subalgoE3EjNS0_10empty_typeEbEEZZNS1_14partition_implILS8_3ELb0ES6_jNS0_17counting_iteratorIjlEEPS9_SE_NS0_5tupleIJPjSE_EEENSF_IJSE_SE_EEES9_SG_JZNS1_25segmented_radix_sort_implINS0_14default_configELb0EPKdPdPKlPlN2at6native12_GLOBAL__N_18offset_tEEE10hipError_tPvRmT1_PNSt15iterator_traitsISY_E10value_typeET2_T3_PNSZ_IS14_E10value_typeET4_jRbjT5_S1A_jjP12ihipStream_tbEUljE_EEESV_SW_SX_S14_S18_S1A_T6_T7_T9_mT8_S1C_bDpT10_ENKUlT_T0_E_clISt17integral_constantIbLb1EES1O_IbLb0EEEEDaS1K_S1L_EUlS1K_E_NS1_11comp_targetILNS1_3genE8ELNS1_11target_archE1030ELNS1_3gpuE2ELNS1_3repE0EEENS1_30default_config_static_selectorELNS0_4arch9wavefront6targetE0EEEvSY_,comdat
.Lfunc_end1212:
	.size	_ZN7rocprim17ROCPRIM_400000_NS6detail17trampoline_kernelINS0_13select_configILj256ELj13ELNS0_17block_load_methodE3ELS4_3ELS4_3ELNS0_20block_scan_algorithmE0ELj4294967295EEENS1_25partition_config_selectorILNS1_17partition_subalgoE3EjNS0_10empty_typeEbEEZZNS1_14partition_implILS8_3ELb0ES6_jNS0_17counting_iteratorIjlEEPS9_SE_NS0_5tupleIJPjSE_EEENSF_IJSE_SE_EEES9_SG_JZNS1_25segmented_radix_sort_implINS0_14default_configELb0EPKdPdPKlPlN2at6native12_GLOBAL__N_18offset_tEEE10hipError_tPvRmT1_PNSt15iterator_traitsISY_E10value_typeET2_T3_PNSZ_IS14_E10value_typeET4_jRbjT5_S1A_jjP12ihipStream_tbEUljE_EEESV_SW_SX_S14_S18_S1A_T6_T7_T9_mT8_S1C_bDpT10_ENKUlT_T0_E_clISt17integral_constantIbLb1EES1O_IbLb0EEEEDaS1K_S1L_EUlS1K_E_NS1_11comp_targetILNS1_3genE8ELNS1_11target_archE1030ELNS1_3gpuE2ELNS1_3repE0EEENS1_30default_config_static_selectorELNS0_4arch9wavefront6targetE0EEEvSY_, .Lfunc_end1212-_ZN7rocprim17ROCPRIM_400000_NS6detail17trampoline_kernelINS0_13select_configILj256ELj13ELNS0_17block_load_methodE3ELS4_3ELS4_3ELNS0_20block_scan_algorithmE0ELj4294967295EEENS1_25partition_config_selectorILNS1_17partition_subalgoE3EjNS0_10empty_typeEbEEZZNS1_14partition_implILS8_3ELb0ES6_jNS0_17counting_iteratorIjlEEPS9_SE_NS0_5tupleIJPjSE_EEENSF_IJSE_SE_EEES9_SG_JZNS1_25segmented_radix_sort_implINS0_14default_configELb0EPKdPdPKlPlN2at6native12_GLOBAL__N_18offset_tEEE10hipError_tPvRmT1_PNSt15iterator_traitsISY_E10value_typeET2_T3_PNSZ_IS14_E10value_typeET4_jRbjT5_S1A_jjP12ihipStream_tbEUljE_EEESV_SW_SX_S14_S18_S1A_T6_T7_T9_mT8_S1C_bDpT10_ENKUlT_T0_E_clISt17integral_constantIbLb1EES1O_IbLb0EEEEDaS1K_S1L_EUlS1K_E_NS1_11comp_targetILNS1_3genE8ELNS1_11target_archE1030ELNS1_3gpuE2ELNS1_3repE0EEENS1_30default_config_static_selectorELNS0_4arch9wavefront6targetE0EEEvSY_
                                        ; -- End function
	.section	.AMDGPU.csdata,"",@progbits
; Kernel info:
; codeLenInByte = 0
; NumSgprs: 0
; NumVgprs: 0
; ScratchSize: 0
; MemoryBound: 0
; FloatMode: 240
; IeeeMode: 1
; LDSByteSize: 0 bytes/workgroup (compile time only)
; SGPRBlocks: 0
; VGPRBlocks: 0
; NumSGPRsForWavesPerEU: 1
; NumVGPRsForWavesPerEU: 1
; Occupancy: 16
; WaveLimiterHint : 0
; COMPUTE_PGM_RSRC2:SCRATCH_EN: 0
; COMPUTE_PGM_RSRC2:USER_SGPR: 15
; COMPUTE_PGM_RSRC2:TRAP_HANDLER: 0
; COMPUTE_PGM_RSRC2:TGID_X_EN: 1
; COMPUTE_PGM_RSRC2:TGID_Y_EN: 0
; COMPUTE_PGM_RSRC2:TGID_Z_EN: 0
; COMPUTE_PGM_RSRC2:TIDIG_COMP_CNT: 0
	.section	.text._ZN7rocprim17ROCPRIM_400000_NS6detail17trampoline_kernelINS0_13select_configILj256ELj13ELNS0_17block_load_methodE3ELS4_3ELS4_3ELNS0_20block_scan_algorithmE0ELj4294967295EEENS1_25partition_config_selectorILNS1_17partition_subalgoE3EjNS0_10empty_typeEbEEZZNS1_14partition_implILS8_3ELb0ES6_jNS0_17counting_iteratorIjlEEPS9_SE_NS0_5tupleIJPjSE_EEENSF_IJSE_SE_EEES9_SG_JZNS1_25segmented_radix_sort_implINS0_14default_configELb0EPKdPdPKlPlN2at6native12_GLOBAL__N_18offset_tEEE10hipError_tPvRmT1_PNSt15iterator_traitsISY_E10value_typeET2_T3_PNSZ_IS14_E10value_typeET4_jRbjT5_S1A_jjP12ihipStream_tbEUljE_EEESV_SW_SX_S14_S18_S1A_T6_T7_T9_mT8_S1C_bDpT10_ENKUlT_T0_E_clISt17integral_constantIbLb0EES1O_IbLb1EEEEDaS1K_S1L_EUlS1K_E_NS1_11comp_targetILNS1_3genE0ELNS1_11target_archE4294967295ELNS1_3gpuE0ELNS1_3repE0EEENS1_30default_config_static_selectorELNS0_4arch9wavefront6targetE0EEEvSY_,"axG",@progbits,_ZN7rocprim17ROCPRIM_400000_NS6detail17trampoline_kernelINS0_13select_configILj256ELj13ELNS0_17block_load_methodE3ELS4_3ELS4_3ELNS0_20block_scan_algorithmE0ELj4294967295EEENS1_25partition_config_selectorILNS1_17partition_subalgoE3EjNS0_10empty_typeEbEEZZNS1_14partition_implILS8_3ELb0ES6_jNS0_17counting_iteratorIjlEEPS9_SE_NS0_5tupleIJPjSE_EEENSF_IJSE_SE_EEES9_SG_JZNS1_25segmented_radix_sort_implINS0_14default_configELb0EPKdPdPKlPlN2at6native12_GLOBAL__N_18offset_tEEE10hipError_tPvRmT1_PNSt15iterator_traitsISY_E10value_typeET2_T3_PNSZ_IS14_E10value_typeET4_jRbjT5_S1A_jjP12ihipStream_tbEUljE_EEESV_SW_SX_S14_S18_S1A_T6_T7_T9_mT8_S1C_bDpT10_ENKUlT_T0_E_clISt17integral_constantIbLb0EES1O_IbLb1EEEEDaS1K_S1L_EUlS1K_E_NS1_11comp_targetILNS1_3genE0ELNS1_11target_archE4294967295ELNS1_3gpuE0ELNS1_3repE0EEENS1_30default_config_static_selectorELNS0_4arch9wavefront6targetE0EEEvSY_,comdat
	.globl	_ZN7rocprim17ROCPRIM_400000_NS6detail17trampoline_kernelINS0_13select_configILj256ELj13ELNS0_17block_load_methodE3ELS4_3ELS4_3ELNS0_20block_scan_algorithmE0ELj4294967295EEENS1_25partition_config_selectorILNS1_17partition_subalgoE3EjNS0_10empty_typeEbEEZZNS1_14partition_implILS8_3ELb0ES6_jNS0_17counting_iteratorIjlEEPS9_SE_NS0_5tupleIJPjSE_EEENSF_IJSE_SE_EEES9_SG_JZNS1_25segmented_radix_sort_implINS0_14default_configELb0EPKdPdPKlPlN2at6native12_GLOBAL__N_18offset_tEEE10hipError_tPvRmT1_PNSt15iterator_traitsISY_E10value_typeET2_T3_PNSZ_IS14_E10value_typeET4_jRbjT5_S1A_jjP12ihipStream_tbEUljE_EEESV_SW_SX_S14_S18_S1A_T6_T7_T9_mT8_S1C_bDpT10_ENKUlT_T0_E_clISt17integral_constantIbLb0EES1O_IbLb1EEEEDaS1K_S1L_EUlS1K_E_NS1_11comp_targetILNS1_3genE0ELNS1_11target_archE4294967295ELNS1_3gpuE0ELNS1_3repE0EEENS1_30default_config_static_selectorELNS0_4arch9wavefront6targetE0EEEvSY_ ; -- Begin function _ZN7rocprim17ROCPRIM_400000_NS6detail17trampoline_kernelINS0_13select_configILj256ELj13ELNS0_17block_load_methodE3ELS4_3ELS4_3ELNS0_20block_scan_algorithmE0ELj4294967295EEENS1_25partition_config_selectorILNS1_17partition_subalgoE3EjNS0_10empty_typeEbEEZZNS1_14partition_implILS8_3ELb0ES6_jNS0_17counting_iteratorIjlEEPS9_SE_NS0_5tupleIJPjSE_EEENSF_IJSE_SE_EEES9_SG_JZNS1_25segmented_radix_sort_implINS0_14default_configELb0EPKdPdPKlPlN2at6native12_GLOBAL__N_18offset_tEEE10hipError_tPvRmT1_PNSt15iterator_traitsISY_E10value_typeET2_T3_PNSZ_IS14_E10value_typeET4_jRbjT5_S1A_jjP12ihipStream_tbEUljE_EEESV_SW_SX_S14_S18_S1A_T6_T7_T9_mT8_S1C_bDpT10_ENKUlT_T0_E_clISt17integral_constantIbLb0EES1O_IbLb1EEEEDaS1K_S1L_EUlS1K_E_NS1_11comp_targetILNS1_3genE0ELNS1_11target_archE4294967295ELNS1_3gpuE0ELNS1_3repE0EEENS1_30default_config_static_selectorELNS0_4arch9wavefront6targetE0EEEvSY_
	.p2align	8
	.type	_ZN7rocprim17ROCPRIM_400000_NS6detail17trampoline_kernelINS0_13select_configILj256ELj13ELNS0_17block_load_methodE3ELS4_3ELS4_3ELNS0_20block_scan_algorithmE0ELj4294967295EEENS1_25partition_config_selectorILNS1_17partition_subalgoE3EjNS0_10empty_typeEbEEZZNS1_14partition_implILS8_3ELb0ES6_jNS0_17counting_iteratorIjlEEPS9_SE_NS0_5tupleIJPjSE_EEENSF_IJSE_SE_EEES9_SG_JZNS1_25segmented_radix_sort_implINS0_14default_configELb0EPKdPdPKlPlN2at6native12_GLOBAL__N_18offset_tEEE10hipError_tPvRmT1_PNSt15iterator_traitsISY_E10value_typeET2_T3_PNSZ_IS14_E10value_typeET4_jRbjT5_S1A_jjP12ihipStream_tbEUljE_EEESV_SW_SX_S14_S18_S1A_T6_T7_T9_mT8_S1C_bDpT10_ENKUlT_T0_E_clISt17integral_constantIbLb0EES1O_IbLb1EEEEDaS1K_S1L_EUlS1K_E_NS1_11comp_targetILNS1_3genE0ELNS1_11target_archE4294967295ELNS1_3gpuE0ELNS1_3repE0EEENS1_30default_config_static_selectorELNS0_4arch9wavefront6targetE0EEEvSY_,@function
_ZN7rocprim17ROCPRIM_400000_NS6detail17trampoline_kernelINS0_13select_configILj256ELj13ELNS0_17block_load_methodE3ELS4_3ELS4_3ELNS0_20block_scan_algorithmE0ELj4294967295EEENS1_25partition_config_selectorILNS1_17partition_subalgoE3EjNS0_10empty_typeEbEEZZNS1_14partition_implILS8_3ELb0ES6_jNS0_17counting_iteratorIjlEEPS9_SE_NS0_5tupleIJPjSE_EEENSF_IJSE_SE_EEES9_SG_JZNS1_25segmented_radix_sort_implINS0_14default_configELb0EPKdPdPKlPlN2at6native12_GLOBAL__N_18offset_tEEE10hipError_tPvRmT1_PNSt15iterator_traitsISY_E10value_typeET2_T3_PNSZ_IS14_E10value_typeET4_jRbjT5_S1A_jjP12ihipStream_tbEUljE_EEESV_SW_SX_S14_S18_S1A_T6_T7_T9_mT8_S1C_bDpT10_ENKUlT_T0_E_clISt17integral_constantIbLb0EES1O_IbLb1EEEEDaS1K_S1L_EUlS1K_E_NS1_11comp_targetILNS1_3genE0ELNS1_11target_archE4294967295ELNS1_3gpuE0ELNS1_3repE0EEENS1_30default_config_static_selectorELNS0_4arch9wavefront6targetE0EEEvSY_: ; @_ZN7rocprim17ROCPRIM_400000_NS6detail17trampoline_kernelINS0_13select_configILj256ELj13ELNS0_17block_load_methodE3ELS4_3ELS4_3ELNS0_20block_scan_algorithmE0ELj4294967295EEENS1_25partition_config_selectorILNS1_17partition_subalgoE3EjNS0_10empty_typeEbEEZZNS1_14partition_implILS8_3ELb0ES6_jNS0_17counting_iteratorIjlEEPS9_SE_NS0_5tupleIJPjSE_EEENSF_IJSE_SE_EEES9_SG_JZNS1_25segmented_radix_sort_implINS0_14default_configELb0EPKdPdPKlPlN2at6native12_GLOBAL__N_18offset_tEEE10hipError_tPvRmT1_PNSt15iterator_traitsISY_E10value_typeET2_T3_PNSZ_IS14_E10value_typeET4_jRbjT5_S1A_jjP12ihipStream_tbEUljE_EEESV_SW_SX_S14_S18_S1A_T6_T7_T9_mT8_S1C_bDpT10_ENKUlT_T0_E_clISt17integral_constantIbLb0EES1O_IbLb1EEEEDaS1K_S1L_EUlS1K_E_NS1_11comp_targetILNS1_3genE0ELNS1_11target_archE4294967295ELNS1_3gpuE0ELNS1_3repE0EEENS1_30default_config_static_selectorELNS0_4arch9wavefront6targetE0EEEvSY_
; %bb.0:
	.section	.rodata,"a",@progbits
	.p2align	6, 0x0
	.amdhsa_kernel _ZN7rocprim17ROCPRIM_400000_NS6detail17trampoline_kernelINS0_13select_configILj256ELj13ELNS0_17block_load_methodE3ELS4_3ELS4_3ELNS0_20block_scan_algorithmE0ELj4294967295EEENS1_25partition_config_selectorILNS1_17partition_subalgoE3EjNS0_10empty_typeEbEEZZNS1_14partition_implILS8_3ELb0ES6_jNS0_17counting_iteratorIjlEEPS9_SE_NS0_5tupleIJPjSE_EEENSF_IJSE_SE_EEES9_SG_JZNS1_25segmented_radix_sort_implINS0_14default_configELb0EPKdPdPKlPlN2at6native12_GLOBAL__N_18offset_tEEE10hipError_tPvRmT1_PNSt15iterator_traitsISY_E10value_typeET2_T3_PNSZ_IS14_E10value_typeET4_jRbjT5_S1A_jjP12ihipStream_tbEUljE_EEESV_SW_SX_S14_S18_S1A_T6_T7_T9_mT8_S1C_bDpT10_ENKUlT_T0_E_clISt17integral_constantIbLb0EES1O_IbLb1EEEEDaS1K_S1L_EUlS1K_E_NS1_11comp_targetILNS1_3genE0ELNS1_11target_archE4294967295ELNS1_3gpuE0ELNS1_3repE0EEENS1_30default_config_static_selectorELNS0_4arch9wavefront6targetE0EEEvSY_
		.amdhsa_group_segment_fixed_size 0
		.amdhsa_private_segment_fixed_size 0
		.amdhsa_kernarg_size 152
		.amdhsa_user_sgpr_count 15
		.amdhsa_user_sgpr_dispatch_ptr 0
		.amdhsa_user_sgpr_queue_ptr 0
		.amdhsa_user_sgpr_kernarg_segment_ptr 1
		.amdhsa_user_sgpr_dispatch_id 0
		.amdhsa_user_sgpr_private_segment_size 0
		.amdhsa_wavefront_size32 1
		.amdhsa_uses_dynamic_stack 0
		.amdhsa_enable_private_segment 0
		.amdhsa_system_sgpr_workgroup_id_x 1
		.amdhsa_system_sgpr_workgroup_id_y 0
		.amdhsa_system_sgpr_workgroup_id_z 0
		.amdhsa_system_sgpr_workgroup_info 0
		.amdhsa_system_vgpr_workitem_id 0
		.amdhsa_next_free_vgpr 1
		.amdhsa_next_free_sgpr 1
		.amdhsa_reserve_vcc 0
		.amdhsa_float_round_mode_32 0
		.amdhsa_float_round_mode_16_64 0
		.amdhsa_float_denorm_mode_32 3
		.amdhsa_float_denorm_mode_16_64 3
		.amdhsa_dx10_clamp 1
		.amdhsa_ieee_mode 1
		.amdhsa_fp16_overflow 0
		.amdhsa_workgroup_processor_mode 1
		.amdhsa_memory_ordered 1
		.amdhsa_forward_progress 0
		.amdhsa_shared_vgpr_count 0
		.amdhsa_exception_fp_ieee_invalid_op 0
		.amdhsa_exception_fp_denorm_src 0
		.amdhsa_exception_fp_ieee_div_zero 0
		.amdhsa_exception_fp_ieee_overflow 0
		.amdhsa_exception_fp_ieee_underflow 0
		.amdhsa_exception_fp_ieee_inexact 0
		.amdhsa_exception_int_div_zero 0
	.end_amdhsa_kernel
	.section	.text._ZN7rocprim17ROCPRIM_400000_NS6detail17trampoline_kernelINS0_13select_configILj256ELj13ELNS0_17block_load_methodE3ELS4_3ELS4_3ELNS0_20block_scan_algorithmE0ELj4294967295EEENS1_25partition_config_selectorILNS1_17partition_subalgoE3EjNS0_10empty_typeEbEEZZNS1_14partition_implILS8_3ELb0ES6_jNS0_17counting_iteratorIjlEEPS9_SE_NS0_5tupleIJPjSE_EEENSF_IJSE_SE_EEES9_SG_JZNS1_25segmented_radix_sort_implINS0_14default_configELb0EPKdPdPKlPlN2at6native12_GLOBAL__N_18offset_tEEE10hipError_tPvRmT1_PNSt15iterator_traitsISY_E10value_typeET2_T3_PNSZ_IS14_E10value_typeET4_jRbjT5_S1A_jjP12ihipStream_tbEUljE_EEESV_SW_SX_S14_S18_S1A_T6_T7_T9_mT8_S1C_bDpT10_ENKUlT_T0_E_clISt17integral_constantIbLb0EES1O_IbLb1EEEEDaS1K_S1L_EUlS1K_E_NS1_11comp_targetILNS1_3genE0ELNS1_11target_archE4294967295ELNS1_3gpuE0ELNS1_3repE0EEENS1_30default_config_static_selectorELNS0_4arch9wavefront6targetE0EEEvSY_,"axG",@progbits,_ZN7rocprim17ROCPRIM_400000_NS6detail17trampoline_kernelINS0_13select_configILj256ELj13ELNS0_17block_load_methodE3ELS4_3ELS4_3ELNS0_20block_scan_algorithmE0ELj4294967295EEENS1_25partition_config_selectorILNS1_17partition_subalgoE3EjNS0_10empty_typeEbEEZZNS1_14partition_implILS8_3ELb0ES6_jNS0_17counting_iteratorIjlEEPS9_SE_NS0_5tupleIJPjSE_EEENSF_IJSE_SE_EEES9_SG_JZNS1_25segmented_radix_sort_implINS0_14default_configELb0EPKdPdPKlPlN2at6native12_GLOBAL__N_18offset_tEEE10hipError_tPvRmT1_PNSt15iterator_traitsISY_E10value_typeET2_T3_PNSZ_IS14_E10value_typeET4_jRbjT5_S1A_jjP12ihipStream_tbEUljE_EEESV_SW_SX_S14_S18_S1A_T6_T7_T9_mT8_S1C_bDpT10_ENKUlT_T0_E_clISt17integral_constantIbLb0EES1O_IbLb1EEEEDaS1K_S1L_EUlS1K_E_NS1_11comp_targetILNS1_3genE0ELNS1_11target_archE4294967295ELNS1_3gpuE0ELNS1_3repE0EEENS1_30default_config_static_selectorELNS0_4arch9wavefront6targetE0EEEvSY_,comdat
.Lfunc_end1213:
	.size	_ZN7rocprim17ROCPRIM_400000_NS6detail17trampoline_kernelINS0_13select_configILj256ELj13ELNS0_17block_load_methodE3ELS4_3ELS4_3ELNS0_20block_scan_algorithmE0ELj4294967295EEENS1_25partition_config_selectorILNS1_17partition_subalgoE3EjNS0_10empty_typeEbEEZZNS1_14partition_implILS8_3ELb0ES6_jNS0_17counting_iteratorIjlEEPS9_SE_NS0_5tupleIJPjSE_EEENSF_IJSE_SE_EEES9_SG_JZNS1_25segmented_radix_sort_implINS0_14default_configELb0EPKdPdPKlPlN2at6native12_GLOBAL__N_18offset_tEEE10hipError_tPvRmT1_PNSt15iterator_traitsISY_E10value_typeET2_T3_PNSZ_IS14_E10value_typeET4_jRbjT5_S1A_jjP12ihipStream_tbEUljE_EEESV_SW_SX_S14_S18_S1A_T6_T7_T9_mT8_S1C_bDpT10_ENKUlT_T0_E_clISt17integral_constantIbLb0EES1O_IbLb1EEEEDaS1K_S1L_EUlS1K_E_NS1_11comp_targetILNS1_3genE0ELNS1_11target_archE4294967295ELNS1_3gpuE0ELNS1_3repE0EEENS1_30default_config_static_selectorELNS0_4arch9wavefront6targetE0EEEvSY_, .Lfunc_end1213-_ZN7rocprim17ROCPRIM_400000_NS6detail17trampoline_kernelINS0_13select_configILj256ELj13ELNS0_17block_load_methodE3ELS4_3ELS4_3ELNS0_20block_scan_algorithmE0ELj4294967295EEENS1_25partition_config_selectorILNS1_17partition_subalgoE3EjNS0_10empty_typeEbEEZZNS1_14partition_implILS8_3ELb0ES6_jNS0_17counting_iteratorIjlEEPS9_SE_NS0_5tupleIJPjSE_EEENSF_IJSE_SE_EEES9_SG_JZNS1_25segmented_radix_sort_implINS0_14default_configELb0EPKdPdPKlPlN2at6native12_GLOBAL__N_18offset_tEEE10hipError_tPvRmT1_PNSt15iterator_traitsISY_E10value_typeET2_T3_PNSZ_IS14_E10value_typeET4_jRbjT5_S1A_jjP12ihipStream_tbEUljE_EEESV_SW_SX_S14_S18_S1A_T6_T7_T9_mT8_S1C_bDpT10_ENKUlT_T0_E_clISt17integral_constantIbLb0EES1O_IbLb1EEEEDaS1K_S1L_EUlS1K_E_NS1_11comp_targetILNS1_3genE0ELNS1_11target_archE4294967295ELNS1_3gpuE0ELNS1_3repE0EEENS1_30default_config_static_selectorELNS0_4arch9wavefront6targetE0EEEvSY_
                                        ; -- End function
	.section	.AMDGPU.csdata,"",@progbits
; Kernel info:
; codeLenInByte = 0
; NumSgprs: 0
; NumVgprs: 0
; ScratchSize: 0
; MemoryBound: 0
; FloatMode: 240
; IeeeMode: 1
; LDSByteSize: 0 bytes/workgroup (compile time only)
; SGPRBlocks: 0
; VGPRBlocks: 0
; NumSGPRsForWavesPerEU: 1
; NumVGPRsForWavesPerEU: 1
; Occupancy: 16
; WaveLimiterHint : 0
; COMPUTE_PGM_RSRC2:SCRATCH_EN: 0
; COMPUTE_PGM_RSRC2:USER_SGPR: 15
; COMPUTE_PGM_RSRC2:TRAP_HANDLER: 0
; COMPUTE_PGM_RSRC2:TGID_X_EN: 1
; COMPUTE_PGM_RSRC2:TGID_Y_EN: 0
; COMPUTE_PGM_RSRC2:TGID_Z_EN: 0
; COMPUTE_PGM_RSRC2:TIDIG_COMP_CNT: 0
	.section	.text._ZN7rocprim17ROCPRIM_400000_NS6detail17trampoline_kernelINS0_13select_configILj256ELj13ELNS0_17block_load_methodE3ELS4_3ELS4_3ELNS0_20block_scan_algorithmE0ELj4294967295EEENS1_25partition_config_selectorILNS1_17partition_subalgoE3EjNS0_10empty_typeEbEEZZNS1_14partition_implILS8_3ELb0ES6_jNS0_17counting_iteratorIjlEEPS9_SE_NS0_5tupleIJPjSE_EEENSF_IJSE_SE_EEES9_SG_JZNS1_25segmented_radix_sort_implINS0_14default_configELb0EPKdPdPKlPlN2at6native12_GLOBAL__N_18offset_tEEE10hipError_tPvRmT1_PNSt15iterator_traitsISY_E10value_typeET2_T3_PNSZ_IS14_E10value_typeET4_jRbjT5_S1A_jjP12ihipStream_tbEUljE_EEESV_SW_SX_S14_S18_S1A_T6_T7_T9_mT8_S1C_bDpT10_ENKUlT_T0_E_clISt17integral_constantIbLb0EES1O_IbLb1EEEEDaS1K_S1L_EUlS1K_E_NS1_11comp_targetILNS1_3genE5ELNS1_11target_archE942ELNS1_3gpuE9ELNS1_3repE0EEENS1_30default_config_static_selectorELNS0_4arch9wavefront6targetE0EEEvSY_,"axG",@progbits,_ZN7rocprim17ROCPRIM_400000_NS6detail17trampoline_kernelINS0_13select_configILj256ELj13ELNS0_17block_load_methodE3ELS4_3ELS4_3ELNS0_20block_scan_algorithmE0ELj4294967295EEENS1_25partition_config_selectorILNS1_17partition_subalgoE3EjNS0_10empty_typeEbEEZZNS1_14partition_implILS8_3ELb0ES6_jNS0_17counting_iteratorIjlEEPS9_SE_NS0_5tupleIJPjSE_EEENSF_IJSE_SE_EEES9_SG_JZNS1_25segmented_radix_sort_implINS0_14default_configELb0EPKdPdPKlPlN2at6native12_GLOBAL__N_18offset_tEEE10hipError_tPvRmT1_PNSt15iterator_traitsISY_E10value_typeET2_T3_PNSZ_IS14_E10value_typeET4_jRbjT5_S1A_jjP12ihipStream_tbEUljE_EEESV_SW_SX_S14_S18_S1A_T6_T7_T9_mT8_S1C_bDpT10_ENKUlT_T0_E_clISt17integral_constantIbLb0EES1O_IbLb1EEEEDaS1K_S1L_EUlS1K_E_NS1_11comp_targetILNS1_3genE5ELNS1_11target_archE942ELNS1_3gpuE9ELNS1_3repE0EEENS1_30default_config_static_selectorELNS0_4arch9wavefront6targetE0EEEvSY_,comdat
	.globl	_ZN7rocprim17ROCPRIM_400000_NS6detail17trampoline_kernelINS0_13select_configILj256ELj13ELNS0_17block_load_methodE3ELS4_3ELS4_3ELNS0_20block_scan_algorithmE0ELj4294967295EEENS1_25partition_config_selectorILNS1_17partition_subalgoE3EjNS0_10empty_typeEbEEZZNS1_14partition_implILS8_3ELb0ES6_jNS0_17counting_iteratorIjlEEPS9_SE_NS0_5tupleIJPjSE_EEENSF_IJSE_SE_EEES9_SG_JZNS1_25segmented_radix_sort_implINS0_14default_configELb0EPKdPdPKlPlN2at6native12_GLOBAL__N_18offset_tEEE10hipError_tPvRmT1_PNSt15iterator_traitsISY_E10value_typeET2_T3_PNSZ_IS14_E10value_typeET4_jRbjT5_S1A_jjP12ihipStream_tbEUljE_EEESV_SW_SX_S14_S18_S1A_T6_T7_T9_mT8_S1C_bDpT10_ENKUlT_T0_E_clISt17integral_constantIbLb0EES1O_IbLb1EEEEDaS1K_S1L_EUlS1K_E_NS1_11comp_targetILNS1_3genE5ELNS1_11target_archE942ELNS1_3gpuE9ELNS1_3repE0EEENS1_30default_config_static_selectorELNS0_4arch9wavefront6targetE0EEEvSY_ ; -- Begin function _ZN7rocprim17ROCPRIM_400000_NS6detail17trampoline_kernelINS0_13select_configILj256ELj13ELNS0_17block_load_methodE3ELS4_3ELS4_3ELNS0_20block_scan_algorithmE0ELj4294967295EEENS1_25partition_config_selectorILNS1_17partition_subalgoE3EjNS0_10empty_typeEbEEZZNS1_14partition_implILS8_3ELb0ES6_jNS0_17counting_iteratorIjlEEPS9_SE_NS0_5tupleIJPjSE_EEENSF_IJSE_SE_EEES9_SG_JZNS1_25segmented_radix_sort_implINS0_14default_configELb0EPKdPdPKlPlN2at6native12_GLOBAL__N_18offset_tEEE10hipError_tPvRmT1_PNSt15iterator_traitsISY_E10value_typeET2_T3_PNSZ_IS14_E10value_typeET4_jRbjT5_S1A_jjP12ihipStream_tbEUljE_EEESV_SW_SX_S14_S18_S1A_T6_T7_T9_mT8_S1C_bDpT10_ENKUlT_T0_E_clISt17integral_constantIbLb0EES1O_IbLb1EEEEDaS1K_S1L_EUlS1K_E_NS1_11comp_targetILNS1_3genE5ELNS1_11target_archE942ELNS1_3gpuE9ELNS1_3repE0EEENS1_30default_config_static_selectorELNS0_4arch9wavefront6targetE0EEEvSY_
	.p2align	8
	.type	_ZN7rocprim17ROCPRIM_400000_NS6detail17trampoline_kernelINS0_13select_configILj256ELj13ELNS0_17block_load_methodE3ELS4_3ELS4_3ELNS0_20block_scan_algorithmE0ELj4294967295EEENS1_25partition_config_selectorILNS1_17partition_subalgoE3EjNS0_10empty_typeEbEEZZNS1_14partition_implILS8_3ELb0ES6_jNS0_17counting_iteratorIjlEEPS9_SE_NS0_5tupleIJPjSE_EEENSF_IJSE_SE_EEES9_SG_JZNS1_25segmented_radix_sort_implINS0_14default_configELb0EPKdPdPKlPlN2at6native12_GLOBAL__N_18offset_tEEE10hipError_tPvRmT1_PNSt15iterator_traitsISY_E10value_typeET2_T3_PNSZ_IS14_E10value_typeET4_jRbjT5_S1A_jjP12ihipStream_tbEUljE_EEESV_SW_SX_S14_S18_S1A_T6_T7_T9_mT8_S1C_bDpT10_ENKUlT_T0_E_clISt17integral_constantIbLb0EES1O_IbLb1EEEEDaS1K_S1L_EUlS1K_E_NS1_11comp_targetILNS1_3genE5ELNS1_11target_archE942ELNS1_3gpuE9ELNS1_3repE0EEENS1_30default_config_static_selectorELNS0_4arch9wavefront6targetE0EEEvSY_,@function
_ZN7rocprim17ROCPRIM_400000_NS6detail17trampoline_kernelINS0_13select_configILj256ELj13ELNS0_17block_load_methodE3ELS4_3ELS4_3ELNS0_20block_scan_algorithmE0ELj4294967295EEENS1_25partition_config_selectorILNS1_17partition_subalgoE3EjNS0_10empty_typeEbEEZZNS1_14partition_implILS8_3ELb0ES6_jNS0_17counting_iteratorIjlEEPS9_SE_NS0_5tupleIJPjSE_EEENSF_IJSE_SE_EEES9_SG_JZNS1_25segmented_radix_sort_implINS0_14default_configELb0EPKdPdPKlPlN2at6native12_GLOBAL__N_18offset_tEEE10hipError_tPvRmT1_PNSt15iterator_traitsISY_E10value_typeET2_T3_PNSZ_IS14_E10value_typeET4_jRbjT5_S1A_jjP12ihipStream_tbEUljE_EEESV_SW_SX_S14_S18_S1A_T6_T7_T9_mT8_S1C_bDpT10_ENKUlT_T0_E_clISt17integral_constantIbLb0EES1O_IbLb1EEEEDaS1K_S1L_EUlS1K_E_NS1_11comp_targetILNS1_3genE5ELNS1_11target_archE942ELNS1_3gpuE9ELNS1_3repE0EEENS1_30default_config_static_selectorELNS0_4arch9wavefront6targetE0EEEvSY_: ; @_ZN7rocprim17ROCPRIM_400000_NS6detail17trampoline_kernelINS0_13select_configILj256ELj13ELNS0_17block_load_methodE3ELS4_3ELS4_3ELNS0_20block_scan_algorithmE0ELj4294967295EEENS1_25partition_config_selectorILNS1_17partition_subalgoE3EjNS0_10empty_typeEbEEZZNS1_14partition_implILS8_3ELb0ES6_jNS0_17counting_iteratorIjlEEPS9_SE_NS0_5tupleIJPjSE_EEENSF_IJSE_SE_EEES9_SG_JZNS1_25segmented_radix_sort_implINS0_14default_configELb0EPKdPdPKlPlN2at6native12_GLOBAL__N_18offset_tEEE10hipError_tPvRmT1_PNSt15iterator_traitsISY_E10value_typeET2_T3_PNSZ_IS14_E10value_typeET4_jRbjT5_S1A_jjP12ihipStream_tbEUljE_EEESV_SW_SX_S14_S18_S1A_T6_T7_T9_mT8_S1C_bDpT10_ENKUlT_T0_E_clISt17integral_constantIbLb0EES1O_IbLb1EEEEDaS1K_S1L_EUlS1K_E_NS1_11comp_targetILNS1_3genE5ELNS1_11target_archE942ELNS1_3gpuE9ELNS1_3repE0EEENS1_30default_config_static_selectorELNS0_4arch9wavefront6targetE0EEEvSY_
; %bb.0:
	.section	.rodata,"a",@progbits
	.p2align	6, 0x0
	.amdhsa_kernel _ZN7rocprim17ROCPRIM_400000_NS6detail17trampoline_kernelINS0_13select_configILj256ELj13ELNS0_17block_load_methodE3ELS4_3ELS4_3ELNS0_20block_scan_algorithmE0ELj4294967295EEENS1_25partition_config_selectorILNS1_17partition_subalgoE3EjNS0_10empty_typeEbEEZZNS1_14partition_implILS8_3ELb0ES6_jNS0_17counting_iteratorIjlEEPS9_SE_NS0_5tupleIJPjSE_EEENSF_IJSE_SE_EEES9_SG_JZNS1_25segmented_radix_sort_implINS0_14default_configELb0EPKdPdPKlPlN2at6native12_GLOBAL__N_18offset_tEEE10hipError_tPvRmT1_PNSt15iterator_traitsISY_E10value_typeET2_T3_PNSZ_IS14_E10value_typeET4_jRbjT5_S1A_jjP12ihipStream_tbEUljE_EEESV_SW_SX_S14_S18_S1A_T6_T7_T9_mT8_S1C_bDpT10_ENKUlT_T0_E_clISt17integral_constantIbLb0EES1O_IbLb1EEEEDaS1K_S1L_EUlS1K_E_NS1_11comp_targetILNS1_3genE5ELNS1_11target_archE942ELNS1_3gpuE9ELNS1_3repE0EEENS1_30default_config_static_selectorELNS0_4arch9wavefront6targetE0EEEvSY_
		.amdhsa_group_segment_fixed_size 0
		.amdhsa_private_segment_fixed_size 0
		.amdhsa_kernarg_size 152
		.amdhsa_user_sgpr_count 15
		.amdhsa_user_sgpr_dispatch_ptr 0
		.amdhsa_user_sgpr_queue_ptr 0
		.amdhsa_user_sgpr_kernarg_segment_ptr 1
		.amdhsa_user_sgpr_dispatch_id 0
		.amdhsa_user_sgpr_private_segment_size 0
		.amdhsa_wavefront_size32 1
		.amdhsa_uses_dynamic_stack 0
		.amdhsa_enable_private_segment 0
		.amdhsa_system_sgpr_workgroup_id_x 1
		.amdhsa_system_sgpr_workgroup_id_y 0
		.amdhsa_system_sgpr_workgroup_id_z 0
		.amdhsa_system_sgpr_workgroup_info 0
		.amdhsa_system_vgpr_workitem_id 0
		.amdhsa_next_free_vgpr 1
		.amdhsa_next_free_sgpr 1
		.amdhsa_reserve_vcc 0
		.amdhsa_float_round_mode_32 0
		.amdhsa_float_round_mode_16_64 0
		.amdhsa_float_denorm_mode_32 3
		.amdhsa_float_denorm_mode_16_64 3
		.amdhsa_dx10_clamp 1
		.amdhsa_ieee_mode 1
		.amdhsa_fp16_overflow 0
		.amdhsa_workgroup_processor_mode 1
		.amdhsa_memory_ordered 1
		.amdhsa_forward_progress 0
		.amdhsa_shared_vgpr_count 0
		.amdhsa_exception_fp_ieee_invalid_op 0
		.amdhsa_exception_fp_denorm_src 0
		.amdhsa_exception_fp_ieee_div_zero 0
		.amdhsa_exception_fp_ieee_overflow 0
		.amdhsa_exception_fp_ieee_underflow 0
		.amdhsa_exception_fp_ieee_inexact 0
		.amdhsa_exception_int_div_zero 0
	.end_amdhsa_kernel
	.section	.text._ZN7rocprim17ROCPRIM_400000_NS6detail17trampoline_kernelINS0_13select_configILj256ELj13ELNS0_17block_load_methodE3ELS4_3ELS4_3ELNS0_20block_scan_algorithmE0ELj4294967295EEENS1_25partition_config_selectorILNS1_17partition_subalgoE3EjNS0_10empty_typeEbEEZZNS1_14partition_implILS8_3ELb0ES6_jNS0_17counting_iteratorIjlEEPS9_SE_NS0_5tupleIJPjSE_EEENSF_IJSE_SE_EEES9_SG_JZNS1_25segmented_radix_sort_implINS0_14default_configELb0EPKdPdPKlPlN2at6native12_GLOBAL__N_18offset_tEEE10hipError_tPvRmT1_PNSt15iterator_traitsISY_E10value_typeET2_T3_PNSZ_IS14_E10value_typeET4_jRbjT5_S1A_jjP12ihipStream_tbEUljE_EEESV_SW_SX_S14_S18_S1A_T6_T7_T9_mT8_S1C_bDpT10_ENKUlT_T0_E_clISt17integral_constantIbLb0EES1O_IbLb1EEEEDaS1K_S1L_EUlS1K_E_NS1_11comp_targetILNS1_3genE5ELNS1_11target_archE942ELNS1_3gpuE9ELNS1_3repE0EEENS1_30default_config_static_selectorELNS0_4arch9wavefront6targetE0EEEvSY_,"axG",@progbits,_ZN7rocprim17ROCPRIM_400000_NS6detail17trampoline_kernelINS0_13select_configILj256ELj13ELNS0_17block_load_methodE3ELS4_3ELS4_3ELNS0_20block_scan_algorithmE0ELj4294967295EEENS1_25partition_config_selectorILNS1_17partition_subalgoE3EjNS0_10empty_typeEbEEZZNS1_14partition_implILS8_3ELb0ES6_jNS0_17counting_iteratorIjlEEPS9_SE_NS0_5tupleIJPjSE_EEENSF_IJSE_SE_EEES9_SG_JZNS1_25segmented_radix_sort_implINS0_14default_configELb0EPKdPdPKlPlN2at6native12_GLOBAL__N_18offset_tEEE10hipError_tPvRmT1_PNSt15iterator_traitsISY_E10value_typeET2_T3_PNSZ_IS14_E10value_typeET4_jRbjT5_S1A_jjP12ihipStream_tbEUljE_EEESV_SW_SX_S14_S18_S1A_T6_T7_T9_mT8_S1C_bDpT10_ENKUlT_T0_E_clISt17integral_constantIbLb0EES1O_IbLb1EEEEDaS1K_S1L_EUlS1K_E_NS1_11comp_targetILNS1_3genE5ELNS1_11target_archE942ELNS1_3gpuE9ELNS1_3repE0EEENS1_30default_config_static_selectorELNS0_4arch9wavefront6targetE0EEEvSY_,comdat
.Lfunc_end1214:
	.size	_ZN7rocprim17ROCPRIM_400000_NS6detail17trampoline_kernelINS0_13select_configILj256ELj13ELNS0_17block_load_methodE3ELS4_3ELS4_3ELNS0_20block_scan_algorithmE0ELj4294967295EEENS1_25partition_config_selectorILNS1_17partition_subalgoE3EjNS0_10empty_typeEbEEZZNS1_14partition_implILS8_3ELb0ES6_jNS0_17counting_iteratorIjlEEPS9_SE_NS0_5tupleIJPjSE_EEENSF_IJSE_SE_EEES9_SG_JZNS1_25segmented_radix_sort_implINS0_14default_configELb0EPKdPdPKlPlN2at6native12_GLOBAL__N_18offset_tEEE10hipError_tPvRmT1_PNSt15iterator_traitsISY_E10value_typeET2_T3_PNSZ_IS14_E10value_typeET4_jRbjT5_S1A_jjP12ihipStream_tbEUljE_EEESV_SW_SX_S14_S18_S1A_T6_T7_T9_mT8_S1C_bDpT10_ENKUlT_T0_E_clISt17integral_constantIbLb0EES1O_IbLb1EEEEDaS1K_S1L_EUlS1K_E_NS1_11comp_targetILNS1_3genE5ELNS1_11target_archE942ELNS1_3gpuE9ELNS1_3repE0EEENS1_30default_config_static_selectorELNS0_4arch9wavefront6targetE0EEEvSY_, .Lfunc_end1214-_ZN7rocprim17ROCPRIM_400000_NS6detail17trampoline_kernelINS0_13select_configILj256ELj13ELNS0_17block_load_methodE3ELS4_3ELS4_3ELNS0_20block_scan_algorithmE0ELj4294967295EEENS1_25partition_config_selectorILNS1_17partition_subalgoE3EjNS0_10empty_typeEbEEZZNS1_14partition_implILS8_3ELb0ES6_jNS0_17counting_iteratorIjlEEPS9_SE_NS0_5tupleIJPjSE_EEENSF_IJSE_SE_EEES9_SG_JZNS1_25segmented_radix_sort_implINS0_14default_configELb0EPKdPdPKlPlN2at6native12_GLOBAL__N_18offset_tEEE10hipError_tPvRmT1_PNSt15iterator_traitsISY_E10value_typeET2_T3_PNSZ_IS14_E10value_typeET4_jRbjT5_S1A_jjP12ihipStream_tbEUljE_EEESV_SW_SX_S14_S18_S1A_T6_T7_T9_mT8_S1C_bDpT10_ENKUlT_T0_E_clISt17integral_constantIbLb0EES1O_IbLb1EEEEDaS1K_S1L_EUlS1K_E_NS1_11comp_targetILNS1_3genE5ELNS1_11target_archE942ELNS1_3gpuE9ELNS1_3repE0EEENS1_30default_config_static_selectorELNS0_4arch9wavefront6targetE0EEEvSY_
                                        ; -- End function
	.section	.AMDGPU.csdata,"",@progbits
; Kernel info:
; codeLenInByte = 0
; NumSgprs: 0
; NumVgprs: 0
; ScratchSize: 0
; MemoryBound: 0
; FloatMode: 240
; IeeeMode: 1
; LDSByteSize: 0 bytes/workgroup (compile time only)
; SGPRBlocks: 0
; VGPRBlocks: 0
; NumSGPRsForWavesPerEU: 1
; NumVGPRsForWavesPerEU: 1
; Occupancy: 16
; WaveLimiterHint : 0
; COMPUTE_PGM_RSRC2:SCRATCH_EN: 0
; COMPUTE_PGM_RSRC2:USER_SGPR: 15
; COMPUTE_PGM_RSRC2:TRAP_HANDLER: 0
; COMPUTE_PGM_RSRC2:TGID_X_EN: 1
; COMPUTE_PGM_RSRC2:TGID_Y_EN: 0
; COMPUTE_PGM_RSRC2:TGID_Z_EN: 0
; COMPUTE_PGM_RSRC2:TIDIG_COMP_CNT: 0
	.section	.text._ZN7rocprim17ROCPRIM_400000_NS6detail17trampoline_kernelINS0_13select_configILj256ELj13ELNS0_17block_load_methodE3ELS4_3ELS4_3ELNS0_20block_scan_algorithmE0ELj4294967295EEENS1_25partition_config_selectorILNS1_17partition_subalgoE3EjNS0_10empty_typeEbEEZZNS1_14partition_implILS8_3ELb0ES6_jNS0_17counting_iteratorIjlEEPS9_SE_NS0_5tupleIJPjSE_EEENSF_IJSE_SE_EEES9_SG_JZNS1_25segmented_radix_sort_implINS0_14default_configELb0EPKdPdPKlPlN2at6native12_GLOBAL__N_18offset_tEEE10hipError_tPvRmT1_PNSt15iterator_traitsISY_E10value_typeET2_T3_PNSZ_IS14_E10value_typeET4_jRbjT5_S1A_jjP12ihipStream_tbEUljE_EEESV_SW_SX_S14_S18_S1A_T6_T7_T9_mT8_S1C_bDpT10_ENKUlT_T0_E_clISt17integral_constantIbLb0EES1O_IbLb1EEEEDaS1K_S1L_EUlS1K_E_NS1_11comp_targetILNS1_3genE4ELNS1_11target_archE910ELNS1_3gpuE8ELNS1_3repE0EEENS1_30default_config_static_selectorELNS0_4arch9wavefront6targetE0EEEvSY_,"axG",@progbits,_ZN7rocprim17ROCPRIM_400000_NS6detail17trampoline_kernelINS0_13select_configILj256ELj13ELNS0_17block_load_methodE3ELS4_3ELS4_3ELNS0_20block_scan_algorithmE0ELj4294967295EEENS1_25partition_config_selectorILNS1_17partition_subalgoE3EjNS0_10empty_typeEbEEZZNS1_14partition_implILS8_3ELb0ES6_jNS0_17counting_iteratorIjlEEPS9_SE_NS0_5tupleIJPjSE_EEENSF_IJSE_SE_EEES9_SG_JZNS1_25segmented_radix_sort_implINS0_14default_configELb0EPKdPdPKlPlN2at6native12_GLOBAL__N_18offset_tEEE10hipError_tPvRmT1_PNSt15iterator_traitsISY_E10value_typeET2_T3_PNSZ_IS14_E10value_typeET4_jRbjT5_S1A_jjP12ihipStream_tbEUljE_EEESV_SW_SX_S14_S18_S1A_T6_T7_T9_mT8_S1C_bDpT10_ENKUlT_T0_E_clISt17integral_constantIbLb0EES1O_IbLb1EEEEDaS1K_S1L_EUlS1K_E_NS1_11comp_targetILNS1_3genE4ELNS1_11target_archE910ELNS1_3gpuE8ELNS1_3repE0EEENS1_30default_config_static_selectorELNS0_4arch9wavefront6targetE0EEEvSY_,comdat
	.globl	_ZN7rocprim17ROCPRIM_400000_NS6detail17trampoline_kernelINS0_13select_configILj256ELj13ELNS0_17block_load_methodE3ELS4_3ELS4_3ELNS0_20block_scan_algorithmE0ELj4294967295EEENS1_25partition_config_selectorILNS1_17partition_subalgoE3EjNS0_10empty_typeEbEEZZNS1_14partition_implILS8_3ELb0ES6_jNS0_17counting_iteratorIjlEEPS9_SE_NS0_5tupleIJPjSE_EEENSF_IJSE_SE_EEES9_SG_JZNS1_25segmented_radix_sort_implINS0_14default_configELb0EPKdPdPKlPlN2at6native12_GLOBAL__N_18offset_tEEE10hipError_tPvRmT1_PNSt15iterator_traitsISY_E10value_typeET2_T3_PNSZ_IS14_E10value_typeET4_jRbjT5_S1A_jjP12ihipStream_tbEUljE_EEESV_SW_SX_S14_S18_S1A_T6_T7_T9_mT8_S1C_bDpT10_ENKUlT_T0_E_clISt17integral_constantIbLb0EES1O_IbLb1EEEEDaS1K_S1L_EUlS1K_E_NS1_11comp_targetILNS1_3genE4ELNS1_11target_archE910ELNS1_3gpuE8ELNS1_3repE0EEENS1_30default_config_static_selectorELNS0_4arch9wavefront6targetE0EEEvSY_ ; -- Begin function _ZN7rocprim17ROCPRIM_400000_NS6detail17trampoline_kernelINS0_13select_configILj256ELj13ELNS0_17block_load_methodE3ELS4_3ELS4_3ELNS0_20block_scan_algorithmE0ELj4294967295EEENS1_25partition_config_selectorILNS1_17partition_subalgoE3EjNS0_10empty_typeEbEEZZNS1_14partition_implILS8_3ELb0ES6_jNS0_17counting_iteratorIjlEEPS9_SE_NS0_5tupleIJPjSE_EEENSF_IJSE_SE_EEES9_SG_JZNS1_25segmented_radix_sort_implINS0_14default_configELb0EPKdPdPKlPlN2at6native12_GLOBAL__N_18offset_tEEE10hipError_tPvRmT1_PNSt15iterator_traitsISY_E10value_typeET2_T3_PNSZ_IS14_E10value_typeET4_jRbjT5_S1A_jjP12ihipStream_tbEUljE_EEESV_SW_SX_S14_S18_S1A_T6_T7_T9_mT8_S1C_bDpT10_ENKUlT_T0_E_clISt17integral_constantIbLb0EES1O_IbLb1EEEEDaS1K_S1L_EUlS1K_E_NS1_11comp_targetILNS1_3genE4ELNS1_11target_archE910ELNS1_3gpuE8ELNS1_3repE0EEENS1_30default_config_static_selectorELNS0_4arch9wavefront6targetE0EEEvSY_
	.p2align	8
	.type	_ZN7rocprim17ROCPRIM_400000_NS6detail17trampoline_kernelINS0_13select_configILj256ELj13ELNS0_17block_load_methodE3ELS4_3ELS4_3ELNS0_20block_scan_algorithmE0ELj4294967295EEENS1_25partition_config_selectorILNS1_17partition_subalgoE3EjNS0_10empty_typeEbEEZZNS1_14partition_implILS8_3ELb0ES6_jNS0_17counting_iteratorIjlEEPS9_SE_NS0_5tupleIJPjSE_EEENSF_IJSE_SE_EEES9_SG_JZNS1_25segmented_radix_sort_implINS0_14default_configELb0EPKdPdPKlPlN2at6native12_GLOBAL__N_18offset_tEEE10hipError_tPvRmT1_PNSt15iterator_traitsISY_E10value_typeET2_T3_PNSZ_IS14_E10value_typeET4_jRbjT5_S1A_jjP12ihipStream_tbEUljE_EEESV_SW_SX_S14_S18_S1A_T6_T7_T9_mT8_S1C_bDpT10_ENKUlT_T0_E_clISt17integral_constantIbLb0EES1O_IbLb1EEEEDaS1K_S1L_EUlS1K_E_NS1_11comp_targetILNS1_3genE4ELNS1_11target_archE910ELNS1_3gpuE8ELNS1_3repE0EEENS1_30default_config_static_selectorELNS0_4arch9wavefront6targetE0EEEvSY_,@function
_ZN7rocprim17ROCPRIM_400000_NS6detail17trampoline_kernelINS0_13select_configILj256ELj13ELNS0_17block_load_methodE3ELS4_3ELS4_3ELNS0_20block_scan_algorithmE0ELj4294967295EEENS1_25partition_config_selectorILNS1_17partition_subalgoE3EjNS0_10empty_typeEbEEZZNS1_14partition_implILS8_3ELb0ES6_jNS0_17counting_iteratorIjlEEPS9_SE_NS0_5tupleIJPjSE_EEENSF_IJSE_SE_EEES9_SG_JZNS1_25segmented_radix_sort_implINS0_14default_configELb0EPKdPdPKlPlN2at6native12_GLOBAL__N_18offset_tEEE10hipError_tPvRmT1_PNSt15iterator_traitsISY_E10value_typeET2_T3_PNSZ_IS14_E10value_typeET4_jRbjT5_S1A_jjP12ihipStream_tbEUljE_EEESV_SW_SX_S14_S18_S1A_T6_T7_T9_mT8_S1C_bDpT10_ENKUlT_T0_E_clISt17integral_constantIbLb0EES1O_IbLb1EEEEDaS1K_S1L_EUlS1K_E_NS1_11comp_targetILNS1_3genE4ELNS1_11target_archE910ELNS1_3gpuE8ELNS1_3repE0EEENS1_30default_config_static_selectorELNS0_4arch9wavefront6targetE0EEEvSY_: ; @_ZN7rocprim17ROCPRIM_400000_NS6detail17trampoline_kernelINS0_13select_configILj256ELj13ELNS0_17block_load_methodE3ELS4_3ELS4_3ELNS0_20block_scan_algorithmE0ELj4294967295EEENS1_25partition_config_selectorILNS1_17partition_subalgoE3EjNS0_10empty_typeEbEEZZNS1_14partition_implILS8_3ELb0ES6_jNS0_17counting_iteratorIjlEEPS9_SE_NS0_5tupleIJPjSE_EEENSF_IJSE_SE_EEES9_SG_JZNS1_25segmented_radix_sort_implINS0_14default_configELb0EPKdPdPKlPlN2at6native12_GLOBAL__N_18offset_tEEE10hipError_tPvRmT1_PNSt15iterator_traitsISY_E10value_typeET2_T3_PNSZ_IS14_E10value_typeET4_jRbjT5_S1A_jjP12ihipStream_tbEUljE_EEESV_SW_SX_S14_S18_S1A_T6_T7_T9_mT8_S1C_bDpT10_ENKUlT_T0_E_clISt17integral_constantIbLb0EES1O_IbLb1EEEEDaS1K_S1L_EUlS1K_E_NS1_11comp_targetILNS1_3genE4ELNS1_11target_archE910ELNS1_3gpuE8ELNS1_3repE0EEENS1_30default_config_static_selectorELNS0_4arch9wavefront6targetE0EEEvSY_
; %bb.0:
	.section	.rodata,"a",@progbits
	.p2align	6, 0x0
	.amdhsa_kernel _ZN7rocprim17ROCPRIM_400000_NS6detail17trampoline_kernelINS0_13select_configILj256ELj13ELNS0_17block_load_methodE3ELS4_3ELS4_3ELNS0_20block_scan_algorithmE0ELj4294967295EEENS1_25partition_config_selectorILNS1_17partition_subalgoE3EjNS0_10empty_typeEbEEZZNS1_14partition_implILS8_3ELb0ES6_jNS0_17counting_iteratorIjlEEPS9_SE_NS0_5tupleIJPjSE_EEENSF_IJSE_SE_EEES9_SG_JZNS1_25segmented_radix_sort_implINS0_14default_configELb0EPKdPdPKlPlN2at6native12_GLOBAL__N_18offset_tEEE10hipError_tPvRmT1_PNSt15iterator_traitsISY_E10value_typeET2_T3_PNSZ_IS14_E10value_typeET4_jRbjT5_S1A_jjP12ihipStream_tbEUljE_EEESV_SW_SX_S14_S18_S1A_T6_T7_T9_mT8_S1C_bDpT10_ENKUlT_T0_E_clISt17integral_constantIbLb0EES1O_IbLb1EEEEDaS1K_S1L_EUlS1K_E_NS1_11comp_targetILNS1_3genE4ELNS1_11target_archE910ELNS1_3gpuE8ELNS1_3repE0EEENS1_30default_config_static_selectorELNS0_4arch9wavefront6targetE0EEEvSY_
		.amdhsa_group_segment_fixed_size 0
		.amdhsa_private_segment_fixed_size 0
		.amdhsa_kernarg_size 152
		.amdhsa_user_sgpr_count 15
		.amdhsa_user_sgpr_dispatch_ptr 0
		.amdhsa_user_sgpr_queue_ptr 0
		.amdhsa_user_sgpr_kernarg_segment_ptr 1
		.amdhsa_user_sgpr_dispatch_id 0
		.amdhsa_user_sgpr_private_segment_size 0
		.amdhsa_wavefront_size32 1
		.amdhsa_uses_dynamic_stack 0
		.amdhsa_enable_private_segment 0
		.amdhsa_system_sgpr_workgroup_id_x 1
		.amdhsa_system_sgpr_workgroup_id_y 0
		.amdhsa_system_sgpr_workgroup_id_z 0
		.amdhsa_system_sgpr_workgroup_info 0
		.amdhsa_system_vgpr_workitem_id 0
		.amdhsa_next_free_vgpr 1
		.amdhsa_next_free_sgpr 1
		.amdhsa_reserve_vcc 0
		.amdhsa_float_round_mode_32 0
		.amdhsa_float_round_mode_16_64 0
		.amdhsa_float_denorm_mode_32 3
		.amdhsa_float_denorm_mode_16_64 3
		.amdhsa_dx10_clamp 1
		.amdhsa_ieee_mode 1
		.amdhsa_fp16_overflow 0
		.amdhsa_workgroup_processor_mode 1
		.amdhsa_memory_ordered 1
		.amdhsa_forward_progress 0
		.amdhsa_shared_vgpr_count 0
		.amdhsa_exception_fp_ieee_invalid_op 0
		.amdhsa_exception_fp_denorm_src 0
		.amdhsa_exception_fp_ieee_div_zero 0
		.amdhsa_exception_fp_ieee_overflow 0
		.amdhsa_exception_fp_ieee_underflow 0
		.amdhsa_exception_fp_ieee_inexact 0
		.amdhsa_exception_int_div_zero 0
	.end_amdhsa_kernel
	.section	.text._ZN7rocprim17ROCPRIM_400000_NS6detail17trampoline_kernelINS0_13select_configILj256ELj13ELNS0_17block_load_methodE3ELS4_3ELS4_3ELNS0_20block_scan_algorithmE0ELj4294967295EEENS1_25partition_config_selectorILNS1_17partition_subalgoE3EjNS0_10empty_typeEbEEZZNS1_14partition_implILS8_3ELb0ES6_jNS0_17counting_iteratorIjlEEPS9_SE_NS0_5tupleIJPjSE_EEENSF_IJSE_SE_EEES9_SG_JZNS1_25segmented_radix_sort_implINS0_14default_configELb0EPKdPdPKlPlN2at6native12_GLOBAL__N_18offset_tEEE10hipError_tPvRmT1_PNSt15iterator_traitsISY_E10value_typeET2_T3_PNSZ_IS14_E10value_typeET4_jRbjT5_S1A_jjP12ihipStream_tbEUljE_EEESV_SW_SX_S14_S18_S1A_T6_T7_T9_mT8_S1C_bDpT10_ENKUlT_T0_E_clISt17integral_constantIbLb0EES1O_IbLb1EEEEDaS1K_S1L_EUlS1K_E_NS1_11comp_targetILNS1_3genE4ELNS1_11target_archE910ELNS1_3gpuE8ELNS1_3repE0EEENS1_30default_config_static_selectorELNS0_4arch9wavefront6targetE0EEEvSY_,"axG",@progbits,_ZN7rocprim17ROCPRIM_400000_NS6detail17trampoline_kernelINS0_13select_configILj256ELj13ELNS0_17block_load_methodE3ELS4_3ELS4_3ELNS0_20block_scan_algorithmE0ELj4294967295EEENS1_25partition_config_selectorILNS1_17partition_subalgoE3EjNS0_10empty_typeEbEEZZNS1_14partition_implILS8_3ELb0ES6_jNS0_17counting_iteratorIjlEEPS9_SE_NS0_5tupleIJPjSE_EEENSF_IJSE_SE_EEES9_SG_JZNS1_25segmented_radix_sort_implINS0_14default_configELb0EPKdPdPKlPlN2at6native12_GLOBAL__N_18offset_tEEE10hipError_tPvRmT1_PNSt15iterator_traitsISY_E10value_typeET2_T3_PNSZ_IS14_E10value_typeET4_jRbjT5_S1A_jjP12ihipStream_tbEUljE_EEESV_SW_SX_S14_S18_S1A_T6_T7_T9_mT8_S1C_bDpT10_ENKUlT_T0_E_clISt17integral_constantIbLb0EES1O_IbLb1EEEEDaS1K_S1L_EUlS1K_E_NS1_11comp_targetILNS1_3genE4ELNS1_11target_archE910ELNS1_3gpuE8ELNS1_3repE0EEENS1_30default_config_static_selectorELNS0_4arch9wavefront6targetE0EEEvSY_,comdat
.Lfunc_end1215:
	.size	_ZN7rocprim17ROCPRIM_400000_NS6detail17trampoline_kernelINS0_13select_configILj256ELj13ELNS0_17block_load_methodE3ELS4_3ELS4_3ELNS0_20block_scan_algorithmE0ELj4294967295EEENS1_25partition_config_selectorILNS1_17partition_subalgoE3EjNS0_10empty_typeEbEEZZNS1_14partition_implILS8_3ELb0ES6_jNS0_17counting_iteratorIjlEEPS9_SE_NS0_5tupleIJPjSE_EEENSF_IJSE_SE_EEES9_SG_JZNS1_25segmented_radix_sort_implINS0_14default_configELb0EPKdPdPKlPlN2at6native12_GLOBAL__N_18offset_tEEE10hipError_tPvRmT1_PNSt15iterator_traitsISY_E10value_typeET2_T3_PNSZ_IS14_E10value_typeET4_jRbjT5_S1A_jjP12ihipStream_tbEUljE_EEESV_SW_SX_S14_S18_S1A_T6_T7_T9_mT8_S1C_bDpT10_ENKUlT_T0_E_clISt17integral_constantIbLb0EES1O_IbLb1EEEEDaS1K_S1L_EUlS1K_E_NS1_11comp_targetILNS1_3genE4ELNS1_11target_archE910ELNS1_3gpuE8ELNS1_3repE0EEENS1_30default_config_static_selectorELNS0_4arch9wavefront6targetE0EEEvSY_, .Lfunc_end1215-_ZN7rocprim17ROCPRIM_400000_NS6detail17trampoline_kernelINS0_13select_configILj256ELj13ELNS0_17block_load_methodE3ELS4_3ELS4_3ELNS0_20block_scan_algorithmE0ELj4294967295EEENS1_25partition_config_selectorILNS1_17partition_subalgoE3EjNS0_10empty_typeEbEEZZNS1_14partition_implILS8_3ELb0ES6_jNS0_17counting_iteratorIjlEEPS9_SE_NS0_5tupleIJPjSE_EEENSF_IJSE_SE_EEES9_SG_JZNS1_25segmented_radix_sort_implINS0_14default_configELb0EPKdPdPKlPlN2at6native12_GLOBAL__N_18offset_tEEE10hipError_tPvRmT1_PNSt15iterator_traitsISY_E10value_typeET2_T3_PNSZ_IS14_E10value_typeET4_jRbjT5_S1A_jjP12ihipStream_tbEUljE_EEESV_SW_SX_S14_S18_S1A_T6_T7_T9_mT8_S1C_bDpT10_ENKUlT_T0_E_clISt17integral_constantIbLb0EES1O_IbLb1EEEEDaS1K_S1L_EUlS1K_E_NS1_11comp_targetILNS1_3genE4ELNS1_11target_archE910ELNS1_3gpuE8ELNS1_3repE0EEENS1_30default_config_static_selectorELNS0_4arch9wavefront6targetE0EEEvSY_
                                        ; -- End function
	.section	.AMDGPU.csdata,"",@progbits
; Kernel info:
; codeLenInByte = 0
; NumSgprs: 0
; NumVgprs: 0
; ScratchSize: 0
; MemoryBound: 0
; FloatMode: 240
; IeeeMode: 1
; LDSByteSize: 0 bytes/workgroup (compile time only)
; SGPRBlocks: 0
; VGPRBlocks: 0
; NumSGPRsForWavesPerEU: 1
; NumVGPRsForWavesPerEU: 1
; Occupancy: 16
; WaveLimiterHint : 0
; COMPUTE_PGM_RSRC2:SCRATCH_EN: 0
; COMPUTE_PGM_RSRC2:USER_SGPR: 15
; COMPUTE_PGM_RSRC2:TRAP_HANDLER: 0
; COMPUTE_PGM_RSRC2:TGID_X_EN: 1
; COMPUTE_PGM_RSRC2:TGID_Y_EN: 0
; COMPUTE_PGM_RSRC2:TGID_Z_EN: 0
; COMPUTE_PGM_RSRC2:TIDIG_COMP_CNT: 0
	.section	.text._ZN7rocprim17ROCPRIM_400000_NS6detail17trampoline_kernelINS0_13select_configILj256ELj13ELNS0_17block_load_methodE3ELS4_3ELS4_3ELNS0_20block_scan_algorithmE0ELj4294967295EEENS1_25partition_config_selectorILNS1_17partition_subalgoE3EjNS0_10empty_typeEbEEZZNS1_14partition_implILS8_3ELb0ES6_jNS0_17counting_iteratorIjlEEPS9_SE_NS0_5tupleIJPjSE_EEENSF_IJSE_SE_EEES9_SG_JZNS1_25segmented_radix_sort_implINS0_14default_configELb0EPKdPdPKlPlN2at6native12_GLOBAL__N_18offset_tEEE10hipError_tPvRmT1_PNSt15iterator_traitsISY_E10value_typeET2_T3_PNSZ_IS14_E10value_typeET4_jRbjT5_S1A_jjP12ihipStream_tbEUljE_EEESV_SW_SX_S14_S18_S1A_T6_T7_T9_mT8_S1C_bDpT10_ENKUlT_T0_E_clISt17integral_constantIbLb0EES1O_IbLb1EEEEDaS1K_S1L_EUlS1K_E_NS1_11comp_targetILNS1_3genE3ELNS1_11target_archE908ELNS1_3gpuE7ELNS1_3repE0EEENS1_30default_config_static_selectorELNS0_4arch9wavefront6targetE0EEEvSY_,"axG",@progbits,_ZN7rocprim17ROCPRIM_400000_NS6detail17trampoline_kernelINS0_13select_configILj256ELj13ELNS0_17block_load_methodE3ELS4_3ELS4_3ELNS0_20block_scan_algorithmE0ELj4294967295EEENS1_25partition_config_selectorILNS1_17partition_subalgoE3EjNS0_10empty_typeEbEEZZNS1_14partition_implILS8_3ELb0ES6_jNS0_17counting_iteratorIjlEEPS9_SE_NS0_5tupleIJPjSE_EEENSF_IJSE_SE_EEES9_SG_JZNS1_25segmented_radix_sort_implINS0_14default_configELb0EPKdPdPKlPlN2at6native12_GLOBAL__N_18offset_tEEE10hipError_tPvRmT1_PNSt15iterator_traitsISY_E10value_typeET2_T3_PNSZ_IS14_E10value_typeET4_jRbjT5_S1A_jjP12ihipStream_tbEUljE_EEESV_SW_SX_S14_S18_S1A_T6_T7_T9_mT8_S1C_bDpT10_ENKUlT_T0_E_clISt17integral_constantIbLb0EES1O_IbLb1EEEEDaS1K_S1L_EUlS1K_E_NS1_11comp_targetILNS1_3genE3ELNS1_11target_archE908ELNS1_3gpuE7ELNS1_3repE0EEENS1_30default_config_static_selectorELNS0_4arch9wavefront6targetE0EEEvSY_,comdat
	.globl	_ZN7rocprim17ROCPRIM_400000_NS6detail17trampoline_kernelINS0_13select_configILj256ELj13ELNS0_17block_load_methodE3ELS4_3ELS4_3ELNS0_20block_scan_algorithmE0ELj4294967295EEENS1_25partition_config_selectorILNS1_17partition_subalgoE3EjNS0_10empty_typeEbEEZZNS1_14partition_implILS8_3ELb0ES6_jNS0_17counting_iteratorIjlEEPS9_SE_NS0_5tupleIJPjSE_EEENSF_IJSE_SE_EEES9_SG_JZNS1_25segmented_radix_sort_implINS0_14default_configELb0EPKdPdPKlPlN2at6native12_GLOBAL__N_18offset_tEEE10hipError_tPvRmT1_PNSt15iterator_traitsISY_E10value_typeET2_T3_PNSZ_IS14_E10value_typeET4_jRbjT5_S1A_jjP12ihipStream_tbEUljE_EEESV_SW_SX_S14_S18_S1A_T6_T7_T9_mT8_S1C_bDpT10_ENKUlT_T0_E_clISt17integral_constantIbLb0EES1O_IbLb1EEEEDaS1K_S1L_EUlS1K_E_NS1_11comp_targetILNS1_3genE3ELNS1_11target_archE908ELNS1_3gpuE7ELNS1_3repE0EEENS1_30default_config_static_selectorELNS0_4arch9wavefront6targetE0EEEvSY_ ; -- Begin function _ZN7rocprim17ROCPRIM_400000_NS6detail17trampoline_kernelINS0_13select_configILj256ELj13ELNS0_17block_load_methodE3ELS4_3ELS4_3ELNS0_20block_scan_algorithmE0ELj4294967295EEENS1_25partition_config_selectorILNS1_17partition_subalgoE3EjNS0_10empty_typeEbEEZZNS1_14partition_implILS8_3ELb0ES6_jNS0_17counting_iteratorIjlEEPS9_SE_NS0_5tupleIJPjSE_EEENSF_IJSE_SE_EEES9_SG_JZNS1_25segmented_radix_sort_implINS0_14default_configELb0EPKdPdPKlPlN2at6native12_GLOBAL__N_18offset_tEEE10hipError_tPvRmT1_PNSt15iterator_traitsISY_E10value_typeET2_T3_PNSZ_IS14_E10value_typeET4_jRbjT5_S1A_jjP12ihipStream_tbEUljE_EEESV_SW_SX_S14_S18_S1A_T6_T7_T9_mT8_S1C_bDpT10_ENKUlT_T0_E_clISt17integral_constantIbLb0EES1O_IbLb1EEEEDaS1K_S1L_EUlS1K_E_NS1_11comp_targetILNS1_3genE3ELNS1_11target_archE908ELNS1_3gpuE7ELNS1_3repE0EEENS1_30default_config_static_selectorELNS0_4arch9wavefront6targetE0EEEvSY_
	.p2align	8
	.type	_ZN7rocprim17ROCPRIM_400000_NS6detail17trampoline_kernelINS0_13select_configILj256ELj13ELNS0_17block_load_methodE3ELS4_3ELS4_3ELNS0_20block_scan_algorithmE0ELj4294967295EEENS1_25partition_config_selectorILNS1_17partition_subalgoE3EjNS0_10empty_typeEbEEZZNS1_14partition_implILS8_3ELb0ES6_jNS0_17counting_iteratorIjlEEPS9_SE_NS0_5tupleIJPjSE_EEENSF_IJSE_SE_EEES9_SG_JZNS1_25segmented_radix_sort_implINS0_14default_configELb0EPKdPdPKlPlN2at6native12_GLOBAL__N_18offset_tEEE10hipError_tPvRmT1_PNSt15iterator_traitsISY_E10value_typeET2_T3_PNSZ_IS14_E10value_typeET4_jRbjT5_S1A_jjP12ihipStream_tbEUljE_EEESV_SW_SX_S14_S18_S1A_T6_T7_T9_mT8_S1C_bDpT10_ENKUlT_T0_E_clISt17integral_constantIbLb0EES1O_IbLb1EEEEDaS1K_S1L_EUlS1K_E_NS1_11comp_targetILNS1_3genE3ELNS1_11target_archE908ELNS1_3gpuE7ELNS1_3repE0EEENS1_30default_config_static_selectorELNS0_4arch9wavefront6targetE0EEEvSY_,@function
_ZN7rocprim17ROCPRIM_400000_NS6detail17trampoline_kernelINS0_13select_configILj256ELj13ELNS0_17block_load_methodE3ELS4_3ELS4_3ELNS0_20block_scan_algorithmE0ELj4294967295EEENS1_25partition_config_selectorILNS1_17partition_subalgoE3EjNS0_10empty_typeEbEEZZNS1_14partition_implILS8_3ELb0ES6_jNS0_17counting_iteratorIjlEEPS9_SE_NS0_5tupleIJPjSE_EEENSF_IJSE_SE_EEES9_SG_JZNS1_25segmented_radix_sort_implINS0_14default_configELb0EPKdPdPKlPlN2at6native12_GLOBAL__N_18offset_tEEE10hipError_tPvRmT1_PNSt15iterator_traitsISY_E10value_typeET2_T3_PNSZ_IS14_E10value_typeET4_jRbjT5_S1A_jjP12ihipStream_tbEUljE_EEESV_SW_SX_S14_S18_S1A_T6_T7_T9_mT8_S1C_bDpT10_ENKUlT_T0_E_clISt17integral_constantIbLb0EES1O_IbLb1EEEEDaS1K_S1L_EUlS1K_E_NS1_11comp_targetILNS1_3genE3ELNS1_11target_archE908ELNS1_3gpuE7ELNS1_3repE0EEENS1_30default_config_static_selectorELNS0_4arch9wavefront6targetE0EEEvSY_: ; @_ZN7rocprim17ROCPRIM_400000_NS6detail17trampoline_kernelINS0_13select_configILj256ELj13ELNS0_17block_load_methodE3ELS4_3ELS4_3ELNS0_20block_scan_algorithmE0ELj4294967295EEENS1_25partition_config_selectorILNS1_17partition_subalgoE3EjNS0_10empty_typeEbEEZZNS1_14partition_implILS8_3ELb0ES6_jNS0_17counting_iteratorIjlEEPS9_SE_NS0_5tupleIJPjSE_EEENSF_IJSE_SE_EEES9_SG_JZNS1_25segmented_radix_sort_implINS0_14default_configELb0EPKdPdPKlPlN2at6native12_GLOBAL__N_18offset_tEEE10hipError_tPvRmT1_PNSt15iterator_traitsISY_E10value_typeET2_T3_PNSZ_IS14_E10value_typeET4_jRbjT5_S1A_jjP12ihipStream_tbEUljE_EEESV_SW_SX_S14_S18_S1A_T6_T7_T9_mT8_S1C_bDpT10_ENKUlT_T0_E_clISt17integral_constantIbLb0EES1O_IbLb1EEEEDaS1K_S1L_EUlS1K_E_NS1_11comp_targetILNS1_3genE3ELNS1_11target_archE908ELNS1_3gpuE7ELNS1_3repE0EEENS1_30default_config_static_selectorELNS0_4arch9wavefront6targetE0EEEvSY_
; %bb.0:
	.section	.rodata,"a",@progbits
	.p2align	6, 0x0
	.amdhsa_kernel _ZN7rocprim17ROCPRIM_400000_NS6detail17trampoline_kernelINS0_13select_configILj256ELj13ELNS0_17block_load_methodE3ELS4_3ELS4_3ELNS0_20block_scan_algorithmE0ELj4294967295EEENS1_25partition_config_selectorILNS1_17partition_subalgoE3EjNS0_10empty_typeEbEEZZNS1_14partition_implILS8_3ELb0ES6_jNS0_17counting_iteratorIjlEEPS9_SE_NS0_5tupleIJPjSE_EEENSF_IJSE_SE_EEES9_SG_JZNS1_25segmented_radix_sort_implINS0_14default_configELb0EPKdPdPKlPlN2at6native12_GLOBAL__N_18offset_tEEE10hipError_tPvRmT1_PNSt15iterator_traitsISY_E10value_typeET2_T3_PNSZ_IS14_E10value_typeET4_jRbjT5_S1A_jjP12ihipStream_tbEUljE_EEESV_SW_SX_S14_S18_S1A_T6_T7_T9_mT8_S1C_bDpT10_ENKUlT_T0_E_clISt17integral_constantIbLb0EES1O_IbLb1EEEEDaS1K_S1L_EUlS1K_E_NS1_11comp_targetILNS1_3genE3ELNS1_11target_archE908ELNS1_3gpuE7ELNS1_3repE0EEENS1_30default_config_static_selectorELNS0_4arch9wavefront6targetE0EEEvSY_
		.amdhsa_group_segment_fixed_size 0
		.amdhsa_private_segment_fixed_size 0
		.amdhsa_kernarg_size 152
		.amdhsa_user_sgpr_count 15
		.amdhsa_user_sgpr_dispatch_ptr 0
		.amdhsa_user_sgpr_queue_ptr 0
		.amdhsa_user_sgpr_kernarg_segment_ptr 1
		.amdhsa_user_sgpr_dispatch_id 0
		.amdhsa_user_sgpr_private_segment_size 0
		.amdhsa_wavefront_size32 1
		.amdhsa_uses_dynamic_stack 0
		.amdhsa_enable_private_segment 0
		.amdhsa_system_sgpr_workgroup_id_x 1
		.amdhsa_system_sgpr_workgroup_id_y 0
		.amdhsa_system_sgpr_workgroup_id_z 0
		.amdhsa_system_sgpr_workgroup_info 0
		.amdhsa_system_vgpr_workitem_id 0
		.amdhsa_next_free_vgpr 1
		.amdhsa_next_free_sgpr 1
		.amdhsa_reserve_vcc 0
		.amdhsa_float_round_mode_32 0
		.amdhsa_float_round_mode_16_64 0
		.amdhsa_float_denorm_mode_32 3
		.amdhsa_float_denorm_mode_16_64 3
		.amdhsa_dx10_clamp 1
		.amdhsa_ieee_mode 1
		.amdhsa_fp16_overflow 0
		.amdhsa_workgroup_processor_mode 1
		.amdhsa_memory_ordered 1
		.amdhsa_forward_progress 0
		.amdhsa_shared_vgpr_count 0
		.amdhsa_exception_fp_ieee_invalid_op 0
		.amdhsa_exception_fp_denorm_src 0
		.amdhsa_exception_fp_ieee_div_zero 0
		.amdhsa_exception_fp_ieee_overflow 0
		.amdhsa_exception_fp_ieee_underflow 0
		.amdhsa_exception_fp_ieee_inexact 0
		.amdhsa_exception_int_div_zero 0
	.end_amdhsa_kernel
	.section	.text._ZN7rocprim17ROCPRIM_400000_NS6detail17trampoline_kernelINS0_13select_configILj256ELj13ELNS0_17block_load_methodE3ELS4_3ELS4_3ELNS0_20block_scan_algorithmE0ELj4294967295EEENS1_25partition_config_selectorILNS1_17partition_subalgoE3EjNS0_10empty_typeEbEEZZNS1_14partition_implILS8_3ELb0ES6_jNS0_17counting_iteratorIjlEEPS9_SE_NS0_5tupleIJPjSE_EEENSF_IJSE_SE_EEES9_SG_JZNS1_25segmented_radix_sort_implINS0_14default_configELb0EPKdPdPKlPlN2at6native12_GLOBAL__N_18offset_tEEE10hipError_tPvRmT1_PNSt15iterator_traitsISY_E10value_typeET2_T3_PNSZ_IS14_E10value_typeET4_jRbjT5_S1A_jjP12ihipStream_tbEUljE_EEESV_SW_SX_S14_S18_S1A_T6_T7_T9_mT8_S1C_bDpT10_ENKUlT_T0_E_clISt17integral_constantIbLb0EES1O_IbLb1EEEEDaS1K_S1L_EUlS1K_E_NS1_11comp_targetILNS1_3genE3ELNS1_11target_archE908ELNS1_3gpuE7ELNS1_3repE0EEENS1_30default_config_static_selectorELNS0_4arch9wavefront6targetE0EEEvSY_,"axG",@progbits,_ZN7rocprim17ROCPRIM_400000_NS6detail17trampoline_kernelINS0_13select_configILj256ELj13ELNS0_17block_load_methodE3ELS4_3ELS4_3ELNS0_20block_scan_algorithmE0ELj4294967295EEENS1_25partition_config_selectorILNS1_17partition_subalgoE3EjNS0_10empty_typeEbEEZZNS1_14partition_implILS8_3ELb0ES6_jNS0_17counting_iteratorIjlEEPS9_SE_NS0_5tupleIJPjSE_EEENSF_IJSE_SE_EEES9_SG_JZNS1_25segmented_radix_sort_implINS0_14default_configELb0EPKdPdPKlPlN2at6native12_GLOBAL__N_18offset_tEEE10hipError_tPvRmT1_PNSt15iterator_traitsISY_E10value_typeET2_T3_PNSZ_IS14_E10value_typeET4_jRbjT5_S1A_jjP12ihipStream_tbEUljE_EEESV_SW_SX_S14_S18_S1A_T6_T7_T9_mT8_S1C_bDpT10_ENKUlT_T0_E_clISt17integral_constantIbLb0EES1O_IbLb1EEEEDaS1K_S1L_EUlS1K_E_NS1_11comp_targetILNS1_3genE3ELNS1_11target_archE908ELNS1_3gpuE7ELNS1_3repE0EEENS1_30default_config_static_selectorELNS0_4arch9wavefront6targetE0EEEvSY_,comdat
.Lfunc_end1216:
	.size	_ZN7rocprim17ROCPRIM_400000_NS6detail17trampoline_kernelINS0_13select_configILj256ELj13ELNS0_17block_load_methodE3ELS4_3ELS4_3ELNS0_20block_scan_algorithmE0ELj4294967295EEENS1_25partition_config_selectorILNS1_17partition_subalgoE3EjNS0_10empty_typeEbEEZZNS1_14partition_implILS8_3ELb0ES6_jNS0_17counting_iteratorIjlEEPS9_SE_NS0_5tupleIJPjSE_EEENSF_IJSE_SE_EEES9_SG_JZNS1_25segmented_radix_sort_implINS0_14default_configELb0EPKdPdPKlPlN2at6native12_GLOBAL__N_18offset_tEEE10hipError_tPvRmT1_PNSt15iterator_traitsISY_E10value_typeET2_T3_PNSZ_IS14_E10value_typeET4_jRbjT5_S1A_jjP12ihipStream_tbEUljE_EEESV_SW_SX_S14_S18_S1A_T6_T7_T9_mT8_S1C_bDpT10_ENKUlT_T0_E_clISt17integral_constantIbLb0EES1O_IbLb1EEEEDaS1K_S1L_EUlS1K_E_NS1_11comp_targetILNS1_3genE3ELNS1_11target_archE908ELNS1_3gpuE7ELNS1_3repE0EEENS1_30default_config_static_selectorELNS0_4arch9wavefront6targetE0EEEvSY_, .Lfunc_end1216-_ZN7rocprim17ROCPRIM_400000_NS6detail17trampoline_kernelINS0_13select_configILj256ELj13ELNS0_17block_load_methodE3ELS4_3ELS4_3ELNS0_20block_scan_algorithmE0ELj4294967295EEENS1_25partition_config_selectorILNS1_17partition_subalgoE3EjNS0_10empty_typeEbEEZZNS1_14partition_implILS8_3ELb0ES6_jNS0_17counting_iteratorIjlEEPS9_SE_NS0_5tupleIJPjSE_EEENSF_IJSE_SE_EEES9_SG_JZNS1_25segmented_radix_sort_implINS0_14default_configELb0EPKdPdPKlPlN2at6native12_GLOBAL__N_18offset_tEEE10hipError_tPvRmT1_PNSt15iterator_traitsISY_E10value_typeET2_T3_PNSZ_IS14_E10value_typeET4_jRbjT5_S1A_jjP12ihipStream_tbEUljE_EEESV_SW_SX_S14_S18_S1A_T6_T7_T9_mT8_S1C_bDpT10_ENKUlT_T0_E_clISt17integral_constantIbLb0EES1O_IbLb1EEEEDaS1K_S1L_EUlS1K_E_NS1_11comp_targetILNS1_3genE3ELNS1_11target_archE908ELNS1_3gpuE7ELNS1_3repE0EEENS1_30default_config_static_selectorELNS0_4arch9wavefront6targetE0EEEvSY_
                                        ; -- End function
	.section	.AMDGPU.csdata,"",@progbits
; Kernel info:
; codeLenInByte = 0
; NumSgprs: 0
; NumVgprs: 0
; ScratchSize: 0
; MemoryBound: 0
; FloatMode: 240
; IeeeMode: 1
; LDSByteSize: 0 bytes/workgroup (compile time only)
; SGPRBlocks: 0
; VGPRBlocks: 0
; NumSGPRsForWavesPerEU: 1
; NumVGPRsForWavesPerEU: 1
; Occupancy: 16
; WaveLimiterHint : 0
; COMPUTE_PGM_RSRC2:SCRATCH_EN: 0
; COMPUTE_PGM_RSRC2:USER_SGPR: 15
; COMPUTE_PGM_RSRC2:TRAP_HANDLER: 0
; COMPUTE_PGM_RSRC2:TGID_X_EN: 1
; COMPUTE_PGM_RSRC2:TGID_Y_EN: 0
; COMPUTE_PGM_RSRC2:TGID_Z_EN: 0
; COMPUTE_PGM_RSRC2:TIDIG_COMP_CNT: 0
	.section	.text._ZN7rocprim17ROCPRIM_400000_NS6detail17trampoline_kernelINS0_13select_configILj256ELj13ELNS0_17block_load_methodE3ELS4_3ELS4_3ELNS0_20block_scan_algorithmE0ELj4294967295EEENS1_25partition_config_selectorILNS1_17partition_subalgoE3EjNS0_10empty_typeEbEEZZNS1_14partition_implILS8_3ELb0ES6_jNS0_17counting_iteratorIjlEEPS9_SE_NS0_5tupleIJPjSE_EEENSF_IJSE_SE_EEES9_SG_JZNS1_25segmented_radix_sort_implINS0_14default_configELb0EPKdPdPKlPlN2at6native12_GLOBAL__N_18offset_tEEE10hipError_tPvRmT1_PNSt15iterator_traitsISY_E10value_typeET2_T3_PNSZ_IS14_E10value_typeET4_jRbjT5_S1A_jjP12ihipStream_tbEUljE_EEESV_SW_SX_S14_S18_S1A_T6_T7_T9_mT8_S1C_bDpT10_ENKUlT_T0_E_clISt17integral_constantIbLb0EES1O_IbLb1EEEEDaS1K_S1L_EUlS1K_E_NS1_11comp_targetILNS1_3genE2ELNS1_11target_archE906ELNS1_3gpuE6ELNS1_3repE0EEENS1_30default_config_static_selectorELNS0_4arch9wavefront6targetE0EEEvSY_,"axG",@progbits,_ZN7rocprim17ROCPRIM_400000_NS6detail17trampoline_kernelINS0_13select_configILj256ELj13ELNS0_17block_load_methodE3ELS4_3ELS4_3ELNS0_20block_scan_algorithmE0ELj4294967295EEENS1_25partition_config_selectorILNS1_17partition_subalgoE3EjNS0_10empty_typeEbEEZZNS1_14partition_implILS8_3ELb0ES6_jNS0_17counting_iteratorIjlEEPS9_SE_NS0_5tupleIJPjSE_EEENSF_IJSE_SE_EEES9_SG_JZNS1_25segmented_radix_sort_implINS0_14default_configELb0EPKdPdPKlPlN2at6native12_GLOBAL__N_18offset_tEEE10hipError_tPvRmT1_PNSt15iterator_traitsISY_E10value_typeET2_T3_PNSZ_IS14_E10value_typeET4_jRbjT5_S1A_jjP12ihipStream_tbEUljE_EEESV_SW_SX_S14_S18_S1A_T6_T7_T9_mT8_S1C_bDpT10_ENKUlT_T0_E_clISt17integral_constantIbLb0EES1O_IbLb1EEEEDaS1K_S1L_EUlS1K_E_NS1_11comp_targetILNS1_3genE2ELNS1_11target_archE906ELNS1_3gpuE6ELNS1_3repE0EEENS1_30default_config_static_selectorELNS0_4arch9wavefront6targetE0EEEvSY_,comdat
	.globl	_ZN7rocprim17ROCPRIM_400000_NS6detail17trampoline_kernelINS0_13select_configILj256ELj13ELNS0_17block_load_methodE3ELS4_3ELS4_3ELNS0_20block_scan_algorithmE0ELj4294967295EEENS1_25partition_config_selectorILNS1_17partition_subalgoE3EjNS0_10empty_typeEbEEZZNS1_14partition_implILS8_3ELb0ES6_jNS0_17counting_iteratorIjlEEPS9_SE_NS0_5tupleIJPjSE_EEENSF_IJSE_SE_EEES9_SG_JZNS1_25segmented_radix_sort_implINS0_14default_configELb0EPKdPdPKlPlN2at6native12_GLOBAL__N_18offset_tEEE10hipError_tPvRmT1_PNSt15iterator_traitsISY_E10value_typeET2_T3_PNSZ_IS14_E10value_typeET4_jRbjT5_S1A_jjP12ihipStream_tbEUljE_EEESV_SW_SX_S14_S18_S1A_T6_T7_T9_mT8_S1C_bDpT10_ENKUlT_T0_E_clISt17integral_constantIbLb0EES1O_IbLb1EEEEDaS1K_S1L_EUlS1K_E_NS1_11comp_targetILNS1_3genE2ELNS1_11target_archE906ELNS1_3gpuE6ELNS1_3repE0EEENS1_30default_config_static_selectorELNS0_4arch9wavefront6targetE0EEEvSY_ ; -- Begin function _ZN7rocprim17ROCPRIM_400000_NS6detail17trampoline_kernelINS0_13select_configILj256ELj13ELNS0_17block_load_methodE3ELS4_3ELS4_3ELNS0_20block_scan_algorithmE0ELj4294967295EEENS1_25partition_config_selectorILNS1_17partition_subalgoE3EjNS0_10empty_typeEbEEZZNS1_14partition_implILS8_3ELb0ES6_jNS0_17counting_iteratorIjlEEPS9_SE_NS0_5tupleIJPjSE_EEENSF_IJSE_SE_EEES9_SG_JZNS1_25segmented_radix_sort_implINS0_14default_configELb0EPKdPdPKlPlN2at6native12_GLOBAL__N_18offset_tEEE10hipError_tPvRmT1_PNSt15iterator_traitsISY_E10value_typeET2_T3_PNSZ_IS14_E10value_typeET4_jRbjT5_S1A_jjP12ihipStream_tbEUljE_EEESV_SW_SX_S14_S18_S1A_T6_T7_T9_mT8_S1C_bDpT10_ENKUlT_T0_E_clISt17integral_constantIbLb0EES1O_IbLb1EEEEDaS1K_S1L_EUlS1K_E_NS1_11comp_targetILNS1_3genE2ELNS1_11target_archE906ELNS1_3gpuE6ELNS1_3repE0EEENS1_30default_config_static_selectorELNS0_4arch9wavefront6targetE0EEEvSY_
	.p2align	8
	.type	_ZN7rocprim17ROCPRIM_400000_NS6detail17trampoline_kernelINS0_13select_configILj256ELj13ELNS0_17block_load_methodE3ELS4_3ELS4_3ELNS0_20block_scan_algorithmE0ELj4294967295EEENS1_25partition_config_selectorILNS1_17partition_subalgoE3EjNS0_10empty_typeEbEEZZNS1_14partition_implILS8_3ELb0ES6_jNS0_17counting_iteratorIjlEEPS9_SE_NS0_5tupleIJPjSE_EEENSF_IJSE_SE_EEES9_SG_JZNS1_25segmented_radix_sort_implINS0_14default_configELb0EPKdPdPKlPlN2at6native12_GLOBAL__N_18offset_tEEE10hipError_tPvRmT1_PNSt15iterator_traitsISY_E10value_typeET2_T3_PNSZ_IS14_E10value_typeET4_jRbjT5_S1A_jjP12ihipStream_tbEUljE_EEESV_SW_SX_S14_S18_S1A_T6_T7_T9_mT8_S1C_bDpT10_ENKUlT_T0_E_clISt17integral_constantIbLb0EES1O_IbLb1EEEEDaS1K_S1L_EUlS1K_E_NS1_11comp_targetILNS1_3genE2ELNS1_11target_archE906ELNS1_3gpuE6ELNS1_3repE0EEENS1_30default_config_static_selectorELNS0_4arch9wavefront6targetE0EEEvSY_,@function
_ZN7rocprim17ROCPRIM_400000_NS6detail17trampoline_kernelINS0_13select_configILj256ELj13ELNS0_17block_load_methodE3ELS4_3ELS4_3ELNS0_20block_scan_algorithmE0ELj4294967295EEENS1_25partition_config_selectorILNS1_17partition_subalgoE3EjNS0_10empty_typeEbEEZZNS1_14partition_implILS8_3ELb0ES6_jNS0_17counting_iteratorIjlEEPS9_SE_NS0_5tupleIJPjSE_EEENSF_IJSE_SE_EEES9_SG_JZNS1_25segmented_radix_sort_implINS0_14default_configELb0EPKdPdPKlPlN2at6native12_GLOBAL__N_18offset_tEEE10hipError_tPvRmT1_PNSt15iterator_traitsISY_E10value_typeET2_T3_PNSZ_IS14_E10value_typeET4_jRbjT5_S1A_jjP12ihipStream_tbEUljE_EEESV_SW_SX_S14_S18_S1A_T6_T7_T9_mT8_S1C_bDpT10_ENKUlT_T0_E_clISt17integral_constantIbLb0EES1O_IbLb1EEEEDaS1K_S1L_EUlS1K_E_NS1_11comp_targetILNS1_3genE2ELNS1_11target_archE906ELNS1_3gpuE6ELNS1_3repE0EEENS1_30default_config_static_selectorELNS0_4arch9wavefront6targetE0EEEvSY_: ; @_ZN7rocprim17ROCPRIM_400000_NS6detail17trampoline_kernelINS0_13select_configILj256ELj13ELNS0_17block_load_methodE3ELS4_3ELS4_3ELNS0_20block_scan_algorithmE0ELj4294967295EEENS1_25partition_config_selectorILNS1_17partition_subalgoE3EjNS0_10empty_typeEbEEZZNS1_14partition_implILS8_3ELb0ES6_jNS0_17counting_iteratorIjlEEPS9_SE_NS0_5tupleIJPjSE_EEENSF_IJSE_SE_EEES9_SG_JZNS1_25segmented_radix_sort_implINS0_14default_configELb0EPKdPdPKlPlN2at6native12_GLOBAL__N_18offset_tEEE10hipError_tPvRmT1_PNSt15iterator_traitsISY_E10value_typeET2_T3_PNSZ_IS14_E10value_typeET4_jRbjT5_S1A_jjP12ihipStream_tbEUljE_EEESV_SW_SX_S14_S18_S1A_T6_T7_T9_mT8_S1C_bDpT10_ENKUlT_T0_E_clISt17integral_constantIbLb0EES1O_IbLb1EEEEDaS1K_S1L_EUlS1K_E_NS1_11comp_targetILNS1_3genE2ELNS1_11target_archE906ELNS1_3gpuE6ELNS1_3repE0EEENS1_30default_config_static_selectorELNS0_4arch9wavefront6targetE0EEEvSY_
; %bb.0:
	.section	.rodata,"a",@progbits
	.p2align	6, 0x0
	.amdhsa_kernel _ZN7rocprim17ROCPRIM_400000_NS6detail17trampoline_kernelINS0_13select_configILj256ELj13ELNS0_17block_load_methodE3ELS4_3ELS4_3ELNS0_20block_scan_algorithmE0ELj4294967295EEENS1_25partition_config_selectorILNS1_17partition_subalgoE3EjNS0_10empty_typeEbEEZZNS1_14partition_implILS8_3ELb0ES6_jNS0_17counting_iteratorIjlEEPS9_SE_NS0_5tupleIJPjSE_EEENSF_IJSE_SE_EEES9_SG_JZNS1_25segmented_radix_sort_implINS0_14default_configELb0EPKdPdPKlPlN2at6native12_GLOBAL__N_18offset_tEEE10hipError_tPvRmT1_PNSt15iterator_traitsISY_E10value_typeET2_T3_PNSZ_IS14_E10value_typeET4_jRbjT5_S1A_jjP12ihipStream_tbEUljE_EEESV_SW_SX_S14_S18_S1A_T6_T7_T9_mT8_S1C_bDpT10_ENKUlT_T0_E_clISt17integral_constantIbLb0EES1O_IbLb1EEEEDaS1K_S1L_EUlS1K_E_NS1_11comp_targetILNS1_3genE2ELNS1_11target_archE906ELNS1_3gpuE6ELNS1_3repE0EEENS1_30default_config_static_selectorELNS0_4arch9wavefront6targetE0EEEvSY_
		.amdhsa_group_segment_fixed_size 0
		.amdhsa_private_segment_fixed_size 0
		.amdhsa_kernarg_size 152
		.amdhsa_user_sgpr_count 15
		.amdhsa_user_sgpr_dispatch_ptr 0
		.amdhsa_user_sgpr_queue_ptr 0
		.amdhsa_user_sgpr_kernarg_segment_ptr 1
		.amdhsa_user_sgpr_dispatch_id 0
		.amdhsa_user_sgpr_private_segment_size 0
		.amdhsa_wavefront_size32 1
		.amdhsa_uses_dynamic_stack 0
		.amdhsa_enable_private_segment 0
		.amdhsa_system_sgpr_workgroup_id_x 1
		.amdhsa_system_sgpr_workgroup_id_y 0
		.amdhsa_system_sgpr_workgroup_id_z 0
		.amdhsa_system_sgpr_workgroup_info 0
		.amdhsa_system_vgpr_workitem_id 0
		.amdhsa_next_free_vgpr 1
		.amdhsa_next_free_sgpr 1
		.amdhsa_reserve_vcc 0
		.amdhsa_float_round_mode_32 0
		.amdhsa_float_round_mode_16_64 0
		.amdhsa_float_denorm_mode_32 3
		.amdhsa_float_denorm_mode_16_64 3
		.amdhsa_dx10_clamp 1
		.amdhsa_ieee_mode 1
		.amdhsa_fp16_overflow 0
		.amdhsa_workgroup_processor_mode 1
		.amdhsa_memory_ordered 1
		.amdhsa_forward_progress 0
		.amdhsa_shared_vgpr_count 0
		.amdhsa_exception_fp_ieee_invalid_op 0
		.amdhsa_exception_fp_denorm_src 0
		.amdhsa_exception_fp_ieee_div_zero 0
		.amdhsa_exception_fp_ieee_overflow 0
		.amdhsa_exception_fp_ieee_underflow 0
		.amdhsa_exception_fp_ieee_inexact 0
		.amdhsa_exception_int_div_zero 0
	.end_amdhsa_kernel
	.section	.text._ZN7rocprim17ROCPRIM_400000_NS6detail17trampoline_kernelINS0_13select_configILj256ELj13ELNS0_17block_load_methodE3ELS4_3ELS4_3ELNS0_20block_scan_algorithmE0ELj4294967295EEENS1_25partition_config_selectorILNS1_17partition_subalgoE3EjNS0_10empty_typeEbEEZZNS1_14partition_implILS8_3ELb0ES6_jNS0_17counting_iteratorIjlEEPS9_SE_NS0_5tupleIJPjSE_EEENSF_IJSE_SE_EEES9_SG_JZNS1_25segmented_radix_sort_implINS0_14default_configELb0EPKdPdPKlPlN2at6native12_GLOBAL__N_18offset_tEEE10hipError_tPvRmT1_PNSt15iterator_traitsISY_E10value_typeET2_T3_PNSZ_IS14_E10value_typeET4_jRbjT5_S1A_jjP12ihipStream_tbEUljE_EEESV_SW_SX_S14_S18_S1A_T6_T7_T9_mT8_S1C_bDpT10_ENKUlT_T0_E_clISt17integral_constantIbLb0EES1O_IbLb1EEEEDaS1K_S1L_EUlS1K_E_NS1_11comp_targetILNS1_3genE2ELNS1_11target_archE906ELNS1_3gpuE6ELNS1_3repE0EEENS1_30default_config_static_selectorELNS0_4arch9wavefront6targetE0EEEvSY_,"axG",@progbits,_ZN7rocprim17ROCPRIM_400000_NS6detail17trampoline_kernelINS0_13select_configILj256ELj13ELNS0_17block_load_methodE3ELS4_3ELS4_3ELNS0_20block_scan_algorithmE0ELj4294967295EEENS1_25partition_config_selectorILNS1_17partition_subalgoE3EjNS0_10empty_typeEbEEZZNS1_14partition_implILS8_3ELb0ES6_jNS0_17counting_iteratorIjlEEPS9_SE_NS0_5tupleIJPjSE_EEENSF_IJSE_SE_EEES9_SG_JZNS1_25segmented_radix_sort_implINS0_14default_configELb0EPKdPdPKlPlN2at6native12_GLOBAL__N_18offset_tEEE10hipError_tPvRmT1_PNSt15iterator_traitsISY_E10value_typeET2_T3_PNSZ_IS14_E10value_typeET4_jRbjT5_S1A_jjP12ihipStream_tbEUljE_EEESV_SW_SX_S14_S18_S1A_T6_T7_T9_mT8_S1C_bDpT10_ENKUlT_T0_E_clISt17integral_constantIbLb0EES1O_IbLb1EEEEDaS1K_S1L_EUlS1K_E_NS1_11comp_targetILNS1_3genE2ELNS1_11target_archE906ELNS1_3gpuE6ELNS1_3repE0EEENS1_30default_config_static_selectorELNS0_4arch9wavefront6targetE0EEEvSY_,comdat
.Lfunc_end1217:
	.size	_ZN7rocprim17ROCPRIM_400000_NS6detail17trampoline_kernelINS0_13select_configILj256ELj13ELNS0_17block_load_methodE3ELS4_3ELS4_3ELNS0_20block_scan_algorithmE0ELj4294967295EEENS1_25partition_config_selectorILNS1_17partition_subalgoE3EjNS0_10empty_typeEbEEZZNS1_14partition_implILS8_3ELb0ES6_jNS0_17counting_iteratorIjlEEPS9_SE_NS0_5tupleIJPjSE_EEENSF_IJSE_SE_EEES9_SG_JZNS1_25segmented_radix_sort_implINS0_14default_configELb0EPKdPdPKlPlN2at6native12_GLOBAL__N_18offset_tEEE10hipError_tPvRmT1_PNSt15iterator_traitsISY_E10value_typeET2_T3_PNSZ_IS14_E10value_typeET4_jRbjT5_S1A_jjP12ihipStream_tbEUljE_EEESV_SW_SX_S14_S18_S1A_T6_T7_T9_mT8_S1C_bDpT10_ENKUlT_T0_E_clISt17integral_constantIbLb0EES1O_IbLb1EEEEDaS1K_S1L_EUlS1K_E_NS1_11comp_targetILNS1_3genE2ELNS1_11target_archE906ELNS1_3gpuE6ELNS1_3repE0EEENS1_30default_config_static_selectorELNS0_4arch9wavefront6targetE0EEEvSY_, .Lfunc_end1217-_ZN7rocprim17ROCPRIM_400000_NS6detail17trampoline_kernelINS0_13select_configILj256ELj13ELNS0_17block_load_methodE3ELS4_3ELS4_3ELNS0_20block_scan_algorithmE0ELj4294967295EEENS1_25partition_config_selectorILNS1_17partition_subalgoE3EjNS0_10empty_typeEbEEZZNS1_14partition_implILS8_3ELb0ES6_jNS0_17counting_iteratorIjlEEPS9_SE_NS0_5tupleIJPjSE_EEENSF_IJSE_SE_EEES9_SG_JZNS1_25segmented_radix_sort_implINS0_14default_configELb0EPKdPdPKlPlN2at6native12_GLOBAL__N_18offset_tEEE10hipError_tPvRmT1_PNSt15iterator_traitsISY_E10value_typeET2_T3_PNSZ_IS14_E10value_typeET4_jRbjT5_S1A_jjP12ihipStream_tbEUljE_EEESV_SW_SX_S14_S18_S1A_T6_T7_T9_mT8_S1C_bDpT10_ENKUlT_T0_E_clISt17integral_constantIbLb0EES1O_IbLb1EEEEDaS1K_S1L_EUlS1K_E_NS1_11comp_targetILNS1_3genE2ELNS1_11target_archE906ELNS1_3gpuE6ELNS1_3repE0EEENS1_30default_config_static_selectorELNS0_4arch9wavefront6targetE0EEEvSY_
                                        ; -- End function
	.section	.AMDGPU.csdata,"",@progbits
; Kernel info:
; codeLenInByte = 0
; NumSgprs: 0
; NumVgprs: 0
; ScratchSize: 0
; MemoryBound: 0
; FloatMode: 240
; IeeeMode: 1
; LDSByteSize: 0 bytes/workgroup (compile time only)
; SGPRBlocks: 0
; VGPRBlocks: 0
; NumSGPRsForWavesPerEU: 1
; NumVGPRsForWavesPerEU: 1
; Occupancy: 16
; WaveLimiterHint : 0
; COMPUTE_PGM_RSRC2:SCRATCH_EN: 0
; COMPUTE_PGM_RSRC2:USER_SGPR: 15
; COMPUTE_PGM_RSRC2:TRAP_HANDLER: 0
; COMPUTE_PGM_RSRC2:TGID_X_EN: 1
; COMPUTE_PGM_RSRC2:TGID_Y_EN: 0
; COMPUTE_PGM_RSRC2:TGID_Z_EN: 0
; COMPUTE_PGM_RSRC2:TIDIG_COMP_CNT: 0
	.section	.text._ZN7rocprim17ROCPRIM_400000_NS6detail17trampoline_kernelINS0_13select_configILj256ELj13ELNS0_17block_load_methodE3ELS4_3ELS4_3ELNS0_20block_scan_algorithmE0ELj4294967295EEENS1_25partition_config_selectorILNS1_17partition_subalgoE3EjNS0_10empty_typeEbEEZZNS1_14partition_implILS8_3ELb0ES6_jNS0_17counting_iteratorIjlEEPS9_SE_NS0_5tupleIJPjSE_EEENSF_IJSE_SE_EEES9_SG_JZNS1_25segmented_radix_sort_implINS0_14default_configELb0EPKdPdPKlPlN2at6native12_GLOBAL__N_18offset_tEEE10hipError_tPvRmT1_PNSt15iterator_traitsISY_E10value_typeET2_T3_PNSZ_IS14_E10value_typeET4_jRbjT5_S1A_jjP12ihipStream_tbEUljE_EEESV_SW_SX_S14_S18_S1A_T6_T7_T9_mT8_S1C_bDpT10_ENKUlT_T0_E_clISt17integral_constantIbLb0EES1O_IbLb1EEEEDaS1K_S1L_EUlS1K_E_NS1_11comp_targetILNS1_3genE10ELNS1_11target_archE1200ELNS1_3gpuE4ELNS1_3repE0EEENS1_30default_config_static_selectorELNS0_4arch9wavefront6targetE0EEEvSY_,"axG",@progbits,_ZN7rocprim17ROCPRIM_400000_NS6detail17trampoline_kernelINS0_13select_configILj256ELj13ELNS0_17block_load_methodE3ELS4_3ELS4_3ELNS0_20block_scan_algorithmE0ELj4294967295EEENS1_25partition_config_selectorILNS1_17partition_subalgoE3EjNS0_10empty_typeEbEEZZNS1_14partition_implILS8_3ELb0ES6_jNS0_17counting_iteratorIjlEEPS9_SE_NS0_5tupleIJPjSE_EEENSF_IJSE_SE_EEES9_SG_JZNS1_25segmented_radix_sort_implINS0_14default_configELb0EPKdPdPKlPlN2at6native12_GLOBAL__N_18offset_tEEE10hipError_tPvRmT1_PNSt15iterator_traitsISY_E10value_typeET2_T3_PNSZ_IS14_E10value_typeET4_jRbjT5_S1A_jjP12ihipStream_tbEUljE_EEESV_SW_SX_S14_S18_S1A_T6_T7_T9_mT8_S1C_bDpT10_ENKUlT_T0_E_clISt17integral_constantIbLb0EES1O_IbLb1EEEEDaS1K_S1L_EUlS1K_E_NS1_11comp_targetILNS1_3genE10ELNS1_11target_archE1200ELNS1_3gpuE4ELNS1_3repE0EEENS1_30default_config_static_selectorELNS0_4arch9wavefront6targetE0EEEvSY_,comdat
	.globl	_ZN7rocprim17ROCPRIM_400000_NS6detail17trampoline_kernelINS0_13select_configILj256ELj13ELNS0_17block_load_methodE3ELS4_3ELS4_3ELNS0_20block_scan_algorithmE0ELj4294967295EEENS1_25partition_config_selectorILNS1_17partition_subalgoE3EjNS0_10empty_typeEbEEZZNS1_14partition_implILS8_3ELb0ES6_jNS0_17counting_iteratorIjlEEPS9_SE_NS0_5tupleIJPjSE_EEENSF_IJSE_SE_EEES9_SG_JZNS1_25segmented_radix_sort_implINS0_14default_configELb0EPKdPdPKlPlN2at6native12_GLOBAL__N_18offset_tEEE10hipError_tPvRmT1_PNSt15iterator_traitsISY_E10value_typeET2_T3_PNSZ_IS14_E10value_typeET4_jRbjT5_S1A_jjP12ihipStream_tbEUljE_EEESV_SW_SX_S14_S18_S1A_T6_T7_T9_mT8_S1C_bDpT10_ENKUlT_T0_E_clISt17integral_constantIbLb0EES1O_IbLb1EEEEDaS1K_S1L_EUlS1K_E_NS1_11comp_targetILNS1_3genE10ELNS1_11target_archE1200ELNS1_3gpuE4ELNS1_3repE0EEENS1_30default_config_static_selectorELNS0_4arch9wavefront6targetE0EEEvSY_ ; -- Begin function _ZN7rocprim17ROCPRIM_400000_NS6detail17trampoline_kernelINS0_13select_configILj256ELj13ELNS0_17block_load_methodE3ELS4_3ELS4_3ELNS0_20block_scan_algorithmE0ELj4294967295EEENS1_25partition_config_selectorILNS1_17partition_subalgoE3EjNS0_10empty_typeEbEEZZNS1_14partition_implILS8_3ELb0ES6_jNS0_17counting_iteratorIjlEEPS9_SE_NS0_5tupleIJPjSE_EEENSF_IJSE_SE_EEES9_SG_JZNS1_25segmented_radix_sort_implINS0_14default_configELb0EPKdPdPKlPlN2at6native12_GLOBAL__N_18offset_tEEE10hipError_tPvRmT1_PNSt15iterator_traitsISY_E10value_typeET2_T3_PNSZ_IS14_E10value_typeET4_jRbjT5_S1A_jjP12ihipStream_tbEUljE_EEESV_SW_SX_S14_S18_S1A_T6_T7_T9_mT8_S1C_bDpT10_ENKUlT_T0_E_clISt17integral_constantIbLb0EES1O_IbLb1EEEEDaS1K_S1L_EUlS1K_E_NS1_11comp_targetILNS1_3genE10ELNS1_11target_archE1200ELNS1_3gpuE4ELNS1_3repE0EEENS1_30default_config_static_selectorELNS0_4arch9wavefront6targetE0EEEvSY_
	.p2align	8
	.type	_ZN7rocprim17ROCPRIM_400000_NS6detail17trampoline_kernelINS0_13select_configILj256ELj13ELNS0_17block_load_methodE3ELS4_3ELS4_3ELNS0_20block_scan_algorithmE0ELj4294967295EEENS1_25partition_config_selectorILNS1_17partition_subalgoE3EjNS0_10empty_typeEbEEZZNS1_14partition_implILS8_3ELb0ES6_jNS0_17counting_iteratorIjlEEPS9_SE_NS0_5tupleIJPjSE_EEENSF_IJSE_SE_EEES9_SG_JZNS1_25segmented_radix_sort_implINS0_14default_configELb0EPKdPdPKlPlN2at6native12_GLOBAL__N_18offset_tEEE10hipError_tPvRmT1_PNSt15iterator_traitsISY_E10value_typeET2_T3_PNSZ_IS14_E10value_typeET4_jRbjT5_S1A_jjP12ihipStream_tbEUljE_EEESV_SW_SX_S14_S18_S1A_T6_T7_T9_mT8_S1C_bDpT10_ENKUlT_T0_E_clISt17integral_constantIbLb0EES1O_IbLb1EEEEDaS1K_S1L_EUlS1K_E_NS1_11comp_targetILNS1_3genE10ELNS1_11target_archE1200ELNS1_3gpuE4ELNS1_3repE0EEENS1_30default_config_static_selectorELNS0_4arch9wavefront6targetE0EEEvSY_,@function
_ZN7rocprim17ROCPRIM_400000_NS6detail17trampoline_kernelINS0_13select_configILj256ELj13ELNS0_17block_load_methodE3ELS4_3ELS4_3ELNS0_20block_scan_algorithmE0ELj4294967295EEENS1_25partition_config_selectorILNS1_17partition_subalgoE3EjNS0_10empty_typeEbEEZZNS1_14partition_implILS8_3ELb0ES6_jNS0_17counting_iteratorIjlEEPS9_SE_NS0_5tupleIJPjSE_EEENSF_IJSE_SE_EEES9_SG_JZNS1_25segmented_radix_sort_implINS0_14default_configELb0EPKdPdPKlPlN2at6native12_GLOBAL__N_18offset_tEEE10hipError_tPvRmT1_PNSt15iterator_traitsISY_E10value_typeET2_T3_PNSZ_IS14_E10value_typeET4_jRbjT5_S1A_jjP12ihipStream_tbEUljE_EEESV_SW_SX_S14_S18_S1A_T6_T7_T9_mT8_S1C_bDpT10_ENKUlT_T0_E_clISt17integral_constantIbLb0EES1O_IbLb1EEEEDaS1K_S1L_EUlS1K_E_NS1_11comp_targetILNS1_3genE10ELNS1_11target_archE1200ELNS1_3gpuE4ELNS1_3repE0EEENS1_30default_config_static_selectorELNS0_4arch9wavefront6targetE0EEEvSY_: ; @_ZN7rocprim17ROCPRIM_400000_NS6detail17trampoline_kernelINS0_13select_configILj256ELj13ELNS0_17block_load_methodE3ELS4_3ELS4_3ELNS0_20block_scan_algorithmE0ELj4294967295EEENS1_25partition_config_selectorILNS1_17partition_subalgoE3EjNS0_10empty_typeEbEEZZNS1_14partition_implILS8_3ELb0ES6_jNS0_17counting_iteratorIjlEEPS9_SE_NS0_5tupleIJPjSE_EEENSF_IJSE_SE_EEES9_SG_JZNS1_25segmented_radix_sort_implINS0_14default_configELb0EPKdPdPKlPlN2at6native12_GLOBAL__N_18offset_tEEE10hipError_tPvRmT1_PNSt15iterator_traitsISY_E10value_typeET2_T3_PNSZ_IS14_E10value_typeET4_jRbjT5_S1A_jjP12ihipStream_tbEUljE_EEESV_SW_SX_S14_S18_S1A_T6_T7_T9_mT8_S1C_bDpT10_ENKUlT_T0_E_clISt17integral_constantIbLb0EES1O_IbLb1EEEEDaS1K_S1L_EUlS1K_E_NS1_11comp_targetILNS1_3genE10ELNS1_11target_archE1200ELNS1_3gpuE4ELNS1_3repE0EEENS1_30default_config_static_selectorELNS0_4arch9wavefront6targetE0EEEvSY_
; %bb.0:
	.section	.rodata,"a",@progbits
	.p2align	6, 0x0
	.amdhsa_kernel _ZN7rocprim17ROCPRIM_400000_NS6detail17trampoline_kernelINS0_13select_configILj256ELj13ELNS0_17block_load_methodE3ELS4_3ELS4_3ELNS0_20block_scan_algorithmE0ELj4294967295EEENS1_25partition_config_selectorILNS1_17partition_subalgoE3EjNS0_10empty_typeEbEEZZNS1_14partition_implILS8_3ELb0ES6_jNS0_17counting_iteratorIjlEEPS9_SE_NS0_5tupleIJPjSE_EEENSF_IJSE_SE_EEES9_SG_JZNS1_25segmented_radix_sort_implINS0_14default_configELb0EPKdPdPKlPlN2at6native12_GLOBAL__N_18offset_tEEE10hipError_tPvRmT1_PNSt15iterator_traitsISY_E10value_typeET2_T3_PNSZ_IS14_E10value_typeET4_jRbjT5_S1A_jjP12ihipStream_tbEUljE_EEESV_SW_SX_S14_S18_S1A_T6_T7_T9_mT8_S1C_bDpT10_ENKUlT_T0_E_clISt17integral_constantIbLb0EES1O_IbLb1EEEEDaS1K_S1L_EUlS1K_E_NS1_11comp_targetILNS1_3genE10ELNS1_11target_archE1200ELNS1_3gpuE4ELNS1_3repE0EEENS1_30default_config_static_selectorELNS0_4arch9wavefront6targetE0EEEvSY_
		.amdhsa_group_segment_fixed_size 0
		.amdhsa_private_segment_fixed_size 0
		.amdhsa_kernarg_size 152
		.amdhsa_user_sgpr_count 15
		.amdhsa_user_sgpr_dispatch_ptr 0
		.amdhsa_user_sgpr_queue_ptr 0
		.amdhsa_user_sgpr_kernarg_segment_ptr 1
		.amdhsa_user_sgpr_dispatch_id 0
		.amdhsa_user_sgpr_private_segment_size 0
		.amdhsa_wavefront_size32 1
		.amdhsa_uses_dynamic_stack 0
		.amdhsa_enable_private_segment 0
		.amdhsa_system_sgpr_workgroup_id_x 1
		.amdhsa_system_sgpr_workgroup_id_y 0
		.amdhsa_system_sgpr_workgroup_id_z 0
		.amdhsa_system_sgpr_workgroup_info 0
		.amdhsa_system_vgpr_workitem_id 0
		.amdhsa_next_free_vgpr 1
		.amdhsa_next_free_sgpr 1
		.amdhsa_reserve_vcc 0
		.amdhsa_float_round_mode_32 0
		.amdhsa_float_round_mode_16_64 0
		.amdhsa_float_denorm_mode_32 3
		.amdhsa_float_denorm_mode_16_64 3
		.amdhsa_dx10_clamp 1
		.amdhsa_ieee_mode 1
		.amdhsa_fp16_overflow 0
		.amdhsa_workgroup_processor_mode 1
		.amdhsa_memory_ordered 1
		.amdhsa_forward_progress 0
		.amdhsa_shared_vgpr_count 0
		.amdhsa_exception_fp_ieee_invalid_op 0
		.amdhsa_exception_fp_denorm_src 0
		.amdhsa_exception_fp_ieee_div_zero 0
		.amdhsa_exception_fp_ieee_overflow 0
		.amdhsa_exception_fp_ieee_underflow 0
		.amdhsa_exception_fp_ieee_inexact 0
		.amdhsa_exception_int_div_zero 0
	.end_amdhsa_kernel
	.section	.text._ZN7rocprim17ROCPRIM_400000_NS6detail17trampoline_kernelINS0_13select_configILj256ELj13ELNS0_17block_load_methodE3ELS4_3ELS4_3ELNS0_20block_scan_algorithmE0ELj4294967295EEENS1_25partition_config_selectorILNS1_17partition_subalgoE3EjNS0_10empty_typeEbEEZZNS1_14partition_implILS8_3ELb0ES6_jNS0_17counting_iteratorIjlEEPS9_SE_NS0_5tupleIJPjSE_EEENSF_IJSE_SE_EEES9_SG_JZNS1_25segmented_radix_sort_implINS0_14default_configELb0EPKdPdPKlPlN2at6native12_GLOBAL__N_18offset_tEEE10hipError_tPvRmT1_PNSt15iterator_traitsISY_E10value_typeET2_T3_PNSZ_IS14_E10value_typeET4_jRbjT5_S1A_jjP12ihipStream_tbEUljE_EEESV_SW_SX_S14_S18_S1A_T6_T7_T9_mT8_S1C_bDpT10_ENKUlT_T0_E_clISt17integral_constantIbLb0EES1O_IbLb1EEEEDaS1K_S1L_EUlS1K_E_NS1_11comp_targetILNS1_3genE10ELNS1_11target_archE1200ELNS1_3gpuE4ELNS1_3repE0EEENS1_30default_config_static_selectorELNS0_4arch9wavefront6targetE0EEEvSY_,"axG",@progbits,_ZN7rocprim17ROCPRIM_400000_NS6detail17trampoline_kernelINS0_13select_configILj256ELj13ELNS0_17block_load_methodE3ELS4_3ELS4_3ELNS0_20block_scan_algorithmE0ELj4294967295EEENS1_25partition_config_selectorILNS1_17partition_subalgoE3EjNS0_10empty_typeEbEEZZNS1_14partition_implILS8_3ELb0ES6_jNS0_17counting_iteratorIjlEEPS9_SE_NS0_5tupleIJPjSE_EEENSF_IJSE_SE_EEES9_SG_JZNS1_25segmented_radix_sort_implINS0_14default_configELb0EPKdPdPKlPlN2at6native12_GLOBAL__N_18offset_tEEE10hipError_tPvRmT1_PNSt15iterator_traitsISY_E10value_typeET2_T3_PNSZ_IS14_E10value_typeET4_jRbjT5_S1A_jjP12ihipStream_tbEUljE_EEESV_SW_SX_S14_S18_S1A_T6_T7_T9_mT8_S1C_bDpT10_ENKUlT_T0_E_clISt17integral_constantIbLb0EES1O_IbLb1EEEEDaS1K_S1L_EUlS1K_E_NS1_11comp_targetILNS1_3genE10ELNS1_11target_archE1200ELNS1_3gpuE4ELNS1_3repE0EEENS1_30default_config_static_selectorELNS0_4arch9wavefront6targetE0EEEvSY_,comdat
.Lfunc_end1218:
	.size	_ZN7rocprim17ROCPRIM_400000_NS6detail17trampoline_kernelINS0_13select_configILj256ELj13ELNS0_17block_load_methodE3ELS4_3ELS4_3ELNS0_20block_scan_algorithmE0ELj4294967295EEENS1_25partition_config_selectorILNS1_17partition_subalgoE3EjNS0_10empty_typeEbEEZZNS1_14partition_implILS8_3ELb0ES6_jNS0_17counting_iteratorIjlEEPS9_SE_NS0_5tupleIJPjSE_EEENSF_IJSE_SE_EEES9_SG_JZNS1_25segmented_radix_sort_implINS0_14default_configELb0EPKdPdPKlPlN2at6native12_GLOBAL__N_18offset_tEEE10hipError_tPvRmT1_PNSt15iterator_traitsISY_E10value_typeET2_T3_PNSZ_IS14_E10value_typeET4_jRbjT5_S1A_jjP12ihipStream_tbEUljE_EEESV_SW_SX_S14_S18_S1A_T6_T7_T9_mT8_S1C_bDpT10_ENKUlT_T0_E_clISt17integral_constantIbLb0EES1O_IbLb1EEEEDaS1K_S1L_EUlS1K_E_NS1_11comp_targetILNS1_3genE10ELNS1_11target_archE1200ELNS1_3gpuE4ELNS1_3repE0EEENS1_30default_config_static_selectorELNS0_4arch9wavefront6targetE0EEEvSY_, .Lfunc_end1218-_ZN7rocprim17ROCPRIM_400000_NS6detail17trampoline_kernelINS0_13select_configILj256ELj13ELNS0_17block_load_methodE3ELS4_3ELS4_3ELNS0_20block_scan_algorithmE0ELj4294967295EEENS1_25partition_config_selectorILNS1_17partition_subalgoE3EjNS0_10empty_typeEbEEZZNS1_14partition_implILS8_3ELb0ES6_jNS0_17counting_iteratorIjlEEPS9_SE_NS0_5tupleIJPjSE_EEENSF_IJSE_SE_EEES9_SG_JZNS1_25segmented_radix_sort_implINS0_14default_configELb0EPKdPdPKlPlN2at6native12_GLOBAL__N_18offset_tEEE10hipError_tPvRmT1_PNSt15iterator_traitsISY_E10value_typeET2_T3_PNSZ_IS14_E10value_typeET4_jRbjT5_S1A_jjP12ihipStream_tbEUljE_EEESV_SW_SX_S14_S18_S1A_T6_T7_T9_mT8_S1C_bDpT10_ENKUlT_T0_E_clISt17integral_constantIbLb0EES1O_IbLb1EEEEDaS1K_S1L_EUlS1K_E_NS1_11comp_targetILNS1_3genE10ELNS1_11target_archE1200ELNS1_3gpuE4ELNS1_3repE0EEENS1_30default_config_static_selectorELNS0_4arch9wavefront6targetE0EEEvSY_
                                        ; -- End function
	.section	.AMDGPU.csdata,"",@progbits
; Kernel info:
; codeLenInByte = 0
; NumSgprs: 0
; NumVgprs: 0
; ScratchSize: 0
; MemoryBound: 0
; FloatMode: 240
; IeeeMode: 1
; LDSByteSize: 0 bytes/workgroup (compile time only)
; SGPRBlocks: 0
; VGPRBlocks: 0
; NumSGPRsForWavesPerEU: 1
; NumVGPRsForWavesPerEU: 1
; Occupancy: 16
; WaveLimiterHint : 0
; COMPUTE_PGM_RSRC2:SCRATCH_EN: 0
; COMPUTE_PGM_RSRC2:USER_SGPR: 15
; COMPUTE_PGM_RSRC2:TRAP_HANDLER: 0
; COMPUTE_PGM_RSRC2:TGID_X_EN: 1
; COMPUTE_PGM_RSRC2:TGID_Y_EN: 0
; COMPUTE_PGM_RSRC2:TGID_Z_EN: 0
; COMPUTE_PGM_RSRC2:TIDIG_COMP_CNT: 0
	.section	.text._ZN7rocprim17ROCPRIM_400000_NS6detail17trampoline_kernelINS0_13select_configILj256ELj13ELNS0_17block_load_methodE3ELS4_3ELS4_3ELNS0_20block_scan_algorithmE0ELj4294967295EEENS1_25partition_config_selectorILNS1_17partition_subalgoE3EjNS0_10empty_typeEbEEZZNS1_14partition_implILS8_3ELb0ES6_jNS0_17counting_iteratorIjlEEPS9_SE_NS0_5tupleIJPjSE_EEENSF_IJSE_SE_EEES9_SG_JZNS1_25segmented_radix_sort_implINS0_14default_configELb0EPKdPdPKlPlN2at6native12_GLOBAL__N_18offset_tEEE10hipError_tPvRmT1_PNSt15iterator_traitsISY_E10value_typeET2_T3_PNSZ_IS14_E10value_typeET4_jRbjT5_S1A_jjP12ihipStream_tbEUljE_EEESV_SW_SX_S14_S18_S1A_T6_T7_T9_mT8_S1C_bDpT10_ENKUlT_T0_E_clISt17integral_constantIbLb0EES1O_IbLb1EEEEDaS1K_S1L_EUlS1K_E_NS1_11comp_targetILNS1_3genE9ELNS1_11target_archE1100ELNS1_3gpuE3ELNS1_3repE0EEENS1_30default_config_static_selectorELNS0_4arch9wavefront6targetE0EEEvSY_,"axG",@progbits,_ZN7rocprim17ROCPRIM_400000_NS6detail17trampoline_kernelINS0_13select_configILj256ELj13ELNS0_17block_load_methodE3ELS4_3ELS4_3ELNS0_20block_scan_algorithmE0ELj4294967295EEENS1_25partition_config_selectorILNS1_17partition_subalgoE3EjNS0_10empty_typeEbEEZZNS1_14partition_implILS8_3ELb0ES6_jNS0_17counting_iteratorIjlEEPS9_SE_NS0_5tupleIJPjSE_EEENSF_IJSE_SE_EEES9_SG_JZNS1_25segmented_radix_sort_implINS0_14default_configELb0EPKdPdPKlPlN2at6native12_GLOBAL__N_18offset_tEEE10hipError_tPvRmT1_PNSt15iterator_traitsISY_E10value_typeET2_T3_PNSZ_IS14_E10value_typeET4_jRbjT5_S1A_jjP12ihipStream_tbEUljE_EEESV_SW_SX_S14_S18_S1A_T6_T7_T9_mT8_S1C_bDpT10_ENKUlT_T0_E_clISt17integral_constantIbLb0EES1O_IbLb1EEEEDaS1K_S1L_EUlS1K_E_NS1_11comp_targetILNS1_3genE9ELNS1_11target_archE1100ELNS1_3gpuE3ELNS1_3repE0EEENS1_30default_config_static_selectorELNS0_4arch9wavefront6targetE0EEEvSY_,comdat
	.globl	_ZN7rocprim17ROCPRIM_400000_NS6detail17trampoline_kernelINS0_13select_configILj256ELj13ELNS0_17block_load_methodE3ELS4_3ELS4_3ELNS0_20block_scan_algorithmE0ELj4294967295EEENS1_25partition_config_selectorILNS1_17partition_subalgoE3EjNS0_10empty_typeEbEEZZNS1_14partition_implILS8_3ELb0ES6_jNS0_17counting_iteratorIjlEEPS9_SE_NS0_5tupleIJPjSE_EEENSF_IJSE_SE_EEES9_SG_JZNS1_25segmented_radix_sort_implINS0_14default_configELb0EPKdPdPKlPlN2at6native12_GLOBAL__N_18offset_tEEE10hipError_tPvRmT1_PNSt15iterator_traitsISY_E10value_typeET2_T3_PNSZ_IS14_E10value_typeET4_jRbjT5_S1A_jjP12ihipStream_tbEUljE_EEESV_SW_SX_S14_S18_S1A_T6_T7_T9_mT8_S1C_bDpT10_ENKUlT_T0_E_clISt17integral_constantIbLb0EES1O_IbLb1EEEEDaS1K_S1L_EUlS1K_E_NS1_11comp_targetILNS1_3genE9ELNS1_11target_archE1100ELNS1_3gpuE3ELNS1_3repE0EEENS1_30default_config_static_selectorELNS0_4arch9wavefront6targetE0EEEvSY_ ; -- Begin function _ZN7rocprim17ROCPRIM_400000_NS6detail17trampoline_kernelINS0_13select_configILj256ELj13ELNS0_17block_load_methodE3ELS4_3ELS4_3ELNS0_20block_scan_algorithmE0ELj4294967295EEENS1_25partition_config_selectorILNS1_17partition_subalgoE3EjNS0_10empty_typeEbEEZZNS1_14partition_implILS8_3ELb0ES6_jNS0_17counting_iteratorIjlEEPS9_SE_NS0_5tupleIJPjSE_EEENSF_IJSE_SE_EEES9_SG_JZNS1_25segmented_radix_sort_implINS0_14default_configELb0EPKdPdPKlPlN2at6native12_GLOBAL__N_18offset_tEEE10hipError_tPvRmT1_PNSt15iterator_traitsISY_E10value_typeET2_T3_PNSZ_IS14_E10value_typeET4_jRbjT5_S1A_jjP12ihipStream_tbEUljE_EEESV_SW_SX_S14_S18_S1A_T6_T7_T9_mT8_S1C_bDpT10_ENKUlT_T0_E_clISt17integral_constantIbLb0EES1O_IbLb1EEEEDaS1K_S1L_EUlS1K_E_NS1_11comp_targetILNS1_3genE9ELNS1_11target_archE1100ELNS1_3gpuE3ELNS1_3repE0EEENS1_30default_config_static_selectorELNS0_4arch9wavefront6targetE0EEEvSY_
	.p2align	8
	.type	_ZN7rocprim17ROCPRIM_400000_NS6detail17trampoline_kernelINS0_13select_configILj256ELj13ELNS0_17block_load_methodE3ELS4_3ELS4_3ELNS0_20block_scan_algorithmE0ELj4294967295EEENS1_25partition_config_selectorILNS1_17partition_subalgoE3EjNS0_10empty_typeEbEEZZNS1_14partition_implILS8_3ELb0ES6_jNS0_17counting_iteratorIjlEEPS9_SE_NS0_5tupleIJPjSE_EEENSF_IJSE_SE_EEES9_SG_JZNS1_25segmented_radix_sort_implINS0_14default_configELb0EPKdPdPKlPlN2at6native12_GLOBAL__N_18offset_tEEE10hipError_tPvRmT1_PNSt15iterator_traitsISY_E10value_typeET2_T3_PNSZ_IS14_E10value_typeET4_jRbjT5_S1A_jjP12ihipStream_tbEUljE_EEESV_SW_SX_S14_S18_S1A_T6_T7_T9_mT8_S1C_bDpT10_ENKUlT_T0_E_clISt17integral_constantIbLb0EES1O_IbLb1EEEEDaS1K_S1L_EUlS1K_E_NS1_11comp_targetILNS1_3genE9ELNS1_11target_archE1100ELNS1_3gpuE3ELNS1_3repE0EEENS1_30default_config_static_selectorELNS0_4arch9wavefront6targetE0EEEvSY_,@function
_ZN7rocprim17ROCPRIM_400000_NS6detail17trampoline_kernelINS0_13select_configILj256ELj13ELNS0_17block_load_methodE3ELS4_3ELS4_3ELNS0_20block_scan_algorithmE0ELj4294967295EEENS1_25partition_config_selectorILNS1_17partition_subalgoE3EjNS0_10empty_typeEbEEZZNS1_14partition_implILS8_3ELb0ES6_jNS0_17counting_iteratorIjlEEPS9_SE_NS0_5tupleIJPjSE_EEENSF_IJSE_SE_EEES9_SG_JZNS1_25segmented_radix_sort_implINS0_14default_configELb0EPKdPdPKlPlN2at6native12_GLOBAL__N_18offset_tEEE10hipError_tPvRmT1_PNSt15iterator_traitsISY_E10value_typeET2_T3_PNSZ_IS14_E10value_typeET4_jRbjT5_S1A_jjP12ihipStream_tbEUljE_EEESV_SW_SX_S14_S18_S1A_T6_T7_T9_mT8_S1C_bDpT10_ENKUlT_T0_E_clISt17integral_constantIbLb0EES1O_IbLb1EEEEDaS1K_S1L_EUlS1K_E_NS1_11comp_targetILNS1_3genE9ELNS1_11target_archE1100ELNS1_3gpuE3ELNS1_3repE0EEENS1_30default_config_static_selectorELNS0_4arch9wavefront6targetE0EEEvSY_: ; @_ZN7rocprim17ROCPRIM_400000_NS6detail17trampoline_kernelINS0_13select_configILj256ELj13ELNS0_17block_load_methodE3ELS4_3ELS4_3ELNS0_20block_scan_algorithmE0ELj4294967295EEENS1_25partition_config_selectorILNS1_17partition_subalgoE3EjNS0_10empty_typeEbEEZZNS1_14partition_implILS8_3ELb0ES6_jNS0_17counting_iteratorIjlEEPS9_SE_NS0_5tupleIJPjSE_EEENSF_IJSE_SE_EEES9_SG_JZNS1_25segmented_radix_sort_implINS0_14default_configELb0EPKdPdPKlPlN2at6native12_GLOBAL__N_18offset_tEEE10hipError_tPvRmT1_PNSt15iterator_traitsISY_E10value_typeET2_T3_PNSZ_IS14_E10value_typeET4_jRbjT5_S1A_jjP12ihipStream_tbEUljE_EEESV_SW_SX_S14_S18_S1A_T6_T7_T9_mT8_S1C_bDpT10_ENKUlT_T0_E_clISt17integral_constantIbLb0EES1O_IbLb1EEEEDaS1K_S1L_EUlS1K_E_NS1_11comp_targetILNS1_3genE9ELNS1_11target_archE1100ELNS1_3gpuE3ELNS1_3repE0EEENS1_30default_config_static_selectorELNS0_4arch9wavefront6targetE0EEEvSY_
; %bb.0:
	s_clause 0x6
	s_load_b64 s[16:17], s[0:1], 0x10
	s_load_b64 s[12:13], s[0:1], 0x28
	;; [unrolled: 1-line block ×3, first 2 shown]
	s_load_b128 s[8:11], s[0:1], 0x48
	s_load_b32 s3, s[0:1], 0x90
	s_load_b64 s[18:19], s[0:1], 0x68
	s_load_b128 s[4:7], s[0:1], 0x80
	v_cmp_eq_u32_e64 s2, 0, v0
	s_delay_alu instid0(VALU_DEP_1)
	s_and_saveexec_b32 s20, s2
	s_cbranch_execz .LBB1219_4
; %bb.1:
	s_mov_b32 s22, exec_lo
	s_mov_b32 s21, exec_lo
	v_mbcnt_lo_u32_b32 v1, s22, 0
                                        ; implicit-def: $vgpr2
	s_delay_alu instid0(VALU_DEP_1)
	v_cmpx_eq_u32_e32 0, v1
	s_cbranch_execz .LBB1219_3
; %bb.2:
	s_load_b64 s[24:25], s[0:1], 0x78
	s_bcnt1_i32_b32 s22, s22
	s_delay_alu instid0(SALU_CYCLE_1)
	v_dual_mov_b32 v2, 0 :: v_dual_mov_b32 v3, s22
	s_waitcnt lgkmcnt(0)
	global_atomic_add_u32 v2, v2, v3, s[24:25] glc
.LBB1219_3:
	s_or_b32 exec_lo, exec_lo, s21
	s_waitcnt vmcnt(0)
	v_readfirstlane_b32 s21, v2
	s_delay_alu instid0(VALU_DEP_1)
	v_dual_mov_b32 v2, 0 :: v_dual_add_nc_u32 v1, s21, v1
	ds_store_b32 v2, v1
.LBB1219_4:
	s_or_b32 exec_lo, exec_lo, s20
	v_mov_b32_e32 v1, 0
	s_clause 0x1
	s_load_b32 s20, s[0:1], 0x8
	s_load_b32 s0, s[0:1], 0x70
	s_waitcnt lgkmcnt(0)
	s_barrier
	buffer_gl0_inv
	ds_load_b32 v2, v1
	s_waitcnt lgkmcnt(0)
	s_barrier
	buffer_gl0_inv
	global_load_b64 v[18:19], v1, s[10:11]
	v_lshlrev_b32_e32 v33, 2, v0
	s_add_i32 s21, s20, s16
	s_mul_i32 s1, s0, 0xd00
	s_add_i32 s0, s0, -1
	s_add_u32 s10, s16, s1
	s_addc_u32 s11, s17, 0
	v_mul_lo_u32 v32, 0xd00, v2
	v_readfirstlane_b32 s20, v2
	v_cmp_lt_u64_e64 s11, s[10:11], s[14:15]
	v_cmp_ne_u32_e32 vcc_lo, s0, v2
	s_delay_alu instid0(VALU_DEP_3) | instskip(SKIP_1) | instid1(VALU_DEP_4)
	s_cmp_eq_u32 s20, s0
	s_cselect_b32 s10, -1, 0
	v_add3_u32 v1, v32, s21, v0
	s_delay_alu instid0(VALU_DEP_3) | instskip(SKIP_2) | instid1(VALU_DEP_1)
	s_or_b32 s0, s11, vcc_lo
	s_mov_b32 s11, -1
	s_and_b32 vcc_lo, exec_lo, s0
	v_add_nc_u32_e32 v2, 0x100, v1
	v_add_nc_u32_e32 v3, 0x200, v1
	;; [unrolled: 1-line block ×12, first 2 shown]
	s_cbranch_vccz .LBB1219_6
; %bb.5:
	ds_store_2addr_stride64_b32 v33, v1, v2 offset1:4
	ds_store_2addr_stride64_b32 v33, v3, v4 offset0:8 offset1:12
	ds_store_2addr_stride64_b32 v33, v5, v6 offset0:16 offset1:20
	;; [unrolled: 1-line block ×5, first 2 shown]
	ds_store_b32 v33, v13 offset:12288
	s_waitcnt vmcnt(0) lgkmcnt(0)
	s_mov_b32 s11, 0
	s_barrier
.LBB1219_6:
	s_and_not1_b32 vcc_lo, exec_lo, s11
	s_add_i32 s1, s1, s16
	s_cbranch_vccnz .LBB1219_8
; %bb.7:
	ds_store_2addr_stride64_b32 v33, v1, v2 offset1:4
	ds_store_2addr_stride64_b32 v33, v3, v4 offset0:8 offset1:12
	ds_store_2addr_stride64_b32 v33, v5, v6 offset0:16 offset1:20
	;; [unrolled: 1-line block ×5, first 2 shown]
	ds_store_b32 v33, v13 offset:12288
	s_waitcnt vmcnt(0) lgkmcnt(0)
	s_barrier
.LBB1219_8:
	v_mul_u32_u24_e32 v36, 13, v0
	s_waitcnt vmcnt(0)
	buffer_gl0_inv
	v_cndmask_b32_e64 v34, 0, 1, s0
	s_sub_i32 s11, s14, s1
	s_and_not1_b32 vcc_lo, exec_lo, s0
	v_lshlrev_b32_e32 v1, 2, v36
	ds_load_2addr_b32 v[30:31], v1 offset1:1
	ds_load_2addr_b32 v[28:29], v1 offset0:2 offset1:3
	ds_load_2addr_b32 v[26:27], v1 offset0:4 offset1:5
	;; [unrolled: 1-line block ×5, first 2 shown]
	ds_load_b32 v35, v1 offset:48
	s_waitcnt lgkmcnt(0)
	s_barrier
	buffer_gl0_inv
	s_cbranch_vccnz .LBB1219_10
; %bb.9:
	v_add_nc_u32_e32 v1, s5, v30
	v_add_nc_u32_e32 v2, s7, v30
	;; [unrolled: 1-line block ×5, first 2 shown]
	v_mul_lo_u32 v1, v1, s4
	v_mul_lo_u32 v2, v2, s6
	;; [unrolled: 1-line block ×4, first 2 shown]
	v_add_nc_u32_e32 v6, s7, v28
	v_add_nc_u32_e32 v7, s5, v29
	;; [unrolled: 1-line block ×3, first 2 shown]
	v_mul_lo_u32 v5, v5, s4
	v_add_nc_u32_e32 v9, s5, v24
	v_sub_nc_u32_e32 v1, v1, v2
	v_mul_lo_u32 v2, v6, s6
	v_sub_nc_u32_e32 v3, v3, v4
	v_mul_lo_u32 v4, v7, s4
	v_mul_lo_u32 v6, v8, s6
	v_add_nc_u32_e32 v7, s5, v26
	v_cmp_lt_u32_e32 vcc_lo, s3, v1
	v_add_nc_u32_e32 v8, s5, v27
	v_add_nc_u32_e32 v10, s7, v24
	v_sub_nc_u32_e32 v2, v5, v2
	v_add_nc_u32_e32 v5, s7, v26
	v_cndmask_b32_e64 v1, 0, 1, vcc_lo
	v_sub_nc_u32_e32 v4, v4, v6
	v_mul_lo_u32 v6, v7, s4
	v_add_nc_u32_e32 v7, s7, v27
	v_cmp_lt_u32_e32 vcc_lo, s3, v3
	v_mul_lo_u32 v5, v5, s6
	v_mul_lo_u32 v8, v8, s4
	v_mul_lo_u32 v9, v9, s4
	v_mul_lo_u32 v7, v7, s6
	v_cndmask_b32_e64 v3, 0, 1, vcc_lo
	v_cmp_lt_u32_e32 vcc_lo, s3, v2
	v_mul_lo_u32 v10, v10, s6
	v_add_nc_u32_e32 v11, s5, v22
	v_sub_nc_u32_e32 v5, v6, v5
	v_add_nc_u32_e32 v12, s7, v22
	v_cndmask_b32_e64 v2, 0, 1, vcc_lo
	v_sub_nc_u32_e32 v6, v8, v7
	v_add_nc_u32_e32 v7, s5, v25
	v_add_nc_u32_e32 v8, s7, v25
	v_cmp_lt_u32_e32 vcc_lo, s3, v4
	v_sub_nc_u32_e32 v9, v9, v10
	v_mul_lo_u32 v10, v11, s4
	v_mul_lo_u32 v7, v7, s4
	;; [unrolled: 1-line block ×4, first 2 shown]
	v_cndmask_b32_e64 v4, 0, 1, vcc_lo
	v_cmp_lt_u32_e32 vcc_lo, s3, v5
	v_add_nc_u32_e32 v12, s5, v23
	v_add_nc_u32_e32 v13, s7, v20
	;; [unrolled: 1-line block ×4, first 2 shown]
	v_cndmask_b32_e64 v5, 0, 1, vcc_lo
	v_cmp_lt_u32_e32 vcc_lo, s3, v6
	v_sub_nc_u32_e32 v7, v7, v8
	v_sub_nc_u32_e32 v8, v10, v11
	v_add_nc_u32_e32 v11, s7, v23
	v_mul_lo_u32 v10, v12, s4
	v_cndmask_b32_e64 v6, 0, 1, vcc_lo
	v_cmp_lt_u32_e32 vcc_lo, s3, v9
	v_add_nc_u32_e32 v12, s5, v20
	v_mul_lo_u32 v11, v11, s6
	v_mul_lo_u32 v13, v13, s6
	;; [unrolled: 1-line block ×3, first 2 shown]
	v_cndmask_b32_e64 v9, 0, 1, vcc_lo
	v_cmp_lt_u32_e32 vcc_lo, s3, v7
	v_mul_lo_u32 v12, v12, s4
	v_mul_lo_u32 v15, v15, s6
	v_lshlrev_b16 v3, 8, v3
	v_sub_nc_u32_e32 v10, v10, v11
	v_cndmask_b32_e64 v7, 0, 1, vcc_lo
	v_cmp_lt_u32_e32 vcc_lo, s3, v8
	v_add_nc_u32_e32 v11, s5, v35
	v_or_b32_e32 v1, v1, v3
	v_sub_nc_u32_e32 v12, v12, v13
	v_sub_nc_u32_e32 v13, v14, v15
	v_cndmask_b32_e64 v8, 0, 1, vcc_lo
	v_cmp_lt_u32_e32 vcc_lo, s3, v10
	v_add_nc_u32_e32 v16, s7, v35
	v_mul_lo_u32 v11, v11, s4
	v_lshlrev_b16 v4, 8, v4
	v_lshlrev_b16 v6, 8, v6
	v_cndmask_b32_e64 v10, 0, 1, vcc_lo
	v_cmp_lt_u32_e32 vcc_lo, s3, v12
	v_mul_lo_u32 v14, v16, s6
	v_lshlrev_b16 v7, 8, v7
	v_or_b32_e32 v2, v2, v4
	v_lshlrev_b16 v10, 8, v10
	v_cndmask_b32_e64 v3, 0, 1, vcc_lo
	v_cmp_lt_u32_e32 vcc_lo, s3, v13
	v_or_b32_e32 v4, v5, v6
	v_or_b32_e32 v5, v9, v7
	v_sub_nc_u32_e32 v11, v11, v14
	v_or_b32_e32 v6, v8, v10
	v_cndmask_b32_e64 v12, 0, 1, vcc_lo
	v_and_b32_e32 v1, 0xffff, v1
	v_lshlrev_b32_e32 v2, 16, v2
	v_and_b32_e32 v4, 0xffff, v4
	v_lshlrev_b32_e32 v5, 16, v5
	v_lshlrev_b16 v12, 8, v12
	v_and_b32_e32 v6, 0xffff, v6
	v_cmp_lt_u32_e32 vcc_lo, s3, v11
	v_or_b32_e32 v42, v1, v2
	v_or_b32_e32 v40, v4, v5
	;; [unrolled: 1-line block ×3, first 2 shown]
	v_cndmask_b32_e64 v37, 0, 1, vcc_lo
	s_delay_alu instid0(VALU_DEP_2) | instskip(NEXT) | instid1(VALU_DEP_1)
	v_lshlrev_b32_e32 v3, 16, v3
	v_or_b32_e32 v38, v6, v3
	s_addk_i32 s11, 0xd00
	s_cbranch_execz .LBB1219_11
	s_branch .LBB1219_38
.LBB1219_10:
                                        ; implicit-def: $vgpr37
                                        ; implicit-def: $vgpr38
                                        ; implicit-def: $vgpr40
                                        ; implicit-def: $vgpr42
	s_addk_i32 s11, 0xd00
.LBB1219_11:
	v_dual_mov_b32 v2, 0 :: v_dual_mov_b32 v1, 0
	s_mov_b32 s0, exec_lo
	v_cmpx_gt_u32_e64 s11, v36
; %bb.12:
	v_add_nc_u32_e32 v1, s5, v30
	v_add_nc_u32_e32 v3, s7, v30
	s_delay_alu instid0(VALU_DEP_2) | instskip(NEXT) | instid1(VALU_DEP_2)
	v_mul_lo_u32 v1, v1, s4
	v_mul_lo_u32 v3, v3, s6
	s_delay_alu instid0(VALU_DEP_1) | instskip(NEXT) | instid1(VALU_DEP_1)
	v_sub_nc_u32_e32 v1, v1, v3
	v_cmp_lt_u32_e32 vcc_lo, s3, v1
	v_cndmask_b32_e64 v1, 0, 1, vcc_lo
; %bb.13:
	s_or_b32 exec_lo, exec_lo, s0
	v_add_nc_u32_e32 v3, 1, v36
	s_mov_b32 s0, exec_lo
	s_delay_alu instid0(VALU_DEP_1)
	v_cmpx_gt_u32_e64 s11, v3
; %bb.14:
	v_add_nc_u32_e32 v2, s5, v31
	v_add_nc_u32_e32 v3, s7, v31
	s_delay_alu instid0(VALU_DEP_2) | instskip(NEXT) | instid1(VALU_DEP_2)
	v_mul_lo_u32 v2, v2, s4
	v_mul_lo_u32 v3, v3, s6
	s_delay_alu instid0(VALU_DEP_1) | instskip(NEXT) | instid1(VALU_DEP_1)
	v_sub_nc_u32_e32 v2, v2, v3
	v_cmp_lt_u32_e32 vcc_lo, s3, v2
	v_cndmask_b32_e64 v2, 0, 1, vcc_lo
; %bb.15:
	s_or_b32 exec_lo, exec_lo, s0
	v_dual_mov_b32 v4, 0 :: v_dual_add_nc_u32 v3, 2, v36
	s_delay_alu instid0(VALU_DEP_1)
	v_cmp_gt_u32_e32 vcc_lo, s11, v3
	v_mov_b32_e32 v3, 0
	s_and_saveexec_b32 s0, vcc_lo
; %bb.16:
	v_add_nc_u32_e32 v3, s5, v28
	v_add_nc_u32_e32 v5, s7, v28
	s_delay_alu instid0(VALU_DEP_2) | instskip(NEXT) | instid1(VALU_DEP_2)
	v_mul_lo_u32 v3, v3, s4
	v_mul_lo_u32 v5, v5, s6
	s_delay_alu instid0(VALU_DEP_1) | instskip(NEXT) | instid1(VALU_DEP_1)
	v_sub_nc_u32_e32 v3, v3, v5
	v_cmp_lt_u32_e32 vcc_lo, s3, v3
	v_cndmask_b32_e64 v3, 0, 1, vcc_lo
; %bb.17:
	s_or_b32 exec_lo, exec_lo, s0
	v_add_nc_u32_e32 v5, 3, v36
	s_mov_b32 s0, exec_lo
	s_delay_alu instid0(VALU_DEP_1)
	v_cmpx_gt_u32_e64 s11, v5
; %bb.18:
	v_add_nc_u32_e32 v4, s5, v29
	v_add_nc_u32_e32 v5, s7, v29
	s_delay_alu instid0(VALU_DEP_2) | instskip(NEXT) | instid1(VALU_DEP_2)
	v_mul_lo_u32 v4, v4, s4
	v_mul_lo_u32 v5, v5, s6
	s_delay_alu instid0(VALU_DEP_1) | instskip(NEXT) | instid1(VALU_DEP_1)
	v_sub_nc_u32_e32 v4, v4, v5
	v_cmp_lt_u32_e32 vcc_lo, s3, v4
	v_cndmask_b32_e64 v4, 0, 1, vcc_lo
; %bb.19:
	s_or_b32 exec_lo, exec_lo, s0
	v_dual_mov_b32 v6, 0 :: v_dual_add_nc_u32 v5, 4, v36
	s_delay_alu instid0(VALU_DEP_1)
	v_cmp_gt_u32_e32 vcc_lo, s11, v5
	v_mov_b32_e32 v5, 0
	s_and_saveexec_b32 s0, vcc_lo
	;; [unrolled: 33-line block ×5, first 2 shown]
; %bb.32:
	v_add_nc_u32_e32 v11, s5, v20
	v_add_nc_u32_e32 v13, s7, v20
	s_delay_alu instid0(VALU_DEP_2) | instskip(NEXT) | instid1(VALU_DEP_2)
	v_mul_lo_u32 v11, v11, s4
	v_mul_lo_u32 v13, v13, s6
	s_delay_alu instid0(VALU_DEP_1) | instskip(NEXT) | instid1(VALU_DEP_1)
	v_sub_nc_u32_e32 v11, v11, v13
	v_cmp_lt_u32_e32 vcc_lo, s3, v11
	v_cndmask_b32_e64 v11, 0, 1, vcc_lo
; %bb.33:
	s_or_b32 exec_lo, exec_lo, s0
	v_add_nc_u32_e32 v13, 11, v36
	s_mov_b32 s0, exec_lo
	s_delay_alu instid0(VALU_DEP_1)
	v_cmpx_gt_u32_e64 s11, v13
; %bb.34:
	v_add_nc_u32_e32 v12, s5, v21
	v_add_nc_u32_e32 v13, s7, v21
	s_delay_alu instid0(VALU_DEP_2) | instskip(NEXT) | instid1(VALU_DEP_2)
	v_mul_lo_u32 v12, v12, s4
	v_mul_lo_u32 v13, v13, s6
	s_delay_alu instid0(VALU_DEP_1) | instskip(NEXT) | instid1(VALU_DEP_1)
	v_sub_nc_u32_e32 v12, v12, v13
	v_cmp_lt_u32_e32 vcc_lo, s3, v12
	v_cndmask_b32_e64 v12, 0, 1, vcc_lo
; %bb.35:
	s_or_b32 exec_lo, exec_lo, s0
	v_add_nc_u32_e32 v13, 12, v36
	v_mov_b32_e32 v37, 0
	s_mov_b32 s0, exec_lo
	s_delay_alu instid0(VALU_DEP_2)
	v_cmpx_gt_u32_e64 s11, v13
; %bb.36:
	v_add_nc_u32_e32 v13, s5, v35
	v_add_nc_u32_e32 v14, s7, v35
	s_delay_alu instid0(VALU_DEP_2) | instskip(NEXT) | instid1(VALU_DEP_2)
	v_mul_lo_u32 v13, v13, s4
	v_mul_lo_u32 v14, v14, s6
	s_delay_alu instid0(VALU_DEP_1) | instskip(NEXT) | instid1(VALU_DEP_1)
	v_sub_nc_u32_e32 v13, v13, v14
	v_cmp_lt_u32_e32 vcc_lo, s3, v13
	v_cndmask_b32_e64 v37, 0, 1, vcc_lo
; %bb.37:
	s_or_b32 exec_lo, exec_lo, s0
	v_lshlrev_b16 v2, 8, v2
	v_lshlrev_b16 v4, 8, v4
	;; [unrolled: 1-line block ×5, first 2 shown]
	v_or_b32_e32 v1, v1, v2
	v_lshlrev_b16 v2, 8, v12
	v_or_b32_e32 v3, v3, v4
	v_or_b32_e32 v4, v5, v6
	;; [unrolled: 1-line block ×5, first 2 shown]
	v_and_b32_e32 v1, 0xffff, v1
	v_lshlrev_b32_e32 v3, 16, v3
	v_and_b32_e32 v4, 0xffff, v4
	v_lshlrev_b32_e32 v5, 16, v5
	v_and_b32_e32 v6, 0xffff, v6
	v_lshlrev_b32_e32 v2, 16, v2
	v_or_b32_e32 v42, v1, v3
	s_delay_alu instid0(VALU_DEP_4) | instskip(NEXT) | instid1(VALU_DEP_3)
	v_or_b32_e32 v40, v4, v5
	v_or_b32_e32 v38, v6, v2
.LBB1219_38:
	s_delay_alu instid0(VALU_DEP_3)
	v_and_b32_e32 v44, 0xff, v42
	v_bfe_u32 v45, v42, 8, 8
	v_bfe_u32 v46, v42, 16, 8
	v_lshrrev_b32_e32 v43, 24, v42
	v_and_b32_e32 v47, 0xff, v40
	v_bfe_u32 v48, v40, 8, 8
	v_bfe_u32 v49, v40, 16, 8
	v_add3_u32 v1, v45, v44, v46
	v_lshrrev_b32_e32 v41, 24, v40
	v_and_b32_e32 v50, 0xff, v38
	v_bfe_u32 v51, v38, 8, 8
	v_mbcnt_lo_u32_b32 v53, -1, 0
	v_add3_u32 v1, v1, v43, v47
	v_bfe_u32 v52, v38, 16, 8
	v_lshrrev_b32_e32 v39, 24, v38
	v_and_b32_e32 v2, 0xff, v37
	v_and_b32_e32 v3, 15, v53
	v_add3_u32 v1, v1, v48, v49
	v_or_b32_e32 v4, 31, v0
	v_and_b32_e32 v5, 16, v53
	v_lshrrev_b32_e32 v54, 5, v0
	v_cmp_eq_u32_e64 s6, 0, v3
	v_add3_u32 v1, v1, v41, v50
	v_cmp_lt_u32_e64 s5, 1, v3
	v_cmp_lt_u32_e64 s4, 3, v3
	;; [unrolled: 1-line block ×3, first 2 shown]
	v_cmp_eq_u32_e64 s1, 0, v5
	v_add3_u32 v1, v1, v51, v52
	v_cmp_eq_u32_e64 s0, v4, v0
	s_cmp_lg_u32 s20, 0
	s_mov_b32 s7, -1
	s_delay_alu instid0(VALU_DEP_2)
	v_add3_u32 v55, v1, v39, v2
	s_cbranch_scc0 .LBB1219_64
; %bb.39:
	s_delay_alu instid0(VALU_DEP_1) | instskip(NEXT) | instid1(VALU_DEP_1)
	v_mov_b32_dpp v1, v55 row_shr:1 row_mask:0xf bank_mask:0xf
	v_cndmask_b32_e64 v1, v1, 0, s6
	s_delay_alu instid0(VALU_DEP_1) | instskip(NEXT) | instid1(VALU_DEP_1)
	v_add_nc_u32_e32 v1, v1, v55
	v_mov_b32_dpp v2, v1 row_shr:2 row_mask:0xf bank_mask:0xf
	s_delay_alu instid0(VALU_DEP_1) | instskip(NEXT) | instid1(VALU_DEP_1)
	v_cndmask_b32_e64 v2, 0, v2, s5
	v_add_nc_u32_e32 v1, v1, v2
	s_delay_alu instid0(VALU_DEP_1) | instskip(NEXT) | instid1(VALU_DEP_1)
	v_mov_b32_dpp v2, v1 row_shr:4 row_mask:0xf bank_mask:0xf
	v_cndmask_b32_e64 v2, 0, v2, s4
	s_delay_alu instid0(VALU_DEP_1) | instskip(NEXT) | instid1(VALU_DEP_1)
	v_add_nc_u32_e32 v1, v1, v2
	v_mov_b32_dpp v2, v1 row_shr:8 row_mask:0xf bank_mask:0xf
	s_delay_alu instid0(VALU_DEP_1) | instskip(NEXT) | instid1(VALU_DEP_1)
	v_cndmask_b32_e64 v2, 0, v2, s3
	v_add_nc_u32_e32 v1, v1, v2
	ds_swizzle_b32 v2, v1 offset:swizzle(BROADCAST,32,15)
	s_waitcnt lgkmcnt(0)
	v_cndmask_b32_e64 v2, v2, 0, s1
	s_delay_alu instid0(VALU_DEP_1)
	v_add_nc_u32_e32 v1, v1, v2
	s_and_saveexec_b32 s7, s0
	s_cbranch_execz .LBB1219_41
; %bb.40:
	v_lshlrev_b32_e32 v2, 2, v54
	ds_store_b32 v2, v1
.LBB1219_41:
	s_or_b32 exec_lo, exec_lo, s7
	s_delay_alu instid0(SALU_CYCLE_1)
	s_mov_b32 s7, exec_lo
	s_waitcnt lgkmcnt(0)
	s_barrier
	buffer_gl0_inv
	v_cmpx_gt_u32_e32 8, v0
	s_cbranch_execz .LBB1219_43
; %bb.42:
	ds_load_b32 v2, v33
	s_waitcnt lgkmcnt(0)
	v_mov_b32_dpp v4, v2 row_shr:1 row_mask:0xf bank_mask:0xf
	v_and_b32_e32 v3, 7, v53
	s_delay_alu instid0(VALU_DEP_1) | instskip(NEXT) | instid1(VALU_DEP_3)
	v_cmp_ne_u32_e32 vcc_lo, 0, v3
	v_cndmask_b32_e32 v4, 0, v4, vcc_lo
	v_cmp_lt_u32_e32 vcc_lo, 1, v3
	s_delay_alu instid0(VALU_DEP_2) | instskip(NEXT) | instid1(VALU_DEP_1)
	v_add_nc_u32_e32 v2, v4, v2
	v_mov_b32_dpp v4, v2 row_shr:2 row_mask:0xf bank_mask:0xf
	s_delay_alu instid0(VALU_DEP_1) | instskip(SKIP_1) | instid1(VALU_DEP_2)
	v_cndmask_b32_e32 v4, 0, v4, vcc_lo
	v_cmp_lt_u32_e32 vcc_lo, 3, v3
	v_add_nc_u32_e32 v2, v2, v4
	s_delay_alu instid0(VALU_DEP_1) | instskip(NEXT) | instid1(VALU_DEP_1)
	v_mov_b32_dpp v4, v2 row_shr:4 row_mask:0xf bank_mask:0xf
	v_cndmask_b32_e32 v3, 0, v4, vcc_lo
	s_delay_alu instid0(VALU_DEP_1)
	v_add_nc_u32_e32 v2, v2, v3
	ds_store_b32 v33, v2
.LBB1219_43:
	s_or_b32 exec_lo, exec_lo, s7
	v_cmp_gt_u32_e32 vcc_lo, 32, v0
	s_mov_b32 s21, exec_lo
	s_waitcnt lgkmcnt(0)
	s_barrier
	buffer_gl0_inv
                                        ; implicit-def: $vgpr8
	v_cmpx_lt_u32_e32 31, v0
	s_cbranch_execz .LBB1219_45
; %bb.44:
	v_lshl_add_u32 v2, v54, 2, -4
	ds_load_b32 v8, v2
	s_waitcnt lgkmcnt(0)
	v_add_nc_u32_e32 v1, v8, v1
.LBB1219_45:
	s_or_b32 exec_lo, exec_lo, s21
	v_add_nc_u32_e32 v2, -1, v53
	s_delay_alu instid0(VALU_DEP_1) | instskip(NEXT) | instid1(VALU_DEP_1)
	v_cmp_gt_i32_e64 s7, 0, v2
	v_cndmask_b32_e64 v2, v2, v53, s7
	v_cmp_eq_u32_e64 s7, 0, v53
	s_delay_alu instid0(VALU_DEP_2)
	v_lshlrev_b32_e32 v2, 2, v2
	ds_bpermute_b32 v9, v2, v1
	s_and_saveexec_b32 s21, vcc_lo
	s_cbranch_execz .LBB1219_63
; %bb.46:
	v_mov_b32_e32 v4, 0
	ds_load_b32 v1, v4 offset:28
	s_and_saveexec_b32 s22, s7
	s_cbranch_execz .LBB1219_48
; %bb.47:
	s_add_i32 s24, s20, 32
	s_mov_b32 s25, 0
	v_mov_b32_e32 v2, 1
	s_lshl_b64 s[24:25], s[24:25], 3
	s_delay_alu instid0(SALU_CYCLE_1)
	s_add_u32 s24, s18, s24
	s_addc_u32 s25, s19, s25
	s_waitcnt lgkmcnt(0)
	global_store_b64 v4, v[1:2], s[24:25]
.LBB1219_48:
	s_or_b32 exec_lo, exec_lo, s22
	v_xad_u32 v2, v53, -1, s20
	s_mov_b32 s23, 0
	s_mov_b32 s22, exec_lo
	s_delay_alu instid0(VALU_DEP_1) | instskip(NEXT) | instid1(VALU_DEP_1)
	v_add_nc_u32_e32 v3, 32, v2
	v_lshlrev_b64 v[3:4], 3, v[3:4]
	s_delay_alu instid0(VALU_DEP_1) | instskip(NEXT) | instid1(VALU_DEP_2)
	v_add_co_u32 v6, vcc_lo, s18, v3
	v_add_co_ci_u32_e32 v7, vcc_lo, s19, v4, vcc_lo
	global_load_b64 v[4:5], v[6:7], off glc
	s_waitcnt vmcnt(0)
	v_and_b32_e32 v3, 0xff, v5
	s_delay_alu instid0(VALU_DEP_1)
	v_cmpx_eq_u16_e32 0, v3
	s_cbranch_execz .LBB1219_51
.LBB1219_49:                            ; =>This Inner Loop Header: Depth=1
	global_load_b64 v[4:5], v[6:7], off glc
	s_waitcnt vmcnt(0)
	v_and_b32_e32 v3, 0xff, v5
	s_delay_alu instid0(VALU_DEP_1) | instskip(SKIP_1) | instid1(SALU_CYCLE_1)
	v_cmp_ne_u16_e32 vcc_lo, 0, v3
	s_or_b32 s23, vcc_lo, s23
	s_and_not1_b32 exec_lo, exec_lo, s23
	s_cbranch_execnz .LBB1219_49
; %bb.50:
	s_or_b32 exec_lo, exec_lo, s23
.LBB1219_51:
	s_delay_alu instid0(SALU_CYCLE_1)
	s_or_b32 exec_lo, exec_lo, s22
	v_cmp_ne_u32_e32 vcc_lo, 31, v53
	v_lshlrev_b32_e64 v11, v53, -1
	v_add_nc_u32_e32 v13, 2, v53
	v_add_nc_u32_e32 v15, 4, v53
	;; [unrolled: 1-line block ×3, first 2 shown]
	v_add_co_ci_u32_e32 v3, vcc_lo, 0, v53, vcc_lo
	v_add_nc_u32_e32 v58, 16, v53
	s_delay_alu instid0(VALU_DEP_2) | instskip(SKIP_2) | instid1(VALU_DEP_1)
	v_lshlrev_b32_e32 v10, 2, v3
	ds_bpermute_b32 v6, v10, v4
	v_and_b32_e32 v3, 0xff, v5
	v_cmp_eq_u16_e32 vcc_lo, 2, v3
	v_and_or_b32 v3, vcc_lo, v11, 0x80000000
	v_cmp_gt_u32_e32 vcc_lo, 30, v53
	s_delay_alu instid0(VALU_DEP_2) | instskip(SKIP_1) | instid1(VALU_DEP_2)
	v_ctz_i32_b32_e32 v3, v3
	v_cndmask_b32_e64 v7, 0, 1, vcc_lo
	v_cmp_lt_u32_e32 vcc_lo, v53, v3
	s_waitcnt lgkmcnt(0)
	s_delay_alu instid0(VALU_DEP_2) | instskip(NEXT) | instid1(VALU_DEP_1)
	v_dual_cndmask_b32 v6, 0, v6 :: v_dual_lshlrev_b32 v7, 1, v7
	v_add_lshl_u32 v12, v7, v53, 2
	v_cmp_gt_u32_e32 vcc_lo, 28, v53
	s_delay_alu instid0(VALU_DEP_3) | instskip(SKIP_4) | instid1(VALU_DEP_1)
	v_add_nc_u32_e32 v4, v6, v4
	v_cndmask_b32_e64 v7, 0, 1, vcc_lo
	v_cmp_le_u32_e32 vcc_lo, v13, v3
	ds_bpermute_b32 v6, v12, v4
	v_lshlrev_b32_e32 v7, 2, v7
	v_add_lshl_u32 v14, v7, v53, 2
	s_waitcnt lgkmcnt(0)
	v_cndmask_b32_e32 v6, 0, v6, vcc_lo
	v_cmp_gt_u32_e32 vcc_lo, 24, v53
	s_delay_alu instid0(VALU_DEP_2) | instskip(SKIP_4) | instid1(VALU_DEP_1)
	v_add_nc_u32_e32 v4, v4, v6
	v_cndmask_b32_e64 v7, 0, 1, vcc_lo
	v_cmp_le_u32_e32 vcc_lo, v15, v3
	ds_bpermute_b32 v6, v14, v4
	v_lshlrev_b32_e32 v7, 3, v7
	v_add_lshl_u32 v17, v7, v53, 2
	s_waitcnt lgkmcnt(0)
	v_cndmask_b32_e32 v6, 0, v6, vcc_lo
	v_cmp_gt_u32_e32 vcc_lo, 16, v53
	s_delay_alu instid0(VALU_DEP_2) | instskip(SKIP_4) | instid1(VALU_DEP_1)
	v_add_nc_u32_e32 v4, v4, v6
	v_cndmask_b32_e64 v7, 0, 1, vcc_lo
	v_cmp_le_u32_e32 vcc_lo, v56, v3
	ds_bpermute_b32 v6, v17, v4
	v_lshlrev_b32_e32 v7, 4, v7
	v_add_lshl_u32 v57, v7, v53, 2
	s_waitcnt lgkmcnt(0)
	v_cndmask_b32_e32 v6, 0, v6, vcc_lo
	v_cmp_le_u32_e32 vcc_lo, v58, v3
	s_delay_alu instid0(VALU_DEP_2) | instskip(SKIP_3) | instid1(VALU_DEP_1)
	v_add_nc_u32_e32 v4, v4, v6
	ds_bpermute_b32 v6, v57, v4
	s_waitcnt lgkmcnt(0)
	v_cndmask_b32_e32 v3, 0, v6, vcc_lo
	v_dual_mov_b32 v3, 0 :: v_dual_add_nc_u32 v4, v4, v3
	s_branch .LBB1219_53
.LBB1219_52:                            ;   in Loop: Header=BB1219_53 Depth=1
	s_or_b32 exec_lo, exec_lo, s22
	ds_bpermute_b32 v7, v10, v4
	v_and_b32_e32 v6, 0xff, v5
	v_subrev_nc_u32_e32 v2, 32, v2
	s_delay_alu instid0(VALU_DEP_2) | instskip(SKIP_1) | instid1(VALU_DEP_1)
	v_cmp_eq_u16_e32 vcc_lo, 2, v6
	v_and_or_b32 v6, vcc_lo, v11, 0x80000000
	v_ctz_i32_b32_e32 v6, v6
	s_delay_alu instid0(VALU_DEP_1) | instskip(SKIP_3) | instid1(VALU_DEP_2)
	v_cmp_lt_u32_e32 vcc_lo, v53, v6
	s_waitcnt lgkmcnt(0)
	v_cndmask_b32_e32 v7, 0, v7, vcc_lo
	v_cmp_le_u32_e32 vcc_lo, v13, v6
	v_add_nc_u32_e32 v4, v7, v4
	ds_bpermute_b32 v7, v12, v4
	s_waitcnt lgkmcnt(0)
	v_cndmask_b32_e32 v7, 0, v7, vcc_lo
	v_cmp_le_u32_e32 vcc_lo, v15, v6
	s_delay_alu instid0(VALU_DEP_2) | instskip(SKIP_4) | instid1(VALU_DEP_2)
	v_add_nc_u32_e32 v4, v4, v7
	ds_bpermute_b32 v7, v14, v4
	s_waitcnt lgkmcnt(0)
	v_cndmask_b32_e32 v7, 0, v7, vcc_lo
	v_cmp_le_u32_e32 vcc_lo, v56, v6
	v_add_nc_u32_e32 v4, v4, v7
	ds_bpermute_b32 v7, v17, v4
	s_waitcnt lgkmcnt(0)
	v_cndmask_b32_e32 v7, 0, v7, vcc_lo
	v_cmp_le_u32_e32 vcc_lo, v58, v6
	s_delay_alu instid0(VALU_DEP_2) | instskip(SKIP_3) | instid1(VALU_DEP_1)
	v_add_nc_u32_e32 v4, v4, v7
	ds_bpermute_b32 v7, v57, v4
	s_waitcnt lgkmcnt(0)
	v_cndmask_b32_e32 v6, 0, v7, vcc_lo
	v_add3_u32 v4, v6, v16, v4
.LBB1219_53:                            ; =>This Loop Header: Depth=1
                                        ;     Child Loop BB1219_56 Depth 2
	s_delay_alu instid0(VALU_DEP_1) | instskip(NEXT) | instid1(VALU_DEP_1)
	v_dual_mov_b32 v16, v4 :: v_dual_and_b32 v5, 0xff, v5
	v_cmp_ne_u16_e32 vcc_lo, 2, v5
	v_cndmask_b32_e64 v5, 0, 1, vcc_lo
	;;#ASMSTART
	;;#ASMEND
	s_delay_alu instid0(VALU_DEP_1)
	v_cmp_ne_u32_e32 vcc_lo, 0, v5
	s_cmp_lg_u32 vcc_lo, exec_lo
	s_cbranch_scc1 .LBB1219_58
; %bb.54:                               ;   in Loop: Header=BB1219_53 Depth=1
	v_lshlrev_b64 v[4:5], 3, v[2:3]
	s_mov_b32 s22, exec_lo
	s_delay_alu instid0(VALU_DEP_1) | instskip(NEXT) | instid1(VALU_DEP_2)
	v_add_co_u32 v6, vcc_lo, s18, v4
	v_add_co_ci_u32_e32 v7, vcc_lo, s19, v5, vcc_lo
	global_load_b64 v[4:5], v[6:7], off glc
	s_waitcnt vmcnt(0)
	v_and_b32_e32 v59, 0xff, v5
	s_delay_alu instid0(VALU_DEP_1)
	v_cmpx_eq_u16_e32 0, v59
	s_cbranch_execz .LBB1219_52
; %bb.55:                               ;   in Loop: Header=BB1219_53 Depth=1
	s_mov_b32 s23, 0
.LBB1219_56:                            ;   Parent Loop BB1219_53 Depth=1
                                        ; =>  This Inner Loop Header: Depth=2
	global_load_b64 v[4:5], v[6:7], off glc
	s_waitcnt vmcnt(0)
	v_and_b32_e32 v59, 0xff, v5
	s_delay_alu instid0(VALU_DEP_1) | instskip(SKIP_1) | instid1(SALU_CYCLE_1)
	v_cmp_ne_u16_e32 vcc_lo, 0, v59
	s_or_b32 s23, vcc_lo, s23
	s_and_not1_b32 exec_lo, exec_lo, s23
	s_cbranch_execnz .LBB1219_56
; %bb.57:                               ;   in Loop: Header=BB1219_53 Depth=1
	s_or_b32 exec_lo, exec_lo, s23
	s_branch .LBB1219_52
.LBB1219_58:                            ;   in Loop: Header=BB1219_53 Depth=1
                                        ; implicit-def: $vgpr4
                                        ; implicit-def: $vgpr5
	s_cbranch_execz .LBB1219_53
; %bb.59:
	s_and_saveexec_b32 s22, s7
	s_cbranch_execz .LBB1219_61
; %bb.60:
	s_add_i32 s24, s20, 32
	s_mov_b32 s25, 0
	v_dual_mov_b32 v3, 2 :: v_dual_add_nc_u32 v2, v16, v1
	s_lshl_b64 s[24:25], s[24:25], 3
	v_mov_b32_e32 v4, 0
	v_add_nc_u32_e64 v5, 0x3400, 0
	s_add_u32 s24, s18, s24
	s_addc_u32 s25, s19, s25
	global_store_b64 v4, v[2:3], s[24:25]
	ds_store_2addr_b32 v5, v1, v16 offset1:2
.LBB1219_61:
	s_or_b32 exec_lo, exec_lo, s22
	s_delay_alu instid0(SALU_CYCLE_1)
	s_and_b32 exec_lo, exec_lo, s2
	s_cbranch_execz .LBB1219_63
; %bb.62:
	v_mov_b32_e32 v1, 0
	ds_store_b32 v1, v16 offset:28
.LBB1219_63:
	s_or_b32 exec_lo, exec_lo, s21
	v_mov_b32_e32 v1, 0
	s_waitcnt lgkmcnt(0)
	s_waitcnt_vscnt null, 0x0
	s_barrier
	buffer_gl0_inv
	v_cndmask_b32_e64 v2, v9, v8, s7
	ds_load_b32 v1, v1 offset:28
	v_add_nc_u32_e64 v11, 0x3400, 0
	s_waitcnt lgkmcnt(0)
	s_barrier
	v_cndmask_b32_e64 v2, v2, 0, s2
	buffer_gl0_inv
	ds_load_2addr_b32 v[16:17], v11 offset1:2
	v_add_nc_u32_e32 v1, v1, v2
	s_delay_alu instid0(VALU_DEP_1) | instskip(NEXT) | instid1(VALU_DEP_1)
	v_add_nc_u32_e32 v2, v1, v44
	v_add_nc_u32_e32 v3, v2, v45
	s_delay_alu instid0(VALU_DEP_1) | instskip(NEXT) | instid1(VALU_DEP_1)
	v_add_nc_u32_e32 v4, v3, v46
	v_add_nc_u32_e32 v5, v4, v43
	s_delay_alu instid0(VALU_DEP_1) | instskip(NEXT) | instid1(VALU_DEP_1)
	v_add_nc_u32_e32 v6, v5, v47
	v_add_nc_u32_e32 v7, v6, v48
	s_delay_alu instid0(VALU_DEP_1) | instskip(NEXT) | instid1(VALU_DEP_1)
	v_add_nc_u32_e32 v8, v7, v49
	v_add_nc_u32_e32 v9, v8, v41
	s_delay_alu instid0(VALU_DEP_1) | instskip(NEXT) | instid1(VALU_DEP_1)
	v_add_nc_u32_e32 v10, v9, v50
	v_add_nc_u32_e32 v11, v10, v51
	s_delay_alu instid0(VALU_DEP_1) | instskip(NEXT) | instid1(VALU_DEP_1)
	v_add_nc_u32_e32 v12, v11, v52
	v_add_nc_u32_e32 v13, v12, v39
	s_branch .LBB1219_74
.LBB1219_64:
                                        ; implicit-def: $vgpr17
                                        ; implicit-def: $vgpr1_vgpr2_vgpr3_vgpr4_vgpr5_vgpr6_vgpr7_vgpr8_vgpr9_vgpr10_vgpr11_vgpr12_vgpr13_vgpr14_vgpr15_vgpr16
	s_and_b32 vcc_lo, exec_lo, s7
	s_cbranch_vccz .LBB1219_74
; %bb.65:
	s_delay_alu instid0(VALU_DEP_1) | instskip(NEXT) | instid1(VALU_DEP_1)
	v_mov_b32_dpp v1, v55 row_shr:1 row_mask:0xf bank_mask:0xf
	v_cndmask_b32_e64 v1, v1, 0, s6
	s_delay_alu instid0(VALU_DEP_1) | instskip(NEXT) | instid1(VALU_DEP_1)
	v_add_nc_u32_e32 v1, v1, v55
	v_mov_b32_dpp v2, v1 row_shr:2 row_mask:0xf bank_mask:0xf
	s_delay_alu instid0(VALU_DEP_1) | instskip(NEXT) | instid1(VALU_DEP_1)
	v_cndmask_b32_e64 v2, 0, v2, s5
	v_add_nc_u32_e32 v1, v1, v2
	s_delay_alu instid0(VALU_DEP_1) | instskip(NEXT) | instid1(VALU_DEP_1)
	v_mov_b32_dpp v2, v1 row_shr:4 row_mask:0xf bank_mask:0xf
	v_cndmask_b32_e64 v2, 0, v2, s4
	s_delay_alu instid0(VALU_DEP_1) | instskip(NEXT) | instid1(VALU_DEP_1)
	v_add_nc_u32_e32 v1, v1, v2
	v_mov_b32_dpp v2, v1 row_shr:8 row_mask:0xf bank_mask:0xf
	s_delay_alu instid0(VALU_DEP_1) | instskip(NEXT) | instid1(VALU_DEP_1)
	v_cndmask_b32_e64 v2, 0, v2, s3
	v_add_nc_u32_e32 v1, v1, v2
	ds_swizzle_b32 v2, v1 offset:swizzle(BROADCAST,32,15)
	s_waitcnt lgkmcnt(0)
	v_cndmask_b32_e64 v2, v2, 0, s1
	s_delay_alu instid0(VALU_DEP_1)
	v_add_nc_u32_e32 v1, v1, v2
	s_and_saveexec_b32 s1, s0
	s_cbranch_execz .LBB1219_67
; %bb.66:
	v_lshlrev_b32_e32 v2, 2, v54
	ds_store_b32 v2, v1
.LBB1219_67:
	s_or_b32 exec_lo, exec_lo, s1
	s_delay_alu instid0(SALU_CYCLE_1)
	s_mov_b32 s0, exec_lo
	s_waitcnt lgkmcnt(0)
	s_barrier
	buffer_gl0_inv
	v_cmpx_gt_u32_e32 8, v0
	s_cbranch_execz .LBB1219_69
; %bb.68:
	ds_load_b32 v2, v33
	s_waitcnt lgkmcnt(0)
	v_mov_b32_dpp v4, v2 row_shr:1 row_mask:0xf bank_mask:0xf
	v_and_b32_e32 v3, 7, v53
	s_delay_alu instid0(VALU_DEP_1) | instskip(NEXT) | instid1(VALU_DEP_3)
	v_cmp_ne_u32_e32 vcc_lo, 0, v3
	v_cndmask_b32_e32 v4, 0, v4, vcc_lo
	v_cmp_lt_u32_e32 vcc_lo, 1, v3
	s_delay_alu instid0(VALU_DEP_2) | instskip(NEXT) | instid1(VALU_DEP_1)
	v_add_nc_u32_e32 v2, v4, v2
	v_mov_b32_dpp v4, v2 row_shr:2 row_mask:0xf bank_mask:0xf
	s_delay_alu instid0(VALU_DEP_1) | instskip(SKIP_1) | instid1(VALU_DEP_2)
	v_cndmask_b32_e32 v4, 0, v4, vcc_lo
	v_cmp_lt_u32_e32 vcc_lo, 3, v3
	v_add_nc_u32_e32 v2, v2, v4
	s_delay_alu instid0(VALU_DEP_1) | instskip(NEXT) | instid1(VALU_DEP_1)
	v_mov_b32_dpp v4, v2 row_shr:4 row_mask:0xf bank_mask:0xf
	v_cndmask_b32_e32 v3, 0, v4, vcc_lo
	s_delay_alu instid0(VALU_DEP_1)
	v_add_nc_u32_e32 v2, v2, v3
	ds_store_b32 v33, v2
.LBB1219_69:
	s_or_b32 exec_lo, exec_lo, s0
	v_dual_mov_b32 v3, 0 :: v_dual_mov_b32 v2, 0
	s_mov_b32 s0, exec_lo
	s_waitcnt lgkmcnt(0)
	s_barrier
	buffer_gl0_inv
	v_cmpx_lt_u32_e32 31, v0
	s_cbranch_execz .LBB1219_71
; %bb.70:
	v_lshl_add_u32 v2, v54, 2, -4
	ds_load_b32 v2, v2
.LBB1219_71:
	s_or_b32 exec_lo, exec_lo, s0
	v_add_nc_u32_e32 v4, -1, v53
	s_waitcnt lgkmcnt(0)
	v_add_nc_u32_e32 v1, v2, v1
	ds_load_b32 v16, v3 offset:28
	v_cmp_gt_i32_e32 vcc_lo, 0, v4
	v_cndmask_b32_e32 v4, v4, v53, vcc_lo
	s_delay_alu instid0(VALU_DEP_1)
	v_lshlrev_b32_e32 v4, 2, v4
	ds_bpermute_b32 v1, v4, v1
	s_and_saveexec_b32 s0, s2
	s_cbranch_execz .LBB1219_73
; %bb.72:
	v_mov_b32_e32 v3, 0
	v_mov_b32_e32 v17, 2
	s_waitcnt lgkmcnt(1)
	global_store_b64 v3, v[16:17], s[18:19] offset:256
.LBB1219_73:
	s_or_b32 exec_lo, exec_lo, s0
	v_cmp_eq_u32_e32 vcc_lo, 0, v53
	s_waitcnt lgkmcnt(0)
	s_waitcnt_vscnt null, 0x0
	s_barrier
	buffer_gl0_inv
	v_mov_b32_e32 v17, 0
	v_cndmask_b32_e32 v1, v1, v2, vcc_lo
	s_delay_alu instid0(VALU_DEP_1) | instskip(NEXT) | instid1(VALU_DEP_1)
	v_cndmask_b32_e64 v1, v1, 0, s2
	v_add_nc_u32_e32 v2, v1, v44
	s_delay_alu instid0(VALU_DEP_1) | instskip(NEXT) | instid1(VALU_DEP_1)
	v_add_nc_u32_e32 v3, v2, v45
	v_add_nc_u32_e32 v4, v3, v46
	s_delay_alu instid0(VALU_DEP_1) | instskip(NEXT) | instid1(VALU_DEP_1)
	v_add_nc_u32_e32 v5, v4, v43
	;; [unrolled: 3-line block ×5, first 2 shown]
	v_add_nc_u32_e32 v12, v11, v52
	s_delay_alu instid0(VALU_DEP_1)
	v_add_nc_u32_e32 v13, v12, v39
.LBB1219_74:
	s_waitcnt lgkmcnt(0)
	v_sub_nc_u32_e32 v1, v1, v17
	v_sub_nc_u32_e32 v2, v2, v17
	v_add_nc_u32_e32 v36, v16, v36
	v_lshrrev_b32_e32 v47, 8, v42
	v_lshrrev_b32_e32 v46, 16, v42
	v_sub_nc_u32_e32 v4, v4, v17
	v_sub_nc_u32_e32 v3, v3, v17
	;; [unrolled: 1-line block ×3, first 2 shown]
	v_and_b32_e32 v42, 1, v42
	v_and_b32_e32 v47, 1, v47
	;; [unrolled: 1-line block ×3, first 2 shown]
	v_lshrrev_b32_e32 v45, 8, v40
	v_lshrrev_b32_e32 v44, 16, v40
	v_cmp_eq_u32_e32 vcc_lo, 1, v42
	v_and_b32_e32 v42, 1, v46
	v_sub_nc_u32_e32 v46, v36, v2
	v_lshrrev_b32_e32 v15, 8, v38
	v_lshrrev_b32_e32 v14, 16, v38
	v_cndmask_b32_e32 v1, v48, v1, vcc_lo
	v_cmp_eq_u32_e32 vcc_lo, 1, v47
	v_add_nc_u32_e32 v46, 1, v46
	s_delay_alu instid0(VALU_DEP_3)
	v_lshlrev_b32_e32 v1, 2, v1
	ds_store_b32 v1, v30
	v_cndmask_b32_e32 v1, v46, v2, vcc_lo
	v_sub_nc_u32_e32 v48, v36, v3
	v_sub_nc_u32_e32 v49, v36, v4
	v_cmp_eq_u32_e32 vcc_lo, 1, v42
	v_or_b32_e32 v30, 0x300, v0
	v_lshlrev_b32_e32 v1, 2, v1
	v_add_nc_u32_e32 v48, 2, v48
	v_add_nc_u32_e32 v49, 3, v49
	ds_store_b32 v1, v31
	v_cndmask_b32_e32 v2, v48, v3, vcc_lo
	v_cmp_eq_u32_e32 vcc_lo, 1, v43
	v_or_b32_e32 v31, 0x200, v0
	s_delay_alu instid0(VALU_DEP_3) | instskip(SKIP_2) | instid1(VALU_DEP_3)
	v_dual_cndmask_b32 v3, v49, v4 :: v_dual_lshlrev_b32 v2, 2, v2
	v_sub_nc_u32_e32 v4, v5, v17
	v_sub_nc_u32_e32 v5, v6, v17
	v_lshlrev_b32_e32 v3, 2, v3
	s_delay_alu instid0(VALU_DEP_3) | instskip(NEXT) | instid1(VALU_DEP_3)
	v_sub_nc_u32_e32 v1, v36, v4
	v_sub_nc_u32_e32 v6, v36, v5
	ds_store_b32 v2, v28
	ds_store_b32 v3, v29
	v_and_b32_e32 v2, 1, v40
	v_add_nc_u32_e32 v1, 4, v1
	v_add_nc_u32_e32 v3, 5, v6
	v_sub_nc_u32_e32 v6, v7, v17
	v_and_b32_e32 v7, 1, v45
	v_cmp_eq_u32_e32 vcc_lo, 1, v2
	v_sub_nc_u32_e32 v2, v8, v17
	v_and_b32_e32 v8, 1, v41
	v_or_b32_e32 v29, 0x400, v0
	v_or_b32_e32 v28, 0x500, v0
	v_cndmask_b32_e32 v1, v1, v4, vcc_lo
	v_sub_nc_u32_e32 v4, v36, v6
	v_cmp_eq_u32_e32 vcc_lo, 1, v7
	v_and_b32_e32 v7, 1, v44
	s_delay_alu instid0(VALU_DEP_4) | instskip(NEXT) | instid1(VALU_DEP_4)
	v_lshlrev_b32_e32 v1, 2, v1
	v_dual_cndmask_b32 v3, v3, v5 :: v_dual_add_nc_u32 v4, 6, v4
	v_sub_nc_u32_e32 v5, v36, v2
	s_delay_alu instid0(VALU_DEP_4) | instskip(SKIP_2) | instid1(VALU_DEP_4)
	v_cmp_eq_u32_e32 vcc_lo, 1, v7
	v_sub_nc_u32_e32 v7, v13, v17
	v_add_co_u32 v13, s0, s16, v32
	v_dual_cndmask_b32 v4, v4, v6 :: v_dual_add_nc_u32 v5, 7, v5
	v_cmp_eq_u32_e32 vcc_lo, 1, v8
	v_sub_nc_u32_e32 v6, v9, v17
	v_lshlrev_b32_e32 v3, 2, v3
	ds_store_b32 v1, v26
	ds_store_b32 v3, v27
	v_cndmask_b32_e32 v2, v5, v2, vcc_lo
	v_sub_nc_u32_e32 v1, v36, v6
	v_lshlrev_b32_e32 v3, 2, v4
	v_and_b32_e32 v5, 1, v38
	v_sub_nc_u32_e32 v4, v10, v17
	v_lshlrev_b32_e32 v2, 2, v2
	v_add_nc_u32_e32 v1, 8, v1
	ds_store_b32 v3, v24
	ds_store_b32 v2, v25
	v_cmp_eq_u32_e32 vcc_lo, 1, v5
	v_sub_nc_u32_e32 v3, v11, v17
	v_sub_nc_u32_e32 v2, v36, v4
	;; [unrolled: 1-line block ×3, first 2 shown]
	v_dual_cndmask_b32 v1, v1, v6 :: v_dual_and_b32 v10, 1, v39
	v_and_b32_e32 v6, 1, v15
	v_sub_nc_u32_e32 v8, v36, v3
	v_add_nc_u32_e32 v2, 9, v2
	v_sub_nc_u32_e32 v9, v36, v5
	v_and_b32_e32 v11, 1, v37
	v_cmp_eq_u32_e32 vcc_lo, 1, v6
	v_add_nc_u32_e32 v6, 10, v8
	v_and_b32_e32 v8, 1, v14
	v_add_nc_u32_e32 v9, 11, v9
	v_dual_cndmask_b32 v2, v2, v4 :: v_dual_lshlrev_b32 v1, 2, v1
	v_sub_nc_u32_e32 v4, v36, v7
	s_delay_alu instid0(VALU_DEP_4) | instskip(SKIP_1) | instid1(VALU_DEP_4)
	v_cmp_eq_u32_e32 vcc_lo, 1, v8
	v_add_co_ci_u32_e64 v14, null, s17, 0, s0
	v_lshlrev_b32_e32 v2, 2, v2
	s_delay_alu instid0(VALU_DEP_4)
	v_dual_cndmask_b32 v3, v6, v3 :: v_dual_add_nc_u32 v4, 12, v4
	v_cmp_eq_u32_e32 vcc_lo, 1, v10
	v_or_b32_e32 v27, 0x600, v0
	v_or_b32_e32 v26, 0x700, v0
	;; [unrolled: 1-line block ×3, first 2 shown]
	v_lshlrev_b32_e32 v3, 2, v3
	v_cndmask_b32_e32 v5, v9, v5, vcc_lo
	v_cmp_eq_u32_e32 vcc_lo, 1, v11
	v_or_b32_e32 v24, 0x900, v0
	s_delay_alu instid0(VALU_DEP_3) | instskip(SKIP_2) | instid1(VALU_DEP_3)
	v_dual_cndmask_b32 v4, v4, v7 :: v_dual_lshlrev_b32 v5, 2, v5
	v_sub_co_u32 v13, vcc_lo, s14, v13
	v_sub_co_ci_u32_e32 v14, vcc_lo, s15, v14, vcc_lo
	v_lshlrev_b32_e32 v4, 2, v4
	ds_store_b32 v1, v22
	ds_store_b32 v2, v23
	;; [unrolled: 1-line block ×5, first 2 shown]
	s_waitcnt lgkmcnt(0)
	s_barrier
	buffer_gl0_inv
	ds_load_2addr_stride64_b32 v[11:12], v33 offset1:4
	ds_load_2addr_stride64_b32 v[9:10], v33 offset0:8 offset1:12
	ds_load_2addr_stride64_b32 v[7:8], v33 offset0:16 offset1:20
	;; [unrolled: 1-line block ×5, first 2 shown]
	ds_load_b32 v20, v33 offset:12288
	v_add_co_u32 v15, vcc_lo, v18, v17
	v_add_co_ci_u32_e32 v17, vcc_lo, 0, v19, vcc_lo
	v_add_co_u32 v13, vcc_lo, v13, v16
	v_add_co_ci_u32_e32 v14, vcc_lo, 0, v14, vcc_lo
	v_cmp_ne_u32_e32 vcc_lo, 1, v34
	s_delay_alu instid0(VALU_DEP_3)
	v_add_co_u32 v18, s0, v13, v15
	v_or_b32_e32 v35, 0x100, v0
	v_or_b32_e32 v23, 0xa00, v0
	;; [unrolled: 1-line block ×4, first 2 shown]
	v_add_co_ci_u32_e64 v19, s0, v14, v17, s0
	s_mov_b32 s0, 0
	s_cbranch_vccnz .LBB1219_131
; %bb.75:
	s_mov_b32 s0, exec_lo
                                        ; implicit-def: $vgpr13_vgpr14
	v_cmpx_ge_u32_e64 v0, v16
	s_xor_b32 s0, exec_lo, s0
; %bb.76:
	v_not_b32_e32 v13, v0
	s_delay_alu instid0(VALU_DEP_1) | instskip(SKIP_1) | instid1(VALU_DEP_2)
	v_ashrrev_i32_e32 v14, 31, v13
	v_add_co_u32 v13, vcc_lo, v18, v13
	v_add_co_ci_u32_e32 v14, vcc_lo, v19, v14, vcc_lo
; %bb.77:
	s_and_not1_saveexec_b32 s0, s0
; %bb.78:
	v_add_co_u32 v13, vcc_lo, v15, v0
	v_add_co_ci_u32_e32 v14, vcc_lo, 0, v17, vcc_lo
; %bb.79:
	s_or_b32 exec_lo, exec_lo, s0
	s_delay_alu instid0(VALU_DEP_1) | instskip(SKIP_1) | instid1(VALU_DEP_1)
	v_lshlrev_b64 v[13:14], 2, v[13:14]
	s_mov_b32 s0, exec_lo
	v_add_co_u32 v13, vcc_lo, s12, v13
	s_delay_alu instid0(VALU_DEP_2)
	v_add_co_ci_u32_e32 v14, vcc_lo, s13, v14, vcc_lo
	s_waitcnt lgkmcnt(6)
	global_store_b32 v[13:14], v11, off
                                        ; implicit-def: $vgpr13_vgpr14
	v_cmpx_ge_u32_e64 v35, v16
	s_xor_b32 s0, exec_lo, s0
; %bb.80:
	v_xor_b32_e32 v13, 0xfffffeff, v0
	s_delay_alu instid0(VALU_DEP_1) | instskip(SKIP_1) | instid1(VALU_DEP_2)
	v_ashrrev_i32_e32 v14, 31, v13
	v_add_co_u32 v13, vcc_lo, v18, v13
	v_add_co_ci_u32_e32 v14, vcc_lo, v19, v14, vcc_lo
; %bb.81:
	s_and_not1_saveexec_b32 s0, s0
; %bb.82:
	v_add_co_u32 v13, vcc_lo, v15, v35
	v_add_co_ci_u32_e32 v14, vcc_lo, 0, v17, vcc_lo
; %bb.83:
	s_or_b32 exec_lo, exec_lo, s0
	s_delay_alu instid0(VALU_DEP_1) | instskip(SKIP_1) | instid1(VALU_DEP_1)
	v_lshlrev_b64 v[13:14], 2, v[13:14]
	s_mov_b32 s0, exec_lo
	v_add_co_u32 v13, vcc_lo, s12, v13
	s_delay_alu instid0(VALU_DEP_2)
	v_add_co_ci_u32_e32 v14, vcc_lo, s13, v14, vcc_lo
	global_store_b32 v[13:14], v12, off
                                        ; implicit-def: $vgpr13_vgpr14
	v_cmpx_ge_u32_e64 v31, v16
	s_xor_b32 s0, exec_lo, s0
; %bb.84:
	v_xor_b32_e32 v13, 0xfffffdff, v0
	s_delay_alu instid0(VALU_DEP_1) | instskip(SKIP_1) | instid1(VALU_DEP_2)
	v_ashrrev_i32_e32 v14, 31, v13
	v_add_co_u32 v13, vcc_lo, v18, v13
	v_add_co_ci_u32_e32 v14, vcc_lo, v19, v14, vcc_lo
; %bb.85:
	s_and_not1_saveexec_b32 s0, s0
; %bb.86:
	v_add_co_u32 v13, vcc_lo, v15, v31
	v_add_co_ci_u32_e32 v14, vcc_lo, 0, v17, vcc_lo
; %bb.87:
	s_or_b32 exec_lo, exec_lo, s0
	s_delay_alu instid0(VALU_DEP_1) | instskip(SKIP_1) | instid1(VALU_DEP_1)
	v_lshlrev_b64 v[13:14], 2, v[13:14]
	s_mov_b32 s0, exec_lo
	v_add_co_u32 v13, vcc_lo, s12, v13
	s_delay_alu instid0(VALU_DEP_2)
	v_add_co_ci_u32_e32 v14, vcc_lo, s13, v14, vcc_lo
	s_waitcnt lgkmcnt(5)
	global_store_b32 v[13:14], v9, off
                                        ; implicit-def: $vgpr13_vgpr14
	v_cmpx_ge_u32_e64 v30, v16
	s_xor_b32 s0, exec_lo, s0
; %bb.88:
	v_xor_b32_e32 v13, 0xfffffcff, v0
	s_delay_alu instid0(VALU_DEP_1) | instskip(SKIP_1) | instid1(VALU_DEP_2)
	v_ashrrev_i32_e32 v14, 31, v13
	v_add_co_u32 v13, vcc_lo, v18, v13
	v_add_co_ci_u32_e32 v14, vcc_lo, v19, v14, vcc_lo
; %bb.89:
	s_and_not1_saveexec_b32 s0, s0
; %bb.90:
	v_add_co_u32 v13, vcc_lo, v15, v30
	v_add_co_ci_u32_e32 v14, vcc_lo, 0, v17, vcc_lo
; %bb.91:
	s_or_b32 exec_lo, exec_lo, s0
	s_delay_alu instid0(VALU_DEP_1) | instskip(SKIP_1) | instid1(VALU_DEP_1)
	v_lshlrev_b64 v[13:14], 2, v[13:14]
	s_mov_b32 s0, exec_lo
	v_add_co_u32 v13, vcc_lo, s12, v13
	s_delay_alu instid0(VALU_DEP_2)
	v_add_co_ci_u32_e32 v14, vcc_lo, s13, v14, vcc_lo
	global_store_b32 v[13:14], v10, off
                                        ; implicit-def: $vgpr13_vgpr14
	v_cmpx_ge_u32_e64 v29, v16
	s_xor_b32 s0, exec_lo, s0
; %bb.92:
	v_xor_b32_e32 v13, 0xfffffbff, v0
	;; [unrolled: 47-line block ×6, first 2 shown]
	s_delay_alu instid0(VALU_DEP_1) | instskip(SKIP_1) | instid1(VALU_DEP_2)
	v_ashrrev_i32_e32 v14, 31, v13
	v_add_co_u32 v13, vcc_lo, v18, v13
	v_add_co_ci_u32_e32 v14, vcc_lo, v19, v14, vcc_lo
; %bb.125:
	s_and_not1_saveexec_b32 s0, s0
; %bb.126:
	v_add_co_u32 v13, vcc_lo, v15, v21
	v_add_co_ci_u32_e32 v14, vcc_lo, 0, v17, vcc_lo
; %bb.127:
	s_or_b32 exec_lo, exec_lo, s0
	s_mov_b32 s0, -1
.LBB1219_128:
	s_delay_alu instid0(SALU_CYCLE_1)
	s_and_saveexec_b32 s1, s0
	s_cbranch_execz .LBB1219_211
.LBB1219_129:
	s_waitcnt lgkmcnt(1)
	v_lshlrev_b64 v[0:1], 2, v[13:14]
	s_delay_alu instid0(VALU_DEP_1) | instskip(NEXT) | instid1(VALU_DEP_2)
	v_add_co_u32 v0, vcc_lo, s12, v0
	v_add_co_ci_u32_e32 v1, vcc_lo, s13, v1, vcc_lo
	s_waitcnt lgkmcnt(0)
	global_store_b32 v[0:1], v20, off
	s_or_b32 exec_lo, exec_lo, s1
	s_and_b32 s0, s2, s10
	s_delay_alu instid0(SALU_CYCLE_1)
	s_and_saveexec_b32 s1, s0
	s_cbranch_execnz .LBB1219_212
.LBB1219_130:
	s_nop 0
	s_sendmsg sendmsg(MSG_DEALLOC_VGPRS)
	s_endpgm
.LBB1219_131:
                                        ; implicit-def: $vgpr13_vgpr14
	s_cbranch_execz .LBB1219_128
; %bb.132:
	s_mov_b32 s1, exec_lo
	v_cmpx_gt_u32_e64 s11, v0
	s_cbranch_execz .LBB1219_168
; %bb.133:
	s_mov_b32 s3, exec_lo
                                        ; implicit-def: $vgpr13_vgpr14
	v_cmpx_ge_u32_e64 v0, v16
	s_xor_b32 s3, exec_lo, s3
; %bb.134:
	v_not_b32_e32 v13, v0
	s_delay_alu instid0(VALU_DEP_1) | instskip(SKIP_1) | instid1(VALU_DEP_2)
	v_ashrrev_i32_e32 v14, 31, v13
	v_add_co_u32 v13, vcc_lo, v18, v13
	v_add_co_ci_u32_e32 v14, vcc_lo, v19, v14, vcc_lo
; %bb.135:
	s_and_not1_saveexec_b32 s3, s3
; %bb.136:
	v_add_co_u32 v13, vcc_lo, v15, v0
	v_add_co_ci_u32_e32 v14, vcc_lo, 0, v17, vcc_lo
; %bb.137:
	s_or_b32 exec_lo, exec_lo, s3
	s_delay_alu instid0(VALU_DEP_1) | instskip(NEXT) | instid1(VALU_DEP_1)
	v_lshlrev_b64 v[13:14], 2, v[13:14]
	v_add_co_u32 v13, vcc_lo, s12, v13
	s_delay_alu instid0(VALU_DEP_2) | instskip(SKIP_3) | instid1(SALU_CYCLE_1)
	v_add_co_ci_u32_e32 v14, vcc_lo, s13, v14, vcc_lo
	s_waitcnt lgkmcnt(6)
	global_store_b32 v[13:14], v11, off
	s_or_b32 exec_lo, exec_lo, s1
	s_mov_b32 s1, exec_lo
	v_cmpx_gt_u32_e64 s11, v35
	s_cbranch_execnz .LBB1219_169
.LBB1219_138:
	s_or_b32 exec_lo, exec_lo, s1
	s_delay_alu instid0(SALU_CYCLE_1)
	s_mov_b32 s1, exec_lo
	v_cmpx_gt_u32_e64 s11, v31
	s_cbranch_execz .LBB1219_174
.LBB1219_139:
	s_mov_b32 s3, exec_lo
                                        ; implicit-def: $vgpr11_vgpr12
	v_cmpx_ge_u32_e64 v31, v16
	s_xor_b32 s3, exec_lo, s3
	s_cbranch_execz .LBB1219_141
; %bb.140:
	s_waitcnt lgkmcnt(6)
	v_xor_b32_e32 v11, 0xfffffdff, v0
                                        ; implicit-def: $vgpr31
	s_delay_alu instid0(VALU_DEP_1) | instskip(SKIP_1) | instid1(VALU_DEP_2)
	v_ashrrev_i32_e32 v12, 31, v11
	v_add_co_u32 v11, vcc_lo, v18, v11
	v_add_co_ci_u32_e32 v12, vcc_lo, v19, v12, vcc_lo
.LBB1219_141:
	s_and_not1_saveexec_b32 s3, s3
	s_cbranch_execz .LBB1219_143
; %bb.142:
	s_waitcnt lgkmcnt(6)
	v_add_co_u32 v11, vcc_lo, v15, v31
	v_add_co_ci_u32_e32 v12, vcc_lo, 0, v17, vcc_lo
.LBB1219_143:
	s_or_b32 exec_lo, exec_lo, s3
	s_waitcnt lgkmcnt(6)
	s_delay_alu instid0(VALU_DEP_1) | instskip(NEXT) | instid1(VALU_DEP_1)
	v_lshlrev_b64 v[11:12], 2, v[11:12]
	v_add_co_u32 v11, vcc_lo, s12, v11
	s_delay_alu instid0(VALU_DEP_2) | instskip(SKIP_3) | instid1(SALU_CYCLE_1)
	v_add_co_ci_u32_e32 v12, vcc_lo, s13, v12, vcc_lo
	s_waitcnt lgkmcnt(5)
	global_store_b32 v[11:12], v9, off
	s_or_b32 exec_lo, exec_lo, s1
	s_mov_b32 s1, exec_lo
	v_cmpx_gt_u32_e64 s11, v30
	s_cbranch_execnz .LBB1219_175
.LBB1219_144:
	s_or_b32 exec_lo, exec_lo, s1
	s_delay_alu instid0(SALU_CYCLE_1)
	s_mov_b32 s1, exec_lo
	v_cmpx_gt_u32_e64 s11, v29
	s_cbranch_execz .LBB1219_180
.LBB1219_145:
	s_mov_b32 s3, exec_lo
                                        ; implicit-def: $vgpr9_vgpr10
	v_cmpx_ge_u32_e64 v29, v16
	s_xor_b32 s3, exec_lo, s3
	s_cbranch_execz .LBB1219_147
; %bb.146:
	s_waitcnt lgkmcnt(5)
	v_xor_b32_e32 v9, 0xfffffbff, v0
                                        ; implicit-def: $vgpr29
	s_delay_alu instid0(VALU_DEP_1) | instskip(SKIP_1) | instid1(VALU_DEP_2)
	v_ashrrev_i32_e32 v10, 31, v9
	v_add_co_u32 v9, vcc_lo, v18, v9
	v_add_co_ci_u32_e32 v10, vcc_lo, v19, v10, vcc_lo
.LBB1219_147:
	s_and_not1_saveexec_b32 s3, s3
	s_cbranch_execz .LBB1219_149
; %bb.148:
	s_waitcnt lgkmcnt(5)
	v_add_co_u32 v9, vcc_lo, v15, v29
	v_add_co_ci_u32_e32 v10, vcc_lo, 0, v17, vcc_lo
.LBB1219_149:
	s_or_b32 exec_lo, exec_lo, s3
	s_waitcnt lgkmcnt(5)
	s_delay_alu instid0(VALU_DEP_1) | instskip(NEXT) | instid1(VALU_DEP_1)
	v_lshlrev_b64 v[9:10], 2, v[9:10]
	v_add_co_u32 v9, vcc_lo, s12, v9
	s_delay_alu instid0(VALU_DEP_2) | instskip(SKIP_3) | instid1(SALU_CYCLE_1)
	v_add_co_ci_u32_e32 v10, vcc_lo, s13, v10, vcc_lo
	s_waitcnt lgkmcnt(4)
	global_store_b32 v[9:10], v7, off
	s_or_b32 exec_lo, exec_lo, s1
	s_mov_b32 s1, exec_lo
	v_cmpx_gt_u32_e64 s11, v28
	s_cbranch_execnz .LBB1219_181
.LBB1219_150:
	s_or_b32 exec_lo, exec_lo, s1
	s_delay_alu instid0(SALU_CYCLE_1)
	s_mov_b32 s1, exec_lo
	v_cmpx_gt_u32_e64 s11, v27
	s_cbranch_execz .LBB1219_186
.LBB1219_151:
	s_mov_b32 s3, exec_lo
                                        ; implicit-def: $vgpr7_vgpr8
	v_cmpx_ge_u32_e64 v27, v16
	s_xor_b32 s3, exec_lo, s3
	s_cbranch_execz .LBB1219_153
; %bb.152:
	s_waitcnt lgkmcnt(4)
	v_xor_b32_e32 v7, 0xfffff9ff, v0
                                        ; implicit-def: $vgpr27
	s_delay_alu instid0(VALU_DEP_1) | instskip(SKIP_1) | instid1(VALU_DEP_2)
	v_ashrrev_i32_e32 v8, 31, v7
	v_add_co_u32 v7, vcc_lo, v18, v7
	v_add_co_ci_u32_e32 v8, vcc_lo, v19, v8, vcc_lo
.LBB1219_153:
	s_and_not1_saveexec_b32 s3, s3
	s_cbranch_execz .LBB1219_155
; %bb.154:
	s_waitcnt lgkmcnt(4)
	v_add_co_u32 v7, vcc_lo, v15, v27
	v_add_co_ci_u32_e32 v8, vcc_lo, 0, v17, vcc_lo
.LBB1219_155:
	s_or_b32 exec_lo, exec_lo, s3
	s_waitcnt lgkmcnt(4)
	s_delay_alu instid0(VALU_DEP_1) | instskip(NEXT) | instid1(VALU_DEP_1)
	v_lshlrev_b64 v[7:8], 2, v[7:8]
	v_add_co_u32 v7, vcc_lo, s12, v7
	s_delay_alu instid0(VALU_DEP_2) | instskip(SKIP_3) | instid1(SALU_CYCLE_1)
	v_add_co_ci_u32_e32 v8, vcc_lo, s13, v8, vcc_lo
	s_waitcnt lgkmcnt(3)
	global_store_b32 v[7:8], v5, off
	s_or_b32 exec_lo, exec_lo, s1
	s_mov_b32 s1, exec_lo
	v_cmpx_gt_u32_e64 s11, v26
	s_cbranch_execnz .LBB1219_187
.LBB1219_156:
	s_or_b32 exec_lo, exec_lo, s1
	s_delay_alu instid0(SALU_CYCLE_1)
	s_mov_b32 s1, exec_lo
	v_cmpx_gt_u32_e64 s11, v25
	s_cbranch_execz .LBB1219_192
.LBB1219_157:
	s_mov_b32 s3, exec_lo
                                        ; implicit-def: $vgpr5_vgpr6
	v_cmpx_ge_u32_e64 v25, v16
	s_xor_b32 s3, exec_lo, s3
	s_cbranch_execz .LBB1219_159
; %bb.158:
	s_waitcnt lgkmcnt(3)
	v_xor_b32_e32 v5, 0xfffff7ff, v0
                                        ; implicit-def: $vgpr25
	s_delay_alu instid0(VALU_DEP_1) | instskip(SKIP_1) | instid1(VALU_DEP_2)
	v_ashrrev_i32_e32 v6, 31, v5
	v_add_co_u32 v5, vcc_lo, v18, v5
	v_add_co_ci_u32_e32 v6, vcc_lo, v19, v6, vcc_lo
.LBB1219_159:
	s_and_not1_saveexec_b32 s3, s3
	s_cbranch_execz .LBB1219_161
; %bb.160:
	s_waitcnt lgkmcnt(3)
	v_add_co_u32 v5, vcc_lo, v15, v25
	v_add_co_ci_u32_e32 v6, vcc_lo, 0, v17, vcc_lo
.LBB1219_161:
	s_or_b32 exec_lo, exec_lo, s3
	s_waitcnt lgkmcnt(3)
	s_delay_alu instid0(VALU_DEP_1) | instskip(NEXT) | instid1(VALU_DEP_1)
	v_lshlrev_b64 v[5:6], 2, v[5:6]
	v_add_co_u32 v5, vcc_lo, s12, v5
	s_delay_alu instid0(VALU_DEP_2) | instskip(SKIP_3) | instid1(SALU_CYCLE_1)
	v_add_co_ci_u32_e32 v6, vcc_lo, s13, v6, vcc_lo
	s_waitcnt lgkmcnt(2)
	global_store_b32 v[5:6], v3, off
	s_or_b32 exec_lo, exec_lo, s1
	s_mov_b32 s1, exec_lo
	v_cmpx_gt_u32_e64 s11, v24
	s_cbranch_execnz .LBB1219_193
.LBB1219_162:
	s_or_b32 exec_lo, exec_lo, s1
	s_delay_alu instid0(SALU_CYCLE_1)
	s_mov_b32 s1, exec_lo
	v_cmpx_gt_u32_e64 s11, v23
	s_cbranch_execz .LBB1219_198
.LBB1219_163:
	s_mov_b32 s3, exec_lo
                                        ; implicit-def: $vgpr3_vgpr4
	v_cmpx_ge_u32_e64 v23, v16
	s_xor_b32 s3, exec_lo, s3
	s_cbranch_execz .LBB1219_165
; %bb.164:
	s_waitcnt lgkmcnt(2)
	v_xor_b32_e32 v3, 0xfffff5ff, v0
                                        ; implicit-def: $vgpr23
	s_delay_alu instid0(VALU_DEP_1) | instskip(SKIP_1) | instid1(VALU_DEP_2)
	v_ashrrev_i32_e32 v4, 31, v3
	v_add_co_u32 v3, vcc_lo, v18, v3
	v_add_co_ci_u32_e32 v4, vcc_lo, v19, v4, vcc_lo
.LBB1219_165:
	s_and_not1_saveexec_b32 s3, s3
	s_cbranch_execz .LBB1219_167
; %bb.166:
	s_waitcnt lgkmcnt(2)
	v_add_co_u32 v3, vcc_lo, v15, v23
	v_add_co_ci_u32_e32 v4, vcc_lo, 0, v17, vcc_lo
.LBB1219_167:
	s_or_b32 exec_lo, exec_lo, s3
	s_waitcnt lgkmcnt(2)
	s_delay_alu instid0(VALU_DEP_1) | instskip(NEXT) | instid1(VALU_DEP_1)
	v_lshlrev_b64 v[3:4], 2, v[3:4]
	v_add_co_u32 v3, vcc_lo, s12, v3
	s_delay_alu instid0(VALU_DEP_2) | instskip(SKIP_3) | instid1(SALU_CYCLE_1)
	v_add_co_ci_u32_e32 v4, vcc_lo, s13, v4, vcc_lo
	s_waitcnt lgkmcnt(1)
	global_store_b32 v[3:4], v1, off
	s_or_b32 exec_lo, exec_lo, s1
	s_mov_b32 s1, exec_lo
	v_cmpx_gt_u32_e64 s11, v22
	s_cbranch_execz .LBB1219_204
	s_branch .LBB1219_199
.LBB1219_168:
	s_or_b32 exec_lo, exec_lo, s1
	s_delay_alu instid0(SALU_CYCLE_1)
	s_mov_b32 s1, exec_lo
	v_cmpx_gt_u32_e64 s11, v35
	s_cbranch_execz .LBB1219_138
.LBB1219_169:
	s_mov_b32 s3, exec_lo
                                        ; implicit-def: $vgpr13_vgpr14
	v_cmpx_ge_u32_e64 v35, v16
	s_xor_b32 s3, exec_lo, s3
	s_cbranch_execz .LBB1219_171
; %bb.170:
	s_waitcnt lgkmcnt(6)
	v_xor_b32_e32 v11, 0xfffffeff, v0
                                        ; implicit-def: $vgpr35
	s_delay_alu instid0(VALU_DEP_1) | instskip(SKIP_1) | instid1(VALU_DEP_2)
	v_ashrrev_i32_e32 v14, 31, v11
	v_add_co_u32 v13, vcc_lo, v18, v11
	v_add_co_ci_u32_e32 v14, vcc_lo, v19, v14, vcc_lo
.LBB1219_171:
	s_and_not1_saveexec_b32 s3, s3
; %bb.172:
	v_add_co_u32 v13, vcc_lo, v15, v35
	v_add_co_ci_u32_e32 v14, vcc_lo, 0, v17, vcc_lo
; %bb.173:
	s_or_b32 exec_lo, exec_lo, s3
	s_delay_alu instid0(VALU_DEP_1) | instskip(NEXT) | instid1(VALU_DEP_1)
	v_lshlrev_b64 v[13:14], 2, v[13:14]
	v_add_co_u32 v13, vcc_lo, s12, v13
	s_delay_alu instid0(VALU_DEP_2) | instskip(SKIP_3) | instid1(SALU_CYCLE_1)
	v_add_co_ci_u32_e32 v14, vcc_lo, s13, v14, vcc_lo
	s_waitcnt lgkmcnt(6)
	global_store_b32 v[13:14], v12, off
	s_or_b32 exec_lo, exec_lo, s1
	s_mov_b32 s1, exec_lo
	v_cmpx_gt_u32_e64 s11, v31
	s_cbranch_execnz .LBB1219_139
.LBB1219_174:
	s_or_b32 exec_lo, exec_lo, s1
	s_delay_alu instid0(SALU_CYCLE_1)
	s_mov_b32 s1, exec_lo
	v_cmpx_gt_u32_e64 s11, v30
	s_cbranch_execz .LBB1219_144
.LBB1219_175:
	s_mov_b32 s3, exec_lo
                                        ; implicit-def: $vgpr11_vgpr12
	v_cmpx_ge_u32_e64 v30, v16
	s_xor_b32 s3, exec_lo, s3
	s_cbranch_execz .LBB1219_177
; %bb.176:
	s_waitcnt lgkmcnt(5)
	v_xor_b32_e32 v9, 0xfffffcff, v0
                                        ; implicit-def: $vgpr30
	s_delay_alu instid0(VALU_DEP_1) | instskip(SKIP_1) | instid1(VALU_DEP_2)
	v_ashrrev_i32_e32 v12, 31, v9
	v_add_co_u32 v11, vcc_lo, v18, v9
	v_add_co_ci_u32_e32 v12, vcc_lo, v19, v12, vcc_lo
.LBB1219_177:
	s_and_not1_saveexec_b32 s3, s3
	s_cbranch_execz .LBB1219_179
; %bb.178:
	s_waitcnt lgkmcnt(6)
	v_add_co_u32 v11, vcc_lo, v15, v30
	v_add_co_ci_u32_e32 v12, vcc_lo, 0, v17, vcc_lo
.LBB1219_179:
	s_or_b32 exec_lo, exec_lo, s3
	s_waitcnt lgkmcnt(6)
	s_delay_alu instid0(VALU_DEP_1) | instskip(NEXT) | instid1(VALU_DEP_1)
	v_lshlrev_b64 v[11:12], 2, v[11:12]
	v_add_co_u32 v11, vcc_lo, s12, v11
	s_delay_alu instid0(VALU_DEP_2) | instskip(SKIP_3) | instid1(SALU_CYCLE_1)
	v_add_co_ci_u32_e32 v12, vcc_lo, s13, v12, vcc_lo
	s_waitcnt lgkmcnt(5)
	global_store_b32 v[11:12], v10, off
	s_or_b32 exec_lo, exec_lo, s1
	s_mov_b32 s1, exec_lo
	v_cmpx_gt_u32_e64 s11, v29
	s_cbranch_execnz .LBB1219_145
.LBB1219_180:
	s_or_b32 exec_lo, exec_lo, s1
	s_delay_alu instid0(SALU_CYCLE_1)
	s_mov_b32 s1, exec_lo
	v_cmpx_gt_u32_e64 s11, v28
	s_cbranch_execz .LBB1219_150
.LBB1219_181:
	s_mov_b32 s3, exec_lo
                                        ; implicit-def: $vgpr9_vgpr10
	v_cmpx_ge_u32_e64 v28, v16
	s_xor_b32 s3, exec_lo, s3
	s_cbranch_execz .LBB1219_183
; %bb.182:
	s_waitcnt lgkmcnt(4)
	v_xor_b32_e32 v7, 0xfffffaff, v0
                                        ; implicit-def: $vgpr28
	s_delay_alu instid0(VALU_DEP_1) | instskip(SKIP_1) | instid1(VALU_DEP_2)
	v_ashrrev_i32_e32 v10, 31, v7
	v_add_co_u32 v9, vcc_lo, v18, v7
	v_add_co_ci_u32_e32 v10, vcc_lo, v19, v10, vcc_lo
.LBB1219_183:
	s_and_not1_saveexec_b32 s3, s3
	s_cbranch_execz .LBB1219_185
; %bb.184:
	s_waitcnt lgkmcnt(5)
	v_add_co_u32 v9, vcc_lo, v15, v28
	v_add_co_ci_u32_e32 v10, vcc_lo, 0, v17, vcc_lo
.LBB1219_185:
	s_or_b32 exec_lo, exec_lo, s3
	s_waitcnt lgkmcnt(5)
	s_delay_alu instid0(VALU_DEP_1) | instskip(NEXT) | instid1(VALU_DEP_1)
	v_lshlrev_b64 v[9:10], 2, v[9:10]
	v_add_co_u32 v9, vcc_lo, s12, v9
	s_delay_alu instid0(VALU_DEP_2) | instskip(SKIP_3) | instid1(SALU_CYCLE_1)
	v_add_co_ci_u32_e32 v10, vcc_lo, s13, v10, vcc_lo
	s_waitcnt lgkmcnt(4)
	global_store_b32 v[9:10], v8, off
	s_or_b32 exec_lo, exec_lo, s1
	s_mov_b32 s1, exec_lo
	v_cmpx_gt_u32_e64 s11, v27
	s_cbranch_execnz .LBB1219_151
.LBB1219_186:
	s_or_b32 exec_lo, exec_lo, s1
	s_delay_alu instid0(SALU_CYCLE_1)
	s_mov_b32 s1, exec_lo
	v_cmpx_gt_u32_e64 s11, v26
	s_cbranch_execz .LBB1219_156
.LBB1219_187:
	s_mov_b32 s3, exec_lo
                                        ; implicit-def: $vgpr7_vgpr8
	v_cmpx_ge_u32_e64 v26, v16
	s_xor_b32 s3, exec_lo, s3
	s_cbranch_execz .LBB1219_189
; %bb.188:
	s_waitcnt lgkmcnt(3)
	v_xor_b32_e32 v5, 0xfffff8ff, v0
                                        ; implicit-def: $vgpr26
	s_delay_alu instid0(VALU_DEP_1) | instskip(SKIP_1) | instid1(VALU_DEP_2)
	v_ashrrev_i32_e32 v8, 31, v5
	v_add_co_u32 v7, vcc_lo, v18, v5
	v_add_co_ci_u32_e32 v8, vcc_lo, v19, v8, vcc_lo
.LBB1219_189:
	s_and_not1_saveexec_b32 s3, s3
	s_cbranch_execz .LBB1219_191
; %bb.190:
	s_waitcnt lgkmcnt(4)
	v_add_co_u32 v7, vcc_lo, v15, v26
	v_add_co_ci_u32_e32 v8, vcc_lo, 0, v17, vcc_lo
.LBB1219_191:
	s_or_b32 exec_lo, exec_lo, s3
	s_waitcnt lgkmcnt(4)
	s_delay_alu instid0(VALU_DEP_1) | instskip(NEXT) | instid1(VALU_DEP_1)
	v_lshlrev_b64 v[7:8], 2, v[7:8]
	v_add_co_u32 v7, vcc_lo, s12, v7
	s_delay_alu instid0(VALU_DEP_2) | instskip(SKIP_3) | instid1(SALU_CYCLE_1)
	v_add_co_ci_u32_e32 v8, vcc_lo, s13, v8, vcc_lo
	s_waitcnt lgkmcnt(3)
	global_store_b32 v[7:8], v6, off
	s_or_b32 exec_lo, exec_lo, s1
	s_mov_b32 s1, exec_lo
	v_cmpx_gt_u32_e64 s11, v25
	s_cbranch_execnz .LBB1219_157
.LBB1219_192:
	s_or_b32 exec_lo, exec_lo, s1
	s_delay_alu instid0(SALU_CYCLE_1)
	s_mov_b32 s1, exec_lo
	v_cmpx_gt_u32_e64 s11, v24
	s_cbranch_execz .LBB1219_162
.LBB1219_193:
	s_mov_b32 s3, exec_lo
                                        ; implicit-def: $vgpr5_vgpr6
	v_cmpx_ge_u32_e64 v24, v16
	s_xor_b32 s3, exec_lo, s3
	s_cbranch_execz .LBB1219_195
; %bb.194:
	s_waitcnt lgkmcnt(2)
	v_xor_b32_e32 v3, 0xfffff6ff, v0
                                        ; implicit-def: $vgpr24
	s_delay_alu instid0(VALU_DEP_1) | instskip(SKIP_1) | instid1(VALU_DEP_2)
	v_ashrrev_i32_e32 v6, 31, v3
	v_add_co_u32 v5, vcc_lo, v18, v3
	v_add_co_ci_u32_e32 v6, vcc_lo, v19, v6, vcc_lo
.LBB1219_195:
	s_and_not1_saveexec_b32 s3, s3
	s_cbranch_execz .LBB1219_197
; %bb.196:
	s_waitcnt lgkmcnt(3)
	v_add_co_u32 v5, vcc_lo, v15, v24
	v_add_co_ci_u32_e32 v6, vcc_lo, 0, v17, vcc_lo
.LBB1219_197:
	s_or_b32 exec_lo, exec_lo, s3
	s_waitcnt lgkmcnt(3)
	s_delay_alu instid0(VALU_DEP_1) | instskip(NEXT) | instid1(VALU_DEP_1)
	v_lshlrev_b64 v[5:6], 2, v[5:6]
	v_add_co_u32 v5, vcc_lo, s12, v5
	s_delay_alu instid0(VALU_DEP_2) | instskip(SKIP_3) | instid1(SALU_CYCLE_1)
	v_add_co_ci_u32_e32 v6, vcc_lo, s13, v6, vcc_lo
	s_waitcnt lgkmcnt(2)
	global_store_b32 v[5:6], v4, off
	s_or_b32 exec_lo, exec_lo, s1
	s_mov_b32 s1, exec_lo
	v_cmpx_gt_u32_e64 s11, v23
	s_cbranch_execnz .LBB1219_163
.LBB1219_198:
	s_or_b32 exec_lo, exec_lo, s1
	s_delay_alu instid0(SALU_CYCLE_1)
	s_mov_b32 s1, exec_lo
	v_cmpx_gt_u32_e64 s11, v22
	s_cbranch_execz .LBB1219_204
.LBB1219_199:
	s_mov_b32 s3, exec_lo
                                        ; implicit-def: $vgpr3_vgpr4
	v_cmpx_ge_u32_e64 v22, v16
	s_xor_b32 s3, exec_lo, s3
	s_cbranch_execz .LBB1219_201
; %bb.200:
	s_waitcnt lgkmcnt(1)
	v_xor_b32_e32 v1, 0xfffff4ff, v0
                                        ; implicit-def: $vgpr22
	s_delay_alu instid0(VALU_DEP_1) | instskip(SKIP_1) | instid1(VALU_DEP_2)
	v_ashrrev_i32_e32 v4, 31, v1
	v_add_co_u32 v3, vcc_lo, v18, v1
	v_add_co_ci_u32_e32 v4, vcc_lo, v19, v4, vcc_lo
.LBB1219_201:
	s_and_not1_saveexec_b32 s3, s3
	s_cbranch_execz .LBB1219_203
; %bb.202:
	s_waitcnt lgkmcnt(2)
	v_add_co_u32 v3, vcc_lo, v15, v22
	v_add_co_ci_u32_e32 v4, vcc_lo, 0, v17, vcc_lo
.LBB1219_203:
	s_or_b32 exec_lo, exec_lo, s3
	s_waitcnt lgkmcnt(2)
	s_delay_alu instid0(VALU_DEP_1) | instskip(NEXT) | instid1(VALU_DEP_1)
	v_lshlrev_b64 v[3:4], 2, v[3:4]
	v_add_co_u32 v3, vcc_lo, s12, v3
	s_delay_alu instid0(VALU_DEP_2)
	v_add_co_ci_u32_e32 v4, vcc_lo, s13, v4, vcc_lo
	s_waitcnt lgkmcnt(1)
	global_store_b32 v[3:4], v2, off
.LBB1219_204:
	s_or_b32 exec_lo, exec_lo, s1
	s_delay_alu instid0(SALU_CYCLE_1)
	s_mov_b32 s1, exec_lo
                                        ; implicit-def: $vgpr13_vgpr14
	v_cmpx_gt_u32_e64 s11, v21
	s_cbranch_execz .LBB1219_210
; %bb.205:
	s_mov_b32 s3, exec_lo
                                        ; implicit-def: $vgpr13_vgpr14
	v_cmpx_ge_u32_e64 v21, v16
	s_xor_b32 s3, exec_lo, s3
	s_cbranch_execz .LBB1219_207
; %bb.206:
	v_xor_b32_e32 v0, 0xfffff3ff, v0
                                        ; implicit-def: $vgpr21
	s_waitcnt lgkmcnt(1)
	s_delay_alu instid0(VALU_DEP_1) | instskip(SKIP_1) | instid1(VALU_DEP_2)
	v_ashrrev_i32_e32 v1, 31, v0
	v_add_co_u32 v13, vcc_lo, v18, v0
	v_add_co_ci_u32_e32 v14, vcc_lo, v19, v1, vcc_lo
.LBB1219_207:
	s_and_not1_saveexec_b32 s3, s3
; %bb.208:
	v_add_co_u32 v13, vcc_lo, v15, v21
	v_add_co_ci_u32_e32 v14, vcc_lo, 0, v17, vcc_lo
; %bb.209:
	s_or_b32 exec_lo, exec_lo, s3
	s_delay_alu instid0(SALU_CYCLE_1)
	s_or_b32 s0, s0, exec_lo
.LBB1219_210:
	s_or_b32 exec_lo, exec_lo, s1
	s_and_saveexec_b32 s1, s0
	s_cbranch_execnz .LBB1219_129
.LBB1219_211:
	s_or_b32 exec_lo, exec_lo, s1
	s_and_b32 s0, s2, s10
	s_delay_alu instid0(SALU_CYCLE_1)
	s_and_saveexec_b32 s1, s0
	s_cbranch_execz .LBB1219_130
.LBB1219_212:
	v_add_co_u32 v0, vcc_lo, v15, v16
	s_waitcnt lgkmcnt(1)
	v_mov_b32_e32 v2, 0
	v_add_co_ci_u32_e32 v1, vcc_lo, 0, v17, vcc_lo
	global_store_b64 v2, v[0:1], s[8:9]
	s_nop 0
	s_sendmsg sendmsg(MSG_DEALLOC_VGPRS)
	s_endpgm
	.section	.rodata,"a",@progbits
	.p2align	6, 0x0
	.amdhsa_kernel _ZN7rocprim17ROCPRIM_400000_NS6detail17trampoline_kernelINS0_13select_configILj256ELj13ELNS0_17block_load_methodE3ELS4_3ELS4_3ELNS0_20block_scan_algorithmE0ELj4294967295EEENS1_25partition_config_selectorILNS1_17partition_subalgoE3EjNS0_10empty_typeEbEEZZNS1_14partition_implILS8_3ELb0ES6_jNS0_17counting_iteratorIjlEEPS9_SE_NS0_5tupleIJPjSE_EEENSF_IJSE_SE_EEES9_SG_JZNS1_25segmented_radix_sort_implINS0_14default_configELb0EPKdPdPKlPlN2at6native12_GLOBAL__N_18offset_tEEE10hipError_tPvRmT1_PNSt15iterator_traitsISY_E10value_typeET2_T3_PNSZ_IS14_E10value_typeET4_jRbjT5_S1A_jjP12ihipStream_tbEUljE_EEESV_SW_SX_S14_S18_S1A_T6_T7_T9_mT8_S1C_bDpT10_ENKUlT_T0_E_clISt17integral_constantIbLb0EES1O_IbLb1EEEEDaS1K_S1L_EUlS1K_E_NS1_11comp_targetILNS1_3genE9ELNS1_11target_archE1100ELNS1_3gpuE3ELNS1_3repE0EEENS1_30default_config_static_selectorELNS0_4arch9wavefront6targetE0EEEvSY_
		.amdhsa_group_segment_fixed_size 13324
		.amdhsa_private_segment_fixed_size 0
		.amdhsa_kernarg_size 152
		.amdhsa_user_sgpr_count 15
		.amdhsa_user_sgpr_dispatch_ptr 0
		.amdhsa_user_sgpr_queue_ptr 0
		.amdhsa_user_sgpr_kernarg_segment_ptr 1
		.amdhsa_user_sgpr_dispatch_id 0
		.amdhsa_user_sgpr_private_segment_size 0
		.amdhsa_wavefront_size32 1
		.amdhsa_uses_dynamic_stack 0
		.amdhsa_enable_private_segment 0
		.amdhsa_system_sgpr_workgroup_id_x 1
		.amdhsa_system_sgpr_workgroup_id_y 0
		.amdhsa_system_sgpr_workgroup_id_z 0
		.amdhsa_system_sgpr_workgroup_info 0
		.amdhsa_system_vgpr_workitem_id 0
		.amdhsa_next_free_vgpr 60
		.amdhsa_next_free_sgpr 26
		.amdhsa_reserve_vcc 1
		.amdhsa_float_round_mode_32 0
		.amdhsa_float_round_mode_16_64 0
		.amdhsa_float_denorm_mode_32 3
		.amdhsa_float_denorm_mode_16_64 3
		.amdhsa_dx10_clamp 1
		.amdhsa_ieee_mode 1
		.amdhsa_fp16_overflow 0
		.amdhsa_workgroup_processor_mode 1
		.amdhsa_memory_ordered 1
		.amdhsa_forward_progress 0
		.amdhsa_shared_vgpr_count 0
		.amdhsa_exception_fp_ieee_invalid_op 0
		.amdhsa_exception_fp_denorm_src 0
		.amdhsa_exception_fp_ieee_div_zero 0
		.amdhsa_exception_fp_ieee_overflow 0
		.amdhsa_exception_fp_ieee_underflow 0
		.amdhsa_exception_fp_ieee_inexact 0
		.amdhsa_exception_int_div_zero 0
	.end_amdhsa_kernel
	.section	.text._ZN7rocprim17ROCPRIM_400000_NS6detail17trampoline_kernelINS0_13select_configILj256ELj13ELNS0_17block_load_methodE3ELS4_3ELS4_3ELNS0_20block_scan_algorithmE0ELj4294967295EEENS1_25partition_config_selectorILNS1_17partition_subalgoE3EjNS0_10empty_typeEbEEZZNS1_14partition_implILS8_3ELb0ES6_jNS0_17counting_iteratorIjlEEPS9_SE_NS0_5tupleIJPjSE_EEENSF_IJSE_SE_EEES9_SG_JZNS1_25segmented_radix_sort_implINS0_14default_configELb0EPKdPdPKlPlN2at6native12_GLOBAL__N_18offset_tEEE10hipError_tPvRmT1_PNSt15iterator_traitsISY_E10value_typeET2_T3_PNSZ_IS14_E10value_typeET4_jRbjT5_S1A_jjP12ihipStream_tbEUljE_EEESV_SW_SX_S14_S18_S1A_T6_T7_T9_mT8_S1C_bDpT10_ENKUlT_T0_E_clISt17integral_constantIbLb0EES1O_IbLb1EEEEDaS1K_S1L_EUlS1K_E_NS1_11comp_targetILNS1_3genE9ELNS1_11target_archE1100ELNS1_3gpuE3ELNS1_3repE0EEENS1_30default_config_static_selectorELNS0_4arch9wavefront6targetE0EEEvSY_,"axG",@progbits,_ZN7rocprim17ROCPRIM_400000_NS6detail17trampoline_kernelINS0_13select_configILj256ELj13ELNS0_17block_load_methodE3ELS4_3ELS4_3ELNS0_20block_scan_algorithmE0ELj4294967295EEENS1_25partition_config_selectorILNS1_17partition_subalgoE3EjNS0_10empty_typeEbEEZZNS1_14partition_implILS8_3ELb0ES6_jNS0_17counting_iteratorIjlEEPS9_SE_NS0_5tupleIJPjSE_EEENSF_IJSE_SE_EEES9_SG_JZNS1_25segmented_radix_sort_implINS0_14default_configELb0EPKdPdPKlPlN2at6native12_GLOBAL__N_18offset_tEEE10hipError_tPvRmT1_PNSt15iterator_traitsISY_E10value_typeET2_T3_PNSZ_IS14_E10value_typeET4_jRbjT5_S1A_jjP12ihipStream_tbEUljE_EEESV_SW_SX_S14_S18_S1A_T6_T7_T9_mT8_S1C_bDpT10_ENKUlT_T0_E_clISt17integral_constantIbLb0EES1O_IbLb1EEEEDaS1K_S1L_EUlS1K_E_NS1_11comp_targetILNS1_3genE9ELNS1_11target_archE1100ELNS1_3gpuE3ELNS1_3repE0EEENS1_30default_config_static_selectorELNS0_4arch9wavefront6targetE0EEEvSY_,comdat
.Lfunc_end1219:
	.size	_ZN7rocprim17ROCPRIM_400000_NS6detail17trampoline_kernelINS0_13select_configILj256ELj13ELNS0_17block_load_methodE3ELS4_3ELS4_3ELNS0_20block_scan_algorithmE0ELj4294967295EEENS1_25partition_config_selectorILNS1_17partition_subalgoE3EjNS0_10empty_typeEbEEZZNS1_14partition_implILS8_3ELb0ES6_jNS0_17counting_iteratorIjlEEPS9_SE_NS0_5tupleIJPjSE_EEENSF_IJSE_SE_EEES9_SG_JZNS1_25segmented_radix_sort_implINS0_14default_configELb0EPKdPdPKlPlN2at6native12_GLOBAL__N_18offset_tEEE10hipError_tPvRmT1_PNSt15iterator_traitsISY_E10value_typeET2_T3_PNSZ_IS14_E10value_typeET4_jRbjT5_S1A_jjP12ihipStream_tbEUljE_EEESV_SW_SX_S14_S18_S1A_T6_T7_T9_mT8_S1C_bDpT10_ENKUlT_T0_E_clISt17integral_constantIbLb0EES1O_IbLb1EEEEDaS1K_S1L_EUlS1K_E_NS1_11comp_targetILNS1_3genE9ELNS1_11target_archE1100ELNS1_3gpuE3ELNS1_3repE0EEENS1_30default_config_static_selectorELNS0_4arch9wavefront6targetE0EEEvSY_, .Lfunc_end1219-_ZN7rocprim17ROCPRIM_400000_NS6detail17trampoline_kernelINS0_13select_configILj256ELj13ELNS0_17block_load_methodE3ELS4_3ELS4_3ELNS0_20block_scan_algorithmE0ELj4294967295EEENS1_25partition_config_selectorILNS1_17partition_subalgoE3EjNS0_10empty_typeEbEEZZNS1_14partition_implILS8_3ELb0ES6_jNS0_17counting_iteratorIjlEEPS9_SE_NS0_5tupleIJPjSE_EEENSF_IJSE_SE_EEES9_SG_JZNS1_25segmented_radix_sort_implINS0_14default_configELb0EPKdPdPKlPlN2at6native12_GLOBAL__N_18offset_tEEE10hipError_tPvRmT1_PNSt15iterator_traitsISY_E10value_typeET2_T3_PNSZ_IS14_E10value_typeET4_jRbjT5_S1A_jjP12ihipStream_tbEUljE_EEESV_SW_SX_S14_S18_S1A_T6_T7_T9_mT8_S1C_bDpT10_ENKUlT_T0_E_clISt17integral_constantIbLb0EES1O_IbLb1EEEEDaS1K_S1L_EUlS1K_E_NS1_11comp_targetILNS1_3genE9ELNS1_11target_archE1100ELNS1_3gpuE3ELNS1_3repE0EEENS1_30default_config_static_selectorELNS0_4arch9wavefront6targetE0EEEvSY_
                                        ; -- End function
	.section	.AMDGPU.csdata,"",@progbits
; Kernel info:
; codeLenInByte = 9040
; NumSgprs: 28
; NumVgprs: 60
; ScratchSize: 0
; MemoryBound: 0
; FloatMode: 240
; IeeeMode: 1
; LDSByteSize: 13324 bytes/workgroup (compile time only)
; SGPRBlocks: 3
; VGPRBlocks: 7
; NumSGPRsForWavesPerEU: 28
; NumVGPRsForWavesPerEU: 60
; Occupancy: 16
; WaveLimiterHint : 0
; COMPUTE_PGM_RSRC2:SCRATCH_EN: 0
; COMPUTE_PGM_RSRC2:USER_SGPR: 15
; COMPUTE_PGM_RSRC2:TRAP_HANDLER: 0
; COMPUTE_PGM_RSRC2:TGID_X_EN: 1
; COMPUTE_PGM_RSRC2:TGID_Y_EN: 0
; COMPUTE_PGM_RSRC2:TGID_Z_EN: 0
; COMPUTE_PGM_RSRC2:TIDIG_COMP_CNT: 0
	.section	.text._ZN7rocprim17ROCPRIM_400000_NS6detail17trampoline_kernelINS0_13select_configILj256ELj13ELNS0_17block_load_methodE3ELS4_3ELS4_3ELNS0_20block_scan_algorithmE0ELj4294967295EEENS1_25partition_config_selectorILNS1_17partition_subalgoE3EjNS0_10empty_typeEbEEZZNS1_14partition_implILS8_3ELb0ES6_jNS0_17counting_iteratorIjlEEPS9_SE_NS0_5tupleIJPjSE_EEENSF_IJSE_SE_EEES9_SG_JZNS1_25segmented_radix_sort_implINS0_14default_configELb0EPKdPdPKlPlN2at6native12_GLOBAL__N_18offset_tEEE10hipError_tPvRmT1_PNSt15iterator_traitsISY_E10value_typeET2_T3_PNSZ_IS14_E10value_typeET4_jRbjT5_S1A_jjP12ihipStream_tbEUljE_EEESV_SW_SX_S14_S18_S1A_T6_T7_T9_mT8_S1C_bDpT10_ENKUlT_T0_E_clISt17integral_constantIbLb0EES1O_IbLb1EEEEDaS1K_S1L_EUlS1K_E_NS1_11comp_targetILNS1_3genE8ELNS1_11target_archE1030ELNS1_3gpuE2ELNS1_3repE0EEENS1_30default_config_static_selectorELNS0_4arch9wavefront6targetE0EEEvSY_,"axG",@progbits,_ZN7rocprim17ROCPRIM_400000_NS6detail17trampoline_kernelINS0_13select_configILj256ELj13ELNS0_17block_load_methodE3ELS4_3ELS4_3ELNS0_20block_scan_algorithmE0ELj4294967295EEENS1_25partition_config_selectorILNS1_17partition_subalgoE3EjNS0_10empty_typeEbEEZZNS1_14partition_implILS8_3ELb0ES6_jNS0_17counting_iteratorIjlEEPS9_SE_NS0_5tupleIJPjSE_EEENSF_IJSE_SE_EEES9_SG_JZNS1_25segmented_radix_sort_implINS0_14default_configELb0EPKdPdPKlPlN2at6native12_GLOBAL__N_18offset_tEEE10hipError_tPvRmT1_PNSt15iterator_traitsISY_E10value_typeET2_T3_PNSZ_IS14_E10value_typeET4_jRbjT5_S1A_jjP12ihipStream_tbEUljE_EEESV_SW_SX_S14_S18_S1A_T6_T7_T9_mT8_S1C_bDpT10_ENKUlT_T0_E_clISt17integral_constantIbLb0EES1O_IbLb1EEEEDaS1K_S1L_EUlS1K_E_NS1_11comp_targetILNS1_3genE8ELNS1_11target_archE1030ELNS1_3gpuE2ELNS1_3repE0EEENS1_30default_config_static_selectorELNS0_4arch9wavefront6targetE0EEEvSY_,comdat
	.globl	_ZN7rocprim17ROCPRIM_400000_NS6detail17trampoline_kernelINS0_13select_configILj256ELj13ELNS0_17block_load_methodE3ELS4_3ELS4_3ELNS0_20block_scan_algorithmE0ELj4294967295EEENS1_25partition_config_selectorILNS1_17partition_subalgoE3EjNS0_10empty_typeEbEEZZNS1_14partition_implILS8_3ELb0ES6_jNS0_17counting_iteratorIjlEEPS9_SE_NS0_5tupleIJPjSE_EEENSF_IJSE_SE_EEES9_SG_JZNS1_25segmented_radix_sort_implINS0_14default_configELb0EPKdPdPKlPlN2at6native12_GLOBAL__N_18offset_tEEE10hipError_tPvRmT1_PNSt15iterator_traitsISY_E10value_typeET2_T3_PNSZ_IS14_E10value_typeET4_jRbjT5_S1A_jjP12ihipStream_tbEUljE_EEESV_SW_SX_S14_S18_S1A_T6_T7_T9_mT8_S1C_bDpT10_ENKUlT_T0_E_clISt17integral_constantIbLb0EES1O_IbLb1EEEEDaS1K_S1L_EUlS1K_E_NS1_11comp_targetILNS1_3genE8ELNS1_11target_archE1030ELNS1_3gpuE2ELNS1_3repE0EEENS1_30default_config_static_selectorELNS0_4arch9wavefront6targetE0EEEvSY_ ; -- Begin function _ZN7rocprim17ROCPRIM_400000_NS6detail17trampoline_kernelINS0_13select_configILj256ELj13ELNS0_17block_load_methodE3ELS4_3ELS4_3ELNS0_20block_scan_algorithmE0ELj4294967295EEENS1_25partition_config_selectorILNS1_17partition_subalgoE3EjNS0_10empty_typeEbEEZZNS1_14partition_implILS8_3ELb0ES6_jNS0_17counting_iteratorIjlEEPS9_SE_NS0_5tupleIJPjSE_EEENSF_IJSE_SE_EEES9_SG_JZNS1_25segmented_radix_sort_implINS0_14default_configELb0EPKdPdPKlPlN2at6native12_GLOBAL__N_18offset_tEEE10hipError_tPvRmT1_PNSt15iterator_traitsISY_E10value_typeET2_T3_PNSZ_IS14_E10value_typeET4_jRbjT5_S1A_jjP12ihipStream_tbEUljE_EEESV_SW_SX_S14_S18_S1A_T6_T7_T9_mT8_S1C_bDpT10_ENKUlT_T0_E_clISt17integral_constantIbLb0EES1O_IbLb1EEEEDaS1K_S1L_EUlS1K_E_NS1_11comp_targetILNS1_3genE8ELNS1_11target_archE1030ELNS1_3gpuE2ELNS1_3repE0EEENS1_30default_config_static_selectorELNS0_4arch9wavefront6targetE0EEEvSY_
	.p2align	8
	.type	_ZN7rocprim17ROCPRIM_400000_NS6detail17trampoline_kernelINS0_13select_configILj256ELj13ELNS0_17block_load_methodE3ELS4_3ELS4_3ELNS0_20block_scan_algorithmE0ELj4294967295EEENS1_25partition_config_selectorILNS1_17partition_subalgoE3EjNS0_10empty_typeEbEEZZNS1_14partition_implILS8_3ELb0ES6_jNS0_17counting_iteratorIjlEEPS9_SE_NS0_5tupleIJPjSE_EEENSF_IJSE_SE_EEES9_SG_JZNS1_25segmented_radix_sort_implINS0_14default_configELb0EPKdPdPKlPlN2at6native12_GLOBAL__N_18offset_tEEE10hipError_tPvRmT1_PNSt15iterator_traitsISY_E10value_typeET2_T3_PNSZ_IS14_E10value_typeET4_jRbjT5_S1A_jjP12ihipStream_tbEUljE_EEESV_SW_SX_S14_S18_S1A_T6_T7_T9_mT8_S1C_bDpT10_ENKUlT_T0_E_clISt17integral_constantIbLb0EES1O_IbLb1EEEEDaS1K_S1L_EUlS1K_E_NS1_11comp_targetILNS1_3genE8ELNS1_11target_archE1030ELNS1_3gpuE2ELNS1_3repE0EEENS1_30default_config_static_selectorELNS0_4arch9wavefront6targetE0EEEvSY_,@function
_ZN7rocprim17ROCPRIM_400000_NS6detail17trampoline_kernelINS0_13select_configILj256ELj13ELNS0_17block_load_methodE3ELS4_3ELS4_3ELNS0_20block_scan_algorithmE0ELj4294967295EEENS1_25partition_config_selectorILNS1_17partition_subalgoE3EjNS0_10empty_typeEbEEZZNS1_14partition_implILS8_3ELb0ES6_jNS0_17counting_iteratorIjlEEPS9_SE_NS0_5tupleIJPjSE_EEENSF_IJSE_SE_EEES9_SG_JZNS1_25segmented_radix_sort_implINS0_14default_configELb0EPKdPdPKlPlN2at6native12_GLOBAL__N_18offset_tEEE10hipError_tPvRmT1_PNSt15iterator_traitsISY_E10value_typeET2_T3_PNSZ_IS14_E10value_typeET4_jRbjT5_S1A_jjP12ihipStream_tbEUljE_EEESV_SW_SX_S14_S18_S1A_T6_T7_T9_mT8_S1C_bDpT10_ENKUlT_T0_E_clISt17integral_constantIbLb0EES1O_IbLb1EEEEDaS1K_S1L_EUlS1K_E_NS1_11comp_targetILNS1_3genE8ELNS1_11target_archE1030ELNS1_3gpuE2ELNS1_3repE0EEENS1_30default_config_static_selectorELNS0_4arch9wavefront6targetE0EEEvSY_: ; @_ZN7rocprim17ROCPRIM_400000_NS6detail17trampoline_kernelINS0_13select_configILj256ELj13ELNS0_17block_load_methodE3ELS4_3ELS4_3ELNS0_20block_scan_algorithmE0ELj4294967295EEENS1_25partition_config_selectorILNS1_17partition_subalgoE3EjNS0_10empty_typeEbEEZZNS1_14partition_implILS8_3ELb0ES6_jNS0_17counting_iteratorIjlEEPS9_SE_NS0_5tupleIJPjSE_EEENSF_IJSE_SE_EEES9_SG_JZNS1_25segmented_radix_sort_implINS0_14default_configELb0EPKdPdPKlPlN2at6native12_GLOBAL__N_18offset_tEEE10hipError_tPvRmT1_PNSt15iterator_traitsISY_E10value_typeET2_T3_PNSZ_IS14_E10value_typeET4_jRbjT5_S1A_jjP12ihipStream_tbEUljE_EEESV_SW_SX_S14_S18_S1A_T6_T7_T9_mT8_S1C_bDpT10_ENKUlT_T0_E_clISt17integral_constantIbLb0EES1O_IbLb1EEEEDaS1K_S1L_EUlS1K_E_NS1_11comp_targetILNS1_3genE8ELNS1_11target_archE1030ELNS1_3gpuE2ELNS1_3repE0EEENS1_30default_config_static_selectorELNS0_4arch9wavefront6targetE0EEEvSY_
; %bb.0:
	.section	.rodata,"a",@progbits
	.p2align	6, 0x0
	.amdhsa_kernel _ZN7rocprim17ROCPRIM_400000_NS6detail17trampoline_kernelINS0_13select_configILj256ELj13ELNS0_17block_load_methodE3ELS4_3ELS4_3ELNS0_20block_scan_algorithmE0ELj4294967295EEENS1_25partition_config_selectorILNS1_17partition_subalgoE3EjNS0_10empty_typeEbEEZZNS1_14partition_implILS8_3ELb0ES6_jNS0_17counting_iteratorIjlEEPS9_SE_NS0_5tupleIJPjSE_EEENSF_IJSE_SE_EEES9_SG_JZNS1_25segmented_radix_sort_implINS0_14default_configELb0EPKdPdPKlPlN2at6native12_GLOBAL__N_18offset_tEEE10hipError_tPvRmT1_PNSt15iterator_traitsISY_E10value_typeET2_T3_PNSZ_IS14_E10value_typeET4_jRbjT5_S1A_jjP12ihipStream_tbEUljE_EEESV_SW_SX_S14_S18_S1A_T6_T7_T9_mT8_S1C_bDpT10_ENKUlT_T0_E_clISt17integral_constantIbLb0EES1O_IbLb1EEEEDaS1K_S1L_EUlS1K_E_NS1_11comp_targetILNS1_3genE8ELNS1_11target_archE1030ELNS1_3gpuE2ELNS1_3repE0EEENS1_30default_config_static_selectorELNS0_4arch9wavefront6targetE0EEEvSY_
		.amdhsa_group_segment_fixed_size 0
		.amdhsa_private_segment_fixed_size 0
		.amdhsa_kernarg_size 152
		.amdhsa_user_sgpr_count 15
		.amdhsa_user_sgpr_dispatch_ptr 0
		.amdhsa_user_sgpr_queue_ptr 0
		.amdhsa_user_sgpr_kernarg_segment_ptr 1
		.amdhsa_user_sgpr_dispatch_id 0
		.amdhsa_user_sgpr_private_segment_size 0
		.amdhsa_wavefront_size32 1
		.amdhsa_uses_dynamic_stack 0
		.amdhsa_enable_private_segment 0
		.amdhsa_system_sgpr_workgroup_id_x 1
		.amdhsa_system_sgpr_workgroup_id_y 0
		.amdhsa_system_sgpr_workgroup_id_z 0
		.amdhsa_system_sgpr_workgroup_info 0
		.amdhsa_system_vgpr_workitem_id 0
		.amdhsa_next_free_vgpr 1
		.amdhsa_next_free_sgpr 1
		.amdhsa_reserve_vcc 0
		.amdhsa_float_round_mode_32 0
		.amdhsa_float_round_mode_16_64 0
		.amdhsa_float_denorm_mode_32 3
		.amdhsa_float_denorm_mode_16_64 3
		.amdhsa_dx10_clamp 1
		.amdhsa_ieee_mode 1
		.amdhsa_fp16_overflow 0
		.amdhsa_workgroup_processor_mode 1
		.amdhsa_memory_ordered 1
		.amdhsa_forward_progress 0
		.amdhsa_shared_vgpr_count 0
		.amdhsa_exception_fp_ieee_invalid_op 0
		.amdhsa_exception_fp_denorm_src 0
		.amdhsa_exception_fp_ieee_div_zero 0
		.amdhsa_exception_fp_ieee_overflow 0
		.amdhsa_exception_fp_ieee_underflow 0
		.amdhsa_exception_fp_ieee_inexact 0
		.amdhsa_exception_int_div_zero 0
	.end_amdhsa_kernel
	.section	.text._ZN7rocprim17ROCPRIM_400000_NS6detail17trampoline_kernelINS0_13select_configILj256ELj13ELNS0_17block_load_methodE3ELS4_3ELS4_3ELNS0_20block_scan_algorithmE0ELj4294967295EEENS1_25partition_config_selectorILNS1_17partition_subalgoE3EjNS0_10empty_typeEbEEZZNS1_14partition_implILS8_3ELb0ES6_jNS0_17counting_iteratorIjlEEPS9_SE_NS0_5tupleIJPjSE_EEENSF_IJSE_SE_EEES9_SG_JZNS1_25segmented_radix_sort_implINS0_14default_configELb0EPKdPdPKlPlN2at6native12_GLOBAL__N_18offset_tEEE10hipError_tPvRmT1_PNSt15iterator_traitsISY_E10value_typeET2_T3_PNSZ_IS14_E10value_typeET4_jRbjT5_S1A_jjP12ihipStream_tbEUljE_EEESV_SW_SX_S14_S18_S1A_T6_T7_T9_mT8_S1C_bDpT10_ENKUlT_T0_E_clISt17integral_constantIbLb0EES1O_IbLb1EEEEDaS1K_S1L_EUlS1K_E_NS1_11comp_targetILNS1_3genE8ELNS1_11target_archE1030ELNS1_3gpuE2ELNS1_3repE0EEENS1_30default_config_static_selectorELNS0_4arch9wavefront6targetE0EEEvSY_,"axG",@progbits,_ZN7rocprim17ROCPRIM_400000_NS6detail17trampoline_kernelINS0_13select_configILj256ELj13ELNS0_17block_load_methodE3ELS4_3ELS4_3ELNS0_20block_scan_algorithmE0ELj4294967295EEENS1_25partition_config_selectorILNS1_17partition_subalgoE3EjNS0_10empty_typeEbEEZZNS1_14partition_implILS8_3ELb0ES6_jNS0_17counting_iteratorIjlEEPS9_SE_NS0_5tupleIJPjSE_EEENSF_IJSE_SE_EEES9_SG_JZNS1_25segmented_radix_sort_implINS0_14default_configELb0EPKdPdPKlPlN2at6native12_GLOBAL__N_18offset_tEEE10hipError_tPvRmT1_PNSt15iterator_traitsISY_E10value_typeET2_T3_PNSZ_IS14_E10value_typeET4_jRbjT5_S1A_jjP12ihipStream_tbEUljE_EEESV_SW_SX_S14_S18_S1A_T6_T7_T9_mT8_S1C_bDpT10_ENKUlT_T0_E_clISt17integral_constantIbLb0EES1O_IbLb1EEEEDaS1K_S1L_EUlS1K_E_NS1_11comp_targetILNS1_3genE8ELNS1_11target_archE1030ELNS1_3gpuE2ELNS1_3repE0EEENS1_30default_config_static_selectorELNS0_4arch9wavefront6targetE0EEEvSY_,comdat
.Lfunc_end1220:
	.size	_ZN7rocprim17ROCPRIM_400000_NS6detail17trampoline_kernelINS0_13select_configILj256ELj13ELNS0_17block_load_methodE3ELS4_3ELS4_3ELNS0_20block_scan_algorithmE0ELj4294967295EEENS1_25partition_config_selectorILNS1_17partition_subalgoE3EjNS0_10empty_typeEbEEZZNS1_14partition_implILS8_3ELb0ES6_jNS0_17counting_iteratorIjlEEPS9_SE_NS0_5tupleIJPjSE_EEENSF_IJSE_SE_EEES9_SG_JZNS1_25segmented_radix_sort_implINS0_14default_configELb0EPKdPdPKlPlN2at6native12_GLOBAL__N_18offset_tEEE10hipError_tPvRmT1_PNSt15iterator_traitsISY_E10value_typeET2_T3_PNSZ_IS14_E10value_typeET4_jRbjT5_S1A_jjP12ihipStream_tbEUljE_EEESV_SW_SX_S14_S18_S1A_T6_T7_T9_mT8_S1C_bDpT10_ENKUlT_T0_E_clISt17integral_constantIbLb0EES1O_IbLb1EEEEDaS1K_S1L_EUlS1K_E_NS1_11comp_targetILNS1_3genE8ELNS1_11target_archE1030ELNS1_3gpuE2ELNS1_3repE0EEENS1_30default_config_static_selectorELNS0_4arch9wavefront6targetE0EEEvSY_, .Lfunc_end1220-_ZN7rocprim17ROCPRIM_400000_NS6detail17trampoline_kernelINS0_13select_configILj256ELj13ELNS0_17block_load_methodE3ELS4_3ELS4_3ELNS0_20block_scan_algorithmE0ELj4294967295EEENS1_25partition_config_selectorILNS1_17partition_subalgoE3EjNS0_10empty_typeEbEEZZNS1_14partition_implILS8_3ELb0ES6_jNS0_17counting_iteratorIjlEEPS9_SE_NS0_5tupleIJPjSE_EEENSF_IJSE_SE_EEES9_SG_JZNS1_25segmented_radix_sort_implINS0_14default_configELb0EPKdPdPKlPlN2at6native12_GLOBAL__N_18offset_tEEE10hipError_tPvRmT1_PNSt15iterator_traitsISY_E10value_typeET2_T3_PNSZ_IS14_E10value_typeET4_jRbjT5_S1A_jjP12ihipStream_tbEUljE_EEESV_SW_SX_S14_S18_S1A_T6_T7_T9_mT8_S1C_bDpT10_ENKUlT_T0_E_clISt17integral_constantIbLb0EES1O_IbLb1EEEEDaS1K_S1L_EUlS1K_E_NS1_11comp_targetILNS1_3genE8ELNS1_11target_archE1030ELNS1_3gpuE2ELNS1_3repE0EEENS1_30default_config_static_selectorELNS0_4arch9wavefront6targetE0EEEvSY_
                                        ; -- End function
	.section	.AMDGPU.csdata,"",@progbits
; Kernel info:
; codeLenInByte = 0
; NumSgprs: 0
; NumVgprs: 0
; ScratchSize: 0
; MemoryBound: 0
; FloatMode: 240
; IeeeMode: 1
; LDSByteSize: 0 bytes/workgroup (compile time only)
; SGPRBlocks: 0
; VGPRBlocks: 0
; NumSGPRsForWavesPerEU: 1
; NumVGPRsForWavesPerEU: 1
; Occupancy: 16
; WaveLimiterHint : 0
; COMPUTE_PGM_RSRC2:SCRATCH_EN: 0
; COMPUTE_PGM_RSRC2:USER_SGPR: 15
; COMPUTE_PGM_RSRC2:TRAP_HANDLER: 0
; COMPUTE_PGM_RSRC2:TGID_X_EN: 1
; COMPUTE_PGM_RSRC2:TGID_Y_EN: 0
; COMPUTE_PGM_RSRC2:TGID_Z_EN: 0
; COMPUTE_PGM_RSRC2:TIDIG_COMP_CNT: 0
	.section	.text._ZN7rocprim17ROCPRIM_400000_NS6detail17trampoline_kernelINS0_14default_configENS1_36segmented_radix_sort_config_selectorIdlEEZNS1_25segmented_radix_sort_implIS3_Lb0EPKdPdPKlPlN2at6native12_GLOBAL__N_18offset_tEEE10hipError_tPvRmT1_PNSt15iterator_traitsISK_E10value_typeET2_T3_PNSL_ISQ_E10value_typeET4_jRbjT5_SW_jjP12ihipStream_tbEUlT_E_NS1_11comp_targetILNS1_3genE0ELNS1_11target_archE4294967295ELNS1_3gpuE0ELNS1_3repE0EEENS1_30default_config_static_selectorELNS0_4arch9wavefront6targetE0EEEvSK_,"axG",@progbits,_ZN7rocprim17ROCPRIM_400000_NS6detail17trampoline_kernelINS0_14default_configENS1_36segmented_radix_sort_config_selectorIdlEEZNS1_25segmented_radix_sort_implIS3_Lb0EPKdPdPKlPlN2at6native12_GLOBAL__N_18offset_tEEE10hipError_tPvRmT1_PNSt15iterator_traitsISK_E10value_typeET2_T3_PNSL_ISQ_E10value_typeET4_jRbjT5_SW_jjP12ihipStream_tbEUlT_E_NS1_11comp_targetILNS1_3genE0ELNS1_11target_archE4294967295ELNS1_3gpuE0ELNS1_3repE0EEENS1_30default_config_static_selectorELNS0_4arch9wavefront6targetE0EEEvSK_,comdat
	.globl	_ZN7rocprim17ROCPRIM_400000_NS6detail17trampoline_kernelINS0_14default_configENS1_36segmented_radix_sort_config_selectorIdlEEZNS1_25segmented_radix_sort_implIS3_Lb0EPKdPdPKlPlN2at6native12_GLOBAL__N_18offset_tEEE10hipError_tPvRmT1_PNSt15iterator_traitsISK_E10value_typeET2_T3_PNSL_ISQ_E10value_typeET4_jRbjT5_SW_jjP12ihipStream_tbEUlT_E_NS1_11comp_targetILNS1_3genE0ELNS1_11target_archE4294967295ELNS1_3gpuE0ELNS1_3repE0EEENS1_30default_config_static_selectorELNS0_4arch9wavefront6targetE0EEEvSK_ ; -- Begin function _ZN7rocprim17ROCPRIM_400000_NS6detail17trampoline_kernelINS0_14default_configENS1_36segmented_radix_sort_config_selectorIdlEEZNS1_25segmented_radix_sort_implIS3_Lb0EPKdPdPKlPlN2at6native12_GLOBAL__N_18offset_tEEE10hipError_tPvRmT1_PNSt15iterator_traitsISK_E10value_typeET2_T3_PNSL_ISQ_E10value_typeET4_jRbjT5_SW_jjP12ihipStream_tbEUlT_E_NS1_11comp_targetILNS1_3genE0ELNS1_11target_archE4294967295ELNS1_3gpuE0ELNS1_3repE0EEENS1_30default_config_static_selectorELNS0_4arch9wavefront6targetE0EEEvSK_
	.p2align	8
	.type	_ZN7rocprim17ROCPRIM_400000_NS6detail17trampoline_kernelINS0_14default_configENS1_36segmented_radix_sort_config_selectorIdlEEZNS1_25segmented_radix_sort_implIS3_Lb0EPKdPdPKlPlN2at6native12_GLOBAL__N_18offset_tEEE10hipError_tPvRmT1_PNSt15iterator_traitsISK_E10value_typeET2_T3_PNSL_ISQ_E10value_typeET4_jRbjT5_SW_jjP12ihipStream_tbEUlT_E_NS1_11comp_targetILNS1_3genE0ELNS1_11target_archE4294967295ELNS1_3gpuE0ELNS1_3repE0EEENS1_30default_config_static_selectorELNS0_4arch9wavefront6targetE0EEEvSK_,@function
_ZN7rocprim17ROCPRIM_400000_NS6detail17trampoline_kernelINS0_14default_configENS1_36segmented_radix_sort_config_selectorIdlEEZNS1_25segmented_radix_sort_implIS3_Lb0EPKdPdPKlPlN2at6native12_GLOBAL__N_18offset_tEEE10hipError_tPvRmT1_PNSt15iterator_traitsISK_E10value_typeET2_T3_PNSL_ISQ_E10value_typeET4_jRbjT5_SW_jjP12ihipStream_tbEUlT_E_NS1_11comp_targetILNS1_3genE0ELNS1_11target_archE4294967295ELNS1_3gpuE0ELNS1_3repE0EEENS1_30default_config_static_selectorELNS0_4arch9wavefront6targetE0EEEvSK_: ; @_ZN7rocprim17ROCPRIM_400000_NS6detail17trampoline_kernelINS0_14default_configENS1_36segmented_radix_sort_config_selectorIdlEEZNS1_25segmented_radix_sort_implIS3_Lb0EPKdPdPKlPlN2at6native12_GLOBAL__N_18offset_tEEE10hipError_tPvRmT1_PNSt15iterator_traitsISK_E10value_typeET2_T3_PNSL_ISQ_E10value_typeET4_jRbjT5_SW_jjP12ihipStream_tbEUlT_E_NS1_11comp_targetILNS1_3genE0ELNS1_11target_archE4294967295ELNS1_3gpuE0ELNS1_3repE0EEENS1_30default_config_static_selectorELNS0_4arch9wavefront6targetE0EEEvSK_
; %bb.0:
	.section	.rodata,"a",@progbits
	.p2align	6, 0x0
	.amdhsa_kernel _ZN7rocprim17ROCPRIM_400000_NS6detail17trampoline_kernelINS0_14default_configENS1_36segmented_radix_sort_config_selectorIdlEEZNS1_25segmented_radix_sort_implIS3_Lb0EPKdPdPKlPlN2at6native12_GLOBAL__N_18offset_tEEE10hipError_tPvRmT1_PNSt15iterator_traitsISK_E10value_typeET2_T3_PNSL_ISQ_E10value_typeET4_jRbjT5_SW_jjP12ihipStream_tbEUlT_E_NS1_11comp_targetILNS1_3genE0ELNS1_11target_archE4294967295ELNS1_3gpuE0ELNS1_3repE0EEENS1_30default_config_static_selectorELNS0_4arch9wavefront6targetE0EEEvSK_
		.amdhsa_group_segment_fixed_size 0
		.amdhsa_private_segment_fixed_size 0
		.amdhsa_kernarg_size 96
		.amdhsa_user_sgpr_count 15
		.amdhsa_user_sgpr_dispatch_ptr 0
		.amdhsa_user_sgpr_queue_ptr 0
		.amdhsa_user_sgpr_kernarg_segment_ptr 1
		.amdhsa_user_sgpr_dispatch_id 0
		.amdhsa_user_sgpr_private_segment_size 0
		.amdhsa_wavefront_size32 1
		.amdhsa_uses_dynamic_stack 0
		.amdhsa_enable_private_segment 0
		.amdhsa_system_sgpr_workgroup_id_x 1
		.amdhsa_system_sgpr_workgroup_id_y 0
		.amdhsa_system_sgpr_workgroup_id_z 0
		.amdhsa_system_sgpr_workgroup_info 0
		.amdhsa_system_vgpr_workitem_id 0
		.amdhsa_next_free_vgpr 1
		.amdhsa_next_free_sgpr 1
		.amdhsa_reserve_vcc 0
		.amdhsa_float_round_mode_32 0
		.amdhsa_float_round_mode_16_64 0
		.amdhsa_float_denorm_mode_32 3
		.amdhsa_float_denorm_mode_16_64 3
		.amdhsa_dx10_clamp 1
		.amdhsa_ieee_mode 1
		.amdhsa_fp16_overflow 0
		.amdhsa_workgroup_processor_mode 1
		.amdhsa_memory_ordered 1
		.amdhsa_forward_progress 0
		.amdhsa_shared_vgpr_count 0
		.amdhsa_exception_fp_ieee_invalid_op 0
		.amdhsa_exception_fp_denorm_src 0
		.amdhsa_exception_fp_ieee_div_zero 0
		.amdhsa_exception_fp_ieee_overflow 0
		.amdhsa_exception_fp_ieee_underflow 0
		.amdhsa_exception_fp_ieee_inexact 0
		.amdhsa_exception_int_div_zero 0
	.end_amdhsa_kernel
	.section	.text._ZN7rocprim17ROCPRIM_400000_NS6detail17trampoline_kernelINS0_14default_configENS1_36segmented_radix_sort_config_selectorIdlEEZNS1_25segmented_radix_sort_implIS3_Lb0EPKdPdPKlPlN2at6native12_GLOBAL__N_18offset_tEEE10hipError_tPvRmT1_PNSt15iterator_traitsISK_E10value_typeET2_T3_PNSL_ISQ_E10value_typeET4_jRbjT5_SW_jjP12ihipStream_tbEUlT_E_NS1_11comp_targetILNS1_3genE0ELNS1_11target_archE4294967295ELNS1_3gpuE0ELNS1_3repE0EEENS1_30default_config_static_selectorELNS0_4arch9wavefront6targetE0EEEvSK_,"axG",@progbits,_ZN7rocprim17ROCPRIM_400000_NS6detail17trampoline_kernelINS0_14default_configENS1_36segmented_radix_sort_config_selectorIdlEEZNS1_25segmented_radix_sort_implIS3_Lb0EPKdPdPKlPlN2at6native12_GLOBAL__N_18offset_tEEE10hipError_tPvRmT1_PNSt15iterator_traitsISK_E10value_typeET2_T3_PNSL_ISQ_E10value_typeET4_jRbjT5_SW_jjP12ihipStream_tbEUlT_E_NS1_11comp_targetILNS1_3genE0ELNS1_11target_archE4294967295ELNS1_3gpuE0ELNS1_3repE0EEENS1_30default_config_static_selectorELNS0_4arch9wavefront6targetE0EEEvSK_,comdat
.Lfunc_end1221:
	.size	_ZN7rocprim17ROCPRIM_400000_NS6detail17trampoline_kernelINS0_14default_configENS1_36segmented_radix_sort_config_selectorIdlEEZNS1_25segmented_radix_sort_implIS3_Lb0EPKdPdPKlPlN2at6native12_GLOBAL__N_18offset_tEEE10hipError_tPvRmT1_PNSt15iterator_traitsISK_E10value_typeET2_T3_PNSL_ISQ_E10value_typeET4_jRbjT5_SW_jjP12ihipStream_tbEUlT_E_NS1_11comp_targetILNS1_3genE0ELNS1_11target_archE4294967295ELNS1_3gpuE0ELNS1_3repE0EEENS1_30default_config_static_selectorELNS0_4arch9wavefront6targetE0EEEvSK_, .Lfunc_end1221-_ZN7rocprim17ROCPRIM_400000_NS6detail17trampoline_kernelINS0_14default_configENS1_36segmented_radix_sort_config_selectorIdlEEZNS1_25segmented_radix_sort_implIS3_Lb0EPKdPdPKlPlN2at6native12_GLOBAL__N_18offset_tEEE10hipError_tPvRmT1_PNSt15iterator_traitsISK_E10value_typeET2_T3_PNSL_ISQ_E10value_typeET4_jRbjT5_SW_jjP12ihipStream_tbEUlT_E_NS1_11comp_targetILNS1_3genE0ELNS1_11target_archE4294967295ELNS1_3gpuE0ELNS1_3repE0EEENS1_30default_config_static_selectorELNS0_4arch9wavefront6targetE0EEEvSK_
                                        ; -- End function
	.section	.AMDGPU.csdata,"",@progbits
; Kernel info:
; codeLenInByte = 0
; NumSgprs: 0
; NumVgprs: 0
; ScratchSize: 0
; MemoryBound: 0
; FloatMode: 240
; IeeeMode: 1
; LDSByteSize: 0 bytes/workgroup (compile time only)
; SGPRBlocks: 0
; VGPRBlocks: 0
; NumSGPRsForWavesPerEU: 1
; NumVGPRsForWavesPerEU: 1
; Occupancy: 16
; WaveLimiterHint : 0
; COMPUTE_PGM_RSRC2:SCRATCH_EN: 0
; COMPUTE_PGM_RSRC2:USER_SGPR: 15
; COMPUTE_PGM_RSRC2:TRAP_HANDLER: 0
; COMPUTE_PGM_RSRC2:TGID_X_EN: 1
; COMPUTE_PGM_RSRC2:TGID_Y_EN: 0
; COMPUTE_PGM_RSRC2:TGID_Z_EN: 0
; COMPUTE_PGM_RSRC2:TIDIG_COMP_CNT: 0
	.section	.text._ZN7rocprim17ROCPRIM_400000_NS6detail17trampoline_kernelINS0_14default_configENS1_36segmented_radix_sort_config_selectorIdlEEZNS1_25segmented_radix_sort_implIS3_Lb0EPKdPdPKlPlN2at6native12_GLOBAL__N_18offset_tEEE10hipError_tPvRmT1_PNSt15iterator_traitsISK_E10value_typeET2_T3_PNSL_ISQ_E10value_typeET4_jRbjT5_SW_jjP12ihipStream_tbEUlT_E_NS1_11comp_targetILNS1_3genE5ELNS1_11target_archE942ELNS1_3gpuE9ELNS1_3repE0EEENS1_30default_config_static_selectorELNS0_4arch9wavefront6targetE0EEEvSK_,"axG",@progbits,_ZN7rocprim17ROCPRIM_400000_NS6detail17trampoline_kernelINS0_14default_configENS1_36segmented_radix_sort_config_selectorIdlEEZNS1_25segmented_radix_sort_implIS3_Lb0EPKdPdPKlPlN2at6native12_GLOBAL__N_18offset_tEEE10hipError_tPvRmT1_PNSt15iterator_traitsISK_E10value_typeET2_T3_PNSL_ISQ_E10value_typeET4_jRbjT5_SW_jjP12ihipStream_tbEUlT_E_NS1_11comp_targetILNS1_3genE5ELNS1_11target_archE942ELNS1_3gpuE9ELNS1_3repE0EEENS1_30default_config_static_selectorELNS0_4arch9wavefront6targetE0EEEvSK_,comdat
	.globl	_ZN7rocprim17ROCPRIM_400000_NS6detail17trampoline_kernelINS0_14default_configENS1_36segmented_radix_sort_config_selectorIdlEEZNS1_25segmented_radix_sort_implIS3_Lb0EPKdPdPKlPlN2at6native12_GLOBAL__N_18offset_tEEE10hipError_tPvRmT1_PNSt15iterator_traitsISK_E10value_typeET2_T3_PNSL_ISQ_E10value_typeET4_jRbjT5_SW_jjP12ihipStream_tbEUlT_E_NS1_11comp_targetILNS1_3genE5ELNS1_11target_archE942ELNS1_3gpuE9ELNS1_3repE0EEENS1_30default_config_static_selectorELNS0_4arch9wavefront6targetE0EEEvSK_ ; -- Begin function _ZN7rocprim17ROCPRIM_400000_NS6detail17trampoline_kernelINS0_14default_configENS1_36segmented_radix_sort_config_selectorIdlEEZNS1_25segmented_radix_sort_implIS3_Lb0EPKdPdPKlPlN2at6native12_GLOBAL__N_18offset_tEEE10hipError_tPvRmT1_PNSt15iterator_traitsISK_E10value_typeET2_T3_PNSL_ISQ_E10value_typeET4_jRbjT5_SW_jjP12ihipStream_tbEUlT_E_NS1_11comp_targetILNS1_3genE5ELNS1_11target_archE942ELNS1_3gpuE9ELNS1_3repE0EEENS1_30default_config_static_selectorELNS0_4arch9wavefront6targetE0EEEvSK_
	.p2align	8
	.type	_ZN7rocprim17ROCPRIM_400000_NS6detail17trampoline_kernelINS0_14default_configENS1_36segmented_radix_sort_config_selectorIdlEEZNS1_25segmented_radix_sort_implIS3_Lb0EPKdPdPKlPlN2at6native12_GLOBAL__N_18offset_tEEE10hipError_tPvRmT1_PNSt15iterator_traitsISK_E10value_typeET2_T3_PNSL_ISQ_E10value_typeET4_jRbjT5_SW_jjP12ihipStream_tbEUlT_E_NS1_11comp_targetILNS1_3genE5ELNS1_11target_archE942ELNS1_3gpuE9ELNS1_3repE0EEENS1_30default_config_static_selectorELNS0_4arch9wavefront6targetE0EEEvSK_,@function
_ZN7rocprim17ROCPRIM_400000_NS6detail17trampoline_kernelINS0_14default_configENS1_36segmented_radix_sort_config_selectorIdlEEZNS1_25segmented_radix_sort_implIS3_Lb0EPKdPdPKlPlN2at6native12_GLOBAL__N_18offset_tEEE10hipError_tPvRmT1_PNSt15iterator_traitsISK_E10value_typeET2_T3_PNSL_ISQ_E10value_typeET4_jRbjT5_SW_jjP12ihipStream_tbEUlT_E_NS1_11comp_targetILNS1_3genE5ELNS1_11target_archE942ELNS1_3gpuE9ELNS1_3repE0EEENS1_30default_config_static_selectorELNS0_4arch9wavefront6targetE0EEEvSK_: ; @_ZN7rocprim17ROCPRIM_400000_NS6detail17trampoline_kernelINS0_14default_configENS1_36segmented_radix_sort_config_selectorIdlEEZNS1_25segmented_radix_sort_implIS3_Lb0EPKdPdPKlPlN2at6native12_GLOBAL__N_18offset_tEEE10hipError_tPvRmT1_PNSt15iterator_traitsISK_E10value_typeET2_T3_PNSL_ISQ_E10value_typeET4_jRbjT5_SW_jjP12ihipStream_tbEUlT_E_NS1_11comp_targetILNS1_3genE5ELNS1_11target_archE942ELNS1_3gpuE9ELNS1_3repE0EEENS1_30default_config_static_selectorELNS0_4arch9wavefront6targetE0EEEvSK_
; %bb.0:
	.section	.rodata,"a",@progbits
	.p2align	6, 0x0
	.amdhsa_kernel _ZN7rocprim17ROCPRIM_400000_NS6detail17trampoline_kernelINS0_14default_configENS1_36segmented_radix_sort_config_selectorIdlEEZNS1_25segmented_radix_sort_implIS3_Lb0EPKdPdPKlPlN2at6native12_GLOBAL__N_18offset_tEEE10hipError_tPvRmT1_PNSt15iterator_traitsISK_E10value_typeET2_T3_PNSL_ISQ_E10value_typeET4_jRbjT5_SW_jjP12ihipStream_tbEUlT_E_NS1_11comp_targetILNS1_3genE5ELNS1_11target_archE942ELNS1_3gpuE9ELNS1_3repE0EEENS1_30default_config_static_selectorELNS0_4arch9wavefront6targetE0EEEvSK_
		.amdhsa_group_segment_fixed_size 0
		.amdhsa_private_segment_fixed_size 0
		.amdhsa_kernarg_size 96
		.amdhsa_user_sgpr_count 15
		.amdhsa_user_sgpr_dispatch_ptr 0
		.amdhsa_user_sgpr_queue_ptr 0
		.amdhsa_user_sgpr_kernarg_segment_ptr 1
		.amdhsa_user_sgpr_dispatch_id 0
		.amdhsa_user_sgpr_private_segment_size 0
		.amdhsa_wavefront_size32 1
		.amdhsa_uses_dynamic_stack 0
		.amdhsa_enable_private_segment 0
		.amdhsa_system_sgpr_workgroup_id_x 1
		.amdhsa_system_sgpr_workgroup_id_y 0
		.amdhsa_system_sgpr_workgroup_id_z 0
		.amdhsa_system_sgpr_workgroup_info 0
		.amdhsa_system_vgpr_workitem_id 0
		.amdhsa_next_free_vgpr 1
		.amdhsa_next_free_sgpr 1
		.amdhsa_reserve_vcc 0
		.amdhsa_float_round_mode_32 0
		.amdhsa_float_round_mode_16_64 0
		.amdhsa_float_denorm_mode_32 3
		.amdhsa_float_denorm_mode_16_64 3
		.amdhsa_dx10_clamp 1
		.amdhsa_ieee_mode 1
		.amdhsa_fp16_overflow 0
		.amdhsa_workgroup_processor_mode 1
		.amdhsa_memory_ordered 1
		.amdhsa_forward_progress 0
		.amdhsa_shared_vgpr_count 0
		.amdhsa_exception_fp_ieee_invalid_op 0
		.amdhsa_exception_fp_denorm_src 0
		.amdhsa_exception_fp_ieee_div_zero 0
		.amdhsa_exception_fp_ieee_overflow 0
		.amdhsa_exception_fp_ieee_underflow 0
		.amdhsa_exception_fp_ieee_inexact 0
		.amdhsa_exception_int_div_zero 0
	.end_amdhsa_kernel
	.section	.text._ZN7rocprim17ROCPRIM_400000_NS6detail17trampoline_kernelINS0_14default_configENS1_36segmented_radix_sort_config_selectorIdlEEZNS1_25segmented_radix_sort_implIS3_Lb0EPKdPdPKlPlN2at6native12_GLOBAL__N_18offset_tEEE10hipError_tPvRmT1_PNSt15iterator_traitsISK_E10value_typeET2_T3_PNSL_ISQ_E10value_typeET4_jRbjT5_SW_jjP12ihipStream_tbEUlT_E_NS1_11comp_targetILNS1_3genE5ELNS1_11target_archE942ELNS1_3gpuE9ELNS1_3repE0EEENS1_30default_config_static_selectorELNS0_4arch9wavefront6targetE0EEEvSK_,"axG",@progbits,_ZN7rocprim17ROCPRIM_400000_NS6detail17trampoline_kernelINS0_14default_configENS1_36segmented_radix_sort_config_selectorIdlEEZNS1_25segmented_radix_sort_implIS3_Lb0EPKdPdPKlPlN2at6native12_GLOBAL__N_18offset_tEEE10hipError_tPvRmT1_PNSt15iterator_traitsISK_E10value_typeET2_T3_PNSL_ISQ_E10value_typeET4_jRbjT5_SW_jjP12ihipStream_tbEUlT_E_NS1_11comp_targetILNS1_3genE5ELNS1_11target_archE942ELNS1_3gpuE9ELNS1_3repE0EEENS1_30default_config_static_selectorELNS0_4arch9wavefront6targetE0EEEvSK_,comdat
.Lfunc_end1222:
	.size	_ZN7rocprim17ROCPRIM_400000_NS6detail17trampoline_kernelINS0_14default_configENS1_36segmented_radix_sort_config_selectorIdlEEZNS1_25segmented_radix_sort_implIS3_Lb0EPKdPdPKlPlN2at6native12_GLOBAL__N_18offset_tEEE10hipError_tPvRmT1_PNSt15iterator_traitsISK_E10value_typeET2_T3_PNSL_ISQ_E10value_typeET4_jRbjT5_SW_jjP12ihipStream_tbEUlT_E_NS1_11comp_targetILNS1_3genE5ELNS1_11target_archE942ELNS1_3gpuE9ELNS1_3repE0EEENS1_30default_config_static_selectorELNS0_4arch9wavefront6targetE0EEEvSK_, .Lfunc_end1222-_ZN7rocprim17ROCPRIM_400000_NS6detail17trampoline_kernelINS0_14default_configENS1_36segmented_radix_sort_config_selectorIdlEEZNS1_25segmented_radix_sort_implIS3_Lb0EPKdPdPKlPlN2at6native12_GLOBAL__N_18offset_tEEE10hipError_tPvRmT1_PNSt15iterator_traitsISK_E10value_typeET2_T3_PNSL_ISQ_E10value_typeET4_jRbjT5_SW_jjP12ihipStream_tbEUlT_E_NS1_11comp_targetILNS1_3genE5ELNS1_11target_archE942ELNS1_3gpuE9ELNS1_3repE0EEENS1_30default_config_static_selectorELNS0_4arch9wavefront6targetE0EEEvSK_
                                        ; -- End function
	.section	.AMDGPU.csdata,"",@progbits
; Kernel info:
; codeLenInByte = 0
; NumSgprs: 0
; NumVgprs: 0
; ScratchSize: 0
; MemoryBound: 0
; FloatMode: 240
; IeeeMode: 1
; LDSByteSize: 0 bytes/workgroup (compile time only)
; SGPRBlocks: 0
; VGPRBlocks: 0
; NumSGPRsForWavesPerEU: 1
; NumVGPRsForWavesPerEU: 1
; Occupancy: 16
; WaveLimiterHint : 0
; COMPUTE_PGM_RSRC2:SCRATCH_EN: 0
; COMPUTE_PGM_RSRC2:USER_SGPR: 15
; COMPUTE_PGM_RSRC2:TRAP_HANDLER: 0
; COMPUTE_PGM_RSRC2:TGID_X_EN: 1
; COMPUTE_PGM_RSRC2:TGID_Y_EN: 0
; COMPUTE_PGM_RSRC2:TGID_Z_EN: 0
; COMPUTE_PGM_RSRC2:TIDIG_COMP_CNT: 0
	.section	.text._ZN7rocprim17ROCPRIM_400000_NS6detail17trampoline_kernelINS0_14default_configENS1_36segmented_radix_sort_config_selectorIdlEEZNS1_25segmented_radix_sort_implIS3_Lb0EPKdPdPKlPlN2at6native12_GLOBAL__N_18offset_tEEE10hipError_tPvRmT1_PNSt15iterator_traitsISK_E10value_typeET2_T3_PNSL_ISQ_E10value_typeET4_jRbjT5_SW_jjP12ihipStream_tbEUlT_E_NS1_11comp_targetILNS1_3genE4ELNS1_11target_archE910ELNS1_3gpuE8ELNS1_3repE0EEENS1_30default_config_static_selectorELNS0_4arch9wavefront6targetE0EEEvSK_,"axG",@progbits,_ZN7rocprim17ROCPRIM_400000_NS6detail17trampoline_kernelINS0_14default_configENS1_36segmented_radix_sort_config_selectorIdlEEZNS1_25segmented_radix_sort_implIS3_Lb0EPKdPdPKlPlN2at6native12_GLOBAL__N_18offset_tEEE10hipError_tPvRmT1_PNSt15iterator_traitsISK_E10value_typeET2_T3_PNSL_ISQ_E10value_typeET4_jRbjT5_SW_jjP12ihipStream_tbEUlT_E_NS1_11comp_targetILNS1_3genE4ELNS1_11target_archE910ELNS1_3gpuE8ELNS1_3repE0EEENS1_30default_config_static_selectorELNS0_4arch9wavefront6targetE0EEEvSK_,comdat
	.globl	_ZN7rocprim17ROCPRIM_400000_NS6detail17trampoline_kernelINS0_14default_configENS1_36segmented_radix_sort_config_selectorIdlEEZNS1_25segmented_radix_sort_implIS3_Lb0EPKdPdPKlPlN2at6native12_GLOBAL__N_18offset_tEEE10hipError_tPvRmT1_PNSt15iterator_traitsISK_E10value_typeET2_T3_PNSL_ISQ_E10value_typeET4_jRbjT5_SW_jjP12ihipStream_tbEUlT_E_NS1_11comp_targetILNS1_3genE4ELNS1_11target_archE910ELNS1_3gpuE8ELNS1_3repE0EEENS1_30default_config_static_selectorELNS0_4arch9wavefront6targetE0EEEvSK_ ; -- Begin function _ZN7rocprim17ROCPRIM_400000_NS6detail17trampoline_kernelINS0_14default_configENS1_36segmented_radix_sort_config_selectorIdlEEZNS1_25segmented_radix_sort_implIS3_Lb0EPKdPdPKlPlN2at6native12_GLOBAL__N_18offset_tEEE10hipError_tPvRmT1_PNSt15iterator_traitsISK_E10value_typeET2_T3_PNSL_ISQ_E10value_typeET4_jRbjT5_SW_jjP12ihipStream_tbEUlT_E_NS1_11comp_targetILNS1_3genE4ELNS1_11target_archE910ELNS1_3gpuE8ELNS1_3repE0EEENS1_30default_config_static_selectorELNS0_4arch9wavefront6targetE0EEEvSK_
	.p2align	8
	.type	_ZN7rocprim17ROCPRIM_400000_NS6detail17trampoline_kernelINS0_14default_configENS1_36segmented_radix_sort_config_selectorIdlEEZNS1_25segmented_radix_sort_implIS3_Lb0EPKdPdPKlPlN2at6native12_GLOBAL__N_18offset_tEEE10hipError_tPvRmT1_PNSt15iterator_traitsISK_E10value_typeET2_T3_PNSL_ISQ_E10value_typeET4_jRbjT5_SW_jjP12ihipStream_tbEUlT_E_NS1_11comp_targetILNS1_3genE4ELNS1_11target_archE910ELNS1_3gpuE8ELNS1_3repE0EEENS1_30default_config_static_selectorELNS0_4arch9wavefront6targetE0EEEvSK_,@function
_ZN7rocprim17ROCPRIM_400000_NS6detail17trampoline_kernelINS0_14default_configENS1_36segmented_radix_sort_config_selectorIdlEEZNS1_25segmented_radix_sort_implIS3_Lb0EPKdPdPKlPlN2at6native12_GLOBAL__N_18offset_tEEE10hipError_tPvRmT1_PNSt15iterator_traitsISK_E10value_typeET2_T3_PNSL_ISQ_E10value_typeET4_jRbjT5_SW_jjP12ihipStream_tbEUlT_E_NS1_11comp_targetILNS1_3genE4ELNS1_11target_archE910ELNS1_3gpuE8ELNS1_3repE0EEENS1_30default_config_static_selectorELNS0_4arch9wavefront6targetE0EEEvSK_: ; @_ZN7rocprim17ROCPRIM_400000_NS6detail17trampoline_kernelINS0_14default_configENS1_36segmented_radix_sort_config_selectorIdlEEZNS1_25segmented_radix_sort_implIS3_Lb0EPKdPdPKlPlN2at6native12_GLOBAL__N_18offset_tEEE10hipError_tPvRmT1_PNSt15iterator_traitsISK_E10value_typeET2_T3_PNSL_ISQ_E10value_typeET4_jRbjT5_SW_jjP12ihipStream_tbEUlT_E_NS1_11comp_targetILNS1_3genE4ELNS1_11target_archE910ELNS1_3gpuE8ELNS1_3repE0EEENS1_30default_config_static_selectorELNS0_4arch9wavefront6targetE0EEEvSK_
; %bb.0:
	.section	.rodata,"a",@progbits
	.p2align	6, 0x0
	.amdhsa_kernel _ZN7rocprim17ROCPRIM_400000_NS6detail17trampoline_kernelINS0_14default_configENS1_36segmented_radix_sort_config_selectorIdlEEZNS1_25segmented_radix_sort_implIS3_Lb0EPKdPdPKlPlN2at6native12_GLOBAL__N_18offset_tEEE10hipError_tPvRmT1_PNSt15iterator_traitsISK_E10value_typeET2_T3_PNSL_ISQ_E10value_typeET4_jRbjT5_SW_jjP12ihipStream_tbEUlT_E_NS1_11comp_targetILNS1_3genE4ELNS1_11target_archE910ELNS1_3gpuE8ELNS1_3repE0EEENS1_30default_config_static_selectorELNS0_4arch9wavefront6targetE0EEEvSK_
		.amdhsa_group_segment_fixed_size 0
		.amdhsa_private_segment_fixed_size 0
		.amdhsa_kernarg_size 96
		.amdhsa_user_sgpr_count 15
		.amdhsa_user_sgpr_dispatch_ptr 0
		.amdhsa_user_sgpr_queue_ptr 0
		.amdhsa_user_sgpr_kernarg_segment_ptr 1
		.amdhsa_user_sgpr_dispatch_id 0
		.amdhsa_user_sgpr_private_segment_size 0
		.amdhsa_wavefront_size32 1
		.amdhsa_uses_dynamic_stack 0
		.amdhsa_enable_private_segment 0
		.amdhsa_system_sgpr_workgroup_id_x 1
		.amdhsa_system_sgpr_workgroup_id_y 0
		.amdhsa_system_sgpr_workgroup_id_z 0
		.amdhsa_system_sgpr_workgroup_info 0
		.amdhsa_system_vgpr_workitem_id 0
		.amdhsa_next_free_vgpr 1
		.amdhsa_next_free_sgpr 1
		.amdhsa_reserve_vcc 0
		.amdhsa_float_round_mode_32 0
		.amdhsa_float_round_mode_16_64 0
		.amdhsa_float_denorm_mode_32 3
		.amdhsa_float_denorm_mode_16_64 3
		.amdhsa_dx10_clamp 1
		.amdhsa_ieee_mode 1
		.amdhsa_fp16_overflow 0
		.amdhsa_workgroup_processor_mode 1
		.amdhsa_memory_ordered 1
		.amdhsa_forward_progress 0
		.amdhsa_shared_vgpr_count 0
		.amdhsa_exception_fp_ieee_invalid_op 0
		.amdhsa_exception_fp_denorm_src 0
		.amdhsa_exception_fp_ieee_div_zero 0
		.amdhsa_exception_fp_ieee_overflow 0
		.amdhsa_exception_fp_ieee_underflow 0
		.amdhsa_exception_fp_ieee_inexact 0
		.amdhsa_exception_int_div_zero 0
	.end_amdhsa_kernel
	.section	.text._ZN7rocprim17ROCPRIM_400000_NS6detail17trampoline_kernelINS0_14default_configENS1_36segmented_radix_sort_config_selectorIdlEEZNS1_25segmented_radix_sort_implIS3_Lb0EPKdPdPKlPlN2at6native12_GLOBAL__N_18offset_tEEE10hipError_tPvRmT1_PNSt15iterator_traitsISK_E10value_typeET2_T3_PNSL_ISQ_E10value_typeET4_jRbjT5_SW_jjP12ihipStream_tbEUlT_E_NS1_11comp_targetILNS1_3genE4ELNS1_11target_archE910ELNS1_3gpuE8ELNS1_3repE0EEENS1_30default_config_static_selectorELNS0_4arch9wavefront6targetE0EEEvSK_,"axG",@progbits,_ZN7rocprim17ROCPRIM_400000_NS6detail17trampoline_kernelINS0_14default_configENS1_36segmented_radix_sort_config_selectorIdlEEZNS1_25segmented_radix_sort_implIS3_Lb0EPKdPdPKlPlN2at6native12_GLOBAL__N_18offset_tEEE10hipError_tPvRmT1_PNSt15iterator_traitsISK_E10value_typeET2_T3_PNSL_ISQ_E10value_typeET4_jRbjT5_SW_jjP12ihipStream_tbEUlT_E_NS1_11comp_targetILNS1_3genE4ELNS1_11target_archE910ELNS1_3gpuE8ELNS1_3repE0EEENS1_30default_config_static_selectorELNS0_4arch9wavefront6targetE0EEEvSK_,comdat
.Lfunc_end1223:
	.size	_ZN7rocprim17ROCPRIM_400000_NS6detail17trampoline_kernelINS0_14default_configENS1_36segmented_radix_sort_config_selectorIdlEEZNS1_25segmented_radix_sort_implIS3_Lb0EPKdPdPKlPlN2at6native12_GLOBAL__N_18offset_tEEE10hipError_tPvRmT1_PNSt15iterator_traitsISK_E10value_typeET2_T3_PNSL_ISQ_E10value_typeET4_jRbjT5_SW_jjP12ihipStream_tbEUlT_E_NS1_11comp_targetILNS1_3genE4ELNS1_11target_archE910ELNS1_3gpuE8ELNS1_3repE0EEENS1_30default_config_static_selectorELNS0_4arch9wavefront6targetE0EEEvSK_, .Lfunc_end1223-_ZN7rocprim17ROCPRIM_400000_NS6detail17trampoline_kernelINS0_14default_configENS1_36segmented_radix_sort_config_selectorIdlEEZNS1_25segmented_radix_sort_implIS3_Lb0EPKdPdPKlPlN2at6native12_GLOBAL__N_18offset_tEEE10hipError_tPvRmT1_PNSt15iterator_traitsISK_E10value_typeET2_T3_PNSL_ISQ_E10value_typeET4_jRbjT5_SW_jjP12ihipStream_tbEUlT_E_NS1_11comp_targetILNS1_3genE4ELNS1_11target_archE910ELNS1_3gpuE8ELNS1_3repE0EEENS1_30default_config_static_selectorELNS0_4arch9wavefront6targetE0EEEvSK_
                                        ; -- End function
	.section	.AMDGPU.csdata,"",@progbits
; Kernel info:
; codeLenInByte = 0
; NumSgprs: 0
; NumVgprs: 0
; ScratchSize: 0
; MemoryBound: 0
; FloatMode: 240
; IeeeMode: 1
; LDSByteSize: 0 bytes/workgroup (compile time only)
; SGPRBlocks: 0
; VGPRBlocks: 0
; NumSGPRsForWavesPerEU: 1
; NumVGPRsForWavesPerEU: 1
; Occupancy: 16
; WaveLimiterHint : 0
; COMPUTE_PGM_RSRC2:SCRATCH_EN: 0
; COMPUTE_PGM_RSRC2:USER_SGPR: 15
; COMPUTE_PGM_RSRC2:TRAP_HANDLER: 0
; COMPUTE_PGM_RSRC2:TGID_X_EN: 1
; COMPUTE_PGM_RSRC2:TGID_Y_EN: 0
; COMPUTE_PGM_RSRC2:TGID_Z_EN: 0
; COMPUTE_PGM_RSRC2:TIDIG_COMP_CNT: 0
	.section	.text._ZN7rocprim17ROCPRIM_400000_NS6detail17trampoline_kernelINS0_14default_configENS1_36segmented_radix_sort_config_selectorIdlEEZNS1_25segmented_radix_sort_implIS3_Lb0EPKdPdPKlPlN2at6native12_GLOBAL__N_18offset_tEEE10hipError_tPvRmT1_PNSt15iterator_traitsISK_E10value_typeET2_T3_PNSL_ISQ_E10value_typeET4_jRbjT5_SW_jjP12ihipStream_tbEUlT_E_NS1_11comp_targetILNS1_3genE3ELNS1_11target_archE908ELNS1_3gpuE7ELNS1_3repE0EEENS1_30default_config_static_selectorELNS0_4arch9wavefront6targetE0EEEvSK_,"axG",@progbits,_ZN7rocprim17ROCPRIM_400000_NS6detail17trampoline_kernelINS0_14default_configENS1_36segmented_radix_sort_config_selectorIdlEEZNS1_25segmented_radix_sort_implIS3_Lb0EPKdPdPKlPlN2at6native12_GLOBAL__N_18offset_tEEE10hipError_tPvRmT1_PNSt15iterator_traitsISK_E10value_typeET2_T3_PNSL_ISQ_E10value_typeET4_jRbjT5_SW_jjP12ihipStream_tbEUlT_E_NS1_11comp_targetILNS1_3genE3ELNS1_11target_archE908ELNS1_3gpuE7ELNS1_3repE0EEENS1_30default_config_static_selectorELNS0_4arch9wavefront6targetE0EEEvSK_,comdat
	.globl	_ZN7rocprim17ROCPRIM_400000_NS6detail17trampoline_kernelINS0_14default_configENS1_36segmented_radix_sort_config_selectorIdlEEZNS1_25segmented_radix_sort_implIS3_Lb0EPKdPdPKlPlN2at6native12_GLOBAL__N_18offset_tEEE10hipError_tPvRmT1_PNSt15iterator_traitsISK_E10value_typeET2_T3_PNSL_ISQ_E10value_typeET4_jRbjT5_SW_jjP12ihipStream_tbEUlT_E_NS1_11comp_targetILNS1_3genE3ELNS1_11target_archE908ELNS1_3gpuE7ELNS1_3repE0EEENS1_30default_config_static_selectorELNS0_4arch9wavefront6targetE0EEEvSK_ ; -- Begin function _ZN7rocprim17ROCPRIM_400000_NS6detail17trampoline_kernelINS0_14default_configENS1_36segmented_radix_sort_config_selectorIdlEEZNS1_25segmented_radix_sort_implIS3_Lb0EPKdPdPKlPlN2at6native12_GLOBAL__N_18offset_tEEE10hipError_tPvRmT1_PNSt15iterator_traitsISK_E10value_typeET2_T3_PNSL_ISQ_E10value_typeET4_jRbjT5_SW_jjP12ihipStream_tbEUlT_E_NS1_11comp_targetILNS1_3genE3ELNS1_11target_archE908ELNS1_3gpuE7ELNS1_3repE0EEENS1_30default_config_static_selectorELNS0_4arch9wavefront6targetE0EEEvSK_
	.p2align	8
	.type	_ZN7rocprim17ROCPRIM_400000_NS6detail17trampoline_kernelINS0_14default_configENS1_36segmented_radix_sort_config_selectorIdlEEZNS1_25segmented_radix_sort_implIS3_Lb0EPKdPdPKlPlN2at6native12_GLOBAL__N_18offset_tEEE10hipError_tPvRmT1_PNSt15iterator_traitsISK_E10value_typeET2_T3_PNSL_ISQ_E10value_typeET4_jRbjT5_SW_jjP12ihipStream_tbEUlT_E_NS1_11comp_targetILNS1_3genE3ELNS1_11target_archE908ELNS1_3gpuE7ELNS1_3repE0EEENS1_30default_config_static_selectorELNS0_4arch9wavefront6targetE0EEEvSK_,@function
_ZN7rocprim17ROCPRIM_400000_NS6detail17trampoline_kernelINS0_14default_configENS1_36segmented_radix_sort_config_selectorIdlEEZNS1_25segmented_radix_sort_implIS3_Lb0EPKdPdPKlPlN2at6native12_GLOBAL__N_18offset_tEEE10hipError_tPvRmT1_PNSt15iterator_traitsISK_E10value_typeET2_T3_PNSL_ISQ_E10value_typeET4_jRbjT5_SW_jjP12ihipStream_tbEUlT_E_NS1_11comp_targetILNS1_3genE3ELNS1_11target_archE908ELNS1_3gpuE7ELNS1_3repE0EEENS1_30default_config_static_selectorELNS0_4arch9wavefront6targetE0EEEvSK_: ; @_ZN7rocprim17ROCPRIM_400000_NS6detail17trampoline_kernelINS0_14default_configENS1_36segmented_radix_sort_config_selectorIdlEEZNS1_25segmented_radix_sort_implIS3_Lb0EPKdPdPKlPlN2at6native12_GLOBAL__N_18offset_tEEE10hipError_tPvRmT1_PNSt15iterator_traitsISK_E10value_typeET2_T3_PNSL_ISQ_E10value_typeET4_jRbjT5_SW_jjP12ihipStream_tbEUlT_E_NS1_11comp_targetILNS1_3genE3ELNS1_11target_archE908ELNS1_3gpuE7ELNS1_3repE0EEENS1_30default_config_static_selectorELNS0_4arch9wavefront6targetE0EEEvSK_
; %bb.0:
	.section	.rodata,"a",@progbits
	.p2align	6, 0x0
	.amdhsa_kernel _ZN7rocprim17ROCPRIM_400000_NS6detail17trampoline_kernelINS0_14default_configENS1_36segmented_radix_sort_config_selectorIdlEEZNS1_25segmented_radix_sort_implIS3_Lb0EPKdPdPKlPlN2at6native12_GLOBAL__N_18offset_tEEE10hipError_tPvRmT1_PNSt15iterator_traitsISK_E10value_typeET2_T3_PNSL_ISQ_E10value_typeET4_jRbjT5_SW_jjP12ihipStream_tbEUlT_E_NS1_11comp_targetILNS1_3genE3ELNS1_11target_archE908ELNS1_3gpuE7ELNS1_3repE0EEENS1_30default_config_static_selectorELNS0_4arch9wavefront6targetE0EEEvSK_
		.amdhsa_group_segment_fixed_size 0
		.amdhsa_private_segment_fixed_size 0
		.amdhsa_kernarg_size 96
		.amdhsa_user_sgpr_count 15
		.amdhsa_user_sgpr_dispatch_ptr 0
		.amdhsa_user_sgpr_queue_ptr 0
		.amdhsa_user_sgpr_kernarg_segment_ptr 1
		.amdhsa_user_sgpr_dispatch_id 0
		.amdhsa_user_sgpr_private_segment_size 0
		.amdhsa_wavefront_size32 1
		.amdhsa_uses_dynamic_stack 0
		.amdhsa_enable_private_segment 0
		.amdhsa_system_sgpr_workgroup_id_x 1
		.amdhsa_system_sgpr_workgroup_id_y 0
		.amdhsa_system_sgpr_workgroup_id_z 0
		.amdhsa_system_sgpr_workgroup_info 0
		.amdhsa_system_vgpr_workitem_id 0
		.amdhsa_next_free_vgpr 1
		.amdhsa_next_free_sgpr 1
		.amdhsa_reserve_vcc 0
		.amdhsa_float_round_mode_32 0
		.amdhsa_float_round_mode_16_64 0
		.amdhsa_float_denorm_mode_32 3
		.amdhsa_float_denorm_mode_16_64 3
		.amdhsa_dx10_clamp 1
		.amdhsa_ieee_mode 1
		.amdhsa_fp16_overflow 0
		.amdhsa_workgroup_processor_mode 1
		.amdhsa_memory_ordered 1
		.amdhsa_forward_progress 0
		.amdhsa_shared_vgpr_count 0
		.amdhsa_exception_fp_ieee_invalid_op 0
		.amdhsa_exception_fp_denorm_src 0
		.amdhsa_exception_fp_ieee_div_zero 0
		.amdhsa_exception_fp_ieee_overflow 0
		.amdhsa_exception_fp_ieee_underflow 0
		.amdhsa_exception_fp_ieee_inexact 0
		.amdhsa_exception_int_div_zero 0
	.end_amdhsa_kernel
	.section	.text._ZN7rocprim17ROCPRIM_400000_NS6detail17trampoline_kernelINS0_14default_configENS1_36segmented_radix_sort_config_selectorIdlEEZNS1_25segmented_radix_sort_implIS3_Lb0EPKdPdPKlPlN2at6native12_GLOBAL__N_18offset_tEEE10hipError_tPvRmT1_PNSt15iterator_traitsISK_E10value_typeET2_T3_PNSL_ISQ_E10value_typeET4_jRbjT5_SW_jjP12ihipStream_tbEUlT_E_NS1_11comp_targetILNS1_3genE3ELNS1_11target_archE908ELNS1_3gpuE7ELNS1_3repE0EEENS1_30default_config_static_selectorELNS0_4arch9wavefront6targetE0EEEvSK_,"axG",@progbits,_ZN7rocprim17ROCPRIM_400000_NS6detail17trampoline_kernelINS0_14default_configENS1_36segmented_radix_sort_config_selectorIdlEEZNS1_25segmented_radix_sort_implIS3_Lb0EPKdPdPKlPlN2at6native12_GLOBAL__N_18offset_tEEE10hipError_tPvRmT1_PNSt15iterator_traitsISK_E10value_typeET2_T3_PNSL_ISQ_E10value_typeET4_jRbjT5_SW_jjP12ihipStream_tbEUlT_E_NS1_11comp_targetILNS1_3genE3ELNS1_11target_archE908ELNS1_3gpuE7ELNS1_3repE0EEENS1_30default_config_static_selectorELNS0_4arch9wavefront6targetE0EEEvSK_,comdat
.Lfunc_end1224:
	.size	_ZN7rocprim17ROCPRIM_400000_NS6detail17trampoline_kernelINS0_14default_configENS1_36segmented_radix_sort_config_selectorIdlEEZNS1_25segmented_radix_sort_implIS3_Lb0EPKdPdPKlPlN2at6native12_GLOBAL__N_18offset_tEEE10hipError_tPvRmT1_PNSt15iterator_traitsISK_E10value_typeET2_T3_PNSL_ISQ_E10value_typeET4_jRbjT5_SW_jjP12ihipStream_tbEUlT_E_NS1_11comp_targetILNS1_3genE3ELNS1_11target_archE908ELNS1_3gpuE7ELNS1_3repE0EEENS1_30default_config_static_selectorELNS0_4arch9wavefront6targetE0EEEvSK_, .Lfunc_end1224-_ZN7rocprim17ROCPRIM_400000_NS6detail17trampoline_kernelINS0_14default_configENS1_36segmented_radix_sort_config_selectorIdlEEZNS1_25segmented_radix_sort_implIS3_Lb0EPKdPdPKlPlN2at6native12_GLOBAL__N_18offset_tEEE10hipError_tPvRmT1_PNSt15iterator_traitsISK_E10value_typeET2_T3_PNSL_ISQ_E10value_typeET4_jRbjT5_SW_jjP12ihipStream_tbEUlT_E_NS1_11comp_targetILNS1_3genE3ELNS1_11target_archE908ELNS1_3gpuE7ELNS1_3repE0EEENS1_30default_config_static_selectorELNS0_4arch9wavefront6targetE0EEEvSK_
                                        ; -- End function
	.section	.AMDGPU.csdata,"",@progbits
; Kernel info:
; codeLenInByte = 0
; NumSgprs: 0
; NumVgprs: 0
; ScratchSize: 0
; MemoryBound: 0
; FloatMode: 240
; IeeeMode: 1
; LDSByteSize: 0 bytes/workgroup (compile time only)
; SGPRBlocks: 0
; VGPRBlocks: 0
; NumSGPRsForWavesPerEU: 1
; NumVGPRsForWavesPerEU: 1
; Occupancy: 16
; WaveLimiterHint : 0
; COMPUTE_PGM_RSRC2:SCRATCH_EN: 0
; COMPUTE_PGM_RSRC2:USER_SGPR: 15
; COMPUTE_PGM_RSRC2:TRAP_HANDLER: 0
; COMPUTE_PGM_RSRC2:TGID_X_EN: 1
; COMPUTE_PGM_RSRC2:TGID_Y_EN: 0
; COMPUTE_PGM_RSRC2:TGID_Z_EN: 0
; COMPUTE_PGM_RSRC2:TIDIG_COMP_CNT: 0
	.section	.text._ZN7rocprim17ROCPRIM_400000_NS6detail17trampoline_kernelINS0_14default_configENS1_36segmented_radix_sort_config_selectorIdlEEZNS1_25segmented_radix_sort_implIS3_Lb0EPKdPdPKlPlN2at6native12_GLOBAL__N_18offset_tEEE10hipError_tPvRmT1_PNSt15iterator_traitsISK_E10value_typeET2_T3_PNSL_ISQ_E10value_typeET4_jRbjT5_SW_jjP12ihipStream_tbEUlT_E_NS1_11comp_targetILNS1_3genE2ELNS1_11target_archE906ELNS1_3gpuE6ELNS1_3repE0EEENS1_30default_config_static_selectorELNS0_4arch9wavefront6targetE0EEEvSK_,"axG",@progbits,_ZN7rocprim17ROCPRIM_400000_NS6detail17trampoline_kernelINS0_14default_configENS1_36segmented_radix_sort_config_selectorIdlEEZNS1_25segmented_radix_sort_implIS3_Lb0EPKdPdPKlPlN2at6native12_GLOBAL__N_18offset_tEEE10hipError_tPvRmT1_PNSt15iterator_traitsISK_E10value_typeET2_T3_PNSL_ISQ_E10value_typeET4_jRbjT5_SW_jjP12ihipStream_tbEUlT_E_NS1_11comp_targetILNS1_3genE2ELNS1_11target_archE906ELNS1_3gpuE6ELNS1_3repE0EEENS1_30default_config_static_selectorELNS0_4arch9wavefront6targetE0EEEvSK_,comdat
	.globl	_ZN7rocprim17ROCPRIM_400000_NS6detail17trampoline_kernelINS0_14default_configENS1_36segmented_radix_sort_config_selectorIdlEEZNS1_25segmented_radix_sort_implIS3_Lb0EPKdPdPKlPlN2at6native12_GLOBAL__N_18offset_tEEE10hipError_tPvRmT1_PNSt15iterator_traitsISK_E10value_typeET2_T3_PNSL_ISQ_E10value_typeET4_jRbjT5_SW_jjP12ihipStream_tbEUlT_E_NS1_11comp_targetILNS1_3genE2ELNS1_11target_archE906ELNS1_3gpuE6ELNS1_3repE0EEENS1_30default_config_static_selectorELNS0_4arch9wavefront6targetE0EEEvSK_ ; -- Begin function _ZN7rocprim17ROCPRIM_400000_NS6detail17trampoline_kernelINS0_14default_configENS1_36segmented_radix_sort_config_selectorIdlEEZNS1_25segmented_radix_sort_implIS3_Lb0EPKdPdPKlPlN2at6native12_GLOBAL__N_18offset_tEEE10hipError_tPvRmT1_PNSt15iterator_traitsISK_E10value_typeET2_T3_PNSL_ISQ_E10value_typeET4_jRbjT5_SW_jjP12ihipStream_tbEUlT_E_NS1_11comp_targetILNS1_3genE2ELNS1_11target_archE906ELNS1_3gpuE6ELNS1_3repE0EEENS1_30default_config_static_selectorELNS0_4arch9wavefront6targetE0EEEvSK_
	.p2align	8
	.type	_ZN7rocprim17ROCPRIM_400000_NS6detail17trampoline_kernelINS0_14default_configENS1_36segmented_radix_sort_config_selectorIdlEEZNS1_25segmented_radix_sort_implIS3_Lb0EPKdPdPKlPlN2at6native12_GLOBAL__N_18offset_tEEE10hipError_tPvRmT1_PNSt15iterator_traitsISK_E10value_typeET2_T3_PNSL_ISQ_E10value_typeET4_jRbjT5_SW_jjP12ihipStream_tbEUlT_E_NS1_11comp_targetILNS1_3genE2ELNS1_11target_archE906ELNS1_3gpuE6ELNS1_3repE0EEENS1_30default_config_static_selectorELNS0_4arch9wavefront6targetE0EEEvSK_,@function
_ZN7rocprim17ROCPRIM_400000_NS6detail17trampoline_kernelINS0_14default_configENS1_36segmented_radix_sort_config_selectorIdlEEZNS1_25segmented_radix_sort_implIS3_Lb0EPKdPdPKlPlN2at6native12_GLOBAL__N_18offset_tEEE10hipError_tPvRmT1_PNSt15iterator_traitsISK_E10value_typeET2_T3_PNSL_ISQ_E10value_typeET4_jRbjT5_SW_jjP12ihipStream_tbEUlT_E_NS1_11comp_targetILNS1_3genE2ELNS1_11target_archE906ELNS1_3gpuE6ELNS1_3repE0EEENS1_30default_config_static_selectorELNS0_4arch9wavefront6targetE0EEEvSK_: ; @_ZN7rocprim17ROCPRIM_400000_NS6detail17trampoline_kernelINS0_14default_configENS1_36segmented_radix_sort_config_selectorIdlEEZNS1_25segmented_radix_sort_implIS3_Lb0EPKdPdPKlPlN2at6native12_GLOBAL__N_18offset_tEEE10hipError_tPvRmT1_PNSt15iterator_traitsISK_E10value_typeET2_T3_PNSL_ISQ_E10value_typeET4_jRbjT5_SW_jjP12ihipStream_tbEUlT_E_NS1_11comp_targetILNS1_3genE2ELNS1_11target_archE906ELNS1_3gpuE6ELNS1_3repE0EEENS1_30default_config_static_selectorELNS0_4arch9wavefront6targetE0EEEvSK_
; %bb.0:
	.section	.rodata,"a",@progbits
	.p2align	6, 0x0
	.amdhsa_kernel _ZN7rocprim17ROCPRIM_400000_NS6detail17trampoline_kernelINS0_14default_configENS1_36segmented_radix_sort_config_selectorIdlEEZNS1_25segmented_radix_sort_implIS3_Lb0EPKdPdPKlPlN2at6native12_GLOBAL__N_18offset_tEEE10hipError_tPvRmT1_PNSt15iterator_traitsISK_E10value_typeET2_T3_PNSL_ISQ_E10value_typeET4_jRbjT5_SW_jjP12ihipStream_tbEUlT_E_NS1_11comp_targetILNS1_3genE2ELNS1_11target_archE906ELNS1_3gpuE6ELNS1_3repE0EEENS1_30default_config_static_selectorELNS0_4arch9wavefront6targetE0EEEvSK_
		.amdhsa_group_segment_fixed_size 0
		.amdhsa_private_segment_fixed_size 0
		.amdhsa_kernarg_size 96
		.amdhsa_user_sgpr_count 15
		.amdhsa_user_sgpr_dispatch_ptr 0
		.amdhsa_user_sgpr_queue_ptr 0
		.amdhsa_user_sgpr_kernarg_segment_ptr 1
		.amdhsa_user_sgpr_dispatch_id 0
		.amdhsa_user_sgpr_private_segment_size 0
		.amdhsa_wavefront_size32 1
		.amdhsa_uses_dynamic_stack 0
		.amdhsa_enable_private_segment 0
		.amdhsa_system_sgpr_workgroup_id_x 1
		.amdhsa_system_sgpr_workgroup_id_y 0
		.amdhsa_system_sgpr_workgroup_id_z 0
		.amdhsa_system_sgpr_workgroup_info 0
		.amdhsa_system_vgpr_workitem_id 0
		.amdhsa_next_free_vgpr 1
		.amdhsa_next_free_sgpr 1
		.amdhsa_reserve_vcc 0
		.amdhsa_float_round_mode_32 0
		.amdhsa_float_round_mode_16_64 0
		.amdhsa_float_denorm_mode_32 3
		.amdhsa_float_denorm_mode_16_64 3
		.amdhsa_dx10_clamp 1
		.amdhsa_ieee_mode 1
		.amdhsa_fp16_overflow 0
		.amdhsa_workgroup_processor_mode 1
		.amdhsa_memory_ordered 1
		.amdhsa_forward_progress 0
		.amdhsa_shared_vgpr_count 0
		.amdhsa_exception_fp_ieee_invalid_op 0
		.amdhsa_exception_fp_denorm_src 0
		.amdhsa_exception_fp_ieee_div_zero 0
		.amdhsa_exception_fp_ieee_overflow 0
		.amdhsa_exception_fp_ieee_underflow 0
		.amdhsa_exception_fp_ieee_inexact 0
		.amdhsa_exception_int_div_zero 0
	.end_amdhsa_kernel
	.section	.text._ZN7rocprim17ROCPRIM_400000_NS6detail17trampoline_kernelINS0_14default_configENS1_36segmented_radix_sort_config_selectorIdlEEZNS1_25segmented_radix_sort_implIS3_Lb0EPKdPdPKlPlN2at6native12_GLOBAL__N_18offset_tEEE10hipError_tPvRmT1_PNSt15iterator_traitsISK_E10value_typeET2_T3_PNSL_ISQ_E10value_typeET4_jRbjT5_SW_jjP12ihipStream_tbEUlT_E_NS1_11comp_targetILNS1_3genE2ELNS1_11target_archE906ELNS1_3gpuE6ELNS1_3repE0EEENS1_30default_config_static_selectorELNS0_4arch9wavefront6targetE0EEEvSK_,"axG",@progbits,_ZN7rocprim17ROCPRIM_400000_NS6detail17trampoline_kernelINS0_14default_configENS1_36segmented_radix_sort_config_selectorIdlEEZNS1_25segmented_radix_sort_implIS3_Lb0EPKdPdPKlPlN2at6native12_GLOBAL__N_18offset_tEEE10hipError_tPvRmT1_PNSt15iterator_traitsISK_E10value_typeET2_T3_PNSL_ISQ_E10value_typeET4_jRbjT5_SW_jjP12ihipStream_tbEUlT_E_NS1_11comp_targetILNS1_3genE2ELNS1_11target_archE906ELNS1_3gpuE6ELNS1_3repE0EEENS1_30default_config_static_selectorELNS0_4arch9wavefront6targetE0EEEvSK_,comdat
.Lfunc_end1225:
	.size	_ZN7rocprim17ROCPRIM_400000_NS6detail17trampoline_kernelINS0_14default_configENS1_36segmented_radix_sort_config_selectorIdlEEZNS1_25segmented_radix_sort_implIS3_Lb0EPKdPdPKlPlN2at6native12_GLOBAL__N_18offset_tEEE10hipError_tPvRmT1_PNSt15iterator_traitsISK_E10value_typeET2_T3_PNSL_ISQ_E10value_typeET4_jRbjT5_SW_jjP12ihipStream_tbEUlT_E_NS1_11comp_targetILNS1_3genE2ELNS1_11target_archE906ELNS1_3gpuE6ELNS1_3repE0EEENS1_30default_config_static_selectorELNS0_4arch9wavefront6targetE0EEEvSK_, .Lfunc_end1225-_ZN7rocprim17ROCPRIM_400000_NS6detail17trampoline_kernelINS0_14default_configENS1_36segmented_radix_sort_config_selectorIdlEEZNS1_25segmented_radix_sort_implIS3_Lb0EPKdPdPKlPlN2at6native12_GLOBAL__N_18offset_tEEE10hipError_tPvRmT1_PNSt15iterator_traitsISK_E10value_typeET2_T3_PNSL_ISQ_E10value_typeET4_jRbjT5_SW_jjP12ihipStream_tbEUlT_E_NS1_11comp_targetILNS1_3genE2ELNS1_11target_archE906ELNS1_3gpuE6ELNS1_3repE0EEENS1_30default_config_static_selectorELNS0_4arch9wavefront6targetE0EEEvSK_
                                        ; -- End function
	.section	.AMDGPU.csdata,"",@progbits
; Kernel info:
; codeLenInByte = 0
; NumSgprs: 0
; NumVgprs: 0
; ScratchSize: 0
; MemoryBound: 0
; FloatMode: 240
; IeeeMode: 1
; LDSByteSize: 0 bytes/workgroup (compile time only)
; SGPRBlocks: 0
; VGPRBlocks: 0
; NumSGPRsForWavesPerEU: 1
; NumVGPRsForWavesPerEU: 1
; Occupancy: 16
; WaveLimiterHint : 0
; COMPUTE_PGM_RSRC2:SCRATCH_EN: 0
; COMPUTE_PGM_RSRC2:USER_SGPR: 15
; COMPUTE_PGM_RSRC2:TRAP_HANDLER: 0
; COMPUTE_PGM_RSRC2:TGID_X_EN: 1
; COMPUTE_PGM_RSRC2:TGID_Y_EN: 0
; COMPUTE_PGM_RSRC2:TGID_Z_EN: 0
; COMPUTE_PGM_RSRC2:TIDIG_COMP_CNT: 0
	.section	.text._ZN7rocprim17ROCPRIM_400000_NS6detail17trampoline_kernelINS0_14default_configENS1_36segmented_radix_sort_config_selectorIdlEEZNS1_25segmented_radix_sort_implIS3_Lb0EPKdPdPKlPlN2at6native12_GLOBAL__N_18offset_tEEE10hipError_tPvRmT1_PNSt15iterator_traitsISK_E10value_typeET2_T3_PNSL_ISQ_E10value_typeET4_jRbjT5_SW_jjP12ihipStream_tbEUlT_E_NS1_11comp_targetILNS1_3genE10ELNS1_11target_archE1201ELNS1_3gpuE5ELNS1_3repE0EEENS1_30default_config_static_selectorELNS0_4arch9wavefront6targetE0EEEvSK_,"axG",@progbits,_ZN7rocprim17ROCPRIM_400000_NS6detail17trampoline_kernelINS0_14default_configENS1_36segmented_radix_sort_config_selectorIdlEEZNS1_25segmented_radix_sort_implIS3_Lb0EPKdPdPKlPlN2at6native12_GLOBAL__N_18offset_tEEE10hipError_tPvRmT1_PNSt15iterator_traitsISK_E10value_typeET2_T3_PNSL_ISQ_E10value_typeET4_jRbjT5_SW_jjP12ihipStream_tbEUlT_E_NS1_11comp_targetILNS1_3genE10ELNS1_11target_archE1201ELNS1_3gpuE5ELNS1_3repE0EEENS1_30default_config_static_selectorELNS0_4arch9wavefront6targetE0EEEvSK_,comdat
	.globl	_ZN7rocprim17ROCPRIM_400000_NS6detail17trampoline_kernelINS0_14default_configENS1_36segmented_radix_sort_config_selectorIdlEEZNS1_25segmented_radix_sort_implIS3_Lb0EPKdPdPKlPlN2at6native12_GLOBAL__N_18offset_tEEE10hipError_tPvRmT1_PNSt15iterator_traitsISK_E10value_typeET2_T3_PNSL_ISQ_E10value_typeET4_jRbjT5_SW_jjP12ihipStream_tbEUlT_E_NS1_11comp_targetILNS1_3genE10ELNS1_11target_archE1201ELNS1_3gpuE5ELNS1_3repE0EEENS1_30default_config_static_selectorELNS0_4arch9wavefront6targetE0EEEvSK_ ; -- Begin function _ZN7rocprim17ROCPRIM_400000_NS6detail17trampoline_kernelINS0_14default_configENS1_36segmented_radix_sort_config_selectorIdlEEZNS1_25segmented_radix_sort_implIS3_Lb0EPKdPdPKlPlN2at6native12_GLOBAL__N_18offset_tEEE10hipError_tPvRmT1_PNSt15iterator_traitsISK_E10value_typeET2_T3_PNSL_ISQ_E10value_typeET4_jRbjT5_SW_jjP12ihipStream_tbEUlT_E_NS1_11comp_targetILNS1_3genE10ELNS1_11target_archE1201ELNS1_3gpuE5ELNS1_3repE0EEENS1_30default_config_static_selectorELNS0_4arch9wavefront6targetE0EEEvSK_
	.p2align	8
	.type	_ZN7rocprim17ROCPRIM_400000_NS6detail17trampoline_kernelINS0_14default_configENS1_36segmented_radix_sort_config_selectorIdlEEZNS1_25segmented_radix_sort_implIS3_Lb0EPKdPdPKlPlN2at6native12_GLOBAL__N_18offset_tEEE10hipError_tPvRmT1_PNSt15iterator_traitsISK_E10value_typeET2_T3_PNSL_ISQ_E10value_typeET4_jRbjT5_SW_jjP12ihipStream_tbEUlT_E_NS1_11comp_targetILNS1_3genE10ELNS1_11target_archE1201ELNS1_3gpuE5ELNS1_3repE0EEENS1_30default_config_static_selectorELNS0_4arch9wavefront6targetE0EEEvSK_,@function
_ZN7rocprim17ROCPRIM_400000_NS6detail17trampoline_kernelINS0_14default_configENS1_36segmented_radix_sort_config_selectorIdlEEZNS1_25segmented_radix_sort_implIS3_Lb0EPKdPdPKlPlN2at6native12_GLOBAL__N_18offset_tEEE10hipError_tPvRmT1_PNSt15iterator_traitsISK_E10value_typeET2_T3_PNSL_ISQ_E10value_typeET4_jRbjT5_SW_jjP12ihipStream_tbEUlT_E_NS1_11comp_targetILNS1_3genE10ELNS1_11target_archE1201ELNS1_3gpuE5ELNS1_3repE0EEENS1_30default_config_static_selectorELNS0_4arch9wavefront6targetE0EEEvSK_: ; @_ZN7rocprim17ROCPRIM_400000_NS6detail17trampoline_kernelINS0_14default_configENS1_36segmented_radix_sort_config_selectorIdlEEZNS1_25segmented_radix_sort_implIS3_Lb0EPKdPdPKlPlN2at6native12_GLOBAL__N_18offset_tEEE10hipError_tPvRmT1_PNSt15iterator_traitsISK_E10value_typeET2_T3_PNSL_ISQ_E10value_typeET4_jRbjT5_SW_jjP12ihipStream_tbEUlT_E_NS1_11comp_targetILNS1_3genE10ELNS1_11target_archE1201ELNS1_3gpuE5ELNS1_3repE0EEENS1_30default_config_static_selectorELNS0_4arch9wavefront6targetE0EEEvSK_
; %bb.0:
	.section	.rodata,"a",@progbits
	.p2align	6, 0x0
	.amdhsa_kernel _ZN7rocprim17ROCPRIM_400000_NS6detail17trampoline_kernelINS0_14default_configENS1_36segmented_radix_sort_config_selectorIdlEEZNS1_25segmented_radix_sort_implIS3_Lb0EPKdPdPKlPlN2at6native12_GLOBAL__N_18offset_tEEE10hipError_tPvRmT1_PNSt15iterator_traitsISK_E10value_typeET2_T3_PNSL_ISQ_E10value_typeET4_jRbjT5_SW_jjP12ihipStream_tbEUlT_E_NS1_11comp_targetILNS1_3genE10ELNS1_11target_archE1201ELNS1_3gpuE5ELNS1_3repE0EEENS1_30default_config_static_selectorELNS0_4arch9wavefront6targetE0EEEvSK_
		.amdhsa_group_segment_fixed_size 0
		.amdhsa_private_segment_fixed_size 0
		.amdhsa_kernarg_size 96
		.amdhsa_user_sgpr_count 15
		.amdhsa_user_sgpr_dispatch_ptr 0
		.amdhsa_user_sgpr_queue_ptr 0
		.amdhsa_user_sgpr_kernarg_segment_ptr 1
		.amdhsa_user_sgpr_dispatch_id 0
		.amdhsa_user_sgpr_private_segment_size 0
		.amdhsa_wavefront_size32 1
		.amdhsa_uses_dynamic_stack 0
		.amdhsa_enable_private_segment 0
		.amdhsa_system_sgpr_workgroup_id_x 1
		.amdhsa_system_sgpr_workgroup_id_y 0
		.amdhsa_system_sgpr_workgroup_id_z 0
		.amdhsa_system_sgpr_workgroup_info 0
		.amdhsa_system_vgpr_workitem_id 0
		.amdhsa_next_free_vgpr 1
		.amdhsa_next_free_sgpr 1
		.amdhsa_reserve_vcc 0
		.amdhsa_float_round_mode_32 0
		.amdhsa_float_round_mode_16_64 0
		.amdhsa_float_denorm_mode_32 3
		.amdhsa_float_denorm_mode_16_64 3
		.amdhsa_dx10_clamp 1
		.amdhsa_ieee_mode 1
		.amdhsa_fp16_overflow 0
		.amdhsa_workgroup_processor_mode 1
		.amdhsa_memory_ordered 1
		.amdhsa_forward_progress 0
		.amdhsa_shared_vgpr_count 0
		.amdhsa_exception_fp_ieee_invalid_op 0
		.amdhsa_exception_fp_denorm_src 0
		.amdhsa_exception_fp_ieee_div_zero 0
		.amdhsa_exception_fp_ieee_overflow 0
		.amdhsa_exception_fp_ieee_underflow 0
		.amdhsa_exception_fp_ieee_inexact 0
		.amdhsa_exception_int_div_zero 0
	.end_amdhsa_kernel
	.section	.text._ZN7rocprim17ROCPRIM_400000_NS6detail17trampoline_kernelINS0_14default_configENS1_36segmented_radix_sort_config_selectorIdlEEZNS1_25segmented_radix_sort_implIS3_Lb0EPKdPdPKlPlN2at6native12_GLOBAL__N_18offset_tEEE10hipError_tPvRmT1_PNSt15iterator_traitsISK_E10value_typeET2_T3_PNSL_ISQ_E10value_typeET4_jRbjT5_SW_jjP12ihipStream_tbEUlT_E_NS1_11comp_targetILNS1_3genE10ELNS1_11target_archE1201ELNS1_3gpuE5ELNS1_3repE0EEENS1_30default_config_static_selectorELNS0_4arch9wavefront6targetE0EEEvSK_,"axG",@progbits,_ZN7rocprim17ROCPRIM_400000_NS6detail17trampoline_kernelINS0_14default_configENS1_36segmented_radix_sort_config_selectorIdlEEZNS1_25segmented_radix_sort_implIS3_Lb0EPKdPdPKlPlN2at6native12_GLOBAL__N_18offset_tEEE10hipError_tPvRmT1_PNSt15iterator_traitsISK_E10value_typeET2_T3_PNSL_ISQ_E10value_typeET4_jRbjT5_SW_jjP12ihipStream_tbEUlT_E_NS1_11comp_targetILNS1_3genE10ELNS1_11target_archE1201ELNS1_3gpuE5ELNS1_3repE0EEENS1_30default_config_static_selectorELNS0_4arch9wavefront6targetE0EEEvSK_,comdat
.Lfunc_end1226:
	.size	_ZN7rocprim17ROCPRIM_400000_NS6detail17trampoline_kernelINS0_14default_configENS1_36segmented_radix_sort_config_selectorIdlEEZNS1_25segmented_radix_sort_implIS3_Lb0EPKdPdPKlPlN2at6native12_GLOBAL__N_18offset_tEEE10hipError_tPvRmT1_PNSt15iterator_traitsISK_E10value_typeET2_T3_PNSL_ISQ_E10value_typeET4_jRbjT5_SW_jjP12ihipStream_tbEUlT_E_NS1_11comp_targetILNS1_3genE10ELNS1_11target_archE1201ELNS1_3gpuE5ELNS1_3repE0EEENS1_30default_config_static_selectorELNS0_4arch9wavefront6targetE0EEEvSK_, .Lfunc_end1226-_ZN7rocprim17ROCPRIM_400000_NS6detail17trampoline_kernelINS0_14default_configENS1_36segmented_radix_sort_config_selectorIdlEEZNS1_25segmented_radix_sort_implIS3_Lb0EPKdPdPKlPlN2at6native12_GLOBAL__N_18offset_tEEE10hipError_tPvRmT1_PNSt15iterator_traitsISK_E10value_typeET2_T3_PNSL_ISQ_E10value_typeET4_jRbjT5_SW_jjP12ihipStream_tbEUlT_E_NS1_11comp_targetILNS1_3genE10ELNS1_11target_archE1201ELNS1_3gpuE5ELNS1_3repE0EEENS1_30default_config_static_selectorELNS0_4arch9wavefront6targetE0EEEvSK_
                                        ; -- End function
	.section	.AMDGPU.csdata,"",@progbits
; Kernel info:
; codeLenInByte = 0
; NumSgprs: 0
; NumVgprs: 0
; ScratchSize: 0
; MemoryBound: 0
; FloatMode: 240
; IeeeMode: 1
; LDSByteSize: 0 bytes/workgroup (compile time only)
; SGPRBlocks: 0
; VGPRBlocks: 0
; NumSGPRsForWavesPerEU: 1
; NumVGPRsForWavesPerEU: 1
; Occupancy: 16
; WaveLimiterHint : 0
; COMPUTE_PGM_RSRC2:SCRATCH_EN: 0
; COMPUTE_PGM_RSRC2:USER_SGPR: 15
; COMPUTE_PGM_RSRC2:TRAP_HANDLER: 0
; COMPUTE_PGM_RSRC2:TGID_X_EN: 1
; COMPUTE_PGM_RSRC2:TGID_Y_EN: 0
; COMPUTE_PGM_RSRC2:TGID_Z_EN: 0
; COMPUTE_PGM_RSRC2:TIDIG_COMP_CNT: 0
	.section	.text._ZN7rocprim17ROCPRIM_400000_NS6detail17trampoline_kernelINS0_14default_configENS1_36segmented_radix_sort_config_selectorIdlEEZNS1_25segmented_radix_sort_implIS3_Lb0EPKdPdPKlPlN2at6native12_GLOBAL__N_18offset_tEEE10hipError_tPvRmT1_PNSt15iterator_traitsISK_E10value_typeET2_T3_PNSL_ISQ_E10value_typeET4_jRbjT5_SW_jjP12ihipStream_tbEUlT_E_NS1_11comp_targetILNS1_3genE10ELNS1_11target_archE1200ELNS1_3gpuE4ELNS1_3repE0EEENS1_30default_config_static_selectorELNS0_4arch9wavefront6targetE0EEEvSK_,"axG",@progbits,_ZN7rocprim17ROCPRIM_400000_NS6detail17trampoline_kernelINS0_14default_configENS1_36segmented_radix_sort_config_selectorIdlEEZNS1_25segmented_radix_sort_implIS3_Lb0EPKdPdPKlPlN2at6native12_GLOBAL__N_18offset_tEEE10hipError_tPvRmT1_PNSt15iterator_traitsISK_E10value_typeET2_T3_PNSL_ISQ_E10value_typeET4_jRbjT5_SW_jjP12ihipStream_tbEUlT_E_NS1_11comp_targetILNS1_3genE10ELNS1_11target_archE1200ELNS1_3gpuE4ELNS1_3repE0EEENS1_30default_config_static_selectorELNS0_4arch9wavefront6targetE0EEEvSK_,comdat
	.globl	_ZN7rocprim17ROCPRIM_400000_NS6detail17trampoline_kernelINS0_14default_configENS1_36segmented_radix_sort_config_selectorIdlEEZNS1_25segmented_radix_sort_implIS3_Lb0EPKdPdPKlPlN2at6native12_GLOBAL__N_18offset_tEEE10hipError_tPvRmT1_PNSt15iterator_traitsISK_E10value_typeET2_T3_PNSL_ISQ_E10value_typeET4_jRbjT5_SW_jjP12ihipStream_tbEUlT_E_NS1_11comp_targetILNS1_3genE10ELNS1_11target_archE1200ELNS1_3gpuE4ELNS1_3repE0EEENS1_30default_config_static_selectorELNS0_4arch9wavefront6targetE0EEEvSK_ ; -- Begin function _ZN7rocprim17ROCPRIM_400000_NS6detail17trampoline_kernelINS0_14default_configENS1_36segmented_radix_sort_config_selectorIdlEEZNS1_25segmented_radix_sort_implIS3_Lb0EPKdPdPKlPlN2at6native12_GLOBAL__N_18offset_tEEE10hipError_tPvRmT1_PNSt15iterator_traitsISK_E10value_typeET2_T3_PNSL_ISQ_E10value_typeET4_jRbjT5_SW_jjP12ihipStream_tbEUlT_E_NS1_11comp_targetILNS1_3genE10ELNS1_11target_archE1200ELNS1_3gpuE4ELNS1_3repE0EEENS1_30default_config_static_selectorELNS0_4arch9wavefront6targetE0EEEvSK_
	.p2align	8
	.type	_ZN7rocprim17ROCPRIM_400000_NS6detail17trampoline_kernelINS0_14default_configENS1_36segmented_radix_sort_config_selectorIdlEEZNS1_25segmented_radix_sort_implIS3_Lb0EPKdPdPKlPlN2at6native12_GLOBAL__N_18offset_tEEE10hipError_tPvRmT1_PNSt15iterator_traitsISK_E10value_typeET2_T3_PNSL_ISQ_E10value_typeET4_jRbjT5_SW_jjP12ihipStream_tbEUlT_E_NS1_11comp_targetILNS1_3genE10ELNS1_11target_archE1200ELNS1_3gpuE4ELNS1_3repE0EEENS1_30default_config_static_selectorELNS0_4arch9wavefront6targetE0EEEvSK_,@function
_ZN7rocprim17ROCPRIM_400000_NS6detail17trampoline_kernelINS0_14default_configENS1_36segmented_radix_sort_config_selectorIdlEEZNS1_25segmented_radix_sort_implIS3_Lb0EPKdPdPKlPlN2at6native12_GLOBAL__N_18offset_tEEE10hipError_tPvRmT1_PNSt15iterator_traitsISK_E10value_typeET2_T3_PNSL_ISQ_E10value_typeET4_jRbjT5_SW_jjP12ihipStream_tbEUlT_E_NS1_11comp_targetILNS1_3genE10ELNS1_11target_archE1200ELNS1_3gpuE4ELNS1_3repE0EEENS1_30default_config_static_selectorELNS0_4arch9wavefront6targetE0EEEvSK_: ; @_ZN7rocprim17ROCPRIM_400000_NS6detail17trampoline_kernelINS0_14default_configENS1_36segmented_radix_sort_config_selectorIdlEEZNS1_25segmented_radix_sort_implIS3_Lb0EPKdPdPKlPlN2at6native12_GLOBAL__N_18offset_tEEE10hipError_tPvRmT1_PNSt15iterator_traitsISK_E10value_typeET2_T3_PNSL_ISQ_E10value_typeET4_jRbjT5_SW_jjP12ihipStream_tbEUlT_E_NS1_11comp_targetILNS1_3genE10ELNS1_11target_archE1200ELNS1_3gpuE4ELNS1_3repE0EEENS1_30default_config_static_selectorELNS0_4arch9wavefront6targetE0EEEvSK_
; %bb.0:
	.section	.rodata,"a",@progbits
	.p2align	6, 0x0
	.amdhsa_kernel _ZN7rocprim17ROCPRIM_400000_NS6detail17trampoline_kernelINS0_14default_configENS1_36segmented_radix_sort_config_selectorIdlEEZNS1_25segmented_radix_sort_implIS3_Lb0EPKdPdPKlPlN2at6native12_GLOBAL__N_18offset_tEEE10hipError_tPvRmT1_PNSt15iterator_traitsISK_E10value_typeET2_T3_PNSL_ISQ_E10value_typeET4_jRbjT5_SW_jjP12ihipStream_tbEUlT_E_NS1_11comp_targetILNS1_3genE10ELNS1_11target_archE1200ELNS1_3gpuE4ELNS1_3repE0EEENS1_30default_config_static_selectorELNS0_4arch9wavefront6targetE0EEEvSK_
		.amdhsa_group_segment_fixed_size 0
		.amdhsa_private_segment_fixed_size 0
		.amdhsa_kernarg_size 96
		.amdhsa_user_sgpr_count 15
		.amdhsa_user_sgpr_dispatch_ptr 0
		.amdhsa_user_sgpr_queue_ptr 0
		.amdhsa_user_sgpr_kernarg_segment_ptr 1
		.amdhsa_user_sgpr_dispatch_id 0
		.amdhsa_user_sgpr_private_segment_size 0
		.amdhsa_wavefront_size32 1
		.amdhsa_uses_dynamic_stack 0
		.amdhsa_enable_private_segment 0
		.amdhsa_system_sgpr_workgroup_id_x 1
		.amdhsa_system_sgpr_workgroup_id_y 0
		.amdhsa_system_sgpr_workgroup_id_z 0
		.amdhsa_system_sgpr_workgroup_info 0
		.amdhsa_system_vgpr_workitem_id 0
		.amdhsa_next_free_vgpr 1
		.amdhsa_next_free_sgpr 1
		.amdhsa_reserve_vcc 0
		.amdhsa_float_round_mode_32 0
		.amdhsa_float_round_mode_16_64 0
		.amdhsa_float_denorm_mode_32 3
		.amdhsa_float_denorm_mode_16_64 3
		.amdhsa_dx10_clamp 1
		.amdhsa_ieee_mode 1
		.amdhsa_fp16_overflow 0
		.amdhsa_workgroup_processor_mode 1
		.amdhsa_memory_ordered 1
		.amdhsa_forward_progress 0
		.amdhsa_shared_vgpr_count 0
		.amdhsa_exception_fp_ieee_invalid_op 0
		.amdhsa_exception_fp_denorm_src 0
		.amdhsa_exception_fp_ieee_div_zero 0
		.amdhsa_exception_fp_ieee_overflow 0
		.amdhsa_exception_fp_ieee_underflow 0
		.amdhsa_exception_fp_ieee_inexact 0
		.amdhsa_exception_int_div_zero 0
	.end_amdhsa_kernel
	.section	.text._ZN7rocprim17ROCPRIM_400000_NS6detail17trampoline_kernelINS0_14default_configENS1_36segmented_radix_sort_config_selectorIdlEEZNS1_25segmented_radix_sort_implIS3_Lb0EPKdPdPKlPlN2at6native12_GLOBAL__N_18offset_tEEE10hipError_tPvRmT1_PNSt15iterator_traitsISK_E10value_typeET2_T3_PNSL_ISQ_E10value_typeET4_jRbjT5_SW_jjP12ihipStream_tbEUlT_E_NS1_11comp_targetILNS1_3genE10ELNS1_11target_archE1200ELNS1_3gpuE4ELNS1_3repE0EEENS1_30default_config_static_selectorELNS0_4arch9wavefront6targetE0EEEvSK_,"axG",@progbits,_ZN7rocprim17ROCPRIM_400000_NS6detail17trampoline_kernelINS0_14default_configENS1_36segmented_radix_sort_config_selectorIdlEEZNS1_25segmented_radix_sort_implIS3_Lb0EPKdPdPKlPlN2at6native12_GLOBAL__N_18offset_tEEE10hipError_tPvRmT1_PNSt15iterator_traitsISK_E10value_typeET2_T3_PNSL_ISQ_E10value_typeET4_jRbjT5_SW_jjP12ihipStream_tbEUlT_E_NS1_11comp_targetILNS1_3genE10ELNS1_11target_archE1200ELNS1_3gpuE4ELNS1_3repE0EEENS1_30default_config_static_selectorELNS0_4arch9wavefront6targetE0EEEvSK_,comdat
.Lfunc_end1227:
	.size	_ZN7rocprim17ROCPRIM_400000_NS6detail17trampoline_kernelINS0_14default_configENS1_36segmented_radix_sort_config_selectorIdlEEZNS1_25segmented_radix_sort_implIS3_Lb0EPKdPdPKlPlN2at6native12_GLOBAL__N_18offset_tEEE10hipError_tPvRmT1_PNSt15iterator_traitsISK_E10value_typeET2_T3_PNSL_ISQ_E10value_typeET4_jRbjT5_SW_jjP12ihipStream_tbEUlT_E_NS1_11comp_targetILNS1_3genE10ELNS1_11target_archE1200ELNS1_3gpuE4ELNS1_3repE0EEENS1_30default_config_static_selectorELNS0_4arch9wavefront6targetE0EEEvSK_, .Lfunc_end1227-_ZN7rocprim17ROCPRIM_400000_NS6detail17trampoline_kernelINS0_14default_configENS1_36segmented_radix_sort_config_selectorIdlEEZNS1_25segmented_radix_sort_implIS3_Lb0EPKdPdPKlPlN2at6native12_GLOBAL__N_18offset_tEEE10hipError_tPvRmT1_PNSt15iterator_traitsISK_E10value_typeET2_T3_PNSL_ISQ_E10value_typeET4_jRbjT5_SW_jjP12ihipStream_tbEUlT_E_NS1_11comp_targetILNS1_3genE10ELNS1_11target_archE1200ELNS1_3gpuE4ELNS1_3repE0EEENS1_30default_config_static_selectorELNS0_4arch9wavefront6targetE0EEEvSK_
                                        ; -- End function
	.section	.AMDGPU.csdata,"",@progbits
; Kernel info:
; codeLenInByte = 0
; NumSgprs: 0
; NumVgprs: 0
; ScratchSize: 0
; MemoryBound: 0
; FloatMode: 240
; IeeeMode: 1
; LDSByteSize: 0 bytes/workgroup (compile time only)
; SGPRBlocks: 0
; VGPRBlocks: 0
; NumSGPRsForWavesPerEU: 1
; NumVGPRsForWavesPerEU: 1
; Occupancy: 16
; WaveLimiterHint : 0
; COMPUTE_PGM_RSRC2:SCRATCH_EN: 0
; COMPUTE_PGM_RSRC2:USER_SGPR: 15
; COMPUTE_PGM_RSRC2:TRAP_HANDLER: 0
; COMPUTE_PGM_RSRC2:TGID_X_EN: 1
; COMPUTE_PGM_RSRC2:TGID_Y_EN: 0
; COMPUTE_PGM_RSRC2:TGID_Z_EN: 0
; COMPUTE_PGM_RSRC2:TIDIG_COMP_CNT: 0
	.text
	.p2align	2                               ; -- Begin function _ZN7rocprim17ROCPRIM_400000_NS6detail40segmented_radix_sort_single_block_helperIdlLj256ELj16ELb0EE4sortIPKdPdPKlPlEEbT_T0_T1_T2_jjjjRNS3_12storage_typeE
	.type	_ZN7rocprim17ROCPRIM_400000_NS6detail40segmented_radix_sort_single_block_helperIdlLj256ELj16ELb0EE4sortIPKdPdPKlPlEEbT_T0_T1_T2_jjjjRNS3_12storage_typeE,@function
_ZN7rocprim17ROCPRIM_400000_NS6detail40segmented_radix_sort_single_block_helperIdlLj256ELj16ELb0EE4sortIPKdPdPKlPlEEbT_T0_T1_T2_jjjjRNS3_12storage_typeE: ; @_ZN7rocprim17ROCPRIM_400000_NS6detail40segmented_radix_sort_single_block_helperIdlLj256ELj16ELb0EE4sortIPKdPdPKlPlEEbT_T0_T1_T2_jjjjRNS3_12storage_typeE
; %bb.0:
	s_waitcnt vmcnt(0) expcnt(0) lgkmcnt(0)
	s_or_saveexec_b32 s0, -1
	scratch_store_b32 off, v136, s32 offset:192 ; 4-byte Folded Spill
	s_mov_b32 exec_lo, s0
	s_clause 0x1f
	scratch_store_b32 off, v40, s32 offset:188
	; meta instruction
	scratch_store_b32 off, v41, s32 offset:184
	; meta instruction
	;; [unrolled: 2-line block ×31, first 2 shown]
	scratch_store_b32 off, v95, s32 offset:64
	s_clause 0xf
	scratch_store_b32 off, v104, s32 offset:60
	; meta instruction
	scratch_store_b32 off, v105, s32 offset:56
	; meta instruction
	scratch_store_b32 off, v106, s32 offset:52
	; meta instruction
	scratch_store_b32 off, v107, s32 offset:48
	; meta instruction
	scratch_store_b32 off, v108, s32 offset:44
	; meta instruction
	scratch_store_b32 off, v109, s32 offset:40
	; meta instruction
	scratch_store_b32 off, v110, s32 offset:36
	; meta instruction
	scratch_store_b32 off, v111, s32 offset:32
	; meta instruction
	scratch_store_b32 off, v120, s32 offset:28
	; meta instruction
	scratch_store_b32 off, v121, s32 offset:24
	; meta instruction
	scratch_store_b32 off, v122, s32 offset:20
	; meta instruction
	scratch_store_b32 off, v123, s32 offset:16
	; meta instruction
	scratch_store_b32 off, v124, s32 offset:12
	; meta instruction
	scratch_store_b32 off, v125, s32 offset:8
	; meta instruction
	scratch_store_b32 off, v126, s32 offset:4
	; meta instruction
	scratch_store_b32 off, v127, s32
	v_writelane_b32 v136, s36, 0
	v_writelane_b32 v136, s37, 1
	;; [unrolled: 1-line block ×8, first 2 shown]
	v_sub_nc_u32_e32 v47, v9, v8
	s_mov_b32 s26, exec_lo
	s_delay_alu instid0(VALU_DEP_1)
	v_cmpx_gt_u32_e32 0x1001, v47
	s_cbranch_execz .LBB1228_372
; %bb.1:
	v_bfe_u32 v14, v31, 10, 10
	v_bfe_u32 v15, v31, 20, 10
	v_and_b32_e32 v26, 0x3ff, v31
	v_mbcnt_lo_u32_b32 v96, -1, 0
	s_mov_b32 s0, exec_lo
	v_cmpx_lt_u32_e32 0x800, v47
	s_xor_b32 s27, exec_lo, s0
	s_cbranch_execz .LBB1228_143
; %bb.2:
	s_load_b64 s[0:1], s[8:9], 0x0
	v_mov_b32_e32 v9, 0
	s_waitcnt lgkmcnt(0)
	s_cmp_lt_u32 s13, s1
	s_cselect_b32 s1, 14, 20
	s_delay_alu instid0(SALU_CYCLE_1) | instskip(SKIP_4) | instid1(SALU_CYCLE_1)
	s_add_u32 s2, s8, s1
	s_addc_u32 s3, s9, 0
	s_cmp_lt_u32 s12, s0
	global_load_u16 v16, v9, s[2:3]
	s_cselect_b32 s0, 12, 18
	s_add_u32 s0, s8, s0
	s_addc_u32 s1, s9, 0
	global_load_u16 v17, v9, s[0:1]
	s_mov_b32 s2, -1
	s_brev_b32 s3, -2
	v_lshlrev_b32_e32 v18, 3, v96
	s_waitcnt vmcnt(1)
	v_mad_u32_u24 v14, v15, v16, v14
	s_waitcnt vmcnt(0)
	s_delay_alu instid0(VALU_DEP_1) | instskip(NEXT) | instid1(VALU_DEP_1)
	v_mad_u64_u32 v[24:25], null, v14, v17, v[26:27]
	v_lshlrev_b32_e32 v14, 4, v24
	v_lshlrev_b64 v[22:23], 3, v[8:9]
	s_delay_alu instid0(VALU_DEP_2) | instskip(NEXT) | instid1(VALU_DEP_2)
	v_and_b32_e32 v8, 0xfffffe00, v14
	v_add_co_u32 v0, vcc_lo, v0, v22
	s_delay_alu instid0(VALU_DEP_3) | instskip(NEXT) | instid1(VALU_DEP_3)
	v_add_co_ci_u32_e32 v1, vcc_lo, v1, v23, vcc_lo
	v_lshlrev_b64 v[14:15], 3, v[8:9]
	v_or_b32_e32 v19, v8, v96
	v_mov_b32_e32 v9, s3
	v_add_co_u32 v0, vcc_lo, v0, v18
	v_add_co_ci_u32_e32 v1, vcc_lo, 0, v1, vcc_lo
	s_delay_alu instid0(VALU_DEP_4) | instskip(NEXT) | instid1(VALU_DEP_3)
	v_cmp_lt_u32_e32 vcc_lo, v19, v47
	v_add_co_u32 v16, s0, v0, v14
	s_delay_alu instid0(VALU_DEP_1)
	v_add_co_ci_u32_e64 v17, s0, v1, v15, s0
	v_mov_b32_e32 v8, s2
	s_and_saveexec_b32 s0, vcc_lo
	s_cbranch_execz .LBB1228_4
; %bb.3:
	flat_load_b64 v[8:9], v[16:17]
.LBB1228_4:
	s_or_b32 exec_lo, exec_lo, s0
	v_or_b32_e32 v0, 32, v19
	s_delay_alu instid0(VALU_DEP_1) | instskip(SKIP_1) | instid1(VALU_DEP_2)
	v_cmp_lt_u32_e64 s0, v0, v47
	v_dual_mov_b32 v0, s2 :: v_dual_mov_b32 v1, s3
	s_and_saveexec_b32 s1, s0
	s_cbranch_execz .LBB1228_6
; %bb.5:
	flat_load_b64 v[0:1], v[16:17] offset:256
.LBB1228_6:
	s_or_b32 exec_lo, exec_lo, s1
	v_or_b32_e32 v20, 64, v19
	s_mov_b32 s4, -1
	s_brev_b32 s5, -2
	s_delay_alu instid0(SALU_CYCLE_1) | instskip(NEXT) | instid1(VALU_DEP_2)
	v_dual_mov_b32 v30, s5 :: v_dual_mov_b32 v29, s4
	v_cmp_lt_u32_e64 s1, v20, v47
	s_delay_alu instid0(VALU_DEP_1)
	s_and_saveexec_b32 s2, s1
	s_cbranch_execz .LBB1228_8
; %bb.7:
	flat_load_b64 v[29:30], v[16:17] offset:512
.LBB1228_8:
	s_or_b32 exec_lo, exec_lo, s2
	v_or_b32_e32 v20, 0x60, v19
	v_dual_mov_b32 v28, s5 :: v_dual_mov_b32 v27, s4
	s_delay_alu instid0(VALU_DEP_2) | instskip(NEXT) | instid1(VALU_DEP_1)
	v_cmp_lt_u32_e64 s2, v20, v47
	s_and_saveexec_b32 s3, s2
	s_cbranch_execz .LBB1228_10
; %bb.9:
	flat_load_b64 v[27:28], v[16:17] offset:768
.LBB1228_10:
	s_or_b32 exec_lo, exec_lo, s3
	v_or_b32_e32 v20, 0x80, v19
	s_mov_b32 s6, -1
	s_brev_b32 s7, -2
	s_delay_alu instid0(SALU_CYCLE_1) | instskip(NEXT) | instid1(VALU_DEP_2)
	v_dual_mov_b32 v34, s7 :: v_dual_mov_b32 v33, s6
	v_cmp_lt_u32_e64 s3, v20, v47
	s_delay_alu instid0(VALU_DEP_1)
	s_and_saveexec_b32 s4, s3
	s_cbranch_execz .LBB1228_12
; %bb.11:
	flat_load_b64 v[33:34], v[16:17] offset:1024
.LBB1228_12:
	s_or_b32 exec_lo, exec_lo, s4
	v_or_b32_e32 v20, 0xa0, v19
	v_dual_mov_b32 v32, s7 :: v_dual_mov_b32 v31, s6
	s_delay_alu instid0(VALU_DEP_2) | instskip(NEXT) | instid1(VALU_DEP_1)
	v_cmp_lt_u32_e64 s4, v20, v47
	;; [unrolled: 23-line block ×7, first 2 shown]
	s_and_saveexec_b32 s19, s18
	s_cbranch_execz .LBB1228_34
; %bb.33:
	flat_load_b64 v[70:71], v[16:17] offset:3840
.LBB1228_34:
	s_or_b32 exec_lo, exec_lo, s19
	v_add_co_u32 v4, s19, v4, v22
	s_delay_alu instid0(VALU_DEP_1) | instskip(NEXT) | instid1(VALU_DEP_2)
	v_add_co_ci_u32_e64 v5, s19, v5, v23, s19
	v_add_co_u32 v4, s19, v4, v18
	s_delay_alu instid0(VALU_DEP_1) | instskip(NEXT) | instid1(VALU_DEP_2)
	v_add_co_ci_u32_e64 v5, s19, 0, v5, s19
	v_add_co_u32 v4, s19, v4, v14
	s_delay_alu instid0(VALU_DEP_1)
	v_add_co_ci_u32_e64 v5, s19, v5, v15, s19
                                        ; implicit-def: $vgpr14_vgpr15
	s_and_saveexec_b32 s19, vcc_lo
	s_cbranch_execnz .LBB1228_196
; %bb.35:
	s_or_b32 exec_lo, exec_lo, s19
                                        ; implicit-def: $vgpr18_vgpr19
	s_and_saveexec_b32 s19, s0
	s_cbranch_execnz .LBB1228_197
.LBB1228_36:
	s_or_b32 exec_lo, exec_lo, s19
                                        ; implicit-def: $vgpr164_vgpr165
	s_and_saveexec_b32 s0, s1
	s_cbranch_execnz .LBB1228_198
.LBB1228_37:
	s_or_b32 exec_lo, exec_lo, s0
                                        ; implicit-def: $vgpr16_vgpr17
	s_and_saveexec_b32 s0, s2
	s_cbranch_execnz .LBB1228_199
.LBB1228_38:
	s_or_b32 exec_lo, exec_lo, s0
                                        ; implicit-def: $vgpr20_vgpr21
	s_and_saveexec_b32 s0, s3
	s_cbranch_execnz .LBB1228_200
.LBB1228_39:
	s_or_b32 exec_lo, exec_lo, s0
                                        ; implicit-def: $vgpr166_vgpr167
	s_and_saveexec_b32 s0, s4
	s_cbranch_execnz .LBB1228_201
.LBB1228_40:
	s_or_b32 exec_lo, exec_lo, s0
                                        ; implicit-def: $vgpr176_vgpr177
	s_and_saveexec_b32 s0, s5
	s_cbranch_execnz .LBB1228_202
.LBB1228_41:
	s_or_b32 exec_lo, exec_lo, s0
                                        ; implicit-def: $vgpr178_vgpr179
	s_and_saveexec_b32 s0, s6
	s_cbranch_execnz .LBB1228_203
.LBB1228_42:
	s_or_b32 exec_lo, exec_lo, s0
                                        ; implicit-def: $vgpr180_vgpr181
	s_and_saveexec_b32 s0, s7
	s_cbranch_execnz .LBB1228_204
.LBB1228_43:
	s_or_b32 exec_lo, exec_lo, s0
                                        ; implicit-def: $vgpr182_vgpr183
	s_and_saveexec_b32 s0, s10
	s_cbranch_execnz .LBB1228_205
.LBB1228_44:
	s_or_b32 exec_lo, exec_lo, s0
                                        ; implicit-def: $vgpr192_vgpr193
	s_and_saveexec_b32 s0, s11
	s_cbranch_execnz .LBB1228_206
.LBB1228_45:
	s_or_b32 exec_lo, exec_lo, s0
                                        ; implicit-def: $vgpr198_vgpr199
	s_and_saveexec_b32 s0, s14
	s_cbranch_execnz .LBB1228_207
.LBB1228_46:
	s_or_b32 exec_lo, exec_lo, s0
                                        ; implicit-def: $vgpr212_vgpr213
	s_and_saveexec_b32 s0, s15
	s_cbranch_execnz .LBB1228_208
.LBB1228_47:
	s_or_b32 exec_lo, exec_lo, s0
                                        ; implicit-def: $vgpr224_vgpr225
	s_and_saveexec_b32 s0, s16
	s_cbranch_execnz .LBB1228_209
.LBB1228_48:
	s_or_b32 exec_lo, exec_lo, s0
                                        ; implicit-def: $vgpr240_vgpr241
	s_and_saveexec_b32 s0, s17
	s_cbranch_execnz .LBB1228_210
.LBB1228_49:
	s_or_b32 exec_lo, exec_lo, s0
                                        ; implicit-def: $vgpr39_vgpr40
	s_and_saveexec_b32 s0, s18
	s_cbranch_execz .LBB1228_51
.LBB1228_50:
	flat_load_b64 v[39:40], v[4:5] offset:3840
.LBB1228_51:
	s_or_b32 exec_lo, exec_lo, s0
	s_waitcnt vmcnt(0) lgkmcnt(0)
	v_cmp_lt_i64_e32 vcc_lo, -1, v[8:9]
	v_ashrrev_i32_e32 v5, 31, v9
	s_getpc_b64 s[0:1]
	s_add_u32 s0, s0, _ZN7rocprim17ROCPRIM_400000_NS16block_radix_sortIdLj256ELj16ElLj1ELj1ELj8ELNS0_26block_radix_rank_algorithmE2ELNS0_18block_padding_hintE2ELNS0_4arch9wavefront6targetE0EE19radix_bits_per_passE@rel32@lo+4
	s_addc_u32 s1, s1, _ZN7rocprim17ROCPRIM_400000_NS16block_radix_sortIdLj256ELj16ElLj1ELj1ELj8ELNS0_26block_radix_rank_algorithmE2ELNS0_18block_padding_hintE2ELNS0_4arch9wavefront6targetE0EE19radix_bits_per_passE@rel32@hi+12
	v_cmp_eq_u32_e64 s7, 0, v96
	s_load_b32 s19, s[0:1], 0x0
	v_lshrrev_b32_e32 v125, 5, v24
	v_cndmask_b32_e64 v4, -1, 0x80000000, vcc_lo
	v_cmp_lt_i64_e32 vcc_lo, -1, v[0:1]
	v_xor_b32_e32 v45, v5, v8
	v_ashrrev_i32_e32 v5, 31, v30
	v_cmp_gt_u32_e64 s5, 8, v26
	v_xor_b32_e32 v46, v4, v9
	v_ashrrev_i32_e32 v4, 31, v1
	v_cndmask_b32_e64 v25, -1, 0x80000000, vcc_lo
	v_cmp_lt_i64_e32 vcc_lo, -1, v[29:30]
	v_xor_b32_e32 v230, v5, v29
	v_add_nc_u32_e32 v29, -1, v96
	v_xor_b32_e32 v228, v4, v0
	v_xor_b32_e32 v229, v25, v1
	v_ashrrev_i32_e32 v0, 31, v28
	v_cndmask_b32_e64 v1, -1, 0x80000000, vcc_lo
	v_cmp_lt_i64_e32 vcc_lo, -1, v[27:28]
	v_ashrrev_i32_e32 v4, 31, v34
	v_cmp_gt_i32_e64 s4, 0, v29
	v_xor_b32_e32 v244, v0, v27
	v_xor_b32_e32 v231, v1, v30
	v_ashrrev_i32_e32 v0, 31, v32
	v_cndmask_b32_e64 v8, -1, 0x80000000, vcc_lo
	v_cmp_lt_i64_e32 vcc_lo, -1, v[33:34]
	v_xor_b32_e32 v196, v4, v33
	v_ashrrev_i32_e32 v4, 31, v38
	v_xor_b32_e32 v194, v0, v31
	v_ashrrev_i32_e32 v0, 31, v36
	v_xor_b32_e32 v245, v8, v28
	v_cndmask_b32_e64 v1, -1, 0x80000000, vcc_lo
	v_cmp_lt_i64_e32 vcc_lo, -1, v[31:32]
	v_xor_b32_e32 v210, v4, v37
	v_xor_b32_e32 v208, v0, v35
	v_ashrrev_i32_e32 v0, 31, v49
	v_xor_b32_e32 v197, v1, v34
	v_ashrrev_i32_e32 v4, 31, v51
	v_cndmask_b32_e64 v5, -1, 0x80000000, vcc_lo
	v_cmp_lt_i64_e32 vcc_lo, -1, v[37:38]
	v_xor_b32_e32 v226, v0, v48
	v_ashrrev_i32_e32 v0, 31, v53
	v_xor_b32_e32 v214, v4, v50
	v_xor_b32_e32 v195, v5, v32
	v_ashrrev_i32_e32 v4, 31, v55
	v_cndmask_b32_e64 v1, -1, 0x80000000, vcc_lo
	v_cmp_lt_i64_e32 vcc_lo, -1, v[35:36]
	v_xor_b32_e32 v246, v0, v52
	v_ashrrev_i32_e32 v8, 31, v69
	v_xor_b32_e32 v242, v4, v54
	v_xor_b32_e32 v211, v1, v38
	v_ashrrev_i32_e32 v4, 31, v65
	v_cndmask_b32_e64 v5, -1, 0x80000000, vcc_lo
	v_cmp_lt_i64_e32 vcc_lo, -1, v[50:51]
	v_and_b32_e32 v28, 0x3e0, v26
	v_xor_b32_e32 v43, v8, v68
	v_xor_b32_e32 v41, v4, v64
	;; [unrolled: 1-line block ×3, first 2 shown]
	v_and_b32_e32 v27, 15, v96
	v_cndmask_b32_e64 v1, -1, 0x80000000, vcc_lo
	v_cmp_lt_i64_e32 vcc_lo, -1, v[48:49]
	v_cmp_lt_u32_e64 s6, 31, v26
	v_cmp_eq_u32_e64 s10, 0, v26
	v_cmp_lt_u32_e64 s0, 1, v27
	v_xor_b32_e32 v215, v1, v51
	v_cmp_lt_u32_e64 s1, 3, v27
	v_cndmask_b32_e64 v5, -1, 0x80000000, vcc_lo
	v_cmp_lt_i64_e32 vcc_lo, -1, v[54:55]
	v_cmp_lt_u32_e64 s2, 7, v27
	v_sub_nc_u32_e32 v127, v11, v10
	s_mov_b32 s20, 0
	v_xor_b32_e32 v227, v5, v49
	s_mov_b32 s24, -1
	v_cndmask_b32_e64 v1, -1, 0x80000000, vcc_lo
	v_cmp_lt_i64_e32 vcc_lo, -1, v[52:53]
	s_brev_b32 s25, -2
	s_mov_b32 s21, s20
	s_mov_b32 s22, s20
	v_xor_b32_e32 v243, v1, v55
	s_mov_b32 s23, s20
	v_cndmask_b32_e64 v5, -1, 0x80000000, vcc_lo
	v_cmp_lt_i64_e32 vcc_lo, -1, v[64:65]
	s_mov_b32 s28, s20
	s_waitcnt lgkmcnt(0)
	s_waitcnt_vscnt null, 0x0
	s_barrier
	v_xor_b32_e32 v247, v5, v53
	buffer_gl0_inv
	v_cndmask_b32_e64 v1, -1, 0x80000000, vcc_lo
	v_cmp_lt_i64_e32 vcc_lo, -1, v[68:69]
	s_delay_alu instid0(VALU_DEP_2) | instskip(SKIP_3) | instid1(VALU_DEP_3)
	v_xor_b32_e32 v42, v1, v65
	v_ashrrev_i32_e32 v1, 31, v67
	v_cndmask_b32_e64 v5, -1, 0x80000000, vcc_lo
	v_cmp_lt_i64_e32 vcc_lo, -1, v[66:67]
	v_xor_b32_e32 v56, v1, v66
	s_delay_alu instid0(VALU_DEP_3) | instskip(SKIP_4) | instid1(VALU_DEP_4)
	v_xor_b32_e32 v44, v5, v69
	v_ashrrev_i32_e32 v5, 31, v71
	v_cndmask_b32_e64 v0, -1, 0x80000000, vcc_lo
	v_cmp_lt_i64_e32 vcc_lo, -1, v[70:71]
	v_mov_b32_e32 v1, 0
	v_xor_b32_e32 v58, v5, v70
	s_delay_alu instid0(VALU_DEP_4) | instskip(SKIP_4) | instid1(VALU_DEP_3)
	v_xor_b32_e32 v57, v0, v67
	v_lshlrev_b32_e32 v0, 5, v26
	v_cndmask_b32_e64 v4, -1, 0x80000000, vcc_lo
	v_add_co_u32 v25, vcc_lo, v12, 32
	v_add_co_ci_u32_e32 v124, vcc_lo, 0, v13, vcc_lo
	v_xor_b32_e32 v59, v4, v71
	v_add_co_u32 v4, vcc_lo, v12, v0
	v_add_co_ci_u32_e32 v5, vcc_lo, 0, v13, vcc_lo
	v_add_co_u32 v8, vcc_lo, v25, v0
	v_min_u32_e32 v0, 0xe0, v28
	v_add_co_ci_u32_e32 v9, vcc_lo, 0, v124, vcc_lo
	v_cmp_eq_u32_e32 vcc_lo, 0, v27
	v_and_b32_e32 v28, 16, v96
	s_delay_alu instid0(VALU_DEP_4) | instskip(SKIP_1) | instid1(VALU_DEP_3)
	v_or_b32_e32 v0, 31, v0
	v_lshrrev_b32_e32 v27, 5, v26
	v_cmp_eq_u32_e64 s3, 0, v28
	v_cndmask_b32_e64 v28, v29, v96, s4
	s_delay_alu instid0(VALU_DEP_4) | instskip(NEXT) | instid1(VALU_DEP_4)
	v_cmp_eq_u32_e64 s4, v0, v26
	v_lshlrev_b32_e32 v0, 2, v27
	v_and_b32_e32 v29, 7, v96
	s_delay_alu instid0(VALU_DEP_4) | instskip(SKIP_1) | instid1(VALU_DEP_4)
	v_lshlrev_b32_e32 v126, 2, v28
	v_lshlrev_b32_e32 v28, 2, v26
	v_add_co_u32 v33, s11, v12, v0
	v_add_nc_u32_e32 v0, -1, v27
	v_lshlrev_b32_e32 v27, 4, v26
	v_add_co_ci_u32_e64 v34, s11, 0, v13, s11
	v_add_co_u32 v86, s11, v12, v28
	s_delay_alu instid0(VALU_DEP_3) | instskip(SKIP_3) | instid1(VALU_DEP_4)
	v_and_or_b32 v30, 0x3e00, v27, v96
	v_lshlrev_b64 v[27:28], 2, v[0:1]
	v_add_co_ci_u32_e64 v87, s11, 0, v13, s11
	v_cmp_eq_u32_e64 s11, 0, v29
	v_lshlrev_b32_e32 v0, 3, v30
	v_cmp_lt_u32_e64 s14, 1, v29
	v_add_co_u32 v96, s16, v12, v27
	s_delay_alu instid0(VALU_DEP_1) | instskip(NEXT) | instid1(VALU_DEP_4)
	v_add_co_ci_u32_e64 v97, s16, v13, v28, s16
	v_add_co_u32 v98, s16, v12, v0
	v_cmp_lt_u32_e64 s15, 3, v29
	v_add_co_ci_u32_e64 v99, s16, 0, v13, s16
	s_branch .LBB1228_53
.LBB1228_52:                            ;   in Loop: Header=BB1228_53 Depth=1
	s_or_b32 exec_lo, exec_lo, s17
	s_delay_alu instid0(SALU_CYCLE_1) | instskip(NEXT) | instid1(SALU_CYCLE_1)
	s_and_b32 s16, exec_lo, s18
	s_or_b32 s28, s16, s28
	s_delay_alu instid0(SALU_CYCLE_1)
	s_and_not1_b32 exec_lo, exec_lo, s28
	s_cbranch_execz .LBB1228_93
.LBB1228_53:                            ; =>This Inner Loop Header: Depth=1
	v_dual_mov_b32 v101, v46 :: v_dual_mov_b32 v100, v45
	v_min_u32_e32 v0, s19, v127
	v_dual_mov_b32 v32, v15 :: v_dual_mov_b32 v31, v14
	v_dual_mov_b32 v36, v17 :: v_dual_mov_b32 v35, v16
	s_delay_alu instid0(VALU_DEP_4) | instskip(NEXT) | instid1(VALU_DEP_4)
	v_cmp_ne_u64_e64 s16, s[24:25], v[100:101]
	v_lshlrev_b32_e64 v0, v0, -1
	v_mov_b32_e32 v84, v224
	v_dual_mov_b32 v30, v19 :: v_dual_mov_b32 v29, v18
	v_dual_mov_b32 v49, v21 :: v_dual_mov_b32 v48, v20
	v_cndmask_b32_e64 v15, 0x80000000, v101, s16
	v_cndmask_b32_e64 v14, 0, v100, s16
	v_dual_mov_b32 v81, v40 :: v_dual_mov_b32 v80, v39
	v_dual_mov_b32 v27, v164 :: v_dual_mov_b32 v28, v165
	s_delay_alu instid0(VALU_DEP_3) | instskip(SKIP_3) | instid1(VALU_DEP_3)
	v_lshrrev_b64 v[15:16], v10, v[14:15]
	v_not_b32_e32 v14, v0
	v_dual_mov_b32 v85, v225 :: v_dual_mov_b32 v82, v240
	v_mov_b32_e32 v147, v42
	v_dual_mov_b32 v145, v44 :: v_dual_and_b32 v0, v15, v14
	v_mov_b32_e32 v102, v228
	v_dual_mov_b32 v116, v196 :: v_dual_mov_b32 v117, v197
	v_mov_b32_e32 v161, v57
	s_delay_alu instid0(VALU_DEP_4)
	v_and_b32_e32 v15, 1, v0
	v_lshlrev_b32_e32 v16, 30, v0
	v_lshlrev_b32_e32 v19, 28, v0
	;; [unrolled: 1-line block ×4, first 2 shown]
	v_add_co_u32 v15, s16, v15, -1
	s_delay_alu instid0(VALU_DEP_1)
	v_cndmask_b32_e64 v17, 0, 1, s16
	v_not_b32_e32 v21, v16
	v_mov_b32_e32 v118, v194
	v_cmp_gt_i32_e64 s17, 0, v16
	v_mov_b32_e32 v119, v195
	v_cmp_ne_u32_e64 s16, 0, v17
	v_lshlrev_b32_e32 v17, 26, v0
	v_not_b32_e32 v16, v18
	v_ashrrev_i32_e32 v21, 31, v21
	v_mov_b32_e32 v163, v59
	v_xor_b32_e32 v15, s16, v15
	v_cmp_gt_i32_e64 s16, 0, v18
	v_not_b32_e32 v18, v19
	v_ashrrev_i32_e32 v16, 31, v16
	v_xor_b32_e32 v21, s17, v21
	v_dual_mov_b32 v128, v210 :: v_dual_and_b32 v15, exec_lo, v15
	v_cmp_gt_i32_e64 s17, 0, v19
	v_ashrrev_i32_e32 v18, 31, v18
	v_xor_b32_e32 v16, s16, v16
	s_delay_alu instid0(VALU_DEP_4)
	v_dual_mov_b32 v134, v208 :: v_dual_and_b32 v15, v15, v21
	v_mov_b32_e32 v129, v211
	v_not_b32_e32 v19, v20
	v_cmp_gt_i32_e64 s16, 0, v20
	v_not_b32_e32 v20, v17
	v_xor_b32_e32 v18, s17, v18
	v_dual_mov_b32 v132, v214 :: v_dual_and_b32 v15, v15, v16
	v_ashrrev_i32_e32 v19, 31, v19
	v_dual_mov_b32 v135, v209 :: v_dual_lshlrev_b32 v16, 25, v0
	v_cmp_gt_i32_e64 s17, 0, v17
	v_ashrrev_i32_e32 v17, 31, v20
	s_delay_alu instid0(VALU_DEP_4) | instskip(SKIP_4) | instid1(VALU_DEP_4)
	v_xor_b32_e32 v19, s16, v19
	v_dual_mov_b32 v130, v226 :: v_dual_and_b32 v15, v15, v18
	v_not_b32_e32 v18, v16
	v_dual_mov_b32 v133, v215 :: v_dual_lshlrev_b32 v20, 24, v0
	v_xor_b32_e32 v17, s17, v17
	v_dual_mov_b32 v150, v242 :: v_dual_and_b32 v15, v15, v19
	v_cmp_gt_i32_e64 s16, 0, v16
	v_ashrrev_i32_e32 v16, 31, v18
	v_not_b32_e32 v18, v20
	s_delay_alu instid0(VALU_DEP_4) | instskip(SKIP_1) | instid1(VALU_DEP_4)
	v_dual_mov_b32 v148, v246 :: v_dual_and_b32 v15, v15, v17
	v_mov_b32_e32 v151, v243
	v_xor_b32_e32 v16, s16, v16
	v_cmp_gt_i32_e64 s16, 0, v20
	v_ashrrev_i32_e32 v17, 31, v18
	v_lshl_add_u32 v0, v0, 3, v125
	v_dual_mov_b32 v37, v166 :: v_dual_mov_b32 v38, v167
	v_and_b32_e32 v15, v15, v16
	s_delay_alu instid0(VALU_DEP_4) | instskip(SKIP_2) | instid1(VALU_DEP_3)
	v_xor_b32_e32 v16, s16, v17
	v_dual_mov_b32 v54, v176 :: v_dual_mov_b32 v55, v177
	v_dual_mov_b32 v52, v178 :: v_dual_mov_b32 v53, v179
	v_dual_mov_b32 v16, s20 :: v_dual_and_b32 v15, v15, v16
	v_dual_mov_b32 v17, s21 :: v_dual_mov_b32 v18, s22
	v_mov_b32_e32 v19, s23
	s_clause 0x1
	flat_store_b128 v[4:5], v[16:19] offset:32
	flat_store_b128 v[8:9], v[16:19] offset:16
	v_lshlrev_b64 v[16:17], 2, v[0:1]
	v_mbcnt_lo_u32_b32 v39, v15, 0
	v_cmp_ne_u32_e64 s17, 0, v15
	v_dual_mov_b32 v50, v180 :: v_dual_mov_b32 v51, v181
	v_dual_mov_b32 v70, v182 :: v_dual_mov_b32 v71, v183
	s_delay_alu instid0(VALU_DEP_4)
	v_cmp_eq_u32_e64 s16, 0, v39
	v_add_co_u32 v164, s18, v25, v16
	v_dual_mov_b32 v68, v192 :: v_dual_mov_b32 v69, v193
	v_dual_mov_b32 v66, v198 :: v_dual_mov_b32 v67, v199
	;; [unrolled: 1-line block ×3, first 2 shown]
	v_mov_b32_e32 v83, v241
	v_dual_mov_b32 v103, v229 :: v_dual_mov_b32 v114, v230
	v_dual_mov_b32 v115, v231 :: v_dual_mov_b32 v112, v244
	v_mov_b32_e32 v113, v245
	v_dual_mov_b32 v131, v227 :: v_dual_mov_b32 v146, v41
	v_dual_mov_b32 v149, v247 :: v_dual_mov_b32 v160, v56
	v_mov_b32_e32 v144, v43
	v_mov_b32_e32 v162, v58
	v_add_co_ci_u32_e64 v165, s18, v124, v17, s18
	s_and_b32 s17, s17, s16
	s_waitcnt lgkmcnt(0)
	s_waitcnt_vscnt null, 0x0
	s_barrier
	buffer_gl0_inv
	; wave barrier
	s_and_saveexec_b32 s16, s17
	s_cbranch_execz .LBB1228_55
; %bb.54:                               ;   in Loop: Header=BB1228_53 Depth=1
	v_bcnt_u32_b32 v0, v15, 0
	flat_store_b32 v[164:165], v0
.LBB1228_55:                            ;   in Loop: Header=BB1228_53 Depth=1
	s_or_b32 exec_lo, exec_lo, s16
	v_cmp_ne_u64_e64 s16, s[24:25], v[102:103]
	; wave barrier
	s_delay_alu instid0(VALU_DEP_1) | instskip(SKIP_1) | instid1(VALU_DEP_1)
	v_cndmask_b32_e64 v16, 0x80000000, v103, s16
	v_cndmask_b32_e64 v15, 0, v102, s16
	v_lshrrev_b64 v[15:16], v10, v[15:16]
	s_delay_alu instid0(VALU_DEP_1) | instskip(NEXT) | instid1(VALU_DEP_1)
	v_and_b32_e32 v17, v15, v14
	v_lshl_add_u32 v0, v17, 3, v125
	v_lshlrev_b32_e32 v18, 29, v17
	v_lshlrev_b32_e32 v19, 28, v17
	s_delay_alu instid0(VALU_DEP_3) | instskip(SKIP_1) | instid1(VALU_DEP_2)
	v_lshlrev_b64 v[15:16], 2, v[0:1]
	v_and_b32_e32 v0, 1, v17
	v_add_co_u32 v166, s16, v25, v15
	s_delay_alu instid0(VALU_DEP_1) | instskip(NEXT) | instid1(VALU_DEP_3)
	v_add_co_ci_u32_e64 v167, s16, v124, v16, s16
	v_add_co_u32 v0, s16, v0, -1
	s_delay_alu instid0(VALU_DEP_1) | instskip(SKIP_3) | instid1(VALU_DEP_2)
	v_cndmask_b32_e64 v15, 0, 1, s16
	flat_load_b32 v228, v[166:167]
	v_lshlrev_b32_e32 v16, 30, v17
	; wave barrier
	v_cmp_ne_u32_e64 s16, 0, v15
	v_not_b32_e32 v15, v16
	s_delay_alu instid0(VALU_DEP_2) | instskip(SKIP_1) | instid1(VALU_DEP_3)
	v_xor_b32_e32 v0, s16, v0
	v_cmp_gt_i32_e64 s16, 0, v16
	v_ashrrev_i32_e32 v15, 31, v15
	v_not_b32_e32 v16, v18
	s_delay_alu instid0(VALU_DEP_4) | instskip(NEXT) | instid1(VALU_DEP_3)
	v_and_b32_e32 v0, exec_lo, v0
	v_xor_b32_e32 v15, s16, v15
	v_cmp_gt_i32_e64 s16, 0, v18
	s_delay_alu instid0(VALU_DEP_4) | instskip(SKIP_1) | instid1(VALU_DEP_4)
	v_ashrrev_i32_e32 v16, 31, v16
	v_not_b32_e32 v18, v19
	v_and_b32_e32 v0, v0, v15
	v_lshlrev_b32_e32 v15, 27, v17
	s_delay_alu instid0(VALU_DEP_4) | instskip(SKIP_2) | instid1(VALU_DEP_4)
	v_xor_b32_e32 v16, s16, v16
	v_cmp_gt_i32_e64 s16, 0, v19
	v_ashrrev_i32_e32 v18, 31, v18
	v_not_b32_e32 v19, v15
	s_delay_alu instid0(VALU_DEP_4) | instskip(SKIP_1) | instid1(VALU_DEP_4)
	v_and_b32_e32 v0, v0, v16
	v_lshlrev_b32_e32 v16, 26, v17
	v_xor_b32_e32 v18, s16, v18
	v_cmp_gt_i32_e64 s16, 0, v15
	v_ashrrev_i32_e32 v15, 31, v19
	s_delay_alu instid0(VALU_DEP_4) | instskip(NEXT) | instid1(VALU_DEP_4)
	v_not_b32_e32 v19, v16
	v_and_b32_e32 v0, v0, v18
	v_lshlrev_b32_e32 v18, 25, v17
	s_delay_alu instid0(VALU_DEP_4) | instskip(SKIP_2) | instid1(VALU_DEP_4)
	v_xor_b32_e32 v15, s16, v15
	v_cmp_gt_i32_e64 s16, 0, v16
	v_ashrrev_i32_e32 v16, 31, v19
	v_not_b32_e32 v19, v18
	s_delay_alu instid0(VALU_DEP_4) | instskip(SKIP_1) | instid1(VALU_DEP_4)
	v_and_b32_e32 v0, v0, v15
	v_lshlrev_b32_e32 v15, 24, v17
	v_xor_b32_e32 v16, s16, v16
	v_cmp_gt_i32_e64 s16, 0, v18
	v_ashrrev_i32_e32 v17, 31, v19
	s_delay_alu instid0(VALU_DEP_4) | instskip(NEXT) | instid1(VALU_DEP_4)
	v_not_b32_e32 v18, v15
	v_and_b32_e32 v0, v0, v16
	s_delay_alu instid0(VALU_DEP_3) | instskip(SKIP_1) | instid1(VALU_DEP_4)
	v_xor_b32_e32 v16, s16, v17
	v_cmp_gt_i32_e64 s16, 0, v15
	v_ashrrev_i32_e32 v15, 31, v18
	s_delay_alu instid0(VALU_DEP_3) | instskip(NEXT) | instid1(VALU_DEP_2)
	v_and_b32_e32 v0, v0, v16
	v_xor_b32_e32 v15, s16, v15
	s_delay_alu instid0(VALU_DEP_1) | instskip(NEXT) | instid1(VALU_DEP_1)
	v_and_b32_e32 v0, v0, v15
	v_mbcnt_lo_u32_b32 v229, v0, 0
	v_cmp_ne_u32_e64 s17, 0, v0
	s_delay_alu instid0(VALU_DEP_2) | instskip(NEXT) | instid1(VALU_DEP_1)
	v_cmp_eq_u32_e64 s16, 0, v229
	s_and_b32 s17, s17, s16
	s_delay_alu instid0(SALU_CYCLE_1)
	s_and_saveexec_b32 s16, s17
	s_cbranch_execz .LBB1228_57
; %bb.56:                               ;   in Loop: Header=BB1228_53 Depth=1
	s_waitcnt vmcnt(0) lgkmcnt(0)
	v_bcnt_u32_b32 v0, v0, v228
	flat_store_b32 v[166:167], v0
.LBB1228_57:                            ;   in Loop: Header=BB1228_53 Depth=1
	s_or_b32 exec_lo, exec_lo, s16
	v_cmp_ne_u64_e64 s16, s[24:25], v[114:115]
	; wave barrier
	s_delay_alu instid0(VALU_DEP_1) | instskip(SKIP_1) | instid1(VALU_DEP_1)
	v_cndmask_b32_e64 v16, 0x80000000, v115, s16
	v_cndmask_b32_e64 v15, 0, v114, s16
	v_lshrrev_b64 v[15:16], v10, v[15:16]
	s_delay_alu instid0(VALU_DEP_1) | instskip(NEXT) | instid1(VALU_DEP_1)
	v_and_b32_e32 v17, v15, v14
	v_lshl_add_u32 v0, v17, 3, v125
	v_lshlrev_b32_e32 v18, 29, v17
	v_lshlrev_b32_e32 v19, 28, v17
	s_delay_alu instid0(VALU_DEP_3) | instskip(SKIP_1) | instid1(VALU_DEP_2)
	v_lshlrev_b64 v[15:16], 2, v[0:1]
	v_and_b32_e32 v0, 1, v17
	v_add_co_u32 v176, s16, v25, v15
	s_delay_alu instid0(VALU_DEP_1) | instskip(NEXT) | instid1(VALU_DEP_3)
	v_add_co_ci_u32_e64 v177, s16, v124, v16, s16
	v_add_co_u32 v0, s16, v0, -1
	s_delay_alu instid0(VALU_DEP_1) | instskip(SKIP_3) | instid1(VALU_DEP_2)
	v_cndmask_b32_e64 v15, 0, 1, s16
	flat_load_b32 v230, v[176:177]
	v_lshlrev_b32_e32 v16, 30, v17
	; wave barrier
	v_cmp_ne_u32_e64 s16, 0, v15
	v_not_b32_e32 v15, v16
	s_delay_alu instid0(VALU_DEP_2) | instskip(SKIP_1) | instid1(VALU_DEP_3)
	v_xor_b32_e32 v0, s16, v0
	v_cmp_gt_i32_e64 s16, 0, v16
	v_ashrrev_i32_e32 v15, 31, v15
	v_not_b32_e32 v16, v18
	s_delay_alu instid0(VALU_DEP_4) | instskip(NEXT) | instid1(VALU_DEP_3)
	v_and_b32_e32 v0, exec_lo, v0
	v_xor_b32_e32 v15, s16, v15
	v_cmp_gt_i32_e64 s16, 0, v18
	s_delay_alu instid0(VALU_DEP_4) | instskip(SKIP_1) | instid1(VALU_DEP_4)
	v_ashrrev_i32_e32 v16, 31, v16
	v_not_b32_e32 v18, v19
	v_and_b32_e32 v0, v0, v15
	v_lshlrev_b32_e32 v15, 27, v17
	s_delay_alu instid0(VALU_DEP_4) | instskip(SKIP_2) | instid1(VALU_DEP_4)
	v_xor_b32_e32 v16, s16, v16
	v_cmp_gt_i32_e64 s16, 0, v19
	v_ashrrev_i32_e32 v18, 31, v18
	v_not_b32_e32 v19, v15
	s_delay_alu instid0(VALU_DEP_4) | instskip(SKIP_1) | instid1(VALU_DEP_4)
	v_and_b32_e32 v0, v0, v16
	v_lshlrev_b32_e32 v16, 26, v17
	v_xor_b32_e32 v18, s16, v18
	v_cmp_gt_i32_e64 s16, 0, v15
	v_ashrrev_i32_e32 v15, 31, v19
	s_delay_alu instid0(VALU_DEP_4) | instskip(NEXT) | instid1(VALU_DEP_4)
	v_not_b32_e32 v19, v16
	v_and_b32_e32 v0, v0, v18
	v_lshlrev_b32_e32 v18, 25, v17
	s_delay_alu instid0(VALU_DEP_4) | instskip(SKIP_2) | instid1(VALU_DEP_4)
	v_xor_b32_e32 v15, s16, v15
	v_cmp_gt_i32_e64 s16, 0, v16
	v_ashrrev_i32_e32 v16, 31, v19
	v_not_b32_e32 v19, v18
	s_delay_alu instid0(VALU_DEP_4) | instskip(SKIP_1) | instid1(VALU_DEP_4)
	v_and_b32_e32 v0, v0, v15
	v_lshlrev_b32_e32 v15, 24, v17
	v_xor_b32_e32 v16, s16, v16
	v_cmp_gt_i32_e64 s16, 0, v18
	v_ashrrev_i32_e32 v17, 31, v19
	s_delay_alu instid0(VALU_DEP_4) | instskip(NEXT) | instid1(VALU_DEP_4)
	v_not_b32_e32 v18, v15
	v_and_b32_e32 v0, v0, v16
	s_delay_alu instid0(VALU_DEP_3) | instskip(SKIP_1) | instid1(VALU_DEP_4)
	v_xor_b32_e32 v16, s16, v17
	v_cmp_gt_i32_e64 s16, 0, v15
	v_ashrrev_i32_e32 v15, 31, v18
	s_delay_alu instid0(VALU_DEP_3) | instskip(NEXT) | instid1(VALU_DEP_2)
	v_and_b32_e32 v0, v0, v16
	v_xor_b32_e32 v15, s16, v15
	s_delay_alu instid0(VALU_DEP_1) | instskip(NEXT) | instid1(VALU_DEP_1)
	v_and_b32_e32 v0, v0, v15
	v_mbcnt_lo_u32_b32 v231, v0, 0
	v_cmp_ne_u32_e64 s17, 0, v0
	s_delay_alu instid0(VALU_DEP_2) | instskip(NEXT) | instid1(VALU_DEP_1)
	v_cmp_eq_u32_e64 s16, 0, v231
	s_and_b32 s17, s17, s16
	s_delay_alu instid0(SALU_CYCLE_1)
	s_and_saveexec_b32 s16, s17
	s_cbranch_execz .LBB1228_59
; %bb.58:                               ;   in Loop: Header=BB1228_53 Depth=1
	s_waitcnt vmcnt(0) lgkmcnt(0)
	v_bcnt_u32_b32 v0, v0, v230
	flat_store_b32 v[176:177], v0
.LBB1228_59:                            ;   in Loop: Header=BB1228_53 Depth=1
	s_or_b32 exec_lo, exec_lo, s16
	v_cmp_ne_u64_e64 s16, s[24:25], v[112:113]
	; wave barrier
	s_delay_alu instid0(VALU_DEP_1) | instskip(SKIP_1) | instid1(VALU_DEP_1)
	v_cndmask_b32_e64 v16, 0x80000000, v113, s16
	v_cndmask_b32_e64 v15, 0, v112, s16
	v_lshrrev_b64 v[15:16], v10, v[15:16]
	s_delay_alu instid0(VALU_DEP_1) | instskip(NEXT) | instid1(VALU_DEP_1)
	v_and_b32_e32 v17, v15, v14
	v_lshl_add_u32 v0, v17, 3, v125
	v_lshlrev_b32_e32 v18, 29, v17
	v_lshlrev_b32_e32 v19, 28, v17
	s_delay_alu instid0(VALU_DEP_3) | instskip(SKIP_1) | instid1(VALU_DEP_2)
	v_lshlrev_b64 v[15:16], 2, v[0:1]
	v_and_b32_e32 v0, 1, v17
	v_add_co_u32 v178, s16, v25, v15
	s_delay_alu instid0(VALU_DEP_1) | instskip(NEXT) | instid1(VALU_DEP_3)
	v_add_co_ci_u32_e64 v179, s16, v124, v16, s16
	v_add_co_u32 v0, s16, v0, -1
	s_delay_alu instid0(VALU_DEP_1) | instskip(SKIP_3) | instid1(VALU_DEP_2)
	v_cndmask_b32_e64 v15, 0, 1, s16
	flat_load_b32 v240, v[178:179]
	v_lshlrev_b32_e32 v16, 30, v17
	; wave barrier
	v_cmp_ne_u32_e64 s16, 0, v15
	v_not_b32_e32 v15, v16
	s_delay_alu instid0(VALU_DEP_2) | instskip(SKIP_1) | instid1(VALU_DEP_3)
	v_xor_b32_e32 v0, s16, v0
	v_cmp_gt_i32_e64 s16, 0, v16
	v_ashrrev_i32_e32 v15, 31, v15
	v_not_b32_e32 v16, v18
	s_delay_alu instid0(VALU_DEP_4) | instskip(NEXT) | instid1(VALU_DEP_3)
	v_and_b32_e32 v0, exec_lo, v0
	v_xor_b32_e32 v15, s16, v15
	v_cmp_gt_i32_e64 s16, 0, v18
	s_delay_alu instid0(VALU_DEP_4) | instskip(SKIP_1) | instid1(VALU_DEP_4)
	v_ashrrev_i32_e32 v16, 31, v16
	v_not_b32_e32 v18, v19
	v_and_b32_e32 v0, v0, v15
	v_lshlrev_b32_e32 v15, 27, v17
	s_delay_alu instid0(VALU_DEP_4) | instskip(SKIP_2) | instid1(VALU_DEP_4)
	v_xor_b32_e32 v16, s16, v16
	v_cmp_gt_i32_e64 s16, 0, v19
	v_ashrrev_i32_e32 v18, 31, v18
	v_not_b32_e32 v19, v15
	s_delay_alu instid0(VALU_DEP_4) | instskip(SKIP_1) | instid1(VALU_DEP_4)
	v_and_b32_e32 v0, v0, v16
	v_lshlrev_b32_e32 v16, 26, v17
	v_xor_b32_e32 v18, s16, v18
	v_cmp_gt_i32_e64 s16, 0, v15
	v_ashrrev_i32_e32 v15, 31, v19
	s_delay_alu instid0(VALU_DEP_4) | instskip(NEXT) | instid1(VALU_DEP_4)
	v_not_b32_e32 v19, v16
	v_and_b32_e32 v0, v0, v18
	v_lshlrev_b32_e32 v18, 25, v17
	s_delay_alu instid0(VALU_DEP_4) | instskip(SKIP_2) | instid1(VALU_DEP_4)
	v_xor_b32_e32 v15, s16, v15
	v_cmp_gt_i32_e64 s16, 0, v16
	v_ashrrev_i32_e32 v16, 31, v19
	v_not_b32_e32 v19, v18
	s_delay_alu instid0(VALU_DEP_4) | instskip(SKIP_1) | instid1(VALU_DEP_4)
	v_and_b32_e32 v0, v0, v15
	v_lshlrev_b32_e32 v15, 24, v17
	v_xor_b32_e32 v16, s16, v16
	v_cmp_gt_i32_e64 s16, 0, v18
	v_ashrrev_i32_e32 v17, 31, v19
	s_delay_alu instid0(VALU_DEP_4) | instskip(NEXT) | instid1(VALU_DEP_4)
	v_not_b32_e32 v18, v15
	v_and_b32_e32 v0, v0, v16
	s_delay_alu instid0(VALU_DEP_3) | instskip(SKIP_1) | instid1(VALU_DEP_4)
	v_xor_b32_e32 v16, s16, v17
	v_cmp_gt_i32_e64 s16, 0, v15
	v_ashrrev_i32_e32 v15, 31, v18
	s_delay_alu instid0(VALU_DEP_3) | instskip(NEXT) | instid1(VALU_DEP_2)
	v_and_b32_e32 v0, v0, v16
	v_xor_b32_e32 v15, s16, v15
	s_delay_alu instid0(VALU_DEP_1) | instskip(NEXT) | instid1(VALU_DEP_1)
	v_and_b32_e32 v0, v0, v15
	v_mbcnt_lo_u32_b32 v241, v0, 0
	v_cmp_ne_u32_e64 s17, 0, v0
	s_delay_alu instid0(VALU_DEP_2) | instskip(NEXT) | instid1(VALU_DEP_1)
	v_cmp_eq_u32_e64 s16, 0, v241
	s_and_b32 s17, s17, s16
	s_delay_alu instid0(SALU_CYCLE_1)
	s_and_saveexec_b32 s16, s17
	s_cbranch_execz .LBB1228_61
; %bb.60:                               ;   in Loop: Header=BB1228_53 Depth=1
	s_waitcnt vmcnt(0) lgkmcnt(0)
	v_bcnt_u32_b32 v0, v0, v240
	flat_store_b32 v[178:179], v0
.LBB1228_61:                            ;   in Loop: Header=BB1228_53 Depth=1
	s_or_b32 exec_lo, exec_lo, s16
	v_cmp_ne_u64_e64 s16, s[24:25], v[116:117]
	; wave barrier
	s_delay_alu instid0(VALU_DEP_1) | instskip(SKIP_1) | instid1(VALU_DEP_1)
	v_cndmask_b32_e64 v16, 0x80000000, v117, s16
	v_cndmask_b32_e64 v15, 0, v116, s16
	v_lshrrev_b64 v[15:16], v10, v[15:16]
	s_delay_alu instid0(VALU_DEP_1) | instskip(NEXT) | instid1(VALU_DEP_1)
	v_and_b32_e32 v17, v15, v14
	v_lshl_add_u32 v0, v17, 3, v125
	v_lshlrev_b32_e32 v18, 29, v17
	v_lshlrev_b32_e32 v19, 28, v17
	s_delay_alu instid0(VALU_DEP_3) | instskip(SKIP_1) | instid1(VALU_DEP_2)
	v_lshlrev_b64 v[15:16], 2, v[0:1]
	v_and_b32_e32 v0, 1, v17
	v_add_co_u32 v180, s16, v25, v15
	s_delay_alu instid0(VALU_DEP_1) | instskip(NEXT) | instid1(VALU_DEP_3)
	v_add_co_ci_u32_e64 v181, s16, v124, v16, s16
	v_add_co_u32 v0, s16, v0, -1
	s_delay_alu instid0(VALU_DEP_1) | instskip(SKIP_3) | instid1(VALU_DEP_2)
	v_cndmask_b32_e64 v15, 0, 1, s16
	flat_load_b32 v242, v[180:181]
	v_lshlrev_b32_e32 v16, 30, v17
	; wave barrier
	v_cmp_ne_u32_e64 s16, 0, v15
	v_not_b32_e32 v15, v16
	s_delay_alu instid0(VALU_DEP_2) | instskip(SKIP_1) | instid1(VALU_DEP_3)
	v_xor_b32_e32 v0, s16, v0
	v_cmp_gt_i32_e64 s16, 0, v16
	v_ashrrev_i32_e32 v15, 31, v15
	v_not_b32_e32 v16, v18
	s_delay_alu instid0(VALU_DEP_4) | instskip(NEXT) | instid1(VALU_DEP_3)
	v_and_b32_e32 v0, exec_lo, v0
	v_xor_b32_e32 v15, s16, v15
	v_cmp_gt_i32_e64 s16, 0, v18
	s_delay_alu instid0(VALU_DEP_4) | instskip(SKIP_1) | instid1(VALU_DEP_4)
	v_ashrrev_i32_e32 v16, 31, v16
	v_not_b32_e32 v18, v19
	v_and_b32_e32 v0, v0, v15
	v_lshlrev_b32_e32 v15, 27, v17
	s_delay_alu instid0(VALU_DEP_4) | instskip(SKIP_2) | instid1(VALU_DEP_4)
	v_xor_b32_e32 v16, s16, v16
	v_cmp_gt_i32_e64 s16, 0, v19
	v_ashrrev_i32_e32 v18, 31, v18
	v_not_b32_e32 v19, v15
	s_delay_alu instid0(VALU_DEP_4) | instskip(SKIP_1) | instid1(VALU_DEP_4)
	v_and_b32_e32 v0, v0, v16
	v_lshlrev_b32_e32 v16, 26, v17
	v_xor_b32_e32 v18, s16, v18
	v_cmp_gt_i32_e64 s16, 0, v15
	v_ashrrev_i32_e32 v15, 31, v19
	s_delay_alu instid0(VALU_DEP_4) | instskip(NEXT) | instid1(VALU_DEP_4)
	v_not_b32_e32 v19, v16
	v_and_b32_e32 v0, v0, v18
	v_lshlrev_b32_e32 v18, 25, v17
	s_delay_alu instid0(VALU_DEP_4) | instskip(SKIP_2) | instid1(VALU_DEP_4)
	v_xor_b32_e32 v15, s16, v15
	v_cmp_gt_i32_e64 s16, 0, v16
	v_ashrrev_i32_e32 v16, 31, v19
	v_not_b32_e32 v19, v18
	s_delay_alu instid0(VALU_DEP_4) | instskip(SKIP_1) | instid1(VALU_DEP_4)
	v_and_b32_e32 v0, v0, v15
	v_lshlrev_b32_e32 v15, 24, v17
	v_xor_b32_e32 v16, s16, v16
	v_cmp_gt_i32_e64 s16, 0, v18
	v_ashrrev_i32_e32 v17, 31, v19
	s_delay_alu instid0(VALU_DEP_4) | instskip(NEXT) | instid1(VALU_DEP_4)
	v_not_b32_e32 v18, v15
	v_and_b32_e32 v0, v0, v16
	s_delay_alu instid0(VALU_DEP_3) | instskip(SKIP_1) | instid1(VALU_DEP_4)
	v_xor_b32_e32 v16, s16, v17
	v_cmp_gt_i32_e64 s16, 0, v15
	v_ashrrev_i32_e32 v15, 31, v18
	s_delay_alu instid0(VALU_DEP_3) | instskip(NEXT) | instid1(VALU_DEP_2)
	v_and_b32_e32 v0, v0, v16
	v_xor_b32_e32 v15, s16, v15
	s_delay_alu instid0(VALU_DEP_1) | instskip(NEXT) | instid1(VALU_DEP_1)
	v_and_b32_e32 v0, v0, v15
	v_mbcnt_lo_u32_b32 v243, v0, 0
	v_cmp_ne_u32_e64 s17, 0, v0
	s_delay_alu instid0(VALU_DEP_2) | instskip(NEXT) | instid1(VALU_DEP_1)
	v_cmp_eq_u32_e64 s16, 0, v243
	s_and_b32 s17, s17, s16
	s_delay_alu instid0(SALU_CYCLE_1)
	s_and_saveexec_b32 s16, s17
	s_cbranch_execz .LBB1228_63
; %bb.62:                               ;   in Loop: Header=BB1228_53 Depth=1
	s_waitcnt vmcnt(0) lgkmcnt(0)
	v_bcnt_u32_b32 v0, v0, v242
	flat_store_b32 v[180:181], v0
.LBB1228_63:                            ;   in Loop: Header=BB1228_53 Depth=1
	s_or_b32 exec_lo, exec_lo, s16
	v_cmp_ne_u64_e64 s16, s[24:25], v[118:119]
	; wave barrier
	s_delay_alu instid0(VALU_DEP_1) | instskip(SKIP_1) | instid1(VALU_DEP_1)
	v_cndmask_b32_e64 v16, 0x80000000, v119, s16
	v_cndmask_b32_e64 v15, 0, v118, s16
	v_lshrrev_b64 v[15:16], v10, v[15:16]
	s_delay_alu instid0(VALU_DEP_1) | instskip(NEXT) | instid1(VALU_DEP_1)
	v_and_b32_e32 v17, v15, v14
	v_lshl_add_u32 v0, v17, 3, v125
	v_lshlrev_b32_e32 v18, 29, v17
	v_lshlrev_b32_e32 v19, 28, v17
	s_delay_alu instid0(VALU_DEP_3) | instskip(SKIP_1) | instid1(VALU_DEP_2)
	v_lshlrev_b64 v[15:16], 2, v[0:1]
	v_and_b32_e32 v0, 1, v17
	v_add_co_u32 v182, s16, v25, v15
	s_delay_alu instid0(VALU_DEP_1) | instskip(NEXT) | instid1(VALU_DEP_3)
	v_add_co_ci_u32_e64 v183, s16, v124, v16, s16
	v_add_co_u32 v0, s16, v0, -1
	s_delay_alu instid0(VALU_DEP_1) | instskip(SKIP_3) | instid1(VALU_DEP_2)
	v_cndmask_b32_e64 v15, 0, 1, s16
	flat_load_b32 v244, v[182:183]
	v_lshlrev_b32_e32 v16, 30, v17
	; wave barrier
	v_cmp_ne_u32_e64 s16, 0, v15
	v_not_b32_e32 v15, v16
	s_delay_alu instid0(VALU_DEP_2) | instskip(SKIP_1) | instid1(VALU_DEP_3)
	v_xor_b32_e32 v0, s16, v0
	v_cmp_gt_i32_e64 s16, 0, v16
	v_ashrrev_i32_e32 v15, 31, v15
	v_not_b32_e32 v16, v18
	s_delay_alu instid0(VALU_DEP_4) | instskip(NEXT) | instid1(VALU_DEP_3)
	v_and_b32_e32 v0, exec_lo, v0
	v_xor_b32_e32 v15, s16, v15
	v_cmp_gt_i32_e64 s16, 0, v18
	s_delay_alu instid0(VALU_DEP_4) | instskip(SKIP_1) | instid1(VALU_DEP_4)
	v_ashrrev_i32_e32 v16, 31, v16
	v_not_b32_e32 v18, v19
	v_and_b32_e32 v0, v0, v15
	v_lshlrev_b32_e32 v15, 27, v17
	s_delay_alu instid0(VALU_DEP_4) | instskip(SKIP_2) | instid1(VALU_DEP_4)
	v_xor_b32_e32 v16, s16, v16
	v_cmp_gt_i32_e64 s16, 0, v19
	v_ashrrev_i32_e32 v18, 31, v18
	v_not_b32_e32 v19, v15
	s_delay_alu instid0(VALU_DEP_4) | instskip(SKIP_1) | instid1(VALU_DEP_4)
	v_and_b32_e32 v0, v0, v16
	v_lshlrev_b32_e32 v16, 26, v17
	v_xor_b32_e32 v18, s16, v18
	v_cmp_gt_i32_e64 s16, 0, v15
	v_ashrrev_i32_e32 v15, 31, v19
	s_delay_alu instid0(VALU_DEP_4) | instskip(NEXT) | instid1(VALU_DEP_4)
	v_not_b32_e32 v19, v16
	v_and_b32_e32 v0, v0, v18
	v_lshlrev_b32_e32 v18, 25, v17
	s_delay_alu instid0(VALU_DEP_4) | instskip(SKIP_2) | instid1(VALU_DEP_4)
	v_xor_b32_e32 v15, s16, v15
	v_cmp_gt_i32_e64 s16, 0, v16
	v_ashrrev_i32_e32 v16, 31, v19
	v_not_b32_e32 v19, v18
	s_delay_alu instid0(VALU_DEP_4) | instskip(SKIP_1) | instid1(VALU_DEP_4)
	v_and_b32_e32 v0, v0, v15
	v_lshlrev_b32_e32 v15, 24, v17
	v_xor_b32_e32 v16, s16, v16
	v_cmp_gt_i32_e64 s16, 0, v18
	v_ashrrev_i32_e32 v17, 31, v19
	s_delay_alu instid0(VALU_DEP_4) | instskip(NEXT) | instid1(VALU_DEP_4)
	v_not_b32_e32 v18, v15
	v_and_b32_e32 v0, v0, v16
	s_delay_alu instid0(VALU_DEP_3) | instskip(SKIP_1) | instid1(VALU_DEP_4)
	v_xor_b32_e32 v16, s16, v17
	v_cmp_gt_i32_e64 s16, 0, v15
	v_ashrrev_i32_e32 v15, 31, v18
	s_delay_alu instid0(VALU_DEP_3) | instskip(NEXT) | instid1(VALU_DEP_2)
	v_and_b32_e32 v0, v0, v16
	v_xor_b32_e32 v15, s16, v15
	s_delay_alu instid0(VALU_DEP_1) | instskip(NEXT) | instid1(VALU_DEP_1)
	v_and_b32_e32 v0, v0, v15
	v_mbcnt_lo_u32_b32 v245, v0, 0
	v_cmp_ne_u32_e64 s17, 0, v0
	s_delay_alu instid0(VALU_DEP_2) | instskip(NEXT) | instid1(VALU_DEP_1)
	v_cmp_eq_u32_e64 s16, 0, v245
	s_and_b32 s17, s17, s16
	s_delay_alu instid0(SALU_CYCLE_1)
	s_and_saveexec_b32 s16, s17
	s_cbranch_execz .LBB1228_65
; %bb.64:                               ;   in Loop: Header=BB1228_53 Depth=1
	s_waitcnt vmcnt(0) lgkmcnt(0)
	v_bcnt_u32_b32 v0, v0, v244
	flat_store_b32 v[182:183], v0
.LBB1228_65:                            ;   in Loop: Header=BB1228_53 Depth=1
	s_or_b32 exec_lo, exec_lo, s16
	v_cmp_ne_u64_e64 s16, s[24:25], v[128:129]
	; wave barrier
	s_delay_alu instid0(VALU_DEP_1) | instskip(SKIP_1) | instid1(VALU_DEP_1)
	v_cndmask_b32_e64 v16, 0x80000000, v129, s16
	v_cndmask_b32_e64 v15, 0, v128, s16
	v_lshrrev_b64 v[15:16], v10, v[15:16]
	s_delay_alu instid0(VALU_DEP_1) | instskip(NEXT) | instid1(VALU_DEP_1)
	v_and_b32_e32 v17, v15, v14
	v_lshl_add_u32 v0, v17, 3, v125
	v_lshlrev_b32_e32 v18, 29, v17
	v_lshlrev_b32_e32 v19, 28, v17
	s_delay_alu instid0(VALU_DEP_3) | instskip(SKIP_1) | instid1(VALU_DEP_2)
	v_lshlrev_b64 v[15:16], 2, v[0:1]
	v_and_b32_e32 v0, 1, v17
	v_add_co_u32 v192, s16, v25, v15
	s_delay_alu instid0(VALU_DEP_1) | instskip(NEXT) | instid1(VALU_DEP_3)
	v_add_co_ci_u32_e64 v193, s16, v124, v16, s16
	v_add_co_u32 v0, s16, v0, -1
	s_delay_alu instid0(VALU_DEP_1) | instskip(SKIP_3) | instid1(VALU_DEP_2)
	v_cndmask_b32_e64 v15, 0, 1, s16
	flat_load_b32 v246, v[192:193]
	v_lshlrev_b32_e32 v16, 30, v17
	; wave barrier
	v_cmp_ne_u32_e64 s16, 0, v15
	v_not_b32_e32 v15, v16
	s_delay_alu instid0(VALU_DEP_2) | instskip(SKIP_1) | instid1(VALU_DEP_3)
	v_xor_b32_e32 v0, s16, v0
	v_cmp_gt_i32_e64 s16, 0, v16
	v_ashrrev_i32_e32 v15, 31, v15
	v_not_b32_e32 v16, v18
	s_delay_alu instid0(VALU_DEP_4) | instskip(NEXT) | instid1(VALU_DEP_3)
	v_and_b32_e32 v0, exec_lo, v0
	v_xor_b32_e32 v15, s16, v15
	v_cmp_gt_i32_e64 s16, 0, v18
	s_delay_alu instid0(VALU_DEP_4) | instskip(SKIP_1) | instid1(VALU_DEP_4)
	v_ashrrev_i32_e32 v16, 31, v16
	v_not_b32_e32 v18, v19
	v_and_b32_e32 v0, v0, v15
	v_lshlrev_b32_e32 v15, 27, v17
	s_delay_alu instid0(VALU_DEP_4) | instskip(SKIP_2) | instid1(VALU_DEP_4)
	v_xor_b32_e32 v16, s16, v16
	v_cmp_gt_i32_e64 s16, 0, v19
	v_ashrrev_i32_e32 v18, 31, v18
	v_not_b32_e32 v19, v15
	s_delay_alu instid0(VALU_DEP_4) | instskip(SKIP_1) | instid1(VALU_DEP_4)
	v_and_b32_e32 v0, v0, v16
	v_lshlrev_b32_e32 v16, 26, v17
	v_xor_b32_e32 v18, s16, v18
	v_cmp_gt_i32_e64 s16, 0, v15
	v_ashrrev_i32_e32 v15, 31, v19
	s_delay_alu instid0(VALU_DEP_4) | instskip(NEXT) | instid1(VALU_DEP_4)
	v_not_b32_e32 v19, v16
	v_and_b32_e32 v0, v0, v18
	v_lshlrev_b32_e32 v18, 25, v17
	s_delay_alu instid0(VALU_DEP_4) | instskip(SKIP_2) | instid1(VALU_DEP_4)
	v_xor_b32_e32 v15, s16, v15
	v_cmp_gt_i32_e64 s16, 0, v16
	v_ashrrev_i32_e32 v16, 31, v19
	v_not_b32_e32 v19, v18
	s_delay_alu instid0(VALU_DEP_4) | instskip(SKIP_1) | instid1(VALU_DEP_4)
	v_and_b32_e32 v0, v0, v15
	v_lshlrev_b32_e32 v15, 24, v17
	v_xor_b32_e32 v16, s16, v16
	v_cmp_gt_i32_e64 s16, 0, v18
	v_ashrrev_i32_e32 v17, 31, v19
	s_delay_alu instid0(VALU_DEP_4) | instskip(NEXT) | instid1(VALU_DEP_4)
	v_not_b32_e32 v18, v15
	v_and_b32_e32 v0, v0, v16
	s_delay_alu instid0(VALU_DEP_3) | instskip(SKIP_1) | instid1(VALU_DEP_4)
	v_xor_b32_e32 v16, s16, v17
	v_cmp_gt_i32_e64 s16, 0, v15
	v_ashrrev_i32_e32 v15, 31, v18
	s_delay_alu instid0(VALU_DEP_3) | instskip(NEXT) | instid1(VALU_DEP_2)
	v_and_b32_e32 v0, v0, v16
	v_xor_b32_e32 v15, s16, v15
	s_delay_alu instid0(VALU_DEP_1) | instskip(NEXT) | instid1(VALU_DEP_1)
	v_and_b32_e32 v0, v0, v15
	v_mbcnt_lo_u32_b32 v247, v0, 0
	v_cmp_ne_u32_e64 s17, 0, v0
	s_delay_alu instid0(VALU_DEP_2) | instskip(NEXT) | instid1(VALU_DEP_1)
	v_cmp_eq_u32_e64 s16, 0, v247
	s_and_b32 s17, s17, s16
	s_delay_alu instid0(SALU_CYCLE_1)
	s_and_saveexec_b32 s16, s17
	s_cbranch_execz .LBB1228_67
; %bb.66:                               ;   in Loop: Header=BB1228_53 Depth=1
	s_waitcnt vmcnt(0) lgkmcnt(0)
	v_bcnt_u32_b32 v0, v0, v246
	flat_store_b32 v[192:193], v0
.LBB1228_67:                            ;   in Loop: Header=BB1228_53 Depth=1
	s_or_b32 exec_lo, exec_lo, s16
	v_cmp_ne_u64_e64 s16, s[24:25], v[134:135]
	; wave barrier
	s_delay_alu instid0(VALU_DEP_1) | instskip(SKIP_1) | instid1(VALU_DEP_1)
	v_cndmask_b32_e64 v16, 0x80000000, v135, s16
	v_cndmask_b32_e64 v15, 0, v134, s16
	v_lshrrev_b64 v[15:16], v10, v[15:16]
	s_delay_alu instid0(VALU_DEP_1) | instskip(NEXT) | instid1(VALU_DEP_1)
	v_and_b32_e32 v17, v15, v14
	v_lshl_add_u32 v0, v17, 3, v125
	v_lshlrev_b32_e32 v18, 29, v17
	v_lshlrev_b32_e32 v19, 28, v17
	s_delay_alu instid0(VALU_DEP_3) | instskip(SKIP_1) | instid1(VALU_DEP_2)
	v_lshlrev_b64 v[15:16], 2, v[0:1]
	v_and_b32_e32 v0, 1, v17
	v_add_co_u32 v194, s16, v25, v15
	s_delay_alu instid0(VALU_DEP_1) | instskip(NEXT) | instid1(VALU_DEP_3)
	v_add_co_ci_u32_e64 v195, s16, v124, v16, s16
	v_add_co_u32 v0, s16, v0, -1
	s_delay_alu instid0(VALU_DEP_1) | instskip(SKIP_3) | instid1(VALU_DEP_2)
	v_cndmask_b32_e64 v15, 0, 1, s16
	flat_load_b32 v40, v[194:195]
	v_lshlrev_b32_e32 v16, 30, v17
	; wave barrier
	v_cmp_ne_u32_e64 s16, 0, v15
	v_not_b32_e32 v15, v16
	s_delay_alu instid0(VALU_DEP_2) | instskip(SKIP_1) | instid1(VALU_DEP_3)
	v_xor_b32_e32 v0, s16, v0
	v_cmp_gt_i32_e64 s16, 0, v16
	v_ashrrev_i32_e32 v15, 31, v15
	v_not_b32_e32 v16, v18
	s_delay_alu instid0(VALU_DEP_4) | instskip(NEXT) | instid1(VALU_DEP_3)
	v_and_b32_e32 v0, exec_lo, v0
	v_xor_b32_e32 v15, s16, v15
	v_cmp_gt_i32_e64 s16, 0, v18
	s_delay_alu instid0(VALU_DEP_4) | instskip(SKIP_1) | instid1(VALU_DEP_4)
	v_ashrrev_i32_e32 v16, 31, v16
	v_not_b32_e32 v18, v19
	v_and_b32_e32 v0, v0, v15
	v_lshlrev_b32_e32 v15, 27, v17
	s_delay_alu instid0(VALU_DEP_4) | instskip(SKIP_2) | instid1(VALU_DEP_4)
	v_xor_b32_e32 v16, s16, v16
	v_cmp_gt_i32_e64 s16, 0, v19
	v_ashrrev_i32_e32 v18, 31, v18
	v_not_b32_e32 v19, v15
	s_delay_alu instid0(VALU_DEP_4) | instskip(SKIP_1) | instid1(VALU_DEP_4)
	v_and_b32_e32 v0, v0, v16
	v_lshlrev_b32_e32 v16, 26, v17
	v_xor_b32_e32 v18, s16, v18
	v_cmp_gt_i32_e64 s16, 0, v15
	v_ashrrev_i32_e32 v15, 31, v19
	s_delay_alu instid0(VALU_DEP_4) | instskip(NEXT) | instid1(VALU_DEP_4)
	v_not_b32_e32 v19, v16
	v_and_b32_e32 v0, v0, v18
	v_lshlrev_b32_e32 v18, 25, v17
	s_delay_alu instid0(VALU_DEP_4) | instskip(SKIP_2) | instid1(VALU_DEP_4)
	v_xor_b32_e32 v15, s16, v15
	v_cmp_gt_i32_e64 s16, 0, v16
	v_ashrrev_i32_e32 v16, 31, v19
	v_not_b32_e32 v19, v18
	s_delay_alu instid0(VALU_DEP_4) | instskip(SKIP_1) | instid1(VALU_DEP_4)
	v_and_b32_e32 v0, v0, v15
	v_lshlrev_b32_e32 v15, 24, v17
	v_xor_b32_e32 v16, s16, v16
	v_cmp_gt_i32_e64 s16, 0, v18
	v_ashrrev_i32_e32 v17, 31, v19
	s_delay_alu instid0(VALU_DEP_4) | instskip(NEXT) | instid1(VALU_DEP_4)
	v_not_b32_e32 v18, v15
	v_and_b32_e32 v0, v0, v16
	s_delay_alu instid0(VALU_DEP_3) | instskip(SKIP_1) | instid1(VALU_DEP_4)
	v_xor_b32_e32 v16, s16, v17
	v_cmp_gt_i32_e64 s16, 0, v15
	v_ashrrev_i32_e32 v15, 31, v18
	s_delay_alu instid0(VALU_DEP_3) | instskip(NEXT) | instid1(VALU_DEP_2)
	v_and_b32_e32 v0, v0, v16
	v_xor_b32_e32 v15, s16, v15
	s_delay_alu instid0(VALU_DEP_1) | instskip(NEXT) | instid1(VALU_DEP_1)
	v_and_b32_e32 v0, v0, v15
	v_mbcnt_lo_u32_b32 v41, v0, 0
	v_cmp_ne_u32_e64 s17, 0, v0
	s_delay_alu instid0(VALU_DEP_2) | instskip(NEXT) | instid1(VALU_DEP_1)
	v_cmp_eq_u32_e64 s16, 0, v41
	s_and_b32 s17, s17, s16
	s_delay_alu instid0(SALU_CYCLE_1)
	s_and_saveexec_b32 s16, s17
	s_cbranch_execz .LBB1228_69
; %bb.68:                               ;   in Loop: Header=BB1228_53 Depth=1
	s_waitcnt vmcnt(0) lgkmcnt(0)
	v_bcnt_u32_b32 v0, v0, v40
	flat_store_b32 v[194:195], v0
.LBB1228_69:                            ;   in Loop: Header=BB1228_53 Depth=1
	s_or_b32 exec_lo, exec_lo, s16
	v_cmp_ne_u64_e64 s16, s[24:25], v[132:133]
	; wave barrier
	s_delay_alu instid0(VALU_DEP_1) | instskip(SKIP_1) | instid1(VALU_DEP_1)
	v_cndmask_b32_e64 v16, 0x80000000, v133, s16
	v_cndmask_b32_e64 v15, 0, v132, s16
	v_lshrrev_b64 v[15:16], v10, v[15:16]
	s_delay_alu instid0(VALU_DEP_1) | instskip(NEXT) | instid1(VALU_DEP_1)
	v_and_b32_e32 v17, v15, v14
	v_lshl_add_u32 v0, v17, 3, v125
	v_lshlrev_b32_e32 v18, 29, v17
	v_lshlrev_b32_e32 v19, 28, v17
	s_delay_alu instid0(VALU_DEP_3) | instskip(SKIP_1) | instid1(VALU_DEP_2)
	v_lshlrev_b64 v[15:16], 2, v[0:1]
	v_and_b32_e32 v0, 1, v17
	v_add_co_u32 v196, s16, v25, v15
	s_delay_alu instid0(VALU_DEP_1) | instskip(NEXT) | instid1(VALU_DEP_3)
	v_add_co_ci_u32_e64 v197, s16, v124, v16, s16
	v_add_co_u32 v0, s16, v0, -1
	s_delay_alu instid0(VALU_DEP_1) | instskip(SKIP_3) | instid1(VALU_DEP_2)
	v_cndmask_b32_e64 v15, 0, 1, s16
	flat_load_b32 v42, v[196:197]
	v_lshlrev_b32_e32 v16, 30, v17
	; wave barrier
	v_cmp_ne_u32_e64 s16, 0, v15
	v_not_b32_e32 v15, v16
	s_delay_alu instid0(VALU_DEP_2) | instskip(SKIP_1) | instid1(VALU_DEP_3)
	v_xor_b32_e32 v0, s16, v0
	v_cmp_gt_i32_e64 s16, 0, v16
	v_ashrrev_i32_e32 v15, 31, v15
	v_not_b32_e32 v16, v18
	s_delay_alu instid0(VALU_DEP_4) | instskip(NEXT) | instid1(VALU_DEP_3)
	v_and_b32_e32 v0, exec_lo, v0
	v_xor_b32_e32 v15, s16, v15
	v_cmp_gt_i32_e64 s16, 0, v18
	s_delay_alu instid0(VALU_DEP_4) | instskip(SKIP_1) | instid1(VALU_DEP_4)
	v_ashrrev_i32_e32 v16, 31, v16
	v_not_b32_e32 v18, v19
	v_and_b32_e32 v0, v0, v15
	v_lshlrev_b32_e32 v15, 27, v17
	s_delay_alu instid0(VALU_DEP_4) | instskip(SKIP_2) | instid1(VALU_DEP_4)
	v_xor_b32_e32 v16, s16, v16
	v_cmp_gt_i32_e64 s16, 0, v19
	v_ashrrev_i32_e32 v18, 31, v18
	v_not_b32_e32 v19, v15
	s_delay_alu instid0(VALU_DEP_4) | instskip(SKIP_1) | instid1(VALU_DEP_4)
	v_and_b32_e32 v0, v0, v16
	v_lshlrev_b32_e32 v16, 26, v17
	v_xor_b32_e32 v18, s16, v18
	v_cmp_gt_i32_e64 s16, 0, v15
	v_ashrrev_i32_e32 v15, 31, v19
	s_delay_alu instid0(VALU_DEP_4) | instskip(NEXT) | instid1(VALU_DEP_4)
	v_not_b32_e32 v19, v16
	v_and_b32_e32 v0, v0, v18
	v_lshlrev_b32_e32 v18, 25, v17
	s_delay_alu instid0(VALU_DEP_4) | instskip(SKIP_2) | instid1(VALU_DEP_4)
	v_xor_b32_e32 v15, s16, v15
	v_cmp_gt_i32_e64 s16, 0, v16
	v_ashrrev_i32_e32 v16, 31, v19
	v_not_b32_e32 v19, v18
	s_delay_alu instid0(VALU_DEP_4) | instskip(SKIP_1) | instid1(VALU_DEP_4)
	v_and_b32_e32 v0, v0, v15
	v_lshlrev_b32_e32 v15, 24, v17
	v_xor_b32_e32 v16, s16, v16
	v_cmp_gt_i32_e64 s16, 0, v18
	v_ashrrev_i32_e32 v17, 31, v19
	s_delay_alu instid0(VALU_DEP_4) | instskip(NEXT) | instid1(VALU_DEP_4)
	v_not_b32_e32 v18, v15
	v_and_b32_e32 v0, v0, v16
	s_delay_alu instid0(VALU_DEP_3) | instskip(SKIP_1) | instid1(VALU_DEP_4)
	v_xor_b32_e32 v16, s16, v17
	v_cmp_gt_i32_e64 s16, 0, v15
	v_ashrrev_i32_e32 v15, 31, v18
	s_delay_alu instid0(VALU_DEP_3) | instskip(NEXT) | instid1(VALU_DEP_2)
	v_and_b32_e32 v0, v0, v16
	v_xor_b32_e32 v15, s16, v15
	s_delay_alu instid0(VALU_DEP_1) | instskip(NEXT) | instid1(VALU_DEP_1)
	v_and_b32_e32 v0, v0, v15
	v_mbcnt_lo_u32_b32 v43, v0, 0
	v_cmp_ne_u32_e64 s17, 0, v0
	s_delay_alu instid0(VALU_DEP_2) | instskip(NEXT) | instid1(VALU_DEP_1)
	v_cmp_eq_u32_e64 s16, 0, v43
	s_and_b32 s17, s17, s16
	s_delay_alu instid0(SALU_CYCLE_1)
	s_and_saveexec_b32 s16, s17
	s_cbranch_execz .LBB1228_71
; %bb.70:                               ;   in Loop: Header=BB1228_53 Depth=1
	s_waitcnt vmcnt(0) lgkmcnt(0)
	v_bcnt_u32_b32 v0, v0, v42
	flat_store_b32 v[196:197], v0
.LBB1228_71:                            ;   in Loop: Header=BB1228_53 Depth=1
	s_or_b32 exec_lo, exec_lo, s16
	v_cmp_ne_u64_e64 s16, s[24:25], v[130:131]
	; wave barrier
	s_delay_alu instid0(VALU_DEP_1) | instskip(SKIP_1) | instid1(VALU_DEP_1)
	v_cndmask_b32_e64 v16, 0x80000000, v131, s16
	v_cndmask_b32_e64 v15, 0, v130, s16
	v_lshrrev_b64 v[15:16], v10, v[15:16]
	s_delay_alu instid0(VALU_DEP_1) | instskip(NEXT) | instid1(VALU_DEP_1)
	v_and_b32_e32 v17, v15, v14
	v_lshl_add_u32 v0, v17, 3, v125
	v_lshlrev_b32_e32 v18, 29, v17
	v_lshlrev_b32_e32 v19, 28, v17
	s_delay_alu instid0(VALU_DEP_3) | instskip(SKIP_1) | instid1(VALU_DEP_2)
	v_lshlrev_b64 v[15:16], 2, v[0:1]
	v_and_b32_e32 v0, 1, v17
	v_add_co_u32 v198, s16, v25, v15
	s_delay_alu instid0(VALU_DEP_1) | instskip(NEXT) | instid1(VALU_DEP_3)
	v_add_co_ci_u32_e64 v199, s16, v124, v16, s16
	v_add_co_u32 v0, s16, v0, -1
	s_delay_alu instid0(VALU_DEP_1) | instskip(SKIP_3) | instid1(VALU_DEP_2)
	v_cndmask_b32_e64 v15, 0, 1, s16
	flat_load_b32 v44, v[198:199]
	v_lshlrev_b32_e32 v16, 30, v17
	; wave barrier
	v_cmp_ne_u32_e64 s16, 0, v15
	v_not_b32_e32 v15, v16
	s_delay_alu instid0(VALU_DEP_2) | instskip(SKIP_1) | instid1(VALU_DEP_3)
	v_xor_b32_e32 v0, s16, v0
	v_cmp_gt_i32_e64 s16, 0, v16
	v_ashrrev_i32_e32 v15, 31, v15
	v_not_b32_e32 v16, v18
	s_delay_alu instid0(VALU_DEP_4) | instskip(NEXT) | instid1(VALU_DEP_3)
	v_and_b32_e32 v0, exec_lo, v0
	v_xor_b32_e32 v15, s16, v15
	v_cmp_gt_i32_e64 s16, 0, v18
	s_delay_alu instid0(VALU_DEP_4) | instskip(SKIP_1) | instid1(VALU_DEP_4)
	v_ashrrev_i32_e32 v16, 31, v16
	v_not_b32_e32 v18, v19
	v_and_b32_e32 v0, v0, v15
	v_lshlrev_b32_e32 v15, 27, v17
	s_delay_alu instid0(VALU_DEP_4) | instskip(SKIP_2) | instid1(VALU_DEP_4)
	v_xor_b32_e32 v16, s16, v16
	v_cmp_gt_i32_e64 s16, 0, v19
	v_ashrrev_i32_e32 v18, 31, v18
	v_not_b32_e32 v19, v15
	s_delay_alu instid0(VALU_DEP_4) | instskip(SKIP_1) | instid1(VALU_DEP_4)
	v_and_b32_e32 v0, v0, v16
	v_lshlrev_b32_e32 v16, 26, v17
	v_xor_b32_e32 v18, s16, v18
	v_cmp_gt_i32_e64 s16, 0, v15
	v_ashrrev_i32_e32 v15, 31, v19
	s_delay_alu instid0(VALU_DEP_4) | instskip(NEXT) | instid1(VALU_DEP_4)
	v_not_b32_e32 v19, v16
	v_and_b32_e32 v0, v0, v18
	v_lshlrev_b32_e32 v18, 25, v17
	s_delay_alu instid0(VALU_DEP_4) | instskip(SKIP_2) | instid1(VALU_DEP_4)
	v_xor_b32_e32 v15, s16, v15
	v_cmp_gt_i32_e64 s16, 0, v16
	v_ashrrev_i32_e32 v16, 31, v19
	v_not_b32_e32 v19, v18
	s_delay_alu instid0(VALU_DEP_4) | instskip(SKIP_1) | instid1(VALU_DEP_4)
	v_and_b32_e32 v0, v0, v15
	v_lshlrev_b32_e32 v15, 24, v17
	v_xor_b32_e32 v16, s16, v16
	v_cmp_gt_i32_e64 s16, 0, v18
	v_ashrrev_i32_e32 v17, 31, v19
	s_delay_alu instid0(VALU_DEP_4) | instskip(NEXT) | instid1(VALU_DEP_4)
	v_not_b32_e32 v18, v15
	v_and_b32_e32 v0, v0, v16
	s_delay_alu instid0(VALU_DEP_3) | instskip(SKIP_1) | instid1(VALU_DEP_4)
	v_xor_b32_e32 v16, s16, v17
	v_cmp_gt_i32_e64 s16, 0, v15
	v_ashrrev_i32_e32 v15, 31, v18
	s_delay_alu instid0(VALU_DEP_3) | instskip(NEXT) | instid1(VALU_DEP_2)
	v_and_b32_e32 v0, v0, v16
	v_xor_b32_e32 v15, s16, v15
	s_delay_alu instid0(VALU_DEP_1) | instskip(NEXT) | instid1(VALU_DEP_1)
	v_and_b32_e32 v0, v0, v15
	v_mbcnt_lo_u32_b32 v45, v0, 0
	v_cmp_ne_u32_e64 s17, 0, v0
	s_delay_alu instid0(VALU_DEP_2) | instskip(NEXT) | instid1(VALU_DEP_1)
	v_cmp_eq_u32_e64 s16, 0, v45
	s_and_b32 s17, s17, s16
	s_delay_alu instid0(SALU_CYCLE_1)
	s_and_saveexec_b32 s16, s17
	s_cbranch_execz .LBB1228_73
; %bb.72:                               ;   in Loop: Header=BB1228_53 Depth=1
	s_waitcnt vmcnt(0) lgkmcnt(0)
	v_bcnt_u32_b32 v0, v0, v44
	flat_store_b32 v[198:199], v0
.LBB1228_73:                            ;   in Loop: Header=BB1228_53 Depth=1
	s_or_b32 exec_lo, exec_lo, s16
	v_cmp_ne_u64_e64 s16, s[24:25], v[150:151]
	; wave barrier
	s_delay_alu instid0(VALU_DEP_1) | instskip(SKIP_1) | instid1(VALU_DEP_1)
	v_cndmask_b32_e64 v16, 0x80000000, v151, s16
	v_cndmask_b32_e64 v15, 0, v150, s16
	v_lshrrev_b64 v[15:16], v10, v[15:16]
	s_delay_alu instid0(VALU_DEP_1) | instskip(NEXT) | instid1(VALU_DEP_1)
	v_and_b32_e32 v17, v15, v14
	v_lshl_add_u32 v0, v17, 3, v125
	v_lshlrev_b32_e32 v18, 29, v17
	v_lshlrev_b32_e32 v19, 28, v17
	s_delay_alu instid0(VALU_DEP_3) | instskip(SKIP_1) | instid1(VALU_DEP_2)
	v_lshlrev_b64 v[15:16], 2, v[0:1]
	v_and_b32_e32 v0, 1, v17
	v_add_co_u32 v208, s16, v25, v15
	s_delay_alu instid0(VALU_DEP_1) | instskip(NEXT) | instid1(VALU_DEP_3)
	v_add_co_ci_u32_e64 v209, s16, v124, v16, s16
	v_add_co_u32 v0, s16, v0, -1
	s_delay_alu instid0(VALU_DEP_1) | instskip(SKIP_3) | instid1(VALU_DEP_2)
	v_cndmask_b32_e64 v15, 0, 1, s16
	flat_load_b32 v46, v[208:209]
	v_lshlrev_b32_e32 v16, 30, v17
	; wave barrier
	v_cmp_ne_u32_e64 s16, 0, v15
	v_not_b32_e32 v15, v16
	s_delay_alu instid0(VALU_DEP_2) | instskip(SKIP_1) | instid1(VALU_DEP_3)
	v_xor_b32_e32 v0, s16, v0
	v_cmp_gt_i32_e64 s16, 0, v16
	v_ashrrev_i32_e32 v15, 31, v15
	v_not_b32_e32 v16, v18
	s_delay_alu instid0(VALU_DEP_4) | instskip(NEXT) | instid1(VALU_DEP_3)
	v_and_b32_e32 v0, exec_lo, v0
	v_xor_b32_e32 v15, s16, v15
	v_cmp_gt_i32_e64 s16, 0, v18
	s_delay_alu instid0(VALU_DEP_4) | instskip(SKIP_1) | instid1(VALU_DEP_4)
	v_ashrrev_i32_e32 v16, 31, v16
	v_not_b32_e32 v18, v19
	v_and_b32_e32 v0, v0, v15
	v_lshlrev_b32_e32 v15, 27, v17
	s_delay_alu instid0(VALU_DEP_4) | instskip(SKIP_2) | instid1(VALU_DEP_4)
	v_xor_b32_e32 v16, s16, v16
	v_cmp_gt_i32_e64 s16, 0, v19
	v_ashrrev_i32_e32 v18, 31, v18
	v_not_b32_e32 v19, v15
	s_delay_alu instid0(VALU_DEP_4) | instskip(SKIP_1) | instid1(VALU_DEP_4)
	v_and_b32_e32 v0, v0, v16
	v_lshlrev_b32_e32 v16, 26, v17
	v_xor_b32_e32 v18, s16, v18
	v_cmp_gt_i32_e64 s16, 0, v15
	v_ashrrev_i32_e32 v15, 31, v19
	s_delay_alu instid0(VALU_DEP_4) | instskip(NEXT) | instid1(VALU_DEP_4)
	v_not_b32_e32 v19, v16
	v_and_b32_e32 v0, v0, v18
	v_lshlrev_b32_e32 v18, 25, v17
	s_delay_alu instid0(VALU_DEP_4) | instskip(SKIP_2) | instid1(VALU_DEP_4)
	v_xor_b32_e32 v15, s16, v15
	v_cmp_gt_i32_e64 s16, 0, v16
	v_ashrrev_i32_e32 v16, 31, v19
	v_not_b32_e32 v19, v18
	s_delay_alu instid0(VALU_DEP_4) | instskip(SKIP_1) | instid1(VALU_DEP_4)
	v_and_b32_e32 v0, v0, v15
	v_lshlrev_b32_e32 v15, 24, v17
	v_xor_b32_e32 v16, s16, v16
	v_cmp_gt_i32_e64 s16, 0, v18
	v_ashrrev_i32_e32 v17, 31, v19
	s_delay_alu instid0(VALU_DEP_4) | instskip(NEXT) | instid1(VALU_DEP_4)
	v_not_b32_e32 v18, v15
	v_and_b32_e32 v0, v0, v16
	s_delay_alu instid0(VALU_DEP_3) | instskip(SKIP_1) | instid1(VALU_DEP_4)
	v_xor_b32_e32 v16, s16, v17
	v_cmp_gt_i32_e64 s16, 0, v15
	v_ashrrev_i32_e32 v15, 31, v18
	s_delay_alu instid0(VALU_DEP_3) | instskip(NEXT) | instid1(VALU_DEP_2)
	v_and_b32_e32 v0, v0, v16
	v_xor_b32_e32 v15, s16, v15
	s_delay_alu instid0(VALU_DEP_1) | instskip(NEXT) | instid1(VALU_DEP_1)
	v_and_b32_e32 v0, v0, v15
	v_mbcnt_lo_u32_b32 v56, v0, 0
	v_cmp_ne_u32_e64 s17, 0, v0
	s_delay_alu instid0(VALU_DEP_2) | instskip(NEXT) | instid1(VALU_DEP_1)
	v_cmp_eq_u32_e64 s16, 0, v56
	s_and_b32 s17, s17, s16
	s_delay_alu instid0(SALU_CYCLE_1)
	s_and_saveexec_b32 s16, s17
	s_cbranch_execz .LBB1228_75
; %bb.74:                               ;   in Loop: Header=BB1228_53 Depth=1
	s_waitcnt vmcnt(0) lgkmcnt(0)
	v_bcnt_u32_b32 v0, v0, v46
	flat_store_b32 v[208:209], v0
.LBB1228_75:                            ;   in Loop: Header=BB1228_53 Depth=1
	s_or_b32 exec_lo, exec_lo, s16
	v_cmp_ne_u64_e64 s16, s[24:25], v[148:149]
	; wave barrier
	s_delay_alu instid0(VALU_DEP_1) | instskip(SKIP_1) | instid1(VALU_DEP_1)
	v_cndmask_b32_e64 v16, 0x80000000, v149, s16
	v_cndmask_b32_e64 v15, 0, v148, s16
	v_lshrrev_b64 v[15:16], v10, v[15:16]
	s_delay_alu instid0(VALU_DEP_1) | instskip(NEXT) | instid1(VALU_DEP_1)
	v_and_b32_e32 v17, v15, v14
	v_lshl_add_u32 v0, v17, 3, v125
	v_lshlrev_b32_e32 v18, 29, v17
	v_lshlrev_b32_e32 v19, 28, v17
	s_delay_alu instid0(VALU_DEP_3) | instskip(SKIP_1) | instid1(VALU_DEP_2)
	v_lshlrev_b64 v[15:16], 2, v[0:1]
	v_and_b32_e32 v0, 1, v17
	v_add_co_u32 v210, s16, v25, v15
	s_delay_alu instid0(VALU_DEP_1) | instskip(NEXT) | instid1(VALU_DEP_3)
	v_add_co_ci_u32_e64 v211, s16, v124, v16, s16
	v_add_co_u32 v0, s16, v0, -1
	s_delay_alu instid0(VALU_DEP_1) | instskip(SKIP_3) | instid1(VALU_DEP_2)
	v_cndmask_b32_e64 v15, 0, 1, s16
	flat_load_b32 v57, v[210:211]
	v_lshlrev_b32_e32 v16, 30, v17
	; wave barrier
	v_cmp_ne_u32_e64 s16, 0, v15
	v_not_b32_e32 v15, v16
	s_delay_alu instid0(VALU_DEP_2) | instskip(SKIP_1) | instid1(VALU_DEP_3)
	v_xor_b32_e32 v0, s16, v0
	v_cmp_gt_i32_e64 s16, 0, v16
	v_ashrrev_i32_e32 v15, 31, v15
	v_not_b32_e32 v16, v18
	s_delay_alu instid0(VALU_DEP_4) | instskip(NEXT) | instid1(VALU_DEP_3)
	v_and_b32_e32 v0, exec_lo, v0
	v_xor_b32_e32 v15, s16, v15
	v_cmp_gt_i32_e64 s16, 0, v18
	s_delay_alu instid0(VALU_DEP_4) | instskip(SKIP_1) | instid1(VALU_DEP_4)
	v_ashrrev_i32_e32 v16, 31, v16
	v_not_b32_e32 v18, v19
	v_and_b32_e32 v0, v0, v15
	v_lshlrev_b32_e32 v15, 27, v17
	s_delay_alu instid0(VALU_DEP_4) | instskip(SKIP_2) | instid1(VALU_DEP_4)
	v_xor_b32_e32 v16, s16, v16
	v_cmp_gt_i32_e64 s16, 0, v19
	v_ashrrev_i32_e32 v18, 31, v18
	v_not_b32_e32 v19, v15
	s_delay_alu instid0(VALU_DEP_4) | instskip(SKIP_1) | instid1(VALU_DEP_4)
	v_and_b32_e32 v0, v0, v16
	v_lshlrev_b32_e32 v16, 26, v17
	v_xor_b32_e32 v18, s16, v18
	v_cmp_gt_i32_e64 s16, 0, v15
	v_ashrrev_i32_e32 v15, 31, v19
	s_delay_alu instid0(VALU_DEP_4) | instskip(NEXT) | instid1(VALU_DEP_4)
	v_not_b32_e32 v19, v16
	v_and_b32_e32 v0, v0, v18
	v_lshlrev_b32_e32 v18, 25, v17
	s_delay_alu instid0(VALU_DEP_4) | instskip(SKIP_2) | instid1(VALU_DEP_4)
	v_xor_b32_e32 v15, s16, v15
	v_cmp_gt_i32_e64 s16, 0, v16
	v_ashrrev_i32_e32 v16, 31, v19
	v_not_b32_e32 v19, v18
	s_delay_alu instid0(VALU_DEP_4) | instskip(SKIP_1) | instid1(VALU_DEP_4)
	v_and_b32_e32 v0, v0, v15
	v_lshlrev_b32_e32 v15, 24, v17
	v_xor_b32_e32 v16, s16, v16
	v_cmp_gt_i32_e64 s16, 0, v18
	v_ashrrev_i32_e32 v17, 31, v19
	s_delay_alu instid0(VALU_DEP_4) | instskip(NEXT) | instid1(VALU_DEP_4)
	v_not_b32_e32 v18, v15
	v_and_b32_e32 v0, v0, v16
	s_delay_alu instid0(VALU_DEP_3) | instskip(SKIP_1) | instid1(VALU_DEP_4)
	v_xor_b32_e32 v16, s16, v17
	v_cmp_gt_i32_e64 s16, 0, v15
	v_ashrrev_i32_e32 v15, 31, v18
	s_delay_alu instid0(VALU_DEP_3) | instskip(NEXT) | instid1(VALU_DEP_2)
	v_and_b32_e32 v0, v0, v16
	v_xor_b32_e32 v15, s16, v15
	s_delay_alu instid0(VALU_DEP_1) | instskip(NEXT) | instid1(VALU_DEP_1)
	v_and_b32_e32 v0, v0, v15
	v_mbcnt_lo_u32_b32 v58, v0, 0
	v_cmp_ne_u32_e64 s17, 0, v0
	s_delay_alu instid0(VALU_DEP_2) | instskip(NEXT) | instid1(VALU_DEP_1)
	v_cmp_eq_u32_e64 s16, 0, v58
	s_and_b32 s17, s17, s16
	s_delay_alu instid0(SALU_CYCLE_1)
	s_and_saveexec_b32 s16, s17
	s_cbranch_execz .LBB1228_77
; %bb.76:                               ;   in Loop: Header=BB1228_53 Depth=1
	s_waitcnt vmcnt(0) lgkmcnt(0)
	v_bcnt_u32_b32 v0, v0, v57
	flat_store_b32 v[210:211], v0
.LBB1228_77:                            ;   in Loop: Header=BB1228_53 Depth=1
	s_or_b32 exec_lo, exec_lo, s16
	v_cmp_ne_u64_e64 s16, s[24:25], v[146:147]
	; wave barrier
	s_delay_alu instid0(VALU_DEP_1) | instskip(SKIP_1) | instid1(VALU_DEP_1)
	v_cndmask_b32_e64 v16, 0x80000000, v147, s16
	v_cndmask_b32_e64 v15, 0, v146, s16
	v_lshrrev_b64 v[15:16], v10, v[15:16]
	s_delay_alu instid0(VALU_DEP_1) | instskip(NEXT) | instid1(VALU_DEP_1)
	v_and_b32_e32 v17, v15, v14
	v_lshl_add_u32 v0, v17, 3, v125
	v_lshlrev_b32_e32 v18, 29, v17
	v_lshlrev_b32_e32 v19, 28, v17
	s_delay_alu instid0(VALU_DEP_3) | instskip(SKIP_1) | instid1(VALU_DEP_2)
	v_lshlrev_b64 v[15:16], 2, v[0:1]
	v_and_b32_e32 v0, 1, v17
	v_add_co_u32 v212, s16, v25, v15
	s_delay_alu instid0(VALU_DEP_1) | instskip(NEXT) | instid1(VALU_DEP_3)
	v_add_co_ci_u32_e64 v213, s16, v124, v16, s16
	v_add_co_u32 v0, s16, v0, -1
	s_delay_alu instid0(VALU_DEP_1) | instskip(SKIP_3) | instid1(VALU_DEP_2)
	v_cndmask_b32_e64 v15, 0, 1, s16
	flat_load_b32 v59, v[212:213]
	v_lshlrev_b32_e32 v16, 30, v17
	; wave barrier
	v_cmp_ne_u32_e64 s16, 0, v15
	v_not_b32_e32 v15, v16
	s_delay_alu instid0(VALU_DEP_2) | instskip(SKIP_1) | instid1(VALU_DEP_3)
	v_xor_b32_e32 v0, s16, v0
	v_cmp_gt_i32_e64 s16, 0, v16
	v_ashrrev_i32_e32 v15, 31, v15
	v_not_b32_e32 v16, v18
	s_delay_alu instid0(VALU_DEP_4) | instskip(NEXT) | instid1(VALU_DEP_3)
	v_and_b32_e32 v0, exec_lo, v0
	v_xor_b32_e32 v15, s16, v15
	v_cmp_gt_i32_e64 s16, 0, v18
	s_delay_alu instid0(VALU_DEP_4) | instskip(SKIP_1) | instid1(VALU_DEP_4)
	v_ashrrev_i32_e32 v16, 31, v16
	v_not_b32_e32 v18, v19
	v_and_b32_e32 v0, v0, v15
	v_lshlrev_b32_e32 v15, 27, v17
	s_delay_alu instid0(VALU_DEP_4) | instskip(SKIP_2) | instid1(VALU_DEP_4)
	v_xor_b32_e32 v16, s16, v16
	v_cmp_gt_i32_e64 s16, 0, v19
	v_ashrrev_i32_e32 v18, 31, v18
	v_not_b32_e32 v19, v15
	s_delay_alu instid0(VALU_DEP_4) | instskip(SKIP_1) | instid1(VALU_DEP_4)
	v_and_b32_e32 v0, v0, v16
	v_lshlrev_b32_e32 v16, 26, v17
	v_xor_b32_e32 v18, s16, v18
	v_cmp_gt_i32_e64 s16, 0, v15
	v_ashrrev_i32_e32 v15, 31, v19
	s_delay_alu instid0(VALU_DEP_4) | instskip(NEXT) | instid1(VALU_DEP_4)
	v_not_b32_e32 v19, v16
	v_and_b32_e32 v0, v0, v18
	v_lshlrev_b32_e32 v18, 25, v17
	s_delay_alu instid0(VALU_DEP_4) | instskip(SKIP_2) | instid1(VALU_DEP_4)
	v_xor_b32_e32 v15, s16, v15
	v_cmp_gt_i32_e64 s16, 0, v16
	v_ashrrev_i32_e32 v16, 31, v19
	v_not_b32_e32 v19, v18
	s_delay_alu instid0(VALU_DEP_4) | instskip(SKIP_1) | instid1(VALU_DEP_4)
	v_and_b32_e32 v0, v0, v15
	v_lshlrev_b32_e32 v15, 24, v17
	v_xor_b32_e32 v16, s16, v16
	v_cmp_gt_i32_e64 s16, 0, v18
	v_ashrrev_i32_e32 v17, 31, v19
	s_delay_alu instid0(VALU_DEP_4) | instskip(NEXT) | instid1(VALU_DEP_4)
	v_not_b32_e32 v18, v15
	v_and_b32_e32 v0, v0, v16
	s_delay_alu instid0(VALU_DEP_3) | instskip(SKIP_1) | instid1(VALU_DEP_4)
	v_xor_b32_e32 v16, s16, v17
	v_cmp_gt_i32_e64 s16, 0, v15
	v_ashrrev_i32_e32 v15, 31, v18
	s_delay_alu instid0(VALU_DEP_3) | instskip(NEXT) | instid1(VALU_DEP_2)
	v_and_b32_e32 v0, v0, v16
	v_xor_b32_e32 v15, s16, v15
	s_delay_alu instid0(VALU_DEP_1) | instskip(NEXT) | instid1(VALU_DEP_1)
	v_and_b32_e32 v0, v0, v15
	v_mbcnt_lo_u32_b32 v60, v0, 0
	v_cmp_ne_u32_e64 s17, 0, v0
	s_delay_alu instid0(VALU_DEP_2) | instskip(NEXT) | instid1(VALU_DEP_1)
	v_cmp_eq_u32_e64 s16, 0, v60
	s_and_b32 s17, s17, s16
	s_delay_alu instid0(SALU_CYCLE_1)
	s_and_saveexec_b32 s16, s17
	s_cbranch_execz .LBB1228_79
; %bb.78:                               ;   in Loop: Header=BB1228_53 Depth=1
	s_waitcnt vmcnt(0) lgkmcnt(0)
	v_bcnt_u32_b32 v0, v0, v59
	flat_store_b32 v[212:213], v0
.LBB1228_79:                            ;   in Loop: Header=BB1228_53 Depth=1
	s_or_b32 exec_lo, exec_lo, s16
	v_cmp_ne_u64_e64 s16, s[24:25], v[144:145]
	; wave barrier
	s_delay_alu instid0(VALU_DEP_1) | instskip(SKIP_1) | instid1(VALU_DEP_1)
	v_cndmask_b32_e64 v16, 0x80000000, v145, s16
	v_cndmask_b32_e64 v15, 0, v144, s16
	v_lshrrev_b64 v[15:16], v10, v[15:16]
	s_delay_alu instid0(VALU_DEP_1) | instskip(NEXT) | instid1(VALU_DEP_1)
	v_and_b32_e32 v17, v15, v14
	v_lshl_add_u32 v0, v17, 3, v125
	v_lshlrev_b32_e32 v18, 29, v17
	v_lshlrev_b32_e32 v19, 28, v17
	s_delay_alu instid0(VALU_DEP_3) | instskip(SKIP_1) | instid1(VALU_DEP_2)
	v_lshlrev_b64 v[15:16], 2, v[0:1]
	v_and_b32_e32 v0, 1, v17
	v_add_co_u32 v214, s16, v25, v15
	s_delay_alu instid0(VALU_DEP_1) | instskip(NEXT) | instid1(VALU_DEP_3)
	v_add_co_ci_u32_e64 v215, s16, v124, v16, s16
	v_add_co_u32 v0, s16, v0, -1
	s_delay_alu instid0(VALU_DEP_1) | instskip(SKIP_3) | instid1(VALU_DEP_2)
	v_cndmask_b32_e64 v15, 0, 1, s16
	flat_load_b32 v61, v[214:215]
	v_lshlrev_b32_e32 v16, 30, v17
	; wave barrier
	v_cmp_ne_u32_e64 s16, 0, v15
	v_not_b32_e32 v15, v16
	s_delay_alu instid0(VALU_DEP_2) | instskip(SKIP_1) | instid1(VALU_DEP_3)
	v_xor_b32_e32 v0, s16, v0
	v_cmp_gt_i32_e64 s16, 0, v16
	v_ashrrev_i32_e32 v15, 31, v15
	v_not_b32_e32 v16, v18
	s_delay_alu instid0(VALU_DEP_4) | instskip(NEXT) | instid1(VALU_DEP_3)
	v_and_b32_e32 v0, exec_lo, v0
	v_xor_b32_e32 v15, s16, v15
	v_cmp_gt_i32_e64 s16, 0, v18
	s_delay_alu instid0(VALU_DEP_4) | instskip(SKIP_1) | instid1(VALU_DEP_4)
	v_ashrrev_i32_e32 v16, 31, v16
	v_not_b32_e32 v18, v19
	v_and_b32_e32 v0, v0, v15
	v_lshlrev_b32_e32 v15, 27, v17
	s_delay_alu instid0(VALU_DEP_4) | instskip(SKIP_2) | instid1(VALU_DEP_4)
	v_xor_b32_e32 v16, s16, v16
	v_cmp_gt_i32_e64 s16, 0, v19
	v_ashrrev_i32_e32 v18, 31, v18
	v_not_b32_e32 v19, v15
	s_delay_alu instid0(VALU_DEP_4) | instskip(SKIP_1) | instid1(VALU_DEP_4)
	v_and_b32_e32 v0, v0, v16
	v_lshlrev_b32_e32 v16, 26, v17
	v_xor_b32_e32 v18, s16, v18
	v_cmp_gt_i32_e64 s16, 0, v15
	v_ashrrev_i32_e32 v15, 31, v19
	s_delay_alu instid0(VALU_DEP_4) | instskip(NEXT) | instid1(VALU_DEP_4)
	v_not_b32_e32 v19, v16
	v_and_b32_e32 v0, v0, v18
	v_lshlrev_b32_e32 v18, 25, v17
	s_delay_alu instid0(VALU_DEP_4) | instskip(SKIP_2) | instid1(VALU_DEP_4)
	v_xor_b32_e32 v15, s16, v15
	v_cmp_gt_i32_e64 s16, 0, v16
	v_ashrrev_i32_e32 v16, 31, v19
	v_not_b32_e32 v19, v18
	s_delay_alu instid0(VALU_DEP_4) | instskip(SKIP_1) | instid1(VALU_DEP_4)
	v_and_b32_e32 v0, v0, v15
	v_lshlrev_b32_e32 v15, 24, v17
	v_xor_b32_e32 v16, s16, v16
	v_cmp_gt_i32_e64 s16, 0, v18
	v_ashrrev_i32_e32 v17, 31, v19
	s_delay_alu instid0(VALU_DEP_4) | instskip(NEXT) | instid1(VALU_DEP_4)
	v_not_b32_e32 v18, v15
	v_and_b32_e32 v0, v0, v16
	s_delay_alu instid0(VALU_DEP_3) | instskip(SKIP_1) | instid1(VALU_DEP_4)
	v_xor_b32_e32 v16, s16, v17
	v_cmp_gt_i32_e64 s16, 0, v15
	v_ashrrev_i32_e32 v15, 31, v18
	s_delay_alu instid0(VALU_DEP_3) | instskip(NEXT) | instid1(VALU_DEP_2)
	v_and_b32_e32 v0, v0, v16
	v_xor_b32_e32 v15, s16, v15
	s_delay_alu instid0(VALU_DEP_1) | instskip(NEXT) | instid1(VALU_DEP_1)
	v_and_b32_e32 v0, v0, v15
	v_mbcnt_lo_u32_b32 v62, v0, 0
	v_cmp_ne_u32_e64 s17, 0, v0
	s_delay_alu instid0(VALU_DEP_2) | instskip(NEXT) | instid1(VALU_DEP_1)
	v_cmp_eq_u32_e64 s16, 0, v62
	s_and_b32 s17, s17, s16
	s_delay_alu instid0(SALU_CYCLE_1)
	s_and_saveexec_b32 s16, s17
	s_cbranch_execz .LBB1228_81
; %bb.80:                               ;   in Loop: Header=BB1228_53 Depth=1
	s_waitcnt vmcnt(0) lgkmcnt(0)
	v_bcnt_u32_b32 v0, v0, v61
	flat_store_b32 v[214:215], v0
.LBB1228_81:                            ;   in Loop: Header=BB1228_53 Depth=1
	s_or_b32 exec_lo, exec_lo, s16
	v_cmp_ne_u64_e64 s16, s[24:25], v[160:161]
	; wave barrier
	s_delay_alu instid0(VALU_DEP_1) | instskip(SKIP_1) | instid1(VALU_DEP_1)
	v_cndmask_b32_e64 v16, 0x80000000, v161, s16
	v_cndmask_b32_e64 v15, 0, v160, s16
	v_lshrrev_b64 v[15:16], v10, v[15:16]
	s_delay_alu instid0(VALU_DEP_1) | instskip(NEXT) | instid1(VALU_DEP_1)
	v_and_b32_e32 v17, v15, v14
	v_lshl_add_u32 v0, v17, 3, v125
	v_lshlrev_b32_e32 v18, 29, v17
	v_lshlrev_b32_e32 v19, 28, v17
	s_delay_alu instid0(VALU_DEP_3) | instskip(SKIP_1) | instid1(VALU_DEP_2)
	v_lshlrev_b64 v[15:16], 2, v[0:1]
	v_and_b32_e32 v0, 1, v17
	v_add_co_u32 v224, s16, v25, v15
	s_delay_alu instid0(VALU_DEP_1) | instskip(NEXT) | instid1(VALU_DEP_3)
	v_add_co_ci_u32_e64 v225, s16, v124, v16, s16
	v_add_co_u32 v0, s16, v0, -1
	s_delay_alu instid0(VALU_DEP_1) | instskip(SKIP_3) | instid1(VALU_DEP_2)
	v_cndmask_b32_e64 v15, 0, 1, s16
	flat_load_b32 v63, v[224:225]
	v_lshlrev_b32_e32 v16, 30, v17
	; wave barrier
	v_cmp_ne_u32_e64 s16, 0, v15
	v_not_b32_e32 v15, v16
	s_delay_alu instid0(VALU_DEP_2) | instskip(SKIP_1) | instid1(VALU_DEP_3)
	v_xor_b32_e32 v0, s16, v0
	v_cmp_gt_i32_e64 s16, 0, v16
	v_ashrrev_i32_e32 v15, 31, v15
	v_not_b32_e32 v16, v18
	s_delay_alu instid0(VALU_DEP_4) | instskip(NEXT) | instid1(VALU_DEP_3)
	v_and_b32_e32 v0, exec_lo, v0
	v_xor_b32_e32 v15, s16, v15
	v_cmp_gt_i32_e64 s16, 0, v18
	s_delay_alu instid0(VALU_DEP_4) | instskip(SKIP_1) | instid1(VALU_DEP_4)
	v_ashrrev_i32_e32 v16, 31, v16
	v_not_b32_e32 v18, v19
	v_and_b32_e32 v0, v0, v15
	v_lshlrev_b32_e32 v15, 27, v17
	s_delay_alu instid0(VALU_DEP_4) | instskip(SKIP_2) | instid1(VALU_DEP_4)
	v_xor_b32_e32 v16, s16, v16
	v_cmp_gt_i32_e64 s16, 0, v19
	v_ashrrev_i32_e32 v18, 31, v18
	v_not_b32_e32 v19, v15
	s_delay_alu instid0(VALU_DEP_4) | instskip(SKIP_1) | instid1(VALU_DEP_4)
	v_and_b32_e32 v0, v0, v16
	v_lshlrev_b32_e32 v16, 26, v17
	v_xor_b32_e32 v18, s16, v18
	v_cmp_gt_i32_e64 s16, 0, v15
	v_ashrrev_i32_e32 v15, 31, v19
	s_delay_alu instid0(VALU_DEP_4) | instskip(NEXT) | instid1(VALU_DEP_4)
	v_not_b32_e32 v19, v16
	v_and_b32_e32 v0, v0, v18
	v_lshlrev_b32_e32 v18, 25, v17
	s_delay_alu instid0(VALU_DEP_4) | instskip(SKIP_2) | instid1(VALU_DEP_4)
	v_xor_b32_e32 v15, s16, v15
	v_cmp_gt_i32_e64 s16, 0, v16
	v_ashrrev_i32_e32 v16, 31, v19
	v_not_b32_e32 v19, v18
	s_delay_alu instid0(VALU_DEP_4) | instskip(SKIP_1) | instid1(VALU_DEP_4)
	v_and_b32_e32 v0, v0, v15
	v_lshlrev_b32_e32 v15, 24, v17
	v_xor_b32_e32 v16, s16, v16
	v_cmp_gt_i32_e64 s16, 0, v18
	v_ashrrev_i32_e32 v17, 31, v19
	s_delay_alu instid0(VALU_DEP_4) | instskip(NEXT) | instid1(VALU_DEP_4)
	v_not_b32_e32 v18, v15
	v_and_b32_e32 v0, v0, v16
	s_delay_alu instid0(VALU_DEP_3) | instskip(SKIP_1) | instid1(VALU_DEP_4)
	v_xor_b32_e32 v16, s16, v17
	v_cmp_gt_i32_e64 s16, 0, v15
	v_ashrrev_i32_e32 v15, 31, v18
	s_delay_alu instid0(VALU_DEP_3) | instskip(NEXT) | instid1(VALU_DEP_2)
	v_and_b32_e32 v0, v0, v16
	v_xor_b32_e32 v15, s16, v15
	s_delay_alu instid0(VALU_DEP_1) | instskip(NEXT) | instid1(VALU_DEP_1)
	v_and_b32_e32 v0, v0, v15
	v_mbcnt_lo_u32_b32 v72, v0, 0
	v_cmp_ne_u32_e64 s17, 0, v0
	s_delay_alu instid0(VALU_DEP_2) | instskip(NEXT) | instid1(VALU_DEP_1)
	v_cmp_eq_u32_e64 s16, 0, v72
	s_and_b32 s17, s17, s16
	s_delay_alu instid0(SALU_CYCLE_1)
	s_and_saveexec_b32 s16, s17
	s_cbranch_execz .LBB1228_83
; %bb.82:                               ;   in Loop: Header=BB1228_53 Depth=1
	s_waitcnt vmcnt(0) lgkmcnt(0)
	v_bcnt_u32_b32 v0, v0, v63
	flat_store_b32 v[224:225], v0
.LBB1228_83:                            ;   in Loop: Header=BB1228_53 Depth=1
	s_or_b32 exec_lo, exec_lo, s16
	v_cmp_ne_u64_e64 s16, s[24:25], v[162:163]
	; wave barrier
	s_delay_alu instid0(VALU_DEP_1) | instskip(SKIP_1) | instid1(VALU_DEP_1)
	v_cndmask_b32_e64 v16, 0x80000000, v163, s16
	v_cndmask_b32_e64 v15, 0, v162, s16
	v_lshrrev_b64 v[15:16], v10, v[15:16]
	s_delay_alu instid0(VALU_DEP_1) | instskip(NEXT) | instid1(VALU_DEP_1)
	v_and_b32_e32 v16, v15, v14
	v_lshl_add_u32 v0, v16, 3, v125
	v_lshlrev_b32_e32 v17, 29, v16
	v_lshlrev_b32_e32 v18, 28, v16
	s_delay_alu instid0(VALU_DEP_3) | instskip(SKIP_1) | instid1(VALU_DEP_2)
	v_lshlrev_b64 v[14:15], 2, v[0:1]
	v_and_b32_e32 v0, 1, v16
	v_add_co_u32 v226, s16, v25, v14
	s_delay_alu instid0(VALU_DEP_1) | instskip(NEXT) | instid1(VALU_DEP_3)
	v_add_co_ci_u32_e64 v227, s16, v124, v15, s16
	v_add_co_u32 v0, s16, v0, -1
	s_delay_alu instid0(VALU_DEP_1) | instskip(SKIP_3) | instid1(VALU_DEP_2)
	v_cndmask_b32_e64 v14, 0, 1, s16
	flat_load_b32 v73, v[226:227]
	v_lshlrev_b32_e32 v15, 30, v16
	; wave barrier
	v_cmp_ne_u32_e64 s16, 0, v14
	v_not_b32_e32 v14, v15
	s_delay_alu instid0(VALU_DEP_2) | instskip(SKIP_1) | instid1(VALU_DEP_3)
	v_xor_b32_e32 v0, s16, v0
	v_cmp_gt_i32_e64 s16, 0, v15
	v_ashrrev_i32_e32 v14, 31, v14
	v_not_b32_e32 v15, v17
	s_delay_alu instid0(VALU_DEP_4) | instskip(NEXT) | instid1(VALU_DEP_3)
	v_and_b32_e32 v0, exec_lo, v0
	v_xor_b32_e32 v14, s16, v14
	v_cmp_gt_i32_e64 s16, 0, v17
	s_delay_alu instid0(VALU_DEP_4) | instskip(SKIP_1) | instid1(VALU_DEP_4)
	v_ashrrev_i32_e32 v15, 31, v15
	v_not_b32_e32 v17, v18
	v_and_b32_e32 v0, v0, v14
	v_lshlrev_b32_e32 v14, 27, v16
	s_delay_alu instid0(VALU_DEP_4) | instskip(SKIP_2) | instid1(VALU_DEP_4)
	v_xor_b32_e32 v15, s16, v15
	v_cmp_gt_i32_e64 s16, 0, v18
	v_ashrrev_i32_e32 v17, 31, v17
	v_not_b32_e32 v18, v14
	s_delay_alu instid0(VALU_DEP_4) | instskip(SKIP_1) | instid1(VALU_DEP_4)
	v_and_b32_e32 v0, v0, v15
	v_lshlrev_b32_e32 v15, 26, v16
	v_xor_b32_e32 v17, s16, v17
	v_cmp_gt_i32_e64 s16, 0, v14
	v_ashrrev_i32_e32 v14, 31, v18
	s_delay_alu instid0(VALU_DEP_4) | instskip(NEXT) | instid1(VALU_DEP_4)
	v_not_b32_e32 v18, v15
	v_and_b32_e32 v0, v0, v17
	v_lshlrev_b32_e32 v17, 25, v16
	s_delay_alu instid0(VALU_DEP_4) | instskip(SKIP_2) | instid1(VALU_DEP_4)
	v_xor_b32_e32 v14, s16, v14
	v_cmp_gt_i32_e64 s16, 0, v15
	v_ashrrev_i32_e32 v15, 31, v18
	v_not_b32_e32 v18, v17
	s_delay_alu instid0(VALU_DEP_4) | instskip(SKIP_1) | instid1(VALU_DEP_4)
	v_and_b32_e32 v0, v0, v14
	v_lshlrev_b32_e32 v14, 24, v16
	v_xor_b32_e32 v15, s16, v15
	v_cmp_gt_i32_e64 s16, 0, v17
	v_ashrrev_i32_e32 v16, 31, v18
	s_delay_alu instid0(VALU_DEP_4) | instskip(NEXT) | instid1(VALU_DEP_4)
	v_not_b32_e32 v17, v14
	v_and_b32_e32 v0, v0, v15
	s_delay_alu instid0(VALU_DEP_3) | instskip(SKIP_1) | instid1(VALU_DEP_4)
	v_xor_b32_e32 v15, s16, v16
	v_cmp_gt_i32_e64 s16, 0, v14
	v_ashrrev_i32_e32 v14, 31, v17
	s_delay_alu instid0(VALU_DEP_3) | instskip(NEXT) | instid1(VALU_DEP_2)
	v_and_b32_e32 v0, v0, v15
	v_xor_b32_e32 v14, s16, v14
	s_delay_alu instid0(VALU_DEP_1) | instskip(NEXT) | instid1(VALU_DEP_1)
	v_and_b32_e32 v0, v0, v14
	v_mbcnt_lo_u32_b32 v74, v0, 0
	v_cmp_ne_u32_e64 s17, 0, v0
	s_delay_alu instid0(VALU_DEP_2) | instskip(NEXT) | instid1(VALU_DEP_1)
	v_cmp_eq_u32_e64 s16, 0, v74
	s_and_b32 s17, s17, s16
	s_delay_alu instid0(SALU_CYCLE_1)
	s_and_saveexec_b32 s16, s17
	s_cbranch_execz .LBB1228_85
; %bb.84:                               ;   in Loop: Header=BB1228_53 Depth=1
	s_waitcnt vmcnt(0) lgkmcnt(0)
	v_bcnt_u32_b32 v0, v0, v73
	flat_store_b32 v[226:227], v0
.LBB1228_85:                            ;   in Loop: Header=BB1228_53 Depth=1
	s_or_b32 exec_lo, exec_lo, s16
	; wave barrier
	s_waitcnt vmcnt(0) lgkmcnt(0)
	s_waitcnt_vscnt null, 0x0
	s_barrier
	buffer_gl0_inv
	s_clause 0x1
	flat_load_b128 v[18:21], v[4:5] offset:32
	flat_load_b128 v[14:17], v[8:9] offset:16
	s_waitcnt vmcnt(1) lgkmcnt(1)
	v_add_nc_u32_e32 v0, v19, v18
	s_delay_alu instid0(VALU_DEP_1) | instskip(SKIP_1) | instid1(VALU_DEP_1)
	v_add3_u32 v0, v0, v20, v21
	s_waitcnt vmcnt(0) lgkmcnt(0)
	v_add3_u32 v0, v0, v14, v15
	s_delay_alu instid0(VALU_DEP_1) | instskip(NEXT) | instid1(VALU_DEP_1)
	v_add3_u32 v0, v0, v16, v17
	v_mov_b32_dpp v17, v0 row_shr:1 row_mask:0xf bank_mask:0xf
	s_delay_alu instid0(VALU_DEP_1) | instskip(NEXT) | instid1(VALU_DEP_1)
	v_cndmask_b32_e64 v17, v17, 0, vcc_lo
	v_add_nc_u32_e32 v0, v17, v0
	s_delay_alu instid0(VALU_DEP_1) | instskip(NEXT) | instid1(VALU_DEP_1)
	v_mov_b32_dpp v17, v0 row_shr:2 row_mask:0xf bank_mask:0xf
	v_cndmask_b32_e64 v17, 0, v17, s0
	s_delay_alu instid0(VALU_DEP_1) | instskip(NEXT) | instid1(VALU_DEP_1)
	v_add_nc_u32_e32 v0, v0, v17
	v_mov_b32_dpp v17, v0 row_shr:4 row_mask:0xf bank_mask:0xf
	s_delay_alu instid0(VALU_DEP_1) | instskip(NEXT) | instid1(VALU_DEP_1)
	v_cndmask_b32_e64 v17, 0, v17, s1
	v_add_nc_u32_e32 v0, v0, v17
	s_delay_alu instid0(VALU_DEP_1) | instskip(NEXT) | instid1(VALU_DEP_1)
	v_mov_b32_dpp v17, v0 row_shr:8 row_mask:0xf bank_mask:0xf
	v_cndmask_b32_e64 v17, 0, v17, s2
	s_delay_alu instid0(VALU_DEP_1) | instskip(SKIP_3) | instid1(VALU_DEP_1)
	v_add_nc_u32_e32 v0, v0, v17
	ds_swizzle_b32 v17, v0 offset:swizzle(BROADCAST,32,15)
	s_waitcnt lgkmcnt(0)
	v_cndmask_b32_e64 v17, v17, 0, s3
	v_add_nc_u32_e32 v0, v0, v17
	s_and_saveexec_b32 s16, s4
	s_cbranch_execz .LBB1228_87
; %bb.86:                               ;   in Loop: Header=BB1228_53 Depth=1
	flat_store_b32 v[33:34], v0
.LBB1228_87:                            ;   in Loop: Header=BB1228_53 Depth=1
	s_or_b32 exec_lo, exec_lo, s16
	s_waitcnt lgkmcnt(0)
	s_waitcnt_vscnt null, 0x0
	s_barrier
	buffer_gl0_inv
	s_and_saveexec_b32 s16, s5
	s_cbranch_execz .LBB1228_89
; %bb.88:                               ;   in Loop: Header=BB1228_53 Depth=1
	flat_load_b32 v17, v[86:87]
	s_waitcnt vmcnt(0) lgkmcnt(0)
	v_mov_b32_dpp v75, v17 row_shr:1 row_mask:0xf bank_mask:0xf
	s_delay_alu instid0(VALU_DEP_1) | instskip(NEXT) | instid1(VALU_DEP_1)
	v_cndmask_b32_e64 v75, v75, 0, s11
	v_add_nc_u32_e32 v17, v75, v17
	s_delay_alu instid0(VALU_DEP_1) | instskip(NEXT) | instid1(VALU_DEP_1)
	v_mov_b32_dpp v75, v17 row_shr:2 row_mask:0xf bank_mask:0xf
	v_cndmask_b32_e64 v75, 0, v75, s14
	s_delay_alu instid0(VALU_DEP_1) | instskip(NEXT) | instid1(VALU_DEP_1)
	v_add_nc_u32_e32 v17, v17, v75
	v_mov_b32_dpp v75, v17 row_shr:4 row_mask:0xf bank_mask:0xf
	s_delay_alu instid0(VALU_DEP_1) | instskip(NEXT) | instid1(VALU_DEP_1)
	v_cndmask_b32_e64 v75, 0, v75, s15
	v_add_nc_u32_e32 v17, v17, v75
	flat_store_b32 v[86:87], v17
.LBB1228_89:                            ;   in Loop: Header=BB1228_53 Depth=1
	s_or_b32 exec_lo, exec_lo, s16
	v_mov_b32_e32 v17, 0
	s_waitcnt lgkmcnt(0)
	s_waitcnt_vscnt null, 0x0
	s_barrier
	buffer_gl0_inv
	s_and_saveexec_b32 s16, s6
	s_cbranch_execz .LBB1228_91
; %bb.90:                               ;   in Loop: Header=BB1228_53 Depth=1
	flat_load_b32 v17, v[96:97]
.LBB1228_91:                            ;   in Loop: Header=BB1228_53 Depth=1
	s_or_b32 exec_lo, exec_lo, s16
	s_waitcnt vmcnt(0) lgkmcnt(0)
	v_add_nc_u32_e32 v0, v17, v0
	v_add_nc_u32_e32 v10, 8, v10
	s_mov_b32 s18, -1
	ds_bpermute_b32 v0, v126, v0
	s_waitcnt lgkmcnt(0)
	v_cndmask_b32_e64 v0, v0, v17, s7
	s_delay_alu instid0(VALU_DEP_1) | instskip(NEXT) | instid1(VALU_DEP_1)
	v_cndmask_b32_e64 v17, v0, 0, s10
	v_add_nc_u32_e32 v18, v17, v18
	s_delay_alu instid0(VALU_DEP_1) | instskip(NEXT) | instid1(VALU_DEP_1)
	v_add_nc_u32_e32 v19, v18, v19
	v_add_nc_u32_e32 v20, v19, v20
	s_delay_alu instid0(VALU_DEP_1) | instskip(NEXT) | instid1(VALU_DEP_1)
	v_add_nc_u32_e32 v75, v20, v21
	v_add_nc_u32_e32 v76, v75, v14
	s_delay_alu instid0(VALU_DEP_1) | instskip(SKIP_1) | instid1(VALU_DEP_2)
	v_add_nc_u32_e32 v77, v76, v15
	v_mov_b32_e32 v15, v1
	v_add_nc_u32_e32 v78, v77, v16
	s_clause 0x1
	flat_store_b128 v[4:5], v[17:20] offset:32
	flat_store_b128 v[8:9], v[75:78] offset:16
	v_mov_b32_e32 v17, v1
	s_waitcnt lgkmcnt(0)
	s_waitcnt_vscnt null, 0x0
	s_barrier
	buffer_gl0_inv
	s_clause 0xf
	flat_load_b32 v0, v[164:165]
	flat_load_b32 v14, v[166:167]
	;; [unrolled: 1-line block ×16, first 2 shown]
	v_mov_b32_e32 v21, v1
	v_mov_b32_e32 v19, v1
	;; [unrolled: 1-line block ×13, first 2 shown]
	v_cmp_lt_u32_e64 s16, v10, v11
	s_waitcnt vmcnt(0) lgkmcnt(0)
	s_waitcnt_vscnt null, 0x0
                                        ; implicit-def: $vgpr212_vgpr213
                                        ; implicit-def: $vgpr224_vgpr225
                                        ; implicit-def: $vgpr214_vgpr215
                                        ; implicit-def: $vgpr226_vgpr227
	s_waitcnt vmcnt(15) lgkmcnt(15)
	v_add_nc_u32_e32 v0, v0, v39
	s_waitcnt vmcnt(14) lgkmcnt(14)
	v_add3_u32 v14, v229, v228, v14
	s_waitcnt vmcnt(13) lgkmcnt(13)
	v_add3_u32 v16, v231, v230, v16
	;; [unrolled: 2-line block ×4, first 2 shown]
	v_lshlrev_b64 v[210:211], 3, v[0:1]
	v_lshlrev_b64 v[14:15], 3, v[14:15]
	v_lshlrev_b64 v[16:17], 3, v[16:17]
	v_lshlrev_b64 v[18:19], 3, v[18:19]
	s_waitcnt vmcnt(10) lgkmcnt(10)
	v_add3_u32 v164, v245, v244, v164
	v_lshlrev_b64 v[20:21], 3, v[20:21]
	s_waitcnt vmcnt(9) lgkmcnt(9)
	v_add3_u32 v166, v247, v246, v166
	s_waitcnt vmcnt(3) lgkmcnt(3)
	v_add3_u32 v194, v60, v59, v194
	v_add_co_u32 v60, s17, v12, v210
	s_waitcnt vmcnt(2) lgkmcnt(2)
	v_add3_u32 v196, v62, v61, v196
	v_add_co_ci_u32_e64 v61, s17, v13, v211, s17
	v_add_co_u32 v62, s17, v12, v14
	s_waitcnt vmcnt(1) lgkmcnt(1)
	v_add3_u32 v198, v72, v63, v198
	v_add_co_ci_u32_e64 v63, s17, v13, v15, s17
	;; [unrolled: 4-line block ×3, first 2 shown]
	v_lshlrev_b64 v[164:165], 3, v[164:165]
	v_add_co_u32 v74, s17, v12, v18
	v_add3_u32 v176, v41, v40, v176
	v_add_co_ci_u32_e64 v75, s17, v13, v19, s17
	v_lshlrev_b64 v[166:167], 3, v[166:167]
	v_add_co_u32 v76, s17, v12, v20
	v_add3_u32 v178, v43, v42, v178
	v_add_co_ci_u32_e64 v77, s17, v13, v21, s17
	;; [unrolled: 4-line block ×5, first 2 shown]
	v_lshlrev_b64 v[182:183], 3, v[182:183]
	v_add_co_u32 v92, s17, v12, v178
	s_delay_alu instid0(VALU_DEP_1) | instskip(SKIP_2) | instid1(VALU_DEP_1)
	v_add_co_ci_u32_e64 v93, s17, v13, v179, s17
	v_lshlrev_b64 v[192:193], 3, v[192:193]
	v_add_co_u32 v94, s17, v12, v180
	v_add_co_ci_u32_e64 v95, s17, v13, v181, s17
	v_lshlrev_b64 v[194:195], 3, v[194:195]
	v_add_co_u32 v104, s17, v12, v182
	s_delay_alu instid0(VALU_DEP_1) | instskip(SKIP_2) | instid1(VALU_DEP_1)
	v_add_co_ci_u32_e64 v105, s17, v13, v183, s17
	v_lshlrev_b64 v[196:197], 3, v[196:197]
	v_add_co_u32 v106, s17, v12, v192
	v_add_co_ci_u32_e64 v107, s17, v13, v193, s17
	v_lshlrev_b64 v[198:199], 3, v[198:199]
	v_add_co_u32 v108, s17, v12, v194
	s_delay_alu instid0(VALU_DEP_1) | instskip(SKIP_2) | instid1(VALU_DEP_1)
	v_add_co_ci_u32_e64 v109, s17, v13, v195, s17
	v_lshlrev_b64 v[208:209], 3, v[208:209]
	v_add_co_u32 v110, s17, v12, v196
	v_add_co_ci_u32_e64 v111, s17, v13, v197, s17
	v_add_co_u32 v120, s17, v12, v198
	s_delay_alu instid0(VALU_DEP_1) | instskip(SKIP_1) | instid1(VALU_DEP_1)
	v_add_co_ci_u32_e64 v121, s17, v13, v199, s17
	v_add_co_u32 v122, s17, v12, v208
	v_add_co_ci_u32_e64 v123, s17, v13, v209, s17
                                        ; implicit-def: $vgpr14_vgpr15
                                        ; implicit-def: $vgpr18_vgpr19
                                        ; implicit-def: $vgpr164_vgpr165
                                        ; implicit-def: $vgpr16_vgpr17
                                        ; implicit-def: $vgpr20_vgpr21
                                        ; implicit-def: $vgpr166_vgpr167
                                        ; implicit-def: $vgpr176_vgpr177
                                        ; implicit-def: $vgpr178_vgpr179
                                        ; implicit-def: $vgpr180_vgpr181
                                        ; implicit-def: $vgpr182_vgpr183
                                        ; implicit-def: $vgpr192_vgpr193
                                        ; implicit-def: $vgpr198_vgpr199
                                        ; implicit-def: $vgpr240_vgpr241
                                        ; implicit-def: $vgpr39_vgpr40
                                        ; implicit-def: $vgpr45_vgpr46
                                        ; implicit-def: $vgpr228_vgpr229
                                        ; implicit-def: $vgpr230_vgpr231
                                        ; implicit-def: $vgpr244_vgpr245
                                        ; implicit-def: $vgpr196_vgpr197
                                        ; implicit-def: $vgpr194_vgpr195
                                        ; implicit-def: $vgpr210_vgpr211
                                        ; implicit-def: $vgpr208_vgpr209
                                        ; implicit-def: $vgpr242_vgpr243
                                        ; implicit-def: $vgpr246_vgpr247
                                        ; implicit-def: $vgpr41_vgpr42
                                        ; implicit-def: $vgpr43_vgpr44
                                        ; implicit-def: $vgpr56_vgpr57
                                        ; implicit-def: $vgpr58_vgpr59
	s_and_saveexec_b32 s17, s16
	s_cbranch_execz .LBB1228_52
; %bb.92:                               ;   in Loop: Header=BB1228_53 Depth=1
	s_barrier
	buffer_gl0_inv
	s_clause 0xf
	flat_store_b64 v[60:61], v[100:101]
	flat_store_b64 v[62:63], v[102:103]
	;; [unrolled: 1-line block ×16, first 2 shown]
	s_waitcnt lgkmcnt(0)
	s_waitcnt_vscnt null, 0x0
	s_barrier
	buffer_gl0_inv
	s_clause 0xf
	flat_load_b64 v[45:46], v[98:99]
	flat_load_b64 v[228:229], v[98:99] offset:256
	flat_load_b64 v[230:231], v[98:99] offset:512
	;; [unrolled: 1-line block ×15, first 2 shown]
	s_waitcnt vmcnt(0) lgkmcnt(0)
	s_barrier
	buffer_gl0_inv
	s_clause 0xf
	flat_store_b64 v[60:61], v[31:32]
	flat_store_b64 v[62:63], v[29:30]
	;; [unrolled: 1-line block ×16, first 2 shown]
	s_waitcnt lgkmcnt(0)
	s_waitcnt_vscnt null, 0x0
	s_barrier
	buffer_gl0_inv
	s_clause 0xf
	flat_load_b64 v[14:15], v[98:99]
	flat_load_b64 v[18:19], v[98:99] offset:256
	flat_load_b64 v[164:165], v[98:99] offset:512
	;; [unrolled: 1-line block ×15, first 2 shown]
	v_add_nc_u32_e32 v127, -8, v127
	s_xor_b32 s18, exec_lo, -1
	s_waitcnt vmcnt(0) lgkmcnt(0)
	s_barrier
	buffer_gl0_inv
	s_branch .LBB1228_52
.LBB1228_93:
	s_or_b32 exec_lo, exec_lo, s28
	v_dual_mov_b32 v25, 0 :: v_dual_lshlrev_b32 v0, 3, v26
	v_lshlrev_b32_e32 v18, 3, v26
	s_barrier
	buffer_gl0_inv
	v_add_co_u32 v0, vcc_lo, v12, v0
	v_add_co_ci_u32_e32 v1, vcc_lo, 0, v13, vcc_lo
	v_or_b32_e32 v8, 0x2000, v18
	s_delay_alu instid0(VALU_DEP_3) | instskip(NEXT) | instid1(VALU_DEP_3)
	v_add_co_u32 v4, vcc_lo, 0x1000, v0
	v_add_co_ci_u32_e32 v5, vcc_lo, 0, v1, vcc_lo
	s_delay_alu instid0(VALU_DEP_3)
	v_add_co_u32 v8, vcc_lo, v12, v8
	v_add_co_ci_u32_e32 v9, vcc_lo, 0, v13, vcc_lo
	v_add_co_u32 v10, vcc_lo, 0x2000, v0
	v_or_b32_e32 v16, 0x4000, v18
	v_add_co_ci_u32_e32 v11, vcc_lo, 0, v1, vcc_lo
	v_add_co_u32 v14, vcc_lo, 0x3000, v0
	v_add_co_ci_u32_e32 v15, vcc_lo, 0, v1, vcc_lo
	s_delay_alu instid0(VALU_DEP_4)
	v_add_co_u32 v16, vcc_lo, v12, v16
	v_add_co_ci_u32_e32 v17, vcc_lo, 0, v13, vcc_lo
	s_clause 0xf
	flat_store_b64 v[60:61], v[100:101]
	flat_store_b64 v[62:63], v[102:103]
	;; [unrolled: 1-line block ×16, first 2 shown]
	v_add_co_u32 v150, vcc_lo, 0x4000, v0
	v_or_b32_e32 v18, 0x6000, v18
	v_add_co_ci_u32_e32 v151, vcc_lo, 0, v1, vcc_lo
	v_add_co_u32 v160, vcc_lo, 0x5000, v0
	v_add_co_ci_u32_e32 v161, vcc_lo, 0, v1, vcc_lo
	s_delay_alu instid0(VALU_DEP_4)
	v_add_co_u32 v162, vcc_lo, v12, v18
	v_add_co_ci_u32_e32 v163, vcc_lo, 0, v13, vcc_lo
	v_add_co_u32 v164, vcc_lo, 0x6000, v0
	v_add_co_ci_u32_e32 v165, vcc_lo, 0, v1, vcc_lo
	v_add_co_u32 v166, vcc_lo, 0x7000, v0
	s_waitcnt lgkmcnt(0)
	s_waitcnt_vscnt null, 0x0
	s_barrier
	buffer_gl0_inv
	s_clause 0x7
	flat_load_b64 v[148:149], v[0:1]
	flat_load_b64 v[146:147], v[0:1] offset:2048
	flat_load_b64 v[144:145], v[4:5]
	flat_load_b64 v[134:135], v[4:5] offset:2048
	;; [unrolled: 2-line block ×4, first 2 shown]
	v_add_co_ci_u32_e32 v167, vcc_lo, 0, v1, vcc_lo
	s_clause 0x7
	flat_load_b64 v[118:119], v[16:17]
	flat_load_b64 v[114:115], v[150:151] offset:2048
	flat_load_b64 v[112:113], v[160:161]
	flat_load_b64 v[102:103], v[160:161] offset:2048
	;; [unrolled: 2-line block ×4, first 2 shown]
	s_waitcnt vmcnt(0) lgkmcnt(0)
	s_barrier
	buffer_gl0_inv
	s_clause 0xf
	flat_store_b64 v[60:61], v[31:32]
	flat_store_b64 v[62:63], v[29:30]
	;; [unrolled: 1-line block ×16, first 2 shown]
	s_waitcnt lgkmcnt(0)
	s_waitcnt_vscnt null, 0x0
	s_barrier
	buffer_gl0_inv
	s_clause 0xf
	flat_load_b64 v[38:39], v[0:1]
	flat_load_b64 v[36:37], v[0:1] offset:2048
	flat_load_b64 v[34:35], v[4:5]
	flat_load_b64 v[32:33], v[4:5] offset:2048
	;; [unrolled: 2-line block ×8, first 2 shown]
	v_lshlrev_b64 v[48:49], 3, v[24:25]
	v_add_co_u32 v2, vcc_lo, v2, v22
	v_add_co_ci_u32_e32 v3, vcc_lo, v3, v23, vcc_lo
	s_waitcnt vmcnt(0) lgkmcnt(0)
	s_delay_alu instid0(VALU_DEP_2) | instskip(NEXT) | instid1(VALU_DEP_2)
	v_add_co_u32 v2, vcc_lo, v2, v48
	v_add_co_ci_u32_e32 v3, vcc_lo, v3, v49, vcc_lo
	v_cmp_lt_u32_e32 vcc_lo, v24, v47
	s_barrier
	buffer_gl0_inv
	s_and_saveexec_b32 s1, vcc_lo
	s_cbranch_execz .LBB1228_95
; %bb.94:
	v_cmp_lt_i64_e64 s0, -1, v[148:149]
	v_ashrrev_i32_e32 v25, 31, v149
	s_delay_alu instid0(VALU_DEP_1) | instskip(NEXT) | instid1(VALU_DEP_3)
	v_not_b32_e32 v25, v25
	v_cndmask_b32_e64 v50, 0x80000000, -1, s0
	s_delay_alu instid0(VALU_DEP_1) | instskip(NEXT) | instid1(VALU_DEP_3)
	v_xor_b32_e32 v51, v50, v149
	v_xor_b32_e32 v50, v25, v148
	flat_store_b64 v[2:3], v[50:51]
.LBB1228_95:
	s_or_b32 exec_lo, exec_lo, s1
	v_add_nc_u32_e32 v25, 0x100, v24
	s_delay_alu instid0(VALU_DEP_1) | instskip(NEXT) | instid1(VALU_DEP_1)
	v_cmp_lt_u32_e64 s0, v25, v47
	s_and_saveexec_b32 s2, s0
	s_cbranch_execz .LBB1228_97
; %bb.96:
	v_cmp_lt_i64_e64 s1, -1, v[146:147]
	v_ashrrev_i32_e32 v25, 31, v147
	s_delay_alu instid0(VALU_DEP_1) | instskip(NEXT) | instid1(VALU_DEP_3)
	v_not_b32_e32 v25, v25
	v_cndmask_b32_e64 v50, 0x80000000, -1, s1
	s_delay_alu instid0(VALU_DEP_1) | instskip(NEXT) | instid1(VALU_DEP_3)
	v_xor_b32_e32 v51, v50, v147
	v_xor_b32_e32 v50, v25, v146
	flat_store_b64 v[2:3], v[50:51] offset:2048
.LBB1228_97:
	s_or_b32 exec_lo, exec_lo, s2
	v_add_nc_u32_e32 v25, 0x200, v24
	s_delay_alu instid0(VALU_DEP_1) | instskip(NEXT) | instid1(VALU_DEP_1)
	v_cmp_lt_u32_e64 s1, v25, v47
	s_and_saveexec_b32 s3, s1
	s_cbranch_execz .LBB1228_99
; %bb.98:
	v_cmp_lt_i64_e64 s2, -1, v[144:145]
	v_ashrrev_i32_e32 v25, 31, v145
	s_delay_alu instid0(VALU_DEP_1) | instskip(NEXT) | instid1(VALU_DEP_3)
	v_not_b32_e32 v25, v25
	v_cndmask_b32_e64 v50, 0x80000000, -1, s2
	v_add_co_u32 v52, s2, 0x1000, v2
	s_delay_alu instid0(VALU_DEP_1) | instskip(NEXT) | instid1(VALU_DEP_3)
	v_add_co_ci_u32_e64 v53, s2, 0, v3, s2
	v_xor_b32_e32 v51, v50, v145
	v_xor_b32_e32 v50, v25, v144
	flat_store_b64 v[52:53], v[50:51]
.LBB1228_99:
	s_or_b32 exec_lo, exec_lo, s3
	v_add_nc_u32_e32 v25, 0x300, v24
	s_delay_alu instid0(VALU_DEP_1) | instskip(NEXT) | instid1(VALU_DEP_1)
	v_cmp_lt_u32_e64 s2, v25, v47
	s_and_saveexec_b32 s4, s2
	s_cbranch_execz .LBB1228_101
; %bb.100:
	v_cmp_lt_i64_e64 s3, -1, v[134:135]
	v_ashrrev_i32_e32 v25, 31, v135
	s_delay_alu instid0(VALU_DEP_1) | instskip(NEXT) | instid1(VALU_DEP_3)
	v_not_b32_e32 v25, v25
	v_cndmask_b32_e64 v50, 0x80000000, -1, s3
	v_add_co_u32 v52, s3, 0x1000, v2
	s_delay_alu instid0(VALU_DEP_1) | instskip(NEXT) | instid1(VALU_DEP_3)
	v_add_co_ci_u32_e64 v53, s3, 0, v3, s3
	v_xor_b32_e32 v51, v50, v135
	v_xor_b32_e32 v50, v25, v134
	flat_store_b64 v[52:53], v[50:51] offset:2048
.LBB1228_101:
	s_or_b32 exec_lo, exec_lo, s4
	v_add_nc_u32_e32 v25, 0x400, v24
	s_delay_alu instid0(VALU_DEP_1) | instskip(NEXT) | instid1(VALU_DEP_1)
	v_cmp_lt_u32_e64 s3, v25, v47
	s_and_saveexec_b32 s5, s3
	s_cbranch_execz .LBB1228_103
; %bb.102:
	v_cmp_lt_i64_e64 s4, -1, v[132:133]
	v_ashrrev_i32_e32 v25, 31, v133
	s_delay_alu instid0(VALU_DEP_1) | instskip(NEXT) | instid1(VALU_DEP_3)
	v_not_b32_e32 v25, v25
	v_cndmask_b32_e64 v50, 0x80000000, -1, s4
	v_add_co_u32 v52, s4, 0x2000, v2
	s_delay_alu instid0(VALU_DEP_1) | instskip(NEXT) | instid1(VALU_DEP_3)
	v_add_co_ci_u32_e64 v53, s4, 0, v3, s4
	v_xor_b32_e32 v51, v50, v133
	v_xor_b32_e32 v50, v25, v132
	flat_store_b64 v[52:53], v[50:51]
.LBB1228_103:
	s_or_b32 exec_lo, exec_lo, s5
	v_add_nc_u32_e32 v25, 0x500, v24
	s_delay_alu instid0(VALU_DEP_1) | instskip(NEXT) | instid1(VALU_DEP_1)
	v_cmp_lt_u32_e64 s4, v25, v47
	s_and_saveexec_b32 s6, s4
	s_cbranch_execz .LBB1228_105
; %bb.104:
	v_cmp_lt_i64_e64 s5, -1, v[130:131]
	v_ashrrev_i32_e32 v25, 31, v131
	s_delay_alu instid0(VALU_DEP_1) | instskip(NEXT) | instid1(VALU_DEP_3)
	v_not_b32_e32 v25, v25
	v_cndmask_b32_e64 v50, 0x80000000, -1, s5
	v_add_co_u32 v52, s5, 0x2000, v2
	s_delay_alu instid0(VALU_DEP_1) | instskip(NEXT) | instid1(VALU_DEP_3)
	v_add_co_ci_u32_e64 v53, s5, 0, v3, s5
	v_xor_b32_e32 v51, v50, v131
	v_xor_b32_e32 v50, v25, v130
	flat_store_b64 v[52:53], v[50:51] offset:2048
.LBB1228_105:
	;; [unrolled: 38-line block ×7, first 2 shown]
	s_or_b32 exec_lo, exec_lo, s20
	v_add_co_u32 v2, s19, v6, v22
	s_delay_alu instid0(VALU_DEP_1) | instskip(NEXT) | instid1(VALU_DEP_2)
	v_add_co_ci_u32_e64 v3, s19, v7, v23, s19
	v_add_co_u32 v2, s19, v2, v48
	s_delay_alu instid0(VALU_DEP_1)
	v_add_co_ci_u32_e64 v3, s19, v3, v49, s19
	s_and_saveexec_b32 s19, vcc_lo
	s_cbranch_execnz .LBB1228_211
; %bb.126:
	s_or_b32 exec_lo, exec_lo, s19
	s_and_saveexec_b32 s19, s0
	s_cbranch_execnz .LBB1228_212
.LBB1228_127:
	s_or_b32 exec_lo, exec_lo, s19
	s_and_saveexec_b32 s0, s1
	s_cbranch_execnz .LBB1228_213
.LBB1228_128:
	s_or_b32 exec_lo, exec_lo, s0
	s_and_saveexec_b32 s0, s2
	s_cbranch_execnz .LBB1228_214
.LBB1228_129:
	s_or_b32 exec_lo, exec_lo, s0
	s_and_saveexec_b32 s0, s3
	s_cbranch_execnz .LBB1228_215
.LBB1228_130:
	s_or_b32 exec_lo, exec_lo, s0
	s_and_saveexec_b32 s0, s4
	s_cbranch_execnz .LBB1228_216
.LBB1228_131:
	s_or_b32 exec_lo, exec_lo, s0
	s_and_saveexec_b32 s0, s5
	s_cbranch_execnz .LBB1228_217
.LBB1228_132:
	s_or_b32 exec_lo, exec_lo, s0
	s_and_saveexec_b32 s0, s6
	s_cbranch_execnz .LBB1228_218
.LBB1228_133:
	s_or_b32 exec_lo, exec_lo, s0
	s_and_saveexec_b32 s0, s7
	s_cbranch_execnz .LBB1228_219
.LBB1228_134:
	s_or_b32 exec_lo, exec_lo, s0
	s_and_saveexec_b32 s0, s10
	s_cbranch_execnz .LBB1228_220
.LBB1228_135:
	s_or_b32 exec_lo, exec_lo, s0
	s_and_saveexec_b32 s0, s11
	s_cbranch_execnz .LBB1228_221
.LBB1228_136:
	s_or_b32 exec_lo, exec_lo, s0
	s_and_saveexec_b32 s0, s14
	s_cbranch_execnz .LBB1228_222
.LBB1228_137:
	s_or_b32 exec_lo, exec_lo, s0
	s_and_saveexec_b32 s0, s15
	s_cbranch_execnz .LBB1228_223
.LBB1228_138:
	s_or_b32 exec_lo, exec_lo, s0
	s_and_saveexec_b32 s0, s16
	s_cbranch_execnz .LBB1228_224
.LBB1228_139:
	s_or_b32 exec_lo, exec_lo, s0
	s_and_saveexec_b32 s0, s17
	s_cbranch_execnz .LBB1228_225
.LBB1228_140:
	s_or_b32 exec_lo, exec_lo, s0
	s_and_saveexec_b32 s0, s18
	s_cbranch_execz .LBB1228_142
.LBB1228_141:
	v_add_co_u32 v2, vcc_lo, 0x7000, v2
	v_add_co_ci_u32_e32 v3, vcc_lo, 0, v3, vcc_lo
	flat_store_b64 v[2:3], v[0:1] offset:2048
.LBB1228_142:
	s_or_b32 exec_lo, exec_lo, s0
                                        ; implicit-def: $vgpr47
                                        ; implicit-def: $vgpr0
                                        ; implicit-def: $vgpr1
                                        ; implicit-def: $vgpr2
                                        ; implicit-def: $vgpr3
                                        ; implicit-def: $vgpr4
                                        ; implicit-def: $vgpr5
                                        ; implicit-def: $vgpr6
                                        ; implicit-def: $vgpr7
                                        ; implicit-def: $vgpr8
                                        ; implicit-def: $vgpr10
                                        ; implicit-def: $vgpr11
                                        ; implicit-def: $vgpr12
                                        ; implicit-def: $vgpr13
                                        ; implicit-def: $vgpr14
                                        ; implicit-def: $vgpr15
                                        ; implicit-def: $vgpr26
                                        ; implicit-def: $vgpr96
.LBB1228_143:
	s_and_not1_saveexec_b32 s0, s27
	s_cbranch_execz .LBB1228_372
; %bb.144:
	s_mov_b32 s0, exec_lo
	v_cmpx_lt_u32_e32 0x400, v47
	s_xor_b32 s19, exec_lo, s0
	s_cbranch_execz .LBB1228_252
; %bb.145:
	s_load_b64 s[0:1], s[8:9], 0x0
	v_mov_b32_e32 v9, 0
	s_waitcnt lgkmcnt(0)
	s_cmp_lt_u32 s13, s1
	s_cselect_b32 s1, 14, 20
	s_delay_alu instid0(SALU_CYCLE_1) | instskip(SKIP_4) | instid1(SALU_CYCLE_1)
	s_add_u32 s2, s8, s1
	s_addc_u32 s3, s9, 0
	s_cmp_lt_u32 s12, s0
	global_load_u16 v16, v9, s[2:3]
	s_cselect_b32 s0, 12, 18
	s_add_u32 s0, s8, s0
	s_addc_u32 s1, s9, 0
	global_load_u16 v17, v9, s[0:1]
	s_mov_b32 s2, -1
	s_brev_b32 s3, -2
	v_lshlrev_b32_e32 v22, 3, v96
	s_waitcnt vmcnt(1)
	v_mad_u32_u24 v14, v15, v16, v14
	s_waitcnt vmcnt(0)
	s_delay_alu instid0(VALU_DEP_1) | instskip(NEXT) | instid1(VALU_DEP_1)
	v_mad_u64_u32 v[29:30], null, v14, v17, v[26:27]
	v_lshlrev_b32_e32 v14, 3, v29
	v_lshlrev_b64 v[27:28], 3, v[8:9]
	s_delay_alu instid0(VALU_DEP_2) | instskip(NEXT) | instid1(VALU_DEP_2)
	v_and_b32_e32 v8, 0xffffff00, v14
	v_add_co_u32 v0, vcc_lo, v0, v27
	s_delay_alu instid0(VALU_DEP_3) | instskip(NEXT) | instid1(VALU_DEP_3)
	v_add_co_ci_u32_e32 v1, vcc_lo, v1, v28, vcc_lo
	v_lshlrev_b64 v[18:19], 3, v[8:9]
	v_or_b32_e32 v23, v8, v96
	v_mov_b32_e32 v9, s3
	v_add_co_u32 v0, vcc_lo, v0, v22
	v_add_co_ci_u32_e32 v1, vcc_lo, 0, v1, vcc_lo
	s_delay_alu instid0(VALU_DEP_4) | instskip(NEXT) | instid1(VALU_DEP_3)
	v_cmp_lt_u32_e32 vcc_lo, v23, v47
	v_add_co_u32 v20, s0, v0, v18
	s_delay_alu instid0(VALU_DEP_1)
	v_add_co_ci_u32_e64 v21, s0, v1, v19, s0
	v_mov_b32_e32 v8, s2
	s_and_saveexec_b32 s0, vcc_lo
	s_cbranch_execz .LBB1228_147
; %bb.146:
	flat_load_b64 v[8:9], v[20:21]
.LBB1228_147:
	s_or_b32 exec_lo, exec_lo, s0
	v_or_b32_e32 v0, 32, v23
	s_delay_alu instid0(VALU_DEP_1) | instskip(SKIP_1) | instid1(VALU_DEP_2)
	v_cmp_lt_u32_e64 s0, v0, v47
	v_dual_mov_b32 v0, s2 :: v_dual_mov_b32 v1, s3
	s_and_saveexec_b32 s1, s0
	s_cbranch_execz .LBB1228_149
; %bb.148:
	flat_load_b64 v[0:1], v[20:21] offset:256
.LBB1228_149:
	s_or_b32 exec_lo, exec_lo, s1
	v_or_b32_e32 v14, 64, v23
	s_mov_b32 s4, -1
	s_brev_b32 s5, -2
	s_delay_alu instid0(SALU_CYCLE_1) | instskip(NEXT) | instid1(VALU_DEP_2)
	v_dual_mov_b32 v17, s5 :: v_dual_mov_b32 v16, s4
	v_cmp_lt_u32_e64 s1, v14, v47
	s_delay_alu instid0(VALU_DEP_1)
	s_and_saveexec_b32 s2, s1
	s_cbranch_execz .LBB1228_151
; %bb.150:
	flat_load_b64 v[16:17], v[20:21] offset:512
.LBB1228_151:
	s_or_b32 exec_lo, exec_lo, s2
	v_or_b32_e32 v14, 0x60, v23
	s_delay_alu instid0(VALU_DEP_1) | instskip(SKIP_1) | instid1(VALU_DEP_2)
	v_cmp_lt_u32_e64 s2, v14, v47
	v_dual_mov_b32 v15, s5 :: v_dual_mov_b32 v14, s4
	s_and_saveexec_b32 s3, s2
	s_cbranch_execz .LBB1228_153
; %bb.152:
	flat_load_b64 v[14:15], v[20:21] offset:768
.LBB1228_153:
	s_or_b32 exec_lo, exec_lo, s3
	v_or_b32_e32 v24, 0x80, v23
	s_mov_b32 s6, -1
	s_brev_b32 s7, -2
	s_delay_alu instid0(SALU_CYCLE_1) | instskip(NEXT) | instid1(VALU_DEP_2)
	v_dual_mov_b32 v31, s7 :: v_dual_mov_b32 v30, s6
	v_cmp_lt_u32_e64 s3, v24, v47
	s_delay_alu instid0(VALU_DEP_1)
	s_and_saveexec_b32 s4, s3
	s_cbranch_execz .LBB1228_155
; %bb.154:
	flat_load_b64 v[30:31], v[20:21] offset:1024
.LBB1228_155:
	s_or_b32 exec_lo, exec_lo, s4
	v_or_b32_e32 v24, 0xa0, v23
	v_dual_mov_b32 v35, s7 :: v_dual_mov_b32 v34, s6
	s_delay_alu instid0(VALU_DEP_2) | instskip(NEXT) | instid1(VALU_DEP_1)
	v_cmp_lt_u32_e64 s4, v24, v47
	s_and_saveexec_b32 s5, s4
	s_cbranch_execz .LBB1228_157
; %bb.156:
	flat_load_b64 v[34:35], v[20:21] offset:1280
.LBB1228_157:
	s_or_b32 exec_lo, exec_lo, s5
	v_or_b32_e32 v24, 0xc0, v23
	s_mov_b32 s10, -1
	s_brev_b32 s11, -2
	s_delay_alu instid0(SALU_CYCLE_1) | instskip(NEXT) | instid1(VALU_DEP_2)
	v_dual_mov_b32 v33, s11 :: v_dual_mov_b32 v32, s10
	v_cmp_lt_u32_e64 s5, v24, v47
	s_delay_alu instid0(VALU_DEP_1)
	s_and_saveexec_b32 s6, s5
	s_cbranch_execz .LBB1228_159
; %bb.158:
	flat_load_b64 v[32:33], v[20:21] offset:1536
.LBB1228_159:
	s_or_b32 exec_lo, exec_lo, s6
	v_or_b32_e32 v23, 0xe0, v23
	v_dual_mov_b32 v37, s11 :: v_dual_mov_b32 v36, s10
	s_delay_alu instid0(VALU_DEP_2) | instskip(NEXT) | instid1(VALU_DEP_1)
	v_cmp_lt_u32_e64 s6, v23, v47
	s_and_saveexec_b32 s7, s6
	s_cbranch_execz .LBB1228_161
; %bb.160:
	flat_load_b64 v[36:37], v[20:21] offset:1792
.LBB1228_161:
	s_or_b32 exec_lo, exec_lo, s7
	v_add_co_u32 v4, s7, v4, v27
	s_delay_alu instid0(VALU_DEP_1) | instskip(NEXT) | instid1(VALU_DEP_2)
	v_add_co_ci_u32_e64 v5, s7, v5, v28, s7
	v_add_co_u32 v4, s7, v4, v22
	s_delay_alu instid0(VALU_DEP_1) | instskip(NEXT) | instid1(VALU_DEP_2)
	v_add_co_ci_u32_e64 v5, s7, 0, v5, s7
                                        ; implicit-def: $vgpr22_vgpr23
	v_add_co_u32 v4, s7, v4, v18
	s_delay_alu instid0(VALU_DEP_1)
	v_add_co_ci_u32_e64 v5, s7, v5, v19, s7
	s_and_saveexec_b32 s7, vcc_lo
	s_cbranch_execnz .LBB1228_285
; %bb.162:
	s_or_b32 exec_lo, exec_lo, s7
                                        ; implicit-def: $vgpr102_vgpr103
	s_and_saveexec_b32 s7, s0
	s_cbranch_execnz .LBB1228_286
.LBB1228_163:
	s_or_b32 exec_lo, exec_lo, s7
                                        ; implicit-def: $vgpr116_vgpr117
	s_and_saveexec_b32 s0, s1
	s_cbranch_execnz .LBB1228_287
.LBB1228_164:
	s_or_b32 exec_lo, exec_lo, s0
                                        ; implicit-def: $vgpr118_vgpr119
	s_and_saveexec_b32 s0, s2
	s_cbranch_execnz .LBB1228_288
.LBB1228_165:
	s_or_b32 exec_lo, exec_lo, s0
                                        ; implicit-def: $vgpr132_vgpr133
	s_and_saveexec_b32 s0, s3
	s_cbranch_execnz .LBB1228_289
.LBB1228_166:
	s_or_b32 exec_lo, exec_lo, s0
                                        ; implicit-def: $vgpr134_vgpr135
	s_and_saveexec_b32 s0, s4
	s_cbranch_execnz .LBB1228_290
.LBB1228_167:
	s_or_b32 exec_lo, exec_lo, s0
                                        ; implicit-def: $vgpr18_vgpr19
	s_and_saveexec_b32 s0, s5
	s_cbranch_execnz .LBB1228_291
.LBB1228_168:
	s_or_b32 exec_lo, exec_lo, s0
                                        ; implicit-def: $vgpr20_vgpr21
	s_and_saveexec_b32 s0, s6
	s_cbranch_execz .LBB1228_170
.LBB1228_169:
	flat_load_b64 v[20:21], v[4:5] offset:1792
.LBB1228_170:
	s_or_b32 exec_lo, exec_lo, s0
	s_waitcnt vmcnt(0) lgkmcnt(0)
	v_cmp_lt_i64_e32 vcc_lo, -1, v[8:9]
	v_ashrrev_i32_e32 v5, 31, v9
	s_mov_b32 s20, 0
	s_getpc_b64 s[0:1]
	s_add_u32 s0, s0, _ZN7rocprim17ROCPRIM_400000_NS16block_radix_sortIdLj256ELj8ElLj1ELj1ELj8ELNS0_26block_radix_rank_algorithmE2ELNS0_18block_padding_hintE2ELNS0_4arch9wavefront6targetE0EE19radix_bits_per_passE@rel32@lo+4
	s_addc_u32 s1, s1, _ZN7rocprim17ROCPRIM_400000_NS16block_radix_sortIdLj256ELj8ElLj1ELj1ELj8ELNS0_26block_radix_rank_algorithmE2ELNS0_18block_padding_hintE2ELNS0_4arch9wavefront6targetE0EE19radix_bits_per_passE@rel32@hi+12
	s_mov_b32 s21, s20
	s_mov_b32 s22, s20
	v_cndmask_b32_e64 v4, -1, 0x80000000, vcc_lo
	v_cmp_lt_i64_e32 vcc_lo, -1, v[0:1]
	v_xor_b32_e32 v148, v5, v8
	v_ashrrev_i32_e32 v5, 31, v17
	s_mov_b32 s23, s20
	v_xor_b32_e32 v149, v4, v9
	v_ashrrev_i32_e32 v4, 31, v1
	v_cndmask_b32_e64 v24, -1, 0x80000000, vcc_lo
	v_cmp_lt_i64_e32 vcc_lo, -1, v[16:17]
	v_xor_b32_e32 v112, v5, v16
	v_and_b32_e32 v16, 0x3e0, v26
	s_load_b32 s27, s[0:1], 0x0
	v_xor_b32_e32 v25, v24, v1
	v_xor_b32_e32 v24, v4, v0
	v_cndmask_b32_e64 v1, -1, 0x80000000, vcc_lo
	v_cmp_lt_i64_e32 vcc_lo, -1, v[14:15]
	v_ashrrev_i32_e32 v0, 31, v15
	v_ashrrev_i32_e32 v4, 31, v31
	v_lshrrev_b32_e32 v192, 5, v29
	v_xor_b32_e32 v113, v1, v17
	v_add_nc_u32_e32 v17, -1, v96
	v_cndmask_b32_e64 v8, -1, 0x80000000, vcc_lo
	v_cmp_lt_i64_e32 vcc_lo, -1, v[30:31]
	v_xor_b32_e32 v114, v0, v14
	v_xor_b32_e32 v128, v4, v30
	v_cmp_gt_i32_e64 s4, 0, v17
	v_xor_b32_e32 v115, v8, v15
	v_ashrrev_i32_e32 v8, 31, v35
	v_cndmask_b32_e64 v1, -1, 0x80000000, vcc_lo
	v_cmp_lt_i64_e32 vcc_lo, -1, v[34:35]
	v_and_b32_e32 v15, 15, v96
	v_lshlrev_b32_e32 v14, 3, v26
	v_xor_b32_e32 v130, v8, v34
	v_xor_b32_e32 v129, v1, v31
	v_ashrrev_i32_e32 v1, 31, v33
	v_cndmask_b32_e64 v5, -1, 0x80000000, vcc_lo
	v_cmp_lt_i64_e32 vcc_lo, -1, v[32:33]
	v_cmp_lt_u32_e64 s0, 1, v15
	v_cmp_lt_u32_e64 s1, 3, v15
	v_xor_b32_e32 v144, v1, v32
	v_xor_b32_e32 v131, v5, v35
	v_ashrrev_i32_e32 v5, 31, v37
	v_cndmask_b32_e64 v0, -1, 0x80000000, vcc_lo
	v_cmp_lt_i64_e32 vcc_lo, -1, v[36:37]
	v_mov_b32_e32 v1, 0
	v_cmp_lt_u32_e64 s2, 7, v15
	v_xor_b32_e32 v146, v5, v36
	v_xor_b32_e32 v145, v0, v33
	v_lshlrev_b32_e32 v0, 5, v26
	v_cndmask_b32_e64 v4, -1, 0x80000000, vcc_lo
	v_add_co_u32 v182, vcc_lo, v12, 32
	v_add_co_ci_u32_e32 v183, vcc_lo, 0, v13, vcc_lo
	s_delay_alu instid0(VALU_DEP_3)
	v_xor_b32_e32 v147, v4, v37
	v_add_co_u32 v4, vcc_lo, v12, v0
	v_add_co_ci_u32_e32 v5, vcc_lo, 0, v13, vcc_lo
	v_add_co_u32 v8, vcc_lo, v182, v0
	v_min_u32_e32 v0, 0xe0, v16
	v_and_b32_e32 v16, 16, v96
	v_add_co_ci_u32_e32 v9, vcc_lo, 0, v183, vcc_lo
	v_cmp_eq_u32_e32 vcc_lo, 0, v15
	s_delay_alu instid0(VALU_DEP_4) | instskip(NEXT) | instid1(VALU_DEP_4)
	v_or_b32_e32 v0, 31, v0
	v_cmp_eq_u32_e64 s3, 0, v16
	v_lshrrev_b32_e32 v16, 5, v26
	v_cndmask_b32_e64 v15, v17, v96, s4
	v_and_b32_e32 v17, 7, v96
	v_cmp_eq_u32_e64 s4, v0, v26
	v_cmp_gt_u32_e64 s5, 8, v26
	v_lshlrev_b32_e32 v0, 2, v16
	v_lshlrev_b32_e32 v193, 2, v15
	;; [unrolled: 1-line block ×3, first 2 shown]
	v_cmp_lt_u32_e64 s14, 1, v17
	v_cmp_lt_u32_e64 s15, 3, v17
	v_add_co_u32 v30, s11, v12, v0
	v_add_nc_u32_e32 v0, -1, v16
	v_add_co_ci_u32_e64 v31, s11, 0, v13, s11
	v_and_or_b32 v16, 0x1f00, v14, v96
	v_add_co_u32 v32, s11, v12, v15
	s_delay_alu instid0(VALU_DEP_4) | instskip(SKIP_1) | instid1(VALU_DEP_4)
	v_lshlrev_b64 v[14:15], 2, v[0:1]
	v_add_co_ci_u32_e64 v33, s11, 0, v13, s11
	v_lshlrev_b32_e32 v0, 3, v16
	v_cmp_eq_u32_e64 s11, 0, v17
	v_cmp_lt_u32_e64 s6, 31, v26
	v_add_co_u32 v34, s16, v12, v14
	s_delay_alu instid0(VALU_DEP_1)
	v_add_co_ci_u32_e64 v35, s16, v13, v15, s16
	v_mov_b32_e32 v14, s20
	v_add_co_u32 v36, s16, v12, v0
	v_cmp_eq_u32_e64 s7, 0, v96
	v_cmp_eq_u32_e64 s10, 0, v26
	v_add_co_ci_u32_e64 v37, s16, 0, v13, s16
	v_sub_nc_u32_e32 v194, v11, v10
	v_dual_mov_b32 v15, s21 :: v_dual_mov_b32 v16, s22
	v_mov_b32_e32 v17, s23
	s_mov_b32 s24, -1
	s_brev_b32 s25, -2
	s_waitcnt lgkmcnt(0)
	s_waitcnt_vscnt null, 0x0
	s_barrier
	buffer_gl0_inv
	s_branch .LBB1228_172
.LBB1228_171:                           ;   in Loop: Header=BB1228_172 Depth=1
	s_or_b32 exec_lo, exec_lo, s17
	s_delay_alu instid0(SALU_CYCLE_1) | instskip(NEXT) | instid1(SALU_CYCLE_1)
	s_and_b32 s16, exec_lo, s18
	s_or_b32 s20, s16, s20
	s_delay_alu instid0(SALU_CYCLE_1)
	s_and_not1_b32 exec_lo, exec_lo, s20
	s_cbranch_execz .LBB1228_226
.LBB1228_172:                           ; =>This Inner Loop Header: Depth=1
	v_dual_mov_b32 v66, v148 :: v_dual_mov_b32 v67, v149
	v_min_u32_e32 v0, s27, v194
	v_dual_mov_b32 v64, v116 :: v_dual_mov_b32 v49, v23
	v_mov_b32_e32 v48, v22
	s_delay_alu instid0(VALU_DEP_4) | instskip(NEXT) | instid1(VALU_DEP_4)
	v_cmp_ne_u64_e64 s16, s[24:25], v[66:67]
	v_lshlrev_b32_e64 v0, v0, -1
	v_mov_b32_e32 v98, v114
	v_mov_b32_e32 v96, v128
	;; [unrolled: 1-line block ×4, first 2 shown]
	v_cndmask_b32_e64 v39, 0x80000000, v67, s16
	v_cndmask_b32_e64 v38, 0, v66, s16
	v_not_b32_e32 v148, v0
	v_mov_b32_e32 v100, v146
	v_mov_b32_e32 v52, v132
	v_dual_mov_b32 v54, v118 :: v_dual_mov_b32 v53, v133
	v_lshrrev_b64 v[50:51], v10, v[38:39]
	v_dual_mov_b32 v38, v102 :: v_dual_mov_b32 v39, v103
	v_mov_b32_e32 v65, v117
	v_mov_b32_e32 v55, v119
	s_clause 0x1
	flat_store_b128 v[4:5], v[14:17] offset:32
	flat_store_b128 v[8:9], v[14:17] offset:16
	v_and_b32_e32 v0, v50, v148
	v_dual_mov_b32 v50, v134 :: v_dual_mov_b32 v51, v135
	s_waitcnt lgkmcnt(0)
	s_waitcnt_vscnt null, 0x0
	s_barrier
	v_lshlrev_b32_e32 v23, 30, v0
	v_and_b32_e32 v22, 1, v0
	v_lshlrev_b32_e32 v68, 29, v0
	v_lshlrev_b32_e32 v69, 28, v0
	;; [unrolled: 1-line block ×3, first 2 shown]
	v_not_b32_e32 v82, v23
	v_add_co_u32 v22, s16, v22, -1
	s_delay_alu instid0(VALU_DEP_1)
	v_cndmask_b32_e64 v70, 0, 1, s16
	v_cmp_gt_i32_e64 s17, 0, v23
	v_not_b32_e32 v23, v68
	v_ashrrev_i32_e32 v82, 31, v82
	v_lshlrev_b32_e32 v80, 26, v0
	v_cmp_ne_u32_e64 s16, 0, v70
	v_lshlrev_b32_e32 v81, 25, v0
	v_ashrrev_i32_e32 v23, 31, v23
	v_xor_b32_e32 v82, s17, v82
	v_cmp_gt_i32_e64 s17, 0, v69
	v_xor_b32_e32 v22, s16, v22
	v_cmp_gt_i32_e64 s16, 0, v68
	v_not_b32_e32 v68, v69
	v_not_b32_e32 v69, v71
	s_delay_alu instid0(VALU_DEP_4) | instskip(NEXT) | instid1(VALU_DEP_4)
	v_dual_mov_b32 v99, v115 :: v_dual_and_b32 v22, exec_lo, v22
	v_xor_b32_e32 v23, s16, v23
	s_delay_alu instid0(VALU_DEP_4) | instskip(SKIP_3) | instid1(VALU_DEP_4)
	v_ashrrev_i32_e32 v68, 31, v68
	v_cmp_gt_i32_e64 s16, 0, v71
	v_ashrrev_i32_e32 v69, 31, v69
	v_dual_mov_b32 v97, v129 :: v_dual_and_b32 v22, v22, v82
	v_xor_b32_e32 v68, s17, v68
	v_mov_b32_e32 v83, v25
	v_not_b32_e32 v71, v80
	s_delay_alu instid0(VALU_DEP_4) | instskip(SKIP_2) | instid1(VALU_DEP_4)
	v_dual_mov_b32 v87, v131 :: v_dual_and_b32 v22, v22, v23
	v_lshlrev_b32_e32 v70, 24, v0
	v_cmp_gt_i32_e64 s17, 0, v80
	v_ashrrev_i32_e32 v71, 31, v71
	v_xor_b32_e32 v69, s16, v69
	v_dual_mov_b32 v85, v145 :: v_dual_and_b32 v22, v22, v68
	v_mov_b32_e32 v82, v24
	v_not_b32_e32 v23, v81
	v_cmp_gt_i32_e64 s16, 0, v81
	v_not_b32_e32 v80, v70
	v_xor_b32_e32 v71, s17, v71
	v_dual_mov_b32 v101, v147 :: v_dual_and_b32 v22, v22, v69
	v_ashrrev_i32_e32 v23, 31, v23
	v_dual_mov_b32 v69, v19 :: v_dual_mov_b32 v68, v18
	v_ashrrev_i32_e32 v18, 31, v80
	s_delay_alu instid0(VALU_DEP_4) | instskip(NEXT) | instid1(VALU_DEP_4)
	v_and_b32_e32 v22, v22, v71
	v_xor_b32_e32 v19, s16, v23
	v_dual_mov_b32 v80, v112 :: v_dual_mov_b32 v81, v113
	v_cmp_gt_i32_e64 s17, 0, v70
	v_lshl_add_u32 v0, v0, 3, v192
	s_delay_alu instid0(VALU_DEP_4) | instskip(SKIP_1) | instid1(VALU_DEP_4)
	v_and_b32_e32 v19, v22, v19
	v_dual_mov_b32 v71, v21 :: v_dual_mov_b32 v70, v20
	v_xor_b32_e32 v18, s17, v18
	buffer_gl0_inv
	; wave barrier
	v_and_b32_e32 v18, v19, v18
	v_lshlrev_b64 v[19:20], 2, v[0:1]
	s_delay_alu instid0(VALU_DEP_2) | instskip(SKIP_1) | instid1(VALU_DEP_3)
	v_mbcnt_lo_u32_b32 v134, v18, 0
	v_cmp_ne_u32_e64 s16, 0, v18
	v_add_co_u32 v102, s18, v182, v19
	s_delay_alu instid0(VALU_DEP_1) | instskip(NEXT) | instid1(VALU_DEP_4)
	v_add_co_ci_u32_e64 v103, s18, v183, v20, s18
	v_cmp_eq_u32_e64 s17, 0, v134
	s_delay_alu instid0(VALU_DEP_1) | instskip(NEXT) | instid1(SALU_CYCLE_1)
	s_and_b32 s17, s16, s17
	s_and_saveexec_b32 s16, s17
	s_cbranch_execz .LBB1228_174
; %bb.173:                              ;   in Loop: Header=BB1228_172 Depth=1
	v_bcnt_u32_b32 v0, v18, 0
	flat_store_b32 v[102:103], v0
.LBB1228_174:                           ;   in Loop: Header=BB1228_172 Depth=1
	s_or_b32 exec_lo, exec_lo, s16
	v_cmp_ne_u64_e64 s16, s[24:25], v[82:83]
	; wave barrier
	s_delay_alu instid0(VALU_DEP_1) | instskip(SKIP_1) | instid1(VALU_DEP_1)
	v_cndmask_b32_e64 v19, 0x80000000, v83, s16
	v_cndmask_b32_e64 v18, 0, v82, s16
	v_lshrrev_b64 v[18:19], v10, v[18:19]
	s_delay_alu instid0(VALU_DEP_1) | instskip(NEXT) | instid1(VALU_DEP_1)
	v_and_b32_e32 v20, v18, v148
	v_lshl_add_u32 v0, v20, 3, v192
	v_lshlrev_b32_e32 v21, 29, v20
	v_lshlrev_b32_e32 v22, 28, v20
	s_delay_alu instid0(VALU_DEP_3) | instskip(SKIP_1) | instid1(VALU_DEP_2)
	v_lshlrev_b64 v[18:19], 2, v[0:1]
	v_and_b32_e32 v0, 1, v20
	v_add_co_u32 v112, s16, v182, v18
	s_delay_alu instid0(VALU_DEP_1) | instskip(NEXT) | instid1(VALU_DEP_3)
	v_add_co_ci_u32_e64 v113, s16, v183, v19, s16
	v_add_co_u32 v0, s16, v0, -1
	s_delay_alu instid0(VALU_DEP_1) | instskip(SKIP_3) | instid1(VALU_DEP_2)
	v_cndmask_b32_e64 v18, 0, 1, s16
	flat_load_b32 v135, v[112:113]
	v_lshlrev_b32_e32 v19, 30, v20
	; wave barrier
	v_cmp_ne_u32_e64 s16, 0, v18
	v_not_b32_e32 v18, v19
	s_delay_alu instid0(VALU_DEP_2) | instskip(SKIP_1) | instid1(VALU_DEP_3)
	v_xor_b32_e32 v0, s16, v0
	v_cmp_gt_i32_e64 s16, 0, v19
	v_ashrrev_i32_e32 v18, 31, v18
	v_not_b32_e32 v19, v21
	s_delay_alu instid0(VALU_DEP_4) | instskip(NEXT) | instid1(VALU_DEP_3)
	v_and_b32_e32 v0, exec_lo, v0
	v_xor_b32_e32 v18, s16, v18
	v_cmp_gt_i32_e64 s16, 0, v21
	s_delay_alu instid0(VALU_DEP_4) | instskip(SKIP_1) | instid1(VALU_DEP_4)
	v_ashrrev_i32_e32 v19, 31, v19
	v_not_b32_e32 v21, v22
	v_and_b32_e32 v0, v0, v18
	v_lshlrev_b32_e32 v18, 27, v20
	s_delay_alu instid0(VALU_DEP_4) | instskip(SKIP_2) | instid1(VALU_DEP_4)
	v_xor_b32_e32 v19, s16, v19
	v_cmp_gt_i32_e64 s16, 0, v22
	v_ashrrev_i32_e32 v21, 31, v21
	v_not_b32_e32 v22, v18
	s_delay_alu instid0(VALU_DEP_4) | instskip(SKIP_1) | instid1(VALU_DEP_4)
	v_and_b32_e32 v0, v0, v19
	v_lshlrev_b32_e32 v19, 26, v20
	v_xor_b32_e32 v21, s16, v21
	v_cmp_gt_i32_e64 s16, 0, v18
	v_ashrrev_i32_e32 v18, 31, v22
	s_delay_alu instid0(VALU_DEP_4) | instskip(NEXT) | instid1(VALU_DEP_4)
	v_not_b32_e32 v22, v19
	v_and_b32_e32 v0, v0, v21
	v_lshlrev_b32_e32 v21, 25, v20
	s_delay_alu instid0(VALU_DEP_4) | instskip(SKIP_2) | instid1(VALU_DEP_4)
	v_xor_b32_e32 v18, s16, v18
	v_cmp_gt_i32_e64 s16, 0, v19
	v_ashrrev_i32_e32 v19, 31, v22
	v_not_b32_e32 v22, v21
	s_delay_alu instid0(VALU_DEP_4) | instskip(SKIP_1) | instid1(VALU_DEP_4)
	v_and_b32_e32 v0, v0, v18
	v_lshlrev_b32_e32 v18, 24, v20
	v_xor_b32_e32 v19, s16, v19
	v_cmp_gt_i32_e64 s16, 0, v21
	v_ashrrev_i32_e32 v20, 31, v22
	s_delay_alu instid0(VALU_DEP_4) | instskip(NEXT) | instid1(VALU_DEP_4)
	v_not_b32_e32 v21, v18
	v_and_b32_e32 v0, v0, v19
	s_delay_alu instid0(VALU_DEP_3) | instskip(SKIP_1) | instid1(VALU_DEP_4)
	v_xor_b32_e32 v19, s16, v20
	v_cmp_gt_i32_e64 s16, 0, v18
	v_ashrrev_i32_e32 v18, 31, v21
	s_delay_alu instid0(VALU_DEP_3) | instskip(NEXT) | instid1(VALU_DEP_2)
	v_and_b32_e32 v0, v0, v19
	v_xor_b32_e32 v18, s16, v18
	s_delay_alu instid0(VALU_DEP_1) | instskip(NEXT) | instid1(VALU_DEP_1)
	v_and_b32_e32 v0, v0, v18
	v_mbcnt_lo_u32_b32 v144, v0, 0
	v_cmp_ne_u32_e64 s17, 0, v0
	s_delay_alu instid0(VALU_DEP_2) | instskip(NEXT) | instid1(VALU_DEP_1)
	v_cmp_eq_u32_e64 s16, 0, v144
	s_and_b32 s17, s17, s16
	s_delay_alu instid0(SALU_CYCLE_1)
	s_and_saveexec_b32 s16, s17
	s_cbranch_execz .LBB1228_176
; %bb.175:                              ;   in Loop: Header=BB1228_172 Depth=1
	s_waitcnt vmcnt(0) lgkmcnt(0)
	v_bcnt_u32_b32 v0, v0, v135
	flat_store_b32 v[112:113], v0
.LBB1228_176:                           ;   in Loop: Header=BB1228_172 Depth=1
	s_or_b32 exec_lo, exec_lo, s16
	v_cmp_ne_u64_e64 s16, s[24:25], v[80:81]
	; wave barrier
	s_delay_alu instid0(VALU_DEP_1) | instskip(SKIP_1) | instid1(VALU_DEP_1)
	v_cndmask_b32_e64 v19, 0x80000000, v81, s16
	v_cndmask_b32_e64 v18, 0, v80, s16
	v_lshrrev_b64 v[18:19], v10, v[18:19]
	s_delay_alu instid0(VALU_DEP_1) | instskip(NEXT) | instid1(VALU_DEP_1)
	v_and_b32_e32 v20, v18, v148
	v_lshl_add_u32 v0, v20, 3, v192
	v_lshlrev_b32_e32 v21, 29, v20
	v_lshlrev_b32_e32 v22, 28, v20
	s_delay_alu instid0(VALU_DEP_3) | instskip(SKIP_1) | instid1(VALU_DEP_2)
	v_lshlrev_b64 v[18:19], 2, v[0:1]
	v_and_b32_e32 v0, 1, v20
	v_add_co_u32 v114, s16, v182, v18
	s_delay_alu instid0(VALU_DEP_1) | instskip(NEXT) | instid1(VALU_DEP_3)
	v_add_co_ci_u32_e64 v115, s16, v183, v19, s16
	v_add_co_u32 v0, s16, v0, -1
	s_delay_alu instid0(VALU_DEP_1) | instskip(SKIP_3) | instid1(VALU_DEP_2)
	v_cndmask_b32_e64 v18, 0, 1, s16
	flat_load_b32 v145, v[114:115]
	v_lshlrev_b32_e32 v19, 30, v20
	; wave barrier
	v_cmp_ne_u32_e64 s16, 0, v18
	v_not_b32_e32 v18, v19
	s_delay_alu instid0(VALU_DEP_2) | instskip(SKIP_1) | instid1(VALU_DEP_3)
	v_xor_b32_e32 v0, s16, v0
	v_cmp_gt_i32_e64 s16, 0, v19
	v_ashrrev_i32_e32 v18, 31, v18
	v_not_b32_e32 v19, v21
	s_delay_alu instid0(VALU_DEP_4) | instskip(NEXT) | instid1(VALU_DEP_3)
	v_and_b32_e32 v0, exec_lo, v0
	v_xor_b32_e32 v18, s16, v18
	v_cmp_gt_i32_e64 s16, 0, v21
	s_delay_alu instid0(VALU_DEP_4) | instskip(SKIP_1) | instid1(VALU_DEP_4)
	v_ashrrev_i32_e32 v19, 31, v19
	v_not_b32_e32 v21, v22
	v_and_b32_e32 v0, v0, v18
	v_lshlrev_b32_e32 v18, 27, v20
	s_delay_alu instid0(VALU_DEP_4) | instskip(SKIP_2) | instid1(VALU_DEP_4)
	v_xor_b32_e32 v19, s16, v19
	v_cmp_gt_i32_e64 s16, 0, v22
	v_ashrrev_i32_e32 v21, 31, v21
	v_not_b32_e32 v22, v18
	s_delay_alu instid0(VALU_DEP_4) | instskip(SKIP_1) | instid1(VALU_DEP_4)
	v_and_b32_e32 v0, v0, v19
	v_lshlrev_b32_e32 v19, 26, v20
	v_xor_b32_e32 v21, s16, v21
	v_cmp_gt_i32_e64 s16, 0, v18
	v_ashrrev_i32_e32 v18, 31, v22
	s_delay_alu instid0(VALU_DEP_4) | instskip(NEXT) | instid1(VALU_DEP_4)
	v_not_b32_e32 v22, v19
	v_and_b32_e32 v0, v0, v21
	v_lshlrev_b32_e32 v21, 25, v20
	s_delay_alu instid0(VALU_DEP_4) | instskip(SKIP_2) | instid1(VALU_DEP_4)
	v_xor_b32_e32 v18, s16, v18
	v_cmp_gt_i32_e64 s16, 0, v19
	v_ashrrev_i32_e32 v19, 31, v22
	v_not_b32_e32 v22, v21
	s_delay_alu instid0(VALU_DEP_4) | instskip(SKIP_1) | instid1(VALU_DEP_4)
	v_and_b32_e32 v0, v0, v18
	v_lshlrev_b32_e32 v18, 24, v20
	v_xor_b32_e32 v19, s16, v19
	v_cmp_gt_i32_e64 s16, 0, v21
	v_ashrrev_i32_e32 v20, 31, v22
	s_delay_alu instid0(VALU_DEP_4) | instskip(NEXT) | instid1(VALU_DEP_4)
	v_not_b32_e32 v21, v18
	v_and_b32_e32 v0, v0, v19
	s_delay_alu instid0(VALU_DEP_3) | instskip(SKIP_1) | instid1(VALU_DEP_4)
	v_xor_b32_e32 v19, s16, v20
	v_cmp_gt_i32_e64 s16, 0, v18
	v_ashrrev_i32_e32 v18, 31, v21
	s_delay_alu instid0(VALU_DEP_3) | instskip(NEXT) | instid1(VALU_DEP_2)
	v_and_b32_e32 v0, v0, v19
	v_xor_b32_e32 v18, s16, v18
	s_delay_alu instid0(VALU_DEP_1) | instskip(NEXT) | instid1(VALU_DEP_1)
	v_and_b32_e32 v0, v0, v18
	v_mbcnt_lo_u32_b32 v146, v0, 0
	v_cmp_ne_u32_e64 s17, 0, v0
	s_delay_alu instid0(VALU_DEP_2) | instskip(NEXT) | instid1(VALU_DEP_1)
	v_cmp_eq_u32_e64 s16, 0, v146
	s_and_b32 s17, s17, s16
	s_delay_alu instid0(SALU_CYCLE_1)
	s_and_saveexec_b32 s16, s17
	s_cbranch_execz .LBB1228_178
; %bb.177:                              ;   in Loop: Header=BB1228_172 Depth=1
	s_waitcnt vmcnt(0) lgkmcnt(0)
	v_bcnt_u32_b32 v0, v0, v145
	flat_store_b32 v[114:115], v0
.LBB1228_178:                           ;   in Loop: Header=BB1228_172 Depth=1
	s_or_b32 exec_lo, exec_lo, s16
	v_cmp_ne_u64_e64 s16, s[24:25], v[98:99]
	; wave barrier
	s_delay_alu instid0(VALU_DEP_1) | instskip(SKIP_1) | instid1(VALU_DEP_1)
	v_cndmask_b32_e64 v19, 0x80000000, v99, s16
	v_cndmask_b32_e64 v18, 0, v98, s16
	v_lshrrev_b64 v[18:19], v10, v[18:19]
	s_delay_alu instid0(VALU_DEP_1) | instskip(NEXT) | instid1(VALU_DEP_1)
	v_and_b32_e32 v20, v18, v148
	v_lshl_add_u32 v0, v20, 3, v192
	v_lshlrev_b32_e32 v21, 29, v20
	v_lshlrev_b32_e32 v22, 28, v20
	s_delay_alu instid0(VALU_DEP_3) | instskip(SKIP_1) | instid1(VALU_DEP_2)
	v_lshlrev_b64 v[18:19], 2, v[0:1]
	v_and_b32_e32 v0, 1, v20
	v_add_co_u32 v116, s16, v182, v18
	s_delay_alu instid0(VALU_DEP_1) | instskip(NEXT) | instid1(VALU_DEP_3)
	v_add_co_ci_u32_e64 v117, s16, v183, v19, s16
	v_add_co_u32 v0, s16, v0, -1
	s_delay_alu instid0(VALU_DEP_1) | instskip(SKIP_3) | instid1(VALU_DEP_2)
	v_cndmask_b32_e64 v18, 0, 1, s16
	flat_load_b32 v147, v[116:117]
	v_lshlrev_b32_e32 v19, 30, v20
	; wave barrier
	v_cmp_ne_u32_e64 s16, 0, v18
	v_not_b32_e32 v18, v19
	s_delay_alu instid0(VALU_DEP_2) | instskip(SKIP_1) | instid1(VALU_DEP_3)
	v_xor_b32_e32 v0, s16, v0
	v_cmp_gt_i32_e64 s16, 0, v19
	v_ashrrev_i32_e32 v18, 31, v18
	v_not_b32_e32 v19, v21
	s_delay_alu instid0(VALU_DEP_4) | instskip(NEXT) | instid1(VALU_DEP_3)
	v_and_b32_e32 v0, exec_lo, v0
	v_xor_b32_e32 v18, s16, v18
	v_cmp_gt_i32_e64 s16, 0, v21
	s_delay_alu instid0(VALU_DEP_4) | instskip(SKIP_1) | instid1(VALU_DEP_4)
	v_ashrrev_i32_e32 v19, 31, v19
	v_not_b32_e32 v21, v22
	v_and_b32_e32 v0, v0, v18
	v_lshlrev_b32_e32 v18, 27, v20
	s_delay_alu instid0(VALU_DEP_4) | instskip(SKIP_2) | instid1(VALU_DEP_4)
	v_xor_b32_e32 v19, s16, v19
	v_cmp_gt_i32_e64 s16, 0, v22
	v_ashrrev_i32_e32 v21, 31, v21
	v_not_b32_e32 v22, v18
	s_delay_alu instid0(VALU_DEP_4) | instskip(SKIP_1) | instid1(VALU_DEP_4)
	v_and_b32_e32 v0, v0, v19
	v_lshlrev_b32_e32 v19, 26, v20
	v_xor_b32_e32 v21, s16, v21
	v_cmp_gt_i32_e64 s16, 0, v18
	v_ashrrev_i32_e32 v18, 31, v22
	s_delay_alu instid0(VALU_DEP_4) | instskip(NEXT) | instid1(VALU_DEP_4)
	v_not_b32_e32 v22, v19
	v_and_b32_e32 v0, v0, v21
	v_lshlrev_b32_e32 v21, 25, v20
	s_delay_alu instid0(VALU_DEP_4) | instskip(SKIP_2) | instid1(VALU_DEP_4)
	v_xor_b32_e32 v18, s16, v18
	v_cmp_gt_i32_e64 s16, 0, v19
	v_ashrrev_i32_e32 v19, 31, v22
	v_not_b32_e32 v22, v21
	s_delay_alu instid0(VALU_DEP_4) | instskip(SKIP_1) | instid1(VALU_DEP_4)
	v_and_b32_e32 v0, v0, v18
	v_lshlrev_b32_e32 v18, 24, v20
	v_xor_b32_e32 v19, s16, v19
	v_cmp_gt_i32_e64 s16, 0, v21
	v_ashrrev_i32_e32 v20, 31, v22
	s_delay_alu instid0(VALU_DEP_4) | instskip(NEXT) | instid1(VALU_DEP_4)
	v_not_b32_e32 v21, v18
	v_and_b32_e32 v0, v0, v19
	s_delay_alu instid0(VALU_DEP_3) | instskip(SKIP_1) | instid1(VALU_DEP_4)
	v_xor_b32_e32 v19, s16, v20
	v_cmp_gt_i32_e64 s16, 0, v18
	v_ashrrev_i32_e32 v18, 31, v21
	s_delay_alu instid0(VALU_DEP_3) | instskip(NEXT) | instid1(VALU_DEP_2)
	v_and_b32_e32 v0, v0, v19
	v_xor_b32_e32 v18, s16, v18
	s_delay_alu instid0(VALU_DEP_1) | instskip(NEXT) | instid1(VALU_DEP_1)
	v_and_b32_e32 v0, v0, v18
	v_mbcnt_lo_u32_b32 v149, v0, 0
	v_cmp_ne_u32_e64 s17, 0, v0
	s_delay_alu instid0(VALU_DEP_2) | instskip(NEXT) | instid1(VALU_DEP_1)
	v_cmp_eq_u32_e64 s16, 0, v149
	s_and_b32 s17, s17, s16
	s_delay_alu instid0(SALU_CYCLE_1)
	s_and_saveexec_b32 s16, s17
	s_cbranch_execz .LBB1228_180
; %bb.179:                              ;   in Loop: Header=BB1228_172 Depth=1
	s_waitcnt vmcnt(0) lgkmcnt(0)
	v_bcnt_u32_b32 v0, v0, v147
	flat_store_b32 v[116:117], v0
.LBB1228_180:                           ;   in Loop: Header=BB1228_172 Depth=1
	s_or_b32 exec_lo, exec_lo, s16
	v_cmp_ne_u64_e64 s16, s[24:25], v[96:97]
	; wave barrier
	s_delay_alu instid0(VALU_DEP_1) | instskip(SKIP_1) | instid1(VALU_DEP_1)
	v_cndmask_b32_e64 v19, 0x80000000, v97, s16
	v_cndmask_b32_e64 v18, 0, v96, s16
	v_lshrrev_b64 v[18:19], v10, v[18:19]
	s_delay_alu instid0(VALU_DEP_1) | instskip(NEXT) | instid1(VALU_DEP_1)
	v_and_b32_e32 v20, v18, v148
	v_lshl_add_u32 v0, v20, 3, v192
	v_lshlrev_b32_e32 v21, 29, v20
	v_lshlrev_b32_e32 v22, 28, v20
	s_delay_alu instid0(VALU_DEP_3) | instskip(SKIP_1) | instid1(VALU_DEP_2)
	v_lshlrev_b64 v[18:19], 2, v[0:1]
	v_and_b32_e32 v0, 1, v20
	v_add_co_u32 v118, s16, v182, v18
	s_delay_alu instid0(VALU_DEP_1) | instskip(NEXT) | instid1(VALU_DEP_3)
	v_add_co_ci_u32_e64 v119, s16, v183, v19, s16
	v_add_co_u32 v0, s16, v0, -1
	s_delay_alu instid0(VALU_DEP_1) | instskip(SKIP_3) | instid1(VALU_DEP_2)
	v_cndmask_b32_e64 v18, 0, 1, s16
	flat_load_b32 v150, v[118:119]
	v_lshlrev_b32_e32 v19, 30, v20
	; wave barrier
	v_cmp_ne_u32_e64 s16, 0, v18
	v_not_b32_e32 v18, v19
	s_delay_alu instid0(VALU_DEP_2) | instskip(SKIP_1) | instid1(VALU_DEP_3)
	v_xor_b32_e32 v0, s16, v0
	v_cmp_gt_i32_e64 s16, 0, v19
	v_ashrrev_i32_e32 v18, 31, v18
	v_not_b32_e32 v19, v21
	s_delay_alu instid0(VALU_DEP_4) | instskip(NEXT) | instid1(VALU_DEP_3)
	v_and_b32_e32 v0, exec_lo, v0
	v_xor_b32_e32 v18, s16, v18
	v_cmp_gt_i32_e64 s16, 0, v21
	s_delay_alu instid0(VALU_DEP_4) | instskip(SKIP_1) | instid1(VALU_DEP_4)
	v_ashrrev_i32_e32 v19, 31, v19
	v_not_b32_e32 v21, v22
	v_and_b32_e32 v0, v0, v18
	v_lshlrev_b32_e32 v18, 27, v20
	s_delay_alu instid0(VALU_DEP_4) | instskip(SKIP_2) | instid1(VALU_DEP_4)
	v_xor_b32_e32 v19, s16, v19
	v_cmp_gt_i32_e64 s16, 0, v22
	v_ashrrev_i32_e32 v21, 31, v21
	v_not_b32_e32 v22, v18
	s_delay_alu instid0(VALU_DEP_4) | instskip(SKIP_1) | instid1(VALU_DEP_4)
	v_and_b32_e32 v0, v0, v19
	v_lshlrev_b32_e32 v19, 26, v20
	v_xor_b32_e32 v21, s16, v21
	v_cmp_gt_i32_e64 s16, 0, v18
	v_ashrrev_i32_e32 v18, 31, v22
	s_delay_alu instid0(VALU_DEP_4) | instskip(NEXT) | instid1(VALU_DEP_4)
	v_not_b32_e32 v22, v19
	v_and_b32_e32 v0, v0, v21
	v_lshlrev_b32_e32 v21, 25, v20
	s_delay_alu instid0(VALU_DEP_4) | instskip(SKIP_2) | instid1(VALU_DEP_4)
	v_xor_b32_e32 v18, s16, v18
	v_cmp_gt_i32_e64 s16, 0, v19
	v_ashrrev_i32_e32 v19, 31, v22
	v_not_b32_e32 v22, v21
	s_delay_alu instid0(VALU_DEP_4) | instskip(SKIP_1) | instid1(VALU_DEP_4)
	v_and_b32_e32 v0, v0, v18
	v_lshlrev_b32_e32 v18, 24, v20
	v_xor_b32_e32 v19, s16, v19
	v_cmp_gt_i32_e64 s16, 0, v21
	v_ashrrev_i32_e32 v20, 31, v22
	s_delay_alu instid0(VALU_DEP_4) | instskip(NEXT) | instid1(VALU_DEP_4)
	v_not_b32_e32 v21, v18
	v_and_b32_e32 v0, v0, v19
	s_delay_alu instid0(VALU_DEP_3) | instskip(SKIP_1) | instid1(VALU_DEP_4)
	v_xor_b32_e32 v19, s16, v20
	v_cmp_gt_i32_e64 s16, 0, v18
	v_ashrrev_i32_e32 v18, 31, v21
	s_delay_alu instid0(VALU_DEP_3) | instskip(NEXT) | instid1(VALU_DEP_2)
	v_and_b32_e32 v0, v0, v19
	v_xor_b32_e32 v18, s16, v18
	s_delay_alu instid0(VALU_DEP_1) | instskip(NEXT) | instid1(VALU_DEP_1)
	v_and_b32_e32 v0, v0, v18
	v_mbcnt_lo_u32_b32 v151, v0, 0
	v_cmp_ne_u32_e64 s17, 0, v0
	s_delay_alu instid0(VALU_DEP_2) | instskip(NEXT) | instid1(VALU_DEP_1)
	v_cmp_eq_u32_e64 s16, 0, v151
	s_and_b32 s17, s17, s16
	s_delay_alu instid0(SALU_CYCLE_1)
	s_and_saveexec_b32 s16, s17
	s_cbranch_execz .LBB1228_182
; %bb.181:                              ;   in Loop: Header=BB1228_172 Depth=1
	s_waitcnt vmcnt(0) lgkmcnt(0)
	v_bcnt_u32_b32 v0, v0, v150
	flat_store_b32 v[118:119], v0
.LBB1228_182:                           ;   in Loop: Header=BB1228_172 Depth=1
	s_or_b32 exec_lo, exec_lo, s16
	v_cmp_ne_u64_e64 s16, s[24:25], v[86:87]
	; wave barrier
	s_delay_alu instid0(VALU_DEP_1) | instskip(SKIP_1) | instid1(VALU_DEP_1)
	v_cndmask_b32_e64 v19, 0x80000000, v87, s16
	v_cndmask_b32_e64 v18, 0, v86, s16
	v_lshrrev_b64 v[18:19], v10, v[18:19]
	s_delay_alu instid0(VALU_DEP_1) | instskip(NEXT) | instid1(VALU_DEP_1)
	v_and_b32_e32 v20, v18, v148
	v_lshl_add_u32 v0, v20, 3, v192
	v_lshlrev_b32_e32 v21, 29, v20
	v_lshlrev_b32_e32 v22, 28, v20
	s_delay_alu instid0(VALU_DEP_3) | instskip(SKIP_1) | instid1(VALU_DEP_2)
	v_lshlrev_b64 v[18:19], 2, v[0:1]
	v_and_b32_e32 v0, 1, v20
	v_add_co_u32 v128, s16, v182, v18
	s_delay_alu instid0(VALU_DEP_1) | instskip(NEXT) | instid1(VALU_DEP_3)
	v_add_co_ci_u32_e64 v129, s16, v183, v19, s16
	v_add_co_u32 v0, s16, v0, -1
	s_delay_alu instid0(VALU_DEP_1) | instskip(SKIP_3) | instid1(VALU_DEP_2)
	v_cndmask_b32_e64 v18, 0, 1, s16
	flat_load_b32 v160, v[128:129]
	v_lshlrev_b32_e32 v19, 30, v20
	; wave barrier
	v_cmp_ne_u32_e64 s16, 0, v18
	v_not_b32_e32 v18, v19
	s_delay_alu instid0(VALU_DEP_2) | instskip(SKIP_1) | instid1(VALU_DEP_3)
	v_xor_b32_e32 v0, s16, v0
	v_cmp_gt_i32_e64 s16, 0, v19
	v_ashrrev_i32_e32 v18, 31, v18
	v_not_b32_e32 v19, v21
	s_delay_alu instid0(VALU_DEP_4) | instskip(NEXT) | instid1(VALU_DEP_3)
	v_and_b32_e32 v0, exec_lo, v0
	v_xor_b32_e32 v18, s16, v18
	v_cmp_gt_i32_e64 s16, 0, v21
	s_delay_alu instid0(VALU_DEP_4) | instskip(SKIP_1) | instid1(VALU_DEP_4)
	v_ashrrev_i32_e32 v19, 31, v19
	v_not_b32_e32 v21, v22
	v_and_b32_e32 v0, v0, v18
	v_lshlrev_b32_e32 v18, 27, v20
	s_delay_alu instid0(VALU_DEP_4) | instskip(SKIP_2) | instid1(VALU_DEP_4)
	v_xor_b32_e32 v19, s16, v19
	v_cmp_gt_i32_e64 s16, 0, v22
	v_ashrrev_i32_e32 v21, 31, v21
	v_not_b32_e32 v22, v18
	s_delay_alu instid0(VALU_DEP_4) | instskip(SKIP_1) | instid1(VALU_DEP_4)
	v_and_b32_e32 v0, v0, v19
	v_lshlrev_b32_e32 v19, 26, v20
	v_xor_b32_e32 v21, s16, v21
	v_cmp_gt_i32_e64 s16, 0, v18
	v_ashrrev_i32_e32 v18, 31, v22
	s_delay_alu instid0(VALU_DEP_4) | instskip(NEXT) | instid1(VALU_DEP_4)
	v_not_b32_e32 v22, v19
	v_and_b32_e32 v0, v0, v21
	v_lshlrev_b32_e32 v21, 25, v20
	s_delay_alu instid0(VALU_DEP_4) | instskip(SKIP_2) | instid1(VALU_DEP_4)
	v_xor_b32_e32 v18, s16, v18
	v_cmp_gt_i32_e64 s16, 0, v19
	v_ashrrev_i32_e32 v19, 31, v22
	v_not_b32_e32 v22, v21
	s_delay_alu instid0(VALU_DEP_4) | instskip(SKIP_1) | instid1(VALU_DEP_4)
	v_and_b32_e32 v0, v0, v18
	v_lshlrev_b32_e32 v18, 24, v20
	v_xor_b32_e32 v19, s16, v19
	v_cmp_gt_i32_e64 s16, 0, v21
	v_ashrrev_i32_e32 v20, 31, v22
	s_delay_alu instid0(VALU_DEP_4) | instskip(NEXT) | instid1(VALU_DEP_4)
	v_not_b32_e32 v21, v18
	v_and_b32_e32 v0, v0, v19
	s_delay_alu instid0(VALU_DEP_3) | instskip(SKIP_1) | instid1(VALU_DEP_4)
	v_xor_b32_e32 v19, s16, v20
	v_cmp_gt_i32_e64 s16, 0, v18
	v_ashrrev_i32_e32 v18, 31, v21
	s_delay_alu instid0(VALU_DEP_3) | instskip(NEXT) | instid1(VALU_DEP_2)
	v_and_b32_e32 v0, v0, v19
	v_xor_b32_e32 v18, s16, v18
	s_delay_alu instid0(VALU_DEP_1) | instskip(NEXT) | instid1(VALU_DEP_1)
	v_and_b32_e32 v0, v0, v18
	v_mbcnt_lo_u32_b32 v161, v0, 0
	v_cmp_ne_u32_e64 s17, 0, v0
	s_delay_alu instid0(VALU_DEP_2) | instskip(NEXT) | instid1(VALU_DEP_1)
	v_cmp_eq_u32_e64 s16, 0, v161
	s_and_b32 s17, s17, s16
	s_delay_alu instid0(SALU_CYCLE_1)
	s_and_saveexec_b32 s16, s17
	s_cbranch_execz .LBB1228_184
; %bb.183:                              ;   in Loop: Header=BB1228_172 Depth=1
	s_waitcnt vmcnt(0) lgkmcnt(0)
	v_bcnt_u32_b32 v0, v0, v160
	flat_store_b32 v[128:129], v0
.LBB1228_184:                           ;   in Loop: Header=BB1228_172 Depth=1
	s_or_b32 exec_lo, exec_lo, s16
	v_cmp_ne_u64_e64 s16, s[24:25], v[84:85]
	; wave barrier
	s_delay_alu instid0(VALU_DEP_1) | instskip(SKIP_1) | instid1(VALU_DEP_1)
	v_cndmask_b32_e64 v19, 0x80000000, v85, s16
	v_cndmask_b32_e64 v18, 0, v84, s16
	v_lshrrev_b64 v[18:19], v10, v[18:19]
	s_delay_alu instid0(VALU_DEP_1) | instskip(NEXT) | instid1(VALU_DEP_1)
	v_and_b32_e32 v20, v18, v148
	v_lshl_add_u32 v0, v20, 3, v192
	v_lshlrev_b32_e32 v21, 29, v20
	v_lshlrev_b32_e32 v22, 28, v20
	s_delay_alu instid0(VALU_DEP_3) | instskip(SKIP_1) | instid1(VALU_DEP_2)
	v_lshlrev_b64 v[18:19], 2, v[0:1]
	v_and_b32_e32 v0, 1, v20
	v_add_co_u32 v130, s16, v182, v18
	s_delay_alu instid0(VALU_DEP_1) | instskip(NEXT) | instid1(VALU_DEP_3)
	v_add_co_ci_u32_e64 v131, s16, v183, v19, s16
	v_add_co_u32 v0, s16, v0, -1
	s_delay_alu instid0(VALU_DEP_1) | instskip(SKIP_3) | instid1(VALU_DEP_2)
	v_cndmask_b32_e64 v18, 0, 1, s16
	flat_load_b32 v162, v[130:131]
	v_lshlrev_b32_e32 v19, 30, v20
	; wave barrier
	v_cmp_ne_u32_e64 s16, 0, v18
	v_not_b32_e32 v18, v19
	s_delay_alu instid0(VALU_DEP_2) | instskip(SKIP_1) | instid1(VALU_DEP_3)
	v_xor_b32_e32 v0, s16, v0
	v_cmp_gt_i32_e64 s16, 0, v19
	v_ashrrev_i32_e32 v18, 31, v18
	v_not_b32_e32 v19, v21
	s_delay_alu instid0(VALU_DEP_4) | instskip(NEXT) | instid1(VALU_DEP_3)
	v_and_b32_e32 v0, exec_lo, v0
	v_xor_b32_e32 v18, s16, v18
	v_cmp_gt_i32_e64 s16, 0, v21
	s_delay_alu instid0(VALU_DEP_4) | instskip(SKIP_1) | instid1(VALU_DEP_4)
	v_ashrrev_i32_e32 v19, 31, v19
	v_not_b32_e32 v21, v22
	v_and_b32_e32 v0, v0, v18
	v_lshlrev_b32_e32 v18, 27, v20
	s_delay_alu instid0(VALU_DEP_4) | instskip(SKIP_2) | instid1(VALU_DEP_4)
	v_xor_b32_e32 v19, s16, v19
	v_cmp_gt_i32_e64 s16, 0, v22
	v_ashrrev_i32_e32 v21, 31, v21
	v_not_b32_e32 v22, v18
	s_delay_alu instid0(VALU_DEP_4) | instskip(SKIP_1) | instid1(VALU_DEP_4)
	v_and_b32_e32 v0, v0, v19
	v_lshlrev_b32_e32 v19, 26, v20
	v_xor_b32_e32 v21, s16, v21
	v_cmp_gt_i32_e64 s16, 0, v18
	v_ashrrev_i32_e32 v18, 31, v22
	s_delay_alu instid0(VALU_DEP_4) | instskip(NEXT) | instid1(VALU_DEP_4)
	v_not_b32_e32 v22, v19
	v_and_b32_e32 v0, v0, v21
	v_lshlrev_b32_e32 v21, 25, v20
	s_delay_alu instid0(VALU_DEP_4) | instskip(SKIP_2) | instid1(VALU_DEP_4)
	v_xor_b32_e32 v18, s16, v18
	v_cmp_gt_i32_e64 s16, 0, v19
	v_ashrrev_i32_e32 v19, 31, v22
	v_not_b32_e32 v22, v21
	s_delay_alu instid0(VALU_DEP_4) | instskip(SKIP_1) | instid1(VALU_DEP_4)
	v_and_b32_e32 v0, v0, v18
	v_lshlrev_b32_e32 v18, 24, v20
	v_xor_b32_e32 v19, s16, v19
	v_cmp_gt_i32_e64 s16, 0, v21
	v_ashrrev_i32_e32 v20, 31, v22
	s_delay_alu instid0(VALU_DEP_4) | instskip(NEXT) | instid1(VALU_DEP_4)
	v_not_b32_e32 v21, v18
	v_and_b32_e32 v0, v0, v19
	s_delay_alu instid0(VALU_DEP_3) | instskip(SKIP_1) | instid1(VALU_DEP_4)
	v_xor_b32_e32 v19, s16, v20
	v_cmp_gt_i32_e64 s16, 0, v18
	v_ashrrev_i32_e32 v18, 31, v21
	s_delay_alu instid0(VALU_DEP_3) | instskip(NEXT) | instid1(VALU_DEP_2)
	v_and_b32_e32 v0, v0, v19
	v_xor_b32_e32 v18, s16, v18
	s_delay_alu instid0(VALU_DEP_1) | instskip(NEXT) | instid1(VALU_DEP_1)
	v_and_b32_e32 v0, v0, v18
	v_mbcnt_lo_u32_b32 v163, v0, 0
	v_cmp_ne_u32_e64 s17, 0, v0
	s_delay_alu instid0(VALU_DEP_2) | instskip(NEXT) | instid1(VALU_DEP_1)
	v_cmp_eq_u32_e64 s16, 0, v163
	s_and_b32 s17, s17, s16
	s_delay_alu instid0(SALU_CYCLE_1)
	s_and_saveexec_b32 s16, s17
	s_cbranch_execz .LBB1228_186
; %bb.185:                              ;   in Loop: Header=BB1228_172 Depth=1
	s_waitcnt vmcnt(0) lgkmcnt(0)
	v_bcnt_u32_b32 v0, v0, v162
	flat_store_b32 v[130:131], v0
.LBB1228_186:                           ;   in Loop: Header=BB1228_172 Depth=1
	s_or_b32 exec_lo, exec_lo, s16
	v_cmp_ne_u64_e64 s16, s[24:25], v[100:101]
	; wave barrier
	s_delay_alu instid0(VALU_DEP_1) | instskip(SKIP_1) | instid1(VALU_DEP_1)
	v_cndmask_b32_e64 v19, 0x80000000, v101, s16
	v_cndmask_b32_e64 v18, 0, v100, s16
	v_lshrrev_b64 v[18:19], v10, v[18:19]
	s_delay_alu instid0(VALU_DEP_1) | instskip(NEXT) | instid1(VALU_DEP_1)
	v_and_b32_e32 v20, v18, v148
	v_lshl_add_u32 v0, v20, 3, v192
	v_lshlrev_b32_e32 v21, 29, v20
	v_lshlrev_b32_e32 v22, 28, v20
	s_delay_alu instid0(VALU_DEP_3) | instskip(SKIP_1) | instid1(VALU_DEP_2)
	v_lshlrev_b64 v[18:19], 2, v[0:1]
	v_and_b32_e32 v0, 1, v20
	v_add_co_u32 v132, s16, v182, v18
	s_delay_alu instid0(VALU_DEP_1) | instskip(NEXT) | instid1(VALU_DEP_3)
	v_add_co_ci_u32_e64 v133, s16, v183, v19, s16
	v_add_co_u32 v0, s16, v0, -1
	s_delay_alu instid0(VALU_DEP_1) | instskip(SKIP_3) | instid1(VALU_DEP_2)
	v_cndmask_b32_e64 v18, 0, 1, s16
	flat_load_b32 v148, v[132:133]
	v_lshlrev_b32_e32 v19, 30, v20
	; wave barrier
	v_cmp_ne_u32_e64 s16, 0, v18
	v_not_b32_e32 v18, v19
	s_delay_alu instid0(VALU_DEP_2) | instskip(SKIP_1) | instid1(VALU_DEP_3)
	v_xor_b32_e32 v0, s16, v0
	v_cmp_gt_i32_e64 s16, 0, v19
	v_ashrrev_i32_e32 v18, 31, v18
	v_not_b32_e32 v19, v21
	s_delay_alu instid0(VALU_DEP_4) | instskip(NEXT) | instid1(VALU_DEP_3)
	v_and_b32_e32 v0, exec_lo, v0
	v_xor_b32_e32 v18, s16, v18
	v_cmp_gt_i32_e64 s16, 0, v21
	s_delay_alu instid0(VALU_DEP_4) | instskip(SKIP_1) | instid1(VALU_DEP_4)
	v_ashrrev_i32_e32 v19, 31, v19
	v_not_b32_e32 v21, v22
	v_and_b32_e32 v0, v0, v18
	v_lshlrev_b32_e32 v18, 27, v20
	s_delay_alu instid0(VALU_DEP_4) | instskip(SKIP_2) | instid1(VALU_DEP_4)
	v_xor_b32_e32 v19, s16, v19
	v_cmp_gt_i32_e64 s16, 0, v22
	v_ashrrev_i32_e32 v21, 31, v21
	v_not_b32_e32 v22, v18
	s_delay_alu instid0(VALU_DEP_4) | instskip(SKIP_1) | instid1(VALU_DEP_4)
	v_and_b32_e32 v0, v0, v19
	v_lshlrev_b32_e32 v19, 26, v20
	v_xor_b32_e32 v21, s16, v21
	v_cmp_gt_i32_e64 s16, 0, v18
	v_ashrrev_i32_e32 v18, 31, v22
	s_delay_alu instid0(VALU_DEP_4) | instskip(NEXT) | instid1(VALU_DEP_4)
	v_not_b32_e32 v22, v19
	v_and_b32_e32 v0, v0, v21
	v_lshlrev_b32_e32 v21, 25, v20
	s_delay_alu instid0(VALU_DEP_4) | instskip(SKIP_2) | instid1(VALU_DEP_4)
	v_xor_b32_e32 v18, s16, v18
	v_cmp_gt_i32_e64 s16, 0, v19
	v_ashrrev_i32_e32 v19, 31, v22
	v_not_b32_e32 v22, v21
	s_delay_alu instid0(VALU_DEP_4) | instskip(SKIP_1) | instid1(VALU_DEP_4)
	v_and_b32_e32 v0, v0, v18
	v_lshlrev_b32_e32 v18, 24, v20
	v_xor_b32_e32 v19, s16, v19
	v_cmp_gt_i32_e64 s16, 0, v21
	v_ashrrev_i32_e32 v20, 31, v22
	s_delay_alu instid0(VALU_DEP_4) | instskip(NEXT) | instid1(VALU_DEP_4)
	v_not_b32_e32 v21, v18
	v_and_b32_e32 v0, v0, v19
	s_delay_alu instid0(VALU_DEP_3) | instskip(SKIP_1) | instid1(VALU_DEP_4)
	v_xor_b32_e32 v19, s16, v20
	v_cmp_gt_i32_e64 s16, 0, v18
	v_ashrrev_i32_e32 v18, 31, v21
	s_delay_alu instid0(VALU_DEP_3) | instskip(NEXT) | instid1(VALU_DEP_2)
	v_and_b32_e32 v0, v0, v19
	v_xor_b32_e32 v18, s16, v18
	s_delay_alu instid0(VALU_DEP_1) | instskip(NEXT) | instid1(VALU_DEP_1)
	v_and_b32_e32 v0, v0, v18
	v_mbcnt_lo_u32_b32 v164, v0, 0
	v_cmp_ne_u32_e64 s17, 0, v0
	s_delay_alu instid0(VALU_DEP_2) | instskip(NEXT) | instid1(VALU_DEP_1)
	v_cmp_eq_u32_e64 s16, 0, v164
	s_and_b32 s17, s17, s16
	s_delay_alu instid0(SALU_CYCLE_1)
	s_and_saveexec_b32 s16, s17
	s_cbranch_execz .LBB1228_188
; %bb.187:                              ;   in Loop: Header=BB1228_172 Depth=1
	s_waitcnt vmcnt(0) lgkmcnt(0)
	v_bcnt_u32_b32 v0, v0, v148
	flat_store_b32 v[132:133], v0
.LBB1228_188:                           ;   in Loop: Header=BB1228_172 Depth=1
	s_or_b32 exec_lo, exec_lo, s16
	; wave barrier
	s_waitcnt vmcnt(0) lgkmcnt(0)
	s_waitcnt_vscnt null, 0x0
	s_barrier
	buffer_gl0_inv
	s_clause 0x1
	flat_load_b128 v[22:25], v[4:5] offset:32
	flat_load_b128 v[18:21], v[8:9] offset:16
	s_waitcnt vmcnt(1) lgkmcnt(1)
	v_add_nc_u32_e32 v0, v23, v22
	s_delay_alu instid0(VALU_DEP_1) | instskip(SKIP_1) | instid1(VALU_DEP_1)
	v_add3_u32 v0, v0, v24, v25
	s_waitcnt vmcnt(0) lgkmcnt(0)
	v_add3_u32 v0, v0, v18, v19
	s_delay_alu instid0(VALU_DEP_1) | instskip(NEXT) | instid1(VALU_DEP_1)
	v_add3_u32 v0, v0, v20, v21
	v_mov_b32_dpp v21, v0 row_shr:1 row_mask:0xf bank_mask:0xf
	s_delay_alu instid0(VALU_DEP_1) | instskip(NEXT) | instid1(VALU_DEP_1)
	v_cndmask_b32_e64 v21, v21, 0, vcc_lo
	v_add_nc_u32_e32 v0, v21, v0
	s_delay_alu instid0(VALU_DEP_1) | instskip(NEXT) | instid1(VALU_DEP_1)
	v_mov_b32_dpp v21, v0 row_shr:2 row_mask:0xf bank_mask:0xf
	v_cndmask_b32_e64 v21, 0, v21, s0
	s_delay_alu instid0(VALU_DEP_1) | instskip(NEXT) | instid1(VALU_DEP_1)
	v_add_nc_u32_e32 v0, v0, v21
	v_mov_b32_dpp v21, v0 row_shr:4 row_mask:0xf bank_mask:0xf
	s_delay_alu instid0(VALU_DEP_1) | instskip(NEXT) | instid1(VALU_DEP_1)
	v_cndmask_b32_e64 v21, 0, v21, s1
	v_add_nc_u32_e32 v0, v0, v21
	s_delay_alu instid0(VALU_DEP_1) | instskip(NEXT) | instid1(VALU_DEP_1)
	v_mov_b32_dpp v21, v0 row_shr:8 row_mask:0xf bank_mask:0xf
	v_cndmask_b32_e64 v21, 0, v21, s2
	s_delay_alu instid0(VALU_DEP_1) | instskip(SKIP_3) | instid1(VALU_DEP_1)
	v_add_nc_u32_e32 v0, v0, v21
	ds_swizzle_b32 v21, v0 offset:swizzle(BROADCAST,32,15)
	s_waitcnt lgkmcnt(0)
	v_cndmask_b32_e64 v21, v21, 0, s3
	v_add_nc_u32_e32 v0, v0, v21
	s_and_saveexec_b32 s16, s4
	s_cbranch_execz .LBB1228_190
; %bb.189:                              ;   in Loop: Header=BB1228_172 Depth=1
	flat_store_b32 v[30:31], v0
.LBB1228_190:                           ;   in Loop: Header=BB1228_172 Depth=1
	s_or_b32 exec_lo, exec_lo, s16
	s_waitcnt lgkmcnt(0)
	s_waitcnt_vscnt null, 0x0
	s_barrier
	buffer_gl0_inv
	s_and_saveexec_b32 s16, s5
	s_cbranch_execz .LBB1228_192
; %bb.191:                              ;   in Loop: Header=BB1228_172 Depth=1
	flat_load_b32 v21, v[32:33]
	s_waitcnt vmcnt(0) lgkmcnt(0)
	v_mov_b32_dpp v165, v21 row_shr:1 row_mask:0xf bank_mask:0xf
	s_delay_alu instid0(VALU_DEP_1) | instskip(NEXT) | instid1(VALU_DEP_1)
	v_cndmask_b32_e64 v165, v165, 0, s11
	v_add_nc_u32_e32 v21, v165, v21
	s_delay_alu instid0(VALU_DEP_1) | instskip(NEXT) | instid1(VALU_DEP_1)
	v_mov_b32_dpp v165, v21 row_shr:2 row_mask:0xf bank_mask:0xf
	v_cndmask_b32_e64 v165, 0, v165, s14
	s_delay_alu instid0(VALU_DEP_1) | instskip(NEXT) | instid1(VALU_DEP_1)
	v_add_nc_u32_e32 v21, v21, v165
	v_mov_b32_dpp v165, v21 row_shr:4 row_mask:0xf bank_mask:0xf
	s_delay_alu instid0(VALU_DEP_1) | instskip(NEXT) | instid1(VALU_DEP_1)
	v_cndmask_b32_e64 v165, 0, v165, s15
	v_add_nc_u32_e32 v21, v21, v165
	flat_store_b32 v[32:33], v21
.LBB1228_192:                           ;   in Loop: Header=BB1228_172 Depth=1
	s_or_b32 exec_lo, exec_lo, s16
	v_mov_b32_e32 v21, 0
	s_waitcnt lgkmcnt(0)
	s_waitcnt_vscnt null, 0x0
	s_barrier
	buffer_gl0_inv
	s_and_saveexec_b32 s16, s6
	s_cbranch_execz .LBB1228_194
; %bb.193:                              ;   in Loop: Header=BB1228_172 Depth=1
	flat_load_b32 v21, v[34:35]
.LBB1228_194:                           ;   in Loop: Header=BB1228_172 Depth=1
	s_or_b32 exec_lo, exec_lo, s16
	s_waitcnt vmcnt(0) lgkmcnt(0)
	v_add_nc_u32_e32 v0, v21, v0
	v_add_nc_u32_e32 v10, 8, v10
	s_mov_b32 s18, -1
	ds_bpermute_b32 v0, v193, v0
	s_waitcnt lgkmcnt(0)
	v_cndmask_b32_e64 v0, v0, v21, s7
	s_delay_alu instid0(VALU_DEP_1) | instskip(NEXT) | instid1(VALU_DEP_1)
	v_cndmask_b32_e64 v21, v0, 0, s10
	v_add_nc_u32_e32 v22, v21, v22
	s_delay_alu instid0(VALU_DEP_1) | instskip(NEXT) | instid1(VALU_DEP_1)
	v_add_nc_u32_e32 v23, v22, v23
	v_add_nc_u32_e32 v24, v23, v24
	s_delay_alu instid0(VALU_DEP_1) | instskip(NEXT) | instid1(VALU_DEP_1)
	v_add_nc_u32_e32 v176, v24, v25
	v_add_nc_u32_e32 v177, v176, v18
	s_delay_alu instid0(VALU_DEP_1) | instskip(SKIP_1) | instid1(VALU_DEP_2)
	v_add_nc_u32_e32 v178, v177, v19
	v_mov_b32_e32 v19, v1
	v_add_nc_u32_e32 v179, v178, v20
	s_clause 0x1
	flat_store_b128 v[4:5], v[21:24] offset:32
	flat_store_b128 v[8:9], v[176:179] offset:16
	v_mov_b32_e32 v21, v1
	s_waitcnt lgkmcnt(0)
	s_waitcnt_vscnt null, 0x0
	s_barrier
	buffer_gl0_inv
	s_clause 0x7
	flat_load_b32 v0, v[102:103]
	flat_load_b32 v18, v[112:113]
	;; [unrolled: 1-line block ×8, first 2 shown]
	v_mov_b32_e32 v25, v1
	v_mov_b32_e32 v23, v1
	;; [unrolled: 1-line block ×5, first 2 shown]
	v_cmp_lt_u32_e64 s16, v10, v11
	s_waitcnt vmcnt(0) lgkmcnt(0)
	s_waitcnt_vscnt null, 0x0
                                        ; implicit-def: $vgpr118_vgpr119
                                        ; implicit-def: $vgpr132_vgpr133
                                        ; implicit-def: $vgpr128_vgpr129
                                        ; implicit-def: $vgpr130_vgpr131
	s_waitcnt vmcnt(7) lgkmcnt(7)
	v_add_nc_u32_e32 v0, v0, v134
	s_waitcnt vmcnt(6) lgkmcnt(6)
	v_add3_u32 v18, v144, v135, v18
	s_waitcnt vmcnt(5) lgkmcnt(5)
	v_add3_u32 v20, v146, v145, v20
	;; [unrolled: 2-line block ×4, first 2 shown]
	v_lshlrev_b64 v[116:117], 3, v[0:1]
	v_lshlrev_b64 v[18:19], 3, v[18:19]
	;; [unrolled: 1-line block ×3, first 2 shown]
	s_waitcnt vmcnt(2) lgkmcnt(2)
	v_add3_u32 v102, v161, v160, v102
	v_lshlrev_b64 v[22:23], 3, v[22:23]
	s_waitcnt vmcnt(1) lgkmcnt(1)
	v_add3_u32 v112, v163, v162, v112
	v_add_co_u32 v150, s17, v12, v116
	s_delay_alu instid0(VALU_DEP_1) | instskip(SKIP_1) | instid1(VALU_DEP_1)
	v_add_co_ci_u32_e64 v151, s17, v13, v117, s17
	v_add_co_u32 v160, s17, v12, v18
	v_add_co_ci_u32_e64 v161, s17, v13, v19, s17
	v_lshlrev_b64 v[24:25], 3, v[24:25]
	v_add_co_u32 v162, s17, v12, v20
	s_delay_alu instid0(VALU_DEP_1) | instskip(SKIP_4) | instid1(VALU_DEP_1)
	v_add_co_ci_u32_e64 v163, s17, v13, v21, s17
	s_waitcnt vmcnt(0) lgkmcnt(0)
	v_add3_u32 v114, v164, v148, v114
	v_lshlrev_b64 v[102:103], 3, v[102:103]
	v_add_co_u32 v164, s17, v12, v22
	v_add_co_ci_u32_e64 v165, s17, v13, v23, s17
	v_lshlrev_b64 v[112:113], 3, v[112:113]
	v_add_co_u32 v166, s17, v12, v24
	s_delay_alu instid0(VALU_DEP_1) | instskip(SKIP_2) | instid1(VALU_DEP_1)
	v_add_co_ci_u32_e64 v167, s17, v13, v25, s17
	v_lshlrev_b64 v[114:115], 3, v[114:115]
	v_add_co_u32 v176, s17, v12, v102
	v_add_co_ci_u32_e64 v177, s17, v13, v103, s17
	v_add_co_u32 v178, s17, v12, v112
	s_delay_alu instid0(VALU_DEP_1) | instskip(SKIP_1) | instid1(VALU_DEP_1)
	v_add_co_ci_u32_e64 v179, s17, v13, v113, s17
	v_add_co_u32 v180, s17, v12, v114
	v_add_co_ci_u32_e64 v181, s17, v13, v115, s17
                                        ; implicit-def: $vgpr22_vgpr23
                                        ; implicit-def: $vgpr102_vgpr103
                                        ; implicit-def: $vgpr116_vgpr117
                                        ; implicit-def: $vgpr134_vgpr135
                                        ; implicit-def: $vgpr18_vgpr19
                                        ; implicit-def: $vgpr20_vgpr21
                                        ; implicit-def: $vgpr148_vgpr149
                                        ; implicit-def: $vgpr24_vgpr25
                                        ; implicit-def: $vgpr112_vgpr113
                                        ; implicit-def: $vgpr114_vgpr115
                                        ; implicit-def: $vgpr144_vgpr145
                                        ; implicit-def: $vgpr146_vgpr147
	s_and_saveexec_b32 s17, s16
	s_cbranch_execz .LBB1228_171
; %bb.195:                              ;   in Loop: Header=BB1228_172 Depth=1
	s_barrier
	buffer_gl0_inv
	s_clause 0x7
	flat_store_b64 v[150:151], v[66:67]
	flat_store_b64 v[160:161], v[82:83]
	flat_store_b64 v[162:163], v[80:81]
	flat_store_b64 v[164:165], v[98:99]
	flat_store_b64 v[166:167], v[96:97]
	flat_store_b64 v[176:177], v[86:87]
	flat_store_b64 v[178:179], v[84:85]
	flat_store_b64 v[180:181], v[100:101]
	s_waitcnt lgkmcnt(0)
	s_waitcnt_vscnt null, 0x0
	s_barrier
	buffer_gl0_inv
	s_clause 0x7
	flat_load_b64 v[148:149], v[36:37]
	flat_load_b64 v[24:25], v[36:37] offset:256
	flat_load_b64 v[112:113], v[36:37] offset:512
	;; [unrolled: 1-line block ×7, first 2 shown]
	s_waitcnt vmcnt(0) lgkmcnt(0)
	s_barrier
	buffer_gl0_inv
	s_clause 0x7
	flat_store_b64 v[150:151], v[48:49]
	flat_store_b64 v[160:161], v[38:39]
	;; [unrolled: 1-line block ×8, first 2 shown]
	s_waitcnt lgkmcnt(0)
	s_waitcnt_vscnt null, 0x0
	s_barrier
	buffer_gl0_inv
	s_clause 0x7
	flat_load_b64 v[22:23], v[36:37]
	flat_load_b64 v[102:103], v[36:37] offset:256
	flat_load_b64 v[116:117], v[36:37] offset:512
	flat_load_b64 v[118:119], v[36:37] offset:768
	flat_load_b64 v[132:133], v[36:37] offset:1024
	flat_load_b64 v[134:135], v[36:37] offset:1280
	flat_load_b64 v[18:19], v[36:37] offset:1536
	flat_load_b64 v[20:21], v[36:37] offset:1792
	v_add_nc_u32_e32 v194, -8, v194
	s_xor_b32 s18, exec_lo, -1
	s_waitcnt vmcnt(0) lgkmcnt(0)
	s_barrier
	buffer_gl0_inv
	s_branch .LBB1228_171
.LBB1228_196:
	flat_load_b64 v[14:15], v[4:5]
	s_or_b32 exec_lo, exec_lo, s19
                                        ; implicit-def: $vgpr18_vgpr19
	s_and_saveexec_b32 s19, s0
	s_cbranch_execz .LBB1228_36
.LBB1228_197:
	flat_load_b64 v[18:19], v[4:5] offset:256
	s_or_b32 exec_lo, exec_lo, s19
                                        ; implicit-def: $vgpr164_vgpr165
	s_and_saveexec_b32 s0, s1
	s_cbranch_execz .LBB1228_37
.LBB1228_198:
	flat_load_b64 v[164:165], v[4:5] offset:512
	s_or_b32 exec_lo, exec_lo, s0
                                        ; implicit-def: $vgpr16_vgpr17
	s_and_saveexec_b32 s0, s2
	s_cbranch_execz .LBB1228_38
.LBB1228_199:
	flat_load_b64 v[16:17], v[4:5] offset:768
	s_or_b32 exec_lo, exec_lo, s0
                                        ; implicit-def: $vgpr20_vgpr21
	s_and_saveexec_b32 s0, s3
	s_cbranch_execz .LBB1228_39
.LBB1228_200:
	flat_load_b64 v[20:21], v[4:5] offset:1024
	s_or_b32 exec_lo, exec_lo, s0
                                        ; implicit-def: $vgpr166_vgpr167
	s_and_saveexec_b32 s0, s4
	s_cbranch_execz .LBB1228_40
.LBB1228_201:
	flat_load_b64 v[166:167], v[4:5] offset:1280
	s_or_b32 exec_lo, exec_lo, s0
                                        ; implicit-def: $vgpr176_vgpr177
	s_and_saveexec_b32 s0, s5
	s_cbranch_execz .LBB1228_41
.LBB1228_202:
	flat_load_b64 v[176:177], v[4:5] offset:1536
	s_or_b32 exec_lo, exec_lo, s0
                                        ; implicit-def: $vgpr178_vgpr179
	s_and_saveexec_b32 s0, s6
	s_cbranch_execz .LBB1228_42
.LBB1228_203:
	flat_load_b64 v[178:179], v[4:5] offset:1792
	s_or_b32 exec_lo, exec_lo, s0
                                        ; implicit-def: $vgpr180_vgpr181
	s_and_saveexec_b32 s0, s7
	s_cbranch_execz .LBB1228_43
.LBB1228_204:
	flat_load_b64 v[180:181], v[4:5] offset:2048
	s_or_b32 exec_lo, exec_lo, s0
                                        ; implicit-def: $vgpr182_vgpr183
	s_and_saveexec_b32 s0, s10
	s_cbranch_execz .LBB1228_44
.LBB1228_205:
	flat_load_b64 v[182:183], v[4:5] offset:2304
	s_or_b32 exec_lo, exec_lo, s0
                                        ; implicit-def: $vgpr192_vgpr193
	s_and_saveexec_b32 s0, s11
	s_cbranch_execz .LBB1228_45
.LBB1228_206:
	flat_load_b64 v[192:193], v[4:5] offset:2560
	s_or_b32 exec_lo, exec_lo, s0
                                        ; implicit-def: $vgpr198_vgpr199
	s_and_saveexec_b32 s0, s14
	s_cbranch_execz .LBB1228_46
.LBB1228_207:
	flat_load_b64 v[198:199], v[4:5] offset:2816
	s_or_b32 exec_lo, exec_lo, s0
                                        ; implicit-def: $vgpr212_vgpr213
	s_and_saveexec_b32 s0, s15
	s_cbranch_execz .LBB1228_47
.LBB1228_208:
	flat_load_b64 v[212:213], v[4:5] offset:3072
	s_or_b32 exec_lo, exec_lo, s0
                                        ; implicit-def: $vgpr224_vgpr225
	s_and_saveexec_b32 s0, s16
	s_cbranch_execz .LBB1228_48
.LBB1228_209:
	flat_load_b64 v[224:225], v[4:5] offset:3328
	s_or_b32 exec_lo, exec_lo, s0
                                        ; implicit-def: $vgpr240_vgpr241
	s_and_saveexec_b32 s0, s17
	s_cbranch_execz .LBB1228_49
.LBB1228_210:
	flat_load_b64 v[240:241], v[4:5] offset:3584
	s_or_b32 exec_lo, exec_lo, s0
                                        ; implicit-def: $vgpr39_vgpr40
	s_and_saveexec_b32 s0, s18
	s_cbranch_execnz .LBB1228_50
	s_branch .LBB1228_51
.LBB1228_211:
	flat_store_b64 v[2:3], v[38:39]
	s_or_b32 exec_lo, exec_lo, s19
	s_and_saveexec_b32 s19, s0
	s_cbranch_execz .LBB1228_127
.LBB1228_212:
	flat_store_b64 v[2:3], v[36:37] offset:2048
	s_or_b32 exec_lo, exec_lo, s19
	s_and_saveexec_b32 s0, s1
	s_cbranch_execz .LBB1228_128
.LBB1228_213:
	v_add_co_u32 v6, vcc_lo, 0x1000, v2
	v_add_co_ci_u32_e32 v7, vcc_lo, 0, v3, vcc_lo
	flat_store_b64 v[6:7], v[34:35]
	s_or_b32 exec_lo, exec_lo, s0
	s_and_saveexec_b32 s0, s2
	s_cbranch_execz .LBB1228_129
.LBB1228_214:
	v_add_co_u32 v6, vcc_lo, 0x1000, v2
	v_add_co_ci_u32_e32 v7, vcc_lo, 0, v3, vcc_lo
	flat_store_b64 v[6:7], v[32:33] offset:2048
	s_or_b32 exec_lo, exec_lo, s0
	s_and_saveexec_b32 s0, s3
	s_cbranch_execz .LBB1228_130
.LBB1228_215:
	v_add_co_u32 v6, vcc_lo, 0x2000, v2
	v_add_co_ci_u32_e32 v7, vcc_lo, 0, v3, vcc_lo
	flat_store_b64 v[6:7], v[30:31]
	s_or_b32 exec_lo, exec_lo, s0
	s_and_saveexec_b32 s0, s4
	s_cbranch_execz .LBB1228_131
.LBB1228_216:
	v_add_co_u32 v6, vcc_lo, 0x2000, v2
	v_add_co_ci_u32_e32 v7, vcc_lo, 0, v3, vcc_lo
	flat_store_b64 v[6:7], v[28:29] offset:2048
	s_or_b32 exec_lo, exec_lo, s0
	s_and_saveexec_b32 s0, s5
	s_cbranch_execz .LBB1228_132
.LBB1228_217:
	v_add_co_u32 v6, vcc_lo, 0x3000, v2
	v_add_co_ci_u32_e32 v7, vcc_lo, 0, v3, vcc_lo
	flat_store_b64 v[6:7], v[26:27]
	s_or_b32 exec_lo, exec_lo, s0
	s_and_saveexec_b32 s0, s6
	s_cbranch_execz .LBB1228_133
.LBB1228_218:
	v_add_co_u32 v6, vcc_lo, 0x3000, v2
	v_add_co_ci_u32_e32 v7, vcc_lo, 0, v3, vcc_lo
	flat_store_b64 v[6:7], v[20:21] offset:2048
	s_or_b32 exec_lo, exec_lo, s0
	s_and_saveexec_b32 s0, s7
	s_cbranch_execz .LBB1228_134
.LBB1228_219:
	v_add_co_u32 v6, vcc_lo, 0x4000, v2
	v_add_co_ci_u32_e32 v7, vcc_lo, 0, v3, vcc_lo
	flat_store_b64 v[6:7], v[18:19]
	s_or_b32 exec_lo, exec_lo, s0
	s_and_saveexec_b32 s0, s10
	s_cbranch_execz .LBB1228_135
.LBB1228_220:
	v_add_co_u32 v6, vcc_lo, 0x4000, v2
	v_add_co_ci_u32_e32 v7, vcc_lo, 0, v3, vcc_lo
	flat_store_b64 v[6:7], v[16:17] offset:2048
	s_or_b32 exec_lo, exec_lo, s0
	s_and_saveexec_b32 s0, s11
	s_cbranch_execz .LBB1228_136
.LBB1228_221:
	v_add_co_u32 v6, vcc_lo, 0x5000, v2
	v_add_co_ci_u32_e32 v7, vcc_lo, 0, v3, vcc_lo
	flat_store_b64 v[6:7], v[14:15]
	s_or_b32 exec_lo, exec_lo, s0
	s_and_saveexec_b32 s0, s14
	s_cbranch_execz .LBB1228_137
.LBB1228_222:
	v_add_co_u32 v6, vcc_lo, 0x5000, v2
	v_add_co_ci_u32_e32 v7, vcc_lo, 0, v3, vcc_lo
	flat_store_b64 v[6:7], v[12:13] offset:2048
	s_or_b32 exec_lo, exec_lo, s0
	s_and_saveexec_b32 s0, s15
	s_cbranch_execz .LBB1228_138
.LBB1228_223:
	v_add_co_u32 v6, vcc_lo, 0x6000, v2
	v_add_co_ci_u32_e32 v7, vcc_lo, 0, v3, vcc_lo
	flat_store_b64 v[6:7], v[10:11]
	s_or_b32 exec_lo, exec_lo, s0
	s_and_saveexec_b32 s0, s16
	s_cbranch_execz .LBB1228_139
.LBB1228_224:
	v_add_co_u32 v6, vcc_lo, 0x6000, v2
	v_add_co_ci_u32_e32 v7, vcc_lo, 0, v3, vcc_lo
	flat_store_b64 v[6:7], v[8:9] offset:2048
	s_or_b32 exec_lo, exec_lo, s0
	s_and_saveexec_b32 s0, s17
	s_cbranch_execz .LBB1228_140
.LBB1228_225:
	v_add_co_u32 v6, vcc_lo, 0x7000, v2
	v_add_co_ci_u32_e32 v7, vcc_lo, 0, v3, vcc_lo
	flat_store_b64 v[6:7], v[4:5]
	s_or_b32 exec_lo, exec_lo, s0
	s_and_saveexec_b32 s0, s18
	s_cbranch_execnz .LBB1228_141
	s_branch .LBB1228_142
.LBB1228_226:
	s_or_b32 exec_lo, exec_lo, s20
	v_lshlrev_b32_e32 v0, 3, v26
	v_lshl_or_b32 v8, v26, 3, 0x2000
	s_barrier
	buffer_gl0_inv
	s_clause 0x7
	flat_store_b64 v[150:151], v[66:67]
	flat_store_b64 v[160:161], v[82:83]
	;; [unrolled: 1-line block ×8, first 2 shown]
	v_add_co_u32 v0, vcc_lo, v12, v0
	v_add_co_ci_u32_e32 v1, vcc_lo, 0, v13, vcc_lo
	s_waitcnt lgkmcnt(0)
	s_waitcnt_vscnt null, 0x0
	s_delay_alu instid0(VALU_DEP_2) | instskip(NEXT) | instid1(VALU_DEP_2)
	v_add_co_u32 v4, vcc_lo, 0x1000, v0
	v_add_co_ci_u32_e32 v5, vcc_lo, 0, v1, vcc_lo
	v_add_co_u32 v8, vcc_lo, v12, v8
	v_add_co_ci_u32_e32 v9, vcc_lo, 0, v13, vcc_lo
	;; [unrolled: 2-line block ×3, first 2 shown]
	v_add_co_u32 v84, vcc_lo, 0x3000, v0
	s_barrier
	buffer_gl0_inv
	v_add_co_ci_u32_e32 v85, vcc_lo, 0, v1, vcc_lo
	s_clause 0x7
	flat_load_b64 v[82:83], v[0:1]
	flat_load_b64 v[80:81], v[0:1] offset:2048
	flat_load_b64 v[66:67], v[4:5]
	flat_load_b64 v[35:36], v[4:5] offset:2048
	;; [unrolled: 2-line block ×4, first 2 shown]
	s_waitcnt vmcnt(0) lgkmcnt(0)
	s_barrier
	buffer_gl0_inv
	s_clause 0x7
	flat_store_b64 v[150:151], v[48:49]
	flat_store_b64 v[160:161], v[38:39]
	;; [unrolled: 1-line block ×8, first 2 shown]
	s_waitcnt lgkmcnt(0)
	s_waitcnt_vscnt null, 0x0
	s_barrier
	buffer_gl0_inv
	s_clause 0x7
	flat_load_b64 v[18:19], v[0:1]
	flat_load_b64 v[16:17], v[0:1] offset:2048
	flat_load_b64 v[14:15], v[4:5]
	flat_load_b64 v[12:13], v[4:5] offset:2048
	;; [unrolled: 2-line block ×4, first 2 shown]
	v_mov_b32_e32 v30, 0
	v_add_co_u32 v2, vcc_lo, v2, v27
	v_add_co_ci_u32_e32 v3, vcc_lo, v3, v28, vcc_lo
	s_delay_alu instid0(VALU_DEP_3)
	v_lshlrev_b64 v[22:23], 3, v[29:30]
	s_waitcnt vmcnt(0) lgkmcnt(0)
	s_barrier
	buffer_gl0_inv
	v_add_co_u32 v2, vcc_lo, v2, v22
	v_add_co_ci_u32_e32 v3, vcc_lo, v3, v23, vcc_lo
	v_cmp_lt_u32_e32 vcc_lo, v29, v47
	s_and_saveexec_b32 s1, vcc_lo
	s_cbranch_execz .LBB1228_228
; %bb.227:
	v_cmp_lt_i64_e64 s0, -1, v[82:83]
	v_ashrrev_i32_e32 v26, 31, v83
	s_delay_alu instid0(VALU_DEP_1) | instskip(NEXT) | instid1(VALU_DEP_3)
	v_not_b32_e32 v26, v26
	v_cndmask_b32_e64 v30, 0x80000000, -1, s0
	s_delay_alu instid0(VALU_DEP_2) | instskip(NEXT) | instid1(VALU_DEP_2)
	v_xor_b32_e32 v37, v26, v82
	v_xor_b32_e32 v38, v30, v83
	flat_store_b64 v[2:3], v[37:38]
.LBB1228_228:
	s_or_b32 exec_lo, exec_lo, s1
	v_add_nc_u32_e32 v26, 0x100, v29
	s_delay_alu instid0(VALU_DEP_1) | instskip(NEXT) | instid1(VALU_DEP_1)
	v_cmp_lt_u32_e64 s0, v26, v47
	s_and_saveexec_b32 s2, s0
	s_cbranch_execz .LBB1228_230
; %bb.229:
	v_cmp_lt_i64_e64 s1, -1, v[80:81]
	v_ashrrev_i32_e32 v26, 31, v81
	s_delay_alu instid0(VALU_DEP_1) | instskip(NEXT) | instid1(VALU_DEP_3)
	v_not_b32_e32 v26, v26
	v_cndmask_b32_e64 v30, 0x80000000, -1, s1
	s_delay_alu instid0(VALU_DEP_2) | instskip(NEXT) | instid1(VALU_DEP_2)
	v_xor_b32_e32 v37, v26, v80
	v_xor_b32_e32 v38, v30, v81
	flat_store_b64 v[2:3], v[37:38] offset:2048
.LBB1228_230:
	s_or_b32 exec_lo, exec_lo, s2
	v_add_nc_u32_e32 v26, 0x200, v29
	s_delay_alu instid0(VALU_DEP_1) | instskip(NEXT) | instid1(VALU_DEP_1)
	v_cmp_lt_u32_e64 s1, v26, v47
	s_and_saveexec_b32 s3, s1
	s_cbranch_execz .LBB1228_232
; %bb.231:
	v_cmp_lt_i64_e64 s2, -1, v[66:67]
	v_ashrrev_i32_e32 v26, 31, v67
	s_delay_alu instid0(VALU_DEP_1) | instskip(NEXT) | instid1(VALU_DEP_3)
	v_not_b32_e32 v26, v26
	v_cndmask_b32_e64 v30, 0x80000000, -1, s2
	v_add_co_u32 v48, s2, 0x1000, v2
	s_delay_alu instid0(VALU_DEP_1) | instskip(NEXT) | instid1(VALU_DEP_3)
	v_add_co_ci_u32_e64 v49, s2, 0, v3, s2
	v_xor_b32_e32 v38, v30, v67
	v_xor_b32_e32 v37, v26, v66
	flat_store_b64 v[48:49], v[37:38]
.LBB1228_232:
	s_or_b32 exec_lo, exec_lo, s3
	v_add_nc_u32_e32 v26, 0x300, v29
	s_delay_alu instid0(VALU_DEP_1) | instskip(NEXT) | instid1(VALU_DEP_1)
	v_cmp_lt_u32_e64 s2, v26, v47
	s_and_saveexec_b32 s4, s2
	s_cbranch_execz .LBB1228_234
; %bb.233:
	v_cmp_lt_i64_e64 s3, -1, v[35:36]
	v_ashrrev_i32_e32 v26, 31, v36
	s_delay_alu instid0(VALU_DEP_1) | instskip(NEXT) | instid1(VALU_DEP_3)
	v_not_b32_e32 v26, v26
	v_cndmask_b32_e64 v30, 0x80000000, -1, s3
	v_add_co_u32 v37, s3, 0x1000, v2
	s_delay_alu instid0(VALU_DEP_1) | instskip(NEXT) | instid1(VALU_DEP_3)
	v_add_co_ci_u32_e64 v38, s3, 0, v3, s3
	v_xor_b32_e32 v36, v30, v36
	v_xor_b32_e32 v35, v26, v35
	flat_store_b64 v[37:38], v[35:36] offset:2048
.LBB1228_234:
	s_or_b32 exec_lo, exec_lo, s4
	v_add_nc_u32_e32 v26, 0x400, v29
	s_delay_alu instid0(VALU_DEP_1) | instskip(NEXT) | instid1(VALU_DEP_1)
	v_cmp_lt_u32_e64 s3, v26, v47
	s_and_saveexec_b32 s5, s3
	s_cbranch_execz .LBB1228_236
; %bb.235:
	v_cmp_lt_i64_e64 s4, -1, v[33:34]
	v_ashrrev_i32_e32 v26, 31, v34
	s_delay_alu instid0(VALU_DEP_1) | instskip(NEXT) | instid1(VALU_DEP_3)
	v_not_b32_e32 v26, v26
	v_cndmask_b32_e64 v30, 0x80000000, -1, s4
	v_add_co_u32 v35, s4, 0x2000, v2
	s_delay_alu instid0(VALU_DEP_1) | instskip(NEXT) | instid1(VALU_DEP_3)
	v_add_co_ci_u32_e64 v36, s4, 0, v3, s4
	v_xor_b32_e32 v34, v30, v34
	v_xor_b32_e32 v33, v26, v33
	flat_store_b64 v[35:36], v[33:34]
.LBB1228_236:
	s_or_b32 exec_lo, exec_lo, s5
	v_add_nc_u32_e32 v26, 0x500, v29
	s_delay_alu instid0(VALU_DEP_1) | instskip(NEXT) | instid1(VALU_DEP_1)
	v_cmp_lt_u32_e64 s4, v26, v47
	s_and_saveexec_b32 s6, s4
	s_cbranch_execz .LBB1228_238
; %bb.237:
	v_cmp_lt_i64_e64 s5, -1, v[31:32]
	v_ashrrev_i32_e32 v26, 31, v32
	s_delay_alu instid0(VALU_DEP_1) | instskip(NEXT) | instid1(VALU_DEP_3)
	v_not_b32_e32 v26, v26
	v_cndmask_b32_e64 v30, 0x80000000, -1, s5
	v_add_co_u32 v33, s5, 0x2000, v2
	s_delay_alu instid0(VALU_DEP_1) | instskip(NEXT) | instid1(VALU_DEP_3)
	v_add_co_ci_u32_e64 v34, s5, 0, v3, s5
	v_xor_b32_e32 v32, v30, v32
	v_xor_b32_e32 v31, v26, v31
	flat_store_b64 v[33:34], v[31:32] offset:2048
.LBB1228_238:
	s_or_b32 exec_lo, exec_lo, s6
	v_add_nc_u32_e32 v26, 0x600, v29
	s_delay_alu instid0(VALU_DEP_1) | instskip(NEXT) | instid1(VALU_DEP_1)
	v_cmp_lt_u32_e64 s5, v26, v47
	s_and_saveexec_b32 s7, s5
	s_cbranch_execz .LBB1228_240
; %bb.239:
	v_cmp_lt_i64_e64 s6, -1, v[24:25]
	v_ashrrev_i32_e32 v26, 31, v25
	s_delay_alu instid0(VALU_DEP_1) | instskip(NEXT) | instid1(VALU_DEP_3)
	v_not_b32_e32 v26, v26
	v_cndmask_b32_e64 v30, 0x80000000, -1, s6
	s_delay_alu instid0(VALU_DEP_2) | instskip(NEXT) | instid1(VALU_DEP_2)
	v_xor_b32_e32 v24, v26, v24
	v_xor_b32_e32 v25, v30, v25
	v_add_co_u32 v30, s6, 0x3000, v2
	s_delay_alu instid0(VALU_DEP_1)
	v_add_co_ci_u32_e64 v31, s6, 0, v3, s6
	flat_store_b64 v[30:31], v[24:25]
.LBB1228_240:
	s_or_b32 exec_lo, exec_lo, s7
	v_add_nc_u32_e32 v24, 0x700, v29
	s_delay_alu instid0(VALU_DEP_1) | instskip(NEXT) | instid1(VALU_DEP_1)
	v_cmp_lt_u32_e64 s6, v24, v47
	s_and_saveexec_b32 s10, s6
	s_cbranch_execz .LBB1228_242
; %bb.241:
	v_cmp_lt_i64_e64 s7, -1, v[20:21]
	v_ashrrev_i32_e32 v24, 31, v21
	s_delay_alu instid0(VALU_DEP_1) | instskip(NEXT) | instid1(VALU_DEP_3)
	v_not_b32_e32 v24, v24
	v_cndmask_b32_e64 v25, 0x80000000, -1, s7
	v_add_co_u32 v2, s7, 0x3000, v2
	s_delay_alu instid0(VALU_DEP_1) | instskip(NEXT) | instid1(VALU_DEP_3)
	v_add_co_ci_u32_e64 v3, s7, 0, v3, s7
	v_xor_b32_e32 v21, v25, v21
	v_xor_b32_e32 v20, v24, v20
	flat_store_b64 v[2:3], v[20:21] offset:2048
.LBB1228_242:
	s_or_b32 exec_lo, exec_lo, s10
	v_add_co_u32 v2, s7, v6, v27
	s_delay_alu instid0(VALU_DEP_1) | instskip(NEXT) | instid1(VALU_DEP_2)
	v_add_co_ci_u32_e64 v3, s7, v7, v28, s7
	v_add_co_u32 v2, s7, v2, v22
	s_delay_alu instid0(VALU_DEP_1)
	v_add_co_ci_u32_e64 v3, s7, v3, v23, s7
	s_and_saveexec_b32 s7, vcc_lo
	s_cbranch_execnz .LBB1228_292
; %bb.243:
	s_or_b32 exec_lo, exec_lo, s7
	s_and_saveexec_b32 s7, s0
	s_cbranch_execnz .LBB1228_293
.LBB1228_244:
	s_or_b32 exec_lo, exec_lo, s7
	s_and_saveexec_b32 s0, s1
	s_cbranch_execnz .LBB1228_294
.LBB1228_245:
	s_or_b32 exec_lo, exec_lo, s0
	s_and_saveexec_b32 s0, s2
	s_cbranch_execnz .LBB1228_295
.LBB1228_246:
	s_or_b32 exec_lo, exec_lo, s0
	s_and_saveexec_b32 s0, s3
	s_cbranch_execnz .LBB1228_296
.LBB1228_247:
	s_or_b32 exec_lo, exec_lo, s0
	s_and_saveexec_b32 s0, s4
	s_cbranch_execnz .LBB1228_297
.LBB1228_248:
	s_or_b32 exec_lo, exec_lo, s0
	s_and_saveexec_b32 s0, s5
	s_cbranch_execnz .LBB1228_298
.LBB1228_249:
	s_or_b32 exec_lo, exec_lo, s0
	s_and_saveexec_b32 s0, s6
	s_cbranch_execz .LBB1228_251
.LBB1228_250:
	v_add_co_u32 v2, vcc_lo, 0x3000, v2
	v_add_co_ci_u32_e32 v3, vcc_lo, 0, v3, vcc_lo
	flat_store_b64 v[2:3], v[0:1] offset:2048
.LBB1228_251:
	s_or_b32 exec_lo, exec_lo, s0
                                        ; implicit-def: $vgpr47
                                        ; implicit-def: $vgpr0
                                        ; implicit-def: $vgpr1
                                        ; implicit-def: $vgpr2
                                        ; implicit-def: $vgpr3
                                        ; implicit-def: $vgpr4
                                        ; implicit-def: $vgpr5
                                        ; implicit-def: $vgpr6
                                        ; implicit-def: $vgpr7
                                        ; implicit-def: $vgpr8
                                        ; implicit-def: $vgpr10
                                        ; implicit-def: $vgpr11
                                        ; implicit-def: $vgpr12
                                        ; implicit-def: $vgpr13
                                        ; implicit-def: $vgpr14
                                        ; implicit-def: $vgpr15
                                        ; implicit-def: $vgpr26
                                        ; implicit-def: $vgpr96
.LBB1228_252:
	s_and_not1_saveexec_b32 s0, s19
	s_cbranch_execz .LBB1228_372
; %bb.253:
	s_mov_b32 s0, exec_lo
	v_cmpx_lt_u32_e32 0x200, v47
	s_xor_b32 s19, exec_lo, s0
	s_cbranch_execz .LBB1228_313
; %bb.254:
	s_load_b64 s[0:1], s[8:9], 0x0
	v_dual_mov_b32 v9, 0 :: v_dual_lshlrev_b32 v22, 3, v96
	s_mov_b32 s36, -1
	s_brev_b32 s37, -2
	s_mov_b32 s38, s36
	s_mov_b32 s39, s37
	;; [unrolled: 1-line block ×3, first 2 shown]
	v_lshlrev_b64 v[29:30], 3, v[8:9]
	s_mov_b32 s41, s37
	s_mov_b32 s42, s36
	;; [unrolled: 1-line block ×3, first 2 shown]
	s_waitcnt lgkmcnt(0)
	s_cmp_lt_u32 s13, s1
	s_cselect_b32 s1, 14, 20
	s_delay_alu instid0(SALU_CYCLE_1) | instskip(SKIP_4) | instid1(SALU_CYCLE_1)
	s_add_u32 s2, s8, s1
	s_addc_u32 s3, s9, 0
	s_cmp_lt_u32 s12, s0
	global_load_u16 v16, v9, s[2:3]
	s_cselect_b32 s0, 12, 18
	s_add_u32 s0, s8, s0
	s_addc_u32 s1, s9, 0
	global_load_u16 v17, v9, s[0:1]
	s_waitcnt vmcnt(1)
	v_mad_u32_u24 v14, v15, v16, v14
	s_waitcnt vmcnt(0)
	s_delay_alu instid0(VALU_DEP_1) | instskip(NEXT) | instid1(VALU_DEP_1)
	v_mad_u64_u32 v[27:28], null, v14, v17, v[26:27]
	v_lshlrev_b32_e32 v14, 2, v27
	s_delay_alu instid0(VALU_DEP_1) | instskip(SKIP_2) | instid1(VALU_DEP_3)
	v_and_b32_e32 v8, 0xffffff80, v14
	v_add_co_u32 v14, vcc_lo, v0, v29
	v_add_co_ci_u32_e32 v15, vcc_lo, v1, v30, vcc_lo
	v_lshlrev_b64 v[0:1], 3, v[8:9]
	v_or_b32_e32 v23, v8, v96
	s_delay_alu instid0(VALU_DEP_4) | instskip(NEXT) | instid1(VALU_DEP_4)
	v_add_co_u32 v8, vcc_lo, v14, v22
	v_add_co_ci_u32_e32 v9, vcc_lo, 0, v15, vcc_lo
	v_dual_mov_b32 v14, s36 :: v_dual_mov_b32 v19, s41
	s_delay_alu instid0(VALU_DEP_3) | instskip(SKIP_1) | instid1(VALU_DEP_4)
	v_add_co_u32 v8, s0, v8, v0
	v_cmp_lt_u32_e32 vcc_lo, v23, v47
	v_add_co_ci_u32_e64 v9, s0, v9, v1, s0
	v_dual_mov_b32 v15, s37 :: v_dual_mov_b32 v16, s38
	v_mov_b32_e32 v21, s43
	v_dual_mov_b32 v17, s39 :: v_dual_mov_b32 v18, s40
	v_mov_b32_e32 v20, s42
	s_and_saveexec_b32 s0, vcc_lo
	s_cbranch_execz .LBB1228_256
; %bb.255:
	flat_load_b64 v[14:15], v[8:9]
	v_bfrev_b32_e32 v17, -2
	s_delay_alu instid0(VALU_DEP_1) | instskip(NEXT) | instid1(VALU_DEP_1)
	v_dual_mov_b32 v16, -1 :: v_dual_mov_b32 v19, v17
	v_dual_mov_b32 v18, v16 :: v_dual_mov_b32 v21, v17
	v_mov_b32_e32 v20, v16
.LBB1228_256:
	s_or_b32 exec_lo, exec_lo, s0
	v_or_b32_e32 v24, 32, v23
	s_delay_alu instid0(VALU_DEP_1) | instskip(NEXT) | instid1(VALU_DEP_1)
	v_cmp_lt_u32_e64 s0, v24, v47
	s_and_saveexec_b32 s1, s0
	s_cbranch_execz .LBB1228_258
; %bb.257:
	flat_load_b64 v[16:17], v[8:9] offset:256
.LBB1228_258:
	s_or_b32 exec_lo, exec_lo, s1
	v_or_b32_e32 v24, 64, v23
	s_delay_alu instid0(VALU_DEP_1) | instskip(NEXT) | instid1(VALU_DEP_1)
	v_cmp_lt_u32_e64 s1, v24, v47
	s_and_saveexec_b32 s2, s1
	s_cbranch_execz .LBB1228_260
; %bb.259:
	flat_load_b64 v[18:19], v[8:9] offset:512
.LBB1228_260:
	;; [unrolled: 9-line block ×3, first 2 shown]
	s_or_b32 exec_lo, exec_lo, s3
	v_add_co_u32 v4, s3, v4, v29
	s_delay_alu instid0(VALU_DEP_1) | instskip(NEXT) | instid1(VALU_DEP_2)
	v_add_co_ci_u32_e64 v5, s3, v5, v30, s3
	v_add_co_u32 v4, s3, v4, v22
	s_delay_alu instid0(VALU_DEP_1) | instskip(NEXT) | instid1(VALU_DEP_2)
	v_add_co_ci_u32_e64 v5, s3, 0, v5, s3
                                        ; implicit-def: $vgpr22_vgpr23
	v_add_co_u32 v0, s3, v4, v0
	s_delay_alu instid0(VALU_DEP_1)
	v_add_co_ci_u32_e64 v1, s3, v5, v1, s3
	s_and_saveexec_b32 s3, vcc_lo
	s_cbranch_execnz .LBB1228_337
; %bb.263:
	s_or_b32 exec_lo, exec_lo, s3
                                        ; implicit-def: $vgpr24_vgpr25
	s_and_saveexec_b32 s3, s0
	s_cbranch_execnz .LBB1228_338
.LBB1228_264:
	s_or_b32 exec_lo, exec_lo, s3
                                        ; implicit-def: $vgpr80_vgpr81
	s_and_saveexec_b32 s0, s1
	s_cbranch_execnz .LBB1228_339
.LBB1228_265:
	s_or_b32 exec_lo, exec_lo, s0
                                        ; implicit-def: $vgpr82_vgpr83
	s_and_saveexec_b32 s0, s2
	s_cbranch_execz .LBB1228_267
.LBB1228_266:
	flat_load_b64 v[82:83], v[0:1] offset:768
.LBB1228_267:
	s_or_b32 exec_lo, exec_lo, s0
	s_waitcnt vmcnt(0) lgkmcnt(0)
	v_cmp_lt_i64_e32 vcc_lo, -1, v[14:15]
	v_ashrrev_i32_e32 v1, 31, v15
	v_ashrrev_i32_e32 v5, 31, v17
	s_mov_b32 s20, 0
	s_getpc_b64 s[0:1]
	s_add_u32 s0, s0, _ZN7rocprim17ROCPRIM_400000_NS16block_radix_sortIdLj256ELj4ElLj1ELj1ELj8ELNS0_26block_radix_rank_algorithmE2ELNS0_18block_padding_hintE2ELNS0_4arch9wavefront6targetE0EE19radix_bits_per_passE@rel32@lo+4
	s_addc_u32 s1, s1, _ZN7rocprim17ROCPRIM_400000_NS16block_radix_sortIdLj256ELj4ElLj1ELj1ELj8ELNS0_26block_radix_rank_algorithmE2ELNS0_18block_padding_hintE2ELNS0_4arch9wavefront6targetE0EE19radix_bits_per_passE@rel32@hi+12
	s_mov_b32 s21, s20
	v_cndmask_b32_e64 v0, -1, 0x80000000, vcc_lo
	v_cmp_lt_i64_e32 vcc_lo, -1, v[16:17]
	v_xor_b32_e32 v86, v1, v14
	v_ashrrev_i32_e32 v1, 31, v19
	v_xor_b32_e32 v84, v5, v16
	v_xor_b32_e32 v87, v0, v15
	v_ashrrev_i32_e32 v5, 31, v21
	v_cndmask_b32_e64 v4, -1, 0x80000000, vcc_lo
	v_cmp_lt_i64_e32 vcc_lo, -1, v[18:19]
	s_mov_b32 s22, s20
	s_mov_b32 s23, s20
	v_and_b32_e32 v15, 0x3e0, v26
	v_xor_b32_e32 v85, v4, v17
	v_xor_b32_e32 v18, v1, v18
	v_cndmask_b32_e64 v0, -1, 0x80000000, vcc_lo
	v_cmp_lt_i64_e32 vcc_lo, -1, v[20:21]
	v_xor_b32_e32 v20, v5, v20
	v_dual_mov_b32 v1, 0 :: v_dual_add_nc_u32 v16, -1, v96
	s_delay_alu instid0(VALU_DEP_4) | instskip(SKIP_4) | instid1(VALU_DEP_3)
	v_xor_b32_e32 v19, v0, v19
	v_lshlrev_b32_e32 v0, 5, v26
	v_cndmask_b32_e64 v4, -1, 0x80000000, vcc_lo
	v_add_co_u32 v28, vcc_lo, v12, 32
	v_add_co_ci_u32_e32 v39, vcc_lo, 0, v13, vcc_lo
	v_xor_b32_e32 v21, v4, v21
	v_add_co_u32 v4, vcc_lo, v12, v0
	v_add_co_ci_u32_e32 v5, vcc_lo, 0, v13, vcc_lo
	v_add_co_u32 v8, vcc_lo, v28, v0
	v_min_u32_e32 v0, 0xe0, v15
	v_and_b32_e32 v15, 16, v96
	v_and_b32_e32 v14, 15, v96
	v_cmp_gt_i32_e64 s4, 0, v16
	v_add_co_ci_u32_e32 v9, vcc_lo, 0, v39, vcc_lo
	v_or_b32_e32 v0, 31, v0
	v_cmp_eq_u32_e64 s3, 0, v15
	v_lshrrev_b32_e32 v15, 5, v26
	s_load_b32 s27, s[0:1], 0x0
	v_cmp_eq_u32_e32 vcc_lo, 0, v14
	v_cmp_lt_u32_e64 s0, 1, v14
	v_cmp_lt_u32_e64 s1, 3, v14
	;; [unrolled: 1-line block ×3, first 2 shown]
	v_cndmask_b32_e64 v14, v16, v96, s4
	v_cmp_eq_u32_e64 s4, v0, v26
	v_lshlrev_b32_e32 v0, 2, v15
	v_and_b32_e32 v16, 7, v96
	v_lshrrev_b32_e32 v112, 5, v27
	v_lshlrev_b32_e32 v113, 2, v14
	v_lshlrev_b32_e32 v14, 2, v26
	v_add_co_u32 v31, s11, v12, v0
	v_add_nc_u32_e32 v0, -1, v15
	v_add_co_ci_u32_e64 v32, s11, 0, v13, s11
	s_delay_alu instid0(VALU_DEP_4) | instskip(SKIP_1) | instid1(VALU_DEP_4)
	v_and_or_b32 v17, 0xf80, v14, v96
	v_add_co_u32 v33, s11, v12, v14
	v_lshlrev_b64 v[14:15], 2, v[0:1]
	v_add_co_ci_u32_e64 v34, s11, 0, v13, s11
	s_delay_alu instid0(VALU_DEP_4) | instskip(SKIP_3) | instid1(VALU_DEP_1)
	v_lshlrev_b32_e32 v0, 3, v17
	v_cmp_eq_u32_e64 s11, 0, v16
	v_cmp_lt_u32_e64 s14, 1, v16
	v_add_co_u32 v35, s16, v12, v14
	v_add_co_ci_u32_e64 v36, s16, v13, v15, s16
	v_add_co_u32 v37, s16, v12, v0
	v_cmp_lt_u32_e64 s15, 3, v16
	v_mov_b32_e32 v14, s20
	v_cmp_gt_u32_e64 s5, 8, v26
	v_cmp_lt_u32_e64 s6, 31, v26
	v_cmp_eq_u32_e64 s7, 0, v96
	v_cmp_eq_u32_e64 s10, 0, v26
	v_add_co_ci_u32_e64 v38, s16, 0, v13, s16
	v_sub_nc_u32_e32 v114, v11, v10
	v_dual_mov_b32 v15, s21 :: v_dual_mov_b32 v16, s22
	v_mov_b32_e32 v17, s23
	s_mov_b32 s24, -1
	s_brev_b32 s25, -2
	s_waitcnt lgkmcnt(0)
	s_waitcnt_vscnt null, 0x0
	s_barrier
	buffer_gl0_inv
	s_branch .LBB1228_269
.LBB1228_268:                           ;   in Loop: Header=BB1228_269 Depth=1
	s_or_b32 exec_lo, exec_lo, s17
	s_delay_alu instid0(SALU_CYCLE_1) | instskip(NEXT) | instid1(SALU_CYCLE_1)
	s_and_b32 s16, exec_lo, s18
	s_or_b32 s20, s16, s20
	s_delay_alu instid0(SALU_CYCLE_1)
	s_and_not1_b32 exec_lo, exec_lo, s20
	s_cbranch_execz .LBB1228_299
.LBB1228_269:                           ; =>This Inner Loop Header: Depth=1
	v_dual_mov_b32 v48, v86 :: v_dual_mov_b32 v49, v87
	v_min_u32_e32 v0, s27, v114
	s_clause 0x1
	flat_store_b128 v[4:5], v[14:17] offset:32
	flat_store_b128 v[8:9], v[14:17] offset:16
	s_waitcnt lgkmcnt(0)
	s_waitcnt_vscnt null, 0x0
	s_barrier
	v_cmp_ne_u64_e64 s16, s[24:25], v[48:49]
	v_lshlrev_b32_e64 v0, v0, -1
	buffer_gl0_inv
	; wave barrier
	v_mov_b32_e32 v69, v19
	v_cndmask_b32_e64 v51, 0x80000000, v49, s16
	v_cndmask_b32_e64 v50, 0, v48, s16
	v_not_b32_e32 v86, v0
	v_mov_b32_e32 v70, v84
	v_dual_mov_b32 v68, v18 :: v_dual_mov_b32 v71, v85
	s_delay_alu instid0(VALU_DEP_4) | instskip(NEXT) | instid1(VALU_DEP_1)
	v_lshrrev_b64 v[50:51], v10, v[50:51]
	v_and_b32_e32 v0, v50, v86
	s_delay_alu instid0(VALU_DEP_1) | instskip(SKIP_1) | instid1(VALU_DEP_2)
	v_and_b32_e32 v50, 1, v0
	v_lshlrev_b32_e32 v51, 30, v0
	v_add_co_u32 v50, s16, v50, -1
	s_delay_alu instid0(VALU_DEP_1) | instskip(NEXT) | instid1(VALU_DEP_3)
	v_cndmask_b32_e64 v54, 0, 1, s16
	v_not_b32_e32 v66, v51
	v_cmp_gt_i32_e64 s17, 0, v51
	s_delay_alu instid0(VALU_DEP_3) | instskip(NEXT) | instid1(VALU_DEP_3)
	v_cmp_ne_u32_e64 s16, 0, v54
	v_ashrrev_i32_e32 v66, 31, v66
	s_delay_alu instid0(VALU_DEP_2) | instskip(NEXT) | instid1(VALU_DEP_2)
	v_xor_b32_e32 v50, s16, v50
	v_xor_b32_e32 v66, s17, v66
	s_delay_alu instid0(VALU_DEP_2) | instskip(NEXT) | instid1(VALU_DEP_1)
	v_and_b32_e32 v50, exec_lo, v50
	v_dual_mov_b32 v67, v21 :: v_dual_and_b32 v50, v50, v66
	v_lshlrev_b32_e32 v52, 29, v0
	v_lshlrev_b32_e32 v55, 27, v0
	;; [unrolled: 1-line block ×5, first 2 shown]
	v_not_b32_e32 v51, v52
	v_cmp_gt_i32_e64 s16, 0, v52
	v_not_b32_e32 v52, v53
	v_cmp_gt_i32_e64 s17, 0, v53
	v_not_b32_e32 v53, v55
	v_ashrrev_i32_e32 v51, 31, v51
	v_lshlrev_b32_e32 v65, 25, v0
	v_ashrrev_i32_e32 v52, 31, v52
	v_lshl_add_u32 v0, v0, 3, v112
	v_ashrrev_i32_e32 v53, 31, v53
	v_xor_b32_e32 v51, s16, v51
	v_cmp_gt_i32_e64 s16, 0, v55
	v_not_b32_e32 v55, v64
	v_xor_b32_e32 v52, s17, v52
	v_cmp_gt_i32_e64 s17, 0, v64
	v_and_b32_e32 v50, v50, v51
	v_xor_b32_e32 v53, s16, v53
	v_ashrrev_i32_e32 v55, 31, v55
	v_mov_b32_e32 v66, v20
	s_delay_alu instid0(VALU_DEP_4) | instskip(SKIP_1) | instid1(VALU_DEP_4)
	v_and_b32_e32 v50, v50, v52
	v_not_b32_e32 v52, v54
	v_xor_b32_e32 v55, s17, v55
	v_cmp_gt_i32_e64 s17, 0, v54
	s_delay_alu instid0(VALU_DEP_4) | instskip(NEXT) | instid1(VALU_DEP_4)
	v_and_b32_e32 v50, v50, v53
	v_ashrrev_i32_e32 v52, 31, v52
	s_delay_alu instid0(VALU_DEP_2)
	v_dual_mov_b32 v55, v23 :: v_dual_and_b32 v50, v50, v55
	v_mov_b32_e32 v54, v22
	v_not_b32_e32 v51, v65
	v_cmp_gt_i32_e64 s16, 0, v65
	v_xor_b32_e32 v18, s17, v52
	v_dual_mov_b32 v53, v25 :: v_dual_mov_b32 v64, v82
	s_delay_alu instid0(VALU_DEP_4) | instskip(SKIP_1) | instid1(VALU_DEP_2)
	v_ashrrev_i32_e32 v51, 31, v51
	v_dual_mov_b32 v65, v83 :: v_dual_mov_b32 v52, v24
	v_xor_b32_e32 v51, s16, v51
	s_delay_alu instid0(VALU_DEP_1) | instskip(NEXT) | instid1(VALU_DEP_1)
	v_dual_mov_b32 v50, v80 :: v_dual_and_b32 v19, v50, v51
	v_dual_mov_b32 v51, v81 :: v_dual_and_b32 v18, v19, v18
	v_lshlrev_b64 v[19:20], 2, v[0:1]
	s_delay_alu instid0(VALU_DEP_2) | instskip(SKIP_1) | instid1(VALU_DEP_3)
	v_mbcnt_lo_u32_b32 v96, v18, 0
	v_cmp_ne_u32_e64 s16, 0, v18
	v_add_co_u32 v80, s18, v28, v19
	s_delay_alu instid0(VALU_DEP_1) | instskip(NEXT) | instid1(VALU_DEP_4)
	v_add_co_ci_u32_e64 v81, s18, v39, v20, s18
	v_cmp_eq_u32_e64 s17, 0, v96
	s_delay_alu instid0(VALU_DEP_1) | instskip(NEXT) | instid1(SALU_CYCLE_1)
	s_and_b32 s17, s16, s17
	s_and_saveexec_b32 s16, s17
	s_cbranch_execz .LBB1228_271
; %bb.270:                              ;   in Loop: Header=BB1228_269 Depth=1
	v_bcnt_u32_b32 v0, v18, 0
	flat_store_b32 v[80:81], v0
.LBB1228_271:                           ;   in Loop: Header=BB1228_269 Depth=1
	s_or_b32 exec_lo, exec_lo, s16
	v_cmp_ne_u64_e64 s16, s[24:25], v[70:71]
	; wave barrier
	s_delay_alu instid0(VALU_DEP_1) | instskip(SKIP_1) | instid1(VALU_DEP_1)
	v_cndmask_b32_e64 v19, 0x80000000, v71, s16
	v_cndmask_b32_e64 v18, 0, v70, s16
	v_lshrrev_b64 v[18:19], v10, v[18:19]
	s_delay_alu instid0(VALU_DEP_1) | instskip(NEXT) | instid1(VALU_DEP_1)
	v_and_b32_e32 v20, v18, v86
	v_lshl_add_u32 v0, v20, 3, v112
	v_lshlrev_b32_e32 v21, 29, v20
	v_lshlrev_b32_e32 v22, 28, v20
	s_delay_alu instid0(VALU_DEP_3) | instskip(SKIP_1) | instid1(VALU_DEP_2)
	v_lshlrev_b64 v[18:19], 2, v[0:1]
	v_and_b32_e32 v0, 1, v20
	v_add_co_u32 v82, s16, v28, v18
	s_delay_alu instid0(VALU_DEP_1) | instskip(NEXT) | instid1(VALU_DEP_3)
	v_add_co_ci_u32_e64 v83, s16, v39, v19, s16
	v_add_co_u32 v0, s16, v0, -1
	s_delay_alu instid0(VALU_DEP_1) | instskip(SKIP_3) | instid1(VALU_DEP_2)
	v_cndmask_b32_e64 v18, 0, 1, s16
	flat_load_b32 v97, v[82:83]
	v_lshlrev_b32_e32 v19, 30, v20
	; wave barrier
	v_cmp_ne_u32_e64 s16, 0, v18
	v_not_b32_e32 v18, v19
	s_delay_alu instid0(VALU_DEP_2) | instskip(SKIP_1) | instid1(VALU_DEP_3)
	v_xor_b32_e32 v0, s16, v0
	v_cmp_gt_i32_e64 s16, 0, v19
	v_ashrrev_i32_e32 v18, 31, v18
	v_not_b32_e32 v19, v21
	s_delay_alu instid0(VALU_DEP_4) | instskip(NEXT) | instid1(VALU_DEP_3)
	v_and_b32_e32 v0, exec_lo, v0
	v_xor_b32_e32 v18, s16, v18
	v_cmp_gt_i32_e64 s16, 0, v21
	s_delay_alu instid0(VALU_DEP_4) | instskip(SKIP_1) | instid1(VALU_DEP_4)
	v_ashrrev_i32_e32 v19, 31, v19
	v_not_b32_e32 v21, v22
	v_and_b32_e32 v0, v0, v18
	v_lshlrev_b32_e32 v18, 27, v20
	s_delay_alu instid0(VALU_DEP_4) | instskip(SKIP_2) | instid1(VALU_DEP_4)
	v_xor_b32_e32 v19, s16, v19
	v_cmp_gt_i32_e64 s16, 0, v22
	v_ashrrev_i32_e32 v21, 31, v21
	v_not_b32_e32 v22, v18
	s_delay_alu instid0(VALU_DEP_4) | instskip(SKIP_1) | instid1(VALU_DEP_4)
	v_and_b32_e32 v0, v0, v19
	v_lshlrev_b32_e32 v19, 26, v20
	v_xor_b32_e32 v21, s16, v21
	v_cmp_gt_i32_e64 s16, 0, v18
	v_ashrrev_i32_e32 v18, 31, v22
	s_delay_alu instid0(VALU_DEP_4) | instskip(NEXT) | instid1(VALU_DEP_4)
	v_not_b32_e32 v22, v19
	v_and_b32_e32 v0, v0, v21
	v_lshlrev_b32_e32 v21, 25, v20
	s_delay_alu instid0(VALU_DEP_4) | instskip(SKIP_2) | instid1(VALU_DEP_4)
	v_xor_b32_e32 v18, s16, v18
	v_cmp_gt_i32_e64 s16, 0, v19
	v_ashrrev_i32_e32 v19, 31, v22
	v_not_b32_e32 v22, v21
	s_delay_alu instid0(VALU_DEP_4) | instskip(SKIP_1) | instid1(VALU_DEP_4)
	v_and_b32_e32 v0, v0, v18
	v_lshlrev_b32_e32 v18, 24, v20
	v_xor_b32_e32 v19, s16, v19
	v_cmp_gt_i32_e64 s16, 0, v21
	v_ashrrev_i32_e32 v20, 31, v22
	s_delay_alu instid0(VALU_DEP_4) | instskip(NEXT) | instid1(VALU_DEP_4)
	v_not_b32_e32 v21, v18
	v_and_b32_e32 v0, v0, v19
	s_delay_alu instid0(VALU_DEP_3) | instskip(SKIP_1) | instid1(VALU_DEP_4)
	v_xor_b32_e32 v19, s16, v20
	v_cmp_gt_i32_e64 s16, 0, v18
	v_ashrrev_i32_e32 v18, 31, v21
	s_delay_alu instid0(VALU_DEP_3) | instskip(NEXT) | instid1(VALU_DEP_2)
	v_and_b32_e32 v0, v0, v19
	v_xor_b32_e32 v18, s16, v18
	s_delay_alu instid0(VALU_DEP_1) | instskip(NEXT) | instid1(VALU_DEP_1)
	v_and_b32_e32 v0, v0, v18
	v_mbcnt_lo_u32_b32 v98, v0, 0
	v_cmp_ne_u32_e64 s17, 0, v0
	s_delay_alu instid0(VALU_DEP_2) | instskip(NEXT) | instid1(VALU_DEP_1)
	v_cmp_eq_u32_e64 s16, 0, v98
	s_and_b32 s17, s17, s16
	s_delay_alu instid0(SALU_CYCLE_1)
	s_and_saveexec_b32 s16, s17
	s_cbranch_execz .LBB1228_273
; %bb.272:                              ;   in Loop: Header=BB1228_269 Depth=1
	s_waitcnt vmcnt(0) lgkmcnt(0)
	v_bcnt_u32_b32 v0, v0, v97
	flat_store_b32 v[82:83], v0
.LBB1228_273:                           ;   in Loop: Header=BB1228_269 Depth=1
	s_or_b32 exec_lo, exec_lo, s16
	v_cmp_ne_u64_e64 s16, s[24:25], v[68:69]
	; wave barrier
	s_delay_alu instid0(VALU_DEP_1) | instskip(SKIP_1) | instid1(VALU_DEP_1)
	v_cndmask_b32_e64 v19, 0x80000000, v69, s16
	v_cndmask_b32_e64 v18, 0, v68, s16
	v_lshrrev_b64 v[18:19], v10, v[18:19]
	s_delay_alu instid0(VALU_DEP_1) | instskip(NEXT) | instid1(VALU_DEP_1)
	v_and_b32_e32 v20, v18, v86
	v_lshl_add_u32 v0, v20, 3, v112
	v_lshlrev_b32_e32 v21, 29, v20
	v_lshlrev_b32_e32 v22, 28, v20
	s_delay_alu instid0(VALU_DEP_3) | instskip(SKIP_1) | instid1(VALU_DEP_2)
	v_lshlrev_b64 v[18:19], 2, v[0:1]
	v_and_b32_e32 v0, 1, v20
	v_add_co_u32 v84, s16, v28, v18
	s_delay_alu instid0(VALU_DEP_1) | instskip(NEXT) | instid1(VALU_DEP_3)
	v_add_co_ci_u32_e64 v85, s16, v39, v19, s16
	v_add_co_u32 v0, s16, v0, -1
	s_delay_alu instid0(VALU_DEP_1) | instskip(SKIP_3) | instid1(VALU_DEP_2)
	v_cndmask_b32_e64 v18, 0, 1, s16
	flat_load_b32 v99, v[84:85]
	v_lshlrev_b32_e32 v19, 30, v20
	; wave barrier
	v_cmp_ne_u32_e64 s16, 0, v18
	v_not_b32_e32 v18, v19
	s_delay_alu instid0(VALU_DEP_2) | instskip(SKIP_1) | instid1(VALU_DEP_3)
	v_xor_b32_e32 v0, s16, v0
	v_cmp_gt_i32_e64 s16, 0, v19
	v_ashrrev_i32_e32 v18, 31, v18
	v_not_b32_e32 v19, v21
	s_delay_alu instid0(VALU_DEP_4) | instskip(NEXT) | instid1(VALU_DEP_3)
	v_and_b32_e32 v0, exec_lo, v0
	v_xor_b32_e32 v18, s16, v18
	v_cmp_gt_i32_e64 s16, 0, v21
	s_delay_alu instid0(VALU_DEP_4) | instskip(SKIP_1) | instid1(VALU_DEP_4)
	v_ashrrev_i32_e32 v19, 31, v19
	v_not_b32_e32 v21, v22
	v_and_b32_e32 v0, v0, v18
	v_lshlrev_b32_e32 v18, 27, v20
	s_delay_alu instid0(VALU_DEP_4) | instskip(SKIP_2) | instid1(VALU_DEP_4)
	v_xor_b32_e32 v19, s16, v19
	v_cmp_gt_i32_e64 s16, 0, v22
	v_ashrrev_i32_e32 v21, 31, v21
	v_not_b32_e32 v22, v18
	s_delay_alu instid0(VALU_DEP_4) | instskip(SKIP_1) | instid1(VALU_DEP_4)
	v_and_b32_e32 v0, v0, v19
	v_lshlrev_b32_e32 v19, 26, v20
	v_xor_b32_e32 v21, s16, v21
	v_cmp_gt_i32_e64 s16, 0, v18
	v_ashrrev_i32_e32 v18, 31, v22
	s_delay_alu instid0(VALU_DEP_4) | instskip(NEXT) | instid1(VALU_DEP_4)
	v_not_b32_e32 v22, v19
	v_and_b32_e32 v0, v0, v21
	v_lshlrev_b32_e32 v21, 25, v20
	s_delay_alu instid0(VALU_DEP_4) | instskip(SKIP_2) | instid1(VALU_DEP_4)
	v_xor_b32_e32 v18, s16, v18
	v_cmp_gt_i32_e64 s16, 0, v19
	v_ashrrev_i32_e32 v19, 31, v22
	v_not_b32_e32 v22, v21
	s_delay_alu instid0(VALU_DEP_4) | instskip(SKIP_1) | instid1(VALU_DEP_4)
	v_and_b32_e32 v0, v0, v18
	v_lshlrev_b32_e32 v18, 24, v20
	v_xor_b32_e32 v19, s16, v19
	v_cmp_gt_i32_e64 s16, 0, v21
	v_ashrrev_i32_e32 v20, 31, v22
	s_delay_alu instid0(VALU_DEP_4) | instskip(NEXT) | instid1(VALU_DEP_4)
	v_not_b32_e32 v21, v18
	v_and_b32_e32 v0, v0, v19
	s_delay_alu instid0(VALU_DEP_3) | instskip(SKIP_1) | instid1(VALU_DEP_4)
	v_xor_b32_e32 v19, s16, v20
	v_cmp_gt_i32_e64 s16, 0, v18
	v_ashrrev_i32_e32 v18, 31, v21
	s_delay_alu instid0(VALU_DEP_3) | instskip(NEXT) | instid1(VALU_DEP_2)
	v_and_b32_e32 v0, v0, v19
	v_xor_b32_e32 v18, s16, v18
	s_delay_alu instid0(VALU_DEP_1) | instskip(NEXT) | instid1(VALU_DEP_1)
	v_and_b32_e32 v0, v0, v18
	v_mbcnt_lo_u32_b32 v100, v0, 0
	v_cmp_ne_u32_e64 s17, 0, v0
	s_delay_alu instid0(VALU_DEP_2) | instskip(NEXT) | instid1(VALU_DEP_1)
	v_cmp_eq_u32_e64 s16, 0, v100
	s_and_b32 s17, s17, s16
	s_delay_alu instid0(SALU_CYCLE_1)
	s_and_saveexec_b32 s16, s17
	s_cbranch_execz .LBB1228_275
; %bb.274:                              ;   in Loop: Header=BB1228_269 Depth=1
	s_waitcnt vmcnt(0) lgkmcnt(0)
	v_bcnt_u32_b32 v0, v0, v99
	flat_store_b32 v[84:85], v0
.LBB1228_275:                           ;   in Loop: Header=BB1228_269 Depth=1
	s_or_b32 exec_lo, exec_lo, s16
	v_cmp_ne_u64_e64 s16, s[24:25], v[66:67]
	; wave barrier
	s_delay_alu instid0(VALU_DEP_1) | instskip(SKIP_1) | instid1(VALU_DEP_1)
	v_cndmask_b32_e64 v19, 0x80000000, v67, s16
	v_cndmask_b32_e64 v18, 0, v66, s16
	v_lshrrev_b64 v[18:19], v10, v[18:19]
	s_delay_alu instid0(VALU_DEP_1) | instskip(NEXT) | instid1(VALU_DEP_1)
	v_and_b32_e32 v20, v18, v86
	v_lshl_add_u32 v0, v20, 3, v112
	v_lshlrev_b32_e32 v21, 29, v20
	v_lshlrev_b32_e32 v22, 28, v20
	s_delay_alu instid0(VALU_DEP_3) | instskip(SKIP_1) | instid1(VALU_DEP_2)
	v_lshlrev_b64 v[18:19], 2, v[0:1]
	v_and_b32_e32 v0, 1, v20
	v_add_co_u32 v86, s16, v28, v18
	s_delay_alu instid0(VALU_DEP_1) | instskip(NEXT) | instid1(VALU_DEP_3)
	v_add_co_ci_u32_e64 v87, s16, v39, v19, s16
	v_add_co_u32 v0, s16, v0, -1
	s_delay_alu instid0(VALU_DEP_1) | instskip(SKIP_3) | instid1(VALU_DEP_2)
	v_cndmask_b32_e64 v18, 0, 1, s16
	flat_load_b32 v101, v[86:87]
	v_lshlrev_b32_e32 v19, 30, v20
	; wave barrier
	v_cmp_ne_u32_e64 s16, 0, v18
	v_not_b32_e32 v18, v19
	s_delay_alu instid0(VALU_DEP_2) | instskip(SKIP_1) | instid1(VALU_DEP_3)
	v_xor_b32_e32 v0, s16, v0
	v_cmp_gt_i32_e64 s16, 0, v19
	v_ashrrev_i32_e32 v18, 31, v18
	v_not_b32_e32 v19, v21
	s_delay_alu instid0(VALU_DEP_4) | instskip(NEXT) | instid1(VALU_DEP_3)
	v_and_b32_e32 v0, exec_lo, v0
	v_xor_b32_e32 v18, s16, v18
	v_cmp_gt_i32_e64 s16, 0, v21
	s_delay_alu instid0(VALU_DEP_4) | instskip(SKIP_1) | instid1(VALU_DEP_4)
	v_ashrrev_i32_e32 v19, 31, v19
	v_not_b32_e32 v21, v22
	v_and_b32_e32 v0, v0, v18
	v_lshlrev_b32_e32 v18, 27, v20
	s_delay_alu instid0(VALU_DEP_4) | instskip(SKIP_2) | instid1(VALU_DEP_4)
	v_xor_b32_e32 v19, s16, v19
	v_cmp_gt_i32_e64 s16, 0, v22
	v_ashrrev_i32_e32 v21, 31, v21
	v_not_b32_e32 v22, v18
	s_delay_alu instid0(VALU_DEP_4) | instskip(SKIP_1) | instid1(VALU_DEP_4)
	v_and_b32_e32 v0, v0, v19
	v_lshlrev_b32_e32 v19, 26, v20
	v_xor_b32_e32 v21, s16, v21
	v_cmp_gt_i32_e64 s16, 0, v18
	v_ashrrev_i32_e32 v18, 31, v22
	s_delay_alu instid0(VALU_DEP_4) | instskip(NEXT) | instid1(VALU_DEP_4)
	v_not_b32_e32 v22, v19
	v_and_b32_e32 v0, v0, v21
	v_lshlrev_b32_e32 v21, 25, v20
	s_delay_alu instid0(VALU_DEP_4) | instskip(SKIP_2) | instid1(VALU_DEP_4)
	v_xor_b32_e32 v18, s16, v18
	v_cmp_gt_i32_e64 s16, 0, v19
	v_ashrrev_i32_e32 v19, 31, v22
	v_not_b32_e32 v22, v21
	s_delay_alu instid0(VALU_DEP_4) | instskip(SKIP_1) | instid1(VALU_DEP_4)
	v_and_b32_e32 v0, v0, v18
	v_lshlrev_b32_e32 v18, 24, v20
	v_xor_b32_e32 v19, s16, v19
	v_cmp_gt_i32_e64 s16, 0, v21
	v_ashrrev_i32_e32 v20, 31, v22
	s_delay_alu instid0(VALU_DEP_4) | instskip(NEXT) | instid1(VALU_DEP_4)
	v_not_b32_e32 v21, v18
	v_and_b32_e32 v0, v0, v19
	s_delay_alu instid0(VALU_DEP_3) | instskip(SKIP_1) | instid1(VALU_DEP_4)
	v_xor_b32_e32 v19, s16, v20
	v_cmp_gt_i32_e64 s16, 0, v18
	v_ashrrev_i32_e32 v18, 31, v21
	s_delay_alu instid0(VALU_DEP_3) | instskip(NEXT) | instid1(VALU_DEP_2)
	v_and_b32_e32 v0, v0, v19
	v_xor_b32_e32 v18, s16, v18
	s_delay_alu instid0(VALU_DEP_1) | instskip(NEXT) | instid1(VALU_DEP_1)
	v_and_b32_e32 v0, v0, v18
	v_mbcnt_lo_u32_b32 v102, v0, 0
	v_cmp_ne_u32_e64 s17, 0, v0
	s_delay_alu instid0(VALU_DEP_2) | instskip(NEXT) | instid1(VALU_DEP_1)
	v_cmp_eq_u32_e64 s16, 0, v102
	s_and_b32 s17, s17, s16
	s_delay_alu instid0(SALU_CYCLE_1)
	s_and_saveexec_b32 s16, s17
	s_cbranch_execz .LBB1228_277
; %bb.276:                              ;   in Loop: Header=BB1228_269 Depth=1
	s_waitcnt vmcnt(0) lgkmcnt(0)
	v_bcnt_u32_b32 v0, v0, v101
	flat_store_b32 v[86:87], v0
.LBB1228_277:                           ;   in Loop: Header=BB1228_269 Depth=1
	s_or_b32 exec_lo, exec_lo, s16
	; wave barrier
	s_waitcnt vmcnt(0) lgkmcnt(0)
	s_waitcnt_vscnt null, 0x0
	s_barrier
	buffer_gl0_inv
	s_clause 0x1
	flat_load_b128 v[22:25], v[4:5] offset:32
	flat_load_b128 v[18:21], v[8:9] offset:16
	s_waitcnt vmcnt(1) lgkmcnt(1)
	v_add_nc_u32_e32 v0, v23, v22
	s_delay_alu instid0(VALU_DEP_1) | instskip(SKIP_1) | instid1(VALU_DEP_1)
	v_add3_u32 v0, v0, v24, v25
	s_waitcnt vmcnt(0) lgkmcnt(0)
	v_add3_u32 v0, v0, v18, v19
	s_delay_alu instid0(VALU_DEP_1) | instskip(NEXT) | instid1(VALU_DEP_1)
	v_add3_u32 v0, v0, v20, v21
	v_mov_b32_dpp v21, v0 row_shr:1 row_mask:0xf bank_mask:0xf
	s_delay_alu instid0(VALU_DEP_1) | instskip(NEXT) | instid1(VALU_DEP_1)
	v_cndmask_b32_e64 v21, v21, 0, vcc_lo
	v_add_nc_u32_e32 v0, v21, v0
	s_delay_alu instid0(VALU_DEP_1) | instskip(NEXT) | instid1(VALU_DEP_1)
	v_mov_b32_dpp v21, v0 row_shr:2 row_mask:0xf bank_mask:0xf
	v_cndmask_b32_e64 v21, 0, v21, s0
	s_delay_alu instid0(VALU_DEP_1) | instskip(NEXT) | instid1(VALU_DEP_1)
	v_add_nc_u32_e32 v0, v0, v21
	v_mov_b32_dpp v21, v0 row_shr:4 row_mask:0xf bank_mask:0xf
	s_delay_alu instid0(VALU_DEP_1) | instskip(NEXT) | instid1(VALU_DEP_1)
	v_cndmask_b32_e64 v21, 0, v21, s1
	v_add_nc_u32_e32 v0, v0, v21
	s_delay_alu instid0(VALU_DEP_1) | instskip(NEXT) | instid1(VALU_DEP_1)
	v_mov_b32_dpp v21, v0 row_shr:8 row_mask:0xf bank_mask:0xf
	v_cndmask_b32_e64 v21, 0, v21, s2
	s_delay_alu instid0(VALU_DEP_1) | instskip(SKIP_3) | instid1(VALU_DEP_1)
	v_add_nc_u32_e32 v0, v0, v21
	ds_swizzle_b32 v21, v0 offset:swizzle(BROADCAST,32,15)
	s_waitcnt lgkmcnt(0)
	v_cndmask_b32_e64 v21, v21, 0, s3
	v_add_nc_u32_e32 v0, v0, v21
	s_and_saveexec_b32 s16, s4
	s_cbranch_execz .LBB1228_279
; %bb.278:                              ;   in Loop: Header=BB1228_269 Depth=1
	flat_store_b32 v[31:32], v0
.LBB1228_279:                           ;   in Loop: Header=BB1228_269 Depth=1
	s_or_b32 exec_lo, exec_lo, s16
	s_waitcnt lgkmcnt(0)
	s_waitcnt_vscnt null, 0x0
	s_barrier
	buffer_gl0_inv
	s_and_saveexec_b32 s16, s5
	s_cbranch_execz .LBB1228_281
; %bb.280:                              ;   in Loop: Header=BB1228_269 Depth=1
	flat_load_b32 v21, v[33:34]
	s_waitcnt vmcnt(0) lgkmcnt(0)
	v_mov_b32_dpp v103, v21 row_shr:1 row_mask:0xf bank_mask:0xf
	s_delay_alu instid0(VALU_DEP_1) | instskip(NEXT) | instid1(VALU_DEP_1)
	v_cndmask_b32_e64 v103, v103, 0, s11
	v_add_nc_u32_e32 v21, v103, v21
	s_delay_alu instid0(VALU_DEP_1) | instskip(NEXT) | instid1(VALU_DEP_1)
	v_mov_b32_dpp v103, v21 row_shr:2 row_mask:0xf bank_mask:0xf
	v_cndmask_b32_e64 v103, 0, v103, s14
	s_delay_alu instid0(VALU_DEP_1) | instskip(NEXT) | instid1(VALU_DEP_1)
	v_add_nc_u32_e32 v21, v21, v103
	v_mov_b32_dpp v103, v21 row_shr:4 row_mask:0xf bank_mask:0xf
	s_delay_alu instid0(VALU_DEP_1) | instskip(NEXT) | instid1(VALU_DEP_1)
	v_cndmask_b32_e64 v103, 0, v103, s15
	v_add_nc_u32_e32 v21, v21, v103
	flat_store_b32 v[33:34], v21
.LBB1228_281:                           ;   in Loop: Header=BB1228_269 Depth=1
	s_or_b32 exec_lo, exec_lo, s16
	v_mov_b32_e32 v21, 0
	s_waitcnt lgkmcnt(0)
	s_waitcnt_vscnt null, 0x0
	s_barrier
	buffer_gl0_inv
	s_and_saveexec_b32 s16, s6
	s_cbranch_execz .LBB1228_283
; %bb.282:                              ;   in Loop: Header=BB1228_269 Depth=1
	flat_load_b32 v21, v[35:36]
.LBB1228_283:                           ;   in Loop: Header=BB1228_269 Depth=1
	s_or_b32 exec_lo, exec_lo, s16
	s_waitcnt vmcnt(0) lgkmcnt(0)
	v_add_nc_u32_e32 v0, v21, v0
	v_add_nc_u32_e32 v10, 8, v10
	s_mov_b32 s18, -1
	ds_bpermute_b32 v0, v113, v0
	s_waitcnt lgkmcnt(0)
	v_cndmask_b32_e64 v0, v0, v21, s7
	s_delay_alu instid0(VALU_DEP_1) | instskip(NEXT) | instid1(VALU_DEP_1)
	v_cndmask_b32_e64 v21, v0, 0, s10
	v_add_nc_u32_e32 v22, v21, v22
	s_delay_alu instid0(VALU_DEP_1) | instskip(NEXT) | instid1(VALU_DEP_1)
	v_add_nc_u32_e32 v23, v22, v23
	v_add_nc_u32_e32 v24, v23, v24
	s_delay_alu instid0(VALU_DEP_1) | instskip(NEXT) | instid1(VALU_DEP_1)
	v_add_nc_u32_e32 v115, v24, v25
	v_add_nc_u32_e32 v116, v115, v18
	s_delay_alu instid0(VALU_DEP_1) | instskip(SKIP_1) | instid1(VALU_DEP_2)
	v_add_nc_u32_e32 v117, v116, v19
	v_mov_b32_e32 v19, v1
	v_add_nc_u32_e32 v118, v117, v20
	s_clause 0x1
	flat_store_b128 v[4:5], v[21:24] offset:32
	flat_store_b128 v[8:9], v[115:118] offset:16
	v_mov_b32_e32 v21, v1
	s_waitcnt lgkmcnt(0)
	s_waitcnt_vscnt null, 0x0
	s_barrier
	buffer_gl0_inv
	s_clause 0x3
	flat_load_b32 v0, v[80:81]
	flat_load_b32 v18, v[82:83]
	;; [unrolled: 1-line block ×4, first 2 shown]
	v_mov_b32_e32 v23, v1
	v_cmp_lt_u32_e64 s16, v10, v11
	s_waitcnt vmcnt(0) lgkmcnt(0)
	s_waitcnt_vscnt null, 0x0
                                        ; implicit-def: $vgpr84_vgpr85
                                        ; implicit-def: $vgpr86_vgpr87
                                        ; implicit-def: $vgpr80_vgpr81
                                        ; implicit-def: $vgpr82_vgpr83
	s_waitcnt vmcnt(3) lgkmcnt(3)
	v_add_nc_u32_e32 v0, v0, v96
	s_waitcnt vmcnt(2) lgkmcnt(2)
	v_add3_u32 v18, v98, v97, v18
	s_waitcnt vmcnt(1) lgkmcnt(1)
	v_add3_u32 v20, v100, v99, v20
	;; [unrolled: 2-line block ×3, first 2 shown]
	v_lshlrev_b64 v[24:25], 3, v[0:1]
	v_lshlrev_b64 v[18:19], 3, v[18:19]
	;; [unrolled: 1-line block ×3, first 2 shown]
	s_delay_alu instid0(VALU_DEP_4) | instskip(NEXT) | instid1(VALU_DEP_4)
	v_lshlrev_b64 v[22:23], 3, v[22:23]
	v_add_co_u32 v96, s17, v12, v24
	s_delay_alu instid0(VALU_DEP_1) | instskip(SKIP_1) | instid1(VALU_DEP_1)
	v_add_co_ci_u32_e64 v97, s17, v13, v25, s17
	v_add_co_u32 v98, s17, v12, v18
	v_add_co_ci_u32_e64 v99, s17, v13, v19, s17
	v_add_co_u32 v100, s17, v12, v20
	s_delay_alu instid0(VALU_DEP_1) | instskip(SKIP_1) | instid1(VALU_DEP_1)
	v_add_co_ci_u32_e64 v101, s17, v13, v21, s17
	v_add_co_u32 v102, s17, v12, v22
	v_add_co_ci_u32_e64 v103, s17, v13, v23, s17
                                        ; implicit-def: $vgpr20_vgpr21
                                        ; implicit-def: $vgpr18_vgpr19
                                        ; implicit-def: $vgpr22_vgpr23
                                        ; implicit-def: $vgpr24_vgpr25
	s_and_saveexec_b32 s17, s16
	s_cbranch_execz .LBB1228_268
; %bb.284:                              ;   in Loop: Header=BB1228_269 Depth=1
	s_barrier
	buffer_gl0_inv
	s_clause 0x3
	flat_store_b64 v[96:97], v[48:49]
	flat_store_b64 v[98:99], v[70:71]
	;; [unrolled: 1-line block ×4, first 2 shown]
	s_waitcnt lgkmcnt(0)
	s_waitcnt_vscnt null, 0x0
	s_barrier
	buffer_gl0_inv
	s_clause 0x3
	flat_load_b64 v[86:87], v[37:38]
	flat_load_b64 v[84:85], v[37:38] offset:256
	flat_load_b64 v[18:19], v[37:38] offset:512
	;; [unrolled: 1-line block ×3, first 2 shown]
	s_waitcnt vmcnt(0) lgkmcnt(0)
	s_barrier
	buffer_gl0_inv
	s_clause 0x3
	flat_store_b64 v[96:97], v[54:55]
	flat_store_b64 v[98:99], v[52:53]
	;; [unrolled: 1-line block ×4, first 2 shown]
	s_waitcnt lgkmcnt(0)
	s_waitcnt_vscnt null, 0x0
	s_barrier
	buffer_gl0_inv
	s_clause 0x3
	flat_load_b64 v[22:23], v[37:38]
	flat_load_b64 v[24:25], v[37:38] offset:256
	flat_load_b64 v[80:81], v[37:38] offset:512
	flat_load_b64 v[82:83], v[37:38] offset:768
	v_add_nc_u32_e32 v114, -8, v114
	s_xor_b32 s18, exec_lo, -1
	s_waitcnt vmcnt(0) lgkmcnt(0)
	s_barrier
	buffer_gl0_inv
	s_branch .LBB1228_268
.LBB1228_285:
	flat_load_b64 v[22:23], v[4:5]
	s_or_b32 exec_lo, exec_lo, s7
                                        ; implicit-def: $vgpr102_vgpr103
	s_and_saveexec_b32 s7, s0
	s_cbranch_execz .LBB1228_163
.LBB1228_286:
	flat_load_b64 v[102:103], v[4:5] offset:256
	s_or_b32 exec_lo, exec_lo, s7
                                        ; implicit-def: $vgpr116_vgpr117
	s_and_saveexec_b32 s0, s1
	s_cbranch_execz .LBB1228_164
.LBB1228_287:
	flat_load_b64 v[116:117], v[4:5] offset:512
	s_or_b32 exec_lo, exec_lo, s0
                                        ; implicit-def: $vgpr118_vgpr119
	s_and_saveexec_b32 s0, s2
	s_cbranch_execz .LBB1228_165
.LBB1228_288:
	flat_load_b64 v[118:119], v[4:5] offset:768
	s_or_b32 exec_lo, exec_lo, s0
                                        ; implicit-def: $vgpr132_vgpr133
	s_and_saveexec_b32 s0, s3
	s_cbranch_execz .LBB1228_166
.LBB1228_289:
	flat_load_b64 v[132:133], v[4:5] offset:1024
	s_or_b32 exec_lo, exec_lo, s0
                                        ; implicit-def: $vgpr134_vgpr135
	s_and_saveexec_b32 s0, s4
	s_cbranch_execz .LBB1228_167
.LBB1228_290:
	flat_load_b64 v[134:135], v[4:5] offset:1280
	s_or_b32 exec_lo, exec_lo, s0
                                        ; implicit-def: $vgpr18_vgpr19
	s_and_saveexec_b32 s0, s5
	s_cbranch_execz .LBB1228_168
.LBB1228_291:
	flat_load_b64 v[18:19], v[4:5] offset:1536
	s_or_b32 exec_lo, exec_lo, s0
                                        ; implicit-def: $vgpr20_vgpr21
	s_and_saveexec_b32 s0, s6
	s_cbranch_execnz .LBB1228_169
	s_branch .LBB1228_170
.LBB1228_292:
	flat_store_b64 v[2:3], v[18:19]
	s_or_b32 exec_lo, exec_lo, s7
	s_and_saveexec_b32 s7, s0
	s_cbranch_execz .LBB1228_244
.LBB1228_293:
	flat_store_b64 v[2:3], v[16:17] offset:2048
	s_or_b32 exec_lo, exec_lo, s7
	s_and_saveexec_b32 s0, s1
	s_cbranch_execz .LBB1228_245
.LBB1228_294:
	v_add_co_u32 v6, vcc_lo, 0x1000, v2
	v_add_co_ci_u32_e32 v7, vcc_lo, 0, v3, vcc_lo
	flat_store_b64 v[6:7], v[14:15]
	s_or_b32 exec_lo, exec_lo, s0
	s_and_saveexec_b32 s0, s2
	s_cbranch_execz .LBB1228_246
.LBB1228_295:
	v_add_co_u32 v6, vcc_lo, 0x1000, v2
	v_add_co_ci_u32_e32 v7, vcc_lo, 0, v3, vcc_lo
	flat_store_b64 v[6:7], v[12:13] offset:2048
	s_or_b32 exec_lo, exec_lo, s0
	s_and_saveexec_b32 s0, s3
	s_cbranch_execz .LBB1228_247
.LBB1228_296:
	v_add_co_u32 v6, vcc_lo, 0x2000, v2
	v_add_co_ci_u32_e32 v7, vcc_lo, 0, v3, vcc_lo
	flat_store_b64 v[6:7], v[10:11]
	s_or_b32 exec_lo, exec_lo, s0
	s_and_saveexec_b32 s0, s4
	s_cbranch_execz .LBB1228_248
.LBB1228_297:
	v_add_co_u32 v6, vcc_lo, 0x2000, v2
	v_add_co_ci_u32_e32 v7, vcc_lo, 0, v3, vcc_lo
	flat_store_b64 v[6:7], v[8:9] offset:2048
	s_or_b32 exec_lo, exec_lo, s0
	s_and_saveexec_b32 s0, s5
	s_cbranch_execz .LBB1228_249
.LBB1228_298:
	v_add_co_u32 v6, vcc_lo, 0x3000, v2
	v_add_co_ci_u32_e32 v7, vcc_lo, 0, v3, vcc_lo
	flat_store_b64 v[6:7], v[4:5]
	s_or_b32 exec_lo, exec_lo, s0
	s_and_saveexec_b32 s0, s6
	s_cbranch_execnz .LBB1228_250
	s_branch .LBB1228_251
.LBB1228_299:
	s_or_b32 exec_lo, exec_lo, s20
	v_lshlrev_b32_e32 v0, 3, v26
	s_barrier
	buffer_gl0_inv
	s_clause 0x3
	flat_store_b64 v[96:97], v[48:49]
	flat_store_b64 v[98:99], v[70:71]
	;; [unrolled: 1-line block ×4, first 2 shown]
	v_add_co_u32 v0, vcc_lo, v12, v0
	v_add_co_ci_u32_e32 v1, vcc_lo, 0, v13, vcc_lo
	s_waitcnt lgkmcnt(0)
	s_waitcnt_vscnt null, 0x0
	s_delay_alu instid0(VALU_DEP_2) | instskip(NEXT) | instid1(VALU_DEP_2)
	v_add_co_u32 v14, vcc_lo, 0x1000, v0
	v_add_co_ci_u32_e32 v15, vcc_lo, 0, v1, vcc_lo
	s_barrier
	buffer_gl0_inv
	s_clause 0x3
	flat_load_b64 v[20:21], v[0:1]
	flat_load_b64 v[18:19], v[0:1] offset:2048
	flat_load_b64 v[16:17], v[14:15]
	flat_load_b64 v[12:13], v[14:15] offset:2048
	s_waitcnt vmcnt(0) lgkmcnt(0)
	s_barrier
	buffer_gl0_inv
	s_clause 0x3
	flat_store_b64 v[96:97], v[54:55]
	flat_store_b64 v[98:99], v[52:53]
	;; [unrolled: 1-line block ×4, first 2 shown]
	s_waitcnt lgkmcnt(0)
	s_waitcnt_vscnt null, 0x0
	s_barrier
	buffer_gl0_inv
	s_clause 0x3
	flat_load_b64 v[10:11], v[0:1]
	flat_load_b64 v[8:9], v[0:1] offset:2048
	flat_load_b64 v[4:5], v[14:15]
	flat_load_b64 v[0:1], v[14:15] offset:2048
	v_mov_b32_e32 v28, 0
	v_add_co_u32 v2, vcc_lo, v2, v29
	v_add_co_ci_u32_e32 v3, vcc_lo, v3, v30, vcc_lo
	s_delay_alu instid0(VALU_DEP_3)
	v_lshlrev_b64 v[14:15], 3, v[27:28]
	s_waitcnt vmcnt(0) lgkmcnt(0)
	s_barrier
	buffer_gl0_inv
	v_add_co_u32 v2, vcc_lo, v2, v14
	v_add_co_ci_u32_e32 v3, vcc_lo, v3, v15, vcc_lo
	v_cmp_lt_u32_e32 vcc_lo, v27, v47
	s_and_saveexec_b32 s1, vcc_lo
	s_cbranch_execz .LBB1228_301
; %bb.300:
	v_cmp_lt_i64_e64 s0, -1, v[20:21]
	v_ashrrev_i32_e32 v22, 31, v21
	s_delay_alu instid0(VALU_DEP_1) | instskip(NEXT) | instid1(VALU_DEP_3)
	v_not_b32_e32 v22, v22
	v_cndmask_b32_e64 v23, 0x80000000, -1, s0
	s_delay_alu instid0(VALU_DEP_2) | instskip(NEXT) | instid1(VALU_DEP_2)
	v_xor_b32_e32 v20, v22, v20
	v_xor_b32_e32 v21, v23, v21
	flat_store_b64 v[2:3], v[20:21]
.LBB1228_301:
	s_or_b32 exec_lo, exec_lo, s1
	v_add_nc_u32_e32 v20, 0x100, v27
	s_delay_alu instid0(VALU_DEP_1) | instskip(NEXT) | instid1(VALU_DEP_1)
	v_cmp_lt_u32_e64 s0, v20, v47
	s_and_saveexec_b32 s2, s0
	s_cbranch_execz .LBB1228_303
; %bb.302:
	v_cmp_lt_i64_e64 s1, -1, v[18:19]
	v_ashrrev_i32_e32 v20, 31, v19
	s_delay_alu instid0(VALU_DEP_1) | instskip(NEXT) | instid1(VALU_DEP_3)
	v_not_b32_e32 v20, v20
	v_cndmask_b32_e64 v21, 0x80000000, -1, s1
	s_delay_alu instid0(VALU_DEP_2) | instskip(NEXT) | instid1(VALU_DEP_2)
	v_xor_b32_e32 v18, v20, v18
	v_xor_b32_e32 v19, v21, v19
	flat_store_b64 v[2:3], v[18:19] offset:2048
.LBB1228_303:
	s_or_b32 exec_lo, exec_lo, s2
	v_add_nc_u32_e32 v18, 0x200, v27
	s_delay_alu instid0(VALU_DEP_1) | instskip(NEXT) | instid1(VALU_DEP_1)
	v_cmp_lt_u32_e64 s1, v18, v47
	s_and_saveexec_b32 s3, s1
	s_cbranch_execz .LBB1228_305
; %bb.304:
	v_ashrrev_i32_e32 v18, 31, v17
	v_cmp_lt_i64_e64 s2, -1, v[16:17]
	s_delay_alu instid0(VALU_DEP_2) | instskip(NEXT) | instid1(VALU_DEP_2)
	v_not_b32_e32 v18, v18
	v_cndmask_b32_e64 v19, 0x80000000, -1, s2
	s_delay_alu instid0(VALU_DEP_2) | instskip(SKIP_1) | instid1(VALU_DEP_3)
	v_xor_b32_e32 v16, v18, v16
	v_add_co_u32 v18, s2, 0x1000, v2
	v_xor_b32_e32 v17, v19, v17
	v_add_co_ci_u32_e64 v19, s2, 0, v3, s2
	flat_store_b64 v[18:19], v[16:17]
.LBB1228_305:
	s_or_b32 exec_lo, exec_lo, s3
	v_add_nc_u32_e32 v16, 0x300, v27
	s_delay_alu instid0(VALU_DEP_1) | instskip(NEXT) | instid1(VALU_DEP_1)
	v_cmp_lt_u32_e64 s2, v16, v47
	s_and_saveexec_b32 s4, s2
	s_cbranch_execz .LBB1228_307
; %bb.306:
	v_cmp_lt_i64_e64 s3, -1, v[12:13]
	v_ashrrev_i32_e32 v16, 31, v13
	s_delay_alu instid0(VALU_DEP_1) | instskip(NEXT) | instid1(VALU_DEP_3)
	v_not_b32_e32 v16, v16
	v_cndmask_b32_e64 v17, 0x80000000, -1, s3
	v_add_co_u32 v2, s3, 0x1000, v2
	s_delay_alu instid0(VALU_DEP_1) | instskip(NEXT) | instid1(VALU_DEP_3)
	v_add_co_ci_u32_e64 v3, s3, 0, v3, s3
	v_xor_b32_e32 v13, v17, v13
	v_xor_b32_e32 v12, v16, v12
	flat_store_b64 v[2:3], v[12:13] offset:2048
.LBB1228_307:
	s_or_b32 exec_lo, exec_lo, s4
	v_add_co_u32 v2, s3, v6, v29
	s_delay_alu instid0(VALU_DEP_1) | instskip(NEXT) | instid1(VALU_DEP_2)
	v_add_co_ci_u32_e64 v3, s3, v7, v30, s3
	v_add_co_u32 v2, s3, v2, v14
	s_delay_alu instid0(VALU_DEP_1)
	v_add_co_ci_u32_e64 v3, s3, v3, v15, s3
	s_and_saveexec_b32 s3, vcc_lo
	s_cbranch_execnz .LBB1228_340
; %bb.308:
	s_or_b32 exec_lo, exec_lo, s3
	s_and_saveexec_b32 s3, s0
	s_cbranch_execnz .LBB1228_341
.LBB1228_309:
	s_or_b32 exec_lo, exec_lo, s3
	s_and_saveexec_b32 s0, s1
	s_cbranch_execnz .LBB1228_342
.LBB1228_310:
	s_or_b32 exec_lo, exec_lo, s0
	s_and_saveexec_b32 s0, s2
	s_cbranch_execz .LBB1228_312
.LBB1228_311:
	v_add_co_u32 v2, vcc_lo, 0x1000, v2
	v_add_co_ci_u32_e32 v3, vcc_lo, 0, v3, vcc_lo
	flat_store_b64 v[2:3], v[0:1] offset:2048
.LBB1228_312:
	s_or_b32 exec_lo, exec_lo, s0
                                        ; implicit-def: $vgpr47
                                        ; implicit-def: $vgpr0
                                        ; implicit-def: $vgpr1
                                        ; implicit-def: $vgpr2
                                        ; implicit-def: $vgpr3
                                        ; implicit-def: $vgpr4
                                        ; implicit-def: $vgpr5
                                        ; implicit-def: $vgpr6
                                        ; implicit-def: $vgpr7
                                        ; implicit-def: $vgpr8
                                        ; implicit-def: $vgpr10
                                        ; implicit-def: $vgpr11
                                        ; implicit-def: $vgpr12
                                        ; implicit-def: $vgpr13
                                        ; implicit-def: $vgpr14
                                        ; implicit-def: $vgpr15
                                        ; implicit-def: $vgpr26
                                        ; implicit-def: $vgpr96
.LBB1228_313:
	s_and_not1_saveexec_b32 s0, s19
	s_cbranch_execz .LBB1228_372
; %bb.314:
	s_load_b64 s[0:1], s[8:9], 0x0
	v_mov_b32_e32 v9, 0
	s_waitcnt lgkmcnt(0)
	s_cmp_lt_u32 s13, s1
	s_cselect_b32 s1, 14, 20
	s_delay_alu instid0(SALU_CYCLE_1) | instskip(SKIP_4) | instid1(SALU_CYCLE_1)
	s_add_u32 s2, s8, s1
	s_addc_u32 s3, s9, 0
	s_cmp_lt_u32 s12, s0
	global_load_u16 v16, v9, s[2:3]
	s_cselect_b32 s0, 12, 18
	s_add_u32 s0, s8, s0
	s_addc_u32 s1, s9, 0
	global_load_u16 v17, v9, s[0:1]
	s_mov_b32 s0, exec_lo
	s_waitcnt vmcnt(1)
	v_mad_u32_u24 v14, v15, v16, v14
	s_waitcnt vmcnt(0)
	s_delay_alu instid0(VALU_DEP_1)
	v_mad_u64_u32 v[29:30], null, v14, v17, v[26:27]
	v_lshlrev_b64 v[27:28], 3, v[8:9]
	v_cmpx_lt_u32_e32 0x100, v47
	s_xor_b32 s15, exec_lo, s0
	s_cbranch_execz .LBB1228_352
; %bb.315:
	s_mov_b32 s0, -1
	s_brev_b32 s1, -2
	s_mov_b32 s2, s0
	s_mov_b32 s3, s1
	v_lshlrev_b32_e32 v8, 1, v29
	v_lshlrev_b32_e32 v18, 3, v96
	v_add_co_u32 v14, vcc_lo, v0, v27
	v_add_co_ci_u32_e32 v15, vcc_lo, v1, v28, vcc_lo
	s_delay_alu instid0(VALU_DEP_4) | instskip(NEXT) | instid1(VALU_DEP_1)
	v_and_b32_e32 v8, 0xffffffc0, v8
	v_lshlrev_b64 v[0:1], 3, v[8:9]
	s_delay_alu instid0(VALU_DEP_4) | instskip(NEXT) | instid1(VALU_DEP_4)
	v_add_co_u32 v9, vcc_lo, v14, v18
	v_add_co_ci_u32_e32 v14, vcc_lo, 0, v15, vcc_lo
	v_or_b32_e32 v19, v96, v8
	s_delay_alu instid0(VALU_DEP_3) | instskip(NEXT) | instid1(VALU_DEP_3)
	v_add_co_u32 v8, vcc_lo, v9, v0
	v_add_co_ci_u32_e32 v9, vcc_lo, v14, v1, vcc_lo
	v_mov_b32_e32 v17, s3
	v_mov_b32_e32 v15, s1
	v_cmp_lt_u32_e32 vcc_lo, v19, v47
	v_mov_b32_e32 v16, s2
	v_mov_b32_e32 v14, s0
	s_and_saveexec_b32 s0, vcc_lo
	s_cbranch_execz .LBB1228_317
; %bb.316:
	flat_load_b64 v[14:15], v[8:9]
	v_mov_b32_e32 v16, -1
	v_bfrev_b32_e32 v17, -2
.LBB1228_317:
	s_or_b32 exec_lo, exec_lo, s0
	v_or_b32_e32 v19, 32, v19
	s_delay_alu instid0(VALU_DEP_1) | instskip(NEXT) | instid1(VALU_DEP_1)
	v_cmp_lt_u32_e64 s0, v19, v47
	s_and_saveexec_b32 s1, s0
	s_cbranch_execz .LBB1228_319
; %bb.318:
	flat_load_b64 v[16:17], v[8:9] offset:256
.LBB1228_319:
	s_or_b32 exec_lo, exec_lo, s1
	v_add_co_u32 v4, s1, v4, v27
	s_delay_alu instid0(VALU_DEP_1) | instskip(NEXT) | instid1(VALU_DEP_2)
	v_add_co_ci_u32_e64 v5, s1, v5, v28, s1
	v_add_co_u32 v4, s1, v4, v18
	s_delay_alu instid0(VALU_DEP_1) | instskip(NEXT) | instid1(VALU_DEP_2)
	v_add_co_ci_u32_e64 v5, s1, 0, v5, s1
                                        ; implicit-def: $vgpr18_vgpr19
	v_add_co_u32 v0, s1, v4, v0
	s_delay_alu instid0(VALU_DEP_1)
	v_add_co_ci_u32_e64 v1, s1, v5, v1, s1
	s_and_saveexec_b32 s1, vcc_lo
	s_cbranch_execz .LBB1228_321
; %bb.320:
	flat_load_b64 v[18:19], v[0:1]
.LBB1228_321:
	s_or_b32 exec_lo, exec_lo, s1
                                        ; implicit-def: $vgpr20_vgpr21
	s_and_saveexec_b32 s1, s0
	s_cbranch_execz .LBB1228_323
; %bb.322:
	flat_load_b64 v[20:21], v[0:1] offset:256
.LBB1228_323:
	s_or_b32 exec_lo, exec_lo, s1
	s_waitcnt vmcnt(0) lgkmcnt(0)
	v_cmp_lt_i64_e32 vcc_lo, -1, v[14:15]
	v_ashrrev_i32_e32 v1, 31, v15
	s_mov_b32 s16, 0
	v_ashrrev_i32_e32 v5, 31, v17
	s_mov_b32 s17, s16
	s_mov_b32 s18, s16
	v_cndmask_b32_e64 v0, -1, 0x80000000, vcc_lo
	v_cmp_lt_i64_e32 vcc_lo, -1, v[16:17]
	s_mov_b32 s19, s16
	v_xor_b32_e32 v24, v1, v14
	v_xor_b32_e32 v22, v5, v16
	;; [unrolled: 1-line block ×3, first 2 shown]
	v_dual_mov_b32 v1, 0 :: v_dual_lshlrev_b32 v0, 5, v26
	v_cndmask_b32_e64 v4, -1, 0x80000000, vcc_lo
	v_add_co_u32 v66, vcc_lo, v12, 32
	v_and_b32_e32 v15, 0x3e0, v26
	v_add_co_ci_u32_e32 v67, vcc_lo, 0, v13, vcc_lo
	s_delay_alu instid0(VALU_DEP_4)
	v_xor_b32_e32 v23, v4, v17
	v_add_co_u32 v4, vcc_lo, v12, v0
	v_add_co_ci_u32_e32 v5, vcc_lo, 0, v13, vcc_lo
	v_and_b32_e32 v14, 15, v96
	v_add_co_u32 v8, vcc_lo, v66, v0
	v_min_u32_e32 v0, 0xe0, v15
	v_add_nc_u32_e32 v16, -1, v96
	s_getpc_b64 s[0:1]
	s_add_u32 s0, s0, _ZN7rocprim17ROCPRIM_400000_NS16block_radix_sortIdLj256ELj2ElLj1ELj1ELj8ELNS0_26block_radix_rank_algorithmE2ELNS0_18block_padding_hintE2ELNS0_4arch9wavefront6targetE0EE19radix_bits_per_passE@rel32@lo+4
	s_addc_u32 s1, s1, _ZN7rocprim17ROCPRIM_400000_NS16block_radix_sortIdLj256ELj2ElLj1ELj1ELj8ELNS0_26block_radix_rank_algorithmE2ELNS0_18block_padding_hintE2ELNS0_4arch9wavefront6targetE0EE19radix_bits_per_passE@rel32@hi+12
	v_add_co_ci_u32_e32 v9, vcc_lo, 0, v67, vcc_lo
	s_load_b32 s22, s[0:1], 0x0
	v_cmp_eq_u32_e32 vcc_lo, 0, v14
	v_cmp_lt_u32_e64 s0, 1, v14
	v_and_b32_e32 v15, 16, v96
	v_cmp_lt_u32_e64 s1, 3, v14
	v_cmp_lt_u32_e64 s2, 7, v14
	v_or_b32_e32 v0, 31, v0
	v_lshrrev_b32_e32 v14, 5, v26
	v_cmp_gt_i32_e64 s4, 0, v16
	v_cmp_eq_u32_e64 s3, 0, v15
	v_lshrrev_b32_e32 v68, 5, v29
	v_cmp_gt_u32_e64 s5, 8, v26
	v_cmp_lt_u32_e64 s6, 31, v26
	v_cndmask_b32_e64 v15, v16, v96, s4
	v_cmp_eq_u32_e64 s4, v0, v26
	v_lshlrev_b32_e32 v0, 2, v14
	v_and_b32_e32 v16, 7, v96
	v_cmp_eq_u32_e64 s7, 0, v96
	v_lshlrev_b32_e32 v69, 2, v15
	v_lshlrev_b32_e32 v15, 2, v26
	v_add_co_u32 v30, s9, v12, v0
	v_add_nc_u32_e32 v0, -1, v14
	v_lshlrev_b32_e32 v14, 1, v26
	v_add_co_ci_u32_e64 v31, s9, 0, v13, s9
	v_add_co_u32 v32, s9, v12, v15
	s_delay_alu instid0(VALU_DEP_3) | instskip(SKIP_3) | instid1(VALU_DEP_4)
	v_and_or_b32 v17, 0x7c0, v14, v96
	v_lshlrev_b64 v[14:15], 2, v[0:1]
	v_add_co_ci_u32_e64 v33, s9, 0, v13, s9
	v_cmp_eq_u32_e64 s9, 0, v16
	v_lshlrev_b32_e32 v0, 3, v17
	v_cmp_lt_u32_e64 s10, 1, v16
	v_add_co_u32 v34, s12, v12, v14
	s_delay_alu instid0(VALU_DEP_1) | instskip(NEXT) | instid1(VALU_DEP_4)
	v_add_co_ci_u32_e64 v35, s12, v13, v15, s12
	v_add_co_u32 v36, s12, v12, v0
	v_cmp_lt_u32_e64 s11, 3, v16
	v_mov_b32_e32 v14, s16
	v_cmp_eq_u32_e64 s8, 0, v26
	v_add_co_ci_u32_e64 v37, s12, 0, v13, s12
	v_sub_nc_u32_e32 v70, v11, v10
	v_dual_mov_b32 v15, s17 :: v_dual_mov_b32 v16, s18
	v_mov_b32_e32 v17, s19
	s_mov_b32 s20, -1
	s_brev_b32 s21, -2
	s_waitcnt lgkmcnt(0)
	s_waitcnt_vscnt null, 0x0
	s_barrier
	buffer_gl0_inv
	s_branch .LBB1228_325
.LBB1228_324:                           ;   in Loop: Header=BB1228_325 Depth=1
	s_or_b32 exec_lo, exec_lo, s13
	s_delay_alu instid0(SALU_CYCLE_1) | instskip(NEXT) | instid1(SALU_CYCLE_1)
	s_and_b32 s12, exec_lo, s14
	s_or_b32 s16, s12, s16
	s_delay_alu instid0(SALU_CYCLE_1)
	s_and_not1_b32 exec_lo, exec_lo, s16
	s_cbranch_execz .LBB1228_343
.LBB1228_325:                           ; =>This Inner Loop Header: Depth=1
	v_dual_mov_b32 v39, v25 :: v_dual_mov_b32 v38, v24
	v_min_u32_e32 v0, s22, v70
	s_clause 0x1
	flat_store_b128 v[4:5], v[14:17] offset:32
	flat_store_b128 v[8:9], v[14:17] offset:16
	s_waitcnt lgkmcnt(0)
	s_waitcnt_vscnt null, 0x0
	s_barrier
	v_cmp_ne_u64_e64 s12, s[20:21], v[38:39]
	v_lshlrev_b32_e64 v0, v0, -1
	buffer_gl0_inv
	; wave barrier
	v_cndmask_b32_e64 v25, 0x80000000, v39, s12
	v_cndmask_b32_e64 v24, 0, v38, s12
	s_delay_alu instid0(VALU_DEP_1) | instskip(SKIP_1) | instid1(VALU_DEP_1)
	v_lshrrev_b64 v[48:49], v10, v[24:25]
	v_not_b32_e32 v24, v0
	v_and_b32_e32 v0, v48, v24
	s_delay_alu instid0(VALU_DEP_1)
	v_and_b32_e32 v25, 1, v0
	v_lshlrev_b32_e32 v48, 30, v0
	v_lshlrev_b32_e32 v49, 29, v0
	;; [unrolled: 1-line block ×4, first 2 shown]
	v_add_co_u32 v25, s12, v25, -1
	s_delay_alu instid0(VALU_DEP_1)
	v_cndmask_b32_e64 v51, 0, 1, s12
	v_not_b32_e32 v55, v48
	v_cmp_gt_i32_e64 s13, 0, v48
	v_not_b32_e32 v48, v49
	v_lshlrev_b32_e32 v53, 26, v0
	v_cmp_ne_u32_e64 s12, 0, v51
	v_ashrrev_i32_e32 v55, 31, v55
	s_delay_alu instid0(VALU_DEP_4) | instskip(NEXT) | instid1(VALU_DEP_3)
	v_ashrrev_i32_e32 v48, 31, v48
	v_xor_b32_e32 v25, s12, v25
	v_cmp_gt_i32_e64 s12, 0, v49
	v_not_b32_e32 v49, v50
	v_xor_b32_e32 v55, s13, v55
	v_cmp_gt_i32_e64 s13, 0, v50
	v_and_b32_e32 v25, exec_lo, v25
	v_not_b32_e32 v50, v52
	v_ashrrev_i32_e32 v49, 31, v49
	v_xor_b32_e32 v48, s12, v48
	v_cmp_gt_i32_e64 s12, 0, v52
	v_and_b32_e32 v25, v25, v55
	v_not_b32_e32 v52, v53
	v_ashrrev_i32_e32 v50, 31, v50
	v_xor_b32_e32 v49, s13, v49
	v_cmp_gt_i32_e64 s13, 0, v53
	v_and_b32_e32 v25, v25, v48
	v_ashrrev_i32_e32 v52, 31, v52
	v_xor_b32_e32 v50, s12, v50
	s_delay_alu instid0(VALU_DEP_3) | instskip(NEXT) | instid1(VALU_DEP_3)
	v_and_b32_e32 v25, v25, v49
	v_xor_b32_e32 v52, s13, v52
	s_delay_alu instid0(VALU_DEP_2) | instskip(NEXT) | instid1(VALU_DEP_1)
	v_and_b32_e32 v25, v25, v50
	v_and_b32_e32 v25, v25, v52
	v_dual_mov_b32 v53, v23 :: v_dual_lshlrev_b32 v54, 25, v0
	v_lshlrev_b32_e32 v51, 24, v0
	v_lshl_add_u32 v0, v0, 3, v68
	v_mov_b32_e32 v52, v22
	s_delay_alu instid0(VALU_DEP_4) | instskip(SKIP_3) | instid1(VALU_DEP_4)
	v_not_b32_e32 v48, v54
	v_cmp_gt_i32_e64 s12, 0, v54
	v_not_b32_e32 v49, v51
	v_cmp_gt_i32_e64 s13, 0, v51
	v_ashrrev_i32_e32 v48, 31, v48
	s_delay_alu instid0(VALU_DEP_3) | instskip(NEXT) | instid1(VALU_DEP_2)
	v_ashrrev_i32_e32 v49, 31, v49
	v_xor_b32_e32 v48, s12, v48
	s_delay_alu instid0(VALU_DEP_2) | instskip(NEXT) | instid1(VALU_DEP_2)
	v_xor_b32_e32 v50, s13, v49
	v_and_b32_e32 v25, v25, v48
	v_dual_mov_b32 v49, v21 :: v_dual_mov_b32 v48, v20
	s_delay_alu instid0(VALU_DEP_2) | instskip(SKIP_2) | instid1(VALU_DEP_3)
	v_dual_mov_b32 v51, v19 :: v_dual_and_b32 v20, v25, v50
	v_mov_b32_e32 v50, v18
	v_lshlrev_b64 v[18:19], 2, v[0:1]
	v_mbcnt_lo_u32_b32 v71, v20, 0
	v_cmp_ne_u32_e64 s12, 0, v20
	s_delay_alu instid0(VALU_DEP_3) | instskip(NEXT) | instid1(VALU_DEP_3)
	v_add_co_u32 v54, s14, v66, v18
	v_cmp_eq_u32_e64 s13, 0, v71
	v_add_co_ci_u32_e64 v55, s14, v67, v19, s14
	s_delay_alu instid0(VALU_DEP_2) | instskip(NEXT) | instid1(SALU_CYCLE_1)
	s_and_b32 s13, s12, s13
	s_and_saveexec_b32 s12, s13
	s_cbranch_execz .LBB1228_327
; %bb.326:                              ;   in Loop: Header=BB1228_325 Depth=1
	v_bcnt_u32_b32 v0, v20, 0
	flat_store_b32 v[54:55], v0
.LBB1228_327:                           ;   in Loop: Header=BB1228_325 Depth=1
	s_or_b32 exec_lo, exec_lo, s12
	v_cmp_ne_u64_e64 s12, s[20:21], v[52:53]
	; wave barrier
	s_delay_alu instid0(VALU_DEP_1) | instskip(SKIP_1) | instid1(VALU_DEP_1)
	v_cndmask_b32_e64 v19, 0x80000000, v53, s12
	v_cndmask_b32_e64 v18, 0, v52, s12
	v_lshrrev_b64 v[18:19], v10, v[18:19]
	s_delay_alu instid0(VALU_DEP_1) | instskip(NEXT) | instid1(VALU_DEP_1)
	v_and_b32_e32 v20, v18, v24
	v_lshl_add_u32 v0, v20, 3, v68
	v_lshlrev_b32_e32 v21, 29, v20
	v_lshlrev_b32_e32 v22, 28, v20
	s_delay_alu instid0(VALU_DEP_3) | instskip(SKIP_1) | instid1(VALU_DEP_2)
	v_lshlrev_b64 v[18:19], 2, v[0:1]
	v_and_b32_e32 v0, 1, v20
	v_add_co_u32 v64, s12, v66, v18
	s_delay_alu instid0(VALU_DEP_1) | instskip(NEXT) | instid1(VALU_DEP_3)
	v_add_co_ci_u32_e64 v65, s12, v67, v19, s12
	v_add_co_u32 v0, s12, v0, -1
	s_delay_alu instid0(VALU_DEP_1) | instskip(SKIP_3) | instid1(VALU_DEP_2)
	v_cndmask_b32_e64 v18, 0, 1, s12
	flat_load_b32 v80, v[64:65]
	v_lshlrev_b32_e32 v19, 30, v20
	; wave barrier
	v_cmp_ne_u32_e64 s12, 0, v18
	v_not_b32_e32 v18, v19
	s_delay_alu instid0(VALU_DEP_2) | instskip(SKIP_1) | instid1(VALU_DEP_3)
	v_xor_b32_e32 v0, s12, v0
	v_cmp_gt_i32_e64 s12, 0, v19
	v_ashrrev_i32_e32 v18, 31, v18
	v_not_b32_e32 v19, v21
	s_delay_alu instid0(VALU_DEP_4) | instskip(NEXT) | instid1(VALU_DEP_3)
	v_and_b32_e32 v0, exec_lo, v0
	v_xor_b32_e32 v18, s12, v18
	v_cmp_gt_i32_e64 s12, 0, v21
	s_delay_alu instid0(VALU_DEP_4) | instskip(SKIP_1) | instid1(VALU_DEP_4)
	v_ashrrev_i32_e32 v19, 31, v19
	v_not_b32_e32 v21, v22
	v_and_b32_e32 v0, v0, v18
	v_lshlrev_b32_e32 v18, 27, v20
	s_delay_alu instid0(VALU_DEP_4) | instskip(SKIP_2) | instid1(VALU_DEP_4)
	v_xor_b32_e32 v19, s12, v19
	v_cmp_gt_i32_e64 s12, 0, v22
	v_ashrrev_i32_e32 v21, 31, v21
	v_not_b32_e32 v22, v18
	s_delay_alu instid0(VALU_DEP_4) | instskip(SKIP_1) | instid1(VALU_DEP_4)
	v_and_b32_e32 v0, v0, v19
	v_lshlrev_b32_e32 v19, 26, v20
	v_xor_b32_e32 v21, s12, v21
	v_cmp_gt_i32_e64 s12, 0, v18
	v_ashrrev_i32_e32 v18, 31, v22
	s_delay_alu instid0(VALU_DEP_4) | instskip(NEXT) | instid1(VALU_DEP_4)
	v_not_b32_e32 v22, v19
	v_and_b32_e32 v0, v0, v21
	v_lshlrev_b32_e32 v21, 25, v20
	s_delay_alu instid0(VALU_DEP_4) | instskip(SKIP_2) | instid1(VALU_DEP_4)
	v_xor_b32_e32 v18, s12, v18
	v_cmp_gt_i32_e64 s12, 0, v19
	v_ashrrev_i32_e32 v19, 31, v22
	v_not_b32_e32 v22, v21
	s_delay_alu instid0(VALU_DEP_4) | instskip(SKIP_1) | instid1(VALU_DEP_4)
	v_and_b32_e32 v0, v0, v18
	v_lshlrev_b32_e32 v18, 24, v20
	v_xor_b32_e32 v19, s12, v19
	v_cmp_gt_i32_e64 s12, 0, v21
	v_ashrrev_i32_e32 v20, 31, v22
	s_delay_alu instid0(VALU_DEP_4) | instskip(NEXT) | instid1(VALU_DEP_4)
	v_not_b32_e32 v21, v18
	v_and_b32_e32 v0, v0, v19
	s_delay_alu instid0(VALU_DEP_3) | instskip(SKIP_1) | instid1(VALU_DEP_4)
	v_xor_b32_e32 v19, s12, v20
	v_cmp_gt_i32_e64 s12, 0, v18
	v_ashrrev_i32_e32 v18, 31, v21
	s_delay_alu instid0(VALU_DEP_3) | instskip(NEXT) | instid1(VALU_DEP_2)
	v_and_b32_e32 v0, v0, v19
	v_xor_b32_e32 v18, s12, v18
	s_delay_alu instid0(VALU_DEP_1) | instskip(NEXT) | instid1(VALU_DEP_1)
	v_and_b32_e32 v0, v0, v18
	v_mbcnt_lo_u32_b32 v81, v0, 0
	v_cmp_ne_u32_e64 s13, 0, v0
	s_delay_alu instid0(VALU_DEP_2) | instskip(NEXT) | instid1(VALU_DEP_1)
	v_cmp_eq_u32_e64 s12, 0, v81
	s_and_b32 s13, s13, s12
	s_delay_alu instid0(SALU_CYCLE_1)
	s_and_saveexec_b32 s12, s13
	s_cbranch_execz .LBB1228_329
; %bb.328:                              ;   in Loop: Header=BB1228_325 Depth=1
	s_waitcnt vmcnt(0) lgkmcnt(0)
	v_bcnt_u32_b32 v0, v0, v80
	flat_store_b32 v[64:65], v0
.LBB1228_329:                           ;   in Loop: Header=BB1228_325 Depth=1
	s_or_b32 exec_lo, exec_lo, s12
	; wave barrier
	s_waitcnt vmcnt(0) lgkmcnt(0)
	s_waitcnt_vscnt null, 0x0
	s_barrier
	buffer_gl0_inv
	s_clause 0x1
	flat_load_b128 v[22:25], v[4:5] offset:32
	flat_load_b128 v[18:21], v[8:9] offset:16
	s_waitcnt vmcnt(1) lgkmcnt(1)
	v_add_nc_u32_e32 v0, v23, v22
	s_delay_alu instid0(VALU_DEP_1) | instskip(SKIP_1) | instid1(VALU_DEP_1)
	v_add3_u32 v0, v0, v24, v25
	s_waitcnt vmcnt(0) lgkmcnt(0)
	v_add3_u32 v0, v0, v18, v19
	s_delay_alu instid0(VALU_DEP_1) | instskip(NEXT) | instid1(VALU_DEP_1)
	v_add3_u32 v0, v0, v20, v21
	v_mov_b32_dpp v21, v0 row_shr:1 row_mask:0xf bank_mask:0xf
	s_delay_alu instid0(VALU_DEP_1) | instskip(NEXT) | instid1(VALU_DEP_1)
	v_cndmask_b32_e64 v21, v21, 0, vcc_lo
	v_add_nc_u32_e32 v0, v21, v0
	s_delay_alu instid0(VALU_DEP_1) | instskip(NEXT) | instid1(VALU_DEP_1)
	v_mov_b32_dpp v21, v0 row_shr:2 row_mask:0xf bank_mask:0xf
	v_cndmask_b32_e64 v21, 0, v21, s0
	s_delay_alu instid0(VALU_DEP_1) | instskip(NEXT) | instid1(VALU_DEP_1)
	v_add_nc_u32_e32 v0, v0, v21
	v_mov_b32_dpp v21, v0 row_shr:4 row_mask:0xf bank_mask:0xf
	s_delay_alu instid0(VALU_DEP_1) | instskip(NEXT) | instid1(VALU_DEP_1)
	v_cndmask_b32_e64 v21, 0, v21, s1
	v_add_nc_u32_e32 v0, v0, v21
	s_delay_alu instid0(VALU_DEP_1) | instskip(NEXT) | instid1(VALU_DEP_1)
	v_mov_b32_dpp v21, v0 row_shr:8 row_mask:0xf bank_mask:0xf
	v_cndmask_b32_e64 v21, 0, v21, s2
	s_delay_alu instid0(VALU_DEP_1) | instskip(SKIP_3) | instid1(VALU_DEP_1)
	v_add_nc_u32_e32 v0, v0, v21
	ds_swizzle_b32 v21, v0 offset:swizzle(BROADCAST,32,15)
	s_waitcnt lgkmcnt(0)
	v_cndmask_b32_e64 v21, v21, 0, s3
	v_add_nc_u32_e32 v0, v0, v21
	s_and_saveexec_b32 s12, s4
	s_cbranch_execz .LBB1228_331
; %bb.330:                              ;   in Loop: Header=BB1228_325 Depth=1
	flat_store_b32 v[30:31], v0
.LBB1228_331:                           ;   in Loop: Header=BB1228_325 Depth=1
	s_or_b32 exec_lo, exec_lo, s12
	s_waitcnt lgkmcnt(0)
	s_waitcnt_vscnt null, 0x0
	s_barrier
	buffer_gl0_inv
	s_and_saveexec_b32 s12, s5
	s_cbranch_execz .LBB1228_333
; %bb.332:                              ;   in Loop: Header=BB1228_325 Depth=1
	flat_load_b32 v21, v[32:33]
	s_waitcnt vmcnt(0) lgkmcnt(0)
	v_mov_b32_dpp v82, v21 row_shr:1 row_mask:0xf bank_mask:0xf
	s_delay_alu instid0(VALU_DEP_1) | instskip(NEXT) | instid1(VALU_DEP_1)
	v_cndmask_b32_e64 v82, v82, 0, s9
	v_add_nc_u32_e32 v21, v82, v21
	s_delay_alu instid0(VALU_DEP_1) | instskip(NEXT) | instid1(VALU_DEP_1)
	v_mov_b32_dpp v82, v21 row_shr:2 row_mask:0xf bank_mask:0xf
	v_cndmask_b32_e64 v82, 0, v82, s10
	s_delay_alu instid0(VALU_DEP_1) | instskip(NEXT) | instid1(VALU_DEP_1)
	v_add_nc_u32_e32 v21, v21, v82
	v_mov_b32_dpp v82, v21 row_shr:4 row_mask:0xf bank_mask:0xf
	s_delay_alu instid0(VALU_DEP_1) | instskip(NEXT) | instid1(VALU_DEP_1)
	v_cndmask_b32_e64 v82, 0, v82, s11
	v_add_nc_u32_e32 v21, v21, v82
	flat_store_b32 v[32:33], v21
.LBB1228_333:                           ;   in Loop: Header=BB1228_325 Depth=1
	s_or_b32 exec_lo, exec_lo, s12
	v_mov_b32_e32 v21, 0
	s_waitcnt lgkmcnt(0)
	s_waitcnt_vscnt null, 0x0
	s_barrier
	buffer_gl0_inv
	s_and_saveexec_b32 s12, s6
	s_cbranch_execz .LBB1228_335
; %bb.334:                              ;   in Loop: Header=BB1228_325 Depth=1
	flat_load_b32 v21, v[34:35]
.LBB1228_335:                           ;   in Loop: Header=BB1228_325 Depth=1
	s_or_b32 exec_lo, exec_lo, s12
	s_waitcnt vmcnt(0) lgkmcnt(0)
	v_add_nc_u32_e32 v0, v21, v0
	v_add_nc_u32_e32 v10, 8, v10
	s_mov_b32 s14, -1
	ds_bpermute_b32 v0, v69, v0
	s_waitcnt lgkmcnt(0)
	v_cndmask_b32_e64 v0, v0, v21, s7
	s_delay_alu instid0(VALU_DEP_1) | instskip(NEXT) | instid1(VALU_DEP_1)
	v_cndmask_b32_e64 v21, v0, 0, s8
	v_add_nc_u32_e32 v22, v21, v22
	s_delay_alu instid0(VALU_DEP_1) | instskip(NEXT) | instid1(VALU_DEP_1)
	v_add_nc_u32_e32 v23, v22, v23
	v_add_nc_u32_e32 v24, v23, v24
	s_delay_alu instid0(VALU_DEP_1) | instskip(NEXT) | instid1(VALU_DEP_1)
	v_add_nc_u32_e32 v82, v24, v25
	v_add_nc_u32_e32 v83, v82, v18
	s_delay_alu instid0(VALU_DEP_1) | instskip(NEXT) | instid1(VALU_DEP_1)
	v_dual_mov_b32 v19, v1 :: v_dual_add_nc_u32 v84, v83, v19
	v_add_nc_u32_e32 v85, v84, v20
	s_clause 0x1
	flat_store_b128 v[4:5], v[21:24] offset:32
	flat_store_b128 v[8:9], v[82:85] offset:16
	s_waitcnt lgkmcnt(0)
	s_waitcnt_vscnt null, 0x0
	s_barrier
	buffer_gl0_inv
	s_clause 0x1
	flat_load_b32 v0, v[54:55]
	flat_load_b32 v18, v[64:65]
	s_waitcnt vmcnt(0) lgkmcnt(0)
	s_waitcnt_vscnt null, 0x0
                                        ; implicit-def: $vgpr22_vgpr23
                                        ; implicit-def: $vgpr24_vgpr25
	s_waitcnt vmcnt(1) lgkmcnt(1)
	v_add_nc_u32_e32 v0, v0, v71
	s_waitcnt vmcnt(0) lgkmcnt(0)
	v_add3_u32 v18, v81, v80, v18
	s_delay_alu instid0(VALU_DEP_2) | instskip(NEXT) | instid1(VALU_DEP_2)
	v_lshlrev_b64 v[20:21], 3, v[0:1]
	v_lshlrev_b64 v[18:19], 3, v[18:19]
	s_delay_alu instid0(VALU_DEP_2) | instskip(NEXT) | instid1(VALU_DEP_1)
	v_add_co_u32 v54, s13, v12, v20
	v_add_co_ci_u32_e64 v55, s13, v13, v21, s13
	s_delay_alu instid0(VALU_DEP_3) | instskip(NEXT) | instid1(VALU_DEP_1)
	v_add_co_u32 v64, s13, v12, v18
	v_add_co_ci_u32_e64 v65, s13, v13, v19, s13
	s_mov_b32 s13, exec_lo
                                        ; implicit-def: $vgpr20_vgpr21
                                        ; implicit-def: $vgpr18_vgpr19
	v_cmpx_lt_u32_e64 v10, v11
	s_cbranch_execz .LBB1228_324
; %bb.336:                              ;   in Loop: Header=BB1228_325 Depth=1
	s_barrier
	buffer_gl0_inv
	s_clause 0x1
	flat_store_b64 v[54:55], v[38:39]
	flat_store_b64 v[64:65], v[52:53]
	s_waitcnt lgkmcnt(0)
	s_waitcnt_vscnt null, 0x0
	s_barrier
	buffer_gl0_inv
	s_clause 0x1
	flat_load_b64 v[24:25], v[36:37]
	flat_load_b64 v[22:23], v[36:37] offset:256
	s_waitcnt vmcnt(0) lgkmcnt(0)
	s_barrier
	buffer_gl0_inv
	s_clause 0x1
	flat_store_b64 v[54:55], v[50:51]
	flat_store_b64 v[64:65], v[48:49]
	s_waitcnt lgkmcnt(0)
	s_waitcnt_vscnt null, 0x0
	s_barrier
	buffer_gl0_inv
	s_clause 0x1
	flat_load_b64 v[18:19], v[36:37]
	flat_load_b64 v[20:21], v[36:37] offset:256
	v_add_nc_u32_e32 v70, -8, v70
	s_xor_b32 s14, exec_lo, -1
	s_waitcnt vmcnt(0) lgkmcnt(0)
	s_barrier
	buffer_gl0_inv
	s_branch .LBB1228_324
.LBB1228_337:
	flat_load_b64 v[22:23], v[0:1]
	s_or_b32 exec_lo, exec_lo, s3
                                        ; implicit-def: $vgpr24_vgpr25
	s_and_saveexec_b32 s3, s0
	s_cbranch_execz .LBB1228_264
.LBB1228_338:
	flat_load_b64 v[24:25], v[0:1] offset:256
	s_or_b32 exec_lo, exec_lo, s3
                                        ; implicit-def: $vgpr80_vgpr81
	s_and_saveexec_b32 s0, s1
	s_cbranch_execz .LBB1228_265
.LBB1228_339:
	flat_load_b64 v[80:81], v[0:1] offset:512
	s_or_b32 exec_lo, exec_lo, s0
                                        ; implicit-def: $vgpr82_vgpr83
	s_and_saveexec_b32 s0, s2
	s_cbranch_execnz .LBB1228_266
	s_branch .LBB1228_267
.LBB1228_340:
	flat_store_b64 v[2:3], v[10:11]
	s_or_b32 exec_lo, exec_lo, s3
	s_and_saveexec_b32 s3, s0
	s_cbranch_execz .LBB1228_309
.LBB1228_341:
	flat_store_b64 v[2:3], v[8:9] offset:2048
	s_or_b32 exec_lo, exec_lo, s3
	s_and_saveexec_b32 s0, s1
	s_cbranch_execz .LBB1228_310
.LBB1228_342:
	v_add_co_u32 v6, vcc_lo, 0x1000, v2
	v_add_co_ci_u32_e32 v7, vcc_lo, 0, v3, vcc_lo
	flat_store_b64 v[6:7], v[4:5]
	s_or_b32 exec_lo, exec_lo, s0
	s_and_saveexec_b32 s0, s2
	s_cbranch_execnz .LBB1228_311
	s_branch .LBB1228_312
.LBB1228_343:
	s_or_b32 exec_lo, exec_lo, s16
	v_lshlrev_b32_e32 v0, 3, v26
	s_barrier
	buffer_gl0_inv
	s_clause 0x1
	flat_store_b64 v[54:55], v[38:39]
	flat_store_b64 v[64:65], v[52:53]
	v_add_co_u32 v0, vcc_lo, v12, v0
	v_add_co_ci_u32_e32 v1, vcc_lo, 0, v13, vcc_lo
	s_waitcnt lgkmcnt(0)
	s_waitcnt_vscnt null, 0x0
	s_barrier
	buffer_gl0_inv
	s_clause 0x1
	flat_load_b64 v[12:13], v[0:1]
	flat_load_b64 v[8:9], v[0:1] offset:2048
	s_waitcnt vmcnt(0) lgkmcnt(0)
	s_barrier
	buffer_gl0_inv
	s_clause 0x1
	flat_store_b64 v[54:55], v[50:51]
	flat_store_b64 v[64:65], v[48:49]
	s_waitcnt lgkmcnt(0)
	s_waitcnt_vscnt null, 0x0
	s_barrier
	buffer_gl0_inv
	s_clause 0x1
	flat_load_b64 v[4:5], v[0:1]
	flat_load_b64 v[0:1], v[0:1] offset:2048
	v_mov_b32_e32 v30, 0
	v_add_co_u32 v2, vcc_lo, v2, v27
	v_add_co_ci_u32_e32 v3, vcc_lo, v3, v28, vcc_lo
	s_delay_alu instid0(VALU_DEP_3)
	v_lshlrev_b64 v[10:11], 3, v[29:30]
	s_waitcnt vmcnt(0) lgkmcnt(0)
	s_barrier
	buffer_gl0_inv
	v_add_co_u32 v2, vcc_lo, v2, v10
	v_add_co_ci_u32_e32 v3, vcc_lo, v3, v11, vcc_lo
	v_cmp_lt_u32_e32 vcc_lo, v29, v47
	s_and_saveexec_b32 s1, vcc_lo
	s_cbranch_execz .LBB1228_345
; %bb.344:
	v_cmp_lt_i64_e64 s0, -1, v[12:13]
	v_ashrrev_i32_e32 v14, 31, v13
	s_delay_alu instid0(VALU_DEP_1) | instskip(NEXT) | instid1(VALU_DEP_3)
	v_not_b32_e32 v14, v14
	v_cndmask_b32_e64 v15, 0x80000000, -1, s0
	s_delay_alu instid0(VALU_DEP_2) | instskip(NEXT) | instid1(VALU_DEP_2)
	v_xor_b32_e32 v12, v14, v12
	v_xor_b32_e32 v13, v15, v13
	flat_store_b64 v[2:3], v[12:13]
.LBB1228_345:
	s_or_b32 exec_lo, exec_lo, s1
	v_add_nc_u32_e32 v12, 0x100, v29
	s_delay_alu instid0(VALU_DEP_1) | instskip(NEXT) | instid1(VALU_DEP_1)
	v_cmp_lt_u32_e64 s0, v12, v47
	s_and_saveexec_b32 s2, s0
	s_cbranch_execz .LBB1228_347
; %bb.346:
	v_cmp_lt_i64_e64 s1, -1, v[8:9]
	v_ashrrev_i32_e32 v12, 31, v9
	s_delay_alu instid0(VALU_DEP_1) | instskip(NEXT) | instid1(VALU_DEP_3)
	v_not_b32_e32 v12, v12
	v_cndmask_b32_e64 v13, 0x80000000, -1, s1
	s_delay_alu instid0(VALU_DEP_2) | instskip(NEXT) | instid1(VALU_DEP_2)
	v_xor_b32_e32 v8, v12, v8
	v_xor_b32_e32 v9, v13, v9
	flat_store_b64 v[2:3], v[8:9] offset:2048
.LBB1228_347:
	s_or_b32 exec_lo, exec_lo, s2
	v_add_co_u32 v2, s1, v6, v27
	s_delay_alu instid0(VALU_DEP_1) | instskip(NEXT) | instid1(VALU_DEP_2)
	v_add_co_ci_u32_e64 v3, s1, v7, v28, s1
	v_add_co_u32 v2, s1, v2, v10
	s_delay_alu instid0(VALU_DEP_1)
	v_add_co_ci_u32_e64 v3, s1, v3, v11, s1
	s_and_saveexec_b32 s1, vcc_lo
	s_cbranch_execz .LBB1228_349
; %bb.348:
	flat_store_b64 v[2:3], v[4:5]
.LBB1228_349:
	s_or_b32 exec_lo, exec_lo, s1
	s_and_saveexec_b32 s1, s0
	s_cbranch_execz .LBB1228_351
; %bb.350:
	flat_store_b64 v[2:3], v[0:1] offset:2048
.LBB1228_351:
	s_or_b32 exec_lo, exec_lo, s1
                                        ; implicit-def: $vgpr29_vgpr30
                                        ; implicit-def: $vgpr27_vgpr28
                                        ; implicit-def: $vgpr47
                                        ; implicit-def: $vgpr0
                                        ; implicit-def: $vgpr1
                                        ; implicit-def: $vgpr2
                                        ; implicit-def: $vgpr3
                                        ; implicit-def: $vgpr4
                                        ; implicit-def: $vgpr5
                                        ; implicit-def: $vgpr6
                                        ; implicit-def: $vgpr7
                                        ; implicit-def: $vgpr10
                                        ; implicit-def: $vgpr11
                                        ; implicit-def: $vgpr12
                                        ; implicit-def: $vgpr13
                                        ; implicit-def: $vgpr26
                                        ; implicit-def: $vgpr96
.LBB1228_352:
	s_and_not1_saveexec_b32 s0, s15
	s_cbranch_execz .LBB1228_372
; %bb.353:
	s_mov_b32 s0, -1
	s_brev_b32 s1, -2
	s_delay_alu instid0(SALU_CYCLE_1) | instskip(SKIP_2) | instid1(VALU_DEP_3)
	v_dual_mov_b32 v9, s1 :: v_dual_and_b32 v14, 0xffffffe0, v29
	v_mov_b32_e32 v8, s0
	v_lshlrev_b32_e32 v16, 3, v96
	v_or_b32_e32 v15, v96, v14
	s_delay_alu instid0(VALU_DEP_1)
	v_cmp_lt_u32_e32 vcc_lo, v15, v47
	s_and_saveexec_b32 s1, vcc_lo
	s_cbranch_execz .LBB1228_355
; %bb.354:
	v_mov_b32_e32 v15, 0
	v_add_co_u32 v8, s0, v0, v27
	s_delay_alu instid0(VALU_DEP_1) | instskip(NEXT) | instid1(VALU_DEP_3)
	v_add_co_ci_u32_e64 v9, s0, v1, v28, s0
	v_lshlrev_b64 v[0:1], 3, v[14:15]
	s_delay_alu instid0(VALU_DEP_3) | instskip(NEXT) | instid1(VALU_DEP_1)
	v_add_co_u32 v8, s0, v8, v16
	v_add_co_ci_u32_e64 v9, s0, 0, v9, s0
	s_delay_alu instid0(VALU_DEP_2) | instskip(NEXT) | instid1(VALU_DEP_1)
	v_add_co_u32 v0, s0, v8, v0
	v_add_co_ci_u32_e64 v1, s0, v9, v1, s0
	flat_load_b64 v[8:9], v[0:1]
.LBB1228_355:
	s_or_b32 exec_lo, exec_lo, s1
                                        ; implicit-def: $vgpr18_vgpr19
	s_and_saveexec_b32 s0, vcc_lo
	s_cbranch_execz .LBB1228_357
; %bb.356:
	v_mov_b32_e32 v15, 0
	v_add_co_u32 v4, vcc_lo, v4, v27
	v_add_co_ci_u32_e32 v5, vcc_lo, v5, v28, vcc_lo
	s_delay_alu instid0(VALU_DEP_3) | instskip(NEXT) | instid1(VALU_DEP_3)
	v_lshlrev_b64 v[0:1], 3, v[14:15]
	v_add_co_u32 v4, vcc_lo, v4, v16
	s_delay_alu instid0(VALU_DEP_3) | instskip(NEXT) | instid1(VALU_DEP_2)
	v_add_co_ci_u32_e32 v5, vcc_lo, 0, v5, vcc_lo
	v_add_co_u32 v0, vcc_lo, v4, v0
	s_delay_alu instid0(VALU_DEP_2)
	v_add_co_ci_u32_e32 v1, vcc_lo, v5, v1, vcc_lo
	flat_load_b64 v[18:19], v[0:1]
.LBB1228_357:
	s_or_b32 exec_lo, exec_lo, s0
	s_waitcnt vmcnt(0) lgkmcnt(0)
	v_cmp_lt_i64_e32 vcc_lo, -1, v[8:9]
	v_ashrrev_i32_e32 v1, 31, v9
	s_mov_b32 s16, 0
	v_add_nc_u32_e32 v17, -1, v96
	s_mov_b32 s17, s16
	s_mov_b32 s18, s16
	v_cndmask_b32_e64 v0, -1, 0x80000000, vcc_lo
	v_add_co_u32 v52, vcc_lo, v12, 32
	s_mov_b32 s19, s16
	v_and_b32_e32 v15, 0x3e0, v26
	s_delay_alu instid0(VALU_DEP_3) | instskip(SKIP_4) | instid1(VALU_DEP_4)
	v_xor_b32_e32 v21, v0, v9
	v_lshlrev_b32_e32 v0, 5, v26
	v_add_co_ci_u32_e32 v53, vcc_lo, 0, v13, vcc_lo
	v_xor_b32_e32 v20, v1, v8
	v_mov_b32_e32 v1, 0
	v_add_co_u32 v4, vcc_lo, v12, v0
	v_add_co_ci_u32_e32 v5, vcc_lo, 0, v13, vcc_lo
	v_add_co_u32 v8, vcc_lo, v52, v0
	v_min_u32_e32 v0, 0xe0, v15
	v_and_b32_e32 v16, 16, v96
	v_and_b32_e32 v14, 15, v96
	v_cmp_gt_i32_e64 s4, 0, v17
	s_getpc_b64 s[0:1]
	s_add_u32 s0, s0, _ZN7rocprim17ROCPRIM_400000_NS16block_radix_sortIdLj256ELj1ElLj1ELj1ELj8ELNS0_26block_radix_rank_algorithmE2ELNS0_18block_padding_hintE2ELNS0_4arch9wavefront6targetE0EE19radix_bits_per_passE@rel32@lo+4
	s_addc_u32 s1, s1, _ZN7rocprim17ROCPRIM_400000_NS16block_radix_sortIdLj256ELj1ElLj1ELj1ELj8ELNS0_26block_radix_rank_algorithmE2ELNS0_18block_padding_hintE2ELNS0_4arch9wavefront6targetE0EE19radix_bits_per_passE@rel32@hi+12
	v_or_b32_e32 v0, 31, v0
	v_cmp_eq_u32_e64 s3, 0, v16
	v_lshrrev_b32_e32 v16, 5, v26
	v_add_co_ci_u32_e32 v9, vcc_lo, 0, v53, vcc_lo
	s_load_b32 s15, s[0:1], 0x0
	v_cmp_eq_u32_e32 vcc_lo, 0, v14
	v_cmp_lt_u32_e64 s0, 1, v14
	v_cmp_lt_u32_e64 s1, 3, v14
	;; [unrolled: 1-line block ×3, first 2 shown]
	v_cndmask_b32_e64 v14, v17, v96, s4
	v_cmp_eq_u32_e64 s4, v0, v26
	v_lshlrev_b32_e32 v0, 2, v16
	v_and_b32_e32 v17, 7, v96
	v_lshrrev_b32_e32 v54, 5, v29
	v_lshlrev_b32_e32 v55, 2, v14
	v_lshlrev_b32_e32 v14, 2, v26
	v_add_co_u32 v30, s9, v12, v0
	v_add_nc_u32_e32 v0, -1, v16
	v_add_co_ci_u32_e64 v31, s9, 0, v13, s9
	v_or_b32_e32 v16, v96, v15
	v_add_co_u32 v32, s9, v12, v14
	s_delay_alu instid0(VALU_DEP_4) | instskip(SKIP_1) | instid1(VALU_DEP_4)
	v_lshlrev_b64 v[14:15], 2, v[0:1]
	v_add_co_ci_u32_e64 v33, s9, 0, v13, s9
	v_lshlrev_b32_e32 v0, 3, v16
	v_cmp_eq_u32_e64 s9, 0, v17
	v_cmp_lt_u32_e64 s10, 1, v17
	v_add_co_u32 v34, s12, v12, v14
	s_delay_alu instid0(VALU_DEP_1)
	v_add_co_ci_u32_e64 v35, s12, v13, v15, s12
	v_add_co_u32 v36, s12, v12, v0
	v_cmp_lt_u32_e64 s11, 3, v17
	v_mov_b32_e32 v14, s16
	v_cmp_gt_u32_e64 s5, 8, v26
	v_cmp_lt_u32_e64 s6, 31, v26
	v_cmp_eq_u32_e64 s7, 0, v96
	v_cmp_eq_u32_e64 s8, 0, v26
	v_add_co_ci_u32_e64 v37, s12, 0, v13, s12
	v_sub_nc_u32_e32 v64, v11, v10
	v_dual_mov_b32 v15, s17 :: v_dual_mov_b32 v16, s18
	v_mov_b32_e32 v17, s19
	s_mov_b32 s20, -1
	s_brev_b32 s21, -2
	s_waitcnt lgkmcnt(0)
	s_waitcnt_vscnt null, 0x0
	s_barrier
	buffer_gl0_inv
	s_branch .LBB1228_359
.LBB1228_358:                           ;   in Loop: Header=BB1228_359 Depth=1
	s_or_b32 exec_lo, exec_lo, s13
	s_delay_alu instid0(SALU_CYCLE_1) | instskip(NEXT) | instid1(SALU_CYCLE_1)
	s_and_b32 s12, exec_lo, s14
	s_or_b32 s16, s12, s16
	s_delay_alu instid0(SALU_CYCLE_1)
	s_and_not1_b32 exec_lo, exec_lo, s16
	s_cbranch_execz .LBB1228_369
.LBB1228_359:                           ; =>This Inner Loop Header: Depth=1
	v_dual_mov_b32 v39, v21 :: v_dual_mov_b32 v38, v20
	v_min_u32_e32 v0, s15, v64
	s_clause 0x1
	flat_store_b128 v[4:5], v[14:17] offset:32
	flat_store_b128 v[8:9], v[14:17] offset:16
	s_waitcnt lgkmcnt(0)
	s_waitcnt_vscnt null, 0x0
	s_barrier
	v_cmp_ne_u64_e64 s12, s[20:21], v[38:39]
	buffer_gl0_inv
	; wave barrier
	v_cndmask_b32_e64 v21, 0x80000000, v39, s12
	v_cndmask_b32_e64 v20, 0, v38, s12
	s_delay_alu instid0(VALU_DEP_1) | instskip(NEXT) | instid1(VALU_DEP_1)
	v_lshrrev_b64 v[20:21], v10, v[20:21]
	v_bfe_u32 v0, v20, 0, v0
	s_delay_alu instid0(VALU_DEP_1)
	v_and_b32_e32 v20, 1, v0
	v_lshlrev_b32_e32 v21, 30, v0
	v_lshlrev_b32_e32 v22, 29, v0
	;; [unrolled: 1-line block ×4, first 2 shown]
	v_add_co_u32 v20, s12, v20, -1
	s_delay_alu instid0(VALU_DEP_1)
	v_cndmask_b32_e64 v24, 0, 1, s12
	v_not_b32_e32 v50, v21
	v_cmp_gt_i32_e64 s13, 0, v21
	v_not_b32_e32 v21, v22
	v_lshlrev_b32_e32 v48, 26, v0
	v_cmp_ne_u32_e64 s12, 0, v24
	v_ashrrev_i32_e32 v50, 31, v50
	v_lshlrev_b32_e32 v49, 25, v0
	v_ashrrev_i32_e32 v21, 31, v21
	v_lshlrev_b32_e32 v24, 24, v0
	v_xor_b32_e32 v20, s12, v20
	v_cmp_gt_i32_e64 s12, 0, v22
	v_not_b32_e32 v22, v23
	v_xor_b32_e32 v50, s13, v50
	v_cmp_gt_i32_e64 s13, 0, v23
	v_and_b32_e32 v20, exec_lo, v20
	v_not_b32_e32 v23, v25
	v_ashrrev_i32_e32 v22, 31, v22
	v_xor_b32_e32 v21, s12, v21
	v_cmp_gt_i32_e64 s12, 0, v25
	v_and_b32_e32 v20, v20, v50
	v_not_b32_e32 v25, v48
	v_ashrrev_i32_e32 v23, 31, v23
	v_xor_b32_e32 v22, s13, v22
	v_cmp_gt_i32_e64 s13, 0, v48
	v_and_b32_e32 v20, v20, v21
	v_not_b32_e32 v21, v49
	v_ashrrev_i32_e32 v25, 31, v25
	v_xor_b32_e32 v23, s12, v23
	v_cmp_gt_i32_e64 s12, 0, v49
	v_and_b32_e32 v20, v20, v22
	v_not_b32_e32 v22, v24
	v_ashrrev_i32_e32 v21, 31, v21
	v_xor_b32_e32 v25, s13, v25
	v_cmp_gt_i32_e64 s13, 0, v24
	v_and_b32_e32 v20, v20, v23
	v_ashrrev_i32_e32 v22, 31, v22
	v_xor_b32_e32 v21, s12, v21
	v_lshl_add_u32 v0, v0, 3, v54
	v_dual_mov_b32 v49, v19 :: v_dual_mov_b32 v48, v18
	v_and_b32_e32 v20, v20, v25
	v_xor_b32_e32 v22, s13, v22
	s_delay_alu instid0(VALU_DEP_4) | instskip(NEXT) | instid1(VALU_DEP_3)
	v_lshlrev_b64 v[18:19], 2, v[0:1]
	v_and_b32_e32 v20, v20, v21
	s_delay_alu instid0(VALU_DEP_2) | instskip(NEXT) | instid1(VALU_DEP_2)
	v_add_co_u32 v50, s14, v52, v18
	v_and_b32_e32 v20, v20, v22
	s_delay_alu instid0(VALU_DEP_4) | instskip(NEXT) | instid1(VALU_DEP_2)
	v_add_co_ci_u32_e64 v51, s14, v53, v19, s14
	v_mbcnt_lo_u32_b32 v65, v20, 0
	v_cmp_ne_u32_e64 s12, 0, v20
	s_delay_alu instid0(VALU_DEP_2) | instskip(NEXT) | instid1(VALU_DEP_1)
	v_cmp_eq_u32_e64 s13, 0, v65
	s_and_b32 s13, s12, s13
	s_delay_alu instid0(SALU_CYCLE_1)
	s_and_saveexec_b32 s12, s13
	s_cbranch_execz .LBB1228_361
; %bb.360:                              ;   in Loop: Header=BB1228_359 Depth=1
	v_bcnt_u32_b32 v0, v20, 0
	flat_store_b32 v[50:51], v0
.LBB1228_361:                           ;   in Loop: Header=BB1228_359 Depth=1
	s_or_b32 exec_lo, exec_lo, s12
	; wave barrier
	s_waitcnt lgkmcnt(0)
	s_waitcnt_vscnt null, 0x0
	s_barrier
	buffer_gl0_inv
	s_clause 0x1
	flat_load_b128 v[22:25], v[4:5] offset:32
	flat_load_b128 v[18:21], v[8:9] offset:16
	s_waitcnt vmcnt(1) lgkmcnt(1)
	v_add_nc_u32_e32 v0, v23, v22
	s_delay_alu instid0(VALU_DEP_1) | instskip(SKIP_1) | instid1(VALU_DEP_1)
	v_add3_u32 v0, v0, v24, v25
	s_waitcnt vmcnt(0) lgkmcnt(0)
	v_add3_u32 v0, v0, v18, v19
	s_delay_alu instid0(VALU_DEP_1) | instskip(NEXT) | instid1(VALU_DEP_1)
	v_add3_u32 v0, v0, v20, v21
	v_mov_b32_dpp v21, v0 row_shr:1 row_mask:0xf bank_mask:0xf
	s_delay_alu instid0(VALU_DEP_1) | instskip(NEXT) | instid1(VALU_DEP_1)
	v_cndmask_b32_e64 v21, v21, 0, vcc_lo
	v_add_nc_u32_e32 v0, v21, v0
	s_delay_alu instid0(VALU_DEP_1) | instskip(NEXT) | instid1(VALU_DEP_1)
	v_mov_b32_dpp v21, v0 row_shr:2 row_mask:0xf bank_mask:0xf
	v_cndmask_b32_e64 v21, 0, v21, s0
	s_delay_alu instid0(VALU_DEP_1) | instskip(NEXT) | instid1(VALU_DEP_1)
	v_add_nc_u32_e32 v0, v0, v21
	v_mov_b32_dpp v21, v0 row_shr:4 row_mask:0xf bank_mask:0xf
	s_delay_alu instid0(VALU_DEP_1) | instskip(NEXT) | instid1(VALU_DEP_1)
	v_cndmask_b32_e64 v21, 0, v21, s1
	v_add_nc_u32_e32 v0, v0, v21
	s_delay_alu instid0(VALU_DEP_1) | instskip(NEXT) | instid1(VALU_DEP_1)
	v_mov_b32_dpp v21, v0 row_shr:8 row_mask:0xf bank_mask:0xf
	v_cndmask_b32_e64 v21, 0, v21, s2
	s_delay_alu instid0(VALU_DEP_1) | instskip(SKIP_3) | instid1(VALU_DEP_1)
	v_add_nc_u32_e32 v0, v0, v21
	ds_swizzle_b32 v21, v0 offset:swizzle(BROADCAST,32,15)
	s_waitcnt lgkmcnt(0)
	v_cndmask_b32_e64 v21, v21, 0, s3
	v_add_nc_u32_e32 v0, v0, v21
	s_and_saveexec_b32 s12, s4
	s_cbranch_execz .LBB1228_363
; %bb.362:                              ;   in Loop: Header=BB1228_359 Depth=1
	flat_store_b32 v[30:31], v0
.LBB1228_363:                           ;   in Loop: Header=BB1228_359 Depth=1
	s_or_b32 exec_lo, exec_lo, s12
	s_waitcnt lgkmcnt(0)
	s_waitcnt_vscnt null, 0x0
	s_barrier
	buffer_gl0_inv
	s_and_saveexec_b32 s12, s5
	s_cbranch_execz .LBB1228_365
; %bb.364:                              ;   in Loop: Header=BB1228_359 Depth=1
	flat_load_b32 v21, v[32:33]
	s_waitcnt vmcnt(0) lgkmcnt(0)
	v_mov_b32_dpp v66, v21 row_shr:1 row_mask:0xf bank_mask:0xf
	s_delay_alu instid0(VALU_DEP_1) | instskip(NEXT) | instid1(VALU_DEP_1)
	v_cndmask_b32_e64 v66, v66, 0, s9
	v_add_nc_u32_e32 v21, v66, v21
	s_delay_alu instid0(VALU_DEP_1) | instskip(NEXT) | instid1(VALU_DEP_1)
	v_mov_b32_dpp v66, v21 row_shr:2 row_mask:0xf bank_mask:0xf
	v_cndmask_b32_e64 v66, 0, v66, s10
	s_delay_alu instid0(VALU_DEP_1) | instskip(NEXT) | instid1(VALU_DEP_1)
	v_add_nc_u32_e32 v21, v21, v66
	v_mov_b32_dpp v66, v21 row_shr:4 row_mask:0xf bank_mask:0xf
	s_delay_alu instid0(VALU_DEP_1) | instskip(NEXT) | instid1(VALU_DEP_1)
	v_cndmask_b32_e64 v66, 0, v66, s11
	v_add_nc_u32_e32 v21, v21, v66
	flat_store_b32 v[32:33], v21
.LBB1228_365:                           ;   in Loop: Header=BB1228_359 Depth=1
	s_or_b32 exec_lo, exec_lo, s12
	v_mov_b32_e32 v21, 0
	s_waitcnt lgkmcnt(0)
	s_waitcnt_vscnt null, 0x0
	s_barrier
	buffer_gl0_inv
	s_and_saveexec_b32 s12, s6
	s_cbranch_execz .LBB1228_367
; %bb.366:                              ;   in Loop: Header=BB1228_359 Depth=1
	flat_load_b32 v21, v[34:35]
.LBB1228_367:                           ;   in Loop: Header=BB1228_359 Depth=1
	s_or_b32 exec_lo, exec_lo, s12
	s_waitcnt vmcnt(0) lgkmcnt(0)
	v_add_nc_u32_e32 v0, v21, v0
	v_add_nc_u32_e32 v10, 8, v10
	s_mov_b32 s14, -1
	ds_bpermute_b32 v0, v55, v0
	s_waitcnt lgkmcnt(0)
	v_cndmask_b32_e64 v0, v0, v21, s7
	s_delay_alu instid0(VALU_DEP_1) | instskip(NEXT) | instid1(VALU_DEP_1)
	v_cndmask_b32_e64 v21, v0, 0, s8
	v_add_nc_u32_e32 v22, v21, v22
	s_delay_alu instid0(VALU_DEP_1) | instskip(NEXT) | instid1(VALU_DEP_1)
	v_add_nc_u32_e32 v23, v22, v23
	v_add_nc_u32_e32 v24, v23, v24
	s_delay_alu instid0(VALU_DEP_1) | instskip(NEXT) | instid1(VALU_DEP_1)
	v_add_nc_u32_e32 v66, v24, v25
	;; [unrolled: 3-line block ×3, first 2 shown]
	v_add_nc_u32_e32 v69, v68, v20
	s_clause 0x1
	flat_store_b128 v[4:5], v[21:24] offset:32
	flat_store_b128 v[8:9], v[66:69] offset:16
	s_waitcnt lgkmcnt(0)
	s_waitcnt_vscnt null, 0x0
	s_barrier
	buffer_gl0_inv
	flat_load_b32 v0, v[50:51]
	s_waitcnt vmcnt(0) lgkmcnt(0)
	s_waitcnt_vscnt null, 0x0
                                        ; implicit-def: $vgpr20_vgpr21
	s_waitcnt vmcnt(0) lgkmcnt(0)
	v_add_nc_u32_e32 v0, v0, v65
	s_delay_alu instid0(VALU_DEP_1) | instskip(NEXT) | instid1(VALU_DEP_1)
	v_lshlrev_b64 v[18:19], 3, v[0:1]
	v_add_co_u32 v22, s13, v12, v18
	s_delay_alu instid0(VALU_DEP_1)
	v_add_co_ci_u32_e64 v23, s13, v13, v19, s13
	s_mov_b32 s13, exec_lo
                                        ; implicit-def: $vgpr18_vgpr19
	v_cmpx_lt_u32_e64 v10, v11
	s_cbranch_execz .LBB1228_358
; %bb.368:                              ;   in Loop: Header=BB1228_359 Depth=1
	s_barrier
	buffer_gl0_inv
	flat_store_b64 v[22:23], v[38:39]
	s_waitcnt lgkmcnt(0)
	s_waitcnt_vscnt null, 0x0
	s_barrier
	buffer_gl0_inv
	flat_load_b64 v[20:21], v[36:37]
	s_waitcnt vmcnt(0) lgkmcnt(0)
	s_barrier
	buffer_gl0_inv
	flat_store_b64 v[22:23], v[48:49]
	s_waitcnt lgkmcnt(0)
	s_waitcnt_vscnt null, 0x0
	s_barrier
	buffer_gl0_inv
	flat_load_b64 v[18:19], v[36:37]
	v_add_nc_u32_e32 v64, -8, v64
	s_xor_b32 s14, exec_lo, -1
	s_waitcnt vmcnt(0) lgkmcnt(0)
	s_barrier
	buffer_gl0_inv
	s_branch .LBB1228_358
.LBB1228_369:
	s_or_b32 exec_lo, exec_lo, s16
	v_lshlrev_b32_e32 v0, 3, v26
	s_barrier
	buffer_gl0_inv
	flat_store_b64 v[22:23], v[38:39]
	s_waitcnt lgkmcnt(0)
	s_waitcnt_vscnt null, 0x0
	v_add_co_u32 v4, vcc_lo, v12, v0
	v_add_co_ci_u32_e32 v5, vcc_lo, 0, v13, vcc_lo
	s_barrier
	buffer_gl0_inv
	v_mov_b32_e32 v30, 0
	flat_load_b64 v[0:1], v[4:5]
	s_waitcnt vmcnt(0) lgkmcnt(0)
	s_barrier
	buffer_gl0_inv
	flat_store_b64 v[22:23], v[48:49]
	s_waitcnt lgkmcnt(0)
	s_waitcnt_vscnt null, 0x0
	s_barrier
	buffer_gl0_inv
	flat_load_b64 v[4:5], v[4:5]
	s_mov_b32 s0, exec_lo
	s_waitcnt vmcnt(0) lgkmcnt(0)
	s_barrier
	buffer_gl0_inv
	v_cmpx_lt_u32_e64 v29, v47
	s_cbranch_execz .LBB1228_371
; %bb.370:
	v_add_co_u32 v2, vcc_lo, v2, v27
	v_add_co_ci_u32_e32 v3, vcc_lo, v3, v28, vcc_lo
	v_lshlrev_b64 v[8:9], 3, v[29:30]
	v_cmp_lt_i64_e32 vcc_lo, -1, v[0:1]
	v_ashrrev_i32_e32 v11, 31, v1
	s_delay_alu instid0(VALU_DEP_1)
	v_not_b32_e32 v11, v11
	v_cndmask_b32_e64 v10, 0x80000000, -1, vcc_lo
	v_add_co_u32 v2, vcc_lo, v2, v8
	v_add_co_ci_u32_e32 v3, vcc_lo, v3, v9, vcc_lo
	v_add_co_u32 v6, vcc_lo, v6, v27
	v_add_co_ci_u32_e32 v7, vcc_lo, v7, v28, vcc_lo
	v_xor_b32_e32 v1, v10, v1
	s_delay_alu instid0(VALU_DEP_3) | instskip(SKIP_1) | instid1(VALU_DEP_4)
	v_add_co_u32 v6, vcc_lo, v6, v8
	v_xor_b32_e32 v0, v11, v0
	v_add_co_ci_u32_e32 v7, vcc_lo, v7, v9, vcc_lo
	flat_store_b64 v[2:3], v[0:1]
	flat_store_b64 v[6:7], v[4:5]
.LBB1228_371:
	s_or_b32 exec_lo, exec_lo, s0
.LBB1228_372:
	s_delay_alu instid0(SALU_CYCLE_1)
	s_or_b32 exec_lo, exec_lo, s26
	s_clause 0x1f
	scratch_load_b32 v127, off, s32
	scratch_load_b32 v126, off, s32 offset:4
	scratch_load_b32 v125, off, s32 offset:8
	;; [unrolled: 1-line block ×31, first 2 shown]
	s_clause 0xf
	scratch_load_b32 v63, off, s32 offset:128
	scratch_load_b32 v62, off, s32 offset:132
	;; [unrolled: 1-line block ×16, first 2 shown]
	v_readlane_b32 s43, v136, 7
	v_readlane_b32 s42, v136, 6
	;; [unrolled: 1-line block ×8, first 2 shown]
	s_or_saveexec_b32 s0, -1
	scratch_load_b32 v136, off, s32 offset:192 ; 4-byte Folded Reload
	s_mov_b32 exec_lo, s0
	s_waitcnt vmcnt(0) lgkmcnt(0)
	s_setpc_b64 s[30:31]
.Lfunc_end1228:
	.size	_ZN7rocprim17ROCPRIM_400000_NS6detail40segmented_radix_sort_single_block_helperIdlLj256ELj16ELb0EE4sortIPKdPdPKlPlEEbT_T0_T1_T2_jjjjRNS3_12storage_typeE, .Lfunc_end1228-_ZN7rocprim17ROCPRIM_400000_NS6detail40segmented_radix_sort_single_block_helperIdlLj256ELj16ELb0EE4sortIPKdPdPKlPlEEbT_T0_T1_T2_jjjjRNS3_12storage_typeE
                                        ; -- End function
	.section	.AMDGPU.csdata,"",@progbits
; Function info:
; codeLenInByte = 34688
; NumSgprs: 46
; NumVgprs: 248
; ScratchSize: 200
; MemoryBound: 1
	.section	.text._ZN7rocprim17ROCPRIM_400000_NS6detail17trampoline_kernelINS0_14default_configENS1_36segmented_radix_sort_config_selectorIdlEEZNS1_25segmented_radix_sort_implIS3_Lb0EPKdPdPKlPlN2at6native12_GLOBAL__N_18offset_tEEE10hipError_tPvRmT1_PNSt15iterator_traitsISK_E10value_typeET2_T3_PNSL_ISQ_E10value_typeET4_jRbjT5_SW_jjP12ihipStream_tbEUlT_E_NS1_11comp_targetILNS1_3genE9ELNS1_11target_archE1100ELNS1_3gpuE3ELNS1_3repE0EEENS1_30default_config_static_selectorELNS0_4arch9wavefront6targetE0EEEvSK_,"axG",@progbits,_ZN7rocprim17ROCPRIM_400000_NS6detail17trampoline_kernelINS0_14default_configENS1_36segmented_radix_sort_config_selectorIdlEEZNS1_25segmented_radix_sort_implIS3_Lb0EPKdPdPKlPlN2at6native12_GLOBAL__N_18offset_tEEE10hipError_tPvRmT1_PNSt15iterator_traitsISK_E10value_typeET2_T3_PNSL_ISQ_E10value_typeET4_jRbjT5_SW_jjP12ihipStream_tbEUlT_E_NS1_11comp_targetILNS1_3genE9ELNS1_11target_archE1100ELNS1_3gpuE3ELNS1_3repE0EEENS1_30default_config_static_selectorELNS0_4arch9wavefront6targetE0EEEvSK_,comdat
	.globl	_ZN7rocprim17ROCPRIM_400000_NS6detail17trampoline_kernelINS0_14default_configENS1_36segmented_radix_sort_config_selectorIdlEEZNS1_25segmented_radix_sort_implIS3_Lb0EPKdPdPKlPlN2at6native12_GLOBAL__N_18offset_tEEE10hipError_tPvRmT1_PNSt15iterator_traitsISK_E10value_typeET2_T3_PNSL_ISQ_E10value_typeET4_jRbjT5_SW_jjP12ihipStream_tbEUlT_E_NS1_11comp_targetILNS1_3genE9ELNS1_11target_archE1100ELNS1_3gpuE3ELNS1_3repE0EEENS1_30default_config_static_selectorELNS0_4arch9wavefront6targetE0EEEvSK_ ; -- Begin function _ZN7rocprim17ROCPRIM_400000_NS6detail17trampoline_kernelINS0_14default_configENS1_36segmented_radix_sort_config_selectorIdlEEZNS1_25segmented_radix_sort_implIS3_Lb0EPKdPdPKlPlN2at6native12_GLOBAL__N_18offset_tEEE10hipError_tPvRmT1_PNSt15iterator_traitsISK_E10value_typeET2_T3_PNSL_ISQ_E10value_typeET4_jRbjT5_SW_jjP12ihipStream_tbEUlT_E_NS1_11comp_targetILNS1_3genE9ELNS1_11target_archE1100ELNS1_3gpuE3ELNS1_3repE0EEENS1_30default_config_static_selectorELNS0_4arch9wavefront6targetE0EEEvSK_
	.p2align	8
	.type	_ZN7rocprim17ROCPRIM_400000_NS6detail17trampoline_kernelINS0_14default_configENS1_36segmented_radix_sort_config_selectorIdlEEZNS1_25segmented_radix_sort_implIS3_Lb0EPKdPdPKlPlN2at6native12_GLOBAL__N_18offset_tEEE10hipError_tPvRmT1_PNSt15iterator_traitsISK_E10value_typeET2_T3_PNSL_ISQ_E10value_typeET4_jRbjT5_SW_jjP12ihipStream_tbEUlT_E_NS1_11comp_targetILNS1_3genE9ELNS1_11target_archE1100ELNS1_3gpuE3ELNS1_3repE0EEENS1_30default_config_static_selectorELNS0_4arch9wavefront6targetE0EEEvSK_,@function
_ZN7rocprim17ROCPRIM_400000_NS6detail17trampoline_kernelINS0_14default_configENS1_36segmented_radix_sort_config_selectorIdlEEZNS1_25segmented_radix_sort_implIS3_Lb0EPKdPdPKlPlN2at6native12_GLOBAL__N_18offset_tEEE10hipError_tPvRmT1_PNSt15iterator_traitsISK_E10value_typeET2_T3_PNSL_ISQ_E10value_typeET4_jRbjT5_SW_jjP12ihipStream_tbEUlT_E_NS1_11comp_targetILNS1_3genE9ELNS1_11target_archE1100ELNS1_3gpuE3ELNS1_3repE0EEENS1_30default_config_static_selectorELNS0_4arch9wavefront6targetE0EEEvSK_: ; @_ZN7rocprim17ROCPRIM_400000_NS6detail17trampoline_kernelINS0_14default_configENS1_36segmented_radix_sort_config_selectorIdlEEZNS1_25segmented_radix_sort_implIS3_Lb0EPKdPdPKlPlN2at6native12_GLOBAL__N_18offset_tEEE10hipError_tPvRmT1_PNSt15iterator_traitsISK_E10value_typeET2_T3_PNSL_ISQ_E10value_typeET4_jRbjT5_SW_jjP12ihipStream_tbEUlT_E_NS1_11comp_targetILNS1_3genE9ELNS1_11target_archE1100ELNS1_3gpuE3ELNS1_3repE0EEENS1_30default_config_static_selectorELNS0_4arch9wavefront6targetE0EEEvSK_
; %bb.0:
	s_clause 0x1
	s_load_b64 s[2:3], s[0:1], 0x38
	s_load_b128 s[4:7], s[0:1], 0x40
	s_mov_b32 s34, s14
	s_mov_b32 s35, 0
	;; [unrolled: 1-line block ×3, first 2 shown]
	s_lshl_b64 s[8:9], s[34:35], 2
	s_waitcnt lgkmcnt(0)
	s_add_u32 s2, s2, s8
	s_addc_u32 s3, s3, s9
	s_load_b32 s2, s[2:3], 0x0
	s_waitcnt lgkmcnt(0)
	s_add_i32 s33, s2, s5
	s_add_i32 s35, s2, s7
	s_mul_i32 s33, s33, s4
	s_mul_i32 s35, s35, s6
	s_delay_alu instid0(SALU_CYCLE_1)
	s_cmp_le_u32 s35, s33
	s_cbranch_scc1 .LBB1229_1190
; %bb.1:
	s_clause 0x3
	s_load_b32 s2, s[0:1], 0x30
	s_load_b128 s[52:55], s[0:1], 0x20
	s_load_b128 s[56:59], s[0:1], 0x50
	s_load_b256 s[44:51], s[0:1], 0x0
	s_waitcnt lgkmcnt(0)
	s_bitcmp1_b32 s2, 0
	s_mov_b32 s2, -1
	s_cselect_b32 s59, -1, 0
	s_sub_i32 s62, s35, s33
	s_delay_alu instid0(SALU_CYCLE_1)
	s_cmpk_lt_u32 s62, 0x1001
	s_cbranch_scc0 .LBB1229_7
; %bb.2:
	v_cndmask_b32_e64 v1, 0, 1, s59
	s_and_b32 s2, s56, 1
	s_delay_alu instid0(VALU_DEP_1) | instid1(SALU_CYCLE_1)
	v_cmp_ne_u32_e32 vcc_lo, s2, v1
	s_mov_b32 s2, -1
	s_cbranch_vccnz .LBB1229_4
; %bb.3:
	s_mov_b64 s[2:3], src_shared_base
	v_mov_b32_e32 v31, v0
	v_dual_mov_b32 v40, v0 :: v_dual_mov_b32 v1, s45
	v_mov_b32_e32 v0, s44
	v_dual_mov_b32 v2, s48 :: v_dual_mov_b32 v3, s49
	v_dual_mov_b32 v4, s50 :: v_dual_mov_b32 v5, s51
	;; [unrolled: 1-line block ×6, first 2 shown]
	s_add_u32 s8, s0, 0x60
	s_addc_u32 s9, s1, 0
	s_mov_b32 s12, s34
	s_mov_b32 s13, s15
	s_getpc_b64 s[4:5]
	s_add_u32 s4, s4, _ZN7rocprim17ROCPRIM_400000_NS6detail40segmented_radix_sort_single_block_helperIdlLj256ELj16ELb0EE4sortIPKdPdPKlPlEEbT_T0_T1_T2_jjjjRNS3_12storage_typeE@rel32@lo+4
	s_addc_u32 s5, s5, _ZN7rocprim17ROCPRIM_400000_NS6detail40segmented_radix_sort_single_block_helperIdlLj256ELj16ELb0EE4sortIPKdPdPKlPlEEbT_T0_T1_T2_jjjjRNS3_12storage_typeE@rel32@hi+12
	s_mov_b64 s[60:61], s[0:1]
	s_mov_b32 s29, s15
	s_swappc_b64 s[30:31], s[4:5]
	v_mov_b32_e32 v0, v40
	s_mov_b32 s15, s29
	s_mov_b64 s[0:1], s[60:61]
	s_mov_b32 s2, 0
.LBB1229_4:
	s_delay_alu instid0(SALU_CYCLE_1)
	s_and_not1_b32 vcc_lo, exec_lo, s2
	s_cbranch_vccnz .LBB1229_6
; %bb.5:
	s_mov_b64 s[2:3], src_shared_base
	v_mov_b32_e32 v31, v0
	v_dual_mov_b32 v40, v0 :: v_dual_mov_b32 v1, s45
	v_mov_b32_e32 v0, s44
	v_dual_mov_b32 v2, s46 :: v_dual_mov_b32 v3, s47
	v_dual_mov_b32 v4, s50 :: v_dual_mov_b32 v5, s51
	;; [unrolled: 1-line block ×6, first 2 shown]
	s_add_u32 s8, s0, 0x60
	s_addc_u32 s9, s1, 0
	s_mov_b32 s12, s34
	s_mov_b32 s13, s15
	s_getpc_b64 s[4:5]
	s_add_u32 s4, s4, _ZN7rocprim17ROCPRIM_400000_NS6detail40segmented_radix_sort_single_block_helperIdlLj256ELj16ELb0EE4sortIPKdPdPKlPlEEbT_T0_T1_T2_jjjjRNS3_12storage_typeE@rel32@lo+4
	s_addc_u32 s5, s5, _ZN7rocprim17ROCPRIM_400000_NS6detail40segmented_radix_sort_single_block_helperIdlLj256ELj16ELb0EE4sortIPKdPdPKlPlEEbT_T0_T1_T2_jjjjRNS3_12storage_typeE@rel32@hi+12
	s_mov_b64 s[60:61], s[0:1]
	s_mov_b32 s29, s15
	s_swappc_b64 s[30:31], s[4:5]
	v_mov_b32_e32 v0, v40
	s_mov_b32 s15, s29
	s_mov_b64 s[0:1], s[60:61]
.LBB1229_6:
	s_mov_b32 s2, 0
.LBB1229_7:
	s_delay_alu instid0(SALU_CYCLE_1)
	s_and_not1_b32 vcc_lo, exec_lo, s2
	s_cbranch_vccnz .LBB1229_1190
; %bb.8:
	s_cmp_ge_u32 s57, s58
	s_cbranch_scc1 .LBB1229_1190
; %bb.9:
	v_and_b32_e32 v1, 0x3ff, v0
	v_mov_b32_e32 v3, 0
	v_bfe_u32 v101, v0, 20, 10
	s_add_u32 s38, s0, 0x60
	v_bfe_u32 v0, v0, 10, 10
	v_lshlrev_b32_e32 v76, 2, v1
	v_lshrrev_b32_e32 v4, 3, v1
	v_lshlrev_b32_e32 v6, 5, v1
	v_dual_mov_b32 v123, 1 :: v_dual_lshlrev_b32 v2, 3, v1
	s_delay_alu instid0(VALU_DEP_4) | instskip(NEXT) | instid1(VALU_DEP_4)
	v_mad_u32_u24 v96, v1, 12, v76
	v_and_b32_e32 v94, 28, v4
	v_lshlrev_b32_e32 v4, 4, v1
	v_or_b32_e32 v5, 31, v1
	v_or_b32_e32 v78, 0x200, v1
	v_mad_u32_u24 v102, v1, 20, v96
	v_or_b32_e32 v79, 0x300, v1
	v_and_b32_e32 v100, 0xe00, v4
	v_cmp_eq_u32_e64 s3, v5, v1
	v_mul_u32_u24_e32 v4, 9, v1
	v_sub_nc_u32_e32 v104, v102, v6
	v_add_nc_u32_e32 v5, 1, v1
	v_lshlrev_b32_e32 v6, 3, v100
	v_or_b32_e32 v83, 0x400, v1
	v_or_b32_e32 v84, 0x500, v1
	;; [unrolled: 1-line block ×4, first 2 shown]
	v_add_co_u32 v106, s7, s54, v6
	s_delay_alu instid0(VALU_DEP_1) | instskip(SKIP_1) | instid1(VALU_DEP_1)
	v_add_co_ci_u32_e64 v107, null, s55, 0, s7
	v_add_co_u32 v108, s7, s48, v6
	v_add_co_ci_u32_e64 v109, null, s49, 0, s7
	v_add_co_u32 v111, s7, s46, v2
	s_delay_alu instid0(VALU_DEP_1) | instskip(SKIP_1) | instid1(VALU_DEP_1)
	v_add_co_ci_u32_e64 v112, null, s47, 0, s7
	v_add_co_u32 v113, s7, s52, v6
	v_add_co_ci_u32_e64 v114, null, s53, 0, s7
	v_add_co_u32 v115, s7, s46, v6
	s_delay_alu instid0(VALU_DEP_1)
	v_add_co_ci_u32_e64 v116, null, s47, 0, s7
	v_add_co_u32 v117, s7, s44, v2
	v_or_b32_e32 v87, 0x800, v1
	v_or_b32_e32 v88, 0x900, v1
	;; [unrolled: 1-line block ×5, first 2 shown]
	v_lshl_add_u32 v103, v4, 2, 0x420
	v_mul_u32_u24_e32 v4, 9, v5
	v_add_co_ci_u32_e64 v118, null, s45, 0, s7
	v_add_co_u32 v119, s7, s50, v6
	v_add_co_u32 v81, s2, s48, v2
	v_add_co_ci_u32_e64 v120, null, s51, 0, s7
	v_add_co_u32 v121, s7, s44, v6
	v_or_b32_e32 v77, 0x100, v1
	v_and_b32_e32 v80, 3, v1
	v_add_co_ci_u32_e64 v82, null, s49, 0, s2
	v_or_b32_e32 v92, 0xd00, v1
	v_or_b32_e32 v93, 0xe00, v1
	;; [unrolled: 1-line block ×3, first 2 shown]
	v_cmp_gt_u32_e64 s2, 0x100, v1
	v_or_b32_e32 v97, 0x8400, v94
	v_cmp_gt_u32_e64 s4, 8, v1
	v_add_nc_u32_e32 v98, 0x8400, v76
	v_cmp_lt_u32_e64 s5, 31, v1
	v_add_nc_u32_e32 v99, 0x83fc, v94
	v_cmp_eq_u32_e64 s0, 0, v1
	v_cmp_ne_u32_e64 s6, 0x100, v5
	v_lshlrev_b32_e32 v105, 2, v4
	v_add_nc_u32_e32 v110, 0x400, v2
	v_add_co_ci_u32_e64 v122, null, s45, 0, s7
	v_lshlrev_b32_e32 v124, 3, v1
	v_lshlrev_b32_e32 v125, 3, v78
	;; [unrolled: 1-line block ×12, first 2 shown]
	v_mbcnt_lo_u32_b32 v136, -1, 0
	s_mov_b32 s40, -1
	s_mov_b32 s37, 0
	s_brev_b32 s41, -2
	s_addc_u32 s39, s1, 0
	s_mov_b32 s42, s57
	s_mov_b32 s43, s57
	s_branch .LBB1229_12
.LBB1229_10:                            ;   in Loop: Header=BB1229_12 Depth=1
	s_waitcnt lgkmcnt(0)
	s_barrier
.LBB1229_11:                            ;   in Loop: Header=BB1229_12 Depth=1
	s_add_i32 s43, s43, 8
	buffer_gl0_inv
	s_cmp_ge_u32 s43, s58
	s_cbranch_scc1 .LBB1229_1190
.LBB1229_12:                            ; =>This Loop Header: Depth=1
                                        ;     Child Loop BB1229_16 Depth 2
                                        ;     Child Loop BB1229_98 Depth 2
	;; [unrolled: 1-line block ×8, first 2 shown]
	s_sub_i32 s1, s58, s43
	s_xor_b32 s59, s59, -1
	s_min_u32 s50, s1, 8
	s_cmp_lg_u32 s43, s57
	s_mov_b32 s1, s40
	ds_store_2addr_stride64_b32 v76, v3, v3 offset1:4
	ds_store_2addr_stride64_b32 v76, v3, v3 offset0:8 offset1:12
	s_waitcnt lgkmcnt(0)
	s_waitcnt_vscnt null, 0x0
	s_cbranch_scc0 .LBB1229_602
; %bb.13:                               ;   in Loop: Header=BB1229_12 Depth=1
	s_lshl_b32 s1, -1, s50
	s_and_b32 vcc_lo, exec_lo, s59
	s_not_b32 s51, s1
	s_mov_b32 s1, -1
	s_cbranch_vccz .LBB1229_307
; %bb.14:                               ;   in Loop: Header=BB1229_12 Depth=1
	s_mov_b32 s1, s62
	s_mov_b32 s36, s33
	s_barrier
	buffer_gl0_inv
                                        ; implicit-def: $vgpr34_vgpr35
                                        ; implicit-def: $vgpr4_vgpr5
                                        ; implicit-def: $vgpr6_vgpr7
                                        ; implicit-def: $vgpr8_vgpr9
                                        ; implicit-def: $vgpr10_vgpr11
                                        ; implicit-def: $vgpr12_vgpr13
                                        ; implicit-def: $vgpr14_vgpr15
                                        ; implicit-def: $vgpr16_vgpr17
                                        ; implicit-def: $vgpr18_vgpr19
                                        ; implicit-def: $vgpr20_vgpr21
                                        ; implicit-def: $vgpr22_vgpr23
                                        ; implicit-def: $vgpr24_vgpr25
                                        ; implicit-def: $vgpr26_vgpr27
                                        ; implicit-def: $vgpr28_vgpr29
                                        ; implicit-def: $vgpr30_vgpr31
                                        ; implicit-def: $vgpr32_vgpr33
	s_branch .LBB1229_16
.LBB1229_15:                            ;   in Loop: Header=BB1229_16 Depth=2
	s_or_b32 exec_lo, exec_lo, s8
	s_addk_i32 s1, 0xf000
	s_cmp_ge_u32 s7, s35
	s_mov_b32 s36, s7
	s_cbranch_scc1 .LBB1229_86
.LBB1229_16:                            ;   Parent Loop BB1229_12 Depth=1
                                        ; =>  This Inner Loop Header: Depth=2
	s_add_i32 s7, s36, 0x1000
	s_delay_alu instid0(SALU_CYCLE_1)
	s_cmp_gt_u32 s7, s35
	s_cbranch_scc1 .LBB1229_19
; %bb.17:                               ;   in Loop: Header=BB1229_16 Depth=2
	s_mov_b32 s9, 0
	s_mov_b32 s8, s36
	s_delay_alu instid0(SALU_CYCLE_1) | instskip(NEXT) | instid1(SALU_CYCLE_1)
	s_lshl_b64 s[10:11], s[8:9], 3
	v_add_co_u32 v36, vcc_lo, v81, s10
	v_add_co_ci_u32_e32 v37, vcc_lo, s11, v82, vcc_lo
	s_movk_i32 s11, 0x1000
	s_waitcnt vmcnt(12)
	s_delay_alu instid0(VALU_DEP_2) | instskip(NEXT) | instid1(VALU_DEP_2)
	v_add_co_u32 v42, vcc_lo, 0x1000, v36
	v_add_co_ci_u32_e32 v43, vcc_lo, 0, v37, vcc_lo
	s_waitcnt vmcnt(11)
	v_add_co_u32 v44, vcc_lo, 0x2000, v36
	v_add_co_ci_u32_e32 v45, vcc_lo, 0, v37, vcc_lo
	s_waitcnt vmcnt(1)
	v_add_co_u32 v50, vcc_lo, v36, 0x2000
	v_add_co_ci_u32_e32 v51, vcc_lo, 0, v37, vcc_lo
	v_add_co_u32 v52, vcc_lo, v36, 0x4000
	v_add_co_ci_u32_e32 v53, vcc_lo, 0, v37, vcc_lo
	;; [unrolled: 2-line block ×7, first 2 shown]
	s_waitcnt vmcnt(0)
	v_add_co_u32 v66, vcc_lo, 0x7000, v36
	v_add_co_ci_u32_e32 v67, vcc_lo, 0, v37, vcc_lo
	s_clause 0xe
	global_load_b64 v[38:39], v[36:37], off
	global_load_b64 v[40:41], v[36:37], off offset:2048
	global_load_b64 v[42:43], v[42:43], off offset:2048
	;; [unrolled: 1-line block ×3, first 2 shown]
	global_load_b64 v[46:47], v[50:51], off
	global_load_b64 v[48:49], v[52:53], off offset:-4096
	global_load_b64 v[52:53], v[52:53], off
	global_load_b64 v[56:57], v[60:61], off offset:-4096
	global_load_b64 v[60:61], v[60:61], off
	global_load_b64 v[54:55], v[54:55], off offset:2048
	global_load_b64 v[58:59], v[58:59], off offset:2048
	;; [unrolled: 1-line block ×4, first 2 shown]
	global_load_b64 v[50:51], v[50:51], off offset:-4096
	global_load_b64 v[66:67], v[66:67], off
	v_add_co_u32 v36, vcc_lo, 0x7800, v36
	v_add_co_ci_u32_e32 v37, vcc_lo, 0, v37, vcc_lo
	s_mov_b32 s10, -1
	s_cbranch_execz .LBB1229_20
; %bb.18:                               ;   in Loop: Header=BB1229_16 Depth=2
                                        ; implicit-def: $vgpr32_vgpr33
                                        ; implicit-def: $vgpr30_vgpr31
                                        ; implicit-def: $vgpr28_vgpr29
                                        ; implicit-def: $vgpr26_vgpr27
                                        ; implicit-def: $vgpr24_vgpr25
                                        ; implicit-def: $vgpr22_vgpr23
                                        ; implicit-def: $vgpr20_vgpr21
                                        ; implicit-def: $vgpr18_vgpr19
                                        ; implicit-def: $vgpr16_vgpr17
                                        ; implicit-def: $vgpr14_vgpr15
                                        ; implicit-def: $vgpr12_vgpr13
                                        ; implicit-def: $vgpr10_vgpr11
                                        ; implicit-def: $vgpr8_vgpr9
                                        ; implicit-def: $vgpr6_vgpr7
                                        ; implicit-def: $vgpr4_vgpr5
                                        ; implicit-def: $vgpr34_vgpr35
	v_mov_b32_e32 v2, s1
	s_and_saveexec_b32 s8, s10
	s_cbranch_execnz .LBB1229_39
	s_branch .LBB1229_40
.LBB1229_19:                            ;   in Loop: Header=BB1229_16 Depth=2
	s_mov_b32 s10, 0
                                        ; implicit-def: $sgpr11
                                        ; implicit-def: $vgpr38_vgpr39
                                        ; implicit-def: $vgpr40_vgpr41
                                        ; implicit-def: $vgpr50_vgpr51
                                        ; implicit-def: $vgpr42_vgpr43
                                        ; implicit-def: $vgpr46_vgpr47
                                        ; implicit-def: $vgpr44_vgpr45
                                        ; implicit-def: $vgpr48_vgpr49
                                        ; implicit-def: $vgpr54_vgpr55
                                        ; implicit-def: $vgpr52_vgpr53
                                        ; implicit-def: $vgpr58_vgpr59
                                        ; implicit-def: $vgpr56_vgpr57
                                        ; implicit-def: $vgpr62_vgpr63
                                        ; implicit-def: $vgpr60_vgpr61
                                        ; implicit-def: $vgpr64_vgpr65
                                        ; implicit-def: $vgpr66_vgpr67
                                        ; implicit-def: $vgpr36_vgpr37
.LBB1229_20:                            ;   in Loop: Header=BB1229_16 Depth=2
	s_lshl_b64 s[8:9], s[36:37], 3
	s_mov_b32 s11, exec_lo
	s_add_u32 s8, s48, s8
	s_addc_u32 s9, s49, s9
	v_cmpx_gt_u32_e64 s1, v1
	s_cbranch_execz .LBB1229_72
; %bb.21:                               ;   in Loop: Header=BB1229_16 Depth=2
	global_load_b64 v[32:33], v124, s[8:9]
	s_or_b32 exec_lo, exec_lo, s11
	s_delay_alu instid0(SALU_CYCLE_1)
	s_mov_b32 s11, exec_lo
	v_cmpx_gt_u32_e64 s1, v77
	s_cbranch_execnz .LBB1229_73
.LBB1229_22:                            ;   in Loop: Header=BB1229_16 Depth=2
	s_or_b32 exec_lo, exec_lo, s11
	s_delay_alu instid0(SALU_CYCLE_1)
	s_mov_b32 s11, exec_lo
	v_cmpx_gt_u32_e64 s1, v78
	s_cbranch_execz .LBB1229_74
.LBB1229_23:                            ;   in Loop: Header=BB1229_16 Depth=2
	global_load_b64 v[28:29], v125, s[8:9]
	s_or_b32 exec_lo, exec_lo, s11
	s_delay_alu instid0(SALU_CYCLE_1)
	s_mov_b32 s11, exec_lo
	v_cmpx_gt_u32_e64 s1, v79
	s_cbranch_execnz .LBB1229_75
.LBB1229_24:                            ;   in Loop: Header=BB1229_16 Depth=2
	s_or_b32 exec_lo, exec_lo, s11
	s_delay_alu instid0(SALU_CYCLE_1)
	s_mov_b32 s11, exec_lo
	v_cmpx_gt_u32_e64 s1, v83
	s_cbranch_execz .LBB1229_76
.LBB1229_25:                            ;   in Loop: Header=BB1229_16 Depth=2
	global_load_b64 v[24:25], v127, s[8:9]
	s_or_b32 exec_lo, exec_lo, s11
	s_delay_alu instid0(SALU_CYCLE_1)
	s_mov_b32 s11, exec_lo
	v_cmpx_gt_u32_e64 s1, v84
	s_cbranch_execnz .LBB1229_77
.LBB1229_26:                            ;   in Loop: Header=BB1229_16 Depth=2
	s_or_b32 exec_lo, exec_lo, s11
	s_delay_alu instid0(SALU_CYCLE_1)
	s_mov_b32 s11, exec_lo
	v_cmpx_gt_u32_e64 s1, v85
	s_cbranch_execz .LBB1229_78
.LBB1229_27:                            ;   in Loop: Header=BB1229_16 Depth=2
	global_load_b64 v[20:21], v129, s[8:9]
	s_or_b32 exec_lo, exec_lo, s11
	s_delay_alu instid0(SALU_CYCLE_1)
	s_mov_b32 s11, exec_lo
	v_cmpx_gt_u32_e64 s1, v86
	s_cbranch_execnz .LBB1229_79
.LBB1229_28:                            ;   in Loop: Header=BB1229_16 Depth=2
	s_or_b32 exec_lo, exec_lo, s11
	s_delay_alu instid0(SALU_CYCLE_1)
	s_mov_b32 s11, exec_lo
	v_cmpx_gt_u32_e64 s1, v87
	s_cbranch_execz .LBB1229_80
.LBB1229_29:                            ;   in Loop: Header=BB1229_16 Depth=2
	global_load_b64 v[16:17], v131, s[8:9]
	s_or_b32 exec_lo, exec_lo, s11
	s_delay_alu instid0(SALU_CYCLE_1)
	s_mov_b32 s11, exec_lo
	v_cmpx_gt_u32_e64 s1, v88
	s_cbranch_execnz .LBB1229_81
.LBB1229_30:                            ;   in Loop: Header=BB1229_16 Depth=2
	s_or_b32 exec_lo, exec_lo, s11
	s_delay_alu instid0(SALU_CYCLE_1)
	s_mov_b32 s11, exec_lo
	v_cmpx_gt_u32_e64 s1, v89
	s_cbranch_execz .LBB1229_82
.LBB1229_31:                            ;   in Loop: Header=BB1229_16 Depth=2
	global_load_b64 v[12:13], v133, s[8:9]
	s_or_b32 exec_lo, exec_lo, s11
	s_delay_alu instid0(SALU_CYCLE_1)
	s_mov_b32 s11, exec_lo
	v_cmpx_gt_u32_e64 s1, v90
	s_cbranch_execnz .LBB1229_83
.LBB1229_32:                            ;   in Loop: Header=BB1229_16 Depth=2
	s_or_b32 exec_lo, exec_lo, s11
	s_delay_alu instid0(SALU_CYCLE_1)
	s_mov_b32 s11, exec_lo
	v_cmpx_gt_u32_e64 s1, v91
	s_cbranch_execz .LBB1229_84
.LBB1229_33:                            ;   in Loop: Header=BB1229_16 Depth=2
	global_load_b64 v[8:9], v135, s[8:9]
	s_or_b32 exec_lo, exec_lo, s11
	s_delay_alu instid0(SALU_CYCLE_1)
	s_mov_b32 s11, exec_lo
	v_cmpx_gt_u32_e64 s1, v92
	s_cbranch_execnz .LBB1229_85
.LBB1229_34:                            ;   in Loop: Header=BB1229_16 Depth=2
	s_or_b32 exec_lo, exec_lo, s11
	s_delay_alu instid0(SALU_CYCLE_1)
	s_mov_b32 s11, exec_lo
	v_cmpx_gt_u32_e64 s1, v93
	s_cbranch_execz .LBB1229_36
.LBB1229_35:                            ;   in Loop: Header=BB1229_16 Depth=2
	v_lshlrev_b32_e32 v2, 3, v93
	global_load_b64 v[4:5], v2, s[8:9]
.LBB1229_36:                            ;   in Loop: Header=BB1229_16 Depth=2
	s_or_b32 exec_lo, exec_lo, s11
	s_delay_alu instid0(SALU_CYCLE_1)
	s_mov_b32 s12, exec_lo
                                        ; implicit-def: $sgpr11
                                        ; implicit-def: $vgpr36_vgpr37
	v_cmpx_gt_u32_e64 s1, v95
; %bb.37:                               ;   in Loop: Header=BB1229_16 Depth=2
	v_lshlrev_b32_e32 v2, 3, v95
	s_sub_i32 s11, s35, s36
	s_or_b32 s10, s10, exec_lo
                                        ; implicit-def: $vgpr34_vgpr35
	s_delay_alu instid0(VALU_DEP_1) | instskip(NEXT) | instid1(VALU_DEP_1)
	v_add_co_u32 v36, s8, s8, v2
	v_add_co_ci_u32_e64 v37, null, s9, 0, s8
; %bb.38:                               ;   in Loop: Header=BB1229_16 Depth=2
	s_or_b32 exec_lo, exec_lo, s12
	s_waitcnt vmcnt(0)
	v_dual_mov_b32 v39, v33 :: v_dual_mov_b32 v38, v32
	v_dual_mov_b32 v41, v31 :: v_dual_mov_b32 v40, v30
	;; [unrolled: 1-line block ×15, first 2 shown]
	v_mov_b32_e32 v2, s1
	s_and_saveexec_b32 s8, s10
	s_cbranch_execz .LBB1229_40
.LBB1229_39:                            ;   in Loop: Header=BB1229_16 Depth=2
	global_load_b64 v[34:35], v[36:37], off
	s_waitcnt vmcnt(1)
	v_mov_b32_e32 v4, v66
	v_mov_b32_e32 v6, v64
	;; [unrolled: 1-line block ×14, first 2 shown]
	v_dual_mov_b32 v32, v38 :: v_dual_mov_b32 v33, v39
	v_dual_mov_b32 v2, s11 :: v_dual_mov_b32 v5, v67
	v_mov_b32_e32 v7, v65
	v_mov_b32_e32 v9, v61
	;; [unrolled: 1-line block ×13, first 2 shown]
.LBB1229_40:                            ;   in Loop: Header=BB1229_16 Depth=2
	s_or_b32 exec_lo, exec_lo, s8
	s_delay_alu instid0(SALU_CYCLE_1)
	s_mov_b32 s8, exec_lo
	v_cmpx_lt_u32_e64 v1, v2
	s_cbranch_execz .LBB1229_56
; %bb.41:                               ;   in Loop: Header=BB1229_16 Depth=2
	v_cmp_lt_i64_e32 vcc_lo, -1, v[32:33]
	s_waitcnt vmcnt(14)
	v_ashrrev_i32_e32 v38, 31, v33
	v_cndmask_b32_e64 v36, -1, 0x80000000, vcc_lo
	s_delay_alu instid0(VALU_DEP_1) | instskip(NEXT) | instid1(VALU_DEP_3)
	v_xor_b32_e32 v37, v36, v33
	v_xor_b32_e32 v36, v38, v32
	s_delay_alu instid0(VALU_DEP_1) | instskip(SKIP_2) | instid1(VALU_DEP_1)
	v_cmp_ne_u64_e32 vcc_lo, s[40:41], v[36:37]
	v_cndmask_b32_e32 v37, 0x80000000, v37, vcc_lo
	v_cndmask_b32_e32 v36, 0, v36, vcc_lo
	v_lshrrev_b64 v[36:37], s43, v[36:37]
	v_lshlrev_b32_e32 v37, 2, v80
	s_delay_alu instid0(VALU_DEP_2) | instskip(NEXT) | instid1(VALU_DEP_1)
	v_and_b32_e32 v36, s51, v36
	v_lshl_or_b32 v36, v36, 4, v37
	ds_add_u32 v36, v123
	s_or_b32 exec_lo, exec_lo, s8
	s_delay_alu instid0(SALU_CYCLE_1)
	s_mov_b32 s8, exec_lo
	v_cmpx_lt_u32_e64 v77, v2
	s_cbranch_execnz .LBB1229_57
.LBB1229_42:                            ;   in Loop: Header=BB1229_16 Depth=2
	s_or_b32 exec_lo, exec_lo, s8
	s_delay_alu instid0(SALU_CYCLE_1)
	s_mov_b32 s8, exec_lo
	v_cmpx_lt_u32_e64 v78, v2
	s_cbranch_execz .LBB1229_58
.LBB1229_43:                            ;   in Loop: Header=BB1229_16 Depth=2
	v_cmp_lt_i64_e32 vcc_lo, -1, v[28:29]
	s_waitcnt vmcnt(14)
	v_ashrrev_i32_e32 v38, 31, v29
	v_cndmask_b32_e64 v36, -1, 0x80000000, vcc_lo
	s_delay_alu instid0(VALU_DEP_1) | instskip(NEXT) | instid1(VALU_DEP_3)
	v_xor_b32_e32 v37, v36, v29
	v_xor_b32_e32 v36, v38, v28
	s_delay_alu instid0(VALU_DEP_1) | instskip(SKIP_2) | instid1(VALU_DEP_1)
	v_cmp_ne_u64_e32 vcc_lo, s[40:41], v[36:37]
	v_cndmask_b32_e32 v37, 0x80000000, v37, vcc_lo
	v_cndmask_b32_e32 v36, 0, v36, vcc_lo
	v_lshrrev_b64 v[36:37], s43, v[36:37]
	v_lshlrev_b32_e32 v37, 2, v80
	s_delay_alu instid0(VALU_DEP_2) | instskip(NEXT) | instid1(VALU_DEP_1)
	v_and_b32_e32 v36, s51, v36
	v_lshl_or_b32 v36, v36, 4, v37
	ds_add_u32 v36, v123
	s_or_b32 exec_lo, exec_lo, s8
	s_delay_alu instid0(SALU_CYCLE_1)
	s_mov_b32 s8, exec_lo
	v_cmpx_lt_u32_e64 v79, v2
	s_cbranch_execnz .LBB1229_59
.LBB1229_44:                            ;   in Loop: Header=BB1229_16 Depth=2
	s_or_b32 exec_lo, exec_lo, s8
	s_delay_alu instid0(SALU_CYCLE_1)
	s_mov_b32 s8, exec_lo
	v_cmpx_lt_u32_e64 v83, v2
	s_cbranch_execz .LBB1229_60
.LBB1229_45:                            ;   in Loop: Header=BB1229_16 Depth=2
	v_cmp_lt_i64_e32 vcc_lo, -1, v[24:25]
	s_waitcnt vmcnt(14)
	v_ashrrev_i32_e32 v38, 31, v25
	v_cndmask_b32_e64 v36, -1, 0x80000000, vcc_lo
	s_delay_alu instid0(VALU_DEP_1) | instskip(NEXT) | instid1(VALU_DEP_3)
	v_xor_b32_e32 v37, v36, v25
	v_xor_b32_e32 v36, v38, v24
	s_delay_alu instid0(VALU_DEP_1) | instskip(SKIP_2) | instid1(VALU_DEP_1)
	v_cmp_ne_u64_e32 vcc_lo, s[40:41], v[36:37]
	v_cndmask_b32_e32 v37, 0x80000000, v37, vcc_lo
	v_cndmask_b32_e32 v36, 0, v36, vcc_lo
	v_lshrrev_b64 v[36:37], s43, v[36:37]
	v_lshlrev_b32_e32 v37, 2, v80
	s_delay_alu instid0(VALU_DEP_2) | instskip(NEXT) | instid1(VALU_DEP_1)
	v_and_b32_e32 v36, s51, v36
	v_lshl_or_b32 v36, v36, 4, v37
	ds_add_u32 v36, v123
	s_or_b32 exec_lo, exec_lo, s8
	s_delay_alu instid0(SALU_CYCLE_1)
	s_mov_b32 s8, exec_lo
	v_cmpx_lt_u32_e64 v84, v2
	s_cbranch_execnz .LBB1229_61
.LBB1229_46:                            ;   in Loop: Header=BB1229_16 Depth=2
	s_or_b32 exec_lo, exec_lo, s8
	s_delay_alu instid0(SALU_CYCLE_1)
	s_mov_b32 s8, exec_lo
	v_cmpx_lt_u32_e64 v85, v2
	s_cbranch_execz .LBB1229_62
.LBB1229_47:                            ;   in Loop: Header=BB1229_16 Depth=2
	v_cmp_lt_i64_e32 vcc_lo, -1, v[20:21]
	s_waitcnt vmcnt(14)
	v_ashrrev_i32_e32 v38, 31, v21
	v_cndmask_b32_e64 v36, -1, 0x80000000, vcc_lo
	s_delay_alu instid0(VALU_DEP_1) | instskip(NEXT) | instid1(VALU_DEP_3)
	v_xor_b32_e32 v37, v36, v21
	v_xor_b32_e32 v36, v38, v20
	s_delay_alu instid0(VALU_DEP_1) | instskip(SKIP_2) | instid1(VALU_DEP_1)
	v_cmp_ne_u64_e32 vcc_lo, s[40:41], v[36:37]
	v_cndmask_b32_e32 v37, 0x80000000, v37, vcc_lo
	v_cndmask_b32_e32 v36, 0, v36, vcc_lo
	v_lshrrev_b64 v[36:37], s43, v[36:37]
	v_lshlrev_b32_e32 v37, 2, v80
	s_delay_alu instid0(VALU_DEP_2) | instskip(NEXT) | instid1(VALU_DEP_1)
	v_and_b32_e32 v36, s51, v36
	v_lshl_or_b32 v36, v36, 4, v37
	ds_add_u32 v36, v123
	s_or_b32 exec_lo, exec_lo, s8
	s_delay_alu instid0(SALU_CYCLE_1)
	s_mov_b32 s8, exec_lo
	v_cmpx_lt_u32_e64 v86, v2
	s_cbranch_execnz .LBB1229_63
.LBB1229_48:                            ;   in Loop: Header=BB1229_16 Depth=2
	s_or_b32 exec_lo, exec_lo, s8
	s_delay_alu instid0(SALU_CYCLE_1)
	s_mov_b32 s8, exec_lo
	v_cmpx_lt_u32_e64 v87, v2
	s_cbranch_execz .LBB1229_64
.LBB1229_49:                            ;   in Loop: Header=BB1229_16 Depth=2
	v_cmp_lt_i64_e32 vcc_lo, -1, v[16:17]
	s_waitcnt vmcnt(14)
	v_ashrrev_i32_e32 v38, 31, v17
	v_cndmask_b32_e64 v36, -1, 0x80000000, vcc_lo
	s_delay_alu instid0(VALU_DEP_1) | instskip(NEXT) | instid1(VALU_DEP_3)
	v_xor_b32_e32 v37, v36, v17
	v_xor_b32_e32 v36, v38, v16
	s_delay_alu instid0(VALU_DEP_1) | instskip(SKIP_2) | instid1(VALU_DEP_1)
	v_cmp_ne_u64_e32 vcc_lo, s[40:41], v[36:37]
	v_cndmask_b32_e32 v37, 0x80000000, v37, vcc_lo
	v_cndmask_b32_e32 v36, 0, v36, vcc_lo
	v_lshrrev_b64 v[36:37], s43, v[36:37]
	v_lshlrev_b32_e32 v37, 2, v80
	s_delay_alu instid0(VALU_DEP_2) | instskip(NEXT) | instid1(VALU_DEP_1)
	v_and_b32_e32 v36, s51, v36
	v_lshl_or_b32 v36, v36, 4, v37
	ds_add_u32 v36, v123
	s_or_b32 exec_lo, exec_lo, s8
	s_delay_alu instid0(SALU_CYCLE_1)
	s_mov_b32 s8, exec_lo
	v_cmpx_lt_u32_e64 v88, v2
	s_cbranch_execnz .LBB1229_65
.LBB1229_50:                            ;   in Loop: Header=BB1229_16 Depth=2
	s_or_b32 exec_lo, exec_lo, s8
	s_delay_alu instid0(SALU_CYCLE_1)
	s_mov_b32 s8, exec_lo
	v_cmpx_lt_u32_e64 v89, v2
	s_cbranch_execz .LBB1229_66
.LBB1229_51:                            ;   in Loop: Header=BB1229_16 Depth=2
	v_cmp_lt_i64_e32 vcc_lo, -1, v[12:13]
	s_waitcnt vmcnt(14)
	v_ashrrev_i32_e32 v38, 31, v13
	v_cndmask_b32_e64 v36, -1, 0x80000000, vcc_lo
	s_delay_alu instid0(VALU_DEP_1) | instskip(NEXT) | instid1(VALU_DEP_3)
	v_xor_b32_e32 v37, v36, v13
	v_xor_b32_e32 v36, v38, v12
	s_delay_alu instid0(VALU_DEP_1) | instskip(SKIP_2) | instid1(VALU_DEP_1)
	v_cmp_ne_u64_e32 vcc_lo, s[40:41], v[36:37]
	v_cndmask_b32_e32 v37, 0x80000000, v37, vcc_lo
	v_cndmask_b32_e32 v36, 0, v36, vcc_lo
	v_lshrrev_b64 v[36:37], s43, v[36:37]
	v_lshlrev_b32_e32 v37, 2, v80
	s_delay_alu instid0(VALU_DEP_2) | instskip(NEXT) | instid1(VALU_DEP_1)
	v_and_b32_e32 v36, s51, v36
	v_lshl_or_b32 v36, v36, 4, v37
	ds_add_u32 v36, v123
	s_or_b32 exec_lo, exec_lo, s8
	s_delay_alu instid0(SALU_CYCLE_1)
	s_mov_b32 s8, exec_lo
	v_cmpx_lt_u32_e64 v90, v2
	s_cbranch_execnz .LBB1229_67
.LBB1229_52:                            ;   in Loop: Header=BB1229_16 Depth=2
	s_or_b32 exec_lo, exec_lo, s8
	s_delay_alu instid0(SALU_CYCLE_1)
	s_mov_b32 s8, exec_lo
	v_cmpx_lt_u32_e64 v91, v2
	s_cbranch_execz .LBB1229_68
.LBB1229_53:                            ;   in Loop: Header=BB1229_16 Depth=2
	v_cmp_lt_i64_e32 vcc_lo, -1, v[8:9]
	s_waitcnt vmcnt(14)
	v_ashrrev_i32_e32 v38, 31, v9
	v_cndmask_b32_e64 v36, -1, 0x80000000, vcc_lo
	s_delay_alu instid0(VALU_DEP_1) | instskip(NEXT) | instid1(VALU_DEP_3)
	v_xor_b32_e32 v37, v36, v9
	v_xor_b32_e32 v36, v38, v8
	s_delay_alu instid0(VALU_DEP_1) | instskip(SKIP_2) | instid1(VALU_DEP_1)
	v_cmp_ne_u64_e32 vcc_lo, s[40:41], v[36:37]
	v_cndmask_b32_e32 v37, 0x80000000, v37, vcc_lo
	v_cndmask_b32_e32 v36, 0, v36, vcc_lo
	v_lshrrev_b64 v[36:37], s43, v[36:37]
	v_lshlrev_b32_e32 v37, 2, v80
	s_delay_alu instid0(VALU_DEP_2) | instskip(NEXT) | instid1(VALU_DEP_1)
	v_and_b32_e32 v36, s51, v36
	v_lshl_or_b32 v36, v36, 4, v37
	ds_add_u32 v36, v123
	s_or_b32 exec_lo, exec_lo, s8
	s_delay_alu instid0(SALU_CYCLE_1)
	s_mov_b32 s8, exec_lo
	v_cmpx_lt_u32_e64 v92, v2
	s_cbranch_execnz .LBB1229_69
.LBB1229_54:                            ;   in Loop: Header=BB1229_16 Depth=2
	s_or_b32 exec_lo, exec_lo, s8
	s_delay_alu instid0(SALU_CYCLE_1)
	s_mov_b32 s8, exec_lo
	v_cmpx_lt_u32_e64 v93, v2
	s_cbranch_execz .LBB1229_70
.LBB1229_55:                            ;   in Loop: Header=BB1229_16 Depth=2
	v_cmp_lt_i64_e32 vcc_lo, -1, v[4:5]
	s_waitcnt vmcnt(14)
	v_ashrrev_i32_e32 v38, 31, v5
	v_cndmask_b32_e64 v36, -1, 0x80000000, vcc_lo
	s_delay_alu instid0(VALU_DEP_1) | instskip(NEXT) | instid1(VALU_DEP_3)
	v_xor_b32_e32 v37, v36, v5
	v_xor_b32_e32 v36, v38, v4
	s_delay_alu instid0(VALU_DEP_1) | instskip(SKIP_2) | instid1(VALU_DEP_1)
	v_cmp_ne_u64_e32 vcc_lo, s[40:41], v[36:37]
	v_cndmask_b32_e32 v37, 0x80000000, v37, vcc_lo
	v_cndmask_b32_e32 v36, 0, v36, vcc_lo
	v_lshrrev_b64 v[36:37], s43, v[36:37]
	v_lshlrev_b32_e32 v37, 2, v80
	s_delay_alu instid0(VALU_DEP_2) | instskip(NEXT) | instid1(VALU_DEP_1)
	v_and_b32_e32 v36, s51, v36
	v_lshl_or_b32 v36, v36, 4, v37
	ds_add_u32 v36, v123
	s_or_b32 exec_lo, exec_lo, s8
	s_delay_alu instid0(SALU_CYCLE_1)
	s_mov_b32 s8, exec_lo
	v_cmpx_lt_u32_e64 v95, v2
	s_cbranch_execz .LBB1229_15
	s_branch .LBB1229_71
.LBB1229_56:                            ;   in Loop: Header=BB1229_16 Depth=2
	s_or_b32 exec_lo, exec_lo, s8
	s_delay_alu instid0(SALU_CYCLE_1)
	s_mov_b32 s8, exec_lo
	v_cmpx_lt_u32_e64 v77, v2
	s_cbranch_execz .LBB1229_42
.LBB1229_57:                            ;   in Loop: Header=BB1229_16 Depth=2
	v_cmp_lt_i64_e32 vcc_lo, -1, v[30:31]
	s_waitcnt vmcnt(14)
	v_ashrrev_i32_e32 v38, 31, v31
	v_cndmask_b32_e64 v36, -1, 0x80000000, vcc_lo
	s_delay_alu instid0(VALU_DEP_1) | instskip(NEXT) | instid1(VALU_DEP_3)
	v_xor_b32_e32 v37, v36, v31
	v_xor_b32_e32 v36, v38, v30
	s_delay_alu instid0(VALU_DEP_1) | instskip(SKIP_2) | instid1(VALU_DEP_1)
	v_cmp_ne_u64_e32 vcc_lo, s[40:41], v[36:37]
	v_cndmask_b32_e32 v37, 0x80000000, v37, vcc_lo
	v_cndmask_b32_e32 v36, 0, v36, vcc_lo
	v_lshrrev_b64 v[36:37], s43, v[36:37]
	v_lshlrev_b32_e32 v37, 2, v80
	s_delay_alu instid0(VALU_DEP_2) | instskip(NEXT) | instid1(VALU_DEP_1)
	v_and_b32_e32 v36, s51, v36
	v_lshl_or_b32 v36, v36, 4, v37
	ds_add_u32 v36, v123
	s_or_b32 exec_lo, exec_lo, s8
	s_delay_alu instid0(SALU_CYCLE_1)
	s_mov_b32 s8, exec_lo
	v_cmpx_lt_u32_e64 v78, v2
	s_cbranch_execnz .LBB1229_43
.LBB1229_58:                            ;   in Loop: Header=BB1229_16 Depth=2
	s_or_b32 exec_lo, exec_lo, s8
	s_delay_alu instid0(SALU_CYCLE_1)
	s_mov_b32 s8, exec_lo
	v_cmpx_lt_u32_e64 v79, v2
	s_cbranch_execz .LBB1229_44
.LBB1229_59:                            ;   in Loop: Header=BB1229_16 Depth=2
	v_cmp_lt_i64_e32 vcc_lo, -1, v[26:27]
	s_waitcnt vmcnt(14)
	v_ashrrev_i32_e32 v38, 31, v27
	v_cndmask_b32_e64 v36, -1, 0x80000000, vcc_lo
	s_delay_alu instid0(VALU_DEP_1) | instskip(NEXT) | instid1(VALU_DEP_3)
	v_xor_b32_e32 v37, v36, v27
	v_xor_b32_e32 v36, v38, v26
	s_delay_alu instid0(VALU_DEP_1) | instskip(SKIP_2) | instid1(VALU_DEP_1)
	v_cmp_ne_u64_e32 vcc_lo, s[40:41], v[36:37]
	v_cndmask_b32_e32 v37, 0x80000000, v37, vcc_lo
	v_cndmask_b32_e32 v36, 0, v36, vcc_lo
	v_lshrrev_b64 v[36:37], s43, v[36:37]
	v_lshlrev_b32_e32 v37, 2, v80
	s_delay_alu instid0(VALU_DEP_2) | instskip(NEXT) | instid1(VALU_DEP_1)
	v_and_b32_e32 v36, s51, v36
	v_lshl_or_b32 v36, v36, 4, v37
	ds_add_u32 v36, v123
	s_or_b32 exec_lo, exec_lo, s8
	s_delay_alu instid0(SALU_CYCLE_1)
	s_mov_b32 s8, exec_lo
	v_cmpx_lt_u32_e64 v83, v2
	s_cbranch_execnz .LBB1229_45
.LBB1229_60:                            ;   in Loop: Header=BB1229_16 Depth=2
	s_or_b32 exec_lo, exec_lo, s8
	s_delay_alu instid0(SALU_CYCLE_1)
	s_mov_b32 s8, exec_lo
	v_cmpx_lt_u32_e64 v84, v2
	s_cbranch_execz .LBB1229_46
.LBB1229_61:                            ;   in Loop: Header=BB1229_16 Depth=2
	v_cmp_lt_i64_e32 vcc_lo, -1, v[22:23]
	s_waitcnt vmcnt(14)
	v_ashrrev_i32_e32 v38, 31, v23
	v_cndmask_b32_e64 v36, -1, 0x80000000, vcc_lo
	s_delay_alu instid0(VALU_DEP_1) | instskip(NEXT) | instid1(VALU_DEP_3)
	v_xor_b32_e32 v37, v36, v23
	v_xor_b32_e32 v36, v38, v22
	s_delay_alu instid0(VALU_DEP_1) | instskip(SKIP_2) | instid1(VALU_DEP_1)
	v_cmp_ne_u64_e32 vcc_lo, s[40:41], v[36:37]
	v_cndmask_b32_e32 v37, 0x80000000, v37, vcc_lo
	v_cndmask_b32_e32 v36, 0, v36, vcc_lo
	v_lshrrev_b64 v[36:37], s43, v[36:37]
	v_lshlrev_b32_e32 v37, 2, v80
	s_delay_alu instid0(VALU_DEP_2) | instskip(NEXT) | instid1(VALU_DEP_1)
	v_and_b32_e32 v36, s51, v36
	v_lshl_or_b32 v36, v36, 4, v37
	ds_add_u32 v36, v123
	s_or_b32 exec_lo, exec_lo, s8
	s_delay_alu instid0(SALU_CYCLE_1)
	s_mov_b32 s8, exec_lo
	v_cmpx_lt_u32_e64 v85, v2
	s_cbranch_execnz .LBB1229_47
.LBB1229_62:                            ;   in Loop: Header=BB1229_16 Depth=2
	s_or_b32 exec_lo, exec_lo, s8
	s_delay_alu instid0(SALU_CYCLE_1)
	s_mov_b32 s8, exec_lo
	v_cmpx_lt_u32_e64 v86, v2
	s_cbranch_execz .LBB1229_48
.LBB1229_63:                            ;   in Loop: Header=BB1229_16 Depth=2
	v_cmp_lt_i64_e32 vcc_lo, -1, v[18:19]
	s_waitcnt vmcnt(14)
	v_ashrrev_i32_e32 v38, 31, v19
	v_cndmask_b32_e64 v36, -1, 0x80000000, vcc_lo
	s_delay_alu instid0(VALU_DEP_1) | instskip(NEXT) | instid1(VALU_DEP_3)
	v_xor_b32_e32 v37, v36, v19
	v_xor_b32_e32 v36, v38, v18
	s_delay_alu instid0(VALU_DEP_1) | instskip(SKIP_2) | instid1(VALU_DEP_1)
	v_cmp_ne_u64_e32 vcc_lo, s[40:41], v[36:37]
	v_cndmask_b32_e32 v37, 0x80000000, v37, vcc_lo
	v_cndmask_b32_e32 v36, 0, v36, vcc_lo
	v_lshrrev_b64 v[36:37], s43, v[36:37]
	v_lshlrev_b32_e32 v37, 2, v80
	s_delay_alu instid0(VALU_DEP_2) | instskip(NEXT) | instid1(VALU_DEP_1)
	v_and_b32_e32 v36, s51, v36
	v_lshl_or_b32 v36, v36, 4, v37
	ds_add_u32 v36, v123
	s_or_b32 exec_lo, exec_lo, s8
	s_delay_alu instid0(SALU_CYCLE_1)
	s_mov_b32 s8, exec_lo
	v_cmpx_lt_u32_e64 v87, v2
	s_cbranch_execnz .LBB1229_49
.LBB1229_64:                            ;   in Loop: Header=BB1229_16 Depth=2
	s_or_b32 exec_lo, exec_lo, s8
	s_delay_alu instid0(SALU_CYCLE_1)
	s_mov_b32 s8, exec_lo
	v_cmpx_lt_u32_e64 v88, v2
	s_cbranch_execz .LBB1229_50
.LBB1229_65:                            ;   in Loop: Header=BB1229_16 Depth=2
	v_cmp_lt_i64_e32 vcc_lo, -1, v[14:15]
	s_waitcnt vmcnt(14)
	v_ashrrev_i32_e32 v38, 31, v15
	v_cndmask_b32_e64 v36, -1, 0x80000000, vcc_lo
	s_delay_alu instid0(VALU_DEP_1) | instskip(NEXT) | instid1(VALU_DEP_3)
	v_xor_b32_e32 v37, v36, v15
	v_xor_b32_e32 v36, v38, v14
	s_delay_alu instid0(VALU_DEP_1) | instskip(SKIP_2) | instid1(VALU_DEP_1)
	v_cmp_ne_u64_e32 vcc_lo, s[40:41], v[36:37]
	v_cndmask_b32_e32 v37, 0x80000000, v37, vcc_lo
	v_cndmask_b32_e32 v36, 0, v36, vcc_lo
	v_lshrrev_b64 v[36:37], s43, v[36:37]
	v_lshlrev_b32_e32 v37, 2, v80
	s_delay_alu instid0(VALU_DEP_2) | instskip(NEXT) | instid1(VALU_DEP_1)
	v_and_b32_e32 v36, s51, v36
	v_lshl_or_b32 v36, v36, 4, v37
	ds_add_u32 v36, v123
	s_or_b32 exec_lo, exec_lo, s8
	s_delay_alu instid0(SALU_CYCLE_1)
	s_mov_b32 s8, exec_lo
	v_cmpx_lt_u32_e64 v89, v2
	s_cbranch_execnz .LBB1229_51
.LBB1229_66:                            ;   in Loop: Header=BB1229_16 Depth=2
	s_or_b32 exec_lo, exec_lo, s8
	s_delay_alu instid0(SALU_CYCLE_1)
	s_mov_b32 s8, exec_lo
	v_cmpx_lt_u32_e64 v90, v2
	s_cbranch_execz .LBB1229_52
.LBB1229_67:                            ;   in Loop: Header=BB1229_16 Depth=2
	v_cmp_lt_i64_e32 vcc_lo, -1, v[10:11]
	s_waitcnt vmcnt(14)
	v_ashrrev_i32_e32 v38, 31, v11
	v_cndmask_b32_e64 v36, -1, 0x80000000, vcc_lo
	s_delay_alu instid0(VALU_DEP_1) | instskip(NEXT) | instid1(VALU_DEP_3)
	v_xor_b32_e32 v37, v36, v11
	v_xor_b32_e32 v36, v38, v10
	s_delay_alu instid0(VALU_DEP_1) | instskip(SKIP_2) | instid1(VALU_DEP_1)
	v_cmp_ne_u64_e32 vcc_lo, s[40:41], v[36:37]
	v_cndmask_b32_e32 v37, 0x80000000, v37, vcc_lo
	v_cndmask_b32_e32 v36, 0, v36, vcc_lo
	v_lshrrev_b64 v[36:37], s43, v[36:37]
	v_lshlrev_b32_e32 v37, 2, v80
	s_delay_alu instid0(VALU_DEP_2) | instskip(NEXT) | instid1(VALU_DEP_1)
	v_and_b32_e32 v36, s51, v36
	v_lshl_or_b32 v36, v36, 4, v37
	ds_add_u32 v36, v123
	s_or_b32 exec_lo, exec_lo, s8
	s_delay_alu instid0(SALU_CYCLE_1)
	s_mov_b32 s8, exec_lo
	v_cmpx_lt_u32_e64 v91, v2
	s_cbranch_execnz .LBB1229_53
.LBB1229_68:                            ;   in Loop: Header=BB1229_16 Depth=2
	s_or_b32 exec_lo, exec_lo, s8
	s_delay_alu instid0(SALU_CYCLE_1)
	s_mov_b32 s8, exec_lo
	v_cmpx_lt_u32_e64 v92, v2
	s_cbranch_execz .LBB1229_54
.LBB1229_69:                            ;   in Loop: Header=BB1229_16 Depth=2
	v_cmp_lt_i64_e32 vcc_lo, -1, v[6:7]
	s_waitcnt vmcnt(14)
	v_ashrrev_i32_e32 v38, 31, v7
	v_cndmask_b32_e64 v36, -1, 0x80000000, vcc_lo
	s_delay_alu instid0(VALU_DEP_1) | instskip(NEXT) | instid1(VALU_DEP_3)
	v_xor_b32_e32 v37, v36, v7
	v_xor_b32_e32 v36, v38, v6
	s_delay_alu instid0(VALU_DEP_1) | instskip(SKIP_2) | instid1(VALU_DEP_1)
	v_cmp_ne_u64_e32 vcc_lo, s[40:41], v[36:37]
	v_cndmask_b32_e32 v37, 0x80000000, v37, vcc_lo
	v_cndmask_b32_e32 v36, 0, v36, vcc_lo
	v_lshrrev_b64 v[36:37], s43, v[36:37]
	v_lshlrev_b32_e32 v37, 2, v80
	s_delay_alu instid0(VALU_DEP_2) | instskip(NEXT) | instid1(VALU_DEP_1)
	v_and_b32_e32 v36, s51, v36
	v_lshl_or_b32 v36, v36, 4, v37
	ds_add_u32 v36, v123
	s_or_b32 exec_lo, exec_lo, s8
	s_delay_alu instid0(SALU_CYCLE_1)
	s_mov_b32 s8, exec_lo
	v_cmpx_lt_u32_e64 v93, v2
	s_cbranch_execnz .LBB1229_55
.LBB1229_70:                            ;   in Loop: Header=BB1229_16 Depth=2
	s_or_b32 exec_lo, exec_lo, s8
	s_delay_alu instid0(SALU_CYCLE_1)
	s_mov_b32 s8, exec_lo
	v_cmpx_lt_u32_e64 v95, v2
	s_cbranch_execz .LBB1229_15
.LBB1229_71:                            ;   in Loop: Header=BB1229_16 Depth=2
	s_waitcnt vmcnt(0)
	v_cmp_lt_i64_e32 vcc_lo, -1, v[34:35]
	v_ashrrev_i32_e32 v36, 31, v35
	s_delay_alu instid0(VALU_DEP_1) | instskip(SKIP_1) | instid1(VALU_DEP_1)
	v_xor_b32_e32 v36, v36, v34
	v_cndmask_b32_e64 v2, -1, 0x80000000, vcc_lo
	v_xor_b32_e32 v37, v2, v35
	s_delay_alu instid0(VALU_DEP_1) | instskip(SKIP_2) | instid1(VALU_DEP_1)
	v_cmp_ne_u64_e32 vcc_lo, s[40:41], v[36:37]
	v_cndmask_b32_e32 v37, 0x80000000, v37, vcc_lo
	v_cndmask_b32_e32 v36, 0, v36, vcc_lo
	v_lshrrev_b64 v[36:37], s43, v[36:37]
	s_delay_alu instid0(VALU_DEP_1) | instskip(SKIP_1) | instid1(VALU_DEP_1)
	v_and_b32_e32 v2, s51, v36
	v_lshlrev_b32_e32 v36, 2, v80
	v_lshl_or_b32 v2, v2, 4, v36
	ds_add_u32 v2, v123
	s_branch .LBB1229_15
.LBB1229_72:                            ;   in Loop: Header=BB1229_16 Depth=2
	s_or_b32 exec_lo, exec_lo, s11
	s_delay_alu instid0(SALU_CYCLE_1)
	s_mov_b32 s11, exec_lo
	v_cmpx_gt_u32_e64 s1, v77
	s_cbranch_execz .LBB1229_22
.LBB1229_73:                            ;   in Loop: Header=BB1229_16 Depth=2
	global_load_b64 v[30:31], v124, s[8:9] offset:2048
	s_or_b32 exec_lo, exec_lo, s11
	s_delay_alu instid0(SALU_CYCLE_1)
	s_mov_b32 s11, exec_lo
	v_cmpx_gt_u32_e64 s1, v78
	s_cbranch_execnz .LBB1229_23
.LBB1229_74:                            ;   in Loop: Header=BB1229_16 Depth=2
	s_or_b32 exec_lo, exec_lo, s11
	s_delay_alu instid0(SALU_CYCLE_1)
	s_mov_b32 s11, exec_lo
	v_cmpx_gt_u32_e64 s1, v79
	s_cbranch_execz .LBB1229_24
.LBB1229_75:                            ;   in Loop: Header=BB1229_16 Depth=2
	global_load_b64 v[26:27], v126, s[8:9]
	s_or_b32 exec_lo, exec_lo, s11
	s_delay_alu instid0(SALU_CYCLE_1)
	s_mov_b32 s11, exec_lo
	v_cmpx_gt_u32_e64 s1, v83
	s_cbranch_execnz .LBB1229_25
.LBB1229_76:                            ;   in Loop: Header=BB1229_16 Depth=2
	s_or_b32 exec_lo, exec_lo, s11
	s_delay_alu instid0(SALU_CYCLE_1)
	s_mov_b32 s11, exec_lo
	v_cmpx_gt_u32_e64 s1, v84
	s_cbranch_execz .LBB1229_26
.LBB1229_77:                            ;   in Loop: Header=BB1229_16 Depth=2
	global_load_b64 v[22:23], v128, s[8:9]
	s_or_b32 exec_lo, exec_lo, s11
	s_delay_alu instid0(SALU_CYCLE_1)
	s_mov_b32 s11, exec_lo
	v_cmpx_gt_u32_e64 s1, v85
	s_cbranch_execnz .LBB1229_27
.LBB1229_78:                            ;   in Loop: Header=BB1229_16 Depth=2
	s_or_b32 exec_lo, exec_lo, s11
	s_delay_alu instid0(SALU_CYCLE_1)
	s_mov_b32 s11, exec_lo
	v_cmpx_gt_u32_e64 s1, v86
	s_cbranch_execz .LBB1229_28
.LBB1229_79:                            ;   in Loop: Header=BB1229_16 Depth=2
	global_load_b64 v[18:19], v130, s[8:9]
	s_or_b32 exec_lo, exec_lo, s11
	s_delay_alu instid0(SALU_CYCLE_1)
	s_mov_b32 s11, exec_lo
	v_cmpx_gt_u32_e64 s1, v87
	s_cbranch_execnz .LBB1229_29
.LBB1229_80:                            ;   in Loop: Header=BB1229_16 Depth=2
	s_or_b32 exec_lo, exec_lo, s11
	s_delay_alu instid0(SALU_CYCLE_1)
	s_mov_b32 s11, exec_lo
	v_cmpx_gt_u32_e64 s1, v88
	s_cbranch_execz .LBB1229_30
.LBB1229_81:                            ;   in Loop: Header=BB1229_16 Depth=2
	global_load_b64 v[14:15], v132, s[8:9]
	s_or_b32 exec_lo, exec_lo, s11
	s_delay_alu instid0(SALU_CYCLE_1)
	s_mov_b32 s11, exec_lo
	v_cmpx_gt_u32_e64 s1, v89
	s_cbranch_execnz .LBB1229_31
.LBB1229_82:                            ;   in Loop: Header=BB1229_16 Depth=2
	s_or_b32 exec_lo, exec_lo, s11
	s_delay_alu instid0(SALU_CYCLE_1)
	s_mov_b32 s11, exec_lo
	v_cmpx_gt_u32_e64 s1, v90
	s_cbranch_execz .LBB1229_32
.LBB1229_83:                            ;   in Loop: Header=BB1229_16 Depth=2
	global_load_b64 v[10:11], v134, s[8:9]
	s_or_b32 exec_lo, exec_lo, s11
	s_delay_alu instid0(SALU_CYCLE_1)
	s_mov_b32 s11, exec_lo
	v_cmpx_gt_u32_e64 s1, v91
	s_cbranch_execnz .LBB1229_33
.LBB1229_84:                            ;   in Loop: Header=BB1229_16 Depth=2
	s_or_b32 exec_lo, exec_lo, s11
	s_delay_alu instid0(SALU_CYCLE_1)
	s_mov_b32 s11, exec_lo
	v_cmpx_gt_u32_e64 s1, v92
	s_cbranch_execz .LBB1229_34
.LBB1229_85:                            ;   in Loop: Header=BB1229_16 Depth=2
	v_lshlrev_b32_e32 v2, 3, v92
	global_load_b64 v[6:7], v2, s[8:9]
	s_or_b32 exec_lo, exec_lo, s11
	s_delay_alu instid0(SALU_CYCLE_1)
	s_mov_b32 s11, exec_lo
	v_cmpx_gt_u32_e64 s1, v93
	s_cbranch_execz .LBB1229_36
	s_branch .LBB1229_35
.LBB1229_86:                            ;   in Loop: Header=BB1229_12 Depth=1
	v_mov_b32_e32 v2, 0
	s_waitcnt vmcnt(0) lgkmcnt(0)
	s_barrier
	buffer_gl0_inv
	s_and_saveexec_b32 s1, s2
	s_cbranch_execz .LBB1229_88
; %bb.87:                               ;   in Loop: Header=BB1229_12 Depth=1
	ds_load_2addr_b64 v[4:7], v96 offset1:1
	s_waitcnt lgkmcnt(0)
	v_add_nc_u32_e32 v2, v5, v4
	s_delay_alu instid0(VALU_DEP_1)
	v_add3_u32 v2, v2, v6, v7
.LBB1229_88:                            ;   in Loop: Header=BB1229_12 Depth=1
	s_or_b32 exec_lo, exec_lo, s1
	v_and_b32_e32 v4, 15, v136
	s_delay_alu instid0(VALU_DEP_2) | instskip(SKIP_1) | instid1(VALU_DEP_3)
	v_mov_b32_dpp v5, v2 row_shr:1 row_mask:0xf bank_mask:0xf
	v_and_b32_e32 v6, 16, v136
	v_cmp_eq_u32_e64 s1, 0, v4
	v_cmp_lt_u32_e64 s7, 1, v4
	v_cmp_lt_u32_e64 s8, 3, v4
	;; [unrolled: 1-line block ×3, first 2 shown]
	v_cmp_eq_u32_e64 s10, 0, v6
	v_cndmask_b32_e64 v5, v5, 0, s1
	s_delay_alu instid0(VALU_DEP_1) | instskip(NEXT) | instid1(VALU_DEP_1)
	v_add_nc_u32_e32 v2, v5, v2
	v_mov_b32_dpp v5, v2 row_shr:2 row_mask:0xf bank_mask:0xf
	s_delay_alu instid0(VALU_DEP_1) | instskip(NEXT) | instid1(VALU_DEP_1)
	v_cndmask_b32_e64 v5, 0, v5, s7
	v_add_nc_u32_e32 v2, v2, v5
	s_delay_alu instid0(VALU_DEP_1) | instskip(NEXT) | instid1(VALU_DEP_1)
	v_mov_b32_dpp v5, v2 row_shr:4 row_mask:0xf bank_mask:0xf
	v_cndmask_b32_e64 v5, 0, v5, s8
	s_delay_alu instid0(VALU_DEP_1) | instskip(NEXT) | instid1(VALU_DEP_1)
	v_add_nc_u32_e32 v2, v2, v5
	v_mov_b32_dpp v5, v2 row_shr:8 row_mask:0xf bank_mask:0xf
	s_delay_alu instid0(VALU_DEP_1) | instskip(SKIP_1) | instid1(VALU_DEP_2)
	v_cndmask_b32_e64 v4, 0, v5, s9
	v_bfe_i32 v5, v136, 4, 1
	v_add_nc_u32_e32 v2, v2, v4
	ds_swizzle_b32 v4, v2 offset:swizzle(BROADCAST,32,15)
	s_waitcnt lgkmcnt(0)
	v_and_b32_e32 v4, v5, v4
	s_delay_alu instid0(VALU_DEP_1)
	v_add_nc_u32_e32 v4, v2, v4
	s_and_saveexec_b32 s11, s3
	s_cbranch_execz .LBB1229_90
; %bb.89:                               ;   in Loop: Header=BB1229_12 Depth=1
	ds_store_b32 v97, v4
.LBB1229_90:                            ;   in Loop: Header=BB1229_12 Depth=1
	s_or_b32 exec_lo, exec_lo, s11
	v_and_b32_e32 v2, 7, v136
	s_waitcnt lgkmcnt(0)
	s_barrier
	buffer_gl0_inv
	s_and_saveexec_b32 s11, s4
	s_cbranch_execz .LBB1229_92
; %bb.91:                               ;   in Loop: Header=BB1229_12 Depth=1
	ds_load_b32 v5, v98
	v_cmp_ne_u32_e32 vcc_lo, 0, v2
	s_waitcnt lgkmcnt(0)
	v_mov_b32_dpp v6, v5 row_shr:1 row_mask:0xf bank_mask:0xf
	s_delay_alu instid0(VALU_DEP_1) | instskip(SKIP_1) | instid1(VALU_DEP_2)
	v_cndmask_b32_e32 v6, 0, v6, vcc_lo
	v_cmp_lt_u32_e32 vcc_lo, 1, v2
	v_add_nc_u32_e32 v5, v6, v5
	s_delay_alu instid0(VALU_DEP_1) | instskip(NEXT) | instid1(VALU_DEP_1)
	v_mov_b32_dpp v6, v5 row_shr:2 row_mask:0xf bank_mask:0xf
	v_cndmask_b32_e32 v6, 0, v6, vcc_lo
	v_cmp_lt_u32_e32 vcc_lo, 3, v2
	s_delay_alu instid0(VALU_DEP_2) | instskip(NEXT) | instid1(VALU_DEP_1)
	v_add_nc_u32_e32 v5, v5, v6
	v_mov_b32_dpp v6, v5 row_shr:4 row_mask:0xf bank_mask:0xf
	s_delay_alu instid0(VALU_DEP_1) | instskip(NEXT) | instid1(VALU_DEP_1)
	v_cndmask_b32_e32 v6, 0, v6, vcc_lo
	v_add_nc_u32_e32 v5, v5, v6
	ds_store_b32 v98, v5
.LBB1229_92:                            ;   in Loop: Header=BB1229_12 Depth=1
	s_or_b32 exec_lo, exec_lo, s11
	v_mov_b32_e32 v5, 0
	s_waitcnt lgkmcnt(0)
	s_barrier
	buffer_gl0_inv
	s_and_saveexec_b32 s11, s5
	s_cbranch_execz .LBB1229_94
; %bb.93:                               ;   in Loop: Header=BB1229_12 Depth=1
	ds_load_b32 v5, v99
.LBB1229_94:                            ;   in Loop: Header=BB1229_12 Depth=1
	s_or_b32 exec_lo, exec_lo, s11
	v_add_nc_u32_e32 v6, -1, v136
	s_waitcnt lgkmcnt(0)
	v_add_nc_u32_e32 v4, v5, v4
	v_cmp_eq_u32_e64 s11, 0, v136
	s_barrier
	v_cmp_gt_i32_e32 vcc_lo, 0, v6
	buffer_gl0_inv
	v_cndmask_b32_e32 v6, v6, v136, vcc_lo
	s_delay_alu instid0(VALU_DEP_1)
	v_lshlrev_b32_e32 v137, 2, v6
	ds_bpermute_b32 v4, v137, v4
	s_and_saveexec_b32 s12, s2
	s_cbranch_execz .LBB1229_96
; %bb.95:                               ;   in Loop: Header=BB1229_12 Depth=1
	s_waitcnt lgkmcnt(0)
	v_cndmask_b32_e64 v4, v4, v5, s11
	s_delay_alu instid0(VALU_DEP_1)
	v_add_nc_u32_e32 v4, s33, v4
	ds_store_b32 v76, v4
.LBB1229_96:                            ;   in Loop: Header=BB1229_12 Depth=1
	s_or_b32 exec_lo, exec_lo, s12
	s_clause 0x1
	s_load_b32 s12, s[38:39], 0x4
	s_load_b32 s16, s[38:39], 0xc
	v_lshlrev_b32_e32 v6, 3, v136
	v_cmp_lt_u32_e64 s14, 3, v2
	v_or_b32_e32 v138, v136, v100
	s_mov_b32 s56, s62
	s_mov_b32 s36, s33
	v_add_co_u32 v139, vcc_lo, v106, v6
	v_add_co_ci_u32_e32 v140, vcc_lo, 0, v107, vcc_lo
	v_add_co_u32 v156, vcc_lo, v108, v6
	v_add_co_ci_u32_e32 v157, vcc_lo, 0, v109, vcc_lo
	v_or_b32_e32 v141, 32, v138
	s_delay_alu instid0(VALU_DEP_3)
	v_add_co_u32 v159, vcc_lo, 0xf00, v156
	v_or_b32_e32 v142, 64, v138
	v_or_b32_e32 v143, 0x60, v138
	s_waitcnt lgkmcnt(0)
	s_cmp_lt_u32 s15, s12
	v_or_b32_e32 v144, 0x80, v138
	s_cselect_b32 s12, 14, 20
	v_or_b32_e32 v145, 0xa0, v138
	s_add_u32 s12, s38, s12
	s_addc_u32 s13, s39, 0
	s_and_b32 s16, s16, 0xffff
	global_load_u16 v4, v3, s[12:13]
	v_cmp_eq_u32_e64 s12, 0, v2
	v_cmp_lt_u32_e64 s13, 1, v2
	v_or_b32_e32 v146, 0xc0, v138
	v_or_b32_e32 v147, 0xe0, v138
	;; [unrolled: 1-line block ×10, first 2 shown]
	v_add_co_ci_u32_e32 v160, vcc_lo, 0, v157, vcc_lo
                                        ; implicit-def: $vgpr6_vgpr7
                                        ; implicit-def: $vgpr8_vgpr9
                                        ; implicit-def: $vgpr10_vgpr11
                                        ; implicit-def: $vgpr12_vgpr13
                                        ; implicit-def: $vgpr14_vgpr15
                                        ; implicit-def: $vgpr16_vgpr17
                                        ; implicit-def: $vgpr18_vgpr19
                                        ; implicit-def: $vgpr20_vgpr21
                                        ; implicit-def: $vgpr22_vgpr23
                                        ; implicit-def: $vgpr24_vgpr25
                                        ; implicit-def: $vgpr26_vgpr27
                                        ; implicit-def: $vgpr28_vgpr29
                                        ; implicit-def: $vgpr30_vgpr31
                                        ; implicit-def: $vgpr32_vgpr33
                                        ; implicit-def: $vgpr34_vgpr35
                                        ; implicit-def: $vgpr161
                                        ; implicit-def: $vgpr162
                                        ; implicit-def: $vgpr163
                                        ; implicit-def: $vgpr164
                                        ; implicit-def: $vgpr165
                                        ; implicit-def: $vgpr166
                                        ; implicit-def: $vgpr167
                                        ; implicit-def: $vgpr168
                                        ; implicit-def: $vgpr169
                                        ; implicit-def: $vgpr170
                                        ; implicit-def: $vgpr171
                                        ; implicit-def: $vgpr172
                                        ; implicit-def: $vgpr173
                                        ; implicit-def: $vgpr174
                                        ; implicit-def: $vgpr175
                                        ; implicit-def: $vgpr176
	s_waitcnt vmcnt(0)
	v_mad_u32_u24 v2, v101, v4, v0
	s_delay_alu instid0(VALU_DEP_1) | instskip(NEXT) | instid1(VALU_DEP_1)
	v_mad_u64_u32 v[4:5], null, v2, s16, v[1:2]
	v_lshrrev_b32_e32 v158, 5, v4
                                        ; implicit-def: $vgpr4_vgpr5
	s_branch .LBB1229_98
.LBB1229_97:                            ;   in Loop: Header=BB1229_98 Depth=2
	s_or_b32 exec_lo, exec_lo, s16
	s_addk_i32 s56, 0xf000
	s_cmp_lt_u32 s60, s35
	s_mov_b32 s36, s60
	s_cbranch_scc0 .LBB1229_306
.LBB1229_98:                            ;   Parent Loop BB1229_12 Depth=1
                                        ; =>  This Inner Loop Header: Depth=2
	s_add_i32 s60, s36, 0x1000
	s_delay_alu instid0(SALU_CYCLE_1)
	s_cmp_gt_u32 s60, s35
	s_cbranch_scc1 .LBB1229_100
; %bb.99:                               ;   in Loop: Header=BB1229_98 Depth=2
	s_mov_b32 s17, 0
	s_mov_b32 s16, s36
	s_delay_alu instid0(SALU_CYCLE_1) | instskip(NEXT) | instid1(SALU_CYCLE_1)
	s_lshl_b64 s[18:19], s[16:17], 3
	v_add_co_u32 v40, vcc_lo, v156, s18
	v_add_co_ci_u32_e32 v41, vcc_lo, s19, v157, vcc_lo
	s_mov_b32 s19, -1
	s_movk_i32 s18, 0x1000
	s_clause 0xe
	global_load_b64 v[36:37], v[40:41], off
	global_load_b64 v[38:39], v[40:41], off offset:256
	global_load_b64 v[44:45], v[40:41], off offset:512
	;; [unrolled: 1-line block ×14, first 2 shown]
	s_cbranch_execz .LBB1229_101
	s_branch .LBB1229_132
.LBB1229_100:                           ;   in Loop: Header=BB1229_98 Depth=2
	s_mov_b32 s17, -1
	s_mov_b32 s19, 0
                                        ; implicit-def: $sgpr18
                                        ; implicit-def: $vgpr36_vgpr37
                                        ; implicit-def: $vgpr38_vgpr39
                                        ; implicit-def: $vgpr44_vgpr45
                                        ; implicit-def: $vgpr48_vgpr49
                                        ; implicit-def: $vgpr52_vgpr53
                                        ; implicit-def: $vgpr58_vgpr59
                                        ; implicit-def: $vgpr62_vgpr63
                                        ; implicit-def: $vgpr66_vgpr67
                                        ; implicit-def: $vgpr64_vgpr65
                                        ; implicit-def: $vgpr60_vgpr61
                                        ; implicit-def: $vgpr56_vgpr57
                                        ; implicit-def: $vgpr54_vgpr55
                                        ; implicit-def: $vgpr50_vgpr51
                                        ; implicit-def: $vgpr46_vgpr47
                                        ; implicit-def: $vgpr40_vgpr41
.LBB1229_101:                           ;   in Loop: Header=BB1229_98 Depth=2
	s_lshl_b64 s[16:17], s[36:37], 3
	s_waitcnt vmcnt(14)
	v_dual_mov_b32 v36, s40 :: v_dual_mov_b32 v37, s41
	v_add_co_u32 v42, vcc_lo, v156, s16
	v_add_co_ci_u32_e32 v43, vcc_lo, s17, v157, vcc_lo
	s_mov_b32 s16, exec_lo
	v_cmpx_gt_u32_e64 s56, v138
	s_cbranch_execz .LBB1229_103
; %bb.102:                              ;   in Loop: Header=BB1229_98 Depth=2
	global_load_b64 v[36:37], v[42:43], off
.LBB1229_103:                           ;   in Loop: Header=BB1229_98 Depth=2
	s_or_b32 exec_lo, exec_lo, s16
	s_waitcnt vmcnt(13)
	v_dual_mov_b32 v38, s40 :: v_dual_mov_b32 v39, s41
	s_mov_b32 s16, exec_lo
	v_cmpx_gt_u32_e64 s56, v141
	s_cbranch_execz .LBB1229_105
; %bb.104:                              ;   in Loop: Header=BB1229_98 Depth=2
	global_load_b64 v[38:39], v[42:43], off offset:256
.LBB1229_105:                           ;   in Loop: Header=BB1229_98 Depth=2
	s_or_b32 exec_lo, exec_lo, s16
	s_waitcnt vmcnt(12)
	v_dual_mov_b32 v45, s41 :: v_dual_mov_b32 v44, s40
	s_mov_b32 s16, exec_lo
	v_cmpx_gt_u32_e64 s56, v142
	s_cbranch_execz .LBB1229_107
; %bb.106:                              ;   in Loop: Header=BB1229_98 Depth=2
	global_load_b64 v[44:45], v[42:43], off offset:512
.LBB1229_107:                           ;   in Loop: Header=BB1229_98 Depth=2
	;; [unrolled: 9-line block ×14, first 2 shown]
	s_or_b32 exec_lo, exec_lo, s16
	v_cmp_gt_u32_e64 s19, s56, v155
	s_sub_i32 s18, s35, s36
	s_mov_b64 s[16:17], s[36:37]
.LBB1229_132:                           ;   in Loop: Header=BB1229_98 Depth=2
	v_dual_mov_b32 v43, s41 :: v_dual_mov_b32 v42, s40
	v_mov_b32_e32 v177, s56
	s_and_saveexec_b32 s20, s19
	s_cbranch_execz .LBB1229_134
; %bb.133:                              ;   in Loop: Header=BB1229_98 Depth=2
	s_lshl_b64 s[16:17], s[16:17], 3
	v_mov_b32_e32 v177, s18
	v_add_co_u32 v42, vcc_lo, v159, s16
	v_add_co_ci_u32_e32 v43, vcc_lo, s17, v160, vcc_lo
	global_load_b64 v[42:43], v[42:43], off
.LBB1229_134:                           ;   in Loop: Header=BB1229_98 Depth=2
	s_or_b32 exec_lo, exec_lo, s20
	s_waitcnt vmcnt(14)
	v_cmp_lt_i64_e32 vcc_lo, -1, v[36:37]
	v_ashrrev_i32_e32 v68, 31, v37
	ds_store_b32 v102, v3 offset:1056
	ds_store_2addr_b32 v103, v3, v3 offset0:1 offset1:2
	ds_store_2addr_b32 v103, v3, v3 offset0:3 offset1:4
	;; [unrolled: 1-line block ×4, first 2 shown]
	s_waitcnt vmcnt(0) lgkmcnt(0)
	s_barrier
	v_cndmask_b32_e64 v2, -1, 0x80000000, vcc_lo
	v_xor_b32_e32 v36, v68, v36
	buffer_gl0_inv
	; wave barrier
	v_xor_b32_e32 v37, v2, v37
	s_delay_alu instid0(VALU_DEP_1) | instskip(SKIP_2) | instid1(VALU_DEP_1)
	v_cmp_ne_u64_e32 vcc_lo, s[40:41], v[36:37]
	v_cndmask_b32_e32 v69, 0x80000000, v37, vcc_lo
	v_cndmask_b32_e32 v68, 0, v36, vcc_lo
	v_lshrrev_b64 v[68:69], s43, v[68:69]
	s_delay_alu instid0(VALU_DEP_1) | instskip(NEXT) | instid1(VALU_DEP_1)
	v_and_b32_e32 v69, s51, v68
	v_lshlrev_b32_e32 v71, 28, v69
	v_and_b32_e32 v2, 1, v69
	v_lshlrev_b32_e32 v68, 30, v69
	v_lshlrev_b32_e32 v70, 29, v69
	;; [unrolled: 1-line block ×4, first 2 shown]
	v_add_co_u32 v2, s16, v2, -1
	s_delay_alu instid0(VALU_DEP_1)
	v_cndmask_b32_e64 v72, 0, 1, s16
	v_not_b32_e32 v178, v68
	v_cmp_gt_i32_e64 s16, 0, v68
	v_not_b32_e32 v68, v70
	v_lshlrev_b32_e32 v75, 25, v69
	v_cmp_ne_u32_e32 vcc_lo, 0, v72
	v_ashrrev_i32_e32 v178, 31, v178
	v_lshlrev_b32_e32 v72, 24, v69
	v_ashrrev_i32_e32 v68, 31, v68
	v_mad_u32_u24 v69, v69, 9, v158
	v_xor_b32_e32 v2, vcc_lo, v2
	v_cmp_gt_i32_e32 vcc_lo, 0, v70
	v_not_b32_e32 v70, v71
	v_xor_b32_e32 v178, s16, v178
	v_cmp_gt_i32_e64 s16, 0, v71
	v_and_b32_e32 v2, exec_lo, v2
	v_not_b32_e32 v71, v73
	v_ashrrev_i32_e32 v70, 31, v70
	v_xor_b32_e32 v68, vcc_lo, v68
	v_cmp_gt_i32_e32 vcc_lo, 0, v73
	v_and_b32_e32 v2, v2, v178
	v_not_b32_e32 v73, v74
	v_ashrrev_i32_e32 v71, 31, v71
	v_xor_b32_e32 v70, s16, v70
	v_cmp_gt_i32_e64 s16, 0, v74
	v_and_b32_e32 v2, v2, v68
	v_not_b32_e32 v68, v75
	v_ashrrev_i32_e32 v73, 31, v73
	v_xor_b32_e32 v71, vcc_lo, v71
	v_cmp_gt_i32_e32 vcc_lo, 0, v75
	v_and_b32_e32 v2, v2, v70
	v_not_b32_e32 v70, v72
	v_ashrrev_i32_e32 v68, 31, v68
	v_xor_b32_e32 v73, s16, v73
	v_cmp_gt_i32_e64 s16, 0, v72
	v_and_b32_e32 v2, v2, v71
	v_ashrrev_i32_e32 v70, 31, v70
	v_xor_b32_e32 v68, vcc_lo, v68
	v_lshl_add_u32 v178, v69, 2, 0x420
	s_delay_alu instid0(VALU_DEP_4) | instskip(NEXT) | instid1(VALU_DEP_4)
	v_and_b32_e32 v2, v2, v73
	v_xor_b32_e32 v70, s16, v70
	s_delay_alu instid0(VALU_DEP_2) | instskip(NEXT) | instid1(VALU_DEP_1)
	v_and_b32_e32 v2, v2, v68
	v_and_b32_e32 v68, v2, v70
	s_delay_alu instid0(VALU_DEP_1) | instskip(SKIP_1) | instid1(VALU_DEP_2)
	v_mbcnt_lo_u32_b32 v2, v68, 0
	v_cmp_ne_u32_e64 s16, 0, v68
	v_cmp_eq_u32_e32 vcc_lo, 0, v2
	s_delay_alu instid0(VALU_DEP_2) | instskip(NEXT) | instid1(SALU_CYCLE_1)
	s_and_b32 s17, s16, vcc_lo
	s_and_saveexec_b32 s16, s17
	s_cbranch_execz .LBB1229_136
; %bb.135:                              ;   in Loop: Header=BB1229_98 Depth=2
	v_bcnt_u32_b32 v68, v68, 0
	ds_store_b32 v178, v68
.LBB1229_136:                           ;   in Loop: Header=BB1229_98 Depth=2
	s_or_b32 exec_lo, exec_lo, s16
	v_cmp_lt_i64_e32 vcc_lo, -1, v[38:39]
	v_ashrrev_i32_e32 v69, 31, v39
	; wave barrier
	s_delay_alu instid0(VALU_DEP_1) | instskip(SKIP_1) | instid1(VALU_DEP_1)
	v_xor_b32_e32 v38, v69, v38
	v_cndmask_b32_e64 v68, -1, 0x80000000, vcc_lo
	v_xor_b32_e32 v39, v68, v39
	s_delay_alu instid0(VALU_DEP_1) | instskip(SKIP_2) | instid1(VALU_DEP_1)
	v_cmp_ne_u64_e32 vcc_lo, s[40:41], v[38:39]
	v_cndmask_b32_e32 v69, 0x80000000, v39, vcc_lo
	v_cndmask_b32_e32 v68, 0, v38, vcc_lo
	v_lshrrev_b64 v[68:69], s43, v[68:69]
	s_delay_alu instid0(VALU_DEP_1) | instskip(NEXT) | instid1(VALU_DEP_1)
	v_and_b32_e32 v68, s51, v68
	v_and_b32_e32 v69, 1, v68
	v_lshlrev_b32_e32 v70, 30, v68
	v_lshlrev_b32_e32 v71, 29, v68
	;; [unrolled: 1-line block ×4, first 2 shown]
	v_add_co_u32 v69, s16, v69, -1
	s_delay_alu instid0(VALU_DEP_1)
	v_cndmask_b32_e64 v73, 0, 1, s16
	v_not_b32_e32 v180, v70
	v_cmp_gt_i32_e64 s16, 0, v70
	v_not_b32_e32 v70, v71
	v_lshlrev_b32_e32 v75, 26, v68
	v_cmp_ne_u32_e32 vcc_lo, 0, v73
	v_ashrrev_i32_e32 v180, 31, v180
	v_lshlrev_b32_e32 v179, 25, v68
	v_ashrrev_i32_e32 v70, 31, v70
	v_lshlrev_b32_e32 v73, 24, v68
	v_xor_b32_e32 v69, vcc_lo, v69
	v_cmp_gt_i32_e32 vcc_lo, 0, v71
	v_not_b32_e32 v71, v72
	v_xor_b32_e32 v180, s16, v180
	v_cmp_gt_i32_e64 s16, 0, v72
	v_and_b32_e32 v69, exec_lo, v69
	v_not_b32_e32 v72, v74
	v_ashrrev_i32_e32 v71, 31, v71
	v_xor_b32_e32 v70, vcc_lo, v70
	v_cmp_gt_i32_e32 vcc_lo, 0, v74
	v_and_b32_e32 v69, v69, v180
	v_not_b32_e32 v74, v75
	v_ashrrev_i32_e32 v72, 31, v72
	v_xor_b32_e32 v71, s16, v71
	v_cmp_gt_i32_e64 s16, 0, v75
	v_and_b32_e32 v69, v69, v70
	v_not_b32_e32 v70, v179
	v_ashrrev_i32_e32 v74, 31, v74
	v_xor_b32_e32 v72, vcc_lo, v72
	v_cmp_gt_i32_e32 vcc_lo, 0, v179
	v_and_b32_e32 v69, v69, v71
	v_not_b32_e32 v71, v73
	v_ashrrev_i32_e32 v70, 31, v70
	v_xor_b32_e32 v74, s16, v74
	v_mul_u32_u24_e32 v68, 9, v68
	v_and_b32_e32 v69, v69, v72
	v_cmp_gt_i32_e64 s16, 0, v73
	v_ashrrev_i32_e32 v71, 31, v71
	v_xor_b32_e32 v70, vcc_lo, v70
	v_add_lshl_u32 v72, v68, v158, 2
	v_and_b32_e32 v69, v69, v74
	s_delay_alu instid0(VALU_DEP_4) | instskip(SKIP_3) | instid1(VALU_DEP_2)
	v_xor_b32_e32 v68, s16, v71
	ds_load_b32 v179, v72 offset:1056
	v_and_b32_e32 v69, v69, v70
	v_add_nc_u32_e32 v181, 0x420, v72
	; wave barrier
	v_and_b32_e32 v68, v69, v68
	s_delay_alu instid0(VALU_DEP_1) | instskip(SKIP_1) | instid1(VALU_DEP_2)
	v_mbcnt_lo_u32_b32 v180, v68, 0
	v_cmp_ne_u32_e64 s16, 0, v68
	v_cmp_eq_u32_e32 vcc_lo, 0, v180
	s_delay_alu instid0(VALU_DEP_2) | instskip(NEXT) | instid1(SALU_CYCLE_1)
	s_and_b32 s17, s16, vcc_lo
	s_and_saveexec_b32 s16, s17
	s_cbranch_execz .LBB1229_138
; %bb.137:                              ;   in Loop: Header=BB1229_98 Depth=2
	s_waitcnt lgkmcnt(0)
	v_bcnt_u32_b32 v68, v68, v179
	ds_store_b32 v181, v68
.LBB1229_138:                           ;   in Loop: Header=BB1229_98 Depth=2
	s_or_b32 exec_lo, exec_lo, s16
	v_cmp_lt_i64_e32 vcc_lo, -1, v[44:45]
	v_ashrrev_i32_e32 v69, 31, v45
	; wave barrier
	s_delay_alu instid0(VALU_DEP_1) | instskip(SKIP_1) | instid1(VALU_DEP_1)
	v_xor_b32_e32 v44, v69, v44
	v_cndmask_b32_e64 v68, -1, 0x80000000, vcc_lo
	v_xor_b32_e32 v45, v68, v45
	s_delay_alu instid0(VALU_DEP_1) | instskip(SKIP_2) | instid1(VALU_DEP_1)
	v_cmp_ne_u64_e32 vcc_lo, s[40:41], v[44:45]
	v_cndmask_b32_e32 v69, 0x80000000, v45, vcc_lo
	v_cndmask_b32_e32 v68, 0, v44, vcc_lo
	v_lshrrev_b64 v[68:69], s43, v[68:69]
	s_delay_alu instid0(VALU_DEP_1) | instskip(NEXT) | instid1(VALU_DEP_1)
	v_and_b32_e32 v68, s51, v68
	v_and_b32_e32 v69, 1, v68
	v_lshlrev_b32_e32 v70, 30, v68
	v_lshlrev_b32_e32 v71, 29, v68
	;; [unrolled: 1-line block ×4, first 2 shown]
	v_add_co_u32 v69, s16, v69, -1
	s_delay_alu instid0(VALU_DEP_1)
	v_cndmask_b32_e64 v73, 0, 1, s16
	v_not_b32_e32 v183, v70
	v_cmp_gt_i32_e64 s16, 0, v70
	v_not_b32_e32 v70, v71
	v_lshlrev_b32_e32 v75, 26, v68
	v_cmp_ne_u32_e32 vcc_lo, 0, v73
	v_ashrrev_i32_e32 v183, 31, v183
	v_lshlrev_b32_e32 v182, 25, v68
	v_ashrrev_i32_e32 v70, 31, v70
	v_lshlrev_b32_e32 v73, 24, v68
	v_xor_b32_e32 v69, vcc_lo, v69
	v_cmp_gt_i32_e32 vcc_lo, 0, v71
	v_not_b32_e32 v71, v72
	v_xor_b32_e32 v183, s16, v183
	v_cmp_gt_i32_e64 s16, 0, v72
	v_and_b32_e32 v69, exec_lo, v69
	v_not_b32_e32 v72, v74
	v_ashrrev_i32_e32 v71, 31, v71
	v_xor_b32_e32 v70, vcc_lo, v70
	v_cmp_gt_i32_e32 vcc_lo, 0, v74
	v_and_b32_e32 v69, v69, v183
	v_not_b32_e32 v74, v75
	v_ashrrev_i32_e32 v72, 31, v72
	v_xor_b32_e32 v71, s16, v71
	v_cmp_gt_i32_e64 s16, 0, v75
	v_and_b32_e32 v69, v69, v70
	v_not_b32_e32 v70, v182
	v_ashrrev_i32_e32 v74, 31, v74
	v_xor_b32_e32 v72, vcc_lo, v72
	v_cmp_gt_i32_e32 vcc_lo, 0, v182
	v_and_b32_e32 v69, v69, v71
	v_not_b32_e32 v71, v73
	v_ashrrev_i32_e32 v70, 31, v70
	v_xor_b32_e32 v74, s16, v74
	v_mul_u32_u24_e32 v68, 9, v68
	v_and_b32_e32 v69, v69, v72
	v_cmp_gt_i32_e64 s16, 0, v73
	v_ashrrev_i32_e32 v71, 31, v71
	v_xor_b32_e32 v70, vcc_lo, v70
	v_add_lshl_u32 v72, v68, v158, 2
	v_and_b32_e32 v69, v69, v74
	s_delay_alu instid0(VALU_DEP_4) | instskip(SKIP_3) | instid1(VALU_DEP_2)
	v_xor_b32_e32 v68, s16, v71
	ds_load_b32 v182, v72 offset:1056
	v_and_b32_e32 v69, v69, v70
	v_add_nc_u32_e32 v184, 0x420, v72
	; wave barrier
	v_and_b32_e32 v68, v69, v68
	s_delay_alu instid0(VALU_DEP_1) | instskip(SKIP_1) | instid1(VALU_DEP_2)
	v_mbcnt_lo_u32_b32 v183, v68, 0
	v_cmp_ne_u32_e64 s16, 0, v68
	v_cmp_eq_u32_e32 vcc_lo, 0, v183
	s_delay_alu instid0(VALU_DEP_2) | instskip(NEXT) | instid1(SALU_CYCLE_1)
	s_and_b32 s17, s16, vcc_lo
	s_and_saveexec_b32 s16, s17
	s_cbranch_execz .LBB1229_140
; %bb.139:                              ;   in Loop: Header=BB1229_98 Depth=2
	s_waitcnt lgkmcnt(0)
	v_bcnt_u32_b32 v68, v68, v182
	ds_store_b32 v184, v68
.LBB1229_140:                           ;   in Loop: Header=BB1229_98 Depth=2
	s_or_b32 exec_lo, exec_lo, s16
	v_cmp_lt_i64_e32 vcc_lo, -1, v[48:49]
	v_ashrrev_i32_e32 v69, 31, v49
	; wave barrier
	s_delay_alu instid0(VALU_DEP_1) | instskip(SKIP_1) | instid1(VALU_DEP_1)
	v_xor_b32_e32 v48, v69, v48
	v_cndmask_b32_e64 v68, -1, 0x80000000, vcc_lo
	v_xor_b32_e32 v49, v68, v49
	s_delay_alu instid0(VALU_DEP_1) | instskip(SKIP_2) | instid1(VALU_DEP_1)
	v_cmp_ne_u64_e32 vcc_lo, s[40:41], v[48:49]
	v_cndmask_b32_e32 v69, 0x80000000, v49, vcc_lo
	v_cndmask_b32_e32 v68, 0, v48, vcc_lo
	v_lshrrev_b64 v[68:69], s43, v[68:69]
	s_delay_alu instid0(VALU_DEP_1) | instskip(NEXT) | instid1(VALU_DEP_1)
	v_and_b32_e32 v68, s51, v68
	v_and_b32_e32 v69, 1, v68
	v_lshlrev_b32_e32 v70, 30, v68
	v_lshlrev_b32_e32 v71, 29, v68
	;; [unrolled: 1-line block ×4, first 2 shown]
	v_add_co_u32 v69, s16, v69, -1
	s_delay_alu instid0(VALU_DEP_1)
	v_cndmask_b32_e64 v73, 0, 1, s16
	v_not_b32_e32 v186, v70
	v_cmp_gt_i32_e64 s16, 0, v70
	v_not_b32_e32 v70, v71
	v_lshlrev_b32_e32 v75, 26, v68
	v_cmp_ne_u32_e32 vcc_lo, 0, v73
	v_ashrrev_i32_e32 v186, 31, v186
	v_lshlrev_b32_e32 v185, 25, v68
	v_ashrrev_i32_e32 v70, 31, v70
	v_lshlrev_b32_e32 v73, 24, v68
	v_xor_b32_e32 v69, vcc_lo, v69
	v_cmp_gt_i32_e32 vcc_lo, 0, v71
	v_not_b32_e32 v71, v72
	v_xor_b32_e32 v186, s16, v186
	v_cmp_gt_i32_e64 s16, 0, v72
	v_and_b32_e32 v69, exec_lo, v69
	v_not_b32_e32 v72, v74
	v_ashrrev_i32_e32 v71, 31, v71
	v_xor_b32_e32 v70, vcc_lo, v70
	v_cmp_gt_i32_e32 vcc_lo, 0, v74
	v_and_b32_e32 v69, v69, v186
	v_not_b32_e32 v74, v75
	v_ashrrev_i32_e32 v72, 31, v72
	v_xor_b32_e32 v71, s16, v71
	v_cmp_gt_i32_e64 s16, 0, v75
	v_and_b32_e32 v69, v69, v70
	v_not_b32_e32 v70, v185
	v_ashrrev_i32_e32 v74, 31, v74
	v_xor_b32_e32 v72, vcc_lo, v72
	v_cmp_gt_i32_e32 vcc_lo, 0, v185
	v_and_b32_e32 v69, v69, v71
	v_not_b32_e32 v71, v73
	v_ashrrev_i32_e32 v70, 31, v70
	v_xor_b32_e32 v74, s16, v74
	v_mul_u32_u24_e32 v68, 9, v68
	v_and_b32_e32 v69, v69, v72
	v_cmp_gt_i32_e64 s16, 0, v73
	v_ashrrev_i32_e32 v71, 31, v71
	v_xor_b32_e32 v70, vcc_lo, v70
	v_add_lshl_u32 v72, v68, v158, 2
	v_and_b32_e32 v69, v69, v74
	s_delay_alu instid0(VALU_DEP_4) | instskip(SKIP_3) | instid1(VALU_DEP_2)
	v_xor_b32_e32 v68, s16, v71
	ds_load_b32 v185, v72 offset:1056
	v_and_b32_e32 v69, v69, v70
	v_add_nc_u32_e32 v187, 0x420, v72
	; wave barrier
	v_and_b32_e32 v68, v69, v68
	s_delay_alu instid0(VALU_DEP_1) | instskip(SKIP_1) | instid1(VALU_DEP_2)
	v_mbcnt_lo_u32_b32 v186, v68, 0
	v_cmp_ne_u32_e64 s16, 0, v68
	v_cmp_eq_u32_e32 vcc_lo, 0, v186
	s_delay_alu instid0(VALU_DEP_2) | instskip(NEXT) | instid1(SALU_CYCLE_1)
	s_and_b32 s17, s16, vcc_lo
	s_and_saveexec_b32 s16, s17
	s_cbranch_execz .LBB1229_142
; %bb.141:                              ;   in Loop: Header=BB1229_98 Depth=2
	s_waitcnt lgkmcnt(0)
	v_bcnt_u32_b32 v68, v68, v185
	ds_store_b32 v187, v68
.LBB1229_142:                           ;   in Loop: Header=BB1229_98 Depth=2
	s_or_b32 exec_lo, exec_lo, s16
	v_cmp_lt_i64_e32 vcc_lo, -1, v[52:53]
	v_ashrrev_i32_e32 v69, 31, v53
	; wave barrier
	s_delay_alu instid0(VALU_DEP_1) | instskip(SKIP_1) | instid1(VALU_DEP_1)
	v_xor_b32_e32 v52, v69, v52
	v_cndmask_b32_e64 v68, -1, 0x80000000, vcc_lo
	v_xor_b32_e32 v53, v68, v53
	s_delay_alu instid0(VALU_DEP_1) | instskip(SKIP_2) | instid1(VALU_DEP_1)
	v_cmp_ne_u64_e32 vcc_lo, s[40:41], v[52:53]
	v_cndmask_b32_e32 v69, 0x80000000, v53, vcc_lo
	v_cndmask_b32_e32 v68, 0, v52, vcc_lo
	v_lshrrev_b64 v[68:69], s43, v[68:69]
	s_delay_alu instid0(VALU_DEP_1) | instskip(NEXT) | instid1(VALU_DEP_1)
	v_and_b32_e32 v68, s51, v68
	v_and_b32_e32 v69, 1, v68
	v_lshlrev_b32_e32 v70, 30, v68
	v_lshlrev_b32_e32 v71, 29, v68
	;; [unrolled: 1-line block ×4, first 2 shown]
	v_add_co_u32 v69, s16, v69, -1
	s_delay_alu instid0(VALU_DEP_1)
	v_cndmask_b32_e64 v73, 0, 1, s16
	v_not_b32_e32 v189, v70
	v_cmp_gt_i32_e64 s16, 0, v70
	v_not_b32_e32 v70, v71
	v_lshlrev_b32_e32 v75, 26, v68
	v_cmp_ne_u32_e32 vcc_lo, 0, v73
	v_ashrrev_i32_e32 v189, 31, v189
	v_lshlrev_b32_e32 v188, 25, v68
	v_ashrrev_i32_e32 v70, 31, v70
	v_lshlrev_b32_e32 v73, 24, v68
	v_xor_b32_e32 v69, vcc_lo, v69
	v_cmp_gt_i32_e32 vcc_lo, 0, v71
	v_not_b32_e32 v71, v72
	v_xor_b32_e32 v189, s16, v189
	v_cmp_gt_i32_e64 s16, 0, v72
	v_and_b32_e32 v69, exec_lo, v69
	v_not_b32_e32 v72, v74
	v_ashrrev_i32_e32 v71, 31, v71
	v_xor_b32_e32 v70, vcc_lo, v70
	v_cmp_gt_i32_e32 vcc_lo, 0, v74
	v_and_b32_e32 v69, v69, v189
	v_not_b32_e32 v74, v75
	v_ashrrev_i32_e32 v72, 31, v72
	v_xor_b32_e32 v71, s16, v71
	v_cmp_gt_i32_e64 s16, 0, v75
	v_and_b32_e32 v69, v69, v70
	v_not_b32_e32 v70, v188
	v_ashrrev_i32_e32 v74, 31, v74
	v_xor_b32_e32 v72, vcc_lo, v72
	v_cmp_gt_i32_e32 vcc_lo, 0, v188
	v_and_b32_e32 v69, v69, v71
	v_not_b32_e32 v71, v73
	v_ashrrev_i32_e32 v70, 31, v70
	v_xor_b32_e32 v74, s16, v74
	v_mul_u32_u24_e32 v68, 9, v68
	v_and_b32_e32 v69, v69, v72
	v_cmp_gt_i32_e64 s16, 0, v73
	v_ashrrev_i32_e32 v71, 31, v71
	v_xor_b32_e32 v70, vcc_lo, v70
	v_add_lshl_u32 v72, v68, v158, 2
	v_and_b32_e32 v69, v69, v74
	s_delay_alu instid0(VALU_DEP_4) | instskip(SKIP_3) | instid1(VALU_DEP_2)
	v_xor_b32_e32 v68, s16, v71
	ds_load_b32 v188, v72 offset:1056
	v_and_b32_e32 v69, v69, v70
	v_add_nc_u32_e32 v190, 0x420, v72
	; wave barrier
	v_and_b32_e32 v68, v69, v68
	s_delay_alu instid0(VALU_DEP_1) | instskip(SKIP_1) | instid1(VALU_DEP_2)
	v_mbcnt_lo_u32_b32 v189, v68, 0
	v_cmp_ne_u32_e64 s16, 0, v68
	v_cmp_eq_u32_e32 vcc_lo, 0, v189
	s_delay_alu instid0(VALU_DEP_2) | instskip(NEXT) | instid1(SALU_CYCLE_1)
	s_and_b32 s17, s16, vcc_lo
	s_and_saveexec_b32 s16, s17
	s_cbranch_execz .LBB1229_144
; %bb.143:                              ;   in Loop: Header=BB1229_98 Depth=2
	s_waitcnt lgkmcnt(0)
	v_bcnt_u32_b32 v68, v68, v188
	ds_store_b32 v190, v68
.LBB1229_144:                           ;   in Loop: Header=BB1229_98 Depth=2
	s_or_b32 exec_lo, exec_lo, s16
	v_cmp_lt_i64_e32 vcc_lo, -1, v[58:59]
	v_ashrrev_i32_e32 v69, 31, v59
	; wave barrier
	s_delay_alu instid0(VALU_DEP_1) | instskip(SKIP_1) | instid1(VALU_DEP_1)
	v_xor_b32_e32 v58, v69, v58
	v_cndmask_b32_e64 v68, -1, 0x80000000, vcc_lo
	v_xor_b32_e32 v59, v68, v59
	s_delay_alu instid0(VALU_DEP_1) | instskip(SKIP_2) | instid1(VALU_DEP_1)
	v_cmp_ne_u64_e32 vcc_lo, s[40:41], v[58:59]
	v_cndmask_b32_e32 v69, 0x80000000, v59, vcc_lo
	v_cndmask_b32_e32 v68, 0, v58, vcc_lo
	v_lshrrev_b64 v[68:69], s43, v[68:69]
	s_delay_alu instid0(VALU_DEP_1) | instskip(NEXT) | instid1(VALU_DEP_1)
	v_and_b32_e32 v68, s51, v68
	v_and_b32_e32 v69, 1, v68
	v_lshlrev_b32_e32 v70, 30, v68
	v_lshlrev_b32_e32 v71, 29, v68
	;; [unrolled: 1-line block ×4, first 2 shown]
	v_add_co_u32 v69, s16, v69, -1
	s_delay_alu instid0(VALU_DEP_1)
	v_cndmask_b32_e64 v73, 0, 1, s16
	v_not_b32_e32 v192, v70
	v_cmp_gt_i32_e64 s16, 0, v70
	v_not_b32_e32 v70, v71
	v_lshlrev_b32_e32 v75, 26, v68
	v_cmp_ne_u32_e32 vcc_lo, 0, v73
	v_ashrrev_i32_e32 v192, 31, v192
	v_lshlrev_b32_e32 v191, 25, v68
	v_ashrrev_i32_e32 v70, 31, v70
	v_lshlrev_b32_e32 v73, 24, v68
	v_xor_b32_e32 v69, vcc_lo, v69
	v_cmp_gt_i32_e32 vcc_lo, 0, v71
	v_not_b32_e32 v71, v72
	v_xor_b32_e32 v192, s16, v192
	v_cmp_gt_i32_e64 s16, 0, v72
	v_and_b32_e32 v69, exec_lo, v69
	v_not_b32_e32 v72, v74
	v_ashrrev_i32_e32 v71, 31, v71
	v_xor_b32_e32 v70, vcc_lo, v70
	v_cmp_gt_i32_e32 vcc_lo, 0, v74
	v_and_b32_e32 v69, v69, v192
	v_not_b32_e32 v74, v75
	v_ashrrev_i32_e32 v72, 31, v72
	v_xor_b32_e32 v71, s16, v71
	v_cmp_gt_i32_e64 s16, 0, v75
	v_and_b32_e32 v69, v69, v70
	v_not_b32_e32 v70, v191
	v_ashrrev_i32_e32 v74, 31, v74
	v_xor_b32_e32 v72, vcc_lo, v72
	v_cmp_gt_i32_e32 vcc_lo, 0, v191
	v_and_b32_e32 v69, v69, v71
	v_not_b32_e32 v71, v73
	v_ashrrev_i32_e32 v70, 31, v70
	v_xor_b32_e32 v74, s16, v74
	v_mul_u32_u24_e32 v68, 9, v68
	v_and_b32_e32 v69, v69, v72
	v_cmp_gt_i32_e64 s16, 0, v73
	v_ashrrev_i32_e32 v71, 31, v71
	v_xor_b32_e32 v70, vcc_lo, v70
	v_add_lshl_u32 v72, v68, v158, 2
	v_and_b32_e32 v69, v69, v74
	s_delay_alu instid0(VALU_DEP_4) | instskip(SKIP_3) | instid1(VALU_DEP_2)
	v_xor_b32_e32 v68, s16, v71
	ds_load_b32 v191, v72 offset:1056
	v_and_b32_e32 v69, v69, v70
	v_add_nc_u32_e32 v193, 0x420, v72
	; wave barrier
	v_and_b32_e32 v68, v69, v68
	s_delay_alu instid0(VALU_DEP_1) | instskip(SKIP_1) | instid1(VALU_DEP_2)
	v_mbcnt_lo_u32_b32 v192, v68, 0
	v_cmp_ne_u32_e64 s16, 0, v68
	v_cmp_eq_u32_e32 vcc_lo, 0, v192
	s_delay_alu instid0(VALU_DEP_2) | instskip(NEXT) | instid1(SALU_CYCLE_1)
	s_and_b32 s17, s16, vcc_lo
	s_and_saveexec_b32 s16, s17
	s_cbranch_execz .LBB1229_146
; %bb.145:                              ;   in Loop: Header=BB1229_98 Depth=2
	s_waitcnt lgkmcnt(0)
	v_bcnt_u32_b32 v68, v68, v191
	ds_store_b32 v193, v68
.LBB1229_146:                           ;   in Loop: Header=BB1229_98 Depth=2
	s_or_b32 exec_lo, exec_lo, s16
	v_cmp_lt_i64_e32 vcc_lo, -1, v[62:63]
	v_ashrrev_i32_e32 v69, 31, v63
	; wave barrier
	s_delay_alu instid0(VALU_DEP_1) | instskip(SKIP_1) | instid1(VALU_DEP_1)
	v_xor_b32_e32 v62, v69, v62
	v_cndmask_b32_e64 v68, -1, 0x80000000, vcc_lo
	v_xor_b32_e32 v63, v68, v63
	s_delay_alu instid0(VALU_DEP_1) | instskip(SKIP_2) | instid1(VALU_DEP_1)
	v_cmp_ne_u64_e32 vcc_lo, s[40:41], v[62:63]
	v_cndmask_b32_e32 v69, 0x80000000, v63, vcc_lo
	v_cndmask_b32_e32 v68, 0, v62, vcc_lo
	v_lshrrev_b64 v[68:69], s43, v[68:69]
	s_delay_alu instid0(VALU_DEP_1) | instskip(NEXT) | instid1(VALU_DEP_1)
	v_and_b32_e32 v68, s51, v68
	v_and_b32_e32 v69, 1, v68
	v_lshlrev_b32_e32 v70, 30, v68
	v_lshlrev_b32_e32 v71, 29, v68
	;; [unrolled: 1-line block ×4, first 2 shown]
	v_add_co_u32 v69, s16, v69, -1
	s_delay_alu instid0(VALU_DEP_1)
	v_cndmask_b32_e64 v73, 0, 1, s16
	v_not_b32_e32 v195, v70
	v_cmp_gt_i32_e64 s16, 0, v70
	v_not_b32_e32 v70, v71
	v_lshlrev_b32_e32 v75, 26, v68
	v_cmp_ne_u32_e32 vcc_lo, 0, v73
	v_ashrrev_i32_e32 v195, 31, v195
	v_lshlrev_b32_e32 v194, 25, v68
	v_ashrrev_i32_e32 v70, 31, v70
	v_lshlrev_b32_e32 v73, 24, v68
	v_xor_b32_e32 v69, vcc_lo, v69
	v_cmp_gt_i32_e32 vcc_lo, 0, v71
	v_not_b32_e32 v71, v72
	v_xor_b32_e32 v195, s16, v195
	v_cmp_gt_i32_e64 s16, 0, v72
	v_and_b32_e32 v69, exec_lo, v69
	v_not_b32_e32 v72, v74
	v_ashrrev_i32_e32 v71, 31, v71
	v_xor_b32_e32 v70, vcc_lo, v70
	v_cmp_gt_i32_e32 vcc_lo, 0, v74
	v_and_b32_e32 v69, v69, v195
	v_not_b32_e32 v74, v75
	v_ashrrev_i32_e32 v72, 31, v72
	v_xor_b32_e32 v71, s16, v71
	v_cmp_gt_i32_e64 s16, 0, v75
	v_and_b32_e32 v69, v69, v70
	v_not_b32_e32 v70, v194
	v_ashrrev_i32_e32 v74, 31, v74
	v_xor_b32_e32 v72, vcc_lo, v72
	v_cmp_gt_i32_e32 vcc_lo, 0, v194
	v_and_b32_e32 v69, v69, v71
	v_not_b32_e32 v71, v73
	v_ashrrev_i32_e32 v70, 31, v70
	v_xor_b32_e32 v74, s16, v74
	v_mul_u32_u24_e32 v68, 9, v68
	v_and_b32_e32 v69, v69, v72
	v_cmp_gt_i32_e64 s16, 0, v73
	v_ashrrev_i32_e32 v71, 31, v71
	v_xor_b32_e32 v70, vcc_lo, v70
	v_add_lshl_u32 v72, v68, v158, 2
	v_and_b32_e32 v69, v69, v74
	s_delay_alu instid0(VALU_DEP_4) | instskip(SKIP_3) | instid1(VALU_DEP_2)
	v_xor_b32_e32 v68, s16, v71
	ds_load_b32 v194, v72 offset:1056
	v_and_b32_e32 v69, v69, v70
	v_add_nc_u32_e32 v196, 0x420, v72
	; wave barrier
	v_and_b32_e32 v68, v69, v68
	s_delay_alu instid0(VALU_DEP_1) | instskip(SKIP_1) | instid1(VALU_DEP_2)
	v_mbcnt_lo_u32_b32 v195, v68, 0
	v_cmp_ne_u32_e64 s16, 0, v68
	v_cmp_eq_u32_e32 vcc_lo, 0, v195
	s_delay_alu instid0(VALU_DEP_2) | instskip(NEXT) | instid1(SALU_CYCLE_1)
	s_and_b32 s17, s16, vcc_lo
	s_and_saveexec_b32 s16, s17
	s_cbranch_execz .LBB1229_148
; %bb.147:                              ;   in Loop: Header=BB1229_98 Depth=2
	s_waitcnt lgkmcnt(0)
	v_bcnt_u32_b32 v68, v68, v194
	ds_store_b32 v196, v68
.LBB1229_148:                           ;   in Loop: Header=BB1229_98 Depth=2
	s_or_b32 exec_lo, exec_lo, s16
	v_cmp_lt_i64_e32 vcc_lo, -1, v[66:67]
	v_ashrrev_i32_e32 v69, 31, v67
	; wave barrier
	s_delay_alu instid0(VALU_DEP_1) | instskip(SKIP_1) | instid1(VALU_DEP_1)
	v_xor_b32_e32 v66, v69, v66
	v_cndmask_b32_e64 v68, -1, 0x80000000, vcc_lo
	v_xor_b32_e32 v67, v68, v67
	s_delay_alu instid0(VALU_DEP_1) | instskip(SKIP_2) | instid1(VALU_DEP_1)
	v_cmp_ne_u64_e32 vcc_lo, s[40:41], v[66:67]
	v_cndmask_b32_e32 v69, 0x80000000, v67, vcc_lo
	v_cndmask_b32_e32 v68, 0, v66, vcc_lo
	v_lshrrev_b64 v[68:69], s43, v[68:69]
	s_delay_alu instid0(VALU_DEP_1) | instskip(NEXT) | instid1(VALU_DEP_1)
	v_and_b32_e32 v68, s51, v68
	v_and_b32_e32 v69, 1, v68
	v_lshlrev_b32_e32 v70, 30, v68
	v_lshlrev_b32_e32 v71, 29, v68
	v_lshlrev_b32_e32 v72, 28, v68
	v_lshlrev_b32_e32 v74, 27, v68
	v_add_co_u32 v69, s16, v69, -1
	s_delay_alu instid0(VALU_DEP_1)
	v_cndmask_b32_e64 v73, 0, 1, s16
	v_not_b32_e32 v198, v70
	v_cmp_gt_i32_e64 s16, 0, v70
	v_not_b32_e32 v70, v71
	v_lshlrev_b32_e32 v75, 26, v68
	v_cmp_ne_u32_e32 vcc_lo, 0, v73
	v_ashrrev_i32_e32 v198, 31, v198
	v_lshlrev_b32_e32 v197, 25, v68
	v_ashrrev_i32_e32 v70, 31, v70
	v_lshlrev_b32_e32 v73, 24, v68
	v_xor_b32_e32 v69, vcc_lo, v69
	v_cmp_gt_i32_e32 vcc_lo, 0, v71
	v_not_b32_e32 v71, v72
	v_xor_b32_e32 v198, s16, v198
	v_cmp_gt_i32_e64 s16, 0, v72
	v_and_b32_e32 v69, exec_lo, v69
	v_not_b32_e32 v72, v74
	v_ashrrev_i32_e32 v71, 31, v71
	v_xor_b32_e32 v70, vcc_lo, v70
	v_cmp_gt_i32_e32 vcc_lo, 0, v74
	v_and_b32_e32 v69, v69, v198
	v_not_b32_e32 v74, v75
	v_ashrrev_i32_e32 v72, 31, v72
	v_xor_b32_e32 v71, s16, v71
	v_cmp_gt_i32_e64 s16, 0, v75
	v_and_b32_e32 v69, v69, v70
	v_not_b32_e32 v70, v197
	v_ashrrev_i32_e32 v74, 31, v74
	v_xor_b32_e32 v72, vcc_lo, v72
	v_cmp_gt_i32_e32 vcc_lo, 0, v197
	v_and_b32_e32 v69, v69, v71
	v_not_b32_e32 v71, v73
	v_ashrrev_i32_e32 v70, 31, v70
	v_xor_b32_e32 v74, s16, v74
	v_mul_u32_u24_e32 v68, 9, v68
	v_and_b32_e32 v69, v69, v72
	v_cmp_gt_i32_e64 s16, 0, v73
	v_ashrrev_i32_e32 v71, 31, v71
	v_xor_b32_e32 v70, vcc_lo, v70
	v_add_lshl_u32 v72, v68, v158, 2
	v_and_b32_e32 v69, v69, v74
	s_delay_alu instid0(VALU_DEP_4) | instskip(SKIP_3) | instid1(VALU_DEP_2)
	v_xor_b32_e32 v68, s16, v71
	ds_load_b32 v197, v72 offset:1056
	v_and_b32_e32 v69, v69, v70
	v_add_nc_u32_e32 v199, 0x420, v72
	; wave barrier
	v_and_b32_e32 v68, v69, v68
	s_delay_alu instid0(VALU_DEP_1) | instskip(SKIP_1) | instid1(VALU_DEP_2)
	v_mbcnt_lo_u32_b32 v198, v68, 0
	v_cmp_ne_u32_e64 s16, 0, v68
	v_cmp_eq_u32_e32 vcc_lo, 0, v198
	s_delay_alu instid0(VALU_DEP_2) | instskip(NEXT) | instid1(SALU_CYCLE_1)
	s_and_b32 s17, s16, vcc_lo
	s_and_saveexec_b32 s16, s17
	s_cbranch_execz .LBB1229_150
; %bb.149:                              ;   in Loop: Header=BB1229_98 Depth=2
	s_waitcnt lgkmcnt(0)
	v_bcnt_u32_b32 v68, v68, v197
	ds_store_b32 v199, v68
.LBB1229_150:                           ;   in Loop: Header=BB1229_98 Depth=2
	s_or_b32 exec_lo, exec_lo, s16
	v_cmp_lt_i64_e32 vcc_lo, -1, v[64:65]
	v_ashrrev_i32_e32 v69, 31, v65
	; wave barrier
	s_delay_alu instid0(VALU_DEP_1) | instskip(SKIP_1) | instid1(VALU_DEP_1)
	v_xor_b32_e32 v64, v69, v64
	v_cndmask_b32_e64 v68, -1, 0x80000000, vcc_lo
	v_xor_b32_e32 v65, v68, v65
	s_delay_alu instid0(VALU_DEP_1) | instskip(SKIP_2) | instid1(VALU_DEP_1)
	v_cmp_ne_u64_e32 vcc_lo, s[40:41], v[64:65]
	v_cndmask_b32_e32 v69, 0x80000000, v65, vcc_lo
	v_cndmask_b32_e32 v68, 0, v64, vcc_lo
	v_lshrrev_b64 v[68:69], s43, v[68:69]
	s_delay_alu instid0(VALU_DEP_1) | instskip(NEXT) | instid1(VALU_DEP_1)
	v_and_b32_e32 v68, s51, v68
	v_and_b32_e32 v69, 1, v68
	v_lshlrev_b32_e32 v70, 30, v68
	v_lshlrev_b32_e32 v71, 29, v68
	;; [unrolled: 1-line block ×4, first 2 shown]
	v_add_co_u32 v69, s16, v69, -1
	s_delay_alu instid0(VALU_DEP_1)
	v_cndmask_b32_e64 v73, 0, 1, s16
	v_not_b32_e32 v201, v70
	v_cmp_gt_i32_e64 s16, 0, v70
	v_not_b32_e32 v70, v71
	v_lshlrev_b32_e32 v75, 26, v68
	v_cmp_ne_u32_e32 vcc_lo, 0, v73
	v_ashrrev_i32_e32 v201, 31, v201
	v_lshlrev_b32_e32 v200, 25, v68
	v_ashrrev_i32_e32 v70, 31, v70
	v_lshlrev_b32_e32 v73, 24, v68
	v_xor_b32_e32 v69, vcc_lo, v69
	v_cmp_gt_i32_e32 vcc_lo, 0, v71
	v_not_b32_e32 v71, v72
	v_xor_b32_e32 v201, s16, v201
	v_cmp_gt_i32_e64 s16, 0, v72
	v_and_b32_e32 v69, exec_lo, v69
	v_not_b32_e32 v72, v74
	v_ashrrev_i32_e32 v71, 31, v71
	v_xor_b32_e32 v70, vcc_lo, v70
	v_cmp_gt_i32_e32 vcc_lo, 0, v74
	v_and_b32_e32 v69, v69, v201
	v_not_b32_e32 v74, v75
	v_ashrrev_i32_e32 v72, 31, v72
	v_xor_b32_e32 v71, s16, v71
	v_cmp_gt_i32_e64 s16, 0, v75
	v_and_b32_e32 v69, v69, v70
	v_not_b32_e32 v70, v200
	v_ashrrev_i32_e32 v74, 31, v74
	v_xor_b32_e32 v72, vcc_lo, v72
	v_cmp_gt_i32_e32 vcc_lo, 0, v200
	v_and_b32_e32 v69, v69, v71
	v_not_b32_e32 v71, v73
	v_ashrrev_i32_e32 v70, 31, v70
	v_xor_b32_e32 v74, s16, v74
	v_mul_u32_u24_e32 v68, 9, v68
	v_and_b32_e32 v69, v69, v72
	v_cmp_gt_i32_e64 s16, 0, v73
	v_ashrrev_i32_e32 v71, 31, v71
	v_xor_b32_e32 v70, vcc_lo, v70
	v_add_lshl_u32 v72, v68, v158, 2
	v_and_b32_e32 v69, v69, v74
	s_delay_alu instid0(VALU_DEP_4) | instskip(SKIP_3) | instid1(VALU_DEP_2)
	v_xor_b32_e32 v68, s16, v71
	ds_load_b32 v200, v72 offset:1056
	v_and_b32_e32 v69, v69, v70
	v_add_nc_u32_e32 v202, 0x420, v72
	; wave barrier
	v_and_b32_e32 v68, v69, v68
	s_delay_alu instid0(VALU_DEP_1) | instskip(SKIP_1) | instid1(VALU_DEP_2)
	v_mbcnt_lo_u32_b32 v201, v68, 0
	v_cmp_ne_u32_e64 s16, 0, v68
	v_cmp_eq_u32_e32 vcc_lo, 0, v201
	s_delay_alu instid0(VALU_DEP_2) | instskip(NEXT) | instid1(SALU_CYCLE_1)
	s_and_b32 s17, s16, vcc_lo
	s_and_saveexec_b32 s16, s17
	s_cbranch_execz .LBB1229_152
; %bb.151:                              ;   in Loop: Header=BB1229_98 Depth=2
	s_waitcnt lgkmcnt(0)
	v_bcnt_u32_b32 v68, v68, v200
	ds_store_b32 v202, v68
.LBB1229_152:                           ;   in Loop: Header=BB1229_98 Depth=2
	s_or_b32 exec_lo, exec_lo, s16
	v_cmp_lt_i64_e32 vcc_lo, -1, v[60:61]
	v_ashrrev_i32_e32 v69, 31, v61
	; wave barrier
	s_delay_alu instid0(VALU_DEP_1) | instskip(SKIP_1) | instid1(VALU_DEP_1)
	v_xor_b32_e32 v60, v69, v60
	v_cndmask_b32_e64 v68, -1, 0x80000000, vcc_lo
	v_xor_b32_e32 v61, v68, v61
	s_delay_alu instid0(VALU_DEP_1) | instskip(SKIP_2) | instid1(VALU_DEP_1)
	v_cmp_ne_u64_e32 vcc_lo, s[40:41], v[60:61]
	v_cndmask_b32_e32 v69, 0x80000000, v61, vcc_lo
	v_cndmask_b32_e32 v68, 0, v60, vcc_lo
	v_lshrrev_b64 v[68:69], s43, v[68:69]
	s_delay_alu instid0(VALU_DEP_1) | instskip(NEXT) | instid1(VALU_DEP_1)
	v_and_b32_e32 v68, s51, v68
	v_and_b32_e32 v69, 1, v68
	v_lshlrev_b32_e32 v70, 30, v68
	v_lshlrev_b32_e32 v71, 29, v68
	v_lshlrev_b32_e32 v72, 28, v68
	v_lshlrev_b32_e32 v74, 27, v68
	v_add_co_u32 v69, s16, v69, -1
	s_delay_alu instid0(VALU_DEP_1)
	v_cndmask_b32_e64 v73, 0, 1, s16
	v_not_b32_e32 v204, v70
	v_cmp_gt_i32_e64 s16, 0, v70
	v_not_b32_e32 v70, v71
	v_lshlrev_b32_e32 v75, 26, v68
	v_cmp_ne_u32_e32 vcc_lo, 0, v73
	v_ashrrev_i32_e32 v204, 31, v204
	v_lshlrev_b32_e32 v203, 25, v68
	v_ashrrev_i32_e32 v70, 31, v70
	v_lshlrev_b32_e32 v73, 24, v68
	v_xor_b32_e32 v69, vcc_lo, v69
	v_cmp_gt_i32_e32 vcc_lo, 0, v71
	v_not_b32_e32 v71, v72
	v_xor_b32_e32 v204, s16, v204
	v_cmp_gt_i32_e64 s16, 0, v72
	v_and_b32_e32 v69, exec_lo, v69
	v_not_b32_e32 v72, v74
	v_ashrrev_i32_e32 v71, 31, v71
	v_xor_b32_e32 v70, vcc_lo, v70
	v_cmp_gt_i32_e32 vcc_lo, 0, v74
	v_and_b32_e32 v69, v69, v204
	v_not_b32_e32 v74, v75
	v_ashrrev_i32_e32 v72, 31, v72
	v_xor_b32_e32 v71, s16, v71
	v_cmp_gt_i32_e64 s16, 0, v75
	v_and_b32_e32 v69, v69, v70
	v_not_b32_e32 v70, v203
	v_ashrrev_i32_e32 v74, 31, v74
	v_xor_b32_e32 v72, vcc_lo, v72
	v_cmp_gt_i32_e32 vcc_lo, 0, v203
	v_and_b32_e32 v69, v69, v71
	v_not_b32_e32 v71, v73
	v_ashrrev_i32_e32 v70, 31, v70
	v_xor_b32_e32 v74, s16, v74
	v_mul_u32_u24_e32 v68, 9, v68
	v_and_b32_e32 v69, v69, v72
	v_cmp_gt_i32_e64 s16, 0, v73
	v_ashrrev_i32_e32 v71, 31, v71
	v_xor_b32_e32 v70, vcc_lo, v70
	v_add_lshl_u32 v72, v68, v158, 2
	v_and_b32_e32 v69, v69, v74
	s_delay_alu instid0(VALU_DEP_4) | instskip(SKIP_3) | instid1(VALU_DEP_2)
	v_xor_b32_e32 v68, s16, v71
	ds_load_b32 v203, v72 offset:1056
	v_and_b32_e32 v69, v69, v70
	v_add_nc_u32_e32 v205, 0x420, v72
	; wave barrier
	v_and_b32_e32 v68, v69, v68
	s_delay_alu instid0(VALU_DEP_1) | instskip(SKIP_1) | instid1(VALU_DEP_2)
	v_mbcnt_lo_u32_b32 v204, v68, 0
	v_cmp_ne_u32_e64 s16, 0, v68
	v_cmp_eq_u32_e32 vcc_lo, 0, v204
	s_delay_alu instid0(VALU_DEP_2) | instskip(NEXT) | instid1(SALU_CYCLE_1)
	s_and_b32 s17, s16, vcc_lo
	s_and_saveexec_b32 s16, s17
	s_cbranch_execz .LBB1229_154
; %bb.153:                              ;   in Loop: Header=BB1229_98 Depth=2
	s_waitcnt lgkmcnt(0)
	v_bcnt_u32_b32 v68, v68, v203
	ds_store_b32 v205, v68
.LBB1229_154:                           ;   in Loop: Header=BB1229_98 Depth=2
	s_or_b32 exec_lo, exec_lo, s16
	v_cmp_lt_i64_e32 vcc_lo, -1, v[56:57]
	v_ashrrev_i32_e32 v69, 31, v57
	; wave barrier
	s_delay_alu instid0(VALU_DEP_1) | instskip(SKIP_1) | instid1(VALU_DEP_1)
	v_xor_b32_e32 v56, v69, v56
	v_cndmask_b32_e64 v68, -1, 0x80000000, vcc_lo
	v_xor_b32_e32 v57, v68, v57
	s_delay_alu instid0(VALU_DEP_1) | instskip(SKIP_2) | instid1(VALU_DEP_1)
	v_cmp_ne_u64_e32 vcc_lo, s[40:41], v[56:57]
	v_cndmask_b32_e32 v69, 0x80000000, v57, vcc_lo
	v_cndmask_b32_e32 v68, 0, v56, vcc_lo
	v_lshrrev_b64 v[68:69], s43, v[68:69]
	s_delay_alu instid0(VALU_DEP_1) | instskip(NEXT) | instid1(VALU_DEP_1)
	v_and_b32_e32 v68, s51, v68
	v_and_b32_e32 v69, 1, v68
	v_lshlrev_b32_e32 v70, 30, v68
	v_lshlrev_b32_e32 v71, 29, v68
	v_lshlrev_b32_e32 v72, 28, v68
	v_lshlrev_b32_e32 v74, 27, v68
	v_add_co_u32 v69, s16, v69, -1
	s_delay_alu instid0(VALU_DEP_1)
	v_cndmask_b32_e64 v73, 0, 1, s16
	v_not_b32_e32 v207, v70
	v_cmp_gt_i32_e64 s16, 0, v70
	v_not_b32_e32 v70, v71
	v_lshlrev_b32_e32 v75, 26, v68
	v_cmp_ne_u32_e32 vcc_lo, 0, v73
	v_ashrrev_i32_e32 v207, 31, v207
	v_lshlrev_b32_e32 v206, 25, v68
	v_ashrrev_i32_e32 v70, 31, v70
	v_lshlrev_b32_e32 v73, 24, v68
	v_xor_b32_e32 v69, vcc_lo, v69
	v_cmp_gt_i32_e32 vcc_lo, 0, v71
	v_not_b32_e32 v71, v72
	v_xor_b32_e32 v207, s16, v207
	v_cmp_gt_i32_e64 s16, 0, v72
	v_and_b32_e32 v69, exec_lo, v69
	v_not_b32_e32 v72, v74
	v_ashrrev_i32_e32 v71, 31, v71
	v_xor_b32_e32 v70, vcc_lo, v70
	v_cmp_gt_i32_e32 vcc_lo, 0, v74
	v_and_b32_e32 v69, v69, v207
	v_not_b32_e32 v74, v75
	v_ashrrev_i32_e32 v72, 31, v72
	v_xor_b32_e32 v71, s16, v71
	v_cmp_gt_i32_e64 s16, 0, v75
	v_and_b32_e32 v69, v69, v70
	v_not_b32_e32 v70, v206
	v_ashrrev_i32_e32 v74, 31, v74
	v_xor_b32_e32 v72, vcc_lo, v72
	v_cmp_gt_i32_e32 vcc_lo, 0, v206
	v_and_b32_e32 v69, v69, v71
	v_not_b32_e32 v71, v73
	v_ashrrev_i32_e32 v70, 31, v70
	v_xor_b32_e32 v74, s16, v74
	v_mul_u32_u24_e32 v68, 9, v68
	v_and_b32_e32 v69, v69, v72
	v_cmp_gt_i32_e64 s16, 0, v73
	v_ashrrev_i32_e32 v71, 31, v71
	v_xor_b32_e32 v70, vcc_lo, v70
	v_add_lshl_u32 v72, v68, v158, 2
	v_and_b32_e32 v69, v69, v74
	s_delay_alu instid0(VALU_DEP_4) | instskip(SKIP_3) | instid1(VALU_DEP_2)
	v_xor_b32_e32 v68, s16, v71
	ds_load_b32 v206, v72 offset:1056
	v_and_b32_e32 v69, v69, v70
	v_add_nc_u32_e32 v208, 0x420, v72
	; wave barrier
	v_and_b32_e32 v68, v69, v68
	s_delay_alu instid0(VALU_DEP_1) | instskip(SKIP_1) | instid1(VALU_DEP_2)
	v_mbcnt_lo_u32_b32 v207, v68, 0
	v_cmp_ne_u32_e64 s16, 0, v68
	v_cmp_eq_u32_e32 vcc_lo, 0, v207
	s_delay_alu instid0(VALU_DEP_2) | instskip(NEXT) | instid1(SALU_CYCLE_1)
	s_and_b32 s17, s16, vcc_lo
	s_and_saveexec_b32 s16, s17
	s_cbranch_execz .LBB1229_156
; %bb.155:                              ;   in Loop: Header=BB1229_98 Depth=2
	s_waitcnt lgkmcnt(0)
	v_bcnt_u32_b32 v68, v68, v206
	ds_store_b32 v208, v68
.LBB1229_156:                           ;   in Loop: Header=BB1229_98 Depth=2
	s_or_b32 exec_lo, exec_lo, s16
	v_cmp_lt_i64_e32 vcc_lo, -1, v[54:55]
	v_ashrrev_i32_e32 v69, 31, v55
	; wave barrier
	s_delay_alu instid0(VALU_DEP_1) | instskip(SKIP_1) | instid1(VALU_DEP_1)
	v_xor_b32_e32 v54, v69, v54
	v_cndmask_b32_e64 v68, -1, 0x80000000, vcc_lo
	v_xor_b32_e32 v55, v68, v55
	s_delay_alu instid0(VALU_DEP_1) | instskip(SKIP_2) | instid1(VALU_DEP_1)
	v_cmp_ne_u64_e32 vcc_lo, s[40:41], v[54:55]
	v_cndmask_b32_e32 v69, 0x80000000, v55, vcc_lo
	v_cndmask_b32_e32 v68, 0, v54, vcc_lo
	v_lshrrev_b64 v[68:69], s43, v[68:69]
	s_delay_alu instid0(VALU_DEP_1) | instskip(NEXT) | instid1(VALU_DEP_1)
	v_and_b32_e32 v68, s51, v68
	v_and_b32_e32 v69, 1, v68
	v_lshlrev_b32_e32 v70, 30, v68
	v_lshlrev_b32_e32 v71, 29, v68
	v_lshlrev_b32_e32 v72, 28, v68
	v_lshlrev_b32_e32 v74, 27, v68
	v_add_co_u32 v69, s16, v69, -1
	s_delay_alu instid0(VALU_DEP_1)
	v_cndmask_b32_e64 v73, 0, 1, s16
	v_not_b32_e32 v210, v70
	v_cmp_gt_i32_e64 s16, 0, v70
	v_not_b32_e32 v70, v71
	v_lshlrev_b32_e32 v75, 26, v68
	v_cmp_ne_u32_e32 vcc_lo, 0, v73
	v_ashrrev_i32_e32 v210, 31, v210
	v_lshlrev_b32_e32 v209, 25, v68
	v_ashrrev_i32_e32 v70, 31, v70
	v_lshlrev_b32_e32 v73, 24, v68
	v_xor_b32_e32 v69, vcc_lo, v69
	v_cmp_gt_i32_e32 vcc_lo, 0, v71
	v_not_b32_e32 v71, v72
	v_xor_b32_e32 v210, s16, v210
	v_cmp_gt_i32_e64 s16, 0, v72
	v_and_b32_e32 v69, exec_lo, v69
	v_not_b32_e32 v72, v74
	v_ashrrev_i32_e32 v71, 31, v71
	v_xor_b32_e32 v70, vcc_lo, v70
	v_cmp_gt_i32_e32 vcc_lo, 0, v74
	v_and_b32_e32 v69, v69, v210
	v_not_b32_e32 v74, v75
	v_ashrrev_i32_e32 v72, 31, v72
	v_xor_b32_e32 v71, s16, v71
	v_cmp_gt_i32_e64 s16, 0, v75
	v_and_b32_e32 v69, v69, v70
	v_not_b32_e32 v70, v209
	v_ashrrev_i32_e32 v74, 31, v74
	v_xor_b32_e32 v72, vcc_lo, v72
	v_cmp_gt_i32_e32 vcc_lo, 0, v209
	v_and_b32_e32 v69, v69, v71
	v_not_b32_e32 v71, v73
	v_ashrrev_i32_e32 v70, 31, v70
	v_xor_b32_e32 v74, s16, v74
	v_mul_u32_u24_e32 v68, 9, v68
	v_and_b32_e32 v69, v69, v72
	v_cmp_gt_i32_e64 s16, 0, v73
	v_ashrrev_i32_e32 v71, 31, v71
	v_xor_b32_e32 v70, vcc_lo, v70
	v_add_lshl_u32 v72, v68, v158, 2
	v_and_b32_e32 v69, v69, v74
	s_delay_alu instid0(VALU_DEP_4) | instskip(SKIP_3) | instid1(VALU_DEP_2)
	v_xor_b32_e32 v68, s16, v71
	ds_load_b32 v209, v72 offset:1056
	v_and_b32_e32 v69, v69, v70
	v_add_nc_u32_e32 v211, 0x420, v72
	; wave barrier
	v_and_b32_e32 v68, v69, v68
	s_delay_alu instid0(VALU_DEP_1) | instskip(SKIP_1) | instid1(VALU_DEP_2)
	v_mbcnt_lo_u32_b32 v210, v68, 0
	v_cmp_ne_u32_e64 s16, 0, v68
	v_cmp_eq_u32_e32 vcc_lo, 0, v210
	s_delay_alu instid0(VALU_DEP_2) | instskip(NEXT) | instid1(SALU_CYCLE_1)
	s_and_b32 s17, s16, vcc_lo
	s_and_saveexec_b32 s16, s17
	s_cbranch_execz .LBB1229_158
; %bb.157:                              ;   in Loop: Header=BB1229_98 Depth=2
	s_waitcnt lgkmcnt(0)
	v_bcnt_u32_b32 v68, v68, v209
	ds_store_b32 v211, v68
.LBB1229_158:                           ;   in Loop: Header=BB1229_98 Depth=2
	s_or_b32 exec_lo, exec_lo, s16
	v_cmp_lt_i64_e32 vcc_lo, -1, v[50:51]
	v_ashrrev_i32_e32 v69, 31, v51
	; wave barrier
	s_delay_alu instid0(VALU_DEP_1) | instskip(SKIP_1) | instid1(VALU_DEP_1)
	v_xor_b32_e32 v50, v69, v50
	v_cndmask_b32_e64 v68, -1, 0x80000000, vcc_lo
	v_xor_b32_e32 v51, v68, v51
	s_delay_alu instid0(VALU_DEP_1) | instskip(SKIP_2) | instid1(VALU_DEP_1)
	v_cmp_ne_u64_e32 vcc_lo, s[40:41], v[50:51]
	v_cndmask_b32_e32 v69, 0x80000000, v51, vcc_lo
	v_cndmask_b32_e32 v68, 0, v50, vcc_lo
	v_lshrrev_b64 v[68:69], s43, v[68:69]
	s_delay_alu instid0(VALU_DEP_1) | instskip(NEXT) | instid1(VALU_DEP_1)
	v_and_b32_e32 v68, s51, v68
	v_and_b32_e32 v69, 1, v68
	v_lshlrev_b32_e32 v70, 30, v68
	v_lshlrev_b32_e32 v71, 29, v68
	;; [unrolled: 1-line block ×4, first 2 shown]
	v_add_co_u32 v69, s16, v69, -1
	s_delay_alu instid0(VALU_DEP_1)
	v_cndmask_b32_e64 v73, 0, 1, s16
	v_not_b32_e32 v213, v70
	v_cmp_gt_i32_e64 s16, 0, v70
	v_not_b32_e32 v70, v71
	v_lshlrev_b32_e32 v75, 26, v68
	v_cmp_ne_u32_e32 vcc_lo, 0, v73
	v_ashrrev_i32_e32 v213, 31, v213
	v_lshlrev_b32_e32 v212, 25, v68
	v_ashrrev_i32_e32 v70, 31, v70
	v_lshlrev_b32_e32 v73, 24, v68
	v_xor_b32_e32 v69, vcc_lo, v69
	v_cmp_gt_i32_e32 vcc_lo, 0, v71
	v_not_b32_e32 v71, v72
	v_xor_b32_e32 v213, s16, v213
	v_cmp_gt_i32_e64 s16, 0, v72
	v_and_b32_e32 v69, exec_lo, v69
	v_not_b32_e32 v72, v74
	v_ashrrev_i32_e32 v71, 31, v71
	v_xor_b32_e32 v70, vcc_lo, v70
	v_cmp_gt_i32_e32 vcc_lo, 0, v74
	v_and_b32_e32 v69, v69, v213
	v_not_b32_e32 v74, v75
	v_ashrrev_i32_e32 v72, 31, v72
	v_xor_b32_e32 v71, s16, v71
	v_cmp_gt_i32_e64 s16, 0, v75
	v_and_b32_e32 v69, v69, v70
	v_not_b32_e32 v70, v212
	v_ashrrev_i32_e32 v74, 31, v74
	v_xor_b32_e32 v72, vcc_lo, v72
	v_cmp_gt_i32_e32 vcc_lo, 0, v212
	v_and_b32_e32 v69, v69, v71
	v_not_b32_e32 v71, v73
	v_ashrrev_i32_e32 v70, 31, v70
	v_xor_b32_e32 v74, s16, v74
	v_mul_u32_u24_e32 v68, 9, v68
	v_and_b32_e32 v69, v69, v72
	v_cmp_gt_i32_e64 s16, 0, v73
	v_ashrrev_i32_e32 v71, 31, v71
	v_xor_b32_e32 v70, vcc_lo, v70
	v_add_lshl_u32 v72, v68, v158, 2
	v_and_b32_e32 v69, v69, v74
	s_delay_alu instid0(VALU_DEP_4) | instskip(SKIP_3) | instid1(VALU_DEP_2)
	v_xor_b32_e32 v68, s16, v71
	ds_load_b32 v212, v72 offset:1056
	v_and_b32_e32 v69, v69, v70
	v_add_nc_u32_e32 v214, 0x420, v72
	; wave barrier
	v_and_b32_e32 v68, v69, v68
	s_delay_alu instid0(VALU_DEP_1) | instskip(SKIP_1) | instid1(VALU_DEP_2)
	v_mbcnt_lo_u32_b32 v213, v68, 0
	v_cmp_ne_u32_e64 s16, 0, v68
	v_cmp_eq_u32_e32 vcc_lo, 0, v213
	s_delay_alu instid0(VALU_DEP_2) | instskip(NEXT) | instid1(SALU_CYCLE_1)
	s_and_b32 s17, s16, vcc_lo
	s_and_saveexec_b32 s16, s17
	s_cbranch_execz .LBB1229_160
; %bb.159:                              ;   in Loop: Header=BB1229_98 Depth=2
	s_waitcnt lgkmcnt(0)
	v_bcnt_u32_b32 v68, v68, v212
	ds_store_b32 v214, v68
.LBB1229_160:                           ;   in Loop: Header=BB1229_98 Depth=2
	s_or_b32 exec_lo, exec_lo, s16
	v_cmp_lt_i64_e32 vcc_lo, -1, v[46:47]
	v_ashrrev_i32_e32 v69, 31, v47
	; wave barrier
	s_delay_alu instid0(VALU_DEP_1) | instskip(SKIP_1) | instid1(VALU_DEP_1)
	v_xor_b32_e32 v46, v69, v46
	v_cndmask_b32_e64 v68, -1, 0x80000000, vcc_lo
	v_xor_b32_e32 v47, v68, v47
	s_delay_alu instid0(VALU_DEP_1) | instskip(SKIP_2) | instid1(VALU_DEP_1)
	v_cmp_ne_u64_e32 vcc_lo, s[40:41], v[46:47]
	v_cndmask_b32_e32 v69, 0x80000000, v47, vcc_lo
	v_cndmask_b32_e32 v68, 0, v46, vcc_lo
	v_lshrrev_b64 v[68:69], s43, v[68:69]
	s_delay_alu instid0(VALU_DEP_1) | instskip(NEXT) | instid1(VALU_DEP_1)
	v_and_b32_e32 v68, s51, v68
	v_and_b32_e32 v69, 1, v68
	v_lshlrev_b32_e32 v70, 30, v68
	v_lshlrev_b32_e32 v71, 29, v68
	;; [unrolled: 1-line block ×4, first 2 shown]
	v_add_co_u32 v69, s16, v69, -1
	s_delay_alu instid0(VALU_DEP_1)
	v_cndmask_b32_e64 v73, 0, 1, s16
	v_not_b32_e32 v216, v70
	v_cmp_gt_i32_e64 s16, 0, v70
	v_not_b32_e32 v70, v71
	v_lshlrev_b32_e32 v75, 26, v68
	v_cmp_ne_u32_e32 vcc_lo, 0, v73
	v_ashrrev_i32_e32 v216, 31, v216
	v_lshlrev_b32_e32 v215, 25, v68
	v_ashrrev_i32_e32 v70, 31, v70
	v_lshlrev_b32_e32 v73, 24, v68
	v_xor_b32_e32 v69, vcc_lo, v69
	v_cmp_gt_i32_e32 vcc_lo, 0, v71
	v_not_b32_e32 v71, v72
	v_xor_b32_e32 v216, s16, v216
	v_cmp_gt_i32_e64 s16, 0, v72
	v_and_b32_e32 v69, exec_lo, v69
	v_not_b32_e32 v72, v74
	v_ashrrev_i32_e32 v71, 31, v71
	v_xor_b32_e32 v70, vcc_lo, v70
	v_cmp_gt_i32_e32 vcc_lo, 0, v74
	v_and_b32_e32 v69, v69, v216
	v_not_b32_e32 v74, v75
	v_ashrrev_i32_e32 v72, 31, v72
	v_xor_b32_e32 v71, s16, v71
	v_cmp_gt_i32_e64 s16, 0, v75
	v_and_b32_e32 v69, v69, v70
	v_not_b32_e32 v70, v215
	v_ashrrev_i32_e32 v74, 31, v74
	v_xor_b32_e32 v72, vcc_lo, v72
	v_cmp_gt_i32_e32 vcc_lo, 0, v215
	v_and_b32_e32 v69, v69, v71
	v_not_b32_e32 v71, v73
	v_ashrrev_i32_e32 v70, 31, v70
	v_xor_b32_e32 v74, s16, v74
	v_mul_u32_u24_e32 v68, 9, v68
	v_and_b32_e32 v69, v69, v72
	v_cmp_gt_i32_e64 s16, 0, v73
	v_ashrrev_i32_e32 v71, 31, v71
	v_xor_b32_e32 v70, vcc_lo, v70
	v_add_lshl_u32 v72, v68, v158, 2
	v_and_b32_e32 v69, v69, v74
	s_delay_alu instid0(VALU_DEP_4) | instskip(SKIP_3) | instid1(VALU_DEP_2)
	v_xor_b32_e32 v68, s16, v71
	ds_load_b32 v215, v72 offset:1056
	v_and_b32_e32 v69, v69, v70
	v_add_nc_u32_e32 v217, 0x420, v72
	; wave barrier
	v_and_b32_e32 v68, v69, v68
	s_delay_alu instid0(VALU_DEP_1) | instskip(SKIP_1) | instid1(VALU_DEP_2)
	v_mbcnt_lo_u32_b32 v216, v68, 0
	v_cmp_ne_u32_e64 s16, 0, v68
	v_cmp_eq_u32_e32 vcc_lo, 0, v216
	s_delay_alu instid0(VALU_DEP_2) | instskip(NEXT) | instid1(SALU_CYCLE_1)
	s_and_b32 s17, s16, vcc_lo
	s_and_saveexec_b32 s16, s17
	s_cbranch_execz .LBB1229_162
; %bb.161:                              ;   in Loop: Header=BB1229_98 Depth=2
	s_waitcnt lgkmcnt(0)
	v_bcnt_u32_b32 v68, v68, v215
	ds_store_b32 v217, v68
.LBB1229_162:                           ;   in Loop: Header=BB1229_98 Depth=2
	s_or_b32 exec_lo, exec_lo, s16
	v_cmp_lt_i64_e32 vcc_lo, -1, v[40:41]
	v_ashrrev_i32_e32 v69, 31, v41
	; wave barrier
	s_delay_alu instid0(VALU_DEP_1) | instskip(SKIP_1) | instid1(VALU_DEP_1)
	v_xor_b32_e32 v40, v69, v40
	v_cndmask_b32_e64 v68, -1, 0x80000000, vcc_lo
	v_xor_b32_e32 v41, v68, v41
	s_delay_alu instid0(VALU_DEP_1) | instskip(SKIP_2) | instid1(VALU_DEP_1)
	v_cmp_ne_u64_e32 vcc_lo, s[40:41], v[40:41]
	v_cndmask_b32_e32 v69, 0x80000000, v41, vcc_lo
	v_cndmask_b32_e32 v68, 0, v40, vcc_lo
	v_lshrrev_b64 v[68:69], s43, v[68:69]
	s_delay_alu instid0(VALU_DEP_1) | instskip(NEXT) | instid1(VALU_DEP_1)
	v_and_b32_e32 v68, s51, v68
	v_and_b32_e32 v69, 1, v68
	v_lshlrev_b32_e32 v70, 30, v68
	v_lshlrev_b32_e32 v71, 29, v68
	;; [unrolled: 1-line block ×4, first 2 shown]
	v_add_co_u32 v69, s16, v69, -1
	s_delay_alu instid0(VALU_DEP_1)
	v_cndmask_b32_e64 v73, 0, 1, s16
	v_not_b32_e32 v219, v70
	v_cmp_gt_i32_e64 s16, 0, v70
	v_not_b32_e32 v70, v71
	v_lshlrev_b32_e32 v75, 26, v68
	v_cmp_ne_u32_e32 vcc_lo, 0, v73
	v_ashrrev_i32_e32 v219, 31, v219
	v_lshlrev_b32_e32 v218, 25, v68
	v_ashrrev_i32_e32 v70, 31, v70
	v_lshlrev_b32_e32 v73, 24, v68
	v_xor_b32_e32 v69, vcc_lo, v69
	v_cmp_gt_i32_e32 vcc_lo, 0, v71
	v_not_b32_e32 v71, v72
	v_xor_b32_e32 v219, s16, v219
	v_cmp_gt_i32_e64 s16, 0, v72
	v_and_b32_e32 v69, exec_lo, v69
	v_not_b32_e32 v72, v74
	v_ashrrev_i32_e32 v71, 31, v71
	v_xor_b32_e32 v70, vcc_lo, v70
	v_cmp_gt_i32_e32 vcc_lo, 0, v74
	v_and_b32_e32 v69, v69, v219
	v_not_b32_e32 v74, v75
	v_ashrrev_i32_e32 v72, 31, v72
	v_xor_b32_e32 v71, s16, v71
	v_cmp_gt_i32_e64 s16, 0, v75
	v_and_b32_e32 v69, v69, v70
	v_not_b32_e32 v70, v218
	v_ashrrev_i32_e32 v74, 31, v74
	v_xor_b32_e32 v72, vcc_lo, v72
	v_cmp_gt_i32_e32 vcc_lo, 0, v218
	v_and_b32_e32 v69, v69, v71
	v_not_b32_e32 v71, v73
	v_ashrrev_i32_e32 v70, 31, v70
	v_xor_b32_e32 v74, s16, v74
	v_mul_u32_u24_e32 v68, 9, v68
	v_and_b32_e32 v69, v69, v72
	v_cmp_gt_i32_e64 s16, 0, v73
	v_ashrrev_i32_e32 v71, 31, v71
	v_xor_b32_e32 v70, vcc_lo, v70
	v_add_lshl_u32 v72, v68, v158, 2
	v_and_b32_e32 v69, v69, v74
	s_delay_alu instid0(VALU_DEP_4) | instskip(SKIP_3) | instid1(VALU_DEP_2)
	v_xor_b32_e32 v68, s16, v71
	ds_load_b32 v218, v72 offset:1056
	v_and_b32_e32 v69, v69, v70
	v_add_nc_u32_e32 v220, 0x420, v72
	; wave barrier
	v_and_b32_e32 v68, v69, v68
	s_delay_alu instid0(VALU_DEP_1) | instskip(SKIP_1) | instid1(VALU_DEP_2)
	v_mbcnt_lo_u32_b32 v219, v68, 0
	v_cmp_ne_u32_e64 s16, 0, v68
	v_cmp_eq_u32_e32 vcc_lo, 0, v219
	s_delay_alu instid0(VALU_DEP_2) | instskip(NEXT) | instid1(SALU_CYCLE_1)
	s_and_b32 s17, s16, vcc_lo
	s_and_saveexec_b32 s16, s17
	s_cbranch_execz .LBB1229_164
; %bb.163:                              ;   in Loop: Header=BB1229_98 Depth=2
	s_waitcnt lgkmcnt(0)
	v_bcnt_u32_b32 v68, v68, v218
	ds_store_b32 v220, v68
.LBB1229_164:                           ;   in Loop: Header=BB1229_98 Depth=2
	s_or_b32 exec_lo, exec_lo, s16
	v_cmp_lt_i64_e32 vcc_lo, -1, v[42:43]
	v_ashrrev_i32_e32 v69, 31, v43
	; wave barrier
	s_delay_alu instid0(VALU_DEP_1) | instskip(SKIP_1) | instid1(VALU_DEP_1)
	v_xor_b32_e32 v42, v69, v42
	v_cndmask_b32_e64 v68, -1, 0x80000000, vcc_lo
	v_xor_b32_e32 v43, v68, v43
	s_delay_alu instid0(VALU_DEP_1) | instskip(SKIP_2) | instid1(VALU_DEP_1)
	v_cmp_ne_u64_e32 vcc_lo, s[40:41], v[42:43]
	v_cndmask_b32_e32 v69, 0x80000000, v43, vcc_lo
	v_cndmask_b32_e32 v68, 0, v42, vcc_lo
	v_lshrrev_b64 v[68:69], s43, v[68:69]
	s_delay_alu instid0(VALU_DEP_1) | instskip(NEXT) | instid1(VALU_DEP_1)
	v_and_b32_e32 v68, s51, v68
	v_and_b32_e32 v69, 1, v68
	v_lshlrev_b32_e32 v70, 30, v68
	v_lshlrev_b32_e32 v71, 29, v68
	;; [unrolled: 1-line block ×4, first 2 shown]
	v_add_co_u32 v69, s16, v69, -1
	s_delay_alu instid0(VALU_DEP_1)
	v_cndmask_b32_e64 v73, 0, 1, s16
	v_not_b32_e32 v222, v70
	v_cmp_gt_i32_e64 s16, 0, v70
	v_not_b32_e32 v70, v71
	v_lshlrev_b32_e32 v75, 26, v68
	v_cmp_ne_u32_e32 vcc_lo, 0, v73
	v_ashrrev_i32_e32 v222, 31, v222
	v_lshlrev_b32_e32 v221, 25, v68
	v_ashrrev_i32_e32 v70, 31, v70
	v_lshlrev_b32_e32 v73, 24, v68
	v_xor_b32_e32 v69, vcc_lo, v69
	v_cmp_gt_i32_e32 vcc_lo, 0, v71
	v_not_b32_e32 v71, v72
	v_xor_b32_e32 v222, s16, v222
	v_cmp_gt_i32_e64 s16, 0, v72
	v_and_b32_e32 v69, exec_lo, v69
	v_not_b32_e32 v72, v74
	v_ashrrev_i32_e32 v71, 31, v71
	v_xor_b32_e32 v70, vcc_lo, v70
	v_cmp_gt_i32_e32 vcc_lo, 0, v74
	v_and_b32_e32 v69, v69, v222
	v_not_b32_e32 v74, v75
	v_ashrrev_i32_e32 v72, 31, v72
	v_xor_b32_e32 v71, s16, v71
	v_cmp_gt_i32_e64 s16, 0, v75
	v_and_b32_e32 v69, v69, v70
	v_not_b32_e32 v70, v221
	v_ashrrev_i32_e32 v74, 31, v74
	v_xor_b32_e32 v72, vcc_lo, v72
	v_cmp_gt_i32_e32 vcc_lo, 0, v221
	v_and_b32_e32 v69, v69, v71
	v_not_b32_e32 v71, v73
	v_ashrrev_i32_e32 v70, 31, v70
	v_xor_b32_e32 v74, s16, v74
	v_mul_u32_u24_e32 v68, 9, v68
	v_and_b32_e32 v69, v69, v72
	v_cmp_gt_i32_e64 s16, 0, v73
	v_ashrrev_i32_e32 v71, 31, v71
	v_xor_b32_e32 v70, vcc_lo, v70
	v_add_lshl_u32 v72, v68, v158, 2
	v_and_b32_e32 v69, v69, v74
	s_delay_alu instid0(VALU_DEP_4) | instskip(SKIP_3) | instid1(VALU_DEP_2)
	v_xor_b32_e32 v68, s16, v71
	ds_load_b32 v221, v72 offset:1056
	v_and_b32_e32 v69, v69, v70
	v_add_nc_u32_e32 v223, 0x420, v72
	; wave barrier
	v_and_b32_e32 v68, v69, v68
	s_delay_alu instid0(VALU_DEP_1) | instskip(SKIP_1) | instid1(VALU_DEP_2)
	v_mbcnt_lo_u32_b32 v222, v68, 0
	v_cmp_ne_u32_e64 s16, 0, v68
	v_cmp_eq_u32_e32 vcc_lo, 0, v222
	s_delay_alu instid0(VALU_DEP_2) | instskip(NEXT) | instid1(SALU_CYCLE_1)
	s_and_b32 s17, s16, vcc_lo
	s_and_saveexec_b32 s16, s17
	s_cbranch_execz .LBB1229_166
; %bb.165:                              ;   in Loop: Header=BB1229_98 Depth=2
	s_waitcnt lgkmcnt(0)
	v_bcnt_u32_b32 v68, v68, v221
	ds_store_b32 v223, v68
.LBB1229_166:                           ;   in Loop: Header=BB1229_98 Depth=2
	s_or_b32 exec_lo, exec_lo, s16
	; wave barrier
	s_waitcnt lgkmcnt(0)
	s_barrier
	buffer_gl0_inv
	ds_load_b32 v224, v102 offset:1056
	ds_load_2addr_b32 v[74:75], v103 offset0:1 offset1:2
	ds_load_2addr_b32 v[72:73], v103 offset0:3 offset1:4
	;; [unrolled: 1-line block ×4, first 2 shown]
	s_waitcnt lgkmcnt(3)
	v_add3_u32 v225, v74, v224, v75
	s_waitcnt lgkmcnt(2)
	s_delay_alu instid0(VALU_DEP_1) | instskip(SKIP_1) | instid1(VALU_DEP_1)
	v_add3_u32 v225, v225, v72, v73
	s_waitcnt lgkmcnt(1)
	v_add3_u32 v225, v225, v68, v69
	s_waitcnt lgkmcnt(0)
	s_delay_alu instid0(VALU_DEP_1) | instskip(NEXT) | instid1(VALU_DEP_1)
	v_add3_u32 v71, v225, v70, v71
	v_mov_b32_dpp v225, v71 row_shr:1 row_mask:0xf bank_mask:0xf
	s_delay_alu instid0(VALU_DEP_1) | instskip(NEXT) | instid1(VALU_DEP_1)
	v_cndmask_b32_e64 v225, v225, 0, s1
	v_add_nc_u32_e32 v71, v225, v71
	s_delay_alu instid0(VALU_DEP_1) | instskip(NEXT) | instid1(VALU_DEP_1)
	v_mov_b32_dpp v225, v71 row_shr:2 row_mask:0xf bank_mask:0xf
	v_cndmask_b32_e64 v225, 0, v225, s7
	s_delay_alu instid0(VALU_DEP_1) | instskip(NEXT) | instid1(VALU_DEP_1)
	v_add_nc_u32_e32 v71, v71, v225
	v_mov_b32_dpp v225, v71 row_shr:4 row_mask:0xf bank_mask:0xf
	s_delay_alu instid0(VALU_DEP_1) | instskip(NEXT) | instid1(VALU_DEP_1)
	v_cndmask_b32_e64 v225, 0, v225, s8
	v_add_nc_u32_e32 v71, v71, v225
	s_delay_alu instid0(VALU_DEP_1) | instskip(NEXT) | instid1(VALU_DEP_1)
	v_mov_b32_dpp v225, v71 row_shr:8 row_mask:0xf bank_mask:0xf
	v_cndmask_b32_e64 v225, 0, v225, s9
	s_delay_alu instid0(VALU_DEP_1) | instskip(SKIP_3) | instid1(VALU_DEP_1)
	v_add_nc_u32_e32 v71, v71, v225
	ds_swizzle_b32 v225, v71 offset:swizzle(BROADCAST,32,15)
	s_waitcnt lgkmcnt(0)
	v_cndmask_b32_e64 v225, v225, 0, s10
	v_add_nc_u32_e32 v71, v71, v225
	s_and_saveexec_b32 s16, s3
	s_cbranch_execz .LBB1229_168
; %bb.167:                              ;   in Loop: Header=BB1229_98 Depth=2
	ds_store_b32 v94, v71 offset:1024
.LBB1229_168:                           ;   in Loop: Header=BB1229_98 Depth=2
	s_or_b32 exec_lo, exec_lo, s16
	s_waitcnt lgkmcnt(0)
	s_barrier
	buffer_gl0_inv
	s_and_saveexec_b32 s16, s4
	s_cbranch_execz .LBB1229_170
; %bb.169:                              ;   in Loop: Header=BB1229_98 Depth=2
	ds_load_b32 v225, v104 offset:1024
	s_waitcnt lgkmcnt(0)
	v_mov_b32_dpp v226, v225 row_shr:1 row_mask:0xf bank_mask:0xf
	s_delay_alu instid0(VALU_DEP_1) | instskip(NEXT) | instid1(VALU_DEP_1)
	v_cndmask_b32_e64 v226, v226, 0, s12
	v_add_nc_u32_e32 v225, v226, v225
	s_delay_alu instid0(VALU_DEP_1) | instskip(NEXT) | instid1(VALU_DEP_1)
	v_mov_b32_dpp v226, v225 row_shr:2 row_mask:0xf bank_mask:0xf
	v_cndmask_b32_e64 v226, 0, v226, s13
	s_delay_alu instid0(VALU_DEP_1) | instskip(NEXT) | instid1(VALU_DEP_1)
	v_add_nc_u32_e32 v225, v225, v226
	v_mov_b32_dpp v226, v225 row_shr:4 row_mask:0xf bank_mask:0xf
	s_delay_alu instid0(VALU_DEP_1) | instskip(NEXT) | instid1(VALU_DEP_1)
	v_cndmask_b32_e64 v226, 0, v226, s14
	v_add_nc_u32_e32 v225, v225, v226
	ds_store_b32 v104, v225 offset:1024
.LBB1229_170:                           ;   in Loop: Header=BB1229_98 Depth=2
	s_or_b32 exec_lo, exec_lo, s16
	v_mov_b32_e32 v225, 0
	s_waitcnt lgkmcnt(0)
	s_barrier
	buffer_gl0_inv
	s_and_saveexec_b32 s16, s5
	s_cbranch_execz .LBB1229_172
; %bb.171:                              ;   in Loop: Header=BB1229_98 Depth=2
	ds_load_b32 v225, v94 offset:1020
.LBB1229_172:                           ;   in Loop: Header=BB1229_98 Depth=2
	s_or_b32 exec_lo, exec_lo, s16
	s_waitcnt lgkmcnt(0)
	v_add_nc_u32_e32 v71, v225, v71
	ds_bpermute_b32 v71, v137, v71
	s_waitcnt lgkmcnt(0)
	v_cndmask_b32_e64 v71, v71, v225, s11
	s_delay_alu instid0(VALU_DEP_1) | instskip(NEXT) | instid1(VALU_DEP_1)
	v_cndmask_b32_e64 v71, v71, 0, s0
	v_add_nc_u32_e32 v224, v71, v224
	s_delay_alu instid0(VALU_DEP_1) | instskip(NEXT) | instid1(VALU_DEP_1)
	v_add_nc_u32_e32 v74, v224, v74
	v_add_nc_u32_e32 v75, v74, v75
	s_delay_alu instid0(VALU_DEP_1) | instskip(NEXT) | instid1(VALU_DEP_1)
	v_add_nc_u32_e32 v72, v75, v72
	;; [unrolled: 3-line block ×3, first 2 shown]
	v_add_nc_u32_e32 v69, v68, v69
	s_delay_alu instid0(VALU_DEP_1)
	v_add_nc_u32_e32 v70, v69, v70
	ds_store_b32 v102, v71 offset:1056
	ds_store_2addr_b32 v103, v224, v74 offset0:1 offset1:2
	ds_store_2addr_b32 v103, v75, v72 offset0:3 offset1:4
	;; [unrolled: 1-line block ×4, first 2 shown]
	v_mov_b32_e32 v68, 0x1000
	s_waitcnt lgkmcnt(0)
	s_barrier
	buffer_gl0_inv
	ds_load_b32 v70, v181
	ds_load_b32 v71, v184
	;; [unrolled: 1-line block ×16, first 2 shown]
	ds_load_b32 v178, v102 offset:1056
	s_and_saveexec_b32 s16, s6
	s_cbranch_execz .LBB1229_174
; %bb.173:                              ;   in Loop: Header=BB1229_98 Depth=2
	ds_load_b32 v68, v105 offset:1056
.LBB1229_174:                           ;   in Loop: Header=BB1229_98 Depth=2
	s_or_b32 exec_lo, exec_lo, s16
	s_waitcnt lgkmcnt(0)
	s_barrier
	buffer_gl0_inv
	s_and_saveexec_b32 s16, s2
	s_cbranch_execz .LBB1229_176
; %bb.175:                              ;   in Loop: Header=BB1229_98 Depth=2
	ds_load_b32 v202, v76
	s_waitcnt lgkmcnt(0)
	v_sub_nc_u32_e32 v178, v202, v178
	ds_store_b32 v76, v178
.LBB1229_176:                           ;   in Loop: Header=BB1229_98 Depth=2
	s_or_b32 exec_lo, exec_lo, s16
	v_add_nc_u32_e32 v179, v180, v179
	v_add_lshl_u32 v69, v69, v2, 3
	v_add_nc_u32_e32 v2, v183, v182
	v_add_nc_u32_e32 v180, v186, v185
	;; [unrolled: 1-line block ×8, first 2 shown]
	v_add_lshl_u32 v70, v179, v70, 3
	v_add_lshl_u32 v71, v2, v71, 3
	v_add_nc_u32_e32 v200, v201, v200
	v_add_lshl_u32 v72, v180, v72, 3
	v_add_nc_u32_e32 v203, v204, v203
	;; [unrolled: 2-line block ×3, first 2 shown]
	v_add_nc_u32_e32 v202, v219, v218
	v_add_nc_u32_e32 v205, v216, v215
	;; [unrolled: 1-line block ×3, first 2 shown]
	ds_store_b64 v69, v[36:37] offset:1024
	ds_store_b64 v70, v[38:39] offset:1024
	v_add_lshl_u32 v38, v191, v225, 3
	ds_store_b64 v71, v[44:45] offset:1024
	ds_store_b64 v72, v[48:49] offset:1024
	;; [unrolled: 1-line block ×3, first 2 shown]
	v_add_lshl_u32 v39, v194, v224, 3
	v_add_lshl_u32 v44, v197, v199, 3
	;; [unrolled: 1-line block ×6, first 2 shown]
	ds_store_b64 v38, v[58:59] offset:1024
	ds_store_b64 v39, v[62:63] offset:1024
	;; [unrolled: 1-line block ×6, first 2 shown]
	v_add_lshl_u32 v53, v208, v184, 3
	v_add_lshl_u32 v56, v205, v181, 3
	;; [unrolled: 1-line block ×3, first 2 shown]
	ds_store_b64 v52, v[54:55] offset:1024
	v_add_lshl_u32 v54, v178, v74, 3
	v_cmp_lt_u32_e32 vcc_lo, v1, v177
	ds_store_b64 v53, v[50:51] offset:1024
	ds_store_b64 v56, v[46:47] offset:1024
	;; [unrolled: 1-line block ×4, first 2 shown]
	s_waitcnt lgkmcnt(0)
	s_barrier
	buffer_gl0_inv
	s_and_saveexec_b32 s17, vcc_lo
	s_cbranch_execz .LBB1229_192
; %bb.177:                              ;   in Loop: Header=BB1229_98 Depth=2
	v_add_nc_u32_e32 v2, v104, v76
	ds_load_b64 v[36:37], v2 offset:1024
	s_waitcnt lgkmcnt(0)
	v_cmp_ne_u64_e64 s16, s[40:41], v[36:37]
	s_delay_alu instid0(VALU_DEP_1) | instskip(SKIP_2) | instid1(VALU_DEP_2)
	v_cndmask_b32_e64 v41, 0x80000000, v37, s16
	v_cndmask_b32_e64 v40, 0, v36, s16
	v_cmp_lt_i64_e64 s16, -1, v[36:37]
	v_lshrrev_b64 v[40:41], s43, v[40:41]
	s_delay_alu instid0(VALU_DEP_2) | instskip(NEXT) | instid1(VALU_DEP_2)
	v_cndmask_b32_e64 v42, 0x80000000, -1, s16
	v_and_b32_e32 v2, s51, v40
	v_ashrrev_i32_e32 v40, 31, v37
	s_delay_alu instid0(VALU_DEP_3) | instskip(NEXT) | instid1(VALU_DEP_3)
	v_xor_b32_e32 v37, v42, v37
	v_lshlrev_b32_e32 v2, 2, v2
	s_delay_alu instid0(VALU_DEP_3) | instskip(SKIP_4) | instid1(VALU_DEP_1)
	v_not_b32_e32 v43, v40
	ds_load_b32 v2, v2
	v_xor_b32_e32 v36, v43, v36
	s_waitcnt lgkmcnt(0)
	v_add_nc_u32_e32 v2, v2, v1
	v_lshlrev_b64 v[40:41], 3, v[2:3]
	s_delay_alu instid0(VALU_DEP_1) | instskip(NEXT) | instid1(VALU_DEP_1)
	v_add_co_u32 v40, s16, s46, v40
	v_add_co_ci_u32_e64 v41, s16, s47, v41, s16
	global_store_b64 v[40:41], v[36:37], off
	s_or_b32 exec_lo, exec_lo, s17
	v_cmp_lt_u32_e64 s16, v77, v177
	s_delay_alu instid0(VALU_DEP_1)
	s_and_saveexec_b32 s18, s16
	s_cbranch_execnz .LBB1229_193
.LBB1229_178:                           ;   in Loop: Header=BB1229_98 Depth=2
	s_or_b32 exec_lo, exec_lo, s18
	v_cmp_lt_u32_e64 s17, v78, v177
	s_delay_alu instid0(VALU_DEP_1)
	s_and_saveexec_b32 s19, s17
	s_cbranch_execz .LBB1229_194
.LBB1229_179:                           ;   in Loop: Header=BB1229_98 Depth=2
	ds_load_b64 v[36:37], v110 offset:4096
	s_waitcnt lgkmcnt(0)
	v_cmp_ne_u64_e64 s18, s[40:41], v[36:37]
	s_delay_alu instid0(VALU_DEP_1) | instskip(SKIP_2) | instid1(VALU_DEP_2)
	v_cndmask_b32_e64 v41, 0x80000000, v37, s18
	v_cndmask_b32_e64 v40, 0, v36, s18
	v_cmp_lt_i64_e64 s18, -1, v[36:37]
	v_lshrrev_b64 v[40:41], s43, v[40:41]
	s_delay_alu instid0(VALU_DEP_2) | instskip(NEXT) | instid1(VALU_DEP_2)
	v_cndmask_b32_e64 v42, 0x80000000, -1, s18
	v_and_b32_e32 v2, s51, v40
	v_ashrrev_i32_e32 v40, 31, v37
	s_delay_alu instid0(VALU_DEP_3) | instskip(NEXT) | instid1(VALU_DEP_3)
	v_xor_b32_e32 v37, v42, v37
	v_lshlrev_b32_e32 v2, 2, v2
	s_delay_alu instid0(VALU_DEP_3) | instskip(SKIP_4) | instid1(VALU_DEP_1)
	v_not_b32_e32 v43, v40
	ds_load_b32 v2, v2
	v_xor_b32_e32 v36, v43, v36
	s_waitcnt lgkmcnt(0)
	v_add_nc_u32_e32 v2, v2, v78
	v_lshlrev_b64 v[40:41], 3, v[2:3]
	s_delay_alu instid0(VALU_DEP_1) | instskip(NEXT) | instid1(VALU_DEP_1)
	v_add_co_u32 v40, s18, s46, v40
	v_add_co_ci_u32_e64 v41, s18, s47, v41, s18
	global_store_b64 v[40:41], v[36:37], off
	s_or_b32 exec_lo, exec_lo, s19
	v_cmp_lt_u32_e64 s18, v79, v177
	s_delay_alu instid0(VALU_DEP_1)
	s_and_saveexec_b32 s20, s18
	s_cbranch_execnz .LBB1229_195
.LBB1229_180:                           ;   in Loop: Header=BB1229_98 Depth=2
	s_or_b32 exec_lo, exec_lo, s20
	v_cmp_lt_u32_e64 s19, v83, v177
	s_delay_alu instid0(VALU_DEP_1)
	s_and_saveexec_b32 s21, s19
	s_cbranch_execz .LBB1229_196
.LBB1229_181:                           ;   in Loop: Header=BB1229_98 Depth=2
	ds_load_b64 v[36:37], v110 offset:8192
	s_waitcnt lgkmcnt(0)
	v_cmp_ne_u64_e64 s20, s[40:41], v[36:37]
	s_delay_alu instid0(VALU_DEP_1) | instskip(SKIP_2) | instid1(VALU_DEP_2)
	v_cndmask_b32_e64 v41, 0x80000000, v37, s20
	v_cndmask_b32_e64 v40, 0, v36, s20
	v_cmp_lt_i64_e64 s20, -1, v[36:37]
	v_lshrrev_b64 v[40:41], s43, v[40:41]
	s_delay_alu instid0(VALU_DEP_2) | instskip(NEXT) | instid1(VALU_DEP_2)
	v_cndmask_b32_e64 v42, 0x80000000, -1, s20
	v_and_b32_e32 v2, s51, v40
	v_ashrrev_i32_e32 v40, 31, v37
	s_delay_alu instid0(VALU_DEP_3) | instskip(NEXT) | instid1(VALU_DEP_3)
	v_xor_b32_e32 v37, v42, v37
	v_lshlrev_b32_e32 v2, 2, v2
	s_delay_alu instid0(VALU_DEP_3) | instskip(SKIP_4) | instid1(VALU_DEP_1)
	v_not_b32_e32 v43, v40
	ds_load_b32 v2, v2
	v_xor_b32_e32 v36, v43, v36
	s_waitcnt lgkmcnt(0)
	v_add_nc_u32_e32 v2, v2, v83
	v_lshlrev_b64 v[40:41], 3, v[2:3]
	s_delay_alu instid0(VALU_DEP_1) | instskip(NEXT) | instid1(VALU_DEP_1)
	v_add_co_u32 v40, s20, s46, v40
	v_add_co_ci_u32_e64 v41, s20, s47, v41, s20
	global_store_b64 v[40:41], v[36:37], off
	s_or_b32 exec_lo, exec_lo, s21
	v_cmp_lt_u32_e64 s20, v84, v177
	s_delay_alu instid0(VALU_DEP_1)
	s_and_saveexec_b32 s22, s20
	s_cbranch_execnz .LBB1229_197
.LBB1229_182:                           ;   in Loop: Header=BB1229_98 Depth=2
	s_or_b32 exec_lo, exec_lo, s22
	v_cmp_lt_u32_e64 s21, v85, v177
	s_delay_alu instid0(VALU_DEP_1)
	s_and_saveexec_b32 s23, s21
	s_cbranch_execz .LBB1229_198
.LBB1229_183:                           ;   in Loop: Header=BB1229_98 Depth=2
	ds_load_b64 v[36:37], v110 offset:12288
	s_waitcnt lgkmcnt(0)
	v_cmp_ne_u64_e64 s22, s[40:41], v[36:37]
	s_delay_alu instid0(VALU_DEP_1) | instskip(SKIP_2) | instid1(VALU_DEP_2)
	v_cndmask_b32_e64 v41, 0x80000000, v37, s22
	v_cndmask_b32_e64 v40, 0, v36, s22
	v_cmp_lt_i64_e64 s22, -1, v[36:37]
	v_lshrrev_b64 v[40:41], s43, v[40:41]
	s_delay_alu instid0(VALU_DEP_2) | instskip(NEXT) | instid1(VALU_DEP_2)
	v_cndmask_b32_e64 v42, 0x80000000, -1, s22
	v_and_b32_e32 v2, s51, v40
	v_ashrrev_i32_e32 v40, 31, v37
	s_delay_alu instid0(VALU_DEP_3) | instskip(NEXT) | instid1(VALU_DEP_3)
	v_xor_b32_e32 v37, v42, v37
	v_lshlrev_b32_e32 v2, 2, v2
	s_delay_alu instid0(VALU_DEP_3) | instskip(SKIP_4) | instid1(VALU_DEP_1)
	v_not_b32_e32 v43, v40
	ds_load_b32 v2, v2
	v_xor_b32_e32 v36, v43, v36
	s_waitcnt lgkmcnt(0)
	v_add_nc_u32_e32 v2, v2, v85
	v_lshlrev_b64 v[40:41], 3, v[2:3]
	s_delay_alu instid0(VALU_DEP_1) | instskip(NEXT) | instid1(VALU_DEP_1)
	v_add_co_u32 v40, s22, s46, v40
	v_add_co_ci_u32_e64 v41, s22, s47, v41, s22
	global_store_b64 v[40:41], v[36:37], off
	s_or_b32 exec_lo, exec_lo, s23
	v_cmp_lt_u32_e64 s22, v86, v177
	s_delay_alu instid0(VALU_DEP_1)
	s_and_saveexec_b32 s24, s22
	s_cbranch_execnz .LBB1229_199
.LBB1229_184:                           ;   in Loop: Header=BB1229_98 Depth=2
	s_or_b32 exec_lo, exec_lo, s24
	v_cmp_lt_u32_e64 s23, v87, v177
	s_delay_alu instid0(VALU_DEP_1)
	s_and_saveexec_b32 s25, s23
	s_cbranch_execz .LBB1229_200
.LBB1229_185:                           ;   in Loop: Header=BB1229_98 Depth=2
	ds_load_b64 v[36:37], v110 offset:16384
	s_waitcnt lgkmcnt(0)
	v_cmp_ne_u64_e64 s24, s[40:41], v[36:37]
	s_delay_alu instid0(VALU_DEP_1) | instskip(SKIP_2) | instid1(VALU_DEP_2)
	v_cndmask_b32_e64 v41, 0x80000000, v37, s24
	v_cndmask_b32_e64 v40, 0, v36, s24
	v_cmp_lt_i64_e64 s24, -1, v[36:37]
	v_lshrrev_b64 v[40:41], s43, v[40:41]
	s_delay_alu instid0(VALU_DEP_2) | instskip(NEXT) | instid1(VALU_DEP_2)
	v_cndmask_b32_e64 v42, 0x80000000, -1, s24
	v_and_b32_e32 v2, s51, v40
	v_ashrrev_i32_e32 v40, 31, v37
	s_delay_alu instid0(VALU_DEP_3) | instskip(NEXT) | instid1(VALU_DEP_3)
	v_xor_b32_e32 v37, v42, v37
	v_lshlrev_b32_e32 v2, 2, v2
	s_delay_alu instid0(VALU_DEP_3) | instskip(SKIP_4) | instid1(VALU_DEP_1)
	v_not_b32_e32 v43, v40
	ds_load_b32 v2, v2
	v_xor_b32_e32 v36, v43, v36
	s_waitcnt lgkmcnt(0)
	v_add_nc_u32_e32 v2, v2, v87
	v_lshlrev_b64 v[40:41], 3, v[2:3]
	s_delay_alu instid0(VALU_DEP_1) | instskip(NEXT) | instid1(VALU_DEP_1)
	v_add_co_u32 v40, s24, s46, v40
	v_add_co_ci_u32_e64 v41, s24, s47, v41, s24
	global_store_b64 v[40:41], v[36:37], off
	s_or_b32 exec_lo, exec_lo, s25
	v_cmp_lt_u32_e64 s24, v88, v177
	s_delay_alu instid0(VALU_DEP_1)
	s_and_saveexec_b32 s26, s24
	s_cbranch_execnz .LBB1229_201
.LBB1229_186:                           ;   in Loop: Header=BB1229_98 Depth=2
	s_or_b32 exec_lo, exec_lo, s26
	v_cmp_lt_u32_e64 s25, v89, v177
	s_delay_alu instid0(VALU_DEP_1)
	s_and_saveexec_b32 s27, s25
	s_cbranch_execz .LBB1229_202
.LBB1229_187:                           ;   in Loop: Header=BB1229_98 Depth=2
	ds_load_b64 v[36:37], v110 offset:20480
	s_waitcnt lgkmcnt(0)
	v_cmp_ne_u64_e64 s26, s[40:41], v[36:37]
	s_delay_alu instid0(VALU_DEP_1) | instskip(SKIP_2) | instid1(VALU_DEP_2)
	v_cndmask_b32_e64 v41, 0x80000000, v37, s26
	v_cndmask_b32_e64 v40, 0, v36, s26
	v_cmp_lt_i64_e64 s26, -1, v[36:37]
	v_lshrrev_b64 v[40:41], s43, v[40:41]
	s_delay_alu instid0(VALU_DEP_2) | instskip(NEXT) | instid1(VALU_DEP_2)
	v_cndmask_b32_e64 v42, 0x80000000, -1, s26
	v_and_b32_e32 v2, s51, v40
	v_ashrrev_i32_e32 v40, 31, v37
	s_delay_alu instid0(VALU_DEP_3) | instskip(NEXT) | instid1(VALU_DEP_3)
	v_xor_b32_e32 v37, v42, v37
	v_lshlrev_b32_e32 v2, 2, v2
	s_delay_alu instid0(VALU_DEP_3) | instskip(SKIP_4) | instid1(VALU_DEP_1)
	v_not_b32_e32 v43, v40
	ds_load_b32 v2, v2
	v_xor_b32_e32 v36, v43, v36
	s_waitcnt lgkmcnt(0)
	v_add_nc_u32_e32 v2, v2, v89
	v_lshlrev_b64 v[40:41], 3, v[2:3]
	s_delay_alu instid0(VALU_DEP_1) | instskip(NEXT) | instid1(VALU_DEP_1)
	v_add_co_u32 v40, s26, s46, v40
	v_add_co_ci_u32_e64 v41, s26, s47, v41, s26
	global_store_b64 v[40:41], v[36:37], off
	s_or_b32 exec_lo, exec_lo, s27
	v_cmp_lt_u32_e64 s26, v90, v177
	s_delay_alu instid0(VALU_DEP_1)
	s_and_saveexec_b32 s28, s26
	s_cbranch_execnz .LBB1229_203
.LBB1229_188:                           ;   in Loop: Header=BB1229_98 Depth=2
	s_or_b32 exec_lo, exec_lo, s28
	v_cmp_lt_u32_e64 s27, v91, v177
	s_delay_alu instid0(VALU_DEP_1)
	s_and_saveexec_b32 s29, s27
	s_cbranch_execz .LBB1229_204
.LBB1229_189:                           ;   in Loop: Header=BB1229_98 Depth=2
	ds_load_b64 v[36:37], v110 offset:24576
	s_waitcnt lgkmcnt(0)
	v_cmp_ne_u64_e64 s28, s[40:41], v[36:37]
	s_delay_alu instid0(VALU_DEP_1) | instskip(SKIP_2) | instid1(VALU_DEP_2)
	v_cndmask_b32_e64 v41, 0x80000000, v37, s28
	v_cndmask_b32_e64 v40, 0, v36, s28
	v_cmp_lt_i64_e64 s28, -1, v[36:37]
	v_lshrrev_b64 v[40:41], s43, v[40:41]
	s_delay_alu instid0(VALU_DEP_2) | instskip(NEXT) | instid1(VALU_DEP_2)
	v_cndmask_b32_e64 v42, 0x80000000, -1, s28
	v_and_b32_e32 v2, s51, v40
	v_ashrrev_i32_e32 v40, 31, v37
	s_delay_alu instid0(VALU_DEP_3) | instskip(NEXT) | instid1(VALU_DEP_3)
	v_xor_b32_e32 v37, v42, v37
	v_lshlrev_b32_e32 v2, 2, v2
	s_delay_alu instid0(VALU_DEP_3) | instskip(SKIP_4) | instid1(VALU_DEP_1)
	v_not_b32_e32 v43, v40
	ds_load_b32 v2, v2
	v_xor_b32_e32 v36, v43, v36
	s_waitcnt lgkmcnt(0)
	v_add_nc_u32_e32 v2, v2, v91
	v_lshlrev_b64 v[40:41], 3, v[2:3]
	s_delay_alu instid0(VALU_DEP_1) | instskip(NEXT) | instid1(VALU_DEP_1)
	v_add_co_u32 v40, s28, s46, v40
	v_add_co_ci_u32_e64 v41, s28, s47, v41, s28
	global_store_b64 v[40:41], v[36:37], off
	s_or_b32 exec_lo, exec_lo, s29
	v_cmp_lt_u32_e64 s28, v92, v177
	s_delay_alu instid0(VALU_DEP_1)
	s_and_saveexec_b32 s30, s28
	s_cbranch_execnz .LBB1229_205
.LBB1229_190:                           ;   in Loop: Header=BB1229_98 Depth=2
	s_or_b32 exec_lo, exec_lo, s30
	v_cmp_lt_u32_e64 s29, v93, v177
	s_delay_alu instid0(VALU_DEP_1)
	s_and_saveexec_b32 s31, s29
	s_cbranch_execz .LBB1229_206
.LBB1229_191:                           ;   in Loop: Header=BB1229_98 Depth=2
	ds_load_b64 v[36:37], v110 offset:28672
	s_waitcnt lgkmcnt(0)
	v_cmp_ne_u64_e64 s30, s[40:41], v[36:37]
	s_delay_alu instid0(VALU_DEP_1) | instskip(SKIP_2) | instid1(VALU_DEP_2)
	v_cndmask_b32_e64 v41, 0x80000000, v37, s30
	v_cndmask_b32_e64 v40, 0, v36, s30
	v_cmp_lt_i64_e64 s30, -1, v[36:37]
	v_lshrrev_b64 v[40:41], s43, v[40:41]
	s_delay_alu instid0(VALU_DEP_2) | instskip(NEXT) | instid1(VALU_DEP_2)
	v_cndmask_b32_e64 v42, 0x80000000, -1, s30
	v_and_b32_e32 v2, s51, v40
	v_ashrrev_i32_e32 v40, 31, v37
	s_delay_alu instid0(VALU_DEP_3) | instskip(NEXT) | instid1(VALU_DEP_3)
	v_xor_b32_e32 v37, v42, v37
	v_lshlrev_b32_e32 v2, 2, v2
	s_delay_alu instid0(VALU_DEP_3) | instskip(SKIP_4) | instid1(VALU_DEP_1)
	v_not_b32_e32 v43, v40
	ds_load_b32 v2, v2
	v_xor_b32_e32 v36, v43, v36
	s_waitcnt lgkmcnt(0)
	v_add_nc_u32_e32 v2, v2, v93
	v_lshlrev_b64 v[40:41], 3, v[2:3]
	s_delay_alu instid0(VALU_DEP_1) | instskip(NEXT) | instid1(VALU_DEP_1)
	v_add_co_u32 v40, s30, s46, v40
	v_add_co_ci_u32_e64 v41, s30, s47, v41, s30
	global_store_b64 v[40:41], v[36:37], off
	s_or_b32 exec_lo, exec_lo, s31
	v_cmp_lt_u32_e64 s30, v95, v177
	s_delay_alu instid0(VALU_DEP_1)
	s_and_saveexec_b32 s61, s30
	s_cbranch_execnz .LBB1229_207
	s_branch .LBB1229_208
.LBB1229_192:                           ;   in Loop: Header=BB1229_98 Depth=2
	s_or_b32 exec_lo, exec_lo, s17
	v_cmp_lt_u32_e64 s16, v77, v177
	s_delay_alu instid0(VALU_DEP_1)
	s_and_saveexec_b32 s18, s16
	s_cbranch_execz .LBB1229_178
.LBB1229_193:                           ;   in Loop: Header=BB1229_98 Depth=2
	ds_load_b64 v[36:37], v110 offset:2048
	s_waitcnt lgkmcnt(0)
	v_cmp_ne_u64_e64 s17, s[40:41], v[36:37]
	s_delay_alu instid0(VALU_DEP_1) | instskip(SKIP_2) | instid1(VALU_DEP_2)
	v_cndmask_b32_e64 v41, 0x80000000, v37, s17
	v_cndmask_b32_e64 v40, 0, v36, s17
	v_cmp_lt_i64_e64 s17, -1, v[36:37]
	v_lshrrev_b64 v[40:41], s43, v[40:41]
	s_delay_alu instid0(VALU_DEP_2) | instskip(NEXT) | instid1(VALU_DEP_2)
	v_cndmask_b32_e64 v42, 0x80000000, -1, s17
	v_and_b32_e32 v2, s51, v40
	v_ashrrev_i32_e32 v40, 31, v37
	s_delay_alu instid0(VALU_DEP_3) | instskip(NEXT) | instid1(VALU_DEP_3)
	v_xor_b32_e32 v37, v42, v37
	v_lshlrev_b32_e32 v2, 2, v2
	s_delay_alu instid0(VALU_DEP_3) | instskip(SKIP_4) | instid1(VALU_DEP_1)
	v_not_b32_e32 v43, v40
	ds_load_b32 v2, v2
	v_xor_b32_e32 v36, v43, v36
	s_waitcnt lgkmcnt(0)
	v_add_nc_u32_e32 v2, v2, v77
	v_lshlrev_b64 v[40:41], 3, v[2:3]
	s_delay_alu instid0(VALU_DEP_1) | instskip(NEXT) | instid1(VALU_DEP_1)
	v_add_co_u32 v40, s17, s46, v40
	v_add_co_ci_u32_e64 v41, s17, s47, v41, s17
	global_store_b64 v[40:41], v[36:37], off
	s_or_b32 exec_lo, exec_lo, s18
	v_cmp_lt_u32_e64 s17, v78, v177
	s_delay_alu instid0(VALU_DEP_1)
	s_and_saveexec_b32 s19, s17
	s_cbranch_execnz .LBB1229_179
.LBB1229_194:                           ;   in Loop: Header=BB1229_98 Depth=2
	s_or_b32 exec_lo, exec_lo, s19
	v_cmp_lt_u32_e64 s18, v79, v177
	s_delay_alu instid0(VALU_DEP_1)
	s_and_saveexec_b32 s20, s18
	s_cbranch_execz .LBB1229_180
.LBB1229_195:                           ;   in Loop: Header=BB1229_98 Depth=2
	ds_load_b64 v[36:37], v110 offset:6144
	s_waitcnt lgkmcnt(0)
	v_cmp_ne_u64_e64 s19, s[40:41], v[36:37]
	s_delay_alu instid0(VALU_DEP_1) | instskip(SKIP_2) | instid1(VALU_DEP_2)
	v_cndmask_b32_e64 v41, 0x80000000, v37, s19
	v_cndmask_b32_e64 v40, 0, v36, s19
	v_cmp_lt_i64_e64 s19, -1, v[36:37]
	v_lshrrev_b64 v[40:41], s43, v[40:41]
	s_delay_alu instid0(VALU_DEP_2) | instskip(NEXT) | instid1(VALU_DEP_2)
	v_cndmask_b32_e64 v42, 0x80000000, -1, s19
	v_and_b32_e32 v2, s51, v40
	v_ashrrev_i32_e32 v40, 31, v37
	s_delay_alu instid0(VALU_DEP_3) | instskip(NEXT) | instid1(VALU_DEP_3)
	v_xor_b32_e32 v37, v42, v37
	v_lshlrev_b32_e32 v2, 2, v2
	s_delay_alu instid0(VALU_DEP_3) | instskip(SKIP_4) | instid1(VALU_DEP_1)
	v_not_b32_e32 v43, v40
	ds_load_b32 v2, v2
	v_xor_b32_e32 v36, v43, v36
	s_waitcnt lgkmcnt(0)
	v_add_nc_u32_e32 v2, v2, v79
	v_lshlrev_b64 v[40:41], 3, v[2:3]
	s_delay_alu instid0(VALU_DEP_1) | instskip(NEXT) | instid1(VALU_DEP_1)
	v_add_co_u32 v40, s19, s46, v40
	v_add_co_ci_u32_e64 v41, s19, s47, v41, s19
	global_store_b64 v[40:41], v[36:37], off
	s_or_b32 exec_lo, exec_lo, s20
	v_cmp_lt_u32_e64 s19, v83, v177
	s_delay_alu instid0(VALU_DEP_1)
	s_and_saveexec_b32 s21, s19
	s_cbranch_execnz .LBB1229_181
.LBB1229_196:                           ;   in Loop: Header=BB1229_98 Depth=2
	s_or_b32 exec_lo, exec_lo, s21
	v_cmp_lt_u32_e64 s20, v84, v177
	s_delay_alu instid0(VALU_DEP_1)
	s_and_saveexec_b32 s22, s20
	s_cbranch_execz .LBB1229_182
.LBB1229_197:                           ;   in Loop: Header=BB1229_98 Depth=2
	ds_load_b64 v[36:37], v110 offset:10240
	s_waitcnt lgkmcnt(0)
	v_cmp_ne_u64_e64 s21, s[40:41], v[36:37]
	s_delay_alu instid0(VALU_DEP_1) | instskip(SKIP_2) | instid1(VALU_DEP_2)
	v_cndmask_b32_e64 v41, 0x80000000, v37, s21
	v_cndmask_b32_e64 v40, 0, v36, s21
	v_cmp_lt_i64_e64 s21, -1, v[36:37]
	v_lshrrev_b64 v[40:41], s43, v[40:41]
	s_delay_alu instid0(VALU_DEP_2) | instskip(NEXT) | instid1(VALU_DEP_2)
	v_cndmask_b32_e64 v42, 0x80000000, -1, s21
	v_and_b32_e32 v2, s51, v40
	v_ashrrev_i32_e32 v40, 31, v37
	s_delay_alu instid0(VALU_DEP_3) | instskip(NEXT) | instid1(VALU_DEP_3)
	v_xor_b32_e32 v37, v42, v37
	v_lshlrev_b32_e32 v2, 2, v2
	s_delay_alu instid0(VALU_DEP_3) | instskip(SKIP_4) | instid1(VALU_DEP_1)
	v_not_b32_e32 v43, v40
	ds_load_b32 v2, v2
	v_xor_b32_e32 v36, v43, v36
	s_waitcnt lgkmcnt(0)
	v_add_nc_u32_e32 v2, v2, v84
	v_lshlrev_b64 v[40:41], 3, v[2:3]
	s_delay_alu instid0(VALU_DEP_1) | instskip(NEXT) | instid1(VALU_DEP_1)
	v_add_co_u32 v40, s21, s46, v40
	v_add_co_ci_u32_e64 v41, s21, s47, v41, s21
	global_store_b64 v[40:41], v[36:37], off
	s_or_b32 exec_lo, exec_lo, s22
	v_cmp_lt_u32_e64 s21, v85, v177
	s_delay_alu instid0(VALU_DEP_1)
	s_and_saveexec_b32 s23, s21
	s_cbranch_execnz .LBB1229_183
.LBB1229_198:                           ;   in Loop: Header=BB1229_98 Depth=2
	s_or_b32 exec_lo, exec_lo, s23
	v_cmp_lt_u32_e64 s22, v86, v177
	s_delay_alu instid0(VALU_DEP_1)
	s_and_saveexec_b32 s24, s22
	s_cbranch_execz .LBB1229_184
.LBB1229_199:                           ;   in Loop: Header=BB1229_98 Depth=2
	ds_load_b64 v[36:37], v110 offset:14336
	s_waitcnt lgkmcnt(0)
	v_cmp_ne_u64_e64 s23, s[40:41], v[36:37]
	s_delay_alu instid0(VALU_DEP_1) | instskip(SKIP_2) | instid1(VALU_DEP_2)
	v_cndmask_b32_e64 v41, 0x80000000, v37, s23
	v_cndmask_b32_e64 v40, 0, v36, s23
	v_cmp_lt_i64_e64 s23, -1, v[36:37]
	v_lshrrev_b64 v[40:41], s43, v[40:41]
	s_delay_alu instid0(VALU_DEP_2) | instskip(NEXT) | instid1(VALU_DEP_2)
	v_cndmask_b32_e64 v42, 0x80000000, -1, s23
	v_and_b32_e32 v2, s51, v40
	v_ashrrev_i32_e32 v40, 31, v37
	s_delay_alu instid0(VALU_DEP_3) | instskip(NEXT) | instid1(VALU_DEP_3)
	v_xor_b32_e32 v37, v42, v37
	v_lshlrev_b32_e32 v2, 2, v2
	s_delay_alu instid0(VALU_DEP_3) | instskip(SKIP_4) | instid1(VALU_DEP_1)
	v_not_b32_e32 v43, v40
	ds_load_b32 v2, v2
	v_xor_b32_e32 v36, v43, v36
	s_waitcnt lgkmcnt(0)
	v_add_nc_u32_e32 v2, v2, v86
	v_lshlrev_b64 v[40:41], 3, v[2:3]
	s_delay_alu instid0(VALU_DEP_1) | instskip(NEXT) | instid1(VALU_DEP_1)
	v_add_co_u32 v40, s23, s46, v40
	v_add_co_ci_u32_e64 v41, s23, s47, v41, s23
	global_store_b64 v[40:41], v[36:37], off
	s_or_b32 exec_lo, exec_lo, s24
	v_cmp_lt_u32_e64 s23, v87, v177
	s_delay_alu instid0(VALU_DEP_1)
	s_and_saveexec_b32 s25, s23
	s_cbranch_execnz .LBB1229_185
.LBB1229_200:                           ;   in Loop: Header=BB1229_98 Depth=2
	s_or_b32 exec_lo, exec_lo, s25
	v_cmp_lt_u32_e64 s24, v88, v177
	s_delay_alu instid0(VALU_DEP_1)
	s_and_saveexec_b32 s26, s24
	s_cbranch_execz .LBB1229_186
.LBB1229_201:                           ;   in Loop: Header=BB1229_98 Depth=2
	ds_load_b64 v[36:37], v110 offset:18432
	s_waitcnt lgkmcnt(0)
	v_cmp_ne_u64_e64 s25, s[40:41], v[36:37]
	s_delay_alu instid0(VALU_DEP_1) | instskip(SKIP_2) | instid1(VALU_DEP_2)
	v_cndmask_b32_e64 v41, 0x80000000, v37, s25
	v_cndmask_b32_e64 v40, 0, v36, s25
	v_cmp_lt_i64_e64 s25, -1, v[36:37]
	v_lshrrev_b64 v[40:41], s43, v[40:41]
	s_delay_alu instid0(VALU_DEP_2) | instskip(NEXT) | instid1(VALU_DEP_2)
	v_cndmask_b32_e64 v42, 0x80000000, -1, s25
	v_and_b32_e32 v2, s51, v40
	v_ashrrev_i32_e32 v40, 31, v37
	s_delay_alu instid0(VALU_DEP_3) | instskip(NEXT) | instid1(VALU_DEP_3)
	v_xor_b32_e32 v37, v42, v37
	v_lshlrev_b32_e32 v2, 2, v2
	s_delay_alu instid0(VALU_DEP_3) | instskip(SKIP_4) | instid1(VALU_DEP_1)
	v_not_b32_e32 v43, v40
	ds_load_b32 v2, v2
	v_xor_b32_e32 v36, v43, v36
	s_waitcnt lgkmcnt(0)
	v_add_nc_u32_e32 v2, v2, v88
	v_lshlrev_b64 v[40:41], 3, v[2:3]
	s_delay_alu instid0(VALU_DEP_1) | instskip(NEXT) | instid1(VALU_DEP_1)
	v_add_co_u32 v40, s25, s46, v40
	v_add_co_ci_u32_e64 v41, s25, s47, v41, s25
	global_store_b64 v[40:41], v[36:37], off
	s_or_b32 exec_lo, exec_lo, s26
	v_cmp_lt_u32_e64 s25, v89, v177
	s_delay_alu instid0(VALU_DEP_1)
	s_and_saveexec_b32 s27, s25
	s_cbranch_execnz .LBB1229_187
.LBB1229_202:                           ;   in Loop: Header=BB1229_98 Depth=2
	s_or_b32 exec_lo, exec_lo, s27
	v_cmp_lt_u32_e64 s26, v90, v177
	s_delay_alu instid0(VALU_DEP_1)
	s_and_saveexec_b32 s28, s26
	s_cbranch_execz .LBB1229_188
.LBB1229_203:                           ;   in Loop: Header=BB1229_98 Depth=2
	ds_load_b64 v[36:37], v110 offset:22528
	s_waitcnt lgkmcnt(0)
	v_cmp_ne_u64_e64 s27, s[40:41], v[36:37]
	s_delay_alu instid0(VALU_DEP_1) | instskip(SKIP_2) | instid1(VALU_DEP_2)
	v_cndmask_b32_e64 v41, 0x80000000, v37, s27
	v_cndmask_b32_e64 v40, 0, v36, s27
	v_cmp_lt_i64_e64 s27, -1, v[36:37]
	v_lshrrev_b64 v[40:41], s43, v[40:41]
	s_delay_alu instid0(VALU_DEP_2) | instskip(NEXT) | instid1(VALU_DEP_2)
	v_cndmask_b32_e64 v42, 0x80000000, -1, s27
	v_and_b32_e32 v2, s51, v40
	v_ashrrev_i32_e32 v40, 31, v37
	s_delay_alu instid0(VALU_DEP_3) | instskip(NEXT) | instid1(VALU_DEP_3)
	v_xor_b32_e32 v37, v42, v37
	v_lshlrev_b32_e32 v2, 2, v2
	s_delay_alu instid0(VALU_DEP_3) | instskip(SKIP_4) | instid1(VALU_DEP_1)
	v_not_b32_e32 v43, v40
	ds_load_b32 v2, v2
	v_xor_b32_e32 v36, v43, v36
	s_waitcnt lgkmcnt(0)
	v_add_nc_u32_e32 v2, v2, v90
	v_lshlrev_b64 v[40:41], 3, v[2:3]
	s_delay_alu instid0(VALU_DEP_1) | instskip(NEXT) | instid1(VALU_DEP_1)
	v_add_co_u32 v40, s27, s46, v40
	v_add_co_ci_u32_e64 v41, s27, s47, v41, s27
	global_store_b64 v[40:41], v[36:37], off
	s_or_b32 exec_lo, exec_lo, s28
	v_cmp_lt_u32_e64 s27, v91, v177
	s_delay_alu instid0(VALU_DEP_1)
	s_and_saveexec_b32 s29, s27
	s_cbranch_execnz .LBB1229_189
.LBB1229_204:                           ;   in Loop: Header=BB1229_98 Depth=2
	s_or_b32 exec_lo, exec_lo, s29
	v_cmp_lt_u32_e64 s28, v92, v177
	s_delay_alu instid0(VALU_DEP_1)
	s_and_saveexec_b32 s30, s28
	s_cbranch_execz .LBB1229_190
.LBB1229_205:                           ;   in Loop: Header=BB1229_98 Depth=2
	ds_load_b64 v[36:37], v110 offset:26624
	s_waitcnt lgkmcnt(0)
	v_cmp_ne_u64_e64 s29, s[40:41], v[36:37]
	s_delay_alu instid0(VALU_DEP_1) | instskip(SKIP_2) | instid1(VALU_DEP_2)
	v_cndmask_b32_e64 v41, 0x80000000, v37, s29
	v_cndmask_b32_e64 v40, 0, v36, s29
	v_cmp_lt_i64_e64 s29, -1, v[36:37]
	v_lshrrev_b64 v[40:41], s43, v[40:41]
	s_delay_alu instid0(VALU_DEP_2) | instskip(NEXT) | instid1(VALU_DEP_2)
	v_cndmask_b32_e64 v42, 0x80000000, -1, s29
	v_and_b32_e32 v2, s51, v40
	v_ashrrev_i32_e32 v40, 31, v37
	s_delay_alu instid0(VALU_DEP_3) | instskip(NEXT) | instid1(VALU_DEP_3)
	v_xor_b32_e32 v37, v42, v37
	v_lshlrev_b32_e32 v2, 2, v2
	s_delay_alu instid0(VALU_DEP_3) | instskip(SKIP_4) | instid1(VALU_DEP_1)
	v_not_b32_e32 v43, v40
	ds_load_b32 v2, v2
	v_xor_b32_e32 v36, v43, v36
	s_waitcnt lgkmcnt(0)
	v_add_nc_u32_e32 v2, v2, v92
	v_lshlrev_b64 v[40:41], 3, v[2:3]
	s_delay_alu instid0(VALU_DEP_1) | instskip(NEXT) | instid1(VALU_DEP_1)
	v_add_co_u32 v40, s29, s46, v40
	v_add_co_ci_u32_e64 v41, s29, s47, v41, s29
	global_store_b64 v[40:41], v[36:37], off
	s_or_b32 exec_lo, exec_lo, s30
	v_cmp_lt_u32_e64 s29, v93, v177
	s_delay_alu instid0(VALU_DEP_1)
	s_and_saveexec_b32 s31, s29
	s_cbranch_execnz .LBB1229_191
.LBB1229_206:                           ;   in Loop: Header=BB1229_98 Depth=2
	s_or_b32 exec_lo, exec_lo, s31
	v_cmp_lt_u32_e64 s30, v95, v177
	s_delay_alu instid0(VALU_DEP_1)
	s_and_saveexec_b32 s61, s30
	s_cbranch_execz .LBB1229_208
.LBB1229_207:                           ;   in Loop: Header=BB1229_98 Depth=2
	ds_load_b64 v[36:37], v110 offset:30720
	s_waitcnt lgkmcnt(0)
	v_cmp_ne_u64_e64 s31, s[40:41], v[36:37]
	s_delay_alu instid0(VALU_DEP_1) | instskip(SKIP_2) | instid1(VALU_DEP_2)
	v_cndmask_b32_e64 v41, 0x80000000, v37, s31
	v_cndmask_b32_e64 v40, 0, v36, s31
	v_cmp_lt_i64_e64 s31, -1, v[36:37]
	v_lshrrev_b64 v[40:41], s43, v[40:41]
	s_delay_alu instid0(VALU_DEP_2) | instskip(NEXT) | instid1(VALU_DEP_2)
	v_cndmask_b32_e64 v42, 0x80000000, -1, s31
	v_and_b32_e32 v2, s51, v40
	v_ashrrev_i32_e32 v40, 31, v37
	s_delay_alu instid0(VALU_DEP_3) | instskip(NEXT) | instid1(VALU_DEP_3)
	v_xor_b32_e32 v37, v42, v37
	v_lshlrev_b32_e32 v2, 2, v2
	s_delay_alu instid0(VALU_DEP_3) | instskip(SKIP_4) | instid1(VALU_DEP_1)
	v_not_b32_e32 v43, v40
	ds_load_b32 v2, v2
	v_xor_b32_e32 v36, v43, v36
	s_waitcnt lgkmcnt(0)
	v_add_nc_u32_e32 v2, v2, v95
	v_lshlrev_b64 v[40:41], 3, v[2:3]
	s_delay_alu instid0(VALU_DEP_1) | instskip(NEXT) | instid1(VALU_DEP_1)
	v_add_co_u32 v40, s31, s46, v40
	v_add_co_ci_u32_e64 v41, s31, s47, v41, s31
	global_store_b64 v[40:41], v[36:37], off
.LBB1229_208:                           ;   in Loop: Header=BB1229_98 Depth=2
	s_or_b32 exec_lo, exec_lo, s61
	s_lshl_b64 s[64:65], s[36:37], 3
	s_delay_alu instid0(SALU_CYCLE_1) | instskip(NEXT) | instid1(VALU_DEP_1)
	v_add_co_u32 v36, s31, v139, s64
	v_add_co_ci_u32_e64 v37, s31, s65, v140, s31
	v_cmp_lt_u32_e64 s31, v138, v177
	s_delay_alu instid0(VALU_DEP_1) | instskip(NEXT) | instid1(SALU_CYCLE_1)
	s_and_saveexec_b32 s36, s31
	s_xor_b32 s31, exec_lo, s36
	s_cbranch_execz .LBB1229_240
; %bb.209:                              ;   in Loop: Header=BB1229_98 Depth=2
	global_load_b64 v[34:35], v[36:37], off
	s_or_b32 exec_lo, exec_lo, s31
	s_delay_alu instid0(SALU_CYCLE_1)
	s_mov_b32 s36, exec_lo
	v_cmpx_lt_u32_e64 v141, v177
	s_cbranch_execnz .LBB1229_241
.LBB1229_210:                           ;   in Loop: Header=BB1229_98 Depth=2
	s_or_b32 exec_lo, exec_lo, s36
	s_delay_alu instid0(SALU_CYCLE_1)
	s_mov_b32 s36, exec_lo
	v_cmpx_lt_u32_e64 v142, v177
	s_cbranch_execz .LBB1229_242
.LBB1229_211:                           ;   in Loop: Header=BB1229_98 Depth=2
	global_load_b64 v[30:31], v[36:37], off offset:512
	s_or_b32 exec_lo, exec_lo, s36
	s_delay_alu instid0(SALU_CYCLE_1)
	s_mov_b32 s36, exec_lo
	v_cmpx_lt_u32_e64 v143, v177
	s_cbranch_execnz .LBB1229_243
.LBB1229_212:                           ;   in Loop: Header=BB1229_98 Depth=2
	s_or_b32 exec_lo, exec_lo, s36
	s_delay_alu instid0(SALU_CYCLE_1)
	s_mov_b32 s36, exec_lo
	v_cmpx_lt_u32_e64 v144, v177
	s_cbranch_execz .LBB1229_244
.LBB1229_213:                           ;   in Loop: Header=BB1229_98 Depth=2
	global_load_b64 v[26:27], v[36:37], off offset:1024
	s_or_b32 exec_lo, exec_lo, s36
	s_delay_alu instid0(SALU_CYCLE_1)
	s_mov_b32 s36, exec_lo
	v_cmpx_lt_u32_e64 v145, v177
	s_cbranch_execnz .LBB1229_245
.LBB1229_214:                           ;   in Loop: Header=BB1229_98 Depth=2
	s_or_b32 exec_lo, exec_lo, s36
	s_delay_alu instid0(SALU_CYCLE_1)
	s_mov_b32 s36, exec_lo
	v_cmpx_lt_u32_e64 v146, v177
	s_cbranch_execz .LBB1229_246
.LBB1229_215:                           ;   in Loop: Header=BB1229_98 Depth=2
	global_load_b64 v[22:23], v[36:37], off offset:1536
	s_or_b32 exec_lo, exec_lo, s36
	s_delay_alu instid0(SALU_CYCLE_1)
	s_mov_b32 s36, exec_lo
	v_cmpx_lt_u32_e64 v147, v177
	s_cbranch_execnz .LBB1229_247
.LBB1229_216:                           ;   in Loop: Header=BB1229_98 Depth=2
	s_or_b32 exec_lo, exec_lo, s36
	s_delay_alu instid0(SALU_CYCLE_1)
	s_mov_b32 s36, exec_lo
	v_cmpx_lt_u32_e64 v148, v177
	s_cbranch_execz .LBB1229_248
.LBB1229_217:                           ;   in Loop: Header=BB1229_98 Depth=2
	global_load_b64 v[18:19], v[36:37], off offset:2048
	s_or_b32 exec_lo, exec_lo, s36
	s_delay_alu instid0(SALU_CYCLE_1)
	s_mov_b32 s36, exec_lo
	v_cmpx_lt_u32_e64 v149, v177
	s_cbranch_execnz .LBB1229_249
.LBB1229_218:                           ;   in Loop: Header=BB1229_98 Depth=2
	s_or_b32 exec_lo, exec_lo, s36
	s_delay_alu instid0(SALU_CYCLE_1)
	s_mov_b32 s36, exec_lo
	v_cmpx_lt_u32_e64 v150, v177
	s_cbranch_execz .LBB1229_250
.LBB1229_219:                           ;   in Loop: Header=BB1229_98 Depth=2
	global_load_b64 v[14:15], v[36:37], off offset:2560
	s_or_b32 exec_lo, exec_lo, s36
	s_delay_alu instid0(SALU_CYCLE_1)
	s_mov_b32 s36, exec_lo
	v_cmpx_lt_u32_e64 v151, v177
	s_cbranch_execnz .LBB1229_251
.LBB1229_220:                           ;   in Loop: Header=BB1229_98 Depth=2
	s_or_b32 exec_lo, exec_lo, s36
	s_delay_alu instid0(SALU_CYCLE_1)
	s_mov_b32 s36, exec_lo
	v_cmpx_lt_u32_e64 v152, v177
	s_cbranch_execz .LBB1229_252
.LBB1229_221:                           ;   in Loop: Header=BB1229_98 Depth=2
	global_load_b64 v[10:11], v[36:37], off offset:3072
	s_or_b32 exec_lo, exec_lo, s36
	s_delay_alu instid0(SALU_CYCLE_1)
	s_mov_b32 s36, exec_lo
	v_cmpx_lt_u32_e64 v153, v177
	s_cbranch_execnz .LBB1229_253
.LBB1229_222:                           ;   in Loop: Header=BB1229_98 Depth=2
	s_or_b32 exec_lo, exec_lo, s36
	s_delay_alu instid0(SALU_CYCLE_1)
	s_mov_b32 s36, exec_lo
	v_cmpx_lt_u32_e64 v154, v177
	s_cbranch_execz .LBB1229_254
.LBB1229_223:                           ;   in Loop: Header=BB1229_98 Depth=2
	global_load_b64 v[6:7], v[36:37], off offset:3584
	s_or_b32 exec_lo, exec_lo, s36
	s_delay_alu instid0(SALU_CYCLE_1)
	s_mov_b32 s36, exec_lo
	v_cmpx_lt_u32_e64 v155, v177
	s_cbranch_execnz .LBB1229_255
.LBB1229_224:                           ;   in Loop: Header=BB1229_98 Depth=2
	s_or_b32 exec_lo, exec_lo, s36
	s_and_saveexec_b32 s36, vcc_lo
	s_cbranch_execz .LBB1229_256
.LBB1229_225:                           ;   in Loop: Header=BB1229_98 Depth=2
	v_add_nc_u32_e32 v2, v104, v76
	ds_load_b64 v[36:37], v2 offset:1024
	s_waitcnt lgkmcnt(0)
	v_cmp_ne_u64_e64 s31, s[40:41], v[36:37]
	s_delay_alu instid0(VALU_DEP_1) | instskip(SKIP_1) | instid1(VALU_DEP_1)
	v_cndmask_b32_e64 v37, 0x80000000, v37, s31
	v_cndmask_b32_e64 v36, 0, v36, s31
	v_lshrrev_b64 v[36:37], s43, v[36:37]
	s_delay_alu instid0(VALU_DEP_1)
	v_and_b32_e32 v176, s51, v36
	s_or_b32 exec_lo, exec_lo, s36
	s_and_saveexec_b32 s36, s16
	s_cbranch_execnz .LBB1229_257
.LBB1229_226:                           ;   in Loop: Header=BB1229_98 Depth=2
	s_or_b32 exec_lo, exec_lo, s36
	s_and_saveexec_b32 s36, s17
	s_cbranch_execz .LBB1229_258
.LBB1229_227:                           ;   in Loop: Header=BB1229_98 Depth=2
	ds_load_b64 v[36:37], v110 offset:4096
	s_waitcnt lgkmcnt(0)
	v_cmp_ne_u64_e64 s31, s[40:41], v[36:37]
	s_delay_alu instid0(VALU_DEP_1) | instskip(SKIP_1) | instid1(VALU_DEP_1)
	v_cndmask_b32_e64 v37, 0x80000000, v37, s31
	v_cndmask_b32_e64 v36, 0, v36, s31
	v_lshrrev_b64 v[36:37], s43, v[36:37]
	s_delay_alu instid0(VALU_DEP_1)
	v_and_b32_e32 v174, s51, v36
	s_or_b32 exec_lo, exec_lo, s36
	s_and_saveexec_b32 s36, s18
	s_cbranch_execnz .LBB1229_259
.LBB1229_228:                           ;   in Loop: Header=BB1229_98 Depth=2
	s_or_b32 exec_lo, exec_lo, s36
	s_and_saveexec_b32 s36, s19
	s_cbranch_execz .LBB1229_260
.LBB1229_229:                           ;   in Loop: Header=BB1229_98 Depth=2
	ds_load_b64 v[36:37], v110 offset:8192
	s_waitcnt lgkmcnt(0)
	v_cmp_ne_u64_e64 s31, s[40:41], v[36:37]
	s_delay_alu instid0(VALU_DEP_1) | instskip(SKIP_1) | instid1(VALU_DEP_1)
	v_cndmask_b32_e64 v37, 0x80000000, v37, s31
	v_cndmask_b32_e64 v36, 0, v36, s31
	v_lshrrev_b64 v[36:37], s43, v[36:37]
	s_delay_alu instid0(VALU_DEP_1)
	v_and_b32_e32 v172, s51, v36
	s_or_b32 exec_lo, exec_lo, s36
	s_and_saveexec_b32 s36, s20
	s_cbranch_execnz .LBB1229_261
.LBB1229_230:                           ;   in Loop: Header=BB1229_98 Depth=2
	s_or_b32 exec_lo, exec_lo, s36
	s_and_saveexec_b32 s36, s21
	s_cbranch_execz .LBB1229_262
.LBB1229_231:                           ;   in Loop: Header=BB1229_98 Depth=2
	ds_load_b64 v[36:37], v110 offset:12288
	s_waitcnt lgkmcnt(0)
	v_cmp_ne_u64_e64 s31, s[40:41], v[36:37]
	s_delay_alu instid0(VALU_DEP_1) | instskip(SKIP_1) | instid1(VALU_DEP_1)
	v_cndmask_b32_e64 v37, 0x80000000, v37, s31
	v_cndmask_b32_e64 v36, 0, v36, s31
	v_lshrrev_b64 v[36:37], s43, v[36:37]
	s_delay_alu instid0(VALU_DEP_1)
	v_and_b32_e32 v170, s51, v36
	s_or_b32 exec_lo, exec_lo, s36
	s_and_saveexec_b32 s36, s22
	s_cbranch_execnz .LBB1229_263
.LBB1229_232:                           ;   in Loop: Header=BB1229_98 Depth=2
	s_or_b32 exec_lo, exec_lo, s36
	s_and_saveexec_b32 s36, s23
	s_cbranch_execz .LBB1229_264
.LBB1229_233:                           ;   in Loop: Header=BB1229_98 Depth=2
	ds_load_b64 v[36:37], v110 offset:16384
	s_waitcnt lgkmcnt(0)
	v_cmp_ne_u64_e64 s31, s[40:41], v[36:37]
	s_delay_alu instid0(VALU_DEP_1) | instskip(SKIP_1) | instid1(VALU_DEP_1)
	v_cndmask_b32_e64 v37, 0x80000000, v37, s31
	v_cndmask_b32_e64 v36, 0, v36, s31
	v_lshrrev_b64 v[36:37], s43, v[36:37]
	s_delay_alu instid0(VALU_DEP_1)
	v_and_b32_e32 v168, s51, v36
	s_or_b32 exec_lo, exec_lo, s36
	s_and_saveexec_b32 s36, s24
	s_cbranch_execnz .LBB1229_265
.LBB1229_234:                           ;   in Loop: Header=BB1229_98 Depth=2
	s_or_b32 exec_lo, exec_lo, s36
	s_and_saveexec_b32 s36, s25
	s_cbranch_execz .LBB1229_266
.LBB1229_235:                           ;   in Loop: Header=BB1229_98 Depth=2
	ds_load_b64 v[36:37], v110 offset:20480
	s_waitcnt lgkmcnt(0)
	v_cmp_ne_u64_e64 s31, s[40:41], v[36:37]
	s_delay_alu instid0(VALU_DEP_1) | instskip(SKIP_1) | instid1(VALU_DEP_1)
	v_cndmask_b32_e64 v37, 0x80000000, v37, s31
	v_cndmask_b32_e64 v36, 0, v36, s31
	v_lshrrev_b64 v[36:37], s43, v[36:37]
	s_delay_alu instid0(VALU_DEP_1)
	v_and_b32_e32 v166, s51, v36
	s_or_b32 exec_lo, exec_lo, s36
	s_and_saveexec_b32 s36, s26
	s_cbranch_execnz .LBB1229_267
.LBB1229_236:                           ;   in Loop: Header=BB1229_98 Depth=2
	s_or_b32 exec_lo, exec_lo, s36
	s_and_saveexec_b32 s36, s27
	s_cbranch_execz .LBB1229_268
.LBB1229_237:                           ;   in Loop: Header=BB1229_98 Depth=2
	ds_load_b64 v[36:37], v110 offset:24576
	s_waitcnt lgkmcnt(0)
	v_cmp_ne_u64_e64 s31, s[40:41], v[36:37]
	s_delay_alu instid0(VALU_DEP_1) | instskip(SKIP_1) | instid1(VALU_DEP_1)
	v_cndmask_b32_e64 v37, 0x80000000, v37, s31
	v_cndmask_b32_e64 v36, 0, v36, s31
	v_lshrrev_b64 v[36:37], s43, v[36:37]
	s_delay_alu instid0(VALU_DEP_1)
	v_and_b32_e32 v164, s51, v36
	s_or_b32 exec_lo, exec_lo, s36
	s_and_saveexec_b32 s36, s28
	s_cbranch_execnz .LBB1229_269
.LBB1229_238:                           ;   in Loop: Header=BB1229_98 Depth=2
	s_or_b32 exec_lo, exec_lo, s36
	s_and_saveexec_b32 s36, s29
	s_cbranch_execz .LBB1229_270
.LBB1229_239:                           ;   in Loop: Header=BB1229_98 Depth=2
	ds_load_b64 v[36:37], v110 offset:28672
	s_waitcnt lgkmcnt(0)
	v_cmp_ne_u64_e64 s31, s[40:41], v[36:37]
	s_delay_alu instid0(VALU_DEP_1) | instskip(SKIP_1) | instid1(VALU_DEP_1)
	v_cndmask_b32_e64 v37, 0x80000000, v37, s31
	v_cndmask_b32_e64 v36, 0, v36, s31
	v_lshrrev_b64 v[36:37], s43, v[36:37]
	s_delay_alu instid0(VALU_DEP_1)
	v_and_b32_e32 v162, s51, v36
	s_or_b32 exec_lo, exec_lo, s36
	s_and_saveexec_b32 s36, s30
	s_cbranch_execnz .LBB1229_271
	s_branch .LBB1229_272
.LBB1229_240:                           ;   in Loop: Header=BB1229_98 Depth=2
	s_or_b32 exec_lo, exec_lo, s31
	s_delay_alu instid0(SALU_CYCLE_1)
	s_mov_b32 s36, exec_lo
	v_cmpx_lt_u32_e64 v141, v177
	s_cbranch_execz .LBB1229_210
.LBB1229_241:                           ;   in Loop: Header=BB1229_98 Depth=2
	global_load_b64 v[32:33], v[36:37], off offset:256
	s_or_b32 exec_lo, exec_lo, s36
	s_delay_alu instid0(SALU_CYCLE_1)
	s_mov_b32 s36, exec_lo
	v_cmpx_lt_u32_e64 v142, v177
	s_cbranch_execnz .LBB1229_211
.LBB1229_242:                           ;   in Loop: Header=BB1229_98 Depth=2
	s_or_b32 exec_lo, exec_lo, s36
	s_delay_alu instid0(SALU_CYCLE_1)
	s_mov_b32 s36, exec_lo
	v_cmpx_lt_u32_e64 v143, v177
	s_cbranch_execz .LBB1229_212
.LBB1229_243:                           ;   in Loop: Header=BB1229_98 Depth=2
	global_load_b64 v[28:29], v[36:37], off offset:768
	s_or_b32 exec_lo, exec_lo, s36
	s_delay_alu instid0(SALU_CYCLE_1)
	s_mov_b32 s36, exec_lo
	v_cmpx_lt_u32_e64 v144, v177
	s_cbranch_execnz .LBB1229_213
.LBB1229_244:                           ;   in Loop: Header=BB1229_98 Depth=2
	s_or_b32 exec_lo, exec_lo, s36
	s_delay_alu instid0(SALU_CYCLE_1)
	s_mov_b32 s36, exec_lo
	v_cmpx_lt_u32_e64 v145, v177
	s_cbranch_execz .LBB1229_214
.LBB1229_245:                           ;   in Loop: Header=BB1229_98 Depth=2
	global_load_b64 v[24:25], v[36:37], off offset:1280
	s_or_b32 exec_lo, exec_lo, s36
	s_delay_alu instid0(SALU_CYCLE_1)
	s_mov_b32 s36, exec_lo
	v_cmpx_lt_u32_e64 v146, v177
	s_cbranch_execnz .LBB1229_215
.LBB1229_246:                           ;   in Loop: Header=BB1229_98 Depth=2
	s_or_b32 exec_lo, exec_lo, s36
	s_delay_alu instid0(SALU_CYCLE_1)
	s_mov_b32 s36, exec_lo
	v_cmpx_lt_u32_e64 v147, v177
	s_cbranch_execz .LBB1229_216
.LBB1229_247:                           ;   in Loop: Header=BB1229_98 Depth=2
	global_load_b64 v[20:21], v[36:37], off offset:1792
	s_or_b32 exec_lo, exec_lo, s36
	s_delay_alu instid0(SALU_CYCLE_1)
	s_mov_b32 s36, exec_lo
	v_cmpx_lt_u32_e64 v148, v177
	s_cbranch_execnz .LBB1229_217
.LBB1229_248:                           ;   in Loop: Header=BB1229_98 Depth=2
	s_or_b32 exec_lo, exec_lo, s36
	s_delay_alu instid0(SALU_CYCLE_1)
	s_mov_b32 s36, exec_lo
	v_cmpx_lt_u32_e64 v149, v177
	s_cbranch_execz .LBB1229_218
.LBB1229_249:                           ;   in Loop: Header=BB1229_98 Depth=2
	global_load_b64 v[16:17], v[36:37], off offset:2304
	s_or_b32 exec_lo, exec_lo, s36
	s_delay_alu instid0(SALU_CYCLE_1)
	s_mov_b32 s36, exec_lo
	v_cmpx_lt_u32_e64 v150, v177
	s_cbranch_execnz .LBB1229_219
.LBB1229_250:                           ;   in Loop: Header=BB1229_98 Depth=2
	s_or_b32 exec_lo, exec_lo, s36
	s_delay_alu instid0(SALU_CYCLE_1)
	s_mov_b32 s36, exec_lo
	v_cmpx_lt_u32_e64 v151, v177
	s_cbranch_execz .LBB1229_220
.LBB1229_251:                           ;   in Loop: Header=BB1229_98 Depth=2
	global_load_b64 v[12:13], v[36:37], off offset:2816
	s_or_b32 exec_lo, exec_lo, s36
	s_delay_alu instid0(SALU_CYCLE_1)
	s_mov_b32 s36, exec_lo
	v_cmpx_lt_u32_e64 v152, v177
	s_cbranch_execnz .LBB1229_221
.LBB1229_252:                           ;   in Loop: Header=BB1229_98 Depth=2
	s_or_b32 exec_lo, exec_lo, s36
	s_delay_alu instid0(SALU_CYCLE_1)
	s_mov_b32 s36, exec_lo
	v_cmpx_lt_u32_e64 v153, v177
	s_cbranch_execz .LBB1229_222
.LBB1229_253:                           ;   in Loop: Header=BB1229_98 Depth=2
	global_load_b64 v[8:9], v[36:37], off offset:3328
	s_or_b32 exec_lo, exec_lo, s36
	s_delay_alu instid0(SALU_CYCLE_1)
	s_mov_b32 s36, exec_lo
	v_cmpx_lt_u32_e64 v154, v177
	s_cbranch_execnz .LBB1229_223
.LBB1229_254:                           ;   in Loop: Header=BB1229_98 Depth=2
	s_or_b32 exec_lo, exec_lo, s36
	s_delay_alu instid0(SALU_CYCLE_1)
	s_mov_b32 s36, exec_lo
	v_cmpx_lt_u32_e64 v155, v177
	s_cbranch_execz .LBB1229_224
.LBB1229_255:                           ;   in Loop: Header=BB1229_98 Depth=2
	global_load_b64 v[4:5], v[36:37], off offset:3840
	s_or_b32 exec_lo, exec_lo, s36
	s_and_saveexec_b32 s36, vcc_lo
	s_cbranch_execnz .LBB1229_225
.LBB1229_256:                           ;   in Loop: Header=BB1229_98 Depth=2
	s_or_b32 exec_lo, exec_lo, s36
	s_and_saveexec_b32 s36, s16
	s_cbranch_execz .LBB1229_226
.LBB1229_257:                           ;   in Loop: Header=BB1229_98 Depth=2
	ds_load_b64 v[36:37], v110 offset:2048
	s_waitcnt lgkmcnt(0)
	v_cmp_ne_u64_e64 s31, s[40:41], v[36:37]
	s_delay_alu instid0(VALU_DEP_1) | instskip(SKIP_1) | instid1(VALU_DEP_1)
	v_cndmask_b32_e64 v37, 0x80000000, v37, s31
	v_cndmask_b32_e64 v36, 0, v36, s31
	v_lshrrev_b64 v[36:37], s43, v[36:37]
	s_delay_alu instid0(VALU_DEP_1)
	v_and_b32_e32 v175, s51, v36
	s_or_b32 exec_lo, exec_lo, s36
	s_and_saveexec_b32 s36, s17
	s_cbranch_execnz .LBB1229_227
.LBB1229_258:                           ;   in Loop: Header=BB1229_98 Depth=2
	s_or_b32 exec_lo, exec_lo, s36
	s_and_saveexec_b32 s36, s18
	s_cbranch_execz .LBB1229_228
.LBB1229_259:                           ;   in Loop: Header=BB1229_98 Depth=2
	ds_load_b64 v[36:37], v110 offset:6144
	s_waitcnt lgkmcnt(0)
	v_cmp_ne_u64_e64 s31, s[40:41], v[36:37]
	s_delay_alu instid0(VALU_DEP_1) | instskip(SKIP_1) | instid1(VALU_DEP_1)
	v_cndmask_b32_e64 v37, 0x80000000, v37, s31
	v_cndmask_b32_e64 v36, 0, v36, s31
	v_lshrrev_b64 v[36:37], s43, v[36:37]
	s_delay_alu instid0(VALU_DEP_1)
	v_and_b32_e32 v173, s51, v36
	s_or_b32 exec_lo, exec_lo, s36
	s_and_saveexec_b32 s36, s19
	s_cbranch_execnz .LBB1229_229
.LBB1229_260:                           ;   in Loop: Header=BB1229_98 Depth=2
	s_or_b32 exec_lo, exec_lo, s36
	s_and_saveexec_b32 s36, s20
	s_cbranch_execz .LBB1229_230
.LBB1229_261:                           ;   in Loop: Header=BB1229_98 Depth=2
	ds_load_b64 v[36:37], v110 offset:10240
	s_waitcnt lgkmcnt(0)
	v_cmp_ne_u64_e64 s31, s[40:41], v[36:37]
	s_delay_alu instid0(VALU_DEP_1) | instskip(SKIP_1) | instid1(VALU_DEP_1)
	v_cndmask_b32_e64 v37, 0x80000000, v37, s31
	v_cndmask_b32_e64 v36, 0, v36, s31
	v_lshrrev_b64 v[36:37], s43, v[36:37]
	s_delay_alu instid0(VALU_DEP_1)
	v_and_b32_e32 v171, s51, v36
	s_or_b32 exec_lo, exec_lo, s36
	s_and_saveexec_b32 s36, s21
	s_cbranch_execnz .LBB1229_231
.LBB1229_262:                           ;   in Loop: Header=BB1229_98 Depth=2
	s_or_b32 exec_lo, exec_lo, s36
	s_and_saveexec_b32 s36, s22
	s_cbranch_execz .LBB1229_232
.LBB1229_263:                           ;   in Loop: Header=BB1229_98 Depth=2
	ds_load_b64 v[36:37], v110 offset:14336
	s_waitcnt lgkmcnt(0)
	v_cmp_ne_u64_e64 s31, s[40:41], v[36:37]
	s_delay_alu instid0(VALU_DEP_1) | instskip(SKIP_1) | instid1(VALU_DEP_1)
	v_cndmask_b32_e64 v37, 0x80000000, v37, s31
	v_cndmask_b32_e64 v36, 0, v36, s31
	v_lshrrev_b64 v[36:37], s43, v[36:37]
	s_delay_alu instid0(VALU_DEP_1)
	v_and_b32_e32 v169, s51, v36
	s_or_b32 exec_lo, exec_lo, s36
	s_and_saveexec_b32 s36, s23
	s_cbranch_execnz .LBB1229_233
.LBB1229_264:                           ;   in Loop: Header=BB1229_98 Depth=2
	s_or_b32 exec_lo, exec_lo, s36
	s_and_saveexec_b32 s36, s24
	s_cbranch_execz .LBB1229_234
.LBB1229_265:                           ;   in Loop: Header=BB1229_98 Depth=2
	ds_load_b64 v[36:37], v110 offset:18432
	s_waitcnt lgkmcnt(0)
	v_cmp_ne_u64_e64 s31, s[40:41], v[36:37]
	s_delay_alu instid0(VALU_DEP_1) | instskip(SKIP_1) | instid1(VALU_DEP_1)
	v_cndmask_b32_e64 v37, 0x80000000, v37, s31
	v_cndmask_b32_e64 v36, 0, v36, s31
	v_lshrrev_b64 v[36:37], s43, v[36:37]
	s_delay_alu instid0(VALU_DEP_1)
	v_and_b32_e32 v167, s51, v36
	s_or_b32 exec_lo, exec_lo, s36
	s_and_saveexec_b32 s36, s25
	s_cbranch_execnz .LBB1229_235
.LBB1229_266:                           ;   in Loop: Header=BB1229_98 Depth=2
	s_or_b32 exec_lo, exec_lo, s36
	s_and_saveexec_b32 s36, s26
	s_cbranch_execz .LBB1229_236
.LBB1229_267:                           ;   in Loop: Header=BB1229_98 Depth=2
	ds_load_b64 v[36:37], v110 offset:22528
	s_waitcnt lgkmcnt(0)
	v_cmp_ne_u64_e64 s31, s[40:41], v[36:37]
	s_delay_alu instid0(VALU_DEP_1) | instskip(SKIP_1) | instid1(VALU_DEP_1)
	v_cndmask_b32_e64 v37, 0x80000000, v37, s31
	v_cndmask_b32_e64 v36, 0, v36, s31
	v_lshrrev_b64 v[36:37], s43, v[36:37]
	s_delay_alu instid0(VALU_DEP_1)
	v_and_b32_e32 v165, s51, v36
	s_or_b32 exec_lo, exec_lo, s36
	s_and_saveexec_b32 s36, s27
	s_cbranch_execnz .LBB1229_237
.LBB1229_268:                           ;   in Loop: Header=BB1229_98 Depth=2
	s_or_b32 exec_lo, exec_lo, s36
	s_and_saveexec_b32 s36, s28
	s_cbranch_execz .LBB1229_238
.LBB1229_269:                           ;   in Loop: Header=BB1229_98 Depth=2
	ds_load_b64 v[36:37], v110 offset:26624
	s_waitcnt lgkmcnt(0)
	v_cmp_ne_u64_e64 s31, s[40:41], v[36:37]
	s_delay_alu instid0(VALU_DEP_1) | instskip(SKIP_1) | instid1(VALU_DEP_1)
	v_cndmask_b32_e64 v37, 0x80000000, v37, s31
	v_cndmask_b32_e64 v36, 0, v36, s31
	v_lshrrev_b64 v[36:37], s43, v[36:37]
	s_delay_alu instid0(VALU_DEP_1)
	v_and_b32_e32 v163, s51, v36
	s_or_b32 exec_lo, exec_lo, s36
	s_and_saveexec_b32 s36, s29
	s_cbranch_execnz .LBB1229_239
.LBB1229_270:                           ;   in Loop: Header=BB1229_98 Depth=2
	s_or_b32 exec_lo, exec_lo, s36
	s_and_saveexec_b32 s36, s30
	s_cbranch_execz .LBB1229_272
.LBB1229_271:                           ;   in Loop: Header=BB1229_98 Depth=2
	ds_load_b64 v[36:37], v110 offset:30720
	s_waitcnt lgkmcnt(0)
	v_cmp_ne_u64_e64 s31, s[40:41], v[36:37]
	s_delay_alu instid0(VALU_DEP_1) | instskip(SKIP_1) | instid1(VALU_DEP_1)
	v_cndmask_b32_e64 v37, 0x80000000, v37, s31
	v_cndmask_b32_e64 v36, 0, v36, s31
	v_lshrrev_b64 v[36:37], s43, v[36:37]
	s_delay_alu instid0(VALU_DEP_1)
	v_and_b32_e32 v161, s51, v36
.LBB1229_272:                           ;   in Loop: Header=BB1229_98 Depth=2
	s_or_b32 exec_lo, exec_lo, s36
	v_add_nc_u32_e32 v2, 0x400, v69
	v_add_nc_u32_e32 v36, 0x400, v70
	;; [unrolled: 1-line block ×16, first 2 shown]
	s_waitcnt vmcnt(0)
	s_waitcnt_vscnt null, 0x0
	s_barrier
	buffer_gl0_inv
	ds_store_b64 v2, v[34:35]
	ds_store_b64 v36, v[32:33]
	;; [unrolled: 1-line block ×16, first 2 shown]
	s_waitcnt lgkmcnt(0)
	s_barrier
	buffer_gl0_inv
	s_and_saveexec_b32 s31, vcc_lo
	s_cbranch_execz .LBB1229_288
; %bb.273:                              ;   in Loop: Header=BB1229_98 Depth=2
	v_lshlrev_b32_e32 v2, 2, v176
	v_add_nc_u32_e32 v36, v104, v76
	ds_load_b32 v2, v2
	ds_load_b64 v[36:37], v36 offset:1024
	s_waitcnt lgkmcnt(1)
	v_add_nc_u32_e32 v2, v2, v1
	s_delay_alu instid0(VALU_DEP_1) | instskip(NEXT) | instid1(VALU_DEP_1)
	v_lshlrev_b64 v[38:39], 3, v[2:3]
	v_add_co_u32 v38, vcc_lo, s52, v38
	s_delay_alu instid0(VALU_DEP_2)
	v_add_co_ci_u32_e32 v39, vcc_lo, s53, v39, vcc_lo
	s_waitcnt lgkmcnt(0)
	global_store_b64 v[38:39], v[36:37], off
	s_or_b32 exec_lo, exec_lo, s31
	s_and_saveexec_b32 s31, s16
	s_cbranch_execnz .LBB1229_289
.LBB1229_274:                           ;   in Loop: Header=BB1229_98 Depth=2
	s_or_b32 exec_lo, exec_lo, s31
	s_and_saveexec_b32 s16, s17
	s_cbranch_execz .LBB1229_290
.LBB1229_275:                           ;   in Loop: Header=BB1229_98 Depth=2
	v_lshlrev_b32_e32 v2, 2, v174
	ds_load_b32 v2, v2
	ds_load_b64 v[36:37], v110 offset:4096
	s_waitcnt lgkmcnt(1)
	v_add_nc_u32_e32 v2, v2, v78
	s_delay_alu instid0(VALU_DEP_1) | instskip(NEXT) | instid1(VALU_DEP_1)
	v_lshlrev_b64 v[38:39], 3, v[2:3]
	v_add_co_u32 v38, vcc_lo, s52, v38
	s_delay_alu instid0(VALU_DEP_2)
	v_add_co_ci_u32_e32 v39, vcc_lo, s53, v39, vcc_lo
	s_waitcnt lgkmcnt(0)
	global_store_b64 v[38:39], v[36:37], off
	s_or_b32 exec_lo, exec_lo, s16
	s_and_saveexec_b32 s16, s18
	s_cbranch_execnz .LBB1229_291
.LBB1229_276:                           ;   in Loop: Header=BB1229_98 Depth=2
	s_or_b32 exec_lo, exec_lo, s16
	s_and_saveexec_b32 s16, s19
	s_cbranch_execz .LBB1229_292
.LBB1229_277:                           ;   in Loop: Header=BB1229_98 Depth=2
	v_lshlrev_b32_e32 v2, 2, v172
	ds_load_b32 v2, v2
	ds_load_b64 v[36:37], v110 offset:8192
	s_waitcnt lgkmcnt(1)
	v_add_nc_u32_e32 v2, v2, v83
	s_delay_alu instid0(VALU_DEP_1) | instskip(NEXT) | instid1(VALU_DEP_1)
	v_lshlrev_b64 v[38:39], 3, v[2:3]
	v_add_co_u32 v38, vcc_lo, s52, v38
	s_delay_alu instid0(VALU_DEP_2)
	v_add_co_ci_u32_e32 v39, vcc_lo, s53, v39, vcc_lo
	s_waitcnt lgkmcnt(0)
	global_store_b64 v[38:39], v[36:37], off
	s_or_b32 exec_lo, exec_lo, s16
	s_and_saveexec_b32 s16, s20
	s_cbranch_execnz .LBB1229_293
.LBB1229_278:                           ;   in Loop: Header=BB1229_98 Depth=2
	s_or_b32 exec_lo, exec_lo, s16
	s_and_saveexec_b32 s16, s21
	s_cbranch_execz .LBB1229_294
.LBB1229_279:                           ;   in Loop: Header=BB1229_98 Depth=2
	v_lshlrev_b32_e32 v2, 2, v170
	ds_load_b32 v2, v2
	ds_load_b64 v[36:37], v110 offset:12288
	s_waitcnt lgkmcnt(1)
	v_add_nc_u32_e32 v2, v2, v85
	s_delay_alu instid0(VALU_DEP_1) | instskip(NEXT) | instid1(VALU_DEP_1)
	v_lshlrev_b64 v[38:39], 3, v[2:3]
	v_add_co_u32 v38, vcc_lo, s52, v38
	s_delay_alu instid0(VALU_DEP_2)
	v_add_co_ci_u32_e32 v39, vcc_lo, s53, v39, vcc_lo
	s_waitcnt lgkmcnt(0)
	global_store_b64 v[38:39], v[36:37], off
	s_or_b32 exec_lo, exec_lo, s16
	s_and_saveexec_b32 s16, s22
	s_cbranch_execnz .LBB1229_295
.LBB1229_280:                           ;   in Loop: Header=BB1229_98 Depth=2
	s_or_b32 exec_lo, exec_lo, s16
	s_and_saveexec_b32 s16, s23
	s_cbranch_execz .LBB1229_296
.LBB1229_281:                           ;   in Loop: Header=BB1229_98 Depth=2
	v_lshlrev_b32_e32 v2, 2, v168
	ds_load_b32 v2, v2
	ds_load_b64 v[36:37], v110 offset:16384
	s_waitcnt lgkmcnt(1)
	v_add_nc_u32_e32 v2, v2, v87
	s_delay_alu instid0(VALU_DEP_1) | instskip(NEXT) | instid1(VALU_DEP_1)
	v_lshlrev_b64 v[38:39], 3, v[2:3]
	v_add_co_u32 v38, vcc_lo, s52, v38
	s_delay_alu instid0(VALU_DEP_2)
	v_add_co_ci_u32_e32 v39, vcc_lo, s53, v39, vcc_lo
	s_waitcnt lgkmcnt(0)
	global_store_b64 v[38:39], v[36:37], off
	s_or_b32 exec_lo, exec_lo, s16
	s_and_saveexec_b32 s16, s24
	s_cbranch_execnz .LBB1229_297
.LBB1229_282:                           ;   in Loop: Header=BB1229_98 Depth=2
	s_or_b32 exec_lo, exec_lo, s16
	s_and_saveexec_b32 s16, s25
	s_cbranch_execz .LBB1229_298
.LBB1229_283:                           ;   in Loop: Header=BB1229_98 Depth=2
	v_lshlrev_b32_e32 v2, 2, v166
	ds_load_b32 v2, v2
	ds_load_b64 v[36:37], v110 offset:20480
	s_waitcnt lgkmcnt(1)
	v_add_nc_u32_e32 v2, v2, v89
	s_delay_alu instid0(VALU_DEP_1) | instskip(NEXT) | instid1(VALU_DEP_1)
	v_lshlrev_b64 v[38:39], 3, v[2:3]
	v_add_co_u32 v38, vcc_lo, s52, v38
	s_delay_alu instid0(VALU_DEP_2)
	v_add_co_ci_u32_e32 v39, vcc_lo, s53, v39, vcc_lo
	s_waitcnt lgkmcnt(0)
	global_store_b64 v[38:39], v[36:37], off
	s_or_b32 exec_lo, exec_lo, s16
	s_and_saveexec_b32 s16, s26
	s_cbranch_execnz .LBB1229_299
.LBB1229_284:                           ;   in Loop: Header=BB1229_98 Depth=2
	s_or_b32 exec_lo, exec_lo, s16
	s_and_saveexec_b32 s16, s27
	s_cbranch_execz .LBB1229_300
.LBB1229_285:                           ;   in Loop: Header=BB1229_98 Depth=2
	v_lshlrev_b32_e32 v2, 2, v164
	ds_load_b32 v2, v2
	ds_load_b64 v[36:37], v110 offset:24576
	s_waitcnt lgkmcnt(1)
	v_add_nc_u32_e32 v2, v2, v91
	s_delay_alu instid0(VALU_DEP_1) | instskip(NEXT) | instid1(VALU_DEP_1)
	v_lshlrev_b64 v[38:39], 3, v[2:3]
	v_add_co_u32 v38, vcc_lo, s52, v38
	s_delay_alu instid0(VALU_DEP_2)
	v_add_co_ci_u32_e32 v39, vcc_lo, s53, v39, vcc_lo
	s_waitcnt lgkmcnt(0)
	global_store_b64 v[38:39], v[36:37], off
	s_or_b32 exec_lo, exec_lo, s16
	s_and_saveexec_b32 s16, s28
	s_cbranch_execnz .LBB1229_301
.LBB1229_286:                           ;   in Loop: Header=BB1229_98 Depth=2
	s_or_b32 exec_lo, exec_lo, s16
	s_and_saveexec_b32 s16, s29
	s_cbranch_execz .LBB1229_302
.LBB1229_287:                           ;   in Loop: Header=BB1229_98 Depth=2
	v_lshlrev_b32_e32 v2, 2, v162
	ds_load_b32 v2, v2
	ds_load_b64 v[36:37], v110 offset:28672
	s_waitcnt lgkmcnt(1)
	v_add_nc_u32_e32 v2, v2, v93
	s_delay_alu instid0(VALU_DEP_1) | instskip(NEXT) | instid1(VALU_DEP_1)
	v_lshlrev_b64 v[38:39], 3, v[2:3]
	v_add_co_u32 v38, vcc_lo, s52, v38
	s_delay_alu instid0(VALU_DEP_2)
	v_add_co_ci_u32_e32 v39, vcc_lo, s53, v39, vcc_lo
	s_waitcnt lgkmcnt(0)
	global_store_b64 v[38:39], v[36:37], off
	s_or_b32 exec_lo, exec_lo, s16
	s_and_saveexec_b32 s16, s30
	s_cbranch_execnz .LBB1229_303
	s_branch .LBB1229_304
.LBB1229_288:                           ;   in Loop: Header=BB1229_98 Depth=2
	s_or_b32 exec_lo, exec_lo, s31
	s_and_saveexec_b32 s31, s16
	s_cbranch_execz .LBB1229_274
.LBB1229_289:                           ;   in Loop: Header=BB1229_98 Depth=2
	v_lshlrev_b32_e32 v2, 2, v175
	ds_load_b32 v2, v2
	ds_load_b64 v[36:37], v110 offset:2048
	s_waitcnt lgkmcnt(1)
	v_add_nc_u32_e32 v2, v2, v77
	s_delay_alu instid0(VALU_DEP_1) | instskip(NEXT) | instid1(VALU_DEP_1)
	v_lshlrev_b64 v[38:39], 3, v[2:3]
	v_add_co_u32 v38, vcc_lo, s52, v38
	s_delay_alu instid0(VALU_DEP_2)
	v_add_co_ci_u32_e32 v39, vcc_lo, s53, v39, vcc_lo
	s_waitcnt lgkmcnt(0)
	global_store_b64 v[38:39], v[36:37], off
	s_or_b32 exec_lo, exec_lo, s31
	s_and_saveexec_b32 s16, s17
	s_cbranch_execnz .LBB1229_275
.LBB1229_290:                           ;   in Loop: Header=BB1229_98 Depth=2
	s_or_b32 exec_lo, exec_lo, s16
	s_and_saveexec_b32 s16, s18
	s_cbranch_execz .LBB1229_276
.LBB1229_291:                           ;   in Loop: Header=BB1229_98 Depth=2
	v_lshlrev_b32_e32 v2, 2, v173
	ds_load_b32 v2, v2
	ds_load_b64 v[36:37], v110 offset:6144
	s_waitcnt lgkmcnt(1)
	v_add_nc_u32_e32 v2, v2, v79
	s_delay_alu instid0(VALU_DEP_1) | instskip(NEXT) | instid1(VALU_DEP_1)
	v_lshlrev_b64 v[38:39], 3, v[2:3]
	v_add_co_u32 v38, vcc_lo, s52, v38
	s_delay_alu instid0(VALU_DEP_2)
	v_add_co_ci_u32_e32 v39, vcc_lo, s53, v39, vcc_lo
	s_waitcnt lgkmcnt(0)
	global_store_b64 v[38:39], v[36:37], off
	s_or_b32 exec_lo, exec_lo, s16
	s_and_saveexec_b32 s16, s19
	s_cbranch_execnz .LBB1229_277
.LBB1229_292:                           ;   in Loop: Header=BB1229_98 Depth=2
	s_or_b32 exec_lo, exec_lo, s16
	s_and_saveexec_b32 s16, s20
	s_cbranch_execz .LBB1229_278
.LBB1229_293:                           ;   in Loop: Header=BB1229_98 Depth=2
	v_lshlrev_b32_e32 v2, 2, v171
	ds_load_b32 v2, v2
	ds_load_b64 v[36:37], v110 offset:10240
	s_waitcnt lgkmcnt(1)
	v_add_nc_u32_e32 v2, v2, v84
	s_delay_alu instid0(VALU_DEP_1) | instskip(NEXT) | instid1(VALU_DEP_1)
	v_lshlrev_b64 v[38:39], 3, v[2:3]
	v_add_co_u32 v38, vcc_lo, s52, v38
	s_delay_alu instid0(VALU_DEP_2)
	v_add_co_ci_u32_e32 v39, vcc_lo, s53, v39, vcc_lo
	s_waitcnt lgkmcnt(0)
	global_store_b64 v[38:39], v[36:37], off
	s_or_b32 exec_lo, exec_lo, s16
	s_and_saveexec_b32 s16, s21
	s_cbranch_execnz .LBB1229_279
.LBB1229_294:                           ;   in Loop: Header=BB1229_98 Depth=2
	s_or_b32 exec_lo, exec_lo, s16
	s_and_saveexec_b32 s16, s22
	s_cbranch_execz .LBB1229_280
.LBB1229_295:                           ;   in Loop: Header=BB1229_98 Depth=2
	v_lshlrev_b32_e32 v2, 2, v169
	ds_load_b32 v2, v2
	ds_load_b64 v[36:37], v110 offset:14336
	s_waitcnt lgkmcnt(1)
	v_add_nc_u32_e32 v2, v2, v86
	s_delay_alu instid0(VALU_DEP_1) | instskip(NEXT) | instid1(VALU_DEP_1)
	v_lshlrev_b64 v[38:39], 3, v[2:3]
	v_add_co_u32 v38, vcc_lo, s52, v38
	s_delay_alu instid0(VALU_DEP_2)
	v_add_co_ci_u32_e32 v39, vcc_lo, s53, v39, vcc_lo
	s_waitcnt lgkmcnt(0)
	global_store_b64 v[38:39], v[36:37], off
	s_or_b32 exec_lo, exec_lo, s16
	s_and_saveexec_b32 s16, s23
	s_cbranch_execnz .LBB1229_281
.LBB1229_296:                           ;   in Loop: Header=BB1229_98 Depth=2
	s_or_b32 exec_lo, exec_lo, s16
	s_and_saveexec_b32 s16, s24
	s_cbranch_execz .LBB1229_282
.LBB1229_297:                           ;   in Loop: Header=BB1229_98 Depth=2
	v_lshlrev_b32_e32 v2, 2, v167
	ds_load_b32 v2, v2
	ds_load_b64 v[36:37], v110 offset:18432
	s_waitcnt lgkmcnt(1)
	v_add_nc_u32_e32 v2, v2, v88
	s_delay_alu instid0(VALU_DEP_1) | instskip(NEXT) | instid1(VALU_DEP_1)
	v_lshlrev_b64 v[38:39], 3, v[2:3]
	v_add_co_u32 v38, vcc_lo, s52, v38
	s_delay_alu instid0(VALU_DEP_2)
	v_add_co_ci_u32_e32 v39, vcc_lo, s53, v39, vcc_lo
	s_waitcnt lgkmcnt(0)
	global_store_b64 v[38:39], v[36:37], off
	s_or_b32 exec_lo, exec_lo, s16
	s_and_saveexec_b32 s16, s25
	s_cbranch_execnz .LBB1229_283
.LBB1229_298:                           ;   in Loop: Header=BB1229_98 Depth=2
	s_or_b32 exec_lo, exec_lo, s16
	s_and_saveexec_b32 s16, s26
	s_cbranch_execz .LBB1229_284
.LBB1229_299:                           ;   in Loop: Header=BB1229_98 Depth=2
	v_lshlrev_b32_e32 v2, 2, v165
	ds_load_b32 v2, v2
	ds_load_b64 v[36:37], v110 offset:22528
	s_waitcnt lgkmcnt(1)
	v_add_nc_u32_e32 v2, v2, v90
	s_delay_alu instid0(VALU_DEP_1) | instskip(NEXT) | instid1(VALU_DEP_1)
	v_lshlrev_b64 v[38:39], 3, v[2:3]
	v_add_co_u32 v38, vcc_lo, s52, v38
	s_delay_alu instid0(VALU_DEP_2)
	v_add_co_ci_u32_e32 v39, vcc_lo, s53, v39, vcc_lo
	s_waitcnt lgkmcnt(0)
	global_store_b64 v[38:39], v[36:37], off
	s_or_b32 exec_lo, exec_lo, s16
	s_and_saveexec_b32 s16, s27
	s_cbranch_execnz .LBB1229_285
.LBB1229_300:                           ;   in Loop: Header=BB1229_98 Depth=2
	s_or_b32 exec_lo, exec_lo, s16
	s_and_saveexec_b32 s16, s28
	s_cbranch_execz .LBB1229_286
.LBB1229_301:                           ;   in Loop: Header=BB1229_98 Depth=2
	v_lshlrev_b32_e32 v2, 2, v163
	ds_load_b32 v2, v2
	ds_load_b64 v[36:37], v110 offset:26624
	s_waitcnt lgkmcnt(1)
	v_add_nc_u32_e32 v2, v2, v92
	s_delay_alu instid0(VALU_DEP_1) | instskip(NEXT) | instid1(VALU_DEP_1)
	v_lshlrev_b64 v[38:39], 3, v[2:3]
	v_add_co_u32 v38, vcc_lo, s52, v38
	s_delay_alu instid0(VALU_DEP_2)
	v_add_co_ci_u32_e32 v39, vcc_lo, s53, v39, vcc_lo
	s_waitcnt lgkmcnt(0)
	global_store_b64 v[38:39], v[36:37], off
	s_or_b32 exec_lo, exec_lo, s16
	s_and_saveexec_b32 s16, s29
	s_cbranch_execnz .LBB1229_287
.LBB1229_302:                           ;   in Loop: Header=BB1229_98 Depth=2
	s_or_b32 exec_lo, exec_lo, s16
	s_and_saveexec_b32 s16, s30
	s_cbranch_execz .LBB1229_304
.LBB1229_303:                           ;   in Loop: Header=BB1229_98 Depth=2
	v_lshlrev_b32_e32 v2, 2, v161
	ds_load_b32 v2, v2
	ds_load_b64 v[36:37], v110 offset:30720
	s_waitcnt lgkmcnt(1)
	v_add_nc_u32_e32 v2, v2, v95
	s_delay_alu instid0(VALU_DEP_1) | instskip(NEXT) | instid1(VALU_DEP_1)
	v_lshlrev_b64 v[38:39], 3, v[2:3]
	v_add_co_u32 v38, vcc_lo, s52, v38
	s_delay_alu instid0(VALU_DEP_2)
	v_add_co_ci_u32_e32 v39, vcc_lo, s53, v39, vcc_lo
	s_waitcnt lgkmcnt(0)
	global_store_b64 v[38:39], v[36:37], off
.LBB1229_304:                           ;   in Loop: Header=BB1229_98 Depth=2
	s_or_b32 exec_lo, exec_lo, s16
	s_waitcnt_vscnt null, 0x0
	s_barrier
	buffer_gl0_inv
	s_and_saveexec_b32 s16, s2
	s_cbranch_execz .LBB1229_97
; %bb.305:                              ;   in Loop: Header=BB1229_98 Depth=2
	ds_load_b32 v2, v76
	s_waitcnt lgkmcnt(0)
	v_add_nc_u32_e32 v2, v2, v68
	ds_store_b32 v76, v2
	s_branch .LBB1229_97
.LBB1229_306:                           ;   in Loop: Header=BB1229_12 Depth=1
	s_waitcnt lgkmcnt(0)
	s_mov_b32 s1, 0
	s_barrier
.LBB1229_307:                           ;   in Loop: Header=BB1229_12 Depth=1
	s_and_b32 vcc_lo, exec_lo, s1
	s_cbranch_vccz .LBB1229_601
; %bb.308:                              ;   in Loop: Header=BB1229_12 Depth=1
	s_mov_b32 s1, s62
	s_mov_b32 s36, s33
	s_barrier
	buffer_gl0_inv
                                        ; implicit-def: $vgpr34_vgpr35
                                        ; implicit-def: $vgpr4_vgpr5
                                        ; implicit-def: $vgpr6_vgpr7
                                        ; implicit-def: $vgpr8_vgpr9
                                        ; implicit-def: $vgpr10_vgpr11
                                        ; implicit-def: $vgpr12_vgpr13
                                        ; implicit-def: $vgpr14_vgpr15
                                        ; implicit-def: $vgpr16_vgpr17
                                        ; implicit-def: $vgpr18_vgpr19
                                        ; implicit-def: $vgpr20_vgpr21
                                        ; implicit-def: $vgpr22_vgpr23
                                        ; implicit-def: $vgpr24_vgpr25
                                        ; implicit-def: $vgpr26_vgpr27
                                        ; implicit-def: $vgpr28_vgpr29
                                        ; implicit-def: $vgpr30_vgpr31
                                        ; implicit-def: $vgpr32_vgpr33
	s_branch .LBB1229_310
.LBB1229_309:                           ;   in Loop: Header=BB1229_310 Depth=2
	s_or_b32 exec_lo, exec_lo, s8
	s_addk_i32 s1, 0xf000
	s_cmp_ge_u32 s7, s35
	s_mov_b32 s36, s7
	s_cbranch_scc1 .LBB1229_380
.LBB1229_310:                           ;   Parent Loop BB1229_12 Depth=1
                                        ; =>  This Inner Loop Header: Depth=2
	s_add_i32 s7, s36, 0x1000
	s_delay_alu instid0(SALU_CYCLE_1)
	s_cmp_gt_u32 s7, s35
	s_cbranch_scc1 .LBB1229_313
; %bb.311:                              ;   in Loop: Header=BB1229_310 Depth=2
	s_mov_b32 s9, 0
	s_mov_b32 s8, s36
	s_delay_alu instid0(SALU_CYCLE_1) | instskip(NEXT) | instid1(SALU_CYCLE_1)
	s_lshl_b64 s[10:11], s[8:9], 3
	v_add_co_u32 v36, vcc_lo, v111, s10
	v_add_co_ci_u32_e32 v37, vcc_lo, s11, v112, vcc_lo
	s_movk_i32 s11, 0x1000
	s_waitcnt vmcnt(12)
	s_delay_alu instid0(VALU_DEP_2) | instskip(NEXT) | instid1(VALU_DEP_2)
	v_add_co_u32 v42, vcc_lo, 0x1000, v36
	v_add_co_ci_u32_e32 v43, vcc_lo, 0, v37, vcc_lo
	s_waitcnt vmcnt(11)
	v_add_co_u32 v44, vcc_lo, 0x2000, v36
	v_add_co_ci_u32_e32 v45, vcc_lo, 0, v37, vcc_lo
	s_waitcnt vmcnt(1)
	v_add_co_u32 v50, vcc_lo, v36, 0x2000
	v_add_co_ci_u32_e32 v51, vcc_lo, 0, v37, vcc_lo
	v_add_co_u32 v52, vcc_lo, v36, 0x4000
	v_add_co_ci_u32_e32 v53, vcc_lo, 0, v37, vcc_lo
	;; [unrolled: 2-line block ×7, first 2 shown]
	s_waitcnt vmcnt(0)
	v_add_co_u32 v66, vcc_lo, 0x7000, v36
	v_add_co_ci_u32_e32 v67, vcc_lo, 0, v37, vcc_lo
	s_clause 0xe
	global_load_b64 v[38:39], v[36:37], off
	global_load_b64 v[40:41], v[36:37], off offset:2048
	global_load_b64 v[42:43], v[42:43], off offset:2048
	;; [unrolled: 1-line block ×3, first 2 shown]
	global_load_b64 v[46:47], v[50:51], off
	global_load_b64 v[48:49], v[52:53], off offset:-4096
	global_load_b64 v[52:53], v[52:53], off
	global_load_b64 v[56:57], v[60:61], off offset:-4096
	global_load_b64 v[60:61], v[60:61], off
	global_load_b64 v[54:55], v[54:55], off offset:2048
	global_load_b64 v[58:59], v[58:59], off offset:2048
	;; [unrolled: 1-line block ×4, first 2 shown]
	global_load_b64 v[50:51], v[50:51], off offset:-4096
	global_load_b64 v[66:67], v[66:67], off
	v_add_co_u32 v36, vcc_lo, 0x7800, v36
	v_add_co_ci_u32_e32 v37, vcc_lo, 0, v37, vcc_lo
	s_mov_b32 s10, -1
	s_cbranch_execz .LBB1229_314
; %bb.312:                              ;   in Loop: Header=BB1229_310 Depth=2
                                        ; implicit-def: $vgpr32_vgpr33
                                        ; implicit-def: $vgpr30_vgpr31
                                        ; implicit-def: $vgpr28_vgpr29
                                        ; implicit-def: $vgpr26_vgpr27
                                        ; implicit-def: $vgpr24_vgpr25
                                        ; implicit-def: $vgpr22_vgpr23
                                        ; implicit-def: $vgpr20_vgpr21
                                        ; implicit-def: $vgpr18_vgpr19
                                        ; implicit-def: $vgpr16_vgpr17
                                        ; implicit-def: $vgpr14_vgpr15
                                        ; implicit-def: $vgpr12_vgpr13
                                        ; implicit-def: $vgpr10_vgpr11
                                        ; implicit-def: $vgpr8_vgpr9
                                        ; implicit-def: $vgpr6_vgpr7
                                        ; implicit-def: $vgpr4_vgpr5
                                        ; implicit-def: $vgpr34_vgpr35
	v_mov_b32_e32 v2, s1
	s_and_saveexec_b32 s8, s10
	s_cbranch_execnz .LBB1229_333
	s_branch .LBB1229_334
.LBB1229_313:                           ;   in Loop: Header=BB1229_310 Depth=2
	s_mov_b32 s10, 0
                                        ; implicit-def: $sgpr11
                                        ; implicit-def: $vgpr38_vgpr39
                                        ; implicit-def: $vgpr40_vgpr41
                                        ; implicit-def: $vgpr50_vgpr51
                                        ; implicit-def: $vgpr42_vgpr43
                                        ; implicit-def: $vgpr46_vgpr47
                                        ; implicit-def: $vgpr44_vgpr45
                                        ; implicit-def: $vgpr48_vgpr49
                                        ; implicit-def: $vgpr54_vgpr55
                                        ; implicit-def: $vgpr52_vgpr53
                                        ; implicit-def: $vgpr58_vgpr59
                                        ; implicit-def: $vgpr56_vgpr57
                                        ; implicit-def: $vgpr62_vgpr63
                                        ; implicit-def: $vgpr60_vgpr61
                                        ; implicit-def: $vgpr64_vgpr65
                                        ; implicit-def: $vgpr66_vgpr67
                                        ; implicit-def: $vgpr36_vgpr37
.LBB1229_314:                           ;   in Loop: Header=BB1229_310 Depth=2
	s_lshl_b64 s[8:9], s[36:37], 3
	s_mov_b32 s11, exec_lo
	s_add_u32 s8, s46, s8
	s_addc_u32 s9, s47, s9
	v_cmpx_gt_u32_e64 s1, v1
	s_cbranch_execz .LBB1229_366
; %bb.315:                              ;   in Loop: Header=BB1229_310 Depth=2
	global_load_b64 v[32:33], v124, s[8:9]
	s_or_b32 exec_lo, exec_lo, s11
	s_delay_alu instid0(SALU_CYCLE_1)
	s_mov_b32 s11, exec_lo
	v_cmpx_gt_u32_e64 s1, v77
	s_cbranch_execnz .LBB1229_367
.LBB1229_316:                           ;   in Loop: Header=BB1229_310 Depth=2
	s_or_b32 exec_lo, exec_lo, s11
	s_delay_alu instid0(SALU_CYCLE_1)
	s_mov_b32 s11, exec_lo
	v_cmpx_gt_u32_e64 s1, v78
	s_cbranch_execz .LBB1229_368
.LBB1229_317:                           ;   in Loop: Header=BB1229_310 Depth=2
	global_load_b64 v[28:29], v125, s[8:9]
	s_or_b32 exec_lo, exec_lo, s11
	s_delay_alu instid0(SALU_CYCLE_1)
	s_mov_b32 s11, exec_lo
	v_cmpx_gt_u32_e64 s1, v79
	s_cbranch_execnz .LBB1229_369
.LBB1229_318:                           ;   in Loop: Header=BB1229_310 Depth=2
	s_or_b32 exec_lo, exec_lo, s11
	s_delay_alu instid0(SALU_CYCLE_1)
	s_mov_b32 s11, exec_lo
	v_cmpx_gt_u32_e64 s1, v83
	s_cbranch_execz .LBB1229_370
.LBB1229_319:                           ;   in Loop: Header=BB1229_310 Depth=2
	global_load_b64 v[24:25], v127, s[8:9]
	s_or_b32 exec_lo, exec_lo, s11
	s_delay_alu instid0(SALU_CYCLE_1)
	s_mov_b32 s11, exec_lo
	v_cmpx_gt_u32_e64 s1, v84
	s_cbranch_execnz .LBB1229_371
.LBB1229_320:                           ;   in Loop: Header=BB1229_310 Depth=2
	s_or_b32 exec_lo, exec_lo, s11
	s_delay_alu instid0(SALU_CYCLE_1)
	s_mov_b32 s11, exec_lo
	v_cmpx_gt_u32_e64 s1, v85
	s_cbranch_execz .LBB1229_372
.LBB1229_321:                           ;   in Loop: Header=BB1229_310 Depth=2
	global_load_b64 v[20:21], v129, s[8:9]
	s_or_b32 exec_lo, exec_lo, s11
	s_delay_alu instid0(SALU_CYCLE_1)
	s_mov_b32 s11, exec_lo
	v_cmpx_gt_u32_e64 s1, v86
	s_cbranch_execnz .LBB1229_373
.LBB1229_322:                           ;   in Loop: Header=BB1229_310 Depth=2
	s_or_b32 exec_lo, exec_lo, s11
	s_delay_alu instid0(SALU_CYCLE_1)
	s_mov_b32 s11, exec_lo
	v_cmpx_gt_u32_e64 s1, v87
	s_cbranch_execz .LBB1229_374
.LBB1229_323:                           ;   in Loop: Header=BB1229_310 Depth=2
	global_load_b64 v[16:17], v131, s[8:9]
	s_or_b32 exec_lo, exec_lo, s11
	s_delay_alu instid0(SALU_CYCLE_1)
	s_mov_b32 s11, exec_lo
	v_cmpx_gt_u32_e64 s1, v88
	s_cbranch_execnz .LBB1229_375
.LBB1229_324:                           ;   in Loop: Header=BB1229_310 Depth=2
	s_or_b32 exec_lo, exec_lo, s11
	s_delay_alu instid0(SALU_CYCLE_1)
	s_mov_b32 s11, exec_lo
	v_cmpx_gt_u32_e64 s1, v89
	s_cbranch_execz .LBB1229_376
.LBB1229_325:                           ;   in Loop: Header=BB1229_310 Depth=2
	global_load_b64 v[12:13], v133, s[8:9]
	s_or_b32 exec_lo, exec_lo, s11
	s_delay_alu instid0(SALU_CYCLE_1)
	s_mov_b32 s11, exec_lo
	v_cmpx_gt_u32_e64 s1, v90
	s_cbranch_execnz .LBB1229_377
.LBB1229_326:                           ;   in Loop: Header=BB1229_310 Depth=2
	s_or_b32 exec_lo, exec_lo, s11
	s_delay_alu instid0(SALU_CYCLE_1)
	s_mov_b32 s11, exec_lo
	v_cmpx_gt_u32_e64 s1, v91
	s_cbranch_execz .LBB1229_378
.LBB1229_327:                           ;   in Loop: Header=BB1229_310 Depth=2
	global_load_b64 v[8:9], v135, s[8:9]
	s_or_b32 exec_lo, exec_lo, s11
	s_delay_alu instid0(SALU_CYCLE_1)
	s_mov_b32 s11, exec_lo
	v_cmpx_gt_u32_e64 s1, v92
	s_cbranch_execnz .LBB1229_379
.LBB1229_328:                           ;   in Loop: Header=BB1229_310 Depth=2
	s_or_b32 exec_lo, exec_lo, s11
	s_delay_alu instid0(SALU_CYCLE_1)
	s_mov_b32 s11, exec_lo
	v_cmpx_gt_u32_e64 s1, v93
	s_cbranch_execz .LBB1229_330
.LBB1229_329:                           ;   in Loop: Header=BB1229_310 Depth=2
	v_lshlrev_b32_e32 v2, 3, v93
	global_load_b64 v[4:5], v2, s[8:9]
.LBB1229_330:                           ;   in Loop: Header=BB1229_310 Depth=2
	s_or_b32 exec_lo, exec_lo, s11
	s_delay_alu instid0(SALU_CYCLE_1)
	s_mov_b32 s12, exec_lo
                                        ; implicit-def: $sgpr11
                                        ; implicit-def: $vgpr36_vgpr37
	v_cmpx_gt_u32_e64 s1, v95
; %bb.331:                              ;   in Loop: Header=BB1229_310 Depth=2
	v_lshlrev_b32_e32 v2, 3, v95
	s_sub_i32 s11, s35, s36
	s_or_b32 s10, s10, exec_lo
                                        ; implicit-def: $vgpr34_vgpr35
	s_delay_alu instid0(VALU_DEP_1) | instskip(NEXT) | instid1(VALU_DEP_1)
	v_add_co_u32 v36, s8, s8, v2
	v_add_co_ci_u32_e64 v37, null, s9, 0, s8
; %bb.332:                              ;   in Loop: Header=BB1229_310 Depth=2
	s_or_b32 exec_lo, exec_lo, s12
	s_waitcnt vmcnt(0)
	v_dual_mov_b32 v39, v33 :: v_dual_mov_b32 v38, v32
	v_dual_mov_b32 v41, v31 :: v_dual_mov_b32 v40, v30
	;; [unrolled: 1-line block ×15, first 2 shown]
	v_mov_b32_e32 v2, s1
	s_and_saveexec_b32 s8, s10
	s_cbranch_execz .LBB1229_334
.LBB1229_333:                           ;   in Loop: Header=BB1229_310 Depth=2
	global_load_b64 v[34:35], v[36:37], off
	s_waitcnt vmcnt(1)
	v_mov_b32_e32 v4, v66
	v_mov_b32_e32 v6, v64
	;; [unrolled: 1-line block ×14, first 2 shown]
	v_dual_mov_b32 v32, v38 :: v_dual_mov_b32 v33, v39
	v_dual_mov_b32 v2, s11 :: v_dual_mov_b32 v5, v67
	v_mov_b32_e32 v7, v65
	v_mov_b32_e32 v9, v61
	;; [unrolled: 1-line block ×13, first 2 shown]
.LBB1229_334:                           ;   in Loop: Header=BB1229_310 Depth=2
	s_or_b32 exec_lo, exec_lo, s8
	s_delay_alu instid0(SALU_CYCLE_1)
	s_mov_b32 s8, exec_lo
	v_cmpx_lt_u32_e64 v1, v2
	s_cbranch_execz .LBB1229_350
; %bb.335:                              ;   in Loop: Header=BB1229_310 Depth=2
	v_cmp_lt_i64_e32 vcc_lo, -1, v[32:33]
	s_waitcnt vmcnt(14)
	v_ashrrev_i32_e32 v38, 31, v33
	v_cndmask_b32_e64 v36, -1, 0x80000000, vcc_lo
	s_delay_alu instid0(VALU_DEP_1) | instskip(NEXT) | instid1(VALU_DEP_3)
	v_xor_b32_e32 v37, v36, v33
	v_xor_b32_e32 v36, v38, v32
	s_delay_alu instid0(VALU_DEP_1) | instskip(SKIP_2) | instid1(VALU_DEP_1)
	v_cmp_ne_u64_e32 vcc_lo, s[40:41], v[36:37]
	v_cndmask_b32_e32 v37, 0x80000000, v37, vcc_lo
	v_cndmask_b32_e32 v36, 0, v36, vcc_lo
	v_lshrrev_b64 v[36:37], s43, v[36:37]
	v_lshlrev_b32_e32 v37, 2, v80
	s_delay_alu instid0(VALU_DEP_2) | instskip(NEXT) | instid1(VALU_DEP_1)
	v_and_b32_e32 v36, s51, v36
	v_lshl_or_b32 v36, v36, 4, v37
	ds_add_u32 v36, v123
	s_or_b32 exec_lo, exec_lo, s8
	s_delay_alu instid0(SALU_CYCLE_1)
	s_mov_b32 s8, exec_lo
	v_cmpx_lt_u32_e64 v77, v2
	s_cbranch_execnz .LBB1229_351
.LBB1229_336:                           ;   in Loop: Header=BB1229_310 Depth=2
	s_or_b32 exec_lo, exec_lo, s8
	s_delay_alu instid0(SALU_CYCLE_1)
	s_mov_b32 s8, exec_lo
	v_cmpx_lt_u32_e64 v78, v2
	s_cbranch_execz .LBB1229_352
.LBB1229_337:                           ;   in Loop: Header=BB1229_310 Depth=2
	v_cmp_lt_i64_e32 vcc_lo, -1, v[28:29]
	s_waitcnt vmcnt(14)
	v_ashrrev_i32_e32 v38, 31, v29
	v_cndmask_b32_e64 v36, -1, 0x80000000, vcc_lo
	s_delay_alu instid0(VALU_DEP_1) | instskip(NEXT) | instid1(VALU_DEP_3)
	v_xor_b32_e32 v37, v36, v29
	v_xor_b32_e32 v36, v38, v28
	s_delay_alu instid0(VALU_DEP_1) | instskip(SKIP_2) | instid1(VALU_DEP_1)
	v_cmp_ne_u64_e32 vcc_lo, s[40:41], v[36:37]
	v_cndmask_b32_e32 v37, 0x80000000, v37, vcc_lo
	v_cndmask_b32_e32 v36, 0, v36, vcc_lo
	v_lshrrev_b64 v[36:37], s43, v[36:37]
	v_lshlrev_b32_e32 v37, 2, v80
	s_delay_alu instid0(VALU_DEP_2) | instskip(NEXT) | instid1(VALU_DEP_1)
	v_and_b32_e32 v36, s51, v36
	v_lshl_or_b32 v36, v36, 4, v37
	ds_add_u32 v36, v123
	s_or_b32 exec_lo, exec_lo, s8
	s_delay_alu instid0(SALU_CYCLE_1)
	s_mov_b32 s8, exec_lo
	v_cmpx_lt_u32_e64 v79, v2
	s_cbranch_execnz .LBB1229_353
.LBB1229_338:                           ;   in Loop: Header=BB1229_310 Depth=2
	s_or_b32 exec_lo, exec_lo, s8
	s_delay_alu instid0(SALU_CYCLE_1)
	s_mov_b32 s8, exec_lo
	v_cmpx_lt_u32_e64 v83, v2
	s_cbranch_execz .LBB1229_354
.LBB1229_339:                           ;   in Loop: Header=BB1229_310 Depth=2
	v_cmp_lt_i64_e32 vcc_lo, -1, v[24:25]
	s_waitcnt vmcnt(14)
	v_ashrrev_i32_e32 v38, 31, v25
	v_cndmask_b32_e64 v36, -1, 0x80000000, vcc_lo
	s_delay_alu instid0(VALU_DEP_1) | instskip(NEXT) | instid1(VALU_DEP_3)
	v_xor_b32_e32 v37, v36, v25
	v_xor_b32_e32 v36, v38, v24
	s_delay_alu instid0(VALU_DEP_1) | instskip(SKIP_2) | instid1(VALU_DEP_1)
	v_cmp_ne_u64_e32 vcc_lo, s[40:41], v[36:37]
	v_cndmask_b32_e32 v37, 0x80000000, v37, vcc_lo
	v_cndmask_b32_e32 v36, 0, v36, vcc_lo
	v_lshrrev_b64 v[36:37], s43, v[36:37]
	v_lshlrev_b32_e32 v37, 2, v80
	s_delay_alu instid0(VALU_DEP_2) | instskip(NEXT) | instid1(VALU_DEP_1)
	v_and_b32_e32 v36, s51, v36
	v_lshl_or_b32 v36, v36, 4, v37
	ds_add_u32 v36, v123
	s_or_b32 exec_lo, exec_lo, s8
	s_delay_alu instid0(SALU_CYCLE_1)
	s_mov_b32 s8, exec_lo
	v_cmpx_lt_u32_e64 v84, v2
	s_cbranch_execnz .LBB1229_355
.LBB1229_340:                           ;   in Loop: Header=BB1229_310 Depth=2
	s_or_b32 exec_lo, exec_lo, s8
	s_delay_alu instid0(SALU_CYCLE_1)
	s_mov_b32 s8, exec_lo
	v_cmpx_lt_u32_e64 v85, v2
	s_cbranch_execz .LBB1229_356
.LBB1229_341:                           ;   in Loop: Header=BB1229_310 Depth=2
	v_cmp_lt_i64_e32 vcc_lo, -1, v[20:21]
	s_waitcnt vmcnt(14)
	v_ashrrev_i32_e32 v38, 31, v21
	v_cndmask_b32_e64 v36, -1, 0x80000000, vcc_lo
	s_delay_alu instid0(VALU_DEP_1) | instskip(NEXT) | instid1(VALU_DEP_3)
	v_xor_b32_e32 v37, v36, v21
	v_xor_b32_e32 v36, v38, v20
	s_delay_alu instid0(VALU_DEP_1) | instskip(SKIP_2) | instid1(VALU_DEP_1)
	v_cmp_ne_u64_e32 vcc_lo, s[40:41], v[36:37]
	v_cndmask_b32_e32 v37, 0x80000000, v37, vcc_lo
	v_cndmask_b32_e32 v36, 0, v36, vcc_lo
	v_lshrrev_b64 v[36:37], s43, v[36:37]
	v_lshlrev_b32_e32 v37, 2, v80
	s_delay_alu instid0(VALU_DEP_2) | instskip(NEXT) | instid1(VALU_DEP_1)
	v_and_b32_e32 v36, s51, v36
	v_lshl_or_b32 v36, v36, 4, v37
	ds_add_u32 v36, v123
	s_or_b32 exec_lo, exec_lo, s8
	s_delay_alu instid0(SALU_CYCLE_1)
	s_mov_b32 s8, exec_lo
	v_cmpx_lt_u32_e64 v86, v2
	s_cbranch_execnz .LBB1229_357
.LBB1229_342:                           ;   in Loop: Header=BB1229_310 Depth=2
	s_or_b32 exec_lo, exec_lo, s8
	s_delay_alu instid0(SALU_CYCLE_1)
	s_mov_b32 s8, exec_lo
	v_cmpx_lt_u32_e64 v87, v2
	s_cbranch_execz .LBB1229_358
.LBB1229_343:                           ;   in Loop: Header=BB1229_310 Depth=2
	v_cmp_lt_i64_e32 vcc_lo, -1, v[16:17]
	s_waitcnt vmcnt(14)
	v_ashrrev_i32_e32 v38, 31, v17
	v_cndmask_b32_e64 v36, -1, 0x80000000, vcc_lo
	s_delay_alu instid0(VALU_DEP_1) | instskip(NEXT) | instid1(VALU_DEP_3)
	v_xor_b32_e32 v37, v36, v17
	v_xor_b32_e32 v36, v38, v16
	s_delay_alu instid0(VALU_DEP_1) | instskip(SKIP_2) | instid1(VALU_DEP_1)
	v_cmp_ne_u64_e32 vcc_lo, s[40:41], v[36:37]
	v_cndmask_b32_e32 v37, 0x80000000, v37, vcc_lo
	v_cndmask_b32_e32 v36, 0, v36, vcc_lo
	v_lshrrev_b64 v[36:37], s43, v[36:37]
	v_lshlrev_b32_e32 v37, 2, v80
	s_delay_alu instid0(VALU_DEP_2) | instskip(NEXT) | instid1(VALU_DEP_1)
	v_and_b32_e32 v36, s51, v36
	v_lshl_or_b32 v36, v36, 4, v37
	ds_add_u32 v36, v123
	s_or_b32 exec_lo, exec_lo, s8
	s_delay_alu instid0(SALU_CYCLE_1)
	s_mov_b32 s8, exec_lo
	v_cmpx_lt_u32_e64 v88, v2
	s_cbranch_execnz .LBB1229_359
.LBB1229_344:                           ;   in Loop: Header=BB1229_310 Depth=2
	s_or_b32 exec_lo, exec_lo, s8
	s_delay_alu instid0(SALU_CYCLE_1)
	s_mov_b32 s8, exec_lo
	v_cmpx_lt_u32_e64 v89, v2
	s_cbranch_execz .LBB1229_360
.LBB1229_345:                           ;   in Loop: Header=BB1229_310 Depth=2
	v_cmp_lt_i64_e32 vcc_lo, -1, v[12:13]
	s_waitcnt vmcnt(14)
	v_ashrrev_i32_e32 v38, 31, v13
	v_cndmask_b32_e64 v36, -1, 0x80000000, vcc_lo
	s_delay_alu instid0(VALU_DEP_1) | instskip(NEXT) | instid1(VALU_DEP_3)
	v_xor_b32_e32 v37, v36, v13
	v_xor_b32_e32 v36, v38, v12
	s_delay_alu instid0(VALU_DEP_1) | instskip(SKIP_2) | instid1(VALU_DEP_1)
	v_cmp_ne_u64_e32 vcc_lo, s[40:41], v[36:37]
	v_cndmask_b32_e32 v37, 0x80000000, v37, vcc_lo
	v_cndmask_b32_e32 v36, 0, v36, vcc_lo
	v_lshrrev_b64 v[36:37], s43, v[36:37]
	v_lshlrev_b32_e32 v37, 2, v80
	s_delay_alu instid0(VALU_DEP_2) | instskip(NEXT) | instid1(VALU_DEP_1)
	v_and_b32_e32 v36, s51, v36
	v_lshl_or_b32 v36, v36, 4, v37
	ds_add_u32 v36, v123
	s_or_b32 exec_lo, exec_lo, s8
	s_delay_alu instid0(SALU_CYCLE_1)
	s_mov_b32 s8, exec_lo
	v_cmpx_lt_u32_e64 v90, v2
	s_cbranch_execnz .LBB1229_361
.LBB1229_346:                           ;   in Loop: Header=BB1229_310 Depth=2
	s_or_b32 exec_lo, exec_lo, s8
	s_delay_alu instid0(SALU_CYCLE_1)
	s_mov_b32 s8, exec_lo
	v_cmpx_lt_u32_e64 v91, v2
	s_cbranch_execz .LBB1229_362
.LBB1229_347:                           ;   in Loop: Header=BB1229_310 Depth=2
	v_cmp_lt_i64_e32 vcc_lo, -1, v[8:9]
	s_waitcnt vmcnt(14)
	v_ashrrev_i32_e32 v38, 31, v9
	v_cndmask_b32_e64 v36, -1, 0x80000000, vcc_lo
	s_delay_alu instid0(VALU_DEP_1) | instskip(NEXT) | instid1(VALU_DEP_3)
	v_xor_b32_e32 v37, v36, v9
	v_xor_b32_e32 v36, v38, v8
	s_delay_alu instid0(VALU_DEP_1) | instskip(SKIP_2) | instid1(VALU_DEP_1)
	v_cmp_ne_u64_e32 vcc_lo, s[40:41], v[36:37]
	v_cndmask_b32_e32 v37, 0x80000000, v37, vcc_lo
	v_cndmask_b32_e32 v36, 0, v36, vcc_lo
	v_lshrrev_b64 v[36:37], s43, v[36:37]
	v_lshlrev_b32_e32 v37, 2, v80
	s_delay_alu instid0(VALU_DEP_2) | instskip(NEXT) | instid1(VALU_DEP_1)
	v_and_b32_e32 v36, s51, v36
	v_lshl_or_b32 v36, v36, 4, v37
	ds_add_u32 v36, v123
	s_or_b32 exec_lo, exec_lo, s8
	s_delay_alu instid0(SALU_CYCLE_1)
	s_mov_b32 s8, exec_lo
	v_cmpx_lt_u32_e64 v92, v2
	s_cbranch_execnz .LBB1229_363
.LBB1229_348:                           ;   in Loop: Header=BB1229_310 Depth=2
	s_or_b32 exec_lo, exec_lo, s8
	s_delay_alu instid0(SALU_CYCLE_1)
	s_mov_b32 s8, exec_lo
	v_cmpx_lt_u32_e64 v93, v2
	s_cbranch_execz .LBB1229_364
.LBB1229_349:                           ;   in Loop: Header=BB1229_310 Depth=2
	v_cmp_lt_i64_e32 vcc_lo, -1, v[4:5]
	s_waitcnt vmcnt(14)
	v_ashrrev_i32_e32 v38, 31, v5
	v_cndmask_b32_e64 v36, -1, 0x80000000, vcc_lo
	s_delay_alu instid0(VALU_DEP_1) | instskip(NEXT) | instid1(VALU_DEP_3)
	v_xor_b32_e32 v37, v36, v5
	v_xor_b32_e32 v36, v38, v4
	s_delay_alu instid0(VALU_DEP_1) | instskip(SKIP_2) | instid1(VALU_DEP_1)
	v_cmp_ne_u64_e32 vcc_lo, s[40:41], v[36:37]
	v_cndmask_b32_e32 v37, 0x80000000, v37, vcc_lo
	v_cndmask_b32_e32 v36, 0, v36, vcc_lo
	v_lshrrev_b64 v[36:37], s43, v[36:37]
	v_lshlrev_b32_e32 v37, 2, v80
	s_delay_alu instid0(VALU_DEP_2) | instskip(NEXT) | instid1(VALU_DEP_1)
	v_and_b32_e32 v36, s51, v36
	v_lshl_or_b32 v36, v36, 4, v37
	ds_add_u32 v36, v123
	s_or_b32 exec_lo, exec_lo, s8
	s_delay_alu instid0(SALU_CYCLE_1)
	s_mov_b32 s8, exec_lo
	v_cmpx_lt_u32_e64 v95, v2
	s_cbranch_execz .LBB1229_309
	s_branch .LBB1229_365
.LBB1229_350:                           ;   in Loop: Header=BB1229_310 Depth=2
	s_or_b32 exec_lo, exec_lo, s8
	s_delay_alu instid0(SALU_CYCLE_1)
	s_mov_b32 s8, exec_lo
	v_cmpx_lt_u32_e64 v77, v2
	s_cbranch_execz .LBB1229_336
.LBB1229_351:                           ;   in Loop: Header=BB1229_310 Depth=2
	v_cmp_lt_i64_e32 vcc_lo, -1, v[30:31]
	s_waitcnt vmcnt(14)
	v_ashrrev_i32_e32 v38, 31, v31
	v_cndmask_b32_e64 v36, -1, 0x80000000, vcc_lo
	s_delay_alu instid0(VALU_DEP_1) | instskip(NEXT) | instid1(VALU_DEP_3)
	v_xor_b32_e32 v37, v36, v31
	v_xor_b32_e32 v36, v38, v30
	s_delay_alu instid0(VALU_DEP_1) | instskip(SKIP_2) | instid1(VALU_DEP_1)
	v_cmp_ne_u64_e32 vcc_lo, s[40:41], v[36:37]
	v_cndmask_b32_e32 v37, 0x80000000, v37, vcc_lo
	v_cndmask_b32_e32 v36, 0, v36, vcc_lo
	v_lshrrev_b64 v[36:37], s43, v[36:37]
	v_lshlrev_b32_e32 v37, 2, v80
	s_delay_alu instid0(VALU_DEP_2) | instskip(NEXT) | instid1(VALU_DEP_1)
	v_and_b32_e32 v36, s51, v36
	v_lshl_or_b32 v36, v36, 4, v37
	ds_add_u32 v36, v123
	s_or_b32 exec_lo, exec_lo, s8
	s_delay_alu instid0(SALU_CYCLE_1)
	s_mov_b32 s8, exec_lo
	v_cmpx_lt_u32_e64 v78, v2
	s_cbranch_execnz .LBB1229_337
.LBB1229_352:                           ;   in Loop: Header=BB1229_310 Depth=2
	s_or_b32 exec_lo, exec_lo, s8
	s_delay_alu instid0(SALU_CYCLE_1)
	s_mov_b32 s8, exec_lo
	v_cmpx_lt_u32_e64 v79, v2
	s_cbranch_execz .LBB1229_338
.LBB1229_353:                           ;   in Loop: Header=BB1229_310 Depth=2
	v_cmp_lt_i64_e32 vcc_lo, -1, v[26:27]
	s_waitcnt vmcnt(14)
	v_ashrrev_i32_e32 v38, 31, v27
	v_cndmask_b32_e64 v36, -1, 0x80000000, vcc_lo
	s_delay_alu instid0(VALU_DEP_1) | instskip(NEXT) | instid1(VALU_DEP_3)
	v_xor_b32_e32 v37, v36, v27
	v_xor_b32_e32 v36, v38, v26
	s_delay_alu instid0(VALU_DEP_1) | instskip(SKIP_2) | instid1(VALU_DEP_1)
	v_cmp_ne_u64_e32 vcc_lo, s[40:41], v[36:37]
	v_cndmask_b32_e32 v37, 0x80000000, v37, vcc_lo
	v_cndmask_b32_e32 v36, 0, v36, vcc_lo
	v_lshrrev_b64 v[36:37], s43, v[36:37]
	v_lshlrev_b32_e32 v37, 2, v80
	s_delay_alu instid0(VALU_DEP_2) | instskip(NEXT) | instid1(VALU_DEP_1)
	v_and_b32_e32 v36, s51, v36
	v_lshl_or_b32 v36, v36, 4, v37
	ds_add_u32 v36, v123
	s_or_b32 exec_lo, exec_lo, s8
	s_delay_alu instid0(SALU_CYCLE_1)
	s_mov_b32 s8, exec_lo
	v_cmpx_lt_u32_e64 v83, v2
	s_cbranch_execnz .LBB1229_339
.LBB1229_354:                           ;   in Loop: Header=BB1229_310 Depth=2
	s_or_b32 exec_lo, exec_lo, s8
	s_delay_alu instid0(SALU_CYCLE_1)
	s_mov_b32 s8, exec_lo
	v_cmpx_lt_u32_e64 v84, v2
	s_cbranch_execz .LBB1229_340
.LBB1229_355:                           ;   in Loop: Header=BB1229_310 Depth=2
	v_cmp_lt_i64_e32 vcc_lo, -1, v[22:23]
	s_waitcnt vmcnt(14)
	v_ashrrev_i32_e32 v38, 31, v23
	v_cndmask_b32_e64 v36, -1, 0x80000000, vcc_lo
	s_delay_alu instid0(VALU_DEP_1) | instskip(NEXT) | instid1(VALU_DEP_3)
	v_xor_b32_e32 v37, v36, v23
	v_xor_b32_e32 v36, v38, v22
	s_delay_alu instid0(VALU_DEP_1) | instskip(SKIP_2) | instid1(VALU_DEP_1)
	v_cmp_ne_u64_e32 vcc_lo, s[40:41], v[36:37]
	v_cndmask_b32_e32 v37, 0x80000000, v37, vcc_lo
	v_cndmask_b32_e32 v36, 0, v36, vcc_lo
	v_lshrrev_b64 v[36:37], s43, v[36:37]
	v_lshlrev_b32_e32 v37, 2, v80
	s_delay_alu instid0(VALU_DEP_2) | instskip(NEXT) | instid1(VALU_DEP_1)
	v_and_b32_e32 v36, s51, v36
	v_lshl_or_b32 v36, v36, 4, v37
	ds_add_u32 v36, v123
	s_or_b32 exec_lo, exec_lo, s8
	s_delay_alu instid0(SALU_CYCLE_1)
	s_mov_b32 s8, exec_lo
	v_cmpx_lt_u32_e64 v85, v2
	s_cbranch_execnz .LBB1229_341
.LBB1229_356:                           ;   in Loop: Header=BB1229_310 Depth=2
	s_or_b32 exec_lo, exec_lo, s8
	s_delay_alu instid0(SALU_CYCLE_1)
	s_mov_b32 s8, exec_lo
	v_cmpx_lt_u32_e64 v86, v2
	s_cbranch_execz .LBB1229_342
.LBB1229_357:                           ;   in Loop: Header=BB1229_310 Depth=2
	v_cmp_lt_i64_e32 vcc_lo, -1, v[18:19]
	s_waitcnt vmcnt(14)
	v_ashrrev_i32_e32 v38, 31, v19
	v_cndmask_b32_e64 v36, -1, 0x80000000, vcc_lo
	s_delay_alu instid0(VALU_DEP_1) | instskip(NEXT) | instid1(VALU_DEP_3)
	v_xor_b32_e32 v37, v36, v19
	v_xor_b32_e32 v36, v38, v18
	s_delay_alu instid0(VALU_DEP_1) | instskip(SKIP_2) | instid1(VALU_DEP_1)
	v_cmp_ne_u64_e32 vcc_lo, s[40:41], v[36:37]
	v_cndmask_b32_e32 v37, 0x80000000, v37, vcc_lo
	v_cndmask_b32_e32 v36, 0, v36, vcc_lo
	v_lshrrev_b64 v[36:37], s43, v[36:37]
	v_lshlrev_b32_e32 v37, 2, v80
	s_delay_alu instid0(VALU_DEP_2) | instskip(NEXT) | instid1(VALU_DEP_1)
	v_and_b32_e32 v36, s51, v36
	v_lshl_or_b32 v36, v36, 4, v37
	ds_add_u32 v36, v123
	s_or_b32 exec_lo, exec_lo, s8
	s_delay_alu instid0(SALU_CYCLE_1)
	s_mov_b32 s8, exec_lo
	v_cmpx_lt_u32_e64 v87, v2
	s_cbranch_execnz .LBB1229_343
.LBB1229_358:                           ;   in Loop: Header=BB1229_310 Depth=2
	s_or_b32 exec_lo, exec_lo, s8
	s_delay_alu instid0(SALU_CYCLE_1)
	s_mov_b32 s8, exec_lo
	v_cmpx_lt_u32_e64 v88, v2
	s_cbranch_execz .LBB1229_344
.LBB1229_359:                           ;   in Loop: Header=BB1229_310 Depth=2
	v_cmp_lt_i64_e32 vcc_lo, -1, v[14:15]
	s_waitcnt vmcnt(14)
	v_ashrrev_i32_e32 v38, 31, v15
	v_cndmask_b32_e64 v36, -1, 0x80000000, vcc_lo
	s_delay_alu instid0(VALU_DEP_1) | instskip(NEXT) | instid1(VALU_DEP_3)
	v_xor_b32_e32 v37, v36, v15
	v_xor_b32_e32 v36, v38, v14
	s_delay_alu instid0(VALU_DEP_1) | instskip(SKIP_2) | instid1(VALU_DEP_1)
	v_cmp_ne_u64_e32 vcc_lo, s[40:41], v[36:37]
	v_cndmask_b32_e32 v37, 0x80000000, v37, vcc_lo
	v_cndmask_b32_e32 v36, 0, v36, vcc_lo
	v_lshrrev_b64 v[36:37], s43, v[36:37]
	v_lshlrev_b32_e32 v37, 2, v80
	s_delay_alu instid0(VALU_DEP_2) | instskip(NEXT) | instid1(VALU_DEP_1)
	v_and_b32_e32 v36, s51, v36
	v_lshl_or_b32 v36, v36, 4, v37
	ds_add_u32 v36, v123
	s_or_b32 exec_lo, exec_lo, s8
	s_delay_alu instid0(SALU_CYCLE_1)
	s_mov_b32 s8, exec_lo
	v_cmpx_lt_u32_e64 v89, v2
	s_cbranch_execnz .LBB1229_345
.LBB1229_360:                           ;   in Loop: Header=BB1229_310 Depth=2
	s_or_b32 exec_lo, exec_lo, s8
	s_delay_alu instid0(SALU_CYCLE_1)
	s_mov_b32 s8, exec_lo
	v_cmpx_lt_u32_e64 v90, v2
	s_cbranch_execz .LBB1229_346
.LBB1229_361:                           ;   in Loop: Header=BB1229_310 Depth=2
	v_cmp_lt_i64_e32 vcc_lo, -1, v[10:11]
	s_waitcnt vmcnt(14)
	v_ashrrev_i32_e32 v38, 31, v11
	v_cndmask_b32_e64 v36, -1, 0x80000000, vcc_lo
	s_delay_alu instid0(VALU_DEP_1) | instskip(NEXT) | instid1(VALU_DEP_3)
	v_xor_b32_e32 v37, v36, v11
	v_xor_b32_e32 v36, v38, v10
	s_delay_alu instid0(VALU_DEP_1) | instskip(SKIP_2) | instid1(VALU_DEP_1)
	v_cmp_ne_u64_e32 vcc_lo, s[40:41], v[36:37]
	v_cndmask_b32_e32 v37, 0x80000000, v37, vcc_lo
	v_cndmask_b32_e32 v36, 0, v36, vcc_lo
	v_lshrrev_b64 v[36:37], s43, v[36:37]
	v_lshlrev_b32_e32 v37, 2, v80
	s_delay_alu instid0(VALU_DEP_2) | instskip(NEXT) | instid1(VALU_DEP_1)
	v_and_b32_e32 v36, s51, v36
	v_lshl_or_b32 v36, v36, 4, v37
	ds_add_u32 v36, v123
	s_or_b32 exec_lo, exec_lo, s8
	s_delay_alu instid0(SALU_CYCLE_1)
	s_mov_b32 s8, exec_lo
	v_cmpx_lt_u32_e64 v91, v2
	s_cbranch_execnz .LBB1229_347
.LBB1229_362:                           ;   in Loop: Header=BB1229_310 Depth=2
	s_or_b32 exec_lo, exec_lo, s8
	s_delay_alu instid0(SALU_CYCLE_1)
	s_mov_b32 s8, exec_lo
	v_cmpx_lt_u32_e64 v92, v2
	s_cbranch_execz .LBB1229_348
.LBB1229_363:                           ;   in Loop: Header=BB1229_310 Depth=2
	v_cmp_lt_i64_e32 vcc_lo, -1, v[6:7]
	s_waitcnt vmcnt(14)
	v_ashrrev_i32_e32 v38, 31, v7
	v_cndmask_b32_e64 v36, -1, 0x80000000, vcc_lo
	s_delay_alu instid0(VALU_DEP_1) | instskip(NEXT) | instid1(VALU_DEP_3)
	v_xor_b32_e32 v37, v36, v7
	v_xor_b32_e32 v36, v38, v6
	s_delay_alu instid0(VALU_DEP_1) | instskip(SKIP_2) | instid1(VALU_DEP_1)
	v_cmp_ne_u64_e32 vcc_lo, s[40:41], v[36:37]
	v_cndmask_b32_e32 v37, 0x80000000, v37, vcc_lo
	v_cndmask_b32_e32 v36, 0, v36, vcc_lo
	v_lshrrev_b64 v[36:37], s43, v[36:37]
	v_lshlrev_b32_e32 v37, 2, v80
	s_delay_alu instid0(VALU_DEP_2) | instskip(NEXT) | instid1(VALU_DEP_1)
	v_and_b32_e32 v36, s51, v36
	v_lshl_or_b32 v36, v36, 4, v37
	ds_add_u32 v36, v123
	s_or_b32 exec_lo, exec_lo, s8
	s_delay_alu instid0(SALU_CYCLE_1)
	s_mov_b32 s8, exec_lo
	v_cmpx_lt_u32_e64 v93, v2
	s_cbranch_execnz .LBB1229_349
.LBB1229_364:                           ;   in Loop: Header=BB1229_310 Depth=2
	s_or_b32 exec_lo, exec_lo, s8
	s_delay_alu instid0(SALU_CYCLE_1)
	s_mov_b32 s8, exec_lo
	v_cmpx_lt_u32_e64 v95, v2
	s_cbranch_execz .LBB1229_309
.LBB1229_365:                           ;   in Loop: Header=BB1229_310 Depth=2
	s_waitcnt vmcnt(0)
	v_cmp_lt_i64_e32 vcc_lo, -1, v[34:35]
	v_ashrrev_i32_e32 v36, 31, v35
	s_delay_alu instid0(VALU_DEP_1) | instskip(SKIP_1) | instid1(VALU_DEP_1)
	v_xor_b32_e32 v36, v36, v34
	v_cndmask_b32_e64 v2, -1, 0x80000000, vcc_lo
	v_xor_b32_e32 v37, v2, v35
	s_delay_alu instid0(VALU_DEP_1) | instskip(SKIP_2) | instid1(VALU_DEP_1)
	v_cmp_ne_u64_e32 vcc_lo, s[40:41], v[36:37]
	v_cndmask_b32_e32 v37, 0x80000000, v37, vcc_lo
	v_cndmask_b32_e32 v36, 0, v36, vcc_lo
	v_lshrrev_b64 v[36:37], s43, v[36:37]
	s_delay_alu instid0(VALU_DEP_1) | instskip(SKIP_1) | instid1(VALU_DEP_1)
	v_and_b32_e32 v2, s51, v36
	v_lshlrev_b32_e32 v36, 2, v80
	v_lshl_or_b32 v2, v2, 4, v36
	ds_add_u32 v2, v123
	s_branch .LBB1229_309
.LBB1229_366:                           ;   in Loop: Header=BB1229_310 Depth=2
	s_or_b32 exec_lo, exec_lo, s11
	s_delay_alu instid0(SALU_CYCLE_1)
	s_mov_b32 s11, exec_lo
	v_cmpx_gt_u32_e64 s1, v77
	s_cbranch_execz .LBB1229_316
.LBB1229_367:                           ;   in Loop: Header=BB1229_310 Depth=2
	global_load_b64 v[30:31], v124, s[8:9] offset:2048
	s_or_b32 exec_lo, exec_lo, s11
	s_delay_alu instid0(SALU_CYCLE_1)
	s_mov_b32 s11, exec_lo
	v_cmpx_gt_u32_e64 s1, v78
	s_cbranch_execnz .LBB1229_317
.LBB1229_368:                           ;   in Loop: Header=BB1229_310 Depth=2
	s_or_b32 exec_lo, exec_lo, s11
	s_delay_alu instid0(SALU_CYCLE_1)
	s_mov_b32 s11, exec_lo
	v_cmpx_gt_u32_e64 s1, v79
	s_cbranch_execz .LBB1229_318
.LBB1229_369:                           ;   in Loop: Header=BB1229_310 Depth=2
	global_load_b64 v[26:27], v126, s[8:9]
	s_or_b32 exec_lo, exec_lo, s11
	s_delay_alu instid0(SALU_CYCLE_1)
	s_mov_b32 s11, exec_lo
	v_cmpx_gt_u32_e64 s1, v83
	s_cbranch_execnz .LBB1229_319
.LBB1229_370:                           ;   in Loop: Header=BB1229_310 Depth=2
	s_or_b32 exec_lo, exec_lo, s11
	s_delay_alu instid0(SALU_CYCLE_1)
	s_mov_b32 s11, exec_lo
	v_cmpx_gt_u32_e64 s1, v84
	s_cbranch_execz .LBB1229_320
.LBB1229_371:                           ;   in Loop: Header=BB1229_310 Depth=2
	global_load_b64 v[22:23], v128, s[8:9]
	s_or_b32 exec_lo, exec_lo, s11
	s_delay_alu instid0(SALU_CYCLE_1)
	s_mov_b32 s11, exec_lo
	v_cmpx_gt_u32_e64 s1, v85
	s_cbranch_execnz .LBB1229_321
.LBB1229_372:                           ;   in Loop: Header=BB1229_310 Depth=2
	s_or_b32 exec_lo, exec_lo, s11
	s_delay_alu instid0(SALU_CYCLE_1)
	s_mov_b32 s11, exec_lo
	v_cmpx_gt_u32_e64 s1, v86
	s_cbranch_execz .LBB1229_322
.LBB1229_373:                           ;   in Loop: Header=BB1229_310 Depth=2
	global_load_b64 v[18:19], v130, s[8:9]
	s_or_b32 exec_lo, exec_lo, s11
	s_delay_alu instid0(SALU_CYCLE_1)
	s_mov_b32 s11, exec_lo
	v_cmpx_gt_u32_e64 s1, v87
	s_cbranch_execnz .LBB1229_323
.LBB1229_374:                           ;   in Loop: Header=BB1229_310 Depth=2
	s_or_b32 exec_lo, exec_lo, s11
	s_delay_alu instid0(SALU_CYCLE_1)
	s_mov_b32 s11, exec_lo
	v_cmpx_gt_u32_e64 s1, v88
	s_cbranch_execz .LBB1229_324
.LBB1229_375:                           ;   in Loop: Header=BB1229_310 Depth=2
	global_load_b64 v[14:15], v132, s[8:9]
	s_or_b32 exec_lo, exec_lo, s11
	s_delay_alu instid0(SALU_CYCLE_1)
	s_mov_b32 s11, exec_lo
	v_cmpx_gt_u32_e64 s1, v89
	s_cbranch_execnz .LBB1229_325
.LBB1229_376:                           ;   in Loop: Header=BB1229_310 Depth=2
	s_or_b32 exec_lo, exec_lo, s11
	s_delay_alu instid0(SALU_CYCLE_1)
	s_mov_b32 s11, exec_lo
	v_cmpx_gt_u32_e64 s1, v90
	s_cbranch_execz .LBB1229_326
.LBB1229_377:                           ;   in Loop: Header=BB1229_310 Depth=2
	global_load_b64 v[10:11], v134, s[8:9]
	s_or_b32 exec_lo, exec_lo, s11
	s_delay_alu instid0(SALU_CYCLE_1)
	s_mov_b32 s11, exec_lo
	v_cmpx_gt_u32_e64 s1, v91
	s_cbranch_execnz .LBB1229_327
.LBB1229_378:                           ;   in Loop: Header=BB1229_310 Depth=2
	s_or_b32 exec_lo, exec_lo, s11
	s_delay_alu instid0(SALU_CYCLE_1)
	s_mov_b32 s11, exec_lo
	v_cmpx_gt_u32_e64 s1, v92
	s_cbranch_execz .LBB1229_328
.LBB1229_379:                           ;   in Loop: Header=BB1229_310 Depth=2
	v_lshlrev_b32_e32 v2, 3, v92
	global_load_b64 v[6:7], v2, s[8:9]
	s_or_b32 exec_lo, exec_lo, s11
	s_delay_alu instid0(SALU_CYCLE_1)
	s_mov_b32 s11, exec_lo
	v_cmpx_gt_u32_e64 s1, v93
	s_cbranch_execz .LBB1229_330
	s_branch .LBB1229_329
.LBB1229_380:                           ;   in Loop: Header=BB1229_12 Depth=1
	v_mov_b32_e32 v2, 0
	s_waitcnt vmcnt(0) lgkmcnt(0)
	s_barrier
	buffer_gl0_inv
	s_and_saveexec_b32 s1, s2
	s_cbranch_execz .LBB1229_382
; %bb.381:                              ;   in Loop: Header=BB1229_12 Depth=1
	ds_load_2addr_b64 v[4:7], v96 offset1:1
	s_waitcnt lgkmcnt(0)
	v_add_nc_u32_e32 v2, v5, v4
	s_delay_alu instid0(VALU_DEP_1)
	v_add3_u32 v2, v2, v6, v7
.LBB1229_382:                           ;   in Loop: Header=BB1229_12 Depth=1
	s_or_b32 exec_lo, exec_lo, s1
	v_and_b32_e32 v4, 15, v136
	s_delay_alu instid0(VALU_DEP_2) | instskip(SKIP_1) | instid1(VALU_DEP_3)
	v_mov_b32_dpp v5, v2 row_shr:1 row_mask:0xf bank_mask:0xf
	v_and_b32_e32 v6, 16, v136
	v_cmp_eq_u32_e64 s1, 0, v4
	v_cmp_lt_u32_e64 s7, 1, v4
	v_cmp_lt_u32_e64 s8, 3, v4
	;; [unrolled: 1-line block ×3, first 2 shown]
	v_cmp_eq_u32_e64 s10, 0, v6
	v_cndmask_b32_e64 v5, v5, 0, s1
	s_delay_alu instid0(VALU_DEP_1) | instskip(NEXT) | instid1(VALU_DEP_1)
	v_add_nc_u32_e32 v2, v5, v2
	v_mov_b32_dpp v5, v2 row_shr:2 row_mask:0xf bank_mask:0xf
	s_delay_alu instid0(VALU_DEP_1) | instskip(NEXT) | instid1(VALU_DEP_1)
	v_cndmask_b32_e64 v5, 0, v5, s7
	v_add_nc_u32_e32 v2, v2, v5
	s_delay_alu instid0(VALU_DEP_1) | instskip(NEXT) | instid1(VALU_DEP_1)
	v_mov_b32_dpp v5, v2 row_shr:4 row_mask:0xf bank_mask:0xf
	v_cndmask_b32_e64 v5, 0, v5, s8
	s_delay_alu instid0(VALU_DEP_1) | instskip(NEXT) | instid1(VALU_DEP_1)
	v_add_nc_u32_e32 v2, v2, v5
	v_mov_b32_dpp v5, v2 row_shr:8 row_mask:0xf bank_mask:0xf
	s_delay_alu instid0(VALU_DEP_1) | instskip(SKIP_1) | instid1(VALU_DEP_2)
	v_cndmask_b32_e64 v4, 0, v5, s9
	v_bfe_i32 v5, v136, 4, 1
	v_add_nc_u32_e32 v2, v2, v4
	ds_swizzle_b32 v4, v2 offset:swizzle(BROADCAST,32,15)
	s_waitcnt lgkmcnt(0)
	v_and_b32_e32 v4, v5, v4
	s_delay_alu instid0(VALU_DEP_1)
	v_add_nc_u32_e32 v4, v2, v4
	s_and_saveexec_b32 s11, s3
	s_cbranch_execz .LBB1229_384
; %bb.383:                              ;   in Loop: Header=BB1229_12 Depth=1
	ds_store_b32 v97, v4
.LBB1229_384:                           ;   in Loop: Header=BB1229_12 Depth=1
	s_or_b32 exec_lo, exec_lo, s11
	v_and_b32_e32 v2, 7, v136
	s_waitcnt lgkmcnt(0)
	s_barrier
	buffer_gl0_inv
	s_and_saveexec_b32 s11, s4
	s_cbranch_execz .LBB1229_386
; %bb.385:                              ;   in Loop: Header=BB1229_12 Depth=1
	ds_load_b32 v5, v98
	v_cmp_ne_u32_e32 vcc_lo, 0, v2
	s_waitcnt lgkmcnt(0)
	v_mov_b32_dpp v6, v5 row_shr:1 row_mask:0xf bank_mask:0xf
	s_delay_alu instid0(VALU_DEP_1) | instskip(SKIP_1) | instid1(VALU_DEP_2)
	v_cndmask_b32_e32 v6, 0, v6, vcc_lo
	v_cmp_lt_u32_e32 vcc_lo, 1, v2
	v_add_nc_u32_e32 v5, v6, v5
	s_delay_alu instid0(VALU_DEP_1) | instskip(NEXT) | instid1(VALU_DEP_1)
	v_mov_b32_dpp v6, v5 row_shr:2 row_mask:0xf bank_mask:0xf
	v_cndmask_b32_e32 v6, 0, v6, vcc_lo
	v_cmp_lt_u32_e32 vcc_lo, 3, v2
	s_delay_alu instid0(VALU_DEP_2) | instskip(NEXT) | instid1(VALU_DEP_1)
	v_add_nc_u32_e32 v5, v5, v6
	v_mov_b32_dpp v6, v5 row_shr:4 row_mask:0xf bank_mask:0xf
	s_delay_alu instid0(VALU_DEP_1) | instskip(NEXT) | instid1(VALU_DEP_1)
	v_cndmask_b32_e32 v6, 0, v6, vcc_lo
	v_add_nc_u32_e32 v5, v5, v6
	ds_store_b32 v98, v5
.LBB1229_386:                           ;   in Loop: Header=BB1229_12 Depth=1
	s_or_b32 exec_lo, exec_lo, s11
	v_mov_b32_e32 v5, 0
	s_waitcnt lgkmcnt(0)
	s_barrier
	buffer_gl0_inv
	s_and_saveexec_b32 s11, s5
	s_cbranch_execz .LBB1229_388
; %bb.387:                              ;   in Loop: Header=BB1229_12 Depth=1
	ds_load_b32 v5, v99
.LBB1229_388:                           ;   in Loop: Header=BB1229_12 Depth=1
	s_or_b32 exec_lo, exec_lo, s11
	v_add_nc_u32_e32 v6, -1, v136
	s_waitcnt lgkmcnt(0)
	v_add_nc_u32_e32 v4, v5, v4
	v_cmp_eq_u32_e64 s11, 0, v136
	s_barrier
	v_cmp_gt_i32_e32 vcc_lo, 0, v6
	buffer_gl0_inv
	v_cndmask_b32_e32 v6, v6, v136, vcc_lo
	s_delay_alu instid0(VALU_DEP_1)
	v_lshlrev_b32_e32 v137, 2, v6
	ds_bpermute_b32 v4, v137, v4
	s_and_saveexec_b32 s12, s2
	s_cbranch_execz .LBB1229_390
; %bb.389:                              ;   in Loop: Header=BB1229_12 Depth=1
	s_waitcnt lgkmcnt(0)
	v_cndmask_b32_e64 v4, v4, v5, s11
	s_delay_alu instid0(VALU_DEP_1)
	v_add_nc_u32_e32 v4, s33, v4
	ds_store_b32 v76, v4
.LBB1229_390:                           ;   in Loop: Header=BB1229_12 Depth=1
	s_or_b32 exec_lo, exec_lo, s12
	s_load_b64 s[12:13], s[38:39], 0x0
	v_lshlrev_b32_e32 v7, 3, v136
	v_cmp_lt_u32_e64 s14, 3, v2
	v_or_b32_e32 v138, v136, v100
	s_mov_b32 s56, s62
	s_mov_b32 s36, s33
	v_add_co_u32 v139, vcc_lo, v113, v7
	v_add_co_ci_u32_e32 v140, vcc_lo, 0, v114, vcc_lo
	v_add_co_u32 v156, vcc_lo, v115, v7
	v_add_co_ci_u32_e32 v157, vcc_lo, 0, v116, vcc_lo
	v_or_b32_e32 v141, 32, v138
	s_delay_alu instid0(VALU_DEP_3)
	v_add_co_u32 v159, vcc_lo, 0xf00, v156
	v_or_b32_e32 v142, 64, v138
	v_or_b32_e32 v143, 0x60, v138
	v_or_b32_e32 v144, 0x80, v138
	s_waitcnt lgkmcnt(0)
	s_cmp_lt_u32 s15, s13
	v_or_b32_e32 v145, 0xa0, v138
	s_cselect_b32 s13, 14, 20
	v_or_b32_e32 v146, 0xc0, v138
	s_add_u32 s16, s38, s13
	s_addc_u32 s17, s39, 0
	s_cmp_lt_u32 s34, s12
	global_load_u16 v4, v3, s[16:17]
	s_cselect_b32 s12, 12, 18
	v_or_b32_e32 v147, 0xe0, v138
	s_add_u32 s12, s38, s12
	s_addc_u32 s13, s39, 0
	v_or_b32_e32 v148, 0x100, v138
	global_load_u16 v6, v3, s[12:13]
	v_cmp_eq_u32_e64 s12, 0, v2
	v_cmp_lt_u32_e64 s13, 1, v2
	v_or_b32_e32 v149, 0x120, v138
	v_or_b32_e32 v150, 0x140, v138
	;; [unrolled: 1-line block ×7, first 2 shown]
	v_add_co_ci_u32_e32 v160, vcc_lo, 0, v157, vcc_lo
                                        ; implicit-def: $vgpr8_vgpr9
                                        ; implicit-def: $vgpr10_vgpr11
                                        ; implicit-def: $vgpr12_vgpr13
                                        ; implicit-def: $vgpr14_vgpr15
                                        ; implicit-def: $vgpr16_vgpr17
                                        ; implicit-def: $vgpr18_vgpr19
                                        ; implicit-def: $vgpr20_vgpr21
                                        ; implicit-def: $vgpr22_vgpr23
                                        ; implicit-def: $vgpr24_vgpr25
                                        ; implicit-def: $vgpr26_vgpr27
                                        ; implicit-def: $vgpr28_vgpr29
                                        ; implicit-def: $vgpr30_vgpr31
                                        ; implicit-def: $vgpr32_vgpr33
                                        ; implicit-def: $vgpr34_vgpr35
                                        ; implicit-def: $vgpr161
                                        ; implicit-def: $vgpr162
                                        ; implicit-def: $vgpr163
                                        ; implicit-def: $vgpr164
                                        ; implicit-def: $vgpr165
                                        ; implicit-def: $vgpr166
                                        ; implicit-def: $vgpr167
                                        ; implicit-def: $vgpr168
                                        ; implicit-def: $vgpr169
                                        ; implicit-def: $vgpr170
                                        ; implicit-def: $vgpr171
                                        ; implicit-def: $vgpr172
                                        ; implicit-def: $vgpr173
                                        ; implicit-def: $vgpr174
                                        ; implicit-def: $vgpr175
                                        ; implicit-def: $vgpr176
	s_waitcnt vmcnt(1)
	v_mad_u32_u24 v2, v101, v4, v0
	s_waitcnt vmcnt(0)
	s_delay_alu instid0(VALU_DEP_1) | instskip(NEXT) | instid1(VALU_DEP_1)
	v_mad_u64_u32 v[4:5], null, v2, v6, v[1:2]
                                        ; implicit-def: $vgpr6_vgpr7
	v_lshrrev_b32_e32 v158, 5, v4
                                        ; implicit-def: $vgpr4_vgpr5
	s_branch .LBB1229_392
.LBB1229_391:                           ;   in Loop: Header=BB1229_392 Depth=2
	s_or_b32 exec_lo, exec_lo, s16
	s_addk_i32 s56, 0xf000
	s_cmp_lt_u32 s60, s35
	s_mov_b32 s36, s60
	s_cbranch_scc0 .LBB1229_600
.LBB1229_392:                           ;   Parent Loop BB1229_12 Depth=1
                                        ; =>  This Inner Loop Header: Depth=2
	s_add_i32 s60, s36, 0x1000
	s_delay_alu instid0(SALU_CYCLE_1)
	s_cmp_gt_u32 s60, s35
	s_cbranch_scc1 .LBB1229_394
; %bb.393:                              ;   in Loop: Header=BB1229_392 Depth=2
	s_mov_b32 s17, 0
	s_mov_b32 s16, s36
	s_delay_alu instid0(SALU_CYCLE_1) | instskip(NEXT) | instid1(SALU_CYCLE_1)
	s_lshl_b64 s[18:19], s[16:17], 3
	v_add_co_u32 v40, vcc_lo, v156, s18
	v_add_co_ci_u32_e32 v41, vcc_lo, s19, v157, vcc_lo
	s_mov_b32 s19, -1
	s_movk_i32 s18, 0x1000
	s_clause 0xe
	global_load_b64 v[36:37], v[40:41], off
	global_load_b64 v[38:39], v[40:41], off offset:256
	global_load_b64 v[44:45], v[40:41], off offset:512
	;; [unrolled: 1-line block ×14, first 2 shown]
	s_cbranch_execz .LBB1229_395
	s_branch .LBB1229_426
.LBB1229_394:                           ;   in Loop: Header=BB1229_392 Depth=2
	s_mov_b32 s17, -1
	s_mov_b32 s19, 0
                                        ; implicit-def: $sgpr18
                                        ; implicit-def: $vgpr36_vgpr37
                                        ; implicit-def: $vgpr38_vgpr39
                                        ; implicit-def: $vgpr44_vgpr45
                                        ; implicit-def: $vgpr48_vgpr49
                                        ; implicit-def: $vgpr52_vgpr53
                                        ; implicit-def: $vgpr58_vgpr59
                                        ; implicit-def: $vgpr62_vgpr63
                                        ; implicit-def: $vgpr66_vgpr67
                                        ; implicit-def: $vgpr64_vgpr65
                                        ; implicit-def: $vgpr60_vgpr61
                                        ; implicit-def: $vgpr56_vgpr57
                                        ; implicit-def: $vgpr54_vgpr55
                                        ; implicit-def: $vgpr50_vgpr51
                                        ; implicit-def: $vgpr46_vgpr47
                                        ; implicit-def: $vgpr40_vgpr41
.LBB1229_395:                           ;   in Loop: Header=BB1229_392 Depth=2
	s_lshl_b64 s[16:17], s[36:37], 3
	s_waitcnt vmcnt(14)
	v_dual_mov_b32 v36, s40 :: v_dual_mov_b32 v37, s41
	v_add_co_u32 v42, vcc_lo, v156, s16
	v_add_co_ci_u32_e32 v43, vcc_lo, s17, v157, vcc_lo
	s_mov_b32 s16, exec_lo
	v_cmpx_gt_u32_e64 s56, v138
	s_cbranch_execz .LBB1229_397
; %bb.396:                              ;   in Loop: Header=BB1229_392 Depth=2
	global_load_b64 v[36:37], v[42:43], off
.LBB1229_397:                           ;   in Loop: Header=BB1229_392 Depth=2
	s_or_b32 exec_lo, exec_lo, s16
	s_waitcnt vmcnt(13)
	v_dual_mov_b32 v38, s40 :: v_dual_mov_b32 v39, s41
	s_mov_b32 s16, exec_lo
	v_cmpx_gt_u32_e64 s56, v141
	s_cbranch_execz .LBB1229_399
; %bb.398:                              ;   in Loop: Header=BB1229_392 Depth=2
	global_load_b64 v[38:39], v[42:43], off offset:256
.LBB1229_399:                           ;   in Loop: Header=BB1229_392 Depth=2
	s_or_b32 exec_lo, exec_lo, s16
	s_waitcnt vmcnt(12)
	v_dual_mov_b32 v45, s41 :: v_dual_mov_b32 v44, s40
	s_mov_b32 s16, exec_lo
	v_cmpx_gt_u32_e64 s56, v142
	s_cbranch_execz .LBB1229_401
; %bb.400:                              ;   in Loop: Header=BB1229_392 Depth=2
	global_load_b64 v[44:45], v[42:43], off offset:512
.LBB1229_401:                           ;   in Loop: Header=BB1229_392 Depth=2
	;; [unrolled: 9-line block ×14, first 2 shown]
	s_or_b32 exec_lo, exec_lo, s16
	v_cmp_gt_u32_e64 s19, s56, v155
	s_sub_i32 s18, s35, s36
	s_mov_b64 s[16:17], s[36:37]
.LBB1229_426:                           ;   in Loop: Header=BB1229_392 Depth=2
	v_dual_mov_b32 v43, s41 :: v_dual_mov_b32 v42, s40
	v_mov_b32_e32 v177, s56
	s_and_saveexec_b32 s20, s19
	s_cbranch_execz .LBB1229_428
; %bb.427:                              ;   in Loop: Header=BB1229_392 Depth=2
	s_lshl_b64 s[16:17], s[16:17], 3
	v_mov_b32_e32 v177, s18
	v_add_co_u32 v42, vcc_lo, v159, s16
	v_add_co_ci_u32_e32 v43, vcc_lo, s17, v160, vcc_lo
	global_load_b64 v[42:43], v[42:43], off
.LBB1229_428:                           ;   in Loop: Header=BB1229_392 Depth=2
	s_or_b32 exec_lo, exec_lo, s20
	s_waitcnt vmcnt(14)
	v_cmp_lt_i64_e32 vcc_lo, -1, v[36:37]
	v_ashrrev_i32_e32 v68, 31, v37
	ds_store_b32 v102, v3 offset:1056
	ds_store_2addr_b32 v103, v3, v3 offset0:1 offset1:2
	ds_store_2addr_b32 v103, v3, v3 offset0:3 offset1:4
	;; [unrolled: 1-line block ×4, first 2 shown]
	s_waitcnt vmcnt(0) lgkmcnt(0)
	s_barrier
	v_cndmask_b32_e64 v2, -1, 0x80000000, vcc_lo
	v_xor_b32_e32 v36, v68, v36
	buffer_gl0_inv
	; wave barrier
	v_xor_b32_e32 v37, v2, v37
	s_delay_alu instid0(VALU_DEP_1) | instskip(SKIP_2) | instid1(VALU_DEP_1)
	v_cmp_ne_u64_e32 vcc_lo, s[40:41], v[36:37]
	v_cndmask_b32_e32 v69, 0x80000000, v37, vcc_lo
	v_cndmask_b32_e32 v68, 0, v36, vcc_lo
	v_lshrrev_b64 v[68:69], s43, v[68:69]
	s_delay_alu instid0(VALU_DEP_1) | instskip(NEXT) | instid1(VALU_DEP_1)
	v_and_b32_e32 v69, s51, v68
	v_lshlrev_b32_e32 v71, 28, v69
	v_and_b32_e32 v2, 1, v69
	v_lshlrev_b32_e32 v68, 30, v69
	v_lshlrev_b32_e32 v70, 29, v69
	;; [unrolled: 1-line block ×4, first 2 shown]
	v_add_co_u32 v2, s16, v2, -1
	s_delay_alu instid0(VALU_DEP_1)
	v_cndmask_b32_e64 v72, 0, 1, s16
	v_not_b32_e32 v178, v68
	v_cmp_gt_i32_e64 s16, 0, v68
	v_not_b32_e32 v68, v70
	v_lshlrev_b32_e32 v75, 25, v69
	v_cmp_ne_u32_e32 vcc_lo, 0, v72
	v_ashrrev_i32_e32 v178, 31, v178
	v_lshlrev_b32_e32 v72, 24, v69
	v_ashrrev_i32_e32 v68, 31, v68
	v_mad_u32_u24 v69, v69, 9, v158
	v_xor_b32_e32 v2, vcc_lo, v2
	v_cmp_gt_i32_e32 vcc_lo, 0, v70
	v_not_b32_e32 v70, v71
	v_xor_b32_e32 v178, s16, v178
	v_cmp_gt_i32_e64 s16, 0, v71
	v_and_b32_e32 v2, exec_lo, v2
	v_not_b32_e32 v71, v73
	v_ashrrev_i32_e32 v70, 31, v70
	v_xor_b32_e32 v68, vcc_lo, v68
	v_cmp_gt_i32_e32 vcc_lo, 0, v73
	v_and_b32_e32 v2, v2, v178
	v_not_b32_e32 v73, v74
	v_ashrrev_i32_e32 v71, 31, v71
	v_xor_b32_e32 v70, s16, v70
	v_cmp_gt_i32_e64 s16, 0, v74
	v_and_b32_e32 v2, v2, v68
	v_not_b32_e32 v68, v75
	v_ashrrev_i32_e32 v73, 31, v73
	v_xor_b32_e32 v71, vcc_lo, v71
	v_cmp_gt_i32_e32 vcc_lo, 0, v75
	v_and_b32_e32 v2, v2, v70
	v_not_b32_e32 v70, v72
	v_ashrrev_i32_e32 v68, 31, v68
	v_xor_b32_e32 v73, s16, v73
	v_cmp_gt_i32_e64 s16, 0, v72
	v_and_b32_e32 v2, v2, v71
	v_ashrrev_i32_e32 v70, 31, v70
	v_xor_b32_e32 v68, vcc_lo, v68
	v_lshl_add_u32 v178, v69, 2, 0x420
	s_delay_alu instid0(VALU_DEP_4) | instskip(NEXT) | instid1(VALU_DEP_4)
	v_and_b32_e32 v2, v2, v73
	v_xor_b32_e32 v70, s16, v70
	s_delay_alu instid0(VALU_DEP_2) | instskip(NEXT) | instid1(VALU_DEP_1)
	v_and_b32_e32 v2, v2, v68
	v_and_b32_e32 v68, v2, v70
	s_delay_alu instid0(VALU_DEP_1) | instskip(SKIP_1) | instid1(VALU_DEP_2)
	v_mbcnt_lo_u32_b32 v2, v68, 0
	v_cmp_ne_u32_e64 s16, 0, v68
	v_cmp_eq_u32_e32 vcc_lo, 0, v2
	s_delay_alu instid0(VALU_DEP_2) | instskip(NEXT) | instid1(SALU_CYCLE_1)
	s_and_b32 s17, s16, vcc_lo
	s_and_saveexec_b32 s16, s17
	s_cbranch_execz .LBB1229_430
; %bb.429:                              ;   in Loop: Header=BB1229_392 Depth=2
	v_bcnt_u32_b32 v68, v68, 0
	ds_store_b32 v178, v68
.LBB1229_430:                           ;   in Loop: Header=BB1229_392 Depth=2
	s_or_b32 exec_lo, exec_lo, s16
	v_cmp_lt_i64_e32 vcc_lo, -1, v[38:39]
	v_ashrrev_i32_e32 v69, 31, v39
	; wave barrier
	s_delay_alu instid0(VALU_DEP_1) | instskip(SKIP_1) | instid1(VALU_DEP_1)
	v_xor_b32_e32 v38, v69, v38
	v_cndmask_b32_e64 v68, -1, 0x80000000, vcc_lo
	v_xor_b32_e32 v39, v68, v39
	s_delay_alu instid0(VALU_DEP_1) | instskip(SKIP_2) | instid1(VALU_DEP_1)
	v_cmp_ne_u64_e32 vcc_lo, s[40:41], v[38:39]
	v_cndmask_b32_e32 v69, 0x80000000, v39, vcc_lo
	v_cndmask_b32_e32 v68, 0, v38, vcc_lo
	v_lshrrev_b64 v[68:69], s43, v[68:69]
	s_delay_alu instid0(VALU_DEP_1) | instskip(NEXT) | instid1(VALU_DEP_1)
	v_and_b32_e32 v68, s51, v68
	v_and_b32_e32 v69, 1, v68
	v_lshlrev_b32_e32 v70, 30, v68
	v_lshlrev_b32_e32 v71, 29, v68
	;; [unrolled: 1-line block ×4, first 2 shown]
	v_add_co_u32 v69, s16, v69, -1
	s_delay_alu instid0(VALU_DEP_1)
	v_cndmask_b32_e64 v73, 0, 1, s16
	v_not_b32_e32 v180, v70
	v_cmp_gt_i32_e64 s16, 0, v70
	v_not_b32_e32 v70, v71
	v_lshlrev_b32_e32 v75, 26, v68
	v_cmp_ne_u32_e32 vcc_lo, 0, v73
	v_ashrrev_i32_e32 v180, 31, v180
	v_lshlrev_b32_e32 v179, 25, v68
	v_ashrrev_i32_e32 v70, 31, v70
	v_lshlrev_b32_e32 v73, 24, v68
	v_xor_b32_e32 v69, vcc_lo, v69
	v_cmp_gt_i32_e32 vcc_lo, 0, v71
	v_not_b32_e32 v71, v72
	v_xor_b32_e32 v180, s16, v180
	v_cmp_gt_i32_e64 s16, 0, v72
	v_and_b32_e32 v69, exec_lo, v69
	v_not_b32_e32 v72, v74
	v_ashrrev_i32_e32 v71, 31, v71
	v_xor_b32_e32 v70, vcc_lo, v70
	v_cmp_gt_i32_e32 vcc_lo, 0, v74
	v_and_b32_e32 v69, v69, v180
	v_not_b32_e32 v74, v75
	v_ashrrev_i32_e32 v72, 31, v72
	v_xor_b32_e32 v71, s16, v71
	v_cmp_gt_i32_e64 s16, 0, v75
	v_and_b32_e32 v69, v69, v70
	v_not_b32_e32 v70, v179
	v_ashrrev_i32_e32 v74, 31, v74
	v_xor_b32_e32 v72, vcc_lo, v72
	v_cmp_gt_i32_e32 vcc_lo, 0, v179
	v_and_b32_e32 v69, v69, v71
	v_not_b32_e32 v71, v73
	v_ashrrev_i32_e32 v70, 31, v70
	v_xor_b32_e32 v74, s16, v74
	v_mul_u32_u24_e32 v68, 9, v68
	v_and_b32_e32 v69, v69, v72
	v_cmp_gt_i32_e64 s16, 0, v73
	v_ashrrev_i32_e32 v71, 31, v71
	v_xor_b32_e32 v70, vcc_lo, v70
	v_add_lshl_u32 v72, v68, v158, 2
	v_and_b32_e32 v69, v69, v74
	s_delay_alu instid0(VALU_DEP_4) | instskip(SKIP_3) | instid1(VALU_DEP_2)
	v_xor_b32_e32 v68, s16, v71
	ds_load_b32 v179, v72 offset:1056
	v_and_b32_e32 v69, v69, v70
	v_add_nc_u32_e32 v181, 0x420, v72
	; wave barrier
	v_and_b32_e32 v68, v69, v68
	s_delay_alu instid0(VALU_DEP_1) | instskip(SKIP_1) | instid1(VALU_DEP_2)
	v_mbcnt_lo_u32_b32 v180, v68, 0
	v_cmp_ne_u32_e64 s16, 0, v68
	v_cmp_eq_u32_e32 vcc_lo, 0, v180
	s_delay_alu instid0(VALU_DEP_2) | instskip(NEXT) | instid1(SALU_CYCLE_1)
	s_and_b32 s17, s16, vcc_lo
	s_and_saveexec_b32 s16, s17
	s_cbranch_execz .LBB1229_432
; %bb.431:                              ;   in Loop: Header=BB1229_392 Depth=2
	s_waitcnt lgkmcnt(0)
	v_bcnt_u32_b32 v68, v68, v179
	ds_store_b32 v181, v68
.LBB1229_432:                           ;   in Loop: Header=BB1229_392 Depth=2
	s_or_b32 exec_lo, exec_lo, s16
	v_cmp_lt_i64_e32 vcc_lo, -1, v[44:45]
	v_ashrrev_i32_e32 v69, 31, v45
	; wave barrier
	s_delay_alu instid0(VALU_DEP_1) | instskip(SKIP_1) | instid1(VALU_DEP_1)
	v_xor_b32_e32 v44, v69, v44
	v_cndmask_b32_e64 v68, -1, 0x80000000, vcc_lo
	v_xor_b32_e32 v45, v68, v45
	s_delay_alu instid0(VALU_DEP_1) | instskip(SKIP_2) | instid1(VALU_DEP_1)
	v_cmp_ne_u64_e32 vcc_lo, s[40:41], v[44:45]
	v_cndmask_b32_e32 v69, 0x80000000, v45, vcc_lo
	v_cndmask_b32_e32 v68, 0, v44, vcc_lo
	v_lshrrev_b64 v[68:69], s43, v[68:69]
	s_delay_alu instid0(VALU_DEP_1) | instskip(NEXT) | instid1(VALU_DEP_1)
	v_and_b32_e32 v68, s51, v68
	v_and_b32_e32 v69, 1, v68
	v_lshlrev_b32_e32 v70, 30, v68
	v_lshlrev_b32_e32 v71, 29, v68
	;; [unrolled: 1-line block ×4, first 2 shown]
	v_add_co_u32 v69, s16, v69, -1
	s_delay_alu instid0(VALU_DEP_1)
	v_cndmask_b32_e64 v73, 0, 1, s16
	v_not_b32_e32 v183, v70
	v_cmp_gt_i32_e64 s16, 0, v70
	v_not_b32_e32 v70, v71
	v_lshlrev_b32_e32 v75, 26, v68
	v_cmp_ne_u32_e32 vcc_lo, 0, v73
	v_ashrrev_i32_e32 v183, 31, v183
	v_lshlrev_b32_e32 v182, 25, v68
	v_ashrrev_i32_e32 v70, 31, v70
	v_lshlrev_b32_e32 v73, 24, v68
	v_xor_b32_e32 v69, vcc_lo, v69
	v_cmp_gt_i32_e32 vcc_lo, 0, v71
	v_not_b32_e32 v71, v72
	v_xor_b32_e32 v183, s16, v183
	v_cmp_gt_i32_e64 s16, 0, v72
	v_and_b32_e32 v69, exec_lo, v69
	v_not_b32_e32 v72, v74
	v_ashrrev_i32_e32 v71, 31, v71
	v_xor_b32_e32 v70, vcc_lo, v70
	v_cmp_gt_i32_e32 vcc_lo, 0, v74
	v_and_b32_e32 v69, v69, v183
	v_not_b32_e32 v74, v75
	v_ashrrev_i32_e32 v72, 31, v72
	v_xor_b32_e32 v71, s16, v71
	v_cmp_gt_i32_e64 s16, 0, v75
	v_and_b32_e32 v69, v69, v70
	v_not_b32_e32 v70, v182
	v_ashrrev_i32_e32 v74, 31, v74
	v_xor_b32_e32 v72, vcc_lo, v72
	v_cmp_gt_i32_e32 vcc_lo, 0, v182
	v_and_b32_e32 v69, v69, v71
	v_not_b32_e32 v71, v73
	v_ashrrev_i32_e32 v70, 31, v70
	v_xor_b32_e32 v74, s16, v74
	v_mul_u32_u24_e32 v68, 9, v68
	v_and_b32_e32 v69, v69, v72
	v_cmp_gt_i32_e64 s16, 0, v73
	v_ashrrev_i32_e32 v71, 31, v71
	v_xor_b32_e32 v70, vcc_lo, v70
	v_add_lshl_u32 v72, v68, v158, 2
	v_and_b32_e32 v69, v69, v74
	s_delay_alu instid0(VALU_DEP_4) | instskip(SKIP_3) | instid1(VALU_DEP_2)
	v_xor_b32_e32 v68, s16, v71
	ds_load_b32 v182, v72 offset:1056
	v_and_b32_e32 v69, v69, v70
	v_add_nc_u32_e32 v184, 0x420, v72
	; wave barrier
	v_and_b32_e32 v68, v69, v68
	s_delay_alu instid0(VALU_DEP_1) | instskip(SKIP_1) | instid1(VALU_DEP_2)
	v_mbcnt_lo_u32_b32 v183, v68, 0
	v_cmp_ne_u32_e64 s16, 0, v68
	v_cmp_eq_u32_e32 vcc_lo, 0, v183
	s_delay_alu instid0(VALU_DEP_2) | instskip(NEXT) | instid1(SALU_CYCLE_1)
	s_and_b32 s17, s16, vcc_lo
	s_and_saveexec_b32 s16, s17
	s_cbranch_execz .LBB1229_434
; %bb.433:                              ;   in Loop: Header=BB1229_392 Depth=2
	s_waitcnt lgkmcnt(0)
	v_bcnt_u32_b32 v68, v68, v182
	ds_store_b32 v184, v68
.LBB1229_434:                           ;   in Loop: Header=BB1229_392 Depth=2
	s_or_b32 exec_lo, exec_lo, s16
	v_cmp_lt_i64_e32 vcc_lo, -1, v[48:49]
	v_ashrrev_i32_e32 v69, 31, v49
	; wave barrier
	s_delay_alu instid0(VALU_DEP_1) | instskip(SKIP_1) | instid1(VALU_DEP_1)
	v_xor_b32_e32 v48, v69, v48
	v_cndmask_b32_e64 v68, -1, 0x80000000, vcc_lo
	v_xor_b32_e32 v49, v68, v49
	s_delay_alu instid0(VALU_DEP_1) | instskip(SKIP_2) | instid1(VALU_DEP_1)
	v_cmp_ne_u64_e32 vcc_lo, s[40:41], v[48:49]
	v_cndmask_b32_e32 v69, 0x80000000, v49, vcc_lo
	v_cndmask_b32_e32 v68, 0, v48, vcc_lo
	v_lshrrev_b64 v[68:69], s43, v[68:69]
	s_delay_alu instid0(VALU_DEP_1) | instskip(NEXT) | instid1(VALU_DEP_1)
	v_and_b32_e32 v68, s51, v68
	v_and_b32_e32 v69, 1, v68
	v_lshlrev_b32_e32 v70, 30, v68
	v_lshlrev_b32_e32 v71, 29, v68
	;; [unrolled: 1-line block ×4, first 2 shown]
	v_add_co_u32 v69, s16, v69, -1
	s_delay_alu instid0(VALU_DEP_1)
	v_cndmask_b32_e64 v73, 0, 1, s16
	v_not_b32_e32 v186, v70
	v_cmp_gt_i32_e64 s16, 0, v70
	v_not_b32_e32 v70, v71
	v_lshlrev_b32_e32 v75, 26, v68
	v_cmp_ne_u32_e32 vcc_lo, 0, v73
	v_ashrrev_i32_e32 v186, 31, v186
	v_lshlrev_b32_e32 v185, 25, v68
	v_ashrrev_i32_e32 v70, 31, v70
	v_lshlrev_b32_e32 v73, 24, v68
	v_xor_b32_e32 v69, vcc_lo, v69
	v_cmp_gt_i32_e32 vcc_lo, 0, v71
	v_not_b32_e32 v71, v72
	v_xor_b32_e32 v186, s16, v186
	v_cmp_gt_i32_e64 s16, 0, v72
	v_and_b32_e32 v69, exec_lo, v69
	v_not_b32_e32 v72, v74
	v_ashrrev_i32_e32 v71, 31, v71
	v_xor_b32_e32 v70, vcc_lo, v70
	v_cmp_gt_i32_e32 vcc_lo, 0, v74
	v_and_b32_e32 v69, v69, v186
	v_not_b32_e32 v74, v75
	v_ashrrev_i32_e32 v72, 31, v72
	v_xor_b32_e32 v71, s16, v71
	v_cmp_gt_i32_e64 s16, 0, v75
	v_and_b32_e32 v69, v69, v70
	v_not_b32_e32 v70, v185
	v_ashrrev_i32_e32 v74, 31, v74
	v_xor_b32_e32 v72, vcc_lo, v72
	v_cmp_gt_i32_e32 vcc_lo, 0, v185
	v_and_b32_e32 v69, v69, v71
	v_not_b32_e32 v71, v73
	v_ashrrev_i32_e32 v70, 31, v70
	v_xor_b32_e32 v74, s16, v74
	v_mul_u32_u24_e32 v68, 9, v68
	v_and_b32_e32 v69, v69, v72
	v_cmp_gt_i32_e64 s16, 0, v73
	v_ashrrev_i32_e32 v71, 31, v71
	v_xor_b32_e32 v70, vcc_lo, v70
	v_add_lshl_u32 v72, v68, v158, 2
	v_and_b32_e32 v69, v69, v74
	s_delay_alu instid0(VALU_DEP_4) | instskip(SKIP_3) | instid1(VALU_DEP_2)
	v_xor_b32_e32 v68, s16, v71
	ds_load_b32 v185, v72 offset:1056
	v_and_b32_e32 v69, v69, v70
	v_add_nc_u32_e32 v187, 0x420, v72
	; wave barrier
	v_and_b32_e32 v68, v69, v68
	s_delay_alu instid0(VALU_DEP_1) | instskip(SKIP_1) | instid1(VALU_DEP_2)
	v_mbcnt_lo_u32_b32 v186, v68, 0
	v_cmp_ne_u32_e64 s16, 0, v68
	v_cmp_eq_u32_e32 vcc_lo, 0, v186
	s_delay_alu instid0(VALU_DEP_2) | instskip(NEXT) | instid1(SALU_CYCLE_1)
	s_and_b32 s17, s16, vcc_lo
	s_and_saveexec_b32 s16, s17
	s_cbranch_execz .LBB1229_436
; %bb.435:                              ;   in Loop: Header=BB1229_392 Depth=2
	s_waitcnt lgkmcnt(0)
	v_bcnt_u32_b32 v68, v68, v185
	ds_store_b32 v187, v68
.LBB1229_436:                           ;   in Loop: Header=BB1229_392 Depth=2
	s_or_b32 exec_lo, exec_lo, s16
	v_cmp_lt_i64_e32 vcc_lo, -1, v[52:53]
	v_ashrrev_i32_e32 v69, 31, v53
	; wave barrier
	s_delay_alu instid0(VALU_DEP_1) | instskip(SKIP_1) | instid1(VALU_DEP_1)
	v_xor_b32_e32 v52, v69, v52
	v_cndmask_b32_e64 v68, -1, 0x80000000, vcc_lo
	v_xor_b32_e32 v53, v68, v53
	s_delay_alu instid0(VALU_DEP_1) | instskip(SKIP_2) | instid1(VALU_DEP_1)
	v_cmp_ne_u64_e32 vcc_lo, s[40:41], v[52:53]
	v_cndmask_b32_e32 v69, 0x80000000, v53, vcc_lo
	v_cndmask_b32_e32 v68, 0, v52, vcc_lo
	v_lshrrev_b64 v[68:69], s43, v[68:69]
	s_delay_alu instid0(VALU_DEP_1) | instskip(NEXT) | instid1(VALU_DEP_1)
	v_and_b32_e32 v68, s51, v68
	v_and_b32_e32 v69, 1, v68
	v_lshlrev_b32_e32 v70, 30, v68
	v_lshlrev_b32_e32 v71, 29, v68
	;; [unrolled: 1-line block ×4, first 2 shown]
	v_add_co_u32 v69, s16, v69, -1
	s_delay_alu instid0(VALU_DEP_1)
	v_cndmask_b32_e64 v73, 0, 1, s16
	v_not_b32_e32 v189, v70
	v_cmp_gt_i32_e64 s16, 0, v70
	v_not_b32_e32 v70, v71
	v_lshlrev_b32_e32 v75, 26, v68
	v_cmp_ne_u32_e32 vcc_lo, 0, v73
	v_ashrrev_i32_e32 v189, 31, v189
	v_lshlrev_b32_e32 v188, 25, v68
	v_ashrrev_i32_e32 v70, 31, v70
	v_lshlrev_b32_e32 v73, 24, v68
	v_xor_b32_e32 v69, vcc_lo, v69
	v_cmp_gt_i32_e32 vcc_lo, 0, v71
	v_not_b32_e32 v71, v72
	v_xor_b32_e32 v189, s16, v189
	v_cmp_gt_i32_e64 s16, 0, v72
	v_and_b32_e32 v69, exec_lo, v69
	v_not_b32_e32 v72, v74
	v_ashrrev_i32_e32 v71, 31, v71
	v_xor_b32_e32 v70, vcc_lo, v70
	v_cmp_gt_i32_e32 vcc_lo, 0, v74
	v_and_b32_e32 v69, v69, v189
	v_not_b32_e32 v74, v75
	v_ashrrev_i32_e32 v72, 31, v72
	v_xor_b32_e32 v71, s16, v71
	v_cmp_gt_i32_e64 s16, 0, v75
	v_and_b32_e32 v69, v69, v70
	v_not_b32_e32 v70, v188
	v_ashrrev_i32_e32 v74, 31, v74
	v_xor_b32_e32 v72, vcc_lo, v72
	v_cmp_gt_i32_e32 vcc_lo, 0, v188
	v_and_b32_e32 v69, v69, v71
	v_not_b32_e32 v71, v73
	v_ashrrev_i32_e32 v70, 31, v70
	v_xor_b32_e32 v74, s16, v74
	v_mul_u32_u24_e32 v68, 9, v68
	v_and_b32_e32 v69, v69, v72
	v_cmp_gt_i32_e64 s16, 0, v73
	v_ashrrev_i32_e32 v71, 31, v71
	v_xor_b32_e32 v70, vcc_lo, v70
	v_add_lshl_u32 v72, v68, v158, 2
	v_and_b32_e32 v69, v69, v74
	s_delay_alu instid0(VALU_DEP_4) | instskip(SKIP_3) | instid1(VALU_DEP_2)
	v_xor_b32_e32 v68, s16, v71
	ds_load_b32 v188, v72 offset:1056
	v_and_b32_e32 v69, v69, v70
	v_add_nc_u32_e32 v190, 0x420, v72
	; wave barrier
	v_and_b32_e32 v68, v69, v68
	s_delay_alu instid0(VALU_DEP_1) | instskip(SKIP_1) | instid1(VALU_DEP_2)
	v_mbcnt_lo_u32_b32 v189, v68, 0
	v_cmp_ne_u32_e64 s16, 0, v68
	v_cmp_eq_u32_e32 vcc_lo, 0, v189
	s_delay_alu instid0(VALU_DEP_2) | instskip(NEXT) | instid1(SALU_CYCLE_1)
	s_and_b32 s17, s16, vcc_lo
	s_and_saveexec_b32 s16, s17
	s_cbranch_execz .LBB1229_438
; %bb.437:                              ;   in Loop: Header=BB1229_392 Depth=2
	s_waitcnt lgkmcnt(0)
	v_bcnt_u32_b32 v68, v68, v188
	ds_store_b32 v190, v68
.LBB1229_438:                           ;   in Loop: Header=BB1229_392 Depth=2
	s_or_b32 exec_lo, exec_lo, s16
	v_cmp_lt_i64_e32 vcc_lo, -1, v[58:59]
	v_ashrrev_i32_e32 v69, 31, v59
	; wave barrier
	s_delay_alu instid0(VALU_DEP_1) | instskip(SKIP_1) | instid1(VALU_DEP_1)
	v_xor_b32_e32 v58, v69, v58
	v_cndmask_b32_e64 v68, -1, 0x80000000, vcc_lo
	v_xor_b32_e32 v59, v68, v59
	s_delay_alu instid0(VALU_DEP_1) | instskip(SKIP_2) | instid1(VALU_DEP_1)
	v_cmp_ne_u64_e32 vcc_lo, s[40:41], v[58:59]
	v_cndmask_b32_e32 v69, 0x80000000, v59, vcc_lo
	v_cndmask_b32_e32 v68, 0, v58, vcc_lo
	v_lshrrev_b64 v[68:69], s43, v[68:69]
	s_delay_alu instid0(VALU_DEP_1) | instskip(NEXT) | instid1(VALU_DEP_1)
	v_and_b32_e32 v68, s51, v68
	v_and_b32_e32 v69, 1, v68
	v_lshlrev_b32_e32 v70, 30, v68
	v_lshlrev_b32_e32 v71, 29, v68
	;; [unrolled: 1-line block ×4, first 2 shown]
	v_add_co_u32 v69, s16, v69, -1
	s_delay_alu instid0(VALU_DEP_1)
	v_cndmask_b32_e64 v73, 0, 1, s16
	v_not_b32_e32 v192, v70
	v_cmp_gt_i32_e64 s16, 0, v70
	v_not_b32_e32 v70, v71
	v_lshlrev_b32_e32 v75, 26, v68
	v_cmp_ne_u32_e32 vcc_lo, 0, v73
	v_ashrrev_i32_e32 v192, 31, v192
	v_lshlrev_b32_e32 v191, 25, v68
	v_ashrrev_i32_e32 v70, 31, v70
	v_lshlrev_b32_e32 v73, 24, v68
	v_xor_b32_e32 v69, vcc_lo, v69
	v_cmp_gt_i32_e32 vcc_lo, 0, v71
	v_not_b32_e32 v71, v72
	v_xor_b32_e32 v192, s16, v192
	v_cmp_gt_i32_e64 s16, 0, v72
	v_and_b32_e32 v69, exec_lo, v69
	v_not_b32_e32 v72, v74
	v_ashrrev_i32_e32 v71, 31, v71
	v_xor_b32_e32 v70, vcc_lo, v70
	v_cmp_gt_i32_e32 vcc_lo, 0, v74
	v_and_b32_e32 v69, v69, v192
	v_not_b32_e32 v74, v75
	v_ashrrev_i32_e32 v72, 31, v72
	v_xor_b32_e32 v71, s16, v71
	v_cmp_gt_i32_e64 s16, 0, v75
	v_and_b32_e32 v69, v69, v70
	v_not_b32_e32 v70, v191
	v_ashrrev_i32_e32 v74, 31, v74
	v_xor_b32_e32 v72, vcc_lo, v72
	v_cmp_gt_i32_e32 vcc_lo, 0, v191
	v_and_b32_e32 v69, v69, v71
	v_not_b32_e32 v71, v73
	v_ashrrev_i32_e32 v70, 31, v70
	v_xor_b32_e32 v74, s16, v74
	v_mul_u32_u24_e32 v68, 9, v68
	v_and_b32_e32 v69, v69, v72
	v_cmp_gt_i32_e64 s16, 0, v73
	v_ashrrev_i32_e32 v71, 31, v71
	v_xor_b32_e32 v70, vcc_lo, v70
	v_add_lshl_u32 v72, v68, v158, 2
	v_and_b32_e32 v69, v69, v74
	s_delay_alu instid0(VALU_DEP_4) | instskip(SKIP_3) | instid1(VALU_DEP_2)
	v_xor_b32_e32 v68, s16, v71
	ds_load_b32 v191, v72 offset:1056
	v_and_b32_e32 v69, v69, v70
	v_add_nc_u32_e32 v193, 0x420, v72
	; wave barrier
	v_and_b32_e32 v68, v69, v68
	s_delay_alu instid0(VALU_DEP_1) | instskip(SKIP_1) | instid1(VALU_DEP_2)
	v_mbcnt_lo_u32_b32 v192, v68, 0
	v_cmp_ne_u32_e64 s16, 0, v68
	v_cmp_eq_u32_e32 vcc_lo, 0, v192
	s_delay_alu instid0(VALU_DEP_2) | instskip(NEXT) | instid1(SALU_CYCLE_1)
	s_and_b32 s17, s16, vcc_lo
	s_and_saveexec_b32 s16, s17
	s_cbranch_execz .LBB1229_440
; %bb.439:                              ;   in Loop: Header=BB1229_392 Depth=2
	s_waitcnt lgkmcnt(0)
	v_bcnt_u32_b32 v68, v68, v191
	ds_store_b32 v193, v68
.LBB1229_440:                           ;   in Loop: Header=BB1229_392 Depth=2
	s_or_b32 exec_lo, exec_lo, s16
	v_cmp_lt_i64_e32 vcc_lo, -1, v[62:63]
	v_ashrrev_i32_e32 v69, 31, v63
	; wave barrier
	s_delay_alu instid0(VALU_DEP_1) | instskip(SKIP_1) | instid1(VALU_DEP_1)
	v_xor_b32_e32 v62, v69, v62
	v_cndmask_b32_e64 v68, -1, 0x80000000, vcc_lo
	v_xor_b32_e32 v63, v68, v63
	s_delay_alu instid0(VALU_DEP_1) | instskip(SKIP_2) | instid1(VALU_DEP_1)
	v_cmp_ne_u64_e32 vcc_lo, s[40:41], v[62:63]
	v_cndmask_b32_e32 v69, 0x80000000, v63, vcc_lo
	v_cndmask_b32_e32 v68, 0, v62, vcc_lo
	v_lshrrev_b64 v[68:69], s43, v[68:69]
	s_delay_alu instid0(VALU_DEP_1) | instskip(NEXT) | instid1(VALU_DEP_1)
	v_and_b32_e32 v68, s51, v68
	v_and_b32_e32 v69, 1, v68
	v_lshlrev_b32_e32 v70, 30, v68
	v_lshlrev_b32_e32 v71, 29, v68
	;; [unrolled: 1-line block ×4, first 2 shown]
	v_add_co_u32 v69, s16, v69, -1
	s_delay_alu instid0(VALU_DEP_1)
	v_cndmask_b32_e64 v73, 0, 1, s16
	v_not_b32_e32 v195, v70
	v_cmp_gt_i32_e64 s16, 0, v70
	v_not_b32_e32 v70, v71
	v_lshlrev_b32_e32 v75, 26, v68
	v_cmp_ne_u32_e32 vcc_lo, 0, v73
	v_ashrrev_i32_e32 v195, 31, v195
	v_lshlrev_b32_e32 v194, 25, v68
	v_ashrrev_i32_e32 v70, 31, v70
	v_lshlrev_b32_e32 v73, 24, v68
	v_xor_b32_e32 v69, vcc_lo, v69
	v_cmp_gt_i32_e32 vcc_lo, 0, v71
	v_not_b32_e32 v71, v72
	v_xor_b32_e32 v195, s16, v195
	v_cmp_gt_i32_e64 s16, 0, v72
	v_and_b32_e32 v69, exec_lo, v69
	v_not_b32_e32 v72, v74
	v_ashrrev_i32_e32 v71, 31, v71
	v_xor_b32_e32 v70, vcc_lo, v70
	v_cmp_gt_i32_e32 vcc_lo, 0, v74
	v_and_b32_e32 v69, v69, v195
	v_not_b32_e32 v74, v75
	v_ashrrev_i32_e32 v72, 31, v72
	v_xor_b32_e32 v71, s16, v71
	v_cmp_gt_i32_e64 s16, 0, v75
	v_and_b32_e32 v69, v69, v70
	v_not_b32_e32 v70, v194
	v_ashrrev_i32_e32 v74, 31, v74
	v_xor_b32_e32 v72, vcc_lo, v72
	v_cmp_gt_i32_e32 vcc_lo, 0, v194
	v_and_b32_e32 v69, v69, v71
	v_not_b32_e32 v71, v73
	v_ashrrev_i32_e32 v70, 31, v70
	v_xor_b32_e32 v74, s16, v74
	v_mul_u32_u24_e32 v68, 9, v68
	v_and_b32_e32 v69, v69, v72
	v_cmp_gt_i32_e64 s16, 0, v73
	v_ashrrev_i32_e32 v71, 31, v71
	v_xor_b32_e32 v70, vcc_lo, v70
	v_add_lshl_u32 v72, v68, v158, 2
	v_and_b32_e32 v69, v69, v74
	s_delay_alu instid0(VALU_DEP_4) | instskip(SKIP_3) | instid1(VALU_DEP_2)
	v_xor_b32_e32 v68, s16, v71
	ds_load_b32 v194, v72 offset:1056
	v_and_b32_e32 v69, v69, v70
	v_add_nc_u32_e32 v196, 0x420, v72
	; wave barrier
	v_and_b32_e32 v68, v69, v68
	s_delay_alu instid0(VALU_DEP_1) | instskip(SKIP_1) | instid1(VALU_DEP_2)
	v_mbcnt_lo_u32_b32 v195, v68, 0
	v_cmp_ne_u32_e64 s16, 0, v68
	v_cmp_eq_u32_e32 vcc_lo, 0, v195
	s_delay_alu instid0(VALU_DEP_2) | instskip(NEXT) | instid1(SALU_CYCLE_1)
	s_and_b32 s17, s16, vcc_lo
	s_and_saveexec_b32 s16, s17
	s_cbranch_execz .LBB1229_442
; %bb.441:                              ;   in Loop: Header=BB1229_392 Depth=2
	s_waitcnt lgkmcnt(0)
	v_bcnt_u32_b32 v68, v68, v194
	ds_store_b32 v196, v68
.LBB1229_442:                           ;   in Loop: Header=BB1229_392 Depth=2
	s_or_b32 exec_lo, exec_lo, s16
	v_cmp_lt_i64_e32 vcc_lo, -1, v[66:67]
	v_ashrrev_i32_e32 v69, 31, v67
	; wave barrier
	s_delay_alu instid0(VALU_DEP_1) | instskip(SKIP_1) | instid1(VALU_DEP_1)
	v_xor_b32_e32 v66, v69, v66
	v_cndmask_b32_e64 v68, -1, 0x80000000, vcc_lo
	v_xor_b32_e32 v67, v68, v67
	s_delay_alu instid0(VALU_DEP_1) | instskip(SKIP_2) | instid1(VALU_DEP_1)
	v_cmp_ne_u64_e32 vcc_lo, s[40:41], v[66:67]
	v_cndmask_b32_e32 v69, 0x80000000, v67, vcc_lo
	v_cndmask_b32_e32 v68, 0, v66, vcc_lo
	v_lshrrev_b64 v[68:69], s43, v[68:69]
	s_delay_alu instid0(VALU_DEP_1) | instskip(NEXT) | instid1(VALU_DEP_1)
	v_and_b32_e32 v68, s51, v68
	v_and_b32_e32 v69, 1, v68
	v_lshlrev_b32_e32 v70, 30, v68
	v_lshlrev_b32_e32 v71, 29, v68
	;; [unrolled: 1-line block ×4, first 2 shown]
	v_add_co_u32 v69, s16, v69, -1
	s_delay_alu instid0(VALU_DEP_1)
	v_cndmask_b32_e64 v73, 0, 1, s16
	v_not_b32_e32 v198, v70
	v_cmp_gt_i32_e64 s16, 0, v70
	v_not_b32_e32 v70, v71
	v_lshlrev_b32_e32 v75, 26, v68
	v_cmp_ne_u32_e32 vcc_lo, 0, v73
	v_ashrrev_i32_e32 v198, 31, v198
	v_lshlrev_b32_e32 v197, 25, v68
	v_ashrrev_i32_e32 v70, 31, v70
	v_lshlrev_b32_e32 v73, 24, v68
	v_xor_b32_e32 v69, vcc_lo, v69
	v_cmp_gt_i32_e32 vcc_lo, 0, v71
	v_not_b32_e32 v71, v72
	v_xor_b32_e32 v198, s16, v198
	v_cmp_gt_i32_e64 s16, 0, v72
	v_and_b32_e32 v69, exec_lo, v69
	v_not_b32_e32 v72, v74
	v_ashrrev_i32_e32 v71, 31, v71
	v_xor_b32_e32 v70, vcc_lo, v70
	v_cmp_gt_i32_e32 vcc_lo, 0, v74
	v_and_b32_e32 v69, v69, v198
	v_not_b32_e32 v74, v75
	v_ashrrev_i32_e32 v72, 31, v72
	v_xor_b32_e32 v71, s16, v71
	v_cmp_gt_i32_e64 s16, 0, v75
	v_and_b32_e32 v69, v69, v70
	v_not_b32_e32 v70, v197
	v_ashrrev_i32_e32 v74, 31, v74
	v_xor_b32_e32 v72, vcc_lo, v72
	v_cmp_gt_i32_e32 vcc_lo, 0, v197
	v_and_b32_e32 v69, v69, v71
	v_not_b32_e32 v71, v73
	v_ashrrev_i32_e32 v70, 31, v70
	v_xor_b32_e32 v74, s16, v74
	v_mul_u32_u24_e32 v68, 9, v68
	v_and_b32_e32 v69, v69, v72
	v_cmp_gt_i32_e64 s16, 0, v73
	v_ashrrev_i32_e32 v71, 31, v71
	v_xor_b32_e32 v70, vcc_lo, v70
	v_add_lshl_u32 v72, v68, v158, 2
	v_and_b32_e32 v69, v69, v74
	s_delay_alu instid0(VALU_DEP_4) | instskip(SKIP_3) | instid1(VALU_DEP_2)
	v_xor_b32_e32 v68, s16, v71
	ds_load_b32 v197, v72 offset:1056
	v_and_b32_e32 v69, v69, v70
	v_add_nc_u32_e32 v199, 0x420, v72
	; wave barrier
	v_and_b32_e32 v68, v69, v68
	s_delay_alu instid0(VALU_DEP_1) | instskip(SKIP_1) | instid1(VALU_DEP_2)
	v_mbcnt_lo_u32_b32 v198, v68, 0
	v_cmp_ne_u32_e64 s16, 0, v68
	v_cmp_eq_u32_e32 vcc_lo, 0, v198
	s_delay_alu instid0(VALU_DEP_2) | instskip(NEXT) | instid1(SALU_CYCLE_1)
	s_and_b32 s17, s16, vcc_lo
	s_and_saveexec_b32 s16, s17
	s_cbranch_execz .LBB1229_444
; %bb.443:                              ;   in Loop: Header=BB1229_392 Depth=2
	s_waitcnt lgkmcnt(0)
	v_bcnt_u32_b32 v68, v68, v197
	ds_store_b32 v199, v68
.LBB1229_444:                           ;   in Loop: Header=BB1229_392 Depth=2
	s_or_b32 exec_lo, exec_lo, s16
	v_cmp_lt_i64_e32 vcc_lo, -1, v[64:65]
	v_ashrrev_i32_e32 v69, 31, v65
	; wave barrier
	s_delay_alu instid0(VALU_DEP_1) | instskip(SKIP_1) | instid1(VALU_DEP_1)
	v_xor_b32_e32 v64, v69, v64
	v_cndmask_b32_e64 v68, -1, 0x80000000, vcc_lo
	v_xor_b32_e32 v65, v68, v65
	s_delay_alu instid0(VALU_DEP_1) | instskip(SKIP_2) | instid1(VALU_DEP_1)
	v_cmp_ne_u64_e32 vcc_lo, s[40:41], v[64:65]
	v_cndmask_b32_e32 v69, 0x80000000, v65, vcc_lo
	v_cndmask_b32_e32 v68, 0, v64, vcc_lo
	v_lshrrev_b64 v[68:69], s43, v[68:69]
	s_delay_alu instid0(VALU_DEP_1) | instskip(NEXT) | instid1(VALU_DEP_1)
	v_and_b32_e32 v68, s51, v68
	v_and_b32_e32 v69, 1, v68
	v_lshlrev_b32_e32 v70, 30, v68
	v_lshlrev_b32_e32 v71, 29, v68
	;; [unrolled: 1-line block ×4, first 2 shown]
	v_add_co_u32 v69, s16, v69, -1
	s_delay_alu instid0(VALU_DEP_1)
	v_cndmask_b32_e64 v73, 0, 1, s16
	v_not_b32_e32 v201, v70
	v_cmp_gt_i32_e64 s16, 0, v70
	v_not_b32_e32 v70, v71
	v_lshlrev_b32_e32 v75, 26, v68
	v_cmp_ne_u32_e32 vcc_lo, 0, v73
	v_ashrrev_i32_e32 v201, 31, v201
	v_lshlrev_b32_e32 v200, 25, v68
	v_ashrrev_i32_e32 v70, 31, v70
	v_lshlrev_b32_e32 v73, 24, v68
	v_xor_b32_e32 v69, vcc_lo, v69
	v_cmp_gt_i32_e32 vcc_lo, 0, v71
	v_not_b32_e32 v71, v72
	v_xor_b32_e32 v201, s16, v201
	v_cmp_gt_i32_e64 s16, 0, v72
	v_and_b32_e32 v69, exec_lo, v69
	v_not_b32_e32 v72, v74
	v_ashrrev_i32_e32 v71, 31, v71
	v_xor_b32_e32 v70, vcc_lo, v70
	v_cmp_gt_i32_e32 vcc_lo, 0, v74
	v_and_b32_e32 v69, v69, v201
	v_not_b32_e32 v74, v75
	v_ashrrev_i32_e32 v72, 31, v72
	v_xor_b32_e32 v71, s16, v71
	v_cmp_gt_i32_e64 s16, 0, v75
	v_and_b32_e32 v69, v69, v70
	v_not_b32_e32 v70, v200
	v_ashrrev_i32_e32 v74, 31, v74
	v_xor_b32_e32 v72, vcc_lo, v72
	v_cmp_gt_i32_e32 vcc_lo, 0, v200
	v_and_b32_e32 v69, v69, v71
	v_not_b32_e32 v71, v73
	v_ashrrev_i32_e32 v70, 31, v70
	v_xor_b32_e32 v74, s16, v74
	v_mul_u32_u24_e32 v68, 9, v68
	v_and_b32_e32 v69, v69, v72
	v_cmp_gt_i32_e64 s16, 0, v73
	v_ashrrev_i32_e32 v71, 31, v71
	v_xor_b32_e32 v70, vcc_lo, v70
	v_add_lshl_u32 v72, v68, v158, 2
	v_and_b32_e32 v69, v69, v74
	s_delay_alu instid0(VALU_DEP_4) | instskip(SKIP_3) | instid1(VALU_DEP_2)
	v_xor_b32_e32 v68, s16, v71
	ds_load_b32 v200, v72 offset:1056
	v_and_b32_e32 v69, v69, v70
	v_add_nc_u32_e32 v202, 0x420, v72
	; wave barrier
	v_and_b32_e32 v68, v69, v68
	s_delay_alu instid0(VALU_DEP_1) | instskip(SKIP_1) | instid1(VALU_DEP_2)
	v_mbcnt_lo_u32_b32 v201, v68, 0
	v_cmp_ne_u32_e64 s16, 0, v68
	v_cmp_eq_u32_e32 vcc_lo, 0, v201
	s_delay_alu instid0(VALU_DEP_2) | instskip(NEXT) | instid1(SALU_CYCLE_1)
	s_and_b32 s17, s16, vcc_lo
	s_and_saveexec_b32 s16, s17
	s_cbranch_execz .LBB1229_446
; %bb.445:                              ;   in Loop: Header=BB1229_392 Depth=2
	s_waitcnt lgkmcnt(0)
	v_bcnt_u32_b32 v68, v68, v200
	ds_store_b32 v202, v68
.LBB1229_446:                           ;   in Loop: Header=BB1229_392 Depth=2
	s_or_b32 exec_lo, exec_lo, s16
	v_cmp_lt_i64_e32 vcc_lo, -1, v[60:61]
	v_ashrrev_i32_e32 v69, 31, v61
	; wave barrier
	s_delay_alu instid0(VALU_DEP_1) | instskip(SKIP_1) | instid1(VALU_DEP_1)
	v_xor_b32_e32 v60, v69, v60
	v_cndmask_b32_e64 v68, -1, 0x80000000, vcc_lo
	v_xor_b32_e32 v61, v68, v61
	s_delay_alu instid0(VALU_DEP_1) | instskip(SKIP_2) | instid1(VALU_DEP_1)
	v_cmp_ne_u64_e32 vcc_lo, s[40:41], v[60:61]
	v_cndmask_b32_e32 v69, 0x80000000, v61, vcc_lo
	v_cndmask_b32_e32 v68, 0, v60, vcc_lo
	v_lshrrev_b64 v[68:69], s43, v[68:69]
	s_delay_alu instid0(VALU_DEP_1) | instskip(NEXT) | instid1(VALU_DEP_1)
	v_and_b32_e32 v68, s51, v68
	v_and_b32_e32 v69, 1, v68
	v_lshlrev_b32_e32 v70, 30, v68
	v_lshlrev_b32_e32 v71, 29, v68
	;; [unrolled: 1-line block ×4, first 2 shown]
	v_add_co_u32 v69, s16, v69, -1
	s_delay_alu instid0(VALU_DEP_1)
	v_cndmask_b32_e64 v73, 0, 1, s16
	v_not_b32_e32 v204, v70
	v_cmp_gt_i32_e64 s16, 0, v70
	v_not_b32_e32 v70, v71
	v_lshlrev_b32_e32 v75, 26, v68
	v_cmp_ne_u32_e32 vcc_lo, 0, v73
	v_ashrrev_i32_e32 v204, 31, v204
	v_lshlrev_b32_e32 v203, 25, v68
	v_ashrrev_i32_e32 v70, 31, v70
	v_lshlrev_b32_e32 v73, 24, v68
	v_xor_b32_e32 v69, vcc_lo, v69
	v_cmp_gt_i32_e32 vcc_lo, 0, v71
	v_not_b32_e32 v71, v72
	v_xor_b32_e32 v204, s16, v204
	v_cmp_gt_i32_e64 s16, 0, v72
	v_and_b32_e32 v69, exec_lo, v69
	v_not_b32_e32 v72, v74
	v_ashrrev_i32_e32 v71, 31, v71
	v_xor_b32_e32 v70, vcc_lo, v70
	v_cmp_gt_i32_e32 vcc_lo, 0, v74
	v_and_b32_e32 v69, v69, v204
	v_not_b32_e32 v74, v75
	v_ashrrev_i32_e32 v72, 31, v72
	v_xor_b32_e32 v71, s16, v71
	v_cmp_gt_i32_e64 s16, 0, v75
	v_and_b32_e32 v69, v69, v70
	v_not_b32_e32 v70, v203
	v_ashrrev_i32_e32 v74, 31, v74
	v_xor_b32_e32 v72, vcc_lo, v72
	v_cmp_gt_i32_e32 vcc_lo, 0, v203
	v_and_b32_e32 v69, v69, v71
	v_not_b32_e32 v71, v73
	v_ashrrev_i32_e32 v70, 31, v70
	v_xor_b32_e32 v74, s16, v74
	v_mul_u32_u24_e32 v68, 9, v68
	v_and_b32_e32 v69, v69, v72
	v_cmp_gt_i32_e64 s16, 0, v73
	v_ashrrev_i32_e32 v71, 31, v71
	v_xor_b32_e32 v70, vcc_lo, v70
	v_add_lshl_u32 v72, v68, v158, 2
	v_and_b32_e32 v69, v69, v74
	s_delay_alu instid0(VALU_DEP_4) | instskip(SKIP_3) | instid1(VALU_DEP_2)
	v_xor_b32_e32 v68, s16, v71
	ds_load_b32 v203, v72 offset:1056
	v_and_b32_e32 v69, v69, v70
	v_add_nc_u32_e32 v205, 0x420, v72
	; wave barrier
	v_and_b32_e32 v68, v69, v68
	s_delay_alu instid0(VALU_DEP_1) | instskip(SKIP_1) | instid1(VALU_DEP_2)
	v_mbcnt_lo_u32_b32 v204, v68, 0
	v_cmp_ne_u32_e64 s16, 0, v68
	v_cmp_eq_u32_e32 vcc_lo, 0, v204
	s_delay_alu instid0(VALU_DEP_2) | instskip(NEXT) | instid1(SALU_CYCLE_1)
	s_and_b32 s17, s16, vcc_lo
	s_and_saveexec_b32 s16, s17
	s_cbranch_execz .LBB1229_448
; %bb.447:                              ;   in Loop: Header=BB1229_392 Depth=2
	s_waitcnt lgkmcnt(0)
	v_bcnt_u32_b32 v68, v68, v203
	ds_store_b32 v205, v68
.LBB1229_448:                           ;   in Loop: Header=BB1229_392 Depth=2
	s_or_b32 exec_lo, exec_lo, s16
	v_cmp_lt_i64_e32 vcc_lo, -1, v[56:57]
	v_ashrrev_i32_e32 v69, 31, v57
	; wave barrier
	s_delay_alu instid0(VALU_DEP_1) | instskip(SKIP_1) | instid1(VALU_DEP_1)
	v_xor_b32_e32 v56, v69, v56
	v_cndmask_b32_e64 v68, -1, 0x80000000, vcc_lo
	v_xor_b32_e32 v57, v68, v57
	s_delay_alu instid0(VALU_DEP_1) | instskip(SKIP_2) | instid1(VALU_DEP_1)
	v_cmp_ne_u64_e32 vcc_lo, s[40:41], v[56:57]
	v_cndmask_b32_e32 v69, 0x80000000, v57, vcc_lo
	v_cndmask_b32_e32 v68, 0, v56, vcc_lo
	v_lshrrev_b64 v[68:69], s43, v[68:69]
	s_delay_alu instid0(VALU_DEP_1) | instskip(NEXT) | instid1(VALU_DEP_1)
	v_and_b32_e32 v68, s51, v68
	v_and_b32_e32 v69, 1, v68
	v_lshlrev_b32_e32 v70, 30, v68
	v_lshlrev_b32_e32 v71, 29, v68
	;; [unrolled: 1-line block ×4, first 2 shown]
	v_add_co_u32 v69, s16, v69, -1
	s_delay_alu instid0(VALU_DEP_1)
	v_cndmask_b32_e64 v73, 0, 1, s16
	v_not_b32_e32 v207, v70
	v_cmp_gt_i32_e64 s16, 0, v70
	v_not_b32_e32 v70, v71
	v_lshlrev_b32_e32 v75, 26, v68
	v_cmp_ne_u32_e32 vcc_lo, 0, v73
	v_ashrrev_i32_e32 v207, 31, v207
	v_lshlrev_b32_e32 v206, 25, v68
	v_ashrrev_i32_e32 v70, 31, v70
	v_lshlrev_b32_e32 v73, 24, v68
	v_xor_b32_e32 v69, vcc_lo, v69
	v_cmp_gt_i32_e32 vcc_lo, 0, v71
	v_not_b32_e32 v71, v72
	v_xor_b32_e32 v207, s16, v207
	v_cmp_gt_i32_e64 s16, 0, v72
	v_and_b32_e32 v69, exec_lo, v69
	v_not_b32_e32 v72, v74
	v_ashrrev_i32_e32 v71, 31, v71
	v_xor_b32_e32 v70, vcc_lo, v70
	v_cmp_gt_i32_e32 vcc_lo, 0, v74
	v_and_b32_e32 v69, v69, v207
	v_not_b32_e32 v74, v75
	v_ashrrev_i32_e32 v72, 31, v72
	v_xor_b32_e32 v71, s16, v71
	v_cmp_gt_i32_e64 s16, 0, v75
	v_and_b32_e32 v69, v69, v70
	v_not_b32_e32 v70, v206
	v_ashrrev_i32_e32 v74, 31, v74
	v_xor_b32_e32 v72, vcc_lo, v72
	v_cmp_gt_i32_e32 vcc_lo, 0, v206
	v_and_b32_e32 v69, v69, v71
	v_not_b32_e32 v71, v73
	v_ashrrev_i32_e32 v70, 31, v70
	v_xor_b32_e32 v74, s16, v74
	v_mul_u32_u24_e32 v68, 9, v68
	v_and_b32_e32 v69, v69, v72
	v_cmp_gt_i32_e64 s16, 0, v73
	v_ashrrev_i32_e32 v71, 31, v71
	v_xor_b32_e32 v70, vcc_lo, v70
	v_add_lshl_u32 v72, v68, v158, 2
	v_and_b32_e32 v69, v69, v74
	s_delay_alu instid0(VALU_DEP_4) | instskip(SKIP_3) | instid1(VALU_DEP_2)
	v_xor_b32_e32 v68, s16, v71
	ds_load_b32 v206, v72 offset:1056
	v_and_b32_e32 v69, v69, v70
	v_add_nc_u32_e32 v208, 0x420, v72
	; wave barrier
	v_and_b32_e32 v68, v69, v68
	s_delay_alu instid0(VALU_DEP_1) | instskip(SKIP_1) | instid1(VALU_DEP_2)
	v_mbcnt_lo_u32_b32 v207, v68, 0
	v_cmp_ne_u32_e64 s16, 0, v68
	v_cmp_eq_u32_e32 vcc_lo, 0, v207
	s_delay_alu instid0(VALU_DEP_2) | instskip(NEXT) | instid1(SALU_CYCLE_1)
	s_and_b32 s17, s16, vcc_lo
	s_and_saveexec_b32 s16, s17
	s_cbranch_execz .LBB1229_450
; %bb.449:                              ;   in Loop: Header=BB1229_392 Depth=2
	s_waitcnt lgkmcnt(0)
	v_bcnt_u32_b32 v68, v68, v206
	ds_store_b32 v208, v68
.LBB1229_450:                           ;   in Loop: Header=BB1229_392 Depth=2
	s_or_b32 exec_lo, exec_lo, s16
	v_cmp_lt_i64_e32 vcc_lo, -1, v[54:55]
	v_ashrrev_i32_e32 v69, 31, v55
	; wave barrier
	s_delay_alu instid0(VALU_DEP_1) | instskip(SKIP_1) | instid1(VALU_DEP_1)
	v_xor_b32_e32 v54, v69, v54
	v_cndmask_b32_e64 v68, -1, 0x80000000, vcc_lo
	v_xor_b32_e32 v55, v68, v55
	s_delay_alu instid0(VALU_DEP_1) | instskip(SKIP_2) | instid1(VALU_DEP_1)
	v_cmp_ne_u64_e32 vcc_lo, s[40:41], v[54:55]
	v_cndmask_b32_e32 v69, 0x80000000, v55, vcc_lo
	v_cndmask_b32_e32 v68, 0, v54, vcc_lo
	v_lshrrev_b64 v[68:69], s43, v[68:69]
	s_delay_alu instid0(VALU_DEP_1) | instskip(NEXT) | instid1(VALU_DEP_1)
	v_and_b32_e32 v68, s51, v68
	v_and_b32_e32 v69, 1, v68
	v_lshlrev_b32_e32 v70, 30, v68
	v_lshlrev_b32_e32 v71, 29, v68
	;; [unrolled: 1-line block ×4, first 2 shown]
	v_add_co_u32 v69, s16, v69, -1
	s_delay_alu instid0(VALU_DEP_1)
	v_cndmask_b32_e64 v73, 0, 1, s16
	v_not_b32_e32 v210, v70
	v_cmp_gt_i32_e64 s16, 0, v70
	v_not_b32_e32 v70, v71
	v_lshlrev_b32_e32 v75, 26, v68
	v_cmp_ne_u32_e32 vcc_lo, 0, v73
	v_ashrrev_i32_e32 v210, 31, v210
	v_lshlrev_b32_e32 v209, 25, v68
	v_ashrrev_i32_e32 v70, 31, v70
	v_lshlrev_b32_e32 v73, 24, v68
	v_xor_b32_e32 v69, vcc_lo, v69
	v_cmp_gt_i32_e32 vcc_lo, 0, v71
	v_not_b32_e32 v71, v72
	v_xor_b32_e32 v210, s16, v210
	v_cmp_gt_i32_e64 s16, 0, v72
	v_and_b32_e32 v69, exec_lo, v69
	v_not_b32_e32 v72, v74
	v_ashrrev_i32_e32 v71, 31, v71
	v_xor_b32_e32 v70, vcc_lo, v70
	v_cmp_gt_i32_e32 vcc_lo, 0, v74
	v_and_b32_e32 v69, v69, v210
	v_not_b32_e32 v74, v75
	v_ashrrev_i32_e32 v72, 31, v72
	v_xor_b32_e32 v71, s16, v71
	v_cmp_gt_i32_e64 s16, 0, v75
	v_and_b32_e32 v69, v69, v70
	v_not_b32_e32 v70, v209
	v_ashrrev_i32_e32 v74, 31, v74
	v_xor_b32_e32 v72, vcc_lo, v72
	v_cmp_gt_i32_e32 vcc_lo, 0, v209
	v_and_b32_e32 v69, v69, v71
	v_not_b32_e32 v71, v73
	v_ashrrev_i32_e32 v70, 31, v70
	v_xor_b32_e32 v74, s16, v74
	v_mul_u32_u24_e32 v68, 9, v68
	v_and_b32_e32 v69, v69, v72
	v_cmp_gt_i32_e64 s16, 0, v73
	v_ashrrev_i32_e32 v71, 31, v71
	v_xor_b32_e32 v70, vcc_lo, v70
	v_add_lshl_u32 v72, v68, v158, 2
	v_and_b32_e32 v69, v69, v74
	s_delay_alu instid0(VALU_DEP_4) | instskip(SKIP_3) | instid1(VALU_DEP_2)
	v_xor_b32_e32 v68, s16, v71
	ds_load_b32 v209, v72 offset:1056
	v_and_b32_e32 v69, v69, v70
	v_add_nc_u32_e32 v211, 0x420, v72
	; wave barrier
	v_and_b32_e32 v68, v69, v68
	s_delay_alu instid0(VALU_DEP_1) | instskip(SKIP_1) | instid1(VALU_DEP_2)
	v_mbcnt_lo_u32_b32 v210, v68, 0
	v_cmp_ne_u32_e64 s16, 0, v68
	v_cmp_eq_u32_e32 vcc_lo, 0, v210
	s_delay_alu instid0(VALU_DEP_2) | instskip(NEXT) | instid1(SALU_CYCLE_1)
	s_and_b32 s17, s16, vcc_lo
	s_and_saveexec_b32 s16, s17
	s_cbranch_execz .LBB1229_452
; %bb.451:                              ;   in Loop: Header=BB1229_392 Depth=2
	s_waitcnt lgkmcnt(0)
	v_bcnt_u32_b32 v68, v68, v209
	ds_store_b32 v211, v68
.LBB1229_452:                           ;   in Loop: Header=BB1229_392 Depth=2
	s_or_b32 exec_lo, exec_lo, s16
	v_cmp_lt_i64_e32 vcc_lo, -1, v[50:51]
	v_ashrrev_i32_e32 v69, 31, v51
	; wave barrier
	s_delay_alu instid0(VALU_DEP_1) | instskip(SKIP_1) | instid1(VALU_DEP_1)
	v_xor_b32_e32 v50, v69, v50
	v_cndmask_b32_e64 v68, -1, 0x80000000, vcc_lo
	v_xor_b32_e32 v51, v68, v51
	s_delay_alu instid0(VALU_DEP_1) | instskip(SKIP_2) | instid1(VALU_DEP_1)
	v_cmp_ne_u64_e32 vcc_lo, s[40:41], v[50:51]
	v_cndmask_b32_e32 v69, 0x80000000, v51, vcc_lo
	v_cndmask_b32_e32 v68, 0, v50, vcc_lo
	v_lshrrev_b64 v[68:69], s43, v[68:69]
	s_delay_alu instid0(VALU_DEP_1) | instskip(NEXT) | instid1(VALU_DEP_1)
	v_and_b32_e32 v68, s51, v68
	v_and_b32_e32 v69, 1, v68
	v_lshlrev_b32_e32 v70, 30, v68
	v_lshlrev_b32_e32 v71, 29, v68
	v_lshlrev_b32_e32 v72, 28, v68
	v_lshlrev_b32_e32 v74, 27, v68
	v_add_co_u32 v69, s16, v69, -1
	s_delay_alu instid0(VALU_DEP_1)
	v_cndmask_b32_e64 v73, 0, 1, s16
	v_not_b32_e32 v213, v70
	v_cmp_gt_i32_e64 s16, 0, v70
	v_not_b32_e32 v70, v71
	v_lshlrev_b32_e32 v75, 26, v68
	v_cmp_ne_u32_e32 vcc_lo, 0, v73
	v_ashrrev_i32_e32 v213, 31, v213
	v_lshlrev_b32_e32 v212, 25, v68
	v_ashrrev_i32_e32 v70, 31, v70
	v_lshlrev_b32_e32 v73, 24, v68
	v_xor_b32_e32 v69, vcc_lo, v69
	v_cmp_gt_i32_e32 vcc_lo, 0, v71
	v_not_b32_e32 v71, v72
	v_xor_b32_e32 v213, s16, v213
	v_cmp_gt_i32_e64 s16, 0, v72
	v_and_b32_e32 v69, exec_lo, v69
	v_not_b32_e32 v72, v74
	v_ashrrev_i32_e32 v71, 31, v71
	v_xor_b32_e32 v70, vcc_lo, v70
	v_cmp_gt_i32_e32 vcc_lo, 0, v74
	v_and_b32_e32 v69, v69, v213
	v_not_b32_e32 v74, v75
	v_ashrrev_i32_e32 v72, 31, v72
	v_xor_b32_e32 v71, s16, v71
	v_cmp_gt_i32_e64 s16, 0, v75
	v_and_b32_e32 v69, v69, v70
	v_not_b32_e32 v70, v212
	v_ashrrev_i32_e32 v74, 31, v74
	v_xor_b32_e32 v72, vcc_lo, v72
	v_cmp_gt_i32_e32 vcc_lo, 0, v212
	v_and_b32_e32 v69, v69, v71
	v_not_b32_e32 v71, v73
	v_ashrrev_i32_e32 v70, 31, v70
	v_xor_b32_e32 v74, s16, v74
	v_mul_u32_u24_e32 v68, 9, v68
	v_and_b32_e32 v69, v69, v72
	v_cmp_gt_i32_e64 s16, 0, v73
	v_ashrrev_i32_e32 v71, 31, v71
	v_xor_b32_e32 v70, vcc_lo, v70
	v_add_lshl_u32 v72, v68, v158, 2
	v_and_b32_e32 v69, v69, v74
	s_delay_alu instid0(VALU_DEP_4) | instskip(SKIP_3) | instid1(VALU_DEP_2)
	v_xor_b32_e32 v68, s16, v71
	ds_load_b32 v212, v72 offset:1056
	v_and_b32_e32 v69, v69, v70
	v_add_nc_u32_e32 v214, 0x420, v72
	; wave barrier
	v_and_b32_e32 v68, v69, v68
	s_delay_alu instid0(VALU_DEP_1) | instskip(SKIP_1) | instid1(VALU_DEP_2)
	v_mbcnt_lo_u32_b32 v213, v68, 0
	v_cmp_ne_u32_e64 s16, 0, v68
	v_cmp_eq_u32_e32 vcc_lo, 0, v213
	s_delay_alu instid0(VALU_DEP_2) | instskip(NEXT) | instid1(SALU_CYCLE_1)
	s_and_b32 s17, s16, vcc_lo
	s_and_saveexec_b32 s16, s17
	s_cbranch_execz .LBB1229_454
; %bb.453:                              ;   in Loop: Header=BB1229_392 Depth=2
	s_waitcnt lgkmcnt(0)
	v_bcnt_u32_b32 v68, v68, v212
	ds_store_b32 v214, v68
.LBB1229_454:                           ;   in Loop: Header=BB1229_392 Depth=2
	s_or_b32 exec_lo, exec_lo, s16
	v_cmp_lt_i64_e32 vcc_lo, -1, v[46:47]
	v_ashrrev_i32_e32 v69, 31, v47
	; wave barrier
	s_delay_alu instid0(VALU_DEP_1) | instskip(SKIP_1) | instid1(VALU_DEP_1)
	v_xor_b32_e32 v46, v69, v46
	v_cndmask_b32_e64 v68, -1, 0x80000000, vcc_lo
	v_xor_b32_e32 v47, v68, v47
	s_delay_alu instid0(VALU_DEP_1) | instskip(SKIP_2) | instid1(VALU_DEP_1)
	v_cmp_ne_u64_e32 vcc_lo, s[40:41], v[46:47]
	v_cndmask_b32_e32 v69, 0x80000000, v47, vcc_lo
	v_cndmask_b32_e32 v68, 0, v46, vcc_lo
	v_lshrrev_b64 v[68:69], s43, v[68:69]
	s_delay_alu instid0(VALU_DEP_1) | instskip(NEXT) | instid1(VALU_DEP_1)
	v_and_b32_e32 v68, s51, v68
	v_and_b32_e32 v69, 1, v68
	v_lshlrev_b32_e32 v70, 30, v68
	v_lshlrev_b32_e32 v71, 29, v68
	;; [unrolled: 1-line block ×4, first 2 shown]
	v_add_co_u32 v69, s16, v69, -1
	s_delay_alu instid0(VALU_DEP_1)
	v_cndmask_b32_e64 v73, 0, 1, s16
	v_not_b32_e32 v216, v70
	v_cmp_gt_i32_e64 s16, 0, v70
	v_not_b32_e32 v70, v71
	v_lshlrev_b32_e32 v75, 26, v68
	v_cmp_ne_u32_e32 vcc_lo, 0, v73
	v_ashrrev_i32_e32 v216, 31, v216
	v_lshlrev_b32_e32 v215, 25, v68
	v_ashrrev_i32_e32 v70, 31, v70
	v_lshlrev_b32_e32 v73, 24, v68
	v_xor_b32_e32 v69, vcc_lo, v69
	v_cmp_gt_i32_e32 vcc_lo, 0, v71
	v_not_b32_e32 v71, v72
	v_xor_b32_e32 v216, s16, v216
	v_cmp_gt_i32_e64 s16, 0, v72
	v_and_b32_e32 v69, exec_lo, v69
	v_not_b32_e32 v72, v74
	v_ashrrev_i32_e32 v71, 31, v71
	v_xor_b32_e32 v70, vcc_lo, v70
	v_cmp_gt_i32_e32 vcc_lo, 0, v74
	v_and_b32_e32 v69, v69, v216
	v_not_b32_e32 v74, v75
	v_ashrrev_i32_e32 v72, 31, v72
	v_xor_b32_e32 v71, s16, v71
	v_cmp_gt_i32_e64 s16, 0, v75
	v_and_b32_e32 v69, v69, v70
	v_not_b32_e32 v70, v215
	v_ashrrev_i32_e32 v74, 31, v74
	v_xor_b32_e32 v72, vcc_lo, v72
	v_cmp_gt_i32_e32 vcc_lo, 0, v215
	v_and_b32_e32 v69, v69, v71
	v_not_b32_e32 v71, v73
	v_ashrrev_i32_e32 v70, 31, v70
	v_xor_b32_e32 v74, s16, v74
	v_mul_u32_u24_e32 v68, 9, v68
	v_and_b32_e32 v69, v69, v72
	v_cmp_gt_i32_e64 s16, 0, v73
	v_ashrrev_i32_e32 v71, 31, v71
	v_xor_b32_e32 v70, vcc_lo, v70
	v_add_lshl_u32 v72, v68, v158, 2
	v_and_b32_e32 v69, v69, v74
	s_delay_alu instid0(VALU_DEP_4) | instskip(SKIP_3) | instid1(VALU_DEP_2)
	v_xor_b32_e32 v68, s16, v71
	ds_load_b32 v215, v72 offset:1056
	v_and_b32_e32 v69, v69, v70
	v_add_nc_u32_e32 v217, 0x420, v72
	; wave barrier
	v_and_b32_e32 v68, v69, v68
	s_delay_alu instid0(VALU_DEP_1) | instskip(SKIP_1) | instid1(VALU_DEP_2)
	v_mbcnt_lo_u32_b32 v216, v68, 0
	v_cmp_ne_u32_e64 s16, 0, v68
	v_cmp_eq_u32_e32 vcc_lo, 0, v216
	s_delay_alu instid0(VALU_DEP_2) | instskip(NEXT) | instid1(SALU_CYCLE_1)
	s_and_b32 s17, s16, vcc_lo
	s_and_saveexec_b32 s16, s17
	s_cbranch_execz .LBB1229_456
; %bb.455:                              ;   in Loop: Header=BB1229_392 Depth=2
	s_waitcnt lgkmcnt(0)
	v_bcnt_u32_b32 v68, v68, v215
	ds_store_b32 v217, v68
.LBB1229_456:                           ;   in Loop: Header=BB1229_392 Depth=2
	s_or_b32 exec_lo, exec_lo, s16
	v_cmp_lt_i64_e32 vcc_lo, -1, v[40:41]
	v_ashrrev_i32_e32 v69, 31, v41
	; wave barrier
	s_delay_alu instid0(VALU_DEP_1) | instskip(SKIP_1) | instid1(VALU_DEP_1)
	v_xor_b32_e32 v40, v69, v40
	v_cndmask_b32_e64 v68, -1, 0x80000000, vcc_lo
	v_xor_b32_e32 v41, v68, v41
	s_delay_alu instid0(VALU_DEP_1) | instskip(SKIP_2) | instid1(VALU_DEP_1)
	v_cmp_ne_u64_e32 vcc_lo, s[40:41], v[40:41]
	v_cndmask_b32_e32 v69, 0x80000000, v41, vcc_lo
	v_cndmask_b32_e32 v68, 0, v40, vcc_lo
	v_lshrrev_b64 v[68:69], s43, v[68:69]
	s_delay_alu instid0(VALU_DEP_1) | instskip(NEXT) | instid1(VALU_DEP_1)
	v_and_b32_e32 v68, s51, v68
	v_and_b32_e32 v69, 1, v68
	v_lshlrev_b32_e32 v70, 30, v68
	v_lshlrev_b32_e32 v71, 29, v68
	;; [unrolled: 1-line block ×4, first 2 shown]
	v_add_co_u32 v69, s16, v69, -1
	s_delay_alu instid0(VALU_DEP_1)
	v_cndmask_b32_e64 v73, 0, 1, s16
	v_not_b32_e32 v219, v70
	v_cmp_gt_i32_e64 s16, 0, v70
	v_not_b32_e32 v70, v71
	v_lshlrev_b32_e32 v75, 26, v68
	v_cmp_ne_u32_e32 vcc_lo, 0, v73
	v_ashrrev_i32_e32 v219, 31, v219
	v_lshlrev_b32_e32 v218, 25, v68
	v_ashrrev_i32_e32 v70, 31, v70
	v_lshlrev_b32_e32 v73, 24, v68
	v_xor_b32_e32 v69, vcc_lo, v69
	v_cmp_gt_i32_e32 vcc_lo, 0, v71
	v_not_b32_e32 v71, v72
	v_xor_b32_e32 v219, s16, v219
	v_cmp_gt_i32_e64 s16, 0, v72
	v_and_b32_e32 v69, exec_lo, v69
	v_not_b32_e32 v72, v74
	v_ashrrev_i32_e32 v71, 31, v71
	v_xor_b32_e32 v70, vcc_lo, v70
	v_cmp_gt_i32_e32 vcc_lo, 0, v74
	v_and_b32_e32 v69, v69, v219
	v_not_b32_e32 v74, v75
	v_ashrrev_i32_e32 v72, 31, v72
	v_xor_b32_e32 v71, s16, v71
	v_cmp_gt_i32_e64 s16, 0, v75
	v_and_b32_e32 v69, v69, v70
	v_not_b32_e32 v70, v218
	v_ashrrev_i32_e32 v74, 31, v74
	v_xor_b32_e32 v72, vcc_lo, v72
	v_cmp_gt_i32_e32 vcc_lo, 0, v218
	v_and_b32_e32 v69, v69, v71
	v_not_b32_e32 v71, v73
	v_ashrrev_i32_e32 v70, 31, v70
	v_xor_b32_e32 v74, s16, v74
	v_mul_u32_u24_e32 v68, 9, v68
	v_and_b32_e32 v69, v69, v72
	v_cmp_gt_i32_e64 s16, 0, v73
	v_ashrrev_i32_e32 v71, 31, v71
	v_xor_b32_e32 v70, vcc_lo, v70
	v_add_lshl_u32 v72, v68, v158, 2
	v_and_b32_e32 v69, v69, v74
	s_delay_alu instid0(VALU_DEP_4) | instskip(SKIP_3) | instid1(VALU_DEP_2)
	v_xor_b32_e32 v68, s16, v71
	ds_load_b32 v218, v72 offset:1056
	v_and_b32_e32 v69, v69, v70
	v_add_nc_u32_e32 v220, 0x420, v72
	; wave barrier
	v_and_b32_e32 v68, v69, v68
	s_delay_alu instid0(VALU_DEP_1) | instskip(SKIP_1) | instid1(VALU_DEP_2)
	v_mbcnt_lo_u32_b32 v219, v68, 0
	v_cmp_ne_u32_e64 s16, 0, v68
	v_cmp_eq_u32_e32 vcc_lo, 0, v219
	s_delay_alu instid0(VALU_DEP_2) | instskip(NEXT) | instid1(SALU_CYCLE_1)
	s_and_b32 s17, s16, vcc_lo
	s_and_saveexec_b32 s16, s17
	s_cbranch_execz .LBB1229_458
; %bb.457:                              ;   in Loop: Header=BB1229_392 Depth=2
	s_waitcnt lgkmcnt(0)
	v_bcnt_u32_b32 v68, v68, v218
	ds_store_b32 v220, v68
.LBB1229_458:                           ;   in Loop: Header=BB1229_392 Depth=2
	s_or_b32 exec_lo, exec_lo, s16
	v_cmp_lt_i64_e32 vcc_lo, -1, v[42:43]
	v_ashrrev_i32_e32 v69, 31, v43
	; wave barrier
	s_delay_alu instid0(VALU_DEP_1) | instskip(SKIP_1) | instid1(VALU_DEP_1)
	v_xor_b32_e32 v42, v69, v42
	v_cndmask_b32_e64 v68, -1, 0x80000000, vcc_lo
	v_xor_b32_e32 v43, v68, v43
	s_delay_alu instid0(VALU_DEP_1) | instskip(SKIP_2) | instid1(VALU_DEP_1)
	v_cmp_ne_u64_e32 vcc_lo, s[40:41], v[42:43]
	v_cndmask_b32_e32 v69, 0x80000000, v43, vcc_lo
	v_cndmask_b32_e32 v68, 0, v42, vcc_lo
	v_lshrrev_b64 v[68:69], s43, v[68:69]
	s_delay_alu instid0(VALU_DEP_1) | instskip(NEXT) | instid1(VALU_DEP_1)
	v_and_b32_e32 v68, s51, v68
	v_and_b32_e32 v69, 1, v68
	v_lshlrev_b32_e32 v70, 30, v68
	v_lshlrev_b32_e32 v71, 29, v68
	;; [unrolled: 1-line block ×4, first 2 shown]
	v_add_co_u32 v69, s16, v69, -1
	s_delay_alu instid0(VALU_DEP_1)
	v_cndmask_b32_e64 v73, 0, 1, s16
	v_not_b32_e32 v222, v70
	v_cmp_gt_i32_e64 s16, 0, v70
	v_not_b32_e32 v70, v71
	v_lshlrev_b32_e32 v75, 26, v68
	v_cmp_ne_u32_e32 vcc_lo, 0, v73
	v_ashrrev_i32_e32 v222, 31, v222
	v_lshlrev_b32_e32 v221, 25, v68
	v_ashrrev_i32_e32 v70, 31, v70
	v_lshlrev_b32_e32 v73, 24, v68
	v_xor_b32_e32 v69, vcc_lo, v69
	v_cmp_gt_i32_e32 vcc_lo, 0, v71
	v_not_b32_e32 v71, v72
	v_xor_b32_e32 v222, s16, v222
	v_cmp_gt_i32_e64 s16, 0, v72
	v_and_b32_e32 v69, exec_lo, v69
	v_not_b32_e32 v72, v74
	v_ashrrev_i32_e32 v71, 31, v71
	v_xor_b32_e32 v70, vcc_lo, v70
	v_cmp_gt_i32_e32 vcc_lo, 0, v74
	v_and_b32_e32 v69, v69, v222
	v_not_b32_e32 v74, v75
	v_ashrrev_i32_e32 v72, 31, v72
	v_xor_b32_e32 v71, s16, v71
	v_cmp_gt_i32_e64 s16, 0, v75
	v_and_b32_e32 v69, v69, v70
	v_not_b32_e32 v70, v221
	v_ashrrev_i32_e32 v74, 31, v74
	v_xor_b32_e32 v72, vcc_lo, v72
	v_cmp_gt_i32_e32 vcc_lo, 0, v221
	v_and_b32_e32 v69, v69, v71
	v_not_b32_e32 v71, v73
	v_ashrrev_i32_e32 v70, 31, v70
	v_xor_b32_e32 v74, s16, v74
	v_mul_u32_u24_e32 v68, 9, v68
	v_and_b32_e32 v69, v69, v72
	v_cmp_gt_i32_e64 s16, 0, v73
	v_ashrrev_i32_e32 v71, 31, v71
	v_xor_b32_e32 v70, vcc_lo, v70
	v_add_lshl_u32 v72, v68, v158, 2
	v_and_b32_e32 v69, v69, v74
	s_delay_alu instid0(VALU_DEP_4) | instskip(SKIP_3) | instid1(VALU_DEP_2)
	v_xor_b32_e32 v68, s16, v71
	ds_load_b32 v221, v72 offset:1056
	v_and_b32_e32 v69, v69, v70
	v_add_nc_u32_e32 v223, 0x420, v72
	; wave barrier
	v_and_b32_e32 v68, v69, v68
	s_delay_alu instid0(VALU_DEP_1) | instskip(SKIP_1) | instid1(VALU_DEP_2)
	v_mbcnt_lo_u32_b32 v222, v68, 0
	v_cmp_ne_u32_e64 s16, 0, v68
	v_cmp_eq_u32_e32 vcc_lo, 0, v222
	s_delay_alu instid0(VALU_DEP_2) | instskip(NEXT) | instid1(SALU_CYCLE_1)
	s_and_b32 s17, s16, vcc_lo
	s_and_saveexec_b32 s16, s17
	s_cbranch_execz .LBB1229_460
; %bb.459:                              ;   in Loop: Header=BB1229_392 Depth=2
	s_waitcnt lgkmcnt(0)
	v_bcnt_u32_b32 v68, v68, v221
	ds_store_b32 v223, v68
.LBB1229_460:                           ;   in Loop: Header=BB1229_392 Depth=2
	s_or_b32 exec_lo, exec_lo, s16
	; wave barrier
	s_waitcnt lgkmcnt(0)
	s_barrier
	buffer_gl0_inv
	ds_load_b32 v224, v102 offset:1056
	ds_load_2addr_b32 v[74:75], v103 offset0:1 offset1:2
	ds_load_2addr_b32 v[72:73], v103 offset0:3 offset1:4
	ds_load_2addr_b32 v[68:69], v103 offset0:5 offset1:6
	ds_load_2addr_b32 v[70:71], v103 offset0:7 offset1:8
	s_waitcnt lgkmcnt(3)
	v_add3_u32 v225, v74, v224, v75
	s_waitcnt lgkmcnt(2)
	s_delay_alu instid0(VALU_DEP_1) | instskip(SKIP_1) | instid1(VALU_DEP_1)
	v_add3_u32 v225, v225, v72, v73
	s_waitcnt lgkmcnt(1)
	v_add3_u32 v225, v225, v68, v69
	s_waitcnt lgkmcnt(0)
	s_delay_alu instid0(VALU_DEP_1) | instskip(NEXT) | instid1(VALU_DEP_1)
	v_add3_u32 v71, v225, v70, v71
	v_mov_b32_dpp v225, v71 row_shr:1 row_mask:0xf bank_mask:0xf
	s_delay_alu instid0(VALU_DEP_1) | instskip(NEXT) | instid1(VALU_DEP_1)
	v_cndmask_b32_e64 v225, v225, 0, s1
	v_add_nc_u32_e32 v71, v225, v71
	s_delay_alu instid0(VALU_DEP_1) | instskip(NEXT) | instid1(VALU_DEP_1)
	v_mov_b32_dpp v225, v71 row_shr:2 row_mask:0xf bank_mask:0xf
	v_cndmask_b32_e64 v225, 0, v225, s7
	s_delay_alu instid0(VALU_DEP_1) | instskip(NEXT) | instid1(VALU_DEP_1)
	v_add_nc_u32_e32 v71, v71, v225
	v_mov_b32_dpp v225, v71 row_shr:4 row_mask:0xf bank_mask:0xf
	s_delay_alu instid0(VALU_DEP_1) | instskip(NEXT) | instid1(VALU_DEP_1)
	v_cndmask_b32_e64 v225, 0, v225, s8
	v_add_nc_u32_e32 v71, v71, v225
	s_delay_alu instid0(VALU_DEP_1) | instskip(NEXT) | instid1(VALU_DEP_1)
	v_mov_b32_dpp v225, v71 row_shr:8 row_mask:0xf bank_mask:0xf
	v_cndmask_b32_e64 v225, 0, v225, s9
	s_delay_alu instid0(VALU_DEP_1) | instskip(SKIP_3) | instid1(VALU_DEP_1)
	v_add_nc_u32_e32 v71, v71, v225
	ds_swizzle_b32 v225, v71 offset:swizzle(BROADCAST,32,15)
	s_waitcnt lgkmcnt(0)
	v_cndmask_b32_e64 v225, v225, 0, s10
	v_add_nc_u32_e32 v71, v71, v225
	s_and_saveexec_b32 s16, s3
	s_cbranch_execz .LBB1229_462
; %bb.461:                              ;   in Loop: Header=BB1229_392 Depth=2
	ds_store_b32 v94, v71 offset:1024
.LBB1229_462:                           ;   in Loop: Header=BB1229_392 Depth=2
	s_or_b32 exec_lo, exec_lo, s16
	s_waitcnt lgkmcnt(0)
	s_barrier
	buffer_gl0_inv
	s_and_saveexec_b32 s16, s4
	s_cbranch_execz .LBB1229_464
; %bb.463:                              ;   in Loop: Header=BB1229_392 Depth=2
	ds_load_b32 v225, v104 offset:1024
	s_waitcnt lgkmcnt(0)
	v_mov_b32_dpp v226, v225 row_shr:1 row_mask:0xf bank_mask:0xf
	s_delay_alu instid0(VALU_DEP_1) | instskip(NEXT) | instid1(VALU_DEP_1)
	v_cndmask_b32_e64 v226, v226, 0, s12
	v_add_nc_u32_e32 v225, v226, v225
	s_delay_alu instid0(VALU_DEP_1) | instskip(NEXT) | instid1(VALU_DEP_1)
	v_mov_b32_dpp v226, v225 row_shr:2 row_mask:0xf bank_mask:0xf
	v_cndmask_b32_e64 v226, 0, v226, s13
	s_delay_alu instid0(VALU_DEP_1) | instskip(NEXT) | instid1(VALU_DEP_1)
	v_add_nc_u32_e32 v225, v225, v226
	v_mov_b32_dpp v226, v225 row_shr:4 row_mask:0xf bank_mask:0xf
	s_delay_alu instid0(VALU_DEP_1) | instskip(NEXT) | instid1(VALU_DEP_1)
	v_cndmask_b32_e64 v226, 0, v226, s14
	v_add_nc_u32_e32 v225, v225, v226
	ds_store_b32 v104, v225 offset:1024
.LBB1229_464:                           ;   in Loop: Header=BB1229_392 Depth=2
	s_or_b32 exec_lo, exec_lo, s16
	v_mov_b32_e32 v225, 0
	s_waitcnt lgkmcnt(0)
	s_barrier
	buffer_gl0_inv
	s_and_saveexec_b32 s16, s5
	s_cbranch_execz .LBB1229_466
; %bb.465:                              ;   in Loop: Header=BB1229_392 Depth=2
	ds_load_b32 v225, v94 offset:1020
.LBB1229_466:                           ;   in Loop: Header=BB1229_392 Depth=2
	s_or_b32 exec_lo, exec_lo, s16
	s_waitcnt lgkmcnt(0)
	v_add_nc_u32_e32 v71, v225, v71
	ds_bpermute_b32 v71, v137, v71
	s_waitcnt lgkmcnt(0)
	v_cndmask_b32_e64 v71, v71, v225, s11
	s_delay_alu instid0(VALU_DEP_1) | instskip(NEXT) | instid1(VALU_DEP_1)
	v_cndmask_b32_e64 v71, v71, 0, s0
	v_add_nc_u32_e32 v224, v71, v224
	s_delay_alu instid0(VALU_DEP_1) | instskip(NEXT) | instid1(VALU_DEP_1)
	v_add_nc_u32_e32 v74, v224, v74
	v_add_nc_u32_e32 v75, v74, v75
	s_delay_alu instid0(VALU_DEP_1) | instskip(NEXT) | instid1(VALU_DEP_1)
	v_add_nc_u32_e32 v72, v75, v72
	;; [unrolled: 3-line block ×3, first 2 shown]
	v_add_nc_u32_e32 v69, v68, v69
	s_delay_alu instid0(VALU_DEP_1)
	v_add_nc_u32_e32 v70, v69, v70
	ds_store_b32 v102, v71 offset:1056
	ds_store_2addr_b32 v103, v224, v74 offset0:1 offset1:2
	ds_store_2addr_b32 v103, v75, v72 offset0:3 offset1:4
	;; [unrolled: 1-line block ×4, first 2 shown]
	v_mov_b32_e32 v68, 0x1000
	s_waitcnt lgkmcnt(0)
	s_barrier
	buffer_gl0_inv
	ds_load_b32 v70, v181
	ds_load_b32 v71, v184
	;; [unrolled: 1-line block ×16, first 2 shown]
	ds_load_b32 v178, v102 offset:1056
	s_and_saveexec_b32 s16, s6
	s_cbranch_execz .LBB1229_468
; %bb.467:                              ;   in Loop: Header=BB1229_392 Depth=2
	ds_load_b32 v68, v105 offset:1056
.LBB1229_468:                           ;   in Loop: Header=BB1229_392 Depth=2
	s_or_b32 exec_lo, exec_lo, s16
	s_waitcnt lgkmcnt(0)
	s_barrier
	buffer_gl0_inv
	s_and_saveexec_b32 s16, s2
	s_cbranch_execz .LBB1229_470
; %bb.469:                              ;   in Loop: Header=BB1229_392 Depth=2
	ds_load_b32 v202, v76
	s_waitcnt lgkmcnt(0)
	v_sub_nc_u32_e32 v178, v202, v178
	ds_store_b32 v76, v178
.LBB1229_470:                           ;   in Loop: Header=BB1229_392 Depth=2
	s_or_b32 exec_lo, exec_lo, s16
	v_add_nc_u32_e32 v179, v180, v179
	v_add_lshl_u32 v69, v69, v2, 3
	v_add_nc_u32_e32 v2, v183, v182
	v_add_nc_u32_e32 v180, v186, v185
	;; [unrolled: 1-line block ×8, first 2 shown]
	v_add_lshl_u32 v70, v179, v70, 3
	v_add_lshl_u32 v71, v2, v71, 3
	v_add_nc_u32_e32 v200, v201, v200
	v_add_lshl_u32 v72, v180, v72, 3
	v_add_nc_u32_e32 v203, v204, v203
	;; [unrolled: 2-line block ×3, first 2 shown]
	v_add_nc_u32_e32 v202, v219, v218
	v_add_nc_u32_e32 v205, v216, v215
	;; [unrolled: 1-line block ×3, first 2 shown]
	ds_store_b64 v69, v[36:37] offset:1024
	ds_store_b64 v70, v[38:39] offset:1024
	v_add_lshl_u32 v38, v191, v225, 3
	ds_store_b64 v71, v[44:45] offset:1024
	ds_store_b64 v72, v[48:49] offset:1024
	;; [unrolled: 1-line block ×3, first 2 shown]
	v_add_lshl_u32 v39, v194, v224, 3
	v_add_lshl_u32 v44, v197, v199, 3
	;; [unrolled: 1-line block ×6, first 2 shown]
	ds_store_b64 v38, v[58:59] offset:1024
	ds_store_b64 v39, v[62:63] offset:1024
	ds_store_b64 v44, v[66:67] offset:1024
	ds_store_b64 v45, v[64:65] offset:1024
	ds_store_b64 v48, v[60:61] offset:1024
	ds_store_b64 v49, v[56:57] offset:1024
	v_add_lshl_u32 v53, v208, v184, 3
	v_add_lshl_u32 v56, v205, v181, 3
	;; [unrolled: 1-line block ×3, first 2 shown]
	ds_store_b64 v52, v[54:55] offset:1024
	v_add_lshl_u32 v54, v178, v74, 3
	v_cmp_lt_u32_e32 vcc_lo, v1, v177
	ds_store_b64 v53, v[50:51] offset:1024
	ds_store_b64 v56, v[46:47] offset:1024
	;; [unrolled: 1-line block ×4, first 2 shown]
	s_waitcnt lgkmcnt(0)
	s_barrier
	buffer_gl0_inv
	s_and_saveexec_b32 s17, vcc_lo
	s_cbranch_execz .LBB1229_486
; %bb.471:                              ;   in Loop: Header=BB1229_392 Depth=2
	v_add_nc_u32_e32 v2, v104, v76
	ds_load_b64 v[36:37], v2 offset:1024
	s_waitcnt lgkmcnt(0)
	v_cmp_ne_u64_e64 s16, s[40:41], v[36:37]
	s_delay_alu instid0(VALU_DEP_1) | instskip(SKIP_2) | instid1(VALU_DEP_2)
	v_cndmask_b32_e64 v41, 0x80000000, v37, s16
	v_cndmask_b32_e64 v40, 0, v36, s16
	v_cmp_lt_i64_e64 s16, -1, v[36:37]
	v_lshrrev_b64 v[40:41], s43, v[40:41]
	s_delay_alu instid0(VALU_DEP_2) | instskip(NEXT) | instid1(VALU_DEP_2)
	v_cndmask_b32_e64 v42, 0x80000000, -1, s16
	v_and_b32_e32 v2, s51, v40
	v_ashrrev_i32_e32 v40, 31, v37
	s_delay_alu instid0(VALU_DEP_3) | instskip(NEXT) | instid1(VALU_DEP_3)
	v_xor_b32_e32 v37, v42, v37
	v_lshlrev_b32_e32 v2, 2, v2
	s_delay_alu instid0(VALU_DEP_3) | instskip(SKIP_4) | instid1(VALU_DEP_1)
	v_not_b32_e32 v43, v40
	ds_load_b32 v2, v2
	v_xor_b32_e32 v36, v43, v36
	s_waitcnt lgkmcnt(0)
	v_add_nc_u32_e32 v2, v2, v1
	v_lshlrev_b64 v[40:41], 3, v[2:3]
	s_delay_alu instid0(VALU_DEP_1) | instskip(NEXT) | instid1(VALU_DEP_1)
	v_add_co_u32 v40, s16, s48, v40
	v_add_co_ci_u32_e64 v41, s16, s49, v41, s16
	global_store_b64 v[40:41], v[36:37], off
	s_or_b32 exec_lo, exec_lo, s17
	v_cmp_lt_u32_e64 s16, v77, v177
	s_delay_alu instid0(VALU_DEP_1)
	s_and_saveexec_b32 s18, s16
	s_cbranch_execnz .LBB1229_487
.LBB1229_472:                           ;   in Loop: Header=BB1229_392 Depth=2
	s_or_b32 exec_lo, exec_lo, s18
	v_cmp_lt_u32_e64 s17, v78, v177
	s_delay_alu instid0(VALU_DEP_1)
	s_and_saveexec_b32 s19, s17
	s_cbranch_execz .LBB1229_488
.LBB1229_473:                           ;   in Loop: Header=BB1229_392 Depth=2
	ds_load_b64 v[36:37], v110 offset:4096
	s_waitcnt lgkmcnt(0)
	v_cmp_ne_u64_e64 s18, s[40:41], v[36:37]
	s_delay_alu instid0(VALU_DEP_1) | instskip(SKIP_2) | instid1(VALU_DEP_2)
	v_cndmask_b32_e64 v41, 0x80000000, v37, s18
	v_cndmask_b32_e64 v40, 0, v36, s18
	v_cmp_lt_i64_e64 s18, -1, v[36:37]
	v_lshrrev_b64 v[40:41], s43, v[40:41]
	s_delay_alu instid0(VALU_DEP_2) | instskip(NEXT) | instid1(VALU_DEP_2)
	v_cndmask_b32_e64 v42, 0x80000000, -1, s18
	v_and_b32_e32 v2, s51, v40
	v_ashrrev_i32_e32 v40, 31, v37
	s_delay_alu instid0(VALU_DEP_3) | instskip(NEXT) | instid1(VALU_DEP_3)
	v_xor_b32_e32 v37, v42, v37
	v_lshlrev_b32_e32 v2, 2, v2
	s_delay_alu instid0(VALU_DEP_3) | instskip(SKIP_4) | instid1(VALU_DEP_1)
	v_not_b32_e32 v43, v40
	ds_load_b32 v2, v2
	v_xor_b32_e32 v36, v43, v36
	s_waitcnt lgkmcnt(0)
	v_add_nc_u32_e32 v2, v2, v78
	v_lshlrev_b64 v[40:41], 3, v[2:3]
	s_delay_alu instid0(VALU_DEP_1) | instskip(NEXT) | instid1(VALU_DEP_1)
	v_add_co_u32 v40, s18, s48, v40
	v_add_co_ci_u32_e64 v41, s18, s49, v41, s18
	global_store_b64 v[40:41], v[36:37], off
	s_or_b32 exec_lo, exec_lo, s19
	v_cmp_lt_u32_e64 s18, v79, v177
	s_delay_alu instid0(VALU_DEP_1)
	s_and_saveexec_b32 s20, s18
	s_cbranch_execnz .LBB1229_489
.LBB1229_474:                           ;   in Loop: Header=BB1229_392 Depth=2
	s_or_b32 exec_lo, exec_lo, s20
	v_cmp_lt_u32_e64 s19, v83, v177
	s_delay_alu instid0(VALU_DEP_1)
	s_and_saveexec_b32 s21, s19
	s_cbranch_execz .LBB1229_490
.LBB1229_475:                           ;   in Loop: Header=BB1229_392 Depth=2
	ds_load_b64 v[36:37], v110 offset:8192
	s_waitcnt lgkmcnt(0)
	v_cmp_ne_u64_e64 s20, s[40:41], v[36:37]
	s_delay_alu instid0(VALU_DEP_1) | instskip(SKIP_2) | instid1(VALU_DEP_2)
	v_cndmask_b32_e64 v41, 0x80000000, v37, s20
	v_cndmask_b32_e64 v40, 0, v36, s20
	v_cmp_lt_i64_e64 s20, -1, v[36:37]
	v_lshrrev_b64 v[40:41], s43, v[40:41]
	s_delay_alu instid0(VALU_DEP_2) | instskip(NEXT) | instid1(VALU_DEP_2)
	v_cndmask_b32_e64 v42, 0x80000000, -1, s20
	v_and_b32_e32 v2, s51, v40
	v_ashrrev_i32_e32 v40, 31, v37
	s_delay_alu instid0(VALU_DEP_3) | instskip(NEXT) | instid1(VALU_DEP_3)
	v_xor_b32_e32 v37, v42, v37
	v_lshlrev_b32_e32 v2, 2, v2
	s_delay_alu instid0(VALU_DEP_3) | instskip(SKIP_4) | instid1(VALU_DEP_1)
	v_not_b32_e32 v43, v40
	ds_load_b32 v2, v2
	v_xor_b32_e32 v36, v43, v36
	s_waitcnt lgkmcnt(0)
	v_add_nc_u32_e32 v2, v2, v83
	v_lshlrev_b64 v[40:41], 3, v[2:3]
	s_delay_alu instid0(VALU_DEP_1) | instskip(NEXT) | instid1(VALU_DEP_1)
	v_add_co_u32 v40, s20, s48, v40
	v_add_co_ci_u32_e64 v41, s20, s49, v41, s20
	global_store_b64 v[40:41], v[36:37], off
	s_or_b32 exec_lo, exec_lo, s21
	v_cmp_lt_u32_e64 s20, v84, v177
	s_delay_alu instid0(VALU_DEP_1)
	s_and_saveexec_b32 s22, s20
	s_cbranch_execnz .LBB1229_491
.LBB1229_476:                           ;   in Loop: Header=BB1229_392 Depth=2
	s_or_b32 exec_lo, exec_lo, s22
	v_cmp_lt_u32_e64 s21, v85, v177
	s_delay_alu instid0(VALU_DEP_1)
	s_and_saveexec_b32 s23, s21
	s_cbranch_execz .LBB1229_492
.LBB1229_477:                           ;   in Loop: Header=BB1229_392 Depth=2
	ds_load_b64 v[36:37], v110 offset:12288
	s_waitcnt lgkmcnt(0)
	v_cmp_ne_u64_e64 s22, s[40:41], v[36:37]
	s_delay_alu instid0(VALU_DEP_1) | instskip(SKIP_2) | instid1(VALU_DEP_2)
	v_cndmask_b32_e64 v41, 0x80000000, v37, s22
	v_cndmask_b32_e64 v40, 0, v36, s22
	v_cmp_lt_i64_e64 s22, -1, v[36:37]
	v_lshrrev_b64 v[40:41], s43, v[40:41]
	s_delay_alu instid0(VALU_DEP_2) | instskip(NEXT) | instid1(VALU_DEP_2)
	v_cndmask_b32_e64 v42, 0x80000000, -1, s22
	v_and_b32_e32 v2, s51, v40
	v_ashrrev_i32_e32 v40, 31, v37
	s_delay_alu instid0(VALU_DEP_3) | instskip(NEXT) | instid1(VALU_DEP_3)
	v_xor_b32_e32 v37, v42, v37
	v_lshlrev_b32_e32 v2, 2, v2
	s_delay_alu instid0(VALU_DEP_3) | instskip(SKIP_4) | instid1(VALU_DEP_1)
	v_not_b32_e32 v43, v40
	ds_load_b32 v2, v2
	v_xor_b32_e32 v36, v43, v36
	s_waitcnt lgkmcnt(0)
	v_add_nc_u32_e32 v2, v2, v85
	v_lshlrev_b64 v[40:41], 3, v[2:3]
	s_delay_alu instid0(VALU_DEP_1) | instskip(NEXT) | instid1(VALU_DEP_1)
	v_add_co_u32 v40, s22, s48, v40
	v_add_co_ci_u32_e64 v41, s22, s49, v41, s22
	global_store_b64 v[40:41], v[36:37], off
	s_or_b32 exec_lo, exec_lo, s23
	v_cmp_lt_u32_e64 s22, v86, v177
	s_delay_alu instid0(VALU_DEP_1)
	s_and_saveexec_b32 s24, s22
	s_cbranch_execnz .LBB1229_493
.LBB1229_478:                           ;   in Loop: Header=BB1229_392 Depth=2
	s_or_b32 exec_lo, exec_lo, s24
	v_cmp_lt_u32_e64 s23, v87, v177
	s_delay_alu instid0(VALU_DEP_1)
	s_and_saveexec_b32 s25, s23
	s_cbranch_execz .LBB1229_494
.LBB1229_479:                           ;   in Loop: Header=BB1229_392 Depth=2
	ds_load_b64 v[36:37], v110 offset:16384
	s_waitcnt lgkmcnt(0)
	v_cmp_ne_u64_e64 s24, s[40:41], v[36:37]
	s_delay_alu instid0(VALU_DEP_1) | instskip(SKIP_2) | instid1(VALU_DEP_2)
	v_cndmask_b32_e64 v41, 0x80000000, v37, s24
	v_cndmask_b32_e64 v40, 0, v36, s24
	v_cmp_lt_i64_e64 s24, -1, v[36:37]
	v_lshrrev_b64 v[40:41], s43, v[40:41]
	s_delay_alu instid0(VALU_DEP_2) | instskip(NEXT) | instid1(VALU_DEP_2)
	v_cndmask_b32_e64 v42, 0x80000000, -1, s24
	v_and_b32_e32 v2, s51, v40
	v_ashrrev_i32_e32 v40, 31, v37
	s_delay_alu instid0(VALU_DEP_3) | instskip(NEXT) | instid1(VALU_DEP_3)
	v_xor_b32_e32 v37, v42, v37
	v_lshlrev_b32_e32 v2, 2, v2
	s_delay_alu instid0(VALU_DEP_3) | instskip(SKIP_4) | instid1(VALU_DEP_1)
	v_not_b32_e32 v43, v40
	ds_load_b32 v2, v2
	v_xor_b32_e32 v36, v43, v36
	s_waitcnt lgkmcnt(0)
	v_add_nc_u32_e32 v2, v2, v87
	v_lshlrev_b64 v[40:41], 3, v[2:3]
	s_delay_alu instid0(VALU_DEP_1) | instskip(NEXT) | instid1(VALU_DEP_1)
	v_add_co_u32 v40, s24, s48, v40
	v_add_co_ci_u32_e64 v41, s24, s49, v41, s24
	global_store_b64 v[40:41], v[36:37], off
	s_or_b32 exec_lo, exec_lo, s25
	v_cmp_lt_u32_e64 s24, v88, v177
	s_delay_alu instid0(VALU_DEP_1)
	s_and_saveexec_b32 s26, s24
	s_cbranch_execnz .LBB1229_495
.LBB1229_480:                           ;   in Loop: Header=BB1229_392 Depth=2
	s_or_b32 exec_lo, exec_lo, s26
	v_cmp_lt_u32_e64 s25, v89, v177
	s_delay_alu instid0(VALU_DEP_1)
	s_and_saveexec_b32 s27, s25
	s_cbranch_execz .LBB1229_496
.LBB1229_481:                           ;   in Loop: Header=BB1229_392 Depth=2
	ds_load_b64 v[36:37], v110 offset:20480
	s_waitcnt lgkmcnt(0)
	v_cmp_ne_u64_e64 s26, s[40:41], v[36:37]
	s_delay_alu instid0(VALU_DEP_1) | instskip(SKIP_2) | instid1(VALU_DEP_2)
	v_cndmask_b32_e64 v41, 0x80000000, v37, s26
	v_cndmask_b32_e64 v40, 0, v36, s26
	v_cmp_lt_i64_e64 s26, -1, v[36:37]
	v_lshrrev_b64 v[40:41], s43, v[40:41]
	s_delay_alu instid0(VALU_DEP_2) | instskip(NEXT) | instid1(VALU_DEP_2)
	v_cndmask_b32_e64 v42, 0x80000000, -1, s26
	v_and_b32_e32 v2, s51, v40
	v_ashrrev_i32_e32 v40, 31, v37
	s_delay_alu instid0(VALU_DEP_3) | instskip(NEXT) | instid1(VALU_DEP_3)
	v_xor_b32_e32 v37, v42, v37
	v_lshlrev_b32_e32 v2, 2, v2
	s_delay_alu instid0(VALU_DEP_3) | instskip(SKIP_4) | instid1(VALU_DEP_1)
	v_not_b32_e32 v43, v40
	ds_load_b32 v2, v2
	v_xor_b32_e32 v36, v43, v36
	s_waitcnt lgkmcnt(0)
	v_add_nc_u32_e32 v2, v2, v89
	v_lshlrev_b64 v[40:41], 3, v[2:3]
	s_delay_alu instid0(VALU_DEP_1) | instskip(NEXT) | instid1(VALU_DEP_1)
	v_add_co_u32 v40, s26, s48, v40
	v_add_co_ci_u32_e64 v41, s26, s49, v41, s26
	global_store_b64 v[40:41], v[36:37], off
	s_or_b32 exec_lo, exec_lo, s27
	v_cmp_lt_u32_e64 s26, v90, v177
	s_delay_alu instid0(VALU_DEP_1)
	s_and_saveexec_b32 s28, s26
	s_cbranch_execnz .LBB1229_497
.LBB1229_482:                           ;   in Loop: Header=BB1229_392 Depth=2
	s_or_b32 exec_lo, exec_lo, s28
	v_cmp_lt_u32_e64 s27, v91, v177
	s_delay_alu instid0(VALU_DEP_1)
	s_and_saveexec_b32 s29, s27
	s_cbranch_execz .LBB1229_498
.LBB1229_483:                           ;   in Loop: Header=BB1229_392 Depth=2
	ds_load_b64 v[36:37], v110 offset:24576
	s_waitcnt lgkmcnt(0)
	v_cmp_ne_u64_e64 s28, s[40:41], v[36:37]
	s_delay_alu instid0(VALU_DEP_1) | instskip(SKIP_2) | instid1(VALU_DEP_2)
	v_cndmask_b32_e64 v41, 0x80000000, v37, s28
	v_cndmask_b32_e64 v40, 0, v36, s28
	v_cmp_lt_i64_e64 s28, -1, v[36:37]
	v_lshrrev_b64 v[40:41], s43, v[40:41]
	s_delay_alu instid0(VALU_DEP_2) | instskip(NEXT) | instid1(VALU_DEP_2)
	v_cndmask_b32_e64 v42, 0x80000000, -1, s28
	v_and_b32_e32 v2, s51, v40
	v_ashrrev_i32_e32 v40, 31, v37
	s_delay_alu instid0(VALU_DEP_3) | instskip(NEXT) | instid1(VALU_DEP_3)
	v_xor_b32_e32 v37, v42, v37
	v_lshlrev_b32_e32 v2, 2, v2
	s_delay_alu instid0(VALU_DEP_3) | instskip(SKIP_4) | instid1(VALU_DEP_1)
	v_not_b32_e32 v43, v40
	ds_load_b32 v2, v2
	v_xor_b32_e32 v36, v43, v36
	s_waitcnt lgkmcnt(0)
	v_add_nc_u32_e32 v2, v2, v91
	v_lshlrev_b64 v[40:41], 3, v[2:3]
	s_delay_alu instid0(VALU_DEP_1) | instskip(NEXT) | instid1(VALU_DEP_1)
	v_add_co_u32 v40, s28, s48, v40
	v_add_co_ci_u32_e64 v41, s28, s49, v41, s28
	global_store_b64 v[40:41], v[36:37], off
	s_or_b32 exec_lo, exec_lo, s29
	v_cmp_lt_u32_e64 s28, v92, v177
	s_delay_alu instid0(VALU_DEP_1)
	s_and_saveexec_b32 s30, s28
	s_cbranch_execnz .LBB1229_499
.LBB1229_484:                           ;   in Loop: Header=BB1229_392 Depth=2
	s_or_b32 exec_lo, exec_lo, s30
	v_cmp_lt_u32_e64 s29, v93, v177
	s_delay_alu instid0(VALU_DEP_1)
	s_and_saveexec_b32 s31, s29
	s_cbranch_execz .LBB1229_500
.LBB1229_485:                           ;   in Loop: Header=BB1229_392 Depth=2
	ds_load_b64 v[36:37], v110 offset:28672
	s_waitcnt lgkmcnt(0)
	v_cmp_ne_u64_e64 s30, s[40:41], v[36:37]
	s_delay_alu instid0(VALU_DEP_1) | instskip(SKIP_2) | instid1(VALU_DEP_2)
	v_cndmask_b32_e64 v41, 0x80000000, v37, s30
	v_cndmask_b32_e64 v40, 0, v36, s30
	v_cmp_lt_i64_e64 s30, -1, v[36:37]
	v_lshrrev_b64 v[40:41], s43, v[40:41]
	s_delay_alu instid0(VALU_DEP_2) | instskip(NEXT) | instid1(VALU_DEP_2)
	v_cndmask_b32_e64 v42, 0x80000000, -1, s30
	v_and_b32_e32 v2, s51, v40
	v_ashrrev_i32_e32 v40, 31, v37
	s_delay_alu instid0(VALU_DEP_3) | instskip(NEXT) | instid1(VALU_DEP_3)
	v_xor_b32_e32 v37, v42, v37
	v_lshlrev_b32_e32 v2, 2, v2
	s_delay_alu instid0(VALU_DEP_3) | instskip(SKIP_4) | instid1(VALU_DEP_1)
	v_not_b32_e32 v43, v40
	ds_load_b32 v2, v2
	v_xor_b32_e32 v36, v43, v36
	s_waitcnt lgkmcnt(0)
	v_add_nc_u32_e32 v2, v2, v93
	v_lshlrev_b64 v[40:41], 3, v[2:3]
	s_delay_alu instid0(VALU_DEP_1) | instskip(NEXT) | instid1(VALU_DEP_1)
	v_add_co_u32 v40, s30, s48, v40
	v_add_co_ci_u32_e64 v41, s30, s49, v41, s30
	global_store_b64 v[40:41], v[36:37], off
	s_or_b32 exec_lo, exec_lo, s31
	v_cmp_lt_u32_e64 s30, v95, v177
	s_delay_alu instid0(VALU_DEP_1)
	s_and_saveexec_b32 s61, s30
	s_cbranch_execnz .LBB1229_501
	s_branch .LBB1229_502
.LBB1229_486:                           ;   in Loop: Header=BB1229_392 Depth=2
	s_or_b32 exec_lo, exec_lo, s17
	v_cmp_lt_u32_e64 s16, v77, v177
	s_delay_alu instid0(VALU_DEP_1)
	s_and_saveexec_b32 s18, s16
	s_cbranch_execz .LBB1229_472
.LBB1229_487:                           ;   in Loop: Header=BB1229_392 Depth=2
	ds_load_b64 v[36:37], v110 offset:2048
	s_waitcnt lgkmcnt(0)
	v_cmp_ne_u64_e64 s17, s[40:41], v[36:37]
	s_delay_alu instid0(VALU_DEP_1) | instskip(SKIP_2) | instid1(VALU_DEP_2)
	v_cndmask_b32_e64 v41, 0x80000000, v37, s17
	v_cndmask_b32_e64 v40, 0, v36, s17
	v_cmp_lt_i64_e64 s17, -1, v[36:37]
	v_lshrrev_b64 v[40:41], s43, v[40:41]
	s_delay_alu instid0(VALU_DEP_2) | instskip(NEXT) | instid1(VALU_DEP_2)
	v_cndmask_b32_e64 v42, 0x80000000, -1, s17
	v_and_b32_e32 v2, s51, v40
	v_ashrrev_i32_e32 v40, 31, v37
	s_delay_alu instid0(VALU_DEP_3) | instskip(NEXT) | instid1(VALU_DEP_3)
	v_xor_b32_e32 v37, v42, v37
	v_lshlrev_b32_e32 v2, 2, v2
	s_delay_alu instid0(VALU_DEP_3) | instskip(SKIP_4) | instid1(VALU_DEP_1)
	v_not_b32_e32 v43, v40
	ds_load_b32 v2, v2
	v_xor_b32_e32 v36, v43, v36
	s_waitcnt lgkmcnt(0)
	v_add_nc_u32_e32 v2, v2, v77
	v_lshlrev_b64 v[40:41], 3, v[2:3]
	s_delay_alu instid0(VALU_DEP_1) | instskip(NEXT) | instid1(VALU_DEP_1)
	v_add_co_u32 v40, s17, s48, v40
	v_add_co_ci_u32_e64 v41, s17, s49, v41, s17
	global_store_b64 v[40:41], v[36:37], off
	s_or_b32 exec_lo, exec_lo, s18
	v_cmp_lt_u32_e64 s17, v78, v177
	s_delay_alu instid0(VALU_DEP_1)
	s_and_saveexec_b32 s19, s17
	s_cbranch_execnz .LBB1229_473
.LBB1229_488:                           ;   in Loop: Header=BB1229_392 Depth=2
	s_or_b32 exec_lo, exec_lo, s19
	v_cmp_lt_u32_e64 s18, v79, v177
	s_delay_alu instid0(VALU_DEP_1)
	s_and_saveexec_b32 s20, s18
	s_cbranch_execz .LBB1229_474
.LBB1229_489:                           ;   in Loop: Header=BB1229_392 Depth=2
	ds_load_b64 v[36:37], v110 offset:6144
	s_waitcnt lgkmcnt(0)
	v_cmp_ne_u64_e64 s19, s[40:41], v[36:37]
	s_delay_alu instid0(VALU_DEP_1) | instskip(SKIP_2) | instid1(VALU_DEP_2)
	v_cndmask_b32_e64 v41, 0x80000000, v37, s19
	v_cndmask_b32_e64 v40, 0, v36, s19
	v_cmp_lt_i64_e64 s19, -1, v[36:37]
	v_lshrrev_b64 v[40:41], s43, v[40:41]
	s_delay_alu instid0(VALU_DEP_2) | instskip(NEXT) | instid1(VALU_DEP_2)
	v_cndmask_b32_e64 v42, 0x80000000, -1, s19
	v_and_b32_e32 v2, s51, v40
	v_ashrrev_i32_e32 v40, 31, v37
	s_delay_alu instid0(VALU_DEP_3) | instskip(NEXT) | instid1(VALU_DEP_3)
	v_xor_b32_e32 v37, v42, v37
	v_lshlrev_b32_e32 v2, 2, v2
	s_delay_alu instid0(VALU_DEP_3) | instskip(SKIP_4) | instid1(VALU_DEP_1)
	v_not_b32_e32 v43, v40
	ds_load_b32 v2, v2
	v_xor_b32_e32 v36, v43, v36
	s_waitcnt lgkmcnt(0)
	v_add_nc_u32_e32 v2, v2, v79
	v_lshlrev_b64 v[40:41], 3, v[2:3]
	s_delay_alu instid0(VALU_DEP_1) | instskip(NEXT) | instid1(VALU_DEP_1)
	v_add_co_u32 v40, s19, s48, v40
	v_add_co_ci_u32_e64 v41, s19, s49, v41, s19
	global_store_b64 v[40:41], v[36:37], off
	s_or_b32 exec_lo, exec_lo, s20
	v_cmp_lt_u32_e64 s19, v83, v177
	s_delay_alu instid0(VALU_DEP_1)
	s_and_saveexec_b32 s21, s19
	s_cbranch_execnz .LBB1229_475
.LBB1229_490:                           ;   in Loop: Header=BB1229_392 Depth=2
	s_or_b32 exec_lo, exec_lo, s21
	v_cmp_lt_u32_e64 s20, v84, v177
	s_delay_alu instid0(VALU_DEP_1)
	s_and_saveexec_b32 s22, s20
	s_cbranch_execz .LBB1229_476
.LBB1229_491:                           ;   in Loop: Header=BB1229_392 Depth=2
	ds_load_b64 v[36:37], v110 offset:10240
	s_waitcnt lgkmcnt(0)
	v_cmp_ne_u64_e64 s21, s[40:41], v[36:37]
	s_delay_alu instid0(VALU_DEP_1) | instskip(SKIP_2) | instid1(VALU_DEP_2)
	v_cndmask_b32_e64 v41, 0x80000000, v37, s21
	v_cndmask_b32_e64 v40, 0, v36, s21
	v_cmp_lt_i64_e64 s21, -1, v[36:37]
	v_lshrrev_b64 v[40:41], s43, v[40:41]
	s_delay_alu instid0(VALU_DEP_2) | instskip(NEXT) | instid1(VALU_DEP_2)
	v_cndmask_b32_e64 v42, 0x80000000, -1, s21
	v_and_b32_e32 v2, s51, v40
	v_ashrrev_i32_e32 v40, 31, v37
	s_delay_alu instid0(VALU_DEP_3) | instskip(NEXT) | instid1(VALU_DEP_3)
	v_xor_b32_e32 v37, v42, v37
	v_lshlrev_b32_e32 v2, 2, v2
	s_delay_alu instid0(VALU_DEP_3) | instskip(SKIP_4) | instid1(VALU_DEP_1)
	v_not_b32_e32 v43, v40
	ds_load_b32 v2, v2
	v_xor_b32_e32 v36, v43, v36
	s_waitcnt lgkmcnt(0)
	v_add_nc_u32_e32 v2, v2, v84
	v_lshlrev_b64 v[40:41], 3, v[2:3]
	s_delay_alu instid0(VALU_DEP_1) | instskip(NEXT) | instid1(VALU_DEP_1)
	v_add_co_u32 v40, s21, s48, v40
	v_add_co_ci_u32_e64 v41, s21, s49, v41, s21
	global_store_b64 v[40:41], v[36:37], off
	s_or_b32 exec_lo, exec_lo, s22
	v_cmp_lt_u32_e64 s21, v85, v177
	s_delay_alu instid0(VALU_DEP_1)
	s_and_saveexec_b32 s23, s21
	s_cbranch_execnz .LBB1229_477
.LBB1229_492:                           ;   in Loop: Header=BB1229_392 Depth=2
	s_or_b32 exec_lo, exec_lo, s23
	v_cmp_lt_u32_e64 s22, v86, v177
	s_delay_alu instid0(VALU_DEP_1)
	s_and_saveexec_b32 s24, s22
	s_cbranch_execz .LBB1229_478
.LBB1229_493:                           ;   in Loop: Header=BB1229_392 Depth=2
	ds_load_b64 v[36:37], v110 offset:14336
	s_waitcnt lgkmcnt(0)
	v_cmp_ne_u64_e64 s23, s[40:41], v[36:37]
	s_delay_alu instid0(VALU_DEP_1) | instskip(SKIP_2) | instid1(VALU_DEP_2)
	v_cndmask_b32_e64 v41, 0x80000000, v37, s23
	v_cndmask_b32_e64 v40, 0, v36, s23
	v_cmp_lt_i64_e64 s23, -1, v[36:37]
	v_lshrrev_b64 v[40:41], s43, v[40:41]
	s_delay_alu instid0(VALU_DEP_2) | instskip(NEXT) | instid1(VALU_DEP_2)
	v_cndmask_b32_e64 v42, 0x80000000, -1, s23
	v_and_b32_e32 v2, s51, v40
	v_ashrrev_i32_e32 v40, 31, v37
	s_delay_alu instid0(VALU_DEP_3) | instskip(NEXT) | instid1(VALU_DEP_3)
	v_xor_b32_e32 v37, v42, v37
	v_lshlrev_b32_e32 v2, 2, v2
	s_delay_alu instid0(VALU_DEP_3) | instskip(SKIP_4) | instid1(VALU_DEP_1)
	v_not_b32_e32 v43, v40
	ds_load_b32 v2, v2
	v_xor_b32_e32 v36, v43, v36
	s_waitcnt lgkmcnt(0)
	v_add_nc_u32_e32 v2, v2, v86
	v_lshlrev_b64 v[40:41], 3, v[2:3]
	s_delay_alu instid0(VALU_DEP_1) | instskip(NEXT) | instid1(VALU_DEP_1)
	v_add_co_u32 v40, s23, s48, v40
	v_add_co_ci_u32_e64 v41, s23, s49, v41, s23
	global_store_b64 v[40:41], v[36:37], off
	s_or_b32 exec_lo, exec_lo, s24
	v_cmp_lt_u32_e64 s23, v87, v177
	s_delay_alu instid0(VALU_DEP_1)
	s_and_saveexec_b32 s25, s23
	s_cbranch_execnz .LBB1229_479
.LBB1229_494:                           ;   in Loop: Header=BB1229_392 Depth=2
	s_or_b32 exec_lo, exec_lo, s25
	v_cmp_lt_u32_e64 s24, v88, v177
	s_delay_alu instid0(VALU_DEP_1)
	s_and_saveexec_b32 s26, s24
	s_cbranch_execz .LBB1229_480
.LBB1229_495:                           ;   in Loop: Header=BB1229_392 Depth=2
	ds_load_b64 v[36:37], v110 offset:18432
	s_waitcnt lgkmcnt(0)
	v_cmp_ne_u64_e64 s25, s[40:41], v[36:37]
	s_delay_alu instid0(VALU_DEP_1) | instskip(SKIP_2) | instid1(VALU_DEP_2)
	v_cndmask_b32_e64 v41, 0x80000000, v37, s25
	v_cndmask_b32_e64 v40, 0, v36, s25
	v_cmp_lt_i64_e64 s25, -1, v[36:37]
	v_lshrrev_b64 v[40:41], s43, v[40:41]
	s_delay_alu instid0(VALU_DEP_2) | instskip(NEXT) | instid1(VALU_DEP_2)
	v_cndmask_b32_e64 v42, 0x80000000, -1, s25
	v_and_b32_e32 v2, s51, v40
	v_ashrrev_i32_e32 v40, 31, v37
	s_delay_alu instid0(VALU_DEP_3) | instskip(NEXT) | instid1(VALU_DEP_3)
	v_xor_b32_e32 v37, v42, v37
	v_lshlrev_b32_e32 v2, 2, v2
	s_delay_alu instid0(VALU_DEP_3) | instskip(SKIP_4) | instid1(VALU_DEP_1)
	v_not_b32_e32 v43, v40
	ds_load_b32 v2, v2
	v_xor_b32_e32 v36, v43, v36
	s_waitcnt lgkmcnt(0)
	v_add_nc_u32_e32 v2, v2, v88
	v_lshlrev_b64 v[40:41], 3, v[2:3]
	s_delay_alu instid0(VALU_DEP_1) | instskip(NEXT) | instid1(VALU_DEP_1)
	v_add_co_u32 v40, s25, s48, v40
	v_add_co_ci_u32_e64 v41, s25, s49, v41, s25
	global_store_b64 v[40:41], v[36:37], off
	s_or_b32 exec_lo, exec_lo, s26
	v_cmp_lt_u32_e64 s25, v89, v177
	s_delay_alu instid0(VALU_DEP_1)
	s_and_saveexec_b32 s27, s25
	s_cbranch_execnz .LBB1229_481
.LBB1229_496:                           ;   in Loop: Header=BB1229_392 Depth=2
	s_or_b32 exec_lo, exec_lo, s27
	v_cmp_lt_u32_e64 s26, v90, v177
	s_delay_alu instid0(VALU_DEP_1)
	s_and_saveexec_b32 s28, s26
	s_cbranch_execz .LBB1229_482
.LBB1229_497:                           ;   in Loop: Header=BB1229_392 Depth=2
	ds_load_b64 v[36:37], v110 offset:22528
	s_waitcnt lgkmcnt(0)
	v_cmp_ne_u64_e64 s27, s[40:41], v[36:37]
	s_delay_alu instid0(VALU_DEP_1) | instskip(SKIP_2) | instid1(VALU_DEP_2)
	v_cndmask_b32_e64 v41, 0x80000000, v37, s27
	v_cndmask_b32_e64 v40, 0, v36, s27
	v_cmp_lt_i64_e64 s27, -1, v[36:37]
	v_lshrrev_b64 v[40:41], s43, v[40:41]
	s_delay_alu instid0(VALU_DEP_2) | instskip(NEXT) | instid1(VALU_DEP_2)
	v_cndmask_b32_e64 v42, 0x80000000, -1, s27
	v_and_b32_e32 v2, s51, v40
	v_ashrrev_i32_e32 v40, 31, v37
	s_delay_alu instid0(VALU_DEP_3) | instskip(NEXT) | instid1(VALU_DEP_3)
	v_xor_b32_e32 v37, v42, v37
	v_lshlrev_b32_e32 v2, 2, v2
	s_delay_alu instid0(VALU_DEP_3) | instskip(SKIP_4) | instid1(VALU_DEP_1)
	v_not_b32_e32 v43, v40
	ds_load_b32 v2, v2
	v_xor_b32_e32 v36, v43, v36
	s_waitcnt lgkmcnt(0)
	v_add_nc_u32_e32 v2, v2, v90
	v_lshlrev_b64 v[40:41], 3, v[2:3]
	s_delay_alu instid0(VALU_DEP_1) | instskip(NEXT) | instid1(VALU_DEP_1)
	v_add_co_u32 v40, s27, s48, v40
	v_add_co_ci_u32_e64 v41, s27, s49, v41, s27
	global_store_b64 v[40:41], v[36:37], off
	s_or_b32 exec_lo, exec_lo, s28
	v_cmp_lt_u32_e64 s27, v91, v177
	s_delay_alu instid0(VALU_DEP_1)
	s_and_saveexec_b32 s29, s27
	s_cbranch_execnz .LBB1229_483
.LBB1229_498:                           ;   in Loop: Header=BB1229_392 Depth=2
	s_or_b32 exec_lo, exec_lo, s29
	v_cmp_lt_u32_e64 s28, v92, v177
	s_delay_alu instid0(VALU_DEP_1)
	s_and_saveexec_b32 s30, s28
	s_cbranch_execz .LBB1229_484
.LBB1229_499:                           ;   in Loop: Header=BB1229_392 Depth=2
	ds_load_b64 v[36:37], v110 offset:26624
	s_waitcnt lgkmcnt(0)
	v_cmp_ne_u64_e64 s29, s[40:41], v[36:37]
	s_delay_alu instid0(VALU_DEP_1) | instskip(SKIP_2) | instid1(VALU_DEP_2)
	v_cndmask_b32_e64 v41, 0x80000000, v37, s29
	v_cndmask_b32_e64 v40, 0, v36, s29
	v_cmp_lt_i64_e64 s29, -1, v[36:37]
	v_lshrrev_b64 v[40:41], s43, v[40:41]
	s_delay_alu instid0(VALU_DEP_2) | instskip(NEXT) | instid1(VALU_DEP_2)
	v_cndmask_b32_e64 v42, 0x80000000, -1, s29
	v_and_b32_e32 v2, s51, v40
	v_ashrrev_i32_e32 v40, 31, v37
	s_delay_alu instid0(VALU_DEP_3) | instskip(NEXT) | instid1(VALU_DEP_3)
	v_xor_b32_e32 v37, v42, v37
	v_lshlrev_b32_e32 v2, 2, v2
	s_delay_alu instid0(VALU_DEP_3) | instskip(SKIP_4) | instid1(VALU_DEP_1)
	v_not_b32_e32 v43, v40
	ds_load_b32 v2, v2
	v_xor_b32_e32 v36, v43, v36
	s_waitcnt lgkmcnt(0)
	v_add_nc_u32_e32 v2, v2, v92
	v_lshlrev_b64 v[40:41], 3, v[2:3]
	s_delay_alu instid0(VALU_DEP_1) | instskip(NEXT) | instid1(VALU_DEP_1)
	v_add_co_u32 v40, s29, s48, v40
	v_add_co_ci_u32_e64 v41, s29, s49, v41, s29
	global_store_b64 v[40:41], v[36:37], off
	s_or_b32 exec_lo, exec_lo, s30
	v_cmp_lt_u32_e64 s29, v93, v177
	s_delay_alu instid0(VALU_DEP_1)
	s_and_saveexec_b32 s31, s29
	s_cbranch_execnz .LBB1229_485
.LBB1229_500:                           ;   in Loop: Header=BB1229_392 Depth=2
	s_or_b32 exec_lo, exec_lo, s31
	v_cmp_lt_u32_e64 s30, v95, v177
	s_delay_alu instid0(VALU_DEP_1)
	s_and_saveexec_b32 s61, s30
	s_cbranch_execz .LBB1229_502
.LBB1229_501:                           ;   in Loop: Header=BB1229_392 Depth=2
	ds_load_b64 v[36:37], v110 offset:30720
	s_waitcnt lgkmcnt(0)
	v_cmp_ne_u64_e64 s31, s[40:41], v[36:37]
	s_delay_alu instid0(VALU_DEP_1) | instskip(SKIP_2) | instid1(VALU_DEP_2)
	v_cndmask_b32_e64 v41, 0x80000000, v37, s31
	v_cndmask_b32_e64 v40, 0, v36, s31
	v_cmp_lt_i64_e64 s31, -1, v[36:37]
	v_lshrrev_b64 v[40:41], s43, v[40:41]
	s_delay_alu instid0(VALU_DEP_2) | instskip(NEXT) | instid1(VALU_DEP_2)
	v_cndmask_b32_e64 v42, 0x80000000, -1, s31
	v_and_b32_e32 v2, s51, v40
	v_ashrrev_i32_e32 v40, 31, v37
	s_delay_alu instid0(VALU_DEP_3) | instskip(NEXT) | instid1(VALU_DEP_3)
	v_xor_b32_e32 v37, v42, v37
	v_lshlrev_b32_e32 v2, 2, v2
	s_delay_alu instid0(VALU_DEP_3) | instskip(SKIP_4) | instid1(VALU_DEP_1)
	v_not_b32_e32 v43, v40
	ds_load_b32 v2, v2
	v_xor_b32_e32 v36, v43, v36
	s_waitcnt lgkmcnt(0)
	v_add_nc_u32_e32 v2, v2, v95
	v_lshlrev_b64 v[40:41], 3, v[2:3]
	s_delay_alu instid0(VALU_DEP_1) | instskip(NEXT) | instid1(VALU_DEP_1)
	v_add_co_u32 v40, s31, s48, v40
	v_add_co_ci_u32_e64 v41, s31, s49, v41, s31
	global_store_b64 v[40:41], v[36:37], off
.LBB1229_502:                           ;   in Loop: Header=BB1229_392 Depth=2
	s_or_b32 exec_lo, exec_lo, s61
	s_lshl_b64 s[64:65], s[36:37], 3
	s_delay_alu instid0(SALU_CYCLE_1) | instskip(NEXT) | instid1(VALU_DEP_1)
	v_add_co_u32 v36, s31, v139, s64
	v_add_co_ci_u32_e64 v37, s31, s65, v140, s31
	v_cmp_lt_u32_e64 s31, v138, v177
	s_delay_alu instid0(VALU_DEP_1) | instskip(NEXT) | instid1(SALU_CYCLE_1)
	s_and_saveexec_b32 s36, s31
	s_xor_b32 s31, exec_lo, s36
	s_cbranch_execz .LBB1229_534
; %bb.503:                              ;   in Loop: Header=BB1229_392 Depth=2
	global_load_b64 v[34:35], v[36:37], off
	s_or_b32 exec_lo, exec_lo, s31
	s_delay_alu instid0(SALU_CYCLE_1)
	s_mov_b32 s36, exec_lo
	v_cmpx_lt_u32_e64 v141, v177
	s_cbranch_execnz .LBB1229_535
.LBB1229_504:                           ;   in Loop: Header=BB1229_392 Depth=2
	s_or_b32 exec_lo, exec_lo, s36
	s_delay_alu instid0(SALU_CYCLE_1)
	s_mov_b32 s36, exec_lo
	v_cmpx_lt_u32_e64 v142, v177
	s_cbranch_execz .LBB1229_536
.LBB1229_505:                           ;   in Loop: Header=BB1229_392 Depth=2
	global_load_b64 v[30:31], v[36:37], off offset:512
	s_or_b32 exec_lo, exec_lo, s36
	s_delay_alu instid0(SALU_CYCLE_1)
	s_mov_b32 s36, exec_lo
	v_cmpx_lt_u32_e64 v143, v177
	s_cbranch_execnz .LBB1229_537
.LBB1229_506:                           ;   in Loop: Header=BB1229_392 Depth=2
	s_or_b32 exec_lo, exec_lo, s36
	s_delay_alu instid0(SALU_CYCLE_1)
	s_mov_b32 s36, exec_lo
	v_cmpx_lt_u32_e64 v144, v177
	s_cbranch_execz .LBB1229_538
.LBB1229_507:                           ;   in Loop: Header=BB1229_392 Depth=2
	global_load_b64 v[26:27], v[36:37], off offset:1024
	s_or_b32 exec_lo, exec_lo, s36
	s_delay_alu instid0(SALU_CYCLE_1)
	s_mov_b32 s36, exec_lo
	v_cmpx_lt_u32_e64 v145, v177
	s_cbranch_execnz .LBB1229_539
.LBB1229_508:                           ;   in Loop: Header=BB1229_392 Depth=2
	s_or_b32 exec_lo, exec_lo, s36
	s_delay_alu instid0(SALU_CYCLE_1)
	s_mov_b32 s36, exec_lo
	v_cmpx_lt_u32_e64 v146, v177
	s_cbranch_execz .LBB1229_540
.LBB1229_509:                           ;   in Loop: Header=BB1229_392 Depth=2
	global_load_b64 v[22:23], v[36:37], off offset:1536
	s_or_b32 exec_lo, exec_lo, s36
	s_delay_alu instid0(SALU_CYCLE_1)
	s_mov_b32 s36, exec_lo
	v_cmpx_lt_u32_e64 v147, v177
	s_cbranch_execnz .LBB1229_541
.LBB1229_510:                           ;   in Loop: Header=BB1229_392 Depth=2
	s_or_b32 exec_lo, exec_lo, s36
	s_delay_alu instid0(SALU_CYCLE_1)
	s_mov_b32 s36, exec_lo
	v_cmpx_lt_u32_e64 v148, v177
	s_cbranch_execz .LBB1229_542
.LBB1229_511:                           ;   in Loop: Header=BB1229_392 Depth=2
	global_load_b64 v[18:19], v[36:37], off offset:2048
	s_or_b32 exec_lo, exec_lo, s36
	s_delay_alu instid0(SALU_CYCLE_1)
	s_mov_b32 s36, exec_lo
	v_cmpx_lt_u32_e64 v149, v177
	s_cbranch_execnz .LBB1229_543
.LBB1229_512:                           ;   in Loop: Header=BB1229_392 Depth=2
	s_or_b32 exec_lo, exec_lo, s36
	s_delay_alu instid0(SALU_CYCLE_1)
	s_mov_b32 s36, exec_lo
	v_cmpx_lt_u32_e64 v150, v177
	s_cbranch_execz .LBB1229_544
.LBB1229_513:                           ;   in Loop: Header=BB1229_392 Depth=2
	global_load_b64 v[14:15], v[36:37], off offset:2560
	s_or_b32 exec_lo, exec_lo, s36
	s_delay_alu instid0(SALU_CYCLE_1)
	s_mov_b32 s36, exec_lo
	v_cmpx_lt_u32_e64 v151, v177
	s_cbranch_execnz .LBB1229_545
.LBB1229_514:                           ;   in Loop: Header=BB1229_392 Depth=2
	s_or_b32 exec_lo, exec_lo, s36
	s_delay_alu instid0(SALU_CYCLE_1)
	s_mov_b32 s36, exec_lo
	v_cmpx_lt_u32_e64 v152, v177
	s_cbranch_execz .LBB1229_546
.LBB1229_515:                           ;   in Loop: Header=BB1229_392 Depth=2
	global_load_b64 v[10:11], v[36:37], off offset:3072
	s_or_b32 exec_lo, exec_lo, s36
	s_delay_alu instid0(SALU_CYCLE_1)
	s_mov_b32 s36, exec_lo
	v_cmpx_lt_u32_e64 v153, v177
	s_cbranch_execnz .LBB1229_547
.LBB1229_516:                           ;   in Loop: Header=BB1229_392 Depth=2
	s_or_b32 exec_lo, exec_lo, s36
	s_delay_alu instid0(SALU_CYCLE_1)
	s_mov_b32 s36, exec_lo
	v_cmpx_lt_u32_e64 v154, v177
	s_cbranch_execz .LBB1229_548
.LBB1229_517:                           ;   in Loop: Header=BB1229_392 Depth=2
	global_load_b64 v[6:7], v[36:37], off offset:3584
	s_or_b32 exec_lo, exec_lo, s36
	s_delay_alu instid0(SALU_CYCLE_1)
	s_mov_b32 s36, exec_lo
	v_cmpx_lt_u32_e64 v155, v177
	s_cbranch_execnz .LBB1229_549
.LBB1229_518:                           ;   in Loop: Header=BB1229_392 Depth=2
	s_or_b32 exec_lo, exec_lo, s36
	s_and_saveexec_b32 s36, vcc_lo
	s_cbranch_execz .LBB1229_550
.LBB1229_519:                           ;   in Loop: Header=BB1229_392 Depth=2
	v_add_nc_u32_e32 v2, v104, v76
	ds_load_b64 v[36:37], v2 offset:1024
	s_waitcnt lgkmcnt(0)
	v_cmp_ne_u64_e64 s31, s[40:41], v[36:37]
	s_delay_alu instid0(VALU_DEP_1) | instskip(SKIP_1) | instid1(VALU_DEP_1)
	v_cndmask_b32_e64 v37, 0x80000000, v37, s31
	v_cndmask_b32_e64 v36, 0, v36, s31
	v_lshrrev_b64 v[36:37], s43, v[36:37]
	s_delay_alu instid0(VALU_DEP_1)
	v_and_b32_e32 v176, s51, v36
	s_or_b32 exec_lo, exec_lo, s36
	s_and_saveexec_b32 s36, s16
	s_cbranch_execnz .LBB1229_551
.LBB1229_520:                           ;   in Loop: Header=BB1229_392 Depth=2
	s_or_b32 exec_lo, exec_lo, s36
	s_and_saveexec_b32 s36, s17
	s_cbranch_execz .LBB1229_552
.LBB1229_521:                           ;   in Loop: Header=BB1229_392 Depth=2
	ds_load_b64 v[36:37], v110 offset:4096
	s_waitcnt lgkmcnt(0)
	v_cmp_ne_u64_e64 s31, s[40:41], v[36:37]
	s_delay_alu instid0(VALU_DEP_1) | instskip(SKIP_1) | instid1(VALU_DEP_1)
	v_cndmask_b32_e64 v37, 0x80000000, v37, s31
	v_cndmask_b32_e64 v36, 0, v36, s31
	v_lshrrev_b64 v[36:37], s43, v[36:37]
	s_delay_alu instid0(VALU_DEP_1)
	v_and_b32_e32 v174, s51, v36
	s_or_b32 exec_lo, exec_lo, s36
	s_and_saveexec_b32 s36, s18
	s_cbranch_execnz .LBB1229_553
.LBB1229_522:                           ;   in Loop: Header=BB1229_392 Depth=2
	s_or_b32 exec_lo, exec_lo, s36
	s_and_saveexec_b32 s36, s19
	s_cbranch_execz .LBB1229_554
.LBB1229_523:                           ;   in Loop: Header=BB1229_392 Depth=2
	ds_load_b64 v[36:37], v110 offset:8192
	s_waitcnt lgkmcnt(0)
	v_cmp_ne_u64_e64 s31, s[40:41], v[36:37]
	s_delay_alu instid0(VALU_DEP_1) | instskip(SKIP_1) | instid1(VALU_DEP_1)
	v_cndmask_b32_e64 v37, 0x80000000, v37, s31
	v_cndmask_b32_e64 v36, 0, v36, s31
	v_lshrrev_b64 v[36:37], s43, v[36:37]
	s_delay_alu instid0(VALU_DEP_1)
	v_and_b32_e32 v172, s51, v36
	s_or_b32 exec_lo, exec_lo, s36
	s_and_saveexec_b32 s36, s20
	s_cbranch_execnz .LBB1229_555
.LBB1229_524:                           ;   in Loop: Header=BB1229_392 Depth=2
	s_or_b32 exec_lo, exec_lo, s36
	s_and_saveexec_b32 s36, s21
	s_cbranch_execz .LBB1229_556
.LBB1229_525:                           ;   in Loop: Header=BB1229_392 Depth=2
	ds_load_b64 v[36:37], v110 offset:12288
	s_waitcnt lgkmcnt(0)
	v_cmp_ne_u64_e64 s31, s[40:41], v[36:37]
	s_delay_alu instid0(VALU_DEP_1) | instskip(SKIP_1) | instid1(VALU_DEP_1)
	v_cndmask_b32_e64 v37, 0x80000000, v37, s31
	v_cndmask_b32_e64 v36, 0, v36, s31
	v_lshrrev_b64 v[36:37], s43, v[36:37]
	s_delay_alu instid0(VALU_DEP_1)
	v_and_b32_e32 v170, s51, v36
	s_or_b32 exec_lo, exec_lo, s36
	s_and_saveexec_b32 s36, s22
	s_cbranch_execnz .LBB1229_557
.LBB1229_526:                           ;   in Loop: Header=BB1229_392 Depth=2
	s_or_b32 exec_lo, exec_lo, s36
	s_and_saveexec_b32 s36, s23
	s_cbranch_execz .LBB1229_558
.LBB1229_527:                           ;   in Loop: Header=BB1229_392 Depth=2
	ds_load_b64 v[36:37], v110 offset:16384
	s_waitcnt lgkmcnt(0)
	v_cmp_ne_u64_e64 s31, s[40:41], v[36:37]
	s_delay_alu instid0(VALU_DEP_1) | instskip(SKIP_1) | instid1(VALU_DEP_1)
	v_cndmask_b32_e64 v37, 0x80000000, v37, s31
	v_cndmask_b32_e64 v36, 0, v36, s31
	v_lshrrev_b64 v[36:37], s43, v[36:37]
	s_delay_alu instid0(VALU_DEP_1)
	v_and_b32_e32 v168, s51, v36
	s_or_b32 exec_lo, exec_lo, s36
	s_and_saveexec_b32 s36, s24
	s_cbranch_execnz .LBB1229_559
.LBB1229_528:                           ;   in Loop: Header=BB1229_392 Depth=2
	s_or_b32 exec_lo, exec_lo, s36
	s_and_saveexec_b32 s36, s25
	s_cbranch_execz .LBB1229_560
.LBB1229_529:                           ;   in Loop: Header=BB1229_392 Depth=2
	ds_load_b64 v[36:37], v110 offset:20480
	s_waitcnt lgkmcnt(0)
	v_cmp_ne_u64_e64 s31, s[40:41], v[36:37]
	s_delay_alu instid0(VALU_DEP_1) | instskip(SKIP_1) | instid1(VALU_DEP_1)
	v_cndmask_b32_e64 v37, 0x80000000, v37, s31
	v_cndmask_b32_e64 v36, 0, v36, s31
	v_lshrrev_b64 v[36:37], s43, v[36:37]
	s_delay_alu instid0(VALU_DEP_1)
	v_and_b32_e32 v166, s51, v36
	s_or_b32 exec_lo, exec_lo, s36
	s_and_saveexec_b32 s36, s26
	s_cbranch_execnz .LBB1229_561
.LBB1229_530:                           ;   in Loop: Header=BB1229_392 Depth=2
	s_or_b32 exec_lo, exec_lo, s36
	s_and_saveexec_b32 s36, s27
	s_cbranch_execz .LBB1229_562
.LBB1229_531:                           ;   in Loop: Header=BB1229_392 Depth=2
	ds_load_b64 v[36:37], v110 offset:24576
	s_waitcnt lgkmcnt(0)
	v_cmp_ne_u64_e64 s31, s[40:41], v[36:37]
	s_delay_alu instid0(VALU_DEP_1) | instskip(SKIP_1) | instid1(VALU_DEP_1)
	v_cndmask_b32_e64 v37, 0x80000000, v37, s31
	v_cndmask_b32_e64 v36, 0, v36, s31
	v_lshrrev_b64 v[36:37], s43, v[36:37]
	s_delay_alu instid0(VALU_DEP_1)
	v_and_b32_e32 v164, s51, v36
	s_or_b32 exec_lo, exec_lo, s36
	s_and_saveexec_b32 s36, s28
	s_cbranch_execnz .LBB1229_563
.LBB1229_532:                           ;   in Loop: Header=BB1229_392 Depth=2
	s_or_b32 exec_lo, exec_lo, s36
	s_and_saveexec_b32 s36, s29
	s_cbranch_execz .LBB1229_564
.LBB1229_533:                           ;   in Loop: Header=BB1229_392 Depth=2
	ds_load_b64 v[36:37], v110 offset:28672
	s_waitcnt lgkmcnt(0)
	v_cmp_ne_u64_e64 s31, s[40:41], v[36:37]
	s_delay_alu instid0(VALU_DEP_1) | instskip(SKIP_1) | instid1(VALU_DEP_1)
	v_cndmask_b32_e64 v37, 0x80000000, v37, s31
	v_cndmask_b32_e64 v36, 0, v36, s31
	v_lshrrev_b64 v[36:37], s43, v[36:37]
	s_delay_alu instid0(VALU_DEP_1)
	v_and_b32_e32 v162, s51, v36
	s_or_b32 exec_lo, exec_lo, s36
	s_and_saveexec_b32 s36, s30
	s_cbranch_execnz .LBB1229_565
	s_branch .LBB1229_566
.LBB1229_534:                           ;   in Loop: Header=BB1229_392 Depth=2
	s_or_b32 exec_lo, exec_lo, s31
	s_delay_alu instid0(SALU_CYCLE_1)
	s_mov_b32 s36, exec_lo
	v_cmpx_lt_u32_e64 v141, v177
	s_cbranch_execz .LBB1229_504
.LBB1229_535:                           ;   in Loop: Header=BB1229_392 Depth=2
	global_load_b64 v[32:33], v[36:37], off offset:256
	s_or_b32 exec_lo, exec_lo, s36
	s_delay_alu instid0(SALU_CYCLE_1)
	s_mov_b32 s36, exec_lo
	v_cmpx_lt_u32_e64 v142, v177
	s_cbranch_execnz .LBB1229_505
.LBB1229_536:                           ;   in Loop: Header=BB1229_392 Depth=2
	s_or_b32 exec_lo, exec_lo, s36
	s_delay_alu instid0(SALU_CYCLE_1)
	s_mov_b32 s36, exec_lo
	v_cmpx_lt_u32_e64 v143, v177
	s_cbranch_execz .LBB1229_506
.LBB1229_537:                           ;   in Loop: Header=BB1229_392 Depth=2
	global_load_b64 v[28:29], v[36:37], off offset:768
	s_or_b32 exec_lo, exec_lo, s36
	s_delay_alu instid0(SALU_CYCLE_1)
	s_mov_b32 s36, exec_lo
	v_cmpx_lt_u32_e64 v144, v177
	s_cbranch_execnz .LBB1229_507
.LBB1229_538:                           ;   in Loop: Header=BB1229_392 Depth=2
	s_or_b32 exec_lo, exec_lo, s36
	s_delay_alu instid0(SALU_CYCLE_1)
	s_mov_b32 s36, exec_lo
	v_cmpx_lt_u32_e64 v145, v177
	s_cbranch_execz .LBB1229_508
.LBB1229_539:                           ;   in Loop: Header=BB1229_392 Depth=2
	global_load_b64 v[24:25], v[36:37], off offset:1280
	s_or_b32 exec_lo, exec_lo, s36
	s_delay_alu instid0(SALU_CYCLE_1)
	s_mov_b32 s36, exec_lo
	v_cmpx_lt_u32_e64 v146, v177
	s_cbranch_execnz .LBB1229_509
.LBB1229_540:                           ;   in Loop: Header=BB1229_392 Depth=2
	s_or_b32 exec_lo, exec_lo, s36
	s_delay_alu instid0(SALU_CYCLE_1)
	s_mov_b32 s36, exec_lo
	v_cmpx_lt_u32_e64 v147, v177
	s_cbranch_execz .LBB1229_510
.LBB1229_541:                           ;   in Loop: Header=BB1229_392 Depth=2
	global_load_b64 v[20:21], v[36:37], off offset:1792
	s_or_b32 exec_lo, exec_lo, s36
	s_delay_alu instid0(SALU_CYCLE_1)
	s_mov_b32 s36, exec_lo
	v_cmpx_lt_u32_e64 v148, v177
	s_cbranch_execnz .LBB1229_511
.LBB1229_542:                           ;   in Loop: Header=BB1229_392 Depth=2
	s_or_b32 exec_lo, exec_lo, s36
	s_delay_alu instid0(SALU_CYCLE_1)
	s_mov_b32 s36, exec_lo
	v_cmpx_lt_u32_e64 v149, v177
	s_cbranch_execz .LBB1229_512
.LBB1229_543:                           ;   in Loop: Header=BB1229_392 Depth=2
	global_load_b64 v[16:17], v[36:37], off offset:2304
	s_or_b32 exec_lo, exec_lo, s36
	s_delay_alu instid0(SALU_CYCLE_1)
	s_mov_b32 s36, exec_lo
	v_cmpx_lt_u32_e64 v150, v177
	s_cbranch_execnz .LBB1229_513
.LBB1229_544:                           ;   in Loop: Header=BB1229_392 Depth=2
	s_or_b32 exec_lo, exec_lo, s36
	s_delay_alu instid0(SALU_CYCLE_1)
	s_mov_b32 s36, exec_lo
	v_cmpx_lt_u32_e64 v151, v177
	s_cbranch_execz .LBB1229_514
.LBB1229_545:                           ;   in Loop: Header=BB1229_392 Depth=2
	global_load_b64 v[12:13], v[36:37], off offset:2816
	s_or_b32 exec_lo, exec_lo, s36
	s_delay_alu instid0(SALU_CYCLE_1)
	s_mov_b32 s36, exec_lo
	v_cmpx_lt_u32_e64 v152, v177
	s_cbranch_execnz .LBB1229_515
.LBB1229_546:                           ;   in Loop: Header=BB1229_392 Depth=2
	s_or_b32 exec_lo, exec_lo, s36
	s_delay_alu instid0(SALU_CYCLE_1)
	s_mov_b32 s36, exec_lo
	v_cmpx_lt_u32_e64 v153, v177
	s_cbranch_execz .LBB1229_516
.LBB1229_547:                           ;   in Loop: Header=BB1229_392 Depth=2
	global_load_b64 v[8:9], v[36:37], off offset:3328
	s_or_b32 exec_lo, exec_lo, s36
	s_delay_alu instid0(SALU_CYCLE_1)
	s_mov_b32 s36, exec_lo
	v_cmpx_lt_u32_e64 v154, v177
	s_cbranch_execnz .LBB1229_517
.LBB1229_548:                           ;   in Loop: Header=BB1229_392 Depth=2
	s_or_b32 exec_lo, exec_lo, s36
	s_delay_alu instid0(SALU_CYCLE_1)
	s_mov_b32 s36, exec_lo
	v_cmpx_lt_u32_e64 v155, v177
	s_cbranch_execz .LBB1229_518
.LBB1229_549:                           ;   in Loop: Header=BB1229_392 Depth=2
	global_load_b64 v[4:5], v[36:37], off offset:3840
	s_or_b32 exec_lo, exec_lo, s36
	s_and_saveexec_b32 s36, vcc_lo
	s_cbranch_execnz .LBB1229_519
.LBB1229_550:                           ;   in Loop: Header=BB1229_392 Depth=2
	s_or_b32 exec_lo, exec_lo, s36
	s_and_saveexec_b32 s36, s16
	s_cbranch_execz .LBB1229_520
.LBB1229_551:                           ;   in Loop: Header=BB1229_392 Depth=2
	ds_load_b64 v[36:37], v110 offset:2048
	s_waitcnt lgkmcnt(0)
	v_cmp_ne_u64_e64 s31, s[40:41], v[36:37]
	s_delay_alu instid0(VALU_DEP_1) | instskip(SKIP_1) | instid1(VALU_DEP_1)
	v_cndmask_b32_e64 v37, 0x80000000, v37, s31
	v_cndmask_b32_e64 v36, 0, v36, s31
	v_lshrrev_b64 v[36:37], s43, v[36:37]
	s_delay_alu instid0(VALU_DEP_1)
	v_and_b32_e32 v175, s51, v36
	s_or_b32 exec_lo, exec_lo, s36
	s_and_saveexec_b32 s36, s17
	s_cbranch_execnz .LBB1229_521
.LBB1229_552:                           ;   in Loop: Header=BB1229_392 Depth=2
	s_or_b32 exec_lo, exec_lo, s36
	s_and_saveexec_b32 s36, s18
	s_cbranch_execz .LBB1229_522
.LBB1229_553:                           ;   in Loop: Header=BB1229_392 Depth=2
	ds_load_b64 v[36:37], v110 offset:6144
	s_waitcnt lgkmcnt(0)
	v_cmp_ne_u64_e64 s31, s[40:41], v[36:37]
	s_delay_alu instid0(VALU_DEP_1) | instskip(SKIP_1) | instid1(VALU_DEP_1)
	v_cndmask_b32_e64 v37, 0x80000000, v37, s31
	v_cndmask_b32_e64 v36, 0, v36, s31
	v_lshrrev_b64 v[36:37], s43, v[36:37]
	s_delay_alu instid0(VALU_DEP_1)
	v_and_b32_e32 v173, s51, v36
	s_or_b32 exec_lo, exec_lo, s36
	s_and_saveexec_b32 s36, s19
	s_cbranch_execnz .LBB1229_523
.LBB1229_554:                           ;   in Loop: Header=BB1229_392 Depth=2
	s_or_b32 exec_lo, exec_lo, s36
	s_and_saveexec_b32 s36, s20
	s_cbranch_execz .LBB1229_524
.LBB1229_555:                           ;   in Loop: Header=BB1229_392 Depth=2
	ds_load_b64 v[36:37], v110 offset:10240
	s_waitcnt lgkmcnt(0)
	v_cmp_ne_u64_e64 s31, s[40:41], v[36:37]
	s_delay_alu instid0(VALU_DEP_1) | instskip(SKIP_1) | instid1(VALU_DEP_1)
	v_cndmask_b32_e64 v37, 0x80000000, v37, s31
	v_cndmask_b32_e64 v36, 0, v36, s31
	v_lshrrev_b64 v[36:37], s43, v[36:37]
	s_delay_alu instid0(VALU_DEP_1)
	v_and_b32_e32 v171, s51, v36
	s_or_b32 exec_lo, exec_lo, s36
	s_and_saveexec_b32 s36, s21
	s_cbranch_execnz .LBB1229_525
.LBB1229_556:                           ;   in Loop: Header=BB1229_392 Depth=2
	s_or_b32 exec_lo, exec_lo, s36
	s_and_saveexec_b32 s36, s22
	s_cbranch_execz .LBB1229_526
.LBB1229_557:                           ;   in Loop: Header=BB1229_392 Depth=2
	ds_load_b64 v[36:37], v110 offset:14336
	s_waitcnt lgkmcnt(0)
	v_cmp_ne_u64_e64 s31, s[40:41], v[36:37]
	s_delay_alu instid0(VALU_DEP_1) | instskip(SKIP_1) | instid1(VALU_DEP_1)
	v_cndmask_b32_e64 v37, 0x80000000, v37, s31
	v_cndmask_b32_e64 v36, 0, v36, s31
	v_lshrrev_b64 v[36:37], s43, v[36:37]
	s_delay_alu instid0(VALU_DEP_1)
	v_and_b32_e32 v169, s51, v36
	s_or_b32 exec_lo, exec_lo, s36
	s_and_saveexec_b32 s36, s23
	s_cbranch_execnz .LBB1229_527
.LBB1229_558:                           ;   in Loop: Header=BB1229_392 Depth=2
	s_or_b32 exec_lo, exec_lo, s36
	s_and_saveexec_b32 s36, s24
	s_cbranch_execz .LBB1229_528
.LBB1229_559:                           ;   in Loop: Header=BB1229_392 Depth=2
	ds_load_b64 v[36:37], v110 offset:18432
	s_waitcnt lgkmcnt(0)
	v_cmp_ne_u64_e64 s31, s[40:41], v[36:37]
	s_delay_alu instid0(VALU_DEP_1) | instskip(SKIP_1) | instid1(VALU_DEP_1)
	v_cndmask_b32_e64 v37, 0x80000000, v37, s31
	v_cndmask_b32_e64 v36, 0, v36, s31
	v_lshrrev_b64 v[36:37], s43, v[36:37]
	s_delay_alu instid0(VALU_DEP_1)
	v_and_b32_e32 v167, s51, v36
	s_or_b32 exec_lo, exec_lo, s36
	s_and_saveexec_b32 s36, s25
	s_cbranch_execnz .LBB1229_529
.LBB1229_560:                           ;   in Loop: Header=BB1229_392 Depth=2
	s_or_b32 exec_lo, exec_lo, s36
	s_and_saveexec_b32 s36, s26
	s_cbranch_execz .LBB1229_530
.LBB1229_561:                           ;   in Loop: Header=BB1229_392 Depth=2
	ds_load_b64 v[36:37], v110 offset:22528
	s_waitcnt lgkmcnt(0)
	v_cmp_ne_u64_e64 s31, s[40:41], v[36:37]
	s_delay_alu instid0(VALU_DEP_1) | instskip(SKIP_1) | instid1(VALU_DEP_1)
	v_cndmask_b32_e64 v37, 0x80000000, v37, s31
	v_cndmask_b32_e64 v36, 0, v36, s31
	v_lshrrev_b64 v[36:37], s43, v[36:37]
	s_delay_alu instid0(VALU_DEP_1)
	v_and_b32_e32 v165, s51, v36
	s_or_b32 exec_lo, exec_lo, s36
	s_and_saveexec_b32 s36, s27
	s_cbranch_execnz .LBB1229_531
.LBB1229_562:                           ;   in Loop: Header=BB1229_392 Depth=2
	s_or_b32 exec_lo, exec_lo, s36
	s_and_saveexec_b32 s36, s28
	s_cbranch_execz .LBB1229_532
.LBB1229_563:                           ;   in Loop: Header=BB1229_392 Depth=2
	ds_load_b64 v[36:37], v110 offset:26624
	s_waitcnt lgkmcnt(0)
	v_cmp_ne_u64_e64 s31, s[40:41], v[36:37]
	s_delay_alu instid0(VALU_DEP_1) | instskip(SKIP_1) | instid1(VALU_DEP_1)
	v_cndmask_b32_e64 v37, 0x80000000, v37, s31
	v_cndmask_b32_e64 v36, 0, v36, s31
	v_lshrrev_b64 v[36:37], s43, v[36:37]
	s_delay_alu instid0(VALU_DEP_1)
	v_and_b32_e32 v163, s51, v36
	s_or_b32 exec_lo, exec_lo, s36
	s_and_saveexec_b32 s36, s29
	s_cbranch_execnz .LBB1229_533
.LBB1229_564:                           ;   in Loop: Header=BB1229_392 Depth=2
	s_or_b32 exec_lo, exec_lo, s36
	s_and_saveexec_b32 s36, s30
	s_cbranch_execz .LBB1229_566
.LBB1229_565:                           ;   in Loop: Header=BB1229_392 Depth=2
	ds_load_b64 v[36:37], v110 offset:30720
	s_waitcnt lgkmcnt(0)
	v_cmp_ne_u64_e64 s31, s[40:41], v[36:37]
	s_delay_alu instid0(VALU_DEP_1) | instskip(SKIP_1) | instid1(VALU_DEP_1)
	v_cndmask_b32_e64 v37, 0x80000000, v37, s31
	v_cndmask_b32_e64 v36, 0, v36, s31
	v_lshrrev_b64 v[36:37], s43, v[36:37]
	s_delay_alu instid0(VALU_DEP_1)
	v_and_b32_e32 v161, s51, v36
.LBB1229_566:                           ;   in Loop: Header=BB1229_392 Depth=2
	s_or_b32 exec_lo, exec_lo, s36
	v_add_nc_u32_e32 v2, 0x400, v69
	v_add_nc_u32_e32 v36, 0x400, v70
	;; [unrolled: 1-line block ×16, first 2 shown]
	s_waitcnt vmcnt(0)
	s_waitcnt_vscnt null, 0x0
	s_barrier
	buffer_gl0_inv
	ds_store_b64 v2, v[34:35]
	ds_store_b64 v36, v[32:33]
	;; [unrolled: 1-line block ×16, first 2 shown]
	s_waitcnt lgkmcnt(0)
	s_barrier
	buffer_gl0_inv
	s_and_saveexec_b32 s31, vcc_lo
	s_cbranch_execz .LBB1229_582
; %bb.567:                              ;   in Loop: Header=BB1229_392 Depth=2
	v_lshlrev_b32_e32 v2, 2, v176
	v_add_nc_u32_e32 v36, v104, v76
	ds_load_b32 v2, v2
	ds_load_b64 v[36:37], v36 offset:1024
	s_waitcnt lgkmcnt(1)
	v_add_nc_u32_e32 v2, v2, v1
	s_delay_alu instid0(VALU_DEP_1) | instskip(NEXT) | instid1(VALU_DEP_1)
	v_lshlrev_b64 v[38:39], 3, v[2:3]
	v_add_co_u32 v38, vcc_lo, s54, v38
	s_delay_alu instid0(VALU_DEP_2)
	v_add_co_ci_u32_e32 v39, vcc_lo, s55, v39, vcc_lo
	s_waitcnt lgkmcnt(0)
	global_store_b64 v[38:39], v[36:37], off
	s_or_b32 exec_lo, exec_lo, s31
	s_and_saveexec_b32 s31, s16
	s_cbranch_execnz .LBB1229_583
.LBB1229_568:                           ;   in Loop: Header=BB1229_392 Depth=2
	s_or_b32 exec_lo, exec_lo, s31
	s_and_saveexec_b32 s16, s17
	s_cbranch_execz .LBB1229_584
.LBB1229_569:                           ;   in Loop: Header=BB1229_392 Depth=2
	v_lshlrev_b32_e32 v2, 2, v174
	ds_load_b32 v2, v2
	ds_load_b64 v[36:37], v110 offset:4096
	s_waitcnt lgkmcnt(1)
	v_add_nc_u32_e32 v2, v2, v78
	s_delay_alu instid0(VALU_DEP_1) | instskip(NEXT) | instid1(VALU_DEP_1)
	v_lshlrev_b64 v[38:39], 3, v[2:3]
	v_add_co_u32 v38, vcc_lo, s54, v38
	s_delay_alu instid0(VALU_DEP_2)
	v_add_co_ci_u32_e32 v39, vcc_lo, s55, v39, vcc_lo
	s_waitcnt lgkmcnt(0)
	global_store_b64 v[38:39], v[36:37], off
	s_or_b32 exec_lo, exec_lo, s16
	s_and_saveexec_b32 s16, s18
	s_cbranch_execnz .LBB1229_585
.LBB1229_570:                           ;   in Loop: Header=BB1229_392 Depth=2
	s_or_b32 exec_lo, exec_lo, s16
	s_and_saveexec_b32 s16, s19
	s_cbranch_execz .LBB1229_586
.LBB1229_571:                           ;   in Loop: Header=BB1229_392 Depth=2
	v_lshlrev_b32_e32 v2, 2, v172
	ds_load_b32 v2, v2
	ds_load_b64 v[36:37], v110 offset:8192
	s_waitcnt lgkmcnt(1)
	v_add_nc_u32_e32 v2, v2, v83
	s_delay_alu instid0(VALU_DEP_1) | instskip(NEXT) | instid1(VALU_DEP_1)
	v_lshlrev_b64 v[38:39], 3, v[2:3]
	v_add_co_u32 v38, vcc_lo, s54, v38
	s_delay_alu instid0(VALU_DEP_2)
	v_add_co_ci_u32_e32 v39, vcc_lo, s55, v39, vcc_lo
	s_waitcnt lgkmcnt(0)
	global_store_b64 v[38:39], v[36:37], off
	s_or_b32 exec_lo, exec_lo, s16
	s_and_saveexec_b32 s16, s20
	s_cbranch_execnz .LBB1229_587
.LBB1229_572:                           ;   in Loop: Header=BB1229_392 Depth=2
	s_or_b32 exec_lo, exec_lo, s16
	s_and_saveexec_b32 s16, s21
	s_cbranch_execz .LBB1229_588
.LBB1229_573:                           ;   in Loop: Header=BB1229_392 Depth=2
	v_lshlrev_b32_e32 v2, 2, v170
	ds_load_b32 v2, v2
	ds_load_b64 v[36:37], v110 offset:12288
	s_waitcnt lgkmcnt(1)
	v_add_nc_u32_e32 v2, v2, v85
	s_delay_alu instid0(VALU_DEP_1) | instskip(NEXT) | instid1(VALU_DEP_1)
	v_lshlrev_b64 v[38:39], 3, v[2:3]
	v_add_co_u32 v38, vcc_lo, s54, v38
	s_delay_alu instid0(VALU_DEP_2)
	v_add_co_ci_u32_e32 v39, vcc_lo, s55, v39, vcc_lo
	s_waitcnt lgkmcnt(0)
	global_store_b64 v[38:39], v[36:37], off
	s_or_b32 exec_lo, exec_lo, s16
	s_and_saveexec_b32 s16, s22
	s_cbranch_execnz .LBB1229_589
.LBB1229_574:                           ;   in Loop: Header=BB1229_392 Depth=2
	s_or_b32 exec_lo, exec_lo, s16
	s_and_saveexec_b32 s16, s23
	s_cbranch_execz .LBB1229_590
.LBB1229_575:                           ;   in Loop: Header=BB1229_392 Depth=2
	v_lshlrev_b32_e32 v2, 2, v168
	ds_load_b32 v2, v2
	ds_load_b64 v[36:37], v110 offset:16384
	s_waitcnt lgkmcnt(1)
	v_add_nc_u32_e32 v2, v2, v87
	s_delay_alu instid0(VALU_DEP_1) | instskip(NEXT) | instid1(VALU_DEP_1)
	v_lshlrev_b64 v[38:39], 3, v[2:3]
	v_add_co_u32 v38, vcc_lo, s54, v38
	s_delay_alu instid0(VALU_DEP_2)
	v_add_co_ci_u32_e32 v39, vcc_lo, s55, v39, vcc_lo
	s_waitcnt lgkmcnt(0)
	global_store_b64 v[38:39], v[36:37], off
	s_or_b32 exec_lo, exec_lo, s16
	s_and_saveexec_b32 s16, s24
	s_cbranch_execnz .LBB1229_591
.LBB1229_576:                           ;   in Loop: Header=BB1229_392 Depth=2
	s_or_b32 exec_lo, exec_lo, s16
	s_and_saveexec_b32 s16, s25
	s_cbranch_execz .LBB1229_592
.LBB1229_577:                           ;   in Loop: Header=BB1229_392 Depth=2
	v_lshlrev_b32_e32 v2, 2, v166
	ds_load_b32 v2, v2
	ds_load_b64 v[36:37], v110 offset:20480
	s_waitcnt lgkmcnt(1)
	v_add_nc_u32_e32 v2, v2, v89
	s_delay_alu instid0(VALU_DEP_1) | instskip(NEXT) | instid1(VALU_DEP_1)
	v_lshlrev_b64 v[38:39], 3, v[2:3]
	v_add_co_u32 v38, vcc_lo, s54, v38
	s_delay_alu instid0(VALU_DEP_2)
	v_add_co_ci_u32_e32 v39, vcc_lo, s55, v39, vcc_lo
	s_waitcnt lgkmcnt(0)
	global_store_b64 v[38:39], v[36:37], off
	s_or_b32 exec_lo, exec_lo, s16
	s_and_saveexec_b32 s16, s26
	s_cbranch_execnz .LBB1229_593
.LBB1229_578:                           ;   in Loop: Header=BB1229_392 Depth=2
	s_or_b32 exec_lo, exec_lo, s16
	s_and_saveexec_b32 s16, s27
	s_cbranch_execz .LBB1229_594
.LBB1229_579:                           ;   in Loop: Header=BB1229_392 Depth=2
	v_lshlrev_b32_e32 v2, 2, v164
	ds_load_b32 v2, v2
	ds_load_b64 v[36:37], v110 offset:24576
	s_waitcnt lgkmcnt(1)
	v_add_nc_u32_e32 v2, v2, v91
	s_delay_alu instid0(VALU_DEP_1) | instskip(NEXT) | instid1(VALU_DEP_1)
	v_lshlrev_b64 v[38:39], 3, v[2:3]
	v_add_co_u32 v38, vcc_lo, s54, v38
	s_delay_alu instid0(VALU_DEP_2)
	v_add_co_ci_u32_e32 v39, vcc_lo, s55, v39, vcc_lo
	s_waitcnt lgkmcnt(0)
	global_store_b64 v[38:39], v[36:37], off
	s_or_b32 exec_lo, exec_lo, s16
	s_and_saveexec_b32 s16, s28
	s_cbranch_execnz .LBB1229_595
.LBB1229_580:                           ;   in Loop: Header=BB1229_392 Depth=2
	s_or_b32 exec_lo, exec_lo, s16
	s_and_saveexec_b32 s16, s29
	s_cbranch_execz .LBB1229_596
.LBB1229_581:                           ;   in Loop: Header=BB1229_392 Depth=2
	v_lshlrev_b32_e32 v2, 2, v162
	ds_load_b32 v2, v2
	ds_load_b64 v[36:37], v110 offset:28672
	s_waitcnt lgkmcnt(1)
	v_add_nc_u32_e32 v2, v2, v93
	s_delay_alu instid0(VALU_DEP_1) | instskip(NEXT) | instid1(VALU_DEP_1)
	v_lshlrev_b64 v[38:39], 3, v[2:3]
	v_add_co_u32 v38, vcc_lo, s54, v38
	s_delay_alu instid0(VALU_DEP_2)
	v_add_co_ci_u32_e32 v39, vcc_lo, s55, v39, vcc_lo
	s_waitcnt lgkmcnt(0)
	global_store_b64 v[38:39], v[36:37], off
	s_or_b32 exec_lo, exec_lo, s16
	s_and_saveexec_b32 s16, s30
	s_cbranch_execnz .LBB1229_597
	s_branch .LBB1229_598
.LBB1229_582:                           ;   in Loop: Header=BB1229_392 Depth=2
	s_or_b32 exec_lo, exec_lo, s31
	s_and_saveexec_b32 s31, s16
	s_cbranch_execz .LBB1229_568
.LBB1229_583:                           ;   in Loop: Header=BB1229_392 Depth=2
	v_lshlrev_b32_e32 v2, 2, v175
	ds_load_b32 v2, v2
	ds_load_b64 v[36:37], v110 offset:2048
	s_waitcnt lgkmcnt(1)
	v_add_nc_u32_e32 v2, v2, v77
	s_delay_alu instid0(VALU_DEP_1) | instskip(NEXT) | instid1(VALU_DEP_1)
	v_lshlrev_b64 v[38:39], 3, v[2:3]
	v_add_co_u32 v38, vcc_lo, s54, v38
	s_delay_alu instid0(VALU_DEP_2)
	v_add_co_ci_u32_e32 v39, vcc_lo, s55, v39, vcc_lo
	s_waitcnt lgkmcnt(0)
	global_store_b64 v[38:39], v[36:37], off
	s_or_b32 exec_lo, exec_lo, s31
	s_and_saveexec_b32 s16, s17
	s_cbranch_execnz .LBB1229_569
.LBB1229_584:                           ;   in Loop: Header=BB1229_392 Depth=2
	s_or_b32 exec_lo, exec_lo, s16
	s_and_saveexec_b32 s16, s18
	s_cbranch_execz .LBB1229_570
.LBB1229_585:                           ;   in Loop: Header=BB1229_392 Depth=2
	v_lshlrev_b32_e32 v2, 2, v173
	ds_load_b32 v2, v2
	ds_load_b64 v[36:37], v110 offset:6144
	s_waitcnt lgkmcnt(1)
	v_add_nc_u32_e32 v2, v2, v79
	s_delay_alu instid0(VALU_DEP_1) | instskip(NEXT) | instid1(VALU_DEP_1)
	v_lshlrev_b64 v[38:39], 3, v[2:3]
	v_add_co_u32 v38, vcc_lo, s54, v38
	s_delay_alu instid0(VALU_DEP_2)
	v_add_co_ci_u32_e32 v39, vcc_lo, s55, v39, vcc_lo
	s_waitcnt lgkmcnt(0)
	global_store_b64 v[38:39], v[36:37], off
	s_or_b32 exec_lo, exec_lo, s16
	s_and_saveexec_b32 s16, s19
	s_cbranch_execnz .LBB1229_571
.LBB1229_586:                           ;   in Loop: Header=BB1229_392 Depth=2
	s_or_b32 exec_lo, exec_lo, s16
	s_and_saveexec_b32 s16, s20
	s_cbranch_execz .LBB1229_572
.LBB1229_587:                           ;   in Loop: Header=BB1229_392 Depth=2
	v_lshlrev_b32_e32 v2, 2, v171
	ds_load_b32 v2, v2
	ds_load_b64 v[36:37], v110 offset:10240
	s_waitcnt lgkmcnt(1)
	v_add_nc_u32_e32 v2, v2, v84
	s_delay_alu instid0(VALU_DEP_1) | instskip(NEXT) | instid1(VALU_DEP_1)
	v_lshlrev_b64 v[38:39], 3, v[2:3]
	v_add_co_u32 v38, vcc_lo, s54, v38
	s_delay_alu instid0(VALU_DEP_2)
	v_add_co_ci_u32_e32 v39, vcc_lo, s55, v39, vcc_lo
	s_waitcnt lgkmcnt(0)
	global_store_b64 v[38:39], v[36:37], off
	s_or_b32 exec_lo, exec_lo, s16
	s_and_saveexec_b32 s16, s21
	s_cbranch_execnz .LBB1229_573
.LBB1229_588:                           ;   in Loop: Header=BB1229_392 Depth=2
	s_or_b32 exec_lo, exec_lo, s16
	s_and_saveexec_b32 s16, s22
	s_cbranch_execz .LBB1229_574
.LBB1229_589:                           ;   in Loop: Header=BB1229_392 Depth=2
	v_lshlrev_b32_e32 v2, 2, v169
	ds_load_b32 v2, v2
	ds_load_b64 v[36:37], v110 offset:14336
	s_waitcnt lgkmcnt(1)
	v_add_nc_u32_e32 v2, v2, v86
	s_delay_alu instid0(VALU_DEP_1) | instskip(NEXT) | instid1(VALU_DEP_1)
	v_lshlrev_b64 v[38:39], 3, v[2:3]
	v_add_co_u32 v38, vcc_lo, s54, v38
	s_delay_alu instid0(VALU_DEP_2)
	v_add_co_ci_u32_e32 v39, vcc_lo, s55, v39, vcc_lo
	s_waitcnt lgkmcnt(0)
	global_store_b64 v[38:39], v[36:37], off
	s_or_b32 exec_lo, exec_lo, s16
	s_and_saveexec_b32 s16, s23
	s_cbranch_execnz .LBB1229_575
.LBB1229_590:                           ;   in Loop: Header=BB1229_392 Depth=2
	s_or_b32 exec_lo, exec_lo, s16
	s_and_saveexec_b32 s16, s24
	s_cbranch_execz .LBB1229_576
.LBB1229_591:                           ;   in Loop: Header=BB1229_392 Depth=2
	v_lshlrev_b32_e32 v2, 2, v167
	ds_load_b32 v2, v2
	ds_load_b64 v[36:37], v110 offset:18432
	s_waitcnt lgkmcnt(1)
	v_add_nc_u32_e32 v2, v2, v88
	s_delay_alu instid0(VALU_DEP_1) | instskip(NEXT) | instid1(VALU_DEP_1)
	v_lshlrev_b64 v[38:39], 3, v[2:3]
	v_add_co_u32 v38, vcc_lo, s54, v38
	s_delay_alu instid0(VALU_DEP_2)
	v_add_co_ci_u32_e32 v39, vcc_lo, s55, v39, vcc_lo
	s_waitcnt lgkmcnt(0)
	global_store_b64 v[38:39], v[36:37], off
	s_or_b32 exec_lo, exec_lo, s16
	s_and_saveexec_b32 s16, s25
	s_cbranch_execnz .LBB1229_577
.LBB1229_592:                           ;   in Loop: Header=BB1229_392 Depth=2
	s_or_b32 exec_lo, exec_lo, s16
	s_and_saveexec_b32 s16, s26
	s_cbranch_execz .LBB1229_578
.LBB1229_593:                           ;   in Loop: Header=BB1229_392 Depth=2
	v_lshlrev_b32_e32 v2, 2, v165
	ds_load_b32 v2, v2
	ds_load_b64 v[36:37], v110 offset:22528
	s_waitcnt lgkmcnt(1)
	v_add_nc_u32_e32 v2, v2, v90
	s_delay_alu instid0(VALU_DEP_1) | instskip(NEXT) | instid1(VALU_DEP_1)
	v_lshlrev_b64 v[38:39], 3, v[2:3]
	v_add_co_u32 v38, vcc_lo, s54, v38
	s_delay_alu instid0(VALU_DEP_2)
	v_add_co_ci_u32_e32 v39, vcc_lo, s55, v39, vcc_lo
	s_waitcnt lgkmcnt(0)
	global_store_b64 v[38:39], v[36:37], off
	s_or_b32 exec_lo, exec_lo, s16
	s_and_saveexec_b32 s16, s27
	s_cbranch_execnz .LBB1229_579
.LBB1229_594:                           ;   in Loop: Header=BB1229_392 Depth=2
	s_or_b32 exec_lo, exec_lo, s16
	s_and_saveexec_b32 s16, s28
	s_cbranch_execz .LBB1229_580
.LBB1229_595:                           ;   in Loop: Header=BB1229_392 Depth=2
	v_lshlrev_b32_e32 v2, 2, v163
	ds_load_b32 v2, v2
	ds_load_b64 v[36:37], v110 offset:26624
	s_waitcnt lgkmcnt(1)
	v_add_nc_u32_e32 v2, v2, v92
	s_delay_alu instid0(VALU_DEP_1) | instskip(NEXT) | instid1(VALU_DEP_1)
	v_lshlrev_b64 v[38:39], 3, v[2:3]
	v_add_co_u32 v38, vcc_lo, s54, v38
	s_delay_alu instid0(VALU_DEP_2)
	v_add_co_ci_u32_e32 v39, vcc_lo, s55, v39, vcc_lo
	s_waitcnt lgkmcnt(0)
	global_store_b64 v[38:39], v[36:37], off
	s_or_b32 exec_lo, exec_lo, s16
	s_and_saveexec_b32 s16, s29
	s_cbranch_execnz .LBB1229_581
.LBB1229_596:                           ;   in Loop: Header=BB1229_392 Depth=2
	s_or_b32 exec_lo, exec_lo, s16
	s_and_saveexec_b32 s16, s30
	s_cbranch_execz .LBB1229_598
.LBB1229_597:                           ;   in Loop: Header=BB1229_392 Depth=2
	v_lshlrev_b32_e32 v2, 2, v161
	ds_load_b32 v2, v2
	ds_load_b64 v[36:37], v110 offset:30720
	s_waitcnt lgkmcnt(1)
	v_add_nc_u32_e32 v2, v2, v95
	s_delay_alu instid0(VALU_DEP_1) | instskip(NEXT) | instid1(VALU_DEP_1)
	v_lshlrev_b64 v[38:39], 3, v[2:3]
	v_add_co_u32 v38, vcc_lo, s54, v38
	s_delay_alu instid0(VALU_DEP_2)
	v_add_co_ci_u32_e32 v39, vcc_lo, s55, v39, vcc_lo
	s_waitcnt lgkmcnt(0)
	global_store_b64 v[38:39], v[36:37], off
.LBB1229_598:                           ;   in Loop: Header=BB1229_392 Depth=2
	s_or_b32 exec_lo, exec_lo, s16
	s_waitcnt_vscnt null, 0x0
	s_barrier
	buffer_gl0_inv
	s_and_saveexec_b32 s16, s2
	s_cbranch_execz .LBB1229_391
; %bb.599:                              ;   in Loop: Header=BB1229_392 Depth=2
	ds_load_b32 v2, v76
	s_waitcnt lgkmcnt(0)
	v_add_nc_u32_e32 v2, v2, v68
	ds_store_b32 v76, v2
	s_branch .LBB1229_391
.LBB1229_600:                           ;   in Loop: Header=BB1229_12 Depth=1
	s_waitcnt lgkmcnt(0)
	s_barrier
.LBB1229_601:                           ;   in Loop: Header=BB1229_12 Depth=1
	s_mov_b32 s1, 0
.LBB1229_602:                           ;   in Loop: Header=BB1229_12 Depth=1
	s_delay_alu instid0(SALU_CYCLE_1)
	s_and_not1_b32 vcc_lo, exec_lo, s1
	s_cbranch_vccnz .LBB1229_11
; %bb.603:                              ;   in Loop: Header=BB1229_12 Depth=1
	s_lshl_b32 s1, -1, s50
	s_and_b32 vcc_lo, exec_lo, s59
	s_not_b32 s50, s1
	s_mov_b32 s1, -1
	s_cbranch_vccz .LBB1229_897
; %bb.604:                              ;   in Loop: Header=BB1229_12 Depth=1
	s_mov_b32 s1, s62
	s_mov_b32 s36, s33
	s_barrier
	buffer_gl0_inv
                                        ; implicit-def: $vgpr34_vgpr35
                                        ; implicit-def: $vgpr4_vgpr5
                                        ; implicit-def: $vgpr6_vgpr7
                                        ; implicit-def: $vgpr8_vgpr9
                                        ; implicit-def: $vgpr10_vgpr11
                                        ; implicit-def: $vgpr12_vgpr13
                                        ; implicit-def: $vgpr14_vgpr15
                                        ; implicit-def: $vgpr16_vgpr17
                                        ; implicit-def: $vgpr18_vgpr19
                                        ; implicit-def: $vgpr20_vgpr21
                                        ; implicit-def: $vgpr22_vgpr23
                                        ; implicit-def: $vgpr24_vgpr25
                                        ; implicit-def: $vgpr26_vgpr27
                                        ; implicit-def: $vgpr28_vgpr29
                                        ; implicit-def: $vgpr30_vgpr31
                                        ; implicit-def: $vgpr32_vgpr33
	s_branch .LBB1229_606
.LBB1229_605:                           ;   in Loop: Header=BB1229_606 Depth=2
	s_or_b32 exec_lo, exec_lo, s8
	s_addk_i32 s1, 0xf000
	s_cmp_ge_u32 s7, s35
	s_mov_b32 s36, s7
	s_cbranch_scc1 .LBB1229_676
.LBB1229_606:                           ;   Parent Loop BB1229_12 Depth=1
                                        ; =>  This Inner Loop Header: Depth=2
	s_add_i32 s7, s36, 0x1000
	s_delay_alu instid0(SALU_CYCLE_1)
	s_cmp_gt_u32 s7, s35
	s_cbranch_scc1 .LBB1229_609
; %bb.607:                              ;   in Loop: Header=BB1229_606 Depth=2
	s_mov_b32 s9, 0
	s_mov_b32 s8, s36
	s_delay_alu instid0(SALU_CYCLE_1) | instskip(NEXT) | instid1(SALU_CYCLE_1)
	s_lshl_b64 s[10:11], s[8:9], 3
	v_add_co_u32 v36, vcc_lo, v117, s10
	v_add_co_ci_u32_e32 v37, vcc_lo, s11, v118, vcc_lo
	s_movk_i32 s11, 0x1000
	s_waitcnt vmcnt(12)
	s_delay_alu instid0(VALU_DEP_2) | instskip(NEXT) | instid1(VALU_DEP_2)
	v_add_co_u32 v42, vcc_lo, 0x1000, v36
	v_add_co_ci_u32_e32 v43, vcc_lo, 0, v37, vcc_lo
	s_waitcnt vmcnt(11)
	v_add_co_u32 v44, vcc_lo, 0x2000, v36
	v_add_co_ci_u32_e32 v45, vcc_lo, 0, v37, vcc_lo
	s_waitcnt vmcnt(1)
	v_add_co_u32 v50, vcc_lo, v36, 0x2000
	v_add_co_ci_u32_e32 v51, vcc_lo, 0, v37, vcc_lo
	v_add_co_u32 v52, vcc_lo, v36, 0x4000
	v_add_co_ci_u32_e32 v53, vcc_lo, 0, v37, vcc_lo
	;; [unrolled: 2-line block ×7, first 2 shown]
	s_waitcnt vmcnt(0)
	v_add_co_u32 v66, vcc_lo, 0x7000, v36
	v_add_co_ci_u32_e32 v67, vcc_lo, 0, v37, vcc_lo
	s_clause 0xe
	global_load_b64 v[38:39], v[36:37], off
	global_load_b64 v[40:41], v[36:37], off offset:2048
	global_load_b64 v[42:43], v[42:43], off offset:2048
	;; [unrolled: 1-line block ×3, first 2 shown]
	global_load_b64 v[46:47], v[50:51], off
	global_load_b64 v[48:49], v[52:53], off offset:-4096
	global_load_b64 v[52:53], v[52:53], off
	global_load_b64 v[56:57], v[60:61], off offset:-4096
	global_load_b64 v[60:61], v[60:61], off
	global_load_b64 v[54:55], v[54:55], off offset:2048
	global_load_b64 v[58:59], v[58:59], off offset:2048
	;; [unrolled: 1-line block ×4, first 2 shown]
	global_load_b64 v[50:51], v[50:51], off offset:-4096
	global_load_b64 v[66:67], v[66:67], off
	v_add_co_u32 v36, vcc_lo, 0x7800, v36
	v_add_co_ci_u32_e32 v37, vcc_lo, 0, v37, vcc_lo
	s_mov_b32 s10, -1
	s_cbranch_execz .LBB1229_610
; %bb.608:                              ;   in Loop: Header=BB1229_606 Depth=2
                                        ; implicit-def: $vgpr32_vgpr33
                                        ; implicit-def: $vgpr30_vgpr31
                                        ; implicit-def: $vgpr28_vgpr29
                                        ; implicit-def: $vgpr26_vgpr27
                                        ; implicit-def: $vgpr24_vgpr25
                                        ; implicit-def: $vgpr22_vgpr23
                                        ; implicit-def: $vgpr20_vgpr21
                                        ; implicit-def: $vgpr18_vgpr19
                                        ; implicit-def: $vgpr16_vgpr17
                                        ; implicit-def: $vgpr14_vgpr15
                                        ; implicit-def: $vgpr12_vgpr13
                                        ; implicit-def: $vgpr10_vgpr11
                                        ; implicit-def: $vgpr8_vgpr9
                                        ; implicit-def: $vgpr6_vgpr7
                                        ; implicit-def: $vgpr4_vgpr5
                                        ; implicit-def: $vgpr34_vgpr35
	v_mov_b32_e32 v2, s1
	s_and_saveexec_b32 s8, s10
	s_cbranch_execnz .LBB1229_629
	s_branch .LBB1229_630
.LBB1229_609:                           ;   in Loop: Header=BB1229_606 Depth=2
	s_mov_b32 s10, 0
                                        ; implicit-def: $sgpr11
                                        ; implicit-def: $vgpr38_vgpr39
                                        ; implicit-def: $vgpr40_vgpr41
                                        ; implicit-def: $vgpr50_vgpr51
                                        ; implicit-def: $vgpr42_vgpr43
                                        ; implicit-def: $vgpr46_vgpr47
                                        ; implicit-def: $vgpr44_vgpr45
                                        ; implicit-def: $vgpr48_vgpr49
                                        ; implicit-def: $vgpr54_vgpr55
                                        ; implicit-def: $vgpr52_vgpr53
                                        ; implicit-def: $vgpr58_vgpr59
                                        ; implicit-def: $vgpr56_vgpr57
                                        ; implicit-def: $vgpr62_vgpr63
                                        ; implicit-def: $vgpr60_vgpr61
                                        ; implicit-def: $vgpr64_vgpr65
                                        ; implicit-def: $vgpr66_vgpr67
                                        ; implicit-def: $vgpr36_vgpr37
.LBB1229_610:                           ;   in Loop: Header=BB1229_606 Depth=2
	s_lshl_b64 s[8:9], s[36:37], 3
	s_mov_b32 s11, exec_lo
	s_add_u32 s8, s44, s8
	s_addc_u32 s9, s45, s9
	v_cmpx_gt_u32_e64 s1, v1
	s_cbranch_execz .LBB1229_662
; %bb.611:                              ;   in Loop: Header=BB1229_606 Depth=2
	global_load_b64 v[32:33], v124, s[8:9]
	s_or_b32 exec_lo, exec_lo, s11
	s_delay_alu instid0(SALU_CYCLE_1)
	s_mov_b32 s11, exec_lo
	v_cmpx_gt_u32_e64 s1, v77
	s_cbranch_execnz .LBB1229_663
.LBB1229_612:                           ;   in Loop: Header=BB1229_606 Depth=2
	s_or_b32 exec_lo, exec_lo, s11
	s_delay_alu instid0(SALU_CYCLE_1)
	s_mov_b32 s11, exec_lo
	v_cmpx_gt_u32_e64 s1, v78
	s_cbranch_execz .LBB1229_664
.LBB1229_613:                           ;   in Loop: Header=BB1229_606 Depth=2
	global_load_b64 v[28:29], v125, s[8:9]
	s_or_b32 exec_lo, exec_lo, s11
	s_delay_alu instid0(SALU_CYCLE_1)
	s_mov_b32 s11, exec_lo
	v_cmpx_gt_u32_e64 s1, v79
	s_cbranch_execnz .LBB1229_665
.LBB1229_614:                           ;   in Loop: Header=BB1229_606 Depth=2
	s_or_b32 exec_lo, exec_lo, s11
	s_delay_alu instid0(SALU_CYCLE_1)
	s_mov_b32 s11, exec_lo
	v_cmpx_gt_u32_e64 s1, v83
	s_cbranch_execz .LBB1229_666
.LBB1229_615:                           ;   in Loop: Header=BB1229_606 Depth=2
	global_load_b64 v[24:25], v127, s[8:9]
	s_or_b32 exec_lo, exec_lo, s11
	s_delay_alu instid0(SALU_CYCLE_1)
	s_mov_b32 s11, exec_lo
	v_cmpx_gt_u32_e64 s1, v84
	s_cbranch_execnz .LBB1229_667
.LBB1229_616:                           ;   in Loop: Header=BB1229_606 Depth=2
	s_or_b32 exec_lo, exec_lo, s11
	s_delay_alu instid0(SALU_CYCLE_1)
	s_mov_b32 s11, exec_lo
	v_cmpx_gt_u32_e64 s1, v85
	s_cbranch_execz .LBB1229_668
.LBB1229_617:                           ;   in Loop: Header=BB1229_606 Depth=2
	global_load_b64 v[20:21], v129, s[8:9]
	s_or_b32 exec_lo, exec_lo, s11
	s_delay_alu instid0(SALU_CYCLE_1)
	s_mov_b32 s11, exec_lo
	v_cmpx_gt_u32_e64 s1, v86
	s_cbranch_execnz .LBB1229_669
.LBB1229_618:                           ;   in Loop: Header=BB1229_606 Depth=2
	s_or_b32 exec_lo, exec_lo, s11
	s_delay_alu instid0(SALU_CYCLE_1)
	s_mov_b32 s11, exec_lo
	v_cmpx_gt_u32_e64 s1, v87
	s_cbranch_execz .LBB1229_670
.LBB1229_619:                           ;   in Loop: Header=BB1229_606 Depth=2
	global_load_b64 v[16:17], v131, s[8:9]
	s_or_b32 exec_lo, exec_lo, s11
	s_delay_alu instid0(SALU_CYCLE_1)
	s_mov_b32 s11, exec_lo
	v_cmpx_gt_u32_e64 s1, v88
	s_cbranch_execnz .LBB1229_671
.LBB1229_620:                           ;   in Loop: Header=BB1229_606 Depth=2
	s_or_b32 exec_lo, exec_lo, s11
	s_delay_alu instid0(SALU_CYCLE_1)
	s_mov_b32 s11, exec_lo
	v_cmpx_gt_u32_e64 s1, v89
	s_cbranch_execz .LBB1229_672
.LBB1229_621:                           ;   in Loop: Header=BB1229_606 Depth=2
	global_load_b64 v[12:13], v133, s[8:9]
	s_or_b32 exec_lo, exec_lo, s11
	s_delay_alu instid0(SALU_CYCLE_1)
	s_mov_b32 s11, exec_lo
	v_cmpx_gt_u32_e64 s1, v90
	s_cbranch_execnz .LBB1229_673
.LBB1229_622:                           ;   in Loop: Header=BB1229_606 Depth=2
	s_or_b32 exec_lo, exec_lo, s11
	s_delay_alu instid0(SALU_CYCLE_1)
	s_mov_b32 s11, exec_lo
	v_cmpx_gt_u32_e64 s1, v91
	s_cbranch_execz .LBB1229_674
.LBB1229_623:                           ;   in Loop: Header=BB1229_606 Depth=2
	global_load_b64 v[8:9], v135, s[8:9]
	s_or_b32 exec_lo, exec_lo, s11
	s_delay_alu instid0(SALU_CYCLE_1)
	s_mov_b32 s11, exec_lo
	v_cmpx_gt_u32_e64 s1, v92
	s_cbranch_execnz .LBB1229_675
.LBB1229_624:                           ;   in Loop: Header=BB1229_606 Depth=2
	s_or_b32 exec_lo, exec_lo, s11
	s_delay_alu instid0(SALU_CYCLE_1)
	s_mov_b32 s11, exec_lo
	v_cmpx_gt_u32_e64 s1, v93
	s_cbranch_execz .LBB1229_626
.LBB1229_625:                           ;   in Loop: Header=BB1229_606 Depth=2
	v_lshlrev_b32_e32 v2, 3, v93
	global_load_b64 v[4:5], v2, s[8:9]
.LBB1229_626:                           ;   in Loop: Header=BB1229_606 Depth=2
	s_or_b32 exec_lo, exec_lo, s11
	s_delay_alu instid0(SALU_CYCLE_1)
	s_mov_b32 s12, exec_lo
                                        ; implicit-def: $sgpr11
                                        ; implicit-def: $vgpr36_vgpr37
	v_cmpx_gt_u32_e64 s1, v95
; %bb.627:                              ;   in Loop: Header=BB1229_606 Depth=2
	v_lshlrev_b32_e32 v2, 3, v95
	s_sub_i32 s11, s35, s36
	s_or_b32 s10, s10, exec_lo
                                        ; implicit-def: $vgpr34_vgpr35
	s_delay_alu instid0(VALU_DEP_1) | instskip(NEXT) | instid1(VALU_DEP_1)
	v_add_co_u32 v36, s8, s8, v2
	v_add_co_ci_u32_e64 v37, null, s9, 0, s8
; %bb.628:                              ;   in Loop: Header=BB1229_606 Depth=2
	s_or_b32 exec_lo, exec_lo, s12
	s_waitcnt vmcnt(0)
	v_dual_mov_b32 v39, v33 :: v_dual_mov_b32 v38, v32
	v_dual_mov_b32 v41, v31 :: v_dual_mov_b32 v40, v30
	v_dual_mov_b32 v51, v29 :: v_dual_mov_b32 v50, v28
	v_dual_mov_b32 v43, v27 :: v_dual_mov_b32 v42, v26
	v_dual_mov_b32 v47, v25 :: v_dual_mov_b32 v46, v24
	v_dual_mov_b32 v45, v23 :: v_dual_mov_b32 v44, v22
	v_dual_mov_b32 v49, v21 :: v_dual_mov_b32 v48, v20
	v_dual_mov_b32 v55, v19 :: v_dual_mov_b32 v54, v18
	v_dual_mov_b32 v53, v17 :: v_dual_mov_b32 v52, v16
	v_dual_mov_b32 v59, v15 :: v_dual_mov_b32 v58, v14
	v_dual_mov_b32 v57, v13 :: v_dual_mov_b32 v56, v12
	v_dual_mov_b32 v63, v11 :: v_dual_mov_b32 v62, v10
	v_dual_mov_b32 v61, v9 :: v_dual_mov_b32 v60, v8
	v_dual_mov_b32 v65, v7 :: v_dual_mov_b32 v64, v6
	v_dual_mov_b32 v67, v5 :: v_dual_mov_b32 v66, v4
	v_mov_b32_e32 v2, s1
	s_and_saveexec_b32 s8, s10
	s_cbranch_execz .LBB1229_630
.LBB1229_629:                           ;   in Loop: Header=BB1229_606 Depth=2
	global_load_b64 v[34:35], v[36:37], off
	s_waitcnt vmcnt(1)
	v_mov_b32_e32 v4, v66
	v_mov_b32_e32 v6, v64
	;; [unrolled: 1-line block ×14, first 2 shown]
	v_dual_mov_b32 v32, v38 :: v_dual_mov_b32 v33, v39
	v_dual_mov_b32 v2, s11 :: v_dual_mov_b32 v5, v67
	v_mov_b32_e32 v7, v65
	v_mov_b32_e32 v9, v61
	;; [unrolled: 1-line block ×13, first 2 shown]
.LBB1229_630:                           ;   in Loop: Header=BB1229_606 Depth=2
	s_or_b32 exec_lo, exec_lo, s8
	s_delay_alu instid0(SALU_CYCLE_1)
	s_mov_b32 s8, exec_lo
	v_cmpx_lt_u32_e64 v1, v2
	s_cbranch_execz .LBB1229_646
; %bb.631:                              ;   in Loop: Header=BB1229_606 Depth=2
	v_cmp_lt_i64_e32 vcc_lo, -1, v[32:33]
	s_waitcnt vmcnt(14)
	v_ashrrev_i32_e32 v38, 31, v33
	v_cndmask_b32_e64 v36, -1, 0x80000000, vcc_lo
	s_delay_alu instid0(VALU_DEP_1) | instskip(NEXT) | instid1(VALU_DEP_3)
	v_xor_b32_e32 v37, v36, v33
	v_xor_b32_e32 v36, v38, v32
	s_delay_alu instid0(VALU_DEP_1) | instskip(SKIP_2) | instid1(VALU_DEP_1)
	v_cmp_ne_u64_e32 vcc_lo, s[40:41], v[36:37]
	v_cndmask_b32_e32 v37, 0x80000000, v37, vcc_lo
	v_cndmask_b32_e32 v36, 0, v36, vcc_lo
	v_lshrrev_b64 v[36:37], s42, v[36:37]
	v_lshlrev_b32_e32 v37, 2, v80
	s_delay_alu instid0(VALU_DEP_2) | instskip(NEXT) | instid1(VALU_DEP_1)
	v_and_b32_e32 v36, s50, v36
	v_lshl_or_b32 v36, v36, 4, v37
	ds_add_u32 v36, v123
	s_or_b32 exec_lo, exec_lo, s8
	s_delay_alu instid0(SALU_CYCLE_1)
	s_mov_b32 s8, exec_lo
	v_cmpx_lt_u32_e64 v77, v2
	s_cbranch_execnz .LBB1229_647
.LBB1229_632:                           ;   in Loop: Header=BB1229_606 Depth=2
	s_or_b32 exec_lo, exec_lo, s8
	s_delay_alu instid0(SALU_CYCLE_1)
	s_mov_b32 s8, exec_lo
	v_cmpx_lt_u32_e64 v78, v2
	s_cbranch_execz .LBB1229_648
.LBB1229_633:                           ;   in Loop: Header=BB1229_606 Depth=2
	v_cmp_lt_i64_e32 vcc_lo, -1, v[28:29]
	s_waitcnt vmcnt(14)
	v_ashrrev_i32_e32 v38, 31, v29
	v_cndmask_b32_e64 v36, -1, 0x80000000, vcc_lo
	s_delay_alu instid0(VALU_DEP_1) | instskip(NEXT) | instid1(VALU_DEP_3)
	v_xor_b32_e32 v37, v36, v29
	v_xor_b32_e32 v36, v38, v28
	s_delay_alu instid0(VALU_DEP_1) | instskip(SKIP_2) | instid1(VALU_DEP_1)
	v_cmp_ne_u64_e32 vcc_lo, s[40:41], v[36:37]
	v_cndmask_b32_e32 v37, 0x80000000, v37, vcc_lo
	v_cndmask_b32_e32 v36, 0, v36, vcc_lo
	v_lshrrev_b64 v[36:37], s42, v[36:37]
	v_lshlrev_b32_e32 v37, 2, v80
	s_delay_alu instid0(VALU_DEP_2) | instskip(NEXT) | instid1(VALU_DEP_1)
	v_and_b32_e32 v36, s50, v36
	v_lshl_or_b32 v36, v36, 4, v37
	ds_add_u32 v36, v123
	s_or_b32 exec_lo, exec_lo, s8
	s_delay_alu instid0(SALU_CYCLE_1)
	s_mov_b32 s8, exec_lo
	v_cmpx_lt_u32_e64 v79, v2
	s_cbranch_execnz .LBB1229_649
.LBB1229_634:                           ;   in Loop: Header=BB1229_606 Depth=2
	s_or_b32 exec_lo, exec_lo, s8
	s_delay_alu instid0(SALU_CYCLE_1)
	s_mov_b32 s8, exec_lo
	v_cmpx_lt_u32_e64 v83, v2
	s_cbranch_execz .LBB1229_650
.LBB1229_635:                           ;   in Loop: Header=BB1229_606 Depth=2
	v_cmp_lt_i64_e32 vcc_lo, -1, v[24:25]
	s_waitcnt vmcnt(14)
	v_ashrrev_i32_e32 v38, 31, v25
	v_cndmask_b32_e64 v36, -1, 0x80000000, vcc_lo
	s_delay_alu instid0(VALU_DEP_1) | instskip(NEXT) | instid1(VALU_DEP_3)
	v_xor_b32_e32 v37, v36, v25
	v_xor_b32_e32 v36, v38, v24
	s_delay_alu instid0(VALU_DEP_1) | instskip(SKIP_2) | instid1(VALU_DEP_1)
	v_cmp_ne_u64_e32 vcc_lo, s[40:41], v[36:37]
	v_cndmask_b32_e32 v37, 0x80000000, v37, vcc_lo
	v_cndmask_b32_e32 v36, 0, v36, vcc_lo
	v_lshrrev_b64 v[36:37], s42, v[36:37]
	v_lshlrev_b32_e32 v37, 2, v80
	s_delay_alu instid0(VALU_DEP_2) | instskip(NEXT) | instid1(VALU_DEP_1)
	v_and_b32_e32 v36, s50, v36
	v_lshl_or_b32 v36, v36, 4, v37
	ds_add_u32 v36, v123
	s_or_b32 exec_lo, exec_lo, s8
	s_delay_alu instid0(SALU_CYCLE_1)
	s_mov_b32 s8, exec_lo
	v_cmpx_lt_u32_e64 v84, v2
	s_cbranch_execnz .LBB1229_651
.LBB1229_636:                           ;   in Loop: Header=BB1229_606 Depth=2
	s_or_b32 exec_lo, exec_lo, s8
	s_delay_alu instid0(SALU_CYCLE_1)
	s_mov_b32 s8, exec_lo
	v_cmpx_lt_u32_e64 v85, v2
	s_cbranch_execz .LBB1229_652
.LBB1229_637:                           ;   in Loop: Header=BB1229_606 Depth=2
	v_cmp_lt_i64_e32 vcc_lo, -1, v[20:21]
	s_waitcnt vmcnt(14)
	v_ashrrev_i32_e32 v38, 31, v21
	v_cndmask_b32_e64 v36, -1, 0x80000000, vcc_lo
	s_delay_alu instid0(VALU_DEP_1) | instskip(NEXT) | instid1(VALU_DEP_3)
	v_xor_b32_e32 v37, v36, v21
	v_xor_b32_e32 v36, v38, v20
	s_delay_alu instid0(VALU_DEP_1) | instskip(SKIP_2) | instid1(VALU_DEP_1)
	v_cmp_ne_u64_e32 vcc_lo, s[40:41], v[36:37]
	v_cndmask_b32_e32 v37, 0x80000000, v37, vcc_lo
	v_cndmask_b32_e32 v36, 0, v36, vcc_lo
	v_lshrrev_b64 v[36:37], s42, v[36:37]
	v_lshlrev_b32_e32 v37, 2, v80
	s_delay_alu instid0(VALU_DEP_2) | instskip(NEXT) | instid1(VALU_DEP_1)
	v_and_b32_e32 v36, s50, v36
	v_lshl_or_b32 v36, v36, 4, v37
	ds_add_u32 v36, v123
	s_or_b32 exec_lo, exec_lo, s8
	s_delay_alu instid0(SALU_CYCLE_1)
	s_mov_b32 s8, exec_lo
	v_cmpx_lt_u32_e64 v86, v2
	s_cbranch_execnz .LBB1229_653
.LBB1229_638:                           ;   in Loop: Header=BB1229_606 Depth=2
	s_or_b32 exec_lo, exec_lo, s8
	s_delay_alu instid0(SALU_CYCLE_1)
	s_mov_b32 s8, exec_lo
	v_cmpx_lt_u32_e64 v87, v2
	s_cbranch_execz .LBB1229_654
.LBB1229_639:                           ;   in Loop: Header=BB1229_606 Depth=2
	v_cmp_lt_i64_e32 vcc_lo, -1, v[16:17]
	s_waitcnt vmcnt(14)
	v_ashrrev_i32_e32 v38, 31, v17
	v_cndmask_b32_e64 v36, -1, 0x80000000, vcc_lo
	s_delay_alu instid0(VALU_DEP_1) | instskip(NEXT) | instid1(VALU_DEP_3)
	v_xor_b32_e32 v37, v36, v17
	v_xor_b32_e32 v36, v38, v16
	s_delay_alu instid0(VALU_DEP_1) | instskip(SKIP_2) | instid1(VALU_DEP_1)
	v_cmp_ne_u64_e32 vcc_lo, s[40:41], v[36:37]
	v_cndmask_b32_e32 v37, 0x80000000, v37, vcc_lo
	v_cndmask_b32_e32 v36, 0, v36, vcc_lo
	v_lshrrev_b64 v[36:37], s42, v[36:37]
	v_lshlrev_b32_e32 v37, 2, v80
	s_delay_alu instid0(VALU_DEP_2) | instskip(NEXT) | instid1(VALU_DEP_1)
	v_and_b32_e32 v36, s50, v36
	v_lshl_or_b32 v36, v36, 4, v37
	ds_add_u32 v36, v123
	s_or_b32 exec_lo, exec_lo, s8
	s_delay_alu instid0(SALU_CYCLE_1)
	s_mov_b32 s8, exec_lo
	v_cmpx_lt_u32_e64 v88, v2
	s_cbranch_execnz .LBB1229_655
.LBB1229_640:                           ;   in Loop: Header=BB1229_606 Depth=2
	s_or_b32 exec_lo, exec_lo, s8
	s_delay_alu instid0(SALU_CYCLE_1)
	s_mov_b32 s8, exec_lo
	v_cmpx_lt_u32_e64 v89, v2
	s_cbranch_execz .LBB1229_656
.LBB1229_641:                           ;   in Loop: Header=BB1229_606 Depth=2
	v_cmp_lt_i64_e32 vcc_lo, -1, v[12:13]
	s_waitcnt vmcnt(14)
	v_ashrrev_i32_e32 v38, 31, v13
	v_cndmask_b32_e64 v36, -1, 0x80000000, vcc_lo
	s_delay_alu instid0(VALU_DEP_1) | instskip(NEXT) | instid1(VALU_DEP_3)
	v_xor_b32_e32 v37, v36, v13
	v_xor_b32_e32 v36, v38, v12
	s_delay_alu instid0(VALU_DEP_1) | instskip(SKIP_2) | instid1(VALU_DEP_1)
	v_cmp_ne_u64_e32 vcc_lo, s[40:41], v[36:37]
	v_cndmask_b32_e32 v37, 0x80000000, v37, vcc_lo
	v_cndmask_b32_e32 v36, 0, v36, vcc_lo
	v_lshrrev_b64 v[36:37], s42, v[36:37]
	v_lshlrev_b32_e32 v37, 2, v80
	s_delay_alu instid0(VALU_DEP_2) | instskip(NEXT) | instid1(VALU_DEP_1)
	v_and_b32_e32 v36, s50, v36
	v_lshl_or_b32 v36, v36, 4, v37
	ds_add_u32 v36, v123
	s_or_b32 exec_lo, exec_lo, s8
	s_delay_alu instid0(SALU_CYCLE_1)
	s_mov_b32 s8, exec_lo
	v_cmpx_lt_u32_e64 v90, v2
	s_cbranch_execnz .LBB1229_657
.LBB1229_642:                           ;   in Loop: Header=BB1229_606 Depth=2
	s_or_b32 exec_lo, exec_lo, s8
	s_delay_alu instid0(SALU_CYCLE_1)
	s_mov_b32 s8, exec_lo
	v_cmpx_lt_u32_e64 v91, v2
	s_cbranch_execz .LBB1229_658
.LBB1229_643:                           ;   in Loop: Header=BB1229_606 Depth=2
	v_cmp_lt_i64_e32 vcc_lo, -1, v[8:9]
	s_waitcnt vmcnt(14)
	v_ashrrev_i32_e32 v38, 31, v9
	v_cndmask_b32_e64 v36, -1, 0x80000000, vcc_lo
	s_delay_alu instid0(VALU_DEP_1) | instskip(NEXT) | instid1(VALU_DEP_3)
	v_xor_b32_e32 v37, v36, v9
	v_xor_b32_e32 v36, v38, v8
	s_delay_alu instid0(VALU_DEP_1) | instskip(SKIP_2) | instid1(VALU_DEP_1)
	v_cmp_ne_u64_e32 vcc_lo, s[40:41], v[36:37]
	v_cndmask_b32_e32 v37, 0x80000000, v37, vcc_lo
	v_cndmask_b32_e32 v36, 0, v36, vcc_lo
	v_lshrrev_b64 v[36:37], s42, v[36:37]
	v_lshlrev_b32_e32 v37, 2, v80
	s_delay_alu instid0(VALU_DEP_2) | instskip(NEXT) | instid1(VALU_DEP_1)
	v_and_b32_e32 v36, s50, v36
	v_lshl_or_b32 v36, v36, 4, v37
	ds_add_u32 v36, v123
	s_or_b32 exec_lo, exec_lo, s8
	s_delay_alu instid0(SALU_CYCLE_1)
	s_mov_b32 s8, exec_lo
	v_cmpx_lt_u32_e64 v92, v2
	s_cbranch_execnz .LBB1229_659
.LBB1229_644:                           ;   in Loop: Header=BB1229_606 Depth=2
	s_or_b32 exec_lo, exec_lo, s8
	s_delay_alu instid0(SALU_CYCLE_1)
	s_mov_b32 s8, exec_lo
	v_cmpx_lt_u32_e64 v93, v2
	s_cbranch_execz .LBB1229_660
.LBB1229_645:                           ;   in Loop: Header=BB1229_606 Depth=2
	v_cmp_lt_i64_e32 vcc_lo, -1, v[4:5]
	s_waitcnt vmcnt(14)
	v_ashrrev_i32_e32 v38, 31, v5
	v_cndmask_b32_e64 v36, -1, 0x80000000, vcc_lo
	s_delay_alu instid0(VALU_DEP_1) | instskip(NEXT) | instid1(VALU_DEP_3)
	v_xor_b32_e32 v37, v36, v5
	v_xor_b32_e32 v36, v38, v4
	s_delay_alu instid0(VALU_DEP_1) | instskip(SKIP_2) | instid1(VALU_DEP_1)
	v_cmp_ne_u64_e32 vcc_lo, s[40:41], v[36:37]
	v_cndmask_b32_e32 v37, 0x80000000, v37, vcc_lo
	v_cndmask_b32_e32 v36, 0, v36, vcc_lo
	v_lshrrev_b64 v[36:37], s42, v[36:37]
	v_lshlrev_b32_e32 v37, 2, v80
	s_delay_alu instid0(VALU_DEP_2) | instskip(NEXT) | instid1(VALU_DEP_1)
	v_and_b32_e32 v36, s50, v36
	v_lshl_or_b32 v36, v36, 4, v37
	ds_add_u32 v36, v123
	s_or_b32 exec_lo, exec_lo, s8
	s_delay_alu instid0(SALU_CYCLE_1)
	s_mov_b32 s8, exec_lo
	v_cmpx_lt_u32_e64 v95, v2
	s_cbranch_execz .LBB1229_605
	s_branch .LBB1229_661
.LBB1229_646:                           ;   in Loop: Header=BB1229_606 Depth=2
	s_or_b32 exec_lo, exec_lo, s8
	s_delay_alu instid0(SALU_CYCLE_1)
	s_mov_b32 s8, exec_lo
	v_cmpx_lt_u32_e64 v77, v2
	s_cbranch_execz .LBB1229_632
.LBB1229_647:                           ;   in Loop: Header=BB1229_606 Depth=2
	v_cmp_lt_i64_e32 vcc_lo, -1, v[30:31]
	s_waitcnt vmcnt(14)
	v_ashrrev_i32_e32 v38, 31, v31
	v_cndmask_b32_e64 v36, -1, 0x80000000, vcc_lo
	s_delay_alu instid0(VALU_DEP_1) | instskip(NEXT) | instid1(VALU_DEP_3)
	v_xor_b32_e32 v37, v36, v31
	v_xor_b32_e32 v36, v38, v30
	s_delay_alu instid0(VALU_DEP_1) | instskip(SKIP_2) | instid1(VALU_DEP_1)
	v_cmp_ne_u64_e32 vcc_lo, s[40:41], v[36:37]
	v_cndmask_b32_e32 v37, 0x80000000, v37, vcc_lo
	v_cndmask_b32_e32 v36, 0, v36, vcc_lo
	v_lshrrev_b64 v[36:37], s42, v[36:37]
	v_lshlrev_b32_e32 v37, 2, v80
	s_delay_alu instid0(VALU_DEP_2) | instskip(NEXT) | instid1(VALU_DEP_1)
	v_and_b32_e32 v36, s50, v36
	v_lshl_or_b32 v36, v36, 4, v37
	ds_add_u32 v36, v123
	s_or_b32 exec_lo, exec_lo, s8
	s_delay_alu instid0(SALU_CYCLE_1)
	s_mov_b32 s8, exec_lo
	v_cmpx_lt_u32_e64 v78, v2
	s_cbranch_execnz .LBB1229_633
.LBB1229_648:                           ;   in Loop: Header=BB1229_606 Depth=2
	s_or_b32 exec_lo, exec_lo, s8
	s_delay_alu instid0(SALU_CYCLE_1)
	s_mov_b32 s8, exec_lo
	v_cmpx_lt_u32_e64 v79, v2
	s_cbranch_execz .LBB1229_634
.LBB1229_649:                           ;   in Loop: Header=BB1229_606 Depth=2
	v_cmp_lt_i64_e32 vcc_lo, -1, v[26:27]
	s_waitcnt vmcnt(14)
	v_ashrrev_i32_e32 v38, 31, v27
	v_cndmask_b32_e64 v36, -1, 0x80000000, vcc_lo
	s_delay_alu instid0(VALU_DEP_1) | instskip(NEXT) | instid1(VALU_DEP_3)
	v_xor_b32_e32 v37, v36, v27
	v_xor_b32_e32 v36, v38, v26
	s_delay_alu instid0(VALU_DEP_1) | instskip(SKIP_2) | instid1(VALU_DEP_1)
	v_cmp_ne_u64_e32 vcc_lo, s[40:41], v[36:37]
	v_cndmask_b32_e32 v37, 0x80000000, v37, vcc_lo
	v_cndmask_b32_e32 v36, 0, v36, vcc_lo
	v_lshrrev_b64 v[36:37], s42, v[36:37]
	v_lshlrev_b32_e32 v37, 2, v80
	s_delay_alu instid0(VALU_DEP_2) | instskip(NEXT) | instid1(VALU_DEP_1)
	v_and_b32_e32 v36, s50, v36
	v_lshl_or_b32 v36, v36, 4, v37
	ds_add_u32 v36, v123
	s_or_b32 exec_lo, exec_lo, s8
	s_delay_alu instid0(SALU_CYCLE_1)
	s_mov_b32 s8, exec_lo
	v_cmpx_lt_u32_e64 v83, v2
	s_cbranch_execnz .LBB1229_635
.LBB1229_650:                           ;   in Loop: Header=BB1229_606 Depth=2
	s_or_b32 exec_lo, exec_lo, s8
	s_delay_alu instid0(SALU_CYCLE_1)
	s_mov_b32 s8, exec_lo
	v_cmpx_lt_u32_e64 v84, v2
	s_cbranch_execz .LBB1229_636
.LBB1229_651:                           ;   in Loop: Header=BB1229_606 Depth=2
	v_cmp_lt_i64_e32 vcc_lo, -1, v[22:23]
	s_waitcnt vmcnt(14)
	v_ashrrev_i32_e32 v38, 31, v23
	v_cndmask_b32_e64 v36, -1, 0x80000000, vcc_lo
	s_delay_alu instid0(VALU_DEP_1) | instskip(NEXT) | instid1(VALU_DEP_3)
	v_xor_b32_e32 v37, v36, v23
	v_xor_b32_e32 v36, v38, v22
	s_delay_alu instid0(VALU_DEP_1) | instskip(SKIP_2) | instid1(VALU_DEP_1)
	v_cmp_ne_u64_e32 vcc_lo, s[40:41], v[36:37]
	v_cndmask_b32_e32 v37, 0x80000000, v37, vcc_lo
	v_cndmask_b32_e32 v36, 0, v36, vcc_lo
	v_lshrrev_b64 v[36:37], s42, v[36:37]
	v_lshlrev_b32_e32 v37, 2, v80
	s_delay_alu instid0(VALU_DEP_2) | instskip(NEXT) | instid1(VALU_DEP_1)
	v_and_b32_e32 v36, s50, v36
	v_lshl_or_b32 v36, v36, 4, v37
	ds_add_u32 v36, v123
	s_or_b32 exec_lo, exec_lo, s8
	s_delay_alu instid0(SALU_CYCLE_1)
	s_mov_b32 s8, exec_lo
	v_cmpx_lt_u32_e64 v85, v2
	s_cbranch_execnz .LBB1229_637
.LBB1229_652:                           ;   in Loop: Header=BB1229_606 Depth=2
	s_or_b32 exec_lo, exec_lo, s8
	s_delay_alu instid0(SALU_CYCLE_1)
	s_mov_b32 s8, exec_lo
	v_cmpx_lt_u32_e64 v86, v2
	s_cbranch_execz .LBB1229_638
.LBB1229_653:                           ;   in Loop: Header=BB1229_606 Depth=2
	v_cmp_lt_i64_e32 vcc_lo, -1, v[18:19]
	s_waitcnt vmcnt(14)
	v_ashrrev_i32_e32 v38, 31, v19
	v_cndmask_b32_e64 v36, -1, 0x80000000, vcc_lo
	s_delay_alu instid0(VALU_DEP_1) | instskip(NEXT) | instid1(VALU_DEP_3)
	v_xor_b32_e32 v37, v36, v19
	v_xor_b32_e32 v36, v38, v18
	s_delay_alu instid0(VALU_DEP_1) | instskip(SKIP_2) | instid1(VALU_DEP_1)
	v_cmp_ne_u64_e32 vcc_lo, s[40:41], v[36:37]
	v_cndmask_b32_e32 v37, 0x80000000, v37, vcc_lo
	v_cndmask_b32_e32 v36, 0, v36, vcc_lo
	v_lshrrev_b64 v[36:37], s42, v[36:37]
	v_lshlrev_b32_e32 v37, 2, v80
	s_delay_alu instid0(VALU_DEP_2) | instskip(NEXT) | instid1(VALU_DEP_1)
	v_and_b32_e32 v36, s50, v36
	v_lshl_or_b32 v36, v36, 4, v37
	ds_add_u32 v36, v123
	s_or_b32 exec_lo, exec_lo, s8
	s_delay_alu instid0(SALU_CYCLE_1)
	s_mov_b32 s8, exec_lo
	v_cmpx_lt_u32_e64 v87, v2
	s_cbranch_execnz .LBB1229_639
.LBB1229_654:                           ;   in Loop: Header=BB1229_606 Depth=2
	s_or_b32 exec_lo, exec_lo, s8
	s_delay_alu instid0(SALU_CYCLE_1)
	s_mov_b32 s8, exec_lo
	v_cmpx_lt_u32_e64 v88, v2
	s_cbranch_execz .LBB1229_640
.LBB1229_655:                           ;   in Loop: Header=BB1229_606 Depth=2
	v_cmp_lt_i64_e32 vcc_lo, -1, v[14:15]
	s_waitcnt vmcnt(14)
	v_ashrrev_i32_e32 v38, 31, v15
	v_cndmask_b32_e64 v36, -1, 0x80000000, vcc_lo
	s_delay_alu instid0(VALU_DEP_1) | instskip(NEXT) | instid1(VALU_DEP_3)
	v_xor_b32_e32 v37, v36, v15
	v_xor_b32_e32 v36, v38, v14
	s_delay_alu instid0(VALU_DEP_1) | instskip(SKIP_2) | instid1(VALU_DEP_1)
	v_cmp_ne_u64_e32 vcc_lo, s[40:41], v[36:37]
	v_cndmask_b32_e32 v37, 0x80000000, v37, vcc_lo
	v_cndmask_b32_e32 v36, 0, v36, vcc_lo
	v_lshrrev_b64 v[36:37], s42, v[36:37]
	v_lshlrev_b32_e32 v37, 2, v80
	s_delay_alu instid0(VALU_DEP_2) | instskip(NEXT) | instid1(VALU_DEP_1)
	v_and_b32_e32 v36, s50, v36
	v_lshl_or_b32 v36, v36, 4, v37
	ds_add_u32 v36, v123
	s_or_b32 exec_lo, exec_lo, s8
	s_delay_alu instid0(SALU_CYCLE_1)
	s_mov_b32 s8, exec_lo
	v_cmpx_lt_u32_e64 v89, v2
	s_cbranch_execnz .LBB1229_641
.LBB1229_656:                           ;   in Loop: Header=BB1229_606 Depth=2
	s_or_b32 exec_lo, exec_lo, s8
	s_delay_alu instid0(SALU_CYCLE_1)
	s_mov_b32 s8, exec_lo
	v_cmpx_lt_u32_e64 v90, v2
	s_cbranch_execz .LBB1229_642
.LBB1229_657:                           ;   in Loop: Header=BB1229_606 Depth=2
	v_cmp_lt_i64_e32 vcc_lo, -1, v[10:11]
	s_waitcnt vmcnt(14)
	v_ashrrev_i32_e32 v38, 31, v11
	v_cndmask_b32_e64 v36, -1, 0x80000000, vcc_lo
	s_delay_alu instid0(VALU_DEP_1) | instskip(NEXT) | instid1(VALU_DEP_3)
	v_xor_b32_e32 v37, v36, v11
	v_xor_b32_e32 v36, v38, v10
	s_delay_alu instid0(VALU_DEP_1) | instskip(SKIP_2) | instid1(VALU_DEP_1)
	v_cmp_ne_u64_e32 vcc_lo, s[40:41], v[36:37]
	v_cndmask_b32_e32 v37, 0x80000000, v37, vcc_lo
	v_cndmask_b32_e32 v36, 0, v36, vcc_lo
	v_lshrrev_b64 v[36:37], s42, v[36:37]
	v_lshlrev_b32_e32 v37, 2, v80
	s_delay_alu instid0(VALU_DEP_2) | instskip(NEXT) | instid1(VALU_DEP_1)
	v_and_b32_e32 v36, s50, v36
	v_lshl_or_b32 v36, v36, 4, v37
	ds_add_u32 v36, v123
	s_or_b32 exec_lo, exec_lo, s8
	s_delay_alu instid0(SALU_CYCLE_1)
	s_mov_b32 s8, exec_lo
	v_cmpx_lt_u32_e64 v91, v2
	s_cbranch_execnz .LBB1229_643
.LBB1229_658:                           ;   in Loop: Header=BB1229_606 Depth=2
	s_or_b32 exec_lo, exec_lo, s8
	s_delay_alu instid0(SALU_CYCLE_1)
	s_mov_b32 s8, exec_lo
	v_cmpx_lt_u32_e64 v92, v2
	s_cbranch_execz .LBB1229_644
.LBB1229_659:                           ;   in Loop: Header=BB1229_606 Depth=2
	v_cmp_lt_i64_e32 vcc_lo, -1, v[6:7]
	s_waitcnt vmcnt(14)
	v_ashrrev_i32_e32 v38, 31, v7
	v_cndmask_b32_e64 v36, -1, 0x80000000, vcc_lo
	s_delay_alu instid0(VALU_DEP_1) | instskip(NEXT) | instid1(VALU_DEP_3)
	v_xor_b32_e32 v37, v36, v7
	v_xor_b32_e32 v36, v38, v6
	s_delay_alu instid0(VALU_DEP_1) | instskip(SKIP_2) | instid1(VALU_DEP_1)
	v_cmp_ne_u64_e32 vcc_lo, s[40:41], v[36:37]
	v_cndmask_b32_e32 v37, 0x80000000, v37, vcc_lo
	v_cndmask_b32_e32 v36, 0, v36, vcc_lo
	v_lshrrev_b64 v[36:37], s42, v[36:37]
	v_lshlrev_b32_e32 v37, 2, v80
	s_delay_alu instid0(VALU_DEP_2) | instskip(NEXT) | instid1(VALU_DEP_1)
	v_and_b32_e32 v36, s50, v36
	v_lshl_or_b32 v36, v36, 4, v37
	ds_add_u32 v36, v123
	s_or_b32 exec_lo, exec_lo, s8
	s_delay_alu instid0(SALU_CYCLE_1)
	s_mov_b32 s8, exec_lo
	v_cmpx_lt_u32_e64 v93, v2
	s_cbranch_execnz .LBB1229_645
.LBB1229_660:                           ;   in Loop: Header=BB1229_606 Depth=2
	s_or_b32 exec_lo, exec_lo, s8
	s_delay_alu instid0(SALU_CYCLE_1)
	s_mov_b32 s8, exec_lo
	v_cmpx_lt_u32_e64 v95, v2
	s_cbranch_execz .LBB1229_605
.LBB1229_661:                           ;   in Loop: Header=BB1229_606 Depth=2
	s_waitcnt vmcnt(0)
	v_cmp_lt_i64_e32 vcc_lo, -1, v[34:35]
	v_ashrrev_i32_e32 v36, 31, v35
	s_delay_alu instid0(VALU_DEP_1) | instskip(SKIP_1) | instid1(VALU_DEP_1)
	v_xor_b32_e32 v36, v36, v34
	v_cndmask_b32_e64 v2, -1, 0x80000000, vcc_lo
	v_xor_b32_e32 v37, v2, v35
	s_delay_alu instid0(VALU_DEP_1) | instskip(SKIP_2) | instid1(VALU_DEP_1)
	v_cmp_ne_u64_e32 vcc_lo, s[40:41], v[36:37]
	v_cndmask_b32_e32 v37, 0x80000000, v37, vcc_lo
	v_cndmask_b32_e32 v36, 0, v36, vcc_lo
	v_lshrrev_b64 v[36:37], s42, v[36:37]
	s_delay_alu instid0(VALU_DEP_1) | instskip(SKIP_1) | instid1(VALU_DEP_1)
	v_and_b32_e32 v2, s50, v36
	v_lshlrev_b32_e32 v36, 2, v80
	v_lshl_or_b32 v2, v2, 4, v36
	ds_add_u32 v2, v123
	s_branch .LBB1229_605
.LBB1229_662:                           ;   in Loop: Header=BB1229_606 Depth=2
	s_or_b32 exec_lo, exec_lo, s11
	s_delay_alu instid0(SALU_CYCLE_1)
	s_mov_b32 s11, exec_lo
	v_cmpx_gt_u32_e64 s1, v77
	s_cbranch_execz .LBB1229_612
.LBB1229_663:                           ;   in Loop: Header=BB1229_606 Depth=2
	global_load_b64 v[30:31], v124, s[8:9] offset:2048
	s_or_b32 exec_lo, exec_lo, s11
	s_delay_alu instid0(SALU_CYCLE_1)
	s_mov_b32 s11, exec_lo
	v_cmpx_gt_u32_e64 s1, v78
	s_cbranch_execnz .LBB1229_613
.LBB1229_664:                           ;   in Loop: Header=BB1229_606 Depth=2
	s_or_b32 exec_lo, exec_lo, s11
	s_delay_alu instid0(SALU_CYCLE_1)
	s_mov_b32 s11, exec_lo
	v_cmpx_gt_u32_e64 s1, v79
	s_cbranch_execz .LBB1229_614
.LBB1229_665:                           ;   in Loop: Header=BB1229_606 Depth=2
	global_load_b64 v[26:27], v126, s[8:9]
	s_or_b32 exec_lo, exec_lo, s11
	s_delay_alu instid0(SALU_CYCLE_1)
	s_mov_b32 s11, exec_lo
	v_cmpx_gt_u32_e64 s1, v83
	s_cbranch_execnz .LBB1229_615
.LBB1229_666:                           ;   in Loop: Header=BB1229_606 Depth=2
	s_or_b32 exec_lo, exec_lo, s11
	s_delay_alu instid0(SALU_CYCLE_1)
	s_mov_b32 s11, exec_lo
	v_cmpx_gt_u32_e64 s1, v84
	s_cbranch_execz .LBB1229_616
.LBB1229_667:                           ;   in Loop: Header=BB1229_606 Depth=2
	global_load_b64 v[22:23], v128, s[8:9]
	s_or_b32 exec_lo, exec_lo, s11
	s_delay_alu instid0(SALU_CYCLE_1)
	s_mov_b32 s11, exec_lo
	v_cmpx_gt_u32_e64 s1, v85
	s_cbranch_execnz .LBB1229_617
.LBB1229_668:                           ;   in Loop: Header=BB1229_606 Depth=2
	s_or_b32 exec_lo, exec_lo, s11
	s_delay_alu instid0(SALU_CYCLE_1)
	s_mov_b32 s11, exec_lo
	v_cmpx_gt_u32_e64 s1, v86
	s_cbranch_execz .LBB1229_618
.LBB1229_669:                           ;   in Loop: Header=BB1229_606 Depth=2
	global_load_b64 v[18:19], v130, s[8:9]
	s_or_b32 exec_lo, exec_lo, s11
	s_delay_alu instid0(SALU_CYCLE_1)
	s_mov_b32 s11, exec_lo
	v_cmpx_gt_u32_e64 s1, v87
	s_cbranch_execnz .LBB1229_619
.LBB1229_670:                           ;   in Loop: Header=BB1229_606 Depth=2
	s_or_b32 exec_lo, exec_lo, s11
	s_delay_alu instid0(SALU_CYCLE_1)
	s_mov_b32 s11, exec_lo
	v_cmpx_gt_u32_e64 s1, v88
	s_cbranch_execz .LBB1229_620
.LBB1229_671:                           ;   in Loop: Header=BB1229_606 Depth=2
	global_load_b64 v[14:15], v132, s[8:9]
	s_or_b32 exec_lo, exec_lo, s11
	s_delay_alu instid0(SALU_CYCLE_1)
	s_mov_b32 s11, exec_lo
	v_cmpx_gt_u32_e64 s1, v89
	s_cbranch_execnz .LBB1229_621
.LBB1229_672:                           ;   in Loop: Header=BB1229_606 Depth=2
	s_or_b32 exec_lo, exec_lo, s11
	s_delay_alu instid0(SALU_CYCLE_1)
	s_mov_b32 s11, exec_lo
	v_cmpx_gt_u32_e64 s1, v90
	s_cbranch_execz .LBB1229_622
.LBB1229_673:                           ;   in Loop: Header=BB1229_606 Depth=2
	global_load_b64 v[10:11], v134, s[8:9]
	s_or_b32 exec_lo, exec_lo, s11
	s_delay_alu instid0(SALU_CYCLE_1)
	s_mov_b32 s11, exec_lo
	v_cmpx_gt_u32_e64 s1, v91
	s_cbranch_execnz .LBB1229_623
.LBB1229_674:                           ;   in Loop: Header=BB1229_606 Depth=2
	s_or_b32 exec_lo, exec_lo, s11
	s_delay_alu instid0(SALU_CYCLE_1)
	s_mov_b32 s11, exec_lo
	v_cmpx_gt_u32_e64 s1, v92
	s_cbranch_execz .LBB1229_624
.LBB1229_675:                           ;   in Loop: Header=BB1229_606 Depth=2
	v_lshlrev_b32_e32 v2, 3, v92
	global_load_b64 v[6:7], v2, s[8:9]
	s_or_b32 exec_lo, exec_lo, s11
	s_delay_alu instid0(SALU_CYCLE_1)
	s_mov_b32 s11, exec_lo
	v_cmpx_gt_u32_e64 s1, v93
	s_cbranch_execz .LBB1229_626
	s_branch .LBB1229_625
.LBB1229_676:                           ;   in Loop: Header=BB1229_12 Depth=1
	v_mov_b32_e32 v2, 0
	s_waitcnt vmcnt(0) lgkmcnt(0)
	s_barrier
	buffer_gl0_inv
	s_and_saveexec_b32 s1, s2
	s_cbranch_execz .LBB1229_678
; %bb.677:                              ;   in Loop: Header=BB1229_12 Depth=1
	ds_load_2addr_b64 v[4:7], v96 offset1:1
	s_waitcnt lgkmcnt(0)
	v_add_nc_u32_e32 v2, v5, v4
	s_delay_alu instid0(VALU_DEP_1)
	v_add3_u32 v2, v2, v6, v7
.LBB1229_678:                           ;   in Loop: Header=BB1229_12 Depth=1
	s_or_b32 exec_lo, exec_lo, s1
	v_and_b32_e32 v4, 15, v136
	s_delay_alu instid0(VALU_DEP_2) | instskip(SKIP_1) | instid1(VALU_DEP_3)
	v_mov_b32_dpp v5, v2 row_shr:1 row_mask:0xf bank_mask:0xf
	v_and_b32_e32 v6, 16, v136
	v_cmp_eq_u32_e64 s1, 0, v4
	v_cmp_lt_u32_e64 s7, 1, v4
	v_cmp_lt_u32_e64 s8, 3, v4
	;; [unrolled: 1-line block ×3, first 2 shown]
	v_cmp_eq_u32_e64 s10, 0, v6
	v_cndmask_b32_e64 v5, v5, 0, s1
	s_delay_alu instid0(VALU_DEP_1) | instskip(NEXT) | instid1(VALU_DEP_1)
	v_add_nc_u32_e32 v2, v5, v2
	v_mov_b32_dpp v5, v2 row_shr:2 row_mask:0xf bank_mask:0xf
	s_delay_alu instid0(VALU_DEP_1) | instskip(NEXT) | instid1(VALU_DEP_1)
	v_cndmask_b32_e64 v5, 0, v5, s7
	v_add_nc_u32_e32 v2, v2, v5
	s_delay_alu instid0(VALU_DEP_1) | instskip(NEXT) | instid1(VALU_DEP_1)
	v_mov_b32_dpp v5, v2 row_shr:4 row_mask:0xf bank_mask:0xf
	v_cndmask_b32_e64 v5, 0, v5, s8
	s_delay_alu instid0(VALU_DEP_1) | instskip(NEXT) | instid1(VALU_DEP_1)
	v_add_nc_u32_e32 v2, v2, v5
	v_mov_b32_dpp v5, v2 row_shr:8 row_mask:0xf bank_mask:0xf
	s_delay_alu instid0(VALU_DEP_1) | instskip(SKIP_1) | instid1(VALU_DEP_2)
	v_cndmask_b32_e64 v4, 0, v5, s9
	v_bfe_i32 v5, v136, 4, 1
	v_add_nc_u32_e32 v2, v2, v4
	ds_swizzle_b32 v4, v2 offset:swizzle(BROADCAST,32,15)
	s_waitcnt lgkmcnt(0)
	v_and_b32_e32 v4, v5, v4
	s_delay_alu instid0(VALU_DEP_1)
	v_add_nc_u32_e32 v4, v2, v4
	s_and_saveexec_b32 s11, s3
	s_cbranch_execz .LBB1229_680
; %bb.679:                              ;   in Loop: Header=BB1229_12 Depth=1
	ds_store_b32 v97, v4
.LBB1229_680:                           ;   in Loop: Header=BB1229_12 Depth=1
	s_or_b32 exec_lo, exec_lo, s11
	v_and_b32_e32 v2, 7, v136
	s_waitcnt lgkmcnt(0)
	s_barrier
	buffer_gl0_inv
	s_and_saveexec_b32 s11, s4
	s_cbranch_execz .LBB1229_682
; %bb.681:                              ;   in Loop: Header=BB1229_12 Depth=1
	ds_load_b32 v5, v98
	v_cmp_ne_u32_e32 vcc_lo, 0, v2
	s_waitcnt lgkmcnt(0)
	v_mov_b32_dpp v6, v5 row_shr:1 row_mask:0xf bank_mask:0xf
	s_delay_alu instid0(VALU_DEP_1) | instskip(SKIP_1) | instid1(VALU_DEP_2)
	v_cndmask_b32_e32 v6, 0, v6, vcc_lo
	v_cmp_lt_u32_e32 vcc_lo, 1, v2
	v_add_nc_u32_e32 v5, v6, v5
	s_delay_alu instid0(VALU_DEP_1) | instskip(NEXT) | instid1(VALU_DEP_1)
	v_mov_b32_dpp v6, v5 row_shr:2 row_mask:0xf bank_mask:0xf
	v_cndmask_b32_e32 v6, 0, v6, vcc_lo
	v_cmp_lt_u32_e32 vcc_lo, 3, v2
	s_delay_alu instid0(VALU_DEP_2) | instskip(NEXT) | instid1(VALU_DEP_1)
	v_add_nc_u32_e32 v5, v5, v6
	v_mov_b32_dpp v6, v5 row_shr:4 row_mask:0xf bank_mask:0xf
	s_delay_alu instid0(VALU_DEP_1) | instskip(NEXT) | instid1(VALU_DEP_1)
	v_cndmask_b32_e32 v6, 0, v6, vcc_lo
	v_add_nc_u32_e32 v5, v5, v6
	ds_store_b32 v98, v5
.LBB1229_682:                           ;   in Loop: Header=BB1229_12 Depth=1
	s_or_b32 exec_lo, exec_lo, s11
	v_mov_b32_e32 v5, 0
	s_waitcnt lgkmcnt(0)
	s_barrier
	buffer_gl0_inv
	s_and_saveexec_b32 s11, s5
	s_cbranch_execz .LBB1229_684
; %bb.683:                              ;   in Loop: Header=BB1229_12 Depth=1
	ds_load_b32 v5, v99
.LBB1229_684:                           ;   in Loop: Header=BB1229_12 Depth=1
	s_or_b32 exec_lo, exec_lo, s11
	v_add_nc_u32_e32 v6, -1, v136
	s_waitcnt lgkmcnt(0)
	v_add_nc_u32_e32 v4, v5, v4
	v_cmp_eq_u32_e64 s11, 0, v136
	s_barrier
	v_cmp_gt_i32_e32 vcc_lo, 0, v6
	buffer_gl0_inv
	v_cndmask_b32_e32 v6, v6, v136, vcc_lo
	s_delay_alu instid0(VALU_DEP_1)
	v_lshlrev_b32_e32 v137, 2, v6
	ds_bpermute_b32 v4, v137, v4
	s_and_saveexec_b32 s12, s2
	s_cbranch_execz .LBB1229_686
; %bb.685:                              ;   in Loop: Header=BB1229_12 Depth=1
	s_waitcnt lgkmcnt(0)
	v_cndmask_b32_e64 v4, v4, v5, s11
	s_delay_alu instid0(VALU_DEP_1)
	v_add_nc_u32_e32 v4, s33, v4
	ds_store_b32 v76, v4
.LBB1229_686:                           ;   in Loop: Header=BB1229_12 Depth=1
	s_or_b32 exec_lo, exec_lo, s12
	s_load_b64 s[12:13], s[38:39], 0x0
	v_lshlrev_b32_e32 v7, 3, v136
	v_cmp_lt_u32_e64 s14, 3, v2
	v_or_b32_e32 v138, v136, v100
	s_mov_b32 s51, s62
	s_mov_b32 s36, s33
	v_add_co_u32 v139, vcc_lo, v119, v7
	v_add_co_ci_u32_e32 v140, vcc_lo, 0, v120, vcc_lo
	v_add_co_u32 v156, vcc_lo, v121, v7
	v_add_co_ci_u32_e32 v157, vcc_lo, 0, v122, vcc_lo
	v_or_b32_e32 v141, 32, v138
	s_delay_alu instid0(VALU_DEP_3)
	v_add_co_u32 v159, vcc_lo, 0xf00, v156
	v_or_b32_e32 v142, 64, v138
	v_or_b32_e32 v143, 0x60, v138
	;; [unrolled: 1-line block ×3, first 2 shown]
	s_waitcnt lgkmcnt(0)
	s_cmp_lt_u32 s15, s13
	v_or_b32_e32 v145, 0xa0, v138
	s_cselect_b32 s13, 14, 20
	v_or_b32_e32 v146, 0xc0, v138
	s_add_u32 s16, s38, s13
	s_addc_u32 s17, s39, 0
	s_cmp_lt_u32 s34, s12
	global_load_u16 v4, v3, s[16:17]
	s_cselect_b32 s12, 12, 18
	v_or_b32_e32 v147, 0xe0, v138
	s_add_u32 s12, s38, s12
	s_addc_u32 s13, s39, 0
	v_or_b32_e32 v148, 0x100, v138
	global_load_u16 v6, v3, s[12:13]
	v_cmp_eq_u32_e64 s12, 0, v2
	v_cmp_lt_u32_e64 s13, 1, v2
	v_or_b32_e32 v149, 0x120, v138
	v_or_b32_e32 v150, 0x140, v138
	;; [unrolled: 1-line block ×7, first 2 shown]
	v_add_co_ci_u32_e32 v160, vcc_lo, 0, v157, vcc_lo
                                        ; implicit-def: $vgpr8_vgpr9
                                        ; implicit-def: $vgpr10_vgpr11
                                        ; implicit-def: $vgpr12_vgpr13
                                        ; implicit-def: $vgpr14_vgpr15
                                        ; implicit-def: $vgpr16_vgpr17
                                        ; implicit-def: $vgpr18_vgpr19
                                        ; implicit-def: $vgpr20_vgpr21
                                        ; implicit-def: $vgpr22_vgpr23
                                        ; implicit-def: $vgpr24_vgpr25
                                        ; implicit-def: $vgpr26_vgpr27
                                        ; implicit-def: $vgpr28_vgpr29
                                        ; implicit-def: $vgpr30_vgpr31
                                        ; implicit-def: $vgpr32_vgpr33
                                        ; implicit-def: $vgpr34_vgpr35
                                        ; implicit-def: $vgpr161
                                        ; implicit-def: $vgpr162
                                        ; implicit-def: $vgpr163
                                        ; implicit-def: $vgpr164
                                        ; implicit-def: $vgpr165
                                        ; implicit-def: $vgpr166
                                        ; implicit-def: $vgpr167
                                        ; implicit-def: $vgpr168
                                        ; implicit-def: $vgpr169
                                        ; implicit-def: $vgpr170
                                        ; implicit-def: $vgpr171
                                        ; implicit-def: $vgpr172
                                        ; implicit-def: $vgpr173
                                        ; implicit-def: $vgpr174
                                        ; implicit-def: $vgpr175
                                        ; implicit-def: $vgpr176
	s_waitcnt vmcnt(1)
	v_mad_u32_u24 v2, v101, v4, v0
	s_waitcnt vmcnt(0)
	s_delay_alu instid0(VALU_DEP_1) | instskip(NEXT) | instid1(VALU_DEP_1)
	v_mad_u64_u32 v[4:5], null, v2, v6, v[1:2]
                                        ; implicit-def: $vgpr6_vgpr7
	v_lshrrev_b32_e32 v158, 5, v4
                                        ; implicit-def: $vgpr4_vgpr5
	s_branch .LBB1229_688
.LBB1229_687:                           ;   in Loop: Header=BB1229_688 Depth=2
	s_or_b32 exec_lo, exec_lo, s16
	s_addk_i32 s51, 0xf000
	s_cmp_lt_u32 s56, s35
	s_mov_b32 s36, s56
	s_cbranch_scc0 .LBB1229_896
.LBB1229_688:                           ;   Parent Loop BB1229_12 Depth=1
                                        ; =>  This Inner Loop Header: Depth=2
	s_add_i32 s56, s36, 0x1000
	s_delay_alu instid0(SALU_CYCLE_1)
	s_cmp_gt_u32 s56, s35
	s_cbranch_scc1 .LBB1229_690
; %bb.689:                              ;   in Loop: Header=BB1229_688 Depth=2
	s_mov_b32 s17, 0
	s_mov_b32 s16, s36
	s_delay_alu instid0(SALU_CYCLE_1) | instskip(NEXT) | instid1(SALU_CYCLE_1)
	s_lshl_b64 s[18:19], s[16:17], 3
	v_add_co_u32 v40, vcc_lo, v156, s18
	v_add_co_ci_u32_e32 v41, vcc_lo, s19, v157, vcc_lo
	s_mov_b32 s19, -1
	s_movk_i32 s18, 0x1000
	s_clause 0xe
	global_load_b64 v[36:37], v[40:41], off
	global_load_b64 v[38:39], v[40:41], off offset:256
	global_load_b64 v[44:45], v[40:41], off offset:512
	;; [unrolled: 1-line block ×14, first 2 shown]
	s_cbranch_execz .LBB1229_691
	s_branch .LBB1229_722
.LBB1229_690:                           ;   in Loop: Header=BB1229_688 Depth=2
	s_mov_b32 s17, -1
	s_mov_b32 s19, 0
                                        ; implicit-def: $sgpr18
                                        ; implicit-def: $vgpr36_vgpr37
                                        ; implicit-def: $vgpr38_vgpr39
                                        ; implicit-def: $vgpr44_vgpr45
                                        ; implicit-def: $vgpr48_vgpr49
                                        ; implicit-def: $vgpr52_vgpr53
                                        ; implicit-def: $vgpr58_vgpr59
                                        ; implicit-def: $vgpr62_vgpr63
                                        ; implicit-def: $vgpr66_vgpr67
                                        ; implicit-def: $vgpr64_vgpr65
                                        ; implicit-def: $vgpr60_vgpr61
                                        ; implicit-def: $vgpr56_vgpr57
                                        ; implicit-def: $vgpr54_vgpr55
                                        ; implicit-def: $vgpr50_vgpr51
                                        ; implicit-def: $vgpr46_vgpr47
                                        ; implicit-def: $vgpr40_vgpr41
.LBB1229_691:                           ;   in Loop: Header=BB1229_688 Depth=2
	s_lshl_b64 s[16:17], s[36:37], 3
	s_waitcnt vmcnt(14)
	v_dual_mov_b32 v36, s40 :: v_dual_mov_b32 v37, s41
	v_add_co_u32 v42, vcc_lo, v156, s16
	v_add_co_ci_u32_e32 v43, vcc_lo, s17, v157, vcc_lo
	s_mov_b32 s16, exec_lo
	v_cmpx_gt_u32_e64 s51, v138
	s_cbranch_execz .LBB1229_693
; %bb.692:                              ;   in Loop: Header=BB1229_688 Depth=2
	global_load_b64 v[36:37], v[42:43], off
.LBB1229_693:                           ;   in Loop: Header=BB1229_688 Depth=2
	s_or_b32 exec_lo, exec_lo, s16
	s_waitcnt vmcnt(13)
	v_dual_mov_b32 v38, s40 :: v_dual_mov_b32 v39, s41
	s_mov_b32 s16, exec_lo
	v_cmpx_gt_u32_e64 s51, v141
	s_cbranch_execz .LBB1229_695
; %bb.694:                              ;   in Loop: Header=BB1229_688 Depth=2
	global_load_b64 v[38:39], v[42:43], off offset:256
.LBB1229_695:                           ;   in Loop: Header=BB1229_688 Depth=2
	s_or_b32 exec_lo, exec_lo, s16
	s_waitcnt vmcnt(12)
	v_dual_mov_b32 v45, s41 :: v_dual_mov_b32 v44, s40
	s_mov_b32 s16, exec_lo
	v_cmpx_gt_u32_e64 s51, v142
	s_cbranch_execz .LBB1229_697
; %bb.696:                              ;   in Loop: Header=BB1229_688 Depth=2
	global_load_b64 v[44:45], v[42:43], off offset:512
.LBB1229_697:                           ;   in Loop: Header=BB1229_688 Depth=2
	s_or_b32 exec_lo, exec_lo, s16
	s_waitcnt vmcnt(11)
	v_dual_mov_b32 v49, s41 :: v_dual_mov_b32 v48, s40
	s_mov_b32 s16, exec_lo
	v_cmpx_gt_u32_e64 s51, v143
	s_cbranch_execz .LBB1229_699
; %bb.698:                              ;   in Loop: Header=BB1229_688 Depth=2
	global_load_b64 v[48:49], v[42:43], off offset:768
.LBB1229_699:                           ;   in Loop: Header=BB1229_688 Depth=2
	s_or_b32 exec_lo, exec_lo, s16
	s_waitcnt vmcnt(10)
	v_dual_mov_b32 v53, s41 :: v_dual_mov_b32 v52, s40
	s_mov_b32 s16, exec_lo
	v_cmpx_gt_u32_e64 s51, v144
	s_cbranch_execz .LBB1229_701
; %bb.700:                              ;   in Loop: Header=BB1229_688 Depth=2
	global_load_b64 v[52:53], v[42:43], off offset:1024
.LBB1229_701:                           ;   in Loop: Header=BB1229_688 Depth=2
	s_or_b32 exec_lo, exec_lo, s16
	s_waitcnt vmcnt(9)
	v_dual_mov_b32 v59, s41 :: v_dual_mov_b32 v58, s40
	s_mov_b32 s16, exec_lo
	v_cmpx_gt_u32_e64 s51, v145
	s_cbranch_execz .LBB1229_703
; %bb.702:                              ;   in Loop: Header=BB1229_688 Depth=2
	global_load_b64 v[58:59], v[42:43], off offset:1280
.LBB1229_703:                           ;   in Loop: Header=BB1229_688 Depth=2
	s_or_b32 exec_lo, exec_lo, s16
	s_waitcnt vmcnt(8)
	v_dual_mov_b32 v63, s41 :: v_dual_mov_b32 v62, s40
	s_mov_b32 s16, exec_lo
	v_cmpx_gt_u32_e64 s51, v146
	s_cbranch_execz .LBB1229_705
; %bb.704:                              ;   in Loop: Header=BB1229_688 Depth=2
	global_load_b64 v[62:63], v[42:43], off offset:1536
.LBB1229_705:                           ;   in Loop: Header=BB1229_688 Depth=2
	s_or_b32 exec_lo, exec_lo, s16
	s_waitcnt vmcnt(7)
	v_dual_mov_b32 v67, s41 :: v_dual_mov_b32 v66, s40
	s_mov_b32 s16, exec_lo
	v_cmpx_gt_u32_e64 s51, v147
	s_cbranch_execz .LBB1229_707
; %bb.706:                              ;   in Loop: Header=BB1229_688 Depth=2
	global_load_b64 v[66:67], v[42:43], off offset:1792
.LBB1229_707:                           ;   in Loop: Header=BB1229_688 Depth=2
	s_or_b32 exec_lo, exec_lo, s16
	s_waitcnt vmcnt(6)
	v_dual_mov_b32 v65, s41 :: v_dual_mov_b32 v64, s40
	s_mov_b32 s16, exec_lo
	v_cmpx_gt_u32_e64 s51, v148
	s_cbranch_execz .LBB1229_709
; %bb.708:                              ;   in Loop: Header=BB1229_688 Depth=2
	global_load_b64 v[64:65], v[42:43], off offset:2048
.LBB1229_709:                           ;   in Loop: Header=BB1229_688 Depth=2
	s_or_b32 exec_lo, exec_lo, s16
	s_waitcnt vmcnt(5)
	v_dual_mov_b32 v61, s41 :: v_dual_mov_b32 v60, s40
	s_mov_b32 s16, exec_lo
	v_cmpx_gt_u32_e64 s51, v149
	s_cbranch_execz .LBB1229_711
; %bb.710:                              ;   in Loop: Header=BB1229_688 Depth=2
	global_load_b64 v[60:61], v[42:43], off offset:2304
.LBB1229_711:                           ;   in Loop: Header=BB1229_688 Depth=2
	s_or_b32 exec_lo, exec_lo, s16
	s_waitcnt vmcnt(4)
	v_dual_mov_b32 v57, s41 :: v_dual_mov_b32 v56, s40
	s_mov_b32 s16, exec_lo
	v_cmpx_gt_u32_e64 s51, v150
	s_cbranch_execz .LBB1229_713
; %bb.712:                              ;   in Loop: Header=BB1229_688 Depth=2
	global_load_b64 v[56:57], v[42:43], off offset:2560
.LBB1229_713:                           ;   in Loop: Header=BB1229_688 Depth=2
	s_or_b32 exec_lo, exec_lo, s16
	s_waitcnt vmcnt(3)
	v_dual_mov_b32 v55, s41 :: v_dual_mov_b32 v54, s40
	s_mov_b32 s16, exec_lo
	v_cmpx_gt_u32_e64 s51, v151
	s_cbranch_execz .LBB1229_715
; %bb.714:                              ;   in Loop: Header=BB1229_688 Depth=2
	global_load_b64 v[54:55], v[42:43], off offset:2816
.LBB1229_715:                           ;   in Loop: Header=BB1229_688 Depth=2
	s_or_b32 exec_lo, exec_lo, s16
	s_waitcnt vmcnt(2)
	v_dual_mov_b32 v51, s41 :: v_dual_mov_b32 v50, s40
	s_mov_b32 s16, exec_lo
	v_cmpx_gt_u32_e64 s51, v152
	s_cbranch_execz .LBB1229_717
; %bb.716:                              ;   in Loop: Header=BB1229_688 Depth=2
	global_load_b64 v[50:51], v[42:43], off offset:3072
.LBB1229_717:                           ;   in Loop: Header=BB1229_688 Depth=2
	s_or_b32 exec_lo, exec_lo, s16
	s_waitcnt vmcnt(1)
	v_dual_mov_b32 v47, s41 :: v_dual_mov_b32 v46, s40
	s_mov_b32 s16, exec_lo
	v_cmpx_gt_u32_e64 s51, v153
	s_cbranch_execz .LBB1229_719
; %bb.718:                              ;   in Loop: Header=BB1229_688 Depth=2
	global_load_b64 v[46:47], v[42:43], off offset:3328
.LBB1229_719:                           ;   in Loop: Header=BB1229_688 Depth=2
	s_or_b32 exec_lo, exec_lo, s16
	s_waitcnt vmcnt(0)
	v_dual_mov_b32 v40, s40 :: v_dual_mov_b32 v41, s41
	s_mov_b32 s16, exec_lo
	v_cmpx_gt_u32_e64 s51, v154
	s_cbranch_execz .LBB1229_721
; %bb.720:                              ;   in Loop: Header=BB1229_688 Depth=2
	global_load_b64 v[40:41], v[42:43], off offset:3584
.LBB1229_721:                           ;   in Loop: Header=BB1229_688 Depth=2
	s_or_b32 exec_lo, exec_lo, s16
	v_cmp_gt_u32_e64 s19, s51, v155
	s_sub_i32 s18, s35, s36
	s_mov_b64 s[16:17], s[36:37]
.LBB1229_722:                           ;   in Loop: Header=BB1229_688 Depth=2
	v_dual_mov_b32 v43, s41 :: v_dual_mov_b32 v42, s40
	v_mov_b32_e32 v177, s51
	s_and_saveexec_b32 s20, s19
	s_cbranch_execz .LBB1229_724
; %bb.723:                              ;   in Loop: Header=BB1229_688 Depth=2
	s_lshl_b64 s[16:17], s[16:17], 3
	v_mov_b32_e32 v177, s18
	v_add_co_u32 v42, vcc_lo, v159, s16
	v_add_co_ci_u32_e32 v43, vcc_lo, s17, v160, vcc_lo
	global_load_b64 v[42:43], v[42:43], off
.LBB1229_724:                           ;   in Loop: Header=BB1229_688 Depth=2
	s_or_b32 exec_lo, exec_lo, s20
	s_waitcnt vmcnt(14)
	v_cmp_lt_i64_e32 vcc_lo, -1, v[36:37]
	v_ashrrev_i32_e32 v68, 31, v37
	ds_store_b32 v102, v3 offset:1056
	ds_store_2addr_b32 v103, v3, v3 offset0:1 offset1:2
	ds_store_2addr_b32 v103, v3, v3 offset0:3 offset1:4
	;; [unrolled: 1-line block ×4, first 2 shown]
	s_waitcnt vmcnt(0) lgkmcnt(0)
	s_barrier
	v_cndmask_b32_e64 v2, -1, 0x80000000, vcc_lo
	v_xor_b32_e32 v36, v68, v36
	buffer_gl0_inv
	; wave barrier
	v_xor_b32_e32 v37, v2, v37
	s_delay_alu instid0(VALU_DEP_1) | instskip(SKIP_2) | instid1(VALU_DEP_1)
	v_cmp_ne_u64_e32 vcc_lo, s[40:41], v[36:37]
	v_cndmask_b32_e32 v69, 0x80000000, v37, vcc_lo
	v_cndmask_b32_e32 v68, 0, v36, vcc_lo
	v_lshrrev_b64 v[68:69], s42, v[68:69]
	s_delay_alu instid0(VALU_DEP_1) | instskip(NEXT) | instid1(VALU_DEP_1)
	v_and_b32_e32 v69, s50, v68
	v_lshlrev_b32_e32 v71, 28, v69
	v_and_b32_e32 v2, 1, v69
	v_lshlrev_b32_e32 v68, 30, v69
	v_lshlrev_b32_e32 v70, 29, v69
	;; [unrolled: 1-line block ×4, first 2 shown]
	v_add_co_u32 v2, s16, v2, -1
	s_delay_alu instid0(VALU_DEP_1)
	v_cndmask_b32_e64 v72, 0, 1, s16
	v_not_b32_e32 v178, v68
	v_cmp_gt_i32_e64 s16, 0, v68
	v_not_b32_e32 v68, v70
	v_lshlrev_b32_e32 v75, 25, v69
	v_cmp_ne_u32_e32 vcc_lo, 0, v72
	v_ashrrev_i32_e32 v178, 31, v178
	v_lshlrev_b32_e32 v72, 24, v69
	v_ashrrev_i32_e32 v68, 31, v68
	v_mad_u32_u24 v69, v69, 9, v158
	v_xor_b32_e32 v2, vcc_lo, v2
	v_cmp_gt_i32_e32 vcc_lo, 0, v70
	v_not_b32_e32 v70, v71
	v_xor_b32_e32 v178, s16, v178
	v_cmp_gt_i32_e64 s16, 0, v71
	v_and_b32_e32 v2, exec_lo, v2
	v_not_b32_e32 v71, v73
	v_ashrrev_i32_e32 v70, 31, v70
	v_xor_b32_e32 v68, vcc_lo, v68
	v_cmp_gt_i32_e32 vcc_lo, 0, v73
	v_and_b32_e32 v2, v2, v178
	v_not_b32_e32 v73, v74
	v_ashrrev_i32_e32 v71, 31, v71
	v_xor_b32_e32 v70, s16, v70
	v_cmp_gt_i32_e64 s16, 0, v74
	v_and_b32_e32 v2, v2, v68
	v_not_b32_e32 v68, v75
	v_ashrrev_i32_e32 v73, 31, v73
	v_xor_b32_e32 v71, vcc_lo, v71
	v_cmp_gt_i32_e32 vcc_lo, 0, v75
	v_and_b32_e32 v2, v2, v70
	v_not_b32_e32 v70, v72
	v_ashrrev_i32_e32 v68, 31, v68
	v_xor_b32_e32 v73, s16, v73
	v_cmp_gt_i32_e64 s16, 0, v72
	v_and_b32_e32 v2, v2, v71
	v_ashrrev_i32_e32 v70, 31, v70
	v_xor_b32_e32 v68, vcc_lo, v68
	v_lshl_add_u32 v178, v69, 2, 0x420
	s_delay_alu instid0(VALU_DEP_4) | instskip(NEXT) | instid1(VALU_DEP_4)
	v_and_b32_e32 v2, v2, v73
	v_xor_b32_e32 v70, s16, v70
	s_delay_alu instid0(VALU_DEP_2) | instskip(NEXT) | instid1(VALU_DEP_1)
	v_and_b32_e32 v2, v2, v68
	v_and_b32_e32 v68, v2, v70
	s_delay_alu instid0(VALU_DEP_1) | instskip(SKIP_1) | instid1(VALU_DEP_2)
	v_mbcnt_lo_u32_b32 v2, v68, 0
	v_cmp_ne_u32_e64 s16, 0, v68
	v_cmp_eq_u32_e32 vcc_lo, 0, v2
	s_delay_alu instid0(VALU_DEP_2) | instskip(NEXT) | instid1(SALU_CYCLE_1)
	s_and_b32 s17, s16, vcc_lo
	s_and_saveexec_b32 s16, s17
	s_cbranch_execz .LBB1229_726
; %bb.725:                              ;   in Loop: Header=BB1229_688 Depth=2
	v_bcnt_u32_b32 v68, v68, 0
	ds_store_b32 v178, v68
.LBB1229_726:                           ;   in Loop: Header=BB1229_688 Depth=2
	s_or_b32 exec_lo, exec_lo, s16
	v_cmp_lt_i64_e32 vcc_lo, -1, v[38:39]
	v_ashrrev_i32_e32 v69, 31, v39
	; wave barrier
	s_delay_alu instid0(VALU_DEP_1) | instskip(SKIP_1) | instid1(VALU_DEP_1)
	v_xor_b32_e32 v38, v69, v38
	v_cndmask_b32_e64 v68, -1, 0x80000000, vcc_lo
	v_xor_b32_e32 v39, v68, v39
	s_delay_alu instid0(VALU_DEP_1) | instskip(SKIP_2) | instid1(VALU_DEP_1)
	v_cmp_ne_u64_e32 vcc_lo, s[40:41], v[38:39]
	v_cndmask_b32_e32 v69, 0x80000000, v39, vcc_lo
	v_cndmask_b32_e32 v68, 0, v38, vcc_lo
	v_lshrrev_b64 v[68:69], s42, v[68:69]
	s_delay_alu instid0(VALU_DEP_1) | instskip(NEXT) | instid1(VALU_DEP_1)
	v_and_b32_e32 v68, s50, v68
	v_and_b32_e32 v69, 1, v68
	v_lshlrev_b32_e32 v70, 30, v68
	v_lshlrev_b32_e32 v71, 29, v68
	;; [unrolled: 1-line block ×4, first 2 shown]
	v_add_co_u32 v69, s16, v69, -1
	s_delay_alu instid0(VALU_DEP_1)
	v_cndmask_b32_e64 v73, 0, 1, s16
	v_not_b32_e32 v180, v70
	v_cmp_gt_i32_e64 s16, 0, v70
	v_not_b32_e32 v70, v71
	v_lshlrev_b32_e32 v75, 26, v68
	v_cmp_ne_u32_e32 vcc_lo, 0, v73
	v_ashrrev_i32_e32 v180, 31, v180
	v_lshlrev_b32_e32 v179, 25, v68
	v_ashrrev_i32_e32 v70, 31, v70
	v_lshlrev_b32_e32 v73, 24, v68
	v_xor_b32_e32 v69, vcc_lo, v69
	v_cmp_gt_i32_e32 vcc_lo, 0, v71
	v_not_b32_e32 v71, v72
	v_xor_b32_e32 v180, s16, v180
	v_cmp_gt_i32_e64 s16, 0, v72
	v_and_b32_e32 v69, exec_lo, v69
	v_not_b32_e32 v72, v74
	v_ashrrev_i32_e32 v71, 31, v71
	v_xor_b32_e32 v70, vcc_lo, v70
	v_cmp_gt_i32_e32 vcc_lo, 0, v74
	v_and_b32_e32 v69, v69, v180
	v_not_b32_e32 v74, v75
	v_ashrrev_i32_e32 v72, 31, v72
	v_xor_b32_e32 v71, s16, v71
	v_cmp_gt_i32_e64 s16, 0, v75
	v_and_b32_e32 v69, v69, v70
	v_not_b32_e32 v70, v179
	v_ashrrev_i32_e32 v74, 31, v74
	v_xor_b32_e32 v72, vcc_lo, v72
	v_cmp_gt_i32_e32 vcc_lo, 0, v179
	v_and_b32_e32 v69, v69, v71
	v_not_b32_e32 v71, v73
	v_ashrrev_i32_e32 v70, 31, v70
	v_xor_b32_e32 v74, s16, v74
	v_mul_u32_u24_e32 v68, 9, v68
	v_and_b32_e32 v69, v69, v72
	v_cmp_gt_i32_e64 s16, 0, v73
	v_ashrrev_i32_e32 v71, 31, v71
	v_xor_b32_e32 v70, vcc_lo, v70
	v_add_lshl_u32 v72, v68, v158, 2
	v_and_b32_e32 v69, v69, v74
	s_delay_alu instid0(VALU_DEP_4) | instskip(SKIP_3) | instid1(VALU_DEP_2)
	v_xor_b32_e32 v68, s16, v71
	ds_load_b32 v179, v72 offset:1056
	v_and_b32_e32 v69, v69, v70
	v_add_nc_u32_e32 v181, 0x420, v72
	; wave barrier
	v_and_b32_e32 v68, v69, v68
	s_delay_alu instid0(VALU_DEP_1) | instskip(SKIP_1) | instid1(VALU_DEP_2)
	v_mbcnt_lo_u32_b32 v180, v68, 0
	v_cmp_ne_u32_e64 s16, 0, v68
	v_cmp_eq_u32_e32 vcc_lo, 0, v180
	s_delay_alu instid0(VALU_DEP_2) | instskip(NEXT) | instid1(SALU_CYCLE_1)
	s_and_b32 s17, s16, vcc_lo
	s_and_saveexec_b32 s16, s17
	s_cbranch_execz .LBB1229_728
; %bb.727:                              ;   in Loop: Header=BB1229_688 Depth=2
	s_waitcnt lgkmcnt(0)
	v_bcnt_u32_b32 v68, v68, v179
	ds_store_b32 v181, v68
.LBB1229_728:                           ;   in Loop: Header=BB1229_688 Depth=2
	s_or_b32 exec_lo, exec_lo, s16
	v_cmp_lt_i64_e32 vcc_lo, -1, v[44:45]
	v_ashrrev_i32_e32 v69, 31, v45
	; wave barrier
	s_delay_alu instid0(VALU_DEP_1) | instskip(SKIP_1) | instid1(VALU_DEP_1)
	v_xor_b32_e32 v44, v69, v44
	v_cndmask_b32_e64 v68, -1, 0x80000000, vcc_lo
	v_xor_b32_e32 v45, v68, v45
	s_delay_alu instid0(VALU_DEP_1) | instskip(SKIP_2) | instid1(VALU_DEP_1)
	v_cmp_ne_u64_e32 vcc_lo, s[40:41], v[44:45]
	v_cndmask_b32_e32 v69, 0x80000000, v45, vcc_lo
	v_cndmask_b32_e32 v68, 0, v44, vcc_lo
	v_lshrrev_b64 v[68:69], s42, v[68:69]
	s_delay_alu instid0(VALU_DEP_1) | instskip(NEXT) | instid1(VALU_DEP_1)
	v_and_b32_e32 v68, s50, v68
	v_and_b32_e32 v69, 1, v68
	v_lshlrev_b32_e32 v70, 30, v68
	v_lshlrev_b32_e32 v71, 29, v68
	;; [unrolled: 1-line block ×4, first 2 shown]
	v_add_co_u32 v69, s16, v69, -1
	s_delay_alu instid0(VALU_DEP_1)
	v_cndmask_b32_e64 v73, 0, 1, s16
	v_not_b32_e32 v183, v70
	v_cmp_gt_i32_e64 s16, 0, v70
	v_not_b32_e32 v70, v71
	v_lshlrev_b32_e32 v75, 26, v68
	v_cmp_ne_u32_e32 vcc_lo, 0, v73
	v_ashrrev_i32_e32 v183, 31, v183
	v_lshlrev_b32_e32 v182, 25, v68
	v_ashrrev_i32_e32 v70, 31, v70
	v_lshlrev_b32_e32 v73, 24, v68
	v_xor_b32_e32 v69, vcc_lo, v69
	v_cmp_gt_i32_e32 vcc_lo, 0, v71
	v_not_b32_e32 v71, v72
	v_xor_b32_e32 v183, s16, v183
	v_cmp_gt_i32_e64 s16, 0, v72
	v_and_b32_e32 v69, exec_lo, v69
	v_not_b32_e32 v72, v74
	v_ashrrev_i32_e32 v71, 31, v71
	v_xor_b32_e32 v70, vcc_lo, v70
	v_cmp_gt_i32_e32 vcc_lo, 0, v74
	v_and_b32_e32 v69, v69, v183
	v_not_b32_e32 v74, v75
	v_ashrrev_i32_e32 v72, 31, v72
	v_xor_b32_e32 v71, s16, v71
	v_cmp_gt_i32_e64 s16, 0, v75
	v_and_b32_e32 v69, v69, v70
	v_not_b32_e32 v70, v182
	v_ashrrev_i32_e32 v74, 31, v74
	v_xor_b32_e32 v72, vcc_lo, v72
	v_cmp_gt_i32_e32 vcc_lo, 0, v182
	v_and_b32_e32 v69, v69, v71
	v_not_b32_e32 v71, v73
	v_ashrrev_i32_e32 v70, 31, v70
	v_xor_b32_e32 v74, s16, v74
	v_mul_u32_u24_e32 v68, 9, v68
	v_and_b32_e32 v69, v69, v72
	v_cmp_gt_i32_e64 s16, 0, v73
	v_ashrrev_i32_e32 v71, 31, v71
	v_xor_b32_e32 v70, vcc_lo, v70
	v_add_lshl_u32 v72, v68, v158, 2
	v_and_b32_e32 v69, v69, v74
	s_delay_alu instid0(VALU_DEP_4) | instskip(SKIP_3) | instid1(VALU_DEP_2)
	v_xor_b32_e32 v68, s16, v71
	ds_load_b32 v182, v72 offset:1056
	v_and_b32_e32 v69, v69, v70
	v_add_nc_u32_e32 v184, 0x420, v72
	; wave barrier
	v_and_b32_e32 v68, v69, v68
	s_delay_alu instid0(VALU_DEP_1) | instskip(SKIP_1) | instid1(VALU_DEP_2)
	v_mbcnt_lo_u32_b32 v183, v68, 0
	v_cmp_ne_u32_e64 s16, 0, v68
	v_cmp_eq_u32_e32 vcc_lo, 0, v183
	s_delay_alu instid0(VALU_DEP_2) | instskip(NEXT) | instid1(SALU_CYCLE_1)
	s_and_b32 s17, s16, vcc_lo
	s_and_saveexec_b32 s16, s17
	s_cbranch_execz .LBB1229_730
; %bb.729:                              ;   in Loop: Header=BB1229_688 Depth=2
	s_waitcnt lgkmcnt(0)
	v_bcnt_u32_b32 v68, v68, v182
	ds_store_b32 v184, v68
.LBB1229_730:                           ;   in Loop: Header=BB1229_688 Depth=2
	s_or_b32 exec_lo, exec_lo, s16
	v_cmp_lt_i64_e32 vcc_lo, -1, v[48:49]
	v_ashrrev_i32_e32 v69, 31, v49
	; wave barrier
	s_delay_alu instid0(VALU_DEP_1) | instskip(SKIP_1) | instid1(VALU_DEP_1)
	v_xor_b32_e32 v48, v69, v48
	v_cndmask_b32_e64 v68, -1, 0x80000000, vcc_lo
	v_xor_b32_e32 v49, v68, v49
	s_delay_alu instid0(VALU_DEP_1) | instskip(SKIP_2) | instid1(VALU_DEP_1)
	v_cmp_ne_u64_e32 vcc_lo, s[40:41], v[48:49]
	v_cndmask_b32_e32 v69, 0x80000000, v49, vcc_lo
	v_cndmask_b32_e32 v68, 0, v48, vcc_lo
	v_lshrrev_b64 v[68:69], s42, v[68:69]
	s_delay_alu instid0(VALU_DEP_1) | instskip(NEXT) | instid1(VALU_DEP_1)
	v_and_b32_e32 v68, s50, v68
	v_and_b32_e32 v69, 1, v68
	v_lshlrev_b32_e32 v70, 30, v68
	v_lshlrev_b32_e32 v71, 29, v68
	v_lshlrev_b32_e32 v72, 28, v68
	v_lshlrev_b32_e32 v74, 27, v68
	v_add_co_u32 v69, s16, v69, -1
	s_delay_alu instid0(VALU_DEP_1)
	v_cndmask_b32_e64 v73, 0, 1, s16
	v_not_b32_e32 v186, v70
	v_cmp_gt_i32_e64 s16, 0, v70
	v_not_b32_e32 v70, v71
	v_lshlrev_b32_e32 v75, 26, v68
	v_cmp_ne_u32_e32 vcc_lo, 0, v73
	v_ashrrev_i32_e32 v186, 31, v186
	v_lshlrev_b32_e32 v185, 25, v68
	v_ashrrev_i32_e32 v70, 31, v70
	v_lshlrev_b32_e32 v73, 24, v68
	v_xor_b32_e32 v69, vcc_lo, v69
	v_cmp_gt_i32_e32 vcc_lo, 0, v71
	v_not_b32_e32 v71, v72
	v_xor_b32_e32 v186, s16, v186
	v_cmp_gt_i32_e64 s16, 0, v72
	v_and_b32_e32 v69, exec_lo, v69
	v_not_b32_e32 v72, v74
	v_ashrrev_i32_e32 v71, 31, v71
	v_xor_b32_e32 v70, vcc_lo, v70
	v_cmp_gt_i32_e32 vcc_lo, 0, v74
	v_and_b32_e32 v69, v69, v186
	v_not_b32_e32 v74, v75
	v_ashrrev_i32_e32 v72, 31, v72
	v_xor_b32_e32 v71, s16, v71
	v_cmp_gt_i32_e64 s16, 0, v75
	v_and_b32_e32 v69, v69, v70
	v_not_b32_e32 v70, v185
	v_ashrrev_i32_e32 v74, 31, v74
	v_xor_b32_e32 v72, vcc_lo, v72
	v_cmp_gt_i32_e32 vcc_lo, 0, v185
	v_and_b32_e32 v69, v69, v71
	v_not_b32_e32 v71, v73
	v_ashrrev_i32_e32 v70, 31, v70
	v_xor_b32_e32 v74, s16, v74
	v_mul_u32_u24_e32 v68, 9, v68
	v_and_b32_e32 v69, v69, v72
	v_cmp_gt_i32_e64 s16, 0, v73
	v_ashrrev_i32_e32 v71, 31, v71
	v_xor_b32_e32 v70, vcc_lo, v70
	v_add_lshl_u32 v72, v68, v158, 2
	v_and_b32_e32 v69, v69, v74
	s_delay_alu instid0(VALU_DEP_4) | instskip(SKIP_3) | instid1(VALU_DEP_2)
	v_xor_b32_e32 v68, s16, v71
	ds_load_b32 v185, v72 offset:1056
	v_and_b32_e32 v69, v69, v70
	v_add_nc_u32_e32 v187, 0x420, v72
	; wave barrier
	v_and_b32_e32 v68, v69, v68
	s_delay_alu instid0(VALU_DEP_1) | instskip(SKIP_1) | instid1(VALU_DEP_2)
	v_mbcnt_lo_u32_b32 v186, v68, 0
	v_cmp_ne_u32_e64 s16, 0, v68
	v_cmp_eq_u32_e32 vcc_lo, 0, v186
	s_delay_alu instid0(VALU_DEP_2) | instskip(NEXT) | instid1(SALU_CYCLE_1)
	s_and_b32 s17, s16, vcc_lo
	s_and_saveexec_b32 s16, s17
	s_cbranch_execz .LBB1229_732
; %bb.731:                              ;   in Loop: Header=BB1229_688 Depth=2
	s_waitcnt lgkmcnt(0)
	v_bcnt_u32_b32 v68, v68, v185
	ds_store_b32 v187, v68
.LBB1229_732:                           ;   in Loop: Header=BB1229_688 Depth=2
	s_or_b32 exec_lo, exec_lo, s16
	v_cmp_lt_i64_e32 vcc_lo, -1, v[52:53]
	v_ashrrev_i32_e32 v69, 31, v53
	; wave barrier
	s_delay_alu instid0(VALU_DEP_1) | instskip(SKIP_1) | instid1(VALU_DEP_1)
	v_xor_b32_e32 v52, v69, v52
	v_cndmask_b32_e64 v68, -1, 0x80000000, vcc_lo
	v_xor_b32_e32 v53, v68, v53
	s_delay_alu instid0(VALU_DEP_1) | instskip(SKIP_2) | instid1(VALU_DEP_1)
	v_cmp_ne_u64_e32 vcc_lo, s[40:41], v[52:53]
	v_cndmask_b32_e32 v69, 0x80000000, v53, vcc_lo
	v_cndmask_b32_e32 v68, 0, v52, vcc_lo
	v_lshrrev_b64 v[68:69], s42, v[68:69]
	s_delay_alu instid0(VALU_DEP_1) | instskip(NEXT) | instid1(VALU_DEP_1)
	v_and_b32_e32 v68, s50, v68
	v_and_b32_e32 v69, 1, v68
	v_lshlrev_b32_e32 v70, 30, v68
	v_lshlrev_b32_e32 v71, 29, v68
	;; [unrolled: 1-line block ×4, first 2 shown]
	v_add_co_u32 v69, s16, v69, -1
	s_delay_alu instid0(VALU_DEP_1)
	v_cndmask_b32_e64 v73, 0, 1, s16
	v_not_b32_e32 v189, v70
	v_cmp_gt_i32_e64 s16, 0, v70
	v_not_b32_e32 v70, v71
	v_lshlrev_b32_e32 v75, 26, v68
	v_cmp_ne_u32_e32 vcc_lo, 0, v73
	v_ashrrev_i32_e32 v189, 31, v189
	v_lshlrev_b32_e32 v188, 25, v68
	v_ashrrev_i32_e32 v70, 31, v70
	v_lshlrev_b32_e32 v73, 24, v68
	v_xor_b32_e32 v69, vcc_lo, v69
	v_cmp_gt_i32_e32 vcc_lo, 0, v71
	v_not_b32_e32 v71, v72
	v_xor_b32_e32 v189, s16, v189
	v_cmp_gt_i32_e64 s16, 0, v72
	v_and_b32_e32 v69, exec_lo, v69
	v_not_b32_e32 v72, v74
	v_ashrrev_i32_e32 v71, 31, v71
	v_xor_b32_e32 v70, vcc_lo, v70
	v_cmp_gt_i32_e32 vcc_lo, 0, v74
	v_and_b32_e32 v69, v69, v189
	v_not_b32_e32 v74, v75
	v_ashrrev_i32_e32 v72, 31, v72
	v_xor_b32_e32 v71, s16, v71
	v_cmp_gt_i32_e64 s16, 0, v75
	v_and_b32_e32 v69, v69, v70
	v_not_b32_e32 v70, v188
	v_ashrrev_i32_e32 v74, 31, v74
	v_xor_b32_e32 v72, vcc_lo, v72
	v_cmp_gt_i32_e32 vcc_lo, 0, v188
	v_and_b32_e32 v69, v69, v71
	v_not_b32_e32 v71, v73
	v_ashrrev_i32_e32 v70, 31, v70
	v_xor_b32_e32 v74, s16, v74
	v_mul_u32_u24_e32 v68, 9, v68
	v_and_b32_e32 v69, v69, v72
	v_cmp_gt_i32_e64 s16, 0, v73
	v_ashrrev_i32_e32 v71, 31, v71
	v_xor_b32_e32 v70, vcc_lo, v70
	v_add_lshl_u32 v72, v68, v158, 2
	v_and_b32_e32 v69, v69, v74
	s_delay_alu instid0(VALU_DEP_4) | instskip(SKIP_3) | instid1(VALU_DEP_2)
	v_xor_b32_e32 v68, s16, v71
	ds_load_b32 v188, v72 offset:1056
	v_and_b32_e32 v69, v69, v70
	v_add_nc_u32_e32 v190, 0x420, v72
	; wave barrier
	v_and_b32_e32 v68, v69, v68
	s_delay_alu instid0(VALU_DEP_1) | instskip(SKIP_1) | instid1(VALU_DEP_2)
	v_mbcnt_lo_u32_b32 v189, v68, 0
	v_cmp_ne_u32_e64 s16, 0, v68
	v_cmp_eq_u32_e32 vcc_lo, 0, v189
	s_delay_alu instid0(VALU_DEP_2) | instskip(NEXT) | instid1(SALU_CYCLE_1)
	s_and_b32 s17, s16, vcc_lo
	s_and_saveexec_b32 s16, s17
	s_cbranch_execz .LBB1229_734
; %bb.733:                              ;   in Loop: Header=BB1229_688 Depth=2
	s_waitcnt lgkmcnt(0)
	v_bcnt_u32_b32 v68, v68, v188
	ds_store_b32 v190, v68
.LBB1229_734:                           ;   in Loop: Header=BB1229_688 Depth=2
	s_or_b32 exec_lo, exec_lo, s16
	v_cmp_lt_i64_e32 vcc_lo, -1, v[58:59]
	v_ashrrev_i32_e32 v69, 31, v59
	; wave barrier
	s_delay_alu instid0(VALU_DEP_1) | instskip(SKIP_1) | instid1(VALU_DEP_1)
	v_xor_b32_e32 v58, v69, v58
	v_cndmask_b32_e64 v68, -1, 0x80000000, vcc_lo
	v_xor_b32_e32 v59, v68, v59
	s_delay_alu instid0(VALU_DEP_1) | instskip(SKIP_2) | instid1(VALU_DEP_1)
	v_cmp_ne_u64_e32 vcc_lo, s[40:41], v[58:59]
	v_cndmask_b32_e32 v69, 0x80000000, v59, vcc_lo
	v_cndmask_b32_e32 v68, 0, v58, vcc_lo
	v_lshrrev_b64 v[68:69], s42, v[68:69]
	s_delay_alu instid0(VALU_DEP_1) | instskip(NEXT) | instid1(VALU_DEP_1)
	v_and_b32_e32 v68, s50, v68
	v_and_b32_e32 v69, 1, v68
	v_lshlrev_b32_e32 v70, 30, v68
	v_lshlrev_b32_e32 v71, 29, v68
	;; [unrolled: 1-line block ×4, first 2 shown]
	v_add_co_u32 v69, s16, v69, -1
	s_delay_alu instid0(VALU_DEP_1)
	v_cndmask_b32_e64 v73, 0, 1, s16
	v_not_b32_e32 v192, v70
	v_cmp_gt_i32_e64 s16, 0, v70
	v_not_b32_e32 v70, v71
	v_lshlrev_b32_e32 v75, 26, v68
	v_cmp_ne_u32_e32 vcc_lo, 0, v73
	v_ashrrev_i32_e32 v192, 31, v192
	v_lshlrev_b32_e32 v191, 25, v68
	v_ashrrev_i32_e32 v70, 31, v70
	v_lshlrev_b32_e32 v73, 24, v68
	v_xor_b32_e32 v69, vcc_lo, v69
	v_cmp_gt_i32_e32 vcc_lo, 0, v71
	v_not_b32_e32 v71, v72
	v_xor_b32_e32 v192, s16, v192
	v_cmp_gt_i32_e64 s16, 0, v72
	v_and_b32_e32 v69, exec_lo, v69
	v_not_b32_e32 v72, v74
	v_ashrrev_i32_e32 v71, 31, v71
	v_xor_b32_e32 v70, vcc_lo, v70
	v_cmp_gt_i32_e32 vcc_lo, 0, v74
	v_and_b32_e32 v69, v69, v192
	v_not_b32_e32 v74, v75
	v_ashrrev_i32_e32 v72, 31, v72
	v_xor_b32_e32 v71, s16, v71
	v_cmp_gt_i32_e64 s16, 0, v75
	v_and_b32_e32 v69, v69, v70
	v_not_b32_e32 v70, v191
	v_ashrrev_i32_e32 v74, 31, v74
	v_xor_b32_e32 v72, vcc_lo, v72
	v_cmp_gt_i32_e32 vcc_lo, 0, v191
	v_and_b32_e32 v69, v69, v71
	v_not_b32_e32 v71, v73
	v_ashrrev_i32_e32 v70, 31, v70
	v_xor_b32_e32 v74, s16, v74
	v_mul_u32_u24_e32 v68, 9, v68
	v_and_b32_e32 v69, v69, v72
	v_cmp_gt_i32_e64 s16, 0, v73
	v_ashrrev_i32_e32 v71, 31, v71
	v_xor_b32_e32 v70, vcc_lo, v70
	v_add_lshl_u32 v72, v68, v158, 2
	v_and_b32_e32 v69, v69, v74
	s_delay_alu instid0(VALU_DEP_4) | instskip(SKIP_3) | instid1(VALU_DEP_2)
	v_xor_b32_e32 v68, s16, v71
	ds_load_b32 v191, v72 offset:1056
	v_and_b32_e32 v69, v69, v70
	v_add_nc_u32_e32 v193, 0x420, v72
	; wave barrier
	v_and_b32_e32 v68, v69, v68
	s_delay_alu instid0(VALU_DEP_1) | instskip(SKIP_1) | instid1(VALU_DEP_2)
	v_mbcnt_lo_u32_b32 v192, v68, 0
	v_cmp_ne_u32_e64 s16, 0, v68
	v_cmp_eq_u32_e32 vcc_lo, 0, v192
	s_delay_alu instid0(VALU_DEP_2) | instskip(NEXT) | instid1(SALU_CYCLE_1)
	s_and_b32 s17, s16, vcc_lo
	s_and_saveexec_b32 s16, s17
	s_cbranch_execz .LBB1229_736
; %bb.735:                              ;   in Loop: Header=BB1229_688 Depth=2
	s_waitcnt lgkmcnt(0)
	v_bcnt_u32_b32 v68, v68, v191
	ds_store_b32 v193, v68
.LBB1229_736:                           ;   in Loop: Header=BB1229_688 Depth=2
	s_or_b32 exec_lo, exec_lo, s16
	v_cmp_lt_i64_e32 vcc_lo, -1, v[62:63]
	v_ashrrev_i32_e32 v69, 31, v63
	; wave barrier
	s_delay_alu instid0(VALU_DEP_1) | instskip(SKIP_1) | instid1(VALU_DEP_1)
	v_xor_b32_e32 v62, v69, v62
	v_cndmask_b32_e64 v68, -1, 0x80000000, vcc_lo
	v_xor_b32_e32 v63, v68, v63
	s_delay_alu instid0(VALU_DEP_1) | instskip(SKIP_2) | instid1(VALU_DEP_1)
	v_cmp_ne_u64_e32 vcc_lo, s[40:41], v[62:63]
	v_cndmask_b32_e32 v69, 0x80000000, v63, vcc_lo
	v_cndmask_b32_e32 v68, 0, v62, vcc_lo
	v_lshrrev_b64 v[68:69], s42, v[68:69]
	s_delay_alu instid0(VALU_DEP_1) | instskip(NEXT) | instid1(VALU_DEP_1)
	v_and_b32_e32 v68, s50, v68
	v_and_b32_e32 v69, 1, v68
	v_lshlrev_b32_e32 v70, 30, v68
	v_lshlrev_b32_e32 v71, 29, v68
	;; [unrolled: 1-line block ×4, first 2 shown]
	v_add_co_u32 v69, s16, v69, -1
	s_delay_alu instid0(VALU_DEP_1)
	v_cndmask_b32_e64 v73, 0, 1, s16
	v_not_b32_e32 v195, v70
	v_cmp_gt_i32_e64 s16, 0, v70
	v_not_b32_e32 v70, v71
	v_lshlrev_b32_e32 v75, 26, v68
	v_cmp_ne_u32_e32 vcc_lo, 0, v73
	v_ashrrev_i32_e32 v195, 31, v195
	v_lshlrev_b32_e32 v194, 25, v68
	v_ashrrev_i32_e32 v70, 31, v70
	v_lshlrev_b32_e32 v73, 24, v68
	v_xor_b32_e32 v69, vcc_lo, v69
	v_cmp_gt_i32_e32 vcc_lo, 0, v71
	v_not_b32_e32 v71, v72
	v_xor_b32_e32 v195, s16, v195
	v_cmp_gt_i32_e64 s16, 0, v72
	v_and_b32_e32 v69, exec_lo, v69
	v_not_b32_e32 v72, v74
	v_ashrrev_i32_e32 v71, 31, v71
	v_xor_b32_e32 v70, vcc_lo, v70
	v_cmp_gt_i32_e32 vcc_lo, 0, v74
	v_and_b32_e32 v69, v69, v195
	v_not_b32_e32 v74, v75
	v_ashrrev_i32_e32 v72, 31, v72
	v_xor_b32_e32 v71, s16, v71
	v_cmp_gt_i32_e64 s16, 0, v75
	v_and_b32_e32 v69, v69, v70
	v_not_b32_e32 v70, v194
	v_ashrrev_i32_e32 v74, 31, v74
	v_xor_b32_e32 v72, vcc_lo, v72
	v_cmp_gt_i32_e32 vcc_lo, 0, v194
	v_and_b32_e32 v69, v69, v71
	v_not_b32_e32 v71, v73
	v_ashrrev_i32_e32 v70, 31, v70
	v_xor_b32_e32 v74, s16, v74
	v_mul_u32_u24_e32 v68, 9, v68
	v_and_b32_e32 v69, v69, v72
	v_cmp_gt_i32_e64 s16, 0, v73
	v_ashrrev_i32_e32 v71, 31, v71
	v_xor_b32_e32 v70, vcc_lo, v70
	v_add_lshl_u32 v72, v68, v158, 2
	v_and_b32_e32 v69, v69, v74
	s_delay_alu instid0(VALU_DEP_4) | instskip(SKIP_3) | instid1(VALU_DEP_2)
	v_xor_b32_e32 v68, s16, v71
	ds_load_b32 v194, v72 offset:1056
	v_and_b32_e32 v69, v69, v70
	v_add_nc_u32_e32 v196, 0x420, v72
	; wave barrier
	v_and_b32_e32 v68, v69, v68
	s_delay_alu instid0(VALU_DEP_1) | instskip(SKIP_1) | instid1(VALU_DEP_2)
	v_mbcnt_lo_u32_b32 v195, v68, 0
	v_cmp_ne_u32_e64 s16, 0, v68
	v_cmp_eq_u32_e32 vcc_lo, 0, v195
	s_delay_alu instid0(VALU_DEP_2) | instskip(NEXT) | instid1(SALU_CYCLE_1)
	s_and_b32 s17, s16, vcc_lo
	s_and_saveexec_b32 s16, s17
	s_cbranch_execz .LBB1229_738
; %bb.737:                              ;   in Loop: Header=BB1229_688 Depth=2
	s_waitcnt lgkmcnt(0)
	v_bcnt_u32_b32 v68, v68, v194
	ds_store_b32 v196, v68
.LBB1229_738:                           ;   in Loop: Header=BB1229_688 Depth=2
	s_or_b32 exec_lo, exec_lo, s16
	v_cmp_lt_i64_e32 vcc_lo, -1, v[66:67]
	v_ashrrev_i32_e32 v69, 31, v67
	; wave barrier
	s_delay_alu instid0(VALU_DEP_1) | instskip(SKIP_1) | instid1(VALU_DEP_1)
	v_xor_b32_e32 v66, v69, v66
	v_cndmask_b32_e64 v68, -1, 0x80000000, vcc_lo
	v_xor_b32_e32 v67, v68, v67
	s_delay_alu instid0(VALU_DEP_1) | instskip(SKIP_2) | instid1(VALU_DEP_1)
	v_cmp_ne_u64_e32 vcc_lo, s[40:41], v[66:67]
	v_cndmask_b32_e32 v69, 0x80000000, v67, vcc_lo
	v_cndmask_b32_e32 v68, 0, v66, vcc_lo
	v_lshrrev_b64 v[68:69], s42, v[68:69]
	s_delay_alu instid0(VALU_DEP_1) | instskip(NEXT) | instid1(VALU_DEP_1)
	v_and_b32_e32 v68, s50, v68
	v_and_b32_e32 v69, 1, v68
	v_lshlrev_b32_e32 v70, 30, v68
	v_lshlrev_b32_e32 v71, 29, v68
	;; [unrolled: 1-line block ×4, first 2 shown]
	v_add_co_u32 v69, s16, v69, -1
	s_delay_alu instid0(VALU_DEP_1)
	v_cndmask_b32_e64 v73, 0, 1, s16
	v_not_b32_e32 v198, v70
	v_cmp_gt_i32_e64 s16, 0, v70
	v_not_b32_e32 v70, v71
	v_lshlrev_b32_e32 v75, 26, v68
	v_cmp_ne_u32_e32 vcc_lo, 0, v73
	v_ashrrev_i32_e32 v198, 31, v198
	v_lshlrev_b32_e32 v197, 25, v68
	v_ashrrev_i32_e32 v70, 31, v70
	v_lshlrev_b32_e32 v73, 24, v68
	v_xor_b32_e32 v69, vcc_lo, v69
	v_cmp_gt_i32_e32 vcc_lo, 0, v71
	v_not_b32_e32 v71, v72
	v_xor_b32_e32 v198, s16, v198
	v_cmp_gt_i32_e64 s16, 0, v72
	v_and_b32_e32 v69, exec_lo, v69
	v_not_b32_e32 v72, v74
	v_ashrrev_i32_e32 v71, 31, v71
	v_xor_b32_e32 v70, vcc_lo, v70
	v_cmp_gt_i32_e32 vcc_lo, 0, v74
	v_and_b32_e32 v69, v69, v198
	v_not_b32_e32 v74, v75
	v_ashrrev_i32_e32 v72, 31, v72
	v_xor_b32_e32 v71, s16, v71
	v_cmp_gt_i32_e64 s16, 0, v75
	v_and_b32_e32 v69, v69, v70
	v_not_b32_e32 v70, v197
	v_ashrrev_i32_e32 v74, 31, v74
	v_xor_b32_e32 v72, vcc_lo, v72
	v_cmp_gt_i32_e32 vcc_lo, 0, v197
	v_and_b32_e32 v69, v69, v71
	v_not_b32_e32 v71, v73
	v_ashrrev_i32_e32 v70, 31, v70
	v_xor_b32_e32 v74, s16, v74
	v_mul_u32_u24_e32 v68, 9, v68
	v_and_b32_e32 v69, v69, v72
	v_cmp_gt_i32_e64 s16, 0, v73
	v_ashrrev_i32_e32 v71, 31, v71
	v_xor_b32_e32 v70, vcc_lo, v70
	v_add_lshl_u32 v72, v68, v158, 2
	v_and_b32_e32 v69, v69, v74
	s_delay_alu instid0(VALU_DEP_4) | instskip(SKIP_3) | instid1(VALU_DEP_2)
	v_xor_b32_e32 v68, s16, v71
	ds_load_b32 v197, v72 offset:1056
	v_and_b32_e32 v69, v69, v70
	v_add_nc_u32_e32 v199, 0x420, v72
	; wave barrier
	v_and_b32_e32 v68, v69, v68
	s_delay_alu instid0(VALU_DEP_1) | instskip(SKIP_1) | instid1(VALU_DEP_2)
	v_mbcnt_lo_u32_b32 v198, v68, 0
	v_cmp_ne_u32_e64 s16, 0, v68
	v_cmp_eq_u32_e32 vcc_lo, 0, v198
	s_delay_alu instid0(VALU_DEP_2) | instskip(NEXT) | instid1(SALU_CYCLE_1)
	s_and_b32 s17, s16, vcc_lo
	s_and_saveexec_b32 s16, s17
	s_cbranch_execz .LBB1229_740
; %bb.739:                              ;   in Loop: Header=BB1229_688 Depth=2
	s_waitcnt lgkmcnt(0)
	v_bcnt_u32_b32 v68, v68, v197
	ds_store_b32 v199, v68
.LBB1229_740:                           ;   in Loop: Header=BB1229_688 Depth=2
	s_or_b32 exec_lo, exec_lo, s16
	v_cmp_lt_i64_e32 vcc_lo, -1, v[64:65]
	v_ashrrev_i32_e32 v69, 31, v65
	; wave barrier
	s_delay_alu instid0(VALU_DEP_1) | instskip(SKIP_1) | instid1(VALU_DEP_1)
	v_xor_b32_e32 v64, v69, v64
	v_cndmask_b32_e64 v68, -1, 0x80000000, vcc_lo
	v_xor_b32_e32 v65, v68, v65
	s_delay_alu instid0(VALU_DEP_1) | instskip(SKIP_2) | instid1(VALU_DEP_1)
	v_cmp_ne_u64_e32 vcc_lo, s[40:41], v[64:65]
	v_cndmask_b32_e32 v69, 0x80000000, v65, vcc_lo
	v_cndmask_b32_e32 v68, 0, v64, vcc_lo
	v_lshrrev_b64 v[68:69], s42, v[68:69]
	s_delay_alu instid0(VALU_DEP_1) | instskip(NEXT) | instid1(VALU_DEP_1)
	v_and_b32_e32 v68, s50, v68
	v_and_b32_e32 v69, 1, v68
	v_lshlrev_b32_e32 v70, 30, v68
	v_lshlrev_b32_e32 v71, 29, v68
	;; [unrolled: 1-line block ×4, first 2 shown]
	v_add_co_u32 v69, s16, v69, -1
	s_delay_alu instid0(VALU_DEP_1)
	v_cndmask_b32_e64 v73, 0, 1, s16
	v_not_b32_e32 v201, v70
	v_cmp_gt_i32_e64 s16, 0, v70
	v_not_b32_e32 v70, v71
	v_lshlrev_b32_e32 v75, 26, v68
	v_cmp_ne_u32_e32 vcc_lo, 0, v73
	v_ashrrev_i32_e32 v201, 31, v201
	v_lshlrev_b32_e32 v200, 25, v68
	v_ashrrev_i32_e32 v70, 31, v70
	v_lshlrev_b32_e32 v73, 24, v68
	v_xor_b32_e32 v69, vcc_lo, v69
	v_cmp_gt_i32_e32 vcc_lo, 0, v71
	v_not_b32_e32 v71, v72
	v_xor_b32_e32 v201, s16, v201
	v_cmp_gt_i32_e64 s16, 0, v72
	v_and_b32_e32 v69, exec_lo, v69
	v_not_b32_e32 v72, v74
	v_ashrrev_i32_e32 v71, 31, v71
	v_xor_b32_e32 v70, vcc_lo, v70
	v_cmp_gt_i32_e32 vcc_lo, 0, v74
	v_and_b32_e32 v69, v69, v201
	v_not_b32_e32 v74, v75
	v_ashrrev_i32_e32 v72, 31, v72
	v_xor_b32_e32 v71, s16, v71
	v_cmp_gt_i32_e64 s16, 0, v75
	v_and_b32_e32 v69, v69, v70
	v_not_b32_e32 v70, v200
	v_ashrrev_i32_e32 v74, 31, v74
	v_xor_b32_e32 v72, vcc_lo, v72
	v_cmp_gt_i32_e32 vcc_lo, 0, v200
	v_and_b32_e32 v69, v69, v71
	v_not_b32_e32 v71, v73
	v_ashrrev_i32_e32 v70, 31, v70
	v_xor_b32_e32 v74, s16, v74
	v_mul_u32_u24_e32 v68, 9, v68
	v_and_b32_e32 v69, v69, v72
	v_cmp_gt_i32_e64 s16, 0, v73
	v_ashrrev_i32_e32 v71, 31, v71
	v_xor_b32_e32 v70, vcc_lo, v70
	v_add_lshl_u32 v72, v68, v158, 2
	v_and_b32_e32 v69, v69, v74
	s_delay_alu instid0(VALU_DEP_4) | instskip(SKIP_3) | instid1(VALU_DEP_2)
	v_xor_b32_e32 v68, s16, v71
	ds_load_b32 v200, v72 offset:1056
	v_and_b32_e32 v69, v69, v70
	v_add_nc_u32_e32 v202, 0x420, v72
	; wave barrier
	v_and_b32_e32 v68, v69, v68
	s_delay_alu instid0(VALU_DEP_1) | instskip(SKIP_1) | instid1(VALU_DEP_2)
	v_mbcnt_lo_u32_b32 v201, v68, 0
	v_cmp_ne_u32_e64 s16, 0, v68
	v_cmp_eq_u32_e32 vcc_lo, 0, v201
	s_delay_alu instid0(VALU_DEP_2) | instskip(NEXT) | instid1(SALU_CYCLE_1)
	s_and_b32 s17, s16, vcc_lo
	s_and_saveexec_b32 s16, s17
	s_cbranch_execz .LBB1229_742
; %bb.741:                              ;   in Loop: Header=BB1229_688 Depth=2
	s_waitcnt lgkmcnt(0)
	v_bcnt_u32_b32 v68, v68, v200
	ds_store_b32 v202, v68
.LBB1229_742:                           ;   in Loop: Header=BB1229_688 Depth=2
	s_or_b32 exec_lo, exec_lo, s16
	v_cmp_lt_i64_e32 vcc_lo, -1, v[60:61]
	v_ashrrev_i32_e32 v69, 31, v61
	; wave barrier
	s_delay_alu instid0(VALU_DEP_1) | instskip(SKIP_1) | instid1(VALU_DEP_1)
	v_xor_b32_e32 v60, v69, v60
	v_cndmask_b32_e64 v68, -1, 0x80000000, vcc_lo
	v_xor_b32_e32 v61, v68, v61
	s_delay_alu instid0(VALU_DEP_1) | instskip(SKIP_2) | instid1(VALU_DEP_1)
	v_cmp_ne_u64_e32 vcc_lo, s[40:41], v[60:61]
	v_cndmask_b32_e32 v69, 0x80000000, v61, vcc_lo
	v_cndmask_b32_e32 v68, 0, v60, vcc_lo
	v_lshrrev_b64 v[68:69], s42, v[68:69]
	s_delay_alu instid0(VALU_DEP_1) | instskip(NEXT) | instid1(VALU_DEP_1)
	v_and_b32_e32 v68, s50, v68
	v_and_b32_e32 v69, 1, v68
	v_lshlrev_b32_e32 v70, 30, v68
	v_lshlrev_b32_e32 v71, 29, v68
	;; [unrolled: 1-line block ×4, first 2 shown]
	v_add_co_u32 v69, s16, v69, -1
	s_delay_alu instid0(VALU_DEP_1)
	v_cndmask_b32_e64 v73, 0, 1, s16
	v_not_b32_e32 v204, v70
	v_cmp_gt_i32_e64 s16, 0, v70
	v_not_b32_e32 v70, v71
	v_lshlrev_b32_e32 v75, 26, v68
	v_cmp_ne_u32_e32 vcc_lo, 0, v73
	v_ashrrev_i32_e32 v204, 31, v204
	v_lshlrev_b32_e32 v203, 25, v68
	v_ashrrev_i32_e32 v70, 31, v70
	v_lshlrev_b32_e32 v73, 24, v68
	v_xor_b32_e32 v69, vcc_lo, v69
	v_cmp_gt_i32_e32 vcc_lo, 0, v71
	v_not_b32_e32 v71, v72
	v_xor_b32_e32 v204, s16, v204
	v_cmp_gt_i32_e64 s16, 0, v72
	v_and_b32_e32 v69, exec_lo, v69
	v_not_b32_e32 v72, v74
	v_ashrrev_i32_e32 v71, 31, v71
	v_xor_b32_e32 v70, vcc_lo, v70
	v_cmp_gt_i32_e32 vcc_lo, 0, v74
	v_and_b32_e32 v69, v69, v204
	v_not_b32_e32 v74, v75
	v_ashrrev_i32_e32 v72, 31, v72
	v_xor_b32_e32 v71, s16, v71
	v_cmp_gt_i32_e64 s16, 0, v75
	v_and_b32_e32 v69, v69, v70
	v_not_b32_e32 v70, v203
	v_ashrrev_i32_e32 v74, 31, v74
	v_xor_b32_e32 v72, vcc_lo, v72
	v_cmp_gt_i32_e32 vcc_lo, 0, v203
	v_and_b32_e32 v69, v69, v71
	v_not_b32_e32 v71, v73
	v_ashrrev_i32_e32 v70, 31, v70
	v_xor_b32_e32 v74, s16, v74
	v_mul_u32_u24_e32 v68, 9, v68
	v_and_b32_e32 v69, v69, v72
	v_cmp_gt_i32_e64 s16, 0, v73
	v_ashrrev_i32_e32 v71, 31, v71
	v_xor_b32_e32 v70, vcc_lo, v70
	v_add_lshl_u32 v72, v68, v158, 2
	v_and_b32_e32 v69, v69, v74
	s_delay_alu instid0(VALU_DEP_4) | instskip(SKIP_3) | instid1(VALU_DEP_2)
	v_xor_b32_e32 v68, s16, v71
	ds_load_b32 v203, v72 offset:1056
	v_and_b32_e32 v69, v69, v70
	v_add_nc_u32_e32 v205, 0x420, v72
	; wave barrier
	v_and_b32_e32 v68, v69, v68
	s_delay_alu instid0(VALU_DEP_1) | instskip(SKIP_1) | instid1(VALU_DEP_2)
	v_mbcnt_lo_u32_b32 v204, v68, 0
	v_cmp_ne_u32_e64 s16, 0, v68
	v_cmp_eq_u32_e32 vcc_lo, 0, v204
	s_delay_alu instid0(VALU_DEP_2) | instskip(NEXT) | instid1(SALU_CYCLE_1)
	s_and_b32 s17, s16, vcc_lo
	s_and_saveexec_b32 s16, s17
	s_cbranch_execz .LBB1229_744
; %bb.743:                              ;   in Loop: Header=BB1229_688 Depth=2
	s_waitcnt lgkmcnt(0)
	v_bcnt_u32_b32 v68, v68, v203
	ds_store_b32 v205, v68
.LBB1229_744:                           ;   in Loop: Header=BB1229_688 Depth=2
	s_or_b32 exec_lo, exec_lo, s16
	v_cmp_lt_i64_e32 vcc_lo, -1, v[56:57]
	v_ashrrev_i32_e32 v69, 31, v57
	; wave barrier
	s_delay_alu instid0(VALU_DEP_1) | instskip(SKIP_1) | instid1(VALU_DEP_1)
	v_xor_b32_e32 v56, v69, v56
	v_cndmask_b32_e64 v68, -1, 0x80000000, vcc_lo
	v_xor_b32_e32 v57, v68, v57
	s_delay_alu instid0(VALU_DEP_1) | instskip(SKIP_2) | instid1(VALU_DEP_1)
	v_cmp_ne_u64_e32 vcc_lo, s[40:41], v[56:57]
	v_cndmask_b32_e32 v69, 0x80000000, v57, vcc_lo
	v_cndmask_b32_e32 v68, 0, v56, vcc_lo
	v_lshrrev_b64 v[68:69], s42, v[68:69]
	s_delay_alu instid0(VALU_DEP_1) | instskip(NEXT) | instid1(VALU_DEP_1)
	v_and_b32_e32 v68, s50, v68
	v_and_b32_e32 v69, 1, v68
	v_lshlrev_b32_e32 v70, 30, v68
	v_lshlrev_b32_e32 v71, 29, v68
	;; [unrolled: 1-line block ×4, first 2 shown]
	v_add_co_u32 v69, s16, v69, -1
	s_delay_alu instid0(VALU_DEP_1)
	v_cndmask_b32_e64 v73, 0, 1, s16
	v_not_b32_e32 v207, v70
	v_cmp_gt_i32_e64 s16, 0, v70
	v_not_b32_e32 v70, v71
	v_lshlrev_b32_e32 v75, 26, v68
	v_cmp_ne_u32_e32 vcc_lo, 0, v73
	v_ashrrev_i32_e32 v207, 31, v207
	v_lshlrev_b32_e32 v206, 25, v68
	v_ashrrev_i32_e32 v70, 31, v70
	v_lshlrev_b32_e32 v73, 24, v68
	v_xor_b32_e32 v69, vcc_lo, v69
	v_cmp_gt_i32_e32 vcc_lo, 0, v71
	v_not_b32_e32 v71, v72
	v_xor_b32_e32 v207, s16, v207
	v_cmp_gt_i32_e64 s16, 0, v72
	v_and_b32_e32 v69, exec_lo, v69
	v_not_b32_e32 v72, v74
	v_ashrrev_i32_e32 v71, 31, v71
	v_xor_b32_e32 v70, vcc_lo, v70
	v_cmp_gt_i32_e32 vcc_lo, 0, v74
	v_and_b32_e32 v69, v69, v207
	v_not_b32_e32 v74, v75
	v_ashrrev_i32_e32 v72, 31, v72
	v_xor_b32_e32 v71, s16, v71
	v_cmp_gt_i32_e64 s16, 0, v75
	v_and_b32_e32 v69, v69, v70
	v_not_b32_e32 v70, v206
	v_ashrrev_i32_e32 v74, 31, v74
	v_xor_b32_e32 v72, vcc_lo, v72
	v_cmp_gt_i32_e32 vcc_lo, 0, v206
	v_and_b32_e32 v69, v69, v71
	v_not_b32_e32 v71, v73
	v_ashrrev_i32_e32 v70, 31, v70
	v_xor_b32_e32 v74, s16, v74
	v_mul_u32_u24_e32 v68, 9, v68
	v_and_b32_e32 v69, v69, v72
	v_cmp_gt_i32_e64 s16, 0, v73
	v_ashrrev_i32_e32 v71, 31, v71
	v_xor_b32_e32 v70, vcc_lo, v70
	v_add_lshl_u32 v72, v68, v158, 2
	v_and_b32_e32 v69, v69, v74
	s_delay_alu instid0(VALU_DEP_4) | instskip(SKIP_3) | instid1(VALU_DEP_2)
	v_xor_b32_e32 v68, s16, v71
	ds_load_b32 v206, v72 offset:1056
	v_and_b32_e32 v69, v69, v70
	v_add_nc_u32_e32 v208, 0x420, v72
	; wave barrier
	v_and_b32_e32 v68, v69, v68
	s_delay_alu instid0(VALU_DEP_1) | instskip(SKIP_1) | instid1(VALU_DEP_2)
	v_mbcnt_lo_u32_b32 v207, v68, 0
	v_cmp_ne_u32_e64 s16, 0, v68
	v_cmp_eq_u32_e32 vcc_lo, 0, v207
	s_delay_alu instid0(VALU_DEP_2) | instskip(NEXT) | instid1(SALU_CYCLE_1)
	s_and_b32 s17, s16, vcc_lo
	s_and_saveexec_b32 s16, s17
	s_cbranch_execz .LBB1229_746
; %bb.745:                              ;   in Loop: Header=BB1229_688 Depth=2
	s_waitcnt lgkmcnt(0)
	v_bcnt_u32_b32 v68, v68, v206
	ds_store_b32 v208, v68
.LBB1229_746:                           ;   in Loop: Header=BB1229_688 Depth=2
	s_or_b32 exec_lo, exec_lo, s16
	v_cmp_lt_i64_e32 vcc_lo, -1, v[54:55]
	v_ashrrev_i32_e32 v69, 31, v55
	; wave barrier
	s_delay_alu instid0(VALU_DEP_1) | instskip(SKIP_1) | instid1(VALU_DEP_1)
	v_xor_b32_e32 v54, v69, v54
	v_cndmask_b32_e64 v68, -1, 0x80000000, vcc_lo
	v_xor_b32_e32 v55, v68, v55
	s_delay_alu instid0(VALU_DEP_1) | instskip(SKIP_2) | instid1(VALU_DEP_1)
	v_cmp_ne_u64_e32 vcc_lo, s[40:41], v[54:55]
	v_cndmask_b32_e32 v69, 0x80000000, v55, vcc_lo
	v_cndmask_b32_e32 v68, 0, v54, vcc_lo
	v_lshrrev_b64 v[68:69], s42, v[68:69]
	s_delay_alu instid0(VALU_DEP_1) | instskip(NEXT) | instid1(VALU_DEP_1)
	v_and_b32_e32 v68, s50, v68
	v_and_b32_e32 v69, 1, v68
	v_lshlrev_b32_e32 v70, 30, v68
	v_lshlrev_b32_e32 v71, 29, v68
	;; [unrolled: 1-line block ×4, first 2 shown]
	v_add_co_u32 v69, s16, v69, -1
	s_delay_alu instid0(VALU_DEP_1)
	v_cndmask_b32_e64 v73, 0, 1, s16
	v_not_b32_e32 v210, v70
	v_cmp_gt_i32_e64 s16, 0, v70
	v_not_b32_e32 v70, v71
	v_lshlrev_b32_e32 v75, 26, v68
	v_cmp_ne_u32_e32 vcc_lo, 0, v73
	v_ashrrev_i32_e32 v210, 31, v210
	v_lshlrev_b32_e32 v209, 25, v68
	v_ashrrev_i32_e32 v70, 31, v70
	v_lshlrev_b32_e32 v73, 24, v68
	v_xor_b32_e32 v69, vcc_lo, v69
	v_cmp_gt_i32_e32 vcc_lo, 0, v71
	v_not_b32_e32 v71, v72
	v_xor_b32_e32 v210, s16, v210
	v_cmp_gt_i32_e64 s16, 0, v72
	v_and_b32_e32 v69, exec_lo, v69
	v_not_b32_e32 v72, v74
	v_ashrrev_i32_e32 v71, 31, v71
	v_xor_b32_e32 v70, vcc_lo, v70
	v_cmp_gt_i32_e32 vcc_lo, 0, v74
	v_and_b32_e32 v69, v69, v210
	v_not_b32_e32 v74, v75
	v_ashrrev_i32_e32 v72, 31, v72
	v_xor_b32_e32 v71, s16, v71
	v_cmp_gt_i32_e64 s16, 0, v75
	v_and_b32_e32 v69, v69, v70
	v_not_b32_e32 v70, v209
	v_ashrrev_i32_e32 v74, 31, v74
	v_xor_b32_e32 v72, vcc_lo, v72
	v_cmp_gt_i32_e32 vcc_lo, 0, v209
	v_and_b32_e32 v69, v69, v71
	v_not_b32_e32 v71, v73
	v_ashrrev_i32_e32 v70, 31, v70
	v_xor_b32_e32 v74, s16, v74
	v_mul_u32_u24_e32 v68, 9, v68
	v_and_b32_e32 v69, v69, v72
	v_cmp_gt_i32_e64 s16, 0, v73
	v_ashrrev_i32_e32 v71, 31, v71
	v_xor_b32_e32 v70, vcc_lo, v70
	v_add_lshl_u32 v72, v68, v158, 2
	v_and_b32_e32 v69, v69, v74
	s_delay_alu instid0(VALU_DEP_4) | instskip(SKIP_3) | instid1(VALU_DEP_2)
	v_xor_b32_e32 v68, s16, v71
	ds_load_b32 v209, v72 offset:1056
	v_and_b32_e32 v69, v69, v70
	v_add_nc_u32_e32 v211, 0x420, v72
	; wave barrier
	v_and_b32_e32 v68, v69, v68
	s_delay_alu instid0(VALU_DEP_1) | instskip(SKIP_1) | instid1(VALU_DEP_2)
	v_mbcnt_lo_u32_b32 v210, v68, 0
	v_cmp_ne_u32_e64 s16, 0, v68
	v_cmp_eq_u32_e32 vcc_lo, 0, v210
	s_delay_alu instid0(VALU_DEP_2) | instskip(NEXT) | instid1(SALU_CYCLE_1)
	s_and_b32 s17, s16, vcc_lo
	s_and_saveexec_b32 s16, s17
	s_cbranch_execz .LBB1229_748
; %bb.747:                              ;   in Loop: Header=BB1229_688 Depth=2
	s_waitcnt lgkmcnt(0)
	v_bcnt_u32_b32 v68, v68, v209
	ds_store_b32 v211, v68
.LBB1229_748:                           ;   in Loop: Header=BB1229_688 Depth=2
	s_or_b32 exec_lo, exec_lo, s16
	v_cmp_lt_i64_e32 vcc_lo, -1, v[50:51]
	v_ashrrev_i32_e32 v69, 31, v51
	; wave barrier
	s_delay_alu instid0(VALU_DEP_1) | instskip(SKIP_1) | instid1(VALU_DEP_1)
	v_xor_b32_e32 v50, v69, v50
	v_cndmask_b32_e64 v68, -1, 0x80000000, vcc_lo
	v_xor_b32_e32 v51, v68, v51
	s_delay_alu instid0(VALU_DEP_1) | instskip(SKIP_2) | instid1(VALU_DEP_1)
	v_cmp_ne_u64_e32 vcc_lo, s[40:41], v[50:51]
	v_cndmask_b32_e32 v69, 0x80000000, v51, vcc_lo
	v_cndmask_b32_e32 v68, 0, v50, vcc_lo
	v_lshrrev_b64 v[68:69], s42, v[68:69]
	s_delay_alu instid0(VALU_DEP_1) | instskip(NEXT) | instid1(VALU_DEP_1)
	v_and_b32_e32 v68, s50, v68
	v_and_b32_e32 v69, 1, v68
	v_lshlrev_b32_e32 v70, 30, v68
	v_lshlrev_b32_e32 v71, 29, v68
	;; [unrolled: 1-line block ×4, first 2 shown]
	v_add_co_u32 v69, s16, v69, -1
	s_delay_alu instid0(VALU_DEP_1)
	v_cndmask_b32_e64 v73, 0, 1, s16
	v_not_b32_e32 v213, v70
	v_cmp_gt_i32_e64 s16, 0, v70
	v_not_b32_e32 v70, v71
	v_lshlrev_b32_e32 v75, 26, v68
	v_cmp_ne_u32_e32 vcc_lo, 0, v73
	v_ashrrev_i32_e32 v213, 31, v213
	v_lshlrev_b32_e32 v212, 25, v68
	v_ashrrev_i32_e32 v70, 31, v70
	v_lshlrev_b32_e32 v73, 24, v68
	v_xor_b32_e32 v69, vcc_lo, v69
	v_cmp_gt_i32_e32 vcc_lo, 0, v71
	v_not_b32_e32 v71, v72
	v_xor_b32_e32 v213, s16, v213
	v_cmp_gt_i32_e64 s16, 0, v72
	v_and_b32_e32 v69, exec_lo, v69
	v_not_b32_e32 v72, v74
	v_ashrrev_i32_e32 v71, 31, v71
	v_xor_b32_e32 v70, vcc_lo, v70
	v_cmp_gt_i32_e32 vcc_lo, 0, v74
	v_and_b32_e32 v69, v69, v213
	v_not_b32_e32 v74, v75
	v_ashrrev_i32_e32 v72, 31, v72
	v_xor_b32_e32 v71, s16, v71
	v_cmp_gt_i32_e64 s16, 0, v75
	v_and_b32_e32 v69, v69, v70
	v_not_b32_e32 v70, v212
	v_ashrrev_i32_e32 v74, 31, v74
	v_xor_b32_e32 v72, vcc_lo, v72
	v_cmp_gt_i32_e32 vcc_lo, 0, v212
	v_and_b32_e32 v69, v69, v71
	v_not_b32_e32 v71, v73
	v_ashrrev_i32_e32 v70, 31, v70
	v_xor_b32_e32 v74, s16, v74
	v_mul_u32_u24_e32 v68, 9, v68
	v_and_b32_e32 v69, v69, v72
	v_cmp_gt_i32_e64 s16, 0, v73
	v_ashrrev_i32_e32 v71, 31, v71
	v_xor_b32_e32 v70, vcc_lo, v70
	v_add_lshl_u32 v72, v68, v158, 2
	v_and_b32_e32 v69, v69, v74
	s_delay_alu instid0(VALU_DEP_4) | instskip(SKIP_3) | instid1(VALU_DEP_2)
	v_xor_b32_e32 v68, s16, v71
	ds_load_b32 v212, v72 offset:1056
	v_and_b32_e32 v69, v69, v70
	v_add_nc_u32_e32 v214, 0x420, v72
	; wave barrier
	v_and_b32_e32 v68, v69, v68
	s_delay_alu instid0(VALU_DEP_1) | instskip(SKIP_1) | instid1(VALU_DEP_2)
	v_mbcnt_lo_u32_b32 v213, v68, 0
	v_cmp_ne_u32_e64 s16, 0, v68
	v_cmp_eq_u32_e32 vcc_lo, 0, v213
	s_delay_alu instid0(VALU_DEP_2) | instskip(NEXT) | instid1(SALU_CYCLE_1)
	s_and_b32 s17, s16, vcc_lo
	s_and_saveexec_b32 s16, s17
	s_cbranch_execz .LBB1229_750
; %bb.749:                              ;   in Loop: Header=BB1229_688 Depth=2
	s_waitcnt lgkmcnt(0)
	v_bcnt_u32_b32 v68, v68, v212
	ds_store_b32 v214, v68
.LBB1229_750:                           ;   in Loop: Header=BB1229_688 Depth=2
	s_or_b32 exec_lo, exec_lo, s16
	v_cmp_lt_i64_e32 vcc_lo, -1, v[46:47]
	v_ashrrev_i32_e32 v69, 31, v47
	; wave barrier
	s_delay_alu instid0(VALU_DEP_1) | instskip(SKIP_1) | instid1(VALU_DEP_1)
	v_xor_b32_e32 v46, v69, v46
	v_cndmask_b32_e64 v68, -1, 0x80000000, vcc_lo
	v_xor_b32_e32 v47, v68, v47
	s_delay_alu instid0(VALU_DEP_1) | instskip(SKIP_2) | instid1(VALU_DEP_1)
	v_cmp_ne_u64_e32 vcc_lo, s[40:41], v[46:47]
	v_cndmask_b32_e32 v69, 0x80000000, v47, vcc_lo
	v_cndmask_b32_e32 v68, 0, v46, vcc_lo
	v_lshrrev_b64 v[68:69], s42, v[68:69]
	s_delay_alu instid0(VALU_DEP_1) | instskip(NEXT) | instid1(VALU_DEP_1)
	v_and_b32_e32 v68, s50, v68
	v_and_b32_e32 v69, 1, v68
	v_lshlrev_b32_e32 v70, 30, v68
	v_lshlrev_b32_e32 v71, 29, v68
	;; [unrolled: 1-line block ×4, first 2 shown]
	v_add_co_u32 v69, s16, v69, -1
	s_delay_alu instid0(VALU_DEP_1)
	v_cndmask_b32_e64 v73, 0, 1, s16
	v_not_b32_e32 v216, v70
	v_cmp_gt_i32_e64 s16, 0, v70
	v_not_b32_e32 v70, v71
	v_lshlrev_b32_e32 v75, 26, v68
	v_cmp_ne_u32_e32 vcc_lo, 0, v73
	v_ashrrev_i32_e32 v216, 31, v216
	v_lshlrev_b32_e32 v215, 25, v68
	v_ashrrev_i32_e32 v70, 31, v70
	v_lshlrev_b32_e32 v73, 24, v68
	v_xor_b32_e32 v69, vcc_lo, v69
	v_cmp_gt_i32_e32 vcc_lo, 0, v71
	v_not_b32_e32 v71, v72
	v_xor_b32_e32 v216, s16, v216
	v_cmp_gt_i32_e64 s16, 0, v72
	v_and_b32_e32 v69, exec_lo, v69
	v_not_b32_e32 v72, v74
	v_ashrrev_i32_e32 v71, 31, v71
	v_xor_b32_e32 v70, vcc_lo, v70
	v_cmp_gt_i32_e32 vcc_lo, 0, v74
	v_and_b32_e32 v69, v69, v216
	v_not_b32_e32 v74, v75
	v_ashrrev_i32_e32 v72, 31, v72
	v_xor_b32_e32 v71, s16, v71
	v_cmp_gt_i32_e64 s16, 0, v75
	v_and_b32_e32 v69, v69, v70
	v_not_b32_e32 v70, v215
	v_ashrrev_i32_e32 v74, 31, v74
	v_xor_b32_e32 v72, vcc_lo, v72
	v_cmp_gt_i32_e32 vcc_lo, 0, v215
	v_and_b32_e32 v69, v69, v71
	v_not_b32_e32 v71, v73
	v_ashrrev_i32_e32 v70, 31, v70
	v_xor_b32_e32 v74, s16, v74
	v_mul_u32_u24_e32 v68, 9, v68
	v_and_b32_e32 v69, v69, v72
	v_cmp_gt_i32_e64 s16, 0, v73
	v_ashrrev_i32_e32 v71, 31, v71
	v_xor_b32_e32 v70, vcc_lo, v70
	v_add_lshl_u32 v72, v68, v158, 2
	v_and_b32_e32 v69, v69, v74
	s_delay_alu instid0(VALU_DEP_4) | instskip(SKIP_3) | instid1(VALU_DEP_2)
	v_xor_b32_e32 v68, s16, v71
	ds_load_b32 v215, v72 offset:1056
	v_and_b32_e32 v69, v69, v70
	v_add_nc_u32_e32 v217, 0x420, v72
	; wave barrier
	v_and_b32_e32 v68, v69, v68
	s_delay_alu instid0(VALU_DEP_1) | instskip(SKIP_1) | instid1(VALU_DEP_2)
	v_mbcnt_lo_u32_b32 v216, v68, 0
	v_cmp_ne_u32_e64 s16, 0, v68
	v_cmp_eq_u32_e32 vcc_lo, 0, v216
	s_delay_alu instid0(VALU_DEP_2) | instskip(NEXT) | instid1(SALU_CYCLE_1)
	s_and_b32 s17, s16, vcc_lo
	s_and_saveexec_b32 s16, s17
	s_cbranch_execz .LBB1229_752
; %bb.751:                              ;   in Loop: Header=BB1229_688 Depth=2
	s_waitcnt lgkmcnt(0)
	v_bcnt_u32_b32 v68, v68, v215
	ds_store_b32 v217, v68
.LBB1229_752:                           ;   in Loop: Header=BB1229_688 Depth=2
	s_or_b32 exec_lo, exec_lo, s16
	v_cmp_lt_i64_e32 vcc_lo, -1, v[40:41]
	v_ashrrev_i32_e32 v69, 31, v41
	; wave barrier
	s_delay_alu instid0(VALU_DEP_1) | instskip(SKIP_1) | instid1(VALU_DEP_1)
	v_xor_b32_e32 v40, v69, v40
	v_cndmask_b32_e64 v68, -1, 0x80000000, vcc_lo
	v_xor_b32_e32 v41, v68, v41
	s_delay_alu instid0(VALU_DEP_1) | instskip(SKIP_2) | instid1(VALU_DEP_1)
	v_cmp_ne_u64_e32 vcc_lo, s[40:41], v[40:41]
	v_cndmask_b32_e32 v69, 0x80000000, v41, vcc_lo
	v_cndmask_b32_e32 v68, 0, v40, vcc_lo
	v_lshrrev_b64 v[68:69], s42, v[68:69]
	s_delay_alu instid0(VALU_DEP_1) | instskip(NEXT) | instid1(VALU_DEP_1)
	v_and_b32_e32 v68, s50, v68
	v_and_b32_e32 v69, 1, v68
	v_lshlrev_b32_e32 v70, 30, v68
	v_lshlrev_b32_e32 v71, 29, v68
	;; [unrolled: 1-line block ×4, first 2 shown]
	v_add_co_u32 v69, s16, v69, -1
	s_delay_alu instid0(VALU_DEP_1)
	v_cndmask_b32_e64 v73, 0, 1, s16
	v_not_b32_e32 v219, v70
	v_cmp_gt_i32_e64 s16, 0, v70
	v_not_b32_e32 v70, v71
	v_lshlrev_b32_e32 v75, 26, v68
	v_cmp_ne_u32_e32 vcc_lo, 0, v73
	v_ashrrev_i32_e32 v219, 31, v219
	v_lshlrev_b32_e32 v218, 25, v68
	v_ashrrev_i32_e32 v70, 31, v70
	v_lshlrev_b32_e32 v73, 24, v68
	v_xor_b32_e32 v69, vcc_lo, v69
	v_cmp_gt_i32_e32 vcc_lo, 0, v71
	v_not_b32_e32 v71, v72
	v_xor_b32_e32 v219, s16, v219
	v_cmp_gt_i32_e64 s16, 0, v72
	v_and_b32_e32 v69, exec_lo, v69
	v_not_b32_e32 v72, v74
	v_ashrrev_i32_e32 v71, 31, v71
	v_xor_b32_e32 v70, vcc_lo, v70
	v_cmp_gt_i32_e32 vcc_lo, 0, v74
	v_and_b32_e32 v69, v69, v219
	v_not_b32_e32 v74, v75
	v_ashrrev_i32_e32 v72, 31, v72
	v_xor_b32_e32 v71, s16, v71
	v_cmp_gt_i32_e64 s16, 0, v75
	v_and_b32_e32 v69, v69, v70
	v_not_b32_e32 v70, v218
	v_ashrrev_i32_e32 v74, 31, v74
	v_xor_b32_e32 v72, vcc_lo, v72
	v_cmp_gt_i32_e32 vcc_lo, 0, v218
	v_and_b32_e32 v69, v69, v71
	v_not_b32_e32 v71, v73
	v_ashrrev_i32_e32 v70, 31, v70
	v_xor_b32_e32 v74, s16, v74
	v_mul_u32_u24_e32 v68, 9, v68
	v_and_b32_e32 v69, v69, v72
	v_cmp_gt_i32_e64 s16, 0, v73
	v_ashrrev_i32_e32 v71, 31, v71
	v_xor_b32_e32 v70, vcc_lo, v70
	v_add_lshl_u32 v72, v68, v158, 2
	v_and_b32_e32 v69, v69, v74
	s_delay_alu instid0(VALU_DEP_4) | instskip(SKIP_3) | instid1(VALU_DEP_2)
	v_xor_b32_e32 v68, s16, v71
	ds_load_b32 v218, v72 offset:1056
	v_and_b32_e32 v69, v69, v70
	v_add_nc_u32_e32 v220, 0x420, v72
	; wave barrier
	v_and_b32_e32 v68, v69, v68
	s_delay_alu instid0(VALU_DEP_1) | instskip(SKIP_1) | instid1(VALU_DEP_2)
	v_mbcnt_lo_u32_b32 v219, v68, 0
	v_cmp_ne_u32_e64 s16, 0, v68
	v_cmp_eq_u32_e32 vcc_lo, 0, v219
	s_delay_alu instid0(VALU_DEP_2) | instskip(NEXT) | instid1(SALU_CYCLE_1)
	s_and_b32 s17, s16, vcc_lo
	s_and_saveexec_b32 s16, s17
	s_cbranch_execz .LBB1229_754
; %bb.753:                              ;   in Loop: Header=BB1229_688 Depth=2
	s_waitcnt lgkmcnt(0)
	v_bcnt_u32_b32 v68, v68, v218
	ds_store_b32 v220, v68
.LBB1229_754:                           ;   in Loop: Header=BB1229_688 Depth=2
	s_or_b32 exec_lo, exec_lo, s16
	v_cmp_lt_i64_e32 vcc_lo, -1, v[42:43]
	v_ashrrev_i32_e32 v69, 31, v43
	; wave barrier
	s_delay_alu instid0(VALU_DEP_1) | instskip(SKIP_1) | instid1(VALU_DEP_1)
	v_xor_b32_e32 v42, v69, v42
	v_cndmask_b32_e64 v68, -1, 0x80000000, vcc_lo
	v_xor_b32_e32 v43, v68, v43
	s_delay_alu instid0(VALU_DEP_1) | instskip(SKIP_2) | instid1(VALU_DEP_1)
	v_cmp_ne_u64_e32 vcc_lo, s[40:41], v[42:43]
	v_cndmask_b32_e32 v69, 0x80000000, v43, vcc_lo
	v_cndmask_b32_e32 v68, 0, v42, vcc_lo
	v_lshrrev_b64 v[68:69], s42, v[68:69]
	s_delay_alu instid0(VALU_DEP_1) | instskip(NEXT) | instid1(VALU_DEP_1)
	v_and_b32_e32 v68, s50, v68
	v_and_b32_e32 v69, 1, v68
	v_lshlrev_b32_e32 v70, 30, v68
	v_lshlrev_b32_e32 v71, 29, v68
	v_lshlrev_b32_e32 v72, 28, v68
	v_lshlrev_b32_e32 v74, 27, v68
	v_add_co_u32 v69, s16, v69, -1
	s_delay_alu instid0(VALU_DEP_1)
	v_cndmask_b32_e64 v73, 0, 1, s16
	v_not_b32_e32 v222, v70
	v_cmp_gt_i32_e64 s16, 0, v70
	v_not_b32_e32 v70, v71
	v_lshlrev_b32_e32 v75, 26, v68
	v_cmp_ne_u32_e32 vcc_lo, 0, v73
	v_ashrrev_i32_e32 v222, 31, v222
	v_lshlrev_b32_e32 v221, 25, v68
	v_ashrrev_i32_e32 v70, 31, v70
	v_lshlrev_b32_e32 v73, 24, v68
	v_xor_b32_e32 v69, vcc_lo, v69
	v_cmp_gt_i32_e32 vcc_lo, 0, v71
	v_not_b32_e32 v71, v72
	v_xor_b32_e32 v222, s16, v222
	v_cmp_gt_i32_e64 s16, 0, v72
	v_and_b32_e32 v69, exec_lo, v69
	v_not_b32_e32 v72, v74
	v_ashrrev_i32_e32 v71, 31, v71
	v_xor_b32_e32 v70, vcc_lo, v70
	v_cmp_gt_i32_e32 vcc_lo, 0, v74
	v_and_b32_e32 v69, v69, v222
	v_not_b32_e32 v74, v75
	v_ashrrev_i32_e32 v72, 31, v72
	v_xor_b32_e32 v71, s16, v71
	v_cmp_gt_i32_e64 s16, 0, v75
	v_and_b32_e32 v69, v69, v70
	v_not_b32_e32 v70, v221
	v_ashrrev_i32_e32 v74, 31, v74
	v_xor_b32_e32 v72, vcc_lo, v72
	v_cmp_gt_i32_e32 vcc_lo, 0, v221
	v_and_b32_e32 v69, v69, v71
	v_not_b32_e32 v71, v73
	v_ashrrev_i32_e32 v70, 31, v70
	v_xor_b32_e32 v74, s16, v74
	v_mul_u32_u24_e32 v68, 9, v68
	v_and_b32_e32 v69, v69, v72
	v_cmp_gt_i32_e64 s16, 0, v73
	v_ashrrev_i32_e32 v71, 31, v71
	v_xor_b32_e32 v70, vcc_lo, v70
	v_add_lshl_u32 v72, v68, v158, 2
	v_and_b32_e32 v69, v69, v74
	s_delay_alu instid0(VALU_DEP_4) | instskip(SKIP_3) | instid1(VALU_DEP_2)
	v_xor_b32_e32 v68, s16, v71
	ds_load_b32 v221, v72 offset:1056
	v_and_b32_e32 v69, v69, v70
	v_add_nc_u32_e32 v223, 0x420, v72
	; wave barrier
	v_and_b32_e32 v68, v69, v68
	s_delay_alu instid0(VALU_DEP_1) | instskip(SKIP_1) | instid1(VALU_DEP_2)
	v_mbcnt_lo_u32_b32 v222, v68, 0
	v_cmp_ne_u32_e64 s16, 0, v68
	v_cmp_eq_u32_e32 vcc_lo, 0, v222
	s_delay_alu instid0(VALU_DEP_2) | instskip(NEXT) | instid1(SALU_CYCLE_1)
	s_and_b32 s17, s16, vcc_lo
	s_and_saveexec_b32 s16, s17
	s_cbranch_execz .LBB1229_756
; %bb.755:                              ;   in Loop: Header=BB1229_688 Depth=2
	s_waitcnt lgkmcnt(0)
	v_bcnt_u32_b32 v68, v68, v221
	ds_store_b32 v223, v68
.LBB1229_756:                           ;   in Loop: Header=BB1229_688 Depth=2
	s_or_b32 exec_lo, exec_lo, s16
	; wave barrier
	s_waitcnt lgkmcnt(0)
	s_barrier
	buffer_gl0_inv
	ds_load_b32 v224, v102 offset:1056
	ds_load_2addr_b32 v[74:75], v103 offset0:1 offset1:2
	ds_load_2addr_b32 v[72:73], v103 offset0:3 offset1:4
	ds_load_2addr_b32 v[68:69], v103 offset0:5 offset1:6
	ds_load_2addr_b32 v[70:71], v103 offset0:7 offset1:8
	s_waitcnt lgkmcnt(3)
	v_add3_u32 v225, v74, v224, v75
	s_waitcnt lgkmcnt(2)
	s_delay_alu instid0(VALU_DEP_1) | instskip(SKIP_1) | instid1(VALU_DEP_1)
	v_add3_u32 v225, v225, v72, v73
	s_waitcnt lgkmcnt(1)
	v_add3_u32 v225, v225, v68, v69
	s_waitcnt lgkmcnt(0)
	s_delay_alu instid0(VALU_DEP_1) | instskip(NEXT) | instid1(VALU_DEP_1)
	v_add3_u32 v71, v225, v70, v71
	v_mov_b32_dpp v225, v71 row_shr:1 row_mask:0xf bank_mask:0xf
	s_delay_alu instid0(VALU_DEP_1) | instskip(NEXT) | instid1(VALU_DEP_1)
	v_cndmask_b32_e64 v225, v225, 0, s1
	v_add_nc_u32_e32 v71, v225, v71
	s_delay_alu instid0(VALU_DEP_1) | instskip(NEXT) | instid1(VALU_DEP_1)
	v_mov_b32_dpp v225, v71 row_shr:2 row_mask:0xf bank_mask:0xf
	v_cndmask_b32_e64 v225, 0, v225, s7
	s_delay_alu instid0(VALU_DEP_1) | instskip(NEXT) | instid1(VALU_DEP_1)
	v_add_nc_u32_e32 v71, v71, v225
	v_mov_b32_dpp v225, v71 row_shr:4 row_mask:0xf bank_mask:0xf
	s_delay_alu instid0(VALU_DEP_1) | instskip(NEXT) | instid1(VALU_DEP_1)
	v_cndmask_b32_e64 v225, 0, v225, s8
	v_add_nc_u32_e32 v71, v71, v225
	s_delay_alu instid0(VALU_DEP_1) | instskip(NEXT) | instid1(VALU_DEP_1)
	v_mov_b32_dpp v225, v71 row_shr:8 row_mask:0xf bank_mask:0xf
	v_cndmask_b32_e64 v225, 0, v225, s9
	s_delay_alu instid0(VALU_DEP_1) | instskip(SKIP_3) | instid1(VALU_DEP_1)
	v_add_nc_u32_e32 v71, v71, v225
	ds_swizzle_b32 v225, v71 offset:swizzle(BROADCAST,32,15)
	s_waitcnt lgkmcnt(0)
	v_cndmask_b32_e64 v225, v225, 0, s10
	v_add_nc_u32_e32 v71, v71, v225
	s_and_saveexec_b32 s16, s3
	s_cbranch_execz .LBB1229_758
; %bb.757:                              ;   in Loop: Header=BB1229_688 Depth=2
	ds_store_b32 v94, v71 offset:1024
.LBB1229_758:                           ;   in Loop: Header=BB1229_688 Depth=2
	s_or_b32 exec_lo, exec_lo, s16
	s_waitcnt lgkmcnt(0)
	s_barrier
	buffer_gl0_inv
	s_and_saveexec_b32 s16, s4
	s_cbranch_execz .LBB1229_760
; %bb.759:                              ;   in Loop: Header=BB1229_688 Depth=2
	ds_load_b32 v225, v104 offset:1024
	s_waitcnt lgkmcnt(0)
	v_mov_b32_dpp v226, v225 row_shr:1 row_mask:0xf bank_mask:0xf
	s_delay_alu instid0(VALU_DEP_1) | instskip(NEXT) | instid1(VALU_DEP_1)
	v_cndmask_b32_e64 v226, v226, 0, s12
	v_add_nc_u32_e32 v225, v226, v225
	s_delay_alu instid0(VALU_DEP_1) | instskip(NEXT) | instid1(VALU_DEP_1)
	v_mov_b32_dpp v226, v225 row_shr:2 row_mask:0xf bank_mask:0xf
	v_cndmask_b32_e64 v226, 0, v226, s13
	s_delay_alu instid0(VALU_DEP_1) | instskip(NEXT) | instid1(VALU_DEP_1)
	v_add_nc_u32_e32 v225, v225, v226
	v_mov_b32_dpp v226, v225 row_shr:4 row_mask:0xf bank_mask:0xf
	s_delay_alu instid0(VALU_DEP_1) | instskip(NEXT) | instid1(VALU_DEP_1)
	v_cndmask_b32_e64 v226, 0, v226, s14
	v_add_nc_u32_e32 v225, v225, v226
	ds_store_b32 v104, v225 offset:1024
.LBB1229_760:                           ;   in Loop: Header=BB1229_688 Depth=2
	s_or_b32 exec_lo, exec_lo, s16
	v_mov_b32_e32 v225, 0
	s_waitcnt lgkmcnt(0)
	s_barrier
	buffer_gl0_inv
	s_and_saveexec_b32 s16, s5
	s_cbranch_execz .LBB1229_762
; %bb.761:                              ;   in Loop: Header=BB1229_688 Depth=2
	ds_load_b32 v225, v94 offset:1020
.LBB1229_762:                           ;   in Loop: Header=BB1229_688 Depth=2
	s_or_b32 exec_lo, exec_lo, s16
	s_waitcnt lgkmcnt(0)
	v_add_nc_u32_e32 v71, v225, v71
	ds_bpermute_b32 v71, v137, v71
	s_waitcnt lgkmcnt(0)
	v_cndmask_b32_e64 v71, v71, v225, s11
	s_delay_alu instid0(VALU_DEP_1) | instskip(NEXT) | instid1(VALU_DEP_1)
	v_cndmask_b32_e64 v71, v71, 0, s0
	v_add_nc_u32_e32 v224, v71, v224
	s_delay_alu instid0(VALU_DEP_1) | instskip(NEXT) | instid1(VALU_DEP_1)
	v_add_nc_u32_e32 v74, v224, v74
	v_add_nc_u32_e32 v75, v74, v75
	s_delay_alu instid0(VALU_DEP_1) | instskip(NEXT) | instid1(VALU_DEP_1)
	v_add_nc_u32_e32 v72, v75, v72
	;; [unrolled: 3-line block ×3, first 2 shown]
	v_add_nc_u32_e32 v69, v68, v69
	s_delay_alu instid0(VALU_DEP_1)
	v_add_nc_u32_e32 v70, v69, v70
	ds_store_b32 v102, v71 offset:1056
	ds_store_2addr_b32 v103, v224, v74 offset0:1 offset1:2
	ds_store_2addr_b32 v103, v75, v72 offset0:3 offset1:4
	;; [unrolled: 1-line block ×4, first 2 shown]
	v_mov_b32_e32 v68, 0x1000
	s_waitcnt lgkmcnt(0)
	s_barrier
	buffer_gl0_inv
	ds_load_b32 v70, v181
	ds_load_b32 v71, v184
	;; [unrolled: 1-line block ×16, first 2 shown]
	ds_load_b32 v178, v102 offset:1056
	s_and_saveexec_b32 s16, s6
	s_cbranch_execz .LBB1229_764
; %bb.763:                              ;   in Loop: Header=BB1229_688 Depth=2
	ds_load_b32 v68, v105 offset:1056
.LBB1229_764:                           ;   in Loop: Header=BB1229_688 Depth=2
	s_or_b32 exec_lo, exec_lo, s16
	s_waitcnt lgkmcnt(0)
	s_barrier
	buffer_gl0_inv
	s_and_saveexec_b32 s16, s2
	s_cbranch_execz .LBB1229_766
; %bb.765:                              ;   in Loop: Header=BB1229_688 Depth=2
	ds_load_b32 v202, v76
	s_waitcnt lgkmcnt(0)
	v_sub_nc_u32_e32 v178, v202, v178
	ds_store_b32 v76, v178
.LBB1229_766:                           ;   in Loop: Header=BB1229_688 Depth=2
	s_or_b32 exec_lo, exec_lo, s16
	v_add_nc_u32_e32 v179, v180, v179
	v_add_lshl_u32 v69, v69, v2, 3
	v_add_nc_u32_e32 v2, v183, v182
	v_add_nc_u32_e32 v180, v186, v185
	;; [unrolled: 1-line block ×8, first 2 shown]
	v_add_lshl_u32 v70, v179, v70, 3
	v_add_lshl_u32 v71, v2, v71, 3
	v_add_nc_u32_e32 v200, v201, v200
	v_add_lshl_u32 v72, v180, v72, 3
	v_add_nc_u32_e32 v203, v204, v203
	;; [unrolled: 2-line block ×3, first 2 shown]
	v_add_nc_u32_e32 v202, v219, v218
	v_add_nc_u32_e32 v205, v216, v215
	;; [unrolled: 1-line block ×3, first 2 shown]
	ds_store_b64 v69, v[36:37] offset:1024
	ds_store_b64 v70, v[38:39] offset:1024
	v_add_lshl_u32 v38, v191, v225, 3
	ds_store_b64 v71, v[44:45] offset:1024
	ds_store_b64 v72, v[48:49] offset:1024
	;; [unrolled: 1-line block ×3, first 2 shown]
	v_add_lshl_u32 v39, v194, v224, 3
	v_add_lshl_u32 v44, v197, v199, 3
	;; [unrolled: 1-line block ×6, first 2 shown]
	ds_store_b64 v38, v[58:59] offset:1024
	ds_store_b64 v39, v[62:63] offset:1024
	;; [unrolled: 1-line block ×6, first 2 shown]
	v_add_lshl_u32 v53, v208, v184, 3
	v_add_lshl_u32 v56, v205, v181, 3
	;; [unrolled: 1-line block ×3, first 2 shown]
	ds_store_b64 v52, v[54:55] offset:1024
	v_add_lshl_u32 v54, v178, v74, 3
	v_cmp_lt_u32_e32 vcc_lo, v1, v177
	ds_store_b64 v53, v[50:51] offset:1024
	ds_store_b64 v56, v[46:47] offset:1024
	;; [unrolled: 1-line block ×4, first 2 shown]
	s_waitcnt lgkmcnt(0)
	s_barrier
	buffer_gl0_inv
	s_and_saveexec_b32 s17, vcc_lo
	s_cbranch_execz .LBB1229_782
; %bb.767:                              ;   in Loop: Header=BB1229_688 Depth=2
	v_add_nc_u32_e32 v2, v104, v76
	ds_load_b64 v[36:37], v2 offset:1024
	s_waitcnt lgkmcnt(0)
	v_cmp_ne_u64_e64 s16, s[40:41], v[36:37]
	s_delay_alu instid0(VALU_DEP_1) | instskip(SKIP_2) | instid1(VALU_DEP_2)
	v_cndmask_b32_e64 v41, 0x80000000, v37, s16
	v_cndmask_b32_e64 v40, 0, v36, s16
	v_cmp_lt_i64_e64 s16, -1, v[36:37]
	v_lshrrev_b64 v[40:41], s42, v[40:41]
	s_delay_alu instid0(VALU_DEP_2) | instskip(NEXT) | instid1(VALU_DEP_2)
	v_cndmask_b32_e64 v42, 0x80000000, -1, s16
	v_and_b32_e32 v2, s50, v40
	v_ashrrev_i32_e32 v40, 31, v37
	s_delay_alu instid0(VALU_DEP_3) | instskip(NEXT) | instid1(VALU_DEP_3)
	v_xor_b32_e32 v37, v42, v37
	v_lshlrev_b32_e32 v2, 2, v2
	s_delay_alu instid0(VALU_DEP_3) | instskip(SKIP_4) | instid1(VALU_DEP_1)
	v_not_b32_e32 v43, v40
	ds_load_b32 v2, v2
	v_xor_b32_e32 v36, v43, v36
	s_waitcnt lgkmcnt(0)
	v_add_nc_u32_e32 v2, v2, v1
	v_lshlrev_b64 v[40:41], 3, v[2:3]
	s_delay_alu instid0(VALU_DEP_1) | instskip(NEXT) | instid1(VALU_DEP_1)
	v_add_co_u32 v40, s16, s46, v40
	v_add_co_ci_u32_e64 v41, s16, s47, v41, s16
	global_store_b64 v[40:41], v[36:37], off
	s_or_b32 exec_lo, exec_lo, s17
	v_cmp_lt_u32_e64 s16, v77, v177
	s_delay_alu instid0(VALU_DEP_1)
	s_and_saveexec_b32 s18, s16
	s_cbranch_execnz .LBB1229_783
.LBB1229_768:                           ;   in Loop: Header=BB1229_688 Depth=2
	s_or_b32 exec_lo, exec_lo, s18
	v_cmp_lt_u32_e64 s17, v78, v177
	s_delay_alu instid0(VALU_DEP_1)
	s_and_saveexec_b32 s19, s17
	s_cbranch_execz .LBB1229_784
.LBB1229_769:                           ;   in Loop: Header=BB1229_688 Depth=2
	ds_load_b64 v[36:37], v110 offset:4096
	s_waitcnt lgkmcnt(0)
	v_cmp_ne_u64_e64 s18, s[40:41], v[36:37]
	s_delay_alu instid0(VALU_DEP_1) | instskip(SKIP_2) | instid1(VALU_DEP_2)
	v_cndmask_b32_e64 v41, 0x80000000, v37, s18
	v_cndmask_b32_e64 v40, 0, v36, s18
	v_cmp_lt_i64_e64 s18, -1, v[36:37]
	v_lshrrev_b64 v[40:41], s42, v[40:41]
	s_delay_alu instid0(VALU_DEP_2) | instskip(NEXT) | instid1(VALU_DEP_2)
	v_cndmask_b32_e64 v42, 0x80000000, -1, s18
	v_and_b32_e32 v2, s50, v40
	v_ashrrev_i32_e32 v40, 31, v37
	s_delay_alu instid0(VALU_DEP_3) | instskip(NEXT) | instid1(VALU_DEP_3)
	v_xor_b32_e32 v37, v42, v37
	v_lshlrev_b32_e32 v2, 2, v2
	s_delay_alu instid0(VALU_DEP_3) | instskip(SKIP_4) | instid1(VALU_DEP_1)
	v_not_b32_e32 v43, v40
	ds_load_b32 v2, v2
	v_xor_b32_e32 v36, v43, v36
	s_waitcnt lgkmcnt(0)
	v_add_nc_u32_e32 v2, v2, v78
	v_lshlrev_b64 v[40:41], 3, v[2:3]
	s_delay_alu instid0(VALU_DEP_1) | instskip(NEXT) | instid1(VALU_DEP_1)
	v_add_co_u32 v40, s18, s46, v40
	v_add_co_ci_u32_e64 v41, s18, s47, v41, s18
	global_store_b64 v[40:41], v[36:37], off
	s_or_b32 exec_lo, exec_lo, s19
	v_cmp_lt_u32_e64 s18, v79, v177
	s_delay_alu instid0(VALU_DEP_1)
	s_and_saveexec_b32 s20, s18
	s_cbranch_execnz .LBB1229_785
.LBB1229_770:                           ;   in Loop: Header=BB1229_688 Depth=2
	s_or_b32 exec_lo, exec_lo, s20
	v_cmp_lt_u32_e64 s19, v83, v177
	s_delay_alu instid0(VALU_DEP_1)
	s_and_saveexec_b32 s21, s19
	s_cbranch_execz .LBB1229_786
.LBB1229_771:                           ;   in Loop: Header=BB1229_688 Depth=2
	ds_load_b64 v[36:37], v110 offset:8192
	s_waitcnt lgkmcnt(0)
	v_cmp_ne_u64_e64 s20, s[40:41], v[36:37]
	s_delay_alu instid0(VALU_DEP_1) | instskip(SKIP_2) | instid1(VALU_DEP_2)
	v_cndmask_b32_e64 v41, 0x80000000, v37, s20
	v_cndmask_b32_e64 v40, 0, v36, s20
	v_cmp_lt_i64_e64 s20, -1, v[36:37]
	v_lshrrev_b64 v[40:41], s42, v[40:41]
	s_delay_alu instid0(VALU_DEP_2) | instskip(NEXT) | instid1(VALU_DEP_2)
	v_cndmask_b32_e64 v42, 0x80000000, -1, s20
	v_and_b32_e32 v2, s50, v40
	v_ashrrev_i32_e32 v40, 31, v37
	s_delay_alu instid0(VALU_DEP_3) | instskip(NEXT) | instid1(VALU_DEP_3)
	v_xor_b32_e32 v37, v42, v37
	v_lshlrev_b32_e32 v2, 2, v2
	s_delay_alu instid0(VALU_DEP_3) | instskip(SKIP_4) | instid1(VALU_DEP_1)
	v_not_b32_e32 v43, v40
	ds_load_b32 v2, v2
	v_xor_b32_e32 v36, v43, v36
	s_waitcnt lgkmcnt(0)
	v_add_nc_u32_e32 v2, v2, v83
	v_lshlrev_b64 v[40:41], 3, v[2:3]
	s_delay_alu instid0(VALU_DEP_1) | instskip(NEXT) | instid1(VALU_DEP_1)
	v_add_co_u32 v40, s20, s46, v40
	v_add_co_ci_u32_e64 v41, s20, s47, v41, s20
	global_store_b64 v[40:41], v[36:37], off
	s_or_b32 exec_lo, exec_lo, s21
	v_cmp_lt_u32_e64 s20, v84, v177
	s_delay_alu instid0(VALU_DEP_1)
	s_and_saveexec_b32 s22, s20
	s_cbranch_execnz .LBB1229_787
.LBB1229_772:                           ;   in Loop: Header=BB1229_688 Depth=2
	s_or_b32 exec_lo, exec_lo, s22
	v_cmp_lt_u32_e64 s21, v85, v177
	s_delay_alu instid0(VALU_DEP_1)
	s_and_saveexec_b32 s23, s21
	s_cbranch_execz .LBB1229_788
.LBB1229_773:                           ;   in Loop: Header=BB1229_688 Depth=2
	ds_load_b64 v[36:37], v110 offset:12288
	s_waitcnt lgkmcnt(0)
	v_cmp_ne_u64_e64 s22, s[40:41], v[36:37]
	s_delay_alu instid0(VALU_DEP_1) | instskip(SKIP_2) | instid1(VALU_DEP_2)
	v_cndmask_b32_e64 v41, 0x80000000, v37, s22
	v_cndmask_b32_e64 v40, 0, v36, s22
	v_cmp_lt_i64_e64 s22, -1, v[36:37]
	v_lshrrev_b64 v[40:41], s42, v[40:41]
	s_delay_alu instid0(VALU_DEP_2) | instskip(NEXT) | instid1(VALU_DEP_2)
	v_cndmask_b32_e64 v42, 0x80000000, -1, s22
	v_and_b32_e32 v2, s50, v40
	v_ashrrev_i32_e32 v40, 31, v37
	s_delay_alu instid0(VALU_DEP_3) | instskip(NEXT) | instid1(VALU_DEP_3)
	v_xor_b32_e32 v37, v42, v37
	v_lshlrev_b32_e32 v2, 2, v2
	s_delay_alu instid0(VALU_DEP_3) | instskip(SKIP_4) | instid1(VALU_DEP_1)
	v_not_b32_e32 v43, v40
	ds_load_b32 v2, v2
	v_xor_b32_e32 v36, v43, v36
	s_waitcnt lgkmcnt(0)
	v_add_nc_u32_e32 v2, v2, v85
	v_lshlrev_b64 v[40:41], 3, v[2:3]
	s_delay_alu instid0(VALU_DEP_1) | instskip(NEXT) | instid1(VALU_DEP_1)
	v_add_co_u32 v40, s22, s46, v40
	v_add_co_ci_u32_e64 v41, s22, s47, v41, s22
	global_store_b64 v[40:41], v[36:37], off
	s_or_b32 exec_lo, exec_lo, s23
	v_cmp_lt_u32_e64 s22, v86, v177
	s_delay_alu instid0(VALU_DEP_1)
	s_and_saveexec_b32 s24, s22
	s_cbranch_execnz .LBB1229_789
.LBB1229_774:                           ;   in Loop: Header=BB1229_688 Depth=2
	s_or_b32 exec_lo, exec_lo, s24
	v_cmp_lt_u32_e64 s23, v87, v177
	s_delay_alu instid0(VALU_DEP_1)
	s_and_saveexec_b32 s25, s23
	s_cbranch_execz .LBB1229_790
.LBB1229_775:                           ;   in Loop: Header=BB1229_688 Depth=2
	ds_load_b64 v[36:37], v110 offset:16384
	s_waitcnt lgkmcnt(0)
	v_cmp_ne_u64_e64 s24, s[40:41], v[36:37]
	s_delay_alu instid0(VALU_DEP_1) | instskip(SKIP_2) | instid1(VALU_DEP_2)
	v_cndmask_b32_e64 v41, 0x80000000, v37, s24
	v_cndmask_b32_e64 v40, 0, v36, s24
	v_cmp_lt_i64_e64 s24, -1, v[36:37]
	v_lshrrev_b64 v[40:41], s42, v[40:41]
	s_delay_alu instid0(VALU_DEP_2) | instskip(NEXT) | instid1(VALU_DEP_2)
	v_cndmask_b32_e64 v42, 0x80000000, -1, s24
	v_and_b32_e32 v2, s50, v40
	v_ashrrev_i32_e32 v40, 31, v37
	s_delay_alu instid0(VALU_DEP_3) | instskip(NEXT) | instid1(VALU_DEP_3)
	v_xor_b32_e32 v37, v42, v37
	v_lshlrev_b32_e32 v2, 2, v2
	s_delay_alu instid0(VALU_DEP_3) | instskip(SKIP_4) | instid1(VALU_DEP_1)
	v_not_b32_e32 v43, v40
	ds_load_b32 v2, v2
	v_xor_b32_e32 v36, v43, v36
	s_waitcnt lgkmcnt(0)
	v_add_nc_u32_e32 v2, v2, v87
	v_lshlrev_b64 v[40:41], 3, v[2:3]
	s_delay_alu instid0(VALU_DEP_1) | instskip(NEXT) | instid1(VALU_DEP_1)
	v_add_co_u32 v40, s24, s46, v40
	v_add_co_ci_u32_e64 v41, s24, s47, v41, s24
	global_store_b64 v[40:41], v[36:37], off
	s_or_b32 exec_lo, exec_lo, s25
	v_cmp_lt_u32_e64 s24, v88, v177
	s_delay_alu instid0(VALU_DEP_1)
	s_and_saveexec_b32 s26, s24
	s_cbranch_execnz .LBB1229_791
.LBB1229_776:                           ;   in Loop: Header=BB1229_688 Depth=2
	s_or_b32 exec_lo, exec_lo, s26
	v_cmp_lt_u32_e64 s25, v89, v177
	s_delay_alu instid0(VALU_DEP_1)
	s_and_saveexec_b32 s27, s25
	s_cbranch_execz .LBB1229_792
.LBB1229_777:                           ;   in Loop: Header=BB1229_688 Depth=2
	ds_load_b64 v[36:37], v110 offset:20480
	s_waitcnt lgkmcnt(0)
	v_cmp_ne_u64_e64 s26, s[40:41], v[36:37]
	s_delay_alu instid0(VALU_DEP_1) | instskip(SKIP_2) | instid1(VALU_DEP_2)
	v_cndmask_b32_e64 v41, 0x80000000, v37, s26
	v_cndmask_b32_e64 v40, 0, v36, s26
	v_cmp_lt_i64_e64 s26, -1, v[36:37]
	v_lshrrev_b64 v[40:41], s42, v[40:41]
	s_delay_alu instid0(VALU_DEP_2) | instskip(NEXT) | instid1(VALU_DEP_2)
	v_cndmask_b32_e64 v42, 0x80000000, -1, s26
	v_and_b32_e32 v2, s50, v40
	v_ashrrev_i32_e32 v40, 31, v37
	s_delay_alu instid0(VALU_DEP_3) | instskip(NEXT) | instid1(VALU_DEP_3)
	v_xor_b32_e32 v37, v42, v37
	v_lshlrev_b32_e32 v2, 2, v2
	s_delay_alu instid0(VALU_DEP_3) | instskip(SKIP_4) | instid1(VALU_DEP_1)
	v_not_b32_e32 v43, v40
	ds_load_b32 v2, v2
	v_xor_b32_e32 v36, v43, v36
	s_waitcnt lgkmcnt(0)
	v_add_nc_u32_e32 v2, v2, v89
	v_lshlrev_b64 v[40:41], 3, v[2:3]
	s_delay_alu instid0(VALU_DEP_1) | instskip(NEXT) | instid1(VALU_DEP_1)
	v_add_co_u32 v40, s26, s46, v40
	v_add_co_ci_u32_e64 v41, s26, s47, v41, s26
	global_store_b64 v[40:41], v[36:37], off
	s_or_b32 exec_lo, exec_lo, s27
	v_cmp_lt_u32_e64 s26, v90, v177
	s_delay_alu instid0(VALU_DEP_1)
	s_and_saveexec_b32 s28, s26
	s_cbranch_execnz .LBB1229_793
.LBB1229_778:                           ;   in Loop: Header=BB1229_688 Depth=2
	s_or_b32 exec_lo, exec_lo, s28
	v_cmp_lt_u32_e64 s27, v91, v177
	s_delay_alu instid0(VALU_DEP_1)
	s_and_saveexec_b32 s29, s27
	s_cbranch_execz .LBB1229_794
.LBB1229_779:                           ;   in Loop: Header=BB1229_688 Depth=2
	ds_load_b64 v[36:37], v110 offset:24576
	s_waitcnt lgkmcnt(0)
	v_cmp_ne_u64_e64 s28, s[40:41], v[36:37]
	s_delay_alu instid0(VALU_DEP_1) | instskip(SKIP_2) | instid1(VALU_DEP_2)
	v_cndmask_b32_e64 v41, 0x80000000, v37, s28
	v_cndmask_b32_e64 v40, 0, v36, s28
	v_cmp_lt_i64_e64 s28, -1, v[36:37]
	v_lshrrev_b64 v[40:41], s42, v[40:41]
	s_delay_alu instid0(VALU_DEP_2) | instskip(NEXT) | instid1(VALU_DEP_2)
	v_cndmask_b32_e64 v42, 0x80000000, -1, s28
	v_and_b32_e32 v2, s50, v40
	v_ashrrev_i32_e32 v40, 31, v37
	s_delay_alu instid0(VALU_DEP_3) | instskip(NEXT) | instid1(VALU_DEP_3)
	v_xor_b32_e32 v37, v42, v37
	v_lshlrev_b32_e32 v2, 2, v2
	s_delay_alu instid0(VALU_DEP_3) | instskip(SKIP_4) | instid1(VALU_DEP_1)
	v_not_b32_e32 v43, v40
	ds_load_b32 v2, v2
	v_xor_b32_e32 v36, v43, v36
	s_waitcnt lgkmcnt(0)
	v_add_nc_u32_e32 v2, v2, v91
	v_lshlrev_b64 v[40:41], 3, v[2:3]
	s_delay_alu instid0(VALU_DEP_1) | instskip(NEXT) | instid1(VALU_DEP_1)
	v_add_co_u32 v40, s28, s46, v40
	v_add_co_ci_u32_e64 v41, s28, s47, v41, s28
	global_store_b64 v[40:41], v[36:37], off
	s_or_b32 exec_lo, exec_lo, s29
	v_cmp_lt_u32_e64 s28, v92, v177
	s_delay_alu instid0(VALU_DEP_1)
	s_and_saveexec_b32 s30, s28
	s_cbranch_execnz .LBB1229_795
.LBB1229_780:                           ;   in Loop: Header=BB1229_688 Depth=2
	s_or_b32 exec_lo, exec_lo, s30
	v_cmp_lt_u32_e64 s29, v93, v177
	s_delay_alu instid0(VALU_DEP_1)
	s_and_saveexec_b32 s31, s29
	s_cbranch_execz .LBB1229_796
.LBB1229_781:                           ;   in Loop: Header=BB1229_688 Depth=2
	ds_load_b64 v[36:37], v110 offset:28672
	s_waitcnt lgkmcnt(0)
	v_cmp_ne_u64_e64 s30, s[40:41], v[36:37]
	s_delay_alu instid0(VALU_DEP_1) | instskip(SKIP_2) | instid1(VALU_DEP_2)
	v_cndmask_b32_e64 v41, 0x80000000, v37, s30
	v_cndmask_b32_e64 v40, 0, v36, s30
	v_cmp_lt_i64_e64 s30, -1, v[36:37]
	v_lshrrev_b64 v[40:41], s42, v[40:41]
	s_delay_alu instid0(VALU_DEP_2) | instskip(NEXT) | instid1(VALU_DEP_2)
	v_cndmask_b32_e64 v42, 0x80000000, -1, s30
	v_and_b32_e32 v2, s50, v40
	v_ashrrev_i32_e32 v40, 31, v37
	s_delay_alu instid0(VALU_DEP_3) | instskip(NEXT) | instid1(VALU_DEP_3)
	v_xor_b32_e32 v37, v42, v37
	v_lshlrev_b32_e32 v2, 2, v2
	s_delay_alu instid0(VALU_DEP_3) | instskip(SKIP_4) | instid1(VALU_DEP_1)
	v_not_b32_e32 v43, v40
	ds_load_b32 v2, v2
	v_xor_b32_e32 v36, v43, v36
	s_waitcnt lgkmcnt(0)
	v_add_nc_u32_e32 v2, v2, v93
	v_lshlrev_b64 v[40:41], 3, v[2:3]
	s_delay_alu instid0(VALU_DEP_1) | instskip(NEXT) | instid1(VALU_DEP_1)
	v_add_co_u32 v40, s30, s46, v40
	v_add_co_ci_u32_e64 v41, s30, s47, v41, s30
	global_store_b64 v[40:41], v[36:37], off
	s_or_b32 exec_lo, exec_lo, s31
	v_cmp_lt_u32_e64 s30, v95, v177
	s_delay_alu instid0(VALU_DEP_1)
	s_and_saveexec_b32 s60, s30
	s_cbranch_execnz .LBB1229_797
	s_branch .LBB1229_798
.LBB1229_782:                           ;   in Loop: Header=BB1229_688 Depth=2
	s_or_b32 exec_lo, exec_lo, s17
	v_cmp_lt_u32_e64 s16, v77, v177
	s_delay_alu instid0(VALU_DEP_1)
	s_and_saveexec_b32 s18, s16
	s_cbranch_execz .LBB1229_768
.LBB1229_783:                           ;   in Loop: Header=BB1229_688 Depth=2
	ds_load_b64 v[36:37], v110 offset:2048
	s_waitcnt lgkmcnt(0)
	v_cmp_ne_u64_e64 s17, s[40:41], v[36:37]
	s_delay_alu instid0(VALU_DEP_1) | instskip(SKIP_2) | instid1(VALU_DEP_2)
	v_cndmask_b32_e64 v41, 0x80000000, v37, s17
	v_cndmask_b32_e64 v40, 0, v36, s17
	v_cmp_lt_i64_e64 s17, -1, v[36:37]
	v_lshrrev_b64 v[40:41], s42, v[40:41]
	s_delay_alu instid0(VALU_DEP_2) | instskip(NEXT) | instid1(VALU_DEP_2)
	v_cndmask_b32_e64 v42, 0x80000000, -1, s17
	v_and_b32_e32 v2, s50, v40
	v_ashrrev_i32_e32 v40, 31, v37
	s_delay_alu instid0(VALU_DEP_3) | instskip(NEXT) | instid1(VALU_DEP_3)
	v_xor_b32_e32 v37, v42, v37
	v_lshlrev_b32_e32 v2, 2, v2
	s_delay_alu instid0(VALU_DEP_3) | instskip(SKIP_4) | instid1(VALU_DEP_1)
	v_not_b32_e32 v43, v40
	ds_load_b32 v2, v2
	v_xor_b32_e32 v36, v43, v36
	s_waitcnt lgkmcnt(0)
	v_add_nc_u32_e32 v2, v2, v77
	v_lshlrev_b64 v[40:41], 3, v[2:3]
	s_delay_alu instid0(VALU_DEP_1) | instskip(NEXT) | instid1(VALU_DEP_1)
	v_add_co_u32 v40, s17, s46, v40
	v_add_co_ci_u32_e64 v41, s17, s47, v41, s17
	global_store_b64 v[40:41], v[36:37], off
	s_or_b32 exec_lo, exec_lo, s18
	v_cmp_lt_u32_e64 s17, v78, v177
	s_delay_alu instid0(VALU_DEP_1)
	s_and_saveexec_b32 s19, s17
	s_cbranch_execnz .LBB1229_769
.LBB1229_784:                           ;   in Loop: Header=BB1229_688 Depth=2
	s_or_b32 exec_lo, exec_lo, s19
	v_cmp_lt_u32_e64 s18, v79, v177
	s_delay_alu instid0(VALU_DEP_1)
	s_and_saveexec_b32 s20, s18
	s_cbranch_execz .LBB1229_770
.LBB1229_785:                           ;   in Loop: Header=BB1229_688 Depth=2
	ds_load_b64 v[36:37], v110 offset:6144
	s_waitcnt lgkmcnt(0)
	v_cmp_ne_u64_e64 s19, s[40:41], v[36:37]
	s_delay_alu instid0(VALU_DEP_1) | instskip(SKIP_2) | instid1(VALU_DEP_2)
	v_cndmask_b32_e64 v41, 0x80000000, v37, s19
	v_cndmask_b32_e64 v40, 0, v36, s19
	v_cmp_lt_i64_e64 s19, -1, v[36:37]
	v_lshrrev_b64 v[40:41], s42, v[40:41]
	s_delay_alu instid0(VALU_DEP_2) | instskip(NEXT) | instid1(VALU_DEP_2)
	v_cndmask_b32_e64 v42, 0x80000000, -1, s19
	v_and_b32_e32 v2, s50, v40
	v_ashrrev_i32_e32 v40, 31, v37
	s_delay_alu instid0(VALU_DEP_3) | instskip(NEXT) | instid1(VALU_DEP_3)
	v_xor_b32_e32 v37, v42, v37
	v_lshlrev_b32_e32 v2, 2, v2
	s_delay_alu instid0(VALU_DEP_3) | instskip(SKIP_4) | instid1(VALU_DEP_1)
	v_not_b32_e32 v43, v40
	ds_load_b32 v2, v2
	v_xor_b32_e32 v36, v43, v36
	s_waitcnt lgkmcnt(0)
	v_add_nc_u32_e32 v2, v2, v79
	v_lshlrev_b64 v[40:41], 3, v[2:3]
	s_delay_alu instid0(VALU_DEP_1) | instskip(NEXT) | instid1(VALU_DEP_1)
	v_add_co_u32 v40, s19, s46, v40
	v_add_co_ci_u32_e64 v41, s19, s47, v41, s19
	global_store_b64 v[40:41], v[36:37], off
	s_or_b32 exec_lo, exec_lo, s20
	v_cmp_lt_u32_e64 s19, v83, v177
	s_delay_alu instid0(VALU_DEP_1)
	s_and_saveexec_b32 s21, s19
	s_cbranch_execnz .LBB1229_771
.LBB1229_786:                           ;   in Loop: Header=BB1229_688 Depth=2
	s_or_b32 exec_lo, exec_lo, s21
	v_cmp_lt_u32_e64 s20, v84, v177
	s_delay_alu instid0(VALU_DEP_1)
	s_and_saveexec_b32 s22, s20
	s_cbranch_execz .LBB1229_772
.LBB1229_787:                           ;   in Loop: Header=BB1229_688 Depth=2
	ds_load_b64 v[36:37], v110 offset:10240
	s_waitcnt lgkmcnt(0)
	v_cmp_ne_u64_e64 s21, s[40:41], v[36:37]
	s_delay_alu instid0(VALU_DEP_1) | instskip(SKIP_2) | instid1(VALU_DEP_2)
	v_cndmask_b32_e64 v41, 0x80000000, v37, s21
	v_cndmask_b32_e64 v40, 0, v36, s21
	v_cmp_lt_i64_e64 s21, -1, v[36:37]
	v_lshrrev_b64 v[40:41], s42, v[40:41]
	s_delay_alu instid0(VALU_DEP_2) | instskip(NEXT) | instid1(VALU_DEP_2)
	v_cndmask_b32_e64 v42, 0x80000000, -1, s21
	v_and_b32_e32 v2, s50, v40
	v_ashrrev_i32_e32 v40, 31, v37
	s_delay_alu instid0(VALU_DEP_3) | instskip(NEXT) | instid1(VALU_DEP_3)
	v_xor_b32_e32 v37, v42, v37
	v_lshlrev_b32_e32 v2, 2, v2
	s_delay_alu instid0(VALU_DEP_3) | instskip(SKIP_4) | instid1(VALU_DEP_1)
	v_not_b32_e32 v43, v40
	ds_load_b32 v2, v2
	v_xor_b32_e32 v36, v43, v36
	s_waitcnt lgkmcnt(0)
	v_add_nc_u32_e32 v2, v2, v84
	v_lshlrev_b64 v[40:41], 3, v[2:3]
	s_delay_alu instid0(VALU_DEP_1) | instskip(NEXT) | instid1(VALU_DEP_1)
	v_add_co_u32 v40, s21, s46, v40
	v_add_co_ci_u32_e64 v41, s21, s47, v41, s21
	global_store_b64 v[40:41], v[36:37], off
	s_or_b32 exec_lo, exec_lo, s22
	v_cmp_lt_u32_e64 s21, v85, v177
	s_delay_alu instid0(VALU_DEP_1)
	s_and_saveexec_b32 s23, s21
	s_cbranch_execnz .LBB1229_773
.LBB1229_788:                           ;   in Loop: Header=BB1229_688 Depth=2
	s_or_b32 exec_lo, exec_lo, s23
	v_cmp_lt_u32_e64 s22, v86, v177
	s_delay_alu instid0(VALU_DEP_1)
	s_and_saveexec_b32 s24, s22
	s_cbranch_execz .LBB1229_774
.LBB1229_789:                           ;   in Loop: Header=BB1229_688 Depth=2
	ds_load_b64 v[36:37], v110 offset:14336
	s_waitcnt lgkmcnt(0)
	v_cmp_ne_u64_e64 s23, s[40:41], v[36:37]
	s_delay_alu instid0(VALU_DEP_1) | instskip(SKIP_2) | instid1(VALU_DEP_2)
	v_cndmask_b32_e64 v41, 0x80000000, v37, s23
	v_cndmask_b32_e64 v40, 0, v36, s23
	v_cmp_lt_i64_e64 s23, -1, v[36:37]
	v_lshrrev_b64 v[40:41], s42, v[40:41]
	s_delay_alu instid0(VALU_DEP_2) | instskip(NEXT) | instid1(VALU_DEP_2)
	v_cndmask_b32_e64 v42, 0x80000000, -1, s23
	v_and_b32_e32 v2, s50, v40
	v_ashrrev_i32_e32 v40, 31, v37
	s_delay_alu instid0(VALU_DEP_3) | instskip(NEXT) | instid1(VALU_DEP_3)
	v_xor_b32_e32 v37, v42, v37
	v_lshlrev_b32_e32 v2, 2, v2
	s_delay_alu instid0(VALU_DEP_3) | instskip(SKIP_4) | instid1(VALU_DEP_1)
	v_not_b32_e32 v43, v40
	ds_load_b32 v2, v2
	v_xor_b32_e32 v36, v43, v36
	s_waitcnt lgkmcnt(0)
	v_add_nc_u32_e32 v2, v2, v86
	v_lshlrev_b64 v[40:41], 3, v[2:3]
	s_delay_alu instid0(VALU_DEP_1) | instskip(NEXT) | instid1(VALU_DEP_1)
	v_add_co_u32 v40, s23, s46, v40
	v_add_co_ci_u32_e64 v41, s23, s47, v41, s23
	global_store_b64 v[40:41], v[36:37], off
	s_or_b32 exec_lo, exec_lo, s24
	v_cmp_lt_u32_e64 s23, v87, v177
	s_delay_alu instid0(VALU_DEP_1)
	s_and_saveexec_b32 s25, s23
	s_cbranch_execnz .LBB1229_775
.LBB1229_790:                           ;   in Loop: Header=BB1229_688 Depth=2
	s_or_b32 exec_lo, exec_lo, s25
	v_cmp_lt_u32_e64 s24, v88, v177
	s_delay_alu instid0(VALU_DEP_1)
	s_and_saveexec_b32 s26, s24
	s_cbranch_execz .LBB1229_776
.LBB1229_791:                           ;   in Loop: Header=BB1229_688 Depth=2
	ds_load_b64 v[36:37], v110 offset:18432
	s_waitcnt lgkmcnt(0)
	v_cmp_ne_u64_e64 s25, s[40:41], v[36:37]
	s_delay_alu instid0(VALU_DEP_1) | instskip(SKIP_2) | instid1(VALU_DEP_2)
	v_cndmask_b32_e64 v41, 0x80000000, v37, s25
	v_cndmask_b32_e64 v40, 0, v36, s25
	v_cmp_lt_i64_e64 s25, -1, v[36:37]
	v_lshrrev_b64 v[40:41], s42, v[40:41]
	s_delay_alu instid0(VALU_DEP_2) | instskip(NEXT) | instid1(VALU_DEP_2)
	v_cndmask_b32_e64 v42, 0x80000000, -1, s25
	v_and_b32_e32 v2, s50, v40
	v_ashrrev_i32_e32 v40, 31, v37
	s_delay_alu instid0(VALU_DEP_3) | instskip(NEXT) | instid1(VALU_DEP_3)
	v_xor_b32_e32 v37, v42, v37
	v_lshlrev_b32_e32 v2, 2, v2
	s_delay_alu instid0(VALU_DEP_3) | instskip(SKIP_4) | instid1(VALU_DEP_1)
	v_not_b32_e32 v43, v40
	ds_load_b32 v2, v2
	v_xor_b32_e32 v36, v43, v36
	s_waitcnt lgkmcnt(0)
	v_add_nc_u32_e32 v2, v2, v88
	v_lshlrev_b64 v[40:41], 3, v[2:3]
	s_delay_alu instid0(VALU_DEP_1) | instskip(NEXT) | instid1(VALU_DEP_1)
	v_add_co_u32 v40, s25, s46, v40
	v_add_co_ci_u32_e64 v41, s25, s47, v41, s25
	global_store_b64 v[40:41], v[36:37], off
	s_or_b32 exec_lo, exec_lo, s26
	v_cmp_lt_u32_e64 s25, v89, v177
	s_delay_alu instid0(VALU_DEP_1)
	s_and_saveexec_b32 s27, s25
	s_cbranch_execnz .LBB1229_777
.LBB1229_792:                           ;   in Loop: Header=BB1229_688 Depth=2
	s_or_b32 exec_lo, exec_lo, s27
	v_cmp_lt_u32_e64 s26, v90, v177
	s_delay_alu instid0(VALU_DEP_1)
	s_and_saveexec_b32 s28, s26
	s_cbranch_execz .LBB1229_778
.LBB1229_793:                           ;   in Loop: Header=BB1229_688 Depth=2
	ds_load_b64 v[36:37], v110 offset:22528
	s_waitcnt lgkmcnt(0)
	v_cmp_ne_u64_e64 s27, s[40:41], v[36:37]
	s_delay_alu instid0(VALU_DEP_1) | instskip(SKIP_2) | instid1(VALU_DEP_2)
	v_cndmask_b32_e64 v41, 0x80000000, v37, s27
	v_cndmask_b32_e64 v40, 0, v36, s27
	v_cmp_lt_i64_e64 s27, -1, v[36:37]
	v_lshrrev_b64 v[40:41], s42, v[40:41]
	s_delay_alu instid0(VALU_DEP_2) | instskip(NEXT) | instid1(VALU_DEP_2)
	v_cndmask_b32_e64 v42, 0x80000000, -1, s27
	v_and_b32_e32 v2, s50, v40
	v_ashrrev_i32_e32 v40, 31, v37
	s_delay_alu instid0(VALU_DEP_3) | instskip(NEXT) | instid1(VALU_DEP_3)
	v_xor_b32_e32 v37, v42, v37
	v_lshlrev_b32_e32 v2, 2, v2
	s_delay_alu instid0(VALU_DEP_3) | instskip(SKIP_4) | instid1(VALU_DEP_1)
	v_not_b32_e32 v43, v40
	ds_load_b32 v2, v2
	v_xor_b32_e32 v36, v43, v36
	s_waitcnt lgkmcnt(0)
	v_add_nc_u32_e32 v2, v2, v90
	v_lshlrev_b64 v[40:41], 3, v[2:3]
	s_delay_alu instid0(VALU_DEP_1) | instskip(NEXT) | instid1(VALU_DEP_1)
	v_add_co_u32 v40, s27, s46, v40
	v_add_co_ci_u32_e64 v41, s27, s47, v41, s27
	global_store_b64 v[40:41], v[36:37], off
	s_or_b32 exec_lo, exec_lo, s28
	v_cmp_lt_u32_e64 s27, v91, v177
	s_delay_alu instid0(VALU_DEP_1)
	s_and_saveexec_b32 s29, s27
	s_cbranch_execnz .LBB1229_779
.LBB1229_794:                           ;   in Loop: Header=BB1229_688 Depth=2
	s_or_b32 exec_lo, exec_lo, s29
	v_cmp_lt_u32_e64 s28, v92, v177
	s_delay_alu instid0(VALU_DEP_1)
	s_and_saveexec_b32 s30, s28
	s_cbranch_execz .LBB1229_780
.LBB1229_795:                           ;   in Loop: Header=BB1229_688 Depth=2
	ds_load_b64 v[36:37], v110 offset:26624
	s_waitcnt lgkmcnt(0)
	v_cmp_ne_u64_e64 s29, s[40:41], v[36:37]
	s_delay_alu instid0(VALU_DEP_1) | instskip(SKIP_2) | instid1(VALU_DEP_2)
	v_cndmask_b32_e64 v41, 0x80000000, v37, s29
	v_cndmask_b32_e64 v40, 0, v36, s29
	v_cmp_lt_i64_e64 s29, -1, v[36:37]
	v_lshrrev_b64 v[40:41], s42, v[40:41]
	s_delay_alu instid0(VALU_DEP_2) | instskip(NEXT) | instid1(VALU_DEP_2)
	v_cndmask_b32_e64 v42, 0x80000000, -1, s29
	v_and_b32_e32 v2, s50, v40
	v_ashrrev_i32_e32 v40, 31, v37
	s_delay_alu instid0(VALU_DEP_3) | instskip(NEXT) | instid1(VALU_DEP_3)
	v_xor_b32_e32 v37, v42, v37
	v_lshlrev_b32_e32 v2, 2, v2
	s_delay_alu instid0(VALU_DEP_3) | instskip(SKIP_4) | instid1(VALU_DEP_1)
	v_not_b32_e32 v43, v40
	ds_load_b32 v2, v2
	v_xor_b32_e32 v36, v43, v36
	s_waitcnt lgkmcnt(0)
	v_add_nc_u32_e32 v2, v2, v92
	v_lshlrev_b64 v[40:41], 3, v[2:3]
	s_delay_alu instid0(VALU_DEP_1) | instskip(NEXT) | instid1(VALU_DEP_1)
	v_add_co_u32 v40, s29, s46, v40
	v_add_co_ci_u32_e64 v41, s29, s47, v41, s29
	global_store_b64 v[40:41], v[36:37], off
	s_or_b32 exec_lo, exec_lo, s30
	v_cmp_lt_u32_e64 s29, v93, v177
	s_delay_alu instid0(VALU_DEP_1)
	s_and_saveexec_b32 s31, s29
	s_cbranch_execnz .LBB1229_781
.LBB1229_796:                           ;   in Loop: Header=BB1229_688 Depth=2
	s_or_b32 exec_lo, exec_lo, s31
	v_cmp_lt_u32_e64 s30, v95, v177
	s_delay_alu instid0(VALU_DEP_1)
	s_and_saveexec_b32 s60, s30
	s_cbranch_execz .LBB1229_798
.LBB1229_797:                           ;   in Loop: Header=BB1229_688 Depth=2
	ds_load_b64 v[36:37], v110 offset:30720
	s_waitcnt lgkmcnt(0)
	v_cmp_ne_u64_e64 s31, s[40:41], v[36:37]
	s_delay_alu instid0(VALU_DEP_1) | instskip(SKIP_2) | instid1(VALU_DEP_2)
	v_cndmask_b32_e64 v41, 0x80000000, v37, s31
	v_cndmask_b32_e64 v40, 0, v36, s31
	v_cmp_lt_i64_e64 s31, -1, v[36:37]
	v_lshrrev_b64 v[40:41], s42, v[40:41]
	s_delay_alu instid0(VALU_DEP_2) | instskip(NEXT) | instid1(VALU_DEP_2)
	v_cndmask_b32_e64 v42, 0x80000000, -1, s31
	v_and_b32_e32 v2, s50, v40
	v_ashrrev_i32_e32 v40, 31, v37
	s_delay_alu instid0(VALU_DEP_3) | instskip(NEXT) | instid1(VALU_DEP_3)
	v_xor_b32_e32 v37, v42, v37
	v_lshlrev_b32_e32 v2, 2, v2
	s_delay_alu instid0(VALU_DEP_3) | instskip(SKIP_4) | instid1(VALU_DEP_1)
	v_not_b32_e32 v43, v40
	ds_load_b32 v2, v2
	v_xor_b32_e32 v36, v43, v36
	s_waitcnt lgkmcnt(0)
	v_add_nc_u32_e32 v2, v2, v95
	v_lshlrev_b64 v[40:41], 3, v[2:3]
	s_delay_alu instid0(VALU_DEP_1) | instskip(NEXT) | instid1(VALU_DEP_1)
	v_add_co_u32 v40, s31, s46, v40
	v_add_co_ci_u32_e64 v41, s31, s47, v41, s31
	global_store_b64 v[40:41], v[36:37], off
.LBB1229_798:                           ;   in Loop: Header=BB1229_688 Depth=2
	s_or_b32 exec_lo, exec_lo, s60
	s_lshl_b64 s[60:61], s[36:37], 3
	s_delay_alu instid0(SALU_CYCLE_1) | instskip(NEXT) | instid1(VALU_DEP_1)
	v_add_co_u32 v36, s31, v139, s60
	v_add_co_ci_u32_e64 v37, s31, s61, v140, s31
	v_cmp_lt_u32_e64 s31, v138, v177
	s_delay_alu instid0(VALU_DEP_1) | instskip(NEXT) | instid1(SALU_CYCLE_1)
	s_and_saveexec_b32 s36, s31
	s_xor_b32 s31, exec_lo, s36
	s_cbranch_execz .LBB1229_830
; %bb.799:                              ;   in Loop: Header=BB1229_688 Depth=2
	global_load_b64 v[34:35], v[36:37], off
	s_or_b32 exec_lo, exec_lo, s31
	s_delay_alu instid0(SALU_CYCLE_1)
	s_mov_b32 s36, exec_lo
	v_cmpx_lt_u32_e64 v141, v177
	s_cbranch_execnz .LBB1229_831
.LBB1229_800:                           ;   in Loop: Header=BB1229_688 Depth=2
	s_or_b32 exec_lo, exec_lo, s36
	s_delay_alu instid0(SALU_CYCLE_1)
	s_mov_b32 s36, exec_lo
	v_cmpx_lt_u32_e64 v142, v177
	s_cbranch_execz .LBB1229_832
.LBB1229_801:                           ;   in Loop: Header=BB1229_688 Depth=2
	global_load_b64 v[30:31], v[36:37], off offset:512
	s_or_b32 exec_lo, exec_lo, s36
	s_delay_alu instid0(SALU_CYCLE_1)
	s_mov_b32 s36, exec_lo
	v_cmpx_lt_u32_e64 v143, v177
	s_cbranch_execnz .LBB1229_833
.LBB1229_802:                           ;   in Loop: Header=BB1229_688 Depth=2
	s_or_b32 exec_lo, exec_lo, s36
	s_delay_alu instid0(SALU_CYCLE_1)
	s_mov_b32 s36, exec_lo
	v_cmpx_lt_u32_e64 v144, v177
	s_cbranch_execz .LBB1229_834
.LBB1229_803:                           ;   in Loop: Header=BB1229_688 Depth=2
	global_load_b64 v[26:27], v[36:37], off offset:1024
	s_or_b32 exec_lo, exec_lo, s36
	s_delay_alu instid0(SALU_CYCLE_1)
	s_mov_b32 s36, exec_lo
	v_cmpx_lt_u32_e64 v145, v177
	s_cbranch_execnz .LBB1229_835
.LBB1229_804:                           ;   in Loop: Header=BB1229_688 Depth=2
	s_or_b32 exec_lo, exec_lo, s36
	s_delay_alu instid0(SALU_CYCLE_1)
	s_mov_b32 s36, exec_lo
	v_cmpx_lt_u32_e64 v146, v177
	s_cbranch_execz .LBB1229_836
.LBB1229_805:                           ;   in Loop: Header=BB1229_688 Depth=2
	global_load_b64 v[22:23], v[36:37], off offset:1536
	s_or_b32 exec_lo, exec_lo, s36
	s_delay_alu instid0(SALU_CYCLE_1)
	s_mov_b32 s36, exec_lo
	v_cmpx_lt_u32_e64 v147, v177
	s_cbranch_execnz .LBB1229_837
.LBB1229_806:                           ;   in Loop: Header=BB1229_688 Depth=2
	s_or_b32 exec_lo, exec_lo, s36
	s_delay_alu instid0(SALU_CYCLE_1)
	s_mov_b32 s36, exec_lo
	v_cmpx_lt_u32_e64 v148, v177
	s_cbranch_execz .LBB1229_838
.LBB1229_807:                           ;   in Loop: Header=BB1229_688 Depth=2
	global_load_b64 v[18:19], v[36:37], off offset:2048
	s_or_b32 exec_lo, exec_lo, s36
	s_delay_alu instid0(SALU_CYCLE_1)
	s_mov_b32 s36, exec_lo
	v_cmpx_lt_u32_e64 v149, v177
	s_cbranch_execnz .LBB1229_839
.LBB1229_808:                           ;   in Loop: Header=BB1229_688 Depth=2
	s_or_b32 exec_lo, exec_lo, s36
	s_delay_alu instid0(SALU_CYCLE_1)
	s_mov_b32 s36, exec_lo
	v_cmpx_lt_u32_e64 v150, v177
	s_cbranch_execz .LBB1229_840
.LBB1229_809:                           ;   in Loop: Header=BB1229_688 Depth=2
	global_load_b64 v[14:15], v[36:37], off offset:2560
	s_or_b32 exec_lo, exec_lo, s36
	s_delay_alu instid0(SALU_CYCLE_1)
	s_mov_b32 s36, exec_lo
	v_cmpx_lt_u32_e64 v151, v177
	s_cbranch_execnz .LBB1229_841
.LBB1229_810:                           ;   in Loop: Header=BB1229_688 Depth=2
	s_or_b32 exec_lo, exec_lo, s36
	s_delay_alu instid0(SALU_CYCLE_1)
	s_mov_b32 s36, exec_lo
	v_cmpx_lt_u32_e64 v152, v177
	s_cbranch_execz .LBB1229_842
.LBB1229_811:                           ;   in Loop: Header=BB1229_688 Depth=2
	global_load_b64 v[10:11], v[36:37], off offset:3072
	s_or_b32 exec_lo, exec_lo, s36
	s_delay_alu instid0(SALU_CYCLE_1)
	s_mov_b32 s36, exec_lo
	v_cmpx_lt_u32_e64 v153, v177
	s_cbranch_execnz .LBB1229_843
.LBB1229_812:                           ;   in Loop: Header=BB1229_688 Depth=2
	s_or_b32 exec_lo, exec_lo, s36
	s_delay_alu instid0(SALU_CYCLE_1)
	s_mov_b32 s36, exec_lo
	v_cmpx_lt_u32_e64 v154, v177
	s_cbranch_execz .LBB1229_844
.LBB1229_813:                           ;   in Loop: Header=BB1229_688 Depth=2
	global_load_b64 v[6:7], v[36:37], off offset:3584
	s_or_b32 exec_lo, exec_lo, s36
	s_delay_alu instid0(SALU_CYCLE_1)
	s_mov_b32 s36, exec_lo
	v_cmpx_lt_u32_e64 v155, v177
	s_cbranch_execnz .LBB1229_845
.LBB1229_814:                           ;   in Loop: Header=BB1229_688 Depth=2
	s_or_b32 exec_lo, exec_lo, s36
	s_and_saveexec_b32 s36, vcc_lo
	s_cbranch_execz .LBB1229_846
.LBB1229_815:                           ;   in Loop: Header=BB1229_688 Depth=2
	v_add_nc_u32_e32 v2, v104, v76
	ds_load_b64 v[36:37], v2 offset:1024
	s_waitcnt lgkmcnt(0)
	v_cmp_ne_u64_e64 s31, s[40:41], v[36:37]
	s_delay_alu instid0(VALU_DEP_1) | instskip(SKIP_1) | instid1(VALU_DEP_1)
	v_cndmask_b32_e64 v37, 0x80000000, v37, s31
	v_cndmask_b32_e64 v36, 0, v36, s31
	v_lshrrev_b64 v[36:37], s42, v[36:37]
	s_delay_alu instid0(VALU_DEP_1)
	v_and_b32_e32 v176, s50, v36
	s_or_b32 exec_lo, exec_lo, s36
	s_and_saveexec_b32 s36, s16
	s_cbranch_execnz .LBB1229_847
.LBB1229_816:                           ;   in Loop: Header=BB1229_688 Depth=2
	s_or_b32 exec_lo, exec_lo, s36
	s_and_saveexec_b32 s36, s17
	s_cbranch_execz .LBB1229_848
.LBB1229_817:                           ;   in Loop: Header=BB1229_688 Depth=2
	ds_load_b64 v[36:37], v110 offset:4096
	s_waitcnt lgkmcnt(0)
	v_cmp_ne_u64_e64 s31, s[40:41], v[36:37]
	s_delay_alu instid0(VALU_DEP_1) | instskip(SKIP_1) | instid1(VALU_DEP_1)
	v_cndmask_b32_e64 v37, 0x80000000, v37, s31
	v_cndmask_b32_e64 v36, 0, v36, s31
	v_lshrrev_b64 v[36:37], s42, v[36:37]
	s_delay_alu instid0(VALU_DEP_1)
	v_and_b32_e32 v174, s50, v36
	s_or_b32 exec_lo, exec_lo, s36
	s_and_saveexec_b32 s36, s18
	s_cbranch_execnz .LBB1229_849
.LBB1229_818:                           ;   in Loop: Header=BB1229_688 Depth=2
	s_or_b32 exec_lo, exec_lo, s36
	s_and_saveexec_b32 s36, s19
	s_cbranch_execz .LBB1229_850
.LBB1229_819:                           ;   in Loop: Header=BB1229_688 Depth=2
	ds_load_b64 v[36:37], v110 offset:8192
	s_waitcnt lgkmcnt(0)
	v_cmp_ne_u64_e64 s31, s[40:41], v[36:37]
	s_delay_alu instid0(VALU_DEP_1) | instskip(SKIP_1) | instid1(VALU_DEP_1)
	v_cndmask_b32_e64 v37, 0x80000000, v37, s31
	v_cndmask_b32_e64 v36, 0, v36, s31
	v_lshrrev_b64 v[36:37], s42, v[36:37]
	s_delay_alu instid0(VALU_DEP_1)
	v_and_b32_e32 v172, s50, v36
	s_or_b32 exec_lo, exec_lo, s36
	s_and_saveexec_b32 s36, s20
	s_cbranch_execnz .LBB1229_851
.LBB1229_820:                           ;   in Loop: Header=BB1229_688 Depth=2
	s_or_b32 exec_lo, exec_lo, s36
	s_and_saveexec_b32 s36, s21
	s_cbranch_execz .LBB1229_852
.LBB1229_821:                           ;   in Loop: Header=BB1229_688 Depth=2
	ds_load_b64 v[36:37], v110 offset:12288
	s_waitcnt lgkmcnt(0)
	v_cmp_ne_u64_e64 s31, s[40:41], v[36:37]
	s_delay_alu instid0(VALU_DEP_1) | instskip(SKIP_1) | instid1(VALU_DEP_1)
	v_cndmask_b32_e64 v37, 0x80000000, v37, s31
	v_cndmask_b32_e64 v36, 0, v36, s31
	v_lshrrev_b64 v[36:37], s42, v[36:37]
	s_delay_alu instid0(VALU_DEP_1)
	v_and_b32_e32 v170, s50, v36
	s_or_b32 exec_lo, exec_lo, s36
	s_and_saveexec_b32 s36, s22
	s_cbranch_execnz .LBB1229_853
.LBB1229_822:                           ;   in Loop: Header=BB1229_688 Depth=2
	s_or_b32 exec_lo, exec_lo, s36
	s_and_saveexec_b32 s36, s23
	s_cbranch_execz .LBB1229_854
.LBB1229_823:                           ;   in Loop: Header=BB1229_688 Depth=2
	ds_load_b64 v[36:37], v110 offset:16384
	s_waitcnt lgkmcnt(0)
	v_cmp_ne_u64_e64 s31, s[40:41], v[36:37]
	s_delay_alu instid0(VALU_DEP_1) | instskip(SKIP_1) | instid1(VALU_DEP_1)
	v_cndmask_b32_e64 v37, 0x80000000, v37, s31
	v_cndmask_b32_e64 v36, 0, v36, s31
	v_lshrrev_b64 v[36:37], s42, v[36:37]
	s_delay_alu instid0(VALU_DEP_1)
	v_and_b32_e32 v168, s50, v36
	s_or_b32 exec_lo, exec_lo, s36
	s_and_saveexec_b32 s36, s24
	s_cbranch_execnz .LBB1229_855
.LBB1229_824:                           ;   in Loop: Header=BB1229_688 Depth=2
	s_or_b32 exec_lo, exec_lo, s36
	s_and_saveexec_b32 s36, s25
	s_cbranch_execz .LBB1229_856
.LBB1229_825:                           ;   in Loop: Header=BB1229_688 Depth=2
	ds_load_b64 v[36:37], v110 offset:20480
	s_waitcnt lgkmcnt(0)
	v_cmp_ne_u64_e64 s31, s[40:41], v[36:37]
	s_delay_alu instid0(VALU_DEP_1) | instskip(SKIP_1) | instid1(VALU_DEP_1)
	v_cndmask_b32_e64 v37, 0x80000000, v37, s31
	v_cndmask_b32_e64 v36, 0, v36, s31
	v_lshrrev_b64 v[36:37], s42, v[36:37]
	s_delay_alu instid0(VALU_DEP_1)
	v_and_b32_e32 v166, s50, v36
	s_or_b32 exec_lo, exec_lo, s36
	s_and_saveexec_b32 s36, s26
	s_cbranch_execnz .LBB1229_857
.LBB1229_826:                           ;   in Loop: Header=BB1229_688 Depth=2
	s_or_b32 exec_lo, exec_lo, s36
	s_and_saveexec_b32 s36, s27
	s_cbranch_execz .LBB1229_858
.LBB1229_827:                           ;   in Loop: Header=BB1229_688 Depth=2
	ds_load_b64 v[36:37], v110 offset:24576
	s_waitcnt lgkmcnt(0)
	v_cmp_ne_u64_e64 s31, s[40:41], v[36:37]
	s_delay_alu instid0(VALU_DEP_1) | instskip(SKIP_1) | instid1(VALU_DEP_1)
	v_cndmask_b32_e64 v37, 0x80000000, v37, s31
	v_cndmask_b32_e64 v36, 0, v36, s31
	v_lshrrev_b64 v[36:37], s42, v[36:37]
	s_delay_alu instid0(VALU_DEP_1)
	v_and_b32_e32 v164, s50, v36
	s_or_b32 exec_lo, exec_lo, s36
	s_and_saveexec_b32 s36, s28
	s_cbranch_execnz .LBB1229_859
.LBB1229_828:                           ;   in Loop: Header=BB1229_688 Depth=2
	s_or_b32 exec_lo, exec_lo, s36
	s_and_saveexec_b32 s36, s29
	s_cbranch_execz .LBB1229_860
.LBB1229_829:                           ;   in Loop: Header=BB1229_688 Depth=2
	ds_load_b64 v[36:37], v110 offset:28672
	s_waitcnt lgkmcnt(0)
	v_cmp_ne_u64_e64 s31, s[40:41], v[36:37]
	s_delay_alu instid0(VALU_DEP_1) | instskip(SKIP_1) | instid1(VALU_DEP_1)
	v_cndmask_b32_e64 v37, 0x80000000, v37, s31
	v_cndmask_b32_e64 v36, 0, v36, s31
	v_lshrrev_b64 v[36:37], s42, v[36:37]
	s_delay_alu instid0(VALU_DEP_1)
	v_and_b32_e32 v162, s50, v36
	s_or_b32 exec_lo, exec_lo, s36
	s_and_saveexec_b32 s36, s30
	s_cbranch_execnz .LBB1229_861
	s_branch .LBB1229_862
.LBB1229_830:                           ;   in Loop: Header=BB1229_688 Depth=2
	s_or_b32 exec_lo, exec_lo, s31
	s_delay_alu instid0(SALU_CYCLE_1)
	s_mov_b32 s36, exec_lo
	v_cmpx_lt_u32_e64 v141, v177
	s_cbranch_execz .LBB1229_800
.LBB1229_831:                           ;   in Loop: Header=BB1229_688 Depth=2
	global_load_b64 v[32:33], v[36:37], off offset:256
	s_or_b32 exec_lo, exec_lo, s36
	s_delay_alu instid0(SALU_CYCLE_1)
	s_mov_b32 s36, exec_lo
	v_cmpx_lt_u32_e64 v142, v177
	s_cbranch_execnz .LBB1229_801
.LBB1229_832:                           ;   in Loop: Header=BB1229_688 Depth=2
	s_or_b32 exec_lo, exec_lo, s36
	s_delay_alu instid0(SALU_CYCLE_1)
	s_mov_b32 s36, exec_lo
	v_cmpx_lt_u32_e64 v143, v177
	s_cbranch_execz .LBB1229_802
.LBB1229_833:                           ;   in Loop: Header=BB1229_688 Depth=2
	global_load_b64 v[28:29], v[36:37], off offset:768
	s_or_b32 exec_lo, exec_lo, s36
	s_delay_alu instid0(SALU_CYCLE_1)
	s_mov_b32 s36, exec_lo
	v_cmpx_lt_u32_e64 v144, v177
	s_cbranch_execnz .LBB1229_803
.LBB1229_834:                           ;   in Loop: Header=BB1229_688 Depth=2
	s_or_b32 exec_lo, exec_lo, s36
	s_delay_alu instid0(SALU_CYCLE_1)
	s_mov_b32 s36, exec_lo
	v_cmpx_lt_u32_e64 v145, v177
	s_cbranch_execz .LBB1229_804
.LBB1229_835:                           ;   in Loop: Header=BB1229_688 Depth=2
	global_load_b64 v[24:25], v[36:37], off offset:1280
	s_or_b32 exec_lo, exec_lo, s36
	s_delay_alu instid0(SALU_CYCLE_1)
	s_mov_b32 s36, exec_lo
	v_cmpx_lt_u32_e64 v146, v177
	s_cbranch_execnz .LBB1229_805
.LBB1229_836:                           ;   in Loop: Header=BB1229_688 Depth=2
	s_or_b32 exec_lo, exec_lo, s36
	s_delay_alu instid0(SALU_CYCLE_1)
	s_mov_b32 s36, exec_lo
	v_cmpx_lt_u32_e64 v147, v177
	s_cbranch_execz .LBB1229_806
.LBB1229_837:                           ;   in Loop: Header=BB1229_688 Depth=2
	global_load_b64 v[20:21], v[36:37], off offset:1792
	s_or_b32 exec_lo, exec_lo, s36
	s_delay_alu instid0(SALU_CYCLE_1)
	s_mov_b32 s36, exec_lo
	v_cmpx_lt_u32_e64 v148, v177
	s_cbranch_execnz .LBB1229_807
.LBB1229_838:                           ;   in Loop: Header=BB1229_688 Depth=2
	s_or_b32 exec_lo, exec_lo, s36
	s_delay_alu instid0(SALU_CYCLE_1)
	s_mov_b32 s36, exec_lo
	v_cmpx_lt_u32_e64 v149, v177
	s_cbranch_execz .LBB1229_808
.LBB1229_839:                           ;   in Loop: Header=BB1229_688 Depth=2
	global_load_b64 v[16:17], v[36:37], off offset:2304
	s_or_b32 exec_lo, exec_lo, s36
	s_delay_alu instid0(SALU_CYCLE_1)
	s_mov_b32 s36, exec_lo
	v_cmpx_lt_u32_e64 v150, v177
	s_cbranch_execnz .LBB1229_809
.LBB1229_840:                           ;   in Loop: Header=BB1229_688 Depth=2
	s_or_b32 exec_lo, exec_lo, s36
	s_delay_alu instid0(SALU_CYCLE_1)
	s_mov_b32 s36, exec_lo
	v_cmpx_lt_u32_e64 v151, v177
	s_cbranch_execz .LBB1229_810
.LBB1229_841:                           ;   in Loop: Header=BB1229_688 Depth=2
	global_load_b64 v[12:13], v[36:37], off offset:2816
	s_or_b32 exec_lo, exec_lo, s36
	s_delay_alu instid0(SALU_CYCLE_1)
	s_mov_b32 s36, exec_lo
	v_cmpx_lt_u32_e64 v152, v177
	s_cbranch_execnz .LBB1229_811
.LBB1229_842:                           ;   in Loop: Header=BB1229_688 Depth=2
	s_or_b32 exec_lo, exec_lo, s36
	s_delay_alu instid0(SALU_CYCLE_1)
	s_mov_b32 s36, exec_lo
	v_cmpx_lt_u32_e64 v153, v177
	s_cbranch_execz .LBB1229_812
.LBB1229_843:                           ;   in Loop: Header=BB1229_688 Depth=2
	global_load_b64 v[8:9], v[36:37], off offset:3328
	s_or_b32 exec_lo, exec_lo, s36
	s_delay_alu instid0(SALU_CYCLE_1)
	s_mov_b32 s36, exec_lo
	v_cmpx_lt_u32_e64 v154, v177
	s_cbranch_execnz .LBB1229_813
.LBB1229_844:                           ;   in Loop: Header=BB1229_688 Depth=2
	s_or_b32 exec_lo, exec_lo, s36
	s_delay_alu instid0(SALU_CYCLE_1)
	s_mov_b32 s36, exec_lo
	v_cmpx_lt_u32_e64 v155, v177
	s_cbranch_execz .LBB1229_814
.LBB1229_845:                           ;   in Loop: Header=BB1229_688 Depth=2
	global_load_b64 v[4:5], v[36:37], off offset:3840
	s_or_b32 exec_lo, exec_lo, s36
	s_and_saveexec_b32 s36, vcc_lo
	s_cbranch_execnz .LBB1229_815
.LBB1229_846:                           ;   in Loop: Header=BB1229_688 Depth=2
	s_or_b32 exec_lo, exec_lo, s36
	s_and_saveexec_b32 s36, s16
	s_cbranch_execz .LBB1229_816
.LBB1229_847:                           ;   in Loop: Header=BB1229_688 Depth=2
	ds_load_b64 v[36:37], v110 offset:2048
	s_waitcnt lgkmcnt(0)
	v_cmp_ne_u64_e64 s31, s[40:41], v[36:37]
	s_delay_alu instid0(VALU_DEP_1) | instskip(SKIP_1) | instid1(VALU_DEP_1)
	v_cndmask_b32_e64 v37, 0x80000000, v37, s31
	v_cndmask_b32_e64 v36, 0, v36, s31
	v_lshrrev_b64 v[36:37], s42, v[36:37]
	s_delay_alu instid0(VALU_DEP_1)
	v_and_b32_e32 v175, s50, v36
	s_or_b32 exec_lo, exec_lo, s36
	s_and_saveexec_b32 s36, s17
	s_cbranch_execnz .LBB1229_817
.LBB1229_848:                           ;   in Loop: Header=BB1229_688 Depth=2
	s_or_b32 exec_lo, exec_lo, s36
	s_and_saveexec_b32 s36, s18
	s_cbranch_execz .LBB1229_818
.LBB1229_849:                           ;   in Loop: Header=BB1229_688 Depth=2
	ds_load_b64 v[36:37], v110 offset:6144
	s_waitcnt lgkmcnt(0)
	v_cmp_ne_u64_e64 s31, s[40:41], v[36:37]
	s_delay_alu instid0(VALU_DEP_1) | instskip(SKIP_1) | instid1(VALU_DEP_1)
	v_cndmask_b32_e64 v37, 0x80000000, v37, s31
	v_cndmask_b32_e64 v36, 0, v36, s31
	v_lshrrev_b64 v[36:37], s42, v[36:37]
	s_delay_alu instid0(VALU_DEP_1)
	v_and_b32_e32 v173, s50, v36
	s_or_b32 exec_lo, exec_lo, s36
	s_and_saveexec_b32 s36, s19
	s_cbranch_execnz .LBB1229_819
.LBB1229_850:                           ;   in Loop: Header=BB1229_688 Depth=2
	s_or_b32 exec_lo, exec_lo, s36
	s_and_saveexec_b32 s36, s20
	s_cbranch_execz .LBB1229_820
.LBB1229_851:                           ;   in Loop: Header=BB1229_688 Depth=2
	ds_load_b64 v[36:37], v110 offset:10240
	s_waitcnt lgkmcnt(0)
	v_cmp_ne_u64_e64 s31, s[40:41], v[36:37]
	s_delay_alu instid0(VALU_DEP_1) | instskip(SKIP_1) | instid1(VALU_DEP_1)
	v_cndmask_b32_e64 v37, 0x80000000, v37, s31
	v_cndmask_b32_e64 v36, 0, v36, s31
	v_lshrrev_b64 v[36:37], s42, v[36:37]
	s_delay_alu instid0(VALU_DEP_1)
	v_and_b32_e32 v171, s50, v36
	s_or_b32 exec_lo, exec_lo, s36
	s_and_saveexec_b32 s36, s21
	s_cbranch_execnz .LBB1229_821
.LBB1229_852:                           ;   in Loop: Header=BB1229_688 Depth=2
	s_or_b32 exec_lo, exec_lo, s36
	s_and_saveexec_b32 s36, s22
	s_cbranch_execz .LBB1229_822
.LBB1229_853:                           ;   in Loop: Header=BB1229_688 Depth=2
	ds_load_b64 v[36:37], v110 offset:14336
	s_waitcnt lgkmcnt(0)
	v_cmp_ne_u64_e64 s31, s[40:41], v[36:37]
	s_delay_alu instid0(VALU_DEP_1) | instskip(SKIP_1) | instid1(VALU_DEP_1)
	v_cndmask_b32_e64 v37, 0x80000000, v37, s31
	v_cndmask_b32_e64 v36, 0, v36, s31
	v_lshrrev_b64 v[36:37], s42, v[36:37]
	s_delay_alu instid0(VALU_DEP_1)
	v_and_b32_e32 v169, s50, v36
	s_or_b32 exec_lo, exec_lo, s36
	s_and_saveexec_b32 s36, s23
	s_cbranch_execnz .LBB1229_823
.LBB1229_854:                           ;   in Loop: Header=BB1229_688 Depth=2
	s_or_b32 exec_lo, exec_lo, s36
	s_and_saveexec_b32 s36, s24
	s_cbranch_execz .LBB1229_824
.LBB1229_855:                           ;   in Loop: Header=BB1229_688 Depth=2
	ds_load_b64 v[36:37], v110 offset:18432
	s_waitcnt lgkmcnt(0)
	v_cmp_ne_u64_e64 s31, s[40:41], v[36:37]
	s_delay_alu instid0(VALU_DEP_1) | instskip(SKIP_1) | instid1(VALU_DEP_1)
	v_cndmask_b32_e64 v37, 0x80000000, v37, s31
	v_cndmask_b32_e64 v36, 0, v36, s31
	v_lshrrev_b64 v[36:37], s42, v[36:37]
	s_delay_alu instid0(VALU_DEP_1)
	v_and_b32_e32 v167, s50, v36
	s_or_b32 exec_lo, exec_lo, s36
	s_and_saveexec_b32 s36, s25
	s_cbranch_execnz .LBB1229_825
.LBB1229_856:                           ;   in Loop: Header=BB1229_688 Depth=2
	s_or_b32 exec_lo, exec_lo, s36
	s_and_saveexec_b32 s36, s26
	s_cbranch_execz .LBB1229_826
.LBB1229_857:                           ;   in Loop: Header=BB1229_688 Depth=2
	ds_load_b64 v[36:37], v110 offset:22528
	s_waitcnt lgkmcnt(0)
	v_cmp_ne_u64_e64 s31, s[40:41], v[36:37]
	s_delay_alu instid0(VALU_DEP_1) | instskip(SKIP_1) | instid1(VALU_DEP_1)
	v_cndmask_b32_e64 v37, 0x80000000, v37, s31
	v_cndmask_b32_e64 v36, 0, v36, s31
	v_lshrrev_b64 v[36:37], s42, v[36:37]
	s_delay_alu instid0(VALU_DEP_1)
	v_and_b32_e32 v165, s50, v36
	s_or_b32 exec_lo, exec_lo, s36
	s_and_saveexec_b32 s36, s27
	s_cbranch_execnz .LBB1229_827
.LBB1229_858:                           ;   in Loop: Header=BB1229_688 Depth=2
	s_or_b32 exec_lo, exec_lo, s36
	s_and_saveexec_b32 s36, s28
	s_cbranch_execz .LBB1229_828
.LBB1229_859:                           ;   in Loop: Header=BB1229_688 Depth=2
	ds_load_b64 v[36:37], v110 offset:26624
	s_waitcnt lgkmcnt(0)
	v_cmp_ne_u64_e64 s31, s[40:41], v[36:37]
	s_delay_alu instid0(VALU_DEP_1) | instskip(SKIP_1) | instid1(VALU_DEP_1)
	v_cndmask_b32_e64 v37, 0x80000000, v37, s31
	v_cndmask_b32_e64 v36, 0, v36, s31
	v_lshrrev_b64 v[36:37], s42, v[36:37]
	s_delay_alu instid0(VALU_DEP_1)
	v_and_b32_e32 v163, s50, v36
	s_or_b32 exec_lo, exec_lo, s36
	s_and_saveexec_b32 s36, s29
	s_cbranch_execnz .LBB1229_829
.LBB1229_860:                           ;   in Loop: Header=BB1229_688 Depth=2
	s_or_b32 exec_lo, exec_lo, s36
	s_and_saveexec_b32 s36, s30
	s_cbranch_execz .LBB1229_862
.LBB1229_861:                           ;   in Loop: Header=BB1229_688 Depth=2
	ds_load_b64 v[36:37], v110 offset:30720
	s_waitcnt lgkmcnt(0)
	v_cmp_ne_u64_e64 s31, s[40:41], v[36:37]
	s_delay_alu instid0(VALU_DEP_1) | instskip(SKIP_1) | instid1(VALU_DEP_1)
	v_cndmask_b32_e64 v37, 0x80000000, v37, s31
	v_cndmask_b32_e64 v36, 0, v36, s31
	v_lshrrev_b64 v[36:37], s42, v[36:37]
	s_delay_alu instid0(VALU_DEP_1)
	v_and_b32_e32 v161, s50, v36
.LBB1229_862:                           ;   in Loop: Header=BB1229_688 Depth=2
	s_or_b32 exec_lo, exec_lo, s36
	v_add_nc_u32_e32 v2, 0x400, v69
	v_add_nc_u32_e32 v36, 0x400, v70
	;; [unrolled: 1-line block ×16, first 2 shown]
	s_waitcnt vmcnt(0)
	s_waitcnt_vscnt null, 0x0
	s_barrier
	buffer_gl0_inv
	ds_store_b64 v2, v[34:35]
	ds_store_b64 v36, v[32:33]
	;; [unrolled: 1-line block ×16, first 2 shown]
	s_waitcnt lgkmcnt(0)
	s_barrier
	buffer_gl0_inv
	s_and_saveexec_b32 s31, vcc_lo
	s_cbranch_execz .LBB1229_878
; %bb.863:                              ;   in Loop: Header=BB1229_688 Depth=2
	v_lshlrev_b32_e32 v2, 2, v176
	v_add_nc_u32_e32 v36, v104, v76
	ds_load_b32 v2, v2
	ds_load_b64 v[36:37], v36 offset:1024
	s_waitcnt lgkmcnt(1)
	v_add_nc_u32_e32 v2, v2, v1
	s_delay_alu instid0(VALU_DEP_1) | instskip(NEXT) | instid1(VALU_DEP_1)
	v_lshlrev_b64 v[38:39], 3, v[2:3]
	v_add_co_u32 v38, vcc_lo, s52, v38
	s_delay_alu instid0(VALU_DEP_2)
	v_add_co_ci_u32_e32 v39, vcc_lo, s53, v39, vcc_lo
	s_waitcnt lgkmcnt(0)
	global_store_b64 v[38:39], v[36:37], off
	s_or_b32 exec_lo, exec_lo, s31
	s_and_saveexec_b32 s31, s16
	s_cbranch_execnz .LBB1229_879
.LBB1229_864:                           ;   in Loop: Header=BB1229_688 Depth=2
	s_or_b32 exec_lo, exec_lo, s31
	s_and_saveexec_b32 s16, s17
	s_cbranch_execz .LBB1229_880
.LBB1229_865:                           ;   in Loop: Header=BB1229_688 Depth=2
	v_lshlrev_b32_e32 v2, 2, v174
	ds_load_b32 v2, v2
	ds_load_b64 v[36:37], v110 offset:4096
	s_waitcnt lgkmcnt(1)
	v_add_nc_u32_e32 v2, v2, v78
	s_delay_alu instid0(VALU_DEP_1) | instskip(NEXT) | instid1(VALU_DEP_1)
	v_lshlrev_b64 v[38:39], 3, v[2:3]
	v_add_co_u32 v38, vcc_lo, s52, v38
	s_delay_alu instid0(VALU_DEP_2)
	v_add_co_ci_u32_e32 v39, vcc_lo, s53, v39, vcc_lo
	s_waitcnt lgkmcnt(0)
	global_store_b64 v[38:39], v[36:37], off
	s_or_b32 exec_lo, exec_lo, s16
	s_and_saveexec_b32 s16, s18
	s_cbranch_execnz .LBB1229_881
.LBB1229_866:                           ;   in Loop: Header=BB1229_688 Depth=2
	s_or_b32 exec_lo, exec_lo, s16
	s_and_saveexec_b32 s16, s19
	s_cbranch_execz .LBB1229_882
.LBB1229_867:                           ;   in Loop: Header=BB1229_688 Depth=2
	v_lshlrev_b32_e32 v2, 2, v172
	ds_load_b32 v2, v2
	ds_load_b64 v[36:37], v110 offset:8192
	s_waitcnt lgkmcnt(1)
	v_add_nc_u32_e32 v2, v2, v83
	s_delay_alu instid0(VALU_DEP_1) | instskip(NEXT) | instid1(VALU_DEP_1)
	v_lshlrev_b64 v[38:39], 3, v[2:3]
	v_add_co_u32 v38, vcc_lo, s52, v38
	s_delay_alu instid0(VALU_DEP_2)
	v_add_co_ci_u32_e32 v39, vcc_lo, s53, v39, vcc_lo
	s_waitcnt lgkmcnt(0)
	global_store_b64 v[38:39], v[36:37], off
	s_or_b32 exec_lo, exec_lo, s16
	s_and_saveexec_b32 s16, s20
	s_cbranch_execnz .LBB1229_883
.LBB1229_868:                           ;   in Loop: Header=BB1229_688 Depth=2
	s_or_b32 exec_lo, exec_lo, s16
	s_and_saveexec_b32 s16, s21
	s_cbranch_execz .LBB1229_884
.LBB1229_869:                           ;   in Loop: Header=BB1229_688 Depth=2
	v_lshlrev_b32_e32 v2, 2, v170
	ds_load_b32 v2, v2
	ds_load_b64 v[36:37], v110 offset:12288
	s_waitcnt lgkmcnt(1)
	v_add_nc_u32_e32 v2, v2, v85
	s_delay_alu instid0(VALU_DEP_1) | instskip(NEXT) | instid1(VALU_DEP_1)
	v_lshlrev_b64 v[38:39], 3, v[2:3]
	v_add_co_u32 v38, vcc_lo, s52, v38
	s_delay_alu instid0(VALU_DEP_2)
	v_add_co_ci_u32_e32 v39, vcc_lo, s53, v39, vcc_lo
	s_waitcnt lgkmcnt(0)
	global_store_b64 v[38:39], v[36:37], off
	s_or_b32 exec_lo, exec_lo, s16
	s_and_saveexec_b32 s16, s22
	s_cbranch_execnz .LBB1229_885
.LBB1229_870:                           ;   in Loop: Header=BB1229_688 Depth=2
	s_or_b32 exec_lo, exec_lo, s16
	s_and_saveexec_b32 s16, s23
	s_cbranch_execz .LBB1229_886
.LBB1229_871:                           ;   in Loop: Header=BB1229_688 Depth=2
	v_lshlrev_b32_e32 v2, 2, v168
	ds_load_b32 v2, v2
	ds_load_b64 v[36:37], v110 offset:16384
	s_waitcnt lgkmcnt(1)
	v_add_nc_u32_e32 v2, v2, v87
	s_delay_alu instid0(VALU_DEP_1) | instskip(NEXT) | instid1(VALU_DEP_1)
	v_lshlrev_b64 v[38:39], 3, v[2:3]
	v_add_co_u32 v38, vcc_lo, s52, v38
	s_delay_alu instid0(VALU_DEP_2)
	v_add_co_ci_u32_e32 v39, vcc_lo, s53, v39, vcc_lo
	s_waitcnt lgkmcnt(0)
	global_store_b64 v[38:39], v[36:37], off
	s_or_b32 exec_lo, exec_lo, s16
	s_and_saveexec_b32 s16, s24
	s_cbranch_execnz .LBB1229_887
.LBB1229_872:                           ;   in Loop: Header=BB1229_688 Depth=2
	s_or_b32 exec_lo, exec_lo, s16
	s_and_saveexec_b32 s16, s25
	s_cbranch_execz .LBB1229_888
.LBB1229_873:                           ;   in Loop: Header=BB1229_688 Depth=2
	v_lshlrev_b32_e32 v2, 2, v166
	ds_load_b32 v2, v2
	ds_load_b64 v[36:37], v110 offset:20480
	s_waitcnt lgkmcnt(1)
	v_add_nc_u32_e32 v2, v2, v89
	s_delay_alu instid0(VALU_DEP_1) | instskip(NEXT) | instid1(VALU_DEP_1)
	v_lshlrev_b64 v[38:39], 3, v[2:3]
	v_add_co_u32 v38, vcc_lo, s52, v38
	s_delay_alu instid0(VALU_DEP_2)
	v_add_co_ci_u32_e32 v39, vcc_lo, s53, v39, vcc_lo
	s_waitcnt lgkmcnt(0)
	global_store_b64 v[38:39], v[36:37], off
	s_or_b32 exec_lo, exec_lo, s16
	s_and_saveexec_b32 s16, s26
	s_cbranch_execnz .LBB1229_889
.LBB1229_874:                           ;   in Loop: Header=BB1229_688 Depth=2
	s_or_b32 exec_lo, exec_lo, s16
	s_and_saveexec_b32 s16, s27
	s_cbranch_execz .LBB1229_890
.LBB1229_875:                           ;   in Loop: Header=BB1229_688 Depth=2
	v_lshlrev_b32_e32 v2, 2, v164
	ds_load_b32 v2, v2
	ds_load_b64 v[36:37], v110 offset:24576
	s_waitcnt lgkmcnt(1)
	v_add_nc_u32_e32 v2, v2, v91
	s_delay_alu instid0(VALU_DEP_1) | instskip(NEXT) | instid1(VALU_DEP_1)
	v_lshlrev_b64 v[38:39], 3, v[2:3]
	v_add_co_u32 v38, vcc_lo, s52, v38
	s_delay_alu instid0(VALU_DEP_2)
	v_add_co_ci_u32_e32 v39, vcc_lo, s53, v39, vcc_lo
	s_waitcnt lgkmcnt(0)
	global_store_b64 v[38:39], v[36:37], off
	s_or_b32 exec_lo, exec_lo, s16
	s_and_saveexec_b32 s16, s28
	s_cbranch_execnz .LBB1229_891
.LBB1229_876:                           ;   in Loop: Header=BB1229_688 Depth=2
	s_or_b32 exec_lo, exec_lo, s16
	s_and_saveexec_b32 s16, s29
	s_cbranch_execz .LBB1229_892
.LBB1229_877:                           ;   in Loop: Header=BB1229_688 Depth=2
	v_lshlrev_b32_e32 v2, 2, v162
	ds_load_b32 v2, v2
	ds_load_b64 v[36:37], v110 offset:28672
	s_waitcnt lgkmcnt(1)
	v_add_nc_u32_e32 v2, v2, v93
	s_delay_alu instid0(VALU_DEP_1) | instskip(NEXT) | instid1(VALU_DEP_1)
	v_lshlrev_b64 v[38:39], 3, v[2:3]
	v_add_co_u32 v38, vcc_lo, s52, v38
	s_delay_alu instid0(VALU_DEP_2)
	v_add_co_ci_u32_e32 v39, vcc_lo, s53, v39, vcc_lo
	s_waitcnt lgkmcnt(0)
	global_store_b64 v[38:39], v[36:37], off
	s_or_b32 exec_lo, exec_lo, s16
	s_and_saveexec_b32 s16, s30
	s_cbranch_execnz .LBB1229_893
	s_branch .LBB1229_894
.LBB1229_878:                           ;   in Loop: Header=BB1229_688 Depth=2
	s_or_b32 exec_lo, exec_lo, s31
	s_and_saveexec_b32 s31, s16
	s_cbranch_execz .LBB1229_864
.LBB1229_879:                           ;   in Loop: Header=BB1229_688 Depth=2
	v_lshlrev_b32_e32 v2, 2, v175
	ds_load_b32 v2, v2
	ds_load_b64 v[36:37], v110 offset:2048
	s_waitcnt lgkmcnt(1)
	v_add_nc_u32_e32 v2, v2, v77
	s_delay_alu instid0(VALU_DEP_1) | instskip(NEXT) | instid1(VALU_DEP_1)
	v_lshlrev_b64 v[38:39], 3, v[2:3]
	v_add_co_u32 v38, vcc_lo, s52, v38
	s_delay_alu instid0(VALU_DEP_2)
	v_add_co_ci_u32_e32 v39, vcc_lo, s53, v39, vcc_lo
	s_waitcnt lgkmcnt(0)
	global_store_b64 v[38:39], v[36:37], off
	s_or_b32 exec_lo, exec_lo, s31
	s_and_saveexec_b32 s16, s17
	s_cbranch_execnz .LBB1229_865
.LBB1229_880:                           ;   in Loop: Header=BB1229_688 Depth=2
	s_or_b32 exec_lo, exec_lo, s16
	s_and_saveexec_b32 s16, s18
	s_cbranch_execz .LBB1229_866
.LBB1229_881:                           ;   in Loop: Header=BB1229_688 Depth=2
	v_lshlrev_b32_e32 v2, 2, v173
	ds_load_b32 v2, v2
	ds_load_b64 v[36:37], v110 offset:6144
	s_waitcnt lgkmcnt(1)
	v_add_nc_u32_e32 v2, v2, v79
	s_delay_alu instid0(VALU_DEP_1) | instskip(NEXT) | instid1(VALU_DEP_1)
	v_lshlrev_b64 v[38:39], 3, v[2:3]
	v_add_co_u32 v38, vcc_lo, s52, v38
	s_delay_alu instid0(VALU_DEP_2)
	v_add_co_ci_u32_e32 v39, vcc_lo, s53, v39, vcc_lo
	s_waitcnt lgkmcnt(0)
	global_store_b64 v[38:39], v[36:37], off
	s_or_b32 exec_lo, exec_lo, s16
	s_and_saveexec_b32 s16, s19
	s_cbranch_execnz .LBB1229_867
.LBB1229_882:                           ;   in Loop: Header=BB1229_688 Depth=2
	s_or_b32 exec_lo, exec_lo, s16
	s_and_saveexec_b32 s16, s20
	s_cbranch_execz .LBB1229_868
.LBB1229_883:                           ;   in Loop: Header=BB1229_688 Depth=2
	v_lshlrev_b32_e32 v2, 2, v171
	ds_load_b32 v2, v2
	ds_load_b64 v[36:37], v110 offset:10240
	s_waitcnt lgkmcnt(1)
	v_add_nc_u32_e32 v2, v2, v84
	s_delay_alu instid0(VALU_DEP_1) | instskip(NEXT) | instid1(VALU_DEP_1)
	v_lshlrev_b64 v[38:39], 3, v[2:3]
	v_add_co_u32 v38, vcc_lo, s52, v38
	s_delay_alu instid0(VALU_DEP_2)
	v_add_co_ci_u32_e32 v39, vcc_lo, s53, v39, vcc_lo
	s_waitcnt lgkmcnt(0)
	global_store_b64 v[38:39], v[36:37], off
	s_or_b32 exec_lo, exec_lo, s16
	s_and_saveexec_b32 s16, s21
	s_cbranch_execnz .LBB1229_869
.LBB1229_884:                           ;   in Loop: Header=BB1229_688 Depth=2
	s_or_b32 exec_lo, exec_lo, s16
	s_and_saveexec_b32 s16, s22
	s_cbranch_execz .LBB1229_870
.LBB1229_885:                           ;   in Loop: Header=BB1229_688 Depth=2
	v_lshlrev_b32_e32 v2, 2, v169
	ds_load_b32 v2, v2
	ds_load_b64 v[36:37], v110 offset:14336
	s_waitcnt lgkmcnt(1)
	v_add_nc_u32_e32 v2, v2, v86
	s_delay_alu instid0(VALU_DEP_1) | instskip(NEXT) | instid1(VALU_DEP_1)
	v_lshlrev_b64 v[38:39], 3, v[2:3]
	v_add_co_u32 v38, vcc_lo, s52, v38
	s_delay_alu instid0(VALU_DEP_2)
	v_add_co_ci_u32_e32 v39, vcc_lo, s53, v39, vcc_lo
	s_waitcnt lgkmcnt(0)
	global_store_b64 v[38:39], v[36:37], off
	s_or_b32 exec_lo, exec_lo, s16
	s_and_saveexec_b32 s16, s23
	s_cbranch_execnz .LBB1229_871
.LBB1229_886:                           ;   in Loop: Header=BB1229_688 Depth=2
	s_or_b32 exec_lo, exec_lo, s16
	s_and_saveexec_b32 s16, s24
	s_cbranch_execz .LBB1229_872
.LBB1229_887:                           ;   in Loop: Header=BB1229_688 Depth=2
	v_lshlrev_b32_e32 v2, 2, v167
	ds_load_b32 v2, v2
	ds_load_b64 v[36:37], v110 offset:18432
	s_waitcnt lgkmcnt(1)
	v_add_nc_u32_e32 v2, v2, v88
	s_delay_alu instid0(VALU_DEP_1) | instskip(NEXT) | instid1(VALU_DEP_1)
	v_lshlrev_b64 v[38:39], 3, v[2:3]
	v_add_co_u32 v38, vcc_lo, s52, v38
	s_delay_alu instid0(VALU_DEP_2)
	v_add_co_ci_u32_e32 v39, vcc_lo, s53, v39, vcc_lo
	s_waitcnt lgkmcnt(0)
	global_store_b64 v[38:39], v[36:37], off
	s_or_b32 exec_lo, exec_lo, s16
	s_and_saveexec_b32 s16, s25
	s_cbranch_execnz .LBB1229_873
.LBB1229_888:                           ;   in Loop: Header=BB1229_688 Depth=2
	s_or_b32 exec_lo, exec_lo, s16
	s_and_saveexec_b32 s16, s26
	s_cbranch_execz .LBB1229_874
.LBB1229_889:                           ;   in Loop: Header=BB1229_688 Depth=2
	v_lshlrev_b32_e32 v2, 2, v165
	ds_load_b32 v2, v2
	ds_load_b64 v[36:37], v110 offset:22528
	s_waitcnt lgkmcnt(1)
	v_add_nc_u32_e32 v2, v2, v90
	s_delay_alu instid0(VALU_DEP_1) | instskip(NEXT) | instid1(VALU_DEP_1)
	v_lshlrev_b64 v[38:39], 3, v[2:3]
	v_add_co_u32 v38, vcc_lo, s52, v38
	s_delay_alu instid0(VALU_DEP_2)
	v_add_co_ci_u32_e32 v39, vcc_lo, s53, v39, vcc_lo
	s_waitcnt lgkmcnt(0)
	global_store_b64 v[38:39], v[36:37], off
	s_or_b32 exec_lo, exec_lo, s16
	s_and_saveexec_b32 s16, s27
	s_cbranch_execnz .LBB1229_875
.LBB1229_890:                           ;   in Loop: Header=BB1229_688 Depth=2
	s_or_b32 exec_lo, exec_lo, s16
	s_and_saveexec_b32 s16, s28
	s_cbranch_execz .LBB1229_876
.LBB1229_891:                           ;   in Loop: Header=BB1229_688 Depth=2
	v_lshlrev_b32_e32 v2, 2, v163
	ds_load_b32 v2, v2
	ds_load_b64 v[36:37], v110 offset:26624
	s_waitcnt lgkmcnt(1)
	v_add_nc_u32_e32 v2, v2, v92
	s_delay_alu instid0(VALU_DEP_1) | instskip(NEXT) | instid1(VALU_DEP_1)
	v_lshlrev_b64 v[38:39], 3, v[2:3]
	v_add_co_u32 v38, vcc_lo, s52, v38
	s_delay_alu instid0(VALU_DEP_2)
	v_add_co_ci_u32_e32 v39, vcc_lo, s53, v39, vcc_lo
	s_waitcnt lgkmcnt(0)
	global_store_b64 v[38:39], v[36:37], off
	s_or_b32 exec_lo, exec_lo, s16
	s_and_saveexec_b32 s16, s29
	s_cbranch_execnz .LBB1229_877
.LBB1229_892:                           ;   in Loop: Header=BB1229_688 Depth=2
	s_or_b32 exec_lo, exec_lo, s16
	s_and_saveexec_b32 s16, s30
	s_cbranch_execz .LBB1229_894
.LBB1229_893:                           ;   in Loop: Header=BB1229_688 Depth=2
	v_lshlrev_b32_e32 v2, 2, v161
	ds_load_b32 v2, v2
	ds_load_b64 v[36:37], v110 offset:30720
	s_waitcnt lgkmcnt(1)
	v_add_nc_u32_e32 v2, v2, v95
	s_delay_alu instid0(VALU_DEP_1) | instskip(NEXT) | instid1(VALU_DEP_1)
	v_lshlrev_b64 v[38:39], 3, v[2:3]
	v_add_co_u32 v38, vcc_lo, s52, v38
	s_delay_alu instid0(VALU_DEP_2)
	v_add_co_ci_u32_e32 v39, vcc_lo, s53, v39, vcc_lo
	s_waitcnt lgkmcnt(0)
	global_store_b64 v[38:39], v[36:37], off
.LBB1229_894:                           ;   in Loop: Header=BB1229_688 Depth=2
	s_or_b32 exec_lo, exec_lo, s16
	s_waitcnt_vscnt null, 0x0
	s_barrier
	buffer_gl0_inv
	s_and_saveexec_b32 s16, s2
	s_cbranch_execz .LBB1229_687
; %bb.895:                              ;   in Loop: Header=BB1229_688 Depth=2
	ds_load_b32 v2, v76
	s_waitcnt lgkmcnt(0)
	v_add_nc_u32_e32 v2, v2, v68
	ds_store_b32 v76, v2
	s_branch .LBB1229_687
.LBB1229_896:                           ;   in Loop: Header=BB1229_12 Depth=1
	s_waitcnt lgkmcnt(0)
	s_mov_b32 s1, 0
	s_barrier
.LBB1229_897:                           ;   in Loop: Header=BB1229_12 Depth=1
	s_and_b32 vcc_lo, exec_lo, s1
	s_cbranch_vccz .LBB1229_11
; %bb.898:                              ;   in Loop: Header=BB1229_12 Depth=1
	s_mov_b32 s1, s62
	s_mov_b32 s36, s33
	s_barrier
	buffer_gl0_inv
                                        ; implicit-def: $vgpr34_vgpr35
                                        ; implicit-def: $vgpr4_vgpr5
                                        ; implicit-def: $vgpr6_vgpr7
                                        ; implicit-def: $vgpr8_vgpr9
                                        ; implicit-def: $vgpr10_vgpr11
                                        ; implicit-def: $vgpr12_vgpr13
                                        ; implicit-def: $vgpr14_vgpr15
                                        ; implicit-def: $vgpr16_vgpr17
                                        ; implicit-def: $vgpr18_vgpr19
                                        ; implicit-def: $vgpr20_vgpr21
                                        ; implicit-def: $vgpr22_vgpr23
                                        ; implicit-def: $vgpr24_vgpr25
                                        ; implicit-def: $vgpr26_vgpr27
                                        ; implicit-def: $vgpr28_vgpr29
                                        ; implicit-def: $vgpr30_vgpr31
                                        ; implicit-def: $vgpr32_vgpr33
	s_branch .LBB1229_900
.LBB1229_899:                           ;   in Loop: Header=BB1229_900 Depth=2
	s_or_b32 exec_lo, exec_lo, s8
	s_addk_i32 s1, 0xf000
	s_cmp_ge_u32 s7, s35
	s_mov_b32 s36, s7
	s_cbranch_scc1 .LBB1229_970
.LBB1229_900:                           ;   Parent Loop BB1229_12 Depth=1
                                        ; =>  This Inner Loop Header: Depth=2
	s_add_i32 s7, s36, 0x1000
	s_delay_alu instid0(SALU_CYCLE_1)
	s_cmp_gt_u32 s7, s35
	s_cbranch_scc1 .LBB1229_903
; %bb.901:                              ;   in Loop: Header=BB1229_900 Depth=2
	s_mov_b32 s9, 0
	s_mov_b32 s8, s36
	s_delay_alu instid0(SALU_CYCLE_1) | instskip(NEXT) | instid1(SALU_CYCLE_1)
	s_lshl_b64 s[10:11], s[8:9], 3
	v_add_co_u32 v36, vcc_lo, v117, s10
	v_add_co_ci_u32_e32 v37, vcc_lo, s11, v118, vcc_lo
	s_movk_i32 s11, 0x1000
	s_waitcnt vmcnt(12)
	s_delay_alu instid0(VALU_DEP_2) | instskip(NEXT) | instid1(VALU_DEP_2)
	v_add_co_u32 v42, vcc_lo, 0x1000, v36
	v_add_co_ci_u32_e32 v43, vcc_lo, 0, v37, vcc_lo
	s_waitcnt vmcnt(11)
	v_add_co_u32 v44, vcc_lo, 0x2000, v36
	v_add_co_ci_u32_e32 v45, vcc_lo, 0, v37, vcc_lo
	s_waitcnt vmcnt(1)
	v_add_co_u32 v50, vcc_lo, v36, 0x2000
	v_add_co_ci_u32_e32 v51, vcc_lo, 0, v37, vcc_lo
	v_add_co_u32 v52, vcc_lo, v36, 0x4000
	v_add_co_ci_u32_e32 v53, vcc_lo, 0, v37, vcc_lo
	;; [unrolled: 2-line block ×7, first 2 shown]
	s_waitcnt vmcnt(0)
	v_add_co_u32 v66, vcc_lo, 0x7000, v36
	v_add_co_ci_u32_e32 v67, vcc_lo, 0, v37, vcc_lo
	s_clause 0xe
	global_load_b64 v[38:39], v[36:37], off
	global_load_b64 v[40:41], v[36:37], off offset:2048
	global_load_b64 v[42:43], v[42:43], off offset:2048
	;; [unrolled: 1-line block ×3, first 2 shown]
	global_load_b64 v[46:47], v[50:51], off
	global_load_b64 v[48:49], v[52:53], off offset:-4096
	global_load_b64 v[52:53], v[52:53], off
	global_load_b64 v[56:57], v[60:61], off offset:-4096
	global_load_b64 v[60:61], v[60:61], off
	global_load_b64 v[54:55], v[54:55], off offset:2048
	global_load_b64 v[58:59], v[58:59], off offset:2048
	;; [unrolled: 1-line block ×4, first 2 shown]
	global_load_b64 v[50:51], v[50:51], off offset:-4096
	global_load_b64 v[66:67], v[66:67], off
	v_add_co_u32 v36, vcc_lo, 0x7800, v36
	v_add_co_ci_u32_e32 v37, vcc_lo, 0, v37, vcc_lo
	s_mov_b32 s10, -1
	s_cbranch_execz .LBB1229_904
; %bb.902:                              ;   in Loop: Header=BB1229_900 Depth=2
                                        ; implicit-def: $vgpr32_vgpr33
                                        ; implicit-def: $vgpr30_vgpr31
                                        ; implicit-def: $vgpr28_vgpr29
                                        ; implicit-def: $vgpr26_vgpr27
                                        ; implicit-def: $vgpr24_vgpr25
                                        ; implicit-def: $vgpr22_vgpr23
                                        ; implicit-def: $vgpr20_vgpr21
                                        ; implicit-def: $vgpr18_vgpr19
                                        ; implicit-def: $vgpr16_vgpr17
                                        ; implicit-def: $vgpr14_vgpr15
                                        ; implicit-def: $vgpr12_vgpr13
                                        ; implicit-def: $vgpr10_vgpr11
                                        ; implicit-def: $vgpr8_vgpr9
                                        ; implicit-def: $vgpr6_vgpr7
                                        ; implicit-def: $vgpr4_vgpr5
                                        ; implicit-def: $vgpr34_vgpr35
	v_mov_b32_e32 v2, s1
	s_and_saveexec_b32 s8, s10
	s_cbranch_execnz .LBB1229_923
	s_branch .LBB1229_924
.LBB1229_903:                           ;   in Loop: Header=BB1229_900 Depth=2
	s_mov_b32 s10, 0
                                        ; implicit-def: $sgpr11
                                        ; implicit-def: $vgpr38_vgpr39
                                        ; implicit-def: $vgpr40_vgpr41
                                        ; implicit-def: $vgpr50_vgpr51
                                        ; implicit-def: $vgpr42_vgpr43
                                        ; implicit-def: $vgpr46_vgpr47
                                        ; implicit-def: $vgpr44_vgpr45
                                        ; implicit-def: $vgpr48_vgpr49
                                        ; implicit-def: $vgpr54_vgpr55
                                        ; implicit-def: $vgpr52_vgpr53
                                        ; implicit-def: $vgpr58_vgpr59
                                        ; implicit-def: $vgpr56_vgpr57
                                        ; implicit-def: $vgpr62_vgpr63
                                        ; implicit-def: $vgpr60_vgpr61
                                        ; implicit-def: $vgpr64_vgpr65
                                        ; implicit-def: $vgpr66_vgpr67
                                        ; implicit-def: $vgpr36_vgpr37
.LBB1229_904:                           ;   in Loop: Header=BB1229_900 Depth=2
	s_lshl_b64 s[8:9], s[36:37], 3
	s_mov_b32 s11, exec_lo
	s_add_u32 s8, s44, s8
	s_addc_u32 s9, s45, s9
	v_cmpx_gt_u32_e64 s1, v1
	s_cbranch_execz .LBB1229_956
; %bb.905:                              ;   in Loop: Header=BB1229_900 Depth=2
	global_load_b64 v[32:33], v124, s[8:9]
	s_or_b32 exec_lo, exec_lo, s11
	s_delay_alu instid0(SALU_CYCLE_1)
	s_mov_b32 s11, exec_lo
	v_cmpx_gt_u32_e64 s1, v77
	s_cbranch_execnz .LBB1229_957
.LBB1229_906:                           ;   in Loop: Header=BB1229_900 Depth=2
	s_or_b32 exec_lo, exec_lo, s11
	s_delay_alu instid0(SALU_CYCLE_1)
	s_mov_b32 s11, exec_lo
	v_cmpx_gt_u32_e64 s1, v78
	s_cbranch_execz .LBB1229_958
.LBB1229_907:                           ;   in Loop: Header=BB1229_900 Depth=2
	global_load_b64 v[28:29], v125, s[8:9]
	s_or_b32 exec_lo, exec_lo, s11
	s_delay_alu instid0(SALU_CYCLE_1)
	s_mov_b32 s11, exec_lo
	v_cmpx_gt_u32_e64 s1, v79
	s_cbranch_execnz .LBB1229_959
.LBB1229_908:                           ;   in Loop: Header=BB1229_900 Depth=2
	s_or_b32 exec_lo, exec_lo, s11
	s_delay_alu instid0(SALU_CYCLE_1)
	s_mov_b32 s11, exec_lo
	v_cmpx_gt_u32_e64 s1, v83
	s_cbranch_execz .LBB1229_960
.LBB1229_909:                           ;   in Loop: Header=BB1229_900 Depth=2
	global_load_b64 v[24:25], v127, s[8:9]
	s_or_b32 exec_lo, exec_lo, s11
	s_delay_alu instid0(SALU_CYCLE_1)
	s_mov_b32 s11, exec_lo
	v_cmpx_gt_u32_e64 s1, v84
	s_cbranch_execnz .LBB1229_961
.LBB1229_910:                           ;   in Loop: Header=BB1229_900 Depth=2
	s_or_b32 exec_lo, exec_lo, s11
	s_delay_alu instid0(SALU_CYCLE_1)
	s_mov_b32 s11, exec_lo
	v_cmpx_gt_u32_e64 s1, v85
	s_cbranch_execz .LBB1229_962
.LBB1229_911:                           ;   in Loop: Header=BB1229_900 Depth=2
	global_load_b64 v[20:21], v129, s[8:9]
	s_or_b32 exec_lo, exec_lo, s11
	s_delay_alu instid0(SALU_CYCLE_1)
	s_mov_b32 s11, exec_lo
	v_cmpx_gt_u32_e64 s1, v86
	s_cbranch_execnz .LBB1229_963
.LBB1229_912:                           ;   in Loop: Header=BB1229_900 Depth=2
	s_or_b32 exec_lo, exec_lo, s11
	s_delay_alu instid0(SALU_CYCLE_1)
	s_mov_b32 s11, exec_lo
	v_cmpx_gt_u32_e64 s1, v87
	s_cbranch_execz .LBB1229_964
.LBB1229_913:                           ;   in Loop: Header=BB1229_900 Depth=2
	global_load_b64 v[16:17], v131, s[8:9]
	s_or_b32 exec_lo, exec_lo, s11
	s_delay_alu instid0(SALU_CYCLE_1)
	s_mov_b32 s11, exec_lo
	v_cmpx_gt_u32_e64 s1, v88
	s_cbranch_execnz .LBB1229_965
.LBB1229_914:                           ;   in Loop: Header=BB1229_900 Depth=2
	s_or_b32 exec_lo, exec_lo, s11
	s_delay_alu instid0(SALU_CYCLE_1)
	s_mov_b32 s11, exec_lo
	v_cmpx_gt_u32_e64 s1, v89
	s_cbranch_execz .LBB1229_966
.LBB1229_915:                           ;   in Loop: Header=BB1229_900 Depth=2
	global_load_b64 v[12:13], v133, s[8:9]
	s_or_b32 exec_lo, exec_lo, s11
	s_delay_alu instid0(SALU_CYCLE_1)
	s_mov_b32 s11, exec_lo
	v_cmpx_gt_u32_e64 s1, v90
	s_cbranch_execnz .LBB1229_967
.LBB1229_916:                           ;   in Loop: Header=BB1229_900 Depth=2
	s_or_b32 exec_lo, exec_lo, s11
	s_delay_alu instid0(SALU_CYCLE_1)
	s_mov_b32 s11, exec_lo
	v_cmpx_gt_u32_e64 s1, v91
	s_cbranch_execz .LBB1229_968
.LBB1229_917:                           ;   in Loop: Header=BB1229_900 Depth=2
	global_load_b64 v[8:9], v135, s[8:9]
	s_or_b32 exec_lo, exec_lo, s11
	s_delay_alu instid0(SALU_CYCLE_1)
	s_mov_b32 s11, exec_lo
	v_cmpx_gt_u32_e64 s1, v92
	s_cbranch_execnz .LBB1229_969
.LBB1229_918:                           ;   in Loop: Header=BB1229_900 Depth=2
	s_or_b32 exec_lo, exec_lo, s11
	s_delay_alu instid0(SALU_CYCLE_1)
	s_mov_b32 s11, exec_lo
	v_cmpx_gt_u32_e64 s1, v93
	s_cbranch_execz .LBB1229_920
.LBB1229_919:                           ;   in Loop: Header=BB1229_900 Depth=2
	v_lshlrev_b32_e32 v2, 3, v93
	global_load_b64 v[4:5], v2, s[8:9]
.LBB1229_920:                           ;   in Loop: Header=BB1229_900 Depth=2
	s_or_b32 exec_lo, exec_lo, s11
	s_delay_alu instid0(SALU_CYCLE_1)
	s_mov_b32 s12, exec_lo
                                        ; implicit-def: $sgpr11
                                        ; implicit-def: $vgpr36_vgpr37
	v_cmpx_gt_u32_e64 s1, v95
; %bb.921:                              ;   in Loop: Header=BB1229_900 Depth=2
	v_lshlrev_b32_e32 v2, 3, v95
	s_sub_i32 s11, s35, s36
	s_or_b32 s10, s10, exec_lo
                                        ; implicit-def: $vgpr34_vgpr35
	s_delay_alu instid0(VALU_DEP_1) | instskip(NEXT) | instid1(VALU_DEP_1)
	v_add_co_u32 v36, s8, s8, v2
	v_add_co_ci_u32_e64 v37, null, s9, 0, s8
; %bb.922:                              ;   in Loop: Header=BB1229_900 Depth=2
	s_or_b32 exec_lo, exec_lo, s12
	s_waitcnt vmcnt(0)
	v_dual_mov_b32 v39, v33 :: v_dual_mov_b32 v38, v32
	v_dual_mov_b32 v41, v31 :: v_dual_mov_b32 v40, v30
	;; [unrolled: 1-line block ×15, first 2 shown]
	v_mov_b32_e32 v2, s1
	s_and_saveexec_b32 s8, s10
	s_cbranch_execz .LBB1229_924
.LBB1229_923:                           ;   in Loop: Header=BB1229_900 Depth=2
	global_load_b64 v[34:35], v[36:37], off
	s_waitcnt vmcnt(1)
	v_mov_b32_e32 v4, v66
	v_mov_b32_e32 v6, v64
	;; [unrolled: 1-line block ×14, first 2 shown]
	v_dual_mov_b32 v32, v38 :: v_dual_mov_b32 v33, v39
	v_dual_mov_b32 v2, s11 :: v_dual_mov_b32 v5, v67
	v_mov_b32_e32 v7, v65
	v_mov_b32_e32 v9, v61
	;; [unrolled: 1-line block ×13, first 2 shown]
.LBB1229_924:                           ;   in Loop: Header=BB1229_900 Depth=2
	s_or_b32 exec_lo, exec_lo, s8
	v_lshlrev_b32_e32 v36, 2, v80
	s_mov_b32 s8, exec_lo
	v_cmpx_lt_u32_e64 v1, v2
	s_cbranch_execz .LBB1229_940
; %bb.925:                              ;   in Loop: Header=BB1229_900 Depth=2
	v_cmp_lt_i64_e32 vcc_lo, -1, v[32:33]
	s_waitcnt vmcnt(14)
	v_ashrrev_i32_e32 v39, 31, v33
	v_cndmask_b32_e64 v37, -1, 0x80000000, vcc_lo
	s_delay_alu instid0(VALU_DEP_1) | instskip(NEXT) | instid1(VALU_DEP_3)
	v_xor_b32_e32 v38, v37, v33
	v_xor_b32_e32 v37, v39, v32
	s_delay_alu instid0(VALU_DEP_1) | instskip(SKIP_2) | instid1(VALU_DEP_1)
	v_cmp_ne_u64_e32 vcc_lo, s[40:41], v[37:38]
	v_cndmask_b32_e32 v38, 0x80000000, v38, vcc_lo
	v_cndmask_b32_e32 v37, 0, v37, vcc_lo
	v_lshrrev_b64 v[37:38], s42, v[37:38]
	s_delay_alu instid0(VALU_DEP_1) | instskip(NEXT) | instid1(VALU_DEP_1)
	v_and_b32_e32 v37, s50, v37
	v_lshl_or_b32 v37, v37, 4, v36
	ds_add_u32 v37, v123
	s_or_b32 exec_lo, exec_lo, s8
	s_delay_alu instid0(SALU_CYCLE_1)
	s_mov_b32 s8, exec_lo
	v_cmpx_lt_u32_e64 v77, v2
	s_cbranch_execnz .LBB1229_941
.LBB1229_926:                           ;   in Loop: Header=BB1229_900 Depth=2
	s_or_b32 exec_lo, exec_lo, s8
	s_delay_alu instid0(SALU_CYCLE_1)
	s_mov_b32 s8, exec_lo
	v_cmpx_lt_u32_e64 v78, v2
	s_cbranch_execz .LBB1229_942
.LBB1229_927:                           ;   in Loop: Header=BB1229_900 Depth=2
	v_cmp_lt_i64_e32 vcc_lo, -1, v[28:29]
	s_waitcnt vmcnt(14)
	v_ashrrev_i32_e32 v39, 31, v29
	v_cndmask_b32_e64 v37, -1, 0x80000000, vcc_lo
	s_delay_alu instid0(VALU_DEP_1) | instskip(NEXT) | instid1(VALU_DEP_3)
	v_xor_b32_e32 v38, v37, v29
	v_xor_b32_e32 v37, v39, v28
	s_delay_alu instid0(VALU_DEP_1) | instskip(SKIP_2) | instid1(VALU_DEP_1)
	v_cmp_ne_u64_e32 vcc_lo, s[40:41], v[37:38]
	v_cndmask_b32_e32 v38, 0x80000000, v38, vcc_lo
	v_cndmask_b32_e32 v37, 0, v37, vcc_lo
	v_lshrrev_b64 v[37:38], s42, v[37:38]
	s_delay_alu instid0(VALU_DEP_1) | instskip(NEXT) | instid1(VALU_DEP_1)
	v_and_b32_e32 v37, s50, v37
	v_lshl_or_b32 v37, v37, 4, v36
	ds_add_u32 v37, v123
	s_or_b32 exec_lo, exec_lo, s8
	s_delay_alu instid0(SALU_CYCLE_1)
	s_mov_b32 s8, exec_lo
	v_cmpx_lt_u32_e64 v79, v2
	s_cbranch_execnz .LBB1229_943
.LBB1229_928:                           ;   in Loop: Header=BB1229_900 Depth=2
	s_or_b32 exec_lo, exec_lo, s8
	s_delay_alu instid0(SALU_CYCLE_1)
	s_mov_b32 s8, exec_lo
	v_cmpx_lt_u32_e64 v83, v2
	s_cbranch_execz .LBB1229_944
.LBB1229_929:                           ;   in Loop: Header=BB1229_900 Depth=2
	v_cmp_lt_i64_e32 vcc_lo, -1, v[24:25]
	s_waitcnt vmcnt(14)
	v_ashrrev_i32_e32 v39, 31, v25
	v_cndmask_b32_e64 v37, -1, 0x80000000, vcc_lo
	s_delay_alu instid0(VALU_DEP_1) | instskip(NEXT) | instid1(VALU_DEP_3)
	v_xor_b32_e32 v38, v37, v25
	v_xor_b32_e32 v37, v39, v24
	s_delay_alu instid0(VALU_DEP_1) | instskip(SKIP_2) | instid1(VALU_DEP_1)
	v_cmp_ne_u64_e32 vcc_lo, s[40:41], v[37:38]
	v_cndmask_b32_e32 v38, 0x80000000, v38, vcc_lo
	v_cndmask_b32_e32 v37, 0, v37, vcc_lo
	v_lshrrev_b64 v[37:38], s42, v[37:38]
	s_delay_alu instid0(VALU_DEP_1) | instskip(NEXT) | instid1(VALU_DEP_1)
	v_and_b32_e32 v37, s50, v37
	v_lshl_or_b32 v37, v37, 4, v36
	ds_add_u32 v37, v123
	s_or_b32 exec_lo, exec_lo, s8
	s_delay_alu instid0(SALU_CYCLE_1)
	s_mov_b32 s8, exec_lo
	v_cmpx_lt_u32_e64 v84, v2
	s_cbranch_execnz .LBB1229_945
.LBB1229_930:                           ;   in Loop: Header=BB1229_900 Depth=2
	s_or_b32 exec_lo, exec_lo, s8
	s_delay_alu instid0(SALU_CYCLE_1)
	s_mov_b32 s8, exec_lo
	v_cmpx_lt_u32_e64 v85, v2
	s_cbranch_execz .LBB1229_946
.LBB1229_931:                           ;   in Loop: Header=BB1229_900 Depth=2
	v_cmp_lt_i64_e32 vcc_lo, -1, v[20:21]
	s_waitcnt vmcnt(14)
	v_ashrrev_i32_e32 v39, 31, v21
	v_cndmask_b32_e64 v37, -1, 0x80000000, vcc_lo
	s_delay_alu instid0(VALU_DEP_1) | instskip(NEXT) | instid1(VALU_DEP_3)
	v_xor_b32_e32 v38, v37, v21
	v_xor_b32_e32 v37, v39, v20
	s_delay_alu instid0(VALU_DEP_1) | instskip(SKIP_2) | instid1(VALU_DEP_1)
	v_cmp_ne_u64_e32 vcc_lo, s[40:41], v[37:38]
	v_cndmask_b32_e32 v38, 0x80000000, v38, vcc_lo
	v_cndmask_b32_e32 v37, 0, v37, vcc_lo
	v_lshrrev_b64 v[37:38], s42, v[37:38]
	s_delay_alu instid0(VALU_DEP_1) | instskip(NEXT) | instid1(VALU_DEP_1)
	v_and_b32_e32 v37, s50, v37
	v_lshl_or_b32 v37, v37, 4, v36
	ds_add_u32 v37, v123
	s_or_b32 exec_lo, exec_lo, s8
	s_delay_alu instid0(SALU_CYCLE_1)
	s_mov_b32 s8, exec_lo
	v_cmpx_lt_u32_e64 v86, v2
	s_cbranch_execnz .LBB1229_947
.LBB1229_932:                           ;   in Loop: Header=BB1229_900 Depth=2
	s_or_b32 exec_lo, exec_lo, s8
	s_delay_alu instid0(SALU_CYCLE_1)
	s_mov_b32 s8, exec_lo
	v_cmpx_lt_u32_e64 v87, v2
	s_cbranch_execz .LBB1229_948
.LBB1229_933:                           ;   in Loop: Header=BB1229_900 Depth=2
	v_cmp_lt_i64_e32 vcc_lo, -1, v[16:17]
	s_waitcnt vmcnt(14)
	v_ashrrev_i32_e32 v39, 31, v17
	v_cndmask_b32_e64 v37, -1, 0x80000000, vcc_lo
	s_delay_alu instid0(VALU_DEP_1) | instskip(NEXT) | instid1(VALU_DEP_3)
	v_xor_b32_e32 v38, v37, v17
	v_xor_b32_e32 v37, v39, v16
	s_delay_alu instid0(VALU_DEP_1) | instskip(SKIP_2) | instid1(VALU_DEP_1)
	v_cmp_ne_u64_e32 vcc_lo, s[40:41], v[37:38]
	v_cndmask_b32_e32 v38, 0x80000000, v38, vcc_lo
	v_cndmask_b32_e32 v37, 0, v37, vcc_lo
	v_lshrrev_b64 v[37:38], s42, v[37:38]
	s_delay_alu instid0(VALU_DEP_1) | instskip(NEXT) | instid1(VALU_DEP_1)
	v_and_b32_e32 v37, s50, v37
	v_lshl_or_b32 v37, v37, 4, v36
	ds_add_u32 v37, v123
	s_or_b32 exec_lo, exec_lo, s8
	s_delay_alu instid0(SALU_CYCLE_1)
	s_mov_b32 s8, exec_lo
	v_cmpx_lt_u32_e64 v88, v2
	s_cbranch_execnz .LBB1229_949
.LBB1229_934:                           ;   in Loop: Header=BB1229_900 Depth=2
	s_or_b32 exec_lo, exec_lo, s8
	s_delay_alu instid0(SALU_CYCLE_1)
	s_mov_b32 s8, exec_lo
	v_cmpx_lt_u32_e64 v89, v2
	s_cbranch_execz .LBB1229_950
.LBB1229_935:                           ;   in Loop: Header=BB1229_900 Depth=2
	v_cmp_lt_i64_e32 vcc_lo, -1, v[12:13]
	s_waitcnt vmcnt(14)
	v_ashrrev_i32_e32 v39, 31, v13
	v_cndmask_b32_e64 v37, -1, 0x80000000, vcc_lo
	s_delay_alu instid0(VALU_DEP_1) | instskip(NEXT) | instid1(VALU_DEP_3)
	v_xor_b32_e32 v38, v37, v13
	v_xor_b32_e32 v37, v39, v12
	s_delay_alu instid0(VALU_DEP_1) | instskip(SKIP_2) | instid1(VALU_DEP_1)
	v_cmp_ne_u64_e32 vcc_lo, s[40:41], v[37:38]
	v_cndmask_b32_e32 v38, 0x80000000, v38, vcc_lo
	v_cndmask_b32_e32 v37, 0, v37, vcc_lo
	v_lshrrev_b64 v[37:38], s42, v[37:38]
	s_delay_alu instid0(VALU_DEP_1) | instskip(NEXT) | instid1(VALU_DEP_1)
	v_and_b32_e32 v37, s50, v37
	v_lshl_or_b32 v37, v37, 4, v36
	ds_add_u32 v37, v123
	s_or_b32 exec_lo, exec_lo, s8
	s_delay_alu instid0(SALU_CYCLE_1)
	s_mov_b32 s8, exec_lo
	v_cmpx_lt_u32_e64 v90, v2
	s_cbranch_execnz .LBB1229_951
.LBB1229_936:                           ;   in Loop: Header=BB1229_900 Depth=2
	s_or_b32 exec_lo, exec_lo, s8
	s_delay_alu instid0(SALU_CYCLE_1)
	s_mov_b32 s8, exec_lo
	v_cmpx_lt_u32_e64 v91, v2
	s_cbranch_execz .LBB1229_952
.LBB1229_937:                           ;   in Loop: Header=BB1229_900 Depth=2
	v_cmp_lt_i64_e32 vcc_lo, -1, v[8:9]
	s_waitcnt vmcnt(14)
	v_ashrrev_i32_e32 v39, 31, v9
	v_cndmask_b32_e64 v37, -1, 0x80000000, vcc_lo
	s_delay_alu instid0(VALU_DEP_1) | instskip(NEXT) | instid1(VALU_DEP_3)
	v_xor_b32_e32 v38, v37, v9
	v_xor_b32_e32 v37, v39, v8
	s_delay_alu instid0(VALU_DEP_1) | instskip(SKIP_2) | instid1(VALU_DEP_1)
	v_cmp_ne_u64_e32 vcc_lo, s[40:41], v[37:38]
	v_cndmask_b32_e32 v38, 0x80000000, v38, vcc_lo
	v_cndmask_b32_e32 v37, 0, v37, vcc_lo
	v_lshrrev_b64 v[37:38], s42, v[37:38]
	s_delay_alu instid0(VALU_DEP_1) | instskip(NEXT) | instid1(VALU_DEP_1)
	v_and_b32_e32 v37, s50, v37
	v_lshl_or_b32 v37, v37, 4, v36
	ds_add_u32 v37, v123
	s_or_b32 exec_lo, exec_lo, s8
	s_delay_alu instid0(SALU_CYCLE_1)
	s_mov_b32 s8, exec_lo
	v_cmpx_lt_u32_e64 v92, v2
	s_cbranch_execnz .LBB1229_953
.LBB1229_938:                           ;   in Loop: Header=BB1229_900 Depth=2
	s_or_b32 exec_lo, exec_lo, s8
	s_delay_alu instid0(SALU_CYCLE_1)
	s_mov_b32 s8, exec_lo
	v_cmpx_lt_u32_e64 v93, v2
	s_cbranch_execz .LBB1229_954
.LBB1229_939:                           ;   in Loop: Header=BB1229_900 Depth=2
	v_cmp_lt_i64_e32 vcc_lo, -1, v[4:5]
	s_waitcnt vmcnt(14)
	v_ashrrev_i32_e32 v39, 31, v5
	v_cndmask_b32_e64 v37, -1, 0x80000000, vcc_lo
	s_delay_alu instid0(VALU_DEP_1) | instskip(NEXT) | instid1(VALU_DEP_3)
	v_xor_b32_e32 v38, v37, v5
	v_xor_b32_e32 v37, v39, v4
	s_delay_alu instid0(VALU_DEP_1) | instskip(SKIP_2) | instid1(VALU_DEP_1)
	v_cmp_ne_u64_e32 vcc_lo, s[40:41], v[37:38]
	v_cndmask_b32_e32 v38, 0x80000000, v38, vcc_lo
	v_cndmask_b32_e32 v37, 0, v37, vcc_lo
	v_lshrrev_b64 v[37:38], s42, v[37:38]
	s_delay_alu instid0(VALU_DEP_1) | instskip(NEXT) | instid1(VALU_DEP_1)
	v_and_b32_e32 v37, s50, v37
	v_lshl_or_b32 v37, v37, 4, v36
	ds_add_u32 v37, v123
	s_or_b32 exec_lo, exec_lo, s8
	s_delay_alu instid0(SALU_CYCLE_1)
	s_mov_b32 s8, exec_lo
	v_cmpx_lt_u32_e64 v95, v2
	s_cbranch_execz .LBB1229_899
	s_branch .LBB1229_955
.LBB1229_940:                           ;   in Loop: Header=BB1229_900 Depth=2
	s_or_b32 exec_lo, exec_lo, s8
	s_delay_alu instid0(SALU_CYCLE_1)
	s_mov_b32 s8, exec_lo
	v_cmpx_lt_u32_e64 v77, v2
	s_cbranch_execz .LBB1229_926
.LBB1229_941:                           ;   in Loop: Header=BB1229_900 Depth=2
	v_cmp_lt_i64_e32 vcc_lo, -1, v[30:31]
	s_waitcnt vmcnt(14)
	v_ashrrev_i32_e32 v39, 31, v31
	v_cndmask_b32_e64 v37, -1, 0x80000000, vcc_lo
	s_delay_alu instid0(VALU_DEP_1) | instskip(NEXT) | instid1(VALU_DEP_3)
	v_xor_b32_e32 v38, v37, v31
	v_xor_b32_e32 v37, v39, v30
	s_delay_alu instid0(VALU_DEP_1) | instskip(SKIP_2) | instid1(VALU_DEP_1)
	v_cmp_ne_u64_e32 vcc_lo, s[40:41], v[37:38]
	v_cndmask_b32_e32 v38, 0x80000000, v38, vcc_lo
	v_cndmask_b32_e32 v37, 0, v37, vcc_lo
	v_lshrrev_b64 v[37:38], s42, v[37:38]
	s_delay_alu instid0(VALU_DEP_1) | instskip(NEXT) | instid1(VALU_DEP_1)
	v_and_b32_e32 v37, s50, v37
	v_lshl_or_b32 v37, v37, 4, v36
	ds_add_u32 v37, v123
	s_or_b32 exec_lo, exec_lo, s8
	s_delay_alu instid0(SALU_CYCLE_1)
	s_mov_b32 s8, exec_lo
	v_cmpx_lt_u32_e64 v78, v2
	s_cbranch_execnz .LBB1229_927
.LBB1229_942:                           ;   in Loop: Header=BB1229_900 Depth=2
	s_or_b32 exec_lo, exec_lo, s8
	s_delay_alu instid0(SALU_CYCLE_1)
	s_mov_b32 s8, exec_lo
	v_cmpx_lt_u32_e64 v79, v2
	s_cbranch_execz .LBB1229_928
.LBB1229_943:                           ;   in Loop: Header=BB1229_900 Depth=2
	v_cmp_lt_i64_e32 vcc_lo, -1, v[26:27]
	s_waitcnt vmcnt(14)
	v_ashrrev_i32_e32 v39, 31, v27
	v_cndmask_b32_e64 v37, -1, 0x80000000, vcc_lo
	s_delay_alu instid0(VALU_DEP_1) | instskip(NEXT) | instid1(VALU_DEP_3)
	v_xor_b32_e32 v38, v37, v27
	v_xor_b32_e32 v37, v39, v26
	s_delay_alu instid0(VALU_DEP_1) | instskip(SKIP_2) | instid1(VALU_DEP_1)
	v_cmp_ne_u64_e32 vcc_lo, s[40:41], v[37:38]
	v_cndmask_b32_e32 v38, 0x80000000, v38, vcc_lo
	v_cndmask_b32_e32 v37, 0, v37, vcc_lo
	v_lshrrev_b64 v[37:38], s42, v[37:38]
	s_delay_alu instid0(VALU_DEP_1) | instskip(NEXT) | instid1(VALU_DEP_1)
	v_and_b32_e32 v37, s50, v37
	v_lshl_or_b32 v37, v37, 4, v36
	ds_add_u32 v37, v123
	s_or_b32 exec_lo, exec_lo, s8
	s_delay_alu instid0(SALU_CYCLE_1)
	s_mov_b32 s8, exec_lo
	v_cmpx_lt_u32_e64 v83, v2
	s_cbranch_execnz .LBB1229_929
.LBB1229_944:                           ;   in Loop: Header=BB1229_900 Depth=2
	s_or_b32 exec_lo, exec_lo, s8
	s_delay_alu instid0(SALU_CYCLE_1)
	s_mov_b32 s8, exec_lo
	v_cmpx_lt_u32_e64 v84, v2
	s_cbranch_execz .LBB1229_930
.LBB1229_945:                           ;   in Loop: Header=BB1229_900 Depth=2
	v_cmp_lt_i64_e32 vcc_lo, -1, v[22:23]
	s_waitcnt vmcnt(14)
	v_ashrrev_i32_e32 v39, 31, v23
	v_cndmask_b32_e64 v37, -1, 0x80000000, vcc_lo
	s_delay_alu instid0(VALU_DEP_1) | instskip(NEXT) | instid1(VALU_DEP_3)
	v_xor_b32_e32 v38, v37, v23
	v_xor_b32_e32 v37, v39, v22
	s_delay_alu instid0(VALU_DEP_1) | instskip(SKIP_2) | instid1(VALU_DEP_1)
	v_cmp_ne_u64_e32 vcc_lo, s[40:41], v[37:38]
	v_cndmask_b32_e32 v38, 0x80000000, v38, vcc_lo
	v_cndmask_b32_e32 v37, 0, v37, vcc_lo
	v_lshrrev_b64 v[37:38], s42, v[37:38]
	s_delay_alu instid0(VALU_DEP_1) | instskip(NEXT) | instid1(VALU_DEP_1)
	v_and_b32_e32 v37, s50, v37
	v_lshl_or_b32 v37, v37, 4, v36
	ds_add_u32 v37, v123
	s_or_b32 exec_lo, exec_lo, s8
	s_delay_alu instid0(SALU_CYCLE_1)
	s_mov_b32 s8, exec_lo
	v_cmpx_lt_u32_e64 v85, v2
	s_cbranch_execnz .LBB1229_931
.LBB1229_946:                           ;   in Loop: Header=BB1229_900 Depth=2
	s_or_b32 exec_lo, exec_lo, s8
	s_delay_alu instid0(SALU_CYCLE_1)
	s_mov_b32 s8, exec_lo
	v_cmpx_lt_u32_e64 v86, v2
	s_cbranch_execz .LBB1229_932
.LBB1229_947:                           ;   in Loop: Header=BB1229_900 Depth=2
	v_cmp_lt_i64_e32 vcc_lo, -1, v[18:19]
	s_waitcnt vmcnt(14)
	v_ashrrev_i32_e32 v39, 31, v19
	v_cndmask_b32_e64 v37, -1, 0x80000000, vcc_lo
	s_delay_alu instid0(VALU_DEP_1) | instskip(NEXT) | instid1(VALU_DEP_3)
	v_xor_b32_e32 v38, v37, v19
	v_xor_b32_e32 v37, v39, v18
	s_delay_alu instid0(VALU_DEP_1) | instskip(SKIP_2) | instid1(VALU_DEP_1)
	v_cmp_ne_u64_e32 vcc_lo, s[40:41], v[37:38]
	v_cndmask_b32_e32 v38, 0x80000000, v38, vcc_lo
	v_cndmask_b32_e32 v37, 0, v37, vcc_lo
	v_lshrrev_b64 v[37:38], s42, v[37:38]
	s_delay_alu instid0(VALU_DEP_1) | instskip(NEXT) | instid1(VALU_DEP_1)
	v_and_b32_e32 v37, s50, v37
	v_lshl_or_b32 v37, v37, 4, v36
	ds_add_u32 v37, v123
	s_or_b32 exec_lo, exec_lo, s8
	s_delay_alu instid0(SALU_CYCLE_1)
	s_mov_b32 s8, exec_lo
	v_cmpx_lt_u32_e64 v87, v2
	s_cbranch_execnz .LBB1229_933
.LBB1229_948:                           ;   in Loop: Header=BB1229_900 Depth=2
	s_or_b32 exec_lo, exec_lo, s8
	s_delay_alu instid0(SALU_CYCLE_1)
	s_mov_b32 s8, exec_lo
	v_cmpx_lt_u32_e64 v88, v2
	s_cbranch_execz .LBB1229_934
.LBB1229_949:                           ;   in Loop: Header=BB1229_900 Depth=2
	v_cmp_lt_i64_e32 vcc_lo, -1, v[14:15]
	s_waitcnt vmcnt(14)
	v_ashrrev_i32_e32 v39, 31, v15
	v_cndmask_b32_e64 v37, -1, 0x80000000, vcc_lo
	s_delay_alu instid0(VALU_DEP_1) | instskip(NEXT) | instid1(VALU_DEP_3)
	v_xor_b32_e32 v38, v37, v15
	v_xor_b32_e32 v37, v39, v14
	s_delay_alu instid0(VALU_DEP_1) | instskip(SKIP_2) | instid1(VALU_DEP_1)
	v_cmp_ne_u64_e32 vcc_lo, s[40:41], v[37:38]
	v_cndmask_b32_e32 v38, 0x80000000, v38, vcc_lo
	v_cndmask_b32_e32 v37, 0, v37, vcc_lo
	v_lshrrev_b64 v[37:38], s42, v[37:38]
	s_delay_alu instid0(VALU_DEP_1) | instskip(NEXT) | instid1(VALU_DEP_1)
	v_and_b32_e32 v37, s50, v37
	v_lshl_or_b32 v37, v37, 4, v36
	ds_add_u32 v37, v123
	s_or_b32 exec_lo, exec_lo, s8
	s_delay_alu instid0(SALU_CYCLE_1)
	s_mov_b32 s8, exec_lo
	v_cmpx_lt_u32_e64 v89, v2
	s_cbranch_execnz .LBB1229_935
.LBB1229_950:                           ;   in Loop: Header=BB1229_900 Depth=2
	s_or_b32 exec_lo, exec_lo, s8
	s_delay_alu instid0(SALU_CYCLE_1)
	s_mov_b32 s8, exec_lo
	v_cmpx_lt_u32_e64 v90, v2
	s_cbranch_execz .LBB1229_936
.LBB1229_951:                           ;   in Loop: Header=BB1229_900 Depth=2
	v_cmp_lt_i64_e32 vcc_lo, -1, v[10:11]
	s_waitcnt vmcnt(14)
	v_ashrrev_i32_e32 v39, 31, v11
	v_cndmask_b32_e64 v37, -1, 0x80000000, vcc_lo
	s_delay_alu instid0(VALU_DEP_1) | instskip(NEXT) | instid1(VALU_DEP_3)
	v_xor_b32_e32 v38, v37, v11
	v_xor_b32_e32 v37, v39, v10
	s_delay_alu instid0(VALU_DEP_1) | instskip(SKIP_2) | instid1(VALU_DEP_1)
	v_cmp_ne_u64_e32 vcc_lo, s[40:41], v[37:38]
	v_cndmask_b32_e32 v38, 0x80000000, v38, vcc_lo
	v_cndmask_b32_e32 v37, 0, v37, vcc_lo
	v_lshrrev_b64 v[37:38], s42, v[37:38]
	s_delay_alu instid0(VALU_DEP_1) | instskip(NEXT) | instid1(VALU_DEP_1)
	v_and_b32_e32 v37, s50, v37
	v_lshl_or_b32 v37, v37, 4, v36
	ds_add_u32 v37, v123
	s_or_b32 exec_lo, exec_lo, s8
	s_delay_alu instid0(SALU_CYCLE_1)
	s_mov_b32 s8, exec_lo
	v_cmpx_lt_u32_e64 v91, v2
	s_cbranch_execnz .LBB1229_937
.LBB1229_952:                           ;   in Loop: Header=BB1229_900 Depth=2
	s_or_b32 exec_lo, exec_lo, s8
	s_delay_alu instid0(SALU_CYCLE_1)
	s_mov_b32 s8, exec_lo
	v_cmpx_lt_u32_e64 v92, v2
	s_cbranch_execz .LBB1229_938
.LBB1229_953:                           ;   in Loop: Header=BB1229_900 Depth=2
	v_cmp_lt_i64_e32 vcc_lo, -1, v[6:7]
	s_waitcnt vmcnt(14)
	v_ashrrev_i32_e32 v39, 31, v7
	v_cndmask_b32_e64 v37, -1, 0x80000000, vcc_lo
	s_delay_alu instid0(VALU_DEP_1) | instskip(NEXT) | instid1(VALU_DEP_3)
	v_xor_b32_e32 v38, v37, v7
	v_xor_b32_e32 v37, v39, v6
	s_delay_alu instid0(VALU_DEP_1) | instskip(SKIP_2) | instid1(VALU_DEP_1)
	v_cmp_ne_u64_e32 vcc_lo, s[40:41], v[37:38]
	v_cndmask_b32_e32 v38, 0x80000000, v38, vcc_lo
	v_cndmask_b32_e32 v37, 0, v37, vcc_lo
	v_lshrrev_b64 v[37:38], s42, v[37:38]
	s_delay_alu instid0(VALU_DEP_1) | instskip(NEXT) | instid1(VALU_DEP_1)
	v_and_b32_e32 v37, s50, v37
	v_lshl_or_b32 v37, v37, 4, v36
	ds_add_u32 v37, v123
	s_or_b32 exec_lo, exec_lo, s8
	s_delay_alu instid0(SALU_CYCLE_1)
	s_mov_b32 s8, exec_lo
	v_cmpx_lt_u32_e64 v93, v2
	s_cbranch_execnz .LBB1229_939
.LBB1229_954:                           ;   in Loop: Header=BB1229_900 Depth=2
	s_or_b32 exec_lo, exec_lo, s8
	s_delay_alu instid0(SALU_CYCLE_1)
	s_mov_b32 s8, exec_lo
	v_cmpx_lt_u32_e64 v95, v2
	s_cbranch_execz .LBB1229_899
.LBB1229_955:                           ;   in Loop: Header=BB1229_900 Depth=2
	s_waitcnt vmcnt(0)
	v_cmp_lt_i64_e32 vcc_lo, -1, v[34:35]
	v_ashrrev_i32_e32 v37, 31, v35
	s_delay_alu instid0(VALU_DEP_1) | instskip(SKIP_1) | instid1(VALU_DEP_1)
	v_xor_b32_e32 v37, v37, v34
	v_cndmask_b32_e64 v2, -1, 0x80000000, vcc_lo
	v_xor_b32_e32 v38, v2, v35
	s_delay_alu instid0(VALU_DEP_1) | instskip(SKIP_2) | instid1(VALU_DEP_1)
	v_cmp_ne_u64_e32 vcc_lo, s[40:41], v[37:38]
	v_cndmask_b32_e32 v38, 0x80000000, v38, vcc_lo
	v_cndmask_b32_e32 v37, 0, v37, vcc_lo
	v_lshrrev_b64 v[37:38], s42, v[37:38]
	s_delay_alu instid0(VALU_DEP_1) | instskip(NEXT) | instid1(VALU_DEP_1)
	v_and_b32_e32 v2, s50, v37
	v_lshl_or_b32 v2, v2, 4, v36
	ds_add_u32 v2, v123
	s_branch .LBB1229_899
.LBB1229_956:                           ;   in Loop: Header=BB1229_900 Depth=2
	s_or_b32 exec_lo, exec_lo, s11
	s_delay_alu instid0(SALU_CYCLE_1)
	s_mov_b32 s11, exec_lo
	v_cmpx_gt_u32_e64 s1, v77
	s_cbranch_execz .LBB1229_906
.LBB1229_957:                           ;   in Loop: Header=BB1229_900 Depth=2
	global_load_b64 v[30:31], v124, s[8:9] offset:2048
	s_or_b32 exec_lo, exec_lo, s11
	s_delay_alu instid0(SALU_CYCLE_1)
	s_mov_b32 s11, exec_lo
	v_cmpx_gt_u32_e64 s1, v78
	s_cbranch_execnz .LBB1229_907
.LBB1229_958:                           ;   in Loop: Header=BB1229_900 Depth=2
	s_or_b32 exec_lo, exec_lo, s11
	s_delay_alu instid0(SALU_CYCLE_1)
	s_mov_b32 s11, exec_lo
	v_cmpx_gt_u32_e64 s1, v79
	s_cbranch_execz .LBB1229_908
.LBB1229_959:                           ;   in Loop: Header=BB1229_900 Depth=2
	global_load_b64 v[26:27], v126, s[8:9]
	s_or_b32 exec_lo, exec_lo, s11
	s_delay_alu instid0(SALU_CYCLE_1)
	s_mov_b32 s11, exec_lo
	v_cmpx_gt_u32_e64 s1, v83
	s_cbranch_execnz .LBB1229_909
.LBB1229_960:                           ;   in Loop: Header=BB1229_900 Depth=2
	s_or_b32 exec_lo, exec_lo, s11
	s_delay_alu instid0(SALU_CYCLE_1)
	s_mov_b32 s11, exec_lo
	v_cmpx_gt_u32_e64 s1, v84
	s_cbranch_execz .LBB1229_910
.LBB1229_961:                           ;   in Loop: Header=BB1229_900 Depth=2
	global_load_b64 v[22:23], v128, s[8:9]
	s_or_b32 exec_lo, exec_lo, s11
	s_delay_alu instid0(SALU_CYCLE_1)
	s_mov_b32 s11, exec_lo
	v_cmpx_gt_u32_e64 s1, v85
	s_cbranch_execnz .LBB1229_911
.LBB1229_962:                           ;   in Loop: Header=BB1229_900 Depth=2
	s_or_b32 exec_lo, exec_lo, s11
	s_delay_alu instid0(SALU_CYCLE_1)
	s_mov_b32 s11, exec_lo
	v_cmpx_gt_u32_e64 s1, v86
	s_cbranch_execz .LBB1229_912
.LBB1229_963:                           ;   in Loop: Header=BB1229_900 Depth=2
	global_load_b64 v[18:19], v130, s[8:9]
	s_or_b32 exec_lo, exec_lo, s11
	s_delay_alu instid0(SALU_CYCLE_1)
	s_mov_b32 s11, exec_lo
	v_cmpx_gt_u32_e64 s1, v87
	s_cbranch_execnz .LBB1229_913
.LBB1229_964:                           ;   in Loop: Header=BB1229_900 Depth=2
	s_or_b32 exec_lo, exec_lo, s11
	s_delay_alu instid0(SALU_CYCLE_1)
	s_mov_b32 s11, exec_lo
	v_cmpx_gt_u32_e64 s1, v88
	s_cbranch_execz .LBB1229_914
.LBB1229_965:                           ;   in Loop: Header=BB1229_900 Depth=2
	global_load_b64 v[14:15], v132, s[8:9]
	s_or_b32 exec_lo, exec_lo, s11
	s_delay_alu instid0(SALU_CYCLE_1)
	s_mov_b32 s11, exec_lo
	v_cmpx_gt_u32_e64 s1, v89
	s_cbranch_execnz .LBB1229_915
.LBB1229_966:                           ;   in Loop: Header=BB1229_900 Depth=2
	s_or_b32 exec_lo, exec_lo, s11
	s_delay_alu instid0(SALU_CYCLE_1)
	s_mov_b32 s11, exec_lo
	v_cmpx_gt_u32_e64 s1, v90
	s_cbranch_execz .LBB1229_916
.LBB1229_967:                           ;   in Loop: Header=BB1229_900 Depth=2
	global_load_b64 v[10:11], v134, s[8:9]
	s_or_b32 exec_lo, exec_lo, s11
	s_delay_alu instid0(SALU_CYCLE_1)
	s_mov_b32 s11, exec_lo
	v_cmpx_gt_u32_e64 s1, v91
	s_cbranch_execnz .LBB1229_917
.LBB1229_968:                           ;   in Loop: Header=BB1229_900 Depth=2
	s_or_b32 exec_lo, exec_lo, s11
	s_delay_alu instid0(SALU_CYCLE_1)
	s_mov_b32 s11, exec_lo
	v_cmpx_gt_u32_e64 s1, v92
	s_cbranch_execz .LBB1229_918
.LBB1229_969:                           ;   in Loop: Header=BB1229_900 Depth=2
	v_lshlrev_b32_e32 v2, 3, v92
	global_load_b64 v[6:7], v2, s[8:9]
	s_or_b32 exec_lo, exec_lo, s11
	s_delay_alu instid0(SALU_CYCLE_1)
	s_mov_b32 s11, exec_lo
	v_cmpx_gt_u32_e64 s1, v93
	s_cbranch_execz .LBB1229_920
	s_branch .LBB1229_919
.LBB1229_970:                           ;   in Loop: Header=BB1229_12 Depth=1
	v_mov_b32_e32 v2, 0
	s_waitcnt vmcnt(0) lgkmcnt(0)
	s_barrier
	buffer_gl0_inv
	s_and_saveexec_b32 s1, s2
	s_cbranch_execz .LBB1229_972
; %bb.971:                              ;   in Loop: Header=BB1229_12 Depth=1
	ds_load_2addr_b64 v[4:7], v96 offset1:1
	s_waitcnt lgkmcnt(0)
	v_add_nc_u32_e32 v2, v5, v4
	s_delay_alu instid0(VALU_DEP_1)
	v_add3_u32 v2, v2, v6, v7
.LBB1229_972:                           ;   in Loop: Header=BB1229_12 Depth=1
	s_or_b32 exec_lo, exec_lo, s1
	v_and_b32_e32 v4, 15, v136
	s_delay_alu instid0(VALU_DEP_2) | instskip(SKIP_1) | instid1(VALU_DEP_3)
	v_mov_b32_dpp v5, v2 row_shr:1 row_mask:0xf bank_mask:0xf
	v_and_b32_e32 v6, 16, v136
	v_cmp_eq_u32_e64 s1, 0, v4
	v_cmp_lt_u32_e64 s7, 1, v4
	v_cmp_lt_u32_e64 s8, 3, v4
	;; [unrolled: 1-line block ×3, first 2 shown]
	v_cmp_eq_u32_e64 s10, 0, v6
	v_cndmask_b32_e64 v5, v5, 0, s1
	s_delay_alu instid0(VALU_DEP_1) | instskip(NEXT) | instid1(VALU_DEP_1)
	v_add_nc_u32_e32 v2, v5, v2
	v_mov_b32_dpp v5, v2 row_shr:2 row_mask:0xf bank_mask:0xf
	s_delay_alu instid0(VALU_DEP_1) | instskip(NEXT) | instid1(VALU_DEP_1)
	v_cndmask_b32_e64 v5, 0, v5, s7
	v_add_nc_u32_e32 v2, v2, v5
	s_delay_alu instid0(VALU_DEP_1) | instskip(NEXT) | instid1(VALU_DEP_1)
	v_mov_b32_dpp v5, v2 row_shr:4 row_mask:0xf bank_mask:0xf
	v_cndmask_b32_e64 v5, 0, v5, s8
	s_delay_alu instid0(VALU_DEP_1) | instskip(NEXT) | instid1(VALU_DEP_1)
	v_add_nc_u32_e32 v2, v2, v5
	v_mov_b32_dpp v5, v2 row_shr:8 row_mask:0xf bank_mask:0xf
	s_delay_alu instid0(VALU_DEP_1) | instskip(SKIP_1) | instid1(VALU_DEP_2)
	v_cndmask_b32_e64 v4, 0, v5, s9
	v_bfe_i32 v5, v136, 4, 1
	v_add_nc_u32_e32 v2, v2, v4
	ds_swizzle_b32 v4, v2 offset:swizzle(BROADCAST,32,15)
	s_waitcnt lgkmcnt(0)
	v_and_b32_e32 v4, v5, v4
	s_delay_alu instid0(VALU_DEP_1)
	v_add_nc_u32_e32 v4, v2, v4
	s_and_saveexec_b32 s11, s3
	s_cbranch_execz .LBB1229_974
; %bb.973:                              ;   in Loop: Header=BB1229_12 Depth=1
	ds_store_b32 v97, v4
.LBB1229_974:                           ;   in Loop: Header=BB1229_12 Depth=1
	s_or_b32 exec_lo, exec_lo, s11
	v_and_b32_e32 v2, 7, v136
	s_waitcnt lgkmcnt(0)
	s_barrier
	buffer_gl0_inv
	s_and_saveexec_b32 s11, s4
	s_cbranch_execz .LBB1229_976
; %bb.975:                              ;   in Loop: Header=BB1229_12 Depth=1
	ds_load_b32 v5, v98
	v_cmp_ne_u32_e32 vcc_lo, 0, v2
	s_waitcnt lgkmcnt(0)
	v_mov_b32_dpp v6, v5 row_shr:1 row_mask:0xf bank_mask:0xf
	s_delay_alu instid0(VALU_DEP_1) | instskip(SKIP_1) | instid1(VALU_DEP_2)
	v_cndmask_b32_e32 v6, 0, v6, vcc_lo
	v_cmp_lt_u32_e32 vcc_lo, 1, v2
	v_add_nc_u32_e32 v5, v6, v5
	s_delay_alu instid0(VALU_DEP_1) | instskip(NEXT) | instid1(VALU_DEP_1)
	v_mov_b32_dpp v6, v5 row_shr:2 row_mask:0xf bank_mask:0xf
	v_cndmask_b32_e32 v6, 0, v6, vcc_lo
	v_cmp_lt_u32_e32 vcc_lo, 3, v2
	s_delay_alu instid0(VALU_DEP_2) | instskip(NEXT) | instid1(VALU_DEP_1)
	v_add_nc_u32_e32 v5, v5, v6
	v_mov_b32_dpp v6, v5 row_shr:4 row_mask:0xf bank_mask:0xf
	s_delay_alu instid0(VALU_DEP_1) | instskip(NEXT) | instid1(VALU_DEP_1)
	v_cndmask_b32_e32 v6, 0, v6, vcc_lo
	v_add_nc_u32_e32 v5, v5, v6
	ds_store_b32 v98, v5
.LBB1229_976:                           ;   in Loop: Header=BB1229_12 Depth=1
	s_or_b32 exec_lo, exec_lo, s11
	v_mov_b32_e32 v5, 0
	s_waitcnt lgkmcnt(0)
	s_barrier
	buffer_gl0_inv
	s_and_saveexec_b32 s11, s5
	s_cbranch_execz .LBB1229_978
; %bb.977:                              ;   in Loop: Header=BB1229_12 Depth=1
	ds_load_b32 v5, v99
.LBB1229_978:                           ;   in Loop: Header=BB1229_12 Depth=1
	s_or_b32 exec_lo, exec_lo, s11
	v_add_nc_u32_e32 v6, -1, v136
	s_waitcnt lgkmcnt(0)
	v_add_nc_u32_e32 v4, v5, v4
	v_cmp_eq_u32_e64 s11, 0, v136
	s_barrier
	v_cmp_gt_i32_e32 vcc_lo, 0, v6
	buffer_gl0_inv
	v_cndmask_b32_e32 v6, v6, v136, vcc_lo
	s_delay_alu instid0(VALU_DEP_1)
	v_lshlrev_b32_e32 v137, 2, v6
	ds_bpermute_b32 v4, v137, v4
	s_and_saveexec_b32 s12, s2
	s_cbranch_execz .LBB1229_980
; %bb.979:                              ;   in Loop: Header=BB1229_12 Depth=1
	s_waitcnt lgkmcnt(0)
	v_cndmask_b32_e64 v4, v4, v5, s11
	s_delay_alu instid0(VALU_DEP_1)
	v_add_nc_u32_e32 v4, s33, v4
	ds_store_b32 v76, v4
.LBB1229_980:                           ;   in Loop: Header=BB1229_12 Depth=1
	s_or_b32 exec_lo, exec_lo, s12
	s_load_b64 s[12:13], s[38:39], 0x0
	v_lshlrev_b32_e32 v7, 3, v136
	v_cmp_lt_u32_e64 s14, 3, v2
	v_or_b32_e32 v138, v136, v100
	s_mov_b32 s51, s62
	s_mov_b32 s36, s33
	v_add_co_u32 v139, vcc_lo, v119, v7
	v_add_co_ci_u32_e32 v140, vcc_lo, 0, v120, vcc_lo
	v_add_co_u32 v156, vcc_lo, v121, v7
	v_add_co_ci_u32_e32 v157, vcc_lo, 0, v122, vcc_lo
	v_or_b32_e32 v141, 32, v138
	s_delay_alu instid0(VALU_DEP_3)
	v_add_co_u32 v159, vcc_lo, 0xf00, v156
	v_or_b32_e32 v142, 64, v138
	v_or_b32_e32 v143, 0x60, v138
	;; [unrolled: 1-line block ×3, first 2 shown]
	s_waitcnt lgkmcnt(0)
	s_cmp_lt_u32 s15, s13
	v_or_b32_e32 v145, 0xa0, v138
	s_cselect_b32 s13, 14, 20
	v_or_b32_e32 v146, 0xc0, v138
	s_add_u32 s16, s38, s13
	s_addc_u32 s17, s39, 0
	s_cmp_lt_u32 s34, s12
	global_load_u16 v4, v3, s[16:17]
	s_cselect_b32 s12, 12, 18
	v_or_b32_e32 v147, 0xe0, v138
	s_add_u32 s12, s38, s12
	s_addc_u32 s13, s39, 0
	v_or_b32_e32 v148, 0x100, v138
	global_load_u16 v6, v3, s[12:13]
	v_cmp_eq_u32_e64 s12, 0, v2
	v_cmp_lt_u32_e64 s13, 1, v2
	v_or_b32_e32 v149, 0x120, v138
	v_or_b32_e32 v150, 0x140, v138
	;; [unrolled: 1-line block ×7, first 2 shown]
	v_add_co_ci_u32_e32 v160, vcc_lo, 0, v157, vcc_lo
                                        ; implicit-def: $vgpr8_vgpr9
                                        ; implicit-def: $vgpr10_vgpr11
                                        ; implicit-def: $vgpr12_vgpr13
                                        ; implicit-def: $vgpr14_vgpr15
                                        ; implicit-def: $vgpr16_vgpr17
                                        ; implicit-def: $vgpr18_vgpr19
                                        ; implicit-def: $vgpr20_vgpr21
                                        ; implicit-def: $vgpr22_vgpr23
                                        ; implicit-def: $vgpr24_vgpr25
                                        ; implicit-def: $vgpr26_vgpr27
                                        ; implicit-def: $vgpr28_vgpr29
                                        ; implicit-def: $vgpr30_vgpr31
                                        ; implicit-def: $vgpr32_vgpr33
                                        ; implicit-def: $vgpr34_vgpr35
                                        ; implicit-def: $vgpr161
                                        ; implicit-def: $vgpr162
                                        ; implicit-def: $vgpr163
                                        ; implicit-def: $vgpr164
                                        ; implicit-def: $vgpr165
                                        ; implicit-def: $vgpr166
                                        ; implicit-def: $vgpr167
                                        ; implicit-def: $vgpr168
                                        ; implicit-def: $vgpr169
                                        ; implicit-def: $vgpr170
                                        ; implicit-def: $vgpr171
                                        ; implicit-def: $vgpr172
                                        ; implicit-def: $vgpr173
                                        ; implicit-def: $vgpr174
                                        ; implicit-def: $vgpr175
                                        ; implicit-def: $vgpr176
	s_waitcnt vmcnt(1)
	v_mad_u32_u24 v2, v101, v4, v0
	s_waitcnt vmcnt(0)
	s_delay_alu instid0(VALU_DEP_1) | instskip(NEXT) | instid1(VALU_DEP_1)
	v_mad_u64_u32 v[4:5], null, v2, v6, v[1:2]
                                        ; implicit-def: $vgpr6_vgpr7
	v_lshrrev_b32_e32 v158, 5, v4
                                        ; implicit-def: $vgpr4_vgpr5
	s_branch .LBB1229_982
.LBB1229_981:                           ;   in Loop: Header=BB1229_982 Depth=2
	s_or_b32 exec_lo, exec_lo, s16
	s_addk_i32 s51, 0xf000
	s_cmp_lt_u32 s56, s35
	s_mov_b32 s36, s56
	s_cbranch_scc0 .LBB1229_10
.LBB1229_982:                           ;   Parent Loop BB1229_12 Depth=1
                                        ; =>  This Inner Loop Header: Depth=2
	s_add_i32 s56, s36, 0x1000
	s_delay_alu instid0(SALU_CYCLE_1)
	s_cmp_gt_u32 s56, s35
	s_cbranch_scc1 .LBB1229_984
; %bb.983:                              ;   in Loop: Header=BB1229_982 Depth=2
	s_mov_b32 s17, 0
	s_mov_b32 s16, s36
	s_delay_alu instid0(SALU_CYCLE_1) | instskip(NEXT) | instid1(SALU_CYCLE_1)
	s_lshl_b64 s[18:19], s[16:17], 3
	v_add_co_u32 v40, vcc_lo, v156, s18
	v_add_co_ci_u32_e32 v41, vcc_lo, s19, v157, vcc_lo
	s_mov_b32 s19, -1
	s_movk_i32 s18, 0x1000
	s_clause 0xe
	global_load_b64 v[36:37], v[40:41], off
	global_load_b64 v[38:39], v[40:41], off offset:256
	global_load_b64 v[44:45], v[40:41], off offset:512
	;; [unrolled: 1-line block ×14, first 2 shown]
	s_cbranch_execz .LBB1229_985
	s_branch .LBB1229_1016
.LBB1229_984:                           ;   in Loop: Header=BB1229_982 Depth=2
	s_mov_b32 s17, -1
	s_mov_b32 s19, 0
                                        ; implicit-def: $sgpr18
                                        ; implicit-def: $vgpr36_vgpr37
                                        ; implicit-def: $vgpr38_vgpr39
                                        ; implicit-def: $vgpr44_vgpr45
                                        ; implicit-def: $vgpr48_vgpr49
                                        ; implicit-def: $vgpr52_vgpr53
                                        ; implicit-def: $vgpr58_vgpr59
                                        ; implicit-def: $vgpr62_vgpr63
                                        ; implicit-def: $vgpr66_vgpr67
                                        ; implicit-def: $vgpr64_vgpr65
                                        ; implicit-def: $vgpr60_vgpr61
                                        ; implicit-def: $vgpr56_vgpr57
                                        ; implicit-def: $vgpr54_vgpr55
                                        ; implicit-def: $vgpr50_vgpr51
                                        ; implicit-def: $vgpr46_vgpr47
                                        ; implicit-def: $vgpr40_vgpr41
.LBB1229_985:                           ;   in Loop: Header=BB1229_982 Depth=2
	s_lshl_b64 s[16:17], s[36:37], 3
	s_waitcnt vmcnt(14)
	v_dual_mov_b32 v36, s40 :: v_dual_mov_b32 v37, s41
	v_add_co_u32 v42, vcc_lo, v156, s16
	v_add_co_ci_u32_e32 v43, vcc_lo, s17, v157, vcc_lo
	s_mov_b32 s16, exec_lo
	v_cmpx_gt_u32_e64 s51, v138
	s_cbranch_execz .LBB1229_987
; %bb.986:                              ;   in Loop: Header=BB1229_982 Depth=2
	global_load_b64 v[36:37], v[42:43], off
.LBB1229_987:                           ;   in Loop: Header=BB1229_982 Depth=2
	s_or_b32 exec_lo, exec_lo, s16
	s_waitcnt vmcnt(13)
	v_dual_mov_b32 v38, s40 :: v_dual_mov_b32 v39, s41
	s_mov_b32 s16, exec_lo
	v_cmpx_gt_u32_e64 s51, v141
	s_cbranch_execz .LBB1229_989
; %bb.988:                              ;   in Loop: Header=BB1229_982 Depth=2
	global_load_b64 v[38:39], v[42:43], off offset:256
.LBB1229_989:                           ;   in Loop: Header=BB1229_982 Depth=2
	s_or_b32 exec_lo, exec_lo, s16
	s_waitcnt vmcnt(12)
	v_dual_mov_b32 v45, s41 :: v_dual_mov_b32 v44, s40
	s_mov_b32 s16, exec_lo
	v_cmpx_gt_u32_e64 s51, v142
	s_cbranch_execz .LBB1229_991
; %bb.990:                              ;   in Loop: Header=BB1229_982 Depth=2
	global_load_b64 v[44:45], v[42:43], off offset:512
.LBB1229_991:                           ;   in Loop: Header=BB1229_982 Depth=2
	;; [unrolled: 9-line block ×6, first 2 shown]
	s_or_b32 exec_lo, exec_lo, s16
	s_waitcnt vmcnt(7)
	v_dual_mov_b32 v67, s41 :: v_dual_mov_b32 v66, s40
	s_mov_b32 s16, exec_lo
	v_cmpx_gt_u32_e64 s51, v147
	s_cbranch_execz .LBB1229_1001
; %bb.1000:                             ;   in Loop: Header=BB1229_982 Depth=2
	global_load_b64 v[66:67], v[42:43], off offset:1792
.LBB1229_1001:                          ;   in Loop: Header=BB1229_982 Depth=2
	s_or_b32 exec_lo, exec_lo, s16
	s_waitcnt vmcnt(6)
	v_dual_mov_b32 v65, s41 :: v_dual_mov_b32 v64, s40
	s_mov_b32 s16, exec_lo
	v_cmpx_gt_u32_e64 s51, v148
	s_cbranch_execz .LBB1229_1003
; %bb.1002:                             ;   in Loop: Header=BB1229_982 Depth=2
	global_load_b64 v[64:65], v[42:43], off offset:2048
.LBB1229_1003:                          ;   in Loop: Header=BB1229_982 Depth=2
	;; [unrolled: 9-line block ×8, first 2 shown]
	s_or_b32 exec_lo, exec_lo, s16
	v_cmp_gt_u32_e64 s19, s51, v155
	s_sub_i32 s18, s35, s36
	s_mov_b64 s[16:17], s[36:37]
.LBB1229_1016:                          ;   in Loop: Header=BB1229_982 Depth=2
	v_dual_mov_b32 v43, s41 :: v_dual_mov_b32 v42, s40
	v_mov_b32_e32 v177, s51
	s_and_saveexec_b32 s20, s19
	s_cbranch_execz .LBB1229_1018
; %bb.1017:                             ;   in Loop: Header=BB1229_982 Depth=2
	s_lshl_b64 s[16:17], s[16:17], 3
	v_mov_b32_e32 v177, s18
	v_add_co_u32 v42, vcc_lo, v159, s16
	v_add_co_ci_u32_e32 v43, vcc_lo, s17, v160, vcc_lo
	global_load_b64 v[42:43], v[42:43], off
.LBB1229_1018:                          ;   in Loop: Header=BB1229_982 Depth=2
	s_or_b32 exec_lo, exec_lo, s20
	s_waitcnt vmcnt(14)
	v_cmp_lt_i64_e32 vcc_lo, -1, v[36:37]
	v_ashrrev_i32_e32 v68, 31, v37
	ds_store_b32 v102, v3 offset:1056
	ds_store_2addr_b32 v103, v3, v3 offset0:1 offset1:2
	ds_store_2addr_b32 v103, v3, v3 offset0:3 offset1:4
	;; [unrolled: 1-line block ×4, first 2 shown]
	s_waitcnt vmcnt(0) lgkmcnt(0)
	s_barrier
	v_cndmask_b32_e64 v2, -1, 0x80000000, vcc_lo
	v_xor_b32_e32 v36, v68, v36
	buffer_gl0_inv
	; wave barrier
	v_xor_b32_e32 v37, v2, v37
	s_delay_alu instid0(VALU_DEP_1) | instskip(SKIP_2) | instid1(VALU_DEP_1)
	v_cmp_ne_u64_e32 vcc_lo, s[40:41], v[36:37]
	v_cndmask_b32_e32 v69, 0x80000000, v37, vcc_lo
	v_cndmask_b32_e32 v68, 0, v36, vcc_lo
	v_lshrrev_b64 v[68:69], s42, v[68:69]
	s_delay_alu instid0(VALU_DEP_1) | instskip(NEXT) | instid1(VALU_DEP_1)
	v_and_b32_e32 v69, s50, v68
	v_lshlrev_b32_e32 v71, 28, v69
	v_and_b32_e32 v2, 1, v69
	v_lshlrev_b32_e32 v68, 30, v69
	v_lshlrev_b32_e32 v70, 29, v69
	;; [unrolled: 1-line block ×4, first 2 shown]
	v_add_co_u32 v2, s16, v2, -1
	s_delay_alu instid0(VALU_DEP_1)
	v_cndmask_b32_e64 v72, 0, 1, s16
	v_not_b32_e32 v178, v68
	v_cmp_gt_i32_e64 s16, 0, v68
	v_not_b32_e32 v68, v70
	v_lshlrev_b32_e32 v75, 25, v69
	v_cmp_ne_u32_e32 vcc_lo, 0, v72
	v_ashrrev_i32_e32 v178, 31, v178
	v_lshlrev_b32_e32 v72, 24, v69
	v_ashrrev_i32_e32 v68, 31, v68
	v_mad_u32_u24 v69, v69, 9, v158
	v_xor_b32_e32 v2, vcc_lo, v2
	v_cmp_gt_i32_e32 vcc_lo, 0, v70
	v_not_b32_e32 v70, v71
	v_xor_b32_e32 v178, s16, v178
	v_cmp_gt_i32_e64 s16, 0, v71
	v_and_b32_e32 v2, exec_lo, v2
	v_not_b32_e32 v71, v73
	v_ashrrev_i32_e32 v70, 31, v70
	v_xor_b32_e32 v68, vcc_lo, v68
	v_cmp_gt_i32_e32 vcc_lo, 0, v73
	v_and_b32_e32 v2, v2, v178
	v_not_b32_e32 v73, v74
	v_ashrrev_i32_e32 v71, 31, v71
	v_xor_b32_e32 v70, s16, v70
	v_cmp_gt_i32_e64 s16, 0, v74
	v_and_b32_e32 v2, v2, v68
	v_not_b32_e32 v68, v75
	v_ashrrev_i32_e32 v73, 31, v73
	v_xor_b32_e32 v71, vcc_lo, v71
	v_cmp_gt_i32_e32 vcc_lo, 0, v75
	v_and_b32_e32 v2, v2, v70
	v_not_b32_e32 v70, v72
	v_ashrrev_i32_e32 v68, 31, v68
	v_xor_b32_e32 v73, s16, v73
	v_cmp_gt_i32_e64 s16, 0, v72
	v_and_b32_e32 v2, v2, v71
	v_ashrrev_i32_e32 v70, 31, v70
	v_xor_b32_e32 v68, vcc_lo, v68
	v_lshl_add_u32 v178, v69, 2, 0x420
	s_delay_alu instid0(VALU_DEP_4) | instskip(NEXT) | instid1(VALU_DEP_4)
	v_and_b32_e32 v2, v2, v73
	v_xor_b32_e32 v70, s16, v70
	s_delay_alu instid0(VALU_DEP_2) | instskip(NEXT) | instid1(VALU_DEP_1)
	v_and_b32_e32 v2, v2, v68
	v_and_b32_e32 v68, v2, v70
	s_delay_alu instid0(VALU_DEP_1) | instskip(SKIP_1) | instid1(VALU_DEP_2)
	v_mbcnt_lo_u32_b32 v2, v68, 0
	v_cmp_ne_u32_e64 s16, 0, v68
	v_cmp_eq_u32_e32 vcc_lo, 0, v2
	s_delay_alu instid0(VALU_DEP_2) | instskip(NEXT) | instid1(SALU_CYCLE_1)
	s_and_b32 s17, s16, vcc_lo
	s_and_saveexec_b32 s16, s17
	s_cbranch_execz .LBB1229_1020
; %bb.1019:                             ;   in Loop: Header=BB1229_982 Depth=2
	v_bcnt_u32_b32 v68, v68, 0
	ds_store_b32 v178, v68
.LBB1229_1020:                          ;   in Loop: Header=BB1229_982 Depth=2
	s_or_b32 exec_lo, exec_lo, s16
	v_cmp_lt_i64_e32 vcc_lo, -1, v[38:39]
	v_ashrrev_i32_e32 v69, 31, v39
	; wave barrier
	s_delay_alu instid0(VALU_DEP_1) | instskip(SKIP_1) | instid1(VALU_DEP_1)
	v_xor_b32_e32 v38, v69, v38
	v_cndmask_b32_e64 v68, -1, 0x80000000, vcc_lo
	v_xor_b32_e32 v39, v68, v39
	s_delay_alu instid0(VALU_DEP_1) | instskip(SKIP_2) | instid1(VALU_DEP_1)
	v_cmp_ne_u64_e32 vcc_lo, s[40:41], v[38:39]
	v_cndmask_b32_e32 v69, 0x80000000, v39, vcc_lo
	v_cndmask_b32_e32 v68, 0, v38, vcc_lo
	v_lshrrev_b64 v[68:69], s42, v[68:69]
	s_delay_alu instid0(VALU_DEP_1) | instskip(NEXT) | instid1(VALU_DEP_1)
	v_and_b32_e32 v68, s50, v68
	v_and_b32_e32 v69, 1, v68
	v_lshlrev_b32_e32 v70, 30, v68
	v_lshlrev_b32_e32 v71, 29, v68
	;; [unrolled: 1-line block ×4, first 2 shown]
	v_add_co_u32 v69, s16, v69, -1
	s_delay_alu instid0(VALU_DEP_1)
	v_cndmask_b32_e64 v73, 0, 1, s16
	v_not_b32_e32 v180, v70
	v_cmp_gt_i32_e64 s16, 0, v70
	v_not_b32_e32 v70, v71
	v_lshlrev_b32_e32 v75, 26, v68
	v_cmp_ne_u32_e32 vcc_lo, 0, v73
	v_ashrrev_i32_e32 v180, 31, v180
	v_lshlrev_b32_e32 v179, 25, v68
	v_ashrrev_i32_e32 v70, 31, v70
	v_lshlrev_b32_e32 v73, 24, v68
	v_xor_b32_e32 v69, vcc_lo, v69
	v_cmp_gt_i32_e32 vcc_lo, 0, v71
	v_not_b32_e32 v71, v72
	v_xor_b32_e32 v180, s16, v180
	v_cmp_gt_i32_e64 s16, 0, v72
	v_and_b32_e32 v69, exec_lo, v69
	v_not_b32_e32 v72, v74
	v_ashrrev_i32_e32 v71, 31, v71
	v_xor_b32_e32 v70, vcc_lo, v70
	v_cmp_gt_i32_e32 vcc_lo, 0, v74
	v_and_b32_e32 v69, v69, v180
	v_not_b32_e32 v74, v75
	v_ashrrev_i32_e32 v72, 31, v72
	v_xor_b32_e32 v71, s16, v71
	v_cmp_gt_i32_e64 s16, 0, v75
	v_and_b32_e32 v69, v69, v70
	v_not_b32_e32 v70, v179
	v_ashrrev_i32_e32 v74, 31, v74
	v_xor_b32_e32 v72, vcc_lo, v72
	v_cmp_gt_i32_e32 vcc_lo, 0, v179
	v_and_b32_e32 v69, v69, v71
	v_not_b32_e32 v71, v73
	v_ashrrev_i32_e32 v70, 31, v70
	v_xor_b32_e32 v74, s16, v74
	v_mul_u32_u24_e32 v68, 9, v68
	v_and_b32_e32 v69, v69, v72
	v_cmp_gt_i32_e64 s16, 0, v73
	v_ashrrev_i32_e32 v71, 31, v71
	v_xor_b32_e32 v70, vcc_lo, v70
	v_add_lshl_u32 v72, v68, v158, 2
	v_and_b32_e32 v69, v69, v74
	s_delay_alu instid0(VALU_DEP_4) | instskip(SKIP_3) | instid1(VALU_DEP_2)
	v_xor_b32_e32 v68, s16, v71
	ds_load_b32 v179, v72 offset:1056
	v_and_b32_e32 v69, v69, v70
	v_add_nc_u32_e32 v181, 0x420, v72
	; wave barrier
	v_and_b32_e32 v68, v69, v68
	s_delay_alu instid0(VALU_DEP_1) | instskip(SKIP_1) | instid1(VALU_DEP_2)
	v_mbcnt_lo_u32_b32 v180, v68, 0
	v_cmp_ne_u32_e64 s16, 0, v68
	v_cmp_eq_u32_e32 vcc_lo, 0, v180
	s_delay_alu instid0(VALU_DEP_2) | instskip(NEXT) | instid1(SALU_CYCLE_1)
	s_and_b32 s17, s16, vcc_lo
	s_and_saveexec_b32 s16, s17
	s_cbranch_execz .LBB1229_1022
; %bb.1021:                             ;   in Loop: Header=BB1229_982 Depth=2
	s_waitcnt lgkmcnt(0)
	v_bcnt_u32_b32 v68, v68, v179
	ds_store_b32 v181, v68
.LBB1229_1022:                          ;   in Loop: Header=BB1229_982 Depth=2
	s_or_b32 exec_lo, exec_lo, s16
	v_cmp_lt_i64_e32 vcc_lo, -1, v[44:45]
	v_ashrrev_i32_e32 v69, 31, v45
	; wave barrier
	s_delay_alu instid0(VALU_DEP_1) | instskip(SKIP_1) | instid1(VALU_DEP_1)
	v_xor_b32_e32 v44, v69, v44
	v_cndmask_b32_e64 v68, -1, 0x80000000, vcc_lo
	v_xor_b32_e32 v45, v68, v45
	s_delay_alu instid0(VALU_DEP_1) | instskip(SKIP_2) | instid1(VALU_DEP_1)
	v_cmp_ne_u64_e32 vcc_lo, s[40:41], v[44:45]
	v_cndmask_b32_e32 v69, 0x80000000, v45, vcc_lo
	v_cndmask_b32_e32 v68, 0, v44, vcc_lo
	v_lshrrev_b64 v[68:69], s42, v[68:69]
	s_delay_alu instid0(VALU_DEP_1) | instskip(NEXT) | instid1(VALU_DEP_1)
	v_and_b32_e32 v68, s50, v68
	v_and_b32_e32 v69, 1, v68
	v_lshlrev_b32_e32 v70, 30, v68
	v_lshlrev_b32_e32 v71, 29, v68
	;; [unrolled: 1-line block ×4, first 2 shown]
	v_add_co_u32 v69, s16, v69, -1
	s_delay_alu instid0(VALU_DEP_1)
	v_cndmask_b32_e64 v73, 0, 1, s16
	v_not_b32_e32 v183, v70
	v_cmp_gt_i32_e64 s16, 0, v70
	v_not_b32_e32 v70, v71
	v_lshlrev_b32_e32 v75, 26, v68
	v_cmp_ne_u32_e32 vcc_lo, 0, v73
	v_ashrrev_i32_e32 v183, 31, v183
	v_lshlrev_b32_e32 v182, 25, v68
	v_ashrrev_i32_e32 v70, 31, v70
	v_lshlrev_b32_e32 v73, 24, v68
	v_xor_b32_e32 v69, vcc_lo, v69
	v_cmp_gt_i32_e32 vcc_lo, 0, v71
	v_not_b32_e32 v71, v72
	v_xor_b32_e32 v183, s16, v183
	v_cmp_gt_i32_e64 s16, 0, v72
	v_and_b32_e32 v69, exec_lo, v69
	v_not_b32_e32 v72, v74
	v_ashrrev_i32_e32 v71, 31, v71
	v_xor_b32_e32 v70, vcc_lo, v70
	v_cmp_gt_i32_e32 vcc_lo, 0, v74
	v_and_b32_e32 v69, v69, v183
	v_not_b32_e32 v74, v75
	v_ashrrev_i32_e32 v72, 31, v72
	v_xor_b32_e32 v71, s16, v71
	v_cmp_gt_i32_e64 s16, 0, v75
	v_and_b32_e32 v69, v69, v70
	v_not_b32_e32 v70, v182
	v_ashrrev_i32_e32 v74, 31, v74
	v_xor_b32_e32 v72, vcc_lo, v72
	v_cmp_gt_i32_e32 vcc_lo, 0, v182
	v_and_b32_e32 v69, v69, v71
	v_not_b32_e32 v71, v73
	v_ashrrev_i32_e32 v70, 31, v70
	v_xor_b32_e32 v74, s16, v74
	v_mul_u32_u24_e32 v68, 9, v68
	v_and_b32_e32 v69, v69, v72
	v_cmp_gt_i32_e64 s16, 0, v73
	v_ashrrev_i32_e32 v71, 31, v71
	v_xor_b32_e32 v70, vcc_lo, v70
	v_add_lshl_u32 v72, v68, v158, 2
	v_and_b32_e32 v69, v69, v74
	s_delay_alu instid0(VALU_DEP_4) | instskip(SKIP_3) | instid1(VALU_DEP_2)
	v_xor_b32_e32 v68, s16, v71
	ds_load_b32 v182, v72 offset:1056
	v_and_b32_e32 v69, v69, v70
	v_add_nc_u32_e32 v184, 0x420, v72
	; wave barrier
	v_and_b32_e32 v68, v69, v68
	s_delay_alu instid0(VALU_DEP_1) | instskip(SKIP_1) | instid1(VALU_DEP_2)
	v_mbcnt_lo_u32_b32 v183, v68, 0
	v_cmp_ne_u32_e64 s16, 0, v68
	v_cmp_eq_u32_e32 vcc_lo, 0, v183
	s_delay_alu instid0(VALU_DEP_2) | instskip(NEXT) | instid1(SALU_CYCLE_1)
	s_and_b32 s17, s16, vcc_lo
	s_and_saveexec_b32 s16, s17
	s_cbranch_execz .LBB1229_1024
; %bb.1023:                             ;   in Loop: Header=BB1229_982 Depth=2
	s_waitcnt lgkmcnt(0)
	v_bcnt_u32_b32 v68, v68, v182
	ds_store_b32 v184, v68
.LBB1229_1024:                          ;   in Loop: Header=BB1229_982 Depth=2
	s_or_b32 exec_lo, exec_lo, s16
	v_cmp_lt_i64_e32 vcc_lo, -1, v[48:49]
	v_ashrrev_i32_e32 v69, 31, v49
	; wave barrier
	s_delay_alu instid0(VALU_DEP_1) | instskip(SKIP_1) | instid1(VALU_DEP_1)
	v_xor_b32_e32 v48, v69, v48
	v_cndmask_b32_e64 v68, -1, 0x80000000, vcc_lo
	v_xor_b32_e32 v49, v68, v49
	s_delay_alu instid0(VALU_DEP_1) | instskip(SKIP_2) | instid1(VALU_DEP_1)
	v_cmp_ne_u64_e32 vcc_lo, s[40:41], v[48:49]
	v_cndmask_b32_e32 v69, 0x80000000, v49, vcc_lo
	v_cndmask_b32_e32 v68, 0, v48, vcc_lo
	v_lshrrev_b64 v[68:69], s42, v[68:69]
	s_delay_alu instid0(VALU_DEP_1) | instskip(NEXT) | instid1(VALU_DEP_1)
	v_and_b32_e32 v68, s50, v68
	v_and_b32_e32 v69, 1, v68
	v_lshlrev_b32_e32 v70, 30, v68
	v_lshlrev_b32_e32 v71, 29, v68
	;; [unrolled: 1-line block ×4, first 2 shown]
	v_add_co_u32 v69, s16, v69, -1
	s_delay_alu instid0(VALU_DEP_1)
	v_cndmask_b32_e64 v73, 0, 1, s16
	v_not_b32_e32 v186, v70
	v_cmp_gt_i32_e64 s16, 0, v70
	v_not_b32_e32 v70, v71
	v_lshlrev_b32_e32 v75, 26, v68
	v_cmp_ne_u32_e32 vcc_lo, 0, v73
	v_ashrrev_i32_e32 v186, 31, v186
	v_lshlrev_b32_e32 v185, 25, v68
	v_ashrrev_i32_e32 v70, 31, v70
	v_lshlrev_b32_e32 v73, 24, v68
	v_xor_b32_e32 v69, vcc_lo, v69
	v_cmp_gt_i32_e32 vcc_lo, 0, v71
	v_not_b32_e32 v71, v72
	v_xor_b32_e32 v186, s16, v186
	v_cmp_gt_i32_e64 s16, 0, v72
	v_and_b32_e32 v69, exec_lo, v69
	v_not_b32_e32 v72, v74
	v_ashrrev_i32_e32 v71, 31, v71
	v_xor_b32_e32 v70, vcc_lo, v70
	v_cmp_gt_i32_e32 vcc_lo, 0, v74
	v_and_b32_e32 v69, v69, v186
	v_not_b32_e32 v74, v75
	v_ashrrev_i32_e32 v72, 31, v72
	v_xor_b32_e32 v71, s16, v71
	v_cmp_gt_i32_e64 s16, 0, v75
	v_and_b32_e32 v69, v69, v70
	v_not_b32_e32 v70, v185
	v_ashrrev_i32_e32 v74, 31, v74
	v_xor_b32_e32 v72, vcc_lo, v72
	v_cmp_gt_i32_e32 vcc_lo, 0, v185
	v_and_b32_e32 v69, v69, v71
	v_not_b32_e32 v71, v73
	v_ashrrev_i32_e32 v70, 31, v70
	v_xor_b32_e32 v74, s16, v74
	v_mul_u32_u24_e32 v68, 9, v68
	v_and_b32_e32 v69, v69, v72
	v_cmp_gt_i32_e64 s16, 0, v73
	v_ashrrev_i32_e32 v71, 31, v71
	v_xor_b32_e32 v70, vcc_lo, v70
	v_add_lshl_u32 v72, v68, v158, 2
	v_and_b32_e32 v69, v69, v74
	s_delay_alu instid0(VALU_DEP_4) | instskip(SKIP_3) | instid1(VALU_DEP_2)
	v_xor_b32_e32 v68, s16, v71
	ds_load_b32 v185, v72 offset:1056
	v_and_b32_e32 v69, v69, v70
	v_add_nc_u32_e32 v187, 0x420, v72
	; wave barrier
	v_and_b32_e32 v68, v69, v68
	s_delay_alu instid0(VALU_DEP_1) | instskip(SKIP_1) | instid1(VALU_DEP_2)
	v_mbcnt_lo_u32_b32 v186, v68, 0
	v_cmp_ne_u32_e64 s16, 0, v68
	v_cmp_eq_u32_e32 vcc_lo, 0, v186
	s_delay_alu instid0(VALU_DEP_2) | instskip(NEXT) | instid1(SALU_CYCLE_1)
	s_and_b32 s17, s16, vcc_lo
	s_and_saveexec_b32 s16, s17
	s_cbranch_execz .LBB1229_1026
; %bb.1025:                             ;   in Loop: Header=BB1229_982 Depth=2
	s_waitcnt lgkmcnt(0)
	v_bcnt_u32_b32 v68, v68, v185
	ds_store_b32 v187, v68
.LBB1229_1026:                          ;   in Loop: Header=BB1229_982 Depth=2
	s_or_b32 exec_lo, exec_lo, s16
	v_cmp_lt_i64_e32 vcc_lo, -1, v[52:53]
	v_ashrrev_i32_e32 v69, 31, v53
	; wave barrier
	s_delay_alu instid0(VALU_DEP_1) | instskip(SKIP_1) | instid1(VALU_DEP_1)
	v_xor_b32_e32 v52, v69, v52
	v_cndmask_b32_e64 v68, -1, 0x80000000, vcc_lo
	v_xor_b32_e32 v53, v68, v53
	s_delay_alu instid0(VALU_DEP_1) | instskip(SKIP_2) | instid1(VALU_DEP_1)
	v_cmp_ne_u64_e32 vcc_lo, s[40:41], v[52:53]
	v_cndmask_b32_e32 v69, 0x80000000, v53, vcc_lo
	v_cndmask_b32_e32 v68, 0, v52, vcc_lo
	v_lshrrev_b64 v[68:69], s42, v[68:69]
	s_delay_alu instid0(VALU_DEP_1) | instskip(NEXT) | instid1(VALU_DEP_1)
	v_and_b32_e32 v68, s50, v68
	v_and_b32_e32 v69, 1, v68
	v_lshlrev_b32_e32 v70, 30, v68
	v_lshlrev_b32_e32 v71, 29, v68
	;; [unrolled: 1-line block ×4, first 2 shown]
	v_add_co_u32 v69, s16, v69, -1
	s_delay_alu instid0(VALU_DEP_1)
	v_cndmask_b32_e64 v73, 0, 1, s16
	v_not_b32_e32 v189, v70
	v_cmp_gt_i32_e64 s16, 0, v70
	v_not_b32_e32 v70, v71
	v_lshlrev_b32_e32 v75, 26, v68
	v_cmp_ne_u32_e32 vcc_lo, 0, v73
	v_ashrrev_i32_e32 v189, 31, v189
	v_lshlrev_b32_e32 v188, 25, v68
	v_ashrrev_i32_e32 v70, 31, v70
	v_lshlrev_b32_e32 v73, 24, v68
	v_xor_b32_e32 v69, vcc_lo, v69
	v_cmp_gt_i32_e32 vcc_lo, 0, v71
	v_not_b32_e32 v71, v72
	v_xor_b32_e32 v189, s16, v189
	v_cmp_gt_i32_e64 s16, 0, v72
	v_and_b32_e32 v69, exec_lo, v69
	v_not_b32_e32 v72, v74
	v_ashrrev_i32_e32 v71, 31, v71
	v_xor_b32_e32 v70, vcc_lo, v70
	v_cmp_gt_i32_e32 vcc_lo, 0, v74
	v_and_b32_e32 v69, v69, v189
	v_not_b32_e32 v74, v75
	v_ashrrev_i32_e32 v72, 31, v72
	v_xor_b32_e32 v71, s16, v71
	v_cmp_gt_i32_e64 s16, 0, v75
	v_and_b32_e32 v69, v69, v70
	v_not_b32_e32 v70, v188
	v_ashrrev_i32_e32 v74, 31, v74
	v_xor_b32_e32 v72, vcc_lo, v72
	v_cmp_gt_i32_e32 vcc_lo, 0, v188
	v_and_b32_e32 v69, v69, v71
	v_not_b32_e32 v71, v73
	v_ashrrev_i32_e32 v70, 31, v70
	v_xor_b32_e32 v74, s16, v74
	v_mul_u32_u24_e32 v68, 9, v68
	v_and_b32_e32 v69, v69, v72
	v_cmp_gt_i32_e64 s16, 0, v73
	v_ashrrev_i32_e32 v71, 31, v71
	v_xor_b32_e32 v70, vcc_lo, v70
	v_add_lshl_u32 v72, v68, v158, 2
	v_and_b32_e32 v69, v69, v74
	s_delay_alu instid0(VALU_DEP_4) | instskip(SKIP_3) | instid1(VALU_DEP_2)
	v_xor_b32_e32 v68, s16, v71
	ds_load_b32 v188, v72 offset:1056
	v_and_b32_e32 v69, v69, v70
	v_add_nc_u32_e32 v190, 0x420, v72
	; wave barrier
	v_and_b32_e32 v68, v69, v68
	s_delay_alu instid0(VALU_DEP_1) | instskip(SKIP_1) | instid1(VALU_DEP_2)
	v_mbcnt_lo_u32_b32 v189, v68, 0
	v_cmp_ne_u32_e64 s16, 0, v68
	v_cmp_eq_u32_e32 vcc_lo, 0, v189
	s_delay_alu instid0(VALU_DEP_2) | instskip(NEXT) | instid1(SALU_CYCLE_1)
	s_and_b32 s17, s16, vcc_lo
	s_and_saveexec_b32 s16, s17
	s_cbranch_execz .LBB1229_1028
; %bb.1027:                             ;   in Loop: Header=BB1229_982 Depth=2
	s_waitcnt lgkmcnt(0)
	v_bcnt_u32_b32 v68, v68, v188
	ds_store_b32 v190, v68
.LBB1229_1028:                          ;   in Loop: Header=BB1229_982 Depth=2
	s_or_b32 exec_lo, exec_lo, s16
	v_cmp_lt_i64_e32 vcc_lo, -1, v[58:59]
	v_ashrrev_i32_e32 v69, 31, v59
	; wave barrier
	s_delay_alu instid0(VALU_DEP_1) | instskip(SKIP_1) | instid1(VALU_DEP_1)
	v_xor_b32_e32 v58, v69, v58
	v_cndmask_b32_e64 v68, -1, 0x80000000, vcc_lo
	v_xor_b32_e32 v59, v68, v59
	s_delay_alu instid0(VALU_DEP_1) | instskip(SKIP_2) | instid1(VALU_DEP_1)
	v_cmp_ne_u64_e32 vcc_lo, s[40:41], v[58:59]
	v_cndmask_b32_e32 v69, 0x80000000, v59, vcc_lo
	v_cndmask_b32_e32 v68, 0, v58, vcc_lo
	v_lshrrev_b64 v[68:69], s42, v[68:69]
	s_delay_alu instid0(VALU_DEP_1) | instskip(NEXT) | instid1(VALU_DEP_1)
	v_and_b32_e32 v68, s50, v68
	v_and_b32_e32 v69, 1, v68
	v_lshlrev_b32_e32 v70, 30, v68
	v_lshlrev_b32_e32 v71, 29, v68
	;; [unrolled: 1-line block ×4, first 2 shown]
	v_add_co_u32 v69, s16, v69, -1
	s_delay_alu instid0(VALU_DEP_1)
	v_cndmask_b32_e64 v73, 0, 1, s16
	v_not_b32_e32 v192, v70
	v_cmp_gt_i32_e64 s16, 0, v70
	v_not_b32_e32 v70, v71
	v_lshlrev_b32_e32 v75, 26, v68
	v_cmp_ne_u32_e32 vcc_lo, 0, v73
	v_ashrrev_i32_e32 v192, 31, v192
	v_lshlrev_b32_e32 v191, 25, v68
	v_ashrrev_i32_e32 v70, 31, v70
	v_lshlrev_b32_e32 v73, 24, v68
	v_xor_b32_e32 v69, vcc_lo, v69
	v_cmp_gt_i32_e32 vcc_lo, 0, v71
	v_not_b32_e32 v71, v72
	v_xor_b32_e32 v192, s16, v192
	v_cmp_gt_i32_e64 s16, 0, v72
	v_and_b32_e32 v69, exec_lo, v69
	v_not_b32_e32 v72, v74
	v_ashrrev_i32_e32 v71, 31, v71
	v_xor_b32_e32 v70, vcc_lo, v70
	v_cmp_gt_i32_e32 vcc_lo, 0, v74
	v_and_b32_e32 v69, v69, v192
	v_not_b32_e32 v74, v75
	v_ashrrev_i32_e32 v72, 31, v72
	v_xor_b32_e32 v71, s16, v71
	v_cmp_gt_i32_e64 s16, 0, v75
	v_and_b32_e32 v69, v69, v70
	v_not_b32_e32 v70, v191
	v_ashrrev_i32_e32 v74, 31, v74
	v_xor_b32_e32 v72, vcc_lo, v72
	v_cmp_gt_i32_e32 vcc_lo, 0, v191
	v_and_b32_e32 v69, v69, v71
	v_not_b32_e32 v71, v73
	v_ashrrev_i32_e32 v70, 31, v70
	v_xor_b32_e32 v74, s16, v74
	v_mul_u32_u24_e32 v68, 9, v68
	v_and_b32_e32 v69, v69, v72
	v_cmp_gt_i32_e64 s16, 0, v73
	v_ashrrev_i32_e32 v71, 31, v71
	v_xor_b32_e32 v70, vcc_lo, v70
	v_add_lshl_u32 v72, v68, v158, 2
	v_and_b32_e32 v69, v69, v74
	s_delay_alu instid0(VALU_DEP_4) | instskip(SKIP_3) | instid1(VALU_DEP_2)
	v_xor_b32_e32 v68, s16, v71
	ds_load_b32 v191, v72 offset:1056
	v_and_b32_e32 v69, v69, v70
	v_add_nc_u32_e32 v193, 0x420, v72
	; wave barrier
	v_and_b32_e32 v68, v69, v68
	s_delay_alu instid0(VALU_DEP_1) | instskip(SKIP_1) | instid1(VALU_DEP_2)
	v_mbcnt_lo_u32_b32 v192, v68, 0
	v_cmp_ne_u32_e64 s16, 0, v68
	v_cmp_eq_u32_e32 vcc_lo, 0, v192
	s_delay_alu instid0(VALU_DEP_2) | instskip(NEXT) | instid1(SALU_CYCLE_1)
	s_and_b32 s17, s16, vcc_lo
	s_and_saveexec_b32 s16, s17
	s_cbranch_execz .LBB1229_1030
; %bb.1029:                             ;   in Loop: Header=BB1229_982 Depth=2
	s_waitcnt lgkmcnt(0)
	v_bcnt_u32_b32 v68, v68, v191
	ds_store_b32 v193, v68
.LBB1229_1030:                          ;   in Loop: Header=BB1229_982 Depth=2
	s_or_b32 exec_lo, exec_lo, s16
	v_cmp_lt_i64_e32 vcc_lo, -1, v[62:63]
	v_ashrrev_i32_e32 v69, 31, v63
	; wave barrier
	s_delay_alu instid0(VALU_DEP_1) | instskip(SKIP_1) | instid1(VALU_DEP_1)
	v_xor_b32_e32 v62, v69, v62
	v_cndmask_b32_e64 v68, -1, 0x80000000, vcc_lo
	v_xor_b32_e32 v63, v68, v63
	s_delay_alu instid0(VALU_DEP_1) | instskip(SKIP_2) | instid1(VALU_DEP_1)
	v_cmp_ne_u64_e32 vcc_lo, s[40:41], v[62:63]
	v_cndmask_b32_e32 v69, 0x80000000, v63, vcc_lo
	v_cndmask_b32_e32 v68, 0, v62, vcc_lo
	v_lshrrev_b64 v[68:69], s42, v[68:69]
	s_delay_alu instid0(VALU_DEP_1) | instskip(NEXT) | instid1(VALU_DEP_1)
	v_and_b32_e32 v68, s50, v68
	v_and_b32_e32 v69, 1, v68
	v_lshlrev_b32_e32 v70, 30, v68
	v_lshlrev_b32_e32 v71, 29, v68
	;; [unrolled: 1-line block ×4, first 2 shown]
	v_add_co_u32 v69, s16, v69, -1
	s_delay_alu instid0(VALU_DEP_1)
	v_cndmask_b32_e64 v73, 0, 1, s16
	v_not_b32_e32 v195, v70
	v_cmp_gt_i32_e64 s16, 0, v70
	v_not_b32_e32 v70, v71
	v_lshlrev_b32_e32 v75, 26, v68
	v_cmp_ne_u32_e32 vcc_lo, 0, v73
	v_ashrrev_i32_e32 v195, 31, v195
	v_lshlrev_b32_e32 v194, 25, v68
	v_ashrrev_i32_e32 v70, 31, v70
	v_lshlrev_b32_e32 v73, 24, v68
	v_xor_b32_e32 v69, vcc_lo, v69
	v_cmp_gt_i32_e32 vcc_lo, 0, v71
	v_not_b32_e32 v71, v72
	v_xor_b32_e32 v195, s16, v195
	v_cmp_gt_i32_e64 s16, 0, v72
	v_and_b32_e32 v69, exec_lo, v69
	v_not_b32_e32 v72, v74
	v_ashrrev_i32_e32 v71, 31, v71
	v_xor_b32_e32 v70, vcc_lo, v70
	v_cmp_gt_i32_e32 vcc_lo, 0, v74
	v_and_b32_e32 v69, v69, v195
	v_not_b32_e32 v74, v75
	v_ashrrev_i32_e32 v72, 31, v72
	v_xor_b32_e32 v71, s16, v71
	v_cmp_gt_i32_e64 s16, 0, v75
	v_and_b32_e32 v69, v69, v70
	v_not_b32_e32 v70, v194
	v_ashrrev_i32_e32 v74, 31, v74
	v_xor_b32_e32 v72, vcc_lo, v72
	v_cmp_gt_i32_e32 vcc_lo, 0, v194
	v_and_b32_e32 v69, v69, v71
	v_not_b32_e32 v71, v73
	v_ashrrev_i32_e32 v70, 31, v70
	v_xor_b32_e32 v74, s16, v74
	v_mul_u32_u24_e32 v68, 9, v68
	v_and_b32_e32 v69, v69, v72
	v_cmp_gt_i32_e64 s16, 0, v73
	v_ashrrev_i32_e32 v71, 31, v71
	v_xor_b32_e32 v70, vcc_lo, v70
	v_add_lshl_u32 v72, v68, v158, 2
	v_and_b32_e32 v69, v69, v74
	s_delay_alu instid0(VALU_DEP_4) | instskip(SKIP_3) | instid1(VALU_DEP_2)
	v_xor_b32_e32 v68, s16, v71
	ds_load_b32 v194, v72 offset:1056
	v_and_b32_e32 v69, v69, v70
	v_add_nc_u32_e32 v196, 0x420, v72
	; wave barrier
	v_and_b32_e32 v68, v69, v68
	s_delay_alu instid0(VALU_DEP_1) | instskip(SKIP_1) | instid1(VALU_DEP_2)
	v_mbcnt_lo_u32_b32 v195, v68, 0
	v_cmp_ne_u32_e64 s16, 0, v68
	v_cmp_eq_u32_e32 vcc_lo, 0, v195
	s_delay_alu instid0(VALU_DEP_2) | instskip(NEXT) | instid1(SALU_CYCLE_1)
	s_and_b32 s17, s16, vcc_lo
	s_and_saveexec_b32 s16, s17
	s_cbranch_execz .LBB1229_1032
; %bb.1031:                             ;   in Loop: Header=BB1229_982 Depth=2
	s_waitcnt lgkmcnt(0)
	v_bcnt_u32_b32 v68, v68, v194
	ds_store_b32 v196, v68
.LBB1229_1032:                          ;   in Loop: Header=BB1229_982 Depth=2
	s_or_b32 exec_lo, exec_lo, s16
	v_cmp_lt_i64_e32 vcc_lo, -1, v[66:67]
	v_ashrrev_i32_e32 v69, 31, v67
	; wave barrier
	s_delay_alu instid0(VALU_DEP_1) | instskip(SKIP_1) | instid1(VALU_DEP_1)
	v_xor_b32_e32 v66, v69, v66
	v_cndmask_b32_e64 v68, -1, 0x80000000, vcc_lo
	v_xor_b32_e32 v67, v68, v67
	s_delay_alu instid0(VALU_DEP_1) | instskip(SKIP_2) | instid1(VALU_DEP_1)
	v_cmp_ne_u64_e32 vcc_lo, s[40:41], v[66:67]
	v_cndmask_b32_e32 v69, 0x80000000, v67, vcc_lo
	v_cndmask_b32_e32 v68, 0, v66, vcc_lo
	v_lshrrev_b64 v[68:69], s42, v[68:69]
	s_delay_alu instid0(VALU_DEP_1) | instskip(NEXT) | instid1(VALU_DEP_1)
	v_and_b32_e32 v68, s50, v68
	v_and_b32_e32 v69, 1, v68
	v_lshlrev_b32_e32 v70, 30, v68
	v_lshlrev_b32_e32 v71, 29, v68
	;; [unrolled: 1-line block ×4, first 2 shown]
	v_add_co_u32 v69, s16, v69, -1
	s_delay_alu instid0(VALU_DEP_1)
	v_cndmask_b32_e64 v73, 0, 1, s16
	v_not_b32_e32 v198, v70
	v_cmp_gt_i32_e64 s16, 0, v70
	v_not_b32_e32 v70, v71
	v_lshlrev_b32_e32 v75, 26, v68
	v_cmp_ne_u32_e32 vcc_lo, 0, v73
	v_ashrrev_i32_e32 v198, 31, v198
	v_lshlrev_b32_e32 v197, 25, v68
	v_ashrrev_i32_e32 v70, 31, v70
	v_lshlrev_b32_e32 v73, 24, v68
	v_xor_b32_e32 v69, vcc_lo, v69
	v_cmp_gt_i32_e32 vcc_lo, 0, v71
	v_not_b32_e32 v71, v72
	v_xor_b32_e32 v198, s16, v198
	v_cmp_gt_i32_e64 s16, 0, v72
	v_and_b32_e32 v69, exec_lo, v69
	v_not_b32_e32 v72, v74
	v_ashrrev_i32_e32 v71, 31, v71
	v_xor_b32_e32 v70, vcc_lo, v70
	v_cmp_gt_i32_e32 vcc_lo, 0, v74
	v_and_b32_e32 v69, v69, v198
	v_not_b32_e32 v74, v75
	v_ashrrev_i32_e32 v72, 31, v72
	v_xor_b32_e32 v71, s16, v71
	v_cmp_gt_i32_e64 s16, 0, v75
	v_and_b32_e32 v69, v69, v70
	v_not_b32_e32 v70, v197
	v_ashrrev_i32_e32 v74, 31, v74
	v_xor_b32_e32 v72, vcc_lo, v72
	v_cmp_gt_i32_e32 vcc_lo, 0, v197
	v_and_b32_e32 v69, v69, v71
	v_not_b32_e32 v71, v73
	v_ashrrev_i32_e32 v70, 31, v70
	v_xor_b32_e32 v74, s16, v74
	v_mul_u32_u24_e32 v68, 9, v68
	v_and_b32_e32 v69, v69, v72
	v_cmp_gt_i32_e64 s16, 0, v73
	v_ashrrev_i32_e32 v71, 31, v71
	v_xor_b32_e32 v70, vcc_lo, v70
	v_add_lshl_u32 v72, v68, v158, 2
	v_and_b32_e32 v69, v69, v74
	s_delay_alu instid0(VALU_DEP_4) | instskip(SKIP_3) | instid1(VALU_DEP_2)
	v_xor_b32_e32 v68, s16, v71
	ds_load_b32 v197, v72 offset:1056
	v_and_b32_e32 v69, v69, v70
	v_add_nc_u32_e32 v199, 0x420, v72
	; wave barrier
	v_and_b32_e32 v68, v69, v68
	s_delay_alu instid0(VALU_DEP_1) | instskip(SKIP_1) | instid1(VALU_DEP_2)
	v_mbcnt_lo_u32_b32 v198, v68, 0
	v_cmp_ne_u32_e64 s16, 0, v68
	v_cmp_eq_u32_e32 vcc_lo, 0, v198
	s_delay_alu instid0(VALU_DEP_2) | instskip(NEXT) | instid1(SALU_CYCLE_1)
	s_and_b32 s17, s16, vcc_lo
	s_and_saveexec_b32 s16, s17
	s_cbranch_execz .LBB1229_1034
; %bb.1033:                             ;   in Loop: Header=BB1229_982 Depth=2
	s_waitcnt lgkmcnt(0)
	v_bcnt_u32_b32 v68, v68, v197
	ds_store_b32 v199, v68
.LBB1229_1034:                          ;   in Loop: Header=BB1229_982 Depth=2
	s_or_b32 exec_lo, exec_lo, s16
	v_cmp_lt_i64_e32 vcc_lo, -1, v[64:65]
	v_ashrrev_i32_e32 v69, 31, v65
	; wave barrier
	s_delay_alu instid0(VALU_DEP_1) | instskip(SKIP_1) | instid1(VALU_DEP_1)
	v_xor_b32_e32 v64, v69, v64
	v_cndmask_b32_e64 v68, -1, 0x80000000, vcc_lo
	v_xor_b32_e32 v65, v68, v65
	s_delay_alu instid0(VALU_DEP_1) | instskip(SKIP_2) | instid1(VALU_DEP_1)
	v_cmp_ne_u64_e32 vcc_lo, s[40:41], v[64:65]
	v_cndmask_b32_e32 v69, 0x80000000, v65, vcc_lo
	v_cndmask_b32_e32 v68, 0, v64, vcc_lo
	v_lshrrev_b64 v[68:69], s42, v[68:69]
	s_delay_alu instid0(VALU_DEP_1) | instskip(NEXT) | instid1(VALU_DEP_1)
	v_and_b32_e32 v68, s50, v68
	v_and_b32_e32 v69, 1, v68
	v_lshlrev_b32_e32 v70, 30, v68
	v_lshlrev_b32_e32 v71, 29, v68
	;; [unrolled: 1-line block ×4, first 2 shown]
	v_add_co_u32 v69, s16, v69, -1
	s_delay_alu instid0(VALU_DEP_1)
	v_cndmask_b32_e64 v73, 0, 1, s16
	v_not_b32_e32 v201, v70
	v_cmp_gt_i32_e64 s16, 0, v70
	v_not_b32_e32 v70, v71
	v_lshlrev_b32_e32 v75, 26, v68
	v_cmp_ne_u32_e32 vcc_lo, 0, v73
	v_ashrrev_i32_e32 v201, 31, v201
	v_lshlrev_b32_e32 v200, 25, v68
	v_ashrrev_i32_e32 v70, 31, v70
	v_lshlrev_b32_e32 v73, 24, v68
	v_xor_b32_e32 v69, vcc_lo, v69
	v_cmp_gt_i32_e32 vcc_lo, 0, v71
	v_not_b32_e32 v71, v72
	v_xor_b32_e32 v201, s16, v201
	v_cmp_gt_i32_e64 s16, 0, v72
	v_and_b32_e32 v69, exec_lo, v69
	v_not_b32_e32 v72, v74
	v_ashrrev_i32_e32 v71, 31, v71
	v_xor_b32_e32 v70, vcc_lo, v70
	v_cmp_gt_i32_e32 vcc_lo, 0, v74
	v_and_b32_e32 v69, v69, v201
	v_not_b32_e32 v74, v75
	v_ashrrev_i32_e32 v72, 31, v72
	v_xor_b32_e32 v71, s16, v71
	v_cmp_gt_i32_e64 s16, 0, v75
	v_and_b32_e32 v69, v69, v70
	v_not_b32_e32 v70, v200
	v_ashrrev_i32_e32 v74, 31, v74
	v_xor_b32_e32 v72, vcc_lo, v72
	v_cmp_gt_i32_e32 vcc_lo, 0, v200
	v_and_b32_e32 v69, v69, v71
	v_not_b32_e32 v71, v73
	v_ashrrev_i32_e32 v70, 31, v70
	v_xor_b32_e32 v74, s16, v74
	v_mul_u32_u24_e32 v68, 9, v68
	v_and_b32_e32 v69, v69, v72
	v_cmp_gt_i32_e64 s16, 0, v73
	v_ashrrev_i32_e32 v71, 31, v71
	v_xor_b32_e32 v70, vcc_lo, v70
	v_add_lshl_u32 v72, v68, v158, 2
	v_and_b32_e32 v69, v69, v74
	s_delay_alu instid0(VALU_DEP_4) | instskip(SKIP_3) | instid1(VALU_DEP_2)
	v_xor_b32_e32 v68, s16, v71
	ds_load_b32 v200, v72 offset:1056
	v_and_b32_e32 v69, v69, v70
	v_add_nc_u32_e32 v202, 0x420, v72
	; wave barrier
	v_and_b32_e32 v68, v69, v68
	s_delay_alu instid0(VALU_DEP_1) | instskip(SKIP_1) | instid1(VALU_DEP_2)
	v_mbcnt_lo_u32_b32 v201, v68, 0
	v_cmp_ne_u32_e64 s16, 0, v68
	v_cmp_eq_u32_e32 vcc_lo, 0, v201
	s_delay_alu instid0(VALU_DEP_2) | instskip(NEXT) | instid1(SALU_CYCLE_1)
	s_and_b32 s17, s16, vcc_lo
	s_and_saveexec_b32 s16, s17
	s_cbranch_execz .LBB1229_1036
; %bb.1035:                             ;   in Loop: Header=BB1229_982 Depth=2
	s_waitcnt lgkmcnt(0)
	v_bcnt_u32_b32 v68, v68, v200
	ds_store_b32 v202, v68
.LBB1229_1036:                          ;   in Loop: Header=BB1229_982 Depth=2
	s_or_b32 exec_lo, exec_lo, s16
	v_cmp_lt_i64_e32 vcc_lo, -1, v[60:61]
	v_ashrrev_i32_e32 v69, 31, v61
	; wave barrier
	s_delay_alu instid0(VALU_DEP_1) | instskip(SKIP_1) | instid1(VALU_DEP_1)
	v_xor_b32_e32 v60, v69, v60
	v_cndmask_b32_e64 v68, -1, 0x80000000, vcc_lo
	v_xor_b32_e32 v61, v68, v61
	s_delay_alu instid0(VALU_DEP_1) | instskip(SKIP_2) | instid1(VALU_DEP_1)
	v_cmp_ne_u64_e32 vcc_lo, s[40:41], v[60:61]
	v_cndmask_b32_e32 v69, 0x80000000, v61, vcc_lo
	v_cndmask_b32_e32 v68, 0, v60, vcc_lo
	v_lshrrev_b64 v[68:69], s42, v[68:69]
	s_delay_alu instid0(VALU_DEP_1) | instskip(NEXT) | instid1(VALU_DEP_1)
	v_and_b32_e32 v68, s50, v68
	v_and_b32_e32 v69, 1, v68
	v_lshlrev_b32_e32 v70, 30, v68
	v_lshlrev_b32_e32 v71, 29, v68
	;; [unrolled: 1-line block ×4, first 2 shown]
	v_add_co_u32 v69, s16, v69, -1
	s_delay_alu instid0(VALU_DEP_1)
	v_cndmask_b32_e64 v73, 0, 1, s16
	v_not_b32_e32 v204, v70
	v_cmp_gt_i32_e64 s16, 0, v70
	v_not_b32_e32 v70, v71
	v_lshlrev_b32_e32 v75, 26, v68
	v_cmp_ne_u32_e32 vcc_lo, 0, v73
	v_ashrrev_i32_e32 v204, 31, v204
	v_lshlrev_b32_e32 v203, 25, v68
	v_ashrrev_i32_e32 v70, 31, v70
	v_lshlrev_b32_e32 v73, 24, v68
	v_xor_b32_e32 v69, vcc_lo, v69
	v_cmp_gt_i32_e32 vcc_lo, 0, v71
	v_not_b32_e32 v71, v72
	v_xor_b32_e32 v204, s16, v204
	v_cmp_gt_i32_e64 s16, 0, v72
	v_and_b32_e32 v69, exec_lo, v69
	v_not_b32_e32 v72, v74
	v_ashrrev_i32_e32 v71, 31, v71
	v_xor_b32_e32 v70, vcc_lo, v70
	v_cmp_gt_i32_e32 vcc_lo, 0, v74
	v_and_b32_e32 v69, v69, v204
	v_not_b32_e32 v74, v75
	v_ashrrev_i32_e32 v72, 31, v72
	v_xor_b32_e32 v71, s16, v71
	v_cmp_gt_i32_e64 s16, 0, v75
	v_and_b32_e32 v69, v69, v70
	v_not_b32_e32 v70, v203
	v_ashrrev_i32_e32 v74, 31, v74
	v_xor_b32_e32 v72, vcc_lo, v72
	v_cmp_gt_i32_e32 vcc_lo, 0, v203
	v_and_b32_e32 v69, v69, v71
	v_not_b32_e32 v71, v73
	v_ashrrev_i32_e32 v70, 31, v70
	v_xor_b32_e32 v74, s16, v74
	v_mul_u32_u24_e32 v68, 9, v68
	v_and_b32_e32 v69, v69, v72
	v_cmp_gt_i32_e64 s16, 0, v73
	v_ashrrev_i32_e32 v71, 31, v71
	v_xor_b32_e32 v70, vcc_lo, v70
	v_add_lshl_u32 v72, v68, v158, 2
	v_and_b32_e32 v69, v69, v74
	s_delay_alu instid0(VALU_DEP_4) | instskip(SKIP_3) | instid1(VALU_DEP_2)
	v_xor_b32_e32 v68, s16, v71
	ds_load_b32 v203, v72 offset:1056
	v_and_b32_e32 v69, v69, v70
	v_add_nc_u32_e32 v205, 0x420, v72
	; wave barrier
	v_and_b32_e32 v68, v69, v68
	s_delay_alu instid0(VALU_DEP_1) | instskip(SKIP_1) | instid1(VALU_DEP_2)
	v_mbcnt_lo_u32_b32 v204, v68, 0
	v_cmp_ne_u32_e64 s16, 0, v68
	v_cmp_eq_u32_e32 vcc_lo, 0, v204
	s_delay_alu instid0(VALU_DEP_2) | instskip(NEXT) | instid1(SALU_CYCLE_1)
	s_and_b32 s17, s16, vcc_lo
	s_and_saveexec_b32 s16, s17
	s_cbranch_execz .LBB1229_1038
; %bb.1037:                             ;   in Loop: Header=BB1229_982 Depth=2
	s_waitcnt lgkmcnt(0)
	v_bcnt_u32_b32 v68, v68, v203
	ds_store_b32 v205, v68
.LBB1229_1038:                          ;   in Loop: Header=BB1229_982 Depth=2
	s_or_b32 exec_lo, exec_lo, s16
	v_cmp_lt_i64_e32 vcc_lo, -1, v[56:57]
	v_ashrrev_i32_e32 v69, 31, v57
	; wave barrier
	s_delay_alu instid0(VALU_DEP_1) | instskip(SKIP_1) | instid1(VALU_DEP_1)
	v_xor_b32_e32 v56, v69, v56
	v_cndmask_b32_e64 v68, -1, 0x80000000, vcc_lo
	v_xor_b32_e32 v57, v68, v57
	s_delay_alu instid0(VALU_DEP_1) | instskip(SKIP_2) | instid1(VALU_DEP_1)
	v_cmp_ne_u64_e32 vcc_lo, s[40:41], v[56:57]
	v_cndmask_b32_e32 v69, 0x80000000, v57, vcc_lo
	v_cndmask_b32_e32 v68, 0, v56, vcc_lo
	v_lshrrev_b64 v[68:69], s42, v[68:69]
	s_delay_alu instid0(VALU_DEP_1) | instskip(NEXT) | instid1(VALU_DEP_1)
	v_and_b32_e32 v68, s50, v68
	v_and_b32_e32 v69, 1, v68
	v_lshlrev_b32_e32 v70, 30, v68
	v_lshlrev_b32_e32 v71, 29, v68
	;; [unrolled: 1-line block ×4, first 2 shown]
	v_add_co_u32 v69, s16, v69, -1
	s_delay_alu instid0(VALU_DEP_1)
	v_cndmask_b32_e64 v73, 0, 1, s16
	v_not_b32_e32 v207, v70
	v_cmp_gt_i32_e64 s16, 0, v70
	v_not_b32_e32 v70, v71
	v_lshlrev_b32_e32 v75, 26, v68
	v_cmp_ne_u32_e32 vcc_lo, 0, v73
	v_ashrrev_i32_e32 v207, 31, v207
	v_lshlrev_b32_e32 v206, 25, v68
	v_ashrrev_i32_e32 v70, 31, v70
	v_lshlrev_b32_e32 v73, 24, v68
	v_xor_b32_e32 v69, vcc_lo, v69
	v_cmp_gt_i32_e32 vcc_lo, 0, v71
	v_not_b32_e32 v71, v72
	v_xor_b32_e32 v207, s16, v207
	v_cmp_gt_i32_e64 s16, 0, v72
	v_and_b32_e32 v69, exec_lo, v69
	v_not_b32_e32 v72, v74
	v_ashrrev_i32_e32 v71, 31, v71
	v_xor_b32_e32 v70, vcc_lo, v70
	v_cmp_gt_i32_e32 vcc_lo, 0, v74
	v_and_b32_e32 v69, v69, v207
	v_not_b32_e32 v74, v75
	v_ashrrev_i32_e32 v72, 31, v72
	v_xor_b32_e32 v71, s16, v71
	v_cmp_gt_i32_e64 s16, 0, v75
	v_and_b32_e32 v69, v69, v70
	v_not_b32_e32 v70, v206
	v_ashrrev_i32_e32 v74, 31, v74
	v_xor_b32_e32 v72, vcc_lo, v72
	v_cmp_gt_i32_e32 vcc_lo, 0, v206
	v_and_b32_e32 v69, v69, v71
	v_not_b32_e32 v71, v73
	v_ashrrev_i32_e32 v70, 31, v70
	v_xor_b32_e32 v74, s16, v74
	v_mul_u32_u24_e32 v68, 9, v68
	v_and_b32_e32 v69, v69, v72
	v_cmp_gt_i32_e64 s16, 0, v73
	v_ashrrev_i32_e32 v71, 31, v71
	v_xor_b32_e32 v70, vcc_lo, v70
	v_add_lshl_u32 v72, v68, v158, 2
	v_and_b32_e32 v69, v69, v74
	s_delay_alu instid0(VALU_DEP_4) | instskip(SKIP_3) | instid1(VALU_DEP_2)
	v_xor_b32_e32 v68, s16, v71
	ds_load_b32 v206, v72 offset:1056
	v_and_b32_e32 v69, v69, v70
	v_add_nc_u32_e32 v208, 0x420, v72
	; wave barrier
	v_and_b32_e32 v68, v69, v68
	s_delay_alu instid0(VALU_DEP_1) | instskip(SKIP_1) | instid1(VALU_DEP_2)
	v_mbcnt_lo_u32_b32 v207, v68, 0
	v_cmp_ne_u32_e64 s16, 0, v68
	v_cmp_eq_u32_e32 vcc_lo, 0, v207
	s_delay_alu instid0(VALU_DEP_2) | instskip(NEXT) | instid1(SALU_CYCLE_1)
	s_and_b32 s17, s16, vcc_lo
	s_and_saveexec_b32 s16, s17
	s_cbranch_execz .LBB1229_1040
; %bb.1039:                             ;   in Loop: Header=BB1229_982 Depth=2
	s_waitcnt lgkmcnt(0)
	v_bcnt_u32_b32 v68, v68, v206
	ds_store_b32 v208, v68
.LBB1229_1040:                          ;   in Loop: Header=BB1229_982 Depth=2
	s_or_b32 exec_lo, exec_lo, s16
	v_cmp_lt_i64_e32 vcc_lo, -1, v[54:55]
	v_ashrrev_i32_e32 v69, 31, v55
	; wave barrier
	s_delay_alu instid0(VALU_DEP_1) | instskip(SKIP_1) | instid1(VALU_DEP_1)
	v_xor_b32_e32 v54, v69, v54
	v_cndmask_b32_e64 v68, -1, 0x80000000, vcc_lo
	v_xor_b32_e32 v55, v68, v55
	s_delay_alu instid0(VALU_DEP_1) | instskip(SKIP_2) | instid1(VALU_DEP_1)
	v_cmp_ne_u64_e32 vcc_lo, s[40:41], v[54:55]
	v_cndmask_b32_e32 v69, 0x80000000, v55, vcc_lo
	v_cndmask_b32_e32 v68, 0, v54, vcc_lo
	v_lshrrev_b64 v[68:69], s42, v[68:69]
	s_delay_alu instid0(VALU_DEP_1) | instskip(NEXT) | instid1(VALU_DEP_1)
	v_and_b32_e32 v68, s50, v68
	v_and_b32_e32 v69, 1, v68
	v_lshlrev_b32_e32 v70, 30, v68
	v_lshlrev_b32_e32 v71, 29, v68
	;; [unrolled: 1-line block ×4, first 2 shown]
	v_add_co_u32 v69, s16, v69, -1
	s_delay_alu instid0(VALU_DEP_1)
	v_cndmask_b32_e64 v73, 0, 1, s16
	v_not_b32_e32 v210, v70
	v_cmp_gt_i32_e64 s16, 0, v70
	v_not_b32_e32 v70, v71
	v_lshlrev_b32_e32 v75, 26, v68
	v_cmp_ne_u32_e32 vcc_lo, 0, v73
	v_ashrrev_i32_e32 v210, 31, v210
	v_lshlrev_b32_e32 v209, 25, v68
	v_ashrrev_i32_e32 v70, 31, v70
	v_lshlrev_b32_e32 v73, 24, v68
	v_xor_b32_e32 v69, vcc_lo, v69
	v_cmp_gt_i32_e32 vcc_lo, 0, v71
	v_not_b32_e32 v71, v72
	v_xor_b32_e32 v210, s16, v210
	v_cmp_gt_i32_e64 s16, 0, v72
	v_and_b32_e32 v69, exec_lo, v69
	v_not_b32_e32 v72, v74
	v_ashrrev_i32_e32 v71, 31, v71
	v_xor_b32_e32 v70, vcc_lo, v70
	v_cmp_gt_i32_e32 vcc_lo, 0, v74
	v_and_b32_e32 v69, v69, v210
	v_not_b32_e32 v74, v75
	v_ashrrev_i32_e32 v72, 31, v72
	v_xor_b32_e32 v71, s16, v71
	v_cmp_gt_i32_e64 s16, 0, v75
	v_and_b32_e32 v69, v69, v70
	v_not_b32_e32 v70, v209
	v_ashrrev_i32_e32 v74, 31, v74
	v_xor_b32_e32 v72, vcc_lo, v72
	v_cmp_gt_i32_e32 vcc_lo, 0, v209
	v_and_b32_e32 v69, v69, v71
	v_not_b32_e32 v71, v73
	v_ashrrev_i32_e32 v70, 31, v70
	v_xor_b32_e32 v74, s16, v74
	v_mul_u32_u24_e32 v68, 9, v68
	v_and_b32_e32 v69, v69, v72
	v_cmp_gt_i32_e64 s16, 0, v73
	v_ashrrev_i32_e32 v71, 31, v71
	v_xor_b32_e32 v70, vcc_lo, v70
	v_add_lshl_u32 v72, v68, v158, 2
	v_and_b32_e32 v69, v69, v74
	s_delay_alu instid0(VALU_DEP_4) | instskip(SKIP_3) | instid1(VALU_DEP_2)
	v_xor_b32_e32 v68, s16, v71
	ds_load_b32 v209, v72 offset:1056
	v_and_b32_e32 v69, v69, v70
	v_add_nc_u32_e32 v211, 0x420, v72
	; wave barrier
	v_and_b32_e32 v68, v69, v68
	s_delay_alu instid0(VALU_DEP_1) | instskip(SKIP_1) | instid1(VALU_DEP_2)
	v_mbcnt_lo_u32_b32 v210, v68, 0
	v_cmp_ne_u32_e64 s16, 0, v68
	v_cmp_eq_u32_e32 vcc_lo, 0, v210
	s_delay_alu instid0(VALU_DEP_2) | instskip(NEXT) | instid1(SALU_CYCLE_1)
	s_and_b32 s17, s16, vcc_lo
	s_and_saveexec_b32 s16, s17
	s_cbranch_execz .LBB1229_1042
; %bb.1041:                             ;   in Loop: Header=BB1229_982 Depth=2
	s_waitcnt lgkmcnt(0)
	v_bcnt_u32_b32 v68, v68, v209
	ds_store_b32 v211, v68
.LBB1229_1042:                          ;   in Loop: Header=BB1229_982 Depth=2
	s_or_b32 exec_lo, exec_lo, s16
	v_cmp_lt_i64_e32 vcc_lo, -1, v[50:51]
	v_ashrrev_i32_e32 v69, 31, v51
	; wave barrier
	s_delay_alu instid0(VALU_DEP_1) | instskip(SKIP_1) | instid1(VALU_DEP_1)
	v_xor_b32_e32 v50, v69, v50
	v_cndmask_b32_e64 v68, -1, 0x80000000, vcc_lo
	v_xor_b32_e32 v51, v68, v51
	s_delay_alu instid0(VALU_DEP_1) | instskip(SKIP_2) | instid1(VALU_DEP_1)
	v_cmp_ne_u64_e32 vcc_lo, s[40:41], v[50:51]
	v_cndmask_b32_e32 v69, 0x80000000, v51, vcc_lo
	v_cndmask_b32_e32 v68, 0, v50, vcc_lo
	v_lshrrev_b64 v[68:69], s42, v[68:69]
	s_delay_alu instid0(VALU_DEP_1) | instskip(NEXT) | instid1(VALU_DEP_1)
	v_and_b32_e32 v68, s50, v68
	v_and_b32_e32 v69, 1, v68
	v_lshlrev_b32_e32 v70, 30, v68
	v_lshlrev_b32_e32 v71, 29, v68
	;; [unrolled: 1-line block ×4, first 2 shown]
	v_add_co_u32 v69, s16, v69, -1
	s_delay_alu instid0(VALU_DEP_1)
	v_cndmask_b32_e64 v73, 0, 1, s16
	v_not_b32_e32 v213, v70
	v_cmp_gt_i32_e64 s16, 0, v70
	v_not_b32_e32 v70, v71
	v_lshlrev_b32_e32 v75, 26, v68
	v_cmp_ne_u32_e32 vcc_lo, 0, v73
	v_ashrrev_i32_e32 v213, 31, v213
	v_lshlrev_b32_e32 v212, 25, v68
	v_ashrrev_i32_e32 v70, 31, v70
	v_lshlrev_b32_e32 v73, 24, v68
	v_xor_b32_e32 v69, vcc_lo, v69
	v_cmp_gt_i32_e32 vcc_lo, 0, v71
	v_not_b32_e32 v71, v72
	v_xor_b32_e32 v213, s16, v213
	v_cmp_gt_i32_e64 s16, 0, v72
	v_and_b32_e32 v69, exec_lo, v69
	v_not_b32_e32 v72, v74
	v_ashrrev_i32_e32 v71, 31, v71
	v_xor_b32_e32 v70, vcc_lo, v70
	v_cmp_gt_i32_e32 vcc_lo, 0, v74
	v_and_b32_e32 v69, v69, v213
	v_not_b32_e32 v74, v75
	v_ashrrev_i32_e32 v72, 31, v72
	v_xor_b32_e32 v71, s16, v71
	v_cmp_gt_i32_e64 s16, 0, v75
	v_and_b32_e32 v69, v69, v70
	v_not_b32_e32 v70, v212
	v_ashrrev_i32_e32 v74, 31, v74
	v_xor_b32_e32 v72, vcc_lo, v72
	v_cmp_gt_i32_e32 vcc_lo, 0, v212
	v_and_b32_e32 v69, v69, v71
	v_not_b32_e32 v71, v73
	v_ashrrev_i32_e32 v70, 31, v70
	v_xor_b32_e32 v74, s16, v74
	v_mul_u32_u24_e32 v68, 9, v68
	v_and_b32_e32 v69, v69, v72
	v_cmp_gt_i32_e64 s16, 0, v73
	v_ashrrev_i32_e32 v71, 31, v71
	v_xor_b32_e32 v70, vcc_lo, v70
	v_add_lshl_u32 v72, v68, v158, 2
	v_and_b32_e32 v69, v69, v74
	s_delay_alu instid0(VALU_DEP_4) | instskip(SKIP_3) | instid1(VALU_DEP_2)
	v_xor_b32_e32 v68, s16, v71
	ds_load_b32 v212, v72 offset:1056
	v_and_b32_e32 v69, v69, v70
	v_add_nc_u32_e32 v214, 0x420, v72
	; wave barrier
	v_and_b32_e32 v68, v69, v68
	s_delay_alu instid0(VALU_DEP_1) | instskip(SKIP_1) | instid1(VALU_DEP_2)
	v_mbcnt_lo_u32_b32 v213, v68, 0
	v_cmp_ne_u32_e64 s16, 0, v68
	v_cmp_eq_u32_e32 vcc_lo, 0, v213
	s_delay_alu instid0(VALU_DEP_2) | instskip(NEXT) | instid1(SALU_CYCLE_1)
	s_and_b32 s17, s16, vcc_lo
	s_and_saveexec_b32 s16, s17
	s_cbranch_execz .LBB1229_1044
; %bb.1043:                             ;   in Loop: Header=BB1229_982 Depth=2
	s_waitcnt lgkmcnt(0)
	v_bcnt_u32_b32 v68, v68, v212
	ds_store_b32 v214, v68
.LBB1229_1044:                          ;   in Loop: Header=BB1229_982 Depth=2
	s_or_b32 exec_lo, exec_lo, s16
	v_cmp_lt_i64_e32 vcc_lo, -1, v[46:47]
	v_ashrrev_i32_e32 v69, 31, v47
	; wave barrier
	s_delay_alu instid0(VALU_DEP_1) | instskip(SKIP_1) | instid1(VALU_DEP_1)
	v_xor_b32_e32 v46, v69, v46
	v_cndmask_b32_e64 v68, -1, 0x80000000, vcc_lo
	v_xor_b32_e32 v47, v68, v47
	s_delay_alu instid0(VALU_DEP_1) | instskip(SKIP_2) | instid1(VALU_DEP_1)
	v_cmp_ne_u64_e32 vcc_lo, s[40:41], v[46:47]
	v_cndmask_b32_e32 v69, 0x80000000, v47, vcc_lo
	v_cndmask_b32_e32 v68, 0, v46, vcc_lo
	v_lshrrev_b64 v[68:69], s42, v[68:69]
	s_delay_alu instid0(VALU_DEP_1) | instskip(NEXT) | instid1(VALU_DEP_1)
	v_and_b32_e32 v68, s50, v68
	v_and_b32_e32 v69, 1, v68
	v_lshlrev_b32_e32 v70, 30, v68
	v_lshlrev_b32_e32 v71, 29, v68
	v_lshlrev_b32_e32 v72, 28, v68
	v_lshlrev_b32_e32 v74, 27, v68
	v_add_co_u32 v69, s16, v69, -1
	s_delay_alu instid0(VALU_DEP_1)
	v_cndmask_b32_e64 v73, 0, 1, s16
	v_not_b32_e32 v216, v70
	v_cmp_gt_i32_e64 s16, 0, v70
	v_not_b32_e32 v70, v71
	v_lshlrev_b32_e32 v75, 26, v68
	v_cmp_ne_u32_e32 vcc_lo, 0, v73
	v_ashrrev_i32_e32 v216, 31, v216
	v_lshlrev_b32_e32 v215, 25, v68
	v_ashrrev_i32_e32 v70, 31, v70
	v_lshlrev_b32_e32 v73, 24, v68
	v_xor_b32_e32 v69, vcc_lo, v69
	v_cmp_gt_i32_e32 vcc_lo, 0, v71
	v_not_b32_e32 v71, v72
	v_xor_b32_e32 v216, s16, v216
	v_cmp_gt_i32_e64 s16, 0, v72
	v_and_b32_e32 v69, exec_lo, v69
	v_not_b32_e32 v72, v74
	v_ashrrev_i32_e32 v71, 31, v71
	v_xor_b32_e32 v70, vcc_lo, v70
	v_cmp_gt_i32_e32 vcc_lo, 0, v74
	v_and_b32_e32 v69, v69, v216
	v_not_b32_e32 v74, v75
	v_ashrrev_i32_e32 v72, 31, v72
	v_xor_b32_e32 v71, s16, v71
	v_cmp_gt_i32_e64 s16, 0, v75
	v_and_b32_e32 v69, v69, v70
	v_not_b32_e32 v70, v215
	v_ashrrev_i32_e32 v74, 31, v74
	v_xor_b32_e32 v72, vcc_lo, v72
	v_cmp_gt_i32_e32 vcc_lo, 0, v215
	v_and_b32_e32 v69, v69, v71
	v_not_b32_e32 v71, v73
	v_ashrrev_i32_e32 v70, 31, v70
	v_xor_b32_e32 v74, s16, v74
	v_mul_u32_u24_e32 v68, 9, v68
	v_and_b32_e32 v69, v69, v72
	v_cmp_gt_i32_e64 s16, 0, v73
	v_ashrrev_i32_e32 v71, 31, v71
	v_xor_b32_e32 v70, vcc_lo, v70
	v_add_lshl_u32 v72, v68, v158, 2
	v_and_b32_e32 v69, v69, v74
	s_delay_alu instid0(VALU_DEP_4) | instskip(SKIP_3) | instid1(VALU_DEP_2)
	v_xor_b32_e32 v68, s16, v71
	ds_load_b32 v215, v72 offset:1056
	v_and_b32_e32 v69, v69, v70
	v_add_nc_u32_e32 v217, 0x420, v72
	; wave barrier
	v_and_b32_e32 v68, v69, v68
	s_delay_alu instid0(VALU_DEP_1) | instskip(SKIP_1) | instid1(VALU_DEP_2)
	v_mbcnt_lo_u32_b32 v216, v68, 0
	v_cmp_ne_u32_e64 s16, 0, v68
	v_cmp_eq_u32_e32 vcc_lo, 0, v216
	s_delay_alu instid0(VALU_DEP_2) | instskip(NEXT) | instid1(SALU_CYCLE_1)
	s_and_b32 s17, s16, vcc_lo
	s_and_saveexec_b32 s16, s17
	s_cbranch_execz .LBB1229_1046
; %bb.1045:                             ;   in Loop: Header=BB1229_982 Depth=2
	s_waitcnt lgkmcnt(0)
	v_bcnt_u32_b32 v68, v68, v215
	ds_store_b32 v217, v68
.LBB1229_1046:                          ;   in Loop: Header=BB1229_982 Depth=2
	s_or_b32 exec_lo, exec_lo, s16
	v_cmp_lt_i64_e32 vcc_lo, -1, v[40:41]
	v_ashrrev_i32_e32 v69, 31, v41
	; wave barrier
	s_delay_alu instid0(VALU_DEP_1) | instskip(SKIP_1) | instid1(VALU_DEP_1)
	v_xor_b32_e32 v40, v69, v40
	v_cndmask_b32_e64 v68, -1, 0x80000000, vcc_lo
	v_xor_b32_e32 v41, v68, v41
	s_delay_alu instid0(VALU_DEP_1) | instskip(SKIP_2) | instid1(VALU_DEP_1)
	v_cmp_ne_u64_e32 vcc_lo, s[40:41], v[40:41]
	v_cndmask_b32_e32 v69, 0x80000000, v41, vcc_lo
	v_cndmask_b32_e32 v68, 0, v40, vcc_lo
	v_lshrrev_b64 v[68:69], s42, v[68:69]
	s_delay_alu instid0(VALU_DEP_1) | instskip(NEXT) | instid1(VALU_DEP_1)
	v_and_b32_e32 v68, s50, v68
	v_and_b32_e32 v69, 1, v68
	v_lshlrev_b32_e32 v70, 30, v68
	v_lshlrev_b32_e32 v71, 29, v68
	;; [unrolled: 1-line block ×4, first 2 shown]
	v_add_co_u32 v69, s16, v69, -1
	s_delay_alu instid0(VALU_DEP_1)
	v_cndmask_b32_e64 v73, 0, 1, s16
	v_not_b32_e32 v219, v70
	v_cmp_gt_i32_e64 s16, 0, v70
	v_not_b32_e32 v70, v71
	v_lshlrev_b32_e32 v75, 26, v68
	v_cmp_ne_u32_e32 vcc_lo, 0, v73
	v_ashrrev_i32_e32 v219, 31, v219
	v_lshlrev_b32_e32 v218, 25, v68
	v_ashrrev_i32_e32 v70, 31, v70
	v_lshlrev_b32_e32 v73, 24, v68
	v_xor_b32_e32 v69, vcc_lo, v69
	v_cmp_gt_i32_e32 vcc_lo, 0, v71
	v_not_b32_e32 v71, v72
	v_xor_b32_e32 v219, s16, v219
	v_cmp_gt_i32_e64 s16, 0, v72
	v_and_b32_e32 v69, exec_lo, v69
	v_not_b32_e32 v72, v74
	v_ashrrev_i32_e32 v71, 31, v71
	v_xor_b32_e32 v70, vcc_lo, v70
	v_cmp_gt_i32_e32 vcc_lo, 0, v74
	v_and_b32_e32 v69, v69, v219
	v_not_b32_e32 v74, v75
	v_ashrrev_i32_e32 v72, 31, v72
	v_xor_b32_e32 v71, s16, v71
	v_cmp_gt_i32_e64 s16, 0, v75
	v_and_b32_e32 v69, v69, v70
	v_not_b32_e32 v70, v218
	v_ashrrev_i32_e32 v74, 31, v74
	v_xor_b32_e32 v72, vcc_lo, v72
	v_cmp_gt_i32_e32 vcc_lo, 0, v218
	v_and_b32_e32 v69, v69, v71
	v_not_b32_e32 v71, v73
	v_ashrrev_i32_e32 v70, 31, v70
	v_xor_b32_e32 v74, s16, v74
	v_mul_u32_u24_e32 v68, 9, v68
	v_and_b32_e32 v69, v69, v72
	v_cmp_gt_i32_e64 s16, 0, v73
	v_ashrrev_i32_e32 v71, 31, v71
	v_xor_b32_e32 v70, vcc_lo, v70
	v_add_lshl_u32 v72, v68, v158, 2
	v_and_b32_e32 v69, v69, v74
	s_delay_alu instid0(VALU_DEP_4) | instskip(SKIP_3) | instid1(VALU_DEP_2)
	v_xor_b32_e32 v68, s16, v71
	ds_load_b32 v218, v72 offset:1056
	v_and_b32_e32 v69, v69, v70
	v_add_nc_u32_e32 v220, 0x420, v72
	; wave barrier
	v_and_b32_e32 v68, v69, v68
	s_delay_alu instid0(VALU_DEP_1) | instskip(SKIP_1) | instid1(VALU_DEP_2)
	v_mbcnt_lo_u32_b32 v219, v68, 0
	v_cmp_ne_u32_e64 s16, 0, v68
	v_cmp_eq_u32_e32 vcc_lo, 0, v219
	s_delay_alu instid0(VALU_DEP_2) | instskip(NEXT) | instid1(SALU_CYCLE_1)
	s_and_b32 s17, s16, vcc_lo
	s_and_saveexec_b32 s16, s17
	s_cbranch_execz .LBB1229_1048
; %bb.1047:                             ;   in Loop: Header=BB1229_982 Depth=2
	s_waitcnt lgkmcnt(0)
	v_bcnt_u32_b32 v68, v68, v218
	ds_store_b32 v220, v68
.LBB1229_1048:                          ;   in Loop: Header=BB1229_982 Depth=2
	s_or_b32 exec_lo, exec_lo, s16
	v_cmp_lt_i64_e32 vcc_lo, -1, v[42:43]
	v_ashrrev_i32_e32 v69, 31, v43
	; wave barrier
	s_delay_alu instid0(VALU_DEP_1) | instskip(SKIP_1) | instid1(VALU_DEP_1)
	v_xor_b32_e32 v42, v69, v42
	v_cndmask_b32_e64 v68, -1, 0x80000000, vcc_lo
	v_xor_b32_e32 v43, v68, v43
	s_delay_alu instid0(VALU_DEP_1) | instskip(SKIP_2) | instid1(VALU_DEP_1)
	v_cmp_ne_u64_e32 vcc_lo, s[40:41], v[42:43]
	v_cndmask_b32_e32 v69, 0x80000000, v43, vcc_lo
	v_cndmask_b32_e32 v68, 0, v42, vcc_lo
	v_lshrrev_b64 v[68:69], s42, v[68:69]
	s_delay_alu instid0(VALU_DEP_1) | instskip(NEXT) | instid1(VALU_DEP_1)
	v_and_b32_e32 v68, s50, v68
	v_and_b32_e32 v69, 1, v68
	v_lshlrev_b32_e32 v70, 30, v68
	v_lshlrev_b32_e32 v71, 29, v68
	;; [unrolled: 1-line block ×4, first 2 shown]
	v_add_co_u32 v69, s16, v69, -1
	s_delay_alu instid0(VALU_DEP_1)
	v_cndmask_b32_e64 v73, 0, 1, s16
	v_not_b32_e32 v222, v70
	v_cmp_gt_i32_e64 s16, 0, v70
	v_not_b32_e32 v70, v71
	v_lshlrev_b32_e32 v75, 26, v68
	v_cmp_ne_u32_e32 vcc_lo, 0, v73
	v_ashrrev_i32_e32 v222, 31, v222
	v_lshlrev_b32_e32 v221, 25, v68
	v_ashrrev_i32_e32 v70, 31, v70
	v_lshlrev_b32_e32 v73, 24, v68
	v_xor_b32_e32 v69, vcc_lo, v69
	v_cmp_gt_i32_e32 vcc_lo, 0, v71
	v_not_b32_e32 v71, v72
	v_xor_b32_e32 v222, s16, v222
	v_cmp_gt_i32_e64 s16, 0, v72
	v_and_b32_e32 v69, exec_lo, v69
	v_not_b32_e32 v72, v74
	v_ashrrev_i32_e32 v71, 31, v71
	v_xor_b32_e32 v70, vcc_lo, v70
	v_cmp_gt_i32_e32 vcc_lo, 0, v74
	v_and_b32_e32 v69, v69, v222
	v_not_b32_e32 v74, v75
	v_ashrrev_i32_e32 v72, 31, v72
	v_xor_b32_e32 v71, s16, v71
	v_cmp_gt_i32_e64 s16, 0, v75
	v_and_b32_e32 v69, v69, v70
	v_not_b32_e32 v70, v221
	v_ashrrev_i32_e32 v74, 31, v74
	v_xor_b32_e32 v72, vcc_lo, v72
	v_cmp_gt_i32_e32 vcc_lo, 0, v221
	v_and_b32_e32 v69, v69, v71
	v_not_b32_e32 v71, v73
	v_ashrrev_i32_e32 v70, 31, v70
	v_xor_b32_e32 v74, s16, v74
	v_mul_u32_u24_e32 v68, 9, v68
	v_and_b32_e32 v69, v69, v72
	v_cmp_gt_i32_e64 s16, 0, v73
	v_ashrrev_i32_e32 v71, 31, v71
	v_xor_b32_e32 v70, vcc_lo, v70
	v_add_lshl_u32 v72, v68, v158, 2
	v_and_b32_e32 v69, v69, v74
	s_delay_alu instid0(VALU_DEP_4) | instskip(SKIP_3) | instid1(VALU_DEP_2)
	v_xor_b32_e32 v68, s16, v71
	ds_load_b32 v221, v72 offset:1056
	v_and_b32_e32 v69, v69, v70
	v_add_nc_u32_e32 v223, 0x420, v72
	; wave barrier
	v_and_b32_e32 v68, v69, v68
	s_delay_alu instid0(VALU_DEP_1) | instskip(SKIP_1) | instid1(VALU_DEP_2)
	v_mbcnt_lo_u32_b32 v222, v68, 0
	v_cmp_ne_u32_e64 s16, 0, v68
	v_cmp_eq_u32_e32 vcc_lo, 0, v222
	s_delay_alu instid0(VALU_DEP_2) | instskip(NEXT) | instid1(SALU_CYCLE_1)
	s_and_b32 s17, s16, vcc_lo
	s_and_saveexec_b32 s16, s17
	s_cbranch_execz .LBB1229_1050
; %bb.1049:                             ;   in Loop: Header=BB1229_982 Depth=2
	s_waitcnt lgkmcnt(0)
	v_bcnt_u32_b32 v68, v68, v221
	ds_store_b32 v223, v68
.LBB1229_1050:                          ;   in Loop: Header=BB1229_982 Depth=2
	s_or_b32 exec_lo, exec_lo, s16
	; wave barrier
	s_waitcnt lgkmcnt(0)
	s_barrier
	buffer_gl0_inv
	ds_load_b32 v224, v102 offset:1056
	ds_load_2addr_b32 v[74:75], v103 offset0:1 offset1:2
	ds_load_2addr_b32 v[72:73], v103 offset0:3 offset1:4
	;; [unrolled: 1-line block ×4, first 2 shown]
	s_waitcnt lgkmcnt(3)
	v_add3_u32 v225, v74, v224, v75
	s_waitcnt lgkmcnt(2)
	s_delay_alu instid0(VALU_DEP_1) | instskip(SKIP_1) | instid1(VALU_DEP_1)
	v_add3_u32 v225, v225, v72, v73
	s_waitcnt lgkmcnt(1)
	v_add3_u32 v225, v225, v68, v69
	s_waitcnt lgkmcnt(0)
	s_delay_alu instid0(VALU_DEP_1) | instskip(NEXT) | instid1(VALU_DEP_1)
	v_add3_u32 v71, v225, v70, v71
	v_mov_b32_dpp v225, v71 row_shr:1 row_mask:0xf bank_mask:0xf
	s_delay_alu instid0(VALU_DEP_1) | instskip(NEXT) | instid1(VALU_DEP_1)
	v_cndmask_b32_e64 v225, v225, 0, s1
	v_add_nc_u32_e32 v71, v225, v71
	s_delay_alu instid0(VALU_DEP_1) | instskip(NEXT) | instid1(VALU_DEP_1)
	v_mov_b32_dpp v225, v71 row_shr:2 row_mask:0xf bank_mask:0xf
	v_cndmask_b32_e64 v225, 0, v225, s7
	s_delay_alu instid0(VALU_DEP_1) | instskip(NEXT) | instid1(VALU_DEP_1)
	v_add_nc_u32_e32 v71, v71, v225
	v_mov_b32_dpp v225, v71 row_shr:4 row_mask:0xf bank_mask:0xf
	s_delay_alu instid0(VALU_DEP_1) | instskip(NEXT) | instid1(VALU_DEP_1)
	v_cndmask_b32_e64 v225, 0, v225, s8
	v_add_nc_u32_e32 v71, v71, v225
	s_delay_alu instid0(VALU_DEP_1) | instskip(NEXT) | instid1(VALU_DEP_1)
	v_mov_b32_dpp v225, v71 row_shr:8 row_mask:0xf bank_mask:0xf
	v_cndmask_b32_e64 v225, 0, v225, s9
	s_delay_alu instid0(VALU_DEP_1) | instskip(SKIP_3) | instid1(VALU_DEP_1)
	v_add_nc_u32_e32 v71, v71, v225
	ds_swizzle_b32 v225, v71 offset:swizzle(BROADCAST,32,15)
	s_waitcnt lgkmcnt(0)
	v_cndmask_b32_e64 v225, v225, 0, s10
	v_add_nc_u32_e32 v71, v71, v225
	s_and_saveexec_b32 s16, s3
	s_cbranch_execz .LBB1229_1052
; %bb.1051:                             ;   in Loop: Header=BB1229_982 Depth=2
	ds_store_b32 v94, v71 offset:1024
.LBB1229_1052:                          ;   in Loop: Header=BB1229_982 Depth=2
	s_or_b32 exec_lo, exec_lo, s16
	s_waitcnt lgkmcnt(0)
	s_barrier
	buffer_gl0_inv
	s_and_saveexec_b32 s16, s4
	s_cbranch_execz .LBB1229_1054
; %bb.1053:                             ;   in Loop: Header=BB1229_982 Depth=2
	ds_load_b32 v225, v104 offset:1024
	s_waitcnt lgkmcnt(0)
	v_mov_b32_dpp v226, v225 row_shr:1 row_mask:0xf bank_mask:0xf
	s_delay_alu instid0(VALU_DEP_1) | instskip(NEXT) | instid1(VALU_DEP_1)
	v_cndmask_b32_e64 v226, v226, 0, s12
	v_add_nc_u32_e32 v225, v226, v225
	s_delay_alu instid0(VALU_DEP_1) | instskip(NEXT) | instid1(VALU_DEP_1)
	v_mov_b32_dpp v226, v225 row_shr:2 row_mask:0xf bank_mask:0xf
	v_cndmask_b32_e64 v226, 0, v226, s13
	s_delay_alu instid0(VALU_DEP_1) | instskip(NEXT) | instid1(VALU_DEP_1)
	v_add_nc_u32_e32 v225, v225, v226
	v_mov_b32_dpp v226, v225 row_shr:4 row_mask:0xf bank_mask:0xf
	s_delay_alu instid0(VALU_DEP_1) | instskip(NEXT) | instid1(VALU_DEP_1)
	v_cndmask_b32_e64 v226, 0, v226, s14
	v_add_nc_u32_e32 v225, v225, v226
	ds_store_b32 v104, v225 offset:1024
.LBB1229_1054:                          ;   in Loop: Header=BB1229_982 Depth=2
	s_or_b32 exec_lo, exec_lo, s16
	v_mov_b32_e32 v225, 0
	s_waitcnt lgkmcnt(0)
	s_barrier
	buffer_gl0_inv
	s_and_saveexec_b32 s16, s5
	s_cbranch_execz .LBB1229_1056
; %bb.1055:                             ;   in Loop: Header=BB1229_982 Depth=2
	ds_load_b32 v225, v94 offset:1020
.LBB1229_1056:                          ;   in Loop: Header=BB1229_982 Depth=2
	s_or_b32 exec_lo, exec_lo, s16
	s_waitcnt lgkmcnt(0)
	v_add_nc_u32_e32 v71, v225, v71
	ds_bpermute_b32 v71, v137, v71
	s_waitcnt lgkmcnt(0)
	v_cndmask_b32_e64 v71, v71, v225, s11
	s_delay_alu instid0(VALU_DEP_1) | instskip(NEXT) | instid1(VALU_DEP_1)
	v_cndmask_b32_e64 v71, v71, 0, s0
	v_add_nc_u32_e32 v224, v71, v224
	s_delay_alu instid0(VALU_DEP_1) | instskip(NEXT) | instid1(VALU_DEP_1)
	v_add_nc_u32_e32 v74, v224, v74
	v_add_nc_u32_e32 v75, v74, v75
	s_delay_alu instid0(VALU_DEP_1) | instskip(NEXT) | instid1(VALU_DEP_1)
	v_add_nc_u32_e32 v72, v75, v72
	;; [unrolled: 3-line block ×3, first 2 shown]
	v_add_nc_u32_e32 v69, v68, v69
	s_delay_alu instid0(VALU_DEP_1)
	v_add_nc_u32_e32 v70, v69, v70
	ds_store_b32 v102, v71 offset:1056
	ds_store_2addr_b32 v103, v224, v74 offset0:1 offset1:2
	ds_store_2addr_b32 v103, v75, v72 offset0:3 offset1:4
	;; [unrolled: 1-line block ×4, first 2 shown]
	v_mov_b32_e32 v68, 0x1000
	s_waitcnt lgkmcnt(0)
	s_barrier
	buffer_gl0_inv
	ds_load_b32 v70, v181
	ds_load_b32 v71, v184
	ds_load_b32 v72, v187
	ds_load_b32 v73, v190
	ds_load_b32 v225, v193
	ds_load_b32 v224, v196
	ds_load_b32 v199, v199
	ds_load_b32 v196, v202
	ds_load_b32 v193, v205
	ds_load_b32 v190, v208
	ds_load_b32 v187, v211
	ds_load_b32 v184, v214
	ds_load_b32 v181, v217
	ds_load_b32 v75, v220
	ds_load_b32 v74, v223
	ds_load_b32 v69, v178
	ds_load_b32 v178, v102 offset:1056
	s_and_saveexec_b32 s16, s6
	s_cbranch_execz .LBB1229_1058
; %bb.1057:                             ;   in Loop: Header=BB1229_982 Depth=2
	ds_load_b32 v68, v105 offset:1056
.LBB1229_1058:                          ;   in Loop: Header=BB1229_982 Depth=2
	s_or_b32 exec_lo, exec_lo, s16
	s_waitcnt lgkmcnt(0)
	s_barrier
	buffer_gl0_inv
	s_and_saveexec_b32 s16, s2
	s_cbranch_execz .LBB1229_1060
; %bb.1059:                             ;   in Loop: Header=BB1229_982 Depth=2
	ds_load_b32 v202, v76
	s_waitcnt lgkmcnt(0)
	v_sub_nc_u32_e32 v178, v202, v178
	ds_store_b32 v76, v178
.LBB1229_1060:                          ;   in Loop: Header=BB1229_982 Depth=2
	s_or_b32 exec_lo, exec_lo, s16
	v_add_nc_u32_e32 v179, v180, v179
	v_add_nc_u32_e32 v180, v183, v182
	v_add_lshl_u32 v69, v69, v2, 3
	v_add_nc_u32_e32 v2, v186, v185
	v_add_nc_u32_e32 v191, v192, v191
	;; [unrolled: 1-line block ×3, first 2 shown]
	v_add_lshl_u32 v70, v179, v70, 3
	v_add_lshl_u32 v71, v180, v71, 3
	v_add_nc_u32_e32 v209, v210, v209
	v_add_nc_u32_e32 v206, v207, v206
	;; [unrolled: 1-line block ×4, first 2 shown]
	v_add_lshl_u32 v72, v2, v72, 3
	v_add_nc_u32_e32 v208, v213, v212
	v_add_nc_u32_e32 v203, v204, v203
	;; [unrolled: 1-line block ×3, first 2 shown]
	ds_store_b64 v69, v[36:37] offset:1024
	v_add_lshl_u32 v73, v182, v73, 3
	ds_store_b64 v70, v[38:39] offset:1024
	ds_store_b64 v71, v[44:45] offset:1024
	v_add_lshl_u32 v39, v191, v225, 3
	v_add_nc_u32_e32 v178, v222, v221
	v_add_nc_u32_e32 v202, v219, v218
	;; [unrolled: 1-line block ×3, first 2 shown]
	ds_store_b64 v72, v[48:49] offset:1024
	ds_store_b64 v73, v[52:53] offset:1024
	v_add_lshl_u32 v44, v194, v224, 3
	v_add_lshl_u32 v48, v200, v196, 3
	;; [unrolled: 1-line block ×5, first 2 shown]
	ds_store_b64 v39, v[58:59] offset:1024
	v_add_lshl_u32 v49, v203, v193, 3
	v_add_lshl_u32 v58, v208, v184, 3
	ds_store_b64 v44, v[62:63] offset:1024
	ds_store_b64 v45, v[66:67] offset:1024
	;; [unrolled: 1-line block ×5, first 2 shown]
	v_add_lshl_u32 v56, v205, v181, 3
	v_add_lshl_u32 v57, v202, v75, 3
	ds_store_b64 v53, v[54:55] offset:1024
	ds_store_b64 v58, v[50:51] offset:1024
	v_add_lshl_u32 v50, v178, v74, 3
	v_cmp_lt_u32_e32 vcc_lo, v1, v177
	v_add_nc_u32_e32 v38, v104, v76
	ds_store_b64 v56, v[46:47] offset:1024
	ds_store_b64 v57, v[40:41] offset:1024
	;; [unrolled: 1-line block ×3, first 2 shown]
	s_waitcnt lgkmcnt(0)
	s_barrier
	buffer_gl0_inv
	s_and_saveexec_b32 s17, vcc_lo
	s_cbranch_execz .LBB1229_1076
; %bb.1061:                             ;   in Loop: Header=BB1229_982 Depth=2
	ds_load_b64 v[36:37], v38 offset:1024
	s_waitcnt lgkmcnt(0)
	v_cmp_ne_u64_e64 s16, s[40:41], v[36:37]
	s_delay_alu instid0(VALU_DEP_1) | instskip(SKIP_2) | instid1(VALU_DEP_2)
	v_cndmask_b32_e64 v41, 0x80000000, v37, s16
	v_cndmask_b32_e64 v40, 0, v36, s16
	v_cmp_lt_i64_e64 s16, -1, v[36:37]
	v_lshrrev_b64 v[40:41], s42, v[40:41]
	s_delay_alu instid0(VALU_DEP_2) | instskip(NEXT) | instid1(VALU_DEP_2)
	v_cndmask_b32_e64 v42, 0x80000000, -1, s16
	v_and_b32_e32 v2, s50, v40
	v_ashrrev_i32_e32 v40, 31, v37
	s_delay_alu instid0(VALU_DEP_3) | instskip(NEXT) | instid1(VALU_DEP_3)
	v_xor_b32_e32 v37, v42, v37
	v_lshlrev_b32_e32 v2, 2, v2
	s_delay_alu instid0(VALU_DEP_3) | instskip(SKIP_4) | instid1(VALU_DEP_1)
	v_not_b32_e32 v43, v40
	ds_load_b32 v2, v2
	v_xor_b32_e32 v36, v43, v36
	s_waitcnt lgkmcnt(0)
	v_add_nc_u32_e32 v2, v2, v1
	v_lshlrev_b64 v[40:41], 3, v[2:3]
	s_delay_alu instid0(VALU_DEP_1) | instskip(NEXT) | instid1(VALU_DEP_1)
	v_add_co_u32 v40, s16, s48, v40
	v_add_co_ci_u32_e64 v41, s16, s49, v41, s16
	global_store_b64 v[40:41], v[36:37], off
	s_or_b32 exec_lo, exec_lo, s17
	v_cmp_lt_u32_e64 s16, v77, v177
	s_delay_alu instid0(VALU_DEP_1)
	s_and_saveexec_b32 s18, s16
	s_cbranch_execnz .LBB1229_1077
.LBB1229_1062:                          ;   in Loop: Header=BB1229_982 Depth=2
	s_or_b32 exec_lo, exec_lo, s18
	v_cmp_lt_u32_e64 s17, v78, v177
	s_delay_alu instid0(VALU_DEP_1)
	s_and_saveexec_b32 s19, s17
	s_cbranch_execz .LBB1229_1078
.LBB1229_1063:                          ;   in Loop: Header=BB1229_982 Depth=2
	ds_load_b64 v[36:37], v110 offset:4096
	s_waitcnt lgkmcnt(0)
	v_cmp_ne_u64_e64 s18, s[40:41], v[36:37]
	s_delay_alu instid0(VALU_DEP_1) | instskip(SKIP_2) | instid1(VALU_DEP_2)
	v_cndmask_b32_e64 v41, 0x80000000, v37, s18
	v_cndmask_b32_e64 v40, 0, v36, s18
	v_cmp_lt_i64_e64 s18, -1, v[36:37]
	v_lshrrev_b64 v[40:41], s42, v[40:41]
	s_delay_alu instid0(VALU_DEP_2) | instskip(NEXT) | instid1(VALU_DEP_2)
	v_cndmask_b32_e64 v42, 0x80000000, -1, s18
	v_and_b32_e32 v2, s50, v40
	v_ashrrev_i32_e32 v40, 31, v37
	s_delay_alu instid0(VALU_DEP_3) | instskip(NEXT) | instid1(VALU_DEP_3)
	v_xor_b32_e32 v37, v42, v37
	v_lshlrev_b32_e32 v2, 2, v2
	s_delay_alu instid0(VALU_DEP_3) | instskip(SKIP_4) | instid1(VALU_DEP_1)
	v_not_b32_e32 v43, v40
	ds_load_b32 v2, v2
	v_xor_b32_e32 v36, v43, v36
	s_waitcnt lgkmcnt(0)
	v_add_nc_u32_e32 v2, v2, v78
	v_lshlrev_b64 v[40:41], 3, v[2:3]
	s_delay_alu instid0(VALU_DEP_1) | instskip(NEXT) | instid1(VALU_DEP_1)
	v_add_co_u32 v40, s18, s48, v40
	v_add_co_ci_u32_e64 v41, s18, s49, v41, s18
	global_store_b64 v[40:41], v[36:37], off
	s_or_b32 exec_lo, exec_lo, s19
	v_cmp_lt_u32_e64 s18, v79, v177
	s_delay_alu instid0(VALU_DEP_1)
	s_and_saveexec_b32 s20, s18
	s_cbranch_execnz .LBB1229_1079
.LBB1229_1064:                          ;   in Loop: Header=BB1229_982 Depth=2
	s_or_b32 exec_lo, exec_lo, s20
	v_cmp_lt_u32_e64 s19, v83, v177
	s_delay_alu instid0(VALU_DEP_1)
	s_and_saveexec_b32 s21, s19
	s_cbranch_execz .LBB1229_1080
.LBB1229_1065:                          ;   in Loop: Header=BB1229_982 Depth=2
	ds_load_b64 v[36:37], v110 offset:8192
	s_waitcnt lgkmcnt(0)
	v_cmp_ne_u64_e64 s20, s[40:41], v[36:37]
	s_delay_alu instid0(VALU_DEP_1) | instskip(SKIP_2) | instid1(VALU_DEP_2)
	v_cndmask_b32_e64 v41, 0x80000000, v37, s20
	v_cndmask_b32_e64 v40, 0, v36, s20
	v_cmp_lt_i64_e64 s20, -1, v[36:37]
	v_lshrrev_b64 v[40:41], s42, v[40:41]
	s_delay_alu instid0(VALU_DEP_2) | instskip(NEXT) | instid1(VALU_DEP_2)
	v_cndmask_b32_e64 v42, 0x80000000, -1, s20
	v_and_b32_e32 v2, s50, v40
	v_ashrrev_i32_e32 v40, 31, v37
	s_delay_alu instid0(VALU_DEP_3) | instskip(NEXT) | instid1(VALU_DEP_3)
	v_xor_b32_e32 v37, v42, v37
	v_lshlrev_b32_e32 v2, 2, v2
	s_delay_alu instid0(VALU_DEP_3) | instskip(SKIP_4) | instid1(VALU_DEP_1)
	v_not_b32_e32 v43, v40
	ds_load_b32 v2, v2
	v_xor_b32_e32 v36, v43, v36
	s_waitcnt lgkmcnt(0)
	v_add_nc_u32_e32 v2, v2, v83
	v_lshlrev_b64 v[40:41], 3, v[2:3]
	s_delay_alu instid0(VALU_DEP_1) | instskip(NEXT) | instid1(VALU_DEP_1)
	v_add_co_u32 v40, s20, s48, v40
	v_add_co_ci_u32_e64 v41, s20, s49, v41, s20
	global_store_b64 v[40:41], v[36:37], off
	s_or_b32 exec_lo, exec_lo, s21
	v_cmp_lt_u32_e64 s20, v84, v177
	s_delay_alu instid0(VALU_DEP_1)
	s_and_saveexec_b32 s22, s20
	s_cbranch_execnz .LBB1229_1081
.LBB1229_1066:                          ;   in Loop: Header=BB1229_982 Depth=2
	s_or_b32 exec_lo, exec_lo, s22
	v_cmp_lt_u32_e64 s21, v85, v177
	s_delay_alu instid0(VALU_DEP_1)
	s_and_saveexec_b32 s23, s21
	s_cbranch_execz .LBB1229_1082
.LBB1229_1067:                          ;   in Loop: Header=BB1229_982 Depth=2
	ds_load_b64 v[36:37], v110 offset:12288
	s_waitcnt lgkmcnt(0)
	v_cmp_ne_u64_e64 s22, s[40:41], v[36:37]
	s_delay_alu instid0(VALU_DEP_1) | instskip(SKIP_2) | instid1(VALU_DEP_2)
	v_cndmask_b32_e64 v41, 0x80000000, v37, s22
	v_cndmask_b32_e64 v40, 0, v36, s22
	v_cmp_lt_i64_e64 s22, -1, v[36:37]
	v_lshrrev_b64 v[40:41], s42, v[40:41]
	s_delay_alu instid0(VALU_DEP_2) | instskip(NEXT) | instid1(VALU_DEP_2)
	v_cndmask_b32_e64 v42, 0x80000000, -1, s22
	v_and_b32_e32 v2, s50, v40
	v_ashrrev_i32_e32 v40, 31, v37
	s_delay_alu instid0(VALU_DEP_3) | instskip(NEXT) | instid1(VALU_DEP_3)
	v_xor_b32_e32 v37, v42, v37
	v_lshlrev_b32_e32 v2, 2, v2
	s_delay_alu instid0(VALU_DEP_3) | instskip(SKIP_4) | instid1(VALU_DEP_1)
	v_not_b32_e32 v43, v40
	ds_load_b32 v2, v2
	v_xor_b32_e32 v36, v43, v36
	s_waitcnt lgkmcnt(0)
	v_add_nc_u32_e32 v2, v2, v85
	v_lshlrev_b64 v[40:41], 3, v[2:3]
	s_delay_alu instid0(VALU_DEP_1) | instskip(NEXT) | instid1(VALU_DEP_1)
	v_add_co_u32 v40, s22, s48, v40
	v_add_co_ci_u32_e64 v41, s22, s49, v41, s22
	global_store_b64 v[40:41], v[36:37], off
	s_or_b32 exec_lo, exec_lo, s23
	v_cmp_lt_u32_e64 s22, v86, v177
	s_delay_alu instid0(VALU_DEP_1)
	s_and_saveexec_b32 s24, s22
	s_cbranch_execnz .LBB1229_1083
.LBB1229_1068:                          ;   in Loop: Header=BB1229_982 Depth=2
	s_or_b32 exec_lo, exec_lo, s24
	v_cmp_lt_u32_e64 s23, v87, v177
	s_delay_alu instid0(VALU_DEP_1)
	s_and_saveexec_b32 s25, s23
	s_cbranch_execz .LBB1229_1084
.LBB1229_1069:                          ;   in Loop: Header=BB1229_982 Depth=2
	ds_load_b64 v[36:37], v110 offset:16384
	s_waitcnt lgkmcnt(0)
	v_cmp_ne_u64_e64 s24, s[40:41], v[36:37]
	s_delay_alu instid0(VALU_DEP_1) | instskip(SKIP_2) | instid1(VALU_DEP_2)
	v_cndmask_b32_e64 v41, 0x80000000, v37, s24
	v_cndmask_b32_e64 v40, 0, v36, s24
	v_cmp_lt_i64_e64 s24, -1, v[36:37]
	v_lshrrev_b64 v[40:41], s42, v[40:41]
	s_delay_alu instid0(VALU_DEP_2) | instskip(NEXT) | instid1(VALU_DEP_2)
	v_cndmask_b32_e64 v42, 0x80000000, -1, s24
	v_and_b32_e32 v2, s50, v40
	v_ashrrev_i32_e32 v40, 31, v37
	s_delay_alu instid0(VALU_DEP_3) | instskip(NEXT) | instid1(VALU_DEP_3)
	v_xor_b32_e32 v37, v42, v37
	v_lshlrev_b32_e32 v2, 2, v2
	s_delay_alu instid0(VALU_DEP_3) | instskip(SKIP_4) | instid1(VALU_DEP_1)
	v_not_b32_e32 v43, v40
	ds_load_b32 v2, v2
	v_xor_b32_e32 v36, v43, v36
	s_waitcnt lgkmcnt(0)
	v_add_nc_u32_e32 v2, v2, v87
	v_lshlrev_b64 v[40:41], 3, v[2:3]
	s_delay_alu instid0(VALU_DEP_1) | instskip(NEXT) | instid1(VALU_DEP_1)
	v_add_co_u32 v40, s24, s48, v40
	v_add_co_ci_u32_e64 v41, s24, s49, v41, s24
	global_store_b64 v[40:41], v[36:37], off
	s_or_b32 exec_lo, exec_lo, s25
	v_cmp_lt_u32_e64 s24, v88, v177
	s_delay_alu instid0(VALU_DEP_1)
	s_and_saveexec_b32 s26, s24
	s_cbranch_execnz .LBB1229_1085
.LBB1229_1070:                          ;   in Loop: Header=BB1229_982 Depth=2
	s_or_b32 exec_lo, exec_lo, s26
	v_cmp_lt_u32_e64 s25, v89, v177
	s_delay_alu instid0(VALU_DEP_1)
	s_and_saveexec_b32 s27, s25
	s_cbranch_execz .LBB1229_1086
.LBB1229_1071:                          ;   in Loop: Header=BB1229_982 Depth=2
	ds_load_b64 v[36:37], v110 offset:20480
	s_waitcnt lgkmcnt(0)
	v_cmp_ne_u64_e64 s26, s[40:41], v[36:37]
	s_delay_alu instid0(VALU_DEP_1) | instskip(SKIP_2) | instid1(VALU_DEP_2)
	v_cndmask_b32_e64 v41, 0x80000000, v37, s26
	v_cndmask_b32_e64 v40, 0, v36, s26
	v_cmp_lt_i64_e64 s26, -1, v[36:37]
	v_lshrrev_b64 v[40:41], s42, v[40:41]
	s_delay_alu instid0(VALU_DEP_2) | instskip(NEXT) | instid1(VALU_DEP_2)
	v_cndmask_b32_e64 v42, 0x80000000, -1, s26
	v_and_b32_e32 v2, s50, v40
	v_ashrrev_i32_e32 v40, 31, v37
	s_delay_alu instid0(VALU_DEP_3) | instskip(NEXT) | instid1(VALU_DEP_3)
	v_xor_b32_e32 v37, v42, v37
	v_lshlrev_b32_e32 v2, 2, v2
	s_delay_alu instid0(VALU_DEP_3) | instskip(SKIP_4) | instid1(VALU_DEP_1)
	v_not_b32_e32 v43, v40
	ds_load_b32 v2, v2
	v_xor_b32_e32 v36, v43, v36
	s_waitcnt lgkmcnt(0)
	v_add_nc_u32_e32 v2, v2, v89
	v_lshlrev_b64 v[40:41], 3, v[2:3]
	s_delay_alu instid0(VALU_DEP_1) | instskip(NEXT) | instid1(VALU_DEP_1)
	v_add_co_u32 v40, s26, s48, v40
	v_add_co_ci_u32_e64 v41, s26, s49, v41, s26
	global_store_b64 v[40:41], v[36:37], off
	s_or_b32 exec_lo, exec_lo, s27
	v_cmp_lt_u32_e64 s26, v90, v177
	s_delay_alu instid0(VALU_DEP_1)
	s_and_saveexec_b32 s28, s26
	s_cbranch_execnz .LBB1229_1087
.LBB1229_1072:                          ;   in Loop: Header=BB1229_982 Depth=2
	s_or_b32 exec_lo, exec_lo, s28
	v_cmp_lt_u32_e64 s27, v91, v177
	s_delay_alu instid0(VALU_DEP_1)
	s_and_saveexec_b32 s29, s27
	s_cbranch_execz .LBB1229_1088
.LBB1229_1073:                          ;   in Loop: Header=BB1229_982 Depth=2
	ds_load_b64 v[36:37], v110 offset:24576
	s_waitcnt lgkmcnt(0)
	v_cmp_ne_u64_e64 s28, s[40:41], v[36:37]
	s_delay_alu instid0(VALU_DEP_1) | instskip(SKIP_2) | instid1(VALU_DEP_2)
	v_cndmask_b32_e64 v41, 0x80000000, v37, s28
	v_cndmask_b32_e64 v40, 0, v36, s28
	v_cmp_lt_i64_e64 s28, -1, v[36:37]
	v_lshrrev_b64 v[40:41], s42, v[40:41]
	s_delay_alu instid0(VALU_DEP_2) | instskip(NEXT) | instid1(VALU_DEP_2)
	v_cndmask_b32_e64 v42, 0x80000000, -1, s28
	v_and_b32_e32 v2, s50, v40
	v_ashrrev_i32_e32 v40, 31, v37
	s_delay_alu instid0(VALU_DEP_3) | instskip(NEXT) | instid1(VALU_DEP_3)
	v_xor_b32_e32 v37, v42, v37
	v_lshlrev_b32_e32 v2, 2, v2
	s_delay_alu instid0(VALU_DEP_3) | instskip(SKIP_4) | instid1(VALU_DEP_1)
	v_not_b32_e32 v43, v40
	ds_load_b32 v2, v2
	v_xor_b32_e32 v36, v43, v36
	s_waitcnt lgkmcnt(0)
	v_add_nc_u32_e32 v2, v2, v91
	v_lshlrev_b64 v[40:41], 3, v[2:3]
	s_delay_alu instid0(VALU_DEP_1) | instskip(NEXT) | instid1(VALU_DEP_1)
	v_add_co_u32 v40, s28, s48, v40
	v_add_co_ci_u32_e64 v41, s28, s49, v41, s28
	global_store_b64 v[40:41], v[36:37], off
	s_or_b32 exec_lo, exec_lo, s29
	v_cmp_lt_u32_e64 s28, v92, v177
	s_delay_alu instid0(VALU_DEP_1)
	s_and_saveexec_b32 s30, s28
	s_cbranch_execnz .LBB1229_1089
.LBB1229_1074:                          ;   in Loop: Header=BB1229_982 Depth=2
	s_or_b32 exec_lo, exec_lo, s30
	v_cmp_lt_u32_e64 s29, v93, v177
	s_delay_alu instid0(VALU_DEP_1)
	s_and_saveexec_b32 s31, s29
	s_cbranch_execz .LBB1229_1090
.LBB1229_1075:                          ;   in Loop: Header=BB1229_982 Depth=2
	ds_load_b64 v[36:37], v110 offset:28672
	s_waitcnt lgkmcnt(0)
	v_cmp_ne_u64_e64 s30, s[40:41], v[36:37]
	s_delay_alu instid0(VALU_DEP_1) | instskip(SKIP_2) | instid1(VALU_DEP_2)
	v_cndmask_b32_e64 v41, 0x80000000, v37, s30
	v_cndmask_b32_e64 v40, 0, v36, s30
	v_cmp_lt_i64_e64 s30, -1, v[36:37]
	v_lshrrev_b64 v[40:41], s42, v[40:41]
	s_delay_alu instid0(VALU_DEP_2) | instskip(NEXT) | instid1(VALU_DEP_2)
	v_cndmask_b32_e64 v42, 0x80000000, -1, s30
	v_and_b32_e32 v2, s50, v40
	v_ashrrev_i32_e32 v40, 31, v37
	s_delay_alu instid0(VALU_DEP_3) | instskip(NEXT) | instid1(VALU_DEP_3)
	v_xor_b32_e32 v37, v42, v37
	v_lshlrev_b32_e32 v2, 2, v2
	s_delay_alu instid0(VALU_DEP_3) | instskip(SKIP_4) | instid1(VALU_DEP_1)
	v_not_b32_e32 v43, v40
	ds_load_b32 v2, v2
	v_xor_b32_e32 v36, v43, v36
	s_waitcnt lgkmcnt(0)
	v_add_nc_u32_e32 v2, v2, v93
	v_lshlrev_b64 v[40:41], 3, v[2:3]
	s_delay_alu instid0(VALU_DEP_1) | instskip(NEXT) | instid1(VALU_DEP_1)
	v_add_co_u32 v40, s30, s48, v40
	v_add_co_ci_u32_e64 v41, s30, s49, v41, s30
	global_store_b64 v[40:41], v[36:37], off
	s_or_b32 exec_lo, exec_lo, s31
	v_cmp_lt_u32_e64 s30, v95, v177
	s_delay_alu instid0(VALU_DEP_1)
	s_and_saveexec_b32 s60, s30
	s_cbranch_execnz .LBB1229_1091
	s_branch .LBB1229_1092
.LBB1229_1076:                          ;   in Loop: Header=BB1229_982 Depth=2
	s_or_b32 exec_lo, exec_lo, s17
	v_cmp_lt_u32_e64 s16, v77, v177
	s_delay_alu instid0(VALU_DEP_1)
	s_and_saveexec_b32 s18, s16
	s_cbranch_execz .LBB1229_1062
.LBB1229_1077:                          ;   in Loop: Header=BB1229_982 Depth=2
	ds_load_b64 v[36:37], v110 offset:2048
	s_waitcnt lgkmcnt(0)
	v_cmp_ne_u64_e64 s17, s[40:41], v[36:37]
	s_delay_alu instid0(VALU_DEP_1) | instskip(SKIP_2) | instid1(VALU_DEP_2)
	v_cndmask_b32_e64 v41, 0x80000000, v37, s17
	v_cndmask_b32_e64 v40, 0, v36, s17
	v_cmp_lt_i64_e64 s17, -1, v[36:37]
	v_lshrrev_b64 v[40:41], s42, v[40:41]
	s_delay_alu instid0(VALU_DEP_2) | instskip(NEXT) | instid1(VALU_DEP_2)
	v_cndmask_b32_e64 v42, 0x80000000, -1, s17
	v_and_b32_e32 v2, s50, v40
	v_ashrrev_i32_e32 v40, 31, v37
	s_delay_alu instid0(VALU_DEP_3) | instskip(NEXT) | instid1(VALU_DEP_3)
	v_xor_b32_e32 v37, v42, v37
	v_lshlrev_b32_e32 v2, 2, v2
	s_delay_alu instid0(VALU_DEP_3) | instskip(SKIP_4) | instid1(VALU_DEP_1)
	v_not_b32_e32 v43, v40
	ds_load_b32 v2, v2
	v_xor_b32_e32 v36, v43, v36
	s_waitcnt lgkmcnt(0)
	v_add_nc_u32_e32 v2, v2, v77
	v_lshlrev_b64 v[40:41], 3, v[2:3]
	s_delay_alu instid0(VALU_DEP_1) | instskip(NEXT) | instid1(VALU_DEP_1)
	v_add_co_u32 v40, s17, s48, v40
	v_add_co_ci_u32_e64 v41, s17, s49, v41, s17
	global_store_b64 v[40:41], v[36:37], off
	s_or_b32 exec_lo, exec_lo, s18
	v_cmp_lt_u32_e64 s17, v78, v177
	s_delay_alu instid0(VALU_DEP_1)
	s_and_saveexec_b32 s19, s17
	s_cbranch_execnz .LBB1229_1063
.LBB1229_1078:                          ;   in Loop: Header=BB1229_982 Depth=2
	s_or_b32 exec_lo, exec_lo, s19
	v_cmp_lt_u32_e64 s18, v79, v177
	s_delay_alu instid0(VALU_DEP_1)
	s_and_saveexec_b32 s20, s18
	s_cbranch_execz .LBB1229_1064
.LBB1229_1079:                          ;   in Loop: Header=BB1229_982 Depth=2
	ds_load_b64 v[36:37], v110 offset:6144
	s_waitcnt lgkmcnt(0)
	v_cmp_ne_u64_e64 s19, s[40:41], v[36:37]
	s_delay_alu instid0(VALU_DEP_1) | instskip(SKIP_2) | instid1(VALU_DEP_2)
	v_cndmask_b32_e64 v41, 0x80000000, v37, s19
	v_cndmask_b32_e64 v40, 0, v36, s19
	v_cmp_lt_i64_e64 s19, -1, v[36:37]
	v_lshrrev_b64 v[40:41], s42, v[40:41]
	s_delay_alu instid0(VALU_DEP_2) | instskip(NEXT) | instid1(VALU_DEP_2)
	v_cndmask_b32_e64 v42, 0x80000000, -1, s19
	v_and_b32_e32 v2, s50, v40
	v_ashrrev_i32_e32 v40, 31, v37
	s_delay_alu instid0(VALU_DEP_3) | instskip(NEXT) | instid1(VALU_DEP_3)
	v_xor_b32_e32 v37, v42, v37
	v_lshlrev_b32_e32 v2, 2, v2
	s_delay_alu instid0(VALU_DEP_3) | instskip(SKIP_4) | instid1(VALU_DEP_1)
	v_not_b32_e32 v43, v40
	ds_load_b32 v2, v2
	v_xor_b32_e32 v36, v43, v36
	s_waitcnt lgkmcnt(0)
	v_add_nc_u32_e32 v2, v2, v79
	v_lshlrev_b64 v[40:41], 3, v[2:3]
	s_delay_alu instid0(VALU_DEP_1) | instskip(NEXT) | instid1(VALU_DEP_1)
	v_add_co_u32 v40, s19, s48, v40
	v_add_co_ci_u32_e64 v41, s19, s49, v41, s19
	global_store_b64 v[40:41], v[36:37], off
	s_or_b32 exec_lo, exec_lo, s20
	v_cmp_lt_u32_e64 s19, v83, v177
	s_delay_alu instid0(VALU_DEP_1)
	s_and_saveexec_b32 s21, s19
	s_cbranch_execnz .LBB1229_1065
.LBB1229_1080:                          ;   in Loop: Header=BB1229_982 Depth=2
	s_or_b32 exec_lo, exec_lo, s21
	v_cmp_lt_u32_e64 s20, v84, v177
	s_delay_alu instid0(VALU_DEP_1)
	s_and_saveexec_b32 s22, s20
	s_cbranch_execz .LBB1229_1066
.LBB1229_1081:                          ;   in Loop: Header=BB1229_982 Depth=2
	ds_load_b64 v[36:37], v110 offset:10240
	s_waitcnt lgkmcnt(0)
	v_cmp_ne_u64_e64 s21, s[40:41], v[36:37]
	s_delay_alu instid0(VALU_DEP_1) | instskip(SKIP_2) | instid1(VALU_DEP_2)
	v_cndmask_b32_e64 v41, 0x80000000, v37, s21
	v_cndmask_b32_e64 v40, 0, v36, s21
	v_cmp_lt_i64_e64 s21, -1, v[36:37]
	v_lshrrev_b64 v[40:41], s42, v[40:41]
	s_delay_alu instid0(VALU_DEP_2) | instskip(NEXT) | instid1(VALU_DEP_2)
	v_cndmask_b32_e64 v42, 0x80000000, -1, s21
	v_and_b32_e32 v2, s50, v40
	v_ashrrev_i32_e32 v40, 31, v37
	s_delay_alu instid0(VALU_DEP_3) | instskip(NEXT) | instid1(VALU_DEP_3)
	v_xor_b32_e32 v37, v42, v37
	v_lshlrev_b32_e32 v2, 2, v2
	s_delay_alu instid0(VALU_DEP_3) | instskip(SKIP_4) | instid1(VALU_DEP_1)
	v_not_b32_e32 v43, v40
	ds_load_b32 v2, v2
	v_xor_b32_e32 v36, v43, v36
	s_waitcnt lgkmcnt(0)
	v_add_nc_u32_e32 v2, v2, v84
	v_lshlrev_b64 v[40:41], 3, v[2:3]
	s_delay_alu instid0(VALU_DEP_1) | instskip(NEXT) | instid1(VALU_DEP_1)
	v_add_co_u32 v40, s21, s48, v40
	v_add_co_ci_u32_e64 v41, s21, s49, v41, s21
	global_store_b64 v[40:41], v[36:37], off
	s_or_b32 exec_lo, exec_lo, s22
	v_cmp_lt_u32_e64 s21, v85, v177
	s_delay_alu instid0(VALU_DEP_1)
	s_and_saveexec_b32 s23, s21
	s_cbranch_execnz .LBB1229_1067
.LBB1229_1082:                          ;   in Loop: Header=BB1229_982 Depth=2
	s_or_b32 exec_lo, exec_lo, s23
	v_cmp_lt_u32_e64 s22, v86, v177
	s_delay_alu instid0(VALU_DEP_1)
	s_and_saveexec_b32 s24, s22
	s_cbranch_execz .LBB1229_1068
.LBB1229_1083:                          ;   in Loop: Header=BB1229_982 Depth=2
	ds_load_b64 v[36:37], v110 offset:14336
	s_waitcnt lgkmcnt(0)
	v_cmp_ne_u64_e64 s23, s[40:41], v[36:37]
	s_delay_alu instid0(VALU_DEP_1) | instskip(SKIP_2) | instid1(VALU_DEP_2)
	v_cndmask_b32_e64 v41, 0x80000000, v37, s23
	v_cndmask_b32_e64 v40, 0, v36, s23
	v_cmp_lt_i64_e64 s23, -1, v[36:37]
	v_lshrrev_b64 v[40:41], s42, v[40:41]
	s_delay_alu instid0(VALU_DEP_2) | instskip(NEXT) | instid1(VALU_DEP_2)
	v_cndmask_b32_e64 v42, 0x80000000, -1, s23
	v_and_b32_e32 v2, s50, v40
	v_ashrrev_i32_e32 v40, 31, v37
	s_delay_alu instid0(VALU_DEP_3) | instskip(NEXT) | instid1(VALU_DEP_3)
	v_xor_b32_e32 v37, v42, v37
	v_lshlrev_b32_e32 v2, 2, v2
	s_delay_alu instid0(VALU_DEP_3) | instskip(SKIP_4) | instid1(VALU_DEP_1)
	v_not_b32_e32 v43, v40
	ds_load_b32 v2, v2
	v_xor_b32_e32 v36, v43, v36
	s_waitcnt lgkmcnt(0)
	v_add_nc_u32_e32 v2, v2, v86
	v_lshlrev_b64 v[40:41], 3, v[2:3]
	s_delay_alu instid0(VALU_DEP_1) | instskip(NEXT) | instid1(VALU_DEP_1)
	v_add_co_u32 v40, s23, s48, v40
	v_add_co_ci_u32_e64 v41, s23, s49, v41, s23
	global_store_b64 v[40:41], v[36:37], off
	s_or_b32 exec_lo, exec_lo, s24
	v_cmp_lt_u32_e64 s23, v87, v177
	s_delay_alu instid0(VALU_DEP_1)
	s_and_saveexec_b32 s25, s23
	s_cbranch_execnz .LBB1229_1069
.LBB1229_1084:                          ;   in Loop: Header=BB1229_982 Depth=2
	s_or_b32 exec_lo, exec_lo, s25
	v_cmp_lt_u32_e64 s24, v88, v177
	s_delay_alu instid0(VALU_DEP_1)
	s_and_saveexec_b32 s26, s24
	s_cbranch_execz .LBB1229_1070
.LBB1229_1085:                          ;   in Loop: Header=BB1229_982 Depth=2
	ds_load_b64 v[36:37], v110 offset:18432
	s_waitcnt lgkmcnt(0)
	v_cmp_ne_u64_e64 s25, s[40:41], v[36:37]
	s_delay_alu instid0(VALU_DEP_1) | instskip(SKIP_2) | instid1(VALU_DEP_2)
	v_cndmask_b32_e64 v41, 0x80000000, v37, s25
	v_cndmask_b32_e64 v40, 0, v36, s25
	v_cmp_lt_i64_e64 s25, -1, v[36:37]
	v_lshrrev_b64 v[40:41], s42, v[40:41]
	s_delay_alu instid0(VALU_DEP_2) | instskip(NEXT) | instid1(VALU_DEP_2)
	v_cndmask_b32_e64 v42, 0x80000000, -1, s25
	v_and_b32_e32 v2, s50, v40
	v_ashrrev_i32_e32 v40, 31, v37
	s_delay_alu instid0(VALU_DEP_3) | instskip(NEXT) | instid1(VALU_DEP_3)
	v_xor_b32_e32 v37, v42, v37
	v_lshlrev_b32_e32 v2, 2, v2
	s_delay_alu instid0(VALU_DEP_3) | instskip(SKIP_4) | instid1(VALU_DEP_1)
	v_not_b32_e32 v43, v40
	ds_load_b32 v2, v2
	v_xor_b32_e32 v36, v43, v36
	s_waitcnt lgkmcnt(0)
	v_add_nc_u32_e32 v2, v2, v88
	v_lshlrev_b64 v[40:41], 3, v[2:3]
	s_delay_alu instid0(VALU_DEP_1) | instskip(NEXT) | instid1(VALU_DEP_1)
	v_add_co_u32 v40, s25, s48, v40
	v_add_co_ci_u32_e64 v41, s25, s49, v41, s25
	global_store_b64 v[40:41], v[36:37], off
	s_or_b32 exec_lo, exec_lo, s26
	v_cmp_lt_u32_e64 s25, v89, v177
	s_delay_alu instid0(VALU_DEP_1)
	s_and_saveexec_b32 s27, s25
	s_cbranch_execnz .LBB1229_1071
.LBB1229_1086:                          ;   in Loop: Header=BB1229_982 Depth=2
	s_or_b32 exec_lo, exec_lo, s27
	v_cmp_lt_u32_e64 s26, v90, v177
	s_delay_alu instid0(VALU_DEP_1)
	s_and_saveexec_b32 s28, s26
	s_cbranch_execz .LBB1229_1072
.LBB1229_1087:                          ;   in Loop: Header=BB1229_982 Depth=2
	ds_load_b64 v[36:37], v110 offset:22528
	s_waitcnt lgkmcnt(0)
	v_cmp_ne_u64_e64 s27, s[40:41], v[36:37]
	s_delay_alu instid0(VALU_DEP_1) | instskip(SKIP_2) | instid1(VALU_DEP_2)
	v_cndmask_b32_e64 v41, 0x80000000, v37, s27
	v_cndmask_b32_e64 v40, 0, v36, s27
	v_cmp_lt_i64_e64 s27, -1, v[36:37]
	v_lshrrev_b64 v[40:41], s42, v[40:41]
	s_delay_alu instid0(VALU_DEP_2) | instskip(NEXT) | instid1(VALU_DEP_2)
	v_cndmask_b32_e64 v42, 0x80000000, -1, s27
	v_and_b32_e32 v2, s50, v40
	v_ashrrev_i32_e32 v40, 31, v37
	s_delay_alu instid0(VALU_DEP_3) | instskip(NEXT) | instid1(VALU_DEP_3)
	v_xor_b32_e32 v37, v42, v37
	v_lshlrev_b32_e32 v2, 2, v2
	s_delay_alu instid0(VALU_DEP_3) | instskip(SKIP_4) | instid1(VALU_DEP_1)
	v_not_b32_e32 v43, v40
	ds_load_b32 v2, v2
	v_xor_b32_e32 v36, v43, v36
	s_waitcnt lgkmcnt(0)
	v_add_nc_u32_e32 v2, v2, v90
	v_lshlrev_b64 v[40:41], 3, v[2:3]
	s_delay_alu instid0(VALU_DEP_1) | instskip(NEXT) | instid1(VALU_DEP_1)
	v_add_co_u32 v40, s27, s48, v40
	v_add_co_ci_u32_e64 v41, s27, s49, v41, s27
	global_store_b64 v[40:41], v[36:37], off
	s_or_b32 exec_lo, exec_lo, s28
	v_cmp_lt_u32_e64 s27, v91, v177
	s_delay_alu instid0(VALU_DEP_1)
	s_and_saveexec_b32 s29, s27
	s_cbranch_execnz .LBB1229_1073
.LBB1229_1088:                          ;   in Loop: Header=BB1229_982 Depth=2
	s_or_b32 exec_lo, exec_lo, s29
	v_cmp_lt_u32_e64 s28, v92, v177
	s_delay_alu instid0(VALU_DEP_1)
	s_and_saveexec_b32 s30, s28
	s_cbranch_execz .LBB1229_1074
.LBB1229_1089:                          ;   in Loop: Header=BB1229_982 Depth=2
	ds_load_b64 v[36:37], v110 offset:26624
	s_waitcnt lgkmcnt(0)
	v_cmp_ne_u64_e64 s29, s[40:41], v[36:37]
	s_delay_alu instid0(VALU_DEP_1) | instskip(SKIP_2) | instid1(VALU_DEP_2)
	v_cndmask_b32_e64 v41, 0x80000000, v37, s29
	v_cndmask_b32_e64 v40, 0, v36, s29
	v_cmp_lt_i64_e64 s29, -1, v[36:37]
	v_lshrrev_b64 v[40:41], s42, v[40:41]
	s_delay_alu instid0(VALU_DEP_2) | instskip(NEXT) | instid1(VALU_DEP_2)
	v_cndmask_b32_e64 v42, 0x80000000, -1, s29
	v_and_b32_e32 v2, s50, v40
	v_ashrrev_i32_e32 v40, 31, v37
	s_delay_alu instid0(VALU_DEP_3) | instskip(NEXT) | instid1(VALU_DEP_3)
	v_xor_b32_e32 v37, v42, v37
	v_lshlrev_b32_e32 v2, 2, v2
	s_delay_alu instid0(VALU_DEP_3) | instskip(SKIP_4) | instid1(VALU_DEP_1)
	v_not_b32_e32 v43, v40
	ds_load_b32 v2, v2
	v_xor_b32_e32 v36, v43, v36
	s_waitcnt lgkmcnt(0)
	v_add_nc_u32_e32 v2, v2, v92
	v_lshlrev_b64 v[40:41], 3, v[2:3]
	s_delay_alu instid0(VALU_DEP_1) | instskip(NEXT) | instid1(VALU_DEP_1)
	v_add_co_u32 v40, s29, s48, v40
	v_add_co_ci_u32_e64 v41, s29, s49, v41, s29
	global_store_b64 v[40:41], v[36:37], off
	s_or_b32 exec_lo, exec_lo, s30
	v_cmp_lt_u32_e64 s29, v93, v177
	s_delay_alu instid0(VALU_DEP_1)
	s_and_saveexec_b32 s31, s29
	s_cbranch_execnz .LBB1229_1075
.LBB1229_1090:                          ;   in Loop: Header=BB1229_982 Depth=2
	s_or_b32 exec_lo, exec_lo, s31
	v_cmp_lt_u32_e64 s30, v95, v177
	s_delay_alu instid0(VALU_DEP_1)
	s_and_saveexec_b32 s60, s30
	s_cbranch_execz .LBB1229_1092
.LBB1229_1091:                          ;   in Loop: Header=BB1229_982 Depth=2
	ds_load_b64 v[36:37], v110 offset:30720
	s_waitcnt lgkmcnt(0)
	v_cmp_ne_u64_e64 s31, s[40:41], v[36:37]
	s_delay_alu instid0(VALU_DEP_1) | instskip(SKIP_2) | instid1(VALU_DEP_2)
	v_cndmask_b32_e64 v41, 0x80000000, v37, s31
	v_cndmask_b32_e64 v40, 0, v36, s31
	v_cmp_lt_i64_e64 s31, -1, v[36:37]
	v_lshrrev_b64 v[40:41], s42, v[40:41]
	s_delay_alu instid0(VALU_DEP_2) | instskip(NEXT) | instid1(VALU_DEP_2)
	v_cndmask_b32_e64 v42, 0x80000000, -1, s31
	v_and_b32_e32 v2, s50, v40
	v_ashrrev_i32_e32 v40, 31, v37
	s_delay_alu instid0(VALU_DEP_3) | instskip(NEXT) | instid1(VALU_DEP_3)
	v_xor_b32_e32 v37, v42, v37
	v_lshlrev_b32_e32 v2, 2, v2
	s_delay_alu instid0(VALU_DEP_3) | instskip(SKIP_4) | instid1(VALU_DEP_1)
	v_not_b32_e32 v43, v40
	ds_load_b32 v2, v2
	v_xor_b32_e32 v36, v43, v36
	s_waitcnt lgkmcnt(0)
	v_add_nc_u32_e32 v2, v2, v95
	v_lshlrev_b64 v[40:41], 3, v[2:3]
	s_delay_alu instid0(VALU_DEP_1) | instskip(NEXT) | instid1(VALU_DEP_1)
	v_add_co_u32 v40, s31, s48, v40
	v_add_co_ci_u32_e64 v41, s31, s49, v41, s31
	global_store_b64 v[40:41], v[36:37], off
.LBB1229_1092:                          ;   in Loop: Header=BB1229_982 Depth=2
	s_or_b32 exec_lo, exec_lo, s60
	s_lshl_b64 s[60:61], s[36:37], 3
	s_delay_alu instid0(SALU_CYCLE_1) | instskip(NEXT) | instid1(VALU_DEP_1)
	v_add_co_u32 v36, s31, v139, s60
	v_add_co_ci_u32_e64 v37, s31, s61, v140, s31
	v_cmp_lt_u32_e64 s31, v138, v177
	s_delay_alu instid0(VALU_DEP_1) | instskip(NEXT) | instid1(SALU_CYCLE_1)
	s_and_saveexec_b32 s36, s31
	s_xor_b32 s31, exec_lo, s36
	s_cbranch_execz .LBB1229_1124
; %bb.1093:                             ;   in Loop: Header=BB1229_982 Depth=2
	global_load_b64 v[34:35], v[36:37], off
	s_or_b32 exec_lo, exec_lo, s31
	s_delay_alu instid0(SALU_CYCLE_1)
	s_mov_b32 s36, exec_lo
	v_cmpx_lt_u32_e64 v141, v177
	s_cbranch_execnz .LBB1229_1125
.LBB1229_1094:                          ;   in Loop: Header=BB1229_982 Depth=2
	s_or_b32 exec_lo, exec_lo, s36
	s_delay_alu instid0(SALU_CYCLE_1)
	s_mov_b32 s36, exec_lo
	v_cmpx_lt_u32_e64 v142, v177
	s_cbranch_execz .LBB1229_1126
.LBB1229_1095:                          ;   in Loop: Header=BB1229_982 Depth=2
	global_load_b64 v[30:31], v[36:37], off offset:512
	s_or_b32 exec_lo, exec_lo, s36
	s_delay_alu instid0(SALU_CYCLE_1)
	s_mov_b32 s36, exec_lo
	v_cmpx_lt_u32_e64 v143, v177
	s_cbranch_execnz .LBB1229_1127
.LBB1229_1096:                          ;   in Loop: Header=BB1229_982 Depth=2
	s_or_b32 exec_lo, exec_lo, s36
	s_delay_alu instid0(SALU_CYCLE_1)
	s_mov_b32 s36, exec_lo
	v_cmpx_lt_u32_e64 v144, v177
	s_cbranch_execz .LBB1229_1128
.LBB1229_1097:                          ;   in Loop: Header=BB1229_982 Depth=2
	global_load_b64 v[26:27], v[36:37], off offset:1024
	s_or_b32 exec_lo, exec_lo, s36
	s_delay_alu instid0(SALU_CYCLE_1)
	s_mov_b32 s36, exec_lo
	v_cmpx_lt_u32_e64 v145, v177
	s_cbranch_execnz .LBB1229_1129
.LBB1229_1098:                          ;   in Loop: Header=BB1229_982 Depth=2
	s_or_b32 exec_lo, exec_lo, s36
	s_delay_alu instid0(SALU_CYCLE_1)
	s_mov_b32 s36, exec_lo
	v_cmpx_lt_u32_e64 v146, v177
	s_cbranch_execz .LBB1229_1130
.LBB1229_1099:                          ;   in Loop: Header=BB1229_982 Depth=2
	global_load_b64 v[22:23], v[36:37], off offset:1536
	s_or_b32 exec_lo, exec_lo, s36
	s_delay_alu instid0(SALU_CYCLE_1)
	s_mov_b32 s36, exec_lo
	v_cmpx_lt_u32_e64 v147, v177
	s_cbranch_execnz .LBB1229_1131
.LBB1229_1100:                          ;   in Loop: Header=BB1229_982 Depth=2
	s_or_b32 exec_lo, exec_lo, s36
	s_delay_alu instid0(SALU_CYCLE_1)
	s_mov_b32 s36, exec_lo
	v_cmpx_lt_u32_e64 v148, v177
	s_cbranch_execz .LBB1229_1132
.LBB1229_1101:                          ;   in Loop: Header=BB1229_982 Depth=2
	global_load_b64 v[18:19], v[36:37], off offset:2048
	s_or_b32 exec_lo, exec_lo, s36
	s_delay_alu instid0(SALU_CYCLE_1)
	s_mov_b32 s36, exec_lo
	v_cmpx_lt_u32_e64 v149, v177
	s_cbranch_execnz .LBB1229_1133
.LBB1229_1102:                          ;   in Loop: Header=BB1229_982 Depth=2
	s_or_b32 exec_lo, exec_lo, s36
	s_delay_alu instid0(SALU_CYCLE_1)
	s_mov_b32 s36, exec_lo
	v_cmpx_lt_u32_e64 v150, v177
	s_cbranch_execz .LBB1229_1134
.LBB1229_1103:                          ;   in Loop: Header=BB1229_982 Depth=2
	global_load_b64 v[14:15], v[36:37], off offset:2560
	s_or_b32 exec_lo, exec_lo, s36
	s_delay_alu instid0(SALU_CYCLE_1)
	s_mov_b32 s36, exec_lo
	v_cmpx_lt_u32_e64 v151, v177
	s_cbranch_execnz .LBB1229_1135
.LBB1229_1104:                          ;   in Loop: Header=BB1229_982 Depth=2
	s_or_b32 exec_lo, exec_lo, s36
	s_delay_alu instid0(SALU_CYCLE_1)
	s_mov_b32 s36, exec_lo
	v_cmpx_lt_u32_e64 v152, v177
	s_cbranch_execz .LBB1229_1136
.LBB1229_1105:                          ;   in Loop: Header=BB1229_982 Depth=2
	global_load_b64 v[10:11], v[36:37], off offset:3072
	s_or_b32 exec_lo, exec_lo, s36
	s_delay_alu instid0(SALU_CYCLE_1)
	s_mov_b32 s36, exec_lo
	v_cmpx_lt_u32_e64 v153, v177
	s_cbranch_execnz .LBB1229_1137
.LBB1229_1106:                          ;   in Loop: Header=BB1229_982 Depth=2
	s_or_b32 exec_lo, exec_lo, s36
	s_delay_alu instid0(SALU_CYCLE_1)
	s_mov_b32 s36, exec_lo
	v_cmpx_lt_u32_e64 v154, v177
	s_cbranch_execz .LBB1229_1138
.LBB1229_1107:                          ;   in Loop: Header=BB1229_982 Depth=2
	global_load_b64 v[6:7], v[36:37], off offset:3584
	s_or_b32 exec_lo, exec_lo, s36
	s_delay_alu instid0(SALU_CYCLE_1)
	s_mov_b32 s36, exec_lo
	v_cmpx_lt_u32_e64 v155, v177
	s_cbranch_execnz .LBB1229_1139
.LBB1229_1108:                          ;   in Loop: Header=BB1229_982 Depth=2
	s_or_b32 exec_lo, exec_lo, s36
	s_and_saveexec_b32 s36, vcc_lo
	s_cbranch_execz .LBB1229_1140
.LBB1229_1109:                          ;   in Loop: Header=BB1229_982 Depth=2
	ds_load_b64 v[36:37], v38 offset:1024
	s_waitcnt lgkmcnt(0)
	v_cmp_ne_u64_e64 s31, s[40:41], v[36:37]
	s_delay_alu instid0(VALU_DEP_1) | instskip(SKIP_1) | instid1(VALU_DEP_1)
	v_cndmask_b32_e64 v37, 0x80000000, v37, s31
	v_cndmask_b32_e64 v36, 0, v36, s31
	v_lshrrev_b64 v[36:37], s42, v[36:37]
	s_delay_alu instid0(VALU_DEP_1)
	v_and_b32_e32 v176, s50, v36
	s_or_b32 exec_lo, exec_lo, s36
	s_and_saveexec_b32 s36, s16
	s_cbranch_execnz .LBB1229_1141
.LBB1229_1110:                          ;   in Loop: Header=BB1229_982 Depth=2
	s_or_b32 exec_lo, exec_lo, s36
	s_and_saveexec_b32 s36, s17
	s_cbranch_execz .LBB1229_1142
.LBB1229_1111:                          ;   in Loop: Header=BB1229_982 Depth=2
	ds_load_b64 v[36:37], v110 offset:4096
	s_waitcnt lgkmcnt(0)
	v_cmp_ne_u64_e64 s31, s[40:41], v[36:37]
	s_delay_alu instid0(VALU_DEP_1) | instskip(SKIP_1) | instid1(VALU_DEP_1)
	v_cndmask_b32_e64 v37, 0x80000000, v37, s31
	v_cndmask_b32_e64 v36, 0, v36, s31
	v_lshrrev_b64 v[36:37], s42, v[36:37]
	s_delay_alu instid0(VALU_DEP_1)
	v_and_b32_e32 v174, s50, v36
	s_or_b32 exec_lo, exec_lo, s36
	s_and_saveexec_b32 s36, s18
	s_cbranch_execnz .LBB1229_1143
.LBB1229_1112:                          ;   in Loop: Header=BB1229_982 Depth=2
	s_or_b32 exec_lo, exec_lo, s36
	s_and_saveexec_b32 s36, s19
	s_cbranch_execz .LBB1229_1144
.LBB1229_1113:                          ;   in Loop: Header=BB1229_982 Depth=2
	ds_load_b64 v[36:37], v110 offset:8192
	s_waitcnt lgkmcnt(0)
	v_cmp_ne_u64_e64 s31, s[40:41], v[36:37]
	s_delay_alu instid0(VALU_DEP_1) | instskip(SKIP_1) | instid1(VALU_DEP_1)
	v_cndmask_b32_e64 v37, 0x80000000, v37, s31
	v_cndmask_b32_e64 v36, 0, v36, s31
	v_lshrrev_b64 v[36:37], s42, v[36:37]
	s_delay_alu instid0(VALU_DEP_1)
	v_and_b32_e32 v172, s50, v36
	s_or_b32 exec_lo, exec_lo, s36
	s_and_saveexec_b32 s36, s20
	s_cbranch_execnz .LBB1229_1145
.LBB1229_1114:                          ;   in Loop: Header=BB1229_982 Depth=2
	s_or_b32 exec_lo, exec_lo, s36
	s_and_saveexec_b32 s36, s21
	s_cbranch_execz .LBB1229_1146
.LBB1229_1115:                          ;   in Loop: Header=BB1229_982 Depth=2
	ds_load_b64 v[36:37], v110 offset:12288
	s_waitcnt lgkmcnt(0)
	v_cmp_ne_u64_e64 s31, s[40:41], v[36:37]
	s_delay_alu instid0(VALU_DEP_1) | instskip(SKIP_1) | instid1(VALU_DEP_1)
	v_cndmask_b32_e64 v37, 0x80000000, v37, s31
	v_cndmask_b32_e64 v36, 0, v36, s31
	v_lshrrev_b64 v[36:37], s42, v[36:37]
	s_delay_alu instid0(VALU_DEP_1)
	v_and_b32_e32 v170, s50, v36
	s_or_b32 exec_lo, exec_lo, s36
	s_and_saveexec_b32 s36, s22
	s_cbranch_execnz .LBB1229_1147
.LBB1229_1116:                          ;   in Loop: Header=BB1229_982 Depth=2
	s_or_b32 exec_lo, exec_lo, s36
	s_and_saveexec_b32 s36, s23
	s_cbranch_execz .LBB1229_1148
.LBB1229_1117:                          ;   in Loop: Header=BB1229_982 Depth=2
	ds_load_b64 v[36:37], v110 offset:16384
	s_waitcnt lgkmcnt(0)
	v_cmp_ne_u64_e64 s31, s[40:41], v[36:37]
	s_delay_alu instid0(VALU_DEP_1) | instskip(SKIP_1) | instid1(VALU_DEP_1)
	v_cndmask_b32_e64 v37, 0x80000000, v37, s31
	v_cndmask_b32_e64 v36, 0, v36, s31
	v_lshrrev_b64 v[36:37], s42, v[36:37]
	s_delay_alu instid0(VALU_DEP_1)
	v_and_b32_e32 v168, s50, v36
	s_or_b32 exec_lo, exec_lo, s36
	s_and_saveexec_b32 s36, s24
	s_cbranch_execnz .LBB1229_1149
.LBB1229_1118:                          ;   in Loop: Header=BB1229_982 Depth=2
	s_or_b32 exec_lo, exec_lo, s36
	s_and_saveexec_b32 s36, s25
	s_cbranch_execz .LBB1229_1150
.LBB1229_1119:                          ;   in Loop: Header=BB1229_982 Depth=2
	ds_load_b64 v[36:37], v110 offset:20480
	s_waitcnt lgkmcnt(0)
	v_cmp_ne_u64_e64 s31, s[40:41], v[36:37]
	s_delay_alu instid0(VALU_DEP_1) | instskip(SKIP_1) | instid1(VALU_DEP_1)
	v_cndmask_b32_e64 v37, 0x80000000, v37, s31
	v_cndmask_b32_e64 v36, 0, v36, s31
	v_lshrrev_b64 v[36:37], s42, v[36:37]
	s_delay_alu instid0(VALU_DEP_1)
	v_and_b32_e32 v166, s50, v36
	s_or_b32 exec_lo, exec_lo, s36
	s_and_saveexec_b32 s36, s26
	s_cbranch_execnz .LBB1229_1151
.LBB1229_1120:                          ;   in Loop: Header=BB1229_982 Depth=2
	s_or_b32 exec_lo, exec_lo, s36
	s_and_saveexec_b32 s36, s27
	s_cbranch_execz .LBB1229_1152
.LBB1229_1121:                          ;   in Loop: Header=BB1229_982 Depth=2
	ds_load_b64 v[36:37], v110 offset:24576
	s_waitcnt lgkmcnt(0)
	v_cmp_ne_u64_e64 s31, s[40:41], v[36:37]
	s_delay_alu instid0(VALU_DEP_1) | instskip(SKIP_1) | instid1(VALU_DEP_1)
	v_cndmask_b32_e64 v37, 0x80000000, v37, s31
	v_cndmask_b32_e64 v36, 0, v36, s31
	v_lshrrev_b64 v[36:37], s42, v[36:37]
	s_delay_alu instid0(VALU_DEP_1)
	v_and_b32_e32 v164, s50, v36
	s_or_b32 exec_lo, exec_lo, s36
	s_and_saveexec_b32 s36, s28
	s_cbranch_execnz .LBB1229_1153
.LBB1229_1122:                          ;   in Loop: Header=BB1229_982 Depth=2
	s_or_b32 exec_lo, exec_lo, s36
	s_and_saveexec_b32 s36, s29
	s_cbranch_execz .LBB1229_1154
.LBB1229_1123:                          ;   in Loop: Header=BB1229_982 Depth=2
	ds_load_b64 v[36:37], v110 offset:28672
	s_waitcnt lgkmcnt(0)
	v_cmp_ne_u64_e64 s31, s[40:41], v[36:37]
	s_delay_alu instid0(VALU_DEP_1) | instskip(SKIP_1) | instid1(VALU_DEP_1)
	v_cndmask_b32_e64 v37, 0x80000000, v37, s31
	v_cndmask_b32_e64 v36, 0, v36, s31
	v_lshrrev_b64 v[36:37], s42, v[36:37]
	s_delay_alu instid0(VALU_DEP_1)
	v_and_b32_e32 v162, s50, v36
	s_or_b32 exec_lo, exec_lo, s36
	s_and_saveexec_b32 s36, s30
	s_cbranch_execnz .LBB1229_1155
	s_branch .LBB1229_1156
.LBB1229_1124:                          ;   in Loop: Header=BB1229_982 Depth=2
	s_or_b32 exec_lo, exec_lo, s31
	s_delay_alu instid0(SALU_CYCLE_1)
	s_mov_b32 s36, exec_lo
	v_cmpx_lt_u32_e64 v141, v177
	s_cbranch_execz .LBB1229_1094
.LBB1229_1125:                          ;   in Loop: Header=BB1229_982 Depth=2
	global_load_b64 v[32:33], v[36:37], off offset:256
	s_or_b32 exec_lo, exec_lo, s36
	s_delay_alu instid0(SALU_CYCLE_1)
	s_mov_b32 s36, exec_lo
	v_cmpx_lt_u32_e64 v142, v177
	s_cbranch_execnz .LBB1229_1095
.LBB1229_1126:                          ;   in Loop: Header=BB1229_982 Depth=2
	s_or_b32 exec_lo, exec_lo, s36
	s_delay_alu instid0(SALU_CYCLE_1)
	s_mov_b32 s36, exec_lo
	v_cmpx_lt_u32_e64 v143, v177
	s_cbranch_execz .LBB1229_1096
.LBB1229_1127:                          ;   in Loop: Header=BB1229_982 Depth=2
	global_load_b64 v[28:29], v[36:37], off offset:768
	s_or_b32 exec_lo, exec_lo, s36
	s_delay_alu instid0(SALU_CYCLE_1)
	s_mov_b32 s36, exec_lo
	v_cmpx_lt_u32_e64 v144, v177
	s_cbranch_execnz .LBB1229_1097
.LBB1229_1128:                          ;   in Loop: Header=BB1229_982 Depth=2
	s_or_b32 exec_lo, exec_lo, s36
	s_delay_alu instid0(SALU_CYCLE_1)
	s_mov_b32 s36, exec_lo
	v_cmpx_lt_u32_e64 v145, v177
	s_cbranch_execz .LBB1229_1098
.LBB1229_1129:                          ;   in Loop: Header=BB1229_982 Depth=2
	global_load_b64 v[24:25], v[36:37], off offset:1280
	s_or_b32 exec_lo, exec_lo, s36
	s_delay_alu instid0(SALU_CYCLE_1)
	s_mov_b32 s36, exec_lo
	v_cmpx_lt_u32_e64 v146, v177
	s_cbranch_execnz .LBB1229_1099
.LBB1229_1130:                          ;   in Loop: Header=BB1229_982 Depth=2
	s_or_b32 exec_lo, exec_lo, s36
	s_delay_alu instid0(SALU_CYCLE_1)
	s_mov_b32 s36, exec_lo
	v_cmpx_lt_u32_e64 v147, v177
	s_cbranch_execz .LBB1229_1100
.LBB1229_1131:                          ;   in Loop: Header=BB1229_982 Depth=2
	global_load_b64 v[20:21], v[36:37], off offset:1792
	s_or_b32 exec_lo, exec_lo, s36
	s_delay_alu instid0(SALU_CYCLE_1)
	s_mov_b32 s36, exec_lo
	v_cmpx_lt_u32_e64 v148, v177
	s_cbranch_execnz .LBB1229_1101
.LBB1229_1132:                          ;   in Loop: Header=BB1229_982 Depth=2
	s_or_b32 exec_lo, exec_lo, s36
	s_delay_alu instid0(SALU_CYCLE_1)
	s_mov_b32 s36, exec_lo
	v_cmpx_lt_u32_e64 v149, v177
	s_cbranch_execz .LBB1229_1102
.LBB1229_1133:                          ;   in Loop: Header=BB1229_982 Depth=2
	global_load_b64 v[16:17], v[36:37], off offset:2304
	s_or_b32 exec_lo, exec_lo, s36
	s_delay_alu instid0(SALU_CYCLE_1)
	s_mov_b32 s36, exec_lo
	v_cmpx_lt_u32_e64 v150, v177
	s_cbranch_execnz .LBB1229_1103
.LBB1229_1134:                          ;   in Loop: Header=BB1229_982 Depth=2
	s_or_b32 exec_lo, exec_lo, s36
	s_delay_alu instid0(SALU_CYCLE_1)
	s_mov_b32 s36, exec_lo
	v_cmpx_lt_u32_e64 v151, v177
	s_cbranch_execz .LBB1229_1104
.LBB1229_1135:                          ;   in Loop: Header=BB1229_982 Depth=2
	global_load_b64 v[12:13], v[36:37], off offset:2816
	s_or_b32 exec_lo, exec_lo, s36
	s_delay_alu instid0(SALU_CYCLE_1)
	s_mov_b32 s36, exec_lo
	v_cmpx_lt_u32_e64 v152, v177
	s_cbranch_execnz .LBB1229_1105
.LBB1229_1136:                          ;   in Loop: Header=BB1229_982 Depth=2
	s_or_b32 exec_lo, exec_lo, s36
	s_delay_alu instid0(SALU_CYCLE_1)
	s_mov_b32 s36, exec_lo
	v_cmpx_lt_u32_e64 v153, v177
	s_cbranch_execz .LBB1229_1106
.LBB1229_1137:                          ;   in Loop: Header=BB1229_982 Depth=2
	global_load_b64 v[8:9], v[36:37], off offset:3328
	s_or_b32 exec_lo, exec_lo, s36
	s_delay_alu instid0(SALU_CYCLE_1)
	s_mov_b32 s36, exec_lo
	v_cmpx_lt_u32_e64 v154, v177
	s_cbranch_execnz .LBB1229_1107
.LBB1229_1138:                          ;   in Loop: Header=BB1229_982 Depth=2
	s_or_b32 exec_lo, exec_lo, s36
	s_delay_alu instid0(SALU_CYCLE_1)
	s_mov_b32 s36, exec_lo
	v_cmpx_lt_u32_e64 v155, v177
	s_cbranch_execz .LBB1229_1108
.LBB1229_1139:                          ;   in Loop: Header=BB1229_982 Depth=2
	global_load_b64 v[4:5], v[36:37], off offset:3840
	s_or_b32 exec_lo, exec_lo, s36
	s_and_saveexec_b32 s36, vcc_lo
	s_cbranch_execnz .LBB1229_1109
.LBB1229_1140:                          ;   in Loop: Header=BB1229_982 Depth=2
	s_or_b32 exec_lo, exec_lo, s36
	s_and_saveexec_b32 s36, s16
	s_cbranch_execz .LBB1229_1110
.LBB1229_1141:                          ;   in Loop: Header=BB1229_982 Depth=2
	ds_load_b64 v[36:37], v110 offset:2048
	s_waitcnt lgkmcnt(0)
	v_cmp_ne_u64_e64 s31, s[40:41], v[36:37]
	s_delay_alu instid0(VALU_DEP_1) | instskip(SKIP_1) | instid1(VALU_DEP_1)
	v_cndmask_b32_e64 v37, 0x80000000, v37, s31
	v_cndmask_b32_e64 v36, 0, v36, s31
	v_lshrrev_b64 v[36:37], s42, v[36:37]
	s_delay_alu instid0(VALU_DEP_1)
	v_and_b32_e32 v175, s50, v36
	s_or_b32 exec_lo, exec_lo, s36
	s_and_saveexec_b32 s36, s17
	s_cbranch_execnz .LBB1229_1111
.LBB1229_1142:                          ;   in Loop: Header=BB1229_982 Depth=2
	s_or_b32 exec_lo, exec_lo, s36
	s_and_saveexec_b32 s36, s18
	s_cbranch_execz .LBB1229_1112
.LBB1229_1143:                          ;   in Loop: Header=BB1229_982 Depth=2
	ds_load_b64 v[36:37], v110 offset:6144
	s_waitcnt lgkmcnt(0)
	v_cmp_ne_u64_e64 s31, s[40:41], v[36:37]
	s_delay_alu instid0(VALU_DEP_1) | instskip(SKIP_1) | instid1(VALU_DEP_1)
	v_cndmask_b32_e64 v37, 0x80000000, v37, s31
	v_cndmask_b32_e64 v36, 0, v36, s31
	v_lshrrev_b64 v[36:37], s42, v[36:37]
	s_delay_alu instid0(VALU_DEP_1)
	v_and_b32_e32 v173, s50, v36
	s_or_b32 exec_lo, exec_lo, s36
	s_and_saveexec_b32 s36, s19
	s_cbranch_execnz .LBB1229_1113
.LBB1229_1144:                          ;   in Loop: Header=BB1229_982 Depth=2
	s_or_b32 exec_lo, exec_lo, s36
	s_and_saveexec_b32 s36, s20
	s_cbranch_execz .LBB1229_1114
.LBB1229_1145:                          ;   in Loop: Header=BB1229_982 Depth=2
	ds_load_b64 v[36:37], v110 offset:10240
	s_waitcnt lgkmcnt(0)
	v_cmp_ne_u64_e64 s31, s[40:41], v[36:37]
	s_delay_alu instid0(VALU_DEP_1) | instskip(SKIP_1) | instid1(VALU_DEP_1)
	v_cndmask_b32_e64 v37, 0x80000000, v37, s31
	v_cndmask_b32_e64 v36, 0, v36, s31
	v_lshrrev_b64 v[36:37], s42, v[36:37]
	s_delay_alu instid0(VALU_DEP_1)
	v_and_b32_e32 v171, s50, v36
	s_or_b32 exec_lo, exec_lo, s36
	s_and_saveexec_b32 s36, s21
	s_cbranch_execnz .LBB1229_1115
.LBB1229_1146:                          ;   in Loop: Header=BB1229_982 Depth=2
	s_or_b32 exec_lo, exec_lo, s36
	s_and_saveexec_b32 s36, s22
	s_cbranch_execz .LBB1229_1116
.LBB1229_1147:                          ;   in Loop: Header=BB1229_982 Depth=2
	ds_load_b64 v[36:37], v110 offset:14336
	s_waitcnt lgkmcnt(0)
	v_cmp_ne_u64_e64 s31, s[40:41], v[36:37]
	s_delay_alu instid0(VALU_DEP_1) | instskip(SKIP_1) | instid1(VALU_DEP_1)
	v_cndmask_b32_e64 v37, 0x80000000, v37, s31
	v_cndmask_b32_e64 v36, 0, v36, s31
	v_lshrrev_b64 v[36:37], s42, v[36:37]
	s_delay_alu instid0(VALU_DEP_1)
	v_and_b32_e32 v169, s50, v36
	s_or_b32 exec_lo, exec_lo, s36
	s_and_saveexec_b32 s36, s23
	s_cbranch_execnz .LBB1229_1117
.LBB1229_1148:                          ;   in Loop: Header=BB1229_982 Depth=2
	s_or_b32 exec_lo, exec_lo, s36
	s_and_saveexec_b32 s36, s24
	s_cbranch_execz .LBB1229_1118
.LBB1229_1149:                          ;   in Loop: Header=BB1229_982 Depth=2
	ds_load_b64 v[36:37], v110 offset:18432
	s_waitcnt lgkmcnt(0)
	v_cmp_ne_u64_e64 s31, s[40:41], v[36:37]
	s_delay_alu instid0(VALU_DEP_1) | instskip(SKIP_1) | instid1(VALU_DEP_1)
	v_cndmask_b32_e64 v37, 0x80000000, v37, s31
	v_cndmask_b32_e64 v36, 0, v36, s31
	v_lshrrev_b64 v[36:37], s42, v[36:37]
	s_delay_alu instid0(VALU_DEP_1)
	v_and_b32_e32 v167, s50, v36
	s_or_b32 exec_lo, exec_lo, s36
	s_and_saveexec_b32 s36, s25
	s_cbranch_execnz .LBB1229_1119
.LBB1229_1150:                          ;   in Loop: Header=BB1229_982 Depth=2
	s_or_b32 exec_lo, exec_lo, s36
	s_and_saveexec_b32 s36, s26
	s_cbranch_execz .LBB1229_1120
.LBB1229_1151:                          ;   in Loop: Header=BB1229_982 Depth=2
	ds_load_b64 v[36:37], v110 offset:22528
	s_waitcnt lgkmcnt(0)
	v_cmp_ne_u64_e64 s31, s[40:41], v[36:37]
	s_delay_alu instid0(VALU_DEP_1) | instskip(SKIP_1) | instid1(VALU_DEP_1)
	v_cndmask_b32_e64 v37, 0x80000000, v37, s31
	v_cndmask_b32_e64 v36, 0, v36, s31
	v_lshrrev_b64 v[36:37], s42, v[36:37]
	s_delay_alu instid0(VALU_DEP_1)
	v_and_b32_e32 v165, s50, v36
	s_or_b32 exec_lo, exec_lo, s36
	s_and_saveexec_b32 s36, s27
	s_cbranch_execnz .LBB1229_1121
.LBB1229_1152:                          ;   in Loop: Header=BB1229_982 Depth=2
	s_or_b32 exec_lo, exec_lo, s36
	s_and_saveexec_b32 s36, s28
	s_cbranch_execz .LBB1229_1122
.LBB1229_1153:                          ;   in Loop: Header=BB1229_982 Depth=2
	ds_load_b64 v[36:37], v110 offset:26624
	s_waitcnt lgkmcnt(0)
	v_cmp_ne_u64_e64 s31, s[40:41], v[36:37]
	s_delay_alu instid0(VALU_DEP_1) | instskip(SKIP_1) | instid1(VALU_DEP_1)
	v_cndmask_b32_e64 v37, 0x80000000, v37, s31
	v_cndmask_b32_e64 v36, 0, v36, s31
	v_lshrrev_b64 v[36:37], s42, v[36:37]
	s_delay_alu instid0(VALU_DEP_1)
	v_and_b32_e32 v163, s50, v36
	s_or_b32 exec_lo, exec_lo, s36
	s_and_saveexec_b32 s36, s29
	s_cbranch_execnz .LBB1229_1123
.LBB1229_1154:                          ;   in Loop: Header=BB1229_982 Depth=2
	s_or_b32 exec_lo, exec_lo, s36
	s_and_saveexec_b32 s36, s30
	s_cbranch_execz .LBB1229_1156
.LBB1229_1155:                          ;   in Loop: Header=BB1229_982 Depth=2
	ds_load_b64 v[36:37], v110 offset:30720
	s_waitcnt lgkmcnt(0)
	v_cmp_ne_u64_e64 s31, s[40:41], v[36:37]
	s_delay_alu instid0(VALU_DEP_1) | instskip(SKIP_1) | instid1(VALU_DEP_1)
	v_cndmask_b32_e64 v37, 0x80000000, v37, s31
	v_cndmask_b32_e64 v36, 0, v36, s31
	v_lshrrev_b64 v[36:37], s42, v[36:37]
	s_delay_alu instid0(VALU_DEP_1)
	v_and_b32_e32 v161, s50, v36
.LBB1229_1156:                          ;   in Loop: Header=BB1229_982 Depth=2
	s_or_b32 exec_lo, exec_lo, s36
	v_add_nc_u32_e32 v2, 0x400, v69
	v_add_nc_u32_e32 v36, 0x400, v70
	v_add_nc_u32_e32 v37, 0x400, v71
	v_add_nc_u32_e32 v40, 0x400, v72
	v_add_nc_u32_e32 v41, 0x400, v73
	v_add_nc_u32_e32 v39, 0x400, v39
	v_add_nc_u32_e32 v42, 0x400, v44
	v_add_nc_u32_e32 v43, 0x400, v45
	v_add_nc_u32_e32 v44, 0x400, v48
	v_add_nc_u32_e32 v45, 0x400, v49
	v_add_nc_u32_e32 v46, 0x400, v52
	v_add_nc_u32_e32 v47, 0x400, v53
	v_add_nc_u32_e32 v48, 0x400, v58
	v_add_nc_u32_e32 v49, 0x400, v56
	v_add_nc_u32_e32 v51, 0x400, v57
	v_add_nc_u32_e32 v50, 0x400, v50
	s_waitcnt vmcnt(0)
	s_waitcnt_vscnt null, 0x0
	s_barrier
	buffer_gl0_inv
	ds_store_b64 v2, v[34:35]
	ds_store_b64 v36, v[32:33]
	;; [unrolled: 1-line block ×16, first 2 shown]
	s_waitcnt lgkmcnt(0)
	s_barrier
	buffer_gl0_inv
	s_and_saveexec_b32 s31, vcc_lo
	s_cbranch_execz .LBB1229_1172
; %bb.1157:                             ;   in Loop: Header=BB1229_982 Depth=2
	v_lshlrev_b32_e32 v2, 2, v176
	ds_load_b32 v2, v2
	ds_load_b64 v[36:37], v38 offset:1024
	s_waitcnt lgkmcnt(1)
	v_add_nc_u32_e32 v2, v2, v1
	s_delay_alu instid0(VALU_DEP_1) | instskip(NEXT) | instid1(VALU_DEP_1)
	v_lshlrev_b64 v[38:39], 3, v[2:3]
	v_add_co_u32 v38, vcc_lo, s54, v38
	s_delay_alu instid0(VALU_DEP_2)
	v_add_co_ci_u32_e32 v39, vcc_lo, s55, v39, vcc_lo
	s_waitcnt lgkmcnt(0)
	global_store_b64 v[38:39], v[36:37], off
	s_or_b32 exec_lo, exec_lo, s31
	s_and_saveexec_b32 s31, s16
	s_cbranch_execnz .LBB1229_1173
.LBB1229_1158:                          ;   in Loop: Header=BB1229_982 Depth=2
	s_or_b32 exec_lo, exec_lo, s31
	s_and_saveexec_b32 s16, s17
	s_cbranch_execz .LBB1229_1174
.LBB1229_1159:                          ;   in Loop: Header=BB1229_982 Depth=2
	v_lshlrev_b32_e32 v2, 2, v174
	ds_load_b32 v2, v2
	ds_load_b64 v[36:37], v110 offset:4096
	s_waitcnt lgkmcnt(1)
	v_add_nc_u32_e32 v2, v2, v78
	s_delay_alu instid0(VALU_DEP_1) | instskip(NEXT) | instid1(VALU_DEP_1)
	v_lshlrev_b64 v[38:39], 3, v[2:3]
	v_add_co_u32 v38, vcc_lo, s54, v38
	s_delay_alu instid0(VALU_DEP_2)
	v_add_co_ci_u32_e32 v39, vcc_lo, s55, v39, vcc_lo
	s_waitcnt lgkmcnt(0)
	global_store_b64 v[38:39], v[36:37], off
	s_or_b32 exec_lo, exec_lo, s16
	s_and_saveexec_b32 s16, s18
	s_cbranch_execnz .LBB1229_1175
.LBB1229_1160:                          ;   in Loop: Header=BB1229_982 Depth=2
	s_or_b32 exec_lo, exec_lo, s16
	s_and_saveexec_b32 s16, s19
	s_cbranch_execz .LBB1229_1176
.LBB1229_1161:                          ;   in Loop: Header=BB1229_982 Depth=2
	v_lshlrev_b32_e32 v2, 2, v172
	ds_load_b32 v2, v2
	ds_load_b64 v[36:37], v110 offset:8192
	s_waitcnt lgkmcnt(1)
	v_add_nc_u32_e32 v2, v2, v83
	s_delay_alu instid0(VALU_DEP_1) | instskip(NEXT) | instid1(VALU_DEP_1)
	v_lshlrev_b64 v[38:39], 3, v[2:3]
	v_add_co_u32 v38, vcc_lo, s54, v38
	s_delay_alu instid0(VALU_DEP_2)
	v_add_co_ci_u32_e32 v39, vcc_lo, s55, v39, vcc_lo
	s_waitcnt lgkmcnt(0)
	global_store_b64 v[38:39], v[36:37], off
	s_or_b32 exec_lo, exec_lo, s16
	s_and_saveexec_b32 s16, s20
	s_cbranch_execnz .LBB1229_1177
.LBB1229_1162:                          ;   in Loop: Header=BB1229_982 Depth=2
	s_or_b32 exec_lo, exec_lo, s16
	s_and_saveexec_b32 s16, s21
	s_cbranch_execz .LBB1229_1178
.LBB1229_1163:                          ;   in Loop: Header=BB1229_982 Depth=2
	v_lshlrev_b32_e32 v2, 2, v170
	ds_load_b32 v2, v2
	ds_load_b64 v[36:37], v110 offset:12288
	s_waitcnt lgkmcnt(1)
	v_add_nc_u32_e32 v2, v2, v85
	s_delay_alu instid0(VALU_DEP_1) | instskip(NEXT) | instid1(VALU_DEP_1)
	v_lshlrev_b64 v[38:39], 3, v[2:3]
	v_add_co_u32 v38, vcc_lo, s54, v38
	s_delay_alu instid0(VALU_DEP_2)
	v_add_co_ci_u32_e32 v39, vcc_lo, s55, v39, vcc_lo
	s_waitcnt lgkmcnt(0)
	global_store_b64 v[38:39], v[36:37], off
	s_or_b32 exec_lo, exec_lo, s16
	s_and_saveexec_b32 s16, s22
	s_cbranch_execnz .LBB1229_1179
.LBB1229_1164:                          ;   in Loop: Header=BB1229_982 Depth=2
	s_or_b32 exec_lo, exec_lo, s16
	s_and_saveexec_b32 s16, s23
	s_cbranch_execz .LBB1229_1180
.LBB1229_1165:                          ;   in Loop: Header=BB1229_982 Depth=2
	v_lshlrev_b32_e32 v2, 2, v168
	ds_load_b32 v2, v2
	ds_load_b64 v[36:37], v110 offset:16384
	s_waitcnt lgkmcnt(1)
	v_add_nc_u32_e32 v2, v2, v87
	s_delay_alu instid0(VALU_DEP_1) | instskip(NEXT) | instid1(VALU_DEP_1)
	v_lshlrev_b64 v[38:39], 3, v[2:3]
	v_add_co_u32 v38, vcc_lo, s54, v38
	s_delay_alu instid0(VALU_DEP_2)
	v_add_co_ci_u32_e32 v39, vcc_lo, s55, v39, vcc_lo
	s_waitcnt lgkmcnt(0)
	global_store_b64 v[38:39], v[36:37], off
	s_or_b32 exec_lo, exec_lo, s16
	s_and_saveexec_b32 s16, s24
	s_cbranch_execnz .LBB1229_1181
.LBB1229_1166:                          ;   in Loop: Header=BB1229_982 Depth=2
	s_or_b32 exec_lo, exec_lo, s16
	s_and_saveexec_b32 s16, s25
	s_cbranch_execz .LBB1229_1182
.LBB1229_1167:                          ;   in Loop: Header=BB1229_982 Depth=2
	v_lshlrev_b32_e32 v2, 2, v166
	ds_load_b32 v2, v2
	ds_load_b64 v[36:37], v110 offset:20480
	s_waitcnt lgkmcnt(1)
	v_add_nc_u32_e32 v2, v2, v89
	s_delay_alu instid0(VALU_DEP_1) | instskip(NEXT) | instid1(VALU_DEP_1)
	v_lshlrev_b64 v[38:39], 3, v[2:3]
	v_add_co_u32 v38, vcc_lo, s54, v38
	s_delay_alu instid0(VALU_DEP_2)
	v_add_co_ci_u32_e32 v39, vcc_lo, s55, v39, vcc_lo
	s_waitcnt lgkmcnt(0)
	global_store_b64 v[38:39], v[36:37], off
	s_or_b32 exec_lo, exec_lo, s16
	s_and_saveexec_b32 s16, s26
	s_cbranch_execnz .LBB1229_1183
.LBB1229_1168:                          ;   in Loop: Header=BB1229_982 Depth=2
	s_or_b32 exec_lo, exec_lo, s16
	s_and_saveexec_b32 s16, s27
	s_cbranch_execz .LBB1229_1184
.LBB1229_1169:                          ;   in Loop: Header=BB1229_982 Depth=2
	v_lshlrev_b32_e32 v2, 2, v164
	ds_load_b32 v2, v2
	ds_load_b64 v[36:37], v110 offset:24576
	s_waitcnt lgkmcnt(1)
	v_add_nc_u32_e32 v2, v2, v91
	s_delay_alu instid0(VALU_DEP_1) | instskip(NEXT) | instid1(VALU_DEP_1)
	v_lshlrev_b64 v[38:39], 3, v[2:3]
	v_add_co_u32 v38, vcc_lo, s54, v38
	s_delay_alu instid0(VALU_DEP_2)
	v_add_co_ci_u32_e32 v39, vcc_lo, s55, v39, vcc_lo
	s_waitcnt lgkmcnt(0)
	global_store_b64 v[38:39], v[36:37], off
	s_or_b32 exec_lo, exec_lo, s16
	s_and_saveexec_b32 s16, s28
	s_cbranch_execnz .LBB1229_1185
.LBB1229_1170:                          ;   in Loop: Header=BB1229_982 Depth=2
	s_or_b32 exec_lo, exec_lo, s16
	s_and_saveexec_b32 s16, s29
	s_cbranch_execz .LBB1229_1186
.LBB1229_1171:                          ;   in Loop: Header=BB1229_982 Depth=2
	v_lshlrev_b32_e32 v2, 2, v162
	ds_load_b32 v2, v2
	ds_load_b64 v[36:37], v110 offset:28672
	s_waitcnt lgkmcnt(1)
	v_add_nc_u32_e32 v2, v2, v93
	s_delay_alu instid0(VALU_DEP_1) | instskip(NEXT) | instid1(VALU_DEP_1)
	v_lshlrev_b64 v[38:39], 3, v[2:3]
	v_add_co_u32 v38, vcc_lo, s54, v38
	s_delay_alu instid0(VALU_DEP_2)
	v_add_co_ci_u32_e32 v39, vcc_lo, s55, v39, vcc_lo
	s_waitcnt lgkmcnt(0)
	global_store_b64 v[38:39], v[36:37], off
	s_or_b32 exec_lo, exec_lo, s16
	s_and_saveexec_b32 s16, s30
	s_cbranch_execnz .LBB1229_1187
	s_branch .LBB1229_1188
.LBB1229_1172:                          ;   in Loop: Header=BB1229_982 Depth=2
	s_or_b32 exec_lo, exec_lo, s31
	s_and_saveexec_b32 s31, s16
	s_cbranch_execz .LBB1229_1158
.LBB1229_1173:                          ;   in Loop: Header=BB1229_982 Depth=2
	v_lshlrev_b32_e32 v2, 2, v175
	ds_load_b32 v2, v2
	ds_load_b64 v[36:37], v110 offset:2048
	s_waitcnt lgkmcnt(1)
	v_add_nc_u32_e32 v2, v2, v77
	s_delay_alu instid0(VALU_DEP_1) | instskip(NEXT) | instid1(VALU_DEP_1)
	v_lshlrev_b64 v[38:39], 3, v[2:3]
	v_add_co_u32 v38, vcc_lo, s54, v38
	s_delay_alu instid0(VALU_DEP_2)
	v_add_co_ci_u32_e32 v39, vcc_lo, s55, v39, vcc_lo
	s_waitcnt lgkmcnt(0)
	global_store_b64 v[38:39], v[36:37], off
	s_or_b32 exec_lo, exec_lo, s31
	s_and_saveexec_b32 s16, s17
	s_cbranch_execnz .LBB1229_1159
.LBB1229_1174:                          ;   in Loop: Header=BB1229_982 Depth=2
	s_or_b32 exec_lo, exec_lo, s16
	s_and_saveexec_b32 s16, s18
	s_cbranch_execz .LBB1229_1160
.LBB1229_1175:                          ;   in Loop: Header=BB1229_982 Depth=2
	v_lshlrev_b32_e32 v2, 2, v173
	ds_load_b32 v2, v2
	ds_load_b64 v[36:37], v110 offset:6144
	s_waitcnt lgkmcnt(1)
	v_add_nc_u32_e32 v2, v2, v79
	s_delay_alu instid0(VALU_DEP_1) | instskip(NEXT) | instid1(VALU_DEP_1)
	v_lshlrev_b64 v[38:39], 3, v[2:3]
	v_add_co_u32 v38, vcc_lo, s54, v38
	s_delay_alu instid0(VALU_DEP_2)
	v_add_co_ci_u32_e32 v39, vcc_lo, s55, v39, vcc_lo
	s_waitcnt lgkmcnt(0)
	global_store_b64 v[38:39], v[36:37], off
	s_or_b32 exec_lo, exec_lo, s16
	s_and_saveexec_b32 s16, s19
	s_cbranch_execnz .LBB1229_1161
.LBB1229_1176:                          ;   in Loop: Header=BB1229_982 Depth=2
	s_or_b32 exec_lo, exec_lo, s16
	s_and_saveexec_b32 s16, s20
	s_cbranch_execz .LBB1229_1162
.LBB1229_1177:                          ;   in Loop: Header=BB1229_982 Depth=2
	v_lshlrev_b32_e32 v2, 2, v171
	ds_load_b32 v2, v2
	ds_load_b64 v[36:37], v110 offset:10240
	s_waitcnt lgkmcnt(1)
	v_add_nc_u32_e32 v2, v2, v84
	s_delay_alu instid0(VALU_DEP_1) | instskip(NEXT) | instid1(VALU_DEP_1)
	v_lshlrev_b64 v[38:39], 3, v[2:3]
	v_add_co_u32 v38, vcc_lo, s54, v38
	s_delay_alu instid0(VALU_DEP_2)
	v_add_co_ci_u32_e32 v39, vcc_lo, s55, v39, vcc_lo
	s_waitcnt lgkmcnt(0)
	global_store_b64 v[38:39], v[36:37], off
	s_or_b32 exec_lo, exec_lo, s16
	s_and_saveexec_b32 s16, s21
	s_cbranch_execnz .LBB1229_1163
.LBB1229_1178:                          ;   in Loop: Header=BB1229_982 Depth=2
	s_or_b32 exec_lo, exec_lo, s16
	s_and_saveexec_b32 s16, s22
	s_cbranch_execz .LBB1229_1164
.LBB1229_1179:                          ;   in Loop: Header=BB1229_982 Depth=2
	v_lshlrev_b32_e32 v2, 2, v169
	ds_load_b32 v2, v2
	ds_load_b64 v[36:37], v110 offset:14336
	s_waitcnt lgkmcnt(1)
	v_add_nc_u32_e32 v2, v2, v86
	s_delay_alu instid0(VALU_DEP_1) | instskip(NEXT) | instid1(VALU_DEP_1)
	v_lshlrev_b64 v[38:39], 3, v[2:3]
	v_add_co_u32 v38, vcc_lo, s54, v38
	s_delay_alu instid0(VALU_DEP_2)
	v_add_co_ci_u32_e32 v39, vcc_lo, s55, v39, vcc_lo
	s_waitcnt lgkmcnt(0)
	global_store_b64 v[38:39], v[36:37], off
	s_or_b32 exec_lo, exec_lo, s16
	s_and_saveexec_b32 s16, s23
	s_cbranch_execnz .LBB1229_1165
.LBB1229_1180:                          ;   in Loop: Header=BB1229_982 Depth=2
	s_or_b32 exec_lo, exec_lo, s16
	s_and_saveexec_b32 s16, s24
	s_cbranch_execz .LBB1229_1166
.LBB1229_1181:                          ;   in Loop: Header=BB1229_982 Depth=2
	v_lshlrev_b32_e32 v2, 2, v167
	ds_load_b32 v2, v2
	ds_load_b64 v[36:37], v110 offset:18432
	s_waitcnt lgkmcnt(1)
	v_add_nc_u32_e32 v2, v2, v88
	s_delay_alu instid0(VALU_DEP_1) | instskip(NEXT) | instid1(VALU_DEP_1)
	v_lshlrev_b64 v[38:39], 3, v[2:3]
	v_add_co_u32 v38, vcc_lo, s54, v38
	s_delay_alu instid0(VALU_DEP_2)
	v_add_co_ci_u32_e32 v39, vcc_lo, s55, v39, vcc_lo
	s_waitcnt lgkmcnt(0)
	global_store_b64 v[38:39], v[36:37], off
	s_or_b32 exec_lo, exec_lo, s16
	s_and_saveexec_b32 s16, s25
	s_cbranch_execnz .LBB1229_1167
.LBB1229_1182:                          ;   in Loop: Header=BB1229_982 Depth=2
	s_or_b32 exec_lo, exec_lo, s16
	s_and_saveexec_b32 s16, s26
	s_cbranch_execz .LBB1229_1168
.LBB1229_1183:                          ;   in Loop: Header=BB1229_982 Depth=2
	v_lshlrev_b32_e32 v2, 2, v165
	ds_load_b32 v2, v2
	ds_load_b64 v[36:37], v110 offset:22528
	s_waitcnt lgkmcnt(1)
	v_add_nc_u32_e32 v2, v2, v90
	s_delay_alu instid0(VALU_DEP_1) | instskip(NEXT) | instid1(VALU_DEP_1)
	v_lshlrev_b64 v[38:39], 3, v[2:3]
	v_add_co_u32 v38, vcc_lo, s54, v38
	s_delay_alu instid0(VALU_DEP_2)
	v_add_co_ci_u32_e32 v39, vcc_lo, s55, v39, vcc_lo
	s_waitcnt lgkmcnt(0)
	global_store_b64 v[38:39], v[36:37], off
	s_or_b32 exec_lo, exec_lo, s16
	s_and_saveexec_b32 s16, s27
	s_cbranch_execnz .LBB1229_1169
.LBB1229_1184:                          ;   in Loop: Header=BB1229_982 Depth=2
	s_or_b32 exec_lo, exec_lo, s16
	s_and_saveexec_b32 s16, s28
	s_cbranch_execz .LBB1229_1170
.LBB1229_1185:                          ;   in Loop: Header=BB1229_982 Depth=2
	v_lshlrev_b32_e32 v2, 2, v163
	ds_load_b32 v2, v2
	ds_load_b64 v[36:37], v110 offset:26624
	s_waitcnt lgkmcnt(1)
	v_add_nc_u32_e32 v2, v2, v92
	s_delay_alu instid0(VALU_DEP_1) | instskip(NEXT) | instid1(VALU_DEP_1)
	v_lshlrev_b64 v[38:39], 3, v[2:3]
	v_add_co_u32 v38, vcc_lo, s54, v38
	s_delay_alu instid0(VALU_DEP_2)
	v_add_co_ci_u32_e32 v39, vcc_lo, s55, v39, vcc_lo
	s_waitcnt lgkmcnt(0)
	global_store_b64 v[38:39], v[36:37], off
	s_or_b32 exec_lo, exec_lo, s16
	s_and_saveexec_b32 s16, s29
	s_cbranch_execnz .LBB1229_1171
.LBB1229_1186:                          ;   in Loop: Header=BB1229_982 Depth=2
	s_or_b32 exec_lo, exec_lo, s16
	s_and_saveexec_b32 s16, s30
	s_cbranch_execz .LBB1229_1188
.LBB1229_1187:                          ;   in Loop: Header=BB1229_982 Depth=2
	v_lshlrev_b32_e32 v2, 2, v161
	ds_load_b32 v2, v2
	ds_load_b64 v[36:37], v110 offset:30720
	s_waitcnt lgkmcnt(1)
	v_add_nc_u32_e32 v2, v2, v95
	s_delay_alu instid0(VALU_DEP_1) | instskip(NEXT) | instid1(VALU_DEP_1)
	v_lshlrev_b64 v[38:39], 3, v[2:3]
	v_add_co_u32 v38, vcc_lo, s54, v38
	s_delay_alu instid0(VALU_DEP_2)
	v_add_co_ci_u32_e32 v39, vcc_lo, s55, v39, vcc_lo
	s_waitcnt lgkmcnt(0)
	global_store_b64 v[38:39], v[36:37], off
.LBB1229_1188:                          ;   in Loop: Header=BB1229_982 Depth=2
	s_or_b32 exec_lo, exec_lo, s16
	s_waitcnt_vscnt null, 0x0
	s_barrier
	buffer_gl0_inv
	s_and_saveexec_b32 s16, s2
	s_cbranch_execz .LBB1229_981
; %bb.1189:                             ;   in Loop: Header=BB1229_982 Depth=2
	ds_load_b32 v2, v76
	s_waitcnt lgkmcnt(0)
	v_add_nc_u32_e32 v2, v2, v68
	ds_store_b32 v76, v2
	s_branch .LBB1229_981
.LBB1229_1190:
	s_endpgm
	.section	.rodata,"a",@progbits
	.p2align	6, 0x0
	.amdhsa_kernel _ZN7rocprim17ROCPRIM_400000_NS6detail17trampoline_kernelINS0_14default_configENS1_36segmented_radix_sort_config_selectorIdlEEZNS1_25segmented_radix_sort_implIS3_Lb0EPKdPdPKlPlN2at6native12_GLOBAL__N_18offset_tEEE10hipError_tPvRmT1_PNSt15iterator_traitsISK_E10value_typeET2_T3_PNSL_ISQ_E10value_typeET4_jRbjT5_SW_jjP12ihipStream_tbEUlT_E_NS1_11comp_targetILNS1_3genE9ELNS1_11target_archE1100ELNS1_3gpuE3ELNS1_3repE0EEENS1_30default_config_static_selectorELNS0_4arch9wavefront6targetE0EEEvSK_
		.amdhsa_group_segment_fixed_size 33824
		.amdhsa_private_segment_fixed_size 200
		.amdhsa_kernarg_size 352
		.amdhsa_user_sgpr_count 14
		.amdhsa_user_sgpr_dispatch_ptr 0
		.amdhsa_user_sgpr_queue_ptr 0
		.amdhsa_user_sgpr_kernarg_segment_ptr 1
		.amdhsa_user_sgpr_dispatch_id 0
		.amdhsa_user_sgpr_private_segment_size 0
		.amdhsa_wavefront_size32 1
		.amdhsa_uses_dynamic_stack 0
		.amdhsa_enable_private_segment 1
		.amdhsa_system_sgpr_workgroup_id_x 1
		.amdhsa_system_sgpr_workgroup_id_y 1
		.amdhsa_system_sgpr_workgroup_id_z 0
		.amdhsa_system_sgpr_workgroup_info 0
		.amdhsa_system_vgpr_workitem_id 2
		.amdhsa_next_free_vgpr 248
		.amdhsa_next_free_sgpr 66
		.amdhsa_reserve_vcc 1
		.amdhsa_float_round_mode_32 0
		.amdhsa_float_round_mode_16_64 0
		.amdhsa_float_denorm_mode_32 3
		.amdhsa_float_denorm_mode_16_64 3
		.amdhsa_dx10_clamp 1
		.amdhsa_ieee_mode 1
		.amdhsa_fp16_overflow 0
		.amdhsa_workgroup_processor_mode 1
		.amdhsa_memory_ordered 1
		.amdhsa_forward_progress 0
		.amdhsa_shared_vgpr_count 0
		.amdhsa_exception_fp_ieee_invalid_op 0
		.amdhsa_exception_fp_denorm_src 0
		.amdhsa_exception_fp_ieee_div_zero 0
		.amdhsa_exception_fp_ieee_overflow 0
		.amdhsa_exception_fp_ieee_underflow 0
		.amdhsa_exception_fp_ieee_inexact 0
		.amdhsa_exception_int_div_zero 0
	.end_amdhsa_kernel
	.section	.text._ZN7rocprim17ROCPRIM_400000_NS6detail17trampoline_kernelINS0_14default_configENS1_36segmented_radix_sort_config_selectorIdlEEZNS1_25segmented_radix_sort_implIS3_Lb0EPKdPdPKlPlN2at6native12_GLOBAL__N_18offset_tEEE10hipError_tPvRmT1_PNSt15iterator_traitsISK_E10value_typeET2_T3_PNSL_ISQ_E10value_typeET4_jRbjT5_SW_jjP12ihipStream_tbEUlT_E_NS1_11comp_targetILNS1_3genE9ELNS1_11target_archE1100ELNS1_3gpuE3ELNS1_3repE0EEENS1_30default_config_static_selectorELNS0_4arch9wavefront6targetE0EEEvSK_,"axG",@progbits,_ZN7rocprim17ROCPRIM_400000_NS6detail17trampoline_kernelINS0_14default_configENS1_36segmented_radix_sort_config_selectorIdlEEZNS1_25segmented_radix_sort_implIS3_Lb0EPKdPdPKlPlN2at6native12_GLOBAL__N_18offset_tEEE10hipError_tPvRmT1_PNSt15iterator_traitsISK_E10value_typeET2_T3_PNSL_ISQ_E10value_typeET4_jRbjT5_SW_jjP12ihipStream_tbEUlT_E_NS1_11comp_targetILNS1_3genE9ELNS1_11target_archE1100ELNS1_3gpuE3ELNS1_3repE0EEENS1_30default_config_static_selectorELNS0_4arch9wavefront6targetE0EEEvSK_,comdat
.Lfunc_end1229:
	.size	_ZN7rocprim17ROCPRIM_400000_NS6detail17trampoline_kernelINS0_14default_configENS1_36segmented_radix_sort_config_selectorIdlEEZNS1_25segmented_radix_sort_implIS3_Lb0EPKdPdPKlPlN2at6native12_GLOBAL__N_18offset_tEEE10hipError_tPvRmT1_PNSt15iterator_traitsISK_E10value_typeET2_T3_PNSL_ISQ_E10value_typeET4_jRbjT5_SW_jjP12ihipStream_tbEUlT_E_NS1_11comp_targetILNS1_3genE9ELNS1_11target_archE1100ELNS1_3gpuE3ELNS1_3repE0EEENS1_30default_config_static_selectorELNS0_4arch9wavefront6targetE0EEEvSK_, .Lfunc_end1229-_ZN7rocprim17ROCPRIM_400000_NS6detail17trampoline_kernelINS0_14default_configENS1_36segmented_radix_sort_config_selectorIdlEEZNS1_25segmented_radix_sort_implIS3_Lb0EPKdPdPKlPlN2at6native12_GLOBAL__N_18offset_tEEE10hipError_tPvRmT1_PNSt15iterator_traitsISK_E10value_typeET2_T3_PNSL_ISQ_E10value_typeET4_jRbjT5_SW_jjP12ihipStream_tbEUlT_E_NS1_11comp_targetILNS1_3genE9ELNS1_11target_archE1100ELNS1_3gpuE3ELNS1_3repE0EEENS1_30default_config_static_selectorELNS0_4arch9wavefront6targetE0EEEvSK_
                                        ; -- End function
	.section	.AMDGPU.csdata,"",@progbits
; Kernel info:
; codeLenInByte = 82072
; NumSgprs: 68
; NumVgprs: 248
; ScratchSize: 200
; MemoryBound: 0
; FloatMode: 240
; IeeeMode: 1
; LDSByteSize: 33824 bytes/workgroup (compile time only)
; SGPRBlocks: 8
; VGPRBlocks: 30
; NumSGPRsForWavesPerEU: 68
; NumVGPRsForWavesPerEU: 248
; Occupancy: 5
; WaveLimiterHint : 1
; COMPUTE_PGM_RSRC2:SCRATCH_EN: 1
; COMPUTE_PGM_RSRC2:USER_SGPR: 14
; COMPUTE_PGM_RSRC2:TRAP_HANDLER: 0
; COMPUTE_PGM_RSRC2:TGID_X_EN: 1
; COMPUTE_PGM_RSRC2:TGID_Y_EN: 1
; COMPUTE_PGM_RSRC2:TGID_Z_EN: 0
; COMPUTE_PGM_RSRC2:TIDIG_COMP_CNT: 2
	.section	.text._ZN7rocprim17ROCPRIM_400000_NS6detail17trampoline_kernelINS0_14default_configENS1_36segmented_radix_sort_config_selectorIdlEEZNS1_25segmented_radix_sort_implIS3_Lb0EPKdPdPKlPlN2at6native12_GLOBAL__N_18offset_tEEE10hipError_tPvRmT1_PNSt15iterator_traitsISK_E10value_typeET2_T3_PNSL_ISQ_E10value_typeET4_jRbjT5_SW_jjP12ihipStream_tbEUlT_E_NS1_11comp_targetILNS1_3genE8ELNS1_11target_archE1030ELNS1_3gpuE2ELNS1_3repE0EEENS1_30default_config_static_selectorELNS0_4arch9wavefront6targetE0EEEvSK_,"axG",@progbits,_ZN7rocprim17ROCPRIM_400000_NS6detail17trampoline_kernelINS0_14default_configENS1_36segmented_radix_sort_config_selectorIdlEEZNS1_25segmented_radix_sort_implIS3_Lb0EPKdPdPKlPlN2at6native12_GLOBAL__N_18offset_tEEE10hipError_tPvRmT1_PNSt15iterator_traitsISK_E10value_typeET2_T3_PNSL_ISQ_E10value_typeET4_jRbjT5_SW_jjP12ihipStream_tbEUlT_E_NS1_11comp_targetILNS1_3genE8ELNS1_11target_archE1030ELNS1_3gpuE2ELNS1_3repE0EEENS1_30default_config_static_selectorELNS0_4arch9wavefront6targetE0EEEvSK_,comdat
	.globl	_ZN7rocprim17ROCPRIM_400000_NS6detail17trampoline_kernelINS0_14default_configENS1_36segmented_radix_sort_config_selectorIdlEEZNS1_25segmented_radix_sort_implIS3_Lb0EPKdPdPKlPlN2at6native12_GLOBAL__N_18offset_tEEE10hipError_tPvRmT1_PNSt15iterator_traitsISK_E10value_typeET2_T3_PNSL_ISQ_E10value_typeET4_jRbjT5_SW_jjP12ihipStream_tbEUlT_E_NS1_11comp_targetILNS1_3genE8ELNS1_11target_archE1030ELNS1_3gpuE2ELNS1_3repE0EEENS1_30default_config_static_selectorELNS0_4arch9wavefront6targetE0EEEvSK_ ; -- Begin function _ZN7rocprim17ROCPRIM_400000_NS6detail17trampoline_kernelINS0_14default_configENS1_36segmented_radix_sort_config_selectorIdlEEZNS1_25segmented_radix_sort_implIS3_Lb0EPKdPdPKlPlN2at6native12_GLOBAL__N_18offset_tEEE10hipError_tPvRmT1_PNSt15iterator_traitsISK_E10value_typeET2_T3_PNSL_ISQ_E10value_typeET4_jRbjT5_SW_jjP12ihipStream_tbEUlT_E_NS1_11comp_targetILNS1_3genE8ELNS1_11target_archE1030ELNS1_3gpuE2ELNS1_3repE0EEENS1_30default_config_static_selectorELNS0_4arch9wavefront6targetE0EEEvSK_
	.p2align	8
	.type	_ZN7rocprim17ROCPRIM_400000_NS6detail17trampoline_kernelINS0_14default_configENS1_36segmented_radix_sort_config_selectorIdlEEZNS1_25segmented_radix_sort_implIS3_Lb0EPKdPdPKlPlN2at6native12_GLOBAL__N_18offset_tEEE10hipError_tPvRmT1_PNSt15iterator_traitsISK_E10value_typeET2_T3_PNSL_ISQ_E10value_typeET4_jRbjT5_SW_jjP12ihipStream_tbEUlT_E_NS1_11comp_targetILNS1_3genE8ELNS1_11target_archE1030ELNS1_3gpuE2ELNS1_3repE0EEENS1_30default_config_static_selectorELNS0_4arch9wavefront6targetE0EEEvSK_,@function
_ZN7rocprim17ROCPRIM_400000_NS6detail17trampoline_kernelINS0_14default_configENS1_36segmented_radix_sort_config_selectorIdlEEZNS1_25segmented_radix_sort_implIS3_Lb0EPKdPdPKlPlN2at6native12_GLOBAL__N_18offset_tEEE10hipError_tPvRmT1_PNSt15iterator_traitsISK_E10value_typeET2_T3_PNSL_ISQ_E10value_typeET4_jRbjT5_SW_jjP12ihipStream_tbEUlT_E_NS1_11comp_targetILNS1_3genE8ELNS1_11target_archE1030ELNS1_3gpuE2ELNS1_3repE0EEENS1_30default_config_static_selectorELNS0_4arch9wavefront6targetE0EEEvSK_: ; @_ZN7rocprim17ROCPRIM_400000_NS6detail17trampoline_kernelINS0_14default_configENS1_36segmented_radix_sort_config_selectorIdlEEZNS1_25segmented_radix_sort_implIS3_Lb0EPKdPdPKlPlN2at6native12_GLOBAL__N_18offset_tEEE10hipError_tPvRmT1_PNSt15iterator_traitsISK_E10value_typeET2_T3_PNSL_ISQ_E10value_typeET4_jRbjT5_SW_jjP12ihipStream_tbEUlT_E_NS1_11comp_targetILNS1_3genE8ELNS1_11target_archE1030ELNS1_3gpuE2ELNS1_3repE0EEENS1_30default_config_static_selectorELNS0_4arch9wavefront6targetE0EEEvSK_
; %bb.0:
	.section	.rodata,"a",@progbits
	.p2align	6, 0x0
	.amdhsa_kernel _ZN7rocprim17ROCPRIM_400000_NS6detail17trampoline_kernelINS0_14default_configENS1_36segmented_radix_sort_config_selectorIdlEEZNS1_25segmented_radix_sort_implIS3_Lb0EPKdPdPKlPlN2at6native12_GLOBAL__N_18offset_tEEE10hipError_tPvRmT1_PNSt15iterator_traitsISK_E10value_typeET2_T3_PNSL_ISQ_E10value_typeET4_jRbjT5_SW_jjP12ihipStream_tbEUlT_E_NS1_11comp_targetILNS1_3genE8ELNS1_11target_archE1030ELNS1_3gpuE2ELNS1_3repE0EEENS1_30default_config_static_selectorELNS0_4arch9wavefront6targetE0EEEvSK_
		.amdhsa_group_segment_fixed_size 0
		.amdhsa_private_segment_fixed_size 0
		.amdhsa_kernarg_size 96
		.amdhsa_user_sgpr_count 15
		.amdhsa_user_sgpr_dispatch_ptr 0
		.amdhsa_user_sgpr_queue_ptr 0
		.amdhsa_user_sgpr_kernarg_segment_ptr 1
		.amdhsa_user_sgpr_dispatch_id 0
		.amdhsa_user_sgpr_private_segment_size 0
		.amdhsa_wavefront_size32 1
		.amdhsa_uses_dynamic_stack 0
		.amdhsa_enable_private_segment 0
		.amdhsa_system_sgpr_workgroup_id_x 1
		.amdhsa_system_sgpr_workgroup_id_y 0
		.amdhsa_system_sgpr_workgroup_id_z 0
		.amdhsa_system_sgpr_workgroup_info 0
		.amdhsa_system_vgpr_workitem_id 0
		.amdhsa_next_free_vgpr 1
		.amdhsa_next_free_sgpr 1
		.amdhsa_reserve_vcc 0
		.amdhsa_float_round_mode_32 0
		.amdhsa_float_round_mode_16_64 0
		.amdhsa_float_denorm_mode_32 3
		.amdhsa_float_denorm_mode_16_64 3
		.amdhsa_dx10_clamp 1
		.amdhsa_ieee_mode 1
		.amdhsa_fp16_overflow 0
		.amdhsa_workgroup_processor_mode 1
		.amdhsa_memory_ordered 1
		.amdhsa_forward_progress 0
		.amdhsa_shared_vgpr_count 0
		.amdhsa_exception_fp_ieee_invalid_op 0
		.amdhsa_exception_fp_denorm_src 0
		.amdhsa_exception_fp_ieee_div_zero 0
		.amdhsa_exception_fp_ieee_overflow 0
		.amdhsa_exception_fp_ieee_underflow 0
		.amdhsa_exception_fp_ieee_inexact 0
		.amdhsa_exception_int_div_zero 0
	.end_amdhsa_kernel
	.section	.text._ZN7rocprim17ROCPRIM_400000_NS6detail17trampoline_kernelINS0_14default_configENS1_36segmented_radix_sort_config_selectorIdlEEZNS1_25segmented_radix_sort_implIS3_Lb0EPKdPdPKlPlN2at6native12_GLOBAL__N_18offset_tEEE10hipError_tPvRmT1_PNSt15iterator_traitsISK_E10value_typeET2_T3_PNSL_ISQ_E10value_typeET4_jRbjT5_SW_jjP12ihipStream_tbEUlT_E_NS1_11comp_targetILNS1_3genE8ELNS1_11target_archE1030ELNS1_3gpuE2ELNS1_3repE0EEENS1_30default_config_static_selectorELNS0_4arch9wavefront6targetE0EEEvSK_,"axG",@progbits,_ZN7rocprim17ROCPRIM_400000_NS6detail17trampoline_kernelINS0_14default_configENS1_36segmented_radix_sort_config_selectorIdlEEZNS1_25segmented_radix_sort_implIS3_Lb0EPKdPdPKlPlN2at6native12_GLOBAL__N_18offset_tEEE10hipError_tPvRmT1_PNSt15iterator_traitsISK_E10value_typeET2_T3_PNSL_ISQ_E10value_typeET4_jRbjT5_SW_jjP12ihipStream_tbEUlT_E_NS1_11comp_targetILNS1_3genE8ELNS1_11target_archE1030ELNS1_3gpuE2ELNS1_3repE0EEENS1_30default_config_static_selectorELNS0_4arch9wavefront6targetE0EEEvSK_,comdat
.Lfunc_end1230:
	.size	_ZN7rocprim17ROCPRIM_400000_NS6detail17trampoline_kernelINS0_14default_configENS1_36segmented_radix_sort_config_selectorIdlEEZNS1_25segmented_radix_sort_implIS3_Lb0EPKdPdPKlPlN2at6native12_GLOBAL__N_18offset_tEEE10hipError_tPvRmT1_PNSt15iterator_traitsISK_E10value_typeET2_T3_PNSL_ISQ_E10value_typeET4_jRbjT5_SW_jjP12ihipStream_tbEUlT_E_NS1_11comp_targetILNS1_3genE8ELNS1_11target_archE1030ELNS1_3gpuE2ELNS1_3repE0EEENS1_30default_config_static_selectorELNS0_4arch9wavefront6targetE0EEEvSK_, .Lfunc_end1230-_ZN7rocprim17ROCPRIM_400000_NS6detail17trampoline_kernelINS0_14default_configENS1_36segmented_radix_sort_config_selectorIdlEEZNS1_25segmented_radix_sort_implIS3_Lb0EPKdPdPKlPlN2at6native12_GLOBAL__N_18offset_tEEE10hipError_tPvRmT1_PNSt15iterator_traitsISK_E10value_typeET2_T3_PNSL_ISQ_E10value_typeET4_jRbjT5_SW_jjP12ihipStream_tbEUlT_E_NS1_11comp_targetILNS1_3genE8ELNS1_11target_archE1030ELNS1_3gpuE2ELNS1_3repE0EEENS1_30default_config_static_selectorELNS0_4arch9wavefront6targetE0EEEvSK_
                                        ; -- End function
	.section	.AMDGPU.csdata,"",@progbits
; Kernel info:
; codeLenInByte = 0
; NumSgprs: 0
; NumVgprs: 0
; ScratchSize: 0
; MemoryBound: 0
; FloatMode: 240
; IeeeMode: 1
; LDSByteSize: 0 bytes/workgroup (compile time only)
; SGPRBlocks: 0
; VGPRBlocks: 0
; NumSGPRsForWavesPerEU: 1
; NumVGPRsForWavesPerEU: 1
; Occupancy: 16
; WaveLimiterHint : 0
; COMPUTE_PGM_RSRC2:SCRATCH_EN: 0
; COMPUTE_PGM_RSRC2:USER_SGPR: 15
; COMPUTE_PGM_RSRC2:TRAP_HANDLER: 0
; COMPUTE_PGM_RSRC2:TGID_X_EN: 1
; COMPUTE_PGM_RSRC2:TGID_Y_EN: 0
; COMPUTE_PGM_RSRC2:TGID_Z_EN: 0
; COMPUTE_PGM_RSRC2:TIDIG_COMP_CNT: 0
	.section	.text._ZN7rocprim17ROCPRIM_400000_NS6detail17trampoline_kernelINS0_14default_configENS1_36segmented_radix_sort_config_selectorIdlEEZNS1_25segmented_radix_sort_implIS3_Lb0EPKdPdPKlPlN2at6native12_GLOBAL__N_18offset_tEEE10hipError_tPvRmT1_PNSt15iterator_traitsISK_E10value_typeET2_T3_PNSL_ISQ_E10value_typeET4_jRbjT5_SW_jjP12ihipStream_tbEUlT_E0_NS1_11comp_targetILNS1_3genE0ELNS1_11target_archE4294967295ELNS1_3gpuE0ELNS1_3repE0EEENS1_60segmented_radix_sort_warp_sort_medium_config_static_selectorELNS0_4arch9wavefront6targetE0EEEvSK_,"axG",@progbits,_ZN7rocprim17ROCPRIM_400000_NS6detail17trampoline_kernelINS0_14default_configENS1_36segmented_radix_sort_config_selectorIdlEEZNS1_25segmented_radix_sort_implIS3_Lb0EPKdPdPKlPlN2at6native12_GLOBAL__N_18offset_tEEE10hipError_tPvRmT1_PNSt15iterator_traitsISK_E10value_typeET2_T3_PNSL_ISQ_E10value_typeET4_jRbjT5_SW_jjP12ihipStream_tbEUlT_E0_NS1_11comp_targetILNS1_3genE0ELNS1_11target_archE4294967295ELNS1_3gpuE0ELNS1_3repE0EEENS1_60segmented_radix_sort_warp_sort_medium_config_static_selectorELNS0_4arch9wavefront6targetE0EEEvSK_,comdat
	.globl	_ZN7rocprim17ROCPRIM_400000_NS6detail17trampoline_kernelINS0_14default_configENS1_36segmented_radix_sort_config_selectorIdlEEZNS1_25segmented_radix_sort_implIS3_Lb0EPKdPdPKlPlN2at6native12_GLOBAL__N_18offset_tEEE10hipError_tPvRmT1_PNSt15iterator_traitsISK_E10value_typeET2_T3_PNSL_ISQ_E10value_typeET4_jRbjT5_SW_jjP12ihipStream_tbEUlT_E0_NS1_11comp_targetILNS1_3genE0ELNS1_11target_archE4294967295ELNS1_3gpuE0ELNS1_3repE0EEENS1_60segmented_radix_sort_warp_sort_medium_config_static_selectorELNS0_4arch9wavefront6targetE0EEEvSK_ ; -- Begin function _ZN7rocprim17ROCPRIM_400000_NS6detail17trampoline_kernelINS0_14default_configENS1_36segmented_radix_sort_config_selectorIdlEEZNS1_25segmented_radix_sort_implIS3_Lb0EPKdPdPKlPlN2at6native12_GLOBAL__N_18offset_tEEE10hipError_tPvRmT1_PNSt15iterator_traitsISK_E10value_typeET2_T3_PNSL_ISQ_E10value_typeET4_jRbjT5_SW_jjP12ihipStream_tbEUlT_E0_NS1_11comp_targetILNS1_3genE0ELNS1_11target_archE4294967295ELNS1_3gpuE0ELNS1_3repE0EEENS1_60segmented_radix_sort_warp_sort_medium_config_static_selectorELNS0_4arch9wavefront6targetE0EEEvSK_
	.p2align	8
	.type	_ZN7rocprim17ROCPRIM_400000_NS6detail17trampoline_kernelINS0_14default_configENS1_36segmented_radix_sort_config_selectorIdlEEZNS1_25segmented_radix_sort_implIS3_Lb0EPKdPdPKlPlN2at6native12_GLOBAL__N_18offset_tEEE10hipError_tPvRmT1_PNSt15iterator_traitsISK_E10value_typeET2_T3_PNSL_ISQ_E10value_typeET4_jRbjT5_SW_jjP12ihipStream_tbEUlT_E0_NS1_11comp_targetILNS1_3genE0ELNS1_11target_archE4294967295ELNS1_3gpuE0ELNS1_3repE0EEENS1_60segmented_radix_sort_warp_sort_medium_config_static_selectorELNS0_4arch9wavefront6targetE0EEEvSK_,@function
_ZN7rocprim17ROCPRIM_400000_NS6detail17trampoline_kernelINS0_14default_configENS1_36segmented_radix_sort_config_selectorIdlEEZNS1_25segmented_radix_sort_implIS3_Lb0EPKdPdPKlPlN2at6native12_GLOBAL__N_18offset_tEEE10hipError_tPvRmT1_PNSt15iterator_traitsISK_E10value_typeET2_T3_PNSL_ISQ_E10value_typeET4_jRbjT5_SW_jjP12ihipStream_tbEUlT_E0_NS1_11comp_targetILNS1_3genE0ELNS1_11target_archE4294967295ELNS1_3gpuE0ELNS1_3repE0EEENS1_60segmented_radix_sort_warp_sort_medium_config_static_selectorELNS0_4arch9wavefront6targetE0EEEvSK_: ; @_ZN7rocprim17ROCPRIM_400000_NS6detail17trampoline_kernelINS0_14default_configENS1_36segmented_radix_sort_config_selectorIdlEEZNS1_25segmented_radix_sort_implIS3_Lb0EPKdPdPKlPlN2at6native12_GLOBAL__N_18offset_tEEE10hipError_tPvRmT1_PNSt15iterator_traitsISK_E10value_typeET2_T3_PNSL_ISQ_E10value_typeET4_jRbjT5_SW_jjP12ihipStream_tbEUlT_E0_NS1_11comp_targetILNS1_3genE0ELNS1_11target_archE4294967295ELNS1_3gpuE0ELNS1_3repE0EEENS1_60segmented_radix_sort_warp_sort_medium_config_static_selectorELNS0_4arch9wavefront6targetE0EEEvSK_
; %bb.0:
	.section	.rodata,"a",@progbits
	.p2align	6, 0x0
	.amdhsa_kernel _ZN7rocprim17ROCPRIM_400000_NS6detail17trampoline_kernelINS0_14default_configENS1_36segmented_radix_sort_config_selectorIdlEEZNS1_25segmented_radix_sort_implIS3_Lb0EPKdPdPKlPlN2at6native12_GLOBAL__N_18offset_tEEE10hipError_tPvRmT1_PNSt15iterator_traitsISK_E10value_typeET2_T3_PNSL_ISQ_E10value_typeET4_jRbjT5_SW_jjP12ihipStream_tbEUlT_E0_NS1_11comp_targetILNS1_3genE0ELNS1_11target_archE4294967295ELNS1_3gpuE0ELNS1_3repE0EEENS1_60segmented_radix_sort_warp_sort_medium_config_static_selectorELNS0_4arch9wavefront6targetE0EEEvSK_
		.amdhsa_group_segment_fixed_size 0
		.amdhsa_private_segment_fixed_size 0
		.amdhsa_kernarg_size 88
		.amdhsa_user_sgpr_count 15
		.amdhsa_user_sgpr_dispatch_ptr 0
		.amdhsa_user_sgpr_queue_ptr 0
		.amdhsa_user_sgpr_kernarg_segment_ptr 1
		.amdhsa_user_sgpr_dispatch_id 0
		.amdhsa_user_sgpr_private_segment_size 0
		.amdhsa_wavefront_size32 1
		.amdhsa_uses_dynamic_stack 0
		.amdhsa_enable_private_segment 0
		.amdhsa_system_sgpr_workgroup_id_x 1
		.amdhsa_system_sgpr_workgroup_id_y 0
		.amdhsa_system_sgpr_workgroup_id_z 0
		.amdhsa_system_sgpr_workgroup_info 0
		.amdhsa_system_vgpr_workitem_id 0
		.amdhsa_next_free_vgpr 1
		.amdhsa_next_free_sgpr 1
		.amdhsa_reserve_vcc 0
		.amdhsa_float_round_mode_32 0
		.amdhsa_float_round_mode_16_64 0
		.amdhsa_float_denorm_mode_32 3
		.amdhsa_float_denorm_mode_16_64 3
		.amdhsa_dx10_clamp 1
		.amdhsa_ieee_mode 1
		.amdhsa_fp16_overflow 0
		.amdhsa_workgroup_processor_mode 1
		.amdhsa_memory_ordered 1
		.amdhsa_forward_progress 0
		.amdhsa_shared_vgpr_count 0
		.amdhsa_exception_fp_ieee_invalid_op 0
		.amdhsa_exception_fp_denorm_src 0
		.amdhsa_exception_fp_ieee_div_zero 0
		.amdhsa_exception_fp_ieee_overflow 0
		.amdhsa_exception_fp_ieee_underflow 0
		.amdhsa_exception_fp_ieee_inexact 0
		.amdhsa_exception_int_div_zero 0
	.end_amdhsa_kernel
	.section	.text._ZN7rocprim17ROCPRIM_400000_NS6detail17trampoline_kernelINS0_14default_configENS1_36segmented_radix_sort_config_selectorIdlEEZNS1_25segmented_radix_sort_implIS3_Lb0EPKdPdPKlPlN2at6native12_GLOBAL__N_18offset_tEEE10hipError_tPvRmT1_PNSt15iterator_traitsISK_E10value_typeET2_T3_PNSL_ISQ_E10value_typeET4_jRbjT5_SW_jjP12ihipStream_tbEUlT_E0_NS1_11comp_targetILNS1_3genE0ELNS1_11target_archE4294967295ELNS1_3gpuE0ELNS1_3repE0EEENS1_60segmented_radix_sort_warp_sort_medium_config_static_selectorELNS0_4arch9wavefront6targetE0EEEvSK_,"axG",@progbits,_ZN7rocprim17ROCPRIM_400000_NS6detail17trampoline_kernelINS0_14default_configENS1_36segmented_radix_sort_config_selectorIdlEEZNS1_25segmented_radix_sort_implIS3_Lb0EPKdPdPKlPlN2at6native12_GLOBAL__N_18offset_tEEE10hipError_tPvRmT1_PNSt15iterator_traitsISK_E10value_typeET2_T3_PNSL_ISQ_E10value_typeET4_jRbjT5_SW_jjP12ihipStream_tbEUlT_E0_NS1_11comp_targetILNS1_3genE0ELNS1_11target_archE4294967295ELNS1_3gpuE0ELNS1_3repE0EEENS1_60segmented_radix_sort_warp_sort_medium_config_static_selectorELNS0_4arch9wavefront6targetE0EEEvSK_,comdat
.Lfunc_end1231:
	.size	_ZN7rocprim17ROCPRIM_400000_NS6detail17trampoline_kernelINS0_14default_configENS1_36segmented_radix_sort_config_selectorIdlEEZNS1_25segmented_radix_sort_implIS3_Lb0EPKdPdPKlPlN2at6native12_GLOBAL__N_18offset_tEEE10hipError_tPvRmT1_PNSt15iterator_traitsISK_E10value_typeET2_T3_PNSL_ISQ_E10value_typeET4_jRbjT5_SW_jjP12ihipStream_tbEUlT_E0_NS1_11comp_targetILNS1_3genE0ELNS1_11target_archE4294967295ELNS1_3gpuE0ELNS1_3repE0EEENS1_60segmented_radix_sort_warp_sort_medium_config_static_selectorELNS0_4arch9wavefront6targetE0EEEvSK_, .Lfunc_end1231-_ZN7rocprim17ROCPRIM_400000_NS6detail17trampoline_kernelINS0_14default_configENS1_36segmented_radix_sort_config_selectorIdlEEZNS1_25segmented_radix_sort_implIS3_Lb0EPKdPdPKlPlN2at6native12_GLOBAL__N_18offset_tEEE10hipError_tPvRmT1_PNSt15iterator_traitsISK_E10value_typeET2_T3_PNSL_ISQ_E10value_typeET4_jRbjT5_SW_jjP12ihipStream_tbEUlT_E0_NS1_11comp_targetILNS1_3genE0ELNS1_11target_archE4294967295ELNS1_3gpuE0ELNS1_3repE0EEENS1_60segmented_radix_sort_warp_sort_medium_config_static_selectorELNS0_4arch9wavefront6targetE0EEEvSK_
                                        ; -- End function
	.section	.AMDGPU.csdata,"",@progbits
; Kernel info:
; codeLenInByte = 0
; NumSgprs: 0
; NumVgprs: 0
; ScratchSize: 0
; MemoryBound: 0
; FloatMode: 240
; IeeeMode: 1
; LDSByteSize: 0 bytes/workgroup (compile time only)
; SGPRBlocks: 0
; VGPRBlocks: 0
; NumSGPRsForWavesPerEU: 1
; NumVGPRsForWavesPerEU: 1
; Occupancy: 16
; WaveLimiterHint : 0
; COMPUTE_PGM_RSRC2:SCRATCH_EN: 0
; COMPUTE_PGM_RSRC2:USER_SGPR: 15
; COMPUTE_PGM_RSRC2:TRAP_HANDLER: 0
; COMPUTE_PGM_RSRC2:TGID_X_EN: 1
; COMPUTE_PGM_RSRC2:TGID_Y_EN: 0
; COMPUTE_PGM_RSRC2:TGID_Z_EN: 0
; COMPUTE_PGM_RSRC2:TIDIG_COMP_CNT: 0
	.section	.text._ZN7rocprim17ROCPRIM_400000_NS6detail17trampoline_kernelINS0_14default_configENS1_36segmented_radix_sort_config_selectorIdlEEZNS1_25segmented_radix_sort_implIS3_Lb0EPKdPdPKlPlN2at6native12_GLOBAL__N_18offset_tEEE10hipError_tPvRmT1_PNSt15iterator_traitsISK_E10value_typeET2_T3_PNSL_ISQ_E10value_typeET4_jRbjT5_SW_jjP12ihipStream_tbEUlT_E0_NS1_11comp_targetILNS1_3genE5ELNS1_11target_archE942ELNS1_3gpuE9ELNS1_3repE0EEENS1_60segmented_radix_sort_warp_sort_medium_config_static_selectorELNS0_4arch9wavefront6targetE0EEEvSK_,"axG",@progbits,_ZN7rocprim17ROCPRIM_400000_NS6detail17trampoline_kernelINS0_14default_configENS1_36segmented_radix_sort_config_selectorIdlEEZNS1_25segmented_radix_sort_implIS3_Lb0EPKdPdPKlPlN2at6native12_GLOBAL__N_18offset_tEEE10hipError_tPvRmT1_PNSt15iterator_traitsISK_E10value_typeET2_T3_PNSL_ISQ_E10value_typeET4_jRbjT5_SW_jjP12ihipStream_tbEUlT_E0_NS1_11comp_targetILNS1_3genE5ELNS1_11target_archE942ELNS1_3gpuE9ELNS1_3repE0EEENS1_60segmented_radix_sort_warp_sort_medium_config_static_selectorELNS0_4arch9wavefront6targetE0EEEvSK_,comdat
	.globl	_ZN7rocprim17ROCPRIM_400000_NS6detail17trampoline_kernelINS0_14default_configENS1_36segmented_radix_sort_config_selectorIdlEEZNS1_25segmented_radix_sort_implIS3_Lb0EPKdPdPKlPlN2at6native12_GLOBAL__N_18offset_tEEE10hipError_tPvRmT1_PNSt15iterator_traitsISK_E10value_typeET2_T3_PNSL_ISQ_E10value_typeET4_jRbjT5_SW_jjP12ihipStream_tbEUlT_E0_NS1_11comp_targetILNS1_3genE5ELNS1_11target_archE942ELNS1_3gpuE9ELNS1_3repE0EEENS1_60segmented_radix_sort_warp_sort_medium_config_static_selectorELNS0_4arch9wavefront6targetE0EEEvSK_ ; -- Begin function _ZN7rocprim17ROCPRIM_400000_NS6detail17trampoline_kernelINS0_14default_configENS1_36segmented_radix_sort_config_selectorIdlEEZNS1_25segmented_radix_sort_implIS3_Lb0EPKdPdPKlPlN2at6native12_GLOBAL__N_18offset_tEEE10hipError_tPvRmT1_PNSt15iterator_traitsISK_E10value_typeET2_T3_PNSL_ISQ_E10value_typeET4_jRbjT5_SW_jjP12ihipStream_tbEUlT_E0_NS1_11comp_targetILNS1_3genE5ELNS1_11target_archE942ELNS1_3gpuE9ELNS1_3repE0EEENS1_60segmented_radix_sort_warp_sort_medium_config_static_selectorELNS0_4arch9wavefront6targetE0EEEvSK_
	.p2align	8
	.type	_ZN7rocprim17ROCPRIM_400000_NS6detail17trampoline_kernelINS0_14default_configENS1_36segmented_radix_sort_config_selectorIdlEEZNS1_25segmented_radix_sort_implIS3_Lb0EPKdPdPKlPlN2at6native12_GLOBAL__N_18offset_tEEE10hipError_tPvRmT1_PNSt15iterator_traitsISK_E10value_typeET2_T3_PNSL_ISQ_E10value_typeET4_jRbjT5_SW_jjP12ihipStream_tbEUlT_E0_NS1_11comp_targetILNS1_3genE5ELNS1_11target_archE942ELNS1_3gpuE9ELNS1_3repE0EEENS1_60segmented_radix_sort_warp_sort_medium_config_static_selectorELNS0_4arch9wavefront6targetE0EEEvSK_,@function
_ZN7rocprim17ROCPRIM_400000_NS6detail17trampoline_kernelINS0_14default_configENS1_36segmented_radix_sort_config_selectorIdlEEZNS1_25segmented_radix_sort_implIS3_Lb0EPKdPdPKlPlN2at6native12_GLOBAL__N_18offset_tEEE10hipError_tPvRmT1_PNSt15iterator_traitsISK_E10value_typeET2_T3_PNSL_ISQ_E10value_typeET4_jRbjT5_SW_jjP12ihipStream_tbEUlT_E0_NS1_11comp_targetILNS1_3genE5ELNS1_11target_archE942ELNS1_3gpuE9ELNS1_3repE0EEENS1_60segmented_radix_sort_warp_sort_medium_config_static_selectorELNS0_4arch9wavefront6targetE0EEEvSK_: ; @_ZN7rocprim17ROCPRIM_400000_NS6detail17trampoline_kernelINS0_14default_configENS1_36segmented_radix_sort_config_selectorIdlEEZNS1_25segmented_radix_sort_implIS3_Lb0EPKdPdPKlPlN2at6native12_GLOBAL__N_18offset_tEEE10hipError_tPvRmT1_PNSt15iterator_traitsISK_E10value_typeET2_T3_PNSL_ISQ_E10value_typeET4_jRbjT5_SW_jjP12ihipStream_tbEUlT_E0_NS1_11comp_targetILNS1_3genE5ELNS1_11target_archE942ELNS1_3gpuE9ELNS1_3repE0EEENS1_60segmented_radix_sort_warp_sort_medium_config_static_selectorELNS0_4arch9wavefront6targetE0EEEvSK_
; %bb.0:
	.section	.rodata,"a",@progbits
	.p2align	6, 0x0
	.amdhsa_kernel _ZN7rocprim17ROCPRIM_400000_NS6detail17trampoline_kernelINS0_14default_configENS1_36segmented_radix_sort_config_selectorIdlEEZNS1_25segmented_radix_sort_implIS3_Lb0EPKdPdPKlPlN2at6native12_GLOBAL__N_18offset_tEEE10hipError_tPvRmT1_PNSt15iterator_traitsISK_E10value_typeET2_T3_PNSL_ISQ_E10value_typeET4_jRbjT5_SW_jjP12ihipStream_tbEUlT_E0_NS1_11comp_targetILNS1_3genE5ELNS1_11target_archE942ELNS1_3gpuE9ELNS1_3repE0EEENS1_60segmented_radix_sort_warp_sort_medium_config_static_selectorELNS0_4arch9wavefront6targetE0EEEvSK_
		.amdhsa_group_segment_fixed_size 0
		.amdhsa_private_segment_fixed_size 0
		.amdhsa_kernarg_size 88
		.amdhsa_user_sgpr_count 15
		.amdhsa_user_sgpr_dispatch_ptr 0
		.amdhsa_user_sgpr_queue_ptr 0
		.amdhsa_user_sgpr_kernarg_segment_ptr 1
		.amdhsa_user_sgpr_dispatch_id 0
		.amdhsa_user_sgpr_private_segment_size 0
		.amdhsa_wavefront_size32 1
		.amdhsa_uses_dynamic_stack 0
		.amdhsa_enable_private_segment 0
		.amdhsa_system_sgpr_workgroup_id_x 1
		.amdhsa_system_sgpr_workgroup_id_y 0
		.amdhsa_system_sgpr_workgroup_id_z 0
		.amdhsa_system_sgpr_workgroup_info 0
		.amdhsa_system_vgpr_workitem_id 0
		.amdhsa_next_free_vgpr 1
		.amdhsa_next_free_sgpr 1
		.amdhsa_reserve_vcc 0
		.amdhsa_float_round_mode_32 0
		.amdhsa_float_round_mode_16_64 0
		.amdhsa_float_denorm_mode_32 3
		.amdhsa_float_denorm_mode_16_64 3
		.amdhsa_dx10_clamp 1
		.amdhsa_ieee_mode 1
		.amdhsa_fp16_overflow 0
		.amdhsa_workgroup_processor_mode 1
		.amdhsa_memory_ordered 1
		.amdhsa_forward_progress 0
		.amdhsa_shared_vgpr_count 0
		.amdhsa_exception_fp_ieee_invalid_op 0
		.amdhsa_exception_fp_denorm_src 0
		.amdhsa_exception_fp_ieee_div_zero 0
		.amdhsa_exception_fp_ieee_overflow 0
		.amdhsa_exception_fp_ieee_underflow 0
		.amdhsa_exception_fp_ieee_inexact 0
		.amdhsa_exception_int_div_zero 0
	.end_amdhsa_kernel
	.section	.text._ZN7rocprim17ROCPRIM_400000_NS6detail17trampoline_kernelINS0_14default_configENS1_36segmented_radix_sort_config_selectorIdlEEZNS1_25segmented_radix_sort_implIS3_Lb0EPKdPdPKlPlN2at6native12_GLOBAL__N_18offset_tEEE10hipError_tPvRmT1_PNSt15iterator_traitsISK_E10value_typeET2_T3_PNSL_ISQ_E10value_typeET4_jRbjT5_SW_jjP12ihipStream_tbEUlT_E0_NS1_11comp_targetILNS1_3genE5ELNS1_11target_archE942ELNS1_3gpuE9ELNS1_3repE0EEENS1_60segmented_radix_sort_warp_sort_medium_config_static_selectorELNS0_4arch9wavefront6targetE0EEEvSK_,"axG",@progbits,_ZN7rocprim17ROCPRIM_400000_NS6detail17trampoline_kernelINS0_14default_configENS1_36segmented_radix_sort_config_selectorIdlEEZNS1_25segmented_radix_sort_implIS3_Lb0EPKdPdPKlPlN2at6native12_GLOBAL__N_18offset_tEEE10hipError_tPvRmT1_PNSt15iterator_traitsISK_E10value_typeET2_T3_PNSL_ISQ_E10value_typeET4_jRbjT5_SW_jjP12ihipStream_tbEUlT_E0_NS1_11comp_targetILNS1_3genE5ELNS1_11target_archE942ELNS1_3gpuE9ELNS1_3repE0EEENS1_60segmented_radix_sort_warp_sort_medium_config_static_selectorELNS0_4arch9wavefront6targetE0EEEvSK_,comdat
.Lfunc_end1232:
	.size	_ZN7rocprim17ROCPRIM_400000_NS6detail17trampoline_kernelINS0_14default_configENS1_36segmented_radix_sort_config_selectorIdlEEZNS1_25segmented_radix_sort_implIS3_Lb0EPKdPdPKlPlN2at6native12_GLOBAL__N_18offset_tEEE10hipError_tPvRmT1_PNSt15iterator_traitsISK_E10value_typeET2_T3_PNSL_ISQ_E10value_typeET4_jRbjT5_SW_jjP12ihipStream_tbEUlT_E0_NS1_11comp_targetILNS1_3genE5ELNS1_11target_archE942ELNS1_3gpuE9ELNS1_3repE0EEENS1_60segmented_radix_sort_warp_sort_medium_config_static_selectorELNS0_4arch9wavefront6targetE0EEEvSK_, .Lfunc_end1232-_ZN7rocprim17ROCPRIM_400000_NS6detail17trampoline_kernelINS0_14default_configENS1_36segmented_radix_sort_config_selectorIdlEEZNS1_25segmented_radix_sort_implIS3_Lb0EPKdPdPKlPlN2at6native12_GLOBAL__N_18offset_tEEE10hipError_tPvRmT1_PNSt15iterator_traitsISK_E10value_typeET2_T3_PNSL_ISQ_E10value_typeET4_jRbjT5_SW_jjP12ihipStream_tbEUlT_E0_NS1_11comp_targetILNS1_3genE5ELNS1_11target_archE942ELNS1_3gpuE9ELNS1_3repE0EEENS1_60segmented_radix_sort_warp_sort_medium_config_static_selectorELNS0_4arch9wavefront6targetE0EEEvSK_
                                        ; -- End function
	.section	.AMDGPU.csdata,"",@progbits
; Kernel info:
; codeLenInByte = 0
; NumSgprs: 0
; NumVgprs: 0
; ScratchSize: 0
; MemoryBound: 0
; FloatMode: 240
; IeeeMode: 1
; LDSByteSize: 0 bytes/workgroup (compile time only)
; SGPRBlocks: 0
; VGPRBlocks: 0
; NumSGPRsForWavesPerEU: 1
; NumVGPRsForWavesPerEU: 1
; Occupancy: 16
; WaveLimiterHint : 0
; COMPUTE_PGM_RSRC2:SCRATCH_EN: 0
; COMPUTE_PGM_RSRC2:USER_SGPR: 15
; COMPUTE_PGM_RSRC2:TRAP_HANDLER: 0
; COMPUTE_PGM_RSRC2:TGID_X_EN: 1
; COMPUTE_PGM_RSRC2:TGID_Y_EN: 0
; COMPUTE_PGM_RSRC2:TGID_Z_EN: 0
; COMPUTE_PGM_RSRC2:TIDIG_COMP_CNT: 0
	.section	.text._ZN7rocprim17ROCPRIM_400000_NS6detail17trampoline_kernelINS0_14default_configENS1_36segmented_radix_sort_config_selectorIdlEEZNS1_25segmented_radix_sort_implIS3_Lb0EPKdPdPKlPlN2at6native12_GLOBAL__N_18offset_tEEE10hipError_tPvRmT1_PNSt15iterator_traitsISK_E10value_typeET2_T3_PNSL_ISQ_E10value_typeET4_jRbjT5_SW_jjP12ihipStream_tbEUlT_E0_NS1_11comp_targetILNS1_3genE4ELNS1_11target_archE910ELNS1_3gpuE8ELNS1_3repE0EEENS1_60segmented_radix_sort_warp_sort_medium_config_static_selectorELNS0_4arch9wavefront6targetE0EEEvSK_,"axG",@progbits,_ZN7rocprim17ROCPRIM_400000_NS6detail17trampoline_kernelINS0_14default_configENS1_36segmented_radix_sort_config_selectorIdlEEZNS1_25segmented_radix_sort_implIS3_Lb0EPKdPdPKlPlN2at6native12_GLOBAL__N_18offset_tEEE10hipError_tPvRmT1_PNSt15iterator_traitsISK_E10value_typeET2_T3_PNSL_ISQ_E10value_typeET4_jRbjT5_SW_jjP12ihipStream_tbEUlT_E0_NS1_11comp_targetILNS1_3genE4ELNS1_11target_archE910ELNS1_3gpuE8ELNS1_3repE0EEENS1_60segmented_radix_sort_warp_sort_medium_config_static_selectorELNS0_4arch9wavefront6targetE0EEEvSK_,comdat
	.globl	_ZN7rocprim17ROCPRIM_400000_NS6detail17trampoline_kernelINS0_14default_configENS1_36segmented_radix_sort_config_selectorIdlEEZNS1_25segmented_radix_sort_implIS3_Lb0EPKdPdPKlPlN2at6native12_GLOBAL__N_18offset_tEEE10hipError_tPvRmT1_PNSt15iterator_traitsISK_E10value_typeET2_T3_PNSL_ISQ_E10value_typeET4_jRbjT5_SW_jjP12ihipStream_tbEUlT_E0_NS1_11comp_targetILNS1_3genE4ELNS1_11target_archE910ELNS1_3gpuE8ELNS1_3repE0EEENS1_60segmented_radix_sort_warp_sort_medium_config_static_selectorELNS0_4arch9wavefront6targetE0EEEvSK_ ; -- Begin function _ZN7rocprim17ROCPRIM_400000_NS6detail17trampoline_kernelINS0_14default_configENS1_36segmented_radix_sort_config_selectorIdlEEZNS1_25segmented_radix_sort_implIS3_Lb0EPKdPdPKlPlN2at6native12_GLOBAL__N_18offset_tEEE10hipError_tPvRmT1_PNSt15iterator_traitsISK_E10value_typeET2_T3_PNSL_ISQ_E10value_typeET4_jRbjT5_SW_jjP12ihipStream_tbEUlT_E0_NS1_11comp_targetILNS1_3genE4ELNS1_11target_archE910ELNS1_3gpuE8ELNS1_3repE0EEENS1_60segmented_radix_sort_warp_sort_medium_config_static_selectorELNS0_4arch9wavefront6targetE0EEEvSK_
	.p2align	8
	.type	_ZN7rocprim17ROCPRIM_400000_NS6detail17trampoline_kernelINS0_14default_configENS1_36segmented_radix_sort_config_selectorIdlEEZNS1_25segmented_radix_sort_implIS3_Lb0EPKdPdPKlPlN2at6native12_GLOBAL__N_18offset_tEEE10hipError_tPvRmT1_PNSt15iterator_traitsISK_E10value_typeET2_T3_PNSL_ISQ_E10value_typeET4_jRbjT5_SW_jjP12ihipStream_tbEUlT_E0_NS1_11comp_targetILNS1_3genE4ELNS1_11target_archE910ELNS1_3gpuE8ELNS1_3repE0EEENS1_60segmented_radix_sort_warp_sort_medium_config_static_selectorELNS0_4arch9wavefront6targetE0EEEvSK_,@function
_ZN7rocprim17ROCPRIM_400000_NS6detail17trampoline_kernelINS0_14default_configENS1_36segmented_radix_sort_config_selectorIdlEEZNS1_25segmented_radix_sort_implIS3_Lb0EPKdPdPKlPlN2at6native12_GLOBAL__N_18offset_tEEE10hipError_tPvRmT1_PNSt15iterator_traitsISK_E10value_typeET2_T3_PNSL_ISQ_E10value_typeET4_jRbjT5_SW_jjP12ihipStream_tbEUlT_E0_NS1_11comp_targetILNS1_3genE4ELNS1_11target_archE910ELNS1_3gpuE8ELNS1_3repE0EEENS1_60segmented_radix_sort_warp_sort_medium_config_static_selectorELNS0_4arch9wavefront6targetE0EEEvSK_: ; @_ZN7rocprim17ROCPRIM_400000_NS6detail17trampoline_kernelINS0_14default_configENS1_36segmented_radix_sort_config_selectorIdlEEZNS1_25segmented_radix_sort_implIS3_Lb0EPKdPdPKlPlN2at6native12_GLOBAL__N_18offset_tEEE10hipError_tPvRmT1_PNSt15iterator_traitsISK_E10value_typeET2_T3_PNSL_ISQ_E10value_typeET4_jRbjT5_SW_jjP12ihipStream_tbEUlT_E0_NS1_11comp_targetILNS1_3genE4ELNS1_11target_archE910ELNS1_3gpuE8ELNS1_3repE0EEENS1_60segmented_radix_sort_warp_sort_medium_config_static_selectorELNS0_4arch9wavefront6targetE0EEEvSK_
; %bb.0:
	.section	.rodata,"a",@progbits
	.p2align	6, 0x0
	.amdhsa_kernel _ZN7rocprim17ROCPRIM_400000_NS6detail17trampoline_kernelINS0_14default_configENS1_36segmented_radix_sort_config_selectorIdlEEZNS1_25segmented_radix_sort_implIS3_Lb0EPKdPdPKlPlN2at6native12_GLOBAL__N_18offset_tEEE10hipError_tPvRmT1_PNSt15iterator_traitsISK_E10value_typeET2_T3_PNSL_ISQ_E10value_typeET4_jRbjT5_SW_jjP12ihipStream_tbEUlT_E0_NS1_11comp_targetILNS1_3genE4ELNS1_11target_archE910ELNS1_3gpuE8ELNS1_3repE0EEENS1_60segmented_radix_sort_warp_sort_medium_config_static_selectorELNS0_4arch9wavefront6targetE0EEEvSK_
		.amdhsa_group_segment_fixed_size 0
		.amdhsa_private_segment_fixed_size 0
		.amdhsa_kernarg_size 88
		.amdhsa_user_sgpr_count 15
		.amdhsa_user_sgpr_dispatch_ptr 0
		.amdhsa_user_sgpr_queue_ptr 0
		.amdhsa_user_sgpr_kernarg_segment_ptr 1
		.amdhsa_user_sgpr_dispatch_id 0
		.amdhsa_user_sgpr_private_segment_size 0
		.amdhsa_wavefront_size32 1
		.amdhsa_uses_dynamic_stack 0
		.amdhsa_enable_private_segment 0
		.amdhsa_system_sgpr_workgroup_id_x 1
		.amdhsa_system_sgpr_workgroup_id_y 0
		.amdhsa_system_sgpr_workgroup_id_z 0
		.amdhsa_system_sgpr_workgroup_info 0
		.amdhsa_system_vgpr_workitem_id 0
		.amdhsa_next_free_vgpr 1
		.amdhsa_next_free_sgpr 1
		.amdhsa_reserve_vcc 0
		.amdhsa_float_round_mode_32 0
		.amdhsa_float_round_mode_16_64 0
		.amdhsa_float_denorm_mode_32 3
		.amdhsa_float_denorm_mode_16_64 3
		.amdhsa_dx10_clamp 1
		.amdhsa_ieee_mode 1
		.amdhsa_fp16_overflow 0
		.amdhsa_workgroup_processor_mode 1
		.amdhsa_memory_ordered 1
		.amdhsa_forward_progress 0
		.amdhsa_shared_vgpr_count 0
		.amdhsa_exception_fp_ieee_invalid_op 0
		.amdhsa_exception_fp_denorm_src 0
		.amdhsa_exception_fp_ieee_div_zero 0
		.amdhsa_exception_fp_ieee_overflow 0
		.amdhsa_exception_fp_ieee_underflow 0
		.amdhsa_exception_fp_ieee_inexact 0
		.amdhsa_exception_int_div_zero 0
	.end_amdhsa_kernel
	.section	.text._ZN7rocprim17ROCPRIM_400000_NS6detail17trampoline_kernelINS0_14default_configENS1_36segmented_radix_sort_config_selectorIdlEEZNS1_25segmented_radix_sort_implIS3_Lb0EPKdPdPKlPlN2at6native12_GLOBAL__N_18offset_tEEE10hipError_tPvRmT1_PNSt15iterator_traitsISK_E10value_typeET2_T3_PNSL_ISQ_E10value_typeET4_jRbjT5_SW_jjP12ihipStream_tbEUlT_E0_NS1_11comp_targetILNS1_3genE4ELNS1_11target_archE910ELNS1_3gpuE8ELNS1_3repE0EEENS1_60segmented_radix_sort_warp_sort_medium_config_static_selectorELNS0_4arch9wavefront6targetE0EEEvSK_,"axG",@progbits,_ZN7rocprim17ROCPRIM_400000_NS6detail17trampoline_kernelINS0_14default_configENS1_36segmented_radix_sort_config_selectorIdlEEZNS1_25segmented_radix_sort_implIS3_Lb0EPKdPdPKlPlN2at6native12_GLOBAL__N_18offset_tEEE10hipError_tPvRmT1_PNSt15iterator_traitsISK_E10value_typeET2_T3_PNSL_ISQ_E10value_typeET4_jRbjT5_SW_jjP12ihipStream_tbEUlT_E0_NS1_11comp_targetILNS1_3genE4ELNS1_11target_archE910ELNS1_3gpuE8ELNS1_3repE0EEENS1_60segmented_radix_sort_warp_sort_medium_config_static_selectorELNS0_4arch9wavefront6targetE0EEEvSK_,comdat
.Lfunc_end1233:
	.size	_ZN7rocprim17ROCPRIM_400000_NS6detail17trampoline_kernelINS0_14default_configENS1_36segmented_radix_sort_config_selectorIdlEEZNS1_25segmented_radix_sort_implIS3_Lb0EPKdPdPKlPlN2at6native12_GLOBAL__N_18offset_tEEE10hipError_tPvRmT1_PNSt15iterator_traitsISK_E10value_typeET2_T3_PNSL_ISQ_E10value_typeET4_jRbjT5_SW_jjP12ihipStream_tbEUlT_E0_NS1_11comp_targetILNS1_3genE4ELNS1_11target_archE910ELNS1_3gpuE8ELNS1_3repE0EEENS1_60segmented_radix_sort_warp_sort_medium_config_static_selectorELNS0_4arch9wavefront6targetE0EEEvSK_, .Lfunc_end1233-_ZN7rocprim17ROCPRIM_400000_NS6detail17trampoline_kernelINS0_14default_configENS1_36segmented_radix_sort_config_selectorIdlEEZNS1_25segmented_radix_sort_implIS3_Lb0EPKdPdPKlPlN2at6native12_GLOBAL__N_18offset_tEEE10hipError_tPvRmT1_PNSt15iterator_traitsISK_E10value_typeET2_T3_PNSL_ISQ_E10value_typeET4_jRbjT5_SW_jjP12ihipStream_tbEUlT_E0_NS1_11comp_targetILNS1_3genE4ELNS1_11target_archE910ELNS1_3gpuE8ELNS1_3repE0EEENS1_60segmented_radix_sort_warp_sort_medium_config_static_selectorELNS0_4arch9wavefront6targetE0EEEvSK_
                                        ; -- End function
	.section	.AMDGPU.csdata,"",@progbits
; Kernel info:
; codeLenInByte = 0
; NumSgprs: 0
; NumVgprs: 0
; ScratchSize: 0
; MemoryBound: 0
; FloatMode: 240
; IeeeMode: 1
; LDSByteSize: 0 bytes/workgroup (compile time only)
; SGPRBlocks: 0
; VGPRBlocks: 0
; NumSGPRsForWavesPerEU: 1
; NumVGPRsForWavesPerEU: 1
; Occupancy: 16
; WaveLimiterHint : 0
; COMPUTE_PGM_RSRC2:SCRATCH_EN: 0
; COMPUTE_PGM_RSRC2:USER_SGPR: 15
; COMPUTE_PGM_RSRC2:TRAP_HANDLER: 0
; COMPUTE_PGM_RSRC2:TGID_X_EN: 1
; COMPUTE_PGM_RSRC2:TGID_Y_EN: 0
; COMPUTE_PGM_RSRC2:TGID_Z_EN: 0
; COMPUTE_PGM_RSRC2:TIDIG_COMP_CNT: 0
	.section	.text._ZN7rocprim17ROCPRIM_400000_NS6detail17trampoline_kernelINS0_14default_configENS1_36segmented_radix_sort_config_selectorIdlEEZNS1_25segmented_radix_sort_implIS3_Lb0EPKdPdPKlPlN2at6native12_GLOBAL__N_18offset_tEEE10hipError_tPvRmT1_PNSt15iterator_traitsISK_E10value_typeET2_T3_PNSL_ISQ_E10value_typeET4_jRbjT5_SW_jjP12ihipStream_tbEUlT_E0_NS1_11comp_targetILNS1_3genE3ELNS1_11target_archE908ELNS1_3gpuE7ELNS1_3repE0EEENS1_60segmented_radix_sort_warp_sort_medium_config_static_selectorELNS0_4arch9wavefront6targetE0EEEvSK_,"axG",@progbits,_ZN7rocprim17ROCPRIM_400000_NS6detail17trampoline_kernelINS0_14default_configENS1_36segmented_radix_sort_config_selectorIdlEEZNS1_25segmented_radix_sort_implIS3_Lb0EPKdPdPKlPlN2at6native12_GLOBAL__N_18offset_tEEE10hipError_tPvRmT1_PNSt15iterator_traitsISK_E10value_typeET2_T3_PNSL_ISQ_E10value_typeET4_jRbjT5_SW_jjP12ihipStream_tbEUlT_E0_NS1_11comp_targetILNS1_3genE3ELNS1_11target_archE908ELNS1_3gpuE7ELNS1_3repE0EEENS1_60segmented_radix_sort_warp_sort_medium_config_static_selectorELNS0_4arch9wavefront6targetE0EEEvSK_,comdat
	.globl	_ZN7rocprim17ROCPRIM_400000_NS6detail17trampoline_kernelINS0_14default_configENS1_36segmented_radix_sort_config_selectorIdlEEZNS1_25segmented_radix_sort_implIS3_Lb0EPKdPdPKlPlN2at6native12_GLOBAL__N_18offset_tEEE10hipError_tPvRmT1_PNSt15iterator_traitsISK_E10value_typeET2_T3_PNSL_ISQ_E10value_typeET4_jRbjT5_SW_jjP12ihipStream_tbEUlT_E0_NS1_11comp_targetILNS1_3genE3ELNS1_11target_archE908ELNS1_3gpuE7ELNS1_3repE0EEENS1_60segmented_radix_sort_warp_sort_medium_config_static_selectorELNS0_4arch9wavefront6targetE0EEEvSK_ ; -- Begin function _ZN7rocprim17ROCPRIM_400000_NS6detail17trampoline_kernelINS0_14default_configENS1_36segmented_radix_sort_config_selectorIdlEEZNS1_25segmented_radix_sort_implIS3_Lb0EPKdPdPKlPlN2at6native12_GLOBAL__N_18offset_tEEE10hipError_tPvRmT1_PNSt15iterator_traitsISK_E10value_typeET2_T3_PNSL_ISQ_E10value_typeET4_jRbjT5_SW_jjP12ihipStream_tbEUlT_E0_NS1_11comp_targetILNS1_3genE3ELNS1_11target_archE908ELNS1_3gpuE7ELNS1_3repE0EEENS1_60segmented_radix_sort_warp_sort_medium_config_static_selectorELNS0_4arch9wavefront6targetE0EEEvSK_
	.p2align	8
	.type	_ZN7rocprim17ROCPRIM_400000_NS6detail17trampoline_kernelINS0_14default_configENS1_36segmented_radix_sort_config_selectorIdlEEZNS1_25segmented_radix_sort_implIS3_Lb0EPKdPdPKlPlN2at6native12_GLOBAL__N_18offset_tEEE10hipError_tPvRmT1_PNSt15iterator_traitsISK_E10value_typeET2_T3_PNSL_ISQ_E10value_typeET4_jRbjT5_SW_jjP12ihipStream_tbEUlT_E0_NS1_11comp_targetILNS1_3genE3ELNS1_11target_archE908ELNS1_3gpuE7ELNS1_3repE0EEENS1_60segmented_radix_sort_warp_sort_medium_config_static_selectorELNS0_4arch9wavefront6targetE0EEEvSK_,@function
_ZN7rocprim17ROCPRIM_400000_NS6detail17trampoline_kernelINS0_14default_configENS1_36segmented_radix_sort_config_selectorIdlEEZNS1_25segmented_radix_sort_implIS3_Lb0EPKdPdPKlPlN2at6native12_GLOBAL__N_18offset_tEEE10hipError_tPvRmT1_PNSt15iterator_traitsISK_E10value_typeET2_T3_PNSL_ISQ_E10value_typeET4_jRbjT5_SW_jjP12ihipStream_tbEUlT_E0_NS1_11comp_targetILNS1_3genE3ELNS1_11target_archE908ELNS1_3gpuE7ELNS1_3repE0EEENS1_60segmented_radix_sort_warp_sort_medium_config_static_selectorELNS0_4arch9wavefront6targetE0EEEvSK_: ; @_ZN7rocprim17ROCPRIM_400000_NS6detail17trampoline_kernelINS0_14default_configENS1_36segmented_radix_sort_config_selectorIdlEEZNS1_25segmented_radix_sort_implIS3_Lb0EPKdPdPKlPlN2at6native12_GLOBAL__N_18offset_tEEE10hipError_tPvRmT1_PNSt15iterator_traitsISK_E10value_typeET2_T3_PNSL_ISQ_E10value_typeET4_jRbjT5_SW_jjP12ihipStream_tbEUlT_E0_NS1_11comp_targetILNS1_3genE3ELNS1_11target_archE908ELNS1_3gpuE7ELNS1_3repE0EEENS1_60segmented_radix_sort_warp_sort_medium_config_static_selectorELNS0_4arch9wavefront6targetE0EEEvSK_
; %bb.0:
	.section	.rodata,"a",@progbits
	.p2align	6, 0x0
	.amdhsa_kernel _ZN7rocprim17ROCPRIM_400000_NS6detail17trampoline_kernelINS0_14default_configENS1_36segmented_radix_sort_config_selectorIdlEEZNS1_25segmented_radix_sort_implIS3_Lb0EPKdPdPKlPlN2at6native12_GLOBAL__N_18offset_tEEE10hipError_tPvRmT1_PNSt15iterator_traitsISK_E10value_typeET2_T3_PNSL_ISQ_E10value_typeET4_jRbjT5_SW_jjP12ihipStream_tbEUlT_E0_NS1_11comp_targetILNS1_3genE3ELNS1_11target_archE908ELNS1_3gpuE7ELNS1_3repE0EEENS1_60segmented_radix_sort_warp_sort_medium_config_static_selectorELNS0_4arch9wavefront6targetE0EEEvSK_
		.amdhsa_group_segment_fixed_size 0
		.amdhsa_private_segment_fixed_size 0
		.amdhsa_kernarg_size 88
		.amdhsa_user_sgpr_count 15
		.amdhsa_user_sgpr_dispatch_ptr 0
		.amdhsa_user_sgpr_queue_ptr 0
		.amdhsa_user_sgpr_kernarg_segment_ptr 1
		.amdhsa_user_sgpr_dispatch_id 0
		.amdhsa_user_sgpr_private_segment_size 0
		.amdhsa_wavefront_size32 1
		.amdhsa_uses_dynamic_stack 0
		.amdhsa_enable_private_segment 0
		.amdhsa_system_sgpr_workgroup_id_x 1
		.amdhsa_system_sgpr_workgroup_id_y 0
		.amdhsa_system_sgpr_workgroup_id_z 0
		.amdhsa_system_sgpr_workgroup_info 0
		.amdhsa_system_vgpr_workitem_id 0
		.amdhsa_next_free_vgpr 1
		.amdhsa_next_free_sgpr 1
		.amdhsa_reserve_vcc 0
		.amdhsa_float_round_mode_32 0
		.amdhsa_float_round_mode_16_64 0
		.amdhsa_float_denorm_mode_32 3
		.amdhsa_float_denorm_mode_16_64 3
		.amdhsa_dx10_clamp 1
		.amdhsa_ieee_mode 1
		.amdhsa_fp16_overflow 0
		.amdhsa_workgroup_processor_mode 1
		.amdhsa_memory_ordered 1
		.amdhsa_forward_progress 0
		.amdhsa_shared_vgpr_count 0
		.amdhsa_exception_fp_ieee_invalid_op 0
		.amdhsa_exception_fp_denorm_src 0
		.amdhsa_exception_fp_ieee_div_zero 0
		.amdhsa_exception_fp_ieee_overflow 0
		.amdhsa_exception_fp_ieee_underflow 0
		.amdhsa_exception_fp_ieee_inexact 0
		.amdhsa_exception_int_div_zero 0
	.end_amdhsa_kernel
	.section	.text._ZN7rocprim17ROCPRIM_400000_NS6detail17trampoline_kernelINS0_14default_configENS1_36segmented_radix_sort_config_selectorIdlEEZNS1_25segmented_radix_sort_implIS3_Lb0EPKdPdPKlPlN2at6native12_GLOBAL__N_18offset_tEEE10hipError_tPvRmT1_PNSt15iterator_traitsISK_E10value_typeET2_T3_PNSL_ISQ_E10value_typeET4_jRbjT5_SW_jjP12ihipStream_tbEUlT_E0_NS1_11comp_targetILNS1_3genE3ELNS1_11target_archE908ELNS1_3gpuE7ELNS1_3repE0EEENS1_60segmented_radix_sort_warp_sort_medium_config_static_selectorELNS0_4arch9wavefront6targetE0EEEvSK_,"axG",@progbits,_ZN7rocprim17ROCPRIM_400000_NS6detail17trampoline_kernelINS0_14default_configENS1_36segmented_radix_sort_config_selectorIdlEEZNS1_25segmented_radix_sort_implIS3_Lb0EPKdPdPKlPlN2at6native12_GLOBAL__N_18offset_tEEE10hipError_tPvRmT1_PNSt15iterator_traitsISK_E10value_typeET2_T3_PNSL_ISQ_E10value_typeET4_jRbjT5_SW_jjP12ihipStream_tbEUlT_E0_NS1_11comp_targetILNS1_3genE3ELNS1_11target_archE908ELNS1_3gpuE7ELNS1_3repE0EEENS1_60segmented_radix_sort_warp_sort_medium_config_static_selectorELNS0_4arch9wavefront6targetE0EEEvSK_,comdat
.Lfunc_end1234:
	.size	_ZN7rocprim17ROCPRIM_400000_NS6detail17trampoline_kernelINS0_14default_configENS1_36segmented_radix_sort_config_selectorIdlEEZNS1_25segmented_radix_sort_implIS3_Lb0EPKdPdPKlPlN2at6native12_GLOBAL__N_18offset_tEEE10hipError_tPvRmT1_PNSt15iterator_traitsISK_E10value_typeET2_T3_PNSL_ISQ_E10value_typeET4_jRbjT5_SW_jjP12ihipStream_tbEUlT_E0_NS1_11comp_targetILNS1_3genE3ELNS1_11target_archE908ELNS1_3gpuE7ELNS1_3repE0EEENS1_60segmented_radix_sort_warp_sort_medium_config_static_selectorELNS0_4arch9wavefront6targetE0EEEvSK_, .Lfunc_end1234-_ZN7rocprim17ROCPRIM_400000_NS6detail17trampoline_kernelINS0_14default_configENS1_36segmented_radix_sort_config_selectorIdlEEZNS1_25segmented_radix_sort_implIS3_Lb0EPKdPdPKlPlN2at6native12_GLOBAL__N_18offset_tEEE10hipError_tPvRmT1_PNSt15iterator_traitsISK_E10value_typeET2_T3_PNSL_ISQ_E10value_typeET4_jRbjT5_SW_jjP12ihipStream_tbEUlT_E0_NS1_11comp_targetILNS1_3genE3ELNS1_11target_archE908ELNS1_3gpuE7ELNS1_3repE0EEENS1_60segmented_radix_sort_warp_sort_medium_config_static_selectorELNS0_4arch9wavefront6targetE0EEEvSK_
                                        ; -- End function
	.section	.AMDGPU.csdata,"",@progbits
; Kernel info:
; codeLenInByte = 0
; NumSgprs: 0
; NumVgprs: 0
; ScratchSize: 0
; MemoryBound: 0
; FloatMode: 240
; IeeeMode: 1
; LDSByteSize: 0 bytes/workgroup (compile time only)
; SGPRBlocks: 0
; VGPRBlocks: 0
; NumSGPRsForWavesPerEU: 1
; NumVGPRsForWavesPerEU: 1
; Occupancy: 16
; WaveLimiterHint : 0
; COMPUTE_PGM_RSRC2:SCRATCH_EN: 0
; COMPUTE_PGM_RSRC2:USER_SGPR: 15
; COMPUTE_PGM_RSRC2:TRAP_HANDLER: 0
; COMPUTE_PGM_RSRC2:TGID_X_EN: 1
; COMPUTE_PGM_RSRC2:TGID_Y_EN: 0
; COMPUTE_PGM_RSRC2:TGID_Z_EN: 0
; COMPUTE_PGM_RSRC2:TIDIG_COMP_CNT: 0
	.section	.text._ZN7rocprim17ROCPRIM_400000_NS6detail17trampoline_kernelINS0_14default_configENS1_36segmented_radix_sort_config_selectorIdlEEZNS1_25segmented_radix_sort_implIS3_Lb0EPKdPdPKlPlN2at6native12_GLOBAL__N_18offset_tEEE10hipError_tPvRmT1_PNSt15iterator_traitsISK_E10value_typeET2_T3_PNSL_ISQ_E10value_typeET4_jRbjT5_SW_jjP12ihipStream_tbEUlT_E0_NS1_11comp_targetILNS1_3genE2ELNS1_11target_archE906ELNS1_3gpuE6ELNS1_3repE0EEENS1_60segmented_radix_sort_warp_sort_medium_config_static_selectorELNS0_4arch9wavefront6targetE0EEEvSK_,"axG",@progbits,_ZN7rocprim17ROCPRIM_400000_NS6detail17trampoline_kernelINS0_14default_configENS1_36segmented_radix_sort_config_selectorIdlEEZNS1_25segmented_radix_sort_implIS3_Lb0EPKdPdPKlPlN2at6native12_GLOBAL__N_18offset_tEEE10hipError_tPvRmT1_PNSt15iterator_traitsISK_E10value_typeET2_T3_PNSL_ISQ_E10value_typeET4_jRbjT5_SW_jjP12ihipStream_tbEUlT_E0_NS1_11comp_targetILNS1_3genE2ELNS1_11target_archE906ELNS1_3gpuE6ELNS1_3repE0EEENS1_60segmented_radix_sort_warp_sort_medium_config_static_selectorELNS0_4arch9wavefront6targetE0EEEvSK_,comdat
	.globl	_ZN7rocprim17ROCPRIM_400000_NS6detail17trampoline_kernelINS0_14default_configENS1_36segmented_radix_sort_config_selectorIdlEEZNS1_25segmented_radix_sort_implIS3_Lb0EPKdPdPKlPlN2at6native12_GLOBAL__N_18offset_tEEE10hipError_tPvRmT1_PNSt15iterator_traitsISK_E10value_typeET2_T3_PNSL_ISQ_E10value_typeET4_jRbjT5_SW_jjP12ihipStream_tbEUlT_E0_NS1_11comp_targetILNS1_3genE2ELNS1_11target_archE906ELNS1_3gpuE6ELNS1_3repE0EEENS1_60segmented_radix_sort_warp_sort_medium_config_static_selectorELNS0_4arch9wavefront6targetE0EEEvSK_ ; -- Begin function _ZN7rocprim17ROCPRIM_400000_NS6detail17trampoline_kernelINS0_14default_configENS1_36segmented_radix_sort_config_selectorIdlEEZNS1_25segmented_radix_sort_implIS3_Lb0EPKdPdPKlPlN2at6native12_GLOBAL__N_18offset_tEEE10hipError_tPvRmT1_PNSt15iterator_traitsISK_E10value_typeET2_T3_PNSL_ISQ_E10value_typeET4_jRbjT5_SW_jjP12ihipStream_tbEUlT_E0_NS1_11comp_targetILNS1_3genE2ELNS1_11target_archE906ELNS1_3gpuE6ELNS1_3repE0EEENS1_60segmented_radix_sort_warp_sort_medium_config_static_selectorELNS0_4arch9wavefront6targetE0EEEvSK_
	.p2align	8
	.type	_ZN7rocprim17ROCPRIM_400000_NS6detail17trampoline_kernelINS0_14default_configENS1_36segmented_radix_sort_config_selectorIdlEEZNS1_25segmented_radix_sort_implIS3_Lb0EPKdPdPKlPlN2at6native12_GLOBAL__N_18offset_tEEE10hipError_tPvRmT1_PNSt15iterator_traitsISK_E10value_typeET2_T3_PNSL_ISQ_E10value_typeET4_jRbjT5_SW_jjP12ihipStream_tbEUlT_E0_NS1_11comp_targetILNS1_3genE2ELNS1_11target_archE906ELNS1_3gpuE6ELNS1_3repE0EEENS1_60segmented_radix_sort_warp_sort_medium_config_static_selectorELNS0_4arch9wavefront6targetE0EEEvSK_,@function
_ZN7rocprim17ROCPRIM_400000_NS6detail17trampoline_kernelINS0_14default_configENS1_36segmented_radix_sort_config_selectorIdlEEZNS1_25segmented_radix_sort_implIS3_Lb0EPKdPdPKlPlN2at6native12_GLOBAL__N_18offset_tEEE10hipError_tPvRmT1_PNSt15iterator_traitsISK_E10value_typeET2_T3_PNSL_ISQ_E10value_typeET4_jRbjT5_SW_jjP12ihipStream_tbEUlT_E0_NS1_11comp_targetILNS1_3genE2ELNS1_11target_archE906ELNS1_3gpuE6ELNS1_3repE0EEENS1_60segmented_radix_sort_warp_sort_medium_config_static_selectorELNS0_4arch9wavefront6targetE0EEEvSK_: ; @_ZN7rocprim17ROCPRIM_400000_NS6detail17trampoline_kernelINS0_14default_configENS1_36segmented_radix_sort_config_selectorIdlEEZNS1_25segmented_radix_sort_implIS3_Lb0EPKdPdPKlPlN2at6native12_GLOBAL__N_18offset_tEEE10hipError_tPvRmT1_PNSt15iterator_traitsISK_E10value_typeET2_T3_PNSL_ISQ_E10value_typeET4_jRbjT5_SW_jjP12ihipStream_tbEUlT_E0_NS1_11comp_targetILNS1_3genE2ELNS1_11target_archE906ELNS1_3gpuE6ELNS1_3repE0EEENS1_60segmented_radix_sort_warp_sort_medium_config_static_selectorELNS0_4arch9wavefront6targetE0EEEvSK_
; %bb.0:
	.section	.rodata,"a",@progbits
	.p2align	6, 0x0
	.amdhsa_kernel _ZN7rocprim17ROCPRIM_400000_NS6detail17trampoline_kernelINS0_14default_configENS1_36segmented_radix_sort_config_selectorIdlEEZNS1_25segmented_radix_sort_implIS3_Lb0EPKdPdPKlPlN2at6native12_GLOBAL__N_18offset_tEEE10hipError_tPvRmT1_PNSt15iterator_traitsISK_E10value_typeET2_T3_PNSL_ISQ_E10value_typeET4_jRbjT5_SW_jjP12ihipStream_tbEUlT_E0_NS1_11comp_targetILNS1_3genE2ELNS1_11target_archE906ELNS1_3gpuE6ELNS1_3repE0EEENS1_60segmented_radix_sort_warp_sort_medium_config_static_selectorELNS0_4arch9wavefront6targetE0EEEvSK_
		.amdhsa_group_segment_fixed_size 0
		.amdhsa_private_segment_fixed_size 0
		.amdhsa_kernarg_size 88
		.amdhsa_user_sgpr_count 15
		.amdhsa_user_sgpr_dispatch_ptr 0
		.amdhsa_user_sgpr_queue_ptr 0
		.amdhsa_user_sgpr_kernarg_segment_ptr 1
		.amdhsa_user_sgpr_dispatch_id 0
		.amdhsa_user_sgpr_private_segment_size 0
		.amdhsa_wavefront_size32 1
		.amdhsa_uses_dynamic_stack 0
		.amdhsa_enable_private_segment 0
		.amdhsa_system_sgpr_workgroup_id_x 1
		.amdhsa_system_sgpr_workgroup_id_y 0
		.amdhsa_system_sgpr_workgroup_id_z 0
		.amdhsa_system_sgpr_workgroup_info 0
		.amdhsa_system_vgpr_workitem_id 0
		.amdhsa_next_free_vgpr 1
		.amdhsa_next_free_sgpr 1
		.amdhsa_reserve_vcc 0
		.amdhsa_float_round_mode_32 0
		.amdhsa_float_round_mode_16_64 0
		.amdhsa_float_denorm_mode_32 3
		.amdhsa_float_denorm_mode_16_64 3
		.amdhsa_dx10_clamp 1
		.amdhsa_ieee_mode 1
		.amdhsa_fp16_overflow 0
		.amdhsa_workgroup_processor_mode 1
		.amdhsa_memory_ordered 1
		.amdhsa_forward_progress 0
		.amdhsa_shared_vgpr_count 0
		.amdhsa_exception_fp_ieee_invalid_op 0
		.amdhsa_exception_fp_denorm_src 0
		.amdhsa_exception_fp_ieee_div_zero 0
		.amdhsa_exception_fp_ieee_overflow 0
		.amdhsa_exception_fp_ieee_underflow 0
		.amdhsa_exception_fp_ieee_inexact 0
		.amdhsa_exception_int_div_zero 0
	.end_amdhsa_kernel
	.section	.text._ZN7rocprim17ROCPRIM_400000_NS6detail17trampoline_kernelINS0_14default_configENS1_36segmented_radix_sort_config_selectorIdlEEZNS1_25segmented_radix_sort_implIS3_Lb0EPKdPdPKlPlN2at6native12_GLOBAL__N_18offset_tEEE10hipError_tPvRmT1_PNSt15iterator_traitsISK_E10value_typeET2_T3_PNSL_ISQ_E10value_typeET4_jRbjT5_SW_jjP12ihipStream_tbEUlT_E0_NS1_11comp_targetILNS1_3genE2ELNS1_11target_archE906ELNS1_3gpuE6ELNS1_3repE0EEENS1_60segmented_radix_sort_warp_sort_medium_config_static_selectorELNS0_4arch9wavefront6targetE0EEEvSK_,"axG",@progbits,_ZN7rocprim17ROCPRIM_400000_NS6detail17trampoline_kernelINS0_14default_configENS1_36segmented_radix_sort_config_selectorIdlEEZNS1_25segmented_radix_sort_implIS3_Lb0EPKdPdPKlPlN2at6native12_GLOBAL__N_18offset_tEEE10hipError_tPvRmT1_PNSt15iterator_traitsISK_E10value_typeET2_T3_PNSL_ISQ_E10value_typeET4_jRbjT5_SW_jjP12ihipStream_tbEUlT_E0_NS1_11comp_targetILNS1_3genE2ELNS1_11target_archE906ELNS1_3gpuE6ELNS1_3repE0EEENS1_60segmented_radix_sort_warp_sort_medium_config_static_selectorELNS0_4arch9wavefront6targetE0EEEvSK_,comdat
.Lfunc_end1235:
	.size	_ZN7rocprim17ROCPRIM_400000_NS6detail17trampoline_kernelINS0_14default_configENS1_36segmented_radix_sort_config_selectorIdlEEZNS1_25segmented_radix_sort_implIS3_Lb0EPKdPdPKlPlN2at6native12_GLOBAL__N_18offset_tEEE10hipError_tPvRmT1_PNSt15iterator_traitsISK_E10value_typeET2_T3_PNSL_ISQ_E10value_typeET4_jRbjT5_SW_jjP12ihipStream_tbEUlT_E0_NS1_11comp_targetILNS1_3genE2ELNS1_11target_archE906ELNS1_3gpuE6ELNS1_3repE0EEENS1_60segmented_radix_sort_warp_sort_medium_config_static_selectorELNS0_4arch9wavefront6targetE0EEEvSK_, .Lfunc_end1235-_ZN7rocprim17ROCPRIM_400000_NS6detail17trampoline_kernelINS0_14default_configENS1_36segmented_radix_sort_config_selectorIdlEEZNS1_25segmented_radix_sort_implIS3_Lb0EPKdPdPKlPlN2at6native12_GLOBAL__N_18offset_tEEE10hipError_tPvRmT1_PNSt15iterator_traitsISK_E10value_typeET2_T3_PNSL_ISQ_E10value_typeET4_jRbjT5_SW_jjP12ihipStream_tbEUlT_E0_NS1_11comp_targetILNS1_3genE2ELNS1_11target_archE906ELNS1_3gpuE6ELNS1_3repE0EEENS1_60segmented_radix_sort_warp_sort_medium_config_static_selectorELNS0_4arch9wavefront6targetE0EEEvSK_
                                        ; -- End function
	.section	.AMDGPU.csdata,"",@progbits
; Kernel info:
; codeLenInByte = 0
; NumSgprs: 0
; NumVgprs: 0
; ScratchSize: 0
; MemoryBound: 0
; FloatMode: 240
; IeeeMode: 1
; LDSByteSize: 0 bytes/workgroup (compile time only)
; SGPRBlocks: 0
; VGPRBlocks: 0
; NumSGPRsForWavesPerEU: 1
; NumVGPRsForWavesPerEU: 1
; Occupancy: 16
; WaveLimiterHint : 0
; COMPUTE_PGM_RSRC2:SCRATCH_EN: 0
; COMPUTE_PGM_RSRC2:USER_SGPR: 15
; COMPUTE_PGM_RSRC2:TRAP_HANDLER: 0
; COMPUTE_PGM_RSRC2:TGID_X_EN: 1
; COMPUTE_PGM_RSRC2:TGID_Y_EN: 0
; COMPUTE_PGM_RSRC2:TGID_Z_EN: 0
; COMPUTE_PGM_RSRC2:TIDIG_COMP_CNT: 0
	.section	.text._ZN7rocprim17ROCPRIM_400000_NS6detail17trampoline_kernelINS0_14default_configENS1_36segmented_radix_sort_config_selectorIdlEEZNS1_25segmented_radix_sort_implIS3_Lb0EPKdPdPKlPlN2at6native12_GLOBAL__N_18offset_tEEE10hipError_tPvRmT1_PNSt15iterator_traitsISK_E10value_typeET2_T3_PNSL_ISQ_E10value_typeET4_jRbjT5_SW_jjP12ihipStream_tbEUlT_E0_NS1_11comp_targetILNS1_3genE10ELNS1_11target_archE1201ELNS1_3gpuE5ELNS1_3repE0EEENS1_60segmented_radix_sort_warp_sort_medium_config_static_selectorELNS0_4arch9wavefront6targetE0EEEvSK_,"axG",@progbits,_ZN7rocprim17ROCPRIM_400000_NS6detail17trampoline_kernelINS0_14default_configENS1_36segmented_radix_sort_config_selectorIdlEEZNS1_25segmented_radix_sort_implIS3_Lb0EPKdPdPKlPlN2at6native12_GLOBAL__N_18offset_tEEE10hipError_tPvRmT1_PNSt15iterator_traitsISK_E10value_typeET2_T3_PNSL_ISQ_E10value_typeET4_jRbjT5_SW_jjP12ihipStream_tbEUlT_E0_NS1_11comp_targetILNS1_3genE10ELNS1_11target_archE1201ELNS1_3gpuE5ELNS1_3repE0EEENS1_60segmented_radix_sort_warp_sort_medium_config_static_selectorELNS0_4arch9wavefront6targetE0EEEvSK_,comdat
	.globl	_ZN7rocprim17ROCPRIM_400000_NS6detail17trampoline_kernelINS0_14default_configENS1_36segmented_radix_sort_config_selectorIdlEEZNS1_25segmented_radix_sort_implIS3_Lb0EPKdPdPKlPlN2at6native12_GLOBAL__N_18offset_tEEE10hipError_tPvRmT1_PNSt15iterator_traitsISK_E10value_typeET2_T3_PNSL_ISQ_E10value_typeET4_jRbjT5_SW_jjP12ihipStream_tbEUlT_E0_NS1_11comp_targetILNS1_3genE10ELNS1_11target_archE1201ELNS1_3gpuE5ELNS1_3repE0EEENS1_60segmented_radix_sort_warp_sort_medium_config_static_selectorELNS0_4arch9wavefront6targetE0EEEvSK_ ; -- Begin function _ZN7rocprim17ROCPRIM_400000_NS6detail17trampoline_kernelINS0_14default_configENS1_36segmented_radix_sort_config_selectorIdlEEZNS1_25segmented_radix_sort_implIS3_Lb0EPKdPdPKlPlN2at6native12_GLOBAL__N_18offset_tEEE10hipError_tPvRmT1_PNSt15iterator_traitsISK_E10value_typeET2_T3_PNSL_ISQ_E10value_typeET4_jRbjT5_SW_jjP12ihipStream_tbEUlT_E0_NS1_11comp_targetILNS1_3genE10ELNS1_11target_archE1201ELNS1_3gpuE5ELNS1_3repE0EEENS1_60segmented_radix_sort_warp_sort_medium_config_static_selectorELNS0_4arch9wavefront6targetE0EEEvSK_
	.p2align	8
	.type	_ZN7rocprim17ROCPRIM_400000_NS6detail17trampoline_kernelINS0_14default_configENS1_36segmented_radix_sort_config_selectorIdlEEZNS1_25segmented_radix_sort_implIS3_Lb0EPKdPdPKlPlN2at6native12_GLOBAL__N_18offset_tEEE10hipError_tPvRmT1_PNSt15iterator_traitsISK_E10value_typeET2_T3_PNSL_ISQ_E10value_typeET4_jRbjT5_SW_jjP12ihipStream_tbEUlT_E0_NS1_11comp_targetILNS1_3genE10ELNS1_11target_archE1201ELNS1_3gpuE5ELNS1_3repE0EEENS1_60segmented_radix_sort_warp_sort_medium_config_static_selectorELNS0_4arch9wavefront6targetE0EEEvSK_,@function
_ZN7rocprim17ROCPRIM_400000_NS6detail17trampoline_kernelINS0_14default_configENS1_36segmented_radix_sort_config_selectorIdlEEZNS1_25segmented_radix_sort_implIS3_Lb0EPKdPdPKlPlN2at6native12_GLOBAL__N_18offset_tEEE10hipError_tPvRmT1_PNSt15iterator_traitsISK_E10value_typeET2_T3_PNSL_ISQ_E10value_typeET4_jRbjT5_SW_jjP12ihipStream_tbEUlT_E0_NS1_11comp_targetILNS1_3genE10ELNS1_11target_archE1201ELNS1_3gpuE5ELNS1_3repE0EEENS1_60segmented_radix_sort_warp_sort_medium_config_static_selectorELNS0_4arch9wavefront6targetE0EEEvSK_: ; @_ZN7rocprim17ROCPRIM_400000_NS6detail17trampoline_kernelINS0_14default_configENS1_36segmented_radix_sort_config_selectorIdlEEZNS1_25segmented_radix_sort_implIS3_Lb0EPKdPdPKlPlN2at6native12_GLOBAL__N_18offset_tEEE10hipError_tPvRmT1_PNSt15iterator_traitsISK_E10value_typeET2_T3_PNSL_ISQ_E10value_typeET4_jRbjT5_SW_jjP12ihipStream_tbEUlT_E0_NS1_11comp_targetILNS1_3genE10ELNS1_11target_archE1201ELNS1_3gpuE5ELNS1_3repE0EEENS1_60segmented_radix_sort_warp_sort_medium_config_static_selectorELNS0_4arch9wavefront6targetE0EEEvSK_
; %bb.0:
	.section	.rodata,"a",@progbits
	.p2align	6, 0x0
	.amdhsa_kernel _ZN7rocprim17ROCPRIM_400000_NS6detail17trampoline_kernelINS0_14default_configENS1_36segmented_radix_sort_config_selectorIdlEEZNS1_25segmented_radix_sort_implIS3_Lb0EPKdPdPKlPlN2at6native12_GLOBAL__N_18offset_tEEE10hipError_tPvRmT1_PNSt15iterator_traitsISK_E10value_typeET2_T3_PNSL_ISQ_E10value_typeET4_jRbjT5_SW_jjP12ihipStream_tbEUlT_E0_NS1_11comp_targetILNS1_3genE10ELNS1_11target_archE1201ELNS1_3gpuE5ELNS1_3repE0EEENS1_60segmented_radix_sort_warp_sort_medium_config_static_selectorELNS0_4arch9wavefront6targetE0EEEvSK_
		.amdhsa_group_segment_fixed_size 0
		.amdhsa_private_segment_fixed_size 0
		.amdhsa_kernarg_size 88
		.amdhsa_user_sgpr_count 15
		.amdhsa_user_sgpr_dispatch_ptr 0
		.amdhsa_user_sgpr_queue_ptr 0
		.amdhsa_user_sgpr_kernarg_segment_ptr 1
		.amdhsa_user_sgpr_dispatch_id 0
		.amdhsa_user_sgpr_private_segment_size 0
		.amdhsa_wavefront_size32 1
		.amdhsa_uses_dynamic_stack 0
		.amdhsa_enable_private_segment 0
		.amdhsa_system_sgpr_workgroup_id_x 1
		.amdhsa_system_sgpr_workgroup_id_y 0
		.amdhsa_system_sgpr_workgroup_id_z 0
		.amdhsa_system_sgpr_workgroup_info 0
		.amdhsa_system_vgpr_workitem_id 0
		.amdhsa_next_free_vgpr 1
		.amdhsa_next_free_sgpr 1
		.amdhsa_reserve_vcc 0
		.amdhsa_float_round_mode_32 0
		.amdhsa_float_round_mode_16_64 0
		.amdhsa_float_denorm_mode_32 3
		.amdhsa_float_denorm_mode_16_64 3
		.amdhsa_dx10_clamp 1
		.amdhsa_ieee_mode 1
		.amdhsa_fp16_overflow 0
		.amdhsa_workgroup_processor_mode 1
		.amdhsa_memory_ordered 1
		.amdhsa_forward_progress 0
		.amdhsa_shared_vgpr_count 0
		.amdhsa_exception_fp_ieee_invalid_op 0
		.amdhsa_exception_fp_denorm_src 0
		.amdhsa_exception_fp_ieee_div_zero 0
		.amdhsa_exception_fp_ieee_overflow 0
		.amdhsa_exception_fp_ieee_underflow 0
		.amdhsa_exception_fp_ieee_inexact 0
		.amdhsa_exception_int_div_zero 0
	.end_amdhsa_kernel
	.section	.text._ZN7rocprim17ROCPRIM_400000_NS6detail17trampoline_kernelINS0_14default_configENS1_36segmented_radix_sort_config_selectorIdlEEZNS1_25segmented_radix_sort_implIS3_Lb0EPKdPdPKlPlN2at6native12_GLOBAL__N_18offset_tEEE10hipError_tPvRmT1_PNSt15iterator_traitsISK_E10value_typeET2_T3_PNSL_ISQ_E10value_typeET4_jRbjT5_SW_jjP12ihipStream_tbEUlT_E0_NS1_11comp_targetILNS1_3genE10ELNS1_11target_archE1201ELNS1_3gpuE5ELNS1_3repE0EEENS1_60segmented_radix_sort_warp_sort_medium_config_static_selectorELNS0_4arch9wavefront6targetE0EEEvSK_,"axG",@progbits,_ZN7rocprim17ROCPRIM_400000_NS6detail17trampoline_kernelINS0_14default_configENS1_36segmented_radix_sort_config_selectorIdlEEZNS1_25segmented_radix_sort_implIS3_Lb0EPKdPdPKlPlN2at6native12_GLOBAL__N_18offset_tEEE10hipError_tPvRmT1_PNSt15iterator_traitsISK_E10value_typeET2_T3_PNSL_ISQ_E10value_typeET4_jRbjT5_SW_jjP12ihipStream_tbEUlT_E0_NS1_11comp_targetILNS1_3genE10ELNS1_11target_archE1201ELNS1_3gpuE5ELNS1_3repE0EEENS1_60segmented_radix_sort_warp_sort_medium_config_static_selectorELNS0_4arch9wavefront6targetE0EEEvSK_,comdat
.Lfunc_end1236:
	.size	_ZN7rocprim17ROCPRIM_400000_NS6detail17trampoline_kernelINS0_14default_configENS1_36segmented_radix_sort_config_selectorIdlEEZNS1_25segmented_radix_sort_implIS3_Lb0EPKdPdPKlPlN2at6native12_GLOBAL__N_18offset_tEEE10hipError_tPvRmT1_PNSt15iterator_traitsISK_E10value_typeET2_T3_PNSL_ISQ_E10value_typeET4_jRbjT5_SW_jjP12ihipStream_tbEUlT_E0_NS1_11comp_targetILNS1_3genE10ELNS1_11target_archE1201ELNS1_3gpuE5ELNS1_3repE0EEENS1_60segmented_radix_sort_warp_sort_medium_config_static_selectorELNS0_4arch9wavefront6targetE0EEEvSK_, .Lfunc_end1236-_ZN7rocprim17ROCPRIM_400000_NS6detail17trampoline_kernelINS0_14default_configENS1_36segmented_radix_sort_config_selectorIdlEEZNS1_25segmented_radix_sort_implIS3_Lb0EPKdPdPKlPlN2at6native12_GLOBAL__N_18offset_tEEE10hipError_tPvRmT1_PNSt15iterator_traitsISK_E10value_typeET2_T3_PNSL_ISQ_E10value_typeET4_jRbjT5_SW_jjP12ihipStream_tbEUlT_E0_NS1_11comp_targetILNS1_3genE10ELNS1_11target_archE1201ELNS1_3gpuE5ELNS1_3repE0EEENS1_60segmented_radix_sort_warp_sort_medium_config_static_selectorELNS0_4arch9wavefront6targetE0EEEvSK_
                                        ; -- End function
	.section	.AMDGPU.csdata,"",@progbits
; Kernel info:
; codeLenInByte = 0
; NumSgprs: 0
; NumVgprs: 0
; ScratchSize: 0
; MemoryBound: 0
; FloatMode: 240
; IeeeMode: 1
; LDSByteSize: 0 bytes/workgroup (compile time only)
; SGPRBlocks: 0
; VGPRBlocks: 0
; NumSGPRsForWavesPerEU: 1
; NumVGPRsForWavesPerEU: 1
; Occupancy: 16
; WaveLimiterHint : 0
; COMPUTE_PGM_RSRC2:SCRATCH_EN: 0
; COMPUTE_PGM_RSRC2:USER_SGPR: 15
; COMPUTE_PGM_RSRC2:TRAP_HANDLER: 0
; COMPUTE_PGM_RSRC2:TGID_X_EN: 1
; COMPUTE_PGM_RSRC2:TGID_Y_EN: 0
; COMPUTE_PGM_RSRC2:TGID_Z_EN: 0
; COMPUTE_PGM_RSRC2:TIDIG_COMP_CNT: 0
	.section	.text._ZN7rocprim17ROCPRIM_400000_NS6detail17trampoline_kernelINS0_14default_configENS1_36segmented_radix_sort_config_selectorIdlEEZNS1_25segmented_radix_sort_implIS3_Lb0EPKdPdPKlPlN2at6native12_GLOBAL__N_18offset_tEEE10hipError_tPvRmT1_PNSt15iterator_traitsISK_E10value_typeET2_T3_PNSL_ISQ_E10value_typeET4_jRbjT5_SW_jjP12ihipStream_tbEUlT_E0_NS1_11comp_targetILNS1_3genE10ELNS1_11target_archE1200ELNS1_3gpuE4ELNS1_3repE0EEENS1_60segmented_radix_sort_warp_sort_medium_config_static_selectorELNS0_4arch9wavefront6targetE0EEEvSK_,"axG",@progbits,_ZN7rocprim17ROCPRIM_400000_NS6detail17trampoline_kernelINS0_14default_configENS1_36segmented_radix_sort_config_selectorIdlEEZNS1_25segmented_radix_sort_implIS3_Lb0EPKdPdPKlPlN2at6native12_GLOBAL__N_18offset_tEEE10hipError_tPvRmT1_PNSt15iterator_traitsISK_E10value_typeET2_T3_PNSL_ISQ_E10value_typeET4_jRbjT5_SW_jjP12ihipStream_tbEUlT_E0_NS1_11comp_targetILNS1_3genE10ELNS1_11target_archE1200ELNS1_3gpuE4ELNS1_3repE0EEENS1_60segmented_radix_sort_warp_sort_medium_config_static_selectorELNS0_4arch9wavefront6targetE0EEEvSK_,comdat
	.globl	_ZN7rocprim17ROCPRIM_400000_NS6detail17trampoline_kernelINS0_14default_configENS1_36segmented_radix_sort_config_selectorIdlEEZNS1_25segmented_radix_sort_implIS3_Lb0EPKdPdPKlPlN2at6native12_GLOBAL__N_18offset_tEEE10hipError_tPvRmT1_PNSt15iterator_traitsISK_E10value_typeET2_T3_PNSL_ISQ_E10value_typeET4_jRbjT5_SW_jjP12ihipStream_tbEUlT_E0_NS1_11comp_targetILNS1_3genE10ELNS1_11target_archE1200ELNS1_3gpuE4ELNS1_3repE0EEENS1_60segmented_radix_sort_warp_sort_medium_config_static_selectorELNS0_4arch9wavefront6targetE0EEEvSK_ ; -- Begin function _ZN7rocprim17ROCPRIM_400000_NS6detail17trampoline_kernelINS0_14default_configENS1_36segmented_radix_sort_config_selectorIdlEEZNS1_25segmented_radix_sort_implIS3_Lb0EPKdPdPKlPlN2at6native12_GLOBAL__N_18offset_tEEE10hipError_tPvRmT1_PNSt15iterator_traitsISK_E10value_typeET2_T3_PNSL_ISQ_E10value_typeET4_jRbjT5_SW_jjP12ihipStream_tbEUlT_E0_NS1_11comp_targetILNS1_3genE10ELNS1_11target_archE1200ELNS1_3gpuE4ELNS1_3repE0EEENS1_60segmented_radix_sort_warp_sort_medium_config_static_selectorELNS0_4arch9wavefront6targetE0EEEvSK_
	.p2align	8
	.type	_ZN7rocprim17ROCPRIM_400000_NS6detail17trampoline_kernelINS0_14default_configENS1_36segmented_radix_sort_config_selectorIdlEEZNS1_25segmented_radix_sort_implIS3_Lb0EPKdPdPKlPlN2at6native12_GLOBAL__N_18offset_tEEE10hipError_tPvRmT1_PNSt15iterator_traitsISK_E10value_typeET2_T3_PNSL_ISQ_E10value_typeET4_jRbjT5_SW_jjP12ihipStream_tbEUlT_E0_NS1_11comp_targetILNS1_3genE10ELNS1_11target_archE1200ELNS1_3gpuE4ELNS1_3repE0EEENS1_60segmented_radix_sort_warp_sort_medium_config_static_selectorELNS0_4arch9wavefront6targetE0EEEvSK_,@function
_ZN7rocprim17ROCPRIM_400000_NS6detail17trampoline_kernelINS0_14default_configENS1_36segmented_radix_sort_config_selectorIdlEEZNS1_25segmented_radix_sort_implIS3_Lb0EPKdPdPKlPlN2at6native12_GLOBAL__N_18offset_tEEE10hipError_tPvRmT1_PNSt15iterator_traitsISK_E10value_typeET2_T3_PNSL_ISQ_E10value_typeET4_jRbjT5_SW_jjP12ihipStream_tbEUlT_E0_NS1_11comp_targetILNS1_3genE10ELNS1_11target_archE1200ELNS1_3gpuE4ELNS1_3repE0EEENS1_60segmented_radix_sort_warp_sort_medium_config_static_selectorELNS0_4arch9wavefront6targetE0EEEvSK_: ; @_ZN7rocprim17ROCPRIM_400000_NS6detail17trampoline_kernelINS0_14default_configENS1_36segmented_radix_sort_config_selectorIdlEEZNS1_25segmented_radix_sort_implIS3_Lb0EPKdPdPKlPlN2at6native12_GLOBAL__N_18offset_tEEE10hipError_tPvRmT1_PNSt15iterator_traitsISK_E10value_typeET2_T3_PNSL_ISQ_E10value_typeET4_jRbjT5_SW_jjP12ihipStream_tbEUlT_E0_NS1_11comp_targetILNS1_3genE10ELNS1_11target_archE1200ELNS1_3gpuE4ELNS1_3repE0EEENS1_60segmented_radix_sort_warp_sort_medium_config_static_selectorELNS0_4arch9wavefront6targetE0EEEvSK_
; %bb.0:
	.section	.rodata,"a",@progbits
	.p2align	6, 0x0
	.amdhsa_kernel _ZN7rocprim17ROCPRIM_400000_NS6detail17trampoline_kernelINS0_14default_configENS1_36segmented_radix_sort_config_selectorIdlEEZNS1_25segmented_radix_sort_implIS3_Lb0EPKdPdPKlPlN2at6native12_GLOBAL__N_18offset_tEEE10hipError_tPvRmT1_PNSt15iterator_traitsISK_E10value_typeET2_T3_PNSL_ISQ_E10value_typeET4_jRbjT5_SW_jjP12ihipStream_tbEUlT_E0_NS1_11comp_targetILNS1_3genE10ELNS1_11target_archE1200ELNS1_3gpuE4ELNS1_3repE0EEENS1_60segmented_radix_sort_warp_sort_medium_config_static_selectorELNS0_4arch9wavefront6targetE0EEEvSK_
		.amdhsa_group_segment_fixed_size 0
		.amdhsa_private_segment_fixed_size 0
		.amdhsa_kernarg_size 88
		.amdhsa_user_sgpr_count 15
		.amdhsa_user_sgpr_dispatch_ptr 0
		.amdhsa_user_sgpr_queue_ptr 0
		.amdhsa_user_sgpr_kernarg_segment_ptr 1
		.amdhsa_user_sgpr_dispatch_id 0
		.amdhsa_user_sgpr_private_segment_size 0
		.amdhsa_wavefront_size32 1
		.amdhsa_uses_dynamic_stack 0
		.amdhsa_enable_private_segment 0
		.amdhsa_system_sgpr_workgroup_id_x 1
		.amdhsa_system_sgpr_workgroup_id_y 0
		.amdhsa_system_sgpr_workgroup_id_z 0
		.amdhsa_system_sgpr_workgroup_info 0
		.amdhsa_system_vgpr_workitem_id 0
		.amdhsa_next_free_vgpr 1
		.amdhsa_next_free_sgpr 1
		.amdhsa_reserve_vcc 0
		.amdhsa_float_round_mode_32 0
		.amdhsa_float_round_mode_16_64 0
		.amdhsa_float_denorm_mode_32 3
		.amdhsa_float_denorm_mode_16_64 3
		.amdhsa_dx10_clamp 1
		.amdhsa_ieee_mode 1
		.amdhsa_fp16_overflow 0
		.amdhsa_workgroup_processor_mode 1
		.amdhsa_memory_ordered 1
		.amdhsa_forward_progress 0
		.amdhsa_shared_vgpr_count 0
		.amdhsa_exception_fp_ieee_invalid_op 0
		.amdhsa_exception_fp_denorm_src 0
		.amdhsa_exception_fp_ieee_div_zero 0
		.amdhsa_exception_fp_ieee_overflow 0
		.amdhsa_exception_fp_ieee_underflow 0
		.amdhsa_exception_fp_ieee_inexact 0
		.amdhsa_exception_int_div_zero 0
	.end_amdhsa_kernel
	.section	.text._ZN7rocprim17ROCPRIM_400000_NS6detail17trampoline_kernelINS0_14default_configENS1_36segmented_radix_sort_config_selectorIdlEEZNS1_25segmented_radix_sort_implIS3_Lb0EPKdPdPKlPlN2at6native12_GLOBAL__N_18offset_tEEE10hipError_tPvRmT1_PNSt15iterator_traitsISK_E10value_typeET2_T3_PNSL_ISQ_E10value_typeET4_jRbjT5_SW_jjP12ihipStream_tbEUlT_E0_NS1_11comp_targetILNS1_3genE10ELNS1_11target_archE1200ELNS1_3gpuE4ELNS1_3repE0EEENS1_60segmented_radix_sort_warp_sort_medium_config_static_selectorELNS0_4arch9wavefront6targetE0EEEvSK_,"axG",@progbits,_ZN7rocprim17ROCPRIM_400000_NS6detail17trampoline_kernelINS0_14default_configENS1_36segmented_radix_sort_config_selectorIdlEEZNS1_25segmented_radix_sort_implIS3_Lb0EPKdPdPKlPlN2at6native12_GLOBAL__N_18offset_tEEE10hipError_tPvRmT1_PNSt15iterator_traitsISK_E10value_typeET2_T3_PNSL_ISQ_E10value_typeET4_jRbjT5_SW_jjP12ihipStream_tbEUlT_E0_NS1_11comp_targetILNS1_3genE10ELNS1_11target_archE1200ELNS1_3gpuE4ELNS1_3repE0EEENS1_60segmented_radix_sort_warp_sort_medium_config_static_selectorELNS0_4arch9wavefront6targetE0EEEvSK_,comdat
.Lfunc_end1237:
	.size	_ZN7rocprim17ROCPRIM_400000_NS6detail17trampoline_kernelINS0_14default_configENS1_36segmented_radix_sort_config_selectorIdlEEZNS1_25segmented_radix_sort_implIS3_Lb0EPKdPdPKlPlN2at6native12_GLOBAL__N_18offset_tEEE10hipError_tPvRmT1_PNSt15iterator_traitsISK_E10value_typeET2_T3_PNSL_ISQ_E10value_typeET4_jRbjT5_SW_jjP12ihipStream_tbEUlT_E0_NS1_11comp_targetILNS1_3genE10ELNS1_11target_archE1200ELNS1_3gpuE4ELNS1_3repE0EEENS1_60segmented_radix_sort_warp_sort_medium_config_static_selectorELNS0_4arch9wavefront6targetE0EEEvSK_, .Lfunc_end1237-_ZN7rocprim17ROCPRIM_400000_NS6detail17trampoline_kernelINS0_14default_configENS1_36segmented_radix_sort_config_selectorIdlEEZNS1_25segmented_radix_sort_implIS3_Lb0EPKdPdPKlPlN2at6native12_GLOBAL__N_18offset_tEEE10hipError_tPvRmT1_PNSt15iterator_traitsISK_E10value_typeET2_T3_PNSL_ISQ_E10value_typeET4_jRbjT5_SW_jjP12ihipStream_tbEUlT_E0_NS1_11comp_targetILNS1_3genE10ELNS1_11target_archE1200ELNS1_3gpuE4ELNS1_3repE0EEENS1_60segmented_radix_sort_warp_sort_medium_config_static_selectorELNS0_4arch9wavefront6targetE0EEEvSK_
                                        ; -- End function
	.section	.AMDGPU.csdata,"",@progbits
; Kernel info:
; codeLenInByte = 0
; NumSgprs: 0
; NumVgprs: 0
; ScratchSize: 0
; MemoryBound: 0
; FloatMode: 240
; IeeeMode: 1
; LDSByteSize: 0 bytes/workgroup (compile time only)
; SGPRBlocks: 0
; VGPRBlocks: 0
; NumSGPRsForWavesPerEU: 1
; NumVGPRsForWavesPerEU: 1
; Occupancy: 16
; WaveLimiterHint : 0
; COMPUTE_PGM_RSRC2:SCRATCH_EN: 0
; COMPUTE_PGM_RSRC2:USER_SGPR: 15
; COMPUTE_PGM_RSRC2:TRAP_HANDLER: 0
; COMPUTE_PGM_RSRC2:TGID_X_EN: 1
; COMPUTE_PGM_RSRC2:TGID_Y_EN: 0
; COMPUTE_PGM_RSRC2:TGID_Z_EN: 0
; COMPUTE_PGM_RSRC2:TIDIG_COMP_CNT: 0
	.text
	.p2align	2                               ; -- Begin function _ZN7rocprim17ROCPRIM_400000_NS6detail26segmented_warp_sort_helperINS1_20WarpSortHelperConfigILj16ELj8ELj256EEEdlLi256ELb0EvE4sortIPKdPdPKlPlEEvT_T0_T1_T2_jjjjRNS5_12storage_typeE
	.type	_ZN7rocprim17ROCPRIM_400000_NS6detail26segmented_warp_sort_helperINS1_20WarpSortHelperConfigILj16ELj8ELj256EEEdlLi256ELb0EvE4sortIPKdPdPKlPlEEvT_T0_T1_T2_jjjjRNS5_12storage_typeE,@function
_ZN7rocprim17ROCPRIM_400000_NS6detail26segmented_warp_sort_helperINS1_20WarpSortHelperConfigILj16ELj8ELj256EEEdlLi256ELb0EvE4sortIPKdPdPKlPlEEvT_T0_T1_T2_jjjjRNS5_12storage_typeE: ; @_ZN7rocprim17ROCPRIM_400000_NS6detail26segmented_warp_sort_helperINS1_20WarpSortHelperConfigILj16ELj8ELj256EEEdlLi256ELb0EvE4sortIPKdPdPKlPlEEvT_T0_T1_T2_jjjjRNS5_12storage_typeE
; %bb.0:
	s_waitcnt vmcnt(0) expcnt(0) lgkmcnt(0)
	v_mov_b32_e32 v10, v9
	v_mbcnt_lo_u32_b32 v9, -1, 0
	s_mov_b32 s2, -1
	s_brev_b32 s3, -2
	s_delay_alu instid0(VALU_DEP_1) | instid1(SALU_CYCLE_1)
	v_dual_mov_b32 v27, s3 :: v_dual_lshlrev_b32 v80, 3, v9
	v_dual_mov_b32 v9, 0 :: v_dual_mov_b32 v26, s2
	s_delay_alu instid0(VALU_DEP_2) | instskip(NEXT) | instid1(VALU_DEP_2)
	v_and_b32_e32 v71, 0x78, v80
	v_lshlrev_b64 v[24:25], 3, v[8:9]
	v_sub_nc_u32_e32 v8, v10, v8
	s_delay_alu instid0(VALU_DEP_3) | instskip(NEXT) | instid1(VALU_DEP_3)
	v_lshlrev_b32_e32 v70, 3, v71
	v_add_co_u32 v0, vcc_lo, v0, v24
	s_delay_alu instid0(VALU_DEP_4) | instskip(NEXT) | instid1(VALU_DEP_2)
	v_add_co_ci_u32_e32 v1, vcc_lo, v1, v25, vcc_lo
	v_add_co_u32 v0, vcc_lo, v0, v70
	s_delay_alu instid0(VALU_DEP_2)
	v_add_co_ci_u32_e32 v1, vcc_lo, 0, v1, vcc_lo
	v_cmp_lt_u32_e32 vcc_lo, v71, v8
	s_and_saveexec_b32 s0, vcc_lo
	s_cbranch_execz .LBB1238_2
; %bb.1:
	flat_load_b64 v[26:27], v[0:1]
.LBB1238_2:
	s_or_b32 exec_lo, exec_lo, s0
	v_or_b32_e32 v9, 1, v71
	v_dual_mov_b32 v35, s3 :: v_dual_mov_b32 v34, s2
	s_delay_alu instid0(VALU_DEP_2) | instskip(NEXT) | instid1(VALU_DEP_1)
	v_cmp_lt_u32_e64 s0, v9, v8
	s_and_saveexec_b32 s1, s0
	s_cbranch_execz .LBB1238_4
; %bb.3:
	flat_load_b64 v[34:35], v[0:1] offset:8
.LBB1238_4:
	s_or_b32 exec_lo, exec_lo, s1
	v_or_b32_e32 v9, 2, v71
	s_mov_b32 s4, -1
	s_brev_b32 s5, -2
	s_delay_alu instid0(SALU_CYCLE_1) | instskip(NEXT) | instid1(VALU_DEP_2)
	v_dual_mov_b32 v37, s5 :: v_dual_mov_b32 v36, s4
	v_cmp_lt_u32_e64 s1, v9, v8
	s_delay_alu instid0(VALU_DEP_1)
	s_and_saveexec_b32 s2, s1
	s_cbranch_execz .LBB1238_6
; %bb.5:
	flat_load_b64 v[36:37], v[0:1] offset:16
.LBB1238_6:
	s_or_b32 exec_lo, exec_lo, s2
	v_or_b32_e32 v9, 3, v71
	v_dual_mov_b32 v51, s5 :: v_dual_mov_b32 v50, s4
	s_delay_alu instid0(VALU_DEP_2) | instskip(NEXT) | instid1(VALU_DEP_1)
	v_cmp_lt_u32_e64 s2, v9, v8
	s_and_saveexec_b32 s3, s2
	s_cbranch_execz .LBB1238_8
; %bb.7:
	flat_load_b64 v[50:51], v[0:1] offset:24
.LBB1238_8:
	s_or_b32 exec_lo, exec_lo, s3
	v_or_b32_e32 v9, 4, v71
	s_mov_b32 s6, -1
	s_brev_b32 s7, -2
	s_delay_alu instid0(SALU_CYCLE_1) | instskip(NEXT) | instid1(VALU_DEP_2)
	v_dual_mov_b32 v39, s7 :: v_dual_mov_b32 v38, s6
	v_cmp_lt_u32_e64 s3, v9, v8
	s_delay_alu instid0(VALU_DEP_1)
	s_and_saveexec_b32 s4, s3
	s_cbranch_execz .LBB1238_10
; %bb.9:
	flat_load_b64 v[38:39], v[0:1] offset:32
.LBB1238_10:
	;; [unrolled: 23-line block ×3, first 2 shown]
	s_or_b32 exec_lo, exec_lo, s6
	v_or_b32_e32 v9, 7, v71
	v_dual_mov_b32 v29, s11 :: v_dual_mov_b32 v28, s10
	s_delay_alu instid0(VALU_DEP_2) | instskip(NEXT) | instid1(VALU_DEP_1)
	v_cmp_lt_u32_e64 s6, v9, v8
	s_and_saveexec_b32 s7, s6
	s_cbranch_execz .LBB1238_16
; %bb.15:
	flat_load_b64 v[28:29], v[0:1] offset:56
.LBB1238_16:
	s_or_b32 exec_lo, exec_lo, s7
	v_add_co_u32 v0, s7, v4, v24
	s_delay_alu instid0(VALU_DEP_1) | instskip(NEXT) | instid1(VALU_DEP_2)
	v_add_co_ci_u32_e64 v1, s7, v5, v25, s7
	v_add_co_u32 v52, s7, v0, v70
	s_delay_alu instid0(VALU_DEP_1)
	v_add_co_ci_u32_e64 v53, s7, 0, v1, s7
	; wave barrier
                                        ; implicit-def: $vgpr0_vgpr1
	s_and_saveexec_b32 s7, vcc_lo
	s_cbranch_execnz .LBB1238_261
; %bb.17:
	s_or_b32 exec_lo, exec_lo, s7
	s_and_saveexec_b32 s7, s0
                                        ; implicit-def: $vgpr8_vgpr9_vgpr10_vgpr11
	s_cbranch_execnz .LBB1238_262
.LBB1238_18:
	s_or_b32 exec_lo, exec_lo, s7
                                        ; implicit-def: $vgpr4_vgpr5
	s_and_saveexec_b32 s7, s1
	s_cbranch_execnz .LBB1238_263
.LBB1238_19:
	s_or_b32 exec_lo, exec_lo, s7
	s_and_saveexec_b32 s7, s2
                                        ; implicit-def: $vgpr12_vgpr13_vgpr14_vgpr15
	s_cbranch_execnz .LBB1238_264
.LBB1238_20:
	s_or_b32 exec_lo, exec_lo, s7
                                        ; implicit-def: $vgpr8_vgpr9
	s_and_saveexec_b32 s7, s3
	s_cbranch_execnz .LBB1238_265
.LBB1238_21:
	s_or_b32 exec_lo, exec_lo, s7
	s_and_saveexec_b32 s7, s4
                                        ; implicit-def: $vgpr16_vgpr17_vgpr18_vgpr19
	s_cbranch_execnz .LBB1238_266
.LBB1238_22:
	s_or_b32 exec_lo, exec_lo, s7
                                        ; implicit-def: $vgpr12_vgpr13
	s_and_saveexec_b32 s7, s5
	s_cbranch_execnz .LBB1238_267
.LBB1238_23:
	s_or_b32 exec_lo, exec_lo, s7
	s_and_saveexec_b32 s7, s6
                                        ; implicit-def: $vgpr20_vgpr21_vgpr22_vgpr23
	s_cbranch_execz .LBB1238_25
.LBB1238_24:
	flat_load_b64 v[22:23], v[52:53] offset:56
.LBB1238_25:
	s_or_b32 exec_lo, exec_lo, s7
	; wave barrier
	s_load_b64 s[10:11], s[8:9], 0x0
	v_mov_b32_e32 v16, 0
	v_bfe_u32 v20, v31, 10, 10
	v_bfe_u32 v21, v31, 20, 10
	s_waitcnt lgkmcnt(0)
	s_cmp_lt_u32 s13, s11
	s_cselect_b32 s7, 14, 20
	s_delay_alu instid0(SALU_CYCLE_1) | instskip(SKIP_4) | instid1(SALU_CYCLE_1)
	s_add_u32 s14, s8, s7
	s_addc_u32 s15, s9, 0
	s_cmp_lt_u32 s12, s10
	global_load_u16 v17, v16, s[14:15]
	s_cselect_b32 s7, 12, 18
	s_add_u32 s8, s8, s7
	s_addc_u32 s9, s9, 0
	global_load_u16 v16, v16, s[8:9]
	s_mov_b32 s8, exec_lo
	s_waitcnt vmcnt(1)
	v_mad_u32_u24 v17, v21, v17, v20
	s_waitcnt vmcnt(0)
	s_delay_alu instid0(VALU_DEP_1) | instskip(SKIP_1) | instid1(VALU_DEP_1)
	v_mul_lo_u32 v16, v17, v16
	v_and_b32_e32 v17, 0x3ff, v31
	v_add_lshl_u32 v66, v16, v17, 3
	s_delay_alu instid0(VALU_DEP_1)
	v_cmpx_gt_u32_e32 0x800, v66
	s_cbranch_execz .LBB1238_83
; %bb.26:
	v_add_f64 v[16:17], v[26:27], 0
	v_add_f64 v[20:21], v[34:35], 0
	s_delay_alu instid0(VALU_DEP_2) | instskip(NEXT) | instid1(VALU_DEP_2)
	v_ashrrev_i32_e32 v30, 31, v17
	v_ashrrev_i32_e32 v31, 31, v21
	s_delay_alu instid0(VALU_DEP_2) | instskip(NEXT) | instid1(VALU_DEP_2)
	v_or_b32_e32 v52, 0x80000000, v30
	v_or_b32_e32 v53, 0x80000000, v31
	v_xor_b32_e32 v16, v30, v16
	v_xor_b32_e32 v20, v31, v20
	s_delay_alu instid0(VALU_DEP_4) | instskip(NEXT) | instid1(VALU_DEP_4)
	v_xor_b32_e32 v17, v52, v17
	v_xor_b32_e32 v21, v53, v21
	s_delay_alu instid0(VALU_DEP_1) | instskip(SKIP_2) | instid1(VALU_DEP_3)
	v_cmp_gt_u64_e64 s7, v[16:17], v[20:21]
	v_dual_mov_b32 v16, v34 :: v_dual_mov_b32 v17, v35
	v_dual_mov_b32 v21, v11 :: v_dual_mov_b32 v20, v10
	s_and_saveexec_b32 s9, s7
; %bb.27:
	v_dual_mov_b32 v16, v26 :: v_dual_mov_b32 v17, v27
	v_dual_mov_b32 v26, v34 :: v_dual_mov_b32 v27, v35
	v_dual_mov_b32 v21, v1 :: v_dual_mov_b32 v20, v0
	v_dual_mov_b32 v0, v10 :: v_dual_mov_b32 v1, v11
; %bb.28:
	s_or_b32 exec_lo, exec_lo, s9
	v_add_f64 v[10:11], v[36:37], 0
	v_add_f64 v[30:31], v[50:51], 0
	s_delay_alu instid0(VALU_DEP_2) | instskip(NEXT) | instid1(VALU_DEP_2)
	v_ashrrev_i32_e32 v34, 31, v11
	v_ashrrev_i32_e32 v35, 31, v31
	s_delay_alu instid0(VALU_DEP_2) | instskip(NEXT) | instid1(VALU_DEP_2)
	v_or_b32_e32 v52, 0x80000000, v34
	v_or_b32_e32 v53, 0x80000000, v35
	v_xor_b32_e32 v10, v34, v10
	v_xor_b32_e32 v30, v35, v30
	s_delay_alu instid0(VALU_DEP_4) | instskip(NEXT) | instid1(VALU_DEP_4)
	v_xor_b32_e32 v11, v52, v11
	v_xor_b32_e32 v31, v53, v31
	v_dual_mov_b32 v53, v51 :: v_dual_mov_b32 v52, v50
	s_delay_alu instid0(VALU_DEP_2) | instskip(SKIP_1) | instid1(VALU_DEP_2)
	v_cmp_gt_u64_e64 s7, v[10:11], v[30:31]
	v_dual_mov_b32 v31, v15 :: v_dual_mov_b32 v30, v14
	s_and_saveexec_b32 s9, s7
; %bb.29:
	v_dual_mov_b32 v53, v37 :: v_dual_mov_b32 v52, v36
	v_dual_mov_b32 v36, v50 :: v_dual_mov_b32 v37, v51
	;; [unrolled: 1-line block ×4, first 2 shown]
; %bb.30:
	s_or_b32 exec_lo, exec_lo, s9
	v_add_f64 v[10:11], v[38:39], 0
	v_add_f64 v[14:15], v[32:33], 0
	s_delay_alu instid0(VALU_DEP_2) | instskip(NEXT) | instid1(VALU_DEP_2)
	v_ashrrev_i32_e32 v34, 31, v11
	v_ashrrev_i32_e32 v35, 31, v15
	s_delay_alu instid0(VALU_DEP_2) | instskip(NEXT) | instid1(VALU_DEP_2)
	v_or_b32_e32 v50, 0x80000000, v34
	v_or_b32_e32 v51, 0x80000000, v35
	v_xor_b32_e32 v10, v34, v10
	v_xor_b32_e32 v14, v35, v14
	s_delay_alu instid0(VALU_DEP_4) | instskip(NEXT) | instid1(VALU_DEP_4)
	v_xor_b32_e32 v11, v50, v11
	v_xor_b32_e32 v15, v51, v15
	v_dual_mov_b32 v51, v39 :: v_dual_mov_b32 v50, v38
	s_delay_alu instid0(VALU_DEP_2) | instskip(SKIP_1) | instid1(VALU_DEP_2)
	v_cmp_gt_u64_e64 s7, v[10:11], v[14:15]
	v_dual_mov_b32 v14, v18 :: v_dual_mov_b32 v15, v19
	s_and_saveexec_b32 s9, s7
; %bb.31:
	v_dual_mov_b32 v15, v9 :: v_dual_mov_b32 v14, v8
	v_dual_mov_b32 v8, v18 :: v_dual_mov_b32 v9, v19
	;; [unrolled: 1-line block ×4, first 2 shown]
; %bb.32:
	s_or_b32 exec_lo, exec_lo, s9
	v_add_f64 v[10:11], v[48:49], 0
	v_add_f64 v[18:19], v[28:29], 0
	s_delay_alu instid0(VALU_DEP_2) | instskip(NEXT) | instid1(VALU_DEP_2)
	v_ashrrev_i32_e32 v34, 31, v11
	v_ashrrev_i32_e32 v35, 31, v19
	s_delay_alu instid0(VALU_DEP_2) | instskip(NEXT) | instid1(VALU_DEP_2)
	v_or_b32_e32 v38, 0x80000000, v34
	v_or_b32_e32 v39, 0x80000000, v35
	v_xor_b32_e32 v10, v34, v10
	v_xor_b32_e32 v18, v35, v18
	v_dual_mov_b32 v34, v48 :: v_dual_mov_b32 v35, v49
	v_xor_b32_e32 v11, v38, v11
	v_xor_b32_e32 v19, v39, v19
	s_delay_alu instid0(VALU_DEP_1) | instskip(SKIP_1) | instid1(VALU_DEP_2)
	v_cmp_gt_u64_e64 s7, v[10:11], v[18:19]
	v_dual_mov_b32 v10, v22 :: v_dual_mov_b32 v11, v23
	s_and_saveexec_b32 s9, s7
; %bb.33:
	v_dual_mov_b32 v10, v12 :: v_dual_mov_b32 v11, v13
	v_dual_mov_b32 v12, v22 :: v_dual_mov_b32 v13, v23
	;; [unrolled: 1-line block ×4, first 2 shown]
; %bb.34:
	s_or_b32 exec_lo, exec_lo, s9
	v_add_f64 v[18:19], v[16:17], 0
	v_add_f64 v[22:23], v[36:37], 0
	s_delay_alu instid0(VALU_DEP_2) | instskip(NEXT) | instid1(VALU_DEP_2)
	v_ashrrev_i32_e32 v38, 31, v19
	v_ashrrev_i32_e32 v39, 31, v23
	s_delay_alu instid0(VALU_DEP_2) | instskip(NEXT) | instid1(VALU_DEP_2)
	v_or_b32_e32 v48, 0x80000000, v38
	v_or_b32_e32 v49, 0x80000000, v39
	v_xor_b32_e32 v18, v38, v18
	v_xor_b32_e32 v22, v39, v22
	s_delay_alu instid0(VALU_DEP_4) | instskip(NEXT) | instid1(VALU_DEP_4)
	v_xor_b32_e32 v19, v48, v19
	v_xor_b32_e32 v23, v49, v23
	s_delay_alu instid0(VALU_DEP_1) | instskip(SKIP_2) | instid1(VALU_DEP_3)
	v_cmp_gt_u64_e64 s7, v[18:19], v[22:23]
	v_dual_mov_b32 v18, v36 :: v_dual_mov_b32 v19, v37
	v_dual_mov_b32 v23, v5 :: v_dual_mov_b32 v22, v4
	s_and_saveexec_b32 s9, s7
	s_delay_alu instid0(SALU_CYCLE_1)
	s_xor_b32 s7, exec_lo, s9
; %bb.35:
	v_dual_mov_b32 v19, v17 :: v_dual_mov_b32 v18, v16
	v_dual_mov_b32 v16, v36 :: v_dual_mov_b32 v17, v37
	v_dual_mov_b32 v23, v21 :: v_dual_mov_b32 v22, v20
	v_dual_mov_b32 v21, v5 :: v_dual_mov_b32 v20, v4
; %bb.36:
	s_or_b32 exec_lo, exec_lo, s7
	v_add_f64 v[4:5], v[52:53], 0
	v_add_f64 v[36:37], v[50:51], 0
	s_delay_alu instid0(VALU_DEP_2) | instskip(NEXT) | instid1(VALU_DEP_2)
	v_ashrrev_i32_e32 v38, 31, v5
	v_ashrrev_i32_e32 v39, 31, v37
	s_delay_alu instid0(VALU_DEP_2) | instskip(NEXT) | instid1(VALU_DEP_2)
	v_or_b32_e32 v48, 0x80000000, v38
	v_or_b32_e32 v49, 0x80000000, v39
	v_xor_b32_e32 v4, v38, v4
	v_xor_b32_e32 v36, v39, v36
	s_delay_alu instid0(VALU_DEP_4) | instskip(NEXT) | instid1(VALU_DEP_4)
	v_xor_b32_e32 v5, v48, v5
	v_xor_b32_e32 v37, v49, v37
	s_delay_alu instid0(VALU_DEP_1) | instskip(SKIP_2) | instid1(VALU_DEP_3)
	v_cmp_gt_u64_e64 s7, v[4:5], v[36:37]
	v_dual_mov_b32 v4, v52 :: v_dual_mov_b32 v5, v53
	v_dual_mov_b32 v37, v9 :: v_dual_mov_b32 v36, v8
	s_and_saveexec_b32 s9, s7
; %bb.37:
	v_dual_mov_b32 v4, v50 :: v_dual_mov_b32 v5, v51
	v_dual_mov_b32 v37, v31 :: v_dual_mov_b32 v36, v30
	v_dual_mov_b32 v31, v9 :: v_dual_mov_b32 v30, v8
	v_dual_mov_b32 v50, v52 :: v_dual_mov_b32 v51, v53
; %bb.38:
	s_or_b32 exec_lo, exec_lo, s9
	v_add_f64 v[8:9], v[32:33], 0
	v_add_f64 v[38:39], v[34:35], 0
	s_delay_alu instid0(VALU_DEP_2) | instskip(NEXT) | instid1(VALU_DEP_2)
	v_ashrrev_i32_e32 v48, 31, v9
	v_ashrrev_i32_e32 v49, 31, v39
	s_delay_alu instid0(VALU_DEP_2) | instskip(NEXT) | instid1(VALU_DEP_2)
	v_or_b32_e32 v52, 0x80000000, v48
	v_or_b32_e32 v53, 0x80000000, v49
	v_xor_b32_e32 v8, v48, v8
	v_xor_b32_e32 v38, v49, v38
	s_delay_alu instid0(VALU_DEP_4) | instskip(NEXT) | instid1(VALU_DEP_4)
	v_xor_b32_e32 v9, v52, v9
	v_xor_b32_e32 v39, v53, v39
	s_delay_alu instid0(VALU_DEP_1) | instskip(SKIP_2) | instid1(VALU_DEP_3)
	v_cmp_gt_u64_e64 s7, v[8:9], v[38:39]
	v_dual_mov_b32 v8, v12 :: v_dual_mov_b32 v9, v13
	v_dual_mov_b32 v39, v33 :: v_dual_mov_b32 v38, v32
	s_and_saveexec_b32 s9, s7
	;; [unrolled: 25-line block ×3, first 2 shown]
; %bb.41:
	v_dual_mov_b32 v12, v26 :: v_dual_mov_b32 v13, v27
	v_dual_mov_b32 v27, v17 :: v_dual_mov_b32 v26, v16
	;; [unrolled: 1-line block ×4, first 2 shown]
; %bb.42:
	s_or_b32 exec_lo, exec_lo, s9
	v_add_f64 v[16:17], v[18:19], 0
	v_add_f64 v[20:21], v[4:5], 0
	s_delay_alu instid0(VALU_DEP_2) | instskip(NEXT) | instid1(VALU_DEP_2)
	v_ashrrev_i32_e32 v48, 31, v17
	v_ashrrev_i32_e32 v49, 31, v21
	s_delay_alu instid0(VALU_DEP_2) | instskip(NEXT) | instid1(VALU_DEP_2)
	v_or_b32_e32 v52, 0x80000000, v48
	v_or_b32_e32 v53, 0x80000000, v49
	v_xor_b32_e32 v16, v48, v16
	v_xor_b32_e32 v20, v49, v20
	v_dual_mov_b32 v49, v5 :: v_dual_mov_b32 v48, v4
	v_xor_b32_e32 v17, v52, v17
	v_xor_b32_e32 v21, v53, v21
	s_delay_alu instid0(VALU_DEP_1) | instskip(SKIP_1) | instid1(VALU_DEP_2)
	v_cmp_gt_u64_e64 s7, v[16:17], v[20:21]
	v_dual_mov_b32 v20, v30 :: v_dual_mov_b32 v21, v31
	s_and_saveexec_b32 s9, s7
; %bb.43:
	v_dual_mov_b32 v49, v19 :: v_dual_mov_b32 v48, v18
	v_dual_mov_b32 v19, v5 :: v_dual_mov_b32 v18, v4
	;; [unrolled: 1-line block ×4, first 2 shown]
; %bb.44:
	s_or_b32 exec_lo, exec_lo, s9
	v_add_f64 v[4:5], v[50:51], 0
	v_add_f64 v[16:17], v[38:39], 0
	s_delay_alu instid0(VALU_DEP_2) | instskip(NEXT) | instid1(VALU_DEP_2)
	v_ashrrev_i32_e32 v30, 31, v5
	v_ashrrev_i32_e32 v31, 31, v17
	s_delay_alu instid0(VALU_DEP_2) | instskip(NEXT) | instid1(VALU_DEP_2)
	v_or_b32_e32 v52, 0x80000000, v30
	v_or_b32_e32 v53, 0x80000000, v31
	v_xor_b32_e32 v4, v30, v4
	v_xor_b32_e32 v16, v31, v16
	s_delay_alu instid0(VALU_DEP_4) | instskip(NEXT) | instid1(VALU_DEP_4)
	v_xor_b32_e32 v5, v52, v5
	v_xor_b32_e32 v17, v53, v17
	v_dual_mov_b32 v53, v51 :: v_dual_mov_b32 v52, v50
	s_delay_alu instid0(VALU_DEP_2) | instskip(SKIP_1) | instid1(VALU_DEP_2)
	v_cmp_gt_u64_e64 s7, v[4:5], v[16:17]
	v_dual_mov_b32 v17, v15 :: v_dual_mov_b32 v16, v14
	s_and_saveexec_b32 s9, s7
; %bb.45:
	v_dual_mov_b32 v16, v36 :: v_dual_mov_b32 v17, v37
	v_dual_mov_b32 v37, v15 :: v_dual_mov_b32 v36, v14
	;; [unrolled: 1-line block ×4, first 2 shown]
; %bb.46:
	s_or_b32 exec_lo, exec_lo, s9
	v_add_f64 v[4:5], v[34:35], 0
	v_add_f64 v[14:15], v[28:29], 0
	s_delay_alu instid0(VALU_DEP_2) | instskip(NEXT) | instid1(VALU_DEP_2)
	v_ashrrev_i32_e32 v30, 31, v5
	v_ashrrev_i32_e32 v31, 31, v15
	s_delay_alu instid0(VALU_DEP_2) | instskip(NEXT) | instid1(VALU_DEP_2)
	v_or_b32_e32 v50, 0x80000000, v30
	v_or_b32_e32 v51, 0x80000000, v31
	v_xor_b32_e32 v4, v30, v4
	v_xor_b32_e32 v14, v31, v14
	v_dual_mov_b32 v30, v34 :: v_dual_mov_b32 v31, v35
	v_xor_b32_e32 v5, v50, v5
	v_xor_b32_e32 v15, v51, v15
	s_delay_alu instid0(VALU_DEP_1) | instskip(SKIP_1) | instid1(VALU_DEP_2)
	v_cmp_gt_u64_e64 s7, v[4:5], v[14:15]
	v_dual_mov_b32 v4, v10 :: v_dual_mov_b32 v5, v11
	s_and_saveexec_b32 s9, s7
; %bb.47:
	v_dual_mov_b32 v4, v8 :: v_dual_mov_b32 v5, v9
	v_dual_mov_b32 v8, v10 :: v_dual_mov_b32 v9, v11
	;; [unrolled: 1-line block ×4, first 2 shown]
; %bb.48:
	s_or_b32 exec_lo, exec_lo, s9
	v_add_f64 v[10:11], v[12:13], 0
	v_add_f64 v[14:15], v[18:19], 0
	s_delay_alu instid0(VALU_DEP_2) | instskip(NEXT) | instid1(VALU_DEP_2)
	v_ashrrev_i32_e32 v34, 31, v11
	v_ashrrev_i32_e32 v35, 31, v15
	s_delay_alu instid0(VALU_DEP_2) | instskip(NEXT) | instid1(VALU_DEP_2)
	v_or_b32_e32 v50, 0x80000000, v34
	v_or_b32_e32 v51, 0x80000000, v35
	v_xor_b32_e32 v10, v34, v10
	v_xor_b32_e32 v14, v35, v14
	v_dual_mov_b32 v35, v23 :: v_dual_mov_b32 v34, v22
	v_xor_b32_e32 v11, v50, v11
	v_xor_b32_e32 v15, v51, v15
	s_delay_alu instid0(VALU_DEP_1) | instskip(SKIP_1) | instid1(VALU_DEP_2)
	v_cmp_gt_u64_e64 s7, v[10:11], v[14:15]
	v_dual_mov_b32 v10, v18 :: v_dual_mov_b32 v11, v19
	s_and_saveexec_b32 s9, s7
; %bb.49:
	v_dual_mov_b32 v10, v12 :: v_dual_mov_b32 v11, v13
	v_dual_mov_b32 v12, v18 :: v_dual_mov_b32 v13, v19
	;; [unrolled: 1-line block ×4, first 2 shown]
; %bb.50:
	s_or_b32 exec_lo, exec_lo, s9
	v_add_f64 v[14:15], v[48:49], 0
	v_add_f64 v[18:19], v[52:53], 0
	s_mov_b32 s9, exec_lo
	s_delay_alu instid0(VALU_DEP_2) | instskip(NEXT) | instid1(VALU_DEP_2)
	v_ashrrev_i32_e32 v22, 31, v15
	v_ashrrev_i32_e32 v23, 31, v19
	s_delay_alu instid0(VALU_DEP_2) | instskip(NEXT) | instid1(VALU_DEP_2)
	v_or_b32_e32 v50, 0x80000000, v22
	v_or_b32_e32 v51, 0x80000000, v23
	v_xor_b32_e32 v14, v22, v14
	v_xor_b32_e32 v18, v23, v18
	v_dual_mov_b32 v22, v36 :: v_dual_mov_b32 v23, v37
	v_xor_b32_e32 v15, v50, v15
	v_xor_b32_e32 v19, v51, v19
	v_dual_mov_b32 v51, v49 :: v_dual_mov_b32 v50, v48
	s_delay_alu instid0(VALU_DEP_2)
	v_cmpx_gt_u64_e64 v[14:15], v[18:19]
; %bb.51:
	v_dual_mov_b32 v50, v52 :: v_dual_mov_b32 v51, v53
	v_dual_mov_b32 v23, v21 :: v_dual_mov_b32 v22, v20
	;; [unrolled: 1-line block ×4, first 2 shown]
; %bb.52:
	s_or_b32 exec_lo, exec_lo, s9
	v_add_f64 v[14:15], v[38:39], 0
	v_add_f64 v[18:19], v[30:31], 0
	s_delay_alu instid0(VALU_DEP_2) | instskip(NEXT) | instid1(VALU_DEP_2)
	v_ashrrev_i32_e32 v36, 31, v15
	v_ashrrev_i32_e32 v37, 31, v19
	s_delay_alu instid0(VALU_DEP_2) | instskip(NEXT) | instid1(VALU_DEP_2)
	v_or_b32_e32 v48, 0x80000000, v36
	v_or_b32_e32 v49, 0x80000000, v37
	v_xor_b32_e32 v14, v36, v14
	v_xor_b32_e32 v18, v37, v18
	v_dual_mov_b32 v36, v38 :: v_dual_mov_b32 v37, v39
	v_xor_b32_e32 v15, v48, v15
	v_xor_b32_e32 v19, v49, v19
	s_delay_alu instid0(VALU_DEP_1) | instskip(SKIP_1) | instid1(VALU_DEP_2)
	v_cmp_gt_u64_e64 s7, v[14:15], v[18:19]
	v_dual_mov_b32 v15, v9 :: v_dual_mov_b32 v14, v8
	s_and_saveexec_b32 s9, s7
; %bb.53:
	v_dual_mov_b32 v14, v16 :: v_dual_mov_b32 v15, v17
	v_dual_mov_b32 v17, v9 :: v_dual_mov_b32 v16, v8
	;; [unrolled: 1-line block ×4, first 2 shown]
; %bb.54:
	s_or_b32 exec_lo, exec_lo, s9
	v_add_f64 v[8:9], v[26:27], 0
	v_add_f64 v[18:19], v[12:13], 0
	s_delay_alu instid0(VALU_DEP_2) | instskip(NEXT) | instid1(VALU_DEP_2)
	v_ashrrev_i32_e32 v38, 31, v9
	v_ashrrev_i32_e32 v39, 31, v19
	s_delay_alu instid0(VALU_DEP_2) | instskip(NEXT) | instid1(VALU_DEP_2)
	v_or_b32_e32 v48, 0x80000000, v38
	v_or_b32_e32 v49, 0x80000000, v39
	v_xor_b32_e32 v8, v38, v8
	v_xor_b32_e32 v18, v39, v18
	v_dual_mov_b32 v39, v33 :: v_dual_mov_b32 v38, v32
	v_xor_b32_e32 v9, v48, v9
	v_xor_b32_e32 v19, v49, v19
	s_delay_alu instid0(VALU_DEP_1) | instskip(SKIP_1) | instid1(VALU_DEP_2)
	v_cmp_gt_u64_e64 s7, v[8:9], v[18:19]
	v_dual_mov_b32 v19, v13 :: v_dual_mov_b32 v18, v12
	s_and_saveexec_b32 s9, s7
; %bb.55:
	v_dual_mov_b32 v18, v26 :: v_dual_mov_b32 v19, v27
	v_dual_mov_b32 v27, v13 :: v_dual_mov_b32 v26, v12
	;; [unrolled: 1-line block ×4, first 2 shown]
; %bb.56:
	s_or_b32 exec_lo, exec_lo, s9
	v_add_f64 v[8:9], v[10:11], 0
	v_add_f64 v[12:13], v[50:51], 0
	s_delay_alu instid0(VALU_DEP_2) | instskip(NEXT) | instid1(VALU_DEP_2)
	v_ashrrev_i32_e32 v32, 31, v9
	v_ashrrev_i32_e32 v33, 31, v13
	s_delay_alu instid0(VALU_DEP_2) | instskip(NEXT) | instid1(VALU_DEP_2)
	v_or_b32_e32 v48, 0x80000000, v32
	v_or_b32_e32 v49, 0x80000000, v33
	v_xor_b32_e32 v8, v32, v8
	v_xor_b32_e32 v12, v33, v12
	s_delay_alu instid0(VALU_DEP_4) | instskip(NEXT) | instid1(VALU_DEP_4)
	v_xor_b32_e32 v9, v48, v9
	v_xor_b32_e32 v13, v49, v13
	v_dual_mov_b32 v49, v21 :: v_dual_mov_b32 v48, v20
	s_delay_alu instid0(VALU_DEP_2) | instskip(SKIP_1) | instid1(VALU_DEP_2)
	v_cmp_gt_u64_e64 s7, v[8:9], v[12:13]
	v_dual_mov_b32 v12, v50 :: v_dual_mov_b32 v13, v51
	s_and_saveexec_b32 s9, s7
; %bb.57:
	v_dual_mov_b32 v13, v11 :: v_dual_mov_b32 v12, v10
	v_dual_mov_b32 v10, v50 :: v_dual_mov_b32 v11, v51
	;; [unrolled: 1-line block ×4, first 2 shown]
; %bb.58:
	s_or_b32 exec_lo, exec_lo, s9
	v_add_f64 v[8:9], v[52:53], 0
	v_add_f64 v[20:21], v[36:37], 0
	v_dual_mov_b32 v55, v53 :: v_dual_mov_b32 v54, v52
	s_delay_alu instid0(VALU_DEP_3) | instskip(NEXT) | instid1(VALU_DEP_3)
	v_ashrrev_i32_e32 v32, 31, v9
	v_ashrrev_i32_e32 v33, 31, v21
	s_delay_alu instid0(VALU_DEP_2) | instskip(NEXT) | instid1(VALU_DEP_2)
	v_or_b32_e32 v50, 0x80000000, v32
	v_or_b32_e32 v51, 0x80000000, v33
	v_xor_b32_e32 v8, v32, v8
	v_xor_b32_e32 v20, v33, v20
	s_delay_alu instid0(VALU_DEP_4) | instskip(NEXT) | instid1(VALU_DEP_4)
	v_xor_b32_e32 v9, v50, v9
	v_xor_b32_e32 v21, v51, v21
	s_delay_alu instid0(VALU_DEP_1) | instskip(SKIP_1) | instid1(VALU_DEP_2)
	v_cmp_gt_u64_e64 s7, v[8:9], v[20:21]
	v_dual_mov_b32 v21, v17 :: v_dual_mov_b32 v20, v16
	s_and_saveexec_b32 s9, s7
; %bb.59:
	v_dual_mov_b32 v20, v22 :: v_dual_mov_b32 v21, v23
	v_dual_mov_b32 v23, v17 :: v_dual_mov_b32 v22, v16
	;; [unrolled: 1-line block ×4, first 2 shown]
; %bb.60:
	s_or_b32 exec_lo, exec_lo, s9
	v_add_f64 v[8:9], v[30:31], 0
	v_add_f64 v[16:17], v[28:29], 0
	s_delay_alu instid0(VALU_DEP_2) | instskip(NEXT) | instid1(VALU_DEP_2)
	v_ashrrev_i32_e32 v32, 31, v9
	v_ashrrev_i32_e32 v33, 31, v17
	s_delay_alu instid0(VALU_DEP_2) | instskip(NEXT) | instid1(VALU_DEP_2)
	v_or_b32_e32 v50, 0x80000000, v32
	v_or_b32_e32 v51, 0x80000000, v33
	v_xor_b32_e32 v8, v32, v8
	v_xor_b32_e32 v16, v33, v16
	s_delay_alu instid0(VALU_DEP_4) | instskip(NEXT) | instid1(VALU_DEP_4)
	v_xor_b32_e32 v9, v50, v9
	v_xor_b32_e32 v17, v51, v17
	v_dual_mov_b32 v51, v31 :: v_dual_mov_b32 v50, v30
	s_delay_alu instid0(VALU_DEP_2) | instskip(SKIP_1) | instid1(VALU_DEP_2)
	v_cmp_gt_u64_e64 s7, v[8:9], v[16:17]
	v_dual_mov_b32 v9, v5 :: v_dual_mov_b32 v8, v4
	s_and_saveexec_b32 s9, s7
; %bb.61:
	v_dual_mov_b32 v8, v14 :: v_dual_mov_b32 v9, v15
	v_dual_mov_b32 v15, v5 :: v_dual_mov_b32 v14, v4
	;; [unrolled: 1-line block ×4, first 2 shown]
; %bb.62:
	s_or_b32 exec_lo, exec_lo, s9
	v_add_f64 v[4:5], v[18:19], 0
	v_add_f64 v[16:17], v[10:11], 0
	v_dual_mov_b32 v53, v35 :: v_dual_mov_b32 v52, v34
	s_delay_alu instid0(VALU_DEP_3) | instskip(NEXT) | instid1(VALU_DEP_3)
	v_ashrrev_i32_e32 v30, 31, v5
	v_ashrrev_i32_e32 v31, 31, v17
	s_delay_alu instid0(VALU_DEP_2) | instskip(NEXT) | instid1(VALU_DEP_2)
	v_or_b32_e32 v32, 0x80000000, v30
	v_or_b32_e32 v33, 0x80000000, v31
	v_xor_b32_e32 v4, v30, v4
	v_xor_b32_e32 v16, v31, v16
	s_delay_alu instid0(VALU_DEP_4) | instskip(NEXT) | instid1(VALU_DEP_4)
	v_xor_b32_e32 v5, v32, v5
	v_xor_b32_e32 v17, v33, v17
	s_delay_alu instid0(VALU_DEP_1) | instskip(SKIP_1) | instid1(VALU_DEP_2)
	v_cmp_gt_u64_e64 s7, v[4:5], v[16:17]
	v_dual_mov_b32 v17, v11 :: v_dual_mov_b32 v16, v10
	s_and_saveexec_b32 s9, s7
; %bb.63:
	v_dual_mov_b32 v16, v18 :: v_dual_mov_b32 v17, v19
	v_dual_mov_b32 v19, v11 :: v_dual_mov_b32 v18, v10
	;; [unrolled: 1-line block ×4, first 2 shown]
; %bb.64:
	s_or_b32 exec_lo, exec_lo, s9
	v_add_f64 v[4:5], v[12:13], 0
	v_add_f64 v[10:11], v[54:55], 0
	s_delay_alu instid0(VALU_DEP_2) | instskip(NEXT) | instid1(VALU_DEP_2)
	v_ashrrev_i32_e32 v30, 31, v5
	v_ashrrev_i32_e32 v31, 31, v11
	s_delay_alu instid0(VALU_DEP_2) | instskip(NEXT) | instid1(VALU_DEP_2)
	v_or_b32_e32 v32, 0x80000000, v30
	v_or_b32_e32 v33, 0x80000000, v31
	v_xor_b32_e32 v4, v30, v4
	v_xor_b32_e32 v10, v31, v10
	v_dual_mov_b32 v31, v23 :: v_dual_mov_b32 v30, v22
	v_xor_b32_e32 v5, v32, v5
	v_xor_b32_e32 v11, v33, v11
	s_delay_alu instid0(VALU_DEP_1) | instskip(SKIP_1) | instid1(VALU_DEP_2)
	v_cmp_gt_u64_e64 s7, v[4:5], v[10:11]
	v_dual_mov_b32 v4, v12 :: v_dual_mov_b32 v5, v13
	s_and_saveexec_b32 s9, s7
; %bb.65:
	v_dual_mov_b32 v4, v54 :: v_dual_mov_b32 v5, v55
	v_dual_mov_b32 v30, v48 :: v_dual_mov_b32 v31, v49
	;; [unrolled: 1-line block ×4, first 2 shown]
; %bb.66:
	s_or_b32 exec_lo, exec_lo, s9
	v_add_f64 v[10:11], v[36:37], 0
	v_add_f64 v[12:13], v[50:51], 0
	s_delay_alu instid0(VALU_DEP_2) | instskip(NEXT) | instid1(VALU_DEP_2)
	v_ashrrev_i32_e32 v22, 31, v11
	v_ashrrev_i32_e32 v23, 31, v13
	s_delay_alu instid0(VALU_DEP_2) | instskip(NEXT) | instid1(VALU_DEP_2)
	v_or_b32_e32 v32, 0x80000000, v22
	v_or_b32_e32 v33, 0x80000000, v23
	v_xor_b32_e32 v10, v22, v10
	v_xor_b32_e32 v12, v23, v12
	s_delay_alu instid0(VALU_DEP_4) | instskip(NEXT) | instid1(VALU_DEP_4)
	v_xor_b32_e32 v11, v32, v11
	v_xor_b32_e32 v13, v33, v13
	v_dual_mov_b32 v32, v36 :: v_dual_mov_b32 v33, v37
	s_delay_alu instid0(VALU_DEP_2) | instskip(SKIP_1) | instid1(VALU_DEP_2)
	v_cmp_gt_u64_e64 s7, v[10:11], v[12:13]
	v_dual_mov_b32 v12, v14 :: v_dual_mov_b32 v13, v15
	s_and_saveexec_b32 s9, s7
; %bb.67:
	v_dual_mov_b32 v12, v20 :: v_dual_mov_b32 v13, v21
	v_dual_mov_b32 v21, v15 :: v_dual_mov_b32 v20, v14
	;; [unrolled: 1-line block ×4, first 2 shown]
; %bb.68:
	s_or_b32 exec_lo, exec_lo, s9
	v_add_f64 v[10:11], v[26:27], 0
	v_add_f64 v[14:15], v[18:19], 0
	s_delay_alu instid0(VALU_DEP_2) | instskip(NEXT) | instid1(VALU_DEP_2)
	v_ashrrev_i32_e32 v22, 31, v11
	v_ashrrev_i32_e32 v23, 31, v15
	s_delay_alu instid0(VALU_DEP_2) | instskip(NEXT) | instid1(VALU_DEP_2)
	v_or_b32_e32 v34, 0x80000000, v22
	v_or_b32_e32 v35, 0x80000000, v23
	v_xor_b32_e32 v10, v22, v10
	v_xor_b32_e32 v14, v23, v14
	s_delay_alu instid0(VALU_DEP_4) | instskip(NEXT) | instid1(VALU_DEP_4)
	v_xor_b32_e32 v11, v34, v11
	v_xor_b32_e32 v15, v35, v15
	v_dual_mov_b32 v35, v19 :: v_dual_mov_b32 v34, v18
	s_delay_alu instid0(VALU_DEP_2) | instskip(SKIP_1) | instid1(VALU_DEP_2)
	v_cmp_gt_u64_e64 s7, v[10:11], v[14:15]
	v_dual_mov_b32 v10, v38 :: v_dual_mov_b32 v11, v39
	s_and_saveexec_b32 s9, s7
; %bb.69:
	v_dual_mov_b32 v35, v27 :: v_dual_mov_b32 v34, v26
	v_dual_mov_b32 v27, v19 :: v_dual_mov_b32 v26, v18
	;; [unrolled: 1-line block ×4, first 2 shown]
; %bb.70:
	s_or_b32 exec_lo, exec_lo, s9
	v_add_f64 v[14:15], v[16:17], 0
	v_add_f64 v[18:19], v[4:5], 0
	s_delay_alu instid0(VALU_DEP_2) | instskip(NEXT) | instid1(VALU_DEP_2)
	v_ashrrev_i32_e32 v22, 31, v15
	v_ashrrev_i32_e32 v23, 31, v19
	s_delay_alu instid0(VALU_DEP_2) | instskip(NEXT) | instid1(VALU_DEP_2)
	v_or_b32_e32 v36, 0x80000000, v22
	v_or_b32_e32 v37, 0x80000000, v23
	v_xor_b32_e32 v14, v22, v14
	v_xor_b32_e32 v18, v23, v18
	s_delay_alu instid0(VALU_DEP_4) | instskip(NEXT) | instid1(VALU_DEP_4)
	v_xor_b32_e32 v15, v36, v15
	v_xor_b32_e32 v19, v37, v19
	s_delay_alu instid0(VALU_DEP_1) | instskip(SKIP_2) | instid1(VALU_DEP_3)
	v_cmp_gt_u64_e64 s7, v[14:15], v[18:19]
	v_dual_mov_b32 v19, v5 :: v_dual_mov_b32 v18, v4
	v_dual_mov_b32 v14, v48 :: v_dual_mov_b32 v15, v49
	s_and_saveexec_b32 s9, s7
; %bb.71:
	v_dual_mov_b32 v19, v17 :: v_dual_mov_b32 v18, v16
	v_dual_mov_b32 v17, v5 :: v_dual_mov_b32 v16, v4
	;; [unrolled: 1-line block ×4, first 2 shown]
; %bb.72:
	s_or_b32 exec_lo, exec_lo, s9
	v_add_f64 v[4:5], v[54:55], 0
	v_add_f64 v[22:23], v[32:33], 0
	v_dual_mov_b32 v65, v21 :: v_dual_mov_b32 v64, v20
	s_mov_b32 s9, exec_lo
	s_delay_alu instid0(VALU_DEP_3) | instskip(NEXT) | instid1(VALU_DEP_3)
	v_ashrrev_i32_e32 v36, 31, v5
	v_ashrrev_i32_e32 v37, 31, v23
	s_delay_alu instid0(VALU_DEP_2) | instskip(NEXT) | instid1(VALU_DEP_2)
	v_or_b32_e32 v38, 0x80000000, v36
	v_or_b32_e32 v39, 0x80000000, v37
	v_xor_b32_e32 v4, v36, v4
	v_xor_b32_e32 v22, v37, v22
	s_delay_alu instid0(VALU_DEP_4) | instskip(NEXT) | instid1(VALU_DEP_4)
	v_xor_b32_e32 v5, v38, v5
	v_xor_b32_e32 v23, v39, v23
	v_dual_mov_b32 v38, v54 :: v_dual_mov_b32 v39, v55
	s_delay_alu instid0(VALU_DEP_2)
	v_cmpx_gt_u64_e64 v[4:5], v[22:23]
; %bb.73:
	v_dual_mov_b32 v65, v31 :: v_dual_mov_b32 v64, v30
	v_dual_mov_b32 v31, v21 :: v_dual_mov_b32 v30, v20
	;; [unrolled: 1-line block ×4, first 2 shown]
; %bb.74:
	s_or_b32 exec_lo, exec_lo, s9
	v_add_f64 v[4:5], v[50:51], 0
	v_add_f64 v[20:21], v[28:29], 0
	s_delay_alu instid0(VALU_DEP_2) | instskip(NEXT) | instid1(VALU_DEP_2)
	v_ashrrev_i32_e32 v22, 31, v5
	v_ashrrev_i32_e32 v23, 31, v21
	s_delay_alu instid0(VALU_DEP_2) | instskip(NEXT) | instid1(VALU_DEP_2)
	v_or_b32_e32 v36, 0x80000000, v22
	v_or_b32_e32 v37, 0x80000000, v23
	v_xor_b32_e32 v4, v22, v4
	v_xor_b32_e32 v20, v23, v20
	v_dual_mov_b32 v23, v9 :: v_dual_mov_b32 v22, v8
	v_xor_b32_e32 v5, v36, v5
	v_xor_b32_e32 v21, v37, v21
	s_delay_alu instid0(VALU_DEP_1) | instskip(SKIP_1) | instid1(VALU_DEP_2)
	v_cmp_gt_u64_e64 s7, v[4:5], v[20:21]
	v_dual_mov_b32 v20, v50 :: v_dual_mov_b32 v21, v51
	s_and_saveexec_b32 s9, s7
; %bb.75:
	v_dual_mov_b32 v23, v13 :: v_dual_mov_b32 v22, v12
	v_dual_mov_b32 v13, v9 :: v_dual_mov_b32 v12, v8
	;; [unrolled: 1-line block ×4, first 2 shown]
; %bb.76:
	s_or_b32 exec_lo, exec_lo, s9
	v_add_f64 v[4:5], v[34:35], 0
	v_add_f64 v[8:9], v[16:17], 0
	s_delay_alu instid0(VALU_DEP_2) | instskip(NEXT) | instid1(VALU_DEP_2)
	v_ashrrev_i32_e32 v36, 31, v5
	v_ashrrev_i32_e32 v37, 31, v9
	s_delay_alu instid0(VALU_DEP_2) | instskip(NEXT) | instid1(VALU_DEP_2)
	v_or_b32_e32 v48, 0x80000000, v36
	v_or_b32_e32 v49, 0x80000000, v37
	v_xor_b32_e32 v4, v36, v4
	v_xor_b32_e32 v8, v37, v8
	v_dual_mov_b32 v37, v17 :: v_dual_mov_b32 v36, v16
	v_xor_b32_e32 v5, v48, v5
	v_xor_b32_e32 v9, v49, v9
	s_delay_alu instid0(VALU_DEP_1) | instskip(SKIP_1) | instid1(VALU_DEP_2)
	v_cmp_gt_u64_e64 s7, v[4:5], v[8:9]
	v_dual_mov_b32 v4, v52 :: v_dual_mov_b32 v5, v53
	s_and_saveexec_b32 s9, s7
; %bb.77:
	v_dual_mov_b32 v37, v35 :: v_dual_mov_b32 v36, v34
	v_dual_mov_b32 v35, v17 :: v_dual_mov_b32 v34, v16
	;; [unrolled: 1-line block ×4, first 2 shown]
; %bb.78:
	s_or_b32 exec_lo, exec_lo, s9
	v_add_f64 v[8:9], v[18:19], 0
	v_add_f64 v[16:17], v[38:39], 0
	s_delay_alu instid0(VALU_DEP_2) | instskip(NEXT) | instid1(VALU_DEP_2)
	v_ashrrev_i32_e32 v48, 31, v9
	v_ashrrev_i32_e32 v49, 31, v17
	s_delay_alu instid0(VALU_DEP_2) | instskip(NEXT) | instid1(VALU_DEP_2)
	v_or_b32_e32 v50, 0x80000000, v48
	v_or_b32_e32 v51, 0x80000000, v49
	v_xor_b32_e32 v8, v48, v8
	v_xor_b32_e32 v16, v49, v16
	s_delay_alu instid0(VALU_DEP_4) | instskip(NEXT) | instid1(VALU_DEP_4)
	v_xor_b32_e32 v9, v50, v9
	v_xor_b32_e32 v17, v51, v17
	v_dual_mov_b32 v51, v19 :: v_dual_mov_b32 v50, v18
	s_delay_alu instid0(VALU_DEP_2) | instskip(SKIP_1) | instid1(VALU_DEP_2)
	v_cmp_gt_u64_e64 s7, v[8:9], v[16:17]
	v_dual_mov_b32 v8, v30 :: v_dual_mov_b32 v9, v31
	s_and_saveexec_b32 s9, s7
; %bb.79:
	v_dual_mov_b32 v51, v39 :: v_dual_mov_b32 v50, v38
	v_dual_mov_b32 v8, v14 :: v_dual_mov_b32 v9, v15
	;; [unrolled: 1-line block ×4, first 2 shown]
; %bb.80:
	s_or_b32 exec_lo, exec_lo, s9
	v_add_f64 v[16:17], v[32:33], 0
	v_add_f64 v[18:19], v[20:21], 0
	s_delay_alu instid0(VALU_DEP_2) | instskip(NEXT) | instid1(VALU_DEP_2)
	v_ashrrev_i32_e32 v30, 31, v17
	v_ashrrev_i32_e32 v31, 31, v19
	s_delay_alu instid0(VALU_DEP_2) | instskip(NEXT) | instid1(VALU_DEP_2)
	v_or_b32_e32 v48, 0x80000000, v30
	v_or_b32_e32 v49, 0x80000000, v31
	v_xor_b32_e32 v16, v30, v16
	v_xor_b32_e32 v18, v31, v18
	s_delay_alu instid0(VALU_DEP_4) | instskip(NEXT) | instid1(VALU_DEP_4)
	v_xor_b32_e32 v17, v48, v17
	v_xor_b32_e32 v19, v49, v19
	v_dual_mov_b32 v49, v21 :: v_dual_mov_b32 v48, v20
	s_delay_alu instid0(VALU_DEP_2) | instskip(SKIP_1) | instid1(VALU_DEP_2)
	v_cmp_gt_u64_e64 s7, v[16:17], v[18:19]
	v_dual_mov_b32 v18, v64 :: v_dual_mov_b32 v19, v65
	s_and_saveexec_b32 s9, s7
; %bb.81:
	v_dual_mov_b32 v49, v33 :: v_dual_mov_b32 v48, v32
	v_dual_mov_b32 v33, v21 :: v_dual_mov_b32 v32, v20
	;; [unrolled: 1-line block ×4, first 2 shown]
; %bb.82:
	s_or_b32 exec_lo, exec_lo, s9
.LBB1238_83:
	s_delay_alu instid0(SALU_CYCLE_1) | instskip(SKIP_3) | instid1(VALU_DEP_2)
	s_or_b32 exec_lo, exec_lo, s8
	v_and_b32_e32 v16, 0xffffff00, v66
	v_or_b32_e32 v17, 8, v80
	s_mov_b32 s8, exec_lo
	v_sub_nc_u32_e64 v84, 0x800, v16 clamp
	v_lshlrev_b32_e32 v81, 3, v16
	v_and_b32_e32 v16, 0xf0, v80
	s_delay_alu instid0(VALU_DEP_3) | instskip(SKIP_1) | instid1(VALU_DEP_4)
	v_min_u32_e32 v85, v84, v17
	v_and_b32_e32 v17, 8, v80
	v_lshl_or_b32 v82, v80, 3, v81
	ds_store_2addr_b64 v82, v[26:27], v[34:35] offset1:1
	ds_store_2addr_b64 v82, v[36:37], v[50:51] offset0:2 offset1:3
	v_add_nc_u32_e32 v20, 8, v85
	v_min_u32_e32 v17, v84, v17
	v_add_nc_u32_e32 v83, 0x4000, v82
	v_sub_nc_u32_e32 v30, v85, v16
	v_add_nc_u32_e32 v31, 0x4020, v82
	v_min_u32_e32 v86, v84, v20
	v_add_nc_u32_e32 v20, 0x4010, v82
	ds_store_2addr_b64 v83, v[0:1], v[10:11] offset1:1
	ds_store_2addr_b64 v20, v[4:5], v[14:15] offset1:1
	v_sub_nc_u32_e32 v21, v86, v85
	v_min_u32_e32 v30, v17, v30
	v_add_nc_u32_e32 v52, 0x4030, v82
	ds_store_2addr_b64 v82, v[38:39], v[32:33] offset0:4 offset1:5
	ds_store_2addr_b64 v82, v[48:49], v[28:29] offset0:6 offset1:7
	ds_store_2addr_b64 v31, v[8:9], v[18:19] offset1:1
	ds_store_2addr_b64 v52, v[12:13], v[22:23] offset1:1
	v_sub_nc_u32_e64 v20, v17, v21 clamp
	v_lshl_or_b32 v21, v16, 3, v81
	; wave barrier
	s_delay_alu instid0(VALU_DEP_2)
	v_cmpx_lt_u32_e64 v20, v30
	s_cbranch_execz .LBB1238_87
; %bb.84:
	v_lshlrev_b32_e32 v31, 3, v85
	v_lshlrev_b32_e32 v52, 3, v17
	s_mov_b32 s9, 0
	s_delay_alu instid0(VALU_DEP_1)
	v_add3_u32 v31, v81, v31, v52
	s_set_inst_prefetch_distance 0x1
	.p2align	6
.LBB1238_85:                            ; =>This Inner Loop Header: Depth=1
	v_add_nc_u32_e32 v52, v30, v20
	s_delay_alu instid0(VALU_DEP_1) | instskip(NEXT) | instid1(VALU_DEP_1)
	v_lshrrev_b32_e32 v64, 1, v52
	v_not_b32_e32 v52, v64
	v_lshl_add_u32 v53, v64, 3, v21
	s_delay_alu instid0(VALU_DEP_2)
	v_lshl_add_u32 v54, v52, 3, v31
	ds_load_b64 v[52:53], v53
	ds_load_b64 v[54:55], v54
	s_waitcnt lgkmcnt(1)
	v_add_f64 v[52:53], v[52:53], 0
	s_waitcnt lgkmcnt(0)
	v_add_f64 v[54:55], v[54:55], 0
	s_delay_alu instid0(VALU_DEP_2) | instskip(NEXT) | instid1(VALU_DEP_2)
	v_ashrrev_i32_e32 v65, 31, v53
	v_ashrrev_i32_e32 v66, 31, v55
	s_delay_alu instid0(VALU_DEP_2) | instskip(NEXT) | instid1(VALU_DEP_2)
	v_or_b32_e32 v67, 0x80000000, v65
	v_or_b32_e32 v68, 0x80000000, v66
	v_xor_b32_e32 v52, v65, v52
	v_xor_b32_e32 v54, v66, v54
	s_delay_alu instid0(VALU_DEP_4) | instskip(NEXT) | instid1(VALU_DEP_4)
	v_xor_b32_e32 v53, v67, v53
	v_xor_b32_e32 v55, v68, v55
	s_delay_alu instid0(VALU_DEP_1) | instskip(SKIP_1) | instid1(VALU_DEP_2)
	v_cmp_gt_u64_e64 s7, v[52:53], v[54:55]
	v_add_nc_u32_e32 v52, 1, v64
	v_cndmask_b32_e64 v30, v30, v64, s7
	s_delay_alu instid0(VALU_DEP_2) | instskip(NEXT) | instid1(VALU_DEP_1)
	v_cndmask_b32_e64 v20, v52, v20, s7
	v_cmp_ge_u32_e64 s7, v20, v30
	s_delay_alu instid0(VALU_DEP_1) | instskip(NEXT) | instid1(SALU_CYCLE_1)
	s_or_b32 s9, s7, s9
	s_and_not1_b32 exec_lo, exec_lo, s9
	s_cbranch_execnz .LBB1238_85
; %bb.86:
	s_set_inst_prefetch_distance 0x2
	s_or_b32 exec_lo, exec_lo, s9
.LBB1238_87:
	s_delay_alu instid0(SALU_CYCLE_1) | instskip(SKIP_2) | instid1(VALU_DEP_2)
	s_or_b32 exec_lo, exec_lo, s8
	v_add_nc_u32_e32 v17, v85, v17
	v_add_nc_u32_e32 v30, v20, v16
	v_sub_nc_u32_e32 v31, v17, v20
	s_delay_alu instid0(VALU_DEP_2) | instskip(NEXT) | instid1(VALU_DEP_2)
	v_cmp_le_u32_e64 s7, v30, v85
	v_cmp_le_u32_e64 s8, v31, v86
	s_delay_alu instid0(VALU_DEP_1) | instskip(NEXT) | instid1(SALU_CYCLE_1)
	s_or_b32 s7, s7, s8
	s_and_saveexec_b32 s9, s7
	s_cbranch_execz .LBB1238_123
; %bb.88:
	v_cmp_ge_u32_e64 s7, v30, v85
	s_mov_b32 s10, exec_lo
                                        ; implicit-def: $vgpr16_vgpr17
	v_cmpx_lt_u32_e64 v30, v85
	s_cbranch_execz .LBB1238_90
; %bb.89:
	v_lshl_add_u32 v0, v20, 3, v21
	ds_load_b64 v[16:17], v0
.LBB1238_90:
	s_or_b32 exec_lo, exec_lo, s10
	v_cmp_ge_u32_e64 s10, v31, v86
	s_mov_b32 s11, exec_lo
                                        ; implicit-def: $vgpr20_vgpr21
	v_cmpx_lt_u32_e64 v31, v86
	s_cbranch_execz .LBB1238_92
; %bb.91:
	v_lshl_add_u32 v0, v31, 3, v81
	ds_load_b64 v[20:21], v0
.LBB1238_92:
	s_or_b32 exec_lo, exec_lo, s11
	s_or_b32 s7, s7, s10
	s_mov_b32 s8, -1
	s_xor_b32 s7, s7, -1
	s_delay_alu instid0(SALU_CYCLE_1)
	s_and_saveexec_b32 s11, s7
	s_cbranch_execz .LBB1238_94
; %bb.93:
	s_waitcnt lgkmcnt(0)
	v_add_f64 v[0:1], v[16:17], 0
	v_add_f64 v[4:5], v[20:21], 0
	s_and_not1_b32 s10, s10, exec_lo
	s_delay_alu instid0(VALU_DEP_2) | instskip(NEXT) | instid1(VALU_DEP_2)
	v_ashrrev_i32_e32 v8, 31, v1
	v_ashrrev_i32_e32 v9, 31, v5
	s_delay_alu instid0(VALU_DEP_2) | instskip(NEXT) | instid1(VALU_DEP_2)
	v_or_b32_e32 v10, 0x80000000, v8
	v_or_b32_e32 v11, 0x80000000, v9
	v_xor_b32_e32 v0, v8, v0
	v_xor_b32_e32 v4, v9, v4
	s_delay_alu instid0(VALU_DEP_4) | instskip(NEXT) | instid1(VALU_DEP_4)
	v_xor_b32_e32 v1, v10, v1
	v_xor_b32_e32 v5, v11, v5
	s_delay_alu instid0(VALU_DEP_1) | instskip(NEXT) | instid1(VALU_DEP_1)
	v_cmp_le_u64_e64 s7, v[0:1], v[4:5]
	s_and_b32 s7, s7, exec_lo
	s_delay_alu instid0(SALU_CYCLE_1)
	s_or_b32 s10, s10, s7
.LBB1238_94:
	s_or_b32 exec_lo, exec_lo, s11
	v_cndmask_b32_e64 v0, v31, v30, s10
	v_cndmask_b32_e64 v1, v86, v85, s10
	s_mov_b32 s11, exec_lo
	s_delay_alu instid0(VALU_DEP_2) | instskip(NEXT) | instid1(VALU_DEP_2)
	v_add_nc_u32_e32 v5, 1, v0
	v_add_nc_u32_e32 v1, -1, v1
	v_lshl_add_u32 v0, v0, 3, v81
	s_delay_alu instid0(VALU_DEP_3) | instskip(NEXT) | instid1(VALU_DEP_3)
	v_cndmask_b32_e64 v4, v5, v31, s10
	v_min_u32_e32 v1, v5, v1
	v_cndmask_b32_e64 v5, v30, v5, s10
	s_delay_alu instid0(VALU_DEP_2)
	v_lshl_add_u32 v1, v1, 3, v81
	ds_load_b64 v[8:9], v1
	ds_load_b64 v[0:1], v0 offset:16384
	s_waitcnt lgkmcnt(1)
	v_cndmask_b32_e64 v27, v9, v21, s10
	v_cndmask_b32_e64 v26, v8, v20, s10
	;; [unrolled: 1-line block ×4, first 2 shown]
	v_cmpx_lt_u32_e64 v4, v86
	s_cbranch_execz .LBB1238_98
; %bb.95:
	s_mov_b32 s12, 0
	s_mov_b32 s8, exec_lo
	v_cmpx_lt_u32_e64 v5, v85
	s_cbranch_execz .LBB1238_97
; %bb.96:
	v_add_f64 v[8:9], v[28:29], 0
	v_add_f64 v[10:11], v[26:27], 0
	s_delay_alu instid0(VALU_DEP_2) | instskip(NEXT) | instid1(VALU_DEP_2)
	v_ashrrev_i32_e32 v12, 31, v9
	v_ashrrev_i32_e32 v13, 31, v11
	s_delay_alu instid0(VALU_DEP_2) | instskip(NEXT) | instid1(VALU_DEP_2)
	v_or_b32_e32 v14, 0x80000000, v12
	v_or_b32_e32 v15, 0x80000000, v13
	v_xor_b32_e32 v8, v12, v8
	v_xor_b32_e32 v10, v13, v10
	s_delay_alu instid0(VALU_DEP_4) | instskip(NEXT) | instid1(VALU_DEP_4)
	v_xor_b32_e32 v9, v14, v9
	v_xor_b32_e32 v11, v15, v11
	s_delay_alu instid0(VALU_DEP_1) | instskip(NEXT) | instid1(VALU_DEP_1)
	v_cmp_le_u64_e64 s7, v[8:9], v[10:11]
	s_and_b32 s12, s7, exec_lo
.LBB1238_97:
	s_or_b32 exec_lo, exec_lo, s8
	s_delay_alu instid0(SALU_CYCLE_1)
	s_or_not1_b32 s8, s12, exec_lo
.LBB1238_98:
	s_or_b32 exec_lo, exec_lo, s11
	v_cndmask_b32_e64 v8, v4, v5, s8
	v_cndmask_b32_e64 v9, v86, v85, s8
	s_mov_b32 s12, -1
	s_mov_b32 s11, -1
	s_mov_b32 s13, exec_lo
	v_add_nc_u32_e32 v14, 1, v8
	v_add_nc_u32_e32 v9, -1, v9
	v_lshl_add_u32 v8, v8, 3, v81
	s_delay_alu instid0(VALU_DEP_2)
	v_min_u32_e32 v9, v14, v9
	ds_load_b64 v[10:11], v8 offset:16384
	v_cndmask_b32_e64 v8, v14, v4, s8
	v_lshl_add_u32 v9, v9, 3, v81
	ds_load_b64 v[12:13], v9
	v_cndmask_b32_e64 v9, v5, v14, s8
	s_waitcnt lgkmcnt(0)
	v_cndmask_b32_e64 v31, v13, v27, s8
	v_cndmask_b32_e64 v30, v12, v26, s8
	;; [unrolled: 1-line block ×4, first 2 shown]
	v_cmpx_lt_u32_e64 v8, v86
	s_cbranch_execz .LBB1238_102
; %bb.99:
	s_mov_b32 s14, 0
	s_mov_b32 s11, exec_lo
	v_cmpx_lt_u32_e64 v9, v85
	s_cbranch_execz .LBB1238_101
; %bb.100:
	v_add_f64 v[4:5], v[34:35], 0
	v_add_f64 v[12:13], v[30:31], 0
	s_delay_alu instid0(VALU_DEP_2) | instskip(NEXT) | instid1(VALU_DEP_2)
	v_ashrrev_i32_e32 v14, 31, v5
	v_ashrrev_i32_e32 v15, 31, v13
	s_delay_alu instid0(VALU_DEP_2) | instskip(NEXT) | instid1(VALU_DEP_2)
	v_or_b32_e32 v18, 0x80000000, v14
	v_or_b32_e32 v19, 0x80000000, v15
	v_xor_b32_e32 v4, v14, v4
	v_xor_b32_e32 v12, v15, v12
	s_delay_alu instid0(VALU_DEP_4) | instskip(NEXT) | instid1(VALU_DEP_4)
	v_xor_b32_e32 v5, v18, v5
	v_xor_b32_e32 v13, v19, v13
	s_delay_alu instid0(VALU_DEP_1) | instskip(NEXT) | instid1(VALU_DEP_1)
	v_cmp_le_u64_e64 s7, v[4:5], v[12:13]
	s_and_b32 s14, s7, exec_lo
.LBB1238_101:
	s_or_b32 exec_lo, exec_lo, s11
	s_delay_alu instid0(SALU_CYCLE_1)
	s_or_not1_b32 s11, s14, exec_lo
.LBB1238_102:
	s_or_b32 exec_lo, exec_lo, s13
	v_cndmask_b32_e64 v4, v8, v9, s11
	v_cndmask_b32_e64 v5, v86, v85, s11
	s_mov_b32 s13, exec_lo
	s_delay_alu instid0(VALU_DEP_2) | instskip(NEXT) | instid1(VALU_DEP_2)
	v_add_nc_u32_e32 v14, 1, v4
	v_add_nc_u32_e32 v5, -1, v5
	v_lshl_add_u32 v4, v4, 3, v81
	s_delay_alu instid0(VALU_DEP_3) | instskip(NEXT) | instid1(VALU_DEP_3)
	v_cndmask_b32_e64 v8, v14, v8, s11
	v_min_u32_e32 v5, v14, v5
	v_cndmask_b32_e64 v9, v9, v14, s11
	s_delay_alu instid0(VALU_DEP_2)
	v_lshl_add_u32 v5, v5, 3, v81
	ds_load_b64 v[12:13], v5
	ds_load_b64 v[4:5], v4 offset:16384
	s_waitcnt lgkmcnt(1)
	v_cndmask_b32_e64 v37, v13, v31, s11
	v_cndmask_b32_e64 v36, v12, v30, s11
	;; [unrolled: 1-line block ×4, first 2 shown]
	v_cmpx_lt_u32_e64 v8, v86
	s_cbranch_execz .LBB1238_106
; %bb.103:
	s_mov_b32 s14, 0
	s_mov_b32 s12, exec_lo
	v_cmpx_lt_u32_e64 v9, v85
	s_cbranch_execz .LBB1238_105
; %bb.104:
	v_add_f64 v[12:13], v[50:51], 0
	v_add_f64 v[14:15], v[36:37], 0
	s_delay_alu instid0(VALU_DEP_2) | instskip(NEXT) | instid1(VALU_DEP_2)
	v_ashrrev_i32_e32 v18, 31, v13
	v_ashrrev_i32_e32 v19, 31, v15
	s_delay_alu instid0(VALU_DEP_2) | instskip(NEXT) | instid1(VALU_DEP_2)
	v_or_b32_e32 v22, 0x80000000, v18
	v_or_b32_e32 v23, 0x80000000, v19
	v_xor_b32_e32 v12, v18, v12
	v_xor_b32_e32 v14, v19, v14
	s_delay_alu instid0(VALU_DEP_4) | instskip(NEXT) | instid1(VALU_DEP_4)
	v_xor_b32_e32 v13, v22, v13
	v_xor_b32_e32 v15, v23, v15
	s_delay_alu instid0(VALU_DEP_1) | instskip(NEXT) | instid1(VALU_DEP_1)
	v_cmp_le_u64_e64 s7, v[12:13], v[14:15]
	s_and_b32 s14, s7, exec_lo
.LBB1238_105:
	s_or_b32 exec_lo, exec_lo, s12
	s_delay_alu instid0(SALU_CYCLE_1)
	s_or_not1_b32 s12, s14, exec_lo
.LBB1238_106:
	s_or_b32 exec_lo, exec_lo, s13
	v_cndmask_b32_e64 v12, v8, v9, s12
	v_cndmask_b32_e64 v13, v86, v85, s12
	s_mov_b32 s14, -1
	s_mov_b32 s13, -1
	s_mov_b32 s15, exec_lo
	v_add_nc_u32_e32 v22, 1, v12
	v_add_nc_u32_e32 v13, -1, v13
	v_lshl_add_u32 v12, v12, 3, v81
	s_delay_alu instid0(VALU_DEP_2)
	v_min_u32_e32 v13, v22, v13
	ds_load_b64 v[14:15], v12 offset:16384
	v_cndmask_b32_e64 v12, v22, v8, s12
	v_lshl_add_u32 v13, v13, 3, v81
	ds_load_b64 v[18:19], v13
	v_cndmask_b32_e64 v13, v9, v22, s12
	s_waitcnt lgkmcnt(0)
	v_cndmask_b32_e64 v39, v19, v37, s12
	v_cndmask_b32_e64 v38, v18, v36, s12
	;; [unrolled: 1-line block ×4, first 2 shown]
	v_cmpx_lt_u32_e64 v12, v86
	s_cbranch_execz .LBB1238_110
; %bb.107:
	s_mov_b32 s16, 0
	s_mov_b32 s13, exec_lo
	v_cmpx_lt_u32_e64 v13, v85
	s_cbranch_execz .LBB1238_109
; %bb.108:
	v_add_f64 v[8:9], v[52:53], 0
	v_add_f64 v[18:19], v[38:39], 0
	s_delay_alu instid0(VALU_DEP_2) | instskip(NEXT) | instid1(VALU_DEP_2)
	v_ashrrev_i32_e32 v22, 31, v9
	v_ashrrev_i32_e32 v23, 31, v19
	s_delay_alu instid0(VALU_DEP_2) | instskip(NEXT) | instid1(VALU_DEP_2)
	v_or_b32_e32 v32, 0x80000000, v22
	v_or_b32_e32 v33, 0x80000000, v23
	v_xor_b32_e32 v8, v22, v8
	v_xor_b32_e32 v18, v23, v18
	s_delay_alu instid0(VALU_DEP_4) | instskip(NEXT) | instid1(VALU_DEP_4)
	v_xor_b32_e32 v9, v32, v9
	v_xor_b32_e32 v19, v33, v19
	s_delay_alu instid0(VALU_DEP_1) | instskip(NEXT) | instid1(VALU_DEP_1)
	v_cmp_le_u64_e64 s7, v[8:9], v[18:19]
	s_and_b32 s16, s7, exec_lo
.LBB1238_109:
	s_or_b32 exec_lo, exec_lo, s13
	s_delay_alu instid0(SALU_CYCLE_1)
	s_or_not1_b32 s13, s16, exec_lo
.LBB1238_110:
	s_or_b32 exec_lo, exec_lo, s15
	v_cndmask_b32_e64 v8, v12, v13, s13
	v_cndmask_b32_e64 v9, v86, v85, s13
	s_mov_b32 s15, exec_lo
	s_delay_alu instid0(VALU_DEP_2) | instskip(NEXT) | instid1(VALU_DEP_2)
	v_add_nc_u32_e32 v22, 1, v8
	v_add_nc_u32_e32 v9, -1, v9
	v_lshl_add_u32 v8, v8, 3, v81
	s_delay_alu instid0(VALU_DEP_3) | instskip(NEXT) | instid1(VALU_DEP_3)
	v_cndmask_b32_e64 v12, v22, v12, s13
	v_min_u32_e32 v9, v22, v9
	v_cndmask_b32_e64 v13, v13, v22, s13
	s_delay_alu instid0(VALU_DEP_2)
	v_lshl_add_u32 v9, v9, 3, v81
	ds_load_b64 v[18:19], v9
	ds_load_b64 v[8:9], v8 offset:16384
	s_waitcnt lgkmcnt(1)
	v_cndmask_b32_e64 v33, v19, v39, s13
	v_cndmask_b32_e64 v32, v18, v38, s13
	;; [unrolled: 1-line block ×4, first 2 shown]
	v_cmpx_lt_u32_e64 v12, v86
	s_cbranch_execz .LBB1238_114
; %bb.111:
	s_mov_b32 s16, 0
	s_mov_b32 s14, exec_lo
	v_cmpx_lt_u32_e64 v13, v85
	s_cbranch_execz .LBB1238_113
; %bb.112:
	v_add_f64 v[18:19], v[54:55], 0
	v_add_f64 v[22:23], v[32:33], 0
	s_delay_alu instid0(VALU_DEP_2) | instskip(NEXT) | instid1(VALU_DEP_2)
	v_ashrrev_i32_e32 v48, 31, v19
	v_ashrrev_i32_e32 v49, 31, v23
	s_delay_alu instid0(VALU_DEP_2) | instskip(NEXT) | instid1(VALU_DEP_2)
	v_or_b32_e32 v64, 0x80000000, v48
	v_or_b32_e32 v65, 0x80000000, v49
	v_xor_b32_e32 v18, v48, v18
	v_xor_b32_e32 v22, v49, v22
	s_delay_alu instid0(VALU_DEP_4) | instskip(NEXT) | instid1(VALU_DEP_4)
	v_xor_b32_e32 v19, v64, v19
	v_xor_b32_e32 v23, v65, v23
	s_delay_alu instid0(VALU_DEP_1) | instskip(NEXT) | instid1(VALU_DEP_1)
	v_cmp_le_u64_e64 s7, v[18:19], v[22:23]
	s_and_b32 s16, s7, exec_lo
.LBB1238_113:
	s_or_b32 exec_lo, exec_lo, s14
	s_delay_alu instid0(SALU_CYCLE_1)
	s_or_not1_b32 s14, s16, exec_lo
.LBB1238_114:
	s_or_b32 exec_lo, exec_lo, s15
	v_cndmask_b32_e64 v18, v12, v13, s14
	v_cndmask_b32_e64 v19, v86, v85, s14
	s_mov_b32 s15, -1
	s_mov_b32 s16, -1
	s_mov_b32 s17, exec_lo
	v_add_nc_u32_e32 v23, 1, v18
	v_add_nc_u32_e32 v19, -1, v19
	v_lshl_add_u32 v18, v18, 3, v81
	s_delay_alu instid0(VALU_DEP_3) | instskip(NEXT) | instid1(VALU_DEP_3)
	v_cndmask_b32_e64 v22, v23, v12, s14
	v_min_u32_e32 v19, v23, v19
	v_cndmask_b32_e64 v23, v13, v23, s14
	s_delay_alu instid0(VALU_DEP_2)
	v_lshl_add_u32 v19, v19, 3, v81
	ds_load_b64 v[64:65], v19
	ds_load_b64 v[18:19], v18 offset:16384
	s_waitcnt lgkmcnt(1)
	v_cndmask_b32_e64 v49, v65, v33, s14
	v_cndmask_b32_e64 v48, v64, v32, s14
	;; [unrolled: 1-line block ×4, first 2 shown]
	v_cmpx_lt_u32_e64 v22, v86
	s_cbranch_execz .LBB1238_118
; %bb.115:
	s_mov_b32 s18, 0
	s_mov_b32 s16, exec_lo
	v_cmpx_lt_u32_e64 v23, v85
	s_cbranch_execz .LBB1238_117
; %bb.116:
	v_add_f64 v[12:13], v[64:65], 0
	v_add_f64 v[66:67], v[48:49], 0
	s_delay_alu instid0(VALU_DEP_2) | instskip(NEXT) | instid1(VALU_DEP_2)
	v_ashrrev_i32_e32 v68, 31, v13
	v_ashrrev_i32_e32 v69, 31, v67
	s_delay_alu instid0(VALU_DEP_2) | instskip(NEXT) | instid1(VALU_DEP_2)
	v_or_b32_e32 v87, 0x80000000, v68
	v_or_b32_e32 v96, 0x80000000, v69
	v_xor_b32_e32 v12, v68, v12
	v_xor_b32_e32 v66, v69, v66
	s_delay_alu instid0(VALU_DEP_4) | instskip(NEXT) | instid1(VALU_DEP_4)
	v_xor_b32_e32 v13, v87, v13
	v_xor_b32_e32 v67, v96, v67
	s_delay_alu instid0(VALU_DEP_1) | instskip(NEXT) | instid1(VALU_DEP_1)
	v_cmp_le_u64_e64 s7, v[12:13], v[66:67]
	s_and_b32 s18, s7, exec_lo
.LBB1238_117:
	s_or_b32 exec_lo, exec_lo, s16
	s_delay_alu instid0(SALU_CYCLE_1)
	s_or_not1_b32 s16, s18, exec_lo
.LBB1238_118:
	s_or_b32 exec_lo, exec_lo, s17
	v_cndmask_b32_e64 v12, v22, v23, s16
	v_cndmask_b32_e64 v13, v86, v85, s16
	s_mov_b32 s17, exec_lo
	s_delay_alu instid0(VALU_DEP_2) | instskip(NEXT) | instid1(VALU_DEP_2)
	v_add_nc_u32_e32 v66, 1, v12
	v_add_nc_u32_e32 v13, -1, v13
	v_lshl_add_u32 v12, v12, 3, v81
	s_delay_alu instid0(VALU_DEP_3) | instskip(NEXT) | instid1(VALU_DEP_3)
	v_cndmask_b32_e64 v22, v66, v22, s16
	v_min_u32_e32 v13, v66, v13
	v_cndmask_b32_e64 v23, v23, v66, s16
	s_delay_alu instid0(VALU_DEP_2)
	v_lshl_add_u32 v13, v13, 3, v81
	ds_load_b64 v[68:69], v13
	ds_load_b64 v[12:13], v12 offset:16384
	s_waitcnt lgkmcnt(1)
	v_cndmask_b32_e64 v67, v69, v49, s16
	v_cndmask_b32_e64 v66, v68, v48, s16
	;; [unrolled: 1-line block ×4, first 2 shown]
	v_cmpx_lt_u32_e64 v22, v86
	s_cbranch_execz .LBB1238_122
; %bb.119:
	s_mov_b32 s18, 0
	s_mov_b32 s15, exec_lo
	v_cmpx_lt_u32_e64 v23, v85
	s_cbranch_execz .LBB1238_121
; %bb.120:
	v_add_f64 v[85:86], v[68:69], 0
	v_add_f64 v[96:97], v[66:67], 0
	s_delay_alu instid0(VALU_DEP_2) | instskip(NEXT) | instid1(VALU_DEP_2)
	v_ashrrev_i32_e32 v87, 31, v86
	v_ashrrev_i32_e32 v98, 31, v97
	s_delay_alu instid0(VALU_DEP_2) | instskip(NEXT) | instid1(VALU_DEP_2)
	v_or_b32_e32 v99, 0x80000000, v87
	v_or_b32_e32 v100, 0x80000000, v98
	v_xor_b32_e32 v85, v87, v85
	v_xor_b32_e32 v96, v98, v96
	s_delay_alu instid0(VALU_DEP_4) | instskip(NEXT) | instid1(VALU_DEP_4)
	v_xor_b32_e32 v86, v99, v86
	v_xor_b32_e32 v97, v100, v97
	s_delay_alu instid0(VALU_DEP_1) | instskip(NEXT) | instid1(VALU_DEP_1)
	v_cmp_le_u64_e64 s7, v[85:86], v[96:97]
	s_and_b32 s18, s7, exec_lo
.LBB1238_121:
	s_or_b32 exec_lo, exec_lo, s15
	s_delay_alu instid0(SALU_CYCLE_1)
	s_or_not1_b32 s15, s18, exec_lo
.LBB1238_122:
	s_or_b32 exec_lo, exec_lo, s17
	v_cndmask_b32_e64 v22, v22, v23, s15
	v_cndmask_b32_e64 v49, v49, v65, s16
	;; [unrolled: 1-line block ×5, first 2 shown]
	v_lshl_add_u32 v22, v22, 3, v81
	v_cndmask_b32_e64 v39, v39, v53, s13
	v_cndmask_b32_e64 v38, v38, v52, s13
	v_cndmask_b32_e64 v51, v37, v51, s12
	v_cndmask_b32_e64 v50, v36, v50, s12
	ds_load_b64 v[22:23], v22 offset:16384
	v_cndmask_b32_e64 v37, v31, v35, s11
	v_cndmask_b32_e64 v36, v30, v34, s11
	;; [unrolled: 1-line block ×8, first 2 shown]
.LBB1238_123:
	s_or_b32 exec_lo, exec_lo, s9
	v_and_b32_e32 v16, 0xe0, v80
	v_and_b32_e32 v20, 24, v80
	s_mov_b32 s8, exec_lo
	; wave barrier
	s_delay_alu instid0(VALU_DEP_2)
	v_or_b32_e32 v17, 16, v16
	ds_store_2addr_b64 v82, v[26:27], v[34:35] offset1:1
	ds_store_2addr_b64 v82, v[36:37], v[50:51] offset0:2 offset1:3
	ds_store_2addr_b64 v83, v[0:1], v[10:11] offset1:1
	ds_store_2addr_b64 v83, v[4:5], v[14:15] offset0:2 offset1:3
	ds_store_2addr_b64 v82, v[38:39], v[32:33] offset0:4 offset1:5
	;; [unrolled: 1-line block ×4, first 2 shown]
	s_waitcnt lgkmcnt(7)
	ds_store_2addr_b64 v83, v[12:13], v[22:23] offset0:6 offset1:7
	v_min_u32_e32 v85, v84, v17
	; wave barrier
	s_delay_alu instid0(VALU_DEP_1) | instskip(NEXT) | instid1(VALU_DEP_1)
	v_add_nc_u32_e32 v17, 16, v85
	v_min_u32_e32 v86, v84, v17
	v_min_u32_e32 v17, v84, v20
	v_sub_nc_u32_e32 v20, v85, v16
	s_delay_alu instid0(VALU_DEP_3) | instskip(NEXT) | instid1(VALU_DEP_2)
	v_sub_nc_u32_e32 v21, v86, v85
	v_min_u32_e32 v30, v17, v20
	s_delay_alu instid0(VALU_DEP_2) | instskip(SKIP_1) | instid1(VALU_DEP_2)
	v_sub_nc_u32_e64 v20, v17, v21 clamp
	v_lshl_add_u32 v21, v16, 3, v81
	v_cmpx_lt_u32_e64 v20, v30
	s_cbranch_execz .LBB1238_127
; %bb.124:
	v_lshlrev_b32_e32 v31, 3, v85
	v_lshlrev_b32_e32 v52, 3, v17
	s_mov_b32 s9, 0
	s_delay_alu instid0(VALU_DEP_1)
	v_add3_u32 v31, v81, v31, v52
	s_set_inst_prefetch_distance 0x1
	.p2align	6
.LBB1238_125:                           ; =>This Inner Loop Header: Depth=1
	v_add_nc_u32_e32 v52, v30, v20
	s_delay_alu instid0(VALU_DEP_1) | instskip(NEXT) | instid1(VALU_DEP_1)
	v_lshrrev_b32_e32 v64, 1, v52
	v_not_b32_e32 v52, v64
	v_lshl_add_u32 v53, v64, 3, v21
	s_delay_alu instid0(VALU_DEP_2)
	v_lshl_add_u32 v54, v52, 3, v31
	ds_load_b64 v[52:53], v53
	ds_load_b64 v[54:55], v54
	s_waitcnt lgkmcnt(1)
	v_add_f64 v[52:53], v[52:53], 0
	s_waitcnt lgkmcnt(0)
	v_add_f64 v[54:55], v[54:55], 0
	s_delay_alu instid0(VALU_DEP_2) | instskip(NEXT) | instid1(VALU_DEP_2)
	v_ashrrev_i32_e32 v65, 31, v53
	v_ashrrev_i32_e32 v66, 31, v55
	s_delay_alu instid0(VALU_DEP_2) | instskip(NEXT) | instid1(VALU_DEP_2)
	v_or_b32_e32 v67, 0x80000000, v65
	v_or_b32_e32 v68, 0x80000000, v66
	v_xor_b32_e32 v52, v65, v52
	v_xor_b32_e32 v54, v66, v54
	s_delay_alu instid0(VALU_DEP_4) | instskip(NEXT) | instid1(VALU_DEP_4)
	v_xor_b32_e32 v53, v67, v53
	v_xor_b32_e32 v55, v68, v55
	s_delay_alu instid0(VALU_DEP_1) | instskip(SKIP_1) | instid1(VALU_DEP_2)
	v_cmp_gt_u64_e64 s7, v[52:53], v[54:55]
	v_add_nc_u32_e32 v52, 1, v64
	v_cndmask_b32_e64 v30, v30, v64, s7
	s_delay_alu instid0(VALU_DEP_2) | instskip(NEXT) | instid1(VALU_DEP_1)
	v_cndmask_b32_e64 v20, v52, v20, s7
	v_cmp_ge_u32_e64 s7, v20, v30
	s_delay_alu instid0(VALU_DEP_1) | instskip(NEXT) | instid1(SALU_CYCLE_1)
	s_or_b32 s9, s7, s9
	s_and_not1_b32 exec_lo, exec_lo, s9
	s_cbranch_execnz .LBB1238_125
; %bb.126:
	s_set_inst_prefetch_distance 0x2
	s_or_b32 exec_lo, exec_lo, s9
.LBB1238_127:
	s_delay_alu instid0(SALU_CYCLE_1) | instskip(SKIP_2) | instid1(VALU_DEP_2)
	s_or_b32 exec_lo, exec_lo, s8
	v_add_nc_u32_e32 v17, v85, v17
	v_add_nc_u32_e32 v30, v20, v16
	v_sub_nc_u32_e32 v31, v17, v20
	s_delay_alu instid0(VALU_DEP_2) | instskip(NEXT) | instid1(VALU_DEP_2)
	v_cmp_le_u32_e64 s7, v30, v85
	v_cmp_le_u32_e64 s8, v31, v86
	s_delay_alu instid0(VALU_DEP_1) | instskip(NEXT) | instid1(SALU_CYCLE_1)
	s_or_b32 s7, s7, s8
	s_and_saveexec_b32 s9, s7
	s_cbranch_execz .LBB1238_163
; %bb.128:
	v_cmp_ge_u32_e64 s7, v30, v85
	s_mov_b32 s10, exec_lo
                                        ; implicit-def: $vgpr16_vgpr17
	v_cmpx_lt_u32_e64 v30, v85
	s_cbranch_execz .LBB1238_130
; %bb.129:
	v_lshl_add_u32 v0, v20, 3, v21
	ds_load_b64 v[16:17], v0
.LBB1238_130:
	s_or_b32 exec_lo, exec_lo, s10
	v_cmp_ge_u32_e64 s10, v31, v86
	s_mov_b32 s11, exec_lo
                                        ; implicit-def: $vgpr20_vgpr21
	v_cmpx_lt_u32_e64 v31, v86
	s_cbranch_execz .LBB1238_132
; %bb.131:
	v_lshl_add_u32 v0, v31, 3, v81
	ds_load_b64 v[20:21], v0
.LBB1238_132:
	s_or_b32 exec_lo, exec_lo, s11
	s_or_b32 s7, s7, s10
	s_mov_b32 s8, -1
	s_xor_b32 s7, s7, -1
	s_delay_alu instid0(SALU_CYCLE_1)
	s_and_saveexec_b32 s11, s7
	s_cbranch_execz .LBB1238_134
; %bb.133:
	s_waitcnt lgkmcnt(0)
	v_add_f64 v[0:1], v[16:17], 0
	v_add_f64 v[4:5], v[20:21], 0
	s_and_not1_b32 s10, s10, exec_lo
	s_delay_alu instid0(VALU_DEP_2) | instskip(NEXT) | instid1(VALU_DEP_2)
	v_ashrrev_i32_e32 v8, 31, v1
	v_ashrrev_i32_e32 v9, 31, v5
	s_delay_alu instid0(VALU_DEP_2) | instskip(NEXT) | instid1(VALU_DEP_2)
	v_or_b32_e32 v10, 0x80000000, v8
	v_or_b32_e32 v11, 0x80000000, v9
	v_xor_b32_e32 v0, v8, v0
	v_xor_b32_e32 v4, v9, v4
	s_delay_alu instid0(VALU_DEP_4) | instskip(NEXT) | instid1(VALU_DEP_4)
	v_xor_b32_e32 v1, v10, v1
	v_xor_b32_e32 v5, v11, v5
	s_delay_alu instid0(VALU_DEP_1) | instskip(NEXT) | instid1(VALU_DEP_1)
	v_cmp_le_u64_e64 s7, v[0:1], v[4:5]
	s_and_b32 s7, s7, exec_lo
	s_delay_alu instid0(SALU_CYCLE_1)
	s_or_b32 s10, s10, s7
.LBB1238_134:
	s_or_b32 exec_lo, exec_lo, s11
	v_cndmask_b32_e64 v0, v31, v30, s10
	v_cndmask_b32_e64 v1, v86, v85, s10
	s_mov_b32 s11, exec_lo
	s_delay_alu instid0(VALU_DEP_2) | instskip(NEXT) | instid1(VALU_DEP_2)
	v_add_nc_u32_e32 v5, 1, v0
	v_add_nc_u32_e32 v1, -1, v1
	v_lshl_add_u32 v0, v0, 3, v81
	s_delay_alu instid0(VALU_DEP_3) | instskip(NEXT) | instid1(VALU_DEP_3)
	v_cndmask_b32_e64 v4, v5, v31, s10
	v_min_u32_e32 v1, v5, v1
	v_cndmask_b32_e64 v5, v30, v5, s10
	s_delay_alu instid0(VALU_DEP_2)
	v_lshl_add_u32 v1, v1, 3, v81
	ds_load_b64 v[8:9], v1
	ds_load_b64 v[0:1], v0 offset:16384
	s_waitcnt lgkmcnt(1)
	v_cndmask_b32_e64 v27, v9, v21, s10
	v_cndmask_b32_e64 v26, v8, v20, s10
	;; [unrolled: 1-line block ×4, first 2 shown]
	v_cmpx_lt_u32_e64 v4, v86
	s_cbranch_execz .LBB1238_138
; %bb.135:
	s_mov_b32 s12, 0
	s_mov_b32 s8, exec_lo
	v_cmpx_lt_u32_e64 v5, v85
	s_cbranch_execz .LBB1238_137
; %bb.136:
	v_add_f64 v[8:9], v[28:29], 0
	v_add_f64 v[10:11], v[26:27], 0
	s_delay_alu instid0(VALU_DEP_2) | instskip(NEXT) | instid1(VALU_DEP_2)
	v_ashrrev_i32_e32 v12, 31, v9
	v_ashrrev_i32_e32 v13, 31, v11
	s_delay_alu instid0(VALU_DEP_2) | instskip(NEXT) | instid1(VALU_DEP_2)
	v_or_b32_e32 v14, 0x80000000, v12
	v_or_b32_e32 v15, 0x80000000, v13
	v_xor_b32_e32 v8, v12, v8
	v_xor_b32_e32 v10, v13, v10
	s_delay_alu instid0(VALU_DEP_4) | instskip(NEXT) | instid1(VALU_DEP_4)
	v_xor_b32_e32 v9, v14, v9
	v_xor_b32_e32 v11, v15, v11
	s_delay_alu instid0(VALU_DEP_1) | instskip(NEXT) | instid1(VALU_DEP_1)
	v_cmp_le_u64_e64 s7, v[8:9], v[10:11]
	s_and_b32 s12, s7, exec_lo
.LBB1238_137:
	s_or_b32 exec_lo, exec_lo, s8
	s_delay_alu instid0(SALU_CYCLE_1)
	s_or_not1_b32 s8, s12, exec_lo
.LBB1238_138:
	s_or_b32 exec_lo, exec_lo, s11
	v_cndmask_b32_e64 v8, v4, v5, s8
	v_cndmask_b32_e64 v9, v86, v85, s8
	s_mov_b32 s12, -1
	s_mov_b32 s11, -1
	s_mov_b32 s13, exec_lo
	v_add_nc_u32_e32 v14, 1, v8
	v_add_nc_u32_e32 v9, -1, v9
	v_lshl_add_u32 v8, v8, 3, v81
	s_delay_alu instid0(VALU_DEP_2)
	v_min_u32_e32 v9, v14, v9
	ds_load_b64 v[10:11], v8 offset:16384
	v_cndmask_b32_e64 v8, v14, v4, s8
	v_lshl_add_u32 v9, v9, 3, v81
	ds_load_b64 v[12:13], v9
	v_cndmask_b32_e64 v9, v5, v14, s8
	s_waitcnt lgkmcnt(0)
	v_cndmask_b32_e64 v31, v13, v27, s8
	v_cndmask_b32_e64 v30, v12, v26, s8
	;; [unrolled: 1-line block ×4, first 2 shown]
	v_cmpx_lt_u32_e64 v8, v86
	s_cbranch_execz .LBB1238_142
; %bb.139:
	s_mov_b32 s14, 0
	s_mov_b32 s11, exec_lo
	v_cmpx_lt_u32_e64 v9, v85
	s_cbranch_execz .LBB1238_141
; %bb.140:
	v_add_f64 v[4:5], v[34:35], 0
	v_add_f64 v[12:13], v[30:31], 0
	s_delay_alu instid0(VALU_DEP_2) | instskip(NEXT) | instid1(VALU_DEP_2)
	v_ashrrev_i32_e32 v14, 31, v5
	v_ashrrev_i32_e32 v15, 31, v13
	s_delay_alu instid0(VALU_DEP_2) | instskip(NEXT) | instid1(VALU_DEP_2)
	v_or_b32_e32 v18, 0x80000000, v14
	v_or_b32_e32 v19, 0x80000000, v15
	v_xor_b32_e32 v4, v14, v4
	v_xor_b32_e32 v12, v15, v12
	s_delay_alu instid0(VALU_DEP_4) | instskip(NEXT) | instid1(VALU_DEP_4)
	v_xor_b32_e32 v5, v18, v5
	v_xor_b32_e32 v13, v19, v13
	s_delay_alu instid0(VALU_DEP_1) | instskip(NEXT) | instid1(VALU_DEP_1)
	v_cmp_le_u64_e64 s7, v[4:5], v[12:13]
	s_and_b32 s14, s7, exec_lo
.LBB1238_141:
	s_or_b32 exec_lo, exec_lo, s11
	s_delay_alu instid0(SALU_CYCLE_1)
	s_or_not1_b32 s11, s14, exec_lo
.LBB1238_142:
	s_or_b32 exec_lo, exec_lo, s13
	v_cndmask_b32_e64 v4, v8, v9, s11
	v_cndmask_b32_e64 v5, v86, v85, s11
	s_mov_b32 s13, exec_lo
	s_delay_alu instid0(VALU_DEP_2) | instskip(NEXT) | instid1(VALU_DEP_2)
	v_add_nc_u32_e32 v14, 1, v4
	v_add_nc_u32_e32 v5, -1, v5
	v_lshl_add_u32 v4, v4, 3, v81
	s_delay_alu instid0(VALU_DEP_3) | instskip(NEXT) | instid1(VALU_DEP_3)
	v_cndmask_b32_e64 v8, v14, v8, s11
	v_min_u32_e32 v5, v14, v5
	v_cndmask_b32_e64 v9, v9, v14, s11
	s_delay_alu instid0(VALU_DEP_2)
	v_lshl_add_u32 v5, v5, 3, v81
	ds_load_b64 v[12:13], v5
	ds_load_b64 v[4:5], v4 offset:16384
	s_waitcnt lgkmcnt(1)
	v_cndmask_b32_e64 v37, v13, v31, s11
	v_cndmask_b32_e64 v36, v12, v30, s11
	;; [unrolled: 1-line block ×4, first 2 shown]
	v_cmpx_lt_u32_e64 v8, v86
	s_cbranch_execz .LBB1238_146
; %bb.143:
	s_mov_b32 s14, 0
	s_mov_b32 s12, exec_lo
	v_cmpx_lt_u32_e64 v9, v85
	s_cbranch_execz .LBB1238_145
; %bb.144:
	v_add_f64 v[12:13], v[50:51], 0
	v_add_f64 v[14:15], v[36:37], 0
	s_delay_alu instid0(VALU_DEP_2) | instskip(NEXT) | instid1(VALU_DEP_2)
	v_ashrrev_i32_e32 v18, 31, v13
	v_ashrrev_i32_e32 v19, 31, v15
	s_delay_alu instid0(VALU_DEP_2) | instskip(NEXT) | instid1(VALU_DEP_2)
	v_or_b32_e32 v22, 0x80000000, v18
	v_or_b32_e32 v23, 0x80000000, v19
	v_xor_b32_e32 v12, v18, v12
	v_xor_b32_e32 v14, v19, v14
	s_delay_alu instid0(VALU_DEP_4) | instskip(NEXT) | instid1(VALU_DEP_4)
	v_xor_b32_e32 v13, v22, v13
	v_xor_b32_e32 v15, v23, v15
	s_delay_alu instid0(VALU_DEP_1) | instskip(NEXT) | instid1(VALU_DEP_1)
	v_cmp_le_u64_e64 s7, v[12:13], v[14:15]
	s_and_b32 s14, s7, exec_lo
.LBB1238_145:
	s_or_b32 exec_lo, exec_lo, s12
	s_delay_alu instid0(SALU_CYCLE_1)
	s_or_not1_b32 s12, s14, exec_lo
.LBB1238_146:
	s_or_b32 exec_lo, exec_lo, s13
	v_cndmask_b32_e64 v12, v8, v9, s12
	v_cndmask_b32_e64 v13, v86, v85, s12
	s_mov_b32 s14, -1
	s_mov_b32 s13, -1
	s_mov_b32 s15, exec_lo
	v_add_nc_u32_e32 v22, 1, v12
	v_add_nc_u32_e32 v13, -1, v13
	v_lshl_add_u32 v12, v12, 3, v81
	s_delay_alu instid0(VALU_DEP_2)
	v_min_u32_e32 v13, v22, v13
	ds_load_b64 v[14:15], v12 offset:16384
	v_cndmask_b32_e64 v12, v22, v8, s12
	v_lshl_add_u32 v13, v13, 3, v81
	ds_load_b64 v[18:19], v13
	v_cndmask_b32_e64 v13, v9, v22, s12
	s_waitcnt lgkmcnt(0)
	v_cndmask_b32_e64 v39, v19, v37, s12
	v_cndmask_b32_e64 v38, v18, v36, s12
	;; [unrolled: 1-line block ×4, first 2 shown]
	v_cmpx_lt_u32_e64 v12, v86
	s_cbranch_execz .LBB1238_150
; %bb.147:
	s_mov_b32 s16, 0
	s_mov_b32 s13, exec_lo
	v_cmpx_lt_u32_e64 v13, v85
	s_cbranch_execz .LBB1238_149
; %bb.148:
	v_add_f64 v[8:9], v[52:53], 0
	v_add_f64 v[18:19], v[38:39], 0
	s_delay_alu instid0(VALU_DEP_2) | instskip(NEXT) | instid1(VALU_DEP_2)
	v_ashrrev_i32_e32 v22, 31, v9
	v_ashrrev_i32_e32 v23, 31, v19
	s_delay_alu instid0(VALU_DEP_2) | instskip(NEXT) | instid1(VALU_DEP_2)
	v_or_b32_e32 v32, 0x80000000, v22
	v_or_b32_e32 v33, 0x80000000, v23
	v_xor_b32_e32 v8, v22, v8
	v_xor_b32_e32 v18, v23, v18
	s_delay_alu instid0(VALU_DEP_4) | instskip(NEXT) | instid1(VALU_DEP_4)
	v_xor_b32_e32 v9, v32, v9
	v_xor_b32_e32 v19, v33, v19
	s_delay_alu instid0(VALU_DEP_1) | instskip(NEXT) | instid1(VALU_DEP_1)
	v_cmp_le_u64_e64 s7, v[8:9], v[18:19]
	s_and_b32 s16, s7, exec_lo
.LBB1238_149:
	s_or_b32 exec_lo, exec_lo, s13
	s_delay_alu instid0(SALU_CYCLE_1)
	s_or_not1_b32 s13, s16, exec_lo
.LBB1238_150:
	s_or_b32 exec_lo, exec_lo, s15
	v_cndmask_b32_e64 v8, v12, v13, s13
	v_cndmask_b32_e64 v9, v86, v85, s13
	s_mov_b32 s15, exec_lo
	s_delay_alu instid0(VALU_DEP_2) | instskip(NEXT) | instid1(VALU_DEP_2)
	v_add_nc_u32_e32 v22, 1, v8
	v_add_nc_u32_e32 v9, -1, v9
	v_lshl_add_u32 v8, v8, 3, v81
	s_delay_alu instid0(VALU_DEP_3) | instskip(NEXT) | instid1(VALU_DEP_3)
	v_cndmask_b32_e64 v12, v22, v12, s13
	v_min_u32_e32 v9, v22, v9
	v_cndmask_b32_e64 v13, v13, v22, s13
	s_delay_alu instid0(VALU_DEP_2)
	v_lshl_add_u32 v9, v9, 3, v81
	ds_load_b64 v[18:19], v9
	ds_load_b64 v[8:9], v8 offset:16384
	s_waitcnt lgkmcnt(1)
	v_cndmask_b32_e64 v33, v19, v39, s13
	v_cndmask_b32_e64 v32, v18, v38, s13
	;; [unrolled: 1-line block ×4, first 2 shown]
	v_cmpx_lt_u32_e64 v12, v86
	s_cbranch_execz .LBB1238_154
; %bb.151:
	s_mov_b32 s16, 0
	s_mov_b32 s14, exec_lo
	v_cmpx_lt_u32_e64 v13, v85
	s_cbranch_execz .LBB1238_153
; %bb.152:
	v_add_f64 v[18:19], v[54:55], 0
	v_add_f64 v[22:23], v[32:33], 0
	s_delay_alu instid0(VALU_DEP_2) | instskip(NEXT) | instid1(VALU_DEP_2)
	v_ashrrev_i32_e32 v48, 31, v19
	v_ashrrev_i32_e32 v49, 31, v23
	s_delay_alu instid0(VALU_DEP_2) | instskip(NEXT) | instid1(VALU_DEP_2)
	v_or_b32_e32 v64, 0x80000000, v48
	v_or_b32_e32 v65, 0x80000000, v49
	v_xor_b32_e32 v18, v48, v18
	v_xor_b32_e32 v22, v49, v22
	s_delay_alu instid0(VALU_DEP_4) | instskip(NEXT) | instid1(VALU_DEP_4)
	v_xor_b32_e32 v19, v64, v19
	v_xor_b32_e32 v23, v65, v23
	s_delay_alu instid0(VALU_DEP_1) | instskip(NEXT) | instid1(VALU_DEP_1)
	v_cmp_le_u64_e64 s7, v[18:19], v[22:23]
	s_and_b32 s16, s7, exec_lo
.LBB1238_153:
	s_or_b32 exec_lo, exec_lo, s14
	s_delay_alu instid0(SALU_CYCLE_1)
	s_or_not1_b32 s14, s16, exec_lo
.LBB1238_154:
	s_or_b32 exec_lo, exec_lo, s15
	v_cndmask_b32_e64 v18, v12, v13, s14
	v_cndmask_b32_e64 v19, v86, v85, s14
	s_mov_b32 s15, -1
	s_mov_b32 s16, -1
	s_mov_b32 s17, exec_lo
	v_add_nc_u32_e32 v23, 1, v18
	v_add_nc_u32_e32 v19, -1, v19
	v_lshl_add_u32 v18, v18, 3, v81
	s_delay_alu instid0(VALU_DEP_3) | instskip(NEXT) | instid1(VALU_DEP_3)
	v_cndmask_b32_e64 v22, v23, v12, s14
	v_min_u32_e32 v19, v23, v19
	v_cndmask_b32_e64 v23, v13, v23, s14
	s_delay_alu instid0(VALU_DEP_2)
	v_lshl_add_u32 v19, v19, 3, v81
	ds_load_b64 v[64:65], v19
	ds_load_b64 v[18:19], v18 offset:16384
	s_waitcnt lgkmcnt(1)
	v_cndmask_b32_e64 v49, v65, v33, s14
	v_cndmask_b32_e64 v48, v64, v32, s14
	;; [unrolled: 1-line block ×4, first 2 shown]
	v_cmpx_lt_u32_e64 v22, v86
	s_cbranch_execz .LBB1238_158
; %bb.155:
	s_mov_b32 s18, 0
	s_mov_b32 s16, exec_lo
	v_cmpx_lt_u32_e64 v23, v85
	s_cbranch_execz .LBB1238_157
; %bb.156:
	v_add_f64 v[12:13], v[64:65], 0
	v_add_f64 v[66:67], v[48:49], 0
	s_delay_alu instid0(VALU_DEP_2) | instskip(NEXT) | instid1(VALU_DEP_2)
	v_ashrrev_i32_e32 v68, 31, v13
	v_ashrrev_i32_e32 v69, 31, v67
	s_delay_alu instid0(VALU_DEP_2) | instskip(NEXT) | instid1(VALU_DEP_2)
	v_or_b32_e32 v87, 0x80000000, v68
	v_or_b32_e32 v96, 0x80000000, v69
	v_xor_b32_e32 v12, v68, v12
	v_xor_b32_e32 v66, v69, v66
	s_delay_alu instid0(VALU_DEP_4) | instskip(NEXT) | instid1(VALU_DEP_4)
	v_xor_b32_e32 v13, v87, v13
	v_xor_b32_e32 v67, v96, v67
	s_delay_alu instid0(VALU_DEP_1) | instskip(NEXT) | instid1(VALU_DEP_1)
	v_cmp_le_u64_e64 s7, v[12:13], v[66:67]
	s_and_b32 s18, s7, exec_lo
.LBB1238_157:
	s_or_b32 exec_lo, exec_lo, s16
	s_delay_alu instid0(SALU_CYCLE_1)
	s_or_not1_b32 s16, s18, exec_lo
.LBB1238_158:
	s_or_b32 exec_lo, exec_lo, s17
	v_cndmask_b32_e64 v12, v22, v23, s16
	v_cndmask_b32_e64 v13, v86, v85, s16
	s_mov_b32 s17, exec_lo
	s_delay_alu instid0(VALU_DEP_2) | instskip(NEXT) | instid1(VALU_DEP_2)
	v_add_nc_u32_e32 v66, 1, v12
	v_add_nc_u32_e32 v13, -1, v13
	v_lshl_add_u32 v12, v12, 3, v81
	s_delay_alu instid0(VALU_DEP_3) | instskip(NEXT) | instid1(VALU_DEP_3)
	v_cndmask_b32_e64 v22, v66, v22, s16
	v_min_u32_e32 v13, v66, v13
	v_cndmask_b32_e64 v23, v23, v66, s16
	s_delay_alu instid0(VALU_DEP_2)
	v_lshl_add_u32 v13, v13, 3, v81
	ds_load_b64 v[68:69], v13
	ds_load_b64 v[12:13], v12 offset:16384
	s_waitcnt lgkmcnt(1)
	v_cndmask_b32_e64 v67, v69, v49, s16
	v_cndmask_b32_e64 v66, v68, v48, s16
	;; [unrolled: 1-line block ×4, first 2 shown]
	v_cmpx_lt_u32_e64 v22, v86
	s_cbranch_execz .LBB1238_162
; %bb.159:
	s_mov_b32 s18, 0
	s_mov_b32 s15, exec_lo
	v_cmpx_lt_u32_e64 v23, v85
	s_cbranch_execz .LBB1238_161
; %bb.160:
	v_add_f64 v[85:86], v[68:69], 0
	v_add_f64 v[96:97], v[66:67], 0
	s_delay_alu instid0(VALU_DEP_2) | instskip(NEXT) | instid1(VALU_DEP_2)
	v_ashrrev_i32_e32 v87, 31, v86
	v_ashrrev_i32_e32 v98, 31, v97
	s_delay_alu instid0(VALU_DEP_2) | instskip(NEXT) | instid1(VALU_DEP_2)
	v_or_b32_e32 v99, 0x80000000, v87
	v_or_b32_e32 v100, 0x80000000, v98
	v_xor_b32_e32 v85, v87, v85
	v_xor_b32_e32 v96, v98, v96
	s_delay_alu instid0(VALU_DEP_4) | instskip(NEXT) | instid1(VALU_DEP_4)
	v_xor_b32_e32 v86, v99, v86
	v_xor_b32_e32 v97, v100, v97
	s_delay_alu instid0(VALU_DEP_1) | instskip(NEXT) | instid1(VALU_DEP_1)
	v_cmp_le_u64_e64 s7, v[85:86], v[96:97]
	s_and_b32 s18, s7, exec_lo
.LBB1238_161:
	s_or_b32 exec_lo, exec_lo, s15
	s_delay_alu instid0(SALU_CYCLE_1)
	s_or_not1_b32 s15, s18, exec_lo
.LBB1238_162:
	s_or_b32 exec_lo, exec_lo, s17
	v_cndmask_b32_e64 v22, v22, v23, s15
	v_cndmask_b32_e64 v49, v49, v65, s16
	;; [unrolled: 1-line block ×5, first 2 shown]
	v_lshl_add_u32 v22, v22, 3, v81
	v_cndmask_b32_e64 v39, v39, v53, s13
	v_cndmask_b32_e64 v38, v38, v52, s13
	;; [unrolled: 1-line block ×4, first 2 shown]
	ds_load_b64 v[22:23], v22 offset:16384
	v_cndmask_b32_e64 v37, v31, v35, s11
	v_cndmask_b32_e64 v36, v30, v34, s11
	;; [unrolled: 1-line block ×8, first 2 shown]
.LBB1238_163:
	s_or_b32 exec_lo, exec_lo, s9
	v_and_b32_e32 v16, 0xc0, v80
	v_and_b32_e32 v20, 56, v80
	s_mov_b32 s8, exec_lo
	; wave barrier
	s_delay_alu instid0(VALU_DEP_2)
	v_or_b32_e32 v17, 32, v16
	ds_store_2addr_b64 v82, v[26:27], v[34:35] offset1:1
	ds_store_2addr_b64 v82, v[36:37], v[50:51] offset0:2 offset1:3
	ds_store_2addr_b64 v83, v[0:1], v[10:11] offset1:1
	ds_store_2addr_b64 v83, v[4:5], v[14:15] offset0:2 offset1:3
	ds_store_2addr_b64 v82, v[38:39], v[32:33] offset0:4 offset1:5
	;; [unrolled: 1-line block ×4, first 2 shown]
	s_waitcnt lgkmcnt(7)
	ds_store_2addr_b64 v83, v[12:13], v[22:23] offset0:6 offset1:7
	v_min_u32_e32 v85, v84, v17
	; wave barrier
	s_delay_alu instid0(VALU_DEP_1) | instskip(NEXT) | instid1(VALU_DEP_1)
	v_add_nc_u32_e32 v17, 32, v85
	v_min_u32_e32 v86, v84, v17
	v_min_u32_e32 v17, v84, v20
	v_sub_nc_u32_e32 v20, v85, v16
	s_delay_alu instid0(VALU_DEP_3) | instskip(NEXT) | instid1(VALU_DEP_2)
	v_sub_nc_u32_e32 v21, v86, v85
	v_min_u32_e32 v30, v17, v20
	s_delay_alu instid0(VALU_DEP_2) | instskip(SKIP_1) | instid1(VALU_DEP_2)
	v_sub_nc_u32_e64 v20, v17, v21 clamp
	v_lshl_add_u32 v21, v16, 3, v81
	v_cmpx_lt_u32_e64 v20, v30
	s_cbranch_execz .LBB1238_167
; %bb.164:
	v_lshlrev_b32_e32 v31, 3, v85
	v_lshlrev_b32_e32 v52, 3, v17
	s_mov_b32 s9, 0
	s_delay_alu instid0(VALU_DEP_1)
	v_add3_u32 v31, v81, v31, v52
	s_set_inst_prefetch_distance 0x1
	.p2align	6
.LBB1238_165:                           ; =>This Inner Loop Header: Depth=1
	v_add_nc_u32_e32 v52, v30, v20
	s_delay_alu instid0(VALU_DEP_1) | instskip(NEXT) | instid1(VALU_DEP_1)
	v_lshrrev_b32_e32 v64, 1, v52
	v_not_b32_e32 v52, v64
	v_lshl_add_u32 v53, v64, 3, v21
	s_delay_alu instid0(VALU_DEP_2)
	v_lshl_add_u32 v54, v52, 3, v31
	ds_load_b64 v[52:53], v53
	ds_load_b64 v[54:55], v54
	s_waitcnt lgkmcnt(1)
	v_add_f64 v[52:53], v[52:53], 0
	s_waitcnt lgkmcnt(0)
	v_add_f64 v[54:55], v[54:55], 0
	s_delay_alu instid0(VALU_DEP_2) | instskip(NEXT) | instid1(VALU_DEP_2)
	v_ashrrev_i32_e32 v65, 31, v53
	v_ashrrev_i32_e32 v66, 31, v55
	s_delay_alu instid0(VALU_DEP_2) | instskip(NEXT) | instid1(VALU_DEP_2)
	v_or_b32_e32 v67, 0x80000000, v65
	v_or_b32_e32 v68, 0x80000000, v66
	v_xor_b32_e32 v52, v65, v52
	v_xor_b32_e32 v54, v66, v54
	s_delay_alu instid0(VALU_DEP_4) | instskip(NEXT) | instid1(VALU_DEP_4)
	v_xor_b32_e32 v53, v67, v53
	v_xor_b32_e32 v55, v68, v55
	s_delay_alu instid0(VALU_DEP_1) | instskip(SKIP_1) | instid1(VALU_DEP_2)
	v_cmp_gt_u64_e64 s7, v[52:53], v[54:55]
	v_add_nc_u32_e32 v52, 1, v64
	v_cndmask_b32_e64 v30, v30, v64, s7
	s_delay_alu instid0(VALU_DEP_2) | instskip(NEXT) | instid1(VALU_DEP_1)
	v_cndmask_b32_e64 v20, v52, v20, s7
	v_cmp_ge_u32_e64 s7, v20, v30
	s_delay_alu instid0(VALU_DEP_1) | instskip(NEXT) | instid1(SALU_CYCLE_1)
	s_or_b32 s9, s7, s9
	s_and_not1_b32 exec_lo, exec_lo, s9
	s_cbranch_execnz .LBB1238_165
; %bb.166:
	s_set_inst_prefetch_distance 0x2
	s_or_b32 exec_lo, exec_lo, s9
.LBB1238_167:
	s_delay_alu instid0(SALU_CYCLE_1) | instskip(SKIP_2) | instid1(VALU_DEP_2)
	s_or_b32 exec_lo, exec_lo, s8
	v_add_nc_u32_e32 v17, v85, v17
	v_add_nc_u32_e32 v30, v20, v16
	v_sub_nc_u32_e32 v31, v17, v20
	s_delay_alu instid0(VALU_DEP_2) | instskip(NEXT) | instid1(VALU_DEP_2)
	v_cmp_le_u32_e64 s7, v30, v85
	v_cmp_le_u32_e64 s8, v31, v86
	s_delay_alu instid0(VALU_DEP_1) | instskip(NEXT) | instid1(SALU_CYCLE_1)
	s_or_b32 s7, s7, s8
	s_and_saveexec_b32 s9, s7
	s_cbranch_execz .LBB1238_203
; %bb.168:
	v_cmp_ge_u32_e64 s7, v30, v85
	s_mov_b32 s10, exec_lo
                                        ; implicit-def: $vgpr16_vgpr17
	v_cmpx_lt_u32_e64 v30, v85
	s_cbranch_execz .LBB1238_170
; %bb.169:
	v_lshl_add_u32 v0, v20, 3, v21
	ds_load_b64 v[16:17], v0
.LBB1238_170:
	s_or_b32 exec_lo, exec_lo, s10
	v_cmp_ge_u32_e64 s10, v31, v86
	s_mov_b32 s11, exec_lo
                                        ; implicit-def: $vgpr20_vgpr21
	v_cmpx_lt_u32_e64 v31, v86
	s_cbranch_execz .LBB1238_172
; %bb.171:
	v_lshl_add_u32 v0, v31, 3, v81
	ds_load_b64 v[20:21], v0
.LBB1238_172:
	s_or_b32 exec_lo, exec_lo, s11
	s_or_b32 s7, s7, s10
	s_mov_b32 s8, -1
	s_xor_b32 s7, s7, -1
	s_delay_alu instid0(SALU_CYCLE_1)
	s_and_saveexec_b32 s11, s7
	s_cbranch_execz .LBB1238_174
; %bb.173:
	s_waitcnt lgkmcnt(0)
	v_add_f64 v[0:1], v[16:17], 0
	v_add_f64 v[4:5], v[20:21], 0
	s_and_not1_b32 s10, s10, exec_lo
	s_delay_alu instid0(VALU_DEP_2) | instskip(NEXT) | instid1(VALU_DEP_2)
	v_ashrrev_i32_e32 v8, 31, v1
	v_ashrrev_i32_e32 v9, 31, v5
	s_delay_alu instid0(VALU_DEP_2) | instskip(NEXT) | instid1(VALU_DEP_2)
	v_or_b32_e32 v10, 0x80000000, v8
	v_or_b32_e32 v11, 0x80000000, v9
	v_xor_b32_e32 v0, v8, v0
	v_xor_b32_e32 v4, v9, v4
	s_delay_alu instid0(VALU_DEP_4) | instskip(NEXT) | instid1(VALU_DEP_4)
	v_xor_b32_e32 v1, v10, v1
	v_xor_b32_e32 v5, v11, v5
	s_delay_alu instid0(VALU_DEP_1) | instskip(NEXT) | instid1(VALU_DEP_1)
	v_cmp_le_u64_e64 s7, v[0:1], v[4:5]
	s_and_b32 s7, s7, exec_lo
	s_delay_alu instid0(SALU_CYCLE_1)
	s_or_b32 s10, s10, s7
.LBB1238_174:
	s_or_b32 exec_lo, exec_lo, s11
	v_cndmask_b32_e64 v0, v31, v30, s10
	v_cndmask_b32_e64 v1, v86, v85, s10
	s_mov_b32 s11, exec_lo
	s_delay_alu instid0(VALU_DEP_2) | instskip(NEXT) | instid1(VALU_DEP_2)
	v_add_nc_u32_e32 v5, 1, v0
	v_add_nc_u32_e32 v1, -1, v1
	v_lshl_add_u32 v0, v0, 3, v81
	s_delay_alu instid0(VALU_DEP_3) | instskip(NEXT) | instid1(VALU_DEP_3)
	v_cndmask_b32_e64 v4, v5, v31, s10
	v_min_u32_e32 v1, v5, v1
	v_cndmask_b32_e64 v5, v30, v5, s10
	s_delay_alu instid0(VALU_DEP_2)
	v_lshl_add_u32 v1, v1, 3, v81
	ds_load_b64 v[8:9], v1
	ds_load_b64 v[0:1], v0 offset:16384
	s_waitcnt lgkmcnt(1)
	v_cndmask_b32_e64 v27, v9, v21, s10
	v_cndmask_b32_e64 v26, v8, v20, s10
	;; [unrolled: 1-line block ×4, first 2 shown]
	v_cmpx_lt_u32_e64 v4, v86
	s_cbranch_execz .LBB1238_178
; %bb.175:
	s_mov_b32 s12, 0
	s_mov_b32 s8, exec_lo
	v_cmpx_lt_u32_e64 v5, v85
	s_cbranch_execz .LBB1238_177
; %bb.176:
	v_add_f64 v[8:9], v[28:29], 0
	v_add_f64 v[10:11], v[26:27], 0
	s_delay_alu instid0(VALU_DEP_2) | instskip(NEXT) | instid1(VALU_DEP_2)
	v_ashrrev_i32_e32 v12, 31, v9
	v_ashrrev_i32_e32 v13, 31, v11
	s_delay_alu instid0(VALU_DEP_2) | instskip(NEXT) | instid1(VALU_DEP_2)
	v_or_b32_e32 v14, 0x80000000, v12
	v_or_b32_e32 v15, 0x80000000, v13
	v_xor_b32_e32 v8, v12, v8
	v_xor_b32_e32 v10, v13, v10
	s_delay_alu instid0(VALU_DEP_4) | instskip(NEXT) | instid1(VALU_DEP_4)
	v_xor_b32_e32 v9, v14, v9
	v_xor_b32_e32 v11, v15, v11
	s_delay_alu instid0(VALU_DEP_1) | instskip(NEXT) | instid1(VALU_DEP_1)
	v_cmp_le_u64_e64 s7, v[8:9], v[10:11]
	s_and_b32 s12, s7, exec_lo
.LBB1238_177:
	s_or_b32 exec_lo, exec_lo, s8
	s_delay_alu instid0(SALU_CYCLE_1)
	s_or_not1_b32 s8, s12, exec_lo
.LBB1238_178:
	s_or_b32 exec_lo, exec_lo, s11
	v_cndmask_b32_e64 v8, v4, v5, s8
	v_cndmask_b32_e64 v9, v86, v85, s8
	s_mov_b32 s12, -1
	s_mov_b32 s11, -1
	s_mov_b32 s13, exec_lo
	v_add_nc_u32_e32 v14, 1, v8
	v_add_nc_u32_e32 v9, -1, v9
	v_lshl_add_u32 v8, v8, 3, v81
	s_delay_alu instid0(VALU_DEP_2)
	v_min_u32_e32 v9, v14, v9
	ds_load_b64 v[10:11], v8 offset:16384
	v_cndmask_b32_e64 v8, v14, v4, s8
	v_lshl_add_u32 v9, v9, 3, v81
	ds_load_b64 v[12:13], v9
	v_cndmask_b32_e64 v9, v5, v14, s8
	s_waitcnt lgkmcnt(0)
	v_cndmask_b32_e64 v31, v13, v27, s8
	v_cndmask_b32_e64 v30, v12, v26, s8
	v_cndmask_b32_e64 v35, v29, v13, s8
	v_cndmask_b32_e64 v34, v28, v12, s8
	v_cmpx_lt_u32_e64 v8, v86
	s_cbranch_execz .LBB1238_182
; %bb.179:
	s_mov_b32 s14, 0
	s_mov_b32 s11, exec_lo
	v_cmpx_lt_u32_e64 v9, v85
	s_cbranch_execz .LBB1238_181
; %bb.180:
	v_add_f64 v[4:5], v[34:35], 0
	v_add_f64 v[12:13], v[30:31], 0
	s_delay_alu instid0(VALU_DEP_2) | instskip(NEXT) | instid1(VALU_DEP_2)
	v_ashrrev_i32_e32 v14, 31, v5
	v_ashrrev_i32_e32 v15, 31, v13
	s_delay_alu instid0(VALU_DEP_2) | instskip(NEXT) | instid1(VALU_DEP_2)
	v_or_b32_e32 v18, 0x80000000, v14
	v_or_b32_e32 v19, 0x80000000, v15
	v_xor_b32_e32 v4, v14, v4
	v_xor_b32_e32 v12, v15, v12
	s_delay_alu instid0(VALU_DEP_4) | instskip(NEXT) | instid1(VALU_DEP_4)
	v_xor_b32_e32 v5, v18, v5
	v_xor_b32_e32 v13, v19, v13
	s_delay_alu instid0(VALU_DEP_1) | instskip(NEXT) | instid1(VALU_DEP_1)
	v_cmp_le_u64_e64 s7, v[4:5], v[12:13]
	s_and_b32 s14, s7, exec_lo
.LBB1238_181:
	s_or_b32 exec_lo, exec_lo, s11
	s_delay_alu instid0(SALU_CYCLE_1)
	s_or_not1_b32 s11, s14, exec_lo
.LBB1238_182:
	s_or_b32 exec_lo, exec_lo, s13
	v_cndmask_b32_e64 v4, v8, v9, s11
	v_cndmask_b32_e64 v5, v86, v85, s11
	s_mov_b32 s13, exec_lo
	s_delay_alu instid0(VALU_DEP_2) | instskip(NEXT) | instid1(VALU_DEP_2)
	v_add_nc_u32_e32 v14, 1, v4
	v_add_nc_u32_e32 v5, -1, v5
	v_lshl_add_u32 v4, v4, 3, v81
	s_delay_alu instid0(VALU_DEP_3) | instskip(NEXT) | instid1(VALU_DEP_3)
	v_cndmask_b32_e64 v8, v14, v8, s11
	v_min_u32_e32 v5, v14, v5
	v_cndmask_b32_e64 v9, v9, v14, s11
	s_delay_alu instid0(VALU_DEP_2)
	v_lshl_add_u32 v5, v5, 3, v81
	ds_load_b64 v[12:13], v5
	ds_load_b64 v[4:5], v4 offset:16384
	s_waitcnt lgkmcnt(1)
	v_cndmask_b32_e64 v37, v13, v31, s11
	v_cndmask_b32_e64 v36, v12, v30, s11
	;; [unrolled: 1-line block ×4, first 2 shown]
	v_cmpx_lt_u32_e64 v8, v86
	s_cbranch_execz .LBB1238_186
; %bb.183:
	s_mov_b32 s14, 0
	s_mov_b32 s12, exec_lo
	v_cmpx_lt_u32_e64 v9, v85
	s_cbranch_execz .LBB1238_185
; %bb.184:
	v_add_f64 v[12:13], v[50:51], 0
	v_add_f64 v[14:15], v[36:37], 0
	s_delay_alu instid0(VALU_DEP_2) | instskip(NEXT) | instid1(VALU_DEP_2)
	v_ashrrev_i32_e32 v18, 31, v13
	v_ashrrev_i32_e32 v19, 31, v15
	s_delay_alu instid0(VALU_DEP_2) | instskip(NEXT) | instid1(VALU_DEP_2)
	v_or_b32_e32 v22, 0x80000000, v18
	v_or_b32_e32 v23, 0x80000000, v19
	v_xor_b32_e32 v12, v18, v12
	v_xor_b32_e32 v14, v19, v14
	s_delay_alu instid0(VALU_DEP_4) | instskip(NEXT) | instid1(VALU_DEP_4)
	v_xor_b32_e32 v13, v22, v13
	v_xor_b32_e32 v15, v23, v15
	s_delay_alu instid0(VALU_DEP_1) | instskip(NEXT) | instid1(VALU_DEP_1)
	v_cmp_le_u64_e64 s7, v[12:13], v[14:15]
	s_and_b32 s14, s7, exec_lo
.LBB1238_185:
	s_or_b32 exec_lo, exec_lo, s12
	s_delay_alu instid0(SALU_CYCLE_1)
	s_or_not1_b32 s12, s14, exec_lo
.LBB1238_186:
	s_or_b32 exec_lo, exec_lo, s13
	v_cndmask_b32_e64 v12, v8, v9, s12
	v_cndmask_b32_e64 v13, v86, v85, s12
	s_mov_b32 s14, -1
	s_mov_b32 s13, -1
	s_mov_b32 s15, exec_lo
	v_add_nc_u32_e32 v22, 1, v12
	v_add_nc_u32_e32 v13, -1, v13
	v_lshl_add_u32 v12, v12, 3, v81
	s_delay_alu instid0(VALU_DEP_2)
	v_min_u32_e32 v13, v22, v13
	ds_load_b64 v[14:15], v12 offset:16384
	v_cndmask_b32_e64 v12, v22, v8, s12
	v_lshl_add_u32 v13, v13, 3, v81
	ds_load_b64 v[18:19], v13
	v_cndmask_b32_e64 v13, v9, v22, s12
	s_waitcnt lgkmcnt(0)
	v_cndmask_b32_e64 v39, v19, v37, s12
	v_cndmask_b32_e64 v38, v18, v36, s12
	;; [unrolled: 1-line block ×4, first 2 shown]
	v_cmpx_lt_u32_e64 v12, v86
	s_cbranch_execz .LBB1238_190
; %bb.187:
	s_mov_b32 s16, 0
	s_mov_b32 s13, exec_lo
	v_cmpx_lt_u32_e64 v13, v85
	s_cbranch_execz .LBB1238_189
; %bb.188:
	v_add_f64 v[8:9], v[52:53], 0
	v_add_f64 v[18:19], v[38:39], 0
	s_delay_alu instid0(VALU_DEP_2) | instskip(NEXT) | instid1(VALU_DEP_2)
	v_ashrrev_i32_e32 v22, 31, v9
	v_ashrrev_i32_e32 v23, 31, v19
	s_delay_alu instid0(VALU_DEP_2) | instskip(NEXT) | instid1(VALU_DEP_2)
	v_or_b32_e32 v32, 0x80000000, v22
	v_or_b32_e32 v33, 0x80000000, v23
	v_xor_b32_e32 v8, v22, v8
	v_xor_b32_e32 v18, v23, v18
	s_delay_alu instid0(VALU_DEP_4) | instskip(NEXT) | instid1(VALU_DEP_4)
	v_xor_b32_e32 v9, v32, v9
	v_xor_b32_e32 v19, v33, v19
	s_delay_alu instid0(VALU_DEP_1) | instskip(NEXT) | instid1(VALU_DEP_1)
	v_cmp_le_u64_e64 s7, v[8:9], v[18:19]
	s_and_b32 s16, s7, exec_lo
.LBB1238_189:
	s_or_b32 exec_lo, exec_lo, s13
	s_delay_alu instid0(SALU_CYCLE_1)
	s_or_not1_b32 s13, s16, exec_lo
.LBB1238_190:
	s_or_b32 exec_lo, exec_lo, s15
	v_cndmask_b32_e64 v8, v12, v13, s13
	v_cndmask_b32_e64 v9, v86, v85, s13
	s_mov_b32 s15, exec_lo
	s_delay_alu instid0(VALU_DEP_2) | instskip(NEXT) | instid1(VALU_DEP_2)
	v_add_nc_u32_e32 v22, 1, v8
	v_add_nc_u32_e32 v9, -1, v9
	v_lshl_add_u32 v8, v8, 3, v81
	s_delay_alu instid0(VALU_DEP_3) | instskip(NEXT) | instid1(VALU_DEP_3)
	v_cndmask_b32_e64 v12, v22, v12, s13
	v_min_u32_e32 v9, v22, v9
	v_cndmask_b32_e64 v13, v13, v22, s13
	s_delay_alu instid0(VALU_DEP_2)
	v_lshl_add_u32 v9, v9, 3, v81
	ds_load_b64 v[18:19], v9
	ds_load_b64 v[8:9], v8 offset:16384
	s_waitcnt lgkmcnt(1)
	v_cndmask_b32_e64 v33, v19, v39, s13
	v_cndmask_b32_e64 v32, v18, v38, s13
	;; [unrolled: 1-line block ×4, first 2 shown]
	v_cmpx_lt_u32_e64 v12, v86
	s_cbranch_execz .LBB1238_194
; %bb.191:
	s_mov_b32 s16, 0
	s_mov_b32 s14, exec_lo
	v_cmpx_lt_u32_e64 v13, v85
	s_cbranch_execz .LBB1238_193
; %bb.192:
	v_add_f64 v[18:19], v[54:55], 0
	v_add_f64 v[22:23], v[32:33], 0
	s_delay_alu instid0(VALU_DEP_2) | instskip(NEXT) | instid1(VALU_DEP_2)
	v_ashrrev_i32_e32 v48, 31, v19
	v_ashrrev_i32_e32 v49, 31, v23
	s_delay_alu instid0(VALU_DEP_2) | instskip(NEXT) | instid1(VALU_DEP_2)
	v_or_b32_e32 v64, 0x80000000, v48
	v_or_b32_e32 v65, 0x80000000, v49
	v_xor_b32_e32 v18, v48, v18
	v_xor_b32_e32 v22, v49, v22
	s_delay_alu instid0(VALU_DEP_4) | instskip(NEXT) | instid1(VALU_DEP_4)
	v_xor_b32_e32 v19, v64, v19
	v_xor_b32_e32 v23, v65, v23
	s_delay_alu instid0(VALU_DEP_1) | instskip(NEXT) | instid1(VALU_DEP_1)
	v_cmp_le_u64_e64 s7, v[18:19], v[22:23]
	s_and_b32 s16, s7, exec_lo
.LBB1238_193:
	s_or_b32 exec_lo, exec_lo, s14
	s_delay_alu instid0(SALU_CYCLE_1)
	s_or_not1_b32 s14, s16, exec_lo
.LBB1238_194:
	s_or_b32 exec_lo, exec_lo, s15
	v_cndmask_b32_e64 v18, v12, v13, s14
	v_cndmask_b32_e64 v19, v86, v85, s14
	s_mov_b32 s15, -1
	s_mov_b32 s16, -1
	s_mov_b32 s17, exec_lo
	v_add_nc_u32_e32 v23, 1, v18
	v_add_nc_u32_e32 v19, -1, v19
	v_lshl_add_u32 v18, v18, 3, v81
	s_delay_alu instid0(VALU_DEP_3) | instskip(NEXT) | instid1(VALU_DEP_3)
	v_cndmask_b32_e64 v22, v23, v12, s14
	v_min_u32_e32 v19, v23, v19
	v_cndmask_b32_e64 v23, v13, v23, s14
	s_delay_alu instid0(VALU_DEP_2)
	v_lshl_add_u32 v19, v19, 3, v81
	ds_load_b64 v[64:65], v19
	ds_load_b64 v[18:19], v18 offset:16384
	s_waitcnt lgkmcnt(1)
	v_cndmask_b32_e64 v49, v65, v33, s14
	v_cndmask_b32_e64 v48, v64, v32, s14
	;; [unrolled: 1-line block ×4, first 2 shown]
	v_cmpx_lt_u32_e64 v22, v86
	s_cbranch_execz .LBB1238_198
; %bb.195:
	s_mov_b32 s18, 0
	s_mov_b32 s16, exec_lo
	v_cmpx_lt_u32_e64 v23, v85
	s_cbranch_execz .LBB1238_197
; %bb.196:
	v_add_f64 v[12:13], v[64:65], 0
	v_add_f64 v[66:67], v[48:49], 0
	s_delay_alu instid0(VALU_DEP_2) | instskip(NEXT) | instid1(VALU_DEP_2)
	v_ashrrev_i32_e32 v68, 31, v13
	v_ashrrev_i32_e32 v69, 31, v67
	s_delay_alu instid0(VALU_DEP_2) | instskip(NEXT) | instid1(VALU_DEP_2)
	v_or_b32_e32 v87, 0x80000000, v68
	v_or_b32_e32 v96, 0x80000000, v69
	v_xor_b32_e32 v12, v68, v12
	v_xor_b32_e32 v66, v69, v66
	s_delay_alu instid0(VALU_DEP_4) | instskip(NEXT) | instid1(VALU_DEP_4)
	v_xor_b32_e32 v13, v87, v13
	v_xor_b32_e32 v67, v96, v67
	s_delay_alu instid0(VALU_DEP_1) | instskip(NEXT) | instid1(VALU_DEP_1)
	v_cmp_le_u64_e64 s7, v[12:13], v[66:67]
	s_and_b32 s18, s7, exec_lo
.LBB1238_197:
	s_or_b32 exec_lo, exec_lo, s16
	s_delay_alu instid0(SALU_CYCLE_1)
	s_or_not1_b32 s16, s18, exec_lo
.LBB1238_198:
	s_or_b32 exec_lo, exec_lo, s17
	v_cndmask_b32_e64 v12, v22, v23, s16
	v_cndmask_b32_e64 v13, v86, v85, s16
	s_mov_b32 s17, exec_lo
	s_delay_alu instid0(VALU_DEP_2) | instskip(NEXT) | instid1(VALU_DEP_2)
	v_add_nc_u32_e32 v66, 1, v12
	v_add_nc_u32_e32 v13, -1, v13
	v_lshl_add_u32 v12, v12, 3, v81
	s_delay_alu instid0(VALU_DEP_3) | instskip(NEXT) | instid1(VALU_DEP_3)
	v_cndmask_b32_e64 v22, v66, v22, s16
	v_min_u32_e32 v13, v66, v13
	v_cndmask_b32_e64 v23, v23, v66, s16
	s_delay_alu instid0(VALU_DEP_2)
	v_lshl_add_u32 v13, v13, 3, v81
	ds_load_b64 v[68:69], v13
	ds_load_b64 v[12:13], v12 offset:16384
	s_waitcnt lgkmcnt(1)
	v_cndmask_b32_e64 v67, v69, v49, s16
	v_cndmask_b32_e64 v66, v68, v48, s16
	;; [unrolled: 1-line block ×4, first 2 shown]
	v_cmpx_lt_u32_e64 v22, v86
	s_cbranch_execz .LBB1238_202
; %bb.199:
	s_mov_b32 s18, 0
	s_mov_b32 s15, exec_lo
	v_cmpx_lt_u32_e64 v23, v85
	s_cbranch_execz .LBB1238_201
; %bb.200:
	v_add_f64 v[85:86], v[68:69], 0
	v_add_f64 v[96:97], v[66:67], 0
	s_delay_alu instid0(VALU_DEP_2) | instskip(NEXT) | instid1(VALU_DEP_2)
	v_ashrrev_i32_e32 v87, 31, v86
	v_ashrrev_i32_e32 v98, 31, v97
	s_delay_alu instid0(VALU_DEP_2) | instskip(NEXT) | instid1(VALU_DEP_2)
	v_or_b32_e32 v99, 0x80000000, v87
	v_or_b32_e32 v100, 0x80000000, v98
	v_xor_b32_e32 v85, v87, v85
	v_xor_b32_e32 v96, v98, v96
	s_delay_alu instid0(VALU_DEP_4) | instskip(NEXT) | instid1(VALU_DEP_4)
	v_xor_b32_e32 v86, v99, v86
	v_xor_b32_e32 v97, v100, v97
	s_delay_alu instid0(VALU_DEP_1) | instskip(NEXT) | instid1(VALU_DEP_1)
	v_cmp_le_u64_e64 s7, v[85:86], v[96:97]
	s_and_b32 s18, s7, exec_lo
.LBB1238_201:
	s_or_b32 exec_lo, exec_lo, s15
	s_delay_alu instid0(SALU_CYCLE_1)
	s_or_not1_b32 s15, s18, exec_lo
.LBB1238_202:
	s_or_b32 exec_lo, exec_lo, s17
	v_cndmask_b32_e64 v22, v22, v23, s15
	v_cndmask_b32_e64 v49, v49, v65, s16
	;; [unrolled: 1-line block ×5, first 2 shown]
	v_lshl_add_u32 v22, v22, 3, v81
	v_cndmask_b32_e64 v39, v39, v53, s13
	v_cndmask_b32_e64 v38, v38, v52, s13
	;; [unrolled: 1-line block ×4, first 2 shown]
	ds_load_b64 v[22:23], v22 offset:16384
	v_cndmask_b32_e64 v37, v31, v35, s11
	v_cndmask_b32_e64 v36, v30, v34, s11
	;; [unrolled: 1-line block ×8, first 2 shown]
.LBB1238_203:
	s_or_b32 exec_lo, exec_lo, s9
	v_and_b32_e32 v16, 0x80, v80
	s_mov_b32 s8, exec_lo
	; wave barrier
	ds_store_2addr_b64 v82, v[26:27], v[34:35] offset1:1
	ds_store_2addr_b64 v82, v[36:37], v[50:51] offset0:2 offset1:3
	v_or_b32_e32 v17, 64, v16
	ds_store_2addr_b64 v83, v[0:1], v[10:11] offset1:1
	ds_store_2addr_b64 v83, v[4:5], v[14:15] offset0:2 offset1:3
	ds_store_2addr_b64 v82, v[38:39], v[32:33] offset0:4 offset1:5
	;; [unrolled: 1-line block ×4, first 2 shown]
	s_waitcnt lgkmcnt(7)
	ds_store_2addr_b64 v83, v[12:13], v[22:23] offset0:6 offset1:7
	; wave barrier
	v_min_u32_e32 v80, v84, v17
	s_delay_alu instid0(VALU_DEP_1) | instskip(SKIP_1) | instid1(VALU_DEP_2)
	v_add_nc_u32_e32 v17, 64, v80
	v_sub_nc_u32_e32 v20, v80, v16
	v_min_u32_e32 v85, v84, v17
	v_min_u32_e32 v17, v84, v71
	s_delay_alu instid0(VALU_DEP_2) | instskip(NEXT) | instid1(VALU_DEP_2)
	v_sub_nc_u32_e32 v21, v85, v80
	v_min_u32_e32 v30, v17, v20
	s_delay_alu instid0(VALU_DEP_2) | instskip(SKIP_1) | instid1(VALU_DEP_2)
	v_sub_nc_u32_e64 v20, v17, v21 clamp
	v_lshl_add_u32 v21, v16, 3, v81
	v_cmpx_lt_u32_e64 v20, v30
	s_cbranch_execz .LBB1238_207
; %bb.204:
	v_lshlrev_b32_e32 v31, 3, v80
	v_lshlrev_b32_e32 v52, 3, v17
	s_mov_b32 s9, 0
	s_delay_alu instid0(VALU_DEP_1)
	v_add3_u32 v31, v81, v31, v52
	s_set_inst_prefetch_distance 0x1
	.p2align	6
.LBB1238_205:                           ; =>This Inner Loop Header: Depth=1
	v_add_nc_u32_e32 v52, v30, v20
	s_delay_alu instid0(VALU_DEP_1) | instskip(NEXT) | instid1(VALU_DEP_1)
	v_lshrrev_b32_e32 v64, 1, v52
	v_not_b32_e32 v52, v64
	v_lshl_add_u32 v53, v64, 3, v21
	s_delay_alu instid0(VALU_DEP_2)
	v_lshl_add_u32 v54, v52, 3, v31
	ds_load_b64 v[52:53], v53
	ds_load_b64 v[54:55], v54
	s_waitcnt lgkmcnt(1)
	v_add_f64 v[52:53], v[52:53], 0
	s_waitcnt lgkmcnt(0)
	v_add_f64 v[54:55], v[54:55], 0
	s_delay_alu instid0(VALU_DEP_2) | instskip(NEXT) | instid1(VALU_DEP_2)
	v_ashrrev_i32_e32 v65, 31, v53
	v_ashrrev_i32_e32 v66, 31, v55
	s_delay_alu instid0(VALU_DEP_2) | instskip(NEXT) | instid1(VALU_DEP_2)
	v_or_b32_e32 v67, 0x80000000, v65
	v_or_b32_e32 v68, 0x80000000, v66
	v_xor_b32_e32 v52, v65, v52
	v_xor_b32_e32 v54, v66, v54
	s_delay_alu instid0(VALU_DEP_4) | instskip(NEXT) | instid1(VALU_DEP_4)
	v_xor_b32_e32 v53, v67, v53
	v_xor_b32_e32 v55, v68, v55
	s_delay_alu instid0(VALU_DEP_1) | instskip(SKIP_1) | instid1(VALU_DEP_2)
	v_cmp_gt_u64_e64 s7, v[52:53], v[54:55]
	v_add_nc_u32_e32 v52, 1, v64
	v_cndmask_b32_e64 v30, v30, v64, s7
	s_delay_alu instid0(VALU_DEP_2) | instskip(NEXT) | instid1(VALU_DEP_1)
	v_cndmask_b32_e64 v20, v52, v20, s7
	v_cmp_ge_u32_e64 s7, v20, v30
	s_delay_alu instid0(VALU_DEP_1) | instskip(NEXT) | instid1(SALU_CYCLE_1)
	s_or_b32 s9, s7, s9
	s_and_not1_b32 exec_lo, exec_lo, s9
	s_cbranch_execnz .LBB1238_205
; %bb.206:
	s_set_inst_prefetch_distance 0x2
	s_or_b32 exec_lo, exec_lo, s9
.LBB1238_207:
	s_delay_alu instid0(SALU_CYCLE_1) | instskip(SKIP_2) | instid1(VALU_DEP_2)
	s_or_b32 exec_lo, exec_lo, s8
	v_add_nc_u32_e32 v17, v80, v17
	v_add_nc_u32_e32 v30, v20, v16
	v_sub_nc_u32_e32 v31, v17, v20
	s_delay_alu instid0(VALU_DEP_2) | instskip(NEXT) | instid1(VALU_DEP_2)
	v_cmp_le_u32_e64 s7, v30, v80
	v_cmp_le_u32_e64 s8, v31, v85
	s_delay_alu instid0(VALU_DEP_1) | instskip(NEXT) | instid1(SALU_CYCLE_1)
	s_or_b32 s7, s7, s8
	s_and_saveexec_b32 s9, s7
	s_cbranch_execz .LBB1238_243
; %bb.208:
	v_cmp_ge_u32_e64 s7, v30, v80
	s_mov_b32 s10, exec_lo
                                        ; implicit-def: $vgpr16_vgpr17
	v_cmpx_lt_u32_e64 v30, v80
	s_cbranch_execz .LBB1238_210
; %bb.209:
	v_lshl_add_u32 v0, v20, 3, v21
	ds_load_b64 v[16:17], v0
.LBB1238_210:
	s_or_b32 exec_lo, exec_lo, s10
	v_cmp_ge_u32_e64 s10, v31, v85
	s_mov_b32 s11, exec_lo
                                        ; implicit-def: $vgpr20_vgpr21
	v_cmpx_lt_u32_e64 v31, v85
	s_cbranch_execz .LBB1238_212
; %bb.211:
	v_lshl_add_u32 v0, v31, 3, v81
	ds_load_b64 v[20:21], v0
.LBB1238_212:
	s_or_b32 exec_lo, exec_lo, s11
	s_or_b32 s7, s7, s10
	s_mov_b32 s8, -1
	s_xor_b32 s7, s7, -1
	s_delay_alu instid0(SALU_CYCLE_1)
	s_and_saveexec_b32 s11, s7
	s_cbranch_execz .LBB1238_214
; %bb.213:
	s_waitcnt lgkmcnt(0)
	v_add_f64 v[0:1], v[16:17], 0
	v_add_f64 v[4:5], v[20:21], 0
	s_and_not1_b32 s10, s10, exec_lo
	s_delay_alu instid0(VALU_DEP_2) | instskip(NEXT) | instid1(VALU_DEP_2)
	v_ashrrev_i32_e32 v8, 31, v1
	v_ashrrev_i32_e32 v9, 31, v5
	s_delay_alu instid0(VALU_DEP_2) | instskip(NEXT) | instid1(VALU_DEP_2)
	v_or_b32_e32 v10, 0x80000000, v8
	v_or_b32_e32 v11, 0x80000000, v9
	v_xor_b32_e32 v0, v8, v0
	v_xor_b32_e32 v4, v9, v4
	s_delay_alu instid0(VALU_DEP_4) | instskip(NEXT) | instid1(VALU_DEP_4)
	v_xor_b32_e32 v1, v10, v1
	v_xor_b32_e32 v5, v11, v5
	s_delay_alu instid0(VALU_DEP_1) | instskip(NEXT) | instid1(VALU_DEP_1)
	v_cmp_le_u64_e64 s7, v[0:1], v[4:5]
	s_and_b32 s7, s7, exec_lo
	s_delay_alu instid0(SALU_CYCLE_1)
	s_or_b32 s10, s10, s7
.LBB1238_214:
	s_or_b32 exec_lo, exec_lo, s11
	v_cndmask_b32_e64 v0, v31, v30, s10
	v_cndmask_b32_e64 v1, v85, v80, s10
	s_mov_b32 s11, exec_lo
	s_delay_alu instid0(VALU_DEP_2) | instskip(NEXT) | instid1(VALU_DEP_2)
	v_add_nc_u32_e32 v5, 1, v0
	v_add_nc_u32_e32 v1, -1, v1
	v_lshl_add_u32 v0, v0, 3, v81
	s_delay_alu instid0(VALU_DEP_3) | instskip(NEXT) | instid1(VALU_DEP_3)
	v_cndmask_b32_e64 v4, v5, v31, s10
	v_min_u32_e32 v1, v5, v1
	v_cndmask_b32_e64 v5, v30, v5, s10
	s_delay_alu instid0(VALU_DEP_2)
	v_lshl_add_u32 v1, v1, 3, v81
	ds_load_b64 v[8:9], v1
	ds_load_b64 v[0:1], v0 offset:16384
	s_waitcnt lgkmcnt(1)
	v_cndmask_b32_e64 v27, v9, v21, s10
	v_cndmask_b32_e64 v26, v8, v20, s10
	;; [unrolled: 1-line block ×4, first 2 shown]
	v_cmpx_lt_u32_e64 v4, v85
	s_cbranch_execz .LBB1238_218
; %bb.215:
	s_mov_b32 s12, 0
	s_mov_b32 s8, exec_lo
	v_cmpx_lt_u32_e64 v5, v80
	s_cbranch_execz .LBB1238_217
; %bb.216:
	v_add_f64 v[8:9], v[28:29], 0
	v_add_f64 v[10:11], v[26:27], 0
	s_delay_alu instid0(VALU_DEP_2) | instskip(NEXT) | instid1(VALU_DEP_2)
	v_ashrrev_i32_e32 v12, 31, v9
	v_ashrrev_i32_e32 v13, 31, v11
	s_delay_alu instid0(VALU_DEP_2) | instskip(NEXT) | instid1(VALU_DEP_2)
	v_or_b32_e32 v14, 0x80000000, v12
	v_or_b32_e32 v15, 0x80000000, v13
	v_xor_b32_e32 v8, v12, v8
	v_xor_b32_e32 v10, v13, v10
	s_delay_alu instid0(VALU_DEP_4) | instskip(NEXT) | instid1(VALU_DEP_4)
	v_xor_b32_e32 v9, v14, v9
	v_xor_b32_e32 v11, v15, v11
	s_delay_alu instid0(VALU_DEP_1) | instskip(NEXT) | instid1(VALU_DEP_1)
	v_cmp_le_u64_e64 s7, v[8:9], v[10:11]
	s_and_b32 s12, s7, exec_lo
.LBB1238_217:
	s_or_b32 exec_lo, exec_lo, s8
	s_delay_alu instid0(SALU_CYCLE_1)
	s_or_not1_b32 s8, s12, exec_lo
.LBB1238_218:
	s_or_b32 exec_lo, exec_lo, s11
	v_cndmask_b32_e64 v8, v4, v5, s8
	v_cndmask_b32_e64 v9, v85, v80, s8
	s_mov_b32 s12, -1
	s_mov_b32 s11, -1
	s_mov_b32 s13, exec_lo
	v_add_nc_u32_e32 v14, 1, v8
	v_add_nc_u32_e32 v9, -1, v9
	v_lshl_add_u32 v8, v8, 3, v81
	s_delay_alu instid0(VALU_DEP_2)
	v_min_u32_e32 v9, v14, v9
	ds_load_b64 v[10:11], v8 offset:16384
	v_cndmask_b32_e64 v8, v14, v4, s8
	v_lshl_add_u32 v9, v9, 3, v81
	ds_load_b64 v[12:13], v9
	v_cndmask_b32_e64 v9, v5, v14, s8
	s_waitcnt lgkmcnt(0)
	v_cndmask_b32_e64 v31, v13, v27, s8
	v_cndmask_b32_e64 v30, v12, v26, s8
	v_cndmask_b32_e64 v35, v29, v13, s8
	v_cndmask_b32_e64 v34, v28, v12, s8
	v_cmpx_lt_u32_e64 v8, v85
	s_cbranch_execz .LBB1238_222
; %bb.219:
	s_mov_b32 s14, 0
	s_mov_b32 s11, exec_lo
	v_cmpx_lt_u32_e64 v9, v80
	s_cbranch_execz .LBB1238_221
; %bb.220:
	v_add_f64 v[4:5], v[34:35], 0
	v_add_f64 v[12:13], v[30:31], 0
	s_delay_alu instid0(VALU_DEP_2) | instskip(NEXT) | instid1(VALU_DEP_2)
	v_ashrrev_i32_e32 v14, 31, v5
	v_ashrrev_i32_e32 v15, 31, v13
	s_delay_alu instid0(VALU_DEP_2) | instskip(NEXT) | instid1(VALU_DEP_2)
	v_or_b32_e32 v18, 0x80000000, v14
	v_or_b32_e32 v19, 0x80000000, v15
	v_xor_b32_e32 v4, v14, v4
	v_xor_b32_e32 v12, v15, v12
	s_delay_alu instid0(VALU_DEP_4) | instskip(NEXT) | instid1(VALU_DEP_4)
	v_xor_b32_e32 v5, v18, v5
	v_xor_b32_e32 v13, v19, v13
	s_delay_alu instid0(VALU_DEP_1) | instskip(NEXT) | instid1(VALU_DEP_1)
	v_cmp_le_u64_e64 s7, v[4:5], v[12:13]
	s_and_b32 s14, s7, exec_lo
.LBB1238_221:
	s_or_b32 exec_lo, exec_lo, s11
	s_delay_alu instid0(SALU_CYCLE_1)
	s_or_not1_b32 s11, s14, exec_lo
.LBB1238_222:
	s_or_b32 exec_lo, exec_lo, s13
	v_cndmask_b32_e64 v4, v8, v9, s11
	v_cndmask_b32_e64 v5, v85, v80, s11
	s_mov_b32 s13, exec_lo
	s_delay_alu instid0(VALU_DEP_2) | instskip(NEXT) | instid1(VALU_DEP_2)
	v_add_nc_u32_e32 v14, 1, v4
	v_add_nc_u32_e32 v5, -1, v5
	v_lshl_add_u32 v4, v4, 3, v81
	s_delay_alu instid0(VALU_DEP_3) | instskip(NEXT) | instid1(VALU_DEP_3)
	v_cndmask_b32_e64 v8, v14, v8, s11
	v_min_u32_e32 v5, v14, v5
	v_cndmask_b32_e64 v9, v9, v14, s11
	s_delay_alu instid0(VALU_DEP_2)
	v_lshl_add_u32 v5, v5, 3, v81
	ds_load_b64 v[12:13], v5
	ds_load_b64 v[4:5], v4 offset:16384
	s_waitcnt lgkmcnt(1)
	v_cndmask_b32_e64 v37, v13, v31, s11
	v_cndmask_b32_e64 v36, v12, v30, s11
	;; [unrolled: 1-line block ×4, first 2 shown]
	v_cmpx_lt_u32_e64 v8, v85
	s_cbranch_execz .LBB1238_226
; %bb.223:
	s_mov_b32 s14, 0
	s_mov_b32 s12, exec_lo
	v_cmpx_lt_u32_e64 v9, v80
	s_cbranch_execz .LBB1238_225
; %bb.224:
	v_add_f64 v[12:13], v[50:51], 0
	v_add_f64 v[14:15], v[36:37], 0
	s_delay_alu instid0(VALU_DEP_2) | instskip(NEXT) | instid1(VALU_DEP_2)
	v_ashrrev_i32_e32 v18, 31, v13
	v_ashrrev_i32_e32 v19, 31, v15
	s_delay_alu instid0(VALU_DEP_2) | instskip(NEXT) | instid1(VALU_DEP_2)
	v_or_b32_e32 v22, 0x80000000, v18
	v_or_b32_e32 v23, 0x80000000, v19
	v_xor_b32_e32 v12, v18, v12
	v_xor_b32_e32 v14, v19, v14
	s_delay_alu instid0(VALU_DEP_4) | instskip(NEXT) | instid1(VALU_DEP_4)
	v_xor_b32_e32 v13, v22, v13
	v_xor_b32_e32 v15, v23, v15
	s_delay_alu instid0(VALU_DEP_1) | instskip(NEXT) | instid1(VALU_DEP_1)
	v_cmp_le_u64_e64 s7, v[12:13], v[14:15]
	s_and_b32 s14, s7, exec_lo
.LBB1238_225:
	s_or_b32 exec_lo, exec_lo, s12
	s_delay_alu instid0(SALU_CYCLE_1)
	s_or_not1_b32 s12, s14, exec_lo
.LBB1238_226:
	s_or_b32 exec_lo, exec_lo, s13
	v_cndmask_b32_e64 v12, v8, v9, s12
	v_cndmask_b32_e64 v13, v85, v80, s12
	s_mov_b32 s14, -1
	s_mov_b32 s13, -1
	s_mov_b32 s15, exec_lo
	v_add_nc_u32_e32 v22, 1, v12
	v_add_nc_u32_e32 v13, -1, v13
	v_lshl_add_u32 v12, v12, 3, v81
	s_delay_alu instid0(VALU_DEP_2)
	v_min_u32_e32 v13, v22, v13
	ds_load_b64 v[14:15], v12 offset:16384
	v_cndmask_b32_e64 v12, v22, v8, s12
	v_lshl_add_u32 v13, v13, 3, v81
	ds_load_b64 v[18:19], v13
	v_cndmask_b32_e64 v13, v9, v22, s12
	s_waitcnt lgkmcnt(0)
	v_cndmask_b32_e64 v39, v19, v37, s12
	v_cndmask_b32_e64 v38, v18, v36, s12
	v_cndmask_b32_e64 v53, v51, v19, s12
	v_cndmask_b32_e64 v52, v50, v18, s12
	v_cmpx_lt_u32_e64 v12, v85
	s_cbranch_execz .LBB1238_230
; %bb.227:
	s_mov_b32 s16, 0
	s_mov_b32 s13, exec_lo
	v_cmpx_lt_u32_e64 v13, v80
	s_cbranch_execz .LBB1238_229
; %bb.228:
	v_add_f64 v[8:9], v[52:53], 0
	v_add_f64 v[18:19], v[38:39], 0
	s_delay_alu instid0(VALU_DEP_2) | instskip(NEXT) | instid1(VALU_DEP_2)
	v_ashrrev_i32_e32 v22, 31, v9
	v_ashrrev_i32_e32 v23, 31, v19
	s_delay_alu instid0(VALU_DEP_2) | instskip(NEXT) | instid1(VALU_DEP_2)
	v_or_b32_e32 v32, 0x80000000, v22
	v_or_b32_e32 v33, 0x80000000, v23
	v_xor_b32_e32 v8, v22, v8
	v_xor_b32_e32 v18, v23, v18
	s_delay_alu instid0(VALU_DEP_4) | instskip(NEXT) | instid1(VALU_DEP_4)
	v_xor_b32_e32 v9, v32, v9
	v_xor_b32_e32 v19, v33, v19
	s_delay_alu instid0(VALU_DEP_1) | instskip(NEXT) | instid1(VALU_DEP_1)
	v_cmp_le_u64_e64 s7, v[8:9], v[18:19]
	s_and_b32 s16, s7, exec_lo
.LBB1238_229:
	s_or_b32 exec_lo, exec_lo, s13
	s_delay_alu instid0(SALU_CYCLE_1)
	s_or_not1_b32 s13, s16, exec_lo
.LBB1238_230:
	s_or_b32 exec_lo, exec_lo, s15
	v_cndmask_b32_e64 v8, v12, v13, s13
	v_cndmask_b32_e64 v9, v85, v80, s13
	s_mov_b32 s15, exec_lo
	s_delay_alu instid0(VALU_DEP_2) | instskip(NEXT) | instid1(VALU_DEP_2)
	v_add_nc_u32_e32 v22, 1, v8
	v_add_nc_u32_e32 v9, -1, v9
	v_lshl_add_u32 v8, v8, 3, v81
	s_delay_alu instid0(VALU_DEP_3) | instskip(NEXT) | instid1(VALU_DEP_3)
	v_cndmask_b32_e64 v12, v22, v12, s13
	v_min_u32_e32 v9, v22, v9
	v_cndmask_b32_e64 v13, v13, v22, s13
	s_delay_alu instid0(VALU_DEP_2)
	v_lshl_add_u32 v9, v9, 3, v81
	ds_load_b64 v[18:19], v9
	ds_load_b64 v[8:9], v8 offset:16384
	s_waitcnt lgkmcnt(1)
	v_cndmask_b32_e64 v33, v19, v39, s13
	v_cndmask_b32_e64 v32, v18, v38, s13
	;; [unrolled: 1-line block ×4, first 2 shown]
	v_cmpx_lt_u32_e64 v12, v85
	s_cbranch_execz .LBB1238_234
; %bb.231:
	s_mov_b32 s16, 0
	s_mov_b32 s14, exec_lo
	v_cmpx_lt_u32_e64 v13, v80
	s_cbranch_execz .LBB1238_233
; %bb.232:
	v_add_f64 v[18:19], v[54:55], 0
	v_add_f64 v[22:23], v[32:33], 0
	s_delay_alu instid0(VALU_DEP_2) | instskip(NEXT) | instid1(VALU_DEP_2)
	v_ashrrev_i32_e32 v48, 31, v19
	v_ashrrev_i32_e32 v49, 31, v23
	s_delay_alu instid0(VALU_DEP_2) | instskip(NEXT) | instid1(VALU_DEP_2)
	v_or_b32_e32 v64, 0x80000000, v48
	v_or_b32_e32 v65, 0x80000000, v49
	v_xor_b32_e32 v18, v48, v18
	v_xor_b32_e32 v22, v49, v22
	s_delay_alu instid0(VALU_DEP_4) | instskip(NEXT) | instid1(VALU_DEP_4)
	v_xor_b32_e32 v19, v64, v19
	v_xor_b32_e32 v23, v65, v23
	s_delay_alu instid0(VALU_DEP_1) | instskip(NEXT) | instid1(VALU_DEP_1)
	v_cmp_le_u64_e64 s7, v[18:19], v[22:23]
	s_and_b32 s16, s7, exec_lo
.LBB1238_233:
	s_or_b32 exec_lo, exec_lo, s14
	s_delay_alu instid0(SALU_CYCLE_1)
	s_or_not1_b32 s14, s16, exec_lo
.LBB1238_234:
	s_or_b32 exec_lo, exec_lo, s15
	v_cndmask_b32_e64 v18, v12, v13, s14
	v_cndmask_b32_e64 v19, v85, v80, s14
	s_mov_b32 s15, -1
	s_mov_b32 s16, -1
	s_mov_b32 s17, exec_lo
	v_add_nc_u32_e32 v23, 1, v18
	v_add_nc_u32_e32 v19, -1, v19
	v_lshl_add_u32 v18, v18, 3, v81
	s_delay_alu instid0(VALU_DEP_3) | instskip(NEXT) | instid1(VALU_DEP_3)
	v_cndmask_b32_e64 v22, v23, v12, s14
	v_min_u32_e32 v19, v23, v19
	v_cndmask_b32_e64 v23, v13, v23, s14
	s_delay_alu instid0(VALU_DEP_2)
	v_lshl_add_u32 v19, v19, 3, v81
	ds_load_b64 v[64:65], v19
	ds_load_b64 v[18:19], v18 offset:16384
	s_waitcnt lgkmcnt(1)
	v_cndmask_b32_e64 v49, v65, v33, s14
	v_cndmask_b32_e64 v48, v64, v32, s14
	;; [unrolled: 1-line block ×4, first 2 shown]
	v_cmpx_lt_u32_e64 v22, v85
	s_cbranch_execz .LBB1238_238
; %bb.235:
	s_mov_b32 s18, 0
	s_mov_b32 s16, exec_lo
	v_cmpx_lt_u32_e64 v23, v80
	s_cbranch_execz .LBB1238_237
; %bb.236:
	v_add_f64 v[12:13], v[64:65], 0
	v_add_f64 v[66:67], v[48:49], 0
	s_delay_alu instid0(VALU_DEP_2) | instskip(NEXT) | instid1(VALU_DEP_2)
	v_ashrrev_i32_e32 v68, 31, v13
	v_ashrrev_i32_e32 v69, 31, v67
	s_delay_alu instid0(VALU_DEP_2) | instskip(NEXT) | instid1(VALU_DEP_2)
	v_or_b32_e32 v71, 0x80000000, v68
	v_or_b32_e32 v82, 0x80000000, v69
	v_xor_b32_e32 v12, v68, v12
	v_xor_b32_e32 v66, v69, v66
	s_delay_alu instid0(VALU_DEP_4) | instskip(NEXT) | instid1(VALU_DEP_4)
	v_xor_b32_e32 v13, v71, v13
	v_xor_b32_e32 v67, v82, v67
	s_delay_alu instid0(VALU_DEP_1) | instskip(NEXT) | instid1(VALU_DEP_1)
	v_cmp_le_u64_e64 s7, v[12:13], v[66:67]
	s_and_b32 s18, s7, exec_lo
.LBB1238_237:
	s_or_b32 exec_lo, exec_lo, s16
	s_delay_alu instid0(SALU_CYCLE_1)
	s_or_not1_b32 s16, s18, exec_lo
.LBB1238_238:
	s_or_b32 exec_lo, exec_lo, s17
	v_cndmask_b32_e64 v12, v22, v23, s16
	v_cndmask_b32_e64 v13, v85, v80, s16
	s_mov_b32 s17, exec_lo
	s_delay_alu instid0(VALU_DEP_2) | instskip(NEXT) | instid1(VALU_DEP_2)
	v_add_nc_u32_e32 v66, 1, v12
	v_add_nc_u32_e32 v13, -1, v13
	v_lshl_add_u32 v12, v12, 3, v81
	s_delay_alu instid0(VALU_DEP_3) | instskip(NEXT) | instid1(VALU_DEP_3)
	v_cndmask_b32_e64 v22, v66, v22, s16
	v_min_u32_e32 v13, v66, v13
	v_cndmask_b32_e64 v23, v23, v66, s16
	s_delay_alu instid0(VALU_DEP_2)
	v_lshl_add_u32 v13, v13, 3, v81
	ds_load_b64 v[68:69], v13
	ds_load_b64 v[12:13], v12 offset:16384
	s_waitcnt lgkmcnt(1)
	v_cndmask_b32_e64 v67, v69, v49, s16
	v_cndmask_b32_e64 v66, v68, v48, s16
	;; [unrolled: 1-line block ×4, first 2 shown]
	v_cmpx_lt_u32_e64 v22, v85
	s_cbranch_execz .LBB1238_242
; %bb.239:
	s_mov_b32 s18, 0
	s_mov_b32 s15, exec_lo
	v_cmpx_lt_u32_e64 v23, v80
	s_cbranch_execz .LBB1238_241
; %bb.240:
	v_add_f64 v[82:83], v[68:69], 0
	v_add_f64 v[84:85], v[66:67], 0
	s_delay_alu instid0(VALU_DEP_2) | instskip(NEXT) | instid1(VALU_DEP_2)
	v_ashrrev_i32_e32 v71, 31, v83
	v_ashrrev_i32_e32 v80, 31, v85
	s_delay_alu instid0(VALU_DEP_2) | instskip(NEXT) | instid1(VALU_DEP_2)
	v_or_b32_e32 v86, 0x80000000, v71
	v_or_b32_e32 v87, 0x80000000, v80
	v_xor_b32_e32 v82, v71, v82
	v_xor_b32_e32 v84, v80, v84
	s_delay_alu instid0(VALU_DEP_4) | instskip(NEXT) | instid1(VALU_DEP_4)
	v_xor_b32_e32 v83, v86, v83
	v_xor_b32_e32 v85, v87, v85
	s_delay_alu instid0(VALU_DEP_1) | instskip(NEXT) | instid1(VALU_DEP_1)
	v_cmp_le_u64_e64 s7, v[82:83], v[84:85]
	s_and_b32 s18, s7, exec_lo
.LBB1238_241:
	s_or_b32 exec_lo, exec_lo, s15
	s_delay_alu instid0(SALU_CYCLE_1)
	s_or_not1_b32 s15, s18, exec_lo
.LBB1238_242:
	s_or_b32 exec_lo, exec_lo, s17
	v_cndmask_b32_e64 v22, v22, v23, s15
	v_cndmask_b32_e64 v49, v49, v65, s16
	;; [unrolled: 1-line block ×5, first 2 shown]
	v_lshl_add_u32 v22, v22, 3, v81
	v_cndmask_b32_e64 v39, v39, v53, s13
	v_cndmask_b32_e64 v38, v38, v52, s13
	;; [unrolled: 1-line block ×4, first 2 shown]
	ds_load_b64 v[22:23], v22 offset:16384
	v_cndmask_b32_e64 v37, v31, v35, s11
	v_cndmask_b32_e64 v36, v30, v34, s11
	;; [unrolled: 1-line block ×8, first 2 shown]
.LBB1238_243:
	s_or_b32 exec_lo, exec_lo, s9
	v_add_co_u32 v2, s7, v2, v24
	s_delay_alu instid0(VALU_DEP_1) | instskip(NEXT) | instid1(VALU_DEP_2)
	v_add_co_ci_u32_e64 v3, s7, v3, v25, s7
	v_add_co_u32 v2, s7, v2, v70
	s_delay_alu instid0(VALU_DEP_1)
	v_add_co_ci_u32_e64 v3, s7, 0, v3, s7
	; wave barrier
	s_waitcnt lgkmcnt(0)
	s_waitcnt_vscnt null, 0x0
	s_barrier
	buffer_gl0_inv
	; wave barrier
	s_and_saveexec_b32 s7, vcc_lo
	s_cbranch_execnz .LBB1238_268
; %bb.244:
	s_or_b32 exec_lo, exec_lo, s7
	s_and_saveexec_b32 s7, s0
	s_cbranch_execnz .LBB1238_269
.LBB1238_245:
	s_or_b32 exec_lo, exec_lo, s7
	s_and_saveexec_b32 s7, s1
	s_cbranch_execnz .LBB1238_270
.LBB1238_246:
	s_or_b32 exec_lo, exec_lo, s7
	s_and_saveexec_b32 s7, s2
	s_cbranch_execnz .LBB1238_271
.LBB1238_247:
	s_or_b32 exec_lo, exec_lo, s7
	s_and_saveexec_b32 s7, s3
	s_cbranch_execnz .LBB1238_272
.LBB1238_248:
	s_or_b32 exec_lo, exec_lo, s7
	s_and_saveexec_b32 s7, s4
	s_cbranch_execnz .LBB1238_273
.LBB1238_249:
	s_or_b32 exec_lo, exec_lo, s7
	s_and_saveexec_b32 s7, s5
	s_cbranch_execnz .LBB1238_274
.LBB1238_250:
	s_or_b32 exec_lo, exec_lo, s7
	s_and_saveexec_b32 s7, s6
	s_cbranch_execz .LBB1238_252
.LBB1238_251:
	flat_store_b64 v[2:3], v[28:29] offset:56
.LBB1238_252:
	s_or_b32 exec_lo, exec_lo, s7
	v_add_co_u32 v2, s7, v6, v24
	s_delay_alu instid0(VALU_DEP_1) | instskip(NEXT) | instid1(VALU_DEP_2)
	v_add_co_ci_u32_e64 v3, s7, v7, v25, s7
	v_add_co_u32 v2, s7, v2, v70
	s_delay_alu instid0(VALU_DEP_1)
	v_add_co_ci_u32_e64 v3, s7, 0, v3, s7
	; wave barrier
	s_and_saveexec_b32 s7, vcc_lo
	s_cbranch_execnz .LBB1238_275
; %bb.253:
	s_or_b32 exec_lo, exec_lo, s7
	s_and_saveexec_b32 s7, s0
	s_cbranch_execnz .LBB1238_276
.LBB1238_254:
	s_or_b32 exec_lo, exec_lo, s7
	s_and_saveexec_b32 s0, s1
	s_cbranch_execnz .LBB1238_277
.LBB1238_255:
	s_or_b32 exec_lo, exec_lo, s0
	s_and_saveexec_b32 s0, s2
	s_cbranch_execnz .LBB1238_278
.LBB1238_256:
	s_or_b32 exec_lo, exec_lo, s0
	s_and_saveexec_b32 s0, s3
	s_cbranch_execnz .LBB1238_279
.LBB1238_257:
	s_or_b32 exec_lo, exec_lo, s0
	s_and_saveexec_b32 s0, s4
	s_cbranch_execnz .LBB1238_280
.LBB1238_258:
	s_or_b32 exec_lo, exec_lo, s0
	s_and_saveexec_b32 s0, s5
	s_cbranch_execnz .LBB1238_281
.LBB1238_259:
	s_or_b32 exec_lo, exec_lo, s0
	s_and_saveexec_b32 s0, s6
	s_cbranch_execnz .LBB1238_282
.LBB1238_260:
	s_or_b32 exec_lo, exec_lo, s0
	s_waitcnt lgkmcnt(0)
	s_setpc_b64 s[30:31]
.LBB1238_261:
	flat_load_b64 v[0:1], v[52:53]
	s_or_b32 exec_lo, exec_lo, s7
	s_and_saveexec_b32 s7, s0
                                        ; implicit-def: $vgpr8_vgpr9_vgpr10_vgpr11
	s_cbranch_execz .LBB1238_18
.LBB1238_262:
	flat_load_b64 v[10:11], v[52:53] offset:8
	s_or_b32 exec_lo, exec_lo, s7
                                        ; implicit-def: $vgpr4_vgpr5
	s_and_saveexec_b32 s7, s1
	s_cbranch_execz .LBB1238_19
.LBB1238_263:
	flat_load_b64 v[4:5], v[52:53] offset:16
	s_or_b32 exec_lo, exec_lo, s7
	s_and_saveexec_b32 s7, s2
                                        ; implicit-def: $vgpr12_vgpr13_vgpr14_vgpr15
	s_cbranch_execz .LBB1238_20
.LBB1238_264:
	flat_load_b64 v[14:15], v[52:53] offset:24
	s_or_b32 exec_lo, exec_lo, s7
                                        ; implicit-def: $vgpr8_vgpr9
	s_and_saveexec_b32 s7, s3
	s_cbranch_execz .LBB1238_21
.LBB1238_265:
	flat_load_b64 v[8:9], v[52:53] offset:32
	s_or_b32 exec_lo, exec_lo, s7
	s_and_saveexec_b32 s7, s4
                                        ; implicit-def: $vgpr16_vgpr17_vgpr18_vgpr19
	s_cbranch_execz .LBB1238_22
.LBB1238_266:
	flat_load_b64 v[18:19], v[52:53] offset:40
	s_or_b32 exec_lo, exec_lo, s7
                                        ; implicit-def: $vgpr12_vgpr13
	s_and_saveexec_b32 s7, s5
	s_cbranch_execz .LBB1238_23
.LBB1238_267:
	flat_load_b64 v[12:13], v[52:53] offset:48
	s_or_b32 exec_lo, exec_lo, s7
	s_and_saveexec_b32 s7, s6
                                        ; implicit-def: $vgpr20_vgpr21_vgpr22_vgpr23
	s_cbranch_execnz .LBB1238_24
	s_branch .LBB1238_25
.LBB1238_268:
	flat_store_b64 v[2:3], v[26:27]
	s_or_b32 exec_lo, exec_lo, s7
	s_and_saveexec_b32 s7, s0
	s_cbranch_execz .LBB1238_245
.LBB1238_269:
	flat_store_b64 v[2:3], v[34:35] offset:8
	s_or_b32 exec_lo, exec_lo, s7
	s_and_saveexec_b32 s7, s1
	s_cbranch_execz .LBB1238_246
.LBB1238_270:
	flat_store_b64 v[2:3], v[36:37] offset:16
	s_or_b32 exec_lo, exec_lo, s7
	s_and_saveexec_b32 s7, s2
	s_cbranch_execz .LBB1238_247
.LBB1238_271:
	flat_store_b64 v[2:3], v[50:51] offset:24
	s_or_b32 exec_lo, exec_lo, s7
	s_and_saveexec_b32 s7, s3
	s_cbranch_execz .LBB1238_248
.LBB1238_272:
	flat_store_b64 v[2:3], v[38:39] offset:32
	s_or_b32 exec_lo, exec_lo, s7
	s_and_saveexec_b32 s7, s4
	s_cbranch_execz .LBB1238_249
.LBB1238_273:
	flat_store_b64 v[2:3], v[32:33] offset:40
	s_or_b32 exec_lo, exec_lo, s7
	s_and_saveexec_b32 s7, s5
	s_cbranch_execz .LBB1238_250
.LBB1238_274:
	flat_store_b64 v[2:3], v[48:49] offset:48
	s_or_b32 exec_lo, exec_lo, s7
	s_and_saveexec_b32 s7, s6
	s_cbranch_execnz .LBB1238_251
	s_branch .LBB1238_252
.LBB1238_275:
	flat_store_b64 v[2:3], v[0:1]
	s_or_b32 exec_lo, exec_lo, s7
	s_and_saveexec_b32 s7, s0
	s_cbranch_execz .LBB1238_254
.LBB1238_276:
	flat_store_b64 v[2:3], v[10:11] offset:8
	s_or_b32 exec_lo, exec_lo, s7
	s_and_saveexec_b32 s0, s1
	s_cbranch_execz .LBB1238_255
.LBB1238_277:
	flat_store_b64 v[2:3], v[4:5] offset:16
	s_or_b32 exec_lo, exec_lo, s0
	s_and_saveexec_b32 s0, s2
	s_cbranch_execz .LBB1238_256
.LBB1238_278:
	flat_store_b64 v[2:3], v[14:15] offset:24
	s_or_b32 exec_lo, exec_lo, s0
	s_and_saveexec_b32 s0, s3
	s_cbranch_execz .LBB1238_257
.LBB1238_279:
	flat_store_b64 v[2:3], v[8:9] offset:32
	s_or_b32 exec_lo, exec_lo, s0
	s_and_saveexec_b32 s0, s4
	s_cbranch_execz .LBB1238_258
.LBB1238_280:
	flat_store_b64 v[2:3], v[18:19] offset:40
	s_or_b32 exec_lo, exec_lo, s0
	s_and_saveexec_b32 s0, s5
	s_cbranch_execz .LBB1238_259
.LBB1238_281:
	flat_store_b64 v[2:3], v[12:13] offset:48
	s_or_b32 exec_lo, exec_lo, s0
	s_and_saveexec_b32 s0, s6
	s_cbranch_execz .LBB1238_260
.LBB1238_282:
	flat_store_b64 v[2:3], v[22:23] offset:56
	s_or_b32 exec_lo, exec_lo, s0
	s_waitcnt lgkmcnt(0)
	s_setpc_b64 s[30:31]
.Lfunc_end1238:
	.size	_ZN7rocprim17ROCPRIM_400000_NS6detail26segmented_warp_sort_helperINS1_20WarpSortHelperConfigILj16ELj8ELj256EEEdlLi256ELb0EvE4sortIPKdPdPKlPlEEvT_T0_T1_T2_jjjjRNS5_12storage_typeE, .Lfunc_end1238-_ZN7rocprim17ROCPRIM_400000_NS6detail26segmented_warp_sort_helperINS1_20WarpSortHelperConfigILj16ELj8ELj256EEEdlLi256ELb0EvE4sortIPKdPdPKlPlEEvT_T0_T1_T2_jjjjRNS5_12storage_typeE
                                        ; -- End function
	.section	.AMDGPU.csdata,"",@progbits
; Function info:
; codeLenInByte = 15896
; NumSgprs: 34
; NumVgprs: 101
; ScratchSize: 0
; MemoryBound: 0
	.section	.text._ZN7rocprim17ROCPRIM_400000_NS6detail17trampoline_kernelINS0_14default_configENS1_36segmented_radix_sort_config_selectorIdlEEZNS1_25segmented_radix_sort_implIS3_Lb0EPKdPdPKlPlN2at6native12_GLOBAL__N_18offset_tEEE10hipError_tPvRmT1_PNSt15iterator_traitsISK_E10value_typeET2_T3_PNSL_ISQ_E10value_typeET4_jRbjT5_SW_jjP12ihipStream_tbEUlT_E0_NS1_11comp_targetILNS1_3genE9ELNS1_11target_archE1100ELNS1_3gpuE3ELNS1_3repE0EEENS1_60segmented_radix_sort_warp_sort_medium_config_static_selectorELNS0_4arch9wavefront6targetE0EEEvSK_,"axG",@progbits,_ZN7rocprim17ROCPRIM_400000_NS6detail17trampoline_kernelINS0_14default_configENS1_36segmented_radix_sort_config_selectorIdlEEZNS1_25segmented_radix_sort_implIS3_Lb0EPKdPdPKlPlN2at6native12_GLOBAL__N_18offset_tEEE10hipError_tPvRmT1_PNSt15iterator_traitsISK_E10value_typeET2_T3_PNSL_ISQ_E10value_typeET4_jRbjT5_SW_jjP12ihipStream_tbEUlT_E0_NS1_11comp_targetILNS1_3genE9ELNS1_11target_archE1100ELNS1_3gpuE3ELNS1_3repE0EEENS1_60segmented_radix_sort_warp_sort_medium_config_static_selectorELNS0_4arch9wavefront6targetE0EEEvSK_,comdat
	.globl	_ZN7rocprim17ROCPRIM_400000_NS6detail17trampoline_kernelINS0_14default_configENS1_36segmented_radix_sort_config_selectorIdlEEZNS1_25segmented_radix_sort_implIS3_Lb0EPKdPdPKlPlN2at6native12_GLOBAL__N_18offset_tEEE10hipError_tPvRmT1_PNSt15iterator_traitsISK_E10value_typeET2_T3_PNSL_ISQ_E10value_typeET4_jRbjT5_SW_jjP12ihipStream_tbEUlT_E0_NS1_11comp_targetILNS1_3genE9ELNS1_11target_archE1100ELNS1_3gpuE3ELNS1_3repE0EEENS1_60segmented_radix_sort_warp_sort_medium_config_static_selectorELNS0_4arch9wavefront6targetE0EEEvSK_ ; -- Begin function _ZN7rocprim17ROCPRIM_400000_NS6detail17trampoline_kernelINS0_14default_configENS1_36segmented_radix_sort_config_selectorIdlEEZNS1_25segmented_radix_sort_implIS3_Lb0EPKdPdPKlPlN2at6native12_GLOBAL__N_18offset_tEEE10hipError_tPvRmT1_PNSt15iterator_traitsISK_E10value_typeET2_T3_PNSL_ISQ_E10value_typeET4_jRbjT5_SW_jjP12ihipStream_tbEUlT_E0_NS1_11comp_targetILNS1_3genE9ELNS1_11target_archE1100ELNS1_3gpuE3ELNS1_3repE0EEENS1_60segmented_radix_sort_warp_sort_medium_config_static_selectorELNS0_4arch9wavefront6targetE0EEEvSK_
	.p2align	8
	.type	_ZN7rocprim17ROCPRIM_400000_NS6detail17trampoline_kernelINS0_14default_configENS1_36segmented_radix_sort_config_selectorIdlEEZNS1_25segmented_radix_sort_implIS3_Lb0EPKdPdPKlPlN2at6native12_GLOBAL__N_18offset_tEEE10hipError_tPvRmT1_PNSt15iterator_traitsISK_E10value_typeET2_T3_PNSL_ISQ_E10value_typeET4_jRbjT5_SW_jjP12ihipStream_tbEUlT_E0_NS1_11comp_targetILNS1_3genE9ELNS1_11target_archE1100ELNS1_3gpuE3ELNS1_3repE0EEENS1_60segmented_radix_sort_warp_sort_medium_config_static_selectorELNS0_4arch9wavefront6targetE0EEEvSK_,@function
_ZN7rocprim17ROCPRIM_400000_NS6detail17trampoline_kernelINS0_14default_configENS1_36segmented_radix_sort_config_selectorIdlEEZNS1_25segmented_radix_sort_implIS3_Lb0EPKdPdPKlPlN2at6native12_GLOBAL__N_18offset_tEEE10hipError_tPvRmT1_PNSt15iterator_traitsISK_E10value_typeET2_T3_PNSL_ISQ_E10value_typeET4_jRbjT5_SW_jjP12ihipStream_tbEUlT_E0_NS1_11comp_targetILNS1_3genE9ELNS1_11target_archE1100ELNS1_3gpuE3ELNS1_3repE0EEENS1_60segmented_radix_sort_warp_sort_medium_config_static_selectorELNS0_4arch9wavefront6targetE0EEEvSK_: ; @_ZN7rocprim17ROCPRIM_400000_NS6detail17trampoline_kernelINS0_14default_configENS1_36segmented_radix_sort_config_selectorIdlEEZNS1_25segmented_radix_sort_implIS3_Lb0EPKdPdPKlPlN2at6native12_GLOBAL__N_18offset_tEEE10hipError_tPvRmT1_PNSt15iterator_traitsISK_E10value_typeET2_T3_PNSL_ISQ_E10value_typeET4_jRbjT5_SW_jjP12ihipStream_tbEUlT_E0_NS1_11comp_targetILNS1_3genE9ELNS1_11target_archE1100ELNS1_3gpuE3ELNS1_3repE0EEENS1_60segmented_radix_sort_warp_sort_medium_config_static_selectorELNS0_4arch9wavefront6targetE0EEEvSK_
; %bb.0:
	s_load_b32 s2, s[0:1], 0x64
	v_bfe_u32 v1, v0, 10, 10
	v_bfe_u32 v2, v0, 20, 10
	s_mov_b32 s32, 0
	s_waitcnt lgkmcnt(0)
	s_lshr_b32 s3, s2, 16
	s_and_b32 s2, s2, 0xffff
	v_mad_u32_u24 v4, v2, s3, v1
	v_and_b32_e32 v1, 0x3ff, v0
	s_load_b32 s3, s[0:1], 0x34
	s_delay_alu instid0(VALU_DEP_1) | instskip(SKIP_1) | instid1(VALU_DEP_1)
	v_mad_u64_u32 v[2:3], null, v4, s2, v[1:2]
	s_mov_b32 s2, exec_lo
	v_lshrrev_b32_e32 v1, 4, v2
	s_delay_alu instid0(VALU_DEP_1) | instskip(SKIP_1) | instid1(VALU_DEP_1)
	v_lshl_add_u32 v1, s14, 4, v1
	s_waitcnt lgkmcnt(0)
	v_cmpx_gt_u32_e64 s3, v1
	s_cbranch_execz .LBB1239_6
; %bb.1:
	s_clause 0x1
	s_load_b64 s[2:3], s[0:1], 0x38
	s_load_b128 s[4:7], s[0:1], 0x40
	v_mov_b32_e32 v2, 0
	s_delay_alu instid0(VALU_DEP_1) | instskip(SKIP_1) | instid1(VALU_DEP_1)
	v_lshlrev_b64 v[1:2], 2, v[1:2]
	s_waitcnt lgkmcnt(0)
	v_add_co_u32 v1, vcc_lo, s2, v1
	s_delay_alu instid0(VALU_DEP_2) | instskip(SKIP_4) | instid1(VALU_DEP_2)
	v_add_co_ci_u32_e32 v2, vcc_lo, s3, v2, vcc_lo
	global_load_b32 v1, v[1:2], off
	s_waitcnt vmcnt(0)
	v_add_nc_u32_e32 v2, s5, v1
	v_add_nc_u32_e32 v1, s7, v1
	v_mul_lo_u32 v40, v2, s4
	s_delay_alu instid0(VALU_DEP_2) | instskip(NEXT) | instid1(VALU_DEP_1)
	v_mul_lo_u32 v41, v1, s6
	v_cmp_gt_u32_e32 vcc_lo, v41, v40
	s_and_b32 exec_lo, exec_lo, vcc_lo
	s_cbranch_execz .LBB1239_6
; %bb.2:
	s_clause 0x2
	s_load_b32 s2, s[0:1], 0x30
	s_load_b128 s[36:39], s[0:1], 0x20
	s_load_b256 s[20:27], s[0:1], 0x0
	s_waitcnt lgkmcnt(0)
	s_bitcmp0_b32 s2, 0
	s_mov_b32 s2, -1
	s_cbranch_scc0 .LBB1239_4
; %bb.3:
	v_mov_b32_e32 v31, v0
	v_dual_mov_b32 v42, v0 :: v_dual_mov_b32 v1, s21
	v_mov_b32_e32 v0, s20
	v_dual_mov_b32 v2, s22 :: v_dual_mov_b32 v3, s23
	v_dual_mov_b32 v4, s26 :: v_dual_mov_b32 v5, s27
	;; [unrolled: 1-line block ×4, first 2 shown]
	s_add_u32 s8, s0, 0x58
	s_addc_u32 s9, s1, 0
	s_mov_b32 s12, s14
	s_mov_b32 s13, s15
	s_getpc_b64 s[2:3]
	s_add_u32 s2, s2, _ZN7rocprim17ROCPRIM_400000_NS6detail26segmented_warp_sort_helperINS1_20WarpSortHelperConfigILj16ELj8ELj256EEEdlLi256ELb0EvE4sortIPKdPdPKlPlEEvT_T0_T1_T2_jjjjRNS5_12storage_typeE@rel32@lo+4
	s_addc_u32 s3, s3, _ZN7rocprim17ROCPRIM_400000_NS6detail26segmented_warp_sort_helperINS1_20WarpSortHelperConfigILj16ELj8ELj256EEEdlLi256ELb0EvE4sortIPKdPdPKlPlEEvT_T0_T1_T2_jjjjRNS5_12storage_typeE@rel32@hi+12
	s_mov_b64 s[22:23], s[0:1]
	s_mov_b32 s19, s15
	s_mov_b32 s28, s14
	s_swappc_b64 s[30:31], s[2:3]
	v_mov_b32_e32 v0, v42
	s_mov_b32 s14, s28
	s_mov_b32 s15, s19
	s_mov_b64 s[0:1], s[22:23]
	s_mov_b32 s2, 0
.LBB1239_4:
	s_delay_alu instid0(SALU_CYCLE_1)
	s_and_not1_b32 vcc_lo, exec_lo, s2
	s_cbranch_vccnz .LBB1239_6
; %bb.5:
	v_dual_mov_b32 v31, v0 :: v_dual_mov_b32 v0, s20
	v_dual_mov_b32 v1, s21 :: v_dual_mov_b32 v2, s24
	;; [unrolled: 1-line block ×5, first 2 shown]
	v_mov_b32_e32 v9, v41
	s_add_u32 s8, s0, 0x58
	s_addc_u32 s9, s1, 0
	s_mov_b32 s12, s14
	s_mov_b32 s13, s15
	s_getpc_b64 s[0:1]
	s_add_u32 s0, s0, _ZN7rocprim17ROCPRIM_400000_NS6detail26segmented_warp_sort_helperINS1_20WarpSortHelperConfigILj16ELj8ELj256EEEdlLi256ELb0EvE4sortIPKdPdPKlPlEEvT_T0_T1_T2_jjjjRNS5_12storage_typeE@rel32@lo+4
	s_addc_u32 s1, s1, _ZN7rocprim17ROCPRIM_400000_NS6detail26segmented_warp_sort_helperINS1_20WarpSortHelperConfigILj16ELj8ELj256EEEdlLi256ELb0EvE4sortIPKdPdPKlPlEEvT_T0_T1_T2_jjjjRNS5_12storage_typeE@rel32@hi+12
	s_delay_alu instid0(SALU_CYCLE_1)
	s_swappc_b64 s[30:31], s[0:1]
.LBB1239_6:
	s_endpgm
	.section	.rodata,"a",@progbits
	.p2align	6, 0x0
	.amdhsa_kernel _ZN7rocprim17ROCPRIM_400000_NS6detail17trampoline_kernelINS0_14default_configENS1_36segmented_radix_sort_config_selectorIdlEEZNS1_25segmented_radix_sort_implIS3_Lb0EPKdPdPKlPlN2at6native12_GLOBAL__N_18offset_tEEE10hipError_tPvRmT1_PNSt15iterator_traitsISK_E10value_typeET2_T3_PNSL_ISQ_E10value_typeET4_jRbjT5_SW_jjP12ihipStream_tbEUlT_E0_NS1_11comp_targetILNS1_3genE9ELNS1_11target_archE1100ELNS1_3gpuE3ELNS1_3repE0EEENS1_60segmented_radix_sort_warp_sort_medium_config_static_selectorELNS0_4arch9wavefront6targetE0EEEvSK_
		.amdhsa_group_segment_fixed_size 32768
		.amdhsa_private_segment_fixed_size 0
		.amdhsa_kernarg_size 344
		.amdhsa_user_sgpr_count 14
		.amdhsa_user_sgpr_dispatch_ptr 0
		.amdhsa_user_sgpr_queue_ptr 0
		.amdhsa_user_sgpr_kernarg_segment_ptr 1
		.amdhsa_user_sgpr_dispatch_id 0
		.amdhsa_user_sgpr_private_segment_size 0
		.amdhsa_wavefront_size32 1
		.amdhsa_uses_dynamic_stack 0
		.amdhsa_enable_private_segment 0
		.amdhsa_system_sgpr_workgroup_id_x 1
		.amdhsa_system_sgpr_workgroup_id_y 1
		.amdhsa_system_sgpr_workgroup_id_z 0
		.amdhsa_system_sgpr_workgroup_info 0
		.amdhsa_system_vgpr_workitem_id 2
		.amdhsa_next_free_vgpr 101
		.amdhsa_next_free_sgpr 40
		.amdhsa_reserve_vcc 1
		.amdhsa_float_round_mode_32 0
		.amdhsa_float_round_mode_16_64 0
		.amdhsa_float_denorm_mode_32 3
		.amdhsa_float_denorm_mode_16_64 3
		.amdhsa_dx10_clamp 1
		.amdhsa_ieee_mode 1
		.amdhsa_fp16_overflow 0
		.amdhsa_workgroup_processor_mode 1
		.amdhsa_memory_ordered 1
		.amdhsa_forward_progress 0
		.amdhsa_shared_vgpr_count 0
		.amdhsa_exception_fp_ieee_invalid_op 0
		.amdhsa_exception_fp_denorm_src 0
		.amdhsa_exception_fp_ieee_div_zero 0
		.amdhsa_exception_fp_ieee_overflow 0
		.amdhsa_exception_fp_ieee_underflow 0
		.amdhsa_exception_fp_ieee_inexact 0
		.amdhsa_exception_int_div_zero 0
	.end_amdhsa_kernel
	.section	.text._ZN7rocprim17ROCPRIM_400000_NS6detail17trampoline_kernelINS0_14default_configENS1_36segmented_radix_sort_config_selectorIdlEEZNS1_25segmented_radix_sort_implIS3_Lb0EPKdPdPKlPlN2at6native12_GLOBAL__N_18offset_tEEE10hipError_tPvRmT1_PNSt15iterator_traitsISK_E10value_typeET2_T3_PNSL_ISQ_E10value_typeET4_jRbjT5_SW_jjP12ihipStream_tbEUlT_E0_NS1_11comp_targetILNS1_3genE9ELNS1_11target_archE1100ELNS1_3gpuE3ELNS1_3repE0EEENS1_60segmented_radix_sort_warp_sort_medium_config_static_selectorELNS0_4arch9wavefront6targetE0EEEvSK_,"axG",@progbits,_ZN7rocprim17ROCPRIM_400000_NS6detail17trampoline_kernelINS0_14default_configENS1_36segmented_radix_sort_config_selectorIdlEEZNS1_25segmented_radix_sort_implIS3_Lb0EPKdPdPKlPlN2at6native12_GLOBAL__N_18offset_tEEE10hipError_tPvRmT1_PNSt15iterator_traitsISK_E10value_typeET2_T3_PNSL_ISQ_E10value_typeET4_jRbjT5_SW_jjP12ihipStream_tbEUlT_E0_NS1_11comp_targetILNS1_3genE9ELNS1_11target_archE1100ELNS1_3gpuE3ELNS1_3repE0EEENS1_60segmented_radix_sort_warp_sort_medium_config_static_selectorELNS0_4arch9wavefront6targetE0EEEvSK_,comdat
.Lfunc_end1239:
	.size	_ZN7rocprim17ROCPRIM_400000_NS6detail17trampoline_kernelINS0_14default_configENS1_36segmented_radix_sort_config_selectorIdlEEZNS1_25segmented_radix_sort_implIS3_Lb0EPKdPdPKlPlN2at6native12_GLOBAL__N_18offset_tEEE10hipError_tPvRmT1_PNSt15iterator_traitsISK_E10value_typeET2_T3_PNSL_ISQ_E10value_typeET4_jRbjT5_SW_jjP12ihipStream_tbEUlT_E0_NS1_11comp_targetILNS1_3genE9ELNS1_11target_archE1100ELNS1_3gpuE3ELNS1_3repE0EEENS1_60segmented_radix_sort_warp_sort_medium_config_static_selectorELNS0_4arch9wavefront6targetE0EEEvSK_, .Lfunc_end1239-_ZN7rocprim17ROCPRIM_400000_NS6detail17trampoline_kernelINS0_14default_configENS1_36segmented_radix_sort_config_selectorIdlEEZNS1_25segmented_radix_sort_implIS3_Lb0EPKdPdPKlPlN2at6native12_GLOBAL__N_18offset_tEEE10hipError_tPvRmT1_PNSt15iterator_traitsISK_E10value_typeET2_T3_PNSL_ISQ_E10value_typeET4_jRbjT5_SW_jjP12ihipStream_tbEUlT_E0_NS1_11comp_targetILNS1_3genE9ELNS1_11target_archE1100ELNS1_3gpuE3ELNS1_3repE0EEENS1_60segmented_radix_sort_warp_sort_medium_config_static_selectorELNS0_4arch9wavefront6targetE0EEEvSK_
                                        ; -- End function
	.section	.AMDGPU.csdata,"",@progbits
; Kernel info:
; codeLenInByte = 500
; NumSgprs: 42
; NumVgprs: 101
; ScratchSize: 0
; MemoryBound: 0
; FloatMode: 240
; IeeeMode: 1
; LDSByteSize: 32768 bytes/workgroup (compile time only)
; SGPRBlocks: 5
; VGPRBlocks: 12
; NumSGPRsForWavesPerEU: 42
; NumVGPRsForWavesPerEU: 101
; Occupancy: 8
; WaveLimiterHint : 0
; COMPUTE_PGM_RSRC2:SCRATCH_EN: 0
; COMPUTE_PGM_RSRC2:USER_SGPR: 14
; COMPUTE_PGM_RSRC2:TRAP_HANDLER: 0
; COMPUTE_PGM_RSRC2:TGID_X_EN: 1
; COMPUTE_PGM_RSRC2:TGID_Y_EN: 1
; COMPUTE_PGM_RSRC2:TGID_Z_EN: 0
; COMPUTE_PGM_RSRC2:TIDIG_COMP_CNT: 2
	.section	.text._ZN7rocprim17ROCPRIM_400000_NS6detail17trampoline_kernelINS0_14default_configENS1_36segmented_radix_sort_config_selectorIdlEEZNS1_25segmented_radix_sort_implIS3_Lb0EPKdPdPKlPlN2at6native12_GLOBAL__N_18offset_tEEE10hipError_tPvRmT1_PNSt15iterator_traitsISK_E10value_typeET2_T3_PNSL_ISQ_E10value_typeET4_jRbjT5_SW_jjP12ihipStream_tbEUlT_E0_NS1_11comp_targetILNS1_3genE8ELNS1_11target_archE1030ELNS1_3gpuE2ELNS1_3repE0EEENS1_60segmented_radix_sort_warp_sort_medium_config_static_selectorELNS0_4arch9wavefront6targetE0EEEvSK_,"axG",@progbits,_ZN7rocprim17ROCPRIM_400000_NS6detail17trampoline_kernelINS0_14default_configENS1_36segmented_radix_sort_config_selectorIdlEEZNS1_25segmented_radix_sort_implIS3_Lb0EPKdPdPKlPlN2at6native12_GLOBAL__N_18offset_tEEE10hipError_tPvRmT1_PNSt15iterator_traitsISK_E10value_typeET2_T3_PNSL_ISQ_E10value_typeET4_jRbjT5_SW_jjP12ihipStream_tbEUlT_E0_NS1_11comp_targetILNS1_3genE8ELNS1_11target_archE1030ELNS1_3gpuE2ELNS1_3repE0EEENS1_60segmented_radix_sort_warp_sort_medium_config_static_selectorELNS0_4arch9wavefront6targetE0EEEvSK_,comdat
	.globl	_ZN7rocprim17ROCPRIM_400000_NS6detail17trampoline_kernelINS0_14default_configENS1_36segmented_radix_sort_config_selectorIdlEEZNS1_25segmented_radix_sort_implIS3_Lb0EPKdPdPKlPlN2at6native12_GLOBAL__N_18offset_tEEE10hipError_tPvRmT1_PNSt15iterator_traitsISK_E10value_typeET2_T3_PNSL_ISQ_E10value_typeET4_jRbjT5_SW_jjP12ihipStream_tbEUlT_E0_NS1_11comp_targetILNS1_3genE8ELNS1_11target_archE1030ELNS1_3gpuE2ELNS1_3repE0EEENS1_60segmented_radix_sort_warp_sort_medium_config_static_selectorELNS0_4arch9wavefront6targetE0EEEvSK_ ; -- Begin function _ZN7rocprim17ROCPRIM_400000_NS6detail17trampoline_kernelINS0_14default_configENS1_36segmented_radix_sort_config_selectorIdlEEZNS1_25segmented_radix_sort_implIS3_Lb0EPKdPdPKlPlN2at6native12_GLOBAL__N_18offset_tEEE10hipError_tPvRmT1_PNSt15iterator_traitsISK_E10value_typeET2_T3_PNSL_ISQ_E10value_typeET4_jRbjT5_SW_jjP12ihipStream_tbEUlT_E0_NS1_11comp_targetILNS1_3genE8ELNS1_11target_archE1030ELNS1_3gpuE2ELNS1_3repE0EEENS1_60segmented_radix_sort_warp_sort_medium_config_static_selectorELNS0_4arch9wavefront6targetE0EEEvSK_
	.p2align	8
	.type	_ZN7rocprim17ROCPRIM_400000_NS6detail17trampoline_kernelINS0_14default_configENS1_36segmented_radix_sort_config_selectorIdlEEZNS1_25segmented_radix_sort_implIS3_Lb0EPKdPdPKlPlN2at6native12_GLOBAL__N_18offset_tEEE10hipError_tPvRmT1_PNSt15iterator_traitsISK_E10value_typeET2_T3_PNSL_ISQ_E10value_typeET4_jRbjT5_SW_jjP12ihipStream_tbEUlT_E0_NS1_11comp_targetILNS1_3genE8ELNS1_11target_archE1030ELNS1_3gpuE2ELNS1_3repE0EEENS1_60segmented_radix_sort_warp_sort_medium_config_static_selectorELNS0_4arch9wavefront6targetE0EEEvSK_,@function
_ZN7rocprim17ROCPRIM_400000_NS6detail17trampoline_kernelINS0_14default_configENS1_36segmented_radix_sort_config_selectorIdlEEZNS1_25segmented_radix_sort_implIS3_Lb0EPKdPdPKlPlN2at6native12_GLOBAL__N_18offset_tEEE10hipError_tPvRmT1_PNSt15iterator_traitsISK_E10value_typeET2_T3_PNSL_ISQ_E10value_typeET4_jRbjT5_SW_jjP12ihipStream_tbEUlT_E0_NS1_11comp_targetILNS1_3genE8ELNS1_11target_archE1030ELNS1_3gpuE2ELNS1_3repE0EEENS1_60segmented_radix_sort_warp_sort_medium_config_static_selectorELNS0_4arch9wavefront6targetE0EEEvSK_: ; @_ZN7rocprim17ROCPRIM_400000_NS6detail17trampoline_kernelINS0_14default_configENS1_36segmented_radix_sort_config_selectorIdlEEZNS1_25segmented_radix_sort_implIS3_Lb0EPKdPdPKlPlN2at6native12_GLOBAL__N_18offset_tEEE10hipError_tPvRmT1_PNSt15iterator_traitsISK_E10value_typeET2_T3_PNSL_ISQ_E10value_typeET4_jRbjT5_SW_jjP12ihipStream_tbEUlT_E0_NS1_11comp_targetILNS1_3genE8ELNS1_11target_archE1030ELNS1_3gpuE2ELNS1_3repE0EEENS1_60segmented_radix_sort_warp_sort_medium_config_static_selectorELNS0_4arch9wavefront6targetE0EEEvSK_
; %bb.0:
	.section	.rodata,"a",@progbits
	.p2align	6, 0x0
	.amdhsa_kernel _ZN7rocprim17ROCPRIM_400000_NS6detail17trampoline_kernelINS0_14default_configENS1_36segmented_radix_sort_config_selectorIdlEEZNS1_25segmented_radix_sort_implIS3_Lb0EPKdPdPKlPlN2at6native12_GLOBAL__N_18offset_tEEE10hipError_tPvRmT1_PNSt15iterator_traitsISK_E10value_typeET2_T3_PNSL_ISQ_E10value_typeET4_jRbjT5_SW_jjP12ihipStream_tbEUlT_E0_NS1_11comp_targetILNS1_3genE8ELNS1_11target_archE1030ELNS1_3gpuE2ELNS1_3repE0EEENS1_60segmented_radix_sort_warp_sort_medium_config_static_selectorELNS0_4arch9wavefront6targetE0EEEvSK_
		.amdhsa_group_segment_fixed_size 0
		.amdhsa_private_segment_fixed_size 0
		.amdhsa_kernarg_size 88
		.amdhsa_user_sgpr_count 15
		.amdhsa_user_sgpr_dispatch_ptr 0
		.amdhsa_user_sgpr_queue_ptr 0
		.amdhsa_user_sgpr_kernarg_segment_ptr 1
		.amdhsa_user_sgpr_dispatch_id 0
		.amdhsa_user_sgpr_private_segment_size 0
		.amdhsa_wavefront_size32 1
		.amdhsa_uses_dynamic_stack 0
		.amdhsa_enable_private_segment 0
		.amdhsa_system_sgpr_workgroup_id_x 1
		.amdhsa_system_sgpr_workgroup_id_y 0
		.amdhsa_system_sgpr_workgroup_id_z 0
		.amdhsa_system_sgpr_workgroup_info 0
		.amdhsa_system_vgpr_workitem_id 0
		.amdhsa_next_free_vgpr 1
		.amdhsa_next_free_sgpr 1
		.amdhsa_reserve_vcc 0
		.amdhsa_float_round_mode_32 0
		.amdhsa_float_round_mode_16_64 0
		.amdhsa_float_denorm_mode_32 3
		.amdhsa_float_denorm_mode_16_64 3
		.amdhsa_dx10_clamp 1
		.amdhsa_ieee_mode 1
		.amdhsa_fp16_overflow 0
		.amdhsa_workgroup_processor_mode 1
		.amdhsa_memory_ordered 1
		.amdhsa_forward_progress 0
		.amdhsa_shared_vgpr_count 0
		.amdhsa_exception_fp_ieee_invalid_op 0
		.amdhsa_exception_fp_denorm_src 0
		.amdhsa_exception_fp_ieee_div_zero 0
		.amdhsa_exception_fp_ieee_overflow 0
		.amdhsa_exception_fp_ieee_underflow 0
		.amdhsa_exception_fp_ieee_inexact 0
		.amdhsa_exception_int_div_zero 0
	.end_amdhsa_kernel
	.section	.text._ZN7rocprim17ROCPRIM_400000_NS6detail17trampoline_kernelINS0_14default_configENS1_36segmented_radix_sort_config_selectorIdlEEZNS1_25segmented_radix_sort_implIS3_Lb0EPKdPdPKlPlN2at6native12_GLOBAL__N_18offset_tEEE10hipError_tPvRmT1_PNSt15iterator_traitsISK_E10value_typeET2_T3_PNSL_ISQ_E10value_typeET4_jRbjT5_SW_jjP12ihipStream_tbEUlT_E0_NS1_11comp_targetILNS1_3genE8ELNS1_11target_archE1030ELNS1_3gpuE2ELNS1_3repE0EEENS1_60segmented_radix_sort_warp_sort_medium_config_static_selectorELNS0_4arch9wavefront6targetE0EEEvSK_,"axG",@progbits,_ZN7rocprim17ROCPRIM_400000_NS6detail17trampoline_kernelINS0_14default_configENS1_36segmented_radix_sort_config_selectorIdlEEZNS1_25segmented_radix_sort_implIS3_Lb0EPKdPdPKlPlN2at6native12_GLOBAL__N_18offset_tEEE10hipError_tPvRmT1_PNSt15iterator_traitsISK_E10value_typeET2_T3_PNSL_ISQ_E10value_typeET4_jRbjT5_SW_jjP12ihipStream_tbEUlT_E0_NS1_11comp_targetILNS1_3genE8ELNS1_11target_archE1030ELNS1_3gpuE2ELNS1_3repE0EEENS1_60segmented_radix_sort_warp_sort_medium_config_static_selectorELNS0_4arch9wavefront6targetE0EEEvSK_,comdat
.Lfunc_end1240:
	.size	_ZN7rocprim17ROCPRIM_400000_NS6detail17trampoline_kernelINS0_14default_configENS1_36segmented_radix_sort_config_selectorIdlEEZNS1_25segmented_radix_sort_implIS3_Lb0EPKdPdPKlPlN2at6native12_GLOBAL__N_18offset_tEEE10hipError_tPvRmT1_PNSt15iterator_traitsISK_E10value_typeET2_T3_PNSL_ISQ_E10value_typeET4_jRbjT5_SW_jjP12ihipStream_tbEUlT_E0_NS1_11comp_targetILNS1_3genE8ELNS1_11target_archE1030ELNS1_3gpuE2ELNS1_3repE0EEENS1_60segmented_radix_sort_warp_sort_medium_config_static_selectorELNS0_4arch9wavefront6targetE0EEEvSK_, .Lfunc_end1240-_ZN7rocprim17ROCPRIM_400000_NS6detail17trampoline_kernelINS0_14default_configENS1_36segmented_radix_sort_config_selectorIdlEEZNS1_25segmented_radix_sort_implIS3_Lb0EPKdPdPKlPlN2at6native12_GLOBAL__N_18offset_tEEE10hipError_tPvRmT1_PNSt15iterator_traitsISK_E10value_typeET2_T3_PNSL_ISQ_E10value_typeET4_jRbjT5_SW_jjP12ihipStream_tbEUlT_E0_NS1_11comp_targetILNS1_3genE8ELNS1_11target_archE1030ELNS1_3gpuE2ELNS1_3repE0EEENS1_60segmented_radix_sort_warp_sort_medium_config_static_selectorELNS0_4arch9wavefront6targetE0EEEvSK_
                                        ; -- End function
	.section	.AMDGPU.csdata,"",@progbits
; Kernel info:
; codeLenInByte = 0
; NumSgprs: 0
; NumVgprs: 0
; ScratchSize: 0
; MemoryBound: 0
; FloatMode: 240
; IeeeMode: 1
; LDSByteSize: 0 bytes/workgroup (compile time only)
; SGPRBlocks: 0
; VGPRBlocks: 0
; NumSGPRsForWavesPerEU: 1
; NumVGPRsForWavesPerEU: 1
; Occupancy: 16
; WaveLimiterHint : 0
; COMPUTE_PGM_RSRC2:SCRATCH_EN: 0
; COMPUTE_PGM_RSRC2:USER_SGPR: 15
; COMPUTE_PGM_RSRC2:TRAP_HANDLER: 0
; COMPUTE_PGM_RSRC2:TGID_X_EN: 1
; COMPUTE_PGM_RSRC2:TGID_Y_EN: 0
; COMPUTE_PGM_RSRC2:TGID_Z_EN: 0
; COMPUTE_PGM_RSRC2:TIDIG_COMP_CNT: 0
	.section	.text._ZN7rocprim17ROCPRIM_400000_NS6detail17trampoline_kernelINS0_14default_configENS1_36segmented_radix_sort_config_selectorIdlEEZNS1_25segmented_radix_sort_implIS3_Lb0EPKdPdPKlPlN2at6native12_GLOBAL__N_18offset_tEEE10hipError_tPvRmT1_PNSt15iterator_traitsISK_E10value_typeET2_T3_PNSL_ISQ_E10value_typeET4_jRbjT5_SW_jjP12ihipStream_tbEUlT_E1_NS1_11comp_targetILNS1_3genE0ELNS1_11target_archE4294967295ELNS1_3gpuE0ELNS1_3repE0EEENS1_59segmented_radix_sort_warp_sort_small_config_static_selectorELNS0_4arch9wavefront6targetE0EEEvSK_,"axG",@progbits,_ZN7rocprim17ROCPRIM_400000_NS6detail17trampoline_kernelINS0_14default_configENS1_36segmented_radix_sort_config_selectorIdlEEZNS1_25segmented_radix_sort_implIS3_Lb0EPKdPdPKlPlN2at6native12_GLOBAL__N_18offset_tEEE10hipError_tPvRmT1_PNSt15iterator_traitsISK_E10value_typeET2_T3_PNSL_ISQ_E10value_typeET4_jRbjT5_SW_jjP12ihipStream_tbEUlT_E1_NS1_11comp_targetILNS1_3genE0ELNS1_11target_archE4294967295ELNS1_3gpuE0ELNS1_3repE0EEENS1_59segmented_radix_sort_warp_sort_small_config_static_selectorELNS0_4arch9wavefront6targetE0EEEvSK_,comdat
	.globl	_ZN7rocprim17ROCPRIM_400000_NS6detail17trampoline_kernelINS0_14default_configENS1_36segmented_radix_sort_config_selectorIdlEEZNS1_25segmented_radix_sort_implIS3_Lb0EPKdPdPKlPlN2at6native12_GLOBAL__N_18offset_tEEE10hipError_tPvRmT1_PNSt15iterator_traitsISK_E10value_typeET2_T3_PNSL_ISQ_E10value_typeET4_jRbjT5_SW_jjP12ihipStream_tbEUlT_E1_NS1_11comp_targetILNS1_3genE0ELNS1_11target_archE4294967295ELNS1_3gpuE0ELNS1_3repE0EEENS1_59segmented_radix_sort_warp_sort_small_config_static_selectorELNS0_4arch9wavefront6targetE0EEEvSK_ ; -- Begin function _ZN7rocprim17ROCPRIM_400000_NS6detail17trampoline_kernelINS0_14default_configENS1_36segmented_radix_sort_config_selectorIdlEEZNS1_25segmented_radix_sort_implIS3_Lb0EPKdPdPKlPlN2at6native12_GLOBAL__N_18offset_tEEE10hipError_tPvRmT1_PNSt15iterator_traitsISK_E10value_typeET2_T3_PNSL_ISQ_E10value_typeET4_jRbjT5_SW_jjP12ihipStream_tbEUlT_E1_NS1_11comp_targetILNS1_3genE0ELNS1_11target_archE4294967295ELNS1_3gpuE0ELNS1_3repE0EEENS1_59segmented_radix_sort_warp_sort_small_config_static_selectorELNS0_4arch9wavefront6targetE0EEEvSK_
	.p2align	8
	.type	_ZN7rocprim17ROCPRIM_400000_NS6detail17trampoline_kernelINS0_14default_configENS1_36segmented_radix_sort_config_selectorIdlEEZNS1_25segmented_radix_sort_implIS3_Lb0EPKdPdPKlPlN2at6native12_GLOBAL__N_18offset_tEEE10hipError_tPvRmT1_PNSt15iterator_traitsISK_E10value_typeET2_T3_PNSL_ISQ_E10value_typeET4_jRbjT5_SW_jjP12ihipStream_tbEUlT_E1_NS1_11comp_targetILNS1_3genE0ELNS1_11target_archE4294967295ELNS1_3gpuE0ELNS1_3repE0EEENS1_59segmented_radix_sort_warp_sort_small_config_static_selectorELNS0_4arch9wavefront6targetE0EEEvSK_,@function
_ZN7rocprim17ROCPRIM_400000_NS6detail17trampoline_kernelINS0_14default_configENS1_36segmented_radix_sort_config_selectorIdlEEZNS1_25segmented_radix_sort_implIS3_Lb0EPKdPdPKlPlN2at6native12_GLOBAL__N_18offset_tEEE10hipError_tPvRmT1_PNSt15iterator_traitsISK_E10value_typeET2_T3_PNSL_ISQ_E10value_typeET4_jRbjT5_SW_jjP12ihipStream_tbEUlT_E1_NS1_11comp_targetILNS1_3genE0ELNS1_11target_archE4294967295ELNS1_3gpuE0ELNS1_3repE0EEENS1_59segmented_radix_sort_warp_sort_small_config_static_selectorELNS0_4arch9wavefront6targetE0EEEvSK_: ; @_ZN7rocprim17ROCPRIM_400000_NS6detail17trampoline_kernelINS0_14default_configENS1_36segmented_radix_sort_config_selectorIdlEEZNS1_25segmented_radix_sort_implIS3_Lb0EPKdPdPKlPlN2at6native12_GLOBAL__N_18offset_tEEE10hipError_tPvRmT1_PNSt15iterator_traitsISK_E10value_typeET2_T3_PNSL_ISQ_E10value_typeET4_jRbjT5_SW_jjP12ihipStream_tbEUlT_E1_NS1_11comp_targetILNS1_3genE0ELNS1_11target_archE4294967295ELNS1_3gpuE0ELNS1_3repE0EEENS1_59segmented_radix_sort_warp_sort_small_config_static_selectorELNS0_4arch9wavefront6targetE0EEEvSK_
; %bb.0:
	.section	.rodata,"a",@progbits
	.p2align	6, 0x0
	.amdhsa_kernel _ZN7rocprim17ROCPRIM_400000_NS6detail17trampoline_kernelINS0_14default_configENS1_36segmented_radix_sort_config_selectorIdlEEZNS1_25segmented_radix_sort_implIS3_Lb0EPKdPdPKlPlN2at6native12_GLOBAL__N_18offset_tEEE10hipError_tPvRmT1_PNSt15iterator_traitsISK_E10value_typeET2_T3_PNSL_ISQ_E10value_typeET4_jRbjT5_SW_jjP12ihipStream_tbEUlT_E1_NS1_11comp_targetILNS1_3genE0ELNS1_11target_archE4294967295ELNS1_3gpuE0ELNS1_3repE0EEENS1_59segmented_radix_sort_warp_sort_small_config_static_selectorELNS0_4arch9wavefront6targetE0EEEvSK_
		.amdhsa_group_segment_fixed_size 0
		.amdhsa_private_segment_fixed_size 0
		.amdhsa_kernarg_size 88
		.amdhsa_user_sgpr_count 15
		.amdhsa_user_sgpr_dispatch_ptr 0
		.amdhsa_user_sgpr_queue_ptr 0
		.amdhsa_user_sgpr_kernarg_segment_ptr 1
		.amdhsa_user_sgpr_dispatch_id 0
		.amdhsa_user_sgpr_private_segment_size 0
		.amdhsa_wavefront_size32 1
		.amdhsa_uses_dynamic_stack 0
		.amdhsa_enable_private_segment 0
		.amdhsa_system_sgpr_workgroup_id_x 1
		.amdhsa_system_sgpr_workgroup_id_y 0
		.amdhsa_system_sgpr_workgroup_id_z 0
		.amdhsa_system_sgpr_workgroup_info 0
		.amdhsa_system_vgpr_workitem_id 0
		.amdhsa_next_free_vgpr 1
		.amdhsa_next_free_sgpr 1
		.amdhsa_reserve_vcc 0
		.amdhsa_float_round_mode_32 0
		.amdhsa_float_round_mode_16_64 0
		.amdhsa_float_denorm_mode_32 3
		.amdhsa_float_denorm_mode_16_64 3
		.amdhsa_dx10_clamp 1
		.amdhsa_ieee_mode 1
		.amdhsa_fp16_overflow 0
		.amdhsa_workgroup_processor_mode 1
		.amdhsa_memory_ordered 1
		.amdhsa_forward_progress 0
		.amdhsa_shared_vgpr_count 0
		.amdhsa_exception_fp_ieee_invalid_op 0
		.amdhsa_exception_fp_denorm_src 0
		.amdhsa_exception_fp_ieee_div_zero 0
		.amdhsa_exception_fp_ieee_overflow 0
		.amdhsa_exception_fp_ieee_underflow 0
		.amdhsa_exception_fp_ieee_inexact 0
		.amdhsa_exception_int_div_zero 0
	.end_amdhsa_kernel
	.section	.text._ZN7rocprim17ROCPRIM_400000_NS6detail17trampoline_kernelINS0_14default_configENS1_36segmented_radix_sort_config_selectorIdlEEZNS1_25segmented_radix_sort_implIS3_Lb0EPKdPdPKlPlN2at6native12_GLOBAL__N_18offset_tEEE10hipError_tPvRmT1_PNSt15iterator_traitsISK_E10value_typeET2_T3_PNSL_ISQ_E10value_typeET4_jRbjT5_SW_jjP12ihipStream_tbEUlT_E1_NS1_11comp_targetILNS1_3genE0ELNS1_11target_archE4294967295ELNS1_3gpuE0ELNS1_3repE0EEENS1_59segmented_radix_sort_warp_sort_small_config_static_selectorELNS0_4arch9wavefront6targetE0EEEvSK_,"axG",@progbits,_ZN7rocprim17ROCPRIM_400000_NS6detail17trampoline_kernelINS0_14default_configENS1_36segmented_radix_sort_config_selectorIdlEEZNS1_25segmented_radix_sort_implIS3_Lb0EPKdPdPKlPlN2at6native12_GLOBAL__N_18offset_tEEE10hipError_tPvRmT1_PNSt15iterator_traitsISK_E10value_typeET2_T3_PNSL_ISQ_E10value_typeET4_jRbjT5_SW_jjP12ihipStream_tbEUlT_E1_NS1_11comp_targetILNS1_3genE0ELNS1_11target_archE4294967295ELNS1_3gpuE0ELNS1_3repE0EEENS1_59segmented_radix_sort_warp_sort_small_config_static_selectorELNS0_4arch9wavefront6targetE0EEEvSK_,comdat
.Lfunc_end1241:
	.size	_ZN7rocprim17ROCPRIM_400000_NS6detail17trampoline_kernelINS0_14default_configENS1_36segmented_radix_sort_config_selectorIdlEEZNS1_25segmented_radix_sort_implIS3_Lb0EPKdPdPKlPlN2at6native12_GLOBAL__N_18offset_tEEE10hipError_tPvRmT1_PNSt15iterator_traitsISK_E10value_typeET2_T3_PNSL_ISQ_E10value_typeET4_jRbjT5_SW_jjP12ihipStream_tbEUlT_E1_NS1_11comp_targetILNS1_3genE0ELNS1_11target_archE4294967295ELNS1_3gpuE0ELNS1_3repE0EEENS1_59segmented_radix_sort_warp_sort_small_config_static_selectorELNS0_4arch9wavefront6targetE0EEEvSK_, .Lfunc_end1241-_ZN7rocprim17ROCPRIM_400000_NS6detail17trampoline_kernelINS0_14default_configENS1_36segmented_radix_sort_config_selectorIdlEEZNS1_25segmented_radix_sort_implIS3_Lb0EPKdPdPKlPlN2at6native12_GLOBAL__N_18offset_tEEE10hipError_tPvRmT1_PNSt15iterator_traitsISK_E10value_typeET2_T3_PNSL_ISQ_E10value_typeET4_jRbjT5_SW_jjP12ihipStream_tbEUlT_E1_NS1_11comp_targetILNS1_3genE0ELNS1_11target_archE4294967295ELNS1_3gpuE0ELNS1_3repE0EEENS1_59segmented_radix_sort_warp_sort_small_config_static_selectorELNS0_4arch9wavefront6targetE0EEEvSK_
                                        ; -- End function
	.section	.AMDGPU.csdata,"",@progbits
; Kernel info:
; codeLenInByte = 0
; NumSgprs: 0
; NumVgprs: 0
; ScratchSize: 0
; MemoryBound: 0
; FloatMode: 240
; IeeeMode: 1
; LDSByteSize: 0 bytes/workgroup (compile time only)
; SGPRBlocks: 0
; VGPRBlocks: 0
; NumSGPRsForWavesPerEU: 1
; NumVGPRsForWavesPerEU: 1
; Occupancy: 16
; WaveLimiterHint : 0
; COMPUTE_PGM_RSRC2:SCRATCH_EN: 0
; COMPUTE_PGM_RSRC2:USER_SGPR: 15
; COMPUTE_PGM_RSRC2:TRAP_HANDLER: 0
; COMPUTE_PGM_RSRC2:TGID_X_EN: 1
; COMPUTE_PGM_RSRC2:TGID_Y_EN: 0
; COMPUTE_PGM_RSRC2:TGID_Z_EN: 0
; COMPUTE_PGM_RSRC2:TIDIG_COMP_CNT: 0
	.section	.text._ZN7rocprim17ROCPRIM_400000_NS6detail17trampoline_kernelINS0_14default_configENS1_36segmented_radix_sort_config_selectorIdlEEZNS1_25segmented_radix_sort_implIS3_Lb0EPKdPdPKlPlN2at6native12_GLOBAL__N_18offset_tEEE10hipError_tPvRmT1_PNSt15iterator_traitsISK_E10value_typeET2_T3_PNSL_ISQ_E10value_typeET4_jRbjT5_SW_jjP12ihipStream_tbEUlT_E1_NS1_11comp_targetILNS1_3genE5ELNS1_11target_archE942ELNS1_3gpuE9ELNS1_3repE0EEENS1_59segmented_radix_sort_warp_sort_small_config_static_selectorELNS0_4arch9wavefront6targetE0EEEvSK_,"axG",@progbits,_ZN7rocprim17ROCPRIM_400000_NS6detail17trampoline_kernelINS0_14default_configENS1_36segmented_radix_sort_config_selectorIdlEEZNS1_25segmented_radix_sort_implIS3_Lb0EPKdPdPKlPlN2at6native12_GLOBAL__N_18offset_tEEE10hipError_tPvRmT1_PNSt15iterator_traitsISK_E10value_typeET2_T3_PNSL_ISQ_E10value_typeET4_jRbjT5_SW_jjP12ihipStream_tbEUlT_E1_NS1_11comp_targetILNS1_3genE5ELNS1_11target_archE942ELNS1_3gpuE9ELNS1_3repE0EEENS1_59segmented_radix_sort_warp_sort_small_config_static_selectorELNS0_4arch9wavefront6targetE0EEEvSK_,comdat
	.globl	_ZN7rocprim17ROCPRIM_400000_NS6detail17trampoline_kernelINS0_14default_configENS1_36segmented_radix_sort_config_selectorIdlEEZNS1_25segmented_radix_sort_implIS3_Lb0EPKdPdPKlPlN2at6native12_GLOBAL__N_18offset_tEEE10hipError_tPvRmT1_PNSt15iterator_traitsISK_E10value_typeET2_T3_PNSL_ISQ_E10value_typeET4_jRbjT5_SW_jjP12ihipStream_tbEUlT_E1_NS1_11comp_targetILNS1_3genE5ELNS1_11target_archE942ELNS1_3gpuE9ELNS1_3repE0EEENS1_59segmented_radix_sort_warp_sort_small_config_static_selectorELNS0_4arch9wavefront6targetE0EEEvSK_ ; -- Begin function _ZN7rocprim17ROCPRIM_400000_NS6detail17trampoline_kernelINS0_14default_configENS1_36segmented_radix_sort_config_selectorIdlEEZNS1_25segmented_radix_sort_implIS3_Lb0EPKdPdPKlPlN2at6native12_GLOBAL__N_18offset_tEEE10hipError_tPvRmT1_PNSt15iterator_traitsISK_E10value_typeET2_T3_PNSL_ISQ_E10value_typeET4_jRbjT5_SW_jjP12ihipStream_tbEUlT_E1_NS1_11comp_targetILNS1_3genE5ELNS1_11target_archE942ELNS1_3gpuE9ELNS1_3repE0EEENS1_59segmented_radix_sort_warp_sort_small_config_static_selectorELNS0_4arch9wavefront6targetE0EEEvSK_
	.p2align	8
	.type	_ZN7rocprim17ROCPRIM_400000_NS6detail17trampoline_kernelINS0_14default_configENS1_36segmented_radix_sort_config_selectorIdlEEZNS1_25segmented_radix_sort_implIS3_Lb0EPKdPdPKlPlN2at6native12_GLOBAL__N_18offset_tEEE10hipError_tPvRmT1_PNSt15iterator_traitsISK_E10value_typeET2_T3_PNSL_ISQ_E10value_typeET4_jRbjT5_SW_jjP12ihipStream_tbEUlT_E1_NS1_11comp_targetILNS1_3genE5ELNS1_11target_archE942ELNS1_3gpuE9ELNS1_3repE0EEENS1_59segmented_radix_sort_warp_sort_small_config_static_selectorELNS0_4arch9wavefront6targetE0EEEvSK_,@function
_ZN7rocprim17ROCPRIM_400000_NS6detail17trampoline_kernelINS0_14default_configENS1_36segmented_radix_sort_config_selectorIdlEEZNS1_25segmented_radix_sort_implIS3_Lb0EPKdPdPKlPlN2at6native12_GLOBAL__N_18offset_tEEE10hipError_tPvRmT1_PNSt15iterator_traitsISK_E10value_typeET2_T3_PNSL_ISQ_E10value_typeET4_jRbjT5_SW_jjP12ihipStream_tbEUlT_E1_NS1_11comp_targetILNS1_3genE5ELNS1_11target_archE942ELNS1_3gpuE9ELNS1_3repE0EEENS1_59segmented_radix_sort_warp_sort_small_config_static_selectorELNS0_4arch9wavefront6targetE0EEEvSK_: ; @_ZN7rocprim17ROCPRIM_400000_NS6detail17trampoline_kernelINS0_14default_configENS1_36segmented_radix_sort_config_selectorIdlEEZNS1_25segmented_radix_sort_implIS3_Lb0EPKdPdPKlPlN2at6native12_GLOBAL__N_18offset_tEEE10hipError_tPvRmT1_PNSt15iterator_traitsISK_E10value_typeET2_T3_PNSL_ISQ_E10value_typeET4_jRbjT5_SW_jjP12ihipStream_tbEUlT_E1_NS1_11comp_targetILNS1_3genE5ELNS1_11target_archE942ELNS1_3gpuE9ELNS1_3repE0EEENS1_59segmented_radix_sort_warp_sort_small_config_static_selectorELNS0_4arch9wavefront6targetE0EEEvSK_
; %bb.0:
	.section	.rodata,"a",@progbits
	.p2align	6, 0x0
	.amdhsa_kernel _ZN7rocprim17ROCPRIM_400000_NS6detail17trampoline_kernelINS0_14default_configENS1_36segmented_radix_sort_config_selectorIdlEEZNS1_25segmented_radix_sort_implIS3_Lb0EPKdPdPKlPlN2at6native12_GLOBAL__N_18offset_tEEE10hipError_tPvRmT1_PNSt15iterator_traitsISK_E10value_typeET2_T3_PNSL_ISQ_E10value_typeET4_jRbjT5_SW_jjP12ihipStream_tbEUlT_E1_NS1_11comp_targetILNS1_3genE5ELNS1_11target_archE942ELNS1_3gpuE9ELNS1_3repE0EEENS1_59segmented_radix_sort_warp_sort_small_config_static_selectorELNS0_4arch9wavefront6targetE0EEEvSK_
		.amdhsa_group_segment_fixed_size 0
		.amdhsa_private_segment_fixed_size 0
		.amdhsa_kernarg_size 88
		.amdhsa_user_sgpr_count 15
		.amdhsa_user_sgpr_dispatch_ptr 0
		.amdhsa_user_sgpr_queue_ptr 0
		.amdhsa_user_sgpr_kernarg_segment_ptr 1
		.amdhsa_user_sgpr_dispatch_id 0
		.amdhsa_user_sgpr_private_segment_size 0
		.amdhsa_wavefront_size32 1
		.amdhsa_uses_dynamic_stack 0
		.amdhsa_enable_private_segment 0
		.amdhsa_system_sgpr_workgroup_id_x 1
		.amdhsa_system_sgpr_workgroup_id_y 0
		.amdhsa_system_sgpr_workgroup_id_z 0
		.amdhsa_system_sgpr_workgroup_info 0
		.amdhsa_system_vgpr_workitem_id 0
		.amdhsa_next_free_vgpr 1
		.amdhsa_next_free_sgpr 1
		.amdhsa_reserve_vcc 0
		.amdhsa_float_round_mode_32 0
		.amdhsa_float_round_mode_16_64 0
		.amdhsa_float_denorm_mode_32 3
		.amdhsa_float_denorm_mode_16_64 3
		.amdhsa_dx10_clamp 1
		.amdhsa_ieee_mode 1
		.amdhsa_fp16_overflow 0
		.amdhsa_workgroup_processor_mode 1
		.amdhsa_memory_ordered 1
		.amdhsa_forward_progress 0
		.amdhsa_shared_vgpr_count 0
		.amdhsa_exception_fp_ieee_invalid_op 0
		.amdhsa_exception_fp_denorm_src 0
		.amdhsa_exception_fp_ieee_div_zero 0
		.amdhsa_exception_fp_ieee_overflow 0
		.amdhsa_exception_fp_ieee_underflow 0
		.amdhsa_exception_fp_ieee_inexact 0
		.amdhsa_exception_int_div_zero 0
	.end_amdhsa_kernel
	.section	.text._ZN7rocprim17ROCPRIM_400000_NS6detail17trampoline_kernelINS0_14default_configENS1_36segmented_radix_sort_config_selectorIdlEEZNS1_25segmented_radix_sort_implIS3_Lb0EPKdPdPKlPlN2at6native12_GLOBAL__N_18offset_tEEE10hipError_tPvRmT1_PNSt15iterator_traitsISK_E10value_typeET2_T3_PNSL_ISQ_E10value_typeET4_jRbjT5_SW_jjP12ihipStream_tbEUlT_E1_NS1_11comp_targetILNS1_3genE5ELNS1_11target_archE942ELNS1_3gpuE9ELNS1_3repE0EEENS1_59segmented_radix_sort_warp_sort_small_config_static_selectorELNS0_4arch9wavefront6targetE0EEEvSK_,"axG",@progbits,_ZN7rocprim17ROCPRIM_400000_NS6detail17trampoline_kernelINS0_14default_configENS1_36segmented_radix_sort_config_selectorIdlEEZNS1_25segmented_radix_sort_implIS3_Lb0EPKdPdPKlPlN2at6native12_GLOBAL__N_18offset_tEEE10hipError_tPvRmT1_PNSt15iterator_traitsISK_E10value_typeET2_T3_PNSL_ISQ_E10value_typeET4_jRbjT5_SW_jjP12ihipStream_tbEUlT_E1_NS1_11comp_targetILNS1_3genE5ELNS1_11target_archE942ELNS1_3gpuE9ELNS1_3repE0EEENS1_59segmented_radix_sort_warp_sort_small_config_static_selectorELNS0_4arch9wavefront6targetE0EEEvSK_,comdat
.Lfunc_end1242:
	.size	_ZN7rocprim17ROCPRIM_400000_NS6detail17trampoline_kernelINS0_14default_configENS1_36segmented_radix_sort_config_selectorIdlEEZNS1_25segmented_radix_sort_implIS3_Lb0EPKdPdPKlPlN2at6native12_GLOBAL__N_18offset_tEEE10hipError_tPvRmT1_PNSt15iterator_traitsISK_E10value_typeET2_T3_PNSL_ISQ_E10value_typeET4_jRbjT5_SW_jjP12ihipStream_tbEUlT_E1_NS1_11comp_targetILNS1_3genE5ELNS1_11target_archE942ELNS1_3gpuE9ELNS1_3repE0EEENS1_59segmented_radix_sort_warp_sort_small_config_static_selectorELNS0_4arch9wavefront6targetE0EEEvSK_, .Lfunc_end1242-_ZN7rocprim17ROCPRIM_400000_NS6detail17trampoline_kernelINS0_14default_configENS1_36segmented_radix_sort_config_selectorIdlEEZNS1_25segmented_radix_sort_implIS3_Lb0EPKdPdPKlPlN2at6native12_GLOBAL__N_18offset_tEEE10hipError_tPvRmT1_PNSt15iterator_traitsISK_E10value_typeET2_T3_PNSL_ISQ_E10value_typeET4_jRbjT5_SW_jjP12ihipStream_tbEUlT_E1_NS1_11comp_targetILNS1_3genE5ELNS1_11target_archE942ELNS1_3gpuE9ELNS1_3repE0EEENS1_59segmented_radix_sort_warp_sort_small_config_static_selectorELNS0_4arch9wavefront6targetE0EEEvSK_
                                        ; -- End function
	.section	.AMDGPU.csdata,"",@progbits
; Kernel info:
; codeLenInByte = 0
; NumSgprs: 0
; NumVgprs: 0
; ScratchSize: 0
; MemoryBound: 0
; FloatMode: 240
; IeeeMode: 1
; LDSByteSize: 0 bytes/workgroup (compile time only)
; SGPRBlocks: 0
; VGPRBlocks: 0
; NumSGPRsForWavesPerEU: 1
; NumVGPRsForWavesPerEU: 1
; Occupancy: 16
; WaveLimiterHint : 0
; COMPUTE_PGM_RSRC2:SCRATCH_EN: 0
; COMPUTE_PGM_RSRC2:USER_SGPR: 15
; COMPUTE_PGM_RSRC2:TRAP_HANDLER: 0
; COMPUTE_PGM_RSRC2:TGID_X_EN: 1
; COMPUTE_PGM_RSRC2:TGID_Y_EN: 0
; COMPUTE_PGM_RSRC2:TGID_Z_EN: 0
; COMPUTE_PGM_RSRC2:TIDIG_COMP_CNT: 0
	.section	.text._ZN7rocprim17ROCPRIM_400000_NS6detail17trampoline_kernelINS0_14default_configENS1_36segmented_radix_sort_config_selectorIdlEEZNS1_25segmented_radix_sort_implIS3_Lb0EPKdPdPKlPlN2at6native12_GLOBAL__N_18offset_tEEE10hipError_tPvRmT1_PNSt15iterator_traitsISK_E10value_typeET2_T3_PNSL_ISQ_E10value_typeET4_jRbjT5_SW_jjP12ihipStream_tbEUlT_E1_NS1_11comp_targetILNS1_3genE4ELNS1_11target_archE910ELNS1_3gpuE8ELNS1_3repE0EEENS1_59segmented_radix_sort_warp_sort_small_config_static_selectorELNS0_4arch9wavefront6targetE0EEEvSK_,"axG",@progbits,_ZN7rocprim17ROCPRIM_400000_NS6detail17trampoline_kernelINS0_14default_configENS1_36segmented_radix_sort_config_selectorIdlEEZNS1_25segmented_radix_sort_implIS3_Lb0EPKdPdPKlPlN2at6native12_GLOBAL__N_18offset_tEEE10hipError_tPvRmT1_PNSt15iterator_traitsISK_E10value_typeET2_T3_PNSL_ISQ_E10value_typeET4_jRbjT5_SW_jjP12ihipStream_tbEUlT_E1_NS1_11comp_targetILNS1_3genE4ELNS1_11target_archE910ELNS1_3gpuE8ELNS1_3repE0EEENS1_59segmented_radix_sort_warp_sort_small_config_static_selectorELNS0_4arch9wavefront6targetE0EEEvSK_,comdat
	.globl	_ZN7rocprim17ROCPRIM_400000_NS6detail17trampoline_kernelINS0_14default_configENS1_36segmented_radix_sort_config_selectorIdlEEZNS1_25segmented_radix_sort_implIS3_Lb0EPKdPdPKlPlN2at6native12_GLOBAL__N_18offset_tEEE10hipError_tPvRmT1_PNSt15iterator_traitsISK_E10value_typeET2_T3_PNSL_ISQ_E10value_typeET4_jRbjT5_SW_jjP12ihipStream_tbEUlT_E1_NS1_11comp_targetILNS1_3genE4ELNS1_11target_archE910ELNS1_3gpuE8ELNS1_3repE0EEENS1_59segmented_radix_sort_warp_sort_small_config_static_selectorELNS0_4arch9wavefront6targetE0EEEvSK_ ; -- Begin function _ZN7rocprim17ROCPRIM_400000_NS6detail17trampoline_kernelINS0_14default_configENS1_36segmented_radix_sort_config_selectorIdlEEZNS1_25segmented_radix_sort_implIS3_Lb0EPKdPdPKlPlN2at6native12_GLOBAL__N_18offset_tEEE10hipError_tPvRmT1_PNSt15iterator_traitsISK_E10value_typeET2_T3_PNSL_ISQ_E10value_typeET4_jRbjT5_SW_jjP12ihipStream_tbEUlT_E1_NS1_11comp_targetILNS1_3genE4ELNS1_11target_archE910ELNS1_3gpuE8ELNS1_3repE0EEENS1_59segmented_radix_sort_warp_sort_small_config_static_selectorELNS0_4arch9wavefront6targetE0EEEvSK_
	.p2align	8
	.type	_ZN7rocprim17ROCPRIM_400000_NS6detail17trampoline_kernelINS0_14default_configENS1_36segmented_radix_sort_config_selectorIdlEEZNS1_25segmented_radix_sort_implIS3_Lb0EPKdPdPKlPlN2at6native12_GLOBAL__N_18offset_tEEE10hipError_tPvRmT1_PNSt15iterator_traitsISK_E10value_typeET2_T3_PNSL_ISQ_E10value_typeET4_jRbjT5_SW_jjP12ihipStream_tbEUlT_E1_NS1_11comp_targetILNS1_3genE4ELNS1_11target_archE910ELNS1_3gpuE8ELNS1_3repE0EEENS1_59segmented_radix_sort_warp_sort_small_config_static_selectorELNS0_4arch9wavefront6targetE0EEEvSK_,@function
_ZN7rocprim17ROCPRIM_400000_NS6detail17trampoline_kernelINS0_14default_configENS1_36segmented_radix_sort_config_selectorIdlEEZNS1_25segmented_radix_sort_implIS3_Lb0EPKdPdPKlPlN2at6native12_GLOBAL__N_18offset_tEEE10hipError_tPvRmT1_PNSt15iterator_traitsISK_E10value_typeET2_T3_PNSL_ISQ_E10value_typeET4_jRbjT5_SW_jjP12ihipStream_tbEUlT_E1_NS1_11comp_targetILNS1_3genE4ELNS1_11target_archE910ELNS1_3gpuE8ELNS1_3repE0EEENS1_59segmented_radix_sort_warp_sort_small_config_static_selectorELNS0_4arch9wavefront6targetE0EEEvSK_: ; @_ZN7rocprim17ROCPRIM_400000_NS6detail17trampoline_kernelINS0_14default_configENS1_36segmented_radix_sort_config_selectorIdlEEZNS1_25segmented_radix_sort_implIS3_Lb0EPKdPdPKlPlN2at6native12_GLOBAL__N_18offset_tEEE10hipError_tPvRmT1_PNSt15iterator_traitsISK_E10value_typeET2_T3_PNSL_ISQ_E10value_typeET4_jRbjT5_SW_jjP12ihipStream_tbEUlT_E1_NS1_11comp_targetILNS1_3genE4ELNS1_11target_archE910ELNS1_3gpuE8ELNS1_3repE0EEENS1_59segmented_radix_sort_warp_sort_small_config_static_selectorELNS0_4arch9wavefront6targetE0EEEvSK_
; %bb.0:
	.section	.rodata,"a",@progbits
	.p2align	6, 0x0
	.amdhsa_kernel _ZN7rocprim17ROCPRIM_400000_NS6detail17trampoline_kernelINS0_14default_configENS1_36segmented_radix_sort_config_selectorIdlEEZNS1_25segmented_radix_sort_implIS3_Lb0EPKdPdPKlPlN2at6native12_GLOBAL__N_18offset_tEEE10hipError_tPvRmT1_PNSt15iterator_traitsISK_E10value_typeET2_T3_PNSL_ISQ_E10value_typeET4_jRbjT5_SW_jjP12ihipStream_tbEUlT_E1_NS1_11comp_targetILNS1_3genE4ELNS1_11target_archE910ELNS1_3gpuE8ELNS1_3repE0EEENS1_59segmented_radix_sort_warp_sort_small_config_static_selectorELNS0_4arch9wavefront6targetE0EEEvSK_
		.amdhsa_group_segment_fixed_size 0
		.amdhsa_private_segment_fixed_size 0
		.amdhsa_kernarg_size 88
		.amdhsa_user_sgpr_count 15
		.amdhsa_user_sgpr_dispatch_ptr 0
		.amdhsa_user_sgpr_queue_ptr 0
		.amdhsa_user_sgpr_kernarg_segment_ptr 1
		.amdhsa_user_sgpr_dispatch_id 0
		.amdhsa_user_sgpr_private_segment_size 0
		.amdhsa_wavefront_size32 1
		.amdhsa_uses_dynamic_stack 0
		.amdhsa_enable_private_segment 0
		.amdhsa_system_sgpr_workgroup_id_x 1
		.amdhsa_system_sgpr_workgroup_id_y 0
		.amdhsa_system_sgpr_workgroup_id_z 0
		.amdhsa_system_sgpr_workgroup_info 0
		.amdhsa_system_vgpr_workitem_id 0
		.amdhsa_next_free_vgpr 1
		.amdhsa_next_free_sgpr 1
		.amdhsa_reserve_vcc 0
		.amdhsa_float_round_mode_32 0
		.amdhsa_float_round_mode_16_64 0
		.amdhsa_float_denorm_mode_32 3
		.amdhsa_float_denorm_mode_16_64 3
		.amdhsa_dx10_clamp 1
		.amdhsa_ieee_mode 1
		.amdhsa_fp16_overflow 0
		.amdhsa_workgroup_processor_mode 1
		.amdhsa_memory_ordered 1
		.amdhsa_forward_progress 0
		.amdhsa_shared_vgpr_count 0
		.amdhsa_exception_fp_ieee_invalid_op 0
		.amdhsa_exception_fp_denorm_src 0
		.amdhsa_exception_fp_ieee_div_zero 0
		.amdhsa_exception_fp_ieee_overflow 0
		.amdhsa_exception_fp_ieee_underflow 0
		.amdhsa_exception_fp_ieee_inexact 0
		.amdhsa_exception_int_div_zero 0
	.end_amdhsa_kernel
	.section	.text._ZN7rocprim17ROCPRIM_400000_NS6detail17trampoline_kernelINS0_14default_configENS1_36segmented_radix_sort_config_selectorIdlEEZNS1_25segmented_radix_sort_implIS3_Lb0EPKdPdPKlPlN2at6native12_GLOBAL__N_18offset_tEEE10hipError_tPvRmT1_PNSt15iterator_traitsISK_E10value_typeET2_T3_PNSL_ISQ_E10value_typeET4_jRbjT5_SW_jjP12ihipStream_tbEUlT_E1_NS1_11comp_targetILNS1_3genE4ELNS1_11target_archE910ELNS1_3gpuE8ELNS1_3repE0EEENS1_59segmented_radix_sort_warp_sort_small_config_static_selectorELNS0_4arch9wavefront6targetE0EEEvSK_,"axG",@progbits,_ZN7rocprim17ROCPRIM_400000_NS6detail17trampoline_kernelINS0_14default_configENS1_36segmented_radix_sort_config_selectorIdlEEZNS1_25segmented_radix_sort_implIS3_Lb0EPKdPdPKlPlN2at6native12_GLOBAL__N_18offset_tEEE10hipError_tPvRmT1_PNSt15iterator_traitsISK_E10value_typeET2_T3_PNSL_ISQ_E10value_typeET4_jRbjT5_SW_jjP12ihipStream_tbEUlT_E1_NS1_11comp_targetILNS1_3genE4ELNS1_11target_archE910ELNS1_3gpuE8ELNS1_3repE0EEENS1_59segmented_radix_sort_warp_sort_small_config_static_selectorELNS0_4arch9wavefront6targetE0EEEvSK_,comdat
.Lfunc_end1243:
	.size	_ZN7rocprim17ROCPRIM_400000_NS6detail17trampoline_kernelINS0_14default_configENS1_36segmented_radix_sort_config_selectorIdlEEZNS1_25segmented_radix_sort_implIS3_Lb0EPKdPdPKlPlN2at6native12_GLOBAL__N_18offset_tEEE10hipError_tPvRmT1_PNSt15iterator_traitsISK_E10value_typeET2_T3_PNSL_ISQ_E10value_typeET4_jRbjT5_SW_jjP12ihipStream_tbEUlT_E1_NS1_11comp_targetILNS1_3genE4ELNS1_11target_archE910ELNS1_3gpuE8ELNS1_3repE0EEENS1_59segmented_radix_sort_warp_sort_small_config_static_selectorELNS0_4arch9wavefront6targetE0EEEvSK_, .Lfunc_end1243-_ZN7rocprim17ROCPRIM_400000_NS6detail17trampoline_kernelINS0_14default_configENS1_36segmented_radix_sort_config_selectorIdlEEZNS1_25segmented_radix_sort_implIS3_Lb0EPKdPdPKlPlN2at6native12_GLOBAL__N_18offset_tEEE10hipError_tPvRmT1_PNSt15iterator_traitsISK_E10value_typeET2_T3_PNSL_ISQ_E10value_typeET4_jRbjT5_SW_jjP12ihipStream_tbEUlT_E1_NS1_11comp_targetILNS1_3genE4ELNS1_11target_archE910ELNS1_3gpuE8ELNS1_3repE0EEENS1_59segmented_radix_sort_warp_sort_small_config_static_selectorELNS0_4arch9wavefront6targetE0EEEvSK_
                                        ; -- End function
	.section	.AMDGPU.csdata,"",@progbits
; Kernel info:
; codeLenInByte = 0
; NumSgprs: 0
; NumVgprs: 0
; ScratchSize: 0
; MemoryBound: 0
; FloatMode: 240
; IeeeMode: 1
; LDSByteSize: 0 bytes/workgroup (compile time only)
; SGPRBlocks: 0
; VGPRBlocks: 0
; NumSGPRsForWavesPerEU: 1
; NumVGPRsForWavesPerEU: 1
; Occupancy: 16
; WaveLimiterHint : 0
; COMPUTE_PGM_RSRC2:SCRATCH_EN: 0
; COMPUTE_PGM_RSRC2:USER_SGPR: 15
; COMPUTE_PGM_RSRC2:TRAP_HANDLER: 0
; COMPUTE_PGM_RSRC2:TGID_X_EN: 1
; COMPUTE_PGM_RSRC2:TGID_Y_EN: 0
; COMPUTE_PGM_RSRC2:TGID_Z_EN: 0
; COMPUTE_PGM_RSRC2:TIDIG_COMP_CNT: 0
	.section	.text._ZN7rocprim17ROCPRIM_400000_NS6detail17trampoline_kernelINS0_14default_configENS1_36segmented_radix_sort_config_selectorIdlEEZNS1_25segmented_radix_sort_implIS3_Lb0EPKdPdPKlPlN2at6native12_GLOBAL__N_18offset_tEEE10hipError_tPvRmT1_PNSt15iterator_traitsISK_E10value_typeET2_T3_PNSL_ISQ_E10value_typeET4_jRbjT5_SW_jjP12ihipStream_tbEUlT_E1_NS1_11comp_targetILNS1_3genE3ELNS1_11target_archE908ELNS1_3gpuE7ELNS1_3repE0EEENS1_59segmented_radix_sort_warp_sort_small_config_static_selectorELNS0_4arch9wavefront6targetE0EEEvSK_,"axG",@progbits,_ZN7rocprim17ROCPRIM_400000_NS6detail17trampoline_kernelINS0_14default_configENS1_36segmented_radix_sort_config_selectorIdlEEZNS1_25segmented_radix_sort_implIS3_Lb0EPKdPdPKlPlN2at6native12_GLOBAL__N_18offset_tEEE10hipError_tPvRmT1_PNSt15iterator_traitsISK_E10value_typeET2_T3_PNSL_ISQ_E10value_typeET4_jRbjT5_SW_jjP12ihipStream_tbEUlT_E1_NS1_11comp_targetILNS1_3genE3ELNS1_11target_archE908ELNS1_3gpuE7ELNS1_3repE0EEENS1_59segmented_radix_sort_warp_sort_small_config_static_selectorELNS0_4arch9wavefront6targetE0EEEvSK_,comdat
	.globl	_ZN7rocprim17ROCPRIM_400000_NS6detail17trampoline_kernelINS0_14default_configENS1_36segmented_radix_sort_config_selectorIdlEEZNS1_25segmented_radix_sort_implIS3_Lb0EPKdPdPKlPlN2at6native12_GLOBAL__N_18offset_tEEE10hipError_tPvRmT1_PNSt15iterator_traitsISK_E10value_typeET2_T3_PNSL_ISQ_E10value_typeET4_jRbjT5_SW_jjP12ihipStream_tbEUlT_E1_NS1_11comp_targetILNS1_3genE3ELNS1_11target_archE908ELNS1_3gpuE7ELNS1_3repE0EEENS1_59segmented_radix_sort_warp_sort_small_config_static_selectorELNS0_4arch9wavefront6targetE0EEEvSK_ ; -- Begin function _ZN7rocprim17ROCPRIM_400000_NS6detail17trampoline_kernelINS0_14default_configENS1_36segmented_radix_sort_config_selectorIdlEEZNS1_25segmented_radix_sort_implIS3_Lb0EPKdPdPKlPlN2at6native12_GLOBAL__N_18offset_tEEE10hipError_tPvRmT1_PNSt15iterator_traitsISK_E10value_typeET2_T3_PNSL_ISQ_E10value_typeET4_jRbjT5_SW_jjP12ihipStream_tbEUlT_E1_NS1_11comp_targetILNS1_3genE3ELNS1_11target_archE908ELNS1_3gpuE7ELNS1_3repE0EEENS1_59segmented_radix_sort_warp_sort_small_config_static_selectorELNS0_4arch9wavefront6targetE0EEEvSK_
	.p2align	8
	.type	_ZN7rocprim17ROCPRIM_400000_NS6detail17trampoline_kernelINS0_14default_configENS1_36segmented_radix_sort_config_selectorIdlEEZNS1_25segmented_radix_sort_implIS3_Lb0EPKdPdPKlPlN2at6native12_GLOBAL__N_18offset_tEEE10hipError_tPvRmT1_PNSt15iterator_traitsISK_E10value_typeET2_T3_PNSL_ISQ_E10value_typeET4_jRbjT5_SW_jjP12ihipStream_tbEUlT_E1_NS1_11comp_targetILNS1_3genE3ELNS1_11target_archE908ELNS1_3gpuE7ELNS1_3repE0EEENS1_59segmented_radix_sort_warp_sort_small_config_static_selectorELNS0_4arch9wavefront6targetE0EEEvSK_,@function
_ZN7rocprim17ROCPRIM_400000_NS6detail17trampoline_kernelINS0_14default_configENS1_36segmented_radix_sort_config_selectorIdlEEZNS1_25segmented_radix_sort_implIS3_Lb0EPKdPdPKlPlN2at6native12_GLOBAL__N_18offset_tEEE10hipError_tPvRmT1_PNSt15iterator_traitsISK_E10value_typeET2_T3_PNSL_ISQ_E10value_typeET4_jRbjT5_SW_jjP12ihipStream_tbEUlT_E1_NS1_11comp_targetILNS1_3genE3ELNS1_11target_archE908ELNS1_3gpuE7ELNS1_3repE0EEENS1_59segmented_radix_sort_warp_sort_small_config_static_selectorELNS0_4arch9wavefront6targetE0EEEvSK_: ; @_ZN7rocprim17ROCPRIM_400000_NS6detail17trampoline_kernelINS0_14default_configENS1_36segmented_radix_sort_config_selectorIdlEEZNS1_25segmented_radix_sort_implIS3_Lb0EPKdPdPKlPlN2at6native12_GLOBAL__N_18offset_tEEE10hipError_tPvRmT1_PNSt15iterator_traitsISK_E10value_typeET2_T3_PNSL_ISQ_E10value_typeET4_jRbjT5_SW_jjP12ihipStream_tbEUlT_E1_NS1_11comp_targetILNS1_3genE3ELNS1_11target_archE908ELNS1_3gpuE7ELNS1_3repE0EEENS1_59segmented_radix_sort_warp_sort_small_config_static_selectorELNS0_4arch9wavefront6targetE0EEEvSK_
; %bb.0:
	.section	.rodata,"a",@progbits
	.p2align	6, 0x0
	.amdhsa_kernel _ZN7rocprim17ROCPRIM_400000_NS6detail17trampoline_kernelINS0_14default_configENS1_36segmented_radix_sort_config_selectorIdlEEZNS1_25segmented_radix_sort_implIS3_Lb0EPKdPdPKlPlN2at6native12_GLOBAL__N_18offset_tEEE10hipError_tPvRmT1_PNSt15iterator_traitsISK_E10value_typeET2_T3_PNSL_ISQ_E10value_typeET4_jRbjT5_SW_jjP12ihipStream_tbEUlT_E1_NS1_11comp_targetILNS1_3genE3ELNS1_11target_archE908ELNS1_3gpuE7ELNS1_3repE0EEENS1_59segmented_radix_sort_warp_sort_small_config_static_selectorELNS0_4arch9wavefront6targetE0EEEvSK_
		.amdhsa_group_segment_fixed_size 0
		.amdhsa_private_segment_fixed_size 0
		.amdhsa_kernarg_size 88
		.amdhsa_user_sgpr_count 15
		.amdhsa_user_sgpr_dispatch_ptr 0
		.amdhsa_user_sgpr_queue_ptr 0
		.amdhsa_user_sgpr_kernarg_segment_ptr 1
		.amdhsa_user_sgpr_dispatch_id 0
		.amdhsa_user_sgpr_private_segment_size 0
		.amdhsa_wavefront_size32 1
		.amdhsa_uses_dynamic_stack 0
		.amdhsa_enable_private_segment 0
		.amdhsa_system_sgpr_workgroup_id_x 1
		.amdhsa_system_sgpr_workgroup_id_y 0
		.amdhsa_system_sgpr_workgroup_id_z 0
		.amdhsa_system_sgpr_workgroup_info 0
		.amdhsa_system_vgpr_workitem_id 0
		.amdhsa_next_free_vgpr 1
		.amdhsa_next_free_sgpr 1
		.amdhsa_reserve_vcc 0
		.amdhsa_float_round_mode_32 0
		.amdhsa_float_round_mode_16_64 0
		.amdhsa_float_denorm_mode_32 3
		.amdhsa_float_denorm_mode_16_64 3
		.amdhsa_dx10_clamp 1
		.amdhsa_ieee_mode 1
		.amdhsa_fp16_overflow 0
		.amdhsa_workgroup_processor_mode 1
		.amdhsa_memory_ordered 1
		.amdhsa_forward_progress 0
		.amdhsa_shared_vgpr_count 0
		.amdhsa_exception_fp_ieee_invalid_op 0
		.amdhsa_exception_fp_denorm_src 0
		.amdhsa_exception_fp_ieee_div_zero 0
		.amdhsa_exception_fp_ieee_overflow 0
		.amdhsa_exception_fp_ieee_underflow 0
		.amdhsa_exception_fp_ieee_inexact 0
		.amdhsa_exception_int_div_zero 0
	.end_amdhsa_kernel
	.section	.text._ZN7rocprim17ROCPRIM_400000_NS6detail17trampoline_kernelINS0_14default_configENS1_36segmented_radix_sort_config_selectorIdlEEZNS1_25segmented_radix_sort_implIS3_Lb0EPKdPdPKlPlN2at6native12_GLOBAL__N_18offset_tEEE10hipError_tPvRmT1_PNSt15iterator_traitsISK_E10value_typeET2_T3_PNSL_ISQ_E10value_typeET4_jRbjT5_SW_jjP12ihipStream_tbEUlT_E1_NS1_11comp_targetILNS1_3genE3ELNS1_11target_archE908ELNS1_3gpuE7ELNS1_3repE0EEENS1_59segmented_radix_sort_warp_sort_small_config_static_selectorELNS0_4arch9wavefront6targetE0EEEvSK_,"axG",@progbits,_ZN7rocprim17ROCPRIM_400000_NS6detail17trampoline_kernelINS0_14default_configENS1_36segmented_radix_sort_config_selectorIdlEEZNS1_25segmented_radix_sort_implIS3_Lb0EPKdPdPKlPlN2at6native12_GLOBAL__N_18offset_tEEE10hipError_tPvRmT1_PNSt15iterator_traitsISK_E10value_typeET2_T3_PNSL_ISQ_E10value_typeET4_jRbjT5_SW_jjP12ihipStream_tbEUlT_E1_NS1_11comp_targetILNS1_3genE3ELNS1_11target_archE908ELNS1_3gpuE7ELNS1_3repE0EEENS1_59segmented_radix_sort_warp_sort_small_config_static_selectorELNS0_4arch9wavefront6targetE0EEEvSK_,comdat
.Lfunc_end1244:
	.size	_ZN7rocprim17ROCPRIM_400000_NS6detail17trampoline_kernelINS0_14default_configENS1_36segmented_radix_sort_config_selectorIdlEEZNS1_25segmented_radix_sort_implIS3_Lb0EPKdPdPKlPlN2at6native12_GLOBAL__N_18offset_tEEE10hipError_tPvRmT1_PNSt15iterator_traitsISK_E10value_typeET2_T3_PNSL_ISQ_E10value_typeET4_jRbjT5_SW_jjP12ihipStream_tbEUlT_E1_NS1_11comp_targetILNS1_3genE3ELNS1_11target_archE908ELNS1_3gpuE7ELNS1_3repE0EEENS1_59segmented_radix_sort_warp_sort_small_config_static_selectorELNS0_4arch9wavefront6targetE0EEEvSK_, .Lfunc_end1244-_ZN7rocprim17ROCPRIM_400000_NS6detail17trampoline_kernelINS0_14default_configENS1_36segmented_radix_sort_config_selectorIdlEEZNS1_25segmented_radix_sort_implIS3_Lb0EPKdPdPKlPlN2at6native12_GLOBAL__N_18offset_tEEE10hipError_tPvRmT1_PNSt15iterator_traitsISK_E10value_typeET2_T3_PNSL_ISQ_E10value_typeET4_jRbjT5_SW_jjP12ihipStream_tbEUlT_E1_NS1_11comp_targetILNS1_3genE3ELNS1_11target_archE908ELNS1_3gpuE7ELNS1_3repE0EEENS1_59segmented_radix_sort_warp_sort_small_config_static_selectorELNS0_4arch9wavefront6targetE0EEEvSK_
                                        ; -- End function
	.section	.AMDGPU.csdata,"",@progbits
; Kernel info:
; codeLenInByte = 0
; NumSgprs: 0
; NumVgprs: 0
; ScratchSize: 0
; MemoryBound: 0
; FloatMode: 240
; IeeeMode: 1
; LDSByteSize: 0 bytes/workgroup (compile time only)
; SGPRBlocks: 0
; VGPRBlocks: 0
; NumSGPRsForWavesPerEU: 1
; NumVGPRsForWavesPerEU: 1
; Occupancy: 16
; WaveLimiterHint : 0
; COMPUTE_PGM_RSRC2:SCRATCH_EN: 0
; COMPUTE_PGM_RSRC2:USER_SGPR: 15
; COMPUTE_PGM_RSRC2:TRAP_HANDLER: 0
; COMPUTE_PGM_RSRC2:TGID_X_EN: 1
; COMPUTE_PGM_RSRC2:TGID_Y_EN: 0
; COMPUTE_PGM_RSRC2:TGID_Z_EN: 0
; COMPUTE_PGM_RSRC2:TIDIG_COMP_CNT: 0
	.section	.text._ZN7rocprim17ROCPRIM_400000_NS6detail17trampoline_kernelINS0_14default_configENS1_36segmented_radix_sort_config_selectorIdlEEZNS1_25segmented_radix_sort_implIS3_Lb0EPKdPdPKlPlN2at6native12_GLOBAL__N_18offset_tEEE10hipError_tPvRmT1_PNSt15iterator_traitsISK_E10value_typeET2_T3_PNSL_ISQ_E10value_typeET4_jRbjT5_SW_jjP12ihipStream_tbEUlT_E1_NS1_11comp_targetILNS1_3genE2ELNS1_11target_archE906ELNS1_3gpuE6ELNS1_3repE0EEENS1_59segmented_radix_sort_warp_sort_small_config_static_selectorELNS0_4arch9wavefront6targetE0EEEvSK_,"axG",@progbits,_ZN7rocprim17ROCPRIM_400000_NS6detail17trampoline_kernelINS0_14default_configENS1_36segmented_radix_sort_config_selectorIdlEEZNS1_25segmented_radix_sort_implIS3_Lb0EPKdPdPKlPlN2at6native12_GLOBAL__N_18offset_tEEE10hipError_tPvRmT1_PNSt15iterator_traitsISK_E10value_typeET2_T3_PNSL_ISQ_E10value_typeET4_jRbjT5_SW_jjP12ihipStream_tbEUlT_E1_NS1_11comp_targetILNS1_3genE2ELNS1_11target_archE906ELNS1_3gpuE6ELNS1_3repE0EEENS1_59segmented_radix_sort_warp_sort_small_config_static_selectorELNS0_4arch9wavefront6targetE0EEEvSK_,comdat
	.globl	_ZN7rocprim17ROCPRIM_400000_NS6detail17trampoline_kernelINS0_14default_configENS1_36segmented_radix_sort_config_selectorIdlEEZNS1_25segmented_radix_sort_implIS3_Lb0EPKdPdPKlPlN2at6native12_GLOBAL__N_18offset_tEEE10hipError_tPvRmT1_PNSt15iterator_traitsISK_E10value_typeET2_T3_PNSL_ISQ_E10value_typeET4_jRbjT5_SW_jjP12ihipStream_tbEUlT_E1_NS1_11comp_targetILNS1_3genE2ELNS1_11target_archE906ELNS1_3gpuE6ELNS1_3repE0EEENS1_59segmented_radix_sort_warp_sort_small_config_static_selectorELNS0_4arch9wavefront6targetE0EEEvSK_ ; -- Begin function _ZN7rocprim17ROCPRIM_400000_NS6detail17trampoline_kernelINS0_14default_configENS1_36segmented_radix_sort_config_selectorIdlEEZNS1_25segmented_radix_sort_implIS3_Lb0EPKdPdPKlPlN2at6native12_GLOBAL__N_18offset_tEEE10hipError_tPvRmT1_PNSt15iterator_traitsISK_E10value_typeET2_T3_PNSL_ISQ_E10value_typeET4_jRbjT5_SW_jjP12ihipStream_tbEUlT_E1_NS1_11comp_targetILNS1_3genE2ELNS1_11target_archE906ELNS1_3gpuE6ELNS1_3repE0EEENS1_59segmented_radix_sort_warp_sort_small_config_static_selectorELNS0_4arch9wavefront6targetE0EEEvSK_
	.p2align	8
	.type	_ZN7rocprim17ROCPRIM_400000_NS6detail17trampoline_kernelINS0_14default_configENS1_36segmented_radix_sort_config_selectorIdlEEZNS1_25segmented_radix_sort_implIS3_Lb0EPKdPdPKlPlN2at6native12_GLOBAL__N_18offset_tEEE10hipError_tPvRmT1_PNSt15iterator_traitsISK_E10value_typeET2_T3_PNSL_ISQ_E10value_typeET4_jRbjT5_SW_jjP12ihipStream_tbEUlT_E1_NS1_11comp_targetILNS1_3genE2ELNS1_11target_archE906ELNS1_3gpuE6ELNS1_3repE0EEENS1_59segmented_radix_sort_warp_sort_small_config_static_selectorELNS0_4arch9wavefront6targetE0EEEvSK_,@function
_ZN7rocprim17ROCPRIM_400000_NS6detail17trampoline_kernelINS0_14default_configENS1_36segmented_radix_sort_config_selectorIdlEEZNS1_25segmented_radix_sort_implIS3_Lb0EPKdPdPKlPlN2at6native12_GLOBAL__N_18offset_tEEE10hipError_tPvRmT1_PNSt15iterator_traitsISK_E10value_typeET2_T3_PNSL_ISQ_E10value_typeET4_jRbjT5_SW_jjP12ihipStream_tbEUlT_E1_NS1_11comp_targetILNS1_3genE2ELNS1_11target_archE906ELNS1_3gpuE6ELNS1_3repE0EEENS1_59segmented_radix_sort_warp_sort_small_config_static_selectorELNS0_4arch9wavefront6targetE0EEEvSK_: ; @_ZN7rocprim17ROCPRIM_400000_NS6detail17trampoline_kernelINS0_14default_configENS1_36segmented_radix_sort_config_selectorIdlEEZNS1_25segmented_radix_sort_implIS3_Lb0EPKdPdPKlPlN2at6native12_GLOBAL__N_18offset_tEEE10hipError_tPvRmT1_PNSt15iterator_traitsISK_E10value_typeET2_T3_PNSL_ISQ_E10value_typeET4_jRbjT5_SW_jjP12ihipStream_tbEUlT_E1_NS1_11comp_targetILNS1_3genE2ELNS1_11target_archE906ELNS1_3gpuE6ELNS1_3repE0EEENS1_59segmented_radix_sort_warp_sort_small_config_static_selectorELNS0_4arch9wavefront6targetE0EEEvSK_
; %bb.0:
	.section	.rodata,"a",@progbits
	.p2align	6, 0x0
	.amdhsa_kernel _ZN7rocprim17ROCPRIM_400000_NS6detail17trampoline_kernelINS0_14default_configENS1_36segmented_radix_sort_config_selectorIdlEEZNS1_25segmented_radix_sort_implIS3_Lb0EPKdPdPKlPlN2at6native12_GLOBAL__N_18offset_tEEE10hipError_tPvRmT1_PNSt15iterator_traitsISK_E10value_typeET2_T3_PNSL_ISQ_E10value_typeET4_jRbjT5_SW_jjP12ihipStream_tbEUlT_E1_NS1_11comp_targetILNS1_3genE2ELNS1_11target_archE906ELNS1_3gpuE6ELNS1_3repE0EEENS1_59segmented_radix_sort_warp_sort_small_config_static_selectorELNS0_4arch9wavefront6targetE0EEEvSK_
		.amdhsa_group_segment_fixed_size 0
		.amdhsa_private_segment_fixed_size 0
		.amdhsa_kernarg_size 88
		.amdhsa_user_sgpr_count 15
		.amdhsa_user_sgpr_dispatch_ptr 0
		.amdhsa_user_sgpr_queue_ptr 0
		.amdhsa_user_sgpr_kernarg_segment_ptr 1
		.amdhsa_user_sgpr_dispatch_id 0
		.amdhsa_user_sgpr_private_segment_size 0
		.amdhsa_wavefront_size32 1
		.amdhsa_uses_dynamic_stack 0
		.amdhsa_enable_private_segment 0
		.amdhsa_system_sgpr_workgroup_id_x 1
		.amdhsa_system_sgpr_workgroup_id_y 0
		.amdhsa_system_sgpr_workgroup_id_z 0
		.amdhsa_system_sgpr_workgroup_info 0
		.amdhsa_system_vgpr_workitem_id 0
		.amdhsa_next_free_vgpr 1
		.amdhsa_next_free_sgpr 1
		.amdhsa_reserve_vcc 0
		.amdhsa_float_round_mode_32 0
		.amdhsa_float_round_mode_16_64 0
		.amdhsa_float_denorm_mode_32 3
		.amdhsa_float_denorm_mode_16_64 3
		.amdhsa_dx10_clamp 1
		.amdhsa_ieee_mode 1
		.amdhsa_fp16_overflow 0
		.amdhsa_workgroup_processor_mode 1
		.amdhsa_memory_ordered 1
		.amdhsa_forward_progress 0
		.amdhsa_shared_vgpr_count 0
		.amdhsa_exception_fp_ieee_invalid_op 0
		.amdhsa_exception_fp_denorm_src 0
		.amdhsa_exception_fp_ieee_div_zero 0
		.amdhsa_exception_fp_ieee_overflow 0
		.amdhsa_exception_fp_ieee_underflow 0
		.amdhsa_exception_fp_ieee_inexact 0
		.amdhsa_exception_int_div_zero 0
	.end_amdhsa_kernel
	.section	.text._ZN7rocprim17ROCPRIM_400000_NS6detail17trampoline_kernelINS0_14default_configENS1_36segmented_radix_sort_config_selectorIdlEEZNS1_25segmented_radix_sort_implIS3_Lb0EPKdPdPKlPlN2at6native12_GLOBAL__N_18offset_tEEE10hipError_tPvRmT1_PNSt15iterator_traitsISK_E10value_typeET2_T3_PNSL_ISQ_E10value_typeET4_jRbjT5_SW_jjP12ihipStream_tbEUlT_E1_NS1_11comp_targetILNS1_3genE2ELNS1_11target_archE906ELNS1_3gpuE6ELNS1_3repE0EEENS1_59segmented_radix_sort_warp_sort_small_config_static_selectorELNS0_4arch9wavefront6targetE0EEEvSK_,"axG",@progbits,_ZN7rocprim17ROCPRIM_400000_NS6detail17trampoline_kernelINS0_14default_configENS1_36segmented_radix_sort_config_selectorIdlEEZNS1_25segmented_radix_sort_implIS3_Lb0EPKdPdPKlPlN2at6native12_GLOBAL__N_18offset_tEEE10hipError_tPvRmT1_PNSt15iterator_traitsISK_E10value_typeET2_T3_PNSL_ISQ_E10value_typeET4_jRbjT5_SW_jjP12ihipStream_tbEUlT_E1_NS1_11comp_targetILNS1_3genE2ELNS1_11target_archE906ELNS1_3gpuE6ELNS1_3repE0EEENS1_59segmented_radix_sort_warp_sort_small_config_static_selectorELNS0_4arch9wavefront6targetE0EEEvSK_,comdat
.Lfunc_end1245:
	.size	_ZN7rocprim17ROCPRIM_400000_NS6detail17trampoline_kernelINS0_14default_configENS1_36segmented_radix_sort_config_selectorIdlEEZNS1_25segmented_radix_sort_implIS3_Lb0EPKdPdPKlPlN2at6native12_GLOBAL__N_18offset_tEEE10hipError_tPvRmT1_PNSt15iterator_traitsISK_E10value_typeET2_T3_PNSL_ISQ_E10value_typeET4_jRbjT5_SW_jjP12ihipStream_tbEUlT_E1_NS1_11comp_targetILNS1_3genE2ELNS1_11target_archE906ELNS1_3gpuE6ELNS1_3repE0EEENS1_59segmented_radix_sort_warp_sort_small_config_static_selectorELNS0_4arch9wavefront6targetE0EEEvSK_, .Lfunc_end1245-_ZN7rocprim17ROCPRIM_400000_NS6detail17trampoline_kernelINS0_14default_configENS1_36segmented_radix_sort_config_selectorIdlEEZNS1_25segmented_radix_sort_implIS3_Lb0EPKdPdPKlPlN2at6native12_GLOBAL__N_18offset_tEEE10hipError_tPvRmT1_PNSt15iterator_traitsISK_E10value_typeET2_T3_PNSL_ISQ_E10value_typeET4_jRbjT5_SW_jjP12ihipStream_tbEUlT_E1_NS1_11comp_targetILNS1_3genE2ELNS1_11target_archE906ELNS1_3gpuE6ELNS1_3repE0EEENS1_59segmented_radix_sort_warp_sort_small_config_static_selectorELNS0_4arch9wavefront6targetE0EEEvSK_
                                        ; -- End function
	.section	.AMDGPU.csdata,"",@progbits
; Kernel info:
; codeLenInByte = 0
; NumSgprs: 0
; NumVgprs: 0
; ScratchSize: 0
; MemoryBound: 0
; FloatMode: 240
; IeeeMode: 1
; LDSByteSize: 0 bytes/workgroup (compile time only)
; SGPRBlocks: 0
; VGPRBlocks: 0
; NumSGPRsForWavesPerEU: 1
; NumVGPRsForWavesPerEU: 1
; Occupancy: 16
; WaveLimiterHint : 0
; COMPUTE_PGM_RSRC2:SCRATCH_EN: 0
; COMPUTE_PGM_RSRC2:USER_SGPR: 15
; COMPUTE_PGM_RSRC2:TRAP_HANDLER: 0
; COMPUTE_PGM_RSRC2:TGID_X_EN: 1
; COMPUTE_PGM_RSRC2:TGID_Y_EN: 0
; COMPUTE_PGM_RSRC2:TGID_Z_EN: 0
; COMPUTE_PGM_RSRC2:TIDIG_COMP_CNT: 0
	.section	.text._ZN7rocprim17ROCPRIM_400000_NS6detail17trampoline_kernelINS0_14default_configENS1_36segmented_radix_sort_config_selectorIdlEEZNS1_25segmented_radix_sort_implIS3_Lb0EPKdPdPKlPlN2at6native12_GLOBAL__N_18offset_tEEE10hipError_tPvRmT1_PNSt15iterator_traitsISK_E10value_typeET2_T3_PNSL_ISQ_E10value_typeET4_jRbjT5_SW_jjP12ihipStream_tbEUlT_E1_NS1_11comp_targetILNS1_3genE10ELNS1_11target_archE1201ELNS1_3gpuE5ELNS1_3repE0EEENS1_59segmented_radix_sort_warp_sort_small_config_static_selectorELNS0_4arch9wavefront6targetE0EEEvSK_,"axG",@progbits,_ZN7rocprim17ROCPRIM_400000_NS6detail17trampoline_kernelINS0_14default_configENS1_36segmented_radix_sort_config_selectorIdlEEZNS1_25segmented_radix_sort_implIS3_Lb0EPKdPdPKlPlN2at6native12_GLOBAL__N_18offset_tEEE10hipError_tPvRmT1_PNSt15iterator_traitsISK_E10value_typeET2_T3_PNSL_ISQ_E10value_typeET4_jRbjT5_SW_jjP12ihipStream_tbEUlT_E1_NS1_11comp_targetILNS1_3genE10ELNS1_11target_archE1201ELNS1_3gpuE5ELNS1_3repE0EEENS1_59segmented_radix_sort_warp_sort_small_config_static_selectorELNS0_4arch9wavefront6targetE0EEEvSK_,comdat
	.globl	_ZN7rocprim17ROCPRIM_400000_NS6detail17trampoline_kernelINS0_14default_configENS1_36segmented_radix_sort_config_selectorIdlEEZNS1_25segmented_radix_sort_implIS3_Lb0EPKdPdPKlPlN2at6native12_GLOBAL__N_18offset_tEEE10hipError_tPvRmT1_PNSt15iterator_traitsISK_E10value_typeET2_T3_PNSL_ISQ_E10value_typeET4_jRbjT5_SW_jjP12ihipStream_tbEUlT_E1_NS1_11comp_targetILNS1_3genE10ELNS1_11target_archE1201ELNS1_3gpuE5ELNS1_3repE0EEENS1_59segmented_radix_sort_warp_sort_small_config_static_selectorELNS0_4arch9wavefront6targetE0EEEvSK_ ; -- Begin function _ZN7rocprim17ROCPRIM_400000_NS6detail17trampoline_kernelINS0_14default_configENS1_36segmented_radix_sort_config_selectorIdlEEZNS1_25segmented_radix_sort_implIS3_Lb0EPKdPdPKlPlN2at6native12_GLOBAL__N_18offset_tEEE10hipError_tPvRmT1_PNSt15iterator_traitsISK_E10value_typeET2_T3_PNSL_ISQ_E10value_typeET4_jRbjT5_SW_jjP12ihipStream_tbEUlT_E1_NS1_11comp_targetILNS1_3genE10ELNS1_11target_archE1201ELNS1_3gpuE5ELNS1_3repE0EEENS1_59segmented_radix_sort_warp_sort_small_config_static_selectorELNS0_4arch9wavefront6targetE0EEEvSK_
	.p2align	8
	.type	_ZN7rocprim17ROCPRIM_400000_NS6detail17trampoline_kernelINS0_14default_configENS1_36segmented_radix_sort_config_selectorIdlEEZNS1_25segmented_radix_sort_implIS3_Lb0EPKdPdPKlPlN2at6native12_GLOBAL__N_18offset_tEEE10hipError_tPvRmT1_PNSt15iterator_traitsISK_E10value_typeET2_T3_PNSL_ISQ_E10value_typeET4_jRbjT5_SW_jjP12ihipStream_tbEUlT_E1_NS1_11comp_targetILNS1_3genE10ELNS1_11target_archE1201ELNS1_3gpuE5ELNS1_3repE0EEENS1_59segmented_radix_sort_warp_sort_small_config_static_selectorELNS0_4arch9wavefront6targetE0EEEvSK_,@function
_ZN7rocprim17ROCPRIM_400000_NS6detail17trampoline_kernelINS0_14default_configENS1_36segmented_radix_sort_config_selectorIdlEEZNS1_25segmented_radix_sort_implIS3_Lb0EPKdPdPKlPlN2at6native12_GLOBAL__N_18offset_tEEE10hipError_tPvRmT1_PNSt15iterator_traitsISK_E10value_typeET2_T3_PNSL_ISQ_E10value_typeET4_jRbjT5_SW_jjP12ihipStream_tbEUlT_E1_NS1_11comp_targetILNS1_3genE10ELNS1_11target_archE1201ELNS1_3gpuE5ELNS1_3repE0EEENS1_59segmented_radix_sort_warp_sort_small_config_static_selectorELNS0_4arch9wavefront6targetE0EEEvSK_: ; @_ZN7rocprim17ROCPRIM_400000_NS6detail17trampoline_kernelINS0_14default_configENS1_36segmented_radix_sort_config_selectorIdlEEZNS1_25segmented_radix_sort_implIS3_Lb0EPKdPdPKlPlN2at6native12_GLOBAL__N_18offset_tEEE10hipError_tPvRmT1_PNSt15iterator_traitsISK_E10value_typeET2_T3_PNSL_ISQ_E10value_typeET4_jRbjT5_SW_jjP12ihipStream_tbEUlT_E1_NS1_11comp_targetILNS1_3genE10ELNS1_11target_archE1201ELNS1_3gpuE5ELNS1_3repE0EEENS1_59segmented_radix_sort_warp_sort_small_config_static_selectorELNS0_4arch9wavefront6targetE0EEEvSK_
; %bb.0:
	.section	.rodata,"a",@progbits
	.p2align	6, 0x0
	.amdhsa_kernel _ZN7rocprim17ROCPRIM_400000_NS6detail17trampoline_kernelINS0_14default_configENS1_36segmented_radix_sort_config_selectorIdlEEZNS1_25segmented_radix_sort_implIS3_Lb0EPKdPdPKlPlN2at6native12_GLOBAL__N_18offset_tEEE10hipError_tPvRmT1_PNSt15iterator_traitsISK_E10value_typeET2_T3_PNSL_ISQ_E10value_typeET4_jRbjT5_SW_jjP12ihipStream_tbEUlT_E1_NS1_11comp_targetILNS1_3genE10ELNS1_11target_archE1201ELNS1_3gpuE5ELNS1_3repE0EEENS1_59segmented_radix_sort_warp_sort_small_config_static_selectorELNS0_4arch9wavefront6targetE0EEEvSK_
		.amdhsa_group_segment_fixed_size 0
		.amdhsa_private_segment_fixed_size 0
		.amdhsa_kernarg_size 88
		.amdhsa_user_sgpr_count 15
		.amdhsa_user_sgpr_dispatch_ptr 0
		.amdhsa_user_sgpr_queue_ptr 0
		.amdhsa_user_sgpr_kernarg_segment_ptr 1
		.amdhsa_user_sgpr_dispatch_id 0
		.amdhsa_user_sgpr_private_segment_size 0
		.amdhsa_wavefront_size32 1
		.amdhsa_uses_dynamic_stack 0
		.amdhsa_enable_private_segment 0
		.amdhsa_system_sgpr_workgroup_id_x 1
		.amdhsa_system_sgpr_workgroup_id_y 0
		.amdhsa_system_sgpr_workgroup_id_z 0
		.amdhsa_system_sgpr_workgroup_info 0
		.amdhsa_system_vgpr_workitem_id 0
		.amdhsa_next_free_vgpr 1
		.amdhsa_next_free_sgpr 1
		.amdhsa_reserve_vcc 0
		.amdhsa_float_round_mode_32 0
		.amdhsa_float_round_mode_16_64 0
		.amdhsa_float_denorm_mode_32 3
		.amdhsa_float_denorm_mode_16_64 3
		.amdhsa_dx10_clamp 1
		.amdhsa_ieee_mode 1
		.amdhsa_fp16_overflow 0
		.amdhsa_workgroup_processor_mode 1
		.amdhsa_memory_ordered 1
		.amdhsa_forward_progress 0
		.amdhsa_shared_vgpr_count 0
		.amdhsa_exception_fp_ieee_invalid_op 0
		.amdhsa_exception_fp_denorm_src 0
		.amdhsa_exception_fp_ieee_div_zero 0
		.amdhsa_exception_fp_ieee_overflow 0
		.amdhsa_exception_fp_ieee_underflow 0
		.amdhsa_exception_fp_ieee_inexact 0
		.amdhsa_exception_int_div_zero 0
	.end_amdhsa_kernel
	.section	.text._ZN7rocprim17ROCPRIM_400000_NS6detail17trampoline_kernelINS0_14default_configENS1_36segmented_radix_sort_config_selectorIdlEEZNS1_25segmented_radix_sort_implIS3_Lb0EPKdPdPKlPlN2at6native12_GLOBAL__N_18offset_tEEE10hipError_tPvRmT1_PNSt15iterator_traitsISK_E10value_typeET2_T3_PNSL_ISQ_E10value_typeET4_jRbjT5_SW_jjP12ihipStream_tbEUlT_E1_NS1_11comp_targetILNS1_3genE10ELNS1_11target_archE1201ELNS1_3gpuE5ELNS1_3repE0EEENS1_59segmented_radix_sort_warp_sort_small_config_static_selectorELNS0_4arch9wavefront6targetE0EEEvSK_,"axG",@progbits,_ZN7rocprim17ROCPRIM_400000_NS6detail17trampoline_kernelINS0_14default_configENS1_36segmented_radix_sort_config_selectorIdlEEZNS1_25segmented_radix_sort_implIS3_Lb0EPKdPdPKlPlN2at6native12_GLOBAL__N_18offset_tEEE10hipError_tPvRmT1_PNSt15iterator_traitsISK_E10value_typeET2_T3_PNSL_ISQ_E10value_typeET4_jRbjT5_SW_jjP12ihipStream_tbEUlT_E1_NS1_11comp_targetILNS1_3genE10ELNS1_11target_archE1201ELNS1_3gpuE5ELNS1_3repE0EEENS1_59segmented_radix_sort_warp_sort_small_config_static_selectorELNS0_4arch9wavefront6targetE0EEEvSK_,comdat
.Lfunc_end1246:
	.size	_ZN7rocprim17ROCPRIM_400000_NS6detail17trampoline_kernelINS0_14default_configENS1_36segmented_radix_sort_config_selectorIdlEEZNS1_25segmented_radix_sort_implIS3_Lb0EPKdPdPKlPlN2at6native12_GLOBAL__N_18offset_tEEE10hipError_tPvRmT1_PNSt15iterator_traitsISK_E10value_typeET2_T3_PNSL_ISQ_E10value_typeET4_jRbjT5_SW_jjP12ihipStream_tbEUlT_E1_NS1_11comp_targetILNS1_3genE10ELNS1_11target_archE1201ELNS1_3gpuE5ELNS1_3repE0EEENS1_59segmented_radix_sort_warp_sort_small_config_static_selectorELNS0_4arch9wavefront6targetE0EEEvSK_, .Lfunc_end1246-_ZN7rocprim17ROCPRIM_400000_NS6detail17trampoline_kernelINS0_14default_configENS1_36segmented_radix_sort_config_selectorIdlEEZNS1_25segmented_radix_sort_implIS3_Lb0EPKdPdPKlPlN2at6native12_GLOBAL__N_18offset_tEEE10hipError_tPvRmT1_PNSt15iterator_traitsISK_E10value_typeET2_T3_PNSL_ISQ_E10value_typeET4_jRbjT5_SW_jjP12ihipStream_tbEUlT_E1_NS1_11comp_targetILNS1_3genE10ELNS1_11target_archE1201ELNS1_3gpuE5ELNS1_3repE0EEENS1_59segmented_radix_sort_warp_sort_small_config_static_selectorELNS0_4arch9wavefront6targetE0EEEvSK_
                                        ; -- End function
	.section	.AMDGPU.csdata,"",@progbits
; Kernel info:
; codeLenInByte = 0
; NumSgprs: 0
; NumVgprs: 0
; ScratchSize: 0
; MemoryBound: 0
; FloatMode: 240
; IeeeMode: 1
; LDSByteSize: 0 bytes/workgroup (compile time only)
; SGPRBlocks: 0
; VGPRBlocks: 0
; NumSGPRsForWavesPerEU: 1
; NumVGPRsForWavesPerEU: 1
; Occupancy: 16
; WaveLimiterHint : 0
; COMPUTE_PGM_RSRC2:SCRATCH_EN: 0
; COMPUTE_PGM_RSRC2:USER_SGPR: 15
; COMPUTE_PGM_RSRC2:TRAP_HANDLER: 0
; COMPUTE_PGM_RSRC2:TGID_X_EN: 1
; COMPUTE_PGM_RSRC2:TGID_Y_EN: 0
; COMPUTE_PGM_RSRC2:TGID_Z_EN: 0
; COMPUTE_PGM_RSRC2:TIDIG_COMP_CNT: 0
	.section	.text._ZN7rocprim17ROCPRIM_400000_NS6detail17trampoline_kernelINS0_14default_configENS1_36segmented_radix_sort_config_selectorIdlEEZNS1_25segmented_radix_sort_implIS3_Lb0EPKdPdPKlPlN2at6native12_GLOBAL__N_18offset_tEEE10hipError_tPvRmT1_PNSt15iterator_traitsISK_E10value_typeET2_T3_PNSL_ISQ_E10value_typeET4_jRbjT5_SW_jjP12ihipStream_tbEUlT_E1_NS1_11comp_targetILNS1_3genE10ELNS1_11target_archE1200ELNS1_3gpuE4ELNS1_3repE0EEENS1_59segmented_radix_sort_warp_sort_small_config_static_selectorELNS0_4arch9wavefront6targetE0EEEvSK_,"axG",@progbits,_ZN7rocprim17ROCPRIM_400000_NS6detail17trampoline_kernelINS0_14default_configENS1_36segmented_radix_sort_config_selectorIdlEEZNS1_25segmented_radix_sort_implIS3_Lb0EPKdPdPKlPlN2at6native12_GLOBAL__N_18offset_tEEE10hipError_tPvRmT1_PNSt15iterator_traitsISK_E10value_typeET2_T3_PNSL_ISQ_E10value_typeET4_jRbjT5_SW_jjP12ihipStream_tbEUlT_E1_NS1_11comp_targetILNS1_3genE10ELNS1_11target_archE1200ELNS1_3gpuE4ELNS1_3repE0EEENS1_59segmented_radix_sort_warp_sort_small_config_static_selectorELNS0_4arch9wavefront6targetE0EEEvSK_,comdat
	.globl	_ZN7rocprim17ROCPRIM_400000_NS6detail17trampoline_kernelINS0_14default_configENS1_36segmented_radix_sort_config_selectorIdlEEZNS1_25segmented_radix_sort_implIS3_Lb0EPKdPdPKlPlN2at6native12_GLOBAL__N_18offset_tEEE10hipError_tPvRmT1_PNSt15iterator_traitsISK_E10value_typeET2_T3_PNSL_ISQ_E10value_typeET4_jRbjT5_SW_jjP12ihipStream_tbEUlT_E1_NS1_11comp_targetILNS1_3genE10ELNS1_11target_archE1200ELNS1_3gpuE4ELNS1_3repE0EEENS1_59segmented_radix_sort_warp_sort_small_config_static_selectorELNS0_4arch9wavefront6targetE0EEEvSK_ ; -- Begin function _ZN7rocprim17ROCPRIM_400000_NS6detail17trampoline_kernelINS0_14default_configENS1_36segmented_radix_sort_config_selectorIdlEEZNS1_25segmented_radix_sort_implIS3_Lb0EPKdPdPKlPlN2at6native12_GLOBAL__N_18offset_tEEE10hipError_tPvRmT1_PNSt15iterator_traitsISK_E10value_typeET2_T3_PNSL_ISQ_E10value_typeET4_jRbjT5_SW_jjP12ihipStream_tbEUlT_E1_NS1_11comp_targetILNS1_3genE10ELNS1_11target_archE1200ELNS1_3gpuE4ELNS1_3repE0EEENS1_59segmented_radix_sort_warp_sort_small_config_static_selectorELNS0_4arch9wavefront6targetE0EEEvSK_
	.p2align	8
	.type	_ZN7rocprim17ROCPRIM_400000_NS6detail17trampoline_kernelINS0_14default_configENS1_36segmented_radix_sort_config_selectorIdlEEZNS1_25segmented_radix_sort_implIS3_Lb0EPKdPdPKlPlN2at6native12_GLOBAL__N_18offset_tEEE10hipError_tPvRmT1_PNSt15iterator_traitsISK_E10value_typeET2_T3_PNSL_ISQ_E10value_typeET4_jRbjT5_SW_jjP12ihipStream_tbEUlT_E1_NS1_11comp_targetILNS1_3genE10ELNS1_11target_archE1200ELNS1_3gpuE4ELNS1_3repE0EEENS1_59segmented_radix_sort_warp_sort_small_config_static_selectorELNS0_4arch9wavefront6targetE0EEEvSK_,@function
_ZN7rocprim17ROCPRIM_400000_NS6detail17trampoline_kernelINS0_14default_configENS1_36segmented_radix_sort_config_selectorIdlEEZNS1_25segmented_radix_sort_implIS3_Lb0EPKdPdPKlPlN2at6native12_GLOBAL__N_18offset_tEEE10hipError_tPvRmT1_PNSt15iterator_traitsISK_E10value_typeET2_T3_PNSL_ISQ_E10value_typeET4_jRbjT5_SW_jjP12ihipStream_tbEUlT_E1_NS1_11comp_targetILNS1_3genE10ELNS1_11target_archE1200ELNS1_3gpuE4ELNS1_3repE0EEENS1_59segmented_radix_sort_warp_sort_small_config_static_selectorELNS0_4arch9wavefront6targetE0EEEvSK_: ; @_ZN7rocprim17ROCPRIM_400000_NS6detail17trampoline_kernelINS0_14default_configENS1_36segmented_radix_sort_config_selectorIdlEEZNS1_25segmented_radix_sort_implIS3_Lb0EPKdPdPKlPlN2at6native12_GLOBAL__N_18offset_tEEE10hipError_tPvRmT1_PNSt15iterator_traitsISK_E10value_typeET2_T3_PNSL_ISQ_E10value_typeET4_jRbjT5_SW_jjP12ihipStream_tbEUlT_E1_NS1_11comp_targetILNS1_3genE10ELNS1_11target_archE1200ELNS1_3gpuE4ELNS1_3repE0EEENS1_59segmented_radix_sort_warp_sort_small_config_static_selectorELNS0_4arch9wavefront6targetE0EEEvSK_
; %bb.0:
	.section	.rodata,"a",@progbits
	.p2align	6, 0x0
	.amdhsa_kernel _ZN7rocprim17ROCPRIM_400000_NS6detail17trampoline_kernelINS0_14default_configENS1_36segmented_radix_sort_config_selectorIdlEEZNS1_25segmented_radix_sort_implIS3_Lb0EPKdPdPKlPlN2at6native12_GLOBAL__N_18offset_tEEE10hipError_tPvRmT1_PNSt15iterator_traitsISK_E10value_typeET2_T3_PNSL_ISQ_E10value_typeET4_jRbjT5_SW_jjP12ihipStream_tbEUlT_E1_NS1_11comp_targetILNS1_3genE10ELNS1_11target_archE1200ELNS1_3gpuE4ELNS1_3repE0EEENS1_59segmented_radix_sort_warp_sort_small_config_static_selectorELNS0_4arch9wavefront6targetE0EEEvSK_
		.amdhsa_group_segment_fixed_size 0
		.amdhsa_private_segment_fixed_size 0
		.amdhsa_kernarg_size 88
		.amdhsa_user_sgpr_count 15
		.amdhsa_user_sgpr_dispatch_ptr 0
		.amdhsa_user_sgpr_queue_ptr 0
		.amdhsa_user_sgpr_kernarg_segment_ptr 1
		.amdhsa_user_sgpr_dispatch_id 0
		.amdhsa_user_sgpr_private_segment_size 0
		.amdhsa_wavefront_size32 1
		.amdhsa_uses_dynamic_stack 0
		.amdhsa_enable_private_segment 0
		.amdhsa_system_sgpr_workgroup_id_x 1
		.amdhsa_system_sgpr_workgroup_id_y 0
		.amdhsa_system_sgpr_workgroup_id_z 0
		.amdhsa_system_sgpr_workgroup_info 0
		.amdhsa_system_vgpr_workitem_id 0
		.amdhsa_next_free_vgpr 1
		.amdhsa_next_free_sgpr 1
		.amdhsa_reserve_vcc 0
		.amdhsa_float_round_mode_32 0
		.amdhsa_float_round_mode_16_64 0
		.amdhsa_float_denorm_mode_32 3
		.amdhsa_float_denorm_mode_16_64 3
		.amdhsa_dx10_clamp 1
		.amdhsa_ieee_mode 1
		.amdhsa_fp16_overflow 0
		.amdhsa_workgroup_processor_mode 1
		.amdhsa_memory_ordered 1
		.amdhsa_forward_progress 0
		.amdhsa_shared_vgpr_count 0
		.amdhsa_exception_fp_ieee_invalid_op 0
		.amdhsa_exception_fp_denorm_src 0
		.amdhsa_exception_fp_ieee_div_zero 0
		.amdhsa_exception_fp_ieee_overflow 0
		.amdhsa_exception_fp_ieee_underflow 0
		.amdhsa_exception_fp_ieee_inexact 0
		.amdhsa_exception_int_div_zero 0
	.end_amdhsa_kernel
	.section	.text._ZN7rocprim17ROCPRIM_400000_NS6detail17trampoline_kernelINS0_14default_configENS1_36segmented_radix_sort_config_selectorIdlEEZNS1_25segmented_radix_sort_implIS3_Lb0EPKdPdPKlPlN2at6native12_GLOBAL__N_18offset_tEEE10hipError_tPvRmT1_PNSt15iterator_traitsISK_E10value_typeET2_T3_PNSL_ISQ_E10value_typeET4_jRbjT5_SW_jjP12ihipStream_tbEUlT_E1_NS1_11comp_targetILNS1_3genE10ELNS1_11target_archE1200ELNS1_3gpuE4ELNS1_3repE0EEENS1_59segmented_radix_sort_warp_sort_small_config_static_selectorELNS0_4arch9wavefront6targetE0EEEvSK_,"axG",@progbits,_ZN7rocprim17ROCPRIM_400000_NS6detail17trampoline_kernelINS0_14default_configENS1_36segmented_radix_sort_config_selectorIdlEEZNS1_25segmented_radix_sort_implIS3_Lb0EPKdPdPKlPlN2at6native12_GLOBAL__N_18offset_tEEE10hipError_tPvRmT1_PNSt15iterator_traitsISK_E10value_typeET2_T3_PNSL_ISQ_E10value_typeET4_jRbjT5_SW_jjP12ihipStream_tbEUlT_E1_NS1_11comp_targetILNS1_3genE10ELNS1_11target_archE1200ELNS1_3gpuE4ELNS1_3repE0EEENS1_59segmented_radix_sort_warp_sort_small_config_static_selectorELNS0_4arch9wavefront6targetE0EEEvSK_,comdat
.Lfunc_end1247:
	.size	_ZN7rocprim17ROCPRIM_400000_NS6detail17trampoline_kernelINS0_14default_configENS1_36segmented_radix_sort_config_selectorIdlEEZNS1_25segmented_radix_sort_implIS3_Lb0EPKdPdPKlPlN2at6native12_GLOBAL__N_18offset_tEEE10hipError_tPvRmT1_PNSt15iterator_traitsISK_E10value_typeET2_T3_PNSL_ISQ_E10value_typeET4_jRbjT5_SW_jjP12ihipStream_tbEUlT_E1_NS1_11comp_targetILNS1_3genE10ELNS1_11target_archE1200ELNS1_3gpuE4ELNS1_3repE0EEENS1_59segmented_radix_sort_warp_sort_small_config_static_selectorELNS0_4arch9wavefront6targetE0EEEvSK_, .Lfunc_end1247-_ZN7rocprim17ROCPRIM_400000_NS6detail17trampoline_kernelINS0_14default_configENS1_36segmented_radix_sort_config_selectorIdlEEZNS1_25segmented_radix_sort_implIS3_Lb0EPKdPdPKlPlN2at6native12_GLOBAL__N_18offset_tEEE10hipError_tPvRmT1_PNSt15iterator_traitsISK_E10value_typeET2_T3_PNSL_ISQ_E10value_typeET4_jRbjT5_SW_jjP12ihipStream_tbEUlT_E1_NS1_11comp_targetILNS1_3genE10ELNS1_11target_archE1200ELNS1_3gpuE4ELNS1_3repE0EEENS1_59segmented_radix_sort_warp_sort_small_config_static_selectorELNS0_4arch9wavefront6targetE0EEEvSK_
                                        ; -- End function
	.section	.AMDGPU.csdata,"",@progbits
; Kernel info:
; codeLenInByte = 0
; NumSgprs: 0
; NumVgprs: 0
; ScratchSize: 0
; MemoryBound: 0
; FloatMode: 240
; IeeeMode: 1
; LDSByteSize: 0 bytes/workgroup (compile time only)
; SGPRBlocks: 0
; VGPRBlocks: 0
; NumSGPRsForWavesPerEU: 1
; NumVGPRsForWavesPerEU: 1
; Occupancy: 16
; WaveLimiterHint : 0
; COMPUTE_PGM_RSRC2:SCRATCH_EN: 0
; COMPUTE_PGM_RSRC2:USER_SGPR: 15
; COMPUTE_PGM_RSRC2:TRAP_HANDLER: 0
; COMPUTE_PGM_RSRC2:TGID_X_EN: 1
; COMPUTE_PGM_RSRC2:TGID_Y_EN: 0
; COMPUTE_PGM_RSRC2:TGID_Z_EN: 0
; COMPUTE_PGM_RSRC2:TIDIG_COMP_CNT: 0
	.text
	.p2align	2                               ; -- Begin function _ZN7rocprim17ROCPRIM_400000_NS6detail26segmented_warp_sort_helperINS1_20WarpSortHelperConfigILj8ELj4ELj256EEEdlLi256ELb0EvE4sortIPKdPdPKlPlEEvT_S9_T0_T1_SC_T2_bjjjjRNS5_12storage_typeE
	.type	_ZN7rocprim17ROCPRIM_400000_NS6detail26segmented_warp_sort_helperINS1_20WarpSortHelperConfigILj8ELj4ELj256EEEdlLi256ELb0EvE4sortIPKdPdPKlPlEEvT_S9_T0_T1_SC_T2_bjjjjRNS5_12storage_typeE,@function
_ZN7rocprim17ROCPRIM_400000_NS6detail26segmented_warp_sort_helperINS1_20WarpSortHelperConfigILj8ELj4ELj256EEEdlLi256ELb0EvE4sortIPKdPdPKlPlEEvT_S9_T0_T1_SC_T2_bjjjjRNS5_12storage_typeE: ; @_ZN7rocprim17ROCPRIM_400000_NS6detail26segmented_warp_sort_helperINS1_20WarpSortHelperConfigILj8ELj4ELj256EEEdlLi256ELb0EvE4sortIPKdPdPKlPlEEvT_S9_T0_T1_SC_T2_bjjjjRNS5_12storage_typeE
; %bb.0:
	s_waitcnt vmcnt(0) expcnt(0) lgkmcnt(0)
	v_mov_b32_e32 v17, v14
	v_mbcnt_lo_u32_b32 v14, -1, 0
	v_and_b32_e32 v12, 1, v12
	s_mov_b32 s4, -1
	s_mov_b32 s6, 0
	s_delay_alu instid0(VALU_DEP_2) | instskip(NEXT) | instid1(VALU_DEP_2)
	v_dual_mov_b32 v14, 0 :: v_dual_lshlrev_b32 v81, 2, v14
	v_cmp_eq_u32_e64 s0, 1, v12
	v_sub_nc_u32_e32 v12, v17, v13
                                        ; implicit-def: $vgpr17_vgpr18_vgpr19_vgpr20_vgpr21_vgpr22_vgpr23_vgpr24
	s_delay_alu instid0(VALU_DEP_3) | instskip(NEXT) | instid1(VALU_DEP_4)
	v_and_b32_e32 v82, 28, v81
	v_lshlrev_b64 v[68:69], 3, v[13:14]
	s_delay_alu instid0(VALU_DEP_4) | instskip(NEXT) | instid1(VALU_DEP_2)
	s_xor_b32 s0, s0, -1
	v_lshlrev_b32_e32 v80, 3, v82
	s_delay_alu instid0(VALU_DEP_2) | instskip(NEXT) | instid1(VALU_DEP_3)
	v_add_co_u32 v0, vcc_lo, v0, v68
	v_add_co_ci_u32_e32 v1, vcc_lo, v1, v69, vcc_lo
	s_delay_alu instid0(VALU_DEP_2) | instskip(NEXT) | instid1(VALU_DEP_2)
	v_add_co_u32 v25, vcc_lo, v0, v80
	v_add_co_ci_u32_e32 v26, vcc_lo, 0, v1, vcc_lo
	v_cmp_lt_u32_e32 vcc_lo, v82, v12
	s_and_saveexec_b32 s1, s0
	s_delay_alu instid0(SALU_CYCLE_1)
	s_xor_b32 s7, exec_lo, s1
	s_cbranch_execnz .LBB1248_4
; %bb.1:
	s_and_not1_saveexec_b32 s7, s7
	s_cbranch_execnz .LBB1248_111
.LBB1248_2:
	s_or_b32 exec_lo, exec_lo, s7
	s_and_saveexec_b32 s0, s6
	s_cbranch_execnz .LBB1248_218
.LBB1248_3:
	s_or_b32 exec_lo, exec_lo, s0
	s_waitcnt lgkmcnt(0)
	s_setpc_b64 s[30:31]
.LBB1248_4:
	s_brev_b32 s5, -2
	s_delay_alu instid0(SALU_CYCLE_1)
	v_dual_mov_b32 v65, s5 :: v_dual_mov_b32 v64, s4
	s_and_saveexec_b32 s0, vcc_lo
	s_cbranch_execz .LBB1248_6
; %bb.5:
	flat_load_b64 v[64:65], v[25:26]
.LBB1248_6:
	s_or_b32 exec_lo, exec_lo, s0
	v_or_b32_e32 v0, 1, v82
	v_dual_mov_b32 v67, s5 :: v_dual_mov_b32 v66, s4
	s_delay_alu instid0(VALU_DEP_2) | instskip(NEXT) | instid1(VALU_DEP_1)
	v_cmp_lt_u32_e64 s0, v0, v12
	s_and_saveexec_b32 s1, s0
	s_cbranch_execz .LBB1248_8
; %bb.7:
	flat_load_b64 v[66:67], v[25:26] offset:8
.LBB1248_8:
	s_or_b32 exec_lo, exec_lo, s1
	v_or_b32_e32 v0, 2, v82
	v_dual_mov_b32 v11, s5 :: v_dual_mov_b32 v10, s4
	s_delay_alu instid0(VALU_DEP_2) | instskip(NEXT) | instid1(VALU_DEP_1)
	v_cmp_lt_u32_e64 s1, v0, v12
	s_and_saveexec_b32 s2, s1
	s_cbranch_execz .LBB1248_10
; %bb.9:
	flat_load_b64 v[10:11], v[25:26] offset:16
.LBB1248_10:
	s_or_b32 exec_lo, exec_lo, s2
	v_or_b32_e32 v0, 3, v82
	s_delay_alu instid0(VALU_DEP_1) | instskip(SKIP_1) | instid1(VALU_DEP_2)
	v_cmp_lt_u32_e64 s2, v0, v12
	v_dual_mov_b32 v13, s5 :: v_dual_mov_b32 v12, s4
	s_and_saveexec_b32 s3, s2
	s_cbranch_execz .LBB1248_12
; %bb.11:
	flat_load_b64 v[12:13], v[25:26] offset:24
.LBB1248_12:
	s_or_b32 exec_lo, exec_lo, s3
	v_add_co_u32 v0, s3, v6, v68
	s_delay_alu instid0(VALU_DEP_1) | instskip(NEXT) | instid1(VALU_DEP_2)
	v_add_co_ci_u32_e64 v1, s3, v7, v69, s3
	v_add_co_u32 v0, s3, v0, v80
	s_delay_alu instid0(VALU_DEP_1)
	v_add_co_ci_u32_e64 v1, s3, 0, v1, s3
	; wave barrier
                                        ; implicit-def: $vgpr17_vgpr18_vgpr19_vgpr20_vgpr21_vgpr22_vgpr23_vgpr24
	s_and_saveexec_b32 s3, vcc_lo
	s_cbranch_execnz .LBB1248_219
; %bb.13:
	s_or_b32 exec_lo, exec_lo, s3
	s_and_saveexec_b32 s3, s0
	s_cbranch_execnz .LBB1248_220
.LBB1248_14:
	s_or_b32 exec_lo, exec_lo, s3
	s_and_saveexec_b32 s3, s1
	s_cbranch_execnz .LBB1248_221
.LBB1248_15:
	s_or_b32 exec_lo, exec_lo, s3
	s_and_saveexec_b32 s3, s2
	s_cbranch_execz .LBB1248_17
.LBB1248_16:
	flat_load_b64 v[23:24], v[0:1] offset:24
.LBB1248_17:
	s_or_b32 exec_lo, exec_lo, s3
	; wave barrier
	s_load_b64 s[4:5], s[8:9], 0x0
	v_mov_b32_e32 v0, 0
	v_bfe_u32 v4, v31, 10, 10
	v_bfe_u32 v5, v31, 20, 10
	s_waitcnt lgkmcnt(0)
	s_cmp_lt_u32 s13, s5
	s_cselect_b32 s3, 14, 20
	s_delay_alu instid0(SALU_CYCLE_1) | instskip(SKIP_4) | instid1(SALU_CYCLE_1)
	s_add_u32 s10, s8, s3
	s_addc_u32 s11, s9, 0
	s_cmp_lt_u32 s12, s4
	global_load_u16 v1, v0, s[10:11]
	s_cselect_b32 s3, 12, 18
	s_add_u32 s4, s8, s3
	s_addc_u32 s5, s9, 0
	global_load_u16 v0, v0, s[4:5]
	s_mov_b32 s5, exec_lo
	s_waitcnt vmcnt(1)
	v_mad_u32_u24 v1, v5, v1, v4
	s_waitcnt vmcnt(0)
	s_delay_alu instid0(VALU_DEP_1) | instskip(SKIP_1) | instid1(VALU_DEP_1)
	v_mul_lo_u32 v0, v1, v0
	v_and_b32_e32 v1, 0x3ff, v31
	v_add_lshl_u32 v14, v0, v1, 2
	s_delay_alu instid0(VALU_DEP_1)
	v_cmpx_gt_u32_e32 0x400, v14
	s_cbranch_execz .LBB1248_29
; %bb.18:
	v_add_f64 v[0:1], v[64:65], 0
	v_add_f64 v[4:5], v[66:67], 0
	;; [unrolled: 1-line block ×4, first 2 shown]
	s_mov_b32 s6, exec_lo
	s_delay_alu instid0(VALU_DEP_4) | instskip(NEXT) | instid1(VALU_DEP_4)
	v_ashrrev_i32_e32 v27, 31, v1
	v_ashrrev_i32_e32 v28, 31, v5
	s_delay_alu instid0(VALU_DEP_4) | instskip(NEXT) | instid1(VALU_DEP_4)
	v_ashrrev_i32_e32 v29, 31, v7
	v_ashrrev_i32_e32 v30, 31, v26
	s_delay_alu instid0(VALU_DEP_4) | instskip(NEXT) | instid1(VALU_DEP_4)
	v_or_b32_e32 v31, 0x80000000, v27
	v_or_b32_e32 v32, 0x80000000, v28
	v_xor_b32_e32 v0, v27, v0
	v_xor_b32_e32 v27, v28, v4
	v_or_b32_e32 v33, 0x80000000, v29
	v_xor_b32_e32 v1, v31, v1
	v_xor_b32_e32 v28, v32, v5
	;; [unrolled: 3-line block ×3, first 2 shown]
	v_xor_b32_e32 v71, v33, v7
	v_cmp_gt_u64_e64 s3, v[0:1], v[27:28]
	v_xor_b32_e32 v5, v34, v26
	v_dual_mov_b32 v0, v10 :: v_dual_mov_b32 v1, v11
	s_delay_alu instid0(VALU_DEP_3)
	v_cndmask_b32_e64 v83, v20, v18, s3
	v_cndmask_b32_e64 v84, v19, v17, s3
	;; [unrolled: 1-line block ×4, first 2 shown]
	v_cmpx_gt_u64_e64 v[70:71], v[4:5]
; %bb.19:
	v_dual_mov_b32 v6, v21 :: v_dual_mov_b32 v7, v22
	v_dual_mov_b32 v0, v12 :: v_dual_mov_b32 v1, v13
	;; [unrolled: 1-line block ×6, first 2 shown]
; %bb.20:
	s_or_b32 exec_lo, exec_lo, s6
	v_cndmask_b32_e64 v11, v67, v65, s3
	v_cndmask_b32_e64 v10, v66, v64, s3
	s_delay_alu instid0(VALU_DEP_1) | instskip(NEXT) | instid1(VALU_DEP_1)
	v_add_f64 v[4:5], v[10:11], 0
	v_ashrrev_i32_e32 v6, 31, v5
	s_delay_alu instid0(VALU_DEP_1) | instskip(NEXT) | instid1(VALU_DEP_3)
	v_or_b32_e32 v7, 0x80000000, v6
	v_xor_b32_e32 v4, v6, v4
	s_delay_alu instid0(VALU_DEP_2) | instskip(NEXT) | instid1(VALU_DEP_1)
	v_xor_b32_e32 v5, v7, v5
                                        ; implicit-def: $vgpr6_vgpr7
	v_cmp_le_u64_e64 s4, v[4:5], v[70:71]
	s_delay_alu instid0(VALU_DEP_1) | instskip(NEXT) | instid1(SALU_CYCLE_1)
	s_and_saveexec_b32 s6, s4
	s_xor_b32 s4, exec_lo, s6
                                        ; implicit-def: $vgpr32_vgpr33_vgpr34_vgpr35_vgpr36_vgpr37_vgpr38_vgpr39
                                        ; implicit-def: $vgpr30_vgpr31_vgpr32_vgpr33_vgpr34_vgpr35_vgpr36_vgpr37
                                        ; implicit-def: $vgpr25_vgpr26_vgpr27_vgpr28_vgpr29_vgpr30_vgpr31_vgpr32
                                        ; implicit-def: $vgpr48_vgpr49_vgpr50_vgpr51_vgpr52_vgpr53_vgpr54_vgpr55
; %bb.21:
	v_add_f64 v[6:7], v[0:1], 0
	v_dual_mov_b32 v27, v84 :: v_dual_mov_b32 v84, v21
	v_mov_b32_e32 v33, v83
	v_dual_mov_b32 v83, v22 :: v_dual_mov_b32 v38, v23
	v_mov_b32_e32 v55, v24
                                        ; implicit-def: $vgpr21_vgpr22
                                        ; implicit-def: $vgpr70_vgpr71
	v_ashrrev_i32_e32 v19, 31, v7
	s_delay_alu instid0(VALU_DEP_1) | instskip(SKIP_1) | instid1(VALU_DEP_2)
	v_or_b32_e32 v20, 0x80000000, v19
	v_xor_b32_e32 v6, v19, v6
	v_xor_b32_e32 v7, v20, v7
; %bb.22:
	s_or_saveexec_b32 s4, s4
	v_dual_mov_b32 v26, v11 :: v_dual_mov_b32 v25, v10
	s_xor_b32 exec_lo, exec_lo, s4
; %bb.23:
	v_dual_mov_b32 v55, v24 :: v_dual_mov_b32 v26, v1
	v_mov_b32_e32 v7, v5
	v_dual_mov_b32 v33, v22 :: v_dual_mov_b32 v6, v4
	v_dual_mov_b32 v25, v0 :: v_dual_mov_b32 v4, v70
	;; [unrolled: 1-line block ×3, first 2 shown]
	v_mov_b32_e32 v38, v23
	v_mov_b32_e32 v1, v11
	;; [unrolled: 1-line block ×3, first 2 shown]
; %bb.24:
	s_or_b32 exec_lo, exec_lo, s4
	v_cndmask_b32_e64 v11, v65, v67, s3
	v_cndmask_b32_e64 v10, v64, v66, s3
	v_add_f64 v[22:23], v[12:13], 0
	s_mov_b32 s6, exec_lo
	s_delay_alu instid0(VALU_DEP_2) | instskip(NEXT) | instid1(VALU_DEP_2)
	v_add_f64 v[19:20], v[10:11], 0
	v_ashrrev_i32_e32 v24, 31, v23
	s_delay_alu instid0(VALU_DEP_2) | instskip(NEXT) | instid1(VALU_DEP_2)
	v_ashrrev_i32_e32 v21, 31, v20
	v_or_b32_e32 v29, 0x80000000, v24
	s_delay_alu instid0(VALU_DEP_2) | instskip(SKIP_2) | instid1(VALU_DEP_4)
	v_or_b32_e32 v28, 0x80000000, v21
	v_xor_b32_e32 v19, v21, v19
	v_mov_b32_e32 v21, v84
	v_xor_b32_e32 v29, v29, v23
	v_mov_b32_e32 v23, v38
	v_xor_b32_e32 v20, v28, v20
	v_xor_b32_e32 v28, v24, v22
	v_mov_b32_e32 v24, v55
	v_mov_b32_e32 v22, v83
	s_delay_alu instid0(VALU_DEP_4) | instskip(SKIP_1) | instid1(VALU_DEP_2)
	v_cmp_gt_u64_e64 s3, v[19:20], v[4:5]
	v_dual_mov_b32 v5, v1 :: v_dual_mov_b32 v4, v0
	v_cndmask_b32_e64 v20, v33, v18, s3
	v_cndmask_b32_e64 v19, v27, v17, s3
	;; [unrolled: 1-line block ×4, first 2 shown]
	v_cmpx_gt_u64_e64 v[6:7], v[28:29]
; %bb.25:
	s_delay_alu instid0(VALU_DEP_2) | instskip(SKIP_3) | instid1(VALU_DEP_4)
	v_dual_mov_b32 v30, v17 :: v_dual_mov_b32 v31, v18
	v_dual_mov_b32 v32, v19 :: v_dual_mov_b32 v33, v20
	;; [unrolled: 1-line block ×11, first 2 shown]
; %bb.26:
	s_or_b32 exec_lo, exec_lo, s6
	v_cndmask_b32_e64 v67, v26, v11, s3
	v_cndmask_b32_e64 v66, v25, v10, s3
	;; [unrolled: 1-line block ×4, first 2 shown]
	v_dual_mov_b32 v11, v5 :: v_dual_mov_b32 v10, v4
	s_delay_alu instid0(VALU_DEP_4) | instskip(SKIP_1) | instid1(VALU_DEP_1)
	v_add_f64 v[0:1], v[66:67], 0
	s_mov_b32 s4, exec_lo
	v_ashrrev_i32_e32 v27, 31, v1
	s_delay_alu instid0(VALU_DEP_1) | instskip(NEXT) | instid1(VALU_DEP_3)
	v_or_b32_e32 v28, 0x80000000, v27
	v_xor_b32_e32 v0, v27, v0
	s_delay_alu instid0(VALU_DEP_2) | instskip(NEXT) | instid1(VALU_DEP_1)
	v_xor_b32_e32 v1, v28, v1
	v_cmpx_gt_u64_e64 v[0:1], v[6:7]
; %bb.27:
	v_dual_mov_b32 v25, v17 :: v_dual_mov_b32 v26, v18
	v_dual_mov_b32 v27, v21 :: v_dual_mov_b32 v28, v22
	;; [unrolled: 1-line block ×4, first 2 shown]
	s_delay_alu instid0(VALU_DEP_4) | instskip(NEXT) | instid1(VALU_DEP_4)
	v_dual_mov_b32 v17, v25 :: v_dual_mov_b32 v18, v26
	v_dual_mov_b32 v19, v27 :: v_dual_mov_b32 v20, v28
	s_delay_alu instid0(VALU_DEP_4) | instskip(NEXT) | instid1(VALU_DEP_4)
	v_dual_mov_b32 v21, v29 :: v_dual_mov_b32 v22, v30
	v_dual_mov_b32 v23, v31 :: v_dual_mov_b32 v24, v32
	v_dual_mov_b32 v10, v66 :: v_dual_mov_b32 v11, v67
	v_dual_mov_b32 v67, v5 :: v_dual_mov_b32 v66, v4
; %bb.28:
	s_or_b32 exec_lo, exec_lo, s4
.LBB1248_29:
	s_delay_alu instid0(SALU_CYCLE_1) | instskip(SKIP_4) | instid1(VALU_DEP_4)
	s_or_b32 exec_lo, exec_lo, s5
	v_dual_mov_b32 v7, 0 :: v_dual_and_b32 v6, 0xffffff80, v14
	v_or_b32_e32 v0, 4, v81
	v_and_b32_e32 v4, 4, v81
	v_lshlrev_b32_e32 v5, 3, v81
	v_sub_nc_u32_e64 v37, 0x400, v6 clamp
	v_and_b32_e32 v14, 0x78, v81
	s_mov_b32 s4, exec_lo
	s_delay_alu instid0(VALU_DEP_2) | instskip(SKIP_2) | instid1(VALU_DEP_3)
	v_min_u32_e32 v38, v37, v0
	v_lshlrev_b64 v[0:1], 3, v[6:7]
	v_min_u32_e32 v25, v37, v4
	v_add_nc_u32_e32 v4, 4, v38
	v_sub_nc_u32_e32 v6, v38, v14
	s_delay_alu instid0(VALU_DEP_4) | instskip(NEXT) | instid1(VALU_DEP_1)
	v_add_co_u32 v35, s3, v15, v0
	v_add_co_ci_u32_e64 v36, s3, v16, v1, s3
	s_delay_alu instid0(VALU_DEP_4) | instskip(NEXT) | instid1(VALU_DEP_3)
	v_min_u32_e32 v39, v37, v4
	v_add_co_u32 v33, s3, 0x2000, v35
	s_delay_alu instid0(VALU_DEP_1) | instskip(NEXT) | instid1(VALU_DEP_3)
	v_add_co_ci_u32_e64 v34, s3, 0, v36, s3
	v_sub_nc_u32_e32 v4, v39, v38
	v_add_co_u32 v0, s3, v35, v5
	s_delay_alu instid0(VALU_DEP_1) | instskip(NEXT) | instid1(VALU_DEP_3)
	v_add_co_ci_u32_e64 v1, s3, 0, v36, s3
	v_sub_nc_u32_e64 v15, v25, v4 clamp
	v_add_co_u32 v4, s3, v33, v5
	v_min_u32_e32 v16, v25, v6
	v_add_co_ci_u32_e64 v5, s3, 0, v34, s3
	s_clause 0x3
	flat_store_b128 v[0:1], v[64:67]
	flat_store_b128 v[0:1], v[10:13] offset:16
	flat_store_b128 v[4:5], v[17:20]
	flat_store_b128 v[4:5], v[21:24] offset:16
	; wave barrier
	v_cmpx_lt_u32_e64 v15, v16
	s_cbranch_execz .LBB1248_33
; %bb.30:
	v_lshlrev_b32_e32 v6, 3, v14
	v_lshlrev_b32_e32 v28, 3, v38
	s_mov_b32 s5, 0
	s_delay_alu instid0(VALU_DEP_2) | instskip(NEXT) | instid1(VALU_DEP_1)
	v_add_co_u32 v26, s3, v35, v6
	v_add_co_ci_u32_e64 v27, s3, 0, v36, s3
	s_delay_alu instid0(VALU_DEP_3) | instskip(NEXT) | instid1(VALU_DEP_1)
	v_add_co_u32 v28, s3, v35, v28
	v_add_co_ci_u32_e64 v29, s3, 0, v36, s3
	s_set_inst_prefetch_distance 0x1
	.p2align	6
.LBB1248_31:                            ; =>This Inner Loop Header: Depth=1
	v_dual_mov_b32 v31, v7 :: v_dual_add_nc_u32 v6, v16, v15
	s_delay_alu instid0(VALU_DEP_1) | instskip(NEXT) | instid1(VALU_DEP_1)
	v_lshrrev_b32_e32 v6, 1, v6
	v_xad_u32 v30, v6, -1, v25
	v_lshlrev_b64 v[48:49], 3, v[6:7]
	s_delay_alu instid0(VALU_DEP_2) | instskip(NEXT) | instid1(VALU_DEP_2)
	v_lshlrev_b64 v[30:31], 3, v[30:31]
	v_add_co_u32 v48, s3, v26, v48
	s_delay_alu instid0(VALU_DEP_1) | instskip(NEXT) | instid1(VALU_DEP_3)
	v_add_co_ci_u32_e64 v49, s3, v27, v49, s3
	v_add_co_u32 v30, s3, v28, v30
	s_delay_alu instid0(VALU_DEP_1)
	v_add_co_ci_u32_e64 v31, s3, v29, v31, s3
	s_clause 0x1
	flat_load_b64 v[48:49], v[48:49]
	flat_load_b64 v[30:31], v[30:31]
	s_waitcnt vmcnt(1) lgkmcnt(1)
	v_add_f64 v[48:49], v[48:49], 0
	s_waitcnt vmcnt(0) lgkmcnt(0)
	v_add_f64 v[30:31], v[30:31], 0
	s_delay_alu instid0(VALU_DEP_2) | instskip(NEXT) | instid1(VALU_DEP_2)
	v_ashrrev_i32_e32 v32, 31, v49
	v_ashrrev_i32_e32 v50, 31, v31
	s_delay_alu instid0(VALU_DEP_2) | instskip(NEXT) | instid1(VALU_DEP_2)
	v_or_b32_e32 v51, 0x80000000, v32
	v_or_b32_e32 v52, 0x80000000, v50
	v_xor_b32_e32 v48, v32, v48
	v_xor_b32_e32 v30, v50, v30
	s_delay_alu instid0(VALU_DEP_4) | instskip(NEXT) | instid1(VALU_DEP_4)
	v_xor_b32_e32 v49, v51, v49
	v_xor_b32_e32 v31, v52, v31
	s_delay_alu instid0(VALU_DEP_1) | instskip(SKIP_1) | instid1(VALU_DEP_2)
	v_cmp_gt_u64_e64 s3, v[48:49], v[30:31]
	v_add_nc_u32_e32 v30, 1, v6
	v_cndmask_b32_e64 v16, v16, v6, s3
	s_delay_alu instid0(VALU_DEP_2) | instskip(NEXT) | instid1(VALU_DEP_1)
	v_cndmask_b32_e64 v15, v30, v15, s3
	v_cmp_ge_u32_e64 s3, v15, v16
	s_delay_alu instid0(VALU_DEP_1) | instskip(NEXT) | instid1(SALU_CYCLE_1)
	s_or_b32 s5, s3, s5
	s_and_not1_b32 exec_lo, exec_lo, s5
	s_cbranch_execnz .LBB1248_31
; %bb.32:
	s_set_inst_prefetch_distance 0x2
	s_or_b32 exec_lo, exec_lo, s5
.LBB1248_33:
	s_delay_alu instid0(SALU_CYCLE_1) | instskip(SKIP_2) | instid1(VALU_DEP_2)
	s_or_b32 exec_lo, exec_lo, s4
	v_add_nc_u32_e32 v6, v38, v25
	v_add_nc_u32_e32 v14, v15, v14
	v_sub_nc_u32_e32 v16, v6, v15
	s_delay_alu instid0(VALU_DEP_2) | instskip(NEXT) | instid1(VALU_DEP_2)
	v_cmp_le_u32_e64 s3, v14, v38
	v_cmp_le_u32_e64 s4, v16, v39
	s_delay_alu instid0(VALU_DEP_1) | instskip(NEXT) | instid1(SALU_CYCLE_1)
	s_or_b32 s3, s3, s4
	s_and_saveexec_b32 s5, s3
	s_cbranch_execz .LBB1248_53
; %bb.34:
	v_cmp_ge_u32_e64 s3, v14, v38
	s_mov_b32 s6, exec_lo
                                        ; implicit-def: $vgpr6_vgpr7
	v_cmpx_lt_u32_e64 v14, v38
	s_cbranch_execz .LBB1248_36
; %bb.35:
	v_mov_b32_e32 v15, 0
	s_delay_alu instid0(VALU_DEP_1) | instskip(NEXT) | instid1(VALU_DEP_1)
	v_lshlrev_b64 v[6:7], 3, v[14:15]
	v_add_co_u32 v6, s4, v35, v6
	s_delay_alu instid0(VALU_DEP_1)
	v_add_co_ci_u32_e64 v7, s4, v36, v7, s4
	flat_load_b64 v[6:7], v[6:7]
.LBB1248_36:
	s_or_b32 exec_lo, exec_lo, s6
	v_cmp_ge_u32_e64 s6, v16, v39
	s_mov_b32 s10, exec_lo
                                        ; implicit-def: $vgpr12_vgpr13
	v_cmpx_lt_u32_e64 v16, v39
	s_cbranch_execz .LBB1248_38
; %bb.37:
	v_mov_b32_e32 v17, 0
	s_delay_alu instid0(VALU_DEP_1) | instskip(NEXT) | instid1(VALU_DEP_1)
	v_lshlrev_b64 v[10:11], 3, v[16:17]
	v_add_co_u32 v10, s4, v35, v10
	s_delay_alu instid0(VALU_DEP_1)
	v_add_co_ci_u32_e64 v11, s4, v36, v11, s4
	flat_load_b64 v[12:13], v[10:11]
.LBB1248_38:
	s_or_b32 exec_lo, exec_lo, s10
	s_or_b32 s3, s3, s6
	s_mov_b32 s4, -1
	s_xor_b32 s3, s3, -1
	s_delay_alu instid0(SALU_CYCLE_1)
	s_and_saveexec_b32 s10, s3
	s_cbranch_execz .LBB1248_40
; %bb.39:
	s_waitcnt vmcnt(0) lgkmcnt(0)
	v_add_f64 v[10:11], v[6:7], 0
	v_add_f64 v[17:18], v[12:13], 0
	s_and_not1_b32 s6, s6, exec_lo
	s_delay_alu instid0(VALU_DEP_2) | instskip(NEXT) | instid1(VALU_DEP_2)
	v_ashrrev_i32_e32 v15, 31, v11
	v_ashrrev_i32_e32 v19, 31, v18
	s_delay_alu instid0(VALU_DEP_2) | instskip(NEXT) | instid1(VALU_DEP_2)
	v_or_b32_e32 v20, 0x80000000, v15
	v_or_b32_e32 v21, 0x80000000, v19
	v_xor_b32_e32 v10, v15, v10
	v_xor_b32_e32 v17, v19, v17
	s_delay_alu instid0(VALU_DEP_4) | instskip(NEXT) | instid1(VALU_DEP_4)
	v_xor_b32_e32 v11, v20, v11
	v_xor_b32_e32 v18, v21, v18
	s_delay_alu instid0(VALU_DEP_1) | instskip(NEXT) | instid1(VALU_DEP_1)
	v_cmp_le_u64_e64 s3, v[10:11], v[17:18]
	s_and_b32 s3, s3, exec_lo
	s_delay_alu instid0(SALU_CYCLE_1)
	s_or_b32 s6, s6, s3
.LBB1248_40:
	s_or_b32 exec_lo, exec_lo, s10
	v_cndmask_b32_e64 v10, v16, v14, s6
	v_cndmask_b32_e64 v15, v39, v38, s6
	v_mov_b32_e32 v11, 0
	s_mov_b32 s11, 0
	s_mov_b32 s10, exec_lo
	v_add_nc_u32_e32 v21, 1, v10
	v_add_nc_u32_e32 v15, -1, v15
	v_lshlrev_b64 v[17:18], 3, v[10:11]
	s_delay_alu instid0(VALU_DEP_3) | instskip(NEXT) | instid1(VALU_DEP_3)
	v_cndmask_b32_e64 v16, v21, v16, s6
	v_min_u32_e32 v10, v21, v15
	v_cndmask_b32_e64 v21, v14, v21, s6
	s_delay_alu instid0(VALU_DEP_2) | instskip(NEXT) | instid1(VALU_DEP_1)
	v_lshlrev_b64 v[19:20], 3, v[10:11]
	v_add_co_u32 v19, s3, v35, v19
	s_delay_alu instid0(VALU_DEP_1) | instskip(SKIP_1) | instid1(VALU_DEP_1)
	v_add_co_ci_u32_e64 v20, s3, v36, v20, s3
	v_add_co_u32 v17, s3, v33, v17
	v_add_co_ci_u32_e64 v18, s3, v34, v18, s3
	s_clause 0x1
	flat_load_b64 v[19:20], v[19:20]
	flat_load_b64 v[17:18], v[17:18]
	s_waitcnt vmcnt(1) lgkmcnt(1)
	v_cndmask_b32_e64 v15, v20, v13, s6
	v_cndmask_b32_e64 v14, v19, v12, s6
	;; [unrolled: 1-line block ×4, first 2 shown]
	v_cmpx_lt_u32_e64 v16, v39
	s_cbranch_execz .LBB1248_44
; %bb.41:
	s_mov_b32 s4, exec_lo
	v_cmpx_lt_u32_e64 v21, v38
	s_cbranch_execz .LBB1248_43
; %bb.42:
	v_add_f64 v[19:20], v[25:26], 0
	v_add_f64 v[22:23], v[14:15], 0
	s_delay_alu instid0(VALU_DEP_2) | instskip(NEXT) | instid1(VALU_DEP_2)
	v_ashrrev_i32_e32 v10, 31, v20
	v_ashrrev_i32_e32 v24, 31, v23
	s_delay_alu instid0(VALU_DEP_2) | instskip(NEXT) | instid1(VALU_DEP_2)
	v_or_b32_e32 v27, 0x80000000, v10
	v_or_b32_e32 v28, 0x80000000, v24
	v_xor_b32_e32 v19, v10, v19
	v_xor_b32_e32 v22, v24, v22
	s_delay_alu instid0(VALU_DEP_4) | instskip(NEXT) | instid1(VALU_DEP_4)
	v_xor_b32_e32 v20, v27, v20
	v_xor_b32_e32 v23, v28, v23
	s_delay_alu instid0(VALU_DEP_1) | instskip(NEXT) | instid1(VALU_DEP_1)
	v_cmp_le_u64_e64 s3, v[19:20], v[22:23]
	s_and_b32 s11, s3, exec_lo
.LBB1248_43:
	s_or_b32 exec_lo, exec_lo, s4
	s_delay_alu instid0(SALU_CYCLE_1)
	s_or_not1_b32 s4, s11, exec_lo
.LBB1248_44:
	s_or_b32 exec_lo, exec_lo, s10
	v_cndmask_b32_e64 v10, v16, v21, s4
	v_cndmask_b32_e64 v19, v39, v38, s4
	s_mov_b32 s15, 0
	s_mov_b32 s10, -1
	s_mov_b32 s11, -1
	v_add_nc_u32_e32 v24, 1, v10
	v_add_nc_u32_e32 v22, -1, v19
	v_lshlrev_b64 v[19:20], 3, v[10:11]
	s_mov_b32 s14, exec_lo
	s_delay_alu instid0(VALU_DEP_3) | instskip(NEXT) | instid1(VALU_DEP_3)
	v_cndmask_b32_e64 v16, v24, v16, s4
	v_min_u32_e32 v10, v24, v22
	v_cndmask_b32_e64 v29, v21, v24, s4
	s_delay_alu instid0(VALU_DEP_2) | instskip(NEXT) | instid1(VALU_DEP_1)
	v_lshlrev_b64 v[10:11], 3, v[10:11]
	v_add_co_u32 v10, s3, v35, v10
	s_delay_alu instid0(VALU_DEP_1) | instskip(SKIP_2) | instid1(VALU_DEP_1)
	v_add_co_ci_u32_e64 v11, s3, v36, v11, s3
	flat_load_b64 v[22:23], v[10:11]
	v_add_co_u32 v10, s3, v33, v19
	v_add_co_ci_u32_e64 v11, s3, v34, v20, s3
	flat_load_b64 v[19:20], v[10:11]
	s_waitcnt vmcnt(1) lgkmcnt(1)
	v_cndmask_b32_e64 v11, v23, v15, s4
	v_cndmask_b32_e64 v10, v22, v14, s4
	;; [unrolled: 1-line block ×4, first 2 shown]
	v_cmpx_lt_u32_e64 v16, v39
	s_cbranch_execz .LBB1248_48
; %bb.45:
	s_mov_b32 s11, exec_lo
	v_cmpx_lt_u32_e64 v29, v38
	s_cbranch_execz .LBB1248_47
; %bb.46:
	v_add_f64 v[21:22], v[27:28], 0
	v_add_f64 v[23:24], v[10:11], 0
	s_delay_alu instid0(VALU_DEP_2) | instskip(NEXT) | instid1(VALU_DEP_2)
	v_ashrrev_i32_e32 v30, 31, v22
	v_ashrrev_i32_e32 v31, 31, v24
	s_delay_alu instid0(VALU_DEP_2) | instskip(NEXT) | instid1(VALU_DEP_2)
	v_or_b32_e32 v32, 0x80000000, v30
	v_or_b32_e32 v48, 0x80000000, v31
	v_xor_b32_e32 v21, v30, v21
	v_xor_b32_e32 v23, v31, v23
	s_delay_alu instid0(VALU_DEP_4) | instskip(NEXT) | instid1(VALU_DEP_4)
	v_xor_b32_e32 v22, v32, v22
	v_xor_b32_e32 v24, v48, v24
	s_delay_alu instid0(VALU_DEP_1) | instskip(NEXT) | instid1(VALU_DEP_1)
	v_cmp_le_u64_e64 s3, v[21:22], v[23:24]
	s_and_b32 s15, s3, exec_lo
.LBB1248_47:
	s_or_b32 exec_lo, exec_lo, s11
	s_delay_alu instid0(SALU_CYCLE_1)
	s_or_not1_b32 s11, s15, exec_lo
.LBB1248_48:
	s_or_b32 exec_lo, exec_lo, s14
	v_cndmask_b32_e64 v23, v16, v29, s11
	v_cndmask_b32_e64 v21, v39, v38, s11
	v_mov_b32_e32 v24, 0
	s_mov_b32 s15, 0
	s_mov_b32 s14, exec_lo
	v_add_nc_u32_e32 v48, 1, v23
	v_add_nc_u32_e32 v30, -1, v21
	v_lshlrev_b64 v[21:22], 3, v[23:24]
	s_delay_alu instid0(VALU_DEP_3) | instskip(NEXT) | instid1(VALU_DEP_3)
	v_cndmask_b32_e64 v16, v48, v16, s11
	v_min_u32_e32 v23, v48, v30
	s_delay_alu instid0(VALU_DEP_1) | instskip(SKIP_1) | instid1(VALU_DEP_2)
	v_lshlrev_b64 v[30:31], 3, v[23:24]
	v_cndmask_b32_e64 v23, v29, v48, s11
	v_add_co_u32 v30, s3, v35, v30
	s_delay_alu instid0(VALU_DEP_1) | instskip(SKIP_1) | instid1(VALU_DEP_1)
	v_add_co_ci_u32_e64 v31, s3, v36, v31, s3
	v_add_co_u32 v21, s3, v33, v21
	v_add_co_ci_u32_e64 v22, s3, v34, v22, s3
	s_clause 0x1
	flat_load_b64 v[31:32], v[30:31]
	flat_load_b64 v[21:22], v[21:22]
	s_waitcnt vmcnt(1) lgkmcnt(1)
	v_cndmask_b32_e64 v30, v32, v11, s11
	v_cndmask_b32_e64 v29, v31, v10, s11
	;; [unrolled: 1-line block ×4, first 2 shown]
	v_cmpx_lt_u32_e64 v16, v39
	s_cbranch_execz .LBB1248_52
; %bb.49:
	s_mov_b32 s10, exec_lo
	v_cmpx_lt_u32_e64 v23, v38
	s_cbranch_execz .LBB1248_51
; %bb.50:
	v_add_f64 v[38:39], v[31:32], 0
	v_add_f64 v[48:49], v[29:30], 0
	s_delay_alu instid0(VALU_DEP_2) | instskip(NEXT) | instid1(VALU_DEP_2)
	v_ashrrev_i32_e32 v50, 31, v39
	v_ashrrev_i32_e32 v51, 31, v49
	s_delay_alu instid0(VALU_DEP_2) | instskip(NEXT) | instid1(VALU_DEP_2)
	v_or_b32_e32 v52, 0x80000000, v50
	v_or_b32_e32 v53, 0x80000000, v51
	v_xor_b32_e32 v38, v50, v38
	v_xor_b32_e32 v48, v51, v48
	s_delay_alu instid0(VALU_DEP_4) | instskip(NEXT) | instid1(VALU_DEP_4)
	v_xor_b32_e32 v39, v52, v39
	v_xor_b32_e32 v49, v53, v49
	s_delay_alu instid0(VALU_DEP_1) | instskip(NEXT) | instid1(VALU_DEP_1)
	v_cmp_le_u64_e64 s3, v[38:39], v[48:49]
	s_and_b32 s15, s3, exec_lo
.LBB1248_51:
	s_or_b32 exec_lo, exec_lo, s10
	s_delay_alu instid0(SALU_CYCLE_1)
	s_or_not1_b32 s10, s15, exec_lo
.LBB1248_52:
	s_or_b32 exec_lo, exec_lo, s14
	v_cndmask_b32_e64 v23, v16, v23, s10
	v_cndmask_b32_e64 v11, v11, v28, s11
	;; [unrolled: 1-line block ×5, first 2 shown]
	v_lshlrev_b64 v[23:24], 3, v[23:24]
	v_cndmask_b32_e64 v65, v13, v7, s6
	v_cndmask_b32_e64 v64, v12, v6, s6
	;; [unrolled: 1-line block ×4, first 2 shown]
	v_add_co_u32 v23, s3, v33, v23
	s_delay_alu instid0(VALU_DEP_1)
	v_add_co_ci_u32_e64 v24, s3, v34, v24, s3
	flat_load_b64 v[23:24], v[23:24]
.LBB1248_53:
	s_or_b32 exec_lo, exec_lo, s5
	v_and_b32_e32 v14, 0x70, v81
	v_and_b32_e32 v7, 12, v81
	s_mov_b32 s4, exec_lo
	; wave barrier
	s_delay_alu instid0(VALU_DEP_2) | instskip(NEXT) | instid1(VALU_DEP_2)
	v_or_b32_e32 v6, 8, v14
	v_min_u32_e32 v15, v37, v7
	s_clause 0x2
	flat_store_b128 v[0:1], v[64:67]
	flat_store_b128 v[0:1], v[10:13] offset:16
	flat_store_b128 v[4:5], v[17:20]
	s_waitcnt vmcnt(0) lgkmcnt(3)
	flat_store_b128 v[4:5], v[21:24] offset:16
	; wave barrier
	v_min_u32_e32 v38, v37, v6
	s_delay_alu instid0(VALU_DEP_1) | instskip(SKIP_1) | instid1(VALU_DEP_2)
	v_add_nc_u32_e32 v6, 8, v38
	v_sub_nc_u32_e32 v7, v38, v14
	v_min_u32_e32 v39, v37, v6
	s_delay_alu instid0(VALU_DEP_2) | instskip(NEXT) | instid1(VALU_DEP_2)
	v_min_u32_e32 v25, v15, v7
	v_sub_nc_u32_e32 v6, v39, v38
	s_delay_alu instid0(VALU_DEP_1) | instskip(NEXT) | instid1(VALU_DEP_1)
	v_sub_nc_u32_e64 v16, v15, v6 clamp
	v_cmpx_lt_u32_e64 v16, v25
	s_cbranch_execz .LBB1248_57
; %bb.54:
	v_lshlrev_b32_e32 v6, 3, v14
	v_lshlrev_b32_e32 v7, 3, v38
	s_mov_b32 s5, 0
	s_delay_alu instid0(VALU_DEP_2) | instskip(NEXT) | instid1(VALU_DEP_1)
	v_add_co_u32 v26, s3, v35, v6
	v_add_co_ci_u32_e64 v27, s3, 0, v36, s3
	s_delay_alu instid0(VALU_DEP_3)
	v_add_co_u32 v28, s3, v35, v7
	v_mov_b32_e32 v7, 0
	v_add_co_ci_u32_e64 v29, s3, 0, v36, s3
	s_set_inst_prefetch_distance 0x1
	.p2align	6
.LBB1248_55:                            ; =>This Inner Loop Header: Depth=1
	s_delay_alu instid0(VALU_DEP_2) | instskip(NEXT) | instid1(VALU_DEP_1)
	v_dual_mov_b32 v31, v7 :: v_dual_add_nc_u32 v6, v25, v16
	v_lshrrev_b32_e32 v6, 1, v6
	s_delay_alu instid0(VALU_DEP_1) | instskip(SKIP_1) | instid1(VALU_DEP_2)
	v_xad_u32 v30, v6, -1, v15
	v_lshlrev_b64 v[48:49], 3, v[6:7]
	v_lshlrev_b64 v[30:31], 3, v[30:31]
	s_delay_alu instid0(VALU_DEP_2) | instskip(NEXT) | instid1(VALU_DEP_1)
	v_add_co_u32 v48, s3, v26, v48
	v_add_co_ci_u32_e64 v49, s3, v27, v49, s3
	s_delay_alu instid0(VALU_DEP_3) | instskip(NEXT) | instid1(VALU_DEP_1)
	v_add_co_u32 v30, s3, v28, v30
	v_add_co_ci_u32_e64 v31, s3, v29, v31, s3
	s_clause 0x1
	flat_load_b64 v[48:49], v[48:49]
	flat_load_b64 v[30:31], v[30:31]
	s_waitcnt vmcnt(1) lgkmcnt(1)
	v_add_f64 v[48:49], v[48:49], 0
	s_waitcnt vmcnt(0) lgkmcnt(0)
	v_add_f64 v[30:31], v[30:31], 0
	s_delay_alu instid0(VALU_DEP_2) | instskip(NEXT) | instid1(VALU_DEP_2)
	v_ashrrev_i32_e32 v32, 31, v49
	v_ashrrev_i32_e32 v50, 31, v31
	s_delay_alu instid0(VALU_DEP_2) | instskip(NEXT) | instid1(VALU_DEP_2)
	v_or_b32_e32 v51, 0x80000000, v32
	v_or_b32_e32 v52, 0x80000000, v50
	v_xor_b32_e32 v48, v32, v48
	v_xor_b32_e32 v30, v50, v30
	s_delay_alu instid0(VALU_DEP_4) | instskip(NEXT) | instid1(VALU_DEP_4)
	v_xor_b32_e32 v49, v51, v49
	v_xor_b32_e32 v31, v52, v31
	s_delay_alu instid0(VALU_DEP_1) | instskip(SKIP_1) | instid1(VALU_DEP_2)
	v_cmp_gt_u64_e64 s3, v[48:49], v[30:31]
	v_add_nc_u32_e32 v30, 1, v6
	v_cndmask_b32_e64 v25, v25, v6, s3
	s_delay_alu instid0(VALU_DEP_2) | instskip(NEXT) | instid1(VALU_DEP_1)
	v_cndmask_b32_e64 v16, v30, v16, s3
	v_cmp_ge_u32_e64 s3, v16, v25
	s_delay_alu instid0(VALU_DEP_1) | instskip(NEXT) | instid1(SALU_CYCLE_1)
	s_or_b32 s5, s3, s5
	s_and_not1_b32 exec_lo, exec_lo, s5
	s_cbranch_execnz .LBB1248_55
; %bb.56:
	s_set_inst_prefetch_distance 0x2
	s_or_b32 exec_lo, exec_lo, s5
.LBB1248_57:
	s_delay_alu instid0(SALU_CYCLE_1) | instskip(SKIP_2) | instid1(VALU_DEP_2)
	s_or_b32 exec_lo, exec_lo, s4
	v_add_nc_u32_e32 v6, v38, v15
	v_add_nc_u32_e32 v14, v16, v14
	v_sub_nc_u32_e32 v16, v6, v16
	s_delay_alu instid0(VALU_DEP_2) | instskip(NEXT) | instid1(VALU_DEP_2)
	v_cmp_le_u32_e64 s3, v14, v38
	v_cmp_le_u32_e64 s4, v16, v39
	s_delay_alu instid0(VALU_DEP_1) | instskip(NEXT) | instid1(SALU_CYCLE_1)
	s_or_b32 s3, s3, s4
	s_and_saveexec_b32 s5, s3
	s_cbranch_execz .LBB1248_77
; %bb.58:
	v_cmp_ge_u32_e64 s3, v14, v38
	s_mov_b32 s6, exec_lo
                                        ; implicit-def: $vgpr6_vgpr7
	v_cmpx_lt_u32_e64 v14, v38
	s_cbranch_execz .LBB1248_60
; %bb.59:
	v_mov_b32_e32 v15, 0
	s_delay_alu instid0(VALU_DEP_1) | instskip(NEXT) | instid1(VALU_DEP_1)
	v_lshlrev_b64 v[6:7], 3, v[14:15]
	v_add_co_u32 v6, s4, v35, v6
	s_delay_alu instid0(VALU_DEP_1)
	v_add_co_ci_u32_e64 v7, s4, v36, v7, s4
	flat_load_b64 v[6:7], v[6:7]
.LBB1248_60:
	s_or_b32 exec_lo, exec_lo, s6
	v_cmp_ge_u32_e64 s6, v16, v39
	s_mov_b32 s10, exec_lo
                                        ; implicit-def: $vgpr12_vgpr13
	v_cmpx_lt_u32_e64 v16, v39
	s_cbranch_execz .LBB1248_62
; %bb.61:
	v_mov_b32_e32 v17, 0
	s_delay_alu instid0(VALU_DEP_1) | instskip(NEXT) | instid1(VALU_DEP_1)
	v_lshlrev_b64 v[10:11], 3, v[16:17]
	v_add_co_u32 v10, s4, v35, v10
	s_delay_alu instid0(VALU_DEP_1)
	v_add_co_ci_u32_e64 v11, s4, v36, v11, s4
	flat_load_b64 v[12:13], v[10:11]
.LBB1248_62:
	s_or_b32 exec_lo, exec_lo, s10
	s_or_b32 s3, s3, s6
	s_mov_b32 s4, -1
	s_xor_b32 s3, s3, -1
	s_delay_alu instid0(SALU_CYCLE_1)
	s_and_saveexec_b32 s10, s3
	s_cbranch_execz .LBB1248_64
; %bb.63:
	s_waitcnt vmcnt(0) lgkmcnt(0)
	v_add_f64 v[10:11], v[6:7], 0
	v_add_f64 v[17:18], v[12:13], 0
	s_and_not1_b32 s6, s6, exec_lo
	s_delay_alu instid0(VALU_DEP_2) | instskip(NEXT) | instid1(VALU_DEP_2)
	v_ashrrev_i32_e32 v15, 31, v11
	v_ashrrev_i32_e32 v19, 31, v18
	s_delay_alu instid0(VALU_DEP_2) | instskip(NEXT) | instid1(VALU_DEP_2)
	v_or_b32_e32 v20, 0x80000000, v15
	v_or_b32_e32 v21, 0x80000000, v19
	v_xor_b32_e32 v10, v15, v10
	v_xor_b32_e32 v17, v19, v17
	s_delay_alu instid0(VALU_DEP_4) | instskip(NEXT) | instid1(VALU_DEP_4)
	v_xor_b32_e32 v11, v20, v11
	v_xor_b32_e32 v18, v21, v18
	s_delay_alu instid0(VALU_DEP_1) | instskip(NEXT) | instid1(VALU_DEP_1)
	v_cmp_le_u64_e64 s3, v[10:11], v[17:18]
	s_and_b32 s3, s3, exec_lo
	s_delay_alu instid0(SALU_CYCLE_1)
	s_or_b32 s6, s6, s3
.LBB1248_64:
	s_or_b32 exec_lo, exec_lo, s10
	v_cndmask_b32_e64 v10, v16, v14, s6
	v_cndmask_b32_e64 v15, v39, v38, s6
	v_mov_b32_e32 v11, 0
	s_mov_b32 s11, 0
	s_mov_b32 s10, exec_lo
	v_add_nc_u32_e32 v21, 1, v10
	v_add_nc_u32_e32 v15, -1, v15
	v_lshlrev_b64 v[17:18], 3, v[10:11]
	s_delay_alu instid0(VALU_DEP_3) | instskip(NEXT) | instid1(VALU_DEP_3)
	v_cndmask_b32_e64 v16, v21, v16, s6
	v_min_u32_e32 v10, v21, v15
	v_cndmask_b32_e64 v21, v14, v21, s6
	s_delay_alu instid0(VALU_DEP_2) | instskip(NEXT) | instid1(VALU_DEP_1)
	v_lshlrev_b64 v[19:20], 3, v[10:11]
	v_add_co_u32 v19, s3, v35, v19
	s_delay_alu instid0(VALU_DEP_1) | instskip(SKIP_1) | instid1(VALU_DEP_1)
	v_add_co_ci_u32_e64 v20, s3, v36, v20, s3
	v_add_co_u32 v17, s3, v33, v17
	v_add_co_ci_u32_e64 v18, s3, v34, v18, s3
	s_clause 0x1
	flat_load_b64 v[19:20], v[19:20]
	flat_load_b64 v[17:18], v[17:18]
	s_waitcnt vmcnt(1) lgkmcnt(1)
	v_cndmask_b32_e64 v15, v20, v13, s6
	v_cndmask_b32_e64 v14, v19, v12, s6
	;; [unrolled: 1-line block ×4, first 2 shown]
	v_cmpx_lt_u32_e64 v16, v39
	s_cbranch_execz .LBB1248_68
; %bb.65:
	s_mov_b32 s4, exec_lo
	v_cmpx_lt_u32_e64 v21, v38
	s_cbranch_execz .LBB1248_67
; %bb.66:
	v_add_f64 v[19:20], v[25:26], 0
	v_add_f64 v[22:23], v[14:15], 0
	s_delay_alu instid0(VALU_DEP_2) | instskip(NEXT) | instid1(VALU_DEP_2)
	v_ashrrev_i32_e32 v10, 31, v20
	v_ashrrev_i32_e32 v24, 31, v23
	s_delay_alu instid0(VALU_DEP_2) | instskip(NEXT) | instid1(VALU_DEP_2)
	v_or_b32_e32 v27, 0x80000000, v10
	v_or_b32_e32 v28, 0x80000000, v24
	v_xor_b32_e32 v19, v10, v19
	v_xor_b32_e32 v22, v24, v22
	s_delay_alu instid0(VALU_DEP_4) | instskip(NEXT) | instid1(VALU_DEP_4)
	v_xor_b32_e32 v20, v27, v20
	v_xor_b32_e32 v23, v28, v23
	s_delay_alu instid0(VALU_DEP_1) | instskip(NEXT) | instid1(VALU_DEP_1)
	v_cmp_le_u64_e64 s3, v[19:20], v[22:23]
	s_and_b32 s11, s3, exec_lo
.LBB1248_67:
	s_or_b32 exec_lo, exec_lo, s4
	s_delay_alu instid0(SALU_CYCLE_1)
	s_or_not1_b32 s4, s11, exec_lo
.LBB1248_68:
	s_or_b32 exec_lo, exec_lo, s10
	v_cndmask_b32_e64 v10, v16, v21, s4
	v_cndmask_b32_e64 v19, v39, v38, s4
	s_mov_b32 s15, 0
	s_mov_b32 s10, -1
	s_mov_b32 s11, -1
	v_add_nc_u32_e32 v24, 1, v10
	v_add_nc_u32_e32 v22, -1, v19
	v_lshlrev_b64 v[19:20], 3, v[10:11]
	s_mov_b32 s14, exec_lo
	s_delay_alu instid0(VALU_DEP_3) | instskip(NEXT) | instid1(VALU_DEP_3)
	v_cndmask_b32_e64 v16, v24, v16, s4
	v_min_u32_e32 v10, v24, v22
	v_cndmask_b32_e64 v29, v21, v24, s4
	s_delay_alu instid0(VALU_DEP_2) | instskip(NEXT) | instid1(VALU_DEP_1)
	v_lshlrev_b64 v[10:11], 3, v[10:11]
	v_add_co_u32 v10, s3, v35, v10
	s_delay_alu instid0(VALU_DEP_1) | instskip(SKIP_2) | instid1(VALU_DEP_1)
	v_add_co_ci_u32_e64 v11, s3, v36, v11, s3
	flat_load_b64 v[22:23], v[10:11]
	v_add_co_u32 v10, s3, v33, v19
	v_add_co_ci_u32_e64 v11, s3, v34, v20, s3
	flat_load_b64 v[19:20], v[10:11]
	s_waitcnt vmcnt(1) lgkmcnt(1)
	v_cndmask_b32_e64 v11, v23, v15, s4
	v_cndmask_b32_e64 v10, v22, v14, s4
	v_cndmask_b32_e64 v28, v26, v23, s4
	v_cndmask_b32_e64 v27, v25, v22, s4
	v_cmpx_lt_u32_e64 v16, v39
	s_cbranch_execz .LBB1248_72
; %bb.69:
	s_mov_b32 s11, exec_lo
	v_cmpx_lt_u32_e64 v29, v38
	s_cbranch_execz .LBB1248_71
; %bb.70:
	v_add_f64 v[21:22], v[27:28], 0
	v_add_f64 v[23:24], v[10:11], 0
	s_delay_alu instid0(VALU_DEP_2) | instskip(NEXT) | instid1(VALU_DEP_2)
	v_ashrrev_i32_e32 v30, 31, v22
	v_ashrrev_i32_e32 v31, 31, v24
	s_delay_alu instid0(VALU_DEP_2) | instskip(NEXT) | instid1(VALU_DEP_2)
	v_or_b32_e32 v32, 0x80000000, v30
	v_or_b32_e32 v48, 0x80000000, v31
	v_xor_b32_e32 v21, v30, v21
	v_xor_b32_e32 v23, v31, v23
	s_delay_alu instid0(VALU_DEP_4) | instskip(NEXT) | instid1(VALU_DEP_4)
	v_xor_b32_e32 v22, v32, v22
	v_xor_b32_e32 v24, v48, v24
	s_delay_alu instid0(VALU_DEP_1) | instskip(NEXT) | instid1(VALU_DEP_1)
	v_cmp_le_u64_e64 s3, v[21:22], v[23:24]
	s_and_b32 s15, s3, exec_lo
.LBB1248_71:
	s_or_b32 exec_lo, exec_lo, s11
	s_delay_alu instid0(SALU_CYCLE_1)
	s_or_not1_b32 s11, s15, exec_lo
.LBB1248_72:
	s_or_b32 exec_lo, exec_lo, s14
	v_cndmask_b32_e64 v23, v16, v29, s11
	v_cndmask_b32_e64 v21, v39, v38, s11
	v_mov_b32_e32 v24, 0
	s_mov_b32 s15, 0
	s_mov_b32 s14, exec_lo
	v_add_nc_u32_e32 v48, 1, v23
	v_add_nc_u32_e32 v30, -1, v21
	v_lshlrev_b64 v[21:22], 3, v[23:24]
	s_delay_alu instid0(VALU_DEP_3) | instskip(NEXT) | instid1(VALU_DEP_3)
	v_cndmask_b32_e64 v16, v48, v16, s11
	v_min_u32_e32 v23, v48, v30
	s_delay_alu instid0(VALU_DEP_1) | instskip(SKIP_1) | instid1(VALU_DEP_2)
	v_lshlrev_b64 v[30:31], 3, v[23:24]
	v_cndmask_b32_e64 v23, v29, v48, s11
	v_add_co_u32 v30, s3, v35, v30
	s_delay_alu instid0(VALU_DEP_1) | instskip(SKIP_1) | instid1(VALU_DEP_1)
	v_add_co_ci_u32_e64 v31, s3, v36, v31, s3
	v_add_co_u32 v21, s3, v33, v21
	v_add_co_ci_u32_e64 v22, s3, v34, v22, s3
	s_clause 0x1
	flat_load_b64 v[31:32], v[30:31]
	flat_load_b64 v[21:22], v[21:22]
	s_waitcnt vmcnt(1) lgkmcnt(1)
	v_cndmask_b32_e64 v30, v32, v11, s11
	v_cndmask_b32_e64 v29, v31, v10, s11
	;; [unrolled: 1-line block ×4, first 2 shown]
	v_cmpx_lt_u32_e64 v16, v39
	s_cbranch_execz .LBB1248_76
; %bb.73:
	s_mov_b32 s10, exec_lo
	v_cmpx_lt_u32_e64 v23, v38
	s_cbranch_execz .LBB1248_75
; %bb.74:
	v_add_f64 v[38:39], v[31:32], 0
	v_add_f64 v[48:49], v[29:30], 0
	s_delay_alu instid0(VALU_DEP_2) | instskip(NEXT) | instid1(VALU_DEP_2)
	v_ashrrev_i32_e32 v50, 31, v39
	v_ashrrev_i32_e32 v51, 31, v49
	s_delay_alu instid0(VALU_DEP_2) | instskip(NEXT) | instid1(VALU_DEP_2)
	v_or_b32_e32 v52, 0x80000000, v50
	v_or_b32_e32 v53, 0x80000000, v51
	v_xor_b32_e32 v38, v50, v38
	v_xor_b32_e32 v48, v51, v48
	s_delay_alu instid0(VALU_DEP_4) | instskip(NEXT) | instid1(VALU_DEP_4)
	v_xor_b32_e32 v39, v52, v39
	v_xor_b32_e32 v49, v53, v49
	s_delay_alu instid0(VALU_DEP_1) | instskip(NEXT) | instid1(VALU_DEP_1)
	v_cmp_le_u64_e64 s3, v[38:39], v[48:49]
	s_and_b32 s15, s3, exec_lo
.LBB1248_75:
	s_or_b32 exec_lo, exec_lo, s10
	s_delay_alu instid0(SALU_CYCLE_1)
	s_or_not1_b32 s10, s15, exec_lo
.LBB1248_76:
	s_or_b32 exec_lo, exec_lo, s14
	v_cndmask_b32_e64 v23, v16, v23, s10
	v_cndmask_b32_e64 v11, v11, v28, s11
	;; [unrolled: 1-line block ×5, first 2 shown]
	v_lshlrev_b64 v[23:24], 3, v[23:24]
	v_cndmask_b32_e64 v65, v13, v7, s6
	v_cndmask_b32_e64 v64, v12, v6, s6
	v_cndmask_b32_e64 v13, v30, v32, s10
	v_cndmask_b32_e64 v12, v29, v31, s10
	v_add_co_u32 v23, s3, v33, v23
	s_delay_alu instid0(VALU_DEP_1)
	v_add_co_ci_u32_e64 v24, s3, v34, v24, s3
	flat_load_b64 v[23:24], v[23:24]
.LBB1248_77:
	s_or_b32 exec_lo, exec_lo, s5
	v_and_b32_e32 v6, 0x60, v81
	s_mov_b32 s4, exec_lo
	; wave barrier
	s_clause 0x2
	flat_store_b128 v[0:1], v[64:67]
	flat_store_b128 v[0:1], v[10:13] offset:16
	flat_store_b128 v[4:5], v[17:20]
	s_waitcnt vmcnt(0) lgkmcnt(3)
	flat_store_b128 v[4:5], v[21:24] offset:16
	v_or_b32_e32 v7, 16, v6
	; wave barrier
	s_delay_alu instid0(VALU_DEP_1) | instskip(NEXT) | instid1(VALU_DEP_1)
	v_min_u32_e32 v16, v37, v7
	v_add_nc_u32_e32 v7, 16, v16
	v_sub_nc_u32_e32 v15, v16, v6
	s_delay_alu instid0(VALU_DEP_2) | instskip(SKIP_1) | instid1(VALU_DEP_2)
	v_min_u32_e32 v29, v37, v7
	v_min_u32_e32 v7, v37, v82
	v_sub_nc_u32_e32 v14, v29, v16
	s_delay_alu instid0(VALU_DEP_2) | instskip(NEXT) | instid1(VALU_DEP_2)
	v_min_u32_e32 v15, v7, v15
	v_sub_nc_u32_e64 v14, v7, v14 clamp
	s_delay_alu instid0(VALU_DEP_1)
	v_cmpx_lt_u32_e64 v14, v15
	s_cbranch_execz .LBB1248_81
; %bb.78:
	v_lshlrev_b32_e32 v0, 3, v6
	v_lshlrev_b32_e32 v1, 3, v16
	s_mov_b32 s5, 0
	s_delay_alu instid0(VALU_DEP_2) | instskip(NEXT) | instid1(VALU_DEP_1)
	v_add_co_u32 v4, s3, v35, v0
	v_add_co_ci_u32_e64 v5, s3, 0, v36, s3
	s_delay_alu instid0(VALU_DEP_3)
	v_add_co_u32 v25, s3, v35, v1
	v_mov_b32_e32 v1, 0
	v_add_co_ci_u32_e64 v26, s3, 0, v36, s3
	s_set_inst_prefetch_distance 0x1
	.p2align	6
.LBB1248_79:                            ; =>This Inner Loop Header: Depth=1
	v_add_nc_u32_e32 v0, v15, v14
	s_delay_alu instid0(VALU_DEP_1) | instskip(SKIP_1) | instid1(VALU_DEP_2)
	v_lshrrev_b32_e32 v0, 1, v0
	v_mov_b32_e32 v28, v1
	v_xad_u32 v27, v0, -1, v7
	v_lshlrev_b64 v[30:31], 3, v[0:1]
	s_delay_alu instid0(VALU_DEP_2) | instskip(NEXT) | instid1(VALU_DEP_2)
	v_lshlrev_b64 v[27:28], 3, v[27:28]
	v_add_co_u32 v30, s3, v4, v30
	s_delay_alu instid0(VALU_DEP_1) | instskip(NEXT) | instid1(VALU_DEP_3)
	v_add_co_ci_u32_e64 v31, s3, v5, v31, s3
	v_add_co_u32 v27, s3, v25, v27
	s_delay_alu instid0(VALU_DEP_1)
	v_add_co_ci_u32_e64 v28, s3, v26, v28, s3
	s_clause 0x1
	flat_load_b64 v[30:31], v[30:31]
	flat_load_b64 v[27:28], v[27:28]
	s_waitcnt vmcnt(1) lgkmcnt(1)
	v_add_f64 v[30:31], v[30:31], 0
	s_waitcnt vmcnt(0) lgkmcnt(0)
	v_add_f64 v[27:28], v[27:28], 0
	s_delay_alu instid0(VALU_DEP_2) | instskip(NEXT) | instid1(VALU_DEP_2)
	v_ashrrev_i32_e32 v32, 31, v31
	v_ashrrev_i32_e32 v37, 31, v28
	s_delay_alu instid0(VALU_DEP_2) | instskip(NEXT) | instid1(VALU_DEP_2)
	v_or_b32_e32 v38, 0x80000000, v32
	v_or_b32_e32 v39, 0x80000000, v37
	v_xor_b32_e32 v30, v32, v30
	v_xor_b32_e32 v27, v37, v27
	s_delay_alu instid0(VALU_DEP_4) | instskip(NEXT) | instid1(VALU_DEP_4)
	v_xor_b32_e32 v31, v38, v31
	v_xor_b32_e32 v28, v39, v28
	s_delay_alu instid0(VALU_DEP_1) | instskip(SKIP_1) | instid1(VALU_DEP_2)
	v_cmp_gt_u64_e64 s3, v[30:31], v[27:28]
	v_add_nc_u32_e32 v27, 1, v0
	v_cndmask_b32_e64 v15, v15, v0, s3
	s_delay_alu instid0(VALU_DEP_2) | instskip(NEXT) | instid1(VALU_DEP_1)
	v_cndmask_b32_e64 v14, v27, v14, s3
	v_cmp_ge_u32_e64 s3, v14, v15
	s_delay_alu instid0(VALU_DEP_1) | instskip(NEXT) | instid1(SALU_CYCLE_1)
	s_or_b32 s5, s3, s5
	s_and_not1_b32 exec_lo, exec_lo, s5
	s_cbranch_execnz .LBB1248_79
; %bb.80:
	s_set_inst_prefetch_distance 0x2
	s_or_b32 exec_lo, exec_lo, s5
.LBB1248_81:
	s_delay_alu instid0(SALU_CYCLE_1) | instskip(SKIP_2) | instid1(VALU_DEP_2)
	s_or_b32 exec_lo, exec_lo, s4
	v_add_nc_u32_e32 v0, v16, v7
	v_add_nc_u32_e32 v6, v14, v6
	v_sub_nc_u32_e32 v14, v0, v14
	s_delay_alu instid0(VALU_DEP_2) | instskip(NEXT) | instid1(VALU_DEP_2)
	v_cmp_le_u32_e64 s3, v6, v16
	v_cmp_le_u32_e64 s4, v14, v29
	s_delay_alu instid0(VALU_DEP_1) | instskip(NEXT) | instid1(SALU_CYCLE_1)
	s_or_b32 s3, s3, s4
	s_and_saveexec_b32 s5, s3
	s_cbranch_execz .LBB1248_101
; %bb.82:
	v_cmp_ge_u32_e64 s3, v6, v16
	s_mov_b32 s6, exec_lo
                                        ; implicit-def: $vgpr0_vgpr1
	v_cmpx_lt_u32_e64 v6, v16
	s_cbranch_execz .LBB1248_84
; %bb.83:
	v_mov_b32_e32 v7, 0
	s_delay_alu instid0(VALU_DEP_1) | instskip(NEXT) | instid1(VALU_DEP_1)
	v_lshlrev_b64 v[0:1], 3, v[6:7]
	v_add_co_u32 v0, s4, v35, v0
	s_delay_alu instid0(VALU_DEP_1)
	v_add_co_ci_u32_e64 v1, s4, v36, v1, s4
	flat_load_b64 v[0:1], v[0:1]
.LBB1248_84:
	s_or_b32 exec_lo, exec_lo, s6
	v_cmp_ge_u32_e64 s6, v14, v29
	s_mov_b32 s10, exec_lo
                                        ; implicit-def: $vgpr4_vgpr5
	v_cmpx_lt_u32_e64 v14, v29
	s_cbranch_execz .LBB1248_86
; %bb.85:
	v_mov_b32_e32 v15, 0
	s_delay_alu instid0(VALU_DEP_1) | instskip(NEXT) | instid1(VALU_DEP_1)
	v_lshlrev_b64 v[4:5], 3, v[14:15]
	v_add_co_u32 v4, s4, v35, v4
	s_delay_alu instid0(VALU_DEP_1)
	v_add_co_ci_u32_e64 v5, s4, v36, v5, s4
	flat_load_b64 v[4:5], v[4:5]
.LBB1248_86:
	s_or_b32 exec_lo, exec_lo, s10
	s_or_b32 s3, s3, s6
	s_mov_b32 s4, -1
	s_xor_b32 s3, s3, -1
	s_delay_alu instid0(SALU_CYCLE_1)
	s_and_saveexec_b32 s10, s3
	s_cbranch_execz .LBB1248_88
; %bb.87:
	s_waitcnt vmcnt(0) lgkmcnt(0)
	v_add_f64 v[10:11], v[0:1], 0
	v_add_f64 v[12:13], v[4:5], 0
	s_and_not1_b32 s6, s6, exec_lo
	s_delay_alu instid0(VALU_DEP_2) | instskip(NEXT) | instid1(VALU_DEP_2)
	v_ashrrev_i32_e32 v7, 31, v11
	v_ashrrev_i32_e32 v15, 31, v13
	s_delay_alu instid0(VALU_DEP_2) | instskip(NEXT) | instid1(VALU_DEP_2)
	v_or_b32_e32 v17, 0x80000000, v7
	v_or_b32_e32 v18, 0x80000000, v15
	v_xor_b32_e32 v10, v7, v10
	v_xor_b32_e32 v12, v15, v12
	s_delay_alu instid0(VALU_DEP_4) | instskip(NEXT) | instid1(VALU_DEP_4)
	v_xor_b32_e32 v11, v17, v11
	v_xor_b32_e32 v13, v18, v13
	s_delay_alu instid0(VALU_DEP_1) | instskip(NEXT) | instid1(VALU_DEP_1)
	v_cmp_le_u64_e64 s3, v[10:11], v[12:13]
	s_and_b32 s3, s3, exec_lo
	s_delay_alu instid0(SALU_CYCLE_1)
	s_or_b32 s6, s6, s3
.LBB1248_88:
	s_or_b32 exec_lo, exec_lo, s10
	v_cndmask_b32_e64 v10, v14, v6, s6
	v_cndmask_b32_e64 v7, v29, v16, s6
	v_mov_b32_e32 v11, 0
	s_mov_b32 s11, 0
	s_mov_b32 s10, exec_lo
	v_add_nc_u32_e32 v15, 1, v10
	v_add_nc_u32_e32 v7, -1, v7
	v_lshlrev_b64 v[12:13], 3, v[10:11]
	s_delay_alu instid0(VALU_DEP_3) | instskip(NEXT) | instid1(VALU_DEP_3)
	v_cndmask_b32_e64 v14, v15, v14, s6
	v_min_u32_e32 v10, v15, v7
	v_cndmask_b32_e64 v15, v6, v15, s6
	s_delay_alu instid0(VALU_DEP_2) | instskip(NEXT) | instid1(VALU_DEP_1)
	v_lshlrev_b64 v[17:18], 3, v[10:11]
	v_add_co_u32 v17, s3, v35, v17
	s_delay_alu instid0(VALU_DEP_1) | instskip(SKIP_1) | instid1(VALU_DEP_1)
	v_add_co_ci_u32_e64 v18, s3, v36, v18, s3
	v_add_co_u32 v12, s3, v33, v12
	v_add_co_ci_u32_e64 v13, s3, v34, v13, s3
	s_clause 0x1
	flat_load_b64 v[19:20], v[17:18]
	flat_load_b64 v[17:18], v[12:13]
	s_waitcnt vmcnt(1) lgkmcnt(1)
	v_cndmask_b32_e64 v7, v20, v5, s6
	v_cndmask_b32_e64 v6, v19, v4, s6
	;; [unrolled: 1-line block ×4, first 2 shown]
	v_cmpx_lt_u32_e64 v14, v29
	s_cbranch_execz .LBB1248_92
; %bb.89:
	s_mov_b32 s4, exec_lo
	v_cmpx_lt_u32_e64 v15, v16
	s_cbranch_execz .LBB1248_91
; %bb.90:
	v_add_f64 v[19:20], v[12:13], 0
	v_add_f64 v[21:22], v[6:7], 0
	s_delay_alu instid0(VALU_DEP_2) | instskip(NEXT) | instid1(VALU_DEP_2)
	v_ashrrev_i32_e32 v10, 31, v20
	v_ashrrev_i32_e32 v23, 31, v22
	s_delay_alu instid0(VALU_DEP_2) | instskip(NEXT) | instid1(VALU_DEP_2)
	v_or_b32_e32 v24, 0x80000000, v10
	v_or_b32_e32 v25, 0x80000000, v23
	v_xor_b32_e32 v19, v10, v19
	v_xor_b32_e32 v21, v23, v21
	s_delay_alu instid0(VALU_DEP_4) | instskip(NEXT) | instid1(VALU_DEP_4)
	v_xor_b32_e32 v20, v24, v20
	v_xor_b32_e32 v22, v25, v22
	s_delay_alu instid0(VALU_DEP_1) | instskip(NEXT) | instid1(VALU_DEP_1)
	v_cmp_le_u64_e64 s3, v[19:20], v[21:22]
	s_and_b32 s11, s3, exec_lo
.LBB1248_91:
	s_or_b32 exec_lo, exec_lo, s4
	s_delay_alu instid0(SALU_CYCLE_1)
	s_or_not1_b32 s4, s11, exec_lo
.LBB1248_92:
	s_or_b32 exec_lo, exec_lo, s10
	v_cndmask_b32_e64 v10, v14, v15, s4
	v_cndmask_b32_e64 v19, v29, v16, s4
	s_mov_b32 s15, 0
	s_mov_b32 s10, -1
	s_mov_b32 s11, -1
	v_add_nc_u32_e32 v23, 1, v10
	v_add_nc_u32_e32 v21, -1, v19
	v_lshlrev_b64 v[19:20], 3, v[10:11]
	s_mov_b32 s14, exec_lo
	s_delay_alu instid0(VALU_DEP_3) | instskip(NEXT) | instid1(VALU_DEP_3)
	v_cndmask_b32_e64 v25, v23, v14, s4
	v_min_u32_e32 v10, v23, v21
	v_cndmask_b32_e64 v26, v15, v23, s4
	s_delay_alu instid0(VALU_DEP_2) | instskip(NEXT) | instid1(VALU_DEP_1)
	v_lshlrev_b64 v[10:11], 3, v[10:11]
	v_add_co_u32 v10, s3, v35, v10
	s_delay_alu instid0(VALU_DEP_1) | instskip(SKIP_2) | instid1(VALU_DEP_1)
	v_add_co_ci_u32_e64 v11, s3, v36, v11, s3
	flat_load_b64 v[21:22], v[10:11]
	v_add_co_u32 v10, s3, v33, v19
	v_add_co_ci_u32_e64 v11, s3, v34, v20, s3
	flat_load_b64 v[19:20], v[10:11]
	s_waitcnt vmcnt(1) lgkmcnt(1)
	v_cndmask_b32_e64 v11, v22, v7, s4
	v_cndmask_b32_e64 v10, v21, v6, s4
	;; [unrolled: 1-line block ×4, first 2 shown]
	v_cmpx_lt_u32_e64 v25, v29
	s_cbranch_execz .LBB1248_96
; %bb.93:
	s_mov_b32 s11, exec_lo
	v_cmpx_lt_u32_e64 v26, v16
	s_cbranch_execz .LBB1248_95
; %bb.94:
	v_add_f64 v[21:22], v[14:15], 0
	v_add_f64 v[23:24], v[10:11], 0
	s_delay_alu instid0(VALU_DEP_2) | instskip(NEXT) | instid1(VALU_DEP_2)
	v_ashrrev_i32_e32 v27, 31, v22
	v_ashrrev_i32_e32 v28, 31, v24
	s_delay_alu instid0(VALU_DEP_2) | instskip(NEXT) | instid1(VALU_DEP_2)
	v_or_b32_e32 v30, 0x80000000, v27
	v_or_b32_e32 v31, 0x80000000, v28
	v_xor_b32_e32 v21, v27, v21
	v_xor_b32_e32 v23, v28, v23
	s_delay_alu instid0(VALU_DEP_4) | instskip(NEXT) | instid1(VALU_DEP_4)
	v_xor_b32_e32 v22, v30, v22
	v_xor_b32_e32 v24, v31, v24
	s_delay_alu instid0(VALU_DEP_1) | instskip(NEXT) | instid1(VALU_DEP_1)
	v_cmp_le_u64_e64 s3, v[21:22], v[23:24]
	s_and_b32 s15, s3, exec_lo
.LBB1248_95:
	s_or_b32 exec_lo, exec_lo, s11
	s_delay_alu instid0(SALU_CYCLE_1)
	s_or_not1_b32 s11, s15, exec_lo
.LBB1248_96:
	s_or_b32 exec_lo, exec_lo, s14
	v_cndmask_b32_e64 v23, v25, v26, s11
	v_cndmask_b32_e64 v21, v29, v16, s11
	v_mov_b32_e32 v24, 0
	s_mov_b32 s15, 0
	s_mov_b32 s14, exec_lo
	v_add_nc_u32_e32 v30, 1, v23
	v_add_nc_u32_e32 v27, -1, v21
	v_lshlrev_b64 v[21:22], 3, v[23:24]
	s_delay_alu instid0(VALU_DEP_2) | instskip(NEXT) | instid1(VALU_DEP_1)
	v_min_u32_e32 v23, v30, v27
	v_lshlrev_b64 v[27:28], 3, v[23:24]
	v_cndmask_b32_e64 v23, v30, v25, s11
	v_cndmask_b32_e64 v30, v26, v30, s11
	s_delay_alu instid0(VALU_DEP_3) | instskip(NEXT) | instid1(VALU_DEP_1)
	v_add_co_u32 v27, s3, v35, v27
	v_add_co_ci_u32_e64 v28, s3, v36, v28, s3
	v_add_co_u32 v21, s3, v33, v21
	s_delay_alu instid0(VALU_DEP_1)
	v_add_co_ci_u32_e64 v22, s3, v34, v22, s3
	s_clause 0x1
	flat_load_b64 v[27:28], v[27:28]
	flat_load_b64 v[21:22], v[21:22]
	s_waitcnt vmcnt(1) lgkmcnt(1)
	v_cndmask_b32_e64 v26, v28, v11, s11
	v_cndmask_b32_e64 v25, v27, v10, s11
	v_cndmask_b32_e64 v28, v15, v28, s11
	v_cndmask_b32_e64 v27, v14, v27, s11
	v_cmpx_lt_u32_e64 v23, v29
	s_cbranch_execz .LBB1248_100
; %bb.97:
	s_mov_b32 s10, exec_lo
	v_cmpx_lt_u32_e64 v30, v16
	s_cbranch_execz .LBB1248_99
; %bb.98:
	v_add_f64 v[31:32], v[27:28], 0
	v_add_f64 v[35:36], v[25:26], 0
	s_delay_alu instid0(VALU_DEP_2) | instskip(NEXT) | instid1(VALU_DEP_2)
	v_ashrrev_i32_e32 v16, 31, v32
	v_ashrrev_i32_e32 v29, 31, v36
	s_delay_alu instid0(VALU_DEP_2) | instskip(NEXT) | instid1(VALU_DEP_2)
	v_or_b32_e32 v37, 0x80000000, v16
	v_or_b32_e32 v38, 0x80000000, v29
	v_xor_b32_e32 v31, v16, v31
	v_xor_b32_e32 v35, v29, v35
	s_delay_alu instid0(VALU_DEP_4) | instskip(NEXT) | instid1(VALU_DEP_4)
	v_xor_b32_e32 v32, v37, v32
	v_xor_b32_e32 v36, v38, v36
	s_delay_alu instid0(VALU_DEP_1) | instskip(NEXT) | instid1(VALU_DEP_1)
	v_cmp_le_u64_e64 s3, v[31:32], v[35:36]
	s_and_b32 s15, s3, exec_lo
.LBB1248_99:
	s_or_b32 exec_lo, exec_lo, s10
	s_delay_alu instid0(SALU_CYCLE_1)
	s_or_not1_b32 s10, s15, exec_lo
.LBB1248_100:
	s_or_b32 exec_lo, exec_lo, s14
	v_cndmask_b32_e64 v23, v23, v30, s10
	v_cndmask_b32_e64 v11, v11, v15, s11
	v_cndmask_b32_e64 v10, v10, v14, s11
	v_cndmask_b32_e64 v67, v7, v13, s4
	v_cndmask_b32_e64 v66, v6, v12, s4
	v_lshlrev_b64 v[23:24], 3, v[23:24]
	v_cndmask_b32_e64 v65, v5, v1, s6
	v_cndmask_b32_e64 v64, v4, v0, s6
	v_cndmask_b32_e64 v13, v26, v28, s10
	v_cndmask_b32_e64 v12, v25, v27, s10
	v_add_co_u32 v23, s3, v33, v23
	s_delay_alu instid0(VALU_DEP_1)
	v_add_co_ci_u32_e64 v24, s3, v34, v24, s3
	flat_load_b64 v[23:24], v[23:24]
.LBB1248_101:
	s_or_b32 exec_lo, exec_lo, s5
	v_add_co_u32 v0, s3, v2, v68
	s_delay_alu instid0(VALU_DEP_1) | instskip(NEXT) | instid1(VALU_DEP_2)
	v_add_co_ci_u32_e64 v1, s3, v3, v69, s3
	v_add_co_u32 v0, s3, v0, v80
	s_delay_alu instid0(VALU_DEP_1)
	v_add_co_ci_u32_e64 v1, s3, 0, v1, s3
	; wave barrier
	s_waitcnt vmcnt(0) lgkmcnt(0)
	s_waitcnt_vscnt null, 0x0
	s_barrier
	buffer_gl0_inv
	; wave barrier
	s_and_saveexec_b32 s3, vcc_lo
	s_cbranch_execnz .LBB1248_222
; %bb.102:
	s_or_b32 exec_lo, exec_lo, s3
	s_and_saveexec_b32 s3, s0
	s_cbranch_execnz .LBB1248_223
.LBB1248_103:
	s_or_b32 exec_lo, exec_lo, s3
	s_and_saveexec_b32 s3, s1
	s_cbranch_execnz .LBB1248_224
.LBB1248_104:
	s_or_b32 exec_lo, exec_lo, s3
	s_and_saveexec_b32 s3, s2
	s_cbranch_execz .LBB1248_106
.LBB1248_105:
	flat_store_b64 v[0:1], v[12:13] offset:24
.LBB1248_106:
	s_or_b32 exec_lo, exec_lo, s3
	v_add_co_u32 v0, s3, v8, v68
	s_delay_alu instid0(VALU_DEP_1) | instskip(NEXT) | instid1(VALU_DEP_2)
	v_add_co_ci_u32_e64 v1, s3, v9, v69, s3
	v_add_co_u32 v0, s3, v0, v80
	s_delay_alu instid0(VALU_DEP_1)
	v_add_co_ci_u32_e64 v1, s3, 0, v1, s3
	; wave barrier
	s_and_saveexec_b32 s3, vcc_lo
	s_cbranch_execnz .LBB1248_225
; %bb.107:
	s_or_b32 exec_lo, exec_lo, s3
	s_and_saveexec_b32 s3, s0
	s_cbranch_execnz .LBB1248_226
.LBB1248_108:
	s_or_b32 exec_lo, exec_lo, s3
	s_and_saveexec_b32 s0, s1
	s_cbranch_execz .LBB1248_110
.LBB1248_109:
	flat_store_b64 v[0:1], v[21:22] offset:16
.LBB1248_110:
	s_or_b32 exec_lo, exec_lo, s0
	s_delay_alu instid0(SALU_CYCLE_1)
	s_and_b32 s6, s2, exec_lo
                                        ; implicit-def: $vgpr12
                                        ; implicit-def: $vgpr81
                                        ; implicit-def: $vgpr25_vgpr26
                                        ; implicit-def: $vgpr4
                                        ; implicit-def: $vgpr5
                                        ; implicit-def: $vgpr6
                                        ; implicit-def: $vgpr7
                                        ; implicit-def: $vgpr10
                                        ; implicit-def: $vgpr15
                                        ; implicit-def: $vgpr16
                                        ; implicit-def: $vgpr82
                                        ; implicit-def: $vgpr31
	s_and_not1_saveexec_b32 s7, s7
	s_cbranch_execz .LBB1248_2
.LBB1248_111:
	s_mov_b32 s2, -1
	s_brev_b32 s3, -2
	s_delay_alu instid0(SALU_CYCLE_1)
	v_dual_mov_b32 v65, s3 :: v_dual_mov_b32 v64, s2
	s_and_saveexec_b32 s0, vcc_lo
	s_cbranch_execz .LBB1248_113
; %bb.112:
	flat_load_b64 v[64:65], v[25:26]
.LBB1248_113:
	s_or_b32 exec_lo, exec_lo, s0
	v_or_b32_e32 v0, 1, v82
	v_dual_mov_b32 v67, s3 :: v_dual_mov_b32 v66, s2
	s_delay_alu instid0(VALU_DEP_2) | instskip(NEXT) | instid1(VALU_DEP_1)
	v_cmp_lt_u32_e64 s0, v0, v12
	s_and_saveexec_b32 s1, s0
	s_cbranch_execz .LBB1248_115
; %bb.114:
	flat_load_b64 v[66:67], v[25:26] offset:8
.LBB1248_115:
	s_or_b32 exec_lo, exec_lo, s1
	v_or_b32_e32 v0, 2, v82
	s_mov_b32 s4, -1
	s_brev_b32 s5, -2
	s_delay_alu instid0(VALU_DEP_1) | instskip(SKIP_1) | instid1(VALU_DEP_2)
	v_cmp_lt_u32_e64 s1, v0, v12
	v_dual_mov_b32 v0, s4 :: v_dual_mov_b32 v1, s5
	s_and_saveexec_b32 s2, s1
	s_cbranch_execz .LBB1248_117
; %bb.116:
	flat_load_b64 v[0:1], v[25:26] offset:16
.LBB1248_117:
	s_or_b32 exec_lo, exec_lo, s2
	v_or_b32_e32 v2, 3, v82
	s_delay_alu instid0(VALU_DEP_1) | instskip(SKIP_1) | instid1(VALU_DEP_2)
	v_cmp_lt_u32_e64 s2, v2, v12
	v_dual_mov_b32 v2, s4 :: v_dual_mov_b32 v3, s5
	s_and_saveexec_b32 s3, s2
	s_cbranch_execz .LBB1248_119
; %bb.118:
	flat_load_b64 v[2:3], v[25:26] offset:24
.LBB1248_119:
	s_or_b32 exec_lo, exec_lo, s3
	v_add_co_u32 v6, s3, v6, v68
	s_delay_alu instid0(VALU_DEP_1) | instskip(NEXT) | instid1(VALU_DEP_2)
	v_add_co_ci_u32_e64 v7, s3, v7, v69, s3
	v_add_co_u32 v6, s3, v6, v80
	s_delay_alu instid0(VALU_DEP_1)
	v_add_co_ci_u32_e64 v7, s3, 0, v7, s3
	; wave barrier
                                        ; implicit-def: $vgpr17_vgpr18_vgpr19_vgpr20_vgpr21_vgpr22_vgpr23_vgpr24
	s_and_saveexec_b32 s3, vcc_lo
	s_cbranch_execnz .LBB1248_227
; %bb.120:
	s_or_b32 exec_lo, exec_lo, s3
	s_and_saveexec_b32 s3, s0
	s_cbranch_execnz .LBB1248_228
.LBB1248_121:
	s_or_b32 exec_lo, exec_lo, s3
	s_and_saveexec_b32 s3, s1
	s_cbranch_execnz .LBB1248_229
.LBB1248_122:
	s_or_b32 exec_lo, exec_lo, s3
	s_and_saveexec_b32 s3, s2
	s_cbranch_execz .LBB1248_124
.LBB1248_123:
	flat_load_b64 v[23:24], v[6:7] offset:24
.LBB1248_124:
	s_or_b32 exec_lo, exec_lo, s3
	; wave barrier
	s_load_b64 s[4:5], s[8:9], 0x0
	v_mov_b32_e32 v6, 0
	v_bfe_u32 v8, v31, 10, 10
	v_bfe_u32 v9, v31, 20, 10
	s_waitcnt lgkmcnt(0)
	s_cmp_lt_u32 s13, s5
	s_cselect_b32 s3, 14, 20
	s_delay_alu instid0(SALU_CYCLE_1) | instskip(SKIP_4) | instid1(SALU_CYCLE_1)
	s_add_u32 s10, s8, s3
	s_addc_u32 s11, s9, 0
	s_cmp_lt_u32 s12, s4
	global_load_u16 v7, v6, s[10:11]
	s_cselect_b32 s3, 12, 18
	s_add_u32 s4, s8, s3
	s_addc_u32 s5, s9, 0
	global_load_u16 v6, v6, s[4:5]
	s_mov_b32 s5, exec_lo
	s_waitcnt vmcnt(1)
	v_mad_u32_u24 v7, v9, v7, v8
	s_waitcnt vmcnt(0)
	s_delay_alu instid0(VALU_DEP_1) | instskip(SKIP_1) | instid1(VALU_DEP_1)
	v_mul_lo_u32 v6, v7, v6
	v_and_b32_e32 v7, 0x3ff, v31
	v_add_lshl_u32 v14, v6, v7, 2
	s_delay_alu instid0(VALU_DEP_1)
	v_cmpx_gt_u32_e32 0x400, v14
	s_cbranch_execz .LBB1248_136
; %bb.125:
	v_add_f64 v[6:7], v[64:65], 0
	v_add_f64 v[8:9], v[66:67], 0
	;; [unrolled: 1-line block ×4, first 2 shown]
	s_mov_b32 s8, exec_lo
	s_delay_alu instid0(VALU_DEP_4) | instskip(NEXT) | instid1(VALU_DEP_4)
	v_ashrrev_i32_e32 v27, 31, v7
	v_ashrrev_i32_e32 v28, 31, v9
	s_delay_alu instid0(VALU_DEP_4) | instskip(NEXT) | instid1(VALU_DEP_4)
	v_ashrrev_i32_e32 v29, 31, v13
	v_ashrrev_i32_e32 v30, 31, v26
	s_delay_alu instid0(VALU_DEP_4) | instskip(NEXT) | instid1(VALU_DEP_4)
	v_or_b32_e32 v31, 0x80000000, v27
	v_or_b32_e32 v32, 0x80000000, v28
	v_xor_b32_e32 v6, v27, v6
	v_xor_b32_e32 v27, v28, v8
	v_or_b32_e32 v33, 0x80000000, v29
	v_xor_b32_e32 v7, v31, v7
	v_xor_b32_e32 v28, v32, v9
	v_or_b32_e32 v34, 0x80000000, v30
	v_xor_b32_e32 v70, v29, v12
	v_xor_b32_e32 v8, v30, v25
	v_xor_b32_e32 v71, v33, v13
	v_cmp_gt_u64_e64 s3, v[6:7], v[27:28]
	v_xor_b32_e32 v9, v34, v26
	v_dual_mov_b32 v7, v1 :: v_dual_mov_b32 v6, v0
	s_delay_alu instid0(VALU_DEP_3)
	v_cndmask_b32_e64 v83, v20, v18, s3
	v_cndmask_b32_e64 v84, v19, v17, s3
	;; [unrolled: 1-line block ×4, first 2 shown]
	v_cmpx_gt_u64_e64 v[70:71], v[8:9]
; %bb.126:
	v_dual_mov_b32 v12, v21 :: v_dual_mov_b32 v13, v22
	v_dual_mov_b32 v7, v3 :: v_dual_mov_b32 v6, v2
	;; [unrolled: 1-line block ×6, first 2 shown]
; %bb.127:
	s_or_b32 exec_lo, exec_lo, s8
	v_cndmask_b32_e64 v13, v67, v65, s3
	v_cndmask_b32_e64 v12, v66, v64, s3
	s_delay_alu instid0(VALU_DEP_1) | instskip(NEXT) | instid1(VALU_DEP_1)
	v_add_f64 v[0:1], v[12:13], 0
	v_ashrrev_i32_e32 v8, 31, v1
	s_delay_alu instid0(VALU_DEP_1) | instskip(NEXT) | instid1(VALU_DEP_3)
	v_or_b32_e32 v9, 0x80000000, v8
	v_xor_b32_e32 v0, v8, v0
	s_delay_alu instid0(VALU_DEP_2) | instskip(NEXT) | instid1(VALU_DEP_1)
	v_xor_b32_e32 v1, v9, v1
                                        ; implicit-def: $vgpr8_vgpr9
	v_cmp_le_u64_e64 s4, v[0:1], v[70:71]
	s_delay_alu instid0(VALU_DEP_1) | instskip(NEXT) | instid1(SALU_CYCLE_1)
	s_and_saveexec_b32 s8, s4
	s_xor_b32 s4, exec_lo, s8
                                        ; implicit-def: $vgpr32_vgpr33_vgpr34_vgpr35_vgpr36_vgpr37_vgpr38_vgpr39
                                        ; implicit-def: $vgpr30_vgpr31_vgpr32_vgpr33_vgpr34_vgpr35_vgpr36_vgpr37
                                        ; implicit-def: $vgpr25_vgpr26_vgpr27_vgpr28_vgpr29_vgpr30_vgpr31_vgpr32
                                        ; implicit-def: $vgpr48_vgpr49_vgpr50_vgpr51_vgpr52_vgpr53_vgpr54_vgpr55
; %bb.128:
	v_add_f64 v[8:9], v[6:7], 0
	v_dual_mov_b32 v27, v84 :: v_dual_mov_b32 v84, v21
	v_mov_b32_e32 v33, v83
	v_dual_mov_b32 v83, v22 :: v_dual_mov_b32 v38, v23
	v_mov_b32_e32 v55, v24
                                        ; implicit-def: $vgpr21_vgpr22
                                        ; implicit-def: $vgpr70_vgpr71
	v_ashrrev_i32_e32 v19, 31, v9
	s_delay_alu instid0(VALU_DEP_1) | instskip(SKIP_1) | instid1(VALU_DEP_2)
	v_or_b32_e32 v20, 0x80000000, v19
	v_xor_b32_e32 v8, v19, v8
	v_xor_b32_e32 v9, v20, v9
; %bb.129:
	s_or_saveexec_b32 s4, s4
	v_dual_mov_b32 v26, v13 :: v_dual_mov_b32 v25, v12
	s_xor_b32 exec_lo, exec_lo, s4
; %bb.130:
	v_dual_mov_b32 v55, v24 :: v_dual_mov_b32 v26, v7
	v_mov_b32_e32 v9, v1
	v_dual_mov_b32 v25, v6 :: v_dual_mov_b32 v6, v12
	v_dual_mov_b32 v33, v22 :: v_dual_mov_b32 v8, v0
	;; [unrolled: 1-line block ×4, first 2 shown]
	v_mov_b32_e32 v1, v71
; %bb.131:
	s_or_b32 exec_lo, exec_lo, s4
	v_cndmask_b32_e64 v13, v65, v67, s3
	v_cndmask_b32_e64 v12, v64, v66, s3
	v_add_f64 v[22:23], v[2:3], 0
	s_mov_b32 s8, exec_lo
	s_delay_alu instid0(VALU_DEP_2) | instskip(NEXT) | instid1(VALU_DEP_2)
	v_add_f64 v[19:20], v[12:13], 0
	v_ashrrev_i32_e32 v24, 31, v23
	s_delay_alu instid0(VALU_DEP_2) | instskip(NEXT) | instid1(VALU_DEP_2)
	v_ashrrev_i32_e32 v21, 31, v20
	v_or_b32_e32 v30, 0x80000000, v24
	v_xor_b32_e32 v29, v24, v22
	v_mov_b32_e32 v22, v83
	v_mov_b32_e32 v24, v55
	v_or_b32_e32 v28, 0x80000000, v21
	v_xor_b32_e32 v19, v21, v19
	v_mov_b32_e32 v21, v84
	v_xor_b32_e32 v30, v30, v23
	v_mov_b32_e32 v23, v38
	v_xor_b32_e32 v20, v28, v20
	s_delay_alu instid0(VALU_DEP_1) | instskip(NEXT) | instid1(VALU_DEP_1)
	v_cmp_gt_u64_e64 s3, v[19:20], v[0:1]
	v_cndmask_b32_e64 v20, v33, v18, s3
	v_cndmask_b32_e64 v19, v27, v17, s3
	;; [unrolled: 1-line block ×4, first 2 shown]
	v_dual_mov_b32 v28, v7 :: v_dual_mov_b32 v27, v6
	v_cmpx_gt_u64_e64 v[8:9], v[29:30]
; %bb.132:
	s_delay_alu instid0(VALU_DEP_3) | instskip(SKIP_3) | instid1(VALU_DEP_4)
	v_dual_mov_b32 v31, v17 :: v_dual_mov_b32 v32, v18
	v_dual_mov_b32 v33, v19 :: v_dual_mov_b32 v34, v20
	;; [unrolled: 1-line block ×11, first 2 shown]
; %bb.133:
	s_or_b32 exec_lo, exec_lo, s8
	v_cndmask_b32_e64 v67, v26, v13, s3
	v_cndmask_b32_e64 v66, v25, v12, s3
	v_cndmask_b32_e64 v65, v13, v26, s3
	v_cndmask_b32_e64 v64, v12, v25, s3
	s_delay_alu instid0(VALU_DEP_3) | instskip(NEXT) | instid1(VALU_DEP_1)
	v_add_f64 v[0:1], v[66:67], 0
	v_ashrrev_i32_e32 v6, 31, v1
	s_delay_alu instid0(VALU_DEP_1) | instskip(NEXT) | instid1(VALU_DEP_3)
	v_or_b32_e32 v7, 0x80000000, v6
	v_xor_b32_e32 v0, v6, v0
	s_delay_alu instid0(VALU_DEP_2) | instskip(NEXT) | instid1(VALU_DEP_1)
	v_xor_b32_e32 v1, v7, v1
	v_cmp_gt_u64_e64 s3, v[0:1], v[8:9]
	v_dual_mov_b32 v0, v27 :: v_dual_mov_b32 v1, v28
	s_delay_alu instid0(VALU_DEP_2)
	s_and_saveexec_b32 s4, s3
; %bb.134:
	v_dual_mov_b32 v29, v17 :: v_dual_mov_b32 v30, v18
	v_dual_mov_b32 v31, v21 :: v_dual_mov_b32 v32, v22
	;; [unrolled: 1-line block ×4, first 2 shown]
	s_delay_alu instid0(VALU_DEP_4) | instskip(NEXT) | instid1(VALU_DEP_4)
	v_dual_mov_b32 v17, v29 :: v_dual_mov_b32 v18, v30
	v_dual_mov_b32 v19, v31 :: v_dual_mov_b32 v20, v32
	s_delay_alu instid0(VALU_DEP_4) | instskip(NEXT) | instid1(VALU_DEP_4)
	v_dual_mov_b32 v21, v33 :: v_dual_mov_b32 v22, v34
	v_dual_mov_b32 v23, v35 :: v_dual_mov_b32 v24, v36
	;; [unrolled: 1-line block ×4, first 2 shown]
; %bb.135:
	s_or_b32 exec_lo, exec_lo, s4
.LBB1248_136:
	s_delay_alu instid0(SALU_CYCLE_1) | instskip(SKIP_4) | instid1(VALU_DEP_4)
	s_or_b32 exec_lo, exec_lo, s5
	v_dual_mov_b32 v13, 0 :: v_dual_and_b32 v12, 0xffffff80, v14
	v_or_b32_e32 v6, 4, v81
	v_and_b32_e32 v8, 4, v81
	v_lshlrev_b32_e32 v9, 3, v81
	v_sub_nc_u32_e64 v37, 0x400, v12 clamp
	v_and_b32_e32 v14, 0x78, v81
	s_mov_b32 s4, exec_lo
	s_delay_alu instid0(VALU_DEP_2) | instskip(SKIP_2) | instid1(VALU_DEP_3)
	v_min_u32_e32 v38, v37, v6
	v_lshlrev_b64 v[6:7], 3, v[12:13]
	v_min_u32_e32 v25, v37, v8
	v_add_nc_u32_e32 v8, 4, v38
	v_sub_nc_u32_e32 v12, v38, v14
	s_delay_alu instid0(VALU_DEP_4) | instskip(NEXT) | instid1(VALU_DEP_1)
	v_add_co_u32 v35, s3, v15, v6
	v_add_co_ci_u32_e64 v36, s3, v16, v7, s3
	s_delay_alu instid0(VALU_DEP_4) | instskip(NEXT) | instid1(VALU_DEP_3)
	v_min_u32_e32 v39, v37, v8
	v_add_co_u32 v33, s3, 0x2000, v35
	s_delay_alu instid0(VALU_DEP_1) | instskip(NEXT) | instid1(VALU_DEP_3)
	v_add_co_ci_u32_e64 v34, s3, 0, v36, s3
	v_sub_nc_u32_e32 v8, v39, v38
	v_add_co_u32 v6, s3, v35, v9
	s_delay_alu instid0(VALU_DEP_1) | instskip(NEXT) | instid1(VALU_DEP_3)
	v_add_co_ci_u32_e64 v7, s3, 0, v36, s3
	v_sub_nc_u32_e64 v15, v25, v8 clamp
	v_add_co_u32 v8, s3, v33, v9
	v_min_u32_e32 v16, v25, v12
	v_add_co_ci_u32_e64 v9, s3, 0, v34, s3
	s_clause 0x3
	flat_store_b128 v[6:7], v[64:67]
	flat_store_b128 v[6:7], v[0:3] offset:16
	flat_store_b128 v[8:9], v[17:20]
	flat_store_b128 v[8:9], v[21:24] offset:16
	; wave barrier
	v_cmpx_lt_u32_e64 v15, v16
	s_cbranch_execz .LBB1248_140
; %bb.137:
	v_lshlrev_b32_e32 v12, 3, v14
	v_lshlrev_b32_e32 v28, 3, v38
	s_mov_b32 s5, 0
	s_delay_alu instid0(VALU_DEP_2) | instskip(NEXT) | instid1(VALU_DEP_1)
	v_add_co_u32 v26, s3, v35, v12
	v_add_co_ci_u32_e64 v27, s3, 0, v36, s3
	s_delay_alu instid0(VALU_DEP_3) | instskip(NEXT) | instid1(VALU_DEP_1)
	v_add_co_u32 v28, s3, v35, v28
	v_add_co_ci_u32_e64 v29, s3, 0, v36, s3
	s_set_inst_prefetch_distance 0x1
	.p2align	6
.LBB1248_138:                           ; =>This Inner Loop Header: Depth=1
	v_dual_mov_b32 v31, v13 :: v_dual_add_nc_u32 v12, v16, v15
	s_delay_alu instid0(VALU_DEP_1) | instskip(NEXT) | instid1(VALU_DEP_1)
	v_lshrrev_b32_e32 v12, 1, v12
	v_xad_u32 v30, v12, -1, v25
	v_lshlrev_b64 v[48:49], 3, v[12:13]
	s_delay_alu instid0(VALU_DEP_2) | instskip(NEXT) | instid1(VALU_DEP_2)
	v_lshlrev_b64 v[30:31], 3, v[30:31]
	v_add_co_u32 v48, s3, v26, v48
	s_delay_alu instid0(VALU_DEP_1) | instskip(NEXT) | instid1(VALU_DEP_3)
	v_add_co_ci_u32_e64 v49, s3, v27, v49, s3
	v_add_co_u32 v30, s3, v28, v30
	s_delay_alu instid0(VALU_DEP_1)
	v_add_co_ci_u32_e64 v31, s3, v29, v31, s3
	s_clause 0x1
	flat_load_b64 v[48:49], v[48:49]
	flat_load_b64 v[30:31], v[30:31]
	s_waitcnt vmcnt(1) lgkmcnt(1)
	v_add_f64 v[48:49], v[48:49], 0
	s_waitcnt vmcnt(0) lgkmcnt(0)
	v_add_f64 v[30:31], v[30:31], 0
	s_delay_alu instid0(VALU_DEP_2) | instskip(NEXT) | instid1(VALU_DEP_2)
	v_ashrrev_i32_e32 v32, 31, v49
	v_ashrrev_i32_e32 v50, 31, v31
	s_delay_alu instid0(VALU_DEP_2) | instskip(NEXT) | instid1(VALU_DEP_2)
	v_or_b32_e32 v51, 0x80000000, v32
	v_or_b32_e32 v52, 0x80000000, v50
	v_xor_b32_e32 v48, v32, v48
	v_xor_b32_e32 v30, v50, v30
	s_delay_alu instid0(VALU_DEP_4) | instskip(NEXT) | instid1(VALU_DEP_4)
	v_xor_b32_e32 v49, v51, v49
	v_xor_b32_e32 v31, v52, v31
	s_delay_alu instid0(VALU_DEP_1) | instskip(SKIP_1) | instid1(VALU_DEP_2)
	v_cmp_gt_u64_e64 s3, v[48:49], v[30:31]
	v_add_nc_u32_e32 v30, 1, v12
	v_cndmask_b32_e64 v16, v16, v12, s3
	s_delay_alu instid0(VALU_DEP_2) | instskip(NEXT) | instid1(VALU_DEP_1)
	v_cndmask_b32_e64 v15, v30, v15, s3
	v_cmp_ge_u32_e64 s3, v15, v16
	s_delay_alu instid0(VALU_DEP_1) | instskip(NEXT) | instid1(SALU_CYCLE_1)
	s_or_b32 s5, s3, s5
	s_and_not1_b32 exec_lo, exec_lo, s5
	s_cbranch_execnz .LBB1248_138
; %bb.139:
	s_set_inst_prefetch_distance 0x2
	s_or_b32 exec_lo, exec_lo, s5
.LBB1248_140:
	s_delay_alu instid0(SALU_CYCLE_1) | instskip(SKIP_2) | instid1(VALU_DEP_2)
	s_or_b32 exec_lo, exec_lo, s4
	v_add_nc_u32_e32 v12, v38, v25
	v_add_nc_u32_e32 v14, v15, v14
	v_sub_nc_u32_e32 v16, v12, v15
	s_delay_alu instid0(VALU_DEP_2) | instskip(NEXT) | instid1(VALU_DEP_2)
	v_cmp_le_u32_e64 s3, v14, v38
	v_cmp_le_u32_e64 s4, v16, v39
	s_delay_alu instid0(VALU_DEP_1) | instskip(NEXT) | instid1(SALU_CYCLE_1)
	s_or_b32 s3, s3, s4
	s_and_saveexec_b32 s5, s3
	s_cbranch_execz .LBB1248_160
; %bb.141:
	v_cmp_ge_u32_e64 s3, v14, v38
	s_mov_b32 s8, exec_lo
                                        ; implicit-def: $vgpr2_vgpr3
	v_cmpx_lt_u32_e64 v14, v38
	s_cbranch_execz .LBB1248_143
; %bb.142:
	v_mov_b32_e32 v15, 0
	s_delay_alu instid0(VALU_DEP_1) | instskip(NEXT) | instid1(VALU_DEP_1)
	v_lshlrev_b64 v[0:1], 3, v[14:15]
	v_add_co_u32 v0, s4, v35, v0
	s_delay_alu instid0(VALU_DEP_1)
	v_add_co_ci_u32_e64 v1, s4, v36, v1, s4
	flat_load_b64 v[2:3], v[0:1]
.LBB1248_143:
	s_or_b32 exec_lo, exec_lo, s8
	v_cmp_ge_u32_e64 s8, v16, v39
	s_mov_b32 s9, exec_lo
                                        ; implicit-def: $vgpr12_vgpr13
	v_cmpx_lt_u32_e64 v16, v39
	s_cbranch_execz .LBB1248_145
; %bb.144:
	v_mov_b32_e32 v17, 0
	s_delay_alu instid0(VALU_DEP_1) | instskip(NEXT) | instid1(VALU_DEP_1)
	v_lshlrev_b64 v[0:1], 3, v[16:17]
	v_add_co_u32 v0, s4, v35, v0
	s_delay_alu instid0(VALU_DEP_1)
	v_add_co_ci_u32_e64 v1, s4, v36, v1, s4
	flat_load_b64 v[12:13], v[0:1]
.LBB1248_145:
	s_or_b32 exec_lo, exec_lo, s9
	s_or_b32 s3, s3, s8
	s_mov_b32 s4, -1
	s_xor_b32 s3, s3, -1
	s_delay_alu instid0(SALU_CYCLE_1)
	s_and_saveexec_b32 s9, s3
	s_cbranch_execz .LBB1248_147
; %bb.146:
	s_waitcnt vmcnt(0) lgkmcnt(0)
	v_add_f64 v[0:1], v[2:3], 0
	v_add_f64 v[17:18], v[12:13], 0
	s_and_not1_b32 s8, s8, exec_lo
	s_delay_alu instid0(VALU_DEP_2) | instskip(NEXT) | instid1(VALU_DEP_2)
	v_ashrrev_i32_e32 v15, 31, v1
	v_ashrrev_i32_e32 v19, 31, v18
	s_delay_alu instid0(VALU_DEP_2) | instskip(NEXT) | instid1(VALU_DEP_2)
	v_or_b32_e32 v20, 0x80000000, v15
	v_or_b32_e32 v21, 0x80000000, v19
	v_xor_b32_e32 v0, v15, v0
	v_xor_b32_e32 v17, v19, v17
	s_delay_alu instid0(VALU_DEP_4) | instskip(NEXT) | instid1(VALU_DEP_4)
	v_xor_b32_e32 v1, v20, v1
	v_xor_b32_e32 v18, v21, v18
	s_delay_alu instid0(VALU_DEP_1) | instskip(NEXT) | instid1(VALU_DEP_1)
	v_cmp_le_u64_e64 s3, v[0:1], v[17:18]
	s_and_b32 s3, s3, exec_lo
	s_delay_alu instid0(SALU_CYCLE_1)
	s_or_b32 s8, s8, s3
.LBB1248_147:
	s_or_b32 exec_lo, exec_lo, s9
	v_cndmask_b32_e64 v0, v16, v14, s8
	v_cndmask_b32_e64 v15, v39, v38, s8
	v_mov_b32_e32 v1, 0
	s_mov_b32 s10, 0
	s_mov_b32 s9, exec_lo
	v_add_nc_u32_e32 v21, 1, v0
	v_add_nc_u32_e32 v15, -1, v15
	v_lshlrev_b64 v[17:18], 3, v[0:1]
	s_delay_alu instid0(VALU_DEP_3) | instskip(NEXT) | instid1(VALU_DEP_3)
	v_cndmask_b32_e64 v16, v21, v16, s8
	v_min_u32_e32 v0, v21, v15
	v_cndmask_b32_e64 v21, v14, v21, s8
	s_delay_alu instid0(VALU_DEP_2) | instskip(NEXT) | instid1(VALU_DEP_1)
	v_lshlrev_b64 v[19:20], 3, v[0:1]
	v_add_co_u32 v19, s3, v35, v19
	s_delay_alu instid0(VALU_DEP_1) | instskip(SKIP_1) | instid1(VALU_DEP_1)
	v_add_co_ci_u32_e64 v20, s3, v36, v20, s3
	v_add_co_u32 v17, s3, v33, v17
	v_add_co_ci_u32_e64 v18, s3, v34, v18, s3
	s_clause 0x1
	flat_load_b64 v[19:20], v[19:20]
	flat_load_b64 v[17:18], v[17:18]
	s_waitcnt vmcnt(1) lgkmcnt(1)
	v_cndmask_b32_e64 v15, v20, v13, s8
	v_cndmask_b32_e64 v14, v19, v12, s8
	;; [unrolled: 1-line block ×4, first 2 shown]
	v_cmpx_lt_u32_e64 v16, v39
	s_cbranch_execz .LBB1248_151
; %bb.148:
	s_mov_b32 s4, exec_lo
	v_cmpx_lt_u32_e64 v21, v38
	s_cbranch_execz .LBB1248_150
; %bb.149:
	v_add_f64 v[19:20], v[25:26], 0
	v_add_f64 v[22:23], v[14:15], 0
	s_delay_alu instid0(VALU_DEP_2) | instskip(NEXT) | instid1(VALU_DEP_2)
	v_ashrrev_i32_e32 v0, 31, v20
	v_ashrrev_i32_e32 v24, 31, v23
	s_delay_alu instid0(VALU_DEP_2) | instskip(NEXT) | instid1(VALU_DEP_2)
	v_or_b32_e32 v27, 0x80000000, v0
	v_or_b32_e32 v28, 0x80000000, v24
	v_xor_b32_e32 v19, v0, v19
	v_xor_b32_e32 v22, v24, v22
	s_delay_alu instid0(VALU_DEP_4) | instskip(NEXT) | instid1(VALU_DEP_4)
	v_xor_b32_e32 v20, v27, v20
	v_xor_b32_e32 v23, v28, v23
	s_delay_alu instid0(VALU_DEP_1) | instskip(NEXT) | instid1(VALU_DEP_1)
	v_cmp_le_u64_e64 s3, v[19:20], v[22:23]
	s_and_b32 s10, s3, exec_lo
.LBB1248_150:
	s_or_b32 exec_lo, exec_lo, s4
	s_delay_alu instid0(SALU_CYCLE_1)
	s_or_not1_b32 s4, s10, exec_lo
.LBB1248_151:
	s_or_b32 exec_lo, exec_lo, s9
	v_cndmask_b32_e64 v0, v16, v21, s4
	v_cndmask_b32_e64 v19, v39, v38, s4
	s_mov_b32 s12, 0
	s_mov_b32 s9, -1
	s_mov_b32 s10, -1
	v_add_nc_u32_e32 v24, 1, v0
	v_add_nc_u32_e32 v22, -1, v19
	v_lshlrev_b64 v[19:20], 3, v[0:1]
	s_mov_b32 s11, exec_lo
	s_delay_alu instid0(VALU_DEP_3) | instskip(NEXT) | instid1(VALU_DEP_3)
	v_cndmask_b32_e64 v16, v24, v16, s4
	v_min_u32_e32 v0, v24, v22
	v_cndmask_b32_e64 v29, v21, v24, s4
	s_delay_alu instid0(VALU_DEP_2) | instskip(NEXT) | instid1(VALU_DEP_1)
	v_lshlrev_b64 v[0:1], 3, v[0:1]
	v_add_co_u32 v0, s3, v35, v0
	s_delay_alu instid0(VALU_DEP_1) | instskip(SKIP_2) | instid1(VALU_DEP_1)
	v_add_co_ci_u32_e64 v1, s3, v36, v1, s3
	flat_load_b64 v[22:23], v[0:1]
	v_add_co_u32 v0, s3, v33, v19
	v_add_co_ci_u32_e64 v1, s3, v34, v20, s3
	flat_load_b64 v[19:20], v[0:1]
	s_waitcnt vmcnt(1) lgkmcnt(1)
	v_cndmask_b32_e64 v1, v23, v15, s4
	v_cndmask_b32_e64 v0, v22, v14, s4
	;; [unrolled: 1-line block ×4, first 2 shown]
	v_cmpx_lt_u32_e64 v16, v39
	s_cbranch_execz .LBB1248_155
; %bb.152:
	s_mov_b32 s10, exec_lo
	v_cmpx_lt_u32_e64 v29, v38
	s_cbranch_execz .LBB1248_154
; %bb.153:
	v_add_f64 v[21:22], v[27:28], 0
	v_add_f64 v[23:24], v[0:1], 0
	s_delay_alu instid0(VALU_DEP_2) | instskip(NEXT) | instid1(VALU_DEP_2)
	v_ashrrev_i32_e32 v30, 31, v22
	v_ashrrev_i32_e32 v31, 31, v24
	s_delay_alu instid0(VALU_DEP_2) | instskip(NEXT) | instid1(VALU_DEP_2)
	v_or_b32_e32 v32, 0x80000000, v30
	v_or_b32_e32 v48, 0x80000000, v31
	v_xor_b32_e32 v21, v30, v21
	v_xor_b32_e32 v23, v31, v23
	s_delay_alu instid0(VALU_DEP_4) | instskip(NEXT) | instid1(VALU_DEP_4)
	v_xor_b32_e32 v22, v32, v22
	v_xor_b32_e32 v24, v48, v24
	s_delay_alu instid0(VALU_DEP_1) | instskip(NEXT) | instid1(VALU_DEP_1)
	v_cmp_le_u64_e64 s3, v[21:22], v[23:24]
	s_and_b32 s12, s3, exec_lo
.LBB1248_154:
	s_or_b32 exec_lo, exec_lo, s10
	s_delay_alu instid0(SALU_CYCLE_1)
	s_or_not1_b32 s10, s12, exec_lo
.LBB1248_155:
	s_or_b32 exec_lo, exec_lo, s11
	v_cndmask_b32_e64 v23, v16, v29, s10
	v_cndmask_b32_e64 v21, v39, v38, s10
	v_mov_b32_e32 v24, 0
	s_mov_b32 s12, 0
	s_mov_b32 s11, exec_lo
	v_add_nc_u32_e32 v48, 1, v23
	v_add_nc_u32_e32 v30, -1, v21
	v_lshlrev_b64 v[21:22], 3, v[23:24]
	s_delay_alu instid0(VALU_DEP_3) | instskip(NEXT) | instid1(VALU_DEP_3)
	v_cndmask_b32_e64 v16, v48, v16, s10
	v_min_u32_e32 v23, v48, v30
	s_delay_alu instid0(VALU_DEP_1) | instskip(SKIP_1) | instid1(VALU_DEP_2)
	v_lshlrev_b64 v[30:31], 3, v[23:24]
	v_cndmask_b32_e64 v23, v29, v48, s10
	v_add_co_u32 v30, s3, v35, v30
	s_delay_alu instid0(VALU_DEP_1) | instskip(SKIP_1) | instid1(VALU_DEP_1)
	v_add_co_ci_u32_e64 v31, s3, v36, v31, s3
	v_add_co_u32 v21, s3, v33, v21
	v_add_co_ci_u32_e64 v22, s3, v34, v22, s3
	s_clause 0x1
	flat_load_b64 v[31:32], v[30:31]
	flat_load_b64 v[21:22], v[21:22]
	s_waitcnt vmcnt(1) lgkmcnt(1)
	v_cndmask_b32_e64 v30, v32, v1, s10
	v_cndmask_b32_e64 v29, v31, v0, s10
	v_cndmask_b32_e64 v32, v28, v32, s10
	v_cndmask_b32_e64 v31, v27, v31, s10
	v_cmpx_lt_u32_e64 v16, v39
	s_cbranch_execz .LBB1248_159
; %bb.156:
	s_mov_b32 s9, exec_lo
	v_cmpx_lt_u32_e64 v23, v38
	s_cbranch_execz .LBB1248_158
; %bb.157:
	v_add_f64 v[38:39], v[31:32], 0
	v_add_f64 v[48:49], v[29:30], 0
	s_delay_alu instid0(VALU_DEP_2) | instskip(NEXT) | instid1(VALU_DEP_2)
	v_ashrrev_i32_e32 v50, 31, v39
	v_ashrrev_i32_e32 v51, 31, v49
	s_delay_alu instid0(VALU_DEP_2) | instskip(NEXT) | instid1(VALU_DEP_2)
	v_or_b32_e32 v52, 0x80000000, v50
	v_or_b32_e32 v53, 0x80000000, v51
	v_xor_b32_e32 v38, v50, v38
	v_xor_b32_e32 v48, v51, v48
	s_delay_alu instid0(VALU_DEP_4) | instskip(NEXT) | instid1(VALU_DEP_4)
	v_xor_b32_e32 v39, v52, v39
	v_xor_b32_e32 v49, v53, v49
	s_delay_alu instid0(VALU_DEP_1) | instskip(NEXT) | instid1(VALU_DEP_1)
	v_cmp_le_u64_e64 s3, v[38:39], v[48:49]
	s_and_b32 s12, s3, exec_lo
.LBB1248_158:
	s_or_b32 exec_lo, exec_lo, s9
	s_delay_alu instid0(SALU_CYCLE_1)
	s_or_not1_b32 s9, s12, exec_lo
.LBB1248_159:
	s_or_b32 exec_lo, exec_lo, s11
	v_cndmask_b32_e64 v23, v16, v23, s9
	v_cndmask_b32_e64 v1, v1, v28, s10
	;; [unrolled: 1-line block ×5, first 2 shown]
	v_lshlrev_b64 v[23:24], 3, v[23:24]
	v_cndmask_b32_e64 v65, v13, v3, s8
	v_cndmask_b32_e64 v64, v12, v2, s8
	;; [unrolled: 1-line block ×4, first 2 shown]
	v_add_co_u32 v23, s3, v33, v23
	s_delay_alu instid0(VALU_DEP_1)
	v_add_co_ci_u32_e64 v24, s3, v34, v24, s3
	flat_load_b64 v[23:24], v[23:24]
.LBB1248_160:
	s_or_b32 exec_lo, exec_lo, s5
	v_and_b32_e32 v14, 0x70, v81
	v_and_b32_e32 v13, 12, v81
	s_mov_b32 s4, exec_lo
	; wave barrier
	s_delay_alu instid0(VALU_DEP_2) | instskip(NEXT) | instid1(VALU_DEP_2)
	v_or_b32_e32 v12, 8, v14
	v_min_u32_e32 v15, v37, v13
	s_clause 0x2
	flat_store_b128 v[6:7], v[64:67]
	flat_store_b128 v[6:7], v[0:3] offset:16
	flat_store_b128 v[8:9], v[17:20]
	s_waitcnt vmcnt(0) lgkmcnt(3)
	flat_store_b128 v[8:9], v[21:24] offset:16
	; wave barrier
	v_min_u32_e32 v38, v37, v12
	s_delay_alu instid0(VALU_DEP_1) | instskip(SKIP_1) | instid1(VALU_DEP_2)
	v_add_nc_u32_e32 v12, 8, v38
	v_sub_nc_u32_e32 v13, v38, v14
	v_min_u32_e32 v39, v37, v12
	s_delay_alu instid0(VALU_DEP_2) | instskip(NEXT) | instid1(VALU_DEP_2)
	v_min_u32_e32 v25, v15, v13
	v_sub_nc_u32_e32 v12, v39, v38
	s_delay_alu instid0(VALU_DEP_1) | instskip(NEXT) | instid1(VALU_DEP_1)
	v_sub_nc_u32_e64 v16, v15, v12 clamp
	v_cmpx_lt_u32_e64 v16, v25
	s_cbranch_execz .LBB1248_164
; %bb.161:
	v_lshlrev_b32_e32 v12, 3, v14
	v_lshlrev_b32_e32 v13, 3, v38
	s_mov_b32 s5, 0
	s_delay_alu instid0(VALU_DEP_2) | instskip(NEXT) | instid1(VALU_DEP_1)
	v_add_co_u32 v26, s3, v35, v12
	v_add_co_ci_u32_e64 v27, s3, 0, v36, s3
	s_delay_alu instid0(VALU_DEP_3)
	v_add_co_u32 v28, s3, v35, v13
	v_mov_b32_e32 v13, 0
	v_add_co_ci_u32_e64 v29, s3, 0, v36, s3
	s_set_inst_prefetch_distance 0x1
	.p2align	6
.LBB1248_162:                           ; =>This Inner Loop Header: Depth=1
	v_add_nc_u32_e32 v12, v25, v16
	s_delay_alu instid0(VALU_DEP_1) | instskip(SKIP_1) | instid1(VALU_DEP_2)
	v_lshrrev_b32_e32 v12, 1, v12
	v_mov_b32_e32 v31, v13
	v_xad_u32 v30, v12, -1, v15
	v_lshlrev_b64 v[48:49], 3, v[12:13]
	s_delay_alu instid0(VALU_DEP_2) | instskip(NEXT) | instid1(VALU_DEP_2)
	v_lshlrev_b64 v[30:31], 3, v[30:31]
	v_add_co_u32 v48, s3, v26, v48
	s_delay_alu instid0(VALU_DEP_1) | instskip(NEXT) | instid1(VALU_DEP_3)
	v_add_co_ci_u32_e64 v49, s3, v27, v49, s3
	v_add_co_u32 v30, s3, v28, v30
	s_delay_alu instid0(VALU_DEP_1)
	v_add_co_ci_u32_e64 v31, s3, v29, v31, s3
	s_clause 0x1
	flat_load_b64 v[48:49], v[48:49]
	flat_load_b64 v[30:31], v[30:31]
	s_waitcnt vmcnt(1) lgkmcnt(1)
	v_add_f64 v[48:49], v[48:49], 0
	s_waitcnt vmcnt(0) lgkmcnt(0)
	v_add_f64 v[30:31], v[30:31], 0
	s_delay_alu instid0(VALU_DEP_2) | instskip(NEXT) | instid1(VALU_DEP_2)
	v_ashrrev_i32_e32 v32, 31, v49
	v_ashrrev_i32_e32 v50, 31, v31
	s_delay_alu instid0(VALU_DEP_2) | instskip(NEXT) | instid1(VALU_DEP_2)
	v_or_b32_e32 v51, 0x80000000, v32
	v_or_b32_e32 v52, 0x80000000, v50
	v_xor_b32_e32 v48, v32, v48
	v_xor_b32_e32 v30, v50, v30
	s_delay_alu instid0(VALU_DEP_4) | instskip(NEXT) | instid1(VALU_DEP_4)
	v_xor_b32_e32 v49, v51, v49
	v_xor_b32_e32 v31, v52, v31
	s_delay_alu instid0(VALU_DEP_1) | instskip(SKIP_1) | instid1(VALU_DEP_2)
	v_cmp_gt_u64_e64 s3, v[48:49], v[30:31]
	v_add_nc_u32_e32 v30, 1, v12
	v_cndmask_b32_e64 v25, v25, v12, s3
	s_delay_alu instid0(VALU_DEP_2) | instskip(NEXT) | instid1(VALU_DEP_1)
	v_cndmask_b32_e64 v16, v30, v16, s3
	v_cmp_ge_u32_e64 s3, v16, v25
	s_delay_alu instid0(VALU_DEP_1) | instskip(NEXT) | instid1(SALU_CYCLE_1)
	s_or_b32 s5, s3, s5
	s_and_not1_b32 exec_lo, exec_lo, s5
	s_cbranch_execnz .LBB1248_162
; %bb.163:
	s_set_inst_prefetch_distance 0x2
	s_or_b32 exec_lo, exec_lo, s5
.LBB1248_164:
	s_delay_alu instid0(SALU_CYCLE_1) | instskip(SKIP_2) | instid1(VALU_DEP_2)
	s_or_b32 exec_lo, exec_lo, s4
	v_add_nc_u32_e32 v12, v38, v15
	v_add_nc_u32_e32 v14, v16, v14
	v_sub_nc_u32_e32 v16, v12, v16
	s_delay_alu instid0(VALU_DEP_2) | instskip(NEXT) | instid1(VALU_DEP_2)
	v_cmp_le_u32_e64 s3, v14, v38
	v_cmp_le_u32_e64 s4, v16, v39
	s_delay_alu instid0(VALU_DEP_1) | instskip(NEXT) | instid1(SALU_CYCLE_1)
	s_or_b32 s3, s3, s4
	s_and_saveexec_b32 s5, s3
	s_cbranch_execz .LBB1248_184
; %bb.165:
	v_cmp_ge_u32_e64 s3, v14, v38
	s_mov_b32 s8, exec_lo
                                        ; implicit-def: $vgpr2_vgpr3
	v_cmpx_lt_u32_e64 v14, v38
	s_cbranch_execz .LBB1248_167
; %bb.166:
	v_mov_b32_e32 v15, 0
	s_delay_alu instid0(VALU_DEP_1) | instskip(NEXT) | instid1(VALU_DEP_1)
	v_lshlrev_b64 v[0:1], 3, v[14:15]
	v_add_co_u32 v0, s4, v35, v0
	s_delay_alu instid0(VALU_DEP_1)
	v_add_co_ci_u32_e64 v1, s4, v36, v1, s4
	flat_load_b64 v[2:3], v[0:1]
.LBB1248_167:
	s_or_b32 exec_lo, exec_lo, s8
	v_cmp_ge_u32_e64 s8, v16, v39
	s_mov_b32 s9, exec_lo
                                        ; implicit-def: $vgpr12_vgpr13
	v_cmpx_lt_u32_e64 v16, v39
	s_cbranch_execz .LBB1248_169
; %bb.168:
	v_mov_b32_e32 v17, 0
	s_delay_alu instid0(VALU_DEP_1) | instskip(NEXT) | instid1(VALU_DEP_1)
	v_lshlrev_b64 v[0:1], 3, v[16:17]
	v_add_co_u32 v0, s4, v35, v0
	s_delay_alu instid0(VALU_DEP_1)
	v_add_co_ci_u32_e64 v1, s4, v36, v1, s4
	flat_load_b64 v[12:13], v[0:1]
.LBB1248_169:
	s_or_b32 exec_lo, exec_lo, s9
	s_or_b32 s3, s3, s8
	s_mov_b32 s4, -1
	s_xor_b32 s3, s3, -1
	s_delay_alu instid0(SALU_CYCLE_1)
	s_and_saveexec_b32 s9, s3
	s_cbranch_execz .LBB1248_171
; %bb.170:
	s_waitcnt vmcnt(0) lgkmcnt(0)
	v_add_f64 v[0:1], v[2:3], 0
	v_add_f64 v[17:18], v[12:13], 0
	s_and_not1_b32 s8, s8, exec_lo
	s_delay_alu instid0(VALU_DEP_2) | instskip(NEXT) | instid1(VALU_DEP_2)
	v_ashrrev_i32_e32 v15, 31, v1
	v_ashrrev_i32_e32 v19, 31, v18
	s_delay_alu instid0(VALU_DEP_2) | instskip(NEXT) | instid1(VALU_DEP_2)
	v_or_b32_e32 v20, 0x80000000, v15
	v_or_b32_e32 v21, 0x80000000, v19
	v_xor_b32_e32 v0, v15, v0
	v_xor_b32_e32 v17, v19, v17
	s_delay_alu instid0(VALU_DEP_4) | instskip(NEXT) | instid1(VALU_DEP_4)
	v_xor_b32_e32 v1, v20, v1
	v_xor_b32_e32 v18, v21, v18
	s_delay_alu instid0(VALU_DEP_1) | instskip(NEXT) | instid1(VALU_DEP_1)
	v_cmp_le_u64_e64 s3, v[0:1], v[17:18]
	s_and_b32 s3, s3, exec_lo
	s_delay_alu instid0(SALU_CYCLE_1)
	s_or_b32 s8, s8, s3
.LBB1248_171:
	s_or_b32 exec_lo, exec_lo, s9
	v_cndmask_b32_e64 v0, v16, v14, s8
	v_cndmask_b32_e64 v15, v39, v38, s8
	v_mov_b32_e32 v1, 0
	s_mov_b32 s10, 0
	s_mov_b32 s9, exec_lo
	v_add_nc_u32_e32 v21, 1, v0
	v_add_nc_u32_e32 v15, -1, v15
	v_lshlrev_b64 v[17:18], 3, v[0:1]
	s_delay_alu instid0(VALU_DEP_3) | instskip(NEXT) | instid1(VALU_DEP_3)
	v_cndmask_b32_e64 v16, v21, v16, s8
	v_min_u32_e32 v0, v21, v15
	v_cndmask_b32_e64 v21, v14, v21, s8
	s_delay_alu instid0(VALU_DEP_2) | instskip(NEXT) | instid1(VALU_DEP_1)
	v_lshlrev_b64 v[19:20], 3, v[0:1]
	v_add_co_u32 v19, s3, v35, v19
	s_delay_alu instid0(VALU_DEP_1) | instskip(SKIP_1) | instid1(VALU_DEP_1)
	v_add_co_ci_u32_e64 v20, s3, v36, v20, s3
	v_add_co_u32 v17, s3, v33, v17
	v_add_co_ci_u32_e64 v18, s3, v34, v18, s3
	s_clause 0x1
	flat_load_b64 v[19:20], v[19:20]
	flat_load_b64 v[17:18], v[17:18]
	s_waitcnt vmcnt(1) lgkmcnt(1)
	v_cndmask_b32_e64 v15, v20, v13, s8
	v_cndmask_b32_e64 v14, v19, v12, s8
	;; [unrolled: 1-line block ×4, first 2 shown]
	v_cmpx_lt_u32_e64 v16, v39
	s_cbranch_execz .LBB1248_175
; %bb.172:
	s_mov_b32 s4, exec_lo
	v_cmpx_lt_u32_e64 v21, v38
	s_cbranch_execz .LBB1248_174
; %bb.173:
	v_add_f64 v[19:20], v[25:26], 0
	v_add_f64 v[22:23], v[14:15], 0
	s_delay_alu instid0(VALU_DEP_2) | instskip(NEXT) | instid1(VALU_DEP_2)
	v_ashrrev_i32_e32 v0, 31, v20
	v_ashrrev_i32_e32 v24, 31, v23
	s_delay_alu instid0(VALU_DEP_2) | instskip(NEXT) | instid1(VALU_DEP_2)
	v_or_b32_e32 v27, 0x80000000, v0
	v_or_b32_e32 v28, 0x80000000, v24
	v_xor_b32_e32 v19, v0, v19
	v_xor_b32_e32 v22, v24, v22
	s_delay_alu instid0(VALU_DEP_4) | instskip(NEXT) | instid1(VALU_DEP_4)
	v_xor_b32_e32 v20, v27, v20
	v_xor_b32_e32 v23, v28, v23
	s_delay_alu instid0(VALU_DEP_1) | instskip(NEXT) | instid1(VALU_DEP_1)
	v_cmp_le_u64_e64 s3, v[19:20], v[22:23]
	s_and_b32 s10, s3, exec_lo
.LBB1248_174:
	s_or_b32 exec_lo, exec_lo, s4
	s_delay_alu instid0(SALU_CYCLE_1)
	s_or_not1_b32 s4, s10, exec_lo
.LBB1248_175:
	s_or_b32 exec_lo, exec_lo, s9
	v_cndmask_b32_e64 v0, v16, v21, s4
	v_cndmask_b32_e64 v19, v39, v38, s4
	s_mov_b32 s12, 0
	s_mov_b32 s9, -1
	s_mov_b32 s10, -1
	v_add_nc_u32_e32 v24, 1, v0
	v_add_nc_u32_e32 v22, -1, v19
	v_lshlrev_b64 v[19:20], 3, v[0:1]
	s_mov_b32 s11, exec_lo
	s_delay_alu instid0(VALU_DEP_3) | instskip(NEXT) | instid1(VALU_DEP_3)
	v_cndmask_b32_e64 v16, v24, v16, s4
	v_min_u32_e32 v0, v24, v22
	v_cndmask_b32_e64 v29, v21, v24, s4
	s_delay_alu instid0(VALU_DEP_2) | instskip(NEXT) | instid1(VALU_DEP_1)
	v_lshlrev_b64 v[0:1], 3, v[0:1]
	v_add_co_u32 v0, s3, v35, v0
	s_delay_alu instid0(VALU_DEP_1) | instskip(SKIP_2) | instid1(VALU_DEP_1)
	v_add_co_ci_u32_e64 v1, s3, v36, v1, s3
	flat_load_b64 v[22:23], v[0:1]
	v_add_co_u32 v0, s3, v33, v19
	v_add_co_ci_u32_e64 v1, s3, v34, v20, s3
	flat_load_b64 v[19:20], v[0:1]
	s_waitcnt vmcnt(1) lgkmcnt(1)
	v_cndmask_b32_e64 v1, v23, v15, s4
	v_cndmask_b32_e64 v0, v22, v14, s4
	v_cndmask_b32_e64 v28, v26, v23, s4
	v_cndmask_b32_e64 v27, v25, v22, s4
	v_cmpx_lt_u32_e64 v16, v39
	s_cbranch_execz .LBB1248_179
; %bb.176:
	s_mov_b32 s10, exec_lo
	v_cmpx_lt_u32_e64 v29, v38
	s_cbranch_execz .LBB1248_178
; %bb.177:
	v_add_f64 v[21:22], v[27:28], 0
	v_add_f64 v[23:24], v[0:1], 0
	s_delay_alu instid0(VALU_DEP_2) | instskip(NEXT) | instid1(VALU_DEP_2)
	v_ashrrev_i32_e32 v30, 31, v22
	v_ashrrev_i32_e32 v31, 31, v24
	s_delay_alu instid0(VALU_DEP_2) | instskip(NEXT) | instid1(VALU_DEP_2)
	v_or_b32_e32 v32, 0x80000000, v30
	v_or_b32_e32 v48, 0x80000000, v31
	v_xor_b32_e32 v21, v30, v21
	v_xor_b32_e32 v23, v31, v23
	s_delay_alu instid0(VALU_DEP_4) | instskip(NEXT) | instid1(VALU_DEP_4)
	v_xor_b32_e32 v22, v32, v22
	v_xor_b32_e32 v24, v48, v24
	s_delay_alu instid0(VALU_DEP_1) | instskip(NEXT) | instid1(VALU_DEP_1)
	v_cmp_le_u64_e64 s3, v[21:22], v[23:24]
	s_and_b32 s12, s3, exec_lo
.LBB1248_178:
	s_or_b32 exec_lo, exec_lo, s10
	s_delay_alu instid0(SALU_CYCLE_1)
	s_or_not1_b32 s10, s12, exec_lo
.LBB1248_179:
	s_or_b32 exec_lo, exec_lo, s11
	v_cndmask_b32_e64 v23, v16, v29, s10
	v_cndmask_b32_e64 v21, v39, v38, s10
	v_mov_b32_e32 v24, 0
	s_mov_b32 s12, 0
	s_mov_b32 s11, exec_lo
	v_add_nc_u32_e32 v48, 1, v23
	v_add_nc_u32_e32 v30, -1, v21
	v_lshlrev_b64 v[21:22], 3, v[23:24]
	s_delay_alu instid0(VALU_DEP_3) | instskip(NEXT) | instid1(VALU_DEP_3)
	v_cndmask_b32_e64 v16, v48, v16, s10
	v_min_u32_e32 v23, v48, v30
	s_delay_alu instid0(VALU_DEP_1) | instskip(SKIP_1) | instid1(VALU_DEP_2)
	v_lshlrev_b64 v[30:31], 3, v[23:24]
	v_cndmask_b32_e64 v23, v29, v48, s10
	v_add_co_u32 v30, s3, v35, v30
	s_delay_alu instid0(VALU_DEP_1) | instskip(SKIP_1) | instid1(VALU_DEP_1)
	v_add_co_ci_u32_e64 v31, s3, v36, v31, s3
	v_add_co_u32 v21, s3, v33, v21
	v_add_co_ci_u32_e64 v22, s3, v34, v22, s3
	s_clause 0x1
	flat_load_b64 v[31:32], v[30:31]
	flat_load_b64 v[21:22], v[21:22]
	s_waitcnt vmcnt(1) lgkmcnt(1)
	v_cndmask_b32_e64 v30, v32, v1, s10
	v_cndmask_b32_e64 v29, v31, v0, s10
	v_cndmask_b32_e64 v32, v28, v32, s10
	v_cndmask_b32_e64 v31, v27, v31, s10
	v_cmpx_lt_u32_e64 v16, v39
	s_cbranch_execz .LBB1248_183
; %bb.180:
	s_mov_b32 s9, exec_lo
	v_cmpx_lt_u32_e64 v23, v38
	s_cbranch_execz .LBB1248_182
; %bb.181:
	v_add_f64 v[38:39], v[31:32], 0
	v_add_f64 v[48:49], v[29:30], 0
	s_delay_alu instid0(VALU_DEP_2) | instskip(NEXT) | instid1(VALU_DEP_2)
	v_ashrrev_i32_e32 v50, 31, v39
	v_ashrrev_i32_e32 v51, 31, v49
	s_delay_alu instid0(VALU_DEP_2) | instskip(NEXT) | instid1(VALU_DEP_2)
	v_or_b32_e32 v52, 0x80000000, v50
	v_or_b32_e32 v53, 0x80000000, v51
	v_xor_b32_e32 v38, v50, v38
	v_xor_b32_e32 v48, v51, v48
	s_delay_alu instid0(VALU_DEP_4) | instskip(NEXT) | instid1(VALU_DEP_4)
	v_xor_b32_e32 v39, v52, v39
	v_xor_b32_e32 v49, v53, v49
	s_delay_alu instid0(VALU_DEP_1) | instskip(NEXT) | instid1(VALU_DEP_1)
	v_cmp_le_u64_e64 s3, v[38:39], v[48:49]
	s_and_b32 s12, s3, exec_lo
.LBB1248_182:
	s_or_b32 exec_lo, exec_lo, s9
	s_delay_alu instid0(SALU_CYCLE_1)
	s_or_not1_b32 s9, s12, exec_lo
.LBB1248_183:
	s_or_b32 exec_lo, exec_lo, s11
	v_cndmask_b32_e64 v23, v16, v23, s9
	v_cndmask_b32_e64 v1, v1, v28, s10
	;; [unrolled: 1-line block ×5, first 2 shown]
	v_lshlrev_b64 v[23:24], 3, v[23:24]
	v_cndmask_b32_e64 v65, v13, v3, s8
	v_cndmask_b32_e64 v64, v12, v2, s8
	;; [unrolled: 1-line block ×4, first 2 shown]
	v_add_co_u32 v23, s3, v33, v23
	s_delay_alu instid0(VALU_DEP_1)
	v_add_co_ci_u32_e64 v24, s3, v34, v24, s3
	flat_load_b64 v[23:24], v[23:24]
.LBB1248_184:
	s_or_b32 exec_lo, exec_lo, s5
	v_and_b32_e32 v12, 0x60, v81
	s_mov_b32 s4, exec_lo
	; wave barrier
	s_clause 0x2
	flat_store_b128 v[6:7], v[64:67]
	flat_store_b128 v[6:7], v[0:3] offset:16
	flat_store_b128 v[8:9], v[17:20]
	s_waitcnt vmcnt(0) lgkmcnt(3)
	flat_store_b128 v[8:9], v[21:24] offset:16
	v_or_b32_e32 v13, 16, v12
	; wave barrier
	s_delay_alu instid0(VALU_DEP_1) | instskip(NEXT) | instid1(VALU_DEP_1)
	v_min_u32_e32 v16, v37, v13
	v_add_nc_u32_e32 v13, 16, v16
	v_sub_nc_u32_e32 v15, v16, v12
	s_delay_alu instid0(VALU_DEP_2) | instskip(SKIP_1) | instid1(VALU_DEP_2)
	v_min_u32_e32 v29, v37, v13
	v_min_u32_e32 v13, v37, v82
	v_sub_nc_u32_e32 v14, v29, v16
	s_delay_alu instid0(VALU_DEP_2) | instskip(NEXT) | instid1(VALU_DEP_2)
	v_min_u32_e32 v15, v13, v15
	v_sub_nc_u32_e64 v14, v13, v14 clamp
	s_delay_alu instid0(VALU_DEP_1)
	v_cmpx_lt_u32_e64 v14, v15
	s_cbranch_execz .LBB1248_188
; %bb.185:
	v_lshlrev_b32_e32 v6, 3, v12
	v_lshlrev_b32_e32 v7, 3, v16
	s_mov_b32 s5, 0
	s_delay_alu instid0(VALU_DEP_2) | instskip(NEXT) | instid1(VALU_DEP_1)
	v_add_co_u32 v8, s3, v35, v6
	v_add_co_ci_u32_e64 v9, s3, 0, v36, s3
	s_delay_alu instid0(VALU_DEP_3)
	v_add_co_u32 v25, s3, v35, v7
	v_mov_b32_e32 v7, 0
	v_add_co_ci_u32_e64 v26, s3, 0, v36, s3
	s_set_inst_prefetch_distance 0x1
	.p2align	6
.LBB1248_186:                           ; =>This Inner Loop Header: Depth=1
	v_add_nc_u32_e32 v6, v15, v14
	s_delay_alu instid0(VALU_DEP_1) | instskip(SKIP_1) | instid1(VALU_DEP_2)
	v_lshrrev_b32_e32 v6, 1, v6
	v_mov_b32_e32 v28, v7
	v_xad_u32 v27, v6, -1, v13
	v_lshlrev_b64 v[30:31], 3, v[6:7]
	s_delay_alu instid0(VALU_DEP_2) | instskip(NEXT) | instid1(VALU_DEP_2)
	v_lshlrev_b64 v[27:28], 3, v[27:28]
	v_add_co_u32 v30, s3, v8, v30
	s_delay_alu instid0(VALU_DEP_1) | instskip(NEXT) | instid1(VALU_DEP_3)
	v_add_co_ci_u32_e64 v31, s3, v9, v31, s3
	v_add_co_u32 v27, s3, v25, v27
	s_delay_alu instid0(VALU_DEP_1)
	v_add_co_ci_u32_e64 v28, s3, v26, v28, s3
	s_clause 0x1
	flat_load_b64 v[30:31], v[30:31]
	flat_load_b64 v[27:28], v[27:28]
	s_waitcnt vmcnt(1) lgkmcnt(1)
	v_add_f64 v[30:31], v[30:31], 0
	s_waitcnt vmcnt(0) lgkmcnt(0)
	v_add_f64 v[27:28], v[27:28], 0
	s_delay_alu instid0(VALU_DEP_2) | instskip(NEXT) | instid1(VALU_DEP_2)
	v_ashrrev_i32_e32 v32, 31, v31
	v_ashrrev_i32_e32 v37, 31, v28
	s_delay_alu instid0(VALU_DEP_2) | instskip(NEXT) | instid1(VALU_DEP_2)
	v_or_b32_e32 v38, 0x80000000, v32
	v_or_b32_e32 v39, 0x80000000, v37
	v_xor_b32_e32 v30, v32, v30
	v_xor_b32_e32 v27, v37, v27
	s_delay_alu instid0(VALU_DEP_4) | instskip(NEXT) | instid1(VALU_DEP_4)
	v_xor_b32_e32 v31, v38, v31
	v_xor_b32_e32 v28, v39, v28
	s_delay_alu instid0(VALU_DEP_1) | instskip(SKIP_1) | instid1(VALU_DEP_2)
	v_cmp_gt_u64_e64 s3, v[30:31], v[27:28]
	v_add_nc_u32_e32 v27, 1, v6
	v_cndmask_b32_e64 v15, v15, v6, s3
	s_delay_alu instid0(VALU_DEP_2) | instskip(NEXT) | instid1(VALU_DEP_1)
	v_cndmask_b32_e64 v14, v27, v14, s3
	v_cmp_ge_u32_e64 s3, v14, v15
	s_delay_alu instid0(VALU_DEP_1) | instskip(NEXT) | instid1(SALU_CYCLE_1)
	s_or_b32 s5, s3, s5
	s_and_not1_b32 exec_lo, exec_lo, s5
	s_cbranch_execnz .LBB1248_186
; %bb.187:
	s_set_inst_prefetch_distance 0x2
	s_or_b32 exec_lo, exec_lo, s5
.LBB1248_188:
	s_delay_alu instid0(SALU_CYCLE_1) | instskip(SKIP_2) | instid1(VALU_DEP_2)
	s_or_b32 exec_lo, exec_lo, s4
	v_add_nc_u32_e32 v6, v16, v13
	v_add_nc_u32_e32 v8, v14, v12
	v_sub_nc_u32_e32 v12, v6, v14
	s_delay_alu instid0(VALU_DEP_2) | instskip(NEXT) | instid1(VALU_DEP_2)
	v_cmp_le_u32_e64 s3, v8, v16
	v_cmp_le_u32_e64 s4, v12, v29
	s_delay_alu instid0(VALU_DEP_1) | instskip(NEXT) | instid1(SALU_CYCLE_1)
	s_or_b32 s3, s3, s4
	s_and_saveexec_b32 s5, s3
	s_cbranch_execz .LBB1248_208
; %bb.189:
	v_cmp_ge_u32_e64 s3, v8, v16
	s_mov_b32 s8, exec_lo
                                        ; implicit-def: $vgpr2_vgpr3
	v_cmpx_lt_u32_e64 v8, v16
	s_cbranch_execz .LBB1248_191
; %bb.190:
	v_mov_b32_e32 v9, 0
	s_delay_alu instid0(VALU_DEP_1) | instskip(NEXT) | instid1(VALU_DEP_1)
	v_lshlrev_b64 v[0:1], 3, v[8:9]
	v_add_co_u32 v0, s4, v35, v0
	s_delay_alu instid0(VALU_DEP_1)
	v_add_co_ci_u32_e64 v1, s4, v36, v1, s4
	flat_load_b64 v[2:3], v[0:1]
.LBB1248_191:
	s_or_b32 exec_lo, exec_lo, s8
	v_cmp_ge_u32_e64 s8, v12, v29
	s_mov_b32 s9, exec_lo
                                        ; implicit-def: $vgpr6_vgpr7
	v_cmpx_lt_u32_e64 v12, v29
	s_cbranch_execz .LBB1248_193
; %bb.192:
	v_mov_b32_e32 v13, 0
	s_delay_alu instid0(VALU_DEP_1) | instskip(NEXT) | instid1(VALU_DEP_1)
	v_lshlrev_b64 v[0:1], 3, v[12:13]
	v_add_co_u32 v0, s4, v35, v0
	s_delay_alu instid0(VALU_DEP_1)
	v_add_co_ci_u32_e64 v1, s4, v36, v1, s4
	flat_load_b64 v[6:7], v[0:1]
.LBB1248_193:
	s_or_b32 exec_lo, exec_lo, s9
	s_or_b32 s3, s3, s8
	s_mov_b32 s4, -1
	s_xor_b32 s3, s3, -1
	s_delay_alu instid0(SALU_CYCLE_1)
	s_and_saveexec_b32 s9, s3
	s_cbranch_execz .LBB1248_195
; %bb.194:
	s_waitcnt vmcnt(0) lgkmcnt(0)
	v_add_f64 v[0:1], v[2:3], 0
	v_add_f64 v[13:14], v[6:7], 0
	s_and_not1_b32 s8, s8, exec_lo
	s_delay_alu instid0(VALU_DEP_2) | instskip(NEXT) | instid1(VALU_DEP_2)
	v_ashrrev_i32_e32 v9, 31, v1
	v_ashrrev_i32_e32 v15, 31, v14
	s_delay_alu instid0(VALU_DEP_2) | instskip(NEXT) | instid1(VALU_DEP_2)
	v_or_b32_e32 v17, 0x80000000, v9
	v_or_b32_e32 v18, 0x80000000, v15
	v_xor_b32_e32 v0, v9, v0
	v_xor_b32_e32 v13, v15, v13
	s_delay_alu instid0(VALU_DEP_4) | instskip(NEXT) | instid1(VALU_DEP_4)
	v_xor_b32_e32 v1, v17, v1
	v_xor_b32_e32 v14, v18, v14
	s_delay_alu instid0(VALU_DEP_1) | instskip(NEXT) | instid1(VALU_DEP_1)
	v_cmp_le_u64_e64 s3, v[0:1], v[13:14]
	s_and_b32 s3, s3, exec_lo
	s_delay_alu instid0(SALU_CYCLE_1)
	s_or_b32 s8, s8, s3
.LBB1248_195:
	s_or_b32 exec_lo, exec_lo, s9
	v_cndmask_b32_e64 v0, v12, v8, s8
	v_cndmask_b32_e64 v9, v29, v16, s8
	v_mov_b32_e32 v1, 0
	s_mov_b32 s10, 0
	s_mov_b32 s9, exec_lo
	v_add_nc_u32_e32 v15, 1, v0
	v_add_nc_u32_e32 v9, -1, v9
	v_lshlrev_b64 v[13:14], 3, v[0:1]
	s_delay_alu instid0(VALU_DEP_2) | instskip(NEXT) | instid1(VALU_DEP_1)
	v_min_u32_e32 v0, v15, v9
	v_lshlrev_b64 v[17:18], 3, v[0:1]
	s_delay_alu instid0(VALU_DEP_1) | instskip(NEXT) | instid1(VALU_DEP_1)
	v_add_co_u32 v17, s3, v35, v17
	v_add_co_ci_u32_e64 v18, s3, v36, v18, s3
	v_add_co_u32 v13, s3, v33, v13
	s_delay_alu instid0(VALU_DEP_1)
	v_add_co_ci_u32_e64 v14, s3, v34, v14, s3
	s_clause 0x1
	flat_load_b64 v[19:20], v[17:18]
	flat_load_b64 v[17:18], v[13:14]
	v_cndmask_b32_e64 v14, v15, v12, s8
	v_cndmask_b32_e64 v15, v8, v15, s8
	s_waitcnt vmcnt(1) lgkmcnt(1)
	v_cndmask_b32_e64 v9, v20, v7, s8
	v_cndmask_b32_e64 v8, v19, v6, s8
	;; [unrolled: 1-line block ×4, first 2 shown]
	v_cmpx_lt_u32_e64 v14, v29
	s_cbranch_execz .LBB1248_199
; %bb.196:
	s_mov_b32 s4, exec_lo
	v_cmpx_lt_u32_e64 v15, v16
	s_cbranch_execz .LBB1248_198
; %bb.197:
	v_add_f64 v[19:20], v[12:13], 0
	v_add_f64 v[21:22], v[8:9], 0
	s_delay_alu instid0(VALU_DEP_2) | instskip(NEXT) | instid1(VALU_DEP_2)
	v_ashrrev_i32_e32 v0, 31, v20
	v_ashrrev_i32_e32 v23, 31, v22
	s_delay_alu instid0(VALU_DEP_2) | instskip(NEXT) | instid1(VALU_DEP_2)
	v_or_b32_e32 v24, 0x80000000, v0
	v_or_b32_e32 v25, 0x80000000, v23
	v_xor_b32_e32 v19, v0, v19
	v_xor_b32_e32 v21, v23, v21
	s_delay_alu instid0(VALU_DEP_4) | instskip(NEXT) | instid1(VALU_DEP_4)
	v_xor_b32_e32 v20, v24, v20
	v_xor_b32_e32 v22, v25, v22
	s_delay_alu instid0(VALU_DEP_1) | instskip(NEXT) | instid1(VALU_DEP_1)
	v_cmp_le_u64_e64 s3, v[19:20], v[21:22]
	s_and_b32 s10, s3, exec_lo
.LBB1248_198:
	s_or_b32 exec_lo, exec_lo, s4
	s_delay_alu instid0(SALU_CYCLE_1)
	s_or_not1_b32 s4, s10, exec_lo
.LBB1248_199:
	s_or_b32 exec_lo, exec_lo, s9
	v_cndmask_b32_e64 v0, v14, v15, s4
	v_cndmask_b32_e64 v19, v29, v16, s4
	s_mov_b32 s12, 0
	s_mov_b32 s9, -1
	s_mov_b32 s10, -1
	v_add_nc_u32_e32 v23, 1, v0
	v_add_nc_u32_e32 v21, -1, v19
	v_lshlrev_b64 v[19:20], 3, v[0:1]
	s_mov_b32 s11, exec_lo
	s_delay_alu instid0(VALU_DEP_3) | instskip(NEXT) | instid1(VALU_DEP_3)
	v_cndmask_b32_e64 v25, v23, v14, s4
	v_min_u32_e32 v0, v23, v21
	v_cndmask_b32_e64 v26, v15, v23, s4
	s_delay_alu instid0(VALU_DEP_2) | instskip(NEXT) | instid1(VALU_DEP_1)
	v_lshlrev_b64 v[0:1], 3, v[0:1]
	v_add_co_u32 v0, s3, v35, v0
	s_delay_alu instid0(VALU_DEP_1) | instskip(SKIP_2) | instid1(VALU_DEP_1)
	v_add_co_ci_u32_e64 v1, s3, v36, v1, s3
	flat_load_b64 v[21:22], v[0:1]
	v_add_co_u32 v0, s3, v33, v19
	v_add_co_ci_u32_e64 v1, s3, v34, v20, s3
	flat_load_b64 v[19:20], v[0:1]
	s_waitcnt vmcnt(1) lgkmcnt(1)
	v_cndmask_b32_e64 v1, v22, v9, s4
	v_cndmask_b32_e64 v0, v21, v8, s4
	;; [unrolled: 1-line block ×4, first 2 shown]
	v_cmpx_lt_u32_e64 v25, v29
	s_cbranch_execz .LBB1248_203
; %bb.200:
	s_mov_b32 s10, exec_lo
	v_cmpx_lt_u32_e64 v26, v16
	s_cbranch_execz .LBB1248_202
; %bb.201:
	v_add_f64 v[21:22], v[14:15], 0
	v_add_f64 v[23:24], v[0:1], 0
	s_delay_alu instid0(VALU_DEP_2) | instskip(NEXT) | instid1(VALU_DEP_2)
	v_ashrrev_i32_e32 v27, 31, v22
	v_ashrrev_i32_e32 v28, 31, v24
	s_delay_alu instid0(VALU_DEP_2) | instskip(NEXT) | instid1(VALU_DEP_2)
	v_or_b32_e32 v30, 0x80000000, v27
	v_or_b32_e32 v31, 0x80000000, v28
	v_xor_b32_e32 v21, v27, v21
	v_xor_b32_e32 v23, v28, v23
	s_delay_alu instid0(VALU_DEP_4) | instskip(NEXT) | instid1(VALU_DEP_4)
	v_xor_b32_e32 v22, v30, v22
	v_xor_b32_e32 v24, v31, v24
	s_delay_alu instid0(VALU_DEP_1) | instskip(NEXT) | instid1(VALU_DEP_1)
	v_cmp_le_u64_e64 s3, v[21:22], v[23:24]
	s_and_b32 s12, s3, exec_lo
.LBB1248_202:
	s_or_b32 exec_lo, exec_lo, s10
	s_delay_alu instid0(SALU_CYCLE_1)
	s_or_not1_b32 s10, s12, exec_lo
.LBB1248_203:
	s_or_b32 exec_lo, exec_lo, s11
	v_cndmask_b32_e64 v23, v25, v26, s10
	v_cndmask_b32_e64 v21, v29, v16, s10
	v_mov_b32_e32 v24, 0
	s_mov_b32 s12, 0
	s_mov_b32 s11, exec_lo
	v_add_nc_u32_e32 v30, 1, v23
	v_add_nc_u32_e32 v27, -1, v21
	v_lshlrev_b64 v[21:22], 3, v[23:24]
	s_delay_alu instid0(VALU_DEP_2) | instskip(NEXT) | instid1(VALU_DEP_1)
	v_min_u32_e32 v23, v30, v27
	v_lshlrev_b64 v[27:28], 3, v[23:24]
	v_cndmask_b32_e64 v23, v30, v25, s10
	v_cndmask_b32_e64 v30, v26, v30, s10
	s_delay_alu instid0(VALU_DEP_3) | instskip(NEXT) | instid1(VALU_DEP_1)
	v_add_co_u32 v27, s3, v35, v27
	v_add_co_ci_u32_e64 v28, s3, v36, v28, s3
	v_add_co_u32 v21, s3, v33, v21
	s_delay_alu instid0(VALU_DEP_1)
	v_add_co_ci_u32_e64 v22, s3, v34, v22, s3
	s_clause 0x1
	flat_load_b64 v[27:28], v[27:28]
	flat_load_b64 v[21:22], v[21:22]
	s_waitcnt vmcnt(1) lgkmcnt(1)
	v_cndmask_b32_e64 v26, v28, v1, s10
	v_cndmask_b32_e64 v25, v27, v0, s10
	;; [unrolled: 1-line block ×4, first 2 shown]
	v_cmpx_lt_u32_e64 v23, v29
	s_cbranch_execz .LBB1248_207
; %bb.204:
	s_mov_b32 s9, exec_lo
	v_cmpx_lt_u32_e64 v30, v16
	s_cbranch_execz .LBB1248_206
; %bb.205:
	v_add_f64 v[31:32], v[27:28], 0
	v_add_f64 v[35:36], v[25:26], 0
	s_delay_alu instid0(VALU_DEP_2) | instskip(NEXT) | instid1(VALU_DEP_2)
	v_ashrrev_i32_e32 v16, 31, v32
	v_ashrrev_i32_e32 v29, 31, v36
	s_delay_alu instid0(VALU_DEP_2) | instskip(NEXT) | instid1(VALU_DEP_2)
	v_or_b32_e32 v37, 0x80000000, v16
	v_or_b32_e32 v38, 0x80000000, v29
	v_xor_b32_e32 v31, v16, v31
	v_xor_b32_e32 v35, v29, v35
	s_delay_alu instid0(VALU_DEP_4) | instskip(NEXT) | instid1(VALU_DEP_4)
	v_xor_b32_e32 v32, v37, v32
	v_xor_b32_e32 v36, v38, v36
	s_delay_alu instid0(VALU_DEP_1) | instskip(NEXT) | instid1(VALU_DEP_1)
	v_cmp_le_u64_e64 s3, v[31:32], v[35:36]
	s_and_b32 s12, s3, exec_lo
.LBB1248_206:
	s_or_b32 exec_lo, exec_lo, s9
	s_delay_alu instid0(SALU_CYCLE_1)
	s_or_not1_b32 s9, s12, exec_lo
.LBB1248_207:
	s_or_b32 exec_lo, exec_lo, s11
	v_cndmask_b32_e64 v23, v23, v30, s9
	v_cndmask_b32_e64 v1, v1, v15, s10
	;; [unrolled: 1-line block ×5, first 2 shown]
	v_lshlrev_b64 v[23:24], 3, v[23:24]
	v_cndmask_b32_e64 v65, v7, v3, s8
	v_cndmask_b32_e64 v64, v6, v2, s8
	;; [unrolled: 1-line block ×4, first 2 shown]
	v_add_co_u32 v23, s3, v33, v23
	s_delay_alu instid0(VALU_DEP_1)
	v_add_co_ci_u32_e64 v24, s3, v34, v24, s3
	flat_load_b64 v[23:24], v[23:24]
.LBB1248_208:
	s_or_b32 exec_lo, exec_lo, s5
	v_add_co_u32 v4, s3, v4, v68
	s_delay_alu instid0(VALU_DEP_1) | instskip(NEXT) | instid1(VALU_DEP_2)
	v_add_co_ci_u32_e64 v5, s3, v5, v69, s3
	v_add_co_u32 v4, s3, v4, v80
	s_delay_alu instid0(VALU_DEP_1)
	v_add_co_ci_u32_e64 v5, s3, 0, v5, s3
	; wave barrier
	s_waitcnt vmcnt(0) lgkmcnt(0)
	s_waitcnt_vscnt null, 0x0
	s_barrier
	buffer_gl0_inv
	; wave barrier
	s_and_saveexec_b32 s3, vcc_lo
	s_cbranch_execnz .LBB1248_230
; %bb.209:
	s_or_b32 exec_lo, exec_lo, s3
	s_and_saveexec_b32 s3, s0
	s_cbranch_execnz .LBB1248_231
.LBB1248_210:
	s_or_b32 exec_lo, exec_lo, s3
	s_and_saveexec_b32 s3, s1
	s_cbranch_execnz .LBB1248_232
.LBB1248_211:
	s_or_b32 exec_lo, exec_lo, s3
	s_and_saveexec_b32 s3, s2
	s_cbranch_execz .LBB1248_213
.LBB1248_212:
	flat_store_b64 v[4:5], v[2:3] offset:24
.LBB1248_213:
	s_or_b32 exec_lo, exec_lo, s3
	v_add_co_u32 v0, s3, v10, v68
	s_delay_alu instid0(VALU_DEP_1) | instskip(NEXT) | instid1(VALU_DEP_2)
	v_add_co_ci_u32_e64 v1, s3, v11, v69, s3
	v_add_co_u32 v0, s3, v0, v80
	s_delay_alu instid0(VALU_DEP_1)
	v_add_co_ci_u32_e64 v1, s3, 0, v1, s3
	; wave barrier
	s_and_saveexec_b32 s3, vcc_lo
	s_cbranch_execnz .LBB1248_233
; %bb.214:
	s_or_b32 exec_lo, exec_lo, s3
	s_and_saveexec_b32 s3, s0
	s_cbranch_execnz .LBB1248_234
.LBB1248_215:
	s_or_b32 exec_lo, exec_lo, s3
	s_and_saveexec_b32 s0, s1
	s_cbranch_execz .LBB1248_217
.LBB1248_216:
	flat_store_b64 v[0:1], v[21:22] offset:16
.LBB1248_217:
	s_or_b32 exec_lo, exec_lo, s0
	v_dual_mov_b32 v8, v10 :: v_dual_mov_b32 v9, v11
	s_and_not1_b32 s0, s6, exec_lo
	s_and_b32 s1, s2, exec_lo
	s_delay_alu instid0(SALU_CYCLE_1)
	s_or_b32 s6, s0, s1
	s_or_b32 exec_lo, exec_lo, s7
	s_and_saveexec_b32 s0, s6
	s_cbranch_execz .LBB1248_3
.LBB1248_218:
	v_add_co_u32 v0, vcc_lo, v8, v68
	v_add_co_ci_u32_e32 v1, vcc_lo, v9, v69, vcc_lo
	s_delay_alu instid0(VALU_DEP_2) | instskip(NEXT) | instid1(VALU_DEP_2)
	v_add_co_u32 v0, vcc_lo, v0, v80
	v_add_co_ci_u32_e32 v1, vcc_lo, 0, v1, vcc_lo
	flat_store_b64 v[0:1], v[23:24] offset:24
	s_or_b32 exec_lo, exec_lo, s0
	s_waitcnt lgkmcnt(0)
	s_setpc_b64 s[30:31]
.LBB1248_219:
	flat_load_b64 v[17:18], v[0:1]
	s_or_b32 exec_lo, exec_lo, s3
	s_and_saveexec_b32 s3, s0
	s_cbranch_execz .LBB1248_14
.LBB1248_220:
	flat_load_b64 v[19:20], v[0:1] offset:8
	s_or_b32 exec_lo, exec_lo, s3
	s_and_saveexec_b32 s3, s1
	s_cbranch_execz .LBB1248_15
.LBB1248_221:
	flat_load_b64 v[21:22], v[0:1] offset:16
	s_or_b32 exec_lo, exec_lo, s3
	s_and_saveexec_b32 s3, s2
	s_cbranch_execnz .LBB1248_16
	s_branch .LBB1248_17
.LBB1248_222:
	flat_store_b64 v[0:1], v[64:65]
	s_or_b32 exec_lo, exec_lo, s3
	s_and_saveexec_b32 s3, s0
	s_cbranch_execz .LBB1248_103
.LBB1248_223:
	flat_store_b64 v[0:1], v[66:67] offset:8
	s_or_b32 exec_lo, exec_lo, s3
	s_and_saveexec_b32 s3, s1
	s_cbranch_execz .LBB1248_104
.LBB1248_224:
	flat_store_b64 v[0:1], v[10:11] offset:16
	s_or_b32 exec_lo, exec_lo, s3
	s_and_saveexec_b32 s3, s2
	s_cbranch_execnz .LBB1248_105
	s_branch .LBB1248_106
.LBB1248_225:
	flat_store_b64 v[0:1], v[17:18]
	s_or_b32 exec_lo, exec_lo, s3
	s_and_saveexec_b32 s3, s0
	s_cbranch_execz .LBB1248_108
.LBB1248_226:
	flat_store_b64 v[0:1], v[19:20] offset:8
	s_or_b32 exec_lo, exec_lo, s3
	s_and_saveexec_b32 s0, s1
	s_cbranch_execnz .LBB1248_109
	s_branch .LBB1248_110
.LBB1248_227:
	flat_load_b64 v[17:18], v[6:7]
	s_or_b32 exec_lo, exec_lo, s3
	s_and_saveexec_b32 s3, s0
	s_cbranch_execz .LBB1248_121
.LBB1248_228:
	flat_load_b64 v[19:20], v[6:7] offset:8
	s_or_b32 exec_lo, exec_lo, s3
	s_and_saveexec_b32 s3, s1
	s_cbranch_execz .LBB1248_122
.LBB1248_229:
	flat_load_b64 v[21:22], v[6:7] offset:16
	s_or_b32 exec_lo, exec_lo, s3
	s_and_saveexec_b32 s3, s2
	s_cbranch_execnz .LBB1248_123
	s_branch .LBB1248_124
.LBB1248_230:
	flat_store_b64 v[4:5], v[64:65]
	s_or_b32 exec_lo, exec_lo, s3
	s_and_saveexec_b32 s3, s0
	s_cbranch_execz .LBB1248_210
.LBB1248_231:
	flat_store_b64 v[4:5], v[66:67] offset:8
	s_or_b32 exec_lo, exec_lo, s3
	s_and_saveexec_b32 s3, s1
	s_cbranch_execz .LBB1248_211
.LBB1248_232:
	flat_store_b64 v[4:5], v[0:1] offset:16
	s_or_b32 exec_lo, exec_lo, s3
	s_and_saveexec_b32 s3, s2
	s_cbranch_execnz .LBB1248_212
	s_branch .LBB1248_213
.LBB1248_233:
	flat_store_b64 v[0:1], v[17:18]
	s_or_b32 exec_lo, exec_lo, s3
	s_and_saveexec_b32 s3, s0
	s_cbranch_execz .LBB1248_215
.LBB1248_234:
	flat_store_b64 v[0:1], v[19:20] offset:8
	s_or_b32 exec_lo, exec_lo, s3
	s_and_saveexec_b32 s0, s1
	s_cbranch_execnz .LBB1248_216
	s_branch .LBB1248_217
.Lfunc_end1248:
	.size	_ZN7rocprim17ROCPRIM_400000_NS6detail26segmented_warp_sort_helperINS1_20WarpSortHelperConfigILj8ELj4ELj256EEEdlLi256ELb0EvE4sortIPKdPdPKlPlEEvT_S9_T0_T1_SC_T2_bjjjjRNS5_12storage_typeE, .Lfunc_end1248-_ZN7rocprim17ROCPRIM_400000_NS6detail26segmented_warp_sort_helperINS1_20WarpSortHelperConfigILj8ELj4ELj256EEEdlLi256ELb0EvE4sortIPKdPdPKlPlEEvT_S9_T0_T1_SC_T2_bjjjjRNS5_12storage_typeE
                                        ; -- End function
	.section	.AMDGPU.csdata,"",@progbits
; Function info:
; codeLenInByte = 14452
; NumSgprs: 34
; NumVgprs: 85
; ScratchSize: 0
; MemoryBound: 1
	.section	.text._ZN7rocprim17ROCPRIM_400000_NS6detail17trampoline_kernelINS0_14default_configENS1_36segmented_radix_sort_config_selectorIdlEEZNS1_25segmented_radix_sort_implIS3_Lb0EPKdPdPKlPlN2at6native12_GLOBAL__N_18offset_tEEE10hipError_tPvRmT1_PNSt15iterator_traitsISK_E10value_typeET2_T3_PNSL_ISQ_E10value_typeET4_jRbjT5_SW_jjP12ihipStream_tbEUlT_E1_NS1_11comp_targetILNS1_3genE9ELNS1_11target_archE1100ELNS1_3gpuE3ELNS1_3repE0EEENS1_59segmented_radix_sort_warp_sort_small_config_static_selectorELNS0_4arch9wavefront6targetE0EEEvSK_,"axG",@progbits,_ZN7rocprim17ROCPRIM_400000_NS6detail17trampoline_kernelINS0_14default_configENS1_36segmented_radix_sort_config_selectorIdlEEZNS1_25segmented_radix_sort_implIS3_Lb0EPKdPdPKlPlN2at6native12_GLOBAL__N_18offset_tEEE10hipError_tPvRmT1_PNSt15iterator_traitsISK_E10value_typeET2_T3_PNSL_ISQ_E10value_typeET4_jRbjT5_SW_jjP12ihipStream_tbEUlT_E1_NS1_11comp_targetILNS1_3genE9ELNS1_11target_archE1100ELNS1_3gpuE3ELNS1_3repE0EEENS1_59segmented_radix_sort_warp_sort_small_config_static_selectorELNS0_4arch9wavefront6targetE0EEEvSK_,comdat
	.globl	_ZN7rocprim17ROCPRIM_400000_NS6detail17trampoline_kernelINS0_14default_configENS1_36segmented_radix_sort_config_selectorIdlEEZNS1_25segmented_radix_sort_implIS3_Lb0EPKdPdPKlPlN2at6native12_GLOBAL__N_18offset_tEEE10hipError_tPvRmT1_PNSt15iterator_traitsISK_E10value_typeET2_T3_PNSL_ISQ_E10value_typeET4_jRbjT5_SW_jjP12ihipStream_tbEUlT_E1_NS1_11comp_targetILNS1_3genE9ELNS1_11target_archE1100ELNS1_3gpuE3ELNS1_3repE0EEENS1_59segmented_radix_sort_warp_sort_small_config_static_selectorELNS0_4arch9wavefront6targetE0EEEvSK_ ; -- Begin function _ZN7rocprim17ROCPRIM_400000_NS6detail17trampoline_kernelINS0_14default_configENS1_36segmented_radix_sort_config_selectorIdlEEZNS1_25segmented_radix_sort_implIS3_Lb0EPKdPdPKlPlN2at6native12_GLOBAL__N_18offset_tEEE10hipError_tPvRmT1_PNSt15iterator_traitsISK_E10value_typeET2_T3_PNSL_ISQ_E10value_typeET4_jRbjT5_SW_jjP12ihipStream_tbEUlT_E1_NS1_11comp_targetILNS1_3genE9ELNS1_11target_archE1100ELNS1_3gpuE3ELNS1_3repE0EEENS1_59segmented_radix_sort_warp_sort_small_config_static_selectorELNS0_4arch9wavefront6targetE0EEEvSK_
	.p2align	8
	.type	_ZN7rocprim17ROCPRIM_400000_NS6detail17trampoline_kernelINS0_14default_configENS1_36segmented_radix_sort_config_selectorIdlEEZNS1_25segmented_radix_sort_implIS3_Lb0EPKdPdPKlPlN2at6native12_GLOBAL__N_18offset_tEEE10hipError_tPvRmT1_PNSt15iterator_traitsISK_E10value_typeET2_T3_PNSL_ISQ_E10value_typeET4_jRbjT5_SW_jjP12ihipStream_tbEUlT_E1_NS1_11comp_targetILNS1_3genE9ELNS1_11target_archE1100ELNS1_3gpuE3ELNS1_3repE0EEENS1_59segmented_radix_sort_warp_sort_small_config_static_selectorELNS0_4arch9wavefront6targetE0EEEvSK_,@function
_ZN7rocprim17ROCPRIM_400000_NS6detail17trampoline_kernelINS0_14default_configENS1_36segmented_radix_sort_config_selectorIdlEEZNS1_25segmented_radix_sort_implIS3_Lb0EPKdPdPKlPlN2at6native12_GLOBAL__N_18offset_tEEE10hipError_tPvRmT1_PNSt15iterator_traitsISK_E10value_typeET2_T3_PNSL_ISQ_E10value_typeET4_jRbjT5_SW_jjP12ihipStream_tbEUlT_E1_NS1_11comp_targetILNS1_3genE9ELNS1_11target_archE1100ELNS1_3gpuE3ELNS1_3repE0EEENS1_59segmented_radix_sort_warp_sort_small_config_static_selectorELNS0_4arch9wavefront6targetE0EEEvSK_: ; @_ZN7rocprim17ROCPRIM_400000_NS6detail17trampoline_kernelINS0_14default_configENS1_36segmented_radix_sort_config_selectorIdlEEZNS1_25segmented_radix_sort_implIS3_Lb0EPKdPdPKlPlN2at6native12_GLOBAL__N_18offset_tEEE10hipError_tPvRmT1_PNSt15iterator_traitsISK_E10value_typeET2_T3_PNSL_ISQ_E10value_typeET4_jRbjT5_SW_jjP12ihipStream_tbEUlT_E1_NS1_11comp_targetILNS1_3genE9ELNS1_11target_archE1100ELNS1_3gpuE3ELNS1_3repE0EEENS1_59segmented_radix_sort_warp_sort_small_config_static_selectorELNS0_4arch9wavefront6targetE0EEEvSK_
; %bb.0:
	s_load_b32 s2, s[0:1], 0x64
	v_bfe_u32 v1, v0, 10, 10
	v_bfe_u32 v2, v0, 20, 10
	s_mov_b32 s32, 0
	s_waitcnt lgkmcnt(0)
	s_lshr_b32 s3, s2, 16
	s_and_b32 s2, s2, 0xffff
	v_mad_u32_u24 v4, v2, s3, v1
	v_and_b32_e32 v1, 0x3ff, v0
	s_load_b32 s3, s[0:1], 0x34
	s_delay_alu instid0(VALU_DEP_1) | instskip(SKIP_1) | instid1(VALU_DEP_1)
	v_mad_u64_u32 v[2:3], null, v4, s2, v[1:2]
	s_mov_b32 s2, exec_lo
	v_lshrrev_b32_e32 v1, 3, v2
	s_delay_alu instid0(VALU_DEP_1) | instskip(SKIP_1) | instid1(VALU_DEP_1)
	v_lshl_add_u32 v1, s14, 5, v1
	s_waitcnt lgkmcnt(0)
	v_cmpx_gt_u32_e64 s3, v1
	s_cbranch_execz .LBB1249_3
; %bb.1:
	s_clause 0x1
	s_load_b64 s[2:3], s[0:1], 0x38
	s_load_b128 s[4:7], s[0:1], 0x40
	v_mov_b32_e32 v2, 0
	s_delay_alu instid0(VALU_DEP_1) | instskip(SKIP_1) | instid1(VALU_DEP_1)
	v_lshlrev_b64 v[1:2], 2, v[1:2]
	s_waitcnt lgkmcnt(0)
	v_sub_co_u32 v1, vcc_lo, s2, v1
	s_delay_alu instid0(VALU_DEP_2) | instskip(SKIP_4) | instid1(VALU_DEP_2)
	v_sub_co_ci_u32_e32 v2, vcc_lo, s3, v2, vcc_lo
	global_load_b32 v1, v[1:2], off offset:-4
	s_waitcnt vmcnt(0)
	v_add_nc_u32_e32 v2, s5, v1
	v_add_nc_u32_e32 v1, s7, v1
	v_mul_lo_u32 v13, v2, s4
	s_delay_alu instid0(VALU_DEP_2) | instskip(NEXT) | instid1(VALU_DEP_1)
	v_mul_lo_u32 v14, v1, s6
	v_cmp_gt_u32_e32 vcc_lo, v14, v13
	s_and_b32 exec_lo, exec_lo, vcc_lo
	s_cbranch_execz .LBB1249_3
; %bb.2:
	s_clause 0x2
	s_load_b32 s10, s[0:1], 0x30
	s_load_b256 s[16:23], s[0:1], 0x0
	s_load_b128 s[4:7], s[0:1], 0x20
	s_add_u32 s8, s0, 0x58
	s_addc_u32 s9, s1, 0
	s_mov_b64 s[2:3], src_shared_base
	s_getpc_b64 s[0:1]
	s_add_u32 s0, s0, _ZN7rocprim17ROCPRIM_400000_NS6detail26segmented_warp_sort_helperINS1_20WarpSortHelperConfigILj8ELj4ELj256EEEdlLi256ELb0EvE4sortIPKdPdPKlPlEEvT_S9_T0_T1_SC_T2_bjjjjRNS5_12storage_typeE@rel32@lo+4
	s_addc_u32 s1, s1, _ZN7rocprim17ROCPRIM_400000_NS6detail26segmented_warp_sort_helperINS1_20WarpSortHelperConfigILj8ELj4ELj256EEEdlLi256ELb0EvE4sortIPKdPdPKlPlEEvT_S9_T0_T1_SC_T2_bjjjjRNS5_12storage_typeE@rel32@hi+12
	v_mov_b32_e32 v31, v0
	v_dual_mov_b32 v15, 0 :: v_dual_mov_b32 v16, s3
	s_mov_b32 s12, s14
	s_mov_b32 s13, s15
	s_waitcnt lgkmcnt(0)
	s_and_b32 s2, s10, 1
	v_dual_mov_b32 v0, s16 :: v_dual_mov_b32 v1, s17
	v_dual_mov_b32 v2, s18 :: v_dual_mov_b32 v3, s19
	;; [unrolled: 1-line block ×6, first 2 shown]
	v_mov_b32_e32 v12, s2
	s_swappc_b64 s[30:31], s[0:1]
.LBB1249_3:
	s_endpgm
	.section	.rodata,"a",@progbits
	.p2align	6, 0x0
	.amdhsa_kernel _ZN7rocprim17ROCPRIM_400000_NS6detail17trampoline_kernelINS0_14default_configENS1_36segmented_radix_sort_config_selectorIdlEEZNS1_25segmented_radix_sort_implIS3_Lb0EPKdPdPKlPlN2at6native12_GLOBAL__N_18offset_tEEE10hipError_tPvRmT1_PNSt15iterator_traitsISK_E10value_typeET2_T3_PNSL_ISQ_E10value_typeET4_jRbjT5_SW_jjP12ihipStream_tbEUlT_E1_NS1_11comp_targetILNS1_3genE9ELNS1_11target_archE1100ELNS1_3gpuE3ELNS1_3repE0EEENS1_59segmented_radix_sort_warp_sort_small_config_static_selectorELNS0_4arch9wavefront6targetE0EEEvSK_
		.amdhsa_group_segment_fixed_size 16384
		.amdhsa_private_segment_fixed_size 0
		.amdhsa_kernarg_size 344
		.amdhsa_user_sgpr_count 14
		.amdhsa_user_sgpr_dispatch_ptr 0
		.amdhsa_user_sgpr_queue_ptr 0
		.amdhsa_user_sgpr_kernarg_segment_ptr 1
		.amdhsa_user_sgpr_dispatch_id 0
		.amdhsa_user_sgpr_private_segment_size 0
		.amdhsa_wavefront_size32 1
		.amdhsa_uses_dynamic_stack 0
		.amdhsa_enable_private_segment 0
		.amdhsa_system_sgpr_workgroup_id_x 1
		.amdhsa_system_sgpr_workgroup_id_y 1
		.amdhsa_system_sgpr_workgroup_id_z 0
		.amdhsa_system_sgpr_workgroup_info 0
		.amdhsa_system_vgpr_workitem_id 2
		.amdhsa_next_free_vgpr 85
		.amdhsa_next_free_sgpr 33
		.amdhsa_reserve_vcc 1
		.amdhsa_float_round_mode_32 0
		.amdhsa_float_round_mode_16_64 0
		.amdhsa_float_denorm_mode_32 3
		.amdhsa_float_denorm_mode_16_64 3
		.amdhsa_dx10_clamp 1
		.amdhsa_ieee_mode 1
		.amdhsa_fp16_overflow 0
		.amdhsa_workgroup_processor_mode 1
		.amdhsa_memory_ordered 1
		.amdhsa_forward_progress 0
		.amdhsa_shared_vgpr_count 0
		.amdhsa_exception_fp_ieee_invalid_op 0
		.amdhsa_exception_fp_denorm_src 0
		.amdhsa_exception_fp_ieee_div_zero 0
		.amdhsa_exception_fp_ieee_overflow 0
		.amdhsa_exception_fp_ieee_underflow 0
		.amdhsa_exception_fp_ieee_inexact 0
		.amdhsa_exception_int_div_zero 0
	.end_amdhsa_kernel
	.section	.text._ZN7rocprim17ROCPRIM_400000_NS6detail17trampoline_kernelINS0_14default_configENS1_36segmented_radix_sort_config_selectorIdlEEZNS1_25segmented_radix_sort_implIS3_Lb0EPKdPdPKlPlN2at6native12_GLOBAL__N_18offset_tEEE10hipError_tPvRmT1_PNSt15iterator_traitsISK_E10value_typeET2_T3_PNSL_ISQ_E10value_typeET4_jRbjT5_SW_jjP12ihipStream_tbEUlT_E1_NS1_11comp_targetILNS1_3genE9ELNS1_11target_archE1100ELNS1_3gpuE3ELNS1_3repE0EEENS1_59segmented_radix_sort_warp_sort_small_config_static_selectorELNS0_4arch9wavefront6targetE0EEEvSK_,"axG",@progbits,_ZN7rocprim17ROCPRIM_400000_NS6detail17trampoline_kernelINS0_14default_configENS1_36segmented_radix_sort_config_selectorIdlEEZNS1_25segmented_radix_sort_implIS3_Lb0EPKdPdPKlPlN2at6native12_GLOBAL__N_18offset_tEEE10hipError_tPvRmT1_PNSt15iterator_traitsISK_E10value_typeET2_T3_PNSL_ISQ_E10value_typeET4_jRbjT5_SW_jjP12ihipStream_tbEUlT_E1_NS1_11comp_targetILNS1_3genE9ELNS1_11target_archE1100ELNS1_3gpuE3ELNS1_3repE0EEENS1_59segmented_radix_sort_warp_sort_small_config_static_selectorELNS0_4arch9wavefront6targetE0EEEvSK_,comdat
.Lfunc_end1249:
	.size	_ZN7rocprim17ROCPRIM_400000_NS6detail17trampoline_kernelINS0_14default_configENS1_36segmented_radix_sort_config_selectorIdlEEZNS1_25segmented_radix_sort_implIS3_Lb0EPKdPdPKlPlN2at6native12_GLOBAL__N_18offset_tEEE10hipError_tPvRmT1_PNSt15iterator_traitsISK_E10value_typeET2_T3_PNSL_ISQ_E10value_typeET4_jRbjT5_SW_jjP12ihipStream_tbEUlT_E1_NS1_11comp_targetILNS1_3genE9ELNS1_11target_archE1100ELNS1_3gpuE3ELNS1_3repE0EEENS1_59segmented_radix_sort_warp_sort_small_config_static_selectorELNS0_4arch9wavefront6targetE0EEEvSK_, .Lfunc_end1249-_ZN7rocprim17ROCPRIM_400000_NS6detail17trampoline_kernelINS0_14default_configENS1_36segmented_radix_sort_config_selectorIdlEEZNS1_25segmented_radix_sort_implIS3_Lb0EPKdPdPKlPlN2at6native12_GLOBAL__N_18offset_tEEE10hipError_tPvRmT1_PNSt15iterator_traitsISK_E10value_typeET2_T3_PNSL_ISQ_E10value_typeET4_jRbjT5_SW_jjP12ihipStream_tbEUlT_E1_NS1_11comp_targetILNS1_3genE9ELNS1_11target_archE1100ELNS1_3gpuE3ELNS1_3repE0EEENS1_59segmented_radix_sort_warp_sort_small_config_static_selectorELNS0_4arch9wavefront6targetE0EEEvSK_
                                        ; -- End function
	.section	.AMDGPU.csdata,"",@progbits
; Kernel info:
; codeLenInByte = 376
; NumSgprs: 35
; NumVgprs: 85
; ScratchSize: 0
; MemoryBound: 0
; FloatMode: 240
; IeeeMode: 1
; LDSByteSize: 16384 bytes/workgroup (compile time only)
; SGPRBlocks: 4
; VGPRBlocks: 10
; NumSGPRsForWavesPerEU: 35
; NumVGPRsForWavesPerEU: 85
; Occupancy: 16
; WaveLimiterHint : 0
; COMPUTE_PGM_RSRC2:SCRATCH_EN: 0
; COMPUTE_PGM_RSRC2:USER_SGPR: 14
; COMPUTE_PGM_RSRC2:TRAP_HANDLER: 0
; COMPUTE_PGM_RSRC2:TGID_X_EN: 1
; COMPUTE_PGM_RSRC2:TGID_Y_EN: 1
; COMPUTE_PGM_RSRC2:TGID_Z_EN: 0
; COMPUTE_PGM_RSRC2:TIDIG_COMP_CNT: 2
	.section	.text._ZN7rocprim17ROCPRIM_400000_NS6detail17trampoline_kernelINS0_14default_configENS1_36segmented_radix_sort_config_selectorIdlEEZNS1_25segmented_radix_sort_implIS3_Lb0EPKdPdPKlPlN2at6native12_GLOBAL__N_18offset_tEEE10hipError_tPvRmT1_PNSt15iterator_traitsISK_E10value_typeET2_T3_PNSL_ISQ_E10value_typeET4_jRbjT5_SW_jjP12ihipStream_tbEUlT_E1_NS1_11comp_targetILNS1_3genE8ELNS1_11target_archE1030ELNS1_3gpuE2ELNS1_3repE0EEENS1_59segmented_radix_sort_warp_sort_small_config_static_selectorELNS0_4arch9wavefront6targetE0EEEvSK_,"axG",@progbits,_ZN7rocprim17ROCPRIM_400000_NS6detail17trampoline_kernelINS0_14default_configENS1_36segmented_radix_sort_config_selectorIdlEEZNS1_25segmented_radix_sort_implIS3_Lb0EPKdPdPKlPlN2at6native12_GLOBAL__N_18offset_tEEE10hipError_tPvRmT1_PNSt15iterator_traitsISK_E10value_typeET2_T3_PNSL_ISQ_E10value_typeET4_jRbjT5_SW_jjP12ihipStream_tbEUlT_E1_NS1_11comp_targetILNS1_3genE8ELNS1_11target_archE1030ELNS1_3gpuE2ELNS1_3repE0EEENS1_59segmented_radix_sort_warp_sort_small_config_static_selectorELNS0_4arch9wavefront6targetE0EEEvSK_,comdat
	.globl	_ZN7rocprim17ROCPRIM_400000_NS6detail17trampoline_kernelINS0_14default_configENS1_36segmented_radix_sort_config_selectorIdlEEZNS1_25segmented_radix_sort_implIS3_Lb0EPKdPdPKlPlN2at6native12_GLOBAL__N_18offset_tEEE10hipError_tPvRmT1_PNSt15iterator_traitsISK_E10value_typeET2_T3_PNSL_ISQ_E10value_typeET4_jRbjT5_SW_jjP12ihipStream_tbEUlT_E1_NS1_11comp_targetILNS1_3genE8ELNS1_11target_archE1030ELNS1_3gpuE2ELNS1_3repE0EEENS1_59segmented_radix_sort_warp_sort_small_config_static_selectorELNS0_4arch9wavefront6targetE0EEEvSK_ ; -- Begin function _ZN7rocprim17ROCPRIM_400000_NS6detail17trampoline_kernelINS0_14default_configENS1_36segmented_radix_sort_config_selectorIdlEEZNS1_25segmented_radix_sort_implIS3_Lb0EPKdPdPKlPlN2at6native12_GLOBAL__N_18offset_tEEE10hipError_tPvRmT1_PNSt15iterator_traitsISK_E10value_typeET2_T3_PNSL_ISQ_E10value_typeET4_jRbjT5_SW_jjP12ihipStream_tbEUlT_E1_NS1_11comp_targetILNS1_3genE8ELNS1_11target_archE1030ELNS1_3gpuE2ELNS1_3repE0EEENS1_59segmented_radix_sort_warp_sort_small_config_static_selectorELNS0_4arch9wavefront6targetE0EEEvSK_
	.p2align	8
	.type	_ZN7rocprim17ROCPRIM_400000_NS6detail17trampoline_kernelINS0_14default_configENS1_36segmented_radix_sort_config_selectorIdlEEZNS1_25segmented_radix_sort_implIS3_Lb0EPKdPdPKlPlN2at6native12_GLOBAL__N_18offset_tEEE10hipError_tPvRmT1_PNSt15iterator_traitsISK_E10value_typeET2_T3_PNSL_ISQ_E10value_typeET4_jRbjT5_SW_jjP12ihipStream_tbEUlT_E1_NS1_11comp_targetILNS1_3genE8ELNS1_11target_archE1030ELNS1_3gpuE2ELNS1_3repE0EEENS1_59segmented_radix_sort_warp_sort_small_config_static_selectorELNS0_4arch9wavefront6targetE0EEEvSK_,@function
_ZN7rocprim17ROCPRIM_400000_NS6detail17trampoline_kernelINS0_14default_configENS1_36segmented_radix_sort_config_selectorIdlEEZNS1_25segmented_radix_sort_implIS3_Lb0EPKdPdPKlPlN2at6native12_GLOBAL__N_18offset_tEEE10hipError_tPvRmT1_PNSt15iterator_traitsISK_E10value_typeET2_T3_PNSL_ISQ_E10value_typeET4_jRbjT5_SW_jjP12ihipStream_tbEUlT_E1_NS1_11comp_targetILNS1_3genE8ELNS1_11target_archE1030ELNS1_3gpuE2ELNS1_3repE0EEENS1_59segmented_radix_sort_warp_sort_small_config_static_selectorELNS0_4arch9wavefront6targetE0EEEvSK_: ; @_ZN7rocprim17ROCPRIM_400000_NS6detail17trampoline_kernelINS0_14default_configENS1_36segmented_radix_sort_config_selectorIdlEEZNS1_25segmented_radix_sort_implIS3_Lb0EPKdPdPKlPlN2at6native12_GLOBAL__N_18offset_tEEE10hipError_tPvRmT1_PNSt15iterator_traitsISK_E10value_typeET2_T3_PNSL_ISQ_E10value_typeET4_jRbjT5_SW_jjP12ihipStream_tbEUlT_E1_NS1_11comp_targetILNS1_3genE8ELNS1_11target_archE1030ELNS1_3gpuE2ELNS1_3repE0EEENS1_59segmented_radix_sort_warp_sort_small_config_static_selectorELNS0_4arch9wavefront6targetE0EEEvSK_
; %bb.0:
	.section	.rodata,"a",@progbits
	.p2align	6, 0x0
	.amdhsa_kernel _ZN7rocprim17ROCPRIM_400000_NS6detail17trampoline_kernelINS0_14default_configENS1_36segmented_radix_sort_config_selectorIdlEEZNS1_25segmented_radix_sort_implIS3_Lb0EPKdPdPKlPlN2at6native12_GLOBAL__N_18offset_tEEE10hipError_tPvRmT1_PNSt15iterator_traitsISK_E10value_typeET2_T3_PNSL_ISQ_E10value_typeET4_jRbjT5_SW_jjP12ihipStream_tbEUlT_E1_NS1_11comp_targetILNS1_3genE8ELNS1_11target_archE1030ELNS1_3gpuE2ELNS1_3repE0EEENS1_59segmented_radix_sort_warp_sort_small_config_static_selectorELNS0_4arch9wavefront6targetE0EEEvSK_
		.amdhsa_group_segment_fixed_size 0
		.amdhsa_private_segment_fixed_size 0
		.amdhsa_kernarg_size 88
		.amdhsa_user_sgpr_count 15
		.amdhsa_user_sgpr_dispatch_ptr 0
		.amdhsa_user_sgpr_queue_ptr 0
		.amdhsa_user_sgpr_kernarg_segment_ptr 1
		.amdhsa_user_sgpr_dispatch_id 0
		.amdhsa_user_sgpr_private_segment_size 0
		.amdhsa_wavefront_size32 1
		.amdhsa_uses_dynamic_stack 0
		.amdhsa_enable_private_segment 0
		.amdhsa_system_sgpr_workgroup_id_x 1
		.amdhsa_system_sgpr_workgroup_id_y 0
		.amdhsa_system_sgpr_workgroup_id_z 0
		.amdhsa_system_sgpr_workgroup_info 0
		.amdhsa_system_vgpr_workitem_id 0
		.amdhsa_next_free_vgpr 1
		.amdhsa_next_free_sgpr 1
		.amdhsa_reserve_vcc 0
		.amdhsa_float_round_mode_32 0
		.amdhsa_float_round_mode_16_64 0
		.amdhsa_float_denorm_mode_32 3
		.amdhsa_float_denorm_mode_16_64 3
		.amdhsa_dx10_clamp 1
		.amdhsa_ieee_mode 1
		.amdhsa_fp16_overflow 0
		.amdhsa_workgroup_processor_mode 1
		.amdhsa_memory_ordered 1
		.amdhsa_forward_progress 0
		.amdhsa_shared_vgpr_count 0
		.amdhsa_exception_fp_ieee_invalid_op 0
		.amdhsa_exception_fp_denorm_src 0
		.amdhsa_exception_fp_ieee_div_zero 0
		.amdhsa_exception_fp_ieee_overflow 0
		.amdhsa_exception_fp_ieee_underflow 0
		.amdhsa_exception_fp_ieee_inexact 0
		.amdhsa_exception_int_div_zero 0
	.end_amdhsa_kernel
	.section	.text._ZN7rocprim17ROCPRIM_400000_NS6detail17trampoline_kernelINS0_14default_configENS1_36segmented_radix_sort_config_selectorIdlEEZNS1_25segmented_radix_sort_implIS3_Lb0EPKdPdPKlPlN2at6native12_GLOBAL__N_18offset_tEEE10hipError_tPvRmT1_PNSt15iterator_traitsISK_E10value_typeET2_T3_PNSL_ISQ_E10value_typeET4_jRbjT5_SW_jjP12ihipStream_tbEUlT_E1_NS1_11comp_targetILNS1_3genE8ELNS1_11target_archE1030ELNS1_3gpuE2ELNS1_3repE0EEENS1_59segmented_radix_sort_warp_sort_small_config_static_selectorELNS0_4arch9wavefront6targetE0EEEvSK_,"axG",@progbits,_ZN7rocprim17ROCPRIM_400000_NS6detail17trampoline_kernelINS0_14default_configENS1_36segmented_radix_sort_config_selectorIdlEEZNS1_25segmented_radix_sort_implIS3_Lb0EPKdPdPKlPlN2at6native12_GLOBAL__N_18offset_tEEE10hipError_tPvRmT1_PNSt15iterator_traitsISK_E10value_typeET2_T3_PNSL_ISQ_E10value_typeET4_jRbjT5_SW_jjP12ihipStream_tbEUlT_E1_NS1_11comp_targetILNS1_3genE8ELNS1_11target_archE1030ELNS1_3gpuE2ELNS1_3repE0EEENS1_59segmented_radix_sort_warp_sort_small_config_static_selectorELNS0_4arch9wavefront6targetE0EEEvSK_,comdat
.Lfunc_end1250:
	.size	_ZN7rocprim17ROCPRIM_400000_NS6detail17trampoline_kernelINS0_14default_configENS1_36segmented_radix_sort_config_selectorIdlEEZNS1_25segmented_radix_sort_implIS3_Lb0EPKdPdPKlPlN2at6native12_GLOBAL__N_18offset_tEEE10hipError_tPvRmT1_PNSt15iterator_traitsISK_E10value_typeET2_T3_PNSL_ISQ_E10value_typeET4_jRbjT5_SW_jjP12ihipStream_tbEUlT_E1_NS1_11comp_targetILNS1_3genE8ELNS1_11target_archE1030ELNS1_3gpuE2ELNS1_3repE0EEENS1_59segmented_radix_sort_warp_sort_small_config_static_selectorELNS0_4arch9wavefront6targetE0EEEvSK_, .Lfunc_end1250-_ZN7rocprim17ROCPRIM_400000_NS6detail17trampoline_kernelINS0_14default_configENS1_36segmented_radix_sort_config_selectorIdlEEZNS1_25segmented_radix_sort_implIS3_Lb0EPKdPdPKlPlN2at6native12_GLOBAL__N_18offset_tEEE10hipError_tPvRmT1_PNSt15iterator_traitsISK_E10value_typeET2_T3_PNSL_ISQ_E10value_typeET4_jRbjT5_SW_jjP12ihipStream_tbEUlT_E1_NS1_11comp_targetILNS1_3genE8ELNS1_11target_archE1030ELNS1_3gpuE2ELNS1_3repE0EEENS1_59segmented_radix_sort_warp_sort_small_config_static_selectorELNS0_4arch9wavefront6targetE0EEEvSK_
                                        ; -- End function
	.section	.AMDGPU.csdata,"",@progbits
; Kernel info:
; codeLenInByte = 0
; NumSgprs: 0
; NumVgprs: 0
; ScratchSize: 0
; MemoryBound: 0
; FloatMode: 240
; IeeeMode: 1
; LDSByteSize: 0 bytes/workgroup (compile time only)
; SGPRBlocks: 0
; VGPRBlocks: 0
; NumSGPRsForWavesPerEU: 1
; NumVGPRsForWavesPerEU: 1
; Occupancy: 16
; WaveLimiterHint : 0
; COMPUTE_PGM_RSRC2:SCRATCH_EN: 0
; COMPUTE_PGM_RSRC2:USER_SGPR: 15
; COMPUTE_PGM_RSRC2:TRAP_HANDLER: 0
; COMPUTE_PGM_RSRC2:TGID_X_EN: 1
; COMPUTE_PGM_RSRC2:TGID_Y_EN: 0
; COMPUTE_PGM_RSRC2:TGID_Z_EN: 0
; COMPUTE_PGM_RSRC2:TIDIG_COMP_CNT: 0
	.section	.text._ZN7rocprim17ROCPRIM_400000_NS6detail17trampoline_kernelINS0_14default_configENS1_36segmented_radix_sort_config_selectorIdlEEZNS1_25segmented_radix_sort_implIS3_Lb0EPKdPdPKlPlN2at6native12_GLOBAL__N_18offset_tEEE10hipError_tPvRmT1_PNSt15iterator_traitsISK_E10value_typeET2_T3_PNSL_ISQ_E10value_typeET4_jRbjT5_SW_jjP12ihipStream_tbEUlT_E2_NS1_11comp_targetILNS1_3genE0ELNS1_11target_archE4294967295ELNS1_3gpuE0ELNS1_3repE0EEENS1_30default_config_static_selectorELNS0_4arch9wavefront6targetE0EEEvSK_,"axG",@progbits,_ZN7rocprim17ROCPRIM_400000_NS6detail17trampoline_kernelINS0_14default_configENS1_36segmented_radix_sort_config_selectorIdlEEZNS1_25segmented_radix_sort_implIS3_Lb0EPKdPdPKlPlN2at6native12_GLOBAL__N_18offset_tEEE10hipError_tPvRmT1_PNSt15iterator_traitsISK_E10value_typeET2_T3_PNSL_ISQ_E10value_typeET4_jRbjT5_SW_jjP12ihipStream_tbEUlT_E2_NS1_11comp_targetILNS1_3genE0ELNS1_11target_archE4294967295ELNS1_3gpuE0ELNS1_3repE0EEENS1_30default_config_static_selectorELNS0_4arch9wavefront6targetE0EEEvSK_,comdat
	.globl	_ZN7rocprim17ROCPRIM_400000_NS6detail17trampoline_kernelINS0_14default_configENS1_36segmented_radix_sort_config_selectorIdlEEZNS1_25segmented_radix_sort_implIS3_Lb0EPKdPdPKlPlN2at6native12_GLOBAL__N_18offset_tEEE10hipError_tPvRmT1_PNSt15iterator_traitsISK_E10value_typeET2_T3_PNSL_ISQ_E10value_typeET4_jRbjT5_SW_jjP12ihipStream_tbEUlT_E2_NS1_11comp_targetILNS1_3genE0ELNS1_11target_archE4294967295ELNS1_3gpuE0ELNS1_3repE0EEENS1_30default_config_static_selectorELNS0_4arch9wavefront6targetE0EEEvSK_ ; -- Begin function _ZN7rocprim17ROCPRIM_400000_NS6detail17trampoline_kernelINS0_14default_configENS1_36segmented_radix_sort_config_selectorIdlEEZNS1_25segmented_radix_sort_implIS3_Lb0EPKdPdPKlPlN2at6native12_GLOBAL__N_18offset_tEEE10hipError_tPvRmT1_PNSt15iterator_traitsISK_E10value_typeET2_T3_PNSL_ISQ_E10value_typeET4_jRbjT5_SW_jjP12ihipStream_tbEUlT_E2_NS1_11comp_targetILNS1_3genE0ELNS1_11target_archE4294967295ELNS1_3gpuE0ELNS1_3repE0EEENS1_30default_config_static_selectorELNS0_4arch9wavefront6targetE0EEEvSK_
	.p2align	8
	.type	_ZN7rocprim17ROCPRIM_400000_NS6detail17trampoline_kernelINS0_14default_configENS1_36segmented_radix_sort_config_selectorIdlEEZNS1_25segmented_radix_sort_implIS3_Lb0EPKdPdPKlPlN2at6native12_GLOBAL__N_18offset_tEEE10hipError_tPvRmT1_PNSt15iterator_traitsISK_E10value_typeET2_T3_PNSL_ISQ_E10value_typeET4_jRbjT5_SW_jjP12ihipStream_tbEUlT_E2_NS1_11comp_targetILNS1_3genE0ELNS1_11target_archE4294967295ELNS1_3gpuE0ELNS1_3repE0EEENS1_30default_config_static_selectorELNS0_4arch9wavefront6targetE0EEEvSK_,@function
_ZN7rocprim17ROCPRIM_400000_NS6detail17trampoline_kernelINS0_14default_configENS1_36segmented_radix_sort_config_selectorIdlEEZNS1_25segmented_radix_sort_implIS3_Lb0EPKdPdPKlPlN2at6native12_GLOBAL__N_18offset_tEEE10hipError_tPvRmT1_PNSt15iterator_traitsISK_E10value_typeET2_T3_PNSL_ISQ_E10value_typeET4_jRbjT5_SW_jjP12ihipStream_tbEUlT_E2_NS1_11comp_targetILNS1_3genE0ELNS1_11target_archE4294967295ELNS1_3gpuE0ELNS1_3repE0EEENS1_30default_config_static_selectorELNS0_4arch9wavefront6targetE0EEEvSK_: ; @_ZN7rocprim17ROCPRIM_400000_NS6detail17trampoline_kernelINS0_14default_configENS1_36segmented_radix_sort_config_selectorIdlEEZNS1_25segmented_radix_sort_implIS3_Lb0EPKdPdPKlPlN2at6native12_GLOBAL__N_18offset_tEEE10hipError_tPvRmT1_PNSt15iterator_traitsISK_E10value_typeET2_T3_PNSL_ISQ_E10value_typeET4_jRbjT5_SW_jjP12ihipStream_tbEUlT_E2_NS1_11comp_targetILNS1_3genE0ELNS1_11target_archE4294967295ELNS1_3gpuE0ELNS1_3repE0EEENS1_30default_config_static_selectorELNS0_4arch9wavefront6targetE0EEEvSK_
; %bb.0:
	.section	.rodata,"a",@progbits
	.p2align	6, 0x0
	.amdhsa_kernel _ZN7rocprim17ROCPRIM_400000_NS6detail17trampoline_kernelINS0_14default_configENS1_36segmented_radix_sort_config_selectorIdlEEZNS1_25segmented_radix_sort_implIS3_Lb0EPKdPdPKlPlN2at6native12_GLOBAL__N_18offset_tEEE10hipError_tPvRmT1_PNSt15iterator_traitsISK_E10value_typeET2_T3_PNSL_ISQ_E10value_typeET4_jRbjT5_SW_jjP12ihipStream_tbEUlT_E2_NS1_11comp_targetILNS1_3genE0ELNS1_11target_archE4294967295ELNS1_3gpuE0ELNS1_3repE0EEENS1_30default_config_static_selectorELNS0_4arch9wavefront6targetE0EEEvSK_
		.amdhsa_group_segment_fixed_size 0
		.amdhsa_private_segment_fixed_size 0
		.amdhsa_kernarg_size 80
		.amdhsa_user_sgpr_count 15
		.amdhsa_user_sgpr_dispatch_ptr 0
		.amdhsa_user_sgpr_queue_ptr 0
		.amdhsa_user_sgpr_kernarg_segment_ptr 1
		.amdhsa_user_sgpr_dispatch_id 0
		.amdhsa_user_sgpr_private_segment_size 0
		.amdhsa_wavefront_size32 1
		.amdhsa_uses_dynamic_stack 0
		.amdhsa_enable_private_segment 0
		.amdhsa_system_sgpr_workgroup_id_x 1
		.amdhsa_system_sgpr_workgroup_id_y 0
		.amdhsa_system_sgpr_workgroup_id_z 0
		.amdhsa_system_sgpr_workgroup_info 0
		.amdhsa_system_vgpr_workitem_id 0
		.amdhsa_next_free_vgpr 1
		.amdhsa_next_free_sgpr 1
		.amdhsa_reserve_vcc 0
		.amdhsa_float_round_mode_32 0
		.amdhsa_float_round_mode_16_64 0
		.amdhsa_float_denorm_mode_32 3
		.amdhsa_float_denorm_mode_16_64 3
		.amdhsa_dx10_clamp 1
		.amdhsa_ieee_mode 1
		.amdhsa_fp16_overflow 0
		.amdhsa_workgroup_processor_mode 1
		.amdhsa_memory_ordered 1
		.amdhsa_forward_progress 0
		.amdhsa_shared_vgpr_count 0
		.amdhsa_exception_fp_ieee_invalid_op 0
		.amdhsa_exception_fp_denorm_src 0
		.amdhsa_exception_fp_ieee_div_zero 0
		.amdhsa_exception_fp_ieee_overflow 0
		.amdhsa_exception_fp_ieee_underflow 0
		.amdhsa_exception_fp_ieee_inexact 0
		.amdhsa_exception_int_div_zero 0
	.end_amdhsa_kernel
	.section	.text._ZN7rocprim17ROCPRIM_400000_NS6detail17trampoline_kernelINS0_14default_configENS1_36segmented_radix_sort_config_selectorIdlEEZNS1_25segmented_radix_sort_implIS3_Lb0EPKdPdPKlPlN2at6native12_GLOBAL__N_18offset_tEEE10hipError_tPvRmT1_PNSt15iterator_traitsISK_E10value_typeET2_T3_PNSL_ISQ_E10value_typeET4_jRbjT5_SW_jjP12ihipStream_tbEUlT_E2_NS1_11comp_targetILNS1_3genE0ELNS1_11target_archE4294967295ELNS1_3gpuE0ELNS1_3repE0EEENS1_30default_config_static_selectorELNS0_4arch9wavefront6targetE0EEEvSK_,"axG",@progbits,_ZN7rocprim17ROCPRIM_400000_NS6detail17trampoline_kernelINS0_14default_configENS1_36segmented_radix_sort_config_selectorIdlEEZNS1_25segmented_radix_sort_implIS3_Lb0EPKdPdPKlPlN2at6native12_GLOBAL__N_18offset_tEEE10hipError_tPvRmT1_PNSt15iterator_traitsISK_E10value_typeET2_T3_PNSL_ISQ_E10value_typeET4_jRbjT5_SW_jjP12ihipStream_tbEUlT_E2_NS1_11comp_targetILNS1_3genE0ELNS1_11target_archE4294967295ELNS1_3gpuE0ELNS1_3repE0EEENS1_30default_config_static_selectorELNS0_4arch9wavefront6targetE0EEEvSK_,comdat
.Lfunc_end1251:
	.size	_ZN7rocprim17ROCPRIM_400000_NS6detail17trampoline_kernelINS0_14default_configENS1_36segmented_radix_sort_config_selectorIdlEEZNS1_25segmented_radix_sort_implIS3_Lb0EPKdPdPKlPlN2at6native12_GLOBAL__N_18offset_tEEE10hipError_tPvRmT1_PNSt15iterator_traitsISK_E10value_typeET2_T3_PNSL_ISQ_E10value_typeET4_jRbjT5_SW_jjP12ihipStream_tbEUlT_E2_NS1_11comp_targetILNS1_3genE0ELNS1_11target_archE4294967295ELNS1_3gpuE0ELNS1_3repE0EEENS1_30default_config_static_selectorELNS0_4arch9wavefront6targetE0EEEvSK_, .Lfunc_end1251-_ZN7rocprim17ROCPRIM_400000_NS6detail17trampoline_kernelINS0_14default_configENS1_36segmented_radix_sort_config_selectorIdlEEZNS1_25segmented_radix_sort_implIS3_Lb0EPKdPdPKlPlN2at6native12_GLOBAL__N_18offset_tEEE10hipError_tPvRmT1_PNSt15iterator_traitsISK_E10value_typeET2_T3_PNSL_ISQ_E10value_typeET4_jRbjT5_SW_jjP12ihipStream_tbEUlT_E2_NS1_11comp_targetILNS1_3genE0ELNS1_11target_archE4294967295ELNS1_3gpuE0ELNS1_3repE0EEENS1_30default_config_static_selectorELNS0_4arch9wavefront6targetE0EEEvSK_
                                        ; -- End function
	.section	.AMDGPU.csdata,"",@progbits
; Kernel info:
; codeLenInByte = 0
; NumSgprs: 0
; NumVgprs: 0
; ScratchSize: 0
; MemoryBound: 0
; FloatMode: 240
; IeeeMode: 1
; LDSByteSize: 0 bytes/workgroup (compile time only)
; SGPRBlocks: 0
; VGPRBlocks: 0
; NumSGPRsForWavesPerEU: 1
; NumVGPRsForWavesPerEU: 1
; Occupancy: 16
; WaveLimiterHint : 0
; COMPUTE_PGM_RSRC2:SCRATCH_EN: 0
; COMPUTE_PGM_RSRC2:USER_SGPR: 15
; COMPUTE_PGM_RSRC2:TRAP_HANDLER: 0
; COMPUTE_PGM_RSRC2:TGID_X_EN: 1
; COMPUTE_PGM_RSRC2:TGID_Y_EN: 0
; COMPUTE_PGM_RSRC2:TGID_Z_EN: 0
; COMPUTE_PGM_RSRC2:TIDIG_COMP_CNT: 0
	.section	.text._ZN7rocprim17ROCPRIM_400000_NS6detail17trampoline_kernelINS0_14default_configENS1_36segmented_radix_sort_config_selectorIdlEEZNS1_25segmented_radix_sort_implIS3_Lb0EPKdPdPKlPlN2at6native12_GLOBAL__N_18offset_tEEE10hipError_tPvRmT1_PNSt15iterator_traitsISK_E10value_typeET2_T3_PNSL_ISQ_E10value_typeET4_jRbjT5_SW_jjP12ihipStream_tbEUlT_E2_NS1_11comp_targetILNS1_3genE5ELNS1_11target_archE942ELNS1_3gpuE9ELNS1_3repE0EEENS1_30default_config_static_selectorELNS0_4arch9wavefront6targetE0EEEvSK_,"axG",@progbits,_ZN7rocprim17ROCPRIM_400000_NS6detail17trampoline_kernelINS0_14default_configENS1_36segmented_radix_sort_config_selectorIdlEEZNS1_25segmented_radix_sort_implIS3_Lb0EPKdPdPKlPlN2at6native12_GLOBAL__N_18offset_tEEE10hipError_tPvRmT1_PNSt15iterator_traitsISK_E10value_typeET2_T3_PNSL_ISQ_E10value_typeET4_jRbjT5_SW_jjP12ihipStream_tbEUlT_E2_NS1_11comp_targetILNS1_3genE5ELNS1_11target_archE942ELNS1_3gpuE9ELNS1_3repE0EEENS1_30default_config_static_selectorELNS0_4arch9wavefront6targetE0EEEvSK_,comdat
	.globl	_ZN7rocprim17ROCPRIM_400000_NS6detail17trampoline_kernelINS0_14default_configENS1_36segmented_radix_sort_config_selectorIdlEEZNS1_25segmented_radix_sort_implIS3_Lb0EPKdPdPKlPlN2at6native12_GLOBAL__N_18offset_tEEE10hipError_tPvRmT1_PNSt15iterator_traitsISK_E10value_typeET2_T3_PNSL_ISQ_E10value_typeET4_jRbjT5_SW_jjP12ihipStream_tbEUlT_E2_NS1_11comp_targetILNS1_3genE5ELNS1_11target_archE942ELNS1_3gpuE9ELNS1_3repE0EEENS1_30default_config_static_selectorELNS0_4arch9wavefront6targetE0EEEvSK_ ; -- Begin function _ZN7rocprim17ROCPRIM_400000_NS6detail17trampoline_kernelINS0_14default_configENS1_36segmented_radix_sort_config_selectorIdlEEZNS1_25segmented_radix_sort_implIS3_Lb0EPKdPdPKlPlN2at6native12_GLOBAL__N_18offset_tEEE10hipError_tPvRmT1_PNSt15iterator_traitsISK_E10value_typeET2_T3_PNSL_ISQ_E10value_typeET4_jRbjT5_SW_jjP12ihipStream_tbEUlT_E2_NS1_11comp_targetILNS1_3genE5ELNS1_11target_archE942ELNS1_3gpuE9ELNS1_3repE0EEENS1_30default_config_static_selectorELNS0_4arch9wavefront6targetE0EEEvSK_
	.p2align	8
	.type	_ZN7rocprim17ROCPRIM_400000_NS6detail17trampoline_kernelINS0_14default_configENS1_36segmented_radix_sort_config_selectorIdlEEZNS1_25segmented_radix_sort_implIS3_Lb0EPKdPdPKlPlN2at6native12_GLOBAL__N_18offset_tEEE10hipError_tPvRmT1_PNSt15iterator_traitsISK_E10value_typeET2_T3_PNSL_ISQ_E10value_typeET4_jRbjT5_SW_jjP12ihipStream_tbEUlT_E2_NS1_11comp_targetILNS1_3genE5ELNS1_11target_archE942ELNS1_3gpuE9ELNS1_3repE0EEENS1_30default_config_static_selectorELNS0_4arch9wavefront6targetE0EEEvSK_,@function
_ZN7rocprim17ROCPRIM_400000_NS6detail17trampoline_kernelINS0_14default_configENS1_36segmented_radix_sort_config_selectorIdlEEZNS1_25segmented_radix_sort_implIS3_Lb0EPKdPdPKlPlN2at6native12_GLOBAL__N_18offset_tEEE10hipError_tPvRmT1_PNSt15iterator_traitsISK_E10value_typeET2_T3_PNSL_ISQ_E10value_typeET4_jRbjT5_SW_jjP12ihipStream_tbEUlT_E2_NS1_11comp_targetILNS1_3genE5ELNS1_11target_archE942ELNS1_3gpuE9ELNS1_3repE0EEENS1_30default_config_static_selectorELNS0_4arch9wavefront6targetE0EEEvSK_: ; @_ZN7rocprim17ROCPRIM_400000_NS6detail17trampoline_kernelINS0_14default_configENS1_36segmented_radix_sort_config_selectorIdlEEZNS1_25segmented_radix_sort_implIS3_Lb0EPKdPdPKlPlN2at6native12_GLOBAL__N_18offset_tEEE10hipError_tPvRmT1_PNSt15iterator_traitsISK_E10value_typeET2_T3_PNSL_ISQ_E10value_typeET4_jRbjT5_SW_jjP12ihipStream_tbEUlT_E2_NS1_11comp_targetILNS1_3genE5ELNS1_11target_archE942ELNS1_3gpuE9ELNS1_3repE0EEENS1_30default_config_static_selectorELNS0_4arch9wavefront6targetE0EEEvSK_
; %bb.0:
	.section	.rodata,"a",@progbits
	.p2align	6, 0x0
	.amdhsa_kernel _ZN7rocprim17ROCPRIM_400000_NS6detail17trampoline_kernelINS0_14default_configENS1_36segmented_radix_sort_config_selectorIdlEEZNS1_25segmented_radix_sort_implIS3_Lb0EPKdPdPKlPlN2at6native12_GLOBAL__N_18offset_tEEE10hipError_tPvRmT1_PNSt15iterator_traitsISK_E10value_typeET2_T3_PNSL_ISQ_E10value_typeET4_jRbjT5_SW_jjP12ihipStream_tbEUlT_E2_NS1_11comp_targetILNS1_3genE5ELNS1_11target_archE942ELNS1_3gpuE9ELNS1_3repE0EEENS1_30default_config_static_selectorELNS0_4arch9wavefront6targetE0EEEvSK_
		.amdhsa_group_segment_fixed_size 0
		.amdhsa_private_segment_fixed_size 0
		.amdhsa_kernarg_size 80
		.amdhsa_user_sgpr_count 15
		.amdhsa_user_sgpr_dispatch_ptr 0
		.amdhsa_user_sgpr_queue_ptr 0
		.amdhsa_user_sgpr_kernarg_segment_ptr 1
		.amdhsa_user_sgpr_dispatch_id 0
		.amdhsa_user_sgpr_private_segment_size 0
		.amdhsa_wavefront_size32 1
		.amdhsa_uses_dynamic_stack 0
		.amdhsa_enable_private_segment 0
		.amdhsa_system_sgpr_workgroup_id_x 1
		.amdhsa_system_sgpr_workgroup_id_y 0
		.amdhsa_system_sgpr_workgroup_id_z 0
		.amdhsa_system_sgpr_workgroup_info 0
		.amdhsa_system_vgpr_workitem_id 0
		.amdhsa_next_free_vgpr 1
		.amdhsa_next_free_sgpr 1
		.amdhsa_reserve_vcc 0
		.amdhsa_float_round_mode_32 0
		.amdhsa_float_round_mode_16_64 0
		.amdhsa_float_denorm_mode_32 3
		.amdhsa_float_denorm_mode_16_64 3
		.amdhsa_dx10_clamp 1
		.amdhsa_ieee_mode 1
		.amdhsa_fp16_overflow 0
		.amdhsa_workgroup_processor_mode 1
		.amdhsa_memory_ordered 1
		.amdhsa_forward_progress 0
		.amdhsa_shared_vgpr_count 0
		.amdhsa_exception_fp_ieee_invalid_op 0
		.amdhsa_exception_fp_denorm_src 0
		.amdhsa_exception_fp_ieee_div_zero 0
		.amdhsa_exception_fp_ieee_overflow 0
		.amdhsa_exception_fp_ieee_underflow 0
		.amdhsa_exception_fp_ieee_inexact 0
		.amdhsa_exception_int_div_zero 0
	.end_amdhsa_kernel
	.section	.text._ZN7rocprim17ROCPRIM_400000_NS6detail17trampoline_kernelINS0_14default_configENS1_36segmented_radix_sort_config_selectorIdlEEZNS1_25segmented_radix_sort_implIS3_Lb0EPKdPdPKlPlN2at6native12_GLOBAL__N_18offset_tEEE10hipError_tPvRmT1_PNSt15iterator_traitsISK_E10value_typeET2_T3_PNSL_ISQ_E10value_typeET4_jRbjT5_SW_jjP12ihipStream_tbEUlT_E2_NS1_11comp_targetILNS1_3genE5ELNS1_11target_archE942ELNS1_3gpuE9ELNS1_3repE0EEENS1_30default_config_static_selectorELNS0_4arch9wavefront6targetE0EEEvSK_,"axG",@progbits,_ZN7rocprim17ROCPRIM_400000_NS6detail17trampoline_kernelINS0_14default_configENS1_36segmented_radix_sort_config_selectorIdlEEZNS1_25segmented_radix_sort_implIS3_Lb0EPKdPdPKlPlN2at6native12_GLOBAL__N_18offset_tEEE10hipError_tPvRmT1_PNSt15iterator_traitsISK_E10value_typeET2_T3_PNSL_ISQ_E10value_typeET4_jRbjT5_SW_jjP12ihipStream_tbEUlT_E2_NS1_11comp_targetILNS1_3genE5ELNS1_11target_archE942ELNS1_3gpuE9ELNS1_3repE0EEENS1_30default_config_static_selectorELNS0_4arch9wavefront6targetE0EEEvSK_,comdat
.Lfunc_end1252:
	.size	_ZN7rocprim17ROCPRIM_400000_NS6detail17trampoline_kernelINS0_14default_configENS1_36segmented_radix_sort_config_selectorIdlEEZNS1_25segmented_radix_sort_implIS3_Lb0EPKdPdPKlPlN2at6native12_GLOBAL__N_18offset_tEEE10hipError_tPvRmT1_PNSt15iterator_traitsISK_E10value_typeET2_T3_PNSL_ISQ_E10value_typeET4_jRbjT5_SW_jjP12ihipStream_tbEUlT_E2_NS1_11comp_targetILNS1_3genE5ELNS1_11target_archE942ELNS1_3gpuE9ELNS1_3repE0EEENS1_30default_config_static_selectorELNS0_4arch9wavefront6targetE0EEEvSK_, .Lfunc_end1252-_ZN7rocprim17ROCPRIM_400000_NS6detail17trampoline_kernelINS0_14default_configENS1_36segmented_radix_sort_config_selectorIdlEEZNS1_25segmented_radix_sort_implIS3_Lb0EPKdPdPKlPlN2at6native12_GLOBAL__N_18offset_tEEE10hipError_tPvRmT1_PNSt15iterator_traitsISK_E10value_typeET2_T3_PNSL_ISQ_E10value_typeET4_jRbjT5_SW_jjP12ihipStream_tbEUlT_E2_NS1_11comp_targetILNS1_3genE5ELNS1_11target_archE942ELNS1_3gpuE9ELNS1_3repE0EEENS1_30default_config_static_selectorELNS0_4arch9wavefront6targetE0EEEvSK_
                                        ; -- End function
	.section	.AMDGPU.csdata,"",@progbits
; Kernel info:
; codeLenInByte = 0
; NumSgprs: 0
; NumVgprs: 0
; ScratchSize: 0
; MemoryBound: 0
; FloatMode: 240
; IeeeMode: 1
; LDSByteSize: 0 bytes/workgroup (compile time only)
; SGPRBlocks: 0
; VGPRBlocks: 0
; NumSGPRsForWavesPerEU: 1
; NumVGPRsForWavesPerEU: 1
; Occupancy: 16
; WaveLimiterHint : 0
; COMPUTE_PGM_RSRC2:SCRATCH_EN: 0
; COMPUTE_PGM_RSRC2:USER_SGPR: 15
; COMPUTE_PGM_RSRC2:TRAP_HANDLER: 0
; COMPUTE_PGM_RSRC2:TGID_X_EN: 1
; COMPUTE_PGM_RSRC2:TGID_Y_EN: 0
; COMPUTE_PGM_RSRC2:TGID_Z_EN: 0
; COMPUTE_PGM_RSRC2:TIDIG_COMP_CNT: 0
	.section	.text._ZN7rocprim17ROCPRIM_400000_NS6detail17trampoline_kernelINS0_14default_configENS1_36segmented_radix_sort_config_selectorIdlEEZNS1_25segmented_radix_sort_implIS3_Lb0EPKdPdPKlPlN2at6native12_GLOBAL__N_18offset_tEEE10hipError_tPvRmT1_PNSt15iterator_traitsISK_E10value_typeET2_T3_PNSL_ISQ_E10value_typeET4_jRbjT5_SW_jjP12ihipStream_tbEUlT_E2_NS1_11comp_targetILNS1_3genE4ELNS1_11target_archE910ELNS1_3gpuE8ELNS1_3repE0EEENS1_30default_config_static_selectorELNS0_4arch9wavefront6targetE0EEEvSK_,"axG",@progbits,_ZN7rocprim17ROCPRIM_400000_NS6detail17trampoline_kernelINS0_14default_configENS1_36segmented_radix_sort_config_selectorIdlEEZNS1_25segmented_radix_sort_implIS3_Lb0EPKdPdPKlPlN2at6native12_GLOBAL__N_18offset_tEEE10hipError_tPvRmT1_PNSt15iterator_traitsISK_E10value_typeET2_T3_PNSL_ISQ_E10value_typeET4_jRbjT5_SW_jjP12ihipStream_tbEUlT_E2_NS1_11comp_targetILNS1_3genE4ELNS1_11target_archE910ELNS1_3gpuE8ELNS1_3repE0EEENS1_30default_config_static_selectorELNS0_4arch9wavefront6targetE0EEEvSK_,comdat
	.globl	_ZN7rocprim17ROCPRIM_400000_NS6detail17trampoline_kernelINS0_14default_configENS1_36segmented_radix_sort_config_selectorIdlEEZNS1_25segmented_radix_sort_implIS3_Lb0EPKdPdPKlPlN2at6native12_GLOBAL__N_18offset_tEEE10hipError_tPvRmT1_PNSt15iterator_traitsISK_E10value_typeET2_T3_PNSL_ISQ_E10value_typeET4_jRbjT5_SW_jjP12ihipStream_tbEUlT_E2_NS1_11comp_targetILNS1_3genE4ELNS1_11target_archE910ELNS1_3gpuE8ELNS1_3repE0EEENS1_30default_config_static_selectorELNS0_4arch9wavefront6targetE0EEEvSK_ ; -- Begin function _ZN7rocprim17ROCPRIM_400000_NS6detail17trampoline_kernelINS0_14default_configENS1_36segmented_radix_sort_config_selectorIdlEEZNS1_25segmented_radix_sort_implIS3_Lb0EPKdPdPKlPlN2at6native12_GLOBAL__N_18offset_tEEE10hipError_tPvRmT1_PNSt15iterator_traitsISK_E10value_typeET2_T3_PNSL_ISQ_E10value_typeET4_jRbjT5_SW_jjP12ihipStream_tbEUlT_E2_NS1_11comp_targetILNS1_3genE4ELNS1_11target_archE910ELNS1_3gpuE8ELNS1_3repE0EEENS1_30default_config_static_selectorELNS0_4arch9wavefront6targetE0EEEvSK_
	.p2align	8
	.type	_ZN7rocprim17ROCPRIM_400000_NS6detail17trampoline_kernelINS0_14default_configENS1_36segmented_radix_sort_config_selectorIdlEEZNS1_25segmented_radix_sort_implIS3_Lb0EPKdPdPKlPlN2at6native12_GLOBAL__N_18offset_tEEE10hipError_tPvRmT1_PNSt15iterator_traitsISK_E10value_typeET2_T3_PNSL_ISQ_E10value_typeET4_jRbjT5_SW_jjP12ihipStream_tbEUlT_E2_NS1_11comp_targetILNS1_3genE4ELNS1_11target_archE910ELNS1_3gpuE8ELNS1_3repE0EEENS1_30default_config_static_selectorELNS0_4arch9wavefront6targetE0EEEvSK_,@function
_ZN7rocprim17ROCPRIM_400000_NS6detail17trampoline_kernelINS0_14default_configENS1_36segmented_radix_sort_config_selectorIdlEEZNS1_25segmented_radix_sort_implIS3_Lb0EPKdPdPKlPlN2at6native12_GLOBAL__N_18offset_tEEE10hipError_tPvRmT1_PNSt15iterator_traitsISK_E10value_typeET2_T3_PNSL_ISQ_E10value_typeET4_jRbjT5_SW_jjP12ihipStream_tbEUlT_E2_NS1_11comp_targetILNS1_3genE4ELNS1_11target_archE910ELNS1_3gpuE8ELNS1_3repE0EEENS1_30default_config_static_selectorELNS0_4arch9wavefront6targetE0EEEvSK_: ; @_ZN7rocprim17ROCPRIM_400000_NS6detail17trampoline_kernelINS0_14default_configENS1_36segmented_radix_sort_config_selectorIdlEEZNS1_25segmented_radix_sort_implIS3_Lb0EPKdPdPKlPlN2at6native12_GLOBAL__N_18offset_tEEE10hipError_tPvRmT1_PNSt15iterator_traitsISK_E10value_typeET2_T3_PNSL_ISQ_E10value_typeET4_jRbjT5_SW_jjP12ihipStream_tbEUlT_E2_NS1_11comp_targetILNS1_3genE4ELNS1_11target_archE910ELNS1_3gpuE8ELNS1_3repE0EEENS1_30default_config_static_selectorELNS0_4arch9wavefront6targetE0EEEvSK_
; %bb.0:
	.section	.rodata,"a",@progbits
	.p2align	6, 0x0
	.amdhsa_kernel _ZN7rocprim17ROCPRIM_400000_NS6detail17trampoline_kernelINS0_14default_configENS1_36segmented_radix_sort_config_selectorIdlEEZNS1_25segmented_radix_sort_implIS3_Lb0EPKdPdPKlPlN2at6native12_GLOBAL__N_18offset_tEEE10hipError_tPvRmT1_PNSt15iterator_traitsISK_E10value_typeET2_T3_PNSL_ISQ_E10value_typeET4_jRbjT5_SW_jjP12ihipStream_tbEUlT_E2_NS1_11comp_targetILNS1_3genE4ELNS1_11target_archE910ELNS1_3gpuE8ELNS1_3repE0EEENS1_30default_config_static_selectorELNS0_4arch9wavefront6targetE0EEEvSK_
		.amdhsa_group_segment_fixed_size 0
		.amdhsa_private_segment_fixed_size 0
		.amdhsa_kernarg_size 80
		.amdhsa_user_sgpr_count 15
		.amdhsa_user_sgpr_dispatch_ptr 0
		.amdhsa_user_sgpr_queue_ptr 0
		.amdhsa_user_sgpr_kernarg_segment_ptr 1
		.amdhsa_user_sgpr_dispatch_id 0
		.amdhsa_user_sgpr_private_segment_size 0
		.amdhsa_wavefront_size32 1
		.amdhsa_uses_dynamic_stack 0
		.amdhsa_enable_private_segment 0
		.amdhsa_system_sgpr_workgroup_id_x 1
		.amdhsa_system_sgpr_workgroup_id_y 0
		.amdhsa_system_sgpr_workgroup_id_z 0
		.amdhsa_system_sgpr_workgroup_info 0
		.amdhsa_system_vgpr_workitem_id 0
		.amdhsa_next_free_vgpr 1
		.amdhsa_next_free_sgpr 1
		.amdhsa_reserve_vcc 0
		.amdhsa_float_round_mode_32 0
		.amdhsa_float_round_mode_16_64 0
		.amdhsa_float_denorm_mode_32 3
		.amdhsa_float_denorm_mode_16_64 3
		.amdhsa_dx10_clamp 1
		.amdhsa_ieee_mode 1
		.amdhsa_fp16_overflow 0
		.amdhsa_workgroup_processor_mode 1
		.amdhsa_memory_ordered 1
		.amdhsa_forward_progress 0
		.amdhsa_shared_vgpr_count 0
		.amdhsa_exception_fp_ieee_invalid_op 0
		.amdhsa_exception_fp_denorm_src 0
		.amdhsa_exception_fp_ieee_div_zero 0
		.amdhsa_exception_fp_ieee_overflow 0
		.amdhsa_exception_fp_ieee_underflow 0
		.amdhsa_exception_fp_ieee_inexact 0
		.amdhsa_exception_int_div_zero 0
	.end_amdhsa_kernel
	.section	.text._ZN7rocprim17ROCPRIM_400000_NS6detail17trampoline_kernelINS0_14default_configENS1_36segmented_radix_sort_config_selectorIdlEEZNS1_25segmented_radix_sort_implIS3_Lb0EPKdPdPKlPlN2at6native12_GLOBAL__N_18offset_tEEE10hipError_tPvRmT1_PNSt15iterator_traitsISK_E10value_typeET2_T3_PNSL_ISQ_E10value_typeET4_jRbjT5_SW_jjP12ihipStream_tbEUlT_E2_NS1_11comp_targetILNS1_3genE4ELNS1_11target_archE910ELNS1_3gpuE8ELNS1_3repE0EEENS1_30default_config_static_selectorELNS0_4arch9wavefront6targetE0EEEvSK_,"axG",@progbits,_ZN7rocprim17ROCPRIM_400000_NS6detail17trampoline_kernelINS0_14default_configENS1_36segmented_radix_sort_config_selectorIdlEEZNS1_25segmented_radix_sort_implIS3_Lb0EPKdPdPKlPlN2at6native12_GLOBAL__N_18offset_tEEE10hipError_tPvRmT1_PNSt15iterator_traitsISK_E10value_typeET2_T3_PNSL_ISQ_E10value_typeET4_jRbjT5_SW_jjP12ihipStream_tbEUlT_E2_NS1_11comp_targetILNS1_3genE4ELNS1_11target_archE910ELNS1_3gpuE8ELNS1_3repE0EEENS1_30default_config_static_selectorELNS0_4arch9wavefront6targetE0EEEvSK_,comdat
.Lfunc_end1253:
	.size	_ZN7rocprim17ROCPRIM_400000_NS6detail17trampoline_kernelINS0_14default_configENS1_36segmented_radix_sort_config_selectorIdlEEZNS1_25segmented_radix_sort_implIS3_Lb0EPKdPdPKlPlN2at6native12_GLOBAL__N_18offset_tEEE10hipError_tPvRmT1_PNSt15iterator_traitsISK_E10value_typeET2_T3_PNSL_ISQ_E10value_typeET4_jRbjT5_SW_jjP12ihipStream_tbEUlT_E2_NS1_11comp_targetILNS1_3genE4ELNS1_11target_archE910ELNS1_3gpuE8ELNS1_3repE0EEENS1_30default_config_static_selectorELNS0_4arch9wavefront6targetE0EEEvSK_, .Lfunc_end1253-_ZN7rocprim17ROCPRIM_400000_NS6detail17trampoline_kernelINS0_14default_configENS1_36segmented_radix_sort_config_selectorIdlEEZNS1_25segmented_radix_sort_implIS3_Lb0EPKdPdPKlPlN2at6native12_GLOBAL__N_18offset_tEEE10hipError_tPvRmT1_PNSt15iterator_traitsISK_E10value_typeET2_T3_PNSL_ISQ_E10value_typeET4_jRbjT5_SW_jjP12ihipStream_tbEUlT_E2_NS1_11comp_targetILNS1_3genE4ELNS1_11target_archE910ELNS1_3gpuE8ELNS1_3repE0EEENS1_30default_config_static_selectorELNS0_4arch9wavefront6targetE0EEEvSK_
                                        ; -- End function
	.section	.AMDGPU.csdata,"",@progbits
; Kernel info:
; codeLenInByte = 0
; NumSgprs: 0
; NumVgprs: 0
; ScratchSize: 0
; MemoryBound: 0
; FloatMode: 240
; IeeeMode: 1
; LDSByteSize: 0 bytes/workgroup (compile time only)
; SGPRBlocks: 0
; VGPRBlocks: 0
; NumSGPRsForWavesPerEU: 1
; NumVGPRsForWavesPerEU: 1
; Occupancy: 16
; WaveLimiterHint : 0
; COMPUTE_PGM_RSRC2:SCRATCH_EN: 0
; COMPUTE_PGM_RSRC2:USER_SGPR: 15
; COMPUTE_PGM_RSRC2:TRAP_HANDLER: 0
; COMPUTE_PGM_RSRC2:TGID_X_EN: 1
; COMPUTE_PGM_RSRC2:TGID_Y_EN: 0
; COMPUTE_PGM_RSRC2:TGID_Z_EN: 0
; COMPUTE_PGM_RSRC2:TIDIG_COMP_CNT: 0
	.section	.text._ZN7rocprim17ROCPRIM_400000_NS6detail17trampoline_kernelINS0_14default_configENS1_36segmented_radix_sort_config_selectorIdlEEZNS1_25segmented_radix_sort_implIS3_Lb0EPKdPdPKlPlN2at6native12_GLOBAL__N_18offset_tEEE10hipError_tPvRmT1_PNSt15iterator_traitsISK_E10value_typeET2_T3_PNSL_ISQ_E10value_typeET4_jRbjT5_SW_jjP12ihipStream_tbEUlT_E2_NS1_11comp_targetILNS1_3genE3ELNS1_11target_archE908ELNS1_3gpuE7ELNS1_3repE0EEENS1_30default_config_static_selectorELNS0_4arch9wavefront6targetE0EEEvSK_,"axG",@progbits,_ZN7rocprim17ROCPRIM_400000_NS6detail17trampoline_kernelINS0_14default_configENS1_36segmented_radix_sort_config_selectorIdlEEZNS1_25segmented_radix_sort_implIS3_Lb0EPKdPdPKlPlN2at6native12_GLOBAL__N_18offset_tEEE10hipError_tPvRmT1_PNSt15iterator_traitsISK_E10value_typeET2_T3_PNSL_ISQ_E10value_typeET4_jRbjT5_SW_jjP12ihipStream_tbEUlT_E2_NS1_11comp_targetILNS1_3genE3ELNS1_11target_archE908ELNS1_3gpuE7ELNS1_3repE0EEENS1_30default_config_static_selectorELNS0_4arch9wavefront6targetE0EEEvSK_,comdat
	.globl	_ZN7rocprim17ROCPRIM_400000_NS6detail17trampoline_kernelINS0_14default_configENS1_36segmented_radix_sort_config_selectorIdlEEZNS1_25segmented_radix_sort_implIS3_Lb0EPKdPdPKlPlN2at6native12_GLOBAL__N_18offset_tEEE10hipError_tPvRmT1_PNSt15iterator_traitsISK_E10value_typeET2_T3_PNSL_ISQ_E10value_typeET4_jRbjT5_SW_jjP12ihipStream_tbEUlT_E2_NS1_11comp_targetILNS1_3genE3ELNS1_11target_archE908ELNS1_3gpuE7ELNS1_3repE0EEENS1_30default_config_static_selectorELNS0_4arch9wavefront6targetE0EEEvSK_ ; -- Begin function _ZN7rocprim17ROCPRIM_400000_NS6detail17trampoline_kernelINS0_14default_configENS1_36segmented_radix_sort_config_selectorIdlEEZNS1_25segmented_radix_sort_implIS3_Lb0EPKdPdPKlPlN2at6native12_GLOBAL__N_18offset_tEEE10hipError_tPvRmT1_PNSt15iterator_traitsISK_E10value_typeET2_T3_PNSL_ISQ_E10value_typeET4_jRbjT5_SW_jjP12ihipStream_tbEUlT_E2_NS1_11comp_targetILNS1_3genE3ELNS1_11target_archE908ELNS1_3gpuE7ELNS1_3repE0EEENS1_30default_config_static_selectorELNS0_4arch9wavefront6targetE0EEEvSK_
	.p2align	8
	.type	_ZN7rocprim17ROCPRIM_400000_NS6detail17trampoline_kernelINS0_14default_configENS1_36segmented_radix_sort_config_selectorIdlEEZNS1_25segmented_radix_sort_implIS3_Lb0EPKdPdPKlPlN2at6native12_GLOBAL__N_18offset_tEEE10hipError_tPvRmT1_PNSt15iterator_traitsISK_E10value_typeET2_T3_PNSL_ISQ_E10value_typeET4_jRbjT5_SW_jjP12ihipStream_tbEUlT_E2_NS1_11comp_targetILNS1_3genE3ELNS1_11target_archE908ELNS1_3gpuE7ELNS1_3repE0EEENS1_30default_config_static_selectorELNS0_4arch9wavefront6targetE0EEEvSK_,@function
_ZN7rocprim17ROCPRIM_400000_NS6detail17trampoline_kernelINS0_14default_configENS1_36segmented_radix_sort_config_selectorIdlEEZNS1_25segmented_radix_sort_implIS3_Lb0EPKdPdPKlPlN2at6native12_GLOBAL__N_18offset_tEEE10hipError_tPvRmT1_PNSt15iterator_traitsISK_E10value_typeET2_T3_PNSL_ISQ_E10value_typeET4_jRbjT5_SW_jjP12ihipStream_tbEUlT_E2_NS1_11comp_targetILNS1_3genE3ELNS1_11target_archE908ELNS1_3gpuE7ELNS1_3repE0EEENS1_30default_config_static_selectorELNS0_4arch9wavefront6targetE0EEEvSK_: ; @_ZN7rocprim17ROCPRIM_400000_NS6detail17trampoline_kernelINS0_14default_configENS1_36segmented_radix_sort_config_selectorIdlEEZNS1_25segmented_radix_sort_implIS3_Lb0EPKdPdPKlPlN2at6native12_GLOBAL__N_18offset_tEEE10hipError_tPvRmT1_PNSt15iterator_traitsISK_E10value_typeET2_T3_PNSL_ISQ_E10value_typeET4_jRbjT5_SW_jjP12ihipStream_tbEUlT_E2_NS1_11comp_targetILNS1_3genE3ELNS1_11target_archE908ELNS1_3gpuE7ELNS1_3repE0EEENS1_30default_config_static_selectorELNS0_4arch9wavefront6targetE0EEEvSK_
; %bb.0:
	.section	.rodata,"a",@progbits
	.p2align	6, 0x0
	.amdhsa_kernel _ZN7rocprim17ROCPRIM_400000_NS6detail17trampoline_kernelINS0_14default_configENS1_36segmented_radix_sort_config_selectorIdlEEZNS1_25segmented_radix_sort_implIS3_Lb0EPKdPdPKlPlN2at6native12_GLOBAL__N_18offset_tEEE10hipError_tPvRmT1_PNSt15iterator_traitsISK_E10value_typeET2_T3_PNSL_ISQ_E10value_typeET4_jRbjT5_SW_jjP12ihipStream_tbEUlT_E2_NS1_11comp_targetILNS1_3genE3ELNS1_11target_archE908ELNS1_3gpuE7ELNS1_3repE0EEENS1_30default_config_static_selectorELNS0_4arch9wavefront6targetE0EEEvSK_
		.amdhsa_group_segment_fixed_size 0
		.amdhsa_private_segment_fixed_size 0
		.amdhsa_kernarg_size 80
		.amdhsa_user_sgpr_count 15
		.amdhsa_user_sgpr_dispatch_ptr 0
		.amdhsa_user_sgpr_queue_ptr 0
		.amdhsa_user_sgpr_kernarg_segment_ptr 1
		.amdhsa_user_sgpr_dispatch_id 0
		.amdhsa_user_sgpr_private_segment_size 0
		.amdhsa_wavefront_size32 1
		.amdhsa_uses_dynamic_stack 0
		.amdhsa_enable_private_segment 0
		.amdhsa_system_sgpr_workgroup_id_x 1
		.amdhsa_system_sgpr_workgroup_id_y 0
		.amdhsa_system_sgpr_workgroup_id_z 0
		.amdhsa_system_sgpr_workgroup_info 0
		.amdhsa_system_vgpr_workitem_id 0
		.amdhsa_next_free_vgpr 1
		.amdhsa_next_free_sgpr 1
		.amdhsa_reserve_vcc 0
		.amdhsa_float_round_mode_32 0
		.amdhsa_float_round_mode_16_64 0
		.amdhsa_float_denorm_mode_32 3
		.amdhsa_float_denorm_mode_16_64 3
		.amdhsa_dx10_clamp 1
		.amdhsa_ieee_mode 1
		.amdhsa_fp16_overflow 0
		.amdhsa_workgroup_processor_mode 1
		.amdhsa_memory_ordered 1
		.amdhsa_forward_progress 0
		.amdhsa_shared_vgpr_count 0
		.amdhsa_exception_fp_ieee_invalid_op 0
		.amdhsa_exception_fp_denorm_src 0
		.amdhsa_exception_fp_ieee_div_zero 0
		.amdhsa_exception_fp_ieee_overflow 0
		.amdhsa_exception_fp_ieee_underflow 0
		.amdhsa_exception_fp_ieee_inexact 0
		.amdhsa_exception_int_div_zero 0
	.end_amdhsa_kernel
	.section	.text._ZN7rocprim17ROCPRIM_400000_NS6detail17trampoline_kernelINS0_14default_configENS1_36segmented_radix_sort_config_selectorIdlEEZNS1_25segmented_radix_sort_implIS3_Lb0EPKdPdPKlPlN2at6native12_GLOBAL__N_18offset_tEEE10hipError_tPvRmT1_PNSt15iterator_traitsISK_E10value_typeET2_T3_PNSL_ISQ_E10value_typeET4_jRbjT5_SW_jjP12ihipStream_tbEUlT_E2_NS1_11comp_targetILNS1_3genE3ELNS1_11target_archE908ELNS1_3gpuE7ELNS1_3repE0EEENS1_30default_config_static_selectorELNS0_4arch9wavefront6targetE0EEEvSK_,"axG",@progbits,_ZN7rocprim17ROCPRIM_400000_NS6detail17trampoline_kernelINS0_14default_configENS1_36segmented_radix_sort_config_selectorIdlEEZNS1_25segmented_radix_sort_implIS3_Lb0EPKdPdPKlPlN2at6native12_GLOBAL__N_18offset_tEEE10hipError_tPvRmT1_PNSt15iterator_traitsISK_E10value_typeET2_T3_PNSL_ISQ_E10value_typeET4_jRbjT5_SW_jjP12ihipStream_tbEUlT_E2_NS1_11comp_targetILNS1_3genE3ELNS1_11target_archE908ELNS1_3gpuE7ELNS1_3repE0EEENS1_30default_config_static_selectorELNS0_4arch9wavefront6targetE0EEEvSK_,comdat
.Lfunc_end1254:
	.size	_ZN7rocprim17ROCPRIM_400000_NS6detail17trampoline_kernelINS0_14default_configENS1_36segmented_radix_sort_config_selectorIdlEEZNS1_25segmented_radix_sort_implIS3_Lb0EPKdPdPKlPlN2at6native12_GLOBAL__N_18offset_tEEE10hipError_tPvRmT1_PNSt15iterator_traitsISK_E10value_typeET2_T3_PNSL_ISQ_E10value_typeET4_jRbjT5_SW_jjP12ihipStream_tbEUlT_E2_NS1_11comp_targetILNS1_3genE3ELNS1_11target_archE908ELNS1_3gpuE7ELNS1_3repE0EEENS1_30default_config_static_selectorELNS0_4arch9wavefront6targetE0EEEvSK_, .Lfunc_end1254-_ZN7rocprim17ROCPRIM_400000_NS6detail17trampoline_kernelINS0_14default_configENS1_36segmented_radix_sort_config_selectorIdlEEZNS1_25segmented_radix_sort_implIS3_Lb0EPKdPdPKlPlN2at6native12_GLOBAL__N_18offset_tEEE10hipError_tPvRmT1_PNSt15iterator_traitsISK_E10value_typeET2_T3_PNSL_ISQ_E10value_typeET4_jRbjT5_SW_jjP12ihipStream_tbEUlT_E2_NS1_11comp_targetILNS1_3genE3ELNS1_11target_archE908ELNS1_3gpuE7ELNS1_3repE0EEENS1_30default_config_static_selectorELNS0_4arch9wavefront6targetE0EEEvSK_
                                        ; -- End function
	.section	.AMDGPU.csdata,"",@progbits
; Kernel info:
; codeLenInByte = 0
; NumSgprs: 0
; NumVgprs: 0
; ScratchSize: 0
; MemoryBound: 0
; FloatMode: 240
; IeeeMode: 1
; LDSByteSize: 0 bytes/workgroup (compile time only)
; SGPRBlocks: 0
; VGPRBlocks: 0
; NumSGPRsForWavesPerEU: 1
; NumVGPRsForWavesPerEU: 1
; Occupancy: 16
; WaveLimiterHint : 0
; COMPUTE_PGM_RSRC2:SCRATCH_EN: 0
; COMPUTE_PGM_RSRC2:USER_SGPR: 15
; COMPUTE_PGM_RSRC2:TRAP_HANDLER: 0
; COMPUTE_PGM_RSRC2:TGID_X_EN: 1
; COMPUTE_PGM_RSRC2:TGID_Y_EN: 0
; COMPUTE_PGM_RSRC2:TGID_Z_EN: 0
; COMPUTE_PGM_RSRC2:TIDIG_COMP_CNT: 0
	.section	.text._ZN7rocprim17ROCPRIM_400000_NS6detail17trampoline_kernelINS0_14default_configENS1_36segmented_radix_sort_config_selectorIdlEEZNS1_25segmented_radix_sort_implIS3_Lb0EPKdPdPKlPlN2at6native12_GLOBAL__N_18offset_tEEE10hipError_tPvRmT1_PNSt15iterator_traitsISK_E10value_typeET2_T3_PNSL_ISQ_E10value_typeET4_jRbjT5_SW_jjP12ihipStream_tbEUlT_E2_NS1_11comp_targetILNS1_3genE2ELNS1_11target_archE906ELNS1_3gpuE6ELNS1_3repE0EEENS1_30default_config_static_selectorELNS0_4arch9wavefront6targetE0EEEvSK_,"axG",@progbits,_ZN7rocprim17ROCPRIM_400000_NS6detail17trampoline_kernelINS0_14default_configENS1_36segmented_radix_sort_config_selectorIdlEEZNS1_25segmented_radix_sort_implIS3_Lb0EPKdPdPKlPlN2at6native12_GLOBAL__N_18offset_tEEE10hipError_tPvRmT1_PNSt15iterator_traitsISK_E10value_typeET2_T3_PNSL_ISQ_E10value_typeET4_jRbjT5_SW_jjP12ihipStream_tbEUlT_E2_NS1_11comp_targetILNS1_3genE2ELNS1_11target_archE906ELNS1_3gpuE6ELNS1_3repE0EEENS1_30default_config_static_selectorELNS0_4arch9wavefront6targetE0EEEvSK_,comdat
	.globl	_ZN7rocprim17ROCPRIM_400000_NS6detail17trampoline_kernelINS0_14default_configENS1_36segmented_radix_sort_config_selectorIdlEEZNS1_25segmented_radix_sort_implIS3_Lb0EPKdPdPKlPlN2at6native12_GLOBAL__N_18offset_tEEE10hipError_tPvRmT1_PNSt15iterator_traitsISK_E10value_typeET2_T3_PNSL_ISQ_E10value_typeET4_jRbjT5_SW_jjP12ihipStream_tbEUlT_E2_NS1_11comp_targetILNS1_3genE2ELNS1_11target_archE906ELNS1_3gpuE6ELNS1_3repE0EEENS1_30default_config_static_selectorELNS0_4arch9wavefront6targetE0EEEvSK_ ; -- Begin function _ZN7rocprim17ROCPRIM_400000_NS6detail17trampoline_kernelINS0_14default_configENS1_36segmented_radix_sort_config_selectorIdlEEZNS1_25segmented_radix_sort_implIS3_Lb0EPKdPdPKlPlN2at6native12_GLOBAL__N_18offset_tEEE10hipError_tPvRmT1_PNSt15iterator_traitsISK_E10value_typeET2_T3_PNSL_ISQ_E10value_typeET4_jRbjT5_SW_jjP12ihipStream_tbEUlT_E2_NS1_11comp_targetILNS1_3genE2ELNS1_11target_archE906ELNS1_3gpuE6ELNS1_3repE0EEENS1_30default_config_static_selectorELNS0_4arch9wavefront6targetE0EEEvSK_
	.p2align	8
	.type	_ZN7rocprim17ROCPRIM_400000_NS6detail17trampoline_kernelINS0_14default_configENS1_36segmented_radix_sort_config_selectorIdlEEZNS1_25segmented_radix_sort_implIS3_Lb0EPKdPdPKlPlN2at6native12_GLOBAL__N_18offset_tEEE10hipError_tPvRmT1_PNSt15iterator_traitsISK_E10value_typeET2_T3_PNSL_ISQ_E10value_typeET4_jRbjT5_SW_jjP12ihipStream_tbEUlT_E2_NS1_11comp_targetILNS1_3genE2ELNS1_11target_archE906ELNS1_3gpuE6ELNS1_3repE0EEENS1_30default_config_static_selectorELNS0_4arch9wavefront6targetE0EEEvSK_,@function
_ZN7rocprim17ROCPRIM_400000_NS6detail17trampoline_kernelINS0_14default_configENS1_36segmented_radix_sort_config_selectorIdlEEZNS1_25segmented_radix_sort_implIS3_Lb0EPKdPdPKlPlN2at6native12_GLOBAL__N_18offset_tEEE10hipError_tPvRmT1_PNSt15iterator_traitsISK_E10value_typeET2_T3_PNSL_ISQ_E10value_typeET4_jRbjT5_SW_jjP12ihipStream_tbEUlT_E2_NS1_11comp_targetILNS1_3genE2ELNS1_11target_archE906ELNS1_3gpuE6ELNS1_3repE0EEENS1_30default_config_static_selectorELNS0_4arch9wavefront6targetE0EEEvSK_: ; @_ZN7rocprim17ROCPRIM_400000_NS6detail17trampoline_kernelINS0_14default_configENS1_36segmented_radix_sort_config_selectorIdlEEZNS1_25segmented_radix_sort_implIS3_Lb0EPKdPdPKlPlN2at6native12_GLOBAL__N_18offset_tEEE10hipError_tPvRmT1_PNSt15iterator_traitsISK_E10value_typeET2_T3_PNSL_ISQ_E10value_typeET4_jRbjT5_SW_jjP12ihipStream_tbEUlT_E2_NS1_11comp_targetILNS1_3genE2ELNS1_11target_archE906ELNS1_3gpuE6ELNS1_3repE0EEENS1_30default_config_static_selectorELNS0_4arch9wavefront6targetE0EEEvSK_
; %bb.0:
	.section	.rodata,"a",@progbits
	.p2align	6, 0x0
	.amdhsa_kernel _ZN7rocprim17ROCPRIM_400000_NS6detail17trampoline_kernelINS0_14default_configENS1_36segmented_radix_sort_config_selectorIdlEEZNS1_25segmented_radix_sort_implIS3_Lb0EPKdPdPKlPlN2at6native12_GLOBAL__N_18offset_tEEE10hipError_tPvRmT1_PNSt15iterator_traitsISK_E10value_typeET2_T3_PNSL_ISQ_E10value_typeET4_jRbjT5_SW_jjP12ihipStream_tbEUlT_E2_NS1_11comp_targetILNS1_3genE2ELNS1_11target_archE906ELNS1_3gpuE6ELNS1_3repE0EEENS1_30default_config_static_selectorELNS0_4arch9wavefront6targetE0EEEvSK_
		.amdhsa_group_segment_fixed_size 0
		.amdhsa_private_segment_fixed_size 0
		.amdhsa_kernarg_size 80
		.amdhsa_user_sgpr_count 15
		.amdhsa_user_sgpr_dispatch_ptr 0
		.amdhsa_user_sgpr_queue_ptr 0
		.amdhsa_user_sgpr_kernarg_segment_ptr 1
		.amdhsa_user_sgpr_dispatch_id 0
		.amdhsa_user_sgpr_private_segment_size 0
		.amdhsa_wavefront_size32 1
		.amdhsa_uses_dynamic_stack 0
		.amdhsa_enable_private_segment 0
		.amdhsa_system_sgpr_workgroup_id_x 1
		.amdhsa_system_sgpr_workgroup_id_y 0
		.amdhsa_system_sgpr_workgroup_id_z 0
		.amdhsa_system_sgpr_workgroup_info 0
		.amdhsa_system_vgpr_workitem_id 0
		.amdhsa_next_free_vgpr 1
		.amdhsa_next_free_sgpr 1
		.amdhsa_reserve_vcc 0
		.amdhsa_float_round_mode_32 0
		.amdhsa_float_round_mode_16_64 0
		.amdhsa_float_denorm_mode_32 3
		.amdhsa_float_denorm_mode_16_64 3
		.amdhsa_dx10_clamp 1
		.amdhsa_ieee_mode 1
		.amdhsa_fp16_overflow 0
		.amdhsa_workgroup_processor_mode 1
		.amdhsa_memory_ordered 1
		.amdhsa_forward_progress 0
		.amdhsa_shared_vgpr_count 0
		.amdhsa_exception_fp_ieee_invalid_op 0
		.amdhsa_exception_fp_denorm_src 0
		.amdhsa_exception_fp_ieee_div_zero 0
		.amdhsa_exception_fp_ieee_overflow 0
		.amdhsa_exception_fp_ieee_underflow 0
		.amdhsa_exception_fp_ieee_inexact 0
		.amdhsa_exception_int_div_zero 0
	.end_amdhsa_kernel
	.section	.text._ZN7rocprim17ROCPRIM_400000_NS6detail17trampoline_kernelINS0_14default_configENS1_36segmented_radix_sort_config_selectorIdlEEZNS1_25segmented_radix_sort_implIS3_Lb0EPKdPdPKlPlN2at6native12_GLOBAL__N_18offset_tEEE10hipError_tPvRmT1_PNSt15iterator_traitsISK_E10value_typeET2_T3_PNSL_ISQ_E10value_typeET4_jRbjT5_SW_jjP12ihipStream_tbEUlT_E2_NS1_11comp_targetILNS1_3genE2ELNS1_11target_archE906ELNS1_3gpuE6ELNS1_3repE0EEENS1_30default_config_static_selectorELNS0_4arch9wavefront6targetE0EEEvSK_,"axG",@progbits,_ZN7rocprim17ROCPRIM_400000_NS6detail17trampoline_kernelINS0_14default_configENS1_36segmented_radix_sort_config_selectorIdlEEZNS1_25segmented_radix_sort_implIS3_Lb0EPKdPdPKlPlN2at6native12_GLOBAL__N_18offset_tEEE10hipError_tPvRmT1_PNSt15iterator_traitsISK_E10value_typeET2_T3_PNSL_ISQ_E10value_typeET4_jRbjT5_SW_jjP12ihipStream_tbEUlT_E2_NS1_11comp_targetILNS1_3genE2ELNS1_11target_archE906ELNS1_3gpuE6ELNS1_3repE0EEENS1_30default_config_static_selectorELNS0_4arch9wavefront6targetE0EEEvSK_,comdat
.Lfunc_end1255:
	.size	_ZN7rocprim17ROCPRIM_400000_NS6detail17trampoline_kernelINS0_14default_configENS1_36segmented_radix_sort_config_selectorIdlEEZNS1_25segmented_radix_sort_implIS3_Lb0EPKdPdPKlPlN2at6native12_GLOBAL__N_18offset_tEEE10hipError_tPvRmT1_PNSt15iterator_traitsISK_E10value_typeET2_T3_PNSL_ISQ_E10value_typeET4_jRbjT5_SW_jjP12ihipStream_tbEUlT_E2_NS1_11comp_targetILNS1_3genE2ELNS1_11target_archE906ELNS1_3gpuE6ELNS1_3repE0EEENS1_30default_config_static_selectorELNS0_4arch9wavefront6targetE0EEEvSK_, .Lfunc_end1255-_ZN7rocprim17ROCPRIM_400000_NS6detail17trampoline_kernelINS0_14default_configENS1_36segmented_radix_sort_config_selectorIdlEEZNS1_25segmented_radix_sort_implIS3_Lb0EPKdPdPKlPlN2at6native12_GLOBAL__N_18offset_tEEE10hipError_tPvRmT1_PNSt15iterator_traitsISK_E10value_typeET2_T3_PNSL_ISQ_E10value_typeET4_jRbjT5_SW_jjP12ihipStream_tbEUlT_E2_NS1_11comp_targetILNS1_3genE2ELNS1_11target_archE906ELNS1_3gpuE6ELNS1_3repE0EEENS1_30default_config_static_selectorELNS0_4arch9wavefront6targetE0EEEvSK_
                                        ; -- End function
	.section	.AMDGPU.csdata,"",@progbits
; Kernel info:
; codeLenInByte = 0
; NumSgprs: 0
; NumVgprs: 0
; ScratchSize: 0
; MemoryBound: 0
; FloatMode: 240
; IeeeMode: 1
; LDSByteSize: 0 bytes/workgroup (compile time only)
; SGPRBlocks: 0
; VGPRBlocks: 0
; NumSGPRsForWavesPerEU: 1
; NumVGPRsForWavesPerEU: 1
; Occupancy: 16
; WaveLimiterHint : 0
; COMPUTE_PGM_RSRC2:SCRATCH_EN: 0
; COMPUTE_PGM_RSRC2:USER_SGPR: 15
; COMPUTE_PGM_RSRC2:TRAP_HANDLER: 0
; COMPUTE_PGM_RSRC2:TGID_X_EN: 1
; COMPUTE_PGM_RSRC2:TGID_Y_EN: 0
; COMPUTE_PGM_RSRC2:TGID_Z_EN: 0
; COMPUTE_PGM_RSRC2:TIDIG_COMP_CNT: 0
	.section	.text._ZN7rocprim17ROCPRIM_400000_NS6detail17trampoline_kernelINS0_14default_configENS1_36segmented_radix_sort_config_selectorIdlEEZNS1_25segmented_radix_sort_implIS3_Lb0EPKdPdPKlPlN2at6native12_GLOBAL__N_18offset_tEEE10hipError_tPvRmT1_PNSt15iterator_traitsISK_E10value_typeET2_T3_PNSL_ISQ_E10value_typeET4_jRbjT5_SW_jjP12ihipStream_tbEUlT_E2_NS1_11comp_targetILNS1_3genE10ELNS1_11target_archE1201ELNS1_3gpuE5ELNS1_3repE0EEENS1_30default_config_static_selectorELNS0_4arch9wavefront6targetE0EEEvSK_,"axG",@progbits,_ZN7rocprim17ROCPRIM_400000_NS6detail17trampoline_kernelINS0_14default_configENS1_36segmented_radix_sort_config_selectorIdlEEZNS1_25segmented_radix_sort_implIS3_Lb0EPKdPdPKlPlN2at6native12_GLOBAL__N_18offset_tEEE10hipError_tPvRmT1_PNSt15iterator_traitsISK_E10value_typeET2_T3_PNSL_ISQ_E10value_typeET4_jRbjT5_SW_jjP12ihipStream_tbEUlT_E2_NS1_11comp_targetILNS1_3genE10ELNS1_11target_archE1201ELNS1_3gpuE5ELNS1_3repE0EEENS1_30default_config_static_selectorELNS0_4arch9wavefront6targetE0EEEvSK_,comdat
	.globl	_ZN7rocprim17ROCPRIM_400000_NS6detail17trampoline_kernelINS0_14default_configENS1_36segmented_radix_sort_config_selectorIdlEEZNS1_25segmented_radix_sort_implIS3_Lb0EPKdPdPKlPlN2at6native12_GLOBAL__N_18offset_tEEE10hipError_tPvRmT1_PNSt15iterator_traitsISK_E10value_typeET2_T3_PNSL_ISQ_E10value_typeET4_jRbjT5_SW_jjP12ihipStream_tbEUlT_E2_NS1_11comp_targetILNS1_3genE10ELNS1_11target_archE1201ELNS1_3gpuE5ELNS1_3repE0EEENS1_30default_config_static_selectorELNS0_4arch9wavefront6targetE0EEEvSK_ ; -- Begin function _ZN7rocprim17ROCPRIM_400000_NS6detail17trampoline_kernelINS0_14default_configENS1_36segmented_radix_sort_config_selectorIdlEEZNS1_25segmented_radix_sort_implIS3_Lb0EPKdPdPKlPlN2at6native12_GLOBAL__N_18offset_tEEE10hipError_tPvRmT1_PNSt15iterator_traitsISK_E10value_typeET2_T3_PNSL_ISQ_E10value_typeET4_jRbjT5_SW_jjP12ihipStream_tbEUlT_E2_NS1_11comp_targetILNS1_3genE10ELNS1_11target_archE1201ELNS1_3gpuE5ELNS1_3repE0EEENS1_30default_config_static_selectorELNS0_4arch9wavefront6targetE0EEEvSK_
	.p2align	8
	.type	_ZN7rocprim17ROCPRIM_400000_NS6detail17trampoline_kernelINS0_14default_configENS1_36segmented_radix_sort_config_selectorIdlEEZNS1_25segmented_radix_sort_implIS3_Lb0EPKdPdPKlPlN2at6native12_GLOBAL__N_18offset_tEEE10hipError_tPvRmT1_PNSt15iterator_traitsISK_E10value_typeET2_T3_PNSL_ISQ_E10value_typeET4_jRbjT5_SW_jjP12ihipStream_tbEUlT_E2_NS1_11comp_targetILNS1_3genE10ELNS1_11target_archE1201ELNS1_3gpuE5ELNS1_3repE0EEENS1_30default_config_static_selectorELNS0_4arch9wavefront6targetE0EEEvSK_,@function
_ZN7rocprim17ROCPRIM_400000_NS6detail17trampoline_kernelINS0_14default_configENS1_36segmented_radix_sort_config_selectorIdlEEZNS1_25segmented_radix_sort_implIS3_Lb0EPKdPdPKlPlN2at6native12_GLOBAL__N_18offset_tEEE10hipError_tPvRmT1_PNSt15iterator_traitsISK_E10value_typeET2_T3_PNSL_ISQ_E10value_typeET4_jRbjT5_SW_jjP12ihipStream_tbEUlT_E2_NS1_11comp_targetILNS1_3genE10ELNS1_11target_archE1201ELNS1_3gpuE5ELNS1_3repE0EEENS1_30default_config_static_selectorELNS0_4arch9wavefront6targetE0EEEvSK_: ; @_ZN7rocprim17ROCPRIM_400000_NS6detail17trampoline_kernelINS0_14default_configENS1_36segmented_radix_sort_config_selectorIdlEEZNS1_25segmented_radix_sort_implIS3_Lb0EPKdPdPKlPlN2at6native12_GLOBAL__N_18offset_tEEE10hipError_tPvRmT1_PNSt15iterator_traitsISK_E10value_typeET2_T3_PNSL_ISQ_E10value_typeET4_jRbjT5_SW_jjP12ihipStream_tbEUlT_E2_NS1_11comp_targetILNS1_3genE10ELNS1_11target_archE1201ELNS1_3gpuE5ELNS1_3repE0EEENS1_30default_config_static_selectorELNS0_4arch9wavefront6targetE0EEEvSK_
; %bb.0:
	.section	.rodata,"a",@progbits
	.p2align	6, 0x0
	.amdhsa_kernel _ZN7rocprim17ROCPRIM_400000_NS6detail17trampoline_kernelINS0_14default_configENS1_36segmented_radix_sort_config_selectorIdlEEZNS1_25segmented_radix_sort_implIS3_Lb0EPKdPdPKlPlN2at6native12_GLOBAL__N_18offset_tEEE10hipError_tPvRmT1_PNSt15iterator_traitsISK_E10value_typeET2_T3_PNSL_ISQ_E10value_typeET4_jRbjT5_SW_jjP12ihipStream_tbEUlT_E2_NS1_11comp_targetILNS1_3genE10ELNS1_11target_archE1201ELNS1_3gpuE5ELNS1_3repE0EEENS1_30default_config_static_selectorELNS0_4arch9wavefront6targetE0EEEvSK_
		.amdhsa_group_segment_fixed_size 0
		.amdhsa_private_segment_fixed_size 0
		.amdhsa_kernarg_size 80
		.amdhsa_user_sgpr_count 15
		.amdhsa_user_sgpr_dispatch_ptr 0
		.amdhsa_user_sgpr_queue_ptr 0
		.amdhsa_user_sgpr_kernarg_segment_ptr 1
		.amdhsa_user_sgpr_dispatch_id 0
		.amdhsa_user_sgpr_private_segment_size 0
		.amdhsa_wavefront_size32 1
		.amdhsa_uses_dynamic_stack 0
		.amdhsa_enable_private_segment 0
		.amdhsa_system_sgpr_workgroup_id_x 1
		.amdhsa_system_sgpr_workgroup_id_y 0
		.amdhsa_system_sgpr_workgroup_id_z 0
		.amdhsa_system_sgpr_workgroup_info 0
		.amdhsa_system_vgpr_workitem_id 0
		.amdhsa_next_free_vgpr 1
		.amdhsa_next_free_sgpr 1
		.amdhsa_reserve_vcc 0
		.amdhsa_float_round_mode_32 0
		.amdhsa_float_round_mode_16_64 0
		.amdhsa_float_denorm_mode_32 3
		.amdhsa_float_denorm_mode_16_64 3
		.amdhsa_dx10_clamp 1
		.amdhsa_ieee_mode 1
		.amdhsa_fp16_overflow 0
		.amdhsa_workgroup_processor_mode 1
		.amdhsa_memory_ordered 1
		.amdhsa_forward_progress 0
		.amdhsa_shared_vgpr_count 0
		.amdhsa_exception_fp_ieee_invalid_op 0
		.amdhsa_exception_fp_denorm_src 0
		.amdhsa_exception_fp_ieee_div_zero 0
		.amdhsa_exception_fp_ieee_overflow 0
		.amdhsa_exception_fp_ieee_underflow 0
		.amdhsa_exception_fp_ieee_inexact 0
		.amdhsa_exception_int_div_zero 0
	.end_amdhsa_kernel
	.section	.text._ZN7rocprim17ROCPRIM_400000_NS6detail17trampoline_kernelINS0_14default_configENS1_36segmented_radix_sort_config_selectorIdlEEZNS1_25segmented_radix_sort_implIS3_Lb0EPKdPdPKlPlN2at6native12_GLOBAL__N_18offset_tEEE10hipError_tPvRmT1_PNSt15iterator_traitsISK_E10value_typeET2_T3_PNSL_ISQ_E10value_typeET4_jRbjT5_SW_jjP12ihipStream_tbEUlT_E2_NS1_11comp_targetILNS1_3genE10ELNS1_11target_archE1201ELNS1_3gpuE5ELNS1_3repE0EEENS1_30default_config_static_selectorELNS0_4arch9wavefront6targetE0EEEvSK_,"axG",@progbits,_ZN7rocprim17ROCPRIM_400000_NS6detail17trampoline_kernelINS0_14default_configENS1_36segmented_radix_sort_config_selectorIdlEEZNS1_25segmented_radix_sort_implIS3_Lb0EPKdPdPKlPlN2at6native12_GLOBAL__N_18offset_tEEE10hipError_tPvRmT1_PNSt15iterator_traitsISK_E10value_typeET2_T3_PNSL_ISQ_E10value_typeET4_jRbjT5_SW_jjP12ihipStream_tbEUlT_E2_NS1_11comp_targetILNS1_3genE10ELNS1_11target_archE1201ELNS1_3gpuE5ELNS1_3repE0EEENS1_30default_config_static_selectorELNS0_4arch9wavefront6targetE0EEEvSK_,comdat
.Lfunc_end1256:
	.size	_ZN7rocprim17ROCPRIM_400000_NS6detail17trampoline_kernelINS0_14default_configENS1_36segmented_radix_sort_config_selectorIdlEEZNS1_25segmented_radix_sort_implIS3_Lb0EPKdPdPKlPlN2at6native12_GLOBAL__N_18offset_tEEE10hipError_tPvRmT1_PNSt15iterator_traitsISK_E10value_typeET2_T3_PNSL_ISQ_E10value_typeET4_jRbjT5_SW_jjP12ihipStream_tbEUlT_E2_NS1_11comp_targetILNS1_3genE10ELNS1_11target_archE1201ELNS1_3gpuE5ELNS1_3repE0EEENS1_30default_config_static_selectorELNS0_4arch9wavefront6targetE0EEEvSK_, .Lfunc_end1256-_ZN7rocprim17ROCPRIM_400000_NS6detail17trampoline_kernelINS0_14default_configENS1_36segmented_radix_sort_config_selectorIdlEEZNS1_25segmented_radix_sort_implIS3_Lb0EPKdPdPKlPlN2at6native12_GLOBAL__N_18offset_tEEE10hipError_tPvRmT1_PNSt15iterator_traitsISK_E10value_typeET2_T3_PNSL_ISQ_E10value_typeET4_jRbjT5_SW_jjP12ihipStream_tbEUlT_E2_NS1_11comp_targetILNS1_3genE10ELNS1_11target_archE1201ELNS1_3gpuE5ELNS1_3repE0EEENS1_30default_config_static_selectorELNS0_4arch9wavefront6targetE0EEEvSK_
                                        ; -- End function
	.section	.AMDGPU.csdata,"",@progbits
; Kernel info:
; codeLenInByte = 0
; NumSgprs: 0
; NumVgprs: 0
; ScratchSize: 0
; MemoryBound: 0
; FloatMode: 240
; IeeeMode: 1
; LDSByteSize: 0 bytes/workgroup (compile time only)
; SGPRBlocks: 0
; VGPRBlocks: 0
; NumSGPRsForWavesPerEU: 1
; NumVGPRsForWavesPerEU: 1
; Occupancy: 16
; WaveLimiterHint : 0
; COMPUTE_PGM_RSRC2:SCRATCH_EN: 0
; COMPUTE_PGM_RSRC2:USER_SGPR: 15
; COMPUTE_PGM_RSRC2:TRAP_HANDLER: 0
; COMPUTE_PGM_RSRC2:TGID_X_EN: 1
; COMPUTE_PGM_RSRC2:TGID_Y_EN: 0
; COMPUTE_PGM_RSRC2:TGID_Z_EN: 0
; COMPUTE_PGM_RSRC2:TIDIG_COMP_CNT: 0
	.section	.text._ZN7rocprim17ROCPRIM_400000_NS6detail17trampoline_kernelINS0_14default_configENS1_36segmented_radix_sort_config_selectorIdlEEZNS1_25segmented_radix_sort_implIS3_Lb0EPKdPdPKlPlN2at6native12_GLOBAL__N_18offset_tEEE10hipError_tPvRmT1_PNSt15iterator_traitsISK_E10value_typeET2_T3_PNSL_ISQ_E10value_typeET4_jRbjT5_SW_jjP12ihipStream_tbEUlT_E2_NS1_11comp_targetILNS1_3genE10ELNS1_11target_archE1200ELNS1_3gpuE4ELNS1_3repE0EEENS1_30default_config_static_selectorELNS0_4arch9wavefront6targetE0EEEvSK_,"axG",@progbits,_ZN7rocprim17ROCPRIM_400000_NS6detail17trampoline_kernelINS0_14default_configENS1_36segmented_radix_sort_config_selectorIdlEEZNS1_25segmented_radix_sort_implIS3_Lb0EPKdPdPKlPlN2at6native12_GLOBAL__N_18offset_tEEE10hipError_tPvRmT1_PNSt15iterator_traitsISK_E10value_typeET2_T3_PNSL_ISQ_E10value_typeET4_jRbjT5_SW_jjP12ihipStream_tbEUlT_E2_NS1_11comp_targetILNS1_3genE10ELNS1_11target_archE1200ELNS1_3gpuE4ELNS1_3repE0EEENS1_30default_config_static_selectorELNS0_4arch9wavefront6targetE0EEEvSK_,comdat
	.globl	_ZN7rocprim17ROCPRIM_400000_NS6detail17trampoline_kernelINS0_14default_configENS1_36segmented_radix_sort_config_selectorIdlEEZNS1_25segmented_radix_sort_implIS3_Lb0EPKdPdPKlPlN2at6native12_GLOBAL__N_18offset_tEEE10hipError_tPvRmT1_PNSt15iterator_traitsISK_E10value_typeET2_T3_PNSL_ISQ_E10value_typeET4_jRbjT5_SW_jjP12ihipStream_tbEUlT_E2_NS1_11comp_targetILNS1_3genE10ELNS1_11target_archE1200ELNS1_3gpuE4ELNS1_3repE0EEENS1_30default_config_static_selectorELNS0_4arch9wavefront6targetE0EEEvSK_ ; -- Begin function _ZN7rocprim17ROCPRIM_400000_NS6detail17trampoline_kernelINS0_14default_configENS1_36segmented_radix_sort_config_selectorIdlEEZNS1_25segmented_radix_sort_implIS3_Lb0EPKdPdPKlPlN2at6native12_GLOBAL__N_18offset_tEEE10hipError_tPvRmT1_PNSt15iterator_traitsISK_E10value_typeET2_T3_PNSL_ISQ_E10value_typeET4_jRbjT5_SW_jjP12ihipStream_tbEUlT_E2_NS1_11comp_targetILNS1_3genE10ELNS1_11target_archE1200ELNS1_3gpuE4ELNS1_3repE0EEENS1_30default_config_static_selectorELNS0_4arch9wavefront6targetE0EEEvSK_
	.p2align	8
	.type	_ZN7rocprim17ROCPRIM_400000_NS6detail17trampoline_kernelINS0_14default_configENS1_36segmented_radix_sort_config_selectorIdlEEZNS1_25segmented_radix_sort_implIS3_Lb0EPKdPdPKlPlN2at6native12_GLOBAL__N_18offset_tEEE10hipError_tPvRmT1_PNSt15iterator_traitsISK_E10value_typeET2_T3_PNSL_ISQ_E10value_typeET4_jRbjT5_SW_jjP12ihipStream_tbEUlT_E2_NS1_11comp_targetILNS1_3genE10ELNS1_11target_archE1200ELNS1_3gpuE4ELNS1_3repE0EEENS1_30default_config_static_selectorELNS0_4arch9wavefront6targetE0EEEvSK_,@function
_ZN7rocprim17ROCPRIM_400000_NS6detail17trampoline_kernelINS0_14default_configENS1_36segmented_radix_sort_config_selectorIdlEEZNS1_25segmented_radix_sort_implIS3_Lb0EPKdPdPKlPlN2at6native12_GLOBAL__N_18offset_tEEE10hipError_tPvRmT1_PNSt15iterator_traitsISK_E10value_typeET2_T3_PNSL_ISQ_E10value_typeET4_jRbjT5_SW_jjP12ihipStream_tbEUlT_E2_NS1_11comp_targetILNS1_3genE10ELNS1_11target_archE1200ELNS1_3gpuE4ELNS1_3repE0EEENS1_30default_config_static_selectorELNS0_4arch9wavefront6targetE0EEEvSK_: ; @_ZN7rocprim17ROCPRIM_400000_NS6detail17trampoline_kernelINS0_14default_configENS1_36segmented_radix_sort_config_selectorIdlEEZNS1_25segmented_radix_sort_implIS3_Lb0EPKdPdPKlPlN2at6native12_GLOBAL__N_18offset_tEEE10hipError_tPvRmT1_PNSt15iterator_traitsISK_E10value_typeET2_T3_PNSL_ISQ_E10value_typeET4_jRbjT5_SW_jjP12ihipStream_tbEUlT_E2_NS1_11comp_targetILNS1_3genE10ELNS1_11target_archE1200ELNS1_3gpuE4ELNS1_3repE0EEENS1_30default_config_static_selectorELNS0_4arch9wavefront6targetE0EEEvSK_
; %bb.0:
	.section	.rodata,"a",@progbits
	.p2align	6, 0x0
	.amdhsa_kernel _ZN7rocprim17ROCPRIM_400000_NS6detail17trampoline_kernelINS0_14default_configENS1_36segmented_radix_sort_config_selectorIdlEEZNS1_25segmented_radix_sort_implIS3_Lb0EPKdPdPKlPlN2at6native12_GLOBAL__N_18offset_tEEE10hipError_tPvRmT1_PNSt15iterator_traitsISK_E10value_typeET2_T3_PNSL_ISQ_E10value_typeET4_jRbjT5_SW_jjP12ihipStream_tbEUlT_E2_NS1_11comp_targetILNS1_3genE10ELNS1_11target_archE1200ELNS1_3gpuE4ELNS1_3repE0EEENS1_30default_config_static_selectorELNS0_4arch9wavefront6targetE0EEEvSK_
		.amdhsa_group_segment_fixed_size 0
		.amdhsa_private_segment_fixed_size 0
		.amdhsa_kernarg_size 80
		.amdhsa_user_sgpr_count 15
		.amdhsa_user_sgpr_dispatch_ptr 0
		.amdhsa_user_sgpr_queue_ptr 0
		.amdhsa_user_sgpr_kernarg_segment_ptr 1
		.amdhsa_user_sgpr_dispatch_id 0
		.amdhsa_user_sgpr_private_segment_size 0
		.amdhsa_wavefront_size32 1
		.amdhsa_uses_dynamic_stack 0
		.amdhsa_enable_private_segment 0
		.amdhsa_system_sgpr_workgroup_id_x 1
		.amdhsa_system_sgpr_workgroup_id_y 0
		.amdhsa_system_sgpr_workgroup_id_z 0
		.amdhsa_system_sgpr_workgroup_info 0
		.amdhsa_system_vgpr_workitem_id 0
		.amdhsa_next_free_vgpr 1
		.amdhsa_next_free_sgpr 1
		.amdhsa_reserve_vcc 0
		.amdhsa_float_round_mode_32 0
		.amdhsa_float_round_mode_16_64 0
		.amdhsa_float_denorm_mode_32 3
		.amdhsa_float_denorm_mode_16_64 3
		.amdhsa_dx10_clamp 1
		.amdhsa_ieee_mode 1
		.amdhsa_fp16_overflow 0
		.amdhsa_workgroup_processor_mode 1
		.amdhsa_memory_ordered 1
		.amdhsa_forward_progress 0
		.amdhsa_shared_vgpr_count 0
		.amdhsa_exception_fp_ieee_invalid_op 0
		.amdhsa_exception_fp_denorm_src 0
		.amdhsa_exception_fp_ieee_div_zero 0
		.amdhsa_exception_fp_ieee_overflow 0
		.amdhsa_exception_fp_ieee_underflow 0
		.amdhsa_exception_fp_ieee_inexact 0
		.amdhsa_exception_int_div_zero 0
	.end_amdhsa_kernel
	.section	.text._ZN7rocprim17ROCPRIM_400000_NS6detail17trampoline_kernelINS0_14default_configENS1_36segmented_radix_sort_config_selectorIdlEEZNS1_25segmented_radix_sort_implIS3_Lb0EPKdPdPKlPlN2at6native12_GLOBAL__N_18offset_tEEE10hipError_tPvRmT1_PNSt15iterator_traitsISK_E10value_typeET2_T3_PNSL_ISQ_E10value_typeET4_jRbjT5_SW_jjP12ihipStream_tbEUlT_E2_NS1_11comp_targetILNS1_3genE10ELNS1_11target_archE1200ELNS1_3gpuE4ELNS1_3repE0EEENS1_30default_config_static_selectorELNS0_4arch9wavefront6targetE0EEEvSK_,"axG",@progbits,_ZN7rocprim17ROCPRIM_400000_NS6detail17trampoline_kernelINS0_14default_configENS1_36segmented_radix_sort_config_selectorIdlEEZNS1_25segmented_radix_sort_implIS3_Lb0EPKdPdPKlPlN2at6native12_GLOBAL__N_18offset_tEEE10hipError_tPvRmT1_PNSt15iterator_traitsISK_E10value_typeET2_T3_PNSL_ISQ_E10value_typeET4_jRbjT5_SW_jjP12ihipStream_tbEUlT_E2_NS1_11comp_targetILNS1_3genE10ELNS1_11target_archE1200ELNS1_3gpuE4ELNS1_3repE0EEENS1_30default_config_static_selectorELNS0_4arch9wavefront6targetE0EEEvSK_,comdat
.Lfunc_end1257:
	.size	_ZN7rocprim17ROCPRIM_400000_NS6detail17trampoline_kernelINS0_14default_configENS1_36segmented_radix_sort_config_selectorIdlEEZNS1_25segmented_radix_sort_implIS3_Lb0EPKdPdPKlPlN2at6native12_GLOBAL__N_18offset_tEEE10hipError_tPvRmT1_PNSt15iterator_traitsISK_E10value_typeET2_T3_PNSL_ISQ_E10value_typeET4_jRbjT5_SW_jjP12ihipStream_tbEUlT_E2_NS1_11comp_targetILNS1_3genE10ELNS1_11target_archE1200ELNS1_3gpuE4ELNS1_3repE0EEENS1_30default_config_static_selectorELNS0_4arch9wavefront6targetE0EEEvSK_, .Lfunc_end1257-_ZN7rocprim17ROCPRIM_400000_NS6detail17trampoline_kernelINS0_14default_configENS1_36segmented_radix_sort_config_selectorIdlEEZNS1_25segmented_radix_sort_implIS3_Lb0EPKdPdPKlPlN2at6native12_GLOBAL__N_18offset_tEEE10hipError_tPvRmT1_PNSt15iterator_traitsISK_E10value_typeET2_T3_PNSL_ISQ_E10value_typeET4_jRbjT5_SW_jjP12ihipStream_tbEUlT_E2_NS1_11comp_targetILNS1_3genE10ELNS1_11target_archE1200ELNS1_3gpuE4ELNS1_3repE0EEENS1_30default_config_static_selectorELNS0_4arch9wavefront6targetE0EEEvSK_
                                        ; -- End function
	.section	.AMDGPU.csdata,"",@progbits
; Kernel info:
; codeLenInByte = 0
; NumSgprs: 0
; NumVgprs: 0
; ScratchSize: 0
; MemoryBound: 0
; FloatMode: 240
; IeeeMode: 1
; LDSByteSize: 0 bytes/workgroup (compile time only)
; SGPRBlocks: 0
; VGPRBlocks: 0
; NumSGPRsForWavesPerEU: 1
; NumVGPRsForWavesPerEU: 1
; Occupancy: 16
; WaveLimiterHint : 0
; COMPUTE_PGM_RSRC2:SCRATCH_EN: 0
; COMPUTE_PGM_RSRC2:USER_SGPR: 15
; COMPUTE_PGM_RSRC2:TRAP_HANDLER: 0
; COMPUTE_PGM_RSRC2:TGID_X_EN: 1
; COMPUTE_PGM_RSRC2:TGID_Y_EN: 0
; COMPUTE_PGM_RSRC2:TGID_Z_EN: 0
; COMPUTE_PGM_RSRC2:TIDIG_COMP_CNT: 0
	.section	.text._ZN7rocprim17ROCPRIM_400000_NS6detail17trampoline_kernelINS0_14default_configENS1_36segmented_radix_sort_config_selectorIdlEEZNS1_25segmented_radix_sort_implIS3_Lb0EPKdPdPKlPlN2at6native12_GLOBAL__N_18offset_tEEE10hipError_tPvRmT1_PNSt15iterator_traitsISK_E10value_typeET2_T3_PNSL_ISQ_E10value_typeET4_jRbjT5_SW_jjP12ihipStream_tbEUlT_E2_NS1_11comp_targetILNS1_3genE9ELNS1_11target_archE1100ELNS1_3gpuE3ELNS1_3repE0EEENS1_30default_config_static_selectorELNS0_4arch9wavefront6targetE0EEEvSK_,"axG",@progbits,_ZN7rocprim17ROCPRIM_400000_NS6detail17trampoline_kernelINS0_14default_configENS1_36segmented_radix_sort_config_selectorIdlEEZNS1_25segmented_radix_sort_implIS3_Lb0EPKdPdPKlPlN2at6native12_GLOBAL__N_18offset_tEEE10hipError_tPvRmT1_PNSt15iterator_traitsISK_E10value_typeET2_T3_PNSL_ISQ_E10value_typeET4_jRbjT5_SW_jjP12ihipStream_tbEUlT_E2_NS1_11comp_targetILNS1_3genE9ELNS1_11target_archE1100ELNS1_3gpuE3ELNS1_3repE0EEENS1_30default_config_static_selectorELNS0_4arch9wavefront6targetE0EEEvSK_,comdat
	.globl	_ZN7rocprim17ROCPRIM_400000_NS6detail17trampoline_kernelINS0_14default_configENS1_36segmented_radix_sort_config_selectorIdlEEZNS1_25segmented_radix_sort_implIS3_Lb0EPKdPdPKlPlN2at6native12_GLOBAL__N_18offset_tEEE10hipError_tPvRmT1_PNSt15iterator_traitsISK_E10value_typeET2_T3_PNSL_ISQ_E10value_typeET4_jRbjT5_SW_jjP12ihipStream_tbEUlT_E2_NS1_11comp_targetILNS1_3genE9ELNS1_11target_archE1100ELNS1_3gpuE3ELNS1_3repE0EEENS1_30default_config_static_selectorELNS0_4arch9wavefront6targetE0EEEvSK_ ; -- Begin function _ZN7rocprim17ROCPRIM_400000_NS6detail17trampoline_kernelINS0_14default_configENS1_36segmented_radix_sort_config_selectorIdlEEZNS1_25segmented_radix_sort_implIS3_Lb0EPKdPdPKlPlN2at6native12_GLOBAL__N_18offset_tEEE10hipError_tPvRmT1_PNSt15iterator_traitsISK_E10value_typeET2_T3_PNSL_ISQ_E10value_typeET4_jRbjT5_SW_jjP12ihipStream_tbEUlT_E2_NS1_11comp_targetILNS1_3genE9ELNS1_11target_archE1100ELNS1_3gpuE3ELNS1_3repE0EEENS1_30default_config_static_selectorELNS0_4arch9wavefront6targetE0EEEvSK_
	.p2align	8
	.type	_ZN7rocprim17ROCPRIM_400000_NS6detail17trampoline_kernelINS0_14default_configENS1_36segmented_radix_sort_config_selectorIdlEEZNS1_25segmented_radix_sort_implIS3_Lb0EPKdPdPKlPlN2at6native12_GLOBAL__N_18offset_tEEE10hipError_tPvRmT1_PNSt15iterator_traitsISK_E10value_typeET2_T3_PNSL_ISQ_E10value_typeET4_jRbjT5_SW_jjP12ihipStream_tbEUlT_E2_NS1_11comp_targetILNS1_3genE9ELNS1_11target_archE1100ELNS1_3gpuE3ELNS1_3repE0EEENS1_30default_config_static_selectorELNS0_4arch9wavefront6targetE0EEEvSK_,@function
_ZN7rocprim17ROCPRIM_400000_NS6detail17trampoline_kernelINS0_14default_configENS1_36segmented_radix_sort_config_selectorIdlEEZNS1_25segmented_radix_sort_implIS3_Lb0EPKdPdPKlPlN2at6native12_GLOBAL__N_18offset_tEEE10hipError_tPvRmT1_PNSt15iterator_traitsISK_E10value_typeET2_T3_PNSL_ISQ_E10value_typeET4_jRbjT5_SW_jjP12ihipStream_tbEUlT_E2_NS1_11comp_targetILNS1_3genE9ELNS1_11target_archE1100ELNS1_3gpuE3ELNS1_3repE0EEENS1_30default_config_static_selectorELNS0_4arch9wavefront6targetE0EEEvSK_: ; @_ZN7rocprim17ROCPRIM_400000_NS6detail17trampoline_kernelINS0_14default_configENS1_36segmented_radix_sort_config_selectorIdlEEZNS1_25segmented_radix_sort_implIS3_Lb0EPKdPdPKlPlN2at6native12_GLOBAL__N_18offset_tEEE10hipError_tPvRmT1_PNSt15iterator_traitsISK_E10value_typeET2_T3_PNSL_ISQ_E10value_typeET4_jRbjT5_SW_jjP12ihipStream_tbEUlT_E2_NS1_11comp_targetILNS1_3genE9ELNS1_11target_archE1100ELNS1_3gpuE3ELNS1_3repE0EEENS1_30default_config_static_selectorELNS0_4arch9wavefront6targetE0EEEvSK_
; %bb.0:
	s_load_b128 s[4:7], s[0:1], 0x34
	s_mov_b32 s32, 0
	s_waitcnt lgkmcnt(0)
	s_add_i32 s60, s5, s14
	s_add_i32 s61, s7, s14
	s_mul_i32 s60, s60, s4
	s_mul_i32 s61, s61, s6
	s_delay_alu instid0(SALU_CYCLE_1)
	s_cmp_le_u32 s61, s60
	s_cbranch_scc1 .LBB1258_1195
; %bb.1:
	s_clause 0x3
	s_load_b32 s2, s[0:1], 0x30
	s_load_b128 s[52:55], s[0:1], 0x20
	s_load_b128 s[56:59], s[0:1], 0x44
	s_load_b256 s[44:51], s[0:1], 0x0
	s_waitcnt lgkmcnt(0)
	s_bitcmp1_b32 s2, 0
	s_mov_b32 s2, -1
	s_cselect_b32 s59, -1, 0
	s_sub_i32 s62, s61, s60
	s_delay_alu instid0(SALU_CYCLE_1)
	s_cmpk_lt_u32 s62, 0x1001
	s_cbranch_scc0 .LBB1258_12
; %bb.2:
	s_cmp_lt_u32 s62, 33
	s_cbranch_scc0 .LBB1258_6
; %bb.3:
	s_load_b32 s2, s[0:1], 0x5c
	v_bfe_u32 v1, v0, 10, 10
	v_bfe_u32 v2, v0, 20, 10
	s_mov_b32 s18, exec_lo
	s_waitcnt lgkmcnt(0)
	s_lshr_b32 s3, s2, 16
	s_and_b32 s2, s2, 0xffff
	v_mad_u32_u24 v4, v2, s3, v1
	v_and_b32_e32 v1, 0x3ff, v0
	s_delay_alu instid0(VALU_DEP_1) | instskip(NEXT) | instid1(VALU_DEP_1)
	v_mad_u64_u32 v[2:3], null, v4, s2, v[1:2]
	v_cmpx_gt_u32_e32 8, v2
	s_cbranch_execz .LBB1258_5
; %bb.4:
	s_bitcmp1_b32 s56, 0
	v_mov_b32_e32 v31, v0
	s_cselect_b32 s2, -1, 0
	v_dual_mov_b32 v40, v0 :: v_dual_mov_b32 v1, s45
	s_xor_b32 s4, s59, s2
	s_mov_b64 s[2:3], src_shared_base
	s_xor_b32 s2, s4, -1
	v_mov_b32_e32 v0, s44
	v_cndmask_b32_e64 v12, 0, 1, s2
	v_dual_mov_b32 v2, s46 :: v_dual_mov_b32 v3, s47
	v_dual_mov_b32 v4, s48 :: v_dual_mov_b32 v5, s49
	;; [unrolled: 1-line block ×7, first 2 shown]
	s_add_u32 s8, s0, 0x50
	s_addc_u32 s9, s1, 0
	s_mov_b32 s12, s14
	s_mov_b32 s13, s15
	s_getpc_b64 s[4:5]
	s_add_u32 s4, s4, _ZN7rocprim17ROCPRIM_400000_NS6detail26segmented_warp_sort_helperINS1_20WarpSortHelperConfigILj8ELj4ELj256EEEdlLi256ELb0EvE4sortIPKdPdPKlPlEEvT_S9_T0_T1_SC_T2_bjjjjRNS5_12storage_typeE@rel32@lo+4
	s_addc_u32 s5, s5, _ZN7rocprim17ROCPRIM_400000_NS6detail26segmented_warp_sort_helperINS1_20WarpSortHelperConfigILj8ELj4ELj256EEEdlLi256ELb0EvE4sortIPKdPdPKlPlEEvT_S9_T0_T1_SC_T2_bjjjjRNS5_12storage_typeE@rel32@hi+12
	s_mov_b64 s[16:17], s[0:1]
	s_mov_b32 s20, s15
	s_mov_b32 s19, s14
	s_swappc_b64 s[30:31], s[4:5]
	v_mov_b32_e32 v0, v40
	s_mov_b32 s14, s19
	s_mov_b32 s15, s20
	s_mov_b64 s[0:1], s[16:17]
.LBB1258_5:
	s_or_b32 exec_lo, exec_lo, s18
	s_mov_b32 s2, 0
.LBB1258_6:
	s_delay_alu instid0(SALU_CYCLE_1)
	s_and_not1_b32 vcc_lo, exec_lo, s2
	s_cbranch_vccnz .LBB1258_11
; %bb.7:
	v_cndmask_b32_e64 v1, 0, 1, s59
	s_and_b32 s2, s56, 1
	s_delay_alu instid0(VALU_DEP_1) | instid1(SALU_CYCLE_1)
	v_cmp_ne_u32_e32 vcc_lo, s2, v1
	s_mov_b32 s2, -1
	s_cbranch_vccnz .LBB1258_9
; %bb.8:
	s_mov_b64 s[2:3], src_shared_base
	v_mov_b32_e32 v31, v0
	v_dual_mov_b32 v40, v0 :: v_dual_mov_b32 v1, s45
	v_mov_b32_e32 v0, s44
	v_dual_mov_b32 v2, s48 :: v_dual_mov_b32 v3, s49
	v_dual_mov_b32 v4, s50 :: v_dual_mov_b32 v5, s51
	;; [unrolled: 1-line block ×6, first 2 shown]
	s_add_u32 s8, s0, 0x50
	s_addc_u32 s9, s1, 0
	s_mov_b32 s12, s14
	s_mov_b32 s13, s15
	s_getpc_b64 s[4:5]
	s_add_u32 s4, s4, _ZN7rocprim17ROCPRIM_400000_NS6detail40segmented_radix_sort_single_block_helperIdlLj256ELj16ELb0EE4sortIPKdPdPKlPlEEbT_T0_T1_T2_jjjjRNS3_12storage_typeE@rel32@lo+4
	s_addc_u32 s5, s5, _ZN7rocprim17ROCPRIM_400000_NS6detail40segmented_radix_sort_single_block_helperIdlLj256ELj16ELb0EE4sortIPKdPdPKlPlEEbT_T0_T1_T2_jjjjRNS3_12storage_typeE@rel32@hi+12
	s_mov_b64 s[34:35], s[0:1]
	s_mov_b32 s29, s15
	s_mov_b32 s33, s14
	s_swappc_b64 s[30:31], s[4:5]
	v_mov_b32_e32 v0, v40
	s_mov_b32 s14, s33
	s_mov_b32 s15, s29
	s_mov_b64 s[0:1], s[34:35]
	s_mov_b32 s2, 0
.LBB1258_9:
	s_delay_alu instid0(SALU_CYCLE_1)
	s_and_not1_b32 vcc_lo, exec_lo, s2
	s_cbranch_vccnz .LBB1258_11
; %bb.10:
	s_mov_b64 s[2:3], src_shared_base
	v_mov_b32_e32 v31, v0
	v_dual_mov_b32 v40, v0 :: v_dual_mov_b32 v1, s45
	v_mov_b32_e32 v0, s44
	v_dual_mov_b32 v2, s46 :: v_dual_mov_b32 v3, s47
	v_dual_mov_b32 v4, s50 :: v_dual_mov_b32 v5, s51
	v_dual_mov_b32 v6, s52 :: v_dual_mov_b32 v7, s53
	v_dual_mov_b32 v8, s60 :: v_dual_mov_b32 v9, s61
	v_dual_mov_b32 v10, s57 :: v_dual_mov_b32 v11, s58
	v_dual_mov_b32 v12, 0 :: v_dual_mov_b32 v13, s3
	s_add_u32 s8, s0, 0x50
	s_addc_u32 s9, s1, 0
	s_mov_b32 s12, s14
	s_mov_b32 s13, s15
	s_getpc_b64 s[4:5]
	s_add_u32 s4, s4, _ZN7rocprim17ROCPRIM_400000_NS6detail40segmented_radix_sort_single_block_helperIdlLj256ELj16ELb0EE4sortIPKdPdPKlPlEEbT_T0_T1_T2_jjjjRNS3_12storage_typeE@rel32@lo+4
	s_addc_u32 s5, s5, _ZN7rocprim17ROCPRIM_400000_NS6detail40segmented_radix_sort_single_block_helperIdlLj256ELj16ELb0EE4sortIPKdPdPKlPlEEbT_T0_T1_T2_jjjjRNS3_12storage_typeE@rel32@hi+12
	s_mov_b64 s[34:35], s[0:1]
	s_mov_b32 s33, s15
	s_mov_b32 s29, s14
	s_swappc_b64 s[30:31], s[4:5]
	v_mov_b32_e32 v0, v40
	s_mov_b32 s14, s29
	s_mov_b32 s15, s33
	s_mov_b64 s[0:1], s[34:35]
.LBB1258_11:
	s_mov_b32 s2, 0
.LBB1258_12:
	s_delay_alu instid0(SALU_CYCLE_1)
	s_and_not1_b32 vcc_lo, exec_lo, s2
	s_cbranch_vccnz .LBB1258_1195
; %bb.13:
	s_cmp_ge_u32 s57, s58
	s_cbranch_scc1 .LBB1258_1195
; %bb.14:
	v_and_b32_e32 v1, 0x3ff, v0
	v_mov_b32_e32 v3, 0
	v_bfe_u32 v101, v0, 20, 10
	s_add_u32 s36, s0, 0x50
	v_bfe_u32 v0, v0, 10, 10
	v_lshlrev_b32_e32 v76, 2, v1
	v_lshrrev_b32_e32 v4, 3, v1
	v_lshlrev_b32_e32 v6, 5, v1
	v_dual_mov_b32 v123, 1 :: v_dual_lshlrev_b32 v2, 3, v1
	s_delay_alu instid0(VALU_DEP_4) | instskip(NEXT) | instid1(VALU_DEP_4)
	v_mad_u32_u24 v96, v1, 12, v76
	v_and_b32_e32 v94, 28, v4
	v_lshlrev_b32_e32 v4, 4, v1
	v_or_b32_e32 v5, 31, v1
	v_or_b32_e32 v78, 0x200, v1
	v_mad_u32_u24 v102, v1, 20, v96
	v_or_b32_e32 v79, 0x300, v1
	v_and_b32_e32 v100, 0xe00, v4
	v_cmp_eq_u32_e64 s3, v5, v1
	v_mul_u32_u24_e32 v4, 9, v1
	v_sub_nc_u32_e32 v104, v102, v6
	v_add_nc_u32_e32 v5, 1, v1
	v_lshlrev_b32_e32 v6, 3, v100
	v_or_b32_e32 v83, 0x400, v1
	v_or_b32_e32 v84, 0x500, v1
	;; [unrolled: 1-line block ×4, first 2 shown]
	v_add_co_u32 v106, s7, s54, v6
	s_delay_alu instid0(VALU_DEP_1) | instskip(SKIP_1) | instid1(VALU_DEP_1)
	v_add_co_ci_u32_e64 v107, null, s55, 0, s7
	v_add_co_u32 v108, s7, s48, v6
	v_add_co_ci_u32_e64 v109, null, s49, 0, s7
	v_add_co_u32 v111, s7, s46, v2
	s_delay_alu instid0(VALU_DEP_1) | instskip(SKIP_1) | instid1(VALU_DEP_1)
	v_add_co_ci_u32_e64 v112, null, s47, 0, s7
	v_add_co_u32 v113, s7, s52, v6
	v_add_co_ci_u32_e64 v114, null, s53, 0, s7
	v_add_co_u32 v115, s7, s46, v6
	s_delay_alu instid0(VALU_DEP_1)
	v_add_co_ci_u32_e64 v116, null, s47, 0, s7
	v_add_co_u32 v117, s7, s44, v2
	v_or_b32_e32 v87, 0x800, v1
	v_or_b32_e32 v88, 0x900, v1
	;; [unrolled: 1-line block ×5, first 2 shown]
	v_lshl_add_u32 v103, v4, 2, 0x420
	v_mul_u32_u24_e32 v4, 9, v5
	v_add_co_ci_u32_e64 v118, null, s45, 0, s7
	v_add_co_u32 v119, s7, s50, v6
	v_add_co_u32 v81, s2, s48, v2
	v_add_co_ci_u32_e64 v120, null, s51, 0, s7
	v_add_co_u32 v121, s7, s44, v6
	v_or_b32_e32 v77, 0x100, v1
	v_and_b32_e32 v80, 3, v1
	v_add_co_ci_u32_e64 v82, null, s49, 0, s2
	v_or_b32_e32 v92, 0xd00, v1
	v_or_b32_e32 v93, 0xe00, v1
	;; [unrolled: 1-line block ×3, first 2 shown]
	v_cmp_gt_u32_e64 s2, 0x100, v1
	v_or_b32_e32 v97, 0x8400, v94
	v_cmp_gt_u32_e64 s4, 8, v1
	v_add_nc_u32_e32 v98, 0x8400, v76
	v_cmp_lt_u32_e64 s5, 31, v1
	v_add_nc_u32_e32 v99, 0x83fc, v94
	v_cmp_eq_u32_e64 s0, 0, v1
	v_cmp_ne_u32_e64 s6, 0x100, v5
	v_lshlrev_b32_e32 v105, 2, v4
	v_add_nc_u32_e32 v110, 0x400, v2
	v_add_co_ci_u32_e64 v122, null, s45, 0, s7
	v_lshlrev_b32_e32 v124, 3, v1
	v_lshlrev_b32_e32 v125, 3, v78
	;; [unrolled: 1-line block ×12, first 2 shown]
	v_mbcnt_lo_u32_b32 v136, -1, 0
	s_mov_b32 s38, -1
	s_mov_b32 s35, 0
	s_brev_b32 s39, -2
	s_addc_u32 s37, s1, 0
	s_mov_b32 s40, s57
	s_mov_b32 s41, s57
	s_branch .LBB1258_17
.LBB1258_15:                            ;   in Loop: Header=BB1258_17 Depth=1
	s_waitcnt lgkmcnt(0)
	s_barrier
.LBB1258_16:                            ;   in Loop: Header=BB1258_17 Depth=1
	s_add_i32 s41, s41, 8
	buffer_gl0_inv
	s_cmp_ge_u32 s41, s58
	s_cbranch_scc1 .LBB1258_1195
.LBB1258_17:                            ; =>This Loop Header: Depth=1
                                        ;     Child Loop BB1258_21 Depth 2
                                        ;     Child Loop BB1258_103 Depth 2
	;; [unrolled: 1-line block ×8, first 2 shown]
	s_sub_i32 s1, s58, s41
	s_xor_b32 s59, s59, -1
	s_min_u32 s42, s1, 8
	s_cmp_lg_u32 s41, s57
	s_mov_b32 s1, s38
	ds_store_2addr_stride64_b32 v76, v3, v3 offset1:4
	ds_store_2addr_stride64_b32 v76, v3, v3 offset0:8 offset1:12
	s_waitcnt lgkmcnt(0)
	s_waitcnt_vscnt null, 0x0
	s_cbranch_scc0 .LBB1258_607
; %bb.18:                               ;   in Loop: Header=BB1258_17 Depth=1
	s_lshl_b32 s1, -1, s42
	s_and_b32 vcc_lo, exec_lo, s59
	s_not_b32 s43, s1
	s_mov_b32 s1, -1
	s_cbranch_vccz .LBB1258_312
; %bb.19:                               ;   in Loop: Header=BB1258_17 Depth=1
	s_mov_b32 s1, s62
	s_mov_b32 s34, s60
	s_barrier
	buffer_gl0_inv
                                        ; implicit-def: $vgpr34_vgpr35
                                        ; implicit-def: $vgpr4_vgpr5
                                        ; implicit-def: $vgpr6_vgpr7
                                        ; implicit-def: $vgpr8_vgpr9
                                        ; implicit-def: $vgpr10_vgpr11
                                        ; implicit-def: $vgpr12_vgpr13
                                        ; implicit-def: $vgpr14_vgpr15
                                        ; implicit-def: $vgpr16_vgpr17
                                        ; implicit-def: $vgpr18_vgpr19
                                        ; implicit-def: $vgpr20_vgpr21
                                        ; implicit-def: $vgpr22_vgpr23
                                        ; implicit-def: $vgpr24_vgpr25
                                        ; implicit-def: $vgpr26_vgpr27
                                        ; implicit-def: $vgpr28_vgpr29
                                        ; implicit-def: $vgpr30_vgpr31
                                        ; implicit-def: $vgpr32_vgpr33
	s_branch .LBB1258_21
.LBB1258_20:                            ;   in Loop: Header=BB1258_21 Depth=2
	s_or_b32 exec_lo, exec_lo, s8
	s_addk_i32 s1, 0xf000
	s_cmp_ge_u32 s7, s61
	s_mov_b32 s34, s7
	s_cbranch_scc1 .LBB1258_91
.LBB1258_21:                            ;   Parent Loop BB1258_17 Depth=1
                                        ; =>  This Inner Loop Header: Depth=2
	s_add_i32 s7, s34, 0x1000
	s_delay_alu instid0(SALU_CYCLE_1)
	s_cmp_gt_u32 s7, s61
	s_cbranch_scc1 .LBB1258_24
; %bb.22:                               ;   in Loop: Header=BB1258_21 Depth=2
	s_mov_b32 s9, 0
	s_mov_b32 s8, s34
	s_delay_alu instid0(SALU_CYCLE_1) | instskip(NEXT) | instid1(SALU_CYCLE_1)
	s_lshl_b64 s[10:11], s[8:9], 3
	v_add_co_u32 v36, vcc_lo, v81, s10
	v_add_co_ci_u32_e32 v37, vcc_lo, s11, v82, vcc_lo
	s_movk_i32 s11, 0x1000
	s_waitcnt vmcnt(12)
	s_delay_alu instid0(VALU_DEP_2) | instskip(NEXT) | instid1(VALU_DEP_2)
	v_add_co_u32 v42, vcc_lo, 0x1000, v36
	v_add_co_ci_u32_e32 v43, vcc_lo, 0, v37, vcc_lo
	s_waitcnt vmcnt(11)
	v_add_co_u32 v44, vcc_lo, 0x2000, v36
	v_add_co_ci_u32_e32 v45, vcc_lo, 0, v37, vcc_lo
	s_waitcnt vmcnt(1)
	v_add_co_u32 v50, vcc_lo, v36, 0x2000
	v_add_co_ci_u32_e32 v51, vcc_lo, 0, v37, vcc_lo
	v_add_co_u32 v52, vcc_lo, v36, 0x4000
	v_add_co_ci_u32_e32 v53, vcc_lo, 0, v37, vcc_lo
	;; [unrolled: 2-line block ×7, first 2 shown]
	s_waitcnt vmcnt(0)
	v_add_co_u32 v66, vcc_lo, 0x7000, v36
	v_add_co_ci_u32_e32 v67, vcc_lo, 0, v37, vcc_lo
	s_clause 0xe
	global_load_b64 v[38:39], v[36:37], off
	global_load_b64 v[40:41], v[36:37], off offset:2048
	global_load_b64 v[42:43], v[42:43], off offset:2048
	;; [unrolled: 1-line block ×3, first 2 shown]
	global_load_b64 v[46:47], v[50:51], off
	global_load_b64 v[48:49], v[52:53], off offset:-4096
	global_load_b64 v[52:53], v[52:53], off
	global_load_b64 v[56:57], v[60:61], off offset:-4096
	global_load_b64 v[60:61], v[60:61], off
	global_load_b64 v[54:55], v[54:55], off offset:2048
	global_load_b64 v[58:59], v[58:59], off offset:2048
	;; [unrolled: 1-line block ×4, first 2 shown]
	global_load_b64 v[50:51], v[50:51], off offset:-4096
	global_load_b64 v[66:67], v[66:67], off
	v_add_co_u32 v36, vcc_lo, 0x7800, v36
	v_add_co_ci_u32_e32 v37, vcc_lo, 0, v37, vcc_lo
	s_mov_b32 s10, -1
	s_cbranch_execz .LBB1258_25
; %bb.23:                               ;   in Loop: Header=BB1258_21 Depth=2
                                        ; implicit-def: $vgpr32_vgpr33
                                        ; implicit-def: $vgpr30_vgpr31
                                        ; implicit-def: $vgpr28_vgpr29
                                        ; implicit-def: $vgpr26_vgpr27
                                        ; implicit-def: $vgpr24_vgpr25
                                        ; implicit-def: $vgpr22_vgpr23
                                        ; implicit-def: $vgpr20_vgpr21
                                        ; implicit-def: $vgpr18_vgpr19
                                        ; implicit-def: $vgpr16_vgpr17
                                        ; implicit-def: $vgpr14_vgpr15
                                        ; implicit-def: $vgpr12_vgpr13
                                        ; implicit-def: $vgpr10_vgpr11
                                        ; implicit-def: $vgpr8_vgpr9
                                        ; implicit-def: $vgpr6_vgpr7
                                        ; implicit-def: $vgpr4_vgpr5
                                        ; implicit-def: $vgpr34_vgpr35
	v_mov_b32_e32 v2, s1
	s_and_saveexec_b32 s8, s10
	s_cbranch_execnz .LBB1258_44
	s_branch .LBB1258_45
.LBB1258_24:                            ;   in Loop: Header=BB1258_21 Depth=2
	s_mov_b32 s10, 0
                                        ; implicit-def: $sgpr11
                                        ; implicit-def: $vgpr38_vgpr39
                                        ; implicit-def: $vgpr40_vgpr41
                                        ; implicit-def: $vgpr50_vgpr51
                                        ; implicit-def: $vgpr42_vgpr43
                                        ; implicit-def: $vgpr46_vgpr47
                                        ; implicit-def: $vgpr44_vgpr45
                                        ; implicit-def: $vgpr48_vgpr49
                                        ; implicit-def: $vgpr54_vgpr55
                                        ; implicit-def: $vgpr52_vgpr53
                                        ; implicit-def: $vgpr58_vgpr59
                                        ; implicit-def: $vgpr56_vgpr57
                                        ; implicit-def: $vgpr62_vgpr63
                                        ; implicit-def: $vgpr60_vgpr61
                                        ; implicit-def: $vgpr64_vgpr65
                                        ; implicit-def: $vgpr66_vgpr67
                                        ; implicit-def: $vgpr36_vgpr37
.LBB1258_25:                            ;   in Loop: Header=BB1258_21 Depth=2
	s_lshl_b64 s[8:9], s[34:35], 3
	s_mov_b32 s11, exec_lo
	s_add_u32 s8, s48, s8
	s_addc_u32 s9, s49, s9
	v_cmpx_gt_u32_e64 s1, v1
	s_cbranch_execz .LBB1258_77
; %bb.26:                               ;   in Loop: Header=BB1258_21 Depth=2
	global_load_b64 v[32:33], v124, s[8:9]
	s_or_b32 exec_lo, exec_lo, s11
	s_delay_alu instid0(SALU_CYCLE_1)
	s_mov_b32 s11, exec_lo
	v_cmpx_gt_u32_e64 s1, v77
	s_cbranch_execnz .LBB1258_78
.LBB1258_27:                            ;   in Loop: Header=BB1258_21 Depth=2
	s_or_b32 exec_lo, exec_lo, s11
	s_delay_alu instid0(SALU_CYCLE_1)
	s_mov_b32 s11, exec_lo
	v_cmpx_gt_u32_e64 s1, v78
	s_cbranch_execz .LBB1258_79
.LBB1258_28:                            ;   in Loop: Header=BB1258_21 Depth=2
	global_load_b64 v[28:29], v125, s[8:9]
	s_or_b32 exec_lo, exec_lo, s11
	s_delay_alu instid0(SALU_CYCLE_1)
	s_mov_b32 s11, exec_lo
	v_cmpx_gt_u32_e64 s1, v79
	s_cbranch_execnz .LBB1258_80
.LBB1258_29:                            ;   in Loop: Header=BB1258_21 Depth=2
	s_or_b32 exec_lo, exec_lo, s11
	s_delay_alu instid0(SALU_CYCLE_1)
	s_mov_b32 s11, exec_lo
	v_cmpx_gt_u32_e64 s1, v83
	s_cbranch_execz .LBB1258_81
.LBB1258_30:                            ;   in Loop: Header=BB1258_21 Depth=2
	global_load_b64 v[24:25], v127, s[8:9]
	s_or_b32 exec_lo, exec_lo, s11
	s_delay_alu instid0(SALU_CYCLE_1)
	s_mov_b32 s11, exec_lo
	v_cmpx_gt_u32_e64 s1, v84
	s_cbranch_execnz .LBB1258_82
.LBB1258_31:                            ;   in Loop: Header=BB1258_21 Depth=2
	s_or_b32 exec_lo, exec_lo, s11
	s_delay_alu instid0(SALU_CYCLE_1)
	s_mov_b32 s11, exec_lo
	v_cmpx_gt_u32_e64 s1, v85
	s_cbranch_execz .LBB1258_83
.LBB1258_32:                            ;   in Loop: Header=BB1258_21 Depth=2
	global_load_b64 v[20:21], v129, s[8:9]
	s_or_b32 exec_lo, exec_lo, s11
	s_delay_alu instid0(SALU_CYCLE_1)
	s_mov_b32 s11, exec_lo
	v_cmpx_gt_u32_e64 s1, v86
	s_cbranch_execnz .LBB1258_84
.LBB1258_33:                            ;   in Loop: Header=BB1258_21 Depth=2
	s_or_b32 exec_lo, exec_lo, s11
	s_delay_alu instid0(SALU_CYCLE_1)
	s_mov_b32 s11, exec_lo
	v_cmpx_gt_u32_e64 s1, v87
	s_cbranch_execz .LBB1258_85
.LBB1258_34:                            ;   in Loop: Header=BB1258_21 Depth=2
	global_load_b64 v[16:17], v131, s[8:9]
	s_or_b32 exec_lo, exec_lo, s11
	s_delay_alu instid0(SALU_CYCLE_1)
	s_mov_b32 s11, exec_lo
	v_cmpx_gt_u32_e64 s1, v88
	s_cbranch_execnz .LBB1258_86
.LBB1258_35:                            ;   in Loop: Header=BB1258_21 Depth=2
	s_or_b32 exec_lo, exec_lo, s11
	s_delay_alu instid0(SALU_CYCLE_1)
	s_mov_b32 s11, exec_lo
	v_cmpx_gt_u32_e64 s1, v89
	s_cbranch_execz .LBB1258_87
.LBB1258_36:                            ;   in Loop: Header=BB1258_21 Depth=2
	global_load_b64 v[12:13], v133, s[8:9]
	s_or_b32 exec_lo, exec_lo, s11
	s_delay_alu instid0(SALU_CYCLE_1)
	s_mov_b32 s11, exec_lo
	v_cmpx_gt_u32_e64 s1, v90
	s_cbranch_execnz .LBB1258_88
.LBB1258_37:                            ;   in Loop: Header=BB1258_21 Depth=2
	s_or_b32 exec_lo, exec_lo, s11
	s_delay_alu instid0(SALU_CYCLE_1)
	s_mov_b32 s11, exec_lo
	v_cmpx_gt_u32_e64 s1, v91
	s_cbranch_execz .LBB1258_89
.LBB1258_38:                            ;   in Loop: Header=BB1258_21 Depth=2
	global_load_b64 v[8:9], v135, s[8:9]
	s_or_b32 exec_lo, exec_lo, s11
	s_delay_alu instid0(SALU_CYCLE_1)
	s_mov_b32 s11, exec_lo
	v_cmpx_gt_u32_e64 s1, v92
	s_cbranch_execnz .LBB1258_90
.LBB1258_39:                            ;   in Loop: Header=BB1258_21 Depth=2
	s_or_b32 exec_lo, exec_lo, s11
	s_delay_alu instid0(SALU_CYCLE_1)
	s_mov_b32 s11, exec_lo
	v_cmpx_gt_u32_e64 s1, v93
	s_cbranch_execz .LBB1258_41
.LBB1258_40:                            ;   in Loop: Header=BB1258_21 Depth=2
	v_lshlrev_b32_e32 v2, 3, v93
	global_load_b64 v[4:5], v2, s[8:9]
.LBB1258_41:                            ;   in Loop: Header=BB1258_21 Depth=2
	s_or_b32 exec_lo, exec_lo, s11
	s_delay_alu instid0(SALU_CYCLE_1)
	s_mov_b32 s12, exec_lo
                                        ; implicit-def: $sgpr11
                                        ; implicit-def: $vgpr36_vgpr37
	v_cmpx_gt_u32_e64 s1, v95
; %bb.42:                               ;   in Loop: Header=BB1258_21 Depth=2
	v_lshlrev_b32_e32 v2, 3, v95
	s_sub_i32 s11, s61, s34
	s_or_b32 s10, s10, exec_lo
                                        ; implicit-def: $vgpr34_vgpr35
	s_delay_alu instid0(VALU_DEP_1) | instskip(NEXT) | instid1(VALU_DEP_1)
	v_add_co_u32 v36, s8, s8, v2
	v_add_co_ci_u32_e64 v37, null, s9, 0, s8
; %bb.43:                               ;   in Loop: Header=BB1258_21 Depth=2
	s_or_b32 exec_lo, exec_lo, s12
	s_waitcnt vmcnt(0)
	v_dual_mov_b32 v39, v33 :: v_dual_mov_b32 v38, v32
	v_dual_mov_b32 v41, v31 :: v_dual_mov_b32 v40, v30
	;; [unrolled: 1-line block ×15, first 2 shown]
	v_mov_b32_e32 v2, s1
	s_and_saveexec_b32 s8, s10
	s_cbranch_execz .LBB1258_45
.LBB1258_44:                            ;   in Loop: Header=BB1258_21 Depth=2
	global_load_b64 v[34:35], v[36:37], off
	s_waitcnt vmcnt(1)
	v_mov_b32_e32 v4, v66
	v_mov_b32_e32 v6, v64
	;; [unrolled: 1-line block ×14, first 2 shown]
	v_dual_mov_b32 v32, v38 :: v_dual_mov_b32 v33, v39
	v_dual_mov_b32 v2, s11 :: v_dual_mov_b32 v5, v67
	v_mov_b32_e32 v7, v65
	v_mov_b32_e32 v9, v61
	;; [unrolled: 1-line block ×13, first 2 shown]
.LBB1258_45:                            ;   in Loop: Header=BB1258_21 Depth=2
	s_or_b32 exec_lo, exec_lo, s8
	s_delay_alu instid0(SALU_CYCLE_1)
	s_mov_b32 s8, exec_lo
	v_cmpx_lt_u32_e64 v1, v2
	s_cbranch_execz .LBB1258_61
; %bb.46:                               ;   in Loop: Header=BB1258_21 Depth=2
	v_cmp_lt_i64_e32 vcc_lo, -1, v[32:33]
	s_waitcnt vmcnt(14)
	v_ashrrev_i32_e32 v38, 31, v33
	v_cndmask_b32_e64 v36, -1, 0x80000000, vcc_lo
	s_delay_alu instid0(VALU_DEP_1) | instskip(NEXT) | instid1(VALU_DEP_3)
	v_xor_b32_e32 v37, v36, v33
	v_xor_b32_e32 v36, v38, v32
	s_delay_alu instid0(VALU_DEP_1) | instskip(SKIP_2) | instid1(VALU_DEP_1)
	v_cmp_ne_u64_e32 vcc_lo, s[38:39], v[36:37]
	v_cndmask_b32_e32 v37, 0x80000000, v37, vcc_lo
	v_cndmask_b32_e32 v36, 0, v36, vcc_lo
	v_lshrrev_b64 v[36:37], s41, v[36:37]
	v_lshlrev_b32_e32 v37, 2, v80
	s_delay_alu instid0(VALU_DEP_2) | instskip(NEXT) | instid1(VALU_DEP_1)
	v_and_b32_e32 v36, s43, v36
	v_lshl_or_b32 v36, v36, 4, v37
	ds_add_u32 v36, v123
	s_or_b32 exec_lo, exec_lo, s8
	s_delay_alu instid0(SALU_CYCLE_1)
	s_mov_b32 s8, exec_lo
	v_cmpx_lt_u32_e64 v77, v2
	s_cbranch_execnz .LBB1258_62
.LBB1258_47:                            ;   in Loop: Header=BB1258_21 Depth=2
	s_or_b32 exec_lo, exec_lo, s8
	s_delay_alu instid0(SALU_CYCLE_1)
	s_mov_b32 s8, exec_lo
	v_cmpx_lt_u32_e64 v78, v2
	s_cbranch_execz .LBB1258_63
.LBB1258_48:                            ;   in Loop: Header=BB1258_21 Depth=2
	v_cmp_lt_i64_e32 vcc_lo, -1, v[28:29]
	s_waitcnt vmcnt(14)
	v_ashrrev_i32_e32 v38, 31, v29
	v_cndmask_b32_e64 v36, -1, 0x80000000, vcc_lo
	s_delay_alu instid0(VALU_DEP_1) | instskip(NEXT) | instid1(VALU_DEP_3)
	v_xor_b32_e32 v37, v36, v29
	v_xor_b32_e32 v36, v38, v28
	s_delay_alu instid0(VALU_DEP_1) | instskip(SKIP_2) | instid1(VALU_DEP_1)
	v_cmp_ne_u64_e32 vcc_lo, s[38:39], v[36:37]
	v_cndmask_b32_e32 v37, 0x80000000, v37, vcc_lo
	v_cndmask_b32_e32 v36, 0, v36, vcc_lo
	v_lshrrev_b64 v[36:37], s41, v[36:37]
	v_lshlrev_b32_e32 v37, 2, v80
	s_delay_alu instid0(VALU_DEP_2) | instskip(NEXT) | instid1(VALU_DEP_1)
	v_and_b32_e32 v36, s43, v36
	v_lshl_or_b32 v36, v36, 4, v37
	ds_add_u32 v36, v123
	s_or_b32 exec_lo, exec_lo, s8
	s_delay_alu instid0(SALU_CYCLE_1)
	s_mov_b32 s8, exec_lo
	v_cmpx_lt_u32_e64 v79, v2
	s_cbranch_execnz .LBB1258_64
.LBB1258_49:                            ;   in Loop: Header=BB1258_21 Depth=2
	s_or_b32 exec_lo, exec_lo, s8
	s_delay_alu instid0(SALU_CYCLE_1)
	s_mov_b32 s8, exec_lo
	v_cmpx_lt_u32_e64 v83, v2
	s_cbranch_execz .LBB1258_65
.LBB1258_50:                            ;   in Loop: Header=BB1258_21 Depth=2
	v_cmp_lt_i64_e32 vcc_lo, -1, v[24:25]
	s_waitcnt vmcnt(14)
	v_ashrrev_i32_e32 v38, 31, v25
	v_cndmask_b32_e64 v36, -1, 0x80000000, vcc_lo
	s_delay_alu instid0(VALU_DEP_1) | instskip(NEXT) | instid1(VALU_DEP_3)
	v_xor_b32_e32 v37, v36, v25
	v_xor_b32_e32 v36, v38, v24
	s_delay_alu instid0(VALU_DEP_1) | instskip(SKIP_2) | instid1(VALU_DEP_1)
	v_cmp_ne_u64_e32 vcc_lo, s[38:39], v[36:37]
	v_cndmask_b32_e32 v37, 0x80000000, v37, vcc_lo
	v_cndmask_b32_e32 v36, 0, v36, vcc_lo
	v_lshrrev_b64 v[36:37], s41, v[36:37]
	v_lshlrev_b32_e32 v37, 2, v80
	s_delay_alu instid0(VALU_DEP_2) | instskip(NEXT) | instid1(VALU_DEP_1)
	v_and_b32_e32 v36, s43, v36
	v_lshl_or_b32 v36, v36, 4, v37
	ds_add_u32 v36, v123
	s_or_b32 exec_lo, exec_lo, s8
	s_delay_alu instid0(SALU_CYCLE_1)
	s_mov_b32 s8, exec_lo
	v_cmpx_lt_u32_e64 v84, v2
	s_cbranch_execnz .LBB1258_66
.LBB1258_51:                            ;   in Loop: Header=BB1258_21 Depth=2
	s_or_b32 exec_lo, exec_lo, s8
	s_delay_alu instid0(SALU_CYCLE_1)
	s_mov_b32 s8, exec_lo
	v_cmpx_lt_u32_e64 v85, v2
	s_cbranch_execz .LBB1258_67
.LBB1258_52:                            ;   in Loop: Header=BB1258_21 Depth=2
	v_cmp_lt_i64_e32 vcc_lo, -1, v[20:21]
	s_waitcnt vmcnt(14)
	v_ashrrev_i32_e32 v38, 31, v21
	v_cndmask_b32_e64 v36, -1, 0x80000000, vcc_lo
	s_delay_alu instid0(VALU_DEP_1) | instskip(NEXT) | instid1(VALU_DEP_3)
	v_xor_b32_e32 v37, v36, v21
	v_xor_b32_e32 v36, v38, v20
	s_delay_alu instid0(VALU_DEP_1) | instskip(SKIP_2) | instid1(VALU_DEP_1)
	v_cmp_ne_u64_e32 vcc_lo, s[38:39], v[36:37]
	v_cndmask_b32_e32 v37, 0x80000000, v37, vcc_lo
	v_cndmask_b32_e32 v36, 0, v36, vcc_lo
	v_lshrrev_b64 v[36:37], s41, v[36:37]
	v_lshlrev_b32_e32 v37, 2, v80
	s_delay_alu instid0(VALU_DEP_2) | instskip(NEXT) | instid1(VALU_DEP_1)
	v_and_b32_e32 v36, s43, v36
	v_lshl_or_b32 v36, v36, 4, v37
	ds_add_u32 v36, v123
	s_or_b32 exec_lo, exec_lo, s8
	s_delay_alu instid0(SALU_CYCLE_1)
	s_mov_b32 s8, exec_lo
	v_cmpx_lt_u32_e64 v86, v2
	s_cbranch_execnz .LBB1258_68
.LBB1258_53:                            ;   in Loop: Header=BB1258_21 Depth=2
	s_or_b32 exec_lo, exec_lo, s8
	s_delay_alu instid0(SALU_CYCLE_1)
	s_mov_b32 s8, exec_lo
	v_cmpx_lt_u32_e64 v87, v2
	s_cbranch_execz .LBB1258_69
.LBB1258_54:                            ;   in Loop: Header=BB1258_21 Depth=2
	v_cmp_lt_i64_e32 vcc_lo, -1, v[16:17]
	s_waitcnt vmcnt(14)
	v_ashrrev_i32_e32 v38, 31, v17
	v_cndmask_b32_e64 v36, -1, 0x80000000, vcc_lo
	s_delay_alu instid0(VALU_DEP_1) | instskip(NEXT) | instid1(VALU_DEP_3)
	v_xor_b32_e32 v37, v36, v17
	v_xor_b32_e32 v36, v38, v16
	s_delay_alu instid0(VALU_DEP_1) | instskip(SKIP_2) | instid1(VALU_DEP_1)
	v_cmp_ne_u64_e32 vcc_lo, s[38:39], v[36:37]
	v_cndmask_b32_e32 v37, 0x80000000, v37, vcc_lo
	v_cndmask_b32_e32 v36, 0, v36, vcc_lo
	v_lshrrev_b64 v[36:37], s41, v[36:37]
	v_lshlrev_b32_e32 v37, 2, v80
	s_delay_alu instid0(VALU_DEP_2) | instskip(NEXT) | instid1(VALU_DEP_1)
	v_and_b32_e32 v36, s43, v36
	v_lshl_or_b32 v36, v36, 4, v37
	ds_add_u32 v36, v123
	s_or_b32 exec_lo, exec_lo, s8
	s_delay_alu instid0(SALU_CYCLE_1)
	s_mov_b32 s8, exec_lo
	v_cmpx_lt_u32_e64 v88, v2
	s_cbranch_execnz .LBB1258_70
.LBB1258_55:                            ;   in Loop: Header=BB1258_21 Depth=2
	s_or_b32 exec_lo, exec_lo, s8
	s_delay_alu instid0(SALU_CYCLE_1)
	s_mov_b32 s8, exec_lo
	v_cmpx_lt_u32_e64 v89, v2
	s_cbranch_execz .LBB1258_71
.LBB1258_56:                            ;   in Loop: Header=BB1258_21 Depth=2
	v_cmp_lt_i64_e32 vcc_lo, -1, v[12:13]
	s_waitcnt vmcnt(14)
	v_ashrrev_i32_e32 v38, 31, v13
	v_cndmask_b32_e64 v36, -1, 0x80000000, vcc_lo
	s_delay_alu instid0(VALU_DEP_1) | instskip(NEXT) | instid1(VALU_DEP_3)
	v_xor_b32_e32 v37, v36, v13
	v_xor_b32_e32 v36, v38, v12
	s_delay_alu instid0(VALU_DEP_1) | instskip(SKIP_2) | instid1(VALU_DEP_1)
	v_cmp_ne_u64_e32 vcc_lo, s[38:39], v[36:37]
	v_cndmask_b32_e32 v37, 0x80000000, v37, vcc_lo
	v_cndmask_b32_e32 v36, 0, v36, vcc_lo
	v_lshrrev_b64 v[36:37], s41, v[36:37]
	v_lshlrev_b32_e32 v37, 2, v80
	s_delay_alu instid0(VALU_DEP_2) | instskip(NEXT) | instid1(VALU_DEP_1)
	v_and_b32_e32 v36, s43, v36
	v_lshl_or_b32 v36, v36, 4, v37
	ds_add_u32 v36, v123
	s_or_b32 exec_lo, exec_lo, s8
	s_delay_alu instid0(SALU_CYCLE_1)
	s_mov_b32 s8, exec_lo
	v_cmpx_lt_u32_e64 v90, v2
	s_cbranch_execnz .LBB1258_72
.LBB1258_57:                            ;   in Loop: Header=BB1258_21 Depth=2
	s_or_b32 exec_lo, exec_lo, s8
	s_delay_alu instid0(SALU_CYCLE_1)
	s_mov_b32 s8, exec_lo
	v_cmpx_lt_u32_e64 v91, v2
	s_cbranch_execz .LBB1258_73
.LBB1258_58:                            ;   in Loop: Header=BB1258_21 Depth=2
	v_cmp_lt_i64_e32 vcc_lo, -1, v[8:9]
	s_waitcnt vmcnt(14)
	v_ashrrev_i32_e32 v38, 31, v9
	v_cndmask_b32_e64 v36, -1, 0x80000000, vcc_lo
	s_delay_alu instid0(VALU_DEP_1) | instskip(NEXT) | instid1(VALU_DEP_3)
	v_xor_b32_e32 v37, v36, v9
	v_xor_b32_e32 v36, v38, v8
	s_delay_alu instid0(VALU_DEP_1) | instskip(SKIP_2) | instid1(VALU_DEP_1)
	v_cmp_ne_u64_e32 vcc_lo, s[38:39], v[36:37]
	v_cndmask_b32_e32 v37, 0x80000000, v37, vcc_lo
	v_cndmask_b32_e32 v36, 0, v36, vcc_lo
	v_lshrrev_b64 v[36:37], s41, v[36:37]
	v_lshlrev_b32_e32 v37, 2, v80
	s_delay_alu instid0(VALU_DEP_2) | instskip(NEXT) | instid1(VALU_DEP_1)
	v_and_b32_e32 v36, s43, v36
	v_lshl_or_b32 v36, v36, 4, v37
	ds_add_u32 v36, v123
	s_or_b32 exec_lo, exec_lo, s8
	s_delay_alu instid0(SALU_CYCLE_1)
	s_mov_b32 s8, exec_lo
	v_cmpx_lt_u32_e64 v92, v2
	s_cbranch_execnz .LBB1258_74
.LBB1258_59:                            ;   in Loop: Header=BB1258_21 Depth=2
	s_or_b32 exec_lo, exec_lo, s8
	s_delay_alu instid0(SALU_CYCLE_1)
	s_mov_b32 s8, exec_lo
	v_cmpx_lt_u32_e64 v93, v2
	s_cbranch_execz .LBB1258_75
.LBB1258_60:                            ;   in Loop: Header=BB1258_21 Depth=2
	v_cmp_lt_i64_e32 vcc_lo, -1, v[4:5]
	s_waitcnt vmcnt(14)
	v_ashrrev_i32_e32 v38, 31, v5
	v_cndmask_b32_e64 v36, -1, 0x80000000, vcc_lo
	s_delay_alu instid0(VALU_DEP_1) | instskip(NEXT) | instid1(VALU_DEP_3)
	v_xor_b32_e32 v37, v36, v5
	v_xor_b32_e32 v36, v38, v4
	s_delay_alu instid0(VALU_DEP_1) | instskip(SKIP_2) | instid1(VALU_DEP_1)
	v_cmp_ne_u64_e32 vcc_lo, s[38:39], v[36:37]
	v_cndmask_b32_e32 v37, 0x80000000, v37, vcc_lo
	v_cndmask_b32_e32 v36, 0, v36, vcc_lo
	v_lshrrev_b64 v[36:37], s41, v[36:37]
	v_lshlrev_b32_e32 v37, 2, v80
	s_delay_alu instid0(VALU_DEP_2) | instskip(NEXT) | instid1(VALU_DEP_1)
	v_and_b32_e32 v36, s43, v36
	v_lshl_or_b32 v36, v36, 4, v37
	ds_add_u32 v36, v123
	s_or_b32 exec_lo, exec_lo, s8
	s_delay_alu instid0(SALU_CYCLE_1)
	s_mov_b32 s8, exec_lo
	v_cmpx_lt_u32_e64 v95, v2
	s_cbranch_execz .LBB1258_20
	s_branch .LBB1258_76
.LBB1258_61:                            ;   in Loop: Header=BB1258_21 Depth=2
	s_or_b32 exec_lo, exec_lo, s8
	s_delay_alu instid0(SALU_CYCLE_1)
	s_mov_b32 s8, exec_lo
	v_cmpx_lt_u32_e64 v77, v2
	s_cbranch_execz .LBB1258_47
.LBB1258_62:                            ;   in Loop: Header=BB1258_21 Depth=2
	v_cmp_lt_i64_e32 vcc_lo, -1, v[30:31]
	s_waitcnt vmcnt(14)
	v_ashrrev_i32_e32 v38, 31, v31
	v_cndmask_b32_e64 v36, -1, 0x80000000, vcc_lo
	s_delay_alu instid0(VALU_DEP_1) | instskip(NEXT) | instid1(VALU_DEP_3)
	v_xor_b32_e32 v37, v36, v31
	v_xor_b32_e32 v36, v38, v30
	s_delay_alu instid0(VALU_DEP_1) | instskip(SKIP_2) | instid1(VALU_DEP_1)
	v_cmp_ne_u64_e32 vcc_lo, s[38:39], v[36:37]
	v_cndmask_b32_e32 v37, 0x80000000, v37, vcc_lo
	v_cndmask_b32_e32 v36, 0, v36, vcc_lo
	v_lshrrev_b64 v[36:37], s41, v[36:37]
	v_lshlrev_b32_e32 v37, 2, v80
	s_delay_alu instid0(VALU_DEP_2) | instskip(NEXT) | instid1(VALU_DEP_1)
	v_and_b32_e32 v36, s43, v36
	v_lshl_or_b32 v36, v36, 4, v37
	ds_add_u32 v36, v123
	s_or_b32 exec_lo, exec_lo, s8
	s_delay_alu instid0(SALU_CYCLE_1)
	s_mov_b32 s8, exec_lo
	v_cmpx_lt_u32_e64 v78, v2
	s_cbranch_execnz .LBB1258_48
.LBB1258_63:                            ;   in Loop: Header=BB1258_21 Depth=2
	s_or_b32 exec_lo, exec_lo, s8
	s_delay_alu instid0(SALU_CYCLE_1)
	s_mov_b32 s8, exec_lo
	v_cmpx_lt_u32_e64 v79, v2
	s_cbranch_execz .LBB1258_49
.LBB1258_64:                            ;   in Loop: Header=BB1258_21 Depth=2
	v_cmp_lt_i64_e32 vcc_lo, -1, v[26:27]
	s_waitcnt vmcnt(14)
	v_ashrrev_i32_e32 v38, 31, v27
	v_cndmask_b32_e64 v36, -1, 0x80000000, vcc_lo
	s_delay_alu instid0(VALU_DEP_1) | instskip(NEXT) | instid1(VALU_DEP_3)
	v_xor_b32_e32 v37, v36, v27
	v_xor_b32_e32 v36, v38, v26
	s_delay_alu instid0(VALU_DEP_1) | instskip(SKIP_2) | instid1(VALU_DEP_1)
	v_cmp_ne_u64_e32 vcc_lo, s[38:39], v[36:37]
	v_cndmask_b32_e32 v37, 0x80000000, v37, vcc_lo
	v_cndmask_b32_e32 v36, 0, v36, vcc_lo
	v_lshrrev_b64 v[36:37], s41, v[36:37]
	v_lshlrev_b32_e32 v37, 2, v80
	s_delay_alu instid0(VALU_DEP_2) | instskip(NEXT) | instid1(VALU_DEP_1)
	v_and_b32_e32 v36, s43, v36
	v_lshl_or_b32 v36, v36, 4, v37
	ds_add_u32 v36, v123
	s_or_b32 exec_lo, exec_lo, s8
	s_delay_alu instid0(SALU_CYCLE_1)
	s_mov_b32 s8, exec_lo
	v_cmpx_lt_u32_e64 v83, v2
	s_cbranch_execnz .LBB1258_50
.LBB1258_65:                            ;   in Loop: Header=BB1258_21 Depth=2
	s_or_b32 exec_lo, exec_lo, s8
	s_delay_alu instid0(SALU_CYCLE_1)
	s_mov_b32 s8, exec_lo
	v_cmpx_lt_u32_e64 v84, v2
	s_cbranch_execz .LBB1258_51
.LBB1258_66:                            ;   in Loop: Header=BB1258_21 Depth=2
	v_cmp_lt_i64_e32 vcc_lo, -1, v[22:23]
	s_waitcnt vmcnt(14)
	v_ashrrev_i32_e32 v38, 31, v23
	v_cndmask_b32_e64 v36, -1, 0x80000000, vcc_lo
	s_delay_alu instid0(VALU_DEP_1) | instskip(NEXT) | instid1(VALU_DEP_3)
	v_xor_b32_e32 v37, v36, v23
	v_xor_b32_e32 v36, v38, v22
	s_delay_alu instid0(VALU_DEP_1) | instskip(SKIP_2) | instid1(VALU_DEP_1)
	v_cmp_ne_u64_e32 vcc_lo, s[38:39], v[36:37]
	v_cndmask_b32_e32 v37, 0x80000000, v37, vcc_lo
	v_cndmask_b32_e32 v36, 0, v36, vcc_lo
	v_lshrrev_b64 v[36:37], s41, v[36:37]
	v_lshlrev_b32_e32 v37, 2, v80
	s_delay_alu instid0(VALU_DEP_2) | instskip(NEXT) | instid1(VALU_DEP_1)
	v_and_b32_e32 v36, s43, v36
	v_lshl_or_b32 v36, v36, 4, v37
	ds_add_u32 v36, v123
	s_or_b32 exec_lo, exec_lo, s8
	s_delay_alu instid0(SALU_CYCLE_1)
	s_mov_b32 s8, exec_lo
	v_cmpx_lt_u32_e64 v85, v2
	s_cbranch_execnz .LBB1258_52
.LBB1258_67:                            ;   in Loop: Header=BB1258_21 Depth=2
	s_or_b32 exec_lo, exec_lo, s8
	s_delay_alu instid0(SALU_CYCLE_1)
	s_mov_b32 s8, exec_lo
	v_cmpx_lt_u32_e64 v86, v2
	s_cbranch_execz .LBB1258_53
.LBB1258_68:                            ;   in Loop: Header=BB1258_21 Depth=2
	v_cmp_lt_i64_e32 vcc_lo, -1, v[18:19]
	s_waitcnt vmcnt(14)
	v_ashrrev_i32_e32 v38, 31, v19
	v_cndmask_b32_e64 v36, -1, 0x80000000, vcc_lo
	s_delay_alu instid0(VALU_DEP_1) | instskip(NEXT) | instid1(VALU_DEP_3)
	v_xor_b32_e32 v37, v36, v19
	v_xor_b32_e32 v36, v38, v18
	s_delay_alu instid0(VALU_DEP_1) | instskip(SKIP_2) | instid1(VALU_DEP_1)
	v_cmp_ne_u64_e32 vcc_lo, s[38:39], v[36:37]
	v_cndmask_b32_e32 v37, 0x80000000, v37, vcc_lo
	v_cndmask_b32_e32 v36, 0, v36, vcc_lo
	v_lshrrev_b64 v[36:37], s41, v[36:37]
	v_lshlrev_b32_e32 v37, 2, v80
	s_delay_alu instid0(VALU_DEP_2) | instskip(NEXT) | instid1(VALU_DEP_1)
	v_and_b32_e32 v36, s43, v36
	v_lshl_or_b32 v36, v36, 4, v37
	ds_add_u32 v36, v123
	s_or_b32 exec_lo, exec_lo, s8
	s_delay_alu instid0(SALU_CYCLE_1)
	s_mov_b32 s8, exec_lo
	v_cmpx_lt_u32_e64 v87, v2
	s_cbranch_execnz .LBB1258_54
.LBB1258_69:                            ;   in Loop: Header=BB1258_21 Depth=2
	s_or_b32 exec_lo, exec_lo, s8
	s_delay_alu instid0(SALU_CYCLE_1)
	s_mov_b32 s8, exec_lo
	v_cmpx_lt_u32_e64 v88, v2
	s_cbranch_execz .LBB1258_55
.LBB1258_70:                            ;   in Loop: Header=BB1258_21 Depth=2
	v_cmp_lt_i64_e32 vcc_lo, -1, v[14:15]
	s_waitcnt vmcnt(14)
	v_ashrrev_i32_e32 v38, 31, v15
	v_cndmask_b32_e64 v36, -1, 0x80000000, vcc_lo
	s_delay_alu instid0(VALU_DEP_1) | instskip(NEXT) | instid1(VALU_DEP_3)
	v_xor_b32_e32 v37, v36, v15
	v_xor_b32_e32 v36, v38, v14
	s_delay_alu instid0(VALU_DEP_1) | instskip(SKIP_2) | instid1(VALU_DEP_1)
	v_cmp_ne_u64_e32 vcc_lo, s[38:39], v[36:37]
	v_cndmask_b32_e32 v37, 0x80000000, v37, vcc_lo
	v_cndmask_b32_e32 v36, 0, v36, vcc_lo
	v_lshrrev_b64 v[36:37], s41, v[36:37]
	v_lshlrev_b32_e32 v37, 2, v80
	s_delay_alu instid0(VALU_DEP_2) | instskip(NEXT) | instid1(VALU_DEP_1)
	v_and_b32_e32 v36, s43, v36
	v_lshl_or_b32 v36, v36, 4, v37
	ds_add_u32 v36, v123
	s_or_b32 exec_lo, exec_lo, s8
	s_delay_alu instid0(SALU_CYCLE_1)
	s_mov_b32 s8, exec_lo
	v_cmpx_lt_u32_e64 v89, v2
	s_cbranch_execnz .LBB1258_56
.LBB1258_71:                            ;   in Loop: Header=BB1258_21 Depth=2
	s_or_b32 exec_lo, exec_lo, s8
	s_delay_alu instid0(SALU_CYCLE_1)
	s_mov_b32 s8, exec_lo
	v_cmpx_lt_u32_e64 v90, v2
	s_cbranch_execz .LBB1258_57
.LBB1258_72:                            ;   in Loop: Header=BB1258_21 Depth=2
	v_cmp_lt_i64_e32 vcc_lo, -1, v[10:11]
	s_waitcnt vmcnt(14)
	v_ashrrev_i32_e32 v38, 31, v11
	v_cndmask_b32_e64 v36, -1, 0x80000000, vcc_lo
	s_delay_alu instid0(VALU_DEP_1) | instskip(NEXT) | instid1(VALU_DEP_3)
	v_xor_b32_e32 v37, v36, v11
	v_xor_b32_e32 v36, v38, v10
	s_delay_alu instid0(VALU_DEP_1) | instskip(SKIP_2) | instid1(VALU_DEP_1)
	v_cmp_ne_u64_e32 vcc_lo, s[38:39], v[36:37]
	v_cndmask_b32_e32 v37, 0x80000000, v37, vcc_lo
	v_cndmask_b32_e32 v36, 0, v36, vcc_lo
	v_lshrrev_b64 v[36:37], s41, v[36:37]
	v_lshlrev_b32_e32 v37, 2, v80
	s_delay_alu instid0(VALU_DEP_2) | instskip(NEXT) | instid1(VALU_DEP_1)
	v_and_b32_e32 v36, s43, v36
	v_lshl_or_b32 v36, v36, 4, v37
	ds_add_u32 v36, v123
	s_or_b32 exec_lo, exec_lo, s8
	s_delay_alu instid0(SALU_CYCLE_1)
	s_mov_b32 s8, exec_lo
	v_cmpx_lt_u32_e64 v91, v2
	s_cbranch_execnz .LBB1258_58
.LBB1258_73:                            ;   in Loop: Header=BB1258_21 Depth=2
	s_or_b32 exec_lo, exec_lo, s8
	s_delay_alu instid0(SALU_CYCLE_1)
	s_mov_b32 s8, exec_lo
	v_cmpx_lt_u32_e64 v92, v2
	s_cbranch_execz .LBB1258_59
.LBB1258_74:                            ;   in Loop: Header=BB1258_21 Depth=2
	v_cmp_lt_i64_e32 vcc_lo, -1, v[6:7]
	s_waitcnt vmcnt(14)
	v_ashrrev_i32_e32 v38, 31, v7
	v_cndmask_b32_e64 v36, -1, 0x80000000, vcc_lo
	s_delay_alu instid0(VALU_DEP_1) | instskip(NEXT) | instid1(VALU_DEP_3)
	v_xor_b32_e32 v37, v36, v7
	v_xor_b32_e32 v36, v38, v6
	s_delay_alu instid0(VALU_DEP_1) | instskip(SKIP_2) | instid1(VALU_DEP_1)
	v_cmp_ne_u64_e32 vcc_lo, s[38:39], v[36:37]
	v_cndmask_b32_e32 v37, 0x80000000, v37, vcc_lo
	v_cndmask_b32_e32 v36, 0, v36, vcc_lo
	v_lshrrev_b64 v[36:37], s41, v[36:37]
	v_lshlrev_b32_e32 v37, 2, v80
	s_delay_alu instid0(VALU_DEP_2) | instskip(NEXT) | instid1(VALU_DEP_1)
	v_and_b32_e32 v36, s43, v36
	v_lshl_or_b32 v36, v36, 4, v37
	ds_add_u32 v36, v123
	s_or_b32 exec_lo, exec_lo, s8
	s_delay_alu instid0(SALU_CYCLE_1)
	s_mov_b32 s8, exec_lo
	v_cmpx_lt_u32_e64 v93, v2
	s_cbranch_execnz .LBB1258_60
.LBB1258_75:                            ;   in Loop: Header=BB1258_21 Depth=2
	s_or_b32 exec_lo, exec_lo, s8
	s_delay_alu instid0(SALU_CYCLE_1)
	s_mov_b32 s8, exec_lo
	v_cmpx_lt_u32_e64 v95, v2
	s_cbranch_execz .LBB1258_20
.LBB1258_76:                            ;   in Loop: Header=BB1258_21 Depth=2
	s_waitcnt vmcnt(0)
	v_cmp_lt_i64_e32 vcc_lo, -1, v[34:35]
	v_ashrrev_i32_e32 v36, 31, v35
	s_delay_alu instid0(VALU_DEP_1) | instskip(SKIP_1) | instid1(VALU_DEP_1)
	v_xor_b32_e32 v36, v36, v34
	v_cndmask_b32_e64 v2, -1, 0x80000000, vcc_lo
	v_xor_b32_e32 v37, v2, v35
	s_delay_alu instid0(VALU_DEP_1) | instskip(SKIP_2) | instid1(VALU_DEP_1)
	v_cmp_ne_u64_e32 vcc_lo, s[38:39], v[36:37]
	v_cndmask_b32_e32 v37, 0x80000000, v37, vcc_lo
	v_cndmask_b32_e32 v36, 0, v36, vcc_lo
	v_lshrrev_b64 v[36:37], s41, v[36:37]
	s_delay_alu instid0(VALU_DEP_1) | instskip(SKIP_1) | instid1(VALU_DEP_1)
	v_and_b32_e32 v2, s43, v36
	v_lshlrev_b32_e32 v36, 2, v80
	v_lshl_or_b32 v2, v2, 4, v36
	ds_add_u32 v2, v123
	s_branch .LBB1258_20
.LBB1258_77:                            ;   in Loop: Header=BB1258_21 Depth=2
	s_or_b32 exec_lo, exec_lo, s11
	s_delay_alu instid0(SALU_CYCLE_1)
	s_mov_b32 s11, exec_lo
	v_cmpx_gt_u32_e64 s1, v77
	s_cbranch_execz .LBB1258_27
.LBB1258_78:                            ;   in Loop: Header=BB1258_21 Depth=2
	global_load_b64 v[30:31], v124, s[8:9] offset:2048
	s_or_b32 exec_lo, exec_lo, s11
	s_delay_alu instid0(SALU_CYCLE_1)
	s_mov_b32 s11, exec_lo
	v_cmpx_gt_u32_e64 s1, v78
	s_cbranch_execnz .LBB1258_28
.LBB1258_79:                            ;   in Loop: Header=BB1258_21 Depth=2
	s_or_b32 exec_lo, exec_lo, s11
	s_delay_alu instid0(SALU_CYCLE_1)
	s_mov_b32 s11, exec_lo
	v_cmpx_gt_u32_e64 s1, v79
	s_cbranch_execz .LBB1258_29
.LBB1258_80:                            ;   in Loop: Header=BB1258_21 Depth=2
	global_load_b64 v[26:27], v126, s[8:9]
	s_or_b32 exec_lo, exec_lo, s11
	s_delay_alu instid0(SALU_CYCLE_1)
	s_mov_b32 s11, exec_lo
	v_cmpx_gt_u32_e64 s1, v83
	s_cbranch_execnz .LBB1258_30
.LBB1258_81:                            ;   in Loop: Header=BB1258_21 Depth=2
	s_or_b32 exec_lo, exec_lo, s11
	s_delay_alu instid0(SALU_CYCLE_1)
	s_mov_b32 s11, exec_lo
	v_cmpx_gt_u32_e64 s1, v84
	s_cbranch_execz .LBB1258_31
.LBB1258_82:                            ;   in Loop: Header=BB1258_21 Depth=2
	global_load_b64 v[22:23], v128, s[8:9]
	s_or_b32 exec_lo, exec_lo, s11
	s_delay_alu instid0(SALU_CYCLE_1)
	s_mov_b32 s11, exec_lo
	v_cmpx_gt_u32_e64 s1, v85
	s_cbranch_execnz .LBB1258_32
.LBB1258_83:                            ;   in Loop: Header=BB1258_21 Depth=2
	s_or_b32 exec_lo, exec_lo, s11
	s_delay_alu instid0(SALU_CYCLE_1)
	s_mov_b32 s11, exec_lo
	v_cmpx_gt_u32_e64 s1, v86
	s_cbranch_execz .LBB1258_33
.LBB1258_84:                            ;   in Loop: Header=BB1258_21 Depth=2
	global_load_b64 v[18:19], v130, s[8:9]
	s_or_b32 exec_lo, exec_lo, s11
	s_delay_alu instid0(SALU_CYCLE_1)
	s_mov_b32 s11, exec_lo
	v_cmpx_gt_u32_e64 s1, v87
	s_cbranch_execnz .LBB1258_34
.LBB1258_85:                            ;   in Loop: Header=BB1258_21 Depth=2
	s_or_b32 exec_lo, exec_lo, s11
	s_delay_alu instid0(SALU_CYCLE_1)
	s_mov_b32 s11, exec_lo
	v_cmpx_gt_u32_e64 s1, v88
	s_cbranch_execz .LBB1258_35
.LBB1258_86:                            ;   in Loop: Header=BB1258_21 Depth=2
	global_load_b64 v[14:15], v132, s[8:9]
	s_or_b32 exec_lo, exec_lo, s11
	s_delay_alu instid0(SALU_CYCLE_1)
	s_mov_b32 s11, exec_lo
	v_cmpx_gt_u32_e64 s1, v89
	s_cbranch_execnz .LBB1258_36
.LBB1258_87:                            ;   in Loop: Header=BB1258_21 Depth=2
	s_or_b32 exec_lo, exec_lo, s11
	s_delay_alu instid0(SALU_CYCLE_1)
	s_mov_b32 s11, exec_lo
	v_cmpx_gt_u32_e64 s1, v90
	s_cbranch_execz .LBB1258_37
.LBB1258_88:                            ;   in Loop: Header=BB1258_21 Depth=2
	global_load_b64 v[10:11], v134, s[8:9]
	s_or_b32 exec_lo, exec_lo, s11
	s_delay_alu instid0(SALU_CYCLE_1)
	s_mov_b32 s11, exec_lo
	v_cmpx_gt_u32_e64 s1, v91
	s_cbranch_execnz .LBB1258_38
.LBB1258_89:                            ;   in Loop: Header=BB1258_21 Depth=2
	s_or_b32 exec_lo, exec_lo, s11
	s_delay_alu instid0(SALU_CYCLE_1)
	s_mov_b32 s11, exec_lo
	v_cmpx_gt_u32_e64 s1, v92
	s_cbranch_execz .LBB1258_39
.LBB1258_90:                            ;   in Loop: Header=BB1258_21 Depth=2
	v_lshlrev_b32_e32 v2, 3, v92
	global_load_b64 v[6:7], v2, s[8:9]
	s_or_b32 exec_lo, exec_lo, s11
	s_delay_alu instid0(SALU_CYCLE_1)
	s_mov_b32 s11, exec_lo
	v_cmpx_gt_u32_e64 s1, v93
	s_cbranch_execz .LBB1258_41
	s_branch .LBB1258_40
.LBB1258_91:                            ;   in Loop: Header=BB1258_17 Depth=1
	v_mov_b32_e32 v2, 0
	s_waitcnt vmcnt(0) lgkmcnt(0)
	s_barrier
	buffer_gl0_inv
	s_and_saveexec_b32 s1, s2
	s_cbranch_execz .LBB1258_93
; %bb.92:                               ;   in Loop: Header=BB1258_17 Depth=1
	ds_load_2addr_b64 v[4:7], v96 offset1:1
	s_waitcnt lgkmcnt(0)
	v_add_nc_u32_e32 v2, v5, v4
	s_delay_alu instid0(VALU_DEP_1)
	v_add3_u32 v2, v2, v6, v7
.LBB1258_93:                            ;   in Loop: Header=BB1258_17 Depth=1
	s_or_b32 exec_lo, exec_lo, s1
	v_and_b32_e32 v4, 15, v136
	s_delay_alu instid0(VALU_DEP_2) | instskip(SKIP_1) | instid1(VALU_DEP_3)
	v_mov_b32_dpp v5, v2 row_shr:1 row_mask:0xf bank_mask:0xf
	v_and_b32_e32 v6, 16, v136
	v_cmp_eq_u32_e64 s1, 0, v4
	v_cmp_lt_u32_e64 s7, 1, v4
	v_cmp_lt_u32_e64 s8, 3, v4
	;; [unrolled: 1-line block ×3, first 2 shown]
	v_cmp_eq_u32_e64 s10, 0, v6
	v_cndmask_b32_e64 v5, v5, 0, s1
	s_delay_alu instid0(VALU_DEP_1) | instskip(NEXT) | instid1(VALU_DEP_1)
	v_add_nc_u32_e32 v2, v5, v2
	v_mov_b32_dpp v5, v2 row_shr:2 row_mask:0xf bank_mask:0xf
	s_delay_alu instid0(VALU_DEP_1) | instskip(NEXT) | instid1(VALU_DEP_1)
	v_cndmask_b32_e64 v5, 0, v5, s7
	v_add_nc_u32_e32 v2, v2, v5
	s_delay_alu instid0(VALU_DEP_1) | instskip(NEXT) | instid1(VALU_DEP_1)
	v_mov_b32_dpp v5, v2 row_shr:4 row_mask:0xf bank_mask:0xf
	v_cndmask_b32_e64 v5, 0, v5, s8
	s_delay_alu instid0(VALU_DEP_1) | instskip(NEXT) | instid1(VALU_DEP_1)
	v_add_nc_u32_e32 v2, v2, v5
	v_mov_b32_dpp v5, v2 row_shr:8 row_mask:0xf bank_mask:0xf
	s_delay_alu instid0(VALU_DEP_1) | instskip(SKIP_1) | instid1(VALU_DEP_2)
	v_cndmask_b32_e64 v4, 0, v5, s9
	v_bfe_i32 v5, v136, 4, 1
	v_add_nc_u32_e32 v2, v2, v4
	ds_swizzle_b32 v4, v2 offset:swizzle(BROADCAST,32,15)
	s_waitcnt lgkmcnt(0)
	v_and_b32_e32 v4, v5, v4
	s_delay_alu instid0(VALU_DEP_1)
	v_add_nc_u32_e32 v4, v2, v4
	s_and_saveexec_b32 s11, s3
	s_cbranch_execz .LBB1258_95
; %bb.94:                               ;   in Loop: Header=BB1258_17 Depth=1
	ds_store_b32 v97, v4
.LBB1258_95:                            ;   in Loop: Header=BB1258_17 Depth=1
	s_or_b32 exec_lo, exec_lo, s11
	v_and_b32_e32 v2, 7, v136
	s_waitcnt lgkmcnt(0)
	s_barrier
	buffer_gl0_inv
	s_and_saveexec_b32 s11, s4
	s_cbranch_execz .LBB1258_97
; %bb.96:                               ;   in Loop: Header=BB1258_17 Depth=1
	ds_load_b32 v5, v98
	v_cmp_ne_u32_e32 vcc_lo, 0, v2
	s_waitcnt lgkmcnt(0)
	v_mov_b32_dpp v6, v5 row_shr:1 row_mask:0xf bank_mask:0xf
	s_delay_alu instid0(VALU_DEP_1) | instskip(SKIP_1) | instid1(VALU_DEP_2)
	v_cndmask_b32_e32 v6, 0, v6, vcc_lo
	v_cmp_lt_u32_e32 vcc_lo, 1, v2
	v_add_nc_u32_e32 v5, v6, v5
	s_delay_alu instid0(VALU_DEP_1) | instskip(NEXT) | instid1(VALU_DEP_1)
	v_mov_b32_dpp v6, v5 row_shr:2 row_mask:0xf bank_mask:0xf
	v_cndmask_b32_e32 v6, 0, v6, vcc_lo
	v_cmp_lt_u32_e32 vcc_lo, 3, v2
	s_delay_alu instid0(VALU_DEP_2) | instskip(NEXT) | instid1(VALU_DEP_1)
	v_add_nc_u32_e32 v5, v5, v6
	v_mov_b32_dpp v6, v5 row_shr:4 row_mask:0xf bank_mask:0xf
	s_delay_alu instid0(VALU_DEP_1) | instskip(NEXT) | instid1(VALU_DEP_1)
	v_cndmask_b32_e32 v6, 0, v6, vcc_lo
	v_add_nc_u32_e32 v5, v5, v6
	ds_store_b32 v98, v5
.LBB1258_97:                            ;   in Loop: Header=BB1258_17 Depth=1
	s_or_b32 exec_lo, exec_lo, s11
	v_mov_b32_e32 v5, 0
	s_waitcnt lgkmcnt(0)
	s_barrier
	buffer_gl0_inv
	s_and_saveexec_b32 s11, s5
	s_cbranch_execz .LBB1258_99
; %bb.98:                               ;   in Loop: Header=BB1258_17 Depth=1
	ds_load_b32 v5, v99
.LBB1258_99:                            ;   in Loop: Header=BB1258_17 Depth=1
	s_or_b32 exec_lo, exec_lo, s11
	v_add_nc_u32_e32 v6, -1, v136
	s_waitcnt lgkmcnt(0)
	v_add_nc_u32_e32 v4, v5, v4
	v_cmp_eq_u32_e64 s11, 0, v136
	s_barrier
	v_cmp_gt_i32_e32 vcc_lo, 0, v6
	buffer_gl0_inv
	v_cndmask_b32_e32 v6, v6, v136, vcc_lo
	s_delay_alu instid0(VALU_DEP_1)
	v_lshlrev_b32_e32 v137, 2, v6
	ds_bpermute_b32 v4, v137, v4
	s_and_saveexec_b32 s12, s2
	s_cbranch_execz .LBB1258_101
; %bb.100:                              ;   in Loop: Header=BB1258_17 Depth=1
	s_waitcnt lgkmcnt(0)
	v_cndmask_b32_e64 v4, v4, v5, s11
	s_delay_alu instid0(VALU_DEP_1)
	v_add_nc_u32_e32 v4, s60, v4
	ds_store_b32 v76, v4
.LBB1258_101:                           ;   in Loop: Header=BB1258_17 Depth=1
	s_or_b32 exec_lo, exec_lo, s12
	s_clause 0x1
	s_load_b32 s12, s[36:37], 0x4
	s_load_b32 s17, s[36:37], 0xc
	v_lshlrev_b32_e32 v6, 3, v136
	v_cmp_lt_u32_e64 s16, 3, v2
	v_or_b32_e32 v138, v136, v100
	s_mov_b32 s50, s62
	s_mov_b32 s34, s60
	v_add_co_u32 v139, vcc_lo, v106, v6
	v_add_co_ci_u32_e32 v140, vcc_lo, 0, v107, vcc_lo
	v_add_co_u32 v156, vcc_lo, v108, v6
	v_add_co_ci_u32_e32 v157, vcc_lo, 0, v109, vcc_lo
	v_or_b32_e32 v141, 32, v138
	s_delay_alu instid0(VALU_DEP_3)
	v_add_co_u32 v159, vcc_lo, 0xf00, v156
	v_or_b32_e32 v142, 64, v138
	v_or_b32_e32 v143, 0x60, v138
	s_waitcnt lgkmcnt(0)
	s_cmp_lt_u32 s15, s12
	v_or_b32_e32 v144, 0x80, v138
	s_cselect_b32 s12, 14, 20
	v_or_b32_e32 v145, 0xa0, v138
	s_add_u32 s12, s36, s12
	s_addc_u32 s13, s37, 0
	s_and_b32 s17, s17, 0xffff
	global_load_u16 v4, v3, s[12:13]
	v_cmp_eq_u32_e64 s12, 0, v2
	v_cmp_lt_u32_e64 s13, 1, v2
	v_or_b32_e32 v146, 0xc0, v138
	v_or_b32_e32 v147, 0xe0, v138
	;; [unrolled: 1-line block ×10, first 2 shown]
	v_add_co_ci_u32_e32 v160, vcc_lo, 0, v157, vcc_lo
                                        ; implicit-def: $vgpr6_vgpr7
                                        ; implicit-def: $vgpr8_vgpr9
                                        ; implicit-def: $vgpr10_vgpr11
                                        ; implicit-def: $vgpr12_vgpr13
                                        ; implicit-def: $vgpr14_vgpr15
                                        ; implicit-def: $vgpr16_vgpr17
                                        ; implicit-def: $vgpr18_vgpr19
                                        ; implicit-def: $vgpr20_vgpr21
                                        ; implicit-def: $vgpr22_vgpr23
                                        ; implicit-def: $vgpr24_vgpr25
                                        ; implicit-def: $vgpr26_vgpr27
                                        ; implicit-def: $vgpr28_vgpr29
                                        ; implicit-def: $vgpr30_vgpr31
                                        ; implicit-def: $vgpr32_vgpr33
                                        ; implicit-def: $vgpr34_vgpr35
                                        ; implicit-def: $vgpr161
                                        ; implicit-def: $vgpr162
                                        ; implicit-def: $vgpr163
                                        ; implicit-def: $vgpr164
                                        ; implicit-def: $vgpr165
                                        ; implicit-def: $vgpr166
                                        ; implicit-def: $vgpr167
                                        ; implicit-def: $vgpr168
                                        ; implicit-def: $vgpr169
                                        ; implicit-def: $vgpr170
                                        ; implicit-def: $vgpr171
                                        ; implicit-def: $vgpr172
                                        ; implicit-def: $vgpr173
                                        ; implicit-def: $vgpr174
                                        ; implicit-def: $vgpr175
                                        ; implicit-def: $vgpr176
	s_waitcnt vmcnt(0)
	v_mad_u32_u24 v2, v101, v4, v0
	s_delay_alu instid0(VALU_DEP_1) | instskip(NEXT) | instid1(VALU_DEP_1)
	v_mad_u64_u32 v[4:5], null, v2, s17, v[1:2]
	v_lshrrev_b32_e32 v158, 5, v4
                                        ; implicit-def: $vgpr4_vgpr5
	s_branch .LBB1258_103
.LBB1258_102:                           ;   in Loop: Header=BB1258_103 Depth=2
	s_or_b32 exec_lo, exec_lo, s17
	s_addk_i32 s50, 0xf000
	s_cmp_lt_u32 s51, s61
	s_mov_b32 s34, s51
	s_cbranch_scc0 .LBB1258_311
.LBB1258_103:                           ;   Parent Loop BB1258_17 Depth=1
                                        ; =>  This Inner Loop Header: Depth=2
	s_add_i32 s51, s34, 0x1000
	s_delay_alu instid0(SALU_CYCLE_1)
	s_cmp_gt_u32 s51, s61
	s_cbranch_scc1 .LBB1258_105
; %bb.104:                              ;   in Loop: Header=BB1258_103 Depth=2
	s_mov_b32 s19, 0
	s_mov_b32 s18, s34
	s_movk_i32 s17, 0x1000
	s_lshl_b64 s[20:21], s[18:19], 3
	s_delay_alu instid0(SALU_CYCLE_1)
	v_add_co_u32 v40, vcc_lo, v156, s20
	v_add_co_ci_u32_e32 v41, vcc_lo, s21, v157, vcc_lo
	s_mov_b32 s20, -1
	s_clause 0xe
	global_load_b64 v[36:37], v[40:41], off
	global_load_b64 v[38:39], v[40:41], off offset:256
	global_load_b64 v[44:45], v[40:41], off offset:512
	global_load_b64 v[48:49], v[40:41], off offset:768
	global_load_b64 v[52:53], v[40:41], off offset:1024
	global_load_b64 v[58:59], v[40:41], off offset:1280
	global_load_b64 v[62:63], v[40:41], off offset:1536
	global_load_b64 v[66:67], v[40:41], off offset:1792
	global_load_b64 v[64:65], v[40:41], off offset:2048
	global_load_b64 v[60:61], v[40:41], off offset:2304
	global_load_b64 v[56:57], v[40:41], off offset:2560
	global_load_b64 v[54:55], v[40:41], off offset:2816
	global_load_b64 v[50:51], v[40:41], off offset:3072
	global_load_b64 v[46:47], v[40:41], off offset:3328
	global_load_b64 v[40:41], v[40:41], off offset:3584
	s_cbranch_execz .LBB1258_106
	s_branch .LBB1258_137
.LBB1258_105:                           ;   in Loop: Header=BB1258_103 Depth=2
	s_mov_b32 s19, -1
	s_mov_b32 s20, 0
                                        ; implicit-def: $sgpr17
                                        ; implicit-def: $vgpr36_vgpr37
                                        ; implicit-def: $vgpr38_vgpr39
                                        ; implicit-def: $vgpr44_vgpr45
                                        ; implicit-def: $vgpr48_vgpr49
                                        ; implicit-def: $vgpr52_vgpr53
                                        ; implicit-def: $vgpr58_vgpr59
                                        ; implicit-def: $vgpr62_vgpr63
                                        ; implicit-def: $vgpr66_vgpr67
                                        ; implicit-def: $vgpr64_vgpr65
                                        ; implicit-def: $vgpr60_vgpr61
                                        ; implicit-def: $vgpr56_vgpr57
                                        ; implicit-def: $vgpr54_vgpr55
                                        ; implicit-def: $vgpr50_vgpr51
                                        ; implicit-def: $vgpr46_vgpr47
                                        ; implicit-def: $vgpr40_vgpr41
.LBB1258_106:                           ;   in Loop: Header=BB1258_103 Depth=2
	s_lshl_b64 s[18:19], s[34:35], 3
	s_waitcnt vmcnt(14)
	v_dual_mov_b32 v36, s38 :: v_dual_mov_b32 v37, s39
	v_add_co_u32 v42, vcc_lo, v156, s18
	v_add_co_ci_u32_e32 v43, vcc_lo, s19, v157, vcc_lo
	s_mov_b32 s17, exec_lo
	v_cmpx_gt_u32_e64 s50, v138
	s_cbranch_execz .LBB1258_108
; %bb.107:                              ;   in Loop: Header=BB1258_103 Depth=2
	global_load_b64 v[36:37], v[42:43], off
.LBB1258_108:                           ;   in Loop: Header=BB1258_103 Depth=2
	s_or_b32 exec_lo, exec_lo, s17
	s_waitcnt vmcnt(13)
	v_dual_mov_b32 v38, s38 :: v_dual_mov_b32 v39, s39
	s_mov_b32 s17, exec_lo
	v_cmpx_gt_u32_e64 s50, v141
	s_cbranch_execz .LBB1258_110
; %bb.109:                              ;   in Loop: Header=BB1258_103 Depth=2
	global_load_b64 v[38:39], v[42:43], off offset:256
.LBB1258_110:                           ;   in Loop: Header=BB1258_103 Depth=2
	s_or_b32 exec_lo, exec_lo, s17
	s_waitcnt vmcnt(12)
	v_dual_mov_b32 v45, s39 :: v_dual_mov_b32 v44, s38
	s_mov_b32 s17, exec_lo
	v_cmpx_gt_u32_e64 s50, v142
	s_cbranch_execz .LBB1258_112
; %bb.111:                              ;   in Loop: Header=BB1258_103 Depth=2
	global_load_b64 v[44:45], v[42:43], off offset:512
.LBB1258_112:                           ;   in Loop: Header=BB1258_103 Depth=2
	;; [unrolled: 9-line block ×14, first 2 shown]
	s_or_b32 exec_lo, exec_lo, s17
	v_cmp_gt_u32_e64 s20, s50, v155
	s_sub_i32 s17, s61, s34
	s_mov_b64 s[18:19], s[34:35]
.LBB1258_137:                           ;   in Loop: Header=BB1258_103 Depth=2
	v_dual_mov_b32 v43, s39 :: v_dual_mov_b32 v42, s38
	v_mov_b32_e32 v177, s50
	s_and_saveexec_b32 s21, s20
	s_cbranch_execz .LBB1258_139
; %bb.138:                              ;   in Loop: Header=BB1258_103 Depth=2
	s_lshl_b64 s[18:19], s[18:19], 3
	v_mov_b32_e32 v177, s17
	v_add_co_u32 v42, vcc_lo, v159, s18
	v_add_co_ci_u32_e32 v43, vcc_lo, s19, v160, vcc_lo
	global_load_b64 v[42:43], v[42:43], off
.LBB1258_139:                           ;   in Loop: Header=BB1258_103 Depth=2
	s_or_b32 exec_lo, exec_lo, s21
	s_waitcnt vmcnt(14)
	v_cmp_lt_i64_e32 vcc_lo, -1, v[36:37]
	v_ashrrev_i32_e32 v68, 31, v37
	ds_store_b32 v102, v3 offset:1056
	ds_store_2addr_b32 v103, v3, v3 offset0:1 offset1:2
	ds_store_2addr_b32 v103, v3, v3 offset0:3 offset1:4
	;; [unrolled: 1-line block ×4, first 2 shown]
	s_waitcnt vmcnt(0) lgkmcnt(0)
	s_barrier
	v_cndmask_b32_e64 v2, -1, 0x80000000, vcc_lo
	v_xor_b32_e32 v36, v68, v36
	buffer_gl0_inv
	; wave barrier
	v_xor_b32_e32 v37, v2, v37
	s_delay_alu instid0(VALU_DEP_1) | instskip(SKIP_2) | instid1(VALU_DEP_1)
	v_cmp_ne_u64_e32 vcc_lo, s[38:39], v[36:37]
	v_cndmask_b32_e32 v69, 0x80000000, v37, vcc_lo
	v_cndmask_b32_e32 v68, 0, v36, vcc_lo
	v_lshrrev_b64 v[68:69], s41, v[68:69]
	s_delay_alu instid0(VALU_DEP_1) | instskip(NEXT) | instid1(VALU_DEP_1)
	v_and_b32_e32 v69, s43, v68
	v_lshlrev_b32_e32 v71, 28, v69
	v_and_b32_e32 v2, 1, v69
	v_lshlrev_b32_e32 v68, 30, v69
	v_lshlrev_b32_e32 v70, 29, v69
	;; [unrolled: 1-line block ×4, first 2 shown]
	v_add_co_u32 v2, s17, v2, -1
	s_delay_alu instid0(VALU_DEP_1)
	v_cndmask_b32_e64 v72, 0, 1, s17
	v_not_b32_e32 v178, v68
	v_cmp_gt_i32_e64 s17, 0, v68
	v_not_b32_e32 v68, v70
	v_lshlrev_b32_e32 v75, 25, v69
	v_cmp_ne_u32_e32 vcc_lo, 0, v72
	v_ashrrev_i32_e32 v178, 31, v178
	v_lshlrev_b32_e32 v72, 24, v69
	v_ashrrev_i32_e32 v68, 31, v68
	v_mad_u32_u24 v69, v69, 9, v158
	v_xor_b32_e32 v2, vcc_lo, v2
	v_cmp_gt_i32_e32 vcc_lo, 0, v70
	v_not_b32_e32 v70, v71
	v_xor_b32_e32 v178, s17, v178
	v_cmp_gt_i32_e64 s17, 0, v71
	v_and_b32_e32 v2, exec_lo, v2
	v_not_b32_e32 v71, v73
	v_ashrrev_i32_e32 v70, 31, v70
	v_xor_b32_e32 v68, vcc_lo, v68
	v_cmp_gt_i32_e32 vcc_lo, 0, v73
	v_and_b32_e32 v2, v2, v178
	v_not_b32_e32 v73, v74
	v_ashrrev_i32_e32 v71, 31, v71
	v_xor_b32_e32 v70, s17, v70
	v_cmp_gt_i32_e64 s17, 0, v74
	v_and_b32_e32 v2, v2, v68
	v_not_b32_e32 v68, v75
	v_ashrrev_i32_e32 v73, 31, v73
	v_xor_b32_e32 v71, vcc_lo, v71
	v_cmp_gt_i32_e32 vcc_lo, 0, v75
	v_and_b32_e32 v2, v2, v70
	v_not_b32_e32 v70, v72
	v_ashrrev_i32_e32 v68, 31, v68
	v_xor_b32_e32 v73, s17, v73
	v_cmp_gt_i32_e64 s17, 0, v72
	v_and_b32_e32 v2, v2, v71
	v_ashrrev_i32_e32 v70, 31, v70
	v_xor_b32_e32 v68, vcc_lo, v68
	v_lshl_add_u32 v178, v69, 2, 0x420
	s_delay_alu instid0(VALU_DEP_4) | instskip(NEXT) | instid1(VALU_DEP_4)
	v_and_b32_e32 v2, v2, v73
	v_xor_b32_e32 v70, s17, v70
	s_delay_alu instid0(VALU_DEP_2) | instskip(NEXT) | instid1(VALU_DEP_1)
	v_and_b32_e32 v2, v2, v68
	v_and_b32_e32 v68, v2, v70
	s_delay_alu instid0(VALU_DEP_1) | instskip(SKIP_1) | instid1(VALU_DEP_2)
	v_mbcnt_lo_u32_b32 v2, v68, 0
	v_cmp_ne_u32_e64 s17, 0, v68
	v_cmp_eq_u32_e32 vcc_lo, 0, v2
	s_delay_alu instid0(VALU_DEP_2) | instskip(NEXT) | instid1(SALU_CYCLE_1)
	s_and_b32 s18, s17, vcc_lo
	s_and_saveexec_b32 s17, s18
	s_cbranch_execz .LBB1258_141
; %bb.140:                              ;   in Loop: Header=BB1258_103 Depth=2
	v_bcnt_u32_b32 v68, v68, 0
	ds_store_b32 v178, v68
.LBB1258_141:                           ;   in Loop: Header=BB1258_103 Depth=2
	s_or_b32 exec_lo, exec_lo, s17
	v_cmp_lt_i64_e32 vcc_lo, -1, v[38:39]
	v_ashrrev_i32_e32 v69, 31, v39
	; wave barrier
	s_delay_alu instid0(VALU_DEP_1) | instskip(SKIP_1) | instid1(VALU_DEP_1)
	v_xor_b32_e32 v38, v69, v38
	v_cndmask_b32_e64 v68, -1, 0x80000000, vcc_lo
	v_xor_b32_e32 v39, v68, v39
	s_delay_alu instid0(VALU_DEP_1) | instskip(SKIP_2) | instid1(VALU_DEP_1)
	v_cmp_ne_u64_e32 vcc_lo, s[38:39], v[38:39]
	v_cndmask_b32_e32 v69, 0x80000000, v39, vcc_lo
	v_cndmask_b32_e32 v68, 0, v38, vcc_lo
	v_lshrrev_b64 v[68:69], s41, v[68:69]
	s_delay_alu instid0(VALU_DEP_1) | instskip(NEXT) | instid1(VALU_DEP_1)
	v_and_b32_e32 v68, s43, v68
	v_and_b32_e32 v69, 1, v68
	v_lshlrev_b32_e32 v70, 30, v68
	v_lshlrev_b32_e32 v71, 29, v68
	;; [unrolled: 1-line block ×4, first 2 shown]
	v_add_co_u32 v69, s17, v69, -1
	s_delay_alu instid0(VALU_DEP_1)
	v_cndmask_b32_e64 v73, 0, 1, s17
	v_not_b32_e32 v180, v70
	v_cmp_gt_i32_e64 s17, 0, v70
	v_not_b32_e32 v70, v71
	v_lshlrev_b32_e32 v75, 26, v68
	v_cmp_ne_u32_e32 vcc_lo, 0, v73
	v_ashrrev_i32_e32 v180, 31, v180
	v_lshlrev_b32_e32 v179, 25, v68
	v_ashrrev_i32_e32 v70, 31, v70
	v_lshlrev_b32_e32 v73, 24, v68
	v_xor_b32_e32 v69, vcc_lo, v69
	v_cmp_gt_i32_e32 vcc_lo, 0, v71
	v_not_b32_e32 v71, v72
	v_xor_b32_e32 v180, s17, v180
	v_cmp_gt_i32_e64 s17, 0, v72
	v_and_b32_e32 v69, exec_lo, v69
	v_not_b32_e32 v72, v74
	v_ashrrev_i32_e32 v71, 31, v71
	v_xor_b32_e32 v70, vcc_lo, v70
	v_cmp_gt_i32_e32 vcc_lo, 0, v74
	v_and_b32_e32 v69, v69, v180
	v_not_b32_e32 v74, v75
	v_ashrrev_i32_e32 v72, 31, v72
	v_xor_b32_e32 v71, s17, v71
	v_cmp_gt_i32_e64 s17, 0, v75
	v_and_b32_e32 v69, v69, v70
	v_not_b32_e32 v70, v179
	v_ashrrev_i32_e32 v74, 31, v74
	v_xor_b32_e32 v72, vcc_lo, v72
	v_cmp_gt_i32_e32 vcc_lo, 0, v179
	v_and_b32_e32 v69, v69, v71
	v_not_b32_e32 v71, v73
	v_ashrrev_i32_e32 v70, 31, v70
	v_xor_b32_e32 v74, s17, v74
	v_mul_u32_u24_e32 v68, 9, v68
	v_and_b32_e32 v69, v69, v72
	v_cmp_gt_i32_e64 s17, 0, v73
	v_ashrrev_i32_e32 v71, 31, v71
	v_xor_b32_e32 v70, vcc_lo, v70
	v_add_lshl_u32 v72, v68, v158, 2
	v_and_b32_e32 v69, v69, v74
	s_delay_alu instid0(VALU_DEP_4) | instskip(SKIP_3) | instid1(VALU_DEP_2)
	v_xor_b32_e32 v68, s17, v71
	ds_load_b32 v179, v72 offset:1056
	v_and_b32_e32 v69, v69, v70
	v_add_nc_u32_e32 v181, 0x420, v72
	; wave barrier
	v_and_b32_e32 v68, v69, v68
	s_delay_alu instid0(VALU_DEP_1) | instskip(SKIP_1) | instid1(VALU_DEP_2)
	v_mbcnt_lo_u32_b32 v180, v68, 0
	v_cmp_ne_u32_e64 s17, 0, v68
	v_cmp_eq_u32_e32 vcc_lo, 0, v180
	s_delay_alu instid0(VALU_DEP_2) | instskip(NEXT) | instid1(SALU_CYCLE_1)
	s_and_b32 s18, s17, vcc_lo
	s_and_saveexec_b32 s17, s18
	s_cbranch_execz .LBB1258_143
; %bb.142:                              ;   in Loop: Header=BB1258_103 Depth=2
	s_waitcnt lgkmcnt(0)
	v_bcnt_u32_b32 v68, v68, v179
	ds_store_b32 v181, v68
.LBB1258_143:                           ;   in Loop: Header=BB1258_103 Depth=2
	s_or_b32 exec_lo, exec_lo, s17
	v_cmp_lt_i64_e32 vcc_lo, -1, v[44:45]
	v_ashrrev_i32_e32 v69, 31, v45
	; wave barrier
	s_delay_alu instid0(VALU_DEP_1) | instskip(SKIP_1) | instid1(VALU_DEP_1)
	v_xor_b32_e32 v44, v69, v44
	v_cndmask_b32_e64 v68, -1, 0x80000000, vcc_lo
	v_xor_b32_e32 v45, v68, v45
	s_delay_alu instid0(VALU_DEP_1) | instskip(SKIP_2) | instid1(VALU_DEP_1)
	v_cmp_ne_u64_e32 vcc_lo, s[38:39], v[44:45]
	v_cndmask_b32_e32 v69, 0x80000000, v45, vcc_lo
	v_cndmask_b32_e32 v68, 0, v44, vcc_lo
	v_lshrrev_b64 v[68:69], s41, v[68:69]
	s_delay_alu instid0(VALU_DEP_1) | instskip(NEXT) | instid1(VALU_DEP_1)
	v_and_b32_e32 v68, s43, v68
	v_and_b32_e32 v69, 1, v68
	v_lshlrev_b32_e32 v70, 30, v68
	v_lshlrev_b32_e32 v71, 29, v68
	v_lshlrev_b32_e32 v72, 28, v68
	v_lshlrev_b32_e32 v74, 27, v68
	v_add_co_u32 v69, s17, v69, -1
	s_delay_alu instid0(VALU_DEP_1)
	v_cndmask_b32_e64 v73, 0, 1, s17
	v_not_b32_e32 v183, v70
	v_cmp_gt_i32_e64 s17, 0, v70
	v_not_b32_e32 v70, v71
	v_lshlrev_b32_e32 v75, 26, v68
	v_cmp_ne_u32_e32 vcc_lo, 0, v73
	v_ashrrev_i32_e32 v183, 31, v183
	v_lshlrev_b32_e32 v182, 25, v68
	v_ashrrev_i32_e32 v70, 31, v70
	v_lshlrev_b32_e32 v73, 24, v68
	v_xor_b32_e32 v69, vcc_lo, v69
	v_cmp_gt_i32_e32 vcc_lo, 0, v71
	v_not_b32_e32 v71, v72
	v_xor_b32_e32 v183, s17, v183
	v_cmp_gt_i32_e64 s17, 0, v72
	v_and_b32_e32 v69, exec_lo, v69
	v_not_b32_e32 v72, v74
	v_ashrrev_i32_e32 v71, 31, v71
	v_xor_b32_e32 v70, vcc_lo, v70
	v_cmp_gt_i32_e32 vcc_lo, 0, v74
	v_and_b32_e32 v69, v69, v183
	v_not_b32_e32 v74, v75
	v_ashrrev_i32_e32 v72, 31, v72
	v_xor_b32_e32 v71, s17, v71
	v_cmp_gt_i32_e64 s17, 0, v75
	v_and_b32_e32 v69, v69, v70
	v_not_b32_e32 v70, v182
	v_ashrrev_i32_e32 v74, 31, v74
	v_xor_b32_e32 v72, vcc_lo, v72
	v_cmp_gt_i32_e32 vcc_lo, 0, v182
	v_and_b32_e32 v69, v69, v71
	v_not_b32_e32 v71, v73
	v_ashrrev_i32_e32 v70, 31, v70
	v_xor_b32_e32 v74, s17, v74
	v_mul_u32_u24_e32 v68, 9, v68
	v_and_b32_e32 v69, v69, v72
	v_cmp_gt_i32_e64 s17, 0, v73
	v_ashrrev_i32_e32 v71, 31, v71
	v_xor_b32_e32 v70, vcc_lo, v70
	v_add_lshl_u32 v72, v68, v158, 2
	v_and_b32_e32 v69, v69, v74
	s_delay_alu instid0(VALU_DEP_4) | instskip(SKIP_3) | instid1(VALU_DEP_2)
	v_xor_b32_e32 v68, s17, v71
	ds_load_b32 v182, v72 offset:1056
	v_and_b32_e32 v69, v69, v70
	v_add_nc_u32_e32 v184, 0x420, v72
	; wave barrier
	v_and_b32_e32 v68, v69, v68
	s_delay_alu instid0(VALU_DEP_1) | instskip(SKIP_1) | instid1(VALU_DEP_2)
	v_mbcnt_lo_u32_b32 v183, v68, 0
	v_cmp_ne_u32_e64 s17, 0, v68
	v_cmp_eq_u32_e32 vcc_lo, 0, v183
	s_delay_alu instid0(VALU_DEP_2) | instskip(NEXT) | instid1(SALU_CYCLE_1)
	s_and_b32 s18, s17, vcc_lo
	s_and_saveexec_b32 s17, s18
	s_cbranch_execz .LBB1258_145
; %bb.144:                              ;   in Loop: Header=BB1258_103 Depth=2
	s_waitcnt lgkmcnt(0)
	v_bcnt_u32_b32 v68, v68, v182
	ds_store_b32 v184, v68
.LBB1258_145:                           ;   in Loop: Header=BB1258_103 Depth=2
	s_or_b32 exec_lo, exec_lo, s17
	v_cmp_lt_i64_e32 vcc_lo, -1, v[48:49]
	v_ashrrev_i32_e32 v69, 31, v49
	; wave barrier
	s_delay_alu instid0(VALU_DEP_1) | instskip(SKIP_1) | instid1(VALU_DEP_1)
	v_xor_b32_e32 v48, v69, v48
	v_cndmask_b32_e64 v68, -1, 0x80000000, vcc_lo
	v_xor_b32_e32 v49, v68, v49
	s_delay_alu instid0(VALU_DEP_1) | instskip(SKIP_2) | instid1(VALU_DEP_1)
	v_cmp_ne_u64_e32 vcc_lo, s[38:39], v[48:49]
	v_cndmask_b32_e32 v69, 0x80000000, v49, vcc_lo
	v_cndmask_b32_e32 v68, 0, v48, vcc_lo
	v_lshrrev_b64 v[68:69], s41, v[68:69]
	s_delay_alu instid0(VALU_DEP_1) | instskip(NEXT) | instid1(VALU_DEP_1)
	v_and_b32_e32 v68, s43, v68
	v_and_b32_e32 v69, 1, v68
	v_lshlrev_b32_e32 v70, 30, v68
	v_lshlrev_b32_e32 v71, 29, v68
	;; [unrolled: 1-line block ×4, first 2 shown]
	v_add_co_u32 v69, s17, v69, -1
	s_delay_alu instid0(VALU_DEP_1)
	v_cndmask_b32_e64 v73, 0, 1, s17
	v_not_b32_e32 v186, v70
	v_cmp_gt_i32_e64 s17, 0, v70
	v_not_b32_e32 v70, v71
	v_lshlrev_b32_e32 v75, 26, v68
	v_cmp_ne_u32_e32 vcc_lo, 0, v73
	v_ashrrev_i32_e32 v186, 31, v186
	v_lshlrev_b32_e32 v185, 25, v68
	v_ashrrev_i32_e32 v70, 31, v70
	v_lshlrev_b32_e32 v73, 24, v68
	v_xor_b32_e32 v69, vcc_lo, v69
	v_cmp_gt_i32_e32 vcc_lo, 0, v71
	v_not_b32_e32 v71, v72
	v_xor_b32_e32 v186, s17, v186
	v_cmp_gt_i32_e64 s17, 0, v72
	v_and_b32_e32 v69, exec_lo, v69
	v_not_b32_e32 v72, v74
	v_ashrrev_i32_e32 v71, 31, v71
	v_xor_b32_e32 v70, vcc_lo, v70
	v_cmp_gt_i32_e32 vcc_lo, 0, v74
	v_and_b32_e32 v69, v69, v186
	v_not_b32_e32 v74, v75
	v_ashrrev_i32_e32 v72, 31, v72
	v_xor_b32_e32 v71, s17, v71
	v_cmp_gt_i32_e64 s17, 0, v75
	v_and_b32_e32 v69, v69, v70
	v_not_b32_e32 v70, v185
	v_ashrrev_i32_e32 v74, 31, v74
	v_xor_b32_e32 v72, vcc_lo, v72
	v_cmp_gt_i32_e32 vcc_lo, 0, v185
	v_and_b32_e32 v69, v69, v71
	v_not_b32_e32 v71, v73
	v_ashrrev_i32_e32 v70, 31, v70
	v_xor_b32_e32 v74, s17, v74
	v_mul_u32_u24_e32 v68, 9, v68
	v_and_b32_e32 v69, v69, v72
	v_cmp_gt_i32_e64 s17, 0, v73
	v_ashrrev_i32_e32 v71, 31, v71
	v_xor_b32_e32 v70, vcc_lo, v70
	v_add_lshl_u32 v72, v68, v158, 2
	v_and_b32_e32 v69, v69, v74
	s_delay_alu instid0(VALU_DEP_4) | instskip(SKIP_3) | instid1(VALU_DEP_2)
	v_xor_b32_e32 v68, s17, v71
	ds_load_b32 v185, v72 offset:1056
	v_and_b32_e32 v69, v69, v70
	v_add_nc_u32_e32 v187, 0x420, v72
	; wave barrier
	v_and_b32_e32 v68, v69, v68
	s_delay_alu instid0(VALU_DEP_1) | instskip(SKIP_1) | instid1(VALU_DEP_2)
	v_mbcnt_lo_u32_b32 v186, v68, 0
	v_cmp_ne_u32_e64 s17, 0, v68
	v_cmp_eq_u32_e32 vcc_lo, 0, v186
	s_delay_alu instid0(VALU_DEP_2) | instskip(NEXT) | instid1(SALU_CYCLE_1)
	s_and_b32 s18, s17, vcc_lo
	s_and_saveexec_b32 s17, s18
	s_cbranch_execz .LBB1258_147
; %bb.146:                              ;   in Loop: Header=BB1258_103 Depth=2
	s_waitcnt lgkmcnt(0)
	v_bcnt_u32_b32 v68, v68, v185
	ds_store_b32 v187, v68
.LBB1258_147:                           ;   in Loop: Header=BB1258_103 Depth=2
	s_or_b32 exec_lo, exec_lo, s17
	v_cmp_lt_i64_e32 vcc_lo, -1, v[52:53]
	v_ashrrev_i32_e32 v69, 31, v53
	; wave barrier
	s_delay_alu instid0(VALU_DEP_1) | instskip(SKIP_1) | instid1(VALU_DEP_1)
	v_xor_b32_e32 v52, v69, v52
	v_cndmask_b32_e64 v68, -1, 0x80000000, vcc_lo
	v_xor_b32_e32 v53, v68, v53
	s_delay_alu instid0(VALU_DEP_1) | instskip(SKIP_2) | instid1(VALU_DEP_1)
	v_cmp_ne_u64_e32 vcc_lo, s[38:39], v[52:53]
	v_cndmask_b32_e32 v69, 0x80000000, v53, vcc_lo
	v_cndmask_b32_e32 v68, 0, v52, vcc_lo
	v_lshrrev_b64 v[68:69], s41, v[68:69]
	s_delay_alu instid0(VALU_DEP_1) | instskip(NEXT) | instid1(VALU_DEP_1)
	v_and_b32_e32 v68, s43, v68
	v_and_b32_e32 v69, 1, v68
	v_lshlrev_b32_e32 v70, 30, v68
	v_lshlrev_b32_e32 v71, 29, v68
	;; [unrolled: 1-line block ×4, first 2 shown]
	v_add_co_u32 v69, s17, v69, -1
	s_delay_alu instid0(VALU_DEP_1)
	v_cndmask_b32_e64 v73, 0, 1, s17
	v_not_b32_e32 v189, v70
	v_cmp_gt_i32_e64 s17, 0, v70
	v_not_b32_e32 v70, v71
	v_lshlrev_b32_e32 v75, 26, v68
	v_cmp_ne_u32_e32 vcc_lo, 0, v73
	v_ashrrev_i32_e32 v189, 31, v189
	v_lshlrev_b32_e32 v188, 25, v68
	v_ashrrev_i32_e32 v70, 31, v70
	v_lshlrev_b32_e32 v73, 24, v68
	v_xor_b32_e32 v69, vcc_lo, v69
	v_cmp_gt_i32_e32 vcc_lo, 0, v71
	v_not_b32_e32 v71, v72
	v_xor_b32_e32 v189, s17, v189
	v_cmp_gt_i32_e64 s17, 0, v72
	v_and_b32_e32 v69, exec_lo, v69
	v_not_b32_e32 v72, v74
	v_ashrrev_i32_e32 v71, 31, v71
	v_xor_b32_e32 v70, vcc_lo, v70
	v_cmp_gt_i32_e32 vcc_lo, 0, v74
	v_and_b32_e32 v69, v69, v189
	v_not_b32_e32 v74, v75
	v_ashrrev_i32_e32 v72, 31, v72
	v_xor_b32_e32 v71, s17, v71
	v_cmp_gt_i32_e64 s17, 0, v75
	v_and_b32_e32 v69, v69, v70
	v_not_b32_e32 v70, v188
	v_ashrrev_i32_e32 v74, 31, v74
	v_xor_b32_e32 v72, vcc_lo, v72
	v_cmp_gt_i32_e32 vcc_lo, 0, v188
	v_and_b32_e32 v69, v69, v71
	v_not_b32_e32 v71, v73
	v_ashrrev_i32_e32 v70, 31, v70
	v_xor_b32_e32 v74, s17, v74
	v_mul_u32_u24_e32 v68, 9, v68
	v_and_b32_e32 v69, v69, v72
	v_cmp_gt_i32_e64 s17, 0, v73
	v_ashrrev_i32_e32 v71, 31, v71
	v_xor_b32_e32 v70, vcc_lo, v70
	v_add_lshl_u32 v72, v68, v158, 2
	v_and_b32_e32 v69, v69, v74
	s_delay_alu instid0(VALU_DEP_4) | instskip(SKIP_3) | instid1(VALU_DEP_2)
	v_xor_b32_e32 v68, s17, v71
	ds_load_b32 v188, v72 offset:1056
	v_and_b32_e32 v69, v69, v70
	v_add_nc_u32_e32 v190, 0x420, v72
	; wave barrier
	v_and_b32_e32 v68, v69, v68
	s_delay_alu instid0(VALU_DEP_1) | instskip(SKIP_1) | instid1(VALU_DEP_2)
	v_mbcnt_lo_u32_b32 v189, v68, 0
	v_cmp_ne_u32_e64 s17, 0, v68
	v_cmp_eq_u32_e32 vcc_lo, 0, v189
	s_delay_alu instid0(VALU_DEP_2) | instskip(NEXT) | instid1(SALU_CYCLE_1)
	s_and_b32 s18, s17, vcc_lo
	s_and_saveexec_b32 s17, s18
	s_cbranch_execz .LBB1258_149
; %bb.148:                              ;   in Loop: Header=BB1258_103 Depth=2
	s_waitcnt lgkmcnt(0)
	v_bcnt_u32_b32 v68, v68, v188
	ds_store_b32 v190, v68
.LBB1258_149:                           ;   in Loop: Header=BB1258_103 Depth=2
	s_or_b32 exec_lo, exec_lo, s17
	v_cmp_lt_i64_e32 vcc_lo, -1, v[58:59]
	v_ashrrev_i32_e32 v69, 31, v59
	; wave barrier
	s_delay_alu instid0(VALU_DEP_1) | instskip(SKIP_1) | instid1(VALU_DEP_1)
	v_xor_b32_e32 v58, v69, v58
	v_cndmask_b32_e64 v68, -1, 0x80000000, vcc_lo
	v_xor_b32_e32 v59, v68, v59
	s_delay_alu instid0(VALU_DEP_1) | instskip(SKIP_2) | instid1(VALU_DEP_1)
	v_cmp_ne_u64_e32 vcc_lo, s[38:39], v[58:59]
	v_cndmask_b32_e32 v69, 0x80000000, v59, vcc_lo
	v_cndmask_b32_e32 v68, 0, v58, vcc_lo
	v_lshrrev_b64 v[68:69], s41, v[68:69]
	s_delay_alu instid0(VALU_DEP_1) | instskip(NEXT) | instid1(VALU_DEP_1)
	v_and_b32_e32 v68, s43, v68
	v_and_b32_e32 v69, 1, v68
	v_lshlrev_b32_e32 v70, 30, v68
	v_lshlrev_b32_e32 v71, 29, v68
	;; [unrolled: 1-line block ×4, first 2 shown]
	v_add_co_u32 v69, s17, v69, -1
	s_delay_alu instid0(VALU_DEP_1)
	v_cndmask_b32_e64 v73, 0, 1, s17
	v_not_b32_e32 v192, v70
	v_cmp_gt_i32_e64 s17, 0, v70
	v_not_b32_e32 v70, v71
	v_lshlrev_b32_e32 v75, 26, v68
	v_cmp_ne_u32_e32 vcc_lo, 0, v73
	v_ashrrev_i32_e32 v192, 31, v192
	v_lshlrev_b32_e32 v191, 25, v68
	v_ashrrev_i32_e32 v70, 31, v70
	v_lshlrev_b32_e32 v73, 24, v68
	v_xor_b32_e32 v69, vcc_lo, v69
	v_cmp_gt_i32_e32 vcc_lo, 0, v71
	v_not_b32_e32 v71, v72
	v_xor_b32_e32 v192, s17, v192
	v_cmp_gt_i32_e64 s17, 0, v72
	v_and_b32_e32 v69, exec_lo, v69
	v_not_b32_e32 v72, v74
	v_ashrrev_i32_e32 v71, 31, v71
	v_xor_b32_e32 v70, vcc_lo, v70
	v_cmp_gt_i32_e32 vcc_lo, 0, v74
	v_and_b32_e32 v69, v69, v192
	v_not_b32_e32 v74, v75
	v_ashrrev_i32_e32 v72, 31, v72
	v_xor_b32_e32 v71, s17, v71
	v_cmp_gt_i32_e64 s17, 0, v75
	v_and_b32_e32 v69, v69, v70
	v_not_b32_e32 v70, v191
	v_ashrrev_i32_e32 v74, 31, v74
	v_xor_b32_e32 v72, vcc_lo, v72
	v_cmp_gt_i32_e32 vcc_lo, 0, v191
	v_and_b32_e32 v69, v69, v71
	v_not_b32_e32 v71, v73
	v_ashrrev_i32_e32 v70, 31, v70
	v_xor_b32_e32 v74, s17, v74
	v_mul_u32_u24_e32 v68, 9, v68
	v_and_b32_e32 v69, v69, v72
	v_cmp_gt_i32_e64 s17, 0, v73
	v_ashrrev_i32_e32 v71, 31, v71
	v_xor_b32_e32 v70, vcc_lo, v70
	v_add_lshl_u32 v72, v68, v158, 2
	v_and_b32_e32 v69, v69, v74
	s_delay_alu instid0(VALU_DEP_4) | instskip(SKIP_3) | instid1(VALU_DEP_2)
	v_xor_b32_e32 v68, s17, v71
	ds_load_b32 v191, v72 offset:1056
	v_and_b32_e32 v69, v69, v70
	v_add_nc_u32_e32 v193, 0x420, v72
	; wave barrier
	v_and_b32_e32 v68, v69, v68
	s_delay_alu instid0(VALU_DEP_1) | instskip(SKIP_1) | instid1(VALU_DEP_2)
	v_mbcnt_lo_u32_b32 v192, v68, 0
	v_cmp_ne_u32_e64 s17, 0, v68
	v_cmp_eq_u32_e32 vcc_lo, 0, v192
	s_delay_alu instid0(VALU_DEP_2) | instskip(NEXT) | instid1(SALU_CYCLE_1)
	s_and_b32 s18, s17, vcc_lo
	s_and_saveexec_b32 s17, s18
	s_cbranch_execz .LBB1258_151
; %bb.150:                              ;   in Loop: Header=BB1258_103 Depth=2
	s_waitcnt lgkmcnt(0)
	v_bcnt_u32_b32 v68, v68, v191
	ds_store_b32 v193, v68
.LBB1258_151:                           ;   in Loop: Header=BB1258_103 Depth=2
	s_or_b32 exec_lo, exec_lo, s17
	v_cmp_lt_i64_e32 vcc_lo, -1, v[62:63]
	v_ashrrev_i32_e32 v69, 31, v63
	; wave barrier
	s_delay_alu instid0(VALU_DEP_1) | instskip(SKIP_1) | instid1(VALU_DEP_1)
	v_xor_b32_e32 v62, v69, v62
	v_cndmask_b32_e64 v68, -1, 0x80000000, vcc_lo
	v_xor_b32_e32 v63, v68, v63
	s_delay_alu instid0(VALU_DEP_1) | instskip(SKIP_2) | instid1(VALU_DEP_1)
	v_cmp_ne_u64_e32 vcc_lo, s[38:39], v[62:63]
	v_cndmask_b32_e32 v69, 0x80000000, v63, vcc_lo
	v_cndmask_b32_e32 v68, 0, v62, vcc_lo
	v_lshrrev_b64 v[68:69], s41, v[68:69]
	s_delay_alu instid0(VALU_DEP_1) | instskip(NEXT) | instid1(VALU_DEP_1)
	v_and_b32_e32 v68, s43, v68
	v_and_b32_e32 v69, 1, v68
	v_lshlrev_b32_e32 v70, 30, v68
	v_lshlrev_b32_e32 v71, 29, v68
	v_lshlrev_b32_e32 v72, 28, v68
	v_lshlrev_b32_e32 v74, 27, v68
	v_add_co_u32 v69, s17, v69, -1
	s_delay_alu instid0(VALU_DEP_1)
	v_cndmask_b32_e64 v73, 0, 1, s17
	v_not_b32_e32 v195, v70
	v_cmp_gt_i32_e64 s17, 0, v70
	v_not_b32_e32 v70, v71
	v_lshlrev_b32_e32 v75, 26, v68
	v_cmp_ne_u32_e32 vcc_lo, 0, v73
	v_ashrrev_i32_e32 v195, 31, v195
	v_lshlrev_b32_e32 v194, 25, v68
	v_ashrrev_i32_e32 v70, 31, v70
	v_lshlrev_b32_e32 v73, 24, v68
	v_xor_b32_e32 v69, vcc_lo, v69
	v_cmp_gt_i32_e32 vcc_lo, 0, v71
	v_not_b32_e32 v71, v72
	v_xor_b32_e32 v195, s17, v195
	v_cmp_gt_i32_e64 s17, 0, v72
	v_and_b32_e32 v69, exec_lo, v69
	v_not_b32_e32 v72, v74
	v_ashrrev_i32_e32 v71, 31, v71
	v_xor_b32_e32 v70, vcc_lo, v70
	v_cmp_gt_i32_e32 vcc_lo, 0, v74
	v_and_b32_e32 v69, v69, v195
	v_not_b32_e32 v74, v75
	v_ashrrev_i32_e32 v72, 31, v72
	v_xor_b32_e32 v71, s17, v71
	v_cmp_gt_i32_e64 s17, 0, v75
	v_and_b32_e32 v69, v69, v70
	v_not_b32_e32 v70, v194
	v_ashrrev_i32_e32 v74, 31, v74
	v_xor_b32_e32 v72, vcc_lo, v72
	v_cmp_gt_i32_e32 vcc_lo, 0, v194
	v_and_b32_e32 v69, v69, v71
	v_not_b32_e32 v71, v73
	v_ashrrev_i32_e32 v70, 31, v70
	v_xor_b32_e32 v74, s17, v74
	v_mul_u32_u24_e32 v68, 9, v68
	v_and_b32_e32 v69, v69, v72
	v_cmp_gt_i32_e64 s17, 0, v73
	v_ashrrev_i32_e32 v71, 31, v71
	v_xor_b32_e32 v70, vcc_lo, v70
	v_add_lshl_u32 v72, v68, v158, 2
	v_and_b32_e32 v69, v69, v74
	s_delay_alu instid0(VALU_DEP_4) | instskip(SKIP_3) | instid1(VALU_DEP_2)
	v_xor_b32_e32 v68, s17, v71
	ds_load_b32 v194, v72 offset:1056
	v_and_b32_e32 v69, v69, v70
	v_add_nc_u32_e32 v196, 0x420, v72
	; wave barrier
	v_and_b32_e32 v68, v69, v68
	s_delay_alu instid0(VALU_DEP_1) | instskip(SKIP_1) | instid1(VALU_DEP_2)
	v_mbcnt_lo_u32_b32 v195, v68, 0
	v_cmp_ne_u32_e64 s17, 0, v68
	v_cmp_eq_u32_e32 vcc_lo, 0, v195
	s_delay_alu instid0(VALU_DEP_2) | instskip(NEXT) | instid1(SALU_CYCLE_1)
	s_and_b32 s18, s17, vcc_lo
	s_and_saveexec_b32 s17, s18
	s_cbranch_execz .LBB1258_153
; %bb.152:                              ;   in Loop: Header=BB1258_103 Depth=2
	s_waitcnt lgkmcnt(0)
	v_bcnt_u32_b32 v68, v68, v194
	ds_store_b32 v196, v68
.LBB1258_153:                           ;   in Loop: Header=BB1258_103 Depth=2
	s_or_b32 exec_lo, exec_lo, s17
	v_cmp_lt_i64_e32 vcc_lo, -1, v[66:67]
	v_ashrrev_i32_e32 v69, 31, v67
	; wave barrier
	s_delay_alu instid0(VALU_DEP_1) | instskip(SKIP_1) | instid1(VALU_DEP_1)
	v_xor_b32_e32 v66, v69, v66
	v_cndmask_b32_e64 v68, -1, 0x80000000, vcc_lo
	v_xor_b32_e32 v67, v68, v67
	s_delay_alu instid0(VALU_DEP_1) | instskip(SKIP_2) | instid1(VALU_DEP_1)
	v_cmp_ne_u64_e32 vcc_lo, s[38:39], v[66:67]
	v_cndmask_b32_e32 v69, 0x80000000, v67, vcc_lo
	v_cndmask_b32_e32 v68, 0, v66, vcc_lo
	v_lshrrev_b64 v[68:69], s41, v[68:69]
	s_delay_alu instid0(VALU_DEP_1) | instskip(NEXT) | instid1(VALU_DEP_1)
	v_and_b32_e32 v68, s43, v68
	v_and_b32_e32 v69, 1, v68
	v_lshlrev_b32_e32 v70, 30, v68
	v_lshlrev_b32_e32 v71, 29, v68
	;; [unrolled: 1-line block ×4, first 2 shown]
	v_add_co_u32 v69, s17, v69, -1
	s_delay_alu instid0(VALU_DEP_1)
	v_cndmask_b32_e64 v73, 0, 1, s17
	v_not_b32_e32 v198, v70
	v_cmp_gt_i32_e64 s17, 0, v70
	v_not_b32_e32 v70, v71
	v_lshlrev_b32_e32 v75, 26, v68
	v_cmp_ne_u32_e32 vcc_lo, 0, v73
	v_ashrrev_i32_e32 v198, 31, v198
	v_lshlrev_b32_e32 v197, 25, v68
	v_ashrrev_i32_e32 v70, 31, v70
	v_lshlrev_b32_e32 v73, 24, v68
	v_xor_b32_e32 v69, vcc_lo, v69
	v_cmp_gt_i32_e32 vcc_lo, 0, v71
	v_not_b32_e32 v71, v72
	v_xor_b32_e32 v198, s17, v198
	v_cmp_gt_i32_e64 s17, 0, v72
	v_and_b32_e32 v69, exec_lo, v69
	v_not_b32_e32 v72, v74
	v_ashrrev_i32_e32 v71, 31, v71
	v_xor_b32_e32 v70, vcc_lo, v70
	v_cmp_gt_i32_e32 vcc_lo, 0, v74
	v_and_b32_e32 v69, v69, v198
	v_not_b32_e32 v74, v75
	v_ashrrev_i32_e32 v72, 31, v72
	v_xor_b32_e32 v71, s17, v71
	v_cmp_gt_i32_e64 s17, 0, v75
	v_and_b32_e32 v69, v69, v70
	v_not_b32_e32 v70, v197
	v_ashrrev_i32_e32 v74, 31, v74
	v_xor_b32_e32 v72, vcc_lo, v72
	v_cmp_gt_i32_e32 vcc_lo, 0, v197
	v_and_b32_e32 v69, v69, v71
	v_not_b32_e32 v71, v73
	v_ashrrev_i32_e32 v70, 31, v70
	v_xor_b32_e32 v74, s17, v74
	v_mul_u32_u24_e32 v68, 9, v68
	v_and_b32_e32 v69, v69, v72
	v_cmp_gt_i32_e64 s17, 0, v73
	v_ashrrev_i32_e32 v71, 31, v71
	v_xor_b32_e32 v70, vcc_lo, v70
	v_add_lshl_u32 v72, v68, v158, 2
	v_and_b32_e32 v69, v69, v74
	s_delay_alu instid0(VALU_DEP_4) | instskip(SKIP_3) | instid1(VALU_DEP_2)
	v_xor_b32_e32 v68, s17, v71
	ds_load_b32 v197, v72 offset:1056
	v_and_b32_e32 v69, v69, v70
	v_add_nc_u32_e32 v199, 0x420, v72
	; wave barrier
	v_and_b32_e32 v68, v69, v68
	s_delay_alu instid0(VALU_DEP_1) | instskip(SKIP_1) | instid1(VALU_DEP_2)
	v_mbcnt_lo_u32_b32 v198, v68, 0
	v_cmp_ne_u32_e64 s17, 0, v68
	v_cmp_eq_u32_e32 vcc_lo, 0, v198
	s_delay_alu instid0(VALU_DEP_2) | instskip(NEXT) | instid1(SALU_CYCLE_1)
	s_and_b32 s18, s17, vcc_lo
	s_and_saveexec_b32 s17, s18
	s_cbranch_execz .LBB1258_155
; %bb.154:                              ;   in Loop: Header=BB1258_103 Depth=2
	s_waitcnt lgkmcnt(0)
	v_bcnt_u32_b32 v68, v68, v197
	ds_store_b32 v199, v68
.LBB1258_155:                           ;   in Loop: Header=BB1258_103 Depth=2
	s_or_b32 exec_lo, exec_lo, s17
	v_cmp_lt_i64_e32 vcc_lo, -1, v[64:65]
	v_ashrrev_i32_e32 v69, 31, v65
	; wave barrier
	s_delay_alu instid0(VALU_DEP_1) | instskip(SKIP_1) | instid1(VALU_DEP_1)
	v_xor_b32_e32 v64, v69, v64
	v_cndmask_b32_e64 v68, -1, 0x80000000, vcc_lo
	v_xor_b32_e32 v65, v68, v65
	s_delay_alu instid0(VALU_DEP_1) | instskip(SKIP_2) | instid1(VALU_DEP_1)
	v_cmp_ne_u64_e32 vcc_lo, s[38:39], v[64:65]
	v_cndmask_b32_e32 v69, 0x80000000, v65, vcc_lo
	v_cndmask_b32_e32 v68, 0, v64, vcc_lo
	v_lshrrev_b64 v[68:69], s41, v[68:69]
	s_delay_alu instid0(VALU_DEP_1) | instskip(NEXT) | instid1(VALU_DEP_1)
	v_and_b32_e32 v68, s43, v68
	v_and_b32_e32 v69, 1, v68
	v_lshlrev_b32_e32 v70, 30, v68
	v_lshlrev_b32_e32 v71, 29, v68
	v_lshlrev_b32_e32 v72, 28, v68
	v_lshlrev_b32_e32 v74, 27, v68
	v_add_co_u32 v69, s17, v69, -1
	s_delay_alu instid0(VALU_DEP_1)
	v_cndmask_b32_e64 v73, 0, 1, s17
	v_not_b32_e32 v201, v70
	v_cmp_gt_i32_e64 s17, 0, v70
	v_not_b32_e32 v70, v71
	v_lshlrev_b32_e32 v75, 26, v68
	v_cmp_ne_u32_e32 vcc_lo, 0, v73
	v_ashrrev_i32_e32 v201, 31, v201
	v_lshlrev_b32_e32 v200, 25, v68
	v_ashrrev_i32_e32 v70, 31, v70
	v_lshlrev_b32_e32 v73, 24, v68
	v_xor_b32_e32 v69, vcc_lo, v69
	v_cmp_gt_i32_e32 vcc_lo, 0, v71
	v_not_b32_e32 v71, v72
	v_xor_b32_e32 v201, s17, v201
	v_cmp_gt_i32_e64 s17, 0, v72
	v_and_b32_e32 v69, exec_lo, v69
	v_not_b32_e32 v72, v74
	v_ashrrev_i32_e32 v71, 31, v71
	v_xor_b32_e32 v70, vcc_lo, v70
	v_cmp_gt_i32_e32 vcc_lo, 0, v74
	v_and_b32_e32 v69, v69, v201
	v_not_b32_e32 v74, v75
	v_ashrrev_i32_e32 v72, 31, v72
	v_xor_b32_e32 v71, s17, v71
	v_cmp_gt_i32_e64 s17, 0, v75
	v_and_b32_e32 v69, v69, v70
	v_not_b32_e32 v70, v200
	v_ashrrev_i32_e32 v74, 31, v74
	v_xor_b32_e32 v72, vcc_lo, v72
	v_cmp_gt_i32_e32 vcc_lo, 0, v200
	v_and_b32_e32 v69, v69, v71
	v_not_b32_e32 v71, v73
	v_ashrrev_i32_e32 v70, 31, v70
	v_xor_b32_e32 v74, s17, v74
	v_mul_u32_u24_e32 v68, 9, v68
	v_and_b32_e32 v69, v69, v72
	v_cmp_gt_i32_e64 s17, 0, v73
	v_ashrrev_i32_e32 v71, 31, v71
	v_xor_b32_e32 v70, vcc_lo, v70
	v_add_lshl_u32 v72, v68, v158, 2
	v_and_b32_e32 v69, v69, v74
	s_delay_alu instid0(VALU_DEP_4) | instskip(SKIP_3) | instid1(VALU_DEP_2)
	v_xor_b32_e32 v68, s17, v71
	ds_load_b32 v200, v72 offset:1056
	v_and_b32_e32 v69, v69, v70
	v_add_nc_u32_e32 v202, 0x420, v72
	; wave barrier
	v_and_b32_e32 v68, v69, v68
	s_delay_alu instid0(VALU_DEP_1) | instskip(SKIP_1) | instid1(VALU_DEP_2)
	v_mbcnt_lo_u32_b32 v201, v68, 0
	v_cmp_ne_u32_e64 s17, 0, v68
	v_cmp_eq_u32_e32 vcc_lo, 0, v201
	s_delay_alu instid0(VALU_DEP_2) | instskip(NEXT) | instid1(SALU_CYCLE_1)
	s_and_b32 s18, s17, vcc_lo
	s_and_saveexec_b32 s17, s18
	s_cbranch_execz .LBB1258_157
; %bb.156:                              ;   in Loop: Header=BB1258_103 Depth=2
	s_waitcnt lgkmcnt(0)
	v_bcnt_u32_b32 v68, v68, v200
	ds_store_b32 v202, v68
.LBB1258_157:                           ;   in Loop: Header=BB1258_103 Depth=2
	s_or_b32 exec_lo, exec_lo, s17
	v_cmp_lt_i64_e32 vcc_lo, -1, v[60:61]
	v_ashrrev_i32_e32 v69, 31, v61
	; wave barrier
	s_delay_alu instid0(VALU_DEP_1) | instskip(SKIP_1) | instid1(VALU_DEP_1)
	v_xor_b32_e32 v60, v69, v60
	v_cndmask_b32_e64 v68, -1, 0x80000000, vcc_lo
	v_xor_b32_e32 v61, v68, v61
	s_delay_alu instid0(VALU_DEP_1) | instskip(SKIP_2) | instid1(VALU_DEP_1)
	v_cmp_ne_u64_e32 vcc_lo, s[38:39], v[60:61]
	v_cndmask_b32_e32 v69, 0x80000000, v61, vcc_lo
	v_cndmask_b32_e32 v68, 0, v60, vcc_lo
	v_lshrrev_b64 v[68:69], s41, v[68:69]
	s_delay_alu instid0(VALU_DEP_1) | instskip(NEXT) | instid1(VALU_DEP_1)
	v_and_b32_e32 v68, s43, v68
	v_and_b32_e32 v69, 1, v68
	v_lshlrev_b32_e32 v70, 30, v68
	v_lshlrev_b32_e32 v71, 29, v68
	;; [unrolled: 1-line block ×4, first 2 shown]
	v_add_co_u32 v69, s17, v69, -1
	s_delay_alu instid0(VALU_DEP_1)
	v_cndmask_b32_e64 v73, 0, 1, s17
	v_not_b32_e32 v204, v70
	v_cmp_gt_i32_e64 s17, 0, v70
	v_not_b32_e32 v70, v71
	v_lshlrev_b32_e32 v75, 26, v68
	v_cmp_ne_u32_e32 vcc_lo, 0, v73
	v_ashrrev_i32_e32 v204, 31, v204
	v_lshlrev_b32_e32 v203, 25, v68
	v_ashrrev_i32_e32 v70, 31, v70
	v_lshlrev_b32_e32 v73, 24, v68
	v_xor_b32_e32 v69, vcc_lo, v69
	v_cmp_gt_i32_e32 vcc_lo, 0, v71
	v_not_b32_e32 v71, v72
	v_xor_b32_e32 v204, s17, v204
	v_cmp_gt_i32_e64 s17, 0, v72
	v_and_b32_e32 v69, exec_lo, v69
	v_not_b32_e32 v72, v74
	v_ashrrev_i32_e32 v71, 31, v71
	v_xor_b32_e32 v70, vcc_lo, v70
	v_cmp_gt_i32_e32 vcc_lo, 0, v74
	v_and_b32_e32 v69, v69, v204
	v_not_b32_e32 v74, v75
	v_ashrrev_i32_e32 v72, 31, v72
	v_xor_b32_e32 v71, s17, v71
	v_cmp_gt_i32_e64 s17, 0, v75
	v_and_b32_e32 v69, v69, v70
	v_not_b32_e32 v70, v203
	v_ashrrev_i32_e32 v74, 31, v74
	v_xor_b32_e32 v72, vcc_lo, v72
	v_cmp_gt_i32_e32 vcc_lo, 0, v203
	v_and_b32_e32 v69, v69, v71
	v_not_b32_e32 v71, v73
	v_ashrrev_i32_e32 v70, 31, v70
	v_xor_b32_e32 v74, s17, v74
	v_mul_u32_u24_e32 v68, 9, v68
	v_and_b32_e32 v69, v69, v72
	v_cmp_gt_i32_e64 s17, 0, v73
	v_ashrrev_i32_e32 v71, 31, v71
	v_xor_b32_e32 v70, vcc_lo, v70
	v_add_lshl_u32 v72, v68, v158, 2
	v_and_b32_e32 v69, v69, v74
	s_delay_alu instid0(VALU_DEP_4) | instskip(SKIP_3) | instid1(VALU_DEP_2)
	v_xor_b32_e32 v68, s17, v71
	ds_load_b32 v203, v72 offset:1056
	v_and_b32_e32 v69, v69, v70
	v_add_nc_u32_e32 v205, 0x420, v72
	; wave barrier
	v_and_b32_e32 v68, v69, v68
	s_delay_alu instid0(VALU_DEP_1) | instskip(SKIP_1) | instid1(VALU_DEP_2)
	v_mbcnt_lo_u32_b32 v204, v68, 0
	v_cmp_ne_u32_e64 s17, 0, v68
	v_cmp_eq_u32_e32 vcc_lo, 0, v204
	s_delay_alu instid0(VALU_DEP_2) | instskip(NEXT) | instid1(SALU_CYCLE_1)
	s_and_b32 s18, s17, vcc_lo
	s_and_saveexec_b32 s17, s18
	s_cbranch_execz .LBB1258_159
; %bb.158:                              ;   in Loop: Header=BB1258_103 Depth=2
	s_waitcnt lgkmcnt(0)
	v_bcnt_u32_b32 v68, v68, v203
	ds_store_b32 v205, v68
.LBB1258_159:                           ;   in Loop: Header=BB1258_103 Depth=2
	s_or_b32 exec_lo, exec_lo, s17
	v_cmp_lt_i64_e32 vcc_lo, -1, v[56:57]
	v_ashrrev_i32_e32 v69, 31, v57
	; wave barrier
	s_delay_alu instid0(VALU_DEP_1) | instskip(SKIP_1) | instid1(VALU_DEP_1)
	v_xor_b32_e32 v56, v69, v56
	v_cndmask_b32_e64 v68, -1, 0x80000000, vcc_lo
	v_xor_b32_e32 v57, v68, v57
	s_delay_alu instid0(VALU_DEP_1) | instskip(SKIP_2) | instid1(VALU_DEP_1)
	v_cmp_ne_u64_e32 vcc_lo, s[38:39], v[56:57]
	v_cndmask_b32_e32 v69, 0x80000000, v57, vcc_lo
	v_cndmask_b32_e32 v68, 0, v56, vcc_lo
	v_lshrrev_b64 v[68:69], s41, v[68:69]
	s_delay_alu instid0(VALU_DEP_1) | instskip(NEXT) | instid1(VALU_DEP_1)
	v_and_b32_e32 v68, s43, v68
	v_and_b32_e32 v69, 1, v68
	v_lshlrev_b32_e32 v70, 30, v68
	v_lshlrev_b32_e32 v71, 29, v68
	;; [unrolled: 1-line block ×4, first 2 shown]
	v_add_co_u32 v69, s17, v69, -1
	s_delay_alu instid0(VALU_DEP_1)
	v_cndmask_b32_e64 v73, 0, 1, s17
	v_not_b32_e32 v207, v70
	v_cmp_gt_i32_e64 s17, 0, v70
	v_not_b32_e32 v70, v71
	v_lshlrev_b32_e32 v75, 26, v68
	v_cmp_ne_u32_e32 vcc_lo, 0, v73
	v_ashrrev_i32_e32 v207, 31, v207
	v_lshlrev_b32_e32 v206, 25, v68
	v_ashrrev_i32_e32 v70, 31, v70
	v_lshlrev_b32_e32 v73, 24, v68
	v_xor_b32_e32 v69, vcc_lo, v69
	v_cmp_gt_i32_e32 vcc_lo, 0, v71
	v_not_b32_e32 v71, v72
	v_xor_b32_e32 v207, s17, v207
	v_cmp_gt_i32_e64 s17, 0, v72
	v_and_b32_e32 v69, exec_lo, v69
	v_not_b32_e32 v72, v74
	v_ashrrev_i32_e32 v71, 31, v71
	v_xor_b32_e32 v70, vcc_lo, v70
	v_cmp_gt_i32_e32 vcc_lo, 0, v74
	v_and_b32_e32 v69, v69, v207
	v_not_b32_e32 v74, v75
	v_ashrrev_i32_e32 v72, 31, v72
	v_xor_b32_e32 v71, s17, v71
	v_cmp_gt_i32_e64 s17, 0, v75
	v_and_b32_e32 v69, v69, v70
	v_not_b32_e32 v70, v206
	v_ashrrev_i32_e32 v74, 31, v74
	v_xor_b32_e32 v72, vcc_lo, v72
	v_cmp_gt_i32_e32 vcc_lo, 0, v206
	v_and_b32_e32 v69, v69, v71
	v_not_b32_e32 v71, v73
	v_ashrrev_i32_e32 v70, 31, v70
	v_xor_b32_e32 v74, s17, v74
	v_mul_u32_u24_e32 v68, 9, v68
	v_and_b32_e32 v69, v69, v72
	v_cmp_gt_i32_e64 s17, 0, v73
	v_ashrrev_i32_e32 v71, 31, v71
	v_xor_b32_e32 v70, vcc_lo, v70
	v_add_lshl_u32 v72, v68, v158, 2
	v_and_b32_e32 v69, v69, v74
	s_delay_alu instid0(VALU_DEP_4) | instskip(SKIP_3) | instid1(VALU_DEP_2)
	v_xor_b32_e32 v68, s17, v71
	ds_load_b32 v206, v72 offset:1056
	v_and_b32_e32 v69, v69, v70
	v_add_nc_u32_e32 v208, 0x420, v72
	; wave barrier
	v_and_b32_e32 v68, v69, v68
	s_delay_alu instid0(VALU_DEP_1) | instskip(SKIP_1) | instid1(VALU_DEP_2)
	v_mbcnt_lo_u32_b32 v207, v68, 0
	v_cmp_ne_u32_e64 s17, 0, v68
	v_cmp_eq_u32_e32 vcc_lo, 0, v207
	s_delay_alu instid0(VALU_DEP_2) | instskip(NEXT) | instid1(SALU_CYCLE_1)
	s_and_b32 s18, s17, vcc_lo
	s_and_saveexec_b32 s17, s18
	s_cbranch_execz .LBB1258_161
; %bb.160:                              ;   in Loop: Header=BB1258_103 Depth=2
	s_waitcnt lgkmcnt(0)
	v_bcnt_u32_b32 v68, v68, v206
	ds_store_b32 v208, v68
.LBB1258_161:                           ;   in Loop: Header=BB1258_103 Depth=2
	s_or_b32 exec_lo, exec_lo, s17
	v_cmp_lt_i64_e32 vcc_lo, -1, v[54:55]
	v_ashrrev_i32_e32 v69, 31, v55
	; wave barrier
	s_delay_alu instid0(VALU_DEP_1) | instskip(SKIP_1) | instid1(VALU_DEP_1)
	v_xor_b32_e32 v54, v69, v54
	v_cndmask_b32_e64 v68, -1, 0x80000000, vcc_lo
	v_xor_b32_e32 v55, v68, v55
	s_delay_alu instid0(VALU_DEP_1) | instskip(SKIP_2) | instid1(VALU_DEP_1)
	v_cmp_ne_u64_e32 vcc_lo, s[38:39], v[54:55]
	v_cndmask_b32_e32 v69, 0x80000000, v55, vcc_lo
	v_cndmask_b32_e32 v68, 0, v54, vcc_lo
	v_lshrrev_b64 v[68:69], s41, v[68:69]
	s_delay_alu instid0(VALU_DEP_1) | instskip(NEXT) | instid1(VALU_DEP_1)
	v_and_b32_e32 v68, s43, v68
	v_and_b32_e32 v69, 1, v68
	v_lshlrev_b32_e32 v70, 30, v68
	v_lshlrev_b32_e32 v71, 29, v68
	;; [unrolled: 1-line block ×4, first 2 shown]
	v_add_co_u32 v69, s17, v69, -1
	s_delay_alu instid0(VALU_DEP_1)
	v_cndmask_b32_e64 v73, 0, 1, s17
	v_not_b32_e32 v210, v70
	v_cmp_gt_i32_e64 s17, 0, v70
	v_not_b32_e32 v70, v71
	v_lshlrev_b32_e32 v75, 26, v68
	v_cmp_ne_u32_e32 vcc_lo, 0, v73
	v_ashrrev_i32_e32 v210, 31, v210
	v_lshlrev_b32_e32 v209, 25, v68
	v_ashrrev_i32_e32 v70, 31, v70
	v_lshlrev_b32_e32 v73, 24, v68
	v_xor_b32_e32 v69, vcc_lo, v69
	v_cmp_gt_i32_e32 vcc_lo, 0, v71
	v_not_b32_e32 v71, v72
	v_xor_b32_e32 v210, s17, v210
	v_cmp_gt_i32_e64 s17, 0, v72
	v_and_b32_e32 v69, exec_lo, v69
	v_not_b32_e32 v72, v74
	v_ashrrev_i32_e32 v71, 31, v71
	v_xor_b32_e32 v70, vcc_lo, v70
	v_cmp_gt_i32_e32 vcc_lo, 0, v74
	v_and_b32_e32 v69, v69, v210
	v_not_b32_e32 v74, v75
	v_ashrrev_i32_e32 v72, 31, v72
	v_xor_b32_e32 v71, s17, v71
	v_cmp_gt_i32_e64 s17, 0, v75
	v_and_b32_e32 v69, v69, v70
	v_not_b32_e32 v70, v209
	v_ashrrev_i32_e32 v74, 31, v74
	v_xor_b32_e32 v72, vcc_lo, v72
	v_cmp_gt_i32_e32 vcc_lo, 0, v209
	v_and_b32_e32 v69, v69, v71
	v_not_b32_e32 v71, v73
	v_ashrrev_i32_e32 v70, 31, v70
	v_xor_b32_e32 v74, s17, v74
	v_mul_u32_u24_e32 v68, 9, v68
	v_and_b32_e32 v69, v69, v72
	v_cmp_gt_i32_e64 s17, 0, v73
	v_ashrrev_i32_e32 v71, 31, v71
	v_xor_b32_e32 v70, vcc_lo, v70
	v_add_lshl_u32 v72, v68, v158, 2
	v_and_b32_e32 v69, v69, v74
	s_delay_alu instid0(VALU_DEP_4) | instskip(SKIP_3) | instid1(VALU_DEP_2)
	v_xor_b32_e32 v68, s17, v71
	ds_load_b32 v209, v72 offset:1056
	v_and_b32_e32 v69, v69, v70
	v_add_nc_u32_e32 v211, 0x420, v72
	; wave barrier
	v_and_b32_e32 v68, v69, v68
	s_delay_alu instid0(VALU_DEP_1) | instskip(SKIP_1) | instid1(VALU_DEP_2)
	v_mbcnt_lo_u32_b32 v210, v68, 0
	v_cmp_ne_u32_e64 s17, 0, v68
	v_cmp_eq_u32_e32 vcc_lo, 0, v210
	s_delay_alu instid0(VALU_DEP_2) | instskip(NEXT) | instid1(SALU_CYCLE_1)
	s_and_b32 s18, s17, vcc_lo
	s_and_saveexec_b32 s17, s18
	s_cbranch_execz .LBB1258_163
; %bb.162:                              ;   in Loop: Header=BB1258_103 Depth=2
	s_waitcnt lgkmcnt(0)
	v_bcnt_u32_b32 v68, v68, v209
	ds_store_b32 v211, v68
.LBB1258_163:                           ;   in Loop: Header=BB1258_103 Depth=2
	s_or_b32 exec_lo, exec_lo, s17
	v_cmp_lt_i64_e32 vcc_lo, -1, v[50:51]
	v_ashrrev_i32_e32 v69, 31, v51
	; wave barrier
	s_delay_alu instid0(VALU_DEP_1) | instskip(SKIP_1) | instid1(VALU_DEP_1)
	v_xor_b32_e32 v50, v69, v50
	v_cndmask_b32_e64 v68, -1, 0x80000000, vcc_lo
	v_xor_b32_e32 v51, v68, v51
	s_delay_alu instid0(VALU_DEP_1) | instskip(SKIP_2) | instid1(VALU_DEP_1)
	v_cmp_ne_u64_e32 vcc_lo, s[38:39], v[50:51]
	v_cndmask_b32_e32 v69, 0x80000000, v51, vcc_lo
	v_cndmask_b32_e32 v68, 0, v50, vcc_lo
	v_lshrrev_b64 v[68:69], s41, v[68:69]
	s_delay_alu instid0(VALU_DEP_1) | instskip(NEXT) | instid1(VALU_DEP_1)
	v_and_b32_e32 v68, s43, v68
	v_and_b32_e32 v69, 1, v68
	v_lshlrev_b32_e32 v70, 30, v68
	v_lshlrev_b32_e32 v71, 29, v68
	;; [unrolled: 1-line block ×4, first 2 shown]
	v_add_co_u32 v69, s17, v69, -1
	s_delay_alu instid0(VALU_DEP_1)
	v_cndmask_b32_e64 v73, 0, 1, s17
	v_not_b32_e32 v213, v70
	v_cmp_gt_i32_e64 s17, 0, v70
	v_not_b32_e32 v70, v71
	v_lshlrev_b32_e32 v75, 26, v68
	v_cmp_ne_u32_e32 vcc_lo, 0, v73
	v_ashrrev_i32_e32 v213, 31, v213
	v_lshlrev_b32_e32 v212, 25, v68
	v_ashrrev_i32_e32 v70, 31, v70
	v_lshlrev_b32_e32 v73, 24, v68
	v_xor_b32_e32 v69, vcc_lo, v69
	v_cmp_gt_i32_e32 vcc_lo, 0, v71
	v_not_b32_e32 v71, v72
	v_xor_b32_e32 v213, s17, v213
	v_cmp_gt_i32_e64 s17, 0, v72
	v_and_b32_e32 v69, exec_lo, v69
	v_not_b32_e32 v72, v74
	v_ashrrev_i32_e32 v71, 31, v71
	v_xor_b32_e32 v70, vcc_lo, v70
	v_cmp_gt_i32_e32 vcc_lo, 0, v74
	v_and_b32_e32 v69, v69, v213
	v_not_b32_e32 v74, v75
	v_ashrrev_i32_e32 v72, 31, v72
	v_xor_b32_e32 v71, s17, v71
	v_cmp_gt_i32_e64 s17, 0, v75
	v_and_b32_e32 v69, v69, v70
	v_not_b32_e32 v70, v212
	v_ashrrev_i32_e32 v74, 31, v74
	v_xor_b32_e32 v72, vcc_lo, v72
	v_cmp_gt_i32_e32 vcc_lo, 0, v212
	v_and_b32_e32 v69, v69, v71
	v_not_b32_e32 v71, v73
	v_ashrrev_i32_e32 v70, 31, v70
	v_xor_b32_e32 v74, s17, v74
	v_mul_u32_u24_e32 v68, 9, v68
	v_and_b32_e32 v69, v69, v72
	v_cmp_gt_i32_e64 s17, 0, v73
	v_ashrrev_i32_e32 v71, 31, v71
	v_xor_b32_e32 v70, vcc_lo, v70
	v_add_lshl_u32 v72, v68, v158, 2
	v_and_b32_e32 v69, v69, v74
	s_delay_alu instid0(VALU_DEP_4) | instskip(SKIP_3) | instid1(VALU_DEP_2)
	v_xor_b32_e32 v68, s17, v71
	ds_load_b32 v212, v72 offset:1056
	v_and_b32_e32 v69, v69, v70
	v_add_nc_u32_e32 v214, 0x420, v72
	; wave barrier
	v_and_b32_e32 v68, v69, v68
	s_delay_alu instid0(VALU_DEP_1) | instskip(SKIP_1) | instid1(VALU_DEP_2)
	v_mbcnt_lo_u32_b32 v213, v68, 0
	v_cmp_ne_u32_e64 s17, 0, v68
	v_cmp_eq_u32_e32 vcc_lo, 0, v213
	s_delay_alu instid0(VALU_DEP_2) | instskip(NEXT) | instid1(SALU_CYCLE_1)
	s_and_b32 s18, s17, vcc_lo
	s_and_saveexec_b32 s17, s18
	s_cbranch_execz .LBB1258_165
; %bb.164:                              ;   in Loop: Header=BB1258_103 Depth=2
	s_waitcnt lgkmcnt(0)
	v_bcnt_u32_b32 v68, v68, v212
	ds_store_b32 v214, v68
.LBB1258_165:                           ;   in Loop: Header=BB1258_103 Depth=2
	s_or_b32 exec_lo, exec_lo, s17
	v_cmp_lt_i64_e32 vcc_lo, -1, v[46:47]
	v_ashrrev_i32_e32 v69, 31, v47
	; wave barrier
	s_delay_alu instid0(VALU_DEP_1) | instskip(SKIP_1) | instid1(VALU_DEP_1)
	v_xor_b32_e32 v46, v69, v46
	v_cndmask_b32_e64 v68, -1, 0x80000000, vcc_lo
	v_xor_b32_e32 v47, v68, v47
	s_delay_alu instid0(VALU_DEP_1) | instskip(SKIP_2) | instid1(VALU_DEP_1)
	v_cmp_ne_u64_e32 vcc_lo, s[38:39], v[46:47]
	v_cndmask_b32_e32 v69, 0x80000000, v47, vcc_lo
	v_cndmask_b32_e32 v68, 0, v46, vcc_lo
	v_lshrrev_b64 v[68:69], s41, v[68:69]
	s_delay_alu instid0(VALU_DEP_1) | instskip(NEXT) | instid1(VALU_DEP_1)
	v_and_b32_e32 v68, s43, v68
	v_and_b32_e32 v69, 1, v68
	v_lshlrev_b32_e32 v70, 30, v68
	v_lshlrev_b32_e32 v71, 29, v68
	;; [unrolled: 1-line block ×4, first 2 shown]
	v_add_co_u32 v69, s17, v69, -1
	s_delay_alu instid0(VALU_DEP_1)
	v_cndmask_b32_e64 v73, 0, 1, s17
	v_not_b32_e32 v216, v70
	v_cmp_gt_i32_e64 s17, 0, v70
	v_not_b32_e32 v70, v71
	v_lshlrev_b32_e32 v75, 26, v68
	v_cmp_ne_u32_e32 vcc_lo, 0, v73
	v_ashrrev_i32_e32 v216, 31, v216
	v_lshlrev_b32_e32 v215, 25, v68
	v_ashrrev_i32_e32 v70, 31, v70
	v_lshlrev_b32_e32 v73, 24, v68
	v_xor_b32_e32 v69, vcc_lo, v69
	v_cmp_gt_i32_e32 vcc_lo, 0, v71
	v_not_b32_e32 v71, v72
	v_xor_b32_e32 v216, s17, v216
	v_cmp_gt_i32_e64 s17, 0, v72
	v_and_b32_e32 v69, exec_lo, v69
	v_not_b32_e32 v72, v74
	v_ashrrev_i32_e32 v71, 31, v71
	v_xor_b32_e32 v70, vcc_lo, v70
	v_cmp_gt_i32_e32 vcc_lo, 0, v74
	v_and_b32_e32 v69, v69, v216
	v_not_b32_e32 v74, v75
	v_ashrrev_i32_e32 v72, 31, v72
	v_xor_b32_e32 v71, s17, v71
	v_cmp_gt_i32_e64 s17, 0, v75
	v_and_b32_e32 v69, v69, v70
	v_not_b32_e32 v70, v215
	v_ashrrev_i32_e32 v74, 31, v74
	v_xor_b32_e32 v72, vcc_lo, v72
	v_cmp_gt_i32_e32 vcc_lo, 0, v215
	v_and_b32_e32 v69, v69, v71
	v_not_b32_e32 v71, v73
	v_ashrrev_i32_e32 v70, 31, v70
	v_xor_b32_e32 v74, s17, v74
	v_mul_u32_u24_e32 v68, 9, v68
	v_and_b32_e32 v69, v69, v72
	v_cmp_gt_i32_e64 s17, 0, v73
	v_ashrrev_i32_e32 v71, 31, v71
	v_xor_b32_e32 v70, vcc_lo, v70
	v_add_lshl_u32 v72, v68, v158, 2
	v_and_b32_e32 v69, v69, v74
	s_delay_alu instid0(VALU_DEP_4) | instskip(SKIP_3) | instid1(VALU_DEP_2)
	v_xor_b32_e32 v68, s17, v71
	ds_load_b32 v215, v72 offset:1056
	v_and_b32_e32 v69, v69, v70
	v_add_nc_u32_e32 v217, 0x420, v72
	; wave barrier
	v_and_b32_e32 v68, v69, v68
	s_delay_alu instid0(VALU_DEP_1) | instskip(SKIP_1) | instid1(VALU_DEP_2)
	v_mbcnt_lo_u32_b32 v216, v68, 0
	v_cmp_ne_u32_e64 s17, 0, v68
	v_cmp_eq_u32_e32 vcc_lo, 0, v216
	s_delay_alu instid0(VALU_DEP_2) | instskip(NEXT) | instid1(SALU_CYCLE_1)
	s_and_b32 s18, s17, vcc_lo
	s_and_saveexec_b32 s17, s18
	s_cbranch_execz .LBB1258_167
; %bb.166:                              ;   in Loop: Header=BB1258_103 Depth=2
	s_waitcnt lgkmcnt(0)
	v_bcnt_u32_b32 v68, v68, v215
	ds_store_b32 v217, v68
.LBB1258_167:                           ;   in Loop: Header=BB1258_103 Depth=2
	s_or_b32 exec_lo, exec_lo, s17
	v_cmp_lt_i64_e32 vcc_lo, -1, v[40:41]
	v_ashrrev_i32_e32 v69, 31, v41
	; wave barrier
	s_delay_alu instid0(VALU_DEP_1) | instskip(SKIP_1) | instid1(VALU_DEP_1)
	v_xor_b32_e32 v40, v69, v40
	v_cndmask_b32_e64 v68, -1, 0x80000000, vcc_lo
	v_xor_b32_e32 v41, v68, v41
	s_delay_alu instid0(VALU_DEP_1) | instskip(SKIP_2) | instid1(VALU_DEP_1)
	v_cmp_ne_u64_e32 vcc_lo, s[38:39], v[40:41]
	v_cndmask_b32_e32 v69, 0x80000000, v41, vcc_lo
	v_cndmask_b32_e32 v68, 0, v40, vcc_lo
	v_lshrrev_b64 v[68:69], s41, v[68:69]
	s_delay_alu instid0(VALU_DEP_1) | instskip(NEXT) | instid1(VALU_DEP_1)
	v_and_b32_e32 v68, s43, v68
	v_and_b32_e32 v69, 1, v68
	v_lshlrev_b32_e32 v70, 30, v68
	v_lshlrev_b32_e32 v71, 29, v68
	;; [unrolled: 1-line block ×4, first 2 shown]
	v_add_co_u32 v69, s17, v69, -1
	s_delay_alu instid0(VALU_DEP_1)
	v_cndmask_b32_e64 v73, 0, 1, s17
	v_not_b32_e32 v219, v70
	v_cmp_gt_i32_e64 s17, 0, v70
	v_not_b32_e32 v70, v71
	v_lshlrev_b32_e32 v75, 26, v68
	v_cmp_ne_u32_e32 vcc_lo, 0, v73
	v_ashrrev_i32_e32 v219, 31, v219
	v_lshlrev_b32_e32 v218, 25, v68
	v_ashrrev_i32_e32 v70, 31, v70
	v_lshlrev_b32_e32 v73, 24, v68
	v_xor_b32_e32 v69, vcc_lo, v69
	v_cmp_gt_i32_e32 vcc_lo, 0, v71
	v_not_b32_e32 v71, v72
	v_xor_b32_e32 v219, s17, v219
	v_cmp_gt_i32_e64 s17, 0, v72
	v_and_b32_e32 v69, exec_lo, v69
	v_not_b32_e32 v72, v74
	v_ashrrev_i32_e32 v71, 31, v71
	v_xor_b32_e32 v70, vcc_lo, v70
	v_cmp_gt_i32_e32 vcc_lo, 0, v74
	v_and_b32_e32 v69, v69, v219
	v_not_b32_e32 v74, v75
	v_ashrrev_i32_e32 v72, 31, v72
	v_xor_b32_e32 v71, s17, v71
	v_cmp_gt_i32_e64 s17, 0, v75
	v_and_b32_e32 v69, v69, v70
	v_not_b32_e32 v70, v218
	v_ashrrev_i32_e32 v74, 31, v74
	v_xor_b32_e32 v72, vcc_lo, v72
	v_cmp_gt_i32_e32 vcc_lo, 0, v218
	v_and_b32_e32 v69, v69, v71
	v_not_b32_e32 v71, v73
	v_ashrrev_i32_e32 v70, 31, v70
	v_xor_b32_e32 v74, s17, v74
	v_mul_u32_u24_e32 v68, 9, v68
	v_and_b32_e32 v69, v69, v72
	v_cmp_gt_i32_e64 s17, 0, v73
	v_ashrrev_i32_e32 v71, 31, v71
	v_xor_b32_e32 v70, vcc_lo, v70
	v_add_lshl_u32 v72, v68, v158, 2
	v_and_b32_e32 v69, v69, v74
	s_delay_alu instid0(VALU_DEP_4) | instskip(SKIP_3) | instid1(VALU_DEP_2)
	v_xor_b32_e32 v68, s17, v71
	ds_load_b32 v218, v72 offset:1056
	v_and_b32_e32 v69, v69, v70
	v_add_nc_u32_e32 v220, 0x420, v72
	; wave barrier
	v_and_b32_e32 v68, v69, v68
	s_delay_alu instid0(VALU_DEP_1) | instskip(SKIP_1) | instid1(VALU_DEP_2)
	v_mbcnt_lo_u32_b32 v219, v68, 0
	v_cmp_ne_u32_e64 s17, 0, v68
	v_cmp_eq_u32_e32 vcc_lo, 0, v219
	s_delay_alu instid0(VALU_DEP_2) | instskip(NEXT) | instid1(SALU_CYCLE_1)
	s_and_b32 s18, s17, vcc_lo
	s_and_saveexec_b32 s17, s18
	s_cbranch_execz .LBB1258_169
; %bb.168:                              ;   in Loop: Header=BB1258_103 Depth=2
	s_waitcnt lgkmcnt(0)
	v_bcnt_u32_b32 v68, v68, v218
	ds_store_b32 v220, v68
.LBB1258_169:                           ;   in Loop: Header=BB1258_103 Depth=2
	s_or_b32 exec_lo, exec_lo, s17
	v_cmp_lt_i64_e32 vcc_lo, -1, v[42:43]
	v_ashrrev_i32_e32 v69, 31, v43
	; wave barrier
	s_delay_alu instid0(VALU_DEP_1) | instskip(SKIP_1) | instid1(VALU_DEP_1)
	v_xor_b32_e32 v42, v69, v42
	v_cndmask_b32_e64 v68, -1, 0x80000000, vcc_lo
	v_xor_b32_e32 v43, v68, v43
	s_delay_alu instid0(VALU_DEP_1) | instskip(SKIP_2) | instid1(VALU_DEP_1)
	v_cmp_ne_u64_e32 vcc_lo, s[38:39], v[42:43]
	v_cndmask_b32_e32 v69, 0x80000000, v43, vcc_lo
	v_cndmask_b32_e32 v68, 0, v42, vcc_lo
	v_lshrrev_b64 v[68:69], s41, v[68:69]
	s_delay_alu instid0(VALU_DEP_1) | instskip(NEXT) | instid1(VALU_DEP_1)
	v_and_b32_e32 v68, s43, v68
	v_and_b32_e32 v69, 1, v68
	v_lshlrev_b32_e32 v70, 30, v68
	v_lshlrev_b32_e32 v71, 29, v68
	v_lshlrev_b32_e32 v72, 28, v68
	v_lshlrev_b32_e32 v74, 27, v68
	v_add_co_u32 v69, s17, v69, -1
	s_delay_alu instid0(VALU_DEP_1)
	v_cndmask_b32_e64 v73, 0, 1, s17
	v_not_b32_e32 v222, v70
	v_cmp_gt_i32_e64 s17, 0, v70
	v_not_b32_e32 v70, v71
	v_lshlrev_b32_e32 v75, 26, v68
	v_cmp_ne_u32_e32 vcc_lo, 0, v73
	v_ashrrev_i32_e32 v222, 31, v222
	v_lshlrev_b32_e32 v221, 25, v68
	v_ashrrev_i32_e32 v70, 31, v70
	v_lshlrev_b32_e32 v73, 24, v68
	v_xor_b32_e32 v69, vcc_lo, v69
	v_cmp_gt_i32_e32 vcc_lo, 0, v71
	v_not_b32_e32 v71, v72
	v_xor_b32_e32 v222, s17, v222
	v_cmp_gt_i32_e64 s17, 0, v72
	v_and_b32_e32 v69, exec_lo, v69
	v_not_b32_e32 v72, v74
	v_ashrrev_i32_e32 v71, 31, v71
	v_xor_b32_e32 v70, vcc_lo, v70
	v_cmp_gt_i32_e32 vcc_lo, 0, v74
	v_and_b32_e32 v69, v69, v222
	v_not_b32_e32 v74, v75
	v_ashrrev_i32_e32 v72, 31, v72
	v_xor_b32_e32 v71, s17, v71
	v_cmp_gt_i32_e64 s17, 0, v75
	v_and_b32_e32 v69, v69, v70
	v_not_b32_e32 v70, v221
	v_ashrrev_i32_e32 v74, 31, v74
	v_xor_b32_e32 v72, vcc_lo, v72
	v_cmp_gt_i32_e32 vcc_lo, 0, v221
	v_and_b32_e32 v69, v69, v71
	v_not_b32_e32 v71, v73
	v_ashrrev_i32_e32 v70, 31, v70
	v_xor_b32_e32 v74, s17, v74
	v_mul_u32_u24_e32 v68, 9, v68
	v_and_b32_e32 v69, v69, v72
	v_cmp_gt_i32_e64 s17, 0, v73
	v_ashrrev_i32_e32 v71, 31, v71
	v_xor_b32_e32 v70, vcc_lo, v70
	v_add_lshl_u32 v72, v68, v158, 2
	v_and_b32_e32 v69, v69, v74
	s_delay_alu instid0(VALU_DEP_4) | instskip(SKIP_3) | instid1(VALU_DEP_2)
	v_xor_b32_e32 v68, s17, v71
	ds_load_b32 v221, v72 offset:1056
	v_and_b32_e32 v69, v69, v70
	v_add_nc_u32_e32 v223, 0x420, v72
	; wave barrier
	v_and_b32_e32 v68, v69, v68
	s_delay_alu instid0(VALU_DEP_1) | instskip(SKIP_1) | instid1(VALU_DEP_2)
	v_mbcnt_lo_u32_b32 v222, v68, 0
	v_cmp_ne_u32_e64 s17, 0, v68
	v_cmp_eq_u32_e32 vcc_lo, 0, v222
	s_delay_alu instid0(VALU_DEP_2) | instskip(NEXT) | instid1(SALU_CYCLE_1)
	s_and_b32 s18, s17, vcc_lo
	s_and_saveexec_b32 s17, s18
	s_cbranch_execz .LBB1258_171
; %bb.170:                              ;   in Loop: Header=BB1258_103 Depth=2
	s_waitcnt lgkmcnt(0)
	v_bcnt_u32_b32 v68, v68, v221
	ds_store_b32 v223, v68
.LBB1258_171:                           ;   in Loop: Header=BB1258_103 Depth=2
	s_or_b32 exec_lo, exec_lo, s17
	; wave barrier
	s_waitcnt lgkmcnt(0)
	s_barrier
	buffer_gl0_inv
	ds_load_b32 v224, v102 offset:1056
	ds_load_2addr_b32 v[74:75], v103 offset0:1 offset1:2
	ds_load_2addr_b32 v[72:73], v103 offset0:3 offset1:4
	;; [unrolled: 1-line block ×4, first 2 shown]
	s_waitcnt lgkmcnt(3)
	v_add3_u32 v225, v74, v224, v75
	s_waitcnt lgkmcnt(2)
	s_delay_alu instid0(VALU_DEP_1) | instskip(SKIP_1) | instid1(VALU_DEP_1)
	v_add3_u32 v225, v225, v72, v73
	s_waitcnt lgkmcnt(1)
	v_add3_u32 v225, v225, v68, v69
	s_waitcnt lgkmcnt(0)
	s_delay_alu instid0(VALU_DEP_1) | instskip(NEXT) | instid1(VALU_DEP_1)
	v_add3_u32 v71, v225, v70, v71
	v_mov_b32_dpp v225, v71 row_shr:1 row_mask:0xf bank_mask:0xf
	s_delay_alu instid0(VALU_DEP_1) | instskip(NEXT) | instid1(VALU_DEP_1)
	v_cndmask_b32_e64 v225, v225, 0, s1
	v_add_nc_u32_e32 v71, v225, v71
	s_delay_alu instid0(VALU_DEP_1) | instskip(NEXT) | instid1(VALU_DEP_1)
	v_mov_b32_dpp v225, v71 row_shr:2 row_mask:0xf bank_mask:0xf
	v_cndmask_b32_e64 v225, 0, v225, s7
	s_delay_alu instid0(VALU_DEP_1) | instskip(NEXT) | instid1(VALU_DEP_1)
	v_add_nc_u32_e32 v71, v71, v225
	v_mov_b32_dpp v225, v71 row_shr:4 row_mask:0xf bank_mask:0xf
	s_delay_alu instid0(VALU_DEP_1) | instskip(NEXT) | instid1(VALU_DEP_1)
	v_cndmask_b32_e64 v225, 0, v225, s8
	v_add_nc_u32_e32 v71, v71, v225
	s_delay_alu instid0(VALU_DEP_1) | instskip(NEXT) | instid1(VALU_DEP_1)
	v_mov_b32_dpp v225, v71 row_shr:8 row_mask:0xf bank_mask:0xf
	v_cndmask_b32_e64 v225, 0, v225, s9
	s_delay_alu instid0(VALU_DEP_1) | instskip(SKIP_3) | instid1(VALU_DEP_1)
	v_add_nc_u32_e32 v71, v71, v225
	ds_swizzle_b32 v225, v71 offset:swizzle(BROADCAST,32,15)
	s_waitcnt lgkmcnt(0)
	v_cndmask_b32_e64 v225, v225, 0, s10
	v_add_nc_u32_e32 v71, v71, v225
	s_and_saveexec_b32 s17, s3
	s_cbranch_execz .LBB1258_173
; %bb.172:                              ;   in Loop: Header=BB1258_103 Depth=2
	ds_store_b32 v94, v71 offset:1024
.LBB1258_173:                           ;   in Loop: Header=BB1258_103 Depth=2
	s_or_b32 exec_lo, exec_lo, s17
	s_waitcnt lgkmcnt(0)
	s_barrier
	buffer_gl0_inv
	s_and_saveexec_b32 s17, s4
	s_cbranch_execz .LBB1258_175
; %bb.174:                              ;   in Loop: Header=BB1258_103 Depth=2
	ds_load_b32 v225, v104 offset:1024
	s_waitcnt lgkmcnt(0)
	v_mov_b32_dpp v226, v225 row_shr:1 row_mask:0xf bank_mask:0xf
	s_delay_alu instid0(VALU_DEP_1) | instskip(NEXT) | instid1(VALU_DEP_1)
	v_cndmask_b32_e64 v226, v226, 0, s12
	v_add_nc_u32_e32 v225, v226, v225
	s_delay_alu instid0(VALU_DEP_1) | instskip(NEXT) | instid1(VALU_DEP_1)
	v_mov_b32_dpp v226, v225 row_shr:2 row_mask:0xf bank_mask:0xf
	v_cndmask_b32_e64 v226, 0, v226, s13
	s_delay_alu instid0(VALU_DEP_1) | instskip(NEXT) | instid1(VALU_DEP_1)
	v_add_nc_u32_e32 v225, v225, v226
	v_mov_b32_dpp v226, v225 row_shr:4 row_mask:0xf bank_mask:0xf
	s_delay_alu instid0(VALU_DEP_1) | instskip(NEXT) | instid1(VALU_DEP_1)
	v_cndmask_b32_e64 v226, 0, v226, s16
	v_add_nc_u32_e32 v225, v225, v226
	ds_store_b32 v104, v225 offset:1024
.LBB1258_175:                           ;   in Loop: Header=BB1258_103 Depth=2
	s_or_b32 exec_lo, exec_lo, s17
	v_mov_b32_e32 v225, 0
	s_waitcnt lgkmcnt(0)
	s_barrier
	buffer_gl0_inv
	s_and_saveexec_b32 s17, s5
	s_cbranch_execz .LBB1258_177
; %bb.176:                              ;   in Loop: Header=BB1258_103 Depth=2
	ds_load_b32 v225, v94 offset:1020
.LBB1258_177:                           ;   in Loop: Header=BB1258_103 Depth=2
	s_or_b32 exec_lo, exec_lo, s17
	s_waitcnt lgkmcnt(0)
	v_add_nc_u32_e32 v71, v225, v71
	ds_bpermute_b32 v71, v137, v71
	s_waitcnt lgkmcnt(0)
	v_cndmask_b32_e64 v71, v71, v225, s11
	s_delay_alu instid0(VALU_DEP_1) | instskip(NEXT) | instid1(VALU_DEP_1)
	v_cndmask_b32_e64 v71, v71, 0, s0
	v_add_nc_u32_e32 v224, v71, v224
	s_delay_alu instid0(VALU_DEP_1) | instskip(NEXT) | instid1(VALU_DEP_1)
	v_add_nc_u32_e32 v74, v224, v74
	v_add_nc_u32_e32 v75, v74, v75
	s_delay_alu instid0(VALU_DEP_1) | instskip(NEXT) | instid1(VALU_DEP_1)
	v_add_nc_u32_e32 v72, v75, v72
	;; [unrolled: 3-line block ×3, first 2 shown]
	v_add_nc_u32_e32 v69, v68, v69
	s_delay_alu instid0(VALU_DEP_1)
	v_add_nc_u32_e32 v70, v69, v70
	ds_store_b32 v102, v71 offset:1056
	ds_store_2addr_b32 v103, v224, v74 offset0:1 offset1:2
	ds_store_2addr_b32 v103, v75, v72 offset0:3 offset1:4
	;; [unrolled: 1-line block ×4, first 2 shown]
	v_mov_b32_e32 v68, 0x1000
	s_waitcnt lgkmcnt(0)
	s_barrier
	buffer_gl0_inv
	ds_load_b32 v70, v181
	ds_load_b32 v71, v184
	;; [unrolled: 1-line block ×16, first 2 shown]
	ds_load_b32 v178, v102 offset:1056
	s_and_saveexec_b32 s17, s6
	s_cbranch_execz .LBB1258_179
; %bb.178:                              ;   in Loop: Header=BB1258_103 Depth=2
	ds_load_b32 v68, v105 offset:1056
.LBB1258_179:                           ;   in Loop: Header=BB1258_103 Depth=2
	s_or_b32 exec_lo, exec_lo, s17
	s_waitcnt lgkmcnt(0)
	s_barrier
	buffer_gl0_inv
	s_and_saveexec_b32 s17, s2
	s_cbranch_execz .LBB1258_181
; %bb.180:                              ;   in Loop: Header=BB1258_103 Depth=2
	ds_load_b32 v202, v76
	s_waitcnt lgkmcnt(0)
	v_sub_nc_u32_e32 v178, v202, v178
	ds_store_b32 v76, v178
.LBB1258_181:                           ;   in Loop: Header=BB1258_103 Depth=2
	s_or_b32 exec_lo, exec_lo, s17
	v_add_nc_u32_e32 v179, v180, v179
	v_add_lshl_u32 v69, v69, v2, 3
	v_add_nc_u32_e32 v2, v183, v182
	v_add_nc_u32_e32 v180, v186, v185
	;; [unrolled: 1-line block ×8, first 2 shown]
	v_add_lshl_u32 v70, v179, v70, 3
	v_add_lshl_u32 v71, v2, v71, 3
	v_add_nc_u32_e32 v200, v201, v200
	v_add_lshl_u32 v72, v180, v72, 3
	v_add_nc_u32_e32 v203, v204, v203
	;; [unrolled: 2-line block ×3, first 2 shown]
	v_add_nc_u32_e32 v202, v219, v218
	v_add_nc_u32_e32 v205, v216, v215
	;; [unrolled: 1-line block ×3, first 2 shown]
	ds_store_b64 v69, v[36:37] offset:1024
	ds_store_b64 v70, v[38:39] offset:1024
	v_add_lshl_u32 v38, v191, v225, 3
	ds_store_b64 v71, v[44:45] offset:1024
	ds_store_b64 v72, v[48:49] offset:1024
	;; [unrolled: 1-line block ×3, first 2 shown]
	v_add_lshl_u32 v39, v194, v224, 3
	v_add_lshl_u32 v44, v197, v199, 3
	;; [unrolled: 1-line block ×6, first 2 shown]
	ds_store_b64 v38, v[58:59] offset:1024
	ds_store_b64 v39, v[62:63] offset:1024
	;; [unrolled: 1-line block ×6, first 2 shown]
	v_add_lshl_u32 v53, v208, v184, 3
	v_add_lshl_u32 v56, v205, v181, 3
	;; [unrolled: 1-line block ×3, first 2 shown]
	ds_store_b64 v52, v[54:55] offset:1024
	v_add_lshl_u32 v54, v178, v74, 3
	v_cmp_lt_u32_e32 vcc_lo, v1, v177
	ds_store_b64 v53, v[50:51] offset:1024
	ds_store_b64 v56, v[46:47] offset:1024
	;; [unrolled: 1-line block ×4, first 2 shown]
	s_waitcnt lgkmcnt(0)
	s_barrier
	buffer_gl0_inv
	s_and_saveexec_b32 s18, vcc_lo
	s_cbranch_execz .LBB1258_197
; %bb.182:                              ;   in Loop: Header=BB1258_103 Depth=2
	v_add_nc_u32_e32 v2, v104, v76
	ds_load_b64 v[36:37], v2 offset:1024
	s_waitcnt lgkmcnt(0)
	v_cmp_ne_u64_e64 s17, s[38:39], v[36:37]
	s_delay_alu instid0(VALU_DEP_1) | instskip(SKIP_2) | instid1(VALU_DEP_2)
	v_cndmask_b32_e64 v41, 0x80000000, v37, s17
	v_cndmask_b32_e64 v40, 0, v36, s17
	v_cmp_lt_i64_e64 s17, -1, v[36:37]
	v_lshrrev_b64 v[40:41], s41, v[40:41]
	s_delay_alu instid0(VALU_DEP_2) | instskip(NEXT) | instid1(VALU_DEP_2)
	v_cndmask_b32_e64 v42, 0x80000000, -1, s17
	v_and_b32_e32 v2, s43, v40
	v_ashrrev_i32_e32 v40, 31, v37
	s_delay_alu instid0(VALU_DEP_3) | instskip(NEXT) | instid1(VALU_DEP_3)
	v_xor_b32_e32 v37, v42, v37
	v_lshlrev_b32_e32 v2, 2, v2
	s_delay_alu instid0(VALU_DEP_3) | instskip(SKIP_4) | instid1(VALU_DEP_1)
	v_not_b32_e32 v43, v40
	ds_load_b32 v2, v2
	v_xor_b32_e32 v36, v43, v36
	s_waitcnt lgkmcnt(0)
	v_add_nc_u32_e32 v2, v2, v1
	v_lshlrev_b64 v[40:41], 3, v[2:3]
	s_delay_alu instid0(VALU_DEP_1) | instskip(NEXT) | instid1(VALU_DEP_1)
	v_add_co_u32 v40, s17, s46, v40
	v_add_co_ci_u32_e64 v41, s17, s47, v41, s17
	global_store_b64 v[40:41], v[36:37], off
	s_or_b32 exec_lo, exec_lo, s18
	v_cmp_lt_u32_e64 s17, v77, v177
	s_delay_alu instid0(VALU_DEP_1)
	s_and_saveexec_b32 s19, s17
	s_cbranch_execnz .LBB1258_198
.LBB1258_183:                           ;   in Loop: Header=BB1258_103 Depth=2
	s_or_b32 exec_lo, exec_lo, s19
	v_cmp_lt_u32_e64 s18, v78, v177
	s_delay_alu instid0(VALU_DEP_1)
	s_and_saveexec_b32 s20, s18
	s_cbranch_execz .LBB1258_199
.LBB1258_184:                           ;   in Loop: Header=BB1258_103 Depth=2
	ds_load_b64 v[36:37], v110 offset:4096
	s_waitcnt lgkmcnt(0)
	v_cmp_ne_u64_e64 s19, s[38:39], v[36:37]
	s_delay_alu instid0(VALU_DEP_1) | instskip(SKIP_2) | instid1(VALU_DEP_2)
	v_cndmask_b32_e64 v41, 0x80000000, v37, s19
	v_cndmask_b32_e64 v40, 0, v36, s19
	v_cmp_lt_i64_e64 s19, -1, v[36:37]
	v_lshrrev_b64 v[40:41], s41, v[40:41]
	s_delay_alu instid0(VALU_DEP_2) | instskip(NEXT) | instid1(VALU_DEP_2)
	v_cndmask_b32_e64 v42, 0x80000000, -1, s19
	v_and_b32_e32 v2, s43, v40
	v_ashrrev_i32_e32 v40, 31, v37
	s_delay_alu instid0(VALU_DEP_3) | instskip(NEXT) | instid1(VALU_DEP_3)
	v_xor_b32_e32 v37, v42, v37
	v_lshlrev_b32_e32 v2, 2, v2
	s_delay_alu instid0(VALU_DEP_3) | instskip(SKIP_4) | instid1(VALU_DEP_1)
	v_not_b32_e32 v43, v40
	ds_load_b32 v2, v2
	v_xor_b32_e32 v36, v43, v36
	s_waitcnt lgkmcnt(0)
	v_add_nc_u32_e32 v2, v2, v78
	v_lshlrev_b64 v[40:41], 3, v[2:3]
	s_delay_alu instid0(VALU_DEP_1) | instskip(NEXT) | instid1(VALU_DEP_1)
	v_add_co_u32 v40, s19, s46, v40
	v_add_co_ci_u32_e64 v41, s19, s47, v41, s19
	global_store_b64 v[40:41], v[36:37], off
	s_or_b32 exec_lo, exec_lo, s20
	v_cmp_lt_u32_e64 s19, v79, v177
	s_delay_alu instid0(VALU_DEP_1)
	s_and_saveexec_b32 s21, s19
	s_cbranch_execnz .LBB1258_200
.LBB1258_185:                           ;   in Loop: Header=BB1258_103 Depth=2
	s_or_b32 exec_lo, exec_lo, s21
	v_cmp_lt_u32_e64 s20, v83, v177
	s_delay_alu instid0(VALU_DEP_1)
	s_and_saveexec_b32 s22, s20
	s_cbranch_execz .LBB1258_201
.LBB1258_186:                           ;   in Loop: Header=BB1258_103 Depth=2
	ds_load_b64 v[36:37], v110 offset:8192
	s_waitcnt lgkmcnt(0)
	v_cmp_ne_u64_e64 s21, s[38:39], v[36:37]
	s_delay_alu instid0(VALU_DEP_1) | instskip(SKIP_2) | instid1(VALU_DEP_2)
	v_cndmask_b32_e64 v41, 0x80000000, v37, s21
	v_cndmask_b32_e64 v40, 0, v36, s21
	v_cmp_lt_i64_e64 s21, -1, v[36:37]
	v_lshrrev_b64 v[40:41], s41, v[40:41]
	s_delay_alu instid0(VALU_DEP_2) | instskip(NEXT) | instid1(VALU_DEP_2)
	v_cndmask_b32_e64 v42, 0x80000000, -1, s21
	v_and_b32_e32 v2, s43, v40
	v_ashrrev_i32_e32 v40, 31, v37
	s_delay_alu instid0(VALU_DEP_3) | instskip(NEXT) | instid1(VALU_DEP_3)
	v_xor_b32_e32 v37, v42, v37
	v_lshlrev_b32_e32 v2, 2, v2
	s_delay_alu instid0(VALU_DEP_3) | instskip(SKIP_4) | instid1(VALU_DEP_1)
	v_not_b32_e32 v43, v40
	ds_load_b32 v2, v2
	v_xor_b32_e32 v36, v43, v36
	s_waitcnt lgkmcnt(0)
	v_add_nc_u32_e32 v2, v2, v83
	v_lshlrev_b64 v[40:41], 3, v[2:3]
	s_delay_alu instid0(VALU_DEP_1) | instskip(NEXT) | instid1(VALU_DEP_1)
	v_add_co_u32 v40, s21, s46, v40
	v_add_co_ci_u32_e64 v41, s21, s47, v41, s21
	global_store_b64 v[40:41], v[36:37], off
	s_or_b32 exec_lo, exec_lo, s22
	v_cmp_lt_u32_e64 s21, v84, v177
	s_delay_alu instid0(VALU_DEP_1)
	s_and_saveexec_b32 s23, s21
	s_cbranch_execnz .LBB1258_202
.LBB1258_187:                           ;   in Loop: Header=BB1258_103 Depth=2
	s_or_b32 exec_lo, exec_lo, s23
	v_cmp_lt_u32_e64 s22, v85, v177
	s_delay_alu instid0(VALU_DEP_1)
	s_and_saveexec_b32 s24, s22
	s_cbranch_execz .LBB1258_203
.LBB1258_188:                           ;   in Loop: Header=BB1258_103 Depth=2
	ds_load_b64 v[36:37], v110 offset:12288
	s_waitcnt lgkmcnt(0)
	v_cmp_ne_u64_e64 s23, s[38:39], v[36:37]
	s_delay_alu instid0(VALU_DEP_1) | instskip(SKIP_2) | instid1(VALU_DEP_2)
	v_cndmask_b32_e64 v41, 0x80000000, v37, s23
	v_cndmask_b32_e64 v40, 0, v36, s23
	v_cmp_lt_i64_e64 s23, -1, v[36:37]
	v_lshrrev_b64 v[40:41], s41, v[40:41]
	s_delay_alu instid0(VALU_DEP_2) | instskip(NEXT) | instid1(VALU_DEP_2)
	v_cndmask_b32_e64 v42, 0x80000000, -1, s23
	v_and_b32_e32 v2, s43, v40
	v_ashrrev_i32_e32 v40, 31, v37
	s_delay_alu instid0(VALU_DEP_3) | instskip(NEXT) | instid1(VALU_DEP_3)
	v_xor_b32_e32 v37, v42, v37
	v_lshlrev_b32_e32 v2, 2, v2
	s_delay_alu instid0(VALU_DEP_3) | instskip(SKIP_4) | instid1(VALU_DEP_1)
	v_not_b32_e32 v43, v40
	ds_load_b32 v2, v2
	v_xor_b32_e32 v36, v43, v36
	s_waitcnt lgkmcnt(0)
	v_add_nc_u32_e32 v2, v2, v85
	v_lshlrev_b64 v[40:41], 3, v[2:3]
	s_delay_alu instid0(VALU_DEP_1) | instskip(NEXT) | instid1(VALU_DEP_1)
	v_add_co_u32 v40, s23, s46, v40
	v_add_co_ci_u32_e64 v41, s23, s47, v41, s23
	global_store_b64 v[40:41], v[36:37], off
	s_or_b32 exec_lo, exec_lo, s24
	v_cmp_lt_u32_e64 s23, v86, v177
	s_delay_alu instid0(VALU_DEP_1)
	s_and_saveexec_b32 s25, s23
	s_cbranch_execnz .LBB1258_204
.LBB1258_189:                           ;   in Loop: Header=BB1258_103 Depth=2
	s_or_b32 exec_lo, exec_lo, s25
	v_cmp_lt_u32_e64 s24, v87, v177
	s_delay_alu instid0(VALU_DEP_1)
	s_and_saveexec_b32 s26, s24
	s_cbranch_execz .LBB1258_205
.LBB1258_190:                           ;   in Loop: Header=BB1258_103 Depth=2
	ds_load_b64 v[36:37], v110 offset:16384
	s_waitcnt lgkmcnt(0)
	v_cmp_ne_u64_e64 s25, s[38:39], v[36:37]
	s_delay_alu instid0(VALU_DEP_1) | instskip(SKIP_2) | instid1(VALU_DEP_2)
	v_cndmask_b32_e64 v41, 0x80000000, v37, s25
	v_cndmask_b32_e64 v40, 0, v36, s25
	v_cmp_lt_i64_e64 s25, -1, v[36:37]
	v_lshrrev_b64 v[40:41], s41, v[40:41]
	s_delay_alu instid0(VALU_DEP_2) | instskip(NEXT) | instid1(VALU_DEP_2)
	v_cndmask_b32_e64 v42, 0x80000000, -1, s25
	v_and_b32_e32 v2, s43, v40
	v_ashrrev_i32_e32 v40, 31, v37
	s_delay_alu instid0(VALU_DEP_3) | instskip(NEXT) | instid1(VALU_DEP_3)
	v_xor_b32_e32 v37, v42, v37
	v_lshlrev_b32_e32 v2, 2, v2
	s_delay_alu instid0(VALU_DEP_3) | instskip(SKIP_4) | instid1(VALU_DEP_1)
	v_not_b32_e32 v43, v40
	ds_load_b32 v2, v2
	v_xor_b32_e32 v36, v43, v36
	s_waitcnt lgkmcnt(0)
	v_add_nc_u32_e32 v2, v2, v87
	v_lshlrev_b64 v[40:41], 3, v[2:3]
	s_delay_alu instid0(VALU_DEP_1) | instskip(NEXT) | instid1(VALU_DEP_1)
	v_add_co_u32 v40, s25, s46, v40
	v_add_co_ci_u32_e64 v41, s25, s47, v41, s25
	global_store_b64 v[40:41], v[36:37], off
	s_or_b32 exec_lo, exec_lo, s26
	v_cmp_lt_u32_e64 s25, v88, v177
	s_delay_alu instid0(VALU_DEP_1)
	s_and_saveexec_b32 s27, s25
	s_cbranch_execnz .LBB1258_206
.LBB1258_191:                           ;   in Loop: Header=BB1258_103 Depth=2
	s_or_b32 exec_lo, exec_lo, s27
	v_cmp_lt_u32_e64 s26, v89, v177
	s_delay_alu instid0(VALU_DEP_1)
	s_and_saveexec_b32 s28, s26
	s_cbranch_execz .LBB1258_207
.LBB1258_192:                           ;   in Loop: Header=BB1258_103 Depth=2
	ds_load_b64 v[36:37], v110 offset:20480
	s_waitcnt lgkmcnt(0)
	v_cmp_ne_u64_e64 s27, s[38:39], v[36:37]
	s_delay_alu instid0(VALU_DEP_1) | instskip(SKIP_2) | instid1(VALU_DEP_2)
	v_cndmask_b32_e64 v41, 0x80000000, v37, s27
	v_cndmask_b32_e64 v40, 0, v36, s27
	v_cmp_lt_i64_e64 s27, -1, v[36:37]
	v_lshrrev_b64 v[40:41], s41, v[40:41]
	s_delay_alu instid0(VALU_DEP_2) | instskip(NEXT) | instid1(VALU_DEP_2)
	v_cndmask_b32_e64 v42, 0x80000000, -1, s27
	v_and_b32_e32 v2, s43, v40
	v_ashrrev_i32_e32 v40, 31, v37
	s_delay_alu instid0(VALU_DEP_3) | instskip(NEXT) | instid1(VALU_DEP_3)
	v_xor_b32_e32 v37, v42, v37
	v_lshlrev_b32_e32 v2, 2, v2
	s_delay_alu instid0(VALU_DEP_3) | instskip(SKIP_4) | instid1(VALU_DEP_1)
	v_not_b32_e32 v43, v40
	ds_load_b32 v2, v2
	v_xor_b32_e32 v36, v43, v36
	s_waitcnt lgkmcnt(0)
	v_add_nc_u32_e32 v2, v2, v89
	v_lshlrev_b64 v[40:41], 3, v[2:3]
	s_delay_alu instid0(VALU_DEP_1) | instskip(NEXT) | instid1(VALU_DEP_1)
	v_add_co_u32 v40, s27, s46, v40
	v_add_co_ci_u32_e64 v41, s27, s47, v41, s27
	global_store_b64 v[40:41], v[36:37], off
	s_or_b32 exec_lo, exec_lo, s28
	v_cmp_lt_u32_e64 s27, v90, v177
	s_delay_alu instid0(VALU_DEP_1)
	s_and_saveexec_b32 s29, s27
	s_cbranch_execnz .LBB1258_208
.LBB1258_193:                           ;   in Loop: Header=BB1258_103 Depth=2
	s_or_b32 exec_lo, exec_lo, s29
	v_cmp_lt_u32_e64 s28, v91, v177
	s_delay_alu instid0(VALU_DEP_1)
	s_and_saveexec_b32 s30, s28
	s_cbranch_execz .LBB1258_209
.LBB1258_194:                           ;   in Loop: Header=BB1258_103 Depth=2
	ds_load_b64 v[36:37], v110 offset:24576
	s_waitcnt lgkmcnt(0)
	v_cmp_ne_u64_e64 s29, s[38:39], v[36:37]
	s_delay_alu instid0(VALU_DEP_1) | instskip(SKIP_2) | instid1(VALU_DEP_2)
	v_cndmask_b32_e64 v41, 0x80000000, v37, s29
	v_cndmask_b32_e64 v40, 0, v36, s29
	v_cmp_lt_i64_e64 s29, -1, v[36:37]
	v_lshrrev_b64 v[40:41], s41, v[40:41]
	s_delay_alu instid0(VALU_DEP_2) | instskip(NEXT) | instid1(VALU_DEP_2)
	v_cndmask_b32_e64 v42, 0x80000000, -1, s29
	v_and_b32_e32 v2, s43, v40
	v_ashrrev_i32_e32 v40, 31, v37
	s_delay_alu instid0(VALU_DEP_3) | instskip(NEXT) | instid1(VALU_DEP_3)
	v_xor_b32_e32 v37, v42, v37
	v_lshlrev_b32_e32 v2, 2, v2
	s_delay_alu instid0(VALU_DEP_3) | instskip(SKIP_4) | instid1(VALU_DEP_1)
	v_not_b32_e32 v43, v40
	ds_load_b32 v2, v2
	v_xor_b32_e32 v36, v43, v36
	s_waitcnt lgkmcnt(0)
	v_add_nc_u32_e32 v2, v2, v91
	v_lshlrev_b64 v[40:41], 3, v[2:3]
	s_delay_alu instid0(VALU_DEP_1) | instskip(NEXT) | instid1(VALU_DEP_1)
	v_add_co_u32 v40, s29, s46, v40
	v_add_co_ci_u32_e64 v41, s29, s47, v41, s29
	global_store_b64 v[40:41], v[36:37], off
	s_or_b32 exec_lo, exec_lo, s30
	v_cmp_lt_u32_e64 s29, v92, v177
	s_delay_alu instid0(VALU_DEP_1)
	s_and_saveexec_b32 s31, s29
	s_cbranch_execnz .LBB1258_210
.LBB1258_195:                           ;   in Loop: Header=BB1258_103 Depth=2
	s_or_b32 exec_lo, exec_lo, s31
	v_cmp_lt_u32_e64 s30, v93, v177
	s_delay_alu instid0(VALU_DEP_1)
	s_and_saveexec_b32 s33, s30
	s_cbranch_execz .LBB1258_211
.LBB1258_196:                           ;   in Loop: Header=BB1258_103 Depth=2
	ds_load_b64 v[36:37], v110 offset:28672
	s_waitcnt lgkmcnt(0)
	v_cmp_ne_u64_e64 s31, s[38:39], v[36:37]
	s_delay_alu instid0(VALU_DEP_1) | instskip(SKIP_2) | instid1(VALU_DEP_2)
	v_cndmask_b32_e64 v41, 0x80000000, v37, s31
	v_cndmask_b32_e64 v40, 0, v36, s31
	v_cmp_lt_i64_e64 s31, -1, v[36:37]
	v_lshrrev_b64 v[40:41], s41, v[40:41]
	s_delay_alu instid0(VALU_DEP_2) | instskip(NEXT) | instid1(VALU_DEP_2)
	v_cndmask_b32_e64 v42, 0x80000000, -1, s31
	v_and_b32_e32 v2, s43, v40
	v_ashrrev_i32_e32 v40, 31, v37
	s_delay_alu instid0(VALU_DEP_3) | instskip(NEXT) | instid1(VALU_DEP_3)
	v_xor_b32_e32 v37, v42, v37
	v_lshlrev_b32_e32 v2, 2, v2
	s_delay_alu instid0(VALU_DEP_3) | instskip(SKIP_4) | instid1(VALU_DEP_1)
	v_not_b32_e32 v43, v40
	ds_load_b32 v2, v2
	v_xor_b32_e32 v36, v43, v36
	s_waitcnt lgkmcnt(0)
	v_add_nc_u32_e32 v2, v2, v93
	v_lshlrev_b64 v[40:41], 3, v[2:3]
	s_delay_alu instid0(VALU_DEP_1) | instskip(NEXT) | instid1(VALU_DEP_1)
	v_add_co_u32 v40, s31, s46, v40
	v_add_co_ci_u32_e64 v41, s31, s47, v41, s31
	global_store_b64 v[40:41], v[36:37], off
	s_or_b32 exec_lo, exec_lo, s33
	v_cmp_lt_u32_e64 s31, v95, v177
	s_delay_alu instid0(VALU_DEP_1)
	s_and_saveexec_b32 s56, s31
	s_cbranch_execnz .LBB1258_212
	s_branch .LBB1258_213
.LBB1258_197:                           ;   in Loop: Header=BB1258_103 Depth=2
	s_or_b32 exec_lo, exec_lo, s18
	v_cmp_lt_u32_e64 s17, v77, v177
	s_delay_alu instid0(VALU_DEP_1)
	s_and_saveexec_b32 s19, s17
	s_cbranch_execz .LBB1258_183
.LBB1258_198:                           ;   in Loop: Header=BB1258_103 Depth=2
	ds_load_b64 v[36:37], v110 offset:2048
	s_waitcnt lgkmcnt(0)
	v_cmp_ne_u64_e64 s18, s[38:39], v[36:37]
	s_delay_alu instid0(VALU_DEP_1) | instskip(SKIP_2) | instid1(VALU_DEP_2)
	v_cndmask_b32_e64 v41, 0x80000000, v37, s18
	v_cndmask_b32_e64 v40, 0, v36, s18
	v_cmp_lt_i64_e64 s18, -1, v[36:37]
	v_lshrrev_b64 v[40:41], s41, v[40:41]
	s_delay_alu instid0(VALU_DEP_2) | instskip(NEXT) | instid1(VALU_DEP_2)
	v_cndmask_b32_e64 v42, 0x80000000, -1, s18
	v_and_b32_e32 v2, s43, v40
	v_ashrrev_i32_e32 v40, 31, v37
	s_delay_alu instid0(VALU_DEP_3) | instskip(NEXT) | instid1(VALU_DEP_3)
	v_xor_b32_e32 v37, v42, v37
	v_lshlrev_b32_e32 v2, 2, v2
	s_delay_alu instid0(VALU_DEP_3) | instskip(SKIP_4) | instid1(VALU_DEP_1)
	v_not_b32_e32 v43, v40
	ds_load_b32 v2, v2
	v_xor_b32_e32 v36, v43, v36
	s_waitcnt lgkmcnt(0)
	v_add_nc_u32_e32 v2, v2, v77
	v_lshlrev_b64 v[40:41], 3, v[2:3]
	s_delay_alu instid0(VALU_DEP_1) | instskip(NEXT) | instid1(VALU_DEP_1)
	v_add_co_u32 v40, s18, s46, v40
	v_add_co_ci_u32_e64 v41, s18, s47, v41, s18
	global_store_b64 v[40:41], v[36:37], off
	s_or_b32 exec_lo, exec_lo, s19
	v_cmp_lt_u32_e64 s18, v78, v177
	s_delay_alu instid0(VALU_DEP_1)
	s_and_saveexec_b32 s20, s18
	s_cbranch_execnz .LBB1258_184
.LBB1258_199:                           ;   in Loop: Header=BB1258_103 Depth=2
	s_or_b32 exec_lo, exec_lo, s20
	v_cmp_lt_u32_e64 s19, v79, v177
	s_delay_alu instid0(VALU_DEP_1)
	s_and_saveexec_b32 s21, s19
	s_cbranch_execz .LBB1258_185
.LBB1258_200:                           ;   in Loop: Header=BB1258_103 Depth=2
	ds_load_b64 v[36:37], v110 offset:6144
	s_waitcnt lgkmcnt(0)
	v_cmp_ne_u64_e64 s20, s[38:39], v[36:37]
	s_delay_alu instid0(VALU_DEP_1) | instskip(SKIP_2) | instid1(VALU_DEP_2)
	v_cndmask_b32_e64 v41, 0x80000000, v37, s20
	v_cndmask_b32_e64 v40, 0, v36, s20
	v_cmp_lt_i64_e64 s20, -1, v[36:37]
	v_lshrrev_b64 v[40:41], s41, v[40:41]
	s_delay_alu instid0(VALU_DEP_2) | instskip(NEXT) | instid1(VALU_DEP_2)
	v_cndmask_b32_e64 v42, 0x80000000, -1, s20
	v_and_b32_e32 v2, s43, v40
	v_ashrrev_i32_e32 v40, 31, v37
	s_delay_alu instid0(VALU_DEP_3) | instskip(NEXT) | instid1(VALU_DEP_3)
	v_xor_b32_e32 v37, v42, v37
	v_lshlrev_b32_e32 v2, 2, v2
	s_delay_alu instid0(VALU_DEP_3) | instskip(SKIP_4) | instid1(VALU_DEP_1)
	v_not_b32_e32 v43, v40
	ds_load_b32 v2, v2
	v_xor_b32_e32 v36, v43, v36
	s_waitcnt lgkmcnt(0)
	v_add_nc_u32_e32 v2, v2, v79
	v_lshlrev_b64 v[40:41], 3, v[2:3]
	s_delay_alu instid0(VALU_DEP_1) | instskip(NEXT) | instid1(VALU_DEP_1)
	v_add_co_u32 v40, s20, s46, v40
	v_add_co_ci_u32_e64 v41, s20, s47, v41, s20
	global_store_b64 v[40:41], v[36:37], off
	s_or_b32 exec_lo, exec_lo, s21
	v_cmp_lt_u32_e64 s20, v83, v177
	s_delay_alu instid0(VALU_DEP_1)
	s_and_saveexec_b32 s22, s20
	s_cbranch_execnz .LBB1258_186
.LBB1258_201:                           ;   in Loop: Header=BB1258_103 Depth=2
	s_or_b32 exec_lo, exec_lo, s22
	v_cmp_lt_u32_e64 s21, v84, v177
	s_delay_alu instid0(VALU_DEP_1)
	s_and_saveexec_b32 s23, s21
	s_cbranch_execz .LBB1258_187
.LBB1258_202:                           ;   in Loop: Header=BB1258_103 Depth=2
	ds_load_b64 v[36:37], v110 offset:10240
	s_waitcnt lgkmcnt(0)
	v_cmp_ne_u64_e64 s22, s[38:39], v[36:37]
	s_delay_alu instid0(VALU_DEP_1) | instskip(SKIP_2) | instid1(VALU_DEP_2)
	v_cndmask_b32_e64 v41, 0x80000000, v37, s22
	v_cndmask_b32_e64 v40, 0, v36, s22
	v_cmp_lt_i64_e64 s22, -1, v[36:37]
	v_lshrrev_b64 v[40:41], s41, v[40:41]
	s_delay_alu instid0(VALU_DEP_2) | instskip(NEXT) | instid1(VALU_DEP_2)
	v_cndmask_b32_e64 v42, 0x80000000, -1, s22
	v_and_b32_e32 v2, s43, v40
	v_ashrrev_i32_e32 v40, 31, v37
	s_delay_alu instid0(VALU_DEP_3) | instskip(NEXT) | instid1(VALU_DEP_3)
	v_xor_b32_e32 v37, v42, v37
	v_lshlrev_b32_e32 v2, 2, v2
	s_delay_alu instid0(VALU_DEP_3) | instskip(SKIP_4) | instid1(VALU_DEP_1)
	v_not_b32_e32 v43, v40
	ds_load_b32 v2, v2
	v_xor_b32_e32 v36, v43, v36
	s_waitcnt lgkmcnt(0)
	v_add_nc_u32_e32 v2, v2, v84
	v_lshlrev_b64 v[40:41], 3, v[2:3]
	s_delay_alu instid0(VALU_DEP_1) | instskip(NEXT) | instid1(VALU_DEP_1)
	v_add_co_u32 v40, s22, s46, v40
	v_add_co_ci_u32_e64 v41, s22, s47, v41, s22
	global_store_b64 v[40:41], v[36:37], off
	s_or_b32 exec_lo, exec_lo, s23
	v_cmp_lt_u32_e64 s22, v85, v177
	s_delay_alu instid0(VALU_DEP_1)
	s_and_saveexec_b32 s24, s22
	s_cbranch_execnz .LBB1258_188
.LBB1258_203:                           ;   in Loop: Header=BB1258_103 Depth=2
	s_or_b32 exec_lo, exec_lo, s24
	v_cmp_lt_u32_e64 s23, v86, v177
	s_delay_alu instid0(VALU_DEP_1)
	s_and_saveexec_b32 s25, s23
	s_cbranch_execz .LBB1258_189
.LBB1258_204:                           ;   in Loop: Header=BB1258_103 Depth=2
	ds_load_b64 v[36:37], v110 offset:14336
	s_waitcnt lgkmcnt(0)
	v_cmp_ne_u64_e64 s24, s[38:39], v[36:37]
	s_delay_alu instid0(VALU_DEP_1) | instskip(SKIP_2) | instid1(VALU_DEP_2)
	v_cndmask_b32_e64 v41, 0x80000000, v37, s24
	v_cndmask_b32_e64 v40, 0, v36, s24
	v_cmp_lt_i64_e64 s24, -1, v[36:37]
	v_lshrrev_b64 v[40:41], s41, v[40:41]
	s_delay_alu instid0(VALU_DEP_2) | instskip(NEXT) | instid1(VALU_DEP_2)
	v_cndmask_b32_e64 v42, 0x80000000, -1, s24
	v_and_b32_e32 v2, s43, v40
	v_ashrrev_i32_e32 v40, 31, v37
	s_delay_alu instid0(VALU_DEP_3) | instskip(NEXT) | instid1(VALU_DEP_3)
	v_xor_b32_e32 v37, v42, v37
	v_lshlrev_b32_e32 v2, 2, v2
	s_delay_alu instid0(VALU_DEP_3) | instskip(SKIP_4) | instid1(VALU_DEP_1)
	v_not_b32_e32 v43, v40
	ds_load_b32 v2, v2
	v_xor_b32_e32 v36, v43, v36
	s_waitcnt lgkmcnt(0)
	v_add_nc_u32_e32 v2, v2, v86
	v_lshlrev_b64 v[40:41], 3, v[2:3]
	s_delay_alu instid0(VALU_DEP_1) | instskip(NEXT) | instid1(VALU_DEP_1)
	v_add_co_u32 v40, s24, s46, v40
	v_add_co_ci_u32_e64 v41, s24, s47, v41, s24
	global_store_b64 v[40:41], v[36:37], off
	s_or_b32 exec_lo, exec_lo, s25
	v_cmp_lt_u32_e64 s24, v87, v177
	s_delay_alu instid0(VALU_DEP_1)
	s_and_saveexec_b32 s26, s24
	s_cbranch_execnz .LBB1258_190
.LBB1258_205:                           ;   in Loop: Header=BB1258_103 Depth=2
	s_or_b32 exec_lo, exec_lo, s26
	v_cmp_lt_u32_e64 s25, v88, v177
	s_delay_alu instid0(VALU_DEP_1)
	s_and_saveexec_b32 s27, s25
	s_cbranch_execz .LBB1258_191
.LBB1258_206:                           ;   in Loop: Header=BB1258_103 Depth=2
	ds_load_b64 v[36:37], v110 offset:18432
	s_waitcnt lgkmcnt(0)
	v_cmp_ne_u64_e64 s26, s[38:39], v[36:37]
	s_delay_alu instid0(VALU_DEP_1) | instskip(SKIP_2) | instid1(VALU_DEP_2)
	v_cndmask_b32_e64 v41, 0x80000000, v37, s26
	v_cndmask_b32_e64 v40, 0, v36, s26
	v_cmp_lt_i64_e64 s26, -1, v[36:37]
	v_lshrrev_b64 v[40:41], s41, v[40:41]
	s_delay_alu instid0(VALU_DEP_2) | instskip(NEXT) | instid1(VALU_DEP_2)
	v_cndmask_b32_e64 v42, 0x80000000, -1, s26
	v_and_b32_e32 v2, s43, v40
	v_ashrrev_i32_e32 v40, 31, v37
	s_delay_alu instid0(VALU_DEP_3) | instskip(NEXT) | instid1(VALU_DEP_3)
	v_xor_b32_e32 v37, v42, v37
	v_lshlrev_b32_e32 v2, 2, v2
	s_delay_alu instid0(VALU_DEP_3) | instskip(SKIP_4) | instid1(VALU_DEP_1)
	v_not_b32_e32 v43, v40
	ds_load_b32 v2, v2
	v_xor_b32_e32 v36, v43, v36
	s_waitcnt lgkmcnt(0)
	v_add_nc_u32_e32 v2, v2, v88
	v_lshlrev_b64 v[40:41], 3, v[2:3]
	s_delay_alu instid0(VALU_DEP_1) | instskip(NEXT) | instid1(VALU_DEP_1)
	v_add_co_u32 v40, s26, s46, v40
	v_add_co_ci_u32_e64 v41, s26, s47, v41, s26
	global_store_b64 v[40:41], v[36:37], off
	s_or_b32 exec_lo, exec_lo, s27
	v_cmp_lt_u32_e64 s26, v89, v177
	s_delay_alu instid0(VALU_DEP_1)
	s_and_saveexec_b32 s28, s26
	s_cbranch_execnz .LBB1258_192
.LBB1258_207:                           ;   in Loop: Header=BB1258_103 Depth=2
	s_or_b32 exec_lo, exec_lo, s28
	v_cmp_lt_u32_e64 s27, v90, v177
	s_delay_alu instid0(VALU_DEP_1)
	s_and_saveexec_b32 s29, s27
	s_cbranch_execz .LBB1258_193
.LBB1258_208:                           ;   in Loop: Header=BB1258_103 Depth=2
	ds_load_b64 v[36:37], v110 offset:22528
	s_waitcnt lgkmcnt(0)
	v_cmp_ne_u64_e64 s28, s[38:39], v[36:37]
	s_delay_alu instid0(VALU_DEP_1) | instskip(SKIP_2) | instid1(VALU_DEP_2)
	v_cndmask_b32_e64 v41, 0x80000000, v37, s28
	v_cndmask_b32_e64 v40, 0, v36, s28
	v_cmp_lt_i64_e64 s28, -1, v[36:37]
	v_lshrrev_b64 v[40:41], s41, v[40:41]
	s_delay_alu instid0(VALU_DEP_2) | instskip(NEXT) | instid1(VALU_DEP_2)
	v_cndmask_b32_e64 v42, 0x80000000, -1, s28
	v_and_b32_e32 v2, s43, v40
	v_ashrrev_i32_e32 v40, 31, v37
	s_delay_alu instid0(VALU_DEP_3) | instskip(NEXT) | instid1(VALU_DEP_3)
	v_xor_b32_e32 v37, v42, v37
	v_lshlrev_b32_e32 v2, 2, v2
	s_delay_alu instid0(VALU_DEP_3) | instskip(SKIP_4) | instid1(VALU_DEP_1)
	v_not_b32_e32 v43, v40
	ds_load_b32 v2, v2
	v_xor_b32_e32 v36, v43, v36
	s_waitcnt lgkmcnt(0)
	v_add_nc_u32_e32 v2, v2, v90
	v_lshlrev_b64 v[40:41], 3, v[2:3]
	s_delay_alu instid0(VALU_DEP_1) | instskip(NEXT) | instid1(VALU_DEP_1)
	v_add_co_u32 v40, s28, s46, v40
	v_add_co_ci_u32_e64 v41, s28, s47, v41, s28
	global_store_b64 v[40:41], v[36:37], off
	s_or_b32 exec_lo, exec_lo, s29
	v_cmp_lt_u32_e64 s28, v91, v177
	s_delay_alu instid0(VALU_DEP_1)
	s_and_saveexec_b32 s30, s28
	s_cbranch_execnz .LBB1258_194
.LBB1258_209:                           ;   in Loop: Header=BB1258_103 Depth=2
	s_or_b32 exec_lo, exec_lo, s30
	v_cmp_lt_u32_e64 s29, v92, v177
	s_delay_alu instid0(VALU_DEP_1)
	s_and_saveexec_b32 s31, s29
	s_cbranch_execz .LBB1258_195
.LBB1258_210:                           ;   in Loop: Header=BB1258_103 Depth=2
	ds_load_b64 v[36:37], v110 offset:26624
	s_waitcnt lgkmcnt(0)
	v_cmp_ne_u64_e64 s30, s[38:39], v[36:37]
	s_delay_alu instid0(VALU_DEP_1) | instskip(SKIP_2) | instid1(VALU_DEP_2)
	v_cndmask_b32_e64 v41, 0x80000000, v37, s30
	v_cndmask_b32_e64 v40, 0, v36, s30
	v_cmp_lt_i64_e64 s30, -1, v[36:37]
	v_lshrrev_b64 v[40:41], s41, v[40:41]
	s_delay_alu instid0(VALU_DEP_2) | instskip(NEXT) | instid1(VALU_DEP_2)
	v_cndmask_b32_e64 v42, 0x80000000, -1, s30
	v_and_b32_e32 v2, s43, v40
	v_ashrrev_i32_e32 v40, 31, v37
	s_delay_alu instid0(VALU_DEP_3) | instskip(NEXT) | instid1(VALU_DEP_3)
	v_xor_b32_e32 v37, v42, v37
	v_lshlrev_b32_e32 v2, 2, v2
	s_delay_alu instid0(VALU_DEP_3) | instskip(SKIP_4) | instid1(VALU_DEP_1)
	v_not_b32_e32 v43, v40
	ds_load_b32 v2, v2
	v_xor_b32_e32 v36, v43, v36
	s_waitcnt lgkmcnt(0)
	v_add_nc_u32_e32 v2, v2, v92
	v_lshlrev_b64 v[40:41], 3, v[2:3]
	s_delay_alu instid0(VALU_DEP_1) | instskip(NEXT) | instid1(VALU_DEP_1)
	v_add_co_u32 v40, s30, s46, v40
	v_add_co_ci_u32_e64 v41, s30, s47, v41, s30
	global_store_b64 v[40:41], v[36:37], off
	s_or_b32 exec_lo, exec_lo, s31
	v_cmp_lt_u32_e64 s30, v93, v177
	s_delay_alu instid0(VALU_DEP_1)
	s_and_saveexec_b32 s33, s30
	s_cbranch_execnz .LBB1258_196
.LBB1258_211:                           ;   in Loop: Header=BB1258_103 Depth=2
	s_or_b32 exec_lo, exec_lo, s33
	v_cmp_lt_u32_e64 s31, v95, v177
	s_delay_alu instid0(VALU_DEP_1)
	s_and_saveexec_b32 s56, s31
	s_cbranch_execz .LBB1258_213
.LBB1258_212:                           ;   in Loop: Header=BB1258_103 Depth=2
	ds_load_b64 v[36:37], v110 offset:30720
	s_waitcnt lgkmcnt(0)
	v_cmp_ne_u64_e64 s33, s[38:39], v[36:37]
	s_delay_alu instid0(VALU_DEP_1) | instskip(SKIP_2) | instid1(VALU_DEP_2)
	v_cndmask_b32_e64 v41, 0x80000000, v37, s33
	v_cndmask_b32_e64 v40, 0, v36, s33
	v_cmp_lt_i64_e64 s33, -1, v[36:37]
	v_lshrrev_b64 v[40:41], s41, v[40:41]
	s_delay_alu instid0(VALU_DEP_2) | instskip(NEXT) | instid1(VALU_DEP_2)
	v_cndmask_b32_e64 v42, 0x80000000, -1, s33
	v_and_b32_e32 v2, s43, v40
	v_ashrrev_i32_e32 v40, 31, v37
	s_delay_alu instid0(VALU_DEP_3) | instskip(NEXT) | instid1(VALU_DEP_3)
	v_xor_b32_e32 v37, v42, v37
	v_lshlrev_b32_e32 v2, 2, v2
	s_delay_alu instid0(VALU_DEP_3) | instskip(SKIP_4) | instid1(VALU_DEP_1)
	v_not_b32_e32 v43, v40
	ds_load_b32 v2, v2
	v_xor_b32_e32 v36, v43, v36
	s_waitcnt lgkmcnt(0)
	v_add_nc_u32_e32 v2, v2, v95
	v_lshlrev_b64 v[40:41], 3, v[2:3]
	s_delay_alu instid0(VALU_DEP_1) | instskip(NEXT) | instid1(VALU_DEP_1)
	v_add_co_u32 v40, s33, s46, v40
	v_add_co_ci_u32_e64 v41, s33, s47, v41, s33
	global_store_b64 v[40:41], v[36:37], off
.LBB1258_213:                           ;   in Loop: Header=BB1258_103 Depth=2
	s_or_b32 exec_lo, exec_lo, s56
	s_lshl_b64 s[64:65], s[34:35], 3
	s_delay_alu instid0(SALU_CYCLE_1) | instskip(NEXT) | instid1(VALU_DEP_1)
	v_add_co_u32 v36, s33, v139, s64
	v_add_co_ci_u32_e64 v37, s33, s65, v140, s33
	v_cmp_lt_u32_e64 s33, v138, v177
	s_delay_alu instid0(VALU_DEP_1) | instskip(NEXT) | instid1(SALU_CYCLE_1)
	s_and_saveexec_b32 s34, s33
	s_xor_b32 s33, exec_lo, s34
	s_cbranch_execz .LBB1258_245
; %bb.214:                              ;   in Loop: Header=BB1258_103 Depth=2
	global_load_b64 v[34:35], v[36:37], off
	s_or_b32 exec_lo, exec_lo, s33
	s_delay_alu instid0(SALU_CYCLE_1)
	s_mov_b32 s34, exec_lo
	v_cmpx_lt_u32_e64 v141, v177
	s_cbranch_execnz .LBB1258_246
.LBB1258_215:                           ;   in Loop: Header=BB1258_103 Depth=2
	s_or_b32 exec_lo, exec_lo, s34
	s_delay_alu instid0(SALU_CYCLE_1)
	s_mov_b32 s34, exec_lo
	v_cmpx_lt_u32_e64 v142, v177
	s_cbranch_execz .LBB1258_247
.LBB1258_216:                           ;   in Loop: Header=BB1258_103 Depth=2
	global_load_b64 v[30:31], v[36:37], off offset:512
	s_or_b32 exec_lo, exec_lo, s34
	s_delay_alu instid0(SALU_CYCLE_1)
	s_mov_b32 s34, exec_lo
	v_cmpx_lt_u32_e64 v143, v177
	s_cbranch_execnz .LBB1258_248
.LBB1258_217:                           ;   in Loop: Header=BB1258_103 Depth=2
	s_or_b32 exec_lo, exec_lo, s34
	s_delay_alu instid0(SALU_CYCLE_1)
	s_mov_b32 s34, exec_lo
	v_cmpx_lt_u32_e64 v144, v177
	s_cbranch_execz .LBB1258_249
.LBB1258_218:                           ;   in Loop: Header=BB1258_103 Depth=2
	global_load_b64 v[26:27], v[36:37], off offset:1024
	s_or_b32 exec_lo, exec_lo, s34
	s_delay_alu instid0(SALU_CYCLE_1)
	s_mov_b32 s34, exec_lo
	v_cmpx_lt_u32_e64 v145, v177
	s_cbranch_execnz .LBB1258_250
.LBB1258_219:                           ;   in Loop: Header=BB1258_103 Depth=2
	s_or_b32 exec_lo, exec_lo, s34
	s_delay_alu instid0(SALU_CYCLE_1)
	s_mov_b32 s34, exec_lo
	v_cmpx_lt_u32_e64 v146, v177
	s_cbranch_execz .LBB1258_251
.LBB1258_220:                           ;   in Loop: Header=BB1258_103 Depth=2
	global_load_b64 v[22:23], v[36:37], off offset:1536
	s_or_b32 exec_lo, exec_lo, s34
	s_delay_alu instid0(SALU_CYCLE_1)
	s_mov_b32 s34, exec_lo
	v_cmpx_lt_u32_e64 v147, v177
	s_cbranch_execnz .LBB1258_252
.LBB1258_221:                           ;   in Loop: Header=BB1258_103 Depth=2
	s_or_b32 exec_lo, exec_lo, s34
	s_delay_alu instid0(SALU_CYCLE_1)
	s_mov_b32 s34, exec_lo
	v_cmpx_lt_u32_e64 v148, v177
	s_cbranch_execz .LBB1258_253
.LBB1258_222:                           ;   in Loop: Header=BB1258_103 Depth=2
	global_load_b64 v[18:19], v[36:37], off offset:2048
	s_or_b32 exec_lo, exec_lo, s34
	s_delay_alu instid0(SALU_CYCLE_1)
	s_mov_b32 s34, exec_lo
	v_cmpx_lt_u32_e64 v149, v177
	s_cbranch_execnz .LBB1258_254
.LBB1258_223:                           ;   in Loop: Header=BB1258_103 Depth=2
	s_or_b32 exec_lo, exec_lo, s34
	s_delay_alu instid0(SALU_CYCLE_1)
	s_mov_b32 s34, exec_lo
	v_cmpx_lt_u32_e64 v150, v177
	s_cbranch_execz .LBB1258_255
.LBB1258_224:                           ;   in Loop: Header=BB1258_103 Depth=2
	global_load_b64 v[14:15], v[36:37], off offset:2560
	s_or_b32 exec_lo, exec_lo, s34
	s_delay_alu instid0(SALU_CYCLE_1)
	s_mov_b32 s34, exec_lo
	v_cmpx_lt_u32_e64 v151, v177
	s_cbranch_execnz .LBB1258_256
.LBB1258_225:                           ;   in Loop: Header=BB1258_103 Depth=2
	s_or_b32 exec_lo, exec_lo, s34
	s_delay_alu instid0(SALU_CYCLE_1)
	s_mov_b32 s34, exec_lo
	v_cmpx_lt_u32_e64 v152, v177
	s_cbranch_execz .LBB1258_257
.LBB1258_226:                           ;   in Loop: Header=BB1258_103 Depth=2
	global_load_b64 v[10:11], v[36:37], off offset:3072
	s_or_b32 exec_lo, exec_lo, s34
	s_delay_alu instid0(SALU_CYCLE_1)
	s_mov_b32 s34, exec_lo
	v_cmpx_lt_u32_e64 v153, v177
	s_cbranch_execnz .LBB1258_258
.LBB1258_227:                           ;   in Loop: Header=BB1258_103 Depth=2
	s_or_b32 exec_lo, exec_lo, s34
	s_delay_alu instid0(SALU_CYCLE_1)
	s_mov_b32 s34, exec_lo
	v_cmpx_lt_u32_e64 v154, v177
	s_cbranch_execz .LBB1258_259
.LBB1258_228:                           ;   in Loop: Header=BB1258_103 Depth=2
	global_load_b64 v[6:7], v[36:37], off offset:3584
	s_or_b32 exec_lo, exec_lo, s34
	s_delay_alu instid0(SALU_CYCLE_1)
	s_mov_b32 s34, exec_lo
	v_cmpx_lt_u32_e64 v155, v177
	s_cbranch_execnz .LBB1258_260
.LBB1258_229:                           ;   in Loop: Header=BB1258_103 Depth=2
	s_or_b32 exec_lo, exec_lo, s34
	s_and_saveexec_b32 s34, vcc_lo
	s_cbranch_execz .LBB1258_261
.LBB1258_230:                           ;   in Loop: Header=BB1258_103 Depth=2
	v_add_nc_u32_e32 v2, v104, v76
	ds_load_b64 v[36:37], v2 offset:1024
	s_waitcnt lgkmcnt(0)
	v_cmp_ne_u64_e64 s33, s[38:39], v[36:37]
	s_delay_alu instid0(VALU_DEP_1) | instskip(SKIP_1) | instid1(VALU_DEP_1)
	v_cndmask_b32_e64 v37, 0x80000000, v37, s33
	v_cndmask_b32_e64 v36, 0, v36, s33
	v_lshrrev_b64 v[36:37], s41, v[36:37]
	s_delay_alu instid0(VALU_DEP_1)
	v_and_b32_e32 v176, s43, v36
	s_or_b32 exec_lo, exec_lo, s34
	s_and_saveexec_b32 s34, s17
	s_cbranch_execnz .LBB1258_262
.LBB1258_231:                           ;   in Loop: Header=BB1258_103 Depth=2
	s_or_b32 exec_lo, exec_lo, s34
	s_and_saveexec_b32 s34, s18
	s_cbranch_execz .LBB1258_263
.LBB1258_232:                           ;   in Loop: Header=BB1258_103 Depth=2
	ds_load_b64 v[36:37], v110 offset:4096
	s_waitcnt lgkmcnt(0)
	v_cmp_ne_u64_e64 s33, s[38:39], v[36:37]
	s_delay_alu instid0(VALU_DEP_1) | instskip(SKIP_1) | instid1(VALU_DEP_1)
	v_cndmask_b32_e64 v37, 0x80000000, v37, s33
	v_cndmask_b32_e64 v36, 0, v36, s33
	v_lshrrev_b64 v[36:37], s41, v[36:37]
	s_delay_alu instid0(VALU_DEP_1)
	v_and_b32_e32 v174, s43, v36
	s_or_b32 exec_lo, exec_lo, s34
	s_and_saveexec_b32 s34, s19
	s_cbranch_execnz .LBB1258_264
.LBB1258_233:                           ;   in Loop: Header=BB1258_103 Depth=2
	s_or_b32 exec_lo, exec_lo, s34
	s_and_saveexec_b32 s34, s20
	s_cbranch_execz .LBB1258_265
.LBB1258_234:                           ;   in Loop: Header=BB1258_103 Depth=2
	ds_load_b64 v[36:37], v110 offset:8192
	s_waitcnt lgkmcnt(0)
	v_cmp_ne_u64_e64 s33, s[38:39], v[36:37]
	s_delay_alu instid0(VALU_DEP_1) | instskip(SKIP_1) | instid1(VALU_DEP_1)
	v_cndmask_b32_e64 v37, 0x80000000, v37, s33
	v_cndmask_b32_e64 v36, 0, v36, s33
	v_lshrrev_b64 v[36:37], s41, v[36:37]
	s_delay_alu instid0(VALU_DEP_1)
	v_and_b32_e32 v172, s43, v36
	s_or_b32 exec_lo, exec_lo, s34
	s_and_saveexec_b32 s34, s21
	s_cbranch_execnz .LBB1258_266
.LBB1258_235:                           ;   in Loop: Header=BB1258_103 Depth=2
	s_or_b32 exec_lo, exec_lo, s34
	s_and_saveexec_b32 s34, s22
	s_cbranch_execz .LBB1258_267
.LBB1258_236:                           ;   in Loop: Header=BB1258_103 Depth=2
	ds_load_b64 v[36:37], v110 offset:12288
	s_waitcnt lgkmcnt(0)
	v_cmp_ne_u64_e64 s33, s[38:39], v[36:37]
	s_delay_alu instid0(VALU_DEP_1) | instskip(SKIP_1) | instid1(VALU_DEP_1)
	v_cndmask_b32_e64 v37, 0x80000000, v37, s33
	v_cndmask_b32_e64 v36, 0, v36, s33
	v_lshrrev_b64 v[36:37], s41, v[36:37]
	s_delay_alu instid0(VALU_DEP_1)
	v_and_b32_e32 v170, s43, v36
	s_or_b32 exec_lo, exec_lo, s34
	s_and_saveexec_b32 s34, s23
	s_cbranch_execnz .LBB1258_268
.LBB1258_237:                           ;   in Loop: Header=BB1258_103 Depth=2
	s_or_b32 exec_lo, exec_lo, s34
	s_and_saveexec_b32 s34, s24
	s_cbranch_execz .LBB1258_269
.LBB1258_238:                           ;   in Loop: Header=BB1258_103 Depth=2
	ds_load_b64 v[36:37], v110 offset:16384
	s_waitcnt lgkmcnt(0)
	v_cmp_ne_u64_e64 s33, s[38:39], v[36:37]
	s_delay_alu instid0(VALU_DEP_1) | instskip(SKIP_1) | instid1(VALU_DEP_1)
	v_cndmask_b32_e64 v37, 0x80000000, v37, s33
	v_cndmask_b32_e64 v36, 0, v36, s33
	v_lshrrev_b64 v[36:37], s41, v[36:37]
	s_delay_alu instid0(VALU_DEP_1)
	v_and_b32_e32 v168, s43, v36
	s_or_b32 exec_lo, exec_lo, s34
	s_and_saveexec_b32 s34, s25
	s_cbranch_execnz .LBB1258_270
.LBB1258_239:                           ;   in Loop: Header=BB1258_103 Depth=2
	s_or_b32 exec_lo, exec_lo, s34
	s_and_saveexec_b32 s34, s26
	s_cbranch_execz .LBB1258_271
.LBB1258_240:                           ;   in Loop: Header=BB1258_103 Depth=2
	ds_load_b64 v[36:37], v110 offset:20480
	s_waitcnt lgkmcnt(0)
	v_cmp_ne_u64_e64 s33, s[38:39], v[36:37]
	s_delay_alu instid0(VALU_DEP_1) | instskip(SKIP_1) | instid1(VALU_DEP_1)
	v_cndmask_b32_e64 v37, 0x80000000, v37, s33
	v_cndmask_b32_e64 v36, 0, v36, s33
	v_lshrrev_b64 v[36:37], s41, v[36:37]
	s_delay_alu instid0(VALU_DEP_1)
	v_and_b32_e32 v166, s43, v36
	s_or_b32 exec_lo, exec_lo, s34
	s_and_saveexec_b32 s34, s27
	s_cbranch_execnz .LBB1258_272
.LBB1258_241:                           ;   in Loop: Header=BB1258_103 Depth=2
	s_or_b32 exec_lo, exec_lo, s34
	s_and_saveexec_b32 s34, s28
	s_cbranch_execz .LBB1258_273
.LBB1258_242:                           ;   in Loop: Header=BB1258_103 Depth=2
	ds_load_b64 v[36:37], v110 offset:24576
	s_waitcnt lgkmcnt(0)
	v_cmp_ne_u64_e64 s33, s[38:39], v[36:37]
	s_delay_alu instid0(VALU_DEP_1) | instskip(SKIP_1) | instid1(VALU_DEP_1)
	v_cndmask_b32_e64 v37, 0x80000000, v37, s33
	v_cndmask_b32_e64 v36, 0, v36, s33
	v_lshrrev_b64 v[36:37], s41, v[36:37]
	s_delay_alu instid0(VALU_DEP_1)
	v_and_b32_e32 v164, s43, v36
	s_or_b32 exec_lo, exec_lo, s34
	s_and_saveexec_b32 s34, s29
	s_cbranch_execnz .LBB1258_274
.LBB1258_243:                           ;   in Loop: Header=BB1258_103 Depth=2
	s_or_b32 exec_lo, exec_lo, s34
	s_and_saveexec_b32 s34, s30
	s_cbranch_execz .LBB1258_275
.LBB1258_244:                           ;   in Loop: Header=BB1258_103 Depth=2
	ds_load_b64 v[36:37], v110 offset:28672
	s_waitcnt lgkmcnt(0)
	v_cmp_ne_u64_e64 s33, s[38:39], v[36:37]
	s_delay_alu instid0(VALU_DEP_1) | instskip(SKIP_1) | instid1(VALU_DEP_1)
	v_cndmask_b32_e64 v37, 0x80000000, v37, s33
	v_cndmask_b32_e64 v36, 0, v36, s33
	v_lshrrev_b64 v[36:37], s41, v[36:37]
	s_delay_alu instid0(VALU_DEP_1)
	v_and_b32_e32 v162, s43, v36
	s_or_b32 exec_lo, exec_lo, s34
	s_and_saveexec_b32 s34, s31
	s_cbranch_execnz .LBB1258_276
	s_branch .LBB1258_277
.LBB1258_245:                           ;   in Loop: Header=BB1258_103 Depth=2
	s_or_b32 exec_lo, exec_lo, s33
	s_delay_alu instid0(SALU_CYCLE_1)
	s_mov_b32 s34, exec_lo
	v_cmpx_lt_u32_e64 v141, v177
	s_cbranch_execz .LBB1258_215
.LBB1258_246:                           ;   in Loop: Header=BB1258_103 Depth=2
	global_load_b64 v[32:33], v[36:37], off offset:256
	s_or_b32 exec_lo, exec_lo, s34
	s_delay_alu instid0(SALU_CYCLE_1)
	s_mov_b32 s34, exec_lo
	v_cmpx_lt_u32_e64 v142, v177
	s_cbranch_execnz .LBB1258_216
.LBB1258_247:                           ;   in Loop: Header=BB1258_103 Depth=2
	s_or_b32 exec_lo, exec_lo, s34
	s_delay_alu instid0(SALU_CYCLE_1)
	s_mov_b32 s34, exec_lo
	v_cmpx_lt_u32_e64 v143, v177
	s_cbranch_execz .LBB1258_217
.LBB1258_248:                           ;   in Loop: Header=BB1258_103 Depth=2
	global_load_b64 v[28:29], v[36:37], off offset:768
	s_or_b32 exec_lo, exec_lo, s34
	s_delay_alu instid0(SALU_CYCLE_1)
	s_mov_b32 s34, exec_lo
	v_cmpx_lt_u32_e64 v144, v177
	s_cbranch_execnz .LBB1258_218
.LBB1258_249:                           ;   in Loop: Header=BB1258_103 Depth=2
	s_or_b32 exec_lo, exec_lo, s34
	s_delay_alu instid0(SALU_CYCLE_1)
	s_mov_b32 s34, exec_lo
	v_cmpx_lt_u32_e64 v145, v177
	s_cbranch_execz .LBB1258_219
.LBB1258_250:                           ;   in Loop: Header=BB1258_103 Depth=2
	global_load_b64 v[24:25], v[36:37], off offset:1280
	s_or_b32 exec_lo, exec_lo, s34
	s_delay_alu instid0(SALU_CYCLE_1)
	s_mov_b32 s34, exec_lo
	v_cmpx_lt_u32_e64 v146, v177
	s_cbranch_execnz .LBB1258_220
.LBB1258_251:                           ;   in Loop: Header=BB1258_103 Depth=2
	s_or_b32 exec_lo, exec_lo, s34
	s_delay_alu instid0(SALU_CYCLE_1)
	s_mov_b32 s34, exec_lo
	v_cmpx_lt_u32_e64 v147, v177
	s_cbranch_execz .LBB1258_221
.LBB1258_252:                           ;   in Loop: Header=BB1258_103 Depth=2
	global_load_b64 v[20:21], v[36:37], off offset:1792
	s_or_b32 exec_lo, exec_lo, s34
	s_delay_alu instid0(SALU_CYCLE_1)
	s_mov_b32 s34, exec_lo
	v_cmpx_lt_u32_e64 v148, v177
	s_cbranch_execnz .LBB1258_222
.LBB1258_253:                           ;   in Loop: Header=BB1258_103 Depth=2
	s_or_b32 exec_lo, exec_lo, s34
	s_delay_alu instid0(SALU_CYCLE_1)
	s_mov_b32 s34, exec_lo
	v_cmpx_lt_u32_e64 v149, v177
	s_cbranch_execz .LBB1258_223
.LBB1258_254:                           ;   in Loop: Header=BB1258_103 Depth=2
	global_load_b64 v[16:17], v[36:37], off offset:2304
	s_or_b32 exec_lo, exec_lo, s34
	s_delay_alu instid0(SALU_CYCLE_1)
	s_mov_b32 s34, exec_lo
	v_cmpx_lt_u32_e64 v150, v177
	s_cbranch_execnz .LBB1258_224
.LBB1258_255:                           ;   in Loop: Header=BB1258_103 Depth=2
	s_or_b32 exec_lo, exec_lo, s34
	s_delay_alu instid0(SALU_CYCLE_1)
	s_mov_b32 s34, exec_lo
	v_cmpx_lt_u32_e64 v151, v177
	s_cbranch_execz .LBB1258_225
.LBB1258_256:                           ;   in Loop: Header=BB1258_103 Depth=2
	global_load_b64 v[12:13], v[36:37], off offset:2816
	s_or_b32 exec_lo, exec_lo, s34
	s_delay_alu instid0(SALU_CYCLE_1)
	s_mov_b32 s34, exec_lo
	v_cmpx_lt_u32_e64 v152, v177
	s_cbranch_execnz .LBB1258_226
.LBB1258_257:                           ;   in Loop: Header=BB1258_103 Depth=2
	s_or_b32 exec_lo, exec_lo, s34
	s_delay_alu instid0(SALU_CYCLE_1)
	s_mov_b32 s34, exec_lo
	v_cmpx_lt_u32_e64 v153, v177
	s_cbranch_execz .LBB1258_227
.LBB1258_258:                           ;   in Loop: Header=BB1258_103 Depth=2
	global_load_b64 v[8:9], v[36:37], off offset:3328
	s_or_b32 exec_lo, exec_lo, s34
	s_delay_alu instid0(SALU_CYCLE_1)
	s_mov_b32 s34, exec_lo
	v_cmpx_lt_u32_e64 v154, v177
	s_cbranch_execnz .LBB1258_228
.LBB1258_259:                           ;   in Loop: Header=BB1258_103 Depth=2
	s_or_b32 exec_lo, exec_lo, s34
	s_delay_alu instid0(SALU_CYCLE_1)
	s_mov_b32 s34, exec_lo
	v_cmpx_lt_u32_e64 v155, v177
	s_cbranch_execz .LBB1258_229
.LBB1258_260:                           ;   in Loop: Header=BB1258_103 Depth=2
	global_load_b64 v[4:5], v[36:37], off offset:3840
	s_or_b32 exec_lo, exec_lo, s34
	s_and_saveexec_b32 s34, vcc_lo
	s_cbranch_execnz .LBB1258_230
.LBB1258_261:                           ;   in Loop: Header=BB1258_103 Depth=2
	s_or_b32 exec_lo, exec_lo, s34
	s_and_saveexec_b32 s34, s17
	s_cbranch_execz .LBB1258_231
.LBB1258_262:                           ;   in Loop: Header=BB1258_103 Depth=2
	ds_load_b64 v[36:37], v110 offset:2048
	s_waitcnt lgkmcnt(0)
	v_cmp_ne_u64_e64 s33, s[38:39], v[36:37]
	s_delay_alu instid0(VALU_DEP_1) | instskip(SKIP_1) | instid1(VALU_DEP_1)
	v_cndmask_b32_e64 v37, 0x80000000, v37, s33
	v_cndmask_b32_e64 v36, 0, v36, s33
	v_lshrrev_b64 v[36:37], s41, v[36:37]
	s_delay_alu instid0(VALU_DEP_1)
	v_and_b32_e32 v175, s43, v36
	s_or_b32 exec_lo, exec_lo, s34
	s_and_saveexec_b32 s34, s18
	s_cbranch_execnz .LBB1258_232
.LBB1258_263:                           ;   in Loop: Header=BB1258_103 Depth=2
	s_or_b32 exec_lo, exec_lo, s34
	s_and_saveexec_b32 s34, s19
	s_cbranch_execz .LBB1258_233
.LBB1258_264:                           ;   in Loop: Header=BB1258_103 Depth=2
	ds_load_b64 v[36:37], v110 offset:6144
	s_waitcnt lgkmcnt(0)
	v_cmp_ne_u64_e64 s33, s[38:39], v[36:37]
	s_delay_alu instid0(VALU_DEP_1) | instskip(SKIP_1) | instid1(VALU_DEP_1)
	v_cndmask_b32_e64 v37, 0x80000000, v37, s33
	v_cndmask_b32_e64 v36, 0, v36, s33
	v_lshrrev_b64 v[36:37], s41, v[36:37]
	s_delay_alu instid0(VALU_DEP_1)
	v_and_b32_e32 v173, s43, v36
	s_or_b32 exec_lo, exec_lo, s34
	s_and_saveexec_b32 s34, s20
	s_cbranch_execnz .LBB1258_234
.LBB1258_265:                           ;   in Loop: Header=BB1258_103 Depth=2
	s_or_b32 exec_lo, exec_lo, s34
	s_and_saveexec_b32 s34, s21
	s_cbranch_execz .LBB1258_235
.LBB1258_266:                           ;   in Loop: Header=BB1258_103 Depth=2
	ds_load_b64 v[36:37], v110 offset:10240
	s_waitcnt lgkmcnt(0)
	v_cmp_ne_u64_e64 s33, s[38:39], v[36:37]
	s_delay_alu instid0(VALU_DEP_1) | instskip(SKIP_1) | instid1(VALU_DEP_1)
	v_cndmask_b32_e64 v37, 0x80000000, v37, s33
	v_cndmask_b32_e64 v36, 0, v36, s33
	v_lshrrev_b64 v[36:37], s41, v[36:37]
	s_delay_alu instid0(VALU_DEP_1)
	v_and_b32_e32 v171, s43, v36
	s_or_b32 exec_lo, exec_lo, s34
	s_and_saveexec_b32 s34, s22
	s_cbranch_execnz .LBB1258_236
.LBB1258_267:                           ;   in Loop: Header=BB1258_103 Depth=2
	s_or_b32 exec_lo, exec_lo, s34
	s_and_saveexec_b32 s34, s23
	s_cbranch_execz .LBB1258_237
.LBB1258_268:                           ;   in Loop: Header=BB1258_103 Depth=2
	ds_load_b64 v[36:37], v110 offset:14336
	s_waitcnt lgkmcnt(0)
	v_cmp_ne_u64_e64 s33, s[38:39], v[36:37]
	s_delay_alu instid0(VALU_DEP_1) | instskip(SKIP_1) | instid1(VALU_DEP_1)
	v_cndmask_b32_e64 v37, 0x80000000, v37, s33
	v_cndmask_b32_e64 v36, 0, v36, s33
	v_lshrrev_b64 v[36:37], s41, v[36:37]
	s_delay_alu instid0(VALU_DEP_1)
	v_and_b32_e32 v169, s43, v36
	s_or_b32 exec_lo, exec_lo, s34
	s_and_saveexec_b32 s34, s24
	s_cbranch_execnz .LBB1258_238
.LBB1258_269:                           ;   in Loop: Header=BB1258_103 Depth=2
	s_or_b32 exec_lo, exec_lo, s34
	s_and_saveexec_b32 s34, s25
	s_cbranch_execz .LBB1258_239
.LBB1258_270:                           ;   in Loop: Header=BB1258_103 Depth=2
	ds_load_b64 v[36:37], v110 offset:18432
	s_waitcnt lgkmcnt(0)
	v_cmp_ne_u64_e64 s33, s[38:39], v[36:37]
	s_delay_alu instid0(VALU_DEP_1) | instskip(SKIP_1) | instid1(VALU_DEP_1)
	v_cndmask_b32_e64 v37, 0x80000000, v37, s33
	v_cndmask_b32_e64 v36, 0, v36, s33
	v_lshrrev_b64 v[36:37], s41, v[36:37]
	s_delay_alu instid0(VALU_DEP_1)
	v_and_b32_e32 v167, s43, v36
	s_or_b32 exec_lo, exec_lo, s34
	s_and_saveexec_b32 s34, s26
	s_cbranch_execnz .LBB1258_240
.LBB1258_271:                           ;   in Loop: Header=BB1258_103 Depth=2
	s_or_b32 exec_lo, exec_lo, s34
	s_and_saveexec_b32 s34, s27
	s_cbranch_execz .LBB1258_241
.LBB1258_272:                           ;   in Loop: Header=BB1258_103 Depth=2
	ds_load_b64 v[36:37], v110 offset:22528
	s_waitcnt lgkmcnt(0)
	v_cmp_ne_u64_e64 s33, s[38:39], v[36:37]
	s_delay_alu instid0(VALU_DEP_1) | instskip(SKIP_1) | instid1(VALU_DEP_1)
	v_cndmask_b32_e64 v37, 0x80000000, v37, s33
	v_cndmask_b32_e64 v36, 0, v36, s33
	v_lshrrev_b64 v[36:37], s41, v[36:37]
	s_delay_alu instid0(VALU_DEP_1)
	v_and_b32_e32 v165, s43, v36
	s_or_b32 exec_lo, exec_lo, s34
	s_and_saveexec_b32 s34, s28
	s_cbranch_execnz .LBB1258_242
.LBB1258_273:                           ;   in Loop: Header=BB1258_103 Depth=2
	s_or_b32 exec_lo, exec_lo, s34
	s_and_saveexec_b32 s34, s29
	s_cbranch_execz .LBB1258_243
.LBB1258_274:                           ;   in Loop: Header=BB1258_103 Depth=2
	ds_load_b64 v[36:37], v110 offset:26624
	s_waitcnt lgkmcnt(0)
	v_cmp_ne_u64_e64 s33, s[38:39], v[36:37]
	s_delay_alu instid0(VALU_DEP_1) | instskip(SKIP_1) | instid1(VALU_DEP_1)
	v_cndmask_b32_e64 v37, 0x80000000, v37, s33
	v_cndmask_b32_e64 v36, 0, v36, s33
	v_lshrrev_b64 v[36:37], s41, v[36:37]
	s_delay_alu instid0(VALU_DEP_1)
	v_and_b32_e32 v163, s43, v36
	s_or_b32 exec_lo, exec_lo, s34
	s_and_saveexec_b32 s34, s30
	s_cbranch_execnz .LBB1258_244
.LBB1258_275:                           ;   in Loop: Header=BB1258_103 Depth=2
	s_or_b32 exec_lo, exec_lo, s34
	s_and_saveexec_b32 s34, s31
	s_cbranch_execz .LBB1258_277
.LBB1258_276:                           ;   in Loop: Header=BB1258_103 Depth=2
	ds_load_b64 v[36:37], v110 offset:30720
	s_waitcnt lgkmcnt(0)
	v_cmp_ne_u64_e64 s33, s[38:39], v[36:37]
	s_delay_alu instid0(VALU_DEP_1) | instskip(SKIP_1) | instid1(VALU_DEP_1)
	v_cndmask_b32_e64 v37, 0x80000000, v37, s33
	v_cndmask_b32_e64 v36, 0, v36, s33
	v_lshrrev_b64 v[36:37], s41, v[36:37]
	s_delay_alu instid0(VALU_DEP_1)
	v_and_b32_e32 v161, s43, v36
.LBB1258_277:                           ;   in Loop: Header=BB1258_103 Depth=2
	s_or_b32 exec_lo, exec_lo, s34
	v_add_nc_u32_e32 v2, 0x400, v69
	v_add_nc_u32_e32 v36, 0x400, v70
	;; [unrolled: 1-line block ×16, first 2 shown]
	s_waitcnt vmcnt(0)
	s_waitcnt_vscnt null, 0x0
	s_barrier
	buffer_gl0_inv
	ds_store_b64 v2, v[34:35]
	ds_store_b64 v36, v[32:33]
	;; [unrolled: 1-line block ×16, first 2 shown]
	s_waitcnt lgkmcnt(0)
	s_barrier
	buffer_gl0_inv
	s_and_saveexec_b32 s33, vcc_lo
	s_cbranch_execz .LBB1258_293
; %bb.278:                              ;   in Loop: Header=BB1258_103 Depth=2
	v_lshlrev_b32_e32 v2, 2, v176
	v_add_nc_u32_e32 v36, v104, v76
	ds_load_b32 v2, v2
	ds_load_b64 v[36:37], v36 offset:1024
	s_waitcnt lgkmcnt(1)
	v_add_nc_u32_e32 v2, v2, v1
	s_delay_alu instid0(VALU_DEP_1) | instskip(NEXT) | instid1(VALU_DEP_1)
	v_lshlrev_b64 v[38:39], 3, v[2:3]
	v_add_co_u32 v38, vcc_lo, s52, v38
	s_delay_alu instid0(VALU_DEP_2)
	v_add_co_ci_u32_e32 v39, vcc_lo, s53, v39, vcc_lo
	s_waitcnt lgkmcnt(0)
	global_store_b64 v[38:39], v[36:37], off
	s_or_b32 exec_lo, exec_lo, s33
	s_and_saveexec_b32 s33, s17
	s_cbranch_execnz .LBB1258_294
.LBB1258_279:                           ;   in Loop: Header=BB1258_103 Depth=2
	s_or_b32 exec_lo, exec_lo, s33
	s_and_saveexec_b32 s17, s18
	s_cbranch_execz .LBB1258_295
.LBB1258_280:                           ;   in Loop: Header=BB1258_103 Depth=2
	v_lshlrev_b32_e32 v2, 2, v174
	ds_load_b32 v2, v2
	ds_load_b64 v[36:37], v110 offset:4096
	s_waitcnt lgkmcnt(1)
	v_add_nc_u32_e32 v2, v2, v78
	s_delay_alu instid0(VALU_DEP_1) | instskip(NEXT) | instid1(VALU_DEP_1)
	v_lshlrev_b64 v[38:39], 3, v[2:3]
	v_add_co_u32 v38, vcc_lo, s52, v38
	s_delay_alu instid0(VALU_DEP_2)
	v_add_co_ci_u32_e32 v39, vcc_lo, s53, v39, vcc_lo
	s_waitcnt lgkmcnt(0)
	global_store_b64 v[38:39], v[36:37], off
	s_or_b32 exec_lo, exec_lo, s17
	s_and_saveexec_b32 s17, s19
	s_cbranch_execnz .LBB1258_296
.LBB1258_281:                           ;   in Loop: Header=BB1258_103 Depth=2
	s_or_b32 exec_lo, exec_lo, s17
	s_and_saveexec_b32 s17, s20
	s_cbranch_execz .LBB1258_297
.LBB1258_282:                           ;   in Loop: Header=BB1258_103 Depth=2
	v_lshlrev_b32_e32 v2, 2, v172
	ds_load_b32 v2, v2
	ds_load_b64 v[36:37], v110 offset:8192
	s_waitcnt lgkmcnt(1)
	v_add_nc_u32_e32 v2, v2, v83
	s_delay_alu instid0(VALU_DEP_1) | instskip(NEXT) | instid1(VALU_DEP_1)
	v_lshlrev_b64 v[38:39], 3, v[2:3]
	v_add_co_u32 v38, vcc_lo, s52, v38
	s_delay_alu instid0(VALU_DEP_2)
	v_add_co_ci_u32_e32 v39, vcc_lo, s53, v39, vcc_lo
	s_waitcnt lgkmcnt(0)
	global_store_b64 v[38:39], v[36:37], off
	s_or_b32 exec_lo, exec_lo, s17
	s_and_saveexec_b32 s17, s21
	s_cbranch_execnz .LBB1258_298
.LBB1258_283:                           ;   in Loop: Header=BB1258_103 Depth=2
	s_or_b32 exec_lo, exec_lo, s17
	s_and_saveexec_b32 s17, s22
	s_cbranch_execz .LBB1258_299
.LBB1258_284:                           ;   in Loop: Header=BB1258_103 Depth=2
	v_lshlrev_b32_e32 v2, 2, v170
	ds_load_b32 v2, v2
	ds_load_b64 v[36:37], v110 offset:12288
	s_waitcnt lgkmcnt(1)
	v_add_nc_u32_e32 v2, v2, v85
	s_delay_alu instid0(VALU_DEP_1) | instskip(NEXT) | instid1(VALU_DEP_1)
	v_lshlrev_b64 v[38:39], 3, v[2:3]
	v_add_co_u32 v38, vcc_lo, s52, v38
	s_delay_alu instid0(VALU_DEP_2)
	v_add_co_ci_u32_e32 v39, vcc_lo, s53, v39, vcc_lo
	s_waitcnt lgkmcnt(0)
	global_store_b64 v[38:39], v[36:37], off
	s_or_b32 exec_lo, exec_lo, s17
	s_and_saveexec_b32 s17, s23
	s_cbranch_execnz .LBB1258_300
.LBB1258_285:                           ;   in Loop: Header=BB1258_103 Depth=2
	s_or_b32 exec_lo, exec_lo, s17
	s_and_saveexec_b32 s17, s24
	s_cbranch_execz .LBB1258_301
.LBB1258_286:                           ;   in Loop: Header=BB1258_103 Depth=2
	v_lshlrev_b32_e32 v2, 2, v168
	ds_load_b32 v2, v2
	ds_load_b64 v[36:37], v110 offset:16384
	s_waitcnt lgkmcnt(1)
	v_add_nc_u32_e32 v2, v2, v87
	s_delay_alu instid0(VALU_DEP_1) | instskip(NEXT) | instid1(VALU_DEP_1)
	v_lshlrev_b64 v[38:39], 3, v[2:3]
	v_add_co_u32 v38, vcc_lo, s52, v38
	s_delay_alu instid0(VALU_DEP_2)
	v_add_co_ci_u32_e32 v39, vcc_lo, s53, v39, vcc_lo
	s_waitcnt lgkmcnt(0)
	global_store_b64 v[38:39], v[36:37], off
	s_or_b32 exec_lo, exec_lo, s17
	s_and_saveexec_b32 s17, s25
	s_cbranch_execnz .LBB1258_302
.LBB1258_287:                           ;   in Loop: Header=BB1258_103 Depth=2
	s_or_b32 exec_lo, exec_lo, s17
	s_and_saveexec_b32 s17, s26
	s_cbranch_execz .LBB1258_303
.LBB1258_288:                           ;   in Loop: Header=BB1258_103 Depth=2
	v_lshlrev_b32_e32 v2, 2, v166
	ds_load_b32 v2, v2
	ds_load_b64 v[36:37], v110 offset:20480
	s_waitcnt lgkmcnt(1)
	v_add_nc_u32_e32 v2, v2, v89
	s_delay_alu instid0(VALU_DEP_1) | instskip(NEXT) | instid1(VALU_DEP_1)
	v_lshlrev_b64 v[38:39], 3, v[2:3]
	v_add_co_u32 v38, vcc_lo, s52, v38
	s_delay_alu instid0(VALU_DEP_2)
	v_add_co_ci_u32_e32 v39, vcc_lo, s53, v39, vcc_lo
	s_waitcnt lgkmcnt(0)
	global_store_b64 v[38:39], v[36:37], off
	s_or_b32 exec_lo, exec_lo, s17
	s_and_saveexec_b32 s17, s27
	s_cbranch_execnz .LBB1258_304
.LBB1258_289:                           ;   in Loop: Header=BB1258_103 Depth=2
	s_or_b32 exec_lo, exec_lo, s17
	s_and_saveexec_b32 s17, s28
	s_cbranch_execz .LBB1258_305
.LBB1258_290:                           ;   in Loop: Header=BB1258_103 Depth=2
	v_lshlrev_b32_e32 v2, 2, v164
	ds_load_b32 v2, v2
	ds_load_b64 v[36:37], v110 offset:24576
	s_waitcnt lgkmcnt(1)
	v_add_nc_u32_e32 v2, v2, v91
	s_delay_alu instid0(VALU_DEP_1) | instskip(NEXT) | instid1(VALU_DEP_1)
	v_lshlrev_b64 v[38:39], 3, v[2:3]
	v_add_co_u32 v38, vcc_lo, s52, v38
	s_delay_alu instid0(VALU_DEP_2)
	v_add_co_ci_u32_e32 v39, vcc_lo, s53, v39, vcc_lo
	s_waitcnt lgkmcnt(0)
	global_store_b64 v[38:39], v[36:37], off
	s_or_b32 exec_lo, exec_lo, s17
	s_and_saveexec_b32 s17, s29
	s_cbranch_execnz .LBB1258_306
.LBB1258_291:                           ;   in Loop: Header=BB1258_103 Depth=2
	s_or_b32 exec_lo, exec_lo, s17
	s_and_saveexec_b32 s17, s30
	s_cbranch_execz .LBB1258_307
.LBB1258_292:                           ;   in Loop: Header=BB1258_103 Depth=2
	v_lshlrev_b32_e32 v2, 2, v162
	ds_load_b32 v2, v2
	ds_load_b64 v[36:37], v110 offset:28672
	s_waitcnt lgkmcnt(1)
	v_add_nc_u32_e32 v2, v2, v93
	s_delay_alu instid0(VALU_DEP_1) | instskip(NEXT) | instid1(VALU_DEP_1)
	v_lshlrev_b64 v[38:39], 3, v[2:3]
	v_add_co_u32 v38, vcc_lo, s52, v38
	s_delay_alu instid0(VALU_DEP_2)
	v_add_co_ci_u32_e32 v39, vcc_lo, s53, v39, vcc_lo
	s_waitcnt lgkmcnt(0)
	global_store_b64 v[38:39], v[36:37], off
	s_or_b32 exec_lo, exec_lo, s17
	s_and_saveexec_b32 s17, s31
	s_cbranch_execnz .LBB1258_308
	s_branch .LBB1258_309
.LBB1258_293:                           ;   in Loop: Header=BB1258_103 Depth=2
	s_or_b32 exec_lo, exec_lo, s33
	s_and_saveexec_b32 s33, s17
	s_cbranch_execz .LBB1258_279
.LBB1258_294:                           ;   in Loop: Header=BB1258_103 Depth=2
	v_lshlrev_b32_e32 v2, 2, v175
	ds_load_b32 v2, v2
	ds_load_b64 v[36:37], v110 offset:2048
	s_waitcnt lgkmcnt(1)
	v_add_nc_u32_e32 v2, v2, v77
	s_delay_alu instid0(VALU_DEP_1) | instskip(NEXT) | instid1(VALU_DEP_1)
	v_lshlrev_b64 v[38:39], 3, v[2:3]
	v_add_co_u32 v38, vcc_lo, s52, v38
	s_delay_alu instid0(VALU_DEP_2)
	v_add_co_ci_u32_e32 v39, vcc_lo, s53, v39, vcc_lo
	s_waitcnt lgkmcnt(0)
	global_store_b64 v[38:39], v[36:37], off
	s_or_b32 exec_lo, exec_lo, s33
	s_and_saveexec_b32 s17, s18
	s_cbranch_execnz .LBB1258_280
.LBB1258_295:                           ;   in Loop: Header=BB1258_103 Depth=2
	s_or_b32 exec_lo, exec_lo, s17
	s_and_saveexec_b32 s17, s19
	s_cbranch_execz .LBB1258_281
.LBB1258_296:                           ;   in Loop: Header=BB1258_103 Depth=2
	v_lshlrev_b32_e32 v2, 2, v173
	ds_load_b32 v2, v2
	ds_load_b64 v[36:37], v110 offset:6144
	s_waitcnt lgkmcnt(1)
	v_add_nc_u32_e32 v2, v2, v79
	s_delay_alu instid0(VALU_DEP_1) | instskip(NEXT) | instid1(VALU_DEP_1)
	v_lshlrev_b64 v[38:39], 3, v[2:3]
	v_add_co_u32 v38, vcc_lo, s52, v38
	s_delay_alu instid0(VALU_DEP_2)
	v_add_co_ci_u32_e32 v39, vcc_lo, s53, v39, vcc_lo
	s_waitcnt lgkmcnt(0)
	global_store_b64 v[38:39], v[36:37], off
	s_or_b32 exec_lo, exec_lo, s17
	s_and_saveexec_b32 s17, s20
	s_cbranch_execnz .LBB1258_282
.LBB1258_297:                           ;   in Loop: Header=BB1258_103 Depth=2
	s_or_b32 exec_lo, exec_lo, s17
	s_and_saveexec_b32 s17, s21
	s_cbranch_execz .LBB1258_283
.LBB1258_298:                           ;   in Loop: Header=BB1258_103 Depth=2
	v_lshlrev_b32_e32 v2, 2, v171
	ds_load_b32 v2, v2
	ds_load_b64 v[36:37], v110 offset:10240
	s_waitcnt lgkmcnt(1)
	v_add_nc_u32_e32 v2, v2, v84
	s_delay_alu instid0(VALU_DEP_1) | instskip(NEXT) | instid1(VALU_DEP_1)
	v_lshlrev_b64 v[38:39], 3, v[2:3]
	v_add_co_u32 v38, vcc_lo, s52, v38
	s_delay_alu instid0(VALU_DEP_2)
	v_add_co_ci_u32_e32 v39, vcc_lo, s53, v39, vcc_lo
	s_waitcnt lgkmcnt(0)
	global_store_b64 v[38:39], v[36:37], off
	s_or_b32 exec_lo, exec_lo, s17
	s_and_saveexec_b32 s17, s22
	s_cbranch_execnz .LBB1258_284
.LBB1258_299:                           ;   in Loop: Header=BB1258_103 Depth=2
	s_or_b32 exec_lo, exec_lo, s17
	s_and_saveexec_b32 s17, s23
	s_cbranch_execz .LBB1258_285
.LBB1258_300:                           ;   in Loop: Header=BB1258_103 Depth=2
	v_lshlrev_b32_e32 v2, 2, v169
	ds_load_b32 v2, v2
	ds_load_b64 v[36:37], v110 offset:14336
	s_waitcnt lgkmcnt(1)
	v_add_nc_u32_e32 v2, v2, v86
	s_delay_alu instid0(VALU_DEP_1) | instskip(NEXT) | instid1(VALU_DEP_1)
	v_lshlrev_b64 v[38:39], 3, v[2:3]
	v_add_co_u32 v38, vcc_lo, s52, v38
	s_delay_alu instid0(VALU_DEP_2)
	v_add_co_ci_u32_e32 v39, vcc_lo, s53, v39, vcc_lo
	s_waitcnt lgkmcnt(0)
	global_store_b64 v[38:39], v[36:37], off
	s_or_b32 exec_lo, exec_lo, s17
	s_and_saveexec_b32 s17, s24
	s_cbranch_execnz .LBB1258_286
.LBB1258_301:                           ;   in Loop: Header=BB1258_103 Depth=2
	s_or_b32 exec_lo, exec_lo, s17
	s_and_saveexec_b32 s17, s25
	s_cbranch_execz .LBB1258_287
.LBB1258_302:                           ;   in Loop: Header=BB1258_103 Depth=2
	v_lshlrev_b32_e32 v2, 2, v167
	ds_load_b32 v2, v2
	ds_load_b64 v[36:37], v110 offset:18432
	s_waitcnt lgkmcnt(1)
	v_add_nc_u32_e32 v2, v2, v88
	s_delay_alu instid0(VALU_DEP_1) | instskip(NEXT) | instid1(VALU_DEP_1)
	v_lshlrev_b64 v[38:39], 3, v[2:3]
	v_add_co_u32 v38, vcc_lo, s52, v38
	s_delay_alu instid0(VALU_DEP_2)
	v_add_co_ci_u32_e32 v39, vcc_lo, s53, v39, vcc_lo
	s_waitcnt lgkmcnt(0)
	global_store_b64 v[38:39], v[36:37], off
	s_or_b32 exec_lo, exec_lo, s17
	s_and_saveexec_b32 s17, s26
	s_cbranch_execnz .LBB1258_288
.LBB1258_303:                           ;   in Loop: Header=BB1258_103 Depth=2
	s_or_b32 exec_lo, exec_lo, s17
	s_and_saveexec_b32 s17, s27
	s_cbranch_execz .LBB1258_289
.LBB1258_304:                           ;   in Loop: Header=BB1258_103 Depth=2
	v_lshlrev_b32_e32 v2, 2, v165
	ds_load_b32 v2, v2
	ds_load_b64 v[36:37], v110 offset:22528
	s_waitcnt lgkmcnt(1)
	v_add_nc_u32_e32 v2, v2, v90
	s_delay_alu instid0(VALU_DEP_1) | instskip(NEXT) | instid1(VALU_DEP_1)
	v_lshlrev_b64 v[38:39], 3, v[2:3]
	v_add_co_u32 v38, vcc_lo, s52, v38
	s_delay_alu instid0(VALU_DEP_2)
	v_add_co_ci_u32_e32 v39, vcc_lo, s53, v39, vcc_lo
	s_waitcnt lgkmcnt(0)
	global_store_b64 v[38:39], v[36:37], off
	s_or_b32 exec_lo, exec_lo, s17
	s_and_saveexec_b32 s17, s28
	s_cbranch_execnz .LBB1258_290
.LBB1258_305:                           ;   in Loop: Header=BB1258_103 Depth=2
	s_or_b32 exec_lo, exec_lo, s17
	s_and_saveexec_b32 s17, s29
	s_cbranch_execz .LBB1258_291
.LBB1258_306:                           ;   in Loop: Header=BB1258_103 Depth=2
	v_lshlrev_b32_e32 v2, 2, v163
	ds_load_b32 v2, v2
	ds_load_b64 v[36:37], v110 offset:26624
	s_waitcnt lgkmcnt(1)
	v_add_nc_u32_e32 v2, v2, v92
	s_delay_alu instid0(VALU_DEP_1) | instskip(NEXT) | instid1(VALU_DEP_1)
	v_lshlrev_b64 v[38:39], 3, v[2:3]
	v_add_co_u32 v38, vcc_lo, s52, v38
	s_delay_alu instid0(VALU_DEP_2)
	v_add_co_ci_u32_e32 v39, vcc_lo, s53, v39, vcc_lo
	s_waitcnt lgkmcnt(0)
	global_store_b64 v[38:39], v[36:37], off
	s_or_b32 exec_lo, exec_lo, s17
	s_and_saveexec_b32 s17, s30
	s_cbranch_execnz .LBB1258_292
.LBB1258_307:                           ;   in Loop: Header=BB1258_103 Depth=2
	s_or_b32 exec_lo, exec_lo, s17
	s_and_saveexec_b32 s17, s31
	s_cbranch_execz .LBB1258_309
.LBB1258_308:                           ;   in Loop: Header=BB1258_103 Depth=2
	v_lshlrev_b32_e32 v2, 2, v161
	ds_load_b32 v2, v2
	ds_load_b64 v[36:37], v110 offset:30720
	s_waitcnt lgkmcnt(1)
	v_add_nc_u32_e32 v2, v2, v95
	s_delay_alu instid0(VALU_DEP_1) | instskip(NEXT) | instid1(VALU_DEP_1)
	v_lshlrev_b64 v[38:39], 3, v[2:3]
	v_add_co_u32 v38, vcc_lo, s52, v38
	s_delay_alu instid0(VALU_DEP_2)
	v_add_co_ci_u32_e32 v39, vcc_lo, s53, v39, vcc_lo
	s_waitcnt lgkmcnt(0)
	global_store_b64 v[38:39], v[36:37], off
.LBB1258_309:                           ;   in Loop: Header=BB1258_103 Depth=2
	s_or_b32 exec_lo, exec_lo, s17
	s_waitcnt_vscnt null, 0x0
	s_barrier
	buffer_gl0_inv
	s_and_saveexec_b32 s17, s2
	s_cbranch_execz .LBB1258_102
; %bb.310:                              ;   in Loop: Header=BB1258_103 Depth=2
	ds_load_b32 v2, v76
	s_waitcnt lgkmcnt(0)
	v_add_nc_u32_e32 v2, v2, v68
	ds_store_b32 v76, v2
	s_branch .LBB1258_102
.LBB1258_311:                           ;   in Loop: Header=BB1258_17 Depth=1
	s_waitcnt lgkmcnt(0)
	s_mov_b32 s1, 0
	s_barrier
.LBB1258_312:                           ;   in Loop: Header=BB1258_17 Depth=1
	s_and_b32 vcc_lo, exec_lo, s1
	s_cbranch_vccz .LBB1258_606
; %bb.313:                              ;   in Loop: Header=BB1258_17 Depth=1
	s_mov_b32 s1, s62
	s_mov_b32 s34, s60
	s_barrier
	buffer_gl0_inv
                                        ; implicit-def: $vgpr34_vgpr35
                                        ; implicit-def: $vgpr4_vgpr5
                                        ; implicit-def: $vgpr6_vgpr7
                                        ; implicit-def: $vgpr8_vgpr9
                                        ; implicit-def: $vgpr10_vgpr11
                                        ; implicit-def: $vgpr12_vgpr13
                                        ; implicit-def: $vgpr14_vgpr15
                                        ; implicit-def: $vgpr16_vgpr17
                                        ; implicit-def: $vgpr18_vgpr19
                                        ; implicit-def: $vgpr20_vgpr21
                                        ; implicit-def: $vgpr22_vgpr23
                                        ; implicit-def: $vgpr24_vgpr25
                                        ; implicit-def: $vgpr26_vgpr27
                                        ; implicit-def: $vgpr28_vgpr29
                                        ; implicit-def: $vgpr30_vgpr31
                                        ; implicit-def: $vgpr32_vgpr33
	s_branch .LBB1258_315
.LBB1258_314:                           ;   in Loop: Header=BB1258_315 Depth=2
	s_or_b32 exec_lo, exec_lo, s8
	s_addk_i32 s1, 0xf000
	s_cmp_ge_u32 s7, s61
	s_mov_b32 s34, s7
	s_cbranch_scc1 .LBB1258_385
.LBB1258_315:                           ;   Parent Loop BB1258_17 Depth=1
                                        ; =>  This Inner Loop Header: Depth=2
	s_add_i32 s7, s34, 0x1000
	s_delay_alu instid0(SALU_CYCLE_1)
	s_cmp_gt_u32 s7, s61
	s_cbranch_scc1 .LBB1258_318
; %bb.316:                              ;   in Loop: Header=BB1258_315 Depth=2
	s_mov_b32 s9, 0
	s_mov_b32 s8, s34
	s_delay_alu instid0(SALU_CYCLE_1) | instskip(NEXT) | instid1(SALU_CYCLE_1)
	s_lshl_b64 s[10:11], s[8:9], 3
	v_add_co_u32 v36, vcc_lo, v111, s10
	v_add_co_ci_u32_e32 v37, vcc_lo, s11, v112, vcc_lo
	s_movk_i32 s11, 0x1000
	s_waitcnt vmcnt(12)
	s_delay_alu instid0(VALU_DEP_2) | instskip(NEXT) | instid1(VALU_DEP_2)
	v_add_co_u32 v42, vcc_lo, 0x1000, v36
	v_add_co_ci_u32_e32 v43, vcc_lo, 0, v37, vcc_lo
	s_waitcnt vmcnt(11)
	v_add_co_u32 v44, vcc_lo, 0x2000, v36
	v_add_co_ci_u32_e32 v45, vcc_lo, 0, v37, vcc_lo
	s_waitcnt vmcnt(1)
	v_add_co_u32 v50, vcc_lo, v36, 0x2000
	v_add_co_ci_u32_e32 v51, vcc_lo, 0, v37, vcc_lo
	v_add_co_u32 v52, vcc_lo, v36, 0x4000
	v_add_co_ci_u32_e32 v53, vcc_lo, 0, v37, vcc_lo
	v_add_co_u32 v54, vcc_lo, 0x3000, v36
	v_add_co_ci_u32_e32 v55, vcc_lo, 0, v37, vcc_lo
	v_add_co_u32 v58, vcc_lo, 0x4000, v36
	v_add_co_ci_u32_e32 v59, vcc_lo, 0, v37, vcc_lo
	v_add_co_u32 v62, vcc_lo, 0x5000, v36
	v_add_co_ci_u32_e32 v63, vcc_lo, 0, v37, vcc_lo
	v_add_co_u32 v60, vcc_lo, v36, 0x6000
	v_add_co_ci_u32_e32 v61, vcc_lo, 0, v37, vcc_lo
	v_add_co_u32 v64, vcc_lo, 0x6000, v36
	v_add_co_ci_u32_e32 v65, vcc_lo, 0, v37, vcc_lo
	s_waitcnt vmcnt(0)
	v_add_co_u32 v66, vcc_lo, 0x7000, v36
	v_add_co_ci_u32_e32 v67, vcc_lo, 0, v37, vcc_lo
	s_clause 0xe
	global_load_b64 v[38:39], v[36:37], off
	global_load_b64 v[40:41], v[36:37], off offset:2048
	global_load_b64 v[42:43], v[42:43], off offset:2048
	;; [unrolled: 1-line block ×3, first 2 shown]
	global_load_b64 v[46:47], v[50:51], off
	global_load_b64 v[48:49], v[52:53], off offset:-4096
	global_load_b64 v[52:53], v[52:53], off
	global_load_b64 v[56:57], v[60:61], off offset:-4096
	global_load_b64 v[60:61], v[60:61], off
	global_load_b64 v[54:55], v[54:55], off offset:2048
	global_load_b64 v[58:59], v[58:59], off offset:2048
	;; [unrolled: 1-line block ×4, first 2 shown]
	global_load_b64 v[50:51], v[50:51], off offset:-4096
	global_load_b64 v[66:67], v[66:67], off
	v_add_co_u32 v36, vcc_lo, 0x7800, v36
	v_add_co_ci_u32_e32 v37, vcc_lo, 0, v37, vcc_lo
	s_mov_b32 s10, -1
	s_cbranch_execz .LBB1258_319
; %bb.317:                              ;   in Loop: Header=BB1258_315 Depth=2
                                        ; implicit-def: $vgpr32_vgpr33
                                        ; implicit-def: $vgpr30_vgpr31
                                        ; implicit-def: $vgpr28_vgpr29
                                        ; implicit-def: $vgpr26_vgpr27
                                        ; implicit-def: $vgpr24_vgpr25
                                        ; implicit-def: $vgpr22_vgpr23
                                        ; implicit-def: $vgpr20_vgpr21
                                        ; implicit-def: $vgpr18_vgpr19
                                        ; implicit-def: $vgpr16_vgpr17
                                        ; implicit-def: $vgpr14_vgpr15
                                        ; implicit-def: $vgpr12_vgpr13
                                        ; implicit-def: $vgpr10_vgpr11
                                        ; implicit-def: $vgpr8_vgpr9
                                        ; implicit-def: $vgpr6_vgpr7
                                        ; implicit-def: $vgpr4_vgpr5
                                        ; implicit-def: $vgpr34_vgpr35
	v_mov_b32_e32 v2, s1
	s_and_saveexec_b32 s8, s10
	s_cbranch_execnz .LBB1258_338
	s_branch .LBB1258_339
.LBB1258_318:                           ;   in Loop: Header=BB1258_315 Depth=2
	s_mov_b32 s10, 0
                                        ; implicit-def: $sgpr11
                                        ; implicit-def: $vgpr38_vgpr39
                                        ; implicit-def: $vgpr40_vgpr41
                                        ; implicit-def: $vgpr50_vgpr51
                                        ; implicit-def: $vgpr42_vgpr43
                                        ; implicit-def: $vgpr46_vgpr47
                                        ; implicit-def: $vgpr44_vgpr45
                                        ; implicit-def: $vgpr48_vgpr49
                                        ; implicit-def: $vgpr54_vgpr55
                                        ; implicit-def: $vgpr52_vgpr53
                                        ; implicit-def: $vgpr58_vgpr59
                                        ; implicit-def: $vgpr56_vgpr57
                                        ; implicit-def: $vgpr62_vgpr63
                                        ; implicit-def: $vgpr60_vgpr61
                                        ; implicit-def: $vgpr64_vgpr65
                                        ; implicit-def: $vgpr66_vgpr67
                                        ; implicit-def: $vgpr36_vgpr37
.LBB1258_319:                           ;   in Loop: Header=BB1258_315 Depth=2
	s_lshl_b64 s[8:9], s[34:35], 3
	s_mov_b32 s11, exec_lo
	s_add_u32 s8, s46, s8
	s_addc_u32 s9, s47, s9
	v_cmpx_gt_u32_e64 s1, v1
	s_cbranch_execz .LBB1258_371
; %bb.320:                              ;   in Loop: Header=BB1258_315 Depth=2
	global_load_b64 v[32:33], v124, s[8:9]
	s_or_b32 exec_lo, exec_lo, s11
	s_delay_alu instid0(SALU_CYCLE_1)
	s_mov_b32 s11, exec_lo
	v_cmpx_gt_u32_e64 s1, v77
	s_cbranch_execnz .LBB1258_372
.LBB1258_321:                           ;   in Loop: Header=BB1258_315 Depth=2
	s_or_b32 exec_lo, exec_lo, s11
	s_delay_alu instid0(SALU_CYCLE_1)
	s_mov_b32 s11, exec_lo
	v_cmpx_gt_u32_e64 s1, v78
	s_cbranch_execz .LBB1258_373
.LBB1258_322:                           ;   in Loop: Header=BB1258_315 Depth=2
	global_load_b64 v[28:29], v125, s[8:9]
	s_or_b32 exec_lo, exec_lo, s11
	s_delay_alu instid0(SALU_CYCLE_1)
	s_mov_b32 s11, exec_lo
	v_cmpx_gt_u32_e64 s1, v79
	s_cbranch_execnz .LBB1258_374
.LBB1258_323:                           ;   in Loop: Header=BB1258_315 Depth=2
	s_or_b32 exec_lo, exec_lo, s11
	s_delay_alu instid0(SALU_CYCLE_1)
	s_mov_b32 s11, exec_lo
	v_cmpx_gt_u32_e64 s1, v83
	s_cbranch_execz .LBB1258_375
.LBB1258_324:                           ;   in Loop: Header=BB1258_315 Depth=2
	global_load_b64 v[24:25], v127, s[8:9]
	s_or_b32 exec_lo, exec_lo, s11
	s_delay_alu instid0(SALU_CYCLE_1)
	s_mov_b32 s11, exec_lo
	v_cmpx_gt_u32_e64 s1, v84
	s_cbranch_execnz .LBB1258_376
.LBB1258_325:                           ;   in Loop: Header=BB1258_315 Depth=2
	s_or_b32 exec_lo, exec_lo, s11
	s_delay_alu instid0(SALU_CYCLE_1)
	s_mov_b32 s11, exec_lo
	v_cmpx_gt_u32_e64 s1, v85
	s_cbranch_execz .LBB1258_377
.LBB1258_326:                           ;   in Loop: Header=BB1258_315 Depth=2
	global_load_b64 v[20:21], v129, s[8:9]
	s_or_b32 exec_lo, exec_lo, s11
	s_delay_alu instid0(SALU_CYCLE_1)
	s_mov_b32 s11, exec_lo
	v_cmpx_gt_u32_e64 s1, v86
	s_cbranch_execnz .LBB1258_378
.LBB1258_327:                           ;   in Loop: Header=BB1258_315 Depth=2
	s_or_b32 exec_lo, exec_lo, s11
	s_delay_alu instid0(SALU_CYCLE_1)
	s_mov_b32 s11, exec_lo
	v_cmpx_gt_u32_e64 s1, v87
	s_cbranch_execz .LBB1258_379
.LBB1258_328:                           ;   in Loop: Header=BB1258_315 Depth=2
	global_load_b64 v[16:17], v131, s[8:9]
	s_or_b32 exec_lo, exec_lo, s11
	s_delay_alu instid0(SALU_CYCLE_1)
	s_mov_b32 s11, exec_lo
	v_cmpx_gt_u32_e64 s1, v88
	s_cbranch_execnz .LBB1258_380
.LBB1258_329:                           ;   in Loop: Header=BB1258_315 Depth=2
	s_or_b32 exec_lo, exec_lo, s11
	s_delay_alu instid0(SALU_CYCLE_1)
	s_mov_b32 s11, exec_lo
	v_cmpx_gt_u32_e64 s1, v89
	s_cbranch_execz .LBB1258_381
.LBB1258_330:                           ;   in Loop: Header=BB1258_315 Depth=2
	global_load_b64 v[12:13], v133, s[8:9]
	s_or_b32 exec_lo, exec_lo, s11
	s_delay_alu instid0(SALU_CYCLE_1)
	s_mov_b32 s11, exec_lo
	v_cmpx_gt_u32_e64 s1, v90
	s_cbranch_execnz .LBB1258_382
.LBB1258_331:                           ;   in Loop: Header=BB1258_315 Depth=2
	s_or_b32 exec_lo, exec_lo, s11
	s_delay_alu instid0(SALU_CYCLE_1)
	s_mov_b32 s11, exec_lo
	v_cmpx_gt_u32_e64 s1, v91
	s_cbranch_execz .LBB1258_383
.LBB1258_332:                           ;   in Loop: Header=BB1258_315 Depth=2
	global_load_b64 v[8:9], v135, s[8:9]
	s_or_b32 exec_lo, exec_lo, s11
	s_delay_alu instid0(SALU_CYCLE_1)
	s_mov_b32 s11, exec_lo
	v_cmpx_gt_u32_e64 s1, v92
	s_cbranch_execnz .LBB1258_384
.LBB1258_333:                           ;   in Loop: Header=BB1258_315 Depth=2
	s_or_b32 exec_lo, exec_lo, s11
	s_delay_alu instid0(SALU_CYCLE_1)
	s_mov_b32 s11, exec_lo
	v_cmpx_gt_u32_e64 s1, v93
	s_cbranch_execz .LBB1258_335
.LBB1258_334:                           ;   in Loop: Header=BB1258_315 Depth=2
	v_lshlrev_b32_e32 v2, 3, v93
	global_load_b64 v[4:5], v2, s[8:9]
.LBB1258_335:                           ;   in Loop: Header=BB1258_315 Depth=2
	s_or_b32 exec_lo, exec_lo, s11
	s_delay_alu instid0(SALU_CYCLE_1)
	s_mov_b32 s12, exec_lo
                                        ; implicit-def: $sgpr11
                                        ; implicit-def: $vgpr36_vgpr37
	v_cmpx_gt_u32_e64 s1, v95
; %bb.336:                              ;   in Loop: Header=BB1258_315 Depth=2
	v_lshlrev_b32_e32 v2, 3, v95
	s_sub_i32 s11, s61, s34
	s_or_b32 s10, s10, exec_lo
                                        ; implicit-def: $vgpr34_vgpr35
	s_delay_alu instid0(VALU_DEP_1) | instskip(NEXT) | instid1(VALU_DEP_1)
	v_add_co_u32 v36, s8, s8, v2
	v_add_co_ci_u32_e64 v37, null, s9, 0, s8
; %bb.337:                              ;   in Loop: Header=BB1258_315 Depth=2
	s_or_b32 exec_lo, exec_lo, s12
	s_waitcnt vmcnt(0)
	v_dual_mov_b32 v39, v33 :: v_dual_mov_b32 v38, v32
	v_dual_mov_b32 v41, v31 :: v_dual_mov_b32 v40, v30
	;; [unrolled: 1-line block ×15, first 2 shown]
	v_mov_b32_e32 v2, s1
	s_and_saveexec_b32 s8, s10
	s_cbranch_execz .LBB1258_339
.LBB1258_338:                           ;   in Loop: Header=BB1258_315 Depth=2
	global_load_b64 v[34:35], v[36:37], off
	s_waitcnt vmcnt(1)
	v_mov_b32_e32 v4, v66
	v_mov_b32_e32 v6, v64
	;; [unrolled: 1-line block ×14, first 2 shown]
	v_dual_mov_b32 v32, v38 :: v_dual_mov_b32 v33, v39
	v_dual_mov_b32 v2, s11 :: v_dual_mov_b32 v5, v67
	v_mov_b32_e32 v7, v65
	v_mov_b32_e32 v9, v61
	;; [unrolled: 1-line block ×13, first 2 shown]
.LBB1258_339:                           ;   in Loop: Header=BB1258_315 Depth=2
	s_or_b32 exec_lo, exec_lo, s8
	s_delay_alu instid0(SALU_CYCLE_1)
	s_mov_b32 s8, exec_lo
	v_cmpx_lt_u32_e64 v1, v2
	s_cbranch_execz .LBB1258_355
; %bb.340:                              ;   in Loop: Header=BB1258_315 Depth=2
	v_cmp_lt_i64_e32 vcc_lo, -1, v[32:33]
	s_waitcnt vmcnt(14)
	v_ashrrev_i32_e32 v38, 31, v33
	v_cndmask_b32_e64 v36, -1, 0x80000000, vcc_lo
	s_delay_alu instid0(VALU_DEP_1) | instskip(NEXT) | instid1(VALU_DEP_3)
	v_xor_b32_e32 v37, v36, v33
	v_xor_b32_e32 v36, v38, v32
	s_delay_alu instid0(VALU_DEP_1) | instskip(SKIP_2) | instid1(VALU_DEP_1)
	v_cmp_ne_u64_e32 vcc_lo, s[38:39], v[36:37]
	v_cndmask_b32_e32 v37, 0x80000000, v37, vcc_lo
	v_cndmask_b32_e32 v36, 0, v36, vcc_lo
	v_lshrrev_b64 v[36:37], s41, v[36:37]
	v_lshlrev_b32_e32 v37, 2, v80
	s_delay_alu instid0(VALU_DEP_2) | instskip(NEXT) | instid1(VALU_DEP_1)
	v_and_b32_e32 v36, s43, v36
	v_lshl_or_b32 v36, v36, 4, v37
	ds_add_u32 v36, v123
	s_or_b32 exec_lo, exec_lo, s8
	s_delay_alu instid0(SALU_CYCLE_1)
	s_mov_b32 s8, exec_lo
	v_cmpx_lt_u32_e64 v77, v2
	s_cbranch_execnz .LBB1258_356
.LBB1258_341:                           ;   in Loop: Header=BB1258_315 Depth=2
	s_or_b32 exec_lo, exec_lo, s8
	s_delay_alu instid0(SALU_CYCLE_1)
	s_mov_b32 s8, exec_lo
	v_cmpx_lt_u32_e64 v78, v2
	s_cbranch_execz .LBB1258_357
.LBB1258_342:                           ;   in Loop: Header=BB1258_315 Depth=2
	v_cmp_lt_i64_e32 vcc_lo, -1, v[28:29]
	s_waitcnt vmcnt(14)
	v_ashrrev_i32_e32 v38, 31, v29
	v_cndmask_b32_e64 v36, -1, 0x80000000, vcc_lo
	s_delay_alu instid0(VALU_DEP_1) | instskip(NEXT) | instid1(VALU_DEP_3)
	v_xor_b32_e32 v37, v36, v29
	v_xor_b32_e32 v36, v38, v28
	s_delay_alu instid0(VALU_DEP_1) | instskip(SKIP_2) | instid1(VALU_DEP_1)
	v_cmp_ne_u64_e32 vcc_lo, s[38:39], v[36:37]
	v_cndmask_b32_e32 v37, 0x80000000, v37, vcc_lo
	v_cndmask_b32_e32 v36, 0, v36, vcc_lo
	v_lshrrev_b64 v[36:37], s41, v[36:37]
	v_lshlrev_b32_e32 v37, 2, v80
	s_delay_alu instid0(VALU_DEP_2) | instskip(NEXT) | instid1(VALU_DEP_1)
	v_and_b32_e32 v36, s43, v36
	v_lshl_or_b32 v36, v36, 4, v37
	ds_add_u32 v36, v123
	s_or_b32 exec_lo, exec_lo, s8
	s_delay_alu instid0(SALU_CYCLE_1)
	s_mov_b32 s8, exec_lo
	v_cmpx_lt_u32_e64 v79, v2
	s_cbranch_execnz .LBB1258_358
.LBB1258_343:                           ;   in Loop: Header=BB1258_315 Depth=2
	s_or_b32 exec_lo, exec_lo, s8
	s_delay_alu instid0(SALU_CYCLE_1)
	s_mov_b32 s8, exec_lo
	v_cmpx_lt_u32_e64 v83, v2
	s_cbranch_execz .LBB1258_359
.LBB1258_344:                           ;   in Loop: Header=BB1258_315 Depth=2
	v_cmp_lt_i64_e32 vcc_lo, -1, v[24:25]
	s_waitcnt vmcnt(14)
	v_ashrrev_i32_e32 v38, 31, v25
	v_cndmask_b32_e64 v36, -1, 0x80000000, vcc_lo
	s_delay_alu instid0(VALU_DEP_1) | instskip(NEXT) | instid1(VALU_DEP_3)
	v_xor_b32_e32 v37, v36, v25
	v_xor_b32_e32 v36, v38, v24
	s_delay_alu instid0(VALU_DEP_1) | instskip(SKIP_2) | instid1(VALU_DEP_1)
	v_cmp_ne_u64_e32 vcc_lo, s[38:39], v[36:37]
	v_cndmask_b32_e32 v37, 0x80000000, v37, vcc_lo
	v_cndmask_b32_e32 v36, 0, v36, vcc_lo
	v_lshrrev_b64 v[36:37], s41, v[36:37]
	v_lshlrev_b32_e32 v37, 2, v80
	s_delay_alu instid0(VALU_DEP_2) | instskip(NEXT) | instid1(VALU_DEP_1)
	v_and_b32_e32 v36, s43, v36
	v_lshl_or_b32 v36, v36, 4, v37
	ds_add_u32 v36, v123
	s_or_b32 exec_lo, exec_lo, s8
	s_delay_alu instid0(SALU_CYCLE_1)
	s_mov_b32 s8, exec_lo
	v_cmpx_lt_u32_e64 v84, v2
	s_cbranch_execnz .LBB1258_360
.LBB1258_345:                           ;   in Loop: Header=BB1258_315 Depth=2
	s_or_b32 exec_lo, exec_lo, s8
	s_delay_alu instid0(SALU_CYCLE_1)
	s_mov_b32 s8, exec_lo
	v_cmpx_lt_u32_e64 v85, v2
	s_cbranch_execz .LBB1258_361
.LBB1258_346:                           ;   in Loop: Header=BB1258_315 Depth=2
	v_cmp_lt_i64_e32 vcc_lo, -1, v[20:21]
	s_waitcnt vmcnt(14)
	v_ashrrev_i32_e32 v38, 31, v21
	v_cndmask_b32_e64 v36, -1, 0x80000000, vcc_lo
	s_delay_alu instid0(VALU_DEP_1) | instskip(NEXT) | instid1(VALU_DEP_3)
	v_xor_b32_e32 v37, v36, v21
	v_xor_b32_e32 v36, v38, v20
	s_delay_alu instid0(VALU_DEP_1) | instskip(SKIP_2) | instid1(VALU_DEP_1)
	v_cmp_ne_u64_e32 vcc_lo, s[38:39], v[36:37]
	v_cndmask_b32_e32 v37, 0x80000000, v37, vcc_lo
	v_cndmask_b32_e32 v36, 0, v36, vcc_lo
	v_lshrrev_b64 v[36:37], s41, v[36:37]
	v_lshlrev_b32_e32 v37, 2, v80
	s_delay_alu instid0(VALU_DEP_2) | instskip(NEXT) | instid1(VALU_DEP_1)
	v_and_b32_e32 v36, s43, v36
	v_lshl_or_b32 v36, v36, 4, v37
	ds_add_u32 v36, v123
	s_or_b32 exec_lo, exec_lo, s8
	s_delay_alu instid0(SALU_CYCLE_1)
	s_mov_b32 s8, exec_lo
	v_cmpx_lt_u32_e64 v86, v2
	s_cbranch_execnz .LBB1258_362
.LBB1258_347:                           ;   in Loop: Header=BB1258_315 Depth=2
	s_or_b32 exec_lo, exec_lo, s8
	s_delay_alu instid0(SALU_CYCLE_1)
	s_mov_b32 s8, exec_lo
	v_cmpx_lt_u32_e64 v87, v2
	s_cbranch_execz .LBB1258_363
.LBB1258_348:                           ;   in Loop: Header=BB1258_315 Depth=2
	v_cmp_lt_i64_e32 vcc_lo, -1, v[16:17]
	s_waitcnt vmcnt(14)
	v_ashrrev_i32_e32 v38, 31, v17
	v_cndmask_b32_e64 v36, -1, 0x80000000, vcc_lo
	s_delay_alu instid0(VALU_DEP_1) | instskip(NEXT) | instid1(VALU_DEP_3)
	v_xor_b32_e32 v37, v36, v17
	v_xor_b32_e32 v36, v38, v16
	s_delay_alu instid0(VALU_DEP_1) | instskip(SKIP_2) | instid1(VALU_DEP_1)
	v_cmp_ne_u64_e32 vcc_lo, s[38:39], v[36:37]
	v_cndmask_b32_e32 v37, 0x80000000, v37, vcc_lo
	v_cndmask_b32_e32 v36, 0, v36, vcc_lo
	v_lshrrev_b64 v[36:37], s41, v[36:37]
	v_lshlrev_b32_e32 v37, 2, v80
	s_delay_alu instid0(VALU_DEP_2) | instskip(NEXT) | instid1(VALU_DEP_1)
	v_and_b32_e32 v36, s43, v36
	v_lshl_or_b32 v36, v36, 4, v37
	ds_add_u32 v36, v123
	s_or_b32 exec_lo, exec_lo, s8
	s_delay_alu instid0(SALU_CYCLE_1)
	s_mov_b32 s8, exec_lo
	v_cmpx_lt_u32_e64 v88, v2
	s_cbranch_execnz .LBB1258_364
.LBB1258_349:                           ;   in Loop: Header=BB1258_315 Depth=2
	s_or_b32 exec_lo, exec_lo, s8
	s_delay_alu instid0(SALU_CYCLE_1)
	s_mov_b32 s8, exec_lo
	v_cmpx_lt_u32_e64 v89, v2
	s_cbranch_execz .LBB1258_365
.LBB1258_350:                           ;   in Loop: Header=BB1258_315 Depth=2
	v_cmp_lt_i64_e32 vcc_lo, -1, v[12:13]
	s_waitcnt vmcnt(14)
	v_ashrrev_i32_e32 v38, 31, v13
	v_cndmask_b32_e64 v36, -1, 0x80000000, vcc_lo
	s_delay_alu instid0(VALU_DEP_1) | instskip(NEXT) | instid1(VALU_DEP_3)
	v_xor_b32_e32 v37, v36, v13
	v_xor_b32_e32 v36, v38, v12
	s_delay_alu instid0(VALU_DEP_1) | instskip(SKIP_2) | instid1(VALU_DEP_1)
	v_cmp_ne_u64_e32 vcc_lo, s[38:39], v[36:37]
	v_cndmask_b32_e32 v37, 0x80000000, v37, vcc_lo
	v_cndmask_b32_e32 v36, 0, v36, vcc_lo
	v_lshrrev_b64 v[36:37], s41, v[36:37]
	v_lshlrev_b32_e32 v37, 2, v80
	s_delay_alu instid0(VALU_DEP_2) | instskip(NEXT) | instid1(VALU_DEP_1)
	v_and_b32_e32 v36, s43, v36
	v_lshl_or_b32 v36, v36, 4, v37
	ds_add_u32 v36, v123
	s_or_b32 exec_lo, exec_lo, s8
	s_delay_alu instid0(SALU_CYCLE_1)
	s_mov_b32 s8, exec_lo
	v_cmpx_lt_u32_e64 v90, v2
	s_cbranch_execnz .LBB1258_366
.LBB1258_351:                           ;   in Loop: Header=BB1258_315 Depth=2
	s_or_b32 exec_lo, exec_lo, s8
	s_delay_alu instid0(SALU_CYCLE_1)
	s_mov_b32 s8, exec_lo
	v_cmpx_lt_u32_e64 v91, v2
	s_cbranch_execz .LBB1258_367
.LBB1258_352:                           ;   in Loop: Header=BB1258_315 Depth=2
	v_cmp_lt_i64_e32 vcc_lo, -1, v[8:9]
	s_waitcnt vmcnt(14)
	v_ashrrev_i32_e32 v38, 31, v9
	v_cndmask_b32_e64 v36, -1, 0x80000000, vcc_lo
	s_delay_alu instid0(VALU_DEP_1) | instskip(NEXT) | instid1(VALU_DEP_3)
	v_xor_b32_e32 v37, v36, v9
	v_xor_b32_e32 v36, v38, v8
	s_delay_alu instid0(VALU_DEP_1) | instskip(SKIP_2) | instid1(VALU_DEP_1)
	v_cmp_ne_u64_e32 vcc_lo, s[38:39], v[36:37]
	v_cndmask_b32_e32 v37, 0x80000000, v37, vcc_lo
	v_cndmask_b32_e32 v36, 0, v36, vcc_lo
	v_lshrrev_b64 v[36:37], s41, v[36:37]
	v_lshlrev_b32_e32 v37, 2, v80
	s_delay_alu instid0(VALU_DEP_2) | instskip(NEXT) | instid1(VALU_DEP_1)
	v_and_b32_e32 v36, s43, v36
	v_lshl_or_b32 v36, v36, 4, v37
	ds_add_u32 v36, v123
	s_or_b32 exec_lo, exec_lo, s8
	s_delay_alu instid0(SALU_CYCLE_1)
	s_mov_b32 s8, exec_lo
	v_cmpx_lt_u32_e64 v92, v2
	s_cbranch_execnz .LBB1258_368
.LBB1258_353:                           ;   in Loop: Header=BB1258_315 Depth=2
	s_or_b32 exec_lo, exec_lo, s8
	s_delay_alu instid0(SALU_CYCLE_1)
	s_mov_b32 s8, exec_lo
	v_cmpx_lt_u32_e64 v93, v2
	s_cbranch_execz .LBB1258_369
.LBB1258_354:                           ;   in Loop: Header=BB1258_315 Depth=2
	v_cmp_lt_i64_e32 vcc_lo, -1, v[4:5]
	s_waitcnt vmcnt(14)
	v_ashrrev_i32_e32 v38, 31, v5
	v_cndmask_b32_e64 v36, -1, 0x80000000, vcc_lo
	s_delay_alu instid0(VALU_DEP_1) | instskip(NEXT) | instid1(VALU_DEP_3)
	v_xor_b32_e32 v37, v36, v5
	v_xor_b32_e32 v36, v38, v4
	s_delay_alu instid0(VALU_DEP_1) | instskip(SKIP_2) | instid1(VALU_DEP_1)
	v_cmp_ne_u64_e32 vcc_lo, s[38:39], v[36:37]
	v_cndmask_b32_e32 v37, 0x80000000, v37, vcc_lo
	v_cndmask_b32_e32 v36, 0, v36, vcc_lo
	v_lshrrev_b64 v[36:37], s41, v[36:37]
	v_lshlrev_b32_e32 v37, 2, v80
	s_delay_alu instid0(VALU_DEP_2) | instskip(NEXT) | instid1(VALU_DEP_1)
	v_and_b32_e32 v36, s43, v36
	v_lshl_or_b32 v36, v36, 4, v37
	ds_add_u32 v36, v123
	s_or_b32 exec_lo, exec_lo, s8
	s_delay_alu instid0(SALU_CYCLE_1)
	s_mov_b32 s8, exec_lo
	v_cmpx_lt_u32_e64 v95, v2
	s_cbranch_execz .LBB1258_314
	s_branch .LBB1258_370
.LBB1258_355:                           ;   in Loop: Header=BB1258_315 Depth=2
	s_or_b32 exec_lo, exec_lo, s8
	s_delay_alu instid0(SALU_CYCLE_1)
	s_mov_b32 s8, exec_lo
	v_cmpx_lt_u32_e64 v77, v2
	s_cbranch_execz .LBB1258_341
.LBB1258_356:                           ;   in Loop: Header=BB1258_315 Depth=2
	v_cmp_lt_i64_e32 vcc_lo, -1, v[30:31]
	s_waitcnt vmcnt(14)
	v_ashrrev_i32_e32 v38, 31, v31
	v_cndmask_b32_e64 v36, -1, 0x80000000, vcc_lo
	s_delay_alu instid0(VALU_DEP_1) | instskip(NEXT) | instid1(VALU_DEP_3)
	v_xor_b32_e32 v37, v36, v31
	v_xor_b32_e32 v36, v38, v30
	s_delay_alu instid0(VALU_DEP_1) | instskip(SKIP_2) | instid1(VALU_DEP_1)
	v_cmp_ne_u64_e32 vcc_lo, s[38:39], v[36:37]
	v_cndmask_b32_e32 v37, 0x80000000, v37, vcc_lo
	v_cndmask_b32_e32 v36, 0, v36, vcc_lo
	v_lshrrev_b64 v[36:37], s41, v[36:37]
	v_lshlrev_b32_e32 v37, 2, v80
	s_delay_alu instid0(VALU_DEP_2) | instskip(NEXT) | instid1(VALU_DEP_1)
	v_and_b32_e32 v36, s43, v36
	v_lshl_or_b32 v36, v36, 4, v37
	ds_add_u32 v36, v123
	s_or_b32 exec_lo, exec_lo, s8
	s_delay_alu instid0(SALU_CYCLE_1)
	s_mov_b32 s8, exec_lo
	v_cmpx_lt_u32_e64 v78, v2
	s_cbranch_execnz .LBB1258_342
.LBB1258_357:                           ;   in Loop: Header=BB1258_315 Depth=2
	s_or_b32 exec_lo, exec_lo, s8
	s_delay_alu instid0(SALU_CYCLE_1)
	s_mov_b32 s8, exec_lo
	v_cmpx_lt_u32_e64 v79, v2
	s_cbranch_execz .LBB1258_343
.LBB1258_358:                           ;   in Loop: Header=BB1258_315 Depth=2
	v_cmp_lt_i64_e32 vcc_lo, -1, v[26:27]
	s_waitcnt vmcnt(14)
	v_ashrrev_i32_e32 v38, 31, v27
	v_cndmask_b32_e64 v36, -1, 0x80000000, vcc_lo
	s_delay_alu instid0(VALU_DEP_1) | instskip(NEXT) | instid1(VALU_DEP_3)
	v_xor_b32_e32 v37, v36, v27
	v_xor_b32_e32 v36, v38, v26
	s_delay_alu instid0(VALU_DEP_1) | instskip(SKIP_2) | instid1(VALU_DEP_1)
	v_cmp_ne_u64_e32 vcc_lo, s[38:39], v[36:37]
	v_cndmask_b32_e32 v37, 0x80000000, v37, vcc_lo
	v_cndmask_b32_e32 v36, 0, v36, vcc_lo
	v_lshrrev_b64 v[36:37], s41, v[36:37]
	v_lshlrev_b32_e32 v37, 2, v80
	s_delay_alu instid0(VALU_DEP_2) | instskip(NEXT) | instid1(VALU_DEP_1)
	v_and_b32_e32 v36, s43, v36
	v_lshl_or_b32 v36, v36, 4, v37
	ds_add_u32 v36, v123
	s_or_b32 exec_lo, exec_lo, s8
	s_delay_alu instid0(SALU_CYCLE_1)
	s_mov_b32 s8, exec_lo
	v_cmpx_lt_u32_e64 v83, v2
	s_cbranch_execnz .LBB1258_344
.LBB1258_359:                           ;   in Loop: Header=BB1258_315 Depth=2
	s_or_b32 exec_lo, exec_lo, s8
	s_delay_alu instid0(SALU_CYCLE_1)
	s_mov_b32 s8, exec_lo
	v_cmpx_lt_u32_e64 v84, v2
	s_cbranch_execz .LBB1258_345
.LBB1258_360:                           ;   in Loop: Header=BB1258_315 Depth=2
	v_cmp_lt_i64_e32 vcc_lo, -1, v[22:23]
	s_waitcnt vmcnt(14)
	v_ashrrev_i32_e32 v38, 31, v23
	v_cndmask_b32_e64 v36, -1, 0x80000000, vcc_lo
	s_delay_alu instid0(VALU_DEP_1) | instskip(NEXT) | instid1(VALU_DEP_3)
	v_xor_b32_e32 v37, v36, v23
	v_xor_b32_e32 v36, v38, v22
	s_delay_alu instid0(VALU_DEP_1) | instskip(SKIP_2) | instid1(VALU_DEP_1)
	v_cmp_ne_u64_e32 vcc_lo, s[38:39], v[36:37]
	v_cndmask_b32_e32 v37, 0x80000000, v37, vcc_lo
	v_cndmask_b32_e32 v36, 0, v36, vcc_lo
	v_lshrrev_b64 v[36:37], s41, v[36:37]
	v_lshlrev_b32_e32 v37, 2, v80
	s_delay_alu instid0(VALU_DEP_2) | instskip(NEXT) | instid1(VALU_DEP_1)
	v_and_b32_e32 v36, s43, v36
	v_lshl_or_b32 v36, v36, 4, v37
	ds_add_u32 v36, v123
	s_or_b32 exec_lo, exec_lo, s8
	s_delay_alu instid0(SALU_CYCLE_1)
	s_mov_b32 s8, exec_lo
	v_cmpx_lt_u32_e64 v85, v2
	s_cbranch_execnz .LBB1258_346
.LBB1258_361:                           ;   in Loop: Header=BB1258_315 Depth=2
	s_or_b32 exec_lo, exec_lo, s8
	s_delay_alu instid0(SALU_CYCLE_1)
	s_mov_b32 s8, exec_lo
	v_cmpx_lt_u32_e64 v86, v2
	s_cbranch_execz .LBB1258_347
.LBB1258_362:                           ;   in Loop: Header=BB1258_315 Depth=2
	v_cmp_lt_i64_e32 vcc_lo, -1, v[18:19]
	s_waitcnt vmcnt(14)
	v_ashrrev_i32_e32 v38, 31, v19
	v_cndmask_b32_e64 v36, -1, 0x80000000, vcc_lo
	s_delay_alu instid0(VALU_DEP_1) | instskip(NEXT) | instid1(VALU_DEP_3)
	v_xor_b32_e32 v37, v36, v19
	v_xor_b32_e32 v36, v38, v18
	s_delay_alu instid0(VALU_DEP_1) | instskip(SKIP_2) | instid1(VALU_DEP_1)
	v_cmp_ne_u64_e32 vcc_lo, s[38:39], v[36:37]
	v_cndmask_b32_e32 v37, 0x80000000, v37, vcc_lo
	v_cndmask_b32_e32 v36, 0, v36, vcc_lo
	v_lshrrev_b64 v[36:37], s41, v[36:37]
	v_lshlrev_b32_e32 v37, 2, v80
	s_delay_alu instid0(VALU_DEP_2) | instskip(NEXT) | instid1(VALU_DEP_1)
	v_and_b32_e32 v36, s43, v36
	v_lshl_or_b32 v36, v36, 4, v37
	ds_add_u32 v36, v123
	s_or_b32 exec_lo, exec_lo, s8
	s_delay_alu instid0(SALU_CYCLE_1)
	s_mov_b32 s8, exec_lo
	v_cmpx_lt_u32_e64 v87, v2
	s_cbranch_execnz .LBB1258_348
.LBB1258_363:                           ;   in Loop: Header=BB1258_315 Depth=2
	s_or_b32 exec_lo, exec_lo, s8
	s_delay_alu instid0(SALU_CYCLE_1)
	s_mov_b32 s8, exec_lo
	v_cmpx_lt_u32_e64 v88, v2
	s_cbranch_execz .LBB1258_349
.LBB1258_364:                           ;   in Loop: Header=BB1258_315 Depth=2
	v_cmp_lt_i64_e32 vcc_lo, -1, v[14:15]
	s_waitcnt vmcnt(14)
	v_ashrrev_i32_e32 v38, 31, v15
	v_cndmask_b32_e64 v36, -1, 0x80000000, vcc_lo
	s_delay_alu instid0(VALU_DEP_1) | instskip(NEXT) | instid1(VALU_DEP_3)
	v_xor_b32_e32 v37, v36, v15
	v_xor_b32_e32 v36, v38, v14
	s_delay_alu instid0(VALU_DEP_1) | instskip(SKIP_2) | instid1(VALU_DEP_1)
	v_cmp_ne_u64_e32 vcc_lo, s[38:39], v[36:37]
	v_cndmask_b32_e32 v37, 0x80000000, v37, vcc_lo
	v_cndmask_b32_e32 v36, 0, v36, vcc_lo
	v_lshrrev_b64 v[36:37], s41, v[36:37]
	v_lshlrev_b32_e32 v37, 2, v80
	s_delay_alu instid0(VALU_DEP_2) | instskip(NEXT) | instid1(VALU_DEP_1)
	v_and_b32_e32 v36, s43, v36
	v_lshl_or_b32 v36, v36, 4, v37
	ds_add_u32 v36, v123
	s_or_b32 exec_lo, exec_lo, s8
	s_delay_alu instid0(SALU_CYCLE_1)
	s_mov_b32 s8, exec_lo
	v_cmpx_lt_u32_e64 v89, v2
	s_cbranch_execnz .LBB1258_350
.LBB1258_365:                           ;   in Loop: Header=BB1258_315 Depth=2
	s_or_b32 exec_lo, exec_lo, s8
	s_delay_alu instid0(SALU_CYCLE_1)
	s_mov_b32 s8, exec_lo
	v_cmpx_lt_u32_e64 v90, v2
	s_cbranch_execz .LBB1258_351
.LBB1258_366:                           ;   in Loop: Header=BB1258_315 Depth=2
	v_cmp_lt_i64_e32 vcc_lo, -1, v[10:11]
	s_waitcnt vmcnt(14)
	v_ashrrev_i32_e32 v38, 31, v11
	v_cndmask_b32_e64 v36, -1, 0x80000000, vcc_lo
	s_delay_alu instid0(VALU_DEP_1) | instskip(NEXT) | instid1(VALU_DEP_3)
	v_xor_b32_e32 v37, v36, v11
	v_xor_b32_e32 v36, v38, v10
	s_delay_alu instid0(VALU_DEP_1) | instskip(SKIP_2) | instid1(VALU_DEP_1)
	v_cmp_ne_u64_e32 vcc_lo, s[38:39], v[36:37]
	v_cndmask_b32_e32 v37, 0x80000000, v37, vcc_lo
	v_cndmask_b32_e32 v36, 0, v36, vcc_lo
	v_lshrrev_b64 v[36:37], s41, v[36:37]
	v_lshlrev_b32_e32 v37, 2, v80
	s_delay_alu instid0(VALU_DEP_2) | instskip(NEXT) | instid1(VALU_DEP_1)
	v_and_b32_e32 v36, s43, v36
	v_lshl_or_b32 v36, v36, 4, v37
	ds_add_u32 v36, v123
	s_or_b32 exec_lo, exec_lo, s8
	s_delay_alu instid0(SALU_CYCLE_1)
	s_mov_b32 s8, exec_lo
	v_cmpx_lt_u32_e64 v91, v2
	s_cbranch_execnz .LBB1258_352
.LBB1258_367:                           ;   in Loop: Header=BB1258_315 Depth=2
	s_or_b32 exec_lo, exec_lo, s8
	s_delay_alu instid0(SALU_CYCLE_1)
	s_mov_b32 s8, exec_lo
	v_cmpx_lt_u32_e64 v92, v2
	s_cbranch_execz .LBB1258_353
.LBB1258_368:                           ;   in Loop: Header=BB1258_315 Depth=2
	v_cmp_lt_i64_e32 vcc_lo, -1, v[6:7]
	s_waitcnt vmcnt(14)
	v_ashrrev_i32_e32 v38, 31, v7
	v_cndmask_b32_e64 v36, -1, 0x80000000, vcc_lo
	s_delay_alu instid0(VALU_DEP_1) | instskip(NEXT) | instid1(VALU_DEP_3)
	v_xor_b32_e32 v37, v36, v7
	v_xor_b32_e32 v36, v38, v6
	s_delay_alu instid0(VALU_DEP_1) | instskip(SKIP_2) | instid1(VALU_DEP_1)
	v_cmp_ne_u64_e32 vcc_lo, s[38:39], v[36:37]
	v_cndmask_b32_e32 v37, 0x80000000, v37, vcc_lo
	v_cndmask_b32_e32 v36, 0, v36, vcc_lo
	v_lshrrev_b64 v[36:37], s41, v[36:37]
	v_lshlrev_b32_e32 v37, 2, v80
	s_delay_alu instid0(VALU_DEP_2) | instskip(NEXT) | instid1(VALU_DEP_1)
	v_and_b32_e32 v36, s43, v36
	v_lshl_or_b32 v36, v36, 4, v37
	ds_add_u32 v36, v123
	s_or_b32 exec_lo, exec_lo, s8
	s_delay_alu instid0(SALU_CYCLE_1)
	s_mov_b32 s8, exec_lo
	v_cmpx_lt_u32_e64 v93, v2
	s_cbranch_execnz .LBB1258_354
.LBB1258_369:                           ;   in Loop: Header=BB1258_315 Depth=2
	s_or_b32 exec_lo, exec_lo, s8
	s_delay_alu instid0(SALU_CYCLE_1)
	s_mov_b32 s8, exec_lo
	v_cmpx_lt_u32_e64 v95, v2
	s_cbranch_execz .LBB1258_314
.LBB1258_370:                           ;   in Loop: Header=BB1258_315 Depth=2
	s_waitcnt vmcnt(0)
	v_cmp_lt_i64_e32 vcc_lo, -1, v[34:35]
	v_ashrrev_i32_e32 v36, 31, v35
	s_delay_alu instid0(VALU_DEP_1) | instskip(SKIP_1) | instid1(VALU_DEP_1)
	v_xor_b32_e32 v36, v36, v34
	v_cndmask_b32_e64 v2, -1, 0x80000000, vcc_lo
	v_xor_b32_e32 v37, v2, v35
	s_delay_alu instid0(VALU_DEP_1) | instskip(SKIP_2) | instid1(VALU_DEP_1)
	v_cmp_ne_u64_e32 vcc_lo, s[38:39], v[36:37]
	v_cndmask_b32_e32 v37, 0x80000000, v37, vcc_lo
	v_cndmask_b32_e32 v36, 0, v36, vcc_lo
	v_lshrrev_b64 v[36:37], s41, v[36:37]
	s_delay_alu instid0(VALU_DEP_1) | instskip(SKIP_1) | instid1(VALU_DEP_1)
	v_and_b32_e32 v2, s43, v36
	v_lshlrev_b32_e32 v36, 2, v80
	v_lshl_or_b32 v2, v2, 4, v36
	ds_add_u32 v2, v123
	s_branch .LBB1258_314
.LBB1258_371:                           ;   in Loop: Header=BB1258_315 Depth=2
	s_or_b32 exec_lo, exec_lo, s11
	s_delay_alu instid0(SALU_CYCLE_1)
	s_mov_b32 s11, exec_lo
	v_cmpx_gt_u32_e64 s1, v77
	s_cbranch_execz .LBB1258_321
.LBB1258_372:                           ;   in Loop: Header=BB1258_315 Depth=2
	global_load_b64 v[30:31], v124, s[8:9] offset:2048
	s_or_b32 exec_lo, exec_lo, s11
	s_delay_alu instid0(SALU_CYCLE_1)
	s_mov_b32 s11, exec_lo
	v_cmpx_gt_u32_e64 s1, v78
	s_cbranch_execnz .LBB1258_322
.LBB1258_373:                           ;   in Loop: Header=BB1258_315 Depth=2
	s_or_b32 exec_lo, exec_lo, s11
	s_delay_alu instid0(SALU_CYCLE_1)
	s_mov_b32 s11, exec_lo
	v_cmpx_gt_u32_e64 s1, v79
	s_cbranch_execz .LBB1258_323
.LBB1258_374:                           ;   in Loop: Header=BB1258_315 Depth=2
	global_load_b64 v[26:27], v126, s[8:9]
	s_or_b32 exec_lo, exec_lo, s11
	s_delay_alu instid0(SALU_CYCLE_1)
	s_mov_b32 s11, exec_lo
	v_cmpx_gt_u32_e64 s1, v83
	s_cbranch_execnz .LBB1258_324
.LBB1258_375:                           ;   in Loop: Header=BB1258_315 Depth=2
	s_or_b32 exec_lo, exec_lo, s11
	s_delay_alu instid0(SALU_CYCLE_1)
	s_mov_b32 s11, exec_lo
	v_cmpx_gt_u32_e64 s1, v84
	s_cbranch_execz .LBB1258_325
.LBB1258_376:                           ;   in Loop: Header=BB1258_315 Depth=2
	global_load_b64 v[22:23], v128, s[8:9]
	s_or_b32 exec_lo, exec_lo, s11
	s_delay_alu instid0(SALU_CYCLE_1)
	s_mov_b32 s11, exec_lo
	v_cmpx_gt_u32_e64 s1, v85
	s_cbranch_execnz .LBB1258_326
.LBB1258_377:                           ;   in Loop: Header=BB1258_315 Depth=2
	s_or_b32 exec_lo, exec_lo, s11
	s_delay_alu instid0(SALU_CYCLE_1)
	s_mov_b32 s11, exec_lo
	v_cmpx_gt_u32_e64 s1, v86
	s_cbranch_execz .LBB1258_327
.LBB1258_378:                           ;   in Loop: Header=BB1258_315 Depth=2
	global_load_b64 v[18:19], v130, s[8:9]
	s_or_b32 exec_lo, exec_lo, s11
	s_delay_alu instid0(SALU_CYCLE_1)
	s_mov_b32 s11, exec_lo
	v_cmpx_gt_u32_e64 s1, v87
	s_cbranch_execnz .LBB1258_328
.LBB1258_379:                           ;   in Loop: Header=BB1258_315 Depth=2
	s_or_b32 exec_lo, exec_lo, s11
	s_delay_alu instid0(SALU_CYCLE_1)
	s_mov_b32 s11, exec_lo
	v_cmpx_gt_u32_e64 s1, v88
	s_cbranch_execz .LBB1258_329
.LBB1258_380:                           ;   in Loop: Header=BB1258_315 Depth=2
	global_load_b64 v[14:15], v132, s[8:9]
	s_or_b32 exec_lo, exec_lo, s11
	s_delay_alu instid0(SALU_CYCLE_1)
	s_mov_b32 s11, exec_lo
	v_cmpx_gt_u32_e64 s1, v89
	s_cbranch_execnz .LBB1258_330
.LBB1258_381:                           ;   in Loop: Header=BB1258_315 Depth=2
	s_or_b32 exec_lo, exec_lo, s11
	s_delay_alu instid0(SALU_CYCLE_1)
	s_mov_b32 s11, exec_lo
	v_cmpx_gt_u32_e64 s1, v90
	s_cbranch_execz .LBB1258_331
.LBB1258_382:                           ;   in Loop: Header=BB1258_315 Depth=2
	global_load_b64 v[10:11], v134, s[8:9]
	s_or_b32 exec_lo, exec_lo, s11
	s_delay_alu instid0(SALU_CYCLE_1)
	s_mov_b32 s11, exec_lo
	v_cmpx_gt_u32_e64 s1, v91
	s_cbranch_execnz .LBB1258_332
.LBB1258_383:                           ;   in Loop: Header=BB1258_315 Depth=2
	s_or_b32 exec_lo, exec_lo, s11
	s_delay_alu instid0(SALU_CYCLE_1)
	s_mov_b32 s11, exec_lo
	v_cmpx_gt_u32_e64 s1, v92
	s_cbranch_execz .LBB1258_333
.LBB1258_384:                           ;   in Loop: Header=BB1258_315 Depth=2
	v_lshlrev_b32_e32 v2, 3, v92
	global_load_b64 v[6:7], v2, s[8:9]
	s_or_b32 exec_lo, exec_lo, s11
	s_delay_alu instid0(SALU_CYCLE_1)
	s_mov_b32 s11, exec_lo
	v_cmpx_gt_u32_e64 s1, v93
	s_cbranch_execz .LBB1258_335
	s_branch .LBB1258_334
.LBB1258_385:                           ;   in Loop: Header=BB1258_17 Depth=1
	v_mov_b32_e32 v2, 0
	s_waitcnt vmcnt(0) lgkmcnt(0)
	s_barrier
	buffer_gl0_inv
	s_and_saveexec_b32 s1, s2
	s_cbranch_execz .LBB1258_387
; %bb.386:                              ;   in Loop: Header=BB1258_17 Depth=1
	ds_load_2addr_b64 v[4:7], v96 offset1:1
	s_waitcnt lgkmcnt(0)
	v_add_nc_u32_e32 v2, v5, v4
	s_delay_alu instid0(VALU_DEP_1)
	v_add3_u32 v2, v2, v6, v7
.LBB1258_387:                           ;   in Loop: Header=BB1258_17 Depth=1
	s_or_b32 exec_lo, exec_lo, s1
	v_and_b32_e32 v4, 15, v136
	s_delay_alu instid0(VALU_DEP_2) | instskip(SKIP_1) | instid1(VALU_DEP_3)
	v_mov_b32_dpp v5, v2 row_shr:1 row_mask:0xf bank_mask:0xf
	v_and_b32_e32 v6, 16, v136
	v_cmp_eq_u32_e64 s1, 0, v4
	v_cmp_lt_u32_e64 s7, 1, v4
	v_cmp_lt_u32_e64 s8, 3, v4
	;; [unrolled: 1-line block ×3, first 2 shown]
	v_cmp_eq_u32_e64 s10, 0, v6
	v_cndmask_b32_e64 v5, v5, 0, s1
	s_delay_alu instid0(VALU_DEP_1) | instskip(NEXT) | instid1(VALU_DEP_1)
	v_add_nc_u32_e32 v2, v5, v2
	v_mov_b32_dpp v5, v2 row_shr:2 row_mask:0xf bank_mask:0xf
	s_delay_alu instid0(VALU_DEP_1) | instskip(NEXT) | instid1(VALU_DEP_1)
	v_cndmask_b32_e64 v5, 0, v5, s7
	v_add_nc_u32_e32 v2, v2, v5
	s_delay_alu instid0(VALU_DEP_1) | instskip(NEXT) | instid1(VALU_DEP_1)
	v_mov_b32_dpp v5, v2 row_shr:4 row_mask:0xf bank_mask:0xf
	v_cndmask_b32_e64 v5, 0, v5, s8
	s_delay_alu instid0(VALU_DEP_1) | instskip(NEXT) | instid1(VALU_DEP_1)
	v_add_nc_u32_e32 v2, v2, v5
	v_mov_b32_dpp v5, v2 row_shr:8 row_mask:0xf bank_mask:0xf
	s_delay_alu instid0(VALU_DEP_1) | instskip(SKIP_1) | instid1(VALU_DEP_2)
	v_cndmask_b32_e64 v4, 0, v5, s9
	v_bfe_i32 v5, v136, 4, 1
	v_add_nc_u32_e32 v2, v2, v4
	ds_swizzle_b32 v4, v2 offset:swizzle(BROADCAST,32,15)
	s_waitcnt lgkmcnt(0)
	v_and_b32_e32 v4, v5, v4
	s_delay_alu instid0(VALU_DEP_1)
	v_add_nc_u32_e32 v4, v2, v4
	s_and_saveexec_b32 s11, s3
	s_cbranch_execz .LBB1258_389
; %bb.388:                              ;   in Loop: Header=BB1258_17 Depth=1
	ds_store_b32 v97, v4
.LBB1258_389:                           ;   in Loop: Header=BB1258_17 Depth=1
	s_or_b32 exec_lo, exec_lo, s11
	v_and_b32_e32 v2, 7, v136
	s_waitcnt lgkmcnt(0)
	s_barrier
	buffer_gl0_inv
	s_and_saveexec_b32 s11, s4
	s_cbranch_execz .LBB1258_391
; %bb.390:                              ;   in Loop: Header=BB1258_17 Depth=1
	ds_load_b32 v5, v98
	v_cmp_ne_u32_e32 vcc_lo, 0, v2
	s_waitcnt lgkmcnt(0)
	v_mov_b32_dpp v6, v5 row_shr:1 row_mask:0xf bank_mask:0xf
	s_delay_alu instid0(VALU_DEP_1) | instskip(SKIP_1) | instid1(VALU_DEP_2)
	v_cndmask_b32_e32 v6, 0, v6, vcc_lo
	v_cmp_lt_u32_e32 vcc_lo, 1, v2
	v_add_nc_u32_e32 v5, v6, v5
	s_delay_alu instid0(VALU_DEP_1) | instskip(NEXT) | instid1(VALU_DEP_1)
	v_mov_b32_dpp v6, v5 row_shr:2 row_mask:0xf bank_mask:0xf
	v_cndmask_b32_e32 v6, 0, v6, vcc_lo
	v_cmp_lt_u32_e32 vcc_lo, 3, v2
	s_delay_alu instid0(VALU_DEP_2) | instskip(NEXT) | instid1(VALU_DEP_1)
	v_add_nc_u32_e32 v5, v5, v6
	v_mov_b32_dpp v6, v5 row_shr:4 row_mask:0xf bank_mask:0xf
	s_delay_alu instid0(VALU_DEP_1) | instskip(NEXT) | instid1(VALU_DEP_1)
	v_cndmask_b32_e32 v6, 0, v6, vcc_lo
	v_add_nc_u32_e32 v5, v5, v6
	ds_store_b32 v98, v5
.LBB1258_391:                           ;   in Loop: Header=BB1258_17 Depth=1
	s_or_b32 exec_lo, exec_lo, s11
	v_mov_b32_e32 v5, 0
	s_waitcnt lgkmcnt(0)
	s_barrier
	buffer_gl0_inv
	s_and_saveexec_b32 s11, s5
	s_cbranch_execz .LBB1258_393
; %bb.392:                              ;   in Loop: Header=BB1258_17 Depth=1
	ds_load_b32 v5, v99
.LBB1258_393:                           ;   in Loop: Header=BB1258_17 Depth=1
	s_or_b32 exec_lo, exec_lo, s11
	v_add_nc_u32_e32 v6, -1, v136
	s_waitcnt lgkmcnt(0)
	v_add_nc_u32_e32 v4, v5, v4
	v_cmp_eq_u32_e64 s11, 0, v136
	s_barrier
	v_cmp_gt_i32_e32 vcc_lo, 0, v6
	buffer_gl0_inv
	v_cndmask_b32_e32 v6, v6, v136, vcc_lo
	s_delay_alu instid0(VALU_DEP_1)
	v_lshlrev_b32_e32 v137, 2, v6
	ds_bpermute_b32 v4, v137, v4
	s_and_saveexec_b32 s12, s2
	s_cbranch_execz .LBB1258_395
; %bb.394:                              ;   in Loop: Header=BB1258_17 Depth=1
	s_waitcnt lgkmcnt(0)
	v_cndmask_b32_e64 v4, v4, v5, s11
	s_delay_alu instid0(VALU_DEP_1)
	v_add_nc_u32_e32 v4, s60, v4
	ds_store_b32 v76, v4
.LBB1258_395:                           ;   in Loop: Header=BB1258_17 Depth=1
	s_or_b32 exec_lo, exec_lo, s12
	s_load_b64 s[12:13], s[36:37], 0x0
	v_lshlrev_b32_e32 v7, 3, v136
	v_or_b32_e32 v138, v136, v100
	s_mov_b32 s50, s62
	s_mov_b32 s34, s60
                                        ; implicit-def: $vgpr8_vgpr9
                                        ; implicit-def: $vgpr10_vgpr11
                                        ; implicit-def: $vgpr12_vgpr13
                                        ; implicit-def: $vgpr14_vgpr15
                                        ; implicit-def: $vgpr16_vgpr17
                                        ; implicit-def: $vgpr18_vgpr19
                                        ; implicit-def: $vgpr20_vgpr21
                                        ; implicit-def: $vgpr22_vgpr23
                                        ; implicit-def: $vgpr24_vgpr25
                                        ; implicit-def: $vgpr26_vgpr27
                                        ; implicit-def: $vgpr28_vgpr29
                                        ; implicit-def: $vgpr30_vgpr31
                                        ; implicit-def: $vgpr32_vgpr33
                                        ; implicit-def: $vgpr34_vgpr35
                                        ; implicit-def: $vgpr161
                                        ; implicit-def: $vgpr162
                                        ; implicit-def: $vgpr163
                                        ; implicit-def: $vgpr164
                                        ; implicit-def: $vgpr165
                                        ; implicit-def: $vgpr166
                                        ; implicit-def: $vgpr167
                                        ; implicit-def: $vgpr168
                                        ; implicit-def: $vgpr169
                                        ; implicit-def: $vgpr170
                                        ; implicit-def: $vgpr171
                                        ; implicit-def: $vgpr172
                                        ; implicit-def: $vgpr173
                                        ; implicit-def: $vgpr174
                                        ; implicit-def: $vgpr175
                                        ; implicit-def: $vgpr176
	s_delay_alu instid0(VALU_DEP_2) | instskip(SKIP_4) | instid1(VALU_DEP_3)
	v_add_co_u32 v139, vcc_lo, v113, v7
	v_add_co_ci_u32_e32 v140, vcc_lo, 0, v114, vcc_lo
	v_add_co_u32 v156, vcc_lo, v115, v7
	v_add_co_ci_u32_e32 v157, vcc_lo, 0, v116, vcc_lo
	v_or_b32_e32 v141, 32, v138
	v_add_co_u32 v159, vcc_lo, 0xf00, v156
	v_or_b32_e32 v142, 64, v138
	v_or_b32_e32 v143, 0x60, v138
	;; [unrolled: 1-line block ×3, first 2 shown]
	s_waitcnt lgkmcnt(0)
	s_cmp_lt_u32 s15, s13
	v_or_b32_e32 v145, 0xa0, v138
	s_cselect_b32 s13, 14, 20
	v_or_b32_e32 v146, 0xc0, v138
	s_add_u32 s16, s36, s13
	s_addc_u32 s17, s37, 0
	s_cmp_lt_u32 s14, s12
	global_load_u16 v4, v3, s[16:17]
	s_cselect_b32 s12, 12, 18
	v_or_b32_e32 v147, 0xe0, v138
	s_add_u32 s12, s36, s12
	s_addc_u32 s13, s37, 0
	v_or_b32_e32 v148, 0x100, v138
	global_load_u16 v6, v3, s[12:13]
	v_cmp_eq_u32_e64 s12, 0, v2
	v_cmp_lt_u32_e64 s13, 1, v2
	v_cmp_lt_u32_e64 s16, 3, v2
	v_or_b32_e32 v149, 0x120, v138
	v_or_b32_e32 v150, 0x140, v138
	;; [unrolled: 1-line block ×7, first 2 shown]
	v_add_co_ci_u32_e32 v160, vcc_lo, 0, v157, vcc_lo
	s_waitcnt vmcnt(1)
	v_mad_u32_u24 v2, v101, v4, v0
	s_waitcnt vmcnt(0)
	s_delay_alu instid0(VALU_DEP_1) | instskip(NEXT) | instid1(VALU_DEP_1)
	v_mad_u64_u32 v[4:5], null, v2, v6, v[1:2]
                                        ; implicit-def: $vgpr6_vgpr7
	v_lshrrev_b32_e32 v158, 5, v4
                                        ; implicit-def: $vgpr4_vgpr5
	s_branch .LBB1258_397
.LBB1258_396:                           ;   in Loop: Header=BB1258_397 Depth=2
	s_or_b32 exec_lo, exec_lo, s17
	s_addk_i32 s50, 0xf000
	s_cmp_lt_u32 s51, s61
	s_mov_b32 s34, s51
	s_cbranch_scc0 .LBB1258_605
.LBB1258_397:                           ;   Parent Loop BB1258_17 Depth=1
                                        ; =>  This Inner Loop Header: Depth=2
	s_add_i32 s51, s34, 0x1000
	s_delay_alu instid0(SALU_CYCLE_1)
	s_cmp_gt_u32 s51, s61
	s_cbranch_scc1 .LBB1258_399
; %bb.398:                              ;   in Loop: Header=BB1258_397 Depth=2
	s_mov_b32 s19, 0
	s_mov_b32 s18, s34
	s_movk_i32 s17, 0x1000
	s_lshl_b64 s[20:21], s[18:19], 3
	s_delay_alu instid0(SALU_CYCLE_1)
	v_add_co_u32 v40, vcc_lo, v156, s20
	v_add_co_ci_u32_e32 v41, vcc_lo, s21, v157, vcc_lo
	s_mov_b32 s20, -1
	s_clause 0xe
	global_load_b64 v[36:37], v[40:41], off
	global_load_b64 v[38:39], v[40:41], off offset:256
	global_load_b64 v[44:45], v[40:41], off offset:512
	;; [unrolled: 1-line block ×14, first 2 shown]
	s_cbranch_execz .LBB1258_400
	s_branch .LBB1258_431
.LBB1258_399:                           ;   in Loop: Header=BB1258_397 Depth=2
	s_mov_b32 s19, -1
	s_mov_b32 s20, 0
                                        ; implicit-def: $sgpr17
                                        ; implicit-def: $vgpr36_vgpr37
                                        ; implicit-def: $vgpr38_vgpr39
                                        ; implicit-def: $vgpr44_vgpr45
                                        ; implicit-def: $vgpr48_vgpr49
                                        ; implicit-def: $vgpr52_vgpr53
                                        ; implicit-def: $vgpr58_vgpr59
                                        ; implicit-def: $vgpr62_vgpr63
                                        ; implicit-def: $vgpr66_vgpr67
                                        ; implicit-def: $vgpr64_vgpr65
                                        ; implicit-def: $vgpr60_vgpr61
                                        ; implicit-def: $vgpr56_vgpr57
                                        ; implicit-def: $vgpr54_vgpr55
                                        ; implicit-def: $vgpr50_vgpr51
                                        ; implicit-def: $vgpr46_vgpr47
                                        ; implicit-def: $vgpr40_vgpr41
.LBB1258_400:                           ;   in Loop: Header=BB1258_397 Depth=2
	s_lshl_b64 s[18:19], s[34:35], 3
	s_waitcnt vmcnt(14)
	v_dual_mov_b32 v36, s38 :: v_dual_mov_b32 v37, s39
	v_add_co_u32 v42, vcc_lo, v156, s18
	v_add_co_ci_u32_e32 v43, vcc_lo, s19, v157, vcc_lo
	s_mov_b32 s17, exec_lo
	v_cmpx_gt_u32_e64 s50, v138
	s_cbranch_execz .LBB1258_402
; %bb.401:                              ;   in Loop: Header=BB1258_397 Depth=2
	global_load_b64 v[36:37], v[42:43], off
.LBB1258_402:                           ;   in Loop: Header=BB1258_397 Depth=2
	s_or_b32 exec_lo, exec_lo, s17
	s_waitcnt vmcnt(13)
	v_dual_mov_b32 v38, s38 :: v_dual_mov_b32 v39, s39
	s_mov_b32 s17, exec_lo
	v_cmpx_gt_u32_e64 s50, v141
	s_cbranch_execz .LBB1258_404
; %bb.403:                              ;   in Loop: Header=BB1258_397 Depth=2
	global_load_b64 v[38:39], v[42:43], off offset:256
.LBB1258_404:                           ;   in Loop: Header=BB1258_397 Depth=2
	s_or_b32 exec_lo, exec_lo, s17
	s_waitcnt vmcnt(12)
	v_dual_mov_b32 v45, s39 :: v_dual_mov_b32 v44, s38
	s_mov_b32 s17, exec_lo
	v_cmpx_gt_u32_e64 s50, v142
	s_cbranch_execz .LBB1258_406
; %bb.405:                              ;   in Loop: Header=BB1258_397 Depth=2
	global_load_b64 v[44:45], v[42:43], off offset:512
.LBB1258_406:                           ;   in Loop: Header=BB1258_397 Depth=2
	;; [unrolled: 9-line block ×14, first 2 shown]
	s_or_b32 exec_lo, exec_lo, s17
	v_cmp_gt_u32_e64 s20, s50, v155
	s_sub_i32 s17, s61, s34
	s_mov_b64 s[18:19], s[34:35]
.LBB1258_431:                           ;   in Loop: Header=BB1258_397 Depth=2
	v_dual_mov_b32 v43, s39 :: v_dual_mov_b32 v42, s38
	v_mov_b32_e32 v177, s50
	s_and_saveexec_b32 s21, s20
	s_cbranch_execz .LBB1258_433
; %bb.432:                              ;   in Loop: Header=BB1258_397 Depth=2
	s_lshl_b64 s[18:19], s[18:19], 3
	v_mov_b32_e32 v177, s17
	v_add_co_u32 v42, vcc_lo, v159, s18
	v_add_co_ci_u32_e32 v43, vcc_lo, s19, v160, vcc_lo
	global_load_b64 v[42:43], v[42:43], off
.LBB1258_433:                           ;   in Loop: Header=BB1258_397 Depth=2
	s_or_b32 exec_lo, exec_lo, s21
	s_waitcnt vmcnt(14)
	v_cmp_lt_i64_e32 vcc_lo, -1, v[36:37]
	v_ashrrev_i32_e32 v68, 31, v37
	ds_store_b32 v102, v3 offset:1056
	ds_store_2addr_b32 v103, v3, v3 offset0:1 offset1:2
	ds_store_2addr_b32 v103, v3, v3 offset0:3 offset1:4
	;; [unrolled: 1-line block ×4, first 2 shown]
	s_waitcnt vmcnt(0) lgkmcnt(0)
	s_barrier
	v_cndmask_b32_e64 v2, -1, 0x80000000, vcc_lo
	v_xor_b32_e32 v36, v68, v36
	buffer_gl0_inv
	; wave barrier
	v_xor_b32_e32 v37, v2, v37
	s_delay_alu instid0(VALU_DEP_1) | instskip(SKIP_2) | instid1(VALU_DEP_1)
	v_cmp_ne_u64_e32 vcc_lo, s[38:39], v[36:37]
	v_cndmask_b32_e32 v69, 0x80000000, v37, vcc_lo
	v_cndmask_b32_e32 v68, 0, v36, vcc_lo
	v_lshrrev_b64 v[68:69], s41, v[68:69]
	s_delay_alu instid0(VALU_DEP_1) | instskip(NEXT) | instid1(VALU_DEP_1)
	v_and_b32_e32 v69, s43, v68
	v_lshlrev_b32_e32 v71, 28, v69
	v_and_b32_e32 v2, 1, v69
	v_lshlrev_b32_e32 v68, 30, v69
	v_lshlrev_b32_e32 v70, 29, v69
	;; [unrolled: 1-line block ×4, first 2 shown]
	v_add_co_u32 v2, s17, v2, -1
	s_delay_alu instid0(VALU_DEP_1)
	v_cndmask_b32_e64 v72, 0, 1, s17
	v_not_b32_e32 v178, v68
	v_cmp_gt_i32_e64 s17, 0, v68
	v_not_b32_e32 v68, v70
	v_lshlrev_b32_e32 v75, 25, v69
	v_cmp_ne_u32_e32 vcc_lo, 0, v72
	v_ashrrev_i32_e32 v178, 31, v178
	v_lshlrev_b32_e32 v72, 24, v69
	v_ashrrev_i32_e32 v68, 31, v68
	v_mad_u32_u24 v69, v69, 9, v158
	v_xor_b32_e32 v2, vcc_lo, v2
	v_cmp_gt_i32_e32 vcc_lo, 0, v70
	v_not_b32_e32 v70, v71
	v_xor_b32_e32 v178, s17, v178
	v_cmp_gt_i32_e64 s17, 0, v71
	v_and_b32_e32 v2, exec_lo, v2
	v_not_b32_e32 v71, v73
	v_ashrrev_i32_e32 v70, 31, v70
	v_xor_b32_e32 v68, vcc_lo, v68
	v_cmp_gt_i32_e32 vcc_lo, 0, v73
	v_and_b32_e32 v2, v2, v178
	v_not_b32_e32 v73, v74
	v_ashrrev_i32_e32 v71, 31, v71
	v_xor_b32_e32 v70, s17, v70
	v_cmp_gt_i32_e64 s17, 0, v74
	v_and_b32_e32 v2, v2, v68
	v_not_b32_e32 v68, v75
	v_ashrrev_i32_e32 v73, 31, v73
	v_xor_b32_e32 v71, vcc_lo, v71
	v_cmp_gt_i32_e32 vcc_lo, 0, v75
	v_and_b32_e32 v2, v2, v70
	v_not_b32_e32 v70, v72
	v_ashrrev_i32_e32 v68, 31, v68
	v_xor_b32_e32 v73, s17, v73
	v_cmp_gt_i32_e64 s17, 0, v72
	v_and_b32_e32 v2, v2, v71
	v_ashrrev_i32_e32 v70, 31, v70
	v_xor_b32_e32 v68, vcc_lo, v68
	v_lshl_add_u32 v178, v69, 2, 0x420
	s_delay_alu instid0(VALU_DEP_4) | instskip(NEXT) | instid1(VALU_DEP_4)
	v_and_b32_e32 v2, v2, v73
	v_xor_b32_e32 v70, s17, v70
	s_delay_alu instid0(VALU_DEP_2) | instskip(NEXT) | instid1(VALU_DEP_1)
	v_and_b32_e32 v2, v2, v68
	v_and_b32_e32 v68, v2, v70
	s_delay_alu instid0(VALU_DEP_1) | instskip(SKIP_1) | instid1(VALU_DEP_2)
	v_mbcnt_lo_u32_b32 v2, v68, 0
	v_cmp_ne_u32_e64 s17, 0, v68
	v_cmp_eq_u32_e32 vcc_lo, 0, v2
	s_delay_alu instid0(VALU_DEP_2) | instskip(NEXT) | instid1(SALU_CYCLE_1)
	s_and_b32 s18, s17, vcc_lo
	s_and_saveexec_b32 s17, s18
	s_cbranch_execz .LBB1258_435
; %bb.434:                              ;   in Loop: Header=BB1258_397 Depth=2
	v_bcnt_u32_b32 v68, v68, 0
	ds_store_b32 v178, v68
.LBB1258_435:                           ;   in Loop: Header=BB1258_397 Depth=2
	s_or_b32 exec_lo, exec_lo, s17
	v_cmp_lt_i64_e32 vcc_lo, -1, v[38:39]
	v_ashrrev_i32_e32 v69, 31, v39
	; wave barrier
	s_delay_alu instid0(VALU_DEP_1) | instskip(SKIP_1) | instid1(VALU_DEP_1)
	v_xor_b32_e32 v38, v69, v38
	v_cndmask_b32_e64 v68, -1, 0x80000000, vcc_lo
	v_xor_b32_e32 v39, v68, v39
	s_delay_alu instid0(VALU_DEP_1) | instskip(SKIP_2) | instid1(VALU_DEP_1)
	v_cmp_ne_u64_e32 vcc_lo, s[38:39], v[38:39]
	v_cndmask_b32_e32 v69, 0x80000000, v39, vcc_lo
	v_cndmask_b32_e32 v68, 0, v38, vcc_lo
	v_lshrrev_b64 v[68:69], s41, v[68:69]
	s_delay_alu instid0(VALU_DEP_1) | instskip(NEXT) | instid1(VALU_DEP_1)
	v_and_b32_e32 v68, s43, v68
	v_and_b32_e32 v69, 1, v68
	v_lshlrev_b32_e32 v70, 30, v68
	v_lshlrev_b32_e32 v71, 29, v68
	;; [unrolled: 1-line block ×4, first 2 shown]
	v_add_co_u32 v69, s17, v69, -1
	s_delay_alu instid0(VALU_DEP_1)
	v_cndmask_b32_e64 v73, 0, 1, s17
	v_not_b32_e32 v180, v70
	v_cmp_gt_i32_e64 s17, 0, v70
	v_not_b32_e32 v70, v71
	v_lshlrev_b32_e32 v75, 26, v68
	v_cmp_ne_u32_e32 vcc_lo, 0, v73
	v_ashrrev_i32_e32 v180, 31, v180
	v_lshlrev_b32_e32 v179, 25, v68
	v_ashrrev_i32_e32 v70, 31, v70
	v_lshlrev_b32_e32 v73, 24, v68
	v_xor_b32_e32 v69, vcc_lo, v69
	v_cmp_gt_i32_e32 vcc_lo, 0, v71
	v_not_b32_e32 v71, v72
	v_xor_b32_e32 v180, s17, v180
	v_cmp_gt_i32_e64 s17, 0, v72
	v_and_b32_e32 v69, exec_lo, v69
	v_not_b32_e32 v72, v74
	v_ashrrev_i32_e32 v71, 31, v71
	v_xor_b32_e32 v70, vcc_lo, v70
	v_cmp_gt_i32_e32 vcc_lo, 0, v74
	v_and_b32_e32 v69, v69, v180
	v_not_b32_e32 v74, v75
	v_ashrrev_i32_e32 v72, 31, v72
	v_xor_b32_e32 v71, s17, v71
	v_cmp_gt_i32_e64 s17, 0, v75
	v_and_b32_e32 v69, v69, v70
	v_not_b32_e32 v70, v179
	v_ashrrev_i32_e32 v74, 31, v74
	v_xor_b32_e32 v72, vcc_lo, v72
	v_cmp_gt_i32_e32 vcc_lo, 0, v179
	v_and_b32_e32 v69, v69, v71
	v_not_b32_e32 v71, v73
	v_ashrrev_i32_e32 v70, 31, v70
	v_xor_b32_e32 v74, s17, v74
	v_mul_u32_u24_e32 v68, 9, v68
	v_and_b32_e32 v69, v69, v72
	v_cmp_gt_i32_e64 s17, 0, v73
	v_ashrrev_i32_e32 v71, 31, v71
	v_xor_b32_e32 v70, vcc_lo, v70
	v_add_lshl_u32 v72, v68, v158, 2
	v_and_b32_e32 v69, v69, v74
	s_delay_alu instid0(VALU_DEP_4) | instskip(SKIP_3) | instid1(VALU_DEP_2)
	v_xor_b32_e32 v68, s17, v71
	ds_load_b32 v179, v72 offset:1056
	v_and_b32_e32 v69, v69, v70
	v_add_nc_u32_e32 v181, 0x420, v72
	; wave barrier
	v_and_b32_e32 v68, v69, v68
	s_delay_alu instid0(VALU_DEP_1) | instskip(SKIP_1) | instid1(VALU_DEP_2)
	v_mbcnt_lo_u32_b32 v180, v68, 0
	v_cmp_ne_u32_e64 s17, 0, v68
	v_cmp_eq_u32_e32 vcc_lo, 0, v180
	s_delay_alu instid0(VALU_DEP_2) | instskip(NEXT) | instid1(SALU_CYCLE_1)
	s_and_b32 s18, s17, vcc_lo
	s_and_saveexec_b32 s17, s18
	s_cbranch_execz .LBB1258_437
; %bb.436:                              ;   in Loop: Header=BB1258_397 Depth=2
	s_waitcnt lgkmcnt(0)
	v_bcnt_u32_b32 v68, v68, v179
	ds_store_b32 v181, v68
.LBB1258_437:                           ;   in Loop: Header=BB1258_397 Depth=2
	s_or_b32 exec_lo, exec_lo, s17
	v_cmp_lt_i64_e32 vcc_lo, -1, v[44:45]
	v_ashrrev_i32_e32 v69, 31, v45
	; wave barrier
	s_delay_alu instid0(VALU_DEP_1) | instskip(SKIP_1) | instid1(VALU_DEP_1)
	v_xor_b32_e32 v44, v69, v44
	v_cndmask_b32_e64 v68, -1, 0x80000000, vcc_lo
	v_xor_b32_e32 v45, v68, v45
	s_delay_alu instid0(VALU_DEP_1) | instskip(SKIP_2) | instid1(VALU_DEP_1)
	v_cmp_ne_u64_e32 vcc_lo, s[38:39], v[44:45]
	v_cndmask_b32_e32 v69, 0x80000000, v45, vcc_lo
	v_cndmask_b32_e32 v68, 0, v44, vcc_lo
	v_lshrrev_b64 v[68:69], s41, v[68:69]
	s_delay_alu instid0(VALU_DEP_1) | instskip(NEXT) | instid1(VALU_DEP_1)
	v_and_b32_e32 v68, s43, v68
	v_and_b32_e32 v69, 1, v68
	v_lshlrev_b32_e32 v70, 30, v68
	v_lshlrev_b32_e32 v71, 29, v68
	v_lshlrev_b32_e32 v72, 28, v68
	v_lshlrev_b32_e32 v74, 27, v68
	v_add_co_u32 v69, s17, v69, -1
	s_delay_alu instid0(VALU_DEP_1)
	v_cndmask_b32_e64 v73, 0, 1, s17
	v_not_b32_e32 v183, v70
	v_cmp_gt_i32_e64 s17, 0, v70
	v_not_b32_e32 v70, v71
	v_lshlrev_b32_e32 v75, 26, v68
	v_cmp_ne_u32_e32 vcc_lo, 0, v73
	v_ashrrev_i32_e32 v183, 31, v183
	v_lshlrev_b32_e32 v182, 25, v68
	v_ashrrev_i32_e32 v70, 31, v70
	v_lshlrev_b32_e32 v73, 24, v68
	v_xor_b32_e32 v69, vcc_lo, v69
	v_cmp_gt_i32_e32 vcc_lo, 0, v71
	v_not_b32_e32 v71, v72
	v_xor_b32_e32 v183, s17, v183
	v_cmp_gt_i32_e64 s17, 0, v72
	v_and_b32_e32 v69, exec_lo, v69
	v_not_b32_e32 v72, v74
	v_ashrrev_i32_e32 v71, 31, v71
	v_xor_b32_e32 v70, vcc_lo, v70
	v_cmp_gt_i32_e32 vcc_lo, 0, v74
	v_and_b32_e32 v69, v69, v183
	v_not_b32_e32 v74, v75
	v_ashrrev_i32_e32 v72, 31, v72
	v_xor_b32_e32 v71, s17, v71
	v_cmp_gt_i32_e64 s17, 0, v75
	v_and_b32_e32 v69, v69, v70
	v_not_b32_e32 v70, v182
	v_ashrrev_i32_e32 v74, 31, v74
	v_xor_b32_e32 v72, vcc_lo, v72
	v_cmp_gt_i32_e32 vcc_lo, 0, v182
	v_and_b32_e32 v69, v69, v71
	v_not_b32_e32 v71, v73
	v_ashrrev_i32_e32 v70, 31, v70
	v_xor_b32_e32 v74, s17, v74
	v_mul_u32_u24_e32 v68, 9, v68
	v_and_b32_e32 v69, v69, v72
	v_cmp_gt_i32_e64 s17, 0, v73
	v_ashrrev_i32_e32 v71, 31, v71
	v_xor_b32_e32 v70, vcc_lo, v70
	v_add_lshl_u32 v72, v68, v158, 2
	v_and_b32_e32 v69, v69, v74
	s_delay_alu instid0(VALU_DEP_4) | instskip(SKIP_3) | instid1(VALU_DEP_2)
	v_xor_b32_e32 v68, s17, v71
	ds_load_b32 v182, v72 offset:1056
	v_and_b32_e32 v69, v69, v70
	v_add_nc_u32_e32 v184, 0x420, v72
	; wave barrier
	v_and_b32_e32 v68, v69, v68
	s_delay_alu instid0(VALU_DEP_1) | instskip(SKIP_1) | instid1(VALU_DEP_2)
	v_mbcnt_lo_u32_b32 v183, v68, 0
	v_cmp_ne_u32_e64 s17, 0, v68
	v_cmp_eq_u32_e32 vcc_lo, 0, v183
	s_delay_alu instid0(VALU_DEP_2) | instskip(NEXT) | instid1(SALU_CYCLE_1)
	s_and_b32 s18, s17, vcc_lo
	s_and_saveexec_b32 s17, s18
	s_cbranch_execz .LBB1258_439
; %bb.438:                              ;   in Loop: Header=BB1258_397 Depth=2
	s_waitcnt lgkmcnt(0)
	v_bcnt_u32_b32 v68, v68, v182
	ds_store_b32 v184, v68
.LBB1258_439:                           ;   in Loop: Header=BB1258_397 Depth=2
	s_or_b32 exec_lo, exec_lo, s17
	v_cmp_lt_i64_e32 vcc_lo, -1, v[48:49]
	v_ashrrev_i32_e32 v69, 31, v49
	; wave barrier
	s_delay_alu instid0(VALU_DEP_1) | instskip(SKIP_1) | instid1(VALU_DEP_1)
	v_xor_b32_e32 v48, v69, v48
	v_cndmask_b32_e64 v68, -1, 0x80000000, vcc_lo
	v_xor_b32_e32 v49, v68, v49
	s_delay_alu instid0(VALU_DEP_1) | instskip(SKIP_2) | instid1(VALU_DEP_1)
	v_cmp_ne_u64_e32 vcc_lo, s[38:39], v[48:49]
	v_cndmask_b32_e32 v69, 0x80000000, v49, vcc_lo
	v_cndmask_b32_e32 v68, 0, v48, vcc_lo
	v_lshrrev_b64 v[68:69], s41, v[68:69]
	s_delay_alu instid0(VALU_DEP_1) | instskip(NEXT) | instid1(VALU_DEP_1)
	v_and_b32_e32 v68, s43, v68
	v_and_b32_e32 v69, 1, v68
	v_lshlrev_b32_e32 v70, 30, v68
	v_lshlrev_b32_e32 v71, 29, v68
	;; [unrolled: 1-line block ×4, first 2 shown]
	v_add_co_u32 v69, s17, v69, -1
	s_delay_alu instid0(VALU_DEP_1)
	v_cndmask_b32_e64 v73, 0, 1, s17
	v_not_b32_e32 v186, v70
	v_cmp_gt_i32_e64 s17, 0, v70
	v_not_b32_e32 v70, v71
	v_lshlrev_b32_e32 v75, 26, v68
	v_cmp_ne_u32_e32 vcc_lo, 0, v73
	v_ashrrev_i32_e32 v186, 31, v186
	v_lshlrev_b32_e32 v185, 25, v68
	v_ashrrev_i32_e32 v70, 31, v70
	v_lshlrev_b32_e32 v73, 24, v68
	v_xor_b32_e32 v69, vcc_lo, v69
	v_cmp_gt_i32_e32 vcc_lo, 0, v71
	v_not_b32_e32 v71, v72
	v_xor_b32_e32 v186, s17, v186
	v_cmp_gt_i32_e64 s17, 0, v72
	v_and_b32_e32 v69, exec_lo, v69
	v_not_b32_e32 v72, v74
	v_ashrrev_i32_e32 v71, 31, v71
	v_xor_b32_e32 v70, vcc_lo, v70
	v_cmp_gt_i32_e32 vcc_lo, 0, v74
	v_and_b32_e32 v69, v69, v186
	v_not_b32_e32 v74, v75
	v_ashrrev_i32_e32 v72, 31, v72
	v_xor_b32_e32 v71, s17, v71
	v_cmp_gt_i32_e64 s17, 0, v75
	v_and_b32_e32 v69, v69, v70
	v_not_b32_e32 v70, v185
	v_ashrrev_i32_e32 v74, 31, v74
	v_xor_b32_e32 v72, vcc_lo, v72
	v_cmp_gt_i32_e32 vcc_lo, 0, v185
	v_and_b32_e32 v69, v69, v71
	v_not_b32_e32 v71, v73
	v_ashrrev_i32_e32 v70, 31, v70
	v_xor_b32_e32 v74, s17, v74
	v_mul_u32_u24_e32 v68, 9, v68
	v_and_b32_e32 v69, v69, v72
	v_cmp_gt_i32_e64 s17, 0, v73
	v_ashrrev_i32_e32 v71, 31, v71
	v_xor_b32_e32 v70, vcc_lo, v70
	v_add_lshl_u32 v72, v68, v158, 2
	v_and_b32_e32 v69, v69, v74
	s_delay_alu instid0(VALU_DEP_4) | instskip(SKIP_3) | instid1(VALU_DEP_2)
	v_xor_b32_e32 v68, s17, v71
	ds_load_b32 v185, v72 offset:1056
	v_and_b32_e32 v69, v69, v70
	v_add_nc_u32_e32 v187, 0x420, v72
	; wave barrier
	v_and_b32_e32 v68, v69, v68
	s_delay_alu instid0(VALU_DEP_1) | instskip(SKIP_1) | instid1(VALU_DEP_2)
	v_mbcnt_lo_u32_b32 v186, v68, 0
	v_cmp_ne_u32_e64 s17, 0, v68
	v_cmp_eq_u32_e32 vcc_lo, 0, v186
	s_delay_alu instid0(VALU_DEP_2) | instskip(NEXT) | instid1(SALU_CYCLE_1)
	s_and_b32 s18, s17, vcc_lo
	s_and_saveexec_b32 s17, s18
	s_cbranch_execz .LBB1258_441
; %bb.440:                              ;   in Loop: Header=BB1258_397 Depth=2
	s_waitcnt lgkmcnt(0)
	v_bcnt_u32_b32 v68, v68, v185
	ds_store_b32 v187, v68
.LBB1258_441:                           ;   in Loop: Header=BB1258_397 Depth=2
	s_or_b32 exec_lo, exec_lo, s17
	v_cmp_lt_i64_e32 vcc_lo, -1, v[52:53]
	v_ashrrev_i32_e32 v69, 31, v53
	; wave barrier
	s_delay_alu instid0(VALU_DEP_1) | instskip(SKIP_1) | instid1(VALU_DEP_1)
	v_xor_b32_e32 v52, v69, v52
	v_cndmask_b32_e64 v68, -1, 0x80000000, vcc_lo
	v_xor_b32_e32 v53, v68, v53
	s_delay_alu instid0(VALU_DEP_1) | instskip(SKIP_2) | instid1(VALU_DEP_1)
	v_cmp_ne_u64_e32 vcc_lo, s[38:39], v[52:53]
	v_cndmask_b32_e32 v69, 0x80000000, v53, vcc_lo
	v_cndmask_b32_e32 v68, 0, v52, vcc_lo
	v_lshrrev_b64 v[68:69], s41, v[68:69]
	s_delay_alu instid0(VALU_DEP_1) | instskip(NEXT) | instid1(VALU_DEP_1)
	v_and_b32_e32 v68, s43, v68
	v_and_b32_e32 v69, 1, v68
	v_lshlrev_b32_e32 v70, 30, v68
	v_lshlrev_b32_e32 v71, 29, v68
	;; [unrolled: 1-line block ×4, first 2 shown]
	v_add_co_u32 v69, s17, v69, -1
	s_delay_alu instid0(VALU_DEP_1)
	v_cndmask_b32_e64 v73, 0, 1, s17
	v_not_b32_e32 v189, v70
	v_cmp_gt_i32_e64 s17, 0, v70
	v_not_b32_e32 v70, v71
	v_lshlrev_b32_e32 v75, 26, v68
	v_cmp_ne_u32_e32 vcc_lo, 0, v73
	v_ashrrev_i32_e32 v189, 31, v189
	v_lshlrev_b32_e32 v188, 25, v68
	v_ashrrev_i32_e32 v70, 31, v70
	v_lshlrev_b32_e32 v73, 24, v68
	v_xor_b32_e32 v69, vcc_lo, v69
	v_cmp_gt_i32_e32 vcc_lo, 0, v71
	v_not_b32_e32 v71, v72
	v_xor_b32_e32 v189, s17, v189
	v_cmp_gt_i32_e64 s17, 0, v72
	v_and_b32_e32 v69, exec_lo, v69
	v_not_b32_e32 v72, v74
	v_ashrrev_i32_e32 v71, 31, v71
	v_xor_b32_e32 v70, vcc_lo, v70
	v_cmp_gt_i32_e32 vcc_lo, 0, v74
	v_and_b32_e32 v69, v69, v189
	v_not_b32_e32 v74, v75
	v_ashrrev_i32_e32 v72, 31, v72
	v_xor_b32_e32 v71, s17, v71
	v_cmp_gt_i32_e64 s17, 0, v75
	v_and_b32_e32 v69, v69, v70
	v_not_b32_e32 v70, v188
	v_ashrrev_i32_e32 v74, 31, v74
	v_xor_b32_e32 v72, vcc_lo, v72
	v_cmp_gt_i32_e32 vcc_lo, 0, v188
	v_and_b32_e32 v69, v69, v71
	v_not_b32_e32 v71, v73
	v_ashrrev_i32_e32 v70, 31, v70
	v_xor_b32_e32 v74, s17, v74
	v_mul_u32_u24_e32 v68, 9, v68
	v_and_b32_e32 v69, v69, v72
	v_cmp_gt_i32_e64 s17, 0, v73
	v_ashrrev_i32_e32 v71, 31, v71
	v_xor_b32_e32 v70, vcc_lo, v70
	v_add_lshl_u32 v72, v68, v158, 2
	v_and_b32_e32 v69, v69, v74
	s_delay_alu instid0(VALU_DEP_4) | instskip(SKIP_3) | instid1(VALU_DEP_2)
	v_xor_b32_e32 v68, s17, v71
	ds_load_b32 v188, v72 offset:1056
	v_and_b32_e32 v69, v69, v70
	v_add_nc_u32_e32 v190, 0x420, v72
	; wave barrier
	v_and_b32_e32 v68, v69, v68
	s_delay_alu instid0(VALU_DEP_1) | instskip(SKIP_1) | instid1(VALU_DEP_2)
	v_mbcnt_lo_u32_b32 v189, v68, 0
	v_cmp_ne_u32_e64 s17, 0, v68
	v_cmp_eq_u32_e32 vcc_lo, 0, v189
	s_delay_alu instid0(VALU_DEP_2) | instskip(NEXT) | instid1(SALU_CYCLE_1)
	s_and_b32 s18, s17, vcc_lo
	s_and_saveexec_b32 s17, s18
	s_cbranch_execz .LBB1258_443
; %bb.442:                              ;   in Loop: Header=BB1258_397 Depth=2
	s_waitcnt lgkmcnt(0)
	v_bcnt_u32_b32 v68, v68, v188
	ds_store_b32 v190, v68
.LBB1258_443:                           ;   in Loop: Header=BB1258_397 Depth=2
	s_or_b32 exec_lo, exec_lo, s17
	v_cmp_lt_i64_e32 vcc_lo, -1, v[58:59]
	v_ashrrev_i32_e32 v69, 31, v59
	; wave barrier
	s_delay_alu instid0(VALU_DEP_1) | instskip(SKIP_1) | instid1(VALU_DEP_1)
	v_xor_b32_e32 v58, v69, v58
	v_cndmask_b32_e64 v68, -1, 0x80000000, vcc_lo
	v_xor_b32_e32 v59, v68, v59
	s_delay_alu instid0(VALU_DEP_1) | instskip(SKIP_2) | instid1(VALU_DEP_1)
	v_cmp_ne_u64_e32 vcc_lo, s[38:39], v[58:59]
	v_cndmask_b32_e32 v69, 0x80000000, v59, vcc_lo
	v_cndmask_b32_e32 v68, 0, v58, vcc_lo
	v_lshrrev_b64 v[68:69], s41, v[68:69]
	s_delay_alu instid0(VALU_DEP_1) | instskip(NEXT) | instid1(VALU_DEP_1)
	v_and_b32_e32 v68, s43, v68
	v_and_b32_e32 v69, 1, v68
	v_lshlrev_b32_e32 v70, 30, v68
	v_lshlrev_b32_e32 v71, 29, v68
	;; [unrolled: 1-line block ×4, first 2 shown]
	v_add_co_u32 v69, s17, v69, -1
	s_delay_alu instid0(VALU_DEP_1)
	v_cndmask_b32_e64 v73, 0, 1, s17
	v_not_b32_e32 v192, v70
	v_cmp_gt_i32_e64 s17, 0, v70
	v_not_b32_e32 v70, v71
	v_lshlrev_b32_e32 v75, 26, v68
	v_cmp_ne_u32_e32 vcc_lo, 0, v73
	v_ashrrev_i32_e32 v192, 31, v192
	v_lshlrev_b32_e32 v191, 25, v68
	v_ashrrev_i32_e32 v70, 31, v70
	v_lshlrev_b32_e32 v73, 24, v68
	v_xor_b32_e32 v69, vcc_lo, v69
	v_cmp_gt_i32_e32 vcc_lo, 0, v71
	v_not_b32_e32 v71, v72
	v_xor_b32_e32 v192, s17, v192
	v_cmp_gt_i32_e64 s17, 0, v72
	v_and_b32_e32 v69, exec_lo, v69
	v_not_b32_e32 v72, v74
	v_ashrrev_i32_e32 v71, 31, v71
	v_xor_b32_e32 v70, vcc_lo, v70
	v_cmp_gt_i32_e32 vcc_lo, 0, v74
	v_and_b32_e32 v69, v69, v192
	v_not_b32_e32 v74, v75
	v_ashrrev_i32_e32 v72, 31, v72
	v_xor_b32_e32 v71, s17, v71
	v_cmp_gt_i32_e64 s17, 0, v75
	v_and_b32_e32 v69, v69, v70
	v_not_b32_e32 v70, v191
	v_ashrrev_i32_e32 v74, 31, v74
	v_xor_b32_e32 v72, vcc_lo, v72
	v_cmp_gt_i32_e32 vcc_lo, 0, v191
	v_and_b32_e32 v69, v69, v71
	v_not_b32_e32 v71, v73
	v_ashrrev_i32_e32 v70, 31, v70
	v_xor_b32_e32 v74, s17, v74
	v_mul_u32_u24_e32 v68, 9, v68
	v_and_b32_e32 v69, v69, v72
	v_cmp_gt_i32_e64 s17, 0, v73
	v_ashrrev_i32_e32 v71, 31, v71
	v_xor_b32_e32 v70, vcc_lo, v70
	v_add_lshl_u32 v72, v68, v158, 2
	v_and_b32_e32 v69, v69, v74
	s_delay_alu instid0(VALU_DEP_4) | instskip(SKIP_3) | instid1(VALU_DEP_2)
	v_xor_b32_e32 v68, s17, v71
	ds_load_b32 v191, v72 offset:1056
	v_and_b32_e32 v69, v69, v70
	v_add_nc_u32_e32 v193, 0x420, v72
	; wave barrier
	v_and_b32_e32 v68, v69, v68
	s_delay_alu instid0(VALU_DEP_1) | instskip(SKIP_1) | instid1(VALU_DEP_2)
	v_mbcnt_lo_u32_b32 v192, v68, 0
	v_cmp_ne_u32_e64 s17, 0, v68
	v_cmp_eq_u32_e32 vcc_lo, 0, v192
	s_delay_alu instid0(VALU_DEP_2) | instskip(NEXT) | instid1(SALU_CYCLE_1)
	s_and_b32 s18, s17, vcc_lo
	s_and_saveexec_b32 s17, s18
	s_cbranch_execz .LBB1258_445
; %bb.444:                              ;   in Loop: Header=BB1258_397 Depth=2
	s_waitcnt lgkmcnt(0)
	v_bcnt_u32_b32 v68, v68, v191
	ds_store_b32 v193, v68
.LBB1258_445:                           ;   in Loop: Header=BB1258_397 Depth=2
	s_or_b32 exec_lo, exec_lo, s17
	v_cmp_lt_i64_e32 vcc_lo, -1, v[62:63]
	v_ashrrev_i32_e32 v69, 31, v63
	; wave barrier
	s_delay_alu instid0(VALU_DEP_1) | instskip(SKIP_1) | instid1(VALU_DEP_1)
	v_xor_b32_e32 v62, v69, v62
	v_cndmask_b32_e64 v68, -1, 0x80000000, vcc_lo
	v_xor_b32_e32 v63, v68, v63
	s_delay_alu instid0(VALU_DEP_1) | instskip(SKIP_2) | instid1(VALU_DEP_1)
	v_cmp_ne_u64_e32 vcc_lo, s[38:39], v[62:63]
	v_cndmask_b32_e32 v69, 0x80000000, v63, vcc_lo
	v_cndmask_b32_e32 v68, 0, v62, vcc_lo
	v_lshrrev_b64 v[68:69], s41, v[68:69]
	s_delay_alu instid0(VALU_DEP_1) | instskip(NEXT) | instid1(VALU_DEP_1)
	v_and_b32_e32 v68, s43, v68
	v_and_b32_e32 v69, 1, v68
	v_lshlrev_b32_e32 v70, 30, v68
	v_lshlrev_b32_e32 v71, 29, v68
	v_lshlrev_b32_e32 v72, 28, v68
	v_lshlrev_b32_e32 v74, 27, v68
	v_add_co_u32 v69, s17, v69, -1
	s_delay_alu instid0(VALU_DEP_1)
	v_cndmask_b32_e64 v73, 0, 1, s17
	v_not_b32_e32 v195, v70
	v_cmp_gt_i32_e64 s17, 0, v70
	v_not_b32_e32 v70, v71
	v_lshlrev_b32_e32 v75, 26, v68
	v_cmp_ne_u32_e32 vcc_lo, 0, v73
	v_ashrrev_i32_e32 v195, 31, v195
	v_lshlrev_b32_e32 v194, 25, v68
	v_ashrrev_i32_e32 v70, 31, v70
	v_lshlrev_b32_e32 v73, 24, v68
	v_xor_b32_e32 v69, vcc_lo, v69
	v_cmp_gt_i32_e32 vcc_lo, 0, v71
	v_not_b32_e32 v71, v72
	v_xor_b32_e32 v195, s17, v195
	v_cmp_gt_i32_e64 s17, 0, v72
	v_and_b32_e32 v69, exec_lo, v69
	v_not_b32_e32 v72, v74
	v_ashrrev_i32_e32 v71, 31, v71
	v_xor_b32_e32 v70, vcc_lo, v70
	v_cmp_gt_i32_e32 vcc_lo, 0, v74
	v_and_b32_e32 v69, v69, v195
	v_not_b32_e32 v74, v75
	v_ashrrev_i32_e32 v72, 31, v72
	v_xor_b32_e32 v71, s17, v71
	v_cmp_gt_i32_e64 s17, 0, v75
	v_and_b32_e32 v69, v69, v70
	v_not_b32_e32 v70, v194
	v_ashrrev_i32_e32 v74, 31, v74
	v_xor_b32_e32 v72, vcc_lo, v72
	v_cmp_gt_i32_e32 vcc_lo, 0, v194
	v_and_b32_e32 v69, v69, v71
	v_not_b32_e32 v71, v73
	v_ashrrev_i32_e32 v70, 31, v70
	v_xor_b32_e32 v74, s17, v74
	v_mul_u32_u24_e32 v68, 9, v68
	v_and_b32_e32 v69, v69, v72
	v_cmp_gt_i32_e64 s17, 0, v73
	v_ashrrev_i32_e32 v71, 31, v71
	v_xor_b32_e32 v70, vcc_lo, v70
	v_add_lshl_u32 v72, v68, v158, 2
	v_and_b32_e32 v69, v69, v74
	s_delay_alu instid0(VALU_DEP_4) | instskip(SKIP_3) | instid1(VALU_DEP_2)
	v_xor_b32_e32 v68, s17, v71
	ds_load_b32 v194, v72 offset:1056
	v_and_b32_e32 v69, v69, v70
	v_add_nc_u32_e32 v196, 0x420, v72
	; wave barrier
	v_and_b32_e32 v68, v69, v68
	s_delay_alu instid0(VALU_DEP_1) | instskip(SKIP_1) | instid1(VALU_DEP_2)
	v_mbcnt_lo_u32_b32 v195, v68, 0
	v_cmp_ne_u32_e64 s17, 0, v68
	v_cmp_eq_u32_e32 vcc_lo, 0, v195
	s_delay_alu instid0(VALU_DEP_2) | instskip(NEXT) | instid1(SALU_CYCLE_1)
	s_and_b32 s18, s17, vcc_lo
	s_and_saveexec_b32 s17, s18
	s_cbranch_execz .LBB1258_447
; %bb.446:                              ;   in Loop: Header=BB1258_397 Depth=2
	s_waitcnt lgkmcnt(0)
	v_bcnt_u32_b32 v68, v68, v194
	ds_store_b32 v196, v68
.LBB1258_447:                           ;   in Loop: Header=BB1258_397 Depth=2
	s_or_b32 exec_lo, exec_lo, s17
	v_cmp_lt_i64_e32 vcc_lo, -1, v[66:67]
	v_ashrrev_i32_e32 v69, 31, v67
	; wave barrier
	s_delay_alu instid0(VALU_DEP_1) | instskip(SKIP_1) | instid1(VALU_DEP_1)
	v_xor_b32_e32 v66, v69, v66
	v_cndmask_b32_e64 v68, -1, 0x80000000, vcc_lo
	v_xor_b32_e32 v67, v68, v67
	s_delay_alu instid0(VALU_DEP_1) | instskip(SKIP_2) | instid1(VALU_DEP_1)
	v_cmp_ne_u64_e32 vcc_lo, s[38:39], v[66:67]
	v_cndmask_b32_e32 v69, 0x80000000, v67, vcc_lo
	v_cndmask_b32_e32 v68, 0, v66, vcc_lo
	v_lshrrev_b64 v[68:69], s41, v[68:69]
	s_delay_alu instid0(VALU_DEP_1) | instskip(NEXT) | instid1(VALU_DEP_1)
	v_and_b32_e32 v68, s43, v68
	v_and_b32_e32 v69, 1, v68
	v_lshlrev_b32_e32 v70, 30, v68
	v_lshlrev_b32_e32 v71, 29, v68
	;; [unrolled: 1-line block ×4, first 2 shown]
	v_add_co_u32 v69, s17, v69, -1
	s_delay_alu instid0(VALU_DEP_1)
	v_cndmask_b32_e64 v73, 0, 1, s17
	v_not_b32_e32 v198, v70
	v_cmp_gt_i32_e64 s17, 0, v70
	v_not_b32_e32 v70, v71
	v_lshlrev_b32_e32 v75, 26, v68
	v_cmp_ne_u32_e32 vcc_lo, 0, v73
	v_ashrrev_i32_e32 v198, 31, v198
	v_lshlrev_b32_e32 v197, 25, v68
	v_ashrrev_i32_e32 v70, 31, v70
	v_lshlrev_b32_e32 v73, 24, v68
	v_xor_b32_e32 v69, vcc_lo, v69
	v_cmp_gt_i32_e32 vcc_lo, 0, v71
	v_not_b32_e32 v71, v72
	v_xor_b32_e32 v198, s17, v198
	v_cmp_gt_i32_e64 s17, 0, v72
	v_and_b32_e32 v69, exec_lo, v69
	v_not_b32_e32 v72, v74
	v_ashrrev_i32_e32 v71, 31, v71
	v_xor_b32_e32 v70, vcc_lo, v70
	v_cmp_gt_i32_e32 vcc_lo, 0, v74
	v_and_b32_e32 v69, v69, v198
	v_not_b32_e32 v74, v75
	v_ashrrev_i32_e32 v72, 31, v72
	v_xor_b32_e32 v71, s17, v71
	v_cmp_gt_i32_e64 s17, 0, v75
	v_and_b32_e32 v69, v69, v70
	v_not_b32_e32 v70, v197
	v_ashrrev_i32_e32 v74, 31, v74
	v_xor_b32_e32 v72, vcc_lo, v72
	v_cmp_gt_i32_e32 vcc_lo, 0, v197
	v_and_b32_e32 v69, v69, v71
	v_not_b32_e32 v71, v73
	v_ashrrev_i32_e32 v70, 31, v70
	v_xor_b32_e32 v74, s17, v74
	v_mul_u32_u24_e32 v68, 9, v68
	v_and_b32_e32 v69, v69, v72
	v_cmp_gt_i32_e64 s17, 0, v73
	v_ashrrev_i32_e32 v71, 31, v71
	v_xor_b32_e32 v70, vcc_lo, v70
	v_add_lshl_u32 v72, v68, v158, 2
	v_and_b32_e32 v69, v69, v74
	s_delay_alu instid0(VALU_DEP_4) | instskip(SKIP_3) | instid1(VALU_DEP_2)
	v_xor_b32_e32 v68, s17, v71
	ds_load_b32 v197, v72 offset:1056
	v_and_b32_e32 v69, v69, v70
	v_add_nc_u32_e32 v199, 0x420, v72
	; wave barrier
	v_and_b32_e32 v68, v69, v68
	s_delay_alu instid0(VALU_DEP_1) | instskip(SKIP_1) | instid1(VALU_DEP_2)
	v_mbcnt_lo_u32_b32 v198, v68, 0
	v_cmp_ne_u32_e64 s17, 0, v68
	v_cmp_eq_u32_e32 vcc_lo, 0, v198
	s_delay_alu instid0(VALU_DEP_2) | instskip(NEXT) | instid1(SALU_CYCLE_1)
	s_and_b32 s18, s17, vcc_lo
	s_and_saveexec_b32 s17, s18
	s_cbranch_execz .LBB1258_449
; %bb.448:                              ;   in Loop: Header=BB1258_397 Depth=2
	s_waitcnt lgkmcnt(0)
	v_bcnt_u32_b32 v68, v68, v197
	ds_store_b32 v199, v68
.LBB1258_449:                           ;   in Loop: Header=BB1258_397 Depth=2
	s_or_b32 exec_lo, exec_lo, s17
	v_cmp_lt_i64_e32 vcc_lo, -1, v[64:65]
	v_ashrrev_i32_e32 v69, 31, v65
	; wave barrier
	s_delay_alu instid0(VALU_DEP_1) | instskip(SKIP_1) | instid1(VALU_DEP_1)
	v_xor_b32_e32 v64, v69, v64
	v_cndmask_b32_e64 v68, -1, 0x80000000, vcc_lo
	v_xor_b32_e32 v65, v68, v65
	s_delay_alu instid0(VALU_DEP_1) | instskip(SKIP_2) | instid1(VALU_DEP_1)
	v_cmp_ne_u64_e32 vcc_lo, s[38:39], v[64:65]
	v_cndmask_b32_e32 v69, 0x80000000, v65, vcc_lo
	v_cndmask_b32_e32 v68, 0, v64, vcc_lo
	v_lshrrev_b64 v[68:69], s41, v[68:69]
	s_delay_alu instid0(VALU_DEP_1) | instskip(NEXT) | instid1(VALU_DEP_1)
	v_and_b32_e32 v68, s43, v68
	v_and_b32_e32 v69, 1, v68
	v_lshlrev_b32_e32 v70, 30, v68
	v_lshlrev_b32_e32 v71, 29, v68
	;; [unrolled: 1-line block ×4, first 2 shown]
	v_add_co_u32 v69, s17, v69, -1
	s_delay_alu instid0(VALU_DEP_1)
	v_cndmask_b32_e64 v73, 0, 1, s17
	v_not_b32_e32 v201, v70
	v_cmp_gt_i32_e64 s17, 0, v70
	v_not_b32_e32 v70, v71
	v_lshlrev_b32_e32 v75, 26, v68
	v_cmp_ne_u32_e32 vcc_lo, 0, v73
	v_ashrrev_i32_e32 v201, 31, v201
	v_lshlrev_b32_e32 v200, 25, v68
	v_ashrrev_i32_e32 v70, 31, v70
	v_lshlrev_b32_e32 v73, 24, v68
	v_xor_b32_e32 v69, vcc_lo, v69
	v_cmp_gt_i32_e32 vcc_lo, 0, v71
	v_not_b32_e32 v71, v72
	v_xor_b32_e32 v201, s17, v201
	v_cmp_gt_i32_e64 s17, 0, v72
	v_and_b32_e32 v69, exec_lo, v69
	v_not_b32_e32 v72, v74
	v_ashrrev_i32_e32 v71, 31, v71
	v_xor_b32_e32 v70, vcc_lo, v70
	v_cmp_gt_i32_e32 vcc_lo, 0, v74
	v_and_b32_e32 v69, v69, v201
	v_not_b32_e32 v74, v75
	v_ashrrev_i32_e32 v72, 31, v72
	v_xor_b32_e32 v71, s17, v71
	v_cmp_gt_i32_e64 s17, 0, v75
	v_and_b32_e32 v69, v69, v70
	v_not_b32_e32 v70, v200
	v_ashrrev_i32_e32 v74, 31, v74
	v_xor_b32_e32 v72, vcc_lo, v72
	v_cmp_gt_i32_e32 vcc_lo, 0, v200
	v_and_b32_e32 v69, v69, v71
	v_not_b32_e32 v71, v73
	v_ashrrev_i32_e32 v70, 31, v70
	v_xor_b32_e32 v74, s17, v74
	v_mul_u32_u24_e32 v68, 9, v68
	v_and_b32_e32 v69, v69, v72
	v_cmp_gt_i32_e64 s17, 0, v73
	v_ashrrev_i32_e32 v71, 31, v71
	v_xor_b32_e32 v70, vcc_lo, v70
	v_add_lshl_u32 v72, v68, v158, 2
	v_and_b32_e32 v69, v69, v74
	s_delay_alu instid0(VALU_DEP_4) | instskip(SKIP_3) | instid1(VALU_DEP_2)
	v_xor_b32_e32 v68, s17, v71
	ds_load_b32 v200, v72 offset:1056
	v_and_b32_e32 v69, v69, v70
	v_add_nc_u32_e32 v202, 0x420, v72
	; wave barrier
	v_and_b32_e32 v68, v69, v68
	s_delay_alu instid0(VALU_DEP_1) | instskip(SKIP_1) | instid1(VALU_DEP_2)
	v_mbcnt_lo_u32_b32 v201, v68, 0
	v_cmp_ne_u32_e64 s17, 0, v68
	v_cmp_eq_u32_e32 vcc_lo, 0, v201
	s_delay_alu instid0(VALU_DEP_2) | instskip(NEXT) | instid1(SALU_CYCLE_1)
	s_and_b32 s18, s17, vcc_lo
	s_and_saveexec_b32 s17, s18
	s_cbranch_execz .LBB1258_451
; %bb.450:                              ;   in Loop: Header=BB1258_397 Depth=2
	s_waitcnt lgkmcnt(0)
	v_bcnt_u32_b32 v68, v68, v200
	ds_store_b32 v202, v68
.LBB1258_451:                           ;   in Loop: Header=BB1258_397 Depth=2
	s_or_b32 exec_lo, exec_lo, s17
	v_cmp_lt_i64_e32 vcc_lo, -1, v[60:61]
	v_ashrrev_i32_e32 v69, 31, v61
	; wave barrier
	s_delay_alu instid0(VALU_DEP_1) | instskip(SKIP_1) | instid1(VALU_DEP_1)
	v_xor_b32_e32 v60, v69, v60
	v_cndmask_b32_e64 v68, -1, 0x80000000, vcc_lo
	v_xor_b32_e32 v61, v68, v61
	s_delay_alu instid0(VALU_DEP_1) | instskip(SKIP_2) | instid1(VALU_DEP_1)
	v_cmp_ne_u64_e32 vcc_lo, s[38:39], v[60:61]
	v_cndmask_b32_e32 v69, 0x80000000, v61, vcc_lo
	v_cndmask_b32_e32 v68, 0, v60, vcc_lo
	v_lshrrev_b64 v[68:69], s41, v[68:69]
	s_delay_alu instid0(VALU_DEP_1) | instskip(NEXT) | instid1(VALU_DEP_1)
	v_and_b32_e32 v68, s43, v68
	v_and_b32_e32 v69, 1, v68
	v_lshlrev_b32_e32 v70, 30, v68
	v_lshlrev_b32_e32 v71, 29, v68
	;; [unrolled: 1-line block ×4, first 2 shown]
	v_add_co_u32 v69, s17, v69, -1
	s_delay_alu instid0(VALU_DEP_1)
	v_cndmask_b32_e64 v73, 0, 1, s17
	v_not_b32_e32 v204, v70
	v_cmp_gt_i32_e64 s17, 0, v70
	v_not_b32_e32 v70, v71
	v_lshlrev_b32_e32 v75, 26, v68
	v_cmp_ne_u32_e32 vcc_lo, 0, v73
	v_ashrrev_i32_e32 v204, 31, v204
	v_lshlrev_b32_e32 v203, 25, v68
	v_ashrrev_i32_e32 v70, 31, v70
	v_lshlrev_b32_e32 v73, 24, v68
	v_xor_b32_e32 v69, vcc_lo, v69
	v_cmp_gt_i32_e32 vcc_lo, 0, v71
	v_not_b32_e32 v71, v72
	v_xor_b32_e32 v204, s17, v204
	v_cmp_gt_i32_e64 s17, 0, v72
	v_and_b32_e32 v69, exec_lo, v69
	v_not_b32_e32 v72, v74
	v_ashrrev_i32_e32 v71, 31, v71
	v_xor_b32_e32 v70, vcc_lo, v70
	v_cmp_gt_i32_e32 vcc_lo, 0, v74
	v_and_b32_e32 v69, v69, v204
	v_not_b32_e32 v74, v75
	v_ashrrev_i32_e32 v72, 31, v72
	v_xor_b32_e32 v71, s17, v71
	v_cmp_gt_i32_e64 s17, 0, v75
	v_and_b32_e32 v69, v69, v70
	v_not_b32_e32 v70, v203
	v_ashrrev_i32_e32 v74, 31, v74
	v_xor_b32_e32 v72, vcc_lo, v72
	v_cmp_gt_i32_e32 vcc_lo, 0, v203
	v_and_b32_e32 v69, v69, v71
	v_not_b32_e32 v71, v73
	v_ashrrev_i32_e32 v70, 31, v70
	v_xor_b32_e32 v74, s17, v74
	v_mul_u32_u24_e32 v68, 9, v68
	v_and_b32_e32 v69, v69, v72
	v_cmp_gt_i32_e64 s17, 0, v73
	v_ashrrev_i32_e32 v71, 31, v71
	v_xor_b32_e32 v70, vcc_lo, v70
	v_add_lshl_u32 v72, v68, v158, 2
	v_and_b32_e32 v69, v69, v74
	s_delay_alu instid0(VALU_DEP_4) | instskip(SKIP_3) | instid1(VALU_DEP_2)
	v_xor_b32_e32 v68, s17, v71
	ds_load_b32 v203, v72 offset:1056
	v_and_b32_e32 v69, v69, v70
	v_add_nc_u32_e32 v205, 0x420, v72
	; wave barrier
	v_and_b32_e32 v68, v69, v68
	s_delay_alu instid0(VALU_DEP_1) | instskip(SKIP_1) | instid1(VALU_DEP_2)
	v_mbcnt_lo_u32_b32 v204, v68, 0
	v_cmp_ne_u32_e64 s17, 0, v68
	v_cmp_eq_u32_e32 vcc_lo, 0, v204
	s_delay_alu instid0(VALU_DEP_2) | instskip(NEXT) | instid1(SALU_CYCLE_1)
	s_and_b32 s18, s17, vcc_lo
	s_and_saveexec_b32 s17, s18
	s_cbranch_execz .LBB1258_453
; %bb.452:                              ;   in Loop: Header=BB1258_397 Depth=2
	s_waitcnt lgkmcnt(0)
	v_bcnt_u32_b32 v68, v68, v203
	ds_store_b32 v205, v68
.LBB1258_453:                           ;   in Loop: Header=BB1258_397 Depth=2
	s_or_b32 exec_lo, exec_lo, s17
	v_cmp_lt_i64_e32 vcc_lo, -1, v[56:57]
	v_ashrrev_i32_e32 v69, 31, v57
	; wave barrier
	s_delay_alu instid0(VALU_DEP_1) | instskip(SKIP_1) | instid1(VALU_DEP_1)
	v_xor_b32_e32 v56, v69, v56
	v_cndmask_b32_e64 v68, -1, 0x80000000, vcc_lo
	v_xor_b32_e32 v57, v68, v57
	s_delay_alu instid0(VALU_DEP_1) | instskip(SKIP_2) | instid1(VALU_DEP_1)
	v_cmp_ne_u64_e32 vcc_lo, s[38:39], v[56:57]
	v_cndmask_b32_e32 v69, 0x80000000, v57, vcc_lo
	v_cndmask_b32_e32 v68, 0, v56, vcc_lo
	v_lshrrev_b64 v[68:69], s41, v[68:69]
	s_delay_alu instid0(VALU_DEP_1) | instskip(NEXT) | instid1(VALU_DEP_1)
	v_and_b32_e32 v68, s43, v68
	v_and_b32_e32 v69, 1, v68
	v_lshlrev_b32_e32 v70, 30, v68
	v_lshlrev_b32_e32 v71, 29, v68
	;; [unrolled: 1-line block ×4, first 2 shown]
	v_add_co_u32 v69, s17, v69, -1
	s_delay_alu instid0(VALU_DEP_1)
	v_cndmask_b32_e64 v73, 0, 1, s17
	v_not_b32_e32 v207, v70
	v_cmp_gt_i32_e64 s17, 0, v70
	v_not_b32_e32 v70, v71
	v_lshlrev_b32_e32 v75, 26, v68
	v_cmp_ne_u32_e32 vcc_lo, 0, v73
	v_ashrrev_i32_e32 v207, 31, v207
	v_lshlrev_b32_e32 v206, 25, v68
	v_ashrrev_i32_e32 v70, 31, v70
	v_lshlrev_b32_e32 v73, 24, v68
	v_xor_b32_e32 v69, vcc_lo, v69
	v_cmp_gt_i32_e32 vcc_lo, 0, v71
	v_not_b32_e32 v71, v72
	v_xor_b32_e32 v207, s17, v207
	v_cmp_gt_i32_e64 s17, 0, v72
	v_and_b32_e32 v69, exec_lo, v69
	v_not_b32_e32 v72, v74
	v_ashrrev_i32_e32 v71, 31, v71
	v_xor_b32_e32 v70, vcc_lo, v70
	v_cmp_gt_i32_e32 vcc_lo, 0, v74
	v_and_b32_e32 v69, v69, v207
	v_not_b32_e32 v74, v75
	v_ashrrev_i32_e32 v72, 31, v72
	v_xor_b32_e32 v71, s17, v71
	v_cmp_gt_i32_e64 s17, 0, v75
	v_and_b32_e32 v69, v69, v70
	v_not_b32_e32 v70, v206
	v_ashrrev_i32_e32 v74, 31, v74
	v_xor_b32_e32 v72, vcc_lo, v72
	v_cmp_gt_i32_e32 vcc_lo, 0, v206
	v_and_b32_e32 v69, v69, v71
	v_not_b32_e32 v71, v73
	v_ashrrev_i32_e32 v70, 31, v70
	v_xor_b32_e32 v74, s17, v74
	v_mul_u32_u24_e32 v68, 9, v68
	v_and_b32_e32 v69, v69, v72
	v_cmp_gt_i32_e64 s17, 0, v73
	v_ashrrev_i32_e32 v71, 31, v71
	v_xor_b32_e32 v70, vcc_lo, v70
	v_add_lshl_u32 v72, v68, v158, 2
	v_and_b32_e32 v69, v69, v74
	s_delay_alu instid0(VALU_DEP_4) | instskip(SKIP_3) | instid1(VALU_DEP_2)
	v_xor_b32_e32 v68, s17, v71
	ds_load_b32 v206, v72 offset:1056
	v_and_b32_e32 v69, v69, v70
	v_add_nc_u32_e32 v208, 0x420, v72
	; wave barrier
	v_and_b32_e32 v68, v69, v68
	s_delay_alu instid0(VALU_DEP_1) | instskip(SKIP_1) | instid1(VALU_DEP_2)
	v_mbcnt_lo_u32_b32 v207, v68, 0
	v_cmp_ne_u32_e64 s17, 0, v68
	v_cmp_eq_u32_e32 vcc_lo, 0, v207
	s_delay_alu instid0(VALU_DEP_2) | instskip(NEXT) | instid1(SALU_CYCLE_1)
	s_and_b32 s18, s17, vcc_lo
	s_and_saveexec_b32 s17, s18
	s_cbranch_execz .LBB1258_455
; %bb.454:                              ;   in Loop: Header=BB1258_397 Depth=2
	s_waitcnt lgkmcnt(0)
	v_bcnt_u32_b32 v68, v68, v206
	ds_store_b32 v208, v68
.LBB1258_455:                           ;   in Loop: Header=BB1258_397 Depth=2
	s_or_b32 exec_lo, exec_lo, s17
	v_cmp_lt_i64_e32 vcc_lo, -1, v[54:55]
	v_ashrrev_i32_e32 v69, 31, v55
	; wave barrier
	s_delay_alu instid0(VALU_DEP_1) | instskip(SKIP_1) | instid1(VALU_DEP_1)
	v_xor_b32_e32 v54, v69, v54
	v_cndmask_b32_e64 v68, -1, 0x80000000, vcc_lo
	v_xor_b32_e32 v55, v68, v55
	s_delay_alu instid0(VALU_DEP_1) | instskip(SKIP_2) | instid1(VALU_DEP_1)
	v_cmp_ne_u64_e32 vcc_lo, s[38:39], v[54:55]
	v_cndmask_b32_e32 v69, 0x80000000, v55, vcc_lo
	v_cndmask_b32_e32 v68, 0, v54, vcc_lo
	v_lshrrev_b64 v[68:69], s41, v[68:69]
	s_delay_alu instid0(VALU_DEP_1) | instskip(NEXT) | instid1(VALU_DEP_1)
	v_and_b32_e32 v68, s43, v68
	v_and_b32_e32 v69, 1, v68
	v_lshlrev_b32_e32 v70, 30, v68
	v_lshlrev_b32_e32 v71, 29, v68
	v_lshlrev_b32_e32 v72, 28, v68
	v_lshlrev_b32_e32 v74, 27, v68
	v_add_co_u32 v69, s17, v69, -1
	s_delay_alu instid0(VALU_DEP_1)
	v_cndmask_b32_e64 v73, 0, 1, s17
	v_not_b32_e32 v210, v70
	v_cmp_gt_i32_e64 s17, 0, v70
	v_not_b32_e32 v70, v71
	v_lshlrev_b32_e32 v75, 26, v68
	v_cmp_ne_u32_e32 vcc_lo, 0, v73
	v_ashrrev_i32_e32 v210, 31, v210
	v_lshlrev_b32_e32 v209, 25, v68
	v_ashrrev_i32_e32 v70, 31, v70
	v_lshlrev_b32_e32 v73, 24, v68
	v_xor_b32_e32 v69, vcc_lo, v69
	v_cmp_gt_i32_e32 vcc_lo, 0, v71
	v_not_b32_e32 v71, v72
	v_xor_b32_e32 v210, s17, v210
	v_cmp_gt_i32_e64 s17, 0, v72
	v_and_b32_e32 v69, exec_lo, v69
	v_not_b32_e32 v72, v74
	v_ashrrev_i32_e32 v71, 31, v71
	v_xor_b32_e32 v70, vcc_lo, v70
	v_cmp_gt_i32_e32 vcc_lo, 0, v74
	v_and_b32_e32 v69, v69, v210
	v_not_b32_e32 v74, v75
	v_ashrrev_i32_e32 v72, 31, v72
	v_xor_b32_e32 v71, s17, v71
	v_cmp_gt_i32_e64 s17, 0, v75
	v_and_b32_e32 v69, v69, v70
	v_not_b32_e32 v70, v209
	v_ashrrev_i32_e32 v74, 31, v74
	v_xor_b32_e32 v72, vcc_lo, v72
	v_cmp_gt_i32_e32 vcc_lo, 0, v209
	v_and_b32_e32 v69, v69, v71
	v_not_b32_e32 v71, v73
	v_ashrrev_i32_e32 v70, 31, v70
	v_xor_b32_e32 v74, s17, v74
	v_mul_u32_u24_e32 v68, 9, v68
	v_and_b32_e32 v69, v69, v72
	v_cmp_gt_i32_e64 s17, 0, v73
	v_ashrrev_i32_e32 v71, 31, v71
	v_xor_b32_e32 v70, vcc_lo, v70
	v_add_lshl_u32 v72, v68, v158, 2
	v_and_b32_e32 v69, v69, v74
	s_delay_alu instid0(VALU_DEP_4) | instskip(SKIP_3) | instid1(VALU_DEP_2)
	v_xor_b32_e32 v68, s17, v71
	ds_load_b32 v209, v72 offset:1056
	v_and_b32_e32 v69, v69, v70
	v_add_nc_u32_e32 v211, 0x420, v72
	; wave barrier
	v_and_b32_e32 v68, v69, v68
	s_delay_alu instid0(VALU_DEP_1) | instskip(SKIP_1) | instid1(VALU_DEP_2)
	v_mbcnt_lo_u32_b32 v210, v68, 0
	v_cmp_ne_u32_e64 s17, 0, v68
	v_cmp_eq_u32_e32 vcc_lo, 0, v210
	s_delay_alu instid0(VALU_DEP_2) | instskip(NEXT) | instid1(SALU_CYCLE_1)
	s_and_b32 s18, s17, vcc_lo
	s_and_saveexec_b32 s17, s18
	s_cbranch_execz .LBB1258_457
; %bb.456:                              ;   in Loop: Header=BB1258_397 Depth=2
	s_waitcnt lgkmcnt(0)
	v_bcnt_u32_b32 v68, v68, v209
	ds_store_b32 v211, v68
.LBB1258_457:                           ;   in Loop: Header=BB1258_397 Depth=2
	s_or_b32 exec_lo, exec_lo, s17
	v_cmp_lt_i64_e32 vcc_lo, -1, v[50:51]
	v_ashrrev_i32_e32 v69, 31, v51
	; wave barrier
	s_delay_alu instid0(VALU_DEP_1) | instskip(SKIP_1) | instid1(VALU_DEP_1)
	v_xor_b32_e32 v50, v69, v50
	v_cndmask_b32_e64 v68, -1, 0x80000000, vcc_lo
	v_xor_b32_e32 v51, v68, v51
	s_delay_alu instid0(VALU_DEP_1) | instskip(SKIP_2) | instid1(VALU_DEP_1)
	v_cmp_ne_u64_e32 vcc_lo, s[38:39], v[50:51]
	v_cndmask_b32_e32 v69, 0x80000000, v51, vcc_lo
	v_cndmask_b32_e32 v68, 0, v50, vcc_lo
	v_lshrrev_b64 v[68:69], s41, v[68:69]
	s_delay_alu instid0(VALU_DEP_1) | instskip(NEXT) | instid1(VALU_DEP_1)
	v_and_b32_e32 v68, s43, v68
	v_and_b32_e32 v69, 1, v68
	v_lshlrev_b32_e32 v70, 30, v68
	v_lshlrev_b32_e32 v71, 29, v68
	;; [unrolled: 1-line block ×4, first 2 shown]
	v_add_co_u32 v69, s17, v69, -1
	s_delay_alu instid0(VALU_DEP_1)
	v_cndmask_b32_e64 v73, 0, 1, s17
	v_not_b32_e32 v213, v70
	v_cmp_gt_i32_e64 s17, 0, v70
	v_not_b32_e32 v70, v71
	v_lshlrev_b32_e32 v75, 26, v68
	v_cmp_ne_u32_e32 vcc_lo, 0, v73
	v_ashrrev_i32_e32 v213, 31, v213
	v_lshlrev_b32_e32 v212, 25, v68
	v_ashrrev_i32_e32 v70, 31, v70
	v_lshlrev_b32_e32 v73, 24, v68
	v_xor_b32_e32 v69, vcc_lo, v69
	v_cmp_gt_i32_e32 vcc_lo, 0, v71
	v_not_b32_e32 v71, v72
	v_xor_b32_e32 v213, s17, v213
	v_cmp_gt_i32_e64 s17, 0, v72
	v_and_b32_e32 v69, exec_lo, v69
	v_not_b32_e32 v72, v74
	v_ashrrev_i32_e32 v71, 31, v71
	v_xor_b32_e32 v70, vcc_lo, v70
	v_cmp_gt_i32_e32 vcc_lo, 0, v74
	v_and_b32_e32 v69, v69, v213
	v_not_b32_e32 v74, v75
	v_ashrrev_i32_e32 v72, 31, v72
	v_xor_b32_e32 v71, s17, v71
	v_cmp_gt_i32_e64 s17, 0, v75
	v_and_b32_e32 v69, v69, v70
	v_not_b32_e32 v70, v212
	v_ashrrev_i32_e32 v74, 31, v74
	v_xor_b32_e32 v72, vcc_lo, v72
	v_cmp_gt_i32_e32 vcc_lo, 0, v212
	v_and_b32_e32 v69, v69, v71
	v_not_b32_e32 v71, v73
	v_ashrrev_i32_e32 v70, 31, v70
	v_xor_b32_e32 v74, s17, v74
	v_mul_u32_u24_e32 v68, 9, v68
	v_and_b32_e32 v69, v69, v72
	v_cmp_gt_i32_e64 s17, 0, v73
	v_ashrrev_i32_e32 v71, 31, v71
	v_xor_b32_e32 v70, vcc_lo, v70
	v_add_lshl_u32 v72, v68, v158, 2
	v_and_b32_e32 v69, v69, v74
	s_delay_alu instid0(VALU_DEP_4) | instskip(SKIP_3) | instid1(VALU_DEP_2)
	v_xor_b32_e32 v68, s17, v71
	ds_load_b32 v212, v72 offset:1056
	v_and_b32_e32 v69, v69, v70
	v_add_nc_u32_e32 v214, 0x420, v72
	; wave barrier
	v_and_b32_e32 v68, v69, v68
	s_delay_alu instid0(VALU_DEP_1) | instskip(SKIP_1) | instid1(VALU_DEP_2)
	v_mbcnt_lo_u32_b32 v213, v68, 0
	v_cmp_ne_u32_e64 s17, 0, v68
	v_cmp_eq_u32_e32 vcc_lo, 0, v213
	s_delay_alu instid0(VALU_DEP_2) | instskip(NEXT) | instid1(SALU_CYCLE_1)
	s_and_b32 s18, s17, vcc_lo
	s_and_saveexec_b32 s17, s18
	s_cbranch_execz .LBB1258_459
; %bb.458:                              ;   in Loop: Header=BB1258_397 Depth=2
	s_waitcnt lgkmcnt(0)
	v_bcnt_u32_b32 v68, v68, v212
	ds_store_b32 v214, v68
.LBB1258_459:                           ;   in Loop: Header=BB1258_397 Depth=2
	s_or_b32 exec_lo, exec_lo, s17
	v_cmp_lt_i64_e32 vcc_lo, -1, v[46:47]
	v_ashrrev_i32_e32 v69, 31, v47
	; wave barrier
	s_delay_alu instid0(VALU_DEP_1) | instskip(SKIP_1) | instid1(VALU_DEP_1)
	v_xor_b32_e32 v46, v69, v46
	v_cndmask_b32_e64 v68, -1, 0x80000000, vcc_lo
	v_xor_b32_e32 v47, v68, v47
	s_delay_alu instid0(VALU_DEP_1) | instskip(SKIP_2) | instid1(VALU_DEP_1)
	v_cmp_ne_u64_e32 vcc_lo, s[38:39], v[46:47]
	v_cndmask_b32_e32 v69, 0x80000000, v47, vcc_lo
	v_cndmask_b32_e32 v68, 0, v46, vcc_lo
	v_lshrrev_b64 v[68:69], s41, v[68:69]
	s_delay_alu instid0(VALU_DEP_1) | instskip(NEXT) | instid1(VALU_DEP_1)
	v_and_b32_e32 v68, s43, v68
	v_and_b32_e32 v69, 1, v68
	v_lshlrev_b32_e32 v70, 30, v68
	v_lshlrev_b32_e32 v71, 29, v68
	;; [unrolled: 1-line block ×4, first 2 shown]
	v_add_co_u32 v69, s17, v69, -1
	s_delay_alu instid0(VALU_DEP_1)
	v_cndmask_b32_e64 v73, 0, 1, s17
	v_not_b32_e32 v216, v70
	v_cmp_gt_i32_e64 s17, 0, v70
	v_not_b32_e32 v70, v71
	v_lshlrev_b32_e32 v75, 26, v68
	v_cmp_ne_u32_e32 vcc_lo, 0, v73
	v_ashrrev_i32_e32 v216, 31, v216
	v_lshlrev_b32_e32 v215, 25, v68
	v_ashrrev_i32_e32 v70, 31, v70
	v_lshlrev_b32_e32 v73, 24, v68
	v_xor_b32_e32 v69, vcc_lo, v69
	v_cmp_gt_i32_e32 vcc_lo, 0, v71
	v_not_b32_e32 v71, v72
	v_xor_b32_e32 v216, s17, v216
	v_cmp_gt_i32_e64 s17, 0, v72
	v_and_b32_e32 v69, exec_lo, v69
	v_not_b32_e32 v72, v74
	v_ashrrev_i32_e32 v71, 31, v71
	v_xor_b32_e32 v70, vcc_lo, v70
	v_cmp_gt_i32_e32 vcc_lo, 0, v74
	v_and_b32_e32 v69, v69, v216
	v_not_b32_e32 v74, v75
	v_ashrrev_i32_e32 v72, 31, v72
	v_xor_b32_e32 v71, s17, v71
	v_cmp_gt_i32_e64 s17, 0, v75
	v_and_b32_e32 v69, v69, v70
	v_not_b32_e32 v70, v215
	v_ashrrev_i32_e32 v74, 31, v74
	v_xor_b32_e32 v72, vcc_lo, v72
	v_cmp_gt_i32_e32 vcc_lo, 0, v215
	v_and_b32_e32 v69, v69, v71
	v_not_b32_e32 v71, v73
	v_ashrrev_i32_e32 v70, 31, v70
	v_xor_b32_e32 v74, s17, v74
	v_mul_u32_u24_e32 v68, 9, v68
	v_and_b32_e32 v69, v69, v72
	v_cmp_gt_i32_e64 s17, 0, v73
	v_ashrrev_i32_e32 v71, 31, v71
	v_xor_b32_e32 v70, vcc_lo, v70
	v_add_lshl_u32 v72, v68, v158, 2
	v_and_b32_e32 v69, v69, v74
	s_delay_alu instid0(VALU_DEP_4) | instskip(SKIP_3) | instid1(VALU_DEP_2)
	v_xor_b32_e32 v68, s17, v71
	ds_load_b32 v215, v72 offset:1056
	v_and_b32_e32 v69, v69, v70
	v_add_nc_u32_e32 v217, 0x420, v72
	; wave barrier
	v_and_b32_e32 v68, v69, v68
	s_delay_alu instid0(VALU_DEP_1) | instskip(SKIP_1) | instid1(VALU_DEP_2)
	v_mbcnt_lo_u32_b32 v216, v68, 0
	v_cmp_ne_u32_e64 s17, 0, v68
	v_cmp_eq_u32_e32 vcc_lo, 0, v216
	s_delay_alu instid0(VALU_DEP_2) | instskip(NEXT) | instid1(SALU_CYCLE_1)
	s_and_b32 s18, s17, vcc_lo
	s_and_saveexec_b32 s17, s18
	s_cbranch_execz .LBB1258_461
; %bb.460:                              ;   in Loop: Header=BB1258_397 Depth=2
	s_waitcnt lgkmcnt(0)
	v_bcnt_u32_b32 v68, v68, v215
	ds_store_b32 v217, v68
.LBB1258_461:                           ;   in Loop: Header=BB1258_397 Depth=2
	s_or_b32 exec_lo, exec_lo, s17
	v_cmp_lt_i64_e32 vcc_lo, -1, v[40:41]
	v_ashrrev_i32_e32 v69, 31, v41
	; wave barrier
	s_delay_alu instid0(VALU_DEP_1) | instskip(SKIP_1) | instid1(VALU_DEP_1)
	v_xor_b32_e32 v40, v69, v40
	v_cndmask_b32_e64 v68, -1, 0x80000000, vcc_lo
	v_xor_b32_e32 v41, v68, v41
	s_delay_alu instid0(VALU_DEP_1) | instskip(SKIP_2) | instid1(VALU_DEP_1)
	v_cmp_ne_u64_e32 vcc_lo, s[38:39], v[40:41]
	v_cndmask_b32_e32 v69, 0x80000000, v41, vcc_lo
	v_cndmask_b32_e32 v68, 0, v40, vcc_lo
	v_lshrrev_b64 v[68:69], s41, v[68:69]
	s_delay_alu instid0(VALU_DEP_1) | instskip(NEXT) | instid1(VALU_DEP_1)
	v_and_b32_e32 v68, s43, v68
	v_and_b32_e32 v69, 1, v68
	v_lshlrev_b32_e32 v70, 30, v68
	v_lshlrev_b32_e32 v71, 29, v68
	;; [unrolled: 1-line block ×4, first 2 shown]
	v_add_co_u32 v69, s17, v69, -1
	s_delay_alu instid0(VALU_DEP_1)
	v_cndmask_b32_e64 v73, 0, 1, s17
	v_not_b32_e32 v219, v70
	v_cmp_gt_i32_e64 s17, 0, v70
	v_not_b32_e32 v70, v71
	v_lshlrev_b32_e32 v75, 26, v68
	v_cmp_ne_u32_e32 vcc_lo, 0, v73
	v_ashrrev_i32_e32 v219, 31, v219
	v_lshlrev_b32_e32 v218, 25, v68
	v_ashrrev_i32_e32 v70, 31, v70
	v_lshlrev_b32_e32 v73, 24, v68
	v_xor_b32_e32 v69, vcc_lo, v69
	v_cmp_gt_i32_e32 vcc_lo, 0, v71
	v_not_b32_e32 v71, v72
	v_xor_b32_e32 v219, s17, v219
	v_cmp_gt_i32_e64 s17, 0, v72
	v_and_b32_e32 v69, exec_lo, v69
	v_not_b32_e32 v72, v74
	v_ashrrev_i32_e32 v71, 31, v71
	v_xor_b32_e32 v70, vcc_lo, v70
	v_cmp_gt_i32_e32 vcc_lo, 0, v74
	v_and_b32_e32 v69, v69, v219
	v_not_b32_e32 v74, v75
	v_ashrrev_i32_e32 v72, 31, v72
	v_xor_b32_e32 v71, s17, v71
	v_cmp_gt_i32_e64 s17, 0, v75
	v_and_b32_e32 v69, v69, v70
	v_not_b32_e32 v70, v218
	v_ashrrev_i32_e32 v74, 31, v74
	v_xor_b32_e32 v72, vcc_lo, v72
	v_cmp_gt_i32_e32 vcc_lo, 0, v218
	v_and_b32_e32 v69, v69, v71
	v_not_b32_e32 v71, v73
	v_ashrrev_i32_e32 v70, 31, v70
	v_xor_b32_e32 v74, s17, v74
	v_mul_u32_u24_e32 v68, 9, v68
	v_and_b32_e32 v69, v69, v72
	v_cmp_gt_i32_e64 s17, 0, v73
	v_ashrrev_i32_e32 v71, 31, v71
	v_xor_b32_e32 v70, vcc_lo, v70
	v_add_lshl_u32 v72, v68, v158, 2
	v_and_b32_e32 v69, v69, v74
	s_delay_alu instid0(VALU_DEP_4) | instskip(SKIP_3) | instid1(VALU_DEP_2)
	v_xor_b32_e32 v68, s17, v71
	ds_load_b32 v218, v72 offset:1056
	v_and_b32_e32 v69, v69, v70
	v_add_nc_u32_e32 v220, 0x420, v72
	; wave barrier
	v_and_b32_e32 v68, v69, v68
	s_delay_alu instid0(VALU_DEP_1) | instskip(SKIP_1) | instid1(VALU_DEP_2)
	v_mbcnt_lo_u32_b32 v219, v68, 0
	v_cmp_ne_u32_e64 s17, 0, v68
	v_cmp_eq_u32_e32 vcc_lo, 0, v219
	s_delay_alu instid0(VALU_DEP_2) | instskip(NEXT) | instid1(SALU_CYCLE_1)
	s_and_b32 s18, s17, vcc_lo
	s_and_saveexec_b32 s17, s18
	s_cbranch_execz .LBB1258_463
; %bb.462:                              ;   in Loop: Header=BB1258_397 Depth=2
	s_waitcnt lgkmcnt(0)
	v_bcnt_u32_b32 v68, v68, v218
	ds_store_b32 v220, v68
.LBB1258_463:                           ;   in Loop: Header=BB1258_397 Depth=2
	s_or_b32 exec_lo, exec_lo, s17
	v_cmp_lt_i64_e32 vcc_lo, -1, v[42:43]
	v_ashrrev_i32_e32 v69, 31, v43
	; wave barrier
	s_delay_alu instid0(VALU_DEP_1) | instskip(SKIP_1) | instid1(VALU_DEP_1)
	v_xor_b32_e32 v42, v69, v42
	v_cndmask_b32_e64 v68, -1, 0x80000000, vcc_lo
	v_xor_b32_e32 v43, v68, v43
	s_delay_alu instid0(VALU_DEP_1) | instskip(SKIP_2) | instid1(VALU_DEP_1)
	v_cmp_ne_u64_e32 vcc_lo, s[38:39], v[42:43]
	v_cndmask_b32_e32 v69, 0x80000000, v43, vcc_lo
	v_cndmask_b32_e32 v68, 0, v42, vcc_lo
	v_lshrrev_b64 v[68:69], s41, v[68:69]
	s_delay_alu instid0(VALU_DEP_1) | instskip(NEXT) | instid1(VALU_DEP_1)
	v_and_b32_e32 v68, s43, v68
	v_and_b32_e32 v69, 1, v68
	v_lshlrev_b32_e32 v70, 30, v68
	v_lshlrev_b32_e32 v71, 29, v68
	;; [unrolled: 1-line block ×4, first 2 shown]
	v_add_co_u32 v69, s17, v69, -1
	s_delay_alu instid0(VALU_DEP_1)
	v_cndmask_b32_e64 v73, 0, 1, s17
	v_not_b32_e32 v222, v70
	v_cmp_gt_i32_e64 s17, 0, v70
	v_not_b32_e32 v70, v71
	v_lshlrev_b32_e32 v75, 26, v68
	v_cmp_ne_u32_e32 vcc_lo, 0, v73
	v_ashrrev_i32_e32 v222, 31, v222
	v_lshlrev_b32_e32 v221, 25, v68
	v_ashrrev_i32_e32 v70, 31, v70
	v_lshlrev_b32_e32 v73, 24, v68
	v_xor_b32_e32 v69, vcc_lo, v69
	v_cmp_gt_i32_e32 vcc_lo, 0, v71
	v_not_b32_e32 v71, v72
	v_xor_b32_e32 v222, s17, v222
	v_cmp_gt_i32_e64 s17, 0, v72
	v_and_b32_e32 v69, exec_lo, v69
	v_not_b32_e32 v72, v74
	v_ashrrev_i32_e32 v71, 31, v71
	v_xor_b32_e32 v70, vcc_lo, v70
	v_cmp_gt_i32_e32 vcc_lo, 0, v74
	v_and_b32_e32 v69, v69, v222
	v_not_b32_e32 v74, v75
	v_ashrrev_i32_e32 v72, 31, v72
	v_xor_b32_e32 v71, s17, v71
	v_cmp_gt_i32_e64 s17, 0, v75
	v_and_b32_e32 v69, v69, v70
	v_not_b32_e32 v70, v221
	v_ashrrev_i32_e32 v74, 31, v74
	v_xor_b32_e32 v72, vcc_lo, v72
	v_cmp_gt_i32_e32 vcc_lo, 0, v221
	v_and_b32_e32 v69, v69, v71
	v_not_b32_e32 v71, v73
	v_ashrrev_i32_e32 v70, 31, v70
	v_xor_b32_e32 v74, s17, v74
	v_mul_u32_u24_e32 v68, 9, v68
	v_and_b32_e32 v69, v69, v72
	v_cmp_gt_i32_e64 s17, 0, v73
	v_ashrrev_i32_e32 v71, 31, v71
	v_xor_b32_e32 v70, vcc_lo, v70
	v_add_lshl_u32 v72, v68, v158, 2
	v_and_b32_e32 v69, v69, v74
	s_delay_alu instid0(VALU_DEP_4) | instskip(SKIP_3) | instid1(VALU_DEP_2)
	v_xor_b32_e32 v68, s17, v71
	ds_load_b32 v221, v72 offset:1056
	v_and_b32_e32 v69, v69, v70
	v_add_nc_u32_e32 v223, 0x420, v72
	; wave barrier
	v_and_b32_e32 v68, v69, v68
	s_delay_alu instid0(VALU_DEP_1) | instskip(SKIP_1) | instid1(VALU_DEP_2)
	v_mbcnt_lo_u32_b32 v222, v68, 0
	v_cmp_ne_u32_e64 s17, 0, v68
	v_cmp_eq_u32_e32 vcc_lo, 0, v222
	s_delay_alu instid0(VALU_DEP_2) | instskip(NEXT) | instid1(SALU_CYCLE_1)
	s_and_b32 s18, s17, vcc_lo
	s_and_saveexec_b32 s17, s18
	s_cbranch_execz .LBB1258_465
; %bb.464:                              ;   in Loop: Header=BB1258_397 Depth=2
	s_waitcnt lgkmcnt(0)
	v_bcnt_u32_b32 v68, v68, v221
	ds_store_b32 v223, v68
.LBB1258_465:                           ;   in Loop: Header=BB1258_397 Depth=2
	s_or_b32 exec_lo, exec_lo, s17
	; wave barrier
	s_waitcnt lgkmcnt(0)
	s_barrier
	buffer_gl0_inv
	ds_load_b32 v224, v102 offset:1056
	ds_load_2addr_b32 v[74:75], v103 offset0:1 offset1:2
	ds_load_2addr_b32 v[72:73], v103 offset0:3 offset1:4
	;; [unrolled: 1-line block ×4, first 2 shown]
	s_waitcnt lgkmcnt(3)
	v_add3_u32 v225, v74, v224, v75
	s_waitcnt lgkmcnt(2)
	s_delay_alu instid0(VALU_DEP_1) | instskip(SKIP_1) | instid1(VALU_DEP_1)
	v_add3_u32 v225, v225, v72, v73
	s_waitcnt lgkmcnt(1)
	v_add3_u32 v225, v225, v68, v69
	s_waitcnt lgkmcnt(0)
	s_delay_alu instid0(VALU_DEP_1) | instskip(NEXT) | instid1(VALU_DEP_1)
	v_add3_u32 v71, v225, v70, v71
	v_mov_b32_dpp v225, v71 row_shr:1 row_mask:0xf bank_mask:0xf
	s_delay_alu instid0(VALU_DEP_1) | instskip(NEXT) | instid1(VALU_DEP_1)
	v_cndmask_b32_e64 v225, v225, 0, s1
	v_add_nc_u32_e32 v71, v225, v71
	s_delay_alu instid0(VALU_DEP_1) | instskip(NEXT) | instid1(VALU_DEP_1)
	v_mov_b32_dpp v225, v71 row_shr:2 row_mask:0xf bank_mask:0xf
	v_cndmask_b32_e64 v225, 0, v225, s7
	s_delay_alu instid0(VALU_DEP_1) | instskip(NEXT) | instid1(VALU_DEP_1)
	v_add_nc_u32_e32 v71, v71, v225
	v_mov_b32_dpp v225, v71 row_shr:4 row_mask:0xf bank_mask:0xf
	s_delay_alu instid0(VALU_DEP_1) | instskip(NEXT) | instid1(VALU_DEP_1)
	v_cndmask_b32_e64 v225, 0, v225, s8
	v_add_nc_u32_e32 v71, v71, v225
	s_delay_alu instid0(VALU_DEP_1) | instskip(NEXT) | instid1(VALU_DEP_1)
	v_mov_b32_dpp v225, v71 row_shr:8 row_mask:0xf bank_mask:0xf
	v_cndmask_b32_e64 v225, 0, v225, s9
	s_delay_alu instid0(VALU_DEP_1) | instskip(SKIP_3) | instid1(VALU_DEP_1)
	v_add_nc_u32_e32 v71, v71, v225
	ds_swizzle_b32 v225, v71 offset:swizzle(BROADCAST,32,15)
	s_waitcnt lgkmcnt(0)
	v_cndmask_b32_e64 v225, v225, 0, s10
	v_add_nc_u32_e32 v71, v71, v225
	s_and_saveexec_b32 s17, s3
	s_cbranch_execz .LBB1258_467
; %bb.466:                              ;   in Loop: Header=BB1258_397 Depth=2
	ds_store_b32 v94, v71 offset:1024
.LBB1258_467:                           ;   in Loop: Header=BB1258_397 Depth=2
	s_or_b32 exec_lo, exec_lo, s17
	s_waitcnt lgkmcnt(0)
	s_barrier
	buffer_gl0_inv
	s_and_saveexec_b32 s17, s4
	s_cbranch_execz .LBB1258_469
; %bb.468:                              ;   in Loop: Header=BB1258_397 Depth=2
	ds_load_b32 v225, v104 offset:1024
	s_waitcnt lgkmcnt(0)
	v_mov_b32_dpp v226, v225 row_shr:1 row_mask:0xf bank_mask:0xf
	s_delay_alu instid0(VALU_DEP_1) | instskip(NEXT) | instid1(VALU_DEP_1)
	v_cndmask_b32_e64 v226, v226, 0, s12
	v_add_nc_u32_e32 v225, v226, v225
	s_delay_alu instid0(VALU_DEP_1) | instskip(NEXT) | instid1(VALU_DEP_1)
	v_mov_b32_dpp v226, v225 row_shr:2 row_mask:0xf bank_mask:0xf
	v_cndmask_b32_e64 v226, 0, v226, s13
	s_delay_alu instid0(VALU_DEP_1) | instskip(NEXT) | instid1(VALU_DEP_1)
	v_add_nc_u32_e32 v225, v225, v226
	v_mov_b32_dpp v226, v225 row_shr:4 row_mask:0xf bank_mask:0xf
	s_delay_alu instid0(VALU_DEP_1) | instskip(NEXT) | instid1(VALU_DEP_1)
	v_cndmask_b32_e64 v226, 0, v226, s16
	v_add_nc_u32_e32 v225, v225, v226
	ds_store_b32 v104, v225 offset:1024
.LBB1258_469:                           ;   in Loop: Header=BB1258_397 Depth=2
	s_or_b32 exec_lo, exec_lo, s17
	v_mov_b32_e32 v225, 0
	s_waitcnt lgkmcnt(0)
	s_barrier
	buffer_gl0_inv
	s_and_saveexec_b32 s17, s5
	s_cbranch_execz .LBB1258_471
; %bb.470:                              ;   in Loop: Header=BB1258_397 Depth=2
	ds_load_b32 v225, v94 offset:1020
.LBB1258_471:                           ;   in Loop: Header=BB1258_397 Depth=2
	s_or_b32 exec_lo, exec_lo, s17
	s_waitcnt lgkmcnt(0)
	v_add_nc_u32_e32 v71, v225, v71
	ds_bpermute_b32 v71, v137, v71
	s_waitcnt lgkmcnt(0)
	v_cndmask_b32_e64 v71, v71, v225, s11
	s_delay_alu instid0(VALU_DEP_1) | instskip(NEXT) | instid1(VALU_DEP_1)
	v_cndmask_b32_e64 v71, v71, 0, s0
	v_add_nc_u32_e32 v224, v71, v224
	s_delay_alu instid0(VALU_DEP_1) | instskip(NEXT) | instid1(VALU_DEP_1)
	v_add_nc_u32_e32 v74, v224, v74
	v_add_nc_u32_e32 v75, v74, v75
	s_delay_alu instid0(VALU_DEP_1) | instskip(NEXT) | instid1(VALU_DEP_1)
	v_add_nc_u32_e32 v72, v75, v72
	;; [unrolled: 3-line block ×3, first 2 shown]
	v_add_nc_u32_e32 v69, v68, v69
	s_delay_alu instid0(VALU_DEP_1)
	v_add_nc_u32_e32 v70, v69, v70
	ds_store_b32 v102, v71 offset:1056
	ds_store_2addr_b32 v103, v224, v74 offset0:1 offset1:2
	ds_store_2addr_b32 v103, v75, v72 offset0:3 offset1:4
	;; [unrolled: 1-line block ×4, first 2 shown]
	v_mov_b32_e32 v68, 0x1000
	s_waitcnt lgkmcnt(0)
	s_barrier
	buffer_gl0_inv
	ds_load_b32 v70, v181
	ds_load_b32 v71, v184
	;; [unrolled: 1-line block ×16, first 2 shown]
	ds_load_b32 v178, v102 offset:1056
	s_and_saveexec_b32 s17, s6
	s_cbranch_execz .LBB1258_473
; %bb.472:                              ;   in Loop: Header=BB1258_397 Depth=2
	ds_load_b32 v68, v105 offset:1056
.LBB1258_473:                           ;   in Loop: Header=BB1258_397 Depth=2
	s_or_b32 exec_lo, exec_lo, s17
	s_waitcnt lgkmcnt(0)
	s_barrier
	buffer_gl0_inv
	s_and_saveexec_b32 s17, s2
	s_cbranch_execz .LBB1258_475
; %bb.474:                              ;   in Loop: Header=BB1258_397 Depth=2
	ds_load_b32 v202, v76
	s_waitcnt lgkmcnt(0)
	v_sub_nc_u32_e32 v178, v202, v178
	ds_store_b32 v76, v178
.LBB1258_475:                           ;   in Loop: Header=BB1258_397 Depth=2
	s_or_b32 exec_lo, exec_lo, s17
	v_add_nc_u32_e32 v179, v180, v179
	v_add_lshl_u32 v69, v69, v2, 3
	v_add_nc_u32_e32 v2, v183, v182
	v_add_nc_u32_e32 v180, v186, v185
	v_add_nc_u32_e32 v182, v189, v188
	v_add_nc_u32_e32 v209, v210, v209
	v_add_nc_u32_e32 v206, v207, v206
	v_add_nc_u32_e32 v197, v198, v197
	v_add_nc_u32_e32 v194, v195, v194
	v_add_nc_u32_e32 v191, v192, v191
	v_add_lshl_u32 v70, v179, v70, 3
	v_add_lshl_u32 v71, v2, v71, 3
	v_add_nc_u32_e32 v200, v201, v200
	v_add_lshl_u32 v72, v180, v72, 3
	v_add_nc_u32_e32 v203, v204, v203
	;; [unrolled: 2-line block ×3, first 2 shown]
	v_add_nc_u32_e32 v202, v219, v218
	v_add_nc_u32_e32 v205, v216, v215
	;; [unrolled: 1-line block ×3, first 2 shown]
	ds_store_b64 v69, v[36:37] offset:1024
	ds_store_b64 v70, v[38:39] offset:1024
	v_add_lshl_u32 v38, v191, v225, 3
	ds_store_b64 v71, v[44:45] offset:1024
	ds_store_b64 v72, v[48:49] offset:1024
	;; [unrolled: 1-line block ×3, first 2 shown]
	v_add_lshl_u32 v39, v194, v224, 3
	v_add_lshl_u32 v44, v197, v199, 3
	;; [unrolled: 1-line block ×6, first 2 shown]
	ds_store_b64 v38, v[58:59] offset:1024
	ds_store_b64 v39, v[62:63] offset:1024
	;; [unrolled: 1-line block ×6, first 2 shown]
	v_add_lshl_u32 v53, v208, v184, 3
	v_add_lshl_u32 v56, v205, v181, 3
	;; [unrolled: 1-line block ×3, first 2 shown]
	ds_store_b64 v52, v[54:55] offset:1024
	v_add_lshl_u32 v54, v178, v74, 3
	v_cmp_lt_u32_e32 vcc_lo, v1, v177
	ds_store_b64 v53, v[50:51] offset:1024
	ds_store_b64 v56, v[46:47] offset:1024
	;; [unrolled: 1-line block ×4, first 2 shown]
	s_waitcnt lgkmcnt(0)
	s_barrier
	buffer_gl0_inv
	s_and_saveexec_b32 s18, vcc_lo
	s_cbranch_execz .LBB1258_491
; %bb.476:                              ;   in Loop: Header=BB1258_397 Depth=2
	v_add_nc_u32_e32 v2, v104, v76
	ds_load_b64 v[36:37], v2 offset:1024
	s_waitcnt lgkmcnt(0)
	v_cmp_ne_u64_e64 s17, s[38:39], v[36:37]
	s_delay_alu instid0(VALU_DEP_1) | instskip(SKIP_2) | instid1(VALU_DEP_2)
	v_cndmask_b32_e64 v41, 0x80000000, v37, s17
	v_cndmask_b32_e64 v40, 0, v36, s17
	v_cmp_lt_i64_e64 s17, -1, v[36:37]
	v_lshrrev_b64 v[40:41], s41, v[40:41]
	s_delay_alu instid0(VALU_DEP_2) | instskip(NEXT) | instid1(VALU_DEP_2)
	v_cndmask_b32_e64 v42, 0x80000000, -1, s17
	v_and_b32_e32 v2, s43, v40
	v_ashrrev_i32_e32 v40, 31, v37
	s_delay_alu instid0(VALU_DEP_3) | instskip(NEXT) | instid1(VALU_DEP_3)
	v_xor_b32_e32 v37, v42, v37
	v_lshlrev_b32_e32 v2, 2, v2
	s_delay_alu instid0(VALU_DEP_3) | instskip(SKIP_4) | instid1(VALU_DEP_1)
	v_not_b32_e32 v43, v40
	ds_load_b32 v2, v2
	v_xor_b32_e32 v36, v43, v36
	s_waitcnt lgkmcnt(0)
	v_add_nc_u32_e32 v2, v2, v1
	v_lshlrev_b64 v[40:41], 3, v[2:3]
	s_delay_alu instid0(VALU_DEP_1) | instskip(NEXT) | instid1(VALU_DEP_1)
	v_add_co_u32 v40, s17, s48, v40
	v_add_co_ci_u32_e64 v41, s17, s49, v41, s17
	global_store_b64 v[40:41], v[36:37], off
	s_or_b32 exec_lo, exec_lo, s18
	v_cmp_lt_u32_e64 s17, v77, v177
	s_delay_alu instid0(VALU_DEP_1)
	s_and_saveexec_b32 s19, s17
	s_cbranch_execnz .LBB1258_492
.LBB1258_477:                           ;   in Loop: Header=BB1258_397 Depth=2
	s_or_b32 exec_lo, exec_lo, s19
	v_cmp_lt_u32_e64 s18, v78, v177
	s_delay_alu instid0(VALU_DEP_1)
	s_and_saveexec_b32 s20, s18
	s_cbranch_execz .LBB1258_493
.LBB1258_478:                           ;   in Loop: Header=BB1258_397 Depth=2
	ds_load_b64 v[36:37], v110 offset:4096
	s_waitcnt lgkmcnt(0)
	v_cmp_ne_u64_e64 s19, s[38:39], v[36:37]
	s_delay_alu instid0(VALU_DEP_1) | instskip(SKIP_2) | instid1(VALU_DEP_2)
	v_cndmask_b32_e64 v41, 0x80000000, v37, s19
	v_cndmask_b32_e64 v40, 0, v36, s19
	v_cmp_lt_i64_e64 s19, -1, v[36:37]
	v_lshrrev_b64 v[40:41], s41, v[40:41]
	s_delay_alu instid0(VALU_DEP_2) | instskip(NEXT) | instid1(VALU_DEP_2)
	v_cndmask_b32_e64 v42, 0x80000000, -1, s19
	v_and_b32_e32 v2, s43, v40
	v_ashrrev_i32_e32 v40, 31, v37
	s_delay_alu instid0(VALU_DEP_3) | instskip(NEXT) | instid1(VALU_DEP_3)
	v_xor_b32_e32 v37, v42, v37
	v_lshlrev_b32_e32 v2, 2, v2
	s_delay_alu instid0(VALU_DEP_3) | instskip(SKIP_4) | instid1(VALU_DEP_1)
	v_not_b32_e32 v43, v40
	ds_load_b32 v2, v2
	v_xor_b32_e32 v36, v43, v36
	s_waitcnt lgkmcnt(0)
	v_add_nc_u32_e32 v2, v2, v78
	v_lshlrev_b64 v[40:41], 3, v[2:3]
	s_delay_alu instid0(VALU_DEP_1) | instskip(NEXT) | instid1(VALU_DEP_1)
	v_add_co_u32 v40, s19, s48, v40
	v_add_co_ci_u32_e64 v41, s19, s49, v41, s19
	global_store_b64 v[40:41], v[36:37], off
	s_or_b32 exec_lo, exec_lo, s20
	v_cmp_lt_u32_e64 s19, v79, v177
	s_delay_alu instid0(VALU_DEP_1)
	s_and_saveexec_b32 s21, s19
	s_cbranch_execnz .LBB1258_494
.LBB1258_479:                           ;   in Loop: Header=BB1258_397 Depth=2
	s_or_b32 exec_lo, exec_lo, s21
	v_cmp_lt_u32_e64 s20, v83, v177
	s_delay_alu instid0(VALU_DEP_1)
	s_and_saveexec_b32 s22, s20
	s_cbranch_execz .LBB1258_495
.LBB1258_480:                           ;   in Loop: Header=BB1258_397 Depth=2
	ds_load_b64 v[36:37], v110 offset:8192
	s_waitcnt lgkmcnt(0)
	v_cmp_ne_u64_e64 s21, s[38:39], v[36:37]
	s_delay_alu instid0(VALU_DEP_1) | instskip(SKIP_2) | instid1(VALU_DEP_2)
	v_cndmask_b32_e64 v41, 0x80000000, v37, s21
	v_cndmask_b32_e64 v40, 0, v36, s21
	v_cmp_lt_i64_e64 s21, -1, v[36:37]
	v_lshrrev_b64 v[40:41], s41, v[40:41]
	s_delay_alu instid0(VALU_DEP_2) | instskip(NEXT) | instid1(VALU_DEP_2)
	v_cndmask_b32_e64 v42, 0x80000000, -1, s21
	v_and_b32_e32 v2, s43, v40
	v_ashrrev_i32_e32 v40, 31, v37
	s_delay_alu instid0(VALU_DEP_3) | instskip(NEXT) | instid1(VALU_DEP_3)
	v_xor_b32_e32 v37, v42, v37
	v_lshlrev_b32_e32 v2, 2, v2
	s_delay_alu instid0(VALU_DEP_3) | instskip(SKIP_4) | instid1(VALU_DEP_1)
	v_not_b32_e32 v43, v40
	ds_load_b32 v2, v2
	v_xor_b32_e32 v36, v43, v36
	s_waitcnt lgkmcnt(0)
	v_add_nc_u32_e32 v2, v2, v83
	v_lshlrev_b64 v[40:41], 3, v[2:3]
	s_delay_alu instid0(VALU_DEP_1) | instskip(NEXT) | instid1(VALU_DEP_1)
	v_add_co_u32 v40, s21, s48, v40
	v_add_co_ci_u32_e64 v41, s21, s49, v41, s21
	global_store_b64 v[40:41], v[36:37], off
	s_or_b32 exec_lo, exec_lo, s22
	v_cmp_lt_u32_e64 s21, v84, v177
	s_delay_alu instid0(VALU_DEP_1)
	s_and_saveexec_b32 s23, s21
	s_cbranch_execnz .LBB1258_496
.LBB1258_481:                           ;   in Loop: Header=BB1258_397 Depth=2
	s_or_b32 exec_lo, exec_lo, s23
	v_cmp_lt_u32_e64 s22, v85, v177
	s_delay_alu instid0(VALU_DEP_1)
	s_and_saveexec_b32 s24, s22
	s_cbranch_execz .LBB1258_497
.LBB1258_482:                           ;   in Loop: Header=BB1258_397 Depth=2
	ds_load_b64 v[36:37], v110 offset:12288
	s_waitcnt lgkmcnt(0)
	v_cmp_ne_u64_e64 s23, s[38:39], v[36:37]
	s_delay_alu instid0(VALU_DEP_1) | instskip(SKIP_2) | instid1(VALU_DEP_2)
	v_cndmask_b32_e64 v41, 0x80000000, v37, s23
	v_cndmask_b32_e64 v40, 0, v36, s23
	v_cmp_lt_i64_e64 s23, -1, v[36:37]
	v_lshrrev_b64 v[40:41], s41, v[40:41]
	s_delay_alu instid0(VALU_DEP_2) | instskip(NEXT) | instid1(VALU_DEP_2)
	v_cndmask_b32_e64 v42, 0x80000000, -1, s23
	v_and_b32_e32 v2, s43, v40
	v_ashrrev_i32_e32 v40, 31, v37
	s_delay_alu instid0(VALU_DEP_3) | instskip(NEXT) | instid1(VALU_DEP_3)
	v_xor_b32_e32 v37, v42, v37
	v_lshlrev_b32_e32 v2, 2, v2
	s_delay_alu instid0(VALU_DEP_3) | instskip(SKIP_4) | instid1(VALU_DEP_1)
	v_not_b32_e32 v43, v40
	ds_load_b32 v2, v2
	v_xor_b32_e32 v36, v43, v36
	s_waitcnt lgkmcnt(0)
	v_add_nc_u32_e32 v2, v2, v85
	v_lshlrev_b64 v[40:41], 3, v[2:3]
	s_delay_alu instid0(VALU_DEP_1) | instskip(NEXT) | instid1(VALU_DEP_1)
	v_add_co_u32 v40, s23, s48, v40
	v_add_co_ci_u32_e64 v41, s23, s49, v41, s23
	global_store_b64 v[40:41], v[36:37], off
	s_or_b32 exec_lo, exec_lo, s24
	v_cmp_lt_u32_e64 s23, v86, v177
	s_delay_alu instid0(VALU_DEP_1)
	s_and_saveexec_b32 s25, s23
	s_cbranch_execnz .LBB1258_498
.LBB1258_483:                           ;   in Loop: Header=BB1258_397 Depth=2
	s_or_b32 exec_lo, exec_lo, s25
	v_cmp_lt_u32_e64 s24, v87, v177
	s_delay_alu instid0(VALU_DEP_1)
	s_and_saveexec_b32 s26, s24
	s_cbranch_execz .LBB1258_499
.LBB1258_484:                           ;   in Loop: Header=BB1258_397 Depth=2
	ds_load_b64 v[36:37], v110 offset:16384
	s_waitcnt lgkmcnt(0)
	v_cmp_ne_u64_e64 s25, s[38:39], v[36:37]
	s_delay_alu instid0(VALU_DEP_1) | instskip(SKIP_2) | instid1(VALU_DEP_2)
	v_cndmask_b32_e64 v41, 0x80000000, v37, s25
	v_cndmask_b32_e64 v40, 0, v36, s25
	v_cmp_lt_i64_e64 s25, -1, v[36:37]
	v_lshrrev_b64 v[40:41], s41, v[40:41]
	s_delay_alu instid0(VALU_DEP_2) | instskip(NEXT) | instid1(VALU_DEP_2)
	v_cndmask_b32_e64 v42, 0x80000000, -1, s25
	v_and_b32_e32 v2, s43, v40
	v_ashrrev_i32_e32 v40, 31, v37
	s_delay_alu instid0(VALU_DEP_3) | instskip(NEXT) | instid1(VALU_DEP_3)
	v_xor_b32_e32 v37, v42, v37
	v_lshlrev_b32_e32 v2, 2, v2
	s_delay_alu instid0(VALU_DEP_3) | instskip(SKIP_4) | instid1(VALU_DEP_1)
	v_not_b32_e32 v43, v40
	ds_load_b32 v2, v2
	v_xor_b32_e32 v36, v43, v36
	s_waitcnt lgkmcnt(0)
	v_add_nc_u32_e32 v2, v2, v87
	v_lshlrev_b64 v[40:41], 3, v[2:3]
	s_delay_alu instid0(VALU_DEP_1) | instskip(NEXT) | instid1(VALU_DEP_1)
	v_add_co_u32 v40, s25, s48, v40
	v_add_co_ci_u32_e64 v41, s25, s49, v41, s25
	global_store_b64 v[40:41], v[36:37], off
	s_or_b32 exec_lo, exec_lo, s26
	v_cmp_lt_u32_e64 s25, v88, v177
	s_delay_alu instid0(VALU_DEP_1)
	s_and_saveexec_b32 s27, s25
	s_cbranch_execnz .LBB1258_500
.LBB1258_485:                           ;   in Loop: Header=BB1258_397 Depth=2
	s_or_b32 exec_lo, exec_lo, s27
	v_cmp_lt_u32_e64 s26, v89, v177
	s_delay_alu instid0(VALU_DEP_1)
	s_and_saveexec_b32 s28, s26
	s_cbranch_execz .LBB1258_501
.LBB1258_486:                           ;   in Loop: Header=BB1258_397 Depth=2
	ds_load_b64 v[36:37], v110 offset:20480
	s_waitcnt lgkmcnt(0)
	v_cmp_ne_u64_e64 s27, s[38:39], v[36:37]
	s_delay_alu instid0(VALU_DEP_1) | instskip(SKIP_2) | instid1(VALU_DEP_2)
	v_cndmask_b32_e64 v41, 0x80000000, v37, s27
	v_cndmask_b32_e64 v40, 0, v36, s27
	v_cmp_lt_i64_e64 s27, -1, v[36:37]
	v_lshrrev_b64 v[40:41], s41, v[40:41]
	s_delay_alu instid0(VALU_DEP_2) | instskip(NEXT) | instid1(VALU_DEP_2)
	v_cndmask_b32_e64 v42, 0x80000000, -1, s27
	v_and_b32_e32 v2, s43, v40
	v_ashrrev_i32_e32 v40, 31, v37
	s_delay_alu instid0(VALU_DEP_3) | instskip(NEXT) | instid1(VALU_DEP_3)
	v_xor_b32_e32 v37, v42, v37
	v_lshlrev_b32_e32 v2, 2, v2
	s_delay_alu instid0(VALU_DEP_3) | instskip(SKIP_4) | instid1(VALU_DEP_1)
	v_not_b32_e32 v43, v40
	ds_load_b32 v2, v2
	v_xor_b32_e32 v36, v43, v36
	s_waitcnt lgkmcnt(0)
	v_add_nc_u32_e32 v2, v2, v89
	v_lshlrev_b64 v[40:41], 3, v[2:3]
	s_delay_alu instid0(VALU_DEP_1) | instskip(NEXT) | instid1(VALU_DEP_1)
	v_add_co_u32 v40, s27, s48, v40
	v_add_co_ci_u32_e64 v41, s27, s49, v41, s27
	global_store_b64 v[40:41], v[36:37], off
	s_or_b32 exec_lo, exec_lo, s28
	v_cmp_lt_u32_e64 s27, v90, v177
	s_delay_alu instid0(VALU_DEP_1)
	s_and_saveexec_b32 s29, s27
	s_cbranch_execnz .LBB1258_502
.LBB1258_487:                           ;   in Loop: Header=BB1258_397 Depth=2
	s_or_b32 exec_lo, exec_lo, s29
	v_cmp_lt_u32_e64 s28, v91, v177
	s_delay_alu instid0(VALU_DEP_1)
	s_and_saveexec_b32 s30, s28
	s_cbranch_execz .LBB1258_503
.LBB1258_488:                           ;   in Loop: Header=BB1258_397 Depth=2
	ds_load_b64 v[36:37], v110 offset:24576
	s_waitcnt lgkmcnt(0)
	v_cmp_ne_u64_e64 s29, s[38:39], v[36:37]
	s_delay_alu instid0(VALU_DEP_1) | instskip(SKIP_2) | instid1(VALU_DEP_2)
	v_cndmask_b32_e64 v41, 0x80000000, v37, s29
	v_cndmask_b32_e64 v40, 0, v36, s29
	v_cmp_lt_i64_e64 s29, -1, v[36:37]
	v_lshrrev_b64 v[40:41], s41, v[40:41]
	s_delay_alu instid0(VALU_DEP_2) | instskip(NEXT) | instid1(VALU_DEP_2)
	v_cndmask_b32_e64 v42, 0x80000000, -1, s29
	v_and_b32_e32 v2, s43, v40
	v_ashrrev_i32_e32 v40, 31, v37
	s_delay_alu instid0(VALU_DEP_3) | instskip(NEXT) | instid1(VALU_DEP_3)
	v_xor_b32_e32 v37, v42, v37
	v_lshlrev_b32_e32 v2, 2, v2
	s_delay_alu instid0(VALU_DEP_3) | instskip(SKIP_4) | instid1(VALU_DEP_1)
	v_not_b32_e32 v43, v40
	ds_load_b32 v2, v2
	v_xor_b32_e32 v36, v43, v36
	s_waitcnt lgkmcnt(0)
	v_add_nc_u32_e32 v2, v2, v91
	v_lshlrev_b64 v[40:41], 3, v[2:3]
	s_delay_alu instid0(VALU_DEP_1) | instskip(NEXT) | instid1(VALU_DEP_1)
	v_add_co_u32 v40, s29, s48, v40
	v_add_co_ci_u32_e64 v41, s29, s49, v41, s29
	global_store_b64 v[40:41], v[36:37], off
	s_or_b32 exec_lo, exec_lo, s30
	v_cmp_lt_u32_e64 s29, v92, v177
	s_delay_alu instid0(VALU_DEP_1)
	s_and_saveexec_b32 s31, s29
	s_cbranch_execnz .LBB1258_504
.LBB1258_489:                           ;   in Loop: Header=BB1258_397 Depth=2
	s_or_b32 exec_lo, exec_lo, s31
	v_cmp_lt_u32_e64 s30, v93, v177
	s_delay_alu instid0(VALU_DEP_1)
	s_and_saveexec_b32 s33, s30
	s_cbranch_execz .LBB1258_505
.LBB1258_490:                           ;   in Loop: Header=BB1258_397 Depth=2
	ds_load_b64 v[36:37], v110 offset:28672
	s_waitcnt lgkmcnt(0)
	v_cmp_ne_u64_e64 s31, s[38:39], v[36:37]
	s_delay_alu instid0(VALU_DEP_1) | instskip(SKIP_2) | instid1(VALU_DEP_2)
	v_cndmask_b32_e64 v41, 0x80000000, v37, s31
	v_cndmask_b32_e64 v40, 0, v36, s31
	v_cmp_lt_i64_e64 s31, -1, v[36:37]
	v_lshrrev_b64 v[40:41], s41, v[40:41]
	s_delay_alu instid0(VALU_DEP_2) | instskip(NEXT) | instid1(VALU_DEP_2)
	v_cndmask_b32_e64 v42, 0x80000000, -1, s31
	v_and_b32_e32 v2, s43, v40
	v_ashrrev_i32_e32 v40, 31, v37
	s_delay_alu instid0(VALU_DEP_3) | instskip(NEXT) | instid1(VALU_DEP_3)
	v_xor_b32_e32 v37, v42, v37
	v_lshlrev_b32_e32 v2, 2, v2
	s_delay_alu instid0(VALU_DEP_3) | instskip(SKIP_4) | instid1(VALU_DEP_1)
	v_not_b32_e32 v43, v40
	ds_load_b32 v2, v2
	v_xor_b32_e32 v36, v43, v36
	s_waitcnt lgkmcnt(0)
	v_add_nc_u32_e32 v2, v2, v93
	v_lshlrev_b64 v[40:41], 3, v[2:3]
	s_delay_alu instid0(VALU_DEP_1) | instskip(NEXT) | instid1(VALU_DEP_1)
	v_add_co_u32 v40, s31, s48, v40
	v_add_co_ci_u32_e64 v41, s31, s49, v41, s31
	global_store_b64 v[40:41], v[36:37], off
	s_or_b32 exec_lo, exec_lo, s33
	v_cmp_lt_u32_e64 s31, v95, v177
	s_delay_alu instid0(VALU_DEP_1)
	s_and_saveexec_b32 s56, s31
	s_cbranch_execnz .LBB1258_506
	s_branch .LBB1258_507
.LBB1258_491:                           ;   in Loop: Header=BB1258_397 Depth=2
	s_or_b32 exec_lo, exec_lo, s18
	v_cmp_lt_u32_e64 s17, v77, v177
	s_delay_alu instid0(VALU_DEP_1)
	s_and_saveexec_b32 s19, s17
	s_cbranch_execz .LBB1258_477
.LBB1258_492:                           ;   in Loop: Header=BB1258_397 Depth=2
	ds_load_b64 v[36:37], v110 offset:2048
	s_waitcnt lgkmcnt(0)
	v_cmp_ne_u64_e64 s18, s[38:39], v[36:37]
	s_delay_alu instid0(VALU_DEP_1) | instskip(SKIP_2) | instid1(VALU_DEP_2)
	v_cndmask_b32_e64 v41, 0x80000000, v37, s18
	v_cndmask_b32_e64 v40, 0, v36, s18
	v_cmp_lt_i64_e64 s18, -1, v[36:37]
	v_lshrrev_b64 v[40:41], s41, v[40:41]
	s_delay_alu instid0(VALU_DEP_2) | instskip(NEXT) | instid1(VALU_DEP_2)
	v_cndmask_b32_e64 v42, 0x80000000, -1, s18
	v_and_b32_e32 v2, s43, v40
	v_ashrrev_i32_e32 v40, 31, v37
	s_delay_alu instid0(VALU_DEP_3) | instskip(NEXT) | instid1(VALU_DEP_3)
	v_xor_b32_e32 v37, v42, v37
	v_lshlrev_b32_e32 v2, 2, v2
	s_delay_alu instid0(VALU_DEP_3) | instskip(SKIP_4) | instid1(VALU_DEP_1)
	v_not_b32_e32 v43, v40
	ds_load_b32 v2, v2
	v_xor_b32_e32 v36, v43, v36
	s_waitcnt lgkmcnt(0)
	v_add_nc_u32_e32 v2, v2, v77
	v_lshlrev_b64 v[40:41], 3, v[2:3]
	s_delay_alu instid0(VALU_DEP_1) | instskip(NEXT) | instid1(VALU_DEP_1)
	v_add_co_u32 v40, s18, s48, v40
	v_add_co_ci_u32_e64 v41, s18, s49, v41, s18
	global_store_b64 v[40:41], v[36:37], off
	s_or_b32 exec_lo, exec_lo, s19
	v_cmp_lt_u32_e64 s18, v78, v177
	s_delay_alu instid0(VALU_DEP_1)
	s_and_saveexec_b32 s20, s18
	s_cbranch_execnz .LBB1258_478
.LBB1258_493:                           ;   in Loop: Header=BB1258_397 Depth=2
	s_or_b32 exec_lo, exec_lo, s20
	v_cmp_lt_u32_e64 s19, v79, v177
	s_delay_alu instid0(VALU_DEP_1)
	s_and_saveexec_b32 s21, s19
	s_cbranch_execz .LBB1258_479
.LBB1258_494:                           ;   in Loop: Header=BB1258_397 Depth=2
	ds_load_b64 v[36:37], v110 offset:6144
	s_waitcnt lgkmcnt(0)
	v_cmp_ne_u64_e64 s20, s[38:39], v[36:37]
	s_delay_alu instid0(VALU_DEP_1) | instskip(SKIP_2) | instid1(VALU_DEP_2)
	v_cndmask_b32_e64 v41, 0x80000000, v37, s20
	v_cndmask_b32_e64 v40, 0, v36, s20
	v_cmp_lt_i64_e64 s20, -1, v[36:37]
	v_lshrrev_b64 v[40:41], s41, v[40:41]
	s_delay_alu instid0(VALU_DEP_2) | instskip(NEXT) | instid1(VALU_DEP_2)
	v_cndmask_b32_e64 v42, 0x80000000, -1, s20
	v_and_b32_e32 v2, s43, v40
	v_ashrrev_i32_e32 v40, 31, v37
	s_delay_alu instid0(VALU_DEP_3) | instskip(NEXT) | instid1(VALU_DEP_3)
	v_xor_b32_e32 v37, v42, v37
	v_lshlrev_b32_e32 v2, 2, v2
	s_delay_alu instid0(VALU_DEP_3) | instskip(SKIP_4) | instid1(VALU_DEP_1)
	v_not_b32_e32 v43, v40
	ds_load_b32 v2, v2
	v_xor_b32_e32 v36, v43, v36
	s_waitcnt lgkmcnt(0)
	v_add_nc_u32_e32 v2, v2, v79
	v_lshlrev_b64 v[40:41], 3, v[2:3]
	s_delay_alu instid0(VALU_DEP_1) | instskip(NEXT) | instid1(VALU_DEP_1)
	v_add_co_u32 v40, s20, s48, v40
	v_add_co_ci_u32_e64 v41, s20, s49, v41, s20
	global_store_b64 v[40:41], v[36:37], off
	s_or_b32 exec_lo, exec_lo, s21
	v_cmp_lt_u32_e64 s20, v83, v177
	s_delay_alu instid0(VALU_DEP_1)
	s_and_saveexec_b32 s22, s20
	s_cbranch_execnz .LBB1258_480
.LBB1258_495:                           ;   in Loop: Header=BB1258_397 Depth=2
	s_or_b32 exec_lo, exec_lo, s22
	v_cmp_lt_u32_e64 s21, v84, v177
	s_delay_alu instid0(VALU_DEP_1)
	s_and_saveexec_b32 s23, s21
	s_cbranch_execz .LBB1258_481
.LBB1258_496:                           ;   in Loop: Header=BB1258_397 Depth=2
	ds_load_b64 v[36:37], v110 offset:10240
	s_waitcnt lgkmcnt(0)
	v_cmp_ne_u64_e64 s22, s[38:39], v[36:37]
	s_delay_alu instid0(VALU_DEP_1) | instskip(SKIP_2) | instid1(VALU_DEP_2)
	v_cndmask_b32_e64 v41, 0x80000000, v37, s22
	v_cndmask_b32_e64 v40, 0, v36, s22
	v_cmp_lt_i64_e64 s22, -1, v[36:37]
	v_lshrrev_b64 v[40:41], s41, v[40:41]
	s_delay_alu instid0(VALU_DEP_2) | instskip(NEXT) | instid1(VALU_DEP_2)
	v_cndmask_b32_e64 v42, 0x80000000, -1, s22
	v_and_b32_e32 v2, s43, v40
	v_ashrrev_i32_e32 v40, 31, v37
	s_delay_alu instid0(VALU_DEP_3) | instskip(NEXT) | instid1(VALU_DEP_3)
	v_xor_b32_e32 v37, v42, v37
	v_lshlrev_b32_e32 v2, 2, v2
	s_delay_alu instid0(VALU_DEP_3) | instskip(SKIP_4) | instid1(VALU_DEP_1)
	v_not_b32_e32 v43, v40
	ds_load_b32 v2, v2
	v_xor_b32_e32 v36, v43, v36
	s_waitcnt lgkmcnt(0)
	v_add_nc_u32_e32 v2, v2, v84
	v_lshlrev_b64 v[40:41], 3, v[2:3]
	s_delay_alu instid0(VALU_DEP_1) | instskip(NEXT) | instid1(VALU_DEP_1)
	v_add_co_u32 v40, s22, s48, v40
	v_add_co_ci_u32_e64 v41, s22, s49, v41, s22
	global_store_b64 v[40:41], v[36:37], off
	s_or_b32 exec_lo, exec_lo, s23
	v_cmp_lt_u32_e64 s22, v85, v177
	s_delay_alu instid0(VALU_DEP_1)
	s_and_saveexec_b32 s24, s22
	s_cbranch_execnz .LBB1258_482
.LBB1258_497:                           ;   in Loop: Header=BB1258_397 Depth=2
	s_or_b32 exec_lo, exec_lo, s24
	v_cmp_lt_u32_e64 s23, v86, v177
	s_delay_alu instid0(VALU_DEP_1)
	s_and_saveexec_b32 s25, s23
	s_cbranch_execz .LBB1258_483
.LBB1258_498:                           ;   in Loop: Header=BB1258_397 Depth=2
	ds_load_b64 v[36:37], v110 offset:14336
	s_waitcnt lgkmcnt(0)
	v_cmp_ne_u64_e64 s24, s[38:39], v[36:37]
	s_delay_alu instid0(VALU_DEP_1) | instskip(SKIP_2) | instid1(VALU_DEP_2)
	v_cndmask_b32_e64 v41, 0x80000000, v37, s24
	v_cndmask_b32_e64 v40, 0, v36, s24
	v_cmp_lt_i64_e64 s24, -1, v[36:37]
	v_lshrrev_b64 v[40:41], s41, v[40:41]
	s_delay_alu instid0(VALU_DEP_2) | instskip(NEXT) | instid1(VALU_DEP_2)
	v_cndmask_b32_e64 v42, 0x80000000, -1, s24
	v_and_b32_e32 v2, s43, v40
	v_ashrrev_i32_e32 v40, 31, v37
	s_delay_alu instid0(VALU_DEP_3) | instskip(NEXT) | instid1(VALU_DEP_3)
	v_xor_b32_e32 v37, v42, v37
	v_lshlrev_b32_e32 v2, 2, v2
	s_delay_alu instid0(VALU_DEP_3) | instskip(SKIP_4) | instid1(VALU_DEP_1)
	v_not_b32_e32 v43, v40
	ds_load_b32 v2, v2
	v_xor_b32_e32 v36, v43, v36
	s_waitcnt lgkmcnt(0)
	v_add_nc_u32_e32 v2, v2, v86
	v_lshlrev_b64 v[40:41], 3, v[2:3]
	s_delay_alu instid0(VALU_DEP_1) | instskip(NEXT) | instid1(VALU_DEP_1)
	v_add_co_u32 v40, s24, s48, v40
	v_add_co_ci_u32_e64 v41, s24, s49, v41, s24
	global_store_b64 v[40:41], v[36:37], off
	s_or_b32 exec_lo, exec_lo, s25
	v_cmp_lt_u32_e64 s24, v87, v177
	s_delay_alu instid0(VALU_DEP_1)
	s_and_saveexec_b32 s26, s24
	s_cbranch_execnz .LBB1258_484
.LBB1258_499:                           ;   in Loop: Header=BB1258_397 Depth=2
	s_or_b32 exec_lo, exec_lo, s26
	v_cmp_lt_u32_e64 s25, v88, v177
	s_delay_alu instid0(VALU_DEP_1)
	s_and_saveexec_b32 s27, s25
	s_cbranch_execz .LBB1258_485
.LBB1258_500:                           ;   in Loop: Header=BB1258_397 Depth=2
	ds_load_b64 v[36:37], v110 offset:18432
	s_waitcnt lgkmcnt(0)
	v_cmp_ne_u64_e64 s26, s[38:39], v[36:37]
	s_delay_alu instid0(VALU_DEP_1) | instskip(SKIP_2) | instid1(VALU_DEP_2)
	v_cndmask_b32_e64 v41, 0x80000000, v37, s26
	v_cndmask_b32_e64 v40, 0, v36, s26
	v_cmp_lt_i64_e64 s26, -1, v[36:37]
	v_lshrrev_b64 v[40:41], s41, v[40:41]
	s_delay_alu instid0(VALU_DEP_2) | instskip(NEXT) | instid1(VALU_DEP_2)
	v_cndmask_b32_e64 v42, 0x80000000, -1, s26
	v_and_b32_e32 v2, s43, v40
	v_ashrrev_i32_e32 v40, 31, v37
	s_delay_alu instid0(VALU_DEP_3) | instskip(NEXT) | instid1(VALU_DEP_3)
	v_xor_b32_e32 v37, v42, v37
	v_lshlrev_b32_e32 v2, 2, v2
	s_delay_alu instid0(VALU_DEP_3) | instskip(SKIP_4) | instid1(VALU_DEP_1)
	v_not_b32_e32 v43, v40
	ds_load_b32 v2, v2
	v_xor_b32_e32 v36, v43, v36
	s_waitcnt lgkmcnt(0)
	v_add_nc_u32_e32 v2, v2, v88
	v_lshlrev_b64 v[40:41], 3, v[2:3]
	s_delay_alu instid0(VALU_DEP_1) | instskip(NEXT) | instid1(VALU_DEP_1)
	v_add_co_u32 v40, s26, s48, v40
	v_add_co_ci_u32_e64 v41, s26, s49, v41, s26
	global_store_b64 v[40:41], v[36:37], off
	s_or_b32 exec_lo, exec_lo, s27
	v_cmp_lt_u32_e64 s26, v89, v177
	s_delay_alu instid0(VALU_DEP_1)
	s_and_saveexec_b32 s28, s26
	s_cbranch_execnz .LBB1258_486
.LBB1258_501:                           ;   in Loop: Header=BB1258_397 Depth=2
	s_or_b32 exec_lo, exec_lo, s28
	v_cmp_lt_u32_e64 s27, v90, v177
	s_delay_alu instid0(VALU_DEP_1)
	s_and_saveexec_b32 s29, s27
	s_cbranch_execz .LBB1258_487
.LBB1258_502:                           ;   in Loop: Header=BB1258_397 Depth=2
	ds_load_b64 v[36:37], v110 offset:22528
	s_waitcnt lgkmcnt(0)
	v_cmp_ne_u64_e64 s28, s[38:39], v[36:37]
	s_delay_alu instid0(VALU_DEP_1) | instskip(SKIP_2) | instid1(VALU_DEP_2)
	v_cndmask_b32_e64 v41, 0x80000000, v37, s28
	v_cndmask_b32_e64 v40, 0, v36, s28
	v_cmp_lt_i64_e64 s28, -1, v[36:37]
	v_lshrrev_b64 v[40:41], s41, v[40:41]
	s_delay_alu instid0(VALU_DEP_2) | instskip(NEXT) | instid1(VALU_DEP_2)
	v_cndmask_b32_e64 v42, 0x80000000, -1, s28
	v_and_b32_e32 v2, s43, v40
	v_ashrrev_i32_e32 v40, 31, v37
	s_delay_alu instid0(VALU_DEP_3) | instskip(NEXT) | instid1(VALU_DEP_3)
	v_xor_b32_e32 v37, v42, v37
	v_lshlrev_b32_e32 v2, 2, v2
	s_delay_alu instid0(VALU_DEP_3) | instskip(SKIP_4) | instid1(VALU_DEP_1)
	v_not_b32_e32 v43, v40
	ds_load_b32 v2, v2
	v_xor_b32_e32 v36, v43, v36
	s_waitcnt lgkmcnt(0)
	v_add_nc_u32_e32 v2, v2, v90
	v_lshlrev_b64 v[40:41], 3, v[2:3]
	s_delay_alu instid0(VALU_DEP_1) | instskip(NEXT) | instid1(VALU_DEP_1)
	v_add_co_u32 v40, s28, s48, v40
	v_add_co_ci_u32_e64 v41, s28, s49, v41, s28
	global_store_b64 v[40:41], v[36:37], off
	s_or_b32 exec_lo, exec_lo, s29
	v_cmp_lt_u32_e64 s28, v91, v177
	s_delay_alu instid0(VALU_DEP_1)
	s_and_saveexec_b32 s30, s28
	s_cbranch_execnz .LBB1258_488
.LBB1258_503:                           ;   in Loop: Header=BB1258_397 Depth=2
	s_or_b32 exec_lo, exec_lo, s30
	v_cmp_lt_u32_e64 s29, v92, v177
	s_delay_alu instid0(VALU_DEP_1)
	s_and_saveexec_b32 s31, s29
	s_cbranch_execz .LBB1258_489
.LBB1258_504:                           ;   in Loop: Header=BB1258_397 Depth=2
	ds_load_b64 v[36:37], v110 offset:26624
	s_waitcnt lgkmcnt(0)
	v_cmp_ne_u64_e64 s30, s[38:39], v[36:37]
	s_delay_alu instid0(VALU_DEP_1) | instskip(SKIP_2) | instid1(VALU_DEP_2)
	v_cndmask_b32_e64 v41, 0x80000000, v37, s30
	v_cndmask_b32_e64 v40, 0, v36, s30
	v_cmp_lt_i64_e64 s30, -1, v[36:37]
	v_lshrrev_b64 v[40:41], s41, v[40:41]
	s_delay_alu instid0(VALU_DEP_2) | instskip(NEXT) | instid1(VALU_DEP_2)
	v_cndmask_b32_e64 v42, 0x80000000, -1, s30
	v_and_b32_e32 v2, s43, v40
	v_ashrrev_i32_e32 v40, 31, v37
	s_delay_alu instid0(VALU_DEP_3) | instskip(NEXT) | instid1(VALU_DEP_3)
	v_xor_b32_e32 v37, v42, v37
	v_lshlrev_b32_e32 v2, 2, v2
	s_delay_alu instid0(VALU_DEP_3) | instskip(SKIP_4) | instid1(VALU_DEP_1)
	v_not_b32_e32 v43, v40
	ds_load_b32 v2, v2
	v_xor_b32_e32 v36, v43, v36
	s_waitcnt lgkmcnt(0)
	v_add_nc_u32_e32 v2, v2, v92
	v_lshlrev_b64 v[40:41], 3, v[2:3]
	s_delay_alu instid0(VALU_DEP_1) | instskip(NEXT) | instid1(VALU_DEP_1)
	v_add_co_u32 v40, s30, s48, v40
	v_add_co_ci_u32_e64 v41, s30, s49, v41, s30
	global_store_b64 v[40:41], v[36:37], off
	s_or_b32 exec_lo, exec_lo, s31
	v_cmp_lt_u32_e64 s30, v93, v177
	s_delay_alu instid0(VALU_DEP_1)
	s_and_saveexec_b32 s33, s30
	s_cbranch_execnz .LBB1258_490
.LBB1258_505:                           ;   in Loop: Header=BB1258_397 Depth=2
	s_or_b32 exec_lo, exec_lo, s33
	v_cmp_lt_u32_e64 s31, v95, v177
	s_delay_alu instid0(VALU_DEP_1)
	s_and_saveexec_b32 s56, s31
	s_cbranch_execz .LBB1258_507
.LBB1258_506:                           ;   in Loop: Header=BB1258_397 Depth=2
	ds_load_b64 v[36:37], v110 offset:30720
	s_waitcnt lgkmcnt(0)
	v_cmp_ne_u64_e64 s33, s[38:39], v[36:37]
	s_delay_alu instid0(VALU_DEP_1) | instskip(SKIP_2) | instid1(VALU_DEP_2)
	v_cndmask_b32_e64 v41, 0x80000000, v37, s33
	v_cndmask_b32_e64 v40, 0, v36, s33
	v_cmp_lt_i64_e64 s33, -1, v[36:37]
	v_lshrrev_b64 v[40:41], s41, v[40:41]
	s_delay_alu instid0(VALU_DEP_2) | instskip(NEXT) | instid1(VALU_DEP_2)
	v_cndmask_b32_e64 v42, 0x80000000, -1, s33
	v_and_b32_e32 v2, s43, v40
	v_ashrrev_i32_e32 v40, 31, v37
	s_delay_alu instid0(VALU_DEP_3) | instskip(NEXT) | instid1(VALU_DEP_3)
	v_xor_b32_e32 v37, v42, v37
	v_lshlrev_b32_e32 v2, 2, v2
	s_delay_alu instid0(VALU_DEP_3) | instskip(SKIP_4) | instid1(VALU_DEP_1)
	v_not_b32_e32 v43, v40
	ds_load_b32 v2, v2
	v_xor_b32_e32 v36, v43, v36
	s_waitcnt lgkmcnt(0)
	v_add_nc_u32_e32 v2, v2, v95
	v_lshlrev_b64 v[40:41], 3, v[2:3]
	s_delay_alu instid0(VALU_DEP_1) | instskip(NEXT) | instid1(VALU_DEP_1)
	v_add_co_u32 v40, s33, s48, v40
	v_add_co_ci_u32_e64 v41, s33, s49, v41, s33
	global_store_b64 v[40:41], v[36:37], off
.LBB1258_507:                           ;   in Loop: Header=BB1258_397 Depth=2
	s_or_b32 exec_lo, exec_lo, s56
	s_lshl_b64 s[64:65], s[34:35], 3
	s_delay_alu instid0(SALU_CYCLE_1) | instskip(NEXT) | instid1(VALU_DEP_1)
	v_add_co_u32 v36, s33, v139, s64
	v_add_co_ci_u32_e64 v37, s33, s65, v140, s33
	v_cmp_lt_u32_e64 s33, v138, v177
	s_delay_alu instid0(VALU_DEP_1) | instskip(NEXT) | instid1(SALU_CYCLE_1)
	s_and_saveexec_b32 s34, s33
	s_xor_b32 s33, exec_lo, s34
	s_cbranch_execz .LBB1258_539
; %bb.508:                              ;   in Loop: Header=BB1258_397 Depth=2
	global_load_b64 v[34:35], v[36:37], off
	s_or_b32 exec_lo, exec_lo, s33
	s_delay_alu instid0(SALU_CYCLE_1)
	s_mov_b32 s34, exec_lo
	v_cmpx_lt_u32_e64 v141, v177
	s_cbranch_execnz .LBB1258_540
.LBB1258_509:                           ;   in Loop: Header=BB1258_397 Depth=2
	s_or_b32 exec_lo, exec_lo, s34
	s_delay_alu instid0(SALU_CYCLE_1)
	s_mov_b32 s34, exec_lo
	v_cmpx_lt_u32_e64 v142, v177
	s_cbranch_execz .LBB1258_541
.LBB1258_510:                           ;   in Loop: Header=BB1258_397 Depth=2
	global_load_b64 v[30:31], v[36:37], off offset:512
	s_or_b32 exec_lo, exec_lo, s34
	s_delay_alu instid0(SALU_CYCLE_1)
	s_mov_b32 s34, exec_lo
	v_cmpx_lt_u32_e64 v143, v177
	s_cbranch_execnz .LBB1258_542
.LBB1258_511:                           ;   in Loop: Header=BB1258_397 Depth=2
	s_or_b32 exec_lo, exec_lo, s34
	s_delay_alu instid0(SALU_CYCLE_1)
	s_mov_b32 s34, exec_lo
	v_cmpx_lt_u32_e64 v144, v177
	s_cbranch_execz .LBB1258_543
.LBB1258_512:                           ;   in Loop: Header=BB1258_397 Depth=2
	global_load_b64 v[26:27], v[36:37], off offset:1024
	s_or_b32 exec_lo, exec_lo, s34
	s_delay_alu instid0(SALU_CYCLE_1)
	s_mov_b32 s34, exec_lo
	v_cmpx_lt_u32_e64 v145, v177
	s_cbranch_execnz .LBB1258_544
.LBB1258_513:                           ;   in Loop: Header=BB1258_397 Depth=2
	s_or_b32 exec_lo, exec_lo, s34
	s_delay_alu instid0(SALU_CYCLE_1)
	s_mov_b32 s34, exec_lo
	v_cmpx_lt_u32_e64 v146, v177
	s_cbranch_execz .LBB1258_545
.LBB1258_514:                           ;   in Loop: Header=BB1258_397 Depth=2
	global_load_b64 v[22:23], v[36:37], off offset:1536
	s_or_b32 exec_lo, exec_lo, s34
	s_delay_alu instid0(SALU_CYCLE_1)
	s_mov_b32 s34, exec_lo
	v_cmpx_lt_u32_e64 v147, v177
	s_cbranch_execnz .LBB1258_546
.LBB1258_515:                           ;   in Loop: Header=BB1258_397 Depth=2
	s_or_b32 exec_lo, exec_lo, s34
	s_delay_alu instid0(SALU_CYCLE_1)
	s_mov_b32 s34, exec_lo
	v_cmpx_lt_u32_e64 v148, v177
	s_cbranch_execz .LBB1258_547
.LBB1258_516:                           ;   in Loop: Header=BB1258_397 Depth=2
	global_load_b64 v[18:19], v[36:37], off offset:2048
	s_or_b32 exec_lo, exec_lo, s34
	s_delay_alu instid0(SALU_CYCLE_1)
	s_mov_b32 s34, exec_lo
	v_cmpx_lt_u32_e64 v149, v177
	s_cbranch_execnz .LBB1258_548
.LBB1258_517:                           ;   in Loop: Header=BB1258_397 Depth=2
	s_or_b32 exec_lo, exec_lo, s34
	s_delay_alu instid0(SALU_CYCLE_1)
	s_mov_b32 s34, exec_lo
	v_cmpx_lt_u32_e64 v150, v177
	s_cbranch_execz .LBB1258_549
.LBB1258_518:                           ;   in Loop: Header=BB1258_397 Depth=2
	global_load_b64 v[14:15], v[36:37], off offset:2560
	s_or_b32 exec_lo, exec_lo, s34
	s_delay_alu instid0(SALU_CYCLE_1)
	s_mov_b32 s34, exec_lo
	v_cmpx_lt_u32_e64 v151, v177
	s_cbranch_execnz .LBB1258_550
.LBB1258_519:                           ;   in Loop: Header=BB1258_397 Depth=2
	s_or_b32 exec_lo, exec_lo, s34
	s_delay_alu instid0(SALU_CYCLE_1)
	s_mov_b32 s34, exec_lo
	v_cmpx_lt_u32_e64 v152, v177
	s_cbranch_execz .LBB1258_551
.LBB1258_520:                           ;   in Loop: Header=BB1258_397 Depth=2
	global_load_b64 v[10:11], v[36:37], off offset:3072
	s_or_b32 exec_lo, exec_lo, s34
	s_delay_alu instid0(SALU_CYCLE_1)
	s_mov_b32 s34, exec_lo
	v_cmpx_lt_u32_e64 v153, v177
	s_cbranch_execnz .LBB1258_552
.LBB1258_521:                           ;   in Loop: Header=BB1258_397 Depth=2
	s_or_b32 exec_lo, exec_lo, s34
	s_delay_alu instid0(SALU_CYCLE_1)
	s_mov_b32 s34, exec_lo
	v_cmpx_lt_u32_e64 v154, v177
	s_cbranch_execz .LBB1258_553
.LBB1258_522:                           ;   in Loop: Header=BB1258_397 Depth=2
	global_load_b64 v[6:7], v[36:37], off offset:3584
	s_or_b32 exec_lo, exec_lo, s34
	s_delay_alu instid0(SALU_CYCLE_1)
	s_mov_b32 s34, exec_lo
	v_cmpx_lt_u32_e64 v155, v177
	s_cbranch_execnz .LBB1258_554
.LBB1258_523:                           ;   in Loop: Header=BB1258_397 Depth=2
	s_or_b32 exec_lo, exec_lo, s34
	s_and_saveexec_b32 s34, vcc_lo
	s_cbranch_execz .LBB1258_555
.LBB1258_524:                           ;   in Loop: Header=BB1258_397 Depth=2
	v_add_nc_u32_e32 v2, v104, v76
	ds_load_b64 v[36:37], v2 offset:1024
	s_waitcnt lgkmcnt(0)
	v_cmp_ne_u64_e64 s33, s[38:39], v[36:37]
	s_delay_alu instid0(VALU_DEP_1) | instskip(SKIP_1) | instid1(VALU_DEP_1)
	v_cndmask_b32_e64 v37, 0x80000000, v37, s33
	v_cndmask_b32_e64 v36, 0, v36, s33
	v_lshrrev_b64 v[36:37], s41, v[36:37]
	s_delay_alu instid0(VALU_DEP_1)
	v_and_b32_e32 v176, s43, v36
	s_or_b32 exec_lo, exec_lo, s34
	s_and_saveexec_b32 s34, s17
	s_cbranch_execnz .LBB1258_556
.LBB1258_525:                           ;   in Loop: Header=BB1258_397 Depth=2
	s_or_b32 exec_lo, exec_lo, s34
	s_and_saveexec_b32 s34, s18
	s_cbranch_execz .LBB1258_557
.LBB1258_526:                           ;   in Loop: Header=BB1258_397 Depth=2
	ds_load_b64 v[36:37], v110 offset:4096
	s_waitcnt lgkmcnt(0)
	v_cmp_ne_u64_e64 s33, s[38:39], v[36:37]
	s_delay_alu instid0(VALU_DEP_1) | instskip(SKIP_1) | instid1(VALU_DEP_1)
	v_cndmask_b32_e64 v37, 0x80000000, v37, s33
	v_cndmask_b32_e64 v36, 0, v36, s33
	v_lshrrev_b64 v[36:37], s41, v[36:37]
	s_delay_alu instid0(VALU_DEP_1)
	v_and_b32_e32 v174, s43, v36
	s_or_b32 exec_lo, exec_lo, s34
	s_and_saveexec_b32 s34, s19
	s_cbranch_execnz .LBB1258_558
.LBB1258_527:                           ;   in Loop: Header=BB1258_397 Depth=2
	s_or_b32 exec_lo, exec_lo, s34
	s_and_saveexec_b32 s34, s20
	s_cbranch_execz .LBB1258_559
.LBB1258_528:                           ;   in Loop: Header=BB1258_397 Depth=2
	ds_load_b64 v[36:37], v110 offset:8192
	s_waitcnt lgkmcnt(0)
	v_cmp_ne_u64_e64 s33, s[38:39], v[36:37]
	s_delay_alu instid0(VALU_DEP_1) | instskip(SKIP_1) | instid1(VALU_DEP_1)
	v_cndmask_b32_e64 v37, 0x80000000, v37, s33
	v_cndmask_b32_e64 v36, 0, v36, s33
	v_lshrrev_b64 v[36:37], s41, v[36:37]
	s_delay_alu instid0(VALU_DEP_1)
	v_and_b32_e32 v172, s43, v36
	s_or_b32 exec_lo, exec_lo, s34
	s_and_saveexec_b32 s34, s21
	s_cbranch_execnz .LBB1258_560
.LBB1258_529:                           ;   in Loop: Header=BB1258_397 Depth=2
	s_or_b32 exec_lo, exec_lo, s34
	s_and_saveexec_b32 s34, s22
	s_cbranch_execz .LBB1258_561
.LBB1258_530:                           ;   in Loop: Header=BB1258_397 Depth=2
	ds_load_b64 v[36:37], v110 offset:12288
	s_waitcnt lgkmcnt(0)
	v_cmp_ne_u64_e64 s33, s[38:39], v[36:37]
	s_delay_alu instid0(VALU_DEP_1) | instskip(SKIP_1) | instid1(VALU_DEP_1)
	v_cndmask_b32_e64 v37, 0x80000000, v37, s33
	v_cndmask_b32_e64 v36, 0, v36, s33
	v_lshrrev_b64 v[36:37], s41, v[36:37]
	s_delay_alu instid0(VALU_DEP_1)
	v_and_b32_e32 v170, s43, v36
	s_or_b32 exec_lo, exec_lo, s34
	s_and_saveexec_b32 s34, s23
	s_cbranch_execnz .LBB1258_562
.LBB1258_531:                           ;   in Loop: Header=BB1258_397 Depth=2
	s_or_b32 exec_lo, exec_lo, s34
	s_and_saveexec_b32 s34, s24
	s_cbranch_execz .LBB1258_563
.LBB1258_532:                           ;   in Loop: Header=BB1258_397 Depth=2
	ds_load_b64 v[36:37], v110 offset:16384
	s_waitcnt lgkmcnt(0)
	v_cmp_ne_u64_e64 s33, s[38:39], v[36:37]
	s_delay_alu instid0(VALU_DEP_1) | instskip(SKIP_1) | instid1(VALU_DEP_1)
	v_cndmask_b32_e64 v37, 0x80000000, v37, s33
	v_cndmask_b32_e64 v36, 0, v36, s33
	v_lshrrev_b64 v[36:37], s41, v[36:37]
	s_delay_alu instid0(VALU_DEP_1)
	v_and_b32_e32 v168, s43, v36
	s_or_b32 exec_lo, exec_lo, s34
	s_and_saveexec_b32 s34, s25
	s_cbranch_execnz .LBB1258_564
.LBB1258_533:                           ;   in Loop: Header=BB1258_397 Depth=2
	s_or_b32 exec_lo, exec_lo, s34
	s_and_saveexec_b32 s34, s26
	s_cbranch_execz .LBB1258_565
.LBB1258_534:                           ;   in Loop: Header=BB1258_397 Depth=2
	ds_load_b64 v[36:37], v110 offset:20480
	s_waitcnt lgkmcnt(0)
	v_cmp_ne_u64_e64 s33, s[38:39], v[36:37]
	s_delay_alu instid0(VALU_DEP_1) | instskip(SKIP_1) | instid1(VALU_DEP_1)
	v_cndmask_b32_e64 v37, 0x80000000, v37, s33
	v_cndmask_b32_e64 v36, 0, v36, s33
	v_lshrrev_b64 v[36:37], s41, v[36:37]
	s_delay_alu instid0(VALU_DEP_1)
	v_and_b32_e32 v166, s43, v36
	s_or_b32 exec_lo, exec_lo, s34
	s_and_saveexec_b32 s34, s27
	s_cbranch_execnz .LBB1258_566
.LBB1258_535:                           ;   in Loop: Header=BB1258_397 Depth=2
	s_or_b32 exec_lo, exec_lo, s34
	s_and_saveexec_b32 s34, s28
	s_cbranch_execz .LBB1258_567
.LBB1258_536:                           ;   in Loop: Header=BB1258_397 Depth=2
	ds_load_b64 v[36:37], v110 offset:24576
	s_waitcnt lgkmcnt(0)
	v_cmp_ne_u64_e64 s33, s[38:39], v[36:37]
	s_delay_alu instid0(VALU_DEP_1) | instskip(SKIP_1) | instid1(VALU_DEP_1)
	v_cndmask_b32_e64 v37, 0x80000000, v37, s33
	v_cndmask_b32_e64 v36, 0, v36, s33
	v_lshrrev_b64 v[36:37], s41, v[36:37]
	s_delay_alu instid0(VALU_DEP_1)
	v_and_b32_e32 v164, s43, v36
	s_or_b32 exec_lo, exec_lo, s34
	s_and_saveexec_b32 s34, s29
	s_cbranch_execnz .LBB1258_568
.LBB1258_537:                           ;   in Loop: Header=BB1258_397 Depth=2
	s_or_b32 exec_lo, exec_lo, s34
	s_and_saveexec_b32 s34, s30
	s_cbranch_execz .LBB1258_569
.LBB1258_538:                           ;   in Loop: Header=BB1258_397 Depth=2
	ds_load_b64 v[36:37], v110 offset:28672
	s_waitcnt lgkmcnt(0)
	v_cmp_ne_u64_e64 s33, s[38:39], v[36:37]
	s_delay_alu instid0(VALU_DEP_1) | instskip(SKIP_1) | instid1(VALU_DEP_1)
	v_cndmask_b32_e64 v37, 0x80000000, v37, s33
	v_cndmask_b32_e64 v36, 0, v36, s33
	v_lshrrev_b64 v[36:37], s41, v[36:37]
	s_delay_alu instid0(VALU_DEP_1)
	v_and_b32_e32 v162, s43, v36
	s_or_b32 exec_lo, exec_lo, s34
	s_and_saveexec_b32 s34, s31
	s_cbranch_execnz .LBB1258_570
	s_branch .LBB1258_571
.LBB1258_539:                           ;   in Loop: Header=BB1258_397 Depth=2
	s_or_b32 exec_lo, exec_lo, s33
	s_delay_alu instid0(SALU_CYCLE_1)
	s_mov_b32 s34, exec_lo
	v_cmpx_lt_u32_e64 v141, v177
	s_cbranch_execz .LBB1258_509
.LBB1258_540:                           ;   in Loop: Header=BB1258_397 Depth=2
	global_load_b64 v[32:33], v[36:37], off offset:256
	s_or_b32 exec_lo, exec_lo, s34
	s_delay_alu instid0(SALU_CYCLE_1)
	s_mov_b32 s34, exec_lo
	v_cmpx_lt_u32_e64 v142, v177
	s_cbranch_execnz .LBB1258_510
.LBB1258_541:                           ;   in Loop: Header=BB1258_397 Depth=2
	s_or_b32 exec_lo, exec_lo, s34
	s_delay_alu instid0(SALU_CYCLE_1)
	s_mov_b32 s34, exec_lo
	v_cmpx_lt_u32_e64 v143, v177
	s_cbranch_execz .LBB1258_511
.LBB1258_542:                           ;   in Loop: Header=BB1258_397 Depth=2
	global_load_b64 v[28:29], v[36:37], off offset:768
	s_or_b32 exec_lo, exec_lo, s34
	s_delay_alu instid0(SALU_CYCLE_1)
	s_mov_b32 s34, exec_lo
	v_cmpx_lt_u32_e64 v144, v177
	s_cbranch_execnz .LBB1258_512
.LBB1258_543:                           ;   in Loop: Header=BB1258_397 Depth=2
	s_or_b32 exec_lo, exec_lo, s34
	s_delay_alu instid0(SALU_CYCLE_1)
	s_mov_b32 s34, exec_lo
	v_cmpx_lt_u32_e64 v145, v177
	s_cbranch_execz .LBB1258_513
.LBB1258_544:                           ;   in Loop: Header=BB1258_397 Depth=2
	global_load_b64 v[24:25], v[36:37], off offset:1280
	s_or_b32 exec_lo, exec_lo, s34
	s_delay_alu instid0(SALU_CYCLE_1)
	s_mov_b32 s34, exec_lo
	v_cmpx_lt_u32_e64 v146, v177
	s_cbranch_execnz .LBB1258_514
.LBB1258_545:                           ;   in Loop: Header=BB1258_397 Depth=2
	s_or_b32 exec_lo, exec_lo, s34
	s_delay_alu instid0(SALU_CYCLE_1)
	s_mov_b32 s34, exec_lo
	v_cmpx_lt_u32_e64 v147, v177
	s_cbranch_execz .LBB1258_515
.LBB1258_546:                           ;   in Loop: Header=BB1258_397 Depth=2
	global_load_b64 v[20:21], v[36:37], off offset:1792
	s_or_b32 exec_lo, exec_lo, s34
	s_delay_alu instid0(SALU_CYCLE_1)
	s_mov_b32 s34, exec_lo
	v_cmpx_lt_u32_e64 v148, v177
	s_cbranch_execnz .LBB1258_516
.LBB1258_547:                           ;   in Loop: Header=BB1258_397 Depth=2
	s_or_b32 exec_lo, exec_lo, s34
	s_delay_alu instid0(SALU_CYCLE_1)
	s_mov_b32 s34, exec_lo
	v_cmpx_lt_u32_e64 v149, v177
	s_cbranch_execz .LBB1258_517
.LBB1258_548:                           ;   in Loop: Header=BB1258_397 Depth=2
	global_load_b64 v[16:17], v[36:37], off offset:2304
	s_or_b32 exec_lo, exec_lo, s34
	s_delay_alu instid0(SALU_CYCLE_1)
	s_mov_b32 s34, exec_lo
	v_cmpx_lt_u32_e64 v150, v177
	s_cbranch_execnz .LBB1258_518
.LBB1258_549:                           ;   in Loop: Header=BB1258_397 Depth=2
	s_or_b32 exec_lo, exec_lo, s34
	s_delay_alu instid0(SALU_CYCLE_1)
	s_mov_b32 s34, exec_lo
	v_cmpx_lt_u32_e64 v151, v177
	s_cbranch_execz .LBB1258_519
.LBB1258_550:                           ;   in Loop: Header=BB1258_397 Depth=2
	global_load_b64 v[12:13], v[36:37], off offset:2816
	s_or_b32 exec_lo, exec_lo, s34
	s_delay_alu instid0(SALU_CYCLE_1)
	s_mov_b32 s34, exec_lo
	v_cmpx_lt_u32_e64 v152, v177
	s_cbranch_execnz .LBB1258_520
.LBB1258_551:                           ;   in Loop: Header=BB1258_397 Depth=2
	s_or_b32 exec_lo, exec_lo, s34
	s_delay_alu instid0(SALU_CYCLE_1)
	s_mov_b32 s34, exec_lo
	v_cmpx_lt_u32_e64 v153, v177
	s_cbranch_execz .LBB1258_521
.LBB1258_552:                           ;   in Loop: Header=BB1258_397 Depth=2
	global_load_b64 v[8:9], v[36:37], off offset:3328
	s_or_b32 exec_lo, exec_lo, s34
	s_delay_alu instid0(SALU_CYCLE_1)
	s_mov_b32 s34, exec_lo
	v_cmpx_lt_u32_e64 v154, v177
	s_cbranch_execnz .LBB1258_522
.LBB1258_553:                           ;   in Loop: Header=BB1258_397 Depth=2
	s_or_b32 exec_lo, exec_lo, s34
	s_delay_alu instid0(SALU_CYCLE_1)
	s_mov_b32 s34, exec_lo
	v_cmpx_lt_u32_e64 v155, v177
	s_cbranch_execz .LBB1258_523
.LBB1258_554:                           ;   in Loop: Header=BB1258_397 Depth=2
	global_load_b64 v[4:5], v[36:37], off offset:3840
	s_or_b32 exec_lo, exec_lo, s34
	s_and_saveexec_b32 s34, vcc_lo
	s_cbranch_execnz .LBB1258_524
.LBB1258_555:                           ;   in Loop: Header=BB1258_397 Depth=2
	s_or_b32 exec_lo, exec_lo, s34
	s_and_saveexec_b32 s34, s17
	s_cbranch_execz .LBB1258_525
.LBB1258_556:                           ;   in Loop: Header=BB1258_397 Depth=2
	ds_load_b64 v[36:37], v110 offset:2048
	s_waitcnt lgkmcnt(0)
	v_cmp_ne_u64_e64 s33, s[38:39], v[36:37]
	s_delay_alu instid0(VALU_DEP_1) | instskip(SKIP_1) | instid1(VALU_DEP_1)
	v_cndmask_b32_e64 v37, 0x80000000, v37, s33
	v_cndmask_b32_e64 v36, 0, v36, s33
	v_lshrrev_b64 v[36:37], s41, v[36:37]
	s_delay_alu instid0(VALU_DEP_1)
	v_and_b32_e32 v175, s43, v36
	s_or_b32 exec_lo, exec_lo, s34
	s_and_saveexec_b32 s34, s18
	s_cbranch_execnz .LBB1258_526
.LBB1258_557:                           ;   in Loop: Header=BB1258_397 Depth=2
	s_or_b32 exec_lo, exec_lo, s34
	s_and_saveexec_b32 s34, s19
	s_cbranch_execz .LBB1258_527
.LBB1258_558:                           ;   in Loop: Header=BB1258_397 Depth=2
	ds_load_b64 v[36:37], v110 offset:6144
	s_waitcnt lgkmcnt(0)
	v_cmp_ne_u64_e64 s33, s[38:39], v[36:37]
	s_delay_alu instid0(VALU_DEP_1) | instskip(SKIP_1) | instid1(VALU_DEP_1)
	v_cndmask_b32_e64 v37, 0x80000000, v37, s33
	v_cndmask_b32_e64 v36, 0, v36, s33
	v_lshrrev_b64 v[36:37], s41, v[36:37]
	s_delay_alu instid0(VALU_DEP_1)
	v_and_b32_e32 v173, s43, v36
	s_or_b32 exec_lo, exec_lo, s34
	s_and_saveexec_b32 s34, s20
	s_cbranch_execnz .LBB1258_528
.LBB1258_559:                           ;   in Loop: Header=BB1258_397 Depth=2
	s_or_b32 exec_lo, exec_lo, s34
	s_and_saveexec_b32 s34, s21
	s_cbranch_execz .LBB1258_529
.LBB1258_560:                           ;   in Loop: Header=BB1258_397 Depth=2
	ds_load_b64 v[36:37], v110 offset:10240
	s_waitcnt lgkmcnt(0)
	v_cmp_ne_u64_e64 s33, s[38:39], v[36:37]
	s_delay_alu instid0(VALU_DEP_1) | instskip(SKIP_1) | instid1(VALU_DEP_1)
	v_cndmask_b32_e64 v37, 0x80000000, v37, s33
	v_cndmask_b32_e64 v36, 0, v36, s33
	v_lshrrev_b64 v[36:37], s41, v[36:37]
	s_delay_alu instid0(VALU_DEP_1)
	v_and_b32_e32 v171, s43, v36
	s_or_b32 exec_lo, exec_lo, s34
	s_and_saveexec_b32 s34, s22
	s_cbranch_execnz .LBB1258_530
.LBB1258_561:                           ;   in Loop: Header=BB1258_397 Depth=2
	s_or_b32 exec_lo, exec_lo, s34
	s_and_saveexec_b32 s34, s23
	s_cbranch_execz .LBB1258_531
.LBB1258_562:                           ;   in Loop: Header=BB1258_397 Depth=2
	ds_load_b64 v[36:37], v110 offset:14336
	s_waitcnt lgkmcnt(0)
	v_cmp_ne_u64_e64 s33, s[38:39], v[36:37]
	s_delay_alu instid0(VALU_DEP_1) | instskip(SKIP_1) | instid1(VALU_DEP_1)
	v_cndmask_b32_e64 v37, 0x80000000, v37, s33
	v_cndmask_b32_e64 v36, 0, v36, s33
	v_lshrrev_b64 v[36:37], s41, v[36:37]
	s_delay_alu instid0(VALU_DEP_1)
	v_and_b32_e32 v169, s43, v36
	s_or_b32 exec_lo, exec_lo, s34
	s_and_saveexec_b32 s34, s24
	s_cbranch_execnz .LBB1258_532
.LBB1258_563:                           ;   in Loop: Header=BB1258_397 Depth=2
	s_or_b32 exec_lo, exec_lo, s34
	s_and_saveexec_b32 s34, s25
	s_cbranch_execz .LBB1258_533
.LBB1258_564:                           ;   in Loop: Header=BB1258_397 Depth=2
	ds_load_b64 v[36:37], v110 offset:18432
	s_waitcnt lgkmcnt(0)
	v_cmp_ne_u64_e64 s33, s[38:39], v[36:37]
	s_delay_alu instid0(VALU_DEP_1) | instskip(SKIP_1) | instid1(VALU_DEP_1)
	v_cndmask_b32_e64 v37, 0x80000000, v37, s33
	v_cndmask_b32_e64 v36, 0, v36, s33
	v_lshrrev_b64 v[36:37], s41, v[36:37]
	s_delay_alu instid0(VALU_DEP_1)
	v_and_b32_e32 v167, s43, v36
	s_or_b32 exec_lo, exec_lo, s34
	s_and_saveexec_b32 s34, s26
	s_cbranch_execnz .LBB1258_534
.LBB1258_565:                           ;   in Loop: Header=BB1258_397 Depth=2
	s_or_b32 exec_lo, exec_lo, s34
	s_and_saveexec_b32 s34, s27
	s_cbranch_execz .LBB1258_535
.LBB1258_566:                           ;   in Loop: Header=BB1258_397 Depth=2
	ds_load_b64 v[36:37], v110 offset:22528
	s_waitcnt lgkmcnt(0)
	v_cmp_ne_u64_e64 s33, s[38:39], v[36:37]
	s_delay_alu instid0(VALU_DEP_1) | instskip(SKIP_1) | instid1(VALU_DEP_1)
	v_cndmask_b32_e64 v37, 0x80000000, v37, s33
	v_cndmask_b32_e64 v36, 0, v36, s33
	v_lshrrev_b64 v[36:37], s41, v[36:37]
	s_delay_alu instid0(VALU_DEP_1)
	v_and_b32_e32 v165, s43, v36
	s_or_b32 exec_lo, exec_lo, s34
	s_and_saveexec_b32 s34, s28
	s_cbranch_execnz .LBB1258_536
.LBB1258_567:                           ;   in Loop: Header=BB1258_397 Depth=2
	s_or_b32 exec_lo, exec_lo, s34
	s_and_saveexec_b32 s34, s29
	s_cbranch_execz .LBB1258_537
.LBB1258_568:                           ;   in Loop: Header=BB1258_397 Depth=2
	ds_load_b64 v[36:37], v110 offset:26624
	s_waitcnt lgkmcnt(0)
	v_cmp_ne_u64_e64 s33, s[38:39], v[36:37]
	s_delay_alu instid0(VALU_DEP_1) | instskip(SKIP_1) | instid1(VALU_DEP_1)
	v_cndmask_b32_e64 v37, 0x80000000, v37, s33
	v_cndmask_b32_e64 v36, 0, v36, s33
	v_lshrrev_b64 v[36:37], s41, v[36:37]
	s_delay_alu instid0(VALU_DEP_1)
	v_and_b32_e32 v163, s43, v36
	s_or_b32 exec_lo, exec_lo, s34
	s_and_saveexec_b32 s34, s30
	s_cbranch_execnz .LBB1258_538
.LBB1258_569:                           ;   in Loop: Header=BB1258_397 Depth=2
	s_or_b32 exec_lo, exec_lo, s34
	s_and_saveexec_b32 s34, s31
	s_cbranch_execz .LBB1258_571
.LBB1258_570:                           ;   in Loop: Header=BB1258_397 Depth=2
	ds_load_b64 v[36:37], v110 offset:30720
	s_waitcnt lgkmcnt(0)
	v_cmp_ne_u64_e64 s33, s[38:39], v[36:37]
	s_delay_alu instid0(VALU_DEP_1) | instskip(SKIP_1) | instid1(VALU_DEP_1)
	v_cndmask_b32_e64 v37, 0x80000000, v37, s33
	v_cndmask_b32_e64 v36, 0, v36, s33
	v_lshrrev_b64 v[36:37], s41, v[36:37]
	s_delay_alu instid0(VALU_DEP_1)
	v_and_b32_e32 v161, s43, v36
.LBB1258_571:                           ;   in Loop: Header=BB1258_397 Depth=2
	s_or_b32 exec_lo, exec_lo, s34
	v_add_nc_u32_e32 v2, 0x400, v69
	v_add_nc_u32_e32 v36, 0x400, v70
	;; [unrolled: 1-line block ×16, first 2 shown]
	s_waitcnt vmcnt(0)
	s_waitcnt_vscnt null, 0x0
	s_barrier
	buffer_gl0_inv
	ds_store_b64 v2, v[34:35]
	ds_store_b64 v36, v[32:33]
	;; [unrolled: 1-line block ×16, first 2 shown]
	s_waitcnt lgkmcnt(0)
	s_barrier
	buffer_gl0_inv
	s_and_saveexec_b32 s33, vcc_lo
	s_cbranch_execz .LBB1258_587
; %bb.572:                              ;   in Loop: Header=BB1258_397 Depth=2
	v_lshlrev_b32_e32 v2, 2, v176
	v_add_nc_u32_e32 v36, v104, v76
	ds_load_b32 v2, v2
	ds_load_b64 v[36:37], v36 offset:1024
	s_waitcnt lgkmcnt(1)
	v_add_nc_u32_e32 v2, v2, v1
	s_delay_alu instid0(VALU_DEP_1) | instskip(NEXT) | instid1(VALU_DEP_1)
	v_lshlrev_b64 v[38:39], 3, v[2:3]
	v_add_co_u32 v38, vcc_lo, s54, v38
	s_delay_alu instid0(VALU_DEP_2)
	v_add_co_ci_u32_e32 v39, vcc_lo, s55, v39, vcc_lo
	s_waitcnt lgkmcnt(0)
	global_store_b64 v[38:39], v[36:37], off
	s_or_b32 exec_lo, exec_lo, s33
	s_and_saveexec_b32 s33, s17
	s_cbranch_execnz .LBB1258_588
.LBB1258_573:                           ;   in Loop: Header=BB1258_397 Depth=2
	s_or_b32 exec_lo, exec_lo, s33
	s_and_saveexec_b32 s17, s18
	s_cbranch_execz .LBB1258_589
.LBB1258_574:                           ;   in Loop: Header=BB1258_397 Depth=2
	v_lshlrev_b32_e32 v2, 2, v174
	ds_load_b32 v2, v2
	ds_load_b64 v[36:37], v110 offset:4096
	s_waitcnt lgkmcnt(1)
	v_add_nc_u32_e32 v2, v2, v78
	s_delay_alu instid0(VALU_DEP_1) | instskip(NEXT) | instid1(VALU_DEP_1)
	v_lshlrev_b64 v[38:39], 3, v[2:3]
	v_add_co_u32 v38, vcc_lo, s54, v38
	s_delay_alu instid0(VALU_DEP_2)
	v_add_co_ci_u32_e32 v39, vcc_lo, s55, v39, vcc_lo
	s_waitcnt lgkmcnt(0)
	global_store_b64 v[38:39], v[36:37], off
	s_or_b32 exec_lo, exec_lo, s17
	s_and_saveexec_b32 s17, s19
	s_cbranch_execnz .LBB1258_590
.LBB1258_575:                           ;   in Loop: Header=BB1258_397 Depth=2
	s_or_b32 exec_lo, exec_lo, s17
	s_and_saveexec_b32 s17, s20
	s_cbranch_execz .LBB1258_591
.LBB1258_576:                           ;   in Loop: Header=BB1258_397 Depth=2
	v_lshlrev_b32_e32 v2, 2, v172
	ds_load_b32 v2, v2
	ds_load_b64 v[36:37], v110 offset:8192
	s_waitcnt lgkmcnt(1)
	v_add_nc_u32_e32 v2, v2, v83
	s_delay_alu instid0(VALU_DEP_1) | instskip(NEXT) | instid1(VALU_DEP_1)
	v_lshlrev_b64 v[38:39], 3, v[2:3]
	v_add_co_u32 v38, vcc_lo, s54, v38
	s_delay_alu instid0(VALU_DEP_2)
	v_add_co_ci_u32_e32 v39, vcc_lo, s55, v39, vcc_lo
	s_waitcnt lgkmcnt(0)
	global_store_b64 v[38:39], v[36:37], off
	s_or_b32 exec_lo, exec_lo, s17
	s_and_saveexec_b32 s17, s21
	s_cbranch_execnz .LBB1258_592
.LBB1258_577:                           ;   in Loop: Header=BB1258_397 Depth=2
	s_or_b32 exec_lo, exec_lo, s17
	s_and_saveexec_b32 s17, s22
	s_cbranch_execz .LBB1258_593
.LBB1258_578:                           ;   in Loop: Header=BB1258_397 Depth=2
	v_lshlrev_b32_e32 v2, 2, v170
	ds_load_b32 v2, v2
	ds_load_b64 v[36:37], v110 offset:12288
	s_waitcnt lgkmcnt(1)
	v_add_nc_u32_e32 v2, v2, v85
	s_delay_alu instid0(VALU_DEP_1) | instskip(NEXT) | instid1(VALU_DEP_1)
	v_lshlrev_b64 v[38:39], 3, v[2:3]
	v_add_co_u32 v38, vcc_lo, s54, v38
	s_delay_alu instid0(VALU_DEP_2)
	v_add_co_ci_u32_e32 v39, vcc_lo, s55, v39, vcc_lo
	s_waitcnt lgkmcnt(0)
	global_store_b64 v[38:39], v[36:37], off
	s_or_b32 exec_lo, exec_lo, s17
	s_and_saveexec_b32 s17, s23
	s_cbranch_execnz .LBB1258_594
.LBB1258_579:                           ;   in Loop: Header=BB1258_397 Depth=2
	s_or_b32 exec_lo, exec_lo, s17
	s_and_saveexec_b32 s17, s24
	s_cbranch_execz .LBB1258_595
.LBB1258_580:                           ;   in Loop: Header=BB1258_397 Depth=2
	v_lshlrev_b32_e32 v2, 2, v168
	ds_load_b32 v2, v2
	ds_load_b64 v[36:37], v110 offset:16384
	s_waitcnt lgkmcnt(1)
	v_add_nc_u32_e32 v2, v2, v87
	s_delay_alu instid0(VALU_DEP_1) | instskip(NEXT) | instid1(VALU_DEP_1)
	v_lshlrev_b64 v[38:39], 3, v[2:3]
	v_add_co_u32 v38, vcc_lo, s54, v38
	s_delay_alu instid0(VALU_DEP_2)
	v_add_co_ci_u32_e32 v39, vcc_lo, s55, v39, vcc_lo
	s_waitcnt lgkmcnt(0)
	global_store_b64 v[38:39], v[36:37], off
	s_or_b32 exec_lo, exec_lo, s17
	s_and_saveexec_b32 s17, s25
	s_cbranch_execnz .LBB1258_596
.LBB1258_581:                           ;   in Loop: Header=BB1258_397 Depth=2
	s_or_b32 exec_lo, exec_lo, s17
	s_and_saveexec_b32 s17, s26
	s_cbranch_execz .LBB1258_597
.LBB1258_582:                           ;   in Loop: Header=BB1258_397 Depth=2
	v_lshlrev_b32_e32 v2, 2, v166
	ds_load_b32 v2, v2
	ds_load_b64 v[36:37], v110 offset:20480
	s_waitcnt lgkmcnt(1)
	v_add_nc_u32_e32 v2, v2, v89
	s_delay_alu instid0(VALU_DEP_1) | instskip(NEXT) | instid1(VALU_DEP_1)
	v_lshlrev_b64 v[38:39], 3, v[2:3]
	v_add_co_u32 v38, vcc_lo, s54, v38
	s_delay_alu instid0(VALU_DEP_2)
	v_add_co_ci_u32_e32 v39, vcc_lo, s55, v39, vcc_lo
	s_waitcnt lgkmcnt(0)
	global_store_b64 v[38:39], v[36:37], off
	s_or_b32 exec_lo, exec_lo, s17
	s_and_saveexec_b32 s17, s27
	s_cbranch_execnz .LBB1258_598
.LBB1258_583:                           ;   in Loop: Header=BB1258_397 Depth=2
	s_or_b32 exec_lo, exec_lo, s17
	s_and_saveexec_b32 s17, s28
	s_cbranch_execz .LBB1258_599
.LBB1258_584:                           ;   in Loop: Header=BB1258_397 Depth=2
	v_lshlrev_b32_e32 v2, 2, v164
	ds_load_b32 v2, v2
	ds_load_b64 v[36:37], v110 offset:24576
	s_waitcnt lgkmcnt(1)
	v_add_nc_u32_e32 v2, v2, v91
	s_delay_alu instid0(VALU_DEP_1) | instskip(NEXT) | instid1(VALU_DEP_1)
	v_lshlrev_b64 v[38:39], 3, v[2:3]
	v_add_co_u32 v38, vcc_lo, s54, v38
	s_delay_alu instid0(VALU_DEP_2)
	v_add_co_ci_u32_e32 v39, vcc_lo, s55, v39, vcc_lo
	s_waitcnt lgkmcnt(0)
	global_store_b64 v[38:39], v[36:37], off
	s_or_b32 exec_lo, exec_lo, s17
	s_and_saveexec_b32 s17, s29
	s_cbranch_execnz .LBB1258_600
.LBB1258_585:                           ;   in Loop: Header=BB1258_397 Depth=2
	s_or_b32 exec_lo, exec_lo, s17
	s_and_saveexec_b32 s17, s30
	s_cbranch_execz .LBB1258_601
.LBB1258_586:                           ;   in Loop: Header=BB1258_397 Depth=2
	v_lshlrev_b32_e32 v2, 2, v162
	ds_load_b32 v2, v2
	ds_load_b64 v[36:37], v110 offset:28672
	s_waitcnt lgkmcnt(1)
	v_add_nc_u32_e32 v2, v2, v93
	s_delay_alu instid0(VALU_DEP_1) | instskip(NEXT) | instid1(VALU_DEP_1)
	v_lshlrev_b64 v[38:39], 3, v[2:3]
	v_add_co_u32 v38, vcc_lo, s54, v38
	s_delay_alu instid0(VALU_DEP_2)
	v_add_co_ci_u32_e32 v39, vcc_lo, s55, v39, vcc_lo
	s_waitcnt lgkmcnt(0)
	global_store_b64 v[38:39], v[36:37], off
	s_or_b32 exec_lo, exec_lo, s17
	s_and_saveexec_b32 s17, s31
	s_cbranch_execnz .LBB1258_602
	s_branch .LBB1258_603
.LBB1258_587:                           ;   in Loop: Header=BB1258_397 Depth=2
	s_or_b32 exec_lo, exec_lo, s33
	s_and_saveexec_b32 s33, s17
	s_cbranch_execz .LBB1258_573
.LBB1258_588:                           ;   in Loop: Header=BB1258_397 Depth=2
	v_lshlrev_b32_e32 v2, 2, v175
	ds_load_b32 v2, v2
	ds_load_b64 v[36:37], v110 offset:2048
	s_waitcnt lgkmcnt(1)
	v_add_nc_u32_e32 v2, v2, v77
	s_delay_alu instid0(VALU_DEP_1) | instskip(NEXT) | instid1(VALU_DEP_1)
	v_lshlrev_b64 v[38:39], 3, v[2:3]
	v_add_co_u32 v38, vcc_lo, s54, v38
	s_delay_alu instid0(VALU_DEP_2)
	v_add_co_ci_u32_e32 v39, vcc_lo, s55, v39, vcc_lo
	s_waitcnt lgkmcnt(0)
	global_store_b64 v[38:39], v[36:37], off
	s_or_b32 exec_lo, exec_lo, s33
	s_and_saveexec_b32 s17, s18
	s_cbranch_execnz .LBB1258_574
.LBB1258_589:                           ;   in Loop: Header=BB1258_397 Depth=2
	s_or_b32 exec_lo, exec_lo, s17
	s_and_saveexec_b32 s17, s19
	s_cbranch_execz .LBB1258_575
.LBB1258_590:                           ;   in Loop: Header=BB1258_397 Depth=2
	v_lshlrev_b32_e32 v2, 2, v173
	ds_load_b32 v2, v2
	ds_load_b64 v[36:37], v110 offset:6144
	s_waitcnt lgkmcnt(1)
	v_add_nc_u32_e32 v2, v2, v79
	s_delay_alu instid0(VALU_DEP_1) | instskip(NEXT) | instid1(VALU_DEP_1)
	v_lshlrev_b64 v[38:39], 3, v[2:3]
	v_add_co_u32 v38, vcc_lo, s54, v38
	s_delay_alu instid0(VALU_DEP_2)
	v_add_co_ci_u32_e32 v39, vcc_lo, s55, v39, vcc_lo
	s_waitcnt lgkmcnt(0)
	global_store_b64 v[38:39], v[36:37], off
	s_or_b32 exec_lo, exec_lo, s17
	s_and_saveexec_b32 s17, s20
	s_cbranch_execnz .LBB1258_576
.LBB1258_591:                           ;   in Loop: Header=BB1258_397 Depth=2
	s_or_b32 exec_lo, exec_lo, s17
	s_and_saveexec_b32 s17, s21
	s_cbranch_execz .LBB1258_577
.LBB1258_592:                           ;   in Loop: Header=BB1258_397 Depth=2
	v_lshlrev_b32_e32 v2, 2, v171
	ds_load_b32 v2, v2
	ds_load_b64 v[36:37], v110 offset:10240
	s_waitcnt lgkmcnt(1)
	v_add_nc_u32_e32 v2, v2, v84
	s_delay_alu instid0(VALU_DEP_1) | instskip(NEXT) | instid1(VALU_DEP_1)
	v_lshlrev_b64 v[38:39], 3, v[2:3]
	v_add_co_u32 v38, vcc_lo, s54, v38
	s_delay_alu instid0(VALU_DEP_2)
	v_add_co_ci_u32_e32 v39, vcc_lo, s55, v39, vcc_lo
	s_waitcnt lgkmcnt(0)
	global_store_b64 v[38:39], v[36:37], off
	s_or_b32 exec_lo, exec_lo, s17
	s_and_saveexec_b32 s17, s22
	s_cbranch_execnz .LBB1258_578
.LBB1258_593:                           ;   in Loop: Header=BB1258_397 Depth=2
	s_or_b32 exec_lo, exec_lo, s17
	s_and_saveexec_b32 s17, s23
	s_cbranch_execz .LBB1258_579
.LBB1258_594:                           ;   in Loop: Header=BB1258_397 Depth=2
	v_lshlrev_b32_e32 v2, 2, v169
	ds_load_b32 v2, v2
	ds_load_b64 v[36:37], v110 offset:14336
	s_waitcnt lgkmcnt(1)
	v_add_nc_u32_e32 v2, v2, v86
	s_delay_alu instid0(VALU_DEP_1) | instskip(NEXT) | instid1(VALU_DEP_1)
	v_lshlrev_b64 v[38:39], 3, v[2:3]
	v_add_co_u32 v38, vcc_lo, s54, v38
	s_delay_alu instid0(VALU_DEP_2)
	v_add_co_ci_u32_e32 v39, vcc_lo, s55, v39, vcc_lo
	s_waitcnt lgkmcnt(0)
	global_store_b64 v[38:39], v[36:37], off
	s_or_b32 exec_lo, exec_lo, s17
	s_and_saveexec_b32 s17, s24
	s_cbranch_execnz .LBB1258_580
.LBB1258_595:                           ;   in Loop: Header=BB1258_397 Depth=2
	s_or_b32 exec_lo, exec_lo, s17
	s_and_saveexec_b32 s17, s25
	s_cbranch_execz .LBB1258_581
.LBB1258_596:                           ;   in Loop: Header=BB1258_397 Depth=2
	v_lshlrev_b32_e32 v2, 2, v167
	ds_load_b32 v2, v2
	ds_load_b64 v[36:37], v110 offset:18432
	s_waitcnt lgkmcnt(1)
	v_add_nc_u32_e32 v2, v2, v88
	s_delay_alu instid0(VALU_DEP_1) | instskip(NEXT) | instid1(VALU_DEP_1)
	v_lshlrev_b64 v[38:39], 3, v[2:3]
	v_add_co_u32 v38, vcc_lo, s54, v38
	s_delay_alu instid0(VALU_DEP_2)
	v_add_co_ci_u32_e32 v39, vcc_lo, s55, v39, vcc_lo
	s_waitcnt lgkmcnt(0)
	global_store_b64 v[38:39], v[36:37], off
	s_or_b32 exec_lo, exec_lo, s17
	s_and_saveexec_b32 s17, s26
	s_cbranch_execnz .LBB1258_582
.LBB1258_597:                           ;   in Loop: Header=BB1258_397 Depth=2
	s_or_b32 exec_lo, exec_lo, s17
	s_and_saveexec_b32 s17, s27
	s_cbranch_execz .LBB1258_583
.LBB1258_598:                           ;   in Loop: Header=BB1258_397 Depth=2
	v_lshlrev_b32_e32 v2, 2, v165
	ds_load_b32 v2, v2
	ds_load_b64 v[36:37], v110 offset:22528
	s_waitcnt lgkmcnt(1)
	v_add_nc_u32_e32 v2, v2, v90
	s_delay_alu instid0(VALU_DEP_1) | instskip(NEXT) | instid1(VALU_DEP_1)
	v_lshlrev_b64 v[38:39], 3, v[2:3]
	v_add_co_u32 v38, vcc_lo, s54, v38
	s_delay_alu instid0(VALU_DEP_2)
	v_add_co_ci_u32_e32 v39, vcc_lo, s55, v39, vcc_lo
	s_waitcnt lgkmcnt(0)
	global_store_b64 v[38:39], v[36:37], off
	s_or_b32 exec_lo, exec_lo, s17
	s_and_saveexec_b32 s17, s28
	s_cbranch_execnz .LBB1258_584
.LBB1258_599:                           ;   in Loop: Header=BB1258_397 Depth=2
	s_or_b32 exec_lo, exec_lo, s17
	s_and_saveexec_b32 s17, s29
	s_cbranch_execz .LBB1258_585
.LBB1258_600:                           ;   in Loop: Header=BB1258_397 Depth=2
	v_lshlrev_b32_e32 v2, 2, v163
	ds_load_b32 v2, v2
	ds_load_b64 v[36:37], v110 offset:26624
	s_waitcnt lgkmcnt(1)
	v_add_nc_u32_e32 v2, v2, v92
	s_delay_alu instid0(VALU_DEP_1) | instskip(NEXT) | instid1(VALU_DEP_1)
	v_lshlrev_b64 v[38:39], 3, v[2:3]
	v_add_co_u32 v38, vcc_lo, s54, v38
	s_delay_alu instid0(VALU_DEP_2)
	v_add_co_ci_u32_e32 v39, vcc_lo, s55, v39, vcc_lo
	s_waitcnt lgkmcnt(0)
	global_store_b64 v[38:39], v[36:37], off
	s_or_b32 exec_lo, exec_lo, s17
	s_and_saveexec_b32 s17, s30
	s_cbranch_execnz .LBB1258_586
.LBB1258_601:                           ;   in Loop: Header=BB1258_397 Depth=2
	s_or_b32 exec_lo, exec_lo, s17
	s_and_saveexec_b32 s17, s31
	s_cbranch_execz .LBB1258_603
.LBB1258_602:                           ;   in Loop: Header=BB1258_397 Depth=2
	v_lshlrev_b32_e32 v2, 2, v161
	ds_load_b32 v2, v2
	ds_load_b64 v[36:37], v110 offset:30720
	s_waitcnt lgkmcnt(1)
	v_add_nc_u32_e32 v2, v2, v95
	s_delay_alu instid0(VALU_DEP_1) | instskip(NEXT) | instid1(VALU_DEP_1)
	v_lshlrev_b64 v[38:39], 3, v[2:3]
	v_add_co_u32 v38, vcc_lo, s54, v38
	s_delay_alu instid0(VALU_DEP_2)
	v_add_co_ci_u32_e32 v39, vcc_lo, s55, v39, vcc_lo
	s_waitcnt lgkmcnt(0)
	global_store_b64 v[38:39], v[36:37], off
.LBB1258_603:                           ;   in Loop: Header=BB1258_397 Depth=2
	s_or_b32 exec_lo, exec_lo, s17
	s_waitcnt_vscnt null, 0x0
	s_barrier
	buffer_gl0_inv
	s_and_saveexec_b32 s17, s2
	s_cbranch_execz .LBB1258_396
; %bb.604:                              ;   in Loop: Header=BB1258_397 Depth=2
	ds_load_b32 v2, v76
	s_waitcnt lgkmcnt(0)
	v_add_nc_u32_e32 v2, v2, v68
	ds_store_b32 v76, v2
	s_branch .LBB1258_396
.LBB1258_605:                           ;   in Loop: Header=BB1258_17 Depth=1
	s_waitcnt lgkmcnt(0)
	s_barrier
.LBB1258_606:                           ;   in Loop: Header=BB1258_17 Depth=1
	s_mov_b32 s1, 0
.LBB1258_607:                           ;   in Loop: Header=BB1258_17 Depth=1
	s_delay_alu instid0(SALU_CYCLE_1)
	s_and_not1_b32 vcc_lo, exec_lo, s1
	s_cbranch_vccnz .LBB1258_16
; %bb.608:                              ;   in Loop: Header=BB1258_17 Depth=1
	s_lshl_b32 s1, -1, s42
	s_and_b32 vcc_lo, exec_lo, s59
	s_not_b32 s42, s1
	s_mov_b32 s1, -1
	s_cbranch_vccz .LBB1258_902
; %bb.609:                              ;   in Loop: Header=BB1258_17 Depth=1
	s_mov_b32 s1, s62
	s_mov_b32 s34, s60
	s_barrier
	buffer_gl0_inv
                                        ; implicit-def: $vgpr34_vgpr35
                                        ; implicit-def: $vgpr4_vgpr5
                                        ; implicit-def: $vgpr6_vgpr7
                                        ; implicit-def: $vgpr8_vgpr9
                                        ; implicit-def: $vgpr10_vgpr11
                                        ; implicit-def: $vgpr12_vgpr13
                                        ; implicit-def: $vgpr14_vgpr15
                                        ; implicit-def: $vgpr16_vgpr17
                                        ; implicit-def: $vgpr18_vgpr19
                                        ; implicit-def: $vgpr20_vgpr21
                                        ; implicit-def: $vgpr22_vgpr23
                                        ; implicit-def: $vgpr24_vgpr25
                                        ; implicit-def: $vgpr26_vgpr27
                                        ; implicit-def: $vgpr28_vgpr29
                                        ; implicit-def: $vgpr30_vgpr31
                                        ; implicit-def: $vgpr32_vgpr33
	s_branch .LBB1258_611
.LBB1258_610:                           ;   in Loop: Header=BB1258_611 Depth=2
	s_or_b32 exec_lo, exec_lo, s8
	s_addk_i32 s1, 0xf000
	s_cmp_ge_u32 s7, s61
	s_mov_b32 s34, s7
	s_cbranch_scc1 .LBB1258_681
.LBB1258_611:                           ;   Parent Loop BB1258_17 Depth=1
                                        ; =>  This Inner Loop Header: Depth=2
	s_add_i32 s7, s34, 0x1000
	s_delay_alu instid0(SALU_CYCLE_1)
	s_cmp_gt_u32 s7, s61
	s_cbranch_scc1 .LBB1258_614
; %bb.612:                              ;   in Loop: Header=BB1258_611 Depth=2
	s_mov_b32 s9, 0
	s_mov_b32 s8, s34
	s_delay_alu instid0(SALU_CYCLE_1) | instskip(NEXT) | instid1(SALU_CYCLE_1)
	s_lshl_b64 s[10:11], s[8:9], 3
	v_add_co_u32 v36, vcc_lo, v117, s10
	v_add_co_ci_u32_e32 v37, vcc_lo, s11, v118, vcc_lo
	s_movk_i32 s11, 0x1000
	s_waitcnt vmcnt(12)
	s_delay_alu instid0(VALU_DEP_2) | instskip(NEXT) | instid1(VALU_DEP_2)
	v_add_co_u32 v42, vcc_lo, 0x1000, v36
	v_add_co_ci_u32_e32 v43, vcc_lo, 0, v37, vcc_lo
	s_waitcnt vmcnt(11)
	v_add_co_u32 v44, vcc_lo, 0x2000, v36
	v_add_co_ci_u32_e32 v45, vcc_lo, 0, v37, vcc_lo
	s_waitcnt vmcnt(1)
	v_add_co_u32 v50, vcc_lo, v36, 0x2000
	v_add_co_ci_u32_e32 v51, vcc_lo, 0, v37, vcc_lo
	v_add_co_u32 v52, vcc_lo, v36, 0x4000
	v_add_co_ci_u32_e32 v53, vcc_lo, 0, v37, vcc_lo
	v_add_co_u32 v54, vcc_lo, 0x3000, v36
	v_add_co_ci_u32_e32 v55, vcc_lo, 0, v37, vcc_lo
	v_add_co_u32 v58, vcc_lo, 0x4000, v36
	v_add_co_ci_u32_e32 v59, vcc_lo, 0, v37, vcc_lo
	v_add_co_u32 v62, vcc_lo, 0x5000, v36
	v_add_co_ci_u32_e32 v63, vcc_lo, 0, v37, vcc_lo
	v_add_co_u32 v60, vcc_lo, v36, 0x6000
	v_add_co_ci_u32_e32 v61, vcc_lo, 0, v37, vcc_lo
	v_add_co_u32 v64, vcc_lo, 0x6000, v36
	v_add_co_ci_u32_e32 v65, vcc_lo, 0, v37, vcc_lo
	s_waitcnt vmcnt(0)
	v_add_co_u32 v66, vcc_lo, 0x7000, v36
	v_add_co_ci_u32_e32 v67, vcc_lo, 0, v37, vcc_lo
	s_clause 0xe
	global_load_b64 v[38:39], v[36:37], off
	global_load_b64 v[40:41], v[36:37], off offset:2048
	global_load_b64 v[42:43], v[42:43], off offset:2048
	;; [unrolled: 1-line block ×3, first 2 shown]
	global_load_b64 v[46:47], v[50:51], off
	global_load_b64 v[48:49], v[52:53], off offset:-4096
	global_load_b64 v[52:53], v[52:53], off
	global_load_b64 v[56:57], v[60:61], off offset:-4096
	global_load_b64 v[60:61], v[60:61], off
	global_load_b64 v[54:55], v[54:55], off offset:2048
	global_load_b64 v[58:59], v[58:59], off offset:2048
	;; [unrolled: 1-line block ×4, first 2 shown]
	global_load_b64 v[50:51], v[50:51], off offset:-4096
	global_load_b64 v[66:67], v[66:67], off
	v_add_co_u32 v36, vcc_lo, 0x7800, v36
	v_add_co_ci_u32_e32 v37, vcc_lo, 0, v37, vcc_lo
	s_mov_b32 s10, -1
	s_cbranch_execz .LBB1258_615
; %bb.613:                              ;   in Loop: Header=BB1258_611 Depth=2
                                        ; implicit-def: $vgpr32_vgpr33
                                        ; implicit-def: $vgpr30_vgpr31
                                        ; implicit-def: $vgpr28_vgpr29
                                        ; implicit-def: $vgpr26_vgpr27
                                        ; implicit-def: $vgpr24_vgpr25
                                        ; implicit-def: $vgpr22_vgpr23
                                        ; implicit-def: $vgpr20_vgpr21
                                        ; implicit-def: $vgpr18_vgpr19
                                        ; implicit-def: $vgpr16_vgpr17
                                        ; implicit-def: $vgpr14_vgpr15
                                        ; implicit-def: $vgpr12_vgpr13
                                        ; implicit-def: $vgpr10_vgpr11
                                        ; implicit-def: $vgpr8_vgpr9
                                        ; implicit-def: $vgpr6_vgpr7
                                        ; implicit-def: $vgpr4_vgpr5
                                        ; implicit-def: $vgpr34_vgpr35
	v_mov_b32_e32 v2, s1
	s_and_saveexec_b32 s8, s10
	s_cbranch_execnz .LBB1258_634
	s_branch .LBB1258_635
.LBB1258_614:                           ;   in Loop: Header=BB1258_611 Depth=2
	s_mov_b32 s10, 0
                                        ; implicit-def: $sgpr11
                                        ; implicit-def: $vgpr38_vgpr39
                                        ; implicit-def: $vgpr40_vgpr41
                                        ; implicit-def: $vgpr50_vgpr51
                                        ; implicit-def: $vgpr42_vgpr43
                                        ; implicit-def: $vgpr46_vgpr47
                                        ; implicit-def: $vgpr44_vgpr45
                                        ; implicit-def: $vgpr48_vgpr49
                                        ; implicit-def: $vgpr54_vgpr55
                                        ; implicit-def: $vgpr52_vgpr53
                                        ; implicit-def: $vgpr58_vgpr59
                                        ; implicit-def: $vgpr56_vgpr57
                                        ; implicit-def: $vgpr62_vgpr63
                                        ; implicit-def: $vgpr60_vgpr61
                                        ; implicit-def: $vgpr64_vgpr65
                                        ; implicit-def: $vgpr66_vgpr67
                                        ; implicit-def: $vgpr36_vgpr37
.LBB1258_615:                           ;   in Loop: Header=BB1258_611 Depth=2
	s_lshl_b64 s[8:9], s[34:35], 3
	s_mov_b32 s11, exec_lo
	s_add_u32 s8, s44, s8
	s_addc_u32 s9, s45, s9
	v_cmpx_gt_u32_e64 s1, v1
	s_cbranch_execz .LBB1258_667
; %bb.616:                              ;   in Loop: Header=BB1258_611 Depth=2
	global_load_b64 v[32:33], v124, s[8:9]
	s_or_b32 exec_lo, exec_lo, s11
	s_delay_alu instid0(SALU_CYCLE_1)
	s_mov_b32 s11, exec_lo
	v_cmpx_gt_u32_e64 s1, v77
	s_cbranch_execnz .LBB1258_668
.LBB1258_617:                           ;   in Loop: Header=BB1258_611 Depth=2
	s_or_b32 exec_lo, exec_lo, s11
	s_delay_alu instid0(SALU_CYCLE_1)
	s_mov_b32 s11, exec_lo
	v_cmpx_gt_u32_e64 s1, v78
	s_cbranch_execz .LBB1258_669
.LBB1258_618:                           ;   in Loop: Header=BB1258_611 Depth=2
	global_load_b64 v[28:29], v125, s[8:9]
	s_or_b32 exec_lo, exec_lo, s11
	s_delay_alu instid0(SALU_CYCLE_1)
	s_mov_b32 s11, exec_lo
	v_cmpx_gt_u32_e64 s1, v79
	s_cbranch_execnz .LBB1258_670
.LBB1258_619:                           ;   in Loop: Header=BB1258_611 Depth=2
	s_or_b32 exec_lo, exec_lo, s11
	s_delay_alu instid0(SALU_CYCLE_1)
	s_mov_b32 s11, exec_lo
	v_cmpx_gt_u32_e64 s1, v83
	s_cbranch_execz .LBB1258_671
.LBB1258_620:                           ;   in Loop: Header=BB1258_611 Depth=2
	global_load_b64 v[24:25], v127, s[8:9]
	s_or_b32 exec_lo, exec_lo, s11
	s_delay_alu instid0(SALU_CYCLE_1)
	s_mov_b32 s11, exec_lo
	v_cmpx_gt_u32_e64 s1, v84
	s_cbranch_execnz .LBB1258_672
.LBB1258_621:                           ;   in Loop: Header=BB1258_611 Depth=2
	s_or_b32 exec_lo, exec_lo, s11
	s_delay_alu instid0(SALU_CYCLE_1)
	s_mov_b32 s11, exec_lo
	v_cmpx_gt_u32_e64 s1, v85
	s_cbranch_execz .LBB1258_673
.LBB1258_622:                           ;   in Loop: Header=BB1258_611 Depth=2
	global_load_b64 v[20:21], v129, s[8:9]
	s_or_b32 exec_lo, exec_lo, s11
	s_delay_alu instid0(SALU_CYCLE_1)
	s_mov_b32 s11, exec_lo
	v_cmpx_gt_u32_e64 s1, v86
	s_cbranch_execnz .LBB1258_674
.LBB1258_623:                           ;   in Loop: Header=BB1258_611 Depth=2
	s_or_b32 exec_lo, exec_lo, s11
	s_delay_alu instid0(SALU_CYCLE_1)
	s_mov_b32 s11, exec_lo
	v_cmpx_gt_u32_e64 s1, v87
	s_cbranch_execz .LBB1258_675
.LBB1258_624:                           ;   in Loop: Header=BB1258_611 Depth=2
	global_load_b64 v[16:17], v131, s[8:9]
	s_or_b32 exec_lo, exec_lo, s11
	s_delay_alu instid0(SALU_CYCLE_1)
	s_mov_b32 s11, exec_lo
	v_cmpx_gt_u32_e64 s1, v88
	s_cbranch_execnz .LBB1258_676
.LBB1258_625:                           ;   in Loop: Header=BB1258_611 Depth=2
	s_or_b32 exec_lo, exec_lo, s11
	s_delay_alu instid0(SALU_CYCLE_1)
	s_mov_b32 s11, exec_lo
	v_cmpx_gt_u32_e64 s1, v89
	s_cbranch_execz .LBB1258_677
.LBB1258_626:                           ;   in Loop: Header=BB1258_611 Depth=2
	global_load_b64 v[12:13], v133, s[8:9]
	s_or_b32 exec_lo, exec_lo, s11
	s_delay_alu instid0(SALU_CYCLE_1)
	s_mov_b32 s11, exec_lo
	v_cmpx_gt_u32_e64 s1, v90
	s_cbranch_execnz .LBB1258_678
.LBB1258_627:                           ;   in Loop: Header=BB1258_611 Depth=2
	s_or_b32 exec_lo, exec_lo, s11
	s_delay_alu instid0(SALU_CYCLE_1)
	s_mov_b32 s11, exec_lo
	v_cmpx_gt_u32_e64 s1, v91
	s_cbranch_execz .LBB1258_679
.LBB1258_628:                           ;   in Loop: Header=BB1258_611 Depth=2
	global_load_b64 v[8:9], v135, s[8:9]
	s_or_b32 exec_lo, exec_lo, s11
	s_delay_alu instid0(SALU_CYCLE_1)
	s_mov_b32 s11, exec_lo
	v_cmpx_gt_u32_e64 s1, v92
	s_cbranch_execnz .LBB1258_680
.LBB1258_629:                           ;   in Loop: Header=BB1258_611 Depth=2
	s_or_b32 exec_lo, exec_lo, s11
	s_delay_alu instid0(SALU_CYCLE_1)
	s_mov_b32 s11, exec_lo
	v_cmpx_gt_u32_e64 s1, v93
	s_cbranch_execz .LBB1258_631
.LBB1258_630:                           ;   in Loop: Header=BB1258_611 Depth=2
	v_lshlrev_b32_e32 v2, 3, v93
	global_load_b64 v[4:5], v2, s[8:9]
.LBB1258_631:                           ;   in Loop: Header=BB1258_611 Depth=2
	s_or_b32 exec_lo, exec_lo, s11
	s_delay_alu instid0(SALU_CYCLE_1)
	s_mov_b32 s12, exec_lo
                                        ; implicit-def: $sgpr11
                                        ; implicit-def: $vgpr36_vgpr37
	v_cmpx_gt_u32_e64 s1, v95
; %bb.632:                              ;   in Loop: Header=BB1258_611 Depth=2
	v_lshlrev_b32_e32 v2, 3, v95
	s_sub_i32 s11, s61, s34
	s_or_b32 s10, s10, exec_lo
                                        ; implicit-def: $vgpr34_vgpr35
	s_delay_alu instid0(VALU_DEP_1) | instskip(NEXT) | instid1(VALU_DEP_1)
	v_add_co_u32 v36, s8, s8, v2
	v_add_co_ci_u32_e64 v37, null, s9, 0, s8
; %bb.633:                              ;   in Loop: Header=BB1258_611 Depth=2
	s_or_b32 exec_lo, exec_lo, s12
	s_waitcnt vmcnt(0)
	v_dual_mov_b32 v39, v33 :: v_dual_mov_b32 v38, v32
	v_dual_mov_b32 v41, v31 :: v_dual_mov_b32 v40, v30
	;; [unrolled: 1-line block ×15, first 2 shown]
	v_mov_b32_e32 v2, s1
	s_and_saveexec_b32 s8, s10
	s_cbranch_execz .LBB1258_635
.LBB1258_634:                           ;   in Loop: Header=BB1258_611 Depth=2
	global_load_b64 v[34:35], v[36:37], off
	s_waitcnt vmcnt(1)
	v_mov_b32_e32 v4, v66
	v_mov_b32_e32 v6, v64
	;; [unrolled: 1-line block ×14, first 2 shown]
	v_dual_mov_b32 v32, v38 :: v_dual_mov_b32 v33, v39
	v_dual_mov_b32 v2, s11 :: v_dual_mov_b32 v5, v67
	v_mov_b32_e32 v7, v65
	v_mov_b32_e32 v9, v61
	;; [unrolled: 1-line block ×13, first 2 shown]
.LBB1258_635:                           ;   in Loop: Header=BB1258_611 Depth=2
	s_or_b32 exec_lo, exec_lo, s8
	s_delay_alu instid0(SALU_CYCLE_1)
	s_mov_b32 s8, exec_lo
	v_cmpx_lt_u32_e64 v1, v2
	s_cbranch_execz .LBB1258_651
; %bb.636:                              ;   in Loop: Header=BB1258_611 Depth=2
	v_cmp_lt_i64_e32 vcc_lo, -1, v[32:33]
	s_waitcnt vmcnt(14)
	v_ashrrev_i32_e32 v38, 31, v33
	v_cndmask_b32_e64 v36, -1, 0x80000000, vcc_lo
	s_delay_alu instid0(VALU_DEP_1) | instskip(NEXT) | instid1(VALU_DEP_3)
	v_xor_b32_e32 v37, v36, v33
	v_xor_b32_e32 v36, v38, v32
	s_delay_alu instid0(VALU_DEP_1) | instskip(SKIP_2) | instid1(VALU_DEP_1)
	v_cmp_ne_u64_e32 vcc_lo, s[38:39], v[36:37]
	v_cndmask_b32_e32 v37, 0x80000000, v37, vcc_lo
	v_cndmask_b32_e32 v36, 0, v36, vcc_lo
	v_lshrrev_b64 v[36:37], s40, v[36:37]
	v_lshlrev_b32_e32 v37, 2, v80
	s_delay_alu instid0(VALU_DEP_2) | instskip(NEXT) | instid1(VALU_DEP_1)
	v_and_b32_e32 v36, s42, v36
	v_lshl_or_b32 v36, v36, 4, v37
	ds_add_u32 v36, v123
	s_or_b32 exec_lo, exec_lo, s8
	s_delay_alu instid0(SALU_CYCLE_1)
	s_mov_b32 s8, exec_lo
	v_cmpx_lt_u32_e64 v77, v2
	s_cbranch_execnz .LBB1258_652
.LBB1258_637:                           ;   in Loop: Header=BB1258_611 Depth=2
	s_or_b32 exec_lo, exec_lo, s8
	s_delay_alu instid0(SALU_CYCLE_1)
	s_mov_b32 s8, exec_lo
	v_cmpx_lt_u32_e64 v78, v2
	s_cbranch_execz .LBB1258_653
.LBB1258_638:                           ;   in Loop: Header=BB1258_611 Depth=2
	v_cmp_lt_i64_e32 vcc_lo, -1, v[28:29]
	s_waitcnt vmcnt(14)
	v_ashrrev_i32_e32 v38, 31, v29
	v_cndmask_b32_e64 v36, -1, 0x80000000, vcc_lo
	s_delay_alu instid0(VALU_DEP_1) | instskip(NEXT) | instid1(VALU_DEP_3)
	v_xor_b32_e32 v37, v36, v29
	v_xor_b32_e32 v36, v38, v28
	s_delay_alu instid0(VALU_DEP_1) | instskip(SKIP_2) | instid1(VALU_DEP_1)
	v_cmp_ne_u64_e32 vcc_lo, s[38:39], v[36:37]
	v_cndmask_b32_e32 v37, 0x80000000, v37, vcc_lo
	v_cndmask_b32_e32 v36, 0, v36, vcc_lo
	v_lshrrev_b64 v[36:37], s40, v[36:37]
	v_lshlrev_b32_e32 v37, 2, v80
	s_delay_alu instid0(VALU_DEP_2) | instskip(NEXT) | instid1(VALU_DEP_1)
	v_and_b32_e32 v36, s42, v36
	v_lshl_or_b32 v36, v36, 4, v37
	ds_add_u32 v36, v123
	s_or_b32 exec_lo, exec_lo, s8
	s_delay_alu instid0(SALU_CYCLE_1)
	s_mov_b32 s8, exec_lo
	v_cmpx_lt_u32_e64 v79, v2
	s_cbranch_execnz .LBB1258_654
.LBB1258_639:                           ;   in Loop: Header=BB1258_611 Depth=2
	s_or_b32 exec_lo, exec_lo, s8
	s_delay_alu instid0(SALU_CYCLE_1)
	s_mov_b32 s8, exec_lo
	v_cmpx_lt_u32_e64 v83, v2
	s_cbranch_execz .LBB1258_655
.LBB1258_640:                           ;   in Loop: Header=BB1258_611 Depth=2
	v_cmp_lt_i64_e32 vcc_lo, -1, v[24:25]
	s_waitcnt vmcnt(14)
	v_ashrrev_i32_e32 v38, 31, v25
	v_cndmask_b32_e64 v36, -1, 0x80000000, vcc_lo
	s_delay_alu instid0(VALU_DEP_1) | instskip(NEXT) | instid1(VALU_DEP_3)
	v_xor_b32_e32 v37, v36, v25
	v_xor_b32_e32 v36, v38, v24
	s_delay_alu instid0(VALU_DEP_1) | instskip(SKIP_2) | instid1(VALU_DEP_1)
	v_cmp_ne_u64_e32 vcc_lo, s[38:39], v[36:37]
	v_cndmask_b32_e32 v37, 0x80000000, v37, vcc_lo
	v_cndmask_b32_e32 v36, 0, v36, vcc_lo
	v_lshrrev_b64 v[36:37], s40, v[36:37]
	v_lshlrev_b32_e32 v37, 2, v80
	s_delay_alu instid0(VALU_DEP_2) | instskip(NEXT) | instid1(VALU_DEP_1)
	v_and_b32_e32 v36, s42, v36
	v_lshl_or_b32 v36, v36, 4, v37
	ds_add_u32 v36, v123
	s_or_b32 exec_lo, exec_lo, s8
	s_delay_alu instid0(SALU_CYCLE_1)
	s_mov_b32 s8, exec_lo
	v_cmpx_lt_u32_e64 v84, v2
	s_cbranch_execnz .LBB1258_656
.LBB1258_641:                           ;   in Loop: Header=BB1258_611 Depth=2
	s_or_b32 exec_lo, exec_lo, s8
	s_delay_alu instid0(SALU_CYCLE_1)
	s_mov_b32 s8, exec_lo
	v_cmpx_lt_u32_e64 v85, v2
	s_cbranch_execz .LBB1258_657
.LBB1258_642:                           ;   in Loop: Header=BB1258_611 Depth=2
	v_cmp_lt_i64_e32 vcc_lo, -1, v[20:21]
	s_waitcnt vmcnt(14)
	v_ashrrev_i32_e32 v38, 31, v21
	v_cndmask_b32_e64 v36, -1, 0x80000000, vcc_lo
	s_delay_alu instid0(VALU_DEP_1) | instskip(NEXT) | instid1(VALU_DEP_3)
	v_xor_b32_e32 v37, v36, v21
	v_xor_b32_e32 v36, v38, v20
	s_delay_alu instid0(VALU_DEP_1) | instskip(SKIP_2) | instid1(VALU_DEP_1)
	v_cmp_ne_u64_e32 vcc_lo, s[38:39], v[36:37]
	v_cndmask_b32_e32 v37, 0x80000000, v37, vcc_lo
	v_cndmask_b32_e32 v36, 0, v36, vcc_lo
	v_lshrrev_b64 v[36:37], s40, v[36:37]
	v_lshlrev_b32_e32 v37, 2, v80
	s_delay_alu instid0(VALU_DEP_2) | instskip(NEXT) | instid1(VALU_DEP_1)
	v_and_b32_e32 v36, s42, v36
	v_lshl_or_b32 v36, v36, 4, v37
	ds_add_u32 v36, v123
	s_or_b32 exec_lo, exec_lo, s8
	s_delay_alu instid0(SALU_CYCLE_1)
	s_mov_b32 s8, exec_lo
	v_cmpx_lt_u32_e64 v86, v2
	s_cbranch_execnz .LBB1258_658
.LBB1258_643:                           ;   in Loop: Header=BB1258_611 Depth=2
	s_or_b32 exec_lo, exec_lo, s8
	s_delay_alu instid0(SALU_CYCLE_1)
	s_mov_b32 s8, exec_lo
	v_cmpx_lt_u32_e64 v87, v2
	s_cbranch_execz .LBB1258_659
.LBB1258_644:                           ;   in Loop: Header=BB1258_611 Depth=2
	v_cmp_lt_i64_e32 vcc_lo, -1, v[16:17]
	s_waitcnt vmcnt(14)
	v_ashrrev_i32_e32 v38, 31, v17
	v_cndmask_b32_e64 v36, -1, 0x80000000, vcc_lo
	s_delay_alu instid0(VALU_DEP_1) | instskip(NEXT) | instid1(VALU_DEP_3)
	v_xor_b32_e32 v37, v36, v17
	v_xor_b32_e32 v36, v38, v16
	s_delay_alu instid0(VALU_DEP_1) | instskip(SKIP_2) | instid1(VALU_DEP_1)
	v_cmp_ne_u64_e32 vcc_lo, s[38:39], v[36:37]
	v_cndmask_b32_e32 v37, 0x80000000, v37, vcc_lo
	v_cndmask_b32_e32 v36, 0, v36, vcc_lo
	v_lshrrev_b64 v[36:37], s40, v[36:37]
	v_lshlrev_b32_e32 v37, 2, v80
	s_delay_alu instid0(VALU_DEP_2) | instskip(NEXT) | instid1(VALU_DEP_1)
	v_and_b32_e32 v36, s42, v36
	v_lshl_or_b32 v36, v36, 4, v37
	ds_add_u32 v36, v123
	s_or_b32 exec_lo, exec_lo, s8
	s_delay_alu instid0(SALU_CYCLE_1)
	s_mov_b32 s8, exec_lo
	v_cmpx_lt_u32_e64 v88, v2
	s_cbranch_execnz .LBB1258_660
.LBB1258_645:                           ;   in Loop: Header=BB1258_611 Depth=2
	s_or_b32 exec_lo, exec_lo, s8
	s_delay_alu instid0(SALU_CYCLE_1)
	s_mov_b32 s8, exec_lo
	v_cmpx_lt_u32_e64 v89, v2
	s_cbranch_execz .LBB1258_661
.LBB1258_646:                           ;   in Loop: Header=BB1258_611 Depth=2
	v_cmp_lt_i64_e32 vcc_lo, -1, v[12:13]
	s_waitcnt vmcnt(14)
	v_ashrrev_i32_e32 v38, 31, v13
	v_cndmask_b32_e64 v36, -1, 0x80000000, vcc_lo
	s_delay_alu instid0(VALU_DEP_1) | instskip(NEXT) | instid1(VALU_DEP_3)
	v_xor_b32_e32 v37, v36, v13
	v_xor_b32_e32 v36, v38, v12
	s_delay_alu instid0(VALU_DEP_1) | instskip(SKIP_2) | instid1(VALU_DEP_1)
	v_cmp_ne_u64_e32 vcc_lo, s[38:39], v[36:37]
	v_cndmask_b32_e32 v37, 0x80000000, v37, vcc_lo
	v_cndmask_b32_e32 v36, 0, v36, vcc_lo
	v_lshrrev_b64 v[36:37], s40, v[36:37]
	v_lshlrev_b32_e32 v37, 2, v80
	s_delay_alu instid0(VALU_DEP_2) | instskip(NEXT) | instid1(VALU_DEP_1)
	v_and_b32_e32 v36, s42, v36
	v_lshl_or_b32 v36, v36, 4, v37
	ds_add_u32 v36, v123
	s_or_b32 exec_lo, exec_lo, s8
	s_delay_alu instid0(SALU_CYCLE_1)
	s_mov_b32 s8, exec_lo
	v_cmpx_lt_u32_e64 v90, v2
	s_cbranch_execnz .LBB1258_662
.LBB1258_647:                           ;   in Loop: Header=BB1258_611 Depth=2
	s_or_b32 exec_lo, exec_lo, s8
	s_delay_alu instid0(SALU_CYCLE_1)
	s_mov_b32 s8, exec_lo
	v_cmpx_lt_u32_e64 v91, v2
	s_cbranch_execz .LBB1258_663
.LBB1258_648:                           ;   in Loop: Header=BB1258_611 Depth=2
	v_cmp_lt_i64_e32 vcc_lo, -1, v[8:9]
	s_waitcnt vmcnt(14)
	v_ashrrev_i32_e32 v38, 31, v9
	v_cndmask_b32_e64 v36, -1, 0x80000000, vcc_lo
	s_delay_alu instid0(VALU_DEP_1) | instskip(NEXT) | instid1(VALU_DEP_3)
	v_xor_b32_e32 v37, v36, v9
	v_xor_b32_e32 v36, v38, v8
	s_delay_alu instid0(VALU_DEP_1) | instskip(SKIP_2) | instid1(VALU_DEP_1)
	v_cmp_ne_u64_e32 vcc_lo, s[38:39], v[36:37]
	v_cndmask_b32_e32 v37, 0x80000000, v37, vcc_lo
	v_cndmask_b32_e32 v36, 0, v36, vcc_lo
	v_lshrrev_b64 v[36:37], s40, v[36:37]
	v_lshlrev_b32_e32 v37, 2, v80
	s_delay_alu instid0(VALU_DEP_2) | instskip(NEXT) | instid1(VALU_DEP_1)
	v_and_b32_e32 v36, s42, v36
	v_lshl_or_b32 v36, v36, 4, v37
	ds_add_u32 v36, v123
	s_or_b32 exec_lo, exec_lo, s8
	s_delay_alu instid0(SALU_CYCLE_1)
	s_mov_b32 s8, exec_lo
	v_cmpx_lt_u32_e64 v92, v2
	s_cbranch_execnz .LBB1258_664
.LBB1258_649:                           ;   in Loop: Header=BB1258_611 Depth=2
	s_or_b32 exec_lo, exec_lo, s8
	s_delay_alu instid0(SALU_CYCLE_1)
	s_mov_b32 s8, exec_lo
	v_cmpx_lt_u32_e64 v93, v2
	s_cbranch_execz .LBB1258_665
.LBB1258_650:                           ;   in Loop: Header=BB1258_611 Depth=2
	v_cmp_lt_i64_e32 vcc_lo, -1, v[4:5]
	s_waitcnt vmcnt(14)
	v_ashrrev_i32_e32 v38, 31, v5
	v_cndmask_b32_e64 v36, -1, 0x80000000, vcc_lo
	s_delay_alu instid0(VALU_DEP_1) | instskip(NEXT) | instid1(VALU_DEP_3)
	v_xor_b32_e32 v37, v36, v5
	v_xor_b32_e32 v36, v38, v4
	s_delay_alu instid0(VALU_DEP_1) | instskip(SKIP_2) | instid1(VALU_DEP_1)
	v_cmp_ne_u64_e32 vcc_lo, s[38:39], v[36:37]
	v_cndmask_b32_e32 v37, 0x80000000, v37, vcc_lo
	v_cndmask_b32_e32 v36, 0, v36, vcc_lo
	v_lshrrev_b64 v[36:37], s40, v[36:37]
	v_lshlrev_b32_e32 v37, 2, v80
	s_delay_alu instid0(VALU_DEP_2) | instskip(NEXT) | instid1(VALU_DEP_1)
	v_and_b32_e32 v36, s42, v36
	v_lshl_or_b32 v36, v36, 4, v37
	ds_add_u32 v36, v123
	s_or_b32 exec_lo, exec_lo, s8
	s_delay_alu instid0(SALU_CYCLE_1)
	s_mov_b32 s8, exec_lo
	v_cmpx_lt_u32_e64 v95, v2
	s_cbranch_execz .LBB1258_610
	s_branch .LBB1258_666
.LBB1258_651:                           ;   in Loop: Header=BB1258_611 Depth=2
	s_or_b32 exec_lo, exec_lo, s8
	s_delay_alu instid0(SALU_CYCLE_1)
	s_mov_b32 s8, exec_lo
	v_cmpx_lt_u32_e64 v77, v2
	s_cbranch_execz .LBB1258_637
.LBB1258_652:                           ;   in Loop: Header=BB1258_611 Depth=2
	v_cmp_lt_i64_e32 vcc_lo, -1, v[30:31]
	s_waitcnt vmcnt(14)
	v_ashrrev_i32_e32 v38, 31, v31
	v_cndmask_b32_e64 v36, -1, 0x80000000, vcc_lo
	s_delay_alu instid0(VALU_DEP_1) | instskip(NEXT) | instid1(VALU_DEP_3)
	v_xor_b32_e32 v37, v36, v31
	v_xor_b32_e32 v36, v38, v30
	s_delay_alu instid0(VALU_DEP_1) | instskip(SKIP_2) | instid1(VALU_DEP_1)
	v_cmp_ne_u64_e32 vcc_lo, s[38:39], v[36:37]
	v_cndmask_b32_e32 v37, 0x80000000, v37, vcc_lo
	v_cndmask_b32_e32 v36, 0, v36, vcc_lo
	v_lshrrev_b64 v[36:37], s40, v[36:37]
	v_lshlrev_b32_e32 v37, 2, v80
	s_delay_alu instid0(VALU_DEP_2) | instskip(NEXT) | instid1(VALU_DEP_1)
	v_and_b32_e32 v36, s42, v36
	v_lshl_or_b32 v36, v36, 4, v37
	ds_add_u32 v36, v123
	s_or_b32 exec_lo, exec_lo, s8
	s_delay_alu instid0(SALU_CYCLE_1)
	s_mov_b32 s8, exec_lo
	v_cmpx_lt_u32_e64 v78, v2
	s_cbranch_execnz .LBB1258_638
.LBB1258_653:                           ;   in Loop: Header=BB1258_611 Depth=2
	s_or_b32 exec_lo, exec_lo, s8
	s_delay_alu instid0(SALU_CYCLE_1)
	s_mov_b32 s8, exec_lo
	v_cmpx_lt_u32_e64 v79, v2
	s_cbranch_execz .LBB1258_639
.LBB1258_654:                           ;   in Loop: Header=BB1258_611 Depth=2
	v_cmp_lt_i64_e32 vcc_lo, -1, v[26:27]
	s_waitcnt vmcnt(14)
	v_ashrrev_i32_e32 v38, 31, v27
	v_cndmask_b32_e64 v36, -1, 0x80000000, vcc_lo
	s_delay_alu instid0(VALU_DEP_1) | instskip(NEXT) | instid1(VALU_DEP_3)
	v_xor_b32_e32 v37, v36, v27
	v_xor_b32_e32 v36, v38, v26
	s_delay_alu instid0(VALU_DEP_1) | instskip(SKIP_2) | instid1(VALU_DEP_1)
	v_cmp_ne_u64_e32 vcc_lo, s[38:39], v[36:37]
	v_cndmask_b32_e32 v37, 0x80000000, v37, vcc_lo
	v_cndmask_b32_e32 v36, 0, v36, vcc_lo
	v_lshrrev_b64 v[36:37], s40, v[36:37]
	v_lshlrev_b32_e32 v37, 2, v80
	s_delay_alu instid0(VALU_DEP_2) | instskip(NEXT) | instid1(VALU_DEP_1)
	v_and_b32_e32 v36, s42, v36
	v_lshl_or_b32 v36, v36, 4, v37
	ds_add_u32 v36, v123
	s_or_b32 exec_lo, exec_lo, s8
	s_delay_alu instid0(SALU_CYCLE_1)
	s_mov_b32 s8, exec_lo
	v_cmpx_lt_u32_e64 v83, v2
	s_cbranch_execnz .LBB1258_640
.LBB1258_655:                           ;   in Loop: Header=BB1258_611 Depth=2
	s_or_b32 exec_lo, exec_lo, s8
	s_delay_alu instid0(SALU_CYCLE_1)
	s_mov_b32 s8, exec_lo
	v_cmpx_lt_u32_e64 v84, v2
	s_cbranch_execz .LBB1258_641
.LBB1258_656:                           ;   in Loop: Header=BB1258_611 Depth=2
	v_cmp_lt_i64_e32 vcc_lo, -1, v[22:23]
	s_waitcnt vmcnt(14)
	v_ashrrev_i32_e32 v38, 31, v23
	v_cndmask_b32_e64 v36, -1, 0x80000000, vcc_lo
	s_delay_alu instid0(VALU_DEP_1) | instskip(NEXT) | instid1(VALU_DEP_3)
	v_xor_b32_e32 v37, v36, v23
	v_xor_b32_e32 v36, v38, v22
	s_delay_alu instid0(VALU_DEP_1) | instskip(SKIP_2) | instid1(VALU_DEP_1)
	v_cmp_ne_u64_e32 vcc_lo, s[38:39], v[36:37]
	v_cndmask_b32_e32 v37, 0x80000000, v37, vcc_lo
	v_cndmask_b32_e32 v36, 0, v36, vcc_lo
	v_lshrrev_b64 v[36:37], s40, v[36:37]
	v_lshlrev_b32_e32 v37, 2, v80
	s_delay_alu instid0(VALU_DEP_2) | instskip(NEXT) | instid1(VALU_DEP_1)
	v_and_b32_e32 v36, s42, v36
	v_lshl_or_b32 v36, v36, 4, v37
	ds_add_u32 v36, v123
	s_or_b32 exec_lo, exec_lo, s8
	s_delay_alu instid0(SALU_CYCLE_1)
	s_mov_b32 s8, exec_lo
	v_cmpx_lt_u32_e64 v85, v2
	s_cbranch_execnz .LBB1258_642
.LBB1258_657:                           ;   in Loop: Header=BB1258_611 Depth=2
	s_or_b32 exec_lo, exec_lo, s8
	s_delay_alu instid0(SALU_CYCLE_1)
	s_mov_b32 s8, exec_lo
	v_cmpx_lt_u32_e64 v86, v2
	s_cbranch_execz .LBB1258_643
.LBB1258_658:                           ;   in Loop: Header=BB1258_611 Depth=2
	v_cmp_lt_i64_e32 vcc_lo, -1, v[18:19]
	s_waitcnt vmcnt(14)
	v_ashrrev_i32_e32 v38, 31, v19
	v_cndmask_b32_e64 v36, -1, 0x80000000, vcc_lo
	s_delay_alu instid0(VALU_DEP_1) | instskip(NEXT) | instid1(VALU_DEP_3)
	v_xor_b32_e32 v37, v36, v19
	v_xor_b32_e32 v36, v38, v18
	s_delay_alu instid0(VALU_DEP_1) | instskip(SKIP_2) | instid1(VALU_DEP_1)
	v_cmp_ne_u64_e32 vcc_lo, s[38:39], v[36:37]
	v_cndmask_b32_e32 v37, 0x80000000, v37, vcc_lo
	v_cndmask_b32_e32 v36, 0, v36, vcc_lo
	v_lshrrev_b64 v[36:37], s40, v[36:37]
	v_lshlrev_b32_e32 v37, 2, v80
	s_delay_alu instid0(VALU_DEP_2) | instskip(NEXT) | instid1(VALU_DEP_1)
	v_and_b32_e32 v36, s42, v36
	v_lshl_or_b32 v36, v36, 4, v37
	ds_add_u32 v36, v123
	s_or_b32 exec_lo, exec_lo, s8
	s_delay_alu instid0(SALU_CYCLE_1)
	s_mov_b32 s8, exec_lo
	v_cmpx_lt_u32_e64 v87, v2
	s_cbranch_execnz .LBB1258_644
.LBB1258_659:                           ;   in Loop: Header=BB1258_611 Depth=2
	s_or_b32 exec_lo, exec_lo, s8
	s_delay_alu instid0(SALU_CYCLE_1)
	s_mov_b32 s8, exec_lo
	v_cmpx_lt_u32_e64 v88, v2
	s_cbranch_execz .LBB1258_645
.LBB1258_660:                           ;   in Loop: Header=BB1258_611 Depth=2
	v_cmp_lt_i64_e32 vcc_lo, -1, v[14:15]
	s_waitcnt vmcnt(14)
	v_ashrrev_i32_e32 v38, 31, v15
	v_cndmask_b32_e64 v36, -1, 0x80000000, vcc_lo
	s_delay_alu instid0(VALU_DEP_1) | instskip(NEXT) | instid1(VALU_DEP_3)
	v_xor_b32_e32 v37, v36, v15
	v_xor_b32_e32 v36, v38, v14
	s_delay_alu instid0(VALU_DEP_1) | instskip(SKIP_2) | instid1(VALU_DEP_1)
	v_cmp_ne_u64_e32 vcc_lo, s[38:39], v[36:37]
	v_cndmask_b32_e32 v37, 0x80000000, v37, vcc_lo
	v_cndmask_b32_e32 v36, 0, v36, vcc_lo
	v_lshrrev_b64 v[36:37], s40, v[36:37]
	v_lshlrev_b32_e32 v37, 2, v80
	s_delay_alu instid0(VALU_DEP_2) | instskip(NEXT) | instid1(VALU_DEP_1)
	v_and_b32_e32 v36, s42, v36
	v_lshl_or_b32 v36, v36, 4, v37
	ds_add_u32 v36, v123
	s_or_b32 exec_lo, exec_lo, s8
	s_delay_alu instid0(SALU_CYCLE_1)
	s_mov_b32 s8, exec_lo
	v_cmpx_lt_u32_e64 v89, v2
	s_cbranch_execnz .LBB1258_646
.LBB1258_661:                           ;   in Loop: Header=BB1258_611 Depth=2
	s_or_b32 exec_lo, exec_lo, s8
	s_delay_alu instid0(SALU_CYCLE_1)
	s_mov_b32 s8, exec_lo
	v_cmpx_lt_u32_e64 v90, v2
	s_cbranch_execz .LBB1258_647
.LBB1258_662:                           ;   in Loop: Header=BB1258_611 Depth=2
	v_cmp_lt_i64_e32 vcc_lo, -1, v[10:11]
	s_waitcnt vmcnt(14)
	v_ashrrev_i32_e32 v38, 31, v11
	v_cndmask_b32_e64 v36, -1, 0x80000000, vcc_lo
	s_delay_alu instid0(VALU_DEP_1) | instskip(NEXT) | instid1(VALU_DEP_3)
	v_xor_b32_e32 v37, v36, v11
	v_xor_b32_e32 v36, v38, v10
	s_delay_alu instid0(VALU_DEP_1) | instskip(SKIP_2) | instid1(VALU_DEP_1)
	v_cmp_ne_u64_e32 vcc_lo, s[38:39], v[36:37]
	v_cndmask_b32_e32 v37, 0x80000000, v37, vcc_lo
	v_cndmask_b32_e32 v36, 0, v36, vcc_lo
	v_lshrrev_b64 v[36:37], s40, v[36:37]
	v_lshlrev_b32_e32 v37, 2, v80
	s_delay_alu instid0(VALU_DEP_2) | instskip(NEXT) | instid1(VALU_DEP_1)
	v_and_b32_e32 v36, s42, v36
	v_lshl_or_b32 v36, v36, 4, v37
	ds_add_u32 v36, v123
	s_or_b32 exec_lo, exec_lo, s8
	s_delay_alu instid0(SALU_CYCLE_1)
	s_mov_b32 s8, exec_lo
	v_cmpx_lt_u32_e64 v91, v2
	s_cbranch_execnz .LBB1258_648
.LBB1258_663:                           ;   in Loop: Header=BB1258_611 Depth=2
	s_or_b32 exec_lo, exec_lo, s8
	s_delay_alu instid0(SALU_CYCLE_1)
	s_mov_b32 s8, exec_lo
	v_cmpx_lt_u32_e64 v92, v2
	s_cbranch_execz .LBB1258_649
.LBB1258_664:                           ;   in Loop: Header=BB1258_611 Depth=2
	v_cmp_lt_i64_e32 vcc_lo, -1, v[6:7]
	s_waitcnt vmcnt(14)
	v_ashrrev_i32_e32 v38, 31, v7
	v_cndmask_b32_e64 v36, -1, 0x80000000, vcc_lo
	s_delay_alu instid0(VALU_DEP_1) | instskip(NEXT) | instid1(VALU_DEP_3)
	v_xor_b32_e32 v37, v36, v7
	v_xor_b32_e32 v36, v38, v6
	s_delay_alu instid0(VALU_DEP_1) | instskip(SKIP_2) | instid1(VALU_DEP_1)
	v_cmp_ne_u64_e32 vcc_lo, s[38:39], v[36:37]
	v_cndmask_b32_e32 v37, 0x80000000, v37, vcc_lo
	v_cndmask_b32_e32 v36, 0, v36, vcc_lo
	v_lshrrev_b64 v[36:37], s40, v[36:37]
	v_lshlrev_b32_e32 v37, 2, v80
	s_delay_alu instid0(VALU_DEP_2) | instskip(NEXT) | instid1(VALU_DEP_1)
	v_and_b32_e32 v36, s42, v36
	v_lshl_or_b32 v36, v36, 4, v37
	ds_add_u32 v36, v123
	s_or_b32 exec_lo, exec_lo, s8
	s_delay_alu instid0(SALU_CYCLE_1)
	s_mov_b32 s8, exec_lo
	v_cmpx_lt_u32_e64 v93, v2
	s_cbranch_execnz .LBB1258_650
.LBB1258_665:                           ;   in Loop: Header=BB1258_611 Depth=2
	s_or_b32 exec_lo, exec_lo, s8
	s_delay_alu instid0(SALU_CYCLE_1)
	s_mov_b32 s8, exec_lo
	v_cmpx_lt_u32_e64 v95, v2
	s_cbranch_execz .LBB1258_610
.LBB1258_666:                           ;   in Loop: Header=BB1258_611 Depth=2
	s_waitcnt vmcnt(0)
	v_cmp_lt_i64_e32 vcc_lo, -1, v[34:35]
	v_ashrrev_i32_e32 v36, 31, v35
	s_delay_alu instid0(VALU_DEP_1) | instskip(SKIP_1) | instid1(VALU_DEP_1)
	v_xor_b32_e32 v36, v36, v34
	v_cndmask_b32_e64 v2, -1, 0x80000000, vcc_lo
	v_xor_b32_e32 v37, v2, v35
	s_delay_alu instid0(VALU_DEP_1) | instskip(SKIP_2) | instid1(VALU_DEP_1)
	v_cmp_ne_u64_e32 vcc_lo, s[38:39], v[36:37]
	v_cndmask_b32_e32 v37, 0x80000000, v37, vcc_lo
	v_cndmask_b32_e32 v36, 0, v36, vcc_lo
	v_lshrrev_b64 v[36:37], s40, v[36:37]
	s_delay_alu instid0(VALU_DEP_1) | instskip(SKIP_1) | instid1(VALU_DEP_1)
	v_and_b32_e32 v2, s42, v36
	v_lshlrev_b32_e32 v36, 2, v80
	v_lshl_or_b32 v2, v2, 4, v36
	ds_add_u32 v2, v123
	s_branch .LBB1258_610
.LBB1258_667:                           ;   in Loop: Header=BB1258_611 Depth=2
	s_or_b32 exec_lo, exec_lo, s11
	s_delay_alu instid0(SALU_CYCLE_1)
	s_mov_b32 s11, exec_lo
	v_cmpx_gt_u32_e64 s1, v77
	s_cbranch_execz .LBB1258_617
.LBB1258_668:                           ;   in Loop: Header=BB1258_611 Depth=2
	global_load_b64 v[30:31], v124, s[8:9] offset:2048
	s_or_b32 exec_lo, exec_lo, s11
	s_delay_alu instid0(SALU_CYCLE_1)
	s_mov_b32 s11, exec_lo
	v_cmpx_gt_u32_e64 s1, v78
	s_cbranch_execnz .LBB1258_618
.LBB1258_669:                           ;   in Loop: Header=BB1258_611 Depth=2
	s_or_b32 exec_lo, exec_lo, s11
	s_delay_alu instid0(SALU_CYCLE_1)
	s_mov_b32 s11, exec_lo
	v_cmpx_gt_u32_e64 s1, v79
	s_cbranch_execz .LBB1258_619
.LBB1258_670:                           ;   in Loop: Header=BB1258_611 Depth=2
	global_load_b64 v[26:27], v126, s[8:9]
	s_or_b32 exec_lo, exec_lo, s11
	s_delay_alu instid0(SALU_CYCLE_1)
	s_mov_b32 s11, exec_lo
	v_cmpx_gt_u32_e64 s1, v83
	s_cbranch_execnz .LBB1258_620
.LBB1258_671:                           ;   in Loop: Header=BB1258_611 Depth=2
	s_or_b32 exec_lo, exec_lo, s11
	s_delay_alu instid0(SALU_CYCLE_1)
	s_mov_b32 s11, exec_lo
	v_cmpx_gt_u32_e64 s1, v84
	s_cbranch_execz .LBB1258_621
.LBB1258_672:                           ;   in Loop: Header=BB1258_611 Depth=2
	global_load_b64 v[22:23], v128, s[8:9]
	s_or_b32 exec_lo, exec_lo, s11
	s_delay_alu instid0(SALU_CYCLE_1)
	s_mov_b32 s11, exec_lo
	v_cmpx_gt_u32_e64 s1, v85
	s_cbranch_execnz .LBB1258_622
.LBB1258_673:                           ;   in Loop: Header=BB1258_611 Depth=2
	s_or_b32 exec_lo, exec_lo, s11
	s_delay_alu instid0(SALU_CYCLE_1)
	s_mov_b32 s11, exec_lo
	v_cmpx_gt_u32_e64 s1, v86
	s_cbranch_execz .LBB1258_623
.LBB1258_674:                           ;   in Loop: Header=BB1258_611 Depth=2
	global_load_b64 v[18:19], v130, s[8:9]
	s_or_b32 exec_lo, exec_lo, s11
	s_delay_alu instid0(SALU_CYCLE_1)
	s_mov_b32 s11, exec_lo
	v_cmpx_gt_u32_e64 s1, v87
	s_cbranch_execnz .LBB1258_624
.LBB1258_675:                           ;   in Loop: Header=BB1258_611 Depth=2
	s_or_b32 exec_lo, exec_lo, s11
	s_delay_alu instid0(SALU_CYCLE_1)
	s_mov_b32 s11, exec_lo
	v_cmpx_gt_u32_e64 s1, v88
	s_cbranch_execz .LBB1258_625
.LBB1258_676:                           ;   in Loop: Header=BB1258_611 Depth=2
	global_load_b64 v[14:15], v132, s[8:9]
	s_or_b32 exec_lo, exec_lo, s11
	s_delay_alu instid0(SALU_CYCLE_1)
	s_mov_b32 s11, exec_lo
	v_cmpx_gt_u32_e64 s1, v89
	s_cbranch_execnz .LBB1258_626
.LBB1258_677:                           ;   in Loop: Header=BB1258_611 Depth=2
	s_or_b32 exec_lo, exec_lo, s11
	s_delay_alu instid0(SALU_CYCLE_1)
	s_mov_b32 s11, exec_lo
	v_cmpx_gt_u32_e64 s1, v90
	s_cbranch_execz .LBB1258_627
.LBB1258_678:                           ;   in Loop: Header=BB1258_611 Depth=2
	global_load_b64 v[10:11], v134, s[8:9]
	s_or_b32 exec_lo, exec_lo, s11
	s_delay_alu instid0(SALU_CYCLE_1)
	s_mov_b32 s11, exec_lo
	v_cmpx_gt_u32_e64 s1, v91
	s_cbranch_execnz .LBB1258_628
.LBB1258_679:                           ;   in Loop: Header=BB1258_611 Depth=2
	s_or_b32 exec_lo, exec_lo, s11
	s_delay_alu instid0(SALU_CYCLE_1)
	s_mov_b32 s11, exec_lo
	v_cmpx_gt_u32_e64 s1, v92
	s_cbranch_execz .LBB1258_629
.LBB1258_680:                           ;   in Loop: Header=BB1258_611 Depth=2
	v_lshlrev_b32_e32 v2, 3, v92
	global_load_b64 v[6:7], v2, s[8:9]
	s_or_b32 exec_lo, exec_lo, s11
	s_delay_alu instid0(SALU_CYCLE_1)
	s_mov_b32 s11, exec_lo
	v_cmpx_gt_u32_e64 s1, v93
	s_cbranch_execz .LBB1258_631
	s_branch .LBB1258_630
.LBB1258_681:                           ;   in Loop: Header=BB1258_17 Depth=1
	v_mov_b32_e32 v2, 0
	s_waitcnt vmcnt(0) lgkmcnt(0)
	s_barrier
	buffer_gl0_inv
	s_and_saveexec_b32 s1, s2
	s_cbranch_execz .LBB1258_683
; %bb.682:                              ;   in Loop: Header=BB1258_17 Depth=1
	ds_load_2addr_b64 v[4:7], v96 offset1:1
	s_waitcnt lgkmcnt(0)
	v_add_nc_u32_e32 v2, v5, v4
	s_delay_alu instid0(VALU_DEP_1)
	v_add3_u32 v2, v2, v6, v7
.LBB1258_683:                           ;   in Loop: Header=BB1258_17 Depth=1
	s_or_b32 exec_lo, exec_lo, s1
	v_and_b32_e32 v4, 15, v136
	s_delay_alu instid0(VALU_DEP_2) | instskip(SKIP_1) | instid1(VALU_DEP_3)
	v_mov_b32_dpp v5, v2 row_shr:1 row_mask:0xf bank_mask:0xf
	v_and_b32_e32 v6, 16, v136
	v_cmp_eq_u32_e64 s1, 0, v4
	v_cmp_lt_u32_e64 s7, 1, v4
	v_cmp_lt_u32_e64 s8, 3, v4
	;; [unrolled: 1-line block ×3, first 2 shown]
	v_cmp_eq_u32_e64 s10, 0, v6
	v_cndmask_b32_e64 v5, v5, 0, s1
	s_delay_alu instid0(VALU_DEP_1) | instskip(NEXT) | instid1(VALU_DEP_1)
	v_add_nc_u32_e32 v2, v5, v2
	v_mov_b32_dpp v5, v2 row_shr:2 row_mask:0xf bank_mask:0xf
	s_delay_alu instid0(VALU_DEP_1) | instskip(NEXT) | instid1(VALU_DEP_1)
	v_cndmask_b32_e64 v5, 0, v5, s7
	v_add_nc_u32_e32 v2, v2, v5
	s_delay_alu instid0(VALU_DEP_1) | instskip(NEXT) | instid1(VALU_DEP_1)
	v_mov_b32_dpp v5, v2 row_shr:4 row_mask:0xf bank_mask:0xf
	v_cndmask_b32_e64 v5, 0, v5, s8
	s_delay_alu instid0(VALU_DEP_1) | instskip(NEXT) | instid1(VALU_DEP_1)
	v_add_nc_u32_e32 v2, v2, v5
	v_mov_b32_dpp v5, v2 row_shr:8 row_mask:0xf bank_mask:0xf
	s_delay_alu instid0(VALU_DEP_1) | instskip(SKIP_1) | instid1(VALU_DEP_2)
	v_cndmask_b32_e64 v4, 0, v5, s9
	v_bfe_i32 v5, v136, 4, 1
	v_add_nc_u32_e32 v2, v2, v4
	ds_swizzle_b32 v4, v2 offset:swizzle(BROADCAST,32,15)
	s_waitcnt lgkmcnt(0)
	v_and_b32_e32 v4, v5, v4
	s_delay_alu instid0(VALU_DEP_1)
	v_add_nc_u32_e32 v4, v2, v4
	s_and_saveexec_b32 s11, s3
	s_cbranch_execz .LBB1258_685
; %bb.684:                              ;   in Loop: Header=BB1258_17 Depth=1
	ds_store_b32 v97, v4
.LBB1258_685:                           ;   in Loop: Header=BB1258_17 Depth=1
	s_or_b32 exec_lo, exec_lo, s11
	v_and_b32_e32 v2, 7, v136
	s_waitcnt lgkmcnt(0)
	s_barrier
	buffer_gl0_inv
	s_and_saveexec_b32 s11, s4
	s_cbranch_execz .LBB1258_687
; %bb.686:                              ;   in Loop: Header=BB1258_17 Depth=1
	ds_load_b32 v5, v98
	v_cmp_ne_u32_e32 vcc_lo, 0, v2
	s_waitcnt lgkmcnt(0)
	v_mov_b32_dpp v6, v5 row_shr:1 row_mask:0xf bank_mask:0xf
	s_delay_alu instid0(VALU_DEP_1) | instskip(SKIP_1) | instid1(VALU_DEP_2)
	v_cndmask_b32_e32 v6, 0, v6, vcc_lo
	v_cmp_lt_u32_e32 vcc_lo, 1, v2
	v_add_nc_u32_e32 v5, v6, v5
	s_delay_alu instid0(VALU_DEP_1) | instskip(NEXT) | instid1(VALU_DEP_1)
	v_mov_b32_dpp v6, v5 row_shr:2 row_mask:0xf bank_mask:0xf
	v_cndmask_b32_e32 v6, 0, v6, vcc_lo
	v_cmp_lt_u32_e32 vcc_lo, 3, v2
	s_delay_alu instid0(VALU_DEP_2) | instskip(NEXT) | instid1(VALU_DEP_1)
	v_add_nc_u32_e32 v5, v5, v6
	v_mov_b32_dpp v6, v5 row_shr:4 row_mask:0xf bank_mask:0xf
	s_delay_alu instid0(VALU_DEP_1) | instskip(NEXT) | instid1(VALU_DEP_1)
	v_cndmask_b32_e32 v6, 0, v6, vcc_lo
	v_add_nc_u32_e32 v5, v5, v6
	ds_store_b32 v98, v5
.LBB1258_687:                           ;   in Loop: Header=BB1258_17 Depth=1
	s_or_b32 exec_lo, exec_lo, s11
	v_mov_b32_e32 v5, 0
	s_waitcnt lgkmcnt(0)
	s_barrier
	buffer_gl0_inv
	s_and_saveexec_b32 s11, s5
	s_cbranch_execz .LBB1258_689
; %bb.688:                              ;   in Loop: Header=BB1258_17 Depth=1
	ds_load_b32 v5, v99
.LBB1258_689:                           ;   in Loop: Header=BB1258_17 Depth=1
	s_or_b32 exec_lo, exec_lo, s11
	v_add_nc_u32_e32 v6, -1, v136
	s_waitcnt lgkmcnt(0)
	v_add_nc_u32_e32 v4, v5, v4
	v_cmp_eq_u32_e64 s11, 0, v136
	s_barrier
	v_cmp_gt_i32_e32 vcc_lo, 0, v6
	buffer_gl0_inv
	v_cndmask_b32_e32 v6, v6, v136, vcc_lo
	s_delay_alu instid0(VALU_DEP_1)
	v_lshlrev_b32_e32 v137, 2, v6
	ds_bpermute_b32 v4, v137, v4
	s_and_saveexec_b32 s12, s2
	s_cbranch_execz .LBB1258_691
; %bb.690:                              ;   in Loop: Header=BB1258_17 Depth=1
	s_waitcnt lgkmcnt(0)
	v_cndmask_b32_e64 v4, v4, v5, s11
	s_delay_alu instid0(VALU_DEP_1)
	v_add_nc_u32_e32 v4, s60, v4
	ds_store_b32 v76, v4
.LBB1258_691:                           ;   in Loop: Header=BB1258_17 Depth=1
	s_or_b32 exec_lo, exec_lo, s12
	s_load_b64 s[12:13], s[36:37], 0x0
	v_lshlrev_b32_e32 v7, 3, v136
	v_or_b32_e32 v138, v136, v100
	s_mov_b32 s43, s62
	s_mov_b32 s34, s60
                                        ; implicit-def: $vgpr8_vgpr9
                                        ; implicit-def: $vgpr10_vgpr11
                                        ; implicit-def: $vgpr12_vgpr13
                                        ; implicit-def: $vgpr14_vgpr15
                                        ; implicit-def: $vgpr16_vgpr17
                                        ; implicit-def: $vgpr18_vgpr19
                                        ; implicit-def: $vgpr20_vgpr21
                                        ; implicit-def: $vgpr22_vgpr23
                                        ; implicit-def: $vgpr24_vgpr25
                                        ; implicit-def: $vgpr26_vgpr27
                                        ; implicit-def: $vgpr28_vgpr29
                                        ; implicit-def: $vgpr30_vgpr31
                                        ; implicit-def: $vgpr32_vgpr33
                                        ; implicit-def: $vgpr34_vgpr35
                                        ; implicit-def: $vgpr161
                                        ; implicit-def: $vgpr162
                                        ; implicit-def: $vgpr163
                                        ; implicit-def: $vgpr164
                                        ; implicit-def: $vgpr165
                                        ; implicit-def: $vgpr166
                                        ; implicit-def: $vgpr167
                                        ; implicit-def: $vgpr168
                                        ; implicit-def: $vgpr169
                                        ; implicit-def: $vgpr170
                                        ; implicit-def: $vgpr171
                                        ; implicit-def: $vgpr172
                                        ; implicit-def: $vgpr173
                                        ; implicit-def: $vgpr174
                                        ; implicit-def: $vgpr175
                                        ; implicit-def: $vgpr176
	s_delay_alu instid0(VALU_DEP_2) | instskip(SKIP_4) | instid1(VALU_DEP_3)
	v_add_co_u32 v139, vcc_lo, v119, v7
	v_add_co_ci_u32_e32 v140, vcc_lo, 0, v120, vcc_lo
	v_add_co_u32 v156, vcc_lo, v121, v7
	v_add_co_ci_u32_e32 v157, vcc_lo, 0, v122, vcc_lo
	v_or_b32_e32 v141, 32, v138
	v_add_co_u32 v159, vcc_lo, 0xf00, v156
	v_or_b32_e32 v142, 64, v138
	v_or_b32_e32 v143, 0x60, v138
	;; [unrolled: 1-line block ×3, first 2 shown]
	s_waitcnt lgkmcnt(0)
	s_cmp_lt_u32 s15, s13
	v_or_b32_e32 v145, 0xa0, v138
	s_cselect_b32 s13, 14, 20
	v_or_b32_e32 v146, 0xc0, v138
	s_add_u32 s16, s36, s13
	s_addc_u32 s17, s37, 0
	s_cmp_lt_u32 s14, s12
	global_load_u16 v4, v3, s[16:17]
	s_cselect_b32 s12, 12, 18
	v_or_b32_e32 v147, 0xe0, v138
	s_add_u32 s12, s36, s12
	s_addc_u32 s13, s37, 0
	v_or_b32_e32 v148, 0x100, v138
	global_load_u16 v6, v3, s[12:13]
	v_cmp_eq_u32_e64 s12, 0, v2
	v_cmp_lt_u32_e64 s13, 1, v2
	v_cmp_lt_u32_e64 s16, 3, v2
	v_or_b32_e32 v149, 0x120, v138
	v_or_b32_e32 v150, 0x140, v138
	;; [unrolled: 1-line block ×7, first 2 shown]
	v_add_co_ci_u32_e32 v160, vcc_lo, 0, v157, vcc_lo
	s_waitcnt vmcnt(1)
	v_mad_u32_u24 v2, v101, v4, v0
	s_waitcnt vmcnt(0)
	s_delay_alu instid0(VALU_DEP_1) | instskip(NEXT) | instid1(VALU_DEP_1)
	v_mad_u64_u32 v[4:5], null, v2, v6, v[1:2]
                                        ; implicit-def: $vgpr6_vgpr7
	v_lshrrev_b32_e32 v158, 5, v4
                                        ; implicit-def: $vgpr4_vgpr5
	s_branch .LBB1258_693
.LBB1258_692:                           ;   in Loop: Header=BB1258_693 Depth=2
	s_or_b32 exec_lo, exec_lo, s17
	s_addk_i32 s43, 0xf000
	s_cmp_lt_u32 s50, s61
	s_mov_b32 s34, s50
	s_cbranch_scc0 .LBB1258_901
.LBB1258_693:                           ;   Parent Loop BB1258_17 Depth=1
                                        ; =>  This Inner Loop Header: Depth=2
	s_add_i32 s50, s34, 0x1000
	s_delay_alu instid0(SALU_CYCLE_1)
	s_cmp_gt_u32 s50, s61
	s_cbranch_scc1 .LBB1258_695
; %bb.694:                              ;   in Loop: Header=BB1258_693 Depth=2
	s_mov_b32 s19, 0
	s_mov_b32 s18, s34
	s_movk_i32 s17, 0x1000
	s_lshl_b64 s[20:21], s[18:19], 3
	s_delay_alu instid0(SALU_CYCLE_1)
	v_add_co_u32 v40, vcc_lo, v156, s20
	v_add_co_ci_u32_e32 v41, vcc_lo, s21, v157, vcc_lo
	s_mov_b32 s20, -1
	s_clause 0xe
	global_load_b64 v[36:37], v[40:41], off
	global_load_b64 v[38:39], v[40:41], off offset:256
	global_load_b64 v[44:45], v[40:41], off offset:512
	;; [unrolled: 1-line block ×14, first 2 shown]
	s_cbranch_execz .LBB1258_696
	s_branch .LBB1258_727
.LBB1258_695:                           ;   in Loop: Header=BB1258_693 Depth=2
	s_mov_b32 s19, -1
	s_mov_b32 s20, 0
                                        ; implicit-def: $sgpr17
                                        ; implicit-def: $vgpr36_vgpr37
                                        ; implicit-def: $vgpr38_vgpr39
                                        ; implicit-def: $vgpr44_vgpr45
                                        ; implicit-def: $vgpr48_vgpr49
                                        ; implicit-def: $vgpr52_vgpr53
                                        ; implicit-def: $vgpr58_vgpr59
                                        ; implicit-def: $vgpr62_vgpr63
                                        ; implicit-def: $vgpr66_vgpr67
                                        ; implicit-def: $vgpr64_vgpr65
                                        ; implicit-def: $vgpr60_vgpr61
                                        ; implicit-def: $vgpr56_vgpr57
                                        ; implicit-def: $vgpr54_vgpr55
                                        ; implicit-def: $vgpr50_vgpr51
                                        ; implicit-def: $vgpr46_vgpr47
                                        ; implicit-def: $vgpr40_vgpr41
.LBB1258_696:                           ;   in Loop: Header=BB1258_693 Depth=2
	s_lshl_b64 s[18:19], s[34:35], 3
	s_waitcnt vmcnt(14)
	v_dual_mov_b32 v36, s38 :: v_dual_mov_b32 v37, s39
	v_add_co_u32 v42, vcc_lo, v156, s18
	v_add_co_ci_u32_e32 v43, vcc_lo, s19, v157, vcc_lo
	s_mov_b32 s17, exec_lo
	v_cmpx_gt_u32_e64 s43, v138
	s_cbranch_execz .LBB1258_698
; %bb.697:                              ;   in Loop: Header=BB1258_693 Depth=2
	global_load_b64 v[36:37], v[42:43], off
.LBB1258_698:                           ;   in Loop: Header=BB1258_693 Depth=2
	s_or_b32 exec_lo, exec_lo, s17
	s_waitcnt vmcnt(13)
	v_dual_mov_b32 v38, s38 :: v_dual_mov_b32 v39, s39
	s_mov_b32 s17, exec_lo
	v_cmpx_gt_u32_e64 s43, v141
	s_cbranch_execz .LBB1258_700
; %bb.699:                              ;   in Loop: Header=BB1258_693 Depth=2
	global_load_b64 v[38:39], v[42:43], off offset:256
.LBB1258_700:                           ;   in Loop: Header=BB1258_693 Depth=2
	s_or_b32 exec_lo, exec_lo, s17
	s_waitcnt vmcnt(12)
	v_dual_mov_b32 v45, s39 :: v_dual_mov_b32 v44, s38
	s_mov_b32 s17, exec_lo
	v_cmpx_gt_u32_e64 s43, v142
	s_cbranch_execz .LBB1258_702
; %bb.701:                              ;   in Loop: Header=BB1258_693 Depth=2
	global_load_b64 v[44:45], v[42:43], off offset:512
.LBB1258_702:                           ;   in Loop: Header=BB1258_693 Depth=2
	;; [unrolled: 9-line block ×14, first 2 shown]
	s_or_b32 exec_lo, exec_lo, s17
	v_cmp_gt_u32_e64 s20, s43, v155
	s_sub_i32 s17, s61, s34
	s_mov_b64 s[18:19], s[34:35]
.LBB1258_727:                           ;   in Loop: Header=BB1258_693 Depth=2
	v_dual_mov_b32 v43, s39 :: v_dual_mov_b32 v42, s38
	v_mov_b32_e32 v177, s43
	s_and_saveexec_b32 s21, s20
	s_cbranch_execz .LBB1258_729
; %bb.728:                              ;   in Loop: Header=BB1258_693 Depth=2
	s_lshl_b64 s[18:19], s[18:19], 3
	v_mov_b32_e32 v177, s17
	v_add_co_u32 v42, vcc_lo, v159, s18
	v_add_co_ci_u32_e32 v43, vcc_lo, s19, v160, vcc_lo
	global_load_b64 v[42:43], v[42:43], off
.LBB1258_729:                           ;   in Loop: Header=BB1258_693 Depth=2
	s_or_b32 exec_lo, exec_lo, s21
	s_waitcnt vmcnt(14)
	v_cmp_lt_i64_e32 vcc_lo, -1, v[36:37]
	v_ashrrev_i32_e32 v68, 31, v37
	ds_store_b32 v102, v3 offset:1056
	ds_store_2addr_b32 v103, v3, v3 offset0:1 offset1:2
	ds_store_2addr_b32 v103, v3, v3 offset0:3 offset1:4
	ds_store_2addr_b32 v103, v3, v3 offset0:5 offset1:6
	ds_store_2addr_b32 v103, v3, v3 offset0:7 offset1:8
	s_waitcnt vmcnt(0) lgkmcnt(0)
	s_barrier
	v_cndmask_b32_e64 v2, -1, 0x80000000, vcc_lo
	v_xor_b32_e32 v36, v68, v36
	buffer_gl0_inv
	; wave barrier
	v_xor_b32_e32 v37, v2, v37
	s_delay_alu instid0(VALU_DEP_1) | instskip(SKIP_2) | instid1(VALU_DEP_1)
	v_cmp_ne_u64_e32 vcc_lo, s[38:39], v[36:37]
	v_cndmask_b32_e32 v69, 0x80000000, v37, vcc_lo
	v_cndmask_b32_e32 v68, 0, v36, vcc_lo
	v_lshrrev_b64 v[68:69], s40, v[68:69]
	s_delay_alu instid0(VALU_DEP_1) | instskip(NEXT) | instid1(VALU_DEP_1)
	v_and_b32_e32 v69, s42, v68
	v_lshlrev_b32_e32 v71, 28, v69
	v_and_b32_e32 v2, 1, v69
	v_lshlrev_b32_e32 v68, 30, v69
	v_lshlrev_b32_e32 v70, 29, v69
	;; [unrolled: 1-line block ×4, first 2 shown]
	v_add_co_u32 v2, s17, v2, -1
	s_delay_alu instid0(VALU_DEP_1)
	v_cndmask_b32_e64 v72, 0, 1, s17
	v_not_b32_e32 v178, v68
	v_cmp_gt_i32_e64 s17, 0, v68
	v_not_b32_e32 v68, v70
	v_lshlrev_b32_e32 v75, 25, v69
	v_cmp_ne_u32_e32 vcc_lo, 0, v72
	v_ashrrev_i32_e32 v178, 31, v178
	v_lshlrev_b32_e32 v72, 24, v69
	v_ashrrev_i32_e32 v68, 31, v68
	v_mad_u32_u24 v69, v69, 9, v158
	v_xor_b32_e32 v2, vcc_lo, v2
	v_cmp_gt_i32_e32 vcc_lo, 0, v70
	v_not_b32_e32 v70, v71
	v_xor_b32_e32 v178, s17, v178
	v_cmp_gt_i32_e64 s17, 0, v71
	v_and_b32_e32 v2, exec_lo, v2
	v_not_b32_e32 v71, v73
	v_ashrrev_i32_e32 v70, 31, v70
	v_xor_b32_e32 v68, vcc_lo, v68
	v_cmp_gt_i32_e32 vcc_lo, 0, v73
	v_and_b32_e32 v2, v2, v178
	v_not_b32_e32 v73, v74
	v_ashrrev_i32_e32 v71, 31, v71
	v_xor_b32_e32 v70, s17, v70
	v_cmp_gt_i32_e64 s17, 0, v74
	v_and_b32_e32 v2, v2, v68
	v_not_b32_e32 v68, v75
	v_ashrrev_i32_e32 v73, 31, v73
	v_xor_b32_e32 v71, vcc_lo, v71
	v_cmp_gt_i32_e32 vcc_lo, 0, v75
	v_and_b32_e32 v2, v2, v70
	v_not_b32_e32 v70, v72
	v_ashrrev_i32_e32 v68, 31, v68
	v_xor_b32_e32 v73, s17, v73
	v_cmp_gt_i32_e64 s17, 0, v72
	v_and_b32_e32 v2, v2, v71
	v_ashrrev_i32_e32 v70, 31, v70
	v_xor_b32_e32 v68, vcc_lo, v68
	v_lshl_add_u32 v178, v69, 2, 0x420
	s_delay_alu instid0(VALU_DEP_4) | instskip(NEXT) | instid1(VALU_DEP_4)
	v_and_b32_e32 v2, v2, v73
	v_xor_b32_e32 v70, s17, v70
	s_delay_alu instid0(VALU_DEP_2) | instskip(NEXT) | instid1(VALU_DEP_1)
	v_and_b32_e32 v2, v2, v68
	v_and_b32_e32 v68, v2, v70
	s_delay_alu instid0(VALU_DEP_1) | instskip(SKIP_1) | instid1(VALU_DEP_2)
	v_mbcnt_lo_u32_b32 v2, v68, 0
	v_cmp_ne_u32_e64 s17, 0, v68
	v_cmp_eq_u32_e32 vcc_lo, 0, v2
	s_delay_alu instid0(VALU_DEP_2) | instskip(NEXT) | instid1(SALU_CYCLE_1)
	s_and_b32 s18, s17, vcc_lo
	s_and_saveexec_b32 s17, s18
	s_cbranch_execz .LBB1258_731
; %bb.730:                              ;   in Loop: Header=BB1258_693 Depth=2
	v_bcnt_u32_b32 v68, v68, 0
	ds_store_b32 v178, v68
.LBB1258_731:                           ;   in Loop: Header=BB1258_693 Depth=2
	s_or_b32 exec_lo, exec_lo, s17
	v_cmp_lt_i64_e32 vcc_lo, -1, v[38:39]
	v_ashrrev_i32_e32 v69, 31, v39
	; wave barrier
	s_delay_alu instid0(VALU_DEP_1) | instskip(SKIP_1) | instid1(VALU_DEP_1)
	v_xor_b32_e32 v38, v69, v38
	v_cndmask_b32_e64 v68, -1, 0x80000000, vcc_lo
	v_xor_b32_e32 v39, v68, v39
	s_delay_alu instid0(VALU_DEP_1) | instskip(SKIP_2) | instid1(VALU_DEP_1)
	v_cmp_ne_u64_e32 vcc_lo, s[38:39], v[38:39]
	v_cndmask_b32_e32 v69, 0x80000000, v39, vcc_lo
	v_cndmask_b32_e32 v68, 0, v38, vcc_lo
	v_lshrrev_b64 v[68:69], s40, v[68:69]
	s_delay_alu instid0(VALU_DEP_1) | instskip(NEXT) | instid1(VALU_DEP_1)
	v_and_b32_e32 v68, s42, v68
	v_and_b32_e32 v69, 1, v68
	v_lshlrev_b32_e32 v70, 30, v68
	v_lshlrev_b32_e32 v71, 29, v68
	;; [unrolled: 1-line block ×4, first 2 shown]
	v_add_co_u32 v69, s17, v69, -1
	s_delay_alu instid0(VALU_DEP_1)
	v_cndmask_b32_e64 v73, 0, 1, s17
	v_not_b32_e32 v180, v70
	v_cmp_gt_i32_e64 s17, 0, v70
	v_not_b32_e32 v70, v71
	v_lshlrev_b32_e32 v75, 26, v68
	v_cmp_ne_u32_e32 vcc_lo, 0, v73
	v_ashrrev_i32_e32 v180, 31, v180
	v_lshlrev_b32_e32 v179, 25, v68
	v_ashrrev_i32_e32 v70, 31, v70
	v_lshlrev_b32_e32 v73, 24, v68
	v_xor_b32_e32 v69, vcc_lo, v69
	v_cmp_gt_i32_e32 vcc_lo, 0, v71
	v_not_b32_e32 v71, v72
	v_xor_b32_e32 v180, s17, v180
	v_cmp_gt_i32_e64 s17, 0, v72
	v_and_b32_e32 v69, exec_lo, v69
	v_not_b32_e32 v72, v74
	v_ashrrev_i32_e32 v71, 31, v71
	v_xor_b32_e32 v70, vcc_lo, v70
	v_cmp_gt_i32_e32 vcc_lo, 0, v74
	v_and_b32_e32 v69, v69, v180
	v_not_b32_e32 v74, v75
	v_ashrrev_i32_e32 v72, 31, v72
	v_xor_b32_e32 v71, s17, v71
	v_cmp_gt_i32_e64 s17, 0, v75
	v_and_b32_e32 v69, v69, v70
	v_not_b32_e32 v70, v179
	v_ashrrev_i32_e32 v74, 31, v74
	v_xor_b32_e32 v72, vcc_lo, v72
	v_cmp_gt_i32_e32 vcc_lo, 0, v179
	v_and_b32_e32 v69, v69, v71
	v_not_b32_e32 v71, v73
	v_ashrrev_i32_e32 v70, 31, v70
	v_xor_b32_e32 v74, s17, v74
	v_mul_u32_u24_e32 v68, 9, v68
	v_and_b32_e32 v69, v69, v72
	v_cmp_gt_i32_e64 s17, 0, v73
	v_ashrrev_i32_e32 v71, 31, v71
	v_xor_b32_e32 v70, vcc_lo, v70
	v_add_lshl_u32 v72, v68, v158, 2
	v_and_b32_e32 v69, v69, v74
	s_delay_alu instid0(VALU_DEP_4) | instskip(SKIP_3) | instid1(VALU_DEP_2)
	v_xor_b32_e32 v68, s17, v71
	ds_load_b32 v179, v72 offset:1056
	v_and_b32_e32 v69, v69, v70
	v_add_nc_u32_e32 v181, 0x420, v72
	; wave barrier
	v_and_b32_e32 v68, v69, v68
	s_delay_alu instid0(VALU_DEP_1) | instskip(SKIP_1) | instid1(VALU_DEP_2)
	v_mbcnt_lo_u32_b32 v180, v68, 0
	v_cmp_ne_u32_e64 s17, 0, v68
	v_cmp_eq_u32_e32 vcc_lo, 0, v180
	s_delay_alu instid0(VALU_DEP_2) | instskip(NEXT) | instid1(SALU_CYCLE_1)
	s_and_b32 s18, s17, vcc_lo
	s_and_saveexec_b32 s17, s18
	s_cbranch_execz .LBB1258_733
; %bb.732:                              ;   in Loop: Header=BB1258_693 Depth=2
	s_waitcnt lgkmcnt(0)
	v_bcnt_u32_b32 v68, v68, v179
	ds_store_b32 v181, v68
.LBB1258_733:                           ;   in Loop: Header=BB1258_693 Depth=2
	s_or_b32 exec_lo, exec_lo, s17
	v_cmp_lt_i64_e32 vcc_lo, -1, v[44:45]
	v_ashrrev_i32_e32 v69, 31, v45
	; wave barrier
	s_delay_alu instid0(VALU_DEP_1) | instskip(SKIP_1) | instid1(VALU_DEP_1)
	v_xor_b32_e32 v44, v69, v44
	v_cndmask_b32_e64 v68, -1, 0x80000000, vcc_lo
	v_xor_b32_e32 v45, v68, v45
	s_delay_alu instid0(VALU_DEP_1) | instskip(SKIP_2) | instid1(VALU_DEP_1)
	v_cmp_ne_u64_e32 vcc_lo, s[38:39], v[44:45]
	v_cndmask_b32_e32 v69, 0x80000000, v45, vcc_lo
	v_cndmask_b32_e32 v68, 0, v44, vcc_lo
	v_lshrrev_b64 v[68:69], s40, v[68:69]
	s_delay_alu instid0(VALU_DEP_1) | instskip(NEXT) | instid1(VALU_DEP_1)
	v_and_b32_e32 v68, s42, v68
	v_and_b32_e32 v69, 1, v68
	v_lshlrev_b32_e32 v70, 30, v68
	v_lshlrev_b32_e32 v71, 29, v68
	;; [unrolled: 1-line block ×4, first 2 shown]
	v_add_co_u32 v69, s17, v69, -1
	s_delay_alu instid0(VALU_DEP_1)
	v_cndmask_b32_e64 v73, 0, 1, s17
	v_not_b32_e32 v183, v70
	v_cmp_gt_i32_e64 s17, 0, v70
	v_not_b32_e32 v70, v71
	v_lshlrev_b32_e32 v75, 26, v68
	v_cmp_ne_u32_e32 vcc_lo, 0, v73
	v_ashrrev_i32_e32 v183, 31, v183
	v_lshlrev_b32_e32 v182, 25, v68
	v_ashrrev_i32_e32 v70, 31, v70
	v_lshlrev_b32_e32 v73, 24, v68
	v_xor_b32_e32 v69, vcc_lo, v69
	v_cmp_gt_i32_e32 vcc_lo, 0, v71
	v_not_b32_e32 v71, v72
	v_xor_b32_e32 v183, s17, v183
	v_cmp_gt_i32_e64 s17, 0, v72
	v_and_b32_e32 v69, exec_lo, v69
	v_not_b32_e32 v72, v74
	v_ashrrev_i32_e32 v71, 31, v71
	v_xor_b32_e32 v70, vcc_lo, v70
	v_cmp_gt_i32_e32 vcc_lo, 0, v74
	v_and_b32_e32 v69, v69, v183
	v_not_b32_e32 v74, v75
	v_ashrrev_i32_e32 v72, 31, v72
	v_xor_b32_e32 v71, s17, v71
	v_cmp_gt_i32_e64 s17, 0, v75
	v_and_b32_e32 v69, v69, v70
	v_not_b32_e32 v70, v182
	v_ashrrev_i32_e32 v74, 31, v74
	v_xor_b32_e32 v72, vcc_lo, v72
	v_cmp_gt_i32_e32 vcc_lo, 0, v182
	v_and_b32_e32 v69, v69, v71
	v_not_b32_e32 v71, v73
	v_ashrrev_i32_e32 v70, 31, v70
	v_xor_b32_e32 v74, s17, v74
	v_mul_u32_u24_e32 v68, 9, v68
	v_and_b32_e32 v69, v69, v72
	v_cmp_gt_i32_e64 s17, 0, v73
	v_ashrrev_i32_e32 v71, 31, v71
	v_xor_b32_e32 v70, vcc_lo, v70
	v_add_lshl_u32 v72, v68, v158, 2
	v_and_b32_e32 v69, v69, v74
	s_delay_alu instid0(VALU_DEP_4) | instskip(SKIP_3) | instid1(VALU_DEP_2)
	v_xor_b32_e32 v68, s17, v71
	ds_load_b32 v182, v72 offset:1056
	v_and_b32_e32 v69, v69, v70
	v_add_nc_u32_e32 v184, 0x420, v72
	; wave barrier
	v_and_b32_e32 v68, v69, v68
	s_delay_alu instid0(VALU_DEP_1) | instskip(SKIP_1) | instid1(VALU_DEP_2)
	v_mbcnt_lo_u32_b32 v183, v68, 0
	v_cmp_ne_u32_e64 s17, 0, v68
	v_cmp_eq_u32_e32 vcc_lo, 0, v183
	s_delay_alu instid0(VALU_DEP_2) | instskip(NEXT) | instid1(SALU_CYCLE_1)
	s_and_b32 s18, s17, vcc_lo
	s_and_saveexec_b32 s17, s18
	s_cbranch_execz .LBB1258_735
; %bb.734:                              ;   in Loop: Header=BB1258_693 Depth=2
	s_waitcnt lgkmcnt(0)
	v_bcnt_u32_b32 v68, v68, v182
	ds_store_b32 v184, v68
.LBB1258_735:                           ;   in Loop: Header=BB1258_693 Depth=2
	s_or_b32 exec_lo, exec_lo, s17
	v_cmp_lt_i64_e32 vcc_lo, -1, v[48:49]
	v_ashrrev_i32_e32 v69, 31, v49
	; wave barrier
	s_delay_alu instid0(VALU_DEP_1) | instskip(SKIP_1) | instid1(VALU_DEP_1)
	v_xor_b32_e32 v48, v69, v48
	v_cndmask_b32_e64 v68, -1, 0x80000000, vcc_lo
	v_xor_b32_e32 v49, v68, v49
	s_delay_alu instid0(VALU_DEP_1) | instskip(SKIP_2) | instid1(VALU_DEP_1)
	v_cmp_ne_u64_e32 vcc_lo, s[38:39], v[48:49]
	v_cndmask_b32_e32 v69, 0x80000000, v49, vcc_lo
	v_cndmask_b32_e32 v68, 0, v48, vcc_lo
	v_lshrrev_b64 v[68:69], s40, v[68:69]
	s_delay_alu instid0(VALU_DEP_1) | instskip(NEXT) | instid1(VALU_DEP_1)
	v_and_b32_e32 v68, s42, v68
	v_and_b32_e32 v69, 1, v68
	v_lshlrev_b32_e32 v70, 30, v68
	v_lshlrev_b32_e32 v71, 29, v68
	;; [unrolled: 1-line block ×4, first 2 shown]
	v_add_co_u32 v69, s17, v69, -1
	s_delay_alu instid0(VALU_DEP_1)
	v_cndmask_b32_e64 v73, 0, 1, s17
	v_not_b32_e32 v186, v70
	v_cmp_gt_i32_e64 s17, 0, v70
	v_not_b32_e32 v70, v71
	v_lshlrev_b32_e32 v75, 26, v68
	v_cmp_ne_u32_e32 vcc_lo, 0, v73
	v_ashrrev_i32_e32 v186, 31, v186
	v_lshlrev_b32_e32 v185, 25, v68
	v_ashrrev_i32_e32 v70, 31, v70
	v_lshlrev_b32_e32 v73, 24, v68
	v_xor_b32_e32 v69, vcc_lo, v69
	v_cmp_gt_i32_e32 vcc_lo, 0, v71
	v_not_b32_e32 v71, v72
	v_xor_b32_e32 v186, s17, v186
	v_cmp_gt_i32_e64 s17, 0, v72
	v_and_b32_e32 v69, exec_lo, v69
	v_not_b32_e32 v72, v74
	v_ashrrev_i32_e32 v71, 31, v71
	v_xor_b32_e32 v70, vcc_lo, v70
	v_cmp_gt_i32_e32 vcc_lo, 0, v74
	v_and_b32_e32 v69, v69, v186
	v_not_b32_e32 v74, v75
	v_ashrrev_i32_e32 v72, 31, v72
	v_xor_b32_e32 v71, s17, v71
	v_cmp_gt_i32_e64 s17, 0, v75
	v_and_b32_e32 v69, v69, v70
	v_not_b32_e32 v70, v185
	v_ashrrev_i32_e32 v74, 31, v74
	v_xor_b32_e32 v72, vcc_lo, v72
	v_cmp_gt_i32_e32 vcc_lo, 0, v185
	v_and_b32_e32 v69, v69, v71
	v_not_b32_e32 v71, v73
	v_ashrrev_i32_e32 v70, 31, v70
	v_xor_b32_e32 v74, s17, v74
	v_mul_u32_u24_e32 v68, 9, v68
	v_and_b32_e32 v69, v69, v72
	v_cmp_gt_i32_e64 s17, 0, v73
	v_ashrrev_i32_e32 v71, 31, v71
	v_xor_b32_e32 v70, vcc_lo, v70
	v_add_lshl_u32 v72, v68, v158, 2
	v_and_b32_e32 v69, v69, v74
	s_delay_alu instid0(VALU_DEP_4) | instskip(SKIP_3) | instid1(VALU_DEP_2)
	v_xor_b32_e32 v68, s17, v71
	ds_load_b32 v185, v72 offset:1056
	v_and_b32_e32 v69, v69, v70
	v_add_nc_u32_e32 v187, 0x420, v72
	; wave barrier
	v_and_b32_e32 v68, v69, v68
	s_delay_alu instid0(VALU_DEP_1) | instskip(SKIP_1) | instid1(VALU_DEP_2)
	v_mbcnt_lo_u32_b32 v186, v68, 0
	v_cmp_ne_u32_e64 s17, 0, v68
	v_cmp_eq_u32_e32 vcc_lo, 0, v186
	s_delay_alu instid0(VALU_DEP_2) | instskip(NEXT) | instid1(SALU_CYCLE_1)
	s_and_b32 s18, s17, vcc_lo
	s_and_saveexec_b32 s17, s18
	s_cbranch_execz .LBB1258_737
; %bb.736:                              ;   in Loop: Header=BB1258_693 Depth=2
	s_waitcnt lgkmcnt(0)
	v_bcnt_u32_b32 v68, v68, v185
	ds_store_b32 v187, v68
.LBB1258_737:                           ;   in Loop: Header=BB1258_693 Depth=2
	s_or_b32 exec_lo, exec_lo, s17
	v_cmp_lt_i64_e32 vcc_lo, -1, v[52:53]
	v_ashrrev_i32_e32 v69, 31, v53
	; wave barrier
	s_delay_alu instid0(VALU_DEP_1) | instskip(SKIP_1) | instid1(VALU_DEP_1)
	v_xor_b32_e32 v52, v69, v52
	v_cndmask_b32_e64 v68, -1, 0x80000000, vcc_lo
	v_xor_b32_e32 v53, v68, v53
	s_delay_alu instid0(VALU_DEP_1) | instskip(SKIP_2) | instid1(VALU_DEP_1)
	v_cmp_ne_u64_e32 vcc_lo, s[38:39], v[52:53]
	v_cndmask_b32_e32 v69, 0x80000000, v53, vcc_lo
	v_cndmask_b32_e32 v68, 0, v52, vcc_lo
	v_lshrrev_b64 v[68:69], s40, v[68:69]
	s_delay_alu instid0(VALU_DEP_1) | instskip(NEXT) | instid1(VALU_DEP_1)
	v_and_b32_e32 v68, s42, v68
	v_and_b32_e32 v69, 1, v68
	v_lshlrev_b32_e32 v70, 30, v68
	v_lshlrev_b32_e32 v71, 29, v68
	;; [unrolled: 1-line block ×4, first 2 shown]
	v_add_co_u32 v69, s17, v69, -1
	s_delay_alu instid0(VALU_DEP_1)
	v_cndmask_b32_e64 v73, 0, 1, s17
	v_not_b32_e32 v189, v70
	v_cmp_gt_i32_e64 s17, 0, v70
	v_not_b32_e32 v70, v71
	v_lshlrev_b32_e32 v75, 26, v68
	v_cmp_ne_u32_e32 vcc_lo, 0, v73
	v_ashrrev_i32_e32 v189, 31, v189
	v_lshlrev_b32_e32 v188, 25, v68
	v_ashrrev_i32_e32 v70, 31, v70
	v_lshlrev_b32_e32 v73, 24, v68
	v_xor_b32_e32 v69, vcc_lo, v69
	v_cmp_gt_i32_e32 vcc_lo, 0, v71
	v_not_b32_e32 v71, v72
	v_xor_b32_e32 v189, s17, v189
	v_cmp_gt_i32_e64 s17, 0, v72
	v_and_b32_e32 v69, exec_lo, v69
	v_not_b32_e32 v72, v74
	v_ashrrev_i32_e32 v71, 31, v71
	v_xor_b32_e32 v70, vcc_lo, v70
	v_cmp_gt_i32_e32 vcc_lo, 0, v74
	v_and_b32_e32 v69, v69, v189
	v_not_b32_e32 v74, v75
	v_ashrrev_i32_e32 v72, 31, v72
	v_xor_b32_e32 v71, s17, v71
	v_cmp_gt_i32_e64 s17, 0, v75
	v_and_b32_e32 v69, v69, v70
	v_not_b32_e32 v70, v188
	v_ashrrev_i32_e32 v74, 31, v74
	v_xor_b32_e32 v72, vcc_lo, v72
	v_cmp_gt_i32_e32 vcc_lo, 0, v188
	v_and_b32_e32 v69, v69, v71
	v_not_b32_e32 v71, v73
	v_ashrrev_i32_e32 v70, 31, v70
	v_xor_b32_e32 v74, s17, v74
	v_mul_u32_u24_e32 v68, 9, v68
	v_and_b32_e32 v69, v69, v72
	v_cmp_gt_i32_e64 s17, 0, v73
	v_ashrrev_i32_e32 v71, 31, v71
	v_xor_b32_e32 v70, vcc_lo, v70
	v_add_lshl_u32 v72, v68, v158, 2
	v_and_b32_e32 v69, v69, v74
	s_delay_alu instid0(VALU_DEP_4) | instskip(SKIP_3) | instid1(VALU_DEP_2)
	v_xor_b32_e32 v68, s17, v71
	ds_load_b32 v188, v72 offset:1056
	v_and_b32_e32 v69, v69, v70
	v_add_nc_u32_e32 v190, 0x420, v72
	; wave barrier
	v_and_b32_e32 v68, v69, v68
	s_delay_alu instid0(VALU_DEP_1) | instskip(SKIP_1) | instid1(VALU_DEP_2)
	v_mbcnt_lo_u32_b32 v189, v68, 0
	v_cmp_ne_u32_e64 s17, 0, v68
	v_cmp_eq_u32_e32 vcc_lo, 0, v189
	s_delay_alu instid0(VALU_DEP_2) | instskip(NEXT) | instid1(SALU_CYCLE_1)
	s_and_b32 s18, s17, vcc_lo
	s_and_saveexec_b32 s17, s18
	s_cbranch_execz .LBB1258_739
; %bb.738:                              ;   in Loop: Header=BB1258_693 Depth=2
	s_waitcnt lgkmcnt(0)
	v_bcnt_u32_b32 v68, v68, v188
	ds_store_b32 v190, v68
.LBB1258_739:                           ;   in Loop: Header=BB1258_693 Depth=2
	s_or_b32 exec_lo, exec_lo, s17
	v_cmp_lt_i64_e32 vcc_lo, -1, v[58:59]
	v_ashrrev_i32_e32 v69, 31, v59
	; wave barrier
	s_delay_alu instid0(VALU_DEP_1) | instskip(SKIP_1) | instid1(VALU_DEP_1)
	v_xor_b32_e32 v58, v69, v58
	v_cndmask_b32_e64 v68, -1, 0x80000000, vcc_lo
	v_xor_b32_e32 v59, v68, v59
	s_delay_alu instid0(VALU_DEP_1) | instskip(SKIP_2) | instid1(VALU_DEP_1)
	v_cmp_ne_u64_e32 vcc_lo, s[38:39], v[58:59]
	v_cndmask_b32_e32 v69, 0x80000000, v59, vcc_lo
	v_cndmask_b32_e32 v68, 0, v58, vcc_lo
	v_lshrrev_b64 v[68:69], s40, v[68:69]
	s_delay_alu instid0(VALU_DEP_1) | instskip(NEXT) | instid1(VALU_DEP_1)
	v_and_b32_e32 v68, s42, v68
	v_and_b32_e32 v69, 1, v68
	v_lshlrev_b32_e32 v70, 30, v68
	v_lshlrev_b32_e32 v71, 29, v68
	;; [unrolled: 1-line block ×4, first 2 shown]
	v_add_co_u32 v69, s17, v69, -1
	s_delay_alu instid0(VALU_DEP_1)
	v_cndmask_b32_e64 v73, 0, 1, s17
	v_not_b32_e32 v192, v70
	v_cmp_gt_i32_e64 s17, 0, v70
	v_not_b32_e32 v70, v71
	v_lshlrev_b32_e32 v75, 26, v68
	v_cmp_ne_u32_e32 vcc_lo, 0, v73
	v_ashrrev_i32_e32 v192, 31, v192
	v_lshlrev_b32_e32 v191, 25, v68
	v_ashrrev_i32_e32 v70, 31, v70
	v_lshlrev_b32_e32 v73, 24, v68
	v_xor_b32_e32 v69, vcc_lo, v69
	v_cmp_gt_i32_e32 vcc_lo, 0, v71
	v_not_b32_e32 v71, v72
	v_xor_b32_e32 v192, s17, v192
	v_cmp_gt_i32_e64 s17, 0, v72
	v_and_b32_e32 v69, exec_lo, v69
	v_not_b32_e32 v72, v74
	v_ashrrev_i32_e32 v71, 31, v71
	v_xor_b32_e32 v70, vcc_lo, v70
	v_cmp_gt_i32_e32 vcc_lo, 0, v74
	v_and_b32_e32 v69, v69, v192
	v_not_b32_e32 v74, v75
	v_ashrrev_i32_e32 v72, 31, v72
	v_xor_b32_e32 v71, s17, v71
	v_cmp_gt_i32_e64 s17, 0, v75
	v_and_b32_e32 v69, v69, v70
	v_not_b32_e32 v70, v191
	v_ashrrev_i32_e32 v74, 31, v74
	v_xor_b32_e32 v72, vcc_lo, v72
	v_cmp_gt_i32_e32 vcc_lo, 0, v191
	v_and_b32_e32 v69, v69, v71
	v_not_b32_e32 v71, v73
	v_ashrrev_i32_e32 v70, 31, v70
	v_xor_b32_e32 v74, s17, v74
	v_mul_u32_u24_e32 v68, 9, v68
	v_and_b32_e32 v69, v69, v72
	v_cmp_gt_i32_e64 s17, 0, v73
	v_ashrrev_i32_e32 v71, 31, v71
	v_xor_b32_e32 v70, vcc_lo, v70
	v_add_lshl_u32 v72, v68, v158, 2
	v_and_b32_e32 v69, v69, v74
	s_delay_alu instid0(VALU_DEP_4) | instskip(SKIP_3) | instid1(VALU_DEP_2)
	v_xor_b32_e32 v68, s17, v71
	ds_load_b32 v191, v72 offset:1056
	v_and_b32_e32 v69, v69, v70
	v_add_nc_u32_e32 v193, 0x420, v72
	; wave barrier
	v_and_b32_e32 v68, v69, v68
	s_delay_alu instid0(VALU_DEP_1) | instskip(SKIP_1) | instid1(VALU_DEP_2)
	v_mbcnt_lo_u32_b32 v192, v68, 0
	v_cmp_ne_u32_e64 s17, 0, v68
	v_cmp_eq_u32_e32 vcc_lo, 0, v192
	s_delay_alu instid0(VALU_DEP_2) | instskip(NEXT) | instid1(SALU_CYCLE_1)
	s_and_b32 s18, s17, vcc_lo
	s_and_saveexec_b32 s17, s18
	s_cbranch_execz .LBB1258_741
; %bb.740:                              ;   in Loop: Header=BB1258_693 Depth=2
	s_waitcnt lgkmcnt(0)
	v_bcnt_u32_b32 v68, v68, v191
	ds_store_b32 v193, v68
.LBB1258_741:                           ;   in Loop: Header=BB1258_693 Depth=2
	s_or_b32 exec_lo, exec_lo, s17
	v_cmp_lt_i64_e32 vcc_lo, -1, v[62:63]
	v_ashrrev_i32_e32 v69, 31, v63
	; wave barrier
	s_delay_alu instid0(VALU_DEP_1) | instskip(SKIP_1) | instid1(VALU_DEP_1)
	v_xor_b32_e32 v62, v69, v62
	v_cndmask_b32_e64 v68, -1, 0x80000000, vcc_lo
	v_xor_b32_e32 v63, v68, v63
	s_delay_alu instid0(VALU_DEP_1) | instskip(SKIP_2) | instid1(VALU_DEP_1)
	v_cmp_ne_u64_e32 vcc_lo, s[38:39], v[62:63]
	v_cndmask_b32_e32 v69, 0x80000000, v63, vcc_lo
	v_cndmask_b32_e32 v68, 0, v62, vcc_lo
	v_lshrrev_b64 v[68:69], s40, v[68:69]
	s_delay_alu instid0(VALU_DEP_1) | instskip(NEXT) | instid1(VALU_DEP_1)
	v_and_b32_e32 v68, s42, v68
	v_and_b32_e32 v69, 1, v68
	v_lshlrev_b32_e32 v70, 30, v68
	v_lshlrev_b32_e32 v71, 29, v68
	;; [unrolled: 1-line block ×4, first 2 shown]
	v_add_co_u32 v69, s17, v69, -1
	s_delay_alu instid0(VALU_DEP_1)
	v_cndmask_b32_e64 v73, 0, 1, s17
	v_not_b32_e32 v195, v70
	v_cmp_gt_i32_e64 s17, 0, v70
	v_not_b32_e32 v70, v71
	v_lshlrev_b32_e32 v75, 26, v68
	v_cmp_ne_u32_e32 vcc_lo, 0, v73
	v_ashrrev_i32_e32 v195, 31, v195
	v_lshlrev_b32_e32 v194, 25, v68
	v_ashrrev_i32_e32 v70, 31, v70
	v_lshlrev_b32_e32 v73, 24, v68
	v_xor_b32_e32 v69, vcc_lo, v69
	v_cmp_gt_i32_e32 vcc_lo, 0, v71
	v_not_b32_e32 v71, v72
	v_xor_b32_e32 v195, s17, v195
	v_cmp_gt_i32_e64 s17, 0, v72
	v_and_b32_e32 v69, exec_lo, v69
	v_not_b32_e32 v72, v74
	v_ashrrev_i32_e32 v71, 31, v71
	v_xor_b32_e32 v70, vcc_lo, v70
	v_cmp_gt_i32_e32 vcc_lo, 0, v74
	v_and_b32_e32 v69, v69, v195
	v_not_b32_e32 v74, v75
	v_ashrrev_i32_e32 v72, 31, v72
	v_xor_b32_e32 v71, s17, v71
	v_cmp_gt_i32_e64 s17, 0, v75
	v_and_b32_e32 v69, v69, v70
	v_not_b32_e32 v70, v194
	v_ashrrev_i32_e32 v74, 31, v74
	v_xor_b32_e32 v72, vcc_lo, v72
	v_cmp_gt_i32_e32 vcc_lo, 0, v194
	v_and_b32_e32 v69, v69, v71
	v_not_b32_e32 v71, v73
	v_ashrrev_i32_e32 v70, 31, v70
	v_xor_b32_e32 v74, s17, v74
	v_mul_u32_u24_e32 v68, 9, v68
	v_and_b32_e32 v69, v69, v72
	v_cmp_gt_i32_e64 s17, 0, v73
	v_ashrrev_i32_e32 v71, 31, v71
	v_xor_b32_e32 v70, vcc_lo, v70
	v_add_lshl_u32 v72, v68, v158, 2
	v_and_b32_e32 v69, v69, v74
	s_delay_alu instid0(VALU_DEP_4) | instskip(SKIP_3) | instid1(VALU_DEP_2)
	v_xor_b32_e32 v68, s17, v71
	ds_load_b32 v194, v72 offset:1056
	v_and_b32_e32 v69, v69, v70
	v_add_nc_u32_e32 v196, 0x420, v72
	; wave barrier
	v_and_b32_e32 v68, v69, v68
	s_delay_alu instid0(VALU_DEP_1) | instskip(SKIP_1) | instid1(VALU_DEP_2)
	v_mbcnt_lo_u32_b32 v195, v68, 0
	v_cmp_ne_u32_e64 s17, 0, v68
	v_cmp_eq_u32_e32 vcc_lo, 0, v195
	s_delay_alu instid0(VALU_DEP_2) | instskip(NEXT) | instid1(SALU_CYCLE_1)
	s_and_b32 s18, s17, vcc_lo
	s_and_saveexec_b32 s17, s18
	s_cbranch_execz .LBB1258_743
; %bb.742:                              ;   in Loop: Header=BB1258_693 Depth=2
	s_waitcnt lgkmcnt(0)
	v_bcnt_u32_b32 v68, v68, v194
	ds_store_b32 v196, v68
.LBB1258_743:                           ;   in Loop: Header=BB1258_693 Depth=2
	s_or_b32 exec_lo, exec_lo, s17
	v_cmp_lt_i64_e32 vcc_lo, -1, v[66:67]
	v_ashrrev_i32_e32 v69, 31, v67
	; wave barrier
	s_delay_alu instid0(VALU_DEP_1) | instskip(SKIP_1) | instid1(VALU_DEP_1)
	v_xor_b32_e32 v66, v69, v66
	v_cndmask_b32_e64 v68, -1, 0x80000000, vcc_lo
	v_xor_b32_e32 v67, v68, v67
	s_delay_alu instid0(VALU_DEP_1) | instskip(SKIP_2) | instid1(VALU_DEP_1)
	v_cmp_ne_u64_e32 vcc_lo, s[38:39], v[66:67]
	v_cndmask_b32_e32 v69, 0x80000000, v67, vcc_lo
	v_cndmask_b32_e32 v68, 0, v66, vcc_lo
	v_lshrrev_b64 v[68:69], s40, v[68:69]
	s_delay_alu instid0(VALU_DEP_1) | instskip(NEXT) | instid1(VALU_DEP_1)
	v_and_b32_e32 v68, s42, v68
	v_and_b32_e32 v69, 1, v68
	v_lshlrev_b32_e32 v70, 30, v68
	v_lshlrev_b32_e32 v71, 29, v68
	;; [unrolled: 1-line block ×4, first 2 shown]
	v_add_co_u32 v69, s17, v69, -1
	s_delay_alu instid0(VALU_DEP_1)
	v_cndmask_b32_e64 v73, 0, 1, s17
	v_not_b32_e32 v198, v70
	v_cmp_gt_i32_e64 s17, 0, v70
	v_not_b32_e32 v70, v71
	v_lshlrev_b32_e32 v75, 26, v68
	v_cmp_ne_u32_e32 vcc_lo, 0, v73
	v_ashrrev_i32_e32 v198, 31, v198
	v_lshlrev_b32_e32 v197, 25, v68
	v_ashrrev_i32_e32 v70, 31, v70
	v_lshlrev_b32_e32 v73, 24, v68
	v_xor_b32_e32 v69, vcc_lo, v69
	v_cmp_gt_i32_e32 vcc_lo, 0, v71
	v_not_b32_e32 v71, v72
	v_xor_b32_e32 v198, s17, v198
	v_cmp_gt_i32_e64 s17, 0, v72
	v_and_b32_e32 v69, exec_lo, v69
	v_not_b32_e32 v72, v74
	v_ashrrev_i32_e32 v71, 31, v71
	v_xor_b32_e32 v70, vcc_lo, v70
	v_cmp_gt_i32_e32 vcc_lo, 0, v74
	v_and_b32_e32 v69, v69, v198
	v_not_b32_e32 v74, v75
	v_ashrrev_i32_e32 v72, 31, v72
	v_xor_b32_e32 v71, s17, v71
	v_cmp_gt_i32_e64 s17, 0, v75
	v_and_b32_e32 v69, v69, v70
	v_not_b32_e32 v70, v197
	v_ashrrev_i32_e32 v74, 31, v74
	v_xor_b32_e32 v72, vcc_lo, v72
	v_cmp_gt_i32_e32 vcc_lo, 0, v197
	v_and_b32_e32 v69, v69, v71
	v_not_b32_e32 v71, v73
	v_ashrrev_i32_e32 v70, 31, v70
	v_xor_b32_e32 v74, s17, v74
	v_mul_u32_u24_e32 v68, 9, v68
	v_and_b32_e32 v69, v69, v72
	v_cmp_gt_i32_e64 s17, 0, v73
	v_ashrrev_i32_e32 v71, 31, v71
	v_xor_b32_e32 v70, vcc_lo, v70
	v_add_lshl_u32 v72, v68, v158, 2
	v_and_b32_e32 v69, v69, v74
	s_delay_alu instid0(VALU_DEP_4) | instskip(SKIP_3) | instid1(VALU_DEP_2)
	v_xor_b32_e32 v68, s17, v71
	ds_load_b32 v197, v72 offset:1056
	v_and_b32_e32 v69, v69, v70
	v_add_nc_u32_e32 v199, 0x420, v72
	; wave barrier
	v_and_b32_e32 v68, v69, v68
	s_delay_alu instid0(VALU_DEP_1) | instskip(SKIP_1) | instid1(VALU_DEP_2)
	v_mbcnt_lo_u32_b32 v198, v68, 0
	v_cmp_ne_u32_e64 s17, 0, v68
	v_cmp_eq_u32_e32 vcc_lo, 0, v198
	s_delay_alu instid0(VALU_DEP_2) | instskip(NEXT) | instid1(SALU_CYCLE_1)
	s_and_b32 s18, s17, vcc_lo
	s_and_saveexec_b32 s17, s18
	s_cbranch_execz .LBB1258_745
; %bb.744:                              ;   in Loop: Header=BB1258_693 Depth=2
	s_waitcnt lgkmcnt(0)
	v_bcnt_u32_b32 v68, v68, v197
	ds_store_b32 v199, v68
.LBB1258_745:                           ;   in Loop: Header=BB1258_693 Depth=2
	s_or_b32 exec_lo, exec_lo, s17
	v_cmp_lt_i64_e32 vcc_lo, -1, v[64:65]
	v_ashrrev_i32_e32 v69, 31, v65
	; wave barrier
	s_delay_alu instid0(VALU_DEP_1) | instskip(SKIP_1) | instid1(VALU_DEP_1)
	v_xor_b32_e32 v64, v69, v64
	v_cndmask_b32_e64 v68, -1, 0x80000000, vcc_lo
	v_xor_b32_e32 v65, v68, v65
	s_delay_alu instid0(VALU_DEP_1) | instskip(SKIP_2) | instid1(VALU_DEP_1)
	v_cmp_ne_u64_e32 vcc_lo, s[38:39], v[64:65]
	v_cndmask_b32_e32 v69, 0x80000000, v65, vcc_lo
	v_cndmask_b32_e32 v68, 0, v64, vcc_lo
	v_lshrrev_b64 v[68:69], s40, v[68:69]
	s_delay_alu instid0(VALU_DEP_1) | instskip(NEXT) | instid1(VALU_DEP_1)
	v_and_b32_e32 v68, s42, v68
	v_and_b32_e32 v69, 1, v68
	v_lshlrev_b32_e32 v70, 30, v68
	v_lshlrev_b32_e32 v71, 29, v68
	;; [unrolled: 1-line block ×4, first 2 shown]
	v_add_co_u32 v69, s17, v69, -1
	s_delay_alu instid0(VALU_DEP_1)
	v_cndmask_b32_e64 v73, 0, 1, s17
	v_not_b32_e32 v201, v70
	v_cmp_gt_i32_e64 s17, 0, v70
	v_not_b32_e32 v70, v71
	v_lshlrev_b32_e32 v75, 26, v68
	v_cmp_ne_u32_e32 vcc_lo, 0, v73
	v_ashrrev_i32_e32 v201, 31, v201
	v_lshlrev_b32_e32 v200, 25, v68
	v_ashrrev_i32_e32 v70, 31, v70
	v_lshlrev_b32_e32 v73, 24, v68
	v_xor_b32_e32 v69, vcc_lo, v69
	v_cmp_gt_i32_e32 vcc_lo, 0, v71
	v_not_b32_e32 v71, v72
	v_xor_b32_e32 v201, s17, v201
	v_cmp_gt_i32_e64 s17, 0, v72
	v_and_b32_e32 v69, exec_lo, v69
	v_not_b32_e32 v72, v74
	v_ashrrev_i32_e32 v71, 31, v71
	v_xor_b32_e32 v70, vcc_lo, v70
	v_cmp_gt_i32_e32 vcc_lo, 0, v74
	v_and_b32_e32 v69, v69, v201
	v_not_b32_e32 v74, v75
	v_ashrrev_i32_e32 v72, 31, v72
	v_xor_b32_e32 v71, s17, v71
	v_cmp_gt_i32_e64 s17, 0, v75
	v_and_b32_e32 v69, v69, v70
	v_not_b32_e32 v70, v200
	v_ashrrev_i32_e32 v74, 31, v74
	v_xor_b32_e32 v72, vcc_lo, v72
	v_cmp_gt_i32_e32 vcc_lo, 0, v200
	v_and_b32_e32 v69, v69, v71
	v_not_b32_e32 v71, v73
	v_ashrrev_i32_e32 v70, 31, v70
	v_xor_b32_e32 v74, s17, v74
	v_mul_u32_u24_e32 v68, 9, v68
	v_and_b32_e32 v69, v69, v72
	v_cmp_gt_i32_e64 s17, 0, v73
	v_ashrrev_i32_e32 v71, 31, v71
	v_xor_b32_e32 v70, vcc_lo, v70
	v_add_lshl_u32 v72, v68, v158, 2
	v_and_b32_e32 v69, v69, v74
	s_delay_alu instid0(VALU_DEP_4) | instskip(SKIP_3) | instid1(VALU_DEP_2)
	v_xor_b32_e32 v68, s17, v71
	ds_load_b32 v200, v72 offset:1056
	v_and_b32_e32 v69, v69, v70
	v_add_nc_u32_e32 v202, 0x420, v72
	; wave barrier
	v_and_b32_e32 v68, v69, v68
	s_delay_alu instid0(VALU_DEP_1) | instskip(SKIP_1) | instid1(VALU_DEP_2)
	v_mbcnt_lo_u32_b32 v201, v68, 0
	v_cmp_ne_u32_e64 s17, 0, v68
	v_cmp_eq_u32_e32 vcc_lo, 0, v201
	s_delay_alu instid0(VALU_DEP_2) | instskip(NEXT) | instid1(SALU_CYCLE_1)
	s_and_b32 s18, s17, vcc_lo
	s_and_saveexec_b32 s17, s18
	s_cbranch_execz .LBB1258_747
; %bb.746:                              ;   in Loop: Header=BB1258_693 Depth=2
	s_waitcnt lgkmcnt(0)
	v_bcnt_u32_b32 v68, v68, v200
	ds_store_b32 v202, v68
.LBB1258_747:                           ;   in Loop: Header=BB1258_693 Depth=2
	s_or_b32 exec_lo, exec_lo, s17
	v_cmp_lt_i64_e32 vcc_lo, -1, v[60:61]
	v_ashrrev_i32_e32 v69, 31, v61
	; wave barrier
	s_delay_alu instid0(VALU_DEP_1) | instskip(SKIP_1) | instid1(VALU_DEP_1)
	v_xor_b32_e32 v60, v69, v60
	v_cndmask_b32_e64 v68, -1, 0x80000000, vcc_lo
	v_xor_b32_e32 v61, v68, v61
	s_delay_alu instid0(VALU_DEP_1) | instskip(SKIP_2) | instid1(VALU_DEP_1)
	v_cmp_ne_u64_e32 vcc_lo, s[38:39], v[60:61]
	v_cndmask_b32_e32 v69, 0x80000000, v61, vcc_lo
	v_cndmask_b32_e32 v68, 0, v60, vcc_lo
	v_lshrrev_b64 v[68:69], s40, v[68:69]
	s_delay_alu instid0(VALU_DEP_1) | instskip(NEXT) | instid1(VALU_DEP_1)
	v_and_b32_e32 v68, s42, v68
	v_and_b32_e32 v69, 1, v68
	v_lshlrev_b32_e32 v70, 30, v68
	v_lshlrev_b32_e32 v71, 29, v68
	;; [unrolled: 1-line block ×4, first 2 shown]
	v_add_co_u32 v69, s17, v69, -1
	s_delay_alu instid0(VALU_DEP_1)
	v_cndmask_b32_e64 v73, 0, 1, s17
	v_not_b32_e32 v204, v70
	v_cmp_gt_i32_e64 s17, 0, v70
	v_not_b32_e32 v70, v71
	v_lshlrev_b32_e32 v75, 26, v68
	v_cmp_ne_u32_e32 vcc_lo, 0, v73
	v_ashrrev_i32_e32 v204, 31, v204
	v_lshlrev_b32_e32 v203, 25, v68
	v_ashrrev_i32_e32 v70, 31, v70
	v_lshlrev_b32_e32 v73, 24, v68
	v_xor_b32_e32 v69, vcc_lo, v69
	v_cmp_gt_i32_e32 vcc_lo, 0, v71
	v_not_b32_e32 v71, v72
	v_xor_b32_e32 v204, s17, v204
	v_cmp_gt_i32_e64 s17, 0, v72
	v_and_b32_e32 v69, exec_lo, v69
	v_not_b32_e32 v72, v74
	v_ashrrev_i32_e32 v71, 31, v71
	v_xor_b32_e32 v70, vcc_lo, v70
	v_cmp_gt_i32_e32 vcc_lo, 0, v74
	v_and_b32_e32 v69, v69, v204
	v_not_b32_e32 v74, v75
	v_ashrrev_i32_e32 v72, 31, v72
	v_xor_b32_e32 v71, s17, v71
	v_cmp_gt_i32_e64 s17, 0, v75
	v_and_b32_e32 v69, v69, v70
	v_not_b32_e32 v70, v203
	v_ashrrev_i32_e32 v74, 31, v74
	v_xor_b32_e32 v72, vcc_lo, v72
	v_cmp_gt_i32_e32 vcc_lo, 0, v203
	v_and_b32_e32 v69, v69, v71
	v_not_b32_e32 v71, v73
	v_ashrrev_i32_e32 v70, 31, v70
	v_xor_b32_e32 v74, s17, v74
	v_mul_u32_u24_e32 v68, 9, v68
	v_and_b32_e32 v69, v69, v72
	v_cmp_gt_i32_e64 s17, 0, v73
	v_ashrrev_i32_e32 v71, 31, v71
	v_xor_b32_e32 v70, vcc_lo, v70
	v_add_lshl_u32 v72, v68, v158, 2
	v_and_b32_e32 v69, v69, v74
	s_delay_alu instid0(VALU_DEP_4) | instskip(SKIP_3) | instid1(VALU_DEP_2)
	v_xor_b32_e32 v68, s17, v71
	ds_load_b32 v203, v72 offset:1056
	v_and_b32_e32 v69, v69, v70
	v_add_nc_u32_e32 v205, 0x420, v72
	; wave barrier
	v_and_b32_e32 v68, v69, v68
	s_delay_alu instid0(VALU_DEP_1) | instskip(SKIP_1) | instid1(VALU_DEP_2)
	v_mbcnt_lo_u32_b32 v204, v68, 0
	v_cmp_ne_u32_e64 s17, 0, v68
	v_cmp_eq_u32_e32 vcc_lo, 0, v204
	s_delay_alu instid0(VALU_DEP_2) | instskip(NEXT) | instid1(SALU_CYCLE_1)
	s_and_b32 s18, s17, vcc_lo
	s_and_saveexec_b32 s17, s18
	s_cbranch_execz .LBB1258_749
; %bb.748:                              ;   in Loop: Header=BB1258_693 Depth=2
	s_waitcnt lgkmcnt(0)
	v_bcnt_u32_b32 v68, v68, v203
	ds_store_b32 v205, v68
.LBB1258_749:                           ;   in Loop: Header=BB1258_693 Depth=2
	s_or_b32 exec_lo, exec_lo, s17
	v_cmp_lt_i64_e32 vcc_lo, -1, v[56:57]
	v_ashrrev_i32_e32 v69, 31, v57
	; wave barrier
	s_delay_alu instid0(VALU_DEP_1) | instskip(SKIP_1) | instid1(VALU_DEP_1)
	v_xor_b32_e32 v56, v69, v56
	v_cndmask_b32_e64 v68, -1, 0x80000000, vcc_lo
	v_xor_b32_e32 v57, v68, v57
	s_delay_alu instid0(VALU_DEP_1) | instskip(SKIP_2) | instid1(VALU_DEP_1)
	v_cmp_ne_u64_e32 vcc_lo, s[38:39], v[56:57]
	v_cndmask_b32_e32 v69, 0x80000000, v57, vcc_lo
	v_cndmask_b32_e32 v68, 0, v56, vcc_lo
	v_lshrrev_b64 v[68:69], s40, v[68:69]
	s_delay_alu instid0(VALU_DEP_1) | instskip(NEXT) | instid1(VALU_DEP_1)
	v_and_b32_e32 v68, s42, v68
	v_and_b32_e32 v69, 1, v68
	v_lshlrev_b32_e32 v70, 30, v68
	v_lshlrev_b32_e32 v71, 29, v68
	;; [unrolled: 1-line block ×4, first 2 shown]
	v_add_co_u32 v69, s17, v69, -1
	s_delay_alu instid0(VALU_DEP_1)
	v_cndmask_b32_e64 v73, 0, 1, s17
	v_not_b32_e32 v207, v70
	v_cmp_gt_i32_e64 s17, 0, v70
	v_not_b32_e32 v70, v71
	v_lshlrev_b32_e32 v75, 26, v68
	v_cmp_ne_u32_e32 vcc_lo, 0, v73
	v_ashrrev_i32_e32 v207, 31, v207
	v_lshlrev_b32_e32 v206, 25, v68
	v_ashrrev_i32_e32 v70, 31, v70
	v_lshlrev_b32_e32 v73, 24, v68
	v_xor_b32_e32 v69, vcc_lo, v69
	v_cmp_gt_i32_e32 vcc_lo, 0, v71
	v_not_b32_e32 v71, v72
	v_xor_b32_e32 v207, s17, v207
	v_cmp_gt_i32_e64 s17, 0, v72
	v_and_b32_e32 v69, exec_lo, v69
	v_not_b32_e32 v72, v74
	v_ashrrev_i32_e32 v71, 31, v71
	v_xor_b32_e32 v70, vcc_lo, v70
	v_cmp_gt_i32_e32 vcc_lo, 0, v74
	v_and_b32_e32 v69, v69, v207
	v_not_b32_e32 v74, v75
	v_ashrrev_i32_e32 v72, 31, v72
	v_xor_b32_e32 v71, s17, v71
	v_cmp_gt_i32_e64 s17, 0, v75
	v_and_b32_e32 v69, v69, v70
	v_not_b32_e32 v70, v206
	v_ashrrev_i32_e32 v74, 31, v74
	v_xor_b32_e32 v72, vcc_lo, v72
	v_cmp_gt_i32_e32 vcc_lo, 0, v206
	v_and_b32_e32 v69, v69, v71
	v_not_b32_e32 v71, v73
	v_ashrrev_i32_e32 v70, 31, v70
	v_xor_b32_e32 v74, s17, v74
	v_mul_u32_u24_e32 v68, 9, v68
	v_and_b32_e32 v69, v69, v72
	v_cmp_gt_i32_e64 s17, 0, v73
	v_ashrrev_i32_e32 v71, 31, v71
	v_xor_b32_e32 v70, vcc_lo, v70
	v_add_lshl_u32 v72, v68, v158, 2
	v_and_b32_e32 v69, v69, v74
	s_delay_alu instid0(VALU_DEP_4) | instskip(SKIP_3) | instid1(VALU_DEP_2)
	v_xor_b32_e32 v68, s17, v71
	ds_load_b32 v206, v72 offset:1056
	v_and_b32_e32 v69, v69, v70
	v_add_nc_u32_e32 v208, 0x420, v72
	; wave barrier
	v_and_b32_e32 v68, v69, v68
	s_delay_alu instid0(VALU_DEP_1) | instskip(SKIP_1) | instid1(VALU_DEP_2)
	v_mbcnt_lo_u32_b32 v207, v68, 0
	v_cmp_ne_u32_e64 s17, 0, v68
	v_cmp_eq_u32_e32 vcc_lo, 0, v207
	s_delay_alu instid0(VALU_DEP_2) | instskip(NEXT) | instid1(SALU_CYCLE_1)
	s_and_b32 s18, s17, vcc_lo
	s_and_saveexec_b32 s17, s18
	s_cbranch_execz .LBB1258_751
; %bb.750:                              ;   in Loop: Header=BB1258_693 Depth=2
	s_waitcnt lgkmcnt(0)
	v_bcnt_u32_b32 v68, v68, v206
	ds_store_b32 v208, v68
.LBB1258_751:                           ;   in Loop: Header=BB1258_693 Depth=2
	s_or_b32 exec_lo, exec_lo, s17
	v_cmp_lt_i64_e32 vcc_lo, -1, v[54:55]
	v_ashrrev_i32_e32 v69, 31, v55
	; wave barrier
	s_delay_alu instid0(VALU_DEP_1) | instskip(SKIP_1) | instid1(VALU_DEP_1)
	v_xor_b32_e32 v54, v69, v54
	v_cndmask_b32_e64 v68, -1, 0x80000000, vcc_lo
	v_xor_b32_e32 v55, v68, v55
	s_delay_alu instid0(VALU_DEP_1) | instskip(SKIP_2) | instid1(VALU_DEP_1)
	v_cmp_ne_u64_e32 vcc_lo, s[38:39], v[54:55]
	v_cndmask_b32_e32 v69, 0x80000000, v55, vcc_lo
	v_cndmask_b32_e32 v68, 0, v54, vcc_lo
	v_lshrrev_b64 v[68:69], s40, v[68:69]
	s_delay_alu instid0(VALU_DEP_1) | instskip(NEXT) | instid1(VALU_DEP_1)
	v_and_b32_e32 v68, s42, v68
	v_and_b32_e32 v69, 1, v68
	v_lshlrev_b32_e32 v70, 30, v68
	v_lshlrev_b32_e32 v71, 29, v68
	;; [unrolled: 1-line block ×4, first 2 shown]
	v_add_co_u32 v69, s17, v69, -1
	s_delay_alu instid0(VALU_DEP_1)
	v_cndmask_b32_e64 v73, 0, 1, s17
	v_not_b32_e32 v210, v70
	v_cmp_gt_i32_e64 s17, 0, v70
	v_not_b32_e32 v70, v71
	v_lshlrev_b32_e32 v75, 26, v68
	v_cmp_ne_u32_e32 vcc_lo, 0, v73
	v_ashrrev_i32_e32 v210, 31, v210
	v_lshlrev_b32_e32 v209, 25, v68
	v_ashrrev_i32_e32 v70, 31, v70
	v_lshlrev_b32_e32 v73, 24, v68
	v_xor_b32_e32 v69, vcc_lo, v69
	v_cmp_gt_i32_e32 vcc_lo, 0, v71
	v_not_b32_e32 v71, v72
	v_xor_b32_e32 v210, s17, v210
	v_cmp_gt_i32_e64 s17, 0, v72
	v_and_b32_e32 v69, exec_lo, v69
	v_not_b32_e32 v72, v74
	v_ashrrev_i32_e32 v71, 31, v71
	v_xor_b32_e32 v70, vcc_lo, v70
	v_cmp_gt_i32_e32 vcc_lo, 0, v74
	v_and_b32_e32 v69, v69, v210
	v_not_b32_e32 v74, v75
	v_ashrrev_i32_e32 v72, 31, v72
	v_xor_b32_e32 v71, s17, v71
	v_cmp_gt_i32_e64 s17, 0, v75
	v_and_b32_e32 v69, v69, v70
	v_not_b32_e32 v70, v209
	v_ashrrev_i32_e32 v74, 31, v74
	v_xor_b32_e32 v72, vcc_lo, v72
	v_cmp_gt_i32_e32 vcc_lo, 0, v209
	v_and_b32_e32 v69, v69, v71
	v_not_b32_e32 v71, v73
	v_ashrrev_i32_e32 v70, 31, v70
	v_xor_b32_e32 v74, s17, v74
	v_mul_u32_u24_e32 v68, 9, v68
	v_and_b32_e32 v69, v69, v72
	v_cmp_gt_i32_e64 s17, 0, v73
	v_ashrrev_i32_e32 v71, 31, v71
	v_xor_b32_e32 v70, vcc_lo, v70
	v_add_lshl_u32 v72, v68, v158, 2
	v_and_b32_e32 v69, v69, v74
	s_delay_alu instid0(VALU_DEP_4) | instskip(SKIP_3) | instid1(VALU_DEP_2)
	v_xor_b32_e32 v68, s17, v71
	ds_load_b32 v209, v72 offset:1056
	v_and_b32_e32 v69, v69, v70
	v_add_nc_u32_e32 v211, 0x420, v72
	; wave barrier
	v_and_b32_e32 v68, v69, v68
	s_delay_alu instid0(VALU_DEP_1) | instskip(SKIP_1) | instid1(VALU_DEP_2)
	v_mbcnt_lo_u32_b32 v210, v68, 0
	v_cmp_ne_u32_e64 s17, 0, v68
	v_cmp_eq_u32_e32 vcc_lo, 0, v210
	s_delay_alu instid0(VALU_DEP_2) | instskip(NEXT) | instid1(SALU_CYCLE_1)
	s_and_b32 s18, s17, vcc_lo
	s_and_saveexec_b32 s17, s18
	s_cbranch_execz .LBB1258_753
; %bb.752:                              ;   in Loop: Header=BB1258_693 Depth=2
	s_waitcnt lgkmcnt(0)
	v_bcnt_u32_b32 v68, v68, v209
	ds_store_b32 v211, v68
.LBB1258_753:                           ;   in Loop: Header=BB1258_693 Depth=2
	s_or_b32 exec_lo, exec_lo, s17
	v_cmp_lt_i64_e32 vcc_lo, -1, v[50:51]
	v_ashrrev_i32_e32 v69, 31, v51
	; wave barrier
	s_delay_alu instid0(VALU_DEP_1) | instskip(SKIP_1) | instid1(VALU_DEP_1)
	v_xor_b32_e32 v50, v69, v50
	v_cndmask_b32_e64 v68, -1, 0x80000000, vcc_lo
	v_xor_b32_e32 v51, v68, v51
	s_delay_alu instid0(VALU_DEP_1) | instskip(SKIP_2) | instid1(VALU_DEP_1)
	v_cmp_ne_u64_e32 vcc_lo, s[38:39], v[50:51]
	v_cndmask_b32_e32 v69, 0x80000000, v51, vcc_lo
	v_cndmask_b32_e32 v68, 0, v50, vcc_lo
	v_lshrrev_b64 v[68:69], s40, v[68:69]
	s_delay_alu instid0(VALU_DEP_1) | instskip(NEXT) | instid1(VALU_DEP_1)
	v_and_b32_e32 v68, s42, v68
	v_and_b32_e32 v69, 1, v68
	v_lshlrev_b32_e32 v70, 30, v68
	v_lshlrev_b32_e32 v71, 29, v68
	;; [unrolled: 1-line block ×4, first 2 shown]
	v_add_co_u32 v69, s17, v69, -1
	s_delay_alu instid0(VALU_DEP_1)
	v_cndmask_b32_e64 v73, 0, 1, s17
	v_not_b32_e32 v213, v70
	v_cmp_gt_i32_e64 s17, 0, v70
	v_not_b32_e32 v70, v71
	v_lshlrev_b32_e32 v75, 26, v68
	v_cmp_ne_u32_e32 vcc_lo, 0, v73
	v_ashrrev_i32_e32 v213, 31, v213
	v_lshlrev_b32_e32 v212, 25, v68
	v_ashrrev_i32_e32 v70, 31, v70
	v_lshlrev_b32_e32 v73, 24, v68
	v_xor_b32_e32 v69, vcc_lo, v69
	v_cmp_gt_i32_e32 vcc_lo, 0, v71
	v_not_b32_e32 v71, v72
	v_xor_b32_e32 v213, s17, v213
	v_cmp_gt_i32_e64 s17, 0, v72
	v_and_b32_e32 v69, exec_lo, v69
	v_not_b32_e32 v72, v74
	v_ashrrev_i32_e32 v71, 31, v71
	v_xor_b32_e32 v70, vcc_lo, v70
	v_cmp_gt_i32_e32 vcc_lo, 0, v74
	v_and_b32_e32 v69, v69, v213
	v_not_b32_e32 v74, v75
	v_ashrrev_i32_e32 v72, 31, v72
	v_xor_b32_e32 v71, s17, v71
	v_cmp_gt_i32_e64 s17, 0, v75
	v_and_b32_e32 v69, v69, v70
	v_not_b32_e32 v70, v212
	v_ashrrev_i32_e32 v74, 31, v74
	v_xor_b32_e32 v72, vcc_lo, v72
	v_cmp_gt_i32_e32 vcc_lo, 0, v212
	v_and_b32_e32 v69, v69, v71
	v_not_b32_e32 v71, v73
	v_ashrrev_i32_e32 v70, 31, v70
	v_xor_b32_e32 v74, s17, v74
	v_mul_u32_u24_e32 v68, 9, v68
	v_and_b32_e32 v69, v69, v72
	v_cmp_gt_i32_e64 s17, 0, v73
	v_ashrrev_i32_e32 v71, 31, v71
	v_xor_b32_e32 v70, vcc_lo, v70
	v_add_lshl_u32 v72, v68, v158, 2
	v_and_b32_e32 v69, v69, v74
	s_delay_alu instid0(VALU_DEP_4) | instskip(SKIP_3) | instid1(VALU_DEP_2)
	v_xor_b32_e32 v68, s17, v71
	ds_load_b32 v212, v72 offset:1056
	v_and_b32_e32 v69, v69, v70
	v_add_nc_u32_e32 v214, 0x420, v72
	; wave barrier
	v_and_b32_e32 v68, v69, v68
	s_delay_alu instid0(VALU_DEP_1) | instskip(SKIP_1) | instid1(VALU_DEP_2)
	v_mbcnt_lo_u32_b32 v213, v68, 0
	v_cmp_ne_u32_e64 s17, 0, v68
	v_cmp_eq_u32_e32 vcc_lo, 0, v213
	s_delay_alu instid0(VALU_DEP_2) | instskip(NEXT) | instid1(SALU_CYCLE_1)
	s_and_b32 s18, s17, vcc_lo
	s_and_saveexec_b32 s17, s18
	s_cbranch_execz .LBB1258_755
; %bb.754:                              ;   in Loop: Header=BB1258_693 Depth=2
	s_waitcnt lgkmcnt(0)
	v_bcnt_u32_b32 v68, v68, v212
	ds_store_b32 v214, v68
.LBB1258_755:                           ;   in Loop: Header=BB1258_693 Depth=2
	s_or_b32 exec_lo, exec_lo, s17
	v_cmp_lt_i64_e32 vcc_lo, -1, v[46:47]
	v_ashrrev_i32_e32 v69, 31, v47
	; wave barrier
	s_delay_alu instid0(VALU_DEP_1) | instskip(SKIP_1) | instid1(VALU_DEP_1)
	v_xor_b32_e32 v46, v69, v46
	v_cndmask_b32_e64 v68, -1, 0x80000000, vcc_lo
	v_xor_b32_e32 v47, v68, v47
	s_delay_alu instid0(VALU_DEP_1) | instskip(SKIP_2) | instid1(VALU_DEP_1)
	v_cmp_ne_u64_e32 vcc_lo, s[38:39], v[46:47]
	v_cndmask_b32_e32 v69, 0x80000000, v47, vcc_lo
	v_cndmask_b32_e32 v68, 0, v46, vcc_lo
	v_lshrrev_b64 v[68:69], s40, v[68:69]
	s_delay_alu instid0(VALU_DEP_1) | instskip(NEXT) | instid1(VALU_DEP_1)
	v_and_b32_e32 v68, s42, v68
	v_and_b32_e32 v69, 1, v68
	v_lshlrev_b32_e32 v70, 30, v68
	v_lshlrev_b32_e32 v71, 29, v68
	;; [unrolled: 1-line block ×4, first 2 shown]
	v_add_co_u32 v69, s17, v69, -1
	s_delay_alu instid0(VALU_DEP_1)
	v_cndmask_b32_e64 v73, 0, 1, s17
	v_not_b32_e32 v216, v70
	v_cmp_gt_i32_e64 s17, 0, v70
	v_not_b32_e32 v70, v71
	v_lshlrev_b32_e32 v75, 26, v68
	v_cmp_ne_u32_e32 vcc_lo, 0, v73
	v_ashrrev_i32_e32 v216, 31, v216
	v_lshlrev_b32_e32 v215, 25, v68
	v_ashrrev_i32_e32 v70, 31, v70
	v_lshlrev_b32_e32 v73, 24, v68
	v_xor_b32_e32 v69, vcc_lo, v69
	v_cmp_gt_i32_e32 vcc_lo, 0, v71
	v_not_b32_e32 v71, v72
	v_xor_b32_e32 v216, s17, v216
	v_cmp_gt_i32_e64 s17, 0, v72
	v_and_b32_e32 v69, exec_lo, v69
	v_not_b32_e32 v72, v74
	v_ashrrev_i32_e32 v71, 31, v71
	v_xor_b32_e32 v70, vcc_lo, v70
	v_cmp_gt_i32_e32 vcc_lo, 0, v74
	v_and_b32_e32 v69, v69, v216
	v_not_b32_e32 v74, v75
	v_ashrrev_i32_e32 v72, 31, v72
	v_xor_b32_e32 v71, s17, v71
	v_cmp_gt_i32_e64 s17, 0, v75
	v_and_b32_e32 v69, v69, v70
	v_not_b32_e32 v70, v215
	v_ashrrev_i32_e32 v74, 31, v74
	v_xor_b32_e32 v72, vcc_lo, v72
	v_cmp_gt_i32_e32 vcc_lo, 0, v215
	v_and_b32_e32 v69, v69, v71
	v_not_b32_e32 v71, v73
	v_ashrrev_i32_e32 v70, 31, v70
	v_xor_b32_e32 v74, s17, v74
	v_mul_u32_u24_e32 v68, 9, v68
	v_and_b32_e32 v69, v69, v72
	v_cmp_gt_i32_e64 s17, 0, v73
	v_ashrrev_i32_e32 v71, 31, v71
	v_xor_b32_e32 v70, vcc_lo, v70
	v_add_lshl_u32 v72, v68, v158, 2
	v_and_b32_e32 v69, v69, v74
	s_delay_alu instid0(VALU_DEP_4) | instskip(SKIP_3) | instid1(VALU_DEP_2)
	v_xor_b32_e32 v68, s17, v71
	ds_load_b32 v215, v72 offset:1056
	v_and_b32_e32 v69, v69, v70
	v_add_nc_u32_e32 v217, 0x420, v72
	; wave barrier
	v_and_b32_e32 v68, v69, v68
	s_delay_alu instid0(VALU_DEP_1) | instskip(SKIP_1) | instid1(VALU_DEP_2)
	v_mbcnt_lo_u32_b32 v216, v68, 0
	v_cmp_ne_u32_e64 s17, 0, v68
	v_cmp_eq_u32_e32 vcc_lo, 0, v216
	s_delay_alu instid0(VALU_DEP_2) | instskip(NEXT) | instid1(SALU_CYCLE_1)
	s_and_b32 s18, s17, vcc_lo
	s_and_saveexec_b32 s17, s18
	s_cbranch_execz .LBB1258_757
; %bb.756:                              ;   in Loop: Header=BB1258_693 Depth=2
	s_waitcnt lgkmcnt(0)
	v_bcnt_u32_b32 v68, v68, v215
	ds_store_b32 v217, v68
.LBB1258_757:                           ;   in Loop: Header=BB1258_693 Depth=2
	s_or_b32 exec_lo, exec_lo, s17
	v_cmp_lt_i64_e32 vcc_lo, -1, v[40:41]
	v_ashrrev_i32_e32 v69, 31, v41
	; wave barrier
	s_delay_alu instid0(VALU_DEP_1) | instskip(SKIP_1) | instid1(VALU_DEP_1)
	v_xor_b32_e32 v40, v69, v40
	v_cndmask_b32_e64 v68, -1, 0x80000000, vcc_lo
	v_xor_b32_e32 v41, v68, v41
	s_delay_alu instid0(VALU_DEP_1) | instskip(SKIP_2) | instid1(VALU_DEP_1)
	v_cmp_ne_u64_e32 vcc_lo, s[38:39], v[40:41]
	v_cndmask_b32_e32 v69, 0x80000000, v41, vcc_lo
	v_cndmask_b32_e32 v68, 0, v40, vcc_lo
	v_lshrrev_b64 v[68:69], s40, v[68:69]
	s_delay_alu instid0(VALU_DEP_1) | instskip(NEXT) | instid1(VALU_DEP_1)
	v_and_b32_e32 v68, s42, v68
	v_and_b32_e32 v69, 1, v68
	v_lshlrev_b32_e32 v70, 30, v68
	v_lshlrev_b32_e32 v71, 29, v68
	;; [unrolled: 1-line block ×4, first 2 shown]
	v_add_co_u32 v69, s17, v69, -1
	s_delay_alu instid0(VALU_DEP_1)
	v_cndmask_b32_e64 v73, 0, 1, s17
	v_not_b32_e32 v219, v70
	v_cmp_gt_i32_e64 s17, 0, v70
	v_not_b32_e32 v70, v71
	v_lshlrev_b32_e32 v75, 26, v68
	v_cmp_ne_u32_e32 vcc_lo, 0, v73
	v_ashrrev_i32_e32 v219, 31, v219
	v_lshlrev_b32_e32 v218, 25, v68
	v_ashrrev_i32_e32 v70, 31, v70
	v_lshlrev_b32_e32 v73, 24, v68
	v_xor_b32_e32 v69, vcc_lo, v69
	v_cmp_gt_i32_e32 vcc_lo, 0, v71
	v_not_b32_e32 v71, v72
	v_xor_b32_e32 v219, s17, v219
	v_cmp_gt_i32_e64 s17, 0, v72
	v_and_b32_e32 v69, exec_lo, v69
	v_not_b32_e32 v72, v74
	v_ashrrev_i32_e32 v71, 31, v71
	v_xor_b32_e32 v70, vcc_lo, v70
	v_cmp_gt_i32_e32 vcc_lo, 0, v74
	v_and_b32_e32 v69, v69, v219
	v_not_b32_e32 v74, v75
	v_ashrrev_i32_e32 v72, 31, v72
	v_xor_b32_e32 v71, s17, v71
	v_cmp_gt_i32_e64 s17, 0, v75
	v_and_b32_e32 v69, v69, v70
	v_not_b32_e32 v70, v218
	v_ashrrev_i32_e32 v74, 31, v74
	v_xor_b32_e32 v72, vcc_lo, v72
	v_cmp_gt_i32_e32 vcc_lo, 0, v218
	v_and_b32_e32 v69, v69, v71
	v_not_b32_e32 v71, v73
	v_ashrrev_i32_e32 v70, 31, v70
	v_xor_b32_e32 v74, s17, v74
	v_mul_u32_u24_e32 v68, 9, v68
	v_and_b32_e32 v69, v69, v72
	v_cmp_gt_i32_e64 s17, 0, v73
	v_ashrrev_i32_e32 v71, 31, v71
	v_xor_b32_e32 v70, vcc_lo, v70
	v_add_lshl_u32 v72, v68, v158, 2
	v_and_b32_e32 v69, v69, v74
	s_delay_alu instid0(VALU_DEP_4) | instskip(SKIP_3) | instid1(VALU_DEP_2)
	v_xor_b32_e32 v68, s17, v71
	ds_load_b32 v218, v72 offset:1056
	v_and_b32_e32 v69, v69, v70
	v_add_nc_u32_e32 v220, 0x420, v72
	; wave barrier
	v_and_b32_e32 v68, v69, v68
	s_delay_alu instid0(VALU_DEP_1) | instskip(SKIP_1) | instid1(VALU_DEP_2)
	v_mbcnt_lo_u32_b32 v219, v68, 0
	v_cmp_ne_u32_e64 s17, 0, v68
	v_cmp_eq_u32_e32 vcc_lo, 0, v219
	s_delay_alu instid0(VALU_DEP_2) | instskip(NEXT) | instid1(SALU_CYCLE_1)
	s_and_b32 s18, s17, vcc_lo
	s_and_saveexec_b32 s17, s18
	s_cbranch_execz .LBB1258_759
; %bb.758:                              ;   in Loop: Header=BB1258_693 Depth=2
	s_waitcnt lgkmcnt(0)
	v_bcnt_u32_b32 v68, v68, v218
	ds_store_b32 v220, v68
.LBB1258_759:                           ;   in Loop: Header=BB1258_693 Depth=2
	s_or_b32 exec_lo, exec_lo, s17
	v_cmp_lt_i64_e32 vcc_lo, -1, v[42:43]
	v_ashrrev_i32_e32 v69, 31, v43
	; wave barrier
	s_delay_alu instid0(VALU_DEP_1) | instskip(SKIP_1) | instid1(VALU_DEP_1)
	v_xor_b32_e32 v42, v69, v42
	v_cndmask_b32_e64 v68, -1, 0x80000000, vcc_lo
	v_xor_b32_e32 v43, v68, v43
	s_delay_alu instid0(VALU_DEP_1) | instskip(SKIP_2) | instid1(VALU_DEP_1)
	v_cmp_ne_u64_e32 vcc_lo, s[38:39], v[42:43]
	v_cndmask_b32_e32 v69, 0x80000000, v43, vcc_lo
	v_cndmask_b32_e32 v68, 0, v42, vcc_lo
	v_lshrrev_b64 v[68:69], s40, v[68:69]
	s_delay_alu instid0(VALU_DEP_1) | instskip(NEXT) | instid1(VALU_DEP_1)
	v_and_b32_e32 v68, s42, v68
	v_and_b32_e32 v69, 1, v68
	v_lshlrev_b32_e32 v70, 30, v68
	v_lshlrev_b32_e32 v71, 29, v68
	;; [unrolled: 1-line block ×4, first 2 shown]
	v_add_co_u32 v69, s17, v69, -1
	s_delay_alu instid0(VALU_DEP_1)
	v_cndmask_b32_e64 v73, 0, 1, s17
	v_not_b32_e32 v222, v70
	v_cmp_gt_i32_e64 s17, 0, v70
	v_not_b32_e32 v70, v71
	v_lshlrev_b32_e32 v75, 26, v68
	v_cmp_ne_u32_e32 vcc_lo, 0, v73
	v_ashrrev_i32_e32 v222, 31, v222
	v_lshlrev_b32_e32 v221, 25, v68
	v_ashrrev_i32_e32 v70, 31, v70
	v_lshlrev_b32_e32 v73, 24, v68
	v_xor_b32_e32 v69, vcc_lo, v69
	v_cmp_gt_i32_e32 vcc_lo, 0, v71
	v_not_b32_e32 v71, v72
	v_xor_b32_e32 v222, s17, v222
	v_cmp_gt_i32_e64 s17, 0, v72
	v_and_b32_e32 v69, exec_lo, v69
	v_not_b32_e32 v72, v74
	v_ashrrev_i32_e32 v71, 31, v71
	v_xor_b32_e32 v70, vcc_lo, v70
	v_cmp_gt_i32_e32 vcc_lo, 0, v74
	v_and_b32_e32 v69, v69, v222
	v_not_b32_e32 v74, v75
	v_ashrrev_i32_e32 v72, 31, v72
	v_xor_b32_e32 v71, s17, v71
	v_cmp_gt_i32_e64 s17, 0, v75
	v_and_b32_e32 v69, v69, v70
	v_not_b32_e32 v70, v221
	v_ashrrev_i32_e32 v74, 31, v74
	v_xor_b32_e32 v72, vcc_lo, v72
	v_cmp_gt_i32_e32 vcc_lo, 0, v221
	v_and_b32_e32 v69, v69, v71
	v_not_b32_e32 v71, v73
	v_ashrrev_i32_e32 v70, 31, v70
	v_xor_b32_e32 v74, s17, v74
	v_mul_u32_u24_e32 v68, 9, v68
	v_and_b32_e32 v69, v69, v72
	v_cmp_gt_i32_e64 s17, 0, v73
	v_ashrrev_i32_e32 v71, 31, v71
	v_xor_b32_e32 v70, vcc_lo, v70
	v_add_lshl_u32 v72, v68, v158, 2
	v_and_b32_e32 v69, v69, v74
	s_delay_alu instid0(VALU_DEP_4) | instskip(SKIP_3) | instid1(VALU_DEP_2)
	v_xor_b32_e32 v68, s17, v71
	ds_load_b32 v221, v72 offset:1056
	v_and_b32_e32 v69, v69, v70
	v_add_nc_u32_e32 v223, 0x420, v72
	; wave barrier
	v_and_b32_e32 v68, v69, v68
	s_delay_alu instid0(VALU_DEP_1) | instskip(SKIP_1) | instid1(VALU_DEP_2)
	v_mbcnt_lo_u32_b32 v222, v68, 0
	v_cmp_ne_u32_e64 s17, 0, v68
	v_cmp_eq_u32_e32 vcc_lo, 0, v222
	s_delay_alu instid0(VALU_DEP_2) | instskip(NEXT) | instid1(SALU_CYCLE_1)
	s_and_b32 s18, s17, vcc_lo
	s_and_saveexec_b32 s17, s18
	s_cbranch_execz .LBB1258_761
; %bb.760:                              ;   in Loop: Header=BB1258_693 Depth=2
	s_waitcnt lgkmcnt(0)
	v_bcnt_u32_b32 v68, v68, v221
	ds_store_b32 v223, v68
.LBB1258_761:                           ;   in Loop: Header=BB1258_693 Depth=2
	s_or_b32 exec_lo, exec_lo, s17
	; wave barrier
	s_waitcnt lgkmcnt(0)
	s_barrier
	buffer_gl0_inv
	ds_load_b32 v224, v102 offset:1056
	ds_load_2addr_b32 v[74:75], v103 offset0:1 offset1:2
	ds_load_2addr_b32 v[72:73], v103 offset0:3 offset1:4
	;; [unrolled: 1-line block ×4, first 2 shown]
	s_waitcnt lgkmcnt(3)
	v_add3_u32 v225, v74, v224, v75
	s_waitcnt lgkmcnt(2)
	s_delay_alu instid0(VALU_DEP_1) | instskip(SKIP_1) | instid1(VALU_DEP_1)
	v_add3_u32 v225, v225, v72, v73
	s_waitcnt lgkmcnt(1)
	v_add3_u32 v225, v225, v68, v69
	s_waitcnt lgkmcnt(0)
	s_delay_alu instid0(VALU_DEP_1) | instskip(NEXT) | instid1(VALU_DEP_1)
	v_add3_u32 v71, v225, v70, v71
	v_mov_b32_dpp v225, v71 row_shr:1 row_mask:0xf bank_mask:0xf
	s_delay_alu instid0(VALU_DEP_1) | instskip(NEXT) | instid1(VALU_DEP_1)
	v_cndmask_b32_e64 v225, v225, 0, s1
	v_add_nc_u32_e32 v71, v225, v71
	s_delay_alu instid0(VALU_DEP_1) | instskip(NEXT) | instid1(VALU_DEP_1)
	v_mov_b32_dpp v225, v71 row_shr:2 row_mask:0xf bank_mask:0xf
	v_cndmask_b32_e64 v225, 0, v225, s7
	s_delay_alu instid0(VALU_DEP_1) | instskip(NEXT) | instid1(VALU_DEP_1)
	v_add_nc_u32_e32 v71, v71, v225
	v_mov_b32_dpp v225, v71 row_shr:4 row_mask:0xf bank_mask:0xf
	s_delay_alu instid0(VALU_DEP_1) | instskip(NEXT) | instid1(VALU_DEP_1)
	v_cndmask_b32_e64 v225, 0, v225, s8
	v_add_nc_u32_e32 v71, v71, v225
	s_delay_alu instid0(VALU_DEP_1) | instskip(NEXT) | instid1(VALU_DEP_1)
	v_mov_b32_dpp v225, v71 row_shr:8 row_mask:0xf bank_mask:0xf
	v_cndmask_b32_e64 v225, 0, v225, s9
	s_delay_alu instid0(VALU_DEP_1) | instskip(SKIP_3) | instid1(VALU_DEP_1)
	v_add_nc_u32_e32 v71, v71, v225
	ds_swizzle_b32 v225, v71 offset:swizzle(BROADCAST,32,15)
	s_waitcnt lgkmcnt(0)
	v_cndmask_b32_e64 v225, v225, 0, s10
	v_add_nc_u32_e32 v71, v71, v225
	s_and_saveexec_b32 s17, s3
	s_cbranch_execz .LBB1258_763
; %bb.762:                              ;   in Loop: Header=BB1258_693 Depth=2
	ds_store_b32 v94, v71 offset:1024
.LBB1258_763:                           ;   in Loop: Header=BB1258_693 Depth=2
	s_or_b32 exec_lo, exec_lo, s17
	s_waitcnt lgkmcnt(0)
	s_barrier
	buffer_gl0_inv
	s_and_saveexec_b32 s17, s4
	s_cbranch_execz .LBB1258_765
; %bb.764:                              ;   in Loop: Header=BB1258_693 Depth=2
	ds_load_b32 v225, v104 offset:1024
	s_waitcnt lgkmcnt(0)
	v_mov_b32_dpp v226, v225 row_shr:1 row_mask:0xf bank_mask:0xf
	s_delay_alu instid0(VALU_DEP_1) | instskip(NEXT) | instid1(VALU_DEP_1)
	v_cndmask_b32_e64 v226, v226, 0, s12
	v_add_nc_u32_e32 v225, v226, v225
	s_delay_alu instid0(VALU_DEP_1) | instskip(NEXT) | instid1(VALU_DEP_1)
	v_mov_b32_dpp v226, v225 row_shr:2 row_mask:0xf bank_mask:0xf
	v_cndmask_b32_e64 v226, 0, v226, s13
	s_delay_alu instid0(VALU_DEP_1) | instskip(NEXT) | instid1(VALU_DEP_1)
	v_add_nc_u32_e32 v225, v225, v226
	v_mov_b32_dpp v226, v225 row_shr:4 row_mask:0xf bank_mask:0xf
	s_delay_alu instid0(VALU_DEP_1) | instskip(NEXT) | instid1(VALU_DEP_1)
	v_cndmask_b32_e64 v226, 0, v226, s16
	v_add_nc_u32_e32 v225, v225, v226
	ds_store_b32 v104, v225 offset:1024
.LBB1258_765:                           ;   in Loop: Header=BB1258_693 Depth=2
	s_or_b32 exec_lo, exec_lo, s17
	v_mov_b32_e32 v225, 0
	s_waitcnt lgkmcnt(0)
	s_barrier
	buffer_gl0_inv
	s_and_saveexec_b32 s17, s5
	s_cbranch_execz .LBB1258_767
; %bb.766:                              ;   in Loop: Header=BB1258_693 Depth=2
	ds_load_b32 v225, v94 offset:1020
.LBB1258_767:                           ;   in Loop: Header=BB1258_693 Depth=2
	s_or_b32 exec_lo, exec_lo, s17
	s_waitcnt lgkmcnt(0)
	v_add_nc_u32_e32 v71, v225, v71
	ds_bpermute_b32 v71, v137, v71
	s_waitcnt lgkmcnt(0)
	v_cndmask_b32_e64 v71, v71, v225, s11
	s_delay_alu instid0(VALU_DEP_1) | instskip(NEXT) | instid1(VALU_DEP_1)
	v_cndmask_b32_e64 v71, v71, 0, s0
	v_add_nc_u32_e32 v224, v71, v224
	s_delay_alu instid0(VALU_DEP_1) | instskip(NEXT) | instid1(VALU_DEP_1)
	v_add_nc_u32_e32 v74, v224, v74
	v_add_nc_u32_e32 v75, v74, v75
	s_delay_alu instid0(VALU_DEP_1) | instskip(NEXT) | instid1(VALU_DEP_1)
	v_add_nc_u32_e32 v72, v75, v72
	;; [unrolled: 3-line block ×3, first 2 shown]
	v_add_nc_u32_e32 v69, v68, v69
	s_delay_alu instid0(VALU_DEP_1)
	v_add_nc_u32_e32 v70, v69, v70
	ds_store_b32 v102, v71 offset:1056
	ds_store_2addr_b32 v103, v224, v74 offset0:1 offset1:2
	ds_store_2addr_b32 v103, v75, v72 offset0:3 offset1:4
	;; [unrolled: 1-line block ×4, first 2 shown]
	v_mov_b32_e32 v68, 0x1000
	s_waitcnt lgkmcnt(0)
	s_barrier
	buffer_gl0_inv
	ds_load_b32 v70, v181
	ds_load_b32 v71, v184
	;; [unrolled: 1-line block ×16, first 2 shown]
	ds_load_b32 v178, v102 offset:1056
	s_and_saveexec_b32 s17, s6
	s_cbranch_execz .LBB1258_769
; %bb.768:                              ;   in Loop: Header=BB1258_693 Depth=2
	ds_load_b32 v68, v105 offset:1056
.LBB1258_769:                           ;   in Loop: Header=BB1258_693 Depth=2
	s_or_b32 exec_lo, exec_lo, s17
	s_waitcnt lgkmcnt(0)
	s_barrier
	buffer_gl0_inv
	s_and_saveexec_b32 s17, s2
	s_cbranch_execz .LBB1258_771
; %bb.770:                              ;   in Loop: Header=BB1258_693 Depth=2
	ds_load_b32 v202, v76
	s_waitcnt lgkmcnt(0)
	v_sub_nc_u32_e32 v178, v202, v178
	ds_store_b32 v76, v178
.LBB1258_771:                           ;   in Loop: Header=BB1258_693 Depth=2
	s_or_b32 exec_lo, exec_lo, s17
	v_add_nc_u32_e32 v179, v180, v179
	v_add_lshl_u32 v69, v69, v2, 3
	v_add_nc_u32_e32 v2, v183, v182
	v_add_nc_u32_e32 v180, v186, v185
	;; [unrolled: 1-line block ×8, first 2 shown]
	v_add_lshl_u32 v70, v179, v70, 3
	v_add_lshl_u32 v71, v2, v71, 3
	v_add_nc_u32_e32 v200, v201, v200
	v_add_lshl_u32 v72, v180, v72, 3
	v_add_nc_u32_e32 v203, v204, v203
	;; [unrolled: 2-line block ×3, first 2 shown]
	v_add_nc_u32_e32 v202, v219, v218
	v_add_nc_u32_e32 v205, v216, v215
	;; [unrolled: 1-line block ×3, first 2 shown]
	ds_store_b64 v69, v[36:37] offset:1024
	ds_store_b64 v70, v[38:39] offset:1024
	v_add_lshl_u32 v38, v191, v225, 3
	ds_store_b64 v71, v[44:45] offset:1024
	ds_store_b64 v72, v[48:49] offset:1024
	;; [unrolled: 1-line block ×3, first 2 shown]
	v_add_lshl_u32 v39, v194, v224, 3
	v_add_lshl_u32 v44, v197, v199, 3
	v_add_lshl_u32 v49, v206, v190, 3
	v_add_lshl_u32 v52, v209, v187, 3
	v_add_lshl_u32 v45, v200, v196, 3
	v_add_lshl_u32 v48, v203, v193, 3
	ds_store_b64 v38, v[58:59] offset:1024
	ds_store_b64 v39, v[62:63] offset:1024
	;; [unrolled: 1-line block ×6, first 2 shown]
	v_add_lshl_u32 v53, v208, v184, 3
	v_add_lshl_u32 v56, v205, v181, 3
	;; [unrolled: 1-line block ×3, first 2 shown]
	ds_store_b64 v52, v[54:55] offset:1024
	v_add_lshl_u32 v54, v178, v74, 3
	v_cmp_lt_u32_e32 vcc_lo, v1, v177
	ds_store_b64 v53, v[50:51] offset:1024
	ds_store_b64 v56, v[46:47] offset:1024
	;; [unrolled: 1-line block ×4, first 2 shown]
	s_waitcnt lgkmcnt(0)
	s_barrier
	buffer_gl0_inv
	s_and_saveexec_b32 s18, vcc_lo
	s_cbranch_execz .LBB1258_787
; %bb.772:                              ;   in Loop: Header=BB1258_693 Depth=2
	v_add_nc_u32_e32 v2, v104, v76
	ds_load_b64 v[36:37], v2 offset:1024
	s_waitcnt lgkmcnt(0)
	v_cmp_ne_u64_e64 s17, s[38:39], v[36:37]
	s_delay_alu instid0(VALU_DEP_1) | instskip(SKIP_2) | instid1(VALU_DEP_2)
	v_cndmask_b32_e64 v41, 0x80000000, v37, s17
	v_cndmask_b32_e64 v40, 0, v36, s17
	v_cmp_lt_i64_e64 s17, -1, v[36:37]
	v_lshrrev_b64 v[40:41], s40, v[40:41]
	s_delay_alu instid0(VALU_DEP_2) | instskip(NEXT) | instid1(VALU_DEP_2)
	v_cndmask_b32_e64 v42, 0x80000000, -1, s17
	v_and_b32_e32 v2, s42, v40
	v_ashrrev_i32_e32 v40, 31, v37
	s_delay_alu instid0(VALU_DEP_3) | instskip(NEXT) | instid1(VALU_DEP_3)
	v_xor_b32_e32 v37, v42, v37
	v_lshlrev_b32_e32 v2, 2, v2
	s_delay_alu instid0(VALU_DEP_3) | instskip(SKIP_4) | instid1(VALU_DEP_1)
	v_not_b32_e32 v43, v40
	ds_load_b32 v2, v2
	v_xor_b32_e32 v36, v43, v36
	s_waitcnt lgkmcnt(0)
	v_add_nc_u32_e32 v2, v2, v1
	v_lshlrev_b64 v[40:41], 3, v[2:3]
	s_delay_alu instid0(VALU_DEP_1) | instskip(NEXT) | instid1(VALU_DEP_1)
	v_add_co_u32 v40, s17, s46, v40
	v_add_co_ci_u32_e64 v41, s17, s47, v41, s17
	global_store_b64 v[40:41], v[36:37], off
	s_or_b32 exec_lo, exec_lo, s18
	v_cmp_lt_u32_e64 s17, v77, v177
	s_delay_alu instid0(VALU_DEP_1)
	s_and_saveexec_b32 s19, s17
	s_cbranch_execnz .LBB1258_788
.LBB1258_773:                           ;   in Loop: Header=BB1258_693 Depth=2
	s_or_b32 exec_lo, exec_lo, s19
	v_cmp_lt_u32_e64 s18, v78, v177
	s_delay_alu instid0(VALU_DEP_1)
	s_and_saveexec_b32 s20, s18
	s_cbranch_execz .LBB1258_789
.LBB1258_774:                           ;   in Loop: Header=BB1258_693 Depth=2
	ds_load_b64 v[36:37], v110 offset:4096
	s_waitcnt lgkmcnt(0)
	v_cmp_ne_u64_e64 s19, s[38:39], v[36:37]
	s_delay_alu instid0(VALU_DEP_1) | instskip(SKIP_2) | instid1(VALU_DEP_2)
	v_cndmask_b32_e64 v41, 0x80000000, v37, s19
	v_cndmask_b32_e64 v40, 0, v36, s19
	v_cmp_lt_i64_e64 s19, -1, v[36:37]
	v_lshrrev_b64 v[40:41], s40, v[40:41]
	s_delay_alu instid0(VALU_DEP_2) | instskip(NEXT) | instid1(VALU_DEP_2)
	v_cndmask_b32_e64 v42, 0x80000000, -1, s19
	v_and_b32_e32 v2, s42, v40
	v_ashrrev_i32_e32 v40, 31, v37
	s_delay_alu instid0(VALU_DEP_3) | instskip(NEXT) | instid1(VALU_DEP_3)
	v_xor_b32_e32 v37, v42, v37
	v_lshlrev_b32_e32 v2, 2, v2
	s_delay_alu instid0(VALU_DEP_3) | instskip(SKIP_4) | instid1(VALU_DEP_1)
	v_not_b32_e32 v43, v40
	ds_load_b32 v2, v2
	v_xor_b32_e32 v36, v43, v36
	s_waitcnt lgkmcnt(0)
	v_add_nc_u32_e32 v2, v2, v78
	v_lshlrev_b64 v[40:41], 3, v[2:3]
	s_delay_alu instid0(VALU_DEP_1) | instskip(NEXT) | instid1(VALU_DEP_1)
	v_add_co_u32 v40, s19, s46, v40
	v_add_co_ci_u32_e64 v41, s19, s47, v41, s19
	global_store_b64 v[40:41], v[36:37], off
	s_or_b32 exec_lo, exec_lo, s20
	v_cmp_lt_u32_e64 s19, v79, v177
	s_delay_alu instid0(VALU_DEP_1)
	s_and_saveexec_b32 s21, s19
	s_cbranch_execnz .LBB1258_790
.LBB1258_775:                           ;   in Loop: Header=BB1258_693 Depth=2
	s_or_b32 exec_lo, exec_lo, s21
	v_cmp_lt_u32_e64 s20, v83, v177
	s_delay_alu instid0(VALU_DEP_1)
	s_and_saveexec_b32 s22, s20
	s_cbranch_execz .LBB1258_791
.LBB1258_776:                           ;   in Loop: Header=BB1258_693 Depth=2
	ds_load_b64 v[36:37], v110 offset:8192
	s_waitcnt lgkmcnt(0)
	v_cmp_ne_u64_e64 s21, s[38:39], v[36:37]
	s_delay_alu instid0(VALU_DEP_1) | instskip(SKIP_2) | instid1(VALU_DEP_2)
	v_cndmask_b32_e64 v41, 0x80000000, v37, s21
	v_cndmask_b32_e64 v40, 0, v36, s21
	v_cmp_lt_i64_e64 s21, -1, v[36:37]
	v_lshrrev_b64 v[40:41], s40, v[40:41]
	s_delay_alu instid0(VALU_DEP_2) | instskip(NEXT) | instid1(VALU_DEP_2)
	v_cndmask_b32_e64 v42, 0x80000000, -1, s21
	v_and_b32_e32 v2, s42, v40
	v_ashrrev_i32_e32 v40, 31, v37
	s_delay_alu instid0(VALU_DEP_3) | instskip(NEXT) | instid1(VALU_DEP_3)
	v_xor_b32_e32 v37, v42, v37
	v_lshlrev_b32_e32 v2, 2, v2
	s_delay_alu instid0(VALU_DEP_3) | instskip(SKIP_4) | instid1(VALU_DEP_1)
	v_not_b32_e32 v43, v40
	ds_load_b32 v2, v2
	v_xor_b32_e32 v36, v43, v36
	s_waitcnt lgkmcnt(0)
	v_add_nc_u32_e32 v2, v2, v83
	v_lshlrev_b64 v[40:41], 3, v[2:3]
	s_delay_alu instid0(VALU_DEP_1) | instskip(NEXT) | instid1(VALU_DEP_1)
	v_add_co_u32 v40, s21, s46, v40
	v_add_co_ci_u32_e64 v41, s21, s47, v41, s21
	global_store_b64 v[40:41], v[36:37], off
	s_or_b32 exec_lo, exec_lo, s22
	v_cmp_lt_u32_e64 s21, v84, v177
	s_delay_alu instid0(VALU_DEP_1)
	s_and_saveexec_b32 s23, s21
	s_cbranch_execnz .LBB1258_792
.LBB1258_777:                           ;   in Loop: Header=BB1258_693 Depth=2
	s_or_b32 exec_lo, exec_lo, s23
	v_cmp_lt_u32_e64 s22, v85, v177
	s_delay_alu instid0(VALU_DEP_1)
	s_and_saveexec_b32 s24, s22
	s_cbranch_execz .LBB1258_793
.LBB1258_778:                           ;   in Loop: Header=BB1258_693 Depth=2
	ds_load_b64 v[36:37], v110 offset:12288
	s_waitcnt lgkmcnt(0)
	v_cmp_ne_u64_e64 s23, s[38:39], v[36:37]
	s_delay_alu instid0(VALU_DEP_1) | instskip(SKIP_2) | instid1(VALU_DEP_2)
	v_cndmask_b32_e64 v41, 0x80000000, v37, s23
	v_cndmask_b32_e64 v40, 0, v36, s23
	v_cmp_lt_i64_e64 s23, -1, v[36:37]
	v_lshrrev_b64 v[40:41], s40, v[40:41]
	s_delay_alu instid0(VALU_DEP_2) | instskip(NEXT) | instid1(VALU_DEP_2)
	v_cndmask_b32_e64 v42, 0x80000000, -1, s23
	v_and_b32_e32 v2, s42, v40
	v_ashrrev_i32_e32 v40, 31, v37
	s_delay_alu instid0(VALU_DEP_3) | instskip(NEXT) | instid1(VALU_DEP_3)
	v_xor_b32_e32 v37, v42, v37
	v_lshlrev_b32_e32 v2, 2, v2
	s_delay_alu instid0(VALU_DEP_3) | instskip(SKIP_4) | instid1(VALU_DEP_1)
	v_not_b32_e32 v43, v40
	ds_load_b32 v2, v2
	v_xor_b32_e32 v36, v43, v36
	s_waitcnt lgkmcnt(0)
	v_add_nc_u32_e32 v2, v2, v85
	v_lshlrev_b64 v[40:41], 3, v[2:3]
	s_delay_alu instid0(VALU_DEP_1) | instskip(NEXT) | instid1(VALU_DEP_1)
	v_add_co_u32 v40, s23, s46, v40
	v_add_co_ci_u32_e64 v41, s23, s47, v41, s23
	global_store_b64 v[40:41], v[36:37], off
	s_or_b32 exec_lo, exec_lo, s24
	v_cmp_lt_u32_e64 s23, v86, v177
	s_delay_alu instid0(VALU_DEP_1)
	s_and_saveexec_b32 s25, s23
	s_cbranch_execnz .LBB1258_794
.LBB1258_779:                           ;   in Loop: Header=BB1258_693 Depth=2
	s_or_b32 exec_lo, exec_lo, s25
	v_cmp_lt_u32_e64 s24, v87, v177
	s_delay_alu instid0(VALU_DEP_1)
	s_and_saveexec_b32 s26, s24
	s_cbranch_execz .LBB1258_795
.LBB1258_780:                           ;   in Loop: Header=BB1258_693 Depth=2
	ds_load_b64 v[36:37], v110 offset:16384
	s_waitcnt lgkmcnt(0)
	v_cmp_ne_u64_e64 s25, s[38:39], v[36:37]
	s_delay_alu instid0(VALU_DEP_1) | instskip(SKIP_2) | instid1(VALU_DEP_2)
	v_cndmask_b32_e64 v41, 0x80000000, v37, s25
	v_cndmask_b32_e64 v40, 0, v36, s25
	v_cmp_lt_i64_e64 s25, -1, v[36:37]
	v_lshrrev_b64 v[40:41], s40, v[40:41]
	s_delay_alu instid0(VALU_DEP_2) | instskip(NEXT) | instid1(VALU_DEP_2)
	v_cndmask_b32_e64 v42, 0x80000000, -1, s25
	v_and_b32_e32 v2, s42, v40
	v_ashrrev_i32_e32 v40, 31, v37
	s_delay_alu instid0(VALU_DEP_3) | instskip(NEXT) | instid1(VALU_DEP_3)
	v_xor_b32_e32 v37, v42, v37
	v_lshlrev_b32_e32 v2, 2, v2
	s_delay_alu instid0(VALU_DEP_3) | instskip(SKIP_4) | instid1(VALU_DEP_1)
	v_not_b32_e32 v43, v40
	ds_load_b32 v2, v2
	v_xor_b32_e32 v36, v43, v36
	s_waitcnt lgkmcnt(0)
	v_add_nc_u32_e32 v2, v2, v87
	v_lshlrev_b64 v[40:41], 3, v[2:3]
	s_delay_alu instid0(VALU_DEP_1) | instskip(NEXT) | instid1(VALU_DEP_1)
	v_add_co_u32 v40, s25, s46, v40
	v_add_co_ci_u32_e64 v41, s25, s47, v41, s25
	global_store_b64 v[40:41], v[36:37], off
	s_or_b32 exec_lo, exec_lo, s26
	v_cmp_lt_u32_e64 s25, v88, v177
	s_delay_alu instid0(VALU_DEP_1)
	s_and_saveexec_b32 s27, s25
	s_cbranch_execnz .LBB1258_796
.LBB1258_781:                           ;   in Loop: Header=BB1258_693 Depth=2
	s_or_b32 exec_lo, exec_lo, s27
	v_cmp_lt_u32_e64 s26, v89, v177
	s_delay_alu instid0(VALU_DEP_1)
	s_and_saveexec_b32 s28, s26
	s_cbranch_execz .LBB1258_797
.LBB1258_782:                           ;   in Loop: Header=BB1258_693 Depth=2
	ds_load_b64 v[36:37], v110 offset:20480
	s_waitcnt lgkmcnt(0)
	v_cmp_ne_u64_e64 s27, s[38:39], v[36:37]
	s_delay_alu instid0(VALU_DEP_1) | instskip(SKIP_2) | instid1(VALU_DEP_2)
	v_cndmask_b32_e64 v41, 0x80000000, v37, s27
	v_cndmask_b32_e64 v40, 0, v36, s27
	v_cmp_lt_i64_e64 s27, -1, v[36:37]
	v_lshrrev_b64 v[40:41], s40, v[40:41]
	s_delay_alu instid0(VALU_DEP_2) | instskip(NEXT) | instid1(VALU_DEP_2)
	v_cndmask_b32_e64 v42, 0x80000000, -1, s27
	v_and_b32_e32 v2, s42, v40
	v_ashrrev_i32_e32 v40, 31, v37
	s_delay_alu instid0(VALU_DEP_3) | instskip(NEXT) | instid1(VALU_DEP_3)
	v_xor_b32_e32 v37, v42, v37
	v_lshlrev_b32_e32 v2, 2, v2
	s_delay_alu instid0(VALU_DEP_3) | instskip(SKIP_4) | instid1(VALU_DEP_1)
	v_not_b32_e32 v43, v40
	ds_load_b32 v2, v2
	v_xor_b32_e32 v36, v43, v36
	s_waitcnt lgkmcnt(0)
	v_add_nc_u32_e32 v2, v2, v89
	v_lshlrev_b64 v[40:41], 3, v[2:3]
	s_delay_alu instid0(VALU_DEP_1) | instskip(NEXT) | instid1(VALU_DEP_1)
	v_add_co_u32 v40, s27, s46, v40
	v_add_co_ci_u32_e64 v41, s27, s47, v41, s27
	global_store_b64 v[40:41], v[36:37], off
	s_or_b32 exec_lo, exec_lo, s28
	v_cmp_lt_u32_e64 s27, v90, v177
	s_delay_alu instid0(VALU_DEP_1)
	s_and_saveexec_b32 s29, s27
	s_cbranch_execnz .LBB1258_798
.LBB1258_783:                           ;   in Loop: Header=BB1258_693 Depth=2
	s_or_b32 exec_lo, exec_lo, s29
	v_cmp_lt_u32_e64 s28, v91, v177
	s_delay_alu instid0(VALU_DEP_1)
	s_and_saveexec_b32 s30, s28
	s_cbranch_execz .LBB1258_799
.LBB1258_784:                           ;   in Loop: Header=BB1258_693 Depth=2
	ds_load_b64 v[36:37], v110 offset:24576
	s_waitcnt lgkmcnt(0)
	v_cmp_ne_u64_e64 s29, s[38:39], v[36:37]
	s_delay_alu instid0(VALU_DEP_1) | instskip(SKIP_2) | instid1(VALU_DEP_2)
	v_cndmask_b32_e64 v41, 0x80000000, v37, s29
	v_cndmask_b32_e64 v40, 0, v36, s29
	v_cmp_lt_i64_e64 s29, -1, v[36:37]
	v_lshrrev_b64 v[40:41], s40, v[40:41]
	s_delay_alu instid0(VALU_DEP_2) | instskip(NEXT) | instid1(VALU_DEP_2)
	v_cndmask_b32_e64 v42, 0x80000000, -1, s29
	v_and_b32_e32 v2, s42, v40
	v_ashrrev_i32_e32 v40, 31, v37
	s_delay_alu instid0(VALU_DEP_3) | instskip(NEXT) | instid1(VALU_DEP_3)
	v_xor_b32_e32 v37, v42, v37
	v_lshlrev_b32_e32 v2, 2, v2
	s_delay_alu instid0(VALU_DEP_3) | instskip(SKIP_4) | instid1(VALU_DEP_1)
	v_not_b32_e32 v43, v40
	ds_load_b32 v2, v2
	v_xor_b32_e32 v36, v43, v36
	s_waitcnt lgkmcnt(0)
	v_add_nc_u32_e32 v2, v2, v91
	v_lshlrev_b64 v[40:41], 3, v[2:3]
	s_delay_alu instid0(VALU_DEP_1) | instskip(NEXT) | instid1(VALU_DEP_1)
	v_add_co_u32 v40, s29, s46, v40
	v_add_co_ci_u32_e64 v41, s29, s47, v41, s29
	global_store_b64 v[40:41], v[36:37], off
	s_or_b32 exec_lo, exec_lo, s30
	v_cmp_lt_u32_e64 s29, v92, v177
	s_delay_alu instid0(VALU_DEP_1)
	s_and_saveexec_b32 s31, s29
	s_cbranch_execnz .LBB1258_800
.LBB1258_785:                           ;   in Loop: Header=BB1258_693 Depth=2
	s_or_b32 exec_lo, exec_lo, s31
	v_cmp_lt_u32_e64 s30, v93, v177
	s_delay_alu instid0(VALU_DEP_1)
	s_and_saveexec_b32 s33, s30
	s_cbranch_execz .LBB1258_801
.LBB1258_786:                           ;   in Loop: Header=BB1258_693 Depth=2
	ds_load_b64 v[36:37], v110 offset:28672
	s_waitcnt lgkmcnt(0)
	v_cmp_ne_u64_e64 s31, s[38:39], v[36:37]
	s_delay_alu instid0(VALU_DEP_1) | instskip(SKIP_2) | instid1(VALU_DEP_2)
	v_cndmask_b32_e64 v41, 0x80000000, v37, s31
	v_cndmask_b32_e64 v40, 0, v36, s31
	v_cmp_lt_i64_e64 s31, -1, v[36:37]
	v_lshrrev_b64 v[40:41], s40, v[40:41]
	s_delay_alu instid0(VALU_DEP_2) | instskip(NEXT) | instid1(VALU_DEP_2)
	v_cndmask_b32_e64 v42, 0x80000000, -1, s31
	v_and_b32_e32 v2, s42, v40
	v_ashrrev_i32_e32 v40, 31, v37
	s_delay_alu instid0(VALU_DEP_3) | instskip(NEXT) | instid1(VALU_DEP_3)
	v_xor_b32_e32 v37, v42, v37
	v_lshlrev_b32_e32 v2, 2, v2
	s_delay_alu instid0(VALU_DEP_3) | instskip(SKIP_4) | instid1(VALU_DEP_1)
	v_not_b32_e32 v43, v40
	ds_load_b32 v2, v2
	v_xor_b32_e32 v36, v43, v36
	s_waitcnt lgkmcnt(0)
	v_add_nc_u32_e32 v2, v2, v93
	v_lshlrev_b64 v[40:41], 3, v[2:3]
	s_delay_alu instid0(VALU_DEP_1) | instskip(NEXT) | instid1(VALU_DEP_1)
	v_add_co_u32 v40, s31, s46, v40
	v_add_co_ci_u32_e64 v41, s31, s47, v41, s31
	global_store_b64 v[40:41], v[36:37], off
	s_or_b32 exec_lo, exec_lo, s33
	v_cmp_lt_u32_e64 s31, v95, v177
	s_delay_alu instid0(VALU_DEP_1)
	s_and_saveexec_b32 s51, s31
	s_cbranch_execnz .LBB1258_802
	s_branch .LBB1258_803
.LBB1258_787:                           ;   in Loop: Header=BB1258_693 Depth=2
	s_or_b32 exec_lo, exec_lo, s18
	v_cmp_lt_u32_e64 s17, v77, v177
	s_delay_alu instid0(VALU_DEP_1)
	s_and_saveexec_b32 s19, s17
	s_cbranch_execz .LBB1258_773
.LBB1258_788:                           ;   in Loop: Header=BB1258_693 Depth=2
	ds_load_b64 v[36:37], v110 offset:2048
	s_waitcnt lgkmcnt(0)
	v_cmp_ne_u64_e64 s18, s[38:39], v[36:37]
	s_delay_alu instid0(VALU_DEP_1) | instskip(SKIP_2) | instid1(VALU_DEP_2)
	v_cndmask_b32_e64 v41, 0x80000000, v37, s18
	v_cndmask_b32_e64 v40, 0, v36, s18
	v_cmp_lt_i64_e64 s18, -1, v[36:37]
	v_lshrrev_b64 v[40:41], s40, v[40:41]
	s_delay_alu instid0(VALU_DEP_2) | instskip(NEXT) | instid1(VALU_DEP_2)
	v_cndmask_b32_e64 v42, 0x80000000, -1, s18
	v_and_b32_e32 v2, s42, v40
	v_ashrrev_i32_e32 v40, 31, v37
	s_delay_alu instid0(VALU_DEP_3) | instskip(NEXT) | instid1(VALU_DEP_3)
	v_xor_b32_e32 v37, v42, v37
	v_lshlrev_b32_e32 v2, 2, v2
	s_delay_alu instid0(VALU_DEP_3) | instskip(SKIP_4) | instid1(VALU_DEP_1)
	v_not_b32_e32 v43, v40
	ds_load_b32 v2, v2
	v_xor_b32_e32 v36, v43, v36
	s_waitcnt lgkmcnt(0)
	v_add_nc_u32_e32 v2, v2, v77
	v_lshlrev_b64 v[40:41], 3, v[2:3]
	s_delay_alu instid0(VALU_DEP_1) | instskip(NEXT) | instid1(VALU_DEP_1)
	v_add_co_u32 v40, s18, s46, v40
	v_add_co_ci_u32_e64 v41, s18, s47, v41, s18
	global_store_b64 v[40:41], v[36:37], off
	s_or_b32 exec_lo, exec_lo, s19
	v_cmp_lt_u32_e64 s18, v78, v177
	s_delay_alu instid0(VALU_DEP_1)
	s_and_saveexec_b32 s20, s18
	s_cbranch_execnz .LBB1258_774
.LBB1258_789:                           ;   in Loop: Header=BB1258_693 Depth=2
	s_or_b32 exec_lo, exec_lo, s20
	v_cmp_lt_u32_e64 s19, v79, v177
	s_delay_alu instid0(VALU_DEP_1)
	s_and_saveexec_b32 s21, s19
	s_cbranch_execz .LBB1258_775
.LBB1258_790:                           ;   in Loop: Header=BB1258_693 Depth=2
	ds_load_b64 v[36:37], v110 offset:6144
	s_waitcnt lgkmcnt(0)
	v_cmp_ne_u64_e64 s20, s[38:39], v[36:37]
	s_delay_alu instid0(VALU_DEP_1) | instskip(SKIP_2) | instid1(VALU_DEP_2)
	v_cndmask_b32_e64 v41, 0x80000000, v37, s20
	v_cndmask_b32_e64 v40, 0, v36, s20
	v_cmp_lt_i64_e64 s20, -1, v[36:37]
	v_lshrrev_b64 v[40:41], s40, v[40:41]
	s_delay_alu instid0(VALU_DEP_2) | instskip(NEXT) | instid1(VALU_DEP_2)
	v_cndmask_b32_e64 v42, 0x80000000, -1, s20
	v_and_b32_e32 v2, s42, v40
	v_ashrrev_i32_e32 v40, 31, v37
	s_delay_alu instid0(VALU_DEP_3) | instskip(NEXT) | instid1(VALU_DEP_3)
	v_xor_b32_e32 v37, v42, v37
	v_lshlrev_b32_e32 v2, 2, v2
	s_delay_alu instid0(VALU_DEP_3) | instskip(SKIP_4) | instid1(VALU_DEP_1)
	v_not_b32_e32 v43, v40
	ds_load_b32 v2, v2
	v_xor_b32_e32 v36, v43, v36
	s_waitcnt lgkmcnt(0)
	v_add_nc_u32_e32 v2, v2, v79
	v_lshlrev_b64 v[40:41], 3, v[2:3]
	s_delay_alu instid0(VALU_DEP_1) | instskip(NEXT) | instid1(VALU_DEP_1)
	v_add_co_u32 v40, s20, s46, v40
	v_add_co_ci_u32_e64 v41, s20, s47, v41, s20
	global_store_b64 v[40:41], v[36:37], off
	s_or_b32 exec_lo, exec_lo, s21
	v_cmp_lt_u32_e64 s20, v83, v177
	s_delay_alu instid0(VALU_DEP_1)
	s_and_saveexec_b32 s22, s20
	s_cbranch_execnz .LBB1258_776
.LBB1258_791:                           ;   in Loop: Header=BB1258_693 Depth=2
	s_or_b32 exec_lo, exec_lo, s22
	v_cmp_lt_u32_e64 s21, v84, v177
	s_delay_alu instid0(VALU_DEP_1)
	s_and_saveexec_b32 s23, s21
	s_cbranch_execz .LBB1258_777
.LBB1258_792:                           ;   in Loop: Header=BB1258_693 Depth=2
	ds_load_b64 v[36:37], v110 offset:10240
	s_waitcnt lgkmcnt(0)
	v_cmp_ne_u64_e64 s22, s[38:39], v[36:37]
	s_delay_alu instid0(VALU_DEP_1) | instskip(SKIP_2) | instid1(VALU_DEP_2)
	v_cndmask_b32_e64 v41, 0x80000000, v37, s22
	v_cndmask_b32_e64 v40, 0, v36, s22
	v_cmp_lt_i64_e64 s22, -1, v[36:37]
	v_lshrrev_b64 v[40:41], s40, v[40:41]
	s_delay_alu instid0(VALU_DEP_2) | instskip(NEXT) | instid1(VALU_DEP_2)
	v_cndmask_b32_e64 v42, 0x80000000, -1, s22
	v_and_b32_e32 v2, s42, v40
	v_ashrrev_i32_e32 v40, 31, v37
	s_delay_alu instid0(VALU_DEP_3) | instskip(NEXT) | instid1(VALU_DEP_3)
	v_xor_b32_e32 v37, v42, v37
	v_lshlrev_b32_e32 v2, 2, v2
	s_delay_alu instid0(VALU_DEP_3) | instskip(SKIP_4) | instid1(VALU_DEP_1)
	v_not_b32_e32 v43, v40
	ds_load_b32 v2, v2
	v_xor_b32_e32 v36, v43, v36
	s_waitcnt lgkmcnt(0)
	v_add_nc_u32_e32 v2, v2, v84
	v_lshlrev_b64 v[40:41], 3, v[2:3]
	s_delay_alu instid0(VALU_DEP_1) | instskip(NEXT) | instid1(VALU_DEP_1)
	v_add_co_u32 v40, s22, s46, v40
	v_add_co_ci_u32_e64 v41, s22, s47, v41, s22
	global_store_b64 v[40:41], v[36:37], off
	s_or_b32 exec_lo, exec_lo, s23
	v_cmp_lt_u32_e64 s22, v85, v177
	s_delay_alu instid0(VALU_DEP_1)
	s_and_saveexec_b32 s24, s22
	s_cbranch_execnz .LBB1258_778
.LBB1258_793:                           ;   in Loop: Header=BB1258_693 Depth=2
	s_or_b32 exec_lo, exec_lo, s24
	v_cmp_lt_u32_e64 s23, v86, v177
	s_delay_alu instid0(VALU_DEP_1)
	s_and_saveexec_b32 s25, s23
	s_cbranch_execz .LBB1258_779
.LBB1258_794:                           ;   in Loop: Header=BB1258_693 Depth=2
	ds_load_b64 v[36:37], v110 offset:14336
	s_waitcnt lgkmcnt(0)
	v_cmp_ne_u64_e64 s24, s[38:39], v[36:37]
	s_delay_alu instid0(VALU_DEP_1) | instskip(SKIP_2) | instid1(VALU_DEP_2)
	v_cndmask_b32_e64 v41, 0x80000000, v37, s24
	v_cndmask_b32_e64 v40, 0, v36, s24
	v_cmp_lt_i64_e64 s24, -1, v[36:37]
	v_lshrrev_b64 v[40:41], s40, v[40:41]
	s_delay_alu instid0(VALU_DEP_2) | instskip(NEXT) | instid1(VALU_DEP_2)
	v_cndmask_b32_e64 v42, 0x80000000, -1, s24
	v_and_b32_e32 v2, s42, v40
	v_ashrrev_i32_e32 v40, 31, v37
	s_delay_alu instid0(VALU_DEP_3) | instskip(NEXT) | instid1(VALU_DEP_3)
	v_xor_b32_e32 v37, v42, v37
	v_lshlrev_b32_e32 v2, 2, v2
	s_delay_alu instid0(VALU_DEP_3) | instskip(SKIP_4) | instid1(VALU_DEP_1)
	v_not_b32_e32 v43, v40
	ds_load_b32 v2, v2
	v_xor_b32_e32 v36, v43, v36
	s_waitcnt lgkmcnt(0)
	v_add_nc_u32_e32 v2, v2, v86
	v_lshlrev_b64 v[40:41], 3, v[2:3]
	s_delay_alu instid0(VALU_DEP_1) | instskip(NEXT) | instid1(VALU_DEP_1)
	v_add_co_u32 v40, s24, s46, v40
	v_add_co_ci_u32_e64 v41, s24, s47, v41, s24
	global_store_b64 v[40:41], v[36:37], off
	s_or_b32 exec_lo, exec_lo, s25
	v_cmp_lt_u32_e64 s24, v87, v177
	s_delay_alu instid0(VALU_DEP_1)
	s_and_saveexec_b32 s26, s24
	s_cbranch_execnz .LBB1258_780
.LBB1258_795:                           ;   in Loop: Header=BB1258_693 Depth=2
	s_or_b32 exec_lo, exec_lo, s26
	v_cmp_lt_u32_e64 s25, v88, v177
	s_delay_alu instid0(VALU_DEP_1)
	s_and_saveexec_b32 s27, s25
	s_cbranch_execz .LBB1258_781
.LBB1258_796:                           ;   in Loop: Header=BB1258_693 Depth=2
	ds_load_b64 v[36:37], v110 offset:18432
	s_waitcnt lgkmcnt(0)
	v_cmp_ne_u64_e64 s26, s[38:39], v[36:37]
	s_delay_alu instid0(VALU_DEP_1) | instskip(SKIP_2) | instid1(VALU_DEP_2)
	v_cndmask_b32_e64 v41, 0x80000000, v37, s26
	v_cndmask_b32_e64 v40, 0, v36, s26
	v_cmp_lt_i64_e64 s26, -1, v[36:37]
	v_lshrrev_b64 v[40:41], s40, v[40:41]
	s_delay_alu instid0(VALU_DEP_2) | instskip(NEXT) | instid1(VALU_DEP_2)
	v_cndmask_b32_e64 v42, 0x80000000, -1, s26
	v_and_b32_e32 v2, s42, v40
	v_ashrrev_i32_e32 v40, 31, v37
	s_delay_alu instid0(VALU_DEP_3) | instskip(NEXT) | instid1(VALU_DEP_3)
	v_xor_b32_e32 v37, v42, v37
	v_lshlrev_b32_e32 v2, 2, v2
	s_delay_alu instid0(VALU_DEP_3) | instskip(SKIP_4) | instid1(VALU_DEP_1)
	v_not_b32_e32 v43, v40
	ds_load_b32 v2, v2
	v_xor_b32_e32 v36, v43, v36
	s_waitcnt lgkmcnt(0)
	v_add_nc_u32_e32 v2, v2, v88
	v_lshlrev_b64 v[40:41], 3, v[2:3]
	s_delay_alu instid0(VALU_DEP_1) | instskip(NEXT) | instid1(VALU_DEP_1)
	v_add_co_u32 v40, s26, s46, v40
	v_add_co_ci_u32_e64 v41, s26, s47, v41, s26
	global_store_b64 v[40:41], v[36:37], off
	s_or_b32 exec_lo, exec_lo, s27
	v_cmp_lt_u32_e64 s26, v89, v177
	s_delay_alu instid0(VALU_DEP_1)
	s_and_saveexec_b32 s28, s26
	s_cbranch_execnz .LBB1258_782
.LBB1258_797:                           ;   in Loop: Header=BB1258_693 Depth=2
	s_or_b32 exec_lo, exec_lo, s28
	v_cmp_lt_u32_e64 s27, v90, v177
	s_delay_alu instid0(VALU_DEP_1)
	s_and_saveexec_b32 s29, s27
	s_cbranch_execz .LBB1258_783
.LBB1258_798:                           ;   in Loop: Header=BB1258_693 Depth=2
	ds_load_b64 v[36:37], v110 offset:22528
	s_waitcnt lgkmcnt(0)
	v_cmp_ne_u64_e64 s28, s[38:39], v[36:37]
	s_delay_alu instid0(VALU_DEP_1) | instskip(SKIP_2) | instid1(VALU_DEP_2)
	v_cndmask_b32_e64 v41, 0x80000000, v37, s28
	v_cndmask_b32_e64 v40, 0, v36, s28
	v_cmp_lt_i64_e64 s28, -1, v[36:37]
	v_lshrrev_b64 v[40:41], s40, v[40:41]
	s_delay_alu instid0(VALU_DEP_2) | instskip(NEXT) | instid1(VALU_DEP_2)
	v_cndmask_b32_e64 v42, 0x80000000, -1, s28
	v_and_b32_e32 v2, s42, v40
	v_ashrrev_i32_e32 v40, 31, v37
	s_delay_alu instid0(VALU_DEP_3) | instskip(NEXT) | instid1(VALU_DEP_3)
	v_xor_b32_e32 v37, v42, v37
	v_lshlrev_b32_e32 v2, 2, v2
	s_delay_alu instid0(VALU_DEP_3) | instskip(SKIP_4) | instid1(VALU_DEP_1)
	v_not_b32_e32 v43, v40
	ds_load_b32 v2, v2
	v_xor_b32_e32 v36, v43, v36
	s_waitcnt lgkmcnt(0)
	v_add_nc_u32_e32 v2, v2, v90
	v_lshlrev_b64 v[40:41], 3, v[2:3]
	s_delay_alu instid0(VALU_DEP_1) | instskip(NEXT) | instid1(VALU_DEP_1)
	v_add_co_u32 v40, s28, s46, v40
	v_add_co_ci_u32_e64 v41, s28, s47, v41, s28
	global_store_b64 v[40:41], v[36:37], off
	s_or_b32 exec_lo, exec_lo, s29
	v_cmp_lt_u32_e64 s28, v91, v177
	s_delay_alu instid0(VALU_DEP_1)
	s_and_saveexec_b32 s30, s28
	s_cbranch_execnz .LBB1258_784
.LBB1258_799:                           ;   in Loop: Header=BB1258_693 Depth=2
	s_or_b32 exec_lo, exec_lo, s30
	v_cmp_lt_u32_e64 s29, v92, v177
	s_delay_alu instid0(VALU_DEP_1)
	s_and_saveexec_b32 s31, s29
	s_cbranch_execz .LBB1258_785
.LBB1258_800:                           ;   in Loop: Header=BB1258_693 Depth=2
	ds_load_b64 v[36:37], v110 offset:26624
	s_waitcnt lgkmcnt(0)
	v_cmp_ne_u64_e64 s30, s[38:39], v[36:37]
	s_delay_alu instid0(VALU_DEP_1) | instskip(SKIP_2) | instid1(VALU_DEP_2)
	v_cndmask_b32_e64 v41, 0x80000000, v37, s30
	v_cndmask_b32_e64 v40, 0, v36, s30
	v_cmp_lt_i64_e64 s30, -1, v[36:37]
	v_lshrrev_b64 v[40:41], s40, v[40:41]
	s_delay_alu instid0(VALU_DEP_2) | instskip(NEXT) | instid1(VALU_DEP_2)
	v_cndmask_b32_e64 v42, 0x80000000, -1, s30
	v_and_b32_e32 v2, s42, v40
	v_ashrrev_i32_e32 v40, 31, v37
	s_delay_alu instid0(VALU_DEP_3) | instskip(NEXT) | instid1(VALU_DEP_3)
	v_xor_b32_e32 v37, v42, v37
	v_lshlrev_b32_e32 v2, 2, v2
	s_delay_alu instid0(VALU_DEP_3) | instskip(SKIP_4) | instid1(VALU_DEP_1)
	v_not_b32_e32 v43, v40
	ds_load_b32 v2, v2
	v_xor_b32_e32 v36, v43, v36
	s_waitcnt lgkmcnt(0)
	v_add_nc_u32_e32 v2, v2, v92
	v_lshlrev_b64 v[40:41], 3, v[2:3]
	s_delay_alu instid0(VALU_DEP_1) | instskip(NEXT) | instid1(VALU_DEP_1)
	v_add_co_u32 v40, s30, s46, v40
	v_add_co_ci_u32_e64 v41, s30, s47, v41, s30
	global_store_b64 v[40:41], v[36:37], off
	s_or_b32 exec_lo, exec_lo, s31
	v_cmp_lt_u32_e64 s30, v93, v177
	s_delay_alu instid0(VALU_DEP_1)
	s_and_saveexec_b32 s33, s30
	s_cbranch_execnz .LBB1258_786
.LBB1258_801:                           ;   in Loop: Header=BB1258_693 Depth=2
	s_or_b32 exec_lo, exec_lo, s33
	v_cmp_lt_u32_e64 s31, v95, v177
	s_delay_alu instid0(VALU_DEP_1)
	s_and_saveexec_b32 s51, s31
	s_cbranch_execz .LBB1258_803
.LBB1258_802:                           ;   in Loop: Header=BB1258_693 Depth=2
	ds_load_b64 v[36:37], v110 offset:30720
	s_waitcnt lgkmcnt(0)
	v_cmp_ne_u64_e64 s33, s[38:39], v[36:37]
	s_delay_alu instid0(VALU_DEP_1) | instskip(SKIP_2) | instid1(VALU_DEP_2)
	v_cndmask_b32_e64 v41, 0x80000000, v37, s33
	v_cndmask_b32_e64 v40, 0, v36, s33
	v_cmp_lt_i64_e64 s33, -1, v[36:37]
	v_lshrrev_b64 v[40:41], s40, v[40:41]
	s_delay_alu instid0(VALU_DEP_2) | instskip(NEXT) | instid1(VALU_DEP_2)
	v_cndmask_b32_e64 v42, 0x80000000, -1, s33
	v_and_b32_e32 v2, s42, v40
	v_ashrrev_i32_e32 v40, 31, v37
	s_delay_alu instid0(VALU_DEP_3) | instskip(NEXT) | instid1(VALU_DEP_3)
	v_xor_b32_e32 v37, v42, v37
	v_lshlrev_b32_e32 v2, 2, v2
	s_delay_alu instid0(VALU_DEP_3) | instskip(SKIP_4) | instid1(VALU_DEP_1)
	v_not_b32_e32 v43, v40
	ds_load_b32 v2, v2
	v_xor_b32_e32 v36, v43, v36
	s_waitcnt lgkmcnt(0)
	v_add_nc_u32_e32 v2, v2, v95
	v_lshlrev_b64 v[40:41], 3, v[2:3]
	s_delay_alu instid0(VALU_DEP_1) | instskip(NEXT) | instid1(VALU_DEP_1)
	v_add_co_u32 v40, s33, s46, v40
	v_add_co_ci_u32_e64 v41, s33, s47, v41, s33
	global_store_b64 v[40:41], v[36:37], off
.LBB1258_803:                           ;   in Loop: Header=BB1258_693 Depth=2
	s_or_b32 exec_lo, exec_lo, s51
	s_lshl_b64 s[64:65], s[34:35], 3
	s_delay_alu instid0(SALU_CYCLE_1) | instskip(NEXT) | instid1(VALU_DEP_1)
	v_add_co_u32 v36, s33, v139, s64
	v_add_co_ci_u32_e64 v37, s33, s65, v140, s33
	v_cmp_lt_u32_e64 s33, v138, v177
	s_delay_alu instid0(VALU_DEP_1) | instskip(NEXT) | instid1(SALU_CYCLE_1)
	s_and_saveexec_b32 s34, s33
	s_xor_b32 s33, exec_lo, s34
	s_cbranch_execz .LBB1258_835
; %bb.804:                              ;   in Loop: Header=BB1258_693 Depth=2
	global_load_b64 v[34:35], v[36:37], off
	s_or_b32 exec_lo, exec_lo, s33
	s_delay_alu instid0(SALU_CYCLE_1)
	s_mov_b32 s34, exec_lo
	v_cmpx_lt_u32_e64 v141, v177
	s_cbranch_execnz .LBB1258_836
.LBB1258_805:                           ;   in Loop: Header=BB1258_693 Depth=2
	s_or_b32 exec_lo, exec_lo, s34
	s_delay_alu instid0(SALU_CYCLE_1)
	s_mov_b32 s34, exec_lo
	v_cmpx_lt_u32_e64 v142, v177
	s_cbranch_execz .LBB1258_837
.LBB1258_806:                           ;   in Loop: Header=BB1258_693 Depth=2
	global_load_b64 v[30:31], v[36:37], off offset:512
	s_or_b32 exec_lo, exec_lo, s34
	s_delay_alu instid0(SALU_CYCLE_1)
	s_mov_b32 s34, exec_lo
	v_cmpx_lt_u32_e64 v143, v177
	s_cbranch_execnz .LBB1258_838
.LBB1258_807:                           ;   in Loop: Header=BB1258_693 Depth=2
	s_or_b32 exec_lo, exec_lo, s34
	s_delay_alu instid0(SALU_CYCLE_1)
	s_mov_b32 s34, exec_lo
	v_cmpx_lt_u32_e64 v144, v177
	s_cbranch_execz .LBB1258_839
.LBB1258_808:                           ;   in Loop: Header=BB1258_693 Depth=2
	global_load_b64 v[26:27], v[36:37], off offset:1024
	s_or_b32 exec_lo, exec_lo, s34
	s_delay_alu instid0(SALU_CYCLE_1)
	s_mov_b32 s34, exec_lo
	v_cmpx_lt_u32_e64 v145, v177
	s_cbranch_execnz .LBB1258_840
.LBB1258_809:                           ;   in Loop: Header=BB1258_693 Depth=2
	s_or_b32 exec_lo, exec_lo, s34
	s_delay_alu instid0(SALU_CYCLE_1)
	s_mov_b32 s34, exec_lo
	v_cmpx_lt_u32_e64 v146, v177
	s_cbranch_execz .LBB1258_841
.LBB1258_810:                           ;   in Loop: Header=BB1258_693 Depth=2
	global_load_b64 v[22:23], v[36:37], off offset:1536
	s_or_b32 exec_lo, exec_lo, s34
	s_delay_alu instid0(SALU_CYCLE_1)
	s_mov_b32 s34, exec_lo
	v_cmpx_lt_u32_e64 v147, v177
	s_cbranch_execnz .LBB1258_842
.LBB1258_811:                           ;   in Loop: Header=BB1258_693 Depth=2
	s_or_b32 exec_lo, exec_lo, s34
	s_delay_alu instid0(SALU_CYCLE_1)
	s_mov_b32 s34, exec_lo
	v_cmpx_lt_u32_e64 v148, v177
	s_cbranch_execz .LBB1258_843
.LBB1258_812:                           ;   in Loop: Header=BB1258_693 Depth=2
	global_load_b64 v[18:19], v[36:37], off offset:2048
	s_or_b32 exec_lo, exec_lo, s34
	s_delay_alu instid0(SALU_CYCLE_1)
	s_mov_b32 s34, exec_lo
	v_cmpx_lt_u32_e64 v149, v177
	s_cbranch_execnz .LBB1258_844
.LBB1258_813:                           ;   in Loop: Header=BB1258_693 Depth=2
	s_or_b32 exec_lo, exec_lo, s34
	s_delay_alu instid0(SALU_CYCLE_1)
	s_mov_b32 s34, exec_lo
	v_cmpx_lt_u32_e64 v150, v177
	s_cbranch_execz .LBB1258_845
.LBB1258_814:                           ;   in Loop: Header=BB1258_693 Depth=2
	global_load_b64 v[14:15], v[36:37], off offset:2560
	s_or_b32 exec_lo, exec_lo, s34
	s_delay_alu instid0(SALU_CYCLE_1)
	s_mov_b32 s34, exec_lo
	v_cmpx_lt_u32_e64 v151, v177
	s_cbranch_execnz .LBB1258_846
.LBB1258_815:                           ;   in Loop: Header=BB1258_693 Depth=2
	s_or_b32 exec_lo, exec_lo, s34
	s_delay_alu instid0(SALU_CYCLE_1)
	s_mov_b32 s34, exec_lo
	v_cmpx_lt_u32_e64 v152, v177
	s_cbranch_execz .LBB1258_847
.LBB1258_816:                           ;   in Loop: Header=BB1258_693 Depth=2
	global_load_b64 v[10:11], v[36:37], off offset:3072
	s_or_b32 exec_lo, exec_lo, s34
	s_delay_alu instid0(SALU_CYCLE_1)
	s_mov_b32 s34, exec_lo
	v_cmpx_lt_u32_e64 v153, v177
	s_cbranch_execnz .LBB1258_848
.LBB1258_817:                           ;   in Loop: Header=BB1258_693 Depth=2
	s_or_b32 exec_lo, exec_lo, s34
	s_delay_alu instid0(SALU_CYCLE_1)
	s_mov_b32 s34, exec_lo
	v_cmpx_lt_u32_e64 v154, v177
	s_cbranch_execz .LBB1258_849
.LBB1258_818:                           ;   in Loop: Header=BB1258_693 Depth=2
	global_load_b64 v[6:7], v[36:37], off offset:3584
	s_or_b32 exec_lo, exec_lo, s34
	s_delay_alu instid0(SALU_CYCLE_1)
	s_mov_b32 s34, exec_lo
	v_cmpx_lt_u32_e64 v155, v177
	s_cbranch_execnz .LBB1258_850
.LBB1258_819:                           ;   in Loop: Header=BB1258_693 Depth=2
	s_or_b32 exec_lo, exec_lo, s34
	s_and_saveexec_b32 s34, vcc_lo
	s_cbranch_execz .LBB1258_851
.LBB1258_820:                           ;   in Loop: Header=BB1258_693 Depth=2
	v_add_nc_u32_e32 v2, v104, v76
	ds_load_b64 v[36:37], v2 offset:1024
	s_waitcnt lgkmcnt(0)
	v_cmp_ne_u64_e64 s33, s[38:39], v[36:37]
	s_delay_alu instid0(VALU_DEP_1) | instskip(SKIP_1) | instid1(VALU_DEP_1)
	v_cndmask_b32_e64 v37, 0x80000000, v37, s33
	v_cndmask_b32_e64 v36, 0, v36, s33
	v_lshrrev_b64 v[36:37], s40, v[36:37]
	s_delay_alu instid0(VALU_DEP_1)
	v_and_b32_e32 v176, s42, v36
	s_or_b32 exec_lo, exec_lo, s34
	s_and_saveexec_b32 s34, s17
	s_cbranch_execnz .LBB1258_852
.LBB1258_821:                           ;   in Loop: Header=BB1258_693 Depth=2
	s_or_b32 exec_lo, exec_lo, s34
	s_and_saveexec_b32 s34, s18
	s_cbranch_execz .LBB1258_853
.LBB1258_822:                           ;   in Loop: Header=BB1258_693 Depth=2
	ds_load_b64 v[36:37], v110 offset:4096
	s_waitcnt lgkmcnt(0)
	v_cmp_ne_u64_e64 s33, s[38:39], v[36:37]
	s_delay_alu instid0(VALU_DEP_1) | instskip(SKIP_1) | instid1(VALU_DEP_1)
	v_cndmask_b32_e64 v37, 0x80000000, v37, s33
	v_cndmask_b32_e64 v36, 0, v36, s33
	v_lshrrev_b64 v[36:37], s40, v[36:37]
	s_delay_alu instid0(VALU_DEP_1)
	v_and_b32_e32 v174, s42, v36
	s_or_b32 exec_lo, exec_lo, s34
	s_and_saveexec_b32 s34, s19
	s_cbranch_execnz .LBB1258_854
.LBB1258_823:                           ;   in Loop: Header=BB1258_693 Depth=2
	s_or_b32 exec_lo, exec_lo, s34
	s_and_saveexec_b32 s34, s20
	s_cbranch_execz .LBB1258_855
.LBB1258_824:                           ;   in Loop: Header=BB1258_693 Depth=2
	ds_load_b64 v[36:37], v110 offset:8192
	s_waitcnt lgkmcnt(0)
	v_cmp_ne_u64_e64 s33, s[38:39], v[36:37]
	s_delay_alu instid0(VALU_DEP_1) | instskip(SKIP_1) | instid1(VALU_DEP_1)
	v_cndmask_b32_e64 v37, 0x80000000, v37, s33
	v_cndmask_b32_e64 v36, 0, v36, s33
	v_lshrrev_b64 v[36:37], s40, v[36:37]
	s_delay_alu instid0(VALU_DEP_1)
	v_and_b32_e32 v172, s42, v36
	s_or_b32 exec_lo, exec_lo, s34
	s_and_saveexec_b32 s34, s21
	s_cbranch_execnz .LBB1258_856
.LBB1258_825:                           ;   in Loop: Header=BB1258_693 Depth=2
	s_or_b32 exec_lo, exec_lo, s34
	s_and_saveexec_b32 s34, s22
	s_cbranch_execz .LBB1258_857
.LBB1258_826:                           ;   in Loop: Header=BB1258_693 Depth=2
	ds_load_b64 v[36:37], v110 offset:12288
	s_waitcnt lgkmcnt(0)
	v_cmp_ne_u64_e64 s33, s[38:39], v[36:37]
	s_delay_alu instid0(VALU_DEP_1) | instskip(SKIP_1) | instid1(VALU_DEP_1)
	v_cndmask_b32_e64 v37, 0x80000000, v37, s33
	v_cndmask_b32_e64 v36, 0, v36, s33
	v_lshrrev_b64 v[36:37], s40, v[36:37]
	s_delay_alu instid0(VALU_DEP_1)
	v_and_b32_e32 v170, s42, v36
	s_or_b32 exec_lo, exec_lo, s34
	s_and_saveexec_b32 s34, s23
	s_cbranch_execnz .LBB1258_858
.LBB1258_827:                           ;   in Loop: Header=BB1258_693 Depth=2
	s_or_b32 exec_lo, exec_lo, s34
	s_and_saveexec_b32 s34, s24
	s_cbranch_execz .LBB1258_859
.LBB1258_828:                           ;   in Loop: Header=BB1258_693 Depth=2
	ds_load_b64 v[36:37], v110 offset:16384
	s_waitcnt lgkmcnt(0)
	v_cmp_ne_u64_e64 s33, s[38:39], v[36:37]
	s_delay_alu instid0(VALU_DEP_1) | instskip(SKIP_1) | instid1(VALU_DEP_1)
	v_cndmask_b32_e64 v37, 0x80000000, v37, s33
	v_cndmask_b32_e64 v36, 0, v36, s33
	v_lshrrev_b64 v[36:37], s40, v[36:37]
	s_delay_alu instid0(VALU_DEP_1)
	v_and_b32_e32 v168, s42, v36
	s_or_b32 exec_lo, exec_lo, s34
	s_and_saveexec_b32 s34, s25
	s_cbranch_execnz .LBB1258_860
.LBB1258_829:                           ;   in Loop: Header=BB1258_693 Depth=2
	s_or_b32 exec_lo, exec_lo, s34
	s_and_saveexec_b32 s34, s26
	s_cbranch_execz .LBB1258_861
.LBB1258_830:                           ;   in Loop: Header=BB1258_693 Depth=2
	ds_load_b64 v[36:37], v110 offset:20480
	s_waitcnt lgkmcnt(0)
	v_cmp_ne_u64_e64 s33, s[38:39], v[36:37]
	s_delay_alu instid0(VALU_DEP_1) | instskip(SKIP_1) | instid1(VALU_DEP_1)
	v_cndmask_b32_e64 v37, 0x80000000, v37, s33
	v_cndmask_b32_e64 v36, 0, v36, s33
	v_lshrrev_b64 v[36:37], s40, v[36:37]
	s_delay_alu instid0(VALU_DEP_1)
	v_and_b32_e32 v166, s42, v36
	s_or_b32 exec_lo, exec_lo, s34
	s_and_saveexec_b32 s34, s27
	s_cbranch_execnz .LBB1258_862
.LBB1258_831:                           ;   in Loop: Header=BB1258_693 Depth=2
	s_or_b32 exec_lo, exec_lo, s34
	s_and_saveexec_b32 s34, s28
	s_cbranch_execz .LBB1258_863
.LBB1258_832:                           ;   in Loop: Header=BB1258_693 Depth=2
	ds_load_b64 v[36:37], v110 offset:24576
	s_waitcnt lgkmcnt(0)
	v_cmp_ne_u64_e64 s33, s[38:39], v[36:37]
	s_delay_alu instid0(VALU_DEP_1) | instskip(SKIP_1) | instid1(VALU_DEP_1)
	v_cndmask_b32_e64 v37, 0x80000000, v37, s33
	v_cndmask_b32_e64 v36, 0, v36, s33
	v_lshrrev_b64 v[36:37], s40, v[36:37]
	s_delay_alu instid0(VALU_DEP_1)
	v_and_b32_e32 v164, s42, v36
	s_or_b32 exec_lo, exec_lo, s34
	s_and_saveexec_b32 s34, s29
	s_cbranch_execnz .LBB1258_864
.LBB1258_833:                           ;   in Loop: Header=BB1258_693 Depth=2
	s_or_b32 exec_lo, exec_lo, s34
	s_and_saveexec_b32 s34, s30
	s_cbranch_execz .LBB1258_865
.LBB1258_834:                           ;   in Loop: Header=BB1258_693 Depth=2
	ds_load_b64 v[36:37], v110 offset:28672
	s_waitcnt lgkmcnt(0)
	v_cmp_ne_u64_e64 s33, s[38:39], v[36:37]
	s_delay_alu instid0(VALU_DEP_1) | instskip(SKIP_1) | instid1(VALU_DEP_1)
	v_cndmask_b32_e64 v37, 0x80000000, v37, s33
	v_cndmask_b32_e64 v36, 0, v36, s33
	v_lshrrev_b64 v[36:37], s40, v[36:37]
	s_delay_alu instid0(VALU_DEP_1)
	v_and_b32_e32 v162, s42, v36
	s_or_b32 exec_lo, exec_lo, s34
	s_and_saveexec_b32 s34, s31
	s_cbranch_execnz .LBB1258_866
	s_branch .LBB1258_867
.LBB1258_835:                           ;   in Loop: Header=BB1258_693 Depth=2
	s_or_b32 exec_lo, exec_lo, s33
	s_delay_alu instid0(SALU_CYCLE_1)
	s_mov_b32 s34, exec_lo
	v_cmpx_lt_u32_e64 v141, v177
	s_cbranch_execz .LBB1258_805
.LBB1258_836:                           ;   in Loop: Header=BB1258_693 Depth=2
	global_load_b64 v[32:33], v[36:37], off offset:256
	s_or_b32 exec_lo, exec_lo, s34
	s_delay_alu instid0(SALU_CYCLE_1)
	s_mov_b32 s34, exec_lo
	v_cmpx_lt_u32_e64 v142, v177
	s_cbranch_execnz .LBB1258_806
.LBB1258_837:                           ;   in Loop: Header=BB1258_693 Depth=2
	s_or_b32 exec_lo, exec_lo, s34
	s_delay_alu instid0(SALU_CYCLE_1)
	s_mov_b32 s34, exec_lo
	v_cmpx_lt_u32_e64 v143, v177
	s_cbranch_execz .LBB1258_807
.LBB1258_838:                           ;   in Loop: Header=BB1258_693 Depth=2
	global_load_b64 v[28:29], v[36:37], off offset:768
	s_or_b32 exec_lo, exec_lo, s34
	s_delay_alu instid0(SALU_CYCLE_1)
	s_mov_b32 s34, exec_lo
	v_cmpx_lt_u32_e64 v144, v177
	s_cbranch_execnz .LBB1258_808
.LBB1258_839:                           ;   in Loop: Header=BB1258_693 Depth=2
	s_or_b32 exec_lo, exec_lo, s34
	s_delay_alu instid0(SALU_CYCLE_1)
	s_mov_b32 s34, exec_lo
	v_cmpx_lt_u32_e64 v145, v177
	s_cbranch_execz .LBB1258_809
.LBB1258_840:                           ;   in Loop: Header=BB1258_693 Depth=2
	global_load_b64 v[24:25], v[36:37], off offset:1280
	s_or_b32 exec_lo, exec_lo, s34
	s_delay_alu instid0(SALU_CYCLE_1)
	s_mov_b32 s34, exec_lo
	v_cmpx_lt_u32_e64 v146, v177
	s_cbranch_execnz .LBB1258_810
.LBB1258_841:                           ;   in Loop: Header=BB1258_693 Depth=2
	s_or_b32 exec_lo, exec_lo, s34
	s_delay_alu instid0(SALU_CYCLE_1)
	s_mov_b32 s34, exec_lo
	v_cmpx_lt_u32_e64 v147, v177
	s_cbranch_execz .LBB1258_811
.LBB1258_842:                           ;   in Loop: Header=BB1258_693 Depth=2
	global_load_b64 v[20:21], v[36:37], off offset:1792
	s_or_b32 exec_lo, exec_lo, s34
	s_delay_alu instid0(SALU_CYCLE_1)
	s_mov_b32 s34, exec_lo
	v_cmpx_lt_u32_e64 v148, v177
	s_cbranch_execnz .LBB1258_812
.LBB1258_843:                           ;   in Loop: Header=BB1258_693 Depth=2
	s_or_b32 exec_lo, exec_lo, s34
	s_delay_alu instid0(SALU_CYCLE_1)
	s_mov_b32 s34, exec_lo
	v_cmpx_lt_u32_e64 v149, v177
	s_cbranch_execz .LBB1258_813
.LBB1258_844:                           ;   in Loop: Header=BB1258_693 Depth=2
	global_load_b64 v[16:17], v[36:37], off offset:2304
	s_or_b32 exec_lo, exec_lo, s34
	s_delay_alu instid0(SALU_CYCLE_1)
	s_mov_b32 s34, exec_lo
	v_cmpx_lt_u32_e64 v150, v177
	s_cbranch_execnz .LBB1258_814
.LBB1258_845:                           ;   in Loop: Header=BB1258_693 Depth=2
	s_or_b32 exec_lo, exec_lo, s34
	s_delay_alu instid0(SALU_CYCLE_1)
	s_mov_b32 s34, exec_lo
	v_cmpx_lt_u32_e64 v151, v177
	s_cbranch_execz .LBB1258_815
.LBB1258_846:                           ;   in Loop: Header=BB1258_693 Depth=2
	global_load_b64 v[12:13], v[36:37], off offset:2816
	s_or_b32 exec_lo, exec_lo, s34
	s_delay_alu instid0(SALU_CYCLE_1)
	s_mov_b32 s34, exec_lo
	v_cmpx_lt_u32_e64 v152, v177
	s_cbranch_execnz .LBB1258_816
.LBB1258_847:                           ;   in Loop: Header=BB1258_693 Depth=2
	s_or_b32 exec_lo, exec_lo, s34
	s_delay_alu instid0(SALU_CYCLE_1)
	s_mov_b32 s34, exec_lo
	v_cmpx_lt_u32_e64 v153, v177
	s_cbranch_execz .LBB1258_817
.LBB1258_848:                           ;   in Loop: Header=BB1258_693 Depth=2
	global_load_b64 v[8:9], v[36:37], off offset:3328
	s_or_b32 exec_lo, exec_lo, s34
	s_delay_alu instid0(SALU_CYCLE_1)
	s_mov_b32 s34, exec_lo
	v_cmpx_lt_u32_e64 v154, v177
	s_cbranch_execnz .LBB1258_818
.LBB1258_849:                           ;   in Loop: Header=BB1258_693 Depth=2
	s_or_b32 exec_lo, exec_lo, s34
	s_delay_alu instid0(SALU_CYCLE_1)
	s_mov_b32 s34, exec_lo
	v_cmpx_lt_u32_e64 v155, v177
	s_cbranch_execz .LBB1258_819
.LBB1258_850:                           ;   in Loop: Header=BB1258_693 Depth=2
	global_load_b64 v[4:5], v[36:37], off offset:3840
	s_or_b32 exec_lo, exec_lo, s34
	s_and_saveexec_b32 s34, vcc_lo
	s_cbranch_execnz .LBB1258_820
.LBB1258_851:                           ;   in Loop: Header=BB1258_693 Depth=2
	s_or_b32 exec_lo, exec_lo, s34
	s_and_saveexec_b32 s34, s17
	s_cbranch_execz .LBB1258_821
.LBB1258_852:                           ;   in Loop: Header=BB1258_693 Depth=2
	ds_load_b64 v[36:37], v110 offset:2048
	s_waitcnt lgkmcnt(0)
	v_cmp_ne_u64_e64 s33, s[38:39], v[36:37]
	s_delay_alu instid0(VALU_DEP_1) | instskip(SKIP_1) | instid1(VALU_DEP_1)
	v_cndmask_b32_e64 v37, 0x80000000, v37, s33
	v_cndmask_b32_e64 v36, 0, v36, s33
	v_lshrrev_b64 v[36:37], s40, v[36:37]
	s_delay_alu instid0(VALU_DEP_1)
	v_and_b32_e32 v175, s42, v36
	s_or_b32 exec_lo, exec_lo, s34
	s_and_saveexec_b32 s34, s18
	s_cbranch_execnz .LBB1258_822
.LBB1258_853:                           ;   in Loop: Header=BB1258_693 Depth=2
	s_or_b32 exec_lo, exec_lo, s34
	s_and_saveexec_b32 s34, s19
	s_cbranch_execz .LBB1258_823
.LBB1258_854:                           ;   in Loop: Header=BB1258_693 Depth=2
	ds_load_b64 v[36:37], v110 offset:6144
	s_waitcnt lgkmcnt(0)
	v_cmp_ne_u64_e64 s33, s[38:39], v[36:37]
	s_delay_alu instid0(VALU_DEP_1) | instskip(SKIP_1) | instid1(VALU_DEP_1)
	v_cndmask_b32_e64 v37, 0x80000000, v37, s33
	v_cndmask_b32_e64 v36, 0, v36, s33
	v_lshrrev_b64 v[36:37], s40, v[36:37]
	s_delay_alu instid0(VALU_DEP_1)
	v_and_b32_e32 v173, s42, v36
	s_or_b32 exec_lo, exec_lo, s34
	s_and_saveexec_b32 s34, s20
	s_cbranch_execnz .LBB1258_824
.LBB1258_855:                           ;   in Loop: Header=BB1258_693 Depth=2
	s_or_b32 exec_lo, exec_lo, s34
	s_and_saveexec_b32 s34, s21
	s_cbranch_execz .LBB1258_825
.LBB1258_856:                           ;   in Loop: Header=BB1258_693 Depth=2
	ds_load_b64 v[36:37], v110 offset:10240
	s_waitcnt lgkmcnt(0)
	v_cmp_ne_u64_e64 s33, s[38:39], v[36:37]
	s_delay_alu instid0(VALU_DEP_1) | instskip(SKIP_1) | instid1(VALU_DEP_1)
	v_cndmask_b32_e64 v37, 0x80000000, v37, s33
	v_cndmask_b32_e64 v36, 0, v36, s33
	v_lshrrev_b64 v[36:37], s40, v[36:37]
	s_delay_alu instid0(VALU_DEP_1)
	v_and_b32_e32 v171, s42, v36
	s_or_b32 exec_lo, exec_lo, s34
	s_and_saveexec_b32 s34, s22
	s_cbranch_execnz .LBB1258_826
.LBB1258_857:                           ;   in Loop: Header=BB1258_693 Depth=2
	s_or_b32 exec_lo, exec_lo, s34
	s_and_saveexec_b32 s34, s23
	s_cbranch_execz .LBB1258_827
.LBB1258_858:                           ;   in Loop: Header=BB1258_693 Depth=2
	ds_load_b64 v[36:37], v110 offset:14336
	s_waitcnt lgkmcnt(0)
	v_cmp_ne_u64_e64 s33, s[38:39], v[36:37]
	s_delay_alu instid0(VALU_DEP_1) | instskip(SKIP_1) | instid1(VALU_DEP_1)
	v_cndmask_b32_e64 v37, 0x80000000, v37, s33
	v_cndmask_b32_e64 v36, 0, v36, s33
	v_lshrrev_b64 v[36:37], s40, v[36:37]
	s_delay_alu instid0(VALU_DEP_1)
	v_and_b32_e32 v169, s42, v36
	s_or_b32 exec_lo, exec_lo, s34
	s_and_saveexec_b32 s34, s24
	s_cbranch_execnz .LBB1258_828
.LBB1258_859:                           ;   in Loop: Header=BB1258_693 Depth=2
	s_or_b32 exec_lo, exec_lo, s34
	s_and_saveexec_b32 s34, s25
	s_cbranch_execz .LBB1258_829
.LBB1258_860:                           ;   in Loop: Header=BB1258_693 Depth=2
	ds_load_b64 v[36:37], v110 offset:18432
	s_waitcnt lgkmcnt(0)
	v_cmp_ne_u64_e64 s33, s[38:39], v[36:37]
	s_delay_alu instid0(VALU_DEP_1) | instskip(SKIP_1) | instid1(VALU_DEP_1)
	v_cndmask_b32_e64 v37, 0x80000000, v37, s33
	v_cndmask_b32_e64 v36, 0, v36, s33
	v_lshrrev_b64 v[36:37], s40, v[36:37]
	s_delay_alu instid0(VALU_DEP_1)
	v_and_b32_e32 v167, s42, v36
	s_or_b32 exec_lo, exec_lo, s34
	s_and_saveexec_b32 s34, s26
	s_cbranch_execnz .LBB1258_830
.LBB1258_861:                           ;   in Loop: Header=BB1258_693 Depth=2
	s_or_b32 exec_lo, exec_lo, s34
	s_and_saveexec_b32 s34, s27
	s_cbranch_execz .LBB1258_831
.LBB1258_862:                           ;   in Loop: Header=BB1258_693 Depth=2
	ds_load_b64 v[36:37], v110 offset:22528
	s_waitcnt lgkmcnt(0)
	v_cmp_ne_u64_e64 s33, s[38:39], v[36:37]
	s_delay_alu instid0(VALU_DEP_1) | instskip(SKIP_1) | instid1(VALU_DEP_1)
	v_cndmask_b32_e64 v37, 0x80000000, v37, s33
	v_cndmask_b32_e64 v36, 0, v36, s33
	v_lshrrev_b64 v[36:37], s40, v[36:37]
	s_delay_alu instid0(VALU_DEP_1)
	v_and_b32_e32 v165, s42, v36
	s_or_b32 exec_lo, exec_lo, s34
	s_and_saveexec_b32 s34, s28
	s_cbranch_execnz .LBB1258_832
.LBB1258_863:                           ;   in Loop: Header=BB1258_693 Depth=2
	s_or_b32 exec_lo, exec_lo, s34
	s_and_saveexec_b32 s34, s29
	s_cbranch_execz .LBB1258_833
.LBB1258_864:                           ;   in Loop: Header=BB1258_693 Depth=2
	ds_load_b64 v[36:37], v110 offset:26624
	s_waitcnt lgkmcnt(0)
	v_cmp_ne_u64_e64 s33, s[38:39], v[36:37]
	s_delay_alu instid0(VALU_DEP_1) | instskip(SKIP_1) | instid1(VALU_DEP_1)
	v_cndmask_b32_e64 v37, 0x80000000, v37, s33
	v_cndmask_b32_e64 v36, 0, v36, s33
	v_lshrrev_b64 v[36:37], s40, v[36:37]
	s_delay_alu instid0(VALU_DEP_1)
	v_and_b32_e32 v163, s42, v36
	s_or_b32 exec_lo, exec_lo, s34
	s_and_saveexec_b32 s34, s30
	s_cbranch_execnz .LBB1258_834
.LBB1258_865:                           ;   in Loop: Header=BB1258_693 Depth=2
	s_or_b32 exec_lo, exec_lo, s34
	s_and_saveexec_b32 s34, s31
	s_cbranch_execz .LBB1258_867
.LBB1258_866:                           ;   in Loop: Header=BB1258_693 Depth=2
	ds_load_b64 v[36:37], v110 offset:30720
	s_waitcnt lgkmcnt(0)
	v_cmp_ne_u64_e64 s33, s[38:39], v[36:37]
	s_delay_alu instid0(VALU_DEP_1) | instskip(SKIP_1) | instid1(VALU_DEP_1)
	v_cndmask_b32_e64 v37, 0x80000000, v37, s33
	v_cndmask_b32_e64 v36, 0, v36, s33
	v_lshrrev_b64 v[36:37], s40, v[36:37]
	s_delay_alu instid0(VALU_DEP_1)
	v_and_b32_e32 v161, s42, v36
.LBB1258_867:                           ;   in Loop: Header=BB1258_693 Depth=2
	s_or_b32 exec_lo, exec_lo, s34
	v_add_nc_u32_e32 v2, 0x400, v69
	v_add_nc_u32_e32 v36, 0x400, v70
	;; [unrolled: 1-line block ×16, first 2 shown]
	s_waitcnt vmcnt(0)
	s_waitcnt_vscnt null, 0x0
	s_barrier
	buffer_gl0_inv
	ds_store_b64 v2, v[34:35]
	ds_store_b64 v36, v[32:33]
	;; [unrolled: 1-line block ×16, first 2 shown]
	s_waitcnt lgkmcnt(0)
	s_barrier
	buffer_gl0_inv
	s_and_saveexec_b32 s33, vcc_lo
	s_cbranch_execz .LBB1258_883
; %bb.868:                              ;   in Loop: Header=BB1258_693 Depth=2
	v_lshlrev_b32_e32 v2, 2, v176
	v_add_nc_u32_e32 v36, v104, v76
	ds_load_b32 v2, v2
	ds_load_b64 v[36:37], v36 offset:1024
	s_waitcnt lgkmcnt(1)
	v_add_nc_u32_e32 v2, v2, v1
	s_delay_alu instid0(VALU_DEP_1) | instskip(NEXT) | instid1(VALU_DEP_1)
	v_lshlrev_b64 v[38:39], 3, v[2:3]
	v_add_co_u32 v38, vcc_lo, s52, v38
	s_delay_alu instid0(VALU_DEP_2)
	v_add_co_ci_u32_e32 v39, vcc_lo, s53, v39, vcc_lo
	s_waitcnt lgkmcnt(0)
	global_store_b64 v[38:39], v[36:37], off
	s_or_b32 exec_lo, exec_lo, s33
	s_and_saveexec_b32 s33, s17
	s_cbranch_execnz .LBB1258_884
.LBB1258_869:                           ;   in Loop: Header=BB1258_693 Depth=2
	s_or_b32 exec_lo, exec_lo, s33
	s_and_saveexec_b32 s17, s18
	s_cbranch_execz .LBB1258_885
.LBB1258_870:                           ;   in Loop: Header=BB1258_693 Depth=2
	v_lshlrev_b32_e32 v2, 2, v174
	ds_load_b32 v2, v2
	ds_load_b64 v[36:37], v110 offset:4096
	s_waitcnt lgkmcnt(1)
	v_add_nc_u32_e32 v2, v2, v78
	s_delay_alu instid0(VALU_DEP_1) | instskip(NEXT) | instid1(VALU_DEP_1)
	v_lshlrev_b64 v[38:39], 3, v[2:3]
	v_add_co_u32 v38, vcc_lo, s52, v38
	s_delay_alu instid0(VALU_DEP_2)
	v_add_co_ci_u32_e32 v39, vcc_lo, s53, v39, vcc_lo
	s_waitcnt lgkmcnt(0)
	global_store_b64 v[38:39], v[36:37], off
	s_or_b32 exec_lo, exec_lo, s17
	s_and_saveexec_b32 s17, s19
	s_cbranch_execnz .LBB1258_886
.LBB1258_871:                           ;   in Loop: Header=BB1258_693 Depth=2
	s_or_b32 exec_lo, exec_lo, s17
	s_and_saveexec_b32 s17, s20
	s_cbranch_execz .LBB1258_887
.LBB1258_872:                           ;   in Loop: Header=BB1258_693 Depth=2
	v_lshlrev_b32_e32 v2, 2, v172
	ds_load_b32 v2, v2
	ds_load_b64 v[36:37], v110 offset:8192
	s_waitcnt lgkmcnt(1)
	v_add_nc_u32_e32 v2, v2, v83
	s_delay_alu instid0(VALU_DEP_1) | instskip(NEXT) | instid1(VALU_DEP_1)
	v_lshlrev_b64 v[38:39], 3, v[2:3]
	v_add_co_u32 v38, vcc_lo, s52, v38
	s_delay_alu instid0(VALU_DEP_2)
	v_add_co_ci_u32_e32 v39, vcc_lo, s53, v39, vcc_lo
	s_waitcnt lgkmcnt(0)
	global_store_b64 v[38:39], v[36:37], off
	s_or_b32 exec_lo, exec_lo, s17
	s_and_saveexec_b32 s17, s21
	s_cbranch_execnz .LBB1258_888
.LBB1258_873:                           ;   in Loop: Header=BB1258_693 Depth=2
	s_or_b32 exec_lo, exec_lo, s17
	s_and_saveexec_b32 s17, s22
	s_cbranch_execz .LBB1258_889
.LBB1258_874:                           ;   in Loop: Header=BB1258_693 Depth=2
	v_lshlrev_b32_e32 v2, 2, v170
	ds_load_b32 v2, v2
	ds_load_b64 v[36:37], v110 offset:12288
	s_waitcnt lgkmcnt(1)
	v_add_nc_u32_e32 v2, v2, v85
	s_delay_alu instid0(VALU_DEP_1) | instskip(NEXT) | instid1(VALU_DEP_1)
	v_lshlrev_b64 v[38:39], 3, v[2:3]
	v_add_co_u32 v38, vcc_lo, s52, v38
	s_delay_alu instid0(VALU_DEP_2)
	v_add_co_ci_u32_e32 v39, vcc_lo, s53, v39, vcc_lo
	s_waitcnt lgkmcnt(0)
	global_store_b64 v[38:39], v[36:37], off
	s_or_b32 exec_lo, exec_lo, s17
	s_and_saveexec_b32 s17, s23
	s_cbranch_execnz .LBB1258_890
.LBB1258_875:                           ;   in Loop: Header=BB1258_693 Depth=2
	s_or_b32 exec_lo, exec_lo, s17
	s_and_saveexec_b32 s17, s24
	s_cbranch_execz .LBB1258_891
.LBB1258_876:                           ;   in Loop: Header=BB1258_693 Depth=2
	v_lshlrev_b32_e32 v2, 2, v168
	ds_load_b32 v2, v2
	ds_load_b64 v[36:37], v110 offset:16384
	s_waitcnt lgkmcnt(1)
	v_add_nc_u32_e32 v2, v2, v87
	s_delay_alu instid0(VALU_DEP_1) | instskip(NEXT) | instid1(VALU_DEP_1)
	v_lshlrev_b64 v[38:39], 3, v[2:3]
	v_add_co_u32 v38, vcc_lo, s52, v38
	s_delay_alu instid0(VALU_DEP_2)
	v_add_co_ci_u32_e32 v39, vcc_lo, s53, v39, vcc_lo
	s_waitcnt lgkmcnt(0)
	global_store_b64 v[38:39], v[36:37], off
	s_or_b32 exec_lo, exec_lo, s17
	s_and_saveexec_b32 s17, s25
	s_cbranch_execnz .LBB1258_892
.LBB1258_877:                           ;   in Loop: Header=BB1258_693 Depth=2
	s_or_b32 exec_lo, exec_lo, s17
	s_and_saveexec_b32 s17, s26
	s_cbranch_execz .LBB1258_893
.LBB1258_878:                           ;   in Loop: Header=BB1258_693 Depth=2
	v_lshlrev_b32_e32 v2, 2, v166
	ds_load_b32 v2, v2
	ds_load_b64 v[36:37], v110 offset:20480
	s_waitcnt lgkmcnt(1)
	v_add_nc_u32_e32 v2, v2, v89
	s_delay_alu instid0(VALU_DEP_1) | instskip(NEXT) | instid1(VALU_DEP_1)
	v_lshlrev_b64 v[38:39], 3, v[2:3]
	v_add_co_u32 v38, vcc_lo, s52, v38
	s_delay_alu instid0(VALU_DEP_2)
	v_add_co_ci_u32_e32 v39, vcc_lo, s53, v39, vcc_lo
	s_waitcnt lgkmcnt(0)
	global_store_b64 v[38:39], v[36:37], off
	s_or_b32 exec_lo, exec_lo, s17
	s_and_saveexec_b32 s17, s27
	s_cbranch_execnz .LBB1258_894
.LBB1258_879:                           ;   in Loop: Header=BB1258_693 Depth=2
	s_or_b32 exec_lo, exec_lo, s17
	s_and_saveexec_b32 s17, s28
	s_cbranch_execz .LBB1258_895
.LBB1258_880:                           ;   in Loop: Header=BB1258_693 Depth=2
	v_lshlrev_b32_e32 v2, 2, v164
	ds_load_b32 v2, v2
	ds_load_b64 v[36:37], v110 offset:24576
	s_waitcnt lgkmcnt(1)
	v_add_nc_u32_e32 v2, v2, v91
	s_delay_alu instid0(VALU_DEP_1) | instskip(NEXT) | instid1(VALU_DEP_1)
	v_lshlrev_b64 v[38:39], 3, v[2:3]
	v_add_co_u32 v38, vcc_lo, s52, v38
	s_delay_alu instid0(VALU_DEP_2)
	v_add_co_ci_u32_e32 v39, vcc_lo, s53, v39, vcc_lo
	s_waitcnt lgkmcnt(0)
	global_store_b64 v[38:39], v[36:37], off
	s_or_b32 exec_lo, exec_lo, s17
	s_and_saveexec_b32 s17, s29
	s_cbranch_execnz .LBB1258_896
.LBB1258_881:                           ;   in Loop: Header=BB1258_693 Depth=2
	s_or_b32 exec_lo, exec_lo, s17
	s_and_saveexec_b32 s17, s30
	s_cbranch_execz .LBB1258_897
.LBB1258_882:                           ;   in Loop: Header=BB1258_693 Depth=2
	v_lshlrev_b32_e32 v2, 2, v162
	ds_load_b32 v2, v2
	ds_load_b64 v[36:37], v110 offset:28672
	s_waitcnt lgkmcnt(1)
	v_add_nc_u32_e32 v2, v2, v93
	s_delay_alu instid0(VALU_DEP_1) | instskip(NEXT) | instid1(VALU_DEP_1)
	v_lshlrev_b64 v[38:39], 3, v[2:3]
	v_add_co_u32 v38, vcc_lo, s52, v38
	s_delay_alu instid0(VALU_DEP_2)
	v_add_co_ci_u32_e32 v39, vcc_lo, s53, v39, vcc_lo
	s_waitcnt lgkmcnt(0)
	global_store_b64 v[38:39], v[36:37], off
	s_or_b32 exec_lo, exec_lo, s17
	s_and_saveexec_b32 s17, s31
	s_cbranch_execnz .LBB1258_898
	s_branch .LBB1258_899
.LBB1258_883:                           ;   in Loop: Header=BB1258_693 Depth=2
	s_or_b32 exec_lo, exec_lo, s33
	s_and_saveexec_b32 s33, s17
	s_cbranch_execz .LBB1258_869
.LBB1258_884:                           ;   in Loop: Header=BB1258_693 Depth=2
	v_lshlrev_b32_e32 v2, 2, v175
	ds_load_b32 v2, v2
	ds_load_b64 v[36:37], v110 offset:2048
	s_waitcnt lgkmcnt(1)
	v_add_nc_u32_e32 v2, v2, v77
	s_delay_alu instid0(VALU_DEP_1) | instskip(NEXT) | instid1(VALU_DEP_1)
	v_lshlrev_b64 v[38:39], 3, v[2:3]
	v_add_co_u32 v38, vcc_lo, s52, v38
	s_delay_alu instid0(VALU_DEP_2)
	v_add_co_ci_u32_e32 v39, vcc_lo, s53, v39, vcc_lo
	s_waitcnt lgkmcnt(0)
	global_store_b64 v[38:39], v[36:37], off
	s_or_b32 exec_lo, exec_lo, s33
	s_and_saveexec_b32 s17, s18
	s_cbranch_execnz .LBB1258_870
.LBB1258_885:                           ;   in Loop: Header=BB1258_693 Depth=2
	s_or_b32 exec_lo, exec_lo, s17
	s_and_saveexec_b32 s17, s19
	s_cbranch_execz .LBB1258_871
.LBB1258_886:                           ;   in Loop: Header=BB1258_693 Depth=2
	v_lshlrev_b32_e32 v2, 2, v173
	ds_load_b32 v2, v2
	ds_load_b64 v[36:37], v110 offset:6144
	s_waitcnt lgkmcnt(1)
	v_add_nc_u32_e32 v2, v2, v79
	s_delay_alu instid0(VALU_DEP_1) | instskip(NEXT) | instid1(VALU_DEP_1)
	v_lshlrev_b64 v[38:39], 3, v[2:3]
	v_add_co_u32 v38, vcc_lo, s52, v38
	s_delay_alu instid0(VALU_DEP_2)
	v_add_co_ci_u32_e32 v39, vcc_lo, s53, v39, vcc_lo
	s_waitcnt lgkmcnt(0)
	global_store_b64 v[38:39], v[36:37], off
	s_or_b32 exec_lo, exec_lo, s17
	s_and_saveexec_b32 s17, s20
	s_cbranch_execnz .LBB1258_872
.LBB1258_887:                           ;   in Loop: Header=BB1258_693 Depth=2
	s_or_b32 exec_lo, exec_lo, s17
	s_and_saveexec_b32 s17, s21
	s_cbranch_execz .LBB1258_873
.LBB1258_888:                           ;   in Loop: Header=BB1258_693 Depth=2
	v_lshlrev_b32_e32 v2, 2, v171
	ds_load_b32 v2, v2
	ds_load_b64 v[36:37], v110 offset:10240
	s_waitcnt lgkmcnt(1)
	v_add_nc_u32_e32 v2, v2, v84
	s_delay_alu instid0(VALU_DEP_1) | instskip(NEXT) | instid1(VALU_DEP_1)
	v_lshlrev_b64 v[38:39], 3, v[2:3]
	v_add_co_u32 v38, vcc_lo, s52, v38
	s_delay_alu instid0(VALU_DEP_2)
	v_add_co_ci_u32_e32 v39, vcc_lo, s53, v39, vcc_lo
	s_waitcnt lgkmcnt(0)
	global_store_b64 v[38:39], v[36:37], off
	s_or_b32 exec_lo, exec_lo, s17
	s_and_saveexec_b32 s17, s22
	s_cbranch_execnz .LBB1258_874
.LBB1258_889:                           ;   in Loop: Header=BB1258_693 Depth=2
	s_or_b32 exec_lo, exec_lo, s17
	s_and_saveexec_b32 s17, s23
	s_cbranch_execz .LBB1258_875
.LBB1258_890:                           ;   in Loop: Header=BB1258_693 Depth=2
	v_lshlrev_b32_e32 v2, 2, v169
	ds_load_b32 v2, v2
	ds_load_b64 v[36:37], v110 offset:14336
	s_waitcnt lgkmcnt(1)
	v_add_nc_u32_e32 v2, v2, v86
	s_delay_alu instid0(VALU_DEP_1) | instskip(NEXT) | instid1(VALU_DEP_1)
	v_lshlrev_b64 v[38:39], 3, v[2:3]
	v_add_co_u32 v38, vcc_lo, s52, v38
	s_delay_alu instid0(VALU_DEP_2)
	v_add_co_ci_u32_e32 v39, vcc_lo, s53, v39, vcc_lo
	s_waitcnt lgkmcnt(0)
	global_store_b64 v[38:39], v[36:37], off
	s_or_b32 exec_lo, exec_lo, s17
	s_and_saveexec_b32 s17, s24
	s_cbranch_execnz .LBB1258_876
.LBB1258_891:                           ;   in Loop: Header=BB1258_693 Depth=2
	s_or_b32 exec_lo, exec_lo, s17
	s_and_saveexec_b32 s17, s25
	s_cbranch_execz .LBB1258_877
.LBB1258_892:                           ;   in Loop: Header=BB1258_693 Depth=2
	v_lshlrev_b32_e32 v2, 2, v167
	ds_load_b32 v2, v2
	ds_load_b64 v[36:37], v110 offset:18432
	s_waitcnt lgkmcnt(1)
	v_add_nc_u32_e32 v2, v2, v88
	s_delay_alu instid0(VALU_DEP_1) | instskip(NEXT) | instid1(VALU_DEP_1)
	v_lshlrev_b64 v[38:39], 3, v[2:3]
	v_add_co_u32 v38, vcc_lo, s52, v38
	s_delay_alu instid0(VALU_DEP_2)
	v_add_co_ci_u32_e32 v39, vcc_lo, s53, v39, vcc_lo
	s_waitcnt lgkmcnt(0)
	global_store_b64 v[38:39], v[36:37], off
	s_or_b32 exec_lo, exec_lo, s17
	s_and_saveexec_b32 s17, s26
	s_cbranch_execnz .LBB1258_878
.LBB1258_893:                           ;   in Loop: Header=BB1258_693 Depth=2
	s_or_b32 exec_lo, exec_lo, s17
	s_and_saveexec_b32 s17, s27
	s_cbranch_execz .LBB1258_879
.LBB1258_894:                           ;   in Loop: Header=BB1258_693 Depth=2
	v_lshlrev_b32_e32 v2, 2, v165
	ds_load_b32 v2, v2
	ds_load_b64 v[36:37], v110 offset:22528
	s_waitcnt lgkmcnt(1)
	v_add_nc_u32_e32 v2, v2, v90
	s_delay_alu instid0(VALU_DEP_1) | instskip(NEXT) | instid1(VALU_DEP_1)
	v_lshlrev_b64 v[38:39], 3, v[2:3]
	v_add_co_u32 v38, vcc_lo, s52, v38
	s_delay_alu instid0(VALU_DEP_2)
	v_add_co_ci_u32_e32 v39, vcc_lo, s53, v39, vcc_lo
	s_waitcnt lgkmcnt(0)
	global_store_b64 v[38:39], v[36:37], off
	s_or_b32 exec_lo, exec_lo, s17
	s_and_saveexec_b32 s17, s28
	s_cbranch_execnz .LBB1258_880
.LBB1258_895:                           ;   in Loop: Header=BB1258_693 Depth=2
	s_or_b32 exec_lo, exec_lo, s17
	s_and_saveexec_b32 s17, s29
	s_cbranch_execz .LBB1258_881
.LBB1258_896:                           ;   in Loop: Header=BB1258_693 Depth=2
	v_lshlrev_b32_e32 v2, 2, v163
	ds_load_b32 v2, v2
	ds_load_b64 v[36:37], v110 offset:26624
	s_waitcnt lgkmcnt(1)
	v_add_nc_u32_e32 v2, v2, v92
	s_delay_alu instid0(VALU_DEP_1) | instskip(NEXT) | instid1(VALU_DEP_1)
	v_lshlrev_b64 v[38:39], 3, v[2:3]
	v_add_co_u32 v38, vcc_lo, s52, v38
	s_delay_alu instid0(VALU_DEP_2)
	v_add_co_ci_u32_e32 v39, vcc_lo, s53, v39, vcc_lo
	s_waitcnt lgkmcnt(0)
	global_store_b64 v[38:39], v[36:37], off
	s_or_b32 exec_lo, exec_lo, s17
	s_and_saveexec_b32 s17, s30
	s_cbranch_execnz .LBB1258_882
.LBB1258_897:                           ;   in Loop: Header=BB1258_693 Depth=2
	s_or_b32 exec_lo, exec_lo, s17
	s_and_saveexec_b32 s17, s31
	s_cbranch_execz .LBB1258_899
.LBB1258_898:                           ;   in Loop: Header=BB1258_693 Depth=2
	v_lshlrev_b32_e32 v2, 2, v161
	ds_load_b32 v2, v2
	ds_load_b64 v[36:37], v110 offset:30720
	s_waitcnt lgkmcnt(1)
	v_add_nc_u32_e32 v2, v2, v95
	s_delay_alu instid0(VALU_DEP_1) | instskip(NEXT) | instid1(VALU_DEP_1)
	v_lshlrev_b64 v[38:39], 3, v[2:3]
	v_add_co_u32 v38, vcc_lo, s52, v38
	s_delay_alu instid0(VALU_DEP_2)
	v_add_co_ci_u32_e32 v39, vcc_lo, s53, v39, vcc_lo
	s_waitcnt lgkmcnt(0)
	global_store_b64 v[38:39], v[36:37], off
.LBB1258_899:                           ;   in Loop: Header=BB1258_693 Depth=2
	s_or_b32 exec_lo, exec_lo, s17
	s_waitcnt_vscnt null, 0x0
	s_barrier
	buffer_gl0_inv
	s_and_saveexec_b32 s17, s2
	s_cbranch_execz .LBB1258_692
; %bb.900:                              ;   in Loop: Header=BB1258_693 Depth=2
	ds_load_b32 v2, v76
	s_waitcnt lgkmcnt(0)
	v_add_nc_u32_e32 v2, v2, v68
	ds_store_b32 v76, v2
	s_branch .LBB1258_692
.LBB1258_901:                           ;   in Loop: Header=BB1258_17 Depth=1
	s_waitcnt lgkmcnt(0)
	s_mov_b32 s1, 0
	s_barrier
.LBB1258_902:                           ;   in Loop: Header=BB1258_17 Depth=1
	s_and_b32 vcc_lo, exec_lo, s1
	s_cbranch_vccz .LBB1258_16
; %bb.903:                              ;   in Loop: Header=BB1258_17 Depth=1
	s_mov_b32 s1, s62
	s_mov_b32 s34, s60
	s_barrier
	buffer_gl0_inv
                                        ; implicit-def: $vgpr34_vgpr35
                                        ; implicit-def: $vgpr4_vgpr5
                                        ; implicit-def: $vgpr6_vgpr7
                                        ; implicit-def: $vgpr8_vgpr9
                                        ; implicit-def: $vgpr10_vgpr11
                                        ; implicit-def: $vgpr12_vgpr13
                                        ; implicit-def: $vgpr14_vgpr15
                                        ; implicit-def: $vgpr16_vgpr17
                                        ; implicit-def: $vgpr18_vgpr19
                                        ; implicit-def: $vgpr20_vgpr21
                                        ; implicit-def: $vgpr22_vgpr23
                                        ; implicit-def: $vgpr24_vgpr25
                                        ; implicit-def: $vgpr26_vgpr27
                                        ; implicit-def: $vgpr28_vgpr29
                                        ; implicit-def: $vgpr30_vgpr31
                                        ; implicit-def: $vgpr32_vgpr33
	s_branch .LBB1258_905
.LBB1258_904:                           ;   in Loop: Header=BB1258_905 Depth=2
	s_or_b32 exec_lo, exec_lo, s8
	s_addk_i32 s1, 0xf000
	s_cmp_ge_u32 s7, s61
	s_mov_b32 s34, s7
	s_cbranch_scc1 .LBB1258_975
.LBB1258_905:                           ;   Parent Loop BB1258_17 Depth=1
                                        ; =>  This Inner Loop Header: Depth=2
	s_add_i32 s7, s34, 0x1000
	s_delay_alu instid0(SALU_CYCLE_1)
	s_cmp_gt_u32 s7, s61
	s_cbranch_scc1 .LBB1258_908
; %bb.906:                              ;   in Loop: Header=BB1258_905 Depth=2
	s_mov_b32 s9, 0
	s_mov_b32 s8, s34
	s_delay_alu instid0(SALU_CYCLE_1) | instskip(NEXT) | instid1(SALU_CYCLE_1)
	s_lshl_b64 s[10:11], s[8:9], 3
	v_add_co_u32 v36, vcc_lo, v117, s10
	v_add_co_ci_u32_e32 v37, vcc_lo, s11, v118, vcc_lo
	s_movk_i32 s11, 0x1000
	s_waitcnt vmcnt(12)
	s_delay_alu instid0(VALU_DEP_2) | instskip(NEXT) | instid1(VALU_DEP_2)
	v_add_co_u32 v42, vcc_lo, 0x1000, v36
	v_add_co_ci_u32_e32 v43, vcc_lo, 0, v37, vcc_lo
	s_waitcnt vmcnt(11)
	v_add_co_u32 v44, vcc_lo, 0x2000, v36
	v_add_co_ci_u32_e32 v45, vcc_lo, 0, v37, vcc_lo
	s_waitcnt vmcnt(1)
	v_add_co_u32 v50, vcc_lo, v36, 0x2000
	v_add_co_ci_u32_e32 v51, vcc_lo, 0, v37, vcc_lo
	v_add_co_u32 v52, vcc_lo, v36, 0x4000
	v_add_co_ci_u32_e32 v53, vcc_lo, 0, v37, vcc_lo
	;; [unrolled: 2-line block ×7, first 2 shown]
	s_waitcnt vmcnt(0)
	v_add_co_u32 v66, vcc_lo, 0x7000, v36
	v_add_co_ci_u32_e32 v67, vcc_lo, 0, v37, vcc_lo
	s_clause 0xe
	global_load_b64 v[38:39], v[36:37], off
	global_load_b64 v[40:41], v[36:37], off offset:2048
	global_load_b64 v[42:43], v[42:43], off offset:2048
	;; [unrolled: 1-line block ×3, first 2 shown]
	global_load_b64 v[46:47], v[50:51], off
	global_load_b64 v[48:49], v[52:53], off offset:-4096
	global_load_b64 v[52:53], v[52:53], off
	global_load_b64 v[56:57], v[60:61], off offset:-4096
	global_load_b64 v[60:61], v[60:61], off
	global_load_b64 v[54:55], v[54:55], off offset:2048
	global_load_b64 v[58:59], v[58:59], off offset:2048
	;; [unrolled: 1-line block ×4, first 2 shown]
	global_load_b64 v[50:51], v[50:51], off offset:-4096
	global_load_b64 v[66:67], v[66:67], off
	v_add_co_u32 v36, vcc_lo, 0x7800, v36
	v_add_co_ci_u32_e32 v37, vcc_lo, 0, v37, vcc_lo
	s_mov_b32 s10, -1
	s_cbranch_execz .LBB1258_909
; %bb.907:                              ;   in Loop: Header=BB1258_905 Depth=2
                                        ; implicit-def: $vgpr32_vgpr33
                                        ; implicit-def: $vgpr30_vgpr31
                                        ; implicit-def: $vgpr28_vgpr29
                                        ; implicit-def: $vgpr26_vgpr27
                                        ; implicit-def: $vgpr24_vgpr25
                                        ; implicit-def: $vgpr22_vgpr23
                                        ; implicit-def: $vgpr20_vgpr21
                                        ; implicit-def: $vgpr18_vgpr19
                                        ; implicit-def: $vgpr16_vgpr17
                                        ; implicit-def: $vgpr14_vgpr15
                                        ; implicit-def: $vgpr12_vgpr13
                                        ; implicit-def: $vgpr10_vgpr11
                                        ; implicit-def: $vgpr8_vgpr9
                                        ; implicit-def: $vgpr6_vgpr7
                                        ; implicit-def: $vgpr4_vgpr5
                                        ; implicit-def: $vgpr34_vgpr35
	v_mov_b32_e32 v2, s1
	s_and_saveexec_b32 s8, s10
	s_cbranch_execnz .LBB1258_928
	s_branch .LBB1258_929
.LBB1258_908:                           ;   in Loop: Header=BB1258_905 Depth=2
	s_mov_b32 s10, 0
                                        ; implicit-def: $sgpr11
                                        ; implicit-def: $vgpr38_vgpr39
                                        ; implicit-def: $vgpr40_vgpr41
                                        ; implicit-def: $vgpr50_vgpr51
                                        ; implicit-def: $vgpr42_vgpr43
                                        ; implicit-def: $vgpr46_vgpr47
                                        ; implicit-def: $vgpr44_vgpr45
                                        ; implicit-def: $vgpr48_vgpr49
                                        ; implicit-def: $vgpr54_vgpr55
                                        ; implicit-def: $vgpr52_vgpr53
                                        ; implicit-def: $vgpr58_vgpr59
                                        ; implicit-def: $vgpr56_vgpr57
                                        ; implicit-def: $vgpr62_vgpr63
                                        ; implicit-def: $vgpr60_vgpr61
                                        ; implicit-def: $vgpr64_vgpr65
                                        ; implicit-def: $vgpr66_vgpr67
                                        ; implicit-def: $vgpr36_vgpr37
.LBB1258_909:                           ;   in Loop: Header=BB1258_905 Depth=2
	s_lshl_b64 s[8:9], s[34:35], 3
	s_mov_b32 s11, exec_lo
	s_add_u32 s8, s44, s8
	s_addc_u32 s9, s45, s9
	v_cmpx_gt_u32_e64 s1, v1
	s_cbranch_execz .LBB1258_961
; %bb.910:                              ;   in Loop: Header=BB1258_905 Depth=2
	global_load_b64 v[32:33], v124, s[8:9]
	s_or_b32 exec_lo, exec_lo, s11
	s_delay_alu instid0(SALU_CYCLE_1)
	s_mov_b32 s11, exec_lo
	v_cmpx_gt_u32_e64 s1, v77
	s_cbranch_execnz .LBB1258_962
.LBB1258_911:                           ;   in Loop: Header=BB1258_905 Depth=2
	s_or_b32 exec_lo, exec_lo, s11
	s_delay_alu instid0(SALU_CYCLE_1)
	s_mov_b32 s11, exec_lo
	v_cmpx_gt_u32_e64 s1, v78
	s_cbranch_execz .LBB1258_963
.LBB1258_912:                           ;   in Loop: Header=BB1258_905 Depth=2
	global_load_b64 v[28:29], v125, s[8:9]
	s_or_b32 exec_lo, exec_lo, s11
	s_delay_alu instid0(SALU_CYCLE_1)
	s_mov_b32 s11, exec_lo
	v_cmpx_gt_u32_e64 s1, v79
	s_cbranch_execnz .LBB1258_964
.LBB1258_913:                           ;   in Loop: Header=BB1258_905 Depth=2
	s_or_b32 exec_lo, exec_lo, s11
	s_delay_alu instid0(SALU_CYCLE_1)
	s_mov_b32 s11, exec_lo
	v_cmpx_gt_u32_e64 s1, v83
	s_cbranch_execz .LBB1258_965
.LBB1258_914:                           ;   in Loop: Header=BB1258_905 Depth=2
	global_load_b64 v[24:25], v127, s[8:9]
	s_or_b32 exec_lo, exec_lo, s11
	s_delay_alu instid0(SALU_CYCLE_1)
	s_mov_b32 s11, exec_lo
	v_cmpx_gt_u32_e64 s1, v84
	s_cbranch_execnz .LBB1258_966
.LBB1258_915:                           ;   in Loop: Header=BB1258_905 Depth=2
	s_or_b32 exec_lo, exec_lo, s11
	s_delay_alu instid0(SALU_CYCLE_1)
	s_mov_b32 s11, exec_lo
	v_cmpx_gt_u32_e64 s1, v85
	s_cbranch_execz .LBB1258_967
.LBB1258_916:                           ;   in Loop: Header=BB1258_905 Depth=2
	global_load_b64 v[20:21], v129, s[8:9]
	s_or_b32 exec_lo, exec_lo, s11
	s_delay_alu instid0(SALU_CYCLE_1)
	s_mov_b32 s11, exec_lo
	v_cmpx_gt_u32_e64 s1, v86
	s_cbranch_execnz .LBB1258_968
.LBB1258_917:                           ;   in Loop: Header=BB1258_905 Depth=2
	s_or_b32 exec_lo, exec_lo, s11
	s_delay_alu instid0(SALU_CYCLE_1)
	s_mov_b32 s11, exec_lo
	v_cmpx_gt_u32_e64 s1, v87
	s_cbranch_execz .LBB1258_969
.LBB1258_918:                           ;   in Loop: Header=BB1258_905 Depth=2
	global_load_b64 v[16:17], v131, s[8:9]
	s_or_b32 exec_lo, exec_lo, s11
	s_delay_alu instid0(SALU_CYCLE_1)
	s_mov_b32 s11, exec_lo
	v_cmpx_gt_u32_e64 s1, v88
	s_cbranch_execnz .LBB1258_970
.LBB1258_919:                           ;   in Loop: Header=BB1258_905 Depth=2
	s_or_b32 exec_lo, exec_lo, s11
	s_delay_alu instid0(SALU_CYCLE_1)
	s_mov_b32 s11, exec_lo
	v_cmpx_gt_u32_e64 s1, v89
	s_cbranch_execz .LBB1258_971
.LBB1258_920:                           ;   in Loop: Header=BB1258_905 Depth=2
	global_load_b64 v[12:13], v133, s[8:9]
	s_or_b32 exec_lo, exec_lo, s11
	s_delay_alu instid0(SALU_CYCLE_1)
	s_mov_b32 s11, exec_lo
	v_cmpx_gt_u32_e64 s1, v90
	s_cbranch_execnz .LBB1258_972
.LBB1258_921:                           ;   in Loop: Header=BB1258_905 Depth=2
	s_or_b32 exec_lo, exec_lo, s11
	s_delay_alu instid0(SALU_CYCLE_1)
	s_mov_b32 s11, exec_lo
	v_cmpx_gt_u32_e64 s1, v91
	s_cbranch_execz .LBB1258_973
.LBB1258_922:                           ;   in Loop: Header=BB1258_905 Depth=2
	global_load_b64 v[8:9], v135, s[8:9]
	s_or_b32 exec_lo, exec_lo, s11
	s_delay_alu instid0(SALU_CYCLE_1)
	s_mov_b32 s11, exec_lo
	v_cmpx_gt_u32_e64 s1, v92
	s_cbranch_execnz .LBB1258_974
.LBB1258_923:                           ;   in Loop: Header=BB1258_905 Depth=2
	s_or_b32 exec_lo, exec_lo, s11
	s_delay_alu instid0(SALU_CYCLE_1)
	s_mov_b32 s11, exec_lo
	v_cmpx_gt_u32_e64 s1, v93
	s_cbranch_execz .LBB1258_925
.LBB1258_924:                           ;   in Loop: Header=BB1258_905 Depth=2
	v_lshlrev_b32_e32 v2, 3, v93
	global_load_b64 v[4:5], v2, s[8:9]
.LBB1258_925:                           ;   in Loop: Header=BB1258_905 Depth=2
	s_or_b32 exec_lo, exec_lo, s11
	s_delay_alu instid0(SALU_CYCLE_1)
	s_mov_b32 s12, exec_lo
                                        ; implicit-def: $sgpr11
                                        ; implicit-def: $vgpr36_vgpr37
	v_cmpx_gt_u32_e64 s1, v95
; %bb.926:                              ;   in Loop: Header=BB1258_905 Depth=2
	v_lshlrev_b32_e32 v2, 3, v95
	s_sub_i32 s11, s61, s34
	s_or_b32 s10, s10, exec_lo
                                        ; implicit-def: $vgpr34_vgpr35
	s_delay_alu instid0(VALU_DEP_1) | instskip(NEXT) | instid1(VALU_DEP_1)
	v_add_co_u32 v36, s8, s8, v2
	v_add_co_ci_u32_e64 v37, null, s9, 0, s8
; %bb.927:                              ;   in Loop: Header=BB1258_905 Depth=2
	s_or_b32 exec_lo, exec_lo, s12
	s_waitcnt vmcnt(0)
	v_dual_mov_b32 v39, v33 :: v_dual_mov_b32 v38, v32
	v_dual_mov_b32 v41, v31 :: v_dual_mov_b32 v40, v30
	;; [unrolled: 1-line block ×15, first 2 shown]
	v_mov_b32_e32 v2, s1
	s_and_saveexec_b32 s8, s10
	s_cbranch_execz .LBB1258_929
.LBB1258_928:                           ;   in Loop: Header=BB1258_905 Depth=2
	global_load_b64 v[34:35], v[36:37], off
	s_waitcnt vmcnt(1)
	v_mov_b32_e32 v4, v66
	v_mov_b32_e32 v6, v64
	;; [unrolled: 1-line block ×14, first 2 shown]
	v_dual_mov_b32 v32, v38 :: v_dual_mov_b32 v33, v39
	v_dual_mov_b32 v2, s11 :: v_dual_mov_b32 v5, v67
	v_mov_b32_e32 v7, v65
	v_mov_b32_e32 v9, v61
	;; [unrolled: 1-line block ×13, first 2 shown]
.LBB1258_929:                           ;   in Loop: Header=BB1258_905 Depth=2
	s_or_b32 exec_lo, exec_lo, s8
	v_lshlrev_b32_e32 v36, 2, v80
	s_mov_b32 s8, exec_lo
	v_cmpx_lt_u32_e64 v1, v2
	s_cbranch_execz .LBB1258_945
; %bb.930:                              ;   in Loop: Header=BB1258_905 Depth=2
	v_cmp_lt_i64_e32 vcc_lo, -1, v[32:33]
	s_waitcnt vmcnt(14)
	v_ashrrev_i32_e32 v39, 31, v33
	v_cndmask_b32_e64 v37, -1, 0x80000000, vcc_lo
	s_delay_alu instid0(VALU_DEP_1) | instskip(NEXT) | instid1(VALU_DEP_3)
	v_xor_b32_e32 v38, v37, v33
	v_xor_b32_e32 v37, v39, v32
	s_delay_alu instid0(VALU_DEP_1) | instskip(SKIP_2) | instid1(VALU_DEP_1)
	v_cmp_ne_u64_e32 vcc_lo, s[38:39], v[37:38]
	v_cndmask_b32_e32 v38, 0x80000000, v38, vcc_lo
	v_cndmask_b32_e32 v37, 0, v37, vcc_lo
	v_lshrrev_b64 v[37:38], s40, v[37:38]
	s_delay_alu instid0(VALU_DEP_1) | instskip(NEXT) | instid1(VALU_DEP_1)
	v_and_b32_e32 v37, s42, v37
	v_lshl_or_b32 v37, v37, 4, v36
	ds_add_u32 v37, v123
	s_or_b32 exec_lo, exec_lo, s8
	s_delay_alu instid0(SALU_CYCLE_1)
	s_mov_b32 s8, exec_lo
	v_cmpx_lt_u32_e64 v77, v2
	s_cbranch_execnz .LBB1258_946
.LBB1258_931:                           ;   in Loop: Header=BB1258_905 Depth=2
	s_or_b32 exec_lo, exec_lo, s8
	s_delay_alu instid0(SALU_CYCLE_1)
	s_mov_b32 s8, exec_lo
	v_cmpx_lt_u32_e64 v78, v2
	s_cbranch_execz .LBB1258_947
.LBB1258_932:                           ;   in Loop: Header=BB1258_905 Depth=2
	v_cmp_lt_i64_e32 vcc_lo, -1, v[28:29]
	s_waitcnt vmcnt(14)
	v_ashrrev_i32_e32 v39, 31, v29
	v_cndmask_b32_e64 v37, -1, 0x80000000, vcc_lo
	s_delay_alu instid0(VALU_DEP_1) | instskip(NEXT) | instid1(VALU_DEP_3)
	v_xor_b32_e32 v38, v37, v29
	v_xor_b32_e32 v37, v39, v28
	s_delay_alu instid0(VALU_DEP_1) | instskip(SKIP_2) | instid1(VALU_DEP_1)
	v_cmp_ne_u64_e32 vcc_lo, s[38:39], v[37:38]
	v_cndmask_b32_e32 v38, 0x80000000, v38, vcc_lo
	v_cndmask_b32_e32 v37, 0, v37, vcc_lo
	v_lshrrev_b64 v[37:38], s40, v[37:38]
	s_delay_alu instid0(VALU_DEP_1) | instskip(NEXT) | instid1(VALU_DEP_1)
	v_and_b32_e32 v37, s42, v37
	v_lshl_or_b32 v37, v37, 4, v36
	ds_add_u32 v37, v123
	s_or_b32 exec_lo, exec_lo, s8
	s_delay_alu instid0(SALU_CYCLE_1)
	s_mov_b32 s8, exec_lo
	v_cmpx_lt_u32_e64 v79, v2
	s_cbranch_execnz .LBB1258_948
.LBB1258_933:                           ;   in Loop: Header=BB1258_905 Depth=2
	s_or_b32 exec_lo, exec_lo, s8
	s_delay_alu instid0(SALU_CYCLE_1)
	s_mov_b32 s8, exec_lo
	v_cmpx_lt_u32_e64 v83, v2
	s_cbranch_execz .LBB1258_949
.LBB1258_934:                           ;   in Loop: Header=BB1258_905 Depth=2
	v_cmp_lt_i64_e32 vcc_lo, -1, v[24:25]
	s_waitcnt vmcnt(14)
	v_ashrrev_i32_e32 v39, 31, v25
	v_cndmask_b32_e64 v37, -1, 0x80000000, vcc_lo
	s_delay_alu instid0(VALU_DEP_1) | instskip(NEXT) | instid1(VALU_DEP_3)
	v_xor_b32_e32 v38, v37, v25
	v_xor_b32_e32 v37, v39, v24
	s_delay_alu instid0(VALU_DEP_1) | instskip(SKIP_2) | instid1(VALU_DEP_1)
	v_cmp_ne_u64_e32 vcc_lo, s[38:39], v[37:38]
	v_cndmask_b32_e32 v38, 0x80000000, v38, vcc_lo
	v_cndmask_b32_e32 v37, 0, v37, vcc_lo
	v_lshrrev_b64 v[37:38], s40, v[37:38]
	s_delay_alu instid0(VALU_DEP_1) | instskip(NEXT) | instid1(VALU_DEP_1)
	v_and_b32_e32 v37, s42, v37
	v_lshl_or_b32 v37, v37, 4, v36
	ds_add_u32 v37, v123
	s_or_b32 exec_lo, exec_lo, s8
	s_delay_alu instid0(SALU_CYCLE_1)
	s_mov_b32 s8, exec_lo
	v_cmpx_lt_u32_e64 v84, v2
	s_cbranch_execnz .LBB1258_950
.LBB1258_935:                           ;   in Loop: Header=BB1258_905 Depth=2
	s_or_b32 exec_lo, exec_lo, s8
	s_delay_alu instid0(SALU_CYCLE_1)
	s_mov_b32 s8, exec_lo
	v_cmpx_lt_u32_e64 v85, v2
	s_cbranch_execz .LBB1258_951
.LBB1258_936:                           ;   in Loop: Header=BB1258_905 Depth=2
	v_cmp_lt_i64_e32 vcc_lo, -1, v[20:21]
	s_waitcnt vmcnt(14)
	v_ashrrev_i32_e32 v39, 31, v21
	v_cndmask_b32_e64 v37, -1, 0x80000000, vcc_lo
	s_delay_alu instid0(VALU_DEP_1) | instskip(NEXT) | instid1(VALU_DEP_3)
	v_xor_b32_e32 v38, v37, v21
	v_xor_b32_e32 v37, v39, v20
	s_delay_alu instid0(VALU_DEP_1) | instskip(SKIP_2) | instid1(VALU_DEP_1)
	v_cmp_ne_u64_e32 vcc_lo, s[38:39], v[37:38]
	v_cndmask_b32_e32 v38, 0x80000000, v38, vcc_lo
	v_cndmask_b32_e32 v37, 0, v37, vcc_lo
	v_lshrrev_b64 v[37:38], s40, v[37:38]
	s_delay_alu instid0(VALU_DEP_1) | instskip(NEXT) | instid1(VALU_DEP_1)
	v_and_b32_e32 v37, s42, v37
	v_lshl_or_b32 v37, v37, 4, v36
	ds_add_u32 v37, v123
	s_or_b32 exec_lo, exec_lo, s8
	s_delay_alu instid0(SALU_CYCLE_1)
	s_mov_b32 s8, exec_lo
	v_cmpx_lt_u32_e64 v86, v2
	s_cbranch_execnz .LBB1258_952
.LBB1258_937:                           ;   in Loop: Header=BB1258_905 Depth=2
	s_or_b32 exec_lo, exec_lo, s8
	s_delay_alu instid0(SALU_CYCLE_1)
	s_mov_b32 s8, exec_lo
	v_cmpx_lt_u32_e64 v87, v2
	s_cbranch_execz .LBB1258_953
.LBB1258_938:                           ;   in Loop: Header=BB1258_905 Depth=2
	v_cmp_lt_i64_e32 vcc_lo, -1, v[16:17]
	s_waitcnt vmcnt(14)
	v_ashrrev_i32_e32 v39, 31, v17
	v_cndmask_b32_e64 v37, -1, 0x80000000, vcc_lo
	s_delay_alu instid0(VALU_DEP_1) | instskip(NEXT) | instid1(VALU_DEP_3)
	v_xor_b32_e32 v38, v37, v17
	v_xor_b32_e32 v37, v39, v16
	s_delay_alu instid0(VALU_DEP_1) | instskip(SKIP_2) | instid1(VALU_DEP_1)
	v_cmp_ne_u64_e32 vcc_lo, s[38:39], v[37:38]
	v_cndmask_b32_e32 v38, 0x80000000, v38, vcc_lo
	v_cndmask_b32_e32 v37, 0, v37, vcc_lo
	v_lshrrev_b64 v[37:38], s40, v[37:38]
	s_delay_alu instid0(VALU_DEP_1) | instskip(NEXT) | instid1(VALU_DEP_1)
	v_and_b32_e32 v37, s42, v37
	v_lshl_or_b32 v37, v37, 4, v36
	ds_add_u32 v37, v123
	s_or_b32 exec_lo, exec_lo, s8
	s_delay_alu instid0(SALU_CYCLE_1)
	s_mov_b32 s8, exec_lo
	v_cmpx_lt_u32_e64 v88, v2
	s_cbranch_execnz .LBB1258_954
.LBB1258_939:                           ;   in Loop: Header=BB1258_905 Depth=2
	s_or_b32 exec_lo, exec_lo, s8
	s_delay_alu instid0(SALU_CYCLE_1)
	s_mov_b32 s8, exec_lo
	v_cmpx_lt_u32_e64 v89, v2
	s_cbranch_execz .LBB1258_955
.LBB1258_940:                           ;   in Loop: Header=BB1258_905 Depth=2
	v_cmp_lt_i64_e32 vcc_lo, -1, v[12:13]
	s_waitcnt vmcnt(14)
	v_ashrrev_i32_e32 v39, 31, v13
	v_cndmask_b32_e64 v37, -1, 0x80000000, vcc_lo
	s_delay_alu instid0(VALU_DEP_1) | instskip(NEXT) | instid1(VALU_DEP_3)
	v_xor_b32_e32 v38, v37, v13
	v_xor_b32_e32 v37, v39, v12
	s_delay_alu instid0(VALU_DEP_1) | instskip(SKIP_2) | instid1(VALU_DEP_1)
	v_cmp_ne_u64_e32 vcc_lo, s[38:39], v[37:38]
	v_cndmask_b32_e32 v38, 0x80000000, v38, vcc_lo
	v_cndmask_b32_e32 v37, 0, v37, vcc_lo
	v_lshrrev_b64 v[37:38], s40, v[37:38]
	s_delay_alu instid0(VALU_DEP_1) | instskip(NEXT) | instid1(VALU_DEP_1)
	v_and_b32_e32 v37, s42, v37
	v_lshl_or_b32 v37, v37, 4, v36
	ds_add_u32 v37, v123
	s_or_b32 exec_lo, exec_lo, s8
	s_delay_alu instid0(SALU_CYCLE_1)
	s_mov_b32 s8, exec_lo
	v_cmpx_lt_u32_e64 v90, v2
	s_cbranch_execnz .LBB1258_956
.LBB1258_941:                           ;   in Loop: Header=BB1258_905 Depth=2
	s_or_b32 exec_lo, exec_lo, s8
	s_delay_alu instid0(SALU_CYCLE_1)
	s_mov_b32 s8, exec_lo
	v_cmpx_lt_u32_e64 v91, v2
	s_cbranch_execz .LBB1258_957
.LBB1258_942:                           ;   in Loop: Header=BB1258_905 Depth=2
	v_cmp_lt_i64_e32 vcc_lo, -1, v[8:9]
	s_waitcnt vmcnt(14)
	v_ashrrev_i32_e32 v39, 31, v9
	v_cndmask_b32_e64 v37, -1, 0x80000000, vcc_lo
	s_delay_alu instid0(VALU_DEP_1) | instskip(NEXT) | instid1(VALU_DEP_3)
	v_xor_b32_e32 v38, v37, v9
	v_xor_b32_e32 v37, v39, v8
	s_delay_alu instid0(VALU_DEP_1) | instskip(SKIP_2) | instid1(VALU_DEP_1)
	v_cmp_ne_u64_e32 vcc_lo, s[38:39], v[37:38]
	v_cndmask_b32_e32 v38, 0x80000000, v38, vcc_lo
	v_cndmask_b32_e32 v37, 0, v37, vcc_lo
	v_lshrrev_b64 v[37:38], s40, v[37:38]
	s_delay_alu instid0(VALU_DEP_1) | instskip(NEXT) | instid1(VALU_DEP_1)
	v_and_b32_e32 v37, s42, v37
	v_lshl_or_b32 v37, v37, 4, v36
	ds_add_u32 v37, v123
	s_or_b32 exec_lo, exec_lo, s8
	s_delay_alu instid0(SALU_CYCLE_1)
	s_mov_b32 s8, exec_lo
	v_cmpx_lt_u32_e64 v92, v2
	s_cbranch_execnz .LBB1258_958
.LBB1258_943:                           ;   in Loop: Header=BB1258_905 Depth=2
	s_or_b32 exec_lo, exec_lo, s8
	s_delay_alu instid0(SALU_CYCLE_1)
	s_mov_b32 s8, exec_lo
	v_cmpx_lt_u32_e64 v93, v2
	s_cbranch_execz .LBB1258_959
.LBB1258_944:                           ;   in Loop: Header=BB1258_905 Depth=2
	v_cmp_lt_i64_e32 vcc_lo, -1, v[4:5]
	s_waitcnt vmcnt(14)
	v_ashrrev_i32_e32 v39, 31, v5
	v_cndmask_b32_e64 v37, -1, 0x80000000, vcc_lo
	s_delay_alu instid0(VALU_DEP_1) | instskip(NEXT) | instid1(VALU_DEP_3)
	v_xor_b32_e32 v38, v37, v5
	v_xor_b32_e32 v37, v39, v4
	s_delay_alu instid0(VALU_DEP_1) | instskip(SKIP_2) | instid1(VALU_DEP_1)
	v_cmp_ne_u64_e32 vcc_lo, s[38:39], v[37:38]
	v_cndmask_b32_e32 v38, 0x80000000, v38, vcc_lo
	v_cndmask_b32_e32 v37, 0, v37, vcc_lo
	v_lshrrev_b64 v[37:38], s40, v[37:38]
	s_delay_alu instid0(VALU_DEP_1) | instskip(NEXT) | instid1(VALU_DEP_1)
	v_and_b32_e32 v37, s42, v37
	v_lshl_or_b32 v37, v37, 4, v36
	ds_add_u32 v37, v123
	s_or_b32 exec_lo, exec_lo, s8
	s_delay_alu instid0(SALU_CYCLE_1)
	s_mov_b32 s8, exec_lo
	v_cmpx_lt_u32_e64 v95, v2
	s_cbranch_execz .LBB1258_904
	s_branch .LBB1258_960
.LBB1258_945:                           ;   in Loop: Header=BB1258_905 Depth=2
	s_or_b32 exec_lo, exec_lo, s8
	s_delay_alu instid0(SALU_CYCLE_1)
	s_mov_b32 s8, exec_lo
	v_cmpx_lt_u32_e64 v77, v2
	s_cbranch_execz .LBB1258_931
.LBB1258_946:                           ;   in Loop: Header=BB1258_905 Depth=2
	v_cmp_lt_i64_e32 vcc_lo, -1, v[30:31]
	s_waitcnt vmcnt(14)
	v_ashrrev_i32_e32 v39, 31, v31
	v_cndmask_b32_e64 v37, -1, 0x80000000, vcc_lo
	s_delay_alu instid0(VALU_DEP_1) | instskip(NEXT) | instid1(VALU_DEP_3)
	v_xor_b32_e32 v38, v37, v31
	v_xor_b32_e32 v37, v39, v30
	s_delay_alu instid0(VALU_DEP_1) | instskip(SKIP_2) | instid1(VALU_DEP_1)
	v_cmp_ne_u64_e32 vcc_lo, s[38:39], v[37:38]
	v_cndmask_b32_e32 v38, 0x80000000, v38, vcc_lo
	v_cndmask_b32_e32 v37, 0, v37, vcc_lo
	v_lshrrev_b64 v[37:38], s40, v[37:38]
	s_delay_alu instid0(VALU_DEP_1) | instskip(NEXT) | instid1(VALU_DEP_1)
	v_and_b32_e32 v37, s42, v37
	v_lshl_or_b32 v37, v37, 4, v36
	ds_add_u32 v37, v123
	s_or_b32 exec_lo, exec_lo, s8
	s_delay_alu instid0(SALU_CYCLE_1)
	s_mov_b32 s8, exec_lo
	v_cmpx_lt_u32_e64 v78, v2
	s_cbranch_execnz .LBB1258_932
.LBB1258_947:                           ;   in Loop: Header=BB1258_905 Depth=2
	s_or_b32 exec_lo, exec_lo, s8
	s_delay_alu instid0(SALU_CYCLE_1)
	s_mov_b32 s8, exec_lo
	v_cmpx_lt_u32_e64 v79, v2
	s_cbranch_execz .LBB1258_933
.LBB1258_948:                           ;   in Loop: Header=BB1258_905 Depth=2
	v_cmp_lt_i64_e32 vcc_lo, -1, v[26:27]
	s_waitcnt vmcnt(14)
	v_ashrrev_i32_e32 v39, 31, v27
	v_cndmask_b32_e64 v37, -1, 0x80000000, vcc_lo
	s_delay_alu instid0(VALU_DEP_1) | instskip(NEXT) | instid1(VALU_DEP_3)
	v_xor_b32_e32 v38, v37, v27
	v_xor_b32_e32 v37, v39, v26
	s_delay_alu instid0(VALU_DEP_1) | instskip(SKIP_2) | instid1(VALU_DEP_1)
	v_cmp_ne_u64_e32 vcc_lo, s[38:39], v[37:38]
	v_cndmask_b32_e32 v38, 0x80000000, v38, vcc_lo
	v_cndmask_b32_e32 v37, 0, v37, vcc_lo
	v_lshrrev_b64 v[37:38], s40, v[37:38]
	s_delay_alu instid0(VALU_DEP_1) | instskip(NEXT) | instid1(VALU_DEP_1)
	v_and_b32_e32 v37, s42, v37
	v_lshl_or_b32 v37, v37, 4, v36
	ds_add_u32 v37, v123
	s_or_b32 exec_lo, exec_lo, s8
	s_delay_alu instid0(SALU_CYCLE_1)
	s_mov_b32 s8, exec_lo
	v_cmpx_lt_u32_e64 v83, v2
	s_cbranch_execnz .LBB1258_934
.LBB1258_949:                           ;   in Loop: Header=BB1258_905 Depth=2
	s_or_b32 exec_lo, exec_lo, s8
	s_delay_alu instid0(SALU_CYCLE_1)
	s_mov_b32 s8, exec_lo
	v_cmpx_lt_u32_e64 v84, v2
	s_cbranch_execz .LBB1258_935
.LBB1258_950:                           ;   in Loop: Header=BB1258_905 Depth=2
	v_cmp_lt_i64_e32 vcc_lo, -1, v[22:23]
	s_waitcnt vmcnt(14)
	v_ashrrev_i32_e32 v39, 31, v23
	v_cndmask_b32_e64 v37, -1, 0x80000000, vcc_lo
	s_delay_alu instid0(VALU_DEP_1) | instskip(NEXT) | instid1(VALU_DEP_3)
	v_xor_b32_e32 v38, v37, v23
	v_xor_b32_e32 v37, v39, v22
	s_delay_alu instid0(VALU_DEP_1) | instskip(SKIP_2) | instid1(VALU_DEP_1)
	v_cmp_ne_u64_e32 vcc_lo, s[38:39], v[37:38]
	v_cndmask_b32_e32 v38, 0x80000000, v38, vcc_lo
	v_cndmask_b32_e32 v37, 0, v37, vcc_lo
	v_lshrrev_b64 v[37:38], s40, v[37:38]
	s_delay_alu instid0(VALU_DEP_1) | instskip(NEXT) | instid1(VALU_DEP_1)
	v_and_b32_e32 v37, s42, v37
	v_lshl_or_b32 v37, v37, 4, v36
	ds_add_u32 v37, v123
	s_or_b32 exec_lo, exec_lo, s8
	s_delay_alu instid0(SALU_CYCLE_1)
	s_mov_b32 s8, exec_lo
	v_cmpx_lt_u32_e64 v85, v2
	s_cbranch_execnz .LBB1258_936
.LBB1258_951:                           ;   in Loop: Header=BB1258_905 Depth=2
	s_or_b32 exec_lo, exec_lo, s8
	s_delay_alu instid0(SALU_CYCLE_1)
	s_mov_b32 s8, exec_lo
	v_cmpx_lt_u32_e64 v86, v2
	s_cbranch_execz .LBB1258_937
.LBB1258_952:                           ;   in Loop: Header=BB1258_905 Depth=2
	v_cmp_lt_i64_e32 vcc_lo, -1, v[18:19]
	s_waitcnt vmcnt(14)
	v_ashrrev_i32_e32 v39, 31, v19
	v_cndmask_b32_e64 v37, -1, 0x80000000, vcc_lo
	s_delay_alu instid0(VALU_DEP_1) | instskip(NEXT) | instid1(VALU_DEP_3)
	v_xor_b32_e32 v38, v37, v19
	v_xor_b32_e32 v37, v39, v18
	s_delay_alu instid0(VALU_DEP_1) | instskip(SKIP_2) | instid1(VALU_DEP_1)
	v_cmp_ne_u64_e32 vcc_lo, s[38:39], v[37:38]
	v_cndmask_b32_e32 v38, 0x80000000, v38, vcc_lo
	v_cndmask_b32_e32 v37, 0, v37, vcc_lo
	v_lshrrev_b64 v[37:38], s40, v[37:38]
	s_delay_alu instid0(VALU_DEP_1) | instskip(NEXT) | instid1(VALU_DEP_1)
	v_and_b32_e32 v37, s42, v37
	v_lshl_or_b32 v37, v37, 4, v36
	ds_add_u32 v37, v123
	s_or_b32 exec_lo, exec_lo, s8
	s_delay_alu instid0(SALU_CYCLE_1)
	s_mov_b32 s8, exec_lo
	v_cmpx_lt_u32_e64 v87, v2
	s_cbranch_execnz .LBB1258_938
.LBB1258_953:                           ;   in Loop: Header=BB1258_905 Depth=2
	s_or_b32 exec_lo, exec_lo, s8
	s_delay_alu instid0(SALU_CYCLE_1)
	s_mov_b32 s8, exec_lo
	v_cmpx_lt_u32_e64 v88, v2
	s_cbranch_execz .LBB1258_939
.LBB1258_954:                           ;   in Loop: Header=BB1258_905 Depth=2
	v_cmp_lt_i64_e32 vcc_lo, -1, v[14:15]
	s_waitcnt vmcnt(14)
	v_ashrrev_i32_e32 v39, 31, v15
	v_cndmask_b32_e64 v37, -1, 0x80000000, vcc_lo
	s_delay_alu instid0(VALU_DEP_1) | instskip(NEXT) | instid1(VALU_DEP_3)
	v_xor_b32_e32 v38, v37, v15
	v_xor_b32_e32 v37, v39, v14
	s_delay_alu instid0(VALU_DEP_1) | instskip(SKIP_2) | instid1(VALU_DEP_1)
	v_cmp_ne_u64_e32 vcc_lo, s[38:39], v[37:38]
	v_cndmask_b32_e32 v38, 0x80000000, v38, vcc_lo
	v_cndmask_b32_e32 v37, 0, v37, vcc_lo
	v_lshrrev_b64 v[37:38], s40, v[37:38]
	s_delay_alu instid0(VALU_DEP_1) | instskip(NEXT) | instid1(VALU_DEP_1)
	v_and_b32_e32 v37, s42, v37
	v_lshl_or_b32 v37, v37, 4, v36
	ds_add_u32 v37, v123
	s_or_b32 exec_lo, exec_lo, s8
	s_delay_alu instid0(SALU_CYCLE_1)
	s_mov_b32 s8, exec_lo
	v_cmpx_lt_u32_e64 v89, v2
	s_cbranch_execnz .LBB1258_940
.LBB1258_955:                           ;   in Loop: Header=BB1258_905 Depth=2
	s_or_b32 exec_lo, exec_lo, s8
	s_delay_alu instid0(SALU_CYCLE_1)
	s_mov_b32 s8, exec_lo
	v_cmpx_lt_u32_e64 v90, v2
	s_cbranch_execz .LBB1258_941
.LBB1258_956:                           ;   in Loop: Header=BB1258_905 Depth=2
	v_cmp_lt_i64_e32 vcc_lo, -1, v[10:11]
	s_waitcnt vmcnt(14)
	v_ashrrev_i32_e32 v39, 31, v11
	v_cndmask_b32_e64 v37, -1, 0x80000000, vcc_lo
	s_delay_alu instid0(VALU_DEP_1) | instskip(NEXT) | instid1(VALU_DEP_3)
	v_xor_b32_e32 v38, v37, v11
	v_xor_b32_e32 v37, v39, v10
	s_delay_alu instid0(VALU_DEP_1) | instskip(SKIP_2) | instid1(VALU_DEP_1)
	v_cmp_ne_u64_e32 vcc_lo, s[38:39], v[37:38]
	v_cndmask_b32_e32 v38, 0x80000000, v38, vcc_lo
	v_cndmask_b32_e32 v37, 0, v37, vcc_lo
	v_lshrrev_b64 v[37:38], s40, v[37:38]
	s_delay_alu instid0(VALU_DEP_1) | instskip(NEXT) | instid1(VALU_DEP_1)
	v_and_b32_e32 v37, s42, v37
	v_lshl_or_b32 v37, v37, 4, v36
	ds_add_u32 v37, v123
	s_or_b32 exec_lo, exec_lo, s8
	s_delay_alu instid0(SALU_CYCLE_1)
	s_mov_b32 s8, exec_lo
	v_cmpx_lt_u32_e64 v91, v2
	s_cbranch_execnz .LBB1258_942
.LBB1258_957:                           ;   in Loop: Header=BB1258_905 Depth=2
	s_or_b32 exec_lo, exec_lo, s8
	s_delay_alu instid0(SALU_CYCLE_1)
	s_mov_b32 s8, exec_lo
	v_cmpx_lt_u32_e64 v92, v2
	s_cbranch_execz .LBB1258_943
.LBB1258_958:                           ;   in Loop: Header=BB1258_905 Depth=2
	v_cmp_lt_i64_e32 vcc_lo, -1, v[6:7]
	s_waitcnt vmcnt(14)
	v_ashrrev_i32_e32 v39, 31, v7
	v_cndmask_b32_e64 v37, -1, 0x80000000, vcc_lo
	s_delay_alu instid0(VALU_DEP_1) | instskip(NEXT) | instid1(VALU_DEP_3)
	v_xor_b32_e32 v38, v37, v7
	v_xor_b32_e32 v37, v39, v6
	s_delay_alu instid0(VALU_DEP_1) | instskip(SKIP_2) | instid1(VALU_DEP_1)
	v_cmp_ne_u64_e32 vcc_lo, s[38:39], v[37:38]
	v_cndmask_b32_e32 v38, 0x80000000, v38, vcc_lo
	v_cndmask_b32_e32 v37, 0, v37, vcc_lo
	v_lshrrev_b64 v[37:38], s40, v[37:38]
	s_delay_alu instid0(VALU_DEP_1) | instskip(NEXT) | instid1(VALU_DEP_1)
	v_and_b32_e32 v37, s42, v37
	v_lshl_or_b32 v37, v37, 4, v36
	ds_add_u32 v37, v123
	s_or_b32 exec_lo, exec_lo, s8
	s_delay_alu instid0(SALU_CYCLE_1)
	s_mov_b32 s8, exec_lo
	v_cmpx_lt_u32_e64 v93, v2
	s_cbranch_execnz .LBB1258_944
.LBB1258_959:                           ;   in Loop: Header=BB1258_905 Depth=2
	s_or_b32 exec_lo, exec_lo, s8
	s_delay_alu instid0(SALU_CYCLE_1)
	s_mov_b32 s8, exec_lo
	v_cmpx_lt_u32_e64 v95, v2
	s_cbranch_execz .LBB1258_904
.LBB1258_960:                           ;   in Loop: Header=BB1258_905 Depth=2
	s_waitcnt vmcnt(0)
	v_cmp_lt_i64_e32 vcc_lo, -1, v[34:35]
	v_ashrrev_i32_e32 v37, 31, v35
	s_delay_alu instid0(VALU_DEP_1) | instskip(SKIP_1) | instid1(VALU_DEP_1)
	v_xor_b32_e32 v37, v37, v34
	v_cndmask_b32_e64 v2, -1, 0x80000000, vcc_lo
	v_xor_b32_e32 v38, v2, v35
	s_delay_alu instid0(VALU_DEP_1) | instskip(SKIP_2) | instid1(VALU_DEP_1)
	v_cmp_ne_u64_e32 vcc_lo, s[38:39], v[37:38]
	v_cndmask_b32_e32 v38, 0x80000000, v38, vcc_lo
	v_cndmask_b32_e32 v37, 0, v37, vcc_lo
	v_lshrrev_b64 v[37:38], s40, v[37:38]
	s_delay_alu instid0(VALU_DEP_1) | instskip(NEXT) | instid1(VALU_DEP_1)
	v_and_b32_e32 v2, s42, v37
	v_lshl_or_b32 v2, v2, 4, v36
	ds_add_u32 v2, v123
	s_branch .LBB1258_904
.LBB1258_961:                           ;   in Loop: Header=BB1258_905 Depth=2
	s_or_b32 exec_lo, exec_lo, s11
	s_delay_alu instid0(SALU_CYCLE_1)
	s_mov_b32 s11, exec_lo
	v_cmpx_gt_u32_e64 s1, v77
	s_cbranch_execz .LBB1258_911
.LBB1258_962:                           ;   in Loop: Header=BB1258_905 Depth=2
	global_load_b64 v[30:31], v124, s[8:9] offset:2048
	s_or_b32 exec_lo, exec_lo, s11
	s_delay_alu instid0(SALU_CYCLE_1)
	s_mov_b32 s11, exec_lo
	v_cmpx_gt_u32_e64 s1, v78
	s_cbranch_execnz .LBB1258_912
.LBB1258_963:                           ;   in Loop: Header=BB1258_905 Depth=2
	s_or_b32 exec_lo, exec_lo, s11
	s_delay_alu instid0(SALU_CYCLE_1)
	s_mov_b32 s11, exec_lo
	v_cmpx_gt_u32_e64 s1, v79
	s_cbranch_execz .LBB1258_913
.LBB1258_964:                           ;   in Loop: Header=BB1258_905 Depth=2
	global_load_b64 v[26:27], v126, s[8:9]
	s_or_b32 exec_lo, exec_lo, s11
	s_delay_alu instid0(SALU_CYCLE_1)
	s_mov_b32 s11, exec_lo
	v_cmpx_gt_u32_e64 s1, v83
	s_cbranch_execnz .LBB1258_914
.LBB1258_965:                           ;   in Loop: Header=BB1258_905 Depth=2
	s_or_b32 exec_lo, exec_lo, s11
	s_delay_alu instid0(SALU_CYCLE_1)
	s_mov_b32 s11, exec_lo
	v_cmpx_gt_u32_e64 s1, v84
	s_cbranch_execz .LBB1258_915
.LBB1258_966:                           ;   in Loop: Header=BB1258_905 Depth=2
	global_load_b64 v[22:23], v128, s[8:9]
	s_or_b32 exec_lo, exec_lo, s11
	s_delay_alu instid0(SALU_CYCLE_1)
	s_mov_b32 s11, exec_lo
	v_cmpx_gt_u32_e64 s1, v85
	s_cbranch_execnz .LBB1258_916
.LBB1258_967:                           ;   in Loop: Header=BB1258_905 Depth=2
	s_or_b32 exec_lo, exec_lo, s11
	s_delay_alu instid0(SALU_CYCLE_1)
	s_mov_b32 s11, exec_lo
	v_cmpx_gt_u32_e64 s1, v86
	s_cbranch_execz .LBB1258_917
.LBB1258_968:                           ;   in Loop: Header=BB1258_905 Depth=2
	global_load_b64 v[18:19], v130, s[8:9]
	s_or_b32 exec_lo, exec_lo, s11
	s_delay_alu instid0(SALU_CYCLE_1)
	s_mov_b32 s11, exec_lo
	v_cmpx_gt_u32_e64 s1, v87
	s_cbranch_execnz .LBB1258_918
.LBB1258_969:                           ;   in Loop: Header=BB1258_905 Depth=2
	s_or_b32 exec_lo, exec_lo, s11
	s_delay_alu instid0(SALU_CYCLE_1)
	s_mov_b32 s11, exec_lo
	v_cmpx_gt_u32_e64 s1, v88
	s_cbranch_execz .LBB1258_919
.LBB1258_970:                           ;   in Loop: Header=BB1258_905 Depth=2
	global_load_b64 v[14:15], v132, s[8:9]
	s_or_b32 exec_lo, exec_lo, s11
	s_delay_alu instid0(SALU_CYCLE_1)
	s_mov_b32 s11, exec_lo
	v_cmpx_gt_u32_e64 s1, v89
	s_cbranch_execnz .LBB1258_920
.LBB1258_971:                           ;   in Loop: Header=BB1258_905 Depth=2
	s_or_b32 exec_lo, exec_lo, s11
	s_delay_alu instid0(SALU_CYCLE_1)
	s_mov_b32 s11, exec_lo
	v_cmpx_gt_u32_e64 s1, v90
	s_cbranch_execz .LBB1258_921
.LBB1258_972:                           ;   in Loop: Header=BB1258_905 Depth=2
	global_load_b64 v[10:11], v134, s[8:9]
	s_or_b32 exec_lo, exec_lo, s11
	s_delay_alu instid0(SALU_CYCLE_1)
	s_mov_b32 s11, exec_lo
	v_cmpx_gt_u32_e64 s1, v91
	s_cbranch_execnz .LBB1258_922
.LBB1258_973:                           ;   in Loop: Header=BB1258_905 Depth=2
	s_or_b32 exec_lo, exec_lo, s11
	s_delay_alu instid0(SALU_CYCLE_1)
	s_mov_b32 s11, exec_lo
	v_cmpx_gt_u32_e64 s1, v92
	s_cbranch_execz .LBB1258_923
.LBB1258_974:                           ;   in Loop: Header=BB1258_905 Depth=2
	v_lshlrev_b32_e32 v2, 3, v92
	global_load_b64 v[6:7], v2, s[8:9]
	s_or_b32 exec_lo, exec_lo, s11
	s_delay_alu instid0(SALU_CYCLE_1)
	s_mov_b32 s11, exec_lo
	v_cmpx_gt_u32_e64 s1, v93
	s_cbranch_execz .LBB1258_925
	s_branch .LBB1258_924
.LBB1258_975:                           ;   in Loop: Header=BB1258_17 Depth=1
	v_mov_b32_e32 v2, 0
	s_waitcnt vmcnt(0) lgkmcnt(0)
	s_barrier
	buffer_gl0_inv
	s_and_saveexec_b32 s1, s2
	s_cbranch_execz .LBB1258_977
; %bb.976:                              ;   in Loop: Header=BB1258_17 Depth=1
	ds_load_2addr_b64 v[4:7], v96 offset1:1
	s_waitcnt lgkmcnt(0)
	v_add_nc_u32_e32 v2, v5, v4
	s_delay_alu instid0(VALU_DEP_1)
	v_add3_u32 v2, v2, v6, v7
.LBB1258_977:                           ;   in Loop: Header=BB1258_17 Depth=1
	s_or_b32 exec_lo, exec_lo, s1
	v_and_b32_e32 v4, 15, v136
	s_delay_alu instid0(VALU_DEP_2) | instskip(SKIP_1) | instid1(VALU_DEP_3)
	v_mov_b32_dpp v5, v2 row_shr:1 row_mask:0xf bank_mask:0xf
	v_and_b32_e32 v6, 16, v136
	v_cmp_eq_u32_e64 s1, 0, v4
	v_cmp_lt_u32_e64 s7, 1, v4
	v_cmp_lt_u32_e64 s8, 3, v4
	;; [unrolled: 1-line block ×3, first 2 shown]
	v_cmp_eq_u32_e64 s10, 0, v6
	v_cndmask_b32_e64 v5, v5, 0, s1
	s_delay_alu instid0(VALU_DEP_1) | instskip(NEXT) | instid1(VALU_DEP_1)
	v_add_nc_u32_e32 v2, v5, v2
	v_mov_b32_dpp v5, v2 row_shr:2 row_mask:0xf bank_mask:0xf
	s_delay_alu instid0(VALU_DEP_1) | instskip(NEXT) | instid1(VALU_DEP_1)
	v_cndmask_b32_e64 v5, 0, v5, s7
	v_add_nc_u32_e32 v2, v2, v5
	s_delay_alu instid0(VALU_DEP_1) | instskip(NEXT) | instid1(VALU_DEP_1)
	v_mov_b32_dpp v5, v2 row_shr:4 row_mask:0xf bank_mask:0xf
	v_cndmask_b32_e64 v5, 0, v5, s8
	s_delay_alu instid0(VALU_DEP_1) | instskip(NEXT) | instid1(VALU_DEP_1)
	v_add_nc_u32_e32 v2, v2, v5
	v_mov_b32_dpp v5, v2 row_shr:8 row_mask:0xf bank_mask:0xf
	s_delay_alu instid0(VALU_DEP_1) | instskip(SKIP_1) | instid1(VALU_DEP_2)
	v_cndmask_b32_e64 v4, 0, v5, s9
	v_bfe_i32 v5, v136, 4, 1
	v_add_nc_u32_e32 v2, v2, v4
	ds_swizzle_b32 v4, v2 offset:swizzle(BROADCAST,32,15)
	s_waitcnt lgkmcnt(0)
	v_and_b32_e32 v4, v5, v4
	s_delay_alu instid0(VALU_DEP_1)
	v_add_nc_u32_e32 v4, v2, v4
	s_and_saveexec_b32 s11, s3
	s_cbranch_execz .LBB1258_979
; %bb.978:                              ;   in Loop: Header=BB1258_17 Depth=1
	ds_store_b32 v97, v4
.LBB1258_979:                           ;   in Loop: Header=BB1258_17 Depth=1
	s_or_b32 exec_lo, exec_lo, s11
	v_and_b32_e32 v2, 7, v136
	s_waitcnt lgkmcnt(0)
	s_barrier
	buffer_gl0_inv
	s_and_saveexec_b32 s11, s4
	s_cbranch_execz .LBB1258_981
; %bb.980:                              ;   in Loop: Header=BB1258_17 Depth=1
	ds_load_b32 v5, v98
	v_cmp_ne_u32_e32 vcc_lo, 0, v2
	s_waitcnt lgkmcnt(0)
	v_mov_b32_dpp v6, v5 row_shr:1 row_mask:0xf bank_mask:0xf
	s_delay_alu instid0(VALU_DEP_1) | instskip(SKIP_1) | instid1(VALU_DEP_2)
	v_cndmask_b32_e32 v6, 0, v6, vcc_lo
	v_cmp_lt_u32_e32 vcc_lo, 1, v2
	v_add_nc_u32_e32 v5, v6, v5
	s_delay_alu instid0(VALU_DEP_1) | instskip(NEXT) | instid1(VALU_DEP_1)
	v_mov_b32_dpp v6, v5 row_shr:2 row_mask:0xf bank_mask:0xf
	v_cndmask_b32_e32 v6, 0, v6, vcc_lo
	v_cmp_lt_u32_e32 vcc_lo, 3, v2
	s_delay_alu instid0(VALU_DEP_2) | instskip(NEXT) | instid1(VALU_DEP_1)
	v_add_nc_u32_e32 v5, v5, v6
	v_mov_b32_dpp v6, v5 row_shr:4 row_mask:0xf bank_mask:0xf
	s_delay_alu instid0(VALU_DEP_1) | instskip(NEXT) | instid1(VALU_DEP_1)
	v_cndmask_b32_e32 v6, 0, v6, vcc_lo
	v_add_nc_u32_e32 v5, v5, v6
	ds_store_b32 v98, v5
.LBB1258_981:                           ;   in Loop: Header=BB1258_17 Depth=1
	s_or_b32 exec_lo, exec_lo, s11
	v_mov_b32_e32 v5, 0
	s_waitcnt lgkmcnt(0)
	s_barrier
	buffer_gl0_inv
	s_and_saveexec_b32 s11, s5
	s_cbranch_execz .LBB1258_983
; %bb.982:                              ;   in Loop: Header=BB1258_17 Depth=1
	ds_load_b32 v5, v99
.LBB1258_983:                           ;   in Loop: Header=BB1258_17 Depth=1
	s_or_b32 exec_lo, exec_lo, s11
	v_add_nc_u32_e32 v6, -1, v136
	s_waitcnt lgkmcnt(0)
	v_add_nc_u32_e32 v4, v5, v4
	v_cmp_eq_u32_e64 s11, 0, v136
	s_barrier
	v_cmp_gt_i32_e32 vcc_lo, 0, v6
	buffer_gl0_inv
	v_cndmask_b32_e32 v6, v6, v136, vcc_lo
	s_delay_alu instid0(VALU_DEP_1)
	v_lshlrev_b32_e32 v137, 2, v6
	ds_bpermute_b32 v4, v137, v4
	s_and_saveexec_b32 s12, s2
	s_cbranch_execz .LBB1258_985
; %bb.984:                              ;   in Loop: Header=BB1258_17 Depth=1
	s_waitcnt lgkmcnt(0)
	v_cndmask_b32_e64 v4, v4, v5, s11
	s_delay_alu instid0(VALU_DEP_1)
	v_add_nc_u32_e32 v4, s60, v4
	ds_store_b32 v76, v4
.LBB1258_985:                           ;   in Loop: Header=BB1258_17 Depth=1
	s_or_b32 exec_lo, exec_lo, s12
	s_load_b64 s[12:13], s[36:37], 0x0
	v_lshlrev_b32_e32 v7, 3, v136
	v_or_b32_e32 v138, v136, v100
	s_mov_b32 s43, s62
	s_mov_b32 s34, s60
                                        ; implicit-def: $vgpr8_vgpr9
                                        ; implicit-def: $vgpr10_vgpr11
                                        ; implicit-def: $vgpr12_vgpr13
                                        ; implicit-def: $vgpr14_vgpr15
                                        ; implicit-def: $vgpr16_vgpr17
                                        ; implicit-def: $vgpr18_vgpr19
                                        ; implicit-def: $vgpr20_vgpr21
                                        ; implicit-def: $vgpr22_vgpr23
                                        ; implicit-def: $vgpr24_vgpr25
                                        ; implicit-def: $vgpr26_vgpr27
                                        ; implicit-def: $vgpr28_vgpr29
                                        ; implicit-def: $vgpr30_vgpr31
                                        ; implicit-def: $vgpr32_vgpr33
                                        ; implicit-def: $vgpr34_vgpr35
                                        ; implicit-def: $vgpr161
                                        ; implicit-def: $vgpr162
                                        ; implicit-def: $vgpr163
                                        ; implicit-def: $vgpr164
                                        ; implicit-def: $vgpr165
                                        ; implicit-def: $vgpr166
                                        ; implicit-def: $vgpr167
                                        ; implicit-def: $vgpr168
                                        ; implicit-def: $vgpr169
                                        ; implicit-def: $vgpr170
                                        ; implicit-def: $vgpr171
                                        ; implicit-def: $vgpr172
                                        ; implicit-def: $vgpr173
                                        ; implicit-def: $vgpr174
                                        ; implicit-def: $vgpr175
                                        ; implicit-def: $vgpr176
	s_delay_alu instid0(VALU_DEP_2) | instskip(SKIP_4) | instid1(VALU_DEP_3)
	v_add_co_u32 v139, vcc_lo, v119, v7
	v_add_co_ci_u32_e32 v140, vcc_lo, 0, v120, vcc_lo
	v_add_co_u32 v156, vcc_lo, v121, v7
	v_add_co_ci_u32_e32 v157, vcc_lo, 0, v122, vcc_lo
	v_or_b32_e32 v141, 32, v138
	v_add_co_u32 v159, vcc_lo, 0xf00, v156
	v_or_b32_e32 v142, 64, v138
	v_or_b32_e32 v143, 0x60, v138
	v_or_b32_e32 v144, 0x80, v138
	s_waitcnt lgkmcnt(0)
	s_cmp_lt_u32 s15, s13
	v_or_b32_e32 v145, 0xa0, v138
	s_cselect_b32 s13, 14, 20
	v_or_b32_e32 v146, 0xc0, v138
	s_add_u32 s16, s36, s13
	s_addc_u32 s17, s37, 0
	s_cmp_lt_u32 s14, s12
	global_load_u16 v4, v3, s[16:17]
	s_cselect_b32 s12, 12, 18
	v_or_b32_e32 v147, 0xe0, v138
	s_add_u32 s12, s36, s12
	s_addc_u32 s13, s37, 0
	v_or_b32_e32 v148, 0x100, v138
	global_load_u16 v6, v3, s[12:13]
	v_cmp_eq_u32_e64 s12, 0, v2
	v_cmp_lt_u32_e64 s13, 1, v2
	v_cmp_lt_u32_e64 s16, 3, v2
	v_or_b32_e32 v149, 0x120, v138
	v_or_b32_e32 v150, 0x140, v138
	;; [unrolled: 1-line block ×7, first 2 shown]
	v_add_co_ci_u32_e32 v160, vcc_lo, 0, v157, vcc_lo
	s_waitcnt vmcnt(1)
	v_mad_u32_u24 v2, v101, v4, v0
	s_waitcnt vmcnt(0)
	s_delay_alu instid0(VALU_DEP_1) | instskip(NEXT) | instid1(VALU_DEP_1)
	v_mad_u64_u32 v[4:5], null, v2, v6, v[1:2]
                                        ; implicit-def: $vgpr6_vgpr7
	v_lshrrev_b32_e32 v158, 5, v4
                                        ; implicit-def: $vgpr4_vgpr5
	s_branch .LBB1258_987
.LBB1258_986:                           ;   in Loop: Header=BB1258_987 Depth=2
	s_or_b32 exec_lo, exec_lo, s17
	s_addk_i32 s43, 0xf000
	s_cmp_lt_u32 s50, s61
	s_mov_b32 s34, s50
	s_cbranch_scc0 .LBB1258_15
.LBB1258_987:                           ;   Parent Loop BB1258_17 Depth=1
                                        ; =>  This Inner Loop Header: Depth=2
	s_add_i32 s50, s34, 0x1000
	s_delay_alu instid0(SALU_CYCLE_1)
	s_cmp_gt_u32 s50, s61
	s_cbranch_scc1 .LBB1258_989
; %bb.988:                              ;   in Loop: Header=BB1258_987 Depth=2
	s_mov_b32 s19, 0
	s_mov_b32 s18, s34
	s_movk_i32 s17, 0x1000
	s_lshl_b64 s[20:21], s[18:19], 3
	s_delay_alu instid0(SALU_CYCLE_1)
	v_add_co_u32 v40, vcc_lo, v156, s20
	v_add_co_ci_u32_e32 v41, vcc_lo, s21, v157, vcc_lo
	s_mov_b32 s20, -1
	s_clause 0xe
	global_load_b64 v[36:37], v[40:41], off
	global_load_b64 v[38:39], v[40:41], off offset:256
	global_load_b64 v[44:45], v[40:41], off offset:512
	;; [unrolled: 1-line block ×14, first 2 shown]
	s_cbranch_execz .LBB1258_990
	s_branch .LBB1258_1021
.LBB1258_989:                           ;   in Loop: Header=BB1258_987 Depth=2
	s_mov_b32 s19, -1
	s_mov_b32 s20, 0
                                        ; implicit-def: $sgpr17
                                        ; implicit-def: $vgpr36_vgpr37
                                        ; implicit-def: $vgpr38_vgpr39
                                        ; implicit-def: $vgpr44_vgpr45
                                        ; implicit-def: $vgpr48_vgpr49
                                        ; implicit-def: $vgpr52_vgpr53
                                        ; implicit-def: $vgpr58_vgpr59
                                        ; implicit-def: $vgpr62_vgpr63
                                        ; implicit-def: $vgpr66_vgpr67
                                        ; implicit-def: $vgpr64_vgpr65
                                        ; implicit-def: $vgpr60_vgpr61
                                        ; implicit-def: $vgpr56_vgpr57
                                        ; implicit-def: $vgpr54_vgpr55
                                        ; implicit-def: $vgpr50_vgpr51
                                        ; implicit-def: $vgpr46_vgpr47
                                        ; implicit-def: $vgpr40_vgpr41
.LBB1258_990:                           ;   in Loop: Header=BB1258_987 Depth=2
	s_lshl_b64 s[18:19], s[34:35], 3
	s_waitcnt vmcnt(14)
	v_dual_mov_b32 v36, s38 :: v_dual_mov_b32 v37, s39
	v_add_co_u32 v42, vcc_lo, v156, s18
	v_add_co_ci_u32_e32 v43, vcc_lo, s19, v157, vcc_lo
	s_mov_b32 s17, exec_lo
	v_cmpx_gt_u32_e64 s43, v138
	s_cbranch_execz .LBB1258_992
; %bb.991:                              ;   in Loop: Header=BB1258_987 Depth=2
	global_load_b64 v[36:37], v[42:43], off
.LBB1258_992:                           ;   in Loop: Header=BB1258_987 Depth=2
	s_or_b32 exec_lo, exec_lo, s17
	s_waitcnt vmcnt(13)
	v_dual_mov_b32 v38, s38 :: v_dual_mov_b32 v39, s39
	s_mov_b32 s17, exec_lo
	v_cmpx_gt_u32_e64 s43, v141
	s_cbranch_execz .LBB1258_994
; %bb.993:                              ;   in Loop: Header=BB1258_987 Depth=2
	global_load_b64 v[38:39], v[42:43], off offset:256
.LBB1258_994:                           ;   in Loop: Header=BB1258_987 Depth=2
	s_or_b32 exec_lo, exec_lo, s17
	s_waitcnt vmcnt(12)
	v_dual_mov_b32 v45, s39 :: v_dual_mov_b32 v44, s38
	s_mov_b32 s17, exec_lo
	v_cmpx_gt_u32_e64 s43, v142
	s_cbranch_execz .LBB1258_996
; %bb.995:                              ;   in Loop: Header=BB1258_987 Depth=2
	global_load_b64 v[44:45], v[42:43], off offset:512
.LBB1258_996:                           ;   in Loop: Header=BB1258_987 Depth=2
	;; [unrolled: 9-line block ×3, first 2 shown]
	s_or_b32 exec_lo, exec_lo, s17
	s_waitcnt vmcnt(10)
	v_dual_mov_b32 v53, s39 :: v_dual_mov_b32 v52, s38
	s_mov_b32 s17, exec_lo
	v_cmpx_gt_u32_e64 s43, v144
	s_cbranch_execz .LBB1258_1000
; %bb.999:                              ;   in Loop: Header=BB1258_987 Depth=2
	global_load_b64 v[52:53], v[42:43], off offset:1024
.LBB1258_1000:                          ;   in Loop: Header=BB1258_987 Depth=2
	s_or_b32 exec_lo, exec_lo, s17
	s_waitcnt vmcnt(9)
	v_dual_mov_b32 v59, s39 :: v_dual_mov_b32 v58, s38
	s_mov_b32 s17, exec_lo
	v_cmpx_gt_u32_e64 s43, v145
	s_cbranch_execz .LBB1258_1002
; %bb.1001:                             ;   in Loop: Header=BB1258_987 Depth=2
	global_load_b64 v[58:59], v[42:43], off offset:1280
.LBB1258_1002:                          ;   in Loop: Header=BB1258_987 Depth=2
	s_or_b32 exec_lo, exec_lo, s17
	s_waitcnt vmcnt(8)
	v_dual_mov_b32 v63, s39 :: v_dual_mov_b32 v62, s38
	s_mov_b32 s17, exec_lo
	v_cmpx_gt_u32_e64 s43, v146
	s_cbranch_execz .LBB1258_1004
; %bb.1003:                             ;   in Loop: Header=BB1258_987 Depth=2
	global_load_b64 v[62:63], v[42:43], off offset:1536
.LBB1258_1004:                          ;   in Loop: Header=BB1258_987 Depth=2
	;; [unrolled: 9-line block ×10, first 2 shown]
	s_or_b32 exec_lo, exec_lo, s17
	v_cmp_gt_u32_e64 s20, s43, v155
	s_sub_i32 s17, s61, s34
	s_mov_b64 s[18:19], s[34:35]
.LBB1258_1021:                          ;   in Loop: Header=BB1258_987 Depth=2
	v_dual_mov_b32 v43, s39 :: v_dual_mov_b32 v42, s38
	v_mov_b32_e32 v177, s43
	s_and_saveexec_b32 s21, s20
	s_cbranch_execz .LBB1258_1023
; %bb.1022:                             ;   in Loop: Header=BB1258_987 Depth=2
	s_lshl_b64 s[18:19], s[18:19], 3
	v_mov_b32_e32 v177, s17
	v_add_co_u32 v42, vcc_lo, v159, s18
	v_add_co_ci_u32_e32 v43, vcc_lo, s19, v160, vcc_lo
	global_load_b64 v[42:43], v[42:43], off
.LBB1258_1023:                          ;   in Loop: Header=BB1258_987 Depth=2
	s_or_b32 exec_lo, exec_lo, s21
	s_waitcnt vmcnt(14)
	v_cmp_lt_i64_e32 vcc_lo, -1, v[36:37]
	v_ashrrev_i32_e32 v68, 31, v37
	ds_store_b32 v102, v3 offset:1056
	ds_store_2addr_b32 v103, v3, v3 offset0:1 offset1:2
	ds_store_2addr_b32 v103, v3, v3 offset0:3 offset1:4
	;; [unrolled: 1-line block ×4, first 2 shown]
	s_waitcnt vmcnt(0) lgkmcnt(0)
	s_barrier
	v_cndmask_b32_e64 v2, -1, 0x80000000, vcc_lo
	v_xor_b32_e32 v36, v68, v36
	buffer_gl0_inv
	; wave barrier
	v_xor_b32_e32 v37, v2, v37
	s_delay_alu instid0(VALU_DEP_1) | instskip(SKIP_2) | instid1(VALU_DEP_1)
	v_cmp_ne_u64_e32 vcc_lo, s[38:39], v[36:37]
	v_cndmask_b32_e32 v69, 0x80000000, v37, vcc_lo
	v_cndmask_b32_e32 v68, 0, v36, vcc_lo
	v_lshrrev_b64 v[68:69], s40, v[68:69]
	s_delay_alu instid0(VALU_DEP_1) | instskip(NEXT) | instid1(VALU_DEP_1)
	v_and_b32_e32 v69, s42, v68
	v_lshlrev_b32_e32 v71, 28, v69
	v_and_b32_e32 v2, 1, v69
	v_lshlrev_b32_e32 v68, 30, v69
	v_lshlrev_b32_e32 v70, 29, v69
	;; [unrolled: 1-line block ×4, first 2 shown]
	v_add_co_u32 v2, s17, v2, -1
	s_delay_alu instid0(VALU_DEP_1)
	v_cndmask_b32_e64 v72, 0, 1, s17
	v_not_b32_e32 v178, v68
	v_cmp_gt_i32_e64 s17, 0, v68
	v_not_b32_e32 v68, v70
	v_lshlrev_b32_e32 v75, 25, v69
	v_cmp_ne_u32_e32 vcc_lo, 0, v72
	v_ashrrev_i32_e32 v178, 31, v178
	v_lshlrev_b32_e32 v72, 24, v69
	v_ashrrev_i32_e32 v68, 31, v68
	v_mad_u32_u24 v69, v69, 9, v158
	v_xor_b32_e32 v2, vcc_lo, v2
	v_cmp_gt_i32_e32 vcc_lo, 0, v70
	v_not_b32_e32 v70, v71
	v_xor_b32_e32 v178, s17, v178
	v_cmp_gt_i32_e64 s17, 0, v71
	v_and_b32_e32 v2, exec_lo, v2
	v_not_b32_e32 v71, v73
	v_ashrrev_i32_e32 v70, 31, v70
	v_xor_b32_e32 v68, vcc_lo, v68
	v_cmp_gt_i32_e32 vcc_lo, 0, v73
	v_and_b32_e32 v2, v2, v178
	v_not_b32_e32 v73, v74
	v_ashrrev_i32_e32 v71, 31, v71
	v_xor_b32_e32 v70, s17, v70
	v_cmp_gt_i32_e64 s17, 0, v74
	v_and_b32_e32 v2, v2, v68
	v_not_b32_e32 v68, v75
	v_ashrrev_i32_e32 v73, 31, v73
	v_xor_b32_e32 v71, vcc_lo, v71
	v_cmp_gt_i32_e32 vcc_lo, 0, v75
	v_and_b32_e32 v2, v2, v70
	v_not_b32_e32 v70, v72
	v_ashrrev_i32_e32 v68, 31, v68
	v_xor_b32_e32 v73, s17, v73
	v_cmp_gt_i32_e64 s17, 0, v72
	v_and_b32_e32 v2, v2, v71
	v_ashrrev_i32_e32 v70, 31, v70
	v_xor_b32_e32 v68, vcc_lo, v68
	v_lshl_add_u32 v178, v69, 2, 0x420
	s_delay_alu instid0(VALU_DEP_4) | instskip(NEXT) | instid1(VALU_DEP_4)
	v_and_b32_e32 v2, v2, v73
	v_xor_b32_e32 v70, s17, v70
	s_delay_alu instid0(VALU_DEP_2) | instskip(NEXT) | instid1(VALU_DEP_1)
	v_and_b32_e32 v2, v2, v68
	v_and_b32_e32 v68, v2, v70
	s_delay_alu instid0(VALU_DEP_1) | instskip(SKIP_1) | instid1(VALU_DEP_2)
	v_mbcnt_lo_u32_b32 v2, v68, 0
	v_cmp_ne_u32_e64 s17, 0, v68
	v_cmp_eq_u32_e32 vcc_lo, 0, v2
	s_delay_alu instid0(VALU_DEP_2) | instskip(NEXT) | instid1(SALU_CYCLE_1)
	s_and_b32 s18, s17, vcc_lo
	s_and_saveexec_b32 s17, s18
	s_cbranch_execz .LBB1258_1025
; %bb.1024:                             ;   in Loop: Header=BB1258_987 Depth=2
	v_bcnt_u32_b32 v68, v68, 0
	ds_store_b32 v178, v68
.LBB1258_1025:                          ;   in Loop: Header=BB1258_987 Depth=2
	s_or_b32 exec_lo, exec_lo, s17
	v_cmp_lt_i64_e32 vcc_lo, -1, v[38:39]
	v_ashrrev_i32_e32 v69, 31, v39
	; wave barrier
	s_delay_alu instid0(VALU_DEP_1) | instskip(SKIP_1) | instid1(VALU_DEP_1)
	v_xor_b32_e32 v38, v69, v38
	v_cndmask_b32_e64 v68, -1, 0x80000000, vcc_lo
	v_xor_b32_e32 v39, v68, v39
	s_delay_alu instid0(VALU_DEP_1) | instskip(SKIP_2) | instid1(VALU_DEP_1)
	v_cmp_ne_u64_e32 vcc_lo, s[38:39], v[38:39]
	v_cndmask_b32_e32 v69, 0x80000000, v39, vcc_lo
	v_cndmask_b32_e32 v68, 0, v38, vcc_lo
	v_lshrrev_b64 v[68:69], s40, v[68:69]
	s_delay_alu instid0(VALU_DEP_1) | instskip(NEXT) | instid1(VALU_DEP_1)
	v_and_b32_e32 v68, s42, v68
	v_and_b32_e32 v69, 1, v68
	v_lshlrev_b32_e32 v70, 30, v68
	v_lshlrev_b32_e32 v71, 29, v68
	;; [unrolled: 1-line block ×4, first 2 shown]
	v_add_co_u32 v69, s17, v69, -1
	s_delay_alu instid0(VALU_DEP_1)
	v_cndmask_b32_e64 v73, 0, 1, s17
	v_not_b32_e32 v180, v70
	v_cmp_gt_i32_e64 s17, 0, v70
	v_not_b32_e32 v70, v71
	v_lshlrev_b32_e32 v75, 26, v68
	v_cmp_ne_u32_e32 vcc_lo, 0, v73
	v_ashrrev_i32_e32 v180, 31, v180
	v_lshlrev_b32_e32 v179, 25, v68
	v_ashrrev_i32_e32 v70, 31, v70
	v_lshlrev_b32_e32 v73, 24, v68
	v_xor_b32_e32 v69, vcc_lo, v69
	v_cmp_gt_i32_e32 vcc_lo, 0, v71
	v_not_b32_e32 v71, v72
	v_xor_b32_e32 v180, s17, v180
	v_cmp_gt_i32_e64 s17, 0, v72
	v_and_b32_e32 v69, exec_lo, v69
	v_not_b32_e32 v72, v74
	v_ashrrev_i32_e32 v71, 31, v71
	v_xor_b32_e32 v70, vcc_lo, v70
	v_cmp_gt_i32_e32 vcc_lo, 0, v74
	v_and_b32_e32 v69, v69, v180
	v_not_b32_e32 v74, v75
	v_ashrrev_i32_e32 v72, 31, v72
	v_xor_b32_e32 v71, s17, v71
	v_cmp_gt_i32_e64 s17, 0, v75
	v_and_b32_e32 v69, v69, v70
	v_not_b32_e32 v70, v179
	v_ashrrev_i32_e32 v74, 31, v74
	v_xor_b32_e32 v72, vcc_lo, v72
	v_cmp_gt_i32_e32 vcc_lo, 0, v179
	v_and_b32_e32 v69, v69, v71
	v_not_b32_e32 v71, v73
	v_ashrrev_i32_e32 v70, 31, v70
	v_xor_b32_e32 v74, s17, v74
	v_mul_u32_u24_e32 v68, 9, v68
	v_and_b32_e32 v69, v69, v72
	v_cmp_gt_i32_e64 s17, 0, v73
	v_ashrrev_i32_e32 v71, 31, v71
	v_xor_b32_e32 v70, vcc_lo, v70
	v_add_lshl_u32 v72, v68, v158, 2
	v_and_b32_e32 v69, v69, v74
	s_delay_alu instid0(VALU_DEP_4) | instskip(SKIP_3) | instid1(VALU_DEP_2)
	v_xor_b32_e32 v68, s17, v71
	ds_load_b32 v179, v72 offset:1056
	v_and_b32_e32 v69, v69, v70
	v_add_nc_u32_e32 v181, 0x420, v72
	; wave barrier
	v_and_b32_e32 v68, v69, v68
	s_delay_alu instid0(VALU_DEP_1) | instskip(SKIP_1) | instid1(VALU_DEP_2)
	v_mbcnt_lo_u32_b32 v180, v68, 0
	v_cmp_ne_u32_e64 s17, 0, v68
	v_cmp_eq_u32_e32 vcc_lo, 0, v180
	s_delay_alu instid0(VALU_DEP_2) | instskip(NEXT) | instid1(SALU_CYCLE_1)
	s_and_b32 s18, s17, vcc_lo
	s_and_saveexec_b32 s17, s18
	s_cbranch_execz .LBB1258_1027
; %bb.1026:                             ;   in Loop: Header=BB1258_987 Depth=2
	s_waitcnt lgkmcnt(0)
	v_bcnt_u32_b32 v68, v68, v179
	ds_store_b32 v181, v68
.LBB1258_1027:                          ;   in Loop: Header=BB1258_987 Depth=2
	s_or_b32 exec_lo, exec_lo, s17
	v_cmp_lt_i64_e32 vcc_lo, -1, v[44:45]
	v_ashrrev_i32_e32 v69, 31, v45
	; wave barrier
	s_delay_alu instid0(VALU_DEP_1) | instskip(SKIP_1) | instid1(VALU_DEP_1)
	v_xor_b32_e32 v44, v69, v44
	v_cndmask_b32_e64 v68, -1, 0x80000000, vcc_lo
	v_xor_b32_e32 v45, v68, v45
	s_delay_alu instid0(VALU_DEP_1) | instskip(SKIP_2) | instid1(VALU_DEP_1)
	v_cmp_ne_u64_e32 vcc_lo, s[38:39], v[44:45]
	v_cndmask_b32_e32 v69, 0x80000000, v45, vcc_lo
	v_cndmask_b32_e32 v68, 0, v44, vcc_lo
	v_lshrrev_b64 v[68:69], s40, v[68:69]
	s_delay_alu instid0(VALU_DEP_1) | instskip(NEXT) | instid1(VALU_DEP_1)
	v_and_b32_e32 v68, s42, v68
	v_and_b32_e32 v69, 1, v68
	v_lshlrev_b32_e32 v70, 30, v68
	v_lshlrev_b32_e32 v71, 29, v68
	;; [unrolled: 1-line block ×4, first 2 shown]
	v_add_co_u32 v69, s17, v69, -1
	s_delay_alu instid0(VALU_DEP_1)
	v_cndmask_b32_e64 v73, 0, 1, s17
	v_not_b32_e32 v183, v70
	v_cmp_gt_i32_e64 s17, 0, v70
	v_not_b32_e32 v70, v71
	v_lshlrev_b32_e32 v75, 26, v68
	v_cmp_ne_u32_e32 vcc_lo, 0, v73
	v_ashrrev_i32_e32 v183, 31, v183
	v_lshlrev_b32_e32 v182, 25, v68
	v_ashrrev_i32_e32 v70, 31, v70
	v_lshlrev_b32_e32 v73, 24, v68
	v_xor_b32_e32 v69, vcc_lo, v69
	v_cmp_gt_i32_e32 vcc_lo, 0, v71
	v_not_b32_e32 v71, v72
	v_xor_b32_e32 v183, s17, v183
	v_cmp_gt_i32_e64 s17, 0, v72
	v_and_b32_e32 v69, exec_lo, v69
	v_not_b32_e32 v72, v74
	v_ashrrev_i32_e32 v71, 31, v71
	v_xor_b32_e32 v70, vcc_lo, v70
	v_cmp_gt_i32_e32 vcc_lo, 0, v74
	v_and_b32_e32 v69, v69, v183
	v_not_b32_e32 v74, v75
	v_ashrrev_i32_e32 v72, 31, v72
	v_xor_b32_e32 v71, s17, v71
	v_cmp_gt_i32_e64 s17, 0, v75
	v_and_b32_e32 v69, v69, v70
	v_not_b32_e32 v70, v182
	v_ashrrev_i32_e32 v74, 31, v74
	v_xor_b32_e32 v72, vcc_lo, v72
	v_cmp_gt_i32_e32 vcc_lo, 0, v182
	v_and_b32_e32 v69, v69, v71
	v_not_b32_e32 v71, v73
	v_ashrrev_i32_e32 v70, 31, v70
	v_xor_b32_e32 v74, s17, v74
	v_mul_u32_u24_e32 v68, 9, v68
	v_and_b32_e32 v69, v69, v72
	v_cmp_gt_i32_e64 s17, 0, v73
	v_ashrrev_i32_e32 v71, 31, v71
	v_xor_b32_e32 v70, vcc_lo, v70
	v_add_lshl_u32 v72, v68, v158, 2
	v_and_b32_e32 v69, v69, v74
	s_delay_alu instid0(VALU_DEP_4) | instskip(SKIP_3) | instid1(VALU_DEP_2)
	v_xor_b32_e32 v68, s17, v71
	ds_load_b32 v182, v72 offset:1056
	v_and_b32_e32 v69, v69, v70
	v_add_nc_u32_e32 v184, 0x420, v72
	; wave barrier
	v_and_b32_e32 v68, v69, v68
	s_delay_alu instid0(VALU_DEP_1) | instskip(SKIP_1) | instid1(VALU_DEP_2)
	v_mbcnt_lo_u32_b32 v183, v68, 0
	v_cmp_ne_u32_e64 s17, 0, v68
	v_cmp_eq_u32_e32 vcc_lo, 0, v183
	s_delay_alu instid0(VALU_DEP_2) | instskip(NEXT) | instid1(SALU_CYCLE_1)
	s_and_b32 s18, s17, vcc_lo
	s_and_saveexec_b32 s17, s18
	s_cbranch_execz .LBB1258_1029
; %bb.1028:                             ;   in Loop: Header=BB1258_987 Depth=2
	s_waitcnt lgkmcnt(0)
	v_bcnt_u32_b32 v68, v68, v182
	ds_store_b32 v184, v68
.LBB1258_1029:                          ;   in Loop: Header=BB1258_987 Depth=2
	s_or_b32 exec_lo, exec_lo, s17
	v_cmp_lt_i64_e32 vcc_lo, -1, v[48:49]
	v_ashrrev_i32_e32 v69, 31, v49
	; wave barrier
	s_delay_alu instid0(VALU_DEP_1) | instskip(SKIP_1) | instid1(VALU_DEP_1)
	v_xor_b32_e32 v48, v69, v48
	v_cndmask_b32_e64 v68, -1, 0x80000000, vcc_lo
	v_xor_b32_e32 v49, v68, v49
	s_delay_alu instid0(VALU_DEP_1) | instskip(SKIP_2) | instid1(VALU_DEP_1)
	v_cmp_ne_u64_e32 vcc_lo, s[38:39], v[48:49]
	v_cndmask_b32_e32 v69, 0x80000000, v49, vcc_lo
	v_cndmask_b32_e32 v68, 0, v48, vcc_lo
	v_lshrrev_b64 v[68:69], s40, v[68:69]
	s_delay_alu instid0(VALU_DEP_1) | instskip(NEXT) | instid1(VALU_DEP_1)
	v_and_b32_e32 v68, s42, v68
	v_and_b32_e32 v69, 1, v68
	v_lshlrev_b32_e32 v70, 30, v68
	v_lshlrev_b32_e32 v71, 29, v68
	;; [unrolled: 1-line block ×4, first 2 shown]
	v_add_co_u32 v69, s17, v69, -1
	s_delay_alu instid0(VALU_DEP_1)
	v_cndmask_b32_e64 v73, 0, 1, s17
	v_not_b32_e32 v186, v70
	v_cmp_gt_i32_e64 s17, 0, v70
	v_not_b32_e32 v70, v71
	v_lshlrev_b32_e32 v75, 26, v68
	v_cmp_ne_u32_e32 vcc_lo, 0, v73
	v_ashrrev_i32_e32 v186, 31, v186
	v_lshlrev_b32_e32 v185, 25, v68
	v_ashrrev_i32_e32 v70, 31, v70
	v_lshlrev_b32_e32 v73, 24, v68
	v_xor_b32_e32 v69, vcc_lo, v69
	v_cmp_gt_i32_e32 vcc_lo, 0, v71
	v_not_b32_e32 v71, v72
	v_xor_b32_e32 v186, s17, v186
	v_cmp_gt_i32_e64 s17, 0, v72
	v_and_b32_e32 v69, exec_lo, v69
	v_not_b32_e32 v72, v74
	v_ashrrev_i32_e32 v71, 31, v71
	v_xor_b32_e32 v70, vcc_lo, v70
	v_cmp_gt_i32_e32 vcc_lo, 0, v74
	v_and_b32_e32 v69, v69, v186
	v_not_b32_e32 v74, v75
	v_ashrrev_i32_e32 v72, 31, v72
	v_xor_b32_e32 v71, s17, v71
	v_cmp_gt_i32_e64 s17, 0, v75
	v_and_b32_e32 v69, v69, v70
	v_not_b32_e32 v70, v185
	v_ashrrev_i32_e32 v74, 31, v74
	v_xor_b32_e32 v72, vcc_lo, v72
	v_cmp_gt_i32_e32 vcc_lo, 0, v185
	v_and_b32_e32 v69, v69, v71
	v_not_b32_e32 v71, v73
	v_ashrrev_i32_e32 v70, 31, v70
	v_xor_b32_e32 v74, s17, v74
	v_mul_u32_u24_e32 v68, 9, v68
	v_and_b32_e32 v69, v69, v72
	v_cmp_gt_i32_e64 s17, 0, v73
	v_ashrrev_i32_e32 v71, 31, v71
	v_xor_b32_e32 v70, vcc_lo, v70
	v_add_lshl_u32 v72, v68, v158, 2
	v_and_b32_e32 v69, v69, v74
	s_delay_alu instid0(VALU_DEP_4) | instskip(SKIP_3) | instid1(VALU_DEP_2)
	v_xor_b32_e32 v68, s17, v71
	ds_load_b32 v185, v72 offset:1056
	v_and_b32_e32 v69, v69, v70
	v_add_nc_u32_e32 v187, 0x420, v72
	; wave barrier
	v_and_b32_e32 v68, v69, v68
	s_delay_alu instid0(VALU_DEP_1) | instskip(SKIP_1) | instid1(VALU_DEP_2)
	v_mbcnt_lo_u32_b32 v186, v68, 0
	v_cmp_ne_u32_e64 s17, 0, v68
	v_cmp_eq_u32_e32 vcc_lo, 0, v186
	s_delay_alu instid0(VALU_DEP_2) | instskip(NEXT) | instid1(SALU_CYCLE_1)
	s_and_b32 s18, s17, vcc_lo
	s_and_saveexec_b32 s17, s18
	s_cbranch_execz .LBB1258_1031
; %bb.1030:                             ;   in Loop: Header=BB1258_987 Depth=2
	s_waitcnt lgkmcnt(0)
	v_bcnt_u32_b32 v68, v68, v185
	ds_store_b32 v187, v68
.LBB1258_1031:                          ;   in Loop: Header=BB1258_987 Depth=2
	s_or_b32 exec_lo, exec_lo, s17
	v_cmp_lt_i64_e32 vcc_lo, -1, v[52:53]
	v_ashrrev_i32_e32 v69, 31, v53
	; wave barrier
	s_delay_alu instid0(VALU_DEP_1) | instskip(SKIP_1) | instid1(VALU_DEP_1)
	v_xor_b32_e32 v52, v69, v52
	v_cndmask_b32_e64 v68, -1, 0x80000000, vcc_lo
	v_xor_b32_e32 v53, v68, v53
	s_delay_alu instid0(VALU_DEP_1) | instskip(SKIP_2) | instid1(VALU_DEP_1)
	v_cmp_ne_u64_e32 vcc_lo, s[38:39], v[52:53]
	v_cndmask_b32_e32 v69, 0x80000000, v53, vcc_lo
	v_cndmask_b32_e32 v68, 0, v52, vcc_lo
	v_lshrrev_b64 v[68:69], s40, v[68:69]
	s_delay_alu instid0(VALU_DEP_1) | instskip(NEXT) | instid1(VALU_DEP_1)
	v_and_b32_e32 v68, s42, v68
	v_and_b32_e32 v69, 1, v68
	v_lshlrev_b32_e32 v70, 30, v68
	v_lshlrev_b32_e32 v71, 29, v68
	;; [unrolled: 1-line block ×4, first 2 shown]
	v_add_co_u32 v69, s17, v69, -1
	s_delay_alu instid0(VALU_DEP_1)
	v_cndmask_b32_e64 v73, 0, 1, s17
	v_not_b32_e32 v189, v70
	v_cmp_gt_i32_e64 s17, 0, v70
	v_not_b32_e32 v70, v71
	v_lshlrev_b32_e32 v75, 26, v68
	v_cmp_ne_u32_e32 vcc_lo, 0, v73
	v_ashrrev_i32_e32 v189, 31, v189
	v_lshlrev_b32_e32 v188, 25, v68
	v_ashrrev_i32_e32 v70, 31, v70
	v_lshlrev_b32_e32 v73, 24, v68
	v_xor_b32_e32 v69, vcc_lo, v69
	v_cmp_gt_i32_e32 vcc_lo, 0, v71
	v_not_b32_e32 v71, v72
	v_xor_b32_e32 v189, s17, v189
	v_cmp_gt_i32_e64 s17, 0, v72
	v_and_b32_e32 v69, exec_lo, v69
	v_not_b32_e32 v72, v74
	v_ashrrev_i32_e32 v71, 31, v71
	v_xor_b32_e32 v70, vcc_lo, v70
	v_cmp_gt_i32_e32 vcc_lo, 0, v74
	v_and_b32_e32 v69, v69, v189
	v_not_b32_e32 v74, v75
	v_ashrrev_i32_e32 v72, 31, v72
	v_xor_b32_e32 v71, s17, v71
	v_cmp_gt_i32_e64 s17, 0, v75
	v_and_b32_e32 v69, v69, v70
	v_not_b32_e32 v70, v188
	v_ashrrev_i32_e32 v74, 31, v74
	v_xor_b32_e32 v72, vcc_lo, v72
	v_cmp_gt_i32_e32 vcc_lo, 0, v188
	v_and_b32_e32 v69, v69, v71
	v_not_b32_e32 v71, v73
	v_ashrrev_i32_e32 v70, 31, v70
	v_xor_b32_e32 v74, s17, v74
	v_mul_u32_u24_e32 v68, 9, v68
	v_and_b32_e32 v69, v69, v72
	v_cmp_gt_i32_e64 s17, 0, v73
	v_ashrrev_i32_e32 v71, 31, v71
	v_xor_b32_e32 v70, vcc_lo, v70
	v_add_lshl_u32 v72, v68, v158, 2
	v_and_b32_e32 v69, v69, v74
	s_delay_alu instid0(VALU_DEP_4) | instskip(SKIP_3) | instid1(VALU_DEP_2)
	v_xor_b32_e32 v68, s17, v71
	ds_load_b32 v188, v72 offset:1056
	v_and_b32_e32 v69, v69, v70
	v_add_nc_u32_e32 v190, 0x420, v72
	; wave barrier
	v_and_b32_e32 v68, v69, v68
	s_delay_alu instid0(VALU_DEP_1) | instskip(SKIP_1) | instid1(VALU_DEP_2)
	v_mbcnt_lo_u32_b32 v189, v68, 0
	v_cmp_ne_u32_e64 s17, 0, v68
	v_cmp_eq_u32_e32 vcc_lo, 0, v189
	s_delay_alu instid0(VALU_DEP_2) | instskip(NEXT) | instid1(SALU_CYCLE_1)
	s_and_b32 s18, s17, vcc_lo
	s_and_saveexec_b32 s17, s18
	s_cbranch_execz .LBB1258_1033
; %bb.1032:                             ;   in Loop: Header=BB1258_987 Depth=2
	s_waitcnt lgkmcnt(0)
	v_bcnt_u32_b32 v68, v68, v188
	ds_store_b32 v190, v68
.LBB1258_1033:                          ;   in Loop: Header=BB1258_987 Depth=2
	s_or_b32 exec_lo, exec_lo, s17
	v_cmp_lt_i64_e32 vcc_lo, -1, v[58:59]
	v_ashrrev_i32_e32 v69, 31, v59
	; wave barrier
	s_delay_alu instid0(VALU_DEP_1) | instskip(SKIP_1) | instid1(VALU_DEP_1)
	v_xor_b32_e32 v58, v69, v58
	v_cndmask_b32_e64 v68, -1, 0x80000000, vcc_lo
	v_xor_b32_e32 v59, v68, v59
	s_delay_alu instid0(VALU_DEP_1) | instskip(SKIP_2) | instid1(VALU_DEP_1)
	v_cmp_ne_u64_e32 vcc_lo, s[38:39], v[58:59]
	v_cndmask_b32_e32 v69, 0x80000000, v59, vcc_lo
	v_cndmask_b32_e32 v68, 0, v58, vcc_lo
	v_lshrrev_b64 v[68:69], s40, v[68:69]
	s_delay_alu instid0(VALU_DEP_1) | instskip(NEXT) | instid1(VALU_DEP_1)
	v_and_b32_e32 v68, s42, v68
	v_and_b32_e32 v69, 1, v68
	v_lshlrev_b32_e32 v70, 30, v68
	v_lshlrev_b32_e32 v71, 29, v68
	;; [unrolled: 1-line block ×4, first 2 shown]
	v_add_co_u32 v69, s17, v69, -1
	s_delay_alu instid0(VALU_DEP_1)
	v_cndmask_b32_e64 v73, 0, 1, s17
	v_not_b32_e32 v192, v70
	v_cmp_gt_i32_e64 s17, 0, v70
	v_not_b32_e32 v70, v71
	v_lshlrev_b32_e32 v75, 26, v68
	v_cmp_ne_u32_e32 vcc_lo, 0, v73
	v_ashrrev_i32_e32 v192, 31, v192
	v_lshlrev_b32_e32 v191, 25, v68
	v_ashrrev_i32_e32 v70, 31, v70
	v_lshlrev_b32_e32 v73, 24, v68
	v_xor_b32_e32 v69, vcc_lo, v69
	v_cmp_gt_i32_e32 vcc_lo, 0, v71
	v_not_b32_e32 v71, v72
	v_xor_b32_e32 v192, s17, v192
	v_cmp_gt_i32_e64 s17, 0, v72
	v_and_b32_e32 v69, exec_lo, v69
	v_not_b32_e32 v72, v74
	v_ashrrev_i32_e32 v71, 31, v71
	v_xor_b32_e32 v70, vcc_lo, v70
	v_cmp_gt_i32_e32 vcc_lo, 0, v74
	v_and_b32_e32 v69, v69, v192
	v_not_b32_e32 v74, v75
	v_ashrrev_i32_e32 v72, 31, v72
	v_xor_b32_e32 v71, s17, v71
	v_cmp_gt_i32_e64 s17, 0, v75
	v_and_b32_e32 v69, v69, v70
	v_not_b32_e32 v70, v191
	v_ashrrev_i32_e32 v74, 31, v74
	v_xor_b32_e32 v72, vcc_lo, v72
	v_cmp_gt_i32_e32 vcc_lo, 0, v191
	v_and_b32_e32 v69, v69, v71
	v_not_b32_e32 v71, v73
	v_ashrrev_i32_e32 v70, 31, v70
	v_xor_b32_e32 v74, s17, v74
	v_mul_u32_u24_e32 v68, 9, v68
	v_and_b32_e32 v69, v69, v72
	v_cmp_gt_i32_e64 s17, 0, v73
	v_ashrrev_i32_e32 v71, 31, v71
	v_xor_b32_e32 v70, vcc_lo, v70
	v_add_lshl_u32 v72, v68, v158, 2
	v_and_b32_e32 v69, v69, v74
	s_delay_alu instid0(VALU_DEP_4) | instskip(SKIP_3) | instid1(VALU_DEP_2)
	v_xor_b32_e32 v68, s17, v71
	ds_load_b32 v191, v72 offset:1056
	v_and_b32_e32 v69, v69, v70
	v_add_nc_u32_e32 v193, 0x420, v72
	; wave barrier
	v_and_b32_e32 v68, v69, v68
	s_delay_alu instid0(VALU_DEP_1) | instskip(SKIP_1) | instid1(VALU_DEP_2)
	v_mbcnt_lo_u32_b32 v192, v68, 0
	v_cmp_ne_u32_e64 s17, 0, v68
	v_cmp_eq_u32_e32 vcc_lo, 0, v192
	s_delay_alu instid0(VALU_DEP_2) | instskip(NEXT) | instid1(SALU_CYCLE_1)
	s_and_b32 s18, s17, vcc_lo
	s_and_saveexec_b32 s17, s18
	s_cbranch_execz .LBB1258_1035
; %bb.1034:                             ;   in Loop: Header=BB1258_987 Depth=2
	s_waitcnt lgkmcnt(0)
	v_bcnt_u32_b32 v68, v68, v191
	ds_store_b32 v193, v68
.LBB1258_1035:                          ;   in Loop: Header=BB1258_987 Depth=2
	s_or_b32 exec_lo, exec_lo, s17
	v_cmp_lt_i64_e32 vcc_lo, -1, v[62:63]
	v_ashrrev_i32_e32 v69, 31, v63
	; wave barrier
	s_delay_alu instid0(VALU_DEP_1) | instskip(SKIP_1) | instid1(VALU_DEP_1)
	v_xor_b32_e32 v62, v69, v62
	v_cndmask_b32_e64 v68, -1, 0x80000000, vcc_lo
	v_xor_b32_e32 v63, v68, v63
	s_delay_alu instid0(VALU_DEP_1) | instskip(SKIP_2) | instid1(VALU_DEP_1)
	v_cmp_ne_u64_e32 vcc_lo, s[38:39], v[62:63]
	v_cndmask_b32_e32 v69, 0x80000000, v63, vcc_lo
	v_cndmask_b32_e32 v68, 0, v62, vcc_lo
	v_lshrrev_b64 v[68:69], s40, v[68:69]
	s_delay_alu instid0(VALU_DEP_1) | instskip(NEXT) | instid1(VALU_DEP_1)
	v_and_b32_e32 v68, s42, v68
	v_and_b32_e32 v69, 1, v68
	v_lshlrev_b32_e32 v70, 30, v68
	v_lshlrev_b32_e32 v71, 29, v68
	;; [unrolled: 1-line block ×4, first 2 shown]
	v_add_co_u32 v69, s17, v69, -1
	s_delay_alu instid0(VALU_DEP_1)
	v_cndmask_b32_e64 v73, 0, 1, s17
	v_not_b32_e32 v195, v70
	v_cmp_gt_i32_e64 s17, 0, v70
	v_not_b32_e32 v70, v71
	v_lshlrev_b32_e32 v75, 26, v68
	v_cmp_ne_u32_e32 vcc_lo, 0, v73
	v_ashrrev_i32_e32 v195, 31, v195
	v_lshlrev_b32_e32 v194, 25, v68
	v_ashrrev_i32_e32 v70, 31, v70
	v_lshlrev_b32_e32 v73, 24, v68
	v_xor_b32_e32 v69, vcc_lo, v69
	v_cmp_gt_i32_e32 vcc_lo, 0, v71
	v_not_b32_e32 v71, v72
	v_xor_b32_e32 v195, s17, v195
	v_cmp_gt_i32_e64 s17, 0, v72
	v_and_b32_e32 v69, exec_lo, v69
	v_not_b32_e32 v72, v74
	v_ashrrev_i32_e32 v71, 31, v71
	v_xor_b32_e32 v70, vcc_lo, v70
	v_cmp_gt_i32_e32 vcc_lo, 0, v74
	v_and_b32_e32 v69, v69, v195
	v_not_b32_e32 v74, v75
	v_ashrrev_i32_e32 v72, 31, v72
	v_xor_b32_e32 v71, s17, v71
	v_cmp_gt_i32_e64 s17, 0, v75
	v_and_b32_e32 v69, v69, v70
	v_not_b32_e32 v70, v194
	v_ashrrev_i32_e32 v74, 31, v74
	v_xor_b32_e32 v72, vcc_lo, v72
	v_cmp_gt_i32_e32 vcc_lo, 0, v194
	v_and_b32_e32 v69, v69, v71
	v_not_b32_e32 v71, v73
	v_ashrrev_i32_e32 v70, 31, v70
	v_xor_b32_e32 v74, s17, v74
	v_mul_u32_u24_e32 v68, 9, v68
	v_and_b32_e32 v69, v69, v72
	v_cmp_gt_i32_e64 s17, 0, v73
	v_ashrrev_i32_e32 v71, 31, v71
	v_xor_b32_e32 v70, vcc_lo, v70
	v_add_lshl_u32 v72, v68, v158, 2
	v_and_b32_e32 v69, v69, v74
	s_delay_alu instid0(VALU_DEP_4) | instskip(SKIP_3) | instid1(VALU_DEP_2)
	v_xor_b32_e32 v68, s17, v71
	ds_load_b32 v194, v72 offset:1056
	v_and_b32_e32 v69, v69, v70
	v_add_nc_u32_e32 v196, 0x420, v72
	; wave barrier
	v_and_b32_e32 v68, v69, v68
	s_delay_alu instid0(VALU_DEP_1) | instskip(SKIP_1) | instid1(VALU_DEP_2)
	v_mbcnt_lo_u32_b32 v195, v68, 0
	v_cmp_ne_u32_e64 s17, 0, v68
	v_cmp_eq_u32_e32 vcc_lo, 0, v195
	s_delay_alu instid0(VALU_DEP_2) | instskip(NEXT) | instid1(SALU_CYCLE_1)
	s_and_b32 s18, s17, vcc_lo
	s_and_saveexec_b32 s17, s18
	s_cbranch_execz .LBB1258_1037
; %bb.1036:                             ;   in Loop: Header=BB1258_987 Depth=2
	s_waitcnt lgkmcnt(0)
	v_bcnt_u32_b32 v68, v68, v194
	ds_store_b32 v196, v68
.LBB1258_1037:                          ;   in Loop: Header=BB1258_987 Depth=2
	s_or_b32 exec_lo, exec_lo, s17
	v_cmp_lt_i64_e32 vcc_lo, -1, v[66:67]
	v_ashrrev_i32_e32 v69, 31, v67
	; wave barrier
	s_delay_alu instid0(VALU_DEP_1) | instskip(SKIP_1) | instid1(VALU_DEP_1)
	v_xor_b32_e32 v66, v69, v66
	v_cndmask_b32_e64 v68, -1, 0x80000000, vcc_lo
	v_xor_b32_e32 v67, v68, v67
	s_delay_alu instid0(VALU_DEP_1) | instskip(SKIP_2) | instid1(VALU_DEP_1)
	v_cmp_ne_u64_e32 vcc_lo, s[38:39], v[66:67]
	v_cndmask_b32_e32 v69, 0x80000000, v67, vcc_lo
	v_cndmask_b32_e32 v68, 0, v66, vcc_lo
	v_lshrrev_b64 v[68:69], s40, v[68:69]
	s_delay_alu instid0(VALU_DEP_1) | instskip(NEXT) | instid1(VALU_DEP_1)
	v_and_b32_e32 v68, s42, v68
	v_and_b32_e32 v69, 1, v68
	v_lshlrev_b32_e32 v70, 30, v68
	v_lshlrev_b32_e32 v71, 29, v68
	;; [unrolled: 1-line block ×4, first 2 shown]
	v_add_co_u32 v69, s17, v69, -1
	s_delay_alu instid0(VALU_DEP_1)
	v_cndmask_b32_e64 v73, 0, 1, s17
	v_not_b32_e32 v198, v70
	v_cmp_gt_i32_e64 s17, 0, v70
	v_not_b32_e32 v70, v71
	v_lshlrev_b32_e32 v75, 26, v68
	v_cmp_ne_u32_e32 vcc_lo, 0, v73
	v_ashrrev_i32_e32 v198, 31, v198
	v_lshlrev_b32_e32 v197, 25, v68
	v_ashrrev_i32_e32 v70, 31, v70
	v_lshlrev_b32_e32 v73, 24, v68
	v_xor_b32_e32 v69, vcc_lo, v69
	v_cmp_gt_i32_e32 vcc_lo, 0, v71
	v_not_b32_e32 v71, v72
	v_xor_b32_e32 v198, s17, v198
	v_cmp_gt_i32_e64 s17, 0, v72
	v_and_b32_e32 v69, exec_lo, v69
	v_not_b32_e32 v72, v74
	v_ashrrev_i32_e32 v71, 31, v71
	v_xor_b32_e32 v70, vcc_lo, v70
	v_cmp_gt_i32_e32 vcc_lo, 0, v74
	v_and_b32_e32 v69, v69, v198
	v_not_b32_e32 v74, v75
	v_ashrrev_i32_e32 v72, 31, v72
	v_xor_b32_e32 v71, s17, v71
	v_cmp_gt_i32_e64 s17, 0, v75
	v_and_b32_e32 v69, v69, v70
	v_not_b32_e32 v70, v197
	v_ashrrev_i32_e32 v74, 31, v74
	v_xor_b32_e32 v72, vcc_lo, v72
	v_cmp_gt_i32_e32 vcc_lo, 0, v197
	v_and_b32_e32 v69, v69, v71
	v_not_b32_e32 v71, v73
	v_ashrrev_i32_e32 v70, 31, v70
	v_xor_b32_e32 v74, s17, v74
	v_mul_u32_u24_e32 v68, 9, v68
	v_and_b32_e32 v69, v69, v72
	v_cmp_gt_i32_e64 s17, 0, v73
	v_ashrrev_i32_e32 v71, 31, v71
	v_xor_b32_e32 v70, vcc_lo, v70
	v_add_lshl_u32 v72, v68, v158, 2
	v_and_b32_e32 v69, v69, v74
	s_delay_alu instid0(VALU_DEP_4) | instskip(SKIP_3) | instid1(VALU_DEP_2)
	v_xor_b32_e32 v68, s17, v71
	ds_load_b32 v197, v72 offset:1056
	v_and_b32_e32 v69, v69, v70
	v_add_nc_u32_e32 v199, 0x420, v72
	; wave barrier
	v_and_b32_e32 v68, v69, v68
	s_delay_alu instid0(VALU_DEP_1) | instskip(SKIP_1) | instid1(VALU_DEP_2)
	v_mbcnt_lo_u32_b32 v198, v68, 0
	v_cmp_ne_u32_e64 s17, 0, v68
	v_cmp_eq_u32_e32 vcc_lo, 0, v198
	s_delay_alu instid0(VALU_DEP_2) | instskip(NEXT) | instid1(SALU_CYCLE_1)
	s_and_b32 s18, s17, vcc_lo
	s_and_saveexec_b32 s17, s18
	s_cbranch_execz .LBB1258_1039
; %bb.1038:                             ;   in Loop: Header=BB1258_987 Depth=2
	s_waitcnt lgkmcnt(0)
	v_bcnt_u32_b32 v68, v68, v197
	ds_store_b32 v199, v68
.LBB1258_1039:                          ;   in Loop: Header=BB1258_987 Depth=2
	s_or_b32 exec_lo, exec_lo, s17
	v_cmp_lt_i64_e32 vcc_lo, -1, v[64:65]
	v_ashrrev_i32_e32 v69, 31, v65
	; wave barrier
	s_delay_alu instid0(VALU_DEP_1) | instskip(SKIP_1) | instid1(VALU_DEP_1)
	v_xor_b32_e32 v64, v69, v64
	v_cndmask_b32_e64 v68, -1, 0x80000000, vcc_lo
	v_xor_b32_e32 v65, v68, v65
	s_delay_alu instid0(VALU_DEP_1) | instskip(SKIP_2) | instid1(VALU_DEP_1)
	v_cmp_ne_u64_e32 vcc_lo, s[38:39], v[64:65]
	v_cndmask_b32_e32 v69, 0x80000000, v65, vcc_lo
	v_cndmask_b32_e32 v68, 0, v64, vcc_lo
	v_lshrrev_b64 v[68:69], s40, v[68:69]
	s_delay_alu instid0(VALU_DEP_1) | instskip(NEXT) | instid1(VALU_DEP_1)
	v_and_b32_e32 v68, s42, v68
	v_and_b32_e32 v69, 1, v68
	v_lshlrev_b32_e32 v70, 30, v68
	v_lshlrev_b32_e32 v71, 29, v68
	;; [unrolled: 1-line block ×4, first 2 shown]
	v_add_co_u32 v69, s17, v69, -1
	s_delay_alu instid0(VALU_DEP_1)
	v_cndmask_b32_e64 v73, 0, 1, s17
	v_not_b32_e32 v201, v70
	v_cmp_gt_i32_e64 s17, 0, v70
	v_not_b32_e32 v70, v71
	v_lshlrev_b32_e32 v75, 26, v68
	v_cmp_ne_u32_e32 vcc_lo, 0, v73
	v_ashrrev_i32_e32 v201, 31, v201
	v_lshlrev_b32_e32 v200, 25, v68
	v_ashrrev_i32_e32 v70, 31, v70
	v_lshlrev_b32_e32 v73, 24, v68
	v_xor_b32_e32 v69, vcc_lo, v69
	v_cmp_gt_i32_e32 vcc_lo, 0, v71
	v_not_b32_e32 v71, v72
	v_xor_b32_e32 v201, s17, v201
	v_cmp_gt_i32_e64 s17, 0, v72
	v_and_b32_e32 v69, exec_lo, v69
	v_not_b32_e32 v72, v74
	v_ashrrev_i32_e32 v71, 31, v71
	v_xor_b32_e32 v70, vcc_lo, v70
	v_cmp_gt_i32_e32 vcc_lo, 0, v74
	v_and_b32_e32 v69, v69, v201
	v_not_b32_e32 v74, v75
	v_ashrrev_i32_e32 v72, 31, v72
	v_xor_b32_e32 v71, s17, v71
	v_cmp_gt_i32_e64 s17, 0, v75
	v_and_b32_e32 v69, v69, v70
	v_not_b32_e32 v70, v200
	v_ashrrev_i32_e32 v74, 31, v74
	v_xor_b32_e32 v72, vcc_lo, v72
	v_cmp_gt_i32_e32 vcc_lo, 0, v200
	v_and_b32_e32 v69, v69, v71
	v_not_b32_e32 v71, v73
	v_ashrrev_i32_e32 v70, 31, v70
	v_xor_b32_e32 v74, s17, v74
	v_mul_u32_u24_e32 v68, 9, v68
	v_and_b32_e32 v69, v69, v72
	v_cmp_gt_i32_e64 s17, 0, v73
	v_ashrrev_i32_e32 v71, 31, v71
	v_xor_b32_e32 v70, vcc_lo, v70
	v_add_lshl_u32 v72, v68, v158, 2
	v_and_b32_e32 v69, v69, v74
	s_delay_alu instid0(VALU_DEP_4) | instskip(SKIP_3) | instid1(VALU_DEP_2)
	v_xor_b32_e32 v68, s17, v71
	ds_load_b32 v200, v72 offset:1056
	v_and_b32_e32 v69, v69, v70
	v_add_nc_u32_e32 v202, 0x420, v72
	; wave barrier
	v_and_b32_e32 v68, v69, v68
	s_delay_alu instid0(VALU_DEP_1) | instskip(SKIP_1) | instid1(VALU_DEP_2)
	v_mbcnt_lo_u32_b32 v201, v68, 0
	v_cmp_ne_u32_e64 s17, 0, v68
	v_cmp_eq_u32_e32 vcc_lo, 0, v201
	s_delay_alu instid0(VALU_DEP_2) | instskip(NEXT) | instid1(SALU_CYCLE_1)
	s_and_b32 s18, s17, vcc_lo
	s_and_saveexec_b32 s17, s18
	s_cbranch_execz .LBB1258_1041
; %bb.1040:                             ;   in Loop: Header=BB1258_987 Depth=2
	s_waitcnt lgkmcnt(0)
	v_bcnt_u32_b32 v68, v68, v200
	ds_store_b32 v202, v68
.LBB1258_1041:                          ;   in Loop: Header=BB1258_987 Depth=2
	s_or_b32 exec_lo, exec_lo, s17
	v_cmp_lt_i64_e32 vcc_lo, -1, v[60:61]
	v_ashrrev_i32_e32 v69, 31, v61
	; wave barrier
	s_delay_alu instid0(VALU_DEP_1) | instskip(SKIP_1) | instid1(VALU_DEP_1)
	v_xor_b32_e32 v60, v69, v60
	v_cndmask_b32_e64 v68, -1, 0x80000000, vcc_lo
	v_xor_b32_e32 v61, v68, v61
	s_delay_alu instid0(VALU_DEP_1) | instskip(SKIP_2) | instid1(VALU_DEP_1)
	v_cmp_ne_u64_e32 vcc_lo, s[38:39], v[60:61]
	v_cndmask_b32_e32 v69, 0x80000000, v61, vcc_lo
	v_cndmask_b32_e32 v68, 0, v60, vcc_lo
	v_lshrrev_b64 v[68:69], s40, v[68:69]
	s_delay_alu instid0(VALU_DEP_1) | instskip(NEXT) | instid1(VALU_DEP_1)
	v_and_b32_e32 v68, s42, v68
	v_and_b32_e32 v69, 1, v68
	v_lshlrev_b32_e32 v70, 30, v68
	v_lshlrev_b32_e32 v71, 29, v68
	;; [unrolled: 1-line block ×4, first 2 shown]
	v_add_co_u32 v69, s17, v69, -1
	s_delay_alu instid0(VALU_DEP_1)
	v_cndmask_b32_e64 v73, 0, 1, s17
	v_not_b32_e32 v204, v70
	v_cmp_gt_i32_e64 s17, 0, v70
	v_not_b32_e32 v70, v71
	v_lshlrev_b32_e32 v75, 26, v68
	v_cmp_ne_u32_e32 vcc_lo, 0, v73
	v_ashrrev_i32_e32 v204, 31, v204
	v_lshlrev_b32_e32 v203, 25, v68
	v_ashrrev_i32_e32 v70, 31, v70
	v_lshlrev_b32_e32 v73, 24, v68
	v_xor_b32_e32 v69, vcc_lo, v69
	v_cmp_gt_i32_e32 vcc_lo, 0, v71
	v_not_b32_e32 v71, v72
	v_xor_b32_e32 v204, s17, v204
	v_cmp_gt_i32_e64 s17, 0, v72
	v_and_b32_e32 v69, exec_lo, v69
	v_not_b32_e32 v72, v74
	v_ashrrev_i32_e32 v71, 31, v71
	v_xor_b32_e32 v70, vcc_lo, v70
	v_cmp_gt_i32_e32 vcc_lo, 0, v74
	v_and_b32_e32 v69, v69, v204
	v_not_b32_e32 v74, v75
	v_ashrrev_i32_e32 v72, 31, v72
	v_xor_b32_e32 v71, s17, v71
	v_cmp_gt_i32_e64 s17, 0, v75
	v_and_b32_e32 v69, v69, v70
	v_not_b32_e32 v70, v203
	v_ashrrev_i32_e32 v74, 31, v74
	v_xor_b32_e32 v72, vcc_lo, v72
	v_cmp_gt_i32_e32 vcc_lo, 0, v203
	v_and_b32_e32 v69, v69, v71
	v_not_b32_e32 v71, v73
	v_ashrrev_i32_e32 v70, 31, v70
	v_xor_b32_e32 v74, s17, v74
	v_mul_u32_u24_e32 v68, 9, v68
	v_and_b32_e32 v69, v69, v72
	v_cmp_gt_i32_e64 s17, 0, v73
	v_ashrrev_i32_e32 v71, 31, v71
	v_xor_b32_e32 v70, vcc_lo, v70
	v_add_lshl_u32 v72, v68, v158, 2
	v_and_b32_e32 v69, v69, v74
	s_delay_alu instid0(VALU_DEP_4) | instskip(SKIP_3) | instid1(VALU_DEP_2)
	v_xor_b32_e32 v68, s17, v71
	ds_load_b32 v203, v72 offset:1056
	v_and_b32_e32 v69, v69, v70
	v_add_nc_u32_e32 v205, 0x420, v72
	; wave barrier
	v_and_b32_e32 v68, v69, v68
	s_delay_alu instid0(VALU_DEP_1) | instskip(SKIP_1) | instid1(VALU_DEP_2)
	v_mbcnt_lo_u32_b32 v204, v68, 0
	v_cmp_ne_u32_e64 s17, 0, v68
	v_cmp_eq_u32_e32 vcc_lo, 0, v204
	s_delay_alu instid0(VALU_DEP_2) | instskip(NEXT) | instid1(SALU_CYCLE_1)
	s_and_b32 s18, s17, vcc_lo
	s_and_saveexec_b32 s17, s18
	s_cbranch_execz .LBB1258_1043
; %bb.1042:                             ;   in Loop: Header=BB1258_987 Depth=2
	s_waitcnt lgkmcnt(0)
	v_bcnt_u32_b32 v68, v68, v203
	ds_store_b32 v205, v68
.LBB1258_1043:                          ;   in Loop: Header=BB1258_987 Depth=2
	s_or_b32 exec_lo, exec_lo, s17
	v_cmp_lt_i64_e32 vcc_lo, -1, v[56:57]
	v_ashrrev_i32_e32 v69, 31, v57
	; wave barrier
	s_delay_alu instid0(VALU_DEP_1) | instskip(SKIP_1) | instid1(VALU_DEP_1)
	v_xor_b32_e32 v56, v69, v56
	v_cndmask_b32_e64 v68, -1, 0x80000000, vcc_lo
	v_xor_b32_e32 v57, v68, v57
	s_delay_alu instid0(VALU_DEP_1) | instskip(SKIP_2) | instid1(VALU_DEP_1)
	v_cmp_ne_u64_e32 vcc_lo, s[38:39], v[56:57]
	v_cndmask_b32_e32 v69, 0x80000000, v57, vcc_lo
	v_cndmask_b32_e32 v68, 0, v56, vcc_lo
	v_lshrrev_b64 v[68:69], s40, v[68:69]
	s_delay_alu instid0(VALU_DEP_1) | instskip(NEXT) | instid1(VALU_DEP_1)
	v_and_b32_e32 v68, s42, v68
	v_and_b32_e32 v69, 1, v68
	v_lshlrev_b32_e32 v70, 30, v68
	v_lshlrev_b32_e32 v71, 29, v68
	v_lshlrev_b32_e32 v72, 28, v68
	v_lshlrev_b32_e32 v74, 27, v68
	v_add_co_u32 v69, s17, v69, -1
	s_delay_alu instid0(VALU_DEP_1)
	v_cndmask_b32_e64 v73, 0, 1, s17
	v_not_b32_e32 v207, v70
	v_cmp_gt_i32_e64 s17, 0, v70
	v_not_b32_e32 v70, v71
	v_lshlrev_b32_e32 v75, 26, v68
	v_cmp_ne_u32_e32 vcc_lo, 0, v73
	v_ashrrev_i32_e32 v207, 31, v207
	v_lshlrev_b32_e32 v206, 25, v68
	v_ashrrev_i32_e32 v70, 31, v70
	v_lshlrev_b32_e32 v73, 24, v68
	v_xor_b32_e32 v69, vcc_lo, v69
	v_cmp_gt_i32_e32 vcc_lo, 0, v71
	v_not_b32_e32 v71, v72
	v_xor_b32_e32 v207, s17, v207
	v_cmp_gt_i32_e64 s17, 0, v72
	v_and_b32_e32 v69, exec_lo, v69
	v_not_b32_e32 v72, v74
	v_ashrrev_i32_e32 v71, 31, v71
	v_xor_b32_e32 v70, vcc_lo, v70
	v_cmp_gt_i32_e32 vcc_lo, 0, v74
	v_and_b32_e32 v69, v69, v207
	v_not_b32_e32 v74, v75
	v_ashrrev_i32_e32 v72, 31, v72
	v_xor_b32_e32 v71, s17, v71
	v_cmp_gt_i32_e64 s17, 0, v75
	v_and_b32_e32 v69, v69, v70
	v_not_b32_e32 v70, v206
	v_ashrrev_i32_e32 v74, 31, v74
	v_xor_b32_e32 v72, vcc_lo, v72
	v_cmp_gt_i32_e32 vcc_lo, 0, v206
	v_and_b32_e32 v69, v69, v71
	v_not_b32_e32 v71, v73
	v_ashrrev_i32_e32 v70, 31, v70
	v_xor_b32_e32 v74, s17, v74
	v_mul_u32_u24_e32 v68, 9, v68
	v_and_b32_e32 v69, v69, v72
	v_cmp_gt_i32_e64 s17, 0, v73
	v_ashrrev_i32_e32 v71, 31, v71
	v_xor_b32_e32 v70, vcc_lo, v70
	v_add_lshl_u32 v72, v68, v158, 2
	v_and_b32_e32 v69, v69, v74
	s_delay_alu instid0(VALU_DEP_4) | instskip(SKIP_3) | instid1(VALU_DEP_2)
	v_xor_b32_e32 v68, s17, v71
	ds_load_b32 v206, v72 offset:1056
	v_and_b32_e32 v69, v69, v70
	v_add_nc_u32_e32 v208, 0x420, v72
	; wave barrier
	v_and_b32_e32 v68, v69, v68
	s_delay_alu instid0(VALU_DEP_1) | instskip(SKIP_1) | instid1(VALU_DEP_2)
	v_mbcnt_lo_u32_b32 v207, v68, 0
	v_cmp_ne_u32_e64 s17, 0, v68
	v_cmp_eq_u32_e32 vcc_lo, 0, v207
	s_delay_alu instid0(VALU_DEP_2) | instskip(NEXT) | instid1(SALU_CYCLE_1)
	s_and_b32 s18, s17, vcc_lo
	s_and_saveexec_b32 s17, s18
	s_cbranch_execz .LBB1258_1045
; %bb.1044:                             ;   in Loop: Header=BB1258_987 Depth=2
	s_waitcnt lgkmcnt(0)
	v_bcnt_u32_b32 v68, v68, v206
	ds_store_b32 v208, v68
.LBB1258_1045:                          ;   in Loop: Header=BB1258_987 Depth=2
	s_or_b32 exec_lo, exec_lo, s17
	v_cmp_lt_i64_e32 vcc_lo, -1, v[54:55]
	v_ashrrev_i32_e32 v69, 31, v55
	; wave barrier
	s_delay_alu instid0(VALU_DEP_1) | instskip(SKIP_1) | instid1(VALU_DEP_1)
	v_xor_b32_e32 v54, v69, v54
	v_cndmask_b32_e64 v68, -1, 0x80000000, vcc_lo
	v_xor_b32_e32 v55, v68, v55
	s_delay_alu instid0(VALU_DEP_1) | instskip(SKIP_2) | instid1(VALU_DEP_1)
	v_cmp_ne_u64_e32 vcc_lo, s[38:39], v[54:55]
	v_cndmask_b32_e32 v69, 0x80000000, v55, vcc_lo
	v_cndmask_b32_e32 v68, 0, v54, vcc_lo
	v_lshrrev_b64 v[68:69], s40, v[68:69]
	s_delay_alu instid0(VALU_DEP_1) | instskip(NEXT) | instid1(VALU_DEP_1)
	v_and_b32_e32 v68, s42, v68
	v_and_b32_e32 v69, 1, v68
	v_lshlrev_b32_e32 v70, 30, v68
	v_lshlrev_b32_e32 v71, 29, v68
	;; [unrolled: 1-line block ×4, first 2 shown]
	v_add_co_u32 v69, s17, v69, -1
	s_delay_alu instid0(VALU_DEP_1)
	v_cndmask_b32_e64 v73, 0, 1, s17
	v_not_b32_e32 v210, v70
	v_cmp_gt_i32_e64 s17, 0, v70
	v_not_b32_e32 v70, v71
	v_lshlrev_b32_e32 v75, 26, v68
	v_cmp_ne_u32_e32 vcc_lo, 0, v73
	v_ashrrev_i32_e32 v210, 31, v210
	v_lshlrev_b32_e32 v209, 25, v68
	v_ashrrev_i32_e32 v70, 31, v70
	v_lshlrev_b32_e32 v73, 24, v68
	v_xor_b32_e32 v69, vcc_lo, v69
	v_cmp_gt_i32_e32 vcc_lo, 0, v71
	v_not_b32_e32 v71, v72
	v_xor_b32_e32 v210, s17, v210
	v_cmp_gt_i32_e64 s17, 0, v72
	v_and_b32_e32 v69, exec_lo, v69
	v_not_b32_e32 v72, v74
	v_ashrrev_i32_e32 v71, 31, v71
	v_xor_b32_e32 v70, vcc_lo, v70
	v_cmp_gt_i32_e32 vcc_lo, 0, v74
	v_and_b32_e32 v69, v69, v210
	v_not_b32_e32 v74, v75
	v_ashrrev_i32_e32 v72, 31, v72
	v_xor_b32_e32 v71, s17, v71
	v_cmp_gt_i32_e64 s17, 0, v75
	v_and_b32_e32 v69, v69, v70
	v_not_b32_e32 v70, v209
	v_ashrrev_i32_e32 v74, 31, v74
	v_xor_b32_e32 v72, vcc_lo, v72
	v_cmp_gt_i32_e32 vcc_lo, 0, v209
	v_and_b32_e32 v69, v69, v71
	v_not_b32_e32 v71, v73
	v_ashrrev_i32_e32 v70, 31, v70
	v_xor_b32_e32 v74, s17, v74
	v_mul_u32_u24_e32 v68, 9, v68
	v_and_b32_e32 v69, v69, v72
	v_cmp_gt_i32_e64 s17, 0, v73
	v_ashrrev_i32_e32 v71, 31, v71
	v_xor_b32_e32 v70, vcc_lo, v70
	v_add_lshl_u32 v72, v68, v158, 2
	v_and_b32_e32 v69, v69, v74
	s_delay_alu instid0(VALU_DEP_4) | instskip(SKIP_3) | instid1(VALU_DEP_2)
	v_xor_b32_e32 v68, s17, v71
	ds_load_b32 v209, v72 offset:1056
	v_and_b32_e32 v69, v69, v70
	v_add_nc_u32_e32 v211, 0x420, v72
	; wave barrier
	v_and_b32_e32 v68, v69, v68
	s_delay_alu instid0(VALU_DEP_1) | instskip(SKIP_1) | instid1(VALU_DEP_2)
	v_mbcnt_lo_u32_b32 v210, v68, 0
	v_cmp_ne_u32_e64 s17, 0, v68
	v_cmp_eq_u32_e32 vcc_lo, 0, v210
	s_delay_alu instid0(VALU_DEP_2) | instskip(NEXT) | instid1(SALU_CYCLE_1)
	s_and_b32 s18, s17, vcc_lo
	s_and_saveexec_b32 s17, s18
	s_cbranch_execz .LBB1258_1047
; %bb.1046:                             ;   in Loop: Header=BB1258_987 Depth=2
	s_waitcnt lgkmcnt(0)
	v_bcnt_u32_b32 v68, v68, v209
	ds_store_b32 v211, v68
.LBB1258_1047:                          ;   in Loop: Header=BB1258_987 Depth=2
	s_or_b32 exec_lo, exec_lo, s17
	v_cmp_lt_i64_e32 vcc_lo, -1, v[50:51]
	v_ashrrev_i32_e32 v69, 31, v51
	; wave barrier
	s_delay_alu instid0(VALU_DEP_1) | instskip(SKIP_1) | instid1(VALU_DEP_1)
	v_xor_b32_e32 v50, v69, v50
	v_cndmask_b32_e64 v68, -1, 0x80000000, vcc_lo
	v_xor_b32_e32 v51, v68, v51
	s_delay_alu instid0(VALU_DEP_1) | instskip(SKIP_2) | instid1(VALU_DEP_1)
	v_cmp_ne_u64_e32 vcc_lo, s[38:39], v[50:51]
	v_cndmask_b32_e32 v69, 0x80000000, v51, vcc_lo
	v_cndmask_b32_e32 v68, 0, v50, vcc_lo
	v_lshrrev_b64 v[68:69], s40, v[68:69]
	s_delay_alu instid0(VALU_DEP_1) | instskip(NEXT) | instid1(VALU_DEP_1)
	v_and_b32_e32 v68, s42, v68
	v_and_b32_e32 v69, 1, v68
	v_lshlrev_b32_e32 v70, 30, v68
	v_lshlrev_b32_e32 v71, 29, v68
	;; [unrolled: 1-line block ×4, first 2 shown]
	v_add_co_u32 v69, s17, v69, -1
	s_delay_alu instid0(VALU_DEP_1)
	v_cndmask_b32_e64 v73, 0, 1, s17
	v_not_b32_e32 v213, v70
	v_cmp_gt_i32_e64 s17, 0, v70
	v_not_b32_e32 v70, v71
	v_lshlrev_b32_e32 v75, 26, v68
	v_cmp_ne_u32_e32 vcc_lo, 0, v73
	v_ashrrev_i32_e32 v213, 31, v213
	v_lshlrev_b32_e32 v212, 25, v68
	v_ashrrev_i32_e32 v70, 31, v70
	v_lshlrev_b32_e32 v73, 24, v68
	v_xor_b32_e32 v69, vcc_lo, v69
	v_cmp_gt_i32_e32 vcc_lo, 0, v71
	v_not_b32_e32 v71, v72
	v_xor_b32_e32 v213, s17, v213
	v_cmp_gt_i32_e64 s17, 0, v72
	v_and_b32_e32 v69, exec_lo, v69
	v_not_b32_e32 v72, v74
	v_ashrrev_i32_e32 v71, 31, v71
	v_xor_b32_e32 v70, vcc_lo, v70
	v_cmp_gt_i32_e32 vcc_lo, 0, v74
	v_and_b32_e32 v69, v69, v213
	v_not_b32_e32 v74, v75
	v_ashrrev_i32_e32 v72, 31, v72
	v_xor_b32_e32 v71, s17, v71
	v_cmp_gt_i32_e64 s17, 0, v75
	v_and_b32_e32 v69, v69, v70
	v_not_b32_e32 v70, v212
	v_ashrrev_i32_e32 v74, 31, v74
	v_xor_b32_e32 v72, vcc_lo, v72
	v_cmp_gt_i32_e32 vcc_lo, 0, v212
	v_and_b32_e32 v69, v69, v71
	v_not_b32_e32 v71, v73
	v_ashrrev_i32_e32 v70, 31, v70
	v_xor_b32_e32 v74, s17, v74
	v_mul_u32_u24_e32 v68, 9, v68
	v_and_b32_e32 v69, v69, v72
	v_cmp_gt_i32_e64 s17, 0, v73
	v_ashrrev_i32_e32 v71, 31, v71
	v_xor_b32_e32 v70, vcc_lo, v70
	v_add_lshl_u32 v72, v68, v158, 2
	v_and_b32_e32 v69, v69, v74
	s_delay_alu instid0(VALU_DEP_4) | instskip(SKIP_3) | instid1(VALU_DEP_2)
	v_xor_b32_e32 v68, s17, v71
	ds_load_b32 v212, v72 offset:1056
	v_and_b32_e32 v69, v69, v70
	v_add_nc_u32_e32 v214, 0x420, v72
	; wave barrier
	v_and_b32_e32 v68, v69, v68
	s_delay_alu instid0(VALU_DEP_1) | instskip(SKIP_1) | instid1(VALU_DEP_2)
	v_mbcnt_lo_u32_b32 v213, v68, 0
	v_cmp_ne_u32_e64 s17, 0, v68
	v_cmp_eq_u32_e32 vcc_lo, 0, v213
	s_delay_alu instid0(VALU_DEP_2) | instskip(NEXT) | instid1(SALU_CYCLE_1)
	s_and_b32 s18, s17, vcc_lo
	s_and_saveexec_b32 s17, s18
	s_cbranch_execz .LBB1258_1049
; %bb.1048:                             ;   in Loop: Header=BB1258_987 Depth=2
	s_waitcnt lgkmcnt(0)
	v_bcnt_u32_b32 v68, v68, v212
	ds_store_b32 v214, v68
.LBB1258_1049:                          ;   in Loop: Header=BB1258_987 Depth=2
	s_or_b32 exec_lo, exec_lo, s17
	v_cmp_lt_i64_e32 vcc_lo, -1, v[46:47]
	v_ashrrev_i32_e32 v69, 31, v47
	; wave barrier
	s_delay_alu instid0(VALU_DEP_1) | instskip(SKIP_1) | instid1(VALU_DEP_1)
	v_xor_b32_e32 v46, v69, v46
	v_cndmask_b32_e64 v68, -1, 0x80000000, vcc_lo
	v_xor_b32_e32 v47, v68, v47
	s_delay_alu instid0(VALU_DEP_1) | instskip(SKIP_2) | instid1(VALU_DEP_1)
	v_cmp_ne_u64_e32 vcc_lo, s[38:39], v[46:47]
	v_cndmask_b32_e32 v69, 0x80000000, v47, vcc_lo
	v_cndmask_b32_e32 v68, 0, v46, vcc_lo
	v_lshrrev_b64 v[68:69], s40, v[68:69]
	s_delay_alu instid0(VALU_DEP_1) | instskip(NEXT) | instid1(VALU_DEP_1)
	v_and_b32_e32 v68, s42, v68
	v_and_b32_e32 v69, 1, v68
	v_lshlrev_b32_e32 v70, 30, v68
	v_lshlrev_b32_e32 v71, 29, v68
	;; [unrolled: 1-line block ×4, first 2 shown]
	v_add_co_u32 v69, s17, v69, -1
	s_delay_alu instid0(VALU_DEP_1)
	v_cndmask_b32_e64 v73, 0, 1, s17
	v_not_b32_e32 v216, v70
	v_cmp_gt_i32_e64 s17, 0, v70
	v_not_b32_e32 v70, v71
	v_lshlrev_b32_e32 v75, 26, v68
	v_cmp_ne_u32_e32 vcc_lo, 0, v73
	v_ashrrev_i32_e32 v216, 31, v216
	v_lshlrev_b32_e32 v215, 25, v68
	v_ashrrev_i32_e32 v70, 31, v70
	v_lshlrev_b32_e32 v73, 24, v68
	v_xor_b32_e32 v69, vcc_lo, v69
	v_cmp_gt_i32_e32 vcc_lo, 0, v71
	v_not_b32_e32 v71, v72
	v_xor_b32_e32 v216, s17, v216
	v_cmp_gt_i32_e64 s17, 0, v72
	v_and_b32_e32 v69, exec_lo, v69
	v_not_b32_e32 v72, v74
	v_ashrrev_i32_e32 v71, 31, v71
	v_xor_b32_e32 v70, vcc_lo, v70
	v_cmp_gt_i32_e32 vcc_lo, 0, v74
	v_and_b32_e32 v69, v69, v216
	v_not_b32_e32 v74, v75
	v_ashrrev_i32_e32 v72, 31, v72
	v_xor_b32_e32 v71, s17, v71
	v_cmp_gt_i32_e64 s17, 0, v75
	v_and_b32_e32 v69, v69, v70
	v_not_b32_e32 v70, v215
	v_ashrrev_i32_e32 v74, 31, v74
	v_xor_b32_e32 v72, vcc_lo, v72
	v_cmp_gt_i32_e32 vcc_lo, 0, v215
	v_and_b32_e32 v69, v69, v71
	v_not_b32_e32 v71, v73
	v_ashrrev_i32_e32 v70, 31, v70
	v_xor_b32_e32 v74, s17, v74
	v_mul_u32_u24_e32 v68, 9, v68
	v_and_b32_e32 v69, v69, v72
	v_cmp_gt_i32_e64 s17, 0, v73
	v_ashrrev_i32_e32 v71, 31, v71
	v_xor_b32_e32 v70, vcc_lo, v70
	v_add_lshl_u32 v72, v68, v158, 2
	v_and_b32_e32 v69, v69, v74
	s_delay_alu instid0(VALU_DEP_4) | instskip(SKIP_3) | instid1(VALU_DEP_2)
	v_xor_b32_e32 v68, s17, v71
	ds_load_b32 v215, v72 offset:1056
	v_and_b32_e32 v69, v69, v70
	v_add_nc_u32_e32 v217, 0x420, v72
	; wave barrier
	v_and_b32_e32 v68, v69, v68
	s_delay_alu instid0(VALU_DEP_1) | instskip(SKIP_1) | instid1(VALU_DEP_2)
	v_mbcnt_lo_u32_b32 v216, v68, 0
	v_cmp_ne_u32_e64 s17, 0, v68
	v_cmp_eq_u32_e32 vcc_lo, 0, v216
	s_delay_alu instid0(VALU_DEP_2) | instskip(NEXT) | instid1(SALU_CYCLE_1)
	s_and_b32 s18, s17, vcc_lo
	s_and_saveexec_b32 s17, s18
	s_cbranch_execz .LBB1258_1051
; %bb.1050:                             ;   in Loop: Header=BB1258_987 Depth=2
	s_waitcnt lgkmcnt(0)
	v_bcnt_u32_b32 v68, v68, v215
	ds_store_b32 v217, v68
.LBB1258_1051:                          ;   in Loop: Header=BB1258_987 Depth=2
	s_or_b32 exec_lo, exec_lo, s17
	v_cmp_lt_i64_e32 vcc_lo, -1, v[40:41]
	v_ashrrev_i32_e32 v69, 31, v41
	; wave barrier
	s_delay_alu instid0(VALU_DEP_1) | instskip(SKIP_1) | instid1(VALU_DEP_1)
	v_xor_b32_e32 v40, v69, v40
	v_cndmask_b32_e64 v68, -1, 0x80000000, vcc_lo
	v_xor_b32_e32 v41, v68, v41
	s_delay_alu instid0(VALU_DEP_1) | instskip(SKIP_2) | instid1(VALU_DEP_1)
	v_cmp_ne_u64_e32 vcc_lo, s[38:39], v[40:41]
	v_cndmask_b32_e32 v69, 0x80000000, v41, vcc_lo
	v_cndmask_b32_e32 v68, 0, v40, vcc_lo
	v_lshrrev_b64 v[68:69], s40, v[68:69]
	s_delay_alu instid0(VALU_DEP_1) | instskip(NEXT) | instid1(VALU_DEP_1)
	v_and_b32_e32 v68, s42, v68
	v_and_b32_e32 v69, 1, v68
	v_lshlrev_b32_e32 v70, 30, v68
	v_lshlrev_b32_e32 v71, 29, v68
	;; [unrolled: 1-line block ×4, first 2 shown]
	v_add_co_u32 v69, s17, v69, -1
	s_delay_alu instid0(VALU_DEP_1)
	v_cndmask_b32_e64 v73, 0, 1, s17
	v_not_b32_e32 v219, v70
	v_cmp_gt_i32_e64 s17, 0, v70
	v_not_b32_e32 v70, v71
	v_lshlrev_b32_e32 v75, 26, v68
	v_cmp_ne_u32_e32 vcc_lo, 0, v73
	v_ashrrev_i32_e32 v219, 31, v219
	v_lshlrev_b32_e32 v218, 25, v68
	v_ashrrev_i32_e32 v70, 31, v70
	v_lshlrev_b32_e32 v73, 24, v68
	v_xor_b32_e32 v69, vcc_lo, v69
	v_cmp_gt_i32_e32 vcc_lo, 0, v71
	v_not_b32_e32 v71, v72
	v_xor_b32_e32 v219, s17, v219
	v_cmp_gt_i32_e64 s17, 0, v72
	v_and_b32_e32 v69, exec_lo, v69
	v_not_b32_e32 v72, v74
	v_ashrrev_i32_e32 v71, 31, v71
	v_xor_b32_e32 v70, vcc_lo, v70
	v_cmp_gt_i32_e32 vcc_lo, 0, v74
	v_and_b32_e32 v69, v69, v219
	v_not_b32_e32 v74, v75
	v_ashrrev_i32_e32 v72, 31, v72
	v_xor_b32_e32 v71, s17, v71
	v_cmp_gt_i32_e64 s17, 0, v75
	v_and_b32_e32 v69, v69, v70
	v_not_b32_e32 v70, v218
	v_ashrrev_i32_e32 v74, 31, v74
	v_xor_b32_e32 v72, vcc_lo, v72
	v_cmp_gt_i32_e32 vcc_lo, 0, v218
	v_and_b32_e32 v69, v69, v71
	v_not_b32_e32 v71, v73
	v_ashrrev_i32_e32 v70, 31, v70
	v_xor_b32_e32 v74, s17, v74
	v_mul_u32_u24_e32 v68, 9, v68
	v_and_b32_e32 v69, v69, v72
	v_cmp_gt_i32_e64 s17, 0, v73
	v_ashrrev_i32_e32 v71, 31, v71
	v_xor_b32_e32 v70, vcc_lo, v70
	v_add_lshl_u32 v72, v68, v158, 2
	v_and_b32_e32 v69, v69, v74
	s_delay_alu instid0(VALU_DEP_4) | instskip(SKIP_3) | instid1(VALU_DEP_2)
	v_xor_b32_e32 v68, s17, v71
	ds_load_b32 v218, v72 offset:1056
	v_and_b32_e32 v69, v69, v70
	v_add_nc_u32_e32 v220, 0x420, v72
	; wave barrier
	v_and_b32_e32 v68, v69, v68
	s_delay_alu instid0(VALU_DEP_1) | instskip(SKIP_1) | instid1(VALU_DEP_2)
	v_mbcnt_lo_u32_b32 v219, v68, 0
	v_cmp_ne_u32_e64 s17, 0, v68
	v_cmp_eq_u32_e32 vcc_lo, 0, v219
	s_delay_alu instid0(VALU_DEP_2) | instskip(NEXT) | instid1(SALU_CYCLE_1)
	s_and_b32 s18, s17, vcc_lo
	s_and_saveexec_b32 s17, s18
	s_cbranch_execz .LBB1258_1053
; %bb.1052:                             ;   in Loop: Header=BB1258_987 Depth=2
	s_waitcnt lgkmcnt(0)
	v_bcnt_u32_b32 v68, v68, v218
	ds_store_b32 v220, v68
.LBB1258_1053:                          ;   in Loop: Header=BB1258_987 Depth=2
	s_or_b32 exec_lo, exec_lo, s17
	v_cmp_lt_i64_e32 vcc_lo, -1, v[42:43]
	v_ashrrev_i32_e32 v69, 31, v43
	; wave barrier
	s_delay_alu instid0(VALU_DEP_1) | instskip(SKIP_1) | instid1(VALU_DEP_1)
	v_xor_b32_e32 v42, v69, v42
	v_cndmask_b32_e64 v68, -1, 0x80000000, vcc_lo
	v_xor_b32_e32 v43, v68, v43
	s_delay_alu instid0(VALU_DEP_1) | instskip(SKIP_2) | instid1(VALU_DEP_1)
	v_cmp_ne_u64_e32 vcc_lo, s[38:39], v[42:43]
	v_cndmask_b32_e32 v69, 0x80000000, v43, vcc_lo
	v_cndmask_b32_e32 v68, 0, v42, vcc_lo
	v_lshrrev_b64 v[68:69], s40, v[68:69]
	s_delay_alu instid0(VALU_DEP_1) | instskip(NEXT) | instid1(VALU_DEP_1)
	v_and_b32_e32 v68, s42, v68
	v_and_b32_e32 v69, 1, v68
	v_lshlrev_b32_e32 v70, 30, v68
	v_lshlrev_b32_e32 v71, 29, v68
	;; [unrolled: 1-line block ×4, first 2 shown]
	v_add_co_u32 v69, s17, v69, -1
	s_delay_alu instid0(VALU_DEP_1)
	v_cndmask_b32_e64 v73, 0, 1, s17
	v_not_b32_e32 v222, v70
	v_cmp_gt_i32_e64 s17, 0, v70
	v_not_b32_e32 v70, v71
	v_lshlrev_b32_e32 v75, 26, v68
	v_cmp_ne_u32_e32 vcc_lo, 0, v73
	v_ashrrev_i32_e32 v222, 31, v222
	v_lshlrev_b32_e32 v221, 25, v68
	v_ashrrev_i32_e32 v70, 31, v70
	v_lshlrev_b32_e32 v73, 24, v68
	v_xor_b32_e32 v69, vcc_lo, v69
	v_cmp_gt_i32_e32 vcc_lo, 0, v71
	v_not_b32_e32 v71, v72
	v_xor_b32_e32 v222, s17, v222
	v_cmp_gt_i32_e64 s17, 0, v72
	v_and_b32_e32 v69, exec_lo, v69
	v_not_b32_e32 v72, v74
	v_ashrrev_i32_e32 v71, 31, v71
	v_xor_b32_e32 v70, vcc_lo, v70
	v_cmp_gt_i32_e32 vcc_lo, 0, v74
	v_and_b32_e32 v69, v69, v222
	v_not_b32_e32 v74, v75
	v_ashrrev_i32_e32 v72, 31, v72
	v_xor_b32_e32 v71, s17, v71
	v_cmp_gt_i32_e64 s17, 0, v75
	v_and_b32_e32 v69, v69, v70
	v_not_b32_e32 v70, v221
	v_ashrrev_i32_e32 v74, 31, v74
	v_xor_b32_e32 v72, vcc_lo, v72
	v_cmp_gt_i32_e32 vcc_lo, 0, v221
	v_and_b32_e32 v69, v69, v71
	v_not_b32_e32 v71, v73
	v_ashrrev_i32_e32 v70, 31, v70
	v_xor_b32_e32 v74, s17, v74
	v_mul_u32_u24_e32 v68, 9, v68
	v_and_b32_e32 v69, v69, v72
	v_cmp_gt_i32_e64 s17, 0, v73
	v_ashrrev_i32_e32 v71, 31, v71
	v_xor_b32_e32 v70, vcc_lo, v70
	v_add_lshl_u32 v72, v68, v158, 2
	v_and_b32_e32 v69, v69, v74
	s_delay_alu instid0(VALU_DEP_4) | instskip(SKIP_3) | instid1(VALU_DEP_2)
	v_xor_b32_e32 v68, s17, v71
	ds_load_b32 v221, v72 offset:1056
	v_and_b32_e32 v69, v69, v70
	v_add_nc_u32_e32 v223, 0x420, v72
	; wave barrier
	v_and_b32_e32 v68, v69, v68
	s_delay_alu instid0(VALU_DEP_1) | instskip(SKIP_1) | instid1(VALU_DEP_2)
	v_mbcnt_lo_u32_b32 v222, v68, 0
	v_cmp_ne_u32_e64 s17, 0, v68
	v_cmp_eq_u32_e32 vcc_lo, 0, v222
	s_delay_alu instid0(VALU_DEP_2) | instskip(NEXT) | instid1(SALU_CYCLE_1)
	s_and_b32 s18, s17, vcc_lo
	s_and_saveexec_b32 s17, s18
	s_cbranch_execz .LBB1258_1055
; %bb.1054:                             ;   in Loop: Header=BB1258_987 Depth=2
	s_waitcnt lgkmcnt(0)
	v_bcnt_u32_b32 v68, v68, v221
	ds_store_b32 v223, v68
.LBB1258_1055:                          ;   in Loop: Header=BB1258_987 Depth=2
	s_or_b32 exec_lo, exec_lo, s17
	; wave barrier
	s_waitcnt lgkmcnt(0)
	s_barrier
	buffer_gl0_inv
	ds_load_b32 v224, v102 offset:1056
	ds_load_2addr_b32 v[74:75], v103 offset0:1 offset1:2
	ds_load_2addr_b32 v[72:73], v103 offset0:3 offset1:4
	;; [unrolled: 1-line block ×4, first 2 shown]
	s_waitcnt lgkmcnt(3)
	v_add3_u32 v225, v74, v224, v75
	s_waitcnt lgkmcnt(2)
	s_delay_alu instid0(VALU_DEP_1) | instskip(SKIP_1) | instid1(VALU_DEP_1)
	v_add3_u32 v225, v225, v72, v73
	s_waitcnt lgkmcnt(1)
	v_add3_u32 v225, v225, v68, v69
	s_waitcnt lgkmcnt(0)
	s_delay_alu instid0(VALU_DEP_1) | instskip(NEXT) | instid1(VALU_DEP_1)
	v_add3_u32 v71, v225, v70, v71
	v_mov_b32_dpp v225, v71 row_shr:1 row_mask:0xf bank_mask:0xf
	s_delay_alu instid0(VALU_DEP_1) | instskip(NEXT) | instid1(VALU_DEP_1)
	v_cndmask_b32_e64 v225, v225, 0, s1
	v_add_nc_u32_e32 v71, v225, v71
	s_delay_alu instid0(VALU_DEP_1) | instskip(NEXT) | instid1(VALU_DEP_1)
	v_mov_b32_dpp v225, v71 row_shr:2 row_mask:0xf bank_mask:0xf
	v_cndmask_b32_e64 v225, 0, v225, s7
	s_delay_alu instid0(VALU_DEP_1) | instskip(NEXT) | instid1(VALU_DEP_1)
	v_add_nc_u32_e32 v71, v71, v225
	v_mov_b32_dpp v225, v71 row_shr:4 row_mask:0xf bank_mask:0xf
	s_delay_alu instid0(VALU_DEP_1) | instskip(NEXT) | instid1(VALU_DEP_1)
	v_cndmask_b32_e64 v225, 0, v225, s8
	v_add_nc_u32_e32 v71, v71, v225
	s_delay_alu instid0(VALU_DEP_1) | instskip(NEXT) | instid1(VALU_DEP_1)
	v_mov_b32_dpp v225, v71 row_shr:8 row_mask:0xf bank_mask:0xf
	v_cndmask_b32_e64 v225, 0, v225, s9
	s_delay_alu instid0(VALU_DEP_1) | instskip(SKIP_3) | instid1(VALU_DEP_1)
	v_add_nc_u32_e32 v71, v71, v225
	ds_swizzle_b32 v225, v71 offset:swizzle(BROADCAST,32,15)
	s_waitcnt lgkmcnt(0)
	v_cndmask_b32_e64 v225, v225, 0, s10
	v_add_nc_u32_e32 v71, v71, v225
	s_and_saveexec_b32 s17, s3
	s_cbranch_execz .LBB1258_1057
; %bb.1056:                             ;   in Loop: Header=BB1258_987 Depth=2
	ds_store_b32 v94, v71 offset:1024
.LBB1258_1057:                          ;   in Loop: Header=BB1258_987 Depth=2
	s_or_b32 exec_lo, exec_lo, s17
	s_waitcnt lgkmcnt(0)
	s_barrier
	buffer_gl0_inv
	s_and_saveexec_b32 s17, s4
	s_cbranch_execz .LBB1258_1059
; %bb.1058:                             ;   in Loop: Header=BB1258_987 Depth=2
	ds_load_b32 v225, v104 offset:1024
	s_waitcnt lgkmcnt(0)
	v_mov_b32_dpp v226, v225 row_shr:1 row_mask:0xf bank_mask:0xf
	s_delay_alu instid0(VALU_DEP_1) | instskip(NEXT) | instid1(VALU_DEP_1)
	v_cndmask_b32_e64 v226, v226, 0, s12
	v_add_nc_u32_e32 v225, v226, v225
	s_delay_alu instid0(VALU_DEP_1) | instskip(NEXT) | instid1(VALU_DEP_1)
	v_mov_b32_dpp v226, v225 row_shr:2 row_mask:0xf bank_mask:0xf
	v_cndmask_b32_e64 v226, 0, v226, s13
	s_delay_alu instid0(VALU_DEP_1) | instskip(NEXT) | instid1(VALU_DEP_1)
	v_add_nc_u32_e32 v225, v225, v226
	v_mov_b32_dpp v226, v225 row_shr:4 row_mask:0xf bank_mask:0xf
	s_delay_alu instid0(VALU_DEP_1) | instskip(NEXT) | instid1(VALU_DEP_1)
	v_cndmask_b32_e64 v226, 0, v226, s16
	v_add_nc_u32_e32 v225, v225, v226
	ds_store_b32 v104, v225 offset:1024
.LBB1258_1059:                          ;   in Loop: Header=BB1258_987 Depth=2
	s_or_b32 exec_lo, exec_lo, s17
	v_mov_b32_e32 v225, 0
	s_waitcnt lgkmcnt(0)
	s_barrier
	buffer_gl0_inv
	s_and_saveexec_b32 s17, s5
	s_cbranch_execz .LBB1258_1061
; %bb.1060:                             ;   in Loop: Header=BB1258_987 Depth=2
	ds_load_b32 v225, v94 offset:1020
.LBB1258_1061:                          ;   in Loop: Header=BB1258_987 Depth=2
	s_or_b32 exec_lo, exec_lo, s17
	s_waitcnt lgkmcnt(0)
	v_add_nc_u32_e32 v71, v225, v71
	ds_bpermute_b32 v71, v137, v71
	s_waitcnt lgkmcnt(0)
	v_cndmask_b32_e64 v71, v71, v225, s11
	s_delay_alu instid0(VALU_DEP_1) | instskip(NEXT) | instid1(VALU_DEP_1)
	v_cndmask_b32_e64 v71, v71, 0, s0
	v_add_nc_u32_e32 v224, v71, v224
	s_delay_alu instid0(VALU_DEP_1) | instskip(NEXT) | instid1(VALU_DEP_1)
	v_add_nc_u32_e32 v74, v224, v74
	v_add_nc_u32_e32 v75, v74, v75
	s_delay_alu instid0(VALU_DEP_1) | instskip(NEXT) | instid1(VALU_DEP_1)
	v_add_nc_u32_e32 v72, v75, v72
	;; [unrolled: 3-line block ×3, first 2 shown]
	v_add_nc_u32_e32 v69, v68, v69
	s_delay_alu instid0(VALU_DEP_1)
	v_add_nc_u32_e32 v70, v69, v70
	ds_store_b32 v102, v71 offset:1056
	ds_store_2addr_b32 v103, v224, v74 offset0:1 offset1:2
	ds_store_2addr_b32 v103, v75, v72 offset0:3 offset1:4
	ds_store_2addr_b32 v103, v73, v68 offset0:5 offset1:6
	ds_store_2addr_b32 v103, v69, v70 offset0:7 offset1:8
	v_mov_b32_e32 v68, 0x1000
	s_waitcnt lgkmcnt(0)
	s_barrier
	buffer_gl0_inv
	ds_load_b32 v70, v181
	ds_load_b32 v71, v184
	;; [unrolled: 1-line block ×16, first 2 shown]
	ds_load_b32 v178, v102 offset:1056
	s_and_saveexec_b32 s17, s6
	s_cbranch_execz .LBB1258_1063
; %bb.1062:                             ;   in Loop: Header=BB1258_987 Depth=2
	ds_load_b32 v68, v105 offset:1056
.LBB1258_1063:                          ;   in Loop: Header=BB1258_987 Depth=2
	s_or_b32 exec_lo, exec_lo, s17
	s_waitcnt lgkmcnt(0)
	s_barrier
	buffer_gl0_inv
	s_and_saveexec_b32 s17, s2
	s_cbranch_execz .LBB1258_1065
; %bb.1064:                             ;   in Loop: Header=BB1258_987 Depth=2
	ds_load_b32 v202, v76
	s_waitcnt lgkmcnt(0)
	v_sub_nc_u32_e32 v178, v202, v178
	ds_store_b32 v76, v178
.LBB1258_1065:                          ;   in Loop: Header=BB1258_987 Depth=2
	s_or_b32 exec_lo, exec_lo, s17
	v_add_nc_u32_e32 v179, v180, v179
	v_add_nc_u32_e32 v180, v183, v182
	v_add_lshl_u32 v69, v69, v2, 3
	v_add_nc_u32_e32 v2, v186, v185
	v_add_nc_u32_e32 v191, v192, v191
	;; [unrolled: 1-line block ×3, first 2 shown]
	v_add_lshl_u32 v70, v179, v70, 3
	v_add_lshl_u32 v71, v180, v71, 3
	v_add_nc_u32_e32 v209, v210, v209
	v_add_nc_u32_e32 v206, v207, v206
	;; [unrolled: 1-line block ×4, first 2 shown]
	v_add_lshl_u32 v72, v2, v72, 3
	v_add_nc_u32_e32 v208, v213, v212
	v_add_nc_u32_e32 v203, v204, v203
	;; [unrolled: 1-line block ×3, first 2 shown]
	ds_store_b64 v69, v[36:37] offset:1024
	v_add_lshl_u32 v73, v182, v73, 3
	ds_store_b64 v70, v[38:39] offset:1024
	ds_store_b64 v71, v[44:45] offset:1024
	v_add_lshl_u32 v39, v191, v225, 3
	v_add_nc_u32_e32 v178, v222, v221
	v_add_nc_u32_e32 v202, v219, v218
	;; [unrolled: 1-line block ×3, first 2 shown]
	ds_store_b64 v72, v[48:49] offset:1024
	ds_store_b64 v73, v[52:53] offset:1024
	v_add_lshl_u32 v44, v194, v224, 3
	v_add_lshl_u32 v48, v200, v196, 3
	;; [unrolled: 1-line block ×5, first 2 shown]
	ds_store_b64 v39, v[58:59] offset:1024
	v_add_lshl_u32 v49, v203, v193, 3
	v_add_lshl_u32 v58, v208, v184, 3
	ds_store_b64 v44, v[62:63] offset:1024
	ds_store_b64 v45, v[66:67] offset:1024
	;; [unrolled: 1-line block ×5, first 2 shown]
	v_add_lshl_u32 v56, v205, v181, 3
	v_add_lshl_u32 v57, v202, v75, 3
	ds_store_b64 v53, v[54:55] offset:1024
	ds_store_b64 v58, v[50:51] offset:1024
	v_add_lshl_u32 v50, v178, v74, 3
	v_cmp_lt_u32_e32 vcc_lo, v1, v177
	v_add_nc_u32_e32 v38, v104, v76
	ds_store_b64 v56, v[46:47] offset:1024
	ds_store_b64 v57, v[40:41] offset:1024
	;; [unrolled: 1-line block ×3, first 2 shown]
	s_waitcnt lgkmcnt(0)
	s_barrier
	buffer_gl0_inv
	s_and_saveexec_b32 s18, vcc_lo
	s_cbranch_execz .LBB1258_1081
; %bb.1066:                             ;   in Loop: Header=BB1258_987 Depth=2
	ds_load_b64 v[36:37], v38 offset:1024
	s_waitcnt lgkmcnt(0)
	v_cmp_ne_u64_e64 s17, s[38:39], v[36:37]
	s_delay_alu instid0(VALU_DEP_1) | instskip(SKIP_2) | instid1(VALU_DEP_2)
	v_cndmask_b32_e64 v41, 0x80000000, v37, s17
	v_cndmask_b32_e64 v40, 0, v36, s17
	v_cmp_lt_i64_e64 s17, -1, v[36:37]
	v_lshrrev_b64 v[40:41], s40, v[40:41]
	s_delay_alu instid0(VALU_DEP_2) | instskip(NEXT) | instid1(VALU_DEP_2)
	v_cndmask_b32_e64 v42, 0x80000000, -1, s17
	v_and_b32_e32 v2, s42, v40
	v_ashrrev_i32_e32 v40, 31, v37
	s_delay_alu instid0(VALU_DEP_3) | instskip(NEXT) | instid1(VALU_DEP_3)
	v_xor_b32_e32 v37, v42, v37
	v_lshlrev_b32_e32 v2, 2, v2
	s_delay_alu instid0(VALU_DEP_3) | instskip(SKIP_4) | instid1(VALU_DEP_1)
	v_not_b32_e32 v43, v40
	ds_load_b32 v2, v2
	v_xor_b32_e32 v36, v43, v36
	s_waitcnt lgkmcnt(0)
	v_add_nc_u32_e32 v2, v2, v1
	v_lshlrev_b64 v[40:41], 3, v[2:3]
	s_delay_alu instid0(VALU_DEP_1) | instskip(NEXT) | instid1(VALU_DEP_1)
	v_add_co_u32 v40, s17, s48, v40
	v_add_co_ci_u32_e64 v41, s17, s49, v41, s17
	global_store_b64 v[40:41], v[36:37], off
	s_or_b32 exec_lo, exec_lo, s18
	v_cmp_lt_u32_e64 s17, v77, v177
	s_delay_alu instid0(VALU_DEP_1)
	s_and_saveexec_b32 s19, s17
	s_cbranch_execnz .LBB1258_1082
.LBB1258_1067:                          ;   in Loop: Header=BB1258_987 Depth=2
	s_or_b32 exec_lo, exec_lo, s19
	v_cmp_lt_u32_e64 s18, v78, v177
	s_delay_alu instid0(VALU_DEP_1)
	s_and_saveexec_b32 s20, s18
	s_cbranch_execz .LBB1258_1083
.LBB1258_1068:                          ;   in Loop: Header=BB1258_987 Depth=2
	ds_load_b64 v[36:37], v110 offset:4096
	s_waitcnt lgkmcnt(0)
	v_cmp_ne_u64_e64 s19, s[38:39], v[36:37]
	s_delay_alu instid0(VALU_DEP_1) | instskip(SKIP_2) | instid1(VALU_DEP_2)
	v_cndmask_b32_e64 v41, 0x80000000, v37, s19
	v_cndmask_b32_e64 v40, 0, v36, s19
	v_cmp_lt_i64_e64 s19, -1, v[36:37]
	v_lshrrev_b64 v[40:41], s40, v[40:41]
	s_delay_alu instid0(VALU_DEP_2) | instskip(NEXT) | instid1(VALU_DEP_2)
	v_cndmask_b32_e64 v42, 0x80000000, -1, s19
	v_and_b32_e32 v2, s42, v40
	v_ashrrev_i32_e32 v40, 31, v37
	s_delay_alu instid0(VALU_DEP_3) | instskip(NEXT) | instid1(VALU_DEP_3)
	v_xor_b32_e32 v37, v42, v37
	v_lshlrev_b32_e32 v2, 2, v2
	s_delay_alu instid0(VALU_DEP_3) | instskip(SKIP_4) | instid1(VALU_DEP_1)
	v_not_b32_e32 v43, v40
	ds_load_b32 v2, v2
	v_xor_b32_e32 v36, v43, v36
	s_waitcnt lgkmcnt(0)
	v_add_nc_u32_e32 v2, v2, v78
	v_lshlrev_b64 v[40:41], 3, v[2:3]
	s_delay_alu instid0(VALU_DEP_1) | instskip(NEXT) | instid1(VALU_DEP_1)
	v_add_co_u32 v40, s19, s48, v40
	v_add_co_ci_u32_e64 v41, s19, s49, v41, s19
	global_store_b64 v[40:41], v[36:37], off
	s_or_b32 exec_lo, exec_lo, s20
	v_cmp_lt_u32_e64 s19, v79, v177
	s_delay_alu instid0(VALU_DEP_1)
	s_and_saveexec_b32 s21, s19
	s_cbranch_execnz .LBB1258_1084
.LBB1258_1069:                          ;   in Loop: Header=BB1258_987 Depth=2
	s_or_b32 exec_lo, exec_lo, s21
	v_cmp_lt_u32_e64 s20, v83, v177
	s_delay_alu instid0(VALU_DEP_1)
	s_and_saveexec_b32 s22, s20
	s_cbranch_execz .LBB1258_1085
.LBB1258_1070:                          ;   in Loop: Header=BB1258_987 Depth=2
	ds_load_b64 v[36:37], v110 offset:8192
	s_waitcnt lgkmcnt(0)
	v_cmp_ne_u64_e64 s21, s[38:39], v[36:37]
	s_delay_alu instid0(VALU_DEP_1) | instskip(SKIP_2) | instid1(VALU_DEP_2)
	v_cndmask_b32_e64 v41, 0x80000000, v37, s21
	v_cndmask_b32_e64 v40, 0, v36, s21
	v_cmp_lt_i64_e64 s21, -1, v[36:37]
	v_lshrrev_b64 v[40:41], s40, v[40:41]
	s_delay_alu instid0(VALU_DEP_2) | instskip(NEXT) | instid1(VALU_DEP_2)
	v_cndmask_b32_e64 v42, 0x80000000, -1, s21
	v_and_b32_e32 v2, s42, v40
	v_ashrrev_i32_e32 v40, 31, v37
	s_delay_alu instid0(VALU_DEP_3) | instskip(NEXT) | instid1(VALU_DEP_3)
	v_xor_b32_e32 v37, v42, v37
	v_lshlrev_b32_e32 v2, 2, v2
	s_delay_alu instid0(VALU_DEP_3) | instskip(SKIP_4) | instid1(VALU_DEP_1)
	v_not_b32_e32 v43, v40
	ds_load_b32 v2, v2
	v_xor_b32_e32 v36, v43, v36
	s_waitcnt lgkmcnt(0)
	v_add_nc_u32_e32 v2, v2, v83
	v_lshlrev_b64 v[40:41], 3, v[2:3]
	s_delay_alu instid0(VALU_DEP_1) | instskip(NEXT) | instid1(VALU_DEP_1)
	v_add_co_u32 v40, s21, s48, v40
	v_add_co_ci_u32_e64 v41, s21, s49, v41, s21
	global_store_b64 v[40:41], v[36:37], off
	s_or_b32 exec_lo, exec_lo, s22
	v_cmp_lt_u32_e64 s21, v84, v177
	s_delay_alu instid0(VALU_DEP_1)
	s_and_saveexec_b32 s23, s21
	s_cbranch_execnz .LBB1258_1086
.LBB1258_1071:                          ;   in Loop: Header=BB1258_987 Depth=2
	s_or_b32 exec_lo, exec_lo, s23
	v_cmp_lt_u32_e64 s22, v85, v177
	s_delay_alu instid0(VALU_DEP_1)
	s_and_saveexec_b32 s24, s22
	s_cbranch_execz .LBB1258_1087
.LBB1258_1072:                          ;   in Loop: Header=BB1258_987 Depth=2
	ds_load_b64 v[36:37], v110 offset:12288
	s_waitcnt lgkmcnt(0)
	v_cmp_ne_u64_e64 s23, s[38:39], v[36:37]
	s_delay_alu instid0(VALU_DEP_1) | instskip(SKIP_2) | instid1(VALU_DEP_2)
	v_cndmask_b32_e64 v41, 0x80000000, v37, s23
	v_cndmask_b32_e64 v40, 0, v36, s23
	v_cmp_lt_i64_e64 s23, -1, v[36:37]
	v_lshrrev_b64 v[40:41], s40, v[40:41]
	s_delay_alu instid0(VALU_DEP_2) | instskip(NEXT) | instid1(VALU_DEP_2)
	v_cndmask_b32_e64 v42, 0x80000000, -1, s23
	v_and_b32_e32 v2, s42, v40
	v_ashrrev_i32_e32 v40, 31, v37
	s_delay_alu instid0(VALU_DEP_3) | instskip(NEXT) | instid1(VALU_DEP_3)
	v_xor_b32_e32 v37, v42, v37
	v_lshlrev_b32_e32 v2, 2, v2
	s_delay_alu instid0(VALU_DEP_3) | instskip(SKIP_4) | instid1(VALU_DEP_1)
	v_not_b32_e32 v43, v40
	ds_load_b32 v2, v2
	v_xor_b32_e32 v36, v43, v36
	s_waitcnt lgkmcnt(0)
	v_add_nc_u32_e32 v2, v2, v85
	v_lshlrev_b64 v[40:41], 3, v[2:3]
	s_delay_alu instid0(VALU_DEP_1) | instskip(NEXT) | instid1(VALU_DEP_1)
	v_add_co_u32 v40, s23, s48, v40
	v_add_co_ci_u32_e64 v41, s23, s49, v41, s23
	global_store_b64 v[40:41], v[36:37], off
	s_or_b32 exec_lo, exec_lo, s24
	v_cmp_lt_u32_e64 s23, v86, v177
	s_delay_alu instid0(VALU_DEP_1)
	s_and_saveexec_b32 s25, s23
	s_cbranch_execnz .LBB1258_1088
.LBB1258_1073:                          ;   in Loop: Header=BB1258_987 Depth=2
	s_or_b32 exec_lo, exec_lo, s25
	v_cmp_lt_u32_e64 s24, v87, v177
	s_delay_alu instid0(VALU_DEP_1)
	s_and_saveexec_b32 s26, s24
	s_cbranch_execz .LBB1258_1089
.LBB1258_1074:                          ;   in Loop: Header=BB1258_987 Depth=2
	ds_load_b64 v[36:37], v110 offset:16384
	s_waitcnt lgkmcnt(0)
	v_cmp_ne_u64_e64 s25, s[38:39], v[36:37]
	s_delay_alu instid0(VALU_DEP_1) | instskip(SKIP_2) | instid1(VALU_DEP_2)
	v_cndmask_b32_e64 v41, 0x80000000, v37, s25
	v_cndmask_b32_e64 v40, 0, v36, s25
	v_cmp_lt_i64_e64 s25, -1, v[36:37]
	v_lshrrev_b64 v[40:41], s40, v[40:41]
	s_delay_alu instid0(VALU_DEP_2) | instskip(NEXT) | instid1(VALU_DEP_2)
	v_cndmask_b32_e64 v42, 0x80000000, -1, s25
	v_and_b32_e32 v2, s42, v40
	v_ashrrev_i32_e32 v40, 31, v37
	s_delay_alu instid0(VALU_DEP_3) | instskip(NEXT) | instid1(VALU_DEP_3)
	v_xor_b32_e32 v37, v42, v37
	v_lshlrev_b32_e32 v2, 2, v2
	s_delay_alu instid0(VALU_DEP_3) | instskip(SKIP_4) | instid1(VALU_DEP_1)
	v_not_b32_e32 v43, v40
	ds_load_b32 v2, v2
	v_xor_b32_e32 v36, v43, v36
	s_waitcnt lgkmcnt(0)
	v_add_nc_u32_e32 v2, v2, v87
	v_lshlrev_b64 v[40:41], 3, v[2:3]
	s_delay_alu instid0(VALU_DEP_1) | instskip(NEXT) | instid1(VALU_DEP_1)
	v_add_co_u32 v40, s25, s48, v40
	v_add_co_ci_u32_e64 v41, s25, s49, v41, s25
	global_store_b64 v[40:41], v[36:37], off
	s_or_b32 exec_lo, exec_lo, s26
	v_cmp_lt_u32_e64 s25, v88, v177
	s_delay_alu instid0(VALU_DEP_1)
	s_and_saveexec_b32 s27, s25
	s_cbranch_execnz .LBB1258_1090
.LBB1258_1075:                          ;   in Loop: Header=BB1258_987 Depth=2
	s_or_b32 exec_lo, exec_lo, s27
	v_cmp_lt_u32_e64 s26, v89, v177
	s_delay_alu instid0(VALU_DEP_1)
	s_and_saveexec_b32 s28, s26
	s_cbranch_execz .LBB1258_1091
.LBB1258_1076:                          ;   in Loop: Header=BB1258_987 Depth=2
	ds_load_b64 v[36:37], v110 offset:20480
	s_waitcnt lgkmcnt(0)
	v_cmp_ne_u64_e64 s27, s[38:39], v[36:37]
	s_delay_alu instid0(VALU_DEP_1) | instskip(SKIP_2) | instid1(VALU_DEP_2)
	v_cndmask_b32_e64 v41, 0x80000000, v37, s27
	v_cndmask_b32_e64 v40, 0, v36, s27
	v_cmp_lt_i64_e64 s27, -1, v[36:37]
	v_lshrrev_b64 v[40:41], s40, v[40:41]
	s_delay_alu instid0(VALU_DEP_2) | instskip(NEXT) | instid1(VALU_DEP_2)
	v_cndmask_b32_e64 v42, 0x80000000, -1, s27
	v_and_b32_e32 v2, s42, v40
	v_ashrrev_i32_e32 v40, 31, v37
	s_delay_alu instid0(VALU_DEP_3) | instskip(NEXT) | instid1(VALU_DEP_3)
	v_xor_b32_e32 v37, v42, v37
	v_lshlrev_b32_e32 v2, 2, v2
	s_delay_alu instid0(VALU_DEP_3) | instskip(SKIP_4) | instid1(VALU_DEP_1)
	v_not_b32_e32 v43, v40
	ds_load_b32 v2, v2
	v_xor_b32_e32 v36, v43, v36
	s_waitcnt lgkmcnt(0)
	v_add_nc_u32_e32 v2, v2, v89
	v_lshlrev_b64 v[40:41], 3, v[2:3]
	s_delay_alu instid0(VALU_DEP_1) | instskip(NEXT) | instid1(VALU_DEP_1)
	v_add_co_u32 v40, s27, s48, v40
	v_add_co_ci_u32_e64 v41, s27, s49, v41, s27
	global_store_b64 v[40:41], v[36:37], off
	s_or_b32 exec_lo, exec_lo, s28
	v_cmp_lt_u32_e64 s27, v90, v177
	s_delay_alu instid0(VALU_DEP_1)
	s_and_saveexec_b32 s29, s27
	s_cbranch_execnz .LBB1258_1092
.LBB1258_1077:                          ;   in Loop: Header=BB1258_987 Depth=2
	s_or_b32 exec_lo, exec_lo, s29
	v_cmp_lt_u32_e64 s28, v91, v177
	s_delay_alu instid0(VALU_DEP_1)
	s_and_saveexec_b32 s30, s28
	s_cbranch_execz .LBB1258_1093
.LBB1258_1078:                          ;   in Loop: Header=BB1258_987 Depth=2
	ds_load_b64 v[36:37], v110 offset:24576
	s_waitcnt lgkmcnt(0)
	v_cmp_ne_u64_e64 s29, s[38:39], v[36:37]
	s_delay_alu instid0(VALU_DEP_1) | instskip(SKIP_2) | instid1(VALU_DEP_2)
	v_cndmask_b32_e64 v41, 0x80000000, v37, s29
	v_cndmask_b32_e64 v40, 0, v36, s29
	v_cmp_lt_i64_e64 s29, -1, v[36:37]
	v_lshrrev_b64 v[40:41], s40, v[40:41]
	s_delay_alu instid0(VALU_DEP_2) | instskip(NEXT) | instid1(VALU_DEP_2)
	v_cndmask_b32_e64 v42, 0x80000000, -1, s29
	v_and_b32_e32 v2, s42, v40
	v_ashrrev_i32_e32 v40, 31, v37
	s_delay_alu instid0(VALU_DEP_3) | instskip(NEXT) | instid1(VALU_DEP_3)
	v_xor_b32_e32 v37, v42, v37
	v_lshlrev_b32_e32 v2, 2, v2
	s_delay_alu instid0(VALU_DEP_3) | instskip(SKIP_4) | instid1(VALU_DEP_1)
	v_not_b32_e32 v43, v40
	ds_load_b32 v2, v2
	v_xor_b32_e32 v36, v43, v36
	s_waitcnt lgkmcnt(0)
	v_add_nc_u32_e32 v2, v2, v91
	v_lshlrev_b64 v[40:41], 3, v[2:3]
	s_delay_alu instid0(VALU_DEP_1) | instskip(NEXT) | instid1(VALU_DEP_1)
	v_add_co_u32 v40, s29, s48, v40
	v_add_co_ci_u32_e64 v41, s29, s49, v41, s29
	global_store_b64 v[40:41], v[36:37], off
	s_or_b32 exec_lo, exec_lo, s30
	v_cmp_lt_u32_e64 s29, v92, v177
	s_delay_alu instid0(VALU_DEP_1)
	s_and_saveexec_b32 s31, s29
	s_cbranch_execnz .LBB1258_1094
.LBB1258_1079:                          ;   in Loop: Header=BB1258_987 Depth=2
	s_or_b32 exec_lo, exec_lo, s31
	v_cmp_lt_u32_e64 s30, v93, v177
	s_delay_alu instid0(VALU_DEP_1)
	s_and_saveexec_b32 s33, s30
	s_cbranch_execz .LBB1258_1095
.LBB1258_1080:                          ;   in Loop: Header=BB1258_987 Depth=2
	ds_load_b64 v[36:37], v110 offset:28672
	s_waitcnt lgkmcnt(0)
	v_cmp_ne_u64_e64 s31, s[38:39], v[36:37]
	s_delay_alu instid0(VALU_DEP_1) | instskip(SKIP_2) | instid1(VALU_DEP_2)
	v_cndmask_b32_e64 v41, 0x80000000, v37, s31
	v_cndmask_b32_e64 v40, 0, v36, s31
	v_cmp_lt_i64_e64 s31, -1, v[36:37]
	v_lshrrev_b64 v[40:41], s40, v[40:41]
	s_delay_alu instid0(VALU_DEP_2) | instskip(NEXT) | instid1(VALU_DEP_2)
	v_cndmask_b32_e64 v42, 0x80000000, -1, s31
	v_and_b32_e32 v2, s42, v40
	v_ashrrev_i32_e32 v40, 31, v37
	s_delay_alu instid0(VALU_DEP_3) | instskip(NEXT) | instid1(VALU_DEP_3)
	v_xor_b32_e32 v37, v42, v37
	v_lshlrev_b32_e32 v2, 2, v2
	s_delay_alu instid0(VALU_DEP_3) | instskip(SKIP_4) | instid1(VALU_DEP_1)
	v_not_b32_e32 v43, v40
	ds_load_b32 v2, v2
	v_xor_b32_e32 v36, v43, v36
	s_waitcnt lgkmcnt(0)
	v_add_nc_u32_e32 v2, v2, v93
	v_lshlrev_b64 v[40:41], 3, v[2:3]
	s_delay_alu instid0(VALU_DEP_1) | instskip(NEXT) | instid1(VALU_DEP_1)
	v_add_co_u32 v40, s31, s48, v40
	v_add_co_ci_u32_e64 v41, s31, s49, v41, s31
	global_store_b64 v[40:41], v[36:37], off
	s_or_b32 exec_lo, exec_lo, s33
	v_cmp_lt_u32_e64 s31, v95, v177
	s_delay_alu instid0(VALU_DEP_1)
	s_and_saveexec_b32 s51, s31
	s_cbranch_execnz .LBB1258_1096
	s_branch .LBB1258_1097
.LBB1258_1081:                          ;   in Loop: Header=BB1258_987 Depth=2
	s_or_b32 exec_lo, exec_lo, s18
	v_cmp_lt_u32_e64 s17, v77, v177
	s_delay_alu instid0(VALU_DEP_1)
	s_and_saveexec_b32 s19, s17
	s_cbranch_execz .LBB1258_1067
.LBB1258_1082:                          ;   in Loop: Header=BB1258_987 Depth=2
	ds_load_b64 v[36:37], v110 offset:2048
	s_waitcnt lgkmcnt(0)
	v_cmp_ne_u64_e64 s18, s[38:39], v[36:37]
	s_delay_alu instid0(VALU_DEP_1) | instskip(SKIP_2) | instid1(VALU_DEP_2)
	v_cndmask_b32_e64 v41, 0x80000000, v37, s18
	v_cndmask_b32_e64 v40, 0, v36, s18
	v_cmp_lt_i64_e64 s18, -1, v[36:37]
	v_lshrrev_b64 v[40:41], s40, v[40:41]
	s_delay_alu instid0(VALU_DEP_2) | instskip(NEXT) | instid1(VALU_DEP_2)
	v_cndmask_b32_e64 v42, 0x80000000, -1, s18
	v_and_b32_e32 v2, s42, v40
	v_ashrrev_i32_e32 v40, 31, v37
	s_delay_alu instid0(VALU_DEP_3) | instskip(NEXT) | instid1(VALU_DEP_3)
	v_xor_b32_e32 v37, v42, v37
	v_lshlrev_b32_e32 v2, 2, v2
	s_delay_alu instid0(VALU_DEP_3) | instskip(SKIP_4) | instid1(VALU_DEP_1)
	v_not_b32_e32 v43, v40
	ds_load_b32 v2, v2
	v_xor_b32_e32 v36, v43, v36
	s_waitcnt lgkmcnt(0)
	v_add_nc_u32_e32 v2, v2, v77
	v_lshlrev_b64 v[40:41], 3, v[2:3]
	s_delay_alu instid0(VALU_DEP_1) | instskip(NEXT) | instid1(VALU_DEP_1)
	v_add_co_u32 v40, s18, s48, v40
	v_add_co_ci_u32_e64 v41, s18, s49, v41, s18
	global_store_b64 v[40:41], v[36:37], off
	s_or_b32 exec_lo, exec_lo, s19
	v_cmp_lt_u32_e64 s18, v78, v177
	s_delay_alu instid0(VALU_DEP_1)
	s_and_saveexec_b32 s20, s18
	s_cbranch_execnz .LBB1258_1068
.LBB1258_1083:                          ;   in Loop: Header=BB1258_987 Depth=2
	s_or_b32 exec_lo, exec_lo, s20
	v_cmp_lt_u32_e64 s19, v79, v177
	s_delay_alu instid0(VALU_DEP_1)
	s_and_saveexec_b32 s21, s19
	s_cbranch_execz .LBB1258_1069
.LBB1258_1084:                          ;   in Loop: Header=BB1258_987 Depth=2
	ds_load_b64 v[36:37], v110 offset:6144
	s_waitcnt lgkmcnt(0)
	v_cmp_ne_u64_e64 s20, s[38:39], v[36:37]
	s_delay_alu instid0(VALU_DEP_1) | instskip(SKIP_2) | instid1(VALU_DEP_2)
	v_cndmask_b32_e64 v41, 0x80000000, v37, s20
	v_cndmask_b32_e64 v40, 0, v36, s20
	v_cmp_lt_i64_e64 s20, -1, v[36:37]
	v_lshrrev_b64 v[40:41], s40, v[40:41]
	s_delay_alu instid0(VALU_DEP_2) | instskip(NEXT) | instid1(VALU_DEP_2)
	v_cndmask_b32_e64 v42, 0x80000000, -1, s20
	v_and_b32_e32 v2, s42, v40
	v_ashrrev_i32_e32 v40, 31, v37
	s_delay_alu instid0(VALU_DEP_3) | instskip(NEXT) | instid1(VALU_DEP_3)
	v_xor_b32_e32 v37, v42, v37
	v_lshlrev_b32_e32 v2, 2, v2
	s_delay_alu instid0(VALU_DEP_3) | instskip(SKIP_4) | instid1(VALU_DEP_1)
	v_not_b32_e32 v43, v40
	ds_load_b32 v2, v2
	v_xor_b32_e32 v36, v43, v36
	s_waitcnt lgkmcnt(0)
	v_add_nc_u32_e32 v2, v2, v79
	v_lshlrev_b64 v[40:41], 3, v[2:3]
	s_delay_alu instid0(VALU_DEP_1) | instskip(NEXT) | instid1(VALU_DEP_1)
	v_add_co_u32 v40, s20, s48, v40
	v_add_co_ci_u32_e64 v41, s20, s49, v41, s20
	global_store_b64 v[40:41], v[36:37], off
	s_or_b32 exec_lo, exec_lo, s21
	v_cmp_lt_u32_e64 s20, v83, v177
	s_delay_alu instid0(VALU_DEP_1)
	s_and_saveexec_b32 s22, s20
	s_cbranch_execnz .LBB1258_1070
.LBB1258_1085:                          ;   in Loop: Header=BB1258_987 Depth=2
	s_or_b32 exec_lo, exec_lo, s22
	v_cmp_lt_u32_e64 s21, v84, v177
	s_delay_alu instid0(VALU_DEP_1)
	s_and_saveexec_b32 s23, s21
	s_cbranch_execz .LBB1258_1071
.LBB1258_1086:                          ;   in Loop: Header=BB1258_987 Depth=2
	ds_load_b64 v[36:37], v110 offset:10240
	s_waitcnt lgkmcnt(0)
	v_cmp_ne_u64_e64 s22, s[38:39], v[36:37]
	s_delay_alu instid0(VALU_DEP_1) | instskip(SKIP_2) | instid1(VALU_DEP_2)
	v_cndmask_b32_e64 v41, 0x80000000, v37, s22
	v_cndmask_b32_e64 v40, 0, v36, s22
	v_cmp_lt_i64_e64 s22, -1, v[36:37]
	v_lshrrev_b64 v[40:41], s40, v[40:41]
	s_delay_alu instid0(VALU_DEP_2) | instskip(NEXT) | instid1(VALU_DEP_2)
	v_cndmask_b32_e64 v42, 0x80000000, -1, s22
	v_and_b32_e32 v2, s42, v40
	v_ashrrev_i32_e32 v40, 31, v37
	s_delay_alu instid0(VALU_DEP_3) | instskip(NEXT) | instid1(VALU_DEP_3)
	v_xor_b32_e32 v37, v42, v37
	v_lshlrev_b32_e32 v2, 2, v2
	s_delay_alu instid0(VALU_DEP_3) | instskip(SKIP_4) | instid1(VALU_DEP_1)
	v_not_b32_e32 v43, v40
	ds_load_b32 v2, v2
	v_xor_b32_e32 v36, v43, v36
	s_waitcnt lgkmcnt(0)
	v_add_nc_u32_e32 v2, v2, v84
	v_lshlrev_b64 v[40:41], 3, v[2:3]
	s_delay_alu instid0(VALU_DEP_1) | instskip(NEXT) | instid1(VALU_DEP_1)
	v_add_co_u32 v40, s22, s48, v40
	v_add_co_ci_u32_e64 v41, s22, s49, v41, s22
	global_store_b64 v[40:41], v[36:37], off
	s_or_b32 exec_lo, exec_lo, s23
	v_cmp_lt_u32_e64 s22, v85, v177
	s_delay_alu instid0(VALU_DEP_1)
	s_and_saveexec_b32 s24, s22
	s_cbranch_execnz .LBB1258_1072
.LBB1258_1087:                          ;   in Loop: Header=BB1258_987 Depth=2
	s_or_b32 exec_lo, exec_lo, s24
	v_cmp_lt_u32_e64 s23, v86, v177
	s_delay_alu instid0(VALU_DEP_1)
	s_and_saveexec_b32 s25, s23
	s_cbranch_execz .LBB1258_1073
.LBB1258_1088:                          ;   in Loop: Header=BB1258_987 Depth=2
	ds_load_b64 v[36:37], v110 offset:14336
	s_waitcnt lgkmcnt(0)
	v_cmp_ne_u64_e64 s24, s[38:39], v[36:37]
	s_delay_alu instid0(VALU_DEP_1) | instskip(SKIP_2) | instid1(VALU_DEP_2)
	v_cndmask_b32_e64 v41, 0x80000000, v37, s24
	v_cndmask_b32_e64 v40, 0, v36, s24
	v_cmp_lt_i64_e64 s24, -1, v[36:37]
	v_lshrrev_b64 v[40:41], s40, v[40:41]
	s_delay_alu instid0(VALU_DEP_2) | instskip(NEXT) | instid1(VALU_DEP_2)
	v_cndmask_b32_e64 v42, 0x80000000, -1, s24
	v_and_b32_e32 v2, s42, v40
	v_ashrrev_i32_e32 v40, 31, v37
	s_delay_alu instid0(VALU_DEP_3) | instskip(NEXT) | instid1(VALU_DEP_3)
	v_xor_b32_e32 v37, v42, v37
	v_lshlrev_b32_e32 v2, 2, v2
	s_delay_alu instid0(VALU_DEP_3) | instskip(SKIP_4) | instid1(VALU_DEP_1)
	v_not_b32_e32 v43, v40
	ds_load_b32 v2, v2
	v_xor_b32_e32 v36, v43, v36
	s_waitcnt lgkmcnt(0)
	v_add_nc_u32_e32 v2, v2, v86
	v_lshlrev_b64 v[40:41], 3, v[2:3]
	s_delay_alu instid0(VALU_DEP_1) | instskip(NEXT) | instid1(VALU_DEP_1)
	v_add_co_u32 v40, s24, s48, v40
	v_add_co_ci_u32_e64 v41, s24, s49, v41, s24
	global_store_b64 v[40:41], v[36:37], off
	s_or_b32 exec_lo, exec_lo, s25
	v_cmp_lt_u32_e64 s24, v87, v177
	s_delay_alu instid0(VALU_DEP_1)
	s_and_saveexec_b32 s26, s24
	s_cbranch_execnz .LBB1258_1074
.LBB1258_1089:                          ;   in Loop: Header=BB1258_987 Depth=2
	s_or_b32 exec_lo, exec_lo, s26
	v_cmp_lt_u32_e64 s25, v88, v177
	s_delay_alu instid0(VALU_DEP_1)
	s_and_saveexec_b32 s27, s25
	s_cbranch_execz .LBB1258_1075
.LBB1258_1090:                          ;   in Loop: Header=BB1258_987 Depth=2
	ds_load_b64 v[36:37], v110 offset:18432
	s_waitcnt lgkmcnt(0)
	v_cmp_ne_u64_e64 s26, s[38:39], v[36:37]
	s_delay_alu instid0(VALU_DEP_1) | instskip(SKIP_2) | instid1(VALU_DEP_2)
	v_cndmask_b32_e64 v41, 0x80000000, v37, s26
	v_cndmask_b32_e64 v40, 0, v36, s26
	v_cmp_lt_i64_e64 s26, -1, v[36:37]
	v_lshrrev_b64 v[40:41], s40, v[40:41]
	s_delay_alu instid0(VALU_DEP_2) | instskip(NEXT) | instid1(VALU_DEP_2)
	v_cndmask_b32_e64 v42, 0x80000000, -1, s26
	v_and_b32_e32 v2, s42, v40
	v_ashrrev_i32_e32 v40, 31, v37
	s_delay_alu instid0(VALU_DEP_3) | instskip(NEXT) | instid1(VALU_DEP_3)
	v_xor_b32_e32 v37, v42, v37
	v_lshlrev_b32_e32 v2, 2, v2
	s_delay_alu instid0(VALU_DEP_3) | instskip(SKIP_4) | instid1(VALU_DEP_1)
	v_not_b32_e32 v43, v40
	ds_load_b32 v2, v2
	v_xor_b32_e32 v36, v43, v36
	s_waitcnt lgkmcnt(0)
	v_add_nc_u32_e32 v2, v2, v88
	v_lshlrev_b64 v[40:41], 3, v[2:3]
	s_delay_alu instid0(VALU_DEP_1) | instskip(NEXT) | instid1(VALU_DEP_1)
	v_add_co_u32 v40, s26, s48, v40
	v_add_co_ci_u32_e64 v41, s26, s49, v41, s26
	global_store_b64 v[40:41], v[36:37], off
	s_or_b32 exec_lo, exec_lo, s27
	v_cmp_lt_u32_e64 s26, v89, v177
	s_delay_alu instid0(VALU_DEP_1)
	s_and_saveexec_b32 s28, s26
	s_cbranch_execnz .LBB1258_1076
.LBB1258_1091:                          ;   in Loop: Header=BB1258_987 Depth=2
	s_or_b32 exec_lo, exec_lo, s28
	v_cmp_lt_u32_e64 s27, v90, v177
	s_delay_alu instid0(VALU_DEP_1)
	s_and_saveexec_b32 s29, s27
	s_cbranch_execz .LBB1258_1077
.LBB1258_1092:                          ;   in Loop: Header=BB1258_987 Depth=2
	ds_load_b64 v[36:37], v110 offset:22528
	s_waitcnt lgkmcnt(0)
	v_cmp_ne_u64_e64 s28, s[38:39], v[36:37]
	s_delay_alu instid0(VALU_DEP_1) | instskip(SKIP_2) | instid1(VALU_DEP_2)
	v_cndmask_b32_e64 v41, 0x80000000, v37, s28
	v_cndmask_b32_e64 v40, 0, v36, s28
	v_cmp_lt_i64_e64 s28, -1, v[36:37]
	v_lshrrev_b64 v[40:41], s40, v[40:41]
	s_delay_alu instid0(VALU_DEP_2) | instskip(NEXT) | instid1(VALU_DEP_2)
	v_cndmask_b32_e64 v42, 0x80000000, -1, s28
	v_and_b32_e32 v2, s42, v40
	v_ashrrev_i32_e32 v40, 31, v37
	s_delay_alu instid0(VALU_DEP_3) | instskip(NEXT) | instid1(VALU_DEP_3)
	v_xor_b32_e32 v37, v42, v37
	v_lshlrev_b32_e32 v2, 2, v2
	s_delay_alu instid0(VALU_DEP_3) | instskip(SKIP_4) | instid1(VALU_DEP_1)
	v_not_b32_e32 v43, v40
	ds_load_b32 v2, v2
	v_xor_b32_e32 v36, v43, v36
	s_waitcnt lgkmcnt(0)
	v_add_nc_u32_e32 v2, v2, v90
	v_lshlrev_b64 v[40:41], 3, v[2:3]
	s_delay_alu instid0(VALU_DEP_1) | instskip(NEXT) | instid1(VALU_DEP_1)
	v_add_co_u32 v40, s28, s48, v40
	v_add_co_ci_u32_e64 v41, s28, s49, v41, s28
	global_store_b64 v[40:41], v[36:37], off
	s_or_b32 exec_lo, exec_lo, s29
	v_cmp_lt_u32_e64 s28, v91, v177
	s_delay_alu instid0(VALU_DEP_1)
	s_and_saveexec_b32 s30, s28
	s_cbranch_execnz .LBB1258_1078
.LBB1258_1093:                          ;   in Loop: Header=BB1258_987 Depth=2
	s_or_b32 exec_lo, exec_lo, s30
	v_cmp_lt_u32_e64 s29, v92, v177
	s_delay_alu instid0(VALU_DEP_1)
	s_and_saveexec_b32 s31, s29
	s_cbranch_execz .LBB1258_1079
.LBB1258_1094:                          ;   in Loop: Header=BB1258_987 Depth=2
	ds_load_b64 v[36:37], v110 offset:26624
	s_waitcnt lgkmcnt(0)
	v_cmp_ne_u64_e64 s30, s[38:39], v[36:37]
	s_delay_alu instid0(VALU_DEP_1) | instskip(SKIP_2) | instid1(VALU_DEP_2)
	v_cndmask_b32_e64 v41, 0x80000000, v37, s30
	v_cndmask_b32_e64 v40, 0, v36, s30
	v_cmp_lt_i64_e64 s30, -1, v[36:37]
	v_lshrrev_b64 v[40:41], s40, v[40:41]
	s_delay_alu instid0(VALU_DEP_2) | instskip(NEXT) | instid1(VALU_DEP_2)
	v_cndmask_b32_e64 v42, 0x80000000, -1, s30
	v_and_b32_e32 v2, s42, v40
	v_ashrrev_i32_e32 v40, 31, v37
	s_delay_alu instid0(VALU_DEP_3) | instskip(NEXT) | instid1(VALU_DEP_3)
	v_xor_b32_e32 v37, v42, v37
	v_lshlrev_b32_e32 v2, 2, v2
	s_delay_alu instid0(VALU_DEP_3) | instskip(SKIP_4) | instid1(VALU_DEP_1)
	v_not_b32_e32 v43, v40
	ds_load_b32 v2, v2
	v_xor_b32_e32 v36, v43, v36
	s_waitcnt lgkmcnt(0)
	v_add_nc_u32_e32 v2, v2, v92
	v_lshlrev_b64 v[40:41], 3, v[2:3]
	s_delay_alu instid0(VALU_DEP_1) | instskip(NEXT) | instid1(VALU_DEP_1)
	v_add_co_u32 v40, s30, s48, v40
	v_add_co_ci_u32_e64 v41, s30, s49, v41, s30
	global_store_b64 v[40:41], v[36:37], off
	s_or_b32 exec_lo, exec_lo, s31
	v_cmp_lt_u32_e64 s30, v93, v177
	s_delay_alu instid0(VALU_DEP_1)
	s_and_saveexec_b32 s33, s30
	s_cbranch_execnz .LBB1258_1080
.LBB1258_1095:                          ;   in Loop: Header=BB1258_987 Depth=2
	s_or_b32 exec_lo, exec_lo, s33
	v_cmp_lt_u32_e64 s31, v95, v177
	s_delay_alu instid0(VALU_DEP_1)
	s_and_saveexec_b32 s51, s31
	s_cbranch_execz .LBB1258_1097
.LBB1258_1096:                          ;   in Loop: Header=BB1258_987 Depth=2
	ds_load_b64 v[36:37], v110 offset:30720
	s_waitcnt lgkmcnt(0)
	v_cmp_ne_u64_e64 s33, s[38:39], v[36:37]
	s_delay_alu instid0(VALU_DEP_1) | instskip(SKIP_2) | instid1(VALU_DEP_2)
	v_cndmask_b32_e64 v41, 0x80000000, v37, s33
	v_cndmask_b32_e64 v40, 0, v36, s33
	v_cmp_lt_i64_e64 s33, -1, v[36:37]
	v_lshrrev_b64 v[40:41], s40, v[40:41]
	s_delay_alu instid0(VALU_DEP_2) | instskip(NEXT) | instid1(VALU_DEP_2)
	v_cndmask_b32_e64 v42, 0x80000000, -1, s33
	v_and_b32_e32 v2, s42, v40
	v_ashrrev_i32_e32 v40, 31, v37
	s_delay_alu instid0(VALU_DEP_3) | instskip(NEXT) | instid1(VALU_DEP_3)
	v_xor_b32_e32 v37, v42, v37
	v_lshlrev_b32_e32 v2, 2, v2
	s_delay_alu instid0(VALU_DEP_3) | instskip(SKIP_4) | instid1(VALU_DEP_1)
	v_not_b32_e32 v43, v40
	ds_load_b32 v2, v2
	v_xor_b32_e32 v36, v43, v36
	s_waitcnt lgkmcnt(0)
	v_add_nc_u32_e32 v2, v2, v95
	v_lshlrev_b64 v[40:41], 3, v[2:3]
	s_delay_alu instid0(VALU_DEP_1) | instskip(NEXT) | instid1(VALU_DEP_1)
	v_add_co_u32 v40, s33, s48, v40
	v_add_co_ci_u32_e64 v41, s33, s49, v41, s33
	global_store_b64 v[40:41], v[36:37], off
.LBB1258_1097:                          ;   in Loop: Header=BB1258_987 Depth=2
	s_or_b32 exec_lo, exec_lo, s51
	s_lshl_b64 s[64:65], s[34:35], 3
	s_delay_alu instid0(SALU_CYCLE_1) | instskip(NEXT) | instid1(VALU_DEP_1)
	v_add_co_u32 v36, s33, v139, s64
	v_add_co_ci_u32_e64 v37, s33, s65, v140, s33
	v_cmp_lt_u32_e64 s33, v138, v177
	s_delay_alu instid0(VALU_DEP_1) | instskip(NEXT) | instid1(SALU_CYCLE_1)
	s_and_saveexec_b32 s34, s33
	s_xor_b32 s33, exec_lo, s34
	s_cbranch_execz .LBB1258_1129
; %bb.1098:                             ;   in Loop: Header=BB1258_987 Depth=2
	global_load_b64 v[34:35], v[36:37], off
	s_or_b32 exec_lo, exec_lo, s33
	s_delay_alu instid0(SALU_CYCLE_1)
	s_mov_b32 s34, exec_lo
	v_cmpx_lt_u32_e64 v141, v177
	s_cbranch_execnz .LBB1258_1130
.LBB1258_1099:                          ;   in Loop: Header=BB1258_987 Depth=2
	s_or_b32 exec_lo, exec_lo, s34
	s_delay_alu instid0(SALU_CYCLE_1)
	s_mov_b32 s34, exec_lo
	v_cmpx_lt_u32_e64 v142, v177
	s_cbranch_execz .LBB1258_1131
.LBB1258_1100:                          ;   in Loop: Header=BB1258_987 Depth=2
	global_load_b64 v[30:31], v[36:37], off offset:512
	s_or_b32 exec_lo, exec_lo, s34
	s_delay_alu instid0(SALU_CYCLE_1)
	s_mov_b32 s34, exec_lo
	v_cmpx_lt_u32_e64 v143, v177
	s_cbranch_execnz .LBB1258_1132
.LBB1258_1101:                          ;   in Loop: Header=BB1258_987 Depth=2
	s_or_b32 exec_lo, exec_lo, s34
	s_delay_alu instid0(SALU_CYCLE_1)
	s_mov_b32 s34, exec_lo
	v_cmpx_lt_u32_e64 v144, v177
	s_cbranch_execz .LBB1258_1133
.LBB1258_1102:                          ;   in Loop: Header=BB1258_987 Depth=2
	global_load_b64 v[26:27], v[36:37], off offset:1024
	s_or_b32 exec_lo, exec_lo, s34
	s_delay_alu instid0(SALU_CYCLE_1)
	s_mov_b32 s34, exec_lo
	v_cmpx_lt_u32_e64 v145, v177
	s_cbranch_execnz .LBB1258_1134
.LBB1258_1103:                          ;   in Loop: Header=BB1258_987 Depth=2
	s_or_b32 exec_lo, exec_lo, s34
	s_delay_alu instid0(SALU_CYCLE_1)
	s_mov_b32 s34, exec_lo
	v_cmpx_lt_u32_e64 v146, v177
	s_cbranch_execz .LBB1258_1135
.LBB1258_1104:                          ;   in Loop: Header=BB1258_987 Depth=2
	global_load_b64 v[22:23], v[36:37], off offset:1536
	s_or_b32 exec_lo, exec_lo, s34
	s_delay_alu instid0(SALU_CYCLE_1)
	s_mov_b32 s34, exec_lo
	v_cmpx_lt_u32_e64 v147, v177
	s_cbranch_execnz .LBB1258_1136
.LBB1258_1105:                          ;   in Loop: Header=BB1258_987 Depth=2
	s_or_b32 exec_lo, exec_lo, s34
	s_delay_alu instid0(SALU_CYCLE_1)
	s_mov_b32 s34, exec_lo
	v_cmpx_lt_u32_e64 v148, v177
	s_cbranch_execz .LBB1258_1137
.LBB1258_1106:                          ;   in Loop: Header=BB1258_987 Depth=2
	global_load_b64 v[18:19], v[36:37], off offset:2048
	s_or_b32 exec_lo, exec_lo, s34
	s_delay_alu instid0(SALU_CYCLE_1)
	s_mov_b32 s34, exec_lo
	v_cmpx_lt_u32_e64 v149, v177
	s_cbranch_execnz .LBB1258_1138
.LBB1258_1107:                          ;   in Loop: Header=BB1258_987 Depth=2
	s_or_b32 exec_lo, exec_lo, s34
	s_delay_alu instid0(SALU_CYCLE_1)
	s_mov_b32 s34, exec_lo
	v_cmpx_lt_u32_e64 v150, v177
	s_cbranch_execz .LBB1258_1139
.LBB1258_1108:                          ;   in Loop: Header=BB1258_987 Depth=2
	global_load_b64 v[14:15], v[36:37], off offset:2560
	s_or_b32 exec_lo, exec_lo, s34
	s_delay_alu instid0(SALU_CYCLE_1)
	s_mov_b32 s34, exec_lo
	v_cmpx_lt_u32_e64 v151, v177
	s_cbranch_execnz .LBB1258_1140
.LBB1258_1109:                          ;   in Loop: Header=BB1258_987 Depth=2
	s_or_b32 exec_lo, exec_lo, s34
	s_delay_alu instid0(SALU_CYCLE_1)
	s_mov_b32 s34, exec_lo
	v_cmpx_lt_u32_e64 v152, v177
	s_cbranch_execz .LBB1258_1141
.LBB1258_1110:                          ;   in Loop: Header=BB1258_987 Depth=2
	global_load_b64 v[10:11], v[36:37], off offset:3072
	s_or_b32 exec_lo, exec_lo, s34
	s_delay_alu instid0(SALU_CYCLE_1)
	s_mov_b32 s34, exec_lo
	v_cmpx_lt_u32_e64 v153, v177
	s_cbranch_execnz .LBB1258_1142
.LBB1258_1111:                          ;   in Loop: Header=BB1258_987 Depth=2
	s_or_b32 exec_lo, exec_lo, s34
	s_delay_alu instid0(SALU_CYCLE_1)
	s_mov_b32 s34, exec_lo
	v_cmpx_lt_u32_e64 v154, v177
	s_cbranch_execz .LBB1258_1143
.LBB1258_1112:                          ;   in Loop: Header=BB1258_987 Depth=2
	global_load_b64 v[6:7], v[36:37], off offset:3584
	s_or_b32 exec_lo, exec_lo, s34
	s_delay_alu instid0(SALU_CYCLE_1)
	s_mov_b32 s34, exec_lo
	v_cmpx_lt_u32_e64 v155, v177
	s_cbranch_execnz .LBB1258_1144
.LBB1258_1113:                          ;   in Loop: Header=BB1258_987 Depth=2
	s_or_b32 exec_lo, exec_lo, s34
	s_and_saveexec_b32 s34, vcc_lo
	s_cbranch_execz .LBB1258_1145
.LBB1258_1114:                          ;   in Loop: Header=BB1258_987 Depth=2
	ds_load_b64 v[36:37], v38 offset:1024
	s_waitcnt lgkmcnt(0)
	v_cmp_ne_u64_e64 s33, s[38:39], v[36:37]
	s_delay_alu instid0(VALU_DEP_1) | instskip(SKIP_1) | instid1(VALU_DEP_1)
	v_cndmask_b32_e64 v37, 0x80000000, v37, s33
	v_cndmask_b32_e64 v36, 0, v36, s33
	v_lshrrev_b64 v[36:37], s40, v[36:37]
	s_delay_alu instid0(VALU_DEP_1)
	v_and_b32_e32 v176, s42, v36
	s_or_b32 exec_lo, exec_lo, s34
	s_and_saveexec_b32 s34, s17
	s_cbranch_execnz .LBB1258_1146
.LBB1258_1115:                          ;   in Loop: Header=BB1258_987 Depth=2
	s_or_b32 exec_lo, exec_lo, s34
	s_and_saveexec_b32 s34, s18
	s_cbranch_execz .LBB1258_1147
.LBB1258_1116:                          ;   in Loop: Header=BB1258_987 Depth=2
	ds_load_b64 v[36:37], v110 offset:4096
	s_waitcnt lgkmcnt(0)
	v_cmp_ne_u64_e64 s33, s[38:39], v[36:37]
	s_delay_alu instid0(VALU_DEP_1) | instskip(SKIP_1) | instid1(VALU_DEP_1)
	v_cndmask_b32_e64 v37, 0x80000000, v37, s33
	v_cndmask_b32_e64 v36, 0, v36, s33
	v_lshrrev_b64 v[36:37], s40, v[36:37]
	s_delay_alu instid0(VALU_DEP_1)
	v_and_b32_e32 v174, s42, v36
	s_or_b32 exec_lo, exec_lo, s34
	s_and_saveexec_b32 s34, s19
	s_cbranch_execnz .LBB1258_1148
.LBB1258_1117:                          ;   in Loop: Header=BB1258_987 Depth=2
	s_or_b32 exec_lo, exec_lo, s34
	s_and_saveexec_b32 s34, s20
	s_cbranch_execz .LBB1258_1149
.LBB1258_1118:                          ;   in Loop: Header=BB1258_987 Depth=2
	ds_load_b64 v[36:37], v110 offset:8192
	s_waitcnt lgkmcnt(0)
	v_cmp_ne_u64_e64 s33, s[38:39], v[36:37]
	s_delay_alu instid0(VALU_DEP_1) | instskip(SKIP_1) | instid1(VALU_DEP_1)
	v_cndmask_b32_e64 v37, 0x80000000, v37, s33
	v_cndmask_b32_e64 v36, 0, v36, s33
	v_lshrrev_b64 v[36:37], s40, v[36:37]
	s_delay_alu instid0(VALU_DEP_1)
	v_and_b32_e32 v172, s42, v36
	s_or_b32 exec_lo, exec_lo, s34
	s_and_saveexec_b32 s34, s21
	s_cbranch_execnz .LBB1258_1150
.LBB1258_1119:                          ;   in Loop: Header=BB1258_987 Depth=2
	s_or_b32 exec_lo, exec_lo, s34
	s_and_saveexec_b32 s34, s22
	s_cbranch_execz .LBB1258_1151
.LBB1258_1120:                          ;   in Loop: Header=BB1258_987 Depth=2
	ds_load_b64 v[36:37], v110 offset:12288
	s_waitcnt lgkmcnt(0)
	v_cmp_ne_u64_e64 s33, s[38:39], v[36:37]
	s_delay_alu instid0(VALU_DEP_1) | instskip(SKIP_1) | instid1(VALU_DEP_1)
	v_cndmask_b32_e64 v37, 0x80000000, v37, s33
	v_cndmask_b32_e64 v36, 0, v36, s33
	v_lshrrev_b64 v[36:37], s40, v[36:37]
	s_delay_alu instid0(VALU_DEP_1)
	v_and_b32_e32 v170, s42, v36
	s_or_b32 exec_lo, exec_lo, s34
	s_and_saveexec_b32 s34, s23
	s_cbranch_execnz .LBB1258_1152
.LBB1258_1121:                          ;   in Loop: Header=BB1258_987 Depth=2
	s_or_b32 exec_lo, exec_lo, s34
	s_and_saveexec_b32 s34, s24
	s_cbranch_execz .LBB1258_1153
.LBB1258_1122:                          ;   in Loop: Header=BB1258_987 Depth=2
	ds_load_b64 v[36:37], v110 offset:16384
	s_waitcnt lgkmcnt(0)
	v_cmp_ne_u64_e64 s33, s[38:39], v[36:37]
	s_delay_alu instid0(VALU_DEP_1) | instskip(SKIP_1) | instid1(VALU_DEP_1)
	v_cndmask_b32_e64 v37, 0x80000000, v37, s33
	v_cndmask_b32_e64 v36, 0, v36, s33
	v_lshrrev_b64 v[36:37], s40, v[36:37]
	s_delay_alu instid0(VALU_DEP_1)
	v_and_b32_e32 v168, s42, v36
	s_or_b32 exec_lo, exec_lo, s34
	s_and_saveexec_b32 s34, s25
	s_cbranch_execnz .LBB1258_1154
.LBB1258_1123:                          ;   in Loop: Header=BB1258_987 Depth=2
	s_or_b32 exec_lo, exec_lo, s34
	s_and_saveexec_b32 s34, s26
	s_cbranch_execz .LBB1258_1155
.LBB1258_1124:                          ;   in Loop: Header=BB1258_987 Depth=2
	ds_load_b64 v[36:37], v110 offset:20480
	s_waitcnt lgkmcnt(0)
	v_cmp_ne_u64_e64 s33, s[38:39], v[36:37]
	s_delay_alu instid0(VALU_DEP_1) | instskip(SKIP_1) | instid1(VALU_DEP_1)
	v_cndmask_b32_e64 v37, 0x80000000, v37, s33
	v_cndmask_b32_e64 v36, 0, v36, s33
	v_lshrrev_b64 v[36:37], s40, v[36:37]
	s_delay_alu instid0(VALU_DEP_1)
	v_and_b32_e32 v166, s42, v36
	s_or_b32 exec_lo, exec_lo, s34
	s_and_saveexec_b32 s34, s27
	s_cbranch_execnz .LBB1258_1156
.LBB1258_1125:                          ;   in Loop: Header=BB1258_987 Depth=2
	s_or_b32 exec_lo, exec_lo, s34
	s_and_saveexec_b32 s34, s28
	s_cbranch_execz .LBB1258_1157
.LBB1258_1126:                          ;   in Loop: Header=BB1258_987 Depth=2
	ds_load_b64 v[36:37], v110 offset:24576
	s_waitcnt lgkmcnt(0)
	v_cmp_ne_u64_e64 s33, s[38:39], v[36:37]
	s_delay_alu instid0(VALU_DEP_1) | instskip(SKIP_1) | instid1(VALU_DEP_1)
	v_cndmask_b32_e64 v37, 0x80000000, v37, s33
	v_cndmask_b32_e64 v36, 0, v36, s33
	v_lshrrev_b64 v[36:37], s40, v[36:37]
	s_delay_alu instid0(VALU_DEP_1)
	v_and_b32_e32 v164, s42, v36
	s_or_b32 exec_lo, exec_lo, s34
	s_and_saveexec_b32 s34, s29
	s_cbranch_execnz .LBB1258_1158
.LBB1258_1127:                          ;   in Loop: Header=BB1258_987 Depth=2
	s_or_b32 exec_lo, exec_lo, s34
	s_and_saveexec_b32 s34, s30
	s_cbranch_execz .LBB1258_1159
.LBB1258_1128:                          ;   in Loop: Header=BB1258_987 Depth=2
	ds_load_b64 v[36:37], v110 offset:28672
	s_waitcnt lgkmcnt(0)
	v_cmp_ne_u64_e64 s33, s[38:39], v[36:37]
	s_delay_alu instid0(VALU_DEP_1) | instskip(SKIP_1) | instid1(VALU_DEP_1)
	v_cndmask_b32_e64 v37, 0x80000000, v37, s33
	v_cndmask_b32_e64 v36, 0, v36, s33
	v_lshrrev_b64 v[36:37], s40, v[36:37]
	s_delay_alu instid0(VALU_DEP_1)
	v_and_b32_e32 v162, s42, v36
	s_or_b32 exec_lo, exec_lo, s34
	s_and_saveexec_b32 s34, s31
	s_cbranch_execnz .LBB1258_1160
	s_branch .LBB1258_1161
.LBB1258_1129:                          ;   in Loop: Header=BB1258_987 Depth=2
	s_or_b32 exec_lo, exec_lo, s33
	s_delay_alu instid0(SALU_CYCLE_1)
	s_mov_b32 s34, exec_lo
	v_cmpx_lt_u32_e64 v141, v177
	s_cbranch_execz .LBB1258_1099
.LBB1258_1130:                          ;   in Loop: Header=BB1258_987 Depth=2
	global_load_b64 v[32:33], v[36:37], off offset:256
	s_or_b32 exec_lo, exec_lo, s34
	s_delay_alu instid0(SALU_CYCLE_1)
	s_mov_b32 s34, exec_lo
	v_cmpx_lt_u32_e64 v142, v177
	s_cbranch_execnz .LBB1258_1100
.LBB1258_1131:                          ;   in Loop: Header=BB1258_987 Depth=2
	s_or_b32 exec_lo, exec_lo, s34
	s_delay_alu instid0(SALU_CYCLE_1)
	s_mov_b32 s34, exec_lo
	v_cmpx_lt_u32_e64 v143, v177
	s_cbranch_execz .LBB1258_1101
.LBB1258_1132:                          ;   in Loop: Header=BB1258_987 Depth=2
	global_load_b64 v[28:29], v[36:37], off offset:768
	s_or_b32 exec_lo, exec_lo, s34
	s_delay_alu instid0(SALU_CYCLE_1)
	s_mov_b32 s34, exec_lo
	v_cmpx_lt_u32_e64 v144, v177
	s_cbranch_execnz .LBB1258_1102
.LBB1258_1133:                          ;   in Loop: Header=BB1258_987 Depth=2
	s_or_b32 exec_lo, exec_lo, s34
	s_delay_alu instid0(SALU_CYCLE_1)
	s_mov_b32 s34, exec_lo
	v_cmpx_lt_u32_e64 v145, v177
	s_cbranch_execz .LBB1258_1103
.LBB1258_1134:                          ;   in Loop: Header=BB1258_987 Depth=2
	global_load_b64 v[24:25], v[36:37], off offset:1280
	s_or_b32 exec_lo, exec_lo, s34
	s_delay_alu instid0(SALU_CYCLE_1)
	s_mov_b32 s34, exec_lo
	v_cmpx_lt_u32_e64 v146, v177
	s_cbranch_execnz .LBB1258_1104
.LBB1258_1135:                          ;   in Loop: Header=BB1258_987 Depth=2
	s_or_b32 exec_lo, exec_lo, s34
	s_delay_alu instid0(SALU_CYCLE_1)
	s_mov_b32 s34, exec_lo
	v_cmpx_lt_u32_e64 v147, v177
	s_cbranch_execz .LBB1258_1105
.LBB1258_1136:                          ;   in Loop: Header=BB1258_987 Depth=2
	global_load_b64 v[20:21], v[36:37], off offset:1792
	s_or_b32 exec_lo, exec_lo, s34
	s_delay_alu instid0(SALU_CYCLE_1)
	s_mov_b32 s34, exec_lo
	v_cmpx_lt_u32_e64 v148, v177
	s_cbranch_execnz .LBB1258_1106
.LBB1258_1137:                          ;   in Loop: Header=BB1258_987 Depth=2
	s_or_b32 exec_lo, exec_lo, s34
	s_delay_alu instid0(SALU_CYCLE_1)
	s_mov_b32 s34, exec_lo
	v_cmpx_lt_u32_e64 v149, v177
	s_cbranch_execz .LBB1258_1107
.LBB1258_1138:                          ;   in Loop: Header=BB1258_987 Depth=2
	global_load_b64 v[16:17], v[36:37], off offset:2304
	s_or_b32 exec_lo, exec_lo, s34
	s_delay_alu instid0(SALU_CYCLE_1)
	s_mov_b32 s34, exec_lo
	v_cmpx_lt_u32_e64 v150, v177
	s_cbranch_execnz .LBB1258_1108
.LBB1258_1139:                          ;   in Loop: Header=BB1258_987 Depth=2
	s_or_b32 exec_lo, exec_lo, s34
	s_delay_alu instid0(SALU_CYCLE_1)
	s_mov_b32 s34, exec_lo
	v_cmpx_lt_u32_e64 v151, v177
	s_cbranch_execz .LBB1258_1109
.LBB1258_1140:                          ;   in Loop: Header=BB1258_987 Depth=2
	global_load_b64 v[12:13], v[36:37], off offset:2816
	s_or_b32 exec_lo, exec_lo, s34
	s_delay_alu instid0(SALU_CYCLE_1)
	s_mov_b32 s34, exec_lo
	v_cmpx_lt_u32_e64 v152, v177
	s_cbranch_execnz .LBB1258_1110
.LBB1258_1141:                          ;   in Loop: Header=BB1258_987 Depth=2
	s_or_b32 exec_lo, exec_lo, s34
	s_delay_alu instid0(SALU_CYCLE_1)
	s_mov_b32 s34, exec_lo
	v_cmpx_lt_u32_e64 v153, v177
	s_cbranch_execz .LBB1258_1111
.LBB1258_1142:                          ;   in Loop: Header=BB1258_987 Depth=2
	global_load_b64 v[8:9], v[36:37], off offset:3328
	s_or_b32 exec_lo, exec_lo, s34
	s_delay_alu instid0(SALU_CYCLE_1)
	s_mov_b32 s34, exec_lo
	v_cmpx_lt_u32_e64 v154, v177
	s_cbranch_execnz .LBB1258_1112
.LBB1258_1143:                          ;   in Loop: Header=BB1258_987 Depth=2
	s_or_b32 exec_lo, exec_lo, s34
	s_delay_alu instid0(SALU_CYCLE_1)
	s_mov_b32 s34, exec_lo
	v_cmpx_lt_u32_e64 v155, v177
	s_cbranch_execz .LBB1258_1113
.LBB1258_1144:                          ;   in Loop: Header=BB1258_987 Depth=2
	global_load_b64 v[4:5], v[36:37], off offset:3840
	s_or_b32 exec_lo, exec_lo, s34
	s_and_saveexec_b32 s34, vcc_lo
	s_cbranch_execnz .LBB1258_1114
.LBB1258_1145:                          ;   in Loop: Header=BB1258_987 Depth=2
	s_or_b32 exec_lo, exec_lo, s34
	s_and_saveexec_b32 s34, s17
	s_cbranch_execz .LBB1258_1115
.LBB1258_1146:                          ;   in Loop: Header=BB1258_987 Depth=2
	ds_load_b64 v[36:37], v110 offset:2048
	s_waitcnt lgkmcnt(0)
	v_cmp_ne_u64_e64 s33, s[38:39], v[36:37]
	s_delay_alu instid0(VALU_DEP_1) | instskip(SKIP_1) | instid1(VALU_DEP_1)
	v_cndmask_b32_e64 v37, 0x80000000, v37, s33
	v_cndmask_b32_e64 v36, 0, v36, s33
	v_lshrrev_b64 v[36:37], s40, v[36:37]
	s_delay_alu instid0(VALU_DEP_1)
	v_and_b32_e32 v175, s42, v36
	s_or_b32 exec_lo, exec_lo, s34
	s_and_saveexec_b32 s34, s18
	s_cbranch_execnz .LBB1258_1116
.LBB1258_1147:                          ;   in Loop: Header=BB1258_987 Depth=2
	s_or_b32 exec_lo, exec_lo, s34
	s_and_saveexec_b32 s34, s19
	s_cbranch_execz .LBB1258_1117
.LBB1258_1148:                          ;   in Loop: Header=BB1258_987 Depth=2
	ds_load_b64 v[36:37], v110 offset:6144
	s_waitcnt lgkmcnt(0)
	v_cmp_ne_u64_e64 s33, s[38:39], v[36:37]
	s_delay_alu instid0(VALU_DEP_1) | instskip(SKIP_1) | instid1(VALU_DEP_1)
	v_cndmask_b32_e64 v37, 0x80000000, v37, s33
	v_cndmask_b32_e64 v36, 0, v36, s33
	v_lshrrev_b64 v[36:37], s40, v[36:37]
	s_delay_alu instid0(VALU_DEP_1)
	v_and_b32_e32 v173, s42, v36
	s_or_b32 exec_lo, exec_lo, s34
	s_and_saveexec_b32 s34, s20
	s_cbranch_execnz .LBB1258_1118
.LBB1258_1149:                          ;   in Loop: Header=BB1258_987 Depth=2
	s_or_b32 exec_lo, exec_lo, s34
	s_and_saveexec_b32 s34, s21
	s_cbranch_execz .LBB1258_1119
.LBB1258_1150:                          ;   in Loop: Header=BB1258_987 Depth=2
	ds_load_b64 v[36:37], v110 offset:10240
	s_waitcnt lgkmcnt(0)
	v_cmp_ne_u64_e64 s33, s[38:39], v[36:37]
	s_delay_alu instid0(VALU_DEP_1) | instskip(SKIP_1) | instid1(VALU_DEP_1)
	v_cndmask_b32_e64 v37, 0x80000000, v37, s33
	v_cndmask_b32_e64 v36, 0, v36, s33
	v_lshrrev_b64 v[36:37], s40, v[36:37]
	s_delay_alu instid0(VALU_DEP_1)
	v_and_b32_e32 v171, s42, v36
	s_or_b32 exec_lo, exec_lo, s34
	s_and_saveexec_b32 s34, s22
	s_cbranch_execnz .LBB1258_1120
.LBB1258_1151:                          ;   in Loop: Header=BB1258_987 Depth=2
	s_or_b32 exec_lo, exec_lo, s34
	s_and_saveexec_b32 s34, s23
	s_cbranch_execz .LBB1258_1121
.LBB1258_1152:                          ;   in Loop: Header=BB1258_987 Depth=2
	ds_load_b64 v[36:37], v110 offset:14336
	s_waitcnt lgkmcnt(0)
	v_cmp_ne_u64_e64 s33, s[38:39], v[36:37]
	s_delay_alu instid0(VALU_DEP_1) | instskip(SKIP_1) | instid1(VALU_DEP_1)
	v_cndmask_b32_e64 v37, 0x80000000, v37, s33
	v_cndmask_b32_e64 v36, 0, v36, s33
	v_lshrrev_b64 v[36:37], s40, v[36:37]
	s_delay_alu instid0(VALU_DEP_1)
	v_and_b32_e32 v169, s42, v36
	s_or_b32 exec_lo, exec_lo, s34
	s_and_saveexec_b32 s34, s24
	s_cbranch_execnz .LBB1258_1122
.LBB1258_1153:                          ;   in Loop: Header=BB1258_987 Depth=2
	s_or_b32 exec_lo, exec_lo, s34
	s_and_saveexec_b32 s34, s25
	s_cbranch_execz .LBB1258_1123
.LBB1258_1154:                          ;   in Loop: Header=BB1258_987 Depth=2
	ds_load_b64 v[36:37], v110 offset:18432
	s_waitcnt lgkmcnt(0)
	v_cmp_ne_u64_e64 s33, s[38:39], v[36:37]
	s_delay_alu instid0(VALU_DEP_1) | instskip(SKIP_1) | instid1(VALU_DEP_1)
	v_cndmask_b32_e64 v37, 0x80000000, v37, s33
	v_cndmask_b32_e64 v36, 0, v36, s33
	v_lshrrev_b64 v[36:37], s40, v[36:37]
	s_delay_alu instid0(VALU_DEP_1)
	v_and_b32_e32 v167, s42, v36
	s_or_b32 exec_lo, exec_lo, s34
	s_and_saveexec_b32 s34, s26
	s_cbranch_execnz .LBB1258_1124
.LBB1258_1155:                          ;   in Loop: Header=BB1258_987 Depth=2
	s_or_b32 exec_lo, exec_lo, s34
	s_and_saveexec_b32 s34, s27
	s_cbranch_execz .LBB1258_1125
.LBB1258_1156:                          ;   in Loop: Header=BB1258_987 Depth=2
	ds_load_b64 v[36:37], v110 offset:22528
	s_waitcnt lgkmcnt(0)
	v_cmp_ne_u64_e64 s33, s[38:39], v[36:37]
	s_delay_alu instid0(VALU_DEP_1) | instskip(SKIP_1) | instid1(VALU_DEP_1)
	v_cndmask_b32_e64 v37, 0x80000000, v37, s33
	v_cndmask_b32_e64 v36, 0, v36, s33
	v_lshrrev_b64 v[36:37], s40, v[36:37]
	s_delay_alu instid0(VALU_DEP_1)
	v_and_b32_e32 v165, s42, v36
	s_or_b32 exec_lo, exec_lo, s34
	s_and_saveexec_b32 s34, s28
	s_cbranch_execnz .LBB1258_1126
.LBB1258_1157:                          ;   in Loop: Header=BB1258_987 Depth=2
	s_or_b32 exec_lo, exec_lo, s34
	s_and_saveexec_b32 s34, s29
	s_cbranch_execz .LBB1258_1127
.LBB1258_1158:                          ;   in Loop: Header=BB1258_987 Depth=2
	ds_load_b64 v[36:37], v110 offset:26624
	s_waitcnt lgkmcnt(0)
	v_cmp_ne_u64_e64 s33, s[38:39], v[36:37]
	s_delay_alu instid0(VALU_DEP_1) | instskip(SKIP_1) | instid1(VALU_DEP_1)
	v_cndmask_b32_e64 v37, 0x80000000, v37, s33
	v_cndmask_b32_e64 v36, 0, v36, s33
	v_lshrrev_b64 v[36:37], s40, v[36:37]
	s_delay_alu instid0(VALU_DEP_1)
	v_and_b32_e32 v163, s42, v36
	s_or_b32 exec_lo, exec_lo, s34
	s_and_saveexec_b32 s34, s30
	s_cbranch_execnz .LBB1258_1128
.LBB1258_1159:                          ;   in Loop: Header=BB1258_987 Depth=2
	s_or_b32 exec_lo, exec_lo, s34
	s_and_saveexec_b32 s34, s31
	s_cbranch_execz .LBB1258_1161
.LBB1258_1160:                          ;   in Loop: Header=BB1258_987 Depth=2
	ds_load_b64 v[36:37], v110 offset:30720
	s_waitcnt lgkmcnt(0)
	v_cmp_ne_u64_e64 s33, s[38:39], v[36:37]
	s_delay_alu instid0(VALU_DEP_1) | instskip(SKIP_1) | instid1(VALU_DEP_1)
	v_cndmask_b32_e64 v37, 0x80000000, v37, s33
	v_cndmask_b32_e64 v36, 0, v36, s33
	v_lshrrev_b64 v[36:37], s40, v[36:37]
	s_delay_alu instid0(VALU_DEP_1)
	v_and_b32_e32 v161, s42, v36
.LBB1258_1161:                          ;   in Loop: Header=BB1258_987 Depth=2
	s_or_b32 exec_lo, exec_lo, s34
	v_add_nc_u32_e32 v2, 0x400, v69
	v_add_nc_u32_e32 v36, 0x400, v70
	;; [unrolled: 1-line block ×16, first 2 shown]
	s_waitcnt vmcnt(0)
	s_waitcnt_vscnt null, 0x0
	s_barrier
	buffer_gl0_inv
	ds_store_b64 v2, v[34:35]
	ds_store_b64 v36, v[32:33]
	;; [unrolled: 1-line block ×16, first 2 shown]
	s_waitcnt lgkmcnt(0)
	s_barrier
	buffer_gl0_inv
	s_and_saveexec_b32 s33, vcc_lo
	s_cbranch_execz .LBB1258_1177
; %bb.1162:                             ;   in Loop: Header=BB1258_987 Depth=2
	v_lshlrev_b32_e32 v2, 2, v176
	ds_load_b32 v2, v2
	ds_load_b64 v[36:37], v38 offset:1024
	s_waitcnt lgkmcnt(1)
	v_add_nc_u32_e32 v2, v2, v1
	s_delay_alu instid0(VALU_DEP_1) | instskip(NEXT) | instid1(VALU_DEP_1)
	v_lshlrev_b64 v[38:39], 3, v[2:3]
	v_add_co_u32 v38, vcc_lo, s54, v38
	s_delay_alu instid0(VALU_DEP_2)
	v_add_co_ci_u32_e32 v39, vcc_lo, s55, v39, vcc_lo
	s_waitcnt lgkmcnt(0)
	global_store_b64 v[38:39], v[36:37], off
	s_or_b32 exec_lo, exec_lo, s33
	s_and_saveexec_b32 s33, s17
	s_cbranch_execnz .LBB1258_1178
.LBB1258_1163:                          ;   in Loop: Header=BB1258_987 Depth=2
	s_or_b32 exec_lo, exec_lo, s33
	s_and_saveexec_b32 s17, s18
	s_cbranch_execz .LBB1258_1179
.LBB1258_1164:                          ;   in Loop: Header=BB1258_987 Depth=2
	v_lshlrev_b32_e32 v2, 2, v174
	ds_load_b32 v2, v2
	ds_load_b64 v[36:37], v110 offset:4096
	s_waitcnt lgkmcnt(1)
	v_add_nc_u32_e32 v2, v2, v78
	s_delay_alu instid0(VALU_DEP_1) | instskip(NEXT) | instid1(VALU_DEP_1)
	v_lshlrev_b64 v[38:39], 3, v[2:3]
	v_add_co_u32 v38, vcc_lo, s54, v38
	s_delay_alu instid0(VALU_DEP_2)
	v_add_co_ci_u32_e32 v39, vcc_lo, s55, v39, vcc_lo
	s_waitcnt lgkmcnt(0)
	global_store_b64 v[38:39], v[36:37], off
	s_or_b32 exec_lo, exec_lo, s17
	s_and_saveexec_b32 s17, s19
	s_cbranch_execnz .LBB1258_1180
.LBB1258_1165:                          ;   in Loop: Header=BB1258_987 Depth=2
	s_or_b32 exec_lo, exec_lo, s17
	s_and_saveexec_b32 s17, s20
	s_cbranch_execz .LBB1258_1181
.LBB1258_1166:                          ;   in Loop: Header=BB1258_987 Depth=2
	v_lshlrev_b32_e32 v2, 2, v172
	ds_load_b32 v2, v2
	ds_load_b64 v[36:37], v110 offset:8192
	s_waitcnt lgkmcnt(1)
	v_add_nc_u32_e32 v2, v2, v83
	s_delay_alu instid0(VALU_DEP_1) | instskip(NEXT) | instid1(VALU_DEP_1)
	v_lshlrev_b64 v[38:39], 3, v[2:3]
	v_add_co_u32 v38, vcc_lo, s54, v38
	s_delay_alu instid0(VALU_DEP_2)
	v_add_co_ci_u32_e32 v39, vcc_lo, s55, v39, vcc_lo
	s_waitcnt lgkmcnt(0)
	global_store_b64 v[38:39], v[36:37], off
	s_or_b32 exec_lo, exec_lo, s17
	s_and_saveexec_b32 s17, s21
	s_cbranch_execnz .LBB1258_1182
.LBB1258_1167:                          ;   in Loop: Header=BB1258_987 Depth=2
	s_or_b32 exec_lo, exec_lo, s17
	s_and_saveexec_b32 s17, s22
	s_cbranch_execz .LBB1258_1183
.LBB1258_1168:                          ;   in Loop: Header=BB1258_987 Depth=2
	v_lshlrev_b32_e32 v2, 2, v170
	ds_load_b32 v2, v2
	ds_load_b64 v[36:37], v110 offset:12288
	s_waitcnt lgkmcnt(1)
	v_add_nc_u32_e32 v2, v2, v85
	s_delay_alu instid0(VALU_DEP_1) | instskip(NEXT) | instid1(VALU_DEP_1)
	v_lshlrev_b64 v[38:39], 3, v[2:3]
	v_add_co_u32 v38, vcc_lo, s54, v38
	s_delay_alu instid0(VALU_DEP_2)
	v_add_co_ci_u32_e32 v39, vcc_lo, s55, v39, vcc_lo
	s_waitcnt lgkmcnt(0)
	global_store_b64 v[38:39], v[36:37], off
	s_or_b32 exec_lo, exec_lo, s17
	s_and_saveexec_b32 s17, s23
	s_cbranch_execnz .LBB1258_1184
.LBB1258_1169:                          ;   in Loop: Header=BB1258_987 Depth=2
	s_or_b32 exec_lo, exec_lo, s17
	s_and_saveexec_b32 s17, s24
	s_cbranch_execz .LBB1258_1185
.LBB1258_1170:                          ;   in Loop: Header=BB1258_987 Depth=2
	v_lshlrev_b32_e32 v2, 2, v168
	ds_load_b32 v2, v2
	ds_load_b64 v[36:37], v110 offset:16384
	s_waitcnt lgkmcnt(1)
	v_add_nc_u32_e32 v2, v2, v87
	s_delay_alu instid0(VALU_DEP_1) | instskip(NEXT) | instid1(VALU_DEP_1)
	v_lshlrev_b64 v[38:39], 3, v[2:3]
	v_add_co_u32 v38, vcc_lo, s54, v38
	s_delay_alu instid0(VALU_DEP_2)
	v_add_co_ci_u32_e32 v39, vcc_lo, s55, v39, vcc_lo
	s_waitcnt lgkmcnt(0)
	global_store_b64 v[38:39], v[36:37], off
	s_or_b32 exec_lo, exec_lo, s17
	s_and_saveexec_b32 s17, s25
	s_cbranch_execnz .LBB1258_1186
.LBB1258_1171:                          ;   in Loop: Header=BB1258_987 Depth=2
	s_or_b32 exec_lo, exec_lo, s17
	s_and_saveexec_b32 s17, s26
	s_cbranch_execz .LBB1258_1187
.LBB1258_1172:                          ;   in Loop: Header=BB1258_987 Depth=2
	v_lshlrev_b32_e32 v2, 2, v166
	ds_load_b32 v2, v2
	ds_load_b64 v[36:37], v110 offset:20480
	s_waitcnt lgkmcnt(1)
	v_add_nc_u32_e32 v2, v2, v89
	s_delay_alu instid0(VALU_DEP_1) | instskip(NEXT) | instid1(VALU_DEP_1)
	v_lshlrev_b64 v[38:39], 3, v[2:3]
	v_add_co_u32 v38, vcc_lo, s54, v38
	s_delay_alu instid0(VALU_DEP_2)
	v_add_co_ci_u32_e32 v39, vcc_lo, s55, v39, vcc_lo
	s_waitcnt lgkmcnt(0)
	global_store_b64 v[38:39], v[36:37], off
	s_or_b32 exec_lo, exec_lo, s17
	s_and_saveexec_b32 s17, s27
	s_cbranch_execnz .LBB1258_1188
.LBB1258_1173:                          ;   in Loop: Header=BB1258_987 Depth=2
	s_or_b32 exec_lo, exec_lo, s17
	s_and_saveexec_b32 s17, s28
	s_cbranch_execz .LBB1258_1189
.LBB1258_1174:                          ;   in Loop: Header=BB1258_987 Depth=2
	v_lshlrev_b32_e32 v2, 2, v164
	ds_load_b32 v2, v2
	ds_load_b64 v[36:37], v110 offset:24576
	s_waitcnt lgkmcnt(1)
	v_add_nc_u32_e32 v2, v2, v91
	s_delay_alu instid0(VALU_DEP_1) | instskip(NEXT) | instid1(VALU_DEP_1)
	v_lshlrev_b64 v[38:39], 3, v[2:3]
	v_add_co_u32 v38, vcc_lo, s54, v38
	s_delay_alu instid0(VALU_DEP_2)
	v_add_co_ci_u32_e32 v39, vcc_lo, s55, v39, vcc_lo
	s_waitcnt lgkmcnt(0)
	global_store_b64 v[38:39], v[36:37], off
	s_or_b32 exec_lo, exec_lo, s17
	s_and_saveexec_b32 s17, s29
	s_cbranch_execnz .LBB1258_1190
.LBB1258_1175:                          ;   in Loop: Header=BB1258_987 Depth=2
	s_or_b32 exec_lo, exec_lo, s17
	s_and_saveexec_b32 s17, s30
	s_cbranch_execz .LBB1258_1191
.LBB1258_1176:                          ;   in Loop: Header=BB1258_987 Depth=2
	v_lshlrev_b32_e32 v2, 2, v162
	ds_load_b32 v2, v2
	ds_load_b64 v[36:37], v110 offset:28672
	s_waitcnt lgkmcnt(1)
	v_add_nc_u32_e32 v2, v2, v93
	s_delay_alu instid0(VALU_DEP_1) | instskip(NEXT) | instid1(VALU_DEP_1)
	v_lshlrev_b64 v[38:39], 3, v[2:3]
	v_add_co_u32 v38, vcc_lo, s54, v38
	s_delay_alu instid0(VALU_DEP_2)
	v_add_co_ci_u32_e32 v39, vcc_lo, s55, v39, vcc_lo
	s_waitcnt lgkmcnt(0)
	global_store_b64 v[38:39], v[36:37], off
	s_or_b32 exec_lo, exec_lo, s17
	s_and_saveexec_b32 s17, s31
	s_cbranch_execnz .LBB1258_1192
	s_branch .LBB1258_1193
.LBB1258_1177:                          ;   in Loop: Header=BB1258_987 Depth=2
	s_or_b32 exec_lo, exec_lo, s33
	s_and_saveexec_b32 s33, s17
	s_cbranch_execz .LBB1258_1163
.LBB1258_1178:                          ;   in Loop: Header=BB1258_987 Depth=2
	v_lshlrev_b32_e32 v2, 2, v175
	ds_load_b32 v2, v2
	ds_load_b64 v[36:37], v110 offset:2048
	s_waitcnt lgkmcnt(1)
	v_add_nc_u32_e32 v2, v2, v77
	s_delay_alu instid0(VALU_DEP_1) | instskip(NEXT) | instid1(VALU_DEP_1)
	v_lshlrev_b64 v[38:39], 3, v[2:3]
	v_add_co_u32 v38, vcc_lo, s54, v38
	s_delay_alu instid0(VALU_DEP_2)
	v_add_co_ci_u32_e32 v39, vcc_lo, s55, v39, vcc_lo
	s_waitcnt lgkmcnt(0)
	global_store_b64 v[38:39], v[36:37], off
	s_or_b32 exec_lo, exec_lo, s33
	s_and_saveexec_b32 s17, s18
	s_cbranch_execnz .LBB1258_1164
.LBB1258_1179:                          ;   in Loop: Header=BB1258_987 Depth=2
	s_or_b32 exec_lo, exec_lo, s17
	s_and_saveexec_b32 s17, s19
	s_cbranch_execz .LBB1258_1165
.LBB1258_1180:                          ;   in Loop: Header=BB1258_987 Depth=2
	v_lshlrev_b32_e32 v2, 2, v173
	ds_load_b32 v2, v2
	ds_load_b64 v[36:37], v110 offset:6144
	s_waitcnt lgkmcnt(1)
	v_add_nc_u32_e32 v2, v2, v79
	s_delay_alu instid0(VALU_DEP_1) | instskip(NEXT) | instid1(VALU_DEP_1)
	v_lshlrev_b64 v[38:39], 3, v[2:3]
	v_add_co_u32 v38, vcc_lo, s54, v38
	s_delay_alu instid0(VALU_DEP_2)
	v_add_co_ci_u32_e32 v39, vcc_lo, s55, v39, vcc_lo
	s_waitcnt lgkmcnt(0)
	global_store_b64 v[38:39], v[36:37], off
	s_or_b32 exec_lo, exec_lo, s17
	s_and_saveexec_b32 s17, s20
	s_cbranch_execnz .LBB1258_1166
.LBB1258_1181:                          ;   in Loop: Header=BB1258_987 Depth=2
	s_or_b32 exec_lo, exec_lo, s17
	s_and_saveexec_b32 s17, s21
	s_cbranch_execz .LBB1258_1167
.LBB1258_1182:                          ;   in Loop: Header=BB1258_987 Depth=2
	v_lshlrev_b32_e32 v2, 2, v171
	ds_load_b32 v2, v2
	ds_load_b64 v[36:37], v110 offset:10240
	s_waitcnt lgkmcnt(1)
	v_add_nc_u32_e32 v2, v2, v84
	s_delay_alu instid0(VALU_DEP_1) | instskip(NEXT) | instid1(VALU_DEP_1)
	v_lshlrev_b64 v[38:39], 3, v[2:3]
	v_add_co_u32 v38, vcc_lo, s54, v38
	s_delay_alu instid0(VALU_DEP_2)
	v_add_co_ci_u32_e32 v39, vcc_lo, s55, v39, vcc_lo
	s_waitcnt lgkmcnt(0)
	global_store_b64 v[38:39], v[36:37], off
	s_or_b32 exec_lo, exec_lo, s17
	s_and_saveexec_b32 s17, s22
	s_cbranch_execnz .LBB1258_1168
.LBB1258_1183:                          ;   in Loop: Header=BB1258_987 Depth=2
	s_or_b32 exec_lo, exec_lo, s17
	s_and_saveexec_b32 s17, s23
	s_cbranch_execz .LBB1258_1169
.LBB1258_1184:                          ;   in Loop: Header=BB1258_987 Depth=2
	v_lshlrev_b32_e32 v2, 2, v169
	ds_load_b32 v2, v2
	ds_load_b64 v[36:37], v110 offset:14336
	s_waitcnt lgkmcnt(1)
	v_add_nc_u32_e32 v2, v2, v86
	s_delay_alu instid0(VALU_DEP_1) | instskip(NEXT) | instid1(VALU_DEP_1)
	v_lshlrev_b64 v[38:39], 3, v[2:3]
	v_add_co_u32 v38, vcc_lo, s54, v38
	s_delay_alu instid0(VALU_DEP_2)
	v_add_co_ci_u32_e32 v39, vcc_lo, s55, v39, vcc_lo
	s_waitcnt lgkmcnt(0)
	global_store_b64 v[38:39], v[36:37], off
	s_or_b32 exec_lo, exec_lo, s17
	s_and_saveexec_b32 s17, s24
	s_cbranch_execnz .LBB1258_1170
.LBB1258_1185:                          ;   in Loop: Header=BB1258_987 Depth=2
	s_or_b32 exec_lo, exec_lo, s17
	s_and_saveexec_b32 s17, s25
	s_cbranch_execz .LBB1258_1171
.LBB1258_1186:                          ;   in Loop: Header=BB1258_987 Depth=2
	v_lshlrev_b32_e32 v2, 2, v167
	ds_load_b32 v2, v2
	ds_load_b64 v[36:37], v110 offset:18432
	s_waitcnt lgkmcnt(1)
	v_add_nc_u32_e32 v2, v2, v88
	s_delay_alu instid0(VALU_DEP_1) | instskip(NEXT) | instid1(VALU_DEP_1)
	v_lshlrev_b64 v[38:39], 3, v[2:3]
	v_add_co_u32 v38, vcc_lo, s54, v38
	s_delay_alu instid0(VALU_DEP_2)
	v_add_co_ci_u32_e32 v39, vcc_lo, s55, v39, vcc_lo
	s_waitcnt lgkmcnt(0)
	global_store_b64 v[38:39], v[36:37], off
	s_or_b32 exec_lo, exec_lo, s17
	s_and_saveexec_b32 s17, s26
	s_cbranch_execnz .LBB1258_1172
.LBB1258_1187:                          ;   in Loop: Header=BB1258_987 Depth=2
	s_or_b32 exec_lo, exec_lo, s17
	s_and_saveexec_b32 s17, s27
	s_cbranch_execz .LBB1258_1173
.LBB1258_1188:                          ;   in Loop: Header=BB1258_987 Depth=2
	v_lshlrev_b32_e32 v2, 2, v165
	ds_load_b32 v2, v2
	ds_load_b64 v[36:37], v110 offset:22528
	s_waitcnt lgkmcnt(1)
	v_add_nc_u32_e32 v2, v2, v90
	s_delay_alu instid0(VALU_DEP_1) | instskip(NEXT) | instid1(VALU_DEP_1)
	v_lshlrev_b64 v[38:39], 3, v[2:3]
	v_add_co_u32 v38, vcc_lo, s54, v38
	s_delay_alu instid0(VALU_DEP_2)
	v_add_co_ci_u32_e32 v39, vcc_lo, s55, v39, vcc_lo
	s_waitcnt lgkmcnt(0)
	global_store_b64 v[38:39], v[36:37], off
	s_or_b32 exec_lo, exec_lo, s17
	s_and_saveexec_b32 s17, s28
	s_cbranch_execnz .LBB1258_1174
.LBB1258_1189:                          ;   in Loop: Header=BB1258_987 Depth=2
	s_or_b32 exec_lo, exec_lo, s17
	s_and_saveexec_b32 s17, s29
	s_cbranch_execz .LBB1258_1175
.LBB1258_1190:                          ;   in Loop: Header=BB1258_987 Depth=2
	v_lshlrev_b32_e32 v2, 2, v163
	ds_load_b32 v2, v2
	ds_load_b64 v[36:37], v110 offset:26624
	s_waitcnt lgkmcnt(1)
	v_add_nc_u32_e32 v2, v2, v92
	s_delay_alu instid0(VALU_DEP_1) | instskip(NEXT) | instid1(VALU_DEP_1)
	v_lshlrev_b64 v[38:39], 3, v[2:3]
	v_add_co_u32 v38, vcc_lo, s54, v38
	s_delay_alu instid0(VALU_DEP_2)
	v_add_co_ci_u32_e32 v39, vcc_lo, s55, v39, vcc_lo
	s_waitcnt lgkmcnt(0)
	global_store_b64 v[38:39], v[36:37], off
	s_or_b32 exec_lo, exec_lo, s17
	s_and_saveexec_b32 s17, s30
	s_cbranch_execnz .LBB1258_1176
.LBB1258_1191:                          ;   in Loop: Header=BB1258_987 Depth=2
	s_or_b32 exec_lo, exec_lo, s17
	s_and_saveexec_b32 s17, s31
	s_cbranch_execz .LBB1258_1193
.LBB1258_1192:                          ;   in Loop: Header=BB1258_987 Depth=2
	v_lshlrev_b32_e32 v2, 2, v161
	ds_load_b32 v2, v2
	ds_load_b64 v[36:37], v110 offset:30720
	s_waitcnt lgkmcnt(1)
	v_add_nc_u32_e32 v2, v2, v95
	s_delay_alu instid0(VALU_DEP_1) | instskip(NEXT) | instid1(VALU_DEP_1)
	v_lshlrev_b64 v[38:39], 3, v[2:3]
	v_add_co_u32 v38, vcc_lo, s54, v38
	s_delay_alu instid0(VALU_DEP_2)
	v_add_co_ci_u32_e32 v39, vcc_lo, s55, v39, vcc_lo
	s_waitcnt lgkmcnt(0)
	global_store_b64 v[38:39], v[36:37], off
.LBB1258_1193:                          ;   in Loop: Header=BB1258_987 Depth=2
	s_or_b32 exec_lo, exec_lo, s17
	s_waitcnt_vscnt null, 0x0
	s_barrier
	buffer_gl0_inv
	s_and_saveexec_b32 s17, s2
	s_cbranch_execz .LBB1258_986
; %bb.1194:                             ;   in Loop: Header=BB1258_987 Depth=2
	ds_load_b32 v2, v76
	s_waitcnt lgkmcnt(0)
	v_add_nc_u32_e32 v2, v2, v68
	ds_store_b32 v76, v2
	s_branch .LBB1258_986
.LBB1258_1195:
	s_endpgm
	.section	.rodata,"a",@progbits
	.p2align	6, 0x0
	.amdhsa_kernel _ZN7rocprim17ROCPRIM_400000_NS6detail17trampoline_kernelINS0_14default_configENS1_36segmented_radix_sort_config_selectorIdlEEZNS1_25segmented_radix_sort_implIS3_Lb0EPKdPdPKlPlN2at6native12_GLOBAL__N_18offset_tEEE10hipError_tPvRmT1_PNSt15iterator_traitsISK_E10value_typeET2_T3_PNSL_ISQ_E10value_typeET4_jRbjT5_SW_jjP12ihipStream_tbEUlT_E2_NS1_11comp_targetILNS1_3genE9ELNS1_11target_archE1100ELNS1_3gpuE3ELNS1_3repE0EEENS1_30default_config_static_selectorELNS0_4arch9wavefront6targetE0EEEvSK_
		.amdhsa_group_segment_fixed_size 33824
		.amdhsa_private_segment_fixed_size 200
		.amdhsa_kernarg_size 336
		.amdhsa_user_sgpr_count 14
		.amdhsa_user_sgpr_dispatch_ptr 0
		.amdhsa_user_sgpr_queue_ptr 0
		.amdhsa_user_sgpr_kernarg_segment_ptr 1
		.amdhsa_user_sgpr_dispatch_id 0
		.amdhsa_user_sgpr_private_segment_size 0
		.amdhsa_wavefront_size32 1
		.amdhsa_uses_dynamic_stack 0
		.amdhsa_enable_private_segment 1
		.amdhsa_system_sgpr_workgroup_id_x 1
		.amdhsa_system_sgpr_workgroup_id_y 1
		.amdhsa_system_sgpr_workgroup_id_z 0
		.amdhsa_system_sgpr_workgroup_info 0
		.amdhsa_system_vgpr_workitem_id 2
		.amdhsa_next_free_vgpr 248
		.amdhsa_next_free_sgpr 66
		.amdhsa_reserve_vcc 1
		.amdhsa_float_round_mode_32 0
		.amdhsa_float_round_mode_16_64 0
		.amdhsa_float_denorm_mode_32 3
		.amdhsa_float_denorm_mode_16_64 3
		.amdhsa_dx10_clamp 1
		.amdhsa_ieee_mode 1
		.amdhsa_fp16_overflow 0
		.amdhsa_workgroup_processor_mode 1
		.amdhsa_memory_ordered 1
		.amdhsa_forward_progress 0
		.amdhsa_shared_vgpr_count 0
		.amdhsa_exception_fp_ieee_invalid_op 0
		.amdhsa_exception_fp_denorm_src 0
		.amdhsa_exception_fp_ieee_div_zero 0
		.amdhsa_exception_fp_ieee_overflow 0
		.amdhsa_exception_fp_ieee_underflow 0
		.amdhsa_exception_fp_ieee_inexact 0
		.amdhsa_exception_int_div_zero 0
	.end_amdhsa_kernel
	.section	.text._ZN7rocprim17ROCPRIM_400000_NS6detail17trampoline_kernelINS0_14default_configENS1_36segmented_radix_sort_config_selectorIdlEEZNS1_25segmented_radix_sort_implIS3_Lb0EPKdPdPKlPlN2at6native12_GLOBAL__N_18offset_tEEE10hipError_tPvRmT1_PNSt15iterator_traitsISK_E10value_typeET2_T3_PNSL_ISQ_E10value_typeET4_jRbjT5_SW_jjP12ihipStream_tbEUlT_E2_NS1_11comp_targetILNS1_3genE9ELNS1_11target_archE1100ELNS1_3gpuE3ELNS1_3repE0EEENS1_30default_config_static_selectorELNS0_4arch9wavefront6targetE0EEEvSK_,"axG",@progbits,_ZN7rocprim17ROCPRIM_400000_NS6detail17trampoline_kernelINS0_14default_configENS1_36segmented_radix_sort_config_selectorIdlEEZNS1_25segmented_radix_sort_implIS3_Lb0EPKdPdPKlPlN2at6native12_GLOBAL__N_18offset_tEEE10hipError_tPvRmT1_PNSt15iterator_traitsISK_E10value_typeET2_T3_PNSL_ISQ_E10value_typeET4_jRbjT5_SW_jjP12ihipStream_tbEUlT_E2_NS1_11comp_targetILNS1_3genE9ELNS1_11target_archE1100ELNS1_3gpuE3ELNS1_3repE0EEENS1_30default_config_static_selectorELNS0_4arch9wavefront6targetE0EEEvSK_,comdat
.Lfunc_end1258:
	.size	_ZN7rocprim17ROCPRIM_400000_NS6detail17trampoline_kernelINS0_14default_configENS1_36segmented_radix_sort_config_selectorIdlEEZNS1_25segmented_radix_sort_implIS3_Lb0EPKdPdPKlPlN2at6native12_GLOBAL__N_18offset_tEEE10hipError_tPvRmT1_PNSt15iterator_traitsISK_E10value_typeET2_T3_PNSL_ISQ_E10value_typeET4_jRbjT5_SW_jjP12ihipStream_tbEUlT_E2_NS1_11comp_targetILNS1_3genE9ELNS1_11target_archE1100ELNS1_3gpuE3ELNS1_3repE0EEENS1_30default_config_static_selectorELNS0_4arch9wavefront6targetE0EEEvSK_, .Lfunc_end1258-_ZN7rocprim17ROCPRIM_400000_NS6detail17trampoline_kernelINS0_14default_configENS1_36segmented_radix_sort_config_selectorIdlEEZNS1_25segmented_radix_sort_implIS3_Lb0EPKdPdPKlPlN2at6native12_GLOBAL__N_18offset_tEEE10hipError_tPvRmT1_PNSt15iterator_traitsISK_E10value_typeET2_T3_PNSL_ISQ_E10value_typeET4_jRbjT5_SW_jjP12ihipStream_tbEUlT_E2_NS1_11comp_targetILNS1_3genE9ELNS1_11target_archE1100ELNS1_3gpuE3ELNS1_3repE0EEENS1_30default_config_static_selectorELNS0_4arch9wavefront6targetE0EEEvSK_
                                        ; -- End function
	.section	.AMDGPU.csdata,"",@progbits
; Kernel info:
; codeLenInByte = 82324
; NumSgprs: 68
; NumVgprs: 248
; ScratchSize: 200
; MemoryBound: 0
; FloatMode: 240
; IeeeMode: 1
; LDSByteSize: 33824 bytes/workgroup (compile time only)
; SGPRBlocks: 8
; VGPRBlocks: 30
; NumSGPRsForWavesPerEU: 68
; NumVGPRsForWavesPerEU: 248
; Occupancy: 5
; WaveLimiterHint : 1
; COMPUTE_PGM_RSRC2:SCRATCH_EN: 1
; COMPUTE_PGM_RSRC2:USER_SGPR: 14
; COMPUTE_PGM_RSRC2:TRAP_HANDLER: 0
; COMPUTE_PGM_RSRC2:TGID_X_EN: 1
; COMPUTE_PGM_RSRC2:TGID_Y_EN: 1
; COMPUTE_PGM_RSRC2:TGID_Z_EN: 0
; COMPUTE_PGM_RSRC2:TIDIG_COMP_CNT: 2
	.section	.text._ZN7rocprim17ROCPRIM_400000_NS6detail17trampoline_kernelINS0_14default_configENS1_36segmented_radix_sort_config_selectorIdlEEZNS1_25segmented_radix_sort_implIS3_Lb0EPKdPdPKlPlN2at6native12_GLOBAL__N_18offset_tEEE10hipError_tPvRmT1_PNSt15iterator_traitsISK_E10value_typeET2_T3_PNSL_ISQ_E10value_typeET4_jRbjT5_SW_jjP12ihipStream_tbEUlT_E2_NS1_11comp_targetILNS1_3genE8ELNS1_11target_archE1030ELNS1_3gpuE2ELNS1_3repE0EEENS1_30default_config_static_selectorELNS0_4arch9wavefront6targetE0EEEvSK_,"axG",@progbits,_ZN7rocprim17ROCPRIM_400000_NS6detail17trampoline_kernelINS0_14default_configENS1_36segmented_radix_sort_config_selectorIdlEEZNS1_25segmented_radix_sort_implIS3_Lb0EPKdPdPKlPlN2at6native12_GLOBAL__N_18offset_tEEE10hipError_tPvRmT1_PNSt15iterator_traitsISK_E10value_typeET2_T3_PNSL_ISQ_E10value_typeET4_jRbjT5_SW_jjP12ihipStream_tbEUlT_E2_NS1_11comp_targetILNS1_3genE8ELNS1_11target_archE1030ELNS1_3gpuE2ELNS1_3repE0EEENS1_30default_config_static_selectorELNS0_4arch9wavefront6targetE0EEEvSK_,comdat
	.globl	_ZN7rocprim17ROCPRIM_400000_NS6detail17trampoline_kernelINS0_14default_configENS1_36segmented_radix_sort_config_selectorIdlEEZNS1_25segmented_radix_sort_implIS3_Lb0EPKdPdPKlPlN2at6native12_GLOBAL__N_18offset_tEEE10hipError_tPvRmT1_PNSt15iterator_traitsISK_E10value_typeET2_T3_PNSL_ISQ_E10value_typeET4_jRbjT5_SW_jjP12ihipStream_tbEUlT_E2_NS1_11comp_targetILNS1_3genE8ELNS1_11target_archE1030ELNS1_3gpuE2ELNS1_3repE0EEENS1_30default_config_static_selectorELNS0_4arch9wavefront6targetE0EEEvSK_ ; -- Begin function _ZN7rocprim17ROCPRIM_400000_NS6detail17trampoline_kernelINS0_14default_configENS1_36segmented_radix_sort_config_selectorIdlEEZNS1_25segmented_radix_sort_implIS3_Lb0EPKdPdPKlPlN2at6native12_GLOBAL__N_18offset_tEEE10hipError_tPvRmT1_PNSt15iterator_traitsISK_E10value_typeET2_T3_PNSL_ISQ_E10value_typeET4_jRbjT5_SW_jjP12ihipStream_tbEUlT_E2_NS1_11comp_targetILNS1_3genE8ELNS1_11target_archE1030ELNS1_3gpuE2ELNS1_3repE0EEENS1_30default_config_static_selectorELNS0_4arch9wavefront6targetE0EEEvSK_
	.p2align	8
	.type	_ZN7rocprim17ROCPRIM_400000_NS6detail17trampoline_kernelINS0_14default_configENS1_36segmented_radix_sort_config_selectorIdlEEZNS1_25segmented_radix_sort_implIS3_Lb0EPKdPdPKlPlN2at6native12_GLOBAL__N_18offset_tEEE10hipError_tPvRmT1_PNSt15iterator_traitsISK_E10value_typeET2_T3_PNSL_ISQ_E10value_typeET4_jRbjT5_SW_jjP12ihipStream_tbEUlT_E2_NS1_11comp_targetILNS1_3genE8ELNS1_11target_archE1030ELNS1_3gpuE2ELNS1_3repE0EEENS1_30default_config_static_selectorELNS0_4arch9wavefront6targetE0EEEvSK_,@function
_ZN7rocprim17ROCPRIM_400000_NS6detail17trampoline_kernelINS0_14default_configENS1_36segmented_radix_sort_config_selectorIdlEEZNS1_25segmented_radix_sort_implIS3_Lb0EPKdPdPKlPlN2at6native12_GLOBAL__N_18offset_tEEE10hipError_tPvRmT1_PNSt15iterator_traitsISK_E10value_typeET2_T3_PNSL_ISQ_E10value_typeET4_jRbjT5_SW_jjP12ihipStream_tbEUlT_E2_NS1_11comp_targetILNS1_3genE8ELNS1_11target_archE1030ELNS1_3gpuE2ELNS1_3repE0EEENS1_30default_config_static_selectorELNS0_4arch9wavefront6targetE0EEEvSK_: ; @_ZN7rocprim17ROCPRIM_400000_NS6detail17trampoline_kernelINS0_14default_configENS1_36segmented_radix_sort_config_selectorIdlEEZNS1_25segmented_radix_sort_implIS3_Lb0EPKdPdPKlPlN2at6native12_GLOBAL__N_18offset_tEEE10hipError_tPvRmT1_PNSt15iterator_traitsISK_E10value_typeET2_T3_PNSL_ISQ_E10value_typeET4_jRbjT5_SW_jjP12ihipStream_tbEUlT_E2_NS1_11comp_targetILNS1_3genE8ELNS1_11target_archE1030ELNS1_3gpuE2ELNS1_3repE0EEENS1_30default_config_static_selectorELNS0_4arch9wavefront6targetE0EEEvSK_
; %bb.0:
	.section	.rodata,"a",@progbits
	.p2align	6, 0x0
	.amdhsa_kernel _ZN7rocprim17ROCPRIM_400000_NS6detail17trampoline_kernelINS0_14default_configENS1_36segmented_radix_sort_config_selectorIdlEEZNS1_25segmented_radix_sort_implIS3_Lb0EPKdPdPKlPlN2at6native12_GLOBAL__N_18offset_tEEE10hipError_tPvRmT1_PNSt15iterator_traitsISK_E10value_typeET2_T3_PNSL_ISQ_E10value_typeET4_jRbjT5_SW_jjP12ihipStream_tbEUlT_E2_NS1_11comp_targetILNS1_3genE8ELNS1_11target_archE1030ELNS1_3gpuE2ELNS1_3repE0EEENS1_30default_config_static_selectorELNS0_4arch9wavefront6targetE0EEEvSK_
		.amdhsa_group_segment_fixed_size 0
		.amdhsa_private_segment_fixed_size 0
		.amdhsa_kernarg_size 80
		.amdhsa_user_sgpr_count 15
		.amdhsa_user_sgpr_dispatch_ptr 0
		.amdhsa_user_sgpr_queue_ptr 0
		.amdhsa_user_sgpr_kernarg_segment_ptr 1
		.amdhsa_user_sgpr_dispatch_id 0
		.amdhsa_user_sgpr_private_segment_size 0
		.amdhsa_wavefront_size32 1
		.amdhsa_uses_dynamic_stack 0
		.amdhsa_enable_private_segment 0
		.amdhsa_system_sgpr_workgroup_id_x 1
		.amdhsa_system_sgpr_workgroup_id_y 0
		.amdhsa_system_sgpr_workgroup_id_z 0
		.amdhsa_system_sgpr_workgroup_info 0
		.amdhsa_system_vgpr_workitem_id 0
		.amdhsa_next_free_vgpr 1
		.amdhsa_next_free_sgpr 1
		.amdhsa_reserve_vcc 0
		.amdhsa_float_round_mode_32 0
		.amdhsa_float_round_mode_16_64 0
		.amdhsa_float_denorm_mode_32 3
		.amdhsa_float_denorm_mode_16_64 3
		.amdhsa_dx10_clamp 1
		.amdhsa_ieee_mode 1
		.amdhsa_fp16_overflow 0
		.amdhsa_workgroup_processor_mode 1
		.amdhsa_memory_ordered 1
		.amdhsa_forward_progress 0
		.amdhsa_shared_vgpr_count 0
		.amdhsa_exception_fp_ieee_invalid_op 0
		.amdhsa_exception_fp_denorm_src 0
		.amdhsa_exception_fp_ieee_div_zero 0
		.amdhsa_exception_fp_ieee_overflow 0
		.amdhsa_exception_fp_ieee_underflow 0
		.amdhsa_exception_fp_ieee_inexact 0
		.amdhsa_exception_int_div_zero 0
	.end_amdhsa_kernel
	.section	.text._ZN7rocprim17ROCPRIM_400000_NS6detail17trampoline_kernelINS0_14default_configENS1_36segmented_radix_sort_config_selectorIdlEEZNS1_25segmented_radix_sort_implIS3_Lb0EPKdPdPKlPlN2at6native12_GLOBAL__N_18offset_tEEE10hipError_tPvRmT1_PNSt15iterator_traitsISK_E10value_typeET2_T3_PNSL_ISQ_E10value_typeET4_jRbjT5_SW_jjP12ihipStream_tbEUlT_E2_NS1_11comp_targetILNS1_3genE8ELNS1_11target_archE1030ELNS1_3gpuE2ELNS1_3repE0EEENS1_30default_config_static_selectorELNS0_4arch9wavefront6targetE0EEEvSK_,"axG",@progbits,_ZN7rocprim17ROCPRIM_400000_NS6detail17trampoline_kernelINS0_14default_configENS1_36segmented_radix_sort_config_selectorIdlEEZNS1_25segmented_radix_sort_implIS3_Lb0EPKdPdPKlPlN2at6native12_GLOBAL__N_18offset_tEEE10hipError_tPvRmT1_PNSt15iterator_traitsISK_E10value_typeET2_T3_PNSL_ISQ_E10value_typeET4_jRbjT5_SW_jjP12ihipStream_tbEUlT_E2_NS1_11comp_targetILNS1_3genE8ELNS1_11target_archE1030ELNS1_3gpuE2ELNS1_3repE0EEENS1_30default_config_static_selectorELNS0_4arch9wavefront6targetE0EEEvSK_,comdat
.Lfunc_end1259:
	.size	_ZN7rocprim17ROCPRIM_400000_NS6detail17trampoline_kernelINS0_14default_configENS1_36segmented_radix_sort_config_selectorIdlEEZNS1_25segmented_radix_sort_implIS3_Lb0EPKdPdPKlPlN2at6native12_GLOBAL__N_18offset_tEEE10hipError_tPvRmT1_PNSt15iterator_traitsISK_E10value_typeET2_T3_PNSL_ISQ_E10value_typeET4_jRbjT5_SW_jjP12ihipStream_tbEUlT_E2_NS1_11comp_targetILNS1_3genE8ELNS1_11target_archE1030ELNS1_3gpuE2ELNS1_3repE0EEENS1_30default_config_static_selectorELNS0_4arch9wavefront6targetE0EEEvSK_, .Lfunc_end1259-_ZN7rocprim17ROCPRIM_400000_NS6detail17trampoline_kernelINS0_14default_configENS1_36segmented_radix_sort_config_selectorIdlEEZNS1_25segmented_radix_sort_implIS3_Lb0EPKdPdPKlPlN2at6native12_GLOBAL__N_18offset_tEEE10hipError_tPvRmT1_PNSt15iterator_traitsISK_E10value_typeET2_T3_PNSL_ISQ_E10value_typeET4_jRbjT5_SW_jjP12ihipStream_tbEUlT_E2_NS1_11comp_targetILNS1_3genE8ELNS1_11target_archE1030ELNS1_3gpuE2ELNS1_3repE0EEENS1_30default_config_static_selectorELNS0_4arch9wavefront6targetE0EEEvSK_
                                        ; -- End function
	.section	.AMDGPU.csdata,"",@progbits
; Kernel info:
; codeLenInByte = 0
; NumSgprs: 0
; NumVgprs: 0
; ScratchSize: 0
; MemoryBound: 0
; FloatMode: 240
; IeeeMode: 1
; LDSByteSize: 0 bytes/workgroup (compile time only)
; SGPRBlocks: 0
; VGPRBlocks: 0
; NumSGPRsForWavesPerEU: 1
; NumVGPRsForWavesPerEU: 1
; Occupancy: 16
; WaveLimiterHint : 0
; COMPUTE_PGM_RSRC2:SCRATCH_EN: 0
; COMPUTE_PGM_RSRC2:USER_SGPR: 15
; COMPUTE_PGM_RSRC2:TRAP_HANDLER: 0
; COMPUTE_PGM_RSRC2:TGID_X_EN: 1
; COMPUTE_PGM_RSRC2:TGID_Y_EN: 0
; COMPUTE_PGM_RSRC2:TGID_Z_EN: 0
; COMPUTE_PGM_RSRC2:TIDIG_COMP_CNT: 0
	.section	.text._ZN2at6native12_GLOBAL__N_123sort_postprocess_kernelIfEEvPKT_PS3_PlPK15HIP_vector_typeIiLj2EEii,"axG",@progbits,_ZN2at6native12_GLOBAL__N_123sort_postprocess_kernelIfEEvPKT_PS3_PlPK15HIP_vector_typeIiLj2EEii,comdat
	.globl	_ZN2at6native12_GLOBAL__N_123sort_postprocess_kernelIfEEvPKT_PS3_PlPK15HIP_vector_typeIiLj2EEii ; -- Begin function _ZN2at6native12_GLOBAL__N_123sort_postprocess_kernelIfEEvPKT_PS3_PlPK15HIP_vector_typeIiLj2EEii
	.p2align	8
	.type	_ZN2at6native12_GLOBAL__N_123sort_postprocess_kernelIfEEvPKT_PS3_PlPK15HIP_vector_typeIiLj2EEii,@function
_ZN2at6native12_GLOBAL__N_123sort_postprocess_kernelIfEEvPKT_PS3_PlPK15HIP_vector_typeIiLj2EEii: ; @_ZN2at6native12_GLOBAL__N_123sort_postprocess_kernelIfEEvPKT_PS3_PlPK15HIP_vector_typeIiLj2EEii
; %bb.0:
	s_clause 0x1
	s_load_b32 s2, s[0:1], 0x34
	s_load_b64 s[6:7], s[0:1], 0x20
	v_mov_b32_e32 v1, 0
	s_add_u32 s4, s0, 40
	s_addc_u32 s5, s1, 0
	s_waitcnt lgkmcnt(0)
	s_and_b32 s13, s2, 0xffff
	s_mul_i32 s2, s7, s6
	v_mad_u64_u32 v[2:3], null, s13, s15, v[0:1]
	s_ashr_i32 s3, s2, 31
	s_mov_b32 s6, exec_lo
	s_delay_alu instid0(VALU_DEP_1)
	v_cmpx_gt_i64_e64 s[2:3], v[2:3]
	s_cbranch_execz .LBB1260_3
; %bb.1:
	s_abs_i32 s12, s7
	s_load_b32 s14, s[4:5], 0x0
	v_cvt_f32_u32_e32 v0, s12
	s_sub_i32 s4, 0, s12
	s_delay_alu instid0(VALU_DEP_1) | instskip(SKIP_2) | instid1(VALU_DEP_1)
	v_rcp_iflag_f32_e32 v0, v0
	s_waitcnt_depctr 0xfff
	v_mul_f32_e32 v0, 0x4f7ffffe, v0
	v_cvt_u32_f32_e32 v0, v0
	s_delay_alu instid0(VALU_DEP_1) | instskip(SKIP_4) | instid1(VALU_DEP_1)
	v_mul_lo_u32 v1, s4, v0
	s_load_b256 s[4:11], s[0:1], 0x0
	s_waitcnt lgkmcnt(0)
	s_mul_i32 s1, s14, s13
	s_mov_b32 s13, 0
	v_mul_hi_u32 v1, v0, v1
	s_delay_alu instid0(VALU_DEP_1)
	v_add_nc_u32_e32 v0, v0, v1
.LBB1260_2:                             ; =>This Inner Loop Header: Depth=1
	v_sub_nc_u32_e32 v1, 0, v2
	v_ashrrev_i32_e32 v5, 31, v2
	s_delay_alu instid0(VALU_DEP_2) | instskip(NEXT) | instid1(VALU_DEP_1)
	v_max_i32_e32 v1, v2, v1
	v_mul_hi_u32 v4, v1, v0
	s_delay_alu instid0(VALU_DEP_1) | instskip(NEXT) | instid1(VALU_DEP_1)
	v_mul_lo_u32 v4, v4, s12
	v_sub_nc_u32_e32 v1, v1, v4
	s_delay_alu instid0(VALU_DEP_1) | instskip(SKIP_1) | instid1(VALU_DEP_2)
	v_subrev_nc_u32_e32 v4, s12, v1
	v_cmp_le_u32_e32 vcc_lo, s12, v1
	v_dual_cndmask_b32 v1, v1, v4 :: v_dual_add_nc_u32 v6, v2, v5
	s_delay_alu instid0(VALU_DEP_1) | instskip(SKIP_1) | instid1(VALU_DEP_2)
	v_subrev_nc_u32_e32 v4, s12, v1
	v_cmp_le_u32_e32 vcc_lo, s12, v1
	v_cndmask_b32_e32 v1, v1, v4, vcc_lo
	s_delay_alu instid0(VALU_DEP_1) | instskip(NEXT) | instid1(VALU_DEP_1)
	v_xor_b32_e32 v1, v1, v5
	v_sub_nc_u32_e32 v4, v6, v1
	v_sub_nc_u32_e32 v6, v1, v5
	s_delay_alu instid0(VALU_DEP_2) | instskip(NEXT) | instid1(VALU_DEP_2)
	v_ashrrev_i32_e32 v5, 31, v4
	v_ashrrev_i32_e32 v7, 31, v6
	s_delay_alu instid0(VALU_DEP_2) | instskip(NEXT) | instid1(VALU_DEP_2)
	v_lshlrev_b64 v[8:9], 3, v[4:5]
	v_lshlrev_b64 v[10:11], 3, v[6:7]
	v_lshlrev_b64 v[4:5], 2, v[4:5]
	v_lshlrev_b64 v[6:7], 2, v[6:7]
	s_delay_alu instid0(VALU_DEP_4) | instskip(SKIP_2) | instid1(VALU_DEP_3)
	v_add_co_u32 v1, vcc_lo, s10, v8
	v_add_co_ci_u32_e32 v13, vcc_lo, s11, v9, vcc_lo
	v_add_co_u32 v8, s0, s8, v8
	v_add_co_u32 v12, vcc_lo, v1, v10
	s_delay_alu instid0(VALU_DEP_3)
	v_add_co_ci_u32_e32 v13, vcc_lo, v13, v11, vcc_lo
	v_add_co_u32 v1, vcc_lo, s4, v4
	v_add_co_ci_u32_e32 v16, vcc_lo, s5, v5, vcc_lo
	global_load_b32 v12, v[12:13], off offset:4
	v_add_co_ci_u32_e64 v9, s0, s9, v9, s0
	s_waitcnt vmcnt(0)
	v_ashrrev_i32_e32 v13, 31, v12
	s_delay_alu instid0(VALU_DEP_1) | instskip(NEXT) | instid1(VALU_DEP_1)
	v_lshlrev_b64 v[14:15], 2, v[12:13]
	v_add_co_u32 v14, vcc_lo, v1, v14
	s_delay_alu instid0(VALU_DEP_2) | instskip(SKIP_4) | instid1(VALU_DEP_1)
	v_add_co_ci_u32_e32 v15, vcc_lo, v16, v15, vcc_lo
	v_add_co_u32 v2, vcc_lo, v2, s1
	v_add_co_ci_u32_e32 v3, vcc_lo, 0, v3, vcc_lo
	global_load_b32 v1, v[14:15], off
	v_add_co_u32 v14, s0, s6, v4
	v_add_co_ci_u32_e64 v15, s0, s7, v5, s0
	v_add_co_u32 v4, s0, v8, v10
	v_cmp_le_i64_e32 vcc_lo, s[2:3], v[2:3]
	v_add_co_ci_u32_e64 v5, s0, v9, v11, s0
	v_add_co_u32 v6, s0, v14, v6
	s_delay_alu instid0(VALU_DEP_1)
	v_add_co_ci_u32_e64 v7, s0, v15, v7, s0
	s_or_b32 s13, vcc_lo, s13
	global_store_b64 v[4:5], v[12:13], off
	s_waitcnt vmcnt(0)
	global_store_b32 v[6:7], v1, off
	s_and_not1_b32 exec_lo, exec_lo, s13
	s_cbranch_execnz .LBB1260_2
.LBB1260_3:
	s_nop 0
	s_sendmsg sendmsg(MSG_DEALLOC_VGPRS)
	s_endpgm
	.section	.rodata,"a",@progbits
	.p2align	6, 0x0
	.amdhsa_kernel _ZN2at6native12_GLOBAL__N_123sort_postprocess_kernelIfEEvPKT_PS3_PlPK15HIP_vector_typeIiLj2EEii
		.amdhsa_group_segment_fixed_size 0
		.amdhsa_private_segment_fixed_size 0
		.amdhsa_kernarg_size 296
		.amdhsa_user_sgpr_count 15
		.amdhsa_user_sgpr_dispatch_ptr 0
		.amdhsa_user_sgpr_queue_ptr 0
		.amdhsa_user_sgpr_kernarg_segment_ptr 1
		.amdhsa_user_sgpr_dispatch_id 0
		.amdhsa_user_sgpr_private_segment_size 0
		.amdhsa_wavefront_size32 1
		.amdhsa_uses_dynamic_stack 0
		.amdhsa_enable_private_segment 0
		.amdhsa_system_sgpr_workgroup_id_x 1
		.amdhsa_system_sgpr_workgroup_id_y 0
		.amdhsa_system_sgpr_workgroup_id_z 0
		.amdhsa_system_sgpr_workgroup_info 0
		.amdhsa_system_vgpr_workitem_id 0
		.amdhsa_next_free_vgpr 17
		.amdhsa_next_free_sgpr 16
		.amdhsa_reserve_vcc 1
		.amdhsa_float_round_mode_32 0
		.amdhsa_float_round_mode_16_64 0
		.amdhsa_float_denorm_mode_32 3
		.amdhsa_float_denorm_mode_16_64 3
		.amdhsa_dx10_clamp 1
		.amdhsa_ieee_mode 1
		.amdhsa_fp16_overflow 0
		.amdhsa_workgroup_processor_mode 1
		.amdhsa_memory_ordered 1
		.amdhsa_forward_progress 0
		.amdhsa_shared_vgpr_count 0
		.amdhsa_exception_fp_ieee_invalid_op 0
		.amdhsa_exception_fp_denorm_src 0
		.amdhsa_exception_fp_ieee_div_zero 0
		.amdhsa_exception_fp_ieee_overflow 0
		.amdhsa_exception_fp_ieee_underflow 0
		.amdhsa_exception_fp_ieee_inexact 0
		.amdhsa_exception_int_div_zero 0
	.end_amdhsa_kernel
	.section	.text._ZN2at6native12_GLOBAL__N_123sort_postprocess_kernelIfEEvPKT_PS3_PlPK15HIP_vector_typeIiLj2EEii,"axG",@progbits,_ZN2at6native12_GLOBAL__N_123sort_postprocess_kernelIfEEvPKT_PS3_PlPK15HIP_vector_typeIiLj2EEii,comdat
.Lfunc_end1260:
	.size	_ZN2at6native12_GLOBAL__N_123sort_postprocess_kernelIfEEvPKT_PS3_PlPK15HIP_vector_typeIiLj2EEii, .Lfunc_end1260-_ZN2at6native12_GLOBAL__N_123sort_postprocess_kernelIfEEvPKT_PS3_PlPK15HIP_vector_typeIiLj2EEii
                                        ; -- End function
	.section	.AMDGPU.csdata,"",@progbits
; Kernel info:
; codeLenInByte = 536
; NumSgprs: 18
; NumVgprs: 17
; ScratchSize: 0
; MemoryBound: 0
; FloatMode: 240
; IeeeMode: 1
; LDSByteSize: 0 bytes/workgroup (compile time only)
; SGPRBlocks: 2
; VGPRBlocks: 2
; NumSGPRsForWavesPerEU: 18
; NumVGPRsForWavesPerEU: 17
; Occupancy: 16
; WaveLimiterHint : 1
; COMPUTE_PGM_RSRC2:SCRATCH_EN: 0
; COMPUTE_PGM_RSRC2:USER_SGPR: 15
; COMPUTE_PGM_RSRC2:TRAP_HANDLER: 0
; COMPUTE_PGM_RSRC2:TGID_X_EN: 1
; COMPUTE_PGM_RSRC2:TGID_Y_EN: 0
; COMPUTE_PGM_RSRC2:TGID_Z_EN: 0
; COMPUTE_PGM_RSRC2:TIDIG_COMP_CNT: 0
	.section	.text._ZN7rocprim17ROCPRIM_400000_NS6detail17trampoline_kernelINS0_13select_configILj256ELj13ELNS0_17block_load_methodE3ELS4_3ELS4_3ELNS0_20block_scan_algorithmE0ELj4294967295EEENS1_25partition_config_selectorILNS1_17partition_subalgoE4EjNS0_10empty_typeEbEEZZNS1_14partition_implILS8_4ELb0ES6_15HIP_vector_typeIjLj2EENS0_17counting_iteratorIjlEEPS9_SG_NS0_5tupleIJPjSI_NS0_16reverse_iteratorISI_EEEEENSH_IJSG_SG_SG_EEES9_SI_JZNS1_25segmented_radix_sort_implINS0_14default_configELb1EPKfPfPKlPlN2at6native12_GLOBAL__N_18offset_tEEE10hipError_tPvRmT1_PNSt15iterator_traitsIS12_E10value_typeET2_T3_PNS13_IS18_E10value_typeET4_jRbjT5_S1E_jjP12ihipStream_tbEUljE_ZNSN_ISO_Lb1ESQ_SR_ST_SU_SY_EESZ_S10_S11_S12_S16_S17_S18_S1B_S1C_jS1D_jS1E_S1E_jjS1G_bEUljE0_EEESZ_S10_S11_S18_S1C_S1E_T6_T7_T9_mT8_S1G_bDpT10_ENKUlT_T0_E_clISt17integral_constantIbLb0EES1U_EEDaS1P_S1Q_EUlS1P_E_NS1_11comp_targetILNS1_3genE0ELNS1_11target_archE4294967295ELNS1_3gpuE0ELNS1_3repE0EEENS1_30default_config_static_selectorELNS0_4arch9wavefront6targetE0EEEvS12_,"axG",@progbits,_ZN7rocprim17ROCPRIM_400000_NS6detail17trampoline_kernelINS0_13select_configILj256ELj13ELNS0_17block_load_methodE3ELS4_3ELS4_3ELNS0_20block_scan_algorithmE0ELj4294967295EEENS1_25partition_config_selectorILNS1_17partition_subalgoE4EjNS0_10empty_typeEbEEZZNS1_14partition_implILS8_4ELb0ES6_15HIP_vector_typeIjLj2EENS0_17counting_iteratorIjlEEPS9_SG_NS0_5tupleIJPjSI_NS0_16reverse_iteratorISI_EEEEENSH_IJSG_SG_SG_EEES9_SI_JZNS1_25segmented_radix_sort_implINS0_14default_configELb1EPKfPfPKlPlN2at6native12_GLOBAL__N_18offset_tEEE10hipError_tPvRmT1_PNSt15iterator_traitsIS12_E10value_typeET2_T3_PNS13_IS18_E10value_typeET4_jRbjT5_S1E_jjP12ihipStream_tbEUljE_ZNSN_ISO_Lb1ESQ_SR_ST_SU_SY_EESZ_S10_S11_S12_S16_S17_S18_S1B_S1C_jS1D_jS1E_S1E_jjS1G_bEUljE0_EEESZ_S10_S11_S18_S1C_S1E_T6_T7_T9_mT8_S1G_bDpT10_ENKUlT_T0_E_clISt17integral_constantIbLb0EES1U_EEDaS1P_S1Q_EUlS1P_E_NS1_11comp_targetILNS1_3genE0ELNS1_11target_archE4294967295ELNS1_3gpuE0ELNS1_3repE0EEENS1_30default_config_static_selectorELNS0_4arch9wavefront6targetE0EEEvS12_,comdat
	.globl	_ZN7rocprim17ROCPRIM_400000_NS6detail17trampoline_kernelINS0_13select_configILj256ELj13ELNS0_17block_load_methodE3ELS4_3ELS4_3ELNS0_20block_scan_algorithmE0ELj4294967295EEENS1_25partition_config_selectorILNS1_17partition_subalgoE4EjNS0_10empty_typeEbEEZZNS1_14partition_implILS8_4ELb0ES6_15HIP_vector_typeIjLj2EENS0_17counting_iteratorIjlEEPS9_SG_NS0_5tupleIJPjSI_NS0_16reverse_iteratorISI_EEEEENSH_IJSG_SG_SG_EEES9_SI_JZNS1_25segmented_radix_sort_implINS0_14default_configELb1EPKfPfPKlPlN2at6native12_GLOBAL__N_18offset_tEEE10hipError_tPvRmT1_PNSt15iterator_traitsIS12_E10value_typeET2_T3_PNS13_IS18_E10value_typeET4_jRbjT5_S1E_jjP12ihipStream_tbEUljE_ZNSN_ISO_Lb1ESQ_SR_ST_SU_SY_EESZ_S10_S11_S12_S16_S17_S18_S1B_S1C_jS1D_jS1E_S1E_jjS1G_bEUljE0_EEESZ_S10_S11_S18_S1C_S1E_T6_T7_T9_mT8_S1G_bDpT10_ENKUlT_T0_E_clISt17integral_constantIbLb0EES1U_EEDaS1P_S1Q_EUlS1P_E_NS1_11comp_targetILNS1_3genE0ELNS1_11target_archE4294967295ELNS1_3gpuE0ELNS1_3repE0EEENS1_30default_config_static_selectorELNS0_4arch9wavefront6targetE0EEEvS12_ ; -- Begin function _ZN7rocprim17ROCPRIM_400000_NS6detail17trampoline_kernelINS0_13select_configILj256ELj13ELNS0_17block_load_methodE3ELS4_3ELS4_3ELNS0_20block_scan_algorithmE0ELj4294967295EEENS1_25partition_config_selectorILNS1_17partition_subalgoE4EjNS0_10empty_typeEbEEZZNS1_14partition_implILS8_4ELb0ES6_15HIP_vector_typeIjLj2EENS0_17counting_iteratorIjlEEPS9_SG_NS0_5tupleIJPjSI_NS0_16reverse_iteratorISI_EEEEENSH_IJSG_SG_SG_EEES9_SI_JZNS1_25segmented_radix_sort_implINS0_14default_configELb1EPKfPfPKlPlN2at6native12_GLOBAL__N_18offset_tEEE10hipError_tPvRmT1_PNSt15iterator_traitsIS12_E10value_typeET2_T3_PNS13_IS18_E10value_typeET4_jRbjT5_S1E_jjP12ihipStream_tbEUljE_ZNSN_ISO_Lb1ESQ_SR_ST_SU_SY_EESZ_S10_S11_S12_S16_S17_S18_S1B_S1C_jS1D_jS1E_S1E_jjS1G_bEUljE0_EEESZ_S10_S11_S18_S1C_S1E_T6_T7_T9_mT8_S1G_bDpT10_ENKUlT_T0_E_clISt17integral_constantIbLb0EES1U_EEDaS1P_S1Q_EUlS1P_E_NS1_11comp_targetILNS1_3genE0ELNS1_11target_archE4294967295ELNS1_3gpuE0ELNS1_3repE0EEENS1_30default_config_static_selectorELNS0_4arch9wavefront6targetE0EEEvS12_
	.p2align	8
	.type	_ZN7rocprim17ROCPRIM_400000_NS6detail17trampoline_kernelINS0_13select_configILj256ELj13ELNS0_17block_load_methodE3ELS4_3ELS4_3ELNS0_20block_scan_algorithmE0ELj4294967295EEENS1_25partition_config_selectorILNS1_17partition_subalgoE4EjNS0_10empty_typeEbEEZZNS1_14partition_implILS8_4ELb0ES6_15HIP_vector_typeIjLj2EENS0_17counting_iteratorIjlEEPS9_SG_NS0_5tupleIJPjSI_NS0_16reverse_iteratorISI_EEEEENSH_IJSG_SG_SG_EEES9_SI_JZNS1_25segmented_radix_sort_implINS0_14default_configELb1EPKfPfPKlPlN2at6native12_GLOBAL__N_18offset_tEEE10hipError_tPvRmT1_PNSt15iterator_traitsIS12_E10value_typeET2_T3_PNS13_IS18_E10value_typeET4_jRbjT5_S1E_jjP12ihipStream_tbEUljE_ZNSN_ISO_Lb1ESQ_SR_ST_SU_SY_EESZ_S10_S11_S12_S16_S17_S18_S1B_S1C_jS1D_jS1E_S1E_jjS1G_bEUljE0_EEESZ_S10_S11_S18_S1C_S1E_T6_T7_T9_mT8_S1G_bDpT10_ENKUlT_T0_E_clISt17integral_constantIbLb0EES1U_EEDaS1P_S1Q_EUlS1P_E_NS1_11comp_targetILNS1_3genE0ELNS1_11target_archE4294967295ELNS1_3gpuE0ELNS1_3repE0EEENS1_30default_config_static_selectorELNS0_4arch9wavefront6targetE0EEEvS12_,@function
_ZN7rocprim17ROCPRIM_400000_NS6detail17trampoline_kernelINS0_13select_configILj256ELj13ELNS0_17block_load_methodE3ELS4_3ELS4_3ELNS0_20block_scan_algorithmE0ELj4294967295EEENS1_25partition_config_selectorILNS1_17partition_subalgoE4EjNS0_10empty_typeEbEEZZNS1_14partition_implILS8_4ELb0ES6_15HIP_vector_typeIjLj2EENS0_17counting_iteratorIjlEEPS9_SG_NS0_5tupleIJPjSI_NS0_16reverse_iteratorISI_EEEEENSH_IJSG_SG_SG_EEES9_SI_JZNS1_25segmented_radix_sort_implINS0_14default_configELb1EPKfPfPKlPlN2at6native12_GLOBAL__N_18offset_tEEE10hipError_tPvRmT1_PNSt15iterator_traitsIS12_E10value_typeET2_T3_PNS13_IS18_E10value_typeET4_jRbjT5_S1E_jjP12ihipStream_tbEUljE_ZNSN_ISO_Lb1ESQ_SR_ST_SU_SY_EESZ_S10_S11_S12_S16_S17_S18_S1B_S1C_jS1D_jS1E_S1E_jjS1G_bEUljE0_EEESZ_S10_S11_S18_S1C_S1E_T6_T7_T9_mT8_S1G_bDpT10_ENKUlT_T0_E_clISt17integral_constantIbLb0EES1U_EEDaS1P_S1Q_EUlS1P_E_NS1_11comp_targetILNS1_3genE0ELNS1_11target_archE4294967295ELNS1_3gpuE0ELNS1_3repE0EEENS1_30default_config_static_selectorELNS0_4arch9wavefront6targetE0EEEvS12_: ; @_ZN7rocprim17ROCPRIM_400000_NS6detail17trampoline_kernelINS0_13select_configILj256ELj13ELNS0_17block_load_methodE3ELS4_3ELS4_3ELNS0_20block_scan_algorithmE0ELj4294967295EEENS1_25partition_config_selectorILNS1_17partition_subalgoE4EjNS0_10empty_typeEbEEZZNS1_14partition_implILS8_4ELb0ES6_15HIP_vector_typeIjLj2EENS0_17counting_iteratorIjlEEPS9_SG_NS0_5tupleIJPjSI_NS0_16reverse_iteratorISI_EEEEENSH_IJSG_SG_SG_EEES9_SI_JZNS1_25segmented_radix_sort_implINS0_14default_configELb1EPKfPfPKlPlN2at6native12_GLOBAL__N_18offset_tEEE10hipError_tPvRmT1_PNSt15iterator_traitsIS12_E10value_typeET2_T3_PNS13_IS18_E10value_typeET4_jRbjT5_S1E_jjP12ihipStream_tbEUljE_ZNSN_ISO_Lb1ESQ_SR_ST_SU_SY_EESZ_S10_S11_S12_S16_S17_S18_S1B_S1C_jS1D_jS1E_S1E_jjS1G_bEUljE0_EEESZ_S10_S11_S18_S1C_S1E_T6_T7_T9_mT8_S1G_bDpT10_ENKUlT_T0_E_clISt17integral_constantIbLb0EES1U_EEDaS1P_S1Q_EUlS1P_E_NS1_11comp_targetILNS1_3genE0ELNS1_11target_archE4294967295ELNS1_3gpuE0ELNS1_3repE0EEENS1_30default_config_static_selectorELNS0_4arch9wavefront6targetE0EEEvS12_
; %bb.0:
	.section	.rodata,"a",@progbits
	.p2align	6, 0x0
	.amdhsa_kernel _ZN7rocprim17ROCPRIM_400000_NS6detail17trampoline_kernelINS0_13select_configILj256ELj13ELNS0_17block_load_methodE3ELS4_3ELS4_3ELNS0_20block_scan_algorithmE0ELj4294967295EEENS1_25partition_config_selectorILNS1_17partition_subalgoE4EjNS0_10empty_typeEbEEZZNS1_14partition_implILS8_4ELb0ES6_15HIP_vector_typeIjLj2EENS0_17counting_iteratorIjlEEPS9_SG_NS0_5tupleIJPjSI_NS0_16reverse_iteratorISI_EEEEENSH_IJSG_SG_SG_EEES9_SI_JZNS1_25segmented_radix_sort_implINS0_14default_configELb1EPKfPfPKlPlN2at6native12_GLOBAL__N_18offset_tEEE10hipError_tPvRmT1_PNSt15iterator_traitsIS12_E10value_typeET2_T3_PNS13_IS18_E10value_typeET4_jRbjT5_S1E_jjP12ihipStream_tbEUljE_ZNSN_ISO_Lb1ESQ_SR_ST_SU_SY_EESZ_S10_S11_S12_S16_S17_S18_S1B_S1C_jS1D_jS1E_S1E_jjS1G_bEUljE0_EEESZ_S10_S11_S18_S1C_S1E_T6_T7_T9_mT8_S1G_bDpT10_ENKUlT_T0_E_clISt17integral_constantIbLb0EES1U_EEDaS1P_S1Q_EUlS1P_E_NS1_11comp_targetILNS1_3genE0ELNS1_11target_archE4294967295ELNS1_3gpuE0ELNS1_3repE0EEENS1_30default_config_static_selectorELNS0_4arch9wavefront6targetE0EEEvS12_
		.amdhsa_group_segment_fixed_size 0
		.amdhsa_private_segment_fixed_size 0
		.amdhsa_kernarg_size 176
		.amdhsa_user_sgpr_count 15
		.amdhsa_user_sgpr_dispatch_ptr 0
		.amdhsa_user_sgpr_queue_ptr 0
		.amdhsa_user_sgpr_kernarg_segment_ptr 1
		.amdhsa_user_sgpr_dispatch_id 0
		.amdhsa_user_sgpr_private_segment_size 0
		.amdhsa_wavefront_size32 1
		.amdhsa_uses_dynamic_stack 0
		.amdhsa_enable_private_segment 0
		.amdhsa_system_sgpr_workgroup_id_x 1
		.amdhsa_system_sgpr_workgroup_id_y 0
		.amdhsa_system_sgpr_workgroup_id_z 0
		.amdhsa_system_sgpr_workgroup_info 0
		.amdhsa_system_vgpr_workitem_id 0
		.amdhsa_next_free_vgpr 1
		.amdhsa_next_free_sgpr 1
		.amdhsa_reserve_vcc 0
		.amdhsa_float_round_mode_32 0
		.amdhsa_float_round_mode_16_64 0
		.amdhsa_float_denorm_mode_32 3
		.amdhsa_float_denorm_mode_16_64 3
		.amdhsa_dx10_clamp 1
		.amdhsa_ieee_mode 1
		.amdhsa_fp16_overflow 0
		.amdhsa_workgroup_processor_mode 1
		.amdhsa_memory_ordered 1
		.amdhsa_forward_progress 0
		.amdhsa_shared_vgpr_count 0
		.amdhsa_exception_fp_ieee_invalid_op 0
		.amdhsa_exception_fp_denorm_src 0
		.amdhsa_exception_fp_ieee_div_zero 0
		.amdhsa_exception_fp_ieee_overflow 0
		.amdhsa_exception_fp_ieee_underflow 0
		.amdhsa_exception_fp_ieee_inexact 0
		.amdhsa_exception_int_div_zero 0
	.end_amdhsa_kernel
	.section	.text._ZN7rocprim17ROCPRIM_400000_NS6detail17trampoline_kernelINS0_13select_configILj256ELj13ELNS0_17block_load_methodE3ELS4_3ELS4_3ELNS0_20block_scan_algorithmE0ELj4294967295EEENS1_25partition_config_selectorILNS1_17partition_subalgoE4EjNS0_10empty_typeEbEEZZNS1_14partition_implILS8_4ELb0ES6_15HIP_vector_typeIjLj2EENS0_17counting_iteratorIjlEEPS9_SG_NS0_5tupleIJPjSI_NS0_16reverse_iteratorISI_EEEEENSH_IJSG_SG_SG_EEES9_SI_JZNS1_25segmented_radix_sort_implINS0_14default_configELb1EPKfPfPKlPlN2at6native12_GLOBAL__N_18offset_tEEE10hipError_tPvRmT1_PNSt15iterator_traitsIS12_E10value_typeET2_T3_PNS13_IS18_E10value_typeET4_jRbjT5_S1E_jjP12ihipStream_tbEUljE_ZNSN_ISO_Lb1ESQ_SR_ST_SU_SY_EESZ_S10_S11_S12_S16_S17_S18_S1B_S1C_jS1D_jS1E_S1E_jjS1G_bEUljE0_EEESZ_S10_S11_S18_S1C_S1E_T6_T7_T9_mT8_S1G_bDpT10_ENKUlT_T0_E_clISt17integral_constantIbLb0EES1U_EEDaS1P_S1Q_EUlS1P_E_NS1_11comp_targetILNS1_3genE0ELNS1_11target_archE4294967295ELNS1_3gpuE0ELNS1_3repE0EEENS1_30default_config_static_selectorELNS0_4arch9wavefront6targetE0EEEvS12_,"axG",@progbits,_ZN7rocprim17ROCPRIM_400000_NS6detail17trampoline_kernelINS0_13select_configILj256ELj13ELNS0_17block_load_methodE3ELS4_3ELS4_3ELNS0_20block_scan_algorithmE0ELj4294967295EEENS1_25partition_config_selectorILNS1_17partition_subalgoE4EjNS0_10empty_typeEbEEZZNS1_14partition_implILS8_4ELb0ES6_15HIP_vector_typeIjLj2EENS0_17counting_iteratorIjlEEPS9_SG_NS0_5tupleIJPjSI_NS0_16reverse_iteratorISI_EEEEENSH_IJSG_SG_SG_EEES9_SI_JZNS1_25segmented_radix_sort_implINS0_14default_configELb1EPKfPfPKlPlN2at6native12_GLOBAL__N_18offset_tEEE10hipError_tPvRmT1_PNSt15iterator_traitsIS12_E10value_typeET2_T3_PNS13_IS18_E10value_typeET4_jRbjT5_S1E_jjP12ihipStream_tbEUljE_ZNSN_ISO_Lb1ESQ_SR_ST_SU_SY_EESZ_S10_S11_S12_S16_S17_S18_S1B_S1C_jS1D_jS1E_S1E_jjS1G_bEUljE0_EEESZ_S10_S11_S18_S1C_S1E_T6_T7_T9_mT8_S1G_bDpT10_ENKUlT_T0_E_clISt17integral_constantIbLb0EES1U_EEDaS1P_S1Q_EUlS1P_E_NS1_11comp_targetILNS1_3genE0ELNS1_11target_archE4294967295ELNS1_3gpuE0ELNS1_3repE0EEENS1_30default_config_static_selectorELNS0_4arch9wavefront6targetE0EEEvS12_,comdat
.Lfunc_end1261:
	.size	_ZN7rocprim17ROCPRIM_400000_NS6detail17trampoline_kernelINS0_13select_configILj256ELj13ELNS0_17block_load_methodE3ELS4_3ELS4_3ELNS0_20block_scan_algorithmE0ELj4294967295EEENS1_25partition_config_selectorILNS1_17partition_subalgoE4EjNS0_10empty_typeEbEEZZNS1_14partition_implILS8_4ELb0ES6_15HIP_vector_typeIjLj2EENS0_17counting_iteratorIjlEEPS9_SG_NS0_5tupleIJPjSI_NS0_16reverse_iteratorISI_EEEEENSH_IJSG_SG_SG_EEES9_SI_JZNS1_25segmented_radix_sort_implINS0_14default_configELb1EPKfPfPKlPlN2at6native12_GLOBAL__N_18offset_tEEE10hipError_tPvRmT1_PNSt15iterator_traitsIS12_E10value_typeET2_T3_PNS13_IS18_E10value_typeET4_jRbjT5_S1E_jjP12ihipStream_tbEUljE_ZNSN_ISO_Lb1ESQ_SR_ST_SU_SY_EESZ_S10_S11_S12_S16_S17_S18_S1B_S1C_jS1D_jS1E_S1E_jjS1G_bEUljE0_EEESZ_S10_S11_S18_S1C_S1E_T6_T7_T9_mT8_S1G_bDpT10_ENKUlT_T0_E_clISt17integral_constantIbLb0EES1U_EEDaS1P_S1Q_EUlS1P_E_NS1_11comp_targetILNS1_3genE0ELNS1_11target_archE4294967295ELNS1_3gpuE0ELNS1_3repE0EEENS1_30default_config_static_selectorELNS0_4arch9wavefront6targetE0EEEvS12_, .Lfunc_end1261-_ZN7rocprim17ROCPRIM_400000_NS6detail17trampoline_kernelINS0_13select_configILj256ELj13ELNS0_17block_load_methodE3ELS4_3ELS4_3ELNS0_20block_scan_algorithmE0ELj4294967295EEENS1_25partition_config_selectorILNS1_17partition_subalgoE4EjNS0_10empty_typeEbEEZZNS1_14partition_implILS8_4ELb0ES6_15HIP_vector_typeIjLj2EENS0_17counting_iteratorIjlEEPS9_SG_NS0_5tupleIJPjSI_NS0_16reverse_iteratorISI_EEEEENSH_IJSG_SG_SG_EEES9_SI_JZNS1_25segmented_radix_sort_implINS0_14default_configELb1EPKfPfPKlPlN2at6native12_GLOBAL__N_18offset_tEEE10hipError_tPvRmT1_PNSt15iterator_traitsIS12_E10value_typeET2_T3_PNS13_IS18_E10value_typeET4_jRbjT5_S1E_jjP12ihipStream_tbEUljE_ZNSN_ISO_Lb1ESQ_SR_ST_SU_SY_EESZ_S10_S11_S12_S16_S17_S18_S1B_S1C_jS1D_jS1E_S1E_jjS1G_bEUljE0_EEESZ_S10_S11_S18_S1C_S1E_T6_T7_T9_mT8_S1G_bDpT10_ENKUlT_T0_E_clISt17integral_constantIbLb0EES1U_EEDaS1P_S1Q_EUlS1P_E_NS1_11comp_targetILNS1_3genE0ELNS1_11target_archE4294967295ELNS1_3gpuE0ELNS1_3repE0EEENS1_30default_config_static_selectorELNS0_4arch9wavefront6targetE0EEEvS12_
                                        ; -- End function
	.section	.AMDGPU.csdata,"",@progbits
; Kernel info:
; codeLenInByte = 0
; NumSgprs: 0
; NumVgprs: 0
; ScratchSize: 0
; MemoryBound: 0
; FloatMode: 240
; IeeeMode: 1
; LDSByteSize: 0 bytes/workgroup (compile time only)
; SGPRBlocks: 0
; VGPRBlocks: 0
; NumSGPRsForWavesPerEU: 1
; NumVGPRsForWavesPerEU: 1
; Occupancy: 16
; WaveLimiterHint : 0
; COMPUTE_PGM_RSRC2:SCRATCH_EN: 0
; COMPUTE_PGM_RSRC2:USER_SGPR: 15
; COMPUTE_PGM_RSRC2:TRAP_HANDLER: 0
; COMPUTE_PGM_RSRC2:TGID_X_EN: 1
; COMPUTE_PGM_RSRC2:TGID_Y_EN: 0
; COMPUTE_PGM_RSRC2:TGID_Z_EN: 0
; COMPUTE_PGM_RSRC2:TIDIG_COMP_CNT: 0
	.section	.text._ZN7rocprim17ROCPRIM_400000_NS6detail17trampoline_kernelINS0_13select_configILj256ELj13ELNS0_17block_load_methodE3ELS4_3ELS4_3ELNS0_20block_scan_algorithmE0ELj4294967295EEENS1_25partition_config_selectorILNS1_17partition_subalgoE4EjNS0_10empty_typeEbEEZZNS1_14partition_implILS8_4ELb0ES6_15HIP_vector_typeIjLj2EENS0_17counting_iteratorIjlEEPS9_SG_NS0_5tupleIJPjSI_NS0_16reverse_iteratorISI_EEEEENSH_IJSG_SG_SG_EEES9_SI_JZNS1_25segmented_radix_sort_implINS0_14default_configELb1EPKfPfPKlPlN2at6native12_GLOBAL__N_18offset_tEEE10hipError_tPvRmT1_PNSt15iterator_traitsIS12_E10value_typeET2_T3_PNS13_IS18_E10value_typeET4_jRbjT5_S1E_jjP12ihipStream_tbEUljE_ZNSN_ISO_Lb1ESQ_SR_ST_SU_SY_EESZ_S10_S11_S12_S16_S17_S18_S1B_S1C_jS1D_jS1E_S1E_jjS1G_bEUljE0_EEESZ_S10_S11_S18_S1C_S1E_T6_T7_T9_mT8_S1G_bDpT10_ENKUlT_T0_E_clISt17integral_constantIbLb0EES1U_EEDaS1P_S1Q_EUlS1P_E_NS1_11comp_targetILNS1_3genE5ELNS1_11target_archE942ELNS1_3gpuE9ELNS1_3repE0EEENS1_30default_config_static_selectorELNS0_4arch9wavefront6targetE0EEEvS12_,"axG",@progbits,_ZN7rocprim17ROCPRIM_400000_NS6detail17trampoline_kernelINS0_13select_configILj256ELj13ELNS0_17block_load_methodE3ELS4_3ELS4_3ELNS0_20block_scan_algorithmE0ELj4294967295EEENS1_25partition_config_selectorILNS1_17partition_subalgoE4EjNS0_10empty_typeEbEEZZNS1_14partition_implILS8_4ELb0ES6_15HIP_vector_typeIjLj2EENS0_17counting_iteratorIjlEEPS9_SG_NS0_5tupleIJPjSI_NS0_16reverse_iteratorISI_EEEEENSH_IJSG_SG_SG_EEES9_SI_JZNS1_25segmented_radix_sort_implINS0_14default_configELb1EPKfPfPKlPlN2at6native12_GLOBAL__N_18offset_tEEE10hipError_tPvRmT1_PNSt15iterator_traitsIS12_E10value_typeET2_T3_PNS13_IS18_E10value_typeET4_jRbjT5_S1E_jjP12ihipStream_tbEUljE_ZNSN_ISO_Lb1ESQ_SR_ST_SU_SY_EESZ_S10_S11_S12_S16_S17_S18_S1B_S1C_jS1D_jS1E_S1E_jjS1G_bEUljE0_EEESZ_S10_S11_S18_S1C_S1E_T6_T7_T9_mT8_S1G_bDpT10_ENKUlT_T0_E_clISt17integral_constantIbLb0EES1U_EEDaS1P_S1Q_EUlS1P_E_NS1_11comp_targetILNS1_3genE5ELNS1_11target_archE942ELNS1_3gpuE9ELNS1_3repE0EEENS1_30default_config_static_selectorELNS0_4arch9wavefront6targetE0EEEvS12_,comdat
	.globl	_ZN7rocprim17ROCPRIM_400000_NS6detail17trampoline_kernelINS0_13select_configILj256ELj13ELNS0_17block_load_methodE3ELS4_3ELS4_3ELNS0_20block_scan_algorithmE0ELj4294967295EEENS1_25partition_config_selectorILNS1_17partition_subalgoE4EjNS0_10empty_typeEbEEZZNS1_14partition_implILS8_4ELb0ES6_15HIP_vector_typeIjLj2EENS0_17counting_iteratorIjlEEPS9_SG_NS0_5tupleIJPjSI_NS0_16reverse_iteratorISI_EEEEENSH_IJSG_SG_SG_EEES9_SI_JZNS1_25segmented_radix_sort_implINS0_14default_configELb1EPKfPfPKlPlN2at6native12_GLOBAL__N_18offset_tEEE10hipError_tPvRmT1_PNSt15iterator_traitsIS12_E10value_typeET2_T3_PNS13_IS18_E10value_typeET4_jRbjT5_S1E_jjP12ihipStream_tbEUljE_ZNSN_ISO_Lb1ESQ_SR_ST_SU_SY_EESZ_S10_S11_S12_S16_S17_S18_S1B_S1C_jS1D_jS1E_S1E_jjS1G_bEUljE0_EEESZ_S10_S11_S18_S1C_S1E_T6_T7_T9_mT8_S1G_bDpT10_ENKUlT_T0_E_clISt17integral_constantIbLb0EES1U_EEDaS1P_S1Q_EUlS1P_E_NS1_11comp_targetILNS1_3genE5ELNS1_11target_archE942ELNS1_3gpuE9ELNS1_3repE0EEENS1_30default_config_static_selectorELNS0_4arch9wavefront6targetE0EEEvS12_ ; -- Begin function _ZN7rocprim17ROCPRIM_400000_NS6detail17trampoline_kernelINS0_13select_configILj256ELj13ELNS0_17block_load_methodE3ELS4_3ELS4_3ELNS0_20block_scan_algorithmE0ELj4294967295EEENS1_25partition_config_selectorILNS1_17partition_subalgoE4EjNS0_10empty_typeEbEEZZNS1_14partition_implILS8_4ELb0ES6_15HIP_vector_typeIjLj2EENS0_17counting_iteratorIjlEEPS9_SG_NS0_5tupleIJPjSI_NS0_16reverse_iteratorISI_EEEEENSH_IJSG_SG_SG_EEES9_SI_JZNS1_25segmented_radix_sort_implINS0_14default_configELb1EPKfPfPKlPlN2at6native12_GLOBAL__N_18offset_tEEE10hipError_tPvRmT1_PNSt15iterator_traitsIS12_E10value_typeET2_T3_PNS13_IS18_E10value_typeET4_jRbjT5_S1E_jjP12ihipStream_tbEUljE_ZNSN_ISO_Lb1ESQ_SR_ST_SU_SY_EESZ_S10_S11_S12_S16_S17_S18_S1B_S1C_jS1D_jS1E_S1E_jjS1G_bEUljE0_EEESZ_S10_S11_S18_S1C_S1E_T6_T7_T9_mT8_S1G_bDpT10_ENKUlT_T0_E_clISt17integral_constantIbLb0EES1U_EEDaS1P_S1Q_EUlS1P_E_NS1_11comp_targetILNS1_3genE5ELNS1_11target_archE942ELNS1_3gpuE9ELNS1_3repE0EEENS1_30default_config_static_selectorELNS0_4arch9wavefront6targetE0EEEvS12_
	.p2align	8
	.type	_ZN7rocprim17ROCPRIM_400000_NS6detail17trampoline_kernelINS0_13select_configILj256ELj13ELNS0_17block_load_methodE3ELS4_3ELS4_3ELNS0_20block_scan_algorithmE0ELj4294967295EEENS1_25partition_config_selectorILNS1_17partition_subalgoE4EjNS0_10empty_typeEbEEZZNS1_14partition_implILS8_4ELb0ES6_15HIP_vector_typeIjLj2EENS0_17counting_iteratorIjlEEPS9_SG_NS0_5tupleIJPjSI_NS0_16reverse_iteratorISI_EEEEENSH_IJSG_SG_SG_EEES9_SI_JZNS1_25segmented_radix_sort_implINS0_14default_configELb1EPKfPfPKlPlN2at6native12_GLOBAL__N_18offset_tEEE10hipError_tPvRmT1_PNSt15iterator_traitsIS12_E10value_typeET2_T3_PNS13_IS18_E10value_typeET4_jRbjT5_S1E_jjP12ihipStream_tbEUljE_ZNSN_ISO_Lb1ESQ_SR_ST_SU_SY_EESZ_S10_S11_S12_S16_S17_S18_S1B_S1C_jS1D_jS1E_S1E_jjS1G_bEUljE0_EEESZ_S10_S11_S18_S1C_S1E_T6_T7_T9_mT8_S1G_bDpT10_ENKUlT_T0_E_clISt17integral_constantIbLb0EES1U_EEDaS1P_S1Q_EUlS1P_E_NS1_11comp_targetILNS1_3genE5ELNS1_11target_archE942ELNS1_3gpuE9ELNS1_3repE0EEENS1_30default_config_static_selectorELNS0_4arch9wavefront6targetE0EEEvS12_,@function
_ZN7rocprim17ROCPRIM_400000_NS6detail17trampoline_kernelINS0_13select_configILj256ELj13ELNS0_17block_load_methodE3ELS4_3ELS4_3ELNS0_20block_scan_algorithmE0ELj4294967295EEENS1_25partition_config_selectorILNS1_17partition_subalgoE4EjNS0_10empty_typeEbEEZZNS1_14partition_implILS8_4ELb0ES6_15HIP_vector_typeIjLj2EENS0_17counting_iteratorIjlEEPS9_SG_NS0_5tupleIJPjSI_NS0_16reverse_iteratorISI_EEEEENSH_IJSG_SG_SG_EEES9_SI_JZNS1_25segmented_radix_sort_implINS0_14default_configELb1EPKfPfPKlPlN2at6native12_GLOBAL__N_18offset_tEEE10hipError_tPvRmT1_PNSt15iterator_traitsIS12_E10value_typeET2_T3_PNS13_IS18_E10value_typeET4_jRbjT5_S1E_jjP12ihipStream_tbEUljE_ZNSN_ISO_Lb1ESQ_SR_ST_SU_SY_EESZ_S10_S11_S12_S16_S17_S18_S1B_S1C_jS1D_jS1E_S1E_jjS1G_bEUljE0_EEESZ_S10_S11_S18_S1C_S1E_T6_T7_T9_mT8_S1G_bDpT10_ENKUlT_T0_E_clISt17integral_constantIbLb0EES1U_EEDaS1P_S1Q_EUlS1P_E_NS1_11comp_targetILNS1_3genE5ELNS1_11target_archE942ELNS1_3gpuE9ELNS1_3repE0EEENS1_30default_config_static_selectorELNS0_4arch9wavefront6targetE0EEEvS12_: ; @_ZN7rocprim17ROCPRIM_400000_NS6detail17trampoline_kernelINS0_13select_configILj256ELj13ELNS0_17block_load_methodE3ELS4_3ELS4_3ELNS0_20block_scan_algorithmE0ELj4294967295EEENS1_25partition_config_selectorILNS1_17partition_subalgoE4EjNS0_10empty_typeEbEEZZNS1_14partition_implILS8_4ELb0ES6_15HIP_vector_typeIjLj2EENS0_17counting_iteratorIjlEEPS9_SG_NS0_5tupleIJPjSI_NS0_16reverse_iteratorISI_EEEEENSH_IJSG_SG_SG_EEES9_SI_JZNS1_25segmented_radix_sort_implINS0_14default_configELb1EPKfPfPKlPlN2at6native12_GLOBAL__N_18offset_tEEE10hipError_tPvRmT1_PNSt15iterator_traitsIS12_E10value_typeET2_T3_PNS13_IS18_E10value_typeET4_jRbjT5_S1E_jjP12ihipStream_tbEUljE_ZNSN_ISO_Lb1ESQ_SR_ST_SU_SY_EESZ_S10_S11_S12_S16_S17_S18_S1B_S1C_jS1D_jS1E_S1E_jjS1G_bEUljE0_EEESZ_S10_S11_S18_S1C_S1E_T6_T7_T9_mT8_S1G_bDpT10_ENKUlT_T0_E_clISt17integral_constantIbLb0EES1U_EEDaS1P_S1Q_EUlS1P_E_NS1_11comp_targetILNS1_3genE5ELNS1_11target_archE942ELNS1_3gpuE9ELNS1_3repE0EEENS1_30default_config_static_selectorELNS0_4arch9wavefront6targetE0EEEvS12_
; %bb.0:
	.section	.rodata,"a",@progbits
	.p2align	6, 0x0
	.amdhsa_kernel _ZN7rocprim17ROCPRIM_400000_NS6detail17trampoline_kernelINS0_13select_configILj256ELj13ELNS0_17block_load_methodE3ELS4_3ELS4_3ELNS0_20block_scan_algorithmE0ELj4294967295EEENS1_25partition_config_selectorILNS1_17partition_subalgoE4EjNS0_10empty_typeEbEEZZNS1_14partition_implILS8_4ELb0ES6_15HIP_vector_typeIjLj2EENS0_17counting_iteratorIjlEEPS9_SG_NS0_5tupleIJPjSI_NS0_16reverse_iteratorISI_EEEEENSH_IJSG_SG_SG_EEES9_SI_JZNS1_25segmented_radix_sort_implINS0_14default_configELb1EPKfPfPKlPlN2at6native12_GLOBAL__N_18offset_tEEE10hipError_tPvRmT1_PNSt15iterator_traitsIS12_E10value_typeET2_T3_PNS13_IS18_E10value_typeET4_jRbjT5_S1E_jjP12ihipStream_tbEUljE_ZNSN_ISO_Lb1ESQ_SR_ST_SU_SY_EESZ_S10_S11_S12_S16_S17_S18_S1B_S1C_jS1D_jS1E_S1E_jjS1G_bEUljE0_EEESZ_S10_S11_S18_S1C_S1E_T6_T7_T9_mT8_S1G_bDpT10_ENKUlT_T0_E_clISt17integral_constantIbLb0EES1U_EEDaS1P_S1Q_EUlS1P_E_NS1_11comp_targetILNS1_3genE5ELNS1_11target_archE942ELNS1_3gpuE9ELNS1_3repE0EEENS1_30default_config_static_selectorELNS0_4arch9wavefront6targetE0EEEvS12_
		.amdhsa_group_segment_fixed_size 0
		.amdhsa_private_segment_fixed_size 0
		.amdhsa_kernarg_size 176
		.amdhsa_user_sgpr_count 15
		.amdhsa_user_sgpr_dispatch_ptr 0
		.amdhsa_user_sgpr_queue_ptr 0
		.amdhsa_user_sgpr_kernarg_segment_ptr 1
		.amdhsa_user_sgpr_dispatch_id 0
		.amdhsa_user_sgpr_private_segment_size 0
		.amdhsa_wavefront_size32 1
		.amdhsa_uses_dynamic_stack 0
		.amdhsa_enable_private_segment 0
		.amdhsa_system_sgpr_workgroup_id_x 1
		.amdhsa_system_sgpr_workgroup_id_y 0
		.amdhsa_system_sgpr_workgroup_id_z 0
		.amdhsa_system_sgpr_workgroup_info 0
		.amdhsa_system_vgpr_workitem_id 0
		.amdhsa_next_free_vgpr 1
		.amdhsa_next_free_sgpr 1
		.amdhsa_reserve_vcc 0
		.amdhsa_float_round_mode_32 0
		.amdhsa_float_round_mode_16_64 0
		.amdhsa_float_denorm_mode_32 3
		.amdhsa_float_denorm_mode_16_64 3
		.amdhsa_dx10_clamp 1
		.amdhsa_ieee_mode 1
		.amdhsa_fp16_overflow 0
		.amdhsa_workgroup_processor_mode 1
		.amdhsa_memory_ordered 1
		.amdhsa_forward_progress 0
		.amdhsa_shared_vgpr_count 0
		.amdhsa_exception_fp_ieee_invalid_op 0
		.amdhsa_exception_fp_denorm_src 0
		.amdhsa_exception_fp_ieee_div_zero 0
		.amdhsa_exception_fp_ieee_overflow 0
		.amdhsa_exception_fp_ieee_underflow 0
		.amdhsa_exception_fp_ieee_inexact 0
		.amdhsa_exception_int_div_zero 0
	.end_amdhsa_kernel
	.section	.text._ZN7rocprim17ROCPRIM_400000_NS6detail17trampoline_kernelINS0_13select_configILj256ELj13ELNS0_17block_load_methodE3ELS4_3ELS4_3ELNS0_20block_scan_algorithmE0ELj4294967295EEENS1_25partition_config_selectorILNS1_17partition_subalgoE4EjNS0_10empty_typeEbEEZZNS1_14partition_implILS8_4ELb0ES6_15HIP_vector_typeIjLj2EENS0_17counting_iteratorIjlEEPS9_SG_NS0_5tupleIJPjSI_NS0_16reverse_iteratorISI_EEEEENSH_IJSG_SG_SG_EEES9_SI_JZNS1_25segmented_radix_sort_implINS0_14default_configELb1EPKfPfPKlPlN2at6native12_GLOBAL__N_18offset_tEEE10hipError_tPvRmT1_PNSt15iterator_traitsIS12_E10value_typeET2_T3_PNS13_IS18_E10value_typeET4_jRbjT5_S1E_jjP12ihipStream_tbEUljE_ZNSN_ISO_Lb1ESQ_SR_ST_SU_SY_EESZ_S10_S11_S12_S16_S17_S18_S1B_S1C_jS1D_jS1E_S1E_jjS1G_bEUljE0_EEESZ_S10_S11_S18_S1C_S1E_T6_T7_T9_mT8_S1G_bDpT10_ENKUlT_T0_E_clISt17integral_constantIbLb0EES1U_EEDaS1P_S1Q_EUlS1P_E_NS1_11comp_targetILNS1_3genE5ELNS1_11target_archE942ELNS1_3gpuE9ELNS1_3repE0EEENS1_30default_config_static_selectorELNS0_4arch9wavefront6targetE0EEEvS12_,"axG",@progbits,_ZN7rocprim17ROCPRIM_400000_NS6detail17trampoline_kernelINS0_13select_configILj256ELj13ELNS0_17block_load_methodE3ELS4_3ELS4_3ELNS0_20block_scan_algorithmE0ELj4294967295EEENS1_25partition_config_selectorILNS1_17partition_subalgoE4EjNS0_10empty_typeEbEEZZNS1_14partition_implILS8_4ELb0ES6_15HIP_vector_typeIjLj2EENS0_17counting_iteratorIjlEEPS9_SG_NS0_5tupleIJPjSI_NS0_16reverse_iteratorISI_EEEEENSH_IJSG_SG_SG_EEES9_SI_JZNS1_25segmented_radix_sort_implINS0_14default_configELb1EPKfPfPKlPlN2at6native12_GLOBAL__N_18offset_tEEE10hipError_tPvRmT1_PNSt15iterator_traitsIS12_E10value_typeET2_T3_PNS13_IS18_E10value_typeET4_jRbjT5_S1E_jjP12ihipStream_tbEUljE_ZNSN_ISO_Lb1ESQ_SR_ST_SU_SY_EESZ_S10_S11_S12_S16_S17_S18_S1B_S1C_jS1D_jS1E_S1E_jjS1G_bEUljE0_EEESZ_S10_S11_S18_S1C_S1E_T6_T7_T9_mT8_S1G_bDpT10_ENKUlT_T0_E_clISt17integral_constantIbLb0EES1U_EEDaS1P_S1Q_EUlS1P_E_NS1_11comp_targetILNS1_3genE5ELNS1_11target_archE942ELNS1_3gpuE9ELNS1_3repE0EEENS1_30default_config_static_selectorELNS0_4arch9wavefront6targetE0EEEvS12_,comdat
.Lfunc_end1262:
	.size	_ZN7rocprim17ROCPRIM_400000_NS6detail17trampoline_kernelINS0_13select_configILj256ELj13ELNS0_17block_load_methodE3ELS4_3ELS4_3ELNS0_20block_scan_algorithmE0ELj4294967295EEENS1_25partition_config_selectorILNS1_17partition_subalgoE4EjNS0_10empty_typeEbEEZZNS1_14partition_implILS8_4ELb0ES6_15HIP_vector_typeIjLj2EENS0_17counting_iteratorIjlEEPS9_SG_NS0_5tupleIJPjSI_NS0_16reverse_iteratorISI_EEEEENSH_IJSG_SG_SG_EEES9_SI_JZNS1_25segmented_radix_sort_implINS0_14default_configELb1EPKfPfPKlPlN2at6native12_GLOBAL__N_18offset_tEEE10hipError_tPvRmT1_PNSt15iterator_traitsIS12_E10value_typeET2_T3_PNS13_IS18_E10value_typeET4_jRbjT5_S1E_jjP12ihipStream_tbEUljE_ZNSN_ISO_Lb1ESQ_SR_ST_SU_SY_EESZ_S10_S11_S12_S16_S17_S18_S1B_S1C_jS1D_jS1E_S1E_jjS1G_bEUljE0_EEESZ_S10_S11_S18_S1C_S1E_T6_T7_T9_mT8_S1G_bDpT10_ENKUlT_T0_E_clISt17integral_constantIbLb0EES1U_EEDaS1P_S1Q_EUlS1P_E_NS1_11comp_targetILNS1_3genE5ELNS1_11target_archE942ELNS1_3gpuE9ELNS1_3repE0EEENS1_30default_config_static_selectorELNS0_4arch9wavefront6targetE0EEEvS12_, .Lfunc_end1262-_ZN7rocprim17ROCPRIM_400000_NS6detail17trampoline_kernelINS0_13select_configILj256ELj13ELNS0_17block_load_methodE3ELS4_3ELS4_3ELNS0_20block_scan_algorithmE0ELj4294967295EEENS1_25partition_config_selectorILNS1_17partition_subalgoE4EjNS0_10empty_typeEbEEZZNS1_14partition_implILS8_4ELb0ES6_15HIP_vector_typeIjLj2EENS0_17counting_iteratorIjlEEPS9_SG_NS0_5tupleIJPjSI_NS0_16reverse_iteratorISI_EEEEENSH_IJSG_SG_SG_EEES9_SI_JZNS1_25segmented_radix_sort_implINS0_14default_configELb1EPKfPfPKlPlN2at6native12_GLOBAL__N_18offset_tEEE10hipError_tPvRmT1_PNSt15iterator_traitsIS12_E10value_typeET2_T3_PNS13_IS18_E10value_typeET4_jRbjT5_S1E_jjP12ihipStream_tbEUljE_ZNSN_ISO_Lb1ESQ_SR_ST_SU_SY_EESZ_S10_S11_S12_S16_S17_S18_S1B_S1C_jS1D_jS1E_S1E_jjS1G_bEUljE0_EEESZ_S10_S11_S18_S1C_S1E_T6_T7_T9_mT8_S1G_bDpT10_ENKUlT_T0_E_clISt17integral_constantIbLb0EES1U_EEDaS1P_S1Q_EUlS1P_E_NS1_11comp_targetILNS1_3genE5ELNS1_11target_archE942ELNS1_3gpuE9ELNS1_3repE0EEENS1_30default_config_static_selectorELNS0_4arch9wavefront6targetE0EEEvS12_
                                        ; -- End function
	.section	.AMDGPU.csdata,"",@progbits
; Kernel info:
; codeLenInByte = 0
; NumSgprs: 0
; NumVgprs: 0
; ScratchSize: 0
; MemoryBound: 0
; FloatMode: 240
; IeeeMode: 1
; LDSByteSize: 0 bytes/workgroup (compile time only)
; SGPRBlocks: 0
; VGPRBlocks: 0
; NumSGPRsForWavesPerEU: 1
; NumVGPRsForWavesPerEU: 1
; Occupancy: 16
; WaveLimiterHint : 0
; COMPUTE_PGM_RSRC2:SCRATCH_EN: 0
; COMPUTE_PGM_RSRC2:USER_SGPR: 15
; COMPUTE_PGM_RSRC2:TRAP_HANDLER: 0
; COMPUTE_PGM_RSRC2:TGID_X_EN: 1
; COMPUTE_PGM_RSRC2:TGID_Y_EN: 0
; COMPUTE_PGM_RSRC2:TGID_Z_EN: 0
; COMPUTE_PGM_RSRC2:TIDIG_COMP_CNT: 0
	.section	.text._ZN7rocprim17ROCPRIM_400000_NS6detail17trampoline_kernelINS0_13select_configILj256ELj13ELNS0_17block_load_methodE3ELS4_3ELS4_3ELNS0_20block_scan_algorithmE0ELj4294967295EEENS1_25partition_config_selectorILNS1_17partition_subalgoE4EjNS0_10empty_typeEbEEZZNS1_14partition_implILS8_4ELb0ES6_15HIP_vector_typeIjLj2EENS0_17counting_iteratorIjlEEPS9_SG_NS0_5tupleIJPjSI_NS0_16reverse_iteratorISI_EEEEENSH_IJSG_SG_SG_EEES9_SI_JZNS1_25segmented_radix_sort_implINS0_14default_configELb1EPKfPfPKlPlN2at6native12_GLOBAL__N_18offset_tEEE10hipError_tPvRmT1_PNSt15iterator_traitsIS12_E10value_typeET2_T3_PNS13_IS18_E10value_typeET4_jRbjT5_S1E_jjP12ihipStream_tbEUljE_ZNSN_ISO_Lb1ESQ_SR_ST_SU_SY_EESZ_S10_S11_S12_S16_S17_S18_S1B_S1C_jS1D_jS1E_S1E_jjS1G_bEUljE0_EEESZ_S10_S11_S18_S1C_S1E_T6_T7_T9_mT8_S1G_bDpT10_ENKUlT_T0_E_clISt17integral_constantIbLb0EES1U_EEDaS1P_S1Q_EUlS1P_E_NS1_11comp_targetILNS1_3genE4ELNS1_11target_archE910ELNS1_3gpuE8ELNS1_3repE0EEENS1_30default_config_static_selectorELNS0_4arch9wavefront6targetE0EEEvS12_,"axG",@progbits,_ZN7rocprim17ROCPRIM_400000_NS6detail17trampoline_kernelINS0_13select_configILj256ELj13ELNS0_17block_load_methodE3ELS4_3ELS4_3ELNS0_20block_scan_algorithmE0ELj4294967295EEENS1_25partition_config_selectorILNS1_17partition_subalgoE4EjNS0_10empty_typeEbEEZZNS1_14partition_implILS8_4ELb0ES6_15HIP_vector_typeIjLj2EENS0_17counting_iteratorIjlEEPS9_SG_NS0_5tupleIJPjSI_NS0_16reverse_iteratorISI_EEEEENSH_IJSG_SG_SG_EEES9_SI_JZNS1_25segmented_radix_sort_implINS0_14default_configELb1EPKfPfPKlPlN2at6native12_GLOBAL__N_18offset_tEEE10hipError_tPvRmT1_PNSt15iterator_traitsIS12_E10value_typeET2_T3_PNS13_IS18_E10value_typeET4_jRbjT5_S1E_jjP12ihipStream_tbEUljE_ZNSN_ISO_Lb1ESQ_SR_ST_SU_SY_EESZ_S10_S11_S12_S16_S17_S18_S1B_S1C_jS1D_jS1E_S1E_jjS1G_bEUljE0_EEESZ_S10_S11_S18_S1C_S1E_T6_T7_T9_mT8_S1G_bDpT10_ENKUlT_T0_E_clISt17integral_constantIbLb0EES1U_EEDaS1P_S1Q_EUlS1P_E_NS1_11comp_targetILNS1_3genE4ELNS1_11target_archE910ELNS1_3gpuE8ELNS1_3repE0EEENS1_30default_config_static_selectorELNS0_4arch9wavefront6targetE0EEEvS12_,comdat
	.globl	_ZN7rocprim17ROCPRIM_400000_NS6detail17trampoline_kernelINS0_13select_configILj256ELj13ELNS0_17block_load_methodE3ELS4_3ELS4_3ELNS0_20block_scan_algorithmE0ELj4294967295EEENS1_25partition_config_selectorILNS1_17partition_subalgoE4EjNS0_10empty_typeEbEEZZNS1_14partition_implILS8_4ELb0ES6_15HIP_vector_typeIjLj2EENS0_17counting_iteratorIjlEEPS9_SG_NS0_5tupleIJPjSI_NS0_16reverse_iteratorISI_EEEEENSH_IJSG_SG_SG_EEES9_SI_JZNS1_25segmented_radix_sort_implINS0_14default_configELb1EPKfPfPKlPlN2at6native12_GLOBAL__N_18offset_tEEE10hipError_tPvRmT1_PNSt15iterator_traitsIS12_E10value_typeET2_T3_PNS13_IS18_E10value_typeET4_jRbjT5_S1E_jjP12ihipStream_tbEUljE_ZNSN_ISO_Lb1ESQ_SR_ST_SU_SY_EESZ_S10_S11_S12_S16_S17_S18_S1B_S1C_jS1D_jS1E_S1E_jjS1G_bEUljE0_EEESZ_S10_S11_S18_S1C_S1E_T6_T7_T9_mT8_S1G_bDpT10_ENKUlT_T0_E_clISt17integral_constantIbLb0EES1U_EEDaS1P_S1Q_EUlS1P_E_NS1_11comp_targetILNS1_3genE4ELNS1_11target_archE910ELNS1_3gpuE8ELNS1_3repE0EEENS1_30default_config_static_selectorELNS0_4arch9wavefront6targetE0EEEvS12_ ; -- Begin function _ZN7rocprim17ROCPRIM_400000_NS6detail17trampoline_kernelINS0_13select_configILj256ELj13ELNS0_17block_load_methodE3ELS4_3ELS4_3ELNS0_20block_scan_algorithmE0ELj4294967295EEENS1_25partition_config_selectorILNS1_17partition_subalgoE4EjNS0_10empty_typeEbEEZZNS1_14partition_implILS8_4ELb0ES6_15HIP_vector_typeIjLj2EENS0_17counting_iteratorIjlEEPS9_SG_NS0_5tupleIJPjSI_NS0_16reverse_iteratorISI_EEEEENSH_IJSG_SG_SG_EEES9_SI_JZNS1_25segmented_radix_sort_implINS0_14default_configELb1EPKfPfPKlPlN2at6native12_GLOBAL__N_18offset_tEEE10hipError_tPvRmT1_PNSt15iterator_traitsIS12_E10value_typeET2_T3_PNS13_IS18_E10value_typeET4_jRbjT5_S1E_jjP12ihipStream_tbEUljE_ZNSN_ISO_Lb1ESQ_SR_ST_SU_SY_EESZ_S10_S11_S12_S16_S17_S18_S1B_S1C_jS1D_jS1E_S1E_jjS1G_bEUljE0_EEESZ_S10_S11_S18_S1C_S1E_T6_T7_T9_mT8_S1G_bDpT10_ENKUlT_T0_E_clISt17integral_constantIbLb0EES1U_EEDaS1P_S1Q_EUlS1P_E_NS1_11comp_targetILNS1_3genE4ELNS1_11target_archE910ELNS1_3gpuE8ELNS1_3repE0EEENS1_30default_config_static_selectorELNS0_4arch9wavefront6targetE0EEEvS12_
	.p2align	8
	.type	_ZN7rocprim17ROCPRIM_400000_NS6detail17trampoline_kernelINS0_13select_configILj256ELj13ELNS0_17block_load_methodE3ELS4_3ELS4_3ELNS0_20block_scan_algorithmE0ELj4294967295EEENS1_25partition_config_selectorILNS1_17partition_subalgoE4EjNS0_10empty_typeEbEEZZNS1_14partition_implILS8_4ELb0ES6_15HIP_vector_typeIjLj2EENS0_17counting_iteratorIjlEEPS9_SG_NS0_5tupleIJPjSI_NS0_16reverse_iteratorISI_EEEEENSH_IJSG_SG_SG_EEES9_SI_JZNS1_25segmented_radix_sort_implINS0_14default_configELb1EPKfPfPKlPlN2at6native12_GLOBAL__N_18offset_tEEE10hipError_tPvRmT1_PNSt15iterator_traitsIS12_E10value_typeET2_T3_PNS13_IS18_E10value_typeET4_jRbjT5_S1E_jjP12ihipStream_tbEUljE_ZNSN_ISO_Lb1ESQ_SR_ST_SU_SY_EESZ_S10_S11_S12_S16_S17_S18_S1B_S1C_jS1D_jS1E_S1E_jjS1G_bEUljE0_EEESZ_S10_S11_S18_S1C_S1E_T6_T7_T9_mT8_S1G_bDpT10_ENKUlT_T0_E_clISt17integral_constantIbLb0EES1U_EEDaS1P_S1Q_EUlS1P_E_NS1_11comp_targetILNS1_3genE4ELNS1_11target_archE910ELNS1_3gpuE8ELNS1_3repE0EEENS1_30default_config_static_selectorELNS0_4arch9wavefront6targetE0EEEvS12_,@function
_ZN7rocprim17ROCPRIM_400000_NS6detail17trampoline_kernelINS0_13select_configILj256ELj13ELNS0_17block_load_methodE3ELS4_3ELS4_3ELNS0_20block_scan_algorithmE0ELj4294967295EEENS1_25partition_config_selectorILNS1_17partition_subalgoE4EjNS0_10empty_typeEbEEZZNS1_14partition_implILS8_4ELb0ES6_15HIP_vector_typeIjLj2EENS0_17counting_iteratorIjlEEPS9_SG_NS0_5tupleIJPjSI_NS0_16reverse_iteratorISI_EEEEENSH_IJSG_SG_SG_EEES9_SI_JZNS1_25segmented_radix_sort_implINS0_14default_configELb1EPKfPfPKlPlN2at6native12_GLOBAL__N_18offset_tEEE10hipError_tPvRmT1_PNSt15iterator_traitsIS12_E10value_typeET2_T3_PNS13_IS18_E10value_typeET4_jRbjT5_S1E_jjP12ihipStream_tbEUljE_ZNSN_ISO_Lb1ESQ_SR_ST_SU_SY_EESZ_S10_S11_S12_S16_S17_S18_S1B_S1C_jS1D_jS1E_S1E_jjS1G_bEUljE0_EEESZ_S10_S11_S18_S1C_S1E_T6_T7_T9_mT8_S1G_bDpT10_ENKUlT_T0_E_clISt17integral_constantIbLb0EES1U_EEDaS1P_S1Q_EUlS1P_E_NS1_11comp_targetILNS1_3genE4ELNS1_11target_archE910ELNS1_3gpuE8ELNS1_3repE0EEENS1_30default_config_static_selectorELNS0_4arch9wavefront6targetE0EEEvS12_: ; @_ZN7rocprim17ROCPRIM_400000_NS6detail17trampoline_kernelINS0_13select_configILj256ELj13ELNS0_17block_load_methodE3ELS4_3ELS4_3ELNS0_20block_scan_algorithmE0ELj4294967295EEENS1_25partition_config_selectorILNS1_17partition_subalgoE4EjNS0_10empty_typeEbEEZZNS1_14partition_implILS8_4ELb0ES6_15HIP_vector_typeIjLj2EENS0_17counting_iteratorIjlEEPS9_SG_NS0_5tupleIJPjSI_NS0_16reverse_iteratorISI_EEEEENSH_IJSG_SG_SG_EEES9_SI_JZNS1_25segmented_radix_sort_implINS0_14default_configELb1EPKfPfPKlPlN2at6native12_GLOBAL__N_18offset_tEEE10hipError_tPvRmT1_PNSt15iterator_traitsIS12_E10value_typeET2_T3_PNS13_IS18_E10value_typeET4_jRbjT5_S1E_jjP12ihipStream_tbEUljE_ZNSN_ISO_Lb1ESQ_SR_ST_SU_SY_EESZ_S10_S11_S12_S16_S17_S18_S1B_S1C_jS1D_jS1E_S1E_jjS1G_bEUljE0_EEESZ_S10_S11_S18_S1C_S1E_T6_T7_T9_mT8_S1G_bDpT10_ENKUlT_T0_E_clISt17integral_constantIbLb0EES1U_EEDaS1P_S1Q_EUlS1P_E_NS1_11comp_targetILNS1_3genE4ELNS1_11target_archE910ELNS1_3gpuE8ELNS1_3repE0EEENS1_30default_config_static_selectorELNS0_4arch9wavefront6targetE0EEEvS12_
; %bb.0:
	.section	.rodata,"a",@progbits
	.p2align	6, 0x0
	.amdhsa_kernel _ZN7rocprim17ROCPRIM_400000_NS6detail17trampoline_kernelINS0_13select_configILj256ELj13ELNS0_17block_load_methodE3ELS4_3ELS4_3ELNS0_20block_scan_algorithmE0ELj4294967295EEENS1_25partition_config_selectorILNS1_17partition_subalgoE4EjNS0_10empty_typeEbEEZZNS1_14partition_implILS8_4ELb0ES6_15HIP_vector_typeIjLj2EENS0_17counting_iteratorIjlEEPS9_SG_NS0_5tupleIJPjSI_NS0_16reverse_iteratorISI_EEEEENSH_IJSG_SG_SG_EEES9_SI_JZNS1_25segmented_radix_sort_implINS0_14default_configELb1EPKfPfPKlPlN2at6native12_GLOBAL__N_18offset_tEEE10hipError_tPvRmT1_PNSt15iterator_traitsIS12_E10value_typeET2_T3_PNS13_IS18_E10value_typeET4_jRbjT5_S1E_jjP12ihipStream_tbEUljE_ZNSN_ISO_Lb1ESQ_SR_ST_SU_SY_EESZ_S10_S11_S12_S16_S17_S18_S1B_S1C_jS1D_jS1E_S1E_jjS1G_bEUljE0_EEESZ_S10_S11_S18_S1C_S1E_T6_T7_T9_mT8_S1G_bDpT10_ENKUlT_T0_E_clISt17integral_constantIbLb0EES1U_EEDaS1P_S1Q_EUlS1P_E_NS1_11comp_targetILNS1_3genE4ELNS1_11target_archE910ELNS1_3gpuE8ELNS1_3repE0EEENS1_30default_config_static_selectorELNS0_4arch9wavefront6targetE0EEEvS12_
		.amdhsa_group_segment_fixed_size 0
		.amdhsa_private_segment_fixed_size 0
		.amdhsa_kernarg_size 176
		.amdhsa_user_sgpr_count 15
		.amdhsa_user_sgpr_dispatch_ptr 0
		.amdhsa_user_sgpr_queue_ptr 0
		.amdhsa_user_sgpr_kernarg_segment_ptr 1
		.amdhsa_user_sgpr_dispatch_id 0
		.amdhsa_user_sgpr_private_segment_size 0
		.amdhsa_wavefront_size32 1
		.amdhsa_uses_dynamic_stack 0
		.amdhsa_enable_private_segment 0
		.amdhsa_system_sgpr_workgroup_id_x 1
		.amdhsa_system_sgpr_workgroup_id_y 0
		.amdhsa_system_sgpr_workgroup_id_z 0
		.amdhsa_system_sgpr_workgroup_info 0
		.amdhsa_system_vgpr_workitem_id 0
		.amdhsa_next_free_vgpr 1
		.amdhsa_next_free_sgpr 1
		.amdhsa_reserve_vcc 0
		.amdhsa_float_round_mode_32 0
		.amdhsa_float_round_mode_16_64 0
		.amdhsa_float_denorm_mode_32 3
		.amdhsa_float_denorm_mode_16_64 3
		.amdhsa_dx10_clamp 1
		.amdhsa_ieee_mode 1
		.amdhsa_fp16_overflow 0
		.amdhsa_workgroup_processor_mode 1
		.amdhsa_memory_ordered 1
		.amdhsa_forward_progress 0
		.amdhsa_shared_vgpr_count 0
		.amdhsa_exception_fp_ieee_invalid_op 0
		.amdhsa_exception_fp_denorm_src 0
		.amdhsa_exception_fp_ieee_div_zero 0
		.amdhsa_exception_fp_ieee_overflow 0
		.amdhsa_exception_fp_ieee_underflow 0
		.amdhsa_exception_fp_ieee_inexact 0
		.amdhsa_exception_int_div_zero 0
	.end_amdhsa_kernel
	.section	.text._ZN7rocprim17ROCPRIM_400000_NS6detail17trampoline_kernelINS0_13select_configILj256ELj13ELNS0_17block_load_methodE3ELS4_3ELS4_3ELNS0_20block_scan_algorithmE0ELj4294967295EEENS1_25partition_config_selectorILNS1_17partition_subalgoE4EjNS0_10empty_typeEbEEZZNS1_14partition_implILS8_4ELb0ES6_15HIP_vector_typeIjLj2EENS0_17counting_iteratorIjlEEPS9_SG_NS0_5tupleIJPjSI_NS0_16reverse_iteratorISI_EEEEENSH_IJSG_SG_SG_EEES9_SI_JZNS1_25segmented_radix_sort_implINS0_14default_configELb1EPKfPfPKlPlN2at6native12_GLOBAL__N_18offset_tEEE10hipError_tPvRmT1_PNSt15iterator_traitsIS12_E10value_typeET2_T3_PNS13_IS18_E10value_typeET4_jRbjT5_S1E_jjP12ihipStream_tbEUljE_ZNSN_ISO_Lb1ESQ_SR_ST_SU_SY_EESZ_S10_S11_S12_S16_S17_S18_S1B_S1C_jS1D_jS1E_S1E_jjS1G_bEUljE0_EEESZ_S10_S11_S18_S1C_S1E_T6_T7_T9_mT8_S1G_bDpT10_ENKUlT_T0_E_clISt17integral_constantIbLb0EES1U_EEDaS1P_S1Q_EUlS1P_E_NS1_11comp_targetILNS1_3genE4ELNS1_11target_archE910ELNS1_3gpuE8ELNS1_3repE0EEENS1_30default_config_static_selectorELNS0_4arch9wavefront6targetE0EEEvS12_,"axG",@progbits,_ZN7rocprim17ROCPRIM_400000_NS6detail17trampoline_kernelINS0_13select_configILj256ELj13ELNS0_17block_load_methodE3ELS4_3ELS4_3ELNS0_20block_scan_algorithmE0ELj4294967295EEENS1_25partition_config_selectorILNS1_17partition_subalgoE4EjNS0_10empty_typeEbEEZZNS1_14partition_implILS8_4ELb0ES6_15HIP_vector_typeIjLj2EENS0_17counting_iteratorIjlEEPS9_SG_NS0_5tupleIJPjSI_NS0_16reverse_iteratorISI_EEEEENSH_IJSG_SG_SG_EEES9_SI_JZNS1_25segmented_radix_sort_implINS0_14default_configELb1EPKfPfPKlPlN2at6native12_GLOBAL__N_18offset_tEEE10hipError_tPvRmT1_PNSt15iterator_traitsIS12_E10value_typeET2_T3_PNS13_IS18_E10value_typeET4_jRbjT5_S1E_jjP12ihipStream_tbEUljE_ZNSN_ISO_Lb1ESQ_SR_ST_SU_SY_EESZ_S10_S11_S12_S16_S17_S18_S1B_S1C_jS1D_jS1E_S1E_jjS1G_bEUljE0_EEESZ_S10_S11_S18_S1C_S1E_T6_T7_T9_mT8_S1G_bDpT10_ENKUlT_T0_E_clISt17integral_constantIbLb0EES1U_EEDaS1P_S1Q_EUlS1P_E_NS1_11comp_targetILNS1_3genE4ELNS1_11target_archE910ELNS1_3gpuE8ELNS1_3repE0EEENS1_30default_config_static_selectorELNS0_4arch9wavefront6targetE0EEEvS12_,comdat
.Lfunc_end1263:
	.size	_ZN7rocprim17ROCPRIM_400000_NS6detail17trampoline_kernelINS0_13select_configILj256ELj13ELNS0_17block_load_methodE3ELS4_3ELS4_3ELNS0_20block_scan_algorithmE0ELj4294967295EEENS1_25partition_config_selectorILNS1_17partition_subalgoE4EjNS0_10empty_typeEbEEZZNS1_14partition_implILS8_4ELb0ES6_15HIP_vector_typeIjLj2EENS0_17counting_iteratorIjlEEPS9_SG_NS0_5tupleIJPjSI_NS0_16reverse_iteratorISI_EEEEENSH_IJSG_SG_SG_EEES9_SI_JZNS1_25segmented_radix_sort_implINS0_14default_configELb1EPKfPfPKlPlN2at6native12_GLOBAL__N_18offset_tEEE10hipError_tPvRmT1_PNSt15iterator_traitsIS12_E10value_typeET2_T3_PNS13_IS18_E10value_typeET4_jRbjT5_S1E_jjP12ihipStream_tbEUljE_ZNSN_ISO_Lb1ESQ_SR_ST_SU_SY_EESZ_S10_S11_S12_S16_S17_S18_S1B_S1C_jS1D_jS1E_S1E_jjS1G_bEUljE0_EEESZ_S10_S11_S18_S1C_S1E_T6_T7_T9_mT8_S1G_bDpT10_ENKUlT_T0_E_clISt17integral_constantIbLb0EES1U_EEDaS1P_S1Q_EUlS1P_E_NS1_11comp_targetILNS1_3genE4ELNS1_11target_archE910ELNS1_3gpuE8ELNS1_3repE0EEENS1_30default_config_static_selectorELNS0_4arch9wavefront6targetE0EEEvS12_, .Lfunc_end1263-_ZN7rocprim17ROCPRIM_400000_NS6detail17trampoline_kernelINS0_13select_configILj256ELj13ELNS0_17block_load_methodE3ELS4_3ELS4_3ELNS0_20block_scan_algorithmE0ELj4294967295EEENS1_25partition_config_selectorILNS1_17partition_subalgoE4EjNS0_10empty_typeEbEEZZNS1_14partition_implILS8_4ELb0ES6_15HIP_vector_typeIjLj2EENS0_17counting_iteratorIjlEEPS9_SG_NS0_5tupleIJPjSI_NS0_16reverse_iteratorISI_EEEEENSH_IJSG_SG_SG_EEES9_SI_JZNS1_25segmented_radix_sort_implINS0_14default_configELb1EPKfPfPKlPlN2at6native12_GLOBAL__N_18offset_tEEE10hipError_tPvRmT1_PNSt15iterator_traitsIS12_E10value_typeET2_T3_PNS13_IS18_E10value_typeET4_jRbjT5_S1E_jjP12ihipStream_tbEUljE_ZNSN_ISO_Lb1ESQ_SR_ST_SU_SY_EESZ_S10_S11_S12_S16_S17_S18_S1B_S1C_jS1D_jS1E_S1E_jjS1G_bEUljE0_EEESZ_S10_S11_S18_S1C_S1E_T6_T7_T9_mT8_S1G_bDpT10_ENKUlT_T0_E_clISt17integral_constantIbLb0EES1U_EEDaS1P_S1Q_EUlS1P_E_NS1_11comp_targetILNS1_3genE4ELNS1_11target_archE910ELNS1_3gpuE8ELNS1_3repE0EEENS1_30default_config_static_selectorELNS0_4arch9wavefront6targetE0EEEvS12_
                                        ; -- End function
	.section	.AMDGPU.csdata,"",@progbits
; Kernel info:
; codeLenInByte = 0
; NumSgprs: 0
; NumVgprs: 0
; ScratchSize: 0
; MemoryBound: 0
; FloatMode: 240
; IeeeMode: 1
; LDSByteSize: 0 bytes/workgroup (compile time only)
; SGPRBlocks: 0
; VGPRBlocks: 0
; NumSGPRsForWavesPerEU: 1
; NumVGPRsForWavesPerEU: 1
; Occupancy: 16
; WaveLimiterHint : 0
; COMPUTE_PGM_RSRC2:SCRATCH_EN: 0
; COMPUTE_PGM_RSRC2:USER_SGPR: 15
; COMPUTE_PGM_RSRC2:TRAP_HANDLER: 0
; COMPUTE_PGM_RSRC2:TGID_X_EN: 1
; COMPUTE_PGM_RSRC2:TGID_Y_EN: 0
; COMPUTE_PGM_RSRC2:TGID_Z_EN: 0
; COMPUTE_PGM_RSRC2:TIDIG_COMP_CNT: 0
	.section	.text._ZN7rocprim17ROCPRIM_400000_NS6detail17trampoline_kernelINS0_13select_configILj256ELj13ELNS0_17block_load_methodE3ELS4_3ELS4_3ELNS0_20block_scan_algorithmE0ELj4294967295EEENS1_25partition_config_selectorILNS1_17partition_subalgoE4EjNS0_10empty_typeEbEEZZNS1_14partition_implILS8_4ELb0ES6_15HIP_vector_typeIjLj2EENS0_17counting_iteratorIjlEEPS9_SG_NS0_5tupleIJPjSI_NS0_16reverse_iteratorISI_EEEEENSH_IJSG_SG_SG_EEES9_SI_JZNS1_25segmented_radix_sort_implINS0_14default_configELb1EPKfPfPKlPlN2at6native12_GLOBAL__N_18offset_tEEE10hipError_tPvRmT1_PNSt15iterator_traitsIS12_E10value_typeET2_T3_PNS13_IS18_E10value_typeET4_jRbjT5_S1E_jjP12ihipStream_tbEUljE_ZNSN_ISO_Lb1ESQ_SR_ST_SU_SY_EESZ_S10_S11_S12_S16_S17_S18_S1B_S1C_jS1D_jS1E_S1E_jjS1G_bEUljE0_EEESZ_S10_S11_S18_S1C_S1E_T6_T7_T9_mT8_S1G_bDpT10_ENKUlT_T0_E_clISt17integral_constantIbLb0EES1U_EEDaS1P_S1Q_EUlS1P_E_NS1_11comp_targetILNS1_3genE3ELNS1_11target_archE908ELNS1_3gpuE7ELNS1_3repE0EEENS1_30default_config_static_selectorELNS0_4arch9wavefront6targetE0EEEvS12_,"axG",@progbits,_ZN7rocprim17ROCPRIM_400000_NS6detail17trampoline_kernelINS0_13select_configILj256ELj13ELNS0_17block_load_methodE3ELS4_3ELS4_3ELNS0_20block_scan_algorithmE0ELj4294967295EEENS1_25partition_config_selectorILNS1_17partition_subalgoE4EjNS0_10empty_typeEbEEZZNS1_14partition_implILS8_4ELb0ES6_15HIP_vector_typeIjLj2EENS0_17counting_iteratorIjlEEPS9_SG_NS0_5tupleIJPjSI_NS0_16reverse_iteratorISI_EEEEENSH_IJSG_SG_SG_EEES9_SI_JZNS1_25segmented_radix_sort_implINS0_14default_configELb1EPKfPfPKlPlN2at6native12_GLOBAL__N_18offset_tEEE10hipError_tPvRmT1_PNSt15iterator_traitsIS12_E10value_typeET2_T3_PNS13_IS18_E10value_typeET4_jRbjT5_S1E_jjP12ihipStream_tbEUljE_ZNSN_ISO_Lb1ESQ_SR_ST_SU_SY_EESZ_S10_S11_S12_S16_S17_S18_S1B_S1C_jS1D_jS1E_S1E_jjS1G_bEUljE0_EEESZ_S10_S11_S18_S1C_S1E_T6_T7_T9_mT8_S1G_bDpT10_ENKUlT_T0_E_clISt17integral_constantIbLb0EES1U_EEDaS1P_S1Q_EUlS1P_E_NS1_11comp_targetILNS1_3genE3ELNS1_11target_archE908ELNS1_3gpuE7ELNS1_3repE0EEENS1_30default_config_static_selectorELNS0_4arch9wavefront6targetE0EEEvS12_,comdat
	.globl	_ZN7rocprim17ROCPRIM_400000_NS6detail17trampoline_kernelINS0_13select_configILj256ELj13ELNS0_17block_load_methodE3ELS4_3ELS4_3ELNS0_20block_scan_algorithmE0ELj4294967295EEENS1_25partition_config_selectorILNS1_17partition_subalgoE4EjNS0_10empty_typeEbEEZZNS1_14partition_implILS8_4ELb0ES6_15HIP_vector_typeIjLj2EENS0_17counting_iteratorIjlEEPS9_SG_NS0_5tupleIJPjSI_NS0_16reverse_iteratorISI_EEEEENSH_IJSG_SG_SG_EEES9_SI_JZNS1_25segmented_radix_sort_implINS0_14default_configELb1EPKfPfPKlPlN2at6native12_GLOBAL__N_18offset_tEEE10hipError_tPvRmT1_PNSt15iterator_traitsIS12_E10value_typeET2_T3_PNS13_IS18_E10value_typeET4_jRbjT5_S1E_jjP12ihipStream_tbEUljE_ZNSN_ISO_Lb1ESQ_SR_ST_SU_SY_EESZ_S10_S11_S12_S16_S17_S18_S1B_S1C_jS1D_jS1E_S1E_jjS1G_bEUljE0_EEESZ_S10_S11_S18_S1C_S1E_T6_T7_T9_mT8_S1G_bDpT10_ENKUlT_T0_E_clISt17integral_constantIbLb0EES1U_EEDaS1P_S1Q_EUlS1P_E_NS1_11comp_targetILNS1_3genE3ELNS1_11target_archE908ELNS1_3gpuE7ELNS1_3repE0EEENS1_30default_config_static_selectorELNS0_4arch9wavefront6targetE0EEEvS12_ ; -- Begin function _ZN7rocprim17ROCPRIM_400000_NS6detail17trampoline_kernelINS0_13select_configILj256ELj13ELNS0_17block_load_methodE3ELS4_3ELS4_3ELNS0_20block_scan_algorithmE0ELj4294967295EEENS1_25partition_config_selectorILNS1_17partition_subalgoE4EjNS0_10empty_typeEbEEZZNS1_14partition_implILS8_4ELb0ES6_15HIP_vector_typeIjLj2EENS0_17counting_iteratorIjlEEPS9_SG_NS0_5tupleIJPjSI_NS0_16reverse_iteratorISI_EEEEENSH_IJSG_SG_SG_EEES9_SI_JZNS1_25segmented_radix_sort_implINS0_14default_configELb1EPKfPfPKlPlN2at6native12_GLOBAL__N_18offset_tEEE10hipError_tPvRmT1_PNSt15iterator_traitsIS12_E10value_typeET2_T3_PNS13_IS18_E10value_typeET4_jRbjT5_S1E_jjP12ihipStream_tbEUljE_ZNSN_ISO_Lb1ESQ_SR_ST_SU_SY_EESZ_S10_S11_S12_S16_S17_S18_S1B_S1C_jS1D_jS1E_S1E_jjS1G_bEUljE0_EEESZ_S10_S11_S18_S1C_S1E_T6_T7_T9_mT8_S1G_bDpT10_ENKUlT_T0_E_clISt17integral_constantIbLb0EES1U_EEDaS1P_S1Q_EUlS1P_E_NS1_11comp_targetILNS1_3genE3ELNS1_11target_archE908ELNS1_3gpuE7ELNS1_3repE0EEENS1_30default_config_static_selectorELNS0_4arch9wavefront6targetE0EEEvS12_
	.p2align	8
	.type	_ZN7rocprim17ROCPRIM_400000_NS6detail17trampoline_kernelINS0_13select_configILj256ELj13ELNS0_17block_load_methodE3ELS4_3ELS4_3ELNS0_20block_scan_algorithmE0ELj4294967295EEENS1_25partition_config_selectorILNS1_17partition_subalgoE4EjNS0_10empty_typeEbEEZZNS1_14partition_implILS8_4ELb0ES6_15HIP_vector_typeIjLj2EENS0_17counting_iteratorIjlEEPS9_SG_NS0_5tupleIJPjSI_NS0_16reverse_iteratorISI_EEEEENSH_IJSG_SG_SG_EEES9_SI_JZNS1_25segmented_radix_sort_implINS0_14default_configELb1EPKfPfPKlPlN2at6native12_GLOBAL__N_18offset_tEEE10hipError_tPvRmT1_PNSt15iterator_traitsIS12_E10value_typeET2_T3_PNS13_IS18_E10value_typeET4_jRbjT5_S1E_jjP12ihipStream_tbEUljE_ZNSN_ISO_Lb1ESQ_SR_ST_SU_SY_EESZ_S10_S11_S12_S16_S17_S18_S1B_S1C_jS1D_jS1E_S1E_jjS1G_bEUljE0_EEESZ_S10_S11_S18_S1C_S1E_T6_T7_T9_mT8_S1G_bDpT10_ENKUlT_T0_E_clISt17integral_constantIbLb0EES1U_EEDaS1P_S1Q_EUlS1P_E_NS1_11comp_targetILNS1_3genE3ELNS1_11target_archE908ELNS1_3gpuE7ELNS1_3repE0EEENS1_30default_config_static_selectorELNS0_4arch9wavefront6targetE0EEEvS12_,@function
_ZN7rocprim17ROCPRIM_400000_NS6detail17trampoline_kernelINS0_13select_configILj256ELj13ELNS0_17block_load_methodE3ELS4_3ELS4_3ELNS0_20block_scan_algorithmE0ELj4294967295EEENS1_25partition_config_selectorILNS1_17partition_subalgoE4EjNS0_10empty_typeEbEEZZNS1_14partition_implILS8_4ELb0ES6_15HIP_vector_typeIjLj2EENS0_17counting_iteratorIjlEEPS9_SG_NS0_5tupleIJPjSI_NS0_16reverse_iteratorISI_EEEEENSH_IJSG_SG_SG_EEES9_SI_JZNS1_25segmented_radix_sort_implINS0_14default_configELb1EPKfPfPKlPlN2at6native12_GLOBAL__N_18offset_tEEE10hipError_tPvRmT1_PNSt15iterator_traitsIS12_E10value_typeET2_T3_PNS13_IS18_E10value_typeET4_jRbjT5_S1E_jjP12ihipStream_tbEUljE_ZNSN_ISO_Lb1ESQ_SR_ST_SU_SY_EESZ_S10_S11_S12_S16_S17_S18_S1B_S1C_jS1D_jS1E_S1E_jjS1G_bEUljE0_EEESZ_S10_S11_S18_S1C_S1E_T6_T7_T9_mT8_S1G_bDpT10_ENKUlT_T0_E_clISt17integral_constantIbLb0EES1U_EEDaS1P_S1Q_EUlS1P_E_NS1_11comp_targetILNS1_3genE3ELNS1_11target_archE908ELNS1_3gpuE7ELNS1_3repE0EEENS1_30default_config_static_selectorELNS0_4arch9wavefront6targetE0EEEvS12_: ; @_ZN7rocprim17ROCPRIM_400000_NS6detail17trampoline_kernelINS0_13select_configILj256ELj13ELNS0_17block_load_methodE3ELS4_3ELS4_3ELNS0_20block_scan_algorithmE0ELj4294967295EEENS1_25partition_config_selectorILNS1_17partition_subalgoE4EjNS0_10empty_typeEbEEZZNS1_14partition_implILS8_4ELb0ES6_15HIP_vector_typeIjLj2EENS0_17counting_iteratorIjlEEPS9_SG_NS0_5tupleIJPjSI_NS0_16reverse_iteratorISI_EEEEENSH_IJSG_SG_SG_EEES9_SI_JZNS1_25segmented_radix_sort_implINS0_14default_configELb1EPKfPfPKlPlN2at6native12_GLOBAL__N_18offset_tEEE10hipError_tPvRmT1_PNSt15iterator_traitsIS12_E10value_typeET2_T3_PNS13_IS18_E10value_typeET4_jRbjT5_S1E_jjP12ihipStream_tbEUljE_ZNSN_ISO_Lb1ESQ_SR_ST_SU_SY_EESZ_S10_S11_S12_S16_S17_S18_S1B_S1C_jS1D_jS1E_S1E_jjS1G_bEUljE0_EEESZ_S10_S11_S18_S1C_S1E_T6_T7_T9_mT8_S1G_bDpT10_ENKUlT_T0_E_clISt17integral_constantIbLb0EES1U_EEDaS1P_S1Q_EUlS1P_E_NS1_11comp_targetILNS1_3genE3ELNS1_11target_archE908ELNS1_3gpuE7ELNS1_3repE0EEENS1_30default_config_static_selectorELNS0_4arch9wavefront6targetE0EEEvS12_
; %bb.0:
	.section	.rodata,"a",@progbits
	.p2align	6, 0x0
	.amdhsa_kernel _ZN7rocprim17ROCPRIM_400000_NS6detail17trampoline_kernelINS0_13select_configILj256ELj13ELNS0_17block_load_methodE3ELS4_3ELS4_3ELNS0_20block_scan_algorithmE0ELj4294967295EEENS1_25partition_config_selectorILNS1_17partition_subalgoE4EjNS0_10empty_typeEbEEZZNS1_14partition_implILS8_4ELb0ES6_15HIP_vector_typeIjLj2EENS0_17counting_iteratorIjlEEPS9_SG_NS0_5tupleIJPjSI_NS0_16reverse_iteratorISI_EEEEENSH_IJSG_SG_SG_EEES9_SI_JZNS1_25segmented_radix_sort_implINS0_14default_configELb1EPKfPfPKlPlN2at6native12_GLOBAL__N_18offset_tEEE10hipError_tPvRmT1_PNSt15iterator_traitsIS12_E10value_typeET2_T3_PNS13_IS18_E10value_typeET4_jRbjT5_S1E_jjP12ihipStream_tbEUljE_ZNSN_ISO_Lb1ESQ_SR_ST_SU_SY_EESZ_S10_S11_S12_S16_S17_S18_S1B_S1C_jS1D_jS1E_S1E_jjS1G_bEUljE0_EEESZ_S10_S11_S18_S1C_S1E_T6_T7_T9_mT8_S1G_bDpT10_ENKUlT_T0_E_clISt17integral_constantIbLb0EES1U_EEDaS1P_S1Q_EUlS1P_E_NS1_11comp_targetILNS1_3genE3ELNS1_11target_archE908ELNS1_3gpuE7ELNS1_3repE0EEENS1_30default_config_static_selectorELNS0_4arch9wavefront6targetE0EEEvS12_
		.amdhsa_group_segment_fixed_size 0
		.amdhsa_private_segment_fixed_size 0
		.amdhsa_kernarg_size 176
		.amdhsa_user_sgpr_count 15
		.amdhsa_user_sgpr_dispatch_ptr 0
		.amdhsa_user_sgpr_queue_ptr 0
		.amdhsa_user_sgpr_kernarg_segment_ptr 1
		.amdhsa_user_sgpr_dispatch_id 0
		.amdhsa_user_sgpr_private_segment_size 0
		.amdhsa_wavefront_size32 1
		.amdhsa_uses_dynamic_stack 0
		.amdhsa_enable_private_segment 0
		.amdhsa_system_sgpr_workgroup_id_x 1
		.amdhsa_system_sgpr_workgroup_id_y 0
		.amdhsa_system_sgpr_workgroup_id_z 0
		.amdhsa_system_sgpr_workgroup_info 0
		.amdhsa_system_vgpr_workitem_id 0
		.amdhsa_next_free_vgpr 1
		.amdhsa_next_free_sgpr 1
		.amdhsa_reserve_vcc 0
		.amdhsa_float_round_mode_32 0
		.amdhsa_float_round_mode_16_64 0
		.amdhsa_float_denorm_mode_32 3
		.amdhsa_float_denorm_mode_16_64 3
		.amdhsa_dx10_clamp 1
		.amdhsa_ieee_mode 1
		.amdhsa_fp16_overflow 0
		.amdhsa_workgroup_processor_mode 1
		.amdhsa_memory_ordered 1
		.amdhsa_forward_progress 0
		.amdhsa_shared_vgpr_count 0
		.amdhsa_exception_fp_ieee_invalid_op 0
		.amdhsa_exception_fp_denorm_src 0
		.amdhsa_exception_fp_ieee_div_zero 0
		.amdhsa_exception_fp_ieee_overflow 0
		.amdhsa_exception_fp_ieee_underflow 0
		.amdhsa_exception_fp_ieee_inexact 0
		.amdhsa_exception_int_div_zero 0
	.end_amdhsa_kernel
	.section	.text._ZN7rocprim17ROCPRIM_400000_NS6detail17trampoline_kernelINS0_13select_configILj256ELj13ELNS0_17block_load_methodE3ELS4_3ELS4_3ELNS0_20block_scan_algorithmE0ELj4294967295EEENS1_25partition_config_selectorILNS1_17partition_subalgoE4EjNS0_10empty_typeEbEEZZNS1_14partition_implILS8_4ELb0ES6_15HIP_vector_typeIjLj2EENS0_17counting_iteratorIjlEEPS9_SG_NS0_5tupleIJPjSI_NS0_16reverse_iteratorISI_EEEEENSH_IJSG_SG_SG_EEES9_SI_JZNS1_25segmented_radix_sort_implINS0_14default_configELb1EPKfPfPKlPlN2at6native12_GLOBAL__N_18offset_tEEE10hipError_tPvRmT1_PNSt15iterator_traitsIS12_E10value_typeET2_T3_PNS13_IS18_E10value_typeET4_jRbjT5_S1E_jjP12ihipStream_tbEUljE_ZNSN_ISO_Lb1ESQ_SR_ST_SU_SY_EESZ_S10_S11_S12_S16_S17_S18_S1B_S1C_jS1D_jS1E_S1E_jjS1G_bEUljE0_EEESZ_S10_S11_S18_S1C_S1E_T6_T7_T9_mT8_S1G_bDpT10_ENKUlT_T0_E_clISt17integral_constantIbLb0EES1U_EEDaS1P_S1Q_EUlS1P_E_NS1_11comp_targetILNS1_3genE3ELNS1_11target_archE908ELNS1_3gpuE7ELNS1_3repE0EEENS1_30default_config_static_selectorELNS0_4arch9wavefront6targetE0EEEvS12_,"axG",@progbits,_ZN7rocprim17ROCPRIM_400000_NS6detail17trampoline_kernelINS0_13select_configILj256ELj13ELNS0_17block_load_methodE3ELS4_3ELS4_3ELNS0_20block_scan_algorithmE0ELj4294967295EEENS1_25partition_config_selectorILNS1_17partition_subalgoE4EjNS0_10empty_typeEbEEZZNS1_14partition_implILS8_4ELb0ES6_15HIP_vector_typeIjLj2EENS0_17counting_iteratorIjlEEPS9_SG_NS0_5tupleIJPjSI_NS0_16reverse_iteratorISI_EEEEENSH_IJSG_SG_SG_EEES9_SI_JZNS1_25segmented_radix_sort_implINS0_14default_configELb1EPKfPfPKlPlN2at6native12_GLOBAL__N_18offset_tEEE10hipError_tPvRmT1_PNSt15iterator_traitsIS12_E10value_typeET2_T3_PNS13_IS18_E10value_typeET4_jRbjT5_S1E_jjP12ihipStream_tbEUljE_ZNSN_ISO_Lb1ESQ_SR_ST_SU_SY_EESZ_S10_S11_S12_S16_S17_S18_S1B_S1C_jS1D_jS1E_S1E_jjS1G_bEUljE0_EEESZ_S10_S11_S18_S1C_S1E_T6_T7_T9_mT8_S1G_bDpT10_ENKUlT_T0_E_clISt17integral_constantIbLb0EES1U_EEDaS1P_S1Q_EUlS1P_E_NS1_11comp_targetILNS1_3genE3ELNS1_11target_archE908ELNS1_3gpuE7ELNS1_3repE0EEENS1_30default_config_static_selectorELNS0_4arch9wavefront6targetE0EEEvS12_,comdat
.Lfunc_end1264:
	.size	_ZN7rocprim17ROCPRIM_400000_NS6detail17trampoline_kernelINS0_13select_configILj256ELj13ELNS0_17block_load_methodE3ELS4_3ELS4_3ELNS0_20block_scan_algorithmE0ELj4294967295EEENS1_25partition_config_selectorILNS1_17partition_subalgoE4EjNS0_10empty_typeEbEEZZNS1_14partition_implILS8_4ELb0ES6_15HIP_vector_typeIjLj2EENS0_17counting_iteratorIjlEEPS9_SG_NS0_5tupleIJPjSI_NS0_16reverse_iteratorISI_EEEEENSH_IJSG_SG_SG_EEES9_SI_JZNS1_25segmented_radix_sort_implINS0_14default_configELb1EPKfPfPKlPlN2at6native12_GLOBAL__N_18offset_tEEE10hipError_tPvRmT1_PNSt15iterator_traitsIS12_E10value_typeET2_T3_PNS13_IS18_E10value_typeET4_jRbjT5_S1E_jjP12ihipStream_tbEUljE_ZNSN_ISO_Lb1ESQ_SR_ST_SU_SY_EESZ_S10_S11_S12_S16_S17_S18_S1B_S1C_jS1D_jS1E_S1E_jjS1G_bEUljE0_EEESZ_S10_S11_S18_S1C_S1E_T6_T7_T9_mT8_S1G_bDpT10_ENKUlT_T0_E_clISt17integral_constantIbLb0EES1U_EEDaS1P_S1Q_EUlS1P_E_NS1_11comp_targetILNS1_3genE3ELNS1_11target_archE908ELNS1_3gpuE7ELNS1_3repE0EEENS1_30default_config_static_selectorELNS0_4arch9wavefront6targetE0EEEvS12_, .Lfunc_end1264-_ZN7rocprim17ROCPRIM_400000_NS6detail17trampoline_kernelINS0_13select_configILj256ELj13ELNS0_17block_load_methodE3ELS4_3ELS4_3ELNS0_20block_scan_algorithmE0ELj4294967295EEENS1_25partition_config_selectorILNS1_17partition_subalgoE4EjNS0_10empty_typeEbEEZZNS1_14partition_implILS8_4ELb0ES6_15HIP_vector_typeIjLj2EENS0_17counting_iteratorIjlEEPS9_SG_NS0_5tupleIJPjSI_NS0_16reverse_iteratorISI_EEEEENSH_IJSG_SG_SG_EEES9_SI_JZNS1_25segmented_radix_sort_implINS0_14default_configELb1EPKfPfPKlPlN2at6native12_GLOBAL__N_18offset_tEEE10hipError_tPvRmT1_PNSt15iterator_traitsIS12_E10value_typeET2_T3_PNS13_IS18_E10value_typeET4_jRbjT5_S1E_jjP12ihipStream_tbEUljE_ZNSN_ISO_Lb1ESQ_SR_ST_SU_SY_EESZ_S10_S11_S12_S16_S17_S18_S1B_S1C_jS1D_jS1E_S1E_jjS1G_bEUljE0_EEESZ_S10_S11_S18_S1C_S1E_T6_T7_T9_mT8_S1G_bDpT10_ENKUlT_T0_E_clISt17integral_constantIbLb0EES1U_EEDaS1P_S1Q_EUlS1P_E_NS1_11comp_targetILNS1_3genE3ELNS1_11target_archE908ELNS1_3gpuE7ELNS1_3repE0EEENS1_30default_config_static_selectorELNS0_4arch9wavefront6targetE0EEEvS12_
                                        ; -- End function
	.section	.AMDGPU.csdata,"",@progbits
; Kernel info:
; codeLenInByte = 0
; NumSgprs: 0
; NumVgprs: 0
; ScratchSize: 0
; MemoryBound: 0
; FloatMode: 240
; IeeeMode: 1
; LDSByteSize: 0 bytes/workgroup (compile time only)
; SGPRBlocks: 0
; VGPRBlocks: 0
; NumSGPRsForWavesPerEU: 1
; NumVGPRsForWavesPerEU: 1
; Occupancy: 16
; WaveLimiterHint : 0
; COMPUTE_PGM_RSRC2:SCRATCH_EN: 0
; COMPUTE_PGM_RSRC2:USER_SGPR: 15
; COMPUTE_PGM_RSRC2:TRAP_HANDLER: 0
; COMPUTE_PGM_RSRC2:TGID_X_EN: 1
; COMPUTE_PGM_RSRC2:TGID_Y_EN: 0
; COMPUTE_PGM_RSRC2:TGID_Z_EN: 0
; COMPUTE_PGM_RSRC2:TIDIG_COMP_CNT: 0
	.section	.text._ZN7rocprim17ROCPRIM_400000_NS6detail17trampoline_kernelINS0_13select_configILj256ELj13ELNS0_17block_load_methodE3ELS4_3ELS4_3ELNS0_20block_scan_algorithmE0ELj4294967295EEENS1_25partition_config_selectorILNS1_17partition_subalgoE4EjNS0_10empty_typeEbEEZZNS1_14partition_implILS8_4ELb0ES6_15HIP_vector_typeIjLj2EENS0_17counting_iteratorIjlEEPS9_SG_NS0_5tupleIJPjSI_NS0_16reverse_iteratorISI_EEEEENSH_IJSG_SG_SG_EEES9_SI_JZNS1_25segmented_radix_sort_implINS0_14default_configELb1EPKfPfPKlPlN2at6native12_GLOBAL__N_18offset_tEEE10hipError_tPvRmT1_PNSt15iterator_traitsIS12_E10value_typeET2_T3_PNS13_IS18_E10value_typeET4_jRbjT5_S1E_jjP12ihipStream_tbEUljE_ZNSN_ISO_Lb1ESQ_SR_ST_SU_SY_EESZ_S10_S11_S12_S16_S17_S18_S1B_S1C_jS1D_jS1E_S1E_jjS1G_bEUljE0_EEESZ_S10_S11_S18_S1C_S1E_T6_T7_T9_mT8_S1G_bDpT10_ENKUlT_T0_E_clISt17integral_constantIbLb0EES1U_EEDaS1P_S1Q_EUlS1P_E_NS1_11comp_targetILNS1_3genE2ELNS1_11target_archE906ELNS1_3gpuE6ELNS1_3repE0EEENS1_30default_config_static_selectorELNS0_4arch9wavefront6targetE0EEEvS12_,"axG",@progbits,_ZN7rocprim17ROCPRIM_400000_NS6detail17trampoline_kernelINS0_13select_configILj256ELj13ELNS0_17block_load_methodE3ELS4_3ELS4_3ELNS0_20block_scan_algorithmE0ELj4294967295EEENS1_25partition_config_selectorILNS1_17partition_subalgoE4EjNS0_10empty_typeEbEEZZNS1_14partition_implILS8_4ELb0ES6_15HIP_vector_typeIjLj2EENS0_17counting_iteratorIjlEEPS9_SG_NS0_5tupleIJPjSI_NS0_16reverse_iteratorISI_EEEEENSH_IJSG_SG_SG_EEES9_SI_JZNS1_25segmented_radix_sort_implINS0_14default_configELb1EPKfPfPKlPlN2at6native12_GLOBAL__N_18offset_tEEE10hipError_tPvRmT1_PNSt15iterator_traitsIS12_E10value_typeET2_T3_PNS13_IS18_E10value_typeET4_jRbjT5_S1E_jjP12ihipStream_tbEUljE_ZNSN_ISO_Lb1ESQ_SR_ST_SU_SY_EESZ_S10_S11_S12_S16_S17_S18_S1B_S1C_jS1D_jS1E_S1E_jjS1G_bEUljE0_EEESZ_S10_S11_S18_S1C_S1E_T6_T7_T9_mT8_S1G_bDpT10_ENKUlT_T0_E_clISt17integral_constantIbLb0EES1U_EEDaS1P_S1Q_EUlS1P_E_NS1_11comp_targetILNS1_3genE2ELNS1_11target_archE906ELNS1_3gpuE6ELNS1_3repE0EEENS1_30default_config_static_selectorELNS0_4arch9wavefront6targetE0EEEvS12_,comdat
	.globl	_ZN7rocprim17ROCPRIM_400000_NS6detail17trampoline_kernelINS0_13select_configILj256ELj13ELNS0_17block_load_methodE3ELS4_3ELS4_3ELNS0_20block_scan_algorithmE0ELj4294967295EEENS1_25partition_config_selectorILNS1_17partition_subalgoE4EjNS0_10empty_typeEbEEZZNS1_14partition_implILS8_4ELb0ES6_15HIP_vector_typeIjLj2EENS0_17counting_iteratorIjlEEPS9_SG_NS0_5tupleIJPjSI_NS0_16reverse_iteratorISI_EEEEENSH_IJSG_SG_SG_EEES9_SI_JZNS1_25segmented_radix_sort_implINS0_14default_configELb1EPKfPfPKlPlN2at6native12_GLOBAL__N_18offset_tEEE10hipError_tPvRmT1_PNSt15iterator_traitsIS12_E10value_typeET2_T3_PNS13_IS18_E10value_typeET4_jRbjT5_S1E_jjP12ihipStream_tbEUljE_ZNSN_ISO_Lb1ESQ_SR_ST_SU_SY_EESZ_S10_S11_S12_S16_S17_S18_S1B_S1C_jS1D_jS1E_S1E_jjS1G_bEUljE0_EEESZ_S10_S11_S18_S1C_S1E_T6_T7_T9_mT8_S1G_bDpT10_ENKUlT_T0_E_clISt17integral_constantIbLb0EES1U_EEDaS1P_S1Q_EUlS1P_E_NS1_11comp_targetILNS1_3genE2ELNS1_11target_archE906ELNS1_3gpuE6ELNS1_3repE0EEENS1_30default_config_static_selectorELNS0_4arch9wavefront6targetE0EEEvS12_ ; -- Begin function _ZN7rocprim17ROCPRIM_400000_NS6detail17trampoline_kernelINS0_13select_configILj256ELj13ELNS0_17block_load_methodE3ELS4_3ELS4_3ELNS0_20block_scan_algorithmE0ELj4294967295EEENS1_25partition_config_selectorILNS1_17partition_subalgoE4EjNS0_10empty_typeEbEEZZNS1_14partition_implILS8_4ELb0ES6_15HIP_vector_typeIjLj2EENS0_17counting_iteratorIjlEEPS9_SG_NS0_5tupleIJPjSI_NS0_16reverse_iteratorISI_EEEEENSH_IJSG_SG_SG_EEES9_SI_JZNS1_25segmented_radix_sort_implINS0_14default_configELb1EPKfPfPKlPlN2at6native12_GLOBAL__N_18offset_tEEE10hipError_tPvRmT1_PNSt15iterator_traitsIS12_E10value_typeET2_T3_PNS13_IS18_E10value_typeET4_jRbjT5_S1E_jjP12ihipStream_tbEUljE_ZNSN_ISO_Lb1ESQ_SR_ST_SU_SY_EESZ_S10_S11_S12_S16_S17_S18_S1B_S1C_jS1D_jS1E_S1E_jjS1G_bEUljE0_EEESZ_S10_S11_S18_S1C_S1E_T6_T7_T9_mT8_S1G_bDpT10_ENKUlT_T0_E_clISt17integral_constantIbLb0EES1U_EEDaS1P_S1Q_EUlS1P_E_NS1_11comp_targetILNS1_3genE2ELNS1_11target_archE906ELNS1_3gpuE6ELNS1_3repE0EEENS1_30default_config_static_selectorELNS0_4arch9wavefront6targetE0EEEvS12_
	.p2align	8
	.type	_ZN7rocprim17ROCPRIM_400000_NS6detail17trampoline_kernelINS0_13select_configILj256ELj13ELNS0_17block_load_methodE3ELS4_3ELS4_3ELNS0_20block_scan_algorithmE0ELj4294967295EEENS1_25partition_config_selectorILNS1_17partition_subalgoE4EjNS0_10empty_typeEbEEZZNS1_14partition_implILS8_4ELb0ES6_15HIP_vector_typeIjLj2EENS0_17counting_iteratorIjlEEPS9_SG_NS0_5tupleIJPjSI_NS0_16reverse_iteratorISI_EEEEENSH_IJSG_SG_SG_EEES9_SI_JZNS1_25segmented_radix_sort_implINS0_14default_configELb1EPKfPfPKlPlN2at6native12_GLOBAL__N_18offset_tEEE10hipError_tPvRmT1_PNSt15iterator_traitsIS12_E10value_typeET2_T3_PNS13_IS18_E10value_typeET4_jRbjT5_S1E_jjP12ihipStream_tbEUljE_ZNSN_ISO_Lb1ESQ_SR_ST_SU_SY_EESZ_S10_S11_S12_S16_S17_S18_S1B_S1C_jS1D_jS1E_S1E_jjS1G_bEUljE0_EEESZ_S10_S11_S18_S1C_S1E_T6_T7_T9_mT8_S1G_bDpT10_ENKUlT_T0_E_clISt17integral_constantIbLb0EES1U_EEDaS1P_S1Q_EUlS1P_E_NS1_11comp_targetILNS1_3genE2ELNS1_11target_archE906ELNS1_3gpuE6ELNS1_3repE0EEENS1_30default_config_static_selectorELNS0_4arch9wavefront6targetE0EEEvS12_,@function
_ZN7rocprim17ROCPRIM_400000_NS6detail17trampoline_kernelINS0_13select_configILj256ELj13ELNS0_17block_load_methodE3ELS4_3ELS4_3ELNS0_20block_scan_algorithmE0ELj4294967295EEENS1_25partition_config_selectorILNS1_17partition_subalgoE4EjNS0_10empty_typeEbEEZZNS1_14partition_implILS8_4ELb0ES6_15HIP_vector_typeIjLj2EENS0_17counting_iteratorIjlEEPS9_SG_NS0_5tupleIJPjSI_NS0_16reverse_iteratorISI_EEEEENSH_IJSG_SG_SG_EEES9_SI_JZNS1_25segmented_radix_sort_implINS0_14default_configELb1EPKfPfPKlPlN2at6native12_GLOBAL__N_18offset_tEEE10hipError_tPvRmT1_PNSt15iterator_traitsIS12_E10value_typeET2_T3_PNS13_IS18_E10value_typeET4_jRbjT5_S1E_jjP12ihipStream_tbEUljE_ZNSN_ISO_Lb1ESQ_SR_ST_SU_SY_EESZ_S10_S11_S12_S16_S17_S18_S1B_S1C_jS1D_jS1E_S1E_jjS1G_bEUljE0_EEESZ_S10_S11_S18_S1C_S1E_T6_T7_T9_mT8_S1G_bDpT10_ENKUlT_T0_E_clISt17integral_constantIbLb0EES1U_EEDaS1P_S1Q_EUlS1P_E_NS1_11comp_targetILNS1_3genE2ELNS1_11target_archE906ELNS1_3gpuE6ELNS1_3repE0EEENS1_30default_config_static_selectorELNS0_4arch9wavefront6targetE0EEEvS12_: ; @_ZN7rocprim17ROCPRIM_400000_NS6detail17trampoline_kernelINS0_13select_configILj256ELj13ELNS0_17block_load_methodE3ELS4_3ELS4_3ELNS0_20block_scan_algorithmE0ELj4294967295EEENS1_25partition_config_selectorILNS1_17partition_subalgoE4EjNS0_10empty_typeEbEEZZNS1_14partition_implILS8_4ELb0ES6_15HIP_vector_typeIjLj2EENS0_17counting_iteratorIjlEEPS9_SG_NS0_5tupleIJPjSI_NS0_16reverse_iteratorISI_EEEEENSH_IJSG_SG_SG_EEES9_SI_JZNS1_25segmented_radix_sort_implINS0_14default_configELb1EPKfPfPKlPlN2at6native12_GLOBAL__N_18offset_tEEE10hipError_tPvRmT1_PNSt15iterator_traitsIS12_E10value_typeET2_T3_PNS13_IS18_E10value_typeET4_jRbjT5_S1E_jjP12ihipStream_tbEUljE_ZNSN_ISO_Lb1ESQ_SR_ST_SU_SY_EESZ_S10_S11_S12_S16_S17_S18_S1B_S1C_jS1D_jS1E_S1E_jjS1G_bEUljE0_EEESZ_S10_S11_S18_S1C_S1E_T6_T7_T9_mT8_S1G_bDpT10_ENKUlT_T0_E_clISt17integral_constantIbLb0EES1U_EEDaS1P_S1Q_EUlS1P_E_NS1_11comp_targetILNS1_3genE2ELNS1_11target_archE906ELNS1_3gpuE6ELNS1_3repE0EEENS1_30default_config_static_selectorELNS0_4arch9wavefront6targetE0EEEvS12_
; %bb.0:
	.section	.rodata,"a",@progbits
	.p2align	6, 0x0
	.amdhsa_kernel _ZN7rocprim17ROCPRIM_400000_NS6detail17trampoline_kernelINS0_13select_configILj256ELj13ELNS0_17block_load_methodE3ELS4_3ELS4_3ELNS0_20block_scan_algorithmE0ELj4294967295EEENS1_25partition_config_selectorILNS1_17partition_subalgoE4EjNS0_10empty_typeEbEEZZNS1_14partition_implILS8_4ELb0ES6_15HIP_vector_typeIjLj2EENS0_17counting_iteratorIjlEEPS9_SG_NS0_5tupleIJPjSI_NS0_16reverse_iteratorISI_EEEEENSH_IJSG_SG_SG_EEES9_SI_JZNS1_25segmented_radix_sort_implINS0_14default_configELb1EPKfPfPKlPlN2at6native12_GLOBAL__N_18offset_tEEE10hipError_tPvRmT1_PNSt15iterator_traitsIS12_E10value_typeET2_T3_PNS13_IS18_E10value_typeET4_jRbjT5_S1E_jjP12ihipStream_tbEUljE_ZNSN_ISO_Lb1ESQ_SR_ST_SU_SY_EESZ_S10_S11_S12_S16_S17_S18_S1B_S1C_jS1D_jS1E_S1E_jjS1G_bEUljE0_EEESZ_S10_S11_S18_S1C_S1E_T6_T7_T9_mT8_S1G_bDpT10_ENKUlT_T0_E_clISt17integral_constantIbLb0EES1U_EEDaS1P_S1Q_EUlS1P_E_NS1_11comp_targetILNS1_3genE2ELNS1_11target_archE906ELNS1_3gpuE6ELNS1_3repE0EEENS1_30default_config_static_selectorELNS0_4arch9wavefront6targetE0EEEvS12_
		.amdhsa_group_segment_fixed_size 0
		.amdhsa_private_segment_fixed_size 0
		.amdhsa_kernarg_size 176
		.amdhsa_user_sgpr_count 15
		.amdhsa_user_sgpr_dispatch_ptr 0
		.amdhsa_user_sgpr_queue_ptr 0
		.amdhsa_user_sgpr_kernarg_segment_ptr 1
		.amdhsa_user_sgpr_dispatch_id 0
		.amdhsa_user_sgpr_private_segment_size 0
		.amdhsa_wavefront_size32 1
		.amdhsa_uses_dynamic_stack 0
		.amdhsa_enable_private_segment 0
		.amdhsa_system_sgpr_workgroup_id_x 1
		.amdhsa_system_sgpr_workgroup_id_y 0
		.amdhsa_system_sgpr_workgroup_id_z 0
		.amdhsa_system_sgpr_workgroup_info 0
		.amdhsa_system_vgpr_workitem_id 0
		.amdhsa_next_free_vgpr 1
		.amdhsa_next_free_sgpr 1
		.amdhsa_reserve_vcc 0
		.amdhsa_float_round_mode_32 0
		.amdhsa_float_round_mode_16_64 0
		.amdhsa_float_denorm_mode_32 3
		.amdhsa_float_denorm_mode_16_64 3
		.amdhsa_dx10_clamp 1
		.amdhsa_ieee_mode 1
		.amdhsa_fp16_overflow 0
		.amdhsa_workgroup_processor_mode 1
		.amdhsa_memory_ordered 1
		.amdhsa_forward_progress 0
		.amdhsa_shared_vgpr_count 0
		.amdhsa_exception_fp_ieee_invalid_op 0
		.amdhsa_exception_fp_denorm_src 0
		.amdhsa_exception_fp_ieee_div_zero 0
		.amdhsa_exception_fp_ieee_overflow 0
		.amdhsa_exception_fp_ieee_underflow 0
		.amdhsa_exception_fp_ieee_inexact 0
		.amdhsa_exception_int_div_zero 0
	.end_amdhsa_kernel
	.section	.text._ZN7rocprim17ROCPRIM_400000_NS6detail17trampoline_kernelINS0_13select_configILj256ELj13ELNS0_17block_load_methodE3ELS4_3ELS4_3ELNS0_20block_scan_algorithmE0ELj4294967295EEENS1_25partition_config_selectorILNS1_17partition_subalgoE4EjNS0_10empty_typeEbEEZZNS1_14partition_implILS8_4ELb0ES6_15HIP_vector_typeIjLj2EENS0_17counting_iteratorIjlEEPS9_SG_NS0_5tupleIJPjSI_NS0_16reverse_iteratorISI_EEEEENSH_IJSG_SG_SG_EEES9_SI_JZNS1_25segmented_radix_sort_implINS0_14default_configELb1EPKfPfPKlPlN2at6native12_GLOBAL__N_18offset_tEEE10hipError_tPvRmT1_PNSt15iterator_traitsIS12_E10value_typeET2_T3_PNS13_IS18_E10value_typeET4_jRbjT5_S1E_jjP12ihipStream_tbEUljE_ZNSN_ISO_Lb1ESQ_SR_ST_SU_SY_EESZ_S10_S11_S12_S16_S17_S18_S1B_S1C_jS1D_jS1E_S1E_jjS1G_bEUljE0_EEESZ_S10_S11_S18_S1C_S1E_T6_T7_T9_mT8_S1G_bDpT10_ENKUlT_T0_E_clISt17integral_constantIbLb0EES1U_EEDaS1P_S1Q_EUlS1P_E_NS1_11comp_targetILNS1_3genE2ELNS1_11target_archE906ELNS1_3gpuE6ELNS1_3repE0EEENS1_30default_config_static_selectorELNS0_4arch9wavefront6targetE0EEEvS12_,"axG",@progbits,_ZN7rocprim17ROCPRIM_400000_NS6detail17trampoline_kernelINS0_13select_configILj256ELj13ELNS0_17block_load_methodE3ELS4_3ELS4_3ELNS0_20block_scan_algorithmE0ELj4294967295EEENS1_25partition_config_selectorILNS1_17partition_subalgoE4EjNS0_10empty_typeEbEEZZNS1_14partition_implILS8_4ELb0ES6_15HIP_vector_typeIjLj2EENS0_17counting_iteratorIjlEEPS9_SG_NS0_5tupleIJPjSI_NS0_16reverse_iteratorISI_EEEEENSH_IJSG_SG_SG_EEES9_SI_JZNS1_25segmented_radix_sort_implINS0_14default_configELb1EPKfPfPKlPlN2at6native12_GLOBAL__N_18offset_tEEE10hipError_tPvRmT1_PNSt15iterator_traitsIS12_E10value_typeET2_T3_PNS13_IS18_E10value_typeET4_jRbjT5_S1E_jjP12ihipStream_tbEUljE_ZNSN_ISO_Lb1ESQ_SR_ST_SU_SY_EESZ_S10_S11_S12_S16_S17_S18_S1B_S1C_jS1D_jS1E_S1E_jjS1G_bEUljE0_EEESZ_S10_S11_S18_S1C_S1E_T6_T7_T9_mT8_S1G_bDpT10_ENKUlT_T0_E_clISt17integral_constantIbLb0EES1U_EEDaS1P_S1Q_EUlS1P_E_NS1_11comp_targetILNS1_3genE2ELNS1_11target_archE906ELNS1_3gpuE6ELNS1_3repE0EEENS1_30default_config_static_selectorELNS0_4arch9wavefront6targetE0EEEvS12_,comdat
.Lfunc_end1265:
	.size	_ZN7rocprim17ROCPRIM_400000_NS6detail17trampoline_kernelINS0_13select_configILj256ELj13ELNS0_17block_load_methodE3ELS4_3ELS4_3ELNS0_20block_scan_algorithmE0ELj4294967295EEENS1_25partition_config_selectorILNS1_17partition_subalgoE4EjNS0_10empty_typeEbEEZZNS1_14partition_implILS8_4ELb0ES6_15HIP_vector_typeIjLj2EENS0_17counting_iteratorIjlEEPS9_SG_NS0_5tupleIJPjSI_NS0_16reverse_iteratorISI_EEEEENSH_IJSG_SG_SG_EEES9_SI_JZNS1_25segmented_radix_sort_implINS0_14default_configELb1EPKfPfPKlPlN2at6native12_GLOBAL__N_18offset_tEEE10hipError_tPvRmT1_PNSt15iterator_traitsIS12_E10value_typeET2_T3_PNS13_IS18_E10value_typeET4_jRbjT5_S1E_jjP12ihipStream_tbEUljE_ZNSN_ISO_Lb1ESQ_SR_ST_SU_SY_EESZ_S10_S11_S12_S16_S17_S18_S1B_S1C_jS1D_jS1E_S1E_jjS1G_bEUljE0_EEESZ_S10_S11_S18_S1C_S1E_T6_T7_T9_mT8_S1G_bDpT10_ENKUlT_T0_E_clISt17integral_constantIbLb0EES1U_EEDaS1P_S1Q_EUlS1P_E_NS1_11comp_targetILNS1_3genE2ELNS1_11target_archE906ELNS1_3gpuE6ELNS1_3repE0EEENS1_30default_config_static_selectorELNS0_4arch9wavefront6targetE0EEEvS12_, .Lfunc_end1265-_ZN7rocprim17ROCPRIM_400000_NS6detail17trampoline_kernelINS0_13select_configILj256ELj13ELNS0_17block_load_methodE3ELS4_3ELS4_3ELNS0_20block_scan_algorithmE0ELj4294967295EEENS1_25partition_config_selectorILNS1_17partition_subalgoE4EjNS0_10empty_typeEbEEZZNS1_14partition_implILS8_4ELb0ES6_15HIP_vector_typeIjLj2EENS0_17counting_iteratorIjlEEPS9_SG_NS0_5tupleIJPjSI_NS0_16reverse_iteratorISI_EEEEENSH_IJSG_SG_SG_EEES9_SI_JZNS1_25segmented_radix_sort_implINS0_14default_configELb1EPKfPfPKlPlN2at6native12_GLOBAL__N_18offset_tEEE10hipError_tPvRmT1_PNSt15iterator_traitsIS12_E10value_typeET2_T3_PNS13_IS18_E10value_typeET4_jRbjT5_S1E_jjP12ihipStream_tbEUljE_ZNSN_ISO_Lb1ESQ_SR_ST_SU_SY_EESZ_S10_S11_S12_S16_S17_S18_S1B_S1C_jS1D_jS1E_S1E_jjS1G_bEUljE0_EEESZ_S10_S11_S18_S1C_S1E_T6_T7_T9_mT8_S1G_bDpT10_ENKUlT_T0_E_clISt17integral_constantIbLb0EES1U_EEDaS1P_S1Q_EUlS1P_E_NS1_11comp_targetILNS1_3genE2ELNS1_11target_archE906ELNS1_3gpuE6ELNS1_3repE0EEENS1_30default_config_static_selectorELNS0_4arch9wavefront6targetE0EEEvS12_
                                        ; -- End function
	.section	.AMDGPU.csdata,"",@progbits
; Kernel info:
; codeLenInByte = 0
; NumSgprs: 0
; NumVgprs: 0
; ScratchSize: 0
; MemoryBound: 0
; FloatMode: 240
; IeeeMode: 1
; LDSByteSize: 0 bytes/workgroup (compile time only)
; SGPRBlocks: 0
; VGPRBlocks: 0
; NumSGPRsForWavesPerEU: 1
; NumVGPRsForWavesPerEU: 1
; Occupancy: 16
; WaveLimiterHint : 0
; COMPUTE_PGM_RSRC2:SCRATCH_EN: 0
; COMPUTE_PGM_RSRC2:USER_SGPR: 15
; COMPUTE_PGM_RSRC2:TRAP_HANDLER: 0
; COMPUTE_PGM_RSRC2:TGID_X_EN: 1
; COMPUTE_PGM_RSRC2:TGID_Y_EN: 0
; COMPUTE_PGM_RSRC2:TGID_Z_EN: 0
; COMPUTE_PGM_RSRC2:TIDIG_COMP_CNT: 0
	.section	.text._ZN7rocprim17ROCPRIM_400000_NS6detail17trampoline_kernelINS0_13select_configILj256ELj13ELNS0_17block_load_methodE3ELS4_3ELS4_3ELNS0_20block_scan_algorithmE0ELj4294967295EEENS1_25partition_config_selectorILNS1_17partition_subalgoE4EjNS0_10empty_typeEbEEZZNS1_14partition_implILS8_4ELb0ES6_15HIP_vector_typeIjLj2EENS0_17counting_iteratorIjlEEPS9_SG_NS0_5tupleIJPjSI_NS0_16reverse_iteratorISI_EEEEENSH_IJSG_SG_SG_EEES9_SI_JZNS1_25segmented_radix_sort_implINS0_14default_configELb1EPKfPfPKlPlN2at6native12_GLOBAL__N_18offset_tEEE10hipError_tPvRmT1_PNSt15iterator_traitsIS12_E10value_typeET2_T3_PNS13_IS18_E10value_typeET4_jRbjT5_S1E_jjP12ihipStream_tbEUljE_ZNSN_ISO_Lb1ESQ_SR_ST_SU_SY_EESZ_S10_S11_S12_S16_S17_S18_S1B_S1C_jS1D_jS1E_S1E_jjS1G_bEUljE0_EEESZ_S10_S11_S18_S1C_S1E_T6_T7_T9_mT8_S1G_bDpT10_ENKUlT_T0_E_clISt17integral_constantIbLb0EES1U_EEDaS1P_S1Q_EUlS1P_E_NS1_11comp_targetILNS1_3genE10ELNS1_11target_archE1200ELNS1_3gpuE4ELNS1_3repE0EEENS1_30default_config_static_selectorELNS0_4arch9wavefront6targetE0EEEvS12_,"axG",@progbits,_ZN7rocprim17ROCPRIM_400000_NS6detail17trampoline_kernelINS0_13select_configILj256ELj13ELNS0_17block_load_methodE3ELS4_3ELS4_3ELNS0_20block_scan_algorithmE0ELj4294967295EEENS1_25partition_config_selectorILNS1_17partition_subalgoE4EjNS0_10empty_typeEbEEZZNS1_14partition_implILS8_4ELb0ES6_15HIP_vector_typeIjLj2EENS0_17counting_iteratorIjlEEPS9_SG_NS0_5tupleIJPjSI_NS0_16reverse_iteratorISI_EEEEENSH_IJSG_SG_SG_EEES9_SI_JZNS1_25segmented_radix_sort_implINS0_14default_configELb1EPKfPfPKlPlN2at6native12_GLOBAL__N_18offset_tEEE10hipError_tPvRmT1_PNSt15iterator_traitsIS12_E10value_typeET2_T3_PNS13_IS18_E10value_typeET4_jRbjT5_S1E_jjP12ihipStream_tbEUljE_ZNSN_ISO_Lb1ESQ_SR_ST_SU_SY_EESZ_S10_S11_S12_S16_S17_S18_S1B_S1C_jS1D_jS1E_S1E_jjS1G_bEUljE0_EEESZ_S10_S11_S18_S1C_S1E_T6_T7_T9_mT8_S1G_bDpT10_ENKUlT_T0_E_clISt17integral_constantIbLb0EES1U_EEDaS1P_S1Q_EUlS1P_E_NS1_11comp_targetILNS1_3genE10ELNS1_11target_archE1200ELNS1_3gpuE4ELNS1_3repE0EEENS1_30default_config_static_selectorELNS0_4arch9wavefront6targetE0EEEvS12_,comdat
	.globl	_ZN7rocprim17ROCPRIM_400000_NS6detail17trampoline_kernelINS0_13select_configILj256ELj13ELNS0_17block_load_methodE3ELS4_3ELS4_3ELNS0_20block_scan_algorithmE0ELj4294967295EEENS1_25partition_config_selectorILNS1_17partition_subalgoE4EjNS0_10empty_typeEbEEZZNS1_14partition_implILS8_4ELb0ES6_15HIP_vector_typeIjLj2EENS0_17counting_iteratorIjlEEPS9_SG_NS0_5tupleIJPjSI_NS0_16reverse_iteratorISI_EEEEENSH_IJSG_SG_SG_EEES9_SI_JZNS1_25segmented_radix_sort_implINS0_14default_configELb1EPKfPfPKlPlN2at6native12_GLOBAL__N_18offset_tEEE10hipError_tPvRmT1_PNSt15iterator_traitsIS12_E10value_typeET2_T3_PNS13_IS18_E10value_typeET4_jRbjT5_S1E_jjP12ihipStream_tbEUljE_ZNSN_ISO_Lb1ESQ_SR_ST_SU_SY_EESZ_S10_S11_S12_S16_S17_S18_S1B_S1C_jS1D_jS1E_S1E_jjS1G_bEUljE0_EEESZ_S10_S11_S18_S1C_S1E_T6_T7_T9_mT8_S1G_bDpT10_ENKUlT_T0_E_clISt17integral_constantIbLb0EES1U_EEDaS1P_S1Q_EUlS1P_E_NS1_11comp_targetILNS1_3genE10ELNS1_11target_archE1200ELNS1_3gpuE4ELNS1_3repE0EEENS1_30default_config_static_selectorELNS0_4arch9wavefront6targetE0EEEvS12_ ; -- Begin function _ZN7rocprim17ROCPRIM_400000_NS6detail17trampoline_kernelINS0_13select_configILj256ELj13ELNS0_17block_load_methodE3ELS4_3ELS4_3ELNS0_20block_scan_algorithmE0ELj4294967295EEENS1_25partition_config_selectorILNS1_17partition_subalgoE4EjNS0_10empty_typeEbEEZZNS1_14partition_implILS8_4ELb0ES6_15HIP_vector_typeIjLj2EENS0_17counting_iteratorIjlEEPS9_SG_NS0_5tupleIJPjSI_NS0_16reverse_iteratorISI_EEEEENSH_IJSG_SG_SG_EEES9_SI_JZNS1_25segmented_radix_sort_implINS0_14default_configELb1EPKfPfPKlPlN2at6native12_GLOBAL__N_18offset_tEEE10hipError_tPvRmT1_PNSt15iterator_traitsIS12_E10value_typeET2_T3_PNS13_IS18_E10value_typeET4_jRbjT5_S1E_jjP12ihipStream_tbEUljE_ZNSN_ISO_Lb1ESQ_SR_ST_SU_SY_EESZ_S10_S11_S12_S16_S17_S18_S1B_S1C_jS1D_jS1E_S1E_jjS1G_bEUljE0_EEESZ_S10_S11_S18_S1C_S1E_T6_T7_T9_mT8_S1G_bDpT10_ENKUlT_T0_E_clISt17integral_constantIbLb0EES1U_EEDaS1P_S1Q_EUlS1P_E_NS1_11comp_targetILNS1_3genE10ELNS1_11target_archE1200ELNS1_3gpuE4ELNS1_3repE0EEENS1_30default_config_static_selectorELNS0_4arch9wavefront6targetE0EEEvS12_
	.p2align	8
	.type	_ZN7rocprim17ROCPRIM_400000_NS6detail17trampoline_kernelINS0_13select_configILj256ELj13ELNS0_17block_load_methodE3ELS4_3ELS4_3ELNS0_20block_scan_algorithmE0ELj4294967295EEENS1_25partition_config_selectorILNS1_17partition_subalgoE4EjNS0_10empty_typeEbEEZZNS1_14partition_implILS8_4ELb0ES6_15HIP_vector_typeIjLj2EENS0_17counting_iteratorIjlEEPS9_SG_NS0_5tupleIJPjSI_NS0_16reverse_iteratorISI_EEEEENSH_IJSG_SG_SG_EEES9_SI_JZNS1_25segmented_radix_sort_implINS0_14default_configELb1EPKfPfPKlPlN2at6native12_GLOBAL__N_18offset_tEEE10hipError_tPvRmT1_PNSt15iterator_traitsIS12_E10value_typeET2_T3_PNS13_IS18_E10value_typeET4_jRbjT5_S1E_jjP12ihipStream_tbEUljE_ZNSN_ISO_Lb1ESQ_SR_ST_SU_SY_EESZ_S10_S11_S12_S16_S17_S18_S1B_S1C_jS1D_jS1E_S1E_jjS1G_bEUljE0_EEESZ_S10_S11_S18_S1C_S1E_T6_T7_T9_mT8_S1G_bDpT10_ENKUlT_T0_E_clISt17integral_constantIbLb0EES1U_EEDaS1P_S1Q_EUlS1P_E_NS1_11comp_targetILNS1_3genE10ELNS1_11target_archE1200ELNS1_3gpuE4ELNS1_3repE0EEENS1_30default_config_static_selectorELNS0_4arch9wavefront6targetE0EEEvS12_,@function
_ZN7rocprim17ROCPRIM_400000_NS6detail17trampoline_kernelINS0_13select_configILj256ELj13ELNS0_17block_load_methodE3ELS4_3ELS4_3ELNS0_20block_scan_algorithmE0ELj4294967295EEENS1_25partition_config_selectorILNS1_17partition_subalgoE4EjNS0_10empty_typeEbEEZZNS1_14partition_implILS8_4ELb0ES6_15HIP_vector_typeIjLj2EENS0_17counting_iteratorIjlEEPS9_SG_NS0_5tupleIJPjSI_NS0_16reverse_iteratorISI_EEEEENSH_IJSG_SG_SG_EEES9_SI_JZNS1_25segmented_radix_sort_implINS0_14default_configELb1EPKfPfPKlPlN2at6native12_GLOBAL__N_18offset_tEEE10hipError_tPvRmT1_PNSt15iterator_traitsIS12_E10value_typeET2_T3_PNS13_IS18_E10value_typeET4_jRbjT5_S1E_jjP12ihipStream_tbEUljE_ZNSN_ISO_Lb1ESQ_SR_ST_SU_SY_EESZ_S10_S11_S12_S16_S17_S18_S1B_S1C_jS1D_jS1E_S1E_jjS1G_bEUljE0_EEESZ_S10_S11_S18_S1C_S1E_T6_T7_T9_mT8_S1G_bDpT10_ENKUlT_T0_E_clISt17integral_constantIbLb0EES1U_EEDaS1P_S1Q_EUlS1P_E_NS1_11comp_targetILNS1_3genE10ELNS1_11target_archE1200ELNS1_3gpuE4ELNS1_3repE0EEENS1_30default_config_static_selectorELNS0_4arch9wavefront6targetE0EEEvS12_: ; @_ZN7rocprim17ROCPRIM_400000_NS6detail17trampoline_kernelINS0_13select_configILj256ELj13ELNS0_17block_load_methodE3ELS4_3ELS4_3ELNS0_20block_scan_algorithmE0ELj4294967295EEENS1_25partition_config_selectorILNS1_17partition_subalgoE4EjNS0_10empty_typeEbEEZZNS1_14partition_implILS8_4ELb0ES6_15HIP_vector_typeIjLj2EENS0_17counting_iteratorIjlEEPS9_SG_NS0_5tupleIJPjSI_NS0_16reverse_iteratorISI_EEEEENSH_IJSG_SG_SG_EEES9_SI_JZNS1_25segmented_radix_sort_implINS0_14default_configELb1EPKfPfPKlPlN2at6native12_GLOBAL__N_18offset_tEEE10hipError_tPvRmT1_PNSt15iterator_traitsIS12_E10value_typeET2_T3_PNS13_IS18_E10value_typeET4_jRbjT5_S1E_jjP12ihipStream_tbEUljE_ZNSN_ISO_Lb1ESQ_SR_ST_SU_SY_EESZ_S10_S11_S12_S16_S17_S18_S1B_S1C_jS1D_jS1E_S1E_jjS1G_bEUljE0_EEESZ_S10_S11_S18_S1C_S1E_T6_T7_T9_mT8_S1G_bDpT10_ENKUlT_T0_E_clISt17integral_constantIbLb0EES1U_EEDaS1P_S1Q_EUlS1P_E_NS1_11comp_targetILNS1_3genE10ELNS1_11target_archE1200ELNS1_3gpuE4ELNS1_3repE0EEENS1_30default_config_static_selectorELNS0_4arch9wavefront6targetE0EEEvS12_
; %bb.0:
	.section	.rodata,"a",@progbits
	.p2align	6, 0x0
	.amdhsa_kernel _ZN7rocprim17ROCPRIM_400000_NS6detail17trampoline_kernelINS0_13select_configILj256ELj13ELNS0_17block_load_methodE3ELS4_3ELS4_3ELNS0_20block_scan_algorithmE0ELj4294967295EEENS1_25partition_config_selectorILNS1_17partition_subalgoE4EjNS0_10empty_typeEbEEZZNS1_14partition_implILS8_4ELb0ES6_15HIP_vector_typeIjLj2EENS0_17counting_iteratorIjlEEPS9_SG_NS0_5tupleIJPjSI_NS0_16reverse_iteratorISI_EEEEENSH_IJSG_SG_SG_EEES9_SI_JZNS1_25segmented_radix_sort_implINS0_14default_configELb1EPKfPfPKlPlN2at6native12_GLOBAL__N_18offset_tEEE10hipError_tPvRmT1_PNSt15iterator_traitsIS12_E10value_typeET2_T3_PNS13_IS18_E10value_typeET4_jRbjT5_S1E_jjP12ihipStream_tbEUljE_ZNSN_ISO_Lb1ESQ_SR_ST_SU_SY_EESZ_S10_S11_S12_S16_S17_S18_S1B_S1C_jS1D_jS1E_S1E_jjS1G_bEUljE0_EEESZ_S10_S11_S18_S1C_S1E_T6_T7_T9_mT8_S1G_bDpT10_ENKUlT_T0_E_clISt17integral_constantIbLb0EES1U_EEDaS1P_S1Q_EUlS1P_E_NS1_11comp_targetILNS1_3genE10ELNS1_11target_archE1200ELNS1_3gpuE4ELNS1_3repE0EEENS1_30default_config_static_selectorELNS0_4arch9wavefront6targetE0EEEvS12_
		.amdhsa_group_segment_fixed_size 0
		.amdhsa_private_segment_fixed_size 0
		.amdhsa_kernarg_size 176
		.amdhsa_user_sgpr_count 15
		.amdhsa_user_sgpr_dispatch_ptr 0
		.amdhsa_user_sgpr_queue_ptr 0
		.amdhsa_user_sgpr_kernarg_segment_ptr 1
		.amdhsa_user_sgpr_dispatch_id 0
		.amdhsa_user_sgpr_private_segment_size 0
		.amdhsa_wavefront_size32 1
		.amdhsa_uses_dynamic_stack 0
		.amdhsa_enable_private_segment 0
		.amdhsa_system_sgpr_workgroup_id_x 1
		.amdhsa_system_sgpr_workgroup_id_y 0
		.amdhsa_system_sgpr_workgroup_id_z 0
		.amdhsa_system_sgpr_workgroup_info 0
		.amdhsa_system_vgpr_workitem_id 0
		.amdhsa_next_free_vgpr 1
		.amdhsa_next_free_sgpr 1
		.amdhsa_reserve_vcc 0
		.amdhsa_float_round_mode_32 0
		.amdhsa_float_round_mode_16_64 0
		.amdhsa_float_denorm_mode_32 3
		.amdhsa_float_denorm_mode_16_64 3
		.amdhsa_dx10_clamp 1
		.amdhsa_ieee_mode 1
		.amdhsa_fp16_overflow 0
		.amdhsa_workgroup_processor_mode 1
		.amdhsa_memory_ordered 1
		.amdhsa_forward_progress 0
		.amdhsa_shared_vgpr_count 0
		.amdhsa_exception_fp_ieee_invalid_op 0
		.amdhsa_exception_fp_denorm_src 0
		.amdhsa_exception_fp_ieee_div_zero 0
		.amdhsa_exception_fp_ieee_overflow 0
		.amdhsa_exception_fp_ieee_underflow 0
		.amdhsa_exception_fp_ieee_inexact 0
		.amdhsa_exception_int_div_zero 0
	.end_amdhsa_kernel
	.section	.text._ZN7rocprim17ROCPRIM_400000_NS6detail17trampoline_kernelINS0_13select_configILj256ELj13ELNS0_17block_load_methodE3ELS4_3ELS4_3ELNS0_20block_scan_algorithmE0ELj4294967295EEENS1_25partition_config_selectorILNS1_17partition_subalgoE4EjNS0_10empty_typeEbEEZZNS1_14partition_implILS8_4ELb0ES6_15HIP_vector_typeIjLj2EENS0_17counting_iteratorIjlEEPS9_SG_NS0_5tupleIJPjSI_NS0_16reverse_iteratorISI_EEEEENSH_IJSG_SG_SG_EEES9_SI_JZNS1_25segmented_radix_sort_implINS0_14default_configELb1EPKfPfPKlPlN2at6native12_GLOBAL__N_18offset_tEEE10hipError_tPvRmT1_PNSt15iterator_traitsIS12_E10value_typeET2_T3_PNS13_IS18_E10value_typeET4_jRbjT5_S1E_jjP12ihipStream_tbEUljE_ZNSN_ISO_Lb1ESQ_SR_ST_SU_SY_EESZ_S10_S11_S12_S16_S17_S18_S1B_S1C_jS1D_jS1E_S1E_jjS1G_bEUljE0_EEESZ_S10_S11_S18_S1C_S1E_T6_T7_T9_mT8_S1G_bDpT10_ENKUlT_T0_E_clISt17integral_constantIbLb0EES1U_EEDaS1P_S1Q_EUlS1P_E_NS1_11comp_targetILNS1_3genE10ELNS1_11target_archE1200ELNS1_3gpuE4ELNS1_3repE0EEENS1_30default_config_static_selectorELNS0_4arch9wavefront6targetE0EEEvS12_,"axG",@progbits,_ZN7rocprim17ROCPRIM_400000_NS6detail17trampoline_kernelINS0_13select_configILj256ELj13ELNS0_17block_load_methodE3ELS4_3ELS4_3ELNS0_20block_scan_algorithmE0ELj4294967295EEENS1_25partition_config_selectorILNS1_17partition_subalgoE4EjNS0_10empty_typeEbEEZZNS1_14partition_implILS8_4ELb0ES6_15HIP_vector_typeIjLj2EENS0_17counting_iteratorIjlEEPS9_SG_NS0_5tupleIJPjSI_NS0_16reverse_iteratorISI_EEEEENSH_IJSG_SG_SG_EEES9_SI_JZNS1_25segmented_radix_sort_implINS0_14default_configELb1EPKfPfPKlPlN2at6native12_GLOBAL__N_18offset_tEEE10hipError_tPvRmT1_PNSt15iterator_traitsIS12_E10value_typeET2_T3_PNS13_IS18_E10value_typeET4_jRbjT5_S1E_jjP12ihipStream_tbEUljE_ZNSN_ISO_Lb1ESQ_SR_ST_SU_SY_EESZ_S10_S11_S12_S16_S17_S18_S1B_S1C_jS1D_jS1E_S1E_jjS1G_bEUljE0_EEESZ_S10_S11_S18_S1C_S1E_T6_T7_T9_mT8_S1G_bDpT10_ENKUlT_T0_E_clISt17integral_constantIbLb0EES1U_EEDaS1P_S1Q_EUlS1P_E_NS1_11comp_targetILNS1_3genE10ELNS1_11target_archE1200ELNS1_3gpuE4ELNS1_3repE0EEENS1_30default_config_static_selectorELNS0_4arch9wavefront6targetE0EEEvS12_,comdat
.Lfunc_end1266:
	.size	_ZN7rocprim17ROCPRIM_400000_NS6detail17trampoline_kernelINS0_13select_configILj256ELj13ELNS0_17block_load_methodE3ELS4_3ELS4_3ELNS0_20block_scan_algorithmE0ELj4294967295EEENS1_25partition_config_selectorILNS1_17partition_subalgoE4EjNS0_10empty_typeEbEEZZNS1_14partition_implILS8_4ELb0ES6_15HIP_vector_typeIjLj2EENS0_17counting_iteratorIjlEEPS9_SG_NS0_5tupleIJPjSI_NS0_16reverse_iteratorISI_EEEEENSH_IJSG_SG_SG_EEES9_SI_JZNS1_25segmented_radix_sort_implINS0_14default_configELb1EPKfPfPKlPlN2at6native12_GLOBAL__N_18offset_tEEE10hipError_tPvRmT1_PNSt15iterator_traitsIS12_E10value_typeET2_T3_PNS13_IS18_E10value_typeET4_jRbjT5_S1E_jjP12ihipStream_tbEUljE_ZNSN_ISO_Lb1ESQ_SR_ST_SU_SY_EESZ_S10_S11_S12_S16_S17_S18_S1B_S1C_jS1D_jS1E_S1E_jjS1G_bEUljE0_EEESZ_S10_S11_S18_S1C_S1E_T6_T7_T9_mT8_S1G_bDpT10_ENKUlT_T0_E_clISt17integral_constantIbLb0EES1U_EEDaS1P_S1Q_EUlS1P_E_NS1_11comp_targetILNS1_3genE10ELNS1_11target_archE1200ELNS1_3gpuE4ELNS1_3repE0EEENS1_30default_config_static_selectorELNS0_4arch9wavefront6targetE0EEEvS12_, .Lfunc_end1266-_ZN7rocprim17ROCPRIM_400000_NS6detail17trampoline_kernelINS0_13select_configILj256ELj13ELNS0_17block_load_methodE3ELS4_3ELS4_3ELNS0_20block_scan_algorithmE0ELj4294967295EEENS1_25partition_config_selectorILNS1_17partition_subalgoE4EjNS0_10empty_typeEbEEZZNS1_14partition_implILS8_4ELb0ES6_15HIP_vector_typeIjLj2EENS0_17counting_iteratorIjlEEPS9_SG_NS0_5tupleIJPjSI_NS0_16reverse_iteratorISI_EEEEENSH_IJSG_SG_SG_EEES9_SI_JZNS1_25segmented_radix_sort_implINS0_14default_configELb1EPKfPfPKlPlN2at6native12_GLOBAL__N_18offset_tEEE10hipError_tPvRmT1_PNSt15iterator_traitsIS12_E10value_typeET2_T3_PNS13_IS18_E10value_typeET4_jRbjT5_S1E_jjP12ihipStream_tbEUljE_ZNSN_ISO_Lb1ESQ_SR_ST_SU_SY_EESZ_S10_S11_S12_S16_S17_S18_S1B_S1C_jS1D_jS1E_S1E_jjS1G_bEUljE0_EEESZ_S10_S11_S18_S1C_S1E_T6_T7_T9_mT8_S1G_bDpT10_ENKUlT_T0_E_clISt17integral_constantIbLb0EES1U_EEDaS1P_S1Q_EUlS1P_E_NS1_11comp_targetILNS1_3genE10ELNS1_11target_archE1200ELNS1_3gpuE4ELNS1_3repE0EEENS1_30default_config_static_selectorELNS0_4arch9wavefront6targetE0EEEvS12_
                                        ; -- End function
	.section	.AMDGPU.csdata,"",@progbits
; Kernel info:
; codeLenInByte = 0
; NumSgprs: 0
; NumVgprs: 0
; ScratchSize: 0
; MemoryBound: 0
; FloatMode: 240
; IeeeMode: 1
; LDSByteSize: 0 bytes/workgroup (compile time only)
; SGPRBlocks: 0
; VGPRBlocks: 0
; NumSGPRsForWavesPerEU: 1
; NumVGPRsForWavesPerEU: 1
; Occupancy: 16
; WaveLimiterHint : 0
; COMPUTE_PGM_RSRC2:SCRATCH_EN: 0
; COMPUTE_PGM_RSRC2:USER_SGPR: 15
; COMPUTE_PGM_RSRC2:TRAP_HANDLER: 0
; COMPUTE_PGM_RSRC2:TGID_X_EN: 1
; COMPUTE_PGM_RSRC2:TGID_Y_EN: 0
; COMPUTE_PGM_RSRC2:TGID_Z_EN: 0
; COMPUTE_PGM_RSRC2:TIDIG_COMP_CNT: 0
	.section	.text._ZN7rocprim17ROCPRIM_400000_NS6detail17trampoline_kernelINS0_13select_configILj256ELj13ELNS0_17block_load_methodE3ELS4_3ELS4_3ELNS0_20block_scan_algorithmE0ELj4294967295EEENS1_25partition_config_selectorILNS1_17partition_subalgoE4EjNS0_10empty_typeEbEEZZNS1_14partition_implILS8_4ELb0ES6_15HIP_vector_typeIjLj2EENS0_17counting_iteratorIjlEEPS9_SG_NS0_5tupleIJPjSI_NS0_16reverse_iteratorISI_EEEEENSH_IJSG_SG_SG_EEES9_SI_JZNS1_25segmented_radix_sort_implINS0_14default_configELb1EPKfPfPKlPlN2at6native12_GLOBAL__N_18offset_tEEE10hipError_tPvRmT1_PNSt15iterator_traitsIS12_E10value_typeET2_T3_PNS13_IS18_E10value_typeET4_jRbjT5_S1E_jjP12ihipStream_tbEUljE_ZNSN_ISO_Lb1ESQ_SR_ST_SU_SY_EESZ_S10_S11_S12_S16_S17_S18_S1B_S1C_jS1D_jS1E_S1E_jjS1G_bEUljE0_EEESZ_S10_S11_S18_S1C_S1E_T6_T7_T9_mT8_S1G_bDpT10_ENKUlT_T0_E_clISt17integral_constantIbLb0EES1U_EEDaS1P_S1Q_EUlS1P_E_NS1_11comp_targetILNS1_3genE9ELNS1_11target_archE1100ELNS1_3gpuE3ELNS1_3repE0EEENS1_30default_config_static_selectorELNS0_4arch9wavefront6targetE0EEEvS12_,"axG",@progbits,_ZN7rocprim17ROCPRIM_400000_NS6detail17trampoline_kernelINS0_13select_configILj256ELj13ELNS0_17block_load_methodE3ELS4_3ELS4_3ELNS0_20block_scan_algorithmE0ELj4294967295EEENS1_25partition_config_selectorILNS1_17partition_subalgoE4EjNS0_10empty_typeEbEEZZNS1_14partition_implILS8_4ELb0ES6_15HIP_vector_typeIjLj2EENS0_17counting_iteratorIjlEEPS9_SG_NS0_5tupleIJPjSI_NS0_16reverse_iteratorISI_EEEEENSH_IJSG_SG_SG_EEES9_SI_JZNS1_25segmented_radix_sort_implINS0_14default_configELb1EPKfPfPKlPlN2at6native12_GLOBAL__N_18offset_tEEE10hipError_tPvRmT1_PNSt15iterator_traitsIS12_E10value_typeET2_T3_PNS13_IS18_E10value_typeET4_jRbjT5_S1E_jjP12ihipStream_tbEUljE_ZNSN_ISO_Lb1ESQ_SR_ST_SU_SY_EESZ_S10_S11_S12_S16_S17_S18_S1B_S1C_jS1D_jS1E_S1E_jjS1G_bEUljE0_EEESZ_S10_S11_S18_S1C_S1E_T6_T7_T9_mT8_S1G_bDpT10_ENKUlT_T0_E_clISt17integral_constantIbLb0EES1U_EEDaS1P_S1Q_EUlS1P_E_NS1_11comp_targetILNS1_3genE9ELNS1_11target_archE1100ELNS1_3gpuE3ELNS1_3repE0EEENS1_30default_config_static_selectorELNS0_4arch9wavefront6targetE0EEEvS12_,comdat
	.globl	_ZN7rocprim17ROCPRIM_400000_NS6detail17trampoline_kernelINS0_13select_configILj256ELj13ELNS0_17block_load_methodE3ELS4_3ELS4_3ELNS0_20block_scan_algorithmE0ELj4294967295EEENS1_25partition_config_selectorILNS1_17partition_subalgoE4EjNS0_10empty_typeEbEEZZNS1_14partition_implILS8_4ELb0ES6_15HIP_vector_typeIjLj2EENS0_17counting_iteratorIjlEEPS9_SG_NS0_5tupleIJPjSI_NS0_16reverse_iteratorISI_EEEEENSH_IJSG_SG_SG_EEES9_SI_JZNS1_25segmented_radix_sort_implINS0_14default_configELb1EPKfPfPKlPlN2at6native12_GLOBAL__N_18offset_tEEE10hipError_tPvRmT1_PNSt15iterator_traitsIS12_E10value_typeET2_T3_PNS13_IS18_E10value_typeET4_jRbjT5_S1E_jjP12ihipStream_tbEUljE_ZNSN_ISO_Lb1ESQ_SR_ST_SU_SY_EESZ_S10_S11_S12_S16_S17_S18_S1B_S1C_jS1D_jS1E_S1E_jjS1G_bEUljE0_EEESZ_S10_S11_S18_S1C_S1E_T6_T7_T9_mT8_S1G_bDpT10_ENKUlT_T0_E_clISt17integral_constantIbLb0EES1U_EEDaS1P_S1Q_EUlS1P_E_NS1_11comp_targetILNS1_3genE9ELNS1_11target_archE1100ELNS1_3gpuE3ELNS1_3repE0EEENS1_30default_config_static_selectorELNS0_4arch9wavefront6targetE0EEEvS12_ ; -- Begin function _ZN7rocprim17ROCPRIM_400000_NS6detail17trampoline_kernelINS0_13select_configILj256ELj13ELNS0_17block_load_methodE3ELS4_3ELS4_3ELNS0_20block_scan_algorithmE0ELj4294967295EEENS1_25partition_config_selectorILNS1_17partition_subalgoE4EjNS0_10empty_typeEbEEZZNS1_14partition_implILS8_4ELb0ES6_15HIP_vector_typeIjLj2EENS0_17counting_iteratorIjlEEPS9_SG_NS0_5tupleIJPjSI_NS0_16reverse_iteratorISI_EEEEENSH_IJSG_SG_SG_EEES9_SI_JZNS1_25segmented_radix_sort_implINS0_14default_configELb1EPKfPfPKlPlN2at6native12_GLOBAL__N_18offset_tEEE10hipError_tPvRmT1_PNSt15iterator_traitsIS12_E10value_typeET2_T3_PNS13_IS18_E10value_typeET4_jRbjT5_S1E_jjP12ihipStream_tbEUljE_ZNSN_ISO_Lb1ESQ_SR_ST_SU_SY_EESZ_S10_S11_S12_S16_S17_S18_S1B_S1C_jS1D_jS1E_S1E_jjS1G_bEUljE0_EEESZ_S10_S11_S18_S1C_S1E_T6_T7_T9_mT8_S1G_bDpT10_ENKUlT_T0_E_clISt17integral_constantIbLb0EES1U_EEDaS1P_S1Q_EUlS1P_E_NS1_11comp_targetILNS1_3genE9ELNS1_11target_archE1100ELNS1_3gpuE3ELNS1_3repE0EEENS1_30default_config_static_selectorELNS0_4arch9wavefront6targetE0EEEvS12_
	.p2align	8
	.type	_ZN7rocprim17ROCPRIM_400000_NS6detail17trampoline_kernelINS0_13select_configILj256ELj13ELNS0_17block_load_methodE3ELS4_3ELS4_3ELNS0_20block_scan_algorithmE0ELj4294967295EEENS1_25partition_config_selectorILNS1_17partition_subalgoE4EjNS0_10empty_typeEbEEZZNS1_14partition_implILS8_4ELb0ES6_15HIP_vector_typeIjLj2EENS0_17counting_iteratorIjlEEPS9_SG_NS0_5tupleIJPjSI_NS0_16reverse_iteratorISI_EEEEENSH_IJSG_SG_SG_EEES9_SI_JZNS1_25segmented_radix_sort_implINS0_14default_configELb1EPKfPfPKlPlN2at6native12_GLOBAL__N_18offset_tEEE10hipError_tPvRmT1_PNSt15iterator_traitsIS12_E10value_typeET2_T3_PNS13_IS18_E10value_typeET4_jRbjT5_S1E_jjP12ihipStream_tbEUljE_ZNSN_ISO_Lb1ESQ_SR_ST_SU_SY_EESZ_S10_S11_S12_S16_S17_S18_S1B_S1C_jS1D_jS1E_S1E_jjS1G_bEUljE0_EEESZ_S10_S11_S18_S1C_S1E_T6_T7_T9_mT8_S1G_bDpT10_ENKUlT_T0_E_clISt17integral_constantIbLb0EES1U_EEDaS1P_S1Q_EUlS1P_E_NS1_11comp_targetILNS1_3genE9ELNS1_11target_archE1100ELNS1_3gpuE3ELNS1_3repE0EEENS1_30default_config_static_selectorELNS0_4arch9wavefront6targetE0EEEvS12_,@function
_ZN7rocprim17ROCPRIM_400000_NS6detail17trampoline_kernelINS0_13select_configILj256ELj13ELNS0_17block_load_methodE3ELS4_3ELS4_3ELNS0_20block_scan_algorithmE0ELj4294967295EEENS1_25partition_config_selectorILNS1_17partition_subalgoE4EjNS0_10empty_typeEbEEZZNS1_14partition_implILS8_4ELb0ES6_15HIP_vector_typeIjLj2EENS0_17counting_iteratorIjlEEPS9_SG_NS0_5tupleIJPjSI_NS0_16reverse_iteratorISI_EEEEENSH_IJSG_SG_SG_EEES9_SI_JZNS1_25segmented_radix_sort_implINS0_14default_configELb1EPKfPfPKlPlN2at6native12_GLOBAL__N_18offset_tEEE10hipError_tPvRmT1_PNSt15iterator_traitsIS12_E10value_typeET2_T3_PNS13_IS18_E10value_typeET4_jRbjT5_S1E_jjP12ihipStream_tbEUljE_ZNSN_ISO_Lb1ESQ_SR_ST_SU_SY_EESZ_S10_S11_S12_S16_S17_S18_S1B_S1C_jS1D_jS1E_S1E_jjS1G_bEUljE0_EEESZ_S10_S11_S18_S1C_S1E_T6_T7_T9_mT8_S1G_bDpT10_ENKUlT_T0_E_clISt17integral_constantIbLb0EES1U_EEDaS1P_S1Q_EUlS1P_E_NS1_11comp_targetILNS1_3genE9ELNS1_11target_archE1100ELNS1_3gpuE3ELNS1_3repE0EEENS1_30default_config_static_selectorELNS0_4arch9wavefront6targetE0EEEvS12_: ; @_ZN7rocprim17ROCPRIM_400000_NS6detail17trampoline_kernelINS0_13select_configILj256ELj13ELNS0_17block_load_methodE3ELS4_3ELS4_3ELNS0_20block_scan_algorithmE0ELj4294967295EEENS1_25partition_config_selectorILNS1_17partition_subalgoE4EjNS0_10empty_typeEbEEZZNS1_14partition_implILS8_4ELb0ES6_15HIP_vector_typeIjLj2EENS0_17counting_iteratorIjlEEPS9_SG_NS0_5tupleIJPjSI_NS0_16reverse_iteratorISI_EEEEENSH_IJSG_SG_SG_EEES9_SI_JZNS1_25segmented_radix_sort_implINS0_14default_configELb1EPKfPfPKlPlN2at6native12_GLOBAL__N_18offset_tEEE10hipError_tPvRmT1_PNSt15iterator_traitsIS12_E10value_typeET2_T3_PNS13_IS18_E10value_typeET4_jRbjT5_S1E_jjP12ihipStream_tbEUljE_ZNSN_ISO_Lb1ESQ_SR_ST_SU_SY_EESZ_S10_S11_S12_S16_S17_S18_S1B_S1C_jS1D_jS1E_S1E_jjS1G_bEUljE0_EEESZ_S10_S11_S18_S1C_S1E_T6_T7_T9_mT8_S1G_bDpT10_ENKUlT_T0_E_clISt17integral_constantIbLb0EES1U_EEDaS1P_S1Q_EUlS1P_E_NS1_11comp_targetILNS1_3genE9ELNS1_11target_archE1100ELNS1_3gpuE3ELNS1_3repE0EEENS1_30default_config_static_selectorELNS0_4arch9wavefront6targetE0EEEvS12_
; %bb.0:
	s_clause 0x6
	s_load_b32 s5, s[0:1], 0x80
	s_load_b64 s[34:35], s[0:1], 0x10
	s_load_b64 s[2:3], s[0:1], 0x68
	s_load_b32 s8, s[0:1], 0x8
	s_load_b128 s[24:27], s[0:1], 0x58
	s_load_b64 s[40:41], s[0:1], 0xa8
	s_load_b256 s[16:23], s[0:1], 0x88
	s_mul_i32 s33, s15, 0xd00
	s_waitcnt lgkmcnt(0)
	s_mul_i32 s4, s5, 0xd00
	s_add_i32 s5, s5, -1
	s_add_u32 s6, s34, s4
	s_addc_u32 s7, s35, 0
	s_load_b128 s[28:31], s[26:27], 0x0
	s_cmp_eq_u32 s15, s5
	v_cmp_lt_u64_e64 s3, s[6:7], s[2:3]
	s_cselect_b32 s14, -1, 0
	s_cmp_lg_u32 s15, s5
	s_cselect_b32 s5, -1, 0
	s_add_i32 s6, s8, s33
	s_delay_alu instid0(VALU_DEP_1) | instskip(SKIP_4) | instid1(VALU_DEP_1)
	s_or_b32 s3, s5, s3
	s_add_i32 s6, s6, s34
	s_and_b32 vcc_lo, exec_lo, s3
	v_add_nc_u32_e32 v1, s6, v0
	s_mov_b32 s5, -1
	v_add_nc_u32_e32 v2, 0x100, v1
	v_add_nc_u32_e32 v3, 0x200, v1
	;; [unrolled: 1-line block ×12, first 2 shown]
	s_cbranch_vccz .LBB1267_2
; %bb.1:
	v_lshlrev_b32_e32 v14, 2, v0
	s_mov_b32 s5, 0
	ds_store_2addr_stride64_b32 v14, v1, v2 offset1:4
	ds_store_2addr_stride64_b32 v14, v3, v4 offset0:8 offset1:12
	ds_store_2addr_stride64_b32 v14, v5, v6 offset0:16 offset1:20
	;; [unrolled: 1-line block ×5, first 2 shown]
	ds_store_b32 v14, v13 offset:12288
	s_waitcnt lgkmcnt(0)
	s_barrier
.LBB1267_2:
	s_and_not1_b32 vcc_lo, exec_lo, s5
	s_add_i32 s4, s4, s34
	s_cbranch_vccnz .LBB1267_4
; %bb.3:
	v_lshlrev_b32_e32 v14, 2, v0
	ds_store_2addr_stride64_b32 v14, v1, v2 offset1:4
	ds_store_2addr_stride64_b32 v14, v3, v4 offset0:8 offset1:12
	ds_store_2addr_stride64_b32 v14, v5, v6 offset0:16 offset1:20
	;; [unrolled: 1-line block ×5, first 2 shown]
	ds_store_b32 v14, v13 offset:12288
	s_waitcnt lgkmcnt(0)
	s_barrier
.LBB1267_4:
	v_mul_u32_u24_e32 v28, 13, v0
	s_clause 0x1
	s_load_b128 s[36:39], s[0:1], 0x28
	s_load_b64 s[26:27], s[0:1], 0x38
	s_waitcnt lgkmcnt(0)
	buffer_gl0_inv
	v_cndmask_b32_e64 v26, 0, 1, s3
	s_sub_i32 s44, s2, s4
	v_lshlrev_b32_e32 v1, 2, v28
	s_and_not1_b32 vcc_lo, exec_lo, s3
	ds_load_2addr_b32 v[16:17], v1 offset1:1
	ds_load_2addr_b32 v[14:15], v1 offset0:2 offset1:3
	ds_load_2addr_b32 v[12:13], v1 offset0:4 offset1:5
	;; [unrolled: 1-line block ×5, first 2 shown]
	ds_load_b32 v27, v1 offset:48
	s_waitcnt lgkmcnt(0)
	s_barrier
	buffer_gl0_inv
	s_cbranch_vccnz .LBB1267_32
; %bb.5:
	v_add_nc_u32_e32 v1, s17, v16
	v_add_nc_u32_e32 v2, s19, v16
	s_mov_b32 s46, 0
	s_mov_b32 s45, 0
	s_mov_b32 s3, exec_lo
	v_mul_lo_u32 v1, v1, s16
	v_mul_lo_u32 v2, v2, s18
	s_delay_alu instid0(VALU_DEP_1) | instskip(NEXT) | instid1(VALU_DEP_1)
	v_sub_nc_u32_e32 v1, v1, v2
	v_cmp_lt_u32_e32 vcc_lo, s20, v1
	v_cmpx_ge_u32_e64 s20, v1
; %bb.6:
	v_add_nc_u32_e32 v1, s22, v16
	v_add_nc_u32_e32 v2, s40, v16
	s_delay_alu instid0(VALU_DEP_2) | instskip(NEXT) | instid1(VALU_DEP_2)
	v_mul_lo_u32 v1, v1, s21
	v_mul_lo_u32 v2, v2, s23
	s_delay_alu instid0(VALU_DEP_1) | instskip(NEXT) | instid1(VALU_DEP_1)
	v_sub_nc_u32_e32 v1, v1, v2
	v_cmp_lt_u32_e64 s2, s41, v1
	s_delay_alu instid0(VALU_DEP_1)
	s_and_b32 s45, s2, exec_lo
; %bb.7:
	s_or_b32 exec_lo, exec_lo, s3
	v_add_nc_u32_e32 v1, s17, v17
	v_add_nc_u32_e32 v2, s19, v17
	s_mov_b32 s4, exec_lo
	s_delay_alu instid0(VALU_DEP_2) | instskip(NEXT) | instid1(VALU_DEP_2)
	v_mul_lo_u32 v1, v1, s16
	v_mul_lo_u32 v2, v2, s18
	s_delay_alu instid0(VALU_DEP_1) | instskip(NEXT) | instid1(VALU_DEP_1)
	v_sub_nc_u32_e32 v1, v1, v2
	v_cmp_lt_u32_e64 s2, s20, v1
	v_cmpx_ge_u32_e64 s20, v1
; %bb.8:
	v_add_nc_u32_e32 v1, s22, v17
	v_add_nc_u32_e32 v2, s40, v17
	s_delay_alu instid0(VALU_DEP_2) | instskip(NEXT) | instid1(VALU_DEP_2)
	v_mul_lo_u32 v1, v1, s21
	v_mul_lo_u32 v2, v2, s23
	s_delay_alu instid0(VALU_DEP_1) | instskip(NEXT) | instid1(VALU_DEP_1)
	v_sub_nc_u32_e32 v1, v1, v2
	v_cmp_lt_u32_e64 s3, s41, v1
	s_delay_alu instid0(VALU_DEP_1)
	s_and_b32 s46, s3, exec_lo
; %bb.9:
	s_or_b32 exec_lo, exec_lo, s4
	v_add_nc_u32_e32 v1, s17, v14
	v_add_nc_u32_e32 v2, s19, v14
	s_mov_b32 s48, 0
	s_mov_b32 s47, 0
	s_mov_b32 s5, exec_lo
	v_mul_lo_u32 v1, v1, s16
	v_mul_lo_u32 v2, v2, s18
	s_delay_alu instid0(VALU_DEP_1) | instskip(NEXT) | instid1(VALU_DEP_1)
	v_sub_nc_u32_e32 v1, v1, v2
	v_cmp_lt_u32_e64 s3, s20, v1
	v_cmpx_ge_u32_e64 s20, v1
; %bb.10:
	v_add_nc_u32_e32 v1, s22, v14
	v_add_nc_u32_e32 v2, s40, v14
	s_delay_alu instid0(VALU_DEP_2) | instskip(NEXT) | instid1(VALU_DEP_2)
	v_mul_lo_u32 v1, v1, s21
	v_mul_lo_u32 v2, v2, s23
	s_delay_alu instid0(VALU_DEP_1) | instskip(NEXT) | instid1(VALU_DEP_1)
	v_sub_nc_u32_e32 v1, v1, v2
	v_cmp_lt_u32_e64 s4, s41, v1
	s_delay_alu instid0(VALU_DEP_1)
	s_and_b32 s47, s4, exec_lo
; %bb.11:
	s_or_b32 exec_lo, exec_lo, s5
	v_add_nc_u32_e32 v1, s17, v15
	v_add_nc_u32_e32 v2, s19, v15
	s_mov_b32 s6, exec_lo
	s_delay_alu instid0(VALU_DEP_2) | instskip(NEXT) | instid1(VALU_DEP_2)
	v_mul_lo_u32 v1, v1, s16
	v_mul_lo_u32 v2, v2, s18
	s_delay_alu instid0(VALU_DEP_1) | instskip(NEXT) | instid1(VALU_DEP_1)
	v_sub_nc_u32_e32 v1, v1, v2
	v_cmp_lt_u32_e64 s4, s20, v1
	v_cmpx_ge_u32_e64 s20, v1
; %bb.12:
	v_add_nc_u32_e32 v1, s22, v15
	v_add_nc_u32_e32 v2, s40, v15
	s_delay_alu instid0(VALU_DEP_2) | instskip(NEXT) | instid1(VALU_DEP_2)
	v_mul_lo_u32 v1, v1, s21
	v_mul_lo_u32 v2, v2, s23
	s_delay_alu instid0(VALU_DEP_1) | instskip(NEXT) | instid1(VALU_DEP_1)
	v_sub_nc_u32_e32 v1, v1, v2
	v_cmp_lt_u32_e64 s5, s41, v1
	s_delay_alu instid0(VALU_DEP_1)
	s_and_b32 s48, s5, exec_lo
; %bb.13:
	s_or_b32 exec_lo, exec_lo, s6
	v_add_nc_u32_e32 v1, s17, v12
	v_add_nc_u32_e32 v2, s19, v12
	s_mov_b32 s50, 0
	s_mov_b32 s49, 0
	s_mov_b32 s7, exec_lo
	v_mul_lo_u32 v1, v1, s16
	v_mul_lo_u32 v2, v2, s18
	s_delay_alu instid0(VALU_DEP_1) | instskip(NEXT) | instid1(VALU_DEP_1)
	v_sub_nc_u32_e32 v1, v1, v2
	v_cmp_lt_u32_e64 s5, s20, v1
	;; [unrolled: 47-line block ×5, first 2 shown]
	v_cmpx_ge_u32_e64 s20, v1
; %bb.26:
	v_add_nc_u32_e32 v1, s22, v6
	v_add_nc_u32_e32 v2, s40, v6
	s_delay_alu instid0(VALU_DEP_2) | instskip(NEXT) | instid1(VALU_DEP_2)
	v_mul_lo_u32 v1, v1, s21
	v_mul_lo_u32 v2, v2, s23
	s_delay_alu instid0(VALU_DEP_1) | instskip(NEXT) | instid1(VALU_DEP_1)
	v_sub_nc_u32_e32 v1, v1, v2
	v_cmp_lt_u32_e64 s12, s41, v1
	s_delay_alu instid0(VALU_DEP_1)
	s_and_b32 s57, s12, exec_lo
; %bb.27:
	s_or_b32 exec_lo, exec_lo, s13
	v_add_nc_u32_e32 v1, s17, v7
	v_add_nc_u32_e32 v2, s19, v7
	s_mov_b32 s42, exec_lo
	s_delay_alu instid0(VALU_DEP_2) | instskip(NEXT) | instid1(VALU_DEP_2)
	v_mul_lo_u32 v1, v1, s16
	v_mul_lo_u32 v2, v2, s18
	s_delay_alu instid0(VALU_DEP_1) | instskip(NEXT) | instid1(VALU_DEP_1)
	v_sub_nc_u32_e32 v1, v1, v2
	v_cmp_lt_u32_e64 s12, s20, v1
	v_cmpx_ge_u32_e64 s20, v1
; %bb.28:
	v_add_nc_u32_e32 v1, s22, v7
	v_add_nc_u32_e32 v2, s40, v7
	s_delay_alu instid0(VALU_DEP_2) | instskip(NEXT) | instid1(VALU_DEP_2)
	v_mul_lo_u32 v1, v1, s21
	v_mul_lo_u32 v2, v2, s23
	s_delay_alu instid0(VALU_DEP_1) | instskip(NEXT) | instid1(VALU_DEP_1)
	v_sub_nc_u32_e32 v1, v1, v2
	v_cmp_lt_u32_e64 s13, s41, v1
	s_delay_alu instid0(VALU_DEP_1)
	s_and_b32 s56, s13, exec_lo
; %bb.29:
	s_or_b32 exec_lo, exec_lo, s42
	v_add_nc_u32_e32 v1, s17, v27
	v_add_nc_u32_e32 v2, s19, v27
	s_mov_b32 s42, -1
	s_mov_b32 s53, 0
	s_mov_b32 s43, 0
	v_mul_lo_u32 v1, v1, s16
	v_mul_lo_u32 v2, v2, s18
	s_mov_b32 s58, exec_lo
	s_delay_alu instid0(VALU_DEP_1) | instskip(NEXT) | instid1(VALU_DEP_1)
	v_sub_nc_u32_e32 v1, v1, v2
	v_cmpx_ge_u32_e64 s20, v1
; %bb.30:
	v_add_nc_u32_e32 v1, s22, v27
	v_add_nc_u32_e32 v2, s40, v27
	s_xor_b32 s42, exec_lo, -1
	s_delay_alu instid0(VALU_DEP_2) | instskip(NEXT) | instid1(VALU_DEP_2)
	v_mul_lo_u32 v1, v1, s21
	v_mul_lo_u32 v2, v2, s23
	s_delay_alu instid0(VALU_DEP_1) | instskip(NEXT) | instid1(VALU_DEP_1)
	v_sub_nc_u32_e32 v1, v1, v2
	v_cmp_lt_u32_e64 s13, s41, v1
	s_delay_alu instid0(VALU_DEP_1)
	s_and_b32 s43, s13, exec_lo
; %bb.31:
	s_or_b32 exec_lo, exec_lo, s58
	v_cndmask_b32_e64 v48, 0, 1, s57
	v_cndmask_b32_e64 v51, 0, 1, s12
	;; [unrolled: 1-line block ×22, first 2 shown]
	v_cndmask_b32_e64 v29, 0, 1, vcc_lo
	v_cndmask_b32_e64 v52, 0, 1, s56
	s_load_b64 s[4:5], s[0:1], 0x78
	s_and_b32 vcc_lo, exec_lo, s53
	s_add_i32 s3, s44, 0xd00
	s_cbranch_vccnz .LBB1267_33
	s_branch .LBB1267_86
.LBB1267_32:
                                        ; implicit-def: $sgpr42
                                        ; implicit-def: $sgpr43
                                        ; implicit-def: $vgpr52
                                        ; implicit-def: $vgpr48
                                        ; implicit-def: $vgpr47
                                        ; implicit-def: $vgpr45
                                        ; implicit-def: $vgpr43
                                        ; implicit-def: $vgpr40
                                        ; implicit-def: $vgpr39
                                        ; implicit-def: $vgpr37
                                        ; implicit-def: $vgpr35
                                        ; implicit-def: $vgpr29
                                        ; implicit-def: $vgpr33
                                        ; implicit-def: $vgpr31
                                        ; implicit-def: $vgpr32
                                        ; implicit-def: $vgpr38
                                        ; implicit-def: $vgpr41
                                        ; implicit-def: $vgpr42
                                        ; implicit-def: $vgpr44
                                        ; implicit-def: $vgpr46
                                        ; implicit-def: $vgpr49
                                        ; implicit-def: $vgpr50
                                        ; implicit-def: $vgpr51
                                        ; implicit-def: $vgpr30
                                        ; implicit-def: $vgpr34
                                        ; implicit-def: $vgpr36
	s_load_b64 s[4:5], s[0:1], 0x78
	s_add_i32 s3, s44, 0xd00
	s_cbranch_execz .LBB1267_86
.LBB1267_33:
	v_dual_mov_b32 v30, 0 :: v_dual_mov_b32 v29, 0
	s_mov_b32 s2, 0
	s_mov_b32 s1, exec_lo
	v_cmpx_gt_u32_e64 s3, v28
	s_cbranch_execz .LBB1267_37
; %bb.34:
	v_add_nc_u32_e32 v1, s17, v16
	v_add_nc_u32_e32 v2, s19, v16
	s_mov_b32 s6, exec_lo
	s_delay_alu instid0(VALU_DEP_2) | instskip(NEXT) | instid1(VALU_DEP_2)
	v_mul_lo_u32 v1, v1, s16
	v_mul_lo_u32 v2, v2, s18
	s_delay_alu instid0(VALU_DEP_1) | instskip(NEXT) | instid1(VALU_DEP_1)
	v_sub_nc_u32_e32 v1, v1, v2
	v_cmp_lt_u32_e32 vcc_lo, s20, v1
	v_cmpx_ge_u32_e64 s20, v1
; %bb.35:
	v_add_nc_u32_e32 v1, s22, v16
	v_add_nc_u32_e32 v2, s40, v16
	s_delay_alu instid0(VALU_DEP_2) | instskip(NEXT) | instid1(VALU_DEP_2)
	v_mul_lo_u32 v1, v1, s21
	v_mul_lo_u32 v2, v2, s23
	s_delay_alu instid0(VALU_DEP_1) | instskip(NEXT) | instid1(VALU_DEP_1)
	v_sub_nc_u32_e32 v1, v1, v2
	v_cmp_lt_u32_e64 s0, s41, v1
	s_delay_alu instid0(VALU_DEP_1)
	s_and_b32 s2, s0, exec_lo
; %bb.36:
	s_or_b32 exec_lo, exec_lo, s6
	v_cndmask_b32_e64 v29, 0, 1, vcc_lo
	v_cndmask_b32_e64 v30, 0, 1, s2
.LBB1267_37:
	s_or_b32 exec_lo, exec_lo, s1
	v_dual_mov_b32 v34, 0 :: v_dual_add_nc_u32 v1, 1, v28
	v_mov_b32_e32 v33, 0
	s_mov_b32 s2, 0
	s_mov_b32 s1, exec_lo
	s_delay_alu instid0(VALU_DEP_2)
	v_cmpx_gt_u32_e64 s3, v1
	s_cbranch_execz .LBB1267_41
; %bb.38:
	v_add_nc_u32_e32 v1, s17, v17
	v_add_nc_u32_e32 v2, s19, v17
	s_mov_b32 s6, exec_lo
	s_delay_alu instid0(VALU_DEP_2) | instskip(NEXT) | instid1(VALU_DEP_2)
	v_mul_lo_u32 v1, v1, s16
	v_mul_lo_u32 v2, v2, s18
	s_delay_alu instid0(VALU_DEP_1) | instskip(NEXT) | instid1(VALU_DEP_1)
	v_sub_nc_u32_e32 v1, v1, v2
	v_cmp_lt_u32_e32 vcc_lo, s20, v1
	v_cmpx_ge_u32_e64 s20, v1
; %bb.39:
	v_add_nc_u32_e32 v1, s22, v17
	v_add_nc_u32_e32 v2, s40, v17
	s_delay_alu instid0(VALU_DEP_2) | instskip(NEXT) | instid1(VALU_DEP_2)
	v_mul_lo_u32 v1, v1, s21
	v_mul_lo_u32 v2, v2, s23
	s_delay_alu instid0(VALU_DEP_1) | instskip(NEXT) | instid1(VALU_DEP_1)
	v_sub_nc_u32_e32 v1, v1, v2
	v_cmp_lt_u32_e64 s0, s41, v1
	s_delay_alu instid0(VALU_DEP_1)
	s_and_b32 s2, s0, exec_lo
; %bb.40:
	s_or_b32 exec_lo, exec_lo, s6
	v_cndmask_b32_e64 v33, 0, 1, vcc_lo
	v_cndmask_b32_e64 v34, 0, 1, s2
.LBB1267_41:
	s_or_b32 exec_lo, exec_lo, s1
	v_dual_mov_b32 v36, 0 :: v_dual_add_nc_u32 v1, 2, v28
	v_mov_b32_e32 v31, 0
	s_mov_b32 s2, 0
	s_mov_b32 s1, exec_lo
	s_delay_alu instid0(VALU_DEP_2)
	;; [unrolled: 35-line block ×4, first 2 shown]
	v_cmpx_gt_u32_e64 s3, v1
	s_cbranch_execz .LBB1267_53
; %bb.50:
	v_add_nc_u32_e32 v1, s17, v12
	v_add_nc_u32_e32 v2, s19, v12
	s_mov_b32 s6, exec_lo
	s_delay_alu instid0(VALU_DEP_2) | instskip(NEXT) | instid1(VALU_DEP_2)
	v_mul_lo_u32 v1, v1, s16
	v_mul_lo_u32 v2, v2, s18
	s_delay_alu instid0(VALU_DEP_1) | instskip(NEXT) | instid1(VALU_DEP_1)
	v_sub_nc_u32_e32 v1, v1, v2
	v_cmp_lt_u32_e32 vcc_lo, s20, v1
	v_cmpx_ge_u32_e64 s20, v1
; %bb.51:
	v_add_nc_u32_e32 v1, s22, v12
	v_add_nc_u32_e32 v2, s40, v12
	s_delay_alu instid0(VALU_DEP_2) | instskip(NEXT) | instid1(VALU_DEP_2)
	v_mul_lo_u32 v1, v1, s21
	v_mul_lo_u32 v2, v2, s23
	s_delay_alu instid0(VALU_DEP_1) | instskip(NEXT) | instid1(VALU_DEP_1)
	v_sub_nc_u32_e32 v1, v1, v2
	v_cmp_lt_u32_e64 s0, s41, v1
	s_delay_alu instid0(VALU_DEP_1)
	s_and_b32 s2, s0, exec_lo
; %bb.52:
	s_or_b32 exec_lo, exec_lo, s6
	v_cndmask_b32_e64 v38, 0, 1, vcc_lo
	v_cndmask_b32_e64 v37, 0, 1, s2
.LBB1267_53:
	s_or_b32 exec_lo, exec_lo, s1
	v_add_nc_u32_e32 v1, 5, v28
	v_mov_b32_e32 v39, 0
	v_mov_b32_e32 v41, 0
	s_mov_b32 s2, 0
	s_mov_b32 s1, exec_lo
	v_cmpx_gt_u32_e64 s3, v1
	s_cbranch_execz .LBB1267_57
; %bb.54:
	v_add_nc_u32_e32 v1, s17, v13
	v_add_nc_u32_e32 v2, s19, v13
	s_mov_b32 s6, exec_lo
	s_delay_alu instid0(VALU_DEP_2) | instskip(NEXT) | instid1(VALU_DEP_2)
	v_mul_lo_u32 v1, v1, s16
	v_mul_lo_u32 v2, v2, s18
	s_delay_alu instid0(VALU_DEP_1) | instskip(NEXT) | instid1(VALU_DEP_1)
	v_sub_nc_u32_e32 v1, v1, v2
	v_cmp_lt_u32_e32 vcc_lo, s20, v1
	v_cmpx_ge_u32_e64 s20, v1
; %bb.55:
	v_add_nc_u32_e32 v1, s22, v13
	v_add_nc_u32_e32 v2, s40, v13
	s_delay_alu instid0(VALU_DEP_2) | instskip(NEXT) | instid1(VALU_DEP_2)
	v_mul_lo_u32 v1, v1, s21
	v_mul_lo_u32 v2, v2, s23
	s_delay_alu instid0(VALU_DEP_1) | instskip(NEXT) | instid1(VALU_DEP_1)
	v_sub_nc_u32_e32 v1, v1, v2
	v_cmp_lt_u32_e64 s0, s41, v1
	s_delay_alu instid0(VALU_DEP_1)
	s_and_b32 s2, s0, exec_lo
; %bb.56:
	s_or_b32 exec_lo, exec_lo, s6
	v_cndmask_b32_e64 v41, 0, 1, vcc_lo
	v_cndmask_b32_e64 v39, 0, 1, s2
.LBB1267_57:
	s_or_b32 exec_lo, exec_lo, s1
	v_dual_mov_b32 v40, 0 :: v_dual_add_nc_u32 v1, 6, v28
	v_mov_b32_e32 v42, 0
	s_mov_b32 s2, 0
	s_mov_b32 s1, exec_lo
	s_delay_alu instid0(VALU_DEP_2)
	v_cmpx_gt_u32_e64 s3, v1
	s_cbranch_execz .LBB1267_61
; %bb.58:
	v_add_nc_u32_e32 v1, s17, v10
	v_add_nc_u32_e32 v2, s19, v10
	s_mov_b32 s6, exec_lo
	s_delay_alu instid0(VALU_DEP_2) | instskip(NEXT) | instid1(VALU_DEP_2)
	v_mul_lo_u32 v1, v1, s16
	v_mul_lo_u32 v2, v2, s18
	s_delay_alu instid0(VALU_DEP_1) | instskip(NEXT) | instid1(VALU_DEP_1)
	v_sub_nc_u32_e32 v1, v1, v2
	v_cmp_lt_u32_e32 vcc_lo, s20, v1
	v_cmpx_ge_u32_e64 s20, v1
; %bb.59:
	v_add_nc_u32_e32 v1, s22, v10
	v_add_nc_u32_e32 v2, s40, v10
	s_delay_alu instid0(VALU_DEP_2) | instskip(NEXT) | instid1(VALU_DEP_2)
	v_mul_lo_u32 v1, v1, s21
	v_mul_lo_u32 v2, v2, s23
	s_delay_alu instid0(VALU_DEP_1) | instskip(NEXT) | instid1(VALU_DEP_1)
	v_sub_nc_u32_e32 v1, v1, v2
	v_cmp_lt_u32_e64 s0, s41, v1
	s_delay_alu instid0(VALU_DEP_1)
	s_and_b32 s2, s0, exec_lo
; %bb.60:
	s_or_b32 exec_lo, exec_lo, s6
	v_cndmask_b32_e64 v42, 0, 1, vcc_lo
	v_cndmask_b32_e64 v40, 0, 1, s2
.LBB1267_61:
	s_or_b32 exec_lo, exec_lo, s1
	v_dual_mov_b32 v44, 0 :: v_dual_add_nc_u32 v1, 7, v28
	v_mov_b32_e32 v43, 0
	s_mov_b32 s2, 0
	s_mov_b32 s1, exec_lo
	s_delay_alu instid0(VALU_DEP_2)
	;; [unrolled: 35-line block ×3, first 2 shown]
	v_cmpx_gt_u32_e64 s3, v1
	s_cbranch_execz .LBB1267_69
; %bb.66:
	v_add_nc_u32_e32 v1, s17, v8
	v_add_nc_u32_e32 v2, s19, v8
	s_mov_b32 s6, exec_lo
	s_delay_alu instid0(VALU_DEP_2) | instskip(NEXT) | instid1(VALU_DEP_2)
	v_mul_lo_u32 v1, v1, s16
	v_mul_lo_u32 v2, v2, s18
	s_delay_alu instid0(VALU_DEP_1) | instskip(NEXT) | instid1(VALU_DEP_1)
	v_sub_nc_u32_e32 v1, v1, v2
	v_cmp_lt_u32_e32 vcc_lo, s20, v1
	v_cmpx_ge_u32_e64 s20, v1
; %bb.67:
	v_add_nc_u32_e32 v1, s22, v8
	v_add_nc_u32_e32 v2, s40, v8
	s_delay_alu instid0(VALU_DEP_2) | instskip(NEXT) | instid1(VALU_DEP_2)
	v_mul_lo_u32 v1, v1, s21
	v_mul_lo_u32 v2, v2, s23
	s_delay_alu instid0(VALU_DEP_1) | instskip(NEXT) | instid1(VALU_DEP_1)
	v_sub_nc_u32_e32 v1, v1, v2
	v_cmp_lt_u32_e64 s0, s41, v1
	s_delay_alu instid0(VALU_DEP_1)
	s_and_b32 s2, s0, exec_lo
; %bb.68:
	s_or_b32 exec_lo, exec_lo, s6
	v_cndmask_b32_e64 v46, 0, 1, vcc_lo
	v_cndmask_b32_e64 v45, 0, 1, s2
.LBB1267_69:
	s_or_b32 exec_lo, exec_lo, s1
	v_add_nc_u32_e32 v1, 9, v28
	v_mov_b32_e32 v47, 0
	v_mov_b32_e32 v49, 0
	s_mov_b32 s2, 0
	s_mov_b32 s1, exec_lo
	v_cmpx_gt_u32_e64 s3, v1
	s_cbranch_execz .LBB1267_73
; %bb.70:
	v_add_nc_u32_e32 v1, s17, v9
	v_add_nc_u32_e32 v2, s19, v9
	s_mov_b32 s6, exec_lo
	s_delay_alu instid0(VALU_DEP_2) | instskip(NEXT) | instid1(VALU_DEP_2)
	v_mul_lo_u32 v1, v1, s16
	v_mul_lo_u32 v2, v2, s18
	s_delay_alu instid0(VALU_DEP_1) | instskip(NEXT) | instid1(VALU_DEP_1)
	v_sub_nc_u32_e32 v1, v1, v2
	v_cmp_lt_u32_e32 vcc_lo, s20, v1
	v_cmpx_ge_u32_e64 s20, v1
; %bb.71:
	v_add_nc_u32_e32 v1, s22, v9
	v_add_nc_u32_e32 v2, s40, v9
	s_delay_alu instid0(VALU_DEP_2) | instskip(NEXT) | instid1(VALU_DEP_2)
	v_mul_lo_u32 v1, v1, s21
	v_mul_lo_u32 v2, v2, s23
	s_delay_alu instid0(VALU_DEP_1) | instskip(NEXT) | instid1(VALU_DEP_1)
	v_sub_nc_u32_e32 v1, v1, v2
	v_cmp_lt_u32_e64 s0, s41, v1
	s_delay_alu instid0(VALU_DEP_1)
	s_and_b32 s2, s0, exec_lo
; %bb.72:
	s_or_b32 exec_lo, exec_lo, s6
	v_cndmask_b32_e64 v49, 0, 1, vcc_lo
	v_cndmask_b32_e64 v47, 0, 1, s2
.LBB1267_73:
	s_or_b32 exec_lo, exec_lo, s1
	v_dual_mov_b32 v48, 0 :: v_dual_add_nc_u32 v1, 10, v28
	v_mov_b32_e32 v50, 0
	s_mov_b32 s2, 0
	s_mov_b32 s1, exec_lo
	s_delay_alu instid0(VALU_DEP_2)
	v_cmpx_gt_u32_e64 s3, v1
	s_cbranch_execz .LBB1267_77
; %bb.74:
	v_add_nc_u32_e32 v1, s17, v6
	v_add_nc_u32_e32 v2, s19, v6
	s_mov_b32 s6, exec_lo
	s_delay_alu instid0(VALU_DEP_2) | instskip(NEXT) | instid1(VALU_DEP_2)
	v_mul_lo_u32 v1, v1, s16
	v_mul_lo_u32 v2, v2, s18
	s_delay_alu instid0(VALU_DEP_1) | instskip(NEXT) | instid1(VALU_DEP_1)
	v_sub_nc_u32_e32 v1, v1, v2
	v_cmp_lt_u32_e32 vcc_lo, s20, v1
	v_cmpx_ge_u32_e64 s20, v1
; %bb.75:
	v_add_nc_u32_e32 v1, s22, v6
	v_add_nc_u32_e32 v2, s40, v6
	s_delay_alu instid0(VALU_DEP_2) | instskip(NEXT) | instid1(VALU_DEP_2)
	v_mul_lo_u32 v1, v1, s21
	v_mul_lo_u32 v2, v2, s23
	s_delay_alu instid0(VALU_DEP_1) | instskip(NEXT) | instid1(VALU_DEP_1)
	v_sub_nc_u32_e32 v1, v1, v2
	v_cmp_lt_u32_e64 s0, s41, v1
	s_delay_alu instid0(VALU_DEP_1)
	s_and_b32 s2, s0, exec_lo
; %bb.76:
	s_or_b32 exec_lo, exec_lo, s6
	v_cndmask_b32_e64 v50, 0, 1, vcc_lo
	v_cndmask_b32_e64 v48, 0, 1, s2
.LBB1267_77:
	s_or_b32 exec_lo, exec_lo, s1
	v_dual_mov_b32 v52, 0 :: v_dual_add_nc_u32 v1, 11, v28
	v_mov_b32_e32 v51, 0
	s_mov_b32 s2, 0
	s_mov_b32 s1, exec_lo
	s_delay_alu instid0(VALU_DEP_2)
	v_cmpx_gt_u32_e64 s3, v1
	s_cbranch_execz .LBB1267_81
; %bb.78:
	v_add_nc_u32_e32 v1, s17, v7
	v_add_nc_u32_e32 v2, s19, v7
	s_mov_b32 s6, exec_lo
	s_delay_alu instid0(VALU_DEP_2) | instskip(NEXT) | instid1(VALU_DEP_2)
	v_mul_lo_u32 v1, v1, s16
	v_mul_lo_u32 v2, v2, s18
	s_delay_alu instid0(VALU_DEP_1) | instskip(NEXT) | instid1(VALU_DEP_1)
	v_sub_nc_u32_e32 v1, v1, v2
	v_cmp_lt_u32_e32 vcc_lo, s20, v1
	v_cmpx_ge_u32_e64 s20, v1
; %bb.79:
	v_add_nc_u32_e32 v1, s22, v7
	v_add_nc_u32_e32 v2, s40, v7
	s_delay_alu instid0(VALU_DEP_2) | instskip(NEXT) | instid1(VALU_DEP_2)
	v_mul_lo_u32 v1, v1, s21
	v_mul_lo_u32 v2, v2, s23
	s_delay_alu instid0(VALU_DEP_1) | instskip(NEXT) | instid1(VALU_DEP_1)
	v_sub_nc_u32_e32 v1, v1, v2
	v_cmp_lt_u32_e64 s0, s41, v1
	s_delay_alu instid0(VALU_DEP_1)
	s_and_b32 s2, s0, exec_lo
; %bb.80:
	s_or_b32 exec_lo, exec_lo, s6
	v_cndmask_b32_e64 v51, 0, 1, vcc_lo
	v_cndmask_b32_e64 v52, 0, 1, s2
.LBB1267_81:
	s_or_b32 exec_lo, exec_lo, s1
	v_add_nc_u32_e32 v1, 12, v28
	s_mov_b32 s42, 0
	s_mov_b32 s43, 0
	s_mov_b32 s0, exec_lo
	s_delay_alu instid0(VALU_DEP_1)
	v_cmpx_gt_u32_e64 s3, v1
	s_cbranch_execz .LBB1267_85
; %bb.82:
	v_add_nc_u32_e32 v1, s17, v27
	v_add_nc_u32_e32 v2, s19, v27
	s_mov_b32 s2, -1
	s_mov_b32 s6, 0
	s_mov_b32 s1, exec_lo
	v_mul_lo_u32 v1, v1, s16
	v_mul_lo_u32 v2, v2, s18
	s_delay_alu instid0(VALU_DEP_1) | instskip(NEXT) | instid1(VALU_DEP_1)
	v_sub_nc_u32_e32 v1, v1, v2
	v_cmpx_ge_u32_e64 s20, v1
; %bb.83:
	v_add_nc_u32_e32 v1, s22, v27
	v_add_nc_u32_e32 v2, s40, v27
	s_xor_b32 s2, exec_lo, -1
	s_delay_alu instid0(VALU_DEP_2) | instskip(NEXT) | instid1(VALU_DEP_2)
	v_mul_lo_u32 v1, v1, s21
	v_mul_lo_u32 v2, v2, s23
	s_delay_alu instid0(VALU_DEP_1) | instskip(NEXT) | instid1(VALU_DEP_1)
	v_sub_nc_u32_e32 v1, v1, v2
	v_cmp_lt_u32_e32 vcc_lo, s41, v1
	s_and_b32 s6, vcc_lo, exec_lo
; %bb.84:
	s_or_b32 exec_lo, exec_lo, s1
	s_delay_alu instid0(SALU_CYCLE_1)
	s_and_b32 s43, s6, exec_lo
	s_and_b32 s42, s2, exec_lo
.LBB1267_85:
	s_or_b32 exec_lo, exec_lo, s0
.LBB1267_86:
	v_and_b32_e32 v75, 0xff, v29
	v_and_b32_e32 v76, 0xff, v30
	v_and_b32_e32 v71, 0xff, v33
	v_and_b32_e32 v72, 0xff, v34
	v_and_b32_e32 v73, 0xff, v31
	v_and_b32_e32 v74, 0xff, v36
	v_and_b32_e32 v69, 0xff, v32
	v_and_b32_e32 v70, 0xff, v35
	v_and_b32_e32 v67, 0xff, v38
	v_and_b32_e32 v68, 0xff, v37
	v_add3_u32 v1, v71, v73, v75
	v_add3_u32 v2, v72, v74, v76
	v_and_b32_e32 v65, 0xff, v41
	v_and_b32_e32 v66, 0xff, v39
	v_and_b32_e32 v61, 0xff, v42
	v_and_b32_e32 v62, 0xff, v40
	v_add3_u32 v1, v1, v69, v67
	v_add3_u32 v2, v2, v70, v68
	v_and_b32_e32 v63, 0xff, v44
	v_and_b32_e32 v64, 0xff, v43
	v_and_b32_e32 v59, 0xff, v46
	v_and_b32_e32 v60, 0xff, v45
	;; [unrolled: 6-line block ×3, first 2 shown]
	v_add3_u32 v1, v1, v63, v59
	v_add3_u32 v2, v2, v64, v60
	v_mbcnt_lo_u32_b32 v77, -1, 0
	v_and_b32_e32 v53, 0xff, v51
	v_and_b32_e32 v54, 0xff, v52
	v_cndmask_b32_e64 v3, 0, 1, s43
	v_add3_u32 v1, v1, v57, v55
	v_cndmask_b32_e64 v4, 0, 1, s42
	v_add3_u32 v2, v2, v58, v56
	v_and_b32_e32 v81, 15, v77
	v_and_b32_e32 v80, 16, v77
	v_lshrrev_b32_e32 v78, 5, v0
	v_add3_u32 v82, v1, v53, v4
	v_add3_u32 v83, v2, v54, v3
	v_cmp_eq_u32_e64 s1, 0, v81
	v_cmp_lt_u32_e64 s0, 1, v81
	v_cmp_lt_u32_e64 s2, 3, v81
	v_cmp_lt_u32_e32 vcc_lo, 7, v81
	v_or_b32_e32 v79, 31, v0
	s_cmp_lg_u32 s15, 0
	s_mov_b32 s6, -1
	s_cbranch_scc0 .LBB1267_114
; %bb.87:
	v_mov_b32_dpp v1, v83 row_shr:1 row_mask:0xf bank_mask:0xf
	v_mov_b32_dpp v2, v82 row_shr:1 row_mask:0xf bank_mask:0xf
	s_delay_alu instid0(VALU_DEP_2) | instskip(NEXT) | instid1(VALU_DEP_1)
	v_add_nc_u32_e32 v1, v1, v83
	v_cndmask_b32_e64 v1, v1, v83, s1
	s_delay_alu instid0(VALU_DEP_1) | instskip(NEXT) | instid1(VALU_DEP_1)
	v_mov_b32_dpp v3, v1 row_shr:2 row_mask:0xf bank_mask:0xf
	v_add_nc_u32_e32 v3, v1, v3
	s_delay_alu instid0(VALU_DEP_1) | instskip(NEXT) | instid1(VALU_DEP_1)
	v_cndmask_b32_e64 v1, v1, v3, s0
	v_mov_b32_dpp v3, v1 row_shr:4 row_mask:0xf bank_mask:0xf
	s_delay_alu instid0(VALU_DEP_1) | instskip(NEXT) | instid1(VALU_DEP_1)
	v_add_nc_u32_e32 v3, v1, v3
	v_cndmask_b32_e64 v1, v1, v3, s2
	s_delay_alu instid0(VALU_DEP_1) | instskip(NEXT) | instid1(VALU_DEP_1)
	v_mov_b32_dpp v3, v1 row_shr:8 row_mask:0xf bank_mask:0xf
	v_add_nc_u32_e32 v3, v1, v3
	s_delay_alu instid0(VALU_DEP_1) | instskip(NEXT) | instid1(VALU_DEP_1)
	v_dual_cndmask_b32 v1, v1, v3 :: v_dual_add_nc_u32 v2, v2, v82
	v_cndmask_b32_e64 v2, v2, v82, s1
	s_delay_alu instid0(VALU_DEP_1) | instskip(NEXT) | instid1(VALU_DEP_1)
	v_mov_b32_dpp v4, v2 row_shr:2 row_mask:0xf bank_mask:0xf
	v_add_nc_u32_e32 v4, v2, v4
	s_delay_alu instid0(VALU_DEP_1) | instskip(NEXT) | instid1(VALU_DEP_1)
	v_cndmask_b32_e64 v2, v2, v4, s0
	v_mov_b32_dpp v4, v2 row_shr:4 row_mask:0xf bank_mask:0xf
	s_delay_alu instid0(VALU_DEP_1) | instskip(NEXT) | instid1(VALU_DEP_1)
	v_add_nc_u32_e32 v4, v2, v4
	v_cndmask_b32_e64 v2, v2, v4, s2
	s_mov_b32 s2, exec_lo
	s_delay_alu instid0(VALU_DEP_1) | instskip(NEXT) | instid1(VALU_DEP_1)
	v_mov_b32_dpp v4, v2 row_shr:8 row_mask:0xf bank_mask:0xf
	v_add_nc_u32_e32 v4, v2, v4
	s_delay_alu instid0(VALU_DEP_1)
	v_cndmask_b32_e32 v3, v2, v4, vcc_lo
	ds_swizzle_b32 v2, v1 offset:swizzle(BROADCAST,32,15)
	v_cmp_eq_u32_e32 vcc_lo, 0, v80
	s_waitcnt lgkmcnt(0)
	v_add_nc_u32_e32 v2, v1, v2
	ds_swizzle_b32 v4, v3 offset:swizzle(BROADCAST,32,15)
	v_cndmask_b32_e32 v2, v2, v1, vcc_lo
	s_waitcnt lgkmcnt(0)
	v_add_nc_u32_e32 v4, v3, v4
	s_delay_alu instid0(VALU_DEP_1)
	v_cndmask_b32_e32 v1, v4, v3, vcc_lo
	v_cmpx_eq_u32_e64 v79, v0
	s_cbranch_execz .LBB1267_89
; %bb.88:
	v_lshlrev_b32_e32 v3, 3, v78
	ds_store_b64 v3, v[1:2]
.LBB1267_89:
	s_or_b32 exec_lo, exec_lo, s2
	s_delay_alu instid0(SALU_CYCLE_1)
	s_mov_b32 s2, exec_lo
	s_waitcnt lgkmcnt(0)
	s_barrier
	buffer_gl0_inv
	v_cmpx_gt_u32_e32 8, v0
	s_cbranch_execz .LBB1267_91
; %bb.90:
	v_lshlrev_b32_e32 v5, 3, v0
	ds_load_b64 v[3:4], v5
	s_waitcnt lgkmcnt(0)
	v_mov_b32_dpp v18, v3 row_shr:1 row_mask:0xf bank_mask:0xf
	v_mov_b32_dpp v19, v4 row_shr:1 row_mask:0xf bank_mask:0xf
	s_delay_alu instid0(VALU_DEP_2) | instskip(SKIP_1) | instid1(VALU_DEP_3)
	v_add_nc_u32_e32 v18, v18, v3
	v_and_b32_e32 v20, 7, v77
	v_add_nc_u32_e32 v19, v19, v4
	s_delay_alu instid0(VALU_DEP_2) | instskip(NEXT) | instid1(VALU_DEP_2)
	v_cmp_eq_u32_e32 vcc_lo, 0, v20
	v_dual_cndmask_b32 v4, v19, v4 :: v_dual_cndmask_b32 v3, v18, v3
	v_cmp_lt_u32_e32 vcc_lo, 1, v20
	s_delay_alu instid0(VALU_DEP_2) | instskip(NEXT) | instid1(VALU_DEP_3)
	v_mov_b32_dpp v19, v4 row_shr:2 row_mask:0xf bank_mask:0xf
	v_mov_b32_dpp v18, v3 row_shr:2 row_mask:0xf bank_mask:0xf
	s_delay_alu instid0(VALU_DEP_2) | instskip(NEXT) | instid1(VALU_DEP_2)
	v_add_nc_u32_e32 v19, v4, v19
	v_add_nc_u32_e32 v18, v3, v18
	s_delay_alu instid0(VALU_DEP_1) | instskip(SKIP_1) | instid1(VALU_DEP_2)
	v_dual_cndmask_b32 v4, v4, v19 :: v_dual_cndmask_b32 v3, v3, v18
	v_cmp_lt_u32_e32 vcc_lo, 3, v20
	v_mov_b32_dpp v19, v4 row_shr:4 row_mask:0xf bank_mask:0xf
	s_delay_alu instid0(VALU_DEP_3) | instskip(NEXT) | instid1(VALU_DEP_1)
	v_mov_b32_dpp v18, v3 row_shr:4 row_mask:0xf bank_mask:0xf
	v_dual_cndmask_b32 v19, 0, v19 :: v_dual_cndmask_b32 v18, 0, v18
	s_delay_alu instid0(VALU_DEP_1) | instskip(NEXT) | instid1(VALU_DEP_2)
	v_add_nc_u32_e32 v4, v19, v4
	v_add_nc_u32_e32 v3, v18, v3
	ds_store_b64 v5, v[3:4]
.LBB1267_91:
	s_or_b32 exec_lo, exec_lo, s2
	v_cmp_gt_u32_e32 vcc_lo, 32, v0
	v_cmp_lt_u32_e64 s2, 31, v0
	s_waitcnt lgkmcnt(0)
	s_barrier
	buffer_gl0_inv
                                        ; implicit-def: $vgpr19
	s_and_saveexec_b32 s6, s2
	s_delay_alu instid0(SALU_CYCLE_1)
	s_xor_b32 s2, exec_lo, s6
	s_cbranch_execz .LBB1267_93
; %bb.92:
	v_lshl_add_u32 v3, v78, 3, -8
	ds_load_b64 v[18:19], v3
	s_waitcnt lgkmcnt(0)
	v_add_nc_u32_e32 v2, v19, v2
	v_add_nc_u32_e32 v1, v18, v1
.LBB1267_93:
	s_and_not1_saveexec_b32 s2, s2
; %bb.94:
                                        ; implicit-def: $vgpr18
; %bb.95:
	s_delay_alu instid0(SALU_CYCLE_1) | instskip(SKIP_1) | instid1(VALU_DEP_1)
	s_or_b32 exec_lo, exec_lo, s2
	v_add_nc_u32_e32 v3, -1, v77
	v_cmp_gt_i32_e64 s2, 0, v3
	s_delay_alu instid0(VALU_DEP_1) | instskip(SKIP_1) | instid1(VALU_DEP_2)
	v_cndmask_b32_e64 v3, v3, v77, s2
	v_cmp_eq_u32_e64 s2, 0, v77
	v_lshlrev_b32_e32 v3, 2, v3
	ds_bpermute_b32 v84, v3, v1
	ds_bpermute_b32 v85, v3, v2
	s_and_saveexec_b32 s6, vcc_lo
	s_cbranch_execz .LBB1267_113
; %bb.96:
	v_mov_b32_e32 v4, 0
	ds_load_b64 v[1:2], v4 offset:56
	s_waitcnt lgkmcnt(0)
	v_readfirstlane_b32 s7, v2
	s_and_saveexec_b32 s8, s2
	s_cbranch_execz .LBB1267_98
; %bb.97:
	s_add_i32 s10, s15, 32
	s_mov_b32 s11, 0
	v_mov_b32_e32 v3, 1
	s_lshl_b64 s[12:13], s[10:11], 4
	s_mov_b32 s16, s11
	s_add_u32 s12, s4, s12
	s_addc_u32 s13, s5, s13
	s_and_b32 s17, s7, 0xff000000
	s_and_b32 s19, s7, 0xff0000
	s_mov_b32 s18, s11
	v_dual_mov_b32 v21, s13 :: v_dual_mov_b32 v20, s12
	s_or_b64 s[16:17], s[18:19], s[16:17]
	s_and_b32 s19, s7, 0xff00
	s_delay_alu instid0(SALU_CYCLE_1) | instskip(SKIP_1) | instid1(SALU_CYCLE_1)
	s_or_b64 s[16:17], s[16:17], s[18:19]
	s_and_b32 s19, s7, 0xff
	s_or_b64 s[10:11], s[16:17], s[18:19]
	s_delay_alu instid0(SALU_CYCLE_1)
	v_mov_b32_e32 v2, s11
	;;#ASMSTART
	global_store_dwordx4 v[20:21], v[1:4] off	
s_waitcnt vmcnt(0)
	;;#ASMEND
.LBB1267_98:
	s_or_b32 exec_lo, exec_lo, s8
	v_xad_u32 v20, v77, -1, s15
	s_mov_b32 s9, 0
	s_mov_b32 s8, exec_lo
	s_delay_alu instid0(VALU_DEP_1) | instskip(NEXT) | instid1(VALU_DEP_1)
	v_add_nc_u32_e32 v3, 32, v20
	v_lshlrev_b64 v[2:3], 4, v[3:4]
	s_delay_alu instid0(VALU_DEP_1) | instskip(NEXT) | instid1(VALU_DEP_2)
	v_add_co_u32 v21, vcc_lo, s4, v2
	v_add_co_ci_u32_e32 v22, vcc_lo, s5, v3, vcc_lo
	;;#ASMSTART
	global_load_dwordx4 v[2:5], v[21:22] off glc	
s_waitcnt vmcnt(0)
	;;#ASMEND
	v_and_b32_e32 v5, 0xff, v3
	v_and_b32_e32 v23, 0xff00, v3
	v_or3_b32 v2, v2, 0, 0
	v_and_b32_e32 v24, 0xff000000, v3
	v_and_b32_e32 v3, 0xff0000, v3
	s_delay_alu instid0(VALU_DEP_4) | instskip(SKIP_2) | instid1(VALU_DEP_3)
	v_or3_b32 v5, 0, v5, v23
	v_and_b32_e32 v23, 0xff, v4
	v_or3_b32 v2, v2, 0, 0
	v_or3_b32 v3, v5, v3, v24
	s_delay_alu instid0(VALU_DEP_3)
	v_cmpx_eq_u16_e32 0, v23
	s_cbranch_execz .LBB1267_101
.LBB1267_99:                            ; =>This Inner Loop Header: Depth=1
	;;#ASMSTART
	global_load_dwordx4 v[2:5], v[21:22] off glc	
s_waitcnt vmcnt(0)
	;;#ASMEND
	v_and_b32_e32 v5, 0xff, v4
	s_delay_alu instid0(VALU_DEP_1) | instskip(SKIP_1) | instid1(SALU_CYCLE_1)
	v_cmp_ne_u16_e32 vcc_lo, 0, v5
	s_or_b32 s9, vcc_lo, s9
	s_and_not1_b32 exec_lo, exec_lo, s9
	s_cbranch_execnz .LBB1267_99
; %bb.100:
	s_or_b32 exec_lo, exec_lo, s9
.LBB1267_101:
	s_delay_alu instid0(SALU_CYCLE_1)
	s_or_b32 exec_lo, exec_lo, s8
	v_cmp_ne_u32_e32 vcc_lo, 31, v77
	v_lshlrev_b32_e64 v87, v77, -1
	v_add_nc_u32_e32 v91, 4, v77
	v_add_nc_u32_e32 v93, 8, v77
	;; [unrolled: 1-line block ×3, first 2 shown]
	v_add_co_ci_u32_e32 v5, vcc_lo, 0, v77, vcc_lo
	s_delay_alu instid0(VALU_DEP_1)
	v_lshlrev_b32_e32 v86, 2, v5
	ds_bpermute_b32 v21, v86, v3
	ds_bpermute_b32 v5, v86, v2
	s_waitcnt lgkmcnt(1)
	v_add_nc_u32_e32 v21, v21, v3
	v_and_b32_e32 v22, 0xff, v4
	s_waitcnt lgkmcnt(0)
	v_add_nc_u32_e32 v5, v5, v2
	s_delay_alu instid0(VALU_DEP_2) | instskip(SKIP_2) | instid1(VALU_DEP_2)
	v_cmp_eq_u16_e32 vcc_lo, 2, v22
	v_and_or_b32 v22, vcc_lo, v87, 0x80000000
	v_cmp_gt_u32_e32 vcc_lo, 30, v77
	v_ctz_i32_b32_e32 v22, v22
	v_cndmask_b32_e64 v23, 0, 1, vcc_lo
	s_delay_alu instid0(VALU_DEP_2) | instskip(NEXT) | instid1(VALU_DEP_2)
	v_cmp_lt_u32_e32 vcc_lo, v77, v22
	v_dual_cndmask_b32 v2, v2, v5 :: v_dual_lshlrev_b32 v23, 1, v23
	s_delay_alu instid0(VALU_DEP_1)
	v_add_lshl_u32 v88, v23, v77, 2
	v_cndmask_b32_e32 v3, v3, v21, vcc_lo
	v_cmp_gt_u32_e32 vcc_lo, 28, v77
	ds_bpermute_b32 v5, v88, v2
	ds_bpermute_b32 v21, v88, v3
	v_cndmask_b32_e64 v23, 0, 1, vcc_lo
	s_waitcnt lgkmcnt(1)
	v_add_nc_u32_e32 v5, v2, v5
	v_add_nc_u32_e32 v89, 2, v77
	s_waitcnt lgkmcnt(0)
	v_add_nc_u32_e32 v21, v3, v21
	s_delay_alu instid0(VALU_DEP_2) | instskip(SKIP_1) | instid1(VALU_DEP_3)
	v_cmp_gt_u32_e32 vcc_lo, v89, v22
	v_dual_cndmask_b32 v2, v5, v2 :: v_dual_lshlrev_b32 v23, 2, v23
	v_cndmask_b32_e32 v3, v21, v3, vcc_lo
	v_cmp_gt_u32_e32 vcc_lo, 24, v77
	s_delay_alu instid0(VALU_DEP_3)
	v_add_lshl_u32 v90, v23, v77, 2
	v_cndmask_b32_e64 v23, 0, 1, vcc_lo
	v_cmp_gt_u32_e32 vcc_lo, v91, v22
	ds_bpermute_b32 v5, v90, v2
	ds_bpermute_b32 v21, v90, v3
	v_lshlrev_b32_e32 v23, 3, v23
	s_delay_alu instid0(VALU_DEP_1) | instskip(SKIP_3) | instid1(VALU_DEP_1)
	v_add_lshl_u32 v92, v23, v77, 2
	s_waitcnt lgkmcnt(1)
	v_add_nc_u32_e32 v5, v2, v5
	s_waitcnt lgkmcnt(0)
	v_dual_cndmask_b32 v2, v5, v2 :: v_dual_add_nc_u32 v21, v3, v21
	s_delay_alu instid0(VALU_DEP_1)
	v_cndmask_b32_e32 v3, v21, v3, vcc_lo
	v_cmp_gt_u32_e32 vcc_lo, 16, v77
	ds_bpermute_b32 v5, v92, v2
	ds_bpermute_b32 v21, v92, v3
	v_cndmask_b32_e64 v23, 0, 1, vcc_lo
	v_cmp_gt_u32_e32 vcc_lo, v93, v22
	s_delay_alu instid0(VALU_DEP_2) | instskip(NEXT) | instid1(VALU_DEP_1)
	v_lshlrev_b32_e32 v23, 4, v23
	v_add_lshl_u32 v94, v23, v77, 2
	s_waitcnt lgkmcnt(1)
	v_add_nc_u32_e32 v5, v2, v5
	s_waitcnt lgkmcnt(0)
	s_delay_alu instid0(VALU_DEP_1) | instskip(NEXT) | instid1(VALU_DEP_1)
	v_dual_cndmask_b32 v2, v5, v2 :: v_dual_add_nc_u32 v21, v3, v21
	v_cndmask_b32_e32 v3, v21, v3, vcc_lo
	v_cmp_le_u32_e32 vcc_lo, v95, v22
	ds_bpermute_b32 v5, v94, v2
	ds_bpermute_b32 v21, v94, v3
	s_waitcnt lgkmcnt(1)
	v_cndmask_b32_e32 v5, 0, v5, vcc_lo
	s_waitcnt lgkmcnt(0)
	s_delay_alu instid0(VALU_DEP_1) | instskip(NEXT) | instid1(VALU_DEP_1)
	v_dual_cndmask_b32 v21, 0, v21 :: v_dual_add_nc_u32 v2, v5, v2
	v_add_nc_u32_e32 v3, v21, v3
	v_mov_b32_e32 v21, 0
	s_branch .LBB1267_103
.LBB1267_102:                           ;   in Loop: Header=BB1267_103 Depth=1
	s_or_b32 exec_lo, exec_lo, s8
	ds_bpermute_b32 v5, v86, v2
	ds_bpermute_b32 v24, v86, v3
	v_subrev_nc_u32_e32 v20, 32, v20
	s_waitcnt lgkmcnt(1)
	v_add_nc_u32_e32 v5, v5, v2
	v_and_b32_e32 v25, 0xff, v4
	s_waitcnt lgkmcnt(0)
	v_add_nc_u32_e32 v24, v24, v3
	s_delay_alu instid0(VALU_DEP_2) | instskip(SKIP_1) | instid1(VALU_DEP_1)
	v_cmp_eq_u16_e32 vcc_lo, 2, v25
	v_and_or_b32 v25, vcc_lo, v87, 0x80000000
	v_ctz_i32_b32_e32 v25, v25
	s_delay_alu instid0(VALU_DEP_1)
	v_cmp_lt_u32_e32 vcc_lo, v77, v25
	v_cndmask_b32_e32 v2, v2, v5, vcc_lo
	ds_bpermute_b32 v5, v88, v2
	s_waitcnt lgkmcnt(0)
	v_add_nc_u32_e32 v5, v2, v5
	v_cndmask_b32_e32 v3, v3, v24, vcc_lo
	v_cmp_gt_u32_e32 vcc_lo, v89, v25
	s_delay_alu instid0(VALU_DEP_3)
	v_cndmask_b32_e32 v2, v5, v2, vcc_lo
	ds_bpermute_b32 v24, v88, v3
	ds_bpermute_b32 v5, v90, v2
	s_waitcnt lgkmcnt(1)
	v_add_nc_u32_e32 v24, v3, v24
	s_waitcnt lgkmcnt(0)
	v_add_nc_u32_e32 v5, v2, v5
	s_delay_alu instid0(VALU_DEP_2) | instskip(SKIP_1) | instid1(VALU_DEP_3)
	v_cndmask_b32_e32 v3, v24, v3, vcc_lo
	v_cmp_gt_u32_e32 vcc_lo, v91, v25
	v_cndmask_b32_e32 v2, v5, v2, vcc_lo
	ds_bpermute_b32 v24, v90, v3
	ds_bpermute_b32 v5, v92, v2
	s_waitcnt lgkmcnt(1)
	v_add_nc_u32_e32 v24, v3, v24
	s_waitcnt lgkmcnt(0)
	v_add_nc_u32_e32 v5, v2, v5
	s_delay_alu instid0(VALU_DEP_2) | instskip(SKIP_1) | instid1(VALU_DEP_3)
	v_cndmask_b32_e32 v3, v24, v3, vcc_lo
	v_cmp_gt_u32_e32 vcc_lo, v93, v25
	v_cndmask_b32_e32 v2, v5, v2, vcc_lo
	ds_bpermute_b32 v24, v92, v3
	ds_bpermute_b32 v5, v94, v2
	s_waitcnt lgkmcnt(1)
	v_add_nc_u32_e32 v24, v3, v24
	s_delay_alu instid0(VALU_DEP_1) | instskip(SKIP_4) | instid1(VALU_DEP_1)
	v_cndmask_b32_e32 v3, v24, v3, vcc_lo
	v_cmp_le_u32_e32 vcc_lo, v95, v25
	ds_bpermute_b32 v24, v94, v3
	s_waitcnt lgkmcnt(1)
	v_cndmask_b32_e32 v5, 0, v5, vcc_lo
	v_add3_u32 v2, v2, v22, v5
	s_waitcnt lgkmcnt(0)
	v_cndmask_b32_e32 v24, 0, v24, vcc_lo
	s_delay_alu instid0(VALU_DEP_1)
	v_add3_u32 v3, v3, v23, v24
.LBB1267_103:                           ; =>This Loop Header: Depth=1
                                        ;     Child Loop BB1267_106 Depth 2
	s_delay_alu instid0(VALU_DEP_1) | instskip(SKIP_1) | instid1(VALU_DEP_2)
	v_dual_mov_b32 v23, v3 :: v_dual_and_b32 v4, 0xff, v4
	v_mov_b32_e32 v22, v2
	v_cmp_ne_u16_e32 vcc_lo, 2, v4
	v_cndmask_b32_e64 v4, 0, 1, vcc_lo
	;;#ASMSTART
	;;#ASMEND
	s_delay_alu instid0(VALU_DEP_1)
	v_cmp_ne_u32_e32 vcc_lo, 0, v4
	s_cmp_lg_u32 vcc_lo, exec_lo
	s_cbranch_scc1 .LBB1267_108
; %bb.104:                              ;   in Loop: Header=BB1267_103 Depth=1
	v_lshlrev_b64 v[2:3], 4, v[20:21]
	s_mov_b32 s8, exec_lo
	s_delay_alu instid0(VALU_DEP_1) | instskip(NEXT) | instid1(VALU_DEP_2)
	v_add_co_u32 v24, vcc_lo, s4, v2
	v_add_co_ci_u32_e32 v25, vcc_lo, s5, v3, vcc_lo
	;;#ASMSTART
	global_load_dwordx4 v[2:5], v[24:25] off glc	
s_waitcnt vmcnt(0)
	;;#ASMEND
	v_and_b32_e32 v5, 0xff, v3
	v_and_b32_e32 v96, 0xff00, v3
	v_or3_b32 v2, v2, 0, 0
	v_and_b32_e32 v97, 0xff000000, v3
	v_and_b32_e32 v3, 0xff0000, v3
	s_delay_alu instid0(VALU_DEP_4) | instskip(SKIP_2) | instid1(VALU_DEP_3)
	v_or3_b32 v5, 0, v5, v96
	v_and_b32_e32 v96, 0xff, v4
	v_or3_b32 v2, v2, 0, 0
	v_or3_b32 v3, v5, v3, v97
	s_delay_alu instid0(VALU_DEP_3)
	v_cmpx_eq_u16_e32 0, v96
	s_cbranch_execz .LBB1267_102
; %bb.105:                              ;   in Loop: Header=BB1267_103 Depth=1
	s_mov_b32 s9, 0
.LBB1267_106:                           ;   Parent Loop BB1267_103 Depth=1
                                        ; =>  This Inner Loop Header: Depth=2
	;;#ASMSTART
	global_load_dwordx4 v[2:5], v[24:25] off glc	
s_waitcnt vmcnt(0)
	;;#ASMEND
	v_and_b32_e32 v5, 0xff, v4
	s_delay_alu instid0(VALU_DEP_1) | instskip(SKIP_1) | instid1(SALU_CYCLE_1)
	v_cmp_ne_u16_e32 vcc_lo, 0, v5
	s_or_b32 s9, vcc_lo, s9
	s_and_not1_b32 exec_lo, exec_lo, s9
	s_cbranch_execnz .LBB1267_106
; %bb.107:                              ;   in Loop: Header=BB1267_103 Depth=1
	s_or_b32 exec_lo, exec_lo, s9
	s_branch .LBB1267_102
.LBB1267_108:                           ;   in Loop: Header=BB1267_103 Depth=1
                                        ; implicit-def: $vgpr4
                                        ; implicit-def: $vgpr2_vgpr3
	s_cbranch_execz .LBB1267_103
; %bb.109:
	s_and_saveexec_b32 s8, s2
	s_cbranch_execnz .LBB1267_352
; %bb.110:
	s_or_b32 exec_lo, exec_lo, s8
	s_and_saveexec_b32 s8, s2
	s_cbranch_execnz .LBB1267_353
.LBB1267_111:
	s_or_b32 exec_lo, exec_lo, s8
	v_cmp_eq_u32_e32 vcc_lo, 0, v0
	s_and_b32 exec_lo, exec_lo, vcc_lo
	s_cbranch_execz .LBB1267_113
.LBB1267_112:
	v_mov_b32_e32 v1, 0
	ds_store_b64 v1, v[22:23] offset:56
.LBB1267_113:
	s_or_b32 exec_lo, exec_lo, s6
	v_cmp_eq_u32_e32 vcc_lo, 0, v0
	v_mov_b32_e32 v1, 0
	s_waitcnt lgkmcnt(0)
	s_barrier
	buffer_gl0_inv
	v_add_nc_u32_e64 v3, 0x3400, 0
	ds_load_b64 v[20:21], v1 offset:56
	s_waitcnt lgkmcnt(0)
	s_barrier
	buffer_gl0_inv
	ds_load_2addr_b32 v[1:2], v3 offset1:2
	ds_load_2addr_b32 v[3:4], v3 offset0:4 offset1:6
	v_cndmask_b32_e64 v5, v84, v18, s2
	v_cndmask_b32_e64 v18, v85, v19, s2
	s_delay_alu instid0(VALU_DEP_2) | instskip(NEXT) | instid1(VALU_DEP_1)
	v_add_nc_u32_e32 v19, v20, v5
	v_dual_cndmask_b32 v20, v19, v20 :: v_dual_add_nc_u32 v5, v21, v18
	s_delay_alu instid0(VALU_DEP_1)
	v_cndmask_b32_e32 v5, v5, v21, vcc_lo
	s_branch .LBB1267_124
.LBB1267_114:
                                        ; implicit-def: $vgpr5
                                        ; implicit-def: $vgpr3
                                        ; implicit-def: $vgpr1
                                        ; implicit-def: $vgpr20_vgpr21
	s_and_b32 vcc_lo, exec_lo, s6
	s_cbranch_vccz .LBB1267_124
; %bb.115:
	s_waitcnt lgkmcnt(0)
	v_mov_b32_dpp v2, v83 row_shr:1 row_mask:0xf bank_mask:0xf
	v_cmp_lt_u32_e32 vcc_lo, 3, v81
	v_mov_b32_dpp v1, v82 row_shr:1 row_mask:0xf bank_mask:0xf
	s_delay_alu instid0(VALU_DEP_3) | instskip(NEXT) | instid1(VALU_DEP_1)
	v_add_nc_u32_e32 v2, v2, v83
	v_cndmask_b32_e64 v2, v2, v83, s1
	s_delay_alu instid0(VALU_DEP_1) | instskip(NEXT) | instid1(VALU_DEP_1)
	v_mov_b32_dpp v4, v2 row_shr:2 row_mask:0xf bank_mask:0xf
	v_add_nc_u32_e32 v4, v2, v4
	s_delay_alu instid0(VALU_DEP_1) | instskip(NEXT) | instid1(VALU_DEP_1)
	v_cndmask_b32_e64 v2, v2, v4, s0
	v_mov_b32_dpp v4, v2 row_shr:4 row_mask:0xf bank_mask:0xf
	s_delay_alu instid0(VALU_DEP_1) | instskip(NEXT) | instid1(VALU_DEP_1)
	v_add_nc_u32_e32 v4, v2, v4
	v_dual_cndmask_b32 v2, v2, v4 :: v_dual_add_nc_u32 v1, v1, v82
	s_delay_alu instid0(VALU_DEP_1) | instskip(NEXT) | instid1(VALU_DEP_2)
	v_cndmask_b32_e64 v1, v1, v82, s1
	v_mov_b32_dpp v4, v2 row_shr:8 row_mask:0xf bank_mask:0xf
	s_delay_alu instid0(VALU_DEP_2) | instskip(NEXT) | instid1(VALU_DEP_2)
	v_mov_b32_dpp v3, v1 row_shr:2 row_mask:0xf bank_mask:0xf
	v_add_nc_u32_e32 v4, v2, v4
	s_delay_alu instid0(VALU_DEP_2) | instskip(NEXT) | instid1(VALU_DEP_1)
	v_add_nc_u32_e32 v3, v1, v3
	v_cndmask_b32_e64 v1, v1, v3, s0
	s_mov_b32 s0, exec_lo
	s_delay_alu instid0(VALU_DEP_1) | instskip(NEXT) | instid1(VALU_DEP_1)
	v_mov_b32_dpp v3, v1 row_shr:4 row_mask:0xf bank_mask:0xf
	v_add_nc_u32_e32 v3, v1, v3
	s_delay_alu instid0(VALU_DEP_1) | instskip(SKIP_1) | instid1(VALU_DEP_2)
	v_cndmask_b32_e32 v1, v1, v3, vcc_lo
	v_cmp_lt_u32_e32 vcc_lo, 7, v81
	v_mov_b32_dpp v3, v1 row_shr:8 row_mask:0xf bank_mask:0xf
	s_delay_alu instid0(VALU_DEP_1) | instskip(NEXT) | instid1(VALU_DEP_1)
	v_dual_cndmask_b32 v2, v2, v4 :: v_dual_add_nc_u32 v3, v1, v3
	v_cndmask_b32_e32 v1, v1, v3, vcc_lo
	ds_swizzle_b32 v3, v2 offset:swizzle(BROADCAST,32,15)
	v_cmp_eq_u32_e32 vcc_lo, 0, v80
	ds_swizzle_b32 v4, v1 offset:swizzle(BROADCAST,32,15)
	s_waitcnt lgkmcnt(1)
	v_add_nc_u32_e32 v3, v2, v3
	s_waitcnt lgkmcnt(0)
	v_add_nc_u32_e32 v4, v1, v4
	s_delay_alu instid0(VALU_DEP_1)
	v_dual_cndmask_b32 v2, v3, v2 :: v_dual_cndmask_b32 v1, v4, v1
	v_cmpx_eq_u32_e64 v79, v0
	s_cbranch_execz .LBB1267_117
; %bb.116:
	v_lshlrev_b32_e32 v3, 3, v78
	ds_store_b64 v3, v[1:2]
.LBB1267_117:
	s_or_b32 exec_lo, exec_lo, s0
	s_delay_alu instid0(SALU_CYCLE_1)
	s_mov_b32 s0, exec_lo
	s_waitcnt lgkmcnt(0)
	s_barrier
	buffer_gl0_inv
	v_cmpx_gt_u32_e32 8, v0
	s_cbranch_execz .LBB1267_119
; %bb.118:
	v_lshlrev_b32_e32 v5, 3, v0
	ds_load_b64 v[3:4], v5
	s_waitcnt lgkmcnt(0)
	v_mov_b32_dpp v18, v3 row_shr:1 row_mask:0xf bank_mask:0xf
	v_mov_b32_dpp v19, v4 row_shr:1 row_mask:0xf bank_mask:0xf
	s_delay_alu instid0(VALU_DEP_2) | instskip(SKIP_1) | instid1(VALU_DEP_3)
	v_add_nc_u32_e32 v18, v18, v3
	v_and_b32_e32 v20, 7, v77
	v_add_nc_u32_e32 v19, v19, v4
	s_delay_alu instid0(VALU_DEP_2) | instskip(NEXT) | instid1(VALU_DEP_2)
	v_cmp_eq_u32_e32 vcc_lo, 0, v20
	v_dual_cndmask_b32 v4, v19, v4 :: v_dual_cndmask_b32 v3, v18, v3
	v_cmp_lt_u32_e32 vcc_lo, 1, v20
	s_delay_alu instid0(VALU_DEP_2) | instskip(NEXT) | instid1(VALU_DEP_3)
	v_mov_b32_dpp v19, v4 row_shr:2 row_mask:0xf bank_mask:0xf
	v_mov_b32_dpp v18, v3 row_shr:2 row_mask:0xf bank_mask:0xf
	s_delay_alu instid0(VALU_DEP_2) | instskip(NEXT) | instid1(VALU_DEP_2)
	v_add_nc_u32_e32 v19, v4, v19
	v_add_nc_u32_e32 v18, v3, v18
	s_delay_alu instid0(VALU_DEP_1) | instskip(SKIP_1) | instid1(VALU_DEP_2)
	v_dual_cndmask_b32 v4, v4, v19 :: v_dual_cndmask_b32 v3, v3, v18
	v_cmp_lt_u32_e32 vcc_lo, 3, v20
	v_mov_b32_dpp v19, v4 row_shr:4 row_mask:0xf bank_mask:0xf
	s_delay_alu instid0(VALU_DEP_3) | instskip(NEXT) | instid1(VALU_DEP_1)
	v_mov_b32_dpp v18, v3 row_shr:4 row_mask:0xf bank_mask:0xf
	v_dual_cndmask_b32 v19, 0, v19 :: v_dual_cndmask_b32 v18, 0, v18
	s_delay_alu instid0(VALU_DEP_1) | instskip(NEXT) | instid1(VALU_DEP_2)
	v_add_nc_u32_e32 v4, v19, v4
	v_add_nc_u32_e32 v3, v18, v3
	ds_store_b64 v5, v[3:4]
.LBB1267_119:
	s_or_b32 exec_lo, exec_lo, s0
	v_dual_mov_b32 v3, 0 :: v_dual_mov_b32 v18, 0
	v_mov_b32_e32 v19, 0
	s_mov_b32 s0, exec_lo
	s_waitcnt lgkmcnt(0)
	s_barrier
	buffer_gl0_inv
	v_cmpx_lt_u32_e32 31, v0
	s_cbranch_execz .LBB1267_121
; %bb.120:
	v_lshl_add_u32 v4, v78, 3, -8
	ds_load_b64 v[18:19], v4
.LBB1267_121:
	s_or_b32 exec_lo, exec_lo, s0
	v_add_nc_u32_e32 v4, -1, v77
	s_waitcnt lgkmcnt(0)
	v_add_nc_u32_e32 v20, v19, v2
	v_add_nc_u32_e32 v5, v18, v1
	ds_load_b64 v[1:2], v3 offset:56
	v_cmp_gt_i32_e32 vcc_lo, 0, v4
	v_cndmask_b32_e32 v4, v4, v77, vcc_lo
	v_cmp_eq_u32_e32 vcc_lo, 0, v0
	s_delay_alu instid0(VALU_DEP_2)
	v_lshlrev_b32_e32 v4, 2, v4
	ds_bpermute_b32 v5, v4, v5
	ds_bpermute_b32 v20, v4, v20
	s_waitcnt lgkmcnt(2)
	v_readfirstlane_b32 s1, v2
	s_and_saveexec_b32 s0, vcc_lo
	s_cbranch_execz .LBB1267_123
; %bb.122:
	s_mov_b32 s6, 0
	s_add_u32 s4, s4, 0x200
	s_addc_u32 s5, s5, 0
	s_and_b32 s7, s1, 0xff000000
	s_and_b32 s9, s1, 0xff0000
	s_mov_b32 s8, s6
	v_mov_b32_e32 v22, s5
	s_or_b64 s[8:9], s[8:9], s[6:7]
	s_and_b32 s7, s1, 0xff00
	v_dual_mov_b32 v4, 0 :: v_dual_mov_b32 v21, s4
	s_or_b64 s[8:9], s[8:9], s[6:7]
	s_and_b32 s7, s1, 0xff
	v_mov_b32_e32 v3, 2
	s_or_b64 s[6:7], s[8:9], s[6:7]
	s_delay_alu instid0(SALU_CYCLE_1)
	v_mov_b32_e32 v2, s7
	;;#ASMSTART
	global_store_dwordx4 v[21:22], v[1:4] off	
s_waitcnt vmcnt(0)
	;;#ASMEND
.LBB1267_123:
	s_or_b32 exec_lo, exec_lo, s0
	v_cmp_eq_u32_e64 s0, 0, v77
	v_dual_mov_b32 v3, 0 :: v_dual_mov_b32 v2, s1
	s_waitcnt lgkmcnt(0)
	s_barrier
	s_delay_alu instid0(VALU_DEP_2)
	v_cndmask_b32_e64 v4, v5, v18, s0
	v_cndmask_b32_e64 v5, v20, v19, s0
	buffer_gl0_inv
	v_cndmask_b32_e64 v20, v4, 0, vcc_lo
	v_cndmask_b32_e64 v5, v5, 0, vcc_lo
	v_mov_b32_e32 v4, 0
.LBB1267_124:
	v_and_b32_e32 v30, 1, v30
	v_and_b32_e32 v34, 1, v34
	;; [unrolled: 1-line block ×4, first 2 shown]
	s_waitcnt lgkmcnt(0)
	v_add_co_u32 v18, s0, s28, v3
	v_cmp_eq_u32_e32 vcc_lo, 1, v30
	v_add_nc_u32_e32 v22, v5, v76
	v_sub_nc_u32_e32 v5, v5, v4
	v_add_co_ci_u32_e64 v19, null, s29, 0, s0
	s_mov_b32 s2, -1
	s_delay_alu instid0(VALU_DEP_3) | instskip(SKIP_3) | instid1(VALU_DEP_3)
	v_add_nc_u32_e32 v24, v22, v72
	v_sub_nc_u32_e32 v22, v22, v4
	v_add_nc_u32_e32 v5, v5, v1
	v_sub_co_u32 v72, s0, s30, v1
	v_add_nc_u32_e32 v22, v22, v1
	v_add_nc_u32_e32 v21, v20, v75
	v_sub_nc_u32_e32 v20, v20, v3
	s_delay_alu instid0(VALU_DEP_2)
	v_add_nc_u32_e32 v23, v21, v71
	v_add_nc_u32_e32 v71, v24, v74
	v_lshlrev_b32_e32 v74, 1, v1
	v_sub_nc_u32_e32 v21, v21, v3
	v_add_nc_u32_e32 v75, v20, v5
	v_sub_nc_u32_e32 v24, v24, v4
	s_delay_alu instid0(VALU_DEP_4) | instskip(NEXT) | instid1(VALU_DEP_4)
	v_add3_u32 v28, v74, v2, v28
	v_add_nc_u32_e32 v76, v22, v21
	s_delay_alu instid0(VALU_DEP_3) | instskip(NEXT) | instid1(VALU_DEP_3)
	v_add_nc_u32_e32 v24, v24, v1
	v_sub_nc_u32_e32 v75, v28, v75
	s_delay_alu instid0(VALU_DEP_3) | instskip(NEXT) | instid1(VALU_DEP_1)
	v_sub_nc_u32_e32 v76, v28, v76
	v_dual_cndmask_b32 v5, v75, v5 :: v_dual_add_nc_u32 v30, 1, v76
	v_cmp_eq_u32_e32 vcc_lo, 1, v34
	s_delay_alu instid0(VALU_DEP_2) | instskip(SKIP_1) | instid1(VALU_DEP_4)
	v_cndmask_b32_e32 v22, v30, v22, vcc_lo
	v_cmp_eq_u32_e32 vcc_lo, 1, v29
	v_cndmask_b32_e32 v5, v5, v20, vcc_lo
	v_and_b32_e32 v20, 1, v36
	v_cmp_eq_u32_e32 vcc_lo, 1, v33
	s_delay_alu instid0(VALU_DEP_3) | instskip(SKIP_1) | instid1(VALU_DEP_4)
	v_lshlrev_b32_e32 v5, 2, v5
	v_cndmask_b32_e32 v21, v22, v21, vcc_lo
	v_cmp_eq_u32_e32 vcc_lo, 1, v20
	v_add_nc_u32_e32 v25, v23, v73
	v_sub_nc_u32_e32 v23, v23, v3
	v_and_b32_e32 v22, 1, v31
	v_sub_co_ci_u32_e64 v73, null, s31, 0, s0
	v_and_b32_e32 v31, 1, v32
	s_delay_alu instid0(VALU_DEP_4) | instskip(NEXT) | instid1(VALU_DEP_1)
	v_add_nc_u32_e32 v77, v24, v23
	v_sub_nc_u32_e32 v75, v28, v77
	s_delay_alu instid0(VALU_DEP_1) | instskip(NEXT) | instid1(VALU_DEP_1)
	v_add_nc_u32_e32 v29, 2, v75
	v_cndmask_b32_e32 v20, v29, v24, vcc_lo
	v_sub_nc_u32_e32 v24, v71, v4
	v_cmp_eq_u32_e32 vcc_lo, 1, v22
	v_add_nc_u32_e32 v69, v25, v69
	v_lshlrev_b32_e32 v29, 2, v21
	ds_store_b32 v5, v16
	ds_store_b32 v29, v17
	v_cndmask_b32_e32 v22, v20, v23, vcc_lo
	v_sub_nc_u32_e32 v23, v25, v3
	v_add_nc_u32_e32 v24, v24, v1
	v_add_co_u32 v20, vcc_lo, v72, v4
	s_delay_alu instid0(VALU_DEP_4) | instskip(SKIP_1) | instid1(VALU_DEP_4)
	v_lshlrev_b32_e32 v5, 2, v22
	v_and_b32_e32 v22, 1, v35
	v_add_nc_u32_e32 v25, v23, v24
	v_add_co_ci_u32_e32 v21, vcc_lo, 0, v73, vcc_lo
	ds_store_b32 v5, v14
	v_cmp_eq_u32_e32 vcc_lo, 1, v22
	v_sub_nc_u32_e32 v17, v28, v25
	v_sub_nc_u32_e32 v29, v69, v3
	v_add_nc_u32_e32 v67, v69, v67
	s_delay_alu instid0(VALU_DEP_3) | instskip(NEXT) | instid1(VALU_DEP_2)
	v_add_nc_u32_e32 v17, 3, v17
	v_sub_nc_u32_e32 v30, v67, v3
	s_delay_alu instid0(VALU_DEP_2) | instskip(SKIP_2) | instid1(VALU_DEP_3)
	v_cndmask_b32_e32 v17, v17, v24, vcc_lo
	v_cmp_eq_u32_e32 vcc_lo, 1, v31
	v_and_b32_e32 v24, 1, v39
	v_cndmask_b32_e32 v14, v17, v23, vcc_lo
	v_add_nc_u32_e32 v70, v71, v70
	v_and_b32_e32 v23, 1, v38
	s_delay_alu instid0(VALU_DEP_3) | instskip(NEXT) | instid1(VALU_DEP_3)
	v_lshlrev_b32_e32 v14, 2, v14
	v_add_nc_u32_e32 v68, v70, v68
	v_sub_nc_u32_e32 v16, v70, v4
	ds_store_b32 v14, v15
	v_sub_nc_u32_e32 v25, v68, v4
	v_add_nc_u32_e32 v16, v16, v1
	s_delay_alu instid0(VALU_DEP_2) | instskip(NEXT) | instid1(VALU_DEP_2)
	v_add_nc_u32_e32 v25, v25, v1
	v_add_nc_u32_e32 v32, v29, v16
	s_delay_alu instid0(VALU_DEP_2) | instskip(NEXT) | instid1(VALU_DEP_2)
	v_add_nc_u32_e32 v22, v30, v25
	v_sub_nc_u32_e32 v5, v28, v32
	s_delay_alu instid0(VALU_DEP_2) | instskip(SKIP_1) | instid1(VALU_DEP_3)
	v_sub_nc_u32_e32 v17, v28, v22
	v_and_b32_e32 v22, 1, v37
	v_add_nc_u32_e32 v5, 4, v5
	s_delay_alu instid0(VALU_DEP_3) | instskip(NEXT) | instid1(VALU_DEP_3)
	v_add_nc_u32_e32 v17, 5, v17
	v_cmp_eq_u32_e32 vcc_lo, 1, v22
	s_delay_alu instid0(VALU_DEP_3)
	v_cndmask_b32_e32 v5, v5, v16, vcc_lo
	v_cmp_eq_u32_e32 vcc_lo, 1, v24
	v_and_b32_e32 v16, 1, v41
	v_cndmask_b32_e32 v17, v17, v25, vcc_lo
	v_cmp_eq_u32_e32 vcc_lo, 1, v23
	v_cndmask_b32_e32 v5, v5, v29, vcc_lo
	s_delay_alu instid0(VALU_DEP_4) | instskip(SKIP_1) | instid1(VALU_DEP_3)
	v_cmp_eq_u32_e32 vcc_lo, 1, v16
	v_add_nc_u32_e32 v66, v68, v66
	v_dual_cndmask_b32 v16, v17, v30 :: v_dual_lshlrev_b32 v5, 2, v5
	s_delay_alu instid0(VALU_DEP_2) | instskip(SKIP_1) | instid1(VALU_DEP_3)
	v_sub_nc_u32_e32 v22, v66, v4
	v_add_nc_u32_e32 v62, v66, v62
	v_lshlrev_b32_e32 v16, 2, v16
	ds_store_b32 v5, v12
	ds_store_b32 v16, v13
	v_and_b32_e32 v12, 1, v40
	v_add_nc_u32_e32 v22, v22, v1
	v_add_nc_u32_e32 v64, v62, v64
	v_sub_nc_u32_e32 v17, v62, v4
	v_and_b32_e32 v16, 1, v43
	v_cmp_eq_u32_e32 vcc_lo, 1, v12
	v_add_nc_u32_e32 v65, v67, v65
	v_sub_nc_u32_e32 v15, v64, v4
	v_add_nc_u32_e32 v17, v17, v1
	s_delay_alu instid0(VALU_DEP_3) | instskip(NEXT) | instid1(VALU_DEP_3)
	v_sub_nc_u32_e32 v23, v65, v3
	v_add_nc_u32_e32 v15, v15, v1
	s_delay_alu instid0(VALU_DEP_2) | instskip(NEXT) | instid1(VALU_DEP_1)
	v_add_nc_u32_e32 v24, v23, v22
	v_sub_nc_u32_e32 v14, v28, v24
	v_and_b32_e32 v24, 1, v48
	s_delay_alu instid0(VALU_DEP_2) | instskip(SKIP_1) | instid1(VALU_DEP_2)
	v_add_nc_u32_e32 v13, 6, v14
	v_and_b32_e32 v14, 1, v42
	v_cndmask_b32_e32 v12, v13, v22, vcc_lo
	v_add_nc_u32_e32 v61, v65, v61
	s_delay_alu instid0(VALU_DEP_3) | instskip(SKIP_1) | instid1(VALU_DEP_3)
	v_cmp_eq_u32_e32 vcc_lo, 1, v14
	v_and_b32_e32 v22, 1, v44
	v_sub_nc_u32_e32 v25, v61, v3
	v_add_nc_u32_e32 v63, v61, v63
	v_cndmask_b32_e32 v12, v12, v23, vcc_lo
	v_cmp_eq_u32_e32 vcc_lo, 1, v16
	v_and_b32_e32 v23, 1, v46
	v_add_nc_u32_e32 v5, v25, v17
	v_sub_nc_u32_e32 v13, v63, v3
	v_lshlrev_b32_e32 v12, 2, v12
	v_add_nc_u32_e32 v59, v63, v59
	s_delay_alu instid0(VALU_DEP_4) | instskip(NEXT) | instid1(VALU_DEP_4)
	v_sub_nc_u32_e32 v5, v28, v5
	v_add_nc_u32_e32 v14, v13, v15
	s_delay_alu instid0(VALU_DEP_3) | instskip(NEXT) | instid1(VALU_DEP_3)
	v_add_nc_u32_e32 v57, v59, v57
	v_add_nc_u32_e32 v5, 7, v5
	s_delay_alu instid0(VALU_DEP_3) | instskip(NEXT) | instid1(VALU_DEP_3)
	v_sub_nc_u32_e32 v14, v28, v14
	v_add_nc_u32_e32 v55, v57, v55
	s_delay_alu instid0(VALU_DEP_3)
	v_cndmask_b32_e32 v5, v5, v17, vcc_lo
	v_cmp_eq_u32_e32 vcc_lo, 1, v22
	v_and_b32_e32 v17, 1, v45
	v_add_nc_u32_e32 v14, 8, v14
	v_sub_nc_u32_e32 v22, v59, v3
	v_add_nc_u32_e32 v53, v55, v53
	v_cndmask_b32_e32 v5, v5, v25, vcc_lo
	v_cmp_eq_u32_e32 vcc_lo, 1, v17
	v_sub_nc_u32_e32 v17, v55, v3
	v_and_b32_e32 v25, 1, v52
	s_delay_alu instid0(VALU_DEP_4)
	v_dual_cndmask_b32 v14, v14, v15 :: v_dual_lshlrev_b32 v5, 2, v5
	v_cmp_eq_u32_e32 vcc_lo, 1, v23
	v_add_nc_u32_e32 v60, v64, v60
	ds_store_b32 v12, v10
	ds_store_b32 v5, v11
	v_and_b32_e32 v11, 1, v49
	v_cndmask_b32_e32 v5, v14, v13, vcc_lo
	v_sub_nc_u32_e32 v16, v60, v4
	v_add_nc_u32_e32 v58, v60, v58
	v_and_b32_e32 v13, 1, v47
	s_delay_alu instid0(VALU_DEP_4) | instskip(NEXT) | instid1(VALU_DEP_4)
	v_lshlrev_b32_e32 v5, 2, v5
	v_add_nc_u32_e32 v16, v16, v1
	s_delay_alu instid0(VALU_DEP_4) | instskip(SKIP_2) | instid1(VALU_DEP_4)
	v_add_nc_u32_e32 v56, v58, v56
	v_sub_nc_u32_e32 v12, v58, v4
	v_cmp_eq_u32_e32 vcc_lo, 1, v13
	v_add_nc_u32_e32 v15, v22, v16
	s_delay_alu instid0(VALU_DEP_4) | instskip(NEXT) | instid1(VALU_DEP_4)
	v_sub_nc_u32_e32 v14, v56, v4
	v_add_nc_u32_e32 v12, v12, v1
	v_add_nc_u32_e32 v54, v56, v54
	s_delay_alu instid0(VALU_DEP_4) | instskip(SKIP_2) | instid1(VALU_DEP_4)
	v_sub_nc_u32_e32 v10, v28, v15
	v_sub_nc_u32_e32 v15, v57, v3
	v_add_nc_u32_e32 v14, v14, v1
	v_sub_nc_u32_e32 v23, v54, v4
	v_sub_nc_u32_e32 v3, v53, v3
	v_add_nc_u32_e32 v10, 9, v10
	v_add_nc_u32_e32 v13, v15, v12
	s_delay_alu instid0(VALU_DEP_2) | instskip(SKIP_2) | instid1(VALU_DEP_4)
	v_dual_cndmask_b32 v10, v10, v16 :: v_dual_add_nc_u32 v23, v23, v1
	v_add_nc_u32_e32 v16, v17, v14
	v_cmp_eq_u32_e32 vcc_lo, 1, v11
	v_sub_nc_u32_e32 v11, v28, v13
	v_and_b32_e32 v13, 1, v50
	s_delay_alu instid0(VALU_DEP_4) | instskip(NEXT) | instid1(VALU_DEP_3)
	v_sub_nc_u32_e32 v16, v28, v16
	v_dual_cndmask_b32 v10, v10, v22 :: v_dual_add_nc_u32 v11, 10, v11
	v_cmp_eq_u32_e32 vcc_lo, 1, v24
	v_add_nc_u32_e32 v22, v3, v23
	s_delay_alu instid0(VALU_DEP_4) | instskip(NEXT) | instid1(VALU_DEP_4)
	v_add_nc_u32_e32 v16, 11, v16
	v_dual_cndmask_b32 v11, v11, v12 :: v_dual_lshlrev_b32 v10, 2, v10
	v_cmp_eq_u32_e32 vcc_lo, 1, v25
	s_delay_alu instid0(VALU_DEP_4) | instskip(SKIP_3) | instid1(VALU_DEP_4)
	v_sub_nc_u32_e32 v22, v28, v22
	v_and_b32_e32 v12, 1, v51
	v_cndmask_b32_e32 v14, v16, v14, vcc_lo
	v_cmp_eq_u32_e32 vcc_lo, 1, v13
	v_dual_cndmask_b32 v11, v11, v15 :: v_dual_add_nc_u32 v16, 12, v22
	s_delay_alu instid0(VALU_DEP_4) | instskip(NEXT) | instid1(VALU_DEP_2)
	v_cmp_eq_u32_e32 vcc_lo, 1, v12
	v_cndmask_b32_e64 v13, v16, v23, s43
	s_delay_alu instid0(VALU_DEP_3) | instskip(NEXT) | instid1(VALU_DEP_2)
	v_dual_cndmask_b32 v12, v14, v17 :: v_dual_lshlrev_b32 v11, 2, v11
	v_cndmask_b32_e64 v3, v13, v3, s42
	s_delay_alu instid0(VALU_DEP_2)
	v_lshlrev_b32_e32 v12, 2, v12
	ds_store_b32 v5, v8
	ds_store_b32 v10, v9
	;; [unrolled: 1-line block ×4, first 2 shown]
	v_lshlrev_b32_e32 v3, 2, v3
	v_add_co_u32 v5, s0, v2, v74
	s_delay_alu instid0(VALU_DEP_1) | instskip(SKIP_4) | instid1(VALU_DEP_2)
	v_add_co_ci_u32_e64 v6, null, 0, 0, s0
	ds_store_b32 v3, v27
	v_add_co_u32 v3, vcc_lo, v5, v20
	v_add_co_ci_u32_e32 v5, vcc_lo, v6, v21, vcc_lo
	s_add_u32 s0, s34, s33
	v_add_co_u32 v3, vcc_lo, v3, v18
	s_delay_alu instid0(VALU_DEP_2) | instskip(SKIP_1) | instid1(VALU_DEP_2)
	v_add_co_ci_u32_e32 v5, vcc_lo, v5, v19, vcc_lo
	s_addc_u32 s1, s35, 0
	v_sub_co_u32 v3, vcc_lo, s0, v3
	s_delay_alu instid0(VALU_DEP_2)
	v_sub_co_ci_u32_e32 v9, vcc_lo, s1, v5, vcc_lo
	v_lshlrev_b64 v[5:6], 2, v[20:21]
	v_lshlrev_b64 v[7:8], 2, v[18:19]
	v_add_nc_u32_e32 v10, v1, v2
	s_add_u32 s1, s26, -4
	s_waitcnt lgkmcnt(0)
	s_barrier
	v_add_co_u32 v5, vcc_lo, s38, v5
	v_add_co_ci_u32_e32 v6, vcc_lo, s39, v6, vcc_lo
	v_cmp_ne_u32_e32 vcc_lo, 1, v26
	v_add_co_u32 v7, s0, s36, v7
	s_delay_alu instid0(VALU_DEP_1)
	v_add_co_ci_u32_e64 v8, s0, s37, v8, s0
	s_addc_u32 s0, s27, -1
	buffer_gl0_inv
	s_cbranch_vccz .LBB1267_128
; %bb.125:
	s_and_b32 vcc_lo, exec_lo, s2
	s_cbranch_vccnz .LBB1267_233
.LBB1267_126:
	v_cmp_eq_u32_e32 vcc_lo, 0, v0
	s_and_b32 s0, vcc_lo, s14
	s_delay_alu instid0(SALU_CYCLE_1)
	s_and_saveexec_b32 s1, s0
	s_cbranch_execnz .LBB1267_351
.LBB1267_127:
	s_nop 0
	s_sendmsg sendmsg(MSG_DEALLOC_VGPRS)
	s_endpgm
.LBB1267_128:
	s_mov_b32 s2, exec_lo
	v_cmpx_le_u32_e64 v1, v0
	s_xor_b32 s2, exec_lo, s2
	s_cbranch_execz .LBB1267_134
; %bb.129:
	s_mov_b32 s4, exec_lo
	v_cmpx_le_u32_e64 v10, v0
	s_xor_b32 s4, exec_lo, s4
	s_cbranch_execz .LBB1267_131
; %bb.130:
	v_lshlrev_b32_e32 v11, 2, v0
	ds_load_b32 v13, v11
	v_add_co_u32 v11, vcc_lo, v3, v0
	v_add_co_ci_u32_e32 v12, vcc_lo, 0, v9, vcc_lo
	s_delay_alu instid0(VALU_DEP_1) | instskip(NEXT) | instid1(VALU_DEP_1)
	v_lshlrev_b64 v[11:12], 2, v[11:12]
	v_sub_co_u32 v11, vcc_lo, s26, v11
	s_delay_alu instid0(VALU_DEP_2)
	v_sub_co_ci_u32_e32 v12, vcc_lo, s27, v12, vcc_lo
	s_waitcnt lgkmcnt(0)
	global_store_b32 v[11:12], v13, off offset:-4
.LBB1267_131:
	s_and_not1_saveexec_b32 s4, s4
	s_cbranch_execz .LBB1267_133
; %bb.132:
	v_lshlrev_b32_e32 v11, 2, v0
	v_readfirstlane_b32 s6, v5
	v_readfirstlane_b32 s7, v6
	ds_load_b32 v12, v11
	s_waitcnt lgkmcnt(0)
	global_store_b32 v11, v12, s[6:7]
.LBB1267_133:
	s_or_b32 exec_lo, exec_lo, s4
.LBB1267_134:
	s_and_not1_saveexec_b32 s2, s2
	s_cbranch_execz .LBB1267_136
; %bb.135:
	v_lshlrev_b32_e32 v11, 2, v0
	v_readfirstlane_b32 s4, v7
	v_readfirstlane_b32 s5, v8
	ds_load_b32 v12, v11
	s_waitcnt lgkmcnt(0)
	global_store_b32 v11, v12, s[4:5]
.LBB1267_136:
	s_or_b32 exec_lo, exec_lo, s2
	v_or_b32_e32 v11, 0x100, v0
	s_mov_b32 s2, exec_lo
	s_delay_alu instid0(VALU_DEP_1)
	v_cmpx_le_u32_e64 v1, v11
	s_xor_b32 s2, exec_lo, s2
	s_cbranch_execz .LBB1267_142
; %bb.137:
	s_mov_b32 s4, exec_lo
	v_cmpx_le_u32_e64 v10, v11
	s_xor_b32 s4, exec_lo, s4
	s_cbranch_execz .LBB1267_139
; %bb.138:
	v_lshlrev_b32_e32 v11, 2, v0
	ds_load_b32 v13, v11 offset:1024
	v_add_co_u32 v11, vcc_lo, v3, v0
	v_add_co_ci_u32_e32 v12, vcc_lo, 0, v9, vcc_lo
	s_delay_alu instid0(VALU_DEP_1) | instskip(NEXT) | instid1(VALU_DEP_1)
	v_lshlrev_b64 v[11:12], 2, v[11:12]
	v_sub_co_u32 v11, vcc_lo, s1, v11
	s_delay_alu instid0(VALU_DEP_2)
	v_sub_co_ci_u32_e32 v12, vcc_lo, s0, v12, vcc_lo
	s_waitcnt lgkmcnt(0)
	global_store_b32 v[11:12], v13, off offset:-1024
.LBB1267_139:
	s_and_not1_saveexec_b32 s4, s4
	s_cbranch_execz .LBB1267_141
; %bb.140:
	v_lshlrev_b32_e32 v11, 2, v0
	v_readfirstlane_b32 s6, v5
	v_readfirstlane_b32 s7, v6
	ds_load_b32 v12, v11 offset:1024
	s_waitcnt lgkmcnt(0)
	global_store_b32 v11, v12, s[6:7] offset:1024
.LBB1267_141:
	s_or_b32 exec_lo, exec_lo, s4
.LBB1267_142:
	s_and_not1_saveexec_b32 s2, s2
	s_cbranch_execz .LBB1267_144
; %bb.143:
	v_lshlrev_b32_e32 v11, 2, v0
	v_readfirstlane_b32 s4, v7
	v_readfirstlane_b32 s5, v8
	ds_load_b32 v12, v11 offset:1024
	s_waitcnt lgkmcnt(0)
	global_store_b32 v11, v12, s[4:5] offset:1024
.LBB1267_144:
	s_or_b32 exec_lo, exec_lo, s2
	v_or_b32_e32 v11, 0x200, v0
	s_mov_b32 s2, exec_lo
	s_delay_alu instid0(VALU_DEP_1)
	v_cmpx_le_u32_e64 v1, v11
	s_xor_b32 s2, exec_lo, s2
	s_cbranch_execz .LBB1267_150
; %bb.145:
	s_mov_b32 s4, exec_lo
	v_cmpx_le_u32_e64 v10, v11
	s_xor_b32 s4, exec_lo, s4
	s_cbranch_execz .LBB1267_147
; %bb.146:
	v_lshlrev_b32_e32 v11, 2, v0
	ds_load_b32 v13, v11 offset:2048
	v_add_co_u32 v11, vcc_lo, v3, v0
	v_add_co_ci_u32_e32 v12, vcc_lo, 0, v9, vcc_lo
	s_delay_alu instid0(VALU_DEP_1) | instskip(NEXT) | instid1(VALU_DEP_1)
	v_lshlrev_b64 v[11:12], 2, v[11:12]
	v_sub_co_u32 v11, vcc_lo, s1, v11
	s_delay_alu instid0(VALU_DEP_2)
	v_sub_co_ci_u32_e32 v12, vcc_lo, s0, v12, vcc_lo
	s_waitcnt lgkmcnt(0)
	global_store_b32 v[11:12], v13, off offset:-2048
.LBB1267_147:
	s_and_not1_saveexec_b32 s4, s4
	s_cbranch_execz .LBB1267_149
; %bb.148:
	v_lshlrev_b32_e32 v11, 2, v0
	v_readfirstlane_b32 s6, v5
	v_readfirstlane_b32 s7, v6
	ds_load_b32 v12, v11 offset:2048
	s_waitcnt lgkmcnt(0)
	global_store_b32 v11, v12, s[6:7] offset:2048
.LBB1267_149:
	s_or_b32 exec_lo, exec_lo, s4
.LBB1267_150:
	s_and_not1_saveexec_b32 s2, s2
	s_cbranch_execz .LBB1267_152
; %bb.151:
	v_lshlrev_b32_e32 v11, 2, v0
	v_readfirstlane_b32 s4, v7
	v_readfirstlane_b32 s5, v8
	ds_load_b32 v12, v11 offset:2048
	s_waitcnt lgkmcnt(0)
	global_store_b32 v11, v12, s[4:5] offset:2048
.LBB1267_152:
	;; [unrolled: 47-line block ×3, first 2 shown]
	s_or_b32 exec_lo, exec_lo, s2
	v_or_b32_e32 v11, 0x400, v0
	s_mov_b32 s2, exec_lo
	s_delay_alu instid0(VALU_DEP_1)
	v_cmpx_le_u32_e64 v1, v11
	s_xor_b32 s2, exec_lo, s2
	s_cbranch_execz .LBB1267_166
; %bb.161:
	s_mov_b32 s4, exec_lo
	v_cmpx_le_u32_e64 v10, v11
	s_xor_b32 s4, exec_lo, s4
	s_cbranch_execz .LBB1267_163
; %bb.162:
	v_lshlrev_b32_e32 v11, 2, v0
	ds_load_b32 v13, v11 offset:4096
	v_add_co_u32 v11, vcc_lo, v3, v0
	v_add_co_ci_u32_e32 v12, vcc_lo, 0, v9, vcc_lo
	s_delay_alu instid0(VALU_DEP_1) | instskip(NEXT) | instid1(VALU_DEP_1)
	v_lshlrev_b64 v[11:12], 2, v[11:12]
	v_sub_co_u32 v11, vcc_lo, s1, v11
	s_delay_alu instid0(VALU_DEP_2)
	v_sub_co_ci_u32_e32 v12, vcc_lo, s0, v12, vcc_lo
	s_waitcnt lgkmcnt(0)
	global_store_b32 v[11:12], v13, off offset:-4096
                                        ; implicit-def: $vgpr11
.LBB1267_163:
	s_and_not1_saveexec_b32 s4, s4
	s_cbranch_execz .LBB1267_165
; %bb.164:
	v_lshlrev_b32_e32 v12, 2, v0
	v_lshlrev_b32_e32 v11, 2, v11
	v_readfirstlane_b32 s6, v5
	v_readfirstlane_b32 s7, v6
	ds_load_b32 v12, v12 offset:4096
	s_waitcnt lgkmcnt(0)
	global_store_b32 v11, v12, s[6:7]
.LBB1267_165:
	s_or_b32 exec_lo, exec_lo, s4
                                        ; implicit-def: $vgpr11
.LBB1267_166:
	s_and_not1_saveexec_b32 s2, s2
	s_cbranch_execz .LBB1267_168
; %bb.167:
	v_lshlrev_b32_e32 v12, 2, v0
	v_lshlrev_b32_e32 v11, 2, v11
	v_readfirstlane_b32 s4, v7
	v_readfirstlane_b32 s5, v8
	ds_load_b32 v12, v12 offset:4096
	s_waitcnt lgkmcnt(0)
	global_store_b32 v11, v12, s[4:5]
.LBB1267_168:
	s_or_b32 exec_lo, exec_lo, s2
	v_or_b32_e32 v11, 0x500, v0
	s_mov_b32 s2, exec_lo
	s_delay_alu instid0(VALU_DEP_1)
	v_cmpx_le_u32_e64 v1, v11
	s_xor_b32 s2, exec_lo, s2
	s_cbranch_execz .LBB1267_174
; %bb.169:
	s_mov_b32 s4, exec_lo
	v_cmpx_le_u32_e64 v10, v11
	s_xor_b32 s4, exec_lo, s4
	s_cbranch_execz .LBB1267_171
; %bb.170:
	v_lshlrev_b32_e32 v12, 2, v0
	v_add_co_u32 v11, vcc_lo, v3, v11
	ds_load_b32 v13, v12 offset:5120
	v_add_co_ci_u32_e32 v12, vcc_lo, 0, v9, vcc_lo
	s_delay_alu instid0(VALU_DEP_1) | instskip(NEXT) | instid1(VALU_DEP_1)
	v_lshlrev_b64 v[11:12], 2, v[11:12]
	v_sub_co_u32 v11, vcc_lo, s1, v11
	s_delay_alu instid0(VALU_DEP_2)
	v_sub_co_ci_u32_e32 v12, vcc_lo, s0, v12, vcc_lo
	s_waitcnt lgkmcnt(0)
	global_store_b32 v[11:12], v13, off
                                        ; implicit-def: $vgpr11
.LBB1267_171:
	s_and_not1_saveexec_b32 s4, s4
	s_cbranch_execz .LBB1267_173
; %bb.172:
	v_lshlrev_b32_e32 v12, 2, v0
	v_lshlrev_b32_e32 v11, 2, v11
	v_readfirstlane_b32 s6, v5
	v_readfirstlane_b32 s7, v6
	ds_load_b32 v12, v12 offset:5120
	s_waitcnt lgkmcnt(0)
	global_store_b32 v11, v12, s[6:7]
.LBB1267_173:
	s_or_b32 exec_lo, exec_lo, s4
                                        ; implicit-def: $vgpr11
.LBB1267_174:
	s_and_not1_saveexec_b32 s2, s2
	s_cbranch_execz .LBB1267_176
; %bb.175:
	v_lshlrev_b32_e32 v12, 2, v0
	v_lshlrev_b32_e32 v11, 2, v11
	v_readfirstlane_b32 s4, v7
	v_readfirstlane_b32 s5, v8
	ds_load_b32 v12, v12 offset:5120
	s_waitcnt lgkmcnt(0)
	global_store_b32 v11, v12, s[4:5]
.LBB1267_176:
	s_or_b32 exec_lo, exec_lo, s2
	v_or_b32_e32 v11, 0x600, v0
	s_mov_b32 s2, exec_lo
	s_delay_alu instid0(VALU_DEP_1)
	v_cmpx_le_u32_e64 v1, v11
	s_xor_b32 s2, exec_lo, s2
	s_cbranch_execz .LBB1267_182
; %bb.177:
	s_mov_b32 s4, exec_lo
	v_cmpx_le_u32_e64 v10, v11
	s_xor_b32 s4, exec_lo, s4
	s_cbranch_execz .LBB1267_179
; %bb.178:
	v_lshlrev_b32_e32 v12, 2, v0
	v_add_co_u32 v11, vcc_lo, v3, v11
	ds_load_b32 v13, v12 offset:6144
	v_add_co_ci_u32_e32 v12, vcc_lo, 0, v9, vcc_lo
	s_delay_alu instid0(VALU_DEP_1) | instskip(NEXT) | instid1(VALU_DEP_1)
	v_lshlrev_b64 v[11:12], 2, v[11:12]
	v_sub_co_u32 v11, vcc_lo, s1, v11
	s_delay_alu instid0(VALU_DEP_2)
	v_sub_co_ci_u32_e32 v12, vcc_lo, s0, v12, vcc_lo
	s_waitcnt lgkmcnt(0)
	global_store_b32 v[11:12], v13, off
                                        ; implicit-def: $vgpr11
.LBB1267_179:
	s_and_not1_saveexec_b32 s4, s4
	s_cbranch_execz .LBB1267_181
; %bb.180:
	v_lshlrev_b32_e32 v12, 2, v0
	v_lshlrev_b32_e32 v11, 2, v11
	v_readfirstlane_b32 s6, v5
	v_readfirstlane_b32 s7, v6
	ds_load_b32 v12, v12 offset:6144
	s_waitcnt lgkmcnt(0)
	global_store_b32 v11, v12, s[6:7]
.LBB1267_181:
	s_or_b32 exec_lo, exec_lo, s4
                                        ; implicit-def: $vgpr11
.LBB1267_182:
	;; [unrolled: 51-line block ×8, first 2 shown]
	s_and_not1_saveexec_b32 s2, s2
	s_cbranch_execz .LBB1267_232
; %bb.231:
	v_lshlrev_b32_e32 v12, 2, v0
	v_lshlrev_b32_e32 v11, 2, v11
	v_readfirstlane_b32 s4, v7
	v_readfirstlane_b32 s5, v8
	ds_load_b32 v12, v12 offset:12288
	s_waitcnt lgkmcnt(0)
	global_store_b32 v11, v12, s[4:5]
.LBB1267_232:
	s_or_b32 exec_lo, exec_lo, s2
	s_branch .LBB1267_126
.LBB1267_233:
	s_mov_b32 s2, exec_lo
	v_cmpx_gt_u32_e64 s3, v0
	s_cbranch_execz .LBB1267_242
; %bb.234:
	s_mov_b32 s4, exec_lo
	v_cmpx_le_u32_e64 v1, v0
	s_xor_b32 s4, exec_lo, s4
	s_cbranch_execz .LBB1267_240
; %bb.235:
	s_mov_b32 s5, exec_lo
	v_cmpx_le_u32_e64 v10, v0
	s_xor_b32 s5, exec_lo, s5
	s_cbranch_execz .LBB1267_237
; %bb.236:
	v_lshlrev_b32_e32 v11, 2, v0
	ds_load_b32 v13, v11
	v_add_co_u32 v11, vcc_lo, v3, v0
	v_add_co_ci_u32_e32 v12, vcc_lo, 0, v9, vcc_lo
	s_delay_alu instid0(VALU_DEP_1) | instskip(NEXT) | instid1(VALU_DEP_1)
	v_lshlrev_b64 v[11:12], 2, v[11:12]
	v_sub_co_u32 v11, vcc_lo, s26, v11
	s_delay_alu instid0(VALU_DEP_2)
	v_sub_co_ci_u32_e32 v12, vcc_lo, s27, v12, vcc_lo
	s_waitcnt lgkmcnt(0)
	global_store_b32 v[11:12], v13, off offset:-4
.LBB1267_237:
	s_and_not1_saveexec_b32 s5, s5
	s_cbranch_execz .LBB1267_239
; %bb.238:
	v_lshlrev_b32_e32 v11, 2, v0
	v_readfirstlane_b32 s6, v5
	v_readfirstlane_b32 s7, v6
	ds_load_b32 v12, v11
	s_waitcnt lgkmcnt(0)
	global_store_b32 v11, v12, s[6:7]
.LBB1267_239:
	s_or_b32 exec_lo, exec_lo, s5
.LBB1267_240:
	s_and_not1_saveexec_b32 s4, s4
	s_cbranch_execz .LBB1267_242
; %bb.241:
	v_lshlrev_b32_e32 v11, 2, v0
	v_readfirstlane_b32 s4, v7
	v_readfirstlane_b32 s5, v8
	ds_load_b32 v12, v11
	s_waitcnt lgkmcnt(0)
	global_store_b32 v11, v12, s[4:5]
.LBB1267_242:
	s_or_b32 exec_lo, exec_lo, s2
	v_or_b32_e32 v11, 0x100, v0
	s_mov_b32 s2, exec_lo
	s_delay_alu instid0(VALU_DEP_1)
	v_cmpx_gt_u32_e64 s3, v11
	s_cbranch_execz .LBB1267_251
; %bb.243:
	s_mov_b32 s4, exec_lo
	v_cmpx_le_u32_e64 v1, v11
	s_xor_b32 s4, exec_lo, s4
	s_cbranch_execz .LBB1267_249
; %bb.244:
	s_mov_b32 s5, exec_lo
	v_cmpx_le_u32_e64 v10, v11
	s_xor_b32 s5, exec_lo, s5
	s_cbranch_execz .LBB1267_246
; %bb.245:
	v_lshlrev_b32_e32 v11, 2, v0
	ds_load_b32 v13, v11 offset:1024
	v_add_co_u32 v11, vcc_lo, v3, v0
	v_add_co_ci_u32_e32 v12, vcc_lo, 0, v9, vcc_lo
	s_delay_alu instid0(VALU_DEP_1) | instskip(NEXT) | instid1(VALU_DEP_1)
	v_lshlrev_b64 v[11:12], 2, v[11:12]
	v_sub_co_u32 v11, vcc_lo, s1, v11
	s_delay_alu instid0(VALU_DEP_2)
	v_sub_co_ci_u32_e32 v12, vcc_lo, s0, v12, vcc_lo
	s_waitcnt lgkmcnt(0)
	global_store_b32 v[11:12], v13, off offset:-1024
.LBB1267_246:
	s_and_not1_saveexec_b32 s5, s5
	s_cbranch_execz .LBB1267_248
; %bb.247:
	v_lshlrev_b32_e32 v11, 2, v0
	v_readfirstlane_b32 s6, v5
	v_readfirstlane_b32 s7, v6
	ds_load_b32 v12, v11 offset:1024
	s_waitcnt lgkmcnt(0)
	global_store_b32 v11, v12, s[6:7] offset:1024
.LBB1267_248:
	s_or_b32 exec_lo, exec_lo, s5
.LBB1267_249:
	s_and_not1_saveexec_b32 s4, s4
	s_cbranch_execz .LBB1267_251
; %bb.250:
	v_lshlrev_b32_e32 v11, 2, v0
	v_readfirstlane_b32 s4, v7
	v_readfirstlane_b32 s5, v8
	ds_load_b32 v12, v11 offset:1024
	s_waitcnt lgkmcnt(0)
	global_store_b32 v11, v12, s[4:5] offset:1024
.LBB1267_251:
	s_or_b32 exec_lo, exec_lo, s2
	v_or_b32_e32 v11, 0x200, v0
	s_mov_b32 s2, exec_lo
	s_delay_alu instid0(VALU_DEP_1)
	v_cmpx_gt_u32_e64 s3, v11
	s_cbranch_execz .LBB1267_260
; %bb.252:
	s_mov_b32 s4, exec_lo
	v_cmpx_le_u32_e64 v1, v11
	s_xor_b32 s4, exec_lo, s4
	s_cbranch_execz .LBB1267_258
; %bb.253:
	s_mov_b32 s5, exec_lo
	v_cmpx_le_u32_e64 v10, v11
	s_xor_b32 s5, exec_lo, s5
	s_cbranch_execz .LBB1267_255
; %bb.254:
	v_lshlrev_b32_e32 v11, 2, v0
	ds_load_b32 v13, v11 offset:2048
	v_add_co_u32 v11, vcc_lo, v3, v0
	v_add_co_ci_u32_e32 v12, vcc_lo, 0, v9, vcc_lo
	s_delay_alu instid0(VALU_DEP_1) | instskip(NEXT) | instid1(VALU_DEP_1)
	v_lshlrev_b64 v[11:12], 2, v[11:12]
	v_sub_co_u32 v11, vcc_lo, s1, v11
	s_delay_alu instid0(VALU_DEP_2)
	v_sub_co_ci_u32_e32 v12, vcc_lo, s0, v12, vcc_lo
	s_waitcnt lgkmcnt(0)
	global_store_b32 v[11:12], v13, off offset:-2048
.LBB1267_255:
	s_and_not1_saveexec_b32 s5, s5
	s_cbranch_execz .LBB1267_257
; %bb.256:
	v_lshlrev_b32_e32 v11, 2, v0
	v_readfirstlane_b32 s6, v5
	v_readfirstlane_b32 s7, v6
	ds_load_b32 v12, v11 offset:2048
	s_waitcnt lgkmcnt(0)
	global_store_b32 v11, v12, s[6:7] offset:2048
.LBB1267_257:
	s_or_b32 exec_lo, exec_lo, s5
.LBB1267_258:
	s_and_not1_saveexec_b32 s4, s4
	s_cbranch_execz .LBB1267_260
; %bb.259:
	v_lshlrev_b32_e32 v11, 2, v0
	v_readfirstlane_b32 s4, v7
	v_readfirstlane_b32 s5, v8
	ds_load_b32 v12, v11 offset:2048
	s_waitcnt lgkmcnt(0)
	global_store_b32 v11, v12, s[4:5] offset:2048
.LBB1267_260:
	;; [unrolled: 51-line block ×3, first 2 shown]
	s_or_b32 exec_lo, exec_lo, s2
	v_or_b32_e32 v11, 0x400, v0
	s_mov_b32 s2, exec_lo
	s_delay_alu instid0(VALU_DEP_1)
	v_cmpx_gt_u32_e64 s3, v11
	s_cbranch_execz .LBB1267_278
; %bb.270:
	s_mov_b32 s4, exec_lo
	v_cmpx_le_u32_e64 v1, v11
	s_xor_b32 s4, exec_lo, s4
	s_cbranch_execz .LBB1267_276
; %bb.271:
	s_mov_b32 s5, exec_lo
	v_cmpx_le_u32_e64 v10, v11
	s_xor_b32 s5, exec_lo, s5
	s_cbranch_execz .LBB1267_273
; %bb.272:
	v_lshlrev_b32_e32 v11, 2, v0
	ds_load_b32 v13, v11 offset:4096
	v_add_co_u32 v11, vcc_lo, v3, v0
	v_add_co_ci_u32_e32 v12, vcc_lo, 0, v9, vcc_lo
	s_delay_alu instid0(VALU_DEP_1) | instskip(NEXT) | instid1(VALU_DEP_1)
	v_lshlrev_b64 v[11:12], 2, v[11:12]
	v_sub_co_u32 v11, vcc_lo, s1, v11
	s_delay_alu instid0(VALU_DEP_2)
	v_sub_co_ci_u32_e32 v12, vcc_lo, s0, v12, vcc_lo
	s_waitcnt lgkmcnt(0)
	global_store_b32 v[11:12], v13, off offset:-4096
                                        ; implicit-def: $vgpr11
.LBB1267_273:
	s_and_not1_saveexec_b32 s5, s5
	s_cbranch_execz .LBB1267_275
; %bb.274:
	v_lshlrev_b32_e32 v12, 2, v0
	v_lshlrev_b32_e32 v11, 2, v11
	v_readfirstlane_b32 s6, v5
	v_readfirstlane_b32 s7, v6
	ds_load_b32 v12, v12 offset:4096
	s_waitcnt lgkmcnt(0)
	global_store_b32 v11, v12, s[6:7]
.LBB1267_275:
	s_or_b32 exec_lo, exec_lo, s5
                                        ; implicit-def: $vgpr11
.LBB1267_276:
	s_and_not1_saveexec_b32 s4, s4
	s_cbranch_execz .LBB1267_278
; %bb.277:
	v_lshlrev_b32_e32 v12, 2, v0
	v_lshlrev_b32_e32 v11, 2, v11
	v_readfirstlane_b32 s4, v7
	v_readfirstlane_b32 s5, v8
	ds_load_b32 v12, v12 offset:4096
	s_waitcnt lgkmcnt(0)
	global_store_b32 v11, v12, s[4:5]
.LBB1267_278:
	s_or_b32 exec_lo, exec_lo, s2
	v_or_b32_e32 v11, 0x500, v0
	s_mov_b32 s2, exec_lo
	s_delay_alu instid0(VALU_DEP_1)
	v_cmpx_gt_u32_e64 s3, v11
	s_cbranch_execz .LBB1267_287
; %bb.279:
	s_mov_b32 s4, exec_lo
	v_cmpx_le_u32_e64 v1, v11
	s_xor_b32 s4, exec_lo, s4
	s_cbranch_execz .LBB1267_285
; %bb.280:
	s_mov_b32 s5, exec_lo
	v_cmpx_le_u32_e64 v10, v11
	s_xor_b32 s5, exec_lo, s5
	s_cbranch_execz .LBB1267_282
; %bb.281:
	v_lshlrev_b32_e32 v12, 2, v0
	v_add_co_u32 v11, vcc_lo, v3, v11
	ds_load_b32 v13, v12 offset:5120
	v_add_co_ci_u32_e32 v12, vcc_lo, 0, v9, vcc_lo
	s_delay_alu instid0(VALU_DEP_1) | instskip(NEXT) | instid1(VALU_DEP_1)
	v_lshlrev_b64 v[11:12], 2, v[11:12]
	v_sub_co_u32 v11, vcc_lo, s1, v11
	s_delay_alu instid0(VALU_DEP_2)
	v_sub_co_ci_u32_e32 v12, vcc_lo, s0, v12, vcc_lo
	s_waitcnt lgkmcnt(0)
	global_store_b32 v[11:12], v13, off
                                        ; implicit-def: $vgpr11
.LBB1267_282:
	s_and_not1_saveexec_b32 s5, s5
	s_cbranch_execz .LBB1267_284
; %bb.283:
	v_lshlrev_b32_e32 v12, 2, v0
	v_lshlrev_b32_e32 v11, 2, v11
	v_readfirstlane_b32 s6, v5
	v_readfirstlane_b32 s7, v6
	ds_load_b32 v12, v12 offset:5120
	s_waitcnt lgkmcnt(0)
	global_store_b32 v11, v12, s[6:7]
.LBB1267_284:
	s_or_b32 exec_lo, exec_lo, s5
                                        ; implicit-def: $vgpr11
.LBB1267_285:
	s_and_not1_saveexec_b32 s4, s4
	s_cbranch_execz .LBB1267_287
; %bb.286:
	v_lshlrev_b32_e32 v12, 2, v0
	v_lshlrev_b32_e32 v11, 2, v11
	v_readfirstlane_b32 s4, v7
	v_readfirstlane_b32 s5, v8
	ds_load_b32 v12, v12 offset:5120
	s_waitcnt lgkmcnt(0)
	global_store_b32 v11, v12, s[4:5]
.LBB1267_287:
	s_or_b32 exec_lo, exec_lo, s2
	v_or_b32_e32 v11, 0x600, v0
	s_mov_b32 s2, exec_lo
	s_delay_alu instid0(VALU_DEP_1)
	v_cmpx_gt_u32_e64 s3, v11
	s_cbranch_execz .LBB1267_296
; %bb.288:
	s_mov_b32 s4, exec_lo
	v_cmpx_le_u32_e64 v1, v11
	s_xor_b32 s4, exec_lo, s4
	s_cbranch_execz .LBB1267_294
; %bb.289:
	s_mov_b32 s5, exec_lo
	v_cmpx_le_u32_e64 v10, v11
	s_xor_b32 s5, exec_lo, s5
	s_cbranch_execz .LBB1267_291
; %bb.290:
	v_lshlrev_b32_e32 v12, 2, v0
	v_add_co_u32 v11, vcc_lo, v3, v11
	ds_load_b32 v13, v12 offset:6144
	v_add_co_ci_u32_e32 v12, vcc_lo, 0, v9, vcc_lo
	s_delay_alu instid0(VALU_DEP_1) | instskip(NEXT) | instid1(VALU_DEP_1)
	v_lshlrev_b64 v[11:12], 2, v[11:12]
	v_sub_co_u32 v11, vcc_lo, s1, v11
	s_delay_alu instid0(VALU_DEP_2)
	v_sub_co_ci_u32_e32 v12, vcc_lo, s0, v12, vcc_lo
	s_waitcnt lgkmcnt(0)
	global_store_b32 v[11:12], v13, off
                                        ; implicit-def: $vgpr11
.LBB1267_291:
	s_and_not1_saveexec_b32 s5, s5
	s_cbranch_execz .LBB1267_293
; %bb.292:
	v_lshlrev_b32_e32 v12, 2, v0
	v_lshlrev_b32_e32 v11, 2, v11
	v_readfirstlane_b32 s6, v5
	v_readfirstlane_b32 s7, v6
	ds_load_b32 v12, v12 offset:6144
	s_waitcnt lgkmcnt(0)
	global_store_b32 v11, v12, s[6:7]
.LBB1267_293:
	s_or_b32 exec_lo, exec_lo, s5
                                        ; implicit-def: $vgpr11
.LBB1267_294:
	s_and_not1_saveexec_b32 s4, s4
	s_cbranch_execz .LBB1267_296
; %bb.295:
	v_lshlrev_b32_e32 v12, 2, v0
	v_lshlrev_b32_e32 v11, 2, v11
	v_readfirstlane_b32 s4, v7
	v_readfirstlane_b32 s5, v8
	ds_load_b32 v12, v12 offset:6144
	s_waitcnt lgkmcnt(0)
	global_store_b32 v11, v12, s[4:5]
.LBB1267_296:
	;; [unrolled: 55-line block ×7, first 2 shown]
	s_or_b32 exec_lo, exec_lo, s2
	v_or_b32_e32 v11, 0xc00, v0
	s_mov_b32 s2, exec_lo
	s_delay_alu instid0(VALU_DEP_1)
	v_cmpx_gt_u32_e64 s3, v11
	s_cbranch_execz .LBB1267_350
; %bb.342:
	s_mov_b32 s3, exec_lo
	v_cmpx_le_u32_e64 v1, v11
	s_xor_b32 s3, exec_lo, s3
	s_cbranch_execz .LBB1267_348
; %bb.343:
	s_mov_b32 s4, exec_lo
	v_cmpx_le_u32_e64 v10, v11
	s_xor_b32 s4, exec_lo, s4
	s_cbranch_execz .LBB1267_345
; %bb.344:
	v_lshlrev_b32_e32 v5, 2, v0
	ds_load_b32 v7, v5 offset:12288
	v_add_co_u32 v5, vcc_lo, v3, v11
	v_add_co_ci_u32_e32 v6, vcc_lo, 0, v9, vcc_lo
                                        ; implicit-def: $vgpr11
	s_delay_alu instid0(VALU_DEP_1) | instskip(NEXT) | instid1(VALU_DEP_1)
	v_lshlrev_b64 v[5:6], 2, v[5:6]
	v_sub_co_u32 v5, vcc_lo, s1, v5
	s_delay_alu instid0(VALU_DEP_2)
	v_sub_co_ci_u32_e32 v6, vcc_lo, s0, v6, vcc_lo
	s_waitcnt lgkmcnt(0)
	global_store_b32 v[5:6], v7, off
                                        ; implicit-def: $vgpr5_vgpr6
.LBB1267_345:
	s_and_not1_saveexec_b32 s0, s4
	s_cbranch_execz .LBB1267_347
; %bb.346:
	v_lshlrev_b32_e32 v3, 2, v0
	v_lshlrev_b32_e32 v7, 2, v11
	v_readfirstlane_b32 s4, v5
	v_readfirstlane_b32 s5, v6
	ds_load_b32 v3, v3 offset:12288
	s_waitcnt lgkmcnt(0)
	global_store_b32 v7, v3, s[4:5]
.LBB1267_347:
	s_or_b32 exec_lo, exec_lo, s0
                                        ; implicit-def: $vgpr11
                                        ; implicit-def: $vgpr7_vgpr8
.LBB1267_348:
	s_and_not1_saveexec_b32 s0, s3
	s_cbranch_execz .LBB1267_350
; %bb.349:
	v_lshlrev_b32_e32 v3, 2, v0
	v_lshlrev_b32_e32 v5, 2, v11
	v_readfirstlane_b32 s0, v7
	v_readfirstlane_b32 s1, v8
	ds_load_b32 v3, v3 offset:12288
	s_waitcnt lgkmcnt(0)
	global_store_b32 v5, v3, s[0:1]
.LBB1267_350:
	s_or_b32 exec_lo, exec_lo, s2
	v_cmp_eq_u32_e32 vcc_lo, 0, v0
	s_and_b32 s0, vcc_lo, s14
	s_delay_alu instid0(SALU_CYCLE_1)
	s_and_saveexec_b32 s1, s0
	s_cbranch_execz .LBB1267_127
.LBB1267_351:
	v_add_co_u32 v2, s0, s30, v2
	s_delay_alu instid0(VALU_DEP_1) | instskip(SKIP_2) | instid1(VALU_DEP_4)
	v_add_co_ci_u32_e64 v3, null, s31, 0, s0
	v_add_co_u32 v0, vcc_lo, v18, v1
	v_add_co_ci_u32_e32 v1, vcc_lo, 0, v19, vcc_lo
	v_add_co_u32 v2, vcc_lo, v2, v4
	v_mov_b32_e32 v5, 0
	v_add_co_ci_u32_e32 v3, vcc_lo, 0, v3, vcc_lo
	global_store_b128 v5, v[0:3], s[24:25]
	s_nop 0
	s_sendmsg sendmsg(MSG_DEALLOC_VGPRS)
	s_endpgm
.LBB1267_352:
	v_add_nc_u32_e32 v3, s7, v23
	s_add_i32 s10, s15, 32
	s_mov_b32 s11, 0
	v_dual_mov_b32 v5, 0 :: v_dual_add_nc_u32 v2, v22, v1
	s_lshl_b64 s[10:11], s[10:11], 4
	v_and_b32_e32 v20, 0xff0000, v3
	s_add_u32 s10, s4, s10
	s_addc_u32 s11, s5, s11
	v_and_b32_e32 v4, 0xff000000, v3
	s_delay_alu instid0(VALU_DEP_1) | instskip(SKIP_2) | instid1(VALU_DEP_1)
	v_or_b32_e32 v20, v20, v4
	v_dual_mov_b32 v4, 2 :: v_dual_and_b32 v21, 0xff00, v3
	v_and_b32_e32 v3, 0xff, v3
	v_or3_b32 v3, v20, v21, v3
	v_dual_mov_b32 v21, s11 :: v_dual_mov_b32 v20, s10
	;;#ASMSTART
	global_store_dwordx4 v[20:21], v[2:5] off	
s_waitcnt vmcnt(0)
	;;#ASMEND
	s_or_b32 exec_lo, exec_lo, s8
	s_and_saveexec_b32 s8, s2
	s_cbranch_execz .LBB1267_111
.LBB1267_353:
	v_mov_b32_e32 v2, s7
	v_add_nc_u32_e64 v3, 0x3400, 0
	ds_store_2addr_b32 v3, v1, v2 offset1:2
	ds_store_2addr_b32 v3, v22, v23 offset0:4 offset1:6
	s_or_b32 exec_lo, exec_lo, s8
	v_cmp_eq_u32_e32 vcc_lo, 0, v0
	s_and_b32 exec_lo, exec_lo, vcc_lo
	s_cbranch_execnz .LBB1267_112
	s_branch .LBB1267_113
	.section	.rodata,"a",@progbits
	.p2align	6, 0x0
	.amdhsa_kernel _ZN7rocprim17ROCPRIM_400000_NS6detail17trampoline_kernelINS0_13select_configILj256ELj13ELNS0_17block_load_methodE3ELS4_3ELS4_3ELNS0_20block_scan_algorithmE0ELj4294967295EEENS1_25partition_config_selectorILNS1_17partition_subalgoE4EjNS0_10empty_typeEbEEZZNS1_14partition_implILS8_4ELb0ES6_15HIP_vector_typeIjLj2EENS0_17counting_iteratorIjlEEPS9_SG_NS0_5tupleIJPjSI_NS0_16reverse_iteratorISI_EEEEENSH_IJSG_SG_SG_EEES9_SI_JZNS1_25segmented_radix_sort_implINS0_14default_configELb1EPKfPfPKlPlN2at6native12_GLOBAL__N_18offset_tEEE10hipError_tPvRmT1_PNSt15iterator_traitsIS12_E10value_typeET2_T3_PNS13_IS18_E10value_typeET4_jRbjT5_S1E_jjP12ihipStream_tbEUljE_ZNSN_ISO_Lb1ESQ_SR_ST_SU_SY_EESZ_S10_S11_S12_S16_S17_S18_S1B_S1C_jS1D_jS1E_S1E_jjS1G_bEUljE0_EEESZ_S10_S11_S18_S1C_S1E_T6_T7_T9_mT8_S1G_bDpT10_ENKUlT_T0_E_clISt17integral_constantIbLb0EES1U_EEDaS1P_S1Q_EUlS1P_E_NS1_11comp_targetILNS1_3genE9ELNS1_11target_archE1100ELNS1_3gpuE3ELNS1_3repE0EEENS1_30default_config_static_selectorELNS0_4arch9wavefront6targetE0EEEvS12_
		.amdhsa_group_segment_fixed_size 13340
		.amdhsa_private_segment_fixed_size 0
		.amdhsa_kernarg_size 176
		.amdhsa_user_sgpr_count 15
		.amdhsa_user_sgpr_dispatch_ptr 0
		.amdhsa_user_sgpr_queue_ptr 0
		.amdhsa_user_sgpr_kernarg_segment_ptr 1
		.amdhsa_user_sgpr_dispatch_id 0
		.amdhsa_user_sgpr_private_segment_size 0
		.amdhsa_wavefront_size32 1
		.amdhsa_uses_dynamic_stack 0
		.amdhsa_enable_private_segment 0
		.amdhsa_system_sgpr_workgroup_id_x 1
		.amdhsa_system_sgpr_workgroup_id_y 0
		.amdhsa_system_sgpr_workgroup_id_z 0
		.amdhsa_system_sgpr_workgroup_info 0
		.amdhsa_system_vgpr_workitem_id 0
		.amdhsa_next_free_vgpr 98
		.amdhsa_next_free_sgpr 59
		.amdhsa_reserve_vcc 1
		.amdhsa_float_round_mode_32 0
		.amdhsa_float_round_mode_16_64 0
		.amdhsa_float_denorm_mode_32 3
		.amdhsa_float_denorm_mode_16_64 3
		.amdhsa_dx10_clamp 1
		.amdhsa_ieee_mode 1
		.amdhsa_fp16_overflow 0
		.amdhsa_workgroup_processor_mode 1
		.amdhsa_memory_ordered 1
		.amdhsa_forward_progress 0
		.amdhsa_shared_vgpr_count 0
		.amdhsa_exception_fp_ieee_invalid_op 0
		.amdhsa_exception_fp_denorm_src 0
		.amdhsa_exception_fp_ieee_div_zero 0
		.amdhsa_exception_fp_ieee_overflow 0
		.amdhsa_exception_fp_ieee_underflow 0
		.amdhsa_exception_fp_ieee_inexact 0
		.amdhsa_exception_int_div_zero 0
	.end_amdhsa_kernel
	.section	.text._ZN7rocprim17ROCPRIM_400000_NS6detail17trampoline_kernelINS0_13select_configILj256ELj13ELNS0_17block_load_methodE3ELS4_3ELS4_3ELNS0_20block_scan_algorithmE0ELj4294967295EEENS1_25partition_config_selectorILNS1_17partition_subalgoE4EjNS0_10empty_typeEbEEZZNS1_14partition_implILS8_4ELb0ES6_15HIP_vector_typeIjLj2EENS0_17counting_iteratorIjlEEPS9_SG_NS0_5tupleIJPjSI_NS0_16reverse_iteratorISI_EEEEENSH_IJSG_SG_SG_EEES9_SI_JZNS1_25segmented_radix_sort_implINS0_14default_configELb1EPKfPfPKlPlN2at6native12_GLOBAL__N_18offset_tEEE10hipError_tPvRmT1_PNSt15iterator_traitsIS12_E10value_typeET2_T3_PNS13_IS18_E10value_typeET4_jRbjT5_S1E_jjP12ihipStream_tbEUljE_ZNSN_ISO_Lb1ESQ_SR_ST_SU_SY_EESZ_S10_S11_S12_S16_S17_S18_S1B_S1C_jS1D_jS1E_S1E_jjS1G_bEUljE0_EEESZ_S10_S11_S18_S1C_S1E_T6_T7_T9_mT8_S1G_bDpT10_ENKUlT_T0_E_clISt17integral_constantIbLb0EES1U_EEDaS1P_S1Q_EUlS1P_E_NS1_11comp_targetILNS1_3genE9ELNS1_11target_archE1100ELNS1_3gpuE3ELNS1_3repE0EEENS1_30default_config_static_selectorELNS0_4arch9wavefront6targetE0EEEvS12_,"axG",@progbits,_ZN7rocprim17ROCPRIM_400000_NS6detail17trampoline_kernelINS0_13select_configILj256ELj13ELNS0_17block_load_methodE3ELS4_3ELS4_3ELNS0_20block_scan_algorithmE0ELj4294967295EEENS1_25partition_config_selectorILNS1_17partition_subalgoE4EjNS0_10empty_typeEbEEZZNS1_14partition_implILS8_4ELb0ES6_15HIP_vector_typeIjLj2EENS0_17counting_iteratorIjlEEPS9_SG_NS0_5tupleIJPjSI_NS0_16reverse_iteratorISI_EEEEENSH_IJSG_SG_SG_EEES9_SI_JZNS1_25segmented_radix_sort_implINS0_14default_configELb1EPKfPfPKlPlN2at6native12_GLOBAL__N_18offset_tEEE10hipError_tPvRmT1_PNSt15iterator_traitsIS12_E10value_typeET2_T3_PNS13_IS18_E10value_typeET4_jRbjT5_S1E_jjP12ihipStream_tbEUljE_ZNSN_ISO_Lb1ESQ_SR_ST_SU_SY_EESZ_S10_S11_S12_S16_S17_S18_S1B_S1C_jS1D_jS1E_S1E_jjS1G_bEUljE0_EEESZ_S10_S11_S18_S1C_S1E_T6_T7_T9_mT8_S1G_bDpT10_ENKUlT_T0_E_clISt17integral_constantIbLb0EES1U_EEDaS1P_S1Q_EUlS1P_E_NS1_11comp_targetILNS1_3genE9ELNS1_11target_archE1100ELNS1_3gpuE3ELNS1_3repE0EEENS1_30default_config_static_selectorELNS0_4arch9wavefront6targetE0EEEvS12_,comdat
.Lfunc_end1267:
	.size	_ZN7rocprim17ROCPRIM_400000_NS6detail17trampoline_kernelINS0_13select_configILj256ELj13ELNS0_17block_load_methodE3ELS4_3ELS4_3ELNS0_20block_scan_algorithmE0ELj4294967295EEENS1_25partition_config_selectorILNS1_17partition_subalgoE4EjNS0_10empty_typeEbEEZZNS1_14partition_implILS8_4ELb0ES6_15HIP_vector_typeIjLj2EENS0_17counting_iteratorIjlEEPS9_SG_NS0_5tupleIJPjSI_NS0_16reverse_iteratorISI_EEEEENSH_IJSG_SG_SG_EEES9_SI_JZNS1_25segmented_radix_sort_implINS0_14default_configELb1EPKfPfPKlPlN2at6native12_GLOBAL__N_18offset_tEEE10hipError_tPvRmT1_PNSt15iterator_traitsIS12_E10value_typeET2_T3_PNS13_IS18_E10value_typeET4_jRbjT5_S1E_jjP12ihipStream_tbEUljE_ZNSN_ISO_Lb1ESQ_SR_ST_SU_SY_EESZ_S10_S11_S12_S16_S17_S18_S1B_S1C_jS1D_jS1E_S1E_jjS1G_bEUljE0_EEESZ_S10_S11_S18_S1C_S1E_T6_T7_T9_mT8_S1G_bDpT10_ENKUlT_T0_E_clISt17integral_constantIbLb0EES1U_EEDaS1P_S1Q_EUlS1P_E_NS1_11comp_targetILNS1_3genE9ELNS1_11target_archE1100ELNS1_3gpuE3ELNS1_3repE0EEENS1_30default_config_static_selectorELNS0_4arch9wavefront6targetE0EEEvS12_, .Lfunc_end1267-_ZN7rocprim17ROCPRIM_400000_NS6detail17trampoline_kernelINS0_13select_configILj256ELj13ELNS0_17block_load_methodE3ELS4_3ELS4_3ELNS0_20block_scan_algorithmE0ELj4294967295EEENS1_25partition_config_selectorILNS1_17partition_subalgoE4EjNS0_10empty_typeEbEEZZNS1_14partition_implILS8_4ELb0ES6_15HIP_vector_typeIjLj2EENS0_17counting_iteratorIjlEEPS9_SG_NS0_5tupleIJPjSI_NS0_16reverse_iteratorISI_EEEEENSH_IJSG_SG_SG_EEES9_SI_JZNS1_25segmented_radix_sort_implINS0_14default_configELb1EPKfPfPKlPlN2at6native12_GLOBAL__N_18offset_tEEE10hipError_tPvRmT1_PNSt15iterator_traitsIS12_E10value_typeET2_T3_PNS13_IS18_E10value_typeET4_jRbjT5_S1E_jjP12ihipStream_tbEUljE_ZNSN_ISO_Lb1ESQ_SR_ST_SU_SY_EESZ_S10_S11_S12_S16_S17_S18_S1B_S1C_jS1D_jS1E_S1E_jjS1G_bEUljE0_EEESZ_S10_S11_S18_S1C_S1E_T6_T7_T9_mT8_S1G_bDpT10_ENKUlT_T0_E_clISt17integral_constantIbLb0EES1U_EEDaS1P_S1Q_EUlS1P_E_NS1_11comp_targetILNS1_3genE9ELNS1_11target_archE1100ELNS1_3gpuE3ELNS1_3repE0EEENS1_30default_config_static_selectorELNS0_4arch9wavefront6targetE0EEEvS12_
                                        ; -- End function
	.section	.AMDGPU.csdata,"",@progbits
; Kernel info:
; codeLenInByte = 14984
; NumSgprs: 61
; NumVgprs: 98
; ScratchSize: 0
; MemoryBound: 0
; FloatMode: 240
; IeeeMode: 1
; LDSByteSize: 13340 bytes/workgroup (compile time only)
; SGPRBlocks: 7
; VGPRBlocks: 12
; NumSGPRsForWavesPerEU: 61
; NumVGPRsForWavesPerEU: 98
; Occupancy: 12
; WaveLimiterHint : 1
; COMPUTE_PGM_RSRC2:SCRATCH_EN: 0
; COMPUTE_PGM_RSRC2:USER_SGPR: 15
; COMPUTE_PGM_RSRC2:TRAP_HANDLER: 0
; COMPUTE_PGM_RSRC2:TGID_X_EN: 1
; COMPUTE_PGM_RSRC2:TGID_Y_EN: 0
; COMPUTE_PGM_RSRC2:TGID_Z_EN: 0
; COMPUTE_PGM_RSRC2:TIDIG_COMP_CNT: 0
	.section	.text._ZN7rocprim17ROCPRIM_400000_NS6detail17trampoline_kernelINS0_13select_configILj256ELj13ELNS0_17block_load_methodE3ELS4_3ELS4_3ELNS0_20block_scan_algorithmE0ELj4294967295EEENS1_25partition_config_selectorILNS1_17partition_subalgoE4EjNS0_10empty_typeEbEEZZNS1_14partition_implILS8_4ELb0ES6_15HIP_vector_typeIjLj2EENS0_17counting_iteratorIjlEEPS9_SG_NS0_5tupleIJPjSI_NS0_16reverse_iteratorISI_EEEEENSH_IJSG_SG_SG_EEES9_SI_JZNS1_25segmented_radix_sort_implINS0_14default_configELb1EPKfPfPKlPlN2at6native12_GLOBAL__N_18offset_tEEE10hipError_tPvRmT1_PNSt15iterator_traitsIS12_E10value_typeET2_T3_PNS13_IS18_E10value_typeET4_jRbjT5_S1E_jjP12ihipStream_tbEUljE_ZNSN_ISO_Lb1ESQ_SR_ST_SU_SY_EESZ_S10_S11_S12_S16_S17_S18_S1B_S1C_jS1D_jS1E_S1E_jjS1G_bEUljE0_EEESZ_S10_S11_S18_S1C_S1E_T6_T7_T9_mT8_S1G_bDpT10_ENKUlT_T0_E_clISt17integral_constantIbLb0EES1U_EEDaS1P_S1Q_EUlS1P_E_NS1_11comp_targetILNS1_3genE8ELNS1_11target_archE1030ELNS1_3gpuE2ELNS1_3repE0EEENS1_30default_config_static_selectorELNS0_4arch9wavefront6targetE0EEEvS12_,"axG",@progbits,_ZN7rocprim17ROCPRIM_400000_NS6detail17trampoline_kernelINS0_13select_configILj256ELj13ELNS0_17block_load_methodE3ELS4_3ELS4_3ELNS0_20block_scan_algorithmE0ELj4294967295EEENS1_25partition_config_selectorILNS1_17partition_subalgoE4EjNS0_10empty_typeEbEEZZNS1_14partition_implILS8_4ELb0ES6_15HIP_vector_typeIjLj2EENS0_17counting_iteratorIjlEEPS9_SG_NS0_5tupleIJPjSI_NS0_16reverse_iteratorISI_EEEEENSH_IJSG_SG_SG_EEES9_SI_JZNS1_25segmented_radix_sort_implINS0_14default_configELb1EPKfPfPKlPlN2at6native12_GLOBAL__N_18offset_tEEE10hipError_tPvRmT1_PNSt15iterator_traitsIS12_E10value_typeET2_T3_PNS13_IS18_E10value_typeET4_jRbjT5_S1E_jjP12ihipStream_tbEUljE_ZNSN_ISO_Lb1ESQ_SR_ST_SU_SY_EESZ_S10_S11_S12_S16_S17_S18_S1B_S1C_jS1D_jS1E_S1E_jjS1G_bEUljE0_EEESZ_S10_S11_S18_S1C_S1E_T6_T7_T9_mT8_S1G_bDpT10_ENKUlT_T0_E_clISt17integral_constantIbLb0EES1U_EEDaS1P_S1Q_EUlS1P_E_NS1_11comp_targetILNS1_3genE8ELNS1_11target_archE1030ELNS1_3gpuE2ELNS1_3repE0EEENS1_30default_config_static_selectorELNS0_4arch9wavefront6targetE0EEEvS12_,comdat
	.globl	_ZN7rocprim17ROCPRIM_400000_NS6detail17trampoline_kernelINS0_13select_configILj256ELj13ELNS0_17block_load_methodE3ELS4_3ELS4_3ELNS0_20block_scan_algorithmE0ELj4294967295EEENS1_25partition_config_selectorILNS1_17partition_subalgoE4EjNS0_10empty_typeEbEEZZNS1_14partition_implILS8_4ELb0ES6_15HIP_vector_typeIjLj2EENS0_17counting_iteratorIjlEEPS9_SG_NS0_5tupleIJPjSI_NS0_16reverse_iteratorISI_EEEEENSH_IJSG_SG_SG_EEES9_SI_JZNS1_25segmented_radix_sort_implINS0_14default_configELb1EPKfPfPKlPlN2at6native12_GLOBAL__N_18offset_tEEE10hipError_tPvRmT1_PNSt15iterator_traitsIS12_E10value_typeET2_T3_PNS13_IS18_E10value_typeET4_jRbjT5_S1E_jjP12ihipStream_tbEUljE_ZNSN_ISO_Lb1ESQ_SR_ST_SU_SY_EESZ_S10_S11_S12_S16_S17_S18_S1B_S1C_jS1D_jS1E_S1E_jjS1G_bEUljE0_EEESZ_S10_S11_S18_S1C_S1E_T6_T7_T9_mT8_S1G_bDpT10_ENKUlT_T0_E_clISt17integral_constantIbLb0EES1U_EEDaS1P_S1Q_EUlS1P_E_NS1_11comp_targetILNS1_3genE8ELNS1_11target_archE1030ELNS1_3gpuE2ELNS1_3repE0EEENS1_30default_config_static_selectorELNS0_4arch9wavefront6targetE0EEEvS12_ ; -- Begin function _ZN7rocprim17ROCPRIM_400000_NS6detail17trampoline_kernelINS0_13select_configILj256ELj13ELNS0_17block_load_methodE3ELS4_3ELS4_3ELNS0_20block_scan_algorithmE0ELj4294967295EEENS1_25partition_config_selectorILNS1_17partition_subalgoE4EjNS0_10empty_typeEbEEZZNS1_14partition_implILS8_4ELb0ES6_15HIP_vector_typeIjLj2EENS0_17counting_iteratorIjlEEPS9_SG_NS0_5tupleIJPjSI_NS0_16reverse_iteratorISI_EEEEENSH_IJSG_SG_SG_EEES9_SI_JZNS1_25segmented_radix_sort_implINS0_14default_configELb1EPKfPfPKlPlN2at6native12_GLOBAL__N_18offset_tEEE10hipError_tPvRmT1_PNSt15iterator_traitsIS12_E10value_typeET2_T3_PNS13_IS18_E10value_typeET4_jRbjT5_S1E_jjP12ihipStream_tbEUljE_ZNSN_ISO_Lb1ESQ_SR_ST_SU_SY_EESZ_S10_S11_S12_S16_S17_S18_S1B_S1C_jS1D_jS1E_S1E_jjS1G_bEUljE0_EEESZ_S10_S11_S18_S1C_S1E_T6_T7_T9_mT8_S1G_bDpT10_ENKUlT_T0_E_clISt17integral_constantIbLb0EES1U_EEDaS1P_S1Q_EUlS1P_E_NS1_11comp_targetILNS1_3genE8ELNS1_11target_archE1030ELNS1_3gpuE2ELNS1_3repE0EEENS1_30default_config_static_selectorELNS0_4arch9wavefront6targetE0EEEvS12_
	.p2align	8
	.type	_ZN7rocprim17ROCPRIM_400000_NS6detail17trampoline_kernelINS0_13select_configILj256ELj13ELNS0_17block_load_methodE3ELS4_3ELS4_3ELNS0_20block_scan_algorithmE0ELj4294967295EEENS1_25partition_config_selectorILNS1_17partition_subalgoE4EjNS0_10empty_typeEbEEZZNS1_14partition_implILS8_4ELb0ES6_15HIP_vector_typeIjLj2EENS0_17counting_iteratorIjlEEPS9_SG_NS0_5tupleIJPjSI_NS0_16reverse_iteratorISI_EEEEENSH_IJSG_SG_SG_EEES9_SI_JZNS1_25segmented_radix_sort_implINS0_14default_configELb1EPKfPfPKlPlN2at6native12_GLOBAL__N_18offset_tEEE10hipError_tPvRmT1_PNSt15iterator_traitsIS12_E10value_typeET2_T3_PNS13_IS18_E10value_typeET4_jRbjT5_S1E_jjP12ihipStream_tbEUljE_ZNSN_ISO_Lb1ESQ_SR_ST_SU_SY_EESZ_S10_S11_S12_S16_S17_S18_S1B_S1C_jS1D_jS1E_S1E_jjS1G_bEUljE0_EEESZ_S10_S11_S18_S1C_S1E_T6_T7_T9_mT8_S1G_bDpT10_ENKUlT_T0_E_clISt17integral_constantIbLb0EES1U_EEDaS1P_S1Q_EUlS1P_E_NS1_11comp_targetILNS1_3genE8ELNS1_11target_archE1030ELNS1_3gpuE2ELNS1_3repE0EEENS1_30default_config_static_selectorELNS0_4arch9wavefront6targetE0EEEvS12_,@function
_ZN7rocprim17ROCPRIM_400000_NS6detail17trampoline_kernelINS0_13select_configILj256ELj13ELNS0_17block_load_methodE3ELS4_3ELS4_3ELNS0_20block_scan_algorithmE0ELj4294967295EEENS1_25partition_config_selectorILNS1_17partition_subalgoE4EjNS0_10empty_typeEbEEZZNS1_14partition_implILS8_4ELb0ES6_15HIP_vector_typeIjLj2EENS0_17counting_iteratorIjlEEPS9_SG_NS0_5tupleIJPjSI_NS0_16reverse_iteratorISI_EEEEENSH_IJSG_SG_SG_EEES9_SI_JZNS1_25segmented_radix_sort_implINS0_14default_configELb1EPKfPfPKlPlN2at6native12_GLOBAL__N_18offset_tEEE10hipError_tPvRmT1_PNSt15iterator_traitsIS12_E10value_typeET2_T3_PNS13_IS18_E10value_typeET4_jRbjT5_S1E_jjP12ihipStream_tbEUljE_ZNSN_ISO_Lb1ESQ_SR_ST_SU_SY_EESZ_S10_S11_S12_S16_S17_S18_S1B_S1C_jS1D_jS1E_S1E_jjS1G_bEUljE0_EEESZ_S10_S11_S18_S1C_S1E_T6_T7_T9_mT8_S1G_bDpT10_ENKUlT_T0_E_clISt17integral_constantIbLb0EES1U_EEDaS1P_S1Q_EUlS1P_E_NS1_11comp_targetILNS1_3genE8ELNS1_11target_archE1030ELNS1_3gpuE2ELNS1_3repE0EEENS1_30default_config_static_selectorELNS0_4arch9wavefront6targetE0EEEvS12_: ; @_ZN7rocprim17ROCPRIM_400000_NS6detail17trampoline_kernelINS0_13select_configILj256ELj13ELNS0_17block_load_methodE3ELS4_3ELS4_3ELNS0_20block_scan_algorithmE0ELj4294967295EEENS1_25partition_config_selectorILNS1_17partition_subalgoE4EjNS0_10empty_typeEbEEZZNS1_14partition_implILS8_4ELb0ES6_15HIP_vector_typeIjLj2EENS0_17counting_iteratorIjlEEPS9_SG_NS0_5tupleIJPjSI_NS0_16reverse_iteratorISI_EEEEENSH_IJSG_SG_SG_EEES9_SI_JZNS1_25segmented_radix_sort_implINS0_14default_configELb1EPKfPfPKlPlN2at6native12_GLOBAL__N_18offset_tEEE10hipError_tPvRmT1_PNSt15iterator_traitsIS12_E10value_typeET2_T3_PNS13_IS18_E10value_typeET4_jRbjT5_S1E_jjP12ihipStream_tbEUljE_ZNSN_ISO_Lb1ESQ_SR_ST_SU_SY_EESZ_S10_S11_S12_S16_S17_S18_S1B_S1C_jS1D_jS1E_S1E_jjS1G_bEUljE0_EEESZ_S10_S11_S18_S1C_S1E_T6_T7_T9_mT8_S1G_bDpT10_ENKUlT_T0_E_clISt17integral_constantIbLb0EES1U_EEDaS1P_S1Q_EUlS1P_E_NS1_11comp_targetILNS1_3genE8ELNS1_11target_archE1030ELNS1_3gpuE2ELNS1_3repE0EEENS1_30default_config_static_selectorELNS0_4arch9wavefront6targetE0EEEvS12_
; %bb.0:
	.section	.rodata,"a",@progbits
	.p2align	6, 0x0
	.amdhsa_kernel _ZN7rocprim17ROCPRIM_400000_NS6detail17trampoline_kernelINS0_13select_configILj256ELj13ELNS0_17block_load_methodE3ELS4_3ELS4_3ELNS0_20block_scan_algorithmE0ELj4294967295EEENS1_25partition_config_selectorILNS1_17partition_subalgoE4EjNS0_10empty_typeEbEEZZNS1_14partition_implILS8_4ELb0ES6_15HIP_vector_typeIjLj2EENS0_17counting_iteratorIjlEEPS9_SG_NS0_5tupleIJPjSI_NS0_16reverse_iteratorISI_EEEEENSH_IJSG_SG_SG_EEES9_SI_JZNS1_25segmented_radix_sort_implINS0_14default_configELb1EPKfPfPKlPlN2at6native12_GLOBAL__N_18offset_tEEE10hipError_tPvRmT1_PNSt15iterator_traitsIS12_E10value_typeET2_T3_PNS13_IS18_E10value_typeET4_jRbjT5_S1E_jjP12ihipStream_tbEUljE_ZNSN_ISO_Lb1ESQ_SR_ST_SU_SY_EESZ_S10_S11_S12_S16_S17_S18_S1B_S1C_jS1D_jS1E_S1E_jjS1G_bEUljE0_EEESZ_S10_S11_S18_S1C_S1E_T6_T7_T9_mT8_S1G_bDpT10_ENKUlT_T0_E_clISt17integral_constantIbLb0EES1U_EEDaS1P_S1Q_EUlS1P_E_NS1_11comp_targetILNS1_3genE8ELNS1_11target_archE1030ELNS1_3gpuE2ELNS1_3repE0EEENS1_30default_config_static_selectorELNS0_4arch9wavefront6targetE0EEEvS12_
		.amdhsa_group_segment_fixed_size 0
		.amdhsa_private_segment_fixed_size 0
		.amdhsa_kernarg_size 176
		.amdhsa_user_sgpr_count 15
		.amdhsa_user_sgpr_dispatch_ptr 0
		.amdhsa_user_sgpr_queue_ptr 0
		.amdhsa_user_sgpr_kernarg_segment_ptr 1
		.amdhsa_user_sgpr_dispatch_id 0
		.amdhsa_user_sgpr_private_segment_size 0
		.amdhsa_wavefront_size32 1
		.amdhsa_uses_dynamic_stack 0
		.amdhsa_enable_private_segment 0
		.amdhsa_system_sgpr_workgroup_id_x 1
		.amdhsa_system_sgpr_workgroup_id_y 0
		.amdhsa_system_sgpr_workgroup_id_z 0
		.amdhsa_system_sgpr_workgroup_info 0
		.amdhsa_system_vgpr_workitem_id 0
		.amdhsa_next_free_vgpr 1
		.amdhsa_next_free_sgpr 1
		.amdhsa_reserve_vcc 0
		.amdhsa_float_round_mode_32 0
		.amdhsa_float_round_mode_16_64 0
		.amdhsa_float_denorm_mode_32 3
		.amdhsa_float_denorm_mode_16_64 3
		.amdhsa_dx10_clamp 1
		.amdhsa_ieee_mode 1
		.amdhsa_fp16_overflow 0
		.amdhsa_workgroup_processor_mode 1
		.amdhsa_memory_ordered 1
		.amdhsa_forward_progress 0
		.amdhsa_shared_vgpr_count 0
		.amdhsa_exception_fp_ieee_invalid_op 0
		.amdhsa_exception_fp_denorm_src 0
		.amdhsa_exception_fp_ieee_div_zero 0
		.amdhsa_exception_fp_ieee_overflow 0
		.amdhsa_exception_fp_ieee_underflow 0
		.amdhsa_exception_fp_ieee_inexact 0
		.amdhsa_exception_int_div_zero 0
	.end_amdhsa_kernel
	.section	.text._ZN7rocprim17ROCPRIM_400000_NS6detail17trampoline_kernelINS0_13select_configILj256ELj13ELNS0_17block_load_methodE3ELS4_3ELS4_3ELNS0_20block_scan_algorithmE0ELj4294967295EEENS1_25partition_config_selectorILNS1_17partition_subalgoE4EjNS0_10empty_typeEbEEZZNS1_14partition_implILS8_4ELb0ES6_15HIP_vector_typeIjLj2EENS0_17counting_iteratorIjlEEPS9_SG_NS0_5tupleIJPjSI_NS0_16reverse_iteratorISI_EEEEENSH_IJSG_SG_SG_EEES9_SI_JZNS1_25segmented_radix_sort_implINS0_14default_configELb1EPKfPfPKlPlN2at6native12_GLOBAL__N_18offset_tEEE10hipError_tPvRmT1_PNSt15iterator_traitsIS12_E10value_typeET2_T3_PNS13_IS18_E10value_typeET4_jRbjT5_S1E_jjP12ihipStream_tbEUljE_ZNSN_ISO_Lb1ESQ_SR_ST_SU_SY_EESZ_S10_S11_S12_S16_S17_S18_S1B_S1C_jS1D_jS1E_S1E_jjS1G_bEUljE0_EEESZ_S10_S11_S18_S1C_S1E_T6_T7_T9_mT8_S1G_bDpT10_ENKUlT_T0_E_clISt17integral_constantIbLb0EES1U_EEDaS1P_S1Q_EUlS1P_E_NS1_11comp_targetILNS1_3genE8ELNS1_11target_archE1030ELNS1_3gpuE2ELNS1_3repE0EEENS1_30default_config_static_selectorELNS0_4arch9wavefront6targetE0EEEvS12_,"axG",@progbits,_ZN7rocprim17ROCPRIM_400000_NS6detail17trampoline_kernelINS0_13select_configILj256ELj13ELNS0_17block_load_methodE3ELS4_3ELS4_3ELNS0_20block_scan_algorithmE0ELj4294967295EEENS1_25partition_config_selectorILNS1_17partition_subalgoE4EjNS0_10empty_typeEbEEZZNS1_14partition_implILS8_4ELb0ES6_15HIP_vector_typeIjLj2EENS0_17counting_iteratorIjlEEPS9_SG_NS0_5tupleIJPjSI_NS0_16reverse_iteratorISI_EEEEENSH_IJSG_SG_SG_EEES9_SI_JZNS1_25segmented_radix_sort_implINS0_14default_configELb1EPKfPfPKlPlN2at6native12_GLOBAL__N_18offset_tEEE10hipError_tPvRmT1_PNSt15iterator_traitsIS12_E10value_typeET2_T3_PNS13_IS18_E10value_typeET4_jRbjT5_S1E_jjP12ihipStream_tbEUljE_ZNSN_ISO_Lb1ESQ_SR_ST_SU_SY_EESZ_S10_S11_S12_S16_S17_S18_S1B_S1C_jS1D_jS1E_S1E_jjS1G_bEUljE0_EEESZ_S10_S11_S18_S1C_S1E_T6_T7_T9_mT8_S1G_bDpT10_ENKUlT_T0_E_clISt17integral_constantIbLb0EES1U_EEDaS1P_S1Q_EUlS1P_E_NS1_11comp_targetILNS1_3genE8ELNS1_11target_archE1030ELNS1_3gpuE2ELNS1_3repE0EEENS1_30default_config_static_selectorELNS0_4arch9wavefront6targetE0EEEvS12_,comdat
.Lfunc_end1268:
	.size	_ZN7rocprim17ROCPRIM_400000_NS6detail17trampoline_kernelINS0_13select_configILj256ELj13ELNS0_17block_load_methodE3ELS4_3ELS4_3ELNS0_20block_scan_algorithmE0ELj4294967295EEENS1_25partition_config_selectorILNS1_17partition_subalgoE4EjNS0_10empty_typeEbEEZZNS1_14partition_implILS8_4ELb0ES6_15HIP_vector_typeIjLj2EENS0_17counting_iteratorIjlEEPS9_SG_NS0_5tupleIJPjSI_NS0_16reverse_iteratorISI_EEEEENSH_IJSG_SG_SG_EEES9_SI_JZNS1_25segmented_radix_sort_implINS0_14default_configELb1EPKfPfPKlPlN2at6native12_GLOBAL__N_18offset_tEEE10hipError_tPvRmT1_PNSt15iterator_traitsIS12_E10value_typeET2_T3_PNS13_IS18_E10value_typeET4_jRbjT5_S1E_jjP12ihipStream_tbEUljE_ZNSN_ISO_Lb1ESQ_SR_ST_SU_SY_EESZ_S10_S11_S12_S16_S17_S18_S1B_S1C_jS1D_jS1E_S1E_jjS1G_bEUljE0_EEESZ_S10_S11_S18_S1C_S1E_T6_T7_T9_mT8_S1G_bDpT10_ENKUlT_T0_E_clISt17integral_constantIbLb0EES1U_EEDaS1P_S1Q_EUlS1P_E_NS1_11comp_targetILNS1_3genE8ELNS1_11target_archE1030ELNS1_3gpuE2ELNS1_3repE0EEENS1_30default_config_static_selectorELNS0_4arch9wavefront6targetE0EEEvS12_, .Lfunc_end1268-_ZN7rocprim17ROCPRIM_400000_NS6detail17trampoline_kernelINS0_13select_configILj256ELj13ELNS0_17block_load_methodE3ELS4_3ELS4_3ELNS0_20block_scan_algorithmE0ELj4294967295EEENS1_25partition_config_selectorILNS1_17partition_subalgoE4EjNS0_10empty_typeEbEEZZNS1_14partition_implILS8_4ELb0ES6_15HIP_vector_typeIjLj2EENS0_17counting_iteratorIjlEEPS9_SG_NS0_5tupleIJPjSI_NS0_16reverse_iteratorISI_EEEEENSH_IJSG_SG_SG_EEES9_SI_JZNS1_25segmented_radix_sort_implINS0_14default_configELb1EPKfPfPKlPlN2at6native12_GLOBAL__N_18offset_tEEE10hipError_tPvRmT1_PNSt15iterator_traitsIS12_E10value_typeET2_T3_PNS13_IS18_E10value_typeET4_jRbjT5_S1E_jjP12ihipStream_tbEUljE_ZNSN_ISO_Lb1ESQ_SR_ST_SU_SY_EESZ_S10_S11_S12_S16_S17_S18_S1B_S1C_jS1D_jS1E_S1E_jjS1G_bEUljE0_EEESZ_S10_S11_S18_S1C_S1E_T6_T7_T9_mT8_S1G_bDpT10_ENKUlT_T0_E_clISt17integral_constantIbLb0EES1U_EEDaS1P_S1Q_EUlS1P_E_NS1_11comp_targetILNS1_3genE8ELNS1_11target_archE1030ELNS1_3gpuE2ELNS1_3repE0EEENS1_30default_config_static_selectorELNS0_4arch9wavefront6targetE0EEEvS12_
                                        ; -- End function
	.section	.AMDGPU.csdata,"",@progbits
; Kernel info:
; codeLenInByte = 0
; NumSgprs: 0
; NumVgprs: 0
; ScratchSize: 0
; MemoryBound: 0
; FloatMode: 240
; IeeeMode: 1
; LDSByteSize: 0 bytes/workgroup (compile time only)
; SGPRBlocks: 0
; VGPRBlocks: 0
; NumSGPRsForWavesPerEU: 1
; NumVGPRsForWavesPerEU: 1
; Occupancy: 16
; WaveLimiterHint : 0
; COMPUTE_PGM_RSRC2:SCRATCH_EN: 0
; COMPUTE_PGM_RSRC2:USER_SGPR: 15
; COMPUTE_PGM_RSRC2:TRAP_HANDLER: 0
; COMPUTE_PGM_RSRC2:TGID_X_EN: 1
; COMPUTE_PGM_RSRC2:TGID_Y_EN: 0
; COMPUTE_PGM_RSRC2:TGID_Z_EN: 0
; COMPUTE_PGM_RSRC2:TIDIG_COMP_CNT: 0
	.section	.text._ZN7rocprim17ROCPRIM_400000_NS6detail17trampoline_kernelINS0_13select_configILj256ELj13ELNS0_17block_load_methodE3ELS4_3ELS4_3ELNS0_20block_scan_algorithmE0ELj4294967295EEENS1_25partition_config_selectorILNS1_17partition_subalgoE4EjNS0_10empty_typeEbEEZZNS1_14partition_implILS8_4ELb0ES6_15HIP_vector_typeIjLj2EENS0_17counting_iteratorIjlEEPS9_SG_NS0_5tupleIJPjSI_NS0_16reverse_iteratorISI_EEEEENSH_IJSG_SG_SG_EEES9_SI_JZNS1_25segmented_radix_sort_implINS0_14default_configELb1EPKfPfPKlPlN2at6native12_GLOBAL__N_18offset_tEEE10hipError_tPvRmT1_PNSt15iterator_traitsIS12_E10value_typeET2_T3_PNS13_IS18_E10value_typeET4_jRbjT5_S1E_jjP12ihipStream_tbEUljE_ZNSN_ISO_Lb1ESQ_SR_ST_SU_SY_EESZ_S10_S11_S12_S16_S17_S18_S1B_S1C_jS1D_jS1E_S1E_jjS1G_bEUljE0_EEESZ_S10_S11_S18_S1C_S1E_T6_T7_T9_mT8_S1G_bDpT10_ENKUlT_T0_E_clISt17integral_constantIbLb1EES1U_EEDaS1P_S1Q_EUlS1P_E_NS1_11comp_targetILNS1_3genE0ELNS1_11target_archE4294967295ELNS1_3gpuE0ELNS1_3repE0EEENS1_30default_config_static_selectorELNS0_4arch9wavefront6targetE0EEEvS12_,"axG",@progbits,_ZN7rocprim17ROCPRIM_400000_NS6detail17trampoline_kernelINS0_13select_configILj256ELj13ELNS0_17block_load_methodE3ELS4_3ELS4_3ELNS0_20block_scan_algorithmE0ELj4294967295EEENS1_25partition_config_selectorILNS1_17partition_subalgoE4EjNS0_10empty_typeEbEEZZNS1_14partition_implILS8_4ELb0ES6_15HIP_vector_typeIjLj2EENS0_17counting_iteratorIjlEEPS9_SG_NS0_5tupleIJPjSI_NS0_16reverse_iteratorISI_EEEEENSH_IJSG_SG_SG_EEES9_SI_JZNS1_25segmented_radix_sort_implINS0_14default_configELb1EPKfPfPKlPlN2at6native12_GLOBAL__N_18offset_tEEE10hipError_tPvRmT1_PNSt15iterator_traitsIS12_E10value_typeET2_T3_PNS13_IS18_E10value_typeET4_jRbjT5_S1E_jjP12ihipStream_tbEUljE_ZNSN_ISO_Lb1ESQ_SR_ST_SU_SY_EESZ_S10_S11_S12_S16_S17_S18_S1B_S1C_jS1D_jS1E_S1E_jjS1G_bEUljE0_EEESZ_S10_S11_S18_S1C_S1E_T6_T7_T9_mT8_S1G_bDpT10_ENKUlT_T0_E_clISt17integral_constantIbLb1EES1U_EEDaS1P_S1Q_EUlS1P_E_NS1_11comp_targetILNS1_3genE0ELNS1_11target_archE4294967295ELNS1_3gpuE0ELNS1_3repE0EEENS1_30default_config_static_selectorELNS0_4arch9wavefront6targetE0EEEvS12_,comdat
	.globl	_ZN7rocprim17ROCPRIM_400000_NS6detail17trampoline_kernelINS0_13select_configILj256ELj13ELNS0_17block_load_methodE3ELS4_3ELS4_3ELNS0_20block_scan_algorithmE0ELj4294967295EEENS1_25partition_config_selectorILNS1_17partition_subalgoE4EjNS0_10empty_typeEbEEZZNS1_14partition_implILS8_4ELb0ES6_15HIP_vector_typeIjLj2EENS0_17counting_iteratorIjlEEPS9_SG_NS0_5tupleIJPjSI_NS0_16reverse_iteratorISI_EEEEENSH_IJSG_SG_SG_EEES9_SI_JZNS1_25segmented_radix_sort_implINS0_14default_configELb1EPKfPfPKlPlN2at6native12_GLOBAL__N_18offset_tEEE10hipError_tPvRmT1_PNSt15iterator_traitsIS12_E10value_typeET2_T3_PNS13_IS18_E10value_typeET4_jRbjT5_S1E_jjP12ihipStream_tbEUljE_ZNSN_ISO_Lb1ESQ_SR_ST_SU_SY_EESZ_S10_S11_S12_S16_S17_S18_S1B_S1C_jS1D_jS1E_S1E_jjS1G_bEUljE0_EEESZ_S10_S11_S18_S1C_S1E_T6_T7_T9_mT8_S1G_bDpT10_ENKUlT_T0_E_clISt17integral_constantIbLb1EES1U_EEDaS1P_S1Q_EUlS1P_E_NS1_11comp_targetILNS1_3genE0ELNS1_11target_archE4294967295ELNS1_3gpuE0ELNS1_3repE0EEENS1_30default_config_static_selectorELNS0_4arch9wavefront6targetE0EEEvS12_ ; -- Begin function _ZN7rocprim17ROCPRIM_400000_NS6detail17trampoline_kernelINS0_13select_configILj256ELj13ELNS0_17block_load_methodE3ELS4_3ELS4_3ELNS0_20block_scan_algorithmE0ELj4294967295EEENS1_25partition_config_selectorILNS1_17partition_subalgoE4EjNS0_10empty_typeEbEEZZNS1_14partition_implILS8_4ELb0ES6_15HIP_vector_typeIjLj2EENS0_17counting_iteratorIjlEEPS9_SG_NS0_5tupleIJPjSI_NS0_16reverse_iteratorISI_EEEEENSH_IJSG_SG_SG_EEES9_SI_JZNS1_25segmented_radix_sort_implINS0_14default_configELb1EPKfPfPKlPlN2at6native12_GLOBAL__N_18offset_tEEE10hipError_tPvRmT1_PNSt15iterator_traitsIS12_E10value_typeET2_T3_PNS13_IS18_E10value_typeET4_jRbjT5_S1E_jjP12ihipStream_tbEUljE_ZNSN_ISO_Lb1ESQ_SR_ST_SU_SY_EESZ_S10_S11_S12_S16_S17_S18_S1B_S1C_jS1D_jS1E_S1E_jjS1G_bEUljE0_EEESZ_S10_S11_S18_S1C_S1E_T6_T7_T9_mT8_S1G_bDpT10_ENKUlT_T0_E_clISt17integral_constantIbLb1EES1U_EEDaS1P_S1Q_EUlS1P_E_NS1_11comp_targetILNS1_3genE0ELNS1_11target_archE4294967295ELNS1_3gpuE0ELNS1_3repE0EEENS1_30default_config_static_selectorELNS0_4arch9wavefront6targetE0EEEvS12_
	.p2align	8
	.type	_ZN7rocprim17ROCPRIM_400000_NS6detail17trampoline_kernelINS0_13select_configILj256ELj13ELNS0_17block_load_methodE3ELS4_3ELS4_3ELNS0_20block_scan_algorithmE0ELj4294967295EEENS1_25partition_config_selectorILNS1_17partition_subalgoE4EjNS0_10empty_typeEbEEZZNS1_14partition_implILS8_4ELb0ES6_15HIP_vector_typeIjLj2EENS0_17counting_iteratorIjlEEPS9_SG_NS0_5tupleIJPjSI_NS0_16reverse_iteratorISI_EEEEENSH_IJSG_SG_SG_EEES9_SI_JZNS1_25segmented_radix_sort_implINS0_14default_configELb1EPKfPfPKlPlN2at6native12_GLOBAL__N_18offset_tEEE10hipError_tPvRmT1_PNSt15iterator_traitsIS12_E10value_typeET2_T3_PNS13_IS18_E10value_typeET4_jRbjT5_S1E_jjP12ihipStream_tbEUljE_ZNSN_ISO_Lb1ESQ_SR_ST_SU_SY_EESZ_S10_S11_S12_S16_S17_S18_S1B_S1C_jS1D_jS1E_S1E_jjS1G_bEUljE0_EEESZ_S10_S11_S18_S1C_S1E_T6_T7_T9_mT8_S1G_bDpT10_ENKUlT_T0_E_clISt17integral_constantIbLb1EES1U_EEDaS1P_S1Q_EUlS1P_E_NS1_11comp_targetILNS1_3genE0ELNS1_11target_archE4294967295ELNS1_3gpuE0ELNS1_3repE0EEENS1_30default_config_static_selectorELNS0_4arch9wavefront6targetE0EEEvS12_,@function
_ZN7rocprim17ROCPRIM_400000_NS6detail17trampoline_kernelINS0_13select_configILj256ELj13ELNS0_17block_load_methodE3ELS4_3ELS4_3ELNS0_20block_scan_algorithmE0ELj4294967295EEENS1_25partition_config_selectorILNS1_17partition_subalgoE4EjNS0_10empty_typeEbEEZZNS1_14partition_implILS8_4ELb0ES6_15HIP_vector_typeIjLj2EENS0_17counting_iteratorIjlEEPS9_SG_NS0_5tupleIJPjSI_NS0_16reverse_iteratorISI_EEEEENSH_IJSG_SG_SG_EEES9_SI_JZNS1_25segmented_radix_sort_implINS0_14default_configELb1EPKfPfPKlPlN2at6native12_GLOBAL__N_18offset_tEEE10hipError_tPvRmT1_PNSt15iterator_traitsIS12_E10value_typeET2_T3_PNS13_IS18_E10value_typeET4_jRbjT5_S1E_jjP12ihipStream_tbEUljE_ZNSN_ISO_Lb1ESQ_SR_ST_SU_SY_EESZ_S10_S11_S12_S16_S17_S18_S1B_S1C_jS1D_jS1E_S1E_jjS1G_bEUljE0_EEESZ_S10_S11_S18_S1C_S1E_T6_T7_T9_mT8_S1G_bDpT10_ENKUlT_T0_E_clISt17integral_constantIbLb1EES1U_EEDaS1P_S1Q_EUlS1P_E_NS1_11comp_targetILNS1_3genE0ELNS1_11target_archE4294967295ELNS1_3gpuE0ELNS1_3repE0EEENS1_30default_config_static_selectorELNS0_4arch9wavefront6targetE0EEEvS12_: ; @_ZN7rocprim17ROCPRIM_400000_NS6detail17trampoline_kernelINS0_13select_configILj256ELj13ELNS0_17block_load_methodE3ELS4_3ELS4_3ELNS0_20block_scan_algorithmE0ELj4294967295EEENS1_25partition_config_selectorILNS1_17partition_subalgoE4EjNS0_10empty_typeEbEEZZNS1_14partition_implILS8_4ELb0ES6_15HIP_vector_typeIjLj2EENS0_17counting_iteratorIjlEEPS9_SG_NS0_5tupleIJPjSI_NS0_16reverse_iteratorISI_EEEEENSH_IJSG_SG_SG_EEES9_SI_JZNS1_25segmented_radix_sort_implINS0_14default_configELb1EPKfPfPKlPlN2at6native12_GLOBAL__N_18offset_tEEE10hipError_tPvRmT1_PNSt15iterator_traitsIS12_E10value_typeET2_T3_PNS13_IS18_E10value_typeET4_jRbjT5_S1E_jjP12ihipStream_tbEUljE_ZNSN_ISO_Lb1ESQ_SR_ST_SU_SY_EESZ_S10_S11_S12_S16_S17_S18_S1B_S1C_jS1D_jS1E_S1E_jjS1G_bEUljE0_EEESZ_S10_S11_S18_S1C_S1E_T6_T7_T9_mT8_S1G_bDpT10_ENKUlT_T0_E_clISt17integral_constantIbLb1EES1U_EEDaS1P_S1Q_EUlS1P_E_NS1_11comp_targetILNS1_3genE0ELNS1_11target_archE4294967295ELNS1_3gpuE0ELNS1_3repE0EEENS1_30default_config_static_selectorELNS0_4arch9wavefront6targetE0EEEvS12_
; %bb.0:
	.section	.rodata,"a",@progbits
	.p2align	6, 0x0
	.amdhsa_kernel _ZN7rocprim17ROCPRIM_400000_NS6detail17trampoline_kernelINS0_13select_configILj256ELj13ELNS0_17block_load_methodE3ELS4_3ELS4_3ELNS0_20block_scan_algorithmE0ELj4294967295EEENS1_25partition_config_selectorILNS1_17partition_subalgoE4EjNS0_10empty_typeEbEEZZNS1_14partition_implILS8_4ELb0ES6_15HIP_vector_typeIjLj2EENS0_17counting_iteratorIjlEEPS9_SG_NS0_5tupleIJPjSI_NS0_16reverse_iteratorISI_EEEEENSH_IJSG_SG_SG_EEES9_SI_JZNS1_25segmented_radix_sort_implINS0_14default_configELb1EPKfPfPKlPlN2at6native12_GLOBAL__N_18offset_tEEE10hipError_tPvRmT1_PNSt15iterator_traitsIS12_E10value_typeET2_T3_PNS13_IS18_E10value_typeET4_jRbjT5_S1E_jjP12ihipStream_tbEUljE_ZNSN_ISO_Lb1ESQ_SR_ST_SU_SY_EESZ_S10_S11_S12_S16_S17_S18_S1B_S1C_jS1D_jS1E_S1E_jjS1G_bEUljE0_EEESZ_S10_S11_S18_S1C_S1E_T6_T7_T9_mT8_S1G_bDpT10_ENKUlT_T0_E_clISt17integral_constantIbLb1EES1U_EEDaS1P_S1Q_EUlS1P_E_NS1_11comp_targetILNS1_3genE0ELNS1_11target_archE4294967295ELNS1_3gpuE0ELNS1_3repE0EEENS1_30default_config_static_selectorELNS0_4arch9wavefront6targetE0EEEvS12_
		.amdhsa_group_segment_fixed_size 0
		.amdhsa_private_segment_fixed_size 0
		.amdhsa_kernarg_size 184
		.amdhsa_user_sgpr_count 15
		.amdhsa_user_sgpr_dispatch_ptr 0
		.amdhsa_user_sgpr_queue_ptr 0
		.amdhsa_user_sgpr_kernarg_segment_ptr 1
		.amdhsa_user_sgpr_dispatch_id 0
		.amdhsa_user_sgpr_private_segment_size 0
		.amdhsa_wavefront_size32 1
		.amdhsa_uses_dynamic_stack 0
		.amdhsa_enable_private_segment 0
		.amdhsa_system_sgpr_workgroup_id_x 1
		.amdhsa_system_sgpr_workgroup_id_y 0
		.amdhsa_system_sgpr_workgroup_id_z 0
		.amdhsa_system_sgpr_workgroup_info 0
		.amdhsa_system_vgpr_workitem_id 0
		.amdhsa_next_free_vgpr 1
		.amdhsa_next_free_sgpr 1
		.amdhsa_reserve_vcc 0
		.amdhsa_float_round_mode_32 0
		.amdhsa_float_round_mode_16_64 0
		.amdhsa_float_denorm_mode_32 3
		.amdhsa_float_denorm_mode_16_64 3
		.amdhsa_dx10_clamp 1
		.amdhsa_ieee_mode 1
		.amdhsa_fp16_overflow 0
		.amdhsa_workgroup_processor_mode 1
		.amdhsa_memory_ordered 1
		.amdhsa_forward_progress 0
		.amdhsa_shared_vgpr_count 0
		.amdhsa_exception_fp_ieee_invalid_op 0
		.amdhsa_exception_fp_denorm_src 0
		.amdhsa_exception_fp_ieee_div_zero 0
		.amdhsa_exception_fp_ieee_overflow 0
		.amdhsa_exception_fp_ieee_underflow 0
		.amdhsa_exception_fp_ieee_inexact 0
		.amdhsa_exception_int_div_zero 0
	.end_amdhsa_kernel
	.section	.text._ZN7rocprim17ROCPRIM_400000_NS6detail17trampoline_kernelINS0_13select_configILj256ELj13ELNS0_17block_load_methodE3ELS4_3ELS4_3ELNS0_20block_scan_algorithmE0ELj4294967295EEENS1_25partition_config_selectorILNS1_17partition_subalgoE4EjNS0_10empty_typeEbEEZZNS1_14partition_implILS8_4ELb0ES6_15HIP_vector_typeIjLj2EENS0_17counting_iteratorIjlEEPS9_SG_NS0_5tupleIJPjSI_NS0_16reverse_iteratorISI_EEEEENSH_IJSG_SG_SG_EEES9_SI_JZNS1_25segmented_radix_sort_implINS0_14default_configELb1EPKfPfPKlPlN2at6native12_GLOBAL__N_18offset_tEEE10hipError_tPvRmT1_PNSt15iterator_traitsIS12_E10value_typeET2_T3_PNS13_IS18_E10value_typeET4_jRbjT5_S1E_jjP12ihipStream_tbEUljE_ZNSN_ISO_Lb1ESQ_SR_ST_SU_SY_EESZ_S10_S11_S12_S16_S17_S18_S1B_S1C_jS1D_jS1E_S1E_jjS1G_bEUljE0_EEESZ_S10_S11_S18_S1C_S1E_T6_T7_T9_mT8_S1G_bDpT10_ENKUlT_T0_E_clISt17integral_constantIbLb1EES1U_EEDaS1P_S1Q_EUlS1P_E_NS1_11comp_targetILNS1_3genE0ELNS1_11target_archE4294967295ELNS1_3gpuE0ELNS1_3repE0EEENS1_30default_config_static_selectorELNS0_4arch9wavefront6targetE0EEEvS12_,"axG",@progbits,_ZN7rocprim17ROCPRIM_400000_NS6detail17trampoline_kernelINS0_13select_configILj256ELj13ELNS0_17block_load_methodE3ELS4_3ELS4_3ELNS0_20block_scan_algorithmE0ELj4294967295EEENS1_25partition_config_selectorILNS1_17partition_subalgoE4EjNS0_10empty_typeEbEEZZNS1_14partition_implILS8_4ELb0ES6_15HIP_vector_typeIjLj2EENS0_17counting_iteratorIjlEEPS9_SG_NS0_5tupleIJPjSI_NS0_16reverse_iteratorISI_EEEEENSH_IJSG_SG_SG_EEES9_SI_JZNS1_25segmented_radix_sort_implINS0_14default_configELb1EPKfPfPKlPlN2at6native12_GLOBAL__N_18offset_tEEE10hipError_tPvRmT1_PNSt15iterator_traitsIS12_E10value_typeET2_T3_PNS13_IS18_E10value_typeET4_jRbjT5_S1E_jjP12ihipStream_tbEUljE_ZNSN_ISO_Lb1ESQ_SR_ST_SU_SY_EESZ_S10_S11_S12_S16_S17_S18_S1B_S1C_jS1D_jS1E_S1E_jjS1G_bEUljE0_EEESZ_S10_S11_S18_S1C_S1E_T6_T7_T9_mT8_S1G_bDpT10_ENKUlT_T0_E_clISt17integral_constantIbLb1EES1U_EEDaS1P_S1Q_EUlS1P_E_NS1_11comp_targetILNS1_3genE0ELNS1_11target_archE4294967295ELNS1_3gpuE0ELNS1_3repE0EEENS1_30default_config_static_selectorELNS0_4arch9wavefront6targetE0EEEvS12_,comdat
.Lfunc_end1269:
	.size	_ZN7rocprim17ROCPRIM_400000_NS6detail17trampoline_kernelINS0_13select_configILj256ELj13ELNS0_17block_load_methodE3ELS4_3ELS4_3ELNS0_20block_scan_algorithmE0ELj4294967295EEENS1_25partition_config_selectorILNS1_17partition_subalgoE4EjNS0_10empty_typeEbEEZZNS1_14partition_implILS8_4ELb0ES6_15HIP_vector_typeIjLj2EENS0_17counting_iteratorIjlEEPS9_SG_NS0_5tupleIJPjSI_NS0_16reverse_iteratorISI_EEEEENSH_IJSG_SG_SG_EEES9_SI_JZNS1_25segmented_radix_sort_implINS0_14default_configELb1EPKfPfPKlPlN2at6native12_GLOBAL__N_18offset_tEEE10hipError_tPvRmT1_PNSt15iterator_traitsIS12_E10value_typeET2_T3_PNS13_IS18_E10value_typeET4_jRbjT5_S1E_jjP12ihipStream_tbEUljE_ZNSN_ISO_Lb1ESQ_SR_ST_SU_SY_EESZ_S10_S11_S12_S16_S17_S18_S1B_S1C_jS1D_jS1E_S1E_jjS1G_bEUljE0_EEESZ_S10_S11_S18_S1C_S1E_T6_T7_T9_mT8_S1G_bDpT10_ENKUlT_T0_E_clISt17integral_constantIbLb1EES1U_EEDaS1P_S1Q_EUlS1P_E_NS1_11comp_targetILNS1_3genE0ELNS1_11target_archE4294967295ELNS1_3gpuE0ELNS1_3repE0EEENS1_30default_config_static_selectorELNS0_4arch9wavefront6targetE0EEEvS12_, .Lfunc_end1269-_ZN7rocprim17ROCPRIM_400000_NS6detail17trampoline_kernelINS0_13select_configILj256ELj13ELNS0_17block_load_methodE3ELS4_3ELS4_3ELNS0_20block_scan_algorithmE0ELj4294967295EEENS1_25partition_config_selectorILNS1_17partition_subalgoE4EjNS0_10empty_typeEbEEZZNS1_14partition_implILS8_4ELb0ES6_15HIP_vector_typeIjLj2EENS0_17counting_iteratorIjlEEPS9_SG_NS0_5tupleIJPjSI_NS0_16reverse_iteratorISI_EEEEENSH_IJSG_SG_SG_EEES9_SI_JZNS1_25segmented_radix_sort_implINS0_14default_configELb1EPKfPfPKlPlN2at6native12_GLOBAL__N_18offset_tEEE10hipError_tPvRmT1_PNSt15iterator_traitsIS12_E10value_typeET2_T3_PNS13_IS18_E10value_typeET4_jRbjT5_S1E_jjP12ihipStream_tbEUljE_ZNSN_ISO_Lb1ESQ_SR_ST_SU_SY_EESZ_S10_S11_S12_S16_S17_S18_S1B_S1C_jS1D_jS1E_S1E_jjS1G_bEUljE0_EEESZ_S10_S11_S18_S1C_S1E_T6_T7_T9_mT8_S1G_bDpT10_ENKUlT_T0_E_clISt17integral_constantIbLb1EES1U_EEDaS1P_S1Q_EUlS1P_E_NS1_11comp_targetILNS1_3genE0ELNS1_11target_archE4294967295ELNS1_3gpuE0ELNS1_3repE0EEENS1_30default_config_static_selectorELNS0_4arch9wavefront6targetE0EEEvS12_
                                        ; -- End function
	.section	.AMDGPU.csdata,"",@progbits
; Kernel info:
; codeLenInByte = 0
; NumSgprs: 0
; NumVgprs: 0
; ScratchSize: 0
; MemoryBound: 0
; FloatMode: 240
; IeeeMode: 1
; LDSByteSize: 0 bytes/workgroup (compile time only)
; SGPRBlocks: 0
; VGPRBlocks: 0
; NumSGPRsForWavesPerEU: 1
; NumVGPRsForWavesPerEU: 1
; Occupancy: 16
; WaveLimiterHint : 0
; COMPUTE_PGM_RSRC2:SCRATCH_EN: 0
; COMPUTE_PGM_RSRC2:USER_SGPR: 15
; COMPUTE_PGM_RSRC2:TRAP_HANDLER: 0
; COMPUTE_PGM_RSRC2:TGID_X_EN: 1
; COMPUTE_PGM_RSRC2:TGID_Y_EN: 0
; COMPUTE_PGM_RSRC2:TGID_Z_EN: 0
; COMPUTE_PGM_RSRC2:TIDIG_COMP_CNT: 0
	.section	.text._ZN7rocprim17ROCPRIM_400000_NS6detail17trampoline_kernelINS0_13select_configILj256ELj13ELNS0_17block_load_methodE3ELS4_3ELS4_3ELNS0_20block_scan_algorithmE0ELj4294967295EEENS1_25partition_config_selectorILNS1_17partition_subalgoE4EjNS0_10empty_typeEbEEZZNS1_14partition_implILS8_4ELb0ES6_15HIP_vector_typeIjLj2EENS0_17counting_iteratorIjlEEPS9_SG_NS0_5tupleIJPjSI_NS0_16reverse_iteratorISI_EEEEENSH_IJSG_SG_SG_EEES9_SI_JZNS1_25segmented_radix_sort_implINS0_14default_configELb1EPKfPfPKlPlN2at6native12_GLOBAL__N_18offset_tEEE10hipError_tPvRmT1_PNSt15iterator_traitsIS12_E10value_typeET2_T3_PNS13_IS18_E10value_typeET4_jRbjT5_S1E_jjP12ihipStream_tbEUljE_ZNSN_ISO_Lb1ESQ_SR_ST_SU_SY_EESZ_S10_S11_S12_S16_S17_S18_S1B_S1C_jS1D_jS1E_S1E_jjS1G_bEUljE0_EEESZ_S10_S11_S18_S1C_S1E_T6_T7_T9_mT8_S1G_bDpT10_ENKUlT_T0_E_clISt17integral_constantIbLb1EES1U_EEDaS1P_S1Q_EUlS1P_E_NS1_11comp_targetILNS1_3genE5ELNS1_11target_archE942ELNS1_3gpuE9ELNS1_3repE0EEENS1_30default_config_static_selectorELNS0_4arch9wavefront6targetE0EEEvS12_,"axG",@progbits,_ZN7rocprim17ROCPRIM_400000_NS6detail17trampoline_kernelINS0_13select_configILj256ELj13ELNS0_17block_load_methodE3ELS4_3ELS4_3ELNS0_20block_scan_algorithmE0ELj4294967295EEENS1_25partition_config_selectorILNS1_17partition_subalgoE4EjNS0_10empty_typeEbEEZZNS1_14partition_implILS8_4ELb0ES6_15HIP_vector_typeIjLj2EENS0_17counting_iteratorIjlEEPS9_SG_NS0_5tupleIJPjSI_NS0_16reverse_iteratorISI_EEEEENSH_IJSG_SG_SG_EEES9_SI_JZNS1_25segmented_radix_sort_implINS0_14default_configELb1EPKfPfPKlPlN2at6native12_GLOBAL__N_18offset_tEEE10hipError_tPvRmT1_PNSt15iterator_traitsIS12_E10value_typeET2_T3_PNS13_IS18_E10value_typeET4_jRbjT5_S1E_jjP12ihipStream_tbEUljE_ZNSN_ISO_Lb1ESQ_SR_ST_SU_SY_EESZ_S10_S11_S12_S16_S17_S18_S1B_S1C_jS1D_jS1E_S1E_jjS1G_bEUljE0_EEESZ_S10_S11_S18_S1C_S1E_T6_T7_T9_mT8_S1G_bDpT10_ENKUlT_T0_E_clISt17integral_constantIbLb1EES1U_EEDaS1P_S1Q_EUlS1P_E_NS1_11comp_targetILNS1_3genE5ELNS1_11target_archE942ELNS1_3gpuE9ELNS1_3repE0EEENS1_30default_config_static_selectorELNS0_4arch9wavefront6targetE0EEEvS12_,comdat
	.globl	_ZN7rocprim17ROCPRIM_400000_NS6detail17trampoline_kernelINS0_13select_configILj256ELj13ELNS0_17block_load_methodE3ELS4_3ELS4_3ELNS0_20block_scan_algorithmE0ELj4294967295EEENS1_25partition_config_selectorILNS1_17partition_subalgoE4EjNS0_10empty_typeEbEEZZNS1_14partition_implILS8_4ELb0ES6_15HIP_vector_typeIjLj2EENS0_17counting_iteratorIjlEEPS9_SG_NS0_5tupleIJPjSI_NS0_16reverse_iteratorISI_EEEEENSH_IJSG_SG_SG_EEES9_SI_JZNS1_25segmented_radix_sort_implINS0_14default_configELb1EPKfPfPKlPlN2at6native12_GLOBAL__N_18offset_tEEE10hipError_tPvRmT1_PNSt15iterator_traitsIS12_E10value_typeET2_T3_PNS13_IS18_E10value_typeET4_jRbjT5_S1E_jjP12ihipStream_tbEUljE_ZNSN_ISO_Lb1ESQ_SR_ST_SU_SY_EESZ_S10_S11_S12_S16_S17_S18_S1B_S1C_jS1D_jS1E_S1E_jjS1G_bEUljE0_EEESZ_S10_S11_S18_S1C_S1E_T6_T7_T9_mT8_S1G_bDpT10_ENKUlT_T0_E_clISt17integral_constantIbLb1EES1U_EEDaS1P_S1Q_EUlS1P_E_NS1_11comp_targetILNS1_3genE5ELNS1_11target_archE942ELNS1_3gpuE9ELNS1_3repE0EEENS1_30default_config_static_selectorELNS0_4arch9wavefront6targetE0EEEvS12_ ; -- Begin function _ZN7rocprim17ROCPRIM_400000_NS6detail17trampoline_kernelINS0_13select_configILj256ELj13ELNS0_17block_load_methodE3ELS4_3ELS4_3ELNS0_20block_scan_algorithmE0ELj4294967295EEENS1_25partition_config_selectorILNS1_17partition_subalgoE4EjNS0_10empty_typeEbEEZZNS1_14partition_implILS8_4ELb0ES6_15HIP_vector_typeIjLj2EENS0_17counting_iteratorIjlEEPS9_SG_NS0_5tupleIJPjSI_NS0_16reverse_iteratorISI_EEEEENSH_IJSG_SG_SG_EEES9_SI_JZNS1_25segmented_radix_sort_implINS0_14default_configELb1EPKfPfPKlPlN2at6native12_GLOBAL__N_18offset_tEEE10hipError_tPvRmT1_PNSt15iterator_traitsIS12_E10value_typeET2_T3_PNS13_IS18_E10value_typeET4_jRbjT5_S1E_jjP12ihipStream_tbEUljE_ZNSN_ISO_Lb1ESQ_SR_ST_SU_SY_EESZ_S10_S11_S12_S16_S17_S18_S1B_S1C_jS1D_jS1E_S1E_jjS1G_bEUljE0_EEESZ_S10_S11_S18_S1C_S1E_T6_T7_T9_mT8_S1G_bDpT10_ENKUlT_T0_E_clISt17integral_constantIbLb1EES1U_EEDaS1P_S1Q_EUlS1P_E_NS1_11comp_targetILNS1_3genE5ELNS1_11target_archE942ELNS1_3gpuE9ELNS1_3repE0EEENS1_30default_config_static_selectorELNS0_4arch9wavefront6targetE0EEEvS12_
	.p2align	8
	.type	_ZN7rocprim17ROCPRIM_400000_NS6detail17trampoline_kernelINS0_13select_configILj256ELj13ELNS0_17block_load_methodE3ELS4_3ELS4_3ELNS0_20block_scan_algorithmE0ELj4294967295EEENS1_25partition_config_selectorILNS1_17partition_subalgoE4EjNS0_10empty_typeEbEEZZNS1_14partition_implILS8_4ELb0ES6_15HIP_vector_typeIjLj2EENS0_17counting_iteratorIjlEEPS9_SG_NS0_5tupleIJPjSI_NS0_16reverse_iteratorISI_EEEEENSH_IJSG_SG_SG_EEES9_SI_JZNS1_25segmented_radix_sort_implINS0_14default_configELb1EPKfPfPKlPlN2at6native12_GLOBAL__N_18offset_tEEE10hipError_tPvRmT1_PNSt15iterator_traitsIS12_E10value_typeET2_T3_PNS13_IS18_E10value_typeET4_jRbjT5_S1E_jjP12ihipStream_tbEUljE_ZNSN_ISO_Lb1ESQ_SR_ST_SU_SY_EESZ_S10_S11_S12_S16_S17_S18_S1B_S1C_jS1D_jS1E_S1E_jjS1G_bEUljE0_EEESZ_S10_S11_S18_S1C_S1E_T6_T7_T9_mT8_S1G_bDpT10_ENKUlT_T0_E_clISt17integral_constantIbLb1EES1U_EEDaS1P_S1Q_EUlS1P_E_NS1_11comp_targetILNS1_3genE5ELNS1_11target_archE942ELNS1_3gpuE9ELNS1_3repE0EEENS1_30default_config_static_selectorELNS0_4arch9wavefront6targetE0EEEvS12_,@function
_ZN7rocprim17ROCPRIM_400000_NS6detail17trampoline_kernelINS0_13select_configILj256ELj13ELNS0_17block_load_methodE3ELS4_3ELS4_3ELNS0_20block_scan_algorithmE0ELj4294967295EEENS1_25partition_config_selectorILNS1_17partition_subalgoE4EjNS0_10empty_typeEbEEZZNS1_14partition_implILS8_4ELb0ES6_15HIP_vector_typeIjLj2EENS0_17counting_iteratorIjlEEPS9_SG_NS0_5tupleIJPjSI_NS0_16reverse_iteratorISI_EEEEENSH_IJSG_SG_SG_EEES9_SI_JZNS1_25segmented_radix_sort_implINS0_14default_configELb1EPKfPfPKlPlN2at6native12_GLOBAL__N_18offset_tEEE10hipError_tPvRmT1_PNSt15iterator_traitsIS12_E10value_typeET2_T3_PNS13_IS18_E10value_typeET4_jRbjT5_S1E_jjP12ihipStream_tbEUljE_ZNSN_ISO_Lb1ESQ_SR_ST_SU_SY_EESZ_S10_S11_S12_S16_S17_S18_S1B_S1C_jS1D_jS1E_S1E_jjS1G_bEUljE0_EEESZ_S10_S11_S18_S1C_S1E_T6_T7_T9_mT8_S1G_bDpT10_ENKUlT_T0_E_clISt17integral_constantIbLb1EES1U_EEDaS1P_S1Q_EUlS1P_E_NS1_11comp_targetILNS1_3genE5ELNS1_11target_archE942ELNS1_3gpuE9ELNS1_3repE0EEENS1_30default_config_static_selectorELNS0_4arch9wavefront6targetE0EEEvS12_: ; @_ZN7rocprim17ROCPRIM_400000_NS6detail17trampoline_kernelINS0_13select_configILj256ELj13ELNS0_17block_load_methodE3ELS4_3ELS4_3ELNS0_20block_scan_algorithmE0ELj4294967295EEENS1_25partition_config_selectorILNS1_17partition_subalgoE4EjNS0_10empty_typeEbEEZZNS1_14partition_implILS8_4ELb0ES6_15HIP_vector_typeIjLj2EENS0_17counting_iteratorIjlEEPS9_SG_NS0_5tupleIJPjSI_NS0_16reverse_iteratorISI_EEEEENSH_IJSG_SG_SG_EEES9_SI_JZNS1_25segmented_radix_sort_implINS0_14default_configELb1EPKfPfPKlPlN2at6native12_GLOBAL__N_18offset_tEEE10hipError_tPvRmT1_PNSt15iterator_traitsIS12_E10value_typeET2_T3_PNS13_IS18_E10value_typeET4_jRbjT5_S1E_jjP12ihipStream_tbEUljE_ZNSN_ISO_Lb1ESQ_SR_ST_SU_SY_EESZ_S10_S11_S12_S16_S17_S18_S1B_S1C_jS1D_jS1E_S1E_jjS1G_bEUljE0_EEESZ_S10_S11_S18_S1C_S1E_T6_T7_T9_mT8_S1G_bDpT10_ENKUlT_T0_E_clISt17integral_constantIbLb1EES1U_EEDaS1P_S1Q_EUlS1P_E_NS1_11comp_targetILNS1_3genE5ELNS1_11target_archE942ELNS1_3gpuE9ELNS1_3repE0EEENS1_30default_config_static_selectorELNS0_4arch9wavefront6targetE0EEEvS12_
; %bb.0:
	.section	.rodata,"a",@progbits
	.p2align	6, 0x0
	.amdhsa_kernel _ZN7rocprim17ROCPRIM_400000_NS6detail17trampoline_kernelINS0_13select_configILj256ELj13ELNS0_17block_load_methodE3ELS4_3ELS4_3ELNS0_20block_scan_algorithmE0ELj4294967295EEENS1_25partition_config_selectorILNS1_17partition_subalgoE4EjNS0_10empty_typeEbEEZZNS1_14partition_implILS8_4ELb0ES6_15HIP_vector_typeIjLj2EENS0_17counting_iteratorIjlEEPS9_SG_NS0_5tupleIJPjSI_NS0_16reverse_iteratorISI_EEEEENSH_IJSG_SG_SG_EEES9_SI_JZNS1_25segmented_radix_sort_implINS0_14default_configELb1EPKfPfPKlPlN2at6native12_GLOBAL__N_18offset_tEEE10hipError_tPvRmT1_PNSt15iterator_traitsIS12_E10value_typeET2_T3_PNS13_IS18_E10value_typeET4_jRbjT5_S1E_jjP12ihipStream_tbEUljE_ZNSN_ISO_Lb1ESQ_SR_ST_SU_SY_EESZ_S10_S11_S12_S16_S17_S18_S1B_S1C_jS1D_jS1E_S1E_jjS1G_bEUljE0_EEESZ_S10_S11_S18_S1C_S1E_T6_T7_T9_mT8_S1G_bDpT10_ENKUlT_T0_E_clISt17integral_constantIbLb1EES1U_EEDaS1P_S1Q_EUlS1P_E_NS1_11comp_targetILNS1_3genE5ELNS1_11target_archE942ELNS1_3gpuE9ELNS1_3repE0EEENS1_30default_config_static_selectorELNS0_4arch9wavefront6targetE0EEEvS12_
		.amdhsa_group_segment_fixed_size 0
		.amdhsa_private_segment_fixed_size 0
		.amdhsa_kernarg_size 184
		.amdhsa_user_sgpr_count 15
		.amdhsa_user_sgpr_dispatch_ptr 0
		.amdhsa_user_sgpr_queue_ptr 0
		.amdhsa_user_sgpr_kernarg_segment_ptr 1
		.amdhsa_user_sgpr_dispatch_id 0
		.amdhsa_user_sgpr_private_segment_size 0
		.amdhsa_wavefront_size32 1
		.amdhsa_uses_dynamic_stack 0
		.amdhsa_enable_private_segment 0
		.amdhsa_system_sgpr_workgroup_id_x 1
		.amdhsa_system_sgpr_workgroup_id_y 0
		.amdhsa_system_sgpr_workgroup_id_z 0
		.amdhsa_system_sgpr_workgroup_info 0
		.amdhsa_system_vgpr_workitem_id 0
		.amdhsa_next_free_vgpr 1
		.amdhsa_next_free_sgpr 1
		.amdhsa_reserve_vcc 0
		.amdhsa_float_round_mode_32 0
		.amdhsa_float_round_mode_16_64 0
		.amdhsa_float_denorm_mode_32 3
		.amdhsa_float_denorm_mode_16_64 3
		.amdhsa_dx10_clamp 1
		.amdhsa_ieee_mode 1
		.amdhsa_fp16_overflow 0
		.amdhsa_workgroup_processor_mode 1
		.amdhsa_memory_ordered 1
		.amdhsa_forward_progress 0
		.amdhsa_shared_vgpr_count 0
		.amdhsa_exception_fp_ieee_invalid_op 0
		.amdhsa_exception_fp_denorm_src 0
		.amdhsa_exception_fp_ieee_div_zero 0
		.amdhsa_exception_fp_ieee_overflow 0
		.amdhsa_exception_fp_ieee_underflow 0
		.amdhsa_exception_fp_ieee_inexact 0
		.amdhsa_exception_int_div_zero 0
	.end_amdhsa_kernel
	.section	.text._ZN7rocprim17ROCPRIM_400000_NS6detail17trampoline_kernelINS0_13select_configILj256ELj13ELNS0_17block_load_methodE3ELS4_3ELS4_3ELNS0_20block_scan_algorithmE0ELj4294967295EEENS1_25partition_config_selectorILNS1_17partition_subalgoE4EjNS0_10empty_typeEbEEZZNS1_14partition_implILS8_4ELb0ES6_15HIP_vector_typeIjLj2EENS0_17counting_iteratorIjlEEPS9_SG_NS0_5tupleIJPjSI_NS0_16reverse_iteratorISI_EEEEENSH_IJSG_SG_SG_EEES9_SI_JZNS1_25segmented_radix_sort_implINS0_14default_configELb1EPKfPfPKlPlN2at6native12_GLOBAL__N_18offset_tEEE10hipError_tPvRmT1_PNSt15iterator_traitsIS12_E10value_typeET2_T3_PNS13_IS18_E10value_typeET4_jRbjT5_S1E_jjP12ihipStream_tbEUljE_ZNSN_ISO_Lb1ESQ_SR_ST_SU_SY_EESZ_S10_S11_S12_S16_S17_S18_S1B_S1C_jS1D_jS1E_S1E_jjS1G_bEUljE0_EEESZ_S10_S11_S18_S1C_S1E_T6_T7_T9_mT8_S1G_bDpT10_ENKUlT_T0_E_clISt17integral_constantIbLb1EES1U_EEDaS1P_S1Q_EUlS1P_E_NS1_11comp_targetILNS1_3genE5ELNS1_11target_archE942ELNS1_3gpuE9ELNS1_3repE0EEENS1_30default_config_static_selectorELNS0_4arch9wavefront6targetE0EEEvS12_,"axG",@progbits,_ZN7rocprim17ROCPRIM_400000_NS6detail17trampoline_kernelINS0_13select_configILj256ELj13ELNS0_17block_load_methodE3ELS4_3ELS4_3ELNS0_20block_scan_algorithmE0ELj4294967295EEENS1_25partition_config_selectorILNS1_17partition_subalgoE4EjNS0_10empty_typeEbEEZZNS1_14partition_implILS8_4ELb0ES6_15HIP_vector_typeIjLj2EENS0_17counting_iteratorIjlEEPS9_SG_NS0_5tupleIJPjSI_NS0_16reverse_iteratorISI_EEEEENSH_IJSG_SG_SG_EEES9_SI_JZNS1_25segmented_radix_sort_implINS0_14default_configELb1EPKfPfPKlPlN2at6native12_GLOBAL__N_18offset_tEEE10hipError_tPvRmT1_PNSt15iterator_traitsIS12_E10value_typeET2_T3_PNS13_IS18_E10value_typeET4_jRbjT5_S1E_jjP12ihipStream_tbEUljE_ZNSN_ISO_Lb1ESQ_SR_ST_SU_SY_EESZ_S10_S11_S12_S16_S17_S18_S1B_S1C_jS1D_jS1E_S1E_jjS1G_bEUljE0_EEESZ_S10_S11_S18_S1C_S1E_T6_T7_T9_mT8_S1G_bDpT10_ENKUlT_T0_E_clISt17integral_constantIbLb1EES1U_EEDaS1P_S1Q_EUlS1P_E_NS1_11comp_targetILNS1_3genE5ELNS1_11target_archE942ELNS1_3gpuE9ELNS1_3repE0EEENS1_30default_config_static_selectorELNS0_4arch9wavefront6targetE0EEEvS12_,comdat
.Lfunc_end1270:
	.size	_ZN7rocprim17ROCPRIM_400000_NS6detail17trampoline_kernelINS0_13select_configILj256ELj13ELNS0_17block_load_methodE3ELS4_3ELS4_3ELNS0_20block_scan_algorithmE0ELj4294967295EEENS1_25partition_config_selectorILNS1_17partition_subalgoE4EjNS0_10empty_typeEbEEZZNS1_14partition_implILS8_4ELb0ES6_15HIP_vector_typeIjLj2EENS0_17counting_iteratorIjlEEPS9_SG_NS0_5tupleIJPjSI_NS0_16reverse_iteratorISI_EEEEENSH_IJSG_SG_SG_EEES9_SI_JZNS1_25segmented_radix_sort_implINS0_14default_configELb1EPKfPfPKlPlN2at6native12_GLOBAL__N_18offset_tEEE10hipError_tPvRmT1_PNSt15iterator_traitsIS12_E10value_typeET2_T3_PNS13_IS18_E10value_typeET4_jRbjT5_S1E_jjP12ihipStream_tbEUljE_ZNSN_ISO_Lb1ESQ_SR_ST_SU_SY_EESZ_S10_S11_S12_S16_S17_S18_S1B_S1C_jS1D_jS1E_S1E_jjS1G_bEUljE0_EEESZ_S10_S11_S18_S1C_S1E_T6_T7_T9_mT8_S1G_bDpT10_ENKUlT_T0_E_clISt17integral_constantIbLb1EES1U_EEDaS1P_S1Q_EUlS1P_E_NS1_11comp_targetILNS1_3genE5ELNS1_11target_archE942ELNS1_3gpuE9ELNS1_3repE0EEENS1_30default_config_static_selectorELNS0_4arch9wavefront6targetE0EEEvS12_, .Lfunc_end1270-_ZN7rocprim17ROCPRIM_400000_NS6detail17trampoline_kernelINS0_13select_configILj256ELj13ELNS0_17block_load_methodE3ELS4_3ELS4_3ELNS0_20block_scan_algorithmE0ELj4294967295EEENS1_25partition_config_selectorILNS1_17partition_subalgoE4EjNS0_10empty_typeEbEEZZNS1_14partition_implILS8_4ELb0ES6_15HIP_vector_typeIjLj2EENS0_17counting_iteratorIjlEEPS9_SG_NS0_5tupleIJPjSI_NS0_16reverse_iteratorISI_EEEEENSH_IJSG_SG_SG_EEES9_SI_JZNS1_25segmented_radix_sort_implINS0_14default_configELb1EPKfPfPKlPlN2at6native12_GLOBAL__N_18offset_tEEE10hipError_tPvRmT1_PNSt15iterator_traitsIS12_E10value_typeET2_T3_PNS13_IS18_E10value_typeET4_jRbjT5_S1E_jjP12ihipStream_tbEUljE_ZNSN_ISO_Lb1ESQ_SR_ST_SU_SY_EESZ_S10_S11_S12_S16_S17_S18_S1B_S1C_jS1D_jS1E_S1E_jjS1G_bEUljE0_EEESZ_S10_S11_S18_S1C_S1E_T6_T7_T9_mT8_S1G_bDpT10_ENKUlT_T0_E_clISt17integral_constantIbLb1EES1U_EEDaS1P_S1Q_EUlS1P_E_NS1_11comp_targetILNS1_3genE5ELNS1_11target_archE942ELNS1_3gpuE9ELNS1_3repE0EEENS1_30default_config_static_selectorELNS0_4arch9wavefront6targetE0EEEvS12_
                                        ; -- End function
	.section	.AMDGPU.csdata,"",@progbits
; Kernel info:
; codeLenInByte = 0
; NumSgprs: 0
; NumVgprs: 0
; ScratchSize: 0
; MemoryBound: 0
; FloatMode: 240
; IeeeMode: 1
; LDSByteSize: 0 bytes/workgroup (compile time only)
; SGPRBlocks: 0
; VGPRBlocks: 0
; NumSGPRsForWavesPerEU: 1
; NumVGPRsForWavesPerEU: 1
; Occupancy: 16
; WaveLimiterHint : 0
; COMPUTE_PGM_RSRC2:SCRATCH_EN: 0
; COMPUTE_PGM_RSRC2:USER_SGPR: 15
; COMPUTE_PGM_RSRC2:TRAP_HANDLER: 0
; COMPUTE_PGM_RSRC2:TGID_X_EN: 1
; COMPUTE_PGM_RSRC2:TGID_Y_EN: 0
; COMPUTE_PGM_RSRC2:TGID_Z_EN: 0
; COMPUTE_PGM_RSRC2:TIDIG_COMP_CNT: 0
	.section	.text._ZN7rocprim17ROCPRIM_400000_NS6detail17trampoline_kernelINS0_13select_configILj256ELj13ELNS0_17block_load_methodE3ELS4_3ELS4_3ELNS0_20block_scan_algorithmE0ELj4294967295EEENS1_25partition_config_selectorILNS1_17partition_subalgoE4EjNS0_10empty_typeEbEEZZNS1_14partition_implILS8_4ELb0ES6_15HIP_vector_typeIjLj2EENS0_17counting_iteratorIjlEEPS9_SG_NS0_5tupleIJPjSI_NS0_16reverse_iteratorISI_EEEEENSH_IJSG_SG_SG_EEES9_SI_JZNS1_25segmented_radix_sort_implINS0_14default_configELb1EPKfPfPKlPlN2at6native12_GLOBAL__N_18offset_tEEE10hipError_tPvRmT1_PNSt15iterator_traitsIS12_E10value_typeET2_T3_PNS13_IS18_E10value_typeET4_jRbjT5_S1E_jjP12ihipStream_tbEUljE_ZNSN_ISO_Lb1ESQ_SR_ST_SU_SY_EESZ_S10_S11_S12_S16_S17_S18_S1B_S1C_jS1D_jS1E_S1E_jjS1G_bEUljE0_EEESZ_S10_S11_S18_S1C_S1E_T6_T7_T9_mT8_S1G_bDpT10_ENKUlT_T0_E_clISt17integral_constantIbLb1EES1U_EEDaS1P_S1Q_EUlS1P_E_NS1_11comp_targetILNS1_3genE4ELNS1_11target_archE910ELNS1_3gpuE8ELNS1_3repE0EEENS1_30default_config_static_selectorELNS0_4arch9wavefront6targetE0EEEvS12_,"axG",@progbits,_ZN7rocprim17ROCPRIM_400000_NS6detail17trampoline_kernelINS0_13select_configILj256ELj13ELNS0_17block_load_methodE3ELS4_3ELS4_3ELNS0_20block_scan_algorithmE0ELj4294967295EEENS1_25partition_config_selectorILNS1_17partition_subalgoE4EjNS0_10empty_typeEbEEZZNS1_14partition_implILS8_4ELb0ES6_15HIP_vector_typeIjLj2EENS0_17counting_iteratorIjlEEPS9_SG_NS0_5tupleIJPjSI_NS0_16reverse_iteratorISI_EEEEENSH_IJSG_SG_SG_EEES9_SI_JZNS1_25segmented_radix_sort_implINS0_14default_configELb1EPKfPfPKlPlN2at6native12_GLOBAL__N_18offset_tEEE10hipError_tPvRmT1_PNSt15iterator_traitsIS12_E10value_typeET2_T3_PNS13_IS18_E10value_typeET4_jRbjT5_S1E_jjP12ihipStream_tbEUljE_ZNSN_ISO_Lb1ESQ_SR_ST_SU_SY_EESZ_S10_S11_S12_S16_S17_S18_S1B_S1C_jS1D_jS1E_S1E_jjS1G_bEUljE0_EEESZ_S10_S11_S18_S1C_S1E_T6_T7_T9_mT8_S1G_bDpT10_ENKUlT_T0_E_clISt17integral_constantIbLb1EES1U_EEDaS1P_S1Q_EUlS1P_E_NS1_11comp_targetILNS1_3genE4ELNS1_11target_archE910ELNS1_3gpuE8ELNS1_3repE0EEENS1_30default_config_static_selectorELNS0_4arch9wavefront6targetE0EEEvS12_,comdat
	.globl	_ZN7rocprim17ROCPRIM_400000_NS6detail17trampoline_kernelINS0_13select_configILj256ELj13ELNS0_17block_load_methodE3ELS4_3ELS4_3ELNS0_20block_scan_algorithmE0ELj4294967295EEENS1_25partition_config_selectorILNS1_17partition_subalgoE4EjNS0_10empty_typeEbEEZZNS1_14partition_implILS8_4ELb0ES6_15HIP_vector_typeIjLj2EENS0_17counting_iteratorIjlEEPS9_SG_NS0_5tupleIJPjSI_NS0_16reverse_iteratorISI_EEEEENSH_IJSG_SG_SG_EEES9_SI_JZNS1_25segmented_radix_sort_implINS0_14default_configELb1EPKfPfPKlPlN2at6native12_GLOBAL__N_18offset_tEEE10hipError_tPvRmT1_PNSt15iterator_traitsIS12_E10value_typeET2_T3_PNS13_IS18_E10value_typeET4_jRbjT5_S1E_jjP12ihipStream_tbEUljE_ZNSN_ISO_Lb1ESQ_SR_ST_SU_SY_EESZ_S10_S11_S12_S16_S17_S18_S1B_S1C_jS1D_jS1E_S1E_jjS1G_bEUljE0_EEESZ_S10_S11_S18_S1C_S1E_T6_T7_T9_mT8_S1G_bDpT10_ENKUlT_T0_E_clISt17integral_constantIbLb1EES1U_EEDaS1P_S1Q_EUlS1P_E_NS1_11comp_targetILNS1_3genE4ELNS1_11target_archE910ELNS1_3gpuE8ELNS1_3repE0EEENS1_30default_config_static_selectorELNS0_4arch9wavefront6targetE0EEEvS12_ ; -- Begin function _ZN7rocprim17ROCPRIM_400000_NS6detail17trampoline_kernelINS0_13select_configILj256ELj13ELNS0_17block_load_methodE3ELS4_3ELS4_3ELNS0_20block_scan_algorithmE0ELj4294967295EEENS1_25partition_config_selectorILNS1_17partition_subalgoE4EjNS0_10empty_typeEbEEZZNS1_14partition_implILS8_4ELb0ES6_15HIP_vector_typeIjLj2EENS0_17counting_iteratorIjlEEPS9_SG_NS0_5tupleIJPjSI_NS0_16reverse_iteratorISI_EEEEENSH_IJSG_SG_SG_EEES9_SI_JZNS1_25segmented_radix_sort_implINS0_14default_configELb1EPKfPfPKlPlN2at6native12_GLOBAL__N_18offset_tEEE10hipError_tPvRmT1_PNSt15iterator_traitsIS12_E10value_typeET2_T3_PNS13_IS18_E10value_typeET4_jRbjT5_S1E_jjP12ihipStream_tbEUljE_ZNSN_ISO_Lb1ESQ_SR_ST_SU_SY_EESZ_S10_S11_S12_S16_S17_S18_S1B_S1C_jS1D_jS1E_S1E_jjS1G_bEUljE0_EEESZ_S10_S11_S18_S1C_S1E_T6_T7_T9_mT8_S1G_bDpT10_ENKUlT_T0_E_clISt17integral_constantIbLb1EES1U_EEDaS1P_S1Q_EUlS1P_E_NS1_11comp_targetILNS1_3genE4ELNS1_11target_archE910ELNS1_3gpuE8ELNS1_3repE0EEENS1_30default_config_static_selectorELNS0_4arch9wavefront6targetE0EEEvS12_
	.p2align	8
	.type	_ZN7rocprim17ROCPRIM_400000_NS6detail17trampoline_kernelINS0_13select_configILj256ELj13ELNS0_17block_load_methodE3ELS4_3ELS4_3ELNS0_20block_scan_algorithmE0ELj4294967295EEENS1_25partition_config_selectorILNS1_17partition_subalgoE4EjNS0_10empty_typeEbEEZZNS1_14partition_implILS8_4ELb0ES6_15HIP_vector_typeIjLj2EENS0_17counting_iteratorIjlEEPS9_SG_NS0_5tupleIJPjSI_NS0_16reverse_iteratorISI_EEEEENSH_IJSG_SG_SG_EEES9_SI_JZNS1_25segmented_radix_sort_implINS0_14default_configELb1EPKfPfPKlPlN2at6native12_GLOBAL__N_18offset_tEEE10hipError_tPvRmT1_PNSt15iterator_traitsIS12_E10value_typeET2_T3_PNS13_IS18_E10value_typeET4_jRbjT5_S1E_jjP12ihipStream_tbEUljE_ZNSN_ISO_Lb1ESQ_SR_ST_SU_SY_EESZ_S10_S11_S12_S16_S17_S18_S1B_S1C_jS1D_jS1E_S1E_jjS1G_bEUljE0_EEESZ_S10_S11_S18_S1C_S1E_T6_T7_T9_mT8_S1G_bDpT10_ENKUlT_T0_E_clISt17integral_constantIbLb1EES1U_EEDaS1P_S1Q_EUlS1P_E_NS1_11comp_targetILNS1_3genE4ELNS1_11target_archE910ELNS1_3gpuE8ELNS1_3repE0EEENS1_30default_config_static_selectorELNS0_4arch9wavefront6targetE0EEEvS12_,@function
_ZN7rocprim17ROCPRIM_400000_NS6detail17trampoline_kernelINS0_13select_configILj256ELj13ELNS0_17block_load_methodE3ELS4_3ELS4_3ELNS0_20block_scan_algorithmE0ELj4294967295EEENS1_25partition_config_selectorILNS1_17partition_subalgoE4EjNS0_10empty_typeEbEEZZNS1_14partition_implILS8_4ELb0ES6_15HIP_vector_typeIjLj2EENS0_17counting_iteratorIjlEEPS9_SG_NS0_5tupleIJPjSI_NS0_16reverse_iteratorISI_EEEEENSH_IJSG_SG_SG_EEES9_SI_JZNS1_25segmented_radix_sort_implINS0_14default_configELb1EPKfPfPKlPlN2at6native12_GLOBAL__N_18offset_tEEE10hipError_tPvRmT1_PNSt15iterator_traitsIS12_E10value_typeET2_T3_PNS13_IS18_E10value_typeET4_jRbjT5_S1E_jjP12ihipStream_tbEUljE_ZNSN_ISO_Lb1ESQ_SR_ST_SU_SY_EESZ_S10_S11_S12_S16_S17_S18_S1B_S1C_jS1D_jS1E_S1E_jjS1G_bEUljE0_EEESZ_S10_S11_S18_S1C_S1E_T6_T7_T9_mT8_S1G_bDpT10_ENKUlT_T0_E_clISt17integral_constantIbLb1EES1U_EEDaS1P_S1Q_EUlS1P_E_NS1_11comp_targetILNS1_3genE4ELNS1_11target_archE910ELNS1_3gpuE8ELNS1_3repE0EEENS1_30default_config_static_selectorELNS0_4arch9wavefront6targetE0EEEvS12_: ; @_ZN7rocprim17ROCPRIM_400000_NS6detail17trampoline_kernelINS0_13select_configILj256ELj13ELNS0_17block_load_methodE3ELS4_3ELS4_3ELNS0_20block_scan_algorithmE0ELj4294967295EEENS1_25partition_config_selectorILNS1_17partition_subalgoE4EjNS0_10empty_typeEbEEZZNS1_14partition_implILS8_4ELb0ES6_15HIP_vector_typeIjLj2EENS0_17counting_iteratorIjlEEPS9_SG_NS0_5tupleIJPjSI_NS0_16reverse_iteratorISI_EEEEENSH_IJSG_SG_SG_EEES9_SI_JZNS1_25segmented_radix_sort_implINS0_14default_configELb1EPKfPfPKlPlN2at6native12_GLOBAL__N_18offset_tEEE10hipError_tPvRmT1_PNSt15iterator_traitsIS12_E10value_typeET2_T3_PNS13_IS18_E10value_typeET4_jRbjT5_S1E_jjP12ihipStream_tbEUljE_ZNSN_ISO_Lb1ESQ_SR_ST_SU_SY_EESZ_S10_S11_S12_S16_S17_S18_S1B_S1C_jS1D_jS1E_S1E_jjS1G_bEUljE0_EEESZ_S10_S11_S18_S1C_S1E_T6_T7_T9_mT8_S1G_bDpT10_ENKUlT_T0_E_clISt17integral_constantIbLb1EES1U_EEDaS1P_S1Q_EUlS1P_E_NS1_11comp_targetILNS1_3genE4ELNS1_11target_archE910ELNS1_3gpuE8ELNS1_3repE0EEENS1_30default_config_static_selectorELNS0_4arch9wavefront6targetE0EEEvS12_
; %bb.0:
	.section	.rodata,"a",@progbits
	.p2align	6, 0x0
	.amdhsa_kernel _ZN7rocprim17ROCPRIM_400000_NS6detail17trampoline_kernelINS0_13select_configILj256ELj13ELNS0_17block_load_methodE3ELS4_3ELS4_3ELNS0_20block_scan_algorithmE0ELj4294967295EEENS1_25partition_config_selectorILNS1_17partition_subalgoE4EjNS0_10empty_typeEbEEZZNS1_14partition_implILS8_4ELb0ES6_15HIP_vector_typeIjLj2EENS0_17counting_iteratorIjlEEPS9_SG_NS0_5tupleIJPjSI_NS0_16reverse_iteratorISI_EEEEENSH_IJSG_SG_SG_EEES9_SI_JZNS1_25segmented_radix_sort_implINS0_14default_configELb1EPKfPfPKlPlN2at6native12_GLOBAL__N_18offset_tEEE10hipError_tPvRmT1_PNSt15iterator_traitsIS12_E10value_typeET2_T3_PNS13_IS18_E10value_typeET4_jRbjT5_S1E_jjP12ihipStream_tbEUljE_ZNSN_ISO_Lb1ESQ_SR_ST_SU_SY_EESZ_S10_S11_S12_S16_S17_S18_S1B_S1C_jS1D_jS1E_S1E_jjS1G_bEUljE0_EEESZ_S10_S11_S18_S1C_S1E_T6_T7_T9_mT8_S1G_bDpT10_ENKUlT_T0_E_clISt17integral_constantIbLb1EES1U_EEDaS1P_S1Q_EUlS1P_E_NS1_11comp_targetILNS1_3genE4ELNS1_11target_archE910ELNS1_3gpuE8ELNS1_3repE0EEENS1_30default_config_static_selectorELNS0_4arch9wavefront6targetE0EEEvS12_
		.amdhsa_group_segment_fixed_size 0
		.amdhsa_private_segment_fixed_size 0
		.amdhsa_kernarg_size 184
		.amdhsa_user_sgpr_count 15
		.amdhsa_user_sgpr_dispatch_ptr 0
		.amdhsa_user_sgpr_queue_ptr 0
		.amdhsa_user_sgpr_kernarg_segment_ptr 1
		.amdhsa_user_sgpr_dispatch_id 0
		.amdhsa_user_sgpr_private_segment_size 0
		.amdhsa_wavefront_size32 1
		.amdhsa_uses_dynamic_stack 0
		.amdhsa_enable_private_segment 0
		.amdhsa_system_sgpr_workgroup_id_x 1
		.amdhsa_system_sgpr_workgroup_id_y 0
		.amdhsa_system_sgpr_workgroup_id_z 0
		.amdhsa_system_sgpr_workgroup_info 0
		.amdhsa_system_vgpr_workitem_id 0
		.amdhsa_next_free_vgpr 1
		.amdhsa_next_free_sgpr 1
		.amdhsa_reserve_vcc 0
		.amdhsa_float_round_mode_32 0
		.amdhsa_float_round_mode_16_64 0
		.amdhsa_float_denorm_mode_32 3
		.amdhsa_float_denorm_mode_16_64 3
		.amdhsa_dx10_clamp 1
		.amdhsa_ieee_mode 1
		.amdhsa_fp16_overflow 0
		.amdhsa_workgroup_processor_mode 1
		.amdhsa_memory_ordered 1
		.amdhsa_forward_progress 0
		.amdhsa_shared_vgpr_count 0
		.amdhsa_exception_fp_ieee_invalid_op 0
		.amdhsa_exception_fp_denorm_src 0
		.amdhsa_exception_fp_ieee_div_zero 0
		.amdhsa_exception_fp_ieee_overflow 0
		.amdhsa_exception_fp_ieee_underflow 0
		.amdhsa_exception_fp_ieee_inexact 0
		.amdhsa_exception_int_div_zero 0
	.end_amdhsa_kernel
	.section	.text._ZN7rocprim17ROCPRIM_400000_NS6detail17trampoline_kernelINS0_13select_configILj256ELj13ELNS0_17block_load_methodE3ELS4_3ELS4_3ELNS0_20block_scan_algorithmE0ELj4294967295EEENS1_25partition_config_selectorILNS1_17partition_subalgoE4EjNS0_10empty_typeEbEEZZNS1_14partition_implILS8_4ELb0ES6_15HIP_vector_typeIjLj2EENS0_17counting_iteratorIjlEEPS9_SG_NS0_5tupleIJPjSI_NS0_16reverse_iteratorISI_EEEEENSH_IJSG_SG_SG_EEES9_SI_JZNS1_25segmented_radix_sort_implINS0_14default_configELb1EPKfPfPKlPlN2at6native12_GLOBAL__N_18offset_tEEE10hipError_tPvRmT1_PNSt15iterator_traitsIS12_E10value_typeET2_T3_PNS13_IS18_E10value_typeET4_jRbjT5_S1E_jjP12ihipStream_tbEUljE_ZNSN_ISO_Lb1ESQ_SR_ST_SU_SY_EESZ_S10_S11_S12_S16_S17_S18_S1B_S1C_jS1D_jS1E_S1E_jjS1G_bEUljE0_EEESZ_S10_S11_S18_S1C_S1E_T6_T7_T9_mT8_S1G_bDpT10_ENKUlT_T0_E_clISt17integral_constantIbLb1EES1U_EEDaS1P_S1Q_EUlS1P_E_NS1_11comp_targetILNS1_3genE4ELNS1_11target_archE910ELNS1_3gpuE8ELNS1_3repE0EEENS1_30default_config_static_selectorELNS0_4arch9wavefront6targetE0EEEvS12_,"axG",@progbits,_ZN7rocprim17ROCPRIM_400000_NS6detail17trampoline_kernelINS0_13select_configILj256ELj13ELNS0_17block_load_methodE3ELS4_3ELS4_3ELNS0_20block_scan_algorithmE0ELj4294967295EEENS1_25partition_config_selectorILNS1_17partition_subalgoE4EjNS0_10empty_typeEbEEZZNS1_14partition_implILS8_4ELb0ES6_15HIP_vector_typeIjLj2EENS0_17counting_iteratorIjlEEPS9_SG_NS0_5tupleIJPjSI_NS0_16reverse_iteratorISI_EEEEENSH_IJSG_SG_SG_EEES9_SI_JZNS1_25segmented_radix_sort_implINS0_14default_configELb1EPKfPfPKlPlN2at6native12_GLOBAL__N_18offset_tEEE10hipError_tPvRmT1_PNSt15iterator_traitsIS12_E10value_typeET2_T3_PNS13_IS18_E10value_typeET4_jRbjT5_S1E_jjP12ihipStream_tbEUljE_ZNSN_ISO_Lb1ESQ_SR_ST_SU_SY_EESZ_S10_S11_S12_S16_S17_S18_S1B_S1C_jS1D_jS1E_S1E_jjS1G_bEUljE0_EEESZ_S10_S11_S18_S1C_S1E_T6_T7_T9_mT8_S1G_bDpT10_ENKUlT_T0_E_clISt17integral_constantIbLb1EES1U_EEDaS1P_S1Q_EUlS1P_E_NS1_11comp_targetILNS1_3genE4ELNS1_11target_archE910ELNS1_3gpuE8ELNS1_3repE0EEENS1_30default_config_static_selectorELNS0_4arch9wavefront6targetE0EEEvS12_,comdat
.Lfunc_end1271:
	.size	_ZN7rocprim17ROCPRIM_400000_NS6detail17trampoline_kernelINS0_13select_configILj256ELj13ELNS0_17block_load_methodE3ELS4_3ELS4_3ELNS0_20block_scan_algorithmE0ELj4294967295EEENS1_25partition_config_selectorILNS1_17partition_subalgoE4EjNS0_10empty_typeEbEEZZNS1_14partition_implILS8_4ELb0ES6_15HIP_vector_typeIjLj2EENS0_17counting_iteratorIjlEEPS9_SG_NS0_5tupleIJPjSI_NS0_16reverse_iteratorISI_EEEEENSH_IJSG_SG_SG_EEES9_SI_JZNS1_25segmented_radix_sort_implINS0_14default_configELb1EPKfPfPKlPlN2at6native12_GLOBAL__N_18offset_tEEE10hipError_tPvRmT1_PNSt15iterator_traitsIS12_E10value_typeET2_T3_PNS13_IS18_E10value_typeET4_jRbjT5_S1E_jjP12ihipStream_tbEUljE_ZNSN_ISO_Lb1ESQ_SR_ST_SU_SY_EESZ_S10_S11_S12_S16_S17_S18_S1B_S1C_jS1D_jS1E_S1E_jjS1G_bEUljE0_EEESZ_S10_S11_S18_S1C_S1E_T6_T7_T9_mT8_S1G_bDpT10_ENKUlT_T0_E_clISt17integral_constantIbLb1EES1U_EEDaS1P_S1Q_EUlS1P_E_NS1_11comp_targetILNS1_3genE4ELNS1_11target_archE910ELNS1_3gpuE8ELNS1_3repE0EEENS1_30default_config_static_selectorELNS0_4arch9wavefront6targetE0EEEvS12_, .Lfunc_end1271-_ZN7rocprim17ROCPRIM_400000_NS6detail17trampoline_kernelINS0_13select_configILj256ELj13ELNS0_17block_load_methodE3ELS4_3ELS4_3ELNS0_20block_scan_algorithmE0ELj4294967295EEENS1_25partition_config_selectorILNS1_17partition_subalgoE4EjNS0_10empty_typeEbEEZZNS1_14partition_implILS8_4ELb0ES6_15HIP_vector_typeIjLj2EENS0_17counting_iteratorIjlEEPS9_SG_NS0_5tupleIJPjSI_NS0_16reverse_iteratorISI_EEEEENSH_IJSG_SG_SG_EEES9_SI_JZNS1_25segmented_radix_sort_implINS0_14default_configELb1EPKfPfPKlPlN2at6native12_GLOBAL__N_18offset_tEEE10hipError_tPvRmT1_PNSt15iterator_traitsIS12_E10value_typeET2_T3_PNS13_IS18_E10value_typeET4_jRbjT5_S1E_jjP12ihipStream_tbEUljE_ZNSN_ISO_Lb1ESQ_SR_ST_SU_SY_EESZ_S10_S11_S12_S16_S17_S18_S1B_S1C_jS1D_jS1E_S1E_jjS1G_bEUljE0_EEESZ_S10_S11_S18_S1C_S1E_T6_T7_T9_mT8_S1G_bDpT10_ENKUlT_T0_E_clISt17integral_constantIbLb1EES1U_EEDaS1P_S1Q_EUlS1P_E_NS1_11comp_targetILNS1_3genE4ELNS1_11target_archE910ELNS1_3gpuE8ELNS1_3repE0EEENS1_30default_config_static_selectorELNS0_4arch9wavefront6targetE0EEEvS12_
                                        ; -- End function
	.section	.AMDGPU.csdata,"",@progbits
; Kernel info:
; codeLenInByte = 0
; NumSgprs: 0
; NumVgprs: 0
; ScratchSize: 0
; MemoryBound: 0
; FloatMode: 240
; IeeeMode: 1
; LDSByteSize: 0 bytes/workgroup (compile time only)
; SGPRBlocks: 0
; VGPRBlocks: 0
; NumSGPRsForWavesPerEU: 1
; NumVGPRsForWavesPerEU: 1
; Occupancy: 16
; WaveLimiterHint : 0
; COMPUTE_PGM_RSRC2:SCRATCH_EN: 0
; COMPUTE_PGM_RSRC2:USER_SGPR: 15
; COMPUTE_PGM_RSRC2:TRAP_HANDLER: 0
; COMPUTE_PGM_RSRC2:TGID_X_EN: 1
; COMPUTE_PGM_RSRC2:TGID_Y_EN: 0
; COMPUTE_PGM_RSRC2:TGID_Z_EN: 0
; COMPUTE_PGM_RSRC2:TIDIG_COMP_CNT: 0
	.section	.text._ZN7rocprim17ROCPRIM_400000_NS6detail17trampoline_kernelINS0_13select_configILj256ELj13ELNS0_17block_load_methodE3ELS4_3ELS4_3ELNS0_20block_scan_algorithmE0ELj4294967295EEENS1_25partition_config_selectorILNS1_17partition_subalgoE4EjNS0_10empty_typeEbEEZZNS1_14partition_implILS8_4ELb0ES6_15HIP_vector_typeIjLj2EENS0_17counting_iteratorIjlEEPS9_SG_NS0_5tupleIJPjSI_NS0_16reverse_iteratorISI_EEEEENSH_IJSG_SG_SG_EEES9_SI_JZNS1_25segmented_radix_sort_implINS0_14default_configELb1EPKfPfPKlPlN2at6native12_GLOBAL__N_18offset_tEEE10hipError_tPvRmT1_PNSt15iterator_traitsIS12_E10value_typeET2_T3_PNS13_IS18_E10value_typeET4_jRbjT5_S1E_jjP12ihipStream_tbEUljE_ZNSN_ISO_Lb1ESQ_SR_ST_SU_SY_EESZ_S10_S11_S12_S16_S17_S18_S1B_S1C_jS1D_jS1E_S1E_jjS1G_bEUljE0_EEESZ_S10_S11_S18_S1C_S1E_T6_T7_T9_mT8_S1G_bDpT10_ENKUlT_T0_E_clISt17integral_constantIbLb1EES1U_EEDaS1P_S1Q_EUlS1P_E_NS1_11comp_targetILNS1_3genE3ELNS1_11target_archE908ELNS1_3gpuE7ELNS1_3repE0EEENS1_30default_config_static_selectorELNS0_4arch9wavefront6targetE0EEEvS12_,"axG",@progbits,_ZN7rocprim17ROCPRIM_400000_NS6detail17trampoline_kernelINS0_13select_configILj256ELj13ELNS0_17block_load_methodE3ELS4_3ELS4_3ELNS0_20block_scan_algorithmE0ELj4294967295EEENS1_25partition_config_selectorILNS1_17partition_subalgoE4EjNS0_10empty_typeEbEEZZNS1_14partition_implILS8_4ELb0ES6_15HIP_vector_typeIjLj2EENS0_17counting_iteratorIjlEEPS9_SG_NS0_5tupleIJPjSI_NS0_16reverse_iteratorISI_EEEEENSH_IJSG_SG_SG_EEES9_SI_JZNS1_25segmented_radix_sort_implINS0_14default_configELb1EPKfPfPKlPlN2at6native12_GLOBAL__N_18offset_tEEE10hipError_tPvRmT1_PNSt15iterator_traitsIS12_E10value_typeET2_T3_PNS13_IS18_E10value_typeET4_jRbjT5_S1E_jjP12ihipStream_tbEUljE_ZNSN_ISO_Lb1ESQ_SR_ST_SU_SY_EESZ_S10_S11_S12_S16_S17_S18_S1B_S1C_jS1D_jS1E_S1E_jjS1G_bEUljE0_EEESZ_S10_S11_S18_S1C_S1E_T6_T7_T9_mT8_S1G_bDpT10_ENKUlT_T0_E_clISt17integral_constantIbLb1EES1U_EEDaS1P_S1Q_EUlS1P_E_NS1_11comp_targetILNS1_3genE3ELNS1_11target_archE908ELNS1_3gpuE7ELNS1_3repE0EEENS1_30default_config_static_selectorELNS0_4arch9wavefront6targetE0EEEvS12_,comdat
	.globl	_ZN7rocprim17ROCPRIM_400000_NS6detail17trampoline_kernelINS0_13select_configILj256ELj13ELNS0_17block_load_methodE3ELS4_3ELS4_3ELNS0_20block_scan_algorithmE0ELj4294967295EEENS1_25partition_config_selectorILNS1_17partition_subalgoE4EjNS0_10empty_typeEbEEZZNS1_14partition_implILS8_4ELb0ES6_15HIP_vector_typeIjLj2EENS0_17counting_iteratorIjlEEPS9_SG_NS0_5tupleIJPjSI_NS0_16reverse_iteratorISI_EEEEENSH_IJSG_SG_SG_EEES9_SI_JZNS1_25segmented_radix_sort_implINS0_14default_configELb1EPKfPfPKlPlN2at6native12_GLOBAL__N_18offset_tEEE10hipError_tPvRmT1_PNSt15iterator_traitsIS12_E10value_typeET2_T3_PNS13_IS18_E10value_typeET4_jRbjT5_S1E_jjP12ihipStream_tbEUljE_ZNSN_ISO_Lb1ESQ_SR_ST_SU_SY_EESZ_S10_S11_S12_S16_S17_S18_S1B_S1C_jS1D_jS1E_S1E_jjS1G_bEUljE0_EEESZ_S10_S11_S18_S1C_S1E_T6_T7_T9_mT8_S1G_bDpT10_ENKUlT_T0_E_clISt17integral_constantIbLb1EES1U_EEDaS1P_S1Q_EUlS1P_E_NS1_11comp_targetILNS1_3genE3ELNS1_11target_archE908ELNS1_3gpuE7ELNS1_3repE0EEENS1_30default_config_static_selectorELNS0_4arch9wavefront6targetE0EEEvS12_ ; -- Begin function _ZN7rocprim17ROCPRIM_400000_NS6detail17trampoline_kernelINS0_13select_configILj256ELj13ELNS0_17block_load_methodE3ELS4_3ELS4_3ELNS0_20block_scan_algorithmE0ELj4294967295EEENS1_25partition_config_selectorILNS1_17partition_subalgoE4EjNS0_10empty_typeEbEEZZNS1_14partition_implILS8_4ELb0ES6_15HIP_vector_typeIjLj2EENS0_17counting_iteratorIjlEEPS9_SG_NS0_5tupleIJPjSI_NS0_16reverse_iteratorISI_EEEEENSH_IJSG_SG_SG_EEES9_SI_JZNS1_25segmented_radix_sort_implINS0_14default_configELb1EPKfPfPKlPlN2at6native12_GLOBAL__N_18offset_tEEE10hipError_tPvRmT1_PNSt15iterator_traitsIS12_E10value_typeET2_T3_PNS13_IS18_E10value_typeET4_jRbjT5_S1E_jjP12ihipStream_tbEUljE_ZNSN_ISO_Lb1ESQ_SR_ST_SU_SY_EESZ_S10_S11_S12_S16_S17_S18_S1B_S1C_jS1D_jS1E_S1E_jjS1G_bEUljE0_EEESZ_S10_S11_S18_S1C_S1E_T6_T7_T9_mT8_S1G_bDpT10_ENKUlT_T0_E_clISt17integral_constantIbLb1EES1U_EEDaS1P_S1Q_EUlS1P_E_NS1_11comp_targetILNS1_3genE3ELNS1_11target_archE908ELNS1_3gpuE7ELNS1_3repE0EEENS1_30default_config_static_selectorELNS0_4arch9wavefront6targetE0EEEvS12_
	.p2align	8
	.type	_ZN7rocprim17ROCPRIM_400000_NS6detail17trampoline_kernelINS0_13select_configILj256ELj13ELNS0_17block_load_methodE3ELS4_3ELS4_3ELNS0_20block_scan_algorithmE0ELj4294967295EEENS1_25partition_config_selectorILNS1_17partition_subalgoE4EjNS0_10empty_typeEbEEZZNS1_14partition_implILS8_4ELb0ES6_15HIP_vector_typeIjLj2EENS0_17counting_iteratorIjlEEPS9_SG_NS0_5tupleIJPjSI_NS0_16reverse_iteratorISI_EEEEENSH_IJSG_SG_SG_EEES9_SI_JZNS1_25segmented_radix_sort_implINS0_14default_configELb1EPKfPfPKlPlN2at6native12_GLOBAL__N_18offset_tEEE10hipError_tPvRmT1_PNSt15iterator_traitsIS12_E10value_typeET2_T3_PNS13_IS18_E10value_typeET4_jRbjT5_S1E_jjP12ihipStream_tbEUljE_ZNSN_ISO_Lb1ESQ_SR_ST_SU_SY_EESZ_S10_S11_S12_S16_S17_S18_S1B_S1C_jS1D_jS1E_S1E_jjS1G_bEUljE0_EEESZ_S10_S11_S18_S1C_S1E_T6_T7_T9_mT8_S1G_bDpT10_ENKUlT_T0_E_clISt17integral_constantIbLb1EES1U_EEDaS1P_S1Q_EUlS1P_E_NS1_11comp_targetILNS1_3genE3ELNS1_11target_archE908ELNS1_3gpuE7ELNS1_3repE0EEENS1_30default_config_static_selectorELNS0_4arch9wavefront6targetE0EEEvS12_,@function
_ZN7rocprim17ROCPRIM_400000_NS6detail17trampoline_kernelINS0_13select_configILj256ELj13ELNS0_17block_load_methodE3ELS4_3ELS4_3ELNS0_20block_scan_algorithmE0ELj4294967295EEENS1_25partition_config_selectorILNS1_17partition_subalgoE4EjNS0_10empty_typeEbEEZZNS1_14partition_implILS8_4ELb0ES6_15HIP_vector_typeIjLj2EENS0_17counting_iteratorIjlEEPS9_SG_NS0_5tupleIJPjSI_NS0_16reverse_iteratorISI_EEEEENSH_IJSG_SG_SG_EEES9_SI_JZNS1_25segmented_radix_sort_implINS0_14default_configELb1EPKfPfPKlPlN2at6native12_GLOBAL__N_18offset_tEEE10hipError_tPvRmT1_PNSt15iterator_traitsIS12_E10value_typeET2_T3_PNS13_IS18_E10value_typeET4_jRbjT5_S1E_jjP12ihipStream_tbEUljE_ZNSN_ISO_Lb1ESQ_SR_ST_SU_SY_EESZ_S10_S11_S12_S16_S17_S18_S1B_S1C_jS1D_jS1E_S1E_jjS1G_bEUljE0_EEESZ_S10_S11_S18_S1C_S1E_T6_T7_T9_mT8_S1G_bDpT10_ENKUlT_T0_E_clISt17integral_constantIbLb1EES1U_EEDaS1P_S1Q_EUlS1P_E_NS1_11comp_targetILNS1_3genE3ELNS1_11target_archE908ELNS1_3gpuE7ELNS1_3repE0EEENS1_30default_config_static_selectorELNS0_4arch9wavefront6targetE0EEEvS12_: ; @_ZN7rocprim17ROCPRIM_400000_NS6detail17trampoline_kernelINS0_13select_configILj256ELj13ELNS0_17block_load_methodE3ELS4_3ELS4_3ELNS0_20block_scan_algorithmE0ELj4294967295EEENS1_25partition_config_selectorILNS1_17partition_subalgoE4EjNS0_10empty_typeEbEEZZNS1_14partition_implILS8_4ELb0ES6_15HIP_vector_typeIjLj2EENS0_17counting_iteratorIjlEEPS9_SG_NS0_5tupleIJPjSI_NS0_16reverse_iteratorISI_EEEEENSH_IJSG_SG_SG_EEES9_SI_JZNS1_25segmented_radix_sort_implINS0_14default_configELb1EPKfPfPKlPlN2at6native12_GLOBAL__N_18offset_tEEE10hipError_tPvRmT1_PNSt15iterator_traitsIS12_E10value_typeET2_T3_PNS13_IS18_E10value_typeET4_jRbjT5_S1E_jjP12ihipStream_tbEUljE_ZNSN_ISO_Lb1ESQ_SR_ST_SU_SY_EESZ_S10_S11_S12_S16_S17_S18_S1B_S1C_jS1D_jS1E_S1E_jjS1G_bEUljE0_EEESZ_S10_S11_S18_S1C_S1E_T6_T7_T9_mT8_S1G_bDpT10_ENKUlT_T0_E_clISt17integral_constantIbLb1EES1U_EEDaS1P_S1Q_EUlS1P_E_NS1_11comp_targetILNS1_3genE3ELNS1_11target_archE908ELNS1_3gpuE7ELNS1_3repE0EEENS1_30default_config_static_selectorELNS0_4arch9wavefront6targetE0EEEvS12_
; %bb.0:
	.section	.rodata,"a",@progbits
	.p2align	6, 0x0
	.amdhsa_kernel _ZN7rocprim17ROCPRIM_400000_NS6detail17trampoline_kernelINS0_13select_configILj256ELj13ELNS0_17block_load_methodE3ELS4_3ELS4_3ELNS0_20block_scan_algorithmE0ELj4294967295EEENS1_25partition_config_selectorILNS1_17partition_subalgoE4EjNS0_10empty_typeEbEEZZNS1_14partition_implILS8_4ELb0ES6_15HIP_vector_typeIjLj2EENS0_17counting_iteratorIjlEEPS9_SG_NS0_5tupleIJPjSI_NS0_16reverse_iteratorISI_EEEEENSH_IJSG_SG_SG_EEES9_SI_JZNS1_25segmented_radix_sort_implINS0_14default_configELb1EPKfPfPKlPlN2at6native12_GLOBAL__N_18offset_tEEE10hipError_tPvRmT1_PNSt15iterator_traitsIS12_E10value_typeET2_T3_PNS13_IS18_E10value_typeET4_jRbjT5_S1E_jjP12ihipStream_tbEUljE_ZNSN_ISO_Lb1ESQ_SR_ST_SU_SY_EESZ_S10_S11_S12_S16_S17_S18_S1B_S1C_jS1D_jS1E_S1E_jjS1G_bEUljE0_EEESZ_S10_S11_S18_S1C_S1E_T6_T7_T9_mT8_S1G_bDpT10_ENKUlT_T0_E_clISt17integral_constantIbLb1EES1U_EEDaS1P_S1Q_EUlS1P_E_NS1_11comp_targetILNS1_3genE3ELNS1_11target_archE908ELNS1_3gpuE7ELNS1_3repE0EEENS1_30default_config_static_selectorELNS0_4arch9wavefront6targetE0EEEvS12_
		.amdhsa_group_segment_fixed_size 0
		.amdhsa_private_segment_fixed_size 0
		.amdhsa_kernarg_size 184
		.amdhsa_user_sgpr_count 15
		.amdhsa_user_sgpr_dispatch_ptr 0
		.amdhsa_user_sgpr_queue_ptr 0
		.amdhsa_user_sgpr_kernarg_segment_ptr 1
		.amdhsa_user_sgpr_dispatch_id 0
		.amdhsa_user_sgpr_private_segment_size 0
		.amdhsa_wavefront_size32 1
		.amdhsa_uses_dynamic_stack 0
		.amdhsa_enable_private_segment 0
		.amdhsa_system_sgpr_workgroup_id_x 1
		.amdhsa_system_sgpr_workgroup_id_y 0
		.amdhsa_system_sgpr_workgroup_id_z 0
		.amdhsa_system_sgpr_workgroup_info 0
		.amdhsa_system_vgpr_workitem_id 0
		.amdhsa_next_free_vgpr 1
		.amdhsa_next_free_sgpr 1
		.amdhsa_reserve_vcc 0
		.amdhsa_float_round_mode_32 0
		.amdhsa_float_round_mode_16_64 0
		.amdhsa_float_denorm_mode_32 3
		.amdhsa_float_denorm_mode_16_64 3
		.amdhsa_dx10_clamp 1
		.amdhsa_ieee_mode 1
		.amdhsa_fp16_overflow 0
		.amdhsa_workgroup_processor_mode 1
		.amdhsa_memory_ordered 1
		.amdhsa_forward_progress 0
		.amdhsa_shared_vgpr_count 0
		.amdhsa_exception_fp_ieee_invalid_op 0
		.amdhsa_exception_fp_denorm_src 0
		.amdhsa_exception_fp_ieee_div_zero 0
		.amdhsa_exception_fp_ieee_overflow 0
		.amdhsa_exception_fp_ieee_underflow 0
		.amdhsa_exception_fp_ieee_inexact 0
		.amdhsa_exception_int_div_zero 0
	.end_amdhsa_kernel
	.section	.text._ZN7rocprim17ROCPRIM_400000_NS6detail17trampoline_kernelINS0_13select_configILj256ELj13ELNS0_17block_load_methodE3ELS4_3ELS4_3ELNS0_20block_scan_algorithmE0ELj4294967295EEENS1_25partition_config_selectorILNS1_17partition_subalgoE4EjNS0_10empty_typeEbEEZZNS1_14partition_implILS8_4ELb0ES6_15HIP_vector_typeIjLj2EENS0_17counting_iteratorIjlEEPS9_SG_NS0_5tupleIJPjSI_NS0_16reverse_iteratorISI_EEEEENSH_IJSG_SG_SG_EEES9_SI_JZNS1_25segmented_radix_sort_implINS0_14default_configELb1EPKfPfPKlPlN2at6native12_GLOBAL__N_18offset_tEEE10hipError_tPvRmT1_PNSt15iterator_traitsIS12_E10value_typeET2_T3_PNS13_IS18_E10value_typeET4_jRbjT5_S1E_jjP12ihipStream_tbEUljE_ZNSN_ISO_Lb1ESQ_SR_ST_SU_SY_EESZ_S10_S11_S12_S16_S17_S18_S1B_S1C_jS1D_jS1E_S1E_jjS1G_bEUljE0_EEESZ_S10_S11_S18_S1C_S1E_T6_T7_T9_mT8_S1G_bDpT10_ENKUlT_T0_E_clISt17integral_constantIbLb1EES1U_EEDaS1P_S1Q_EUlS1P_E_NS1_11comp_targetILNS1_3genE3ELNS1_11target_archE908ELNS1_3gpuE7ELNS1_3repE0EEENS1_30default_config_static_selectorELNS0_4arch9wavefront6targetE0EEEvS12_,"axG",@progbits,_ZN7rocprim17ROCPRIM_400000_NS6detail17trampoline_kernelINS0_13select_configILj256ELj13ELNS0_17block_load_methodE3ELS4_3ELS4_3ELNS0_20block_scan_algorithmE0ELj4294967295EEENS1_25partition_config_selectorILNS1_17partition_subalgoE4EjNS0_10empty_typeEbEEZZNS1_14partition_implILS8_4ELb0ES6_15HIP_vector_typeIjLj2EENS0_17counting_iteratorIjlEEPS9_SG_NS0_5tupleIJPjSI_NS0_16reverse_iteratorISI_EEEEENSH_IJSG_SG_SG_EEES9_SI_JZNS1_25segmented_radix_sort_implINS0_14default_configELb1EPKfPfPKlPlN2at6native12_GLOBAL__N_18offset_tEEE10hipError_tPvRmT1_PNSt15iterator_traitsIS12_E10value_typeET2_T3_PNS13_IS18_E10value_typeET4_jRbjT5_S1E_jjP12ihipStream_tbEUljE_ZNSN_ISO_Lb1ESQ_SR_ST_SU_SY_EESZ_S10_S11_S12_S16_S17_S18_S1B_S1C_jS1D_jS1E_S1E_jjS1G_bEUljE0_EEESZ_S10_S11_S18_S1C_S1E_T6_T7_T9_mT8_S1G_bDpT10_ENKUlT_T0_E_clISt17integral_constantIbLb1EES1U_EEDaS1P_S1Q_EUlS1P_E_NS1_11comp_targetILNS1_3genE3ELNS1_11target_archE908ELNS1_3gpuE7ELNS1_3repE0EEENS1_30default_config_static_selectorELNS0_4arch9wavefront6targetE0EEEvS12_,comdat
.Lfunc_end1272:
	.size	_ZN7rocprim17ROCPRIM_400000_NS6detail17trampoline_kernelINS0_13select_configILj256ELj13ELNS0_17block_load_methodE3ELS4_3ELS4_3ELNS0_20block_scan_algorithmE0ELj4294967295EEENS1_25partition_config_selectorILNS1_17partition_subalgoE4EjNS0_10empty_typeEbEEZZNS1_14partition_implILS8_4ELb0ES6_15HIP_vector_typeIjLj2EENS0_17counting_iteratorIjlEEPS9_SG_NS0_5tupleIJPjSI_NS0_16reverse_iteratorISI_EEEEENSH_IJSG_SG_SG_EEES9_SI_JZNS1_25segmented_radix_sort_implINS0_14default_configELb1EPKfPfPKlPlN2at6native12_GLOBAL__N_18offset_tEEE10hipError_tPvRmT1_PNSt15iterator_traitsIS12_E10value_typeET2_T3_PNS13_IS18_E10value_typeET4_jRbjT5_S1E_jjP12ihipStream_tbEUljE_ZNSN_ISO_Lb1ESQ_SR_ST_SU_SY_EESZ_S10_S11_S12_S16_S17_S18_S1B_S1C_jS1D_jS1E_S1E_jjS1G_bEUljE0_EEESZ_S10_S11_S18_S1C_S1E_T6_T7_T9_mT8_S1G_bDpT10_ENKUlT_T0_E_clISt17integral_constantIbLb1EES1U_EEDaS1P_S1Q_EUlS1P_E_NS1_11comp_targetILNS1_3genE3ELNS1_11target_archE908ELNS1_3gpuE7ELNS1_3repE0EEENS1_30default_config_static_selectorELNS0_4arch9wavefront6targetE0EEEvS12_, .Lfunc_end1272-_ZN7rocprim17ROCPRIM_400000_NS6detail17trampoline_kernelINS0_13select_configILj256ELj13ELNS0_17block_load_methodE3ELS4_3ELS4_3ELNS0_20block_scan_algorithmE0ELj4294967295EEENS1_25partition_config_selectorILNS1_17partition_subalgoE4EjNS0_10empty_typeEbEEZZNS1_14partition_implILS8_4ELb0ES6_15HIP_vector_typeIjLj2EENS0_17counting_iteratorIjlEEPS9_SG_NS0_5tupleIJPjSI_NS0_16reverse_iteratorISI_EEEEENSH_IJSG_SG_SG_EEES9_SI_JZNS1_25segmented_radix_sort_implINS0_14default_configELb1EPKfPfPKlPlN2at6native12_GLOBAL__N_18offset_tEEE10hipError_tPvRmT1_PNSt15iterator_traitsIS12_E10value_typeET2_T3_PNS13_IS18_E10value_typeET4_jRbjT5_S1E_jjP12ihipStream_tbEUljE_ZNSN_ISO_Lb1ESQ_SR_ST_SU_SY_EESZ_S10_S11_S12_S16_S17_S18_S1B_S1C_jS1D_jS1E_S1E_jjS1G_bEUljE0_EEESZ_S10_S11_S18_S1C_S1E_T6_T7_T9_mT8_S1G_bDpT10_ENKUlT_T0_E_clISt17integral_constantIbLb1EES1U_EEDaS1P_S1Q_EUlS1P_E_NS1_11comp_targetILNS1_3genE3ELNS1_11target_archE908ELNS1_3gpuE7ELNS1_3repE0EEENS1_30default_config_static_selectorELNS0_4arch9wavefront6targetE0EEEvS12_
                                        ; -- End function
	.section	.AMDGPU.csdata,"",@progbits
; Kernel info:
; codeLenInByte = 0
; NumSgprs: 0
; NumVgprs: 0
; ScratchSize: 0
; MemoryBound: 0
; FloatMode: 240
; IeeeMode: 1
; LDSByteSize: 0 bytes/workgroup (compile time only)
; SGPRBlocks: 0
; VGPRBlocks: 0
; NumSGPRsForWavesPerEU: 1
; NumVGPRsForWavesPerEU: 1
; Occupancy: 16
; WaveLimiterHint : 0
; COMPUTE_PGM_RSRC2:SCRATCH_EN: 0
; COMPUTE_PGM_RSRC2:USER_SGPR: 15
; COMPUTE_PGM_RSRC2:TRAP_HANDLER: 0
; COMPUTE_PGM_RSRC2:TGID_X_EN: 1
; COMPUTE_PGM_RSRC2:TGID_Y_EN: 0
; COMPUTE_PGM_RSRC2:TGID_Z_EN: 0
; COMPUTE_PGM_RSRC2:TIDIG_COMP_CNT: 0
	.section	.text._ZN7rocprim17ROCPRIM_400000_NS6detail17trampoline_kernelINS0_13select_configILj256ELj13ELNS0_17block_load_methodE3ELS4_3ELS4_3ELNS0_20block_scan_algorithmE0ELj4294967295EEENS1_25partition_config_selectorILNS1_17partition_subalgoE4EjNS0_10empty_typeEbEEZZNS1_14partition_implILS8_4ELb0ES6_15HIP_vector_typeIjLj2EENS0_17counting_iteratorIjlEEPS9_SG_NS0_5tupleIJPjSI_NS0_16reverse_iteratorISI_EEEEENSH_IJSG_SG_SG_EEES9_SI_JZNS1_25segmented_radix_sort_implINS0_14default_configELb1EPKfPfPKlPlN2at6native12_GLOBAL__N_18offset_tEEE10hipError_tPvRmT1_PNSt15iterator_traitsIS12_E10value_typeET2_T3_PNS13_IS18_E10value_typeET4_jRbjT5_S1E_jjP12ihipStream_tbEUljE_ZNSN_ISO_Lb1ESQ_SR_ST_SU_SY_EESZ_S10_S11_S12_S16_S17_S18_S1B_S1C_jS1D_jS1E_S1E_jjS1G_bEUljE0_EEESZ_S10_S11_S18_S1C_S1E_T6_T7_T9_mT8_S1G_bDpT10_ENKUlT_T0_E_clISt17integral_constantIbLb1EES1U_EEDaS1P_S1Q_EUlS1P_E_NS1_11comp_targetILNS1_3genE2ELNS1_11target_archE906ELNS1_3gpuE6ELNS1_3repE0EEENS1_30default_config_static_selectorELNS0_4arch9wavefront6targetE0EEEvS12_,"axG",@progbits,_ZN7rocprim17ROCPRIM_400000_NS6detail17trampoline_kernelINS0_13select_configILj256ELj13ELNS0_17block_load_methodE3ELS4_3ELS4_3ELNS0_20block_scan_algorithmE0ELj4294967295EEENS1_25partition_config_selectorILNS1_17partition_subalgoE4EjNS0_10empty_typeEbEEZZNS1_14partition_implILS8_4ELb0ES6_15HIP_vector_typeIjLj2EENS0_17counting_iteratorIjlEEPS9_SG_NS0_5tupleIJPjSI_NS0_16reverse_iteratorISI_EEEEENSH_IJSG_SG_SG_EEES9_SI_JZNS1_25segmented_radix_sort_implINS0_14default_configELb1EPKfPfPKlPlN2at6native12_GLOBAL__N_18offset_tEEE10hipError_tPvRmT1_PNSt15iterator_traitsIS12_E10value_typeET2_T3_PNS13_IS18_E10value_typeET4_jRbjT5_S1E_jjP12ihipStream_tbEUljE_ZNSN_ISO_Lb1ESQ_SR_ST_SU_SY_EESZ_S10_S11_S12_S16_S17_S18_S1B_S1C_jS1D_jS1E_S1E_jjS1G_bEUljE0_EEESZ_S10_S11_S18_S1C_S1E_T6_T7_T9_mT8_S1G_bDpT10_ENKUlT_T0_E_clISt17integral_constantIbLb1EES1U_EEDaS1P_S1Q_EUlS1P_E_NS1_11comp_targetILNS1_3genE2ELNS1_11target_archE906ELNS1_3gpuE6ELNS1_3repE0EEENS1_30default_config_static_selectorELNS0_4arch9wavefront6targetE0EEEvS12_,comdat
	.globl	_ZN7rocprim17ROCPRIM_400000_NS6detail17trampoline_kernelINS0_13select_configILj256ELj13ELNS0_17block_load_methodE3ELS4_3ELS4_3ELNS0_20block_scan_algorithmE0ELj4294967295EEENS1_25partition_config_selectorILNS1_17partition_subalgoE4EjNS0_10empty_typeEbEEZZNS1_14partition_implILS8_4ELb0ES6_15HIP_vector_typeIjLj2EENS0_17counting_iteratorIjlEEPS9_SG_NS0_5tupleIJPjSI_NS0_16reverse_iteratorISI_EEEEENSH_IJSG_SG_SG_EEES9_SI_JZNS1_25segmented_radix_sort_implINS0_14default_configELb1EPKfPfPKlPlN2at6native12_GLOBAL__N_18offset_tEEE10hipError_tPvRmT1_PNSt15iterator_traitsIS12_E10value_typeET2_T3_PNS13_IS18_E10value_typeET4_jRbjT5_S1E_jjP12ihipStream_tbEUljE_ZNSN_ISO_Lb1ESQ_SR_ST_SU_SY_EESZ_S10_S11_S12_S16_S17_S18_S1B_S1C_jS1D_jS1E_S1E_jjS1G_bEUljE0_EEESZ_S10_S11_S18_S1C_S1E_T6_T7_T9_mT8_S1G_bDpT10_ENKUlT_T0_E_clISt17integral_constantIbLb1EES1U_EEDaS1P_S1Q_EUlS1P_E_NS1_11comp_targetILNS1_3genE2ELNS1_11target_archE906ELNS1_3gpuE6ELNS1_3repE0EEENS1_30default_config_static_selectorELNS0_4arch9wavefront6targetE0EEEvS12_ ; -- Begin function _ZN7rocprim17ROCPRIM_400000_NS6detail17trampoline_kernelINS0_13select_configILj256ELj13ELNS0_17block_load_methodE3ELS4_3ELS4_3ELNS0_20block_scan_algorithmE0ELj4294967295EEENS1_25partition_config_selectorILNS1_17partition_subalgoE4EjNS0_10empty_typeEbEEZZNS1_14partition_implILS8_4ELb0ES6_15HIP_vector_typeIjLj2EENS0_17counting_iteratorIjlEEPS9_SG_NS0_5tupleIJPjSI_NS0_16reverse_iteratorISI_EEEEENSH_IJSG_SG_SG_EEES9_SI_JZNS1_25segmented_radix_sort_implINS0_14default_configELb1EPKfPfPKlPlN2at6native12_GLOBAL__N_18offset_tEEE10hipError_tPvRmT1_PNSt15iterator_traitsIS12_E10value_typeET2_T3_PNS13_IS18_E10value_typeET4_jRbjT5_S1E_jjP12ihipStream_tbEUljE_ZNSN_ISO_Lb1ESQ_SR_ST_SU_SY_EESZ_S10_S11_S12_S16_S17_S18_S1B_S1C_jS1D_jS1E_S1E_jjS1G_bEUljE0_EEESZ_S10_S11_S18_S1C_S1E_T6_T7_T9_mT8_S1G_bDpT10_ENKUlT_T0_E_clISt17integral_constantIbLb1EES1U_EEDaS1P_S1Q_EUlS1P_E_NS1_11comp_targetILNS1_3genE2ELNS1_11target_archE906ELNS1_3gpuE6ELNS1_3repE0EEENS1_30default_config_static_selectorELNS0_4arch9wavefront6targetE0EEEvS12_
	.p2align	8
	.type	_ZN7rocprim17ROCPRIM_400000_NS6detail17trampoline_kernelINS0_13select_configILj256ELj13ELNS0_17block_load_methodE3ELS4_3ELS4_3ELNS0_20block_scan_algorithmE0ELj4294967295EEENS1_25partition_config_selectorILNS1_17partition_subalgoE4EjNS0_10empty_typeEbEEZZNS1_14partition_implILS8_4ELb0ES6_15HIP_vector_typeIjLj2EENS0_17counting_iteratorIjlEEPS9_SG_NS0_5tupleIJPjSI_NS0_16reverse_iteratorISI_EEEEENSH_IJSG_SG_SG_EEES9_SI_JZNS1_25segmented_radix_sort_implINS0_14default_configELb1EPKfPfPKlPlN2at6native12_GLOBAL__N_18offset_tEEE10hipError_tPvRmT1_PNSt15iterator_traitsIS12_E10value_typeET2_T3_PNS13_IS18_E10value_typeET4_jRbjT5_S1E_jjP12ihipStream_tbEUljE_ZNSN_ISO_Lb1ESQ_SR_ST_SU_SY_EESZ_S10_S11_S12_S16_S17_S18_S1B_S1C_jS1D_jS1E_S1E_jjS1G_bEUljE0_EEESZ_S10_S11_S18_S1C_S1E_T6_T7_T9_mT8_S1G_bDpT10_ENKUlT_T0_E_clISt17integral_constantIbLb1EES1U_EEDaS1P_S1Q_EUlS1P_E_NS1_11comp_targetILNS1_3genE2ELNS1_11target_archE906ELNS1_3gpuE6ELNS1_3repE0EEENS1_30default_config_static_selectorELNS0_4arch9wavefront6targetE0EEEvS12_,@function
_ZN7rocprim17ROCPRIM_400000_NS6detail17trampoline_kernelINS0_13select_configILj256ELj13ELNS0_17block_load_methodE3ELS4_3ELS4_3ELNS0_20block_scan_algorithmE0ELj4294967295EEENS1_25partition_config_selectorILNS1_17partition_subalgoE4EjNS0_10empty_typeEbEEZZNS1_14partition_implILS8_4ELb0ES6_15HIP_vector_typeIjLj2EENS0_17counting_iteratorIjlEEPS9_SG_NS0_5tupleIJPjSI_NS0_16reverse_iteratorISI_EEEEENSH_IJSG_SG_SG_EEES9_SI_JZNS1_25segmented_radix_sort_implINS0_14default_configELb1EPKfPfPKlPlN2at6native12_GLOBAL__N_18offset_tEEE10hipError_tPvRmT1_PNSt15iterator_traitsIS12_E10value_typeET2_T3_PNS13_IS18_E10value_typeET4_jRbjT5_S1E_jjP12ihipStream_tbEUljE_ZNSN_ISO_Lb1ESQ_SR_ST_SU_SY_EESZ_S10_S11_S12_S16_S17_S18_S1B_S1C_jS1D_jS1E_S1E_jjS1G_bEUljE0_EEESZ_S10_S11_S18_S1C_S1E_T6_T7_T9_mT8_S1G_bDpT10_ENKUlT_T0_E_clISt17integral_constantIbLb1EES1U_EEDaS1P_S1Q_EUlS1P_E_NS1_11comp_targetILNS1_3genE2ELNS1_11target_archE906ELNS1_3gpuE6ELNS1_3repE0EEENS1_30default_config_static_selectorELNS0_4arch9wavefront6targetE0EEEvS12_: ; @_ZN7rocprim17ROCPRIM_400000_NS6detail17trampoline_kernelINS0_13select_configILj256ELj13ELNS0_17block_load_methodE3ELS4_3ELS4_3ELNS0_20block_scan_algorithmE0ELj4294967295EEENS1_25partition_config_selectorILNS1_17partition_subalgoE4EjNS0_10empty_typeEbEEZZNS1_14partition_implILS8_4ELb0ES6_15HIP_vector_typeIjLj2EENS0_17counting_iteratorIjlEEPS9_SG_NS0_5tupleIJPjSI_NS0_16reverse_iteratorISI_EEEEENSH_IJSG_SG_SG_EEES9_SI_JZNS1_25segmented_radix_sort_implINS0_14default_configELb1EPKfPfPKlPlN2at6native12_GLOBAL__N_18offset_tEEE10hipError_tPvRmT1_PNSt15iterator_traitsIS12_E10value_typeET2_T3_PNS13_IS18_E10value_typeET4_jRbjT5_S1E_jjP12ihipStream_tbEUljE_ZNSN_ISO_Lb1ESQ_SR_ST_SU_SY_EESZ_S10_S11_S12_S16_S17_S18_S1B_S1C_jS1D_jS1E_S1E_jjS1G_bEUljE0_EEESZ_S10_S11_S18_S1C_S1E_T6_T7_T9_mT8_S1G_bDpT10_ENKUlT_T0_E_clISt17integral_constantIbLb1EES1U_EEDaS1P_S1Q_EUlS1P_E_NS1_11comp_targetILNS1_3genE2ELNS1_11target_archE906ELNS1_3gpuE6ELNS1_3repE0EEENS1_30default_config_static_selectorELNS0_4arch9wavefront6targetE0EEEvS12_
; %bb.0:
	.section	.rodata,"a",@progbits
	.p2align	6, 0x0
	.amdhsa_kernel _ZN7rocprim17ROCPRIM_400000_NS6detail17trampoline_kernelINS0_13select_configILj256ELj13ELNS0_17block_load_methodE3ELS4_3ELS4_3ELNS0_20block_scan_algorithmE0ELj4294967295EEENS1_25partition_config_selectorILNS1_17partition_subalgoE4EjNS0_10empty_typeEbEEZZNS1_14partition_implILS8_4ELb0ES6_15HIP_vector_typeIjLj2EENS0_17counting_iteratorIjlEEPS9_SG_NS0_5tupleIJPjSI_NS0_16reverse_iteratorISI_EEEEENSH_IJSG_SG_SG_EEES9_SI_JZNS1_25segmented_radix_sort_implINS0_14default_configELb1EPKfPfPKlPlN2at6native12_GLOBAL__N_18offset_tEEE10hipError_tPvRmT1_PNSt15iterator_traitsIS12_E10value_typeET2_T3_PNS13_IS18_E10value_typeET4_jRbjT5_S1E_jjP12ihipStream_tbEUljE_ZNSN_ISO_Lb1ESQ_SR_ST_SU_SY_EESZ_S10_S11_S12_S16_S17_S18_S1B_S1C_jS1D_jS1E_S1E_jjS1G_bEUljE0_EEESZ_S10_S11_S18_S1C_S1E_T6_T7_T9_mT8_S1G_bDpT10_ENKUlT_T0_E_clISt17integral_constantIbLb1EES1U_EEDaS1P_S1Q_EUlS1P_E_NS1_11comp_targetILNS1_3genE2ELNS1_11target_archE906ELNS1_3gpuE6ELNS1_3repE0EEENS1_30default_config_static_selectorELNS0_4arch9wavefront6targetE0EEEvS12_
		.amdhsa_group_segment_fixed_size 0
		.amdhsa_private_segment_fixed_size 0
		.amdhsa_kernarg_size 184
		.amdhsa_user_sgpr_count 15
		.amdhsa_user_sgpr_dispatch_ptr 0
		.amdhsa_user_sgpr_queue_ptr 0
		.amdhsa_user_sgpr_kernarg_segment_ptr 1
		.amdhsa_user_sgpr_dispatch_id 0
		.amdhsa_user_sgpr_private_segment_size 0
		.amdhsa_wavefront_size32 1
		.amdhsa_uses_dynamic_stack 0
		.amdhsa_enable_private_segment 0
		.amdhsa_system_sgpr_workgroup_id_x 1
		.amdhsa_system_sgpr_workgroup_id_y 0
		.amdhsa_system_sgpr_workgroup_id_z 0
		.amdhsa_system_sgpr_workgroup_info 0
		.amdhsa_system_vgpr_workitem_id 0
		.amdhsa_next_free_vgpr 1
		.amdhsa_next_free_sgpr 1
		.amdhsa_reserve_vcc 0
		.amdhsa_float_round_mode_32 0
		.amdhsa_float_round_mode_16_64 0
		.amdhsa_float_denorm_mode_32 3
		.amdhsa_float_denorm_mode_16_64 3
		.amdhsa_dx10_clamp 1
		.amdhsa_ieee_mode 1
		.amdhsa_fp16_overflow 0
		.amdhsa_workgroup_processor_mode 1
		.amdhsa_memory_ordered 1
		.amdhsa_forward_progress 0
		.amdhsa_shared_vgpr_count 0
		.amdhsa_exception_fp_ieee_invalid_op 0
		.amdhsa_exception_fp_denorm_src 0
		.amdhsa_exception_fp_ieee_div_zero 0
		.amdhsa_exception_fp_ieee_overflow 0
		.amdhsa_exception_fp_ieee_underflow 0
		.amdhsa_exception_fp_ieee_inexact 0
		.amdhsa_exception_int_div_zero 0
	.end_amdhsa_kernel
	.section	.text._ZN7rocprim17ROCPRIM_400000_NS6detail17trampoline_kernelINS0_13select_configILj256ELj13ELNS0_17block_load_methodE3ELS4_3ELS4_3ELNS0_20block_scan_algorithmE0ELj4294967295EEENS1_25partition_config_selectorILNS1_17partition_subalgoE4EjNS0_10empty_typeEbEEZZNS1_14partition_implILS8_4ELb0ES6_15HIP_vector_typeIjLj2EENS0_17counting_iteratorIjlEEPS9_SG_NS0_5tupleIJPjSI_NS0_16reverse_iteratorISI_EEEEENSH_IJSG_SG_SG_EEES9_SI_JZNS1_25segmented_radix_sort_implINS0_14default_configELb1EPKfPfPKlPlN2at6native12_GLOBAL__N_18offset_tEEE10hipError_tPvRmT1_PNSt15iterator_traitsIS12_E10value_typeET2_T3_PNS13_IS18_E10value_typeET4_jRbjT5_S1E_jjP12ihipStream_tbEUljE_ZNSN_ISO_Lb1ESQ_SR_ST_SU_SY_EESZ_S10_S11_S12_S16_S17_S18_S1B_S1C_jS1D_jS1E_S1E_jjS1G_bEUljE0_EEESZ_S10_S11_S18_S1C_S1E_T6_T7_T9_mT8_S1G_bDpT10_ENKUlT_T0_E_clISt17integral_constantIbLb1EES1U_EEDaS1P_S1Q_EUlS1P_E_NS1_11comp_targetILNS1_3genE2ELNS1_11target_archE906ELNS1_3gpuE6ELNS1_3repE0EEENS1_30default_config_static_selectorELNS0_4arch9wavefront6targetE0EEEvS12_,"axG",@progbits,_ZN7rocprim17ROCPRIM_400000_NS6detail17trampoline_kernelINS0_13select_configILj256ELj13ELNS0_17block_load_methodE3ELS4_3ELS4_3ELNS0_20block_scan_algorithmE0ELj4294967295EEENS1_25partition_config_selectorILNS1_17partition_subalgoE4EjNS0_10empty_typeEbEEZZNS1_14partition_implILS8_4ELb0ES6_15HIP_vector_typeIjLj2EENS0_17counting_iteratorIjlEEPS9_SG_NS0_5tupleIJPjSI_NS0_16reverse_iteratorISI_EEEEENSH_IJSG_SG_SG_EEES9_SI_JZNS1_25segmented_radix_sort_implINS0_14default_configELb1EPKfPfPKlPlN2at6native12_GLOBAL__N_18offset_tEEE10hipError_tPvRmT1_PNSt15iterator_traitsIS12_E10value_typeET2_T3_PNS13_IS18_E10value_typeET4_jRbjT5_S1E_jjP12ihipStream_tbEUljE_ZNSN_ISO_Lb1ESQ_SR_ST_SU_SY_EESZ_S10_S11_S12_S16_S17_S18_S1B_S1C_jS1D_jS1E_S1E_jjS1G_bEUljE0_EEESZ_S10_S11_S18_S1C_S1E_T6_T7_T9_mT8_S1G_bDpT10_ENKUlT_T0_E_clISt17integral_constantIbLb1EES1U_EEDaS1P_S1Q_EUlS1P_E_NS1_11comp_targetILNS1_3genE2ELNS1_11target_archE906ELNS1_3gpuE6ELNS1_3repE0EEENS1_30default_config_static_selectorELNS0_4arch9wavefront6targetE0EEEvS12_,comdat
.Lfunc_end1273:
	.size	_ZN7rocprim17ROCPRIM_400000_NS6detail17trampoline_kernelINS0_13select_configILj256ELj13ELNS0_17block_load_methodE3ELS4_3ELS4_3ELNS0_20block_scan_algorithmE0ELj4294967295EEENS1_25partition_config_selectorILNS1_17partition_subalgoE4EjNS0_10empty_typeEbEEZZNS1_14partition_implILS8_4ELb0ES6_15HIP_vector_typeIjLj2EENS0_17counting_iteratorIjlEEPS9_SG_NS0_5tupleIJPjSI_NS0_16reverse_iteratorISI_EEEEENSH_IJSG_SG_SG_EEES9_SI_JZNS1_25segmented_radix_sort_implINS0_14default_configELb1EPKfPfPKlPlN2at6native12_GLOBAL__N_18offset_tEEE10hipError_tPvRmT1_PNSt15iterator_traitsIS12_E10value_typeET2_T3_PNS13_IS18_E10value_typeET4_jRbjT5_S1E_jjP12ihipStream_tbEUljE_ZNSN_ISO_Lb1ESQ_SR_ST_SU_SY_EESZ_S10_S11_S12_S16_S17_S18_S1B_S1C_jS1D_jS1E_S1E_jjS1G_bEUljE0_EEESZ_S10_S11_S18_S1C_S1E_T6_T7_T9_mT8_S1G_bDpT10_ENKUlT_T0_E_clISt17integral_constantIbLb1EES1U_EEDaS1P_S1Q_EUlS1P_E_NS1_11comp_targetILNS1_3genE2ELNS1_11target_archE906ELNS1_3gpuE6ELNS1_3repE0EEENS1_30default_config_static_selectorELNS0_4arch9wavefront6targetE0EEEvS12_, .Lfunc_end1273-_ZN7rocprim17ROCPRIM_400000_NS6detail17trampoline_kernelINS0_13select_configILj256ELj13ELNS0_17block_load_methodE3ELS4_3ELS4_3ELNS0_20block_scan_algorithmE0ELj4294967295EEENS1_25partition_config_selectorILNS1_17partition_subalgoE4EjNS0_10empty_typeEbEEZZNS1_14partition_implILS8_4ELb0ES6_15HIP_vector_typeIjLj2EENS0_17counting_iteratorIjlEEPS9_SG_NS0_5tupleIJPjSI_NS0_16reverse_iteratorISI_EEEEENSH_IJSG_SG_SG_EEES9_SI_JZNS1_25segmented_radix_sort_implINS0_14default_configELb1EPKfPfPKlPlN2at6native12_GLOBAL__N_18offset_tEEE10hipError_tPvRmT1_PNSt15iterator_traitsIS12_E10value_typeET2_T3_PNS13_IS18_E10value_typeET4_jRbjT5_S1E_jjP12ihipStream_tbEUljE_ZNSN_ISO_Lb1ESQ_SR_ST_SU_SY_EESZ_S10_S11_S12_S16_S17_S18_S1B_S1C_jS1D_jS1E_S1E_jjS1G_bEUljE0_EEESZ_S10_S11_S18_S1C_S1E_T6_T7_T9_mT8_S1G_bDpT10_ENKUlT_T0_E_clISt17integral_constantIbLb1EES1U_EEDaS1P_S1Q_EUlS1P_E_NS1_11comp_targetILNS1_3genE2ELNS1_11target_archE906ELNS1_3gpuE6ELNS1_3repE0EEENS1_30default_config_static_selectorELNS0_4arch9wavefront6targetE0EEEvS12_
                                        ; -- End function
	.section	.AMDGPU.csdata,"",@progbits
; Kernel info:
; codeLenInByte = 0
; NumSgprs: 0
; NumVgprs: 0
; ScratchSize: 0
; MemoryBound: 0
; FloatMode: 240
; IeeeMode: 1
; LDSByteSize: 0 bytes/workgroup (compile time only)
; SGPRBlocks: 0
; VGPRBlocks: 0
; NumSGPRsForWavesPerEU: 1
; NumVGPRsForWavesPerEU: 1
; Occupancy: 16
; WaveLimiterHint : 0
; COMPUTE_PGM_RSRC2:SCRATCH_EN: 0
; COMPUTE_PGM_RSRC2:USER_SGPR: 15
; COMPUTE_PGM_RSRC2:TRAP_HANDLER: 0
; COMPUTE_PGM_RSRC2:TGID_X_EN: 1
; COMPUTE_PGM_RSRC2:TGID_Y_EN: 0
; COMPUTE_PGM_RSRC2:TGID_Z_EN: 0
; COMPUTE_PGM_RSRC2:TIDIG_COMP_CNT: 0
	.section	.text._ZN7rocprim17ROCPRIM_400000_NS6detail17trampoline_kernelINS0_13select_configILj256ELj13ELNS0_17block_load_methodE3ELS4_3ELS4_3ELNS0_20block_scan_algorithmE0ELj4294967295EEENS1_25partition_config_selectorILNS1_17partition_subalgoE4EjNS0_10empty_typeEbEEZZNS1_14partition_implILS8_4ELb0ES6_15HIP_vector_typeIjLj2EENS0_17counting_iteratorIjlEEPS9_SG_NS0_5tupleIJPjSI_NS0_16reverse_iteratorISI_EEEEENSH_IJSG_SG_SG_EEES9_SI_JZNS1_25segmented_radix_sort_implINS0_14default_configELb1EPKfPfPKlPlN2at6native12_GLOBAL__N_18offset_tEEE10hipError_tPvRmT1_PNSt15iterator_traitsIS12_E10value_typeET2_T3_PNS13_IS18_E10value_typeET4_jRbjT5_S1E_jjP12ihipStream_tbEUljE_ZNSN_ISO_Lb1ESQ_SR_ST_SU_SY_EESZ_S10_S11_S12_S16_S17_S18_S1B_S1C_jS1D_jS1E_S1E_jjS1G_bEUljE0_EEESZ_S10_S11_S18_S1C_S1E_T6_T7_T9_mT8_S1G_bDpT10_ENKUlT_T0_E_clISt17integral_constantIbLb1EES1U_EEDaS1P_S1Q_EUlS1P_E_NS1_11comp_targetILNS1_3genE10ELNS1_11target_archE1200ELNS1_3gpuE4ELNS1_3repE0EEENS1_30default_config_static_selectorELNS0_4arch9wavefront6targetE0EEEvS12_,"axG",@progbits,_ZN7rocprim17ROCPRIM_400000_NS6detail17trampoline_kernelINS0_13select_configILj256ELj13ELNS0_17block_load_methodE3ELS4_3ELS4_3ELNS0_20block_scan_algorithmE0ELj4294967295EEENS1_25partition_config_selectorILNS1_17partition_subalgoE4EjNS0_10empty_typeEbEEZZNS1_14partition_implILS8_4ELb0ES6_15HIP_vector_typeIjLj2EENS0_17counting_iteratorIjlEEPS9_SG_NS0_5tupleIJPjSI_NS0_16reverse_iteratorISI_EEEEENSH_IJSG_SG_SG_EEES9_SI_JZNS1_25segmented_radix_sort_implINS0_14default_configELb1EPKfPfPKlPlN2at6native12_GLOBAL__N_18offset_tEEE10hipError_tPvRmT1_PNSt15iterator_traitsIS12_E10value_typeET2_T3_PNS13_IS18_E10value_typeET4_jRbjT5_S1E_jjP12ihipStream_tbEUljE_ZNSN_ISO_Lb1ESQ_SR_ST_SU_SY_EESZ_S10_S11_S12_S16_S17_S18_S1B_S1C_jS1D_jS1E_S1E_jjS1G_bEUljE0_EEESZ_S10_S11_S18_S1C_S1E_T6_T7_T9_mT8_S1G_bDpT10_ENKUlT_T0_E_clISt17integral_constantIbLb1EES1U_EEDaS1P_S1Q_EUlS1P_E_NS1_11comp_targetILNS1_3genE10ELNS1_11target_archE1200ELNS1_3gpuE4ELNS1_3repE0EEENS1_30default_config_static_selectorELNS0_4arch9wavefront6targetE0EEEvS12_,comdat
	.globl	_ZN7rocprim17ROCPRIM_400000_NS6detail17trampoline_kernelINS0_13select_configILj256ELj13ELNS0_17block_load_methodE3ELS4_3ELS4_3ELNS0_20block_scan_algorithmE0ELj4294967295EEENS1_25partition_config_selectorILNS1_17partition_subalgoE4EjNS0_10empty_typeEbEEZZNS1_14partition_implILS8_4ELb0ES6_15HIP_vector_typeIjLj2EENS0_17counting_iteratorIjlEEPS9_SG_NS0_5tupleIJPjSI_NS0_16reverse_iteratorISI_EEEEENSH_IJSG_SG_SG_EEES9_SI_JZNS1_25segmented_radix_sort_implINS0_14default_configELb1EPKfPfPKlPlN2at6native12_GLOBAL__N_18offset_tEEE10hipError_tPvRmT1_PNSt15iterator_traitsIS12_E10value_typeET2_T3_PNS13_IS18_E10value_typeET4_jRbjT5_S1E_jjP12ihipStream_tbEUljE_ZNSN_ISO_Lb1ESQ_SR_ST_SU_SY_EESZ_S10_S11_S12_S16_S17_S18_S1B_S1C_jS1D_jS1E_S1E_jjS1G_bEUljE0_EEESZ_S10_S11_S18_S1C_S1E_T6_T7_T9_mT8_S1G_bDpT10_ENKUlT_T0_E_clISt17integral_constantIbLb1EES1U_EEDaS1P_S1Q_EUlS1P_E_NS1_11comp_targetILNS1_3genE10ELNS1_11target_archE1200ELNS1_3gpuE4ELNS1_3repE0EEENS1_30default_config_static_selectorELNS0_4arch9wavefront6targetE0EEEvS12_ ; -- Begin function _ZN7rocprim17ROCPRIM_400000_NS6detail17trampoline_kernelINS0_13select_configILj256ELj13ELNS0_17block_load_methodE3ELS4_3ELS4_3ELNS0_20block_scan_algorithmE0ELj4294967295EEENS1_25partition_config_selectorILNS1_17partition_subalgoE4EjNS0_10empty_typeEbEEZZNS1_14partition_implILS8_4ELb0ES6_15HIP_vector_typeIjLj2EENS0_17counting_iteratorIjlEEPS9_SG_NS0_5tupleIJPjSI_NS0_16reverse_iteratorISI_EEEEENSH_IJSG_SG_SG_EEES9_SI_JZNS1_25segmented_radix_sort_implINS0_14default_configELb1EPKfPfPKlPlN2at6native12_GLOBAL__N_18offset_tEEE10hipError_tPvRmT1_PNSt15iterator_traitsIS12_E10value_typeET2_T3_PNS13_IS18_E10value_typeET4_jRbjT5_S1E_jjP12ihipStream_tbEUljE_ZNSN_ISO_Lb1ESQ_SR_ST_SU_SY_EESZ_S10_S11_S12_S16_S17_S18_S1B_S1C_jS1D_jS1E_S1E_jjS1G_bEUljE0_EEESZ_S10_S11_S18_S1C_S1E_T6_T7_T9_mT8_S1G_bDpT10_ENKUlT_T0_E_clISt17integral_constantIbLb1EES1U_EEDaS1P_S1Q_EUlS1P_E_NS1_11comp_targetILNS1_3genE10ELNS1_11target_archE1200ELNS1_3gpuE4ELNS1_3repE0EEENS1_30default_config_static_selectorELNS0_4arch9wavefront6targetE0EEEvS12_
	.p2align	8
	.type	_ZN7rocprim17ROCPRIM_400000_NS6detail17trampoline_kernelINS0_13select_configILj256ELj13ELNS0_17block_load_methodE3ELS4_3ELS4_3ELNS0_20block_scan_algorithmE0ELj4294967295EEENS1_25partition_config_selectorILNS1_17partition_subalgoE4EjNS0_10empty_typeEbEEZZNS1_14partition_implILS8_4ELb0ES6_15HIP_vector_typeIjLj2EENS0_17counting_iteratorIjlEEPS9_SG_NS0_5tupleIJPjSI_NS0_16reverse_iteratorISI_EEEEENSH_IJSG_SG_SG_EEES9_SI_JZNS1_25segmented_radix_sort_implINS0_14default_configELb1EPKfPfPKlPlN2at6native12_GLOBAL__N_18offset_tEEE10hipError_tPvRmT1_PNSt15iterator_traitsIS12_E10value_typeET2_T3_PNS13_IS18_E10value_typeET4_jRbjT5_S1E_jjP12ihipStream_tbEUljE_ZNSN_ISO_Lb1ESQ_SR_ST_SU_SY_EESZ_S10_S11_S12_S16_S17_S18_S1B_S1C_jS1D_jS1E_S1E_jjS1G_bEUljE0_EEESZ_S10_S11_S18_S1C_S1E_T6_T7_T9_mT8_S1G_bDpT10_ENKUlT_T0_E_clISt17integral_constantIbLb1EES1U_EEDaS1P_S1Q_EUlS1P_E_NS1_11comp_targetILNS1_3genE10ELNS1_11target_archE1200ELNS1_3gpuE4ELNS1_3repE0EEENS1_30default_config_static_selectorELNS0_4arch9wavefront6targetE0EEEvS12_,@function
_ZN7rocprim17ROCPRIM_400000_NS6detail17trampoline_kernelINS0_13select_configILj256ELj13ELNS0_17block_load_methodE3ELS4_3ELS4_3ELNS0_20block_scan_algorithmE0ELj4294967295EEENS1_25partition_config_selectorILNS1_17partition_subalgoE4EjNS0_10empty_typeEbEEZZNS1_14partition_implILS8_4ELb0ES6_15HIP_vector_typeIjLj2EENS0_17counting_iteratorIjlEEPS9_SG_NS0_5tupleIJPjSI_NS0_16reverse_iteratorISI_EEEEENSH_IJSG_SG_SG_EEES9_SI_JZNS1_25segmented_radix_sort_implINS0_14default_configELb1EPKfPfPKlPlN2at6native12_GLOBAL__N_18offset_tEEE10hipError_tPvRmT1_PNSt15iterator_traitsIS12_E10value_typeET2_T3_PNS13_IS18_E10value_typeET4_jRbjT5_S1E_jjP12ihipStream_tbEUljE_ZNSN_ISO_Lb1ESQ_SR_ST_SU_SY_EESZ_S10_S11_S12_S16_S17_S18_S1B_S1C_jS1D_jS1E_S1E_jjS1G_bEUljE0_EEESZ_S10_S11_S18_S1C_S1E_T6_T7_T9_mT8_S1G_bDpT10_ENKUlT_T0_E_clISt17integral_constantIbLb1EES1U_EEDaS1P_S1Q_EUlS1P_E_NS1_11comp_targetILNS1_3genE10ELNS1_11target_archE1200ELNS1_3gpuE4ELNS1_3repE0EEENS1_30default_config_static_selectorELNS0_4arch9wavefront6targetE0EEEvS12_: ; @_ZN7rocprim17ROCPRIM_400000_NS6detail17trampoline_kernelINS0_13select_configILj256ELj13ELNS0_17block_load_methodE3ELS4_3ELS4_3ELNS0_20block_scan_algorithmE0ELj4294967295EEENS1_25partition_config_selectorILNS1_17partition_subalgoE4EjNS0_10empty_typeEbEEZZNS1_14partition_implILS8_4ELb0ES6_15HIP_vector_typeIjLj2EENS0_17counting_iteratorIjlEEPS9_SG_NS0_5tupleIJPjSI_NS0_16reverse_iteratorISI_EEEEENSH_IJSG_SG_SG_EEES9_SI_JZNS1_25segmented_radix_sort_implINS0_14default_configELb1EPKfPfPKlPlN2at6native12_GLOBAL__N_18offset_tEEE10hipError_tPvRmT1_PNSt15iterator_traitsIS12_E10value_typeET2_T3_PNS13_IS18_E10value_typeET4_jRbjT5_S1E_jjP12ihipStream_tbEUljE_ZNSN_ISO_Lb1ESQ_SR_ST_SU_SY_EESZ_S10_S11_S12_S16_S17_S18_S1B_S1C_jS1D_jS1E_S1E_jjS1G_bEUljE0_EEESZ_S10_S11_S18_S1C_S1E_T6_T7_T9_mT8_S1G_bDpT10_ENKUlT_T0_E_clISt17integral_constantIbLb1EES1U_EEDaS1P_S1Q_EUlS1P_E_NS1_11comp_targetILNS1_3genE10ELNS1_11target_archE1200ELNS1_3gpuE4ELNS1_3repE0EEENS1_30default_config_static_selectorELNS0_4arch9wavefront6targetE0EEEvS12_
; %bb.0:
	.section	.rodata,"a",@progbits
	.p2align	6, 0x0
	.amdhsa_kernel _ZN7rocprim17ROCPRIM_400000_NS6detail17trampoline_kernelINS0_13select_configILj256ELj13ELNS0_17block_load_methodE3ELS4_3ELS4_3ELNS0_20block_scan_algorithmE0ELj4294967295EEENS1_25partition_config_selectorILNS1_17partition_subalgoE4EjNS0_10empty_typeEbEEZZNS1_14partition_implILS8_4ELb0ES6_15HIP_vector_typeIjLj2EENS0_17counting_iteratorIjlEEPS9_SG_NS0_5tupleIJPjSI_NS0_16reverse_iteratorISI_EEEEENSH_IJSG_SG_SG_EEES9_SI_JZNS1_25segmented_radix_sort_implINS0_14default_configELb1EPKfPfPKlPlN2at6native12_GLOBAL__N_18offset_tEEE10hipError_tPvRmT1_PNSt15iterator_traitsIS12_E10value_typeET2_T3_PNS13_IS18_E10value_typeET4_jRbjT5_S1E_jjP12ihipStream_tbEUljE_ZNSN_ISO_Lb1ESQ_SR_ST_SU_SY_EESZ_S10_S11_S12_S16_S17_S18_S1B_S1C_jS1D_jS1E_S1E_jjS1G_bEUljE0_EEESZ_S10_S11_S18_S1C_S1E_T6_T7_T9_mT8_S1G_bDpT10_ENKUlT_T0_E_clISt17integral_constantIbLb1EES1U_EEDaS1P_S1Q_EUlS1P_E_NS1_11comp_targetILNS1_3genE10ELNS1_11target_archE1200ELNS1_3gpuE4ELNS1_3repE0EEENS1_30default_config_static_selectorELNS0_4arch9wavefront6targetE0EEEvS12_
		.amdhsa_group_segment_fixed_size 0
		.amdhsa_private_segment_fixed_size 0
		.amdhsa_kernarg_size 184
		.amdhsa_user_sgpr_count 15
		.amdhsa_user_sgpr_dispatch_ptr 0
		.amdhsa_user_sgpr_queue_ptr 0
		.amdhsa_user_sgpr_kernarg_segment_ptr 1
		.amdhsa_user_sgpr_dispatch_id 0
		.amdhsa_user_sgpr_private_segment_size 0
		.amdhsa_wavefront_size32 1
		.amdhsa_uses_dynamic_stack 0
		.amdhsa_enable_private_segment 0
		.amdhsa_system_sgpr_workgroup_id_x 1
		.amdhsa_system_sgpr_workgroup_id_y 0
		.amdhsa_system_sgpr_workgroup_id_z 0
		.amdhsa_system_sgpr_workgroup_info 0
		.amdhsa_system_vgpr_workitem_id 0
		.amdhsa_next_free_vgpr 1
		.amdhsa_next_free_sgpr 1
		.amdhsa_reserve_vcc 0
		.amdhsa_float_round_mode_32 0
		.amdhsa_float_round_mode_16_64 0
		.amdhsa_float_denorm_mode_32 3
		.amdhsa_float_denorm_mode_16_64 3
		.amdhsa_dx10_clamp 1
		.amdhsa_ieee_mode 1
		.amdhsa_fp16_overflow 0
		.amdhsa_workgroup_processor_mode 1
		.amdhsa_memory_ordered 1
		.amdhsa_forward_progress 0
		.amdhsa_shared_vgpr_count 0
		.amdhsa_exception_fp_ieee_invalid_op 0
		.amdhsa_exception_fp_denorm_src 0
		.amdhsa_exception_fp_ieee_div_zero 0
		.amdhsa_exception_fp_ieee_overflow 0
		.amdhsa_exception_fp_ieee_underflow 0
		.amdhsa_exception_fp_ieee_inexact 0
		.amdhsa_exception_int_div_zero 0
	.end_amdhsa_kernel
	.section	.text._ZN7rocprim17ROCPRIM_400000_NS6detail17trampoline_kernelINS0_13select_configILj256ELj13ELNS0_17block_load_methodE3ELS4_3ELS4_3ELNS0_20block_scan_algorithmE0ELj4294967295EEENS1_25partition_config_selectorILNS1_17partition_subalgoE4EjNS0_10empty_typeEbEEZZNS1_14partition_implILS8_4ELb0ES6_15HIP_vector_typeIjLj2EENS0_17counting_iteratorIjlEEPS9_SG_NS0_5tupleIJPjSI_NS0_16reverse_iteratorISI_EEEEENSH_IJSG_SG_SG_EEES9_SI_JZNS1_25segmented_radix_sort_implINS0_14default_configELb1EPKfPfPKlPlN2at6native12_GLOBAL__N_18offset_tEEE10hipError_tPvRmT1_PNSt15iterator_traitsIS12_E10value_typeET2_T3_PNS13_IS18_E10value_typeET4_jRbjT5_S1E_jjP12ihipStream_tbEUljE_ZNSN_ISO_Lb1ESQ_SR_ST_SU_SY_EESZ_S10_S11_S12_S16_S17_S18_S1B_S1C_jS1D_jS1E_S1E_jjS1G_bEUljE0_EEESZ_S10_S11_S18_S1C_S1E_T6_T7_T9_mT8_S1G_bDpT10_ENKUlT_T0_E_clISt17integral_constantIbLb1EES1U_EEDaS1P_S1Q_EUlS1P_E_NS1_11comp_targetILNS1_3genE10ELNS1_11target_archE1200ELNS1_3gpuE4ELNS1_3repE0EEENS1_30default_config_static_selectorELNS0_4arch9wavefront6targetE0EEEvS12_,"axG",@progbits,_ZN7rocprim17ROCPRIM_400000_NS6detail17trampoline_kernelINS0_13select_configILj256ELj13ELNS0_17block_load_methodE3ELS4_3ELS4_3ELNS0_20block_scan_algorithmE0ELj4294967295EEENS1_25partition_config_selectorILNS1_17partition_subalgoE4EjNS0_10empty_typeEbEEZZNS1_14partition_implILS8_4ELb0ES6_15HIP_vector_typeIjLj2EENS0_17counting_iteratorIjlEEPS9_SG_NS0_5tupleIJPjSI_NS0_16reverse_iteratorISI_EEEEENSH_IJSG_SG_SG_EEES9_SI_JZNS1_25segmented_radix_sort_implINS0_14default_configELb1EPKfPfPKlPlN2at6native12_GLOBAL__N_18offset_tEEE10hipError_tPvRmT1_PNSt15iterator_traitsIS12_E10value_typeET2_T3_PNS13_IS18_E10value_typeET4_jRbjT5_S1E_jjP12ihipStream_tbEUljE_ZNSN_ISO_Lb1ESQ_SR_ST_SU_SY_EESZ_S10_S11_S12_S16_S17_S18_S1B_S1C_jS1D_jS1E_S1E_jjS1G_bEUljE0_EEESZ_S10_S11_S18_S1C_S1E_T6_T7_T9_mT8_S1G_bDpT10_ENKUlT_T0_E_clISt17integral_constantIbLb1EES1U_EEDaS1P_S1Q_EUlS1P_E_NS1_11comp_targetILNS1_3genE10ELNS1_11target_archE1200ELNS1_3gpuE4ELNS1_3repE0EEENS1_30default_config_static_selectorELNS0_4arch9wavefront6targetE0EEEvS12_,comdat
.Lfunc_end1274:
	.size	_ZN7rocprim17ROCPRIM_400000_NS6detail17trampoline_kernelINS0_13select_configILj256ELj13ELNS0_17block_load_methodE3ELS4_3ELS4_3ELNS0_20block_scan_algorithmE0ELj4294967295EEENS1_25partition_config_selectorILNS1_17partition_subalgoE4EjNS0_10empty_typeEbEEZZNS1_14partition_implILS8_4ELb0ES6_15HIP_vector_typeIjLj2EENS0_17counting_iteratorIjlEEPS9_SG_NS0_5tupleIJPjSI_NS0_16reverse_iteratorISI_EEEEENSH_IJSG_SG_SG_EEES9_SI_JZNS1_25segmented_radix_sort_implINS0_14default_configELb1EPKfPfPKlPlN2at6native12_GLOBAL__N_18offset_tEEE10hipError_tPvRmT1_PNSt15iterator_traitsIS12_E10value_typeET2_T3_PNS13_IS18_E10value_typeET4_jRbjT5_S1E_jjP12ihipStream_tbEUljE_ZNSN_ISO_Lb1ESQ_SR_ST_SU_SY_EESZ_S10_S11_S12_S16_S17_S18_S1B_S1C_jS1D_jS1E_S1E_jjS1G_bEUljE0_EEESZ_S10_S11_S18_S1C_S1E_T6_T7_T9_mT8_S1G_bDpT10_ENKUlT_T0_E_clISt17integral_constantIbLb1EES1U_EEDaS1P_S1Q_EUlS1P_E_NS1_11comp_targetILNS1_3genE10ELNS1_11target_archE1200ELNS1_3gpuE4ELNS1_3repE0EEENS1_30default_config_static_selectorELNS0_4arch9wavefront6targetE0EEEvS12_, .Lfunc_end1274-_ZN7rocprim17ROCPRIM_400000_NS6detail17trampoline_kernelINS0_13select_configILj256ELj13ELNS0_17block_load_methodE3ELS4_3ELS4_3ELNS0_20block_scan_algorithmE0ELj4294967295EEENS1_25partition_config_selectorILNS1_17partition_subalgoE4EjNS0_10empty_typeEbEEZZNS1_14partition_implILS8_4ELb0ES6_15HIP_vector_typeIjLj2EENS0_17counting_iteratorIjlEEPS9_SG_NS0_5tupleIJPjSI_NS0_16reverse_iteratorISI_EEEEENSH_IJSG_SG_SG_EEES9_SI_JZNS1_25segmented_radix_sort_implINS0_14default_configELb1EPKfPfPKlPlN2at6native12_GLOBAL__N_18offset_tEEE10hipError_tPvRmT1_PNSt15iterator_traitsIS12_E10value_typeET2_T3_PNS13_IS18_E10value_typeET4_jRbjT5_S1E_jjP12ihipStream_tbEUljE_ZNSN_ISO_Lb1ESQ_SR_ST_SU_SY_EESZ_S10_S11_S12_S16_S17_S18_S1B_S1C_jS1D_jS1E_S1E_jjS1G_bEUljE0_EEESZ_S10_S11_S18_S1C_S1E_T6_T7_T9_mT8_S1G_bDpT10_ENKUlT_T0_E_clISt17integral_constantIbLb1EES1U_EEDaS1P_S1Q_EUlS1P_E_NS1_11comp_targetILNS1_3genE10ELNS1_11target_archE1200ELNS1_3gpuE4ELNS1_3repE0EEENS1_30default_config_static_selectorELNS0_4arch9wavefront6targetE0EEEvS12_
                                        ; -- End function
	.section	.AMDGPU.csdata,"",@progbits
; Kernel info:
; codeLenInByte = 0
; NumSgprs: 0
; NumVgprs: 0
; ScratchSize: 0
; MemoryBound: 0
; FloatMode: 240
; IeeeMode: 1
; LDSByteSize: 0 bytes/workgroup (compile time only)
; SGPRBlocks: 0
; VGPRBlocks: 0
; NumSGPRsForWavesPerEU: 1
; NumVGPRsForWavesPerEU: 1
; Occupancy: 16
; WaveLimiterHint : 0
; COMPUTE_PGM_RSRC2:SCRATCH_EN: 0
; COMPUTE_PGM_RSRC2:USER_SGPR: 15
; COMPUTE_PGM_RSRC2:TRAP_HANDLER: 0
; COMPUTE_PGM_RSRC2:TGID_X_EN: 1
; COMPUTE_PGM_RSRC2:TGID_Y_EN: 0
; COMPUTE_PGM_RSRC2:TGID_Z_EN: 0
; COMPUTE_PGM_RSRC2:TIDIG_COMP_CNT: 0
	.section	.text._ZN7rocprim17ROCPRIM_400000_NS6detail17trampoline_kernelINS0_13select_configILj256ELj13ELNS0_17block_load_methodE3ELS4_3ELS4_3ELNS0_20block_scan_algorithmE0ELj4294967295EEENS1_25partition_config_selectorILNS1_17partition_subalgoE4EjNS0_10empty_typeEbEEZZNS1_14partition_implILS8_4ELb0ES6_15HIP_vector_typeIjLj2EENS0_17counting_iteratorIjlEEPS9_SG_NS0_5tupleIJPjSI_NS0_16reverse_iteratorISI_EEEEENSH_IJSG_SG_SG_EEES9_SI_JZNS1_25segmented_radix_sort_implINS0_14default_configELb1EPKfPfPKlPlN2at6native12_GLOBAL__N_18offset_tEEE10hipError_tPvRmT1_PNSt15iterator_traitsIS12_E10value_typeET2_T3_PNS13_IS18_E10value_typeET4_jRbjT5_S1E_jjP12ihipStream_tbEUljE_ZNSN_ISO_Lb1ESQ_SR_ST_SU_SY_EESZ_S10_S11_S12_S16_S17_S18_S1B_S1C_jS1D_jS1E_S1E_jjS1G_bEUljE0_EEESZ_S10_S11_S18_S1C_S1E_T6_T7_T9_mT8_S1G_bDpT10_ENKUlT_T0_E_clISt17integral_constantIbLb1EES1U_EEDaS1P_S1Q_EUlS1P_E_NS1_11comp_targetILNS1_3genE9ELNS1_11target_archE1100ELNS1_3gpuE3ELNS1_3repE0EEENS1_30default_config_static_selectorELNS0_4arch9wavefront6targetE0EEEvS12_,"axG",@progbits,_ZN7rocprim17ROCPRIM_400000_NS6detail17trampoline_kernelINS0_13select_configILj256ELj13ELNS0_17block_load_methodE3ELS4_3ELS4_3ELNS0_20block_scan_algorithmE0ELj4294967295EEENS1_25partition_config_selectorILNS1_17partition_subalgoE4EjNS0_10empty_typeEbEEZZNS1_14partition_implILS8_4ELb0ES6_15HIP_vector_typeIjLj2EENS0_17counting_iteratorIjlEEPS9_SG_NS0_5tupleIJPjSI_NS0_16reverse_iteratorISI_EEEEENSH_IJSG_SG_SG_EEES9_SI_JZNS1_25segmented_radix_sort_implINS0_14default_configELb1EPKfPfPKlPlN2at6native12_GLOBAL__N_18offset_tEEE10hipError_tPvRmT1_PNSt15iterator_traitsIS12_E10value_typeET2_T3_PNS13_IS18_E10value_typeET4_jRbjT5_S1E_jjP12ihipStream_tbEUljE_ZNSN_ISO_Lb1ESQ_SR_ST_SU_SY_EESZ_S10_S11_S12_S16_S17_S18_S1B_S1C_jS1D_jS1E_S1E_jjS1G_bEUljE0_EEESZ_S10_S11_S18_S1C_S1E_T6_T7_T9_mT8_S1G_bDpT10_ENKUlT_T0_E_clISt17integral_constantIbLb1EES1U_EEDaS1P_S1Q_EUlS1P_E_NS1_11comp_targetILNS1_3genE9ELNS1_11target_archE1100ELNS1_3gpuE3ELNS1_3repE0EEENS1_30default_config_static_selectorELNS0_4arch9wavefront6targetE0EEEvS12_,comdat
	.globl	_ZN7rocprim17ROCPRIM_400000_NS6detail17trampoline_kernelINS0_13select_configILj256ELj13ELNS0_17block_load_methodE3ELS4_3ELS4_3ELNS0_20block_scan_algorithmE0ELj4294967295EEENS1_25partition_config_selectorILNS1_17partition_subalgoE4EjNS0_10empty_typeEbEEZZNS1_14partition_implILS8_4ELb0ES6_15HIP_vector_typeIjLj2EENS0_17counting_iteratorIjlEEPS9_SG_NS0_5tupleIJPjSI_NS0_16reverse_iteratorISI_EEEEENSH_IJSG_SG_SG_EEES9_SI_JZNS1_25segmented_radix_sort_implINS0_14default_configELb1EPKfPfPKlPlN2at6native12_GLOBAL__N_18offset_tEEE10hipError_tPvRmT1_PNSt15iterator_traitsIS12_E10value_typeET2_T3_PNS13_IS18_E10value_typeET4_jRbjT5_S1E_jjP12ihipStream_tbEUljE_ZNSN_ISO_Lb1ESQ_SR_ST_SU_SY_EESZ_S10_S11_S12_S16_S17_S18_S1B_S1C_jS1D_jS1E_S1E_jjS1G_bEUljE0_EEESZ_S10_S11_S18_S1C_S1E_T6_T7_T9_mT8_S1G_bDpT10_ENKUlT_T0_E_clISt17integral_constantIbLb1EES1U_EEDaS1P_S1Q_EUlS1P_E_NS1_11comp_targetILNS1_3genE9ELNS1_11target_archE1100ELNS1_3gpuE3ELNS1_3repE0EEENS1_30default_config_static_selectorELNS0_4arch9wavefront6targetE0EEEvS12_ ; -- Begin function _ZN7rocprim17ROCPRIM_400000_NS6detail17trampoline_kernelINS0_13select_configILj256ELj13ELNS0_17block_load_methodE3ELS4_3ELS4_3ELNS0_20block_scan_algorithmE0ELj4294967295EEENS1_25partition_config_selectorILNS1_17partition_subalgoE4EjNS0_10empty_typeEbEEZZNS1_14partition_implILS8_4ELb0ES6_15HIP_vector_typeIjLj2EENS0_17counting_iteratorIjlEEPS9_SG_NS0_5tupleIJPjSI_NS0_16reverse_iteratorISI_EEEEENSH_IJSG_SG_SG_EEES9_SI_JZNS1_25segmented_radix_sort_implINS0_14default_configELb1EPKfPfPKlPlN2at6native12_GLOBAL__N_18offset_tEEE10hipError_tPvRmT1_PNSt15iterator_traitsIS12_E10value_typeET2_T3_PNS13_IS18_E10value_typeET4_jRbjT5_S1E_jjP12ihipStream_tbEUljE_ZNSN_ISO_Lb1ESQ_SR_ST_SU_SY_EESZ_S10_S11_S12_S16_S17_S18_S1B_S1C_jS1D_jS1E_S1E_jjS1G_bEUljE0_EEESZ_S10_S11_S18_S1C_S1E_T6_T7_T9_mT8_S1G_bDpT10_ENKUlT_T0_E_clISt17integral_constantIbLb1EES1U_EEDaS1P_S1Q_EUlS1P_E_NS1_11comp_targetILNS1_3genE9ELNS1_11target_archE1100ELNS1_3gpuE3ELNS1_3repE0EEENS1_30default_config_static_selectorELNS0_4arch9wavefront6targetE0EEEvS12_
	.p2align	8
	.type	_ZN7rocprim17ROCPRIM_400000_NS6detail17trampoline_kernelINS0_13select_configILj256ELj13ELNS0_17block_load_methodE3ELS4_3ELS4_3ELNS0_20block_scan_algorithmE0ELj4294967295EEENS1_25partition_config_selectorILNS1_17partition_subalgoE4EjNS0_10empty_typeEbEEZZNS1_14partition_implILS8_4ELb0ES6_15HIP_vector_typeIjLj2EENS0_17counting_iteratorIjlEEPS9_SG_NS0_5tupleIJPjSI_NS0_16reverse_iteratorISI_EEEEENSH_IJSG_SG_SG_EEES9_SI_JZNS1_25segmented_radix_sort_implINS0_14default_configELb1EPKfPfPKlPlN2at6native12_GLOBAL__N_18offset_tEEE10hipError_tPvRmT1_PNSt15iterator_traitsIS12_E10value_typeET2_T3_PNS13_IS18_E10value_typeET4_jRbjT5_S1E_jjP12ihipStream_tbEUljE_ZNSN_ISO_Lb1ESQ_SR_ST_SU_SY_EESZ_S10_S11_S12_S16_S17_S18_S1B_S1C_jS1D_jS1E_S1E_jjS1G_bEUljE0_EEESZ_S10_S11_S18_S1C_S1E_T6_T7_T9_mT8_S1G_bDpT10_ENKUlT_T0_E_clISt17integral_constantIbLb1EES1U_EEDaS1P_S1Q_EUlS1P_E_NS1_11comp_targetILNS1_3genE9ELNS1_11target_archE1100ELNS1_3gpuE3ELNS1_3repE0EEENS1_30default_config_static_selectorELNS0_4arch9wavefront6targetE0EEEvS12_,@function
_ZN7rocprim17ROCPRIM_400000_NS6detail17trampoline_kernelINS0_13select_configILj256ELj13ELNS0_17block_load_methodE3ELS4_3ELS4_3ELNS0_20block_scan_algorithmE0ELj4294967295EEENS1_25partition_config_selectorILNS1_17partition_subalgoE4EjNS0_10empty_typeEbEEZZNS1_14partition_implILS8_4ELb0ES6_15HIP_vector_typeIjLj2EENS0_17counting_iteratorIjlEEPS9_SG_NS0_5tupleIJPjSI_NS0_16reverse_iteratorISI_EEEEENSH_IJSG_SG_SG_EEES9_SI_JZNS1_25segmented_radix_sort_implINS0_14default_configELb1EPKfPfPKlPlN2at6native12_GLOBAL__N_18offset_tEEE10hipError_tPvRmT1_PNSt15iterator_traitsIS12_E10value_typeET2_T3_PNS13_IS18_E10value_typeET4_jRbjT5_S1E_jjP12ihipStream_tbEUljE_ZNSN_ISO_Lb1ESQ_SR_ST_SU_SY_EESZ_S10_S11_S12_S16_S17_S18_S1B_S1C_jS1D_jS1E_S1E_jjS1G_bEUljE0_EEESZ_S10_S11_S18_S1C_S1E_T6_T7_T9_mT8_S1G_bDpT10_ENKUlT_T0_E_clISt17integral_constantIbLb1EES1U_EEDaS1P_S1Q_EUlS1P_E_NS1_11comp_targetILNS1_3genE9ELNS1_11target_archE1100ELNS1_3gpuE3ELNS1_3repE0EEENS1_30default_config_static_selectorELNS0_4arch9wavefront6targetE0EEEvS12_: ; @_ZN7rocprim17ROCPRIM_400000_NS6detail17trampoline_kernelINS0_13select_configILj256ELj13ELNS0_17block_load_methodE3ELS4_3ELS4_3ELNS0_20block_scan_algorithmE0ELj4294967295EEENS1_25partition_config_selectorILNS1_17partition_subalgoE4EjNS0_10empty_typeEbEEZZNS1_14partition_implILS8_4ELb0ES6_15HIP_vector_typeIjLj2EENS0_17counting_iteratorIjlEEPS9_SG_NS0_5tupleIJPjSI_NS0_16reverse_iteratorISI_EEEEENSH_IJSG_SG_SG_EEES9_SI_JZNS1_25segmented_radix_sort_implINS0_14default_configELb1EPKfPfPKlPlN2at6native12_GLOBAL__N_18offset_tEEE10hipError_tPvRmT1_PNSt15iterator_traitsIS12_E10value_typeET2_T3_PNS13_IS18_E10value_typeET4_jRbjT5_S1E_jjP12ihipStream_tbEUljE_ZNSN_ISO_Lb1ESQ_SR_ST_SU_SY_EESZ_S10_S11_S12_S16_S17_S18_S1B_S1C_jS1D_jS1E_S1E_jjS1G_bEUljE0_EEESZ_S10_S11_S18_S1C_S1E_T6_T7_T9_mT8_S1G_bDpT10_ENKUlT_T0_E_clISt17integral_constantIbLb1EES1U_EEDaS1P_S1Q_EUlS1P_E_NS1_11comp_targetILNS1_3genE9ELNS1_11target_archE1100ELNS1_3gpuE3ELNS1_3repE0EEENS1_30default_config_static_selectorELNS0_4arch9wavefront6targetE0EEEvS12_
; %bb.0:
	s_clause 0x7
	s_load_b64 s[34:35], s[0:1], 0x10
	s_load_b128 s[28:31], s[0:1], 0x28
	s_load_b64 s[14:15], s[0:1], 0x38
	s_load_b128 s[24:27], s[0:1], 0x58
	s_load_b64 s[4:5], s[0:1], 0x68
	s_load_b64 s[36:37], s[0:1], 0x78
	s_load_b64 s[38:39], s[0:1], 0xb0
	s_load_b256 s[16:23], s[0:1], 0x90
	v_cmp_eq_u32_e64 s2, 0, v0
	s_delay_alu instid0(VALU_DEP_1)
	s_and_saveexec_b32 s3, s2
	s_cbranch_execz .LBB1275_4
; %bb.1:
	s_mov_b32 s7, exec_lo
	s_mov_b32 s6, exec_lo
	v_mbcnt_lo_u32_b32 v1, s7, 0
                                        ; implicit-def: $vgpr2
	s_delay_alu instid0(VALU_DEP_1)
	v_cmpx_eq_u32_e32 0, v1
	s_cbranch_execz .LBB1275_3
; %bb.2:
	s_load_b64 s[8:9], s[0:1], 0x88
	s_bcnt1_i32_b32 s7, s7
	s_delay_alu instid0(SALU_CYCLE_1)
	v_dual_mov_b32 v2, 0 :: v_dual_mov_b32 v3, s7
	s_waitcnt lgkmcnt(0)
	global_atomic_add_u32 v2, v2, v3, s[8:9] glc
.LBB1275_3:
	s_or_b32 exec_lo, exec_lo, s6
	s_waitcnt vmcnt(0)
	v_readfirstlane_b32 s6, v2
	s_delay_alu instid0(VALU_DEP_1)
	v_dual_mov_b32 v2, 0 :: v_dual_add_nc_u32 v1, s6, v1
	ds_store_b32 v2, v1
.LBB1275_4:
	s_or_b32 exec_lo, exec_lo, s3
	v_mov_b32_e32 v1, 0
	s_clause 0x1
	s_load_b32 s3, s[0:1], 0x8
	s_load_b32 s0, s[0:1], 0x80
	s_waitcnt lgkmcnt(0)
	s_barrier
	buffer_gl0_inv
	ds_load_b32 v5, v1
	s_waitcnt lgkmcnt(0)
	s_barrier
	buffer_gl0_inv
	global_load_b128 v[1:4], v1, s[26:27]
	s_add_i32 s3, s3, s34
	s_mul_i32 s1, s0, 0xd00
	s_add_i32 s0, s0, -1
	s_add_u32 s6, s34, s1
	s_addc_u32 s7, s35, 0
	v_mul_lo_u32 v30, 0xd00, v5
	v_readfirstlane_b32 s26, v5
	v_cmp_lt_u64_e64 s5, s[6:7], s[4:5]
	v_cmp_ne_u32_e32 vcc_lo, s0, v5
	s_delay_alu instid0(VALU_DEP_3) | instskip(SKIP_1) | instid1(VALU_DEP_4)
	s_cmp_eq_u32 s26, s0
	s_cselect_b32 s13, -1, 0
	v_add3_u32 v5, v30, s3, v0
	s_delay_alu instid0(VALU_DEP_3) | instskip(SKIP_2) | instid1(VALU_DEP_1)
	s_or_b32 s0, s5, vcc_lo
	s_mov_b32 s3, -1
	s_and_b32 vcc_lo, exec_lo, s0
	v_add_nc_u32_e32 v6, 0x100, v5
	v_add_nc_u32_e32 v7, 0x200, v5
	;; [unrolled: 1-line block ×12, first 2 shown]
	s_cbranch_vccz .LBB1275_6
; %bb.5:
	v_lshlrev_b32_e32 v18, 2, v0
	s_mov_b32 s3, 0
	ds_store_2addr_stride64_b32 v18, v5, v6 offset1:4
	ds_store_2addr_stride64_b32 v18, v7, v8 offset0:8 offset1:12
	ds_store_2addr_stride64_b32 v18, v9, v10 offset0:16 offset1:20
	;; [unrolled: 1-line block ×5, first 2 shown]
	ds_store_b32 v18, v17 offset:12288
	s_waitcnt vmcnt(0) lgkmcnt(0)
	s_barrier
.LBB1275_6:
	s_and_not1_b32 vcc_lo, exec_lo, s3
	s_add_i32 s1, s1, s34
	s_cbranch_vccnz .LBB1275_8
; %bb.7:
	v_lshlrev_b32_e32 v18, 2, v0
	ds_store_2addr_stride64_b32 v18, v5, v6 offset1:4
	ds_store_2addr_stride64_b32 v18, v7, v8 offset0:8 offset1:12
	ds_store_2addr_stride64_b32 v18, v9, v10 offset0:16 offset1:20
	;; [unrolled: 1-line block ×5, first 2 shown]
	ds_store_b32 v18, v17 offset:12288
	s_waitcnt vmcnt(0) lgkmcnt(0)
	s_barrier
.LBB1275_8:
	v_mul_u32_u24_e32 v33, 13, v0
	s_waitcnt vmcnt(0)
	buffer_gl0_inv
	v_cndmask_b32_e64 v31, 0, 1, s0
	s_sub_i32 s40, s4, s1
	s_and_not1_b32 vcc_lo, exec_lo, s0
	v_lshlrev_b32_e32 v5, 2, v33
	ds_load_2addr_b32 v[20:21], v5 offset1:1
	ds_load_2addr_b32 v[18:19], v5 offset0:2 offset1:3
	ds_load_2addr_b32 v[16:17], v5 offset0:4 offset1:5
	;; [unrolled: 1-line block ×5, first 2 shown]
	ds_load_b32 v32, v5 offset:48
	s_waitcnt lgkmcnt(0)
	s_barrier
	buffer_gl0_inv
	s_cbranch_vccnz .LBB1275_36
; %bb.9:
	v_add_nc_u32_e32 v5, s17, v20
	v_add_nc_u32_e32 v6, s19, v20
	s_mov_b32 s42, 0
	s_mov_b32 s41, 0
	s_mov_b32 s1, exec_lo
	v_mul_lo_u32 v5, v5, s16
	v_mul_lo_u32 v6, v6, s18
	s_delay_alu instid0(VALU_DEP_1) | instskip(NEXT) | instid1(VALU_DEP_1)
	v_sub_nc_u32_e32 v5, v5, v6
	v_cmp_lt_u32_e32 vcc_lo, s20, v5
	v_cmpx_ge_u32_e64 s20, v5
; %bb.10:
	v_add_nc_u32_e32 v5, s22, v20
	v_add_nc_u32_e32 v6, s38, v20
	s_delay_alu instid0(VALU_DEP_2) | instskip(NEXT) | instid1(VALU_DEP_2)
	v_mul_lo_u32 v5, v5, s21
	v_mul_lo_u32 v6, v6, s23
	s_delay_alu instid0(VALU_DEP_1) | instskip(NEXT) | instid1(VALU_DEP_1)
	v_sub_nc_u32_e32 v5, v5, v6
	v_cmp_lt_u32_e64 s0, s39, v5
	s_delay_alu instid0(VALU_DEP_1)
	s_and_b32 s41, s0, exec_lo
; %bb.11:
	s_or_b32 exec_lo, exec_lo, s1
	v_add_nc_u32_e32 v5, s17, v21
	v_add_nc_u32_e32 v6, s19, v21
	s_mov_b32 s3, exec_lo
	s_delay_alu instid0(VALU_DEP_2) | instskip(NEXT) | instid1(VALU_DEP_2)
	v_mul_lo_u32 v5, v5, s16
	v_mul_lo_u32 v6, v6, s18
	s_delay_alu instid0(VALU_DEP_1) | instskip(NEXT) | instid1(VALU_DEP_1)
	v_sub_nc_u32_e32 v5, v5, v6
	v_cmp_lt_u32_e64 s0, s20, v5
	v_cmpx_ge_u32_e64 s20, v5
; %bb.12:
	v_add_nc_u32_e32 v5, s22, v21
	v_add_nc_u32_e32 v6, s38, v21
	s_delay_alu instid0(VALU_DEP_2) | instskip(NEXT) | instid1(VALU_DEP_2)
	v_mul_lo_u32 v5, v5, s21
	v_mul_lo_u32 v6, v6, s23
	s_delay_alu instid0(VALU_DEP_1) | instskip(NEXT) | instid1(VALU_DEP_1)
	v_sub_nc_u32_e32 v5, v5, v6
	v_cmp_lt_u32_e64 s1, s39, v5
	s_delay_alu instid0(VALU_DEP_1)
	s_and_b32 s42, s1, exec_lo
; %bb.13:
	s_or_b32 exec_lo, exec_lo, s3
	v_add_nc_u32_e32 v5, s17, v18
	v_add_nc_u32_e32 v6, s19, v18
	s_mov_b32 s44, 0
	s_mov_b32 s43, 0
	s_mov_b32 s4, exec_lo
	v_mul_lo_u32 v5, v5, s16
	v_mul_lo_u32 v6, v6, s18
	s_delay_alu instid0(VALU_DEP_1) | instskip(NEXT) | instid1(VALU_DEP_1)
	v_sub_nc_u32_e32 v5, v5, v6
	v_cmp_lt_u32_e64 s1, s20, v5
	v_cmpx_ge_u32_e64 s20, v5
; %bb.14:
	v_add_nc_u32_e32 v5, s22, v18
	v_add_nc_u32_e32 v6, s38, v18
	s_delay_alu instid0(VALU_DEP_2) | instskip(NEXT) | instid1(VALU_DEP_2)
	v_mul_lo_u32 v5, v5, s21
	v_mul_lo_u32 v6, v6, s23
	s_delay_alu instid0(VALU_DEP_1) | instskip(NEXT) | instid1(VALU_DEP_1)
	v_sub_nc_u32_e32 v5, v5, v6
	v_cmp_lt_u32_e64 s3, s39, v5
	s_delay_alu instid0(VALU_DEP_1)
	s_and_b32 s43, s3, exec_lo
; %bb.15:
	s_or_b32 exec_lo, exec_lo, s4
	v_add_nc_u32_e32 v5, s17, v19
	v_add_nc_u32_e32 v6, s19, v19
	s_mov_b32 s5, exec_lo
	s_delay_alu instid0(VALU_DEP_2) | instskip(NEXT) | instid1(VALU_DEP_2)
	v_mul_lo_u32 v5, v5, s16
	v_mul_lo_u32 v6, v6, s18
	s_delay_alu instid0(VALU_DEP_1) | instskip(NEXT) | instid1(VALU_DEP_1)
	v_sub_nc_u32_e32 v5, v5, v6
	v_cmp_lt_u32_e64 s3, s20, v5
	v_cmpx_ge_u32_e64 s20, v5
; %bb.16:
	v_add_nc_u32_e32 v5, s22, v19
	v_add_nc_u32_e32 v6, s38, v19
	s_delay_alu instid0(VALU_DEP_2) | instskip(NEXT) | instid1(VALU_DEP_2)
	v_mul_lo_u32 v5, v5, s21
	v_mul_lo_u32 v6, v6, s23
	s_delay_alu instid0(VALU_DEP_1) | instskip(NEXT) | instid1(VALU_DEP_1)
	v_sub_nc_u32_e32 v5, v5, v6
	v_cmp_lt_u32_e64 s4, s39, v5
	s_delay_alu instid0(VALU_DEP_1)
	s_and_b32 s44, s4, exec_lo
; %bb.17:
	s_or_b32 exec_lo, exec_lo, s5
	v_add_nc_u32_e32 v5, s17, v16
	v_add_nc_u32_e32 v6, s19, v16
	s_mov_b32 s46, 0
	s_mov_b32 s45, 0
	s_mov_b32 s6, exec_lo
	v_mul_lo_u32 v5, v5, s16
	v_mul_lo_u32 v6, v6, s18
	s_delay_alu instid0(VALU_DEP_1) | instskip(NEXT) | instid1(VALU_DEP_1)
	v_sub_nc_u32_e32 v5, v5, v6
	v_cmp_lt_u32_e64 s4, s20, v5
	;; [unrolled: 47-line block ×5, first 2 shown]
	v_cmpx_ge_u32_e64 s20, v5
; %bb.30:
	v_add_nc_u32_e32 v5, s22, v10
	v_add_nc_u32_e32 v6, s38, v10
	s_delay_alu instid0(VALU_DEP_2) | instskip(NEXT) | instid1(VALU_DEP_2)
	v_mul_lo_u32 v5, v5, s21
	v_mul_lo_u32 v6, v6, s23
	s_delay_alu instid0(VALU_DEP_1) | instskip(NEXT) | instid1(VALU_DEP_1)
	v_sub_nc_u32_e32 v5, v5, v6
	v_cmp_lt_u32_e64 s11, s39, v5
	s_delay_alu instid0(VALU_DEP_1)
	s_and_b32 s53, s11, exec_lo
; %bb.31:
	s_or_b32 exec_lo, exec_lo, s12
	v_add_nc_u32_e32 v5, s17, v11
	v_add_nc_u32_e32 v6, s19, v11
	s_mov_b32 s27, exec_lo
	s_delay_alu instid0(VALU_DEP_2) | instskip(NEXT) | instid1(VALU_DEP_2)
	v_mul_lo_u32 v5, v5, s16
	v_mul_lo_u32 v6, v6, s18
	s_delay_alu instid0(VALU_DEP_1) | instskip(NEXT) | instid1(VALU_DEP_1)
	v_sub_nc_u32_e32 v5, v5, v6
	v_cmp_lt_u32_e64 s11, s20, v5
	v_cmpx_ge_u32_e64 s20, v5
; %bb.32:
	v_add_nc_u32_e32 v5, s22, v11
	v_add_nc_u32_e32 v6, s38, v11
	s_delay_alu instid0(VALU_DEP_2) | instskip(NEXT) | instid1(VALU_DEP_2)
	v_mul_lo_u32 v5, v5, s21
	v_mul_lo_u32 v6, v6, s23
	s_delay_alu instid0(VALU_DEP_1) | instskip(NEXT) | instid1(VALU_DEP_1)
	v_sub_nc_u32_e32 v5, v5, v6
	v_cmp_lt_u32_e64 s12, s39, v5
	s_delay_alu instid0(VALU_DEP_1)
	s_and_b32 s52, s12, exec_lo
; %bb.33:
	s_or_b32 exec_lo, exec_lo, s27
	v_add_nc_u32_e32 v5, s17, v32
	v_add_nc_u32_e32 v6, s19, v32
	s_mov_b32 s27, -1
	s_mov_b32 s49, 0
	s_mov_b32 s33, 0
	v_mul_lo_u32 v5, v5, s16
	v_mul_lo_u32 v6, v6, s18
	s_mov_b32 s54, exec_lo
	s_delay_alu instid0(VALU_DEP_1) | instskip(NEXT) | instid1(VALU_DEP_1)
	v_sub_nc_u32_e32 v5, v5, v6
	v_cmpx_ge_u32_e64 s20, v5
; %bb.34:
	v_add_nc_u32_e32 v5, s22, v32
	v_add_nc_u32_e32 v6, s38, v32
	s_xor_b32 s27, exec_lo, -1
	s_delay_alu instid0(VALU_DEP_2) | instskip(NEXT) | instid1(VALU_DEP_2)
	v_mul_lo_u32 v5, v5, s21
	v_mul_lo_u32 v6, v6, s23
	s_delay_alu instid0(VALU_DEP_1) | instskip(NEXT) | instid1(VALU_DEP_1)
	v_sub_nc_u32_e32 v5, v5, v6
	v_cmp_lt_u32_e64 s12, s39, v5
	s_delay_alu instid0(VALU_DEP_1)
	s_and_b32 s33, s12, exec_lo
; %bb.35:
	s_or_b32 exec_lo, exec_lo, s54
	v_cndmask_b32_e64 v53, 0, 1, s53
	v_cndmask_b32_e64 v56, 0, 1, s11
	;; [unrolled: 1-line block ×22, first 2 shown]
	v_cndmask_b32_e64 v34, 0, 1, vcc_lo
	v_cndmask_b32_e64 v57, 0, 1, s52
	s_and_b32 vcc_lo, exec_lo, s49
	s_add_i32 s4, s40, 0xd00
	s_cbranch_vccnz .LBB1275_37
	s_branch .LBB1275_90
.LBB1275_36:
                                        ; implicit-def: $sgpr27
                                        ; implicit-def: $sgpr33
                                        ; implicit-def: $vgpr57
                                        ; implicit-def: $vgpr53
                                        ; implicit-def: $vgpr52
                                        ; implicit-def: $vgpr50
                                        ; implicit-def: $vgpr48
                                        ; implicit-def: $vgpr46
                                        ; implicit-def: $vgpr44
                                        ; implicit-def: $vgpr42
                                        ; implicit-def: $vgpr39
                                        ; implicit-def: $vgpr34
                                        ; implicit-def: $vgpr37
                                        ; implicit-def: $vgpr36
                                        ; implicit-def: $vgpr41
                                        ; implicit-def: $vgpr43
                                        ; implicit-def: $vgpr45
                                        ; implicit-def: $vgpr47
                                        ; implicit-def: $vgpr49
                                        ; implicit-def: $vgpr51
                                        ; implicit-def: $vgpr54
                                        ; implicit-def: $vgpr55
                                        ; implicit-def: $vgpr56
                                        ; implicit-def: $vgpr35
                                        ; implicit-def: $vgpr40
                                        ; implicit-def: $vgpr38
	s_add_i32 s4, s40, 0xd00
	s_cbranch_execz .LBB1275_90
.LBB1275_37:
	v_dual_mov_b32 v35, 0 :: v_dual_mov_b32 v34, 0
	s_mov_b32 s3, 0
	s_mov_b32 s1, exec_lo
	v_cmpx_gt_u32_e64 s4, v33
	s_cbranch_execz .LBB1275_41
; %bb.38:
	v_add_nc_u32_e32 v5, s17, v20
	v_add_nc_u32_e32 v6, s19, v20
	s_mov_b32 s5, exec_lo
	s_delay_alu instid0(VALU_DEP_2) | instskip(NEXT) | instid1(VALU_DEP_2)
	v_mul_lo_u32 v5, v5, s16
	v_mul_lo_u32 v6, v6, s18
	s_delay_alu instid0(VALU_DEP_1) | instskip(NEXT) | instid1(VALU_DEP_1)
	v_sub_nc_u32_e32 v5, v5, v6
	v_cmp_lt_u32_e32 vcc_lo, s20, v5
	v_cmpx_ge_u32_e64 s20, v5
; %bb.39:
	v_add_nc_u32_e32 v5, s22, v20
	v_add_nc_u32_e32 v6, s38, v20
	s_delay_alu instid0(VALU_DEP_2) | instskip(NEXT) | instid1(VALU_DEP_2)
	v_mul_lo_u32 v5, v5, s21
	v_mul_lo_u32 v6, v6, s23
	s_delay_alu instid0(VALU_DEP_1) | instskip(NEXT) | instid1(VALU_DEP_1)
	v_sub_nc_u32_e32 v5, v5, v6
	v_cmp_lt_u32_e64 s0, s39, v5
	s_delay_alu instid0(VALU_DEP_1)
	s_and_b32 s3, s0, exec_lo
; %bb.40:
	s_or_b32 exec_lo, exec_lo, s5
	v_cndmask_b32_e64 v34, 0, 1, vcc_lo
	v_cndmask_b32_e64 v35, 0, 1, s3
.LBB1275_41:
	s_or_b32 exec_lo, exec_lo, s1
	v_dual_mov_b32 v40, 0 :: v_dual_add_nc_u32 v5, 1, v33
	v_mov_b32_e32 v37, 0
	s_mov_b32 s3, 0
	s_mov_b32 s1, exec_lo
	s_delay_alu instid0(VALU_DEP_2)
	v_cmpx_gt_u32_e64 s4, v5
	s_cbranch_execz .LBB1275_45
; %bb.42:
	v_add_nc_u32_e32 v5, s17, v21
	v_add_nc_u32_e32 v6, s19, v21
	s_mov_b32 s5, exec_lo
	s_delay_alu instid0(VALU_DEP_2) | instskip(NEXT) | instid1(VALU_DEP_2)
	v_mul_lo_u32 v5, v5, s16
	v_mul_lo_u32 v6, v6, s18
	s_delay_alu instid0(VALU_DEP_1) | instskip(NEXT) | instid1(VALU_DEP_1)
	v_sub_nc_u32_e32 v5, v5, v6
	v_cmp_lt_u32_e32 vcc_lo, s20, v5
	v_cmpx_ge_u32_e64 s20, v5
; %bb.43:
	v_add_nc_u32_e32 v5, s22, v21
	v_add_nc_u32_e32 v6, s38, v21
	s_delay_alu instid0(VALU_DEP_2) | instskip(NEXT) | instid1(VALU_DEP_2)
	v_mul_lo_u32 v5, v5, s21
	v_mul_lo_u32 v6, v6, s23
	s_delay_alu instid0(VALU_DEP_1) | instskip(NEXT) | instid1(VALU_DEP_1)
	v_sub_nc_u32_e32 v5, v5, v6
	v_cmp_lt_u32_e64 s0, s39, v5
	s_delay_alu instid0(VALU_DEP_1)
	s_and_b32 s3, s0, exec_lo
; %bb.44:
	s_or_b32 exec_lo, exec_lo, s5
	v_cndmask_b32_e64 v37, 0, 1, vcc_lo
	v_cndmask_b32_e64 v40, 0, 1, s3
.LBB1275_45:
	s_or_b32 exec_lo, exec_lo, s1
	v_dual_mov_b32 v36, 0 :: v_dual_add_nc_u32 v5, 2, v33
	v_mov_b32_e32 v38, 0
	s_mov_b32 s3, 0
	s_mov_b32 s1, exec_lo
	s_delay_alu instid0(VALU_DEP_2)
	v_cmpx_gt_u32_e64 s4, v5
	s_cbranch_execz .LBB1275_49
; %bb.46:
	v_add_nc_u32_e32 v5, s17, v18
	v_add_nc_u32_e32 v6, s19, v18
	s_mov_b32 s5, exec_lo
	s_delay_alu instid0(VALU_DEP_2) | instskip(NEXT) | instid1(VALU_DEP_2)
	v_mul_lo_u32 v5, v5, s16
	v_mul_lo_u32 v6, v6, s18
	s_delay_alu instid0(VALU_DEP_1) | instskip(NEXT) | instid1(VALU_DEP_1)
	v_sub_nc_u32_e32 v5, v5, v6
	v_cmp_lt_u32_e32 vcc_lo, s20, v5
	v_cmpx_ge_u32_e64 s20, v5
; %bb.47:
	v_add_nc_u32_e32 v5, s22, v18
	v_add_nc_u32_e32 v6, s38, v18
	s_delay_alu instid0(VALU_DEP_2) | instskip(NEXT) | instid1(VALU_DEP_2)
	v_mul_lo_u32 v5, v5, s21
	v_mul_lo_u32 v6, v6, s23
	s_delay_alu instid0(VALU_DEP_1) | instskip(NEXT) | instid1(VALU_DEP_1)
	v_sub_nc_u32_e32 v5, v5, v6
	v_cmp_lt_u32_e64 s0, s39, v5
	s_delay_alu instid0(VALU_DEP_1)
	s_and_b32 s3, s0, exec_lo
; %bb.48:
	s_or_b32 exec_lo, exec_lo, s5
	v_cndmask_b32_e64 v36, 0, 1, vcc_lo
	v_cndmask_b32_e64 v38, 0, 1, s3
.LBB1275_49:
	s_or_b32 exec_lo, exec_lo, s1
	v_add_nc_u32_e32 v5, 3, v33
	v_mov_b32_e32 v39, 0
	v_mov_b32_e32 v41, 0
	s_mov_b32 s3, 0
	s_mov_b32 s1, exec_lo
	v_cmpx_gt_u32_e64 s4, v5
	s_cbranch_execz .LBB1275_53
; %bb.50:
	v_add_nc_u32_e32 v5, s17, v19
	v_add_nc_u32_e32 v6, s19, v19
	s_mov_b32 s5, exec_lo
	s_delay_alu instid0(VALU_DEP_2) | instskip(NEXT) | instid1(VALU_DEP_2)
	v_mul_lo_u32 v5, v5, s16
	v_mul_lo_u32 v6, v6, s18
	s_delay_alu instid0(VALU_DEP_1) | instskip(NEXT) | instid1(VALU_DEP_1)
	v_sub_nc_u32_e32 v5, v5, v6
	v_cmp_lt_u32_e32 vcc_lo, s20, v5
	v_cmpx_ge_u32_e64 s20, v5
; %bb.51:
	v_add_nc_u32_e32 v5, s22, v19
	v_add_nc_u32_e32 v6, s38, v19
	s_delay_alu instid0(VALU_DEP_2) | instskip(NEXT) | instid1(VALU_DEP_2)
	v_mul_lo_u32 v5, v5, s21
	v_mul_lo_u32 v6, v6, s23
	s_delay_alu instid0(VALU_DEP_1) | instskip(NEXT) | instid1(VALU_DEP_1)
	v_sub_nc_u32_e32 v5, v5, v6
	v_cmp_lt_u32_e64 s0, s39, v5
	s_delay_alu instid0(VALU_DEP_1)
	s_and_b32 s3, s0, exec_lo
; %bb.52:
	s_or_b32 exec_lo, exec_lo, s5
	v_cndmask_b32_e64 v41, 0, 1, vcc_lo
	v_cndmask_b32_e64 v39, 0, 1, s3
.LBB1275_53:
	s_or_b32 exec_lo, exec_lo, s1
	v_dual_mov_b32 v42, 0 :: v_dual_add_nc_u32 v5, 4, v33
	v_mov_b32_e32 v43, 0
	s_mov_b32 s3, 0
	s_mov_b32 s1, exec_lo
	s_delay_alu instid0(VALU_DEP_2)
	v_cmpx_gt_u32_e64 s4, v5
	s_cbranch_execz .LBB1275_57
; %bb.54:
	v_add_nc_u32_e32 v5, s17, v16
	v_add_nc_u32_e32 v6, s19, v16
	s_mov_b32 s5, exec_lo
	s_delay_alu instid0(VALU_DEP_2) | instskip(NEXT) | instid1(VALU_DEP_2)
	v_mul_lo_u32 v5, v5, s16
	v_mul_lo_u32 v6, v6, s18
	s_delay_alu instid0(VALU_DEP_1) | instskip(NEXT) | instid1(VALU_DEP_1)
	v_sub_nc_u32_e32 v5, v5, v6
	v_cmp_lt_u32_e32 vcc_lo, s20, v5
	v_cmpx_ge_u32_e64 s20, v5
; %bb.55:
	v_add_nc_u32_e32 v5, s22, v16
	v_add_nc_u32_e32 v6, s38, v16
	s_delay_alu instid0(VALU_DEP_2) | instskip(NEXT) | instid1(VALU_DEP_2)
	v_mul_lo_u32 v5, v5, s21
	v_mul_lo_u32 v6, v6, s23
	s_delay_alu instid0(VALU_DEP_1) | instskip(NEXT) | instid1(VALU_DEP_1)
	v_sub_nc_u32_e32 v5, v5, v6
	v_cmp_lt_u32_e64 s0, s39, v5
	s_delay_alu instid0(VALU_DEP_1)
	s_and_b32 s3, s0, exec_lo
; %bb.56:
	s_or_b32 exec_lo, exec_lo, s5
	v_cndmask_b32_e64 v43, 0, 1, vcc_lo
	v_cndmask_b32_e64 v42, 0, 1, s3
.LBB1275_57:
	s_or_b32 exec_lo, exec_lo, s1
	v_dual_mov_b32 v44, 0 :: v_dual_add_nc_u32 v5, 5, v33
	v_mov_b32_e32 v45, 0
	s_mov_b32 s3, 0
	s_mov_b32 s1, exec_lo
	s_delay_alu instid0(VALU_DEP_2)
	;; [unrolled: 35-line block ×6, first 2 shown]
	v_cmpx_gt_u32_e64 s4, v5
	s_cbranch_execz .LBB1275_77
; %bb.74:
	v_add_nc_u32_e32 v5, s17, v13
	v_add_nc_u32_e32 v6, s19, v13
	s_mov_b32 s5, exec_lo
	s_delay_alu instid0(VALU_DEP_2) | instskip(NEXT) | instid1(VALU_DEP_2)
	v_mul_lo_u32 v5, v5, s16
	v_mul_lo_u32 v6, v6, s18
	s_delay_alu instid0(VALU_DEP_1) | instskip(NEXT) | instid1(VALU_DEP_1)
	v_sub_nc_u32_e32 v5, v5, v6
	v_cmp_lt_u32_e32 vcc_lo, s20, v5
	v_cmpx_ge_u32_e64 s20, v5
; %bb.75:
	v_add_nc_u32_e32 v5, s22, v13
	v_add_nc_u32_e32 v6, s38, v13
	s_delay_alu instid0(VALU_DEP_2) | instskip(NEXT) | instid1(VALU_DEP_2)
	v_mul_lo_u32 v5, v5, s21
	v_mul_lo_u32 v6, v6, s23
	s_delay_alu instid0(VALU_DEP_1) | instskip(NEXT) | instid1(VALU_DEP_1)
	v_sub_nc_u32_e32 v5, v5, v6
	v_cmp_lt_u32_e64 s0, s39, v5
	s_delay_alu instid0(VALU_DEP_1)
	s_and_b32 s3, s0, exec_lo
; %bb.76:
	s_or_b32 exec_lo, exec_lo, s5
	v_cndmask_b32_e64 v54, 0, 1, vcc_lo
	v_cndmask_b32_e64 v52, 0, 1, s3
.LBB1275_77:
	s_or_b32 exec_lo, exec_lo, s1
	v_add_nc_u32_e32 v5, 10, v33
	v_mov_b32_e32 v53, 0
	v_mov_b32_e32 v55, 0
	s_mov_b32 s3, 0
	s_mov_b32 s1, exec_lo
	v_cmpx_gt_u32_e64 s4, v5
	s_cbranch_execz .LBB1275_81
; %bb.78:
	v_add_nc_u32_e32 v5, s17, v10
	v_add_nc_u32_e32 v6, s19, v10
	s_mov_b32 s5, exec_lo
	s_delay_alu instid0(VALU_DEP_2) | instskip(NEXT) | instid1(VALU_DEP_2)
	v_mul_lo_u32 v5, v5, s16
	v_mul_lo_u32 v6, v6, s18
	s_delay_alu instid0(VALU_DEP_1) | instskip(NEXT) | instid1(VALU_DEP_1)
	v_sub_nc_u32_e32 v5, v5, v6
	v_cmp_lt_u32_e32 vcc_lo, s20, v5
	v_cmpx_ge_u32_e64 s20, v5
; %bb.79:
	v_add_nc_u32_e32 v5, s22, v10
	v_add_nc_u32_e32 v6, s38, v10
	s_delay_alu instid0(VALU_DEP_2) | instskip(NEXT) | instid1(VALU_DEP_2)
	v_mul_lo_u32 v5, v5, s21
	v_mul_lo_u32 v6, v6, s23
	s_delay_alu instid0(VALU_DEP_1) | instskip(NEXT) | instid1(VALU_DEP_1)
	v_sub_nc_u32_e32 v5, v5, v6
	v_cmp_lt_u32_e64 s0, s39, v5
	s_delay_alu instid0(VALU_DEP_1)
	s_and_b32 s3, s0, exec_lo
; %bb.80:
	s_or_b32 exec_lo, exec_lo, s5
	v_cndmask_b32_e64 v55, 0, 1, vcc_lo
	v_cndmask_b32_e64 v53, 0, 1, s3
.LBB1275_81:
	s_or_b32 exec_lo, exec_lo, s1
	v_dual_mov_b32 v56, 0 :: v_dual_add_nc_u32 v5, 11, v33
	v_mov_b32_e32 v57, 0
	s_mov_b32 s3, 0
	s_mov_b32 s1, exec_lo
	s_delay_alu instid0(VALU_DEP_2)
	v_cmpx_gt_u32_e64 s4, v5
	s_cbranch_execz .LBB1275_85
; %bb.82:
	v_add_nc_u32_e32 v5, s17, v11
	v_add_nc_u32_e32 v6, s19, v11
	s_mov_b32 s5, exec_lo
	s_delay_alu instid0(VALU_DEP_2) | instskip(NEXT) | instid1(VALU_DEP_2)
	v_mul_lo_u32 v5, v5, s16
	v_mul_lo_u32 v6, v6, s18
	s_delay_alu instid0(VALU_DEP_1) | instskip(NEXT) | instid1(VALU_DEP_1)
	v_sub_nc_u32_e32 v5, v5, v6
	v_cmp_lt_u32_e32 vcc_lo, s20, v5
	v_cmpx_ge_u32_e64 s20, v5
; %bb.83:
	v_add_nc_u32_e32 v5, s22, v11
	v_add_nc_u32_e32 v6, s38, v11
	s_delay_alu instid0(VALU_DEP_2) | instskip(NEXT) | instid1(VALU_DEP_2)
	v_mul_lo_u32 v5, v5, s21
	v_mul_lo_u32 v6, v6, s23
	s_delay_alu instid0(VALU_DEP_1) | instskip(NEXT) | instid1(VALU_DEP_1)
	v_sub_nc_u32_e32 v5, v5, v6
	v_cmp_lt_u32_e64 s0, s39, v5
	s_delay_alu instid0(VALU_DEP_1)
	s_and_b32 s3, s0, exec_lo
; %bb.84:
	s_or_b32 exec_lo, exec_lo, s5
	v_cndmask_b32_e64 v56, 0, 1, vcc_lo
	v_cndmask_b32_e64 v57, 0, 1, s3
.LBB1275_85:
	s_or_b32 exec_lo, exec_lo, s1
	v_add_nc_u32_e32 v5, 12, v33
	s_mov_b32 s27, 0
	s_mov_b32 s33, 0
	s_mov_b32 s0, exec_lo
	s_delay_alu instid0(VALU_DEP_1)
	v_cmpx_gt_u32_e64 s4, v5
	s_cbranch_execz .LBB1275_89
; %bb.86:
	v_add_nc_u32_e32 v5, s17, v32
	v_add_nc_u32_e32 v6, s19, v32
	s_mov_b32 s3, -1
	s_mov_b32 s5, 0
	s_mov_b32 s1, exec_lo
	v_mul_lo_u32 v5, v5, s16
	v_mul_lo_u32 v6, v6, s18
	s_delay_alu instid0(VALU_DEP_1) | instskip(NEXT) | instid1(VALU_DEP_1)
	v_sub_nc_u32_e32 v5, v5, v6
	v_cmpx_ge_u32_e64 s20, v5
; %bb.87:
	v_add_nc_u32_e32 v5, s22, v32
	v_add_nc_u32_e32 v6, s38, v32
	s_xor_b32 s3, exec_lo, -1
	s_delay_alu instid0(VALU_DEP_2) | instskip(NEXT) | instid1(VALU_DEP_2)
	v_mul_lo_u32 v5, v5, s21
	v_mul_lo_u32 v6, v6, s23
	s_delay_alu instid0(VALU_DEP_1) | instskip(NEXT) | instid1(VALU_DEP_1)
	v_sub_nc_u32_e32 v5, v5, v6
	v_cmp_lt_u32_e32 vcc_lo, s39, v5
	s_and_b32 s5, vcc_lo, exec_lo
; %bb.88:
	s_or_b32 exec_lo, exec_lo, s1
	s_delay_alu instid0(SALU_CYCLE_1)
	s_and_b32 s33, s5, exec_lo
	s_and_b32 s27, s3, exec_lo
.LBB1275_89:
	s_or_b32 exec_lo, exec_lo, s0
.LBB1275_90:
	v_and_b32_e32 v80, 0xff, v34
	v_and_b32_e32 v81, 0xff, v35
	;; [unrolled: 1-line block ×10, first 2 shown]
	v_add3_u32 v5, v76, v78, v80
	v_add3_u32 v6, v77, v79, v81
	v_and_b32_e32 v70, 0xff, v45
	v_and_b32_e32 v71, 0xff, v44
	v_and_b32_e32 v64, 0xff, v47
	v_and_b32_e32 v65, 0xff, v46
	v_add3_u32 v5, v5, v74, v72
	v_add3_u32 v6, v6, v75, v73
	v_and_b32_e32 v68, 0xff, v49
	v_and_b32_e32 v69, 0xff, v48
	v_and_b32_e32 v66, 0xff, v51
	v_and_b32_e32 v67, 0xff, v50
	;; [unrolled: 6-line block ×3, first 2 shown]
	v_add3_u32 v5, v5, v68, v66
	v_add3_u32 v6, v6, v69, v67
	v_mbcnt_lo_u32_b32 v82, -1, 0
	v_and_b32_e32 v58, 0xff, v56
	v_and_b32_e32 v59, 0xff, v57
	v_cndmask_b32_e64 v7, 0, 1, s33
	v_add3_u32 v5, v5, v61, v60
	v_cndmask_b32_e64 v8, 0, 1, s27
	v_add3_u32 v6, v6, v62, v63
	v_and_b32_e32 v86, 15, v82
	v_and_b32_e32 v85, 16, v82
	v_lshrrev_b32_e32 v83, 5, v0
	v_add3_u32 v87, v5, v58, v8
	v_add3_u32 v88, v6, v59, v7
	v_cmp_eq_u32_e64 s1, 0, v86
	v_cmp_lt_u32_e64 s0, 1, v86
	v_cmp_lt_u32_e64 s3, 3, v86
	v_cmp_lt_u32_e32 vcc_lo, 7, v86
	v_or_b32_e32 v84, 31, v0
	s_cmp_lg_u32 s26, 0
	s_mov_b32 s5, -1
	s_cbranch_scc0 .LBB1275_123
; %bb.91:
	v_mov_b32_dpp v5, v88 row_shr:1 row_mask:0xf bank_mask:0xf
	v_mov_b32_dpp v6, v87 row_shr:1 row_mask:0xf bank_mask:0xf
	s_delay_alu instid0(VALU_DEP_2) | instskip(NEXT) | instid1(VALU_DEP_2)
	v_add_nc_u32_e32 v5, v5, v88
	v_add_nc_u32_e32 v6, v6, v87
	s_delay_alu instid0(VALU_DEP_2) | instskip(NEXT) | instid1(VALU_DEP_2)
	v_cndmask_b32_e64 v5, v5, v88, s1
	v_cndmask_b32_e64 v6, v6, v87, s1
	s_delay_alu instid0(VALU_DEP_2) | instskip(NEXT) | instid1(VALU_DEP_2)
	v_mov_b32_dpp v7, v5 row_shr:2 row_mask:0xf bank_mask:0xf
	v_mov_b32_dpp v8, v6 row_shr:2 row_mask:0xf bank_mask:0xf
	s_delay_alu instid0(VALU_DEP_2) | instskip(NEXT) | instid1(VALU_DEP_1)
	v_add_nc_u32_e32 v7, v5, v7
	v_cndmask_b32_e64 v5, v5, v7, s0
	s_delay_alu instid0(VALU_DEP_1) | instskip(NEXT) | instid1(VALU_DEP_1)
	v_mov_b32_dpp v7, v5 row_shr:4 row_mask:0xf bank_mask:0xf
	v_add_nc_u32_e32 v7, v5, v7
	s_delay_alu instid0(VALU_DEP_1) | instskip(NEXT) | instid1(VALU_DEP_1)
	v_cndmask_b32_e64 v5, v5, v7, s3
	v_mov_b32_dpp v7, v5 row_shr:8 row_mask:0xf bank_mask:0xf
	s_delay_alu instid0(VALU_DEP_1) | instskip(NEXT) | instid1(VALU_DEP_1)
	v_add_nc_u32_e32 v7, v5, v7
	v_dual_cndmask_b32 v5, v5, v7 :: v_dual_add_nc_u32 v8, v6, v8
	s_delay_alu instid0(VALU_DEP_1) | instskip(NEXT) | instid1(VALU_DEP_1)
	v_cndmask_b32_e64 v6, v6, v8, s0
	v_mov_b32_dpp v8, v6 row_shr:4 row_mask:0xf bank_mask:0xf
	s_delay_alu instid0(VALU_DEP_1) | instskip(NEXT) | instid1(VALU_DEP_1)
	v_add_nc_u32_e32 v8, v6, v8
	v_cndmask_b32_e64 v6, v6, v8, s3
	s_mov_b32 s3, exec_lo
	s_delay_alu instid0(VALU_DEP_1) | instskip(NEXT) | instid1(VALU_DEP_1)
	v_mov_b32_dpp v8, v6 row_shr:8 row_mask:0xf bank_mask:0xf
	v_add_nc_u32_e32 v8, v6, v8
	s_delay_alu instid0(VALU_DEP_1)
	v_cndmask_b32_e32 v7, v6, v8, vcc_lo
	ds_swizzle_b32 v6, v5 offset:swizzle(BROADCAST,32,15)
	v_cmp_eq_u32_e32 vcc_lo, 0, v85
	s_waitcnt lgkmcnt(0)
	v_add_nc_u32_e32 v6, v5, v6
	ds_swizzle_b32 v8, v7 offset:swizzle(BROADCAST,32,15)
	v_cndmask_b32_e32 v6, v6, v5, vcc_lo
	s_waitcnt lgkmcnt(0)
	v_add_nc_u32_e32 v8, v7, v8
	s_delay_alu instid0(VALU_DEP_1)
	v_cndmask_b32_e32 v5, v8, v7, vcc_lo
	v_cmpx_eq_u32_e64 v84, v0
	s_cbranch_execz .LBB1275_93
; %bb.92:
	v_lshlrev_b32_e32 v7, 3, v83
	ds_store_b64 v7, v[5:6]
.LBB1275_93:
	s_or_b32 exec_lo, exec_lo, s3
	s_delay_alu instid0(SALU_CYCLE_1)
	s_mov_b32 s3, exec_lo
	s_waitcnt lgkmcnt(0)
	s_barrier
	buffer_gl0_inv
	v_cmpx_gt_u32_e32 8, v0
	s_cbranch_execz .LBB1275_95
; %bb.94:
	v_lshlrev_b32_e32 v9, 3, v0
	ds_load_b64 v[7:8], v9
	s_waitcnt lgkmcnt(0)
	v_mov_b32_dpp v22, v7 row_shr:1 row_mask:0xf bank_mask:0xf
	v_mov_b32_dpp v23, v8 row_shr:1 row_mask:0xf bank_mask:0xf
	s_delay_alu instid0(VALU_DEP_2) | instskip(SKIP_1) | instid1(VALU_DEP_3)
	v_add_nc_u32_e32 v22, v22, v7
	v_and_b32_e32 v24, 7, v82
	v_add_nc_u32_e32 v23, v23, v8
	s_delay_alu instid0(VALU_DEP_2) | instskip(NEXT) | instid1(VALU_DEP_2)
	v_cmp_eq_u32_e32 vcc_lo, 0, v24
	v_dual_cndmask_b32 v8, v23, v8 :: v_dual_cndmask_b32 v7, v22, v7
	v_cmp_lt_u32_e32 vcc_lo, 1, v24
	s_delay_alu instid0(VALU_DEP_2) | instskip(NEXT) | instid1(VALU_DEP_3)
	v_mov_b32_dpp v23, v8 row_shr:2 row_mask:0xf bank_mask:0xf
	v_mov_b32_dpp v22, v7 row_shr:2 row_mask:0xf bank_mask:0xf
	s_delay_alu instid0(VALU_DEP_2) | instskip(NEXT) | instid1(VALU_DEP_2)
	v_add_nc_u32_e32 v23, v8, v23
	v_add_nc_u32_e32 v22, v7, v22
	s_delay_alu instid0(VALU_DEP_1) | instskip(SKIP_1) | instid1(VALU_DEP_2)
	v_dual_cndmask_b32 v8, v8, v23 :: v_dual_cndmask_b32 v7, v7, v22
	v_cmp_lt_u32_e32 vcc_lo, 3, v24
	v_mov_b32_dpp v23, v8 row_shr:4 row_mask:0xf bank_mask:0xf
	s_delay_alu instid0(VALU_DEP_3) | instskip(NEXT) | instid1(VALU_DEP_1)
	v_mov_b32_dpp v22, v7 row_shr:4 row_mask:0xf bank_mask:0xf
	v_dual_cndmask_b32 v23, 0, v23 :: v_dual_cndmask_b32 v22, 0, v22
	s_delay_alu instid0(VALU_DEP_1) | instskip(NEXT) | instid1(VALU_DEP_2)
	v_add_nc_u32_e32 v8, v23, v8
	v_add_nc_u32_e32 v7, v22, v7
	ds_store_b64 v9, v[7:8]
.LBB1275_95:
	s_or_b32 exec_lo, exec_lo, s3
	v_cmp_gt_u32_e32 vcc_lo, 32, v0
	v_cmp_lt_u32_e64 s3, 31, v0
	s_waitcnt lgkmcnt(0)
	s_barrier
	buffer_gl0_inv
                                        ; implicit-def: $vgpr23
	s_and_saveexec_b32 s5, s3
	s_delay_alu instid0(SALU_CYCLE_1)
	s_xor_b32 s3, exec_lo, s5
	s_cbranch_execz .LBB1275_97
; %bb.96:
	v_lshl_add_u32 v7, v83, 3, -8
	ds_load_b64 v[22:23], v7
	s_waitcnt lgkmcnt(0)
	v_add_nc_u32_e32 v6, v23, v6
	v_add_nc_u32_e32 v5, v22, v5
.LBB1275_97:
	s_and_not1_saveexec_b32 s3, s3
; %bb.98:
                                        ; implicit-def: $vgpr22
; %bb.99:
	s_delay_alu instid0(SALU_CYCLE_1) | instskip(SKIP_1) | instid1(VALU_DEP_1)
	s_or_b32 exec_lo, exec_lo, s3
	v_add_nc_u32_e32 v7, -1, v82
	v_cmp_gt_i32_e64 s3, 0, v7
	s_delay_alu instid0(VALU_DEP_1) | instskip(SKIP_1) | instid1(VALU_DEP_2)
	v_cndmask_b32_e64 v7, v7, v82, s3
	v_cmp_eq_u32_e64 s3, 0, v82
	v_lshlrev_b32_e32 v7, 2, v7
	ds_bpermute_b32 v89, v7, v5
	ds_bpermute_b32 v90, v7, v6
	s_and_saveexec_b32 s5, vcc_lo
	s_cbranch_execz .LBB1275_122
; %bb.100:
	v_mov_b32_e32 v8, 0
	ds_load_b64 v[5:6], v8 offset:56
	s_waitcnt lgkmcnt(0)
	v_readfirstlane_b32 s6, v6
	s_and_saveexec_b32 s7, s3
	s_cbranch_execz .LBB1275_102
; %bb.101:
	s_add_i32 s8, s26, 32
	s_mov_b32 s9, 0
	v_mov_b32_e32 v7, 1
	s_lshl_b64 s[10:11], s[8:9], 4
	s_mov_b32 s16, s9
	s_add_u32 s10, s36, s10
	s_addc_u32 s11, s37, s11
	s_and_b32 s17, s6, 0xff000000
	s_and_b32 s19, s6, 0xff0000
	s_mov_b32 s18, s9
	v_dual_mov_b32 v25, s11 :: v_dual_mov_b32 v24, s10
	s_or_b64 s[16:17], s[18:19], s[16:17]
	s_and_b32 s19, s6, 0xff00
	s_delay_alu instid0(SALU_CYCLE_1) | instskip(SKIP_1) | instid1(SALU_CYCLE_1)
	s_or_b64 s[16:17], s[16:17], s[18:19]
	s_and_b32 s19, s6, 0xff
	s_or_b64 s[8:9], s[16:17], s[18:19]
	s_delay_alu instid0(SALU_CYCLE_1)
	v_mov_b32_e32 v6, s9
	;;#ASMSTART
	global_store_dwordx4 v[24:25], v[5:8] off	
s_waitcnt vmcnt(0)
	;;#ASMEND
.LBB1275_102:
	s_or_b32 exec_lo, exec_lo, s7
	v_xad_u32 v24, v82, -1, s26
	s_mov_b32 s8, 0
	s_mov_b32 s7, exec_lo
	s_delay_alu instid0(VALU_DEP_1) | instskip(NEXT) | instid1(VALU_DEP_1)
	v_add_nc_u32_e32 v7, 32, v24
	v_lshlrev_b64 v[6:7], 4, v[7:8]
	s_delay_alu instid0(VALU_DEP_1) | instskip(NEXT) | instid1(VALU_DEP_2)
	v_add_co_u32 v25, vcc_lo, s36, v6
	v_add_co_ci_u32_e32 v26, vcc_lo, s37, v7, vcc_lo
	;;#ASMSTART
	global_load_dwordx4 v[6:9], v[25:26] off glc	
s_waitcnt vmcnt(0)
	;;#ASMEND
	v_and_b32_e32 v9, 0xff, v7
	v_and_b32_e32 v27, 0xff00, v7
	v_or3_b32 v6, v6, 0, 0
	v_and_b32_e32 v28, 0xff000000, v7
	v_and_b32_e32 v7, 0xff0000, v7
	s_delay_alu instid0(VALU_DEP_4) | instskip(SKIP_2) | instid1(VALU_DEP_3)
	v_or3_b32 v9, 0, v9, v27
	v_and_b32_e32 v27, 0xff, v8
	v_or3_b32 v6, v6, 0, 0
	v_or3_b32 v7, v9, v7, v28
	s_delay_alu instid0(VALU_DEP_3)
	v_cmpx_eq_u16_e32 0, v27
	s_cbranch_execz .LBB1275_108
; %bb.103:
	s_mov_b32 s9, 1
	.p2align	6
.LBB1275_104:                           ; =>This Loop Header: Depth=1
                                        ;     Child Loop BB1275_105 Depth 2
	s_delay_alu instid0(SALU_CYCLE_1)
	s_max_u32 s10, s9, 1
.LBB1275_105:                           ;   Parent Loop BB1275_104 Depth=1
                                        ; =>  This Inner Loop Header: Depth=2
	s_delay_alu instid0(SALU_CYCLE_1)
	s_add_i32 s10, s10, -1
	s_sleep 1
	s_cmp_eq_u32 s10, 0
	s_cbranch_scc0 .LBB1275_105
; %bb.106:                              ;   in Loop: Header=BB1275_104 Depth=1
	;;#ASMSTART
	global_load_dwordx4 v[6:9], v[25:26] off glc	
s_waitcnt vmcnt(0)
	;;#ASMEND
	v_and_b32_e32 v9, 0xff, v8
	s_cmp_lt_u32 s9, 32
	s_cselect_b32 s10, -1, 0
	s_delay_alu instid0(SALU_CYCLE_1) | instskip(NEXT) | instid1(VALU_DEP_1)
	s_cmp_lg_u32 s10, 0
	v_cmp_ne_u16_e32 vcc_lo, 0, v9
	s_addc_u32 s9, s9, 0
	s_or_b32 s8, vcc_lo, s8
	s_delay_alu instid0(SALU_CYCLE_1)
	s_and_not1_b32 exec_lo, exec_lo, s8
	s_cbranch_execnz .LBB1275_104
; %bb.107:
	s_or_b32 exec_lo, exec_lo, s8
.LBB1275_108:
	s_delay_alu instid0(SALU_CYCLE_1) | instskip(SKIP_3) | instid1(VALU_DEP_1)
	s_or_b32 exec_lo, exec_lo, s7
	v_cmp_ne_u32_e32 vcc_lo, 31, v82
	v_lshlrev_b32_e64 v92, v82, -1
	v_add_co_ci_u32_e32 v9, vcc_lo, 0, v82, vcc_lo
	v_lshlrev_b32_e32 v91, 2, v9
	ds_bpermute_b32 v25, v91, v7
	ds_bpermute_b32 v9, v91, v6
	s_waitcnt lgkmcnt(1)
	v_add_nc_u32_e32 v25, v25, v7
	v_and_b32_e32 v26, 0xff, v8
	s_waitcnt lgkmcnt(0)
	v_add_nc_u32_e32 v9, v9, v6
	s_delay_alu instid0(VALU_DEP_2) | instskip(SKIP_2) | instid1(VALU_DEP_2)
	v_cmp_eq_u16_e32 vcc_lo, 2, v26
	v_and_or_b32 v26, vcc_lo, v92, 0x80000000
	v_cmp_gt_u32_e32 vcc_lo, 30, v82
	v_ctz_i32_b32_e32 v26, v26
	v_cndmask_b32_e64 v27, 0, 1, vcc_lo
	s_delay_alu instid0(VALU_DEP_2) | instskip(NEXT) | instid1(VALU_DEP_2)
	v_cmp_lt_u32_e32 vcc_lo, v82, v26
	v_dual_cndmask_b32 v6, v6, v9 :: v_dual_lshlrev_b32 v27, 1, v27
	s_delay_alu instid0(VALU_DEP_1)
	v_add_lshl_u32 v93, v27, v82, 2
	v_cndmask_b32_e32 v7, v7, v25, vcc_lo
	v_cmp_gt_u32_e32 vcc_lo, 28, v82
	ds_bpermute_b32 v9, v93, v6
	ds_bpermute_b32 v25, v93, v7
	v_cndmask_b32_e64 v27, 0, 1, vcc_lo
	s_waitcnt lgkmcnt(1)
	v_add_nc_u32_e32 v9, v6, v9
	s_waitcnt lgkmcnt(0)
	v_add_nc_u32_e32 v25, v7, v25
	v_add_nc_u32_e32 v94, 2, v82
	s_delay_alu instid0(VALU_DEP_1) | instskip(NEXT) | instid1(VALU_DEP_3)
	v_cmp_gt_u32_e32 vcc_lo, v94, v26
	v_cndmask_b32_e32 v7, v25, v7, vcc_lo
	v_dual_cndmask_b32 v6, v9, v6 :: v_dual_lshlrev_b32 v27, 2, v27
	v_cmp_gt_u32_e32 vcc_lo, 24, v82
	s_delay_alu instid0(VALU_DEP_2) | instskip(SKIP_4) | instid1(VALU_DEP_1)
	v_add_lshl_u32 v95, v27, v82, 2
	v_cndmask_b32_e64 v27, 0, 1, vcc_lo
	ds_bpermute_b32 v25, v95, v7
	ds_bpermute_b32 v9, v95, v6
	v_lshlrev_b32_e32 v27, 3, v27
	v_add_lshl_u32 v97, v27, v82, 2
	s_waitcnt lgkmcnt(1)
	v_add_nc_u32_e32 v25, v7, v25
	v_add_nc_u32_e32 v96, 4, v82
	s_waitcnt lgkmcnt(0)
	v_add_nc_u32_e32 v9, v6, v9
	s_delay_alu instid0(VALU_DEP_2) | instskip(SKIP_1) | instid1(VALU_DEP_3)
	v_cmp_gt_u32_e32 vcc_lo, v96, v26
	v_cndmask_b32_e32 v7, v25, v7, vcc_lo
	v_cndmask_b32_e32 v6, v9, v6, vcc_lo
	v_cmp_gt_u32_e32 vcc_lo, 16, v82
	ds_bpermute_b32 v25, v97, v7
	ds_bpermute_b32 v9, v97, v6
	v_cndmask_b32_e64 v27, 0, 1, vcc_lo
	s_delay_alu instid0(VALU_DEP_1) | instskip(NEXT) | instid1(VALU_DEP_1)
	v_lshlrev_b32_e32 v27, 4, v27
	v_add_lshl_u32 v99, v27, v82, 2
	s_waitcnt lgkmcnt(1)
	v_add_nc_u32_e32 v25, v7, v25
	v_add_nc_u32_e32 v98, 8, v82
	s_waitcnt lgkmcnt(0)
	v_add_nc_u32_e32 v9, v6, v9
	s_delay_alu instid0(VALU_DEP_2) | instskip(SKIP_1) | instid1(VALU_DEP_3)
	v_cmp_gt_u32_e32 vcc_lo, v98, v26
	v_cndmask_b32_e32 v7, v25, v7, vcc_lo
	v_cndmask_b32_e32 v6, v9, v6, vcc_lo
	ds_bpermute_b32 v25, v99, v7
	ds_bpermute_b32 v9, v99, v6
	v_add_nc_u32_e32 v100, 16, v82
	s_delay_alu instid0(VALU_DEP_1) | instskip(SKIP_2) | instid1(VALU_DEP_1)
	v_cmp_le_u32_e32 vcc_lo, v100, v26
	s_waitcnt lgkmcnt(0)
	v_cndmask_b32_e32 v9, 0, v9, vcc_lo
	v_dual_cndmask_b32 v25, 0, v25 :: v_dual_add_nc_u32 v6, v9, v6
	s_delay_alu instid0(VALU_DEP_1)
	v_add_nc_u32_e32 v7, v25, v7
	v_mov_b32_e32 v25, 0
	s_branch .LBB1275_110
.LBB1275_109:                           ;   in Loop: Header=BB1275_110 Depth=1
	s_or_b32 exec_lo, exec_lo, s7
	ds_bpermute_b32 v9, v91, v6
	ds_bpermute_b32 v28, v91, v7
	v_subrev_nc_u32_e32 v24, 32, v24
	s_waitcnt lgkmcnt(1)
	v_add_nc_u32_e32 v9, v9, v6
	v_and_b32_e32 v29, 0xff, v8
	s_waitcnt lgkmcnt(0)
	v_add_nc_u32_e32 v28, v28, v7
	s_delay_alu instid0(VALU_DEP_2) | instskip(SKIP_1) | instid1(VALU_DEP_1)
	v_cmp_eq_u16_e32 vcc_lo, 2, v29
	v_and_or_b32 v29, vcc_lo, v92, 0x80000000
	v_ctz_i32_b32_e32 v29, v29
	s_delay_alu instid0(VALU_DEP_1)
	v_cmp_lt_u32_e32 vcc_lo, v82, v29
	v_cndmask_b32_e32 v6, v6, v9, vcc_lo
	ds_bpermute_b32 v9, v93, v6
	s_waitcnt lgkmcnt(0)
	v_add_nc_u32_e32 v9, v6, v9
	v_cndmask_b32_e32 v7, v7, v28, vcc_lo
	v_cmp_gt_u32_e32 vcc_lo, v94, v29
	s_delay_alu instid0(VALU_DEP_3)
	v_cndmask_b32_e32 v6, v9, v6, vcc_lo
	ds_bpermute_b32 v28, v93, v7
	ds_bpermute_b32 v9, v95, v6
	s_waitcnt lgkmcnt(1)
	v_add_nc_u32_e32 v28, v7, v28
	s_waitcnt lgkmcnt(0)
	v_add_nc_u32_e32 v9, v6, v9
	s_delay_alu instid0(VALU_DEP_2) | instskip(SKIP_1) | instid1(VALU_DEP_3)
	v_cndmask_b32_e32 v7, v28, v7, vcc_lo
	v_cmp_gt_u32_e32 vcc_lo, v96, v29
	v_cndmask_b32_e32 v6, v9, v6, vcc_lo
	ds_bpermute_b32 v28, v95, v7
	ds_bpermute_b32 v9, v97, v6
	s_waitcnt lgkmcnt(1)
	v_add_nc_u32_e32 v28, v7, v28
	s_waitcnt lgkmcnt(0)
	v_add_nc_u32_e32 v9, v6, v9
	s_delay_alu instid0(VALU_DEP_2) | instskip(SKIP_1) | instid1(VALU_DEP_3)
	v_cndmask_b32_e32 v7, v28, v7, vcc_lo
	v_cmp_gt_u32_e32 vcc_lo, v98, v29
	v_cndmask_b32_e32 v6, v9, v6, vcc_lo
	ds_bpermute_b32 v28, v97, v7
	ds_bpermute_b32 v9, v99, v6
	s_waitcnt lgkmcnt(1)
	v_add_nc_u32_e32 v28, v7, v28
	s_delay_alu instid0(VALU_DEP_1) | instskip(SKIP_4) | instid1(VALU_DEP_1)
	v_cndmask_b32_e32 v7, v28, v7, vcc_lo
	v_cmp_le_u32_e32 vcc_lo, v100, v29
	ds_bpermute_b32 v28, v99, v7
	s_waitcnt lgkmcnt(1)
	v_cndmask_b32_e32 v9, 0, v9, vcc_lo
	v_add3_u32 v6, v6, v26, v9
	s_waitcnt lgkmcnt(0)
	v_cndmask_b32_e32 v28, 0, v28, vcc_lo
	s_delay_alu instid0(VALU_DEP_1)
	v_add3_u32 v7, v7, v27, v28
.LBB1275_110:                           ; =>This Loop Header: Depth=1
                                        ;     Child Loop BB1275_113 Depth 2
                                        ;       Child Loop BB1275_114 Depth 3
	s_delay_alu instid0(VALU_DEP_1) | instskip(SKIP_1) | instid1(VALU_DEP_2)
	v_dual_mov_b32 v27, v7 :: v_dual_and_b32 v8, 0xff, v8
	v_mov_b32_e32 v26, v6
	v_cmp_ne_u16_e32 vcc_lo, 2, v8
	v_cndmask_b32_e64 v8, 0, 1, vcc_lo
	;;#ASMSTART
	;;#ASMEND
	s_delay_alu instid0(VALU_DEP_1)
	v_cmp_ne_u32_e32 vcc_lo, 0, v8
	s_cmp_lg_u32 vcc_lo, exec_lo
	s_cbranch_scc1 .LBB1275_117
; %bb.111:                              ;   in Loop: Header=BB1275_110 Depth=1
	v_lshlrev_b64 v[6:7], 4, v[24:25]
	s_mov_b32 s7, exec_lo
	s_delay_alu instid0(VALU_DEP_1) | instskip(NEXT) | instid1(VALU_DEP_2)
	v_add_co_u32 v28, vcc_lo, s36, v6
	v_add_co_ci_u32_e32 v29, vcc_lo, s37, v7, vcc_lo
	;;#ASMSTART
	global_load_dwordx4 v[6:9], v[28:29] off glc	
s_waitcnt vmcnt(0)
	;;#ASMEND
	v_and_b32_e32 v9, 0xff, v7
	v_and_b32_e32 v101, 0xff00, v7
	v_or3_b32 v6, v6, 0, 0
	v_and_b32_e32 v102, 0xff000000, v7
	v_and_b32_e32 v7, 0xff0000, v7
	s_delay_alu instid0(VALU_DEP_4) | instskip(SKIP_2) | instid1(VALU_DEP_3)
	v_or3_b32 v9, 0, v9, v101
	v_and_b32_e32 v101, 0xff, v8
	v_or3_b32 v6, v6, 0, 0
	v_or3_b32 v7, v9, v7, v102
	s_delay_alu instid0(VALU_DEP_3)
	v_cmpx_eq_u16_e32 0, v101
	s_cbranch_execz .LBB1275_109
; %bb.112:                              ;   in Loop: Header=BB1275_110 Depth=1
	s_mov_b32 s9, 1
	s_mov_b32 s8, 0
	.p2align	6
.LBB1275_113:                           ;   Parent Loop BB1275_110 Depth=1
                                        ; =>  This Loop Header: Depth=2
                                        ;       Child Loop BB1275_114 Depth 3
	s_max_u32 s10, s9, 1
.LBB1275_114:                           ;   Parent Loop BB1275_110 Depth=1
                                        ;     Parent Loop BB1275_113 Depth=2
                                        ; =>    This Inner Loop Header: Depth=3
	s_delay_alu instid0(SALU_CYCLE_1)
	s_add_i32 s10, s10, -1
	s_sleep 1
	s_cmp_eq_u32 s10, 0
	s_cbranch_scc0 .LBB1275_114
; %bb.115:                              ;   in Loop: Header=BB1275_113 Depth=2
	;;#ASMSTART
	global_load_dwordx4 v[6:9], v[28:29] off glc	
s_waitcnt vmcnt(0)
	;;#ASMEND
	v_and_b32_e32 v9, 0xff, v8
	s_cmp_lt_u32 s9, 32
	s_cselect_b32 s10, -1, 0
	s_delay_alu instid0(SALU_CYCLE_1) | instskip(NEXT) | instid1(VALU_DEP_1)
	s_cmp_lg_u32 s10, 0
	v_cmp_ne_u16_e32 vcc_lo, 0, v9
	s_addc_u32 s9, s9, 0
	s_or_b32 s8, vcc_lo, s8
	s_delay_alu instid0(SALU_CYCLE_1)
	s_and_not1_b32 exec_lo, exec_lo, s8
	s_cbranch_execnz .LBB1275_113
; %bb.116:                              ;   in Loop: Header=BB1275_110 Depth=1
	s_or_b32 exec_lo, exec_lo, s8
	s_branch .LBB1275_109
.LBB1275_117:                           ;   in Loop: Header=BB1275_110 Depth=1
                                        ; implicit-def: $vgpr8
                                        ; implicit-def: $vgpr6_vgpr7
	s_cbranch_execz .LBB1275_110
; %bb.118:
	s_and_saveexec_b32 s7, s3
	s_cbranch_execnz .LBB1275_361
; %bb.119:
	s_or_b32 exec_lo, exec_lo, s7
	s_and_saveexec_b32 s7, s3
	s_cbranch_execnz .LBB1275_362
.LBB1275_120:
	s_or_b32 exec_lo, exec_lo, s7
	s_delay_alu instid0(SALU_CYCLE_1)
	s_and_b32 exec_lo, exec_lo, s2
	s_cbranch_execz .LBB1275_122
.LBB1275_121:
	v_mov_b32_e32 v5, 0
	ds_store_b64 v5, v[26:27] offset:56
.LBB1275_122:
	s_or_b32 exec_lo, exec_lo, s5
	s_waitcnt lgkmcnt(1)
	v_cndmask_b32_e64 v22, v89, v22, s3
	v_mov_b32_e32 v5, 0
	s_waitcnt lgkmcnt(0)
	s_barrier
	buffer_gl0_inv
	v_add_nc_u32_e64 v7, 0x3400, 0
	ds_load_b64 v[24:25], v5 offset:56
	s_waitcnt lgkmcnt(0)
	s_barrier
	buffer_gl0_inv
	ds_load_2addr_b32 v[5:6], v7 offset1:2
	ds_load_2addr_b32 v[7:8], v7 offset0:4 offset1:6
	v_cndmask_b32_e64 v9, v90, v23, s3
	v_add_nc_u32_e32 v22, v24, v22
	s_delay_alu instid0(VALU_DEP_2) | instskip(NEXT) | instid1(VALU_DEP_2)
	v_add_nc_u32_e32 v9, v25, v9
	v_cndmask_b32_e64 v22, v22, v24, s2
	s_delay_alu instid0(VALU_DEP_2)
	v_cndmask_b32_e64 v9, v9, v25, s2
	s_branch .LBB1275_133
.LBB1275_123:
                                        ; implicit-def: $vgpr9
                                        ; implicit-def: $vgpr7
                                        ; implicit-def: $vgpr5
                                        ; implicit-def: $vgpr22_vgpr23
	s_and_b32 vcc_lo, exec_lo, s5
	s_cbranch_vccz .LBB1275_133
; %bb.124:
	s_waitcnt lgkmcnt(1)
	v_mov_b32_dpp v6, v88 row_shr:1 row_mask:0xf bank_mask:0xf
	v_cmp_lt_u32_e32 vcc_lo, 3, v86
	v_mov_b32_dpp v5, v87 row_shr:1 row_mask:0xf bank_mask:0xf
	s_delay_alu instid0(VALU_DEP_3) | instskip(NEXT) | instid1(VALU_DEP_1)
	v_add_nc_u32_e32 v6, v6, v88
	v_cndmask_b32_e64 v6, v6, v88, s1
	s_waitcnt lgkmcnt(0)
	s_delay_alu instid0(VALU_DEP_1) | instskip(NEXT) | instid1(VALU_DEP_1)
	v_mov_b32_dpp v8, v6 row_shr:2 row_mask:0xf bank_mask:0xf
	v_add_nc_u32_e32 v8, v6, v8
	s_delay_alu instid0(VALU_DEP_1) | instskip(NEXT) | instid1(VALU_DEP_1)
	v_cndmask_b32_e64 v6, v6, v8, s0
	v_mov_b32_dpp v8, v6 row_shr:4 row_mask:0xf bank_mask:0xf
	s_delay_alu instid0(VALU_DEP_1) | instskip(NEXT) | instid1(VALU_DEP_1)
	v_add_nc_u32_e32 v8, v6, v8
	v_dual_cndmask_b32 v6, v6, v8 :: v_dual_add_nc_u32 v5, v5, v87
	s_delay_alu instid0(VALU_DEP_1) | instskip(NEXT) | instid1(VALU_DEP_2)
	v_cndmask_b32_e64 v5, v5, v87, s1
	v_mov_b32_dpp v8, v6 row_shr:8 row_mask:0xf bank_mask:0xf
	s_delay_alu instid0(VALU_DEP_2) | instskip(NEXT) | instid1(VALU_DEP_2)
	v_mov_b32_dpp v7, v5 row_shr:2 row_mask:0xf bank_mask:0xf
	v_add_nc_u32_e32 v8, v6, v8
	s_delay_alu instid0(VALU_DEP_2) | instskip(NEXT) | instid1(VALU_DEP_1)
	v_add_nc_u32_e32 v7, v5, v7
	v_cndmask_b32_e64 v5, v5, v7, s0
	s_mov_b32 s0, exec_lo
	s_delay_alu instid0(VALU_DEP_1) | instskip(NEXT) | instid1(VALU_DEP_1)
	v_mov_b32_dpp v7, v5 row_shr:4 row_mask:0xf bank_mask:0xf
	v_add_nc_u32_e32 v7, v5, v7
	s_delay_alu instid0(VALU_DEP_1) | instskip(SKIP_1) | instid1(VALU_DEP_2)
	v_cndmask_b32_e32 v5, v5, v7, vcc_lo
	v_cmp_lt_u32_e32 vcc_lo, 7, v86
	v_mov_b32_dpp v7, v5 row_shr:8 row_mask:0xf bank_mask:0xf
	s_delay_alu instid0(VALU_DEP_1) | instskip(NEXT) | instid1(VALU_DEP_1)
	v_dual_cndmask_b32 v6, v6, v8 :: v_dual_add_nc_u32 v7, v5, v7
	v_cndmask_b32_e32 v5, v5, v7, vcc_lo
	ds_swizzle_b32 v7, v6 offset:swizzle(BROADCAST,32,15)
	v_cmp_eq_u32_e32 vcc_lo, 0, v85
	ds_swizzle_b32 v8, v5 offset:swizzle(BROADCAST,32,15)
	s_waitcnt lgkmcnt(1)
	v_add_nc_u32_e32 v7, v6, v7
	s_waitcnt lgkmcnt(0)
	v_add_nc_u32_e32 v8, v5, v8
	s_delay_alu instid0(VALU_DEP_1)
	v_dual_cndmask_b32 v6, v7, v6 :: v_dual_cndmask_b32 v5, v8, v5
	v_cmpx_eq_u32_e64 v84, v0
	s_cbranch_execz .LBB1275_126
; %bb.125:
	v_lshlrev_b32_e32 v7, 3, v83
	ds_store_b64 v7, v[5:6]
.LBB1275_126:
	s_or_b32 exec_lo, exec_lo, s0
	s_delay_alu instid0(SALU_CYCLE_1)
	s_mov_b32 s0, exec_lo
	s_waitcnt lgkmcnt(0)
	s_barrier
	buffer_gl0_inv
	v_cmpx_gt_u32_e32 8, v0
	s_cbranch_execz .LBB1275_128
; %bb.127:
	v_lshlrev_b32_e32 v9, 3, v0
	ds_load_b64 v[7:8], v9
	s_waitcnt lgkmcnt(0)
	v_mov_b32_dpp v22, v7 row_shr:1 row_mask:0xf bank_mask:0xf
	v_mov_b32_dpp v23, v8 row_shr:1 row_mask:0xf bank_mask:0xf
	s_delay_alu instid0(VALU_DEP_2) | instskip(SKIP_1) | instid1(VALU_DEP_3)
	v_add_nc_u32_e32 v22, v22, v7
	v_and_b32_e32 v24, 7, v82
	v_add_nc_u32_e32 v23, v23, v8
	s_delay_alu instid0(VALU_DEP_2) | instskip(NEXT) | instid1(VALU_DEP_2)
	v_cmp_eq_u32_e32 vcc_lo, 0, v24
	v_dual_cndmask_b32 v8, v23, v8 :: v_dual_cndmask_b32 v7, v22, v7
	v_cmp_lt_u32_e32 vcc_lo, 1, v24
	s_delay_alu instid0(VALU_DEP_2) | instskip(NEXT) | instid1(VALU_DEP_3)
	v_mov_b32_dpp v23, v8 row_shr:2 row_mask:0xf bank_mask:0xf
	v_mov_b32_dpp v22, v7 row_shr:2 row_mask:0xf bank_mask:0xf
	s_delay_alu instid0(VALU_DEP_2) | instskip(NEXT) | instid1(VALU_DEP_2)
	v_add_nc_u32_e32 v23, v8, v23
	v_add_nc_u32_e32 v22, v7, v22
	s_delay_alu instid0(VALU_DEP_1) | instskip(SKIP_1) | instid1(VALU_DEP_2)
	v_dual_cndmask_b32 v8, v8, v23 :: v_dual_cndmask_b32 v7, v7, v22
	v_cmp_lt_u32_e32 vcc_lo, 3, v24
	v_mov_b32_dpp v23, v8 row_shr:4 row_mask:0xf bank_mask:0xf
	s_delay_alu instid0(VALU_DEP_3) | instskip(NEXT) | instid1(VALU_DEP_1)
	v_mov_b32_dpp v22, v7 row_shr:4 row_mask:0xf bank_mask:0xf
	v_dual_cndmask_b32 v23, 0, v23 :: v_dual_cndmask_b32 v22, 0, v22
	s_delay_alu instid0(VALU_DEP_1) | instskip(NEXT) | instid1(VALU_DEP_2)
	v_add_nc_u32_e32 v8, v23, v8
	v_add_nc_u32_e32 v7, v22, v7
	ds_store_b64 v9, v[7:8]
.LBB1275_128:
	s_or_b32 exec_lo, exec_lo, s0
	v_dual_mov_b32 v7, 0 :: v_dual_mov_b32 v22, 0
	v_mov_b32_e32 v23, 0
	s_mov_b32 s0, exec_lo
	s_waitcnt lgkmcnt(0)
	s_barrier
	buffer_gl0_inv
	v_cmpx_lt_u32_e32 31, v0
	s_cbranch_execz .LBB1275_130
; %bb.129:
	v_lshl_add_u32 v8, v83, 3, -8
	ds_load_b64 v[22:23], v8
.LBB1275_130:
	s_or_b32 exec_lo, exec_lo, s0
	v_add_nc_u32_e32 v8, -1, v82
	s_waitcnt lgkmcnt(0)
	v_add_nc_u32_e32 v24, v23, v6
	v_add_nc_u32_e32 v9, v22, v5
	ds_load_b64 v[5:6], v7 offset:56
	v_cmp_gt_i32_e32 vcc_lo, 0, v8
	v_cndmask_b32_e32 v8, v8, v82, vcc_lo
	s_delay_alu instid0(VALU_DEP_1)
	v_lshlrev_b32_e32 v8, 2, v8
	ds_bpermute_b32 v9, v8, v9
	ds_bpermute_b32 v24, v8, v24
	s_waitcnt lgkmcnt(2)
	v_readfirstlane_b32 s0, v6
	s_and_saveexec_b32 s1, s2
	s_cbranch_execz .LBB1275_132
; %bb.131:
	s_mov_b32 s8, 0
	s_add_u32 s6, s36, 0x200
	s_addc_u32 s7, s37, 0
	s_and_b32 s9, s0, 0xff000000
	s_and_b32 s11, s0, 0xff0000
	s_mov_b32 s10, s8
	v_mov_b32_e32 v26, s7
	s_or_b64 s[10:11], s[10:11], s[8:9]
	s_and_b32 s9, s0, 0xff00
	v_dual_mov_b32 v8, 0 :: v_dual_mov_b32 v25, s6
	s_or_b64 s[10:11], s[10:11], s[8:9]
	s_and_b32 s9, s0, 0xff
	v_mov_b32_e32 v7, 2
	s_or_b64 s[8:9], s[10:11], s[8:9]
	s_delay_alu instid0(SALU_CYCLE_1)
	v_mov_b32_e32 v6, s9
	;;#ASMSTART
	global_store_dwordx4 v[25:26], v[5:8] off	
s_waitcnt vmcnt(0)
	;;#ASMEND
.LBB1275_132:
	s_or_b32 exec_lo, exec_lo, s1
	v_cmp_eq_u32_e32 vcc_lo, 0, v82
	v_dual_mov_b32 v7, 0 :: v_dual_mov_b32 v6, s0
	s_waitcnt lgkmcnt(0)
	s_barrier
	v_dual_cndmask_b32 v8, v9, v22 :: v_dual_cndmask_b32 v9, v24, v23
	buffer_gl0_inv
	v_cndmask_b32_e64 v22, v8, 0, s2
	v_cndmask_b32_e64 v9, v9, 0, s2
	v_mov_b32_e32 v8, 0
.LBB1275_133:
	s_delay_alu instid0(VALU_DEP_1) | instskip(SKIP_1) | instid1(VALU_DEP_2)
	v_add_nc_u32_e32 v24, v9, v81
	s_waitcnt lgkmcnt(0)
	v_sub_nc_u32_e32 v9, v9, v8
	v_add_co_u32 v1, vcc_lo, v1, v7
	v_and_b32_e32 v35, 1, v35
	v_add_nc_u32_e32 v26, v24, v77
	v_sub_nc_u32_e32 v24, v24, v8
	v_lshlrev_b32_e32 v77, 1, v5
	v_add_nc_u32_e32 v9, v9, v5
	v_add_co_ci_u32_e32 v2, vcc_lo, 0, v2, vcc_lo
	v_add_nc_u32_e32 v28, v26, v79
	s_delay_alu instid0(VALU_DEP_4)
	v_add3_u32 v33, v77, v6, v33
	v_and_b32_e32 v40, 1, v40
	v_and_b32_e32 v37, 1, v37
	;; [unrolled: 1-line block ×3, first 2 shown]
	v_add_nc_u32_e32 v29, v28, v75
	v_sub_nc_u32_e32 v28, v28, v8
	v_sub_co_u32 v75, vcc_lo, v3, v5
	s_add_u32 s1, s14, -4
	s_delay_alu instid0(VALU_DEP_3) | instskip(SKIP_4) | instid1(VALU_DEP_3)
	v_add_nc_u32_e32 v73, v29, v73
	v_sub_nc_u32_e32 v29, v29, v8
	v_add_nc_u32_e32 v28, v28, v5
	v_add_nc_u32_e32 v24, v24, v5
	s_mov_b32 s3, -1
	v_add_nc_u32_e32 v29, v29, v5
	v_add_nc_u32_e32 v23, v22, v80
	v_sub_nc_u32_e32 v22, v22, v7
	s_delay_alu instid0(VALU_DEP_2) | instskip(SKIP_3) | instid1(VALU_DEP_3)
	v_add_nc_u32_e32 v25, v23, v76
	v_sub_nc_u32_e32 v23, v23, v7
	v_subrev_co_ci_u32_e32 v76, vcc_lo, 0, v4, vcc_lo
	v_cmp_eq_u32_e32 vcc_lo, 1, v35
	v_add_nc_u32_e32 v79, v24, v23
	s_delay_alu instid0(VALU_DEP_1) | instskip(NEXT) | instid1(VALU_DEP_1)
	v_sub_nc_u32_e32 v79, v33, v79
	v_add_nc_u32_e32 v79, 1, v79
	v_add_nc_u32_e32 v27, v25, v78
	;; [unrolled: 1-line block ×3, first 2 shown]
	s_delay_alu instid0(VALU_DEP_1) | instskip(NEXT) | instid1(VALU_DEP_1)
	v_sub_nc_u32_e32 v78, v33, v78
	v_dual_cndmask_b32 v9, v78, v9 :: v_dual_and_b32 v34, 1, v34
	v_cmp_eq_u32_e32 vcc_lo, 1, v40
	v_cndmask_b32_e32 v24, v79, v24, vcc_lo
	s_delay_alu instid0(VALU_DEP_3) | instskip(NEXT) | instid1(VALU_DEP_4)
	v_cmp_eq_u32_e32 vcc_lo, 1, v34
	v_cndmask_b32_e32 v9, v9, v22, vcc_lo
	v_sub_nc_u32_e32 v26, v26, v8
	v_cmp_eq_u32_e32 vcc_lo, 1, v37
	v_and_b32_e32 v37, 1, v38
	s_delay_alu instid0(VALU_DEP_4) | instskip(NEXT) | instid1(VALU_DEP_4)
	v_lshlrev_b32_e32 v9, 2, v9
	v_add_nc_u32_e32 v26, v26, v5
	v_cndmask_b32_e32 v24, v24, v23, vcc_lo
	v_sub_nc_u32_e32 v25, v25, v7
	v_add_co_u32 v22, vcc_lo, v75, v8
	v_add_co_ci_u32_e32 v23, vcc_lo, 0, v76, vcc_lo
	s_delay_alu instid0(VALU_DEP_3)
	v_add_nc_u32_e32 v34, v26, v25
	v_cmp_eq_u32_e32 vcc_lo, 1, v37
	v_lshlrev_b32_e32 v24, 2, v24
	ds_store_b32 v9, v20
	v_sub_nc_u32_e32 v34, v33, v34
	ds_store_b32 v24, v21
	v_and_b32_e32 v24, 1, v39
	v_add_nc_u32_e32 v34, 2, v34
	s_delay_alu instid0(VALU_DEP_1) | instskip(SKIP_3) | instid1(VALU_DEP_4)
	v_cndmask_b32_e32 v26, v34, v26, vcc_lo
	v_cmp_eq_u32_e32 vcc_lo, 1, v36
	v_add_nc_u32_e32 v74, v27, v74
	v_sub_nc_u32_e32 v27, v27, v7
	v_cndmask_b32_e32 v25, v26, v25, vcc_lo
	s_delay_alu instid0(VALU_DEP_3) | instskip(NEXT) | instid1(VALU_DEP_3)
	v_sub_nc_u32_e32 v37, v74, v7
	v_add_nc_u32_e32 v34, v27, v28
	v_cmp_eq_u32_e32 vcc_lo, 1, v24
	v_sub_nc_u32_e32 v26, v73, v8
	v_lshlrev_b32_e32 v21, 2, v25
	v_and_b32_e32 v25, 1, v41
	v_sub_nc_u32_e32 v9, v33, v34
	v_add_nc_u32_e32 v20, v37, v29
	v_and_b32_e32 v24, 1, v42
	v_add_nc_u32_e32 v26, v26, v5
	ds_store_b32 v21, v18
	v_add_nc_u32_e32 v9, 3, v9
	v_sub_nc_u32_e32 v20, v33, v20
	s_delay_alu instid0(VALU_DEP_2) | instskip(SKIP_2) | instid1(VALU_DEP_4)
	v_cndmask_b32_e32 v9, v9, v28, vcc_lo
	v_cmp_eq_u32_e32 vcc_lo, 1, v25
	v_add_nc_u32_e32 v72, v74, v72
	v_add_nc_u32_e32 v20, 4, v20
	v_and_b32_e32 v25, 1, v43
	v_cndmask_b32_e32 v9, v9, v27, vcc_lo
	s_delay_alu instid0(VALU_DEP_4)
	v_sub_nc_u32_e32 v28, v72, v7
	v_cmp_eq_u32_e32 vcc_lo, 1, v24
	v_and_b32_e32 v24, 1, v44
	v_add_nc_u32_e32 v70, v72, v70
	v_lshlrev_b32_e32 v9, 2, v9
	v_add_nc_u32_e32 v27, v28, v26
	v_cndmask_b32_e32 v20, v20, v29, vcc_lo
	v_cmp_eq_u32_e32 vcc_lo, 1, v25
	v_and_b32_e32 v25, 1, v45
	v_add_nc_u32_e32 v64, v70, v64
	v_sub_nc_u32_e32 v18, v33, v27
	v_sub_nc_u32_e32 v27, v70, v7
	v_cndmask_b32_e32 v20, v20, v37, vcc_lo
	v_cmp_eq_u32_e32 vcc_lo, 1, v24
	ds_store_b32 v9, v19
	v_add_nc_u32_e32 v18, 5, v18
	v_and_b32_e32 v19, 1, v46
	v_lshlrev_b32_e32 v20, 2, v20
	v_add_nc_u32_e32 v68, v64, v68
	s_delay_alu instid0(VALU_DEP_4)
	v_cndmask_b32_e32 v18, v18, v26, vcc_lo
	v_cmp_eq_u32_e32 vcc_lo, 1, v25
	v_sub_nc_u32_e32 v25, v64, v7
	ds_store_b32 v20, v16
	v_and_b32_e32 v20, 1, v49
	v_add_nc_u32_e32 v66, v68, v66
	v_dual_cndmask_b32 v18, v18, v28 :: v_dual_add_nc_u32 v71, v73, v71
	v_cmp_eq_u32_e32 vcc_lo, 1, v19
	v_and_b32_e32 v19, 1, v48
	s_delay_alu instid0(VALU_DEP_4) | instskip(NEXT) | instid1(VALU_DEP_4)
	v_add_nc_u32_e32 v61, v66, v61
	v_lshlrev_b32_e32 v18, 2, v18
	v_add_nc_u32_e32 v65, v71, v65
	v_sub_nc_u32_e32 v21, v71, v8
	s_delay_alu instid0(VALU_DEP_4)
	v_add_nc_u32_e32 v60, v61, v60
	ds_store_b32 v18, v17
	v_sub_nc_u32_e32 v24, v65, v8
	v_add_nc_u32_e32 v21, v21, v5
	v_add_nc_u32_e32 v69, v65, v69
	v_and_b32_e32 v17, 1, v47
	s_delay_alu instid0(VALU_DEP_4) | instskip(NEXT) | instid1(VALU_DEP_4)
	v_add_nc_u32_e32 v24, v24, v5
	v_add_nc_u32_e32 v26, v27, v21
	s_delay_alu instid0(VALU_DEP_4) | instskip(NEXT) | instid1(VALU_DEP_3)
	v_sub_nc_u32_e32 v18, v69, v8
	v_add_nc_u32_e32 v16, v25, v24
	s_delay_alu instid0(VALU_DEP_3) | instskip(NEXT) | instid1(VALU_DEP_3)
	v_sub_nc_u32_e32 v9, v33, v26
	v_add_nc_u32_e32 v18, v18, v5
	v_sub_nc_u32_e32 v26, v60, v7
	s_delay_alu instid0(VALU_DEP_4) | instskip(NEXT) | instid1(VALU_DEP_4)
	v_sub_nc_u32_e32 v16, v33, v16
	v_add_nc_u32_e32 v9, 6, v9
	s_delay_alu instid0(VALU_DEP_1) | instskip(SKIP_2) | instid1(VALU_DEP_3)
	v_dual_cndmask_b32 v9, v9, v21 :: v_dual_add_nc_u32 v16, 7, v16
	v_cmp_eq_u32_e32 vcc_lo, 1, v19
	v_sub_nc_u32_e32 v21, v68, v7
	v_cndmask_b32_e32 v16, v16, v24, vcc_lo
	v_cmp_eq_u32_e32 vcc_lo, 1, v17
	s_delay_alu instid0(VALU_DEP_3) | instskip(SKIP_3) | instid1(VALU_DEP_4)
	v_add_nc_u32_e32 v17, v21, v18
	v_cndmask_b32_e32 v9, v9, v27, vcc_lo
	v_cmp_eq_u32_e32 vcc_lo, 1, v20
	v_add_nc_u32_e32 v67, v69, v67
	v_sub_nc_u32_e32 v17, v33, v17
	v_sub_nc_u32_e32 v20, v66, v7
	v_lshlrev_b32_e32 v9, 2, v9
	v_cndmask_b32_e32 v16, v16, v25, vcc_lo
	v_sub_nc_u32_e32 v19, v67, v8
	v_add_nc_u32_e32 v62, v67, v62
	v_sub_nc_u32_e32 v25, v61, v7
	ds_store_b32 v9, v14
	v_and_b32_e32 v9, 1, v50
	v_add_nc_u32_e32 v19, v19, v5
	v_add_nc_u32_e32 v14, 8, v17
	v_lshlrev_b32_e32 v16, 2, v16
	v_add_nc_u32_e32 v63, v62, v63
	v_cmp_eq_u32_e32 vcc_lo, 1, v9
	v_add_nc_u32_e32 v17, v20, v19
	ds_store_b32 v16, v15
	v_and_b32_e32 v15, 1, v51
	v_cndmask_b32_e32 v9, v14, v18, vcc_lo
	v_sub_nc_u32_e32 v14, v33, v17
	v_and_b32_e32 v18, 1, v52
	v_sub_nc_u32_e32 v17, v62, v8
	v_and_b32_e32 v16, 1, v54
	v_sub_nc_u32_e32 v24, v63, v8
	v_add_nc_u32_e32 v14, 9, v14
	v_cmp_eq_u32_e32 vcc_lo, 1, v18
	v_add_nc_u32_e32 v17, v17, v5
	v_add_nc_u32_e32 v35, v63, v59
	;; [unrolled: 1-line block ×3, first 2 shown]
	v_cndmask_b32_e32 v14, v14, v19, vcc_lo
	v_cmp_eq_u32_e32 vcc_lo, 1, v15
	v_add_nc_u32_e32 v15, v25, v17
	s_delay_alu instid0(VALU_DEP_4)
	v_add_nc_u32_e32 v18, v26, v24
	v_and_b32_e32 v19, 1, v55
	v_cndmask_b32_e32 v9, v9, v21, vcc_lo
	v_cmp_eq_u32_e32 vcc_lo, 1, v16
	v_sub_nc_u32_e32 v15, v33, v15
	v_sub_nc_u32_e32 v18, v33, v18
	v_and_b32_e32 v21, 1, v57
	v_sub_nc_u32_e32 v16, v35, v8
	v_cndmask_b32_e32 v14, v14, v20, vcc_lo
	v_and_b32_e32 v20, 1, v53
	v_add_nc_u32_e32 v15, 10, v15
	v_add_nc_u32_e32 v18, 11, v18
	;; [unrolled: 1-line block ×3, first 2 shown]
	v_lshlrev_b32_e32 v9, 2, v9
	v_cmp_eq_u32_e32 vcc_lo, 1, v20
	v_dual_cndmask_b32 v15, v15, v17 :: v_dual_lshlrev_b32 v14, 2, v14
	v_cmp_eq_u32_e32 vcc_lo, 1, v21
	v_and_b32_e32 v17, 1, v56
	v_cndmask_b32_e32 v18, v18, v24, vcc_lo
	v_cmp_eq_u32_e32 vcc_lo, 1, v19
	v_cndmask_b32_e32 v15, v15, v25, vcc_lo
	s_delay_alu instid0(VALU_DEP_4) | instskip(NEXT) | instid1(VALU_DEP_2)
	v_cmp_eq_u32_e32 vcc_lo, 1, v17
	v_lshlrev_b32_e32 v15, 2, v15
	v_cndmask_b32_e32 v17, v18, v26, vcc_lo
	v_add_nc_u32_e32 v40, v60, v58
	s_delay_alu instid0(VALU_DEP_2) | instskip(NEXT) | instid1(VALU_DEP_2)
	v_lshlrev_b32_e32 v17, 2, v17
	v_sub_nc_u32_e32 v7, v40, v7
	ds_store_b32 v9, v12
	ds_store_b32 v14, v13
	;; [unrolled: 1-line block ×4, first 2 shown]
	v_add_co_u32 v9, s0, v6, v77
	s_delay_alu instid0(VALU_DEP_1) | instskip(SKIP_1) | instid1(VALU_DEP_3)
	v_add_co_ci_u32_e64 v10, null, 0, 0, s0
	v_add_nc_u32_e32 v27, v7, v16
	v_add_co_u32 v9, vcc_lo, v9, v22
	s_delay_alu instid0(VALU_DEP_3) | instskip(NEXT) | instid1(VALU_DEP_3)
	v_add_co_ci_u32_e32 v10, vcc_lo, v10, v23, vcc_lo
	v_sub_nc_u32_e32 v20, v33, v27
	v_add_co_u32 v11, s0, s34, v30
	s_delay_alu instid0(VALU_DEP_4) | instskip(NEXT) | instid1(VALU_DEP_3)
	v_add_co_u32 v9, vcc_lo, v9, v1
	v_add_nc_u32_e32 v18, 12, v20
	v_add_co_ci_u32_e64 v12, null, s35, 0, s0
	v_add_co_ci_u32_e32 v10, vcc_lo, v10, v2, vcc_lo
	s_delay_alu instid0(VALU_DEP_3) | instskip(SKIP_1) | instid1(VALU_DEP_2)
	v_cndmask_b32_e64 v16, v18, v16, s33
	v_add_nc_u32_e32 v14, v5, v6
	v_cndmask_b32_e64 v7, v16, v7, s27
	s_delay_alu instid0(VALU_DEP_1)
	v_lshlrev_b32_e32 v7, 2, v7
	ds_store_b32 v7, v32
	v_sub_co_u32 v7, vcc_lo, v11, v9
	v_sub_co_ci_u32_e32 v13, vcc_lo, v12, v10, vcc_lo
	v_lshlrev_b64 v[9:10], 2, v[22:23]
	v_lshlrev_b64 v[11:12], 2, v[1:2]
	s_waitcnt lgkmcnt(0)
	s_barrier
	buffer_gl0_inv
	v_add_co_u32 v9, vcc_lo, s30, v9
	v_add_co_ci_u32_e32 v10, vcc_lo, s31, v10, vcc_lo
	v_cmp_ne_u32_e32 vcc_lo, 1, v31
	v_add_co_u32 v11, s0, s28, v11
	s_delay_alu instid0(VALU_DEP_1)
	v_add_co_ci_u32_e64 v12, s0, s29, v12, s0
	s_addc_u32 s0, s15, -1
	s_cbranch_vccz .LBB1275_137
; %bb.134:
	s_and_b32 vcc_lo, exec_lo, s3
	s_cbranch_vccnz .LBB1275_242
.LBB1275_135:
	s_and_b32 s0, s2, s13
	s_delay_alu instid0(SALU_CYCLE_1)
	s_and_saveexec_b32 s1, s0
	s_cbranch_execnz .LBB1275_360
.LBB1275_136:
	s_nop 0
	s_sendmsg sendmsg(MSG_DEALLOC_VGPRS)
	s_endpgm
.LBB1275_137:
	s_mov_b32 s3, exec_lo
	v_cmpx_le_u32_e64 v5, v0
	s_xor_b32 s3, exec_lo, s3
	s_cbranch_execz .LBB1275_143
; %bb.138:
	s_mov_b32 s5, exec_lo
	v_cmpx_le_u32_e64 v14, v0
	s_xor_b32 s5, exec_lo, s5
	s_cbranch_execz .LBB1275_140
; %bb.139:
	v_lshlrev_b32_e32 v15, 2, v0
	ds_load_b32 v17, v15
	v_add_co_u32 v15, vcc_lo, v7, v0
	v_add_co_ci_u32_e32 v16, vcc_lo, 0, v13, vcc_lo
	s_delay_alu instid0(VALU_DEP_1) | instskip(NEXT) | instid1(VALU_DEP_1)
	v_lshlrev_b64 v[15:16], 2, v[15:16]
	v_sub_co_u32 v15, vcc_lo, s14, v15
	s_delay_alu instid0(VALU_DEP_2)
	v_sub_co_ci_u32_e32 v16, vcc_lo, s15, v16, vcc_lo
	s_waitcnt lgkmcnt(0)
	global_store_b32 v[15:16], v17, off offset:-4
.LBB1275_140:
	s_and_not1_saveexec_b32 s5, s5
	s_cbranch_execz .LBB1275_142
; %bb.141:
	v_lshlrev_b32_e32 v15, 2, v0
	v_readfirstlane_b32 s6, v9
	v_readfirstlane_b32 s7, v10
	ds_load_b32 v16, v15
	s_waitcnt lgkmcnt(0)
	global_store_b32 v15, v16, s[6:7]
.LBB1275_142:
	s_or_b32 exec_lo, exec_lo, s5
.LBB1275_143:
	s_and_not1_saveexec_b32 s3, s3
	s_cbranch_execz .LBB1275_145
; %bb.144:
	v_lshlrev_b32_e32 v15, 2, v0
	v_readfirstlane_b32 s6, v11
	v_readfirstlane_b32 s7, v12
	ds_load_b32 v16, v15
	s_waitcnt lgkmcnt(0)
	global_store_b32 v15, v16, s[6:7]
.LBB1275_145:
	s_or_b32 exec_lo, exec_lo, s3
	v_or_b32_e32 v15, 0x100, v0
	s_mov_b32 s3, exec_lo
	s_delay_alu instid0(VALU_DEP_1)
	v_cmpx_le_u32_e64 v5, v15
	s_xor_b32 s3, exec_lo, s3
	s_cbranch_execz .LBB1275_151
; %bb.146:
	s_mov_b32 s5, exec_lo
	v_cmpx_le_u32_e64 v14, v15
	s_xor_b32 s5, exec_lo, s5
	s_cbranch_execz .LBB1275_148
; %bb.147:
	v_lshlrev_b32_e32 v15, 2, v0
	ds_load_b32 v17, v15 offset:1024
	v_add_co_u32 v15, vcc_lo, v7, v0
	v_add_co_ci_u32_e32 v16, vcc_lo, 0, v13, vcc_lo
	s_delay_alu instid0(VALU_DEP_1) | instskip(NEXT) | instid1(VALU_DEP_1)
	v_lshlrev_b64 v[15:16], 2, v[15:16]
	v_sub_co_u32 v15, vcc_lo, s1, v15
	s_delay_alu instid0(VALU_DEP_2)
	v_sub_co_ci_u32_e32 v16, vcc_lo, s0, v16, vcc_lo
	s_waitcnt lgkmcnt(0)
	global_store_b32 v[15:16], v17, off offset:-1024
.LBB1275_148:
	s_and_not1_saveexec_b32 s5, s5
	s_cbranch_execz .LBB1275_150
; %bb.149:
	v_lshlrev_b32_e32 v15, 2, v0
	v_readfirstlane_b32 s6, v9
	v_readfirstlane_b32 s7, v10
	ds_load_b32 v16, v15 offset:1024
	s_waitcnt lgkmcnt(0)
	global_store_b32 v15, v16, s[6:7] offset:1024
.LBB1275_150:
	s_or_b32 exec_lo, exec_lo, s5
.LBB1275_151:
	s_and_not1_saveexec_b32 s3, s3
	s_cbranch_execz .LBB1275_153
; %bb.152:
	v_lshlrev_b32_e32 v15, 2, v0
	v_readfirstlane_b32 s6, v11
	v_readfirstlane_b32 s7, v12
	ds_load_b32 v16, v15 offset:1024
	s_waitcnt lgkmcnt(0)
	global_store_b32 v15, v16, s[6:7] offset:1024
.LBB1275_153:
	s_or_b32 exec_lo, exec_lo, s3
	v_or_b32_e32 v15, 0x200, v0
	s_mov_b32 s3, exec_lo
	s_delay_alu instid0(VALU_DEP_1)
	v_cmpx_le_u32_e64 v5, v15
	s_xor_b32 s3, exec_lo, s3
	s_cbranch_execz .LBB1275_159
; %bb.154:
	s_mov_b32 s5, exec_lo
	v_cmpx_le_u32_e64 v14, v15
	s_xor_b32 s5, exec_lo, s5
	s_cbranch_execz .LBB1275_156
; %bb.155:
	v_lshlrev_b32_e32 v15, 2, v0
	ds_load_b32 v17, v15 offset:2048
	v_add_co_u32 v15, vcc_lo, v7, v0
	v_add_co_ci_u32_e32 v16, vcc_lo, 0, v13, vcc_lo
	s_delay_alu instid0(VALU_DEP_1) | instskip(NEXT) | instid1(VALU_DEP_1)
	v_lshlrev_b64 v[15:16], 2, v[15:16]
	v_sub_co_u32 v15, vcc_lo, s1, v15
	s_delay_alu instid0(VALU_DEP_2)
	v_sub_co_ci_u32_e32 v16, vcc_lo, s0, v16, vcc_lo
	s_waitcnt lgkmcnt(0)
	global_store_b32 v[15:16], v17, off offset:-2048
.LBB1275_156:
	s_and_not1_saveexec_b32 s5, s5
	s_cbranch_execz .LBB1275_158
; %bb.157:
	v_lshlrev_b32_e32 v15, 2, v0
	v_readfirstlane_b32 s6, v9
	v_readfirstlane_b32 s7, v10
	ds_load_b32 v16, v15 offset:2048
	s_waitcnt lgkmcnt(0)
	global_store_b32 v15, v16, s[6:7] offset:2048
.LBB1275_158:
	s_or_b32 exec_lo, exec_lo, s5
.LBB1275_159:
	s_and_not1_saveexec_b32 s3, s3
	s_cbranch_execz .LBB1275_161
; %bb.160:
	v_lshlrev_b32_e32 v15, 2, v0
	v_readfirstlane_b32 s6, v11
	v_readfirstlane_b32 s7, v12
	ds_load_b32 v16, v15 offset:2048
	s_waitcnt lgkmcnt(0)
	global_store_b32 v15, v16, s[6:7] offset:2048
.LBB1275_161:
	;; [unrolled: 47-line block ×3, first 2 shown]
	s_or_b32 exec_lo, exec_lo, s3
	v_or_b32_e32 v15, 0x400, v0
	s_mov_b32 s3, exec_lo
	s_delay_alu instid0(VALU_DEP_1)
	v_cmpx_le_u32_e64 v5, v15
	s_xor_b32 s3, exec_lo, s3
	s_cbranch_execz .LBB1275_175
; %bb.170:
	s_mov_b32 s5, exec_lo
	v_cmpx_le_u32_e64 v14, v15
	s_xor_b32 s5, exec_lo, s5
	s_cbranch_execz .LBB1275_172
; %bb.171:
	v_lshlrev_b32_e32 v15, 2, v0
	ds_load_b32 v17, v15 offset:4096
	v_add_co_u32 v15, vcc_lo, v7, v0
	v_add_co_ci_u32_e32 v16, vcc_lo, 0, v13, vcc_lo
	s_delay_alu instid0(VALU_DEP_1) | instskip(NEXT) | instid1(VALU_DEP_1)
	v_lshlrev_b64 v[15:16], 2, v[15:16]
	v_sub_co_u32 v15, vcc_lo, s1, v15
	s_delay_alu instid0(VALU_DEP_2)
	v_sub_co_ci_u32_e32 v16, vcc_lo, s0, v16, vcc_lo
	s_waitcnt lgkmcnt(0)
	global_store_b32 v[15:16], v17, off offset:-4096
                                        ; implicit-def: $vgpr15
.LBB1275_172:
	s_and_not1_saveexec_b32 s5, s5
	s_cbranch_execz .LBB1275_174
; %bb.173:
	v_lshlrev_b32_e32 v16, 2, v0
	v_lshlrev_b32_e32 v15, 2, v15
	v_readfirstlane_b32 s6, v9
	v_readfirstlane_b32 s7, v10
	ds_load_b32 v16, v16 offset:4096
	s_waitcnt lgkmcnt(0)
	global_store_b32 v15, v16, s[6:7]
.LBB1275_174:
	s_or_b32 exec_lo, exec_lo, s5
                                        ; implicit-def: $vgpr15
.LBB1275_175:
	s_and_not1_saveexec_b32 s3, s3
	s_cbranch_execz .LBB1275_177
; %bb.176:
	v_lshlrev_b32_e32 v16, 2, v0
	v_lshlrev_b32_e32 v15, 2, v15
	v_readfirstlane_b32 s6, v11
	v_readfirstlane_b32 s7, v12
	ds_load_b32 v16, v16 offset:4096
	s_waitcnt lgkmcnt(0)
	global_store_b32 v15, v16, s[6:7]
.LBB1275_177:
	s_or_b32 exec_lo, exec_lo, s3
	v_or_b32_e32 v15, 0x500, v0
	s_mov_b32 s3, exec_lo
	s_delay_alu instid0(VALU_DEP_1)
	v_cmpx_le_u32_e64 v5, v15
	s_xor_b32 s3, exec_lo, s3
	s_cbranch_execz .LBB1275_183
; %bb.178:
	s_mov_b32 s5, exec_lo
	v_cmpx_le_u32_e64 v14, v15
	s_xor_b32 s5, exec_lo, s5
	s_cbranch_execz .LBB1275_180
; %bb.179:
	v_lshlrev_b32_e32 v16, 2, v0
	v_add_co_u32 v15, vcc_lo, v7, v15
	ds_load_b32 v17, v16 offset:5120
	v_add_co_ci_u32_e32 v16, vcc_lo, 0, v13, vcc_lo
	s_delay_alu instid0(VALU_DEP_1) | instskip(NEXT) | instid1(VALU_DEP_1)
	v_lshlrev_b64 v[15:16], 2, v[15:16]
	v_sub_co_u32 v15, vcc_lo, s1, v15
	s_delay_alu instid0(VALU_DEP_2)
	v_sub_co_ci_u32_e32 v16, vcc_lo, s0, v16, vcc_lo
	s_waitcnt lgkmcnt(0)
	global_store_b32 v[15:16], v17, off
                                        ; implicit-def: $vgpr15
.LBB1275_180:
	s_and_not1_saveexec_b32 s5, s5
	s_cbranch_execz .LBB1275_182
; %bb.181:
	v_lshlrev_b32_e32 v16, 2, v0
	v_lshlrev_b32_e32 v15, 2, v15
	v_readfirstlane_b32 s6, v9
	v_readfirstlane_b32 s7, v10
	ds_load_b32 v16, v16 offset:5120
	s_waitcnt lgkmcnt(0)
	global_store_b32 v15, v16, s[6:7]
.LBB1275_182:
	s_or_b32 exec_lo, exec_lo, s5
                                        ; implicit-def: $vgpr15
.LBB1275_183:
	s_and_not1_saveexec_b32 s3, s3
	s_cbranch_execz .LBB1275_185
; %bb.184:
	v_lshlrev_b32_e32 v16, 2, v0
	v_lshlrev_b32_e32 v15, 2, v15
	v_readfirstlane_b32 s6, v11
	v_readfirstlane_b32 s7, v12
	ds_load_b32 v16, v16 offset:5120
	s_waitcnt lgkmcnt(0)
	global_store_b32 v15, v16, s[6:7]
.LBB1275_185:
	s_or_b32 exec_lo, exec_lo, s3
	v_or_b32_e32 v15, 0x600, v0
	s_mov_b32 s3, exec_lo
	s_delay_alu instid0(VALU_DEP_1)
	v_cmpx_le_u32_e64 v5, v15
	s_xor_b32 s3, exec_lo, s3
	s_cbranch_execz .LBB1275_191
; %bb.186:
	s_mov_b32 s5, exec_lo
	v_cmpx_le_u32_e64 v14, v15
	s_xor_b32 s5, exec_lo, s5
	s_cbranch_execz .LBB1275_188
; %bb.187:
	v_lshlrev_b32_e32 v16, 2, v0
	v_add_co_u32 v15, vcc_lo, v7, v15
	ds_load_b32 v17, v16 offset:6144
	v_add_co_ci_u32_e32 v16, vcc_lo, 0, v13, vcc_lo
	s_delay_alu instid0(VALU_DEP_1) | instskip(NEXT) | instid1(VALU_DEP_1)
	v_lshlrev_b64 v[15:16], 2, v[15:16]
	v_sub_co_u32 v15, vcc_lo, s1, v15
	s_delay_alu instid0(VALU_DEP_2)
	v_sub_co_ci_u32_e32 v16, vcc_lo, s0, v16, vcc_lo
	s_waitcnt lgkmcnt(0)
	global_store_b32 v[15:16], v17, off
                                        ; implicit-def: $vgpr15
.LBB1275_188:
	s_and_not1_saveexec_b32 s5, s5
	s_cbranch_execz .LBB1275_190
; %bb.189:
	v_lshlrev_b32_e32 v16, 2, v0
	v_lshlrev_b32_e32 v15, 2, v15
	v_readfirstlane_b32 s6, v9
	v_readfirstlane_b32 s7, v10
	ds_load_b32 v16, v16 offset:6144
	s_waitcnt lgkmcnt(0)
	global_store_b32 v15, v16, s[6:7]
.LBB1275_190:
	s_or_b32 exec_lo, exec_lo, s5
                                        ; implicit-def: $vgpr15
.LBB1275_191:
	;; [unrolled: 51-line block ×8, first 2 shown]
	s_and_not1_saveexec_b32 s3, s3
	s_cbranch_execz .LBB1275_241
; %bb.240:
	v_lshlrev_b32_e32 v16, 2, v0
	v_lshlrev_b32_e32 v15, 2, v15
	v_readfirstlane_b32 s6, v11
	v_readfirstlane_b32 s7, v12
	ds_load_b32 v16, v16 offset:12288
	s_waitcnt lgkmcnt(0)
	global_store_b32 v15, v16, s[6:7]
.LBB1275_241:
	s_or_b32 exec_lo, exec_lo, s3
	s_branch .LBB1275_135
.LBB1275_242:
	s_mov_b32 s3, exec_lo
	v_cmpx_gt_u32_e64 s4, v0
	s_cbranch_execz .LBB1275_251
; %bb.243:
	s_mov_b32 s5, exec_lo
	v_cmpx_le_u32_e64 v5, v0
	s_xor_b32 s5, exec_lo, s5
	s_cbranch_execz .LBB1275_249
; %bb.244:
	s_mov_b32 s6, exec_lo
	v_cmpx_le_u32_e64 v14, v0
	s_xor_b32 s6, exec_lo, s6
	s_cbranch_execz .LBB1275_246
; %bb.245:
	v_lshlrev_b32_e32 v15, 2, v0
	ds_load_b32 v17, v15
	v_add_co_u32 v15, vcc_lo, v7, v0
	v_add_co_ci_u32_e32 v16, vcc_lo, 0, v13, vcc_lo
	s_delay_alu instid0(VALU_DEP_1) | instskip(NEXT) | instid1(VALU_DEP_1)
	v_lshlrev_b64 v[15:16], 2, v[15:16]
	v_sub_co_u32 v15, vcc_lo, s14, v15
	s_delay_alu instid0(VALU_DEP_2)
	v_sub_co_ci_u32_e32 v16, vcc_lo, s15, v16, vcc_lo
	s_waitcnt lgkmcnt(0)
	global_store_b32 v[15:16], v17, off offset:-4
.LBB1275_246:
	s_and_not1_saveexec_b32 s6, s6
	s_cbranch_execz .LBB1275_248
; %bb.247:
	v_lshlrev_b32_e32 v15, 2, v0
	v_readfirstlane_b32 s8, v9
	v_readfirstlane_b32 s9, v10
	ds_load_b32 v16, v15
	s_waitcnt lgkmcnt(0)
	global_store_b32 v15, v16, s[8:9]
.LBB1275_248:
	s_or_b32 exec_lo, exec_lo, s6
.LBB1275_249:
	s_and_not1_saveexec_b32 s5, s5
	s_cbranch_execz .LBB1275_251
; %bb.250:
	v_lshlrev_b32_e32 v15, 2, v0
	v_readfirstlane_b32 s6, v11
	v_readfirstlane_b32 s7, v12
	ds_load_b32 v16, v15
	s_waitcnt lgkmcnt(0)
	global_store_b32 v15, v16, s[6:7]
.LBB1275_251:
	s_or_b32 exec_lo, exec_lo, s3
	v_or_b32_e32 v15, 0x100, v0
	s_mov_b32 s3, exec_lo
	s_delay_alu instid0(VALU_DEP_1)
	v_cmpx_gt_u32_e64 s4, v15
	s_cbranch_execz .LBB1275_260
; %bb.252:
	s_mov_b32 s5, exec_lo
	v_cmpx_le_u32_e64 v5, v15
	s_xor_b32 s5, exec_lo, s5
	s_cbranch_execz .LBB1275_258
; %bb.253:
	s_mov_b32 s6, exec_lo
	v_cmpx_le_u32_e64 v14, v15
	s_xor_b32 s6, exec_lo, s6
	s_cbranch_execz .LBB1275_255
; %bb.254:
	v_lshlrev_b32_e32 v15, 2, v0
	ds_load_b32 v17, v15 offset:1024
	v_add_co_u32 v15, vcc_lo, v7, v0
	v_add_co_ci_u32_e32 v16, vcc_lo, 0, v13, vcc_lo
	s_delay_alu instid0(VALU_DEP_1) | instskip(NEXT) | instid1(VALU_DEP_1)
	v_lshlrev_b64 v[15:16], 2, v[15:16]
	v_sub_co_u32 v15, vcc_lo, s1, v15
	s_delay_alu instid0(VALU_DEP_2)
	v_sub_co_ci_u32_e32 v16, vcc_lo, s0, v16, vcc_lo
	s_waitcnt lgkmcnt(0)
	global_store_b32 v[15:16], v17, off offset:-1024
.LBB1275_255:
	s_and_not1_saveexec_b32 s6, s6
	s_cbranch_execz .LBB1275_257
; %bb.256:
	v_lshlrev_b32_e32 v15, 2, v0
	v_readfirstlane_b32 s8, v9
	v_readfirstlane_b32 s9, v10
	ds_load_b32 v16, v15 offset:1024
	s_waitcnt lgkmcnt(0)
	global_store_b32 v15, v16, s[8:9] offset:1024
.LBB1275_257:
	s_or_b32 exec_lo, exec_lo, s6
.LBB1275_258:
	s_and_not1_saveexec_b32 s5, s5
	s_cbranch_execz .LBB1275_260
; %bb.259:
	v_lshlrev_b32_e32 v15, 2, v0
	v_readfirstlane_b32 s6, v11
	v_readfirstlane_b32 s7, v12
	ds_load_b32 v16, v15 offset:1024
	s_waitcnt lgkmcnt(0)
	global_store_b32 v15, v16, s[6:7] offset:1024
.LBB1275_260:
	s_or_b32 exec_lo, exec_lo, s3
	v_or_b32_e32 v15, 0x200, v0
	s_mov_b32 s3, exec_lo
	s_delay_alu instid0(VALU_DEP_1)
	v_cmpx_gt_u32_e64 s4, v15
	s_cbranch_execz .LBB1275_269
; %bb.261:
	s_mov_b32 s5, exec_lo
	v_cmpx_le_u32_e64 v5, v15
	s_xor_b32 s5, exec_lo, s5
	s_cbranch_execz .LBB1275_267
; %bb.262:
	s_mov_b32 s6, exec_lo
	v_cmpx_le_u32_e64 v14, v15
	s_xor_b32 s6, exec_lo, s6
	s_cbranch_execz .LBB1275_264
; %bb.263:
	v_lshlrev_b32_e32 v15, 2, v0
	ds_load_b32 v17, v15 offset:2048
	v_add_co_u32 v15, vcc_lo, v7, v0
	v_add_co_ci_u32_e32 v16, vcc_lo, 0, v13, vcc_lo
	s_delay_alu instid0(VALU_DEP_1) | instskip(NEXT) | instid1(VALU_DEP_1)
	v_lshlrev_b64 v[15:16], 2, v[15:16]
	v_sub_co_u32 v15, vcc_lo, s1, v15
	s_delay_alu instid0(VALU_DEP_2)
	v_sub_co_ci_u32_e32 v16, vcc_lo, s0, v16, vcc_lo
	s_waitcnt lgkmcnt(0)
	global_store_b32 v[15:16], v17, off offset:-2048
.LBB1275_264:
	s_and_not1_saveexec_b32 s6, s6
	s_cbranch_execz .LBB1275_266
; %bb.265:
	v_lshlrev_b32_e32 v15, 2, v0
	v_readfirstlane_b32 s8, v9
	v_readfirstlane_b32 s9, v10
	ds_load_b32 v16, v15 offset:2048
	s_waitcnt lgkmcnt(0)
	global_store_b32 v15, v16, s[8:9] offset:2048
.LBB1275_266:
	s_or_b32 exec_lo, exec_lo, s6
.LBB1275_267:
	s_and_not1_saveexec_b32 s5, s5
	s_cbranch_execz .LBB1275_269
; %bb.268:
	v_lshlrev_b32_e32 v15, 2, v0
	v_readfirstlane_b32 s6, v11
	v_readfirstlane_b32 s7, v12
	ds_load_b32 v16, v15 offset:2048
	s_waitcnt lgkmcnt(0)
	global_store_b32 v15, v16, s[6:7] offset:2048
.LBB1275_269:
	;; [unrolled: 51-line block ×3, first 2 shown]
	s_or_b32 exec_lo, exec_lo, s3
	v_or_b32_e32 v15, 0x400, v0
	s_mov_b32 s3, exec_lo
	s_delay_alu instid0(VALU_DEP_1)
	v_cmpx_gt_u32_e64 s4, v15
	s_cbranch_execz .LBB1275_287
; %bb.279:
	s_mov_b32 s5, exec_lo
	v_cmpx_le_u32_e64 v5, v15
	s_xor_b32 s5, exec_lo, s5
	s_cbranch_execz .LBB1275_285
; %bb.280:
	s_mov_b32 s6, exec_lo
	v_cmpx_le_u32_e64 v14, v15
	s_xor_b32 s6, exec_lo, s6
	s_cbranch_execz .LBB1275_282
; %bb.281:
	v_lshlrev_b32_e32 v15, 2, v0
	ds_load_b32 v17, v15 offset:4096
	v_add_co_u32 v15, vcc_lo, v7, v0
	v_add_co_ci_u32_e32 v16, vcc_lo, 0, v13, vcc_lo
	s_delay_alu instid0(VALU_DEP_1) | instskip(NEXT) | instid1(VALU_DEP_1)
	v_lshlrev_b64 v[15:16], 2, v[15:16]
	v_sub_co_u32 v15, vcc_lo, s1, v15
	s_delay_alu instid0(VALU_DEP_2)
	v_sub_co_ci_u32_e32 v16, vcc_lo, s0, v16, vcc_lo
	s_waitcnt lgkmcnt(0)
	global_store_b32 v[15:16], v17, off offset:-4096
                                        ; implicit-def: $vgpr15
.LBB1275_282:
	s_and_not1_saveexec_b32 s6, s6
	s_cbranch_execz .LBB1275_284
; %bb.283:
	v_lshlrev_b32_e32 v16, 2, v0
	v_lshlrev_b32_e32 v15, 2, v15
	v_readfirstlane_b32 s8, v9
	v_readfirstlane_b32 s9, v10
	ds_load_b32 v16, v16 offset:4096
	s_waitcnt lgkmcnt(0)
	global_store_b32 v15, v16, s[8:9]
.LBB1275_284:
	s_or_b32 exec_lo, exec_lo, s6
                                        ; implicit-def: $vgpr15
.LBB1275_285:
	s_and_not1_saveexec_b32 s5, s5
	s_cbranch_execz .LBB1275_287
; %bb.286:
	v_lshlrev_b32_e32 v16, 2, v0
	v_lshlrev_b32_e32 v15, 2, v15
	v_readfirstlane_b32 s6, v11
	v_readfirstlane_b32 s7, v12
	ds_load_b32 v16, v16 offset:4096
	s_waitcnt lgkmcnt(0)
	global_store_b32 v15, v16, s[6:7]
.LBB1275_287:
	s_or_b32 exec_lo, exec_lo, s3
	v_or_b32_e32 v15, 0x500, v0
	s_mov_b32 s3, exec_lo
	s_delay_alu instid0(VALU_DEP_1)
	v_cmpx_gt_u32_e64 s4, v15
	s_cbranch_execz .LBB1275_296
; %bb.288:
	s_mov_b32 s5, exec_lo
	v_cmpx_le_u32_e64 v5, v15
	s_xor_b32 s5, exec_lo, s5
	s_cbranch_execz .LBB1275_294
; %bb.289:
	s_mov_b32 s6, exec_lo
	v_cmpx_le_u32_e64 v14, v15
	s_xor_b32 s6, exec_lo, s6
	s_cbranch_execz .LBB1275_291
; %bb.290:
	v_lshlrev_b32_e32 v16, 2, v0
	v_add_co_u32 v15, vcc_lo, v7, v15
	ds_load_b32 v17, v16 offset:5120
	v_add_co_ci_u32_e32 v16, vcc_lo, 0, v13, vcc_lo
	s_delay_alu instid0(VALU_DEP_1) | instskip(NEXT) | instid1(VALU_DEP_1)
	v_lshlrev_b64 v[15:16], 2, v[15:16]
	v_sub_co_u32 v15, vcc_lo, s1, v15
	s_delay_alu instid0(VALU_DEP_2)
	v_sub_co_ci_u32_e32 v16, vcc_lo, s0, v16, vcc_lo
	s_waitcnt lgkmcnt(0)
	global_store_b32 v[15:16], v17, off
                                        ; implicit-def: $vgpr15
.LBB1275_291:
	s_and_not1_saveexec_b32 s6, s6
	s_cbranch_execz .LBB1275_293
; %bb.292:
	v_lshlrev_b32_e32 v16, 2, v0
	v_lshlrev_b32_e32 v15, 2, v15
	v_readfirstlane_b32 s8, v9
	v_readfirstlane_b32 s9, v10
	ds_load_b32 v16, v16 offset:5120
	s_waitcnt lgkmcnt(0)
	global_store_b32 v15, v16, s[8:9]
.LBB1275_293:
	s_or_b32 exec_lo, exec_lo, s6
                                        ; implicit-def: $vgpr15
.LBB1275_294:
	s_and_not1_saveexec_b32 s5, s5
	s_cbranch_execz .LBB1275_296
; %bb.295:
	v_lshlrev_b32_e32 v16, 2, v0
	v_lshlrev_b32_e32 v15, 2, v15
	v_readfirstlane_b32 s6, v11
	v_readfirstlane_b32 s7, v12
	ds_load_b32 v16, v16 offset:5120
	s_waitcnt lgkmcnt(0)
	global_store_b32 v15, v16, s[6:7]
.LBB1275_296:
	s_or_b32 exec_lo, exec_lo, s3
	v_or_b32_e32 v15, 0x600, v0
	s_mov_b32 s3, exec_lo
	s_delay_alu instid0(VALU_DEP_1)
	v_cmpx_gt_u32_e64 s4, v15
	s_cbranch_execz .LBB1275_305
; %bb.297:
	s_mov_b32 s5, exec_lo
	v_cmpx_le_u32_e64 v5, v15
	s_xor_b32 s5, exec_lo, s5
	s_cbranch_execz .LBB1275_303
; %bb.298:
	s_mov_b32 s6, exec_lo
	v_cmpx_le_u32_e64 v14, v15
	s_xor_b32 s6, exec_lo, s6
	s_cbranch_execz .LBB1275_300
; %bb.299:
	v_lshlrev_b32_e32 v16, 2, v0
	v_add_co_u32 v15, vcc_lo, v7, v15
	ds_load_b32 v17, v16 offset:6144
	v_add_co_ci_u32_e32 v16, vcc_lo, 0, v13, vcc_lo
	s_delay_alu instid0(VALU_DEP_1) | instskip(NEXT) | instid1(VALU_DEP_1)
	v_lshlrev_b64 v[15:16], 2, v[15:16]
	v_sub_co_u32 v15, vcc_lo, s1, v15
	s_delay_alu instid0(VALU_DEP_2)
	v_sub_co_ci_u32_e32 v16, vcc_lo, s0, v16, vcc_lo
	s_waitcnt lgkmcnt(0)
	global_store_b32 v[15:16], v17, off
                                        ; implicit-def: $vgpr15
.LBB1275_300:
	s_and_not1_saveexec_b32 s6, s6
	s_cbranch_execz .LBB1275_302
; %bb.301:
	v_lshlrev_b32_e32 v16, 2, v0
	v_lshlrev_b32_e32 v15, 2, v15
	v_readfirstlane_b32 s8, v9
	v_readfirstlane_b32 s9, v10
	ds_load_b32 v16, v16 offset:6144
	s_waitcnt lgkmcnt(0)
	global_store_b32 v15, v16, s[8:9]
.LBB1275_302:
	s_or_b32 exec_lo, exec_lo, s6
                                        ; implicit-def: $vgpr15
.LBB1275_303:
	s_and_not1_saveexec_b32 s5, s5
	s_cbranch_execz .LBB1275_305
; %bb.304:
	v_lshlrev_b32_e32 v16, 2, v0
	v_lshlrev_b32_e32 v15, 2, v15
	v_readfirstlane_b32 s6, v11
	v_readfirstlane_b32 s7, v12
	ds_load_b32 v16, v16 offset:6144
	s_waitcnt lgkmcnt(0)
	global_store_b32 v15, v16, s[6:7]
.LBB1275_305:
	;; [unrolled: 55-line block ×7, first 2 shown]
	s_or_b32 exec_lo, exec_lo, s3
	v_or_b32_e32 v15, 0xc00, v0
	s_mov_b32 s3, exec_lo
	s_delay_alu instid0(VALU_DEP_1)
	v_cmpx_gt_u32_e64 s4, v15
	s_cbranch_execz .LBB1275_359
; %bb.351:
	s_mov_b32 s4, exec_lo
	v_cmpx_le_u32_e64 v5, v15
	s_xor_b32 s4, exec_lo, s4
	s_cbranch_execz .LBB1275_357
; %bb.352:
	s_mov_b32 s5, exec_lo
	v_cmpx_le_u32_e64 v14, v15
	s_xor_b32 s5, exec_lo, s5
	s_cbranch_execz .LBB1275_354
; %bb.353:
	v_lshlrev_b32_e32 v0, 2, v0
	v_add_co_u32 v9, vcc_lo, v7, v15
	v_add_co_ci_u32_e32 v10, vcc_lo, 0, v13, vcc_lo
	ds_load_b32 v0, v0 offset:12288
                                        ; implicit-def: $vgpr15
	v_lshlrev_b64 v[9:10], 2, v[9:10]
	s_delay_alu instid0(VALU_DEP_1) | instskip(NEXT) | instid1(VALU_DEP_2)
	v_sub_co_u32 v9, vcc_lo, s1, v9
	v_sub_co_ci_u32_e32 v10, vcc_lo, s0, v10, vcc_lo
	s_waitcnt lgkmcnt(0)
	global_store_b32 v[9:10], v0, off
                                        ; implicit-def: $vgpr0
                                        ; implicit-def: $vgpr9_vgpr10
.LBB1275_354:
	s_and_not1_saveexec_b32 s0, s5
	s_cbranch_execz .LBB1275_356
; %bb.355:
	v_lshlrev_b32_e32 v0, 2, v0
	v_lshlrev_b32_e32 v7, 2, v15
	v_readfirstlane_b32 s6, v9
	v_readfirstlane_b32 s7, v10
	ds_load_b32 v0, v0 offset:12288
	s_waitcnt lgkmcnt(0)
	global_store_b32 v7, v0, s[6:7]
.LBB1275_356:
	s_or_b32 exec_lo, exec_lo, s0
                                        ; implicit-def: $vgpr0
                                        ; implicit-def: $vgpr15
                                        ; implicit-def: $vgpr11_vgpr12
.LBB1275_357:
	s_and_not1_saveexec_b32 s0, s4
	s_cbranch_execz .LBB1275_359
; %bb.358:
	v_lshlrev_b32_e32 v0, 2, v0
	v_lshlrev_b32_e32 v7, 2, v15
	v_readfirstlane_b32 s0, v11
	v_readfirstlane_b32 s1, v12
	ds_load_b32 v0, v0 offset:12288
	s_waitcnt lgkmcnt(0)
	global_store_b32 v7, v0, s[0:1]
.LBB1275_359:
	s_or_b32 exec_lo, exec_lo, s3
	s_and_b32 s0, s2, s13
	s_delay_alu instid0(SALU_CYCLE_1)
	s_and_saveexec_b32 s1, s0
	s_cbranch_execz .LBB1275_136
.LBB1275_360:
	v_add_co_u32 v3, vcc_lo, v3, v6
	v_add_co_ci_u32_e32 v4, vcc_lo, 0, v4, vcc_lo
	v_add_co_u32 v0, vcc_lo, v1, v5
	v_add_co_ci_u32_e32 v1, vcc_lo, 0, v2, vcc_lo
	s_delay_alu instid0(VALU_DEP_4)
	v_add_co_u32 v2, vcc_lo, v3, v8
	v_mov_b32_e32 v7, 0
	v_add_co_ci_u32_e32 v3, vcc_lo, 0, v4, vcc_lo
	global_store_b128 v7, v[0:3], s[24:25]
	s_nop 0
	s_sendmsg sendmsg(MSG_DEALLOC_VGPRS)
	s_endpgm
.LBB1275_361:
	v_add_nc_u32_e32 v7, s6, v27
	s_add_i32 s8, s26, 32
	s_mov_b32 s9, 0
	v_dual_mov_b32 v9, 0 :: v_dual_add_nc_u32 v6, v26, v5
	s_lshl_b64 s[8:9], s[8:9], 4
	v_and_b32_e32 v24, 0xff0000, v7
	s_add_u32 s8, s36, s8
	s_addc_u32 s9, s37, s9
	v_and_b32_e32 v8, 0xff000000, v7
	s_delay_alu instid0(VALU_DEP_1) | instskip(SKIP_2) | instid1(VALU_DEP_1)
	v_or_b32_e32 v24, v24, v8
	v_dual_mov_b32 v8, 2 :: v_dual_and_b32 v25, 0xff00, v7
	v_and_b32_e32 v7, 0xff, v7
	v_or3_b32 v7, v24, v25, v7
	v_dual_mov_b32 v25, s9 :: v_dual_mov_b32 v24, s8
	;;#ASMSTART
	global_store_dwordx4 v[24:25], v[6:9] off	
s_waitcnt vmcnt(0)
	;;#ASMEND
	s_or_b32 exec_lo, exec_lo, s7
	s_and_saveexec_b32 s7, s3
	s_cbranch_execz .LBB1275_120
.LBB1275_362:
	v_mov_b32_e32 v6, s6
	v_add_nc_u32_e64 v7, 0x3400, 0
	ds_store_2addr_b32 v7, v5, v6 offset1:2
	ds_store_2addr_b32 v7, v26, v27 offset0:4 offset1:6
	s_or_b32 exec_lo, exec_lo, s7
	s_delay_alu instid0(SALU_CYCLE_1)
	s_and_b32 exec_lo, exec_lo, s2
	s_cbranch_execnz .LBB1275_121
	s_branch .LBB1275_122
	.section	.rodata,"a",@progbits
	.p2align	6, 0x0
	.amdhsa_kernel _ZN7rocprim17ROCPRIM_400000_NS6detail17trampoline_kernelINS0_13select_configILj256ELj13ELNS0_17block_load_methodE3ELS4_3ELS4_3ELNS0_20block_scan_algorithmE0ELj4294967295EEENS1_25partition_config_selectorILNS1_17partition_subalgoE4EjNS0_10empty_typeEbEEZZNS1_14partition_implILS8_4ELb0ES6_15HIP_vector_typeIjLj2EENS0_17counting_iteratorIjlEEPS9_SG_NS0_5tupleIJPjSI_NS0_16reverse_iteratorISI_EEEEENSH_IJSG_SG_SG_EEES9_SI_JZNS1_25segmented_radix_sort_implINS0_14default_configELb1EPKfPfPKlPlN2at6native12_GLOBAL__N_18offset_tEEE10hipError_tPvRmT1_PNSt15iterator_traitsIS12_E10value_typeET2_T3_PNS13_IS18_E10value_typeET4_jRbjT5_S1E_jjP12ihipStream_tbEUljE_ZNSN_ISO_Lb1ESQ_SR_ST_SU_SY_EESZ_S10_S11_S12_S16_S17_S18_S1B_S1C_jS1D_jS1E_S1E_jjS1G_bEUljE0_EEESZ_S10_S11_S18_S1C_S1E_T6_T7_T9_mT8_S1G_bDpT10_ENKUlT_T0_E_clISt17integral_constantIbLb1EES1U_EEDaS1P_S1Q_EUlS1P_E_NS1_11comp_targetILNS1_3genE9ELNS1_11target_archE1100ELNS1_3gpuE3ELNS1_3repE0EEENS1_30default_config_static_selectorELNS0_4arch9wavefront6targetE0EEEvS12_
		.amdhsa_group_segment_fixed_size 13340
		.amdhsa_private_segment_fixed_size 0
		.amdhsa_kernarg_size 184
		.amdhsa_user_sgpr_count 15
		.amdhsa_user_sgpr_dispatch_ptr 0
		.amdhsa_user_sgpr_queue_ptr 0
		.amdhsa_user_sgpr_kernarg_segment_ptr 1
		.amdhsa_user_sgpr_dispatch_id 0
		.amdhsa_user_sgpr_private_segment_size 0
		.amdhsa_wavefront_size32 1
		.amdhsa_uses_dynamic_stack 0
		.amdhsa_enable_private_segment 0
		.amdhsa_system_sgpr_workgroup_id_x 1
		.amdhsa_system_sgpr_workgroup_id_y 0
		.amdhsa_system_sgpr_workgroup_id_z 0
		.amdhsa_system_sgpr_workgroup_info 0
		.amdhsa_system_vgpr_workitem_id 0
		.amdhsa_next_free_vgpr 103
		.amdhsa_next_free_sgpr 55
		.amdhsa_reserve_vcc 1
		.amdhsa_float_round_mode_32 0
		.amdhsa_float_round_mode_16_64 0
		.amdhsa_float_denorm_mode_32 3
		.amdhsa_float_denorm_mode_16_64 3
		.amdhsa_dx10_clamp 1
		.amdhsa_ieee_mode 1
		.amdhsa_fp16_overflow 0
		.amdhsa_workgroup_processor_mode 1
		.amdhsa_memory_ordered 1
		.amdhsa_forward_progress 0
		.amdhsa_shared_vgpr_count 0
		.amdhsa_exception_fp_ieee_invalid_op 0
		.amdhsa_exception_fp_denorm_src 0
		.amdhsa_exception_fp_ieee_div_zero 0
		.amdhsa_exception_fp_ieee_overflow 0
		.amdhsa_exception_fp_ieee_underflow 0
		.amdhsa_exception_fp_ieee_inexact 0
		.amdhsa_exception_int_div_zero 0
	.end_amdhsa_kernel
	.section	.text._ZN7rocprim17ROCPRIM_400000_NS6detail17trampoline_kernelINS0_13select_configILj256ELj13ELNS0_17block_load_methodE3ELS4_3ELS4_3ELNS0_20block_scan_algorithmE0ELj4294967295EEENS1_25partition_config_selectorILNS1_17partition_subalgoE4EjNS0_10empty_typeEbEEZZNS1_14partition_implILS8_4ELb0ES6_15HIP_vector_typeIjLj2EENS0_17counting_iteratorIjlEEPS9_SG_NS0_5tupleIJPjSI_NS0_16reverse_iteratorISI_EEEEENSH_IJSG_SG_SG_EEES9_SI_JZNS1_25segmented_radix_sort_implINS0_14default_configELb1EPKfPfPKlPlN2at6native12_GLOBAL__N_18offset_tEEE10hipError_tPvRmT1_PNSt15iterator_traitsIS12_E10value_typeET2_T3_PNS13_IS18_E10value_typeET4_jRbjT5_S1E_jjP12ihipStream_tbEUljE_ZNSN_ISO_Lb1ESQ_SR_ST_SU_SY_EESZ_S10_S11_S12_S16_S17_S18_S1B_S1C_jS1D_jS1E_S1E_jjS1G_bEUljE0_EEESZ_S10_S11_S18_S1C_S1E_T6_T7_T9_mT8_S1G_bDpT10_ENKUlT_T0_E_clISt17integral_constantIbLb1EES1U_EEDaS1P_S1Q_EUlS1P_E_NS1_11comp_targetILNS1_3genE9ELNS1_11target_archE1100ELNS1_3gpuE3ELNS1_3repE0EEENS1_30default_config_static_selectorELNS0_4arch9wavefront6targetE0EEEvS12_,"axG",@progbits,_ZN7rocprim17ROCPRIM_400000_NS6detail17trampoline_kernelINS0_13select_configILj256ELj13ELNS0_17block_load_methodE3ELS4_3ELS4_3ELNS0_20block_scan_algorithmE0ELj4294967295EEENS1_25partition_config_selectorILNS1_17partition_subalgoE4EjNS0_10empty_typeEbEEZZNS1_14partition_implILS8_4ELb0ES6_15HIP_vector_typeIjLj2EENS0_17counting_iteratorIjlEEPS9_SG_NS0_5tupleIJPjSI_NS0_16reverse_iteratorISI_EEEEENSH_IJSG_SG_SG_EEES9_SI_JZNS1_25segmented_radix_sort_implINS0_14default_configELb1EPKfPfPKlPlN2at6native12_GLOBAL__N_18offset_tEEE10hipError_tPvRmT1_PNSt15iterator_traitsIS12_E10value_typeET2_T3_PNS13_IS18_E10value_typeET4_jRbjT5_S1E_jjP12ihipStream_tbEUljE_ZNSN_ISO_Lb1ESQ_SR_ST_SU_SY_EESZ_S10_S11_S12_S16_S17_S18_S1B_S1C_jS1D_jS1E_S1E_jjS1G_bEUljE0_EEESZ_S10_S11_S18_S1C_S1E_T6_T7_T9_mT8_S1G_bDpT10_ENKUlT_T0_E_clISt17integral_constantIbLb1EES1U_EEDaS1P_S1Q_EUlS1P_E_NS1_11comp_targetILNS1_3genE9ELNS1_11target_archE1100ELNS1_3gpuE3ELNS1_3repE0EEENS1_30default_config_static_selectorELNS0_4arch9wavefront6targetE0EEEvS12_,comdat
.Lfunc_end1275:
	.size	_ZN7rocprim17ROCPRIM_400000_NS6detail17trampoline_kernelINS0_13select_configILj256ELj13ELNS0_17block_load_methodE3ELS4_3ELS4_3ELNS0_20block_scan_algorithmE0ELj4294967295EEENS1_25partition_config_selectorILNS1_17partition_subalgoE4EjNS0_10empty_typeEbEEZZNS1_14partition_implILS8_4ELb0ES6_15HIP_vector_typeIjLj2EENS0_17counting_iteratorIjlEEPS9_SG_NS0_5tupleIJPjSI_NS0_16reverse_iteratorISI_EEEEENSH_IJSG_SG_SG_EEES9_SI_JZNS1_25segmented_radix_sort_implINS0_14default_configELb1EPKfPfPKlPlN2at6native12_GLOBAL__N_18offset_tEEE10hipError_tPvRmT1_PNSt15iterator_traitsIS12_E10value_typeET2_T3_PNS13_IS18_E10value_typeET4_jRbjT5_S1E_jjP12ihipStream_tbEUljE_ZNSN_ISO_Lb1ESQ_SR_ST_SU_SY_EESZ_S10_S11_S12_S16_S17_S18_S1B_S1C_jS1D_jS1E_S1E_jjS1G_bEUljE0_EEESZ_S10_S11_S18_S1C_S1E_T6_T7_T9_mT8_S1G_bDpT10_ENKUlT_T0_E_clISt17integral_constantIbLb1EES1U_EEDaS1P_S1Q_EUlS1P_E_NS1_11comp_targetILNS1_3genE9ELNS1_11target_archE1100ELNS1_3gpuE3ELNS1_3repE0EEENS1_30default_config_static_selectorELNS0_4arch9wavefront6targetE0EEEvS12_, .Lfunc_end1275-_ZN7rocprim17ROCPRIM_400000_NS6detail17trampoline_kernelINS0_13select_configILj256ELj13ELNS0_17block_load_methodE3ELS4_3ELS4_3ELNS0_20block_scan_algorithmE0ELj4294967295EEENS1_25partition_config_selectorILNS1_17partition_subalgoE4EjNS0_10empty_typeEbEEZZNS1_14partition_implILS8_4ELb0ES6_15HIP_vector_typeIjLj2EENS0_17counting_iteratorIjlEEPS9_SG_NS0_5tupleIJPjSI_NS0_16reverse_iteratorISI_EEEEENSH_IJSG_SG_SG_EEES9_SI_JZNS1_25segmented_radix_sort_implINS0_14default_configELb1EPKfPfPKlPlN2at6native12_GLOBAL__N_18offset_tEEE10hipError_tPvRmT1_PNSt15iterator_traitsIS12_E10value_typeET2_T3_PNS13_IS18_E10value_typeET4_jRbjT5_S1E_jjP12ihipStream_tbEUljE_ZNSN_ISO_Lb1ESQ_SR_ST_SU_SY_EESZ_S10_S11_S12_S16_S17_S18_S1B_S1C_jS1D_jS1E_S1E_jjS1G_bEUljE0_EEESZ_S10_S11_S18_S1C_S1E_T6_T7_T9_mT8_S1G_bDpT10_ENKUlT_T0_E_clISt17integral_constantIbLb1EES1U_EEDaS1P_S1Q_EUlS1P_E_NS1_11comp_targetILNS1_3genE9ELNS1_11target_archE1100ELNS1_3gpuE3ELNS1_3repE0EEENS1_30default_config_static_selectorELNS0_4arch9wavefront6targetE0EEEvS12_
                                        ; -- End function
	.section	.AMDGPU.csdata,"",@progbits
; Kernel info:
; codeLenInByte = 15160
; NumSgprs: 57
; NumVgprs: 103
; ScratchSize: 0
; MemoryBound: 0
; FloatMode: 240
; IeeeMode: 1
; LDSByteSize: 13340 bytes/workgroup (compile time only)
; SGPRBlocks: 7
; VGPRBlocks: 12
; NumSGPRsForWavesPerEU: 57
; NumVGPRsForWavesPerEU: 103
; Occupancy: 12
; WaveLimiterHint : 1
; COMPUTE_PGM_RSRC2:SCRATCH_EN: 0
; COMPUTE_PGM_RSRC2:USER_SGPR: 15
; COMPUTE_PGM_RSRC2:TRAP_HANDLER: 0
; COMPUTE_PGM_RSRC2:TGID_X_EN: 1
; COMPUTE_PGM_RSRC2:TGID_Y_EN: 0
; COMPUTE_PGM_RSRC2:TGID_Z_EN: 0
; COMPUTE_PGM_RSRC2:TIDIG_COMP_CNT: 0
	.section	.text._ZN7rocprim17ROCPRIM_400000_NS6detail17trampoline_kernelINS0_13select_configILj256ELj13ELNS0_17block_load_methodE3ELS4_3ELS4_3ELNS0_20block_scan_algorithmE0ELj4294967295EEENS1_25partition_config_selectorILNS1_17partition_subalgoE4EjNS0_10empty_typeEbEEZZNS1_14partition_implILS8_4ELb0ES6_15HIP_vector_typeIjLj2EENS0_17counting_iteratorIjlEEPS9_SG_NS0_5tupleIJPjSI_NS0_16reverse_iteratorISI_EEEEENSH_IJSG_SG_SG_EEES9_SI_JZNS1_25segmented_radix_sort_implINS0_14default_configELb1EPKfPfPKlPlN2at6native12_GLOBAL__N_18offset_tEEE10hipError_tPvRmT1_PNSt15iterator_traitsIS12_E10value_typeET2_T3_PNS13_IS18_E10value_typeET4_jRbjT5_S1E_jjP12ihipStream_tbEUljE_ZNSN_ISO_Lb1ESQ_SR_ST_SU_SY_EESZ_S10_S11_S12_S16_S17_S18_S1B_S1C_jS1D_jS1E_S1E_jjS1G_bEUljE0_EEESZ_S10_S11_S18_S1C_S1E_T6_T7_T9_mT8_S1G_bDpT10_ENKUlT_T0_E_clISt17integral_constantIbLb1EES1U_EEDaS1P_S1Q_EUlS1P_E_NS1_11comp_targetILNS1_3genE8ELNS1_11target_archE1030ELNS1_3gpuE2ELNS1_3repE0EEENS1_30default_config_static_selectorELNS0_4arch9wavefront6targetE0EEEvS12_,"axG",@progbits,_ZN7rocprim17ROCPRIM_400000_NS6detail17trampoline_kernelINS0_13select_configILj256ELj13ELNS0_17block_load_methodE3ELS4_3ELS4_3ELNS0_20block_scan_algorithmE0ELj4294967295EEENS1_25partition_config_selectorILNS1_17partition_subalgoE4EjNS0_10empty_typeEbEEZZNS1_14partition_implILS8_4ELb0ES6_15HIP_vector_typeIjLj2EENS0_17counting_iteratorIjlEEPS9_SG_NS0_5tupleIJPjSI_NS0_16reverse_iteratorISI_EEEEENSH_IJSG_SG_SG_EEES9_SI_JZNS1_25segmented_radix_sort_implINS0_14default_configELb1EPKfPfPKlPlN2at6native12_GLOBAL__N_18offset_tEEE10hipError_tPvRmT1_PNSt15iterator_traitsIS12_E10value_typeET2_T3_PNS13_IS18_E10value_typeET4_jRbjT5_S1E_jjP12ihipStream_tbEUljE_ZNSN_ISO_Lb1ESQ_SR_ST_SU_SY_EESZ_S10_S11_S12_S16_S17_S18_S1B_S1C_jS1D_jS1E_S1E_jjS1G_bEUljE0_EEESZ_S10_S11_S18_S1C_S1E_T6_T7_T9_mT8_S1G_bDpT10_ENKUlT_T0_E_clISt17integral_constantIbLb1EES1U_EEDaS1P_S1Q_EUlS1P_E_NS1_11comp_targetILNS1_3genE8ELNS1_11target_archE1030ELNS1_3gpuE2ELNS1_3repE0EEENS1_30default_config_static_selectorELNS0_4arch9wavefront6targetE0EEEvS12_,comdat
	.globl	_ZN7rocprim17ROCPRIM_400000_NS6detail17trampoline_kernelINS0_13select_configILj256ELj13ELNS0_17block_load_methodE3ELS4_3ELS4_3ELNS0_20block_scan_algorithmE0ELj4294967295EEENS1_25partition_config_selectorILNS1_17partition_subalgoE4EjNS0_10empty_typeEbEEZZNS1_14partition_implILS8_4ELb0ES6_15HIP_vector_typeIjLj2EENS0_17counting_iteratorIjlEEPS9_SG_NS0_5tupleIJPjSI_NS0_16reverse_iteratorISI_EEEEENSH_IJSG_SG_SG_EEES9_SI_JZNS1_25segmented_radix_sort_implINS0_14default_configELb1EPKfPfPKlPlN2at6native12_GLOBAL__N_18offset_tEEE10hipError_tPvRmT1_PNSt15iterator_traitsIS12_E10value_typeET2_T3_PNS13_IS18_E10value_typeET4_jRbjT5_S1E_jjP12ihipStream_tbEUljE_ZNSN_ISO_Lb1ESQ_SR_ST_SU_SY_EESZ_S10_S11_S12_S16_S17_S18_S1B_S1C_jS1D_jS1E_S1E_jjS1G_bEUljE0_EEESZ_S10_S11_S18_S1C_S1E_T6_T7_T9_mT8_S1G_bDpT10_ENKUlT_T0_E_clISt17integral_constantIbLb1EES1U_EEDaS1P_S1Q_EUlS1P_E_NS1_11comp_targetILNS1_3genE8ELNS1_11target_archE1030ELNS1_3gpuE2ELNS1_3repE0EEENS1_30default_config_static_selectorELNS0_4arch9wavefront6targetE0EEEvS12_ ; -- Begin function _ZN7rocprim17ROCPRIM_400000_NS6detail17trampoline_kernelINS0_13select_configILj256ELj13ELNS0_17block_load_methodE3ELS4_3ELS4_3ELNS0_20block_scan_algorithmE0ELj4294967295EEENS1_25partition_config_selectorILNS1_17partition_subalgoE4EjNS0_10empty_typeEbEEZZNS1_14partition_implILS8_4ELb0ES6_15HIP_vector_typeIjLj2EENS0_17counting_iteratorIjlEEPS9_SG_NS0_5tupleIJPjSI_NS0_16reverse_iteratorISI_EEEEENSH_IJSG_SG_SG_EEES9_SI_JZNS1_25segmented_radix_sort_implINS0_14default_configELb1EPKfPfPKlPlN2at6native12_GLOBAL__N_18offset_tEEE10hipError_tPvRmT1_PNSt15iterator_traitsIS12_E10value_typeET2_T3_PNS13_IS18_E10value_typeET4_jRbjT5_S1E_jjP12ihipStream_tbEUljE_ZNSN_ISO_Lb1ESQ_SR_ST_SU_SY_EESZ_S10_S11_S12_S16_S17_S18_S1B_S1C_jS1D_jS1E_S1E_jjS1G_bEUljE0_EEESZ_S10_S11_S18_S1C_S1E_T6_T7_T9_mT8_S1G_bDpT10_ENKUlT_T0_E_clISt17integral_constantIbLb1EES1U_EEDaS1P_S1Q_EUlS1P_E_NS1_11comp_targetILNS1_3genE8ELNS1_11target_archE1030ELNS1_3gpuE2ELNS1_3repE0EEENS1_30default_config_static_selectorELNS0_4arch9wavefront6targetE0EEEvS12_
	.p2align	8
	.type	_ZN7rocprim17ROCPRIM_400000_NS6detail17trampoline_kernelINS0_13select_configILj256ELj13ELNS0_17block_load_methodE3ELS4_3ELS4_3ELNS0_20block_scan_algorithmE0ELj4294967295EEENS1_25partition_config_selectorILNS1_17partition_subalgoE4EjNS0_10empty_typeEbEEZZNS1_14partition_implILS8_4ELb0ES6_15HIP_vector_typeIjLj2EENS0_17counting_iteratorIjlEEPS9_SG_NS0_5tupleIJPjSI_NS0_16reverse_iteratorISI_EEEEENSH_IJSG_SG_SG_EEES9_SI_JZNS1_25segmented_radix_sort_implINS0_14default_configELb1EPKfPfPKlPlN2at6native12_GLOBAL__N_18offset_tEEE10hipError_tPvRmT1_PNSt15iterator_traitsIS12_E10value_typeET2_T3_PNS13_IS18_E10value_typeET4_jRbjT5_S1E_jjP12ihipStream_tbEUljE_ZNSN_ISO_Lb1ESQ_SR_ST_SU_SY_EESZ_S10_S11_S12_S16_S17_S18_S1B_S1C_jS1D_jS1E_S1E_jjS1G_bEUljE0_EEESZ_S10_S11_S18_S1C_S1E_T6_T7_T9_mT8_S1G_bDpT10_ENKUlT_T0_E_clISt17integral_constantIbLb1EES1U_EEDaS1P_S1Q_EUlS1P_E_NS1_11comp_targetILNS1_3genE8ELNS1_11target_archE1030ELNS1_3gpuE2ELNS1_3repE0EEENS1_30default_config_static_selectorELNS0_4arch9wavefront6targetE0EEEvS12_,@function
_ZN7rocprim17ROCPRIM_400000_NS6detail17trampoline_kernelINS0_13select_configILj256ELj13ELNS0_17block_load_methodE3ELS4_3ELS4_3ELNS0_20block_scan_algorithmE0ELj4294967295EEENS1_25partition_config_selectorILNS1_17partition_subalgoE4EjNS0_10empty_typeEbEEZZNS1_14partition_implILS8_4ELb0ES6_15HIP_vector_typeIjLj2EENS0_17counting_iteratorIjlEEPS9_SG_NS0_5tupleIJPjSI_NS0_16reverse_iteratorISI_EEEEENSH_IJSG_SG_SG_EEES9_SI_JZNS1_25segmented_radix_sort_implINS0_14default_configELb1EPKfPfPKlPlN2at6native12_GLOBAL__N_18offset_tEEE10hipError_tPvRmT1_PNSt15iterator_traitsIS12_E10value_typeET2_T3_PNS13_IS18_E10value_typeET4_jRbjT5_S1E_jjP12ihipStream_tbEUljE_ZNSN_ISO_Lb1ESQ_SR_ST_SU_SY_EESZ_S10_S11_S12_S16_S17_S18_S1B_S1C_jS1D_jS1E_S1E_jjS1G_bEUljE0_EEESZ_S10_S11_S18_S1C_S1E_T6_T7_T9_mT8_S1G_bDpT10_ENKUlT_T0_E_clISt17integral_constantIbLb1EES1U_EEDaS1P_S1Q_EUlS1P_E_NS1_11comp_targetILNS1_3genE8ELNS1_11target_archE1030ELNS1_3gpuE2ELNS1_3repE0EEENS1_30default_config_static_selectorELNS0_4arch9wavefront6targetE0EEEvS12_: ; @_ZN7rocprim17ROCPRIM_400000_NS6detail17trampoline_kernelINS0_13select_configILj256ELj13ELNS0_17block_load_methodE3ELS4_3ELS4_3ELNS0_20block_scan_algorithmE0ELj4294967295EEENS1_25partition_config_selectorILNS1_17partition_subalgoE4EjNS0_10empty_typeEbEEZZNS1_14partition_implILS8_4ELb0ES6_15HIP_vector_typeIjLj2EENS0_17counting_iteratorIjlEEPS9_SG_NS0_5tupleIJPjSI_NS0_16reverse_iteratorISI_EEEEENSH_IJSG_SG_SG_EEES9_SI_JZNS1_25segmented_radix_sort_implINS0_14default_configELb1EPKfPfPKlPlN2at6native12_GLOBAL__N_18offset_tEEE10hipError_tPvRmT1_PNSt15iterator_traitsIS12_E10value_typeET2_T3_PNS13_IS18_E10value_typeET4_jRbjT5_S1E_jjP12ihipStream_tbEUljE_ZNSN_ISO_Lb1ESQ_SR_ST_SU_SY_EESZ_S10_S11_S12_S16_S17_S18_S1B_S1C_jS1D_jS1E_S1E_jjS1G_bEUljE0_EEESZ_S10_S11_S18_S1C_S1E_T6_T7_T9_mT8_S1G_bDpT10_ENKUlT_T0_E_clISt17integral_constantIbLb1EES1U_EEDaS1P_S1Q_EUlS1P_E_NS1_11comp_targetILNS1_3genE8ELNS1_11target_archE1030ELNS1_3gpuE2ELNS1_3repE0EEENS1_30default_config_static_selectorELNS0_4arch9wavefront6targetE0EEEvS12_
; %bb.0:
	.section	.rodata,"a",@progbits
	.p2align	6, 0x0
	.amdhsa_kernel _ZN7rocprim17ROCPRIM_400000_NS6detail17trampoline_kernelINS0_13select_configILj256ELj13ELNS0_17block_load_methodE3ELS4_3ELS4_3ELNS0_20block_scan_algorithmE0ELj4294967295EEENS1_25partition_config_selectorILNS1_17partition_subalgoE4EjNS0_10empty_typeEbEEZZNS1_14partition_implILS8_4ELb0ES6_15HIP_vector_typeIjLj2EENS0_17counting_iteratorIjlEEPS9_SG_NS0_5tupleIJPjSI_NS0_16reverse_iteratorISI_EEEEENSH_IJSG_SG_SG_EEES9_SI_JZNS1_25segmented_radix_sort_implINS0_14default_configELb1EPKfPfPKlPlN2at6native12_GLOBAL__N_18offset_tEEE10hipError_tPvRmT1_PNSt15iterator_traitsIS12_E10value_typeET2_T3_PNS13_IS18_E10value_typeET4_jRbjT5_S1E_jjP12ihipStream_tbEUljE_ZNSN_ISO_Lb1ESQ_SR_ST_SU_SY_EESZ_S10_S11_S12_S16_S17_S18_S1B_S1C_jS1D_jS1E_S1E_jjS1G_bEUljE0_EEESZ_S10_S11_S18_S1C_S1E_T6_T7_T9_mT8_S1G_bDpT10_ENKUlT_T0_E_clISt17integral_constantIbLb1EES1U_EEDaS1P_S1Q_EUlS1P_E_NS1_11comp_targetILNS1_3genE8ELNS1_11target_archE1030ELNS1_3gpuE2ELNS1_3repE0EEENS1_30default_config_static_selectorELNS0_4arch9wavefront6targetE0EEEvS12_
		.amdhsa_group_segment_fixed_size 0
		.amdhsa_private_segment_fixed_size 0
		.amdhsa_kernarg_size 184
		.amdhsa_user_sgpr_count 15
		.amdhsa_user_sgpr_dispatch_ptr 0
		.amdhsa_user_sgpr_queue_ptr 0
		.amdhsa_user_sgpr_kernarg_segment_ptr 1
		.amdhsa_user_sgpr_dispatch_id 0
		.amdhsa_user_sgpr_private_segment_size 0
		.amdhsa_wavefront_size32 1
		.amdhsa_uses_dynamic_stack 0
		.amdhsa_enable_private_segment 0
		.amdhsa_system_sgpr_workgroup_id_x 1
		.amdhsa_system_sgpr_workgroup_id_y 0
		.amdhsa_system_sgpr_workgroup_id_z 0
		.amdhsa_system_sgpr_workgroup_info 0
		.amdhsa_system_vgpr_workitem_id 0
		.amdhsa_next_free_vgpr 1
		.amdhsa_next_free_sgpr 1
		.amdhsa_reserve_vcc 0
		.amdhsa_float_round_mode_32 0
		.amdhsa_float_round_mode_16_64 0
		.amdhsa_float_denorm_mode_32 3
		.amdhsa_float_denorm_mode_16_64 3
		.amdhsa_dx10_clamp 1
		.amdhsa_ieee_mode 1
		.amdhsa_fp16_overflow 0
		.amdhsa_workgroup_processor_mode 1
		.amdhsa_memory_ordered 1
		.amdhsa_forward_progress 0
		.amdhsa_shared_vgpr_count 0
		.amdhsa_exception_fp_ieee_invalid_op 0
		.amdhsa_exception_fp_denorm_src 0
		.amdhsa_exception_fp_ieee_div_zero 0
		.amdhsa_exception_fp_ieee_overflow 0
		.amdhsa_exception_fp_ieee_underflow 0
		.amdhsa_exception_fp_ieee_inexact 0
		.amdhsa_exception_int_div_zero 0
	.end_amdhsa_kernel
	.section	.text._ZN7rocprim17ROCPRIM_400000_NS6detail17trampoline_kernelINS0_13select_configILj256ELj13ELNS0_17block_load_methodE3ELS4_3ELS4_3ELNS0_20block_scan_algorithmE0ELj4294967295EEENS1_25partition_config_selectorILNS1_17partition_subalgoE4EjNS0_10empty_typeEbEEZZNS1_14partition_implILS8_4ELb0ES6_15HIP_vector_typeIjLj2EENS0_17counting_iteratorIjlEEPS9_SG_NS0_5tupleIJPjSI_NS0_16reverse_iteratorISI_EEEEENSH_IJSG_SG_SG_EEES9_SI_JZNS1_25segmented_radix_sort_implINS0_14default_configELb1EPKfPfPKlPlN2at6native12_GLOBAL__N_18offset_tEEE10hipError_tPvRmT1_PNSt15iterator_traitsIS12_E10value_typeET2_T3_PNS13_IS18_E10value_typeET4_jRbjT5_S1E_jjP12ihipStream_tbEUljE_ZNSN_ISO_Lb1ESQ_SR_ST_SU_SY_EESZ_S10_S11_S12_S16_S17_S18_S1B_S1C_jS1D_jS1E_S1E_jjS1G_bEUljE0_EEESZ_S10_S11_S18_S1C_S1E_T6_T7_T9_mT8_S1G_bDpT10_ENKUlT_T0_E_clISt17integral_constantIbLb1EES1U_EEDaS1P_S1Q_EUlS1P_E_NS1_11comp_targetILNS1_3genE8ELNS1_11target_archE1030ELNS1_3gpuE2ELNS1_3repE0EEENS1_30default_config_static_selectorELNS0_4arch9wavefront6targetE0EEEvS12_,"axG",@progbits,_ZN7rocprim17ROCPRIM_400000_NS6detail17trampoline_kernelINS0_13select_configILj256ELj13ELNS0_17block_load_methodE3ELS4_3ELS4_3ELNS0_20block_scan_algorithmE0ELj4294967295EEENS1_25partition_config_selectorILNS1_17partition_subalgoE4EjNS0_10empty_typeEbEEZZNS1_14partition_implILS8_4ELb0ES6_15HIP_vector_typeIjLj2EENS0_17counting_iteratorIjlEEPS9_SG_NS0_5tupleIJPjSI_NS0_16reverse_iteratorISI_EEEEENSH_IJSG_SG_SG_EEES9_SI_JZNS1_25segmented_radix_sort_implINS0_14default_configELb1EPKfPfPKlPlN2at6native12_GLOBAL__N_18offset_tEEE10hipError_tPvRmT1_PNSt15iterator_traitsIS12_E10value_typeET2_T3_PNS13_IS18_E10value_typeET4_jRbjT5_S1E_jjP12ihipStream_tbEUljE_ZNSN_ISO_Lb1ESQ_SR_ST_SU_SY_EESZ_S10_S11_S12_S16_S17_S18_S1B_S1C_jS1D_jS1E_S1E_jjS1G_bEUljE0_EEESZ_S10_S11_S18_S1C_S1E_T6_T7_T9_mT8_S1G_bDpT10_ENKUlT_T0_E_clISt17integral_constantIbLb1EES1U_EEDaS1P_S1Q_EUlS1P_E_NS1_11comp_targetILNS1_3genE8ELNS1_11target_archE1030ELNS1_3gpuE2ELNS1_3repE0EEENS1_30default_config_static_selectorELNS0_4arch9wavefront6targetE0EEEvS12_,comdat
.Lfunc_end1276:
	.size	_ZN7rocprim17ROCPRIM_400000_NS6detail17trampoline_kernelINS0_13select_configILj256ELj13ELNS0_17block_load_methodE3ELS4_3ELS4_3ELNS0_20block_scan_algorithmE0ELj4294967295EEENS1_25partition_config_selectorILNS1_17partition_subalgoE4EjNS0_10empty_typeEbEEZZNS1_14partition_implILS8_4ELb0ES6_15HIP_vector_typeIjLj2EENS0_17counting_iteratorIjlEEPS9_SG_NS0_5tupleIJPjSI_NS0_16reverse_iteratorISI_EEEEENSH_IJSG_SG_SG_EEES9_SI_JZNS1_25segmented_radix_sort_implINS0_14default_configELb1EPKfPfPKlPlN2at6native12_GLOBAL__N_18offset_tEEE10hipError_tPvRmT1_PNSt15iterator_traitsIS12_E10value_typeET2_T3_PNS13_IS18_E10value_typeET4_jRbjT5_S1E_jjP12ihipStream_tbEUljE_ZNSN_ISO_Lb1ESQ_SR_ST_SU_SY_EESZ_S10_S11_S12_S16_S17_S18_S1B_S1C_jS1D_jS1E_S1E_jjS1G_bEUljE0_EEESZ_S10_S11_S18_S1C_S1E_T6_T7_T9_mT8_S1G_bDpT10_ENKUlT_T0_E_clISt17integral_constantIbLb1EES1U_EEDaS1P_S1Q_EUlS1P_E_NS1_11comp_targetILNS1_3genE8ELNS1_11target_archE1030ELNS1_3gpuE2ELNS1_3repE0EEENS1_30default_config_static_selectorELNS0_4arch9wavefront6targetE0EEEvS12_, .Lfunc_end1276-_ZN7rocprim17ROCPRIM_400000_NS6detail17trampoline_kernelINS0_13select_configILj256ELj13ELNS0_17block_load_methodE3ELS4_3ELS4_3ELNS0_20block_scan_algorithmE0ELj4294967295EEENS1_25partition_config_selectorILNS1_17partition_subalgoE4EjNS0_10empty_typeEbEEZZNS1_14partition_implILS8_4ELb0ES6_15HIP_vector_typeIjLj2EENS0_17counting_iteratorIjlEEPS9_SG_NS0_5tupleIJPjSI_NS0_16reverse_iteratorISI_EEEEENSH_IJSG_SG_SG_EEES9_SI_JZNS1_25segmented_radix_sort_implINS0_14default_configELb1EPKfPfPKlPlN2at6native12_GLOBAL__N_18offset_tEEE10hipError_tPvRmT1_PNSt15iterator_traitsIS12_E10value_typeET2_T3_PNS13_IS18_E10value_typeET4_jRbjT5_S1E_jjP12ihipStream_tbEUljE_ZNSN_ISO_Lb1ESQ_SR_ST_SU_SY_EESZ_S10_S11_S12_S16_S17_S18_S1B_S1C_jS1D_jS1E_S1E_jjS1G_bEUljE0_EEESZ_S10_S11_S18_S1C_S1E_T6_T7_T9_mT8_S1G_bDpT10_ENKUlT_T0_E_clISt17integral_constantIbLb1EES1U_EEDaS1P_S1Q_EUlS1P_E_NS1_11comp_targetILNS1_3genE8ELNS1_11target_archE1030ELNS1_3gpuE2ELNS1_3repE0EEENS1_30default_config_static_selectorELNS0_4arch9wavefront6targetE0EEEvS12_
                                        ; -- End function
	.section	.AMDGPU.csdata,"",@progbits
; Kernel info:
; codeLenInByte = 0
; NumSgprs: 0
; NumVgprs: 0
; ScratchSize: 0
; MemoryBound: 0
; FloatMode: 240
; IeeeMode: 1
; LDSByteSize: 0 bytes/workgroup (compile time only)
; SGPRBlocks: 0
; VGPRBlocks: 0
; NumSGPRsForWavesPerEU: 1
; NumVGPRsForWavesPerEU: 1
; Occupancy: 16
; WaveLimiterHint : 0
; COMPUTE_PGM_RSRC2:SCRATCH_EN: 0
; COMPUTE_PGM_RSRC2:USER_SGPR: 15
; COMPUTE_PGM_RSRC2:TRAP_HANDLER: 0
; COMPUTE_PGM_RSRC2:TGID_X_EN: 1
; COMPUTE_PGM_RSRC2:TGID_Y_EN: 0
; COMPUTE_PGM_RSRC2:TGID_Z_EN: 0
; COMPUTE_PGM_RSRC2:TIDIG_COMP_CNT: 0
	.section	.text._ZN7rocprim17ROCPRIM_400000_NS6detail17trampoline_kernelINS0_13select_configILj256ELj13ELNS0_17block_load_methodE3ELS4_3ELS4_3ELNS0_20block_scan_algorithmE0ELj4294967295EEENS1_25partition_config_selectorILNS1_17partition_subalgoE4EjNS0_10empty_typeEbEEZZNS1_14partition_implILS8_4ELb0ES6_15HIP_vector_typeIjLj2EENS0_17counting_iteratorIjlEEPS9_SG_NS0_5tupleIJPjSI_NS0_16reverse_iteratorISI_EEEEENSH_IJSG_SG_SG_EEES9_SI_JZNS1_25segmented_radix_sort_implINS0_14default_configELb1EPKfPfPKlPlN2at6native12_GLOBAL__N_18offset_tEEE10hipError_tPvRmT1_PNSt15iterator_traitsIS12_E10value_typeET2_T3_PNS13_IS18_E10value_typeET4_jRbjT5_S1E_jjP12ihipStream_tbEUljE_ZNSN_ISO_Lb1ESQ_SR_ST_SU_SY_EESZ_S10_S11_S12_S16_S17_S18_S1B_S1C_jS1D_jS1E_S1E_jjS1G_bEUljE0_EEESZ_S10_S11_S18_S1C_S1E_T6_T7_T9_mT8_S1G_bDpT10_ENKUlT_T0_E_clISt17integral_constantIbLb1EES1T_IbLb0EEEEDaS1P_S1Q_EUlS1P_E_NS1_11comp_targetILNS1_3genE0ELNS1_11target_archE4294967295ELNS1_3gpuE0ELNS1_3repE0EEENS1_30default_config_static_selectorELNS0_4arch9wavefront6targetE0EEEvS12_,"axG",@progbits,_ZN7rocprim17ROCPRIM_400000_NS6detail17trampoline_kernelINS0_13select_configILj256ELj13ELNS0_17block_load_methodE3ELS4_3ELS4_3ELNS0_20block_scan_algorithmE0ELj4294967295EEENS1_25partition_config_selectorILNS1_17partition_subalgoE4EjNS0_10empty_typeEbEEZZNS1_14partition_implILS8_4ELb0ES6_15HIP_vector_typeIjLj2EENS0_17counting_iteratorIjlEEPS9_SG_NS0_5tupleIJPjSI_NS0_16reverse_iteratorISI_EEEEENSH_IJSG_SG_SG_EEES9_SI_JZNS1_25segmented_radix_sort_implINS0_14default_configELb1EPKfPfPKlPlN2at6native12_GLOBAL__N_18offset_tEEE10hipError_tPvRmT1_PNSt15iterator_traitsIS12_E10value_typeET2_T3_PNS13_IS18_E10value_typeET4_jRbjT5_S1E_jjP12ihipStream_tbEUljE_ZNSN_ISO_Lb1ESQ_SR_ST_SU_SY_EESZ_S10_S11_S12_S16_S17_S18_S1B_S1C_jS1D_jS1E_S1E_jjS1G_bEUljE0_EEESZ_S10_S11_S18_S1C_S1E_T6_T7_T9_mT8_S1G_bDpT10_ENKUlT_T0_E_clISt17integral_constantIbLb1EES1T_IbLb0EEEEDaS1P_S1Q_EUlS1P_E_NS1_11comp_targetILNS1_3genE0ELNS1_11target_archE4294967295ELNS1_3gpuE0ELNS1_3repE0EEENS1_30default_config_static_selectorELNS0_4arch9wavefront6targetE0EEEvS12_,comdat
	.globl	_ZN7rocprim17ROCPRIM_400000_NS6detail17trampoline_kernelINS0_13select_configILj256ELj13ELNS0_17block_load_methodE3ELS4_3ELS4_3ELNS0_20block_scan_algorithmE0ELj4294967295EEENS1_25partition_config_selectorILNS1_17partition_subalgoE4EjNS0_10empty_typeEbEEZZNS1_14partition_implILS8_4ELb0ES6_15HIP_vector_typeIjLj2EENS0_17counting_iteratorIjlEEPS9_SG_NS0_5tupleIJPjSI_NS0_16reverse_iteratorISI_EEEEENSH_IJSG_SG_SG_EEES9_SI_JZNS1_25segmented_radix_sort_implINS0_14default_configELb1EPKfPfPKlPlN2at6native12_GLOBAL__N_18offset_tEEE10hipError_tPvRmT1_PNSt15iterator_traitsIS12_E10value_typeET2_T3_PNS13_IS18_E10value_typeET4_jRbjT5_S1E_jjP12ihipStream_tbEUljE_ZNSN_ISO_Lb1ESQ_SR_ST_SU_SY_EESZ_S10_S11_S12_S16_S17_S18_S1B_S1C_jS1D_jS1E_S1E_jjS1G_bEUljE0_EEESZ_S10_S11_S18_S1C_S1E_T6_T7_T9_mT8_S1G_bDpT10_ENKUlT_T0_E_clISt17integral_constantIbLb1EES1T_IbLb0EEEEDaS1P_S1Q_EUlS1P_E_NS1_11comp_targetILNS1_3genE0ELNS1_11target_archE4294967295ELNS1_3gpuE0ELNS1_3repE0EEENS1_30default_config_static_selectorELNS0_4arch9wavefront6targetE0EEEvS12_ ; -- Begin function _ZN7rocprim17ROCPRIM_400000_NS6detail17trampoline_kernelINS0_13select_configILj256ELj13ELNS0_17block_load_methodE3ELS4_3ELS4_3ELNS0_20block_scan_algorithmE0ELj4294967295EEENS1_25partition_config_selectorILNS1_17partition_subalgoE4EjNS0_10empty_typeEbEEZZNS1_14partition_implILS8_4ELb0ES6_15HIP_vector_typeIjLj2EENS0_17counting_iteratorIjlEEPS9_SG_NS0_5tupleIJPjSI_NS0_16reverse_iteratorISI_EEEEENSH_IJSG_SG_SG_EEES9_SI_JZNS1_25segmented_radix_sort_implINS0_14default_configELb1EPKfPfPKlPlN2at6native12_GLOBAL__N_18offset_tEEE10hipError_tPvRmT1_PNSt15iterator_traitsIS12_E10value_typeET2_T3_PNS13_IS18_E10value_typeET4_jRbjT5_S1E_jjP12ihipStream_tbEUljE_ZNSN_ISO_Lb1ESQ_SR_ST_SU_SY_EESZ_S10_S11_S12_S16_S17_S18_S1B_S1C_jS1D_jS1E_S1E_jjS1G_bEUljE0_EEESZ_S10_S11_S18_S1C_S1E_T6_T7_T9_mT8_S1G_bDpT10_ENKUlT_T0_E_clISt17integral_constantIbLb1EES1T_IbLb0EEEEDaS1P_S1Q_EUlS1P_E_NS1_11comp_targetILNS1_3genE0ELNS1_11target_archE4294967295ELNS1_3gpuE0ELNS1_3repE0EEENS1_30default_config_static_selectorELNS0_4arch9wavefront6targetE0EEEvS12_
	.p2align	8
	.type	_ZN7rocprim17ROCPRIM_400000_NS6detail17trampoline_kernelINS0_13select_configILj256ELj13ELNS0_17block_load_methodE3ELS4_3ELS4_3ELNS0_20block_scan_algorithmE0ELj4294967295EEENS1_25partition_config_selectorILNS1_17partition_subalgoE4EjNS0_10empty_typeEbEEZZNS1_14partition_implILS8_4ELb0ES6_15HIP_vector_typeIjLj2EENS0_17counting_iteratorIjlEEPS9_SG_NS0_5tupleIJPjSI_NS0_16reverse_iteratorISI_EEEEENSH_IJSG_SG_SG_EEES9_SI_JZNS1_25segmented_radix_sort_implINS0_14default_configELb1EPKfPfPKlPlN2at6native12_GLOBAL__N_18offset_tEEE10hipError_tPvRmT1_PNSt15iterator_traitsIS12_E10value_typeET2_T3_PNS13_IS18_E10value_typeET4_jRbjT5_S1E_jjP12ihipStream_tbEUljE_ZNSN_ISO_Lb1ESQ_SR_ST_SU_SY_EESZ_S10_S11_S12_S16_S17_S18_S1B_S1C_jS1D_jS1E_S1E_jjS1G_bEUljE0_EEESZ_S10_S11_S18_S1C_S1E_T6_T7_T9_mT8_S1G_bDpT10_ENKUlT_T0_E_clISt17integral_constantIbLb1EES1T_IbLb0EEEEDaS1P_S1Q_EUlS1P_E_NS1_11comp_targetILNS1_3genE0ELNS1_11target_archE4294967295ELNS1_3gpuE0ELNS1_3repE0EEENS1_30default_config_static_selectorELNS0_4arch9wavefront6targetE0EEEvS12_,@function
_ZN7rocprim17ROCPRIM_400000_NS6detail17trampoline_kernelINS0_13select_configILj256ELj13ELNS0_17block_load_methodE3ELS4_3ELS4_3ELNS0_20block_scan_algorithmE0ELj4294967295EEENS1_25partition_config_selectorILNS1_17partition_subalgoE4EjNS0_10empty_typeEbEEZZNS1_14partition_implILS8_4ELb0ES6_15HIP_vector_typeIjLj2EENS0_17counting_iteratorIjlEEPS9_SG_NS0_5tupleIJPjSI_NS0_16reverse_iteratorISI_EEEEENSH_IJSG_SG_SG_EEES9_SI_JZNS1_25segmented_radix_sort_implINS0_14default_configELb1EPKfPfPKlPlN2at6native12_GLOBAL__N_18offset_tEEE10hipError_tPvRmT1_PNSt15iterator_traitsIS12_E10value_typeET2_T3_PNS13_IS18_E10value_typeET4_jRbjT5_S1E_jjP12ihipStream_tbEUljE_ZNSN_ISO_Lb1ESQ_SR_ST_SU_SY_EESZ_S10_S11_S12_S16_S17_S18_S1B_S1C_jS1D_jS1E_S1E_jjS1G_bEUljE0_EEESZ_S10_S11_S18_S1C_S1E_T6_T7_T9_mT8_S1G_bDpT10_ENKUlT_T0_E_clISt17integral_constantIbLb1EES1T_IbLb0EEEEDaS1P_S1Q_EUlS1P_E_NS1_11comp_targetILNS1_3genE0ELNS1_11target_archE4294967295ELNS1_3gpuE0ELNS1_3repE0EEENS1_30default_config_static_selectorELNS0_4arch9wavefront6targetE0EEEvS12_: ; @_ZN7rocprim17ROCPRIM_400000_NS6detail17trampoline_kernelINS0_13select_configILj256ELj13ELNS0_17block_load_methodE3ELS4_3ELS4_3ELNS0_20block_scan_algorithmE0ELj4294967295EEENS1_25partition_config_selectorILNS1_17partition_subalgoE4EjNS0_10empty_typeEbEEZZNS1_14partition_implILS8_4ELb0ES6_15HIP_vector_typeIjLj2EENS0_17counting_iteratorIjlEEPS9_SG_NS0_5tupleIJPjSI_NS0_16reverse_iteratorISI_EEEEENSH_IJSG_SG_SG_EEES9_SI_JZNS1_25segmented_radix_sort_implINS0_14default_configELb1EPKfPfPKlPlN2at6native12_GLOBAL__N_18offset_tEEE10hipError_tPvRmT1_PNSt15iterator_traitsIS12_E10value_typeET2_T3_PNS13_IS18_E10value_typeET4_jRbjT5_S1E_jjP12ihipStream_tbEUljE_ZNSN_ISO_Lb1ESQ_SR_ST_SU_SY_EESZ_S10_S11_S12_S16_S17_S18_S1B_S1C_jS1D_jS1E_S1E_jjS1G_bEUljE0_EEESZ_S10_S11_S18_S1C_S1E_T6_T7_T9_mT8_S1G_bDpT10_ENKUlT_T0_E_clISt17integral_constantIbLb1EES1T_IbLb0EEEEDaS1P_S1Q_EUlS1P_E_NS1_11comp_targetILNS1_3genE0ELNS1_11target_archE4294967295ELNS1_3gpuE0ELNS1_3repE0EEENS1_30default_config_static_selectorELNS0_4arch9wavefront6targetE0EEEvS12_
; %bb.0:
	.section	.rodata,"a",@progbits
	.p2align	6, 0x0
	.amdhsa_kernel _ZN7rocprim17ROCPRIM_400000_NS6detail17trampoline_kernelINS0_13select_configILj256ELj13ELNS0_17block_load_methodE3ELS4_3ELS4_3ELNS0_20block_scan_algorithmE0ELj4294967295EEENS1_25partition_config_selectorILNS1_17partition_subalgoE4EjNS0_10empty_typeEbEEZZNS1_14partition_implILS8_4ELb0ES6_15HIP_vector_typeIjLj2EENS0_17counting_iteratorIjlEEPS9_SG_NS0_5tupleIJPjSI_NS0_16reverse_iteratorISI_EEEEENSH_IJSG_SG_SG_EEES9_SI_JZNS1_25segmented_radix_sort_implINS0_14default_configELb1EPKfPfPKlPlN2at6native12_GLOBAL__N_18offset_tEEE10hipError_tPvRmT1_PNSt15iterator_traitsIS12_E10value_typeET2_T3_PNS13_IS18_E10value_typeET4_jRbjT5_S1E_jjP12ihipStream_tbEUljE_ZNSN_ISO_Lb1ESQ_SR_ST_SU_SY_EESZ_S10_S11_S12_S16_S17_S18_S1B_S1C_jS1D_jS1E_S1E_jjS1G_bEUljE0_EEESZ_S10_S11_S18_S1C_S1E_T6_T7_T9_mT8_S1G_bDpT10_ENKUlT_T0_E_clISt17integral_constantIbLb1EES1T_IbLb0EEEEDaS1P_S1Q_EUlS1P_E_NS1_11comp_targetILNS1_3genE0ELNS1_11target_archE4294967295ELNS1_3gpuE0ELNS1_3repE0EEENS1_30default_config_static_selectorELNS0_4arch9wavefront6targetE0EEEvS12_
		.amdhsa_group_segment_fixed_size 0
		.amdhsa_private_segment_fixed_size 0
		.amdhsa_kernarg_size 176
		.amdhsa_user_sgpr_count 15
		.amdhsa_user_sgpr_dispatch_ptr 0
		.amdhsa_user_sgpr_queue_ptr 0
		.amdhsa_user_sgpr_kernarg_segment_ptr 1
		.amdhsa_user_sgpr_dispatch_id 0
		.amdhsa_user_sgpr_private_segment_size 0
		.amdhsa_wavefront_size32 1
		.amdhsa_uses_dynamic_stack 0
		.amdhsa_enable_private_segment 0
		.amdhsa_system_sgpr_workgroup_id_x 1
		.amdhsa_system_sgpr_workgroup_id_y 0
		.amdhsa_system_sgpr_workgroup_id_z 0
		.amdhsa_system_sgpr_workgroup_info 0
		.amdhsa_system_vgpr_workitem_id 0
		.amdhsa_next_free_vgpr 1
		.amdhsa_next_free_sgpr 1
		.amdhsa_reserve_vcc 0
		.amdhsa_float_round_mode_32 0
		.amdhsa_float_round_mode_16_64 0
		.amdhsa_float_denorm_mode_32 3
		.amdhsa_float_denorm_mode_16_64 3
		.amdhsa_dx10_clamp 1
		.amdhsa_ieee_mode 1
		.amdhsa_fp16_overflow 0
		.amdhsa_workgroup_processor_mode 1
		.amdhsa_memory_ordered 1
		.amdhsa_forward_progress 0
		.amdhsa_shared_vgpr_count 0
		.amdhsa_exception_fp_ieee_invalid_op 0
		.amdhsa_exception_fp_denorm_src 0
		.amdhsa_exception_fp_ieee_div_zero 0
		.amdhsa_exception_fp_ieee_overflow 0
		.amdhsa_exception_fp_ieee_underflow 0
		.amdhsa_exception_fp_ieee_inexact 0
		.amdhsa_exception_int_div_zero 0
	.end_amdhsa_kernel
	.section	.text._ZN7rocprim17ROCPRIM_400000_NS6detail17trampoline_kernelINS0_13select_configILj256ELj13ELNS0_17block_load_methodE3ELS4_3ELS4_3ELNS0_20block_scan_algorithmE0ELj4294967295EEENS1_25partition_config_selectorILNS1_17partition_subalgoE4EjNS0_10empty_typeEbEEZZNS1_14partition_implILS8_4ELb0ES6_15HIP_vector_typeIjLj2EENS0_17counting_iteratorIjlEEPS9_SG_NS0_5tupleIJPjSI_NS0_16reverse_iteratorISI_EEEEENSH_IJSG_SG_SG_EEES9_SI_JZNS1_25segmented_radix_sort_implINS0_14default_configELb1EPKfPfPKlPlN2at6native12_GLOBAL__N_18offset_tEEE10hipError_tPvRmT1_PNSt15iterator_traitsIS12_E10value_typeET2_T3_PNS13_IS18_E10value_typeET4_jRbjT5_S1E_jjP12ihipStream_tbEUljE_ZNSN_ISO_Lb1ESQ_SR_ST_SU_SY_EESZ_S10_S11_S12_S16_S17_S18_S1B_S1C_jS1D_jS1E_S1E_jjS1G_bEUljE0_EEESZ_S10_S11_S18_S1C_S1E_T6_T7_T9_mT8_S1G_bDpT10_ENKUlT_T0_E_clISt17integral_constantIbLb1EES1T_IbLb0EEEEDaS1P_S1Q_EUlS1P_E_NS1_11comp_targetILNS1_3genE0ELNS1_11target_archE4294967295ELNS1_3gpuE0ELNS1_3repE0EEENS1_30default_config_static_selectorELNS0_4arch9wavefront6targetE0EEEvS12_,"axG",@progbits,_ZN7rocprim17ROCPRIM_400000_NS6detail17trampoline_kernelINS0_13select_configILj256ELj13ELNS0_17block_load_methodE3ELS4_3ELS4_3ELNS0_20block_scan_algorithmE0ELj4294967295EEENS1_25partition_config_selectorILNS1_17partition_subalgoE4EjNS0_10empty_typeEbEEZZNS1_14partition_implILS8_4ELb0ES6_15HIP_vector_typeIjLj2EENS0_17counting_iteratorIjlEEPS9_SG_NS0_5tupleIJPjSI_NS0_16reverse_iteratorISI_EEEEENSH_IJSG_SG_SG_EEES9_SI_JZNS1_25segmented_radix_sort_implINS0_14default_configELb1EPKfPfPKlPlN2at6native12_GLOBAL__N_18offset_tEEE10hipError_tPvRmT1_PNSt15iterator_traitsIS12_E10value_typeET2_T3_PNS13_IS18_E10value_typeET4_jRbjT5_S1E_jjP12ihipStream_tbEUljE_ZNSN_ISO_Lb1ESQ_SR_ST_SU_SY_EESZ_S10_S11_S12_S16_S17_S18_S1B_S1C_jS1D_jS1E_S1E_jjS1G_bEUljE0_EEESZ_S10_S11_S18_S1C_S1E_T6_T7_T9_mT8_S1G_bDpT10_ENKUlT_T0_E_clISt17integral_constantIbLb1EES1T_IbLb0EEEEDaS1P_S1Q_EUlS1P_E_NS1_11comp_targetILNS1_3genE0ELNS1_11target_archE4294967295ELNS1_3gpuE0ELNS1_3repE0EEENS1_30default_config_static_selectorELNS0_4arch9wavefront6targetE0EEEvS12_,comdat
.Lfunc_end1277:
	.size	_ZN7rocprim17ROCPRIM_400000_NS6detail17trampoline_kernelINS0_13select_configILj256ELj13ELNS0_17block_load_methodE3ELS4_3ELS4_3ELNS0_20block_scan_algorithmE0ELj4294967295EEENS1_25partition_config_selectorILNS1_17partition_subalgoE4EjNS0_10empty_typeEbEEZZNS1_14partition_implILS8_4ELb0ES6_15HIP_vector_typeIjLj2EENS0_17counting_iteratorIjlEEPS9_SG_NS0_5tupleIJPjSI_NS0_16reverse_iteratorISI_EEEEENSH_IJSG_SG_SG_EEES9_SI_JZNS1_25segmented_radix_sort_implINS0_14default_configELb1EPKfPfPKlPlN2at6native12_GLOBAL__N_18offset_tEEE10hipError_tPvRmT1_PNSt15iterator_traitsIS12_E10value_typeET2_T3_PNS13_IS18_E10value_typeET4_jRbjT5_S1E_jjP12ihipStream_tbEUljE_ZNSN_ISO_Lb1ESQ_SR_ST_SU_SY_EESZ_S10_S11_S12_S16_S17_S18_S1B_S1C_jS1D_jS1E_S1E_jjS1G_bEUljE0_EEESZ_S10_S11_S18_S1C_S1E_T6_T7_T9_mT8_S1G_bDpT10_ENKUlT_T0_E_clISt17integral_constantIbLb1EES1T_IbLb0EEEEDaS1P_S1Q_EUlS1P_E_NS1_11comp_targetILNS1_3genE0ELNS1_11target_archE4294967295ELNS1_3gpuE0ELNS1_3repE0EEENS1_30default_config_static_selectorELNS0_4arch9wavefront6targetE0EEEvS12_, .Lfunc_end1277-_ZN7rocprim17ROCPRIM_400000_NS6detail17trampoline_kernelINS0_13select_configILj256ELj13ELNS0_17block_load_methodE3ELS4_3ELS4_3ELNS0_20block_scan_algorithmE0ELj4294967295EEENS1_25partition_config_selectorILNS1_17partition_subalgoE4EjNS0_10empty_typeEbEEZZNS1_14partition_implILS8_4ELb0ES6_15HIP_vector_typeIjLj2EENS0_17counting_iteratorIjlEEPS9_SG_NS0_5tupleIJPjSI_NS0_16reverse_iteratorISI_EEEEENSH_IJSG_SG_SG_EEES9_SI_JZNS1_25segmented_radix_sort_implINS0_14default_configELb1EPKfPfPKlPlN2at6native12_GLOBAL__N_18offset_tEEE10hipError_tPvRmT1_PNSt15iterator_traitsIS12_E10value_typeET2_T3_PNS13_IS18_E10value_typeET4_jRbjT5_S1E_jjP12ihipStream_tbEUljE_ZNSN_ISO_Lb1ESQ_SR_ST_SU_SY_EESZ_S10_S11_S12_S16_S17_S18_S1B_S1C_jS1D_jS1E_S1E_jjS1G_bEUljE0_EEESZ_S10_S11_S18_S1C_S1E_T6_T7_T9_mT8_S1G_bDpT10_ENKUlT_T0_E_clISt17integral_constantIbLb1EES1T_IbLb0EEEEDaS1P_S1Q_EUlS1P_E_NS1_11comp_targetILNS1_3genE0ELNS1_11target_archE4294967295ELNS1_3gpuE0ELNS1_3repE0EEENS1_30default_config_static_selectorELNS0_4arch9wavefront6targetE0EEEvS12_
                                        ; -- End function
	.section	.AMDGPU.csdata,"",@progbits
; Kernel info:
; codeLenInByte = 0
; NumSgprs: 0
; NumVgprs: 0
; ScratchSize: 0
; MemoryBound: 0
; FloatMode: 240
; IeeeMode: 1
; LDSByteSize: 0 bytes/workgroup (compile time only)
; SGPRBlocks: 0
; VGPRBlocks: 0
; NumSGPRsForWavesPerEU: 1
; NumVGPRsForWavesPerEU: 1
; Occupancy: 16
; WaveLimiterHint : 0
; COMPUTE_PGM_RSRC2:SCRATCH_EN: 0
; COMPUTE_PGM_RSRC2:USER_SGPR: 15
; COMPUTE_PGM_RSRC2:TRAP_HANDLER: 0
; COMPUTE_PGM_RSRC2:TGID_X_EN: 1
; COMPUTE_PGM_RSRC2:TGID_Y_EN: 0
; COMPUTE_PGM_RSRC2:TGID_Z_EN: 0
; COMPUTE_PGM_RSRC2:TIDIG_COMP_CNT: 0
	.section	.text._ZN7rocprim17ROCPRIM_400000_NS6detail17trampoline_kernelINS0_13select_configILj256ELj13ELNS0_17block_load_methodE3ELS4_3ELS4_3ELNS0_20block_scan_algorithmE0ELj4294967295EEENS1_25partition_config_selectorILNS1_17partition_subalgoE4EjNS0_10empty_typeEbEEZZNS1_14partition_implILS8_4ELb0ES6_15HIP_vector_typeIjLj2EENS0_17counting_iteratorIjlEEPS9_SG_NS0_5tupleIJPjSI_NS0_16reverse_iteratorISI_EEEEENSH_IJSG_SG_SG_EEES9_SI_JZNS1_25segmented_radix_sort_implINS0_14default_configELb1EPKfPfPKlPlN2at6native12_GLOBAL__N_18offset_tEEE10hipError_tPvRmT1_PNSt15iterator_traitsIS12_E10value_typeET2_T3_PNS13_IS18_E10value_typeET4_jRbjT5_S1E_jjP12ihipStream_tbEUljE_ZNSN_ISO_Lb1ESQ_SR_ST_SU_SY_EESZ_S10_S11_S12_S16_S17_S18_S1B_S1C_jS1D_jS1E_S1E_jjS1G_bEUljE0_EEESZ_S10_S11_S18_S1C_S1E_T6_T7_T9_mT8_S1G_bDpT10_ENKUlT_T0_E_clISt17integral_constantIbLb1EES1T_IbLb0EEEEDaS1P_S1Q_EUlS1P_E_NS1_11comp_targetILNS1_3genE5ELNS1_11target_archE942ELNS1_3gpuE9ELNS1_3repE0EEENS1_30default_config_static_selectorELNS0_4arch9wavefront6targetE0EEEvS12_,"axG",@progbits,_ZN7rocprim17ROCPRIM_400000_NS6detail17trampoline_kernelINS0_13select_configILj256ELj13ELNS0_17block_load_methodE3ELS4_3ELS4_3ELNS0_20block_scan_algorithmE0ELj4294967295EEENS1_25partition_config_selectorILNS1_17partition_subalgoE4EjNS0_10empty_typeEbEEZZNS1_14partition_implILS8_4ELb0ES6_15HIP_vector_typeIjLj2EENS0_17counting_iteratorIjlEEPS9_SG_NS0_5tupleIJPjSI_NS0_16reverse_iteratorISI_EEEEENSH_IJSG_SG_SG_EEES9_SI_JZNS1_25segmented_radix_sort_implINS0_14default_configELb1EPKfPfPKlPlN2at6native12_GLOBAL__N_18offset_tEEE10hipError_tPvRmT1_PNSt15iterator_traitsIS12_E10value_typeET2_T3_PNS13_IS18_E10value_typeET4_jRbjT5_S1E_jjP12ihipStream_tbEUljE_ZNSN_ISO_Lb1ESQ_SR_ST_SU_SY_EESZ_S10_S11_S12_S16_S17_S18_S1B_S1C_jS1D_jS1E_S1E_jjS1G_bEUljE0_EEESZ_S10_S11_S18_S1C_S1E_T6_T7_T9_mT8_S1G_bDpT10_ENKUlT_T0_E_clISt17integral_constantIbLb1EES1T_IbLb0EEEEDaS1P_S1Q_EUlS1P_E_NS1_11comp_targetILNS1_3genE5ELNS1_11target_archE942ELNS1_3gpuE9ELNS1_3repE0EEENS1_30default_config_static_selectorELNS0_4arch9wavefront6targetE0EEEvS12_,comdat
	.globl	_ZN7rocprim17ROCPRIM_400000_NS6detail17trampoline_kernelINS0_13select_configILj256ELj13ELNS0_17block_load_methodE3ELS4_3ELS4_3ELNS0_20block_scan_algorithmE0ELj4294967295EEENS1_25partition_config_selectorILNS1_17partition_subalgoE4EjNS0_10empty_typeEbEEZZNS1_14partition_implILS8_4ELb0ES6_15HIP_vector_typeIjLj2EENS0_17counting_iteratorIjlEEPS9_SG_NS0_5tupleIJPjSI_NS0_16reverse_iteratorISI_EEEEENSH_IJSG_SG_SG_EEES9_SI_JZNS1_25segmented_radix_sort_implINS0_14default_configELb1EPKfPfPKlPlN2at6native12_GLOBAL__N_18offset_tEEE10hipError_tPvRmT1_PNSt15iterator_traitsIS12_E10value_typeET2_T3_PNS13_IS18_E10value_typeET4_jRbjT5_S1E_jjP12ihipStream_tbEUljE_ZNSN_ISO_Lb1ESQ_SR_ST_SU_SY_EESZ_S10_S11_S12_S16_S17_S18_S1B_S1C_jS1D_jS1E_S1E_jjS1G_bEUljE0_EEESZ_S10_S11_S18_S1C_S1E_T6_T7_T9_mT8_S1G_bDpT10_ENKUlT_T0_E_clISt17integral_constantIbLb1EES1T_IbLb0EEEEDaS1P_S1Q_EUlS1P_E_NS1_11comp_targetILNS1_3genE5ELNS1_11target_archE942ELNS1_3gpuE9ELNS1_3repE0EEENS1_30default_config_static_selectorELNS0_4arch9wavefront6targetE0EEEvS12_ ; -- Begin function _ZN7rocprim17ROCPRIM_400000_NS6detail17trampoline_kernelINS0_13select_configILj256ELj13ELNS0_17block_load_methodE3ELS4_3ELS4_3ELNS0_20block_scan_algorithmE0ELj4294967295EEENS1_25partition_config_selectorILNS1_17partition_subalgoE4EjNS0_10empty_typeEbEEZZNS1_14partition_implILS8_4ELb0ES6_15HIP_vector_typeIjLj2EENS0_17counting_iteratorIjlEEPS9_SG_NS0_5tupleIJPjSI_NS0_16reverse_iteratorISI_EEEEENSH_IJSG_SG_SG_EEES9_SI_JZNS1_25segmented_radix_sort_implINS0_14default_configELb1EPKfPfPKlPlN2at6native12_GLOBAL__N_18offset_tEEE10hipError_tPvRmT1_PNSt15iterator_traitsIS12_E10value_typeET2_T3_PNS13_IS18_E10value_typeET4_jRbjT5_S1E_jjP12ihipStream_tbEUljE_ZNSN_ISO_Lb1ESQ_SR_ST_SU_SY_EESZ_S10_S11_S12_S16_S17_S18_S1B_S1C_jS1D_jS1E_S1E_jjS1G_bEUljE0_EEESZ_S10_S11_S18_S1C_S1E_T6_T7_T9_mT8_S1G_bDpT10_ENKUlT_T0_E_clISt17integral_constantIbLb1EES1T_IbLb0EEEEDaS1P_S1Q_EUlS1P_E_NS1_11comp_targetILNS1_3genE5ELNS1_11target_archE942ELNS1_3gpuE9ELNS1_3repE0EEENS1_30default_config_static_selectorELNS0_4arch9wavefront6targetE0EEEvS12_
	.p2align	8
	.type	_ZN7rocprim17ROCPRIM_400000_NS6detail17trampoline_kernelINS0_13select_configILj256ELj13ELNS0_17block_load_methodE3ELS4_3ELS4_3ELNS0_20block_scan_algorithmE0ELj4294967295EEENS1_25partition_config_selectorILNS1_17partition_subalgoE4EjNS0_10empty_typeEbEEZZNS1_14partition_implILS8_4ELb0ES6_15HIP_vector_typeIjLj2EENS0_17counting_iteratorIjlEEPS9_SG_NS0_5tupleIJPjSI_NS0_16reverse_iteratorISI_EEEEENSH_IJSG_SG_SG_EEES9_SI_JZNS1_25segmented_radix_sort_implINS0_14default_configELb1EPKfPfPKlPlN2at6native12_GLOBAL__N_18offset_tEEE10hipError_tPvRmT1_PNSt15iterator_traitsIS12_E10value_typeET2_T3_PNS13_IS18_E10value_typeET4_jRbjT5_S1E_jjP12ihipStream_tbEUljE_ZNSN_ISO_Lb1ESQ_SR_ST_SU_SY_EESZ_S10_S11_S12_S16_S17_S18_S1B_S1C_jS1D_jS1E_S1E_jjS1G_bEUljE0_EEESZ_S10_S11_S18_S1C_S1E_T6_T7_T9_mT8_S1G_bDpT10_ENKUlT_T0_E_clISt17integral_constantIbLb1EES1T_IbLb0EEEEDaS1P_S1Q_EUlS1P_E_NS1_11comp_targetILNS1_3genE5ELNS1_11target_archE942ELNS1_3gpuE9ELNS1_3repE0EEENS1_30default_config_static_selectorELNS0_4arch9wavefront6targetE0EEEvS12_,@function
_ZN7rocprim17ROCPRIM_400000_NS6detail17trampoline_kernelINS0_13select_configILj256ELj13ELNS0_17block_load_methodE3ELS4_3ELS4_3ELNS0_20block_scan_algorithmE0ELj4294967295EEENS1_25partition_config_selectorILNS1_17partition_subalgoE4EjNS0_10empty_typeEbEEZZNS1_14partition_implILS8_4ELb0ES6_15HIP_vector_typeIjLj2EENS0_17counting_iteratorIjlEEPS9_SG_NS0_5tupleIJPjSI_NS0_16reverse_iteratorISI_EEEEENSH_IJSG_SG_SG_EEES9_SI_JZNS1_25segmented_radix_sort_implINS0_14default_configELb1EPKfPfPKlPlN2at6native12_GLOBAL__N_18offset_tEEE10hipError_tPvRmT1_PNSt15iterator_traitsIS12_E10value_typeET2_T3_PNS13_IS18_E10value_typeET4_jRbjT5_S1E_jjP12ihipStream_tbEUljE_ZNSN_ISO_Lb1ESQ_SR_ST_SU_SY_EESZ_S10_S11_S12_S16_S17_S18_S1B_S1C_jS1D_jS1E_S1E_jjS1G_bEUljE0_EEESZ_S10_S11_S18_S1C_S1E_T6_T7_T9_mT8_S1G_bDpT10_ENKUlT_T0_E_clISt17integral_constantIbLb1EES1T_IbLb0EEEEDaS1P_S1Q_EUlS1P_E_NS1_11comp_targetILNS1_3genE5ELNS1_11target_archE942ELNS1_3gpuE9ELNS1_3repE0EEENS1_30default_config_static_selectorELNS0_4arch9wavefront6targetE0EEEvS12_: ; @_ZN7rocprim17ROCPRIM_400000_NS6detail17trampoline_kernelINS0_13select_configILj256ELj13ELNS0_17block_load_methodE3ELS4_3ELS4_3ELNS0_20block_scan_algorithmE0ELj4294967295EEENS1_25partition_config_selectorILNS1_17partition_subalgoE4EjNS0_10empty_typeEbEEZZNS1_14partition_implILS8_4ELb0ES6_15HIP_vector_typeIjLj2EENS0_17counting_iteratorIjlEEPS9_SG_NS0_5tupleIJPjSI_NS0_16reverse_iteratorISI_EEEEENSH_IJSG_SG_SG_EEES9_SI_JZNS1_25segmented_radix_sort_implINS0_14default_configELb1EPKfPfPKlPlN2at6native12_GLOBAL__N_18offset_tEEE10hipError_tPvRmT1_PNSt15iterator_traitsIS12_E10value_typeET2_T3_PNS13_IS18_E10value_typeET4_jRbjT5_S1E_jjP12ihipStream_tbEUljE_ZNSN_ISO_Lb1ESQ_SR_ST_SU_SY_EESZ_S10_S11_S12_S16_S17_S18_S1B_S1C_jS1D_jS1E_S1E_jjS1G_bEUljE0_EEESZ_S10_S11_S18_S1C_S1E_T6_T7_T9_mT8_S1G_bDpT10_ENKUlT_T0_E_clISt17integral_constantIbLb1EES1T_IbLb0EEEEDaS1P_S1Q_EUlS1P_E_NS1_11comp_targetILNS1_3genE5ELNS1_11target_archE942ELNS1_3gpuE9ELNS1_3repE0EEENS1_30default_config_static_selectorELNS0_4arch9wavefront6targetE0EEEvS12_
; %bb.0:
	.section	.rodata,"a",@progbits
	.p2align	6, 0x0
	.amdhsa_kernel _ZN7rocprim17ROCPRIM_400000_NS6detail17trampoline_kernelINS0_13select_configILj256ELj13ELNS0_17block_load_methodE3ELS4_3ELS4_3ELNS0_20block_scan_algorithmE0ELj4294967295EEENS1_25partition_config_selectorILNS1_17partition_subalgoE4EjNS0_10empty_typeEbEEZZNS1_14partition_implILS8_4ELb0ES6_15HIP_vector_typeIjLj2EENS0_17counting_iteratorIjlEEPS9_SG_NS0_5tupleIJPjSI_NS0_16reverse_iteratorISI_EEEEENSH_IJSG_SG_SG_EEES9_SI_JZNS1_25segmented_radix_sort_implINS0_14default_configELb1EPKfPfPKlPlN2at6native12_GLOBAL__N_18offset_tEEE10hipError_tPvRmT1_PNSt15iterator_traitsIS12_E10value_typeET2_T3_PNS13_IS18_E10value_typeET4_jRbjT5_S1E_jjP12ihipStream_tbEUljE_ZNSN_ISO_Lb1ESQ_SR_ST_SU_SY_EESZ_S10_S11_S12_S16_S17_S18_S1B_S1C_jS1D_jS1E_S1E_jjS1G_bEUljE0_EEESZ_S10_S11_S18_S1C_S1E_T6_T7_T9_mT8_S1G_bDpT10_ENKUlT_T0_E_clISt17integral_constantIbLb1EES1T_IbLb0EEEEDaS1P_S1Q_EUlS1P_E_NS1_11comp_targetILNS1_3genE5ELNS1_11target_archE942ELNS1_3gpuE9ELNS1_3repE0EEENS1_30default_config_static_selectorELNS0_4arch9wavefront6targetE0EEEvS12_
		.amdhsa_group_segment_fixed_size 0
		.amdhsa_private_segment_fixed_size 0
		.amdhsa_kernarg_size 176
		.amdhsa_user_sgpr_count 15
		.amdhsa_user_sgpr_dispatch_ptr 0
		.amdhsa_user_sgpr_queue_ptr 0
		.amdhsa_user_sgpr_kernarg_segment_ptr 1
		.amdhsa_user_sgpr_dispatch_id 0
		.amdhsa_user_sgpr_private_segment_size 0
		.amdhsa_wavefront_size32 1
		.amdhsa_uses_dynamic_stack 0
		.amdhsa_enable_private_segment 0
		.amdhsa_system_sgpr_workgroup_id_x 1
		.amdhsa_system_sgpr_workgroup_id_y 0
		.amdhsa_system_sgpr_workgroup_id_z 0
		.amdhsa_system_sgpr_workgroup_info 0
		.amdhsa_system_vgpr_workitem_id 0
		.amdhsa_next_free_vgpr 1
		.amdhsa_next_free_sgpr 1
		.amdhsa_reserve_vcc 0
		.amdhsa_float_round_mode_32 0
		.amdhsa_float_round_mode_16_64 0
		.amdhsa_float_denorm_mode_32 3
		.amdhsa_float_denorm_mode_16_64 3
		.amdhsa_dx10_clamp 1
		.amdhsa_ieee_mode 1
		.amdhsa_fp16_overflow 0
		.amdhsa_workgroup_processor_mode 1
		.amdhsa_memory_ordered 1
		.amdhsa_forward_progress 0
		.amdhsa_shared_vgpr_count 0
		.amdhsa_exception_fp_ieee_invalid_op 0
		.amdhsa_exception_fp_denorm_src 0
		.amdhsa_exception_fp_ieee_div_zero 0
		.amdhsa_exception_fp_ieee_overflow 0
		.amdhsa_exception_fp_ieee_underflow 0
		.amdhsa_exception_fp_ieee_inexact 0
		.amdhsa_exception_int_div_zero 0
	.end_amdhsa_kernel
	.section	.text._ZN7rocprim17ROCPRIM_400000_NS6detail17trampoline_kernelINS0_13select_configILj256ELj13ELNS0_17block_load_methodE3ELS4_3ELS4_3ELNS0_20block_scan_algorithmE0ELj4294967295EEENS1_25partition_config_selectorILNS1_17partition_subalgoE4EjNS0_10empty_typeEbEEZZNS1_14partition_implILS8_4ELb0ES6_15HIP_vector_typeIjLj2EENS0_17counting_iteratorIjlEEPS9_SG_NS0_5tupleIJPjSI_NS0_16reverse_iteratorISI_EEEEENSH_IJSG_SG_SG_EEES9_SI_JZNS1_25segmented_radix_sort_implINS0_14default_configELb1EPKfPfPKlPlN2at6native12_GLOBAL__N_18offset_tEEE10hipError_tPvRmT1_PNSt15iterator_traitsIS12_E10value_typeET2_T3_PNS13_IS18_E10value_typeET4_jRbjT5_S1E_jjP12ihipStream_tbEUljE_ZNSN_ISO_Lb1ESQ_SR_ST_SU_SY_EESZ_S10_S11_S12_S16_S17_S18_S1B_S1C_jS1D_jS1E_S1E_jjS1G_bEUljE0_EEESZ_S10_S11_S18_S1C_S1E_T6_T7_T9_mT8_S1G_bDpT10_ENKUlT_T0_E_clISt17integral_constantIbLb1EES1T_IbLb0EEEEDaS1P_S1Q_EUlS1P_E_NS1_11comp_targetILNS1_3genE5ELNS1_11target_archE942ELNS1_3gpuE9ELNS1_3repE0EEENS1_30default_config_static_selectorELNS0_4arch9wavefront6targetE0EEEvS12_,"axG",@progbits,_ZN7rocprim17ROCPRIM_400000_NS6detail17trampoline_kernelINS0_13select_configILj256ELj13ELNS0_17block_load_methodE3ELS4_3ELS4_3ELNS0_20block_scan_algorithmE0ELj4294967295EEENS1_25partition_config_selectorILNS1_17partition_subalgoE4EjNS0_10empty_typeEbEEZZNS1_14partition_implILS8_4ELb0ES6_15HIP_vector_typeIjLj2EENS0_17counting_iteratorIjlEEPS9_SG_NS0_5tupleIJPjSI_NS0_16reverse_iteratorISI_EEEEENSH_IJSG_SG_SG_EEES9_SI_JZNS1_25segmented_radix_sort_implINS0_14default_configELb1EPKfPfPKlPlN2at6native12_GLOBAL__N_18offset_tEEE10hipError_tPvRmT1_PNSt15iterator_traitsIS12_E10value_typeET2_T3_PNS13_IS18_E10value_typeET4_jRbjT5_S1E_jjP12ihipStream_tbEUljE_ZNSN_ISO_Lb1ESQ_SR_ST_SU_SY_EESZ_S10_S11_S12_S16_S17_S18_S1B_S1C_jS1D_jS1E_S1E_jjS1G_bEUljE0_EEESZ_S10_S11_S18_S1C_S1E_T6_T7_T9_mT8_S1G_bDpT10_ENKUlT_T0_E_clISt17integral_constantIbLb1EES1T_IbLb0EEEEDaS1P_S1Q_EUlS1P_E_NS1_11comp_targetILNS1_3genE5ELNS1_11target_archE942ELNS1_3gpuE9ELNS1_3repE0EEENS1_30default_config_static_selectorELNS0_4arch9wavefront6targetE0EEEvS12_,comdat
.Lfunc_end1278:
	.size	_ZN7rocprim17ROCPRIM_400000_NS6detail17trampoline_kernelINS0_13select_configILj256ELj13ELNS0_17block_load_methodE3ELS4_3ELS4_3ELNS0_20block_scan_algorithmE0ELj4294967295EEENS1_25partition_config_selectorILNS1_17partition_subalgoE4EjNS0_10empty_typeEbEEZZNS1_14partition_implILS8_4ELb0ES6_15HIP_vector_typeIjLj2EENS0_17counting_iteratorIjlEEPS9_SG_NS0_5tupleIJPjSI_NS0_16reverse_iteratorISI_EEEEENSH_IJSG_SG_SG_EEES9_SI_JZNS1_25segmented_radix_sort_implINS0_14default_configELb1EPKfPfPKlPlN2at6native12_GLOBAL__N_18offset_tEEE10hipError_tPvRmT1_PNSt15iterator_traitsIS12_E10value_typeET2_T3_PNS13_IS18_E10value_typeET4_jRbjT5_S1E_jjP12ihipStream_tbEUljE_ZNSN_ISO_Lb1ESQ_SR_ST_SU_SY_EESZ_S10_S11_S12_S16_S17_S18_S1B_S1C_jS1D_jS1E_S1E_jjS1G_bEUljE0_EEESZ_S10_S11_S18_S1C_S1E_T6_T7_T9_mT8_S1G_bDpT10_ENKUlT_T0_E_clISt17integral_constantIbLb1EES1T_IbLb0EEEEDaS1P_S1Q_EUlS1P_E_NS1_11comp_targetILNS1_3genE5ELNS1_11target_archE942ELNS1_3gpuE9ELNS1_3repE0EEENS1_30default_config_static_selectorELNS0_4arch9wavefront6targetE0EEEvS12_, .Lfunc_end1278-_ZN7rocprim17ROCPRIM_400000_NS6detail17trampoline_kernelINS0_13select_configILj256ELj13ELNS0_17block_load_methodE3ELS4_3ELS4_3ELNS0_20block_scan_algorithmE0ELj4294967295EEENS1_25partition_config_selectorILNS1_17partition_subalgoE4EjNS0_10empty_typeEbEEZZNS1_14partition_implILS8_4ELb0ES6_15HIP_vector_typeIjLj2EENS0_17counting_iteratorIjlEEPS9_SG_NS0_5tupleIJPjSI_NS0_16reverse_iteratorISI_EEEEENSH_IJSG_SG_SG_EEES9_SI_JZNS1_25segmented_radix_sort_implINS0_14default_configELb1EPKfPfPKlPlN2at6native12_GLOBAL__N_18offset_tEEE10hipError_tPvRmT1_PNSt15iterator_traitsIS12_E10value_typeET2_T3_PNS13_IS18_E10value_typeET4_jRbjT5_S1E_jjP12ihipStream_tbEUljE_ZNSN_ISO_Lb1ESQ_SR_ST_SU_SY_EESZ_S10_S11_S12_S16_S17_S18_S1B_S1C_jS1D_jS1E_S1E_jjS1G_bEUljE0_EEESZ_S10_S11_S18_S1C_S1E_T6_T7_T9_mT8_S1G_bDpT10_ENKUlT_T0_E_clISt17integral_constantIbLb1EES1T_IbLb0EEEEDaS1P_S1Q_EUlS1P_E_NS1_11comp_targetILNS1_3genE5ELNS1_11target_archE942ELNS1_3gpuE9ELNS1_3repE0EEENS1_30default_config_static_selectorELNS0_4arch9wavefront6targetE0EEEvS12_
                                        ; -- End function
	.section	.AMDGPU.csdata,"",@progbits
; Kernel info:
; codeLenInByte = 0
; NumSgprs: 0
; NumVgprs: 0
; ScratchSize: 0
; MemoryBound: 0
; FloatMode: 240
; IeeeMode: 1
; LDSByteSize: 0 bytes/workgroup (compile time only)
; SGPRBlocks: 0
; VGPRBlocks: 0
; NumSGPRsForWavesPerEU: 1
; NumVGPRsForWavesPerEU: 1
; Occupancy: 16
; WaveLimiterHint : 0
; COMPUTE_PGM_RSRC2:SCRATCH_EN: 0
; COMPUTE_PGM_RSRC2:USER_SGPR: 15
; COMPUTE_PGM_RSRC2:TRAP_HANDLER: 0
; COMPUTE_PGM_RSRC2:TGID_X_EN: 1
; COMPUTE_PGM_RSRC2:TGID_Y_EN: 0
; COMPUTE_PGM_RSRC2:TGID_Z_EN: 0
; COMPUTE_PGM_RSRC2:TIDIG_COMP_CNT: 0
	.section	.text._ZN7rocprim17ROCPRIM_400000_NS6detail17trampoline_kernelINS0_13select_configILj256ELj13ELNS0_17block_load_methodE3ELS4_3ELS4_3ELNS0_20block_scan_algorithmE0ELj4294967295EEENS1_25partition_config_selectorILNS1_17partition_subalgoE4EjNS0_10empty_typeEbEEZZNS1_14partition_implILS8_4ELb0ES6_15HIP_vector_typeIjLj2EENS0_17counting_iteratorIjlEEPS9_SG_NS0_5tupleIJPjSI_NS0_16reverse_iteratorISI_EEEEENSH_IJSG_SG_SG_EEES9_SI_JZNS1_25segmented_radix_sort_implINS0_14default_configELb1EPKfPfPKlPlN2at6native12_GLOBAL__N_18offset_tEEE10hipError_tPvRmT1_PNSt15iterator_traitsIS12_E10value_typeET2_T3_PNS13_IS18_E10value_typeET4_jRbjT5_S1E_jjP12ihipStream_tbEUljE_ZNSN_ISO_Lb1ESQ_SR_ST_SU_SY_EESZ_S10_S11_S12_S16_S17_S18_S1B_S1C_jS1D_jS1E_S1E_jjS1G_bEUljE0_EEESZ_S10_S11_S18_S1C_S1E_T6_T7_T9_mT8_S1G_bDpT10_ENKUlT_T0_E_clISt17integral_constantIbLb1EES1T_IbLb0EEEEDaS1P_S1Q_EUlS1P_E_NS1_11comp_targetILNS1_3genE4ELNS1_11target_archE910ELNS1_3gpuE8ELNS1_3repE0EEENS1_30default_config_static_selectorELNS0_4arch9wavefront6targetE0EEEvS12_,"axG",@progbits,_ZN7rocprim17ROCPRIM_400000_NS6detail17trampoline_kernelINS0_13select_configILj256ELj13ELNS0_17block_load_methodE3ELS4_3ELS4_3ELNS0_20block_scan_algorithmE0ELj4294967295EEENS1_25partition_config_selectorILNS1_17partition_subalgoE4EjNS0_10empty_typeEbEEZZNS1_14partition_implILS8_4ELb0ES6_15HIP_vector_typeIjLj2EENS0_17counting_iteratorIjlEEPS9_SG_NS0_5tupleIJPjSI_NS0_16reverse_iteratorISI_EEEEENSH_IJSG_SG_SG_EEES9_SI_JZNS1_25segmented_radix_sort_implINS0_14default_configELb1EPKfPfPKlPlN2at6native12_GLOBAL__N_18offset_tEEE10hipError_tPvRmT1_PNSt15iterator_traitsIS12_E10value_typeET2_T3_PNS13_IS18_E10value_typeET4_jRbjT5_S1E_jjP12ihipStream_tbEUljE_ZNSN_ISO_Lb1ESQ_SR_ST_SU_SY_EESZ_S10_S11_S12_S16_S17_S18_S1B_S1C_jS1D_jS1E_S1E_jjS1G_bEUljE0_EEESZ_S10_S11_S18_S1C_S1E_T6_T7_T9_mT8_S1G_bDpT10_ENKUlT_T0_E_clISt17integral_constantIbLb1EES1T_IbLb0EEEEDaS1P_S1Q_EUlS1P_E_NS1_11comp_targetILNS1_3genE4ELNS1_11target_archE910ELNS1_3gpuE8ELNS1_3repE0EEENS1_30default_config_static_selectorELNS0_4arch9wavefront6targetE0EEEvS12_,comdat
	.globl	_ZN7rocprim17ROCPRIM_400000_NS6detail17trampoline_kernelINS0_13select_configILj256ELj13ELNS0_17block_load_methodE3ELS4_3ELS4_3ELNS0_20block_scan_algorithmE0ELj4294967295EEENS1_25partition_config_selectorILNS1_17partition_subalgoE4EjNS0_10empty_typeEbEEZZNS1_14partition_implILS8_4ELb0ES6_15HIP_vector_typeIjLj2EENS0_17counting_iteratorIjlEEPS9_SG_NS0_5tupleIJPjSI_NS0_16reverse_iteratorISI_EEEEENSH_IJSG_SG_SG_EEES9_SI_JZNS1_25segmented_radix_sort_implINS0_14default_configELb1EPKfPfPKlPlN2at6native12_GLOBAL__N_18offset_tEEE10hipError_tPvRmT1_PNSt15iterator_traitsIS12_E10value_typeET2_T3_PNS13_IS18_E10value_typeET4_jRbjT5_S1E_jjP12ihipStream_tbEUljE_ZNSN_ISO_Lb1ESQ_SR_ST_SU_SY_EESZ_S10_S11_S12_S16_S17_S18_S1B_S1C_jS1D_jS1E_S1E_jjS1G_bEUljE0_EEESZ_S10_S11_S18_S1C_S1E_T6_T7_T9_mT8_S1G_bDpT10_ENKUlT_T0_E_clISt17integral_constantIbLb1EES1T_IbLb0EEEEDaS1P_S1Q_EUlS1P_E_NS1_11comp_targetILNS1_3genE4ELNS1_11target_archE910ELNS1_3gpuE8ELNS1_3repE0EEENS1_30default_config_static_selectorELNS0_4arch9wavefront6targetE0EEEvS12_ ; -- Begin function _ZN7rocprim17ROCPRIM_400000_NS6detail17trampoline_kernelINS0_13select_configILj256ELj13ELNS0_17block_load_methodE3ELS4_3ELS4_3ELNS0_20block_scan_algorithmE0ELj4294967295EEENS1_25partition_config_selectorILNS1_17partition_subalgoE4EjNS0_10empty_typeEbEEZZNS1_14partition_implILS8_4ELb0ES6_15HIP_vector_typeIjLj2EENS0_17counting_iteratorIjlEEPS9_SG_NS0_5tupleIJPjSI_NS0_16reverse_iteratorISI_EEEEENSH_IJSG_SG_SG_EEES9_SI_JZNS1_25segmented_radix_sort_implINS0_14default_configELb1EPKfPfPKlPlN2at6native12_GLOBAL__N_18offset_tEEE10hipError_tPvRmT1_PNSt15iterator_traitsIS12_E10value_typeET2_T3_PNS13_IS18_E10value_typeET4_jRbjT5_S1E_jjP12ihipStream_tbEUljE_ZNSN_ISO_Lb1ESQ_SR_ST_SU_SY_EESZ_S10_S11_S12_S16_S17_S18_S1B_S1C_jS1D_jS1E_S1E_jjS1G_bEUljE0_EEESZ_S10_S11_S18_S1C_S1E_T6_T7_T9_mT8_S1G_bDpT10_ENKUlT_T0_E_clISt17integral_constantIbLb1EES1T_IbLb0EEEEDaS1P_S1Q_EUlS1P_E_NS1_11comp_targetILNS1_3genE4ELNS1_11target_archE910ELNS1_3gpuE8ELNS1_3repE0EEENS1_30default_config_static_selectorELNS0_4arch9wavefront6targetE0EEEvS12_
	.p2align	8
	.type	_ZN7rocprim17ROCPRIM_400000_NS6detail17trampoline_kernelINS0_13select_configILj256ELj13ELNS0_17block_load_methodE3ELS4_3ELS4_3ELNS0_20block_scan_algorithmE0ELj4294967295EEENS1_25partition_config_selectorILNS1_17partition_subalgoE4EjNS0_10empty_typeEbEEZZNS1_14partition_implILS8_4ELb0ES6_15HIP_vector_typeIjLj2EENS0_17counting_iteratorIjlEEPS9_SG_NS0_5tupleIJPjSI_NS0_16reverse_iteratorISI_EEEEENSH_IJSG_SG_SG_EEES9_SI_JZNS1_25segmented_radix_sort_implINS0_14default_configELb1EPKfPfPKlPlN2at6native12_GLOBAL__N_18offset_tEEE10hipError_tPvRmT1_PNSt15iterator_traitsIS12_E10value_typeET2_T3_PNS13_IS18_E10value_typeET4_jRbjT5_S1E_jjP12ihipStream_tbEUljE_ZNSN_ISO_Lb1ESQ_SR_ST_SU_SY_EESZ_S10_S11_S12_S16_S17_S18_S1B_S1C_jS1D_jS1E_S1E_jjS1G_bEUljE0_EEESZ_S10_S11_S18_S1C_S1E_T6_T7_T9_mT8_S1G_bDpT10_ENKUlT_T0_E_clISt17integral_constantIbLb1EES1T_IbLb0EEEEDaS1P_S1Q_EUlS1P_E_NS1_11comp_targetILNS1_3genE4ELNS1_11target_archE910ELNS1_3gpuE8ELNS1_3repE0EEENS1_30default_config_static_selectorELNS0_4arch9wavefront6targetE0EEEvS12_,@function
_ZN7rocprim17ROCPRIM_400000_NS6detail17trampoline_kernelINS0_13select_configILj256ELj13ELNS0_17block_load_methodE3ELS4_3ELS4_3ELNS0_20block_scan_algorithmE0ELj4294967295EEENS1_25partition_config_selectorILNS1_17partition_subalgoE4EjNS0_10empty_typeEbEEZZNS1_14partition_implILS8_4ELb0ES6_15HIP_vector_typeIjLj2EENS0_17counting_iteratorIjlEEPS9_SG_NS0_5tupleIJPjSI_NS0_16reverse_iteratorISI_EEEEENSH_IJSG_SG_SG_EEES9_SI_JZNS1_25segmented_radix_sort_implINS0_14default_configELb1EPKfPfPKlPlN2at6native12_GLOBAL__N_18offset_tEEE10hipError_tPvRmT1_PNSt15iterator_traitsIS12_E10value_typeET2_T3_PNS13_IS18_E10value_typeET4_jRbjT5_S1E_jjP12ihipStream_tbEUljE_ZNSN_ISO_Lb1ESQ_SR_ST_SU_SY_EESZ_S10_S11_S12_S16_S17_S18_S1B_S1C_jS1D_jS1E_S1E_jjS1G_bEUljE0_EEESZ_S10_S11_S18_S1C_S1E_T6_T7_T9_mT8_S1G_bDpT10_ENKUlT_T0_E_clISt17integral_constantIbLb1EES1T_IbLb0EEEEDaS1P_S1Q_EUlS1P_E_NS1_11comp_targetILNS1_3genE4ELNS1_11target_archE910ELNS1_3gpuE8ELNS1_3repE0EEENS1_30default_config_static_selectorELNS0_4arch9wavefront6targetE0EEEvS12_: ; @_ZN7rocprim17ROCPRIM_400000_NS6detail17trampoline_kernelINS0_13select_configILj256ELj13ELNS0_17block_load_methodE3ELS4_3ELS4_3ELNS0_20block_scan_algorithmE0ELj4294967295EEENS1_25partition_config_selectorILNS1_17partition_subalgoE4EjNS0_10empty_typeEbEEZZNS1_14partition_implILS8_4ELb0ES6_15HIP_vector_typeIjLj2EENS0_17counting_iteratorIjlEEPS9_SG_NS0_5tupleIJPjSI_NS0_16reverse_iteratorISI_EEEEENSH_IJSG_SG_SG_EEES9_SI_JZNS1_25segmented_radix_sort_implINS0_14default_configELb1EPKfPfPKlPlN2at6native12_GLOBAL__N_18offset_tEEE10hipError_tPvRmT1_PNSt15iterator_traitsIS12_E10value_typeET2_T3_PNS13_IS18_E10value_typeET4_jRbjT5_S1E_jjP12ihipStream_tbEUljE_ZNSN_ISO_Lb1ESQ_SR_ST_SU_SY_EESZ_S10_S11_S12_S16_S17_S18_S1B_S1C_jS1D_jS1E_S1E_jjS1G_bEUljE0_EEESZ_S10_S11_S18_S1C_S1E_T6_T7_T9_mT8_S1G_bDpT10_ENKUlT_T0_E_clISt17integral_constantIbLb1EES1T_IbLb0EEEEDaS1P_S1Q_EUlS1P_E_NS1_11comp_targetILNS1_3genE4ELNS1_11target_archE910ELNS1_3gpuE8ELNS1_3repE0EEENS1_30default_config_static_selectorELNS0_4arch9wavefront6targetE0EEEvS12_
; %bb.0:
	.section	.rodata,"a",@progbits
	.p2align	6, 0x0
	.amdhsa_kernel _ZN7rocprim17ROCPRIM_400000_NS6detail17trampoline_kernelINS0_13select_configILj256ELj13ELNS0_17block_load_methodE3ELS4_3ELS4_3ELNS0_20block_scan_algorithmE0ELj4294967295EEENS1_25partition_config_selectorILNS1_17partition_subalgoE4EjNS0_10empty_typeEbEEZZNS1_14partition_implILS8_4ELb0ES6_15HIP_vector_typeIjLj2EENS0_17counting_iteratorIjlEEPS9_SG_NS0_5tupleIJPjSI_NS0_16reverse_iteratorISI_EEEEENSH_IJSG_SG_SG_EEES9_SI_JZNS1_25segmented_radix_sort_implINS0_14default_configELb1EPKfPfPKlPlN2at6native12_GLOBAL__N_18offset_tEEE10hipError_tPvRmT1_PNSt15iterator_traitsIS12_E10value_typeET2_T3_PNS13_IS18_E10value_typeET4_jRbjT5_S1E_jjP12ihipStream_tbEUljE_ZNSN_ISO_Lb1ESQ_SR_ST_SU_SY_EESZ_S10_S11_S12_S16_S17_S18_S1B_S1C_jS1D_jS1E_S1E_jjS1G_bEUljE0_EEESZ_S10_S11_S18_S1C_S1E_T6_T7_T9_mT8_S1G_bDpT10_ENKUlT_T0_E_clISt17integral_constantIbLb1EES1T_IbLb0EEEEDaS1P_S1Q_EUlS1P_E_NS1_11comp_targetILNS1_3genE4ELNS1_11target_archE910ELNS1_3gpuE8ELNS1_3repE0EEENS1_30default_config_static_selectorELNS0_4arch9wavefront6targetE0EEEvS12_
		.amdhsa_group_segment_fixed_size 0
		.amdhsa_private_segment_fixed_size 0
		.amdhsa_kernarg_size 176
		.amdhsa_user_sgpr_count 15
		.amdhsa_user_sgpr_dispatch_ptr 0
		.amdhsa_user_sgpr_queue_ptr 0
		.amdhsa_user_sgpr_kernarg_segment_ptr 1
		.amdhsa_user_sgpr_dispatch_id 0
		.amdhsa_user_sgpr_private_segment_size 0
		.amdhsa_wavefront_size32 1
		.amdhsa_uses_dynamic_stack 0
		.amdhsa_enable_private_segment 0
		.amdhsa_system_sgpr_workgroup_id_x 1
		.amdhsa_system_sgpr_workgroup_id_y 0
		.amdhsa_system_sgpr_workgroup_id_z 0
		.amdhsa_system_sgpr_workgroup_info 0
		.amdhsa_system_vgpr_workitem_id 0
		.amdhsa_next_free_vgpr 1
		.amdhsa_next_free_sgpr 1
		.amdhsa_reserve_vcc 0
		.amdhsa_float_round_mode_32 0
		.amdhsa_float_round_mode_16_64 0
		.amdhsa_float_denorm_mode_32 3
		.amdhsa_float_denorm_mode_16_64 3
		.amdhsa_dx10_clamp 1
		.amdhsa_ieee_mode 1
		.amdhsa_fp16_overflow 0
		.amdhsa_workgroup_processor_mode 1
		.amdhsa_memory_ordered 1
		.amdhsa_forward_progress 0
		.amdhsa_shared_vgpr_count 0
		.amdhsa_exception_fp_ieee_invalid_op 0
		.amdhsa_exception_fp_denorm_src 0
		.amdhsa_exception_fp_ieee_div_zero 0
		.amdhsa_exception_fp_ieee_overflow 0
		.amdhsa_exception_fp_ieee_underflow 0
		.amdhsa_exception_fp_ieee_inexact 0
		.amdhsa_exception_int_div_zero 0
	.end_amdhsa_kernel
	.section	.text._ZN7rocprim17ROCPRIM_400000_NS6detail17trampoline_kernelINS0_13select_configILj256ELj13ELNS0_17block_load_methodE3ELS4_3ELS4_3ELNS0_20block_scan_algorithmE0ELj4294967295EEENS1_25partition_config_selectorILNS1_17partition_subalgoE4EjNS0_10empty_typeEbEEZZNS1_14partition_implILS8_4ELb0ES6_15HIP_vector_typeIjLj2EENS0_17counting_iteratorIjlEEPS9_SG_NS0_5tupleIJPjSI_NS0_16reverse_iteratorISI_EEEEENSH_IJSG_SG_SG_EEES9_SI_JZNS1_25segmented_radix_sort_implINS0_14default_configELb1EPKfPfPKlPlN2at6native12_GLOBAL__N_18offset_tEEE10hipError_tPvRmT1_PNSt15iterator_traitsIS12_E10value_typeET2_T3_PNS13_IS18_E10value_typeET4_jRbjT5_S1E_jjP12ihipStream_tbEUljE_ZNSN_ISO_Lb1ESQ_SR_ST_SU_SY_EESZ_S10_S11_S12_S16_S17_S18_S1B_S1C_jS1D_jS1E_S1E_jjS1G_bEUljE0_EEESZ_S10_S11_S18_S1C_S1E_T6_T7_T9_mT8_S1G_bDpT10_ENKUlT_T0_E_clISt17integral_constantIbLb1EES1T_IbLb0EEEEDaS1P_S1Q_EUlS1P_E_NS1_11comp_targetILNS1_3genE4ELNS1_11target_archE910ELNS1_3gpuE8ELNS1_3repE0EEENS1_30default_config_static_selectorELNS0_4arch9wavefront6targetE0EEEvS12_,"axG",@progbits,_ZN7rocprim17ROCPRIM_400000_NS6detail17trampoline_kernelINS0_13select_configILj256ELj13ELNS0_17block_load_methodE3ELS4_3ELS4_3ELNS0_20block_scan_algorithmE0ELj4294967295EEENS1_25partition_config_selectorILNS1_17partition_subalgoE4EjNS0_10empty_typeEbEEZZNS1_14partition_implILS8_4ELb0ES6_15HIP_vector_typeIjLj2EENS0_17counting_iteratorIjlEEPS9_SG_NS0_5tupleIJPjSI_NS0_16reverse_iteratorISI_EEEEENSH_IJSG_SG_SG_EEES9_SI_JZNS1_25segmented_radix_sort_implINS0_14default_configELb1EPKfPfPKlPlN2at6native12_GLOBAL__N_18offset_tEEE10hipError_tPvRmT1_PNSt15iterator_traitsIS12_E10value_typeET2_T3_PNS13_IS18_E10value_typeET4_jRbjT5_S1E_jjP12ihipStream_tbEUljE_ZNSN_ISO_Lb1ESQ_SR_ST_SU_SY_EESZ_S10_S11_S12_S16_S17_S18_S1B_S1C_jS1D_jS1E_S1E_jjS1G_bEUljE0_EEESZ_S10_S11_S18_S1C_S1E_T6_T7_T9_mT8_S1G_bDpT10_ENKUlT_T0_E_clISt17integral_constantIbLb1EES1T_IbLb0EEEEDaS1P_S1Q_EUlS1P_E_NS1_11comp_targetILNS1_3genE4ELNS1_11target_archE910ELNS1_3gpuE8ELNS1_3repE0EEENS1_30default_config_static_selectorELNS0_4arch9wavefront6targetE0EEEvS12_,comdat
.Lfunc_end1279:
	.size	_ZN7rocprim17ROCPRIM_400000_NS6detail17trampoline_kernelINS0_13select_configILj256ELj13ELNS0_17block_load_methodE3ELS4_3ELS4_3ELNS0_20block_scan_algorithmE0ELj4294967295EEENS1_25partition_config_selectorILNS1_17partition_subalgoE4EjNS0_10empty_typeEbEEZZNS1_14partition_implILS8_4ELb0ES6_15HIP_vector_typeIjLj2EENS0_17counting_iteratorIjlEEPS9_SG_NS0_5tupleIJPjSI_NS0_16reverse_iteratorISI_EEEEENSH_IJSG_SG_SG_EEES9_SI_JZNS1_25segmented_radix_sort_implINS0_14default_configELb1EPKfPfPKlPlN2at6native12_GLOBAL__N_18offset_tEEE10hipError_tPvRmT1_PNSt15iterator_traitsIS12_E10value_typeET2_T3_PNS13_IS18_E10value_typeET4_jRbjT5_S1E_jjP12ihipStream_tbEUljE_ZNSN_ISO_Lb1ESQ_SR_ST_SU_SY_EESZ_S10_S11_S12_S16_S17_S18_S1B_S1C_jS1D_jS1E_S1E_jjS1G_bEUljE0_EEESZ_S10_S11_S18_S1C_S1E_T6_T7_T9_mT8_S1G_bDpT10_ENKUlT_T0_E_clISt17integral_constantIbLb1EES1T_IbLb0EEEEDaS1P_S1Q_EUlS1P_E_NS1_11comp_targetILNS1_3genE4ELNS1_11target_archE910ELNS1_3gpuE8ELNS1_3repE0EEENS1_30default_config_static_selectorELNS0_4arch9wavefront6targetE0EEEvS12_, .Lfunc_end1279-_ZN7rocprim17ROCPRIM_400000_NS6detail17trampoline_kernelINS0_13select_configILj256ELj13ELNS0_17block_load_methodE3ELS4_3ELS4_3ELNS0_20block_scan_algorithmE0ELj4294967295EEENS1_25partition_config_selectorILNS1_17partition_subalgoE4EjNS0_10empty_typeEbEEZZNS1_14partition_implILS8_4ELb0ES6_15HIP_vector_typeIjLj2EENS0_17counting_iteratorIjlEEPS9_SG_NS0_5tupleIJPjSI_NS0_16reverse_iteratorISI_EEEEENSH_IJSG_SG_SG_EEES9_SI_JZNS1_25segmented_radix_sort_implINS0_14default_configELb1EPKfPfPKlPlN2at6native12_GLOBAL__N_18offset_tEEE10hipError_tPvRmT1_PNSt15iterator_traitsIS12_E10value_typeET2_T3_PNS13_IS18_E10value_typeET4_jRbjT5_S1E_jjP12ihipStream_tbEUljE_ZNSN_ISO_Lb1ESQ_SR_ST_SU_SY_EESZ_S10_S11_S12_S16_S17_S18_S1B_S1C_jS1D_jS1E_S1E_jjS1G_bEUljE0_EEESZ_S10_S11_S18_S1C_S1E_T6_T7_T9_mT8_S1G_bDpT10_ENKUlT_T0_E_clISt17integral_constantIbLb1EES1T_IbLb0EEEEDaS1P_S1Q_EUlS1P_E_NS1_11comp_targetILNS1_3genE4ELNS1_11target_archE910ELNS1_3gpuE8ELNS1_3repE0EEENS1_30default_config_static_selectorELNS0_4arch9wavefront6targetE0EEEvS12_
                                        ; -- End function
	.section	.AMDGPU.csdata,"",@progbits
; Kernel info:
; codeLenInByte = 0
; NumSgprs: 0
; NumVgprs: 0
; ScratchSize: 0
; MemoryBound: 0
; FloatMode: 240
; IeeeMode: 1
; LDSByteSize: 0 bytes/workgroup (compile time only)
; SGPRBlocks: 0
; VGPRBlocks: 0
; NumSGPRsForWavesPerEU: 1
; NumVGPRsForWavesPerEU: 1
; Occupancy: 16
; WaveLimiterHint : 0
; COMPUTE_PGM_RSRC2:SCRATCH_EN: 0
; COMPUTE_PGM_RSRC2:USER_SGPR: 15
; COMPUTE_PGM_RSRC2:TRAP_HANDLER: 0
; COMPUTE_PGM_RSRC2:TGID_X_EN: 1
; COMPUTE_PGM_RSRC2:TGID_Y_EN: 0
; COMPUTE_PGM_RSRC2:TGID_Z_EN: 0
; COMPUTE_PGM_RSRC2:TIDIG_COMP_CNT: 0
	.section	.text._ZN7rocprim17ROCPRIM_400000_NS6detail17trampoline_kernelINS0_13select_configILj256ELj13ELNS0_17block_load_methodE3ELS4_3ELS4_3ELNS0_20block_scan_algorithmE0ELj4294967295EEENS1_25partition_config_selectorILNS1_17partition_subalgoE4EjNS0_10empty_typeEbEEZZNS1_14partition_implILS8_4ELb0ES6_15HIP_vector_typeIjLj2EENS0_17counting_iteratorIjlEEPS9_SG_NS0_5tupleIJPjSI_NS0_16reverse_iteratorISI_EEEEENSH_IJSG_SG_SG_EEES9_SI_JZNS1_25segmented_radix_sort_implINS0_14default_configELb1EPKfPfPKlPlN2at6native12_GLOBAL__N_18offset_tEEE10hipError_tPvRmT1_PNSt15iterator_traitsIS12_E10value_typeET2_T3_PNS13_IS18_E10value_typeET4_jRbjT5_S1E_jjP12ihipStream_tbEUljE_ZNSN_ISO_Lb1ESQ_SR_ST_SU_SY_EESZ_S10_S11_S12_S16_S17_S18_S1B_S1C_jS1D_jS1E_S1E_jjS1G_bEUljE0_EEESZ_S10_S11_S18_S1C_S1E_T6_T7_T9_mT8_S1G_bDpT10_ENKUlT_T0_E_clISt17integral_constantIbLb1EES1T_IbLb0EEEEDaS1P_S1Q_EUlS1P_E_NS1_11comp_targetILNS1_3genE3ELNS1_11target_archE908ELNS1_3gpuE7ELNS1_3repE0EEENS1_30default_config_static_selectorELNS0_4arch9wavefront6targetE0EEEvS12_,"axG",@progbits,_ZN7rocprim17ROCPRIM_400000_NS6detail17trampoline_kernelINS0_13select_configILj256ELj13ELNS0_17block_load_methodE3ELS4_3ELS4_3ELNS0_20block_scan_algorithmE0ELj4294967295EEENS1_25partition_config_selectorILNS1_17partition_subalgoE4EjNS0_10empty_typeEbEEZZNS1_14partition_implILS8_4ELb0ES6_15HIP_vector_typeIjLj2EENS0_17counting_iteratorIjlEEPS9_SG_NS0_5tupleIJPjSI_NS0_16reverse_iteratorISI_EEEEENSH_IJSG_SG_SG_EEES9_SI_JZNS1_25segmented_radix_sort_implINS0_14default_configELb1EPKfPfPKlPlN2at6native12_GLOBAL__N_18offset_tEEE10hipError_tPvRmT1_PNSt15iterator_traitsIS12_E10value_typeET2_T3_PNS13_IS18_E10value_typeET4_jRbjT5_S1E_jjP12ihipStream_tbEUljE_ZNSN_ISO_Lb1ESQ_SR_ST_SU_SY_EESZ_S10_S11_S12_S16_S17_S18_S1B_S1C_jS1D_jS1E_S1E_jjS1G_bEUljE0_EEESZ_S10_S11_S18_S1C_S1E_T6_T7_T9_mT8_S1G_bDpT10_ENKUlT_T0_E_clISt17integral_constantIbLb1EES1T_IbLb0EEEEDaS1P_S1Q_EUlS1P_E_NS1_11comp_targetILNS1_3genE3ELNS1_11target_archE908ELNS1_3gpuE7ELNS1_3repE0EEENS1_30default_config_static_selectorELNS0_4arch9wavefront6targetE0EEEvS12_,comdat
	.globl	_ZN7rocprim17ROCPRIM_400000_NS6detail17trampoline_kernelINS0_13select_configILj256ELj13ELNS0_17block_load_methodE3ELS4_3ELS4_3ELNS0_20block_scan_algorithmE0ELj4294967295EEENS1_25partition_config_selectorILNS1_17partition_subalgoE4EjNS0_10empty_typeEbEEZZNS1_14partition_implILS8_4ELb0ES6_15HIP_vector_typeIjLj2EENS0_17counting_iteratorIjlEEPS9_SG_NS0_5tupleIJPjSI_NS0_16reverse_iteratorISI_EEEEENSH_IJSG_SG_SG_EEES9_SI_JZNS1_25segmented_radix_sort_implINS0_14default_configELb1EPKfPfPKlPlN2at6native12_GLOBAL__N_18offset_tEEE10hipError_tPvRmT1_PNSt15iterator_traitsIS12_E10value_typeET2_T3_PNS13_IS18_E10value_typeET4_jRbjT5_S1E_jjP12ihipStream_tbEUljE_ZNSN_ISO_Lb1ESQ_SR_ST_SU_SY_EESZ_S10_S11_S12_S16_S17_S18_S1B_S1C_jS1D_jS1E_S1E_jjS1G_bEUljE0_EEESZ_S10_S11_S18_S1C_S1E_T6_T7_T9_mT8_S1G_bDpT10_ENKUlT_T0_E_clISt17integral_constantIbLb1EES1T_IbLb0EEEEDaS1P_S1Q_EUlS1P_E_NS1_11comp_targetILNS1_3genE3ELNS1_11target_archE908ELNS1_3gpuE7ELNS1_3repE0EEENS1_30default_config_static_selectorELNS0_4arch9wavefront6targetE0EEEvS12_ ; -- Begin function _ZN7rocprim17ROCPRIM_400000_NS6detail17trampoline_kernelINS0_13select_configILj256ELj13ELNS0_17block_load_methodE3ELS4_3ELS4_3ELNS0_20block_scan_algorithmE0ELj4294967295EEENS1_25partition_config_selectorILNS1_17partition_subalgoE4EjNS0_10empty_typeEbEEZZNS1_14partition_implILS8_4ELb0ES6_15HIP_vector_typeIjLj2EENS0_17counting_iteratorIjlEEPS9_SG_NS0_5tupleIJPjSI_NS0_16reverse_iteratorISI_EEEEENSH_IJSG_SG_SG_EEES9_SI_JZNS1_25segmented_radix_sort_implINS0_14default_configELb1EPKfPfPKlPlN2at6native12_GLOBAL__N_18offset_tEEE10hipError_tPvRmT1_PNSt15iterator_traitsIS12_E10value_typeET2_T3_PNS13_IS18_E10value_typeET4_jRbjT5_S1E_jjP12ihipStream_tbEUljE_ZNSN_ISO_Lb1ESQ_SR_ST_SU_SY_EESZ_S10_S11_S12_S16_S17_S18_S1B_S1C_jS1D_jS1E_S1E_jjS1G_bEUljE0_EEESZ_S10_S11_S18_S1C_S1E_T6_T7_T9_mT8_S1G_bDpT10_ENKUlT_T0_E_clISt17integral_constantIbLb1EES1T_IbLb0EEEEDaS1P_S1Q_EUlS1P_E_NS1_11comp_targetILNS1_3genE3ELNS1_11target_archE908ELNS1_3gpuE7ELNS1_3repE0EEENS1_30default_config_static_selectorELNS0_4arch9wavefront6targetE0EEEvS12_
	.p2align	8
	.type	_ZN7rocprim17ROCPRIM_400000_NS6detail17trampoline_kernelINS0_13select_configILj256ELj13ELNS0_17block_load_methodE3ELS4_3ELS4_3ELNS0_20block_scan_algorithmE0ELj4294967295EEENS1_25partition_config_selectorILNS1_17partition_subalgoE4EjNS0_10empty_typeEbEEZZNS1_14partition_implILS8_4ELb0ES6_15HIP_vector_typeIjLj2EENS0_17counting_iteratorIjlEEPS9_SG_NS0_5tupleIJPjSI_NS0_16reverse_iteratorISI_EEEEENSH_IJSG_SG_SG_EEES9_SI_JZNS1_25segmented_radix_sort_implINS0_14default_configELb1EPKfPfPKlPlN2at6native12_GLOBAL__N_18offset_tEEE10hipError_tPvRmT1_PNSt15iterator_traitsIS12_E10value_typeET2_T3_PNS13_IS18_E10value_typeET4_jRbjT5_S1E_jjP12ihipStream_tbEUljE_ZNSN_ISO_Lb1ESQ_SR_ST_SU_SY_EESZ_S10_S11_S12_S16_S17_S18_S1B_S1C_jS1D_jS1E_S1E_jjS1G_bEUljE0_EEESZ_S10_S11_S18_S1C_S1E_T6_T7_T9_mT8_S1G_bDpT10_ENKUlT_T0_E_clISt17integral_constantIbLb1EES1T_IbLb0EEEEDaS1P_S1Q_EUlS1P_E_NS1_11comp_targetILNS1_3genE3ELNS1_11target_archE908ELNS1_3gpuE7ELNS1_3repE0EEENS1_30default_config_static_selectorELNS0_4arch9wavefront6targetE0EEEvS12_,@function
_ZN7rocprim17ROCPRIM_400000_NS6detail17trampoline_kernelINS0_13select_configILj256ELj13ELNS0_17block_load_methodE3ELS4_3ELS4_3ELNS0_20block_scan_algorithmE0ELj4294967295EEENS1_25partition_config_selectorILNS1_17partition_subalgoE4EjNS0_10empty_typeEbEEZZNS1_14partition_implILS8_4ELb0ES6_15HIP_vector_typeIjLj2EENS0_17counting_iteratorIjlEEPS9_SG_NS0_5tupleIJPjSI_NS0_16reverse_iteratorISI_EEEEENSH_IJSG_SG_SG_EEES9_SI_JZNS1_25segmented_radix_sort_implINS0_14default_configELb1EPKfPfPKlPlN2at6native12_GLOBAL__N_18offset_tEEE10hipError_tPvRmT1_PNSt15iterator_traitsIS12_E10value_typeET2_T3_PNS13_IS18_E10value_typeET4_jRbjT5_S1E_jjP12ihipStream_tbEUljE_ZNSN_ISO_Lb1ESQ_SR_ST_SU_SY_EESZ_S10_S11_S12_S16_S17_S18_S1B_S1C_jS1D_jS1E_S1E_jjS1G_bEUljE0_EEESZ_S10_S11_S18_S1C_S1E_T6_T7_T9_mT8_S1G_bDpT10_ENKUlT_T0_E_clISt17integral_constantIbLb1EES1T_IbLb0EEEEDaS1P_S1Q_EUlS1P_E_NS1_11comp_targetILNS1_3genE3ELNS1_11target_archE908ELNS1_3gpuE7ELNS1_3repE0EEENS1_30default_config_static_selectorELNS0_4arch9wavefront6targetE0EEEvS12_: ; @_ZN7rocprim17ROCPRIM_400000_NS6detail17trampoline_kernelINS0_13select_configILj256ELj13ELNS0_17block_load_methodE3ELS4_3ELS4_3ELNS0_20block_scan_algorithmE0ELj4294967295EEENS1_25partition_config_selectorILNS1_17partition_subalgoE4EjNS0_10empty_typeEbEEZZNS1_14partition_implILS8_4ELb0ES6_15HIP_vector_typeIjLj2EENS0_17counting_iteratorIjlEEPS9_SG_NS0_5tupleIJPjSI_NS0_16reverse_iteratorISI_EEEEENSH_IJSG_SG_SG_EEES9_SI_JZNS1_25segmented_radix_sort_implINS0_14default_configELb1EPKfPfPKlPlN2at6native12_GLOBAL__N_18offset_tEEE10hipError_tPvRmT1_PNSt15iterator_traitsIS12_E10value_typeET2_T3_PNS13_IS18_E10value_typeET4_jRbjT5_S1E_jjP12ihipStream_tbEUljE_ZNSN_ISO_Lb1ESQ_SR_ST_SU_SY_EESZ_S10_S11_S12_S16_S17_S18_S1B_S1C_jS1D_jS1E_S1E_jjS1G_bEUljE0_EEESZ_S10_S11_S18_S1C_S1E_T6_T7_T9_mT8_S1G_bDpT10_ENKUlT_T0_E_clISt17integral_constantIbLb1EES1T_IbLb0EEEEDaS1P_S1Q_EUlS1P_E_NS1_11comp_targetILNS1_3genE3ELNS1_11target_archE908ELNS1_3gpuE7ELNS1_3repE0EEENS1_30default_config_static_selectorELNS0_4arch9wavefront6targetE0EEEvS12_
; %bb.0:
	.section	.rodata,"a",@progbits
	.p2align	6, 0x0
	.amdhsa_kernel _ZN7rocprim17ROCPRIM_400000_NS6detail17trampoline_kernelINS0_13select_configILj256ELj13ELNS0_17block_load_methodE3ELS4_3ELS4_3ELNS0_20block_scan_algorithmE0ELj4294967295EEENS1_25partition_config_selectorILNS1_17partition_subalgoE4EjNS0_10empty_typeEbEEZZNS1_14partition_implILS8_4ELb0ES6_15HIP_vector_typeIjLj2EENS0_17counting_iteratorIjlEEPS9_SG_NS0_5tupleIJPjSI_NS0_16reverse_iteratorISI_EEEEENSH_IJSG_SG_SG_EEES9_SI_JZNS1_25segmented_radix_sort_implINS0_14default_configELb1EPKfPfPKlPlN2at6native12_GLOBAL__N_18offset_tEEE10hipError_tPvRmT1_PNSt15iterator_traitsIS12_E10value_typeET2_T3_PNS13_IS18_E10value_typeET4_jRbjT5_S1E_jjP12ihipStream_tbEUljE_ZNSN_ISO_Lb1ESQ_SR_ST_SU_SY_EESZ_S10_S11_S12_S16_S17_S18_S1B_S1C_jS1D_jS1E_S1E_jjS1G_bEUljE0_EEESZ_S10_S11_S18_S1C_S1E_T6_T7_T9_mT8_S1G_bDpT10_ENKUlT_T0_E_clISt17integral_constantIbLb1EES1T_IbLb0EEEEDaS1P_S1Q_EUlS1P_E_NS1_11comp_targetILNS1_3genE3ELNS1_11target_archE908ELNS1_3gpuE7ELNS1_3repE0EEENS1_30default_config_static_selectorELNS0_4arch9wavefront6targetE0EEEvS12_
		.amdhsa_group_segment_fixed_size 0
		.amdhsa_private_segment_fixed_size 0
		.amdhsa_kernarg_size 176
		.amdhsa_user_sgpr_count 15
		.amdhsa_user_sgpr_dispatch_ptr 0
		.amdhsa_user_sgpr_queue_ptr 0
		.amdhsa_user_sgpr_kernarg_segment_ptr 1
		.amdhsa_user_sgpr_dispatch_id 0
		.amdhsa_user_sgpr_private_segment_size 0
		.amdhsa_wavefront_size32 1
		.amdhsa_uses_dynamic_stack 0
		.amdhsa_enable_private_segment 0
		.amdhsa_system_sgpr_workgroup_id_x 1
		.amdhsa_system_sgpr_workgroup_id_y 0
		.amdhsa_system_sgpr_workgroup_id_z 0
		.amdhsa_system_sgpr_workgroup_info 0
		.amdhsa_system_vgpr_workitem_id 0
		.amdhsa_next_free_vgpr 1
		.amdhsa_next_free_sgpr 1
		.amdhsa_reserve_vcc 0
		.amdhsa_float_round_mode_32 0
		.amdhsa_float_round_mode_16_64 0
		.amdhsa_float_denorm_mode_32 3
		.amdhsa_float_denorm_mode_16_64 3
		.amdhsa_dx10_clamp 1
		.amdhsa_ieee_mode 1
		.amdhsa_fp16_overflow 0
		.amdhsa_workgroup_processor_mode 1
		.amdhsa_memory_ordered 1
		.amdhsa_forward_progress 0
		.amdhsa_shared_vgpr_count 0
		.amdhsa_exception_fp_ieee_invalid_op 0
		.amdhsa_exception_fp_denorm_src 0
		.amdhsa_exception_fp_ieee_div_zero 0
		.amdhsa_exception_fp_ieee_overflow 0
		.amdhsa_exception_fp_ieee_underflow 0
		.amdhsa_exception_fp_ieee_inexact 0
		.amdhsa_exception_int_div_zero 0
	.end_amdhsa_kernel
	.section	.text._ZN7rocprim17ROCPRIM_400000_NS6detail17trampoline_kernelINS0_13select_configILj256ELj13ELNS0_17block_load_methodE3ELS4_3ELS4_3ELNS0_20block_scan_algorithmE0ELj4294967295EEENS1_25partition_config_selectorILNS1_17partition_subalgoE4EjNS0_10empty_typeEbEEZZNS1_14partition_implILS8_4ELb0ES6_15HIP_vector_typeIjLj2EENS0_17counting_iteratorIjlEEPS9_SG_NS0_5tupleIJPjSI_NS0_16reverse_iteratorISI_EEEEENSH_IJSG_SG_SG_EEES9_SI_JZNS1_25segmented_radix_sort_implINS0_14default_configELb1EPKfPfPKlPlN2at6native12_GLOBAL__N_18offset_tEEE10hipError_tPvRmT1_PNSt15iterator_traitsIS12_E10value_typeET2_T3_PNS13_IS18_E10value_typeET4_jRbjT5_S1E_jjP12ihipStream_tbEUljE_ZNSN_ISO_Lb1ESQ_SR_ST_SU_SY_EESZ_S10_S11_S12_S16_S17_S18_S1B_S1C_jS1D_jS1E_S1E_jjS1G_bEUljE0_EEESZ_S10_S11_S18_S1C_S1E_T6_T7_T9_mT8_S1G_bDpT10_ENKUlT_T0_E_clISt17integral_constantIbLb1EES1T_IbLb0EEEEDaS1P_S1Q_EUlS1P_E_NS1_11comp_targetILNS1_3genE3ELNS1_11target_archE908ELNS1_3gpuE7ELNS1_3repE0EEENS1_30default_config_static_selectorELNS0_4arch9wavefront6targetE0EEEvS12_,"axG",@progbits,_ZN7rocprim17ROCPRIM_400000_NS6detail17trampoline_kernelINS0_13select_configILj256ELj13ELNS0_17block_load_methodE3ELS4_3ELS4_3ELNS0_20block_scan_algorithmE0ELj4294967295EEENS1_25partition_config_selectorILNS1_17partition_subalgoE4EjNS0_10empty_typeEbEEZZNS1_14partition_implILS8_4ELb0ES6_15HIP_vector_typeIjLj2EENS0_17counting_iteratorIjlEEPS9_SG_NS0_5tupleIJPjSI_NS0_16reverse_iteratorISI_EEEEENSH_IJSG_SG_SG_EEES9_SI_JZNS1_25segmented_radix_sort_implINS0_14default_configELb1EPKfPfPKlPlN2at6native12_GLOBAL__N_18offset_tEEE10hipError_tPvRmT1_PNSt15iterator_traitsIS12_E10value_typeET2_T3_PNS13_IS18_E10value_typeET4_jRbjT5_S1E_jjP12ihipStream_tbEUljE_ZNSN_ISO_Lb1ESQ_SR_ST_SU_SY_EESZ_S10_S11_S12_S16_S17_S18_S1B_S1C_jS1D_jS1E_S1E_jjS1G_bEUljE0_EEESZ_S10_S11_S18_S1C_S1E_T6_T7_T9_mT8_S1G_bDpT10_ENKUlT_T0_E_clISt17integral_constantIbLb1EES1T_IbLb0EEEEDaS1P_S1Q_EUlS1P_E_NS1_11comp_targetILNS1_3genE3ELNS1_11target_archE908ELNS1_3gpuE7ELNS1_3repE0EEENS1_30default_config_static_selectorELNS0_4arch9wavefront6targetE0EEEvS12_,comdat
.Lfunc_end1280:
	.size	_ZN7rocprim17ROCPRIM_400000_NS6detail17trampoline_kernelINS0_13select_configILj256ELj13ELNS0_17block_load_methodE3ELS4_3ELS4_3ELNS0_20block_scan_algorithmE0ELj4294967295EEENS1_25partition_config_selectorILNS1_17partition_subalgoE4EjNS0_10empty_typeEbEEZZNS1_14partition_implILS8_4ELb0ES6_15HIP_vector_typeIjLj2EENS0_17counting_iteratorIjlEEPS9_SG_NS0_5tupleIJPjSI_NS0_16reverse_iteratorISI_EEEEENSH_IJSG_SG_SG_EEES9_SI_JZNS1_25segmented_radix_sort_implINS0_14default_configELb1EPKfPfPKlPlN2at6native12_GLOBAL__N_18offset_tEEE10hipError_tPvRmT1_PNSt15iterator_traitsIS12_E10value_typeET2_T3_PNS13_IS18_E10value_typeET4_jRbjT5_S1E_jjP12ihipStream_tbEUljE_ZNSN_ISO_Lb1ESQ_SR_ST_SU_SY_EESZ_S10_S11_S12_S16_S17_S18_S1B_S1C_jS1D_jS1E_S1E_jjS1G_bEUljE0_EEESZ_S10_S11_S18_S1C_S1E_T6_T7_T9_mT8_S1G_bDpT10_ENKUlT_T0_E_clISt17integral_constantIbLb1EES1T_IbLb0EEEEDaS1P_S1Q_EUlS1P_E_NS1_11comp_targetILNS1_3genE3ELNS1_11target_archE908ELNS1_3gpuE7ELNS1_3repE0EEENS1_30default_config_static_selectorELNS0_4arch9wavefront6targetE0EEEvS12_, .Lfunc_end1280-_ZN7rocprim17ROCPRIM_400000_NS6detail17trampoline_kernelINS0_13select_configILj256ELj13ELNS0_17block_load_methodE3ELS4_3ELS4_3ELNS0_20block_scan_algorithmE0ELj4294967295EEENS1_25partition_config_selectorILNS1_17partition_subalgoE4EjNS0_10empty_typeEbEEZZNS1_14partition_implILS8_4ELb0ES6_15HIP_vector_typeIjLj2EENS0_17counting_iteratorIjlEEPS9_SG_NS0_5tupleIJPjSI_NS0_16reverse_iteratorISI_EEEEENSH_IJSG_SG_SG_EEES9_SI_JZNS1_25segmented_radix_sort_implINS0_14default_configELb1EPKfPfPKlPlN2at6native12_GLOBAL__N_18offset_tEEE10hipError_tPvRmT1_PNSt15iterator_traitsIS12_E10value_typeET2_T3_PNS13_IS18_E10value_typeET4_jRbjT5_S1E_jjP12ihipStream_tbEUljE_ZNSN_ISO_Lb1ESQ_SR_ST_SU_SY_EESZ_S10_S11_S12_S16_S17_S18_S1B_S1C_jS1D_jS1E_S1E_jjS1G_bEUljE0_EEESZ_S10_S11_S18_S1C_S1E_T6_T7_T9_mT8_S1G_bDpT10_ENKUlT_T0_E_clISt17integral_constantIbLb1EES1T_IbLb0EEEEDaS1P_S1Q_EUlS1P_E_NS1_11comp_targetILNS1_3genE3ELNS1_11target_archE908ELNS1_3gpuE7ELNS1_3repE0EEENS1_30default_config_static_selectorELNS0_4arch9wavefront6targetE0EEEvS12_
                                        ; -- End function
	.section	.AMDGPU.csdata,"",@progbits
; Kernel info:
; codeLenInByte = 0
; NumSgprs: 0
; NumVgprs: 0
; ScratchSize: 0
; MemoryBound: 0
; FloatMode: 240
; IeeeMode: 1
; LDSByteSize: 0 bytes/workgroup (compile time only)
; SGPRBlocks: 0
; VGPRBlocks: 0
; NumSGPRsForWavesPerEU: 1
; NumVGPRsForWavesPerEU: 1
; Occupancy: 16
; WaveLimiterHint : 0
; COMPUTE_PGM_RSRC2:SCRATCH_EN: 0
; COMPUTE_PGM_RSRC2:USER_SGPR: 15
; COMPUTE_PGM_RSRC2:TRAP_HANDLER: 0
; COMPUTE_PGM_RSRC2:TGID_X_EN: 1
; COMPUTE_PGM_RSRC2:TGID_Y_EN: 0
; COMPUTE_PGM_RSRC2:TGID_Z_EN: 0
; COMPUTE_PGM_RSRC2:TIDIG_COMP_CNT: 0
	.section	.text._ZN7rocprim17ROCPRIM_400000_NS6detail17trampoline_kernelINS0_13select_configILj256ELj13ELNS0_17block_load_methodE3ELS4_3ELS4_3ELNS0_20block_scan_algorithmE0ELj4294967295EEENS1_25partition_config_selectorILNS1_17partition_subalgoE4EjNS0_10empty_typeEbEEZZNS1_14partition_implILS8_4ELb0ES6_15HIP_vector_typeIjLj2EENS0_17counting_iteratorIjlEEPS9_SG_NS0_5tupleIJPjSI_NS0_16reverse_iteratorISI_EEEEENSH_IJSG_SG_SG_EEES9_SI_JZNS1_25segmented_radix_sort_implINS0_14default_configELb1EPKfPfPKlPlN2at6native12_GLOBAL__N_18offset_tEEE10hipError_tPvRmT1_PNSt15iterator_traitsIS12_E10value_typeET2_T3_PNS13_IS18_E10value_typeET4_jRbjT5_S1E_jjP12ihipStream_tbEUljE_ZNSN_ISO_Lb1ESQ_SR_ST_SU_SY_EESZ_S10_S11_S12_S16_S17_S18_S1B_S1C_jS1D_jS1E_S1E_jjS1G_bEUljE0_EEESZ_S10_S11_S18_S1C_S1E_T6_T7_T9_mT8_S1G_bDpT10_ENKUlT_T0_E_clISt17integral_constantIbLb1EES1T_IbLb0EEEEDaS1P_S1Q_EUlS1P_E_NS1_11comp_targetILNS1_3genE2ELNS1_11target_archE906ELNS1_3gpuE6ELNS1_3repE0EEENS1_30default_config_static_selectorELNS0_4arch9wavefront6targetE0EEEvS12_,"axG",@progbits,_ZN7rocprim17ROCPRIM_400000_NS6detail17trampoline_kernelINS0_13select_configILj256ELj13ELNS0_17block_load_methodE3ELS4_3ELS4_3ELNS0_20block_scan_algorithmE0ELj4294967295EEENS1_25partition_config_selectorILNS1_17partition_subalgoE4EjNS0_10empty_typeEbEEZZNS1_14partition_implILS8_4ELb0ES6_15HIP_vector_typeIjLj2EENS0_17counting_iteratorIjlEEPS9_SG_NS0_5tupleIJPjSI_NS0_16reverse_iteratorISI_EEEEENSH_IJSG_SG_SG_EEES9_SI_JZNS1_25segmented_radix_sort_implINS0_14default_configELb1EPKfPfPKlPlN2at6native12_GLOBAL__N_18offset_tEEE10hipError_tPvRmT1_PNSt15iterator_traitsIS12_E10value_typeET2_T3_PNS13_IS18_E10value_typeET4_jRbjT5_S1E_jjP12ihipStream_tbEUljE_ZNSN_ISO_Lb1ESQ_SR_ST_SU_SY_EESZ_S10_S11_S12_S16_S17_S18_S1B_S1C_jS1D_jS1E_S1E_jjS1G_bEUljE0_EEESZ_S10_S11_S18_S1C_S1E_T6_T7_T9_mT8_S1G_bDpT10_ENKUlT_T0_E_clISt17integral_constantIbLb1EES1T_IbLb0EEEEDaS1P_S1Q_EUlS1P_E_NS1_11comp_targetILNS1_3genE2ELNS1_11target_archE906ELNS1_3gpuE6ELNS1_3repE0EEENS1_30default_config_static_selectorELNS0_4arch9wavefront6targetE0EEEvS12_,comdat
	.globl	_ZN7rocprim17ROCPRIM_400000_NS6detail17trampoline_kernelINS0_13select_configILj256ELj13ELNS0_17block_load_methodE3ELS4_3ELS4_3ELNS0_20block_scan_algorithmE0ELj4294967295EEENS1_25partition_config_selectorILNS1_17partition_subalgoE4EjNS0_10empty_typeEbEEZZNS1_14partition_implILS8_4ELb0ES6_15HIP_vector_typeIjLj2EENS0_17counting_iteratorIjlEEPS9_SG_NS0_5tupleIJPjSI_NS0_16reverse_iteratorISI_EEEEENSH_IJSG_SG_SG_EEES9_SI_JZNS1_25segmented_radix_sort_implINS0_14default_configELb1EPKfPfPKlPlN2at6native12_GLOBAL__N_18offset_tEEE10hipError_tPvRmT1_PNSt15iterator_traitsIS12_E10value_typeET2_T3_PNS13_IS18_E10value_typeET4_jRbjT5_S1E_jjP12ihipStream_tbEUljE_ZNSN_ISO_Lb1ESQ_SR_ST_SU_SY_EESZ_S10_S11_S12_S16_S17_S18_S1B_S1C_jS1D_jS1E_S1E_jjS1G_bEUljE0_EEESZ_S10_S11_S18_S1C_S1E_T6_T7_T9_mT8_S1G_bDpT10_ENKUlT_T0_E_clISt17integral_constantIbLb1EES1T_IbLb0EEEEDaS1P_S1Q_EUlS1P_E_NS1_11comp_targetILNS1_3genE2ELNS1_11target_archE906ELNS1_3gpuE6ELNS1_3repE0EEENS1_30default_config_static_selectorELNS0_4arch9wavefront6targetE0EEEvS12_ ; -- Begin function _ZN7rocprim17ROCPRIM_400000_NS6detail17trampoline_kernelINS0_13select_configILj256ELj13ELNS0_17block_load_methodE3ELS4_3ELS4_3ELNS0_20block_scan_algorithmE0ELj4294967295EEENS1_25partition_config_selectorILNS1_17partition_subalgoE4EjNS0_10empty_typeEbEEZZNS1_14partition_implILS8_4ELb0ES6_15HIP_vector_typeIjLj2EENS0_17counting_iteratorIjlEEPS9_SG_NS0_5tupleIJPjSI_NS0_16reverse_iteratorISI_EEEEENSH_IJSG_SG_SG_EEES9_SI_JZNS1_25segmented_radix_sort_implINS0_14default_configELb1EPKfPfPKlPlN2at6native12_GLOBAL__N_18offset_tEEE10hipError_tPvRmT1_PNSt15iterator_traitsIS12_E10value_typeET2_T3_PNS13_IS18_E10value_typeET4_jRbjT5_S1E_jjP12ihipStream_tbEUljE_ZNSN_ISO_Lb1ESQ_SR_ST_SU_SY_EESZ_S10_S11_S12_S16_S17_S18_S1B_S1C_jS1D_jS1E_S1E_jjS1G_bEUljE0_EEESZ_S10_S11_S18_S1C_S1E_T6_T7_T9_mT8_S1G_bDpT10_ENKUlT_T0_E_clISt17integral_constantIbLb1EES1T_IbLb0EEEEDaS1P_S1Q_EUlS1P_E_NS1_11comp_targetILNS1_3genE2ELNS1_11target_archE906ELNS1_3gpuE6ELNS1_3repE0EEENS1_30default_config_static_selectorELNS0_4arch9wavefront6targetE0EEEvS12_
	.p2align	8
	.type	_ZN7rocprim17ROCPRIM_400000_NS6detail17trampoline_kernelINS0_13select_configILj256ELj13ELNS0_17block_load_methodE3ELS4_3ELS4_3ELNS0_20block_scan_algorithmE0ELj4294967295EEENS1_25partition_config_selectorILNS1_17partition_subalgoE4EjNS0_10empty_typeEbEEZZNS1_14partition_implILS8_4ELb0ES6_15HIP_vector_typeIjLj2EENS0_17counting_iteratorIjlEEPS9_SG_NS0_5tupleIJPjSI_NS0_16reverse_iteratorISI_EEEEENSH_IJSG_SG_SG_EEES9_SI_JZNS1_25segmented_radix_sort_implINS0_14default_configELb1EPKfPfPKlPlN2at6native12_GLOBAL__N_18offset_tEEE10hipError_tPvRmT1_PNSt15iterator_traitsIS12_E10value_typeET2_T3_PNS13_IS18_E10value_typeET4_jRbjT5_S1E_jjP12ihipStream_tbEUljE_ZNSN_ISO_Lb1ESQ_SR_ST_SU_SY_EESZ_S10_S11_S12_S16_S17_S18_S1B_S1C_jS1D_jS1E_S1E_jjS1G_bEUljE0_EEESZ_S10_S11_S18_S1C_S1E_T6_T7_T9_mT8_S1G_bDpT10_ENKUlT_T0_E_clISt17integral_constantIbLb1EES1T_IbLb0EEEEDaS1P_S1Q_EUlS1P_E_NS1_11comp_targetILNS1_3genE2ELNS1_11target_archE906ELNS1_3gpuE6ELNS1_3repE0EEENS1_30default_config_static_selectorELNS0_4arch9wavefront6targetE0EEEvS12_,@function
_ZN7rocprim17ROCPRIM_400000_NS6detail17trampoline_kernelINS0_13select_configILj256ELj13ELNS0_17block_load_methodE3ELS4_3ELS4_3ELNS0_20block_scan_algorithmE0ELj4294967295EEENS1_25partition_config_selectorILNS1_17partition_subalgoE4EjNS0_10empty_typeEbEEZZNS1_14partition_implILS8_4ELb0ES6_15HIP_vector_typeIjLj2EENS0_17counting_iteratorIjlEEPS9_SG_NS0_5tupleIJPjSI_NS0_16reverse_iteratorISI_EEEEENSH_IJSG_SG_SG_EEES9_SI_JZNS1_25segmented_radix_sort_implINS0_14default_configELb1EPKfPfPKlPlN2at6native12_GLOBAL__N_18offset_tEEE10hipError_tPvRmT1_PNSt15iterator_traitsIS12_E10value_typeET2_T3_PNS13_IS18_E10value_typeET4_jRbjT5_S1E_jjP12ihipStream_tbEUljE_ZNSN_ISO_Lb1ESQ_SR_ST_SU_SY_EESZ_S10_S11_S12_S16_S17_S18_S1B_S1C_jS1D_jS1E_S1E_jjS1G_bEUljE0_EEESZ_S10_S11_S18_S1C_S1E_T6_T7_T9_mT8_S1G_bDpT10_ENKUlT_T0_E_clISt17integral_constantIbLb1EES1T_IbLb0EEEEDaS1P_S1Q_EUlS1P_E_NS1_11comp_targetILNS1_3genE2ELNS1_11target_archE906ELNS1_3gpuE6ELNS1_3repE0EEENS1_30default_config_static_selectorELNS0_4arch9wavefront6targetE0EEEvS12_: ; @_ZN7rocprim17ROCPRIM_400000_NS6detail17trampoline_kernelINS0_13select_configILj256ELj13ELNS0_17block_load_methodE3ELS4_3ELS4_3ELNS0_20block_scan_algorithmE0ELj4294967295EEENS1_25partition_config_selectorILNS1_17partition_subalgoE4EjNS0_10empty_typeEbEEZZNS1_14partition_implILS8_4ELb0ES6_15HIP_vector_typeIjLj2EENS0_17counting_iteratorIjlEEPS9_SG_NS0_5tupleIJPjSI_NS0_16reverse_iteratorISI_EEEEENSH_IJSG_SG_SG_EEES9_SI_JZNS1_25segmented_radix_sort_implINS0_14default_configELb1EPKfPfPKlPlN2at6native12_GLOBAL__N_18offset_tEEE10hipError_tPvRmT1_PNSt15iterator_traitsIS12_E10value_typeET2_T3_PNS13_IS18_E10value_typeET4_jRbjT5_S1E_jjP12ihipStream_tbEUljE_ZNSN_ISO_Lb1ESQ_SR_ST_SU_SY_EESZ_S10_S11_S12_S16_S17_S18_S1B_S1C_jS1D_jS1E_S1E_jjS1G_bEUljE0_EEESZ_S10_S11_S18_S1C_S1E_T6_T7_T9_mT8_S1G_bDpT10_ENKUlT_T0_E_clISt17integral_constantIbLb1EES1T_IbLb0EEEEDaS1P_S1Q_EUlS1P_E_NS1_11comp_targetILNS1_3genE2ELNS1_11target_archE906ELNS1_3gpuE6ELNS1_3repE0EEENS1_30default_config_static_selectorELNS0_4arch9wavefront6targetE0EEEvS12_
; %bb.0:
	.section	.rodata,"a",@progbits
	.p2align	6, 0x0
	.amdhsa_kernel _ZN7rocprim17ROCPRIM_400000_NS6detail17trampoline_kernelINS0_13select_configILj256ELj13ELNS0_17block_load_methodE3ELS4_3ELS4_3ELNS0_20block_scan_algorithmE0ELj4294967295EEENS1_25partition_config_selectorILNS1_17partition_subalgoE4EjNS0_10empty_typeEbEEZZNS1_14partition_implILS8_4ELb0ES6_15HIP_vector_typeIjLj2EENS0_17counting_iteratorIjlEEPS9_SG_NS0_5tupleIJPjSI_NS0_16reverse_iteratorISI_EEEEENSH_IJSG_SG_SG_EEES9_SI_JZNS1_25segmented_radix_sort_implINS0_14default_configELb1EPKfPfPKlPlN2at6native12_GLOBAL__N_18offset_tEEE10hipError_tPvRmT1_PNSt15iterator_traitsIS12_E10value_typeET2_T3_PNS13_IS18_E10value_typeET4_jRbjT5_S1E_jjP12ihipStream_tbEUljE_ZNSN_ISO_Lb1ESQ_SR_ST_SU_SY_EESZ_S10_S11_S12_S16_S17_S18_S1B_S1C_jS1D_jS1E_S1E_jjS1G_bEUljE0_EEESZ_S10_S11_S18_S1C_S1E_T6_T7_T9_mT8_S1G_bDpT10_ENKUlT_T0_E_clISt17integral_constantIbLb1EES1T_IbLb0EEEEDaS1P_S1Q_EUlS1P_E_NS1_11comp_targetILNS1_3genE2ELNS1_11target_archE906ELNS1_3gpuE6ELNS1_3repE0EEENS1_30default_config_static_selectorELNS0_4arch9wavefront6targetE0EEEvS12_
		.amdhsa_group_segment_fixed_size 0
		.amdhsa_private_segment_fixed_size 0
		.amdhsa_kernarg_size 176
		.amdhsa_user_sgpr_count 15
		.amdhsa_user_sgpr_dispatch_ptr 0
		.amdhsa_user_sgpr_queue_ptr 0
		.amdhsa_user_sgpr_kernarg_segment_ptr 1
		.amdhsa_user_sgpr_dispatch_id 0
		.amdhsa_user_sgpr_private_segment_size 0
		.amdhsa_wavefront_size32 1
		.amdhsa_uses_dynamic_stack 0
		.amdhsa_enable_private_segment 0
		.amdhsa_system_sgpr_workgroup_id_x 1
		.amdhsa_system_sgpr_workgroup_id_y 0
		.amdhsa_system_sgpr_workgroup_id_z 0
		.amdhsa_system_sgpr_workgroup_info 0
		.amdhsa_system_vgpr_workitem_id 0
		.amdhsa_next_free_vgpr 1
		.amdhsa_next_free_sgpr 1
		.amdhsa_reserve_vcc 0
		.amdhsa_float_round_mode_32 0
		.amdhsa_float_round_mode_16_64 0
		.amdhsa_float_denorm_mode_32 3
		.amdhsa_float_denorm_mode_16_64 3
		.amdhsa_dx10_clamp 1
		.amdhsa_ieee_mode 1
		.amdhsa_fp16_overflow 0
		.amdhsa_workgroup_processor_mode 1
		.amdhsa_memory_ordered 1
		.amdhsa_forward_progress 0
		.amdhsa_shared_vgpr_count 0
		.amdhsa_exception_fp_ieee_invalid_op 0
		.amdhsa_exception_fp_denorm_src 0
		.amdhsa_exception_fp_ieee_div_zero 0
		.amdhsa_exception_fp_ieee_overflow 0
		.amdhsa_exception_fp_ieee_underflow 0
		.amdhsa_exception_fp_ieee_inexact 0
		.amdhsa_exception_int_div_zero 0
	.end_amdhsa_kernel
	.section	.text._ZN7rocprim17ROCPRIM_400000_NS6detail17trampoline_kernelINS0_13select_configILj256ELj13ELNS0_17block_load_methodE3ELS4_3ELS4_3ELNS0_20block_scan_algorithmE0ELj4294967295EEENS1_25partition_config_selectorILNS1_17partition_subalgoE4EjNS0_10empty_typeEbEEZZNS1_14partition_implILS8_4ELb0ES6_15HIP_vector_typeIjLj2EENS0_17counting_iteratorIjlEEPS9_SG_NS0_5tupleIJPjSI_NS0_16reverse_iteratorISI_EEEEENSH_IJSG_SG_SG_EEES9_SI_JZNS1_25segmented_radix_sort_implINS0_14default_configELb1EPKfPfPKlPlN2at6native12_GLOBAL__N_18offset_tEEE10hipError_tPvRmT1_PNSt15iterator_traitsIS12_E10value_typeET2_T3_PNS13_IS18_E10value_typeET4_jRbjT5_S1E_jjP12ihipStream_tbEUljE_ZNSN_ISO_Lb1ESQ_SR_ST_SU_SY_EESZ_S10_S11_S12_S16_S17_S18_S1B_S1C_jS1D_jS1E_S1E_jjS1G_bEUljE0_EEESZ_S10_S11_S18_S1C_S1E_T6_T7_T9_mT8_S1G_bDpT10_ENKUlT_T0_E_clISt17integral_constantIbLb1EES1T_IbLb0EEEEDaS1P_S1Q_EUlS1P_E_NS1_11comp_targetILNS1_3genE2ELNS1_11target_archE906ELNS1_3gpuE6ELNS1_3repE0EEENS1_30default_config_static_selectorELNS0_4arch9wavefront6targetE0EEEvS12_,"axG",@progbits,_ZN7rocprim17ROCPRIM_400000_NS6detail17trampoline_kernelINS0_13select_configILj256ELj13ELNS0_17block_load_methodE3ELS4_3ELS4_3ELNS0_20block_scan_algorithmE0ELj4294967295EEENS1_25partition_config_selectorILNS1_17partition_subalgoE4EjNS0_10empty_typeEbEEZZNS1_14partition_implILS8_4ELb0ES6_15HIP_vector_typeIjLj2EENS0_17counting_iteratorIjlEEPS9_SG_NS0_5tupleIJPjSI_NS0_16reverse_iteratorISI_EEEEENSH_IJSG_SG_SG_EEES9_SI_JZNS1_25segmented_radix_sort_implINS0_14default_configELb1EPKfPfPKlPlN2at6native12_GLOBAL__N_18offset_tEEE10hipError_tPvRmT1_PNSt15iterator_traitsIS12_E10value_typeET2_T3_PNS13_IS18_E10value_typeET4_jRbjT5_S1E_jjP12ihipStream_tbEUljE_ZNSN_ISO_Lb1ESQ_SR_ST_SU_SY_EESZ_S10_S11_S12_S16_S17_S18_S1B_S1C_jS1D_jS1E_S1E_jjS1G_bEUljE0_EEESZ_S10_S11_S18_S1C_S1E_T6_T7_T9_mT8_S1G_bDpT10_ENKUlT_T0_E_clISt17integral_constantIbLb1EES1T_IbLb0EEEEDaS1P_S1Q_EUlS1P_E_NS1_11comp_targetILNS1_3genE2ELNS1_11target_archE906ELNS1_3gpuE6ELNS1_3repE0EEENS1_30default_config_static_selectorELNS0_4arch9wavefront6targetE0EEEvS12_,comdat
.Lfunc_end1281:
	.size	_ZN7rocprim17ROCPRIM_400000_NS6detail17trampoline_kernelINS0_13select_configILj256ELj13ELNS0_17block_load_methodE3ELS4_3ELS4_3ELNS0_20block_scan_algorithmE0ELj4294967295EEENS1_25partition_config_selectorILNS1_17partition_subalgoE4EjNS0_10empty_typeEbEEZZNS1_14partition_implILS8_4ELb0ES6_15HIP_vector_typeIjLj2EENS0_17counting_iteratorIjlEEPS9_SG_NS0_5tupleIJPjSI_NS0_16reverse_iteratorISI_EEEEENSH_IJSG_SG_SG_EEES9_SI_JZNS1_25segmented_radix_sort_implINS0_14default_configELb1EPKfPfPKlPlN2at6native12_GLOBAL__N_18offset_tEEE10hipError_tPvRmT1_PNSt15iterator_traitsIS12_E10value_typeET2_T3_PNS13_IS18_E10value_typeET4_jRbjT5_S1E_jjP12ihipStream_tbEUljE_ZNSN_ISO_Lb1ESQ_SR_ST_SU_SY_EESZ_S10_S11_S12_S16_S17_S18_S1B_S1C_jS1D_jS1E_S1E_jjS1G_bEUljE0_EEESZ_S10_S11_S18_S1C_S1E_T6_T7_T9_mT8_S1G_bDpT10_ENKUlT_T0_E_clISt17integral_constantIbLb1EES1T_IbLb0EEEEDaS1P_S1Q_EUlS1P_E_NS1_11comp_targetILNS1_3genE2ELNS1_11target_archE906ELNS1_3gpuE6ELNS1_3repE0EEENS1_30default_config_static_selectorELNS0_4arch9wavefront6targetE0EEEvS12_, .Lfunc_end1281-_ZN7rocprim17ROCPRIM_400000_NS6detail17trampoline_kernelINS0_13select_configILj256ELj13ELNS0_17block_load_methodE3ELS4_3ELS4_3ELNS0_20block_scan_algorithmE0ELj4294967295EEENS1_25partition_config_selectorILNS1_17partition_subalgoE4EjNS0_10empty_typeEbEEZZNS1_14partition_implILS8_4ELb0ES6_15HIP_vector_typeIjLj2EENS0_17counting_iteratorIjlEEPS9_SG_NS0_5tupleIJPjSI_NS0_16reverse_iteratorISI_EEEEENSH_IJSG_SG_SG_EEES9_SI_JZNS1_25segmented_radix_sort_implINS0_14default_configELb1EPKfPfPKlPlN2at6native12_GLOBAL__N_18offset_tEEE10hipError_tPvRmT1_PNSt15iterator_traitsIS12_E10value_typeET2_T3_PNS13_IS18_E10value_typeET4_jRbjT5_S1E_jjP12ihipStream_tbEUljE_ZNSN_ISO_Lb1ESQ_SR_ST_SU_SY_EESZ_S10_S11_S12_S16_S17_S18_S1B_S1C_jS1D_jS1E_S1E_jjS1G_bEUljE0_EEESZ_S10_S11_S18_S1C_S1E_T6_T7_T9_mT8_S1G_bDpT10_ENKUlT_T0_E_clISt17integral_constantIbLb1EES1T_IbLb0EEEEDaS1P_S1Q_EUlS1P_E_NS1_11comp_targetILNS1_3genE2ELNS1_11target_archE906ELNS1_3gpuE6ELNS1_3repE0EEENS1_30default_config_static_selectorELNS0_4arch9wavefront6targetE0EEEvS12_
                                        ; -- End function
	.section	.AMDGPU.csdata,"",@progbits
; Kernel info:
; codeLenInByte = 0
; NumSgprs: 0
; NumVgprs: 0
; ScratchSize: 0
; MemoryBound: 0
; FloatMode: 240
; IeeeMode: 1
; LDSByteSize: 0 bytes/workgroup (compile time only)
; SGPRBlocks: 0
; VGPRBlocks: 0
; NumSGPRsForWavesPerEU: 1
; NumVGPRsForWavesPerEU: 1
; Occupancy: 16
; WaveLimiterHint : 0
; COMPUTE_PGM_RSRC2:SCRATCH_EN: 0
; COMPUTE_PGM_RSRC2:USER_SGPR: 15
; COMPUTE_PGM_RSRC2:TRAP_HANDLER: 0
; COMPUTE_PGM_RSRC2:TGID_X_EN: 1
; COMPUTE_PGM_RSRC2:TGID_Y_EN: 0
; COMPUTE_PGM_RSRC2:TGID_Z_EN: 0
; COMPUTE_PGM_RSRC2:TIDIG_COMP_CNT: 0
	.section	.text._ZN7rocprim17ROCPRIM_400000_NS6detail17trampoline_kernelINS0_13select_configILj256ELj13ELNS0_17block_load_methodE3ELS4_3ELS4_3ELNS0_20block_scan_algorithmE0ELj4294967295EEENS1_25partition_config_selectorILNS1_17partition_subalgoE4EjNS0_10empty_typeEbEEZZNS1_14partition_implILS8_4ELb0ES6_15HIP_vector_typeIjLj2EENS0_17counting_iteratorIjlEEPS9_SG_NS0_5tupleIJPjSI_NS0_16reverse_iteratorISI_EEEEENSH_IJSG_SG_SG_EEES9_SI_JZNS1_25segmented_radix_sort_implINS0_14default_configELb1EPKfPfPKlPlN2at6native12_GLOBAL__N_18offset_tEEE10hipError_tPvRmT1_PNSt15iterator_traitsIS12_E10value_typeET2_T3_PNS13_IS18_E10value_typeET4_jRbjT5_S1E_jjP12ihipStream_tbEUljE_ZNSN_ISO_Lb1ESQ_SR_ST_SU_SY_EESZ_S10_S11_S12_S16_S17_S18_S1B_S1C_jS1D_jS1E_S1E_jjS1G_bEUljE0_EEESZ_S10_S11_S18_S1C_S1E_T6_T7_T9_mT8_S1G_bDpT10_ENKUlT_T0_E_clISt17integral_constantIbLb1EES1T_IbLb0EEEEDaS1P_S1Q_EUlS1P_E_NS1_11comp_targetILNS1_3genE10ELNS1_11target_archE1200ELNS1_3gpuE4ELNS1_3repE0EEENS1_30default_config_static_selectorELNS0_4arch9wavefront6targetE0EEEvS12_,"axG",@progbits,_ZN7rocprim17ROCPRIM_400000_NS6detail17trampoline_kernelINS0_13select_configILj256ELj13ELNS0_17block_load_methodE3ELS4_3ELS4_3ELNS0_20block_scan_algorithmE0ELj4294967295EEENS1_25partition_config_selectorILNS1_17partition_subalgoE4EjNS0_10empty_typeEbEEZZNS1_14partition_implILS8_4ELb0ES6_15HIP_vector_typeIjLj2EENS0_17counting_iteratorIjlEEPS9_SG_NS0_5tupleIJPjSI_NS0_16reverse_iteratorISI_EEEEENSH_IJSG_SG_SG_EEES9_SI_JZNS1_25segmented_radix_sort_implINS0_14default_configELb1EPKfPfPKlPlN2at6native12_GLOBAL__N_18offset_tEEE10hipError_tPvRmT1_PNSt15iterator_traitsIS12_E10value_typeET2_T3_PNS13_IS18_E10value_typeET4_jRbjT5_S1E_jjP12ihipStream_tbEUljE_ZNSN_ISO_Lb1ESQ_SR_ST_SU_SY_EESZ_S10_S11_S12_S16_S17_S18_S1B_S1C_jS1D_jS1E_S1E_jjS1G_bEUljE0_EEESZ_S10_S11_S18_S1C_S1E_T6_T7_T9_mT8_S1G_bDpT10_ENKUlT_T0_E_clISt17integral_constantIbLb1EES1T_IbLb0EEEEDaS1P_S1Q_EUlS1P_E_NS1_11comp_targetILNS1_3genE10ELNS1_11target_archE1200ELNS1_3gpuE4ELNS1_3repE0EEENS1_30default_config_static_selectorELNS0_4arch9wavefront6targetE0EEEvS12_,comdat
	.globl	_ZN7rocprim17ROCPRIM_400000_NS6detail17trampoline_kernelINS0_13select_configILj256ELj13ELNS0_17block_load_methodE3ELS4_3ELS4_3ELNS0_20block_scan_algorithmE0ELj4294967295EEENS1_25partition_config_selectorILNS1_17partition_subalgoE4EjNS0_10empty_typeEbEEZZNS1_14partition_implILS8_4ELb0ES6_15HIP_vector_typeIjLj2EENS0_17counting_iteratorIjlEEPS9_SG_NS0_5tupleIJPjSI_NS0_16reverse_iteratorISI_EEEEENSH_IJSG_SG_SG_EEES9_SI_JZNS1_25segmented_radix_sort_implINS0_14default_configELb1EPKfPfPKlPlN2at6native12_GLOBAL__N_18offset_tEEE10hipError_tPvRmT1_PNSt15iterator_traitsIS12_E10value_typeET2_T3_PNS13_IS18_E10value_typeET4_jRbjT5_S1E_jjP12ihipStream_tbEUljE_ZNSN_ISO_Lb1ESQ_SR_ST_SU_SY_EESZ_S10_S11_S12_S16_S17_S18_S1B_S1C_jS1D_jS1E_S1E_jjS1G_bEUljE0_EEESZ_S10_S11_S18_S1C_S1E_T6_T7_T9_mT8_S1G_bDpT10_ENKUlT_T0_E_clISt17integral_constantIbLb1EES1T_IbLb0EEEEDaS1P_S1Q_EUlS1P_E_NS1_11comp_targetILNS1_3genE10ELNS1_11target_archE1200ELNS1_3gpuE4ELNS1_3repE0EEENS1_30default_config_static_selectorELNS0_4arch9wavefront6targetE0EEEvS12_ ; -- Begin function _ZN7rocprim17ROCPRIM_400000_NS6detail17trampoline_kernelINS0_13select_configILj256ELj13ELNS0_17block_load_methodE3ELS4_3ELS4_3ELNS0_20block_scan_algorithmE0ELj4294967295EEENS1_25partition_config_selectorILNS1_17partition_subalgoE4EjNS0_10empty_typeEbEEZZNS1_14partition_implILS8_4ELb0ES6_15HIP_vector_typeIjLj2EENS0_17counting_iteratorIjlEEPS9_SG_NS0_5tupleIJPjSI_NS0_16reverse_iteratorISI_EEEEENSH_IJSG_SG_SG_EEES9_SI_JZNS1_25segmented_radix_sort_implINS0_14default_configELb1EPKfPfPKlPlN2at6native12_GLOBAL__N_18offset_tEEE10hipError_tPvRmT1_PNSt15iterator_traitsIS12_E10value_typeET2_T3_PNS13_IS18_E10value_typeET4_jRbjT5_S1E_jjP12ihipStream_tbEUljE_ZNSN_ISO_Lb1ESQ_SR_ST_SU_SY_EESZ_S10_S11_S12_S16_S17_S18_S1B_S1C_jS1D_jS1E_S1E_jjS1G_bEUljE0_EEESZ_S10_S11_S18_S1C_S1E_T6_T7_T9_mT8_S1G_bDpT10_ENKUlT_T0_E_clISt17integral_constantIbLb1EES1T_IbLb0EEEEDaS1P_S1Q_EUlS1P_E_NS1_11comp_targetILNS1_3genE10ELNS1_11target_archE1200ELNS1_3gpuE4ELNS1_3repE0EEENS1_30default_config_static_selectorELNS0_4arch9wavefront6targetE0EEEvS12_
	.p2align	8
	.type	_ZN7rocprim17ROCPRIM_400000_NS6detail17trampoline_kernelINS0_13select_configILj256ELj13ELNS0_17block_load_methodE3ELS4_3ELS4_3ELNS0_20block_scan_algorithmE0ELj4294967295EEENS1_25partition_config_selectorILNS1_17partition_subalgoE4EjNS0_10empty_typeEbEEZZNS1_14partition_implILS8_4ELb0ES6_15HIP_vector_typeIjLj2EENS0_17counting_iteratorIjlEEPS9_SG_NS0_5tupleIJPjSI_NS0_16reverse_iteratorISI_EEEEENSH_IJSG_SG_SG_EEES9_SI_JZNS1_25segmented_radix_sort_implINS0_14default_configELb1EPKfPfPKlPlN2at6native12_GLOBAL__N_18offset_tEEE10hipError_tPvRmT1_PNSt15iterator_traitsIS12_E10value_typeET2_T3_PNS13_IS18_E10value_typeET4_jRbjT5_S1E_jjP12ihipStream_tbEUljE_ZNSN_ISO_Lb1ESQ_SR_ST_SU_SY_EESZ_S10_S11_S12_S16_S17_S18_S1B_S1C_jS1D_jS1E_S1E_jjS1G_bEUljE0_EEESZ_S10_S11_S18_S1C_S1E_T6_T7_T9_mT8_S1G_bDpT10_ENKUlT_T0_E_clISt17integral_constantIbLb1EES1T_IbLb0EEEEDaS1P_S1Q_EUlS1P_E_NS1_11comp_targetILNS1_3genE10ELNS1_11target_archE1200ELNS1_3gpuE4ELNS1_3repE0EEENS1_30default_config_static_selectorELNS0_4arch9wavefront6targetE0EEEvS12_,@function
_ZN7rocprim17ROCPRIM_400000_NS6detail17trampoline_kernelINS0_13select_configILj256ELj13ELNS0_17block_load_methodE3ELS4_3ELS4_3ELNS0_20block_scan_algorithmE0ELj4294967295EEENS1_25partition_config_selectorILNS1_17partition_subalgoE4EjNS0_10empty_typeEbEEZZNS1_14partition_implILS8_4ELb0ES6_15HIP_vector_typeIjLj2EENS0_17counting_iteratorIjlEEPS9_SG_NS0_5tupleIJPjSI_NS0_16reverse_iteratorISI_EEEEENSH_IJSG_SG_SG_EEES9_SI_JZNS1_25segmented_radix_sort_implINS0_14default_configELb1EPKfPfPKlPlN2at6native12_GLOBAL__N_18offset_tEEE10hipError_tPvRmT1_PNSt15iterator_traitsIS12_E10value_typeET2_T3_PNS13_IS18_E10value_typeET4_jRbjT5_S1E_jjP12ihipStream_tbEUljE_ZNSN_ISO_Lb1ESQ_SR_ST_SU_SY_EESZ_S10_S11_S12_S16_S17_S18_S1B_S1C_jS1D_jS1E_S1E_jjS1G_bEUljE0_EEESZ_S10_S11_S18_S1C_S1E_T6_T7_T9_mT8_S1G_bDpT10_ENKUlT_T0_E_clISt17integral_constantIbLb1EES1T_IbLb0EEEEDaS1P_S1Q_EUlS1P_E_NS1_11comp_targetILNS1_3genE10ELNS1_11target_archE1200ELNS1_3gpuE4ELNS1_3repE0EEENS1_30default_config_static_selectorELNS0_4arch9wavefront6targetE0EEEvS12_: ; @_ZN7rocprim17ROCPRIM_400000_NS6detail17trampoline_kernelINS0_13select_configILj256ELj13ELNS0_17block_load_methodE3ELS4_3ELS4_3ELNS0_20block_scan_algorithmE0ELj4294967295EEENS1_25partition_config_selectorILNS1_17partition_subalgoE4EjNS0_10empty_typeEbEEZZNS1_14partition_implILS8_4ELb0ES6_15HIP_vector_typeIjLj2EENS0_17counting_iteratorIjlEEPS9_SG_NS0_5tupleIJPjSI_NS0_16reverse_iteratorISI_EEEEENSH_IJSG_SG_SG_EEES9_SI_JZNS1_25segmented_radix_sort_implINS0_14default_configELb1EPKfPfPKlPlN2at6native12_GLOBAL__N_18offset_tEEE10hipError_tPvRmT1_PNSt15iterator_traitsIS12_E10value_typeET2_T3_PNS13_IS18_E10value_typeET4_jRbjT5_S1E_jjP12ihipStream_tbEUljE_ZNSN_ISO_Lb1ESQ_SR_ST_SU_SY_EESZ_S10_S11_S12_S16_S17_S18_S1B_S1C_jS1D_jS1E_S1E_jjS1G_bEUljE0_EEESZ_S10_S11_S18_S1C_S1E_T6_T7_T9_mT8_S1G_bDpT10_ENKUlT_T0_E_clISt17integral_constantIbLb1EES1T_IbLb0EEEEDaS1P_S1Q_EUlS1P_E_NS1_11comp_targetILNS1_3genE10ELNS1_11target_archE1200ELNS1_3gpuE4ELNS1_3repE0EEENS1_30default_config_static_selectorELNS0_4arch9wavefront6targetE0EEEvS12_
; %bb.0:
	.section	.rodata,"a",@progbits
	.p2align	6, 0x0
	.amdhsa_kernel _ZN7rocprim17ROCPRIM_400000_NS6detail17trampoline_kernelINS0_13select_configILj256ELj13ELNS0_17block_load_methodE3ELS4_3ELS4_3ELNS0_20block_scan_algorithmE0ELj4294967295EEENS1_25partition_config_selectorILNS1_17partition_subalgoE4EjNS0_10empty_typeEbEEZZNS1_14partition_implILS8_4ELb0ES6_15HIP_vector_typeIjLj2EENS0_17counting_iteratorIjlEEPS9_SG_NS0_5tupleIJPjSI_NS0_16reverse_iteratorISI_EEEEENSH_IJSG_SG_SG_EEES9_SI_JZNS1_25segmented_radix_sort_implINS0_14default_configELb1EPKfPfPKlPlN2at6native12_GLOBAL__N_18offset_tEEE10hipError_tPvRmT1_PNSt15iterator_traitsIS12_E10value_typeET2_T3_PNS13_IS18_E10value_typeET4_jRbjT5_S1E_jjP12ihipStream_tbEUljE_ZNSN_ISO_Lb1ESQ_SR_ST_SU_SY_EESZ_S10_S11_S12_S16_S17_S18_S1B_S1C_jS1D_jS1E_S1E_jjS1G_bEUljE0_EEESZ_S10_S11_S18_S1C_S1E_T6_T7_T9_mT8_S1G_bDpT10_ENKUlT_T0_E_clISt17integral_constantIbLb1EES1T_IbLb0EEEEDaS1P_S1Q_EUlS1P_E_NS1_11comp_targetILNS1_3genE10ELNS1_11target_archE1200ELNS1_3gpuE4ELNS1_3repE0EEENS1_30default_config_static_selectorELNS0_4arch9wavefront6targetE0EEEvS12_
		.amdhsa_group_segment_fixed_size 0
		.amdhsa_private_segment_fixed_size 0
		.amdhsa_kernarg_size 176
		.amdhsa_user_sgpr_count 15
		.amdhsa_user_sgpr_dispatch_ptr 0
		.amdhsa_user_sgpr_queue_ptr 0
		.amdhsa_user_sgpr_kernarg_segment_ptr 1
		.amdhsa_user_sgpr_dispatch_id 0
		.amdhsa_user_sgpr_private_segment_size 0
		.amdhsa_wavefront_size32 1
		.amdhsa_uses_dynamic_stack 0
		.amdhsa_enable_private_segment 0
		.amdhsa_system_sgpr_workgroup_id_x 1
		.amdhsa_system_sgpr_workgroup_id_y 0
		.amdhsa_system_sgpr_workgroup_id_z 0
		.amdhsa_system_sgpr_workgroup_info 0
		.amdhsa_system_vgpr_workitem_id 0
		.amdhsa_next_free_vgpr 1
		.amdhsa_next_free_sgpr 1
		.amdhsa_reserve_vcc 0
		.amdhsa_float_round_mode_32 0
		.amdhsa_float_round_mode_16_64 0
		.amdhsa_float_denorm_mode_32 3
		.amdhsa_float_denorm_mode_16_64 3
		.amdhsa_dx10_clamp 1
		.amdhsa_ieee_mode 1
		.amdhsa_fp16_overflow 0
		.amdhsa_workgroup_processor_mode 1
		.amdhsa_memory_ordered 1
		.amdhsa_forward_progress 0
		.amdhsa_shared_vgpr_count 0
		.amdhsa_exception_fp_ieee_invalid_op 0
		.amdhsa_exception_fp_denorm_src 0
		.amdhsa_exception_fp_ieee_div_zero 0
		.amdhsa_exception_fp_ieee_overflow 0
		.amdhsa_exception_fp_ieee_underflow 0
		.amdhsa_exception_fp_ieee_inexact 0
		.amdhsa_exception_int_div_zero 0
	.end_amdhsa_kernel
	.section	.text._ZN7rocprim17ROCPRIM_400000_NS6detail17trampoline_kernelINS0_13select_configILj256ELj13ELNS0_17block_load_methodE3ELS4_3ELS4_3ELNS0_20block_scan_algorithmE0ELj4294967295EEENS1_25partition_config_selectorILNS1_17partition_subalgoE4EjNS0_10empty_typeEbEEZZNS1_14partition_implILS8_4ELb0ES6_15HIP_vector_typeIjLj2EENS0_17counting_iteratorIjlEEPS9_SG_NS0_5tupleIJPjSI_NS0_16reverse_iteratorISI_EEEEENSH_IJSG_SG_SG_EEES9_SI_JZNS1_25segmented_radix_sort_implINS0_14default_configELb1EPKfPfPKlPlN2at6native12_GLOBAL__N_18offset_tEEE10hipError_tPvRmT1_PNSt15iterator_traitsIS12_E10value_typeET2_T3_PNS13_IS18_E10value_typeET4_jRbjT5_S1E_jjP12ihipStream_tbEUljE_ZNSN_ISO_Lb1ESQ_SR_ST_SU_SY_EESZ_S10_S11_S12_S16_S17_S18_S1B_S1C_jS1D_jS1E_S1E_jjS1G_bEUljE0_EEESZ_S10_S11_S18_S1C_S1E_T6_T7_T9_mT8_S1G_bDpT10_ENKUlT_T0_E_clISt17integral_constantIbLb1EES1T_IbLb0EEEEDaS1P_S1Q_EUlS1P_E_NS1_11comp_targetILNS1_3genE10ELNS1_11target_archE1200ELNS1_3gpuE4ELNS1_3repE0EEENS1_30default_config_static_selectorELNS0_4arch9wavefront6targetE0EEEvS12_,"axG",@progbits,_ZN7rocprim17ROCPRIM_400000_NS6detail17trampoline_kernelINS0_13select_configILj256ELj13ELNS0_17block_load_methodE3ELS4_3ELS4_3ELNS0_20block_scan_algorithmE0ELj4294967295EEENS1_25partition_config_selectorILNS1_17partition_subalgoE4EjNS0_10empty_typeEbEEZZNS1_14partition_implILS8_4ELb0ES6_15HIP_vector_typeIjLj2EENS0_17counting_iteratorIjlEEPS9_SG_NS0_5tupleIJPjSI_NS0_16reverse_iteratorISI_EEEEENSH_IJSG_SG_SG_EEES9_SI_JZNS1_25segmented_radix_sort_implINS0_14default_configELb1EPKfPfPKlPlN2at6native12_GLOBAL__N_18offset_tEEE10hipError_tPvRmT1_PNSt15iterator_traitsIS12_E10value_typeET2_T3_PNS13_IS18_E10value_typeET4_jRbjT5_S1E_jjP12ihipStream_tbEUljE_ZNSN_ISO_Lb1ESQ_SR_ST_SU_SY_EESZ_S10_S11_S12_S16_S17_S18_S1B_S1C_jS1D_jS1E_S1E_jjS1G_bEUljE0_EEESZ_S10_S11_S18_S1C_S1E_T6_T7_T9_mT8_S1G_bDpT10_ENKUlT_T0_E_clISt17integral_constantIbLb1EES1T_IbLb0EEEEDaS1P_S1Q_EUlS1P_E_NS1_11comp_targetILNS1_3genE10ELNS1_11target_archE1200ELNS1_3gpuE4ELNS1_3repE0EEENS1_30default_config_static_selectorELNS0_4arch9wavefront6targetE0EEEvS12_,comdat
.Lfunc_end1282:
	.size	_ZN7rocprim17ROCPRIM_400000_NS6detail17trampoline_kernelINS0_13select_configILj256ELj13ELNS0_17block_load_methodE3ELS4_3ELS4_3ELNS0_20block_scan_algorithmE0ELj4294967295EEENS1_25partition_config_selectorILNS1_17partition_subalgoE4EjNS0_10empty_typeEbEEZZNS1_14partition_implILS8_4ELb0ES6_15HIP_vector_typeIjLj2EENS0_17counting_iteratorIjlEEPS9_SG_NS0_5tupleIJPjSI_NS0_16reverse_iteratorISI_EEEEENSH_IJSG_SG_SG_EEES9_SI_JZNS1_25segmented_radix_sort_implINS0_14default_configELb1EPKfPfPKlPlN2at6native12_GLOBAL__N_18offset_tEEE10hipError_tPvRmT1_PNSt15iterator_traitsIS12_E10value_typeET2_T3_PNS13_IS18_E10value_typeET4_jRbjT5_S1E_jjP12ihipStream_tbEUljE_ZNSN_ISO_Lb1ESQ_SR_ST_SU_SY_EESZ_S10_S11_S12_S16_S17_S18_S1B_S1C_jS1D_jS1E_S1E_jjS1G_bEUljE0_EEESZ_S10_S11_S18_S1C_S1E_T6_T7_T9_mT8_S1G_bDpT10_ENKUlT_T0_E_clISt17integral_constantIbLb1EES1T_IbLb0EEEEDaS1P_S1Q_EUlS1P_E_NS1_11comp_targetILNS1_3genE10ELNS1_11target_archE1200ELNS1_3gpuE4ELNS1_3repE0EEENS1_30default_config_static_selectorELNS0_4arch9wavefront6targetE0EEEvS12_, .Lfunc_end1282-_ZN7rocprim17ROCPRIM_400000_NS6detail17trampoline_kernelINS0_13select_configILj256ELj13ELNS0_17block_load_methodE3ELS4_3ELS4_3ELNS0_20block_scan_algorithmE0ELj4294967295EEENS1_25partition_config_selectorILNS1_17partition_subalgoE4EjNS0_10empty_typeEbEEZZNS1_14partition_implILS8_4ELb0ES6_15HIP_vector_typeIjLj2EENS0_17counting_iteratorIjlEEPS9_SG_NS0_5tupleIJPjSI_NS0_16reverse_iteratorISI_EEEEENSH_IJSG_SG_SG_EEES9_SI_JZNS1_25segmented_radix_sort_implINS0_14default_configELb1EPKfPfPKlPlN2at6native12_GLOBAL__N_18offset_tEEE10hipError_tPvRmT1_PNSt15iterator_traitsIS12_E10value_typeET2_T3_PNS13_IS18_E10value_typeET4_jRbjT5_S1E_jjP12ihipStream_tbEUljE_ZNSN_ISO_Lb1ESQ_SR_ST_SU_SY_EESZ_S10_S11_S12_S16_S17_S18_S1B_S1C_jS1D_jS1E_S1E_jjS1G_bEUljE0_EEESZ_S10_S11_S18_S1C_S1E_T6_T7_T9_mT8_S1G_bDpT10_ENKUlT_T0_E_clISt17integral_constantIbLb1EES1T_IbLb0EEEEDaS1P_S1Q_EUlS1P_E_NS1_11comp_targetILNS1_3genE10ELNS1_11target_archE1200ELNS1_3gpuE4ELNS1_3repE0EEENS1_30default_config_static_selectorELNS0_4arch9wavefront6targetE0EEEvS12_
                                        ; -- End function
	.section	.AMDGPU.csdata,"",@progbits
; Kernel info:
; codeLenInByte = 0
; NumSgprs: 0
; NumVgprs: 0
; ScratchSize: 0
; MemoryBound: 0
; FloatMode: 240
; IeeeMode: 1
; LDSByteSize: 0 bytes/workgroup (compile time only)
; SGPRBlocks: 0
; VGPRBlocks: 0
; NumSGPRsForWavesPerEU: 1
; NumVGPRsForWavesPerEU: 1
; Occupancy: 16
; WaveLimiterHint : 0
; COMPUTE_PGM_RSRC2:SCRATCH_EN: 0
; COMPUTE_PGM_RSRC2:USER_SGPR: 15
; COMPUTE_PGM_RSRC2:TRAP_HANDLER: 0
; COMPUTE_PGM_RSRC2:TGID_X_EN: 1
; COMPUTE_PGM_RSRC2:TGID_Y_EN: 0
; COMPUTE_PGM_RSRC2:TGID_Z_EN: 0
; COMPUTE_PGM_RSRC2:TIDIG_COMP_CNT: 0
	.section	.text._ZN7rocprim17ROCPRIM_400000_NS6detail17trampoline_kernelINS0_13select_configILj256ELj13ELNS0_17block_load_methodE3ELS4_3ELS4_3ELNS0_20block_scan_algorithmE0ELj4294967295EEENS1_25partition_config_selectorILNS1_17partition_subalgoE4EjNS0_10empty_typeEbEEZZNS1_14partition_implILS8_4ELb0ES6_15HIP_vector_typeIjLj2EENS0_17counting_iteratorIjlEEPS9_SG_NS0_5tupleIJPjSI_NS0_16reverse_iteratorISI_EEEEENSH_IJSG_SG_SG_EEES9_SI_JZNS1_25segmented_radix_sort_implINS0_14default_configELb1EPKfPfPKlPlN2at6native12_GLOBAL__N_18offset_tEEE10hipError_tPvRmT1_PNSt15iterator_traitsIS12_E10value_typeET2_T3_PNS13_IS18_E10value_typeET4_jRbjT5_S1E_jjP12ihipStream_tbEUljE_ZNSN_ISO_Lb1ESQ_SR_ST_SU_SY_EESZ_S10_S11_S12_S16_S17_S18_S1B_S1C_jS1D_jS1E_S1E_jjS1G_bEUljE0_EEESZ_S10_S11_S18_S1C_S1E_T6_T7_T9_mT8_S1G_bDpT10_ENKUlT_T0_E_clISt17integral_constantIbLb1EES1T_IbLb0EEEEDaS1P_S1Q_EUlS1P_E_NS1_11comp_targetILNS1_3genE9ELNS1_11target_archE1100ELNS1_3gpuE3ELNS1_3repE0EEENS1_30default_config_static_selectorELNS0_4arch9wavefront6targetE0EEEvS12_,"axG",@progbits,_ZN7rocprim17ROCPRIM_400000_NS6detail17trampoline_kernelINS0_13select_configILj256ELj13ELNS0_17block_load_methodE3ELS4_3ELS4_3ELNS0_20block_scan_algorithmE0ELj4294967295EEENS1_25partition_config_selectorILNS1_17partition_subalgoE4EjNS0_10empty_typeEbEEZZNS1_14partition_implILS8_4ELb0ES6_15HIP_vector_typeIjLj2EENS0_17counting_iteratorIjlEEPS9_SG_NS0_5tupleIJPjSI_NS0_16reverse_iteratorISI_EEEEENSH_IJSG_SG_SG_EEES9_SI_JZNS1_25segmented_radix_sort_implINS0_14default_configELb1EPKfPfPKlPlN2at6native12_GLOBAL__N_18offset_tEEE10hipError_tPvRmT1_PNSt15iterator_traitsIS12_E10value_typeET2_T3_PNS13_IS18_E10value_typeET4_jRbjT5_S1E_jjP12ihipStream_tbEUljE_ZNSN_ISO_Lb1ESQ_SR_ST_SU_SY_EESZ_S10_S11_S12_S16_S17_S18_S1B_S1C_jS1D_jS1E_S1E_jjS1G_bEUljE0_EEESZ_S10_S11_S18_S1C_S1E_T6_T7_T9_mT8_S1G_bDpT10_ENKUlT_T0_E_clISt17integral_constantIbLb1EES1T_IbLb0EEEEDaS1P_S1Q_EUlS1P_E_NS1_11comp_targetILNS1_3genE9ELNS1_11target_archE1100ELNS1_3gpuE3ELNS1_3repE0EEENS1_30default_config_static_selectorELNS0_4arch9wavefront6targetE0EEEvS12_,comdat
	.globl	_ZN7rocprim17ROCPRIM_400000_NS6detail17trampoline_kernelINS0_13select_configILj256ELj13ELNS0_17block_load_methodE3ELS4_3ELS4_3ELNS0_20block_scan_algorithmE0ELj4294967295EEENS1_25partition_config_selectorILNS1_17partition_subalgoE4EjNS0_10empty_typeEbEEZZNS1_14partition_implILS8_4ELb0ES6_15HIP_vector_typeIjLj2EENS0_17counting_iteratorIjlEEPS9_SG_NS0_5tupleIJPjSI_NS0_16reverse_iteratorISI_EEEEENSH_IJSG_SG_SG_EEES9_SI_JZNS1_25segmented_radix_sort_implINS0_14default_configELb1EPKfPfPKlPlN2at6native12_GLOBAL__N_18offset_tEEE10hipError_tPvRmT1_PNSt15iterator_traitsIS12_E10value_typeET2_T3_PNS13_IS18_E10value_typeET4_jRbjT5_S1E_jjP12ihipStream_tbEUljE_ZNSN_ISO_Lb1ESQ_SR_ST_SU_SY_EESZ_S10_S11_S12_S16_S17_S18_S1B_S1C_jS1D_jS1E_S1E_jjS1G_bEUljE0_EEESZ_S10_S11_S18_S1C_S1E_T6_T7_T9_mT8_S1G_bDpT10_ENKUlT_T0_E_clISt17integral_constantIbLb1EES1T_IbLb0EEEEDaS1P_S1Q_EUlS1P_E_NS1_11comp_targetILNS1_3genE9ELNS1_11target_archE1100ELNS1_3gpuE3ELNS1_3repE0EEENS1_30default_config_static_selectorELNS0_4arch9wavefront6targetE0EEEvS12_ ; -- Begin function _ZN7rocprim17ROCPRIM_400000_NS6detail17trampoline_kernelINS0_13select_configILj256ELj13ELNS0_17block_load_methodE3ELS4_3ELS4_3ELNS0_20block_scan_algorithmE0ELj4294967295EEENS1_25partition_config_selectorILNS1_17partition_subalgoE4EjNS0_10empty_typeEbEEZZNS1_14partition_implILS8_4ELb0ES6_15HIP_vector_typeIjLj2EENS0_17counting_iteratorIjlEEPS9_SG_NS0_5tupleIJPjSI_NS0_16reverse_iteratorISI_EEEEENSH_IJSG_SG_SG_EEES9_SI_JZNS1_25segmented_radix_sort_implINS0_14default_configELb1EPKfPfPKlPlN2at6native12_GLOBAL__N_18offset_tEEE10hipError_tPvRmT1_PNSt15iterator_traitsIS12_E10value_typeET2_T3_PNS13_IS18_E10value_typeET4_jRbjT5_S1E_jjP12ihipStream_tbEUljE_ZNSN_ISO_Lb1ESQ_SR_ST_SU_SY_EESZ_S10_S11_S12_S16_S17_S18_S1B_S1C_jS1D_jS1E_S1E_jjS1G_bEUljE0_EEESZ_S10_S11_S18_S1C_S1E_T6_T7_T9_mT8_S1G_bDpT10_ENKUlT_T0_E_clISt17integral_constantIbLb1EES1T_IbLb0EEEEDaS1P_S1Q_EUlS1P_E_NS1_11comp_targetILNS1_3genE9ELNS1_11target_archE1100ELNS1_3gpuE3ELNS1_3repE0EEENS1_30default_config_static_selectorELNS0_4arch9wavefront6targetE0EEEvS12_
	.p2align	8
	.type	_ZN7rocprim17ROCPRIM_400000_NS6detail17trampoline_kernelINS0_13select_configILj256ELj13ELNS0_17block_load_methodE3ELS4_3ELS4_3ELNS0_20block_scan_algorithmE0ELj4294967295EEENS1_25partition_config_selectorILNS1_17partition_subalgoE4EjNS0_10empty_typeEbEEZZNS1_14partition_implILS8_4ELb0ES6_15HIP_vector_typeIjLj2EENS0_17counting_iteratorIjlEEPS9_SG_NS0_5tupleIJPjSI_NS0_16reverse_iteratorISI_EEEEENSH_IJSG_SG_SG_EEES9_SI_JZNS1_25segmented_radix_sort_implINS0_14default_configELb1EPKfPfPKlPlN2at6native12_GLOBAL__N_18offset_tEEE10hipError_tPvRmT1_PNSt15iterator_traitsIS12_E10value_typeET2_T3_PNS13_IS18_E10value_typeET4_jRbjT5_S1E_jjP12ihipStream_tbEUljE_ZNSN_ISO_Lb1ESQ_SR_ST_SU_SY_EESZ_S10_S11_S12_S16_S17_S18_S1B_S1C_jS1D_jS1E_S1E_jjS1G_bEUljE0_EEESZ_S10_S11_S18_S1C_S1E_T6_T7_T9_mT8_S1G_bDpT10_ENKUlT_T0_E_clISt17integral_constantIbLb1EES1T_IbLb0EEEEDaS1P_S1Q_EUlS1P_E_NS1_11comp_targetILNS1_3genE9ELNS1_11target_archE1100ELNS1_3gpuE3ELNS1_3repE0EEENS1_30default_config_static_selectorELNS0_4arch9wavefront6targetE0EEEvS12_,@function
_ZN7rocprim17ROCPRIM_400000_NS6detail17trampoline_kernelINS0_13select_configILj256ELj13ELNS0_17block_load_methodE3ELS4_3ELS4_3ELNS0_20block_scan_algorithmE0ELj4294967295EEENS1_25partition_config_selectorILNS1_17partition_subalgoE4EjNS0_10empty_typeEbEEZZNS1_14partition_implILS8_4ELb0ES6_15HIP_vector_typeIjLj2EENS0_17counting_iteratorIjlEEPS9_SG_NS0_5tupleIJPjSI_NS0_16reverse_iteratorISI_EEEEENSH_IJSG_SG_SG_EEES9_SI_JZNS1_25segmented_radix_sort_implINS0_14default_configELb1EPKfPfPKlPlN2at6native12_GLOBAL__N_18offset_tEEE10hipError_tPvRmT1_PNSt15iterator_traitsIS12_E10value_typeET2_T3_PNS13_IS18_E10value_typeET4_jRbjT5_S1E_jjP12ihipStream_tbEUljE_ZNSN_ISO_Lb1ESQ_SR_ST_SU_SY_EESZ_S10_S11_S12_S16_S17_S18_S1B_S1C_jS1D_jS1E_S1E_jjS1G_bEUljE0_EEESZ_S10_S11_S18_S1C_S1E_T6_T7_T9_mT8_S1G_bDpT10_ENKUlT_T0_E_clISt17integral_constantIbLb1EES1T_IbLb0EEEEDaS1P_S1Q_EUlS1P_E_NS1_11comp_targetILNS1_3genE9ELNS1_11target_archE1100ELNS1_3gpuE3ELNS1_3repE0EEENS1_30default_config_static_selectorELNS0_4arch9wavefront6targetE0EEEvS12_: ; @_ZN7rocprim17ROCPRIM_400000_NS6detail17trampoline_kernelINS0_13select_configILj256ELj13ELNS0_17block_load_methodE3ELS4_3ELS4_3ELNS0_20block_scan_algorithmE0ELj4294967295EEENS1_25partition_config_selectorILNS1_17partition_subalgoE4EjNS0_10empty_typeEbEEZZNS1_14partition_implILS8_4ELb0ES6_15HIP_vector_typeIjLj2EENS0_17counting_iteratorIjlEEPS9_SG_NS0_5tupleIJPjSI_NS0_16reverse_iteratorISI_EEEEENSH_IJSG_SG_SG_EEES9_SI_JZNS1_25segmented_radix_sort_implINS0_14default_configELb1EPKfPfPKlPlN2at6native12_GLOBAL__N_18offset_tEEE10hipError_tPvRmT1_PNSt15iterator_traitsIS12_E10value_typeET2_T3_PNS13_IS18_E10value_typeET4_jRbjT5_S1E_jjP12ihipStream_tbEUljE_ZNSN_ISO_Lb1ESQ_SR_ST_SU_SY_EESZ_S10_S11_S12_S16_S17_S18_S1B_S1C_jS1D_jS1E_S1E_jjS1G_bEUljE0_EEESZ_S10_S11_S18_S1C_S1E_T6_T7_T9_mT8_S1G_bDpT10_ENKUlT_T0_E_clISt17integral_constantIbLb1EES1T_IbLb0EEEEDaS1P_S1Q_EUlS1P_E_NS1_11comp_targetILNS1_3genE9ELNS1_11target_archE1100ELNS1_3gpuE3ELNS1_3repE0EEENS1_30default_config_static_selectorELNS0_4arch9wavefront6targetE0EEEvS12_
; %bb.0:
	s_clause 0x6
	s_load_b32 s5, s[0:1], 0x80
	s_load_b64 s[34:35], s[0:1], 0x10
	s_load_b64 s[2:3], s[0:1], 0x68
	s_load_b32 s8, s[0:1], 0x8
	s_load_b128 s[24:27], s[0:1], 0x58
	s_load_b64 s[40:41], s[0:1], 0xa8
	s_load_b256 s[16:23], s[0:1], 0x88
	s_mul_i32 s33, s15, 0xd00
	s_waitcnt lgkmcnt(0)
	s_mul_i32 s4, s5, 0xd00
	s_add_i32 s5, s5, -1
	s_add_u32 s6, s34, s4
	s_addc_u32 s7, s35, 0
	s_load_b128 s[28:31], s[26:27], 0x0
	s_cmp_eq_u32 s15, s5
	v_cmp_lt_u64_e64 s3, s[6:7], s[2:3]
	s_cselect_b32 s14, -1, 0
	s_cmp_lg_u32 s15, s5
	s_cselect_b32 s5, -1, 0
	s_add_i32 s6, s8, s33
	s_delay_alu instid0(VALU_DEP_1) | instskip(SKIP_4) | instid1(VALU_DEP_1)
	s_or_b32 s3, s5, s3
	s_add_i32 s6, s6, s34
	s_and_b32 vcc_lo, exec_lo, s3
	v_add_nc_u32_e32 v1, s6, v0
	s_mov_b32 s5, -1
	v_add_nc_u32_e32 v2, 0x100, v1
	v_add_nc_u32_e32 v3, 0x200, v1
	;; [unrolled: 1-line block ×12, first 2 shown]
	s_cbranch_vccz .LBB1283_2
; %bb.1:
	v_lshlrev_b32_e32 v14, 2, v0
	s_mov_b32 s5, 0
	ds_store_2addr_stride64_b32 v14, v1, v2 offset1:4
	ds_store_2addr_stride64_b32 v14, v3, v4 offset0:8 offset1:12
	ds_store_2addr_stride64_b32 v14, v5, v6 offset0:16 offset1:20
	;; [unrolled: 1-line block ×5, first 2 shown]
	ds_store_b32 v14, v13 offset:12288
	s_waitcnt lgkmcnt(0)
	s_barrier
.LBB1283_2:
	s_and_not1_b32 vcc_lo, exec_lo, s5
	s_add_i32 s4, s4, s34
	s_cbranch_vccnz .LBB1283_4
; %bb.3:
	v_lshlrev_b32_e32 v14, 2, v0
	ds_store_2addr_stride64_b32 v14, v1, v2 offset1:4
	ds_store_2addr_stride64_b32 v14, v3, v4 offset0:8 offset1:12
	ds_store_2addr_stride64_b32 v14, v5, v6 offset0:16 offset1:20
	;; [unrolled: 1-line block ×5, first 2 shown]
	ds_store_b32 v14, v13 offset:12288
	s_waitcnt lgkmcnt(0)
	s_barrier
.LBB1283_4:
	v_mul_u32_u24_e32 v28, 13, v0
	s_clause 0x1
	s_load_b128 s[36:39], s[0:1], 0x28
	s_load_b64 s[26:27], s[0:1], 0x38
	s_waitcnt lgkmcnt(0)
	buffer_gl0_inv
	v_cndmask_b32_e64 v26, 0, 1, s3
	s_sub_i32 s44, s2, s4
	v_lshlrev_b32_e32 v1, 2, v28
	s_and_not1_b32 vcc_lo, exec_lo, s3
	ds_load_2addr_b32 v[16:17], v1 offset1:1
	ds_load_2addr_b32 v[14:15], v1 offset0:2 offset1:3
	ds_load_2addr_b32 v[12:13], v1 offset0:4 offset1:5
	;; [unrolled: 1-line block ×5, first 2 shown]
	ds_load_b32 v27, v1 offset:48
	s_waitcnt lgkmcnt(0)
	s_barrier
	buffer_gl0_inv
	s_cbranch_vccnz .LBB1283_32
; %bb.5:
	v_add_nc_u32_e32 v1, s17, v16
	v_add_nc_u32_e32 v2, s19, v16
	s_mov_b32 s46, 0
	s_mov_b32 s45, 0
	s_mov_b32 s3, exec_lo
	v_mul_lo_u32 v1, v1, s16
	v_mul_lo_u32 v2, v2, s18
	s_delay_alu instid0(VALU_DEP_1) | instskip(NEXT) | instid1(VALU_DEP_1)
	v_sub_nc_u32_e32 v1, v1, v2
	v_cmp_lt_u32_e32 vcc_lo, s20, v1
	v_cmpx_ge_u32_e64 s20, v1
; %bb.6:
	v_add_nc_u32_e32 v1, s22, v16
	v_add_nc_u32_e32 v2, s40, v16
	s_delay_alu instid0(VALU_DEP_2) | instskip(NEXT) | instid1(VALU_DEP_2)
	v_mul_lo_u32 v1, v1, s21
	v_mul_lo_u32 v2, v2, s23
	s_delay_alu instid0(VALU_DEP_1) | instskip(NEXT) | instid1(VALU_DEP_1)
	v_sub_nc_u32_e32 v1, v1, v2
	v_cmp_lt_u32_e64 s2, s41, v1
	s_delay_alu instid0(VALU_DEP_1)
	s_and_b32 s45, s2, exec_lo
; %bb.7:
	s_or_b32 exec_lo, exec_lo, s3
	v_add_nc_u32_e32 v1, s17, v17
	v_add_nc_u32_e32 v2, s19, v17
	s_mov_b32 s4, exec_lo
	s_delay_alu instid0(VALU_DEP_2) | instskip(NEXT) | instid1(VALU_DEP_2)
	v_mul_lo_u32 v1, v1, s16
	v_mul_lo_u32 v2, v2, s18
	s_delay_alu instid0(VALU_DEP_1) | instskip(NEXT) | instid1(VALU_DEP_1)
	v_sub_nc_u32_e32 v1, v1, v2
	v_cmp_lt_u32_e64 s2, s20, v1
	v_cmpx_ge_u32_e64 s20, v1
; %bb.8:
	v_add_nc_u32_e32 v1, s22, v17
	v_add_nc_u32_e32 v2, s40, v17
	s_delay_alu instid0(VALU_DEP_2) | instskip(NEXT) | instid1(VALU_DEP_2)
	v_mul_lo_u32 v1, v1, s21
	v_mul_lo_u32 v2, v2, s23
	s_delay_alu instid0(VALU_DEP_1) | instskip(NEXT) | instid1(VALU_DEP_1)
	v_sub_nc_u32_e32 v1, v1, v2
	v_cmp_lt_u32_e64 s3, s41, v1
	s_delay_alu instid0(VALU_DEP_1)
	s_and_b32 s46, s3, exec_lo
; %bb.9:
	s_or_b32 exec_lo, exec_lo, s4
	v_add_nc_u32_e32 v1, s17, v14
	v_add_nc_u32_e32 v2, s19, v14
	s_mov_b32 s48, 0
	s_mov_b32 s47, 0
	s_mov_b32 s5, exec_lo
	v_mul_lo_u32 v1, v1, s16
	v_mul_lo_u32 v2, v2, s18
	s_delay_alu instid0(VALU_DEP_1) | instskip(NEXT) | instid1(VALU_DEP_1)
	v_sub_nc_u32_e32 v1, v1, v2
	v_cmp_lt_u32_e64 s3, s20, v1
	v_cmpx_ge_u32_e64 s20, v1
; %bb.10:
	v_add_nc_u32_e32 v1, s22, v14
	v_add_nc_u32_e32 v2, s40, v14
	s_delay_alu instid0(VALU_DEP_2) | instskip(NEXT) | instid1(VALU_DEP_2)
	v_mul_lo_u32 v1, v1, s21
	v_mul_lo_u32 v2, v2, s23
	s_delay_alu instid0(VALU_DEP_1) | instskip(NEXT) | instid1(VALU_DEP_1)
	v_sub_nc_u32_e32 v1, v1, v2
	v_cmp_lt_u32_e64 s4, s41, v1
	s_delay_alu instid0(VALU_DEP_1)
	s_and_b32 s47, s4, exec_lo
; %bb.11:
	s_or_b32 exec_lo, exec_lo, s5
	v_add_nc_u32_e32 v1, s17, v15
	v_add_nc_u32_e32 v2, s19, v15
	s_mov_b32 s6, exec_lo
	s_delay_alu instid0(VALU_DEP_2) | instskip(NEXT) | instid1(VALU_DEP_2)
	v_mul_lo_u32 v1, v1, s16
	v_mul_lo_u32 v2, v2, s18
	s_delay_alu instid0(VALU_DEP_1) | instskip(NEXT) | instid1(VALU_DEP_1)
	v_sub_nc_u32_e32 v1, v1, v2
	v_cmp_lt_u32_e64 s4, s20, v1
	v_cmpx_ge_u32_e64 s20, v1
; %bb.12:
	v_add_nc_u32_e32 v1, s22, v15
	v_add_nc_u32_e32 v2, s40, v15
	s_delay_alu instid0(VALU_DEP_2) | instskip(NEXT) | instid1(VALU_DEP_2)
	v_mul_lo_u32 v1, v1, s21
	v_mul_lo_u32 v2, v2, s23
	s_delay_alu instid0(VALU_DEP_1) | instskip(NEXT) | instid1(VALU_DEP_1)
	v_sub_nc_u32_e32 v1, v1, v2
	v_cmp_lt_u32_e64 s5, s41, v1
	s_delay_alu instid0(VALU_DEP_1)
	s_and_b32 s48, s5, exec_lo
; %bb.13:
	s_or_b32 exec_lo, exec_lo, s6
	v_add_nc_u32_e32 v1, s17, v12
	v_add_nc_u32_e32 v2, s19, v12
	s_mov_b32 s50, 0
	s_mov_b32 s49, 0
	s_mov_b32 s7, exec_lo
	v_mul_lo_u32 v1, v1, s16
	v_mul_lo_u32 v2, v2, s18
	s_delay_alu instid0(VALU_DEP_1) | instskip(NEXT) | instid1(VALU_DEP_1)
	v_sub_nc_u32_e32 v1, v1, v2
	v_cmp_lt_u32_e64 s5, s20, v1
	;; [unrolled: 47-line block ×5, first 2 shown]
	v_cmpx_ge_u32_e64 s20, v1
; %bb.26:
	v_add_nc_u32_e32 v1, s22, v6
	v_add_nc_u32_e32 v2, s40, v6
	s_delay_alu instid0(VALU_DEP_2) | instskip(NEXT) | instid1(VALU_DEP_2)
	v_mul_lo_u32 v1, v1, s21
	v_mul_lo_u32 v2, v2, s23
	s_delay_alu instid0(VALU_DEP_1) | instskip(NEXT) | instid1(VALU_DEP_1)
	v_sub_nc_u32_e32 v1, v1, v2
	v_cmp_lt_u32_e64 s12, s41, v1
	s_delay_alu instid0(VALU_DEP_1)
	s_and_b32 s57, s12, exec_lo
; %bb.27:
	s_or_b32 exec_lo, exec_lo, s13
	v_add_nc_u32_e32 v1, s17, v7
	v_add_nc_u32_e32 v2, s19, v7
	s_mov_b32 s42, exec_lo
	s_delay_alu instid0(VALU_DEP_2) | instskip(NEXT) | instid1(VALU_DEP_2)
	v_mul_lo_u32 v1, v1, s16
	v_mul_lo_u32 v2, v2, s18
	s_delay_alu instid0(VALU_DEP_1) | instskip(NEXT) | instid1(VALU_DEP_1)
	v_sub_nc_u32_e32 v1, v1, v2
	v_cmp_lt_u32_e64 s12, s20, v1
	v_cmpx_ge_u32_e64 s20, v1
; %bb.28:
	v_add_nc_u32_e32 v1, s22, v7
	v_add_nc_u32_e32 v2, s40, v7
	s_delay_alu instid0(VALU_DEP_2) | instskip(NEXT) | instid1(VALU_DEP_2)
	v_mul_lo_u32 v1, v1, s21
	v_mul_lo_u32 v2, v2, s23
	s_delay_alu instid0(VALU_DEP_1) | instskip(NEXT) | instid1(VALU_DEP_1)
	v_sub_nc_u32_e32 v1, v1, v2
	v_cmp_lt_u32_e64 s13, s41, v1
	s_delay_alu instid0(VALU_DEP_1)
	s_and_b32 s56, s13, exec_lo
; %bb.29:
	s_or_b32 exec_lo, exec_lo, s42
	v_add_nc_u32_e32 v1, s17, v27
	v_add_nc_u32_e32 v2, s19, v27
	s_mov_b32 s42, -1
	s_mov_b32 s53, 0
	s_mov_b32 s43, 0
	v_mul_lo_u32 v1, v1, s16
	v_mul_lo_u32 v2, v2, s18
	s_mov_b32 s58, exec_lo
	s_delay_alu instid0(VALU_DEP_1) | instskip(NEXT) | instid1(VALU_DEP_1)
	v_sub_nc_u32_e32 v1, v1, v2
	v_cmpx_ge_u32_e64 s20, v1
; %bb.30:
	v_add_nc_u32_e32 v1, s22, v27
	v_add_nc_u32_e32 v2, s40, v27
	s_xor_b32 s42, exec_lo, -1
	s_delay_alu instid0(VALU_DEP_2) | instskip(NEXT) | instid1(VALU_DEP_2)
	v_mul_lo_u32 v1, v1, s21
	v_mul_lo_u32 v2, v2, s23
	s_delay_alu instid0(VALU_DEP_1) | instskip(NEXT) | instid1(VALU_DEP_1)
	v_sub_nc_u32_e32 v1, v1, v2
	v_cmp_lt_u32_e64 s13, s41, v1
	s_delay_alu instid0(VALU_DEP_1)
	s_and_b32 s43, s13, exec_lo
; %bb.31:
	s_or_b32 exec_lo, exec_lo, s58
	v_cndmask_b32_e64 v48, 0, 1, s57
	v_cndmask_b32_e64 v51, 0, 1, s12
	;; [unrolled: 1-line block ×22, first 2 shown]
	v_cndmask_b32_e64 v29, 0, 1, vcc_lo
	v_cndmask_b32_e64 v52, 0, 1, s56
	s_load_b64 s[4:5], s[0:1], 0x78
	s_and_b32 vcc_lo, exec_lo, s53
	s_add_i32 s3, s44, 0xd00
	s_cbranch_vccnz .LBB1283_33
	s_branch .LBB1283_86
.LBB1283_32:
                                        ; implicit-def: $sgpr42
                                        ; implicit-def: $sgpr43
                                        ; implicit-def: $vgpr52
                                        ; implicit-def: $vgpr48
                                        ; implicit-def: $vgpr47
                                        ; implicit-def: $vgpr45
                                        ; implicit-def: $vgpr43
                                        ; implicit-def: $vgpr40
                                        ; implicit-def: $vgpr39
                                        ; implicit-def: $vgpr37
                                        ; implicit-def: $vgpr35
                                        ; implicit-def: $vgpr29
                                        ; implicit-def: $vgpr33
                                        ; implicit-def: $vgpr31
                                        ; implicit-def: $vgpr32
                                        ; implicit-def: $vgpr38
                                        ; implicit-def: $vgpr41
                                        ; implicit-def: $vgpr42
                                        ; implicit-def: $vgpr44
                                        ; implicit-def: $vgpr46
                                        ; implicit-def: $vgpr49
                                        ; implicit-def: $vgpr50
                                        ; implicit-def: $vgpr51
                                        ; implicit-def: $vgpr30
                                        ; implicit-def: $vgpr34
                                        ; implicit-def: $vgpr36
	s_load_b64 s[4:5], s[0:1], 0x78
	s_add_i32 s3, s44, 0xd00
	s_cbranch_execz .LBB1283_86
.LBB1283_33:
	v_dual_mov_b32 v30, 0 :: v_dual_mov_b32 v29, 0
	s_mov_b32 s2, 0
	s_mov_b32 s1, exec_lo
	v_cmpx_gt_u32_e64 s3, v28
	s_cbranch_execz .LBB1283_37
; %bb.34:
	v_add_nc_u32_e32 v1, s17, v16
	v_add_nc_u32_e32 v2, s19, v16
	s_mov_b32 s6, exec_lo
	s_delay_alu instid0(VALU_DEP_2) | instskip(NEXT) | instid1(VALU_DEP_2)
	v_mul_lo_u32 v1, v1, s16
	v_mul_lo_u32 v2, v2, s18
	s_delay_alu instid0(VALU_DEP_1) | instskip(NEXT) | instid1(VALU_DEP_1)
	v_sub_nc_u32_e32 v1, v1, v2
	v_cmp_lt_u32_e32 vcc_lo, s20, v1
	v_cmpx_ge_u32_e64 s20, v1
; %bb.35:
	v_add_nc_u32_e32 v1, s22, v16
	v_add_nc_u32_e32 v2, s40, v16
	s_delay_alu instid0(VALU_DEP_2) | instskip(NEXT) | instid1(VALU_DEP_2)
	v_mul_lo_u32 v1, v1, s21
	v_mul_lo_u32 v2, v2, s23
	s_delay_alu instid0(VALU_DEP_1) | instskip(NEXT) | instid1(VALU_DEP_1)
	v_sub_nc_u32_e32 v1, v1, v2
	v_cmp_lt_u32_e64 s0, s41, v1
	s_delay_alu instid0(VALU_DEP_1)
	s_and_b32 s2, s0, exec_lo
; %bb.36:
	s_or_b32 exec_lo, exec_lo, s6
	v_cndmask_b32_e64 v29, 0, 1, vcc_lo
	v_cndmask_b32_e64 v30, 0, 1, s2
.LBB1283_37:
	s_or_b32 exec_lo, exec_lo, s1
	v_dual_mov_b32 v34, 0 :: v_dual_add_nc_u32 v1, 1, v28
	v_mov_b32_e32 v33, 0
	s_mov_b32 s2, 0
	s_mov_b32 s1, exec_lo
	s_delay_alu instid0(VALU_DEP_2)
	v_cmpx_gt_u32_e64 s3, v1
	s_cbranch_execz .LBB1283_41
; %bb.38:
	v_add_nc_u32_e32 v1, s17, v17
	v_add_nc_u32_e32 v2, s19, v17
	s_mov_b32 s6, exec_lo
	s_delay_alu instid0(VALU_DEP_2) | instskip(NEXT) | instid1(VALU_DEP_2)
	v_mul_lo_u32 v1, v1, s16
	v_mul_lo_u32 v2, v2, s18
	s_delay_alu instid0(VALU_DEP_1) | instskip(NEXT) | instid1(VALU_DEP_1)
	v_sub_nc_u32_e32 v1, v1, v2
	v_cmp_lt_u32_e32 vcc_lo, s20, v1
	v_cmpx_ge_u32_e64 s20, v1
; %bb.39:
	v_add_nc_u32_e32 v1, s22, v17
	v_add_nc_u32_e32 v2, s40, v17
	s_delay_alu instid0(VALU_DEP_2) | instskip(NEXT) | instid1(VALU_DEP_2)
	v_mul_lo_u32 v1, v1, s21
	v_mul_lo_u32 v2, v2, s23
	s_delay_alu instid0(VALU_DEP_1) | instskip(NEXT) | instid1(VALU_DEP_1)
	v_sub_nc_u32_e32 v1, v1, v2
	v_cmp_lt_u32_e64 s0, s41, v1
	s_delay_alu instid0(VALU_DEP_1)
	s_and_b32 s2, s0, exec_lo
; %bb.40:
	s_or_b32 exec_lo, exec_lo, s6
	v_cndmask_b32_e64 v33, 0, 1, vcc_lo
	v_cndmask_b32_e64 v34, 0, 1, s2
.LBB1283_41:
	s_or_b32 exec_lo, exec_lo, s1
	v_dual_mov_b32 v36, 0 :: v_dual_add_nc_u32 v1, 2, v28
	v_mov_b32_e32 v31, 0
	s_mov_b32 s2, 0
	s_mov_b32 s1, exec_lo
	s_delay_alu instid0(VALU_DEP_2)
	;; [unrolled: 35-line block ×4, first 2 shown]
	v_cmpx_gt_u32_e64 s3, v1
	s_cbranch_execz .LBB1283_53
; %bb.50:
	v_add_nc_u32_e32 v1, s17, v12
	v_add_nc_u32_e32 v2, s19, v12
	s_mov_b32 s6, exec_lo
	s_delay_alu instid0(VALU_DEP_2) | instskip(NEXT) | instid1(VALU_DEP_2)
	v_mul_lo_u32 v1, v1, s16
	v_mul_lo_u32 v2, v2, s18
	s_delay_alu instid0(VALU_DEP_1) | instskip(NEXT) | instid1(VALU_DEP_1)
	v_sub_nc_u32_e32 v1, v1, v2
	v_cmp_lt_u32_e32 vcc_lo, s20, v1
	v_cmpx_ge_u32_e64 s20, v1
; %bb.51:
	v_add_nc_u32_e32 v1, s22, v12
	v_add_nc_u32_e32 v2, s40, v12
	s_delay_alu instid0(VALU_DEP_2) | instskip(NEXT) | instid1(VALU_DEP_2)
	v_mul_lo_u32 v1, v1, s21
	v_mul_lo_u32 v2, v2, s23
	s_delay_alu instid0(VALU_DEP_1) | instskip(NEXT) | instid1(VALU_DEP_1)
	v_sub_nc_u32_e32 v1, v1, v2
	v_cmp_lt_u32_e64 s0, s41, v1
	s_delay_alu instid0(VALU_DEP_1)
	s_and_b32 s2, s0, exec_lo
; %bb.52:
	s_or_b32 exec_lo, exec_lo, s6
	v_cndmask_b32_e64 v38, 0, 1, vcc_lo
	v_cndmask_b32_e64 v37, 0, 1, s2
.LBB1283_53:
	s_or_b32 exec_lo, exec_lo, s1
	v_add_nc_u32_e32 v1, 5, v28
	v_mov_b32_e32 v39, 0
	v_mov_b32_e32 v41, 0
	s_mov_b32 s2, 0
	s_mov_b32 s1, exec_lo
	v_cmpx_gt_u32_e64 s3, v1
	s_cbranch_execz .LBB1283_57
; %bb.54:
	v_add_nc_u32_e32 v1, s17, v13
	v_add_nc_u32_e32 v2, s19, v13
	s_mov_b32 s6, exec_lo
	s_delay_alu instid0(VALU_DEP_2) | instskip(NEXT) | instid1(VALU_DEP_2)
	v_mul_lo_u32 v1, v1, s16
	v_mul_lo_u32 v2, v2, s18
	s_delay_alu instid0(VALU_DEP_1) | instskip(NEXT) | instid1(VALU_DEP_1)
	v_sub_nc_u32_e32 v1, v1, v2
	v_cmp_lt_u32_e32 vcc_lo, s20, v1
	v_cmpx_ge_u32_e64 s20, v1
; %bb.55:
	v_add_nc_u32_e32 v1, s22, v13
	v_add_nc_u32_e32 v2, s40, v13
	s_delay_alu instid0(VALU_DEP_2) | instskip(NEXT) | instid1(VALU_DEP_2)
	v_mul_lo_u32 v1, v1, s21
	v_mul_lo_u32 v2, v2, s23
	s_delay_alu instid0(VALU_DEP_1) | instskip(NEXT) | instid1(VALU_DEP_1)
	v_sub_nc_u32_e32 v1, v1, v2
	v_cmp_lt_u32_e64 s0, s41, v1
	s_delay_alu instid0(VALU_DEP_1)
	s_and_b32 s2, s0, exec_lo
; %bb.56:
	s_or_b32 exec_lo, exec_lo, s6
	v_cndmask_b32_e64 v41, 0, 1, vcc_lo
	v_cndmask_b32_e64 v39, 0, 1, s2
.LBB1283_57:
	s_or_b32 exec_lo, exec_lo, s1
	v_dual_mov_b32 v40, 0 :: v_dual_add_nc_u32 v1, 6, v28
	v_mov_b32_e32 v42, 0
	s_mov_b32 s2, 0
	s_mov_b32 s1, exec_lo
	s_delay_alu instid0(VALU_DEP_2)
	v_cmpx_gt_u32_e64 s3, v1
	s_cbranch_execz .LBB1283_61
; %bb.58:
	v_add_nc_u32_e32 v1, s17, v10
	v_add_nc_u32_e32 v2, s19, v10
	s_mov_b32 s6, exec_lo
	s_delay_alu instid0(VALU_DEP_2) | instskip(NEXT) | instid1(VALU_DEP_2)
	v_mul_lo_u32 v1, v1, s16
	v_mul_lo_u32 v2, v2, s18
	s_delay_alu instid0(VALU_DEP_1) | instskip(NEXT) | instid1(VALU_DEP_1)
	v_sub_nc_u32_e32 v1, v1, v2
	v_cmp_lt_u32_e32 vcc_lo, s20, v1
	v_cmpx_ge_u32_e64 s20, v1
; %bb.59:
	v_add_nc_u32_e32 v1, s22, v10
	v_add_nc_u32_e32 v2, s40, v10
	s_delay_alu instid0(VALU_DEP_2) | instskip(NEXT) | instid1(VALU_DEP_2)
	v_mul_lo_u32 v1, v1, s21
	v_mul_lo_u32 v2, v2, s23
	s_delay_alu instid0(VALU_DEP_1) | instskip(NEXT) | instid1(VALU_DEP_1)
	v_sub_nc_u32_e32 v1, v1, v2
	v_cmp_lt_u32_e64 s0, s41, v1
	s_delay_alu instid0(VALU_DEP_1)
	s_and_b32 s2, s0, exec_lo
; %bb.60:
	s_or_b32 exec_lo, exec_lo, s6
	v_cndmask_b32_e64 v42, 0, 1, vcc_lo
	v_cndmask_b32_e64 v40, 0, 1, s2
.LBB1283_61:
	s_or_b32 exec_lo, exec_lo, s1
	v_dual_mov_b32 v44, 0 :: v_dual_add_nc_u32 v1, 7, v28
	v_mov_b32_e32 v43, 0
	s_mov_b32 s2, 0
	s_mov_b32 s1, exec_lo
	s_delay_alu instid0(VALU_DEP_2)
	;; [unrolled: 35-line block ×3, first 2 shown]
	v_cmpx_gt_u32_e64 s3, v1
	s_cbranch_execz .LBB1283_69
; %bb.66:
	v_add_nc_u32_e32 v1, s17, v8
	v_add_nc_u32_e32 v2, s19, v8
	s_mov_b32 s6, exec_lo
	s_delay_alu instid0(VALU_DEP_2) | instskip(NEXT) | instid1(VALU_DEP_2)
	v_mul_lo_u32 v1, v1, s16
	v_mul_lo_u32 v2, v2, s18
	s_delay_alu instid0(VALU_DEP_1) | instskip(NEXT) | instid1(VALU_DEP_1)
	v_sub_nc_u32_e32 v1, v1, v2
	v_cmp_lt_u32_e32 vcc_lo, s20, v1
	v_cmpx_ge_u32_e64 s20, v1
; %bb.67:
	v_add_nc_u32_e32 v1, s22, v8
	v_add_nc_u32_e32 v2, s40, v8
	s_delay_alu instid0(VALU_DEP_2) | instskip(NEXT) | instid1(VALU_DEP_2)
	v_mul_lo_u32 v1, v1, s21
	v_mul_lo_u32 v2, v2, s23
	s_delay_alu instid0(VALU_DEP_1) | instskip(NEXT) | instid1(VALU_DEP_1)
	v_sub_nc_u32_e32 v1, v1, v2
	v_cmp_lt_u32_e64 s0, s41, v1
	s_delay_alu instid0(VALU_DEP_1)
	s_and_b32 s2, s0, exec_lo
; %bb.68:
	s_or_b32 exec_lo, exec_lo, s6
	v_cndmask_b32_e64 v46, 0, 1, vcc_lo
	v_cndmask_b32_e64 v45, 0, 1, s2
.LBB1283_69:
	s_or_b32 exec_lo, exec_lo, s1
	v_add_nc_u32_e32 v1, 9, v28
	v_mov_b32_e32 v47, 0
	v_mov_b32_e32 v49, 0
	s_mov_b32 s2, 0
	s_mov_b32 s1, exec_lo
	v_cmpx_gt_u32_e64 s3, v1
	s_cbranch_execz .LBB1283_73
; %bb.70:
	v_add_nc_u32_e32 v1, s17, v9
	v_add_nc_u32_e32 v2, s19, v9
	s_mov_b32 s6, exec_lo
	s_delay_alu instid0(VALU_DEP_2) | instskip(NEXT) | instid1(VALU_DEP_2)
	v_mul_lo_u32 v1, v1, s16
	v_mul_lo_u32 v2, v2, s18
	s_delay_alu instid0(VALU_DEP_1) | instskip(NEXT) | instid1(VALU_DEP_1)
	v_sub_nc_u32_e32 v1, v1, v2
	v_cmp_lt_u32_e32 vcc_lo, s20, v1
	v_cmpx_ge_u32_e64 s20, v1
; %bb.71:
	v_add_nc_u32_e32 v1, s22, v9
	v_add_nc_u32_e32 v2, s40, v9
	s_delay_alu instid0(VALU_DEP_2) | instskip(NEXT) | instid1(VALU_DEP_2)
	v_mul_lo_u32 v1, v1, s21
	v_mul_lo_u32 v2, v2, s23
	s_delay_alu instid0(VALU_DEP_1) | instskip(NEXT) | instid1(VALU_DEP_1)
	v_sub_nc_u32_e32 v1, v1, v2
	v_cmp_lt_u32_e64 s0, s41, v1
	s_delay_alu instid0(VALU_DEP_1)
	s_and_b32 s2, s0, exec_lo
; %bb.72:
	s_or_b32 exec_lo, exec_lo, s6
	v_cndmask_b32_e64 v49, 0, 1, vcc_lo
	v_cndmask_b32_e64 v47, 0, 1, s2
.LBB1283_73:
	s_or_b32 exec_lo, exec_lo, s1
	v_dual_mov_b32 v48, 0 :: v_dual_add_nc_u32 v1, 10, v28
	v_mov_b32_e32 v50, 0
	s_mov_b32 s2, 0
	s_mov_b32 s1, exec_lo
	s_delay_alu instid0(VALU_DEP_2)
	v_cmpx_gt_u32_e64 s3, v1
	s_cbranch_execz .LBB1283_77
; %bb.74:
	v_add_nc_u32_e32 v1, s17, v6
	v_add_nc_u32_e32 v2, s19, v6
	s_mov_b32 s6, exec_lo
	s_delay_alu instid0(VALU_DEP_2) | instskip(NEXT) | instid1(VALU_DEP_2)
	v_mul_lo_u32 v1, v1, s16
	v_mul_lo_u32 v2, v2, s18
	s_delay_alu instid0(VALU_DEP_1) | instskip(NEXT) | instid1(VALU_DEP_1)
	v_sub_nc_u32_e32 v1, v1, v2
	v_cmp_lt_u32_e32 vcc_lo, s20, v1
	v_cmpx_ge_u32_e64 s20, v1
; %bb.75:
	v_add_nc_u32_e32 v1, s22, v6
	v_add_nc_u32_e32 v2, s40, v6
	s_delay_alu instid0(VALU_DEP_2) | instskip(NEXT) | instid1(VALU_DEP_2)
	v_mul_lo_u32 v1, v1, s21
	v_mul_lo_u32 v2, v2, s23
	s_delay_alu instid0(VALU_DEP_1) | instskip(NEXT) | instid1(VALU_DEP_1)
	v_sub_nc_u32_e32 v1, v1, v2
	v_cmp_lt_u32_e64 s0, s41, v1
	s_delay_alu instid0(VALU_DEP_1)
	s_and_b32 s2, s0, exec_lo
; %bb.76:
	s_or_b32 exec_lo, exec_lo, s6
	v_cndmask_b32_e64 v50, 0, 1, vcc_lo
	v_cndmask_b32_e64 v48, 0, 1, s2
.LBB1283_77:
	s_or_b32 exec_lo, exec_lo, s1
	v_dual_mov_b32 v52, 0 :: v_dual_add_nc_u32 v1, 11, v28
	v_mov_b32_e32 v51, 0
	s_mov_b32 s2, 0
	s_mov_b32 s1, exec_lo
	s_delay_alu instid0(VALU_DEP_2)
	v_cmpx_gt_u32_e64 s3, v1
	s_cbranch_execz .LBB1283_81
; %bb.78:
	v_add_nc_u32_e32 v1, s17, v7
	v_add_nc_u32_e32 v2, s19, v7
	s_mov_b32 s6, exec_lo
	s_delay_alu instid0(VALU_DEP_2) | instskip(NEXT) | instid1(VALU_DEP_2)
	v_mul_lo_u32 v1, v1, s16
	v_mul_lo_u32 v2, v2, s18
	s_delay_alu instid0(VALU_DEP_1) | instskip(NEXT) | instid1(VALU_DEP_1)
	v_sub_nc_u32_e32 v1, v1, v2
	v_cmp_lt_u32_e32 vcc_lo, s20, v1
	v_cmpx_ge_u32_e64 s20, v1
; %bb.79:
	v_add_nc_u32_e32 v1, s22, v7
	v_add_nc_u32_e32 v2, s40, v7
	s_delay_alu instid0(VALU_DEP_2) | instskip(NEXT) | instid1(VALU_DEP_2)
	v_mul_lo_u32 v1, v1, s21
	v_mul_lo_u32 v2, v2, s23
	s_delay_alu instid0(VALU_DEP_1) | instskip(NEXT) | instid1(VALU_DEP_1)
	v_sub_nc_u32_e32 v1, v1, v2
	v_cmp_lt_u32_e64 s0, s41, v1
	s_delay_alu instid0(VALU_DEP_1)
	s_and_b32 s2, s0, exec_lo
; %bb.80:
	s_or_b32 exec_lo, exec_lo, s6
	v_cndmask_b32_e64 v51, 0, 1, vcc_lo
	v_cndmask_b32_e64 v52, 0, 1, s2
.LBB1283_81:
	s_or_b32 exec_lo, exec_lo, s1
	v_add_nc_u32_e32 v1, 12, v28
	s_mov_b32 s42, 0
	s_mov_b32 s43, 0
	s_mov_b32 s0, exec_lo
	s_delay_alu instid0(VALU_DEP_1)
	v_cmpx_gt_u32_e64 s3, v1
	s_cbranch_execz .LBB1283_85
; %bb.82:
	v_add_nc_u32_e32 v1, s17, v27
	v_add_nc_u32_e32 v2, s19, v27
	s_mov_b32 s2, -1
	s_mov_b32 s6, 0
	s_mov_b32 s1, exec_lo
	v_mul_lo_u32 v1, v1, s16
	v_mul_lo_u32 v2, v2, s18
	s_delay_alu instid0(VALU_DEP_1) | instskip(NEXT) | instid1(VALU_DEP_1)
	v_sub_nc_u32_e32 v1, v1, v2
	v_cmpx_ge_u32_e64 s20, v1
; %bb.83:
	v_add_nc_u32_e32 v1, s22, v27
	v_add_nc_u32_e32 v2, s40, v27
	s_xor_b32 s2, exec_lo, -1
	s_delay_alu instid0(VALU_DEP_2) | instskip(NEXT) | instid1(VALU_DEP_2)
	v_mul_lo_u32 v1, v1, s21
	v_mul_lo_u32 v2, v2, s23
	s_delay_alu instid0(VALU_DEP_1) | instskip(NEXT) | instid1(VALU_DEP_1)
	v_sub_nc_u32_e32 v1, v1, v2
	v_cmp_lt_u32_e32 vcc_lo, s41, v1
	s_and_b32 s6, vcc_lo, exec_lo
; %bb.84:
	s_or_b32 exec_lo, exec_lo, s1
	s_delay_alu instid0(SALU_CYCLE_1)
	s_and_b32 s43, s6, exec_lo
	s_and_b32 s42, s2, exec_lo
.LBB1283_85:
	s_or_b32 exec_lo, exec_lo, s0
.LBB1283_86:
	v_and_b32_e32 v75, 0xff, v29
	v_and_b32_e32 v76, 0xff, v30
	;; [unrolled: 1-line block ×10, first 2 shown]
	v_add3_u32 v1, v71, v73, v75
	v_add3_u32 v2, v72, v74, v76
	v_and_b32_e32 v65, 0xff, v41
	v_and_b32_e32 v66, 0xff, v39
	v_and_b32_e32 v61, 0xff, v42
	v_and_b32_e32 v62, 0xff, v40
	v_add3_u32 v1, v1, v69, v67
	v_add3_u32 v2, v2, v70, v68
	v_and_b32_e32 v63, 0xff, v44
	v_and_b32_e32 v64, 0xff, v43
	v_and_b32_e32 v59, 0xff, v46
	v_and_b32_e32 v60, 0xff, v45
	;; [unrolled: 6-line block ×3, first 2 shown]
	v_add3_u32 v1, v1, v63, v59
	v_add3_u32 v2, v2, v64, v60
	v_mbcnt_lo_u32_b32 v77, -1, 0
	v_and_b32_e32 v53, 0xff, v51
	v_and_b32_e32 v54, 0xff, v52
	v_cndmask_b32_e64 v3, 0, 1, s43
	v_add3_u32 v1, v1, v57, v55
	v_cndmask_b32_e64 v4, 0, 1, s42
	v_add3_u32 v2, v2, v58, v56
	v_and_b32_e32 v81, 15, v77
	v_and_b32_e32 v80, 16, v77
	v_lshrrev_b32_e32 v78, 5, v0
	v_add3_u32 v82, v1, v53, v4
	v_add3_u32 v83, v2, v54, v3
	v_cmp_eq_u32_e64 s1, 0, v81
	v_cmp_lt_u32_e64 s0, 1, v81
	v_cmp_lt_u32_e64 s2, 3, v81
	v_cmp_lt_u32_e32 vcc_lo, 7, v81
	v_or_b32_e32 v79, 31, v0
	s_cmp_lg_u32 s15, 0
	s_mov_b32 s6, -1
	s_cbranch_scc0 .LBB1283_119
; %bb.87:
	v_mov_b32_dpp v1, v83 row_shr:1 row_mask:0xf bank_mask:0xf
	v_mov_b32_dpp v2, v82 row_shr:1 row_mask:0xf bank_mask:0xf
	s_delay_alu instid0(VALU_DEP_2) | instskip(NEXT) | instid1(VALU_DEP_1)
	v_add_nc_u32_e32 v1, v1, v83
	v_cndmask_b32_e64 v1, v1, v83, s1
	s_delay_alu instid0(VALU_DEP_1) | instskip(NEXT) | instid1(VALU_DEP_1)
	v_mov_b32_dpp v3, v1 row_shr:2 row_mask:0xf bank_mask:0xf
	v_add_nc_u32_e32 v3, v1, v3
	s_delay_alu instid0(VALU_DEP_1) | instskip(NEXT) | instid1(VALU_DEP_1)
	v_cndmask_b32_e64 v1, v1, v3, s0
	v_mov_b32_dpp v3, v1 row_shr:4 row_mask:0xf bank_mask:0xf
	s_delay_alu instid0(VALU_DEP_1) | instskip(NEXT) | instid1(VALU_DEP_1)
	v_add_nc_u32_e32 v3, v1, v3
	v_cndmask_b32_e64 v1, v1, v3, s2
	s_delay_alu instid0(VALU_DEP_1) | instskip(NEXT) | instid1(VALU_DEP_1)
	v_mov_b32_dpp v3, v1 row_shr:8 row_mask:0xf bank_mask:0xf
	v_add_nc_u32_e32 v3, v1, v3
	s_delay_alu instid0(VALU_DEP_1) | instskip(NEXT) | instid1(VALU_DEP_1)
	v_dual_cndmask_b32 v1, v1, v3 :: v_dual_add_nc_u32 v2, v2, v82
	v_cndmask_b32_e64 v2, v2, v82, s1
	s_delay_alu instid0(VALU_DEP_1) | instskip(NEXT) | instid1(VALU_DEP_1)
	v_mov_b32_dpp v4, v2 row_shr:2 row_mask:0xf bank_mask:0xf
	v_add_nc_u32_e32 v4, v2, v4
	s_delay_alu instid0(VALU_DEP_1) | instskip(NEXT) | instid1(VALU_DEP_1)
	v_cndmask_b32_e64 v2, v2, v4, s0
	v_mov_b32_dpp v4, v2 row_shr:4 row_mask:0xf bank_mask:0xf
	s_delay_alu instid0(VALU_DEP_1) | instskip(NEXT) | instid1(VALU_DEP_1)
	v_add_nc_u32_e32 v4, v2, v4
	v_cndmask_b32_e64 v2, v2, v4, s2
	s_mov_b32 s2, exec_lo
	s_delay_alu instid0(VALU_DEP_1) | instskip(NEXT) | instid1(VALU_DEP_1)
	v_mov_b32_dpp v4, v2 row_shr:8 row_mask:0xf bank_mask:0xf
	v_add_nc_u32_e32 v4, v2, v4
	s_delay_alu instid0(VALU_DEP_1)
	v_cndmask_b32_e32 v3, v2, v4, vcc_lo
	ds_swizzle_b32 v2, v1 offset:swizzle(BROADCAST,32,15)
	v_cmp_eq_u32_e32 vcc_lo, 0, v80
	s_waitcnt lgkmcnt(0)
	v_add_nc_u32_e32 v2, v1, v2
	ds_swizzle_b32 v4, v3 offset:swizzle(BROADCAST,32,15)
	v_cndmask_b32_e32 v2, v2, v1, vcc_lo
	s_waitcnt lgkmcnt(0)
	v_add_nc_u32_e32 v4, v3, v4
	s_delay_alu instid0(VALU_DEP_1)
	v_cndmask_b32_e32 v1, v4, v3, vcc_lo
	v_cmpx_eq_u32_e64 v79, v0
	s_cbranch_execz .LBB1283_89
; %bb.88:
	v_lshlrev_b32_e32 v3, 3, v78
	ds_store_b64 v3, v[1:2]
.LBB1283_89:
	s_or_b32 exec_lo, exec_lo, s2
	s_delay_alu instid0(SALU_CYCLE_1)
	s_mov_b32 s2, exec_lo
	s_waitcnt lgkmcnt(0)
	s_barrier
	buffer_gl0_inv
	v_cmpx_gt_u32_e32 8, v0
	s_cbranch_execz .LBB1283_91
; %bb.90:
	v_lshlrev_b32_e32 v5, 3, v0
	ds_load_b64 v[3:4], v5
	s_waitcnt lgkmcnt(0)
	v_mov_b32_dpp v18, v3 row_shr:1 row_mask:0xf bank_mask:0xf
	v_mov_b32_dpp v19, v4 row_shr:1 row_mask:0xf bank_mask:0xf
	s_delay_alu instid0(VALU_DEP_2) | instskip(SKIP_1) | instid1(VALU_DEP_3)
	v_add_nc_u32_e32 v18, v18, v3
	v_and_b32_e32 v20, 7, v77
	v_add_nc_u32_e32 v19, v19, v4
	s_delay_alu instid0(VALU_DEP_2) | instskip(NEXT) | instid1(VALU_DEP_2)
	v_cmp_eq_u32_e32 vcc_lo, 0, v20
	v_dual_cndmask_b32 v4, v19, v4 :: v_dual_cndmask_b32 v3, v18, v3
	v_cmp_lt_u32_e32 vcc_lo, 1, v20
	s_delay_alu instid0(VALU_DEP_2) | instskip(NEXT) | instid1(VALU_DEP_3)
	v_mov_b32_dpp v19, v4 row_shr:2 row_mask:0xf bank_mask:0xf
	v_mov_b32_dpp v18, v3 row_shr:2 row_mask:0xf bank_mask:0xf
	s_delay_alu instid0(VALU_DEP_2) | instskip(NEXT) | instid1(VALU_DEP_2)
	v_add_nc_u32_e32 v19, v4, v19
	v_add_nc_u32_e32 v18, v3, v18
	s_delay_alu instid0(VALU_DEP_1) | instskip(SKIP_1) | instid1(VALU_DEP_2)
	v_dual_cndmask_b32 v4, v4, v19 :: v_dual_cndmask_b32 v3, v3, v18
	v_cmp_lt_u32_e32 vcc_lo, 3, v20
	v_mov_b32_dpp v19, v4 row_shr:4 row_mask:0xf bank_mask:0xf
	s_delay_alu instid0(VALU_DEP_3) | instskip(NEXT) | instid1(VALU_DEP_1)
	v_mov_b32_dpp v18, v3 row_shr:4 row_mask:0xf bank_mask:0xf
	v_dual_cndmask_b32 v19, 0, v19 :: v_dual_cndmask_b32 v18, 0, v18
	s_delay_alu instid0(VALU_DEP_1) | instskip(NEXT) | instid1(VALU_DEP_2)
	v_add_nc_u32_e32 v4, v19, v4
	v_add_nc_u32_e32 v3, v18, v3
	ds_store_b64 v5, v[3:4]
.LBB1283_91:
	s_or_b32 exec_lo, exec_lo, s2
	v_cmp_gt_u32_e32 vcc_lo, 32, v0
	v_cmp_lt_u32_e64 s2, 31, v0
	s_waitcnt lgkmcnt(0)
	s_barrier
	buffer_gl0_inv
                                        ; implicit-def: $vgpr19
	s_and_saveexec_b32 s6, s2
	s_delay_alu instid0(SALU_CYCLE_1)
	s_xor_b32 s2, exec_lo, s6
	s_cbranch_execz .LBB1283_93
; %bb.92:
	v_lshl_add_u32 v3, v78, 3, -8
	ds_load_b64 v[18:19], v3
	s_waitcnt lgkmcnt(0)
	v_add_nc_u32_e32 v2, v19, v2
	v_add_nc_u32_e32 v1, v18, v1
.LBB1283_93:
	s_and_not1_saveexec_b32 s2, s2
; %bb.94:
                                        ; implicit-def: $vgpr18
; %bb.95:
	s_delay_alu instid0(SALU_CYCLE_1) | instskip(SKIP_1) | instid1(VALU_DEP_1)
	s_or_b32 exec_lo, exec_lo, s2
	v_add_nc_u32_e32 v3, -1, v77
	v_cmp_gt_i32_e64 s2, 0, v3
	s_delay_alu instid0(VALU_DEP_1) | instskip(SKIP_1) | instid1(VALU_DEP_2)
	v_cndmask_b32_e64 v3, v3, v77, s2
	v_cmp_eq_u32_e64 s2, 0, v77
	v_lshlrev_b32_e32 v3, 2, v3
	ds_bpermute_b32 v84, v3, v1
	ds_bpermute_b32 v85, v3, v2
	s_and_saveexec_b32 s6, vcc_lo
	s_cbranch_execz .LBB1283_118
; %bb.96:
	v_mov_b32_e32 v4, 0
	ds_load_b64 v[1:2], v4 offset:56
	s_waitcnt lgkmcnt(0)
	v_readfirstlane_b32 s7, v2
	s_and_saveexec_b32 s8, s2
	s_cbranch_execz .LBB1283_98
; %bb.97:
	s_add_i32 s10, s15, 32
	s_mov_b32 s11, 0
	v_mov_b32_e32 v3, 1
	s_lshl_b64 s[12:13], s[10:11], 4
	s_mov_b32 s16, s11
	s_add_u32 s12, s4, s12
	s_addc_u32 s13, s5, s13
	s_and_b32 s17, s7, 0xff000000
	s_and_b32 s19, s7, 0xff0000
	s_mov_b32 s18, s11
	v_dual_mov_b32 v21, s13 :: v_dual_mov_b32 v20, s12
	s_or_b64 s[16:17], s[18:19], s[16:17]
	s_and_b32 s19, s7, 0xff00
	s_delay_alu instid0(SALU_CYCLE_1) | instskip(SKIP_1) | instid1(SALU_CYCLE_1)
	s_or_b64 s[16:17], s[16:17], s[18:19]
	s_and_b32 s19, s7, 0xff
	s_or_b64 s[10:11], s[16:17], s[18:19]
	s_delay_alu instid0(SALU_CYCLE_1)
	v_mov_b32_e32 v2, s11
	;;#ASMSTART
	global_store_dwordx4 v[20:21], v[1:4] off	
s_waitcnt vmcnt(0)
	;;#ASMEND
.LBB1283_98:
	s_or_b32 exec_lo, exec_lo, s8
	v_xad_u32 v20, v77, -1, s15
	s_mov_b32 s9, 0
	s_mov_b32 s8, exec_lo
	s_delay_alu instid0(VALU_DEP_1) | instskip(NEXT) | instid1(VALU_DEP_1)
	v_add_nc_u32_e32 v3, 32, v20
	v_lshlrev_b64 v[2:3], 4, v[3:4]
	s_delay_alu instid0(VALU_DEP_1) | instskip(NEXT) | instid1(VALU_DEP_2)
	v_add_co_u32 v21, vcc_lo, s4, v2
	v_add_co_ci_u32_e32 v22, vcc_lo, s5, v3, vcc_lo
	;;#ASMSTART
	global_load_dwordx4 v[2:5], v[21:22] off glc	
s_waitcnt vmcnt(0)
	;;#ASMEND
	v_and_b32_e32 v5, 0xff, v3
	v_and_b32_e32 v23, 0xff00, v3
	v_or3_b32 v2, v2, 0, 0
	v_and_b32_e32 v24, 0xff000000, v3
	v_and_b32_e32 v3, 0xff0000, v3
	s_delay_alu instid0(VALU_DEP_4) | instskip(SKIP_2) | instid1(VALU_DEP_3)
	v_or3_b32 v5, 0, v5, v23
	v_and_b32_e32 v23, 0xff, v4
	v_or3_b32 v2, v2, 0, 0
	v_or3_b32 v3, v5, v3, v24
	s_delay_alu instid0(VALU_DEP_3)
	v_cmpx_eq_u16_e32 0, v23
	s_cbranch_execz .LBB1283_104
; %bb.99:
	s_mov_b32 s10, 1
	.p2align	6
.LBB1283_100:                           ; =>This Loop Header: Depth=1
                                        ;     Child Loop BB1283_101 Depth 2
	s_delay_alu instid0(SALU_CYCLE_1)
	s_max_u32 s11, s10, 1
.LBB1283_101:                           ;   Parent Loop BB1283_100 Depth=1
                                        ; =>  This Inner Loop Header: Depth=2
	s_delay_alu instid0(SALU_CYCLE_1)
	s_add_i32 s11, s11, -1
	s_sleep 1
	s_cmp_eq_u32 s11, 0
	s_cbranch_scc0 .LBB1283_101
; %bb.102:                              ;   in Loop: Header=BB1283_100 Depth=1
	;;#ASMSTART
	global_load_dwordx4 v[2:5], v[21:22] off glc	
s_waitcnt vmcnt(0)
	;;#ASMEND
	v_and_b32_e32 v5, 0xff, v4
	s_cmp_lt_u32 s10, 32
	s_cselect_b32 s11, -1, 0
	s_delay_alu instid0(SALU_CYCLE_1) | instskip(NEXT) | instid1(VALU_DEP_1)
	s_cmp_lg_u32 s11, 0
	v_cmp_ne_u16_e32 vcc_lo, 0, v5
	s_addc_u32 s10, s10, 0
	s_or_b32 s9, vcc_lo, s9
	s_delay_alu instid0(SALU_CYCLE_1)
	s_and_not1_b32 exec_lo, exec_lo, s9
	s_cbranch_execnz .LBB1283_100
; %bb.103:
	s_or_b32 exec_lo, exec_lo, s9
.LBB1283_104:
	s_delay_alu instid0(SALU_CYCLE_1)
	s_or_b32 exec_lo, exec_lo, s8
	v_cmp_ne_u32_e32 vcc_lo, 31, v77
	v_lshlrev_b32_e64 v87, v77, -1
	v_add_nc_u32_e32 v91, 4, v77
	v_add_nc_u32_e32 v93, 8, v77
	;; [unrolled: 1-line block ×3, first 2 shown]
	v_add_co_ci_u32_e32 v5, vcc_lo, 0, v77, vcc_lo
	s_delay_alu instid0(VALU_DEP_1)
	v_lshlrev_b32_e32 v86, 2, v5
	ds_bpermute_b32 v21, v86, v3
	ds_bpermute_b32 v5, v86, v2
	s_waitcnt lgkmcnt(1)
	v_add_nc_u32_e32 v21, v21, v3
	v_and_b32_e32 v22, 0xff, v4
	s_waitcnt lgkmcnt(0)
	v_add_nc_u32_e32 v5, v5, v2
	s_delay_alu instid0(VALU_DEP_2) | instskip(SKIP_2) | instid1(VALU_DEP_2)
	v_cmp_eq_u16_e32 vcc_lo, 2, v22
	v_and_or_b32 v22, vcc_lo, v87, 0x80000000
	v_cmp_gt_u32_e32 vcc_lo, 30, v77
	v_ctz_i32_b32_e32 v22, v22
	v_cndmask_b32_e64 v23, 0, 1, vcc_lo
	s_delay_alu instid0(VALU_DEP_2) | instskip(NEXT) | instid1(VALU_DEP_2)
	v_cmp_lt_u32_e32 vcc_lo, v77, v22
	v_dual_cndmask_b32 v2, v2, v5 :: v_dual_lshlrev_b32 v23, 1, v23
	s_delay_alu instid0(VALU_DEP_1)
	v_add_lshl_u32 v88, v23, v77, 2
	v_cndmask_b32_e32 v3, v3, v21, vcc_lo
	v_cmp_gt_u32_e32 vcc_lo, 28, v77
	ds_bpermute_b32 v5, v88, v2
	ds_bpermute_b32 v21, v88, v3
	v_cndmask_b32_e64 v23, 0, 1, vcc_lo
	s_waitcnt lgkmcnt(1)
	v_add_nc_u32_e32 v5, v2, v5
	v_add_nc_u32_e32 v89, 2, v77
	s_waitcnt lgkmcnt(0)
	v_add_nc_u32_e32 v21, v3, v21
	s_delay_alu instid0(VALU_DEP_2) | instskip(SKIP_1) | instid1(VALU_DEP_3)
	v_cmp_gt_u32_e32 vcc_lo, v89, v22
	v_dual_cndmask_b32 v2, v5, v2 :: v_dual_lshlrev_b32 v23, 2, v23
	v_cndmask_b32_e32 v3, v21, v3, vcc_lo
	v_cmp_gt_u32_e32 vcc_lo, 24, v77
	s_delay_alu instid0(VALU_DEP_3)
	v_add_lshl_u32 v90, v23, v77, 2
	v_cndmask_b32_e64 v23, 0, 1, vcc_lo
	v_cmp_gt_u32_e32 vcc_lo, v91, v22
	ds_bpermute_b32 v5, v90, v2
	ds_bpermute_b32 v21, v90, v3
	v_lshlrev_b32_e32 v23, 3, v23
	s_delay_alu instid0(VALU_DEP_1) | instskip(SKIP_3) | instid1(VALU_DEP_1)
	v_add_lshl_u32 v92, v23, v77, 2
	s_waitcnt lgkmcnt(1)
	v_add_nc_u32_e32 v5, v2, v5
	s_waitcnt lgkmcnt(0)
	v_dual_cndmask_b32 v2, v5, v2 :: v_dual_add_nc_u32 v21, v3, v21
	s_delay_alu instid0(VALU_DEP_1)
	v_cndmask_b32_e32 v3, v21, v3, vcc_lo
	v_cmp_gt_u32_e32 vcc_lo, 16, v77
	ds_bpermute_b32 v5, v92, v2
	ds_bpermute_b32 v21, v92, v3
	v_cndmask_b32_e64 v23, 0, 1, vcc_lo
	v_cmp_gt_u32_e32 vcc_lo, v93, v22
	s_delay_alu instid0(VALU_DEP_2) | instskip(NEXT) | instid1(VALU_DEP_1)
	v_lshlrev_b32_e32 v23, 4, v23
	v_add_lshl_u32 v94, v23, v77, 2
	s_waitcnt lgkmcnt(1)
	v_add_nc_u32_e32 v5, v2, v5
	s_waitcnt lgkmcnt(0)
	s_delay_alu instid0(VALU_DEP_1) | instskip(NEXT) | instid1(VALU_DEP_1)
	v_dual_cndmask_b32 v2, v5, v2 :: v_dual_add_nc_u32 v21, v3, v21
	v_cndmask_b32_e32 v3, v21, v3, vcc_lo
	v_cmp_le_u32_e32 vcc_lo, v95, v22
	ds_bpermute_b32 v5, v94, v2
	ds_bpermute_b32 v21, v94, v3
	s_waitcnt lgkmcnt(1)
	v_cndmask_b32_e32 v5, 0, v5, vcc_lo
	s_waitcnt lgkmcnt(0)
	s_delay_alu instid0(VALU_DEP_1) | instskip(NEXT) | instid1(VALU_DEP_1)
	v_dual_cndmask_b32 v21, 0, v21 :: v_dual_add_nc_u32 v2, v5, v2
	v_add_nc_u32_e32 v3, v21, v3
	v_mov_b32_e32 v21, 0
	s_branch .LBB1283_106
.LBB1283_105:                           ;   in Loop: Header=BB1283_106 Depth=1
	s_or_b32 exec_lo, exec_lo, s8
	ds_bpermute_b32 v5, v86, v2
	ds_bpermute_b32 v24, v86, v3
	v_subrev_nc_u32_e32 v20, 32, v20
	s_waitcnt lgkmcnt(1)
	v_add_nc_u32_e32 v5, v5, v2
	v_and_b32_e32 v25, 0xff, v4
	s_waitcnt lgkmcnt(0)
	v_add_nc_u32_e32 v24, v24, v3
	s_delay_alu instid0(VALU_DEP_2) | instskip(SKIP_1) | instid1(VALU_DEP_1)
	v_cmp_eq_u16_e32 vcc_lo, 2, v25
	v_and_or_b32 v25, vcc_lo, v87, 0x80000000
	v_ctz_i32_b32_e32 v25, v25
	s_delay_alu instid0(VALU_DEP_1)
	v_cmp_lt_u32_e32 vcc_lo, v77, v25
	v_cndmask_b32_e32 v2, v2, v5, vcc_lo
	ds_bpermute_b32 v5, v88, v2
	s_waitcnt lgkmcnt(0)
	v_add_nc_u32_e32 v5, v2, v5
	v_cndmask_b32_e32 v3, v3, v24, vcc_lo
	v_cmp_gt_u32_e32 vcc_lo, v89, v25
	s_delay_alu instid0(VALU_DEP_3)
	v_cndmask_b32_e32 v2, v5, v2, vcc_lo
	ds_bpermute_b32 v24, v88, v3
	ds_bpermute_b32 v5, v90, v2
	s_waitcnt lgkmcnt(1)
	v_add_nc_u32_e32 v24, v3, v24
	s_waitcnt lgkmcnt(0)
	v_add_nc_u32_e32 v5, v2, v5
	s_delay_alu instid0(VALU_DEP_2) | instskip(SKIP_1) | instid1(VALU_DEP_3)
	v_cndmask_b32_e32 v3, v24, v3, vcc_lo
	v_cmp_gt_u32_e32 vcc_lo, v91, v25
	v_cndmask_b32_e32 v2, v5, v2, vcc_lo
	ds_bpermute_b32 v24, v90, v3
	ds_bpermute_b32 v5, v92, v2
	s_waitcnt lgkmcnt(1)
	v_add_nc_u32_e32 v24, v3, v24
	s_waitcnt lgkmcnt(0)
	v_add_nc_u32_e32 v5, v2, v5
	s_delay_alu instid0(VALU_DEP_2) | instskip(SKIP_1) | instid1(VALU_DEP_3)
	v_cndmask_b32_e32 v3, v24, v3, vcc_lo
	v_cmp_gt_u32_e32 vcc_lo, v93, v25
	v_cndmask_b32_e32 v2, v5, v2, vcc_lo
	ds_bpermute_b32 v24, v92, v3
	ds_bpermute_b32 v5, v94, v2
	s_waitcnt lgkmcnt(1)
	v_add_nc_u32_e32 v24, v3, v24
	s_delay_alu instid0(VALU_DEP_1) | instskip(SKIP_4) | instid1(VALU_DEP_1)
	v_cndmask_b32_e32 v3, v24, v3, vcc_lo
	v_cmp_le_u32_e32 vcc_lo, v95, v25
	ds_bpermute_b32 v24, v94, v3
	s_waitcnt lgkmcnt(1)
	v_cndmask_b32_e32 v5, 0, v5, vcc_lo
	v_add3_u32 v2, v2, v22, v5
	s_waitcnt lgkmcnt(0)
	v_cndmask_b32_e32 v24, 0, v24, vcc_lo
	s_delay_alu instid0(VALU_DEP_1)
	v_add3_u32 v3, v3, v23, v24
.LBB1283_106:                           ; =>This Loop Header: Depth=1
                                        ;     Child Loop BB1283_109 Depth 2
                                        ;       Child Loop BB1283_110 Depth 3
	s_delay_alu instid0(VALU_DEP_1) | instskip(SKIP_1) | instid1(VALU_DEP_2)
	v_dual_mov_b32 v23, v3 :: v_dual_and_b32 v4, 0xff, v4
	v_mov_b32_e32 v22, v2
	v_cmp_ne_u16_e32 vcc_lo, 2, v4
	v_cndmask_b32_e64 v4, 0, 1, vcc_lo
	;;#ASMSTART
	;;#ASMEND
	s_delay_alu instid0(VALU_DEP_1)
	v_cmp_ne_u32_e32 vcc_lo, 0, v4
	s_cmp_lg_u32 vcc_lo, exec_lo
	s_cbranch_scc1 .LBB1283_113
; %bb.107:                              ;   in Loop: Header=BB1283_106 Depth=1
	v_lshlrev_b64 v[2:3], 4, v[20:21]
	s_mov_b32 s8, exec_lo
	s_delay_alu instid0(VALU_DEP_1) | instskip(NEXT) | instid1(VALU_DEP_2)
	v_add_co_u32 v24, vcc_lo, s4, v2
	v_add_co_ci_u32_e32 v25, vcc_lo, s5, v3, vcc_lo
	;;#ASMSTART
	global_load_dwordx4 v[2:5], v[24:25] off glc	
s_waitcnt vmcnt(0)
	;;#ASMEND
	v_and_b32_e32 v5, 0xff, v3
	v_and_b32_e32 v96, 0xff00, v3
	v_or3_b32 v2, v2, 0, 0
	v_and_b32_e32 v97, 0xff000000, v3
	v_and_b32_e32 v3, 0xff0000, v3
	s_delay_alu instid0(VALU_DEP_4) | instskip(SKIP_2) | instid1(VALU_DEP_3)
	v_or3_b32 v5, 0, v5, v96
	v_and_b32_e32 v96, 0xff, v4
	v_or3_b32 v2, v2, 0, 0
	v_or3_b32 v3, v5, v3, v97
	s_delay_alu instid0(VALU_DEP_3)
	v_cmpx_eq_u16_e32 0, v96
	s_cbranch_execz .LBB1283_105
; %bb.108:                              ;   in Loop: Header=BB1283_106 Depth=1
	s_mov_b32 s10, 1
	s_mov_b32 s9, 0
	.p2align	6
.LBB1283_109:                           ;   Parent Loop BB1283_106 Depth=1
                                        ; =>  This Loop Header: Depth=2
                                        ;       Child Loop BB1283_110 Depth 3
	s_max_u32 s11, s10, 1
.LBB1283_110:                           ;   Parent Loop BB1283_106 Depth=1
                                        ;     Parent Loop BB1283_109 Depth=2
                                        ; =>    This Inner Loop Header: Depth=3
	s_delay_alu instid0(SALU_CYCLE_1)
	s_add_i32 s11, s11, -1
	s_sleep 1
	s_cmp_eq_u32 s11, 0
	s_cbranch_scc0 .LBB1283_110
; %bb.111:                              ;   in Loop: Header=BB1283_109 Depth=2
	;;#ASMSTART
	global_load_dwordx4 v[2:5], v[24:25] off glc	
s_waitcnt vmcnt(0)
	;;#ASMEND
	v_and_b32_e32 v5, 0xff, v4
	s_cmp_lt_u32 s10, 32
	s_cselect_b32 s11, -1, 0
	s_delay_alu instid0(SALU_CYCLE_1) | instskip(NEXT) | instid1(VALU_DEP_1)
	s_cmp_lg_u32 s11, 0
	v_cmp_ne_u16_e32 vcc_lo, 0, v5
	s_addc_u32 s10, s10, 0
	s_or_b32 s9, vcc_lo, s9
	s_delay_alu instid0(SALU_CYCLE_1)
	s_and_not1_b32 exec_lo, exec_lo, s9
	s_cbranch_execnz .LBB1283_109
; %bb.112:                              ;   in Loop: Header=BB1283_106 Depth=1
	s_or_b32 exec_lo, exec_lo, s9
	s_branch .LBB1283_105
.LBB1283_113:                           ;   in Loop: Header=BB1283_106 Depth=1
                                        ; implicit-def: $vgpr4
                                        ; implicit-def: $vgpr2_vgpr3
	s_cbranch_execz .LBB1283_106
; %bb.114:
	s_and_saveexec_b32 s8, s2
	s_cbranch_execnz .LBB1283_357
; %bb.115:
	s_or_b32 exec_lo, exec_lo, s8
	s_and_saveexec_b32 s8, s2
	s_cbranch_execnz .LBB1283_358
.LBB1283_116:
	s_or_b32 exec_lo, exec_lo, s8
	v_cmp_eq_u32_e32 vcc_lo, 0, v0
	s_and_b32 exec_lo, exec_lo, vcc_lo
	s_cbranch_execz .LBB1283_118
.LBB1283_117:
	v_mov_b32_e32 v1, 0
	ds_store_b64 v1, v[22:23] offset:56
.LBB1283_118:
	s_or_b32 exec_lo, exec_lo, s6
	v_cmp_eq_u32_e32 vcc_lo, 0, v0
	v_mov_b32_e32 v1, 0
	s_waitcnt lgkmcnt(0)
	s_barrier
	buffer_gl0_inv
	v_add_nc_u32_e64 v3, 0x3400, 0
	ds_load_b64 v[20:21], v1 offset:56
	s_waitcnt lgkmcnt(0)
	s_barrier
	buffer_gl0_inv
	ds_load_2addr_b32 v[1:2], v3 offset1:2
	ds_load_2addr_b32 v[3:4], v3 offset0:4 offset1:6
	v_cndmask_b32_e64 v5, v84, v18, s2
	v_cndmask_b32_e64 v18, v85, v19, s2
	s_delay_alu instid0(VALU_DEP_2) | instskip(NEXT) | instid1(VALU_DEP_1)
	v_add_nc_u32_e32 v19, v20, v5
	v_dual_cndmask_b32 v20, v19, v20 :: v_dual_add_nc_u32 v5, v21, v18
	s_delay_alu instid0(VALU_DEP_1)
	v_cndmask_b32_e32 v5, v5, v21, vcc_lo
	s_branch .LBB1283_129
.LBB1283_119:
                                        ; implicit-def: $vgpr5
                                        ; implicit-def: $vgpr3
                                        ; implicit-def: $vgpr1
                                        ; implicit-def: $vgpr20_vgpr21
	s_and_b32 vcc_lo, exec_lo, s6
	s_cbranch_vccz .LBB1283_129
; %bb.120:
	s_waitcnt lgkmcnt(0)
	v_mov_b32_dpp v2, v83 row_shr:1 row_mask:0xf bank_mask:0xf
	v_cmp_lt_u32_e32 vcc_lo, 3, v81
	v_mov_b32_dpp v1, v82 row_shr:1 row_mask:0xf bank_mask:0xf
	s_delay_alu instid0(VALU_DEP_3) | instskip(NEXT) | instid1(VALU_DEP_1)
	v_add_nc_u32_e32 v2, v2, v83
	v_cndmask_b32_e64 v2, v2, v83, s1
	s_delay_alu instid0(VALU_DEP_1) | instskip(NEXT) | instid1(VALU_DEP_1)
	v_mov_b32_dpp v4, v2 row_shr:2 row_mask:0xf bank_mask:0xf
	v_add_nc_u32_e32 v4, v2, v4
	s_delay_alu instid0(VALU_DEP_1) | instskip(NEXT) | instid1(VALU_DEP_1)
	v_cndmask_b32_e64 v2, v2, v4, s0
	v_mov_b32_dpp v4, v2 row_shr:4 row_mask:0xf bank_mask:0xf
	s_delay_alu instid0(VALU_DEP_1) | instskip(NEXT) | instid1(VALU_DEP_1)
	v_add_nc_u32_e32 v4, v2, v4
	v_dual_cndmask_b32 v2, v2, v4 :: v_dual_add_nc_u32 v1, v1, v82
	s_delay_alu instid0(VALU_DEP_1) | instskip(NEXT) | instid1(VALU_DEP_2)
	v_cndmask_b32_e64 v1, v1, v82, s1
	v_mov_b32_dpp v4, v2 row_shr:8 row_mask:0xf bank_mask:0xf
	s_delay_alu instid0(VALU_DEP_2) | instskip(NEXT) | instid1(VALU_DEP_2)
	v_mov_b32_dpp v3, v1 row_shr:2 row_mask:0xf bank_mask:0xf
	v_add_nc_u32_e32 v4, v2, v4
	s_delay_alu instid0(VALU_DEP_2) | instskip(NEXT) | instid1(VALU_DEP_1)
	v_add_nc_u32_e32 v3, v1, v3
	v_cndmask_b32_e64 v1, v1, v3, s0
	s_mov_b32 s0, exec_lo
	s_delay_alu instid0(VALU_DEP_1) | instskip(NEXT) | instid1(VALU_DEP_1)
	v_mov_b32_dpp v3, v1 row_shr:4 row_mask:0xf bank_mask:0xf
	v_add_nc_u32_e32 v3, v1, v3
	s_delay_alu instid0(VALU_DEP_1) | instskip(SKIP_1) | instid1(VALU_DEP_2)
	v_cndmask_b32_e32 v1, v1, v3, vcc_lo
	v_cmp_lt_u32_e32 vcc_lo, 7, v81
	v_mov_b32_dpp v3, v1 row_shr:8 row_mask:0xf bank_mask:0xf
	s_delay_alu instid0(VALU_DEP_1) | instskip(NEXT) | instid1(VALU_DEP_1)
	v_dual_cndmask_b32 v2, v2, v4 :: v_dual_add_nc_u32 v3, v1, v3
	v_cndmask_b32_e32 v1, v1, v3, vcc_lo
	ds_swizzle_b32 v3, v2 offset:swizzle(BROADCAST,32,15)
	v_cmp_eq_u32_e32 vcc_lo, 0, v80
	ds_swizzle_b32 v4, v1 offset:swizzle(BROADCAST,32,15)
	s_waitcnt lgkmcnt(1)
	v_add_nc_u32_e32 v3, v2, v3
	s_waitcnt lgkmcnt(0)
	v_add_nc_u32_e32 v4, v1, v4
	s_delay_alu instid0(VALU_DEP_1)
	v_dual_cndmask_b32 v2, v3, v2 :: v_dual_cndmask_b32 v1, v4, v1
	v_cmpx_eq_u32_e64 v79, v0
	s_cbranch_execz .LBB1283_122
; %bb.121:
	v_lshlrev_b32_e32 v3, 3, v78
	ds_store_b64 v3, v[1:2]
.LBB1283_122:
	s_or_b32 exec_lo, exec_lo, s0
	s_delay_alu instid0(SALU_CYCLE_1)
	s_mov_b32 s0, exec_lo
	s_waitcnt lgkmcnt(0)
	s_barrier
	buffer_gl0_inv
	v_cmpx_gt_u32_e32 8, v0
	s_cbranch_execz .LBB1283_124
; %bb.123:
	v_lshlrev_b32_e32 v5, 3, v0
	ds_load_b64 v[3:4], v5
	s_waitcnt lgkmcnt(0)
	v_mov_b32_dpp v18, v3 row_shr:1 row_mask:0xf bank_mask:0xf
	v_mov_b32_dpp v19, v4 row_shr:1 row_mask:0xf bank_mask:0xf
	s_delay_alu instid0(VALU_DEP_2) | instskip(SKIP_1) | instid1(VALU_DEP_3)
	v_add_nc_u32_e32 v18, v18, v3
	v_and_b32_e32 v20, 7, v77
	v_add_nc_u32_e32 v19, v19, v4
	s_delay_alu instid0(VALU_DEP_2) | instskip(NEXT) | instid1(VALU_DEP_2)
	v_cmp_eq_u32_e32 vcc_lo, 0, v20
	v_dual_cndmask_b32 v4, v19, v4 :: v_dual_cndmask_b32 v3, v18, v3
	v_cmp_lt_u32_e32 vcc_lo, 1, v20
	s_delay_alu instid0(VALU_DEP_2) | instskip(NEXT) | instid1(VALU_DEP_3)
	v_mov_b32_dpp v19, v4 row_shr:2 row_mask:0xf bank_mask:0xf
	v_mov_b32_dpp v18, v3 row_shr:2 row_mask:0xf bank_mask:0xf
	s_delay_alu instid0(VALU_DEP_2) | instskip(NEXT) | instid1(VALU_DEP_2)
	v_add_nc_u32_e32 v19, v4, v19
	v_add_nc_u32_e32 v18, v3, v18
	s_delay_alu instid0(VALU_DEP_1) | instskip(SKIP_1) | instid1(VALU_DEP_2)
	v_dual_cndmask_b32 v4, v4, v19 :: v_dual_cndmask_b32 v3, v3, v18
	v_cmp_lt_u32_e32 vcc_lo, 3, v20
	v_mov_b32_dpp v19, v4 row_shr:4 row_mask:0xf bank_mask:0xf
	s_delay_alu instid0(VALU_DEP_3) | instskip(NEXT) | instid1(VALU_DEP_1)
	v_mov_b32_dpp v18, v3 row_shr:4 row_mask:0xf bank_mask:0xf
	v_dual_cndmask_b32 v19, 0, v19 :: v_dual_cndmask_b32 v18, 0, v18
	s_delay_alu instid0(VALU_DEP_1) | instskip(NEXT) | instid1(VALU_DEP_2)
	v_add_nc_u32_e32 v4, v19, v4
	v_add_nc_u32_e32 v3, v18, v3
	ds_store_b64 v5, v[3:4]
.LBB1283_124:
	s_or_b32 exec_lo, exec_lo, s0
	v_dual_mov_b32 v3, 0 :: v_dual_mov_b32 v18, 0
	v_mov_b32_e32 v19, 0
	s_mov_b32 s0, exec_lo
	s_waitcnt lgkmcnt(0)
	s_barrier
	buffer_gl0_inv
	v_cmpx_lt_u32_e32 31, v0
	s_cbranch_execz .LBB1283_126
; %bb.125:
	v_lshl_add_u32 v4, v78, 3, -8
	ds_load_b64 v[18:19], v4
.LBB1283_126:
	s_or_b32 exec_lo, exec_lo, s0
	v_add_nc_u32_e32 v4, -1, v77
	s_waitcnt lgkmcnt(0)
	v_add_nc_u32_e32 v20, v19, v2
	v_add_nc_u32_e32 v5, v18, v1
	ds_load_b64 v[1:2], v3 offset:56
	v_cmp_gt_i32_e32 vcc_lo, 0, v4
	v_cndmask_b32_e32 v4, v4, v77, vcc_lo
	v_cmp_eq_u32_e32 vcc_lo, 0, v0
	s_delay_alu instid0(VALU_DEP_2)
	v_lshlrev_b32_e32 v4, 2, v4
	ds_bpermute_b32 v5, v4, v5
	ds_bpermute_b32 v20, v4, v20
	s_waitcnt lgkmcnt(2)
	v_readfirstlane_b32 s1, v2
	s_and_saveexec_b32 s0, vcc_lo
	s_cbranch_execz .LBB1283_128
; %bb.127:
	s_mov_b32 s6, 0
	s_add_u32 s4, s4, 0x200
	s_addc_u32 s5, s5, 0
	s_and_b32 s7, s1, 0xff000000
	s_and_b32 s9, s1, 0xff0000
	s_mov_b32 s8, s6
	v_mov_b32_e32 v22, s5
	s_or_b64 s[8:9], s[8:9], s[6:7]
	s_and_b32 s7, s1, 0xff00
	v_dual_mov_b32 v4, 0 :: v_dual_mov_b32 v21, s4
	s_or_b64 s[8:9], s[8:9], s[6:7]
	s_and_b32 s7, s1, 0xff
	v_mov_b32_e32 v3, 2
	s_or_b64 s[6:7], s[8:9], s[6:7]
	s_delay_alu instid0(SALU_CYCLE_1)
	v_mov_b32_e32 v2, s7
	;;#ASMSTART
	global_store_dwordx4 v[21:22], v[1:4] off	
s_waitcnt vmcnt(0)
	;;#ASMEND
.LBB1283_128:
	s_or_b32 exec_lo, exec_lo, s0
	v_cmp_eq_u32_e64 s0, 0, v77
	v_dual_mov_b32 v3, 0 :: v_dual_mov_b32 v2, s1
	s_waitcnt lgkmcnt(0)
	s_barrier
	s_delay_alu instid0(VALU_DEP_2)
	v_cndmask_b32_e64 v4, v5, v18, s0
	v_cndmask_b32_e64 v5, v20, v19, s0
	buffer_gl0_inv
	v_cndmask_b32_e64 v20, v4, 0, vcc_lo
	v_cndmask_b32_e64 v5, v5, 0, vcc_lo
	v_mov_b32_e32 v4, 0
.LBB1283_129:
	v_and_b32_e32 v30, 1, v30
	v_and_b32_e32 v34, 1, v34
	v_and_b32_e32 v29, 1, v29
	v_and_b32_e32 v33, 1, v33
	s_waitcnt lgkmcnt(0)
	v_add_co_u32 v18, s0, s28, v3
	v_cmp_eq_u32_e32 vcc_lo, 1, v30
	v_add_nc_u32_e32 v22, v5, v76
	v_sub_nc_u32_e32 v5, v5, v4
	v_add_co_ci_u32_e64 v19, null, s29, 0, s0
	s_mov_b32 s2, -1
	s_delay_alu instid0(VALU_DEP_3) | instskip(SKIP_3) | instid1(VALU_DEP_3)
	v_add_nc_u32_e32 v24, v22, v72
	v_sub_nc_u32_e32 v22, v22, v4
	v_add_nc_u32_e32 v5, v5, v1
	v_sub_co_u32 v72, s0, s30, v1
	v_add_nc_u32_e32 v22, v22, v1
	v_add_nc_u32_e32 v21, v20, v75
	v_sub_nc_u32_e32 v20, v20, v3
	s_delay_alu instid0(VALU_DEP_2)
	v_add_nc_u32_e32 v23, v21, v71
	v_add_nc_u32_e32 v71, v24, v74
	v_lshlrev_b32_e32 v74, 1, v1
	v_sub_nc_u32_e32 v21, v21, v3
	v_add_nc_u32_e32 v75, v20, v5
	v_sub_nc_u32_e32 v24, v24, v4
	s_delay_alu instid0(VALU_DEP_4) | instskip(NEXT) | instid1(VALU_DEP_4)
	v_add3_u32 v28, v74, v2, v28
	v_add_nc_u32_e32 v76, v22, v21
	s_delay_alu instid0(VALU_DEP_3) | instskip(NEXT) | instid1(VALU_DEP_3)
	v_add_nc_u32_e32 v24, v24, v1
	v_sub_nc_u32_e32 v75, v28, v75
	s_delay_alu instid0(VALU_DEP_3) | instskip(NEXT) | instid1(VALU_DEP_1)
	v_sub_nc_u32_e32 v76, v28, v76
	v_dual_cndmask_b32 v5, v75, v5 :: v_dual_add_nc_u32 v30, 1, v76
	v_cmp_eq_u32_e32 vcc_lo, 1, v34
	s_delay_alu instid0(VALU_DEP_2) | instskip(SKIP_1) | instid1(VALU_DEP_4)
	v_cndmask_b32_e32 v22, v30, v22, vcc_lo
	v_cmp_eq_u32_e32 vcc_lo, 1, v29
	v_cndmask_b32_e32 v5, v5, v20, vcc_lo
	v_and_b32_e32 v20, 1, v36
	v_cmp_eq_u32_e32 vcc_lo, 1, v33
	s_delay_alu instid0(VALU_DEP_3) | instskip(SKIP_1) | instid1(VALU_DEP_4)
	v_lshlrev_b32_e32 v5, 2, v5
	v_cndmask_b32_e32 v21, v22, v21, vcc_lo
	v_cmp_eq_u32_e32 vcc_lo, 1, v20
	v_add_nc_u32_e32 v25, v23, v73
	v_sub_nc_u32_e32 v23, v23, v3
	v_and_b32_e32 v22, 1, v31
	v_sub_co_ci_u32_e64 v73, null, s31, 0, s0
	v_and_b32_e32 v31, 1, v32
	s_delay_alu instid0(VALU_DEP_4) | instskip(NEXT) | instid1(VALU_DEP_1)
	v_add_nc_u32_e32 v77, v24, v23
	v_sub_nc_u32_e32 v75, v28, v77
	s_delay_alu instid0(VALU_DEP_1) | instskip(NEXT) | instid1(VALU_DEP_1)
	v_add_nc_u32_e32 v29, 2, v75
	v_cndmask_b32_e32 v20, v29, v24, vcc_lo
	v_sub_nc_u32_e32 v24, v71, v4
	v_cmp_eq_u32_e32 vcc_lo, 1, v22
	v_add_nc_u32_e32 v69, v25, v69
	v_lshlrev_b32_e32 v29, 2, v21
	ds_store_b32 v5, v16
	ds_store_b32 v29, v17
	v_cndmask_b32_e32 v22, v20, v23, vcc_lo
	v_sub_nc_u32_e32 v23, v25, v3
	v_add_nc_u32_e32 v24, v24, v1
	v_add_co_u32 v20, vcc_lo, v72, v4
	s_delay_alu instid0(VALU_DEP_4) | instskip(SKIP_1) | instid1(VALU_DEP_4)
	v_lshlrev_b32_e32 v5, 2, v22
	v_and_b32_e32 v22, 1, v35
	v_add_nc_u32_e32 v25, v23, v24
	v_add_co_ci_u32_e32 v21, vcc_lo, 0, v73, vcc_lo
	ds_store_b32 v5, v14
	v_cmp_eq_u32_e32 vcc_lo, 1, v22
	v_sub_nc_u32_e32 v17, v28, v25
	v_sub_nc_u32_e32 v29, v69, v3
	v_add_nc_u32_e32 v67, v69, v67
	s_delay_alu instid0(VALU_DEP_3) | instskip(NEXT) | instid1(VALU_DEP_2)
	v_add_nc_u32_e32 v17, 3, v17
	v_sub_nc_u32_e32 v30, v67, v3
	s_delay_alu instid0(VALU_DEP_2) | instskip(SKIP_2) | instid1(VALU_DEP_3)
	v_cndmask_b32_e32 v17, v17, v24, vcc_lo
	v_cmp_eq_u32_e32 vcc_lo, 1, v31
	v_and_b32_e32 v24, 1, v39
	v_cndmask_b32_e32 v14, v17, v23, vcc_lo
	v_add_nc_u32_e32 v70, v71, v70
	v_and_b32_e32 v23, 1, v38
	s_delay_alu instid0(VALU_DEP_3) | instskip(NEXT) | instid1(VALU_DEP_3)
	v_lshlrev_b32_e32 v14, 2, v14
	v_add_nc_u32_e32 v68, v70, v68
	v_sub_nc_u32_e32 v16, v70, v4
	ds_store_b32 v14, v15
	v_sub_nc_u32_e32 v25, v68, v4
	v_add_nc_u32_e32 v16, v16, v1
	s_delay_alu instid0(VALU_DEP_2) | instskip(NEXT) | instid1(VALU_DEP_2)
	v_add_nc_u32_e32 v25, v25, v1
	v_add_nc_u32_e32 v32, v29, v16
	s_delay_alu instid0(VALU_DEP_2) | instskip(NEXT) | instid1(VALU_DEP_2)
	v_add_nc_u32_e32 v22, v30, v25
	v_sub_nc_u32_e32 v5, v28, v32
	s_delay_alu instid0(VALU_DEP_2) | instskip(SKIP_1) | instid1(VALU_DEP_3)
	v_sub_nc_u32_e32 v17, v28, v22
	v_and_b32_e32 v22, 1, v37
	v_add_nc_u32_e32 v5, 4, v5
	s_delay_alu instid0(VALU_DEP_3) | instskip(NEXT) | instid1(VALU_DEP_3)
	v_add_nc_u32_e32 v17, 5, v17
	v_cmp_eq_u32_e32 vcc_lo, 1, v22
	s_delay_alu instid0(VALU_DEP_3)
	v_cndmask_b32_e32 v5, v5, v16, vcc_lo
	v_cmp_eq_u32_e32 vcc_lo, 1, v24
	v_and_b32_e32 v16, 1, v41
	v_cndmask_b32_e32 v17, v17, v25, vcc_lo
	v_cmp_eq_u32_e32 vcc_lo, 1, v23
	v_cndmask_b32_e32 v5, v5, v29, vcc_lo
	s_delay_alu instid0(VALU_DEP_4) | instskip(SKIP_1) | instid1(VALU_DEP_3)
	v_cmp_eq_u32_e32 vcc_lo, 1, v16
	v_add_nc_u32_e32 v66, v68, v66
	v_dual_cndmask_b32 v16, v17, v30 :: v_dual_lshlrev_b32 v5, 2, v5
	s_delay_alu instid0(VALU_DEP_2) | instskip(SKIP_1) | instid1(VALU_DEP_3)
	v_sub_nc_u32_e32 v22, v66, v4
	v_add_nc_u32_e32 v62, v66, v62
	v_lshlrev_b32_e32 v16, 2, v16
	ds_store_b32 v5, v12
	ds_store_b32 v16, v13
	v_and_b32_e32 v12, 1, v40
	v_add_nc_u32_e32 v22, v22, v1
	v_add_nc_u32_e32 v64, v62, v64
	v_sub_nc_u32_e32 v17, v62, v4
	v_and_b32_e32 v16, 1, v43
	v_cmp_eq_u32_e32 vcc_lo, 1, v12
	v_add_nc_u32_e32 v65, v67, v65
	v_sub_nc_u32_e32 v15, v64, v4
	v_add_nc_u32_e32 v17, v17, v1
	s_delay_alu instid0(VALU_DEP_3) | instskip(NEXT) | instid1(VALU_DEP_3)
	v_sub_nc_u32_e32 v23, v65, v3
	v_add_nc_u32_e32 v15, v15, v1
	s_delay_alu instid0(VALU_DEP_2) | instskip(NEXT) | instid1(VALU_DEP_1)
	v_add_nc_u32_e32 v24, v23, v22
	v_sub_nc_u32_e32 v14, v28, v24
	v_and_b32_e32 v24, 1, v48
	s_delay_alu instid0(VALU_DEP_2) | instskip(SKIP_1) | instid1(VALU_DEP_2)
	v_add_nc_u32_e32 v13, 6, v14
	v_and_b32_e32 v14, 1, v42
	v_cndmask_b32_e32 v12, v13, v22, vcc_lo
	v_add_nc_u32_e32 v61, v65, v61
	s_delay_alu instid0(VALU_DEP_3) | instskip(SKIP_1) | instid1(VALU_DEP_3)
	v_cmp_eq_u32_e32 vcc_lo, 1, v14
	v_and_b32_e32 v22, 1, v44
	v_sub_nc_u32_e32 v25, v61, v3
	v_add_nc_u32_e32 v63, v61, v63
	v_cndmask_b32_e32 v12, v12, v23, vcc_lo
	v_cmp_eq_u32_e32 vcc_lo, 1, v16
	v_and_b32_e32 v23, 1, v46
	v_add_nc_u32_e32 v5, v25, v17
	v_sub_nc_u32_e32 v13, v63, v3
	v_lshlrev_b32_e32 v12, 2, v12
	v_add_nc_u32_e32 v59, v63, v59
	s_delay_alu instid0(VALU_DEP_4) | instskip(NEXT) | instid1(VALU_DEP_4)
	v_sub_nc_u32_e32 v5, v28, v5
	v_add_nc_u32_e32 v14, v13, v15
	s_delay_alu instid0(VALU_DEP_3) | instskip(NEXT) | instid1(VALU_DEP_3)
	v_add_nc_u32_e32 v57, v59, v57
	v_add_nc_u32_e32 v5, 7, v5
	s_delay_alu instid0(VALU_DEP_3) | instskip(NEXT) | instid1(VALU_DEP_3)
	v_sub_nc_u32_e32 v14, v28, v14
	v_add_nc_u32_e32 v55, v57, v55
	s_delay_alu instid0(VALU_DEP_3)
	v_cndmask_b32_e32 v5, v5, v17, vcc_lo
	v_cmp_eq_u32_e32 vcc_lo, 1, v22
	v_and_b32_e32 v17, 1, v45
	v_add_nc_u32_e32 v14, 8, v14
	v_sub_nc_u32_e32 v22, v59, v3
	v_add_nc_u32_e32 v53, v55, v53
	v_cndmask_b32_e32 v5, v5, v25, vcc_lo
	v_cmp_eq_u32_e32 vcc_lo, 1, v17
	v_sub_nc_u32_e32 v17, v55, v3
	v_and_b32_e32 v25, 1, v52
	s_delay_alu instid0(VALU_DEP_4)
	v_dual_cndmask_b32 v14, v14, v15 :: v_dual_lshlrev_b32 v5, 2, v5
	v_cmp_eq_u32_e32 vcc_lo, 1, v23
	v_add_nc_u32_e32 v60, v64, v60
	ds_store_b32 v12, v10
	ds_store_b32 v5, v11
	v_and_b32_e32 v11, 1, v49
	v_cndmask_b32_e32 v5, v14, v13, vcc_lo
	v_sub_nc_u32_e32 v16, v60, v4
	v_add_nc_u32_e32 v58, v60, v58
	v_and_b32_e32 v13, 1, v47
	s_delay_alu instid0(VALU_DEP_4) | instskip(NEXT) | instid1(VALU_DEP_4)
	v_lshlrev_b32_e32 v5, 2, v5
	v_add_nc_u32_e32 v16, v16, v1
	s_delay_alu instid0(VALU_DEP_4) | instskip(SKIP_2) | instid1(VALU_DEP_4)
	v_add_nc_u32_e32 v56, v58, v56
	v_sub_nc_u32_e32 v12, v58, v4
	v_cmp_eq_u32_e32 vcc_lo, 1, v13
	v_add_nc_u32_e32 v15, v22, v16
	s_delay_alu instid0(VALU_DEP_4) | instskip(NEXT) | instid1(VALU_DEP_4)
	v_sub_nc_u32_e32 v14, v56, v4
	v_add_nc_u32_e32 v12, v12, v1
	v_add_nc_u32_e32 v54, v56, v54
	s_delay_alu instid0(VALU_DEP_4) | instskip(SKIP_2) | instid1(VALU_DEP_4)
	v_sub_nc_u32_e32 v10, v28, v15
	v_sub_nc_u32_e32 v15, v57, v3
	v_add_nc_u32_e32 v14, v14, v1
	v_sub_nc_u32_e32 v23, v54, v4
	v_sub_nc_u32_e32 v3, v53, v3
	v_add_nc_u32_e32 v10, 9, v10
	v_add_nc_u32_e32 v13, v15, v12
	s_delay_alu instid0(VALU_DEP_2) | instskip(SKIP_2) | instid1(VALU_DEP_4)
	v_dual_cndmask_b32 v10, v10, v16 :: v_dual_add_nc_u32 v23, v23, v1
	v_add_nc_u32_e32 v16, v17, v14
	v_cmp_eq_u32_e32 vcc_lo, 1, v11
	v_sub_nc_u32_e32 v11, v28, v13
	v_and_b32_e32 v13, 1, v50
	s_delay_alu instid0(VALU_DEP_4) | instskip(NEXT) | instid1(VALU_DEP_3)
	v_sub_nc_u32_e32 v16, v28, v16
	v_dual_cndmask_b32 v10, v10, v22 :: v_dual_add_nc_u32 v11, 10, v11
	v_cmp_eq_u32_e32 vcc_lo, 1, v24
	v_add_nc_u32_e32 v22, v3, v23
	s_delay_alu instid0(VALU_DEP_4) | instskip(NEXT) | instid1(VALU_DEP_4)
	v_add_nc_u32_e32 v16, 11, v16
	v_dual_cndmask_b32 v11, v11, v12 :: v_dual_lshlrev_b32 v10, 2, v10
	v_cmp_eq_u32_e32 vcc_lo, 1, v25
	s_delay_alu instid0(VALU_DEP_4) | instskip(SKIP_3) | instid1(VALU_DEP_4)
	v_sub_nc_u32_e32 v22, v28, v22
	v_and_b32_e32 v12, 1, v51
	v_cndmask_b32_e32 v14, v16, v14, vcc_lo
	v_cmp_eq_u32_e32 vcc_lo, 1, v13
	v_dual_cndmask_b32 v11, v11, v15 :: v_dual_add_nc_u32 v16, 12, v22
	s_delay_alu instid0(VALU_DEP_4) | instskip(NEXT) | instid1(VALU_DEP_2)
	v_cmp_eq_u32_e32 vcc_lo, 1, v12
	v_cndmask_b32_e64 v13, v16, v23, s43
	s_delay_alu instid0(VALU_DEP_3) | instskip(NEXT) | instid1(VALU_DEP_2)
	v_dual_cndmask_b32 v12, v14, v17 :: v_dual_lshlrev_b32 v11, 2, v11
	v_cndmask_b32_e64 v3, v13, v3, s42
	s_delay_alu instid0(VALU_DEP_2)
	v_lshlrev_b32_e32 v12, 2, v12
	ds_store_b32 v5, v8
	ds_store_b32 v10, v9
	;; [unrolled: 1-line block ×4, first 2 shown]
	v_lshlrev_b32_e32 v3, 2, v3
	v_add_co_u32 v5, s0, v2, v74
	s_delay_alu instid0(VALU_DEP_1) | instskip(SKIP_4) | instid1(VALU_DEP_2)
	v_add_co_ci_u32_e64 v6, null, 0, 0, s0
	ds_store_b32 v3, v27
	v_add_co_u32 v3, vcc_lo, v5, v20
	v_add_co_ci_u32_e32 v5, vcc_lo, v6, v21, vcc_lo
	s_add_u32 s0, s34, s33
	v_add_co_u32 v3, vcc_lo, v3, v18
	s_delay_alu instid0(VALU_DEP_2) | instskip(SKIP_1) | instid1(VALU_DEP_2)
	v_add_co_ci_u32_e32 v5, vcc_lo, v5, v19, vcc_lo
	s_addc_u32 s1, s35, 0
	v_sub_co_u32 v3, vcc_lo, s0, v3
	s_delay_alu instid0(VALU_DEP_2)
	v_sub_co_ci_u32_e32 v9, vcc_lo, s1, v5, vcc_lo
	v_lshlrev_b64 v[5:6], 2, v[20:21]
	v_lshlrev_b64 v[7:8], 2, v[18:19]
	v_add_nc_u32_e32 v10, v1, v2
	s_add_u32 s1, s26, -4
	s_waitcnt lgkmcnt(0)
	s_barrier
	v_add_co_u32 v5, vcc_lo, s38, v5
	v_add_co_ci_u32_e32 v6, vcc_lo, s39, v6, vcc_lo
	v_cmp_ne_u32_e32 vcc_lo, 1, v26
	v_add_co_u32 v7, s0, s36, v7
	s_delay_alu instid0(VALU_DEP_1)
	v_add_co_ci_u32_e64 v8, s0, s37, v8, s0
	s_addc_u32 s0, s27, -1
	buffer_gl0_inv
	s_cbranch_vccz .LBB1283_133
; %bb.130:
	s_and_b32 vcc_lo, exec_lo, s2
	s_cbranch_vccnz .LBB1283_238
.LBB1283_131:
	v_cmp_eq_u32_e32 vcc_lo, 0, v0
	s_and_b32 s0, vcc_lo, s14
	s_delay_alu instid0(SALU_CYCLE_1)
	s_and_saveexec_b32 s1, s0
	s_cbranch_execnz .LBB1283_356
.LBB1283_132:
	s_nop 0
	s_sendmsg sendmsg(MSG_DEALLOC_VGPRS)
	s_endpgm
.LBB1283_133:
	s_mov_b32 s2, exec_lo
	v_cmpx_le_u32_e64 v1, v0
	s_xor_b32 s2, exec_lo, s2
	s_cbranch_execz .LBB1283_139
; %bb.134:
	s_mov_b32 s4, exec_lo
	v_cmpx_le_u32_e64 v10, v0
	s_xor_b32 s4, exec_lo, s4
	s_cbranch_execz .LBB1283_136
; %bb.135:
	v_lshlrev_b32_e32 v11, 2, v0
	ds_load_b32 v13, v11
	v_add_co_u32 v11, vcc_lo, v3, v0
	v_add_co_ci_u32_e32 v12, vcc_lo, 0, v9, vcc_lo
	s_delay_alu instid0(VALU_DEP_1) | instskip(NEXT) | instid1(VALU_DEP_1)
	v_lshlrev_b64 v[11:12], 2, v[11:12]
	v_sub_co_u32 v11, vcc_lo, s26, v11
	s_delay_alu instid0(VALU_DEP_2)
	v_sub_co_ci_u32_e32 v12, vcc_lo, s27, v12, vcc_lo
	s_waitcnt lgkmcnt(0)
	global_store_b32 v[11:12], v13, off offset:-4
.LBB1283_136:
	s_and_not1_saveexec_b32 s4, s4
	s_cbranch_execz .LBB1283_138
; %bb.137:
	v_lshlrev_b32_e32 v11, 2, v0
	v_readfirstlane_b32 s6, v5
	v_readfirstlane_b32 s7, v6
	ds_load_b32 v12, v11
	s_waitcnt lgkmcnt(0)
	global_store_b32 v11, v12, s[6:7]
.LBB1283_138:
	s_or_b32 exec_lo, exec_lo, s4
.LBB1283_139:
	s_and_not1_saveexec_b32 s2, s2
	s_cbranch_execz .LBB1283_141
; %bb.140:
	v_lshlrev_b32_e32 v11, 2, v0
	v_readfirstlane_b32 s4, v7
	v_readfirstlane_b32 s5, v8
	ds_load_b32 v12, v11
	s_waitcnt lgkmcnt(0)
	global_store_b32 v11, v12, s[4:5]
.LBB1283_141:
	s_or_b32 exec_lo, exec_lo, s2
	v_or_b32_e32 v11, 0x100, v0
	s_mov_b32 s2, exec_lo
	s_delay_alu instid0(VALU_DEP_1)
	v_cmpx_le_u32_e64 v1, v11
	s_xor_b32 s2, exec_lo, s2
	s_cbranch_execz .LBB1283_147
; %bb.142:
	s_mov_b32 s4, exec_lo
	v_cmpx_le_u32_e64 v10, v11
	s_xor_b32 s4, exec_lo, s4
	s_cbranch_execz .LBB1283_144
; %bb.143:
	v_lshlrev_b32_e32 v11, 2, v0
	ds_load_b32 v13, v11 offset:1024
	v_add_co_u32 v11, vcc_lo, v3, v0
	v_add_co_ci_u32_e32 v12, vcc_lo, 0, v9, vcc_lo
	s_delay_alu instid0(VALU_DEP_1) | instskip(NEXT) | instid1(VALU_DEP_1)
	v_lshlrev_b64 v[11:12], 2, v[11:12]
	v_sub_co_u32 v11, vcc_lo, s1, v11
	s_delay_alu instid0(VALU_DEP_2)
	v_sub_co_ci_u32_e32 v12, vcc_lo, s0, v12, vcc_lo
	s_waitcnt lgkmcnt(0)
	global_store_b32 v[11:12], v13, off offset:-1024
.LBB1283_144:
	s_and_not1_saveexec_b32 s4, s4
	s_cbranch_execz .LBB1283_146
; %bb.145:
	v_lshlrev_b32_e32 v11, 2, v0
	v_readfirstlane_b32 s6, v5
	v_readfirstlane_b32 s7, v6
	ds_load_b32 v12, v11 offset:1024
	s_waitcnt lgkmcnt(0)
	global_store_b32 v11, v12, s[6:7] offset:1024
.LBB1283_146:
	s_or_b32 exec_lo, exec_lo, s4
.LBB1283_147:
	s_and_not1_saveexec_b32 s2, s2
	s_cbranch_execz .LBB1283_149
; %bb.148:
	v_lshlrev_b32_e32 v11, 2, v0
	v_readfirstlane_b32 s4, v7
	v_readfirstlane_b32 s5, v8
	ds_load_b32 v12, v11 offset:1024
	s_waitcnt lgkmcnt(0)
	global_store_b32 v11, v12, s[4:5] offset:1024
.LBB1283_149:
	s_or_b32 exec_lo, exec_lo, s2
	v_or_b32_e32 v11, 0x200, v0
	s_mov_b32 s2, exec_lo
	s_delay_alu instid0(VALU_DEP_1)
	v_cmpx_le_u32_e64 v1, v11
	s_xor_b32 s2, exec_lo, s2
	s_cbranch_execz .LBB1283_155
; %bb.150:
	s_mov_b32 s4, exec_lo
	v_cmpx_le_u32_e64 v10, v11
	s_xor_b32 s4, exec_lo, s4
	s_cbranch_execz .LBB1283_152
; %bb.151:
	v_lshlrev_b32_e32 v11, 2, v0
	ds_load_b32 v13, v11 offset:2048
	v_add_co_u32 v11, vcc_lo, v3, v0
	v_add_co_ci_u32_e32 v12, vcc_lo, 0, v9, vcc_lo
	s_delay_alu instid0(VALU_DEP_1) | instskip(NEXT) | instid1(VALU_DEP_1)
	v_lshlrev_b64 v[11:12], 2, v[11:12]
	v_sub_co_u32 v11, vcc_lo, s1, v11
	s_delay_alu instid0(VALU_DEP_2)
	v_sub_co_ci_u32_e32 v12, vcc_lo, s0, v12, vcc_lo
	s_waitcnt lgkmcnt(0)
	global_store_b32 v[11:12], v13, off offset:-2048
.LBB1283_152:
	s_and_not1_saveexec_b32 s4, s4
	s_cbranch_execz .LBB1283_154
; %bb.153:
	v_lshlrev_b32_e32 v11, 2, v0
	v_readfirstlane_b32 s6, v5
	v_readfirstlane_b32 s7, v6
	ds_load_b32 v12, v11 offset:2048
	s_waitcnt lgkmcnt(0)
	global_store_b32 v11, v12, s[6:7] offset:2048
.LBB1283_154:
	s_or_b32 exec_lo, exec_lo, s4
.LBB1283_155:
	s_and_not1_saveexec_b32 s2, s2
	s_cbranch_execz .LBB1283_157
; %bb.156:
	v_lshlrev_b32_e32 v11, 2, v0
	v_readfirstlane_b32 s4, v7
	v_readfirstlane_b32 s5, v8
	ds_load_b32 v12, v11 offset:2048
	s_waitcnt lgkmcnt(0)
	global_store_b32 v11, v12, s[4:5] offset:2048
.LBB1283_157:
	;; [unrolled: 47-line block ×3, first 2 shown]
	s_or_b32 exec_lo, exec_lo, s2
	v_or_b32_e32 v11, 0x400, v0
	s_mov_b32 s2, exec_lo
	s_delay_alu instid0(VALU_DEP_1)
	v_cmpx_le_u32_e64 v1, v11
	s_xor_b32 s2, exec_lo, s2
	s_cbranch_execz .LBB1283_171
; %bb.166:
	s_mov_b32 s4, exec_lo
	v_cmpx_le_u32_e64 v10, v11
	s_xor_b32 s4, exec_lo, s4
	s_cbranch_execz .LBB1283_168
; %bb.167:
	v_lshlrev_b32_e32 v11, 2, v0
	ds_load_b32 v13, v11 offset:4096
	v_add_co_u32 v11, vcc_lo, v3, v0
	v_add_co_ci_u32_e32 v12, vcc_lo, 0, v9, vcc_lo
	s_delay_alu instid0(VALU_DEP_1) | instskip(NEXT) | instid1(VALU_DEP_1)
	v_lshlrev_b64 v[11:12], 2, v[11:12]
	v_sub_co_u32 v11, vcc_lo, s1, v11
	s_delay_alu instid0(VALU_DEP_2)
	v_sub_co_ci_u32_e32 v12, vcc_lo, s0, v12, vcc_lo
	s_waitcnt lgkmcnt(0)
	global_store_b32 v[11:12], v13, off offset:-4096
                                        ; implicit-def: $vgpr11
.LBB1283_168:
	s_and_not1_saveexec_b32 s4, s4
	s_cbranch_execz .LBB1283_170
; %bb.169:
	v_lshlrev_b32_e32 v12, 2, v0
	v_lshlrev_b32_e32 v11, 2, v11
	v_readfirstlane_b32 s6, v5
	v_readfirstlane_b32 s7, v6
	ds_load_b32 v12, v12 offset:4096
	s_waitcnt lgkmcnt(0)
	global_store_b32 v11, v12, s[6:7]
.LBB1283_170:
	s_or_b32 exec_lo, exec_lo, s4
                                        ; implicit-def: $vgpr11
.LBB1283_171:
	s_and_not1_saveexec_b32 s2, s2
	s_cbranch_execz .LBB1283_173
; %bb.172:
	v_lshlrev_b32_e32 v12, 2, v0
	v_lshlrev_b32_e32 v11, 2, v11
	v_readfirstlane_b32 s4, v7
	v_readfirstlane_b32 s5, v8
	ds_load_b32 v12, v12 offset:4096
	s_waitcnt lgkmcnt(0)
	global_store_b32 v11, v12, s[4:5]
.LBB1283_173:
	s_or_b32 exec_lo, exec_lo, s2
	v_or_b32_e32 v11, 0x500, v0
	s_mov_b32 s2, exec_lo
	s_delay_alu instid0(VALU_DEP_1)
	v_cmpx_le_u32_e64 v1, v11
	s_xor_b32 s2, exec_lo, s2
	s_cbranch_execz .LBB1283_179
; %bb.174:
	s_mov_b32 s4, exec_lo
	v_cmpx_le_u32_e64 v10, v11
	s_xor_b32 s4, exec_lo, s4
	s_cbranch_execz .LBB1283_176
; %bb.175:
	v_lshlrev_b32_e32 v12, 2, v0
	v_add_co_u32 v11, vcc_lo, v3, v11
	ds_load_b32 v13, v12 offset:5120
	v_add_co_ci_u32_e32 v12, vcc_lo, 0, v9, vcc_lo
	s_delay_alu instid0(VALU_DEP_1) | instskip(NEXT) | instid1(VALU_DEP_1)
	v_lshlrev_b64 v[11:12], 2, v[11:12]
	v_sub_co_u32 v11, vcc_lo, s1, v11
	s_delay_alu instid0(VALU_DEP_2)
	v_sub_co_ci_u32_e32 v12, vcc_lo, s0, v12, vcc_lo
	s_waitcnt lgkmcnt(0)
	global_store_b32 v[11:12], v13, off
                                        ; implicit-def: $vgpr11
.LBB1283_176:
	s_and_not1_saveexec_b32 s4, s4
	s_cbranch_execz .LBB1283_178
; %bb.177:
	v_lshlrev_b32_e32 v12, 2, v0
	v_lshlrev_b32_e32 v11, 2, v11
	v_readfirstlane_b32 s6, v5
	v_readfirstlane_b32 s7, v6
	ds_load_b32 v12, v12 offset:5120
	s_waitcnt lgkmcnt(0)
	global_store_b32 v11, v12, s[6:7]
.LBB1283_178:
	s_or_b32 exec_lo, exec_lo, s4
                                        ; implicit-def: $vgpr11
.LBB1283_179:
	s_and_not1_saveexec_b32 s2, s2
	s_cbranch_execz .LBB1283_181
; %bb.180:
	v_lshlrev_b32_e32 v12, 2, v0
	v_lshlrev_b32_e32 v11, 2, v11
	v_readfirstlane_b32 s4, v7
	v_readfirstlane_b32 s5, v8
	ds_load_b32 v12, v12 offset:5120
	s_waitcnt lgkmcnt(0)
	global_store_b32 v11, v12, s[4:5]
.LBB1283_181:
	s_or_b32 exec_lo, exec_lo, s2
	v_or_b32_e32 v11, 0x600, v0
	s_mov_b32 s2, exec_lo
	s_delay_alu instid0(VALU_DEP_1)
	v_cmpx_le_u32_e64 v1, v11
	s_xor_b32 s2, exec_lo, s2
	s_cbranch_execz .LBB1283_187
; %bb.182:
	s_mov_b32 s4, exec_lo
	v_cmpx_le_u32_e64 v10, v11
	s_xor_b32 s4, exec_lo, s4
	s_cbranch_execz .LBB1283_184
; %bb.183:
	v_lshlrev_b32_e32 v12, 2, v0
	v_add_co_u32 v11, vcc_lo, v3, v11
	ds_load_b32 v13, v12 offset:6144
	v_add_co_ci_u32_e32 v12, vcc_lo, 0, v9, vcc_lo
	s_delay_alu instid0(VALU_DEP_1) | instskip(NEXT) | instid1(VALU_DEP_1)
	v_lshlrev_b64 v[11:12], 2, v[11:12]
	v_sub_co_u32 v11, vcc_lo, s1, v11
	s_delay_alu instid0(VALU_DEP_2)
	v_sub_co_ci_u32_e32 v12, vcc_lo, s0, v12, vcc_lo
	s_waitcnt lgkmcnt(0)
	global_store_b32 v[11:12], v13, off
                                        ; implicit-def: $vgpr11
.LBB1283_184:
	s_and_not1_saveexec_b32 s4, s4
	s_cbranch_execz .LBB1283_186
; %bb.185:
	v_lshlrev_b32_e32 v12, 2, v0
	v_lshlrev_b32_e32 v11, 2, v11
	v_readfirstlane_b32 s6, v5
	v_readfirstlane_b32 s7, v6
	ds_load_b32 v12, v12 offset:6144
	s_waitcnt lgkmcnt(0)
	global_store_b32 v11, v12, s[6:7]
.LBB1283_186:
	s_or_b32 exec_lo, exec_lo, s4
                                        ; implicit-def: $vgpr11
.LBB1283_187:
	;; [unrolled: 51-line block ×8, first 2 shown]
	s_and_not1_saveexec_b32 s2, s2
	s_cbranch_execz .LBB1283_237
; %bb.236:
	v_lshlrev_b32_e32 v12, 2, v0
	v_lshlrev_b32_e32 v11, 2, v11
	v_readfirstlane_b32 s4, v7
	v_readfirstlane_b32 s5, v8
	ds_load_b32 v12, v12 offset:12288
	s_waitcnt lgkmcnt(0)
	global_store_b32 v11, v12, s[4:5]
.LBB1283_237:
	s_or_b32 exec_lo, exec_lo, s2
	s_branch .LBB1283_131
.LBB1283_238:
	s_mov_b32 s2, exec_lo
	v_cmpx_gt_u32_e64 s3, v0
	s_cbranch_execz .LBB1283_247
; %bb.239:
	s_mov_b32 s4, exec_lo
	v_cmpx_le_u32_e64 v1, v0
	s_xor_b32 s4, exec_lo, s4
	s_cbranch_execz .LBB1283_245
; %bb.240:
	s_mov_b32 s5, exec_lo
	v_cmpx_le_u32_e64 v10, v0
	s_xor_b32 s5, exec_lo, s5
	s_cbranch_execz .LBB1283_242
; %bb.241:
	v_lshlrev_b32_e32 v11, 2, v0
	ds_load_b32 v13, v11
	v_add_co_u32 v11, vcc_lo, v3, v0
	v_add_co_ci_u32_e32 v12, vcc_lo, 0, v9, vcc_lo
	s_delay_alu instid0(VALU_DEP_1) | instskip(NEXT) | instid1(VALU_DEP_1)
	v_lshlrev_b64 v[11:12], 2, v[11:12]
	v_sub_co_u32 v11, vcc_lo, s26, v11
	s_delay_alu instid0(VALU_DEP_2)
	v_sub_co_ci_u32_e32 v12, vcc_lo, s27, v12, vcc_lo
	s_waitcnt lgkmcnt(0)
	global_store_b32 v[11:12], v13, off offset:-4
.LBB1283_242:
	s_and_not1_saveexec_b32 s5, s5
	s_cbranch_execz .LBB1283_244
; %bb.243:
	v_lshlrev_b32_e32 v11, 2, v0
	v_readfirstlane_b32 s6, v5
	v_readfirstlane_b32 s7, v6
	ds_load_b32 v12, v11
	s_waitcnt lgkmcnt(0)
	global_store_b32 v11, v12, s[6:7]
.LBB1283_244:
	s_or_b32 exec_lo, exec_lo, s5
.LBB1283_245:
	s_and_not1_saveexec_b32 s4, s4
	s_cbranch_execz .LBB1283_247
; %bb.246:
	v_lshlrev_b32_e32 v11, 2, v0
	v_readfirstlane_b32 s4, v7
	v_readfirstlane_b32 s5, v8
	ds_load_b32 v12, v11
	s_waitcnt lgkmcnt(0)
	global_store_b32 v11, v12, s[4:5]
.LBB1283_247:
	s_or_b32 exec_lo, exec_lo, s2
	v_or_b32_e32 v11, 0x100, v0
	s_mov_b32 s2, exec_lo
	s_delay_alu instid0(VALU_DEP_1)
	v_cmpx_gt_u32_e64 s3, v11
	s_cbranch_execz .LBB1283_256
; %bb.248:
	s_mov_b32 s4, exec_lo
	v_cmpx_le_u32_e64 v1, v11
	s_xor_b32 s4, exec_lo, s4
	s_cbranch_execz .LBB1283_254
; %bb.249:
	s_mov_b32 s5, exec_lo
	v_cmpx_le_u32_e64 v10, v11
	s_xor_b32 s5, exec_lo, s5
	s_cbranch_execz .LBB1283_251
; %bb.250:
	v_lshlrev_b32_e32 v11, 2, v0
	ds_load_b32 v13, v11 offset:1024
	v_add_co_u32 v11, vcc_lo, v3, v0
	v_add_co_ci_u32_e32 v12, vcc_lo, 0, v9, vcc_lo
	s_delay_alu instid0(VALU_DEP_1) | instskip(NEXT) | instid1(VALU_DEP_1)
	v_lshlrev_b64 v[11:12], 2, v[11:12]
	v_sub_co_u32 v11, vcc_lo, s1, v11
	s_delay_alu instid0(VALU_DEP_2)
	v_sub_co_ci_u32_e32 v12, vcc_lo, s0, v12, vcc_lo
	s_waitcnt lgkmcnt(0)
	global_store_b32 v[11:12], v13, off offset:-1024
.LBB1283_251:
	s_and_not1_saveexec_b32 s5, s5
	s_cbranch_execz .LBB1283_253
; %bb.252:
	v_lshlrev_b32_e32 v11, 2, v0
	v_readfirstlane_b32 s6, v5
	v_readfirstlane_b32 s7, v6
	ds_load_b32 v12, v11 offset:1024
	s_waitcnt lgkmcnt(0)
	global_store_b32 v11, v12, s[6:7] offset:1024
.LBB1283_253:
	s_or_b32 exec_lo, exec_lo, s5
.LBB1283_254:
	s_and_not1_saveexec_b32 s4, s4
	s_cbranch_execz .LBB1283_256
; %bb.255:
	v_lshlrev_b32_e32 v11, 2, v0
	v_readfirstlane_b32 s4, v7
	v_readfirstlane_b32 s5, v8
	ds_load_b32 v12, v11 offset:1024
	s_waitcnt lgkmcnt(0)
	global_store_b32 v11, v12, s[4:5] offset:1024
.LBB1283_256:
	s_or_b32 exec_lo, exec_lo, s2
	v_or_b32_e32 v11, 0x200, v0
	s_mov_b32 s2, exec_lo
	s_delay_alu instid0(VALU_DEP_1)
	v_cmpx_gt_u32_e64 s3, v11
	s_cbranch_execz .LBB1283_265
; %bb.257:
	s_mov_b32 s4, exec_lo
	v_cmpx_le_u32_e64 v1, v11
	s_xor_b32 s4, exec_lo, s4
	s_cbranch_execz .LBB1283_263
; %bb.258:
	s_mov_b32 s5, exec_lo
	v_cmpx_le_u32_e64 v10, v11
	s_xor_b32 s5, exec_lo, s5
	s_cbranch_execz .LBB1283_260
; %bb.259:
	v_lshlrev_b32_e32 v11, 2, v0
	ds_load_b32 v13, v11 offset:2048
	v_add_co_u32 v11, vcc_lo, v3, v0
	v_add_co_ci_u32_e32 v12, vcc_lo, 0, v9, vcc_lo
	s_delay_alu instid0(VALU_DEP_1) | instskip(NEXT) | instid1(VALU_DEP_1)
	v_lshlrev_b64 v[11:12], 2, v[11:12]
	v_sub_co_u32 v11, vcc_lo, s1, v11
	s_delay_alu instid0(VALU_DEP_2)
	v_sub_co_ci_u32_e32 v12, vcc_lo, s0, v12, vcc_lo
	s_waitcnt lgkmcnt(0)
	global_store_b32 v[11:12], v13, off offset:-2048
.LBB1283_260:
	s_and_not1_saveexec_b32 s5, s5
	s_cbranch_execz .LBB1283_262
; %bb.261:
	v_lshlrev_b32_e32 v11, 2, v0
	v_readfirstlane_b32 s6, v5
	v_readfirstlane_b32 s7, v6
	ds_load_b32 v12, v11 offset:2048
	s_waitcnt lgkmcnt(0)
	global_store_b32 v11, v12, s[6:7] offset:2048
.LBB1283_262:
	s_or_b32 exec_lo, exec_lo, s5
.LBB1283_263:
	s_and_not1_saveexec_b32 s4, s4
	s_cbranch_execz .LBB1283_265
; %bb.264:
	v_lshlrev_b32_e32 v11, 2, v0
	v_readfirstlane_b32 s4, v7
	v_readfirstlane_b32 s5, v8
	ds_load_b32 v12, v11 offset:2048
	s_waitcnt lgkmcnt(0)
	global_store_b32 v11, v12, s[4:5] offset:2048
.LBB1283_265:
	;; [unrolled: 51-line block ×3, first 2 shown]
	s_or_b32 exec_lo, exec_lo, s2
	v_or_b32_e32 v11, 0x400, v0
	s_mov_b32 s2, exec_lo
	s_delay_alu instid0(VALU_DEP_1)
	v_cmpx_gt_u32_e64 s3, v11
	s_cbranch_execz .LBB1283_283
; %bb.275:
	s_mov_b32 s4, exec_lo
	v_cmpx_le_u32_e64 v1, v11
	s_xor_b32 s4, exec_lo, s4
	s_cbranch_execz .LBB1283_281
; %bb.276:
	s_mov_b32 s5, exec_lo
	v_cmpx_le_u32_e64 v10, v11
	s_xor_b32 s5, exec_lo, s5
	s_cbranch_execz .LBB1283_278
; %bb.277:
	v_lshlrev_b32_e32 v11, 2, v0
	ds_load_b32 v13, v11 offset:4096
	v_add_co_u32 v11, vcc_lo, v3, v0
	v_add_co_ci_u32_e32 v12, vcc_lo, 0, v9, vcc_lo
	s_delay_alu instid0(VALU_DEP_1) | instskip(NEXT) | instid1(VALU_DEP_1)
	v_lshlrev_b64 v[11:12], 2, v[11:12]
	v_sub_co_u32 v11, vcc_lo, s1, v11
	s_delay_alu instid0(VALU_DEP_2)
	v_sub_co_ci_u32_e32 v12, vcc_lo, s0, v12, vcc_lo
	s_waitcnt lgkmcnt(0)
	global_store_b32 v[11:12], v13, off offset:-4096
                                        ; implicit-def: $vgpr11
.LBB1283_278:
	s_and_not1_saveexec_b32 s5, s5
	s_cbranch_execz .LBB1283_280
; %bb.279:
	v_lshlrev_b32_e32 v12, 2, v0
	v_lshlrev_b32_e32 v11, 2, v11
	v_readfirstlane_b32 s6, v5
	v_readfirstlane_b32 s7, v6
	ds_load_b32 v12, v12 offset:4096
	s_waitcnt lgkmcnt(0)
	global_store_b32 v11, v12, s[6:7]
.LBB1283_280:
	s_or_b32 exec_lo, exec_lo, s5
                                        ; implicit-def: $vgpr11
.LBB1283_281:
	s_and_not1_saveexec_b32 s4, s4
	s_cbranch_execz .LBB1283_283
; %bb.282:
	v_lshlrev_b32_e32 v12, 2, v0
	v_lshlrev_b32_e32 v11, 2, v11
	v_readfirstlane_b32 s4, v7
	v_readfirstlane_b32 s5, v8
	ds_load_b32 v12, v12 offset:4096
	s_waitcnt lgkmcnt(0)
	global_store_b32 v11, v12, s[4:5]
.LBB1283_283:
	s_or_b32 exec_lo, exec_lo, s2
	v_or_b32_e32 v11, 0x500, v0
	s_mov_b32 s2, exec_lo
	s_delay_alu instid0(VALU_DEP_1)
	v_cmpx_gt_u32_e64 s3, v11
	s_cbranch_execz .LBB1283_292
; %bb.284:
	s_mov_b32 s4, exec_lo
	v_cmpx_le_u32_e64 v1, v11
	s_xor_b32 s4, exec_lo, s4
	s_cbranch_execz .LBB1283_290
; %bb.285:
	s_mov_b32 s5, exec_lo
	v_cmpx_le_u32_e64 v10, v11
	s_xor_b32 s5, exec_lo, s5
	s_cbranch_execz .LBB1283_287
; %bb.286:
	v_lshlrev_b32_e32 v12, 2, v0
	v_add_co_u32 v11, vcc_lo, v3, v11
	ds_load_b32 v13, v12 offset:5120
	v_add_co_ci_u32_e32 v12, vcc_lo, 0, v9, vcc_lo
	s_delay_alu instid0(VALU_DEP_1) | instskip(NEXT) | instid1(VALU_DEP_1)
	v_lshlrev_b64 v[11:12], 2, v[11:12]
	v_sub_co_u32 v11, vcc_lo, s1, v11
	s_delay_alu instid0(VALU_DEP_2)
	v_sub_co_ci_u32_e32 v12, vcc_lo, s0, v12, vcc_lo
	s_waitcnt lgkmcnt(0)
	global_store_b32 v[11:12], v13, off
                                        ; implicit-def: $vgpr11
.LBB1283_287:
	s_and_not1_saveexec_b32 s5, s5
	s_cbranch_execz .LBB1283_289
; %bb.288:
	v_lshlrev_b32_e32 v12, 2, v0
	v_lshlrev_b32_e32 v11, 2, v11
	v_readfirstlane_b32 s6, v5
	v_readfirstlane_b32 s7, v6
	ds_load_b32 v12, v12 offset:5120
	s_waitcnt lgkmcnt(0)
	global_store_b32 v11, v12, s[6:7]
.LBB1283_289:
	s_or_b32 exec_lo, exec_lo, s5
                                        ; implicit-def: $vgpr11
.LBB1283_290:
	s_and_not1_saveexec_b32 s4, s4
	s_cbranch_execz .LBB1283_292
; %bb.291:
	v_lshlrev_b32_e32 v12, 2, v0
	v_lshlrev_b32_e32 v11, 2, v11
	v_readfirstlane_b32 s4, v7
	v_readfirstlane_b32 s5, v8
	ds_load_b32 v12, v12 offset:5120
	s_waitcnt lgkmcnt(0)
	global_store_b32 v11, v12, s[4:5]
.LBB1283_292:
	s_or_b32 exec_lo, exec_lo, s2
	v_or_b32_e32 v11, 0x600, v0
	s_mov_b32 s2, exec_lo
	s_delay_alu instid0(VALU_DEP_1)
	v_cmpx_gt_u32_e64 s3, v11
	s_cbranch_execz .LBB1283_301
; %bb.293:
	s_mov_b32 s4, exec_lo
	v_cmpx_le_u32_e64 v1, v11
	s_xor_b32 s4, exec_lo, s4
	s_cbranch_execz .LBB1283_299
; %bb.294:
	s_mov_b32 s5, exec_lo
	v_cmpx_le_u32_e64 v10, v11
	s_xor_b32 s5, exec_lo, s5
	s_cbranch_execz .LBB1283_296
; %bb.295:
	v_lshlrev_b32_e32 v12, 2, v0
	v_add_co_u32 v11, vcc_lo, v3, v11
	ds_load_b32 v13, v12 offset:6144
	v_add_co_ci_u32_e32 v12, vcc_lo, 0, v9, vcc_lo
	s_delay_alu instid0(VALU_DEP_1) | instskip(NEXT) | instid1(VALU_DEP_1)
	v_lshlrev_b64 v[11:12], 2, v[11:12]
	v_sub_co_u32 v11, vcc_lo, s1, v11
	s_delay_alu instid0(VALU_DEP_2)
	v_sub_co_ci_u32_e32 v12, vcc_lo, s0, v12, vcc_lo
	s_waitcnt lgkmcnt(0)
	global_store_b32 v[11:12], v13, off
                                        ; implicit-def: $vgpr11
.LBB1283_296:
	s_and_not1_saveexec_b32 s5, s5
	s_cbranch_execz .LBB1283_298
; %bb.297:
	v_lshlrev_b32_e32 v12, 2, v0
	v_lshlrev_b32_e32 v11, 2, v11
	v_readfirstlane_b32 s6, v5
	v_readfirstlane_b32 s7, v6
	ds_load_b32 v12, v12 offset:6144
	s_waitcnt lgkmcnt(0)
	global_store_b32 v11, v12, s[6:7]
.LBB1283_298:
	s_or_b32 exec_lo, exec_lo, s5
                                        ; implicit-def: $vgpr11
.LBB1283_299:
	s_and_not1_saveexec_b32 s4, s4
	s_cbranch_execz .LBB1283_301
; %bb.300:
	v_lshlrev_b32_e32 v12, 2, v0
	v_lshlrev_b32_e32 v11, 2, v11
	v_readfirstlane_b32 s4, v7
	v_readfirstlane_b32 s5, v8
	ds_load_b32 v12, v12 offset:6144
	s_waitcnt lgkmcnt(0)
	global_store_b32 v11, v12, s[4:5]
.LBB1283_301:
	;; [unrolled: 55-line block ×7, first 2 shown]
	s_or_b32 exec_lo, exec_lo, s2
	v_or_b32_e32 v11, 0xc00, v0
	s_mov_b32 s2, exec_lo
	s_delay_alu instid0(VALU_DEP_1)
	v_cmpx_gt_u32_e64 s3, v11
	s_cbranch_execz .LBB1283_355
; %bb.347:
	s_mov_b32 s3, exec_lo
	v_cmpx_le_u32_e64 v1, v11
	s_xor_b32 s3, exec_lo, s3
	s_cbranch_execz .LBB1283_353
; %bb.348:
	s_mov_b32 s4, exec_lo
	v_cmpx_le_u32_e64 v10, v11
	s_xor_b32 s4, exec_lo, s4
	s_cbranch_execz .LBB1283_350
; %bb.349:
	v_lshlrev_b32_e32 v5, 2, v0
	ds_load_b32 v7, v5 offset:12288
	v_add_co_u32 v5, vcc_lo, v3, v11
	v_add_co_ci_u32_e32 v6, vcc_lo, 0, v9, vcc_lo
                                        ; implicit-def: $vgpr11
	s_delay_alu instid0(VALU_DEP_1) | instskip(NEXT) | instid1(VALU_DEP_1)
	v_lshlrev_b64 v[5:6], 2, v[5:6]
	v_sub_co_u32 v5, vcc_lo, s1, v5
	s_delay_alu instid0(VALU_DEP_2)
	v_sub_co_ci_u32_e32 v6, vcc_lo, s0, v6, vcc_lo
	s_waitcnt lgkmcnt(0)
	global_store_b32 v[5:6], v7, off
                                        ; implicit-def: $vgpr5_vgpr6
.LBB1283_350:
	s_and_not1_saveexec_b32 s0, s4
	s_cbranch_execz .LBB1283_352
; %bb.351:
	v_lshlrev_b32_e32 v3, 2, v0
	v_lshlrev_b32_e32 v7, 2, v11
	v_readfirstlane_b32 s4, v5
	v_readfirstlane_b32 s5, v6
	ds_load_b32 v3, v3 offset:12288
	s_waitcnt lgkmcnt(0)
	global_store_b32 v7, v3, s[4:5]
.LBB1283_352:
	s_or_b32 exec_lo, exec_lo, s0
                                        ; implicit-def: $vgpr11
                                        ; implicit-def: $vgpr7_vgpr8
.LBB1283_353:
	s_and_not1_saveexec_b32 s0, s3
	s_cbranch_execz .LBB1283_355
; %bb.354:
	v_lshlrev_b32_e32 v3, 2, v0
	v_lshlrev_b32_e32 v5, 2, v11
	v_readfirstlane_b32 s0, v7
	v_readfirstlane_b32 s1, v8
	ds_load_b32 v3, v3 offset:12288
	s_waitcnt lgkmcnt(0)
	global_store_b32 v5, v3, s[0:1]
.LBB1283_355:
	s_or_b32 exec_lo, exec_lo, s2
	v_cmp_eq_u32_e32 vcc_lo, 0, v0
	s_and_b32 s0, vcc_lo, s14
	s_delay_alu instid0(SALU_CYCLE_1)
	s_and_saveexec_b32 s1, s0
	s_cbranch_execz .LBB1283_132
.LBB1283_356:
	v_add_co_u32 v2, s0, s30, v2
	s_delay_alu instid0(VALU_DEP_1) | instskip(SKIP_2) | instid1(VALU_DEP_4)
	v_add_co_ci_u32_e64 v3, null, s31, 0, s0
	v_add_co_u32 v0, vcc_lo, v18, v1
	v_add_co_ci_u32_e32 v1, vcc_lo, 0, v19, vcc_lo
	v_add_co_u32 v2, vcc_lo, v2, v4
	v_mov_b32_e32 v5, 0
	v_add_co_ci_u32_e32 v3, vcc_lo, 0, v3, vcc_lo
	global_store_b128 v5, v[0:3], s[24:25]
	s_nop 0
	s_sendmsg sendmsg(MSG_DEALLOC_VGPRS)
	s_endpgm
.LBB1283_357:
	v_add_nc_u32_e32 v3, s7, v23
	s_add_i32 s10, s15, 32
	s_mov_b32 s11, 0
	v_dual_mov_b32 v5, 0 :: v_dual_add_nc_u32 v2, v22, v1
	s_lshl_b64 s[10:11], s[10:11], 4
	v_and_b32_e32 v20, 0xff0000, v3
	s_add_u32 s10, s4, s10
	s_addc_u32 s11, s5, s11
	v_and_b32_e32 v4, 0xff000000, v3
	s_delay_alu instid0(VALU_DEP_1) | instskip(SKIP_2) | instid1(VALU_DEP_1)
	v_or_b32_e32 v20, v20, v4
	v_dual_mov_b32 v4, 2 :: v_dual_and_b32 v21, 0xff00, v3
	v_and_b32_e32 v3, 0xff, v3
	v_or3_b32 v3, v20, v21, v3
	v_dual_mov_b32 v21, s11 :: v_dual_mov_b32 v20, s10
	;;#ASMSTART
	global_store_dwordx4 v[20:21], v[2:5] off	
s_waitcnt vmcnt(0)
	;;#ASMEND
	s_or_b32 exec_lo, exec_lo, s8
	s_and_saveexec_b32 s8, s2
	s_cbranch_execz .LBB1283_116
.LBB1283_358:
	v_mov_b32_e32 v2, s7
	v_add_nc_u32_e64 v3, 0x3400, 0
	ds_store_2addr_b32 v3, v1, v2 offset1:2
	ds_store_2addr_b32 v3, v22, v23 offset0:4 offset1:6
	s_or_b32 exec_lo, exec_lo, s8
	v_cmp_eq_u32_e32 vcc_lo, 0, v0
	s_and_b32 exec_lo, exec_lo, vcc_lo
	s_cbranch_execnz .LBB1283_117
	s_branch .LBB1283_118
	.section	.rodata,"a",@progbits
	.p2align	6, 0x0
	.amdhsa_kernel _ZN7rocprim17ROCPRIM_400000_NS6detail17trampoline_kernelINS0_13select_configILj256ELj13ELNS0_17block_load_methodE3ELS4_3ELS4_3ELNS0_20block_scan_algorithmE0ELj4294967295EEENS1_25partition_config_selectorILNS1_17partition_subalgoE4EjNS0_10empty_typeEbEEZZNS1_14partition_implILS8_4ELb0ES6_15HIP_vector_typeIjLj2EENS0_17counting_iteratorIjlEEPS9_SG_NS0_5tupleIJPjSI_NS0_16reverse_iteratorISI_EEEEENSH_IJSG_SG_SG_EEES9_SI_JZNS1_25segmented_radix_sort_implINS0_14default_configELb1EPKfPfPKlPlN2at6native12_GLOBAL__N_18offset_tEEE10hipError_tPvRmT1_PNSt15iterator_traitsIS12_E10value_typeET2_T3_PNS13_IS18_E10value_typeET4_jRbjT5_S1E_jjP12ihipStream_tbEUljE_ZNSN_ISO_Lb1ESQ_SR_ST_SU_SY_EESZ_S10_S11_S12_S16_S17_S18_S1B_S1C_jS1D_jS1E_S1E_jjS1G_bEUljE0_EEESZ_S10_S11_S18_S1C_S1E_T6_T7_T9_mT8_S1G_bDpT10_ENKUlT_T0_E_clISt17integral_constantIbLb1EES1T_IbLb0EEEEDaS1P_S1Q_EUlS1P_E_NS1_11comp_targetILNS1_3genE9ELNS1_11target_archE1100ELNS1_3gpuE3ELNS1_3repE0EEENS1_30default_config_static_selectorELNS0_4arch9wavefront6targetE0EEEvS12_
		.amdhsa_group_segment_fixed_size 13340
		.amdhsa_private_segment_fixed_size 0
		.amdhsa_kernarg_size 176
		.amdhsa_user_sgpr_count 15
		.amdhsa_user_sgpr_dispatch_ptr 0
		.amdhsa_user_sgpr_queue_ptr 0
		.amdhsa_user_sgpr_kernarg_segment_ptr 1
		.amdhsa_user_sgpr_dispatch_id 0
		.amdhsa_user_sgpr_private_segment_size 0
		.amdhsa_wavefront_size32 1
		.amdhsa_uses_dynamic_stack 0
		.amdhsa_enable_private_segment 0
		.amdhsa_system_sgpr_workgroup_id_x 1
		.amdhsa_system_sgpr_workgroup_id_y 0
		.amdhsa_system_sgpr_workgroup_id_z 0
		.amdhsa_system_sgpr_workgroup_info 0
		.amdhsa_system_vgpr_workitem_id 0
		.amdhsa_next_free_vgpr 98
		.amdhsa_next_free_sgpr 59
		.amdhsa_reserve_vcc 1
		.amdhsa_float_round_mode_32 0
		.amdhsa_float_round_mode_16_64 0
		.amdhsa_float_denorm_mode_32 3
		.amdhsa_float_denorm_mode_16_64 3
		.amdhsa_dx10_clamp 1
		.amdhsa_ieee_mode 1
		.amdhsa_fp16_overflow 0
		.amdhsa_workgroup_processor_mode 1
		.amdhsa_memory_ordered 1
		.amdhsa_forward_progress 0
		.amdhsa_shared_vgpr_count 0
		.amdhsa_exception_fp_ieee_invalid_op 0
		.amdhsa_exception_fp_denorm_src 0
		.amdhsa_exception_fp_ieee_div_zero 0
		.amdhsa_exception_fp_ieee_overflow 0
		.amdhsa_exception_fp_ieee_underflow 0
		.amdhsa_exception_fp_ieee_inexact 0
		.amdhsa_exception_int_div_zero 0
	.end_amdhsa_kernel
	.section	.text._ZN7rocprim17ROCPRIM_400000_NS6detail17trampoline_kernelINS0_13select_configILj256ELj13ELNS0_17block_load_methodE3ELS4_3ELS4_3ELNS0_20block_scan_algorithmE0ELj4294967295EEENS1_25partition_config_selectorILNS1_17partition_subalgoE4EjNS0_10empty_typeEbEEZZNS1_14partition_implILS8_4ELb0ES6_15HIP_vector_typeIjLj2EENS0_17counting_iteratorIjlEEPS9_SG_NS0_5tupleIJPjSI_NS0_16reverse_iteratorISI_EEEEENSH_IJSG_SG_SG_EEES9_SI_JZNS1_25segmented_radix_sort_implINS0_14default_configELb1EPKfPfPKlPlN2at6native12_GLOBAL__N_18offset_tEEE10hipError_tPvRmT1_PNSt15iterator_traitsIS12_E10value_typeET2_T3_PNS13_IS18_E10value_typeET4_jRbjT5_S1E_jjP12ihipStream_tbEUljE_ZNSN_ISO_Lb1ESQ_SR_ST_SU_SY_EESZ_S10_S11_S12_S16_S17_S18_S1B_S1C_jS1D_jS1E_S1E_jjS1G_bEUljE0_EEESZ_S10_S11_S18_S1C_S1E_T6_T7_T9_mT8_S1G_bDpT10_ENKUlT_T0_E_clISt17integral_constantIbLb1EES1T_IbLb0EEEEDaS1P_S1Q_EUlS1P_E_NS1_11comp_targetILNS1_3genE9ELNS1_11target_archE1100ELNS1_3gpuE3ELNS1_3repE0EEENS1_30default_config_static_selectorELNS0_4arch9wavefront6targetE0EEEvS12_,"axG",@progbits,_ZN7rocprim17ROCPRIM_400000_NS6detail17trampoline_kernelINS0_13select_configILj256ELj13ELNS0_17block_load_methodE3ELS4_3ELS4_3ELNS0_20block_scan_algorithmE0ELj4294967295EEENS1_25partition_config_selectorILNS1_17partition_subalgoE4EjNS0_10empty_typeEbEEZZNS1_14partition_implILS8_4ELb0ES6_15HIP_vector_typeIjLj2EENS0_17counting_iteratorIjlEEPS9_SG_NS0_5tupleIJPjSI_NS0_16reverse_iteratorISI_EEEEENSH_IJSG_SG_SG_EEES9_SI_JZNS1_25segmented_radix_sort_implINS0_14default_configELb1EPKfPfPKlPlN2at6native12_GLOBAL__N_18offset_tEEE10hipError_tPvRmT1_PNSt15iterator_traitsIS12_E10value_typeET2_T3_PNS13_IS18_E10value_typeET4_jRbjT5_S1E_jjP12ihipStream_tbEUljE_ZNSN_ISO_Lb1ESQ_SR_ST_SU_SY_EESZ_S10_S11_S12_S16_S17_S18_S1B_S1C_jS1D_jS1E_S1E_jjS1G_bEUljE0_EEESZ_S10_S11_S18_S1C_S1E_T6_T7_T9_mT8_S1G_bDpT10_ENKUlT_T0_E_clISt17integral_constantIbLb1EES1T_IbLb0EEEEDaS1P_S1Q_EUlS1P_E_NS1_11comp_targetILNS1_3genE9ELNS1_11target_archE1100ELNS1_3gpuE3ELNS1_3repE0EEENS1_30default_config_static_selectorELNS0_4arch9wavefront6targetE0EEEvS12_,comdat
.Lfunc_end1283:
	.size	_ZN7rocprim17ROCPRIM_400000_NS6detail17trampoline_kernelINS0_13select_configILj256ELj13ELNS0_17block_load_methodE3ELS4_3ELS4_3ELNS0_20block_scan_algorithmE0ELj4294967295EEENS1_25partition_config_selectorILNS1_17partition_subalgoE4EjNS0_10empty_typeEbEEZZNS1_14partition_implILS8_4ELb0ES6_15HIP_vector_typeIjLj2EENS0_17counting_iteratorIjlEEPS9_SG_NS0_5tupleIJPjSI_NS0_16reverse_iteratorISI_EEEEENSH_IJSG_SG_SG_EEES9_SI_JZNS1_25segmented_radix_sort_implINS0_14default_configELb1EPKfPfPKlPlN2at6native12_GLOBAL__N_18offset_tEEE10hipError_tPvRmT1_PNSt15iterator_traitsIS12_E10value_typeET2_T3_PNS13_IS18_E10value_typeET4_jRbjT5_S1E_jjP12ihipStream_tbEUljE_ZNSN_ISO_Lb1ESQ_SR_ST_SU_SY_EESZ_S10_S11_S12_S16_S17_S18_S1B_S1C_jS1D_jS1E_S1E_jjS1G_bEUljE0_EEESZ_S10_S11_S18_S1C_S1E_T6_T7_T9_mT8_S1G_bDpT10_ENKUlT_T0_E_clISt17integral_constantIbLb1EES1T_IbLb0EEEEDaS1P_S1Q_EUlS1P_E_NS1_11comp_targetILNS1_3genE9ELNS1_11target_archE1100ELNS1_3gpuE3ELNS1_3repE0EEENS1_30default_config_static_selectorELNS0_4arch9wavefront6targetE0EEEvS12_, .Lfunc_end1283-_ZN7rocprim17ROCPRIM_400000_NS6detail17trampoline_kernelINS0_13select_configILj256ELj13ELNS0_17block_load_methodE3ELS4_3ELS4_3ELNS0_20block_scan_algorithmE0ELj4294967295EEENS1_25partition_config_selectorILNS1_17partition_subalgoE4EjNS0_10empty_typeEbEEZZNS1_14partition_implILS8_4ELb0ES6_15HIP_vector_typeIjLj2EENS0_17counting_iteratorIjlEEPS9_SG_NS0_5tupleIJPjSI_NS0_16reverse_iteratorISI_EEEEENSH_IJSG_SG_SG_EEES9_SI_JZNS1_25segmented_radix_sort_implINS0_14default_configELb1EPKfPfPKlPlN2at6native12_GLOBAL__N_18offset_tEEE10hipError_tPvRmT1_PNSt15iterator_traitsIS12_E10value_typeET2_T3_PNS13_IS18_E10value_typeET4_jRbjT5_S1E_jjP12ihipStream_tbEUljE_ZNSN_ISO_Lb1ESQ_SR_ST_SU_SY_EESZ_S10_S11_S12_S16_S17_S18_S1B_S1C_jS1D_jS1E_S1E_jjS1G_bEUljE0_EEESZ_S10_S11_S18_S1C_S1E_T6_T7_T9_mT8_S1G_bDpT10_ENKUlT_T0_E_clISt17integral_constantIbLb1EES1T_IbLb0EEEEDaS1P_S1Q_EUlS1P_E_NS1_11comp_targetILNS1_3genE9ELNS1_11target_archE1100ELNS1_3gpuE3ELNS1_3repE0EEENS1_30default_config_static_selectorELNS0_4arch9wavefront6targetE0EEEvS12_
                                        ; -- End function
	.section	.AMDGPU.csdata,"",@progbits
; Kernel info:
; codeLenInByte = 15084
; NumSgprs: 61
; NumVgprs: 98
; ScratchSize: 0
; MemoryBound: 0
; FloatMode: 240
; IeeeMode: 1
; LDSByteSize: 13340 bytes/workgroup (compile time only)
; SGPRBlocks: 7
; VGPRBlocks: 12
; NumSGPRsForWavesPerEU: 61
; NumVGPRsForWavesPerEU: 98
; Occupancy: 12
; WaveLimiterHint : 1
; COMPUTE_PGM_RSRC2:SCRATCH_EN: 0
; COMPUTE_PGM_RSRC2:USER_SGPR: 15
; COMPUTE_PGM_RSRC2:TRAP_HANDLER: 0
; COMPUTE_PGM_RSRC2:TGID_X_EN: 1
; COMPUTE_PGM_RSRC2:TGID_Y_EN: 0
; COMPUTE_PGM_RSRC2:TGID_Z_EN: 0
; COMPUTE_PGM_RSRC2:TIDIG_COMP_CNT: 0
	.section	.text._ZN7rocprim17ROCPRIM_400000_NS6detail17trampoline_kernelINS0_13select_configILj256ELj13ELNS0_17block_load_methodE3ELS4_3ELS4_3ELNS0_20block_scan_algorithmE0ELj4294967295EEENS1_25partition_config_selectorILNS1_17partition_subalgoE4EjNS0_10empty_typeEbEEZZNS1_14partition_implILS8_4ELb0ES6_15HIP_vector_typeIjLj2EENS0_17counting_iteratorIjlEEPS9_SG_NS0_5tupleIJPjSI_NS0_16reverse_iteratorISI_EEEEENSH_IJSG_SG_SG_EEES9_SI_JZNS1_25segmented_radix_sort_implINS0_14default_configELb1EPKfPfPKlPlN2at6native12_GLOBAL__N_18offset_tEEE10hipError_tPvRmT1_PNSt15iterator_traitsIS12_E10value_typeET2_T3_PNS13_IS18_E10value_typeET4_jRbjT5_S1E_jjP12ihipStream_tbEUljE_ZNSN_ISO_Lb1ESQ_SR_ST_SU_SY_EESZ_S10_S11_S12_S16_S17_S18_S1B_S1C_jS1D_jS1E_S1E_jjS1G_bEUljE0_EEESZ_S10_S11_S18_S1C_S1E_T6_T7_T9_mT8_S1G_bDpT10_ENKUlT_T0_E_clISt17integral_constantIbLb1EES1T_IbLb0EEEEDaS1P_S1Q_EUlS1P_E_NS1_11comp_targetILNS1_3genE8ELNS1_11target_archE1030ELNS1_3gpuE2ELNS1_3repE0EEENS1_30default_config_static_selectorELNS0_4arch9wavefront6targetE0EEEvS12_,"axG",@progbits,_ZN7rocprim17ROCPRIM_400000_NS6detail17trampoline_kernelINS0_13select_configILj256ELj13ELNS0_17block_load_methodE3ELS4_3ELS4_3ELNS0_20block_scan_algorithmE0ELj4294967295EEENS1_25partition_config_selectorILNS1_17partition_subalgoE4EjNS0_10empty_typeEbEEZZNS1_14partition_implILS8_4ELb0ES6_15HIP_vector_typeIjLj2EENS0_17counting_iteratorIjlEEPS9_SG_NS0_5tupleIJPjSI_NS0_16reverse_iteratorISI_EEEEENSH_IJSG_SG_SG_EEES9_SI_JZNS1_25segmented_radix_sort_implINS0_14default_configELb1EPKfPfPKlPlN2at6native12_GLOBAL__N_18offset_tEEE10hipError_tPvRmT1_PNSt15iterator_traitsIS12_E10value_typeET2_T3_PNS13_IS18_E10value_typeET4_jRbjT5_S1E_jjP12ihipStream_tbEUljE_ZNSN_ISO_Lb1ESQ_SR_ST_SU_SY_EESZ_S10_S11_S12_S16_S17_S18_S1B_S1C_jS1D_jS1E_S1E_jjS1G_bEUljE0_EEESZ_S10_S11_S18_S1C_S1E_T6_T7_T9_mT8_S1G_bDpT10_ENKUlT_T0_E_clISt17integral_constantIbLb1EES1T_IbLb0EEEEDaS1P_S1Q_EUlS1P_E_NS1_11comp_targetILNS1_3genE8ELNS1_11target_archE1030ELNS1_3gpuE2ELNS1_3repE0EEENS1_30default_config_static_selectorELNS0_4arch9wavefront6targetE0EEEvS12_,comdat
	.globl	_ZN7rocprim17ROCPRIM_400000_NS6detail17trampoline_kernelINS0_13select_configILj256ELj13ELNS0_17block_load_methodE3ELS4_3ELS4_3ELNS0_20block_scan_algorithmE0ELj4294967295EEENS1_25partition_config_selectorILNS1_17partition_subalgoE4EjNS0_10empty_typeEbEEZZNS1_14partition_implILS8_4ELb0ES6_15HIP_vector_typeIjLj2EENS0_17counting_iteratorIjlEEPS9_SG_NS0_5tupleIJPjSI_NS0_16reverse_iteratorISI_EEEEENSH_IJSG_SG_SG_EEES9_SI_JZNS1_25segmented_radix_sort_implINS0_14default_configELb1EPKfPfPKlPlN2at6native12_GLOBAL__N_18offset_tEEE10hipError_tPvRmT1_PNSt15iterator_traitsIS12_E10value_typeET2_T3_PNS13_IS18_E10value_typeET4_jRbjT5_S1E_jjP12ihipStream_tbEUljE_ZNSN_ISO_Lb1ESQ_SR_ST_SU_SY_EESZ_S10_S11_S12_S16_S17_S18_S1B_S1C_jS1D_jS1E_S1E_jjS1G_bEUljE0_EEESZ_S10_S11_S18_S1C_S1E_T6_T7_T9_mT8_S1G_bDpT10_ENKUlT_T0_E_clISt17integral_constantIbLb1EES1T_IbLb0EEEEDaS1P_S1Q_EUlS1P_E_NS1_11comp_targetILNS1_3genE8ELNS1_11target_archE1030ELNS1_3gpuE2ELNS1_3repE0EEENS1_30default_config_static_selectorELNS0_4arch9wavefront6targetE0EEEvS12_ ; -- Begin function _ZN7rocprim17ROCPRIM_400000_NS6detail17trampoline_kernelINS0_13select_configILj256ELj13ELNS0_17block_load_methodE3ELS4_3ELS4_3ELNS0_20block_scan_algorithmE0ELj4294967295EEENS1_25partition_config_selectorILNS1_17partition_subalgoE4EjNS0_10empty_typeEbEEZZNS1_14partition_implILS8_4ELb0ES6_15HIP_vector_typeIjLj2EENS0_17counting_iteratorIjlEEPS9_SG_NS0_5tupleIJPjSI_NS0_16reverse_iteratorISI_EEEEENSH_IJSG_SG_SG_EEES9_SI_JZNS1_25segmented_radix_sort_implINS0_14default_configELb1EPKfPfPKlPlN2at6native12_GLOBAL__N_18offset_tEEE10hipError_tPvRmT1_PNSt15iterator_traitsIS12_E10value_typeET2_T3_PNS13_IS18_E10value_typeET4_jRbjT5_S1E_jjP12ihipStream_tbEUljE_ZNSN_ISO_Lb1ESQ_SR_ST_SU_SY_EESZ_S10_S11_S12_S16_S17_S18_S1B_S1C_jS1D_jS1E_S1E_jjS1G_bEUljE0_EEESZ_S10_S11_S18_S1C_S1E_T6_T7_T9_mT8_S1G_bDpT10_ENKUlT_T0_E_clISt17integral_constantIbLb1EES1T_IbLb0EEEEDaS1P_S1Q_EUlS1P_E_NS1_11comp_targetILNS1_3genE8ELNS1_11target_archE1030ELNS1_3gpuE2ELNS1_3repE0EEENS1_30default_config_static_selectorELNS0_4arch9wavefront6targetE0EEEvS12_
	.p2align	8
	.type	_ZN7rocprim17ROCPRIM_400000_NS6detail17trampoline_kernelINS0_13select_configILj256ELj13ELNS0_17block_load_methodE3ELS4_3ELS4_3ELNS0_20block_scan_algorithmE0ELj4294967295EEENS1_25partition_config_selectorILNS1_17partition_subalgoE4EjNS0_10empty_typeEbEEZZNS1_14partition_implILS8_4ELb0ES6_15HIP_vector_typeIjLj2EENS0_17counting_iteratorIjlEEPS9_SG_NS0_5tupleIJPjSI_NS0_16reverse_iteratorISI_EEEEENSH_IJSG_SG_SG_EEES9_SI_JZNS1_25segmented_radix_sort_implINS0_14default_configELb1EPKfPfPKlPlN2at6native12_GLOBAL__N_18offset_tEEE10hipError_tPvRmT1_PNSt15iterator_traitsIS12_E10value_typeET2_T3_PNS13_IS18_E10value_typeET4_jRbjT5_S1E_jjP12ihipStream_tbEUljE_ZNSN_ISO_Lb1ESQ_SR_ST_SU_SY_EESZ_S10_S11_S12_S16_S17_S18_S1B_S1C_jS1D_jS1E_S1E_jjS1G_bEUljE0_EEESZ_S10_S11_S18_S1C_S1E_T6_T7_T9_mT8_S1G_bDpT10_ENKUlT_T0_E_clISt17integral_constantIbLb1EES1T_IbLb0EEEEDaS1P_S1Q_EUlS1P_E_NS1_11comp_targetILNS1_3genE8ELNS1_11target_archE1030ELNS1_3gpuE2ELNS1_3repE0EEENS1_30default_config_static_selectorELNS0_4arch9wavefront6targetE0EEEvS12_,@function
_ZN7rocprim17ROCPRIM_400000_NS6detail17trampoline_kernelINS0_13select_configILj256ELj13ELNS0_17block_load_methodE3ELS4_3ELS4_3ELNS0_20block_scan_algorithmE0ELj4294967295EEENS1_25partition_config_selectorILNS1_17partition_subalgoE4EjNS0_10empty_typeEbEEZZNS1_14partition_implILS8_4ELb0ES6_15HIP_vector_typeIjLj2EENS0_17counting_iteratorIjlEEPS9_SG_NS0_5tupleIJPjSI_NS0_16reverse_iteratorISI_EEEEENSH_IJSG_SG_SG_EEES9_SI_JZNS1_25segmented_radix_sort_implINS0_14default_configELb1EPKfPfPKlPlN2at6native12_GLOBAL__N_18offset_tEEE10hipError_tPvRmT1_PNSt15iterator_traitsIS12_E10value_typeET2_T3_PNS13_IS18_E10value_typeET4_jRbjT5_S1E_jjP12ihipStream_tbEUljE_ZNSN_ISO_Lb1ESQ_SR_ST_SU_SY_EESZ_S10_S11_S12_S16_S17_S18_S1B_S1C_jS1D_jS1E_S1E_jjS1G_bEUljE0_EEESZ_S10_S11_S18_S1C_S1E_T6_T7_T9_mT8_S1G_bDpT10_ENKUlT_T0_E_clISt17integral_constantIbLb1EES1T_IbLb0EEEEDaS1P_S1Q_EUlS1P_E_NS1_11comp_targetILNS1_3genE8ELNS1_11target_archE1030ELNS1_3gpuE2ELNS1_3repE0EEENS1_30default_config_static_selectorELNS0_4arch9wavefront6targetE0EEEvS12_: ; @_ZN7rocprim17ROCPRIM_400000_NS6detail17trampoline_kernelINS0_13select_configILj256ELj13ELNS0_17block_load_methodE3ELS4_3ELS4_3ELNS0_20block_scan_algorithmE0ELj4294967295EEENS1_25partition_config_selectorILNS1_17partition_subalgoE4EjNS0_10empty_typeEbEEZZNS1_14partition_implILS8_4ELb0ES6_15HIP_vector_typeIjLj2EENS0_17counting_iteratorIjlEEPS9_SG_NS0_5tupleIJPjSI_NS0_16reverse_iteratorISI_EEEEENSH_IJSG_SG_SG_EEES9_SI_JZNS1_25segmented_radix_sort_implINS0_14default_configELb1EPKfPfPKlPlN2at6native12_GLOBAL__N_18offset_tEEE10hipError_tPvRmT1_PNSt15iterator_traitsIS12_E10value_typeET2_T3_PNS13_IS18_E10value_typeET4_jRbjT5_S1E_jjP12ihipStream_tbEUljE_ZNSN_ISO_Lb1ESQ_SR_ST_SU_SY_EESZ_S10_S11_S12_S16_S17_S18_S1B_S1C_jS1D_jS1E_S1E_jjS1G_bEUljE0_EEESZ_S10_S11_S18_S1C_S1E_T6_T7_T9_mT8_S1G_bDpT10_ENKUlT_T0_E_clISt17integral_constantIbLb1EES1T_IbLb0EEEEDaS1P_S1Q_EUlS1P_E_NS1_11comp_targetILNS1_3genE8ELNS1_11target_archE1030ELNS1_3gpuE2ELNS1_3repE0EEENS1_30default_config_static_selectorELNS0_4arch9wavefront6targetE0EEEvS12_
; %bb.0:
	.section	.rodata,"a",@progbits
	.p2align	6, 0x0
	.amdhsa_kernel _ZN7rocprim17ROCPRIM_400000_NS6detail17trampoline_kernelINS0_13select_configILj256ELj13ELNS0_17block_load_methodE3ELS4_3ELS4_3ELNS0_20block_scan_algorithmE0ELj4294967295EEENS1_25partition_config_selectorILNS1_17partition_subalgoE4EjNS0_10empty_typeEbEEZZNS1_14partition_implILS8_4ELb0ES6_15HIP_vector_typeIjLj2EENS0_17counting_iteratorIjlEEPS9_SG_NS0_5tupleIJPjSI_NS0_16reverse_iteratorISI_EEEEENSH_IJSG_SG_SG_EEES9_SI_JZNS1_25segmented_radix_sort_implINS0_14default_configELb1EPKfPfPKlPlN2at6native12_GLOBAL__N_18offset_tEEE10hipError_tPvRmT1_PNSt15iterator_traitsIS12_E10value_typeET2_T3_PNS13_IS18_E10value_typeET4_jRbjT5_S1E_jjP12ihipStream_tbEUljE_ZNSN_ISO_Lb1ESQ_SR_ST_SU_SY_EESZ_S10_S11_S12_S16_S17_S18_S1B_S1C_jS1D_jS1E_S1E_jjS1G_bEUljE0_EEESZ_S10_S11_S18_S1C_S1E_T6_T7_T9_mT8_S1G_bDpT10_ENKUlT_T0_E_clISt17integral_constantIbLb1EES1T_IbLb0EEEEDaS1P_S1Q_EUlS1P_E_NS1_11comp_targetILNS1_3genE8ELNS1_11target_archE1030ELNS1_3gpuE2ELNS1_3repE0EEENS1_30default_config_static_selectorELNS0_4arch9wavefront6targetE0EEEvS12_
		.amdhsa_group_segment_fixed_size 0
		.amdhsa_private_segment_fixed_size 0
		.amdhsa_kernarg_size 176
		.amdhsa_user_sgpr_count 15
		.amdhsa_user_sgpr_dispatch_ptr 0
		.amdhsa_user_sgpr_queue_ptr 0
		.amdhsa_user_sgpr_kernarg_segment_ptr 1
		.amdhsa_user_sgpr_dispatch_id 0
		.amdhsa_user_sgpr_private_segment_size 0
		.amdhsa_wavefront_size32 1
		.amdhsa_uses_dynamic_stack 0
		.amdhsa_enable_private_segment 0
		.amdhsa_system_sgpr_workgroup_id_x 1
		.amdhsa_system_sgpr_workgroup_id_y 0
		.amdhsa_system_sgpr_workgroup_id_z 0
		.amdhsa_system_sgpr_workgroup_info 0
		.amdhsa_system_vgpr_workitem_id 0
		.amdhsa_next_free_vgpr 1
		.amdhsa_next_free_sgpr 1
		.amdhsa_reserve_vcc 0
		.amdhsa_float_round_mode_32 0
		.amdhsa_float_round_mode_16_64 0
		.amdhsa_float_denorm_mode_32 3
		.amdhsa_float_denorm_mode_16_64 3
		.amdhsa_dx10_clamp 1
		.amdhsa_ieee_mode 1
		.amdhsa_fp16_overflow 0
		.amdhsa_workgroup_processor_mode 1
		.amdhsa_memory_ordered 1
		.amdhsa_forward_progress 0
		.amdhsa_shared_vgpr_count 0
		.amdhsa_exception_fp_ieee_invalid_op 0
		.amdhsa_exception_fp_denorm_src 0
		.amdhsa_exception_fp_ieee_div_zero 0
		.amdhsa_exception_fp_ieee_overflow 0
		.amdhsa_exception_fp_ieee_underflow 0
		.amdhsa_exception_fp_ieee_inexact 0
		.amdhsa_exception_int_div_zero 0
	.end_amdhsa_kernel
	.section	.text._ZN7rocprim17ROCPRIM_400000_NS6detail17trampoline_kernelINS0_13select_configILj256ELj13ELNS0_17block_load_methodE3ELS4_3ELS4_3ELNS0_20block_scan_algorithmE0ELj4294967295EEENS1_25partition_config_selectorILNS1_17partition_subalgoE4EjNS0_10empty_typeEbEEZZNS1_14partition_implILS8_4ELb0ES6_15HIP_vector_typeIjLj2EENS0_17counting_iteratorIjlEEPS9_SG_NS0_5tupleIJPjSI_NS0_16reverse_iteratorISI_EEEEENSH_IJSG_SG_SG_EEES9_SI_JZNS1_25segmented_radix_sort_implINS0_14default_configELb1EPKfPfPKlPlN2at6native12_GLOBAL__N_18offset_tEEE10hipError_tPvRmT1_PNSt15iterator_traitsIS12_E10value_typeET2_T3_PNS13_IS18_E10value_typeET4_jRbjT5_S1E_jjP12ihipStream_tbEUljE_ZNSN_ISO_Lb1ESQ_SR_ST_SU_SY_EESZ_S10_S11_S12_S16_S17_S18_S1B_S1C_jS1D_jS1E_S1E_jjS1G_bEUljE0_EEESZ_S10_S11_S18_S1C_S1E_T6_T7_T9_mT8_S1G_bDpT10_ENKUlT_T0_E_clISt17integral_constantIbLb1EES1T_IbLb0EEEEDaS1P_S1Q_EUlS1P_E_NS1_11comp_targetILNS1_3genE8ELNS1_11target_archE1030ELNS1_3gpuE2ELNS1_3repE0EEENS1_30default_config_static_selectorELNS0_4arch9wavefront6targetE0EEEvS12_,"axG",@progbits,_ZN7rocprim17ROCPRIM_400000_NS6detail17trampoline_kernelINS0_13select_configILj256ELj13ELNS0_17block_load_methodE3ELS4_3ELS4_3ELNS0_20block_scan_algorithmE0ELj4294967295EEENS1_25partition_config_selectorILNS1_17partition_subalgoE4EjNS0_10empty_typeEbEEZZNS1_14partition_implILS8_4ELb0ES6_15HIP_vector_typeIjLj2EENS0_17counting_iteratorIjlEEPS9_SG_NS0_5tupleIJPjSI_NS0_16reverse_iteratorISI_EEEEENSH_IJSG_SG_SG_EEES9_SI_JZNS1_25segmented_radix_sort_implINS0_14default_configELb1EPKfPfPKlPlN2at6native12_GLOBAL__N_18offset_tEEE10hipError_tPvRmT1_PNSt15iterator_traitsIS12_E10value_typeET2_T3_PNS13_IS18_E10value_typeET4_jRbjT5_S1E_jjP12ihipStream_tbEUljE_ZNSN_ISO_Lb1ESQ_SR_ST_SU_SY_EESZ_S10_S11_S12_S16_S17_S18_S1B_S1C_jS1D_jS1E_S1E_jjS1G_bEUljE0_EEESZ_S10_S11_S18_S1C_S1E_T6_T7_T9_mT8_S1G_bDpT10_ENKUlT_T0_E_clISt17integral_constantIbLb1EES1T_IbLb0EEEEDaS1P_S1Q_EUlS1P_E_NS1_11comp_targetILNS1_3genE8ELNS1_11target_archE1030ELNS1_3gpuE2ELNS1_3repE0EEENS1_30default_config_static_selectorELNS0_4arch9wavefront6targetE0EEEvS12_,comdat
.Lfunc_end1284:
	.size	_ZN7rocprim17ROCPRIM_400000_NS6detail17trampoline_kernelINS0_13select_configILj256ELj13ELNS0_17block_load_methodE3ELS4_3ELS4_3ELNS0_20block_scan_algorithmE0ELj4294967295EEENS1_25partition_config_selectorILNS1_17partition_subalgoE4EjNS0_10empty_typeEbEEZZNS1_14partition_implILS8_4ELb0ES6_15HIP_vector_typeIjLj2EENS0_17counting_iteratorIjlEEPS9_SG_NS0_5tupleIJPjSI_NS0_16reverse_iteratorISI_EEEEENSH_IJSG_SG_SG_EEES9_SI_JZNS1_25segmented_radix_sort_implINS0_14default_configELb1EPKfPfPKlPlN2at6native12_GLOBAL__N_18offset_tEEE10hipError_tPvRmT1_PNSt15iterator_traitsIS12_E10value_typeET2_T3_PNS13_IS18_E10value_typeET4_jRbjT5_S1E_jjP12ihipStream_tbEUljE_ZNSN_ISO_Lb1ESQ_SR_ST_SU_SY_EESZ_S10_S11_S12_S16_S17_S18_S1B_S1C_jS1D_jS1E_S1E_jjS1G_bEUljE0_EEESZ_S10_S11_S18_S1C_S1E_T6_T7_T9_mT8_S1G_bDpT10_ENKUlT_T0_E_clISt17integral_constantIbLb1EES1T_IbLb0EEEEDaS1P_S1Q_EUlS1P_E_NS1_11comp_targetILNS1_3genE8ELNS1_11target_archE1030ELNS1_3gpuE2ELNS1_3repE0EEENS1_30default_config_static_selectorELNS0_4arch9wavefront6targetE0EEEvS12_, .Lfunc_end1284-_ZN7rocprim17ROCPRIM_400000_NS6detail17trampoline_kernelINS0_13select_configILj256ELj13ELNS0_17block_load_methodE3ELS4_3ELS4_3ELNS0_20block_scan_algorithmE0ELj4294967295EEENS1_25partition_config_selectorILNS1_17partition_subalgoE4EjNS0_10empty_typeEbEEZZNS1_14partition_implILS8_4ELb0ES6_15HIP_vector_typeIjLj2EENS0_17counting_iteratorIjlEEPS9_SG_NS0_5tupleIJPjSI_NS0_16reverse_iteratorISI_EEEEENSH_IJSG_SG_SG_EEES9_SI_JZNS1_25segmented_radix_sort_implINS0_14default_configELb1EPKfPfPKlPlN2at6native12_GLOBAL__N_18offset_tEEE10hipError_tPvRmT1_PNSt15iterator_traitsIS12_E10value_typeET2_T3_PNS13_IS18_E10value_typeET4_jRbjT5_S1E_jjP12ihipStream_tbEUljE_ZNSN_ISO_Lb1ESQ_SR_ST_SU_SY_EESZ_S10_S11_S12_S16_S17_S18_S1B_S1C_jS1D_jS1E_S1E_jjS1G_bEUljE0_EEESZ_S10_S11_S18_S1C_S1E_T6_T7_T9_mT8_S1G_bDpT10_ENKUlT_T0_E_clISt17integral_constantIbLb1EES1T_IbLb0EEEEDaS1P_S1Q_EUlS1P_E_NS1_11comp_targetILNS1_3genE8ELNS1_11target_archE1030ELNS1_3gpuE2ELNS1_3repE0EEENS1_30default_config_static_selectorELNS0_4arch9wavefront6targetE0EEEvS12_
                                        ; -- End function
	.section	.AMDGPU.csdata,"",@progbits
; Kernel info:
; codeLenInByte = 0
; NumSgprs: 0
; NumVgprs: 0
; ScratchSize: 0
; MemoryBound: 0
; FloatMode: 240
; IeeeMode: 1
; LDSByteSize: 0 bytes/workgroup (compile time only)
; SGPRBlocks: 0
; VGPRBlocks: 0
; NumSGPRsForWavesPerEU: 1
; NumVGPRsForWavesPerEU: 1
; Occupancy: 16
; WaveLimiterHint : 0
; COMPUTE_PGM_RSRC2:SCRATCH_EN: 0
; COMPUTE_PGM_RSRC2:USER_SGPR: 15
; COMPUTE_PGM_RSRC2:TRAP_HANDLER: 0
; COMPUTE_PGM_RSRC2:TGID_X_EN: 1
; COMPUTE_PGM_RSRC2:TGID_Y_EN: 0
; COMPUTE_PGM_RSRC2:TGID_Z_EN: 0
; COMPUTE_PGM_RSRC2:TIDIG_COMP_CNT: 0
	.section	.text._ZN7rocprim17ROCPRIM_400000_NS6detail17trampoline_kernelINS0_13select_configILj256ELj13ELNS0_17block_load_methodE3ELS4_3ELS4_3ELNS0_20block_scan_algorithmE0ELj4294967295EEENS1_25partition_config_selectorILNS1_17partition_subalgoE4EjNS0_10empty_typeEbEEZZNS1_14partition_implILS8_4ELb0ES6_15HIP_vector_typeIjLj2EENS0_17counting_iteratorIjlEEPS9_SG_NS0_5tupleIJPjSI_NS0_16reverse_iteratorISI_EEEEENSH_IJSG_SG_SG_EEES9_SI_JZNS1_25segmented_radix_sort_implINS0_14default_configELb1EPKfPfPKlPlN2at6native12_GLOBAL__N_18offset_tEEE10hipError_tPvRmT1_PNSt15iterator_traitsIS12_E10value_typeET2_T3_PNS13_IS18_E10value_typeET4_jRbjT5_S1E_jjP12ihipStream_tbEUljE_ZNSN_ISO_Lb1ESQ_SR_ST_SU_SY_EESZ_S10_S11_S12_S16_S17_S18_S1B_S1C_jS1D_jS1E_S1E_jjS1G_bEUljE0_EEESZ_S10_S11_S18_S1C_S1E_T6_T7_T9_mT8_S1G_bDpT10_ENKUlT_T0_E_clISt17integral_constantIbLb0EES1T_IbLb1EEEEDaS1P_S1Q_EUlS1P_E_NS1_11comp_targetILNS1_3genE0ELNS1_11target_archE4294967295ELNS1_3gpuE0ELNS1_3repE0EEENS1_30default_config_static_selectorELNS0_4arch9wavefront6targetE0EEEvS12_,"axG",@progbits,_ZN7rocprim17ROCPRIM_400000_NS6detail17trampoline_kernelINS0_13select_configILj256ELj13ELNS0_17block_load_methodE3ELS4_3ELS4_3ELNS0_20block_scan_algorithmE0ELj4294967295EEENS1_25partition_config_selectorILNS1_17partition_subalgoE4EjNS0_10empty_typeEbEEZZNS1_14partition_implILS8_4ELb0ES6_15HIP_vector_typeIjLj2EENS0_17counting_iteratorIjlEEPS9_SG_NS0_5tupleIJPjSI_NS0_16reverse_iteratorISI_EEEEENSH_IJSG_SG_SG_EEES9_SI_JZNS1_25segmented_radix_sort_implINS0_14default_configELb1EPKfPfPKlPlN2at6native12_GLOBAL__N_18offset_tEEE10hipError_tPvRmT1_PNSt15iterator_traitsIS12_E10value_typeET2_T3_PNS13_IS18_E10value_typeET4_jRbjT5_S1E_jjP12ihipStream_tbEUljE_ZNSN_ISO_Lb1ESQ_SR_ST_SU_SY_EESZ_S10_S11_S12_S16_S17_S18_S1B_S1C_jS1D_jS1E_S1E_jjS1G_bEUljE0_EEESZ_S10_S11_S18_S1C_S1E_T6_T7_T9_mT8_S1G_bDpT10_ENKUlT_T0_E_clISt17integral_constantIbLb0EES1T_IbLb1EEEEDaS1P_S1Q_EUlS1P_E_NS1_11comp_targetILNS1_3genE0ELNS1_11target_archE4294967295ELNS1_3gpuE0ELNS1_3repE0EEENS1_30default_config_static_selectorELNS0_4arch9wavefront6targetE0EEEvS12_,comdat
	.globl	_ZN7rocprim17ROCPRIM_400000_NS6detail17trampoline_kernelINS0_13select_configILj256ELj13ELNS0_17block_load_methodE3ELS4_3ELS4_3ELNS0_20block_scan_algorithmE0ELj4294967295EEENS1_25partition_config_selectorILNS1_17partition_subalgoE4EjNS0_10empty_typeEbEEZZNS1_14partition_implILS8_4ELb0ES6_15HIP_vector_typeIjLj2EENS0_17counting_iteratorIjlEEPS9_SG_NS0_5tupleIJPjSI_NS0_16reverse_iteratorISI_EEEEENSH_IJSG_SG_SG_EEES9_SI_JZNS1_25segmented_radix_sort_implINS0_14default_configELb1EPKfPfPKlPlN2at6native12_GLOBAL__N_18offset_tEEE10hipError_tPvRmT1_PNSt15iterator_traitsIS12_E10value_typeET2_T3_PNS13_IS18_E10value_typeET4_jRbjT5_S1E_jjP12ihipStream_tbEUljE_ZNSN_ISO_Lb1ESQ_SR_ST_SU_SY_EESZ_S10_S11_S12_S16_S17_S18_S1B_S1C_jS1D_jS1E_S1E_jjS1G_bEUljE0_EEESZ_S10_S11_S18_S1C_S1E_T6_T7_T9_mT8_S1G_bDpT10_ENKUlT_T0_E_clISt17integral_constantIbLb0EES1T_IbLb1EEEEDaS1P_S1Q_EUlS1P_E_NS1_11comp_targetILNS1_3genE0ELNS1_11target_archE4294967295ELNS1_3gpuE0ELNS1_3repE0EEENS1_30default_config_static_selectorELNS0_4arch9wavefront6targetE0EEEvS12_ ; -- Begin function _ZN7rocprim17ROCPRIM_400000_NS6detail17trampoline_kernelINS0_13select_configILj256ELj13ELNS0_17block_load_methodE3ELS4_3ELS4_3ELNS0_20block_scan_algorithmE0ELj4294967295EEENS1_25partition_config_selectorILNS1_17partition_subalgoE4EjNS0_10empty_typeEbEEZZNS1_14partition_implILS8_4ELb0ES6_15HIP_vector_typeIjLj2EENS0_17counting_iteratorIjlEEPS9_SG_NS0_5tupleIJPjSI_NS0_16reverse_iteratorISI_EEEEENSH_IJSG_SG_SG_EEES9_SI_JZNS1_25segmented_radix_sort_implINS0_14default_configELb1EPKfPfPKlPlN2at6native12_GLOBAL__N_18offset_tEEE10hipError_tPvRmT1_PNSt15iterator_traitsIS12_E10value_typeET2_T3_PNS13_IS18_E10value_typeET4_jRbjT5_S1E_jjP12ihipStream_tbEUljE_ZNSN_ISO_Lb1ESQ_SR_ST_SU_SY_EESZ_S10_S11_S12_S16_S17_S18_S1B_S1C_jS1D_jS1E_S1E_jjS1G_bEUljE0_EEESZ_S10_S11_S18_S1C_S1E_T6_T7_T9_mT8_S1G_bDpT10_ENKUlT_T0_E_clISt17integral_constantIbLb0EES1T_IbLb1EEEEDaS1P_S1Q_EUlS1P_E_NS1_11comp_targetILNS1_3genE0ELNS1_11target_archE4294967295ELNS1_3gpuE0ELNS1_3repE0EEENS1_30default_config_static_selectorELNS0_4arch9wavefront6targetE0EEEvS12_
	.p2align	8
	.type	_ZN7rocprim17ROCPRIM_400000_NS6detail17trampoline_kernelINS0_13select_configILj256ELj13ELNS0_17block_load_methodE3ELS4_3ELS4_3ELNS0_20block_scan_algorithmE0ELj4294967295EEENS1_25partition_config_selectorILNS1_17partition_subalgoE4EjNS0_10empty_typeEbEEZZNS1_14partition_implILS8_4ELb0ES6_15HIP_vector_typeIjLj2EENS0_17counting_iteratorIjlEEPS9_SG_NS0_5tupleIJPjSI_NS0_16reverse_iteratorISI_EEEEENSH_IJSG_SG_SG_EEES9_SI_JZNS1_25segmented_radix_sort_implINS0_14default_configELb1EPKfPfPKlPlN2at6native12_GLOBAL__N_18offset_tEEE10hipError_tPvRmT1_PNSt15iterator_traitsIS12_E10value_typeET2_T3_PNS13_IS18_E10value_typeET4_jRbjT5_S1E_jjP12ihipStream_tbEUljE_ZNSN_ISO_Lb1ESQ_SR_ST_SU_SY_EESZ_S10_S11_S12_S16_S17_S18_S1B_S1C_jS1D_jS1E_S1E_jjS1G_bEUljE0_EEESZ_S10_S11_S18_S1C_S1E_T6_T7_T9_mT8_S1G_bDpT10_ENKUlT_T0_E_clISt17integral_constantIbLb0EES1T_IbLb1EEEEDaS1P_S1Q_EUlS1P_E_NS1_11comp_targetILNS1_3genE0ELNS1_11target_archE4294967295ELNS1_3gpuE0ELNS1_3repE0EEENS1_30default_config_static_selectorELNS0_4arch9wavefront6targetE0EEEvS12_,@function
_ZN7rocprim17ROCPRIM_400000_NS6detail17trampoline_kernelINS0_13select_configILj256ELj13ELNS0_17block_load_methodE3ELS4_3ELS4_3ELNS0_20block_scan_algorithmE0ELj4294967295EEENS1_25partition_config_selectorILNS1_17partition_subalgoE4EjNS0_10empty_typeEbEEZZNS1_14partition_implILS8_4ELb0ES6_15HIP_vector_typeIjLj2EENS0_17counting_iteratorIjlEEPS9_SG_NS0_5tupleIJPjSI_NS0_16reverse_iteratorISI_EEEEENSH_IJSG_SG_SG_EEES9_SI_JZNS1_25segmented_radix_sort_implINS0_14default_configELb1EPKfPfPKlPlN2at6native12_GLOBAL__N_18offset_tEEE10hipError_tPvRmT1_PNSt15iterator_traitsIS12_E10value_typeET2_T3_PNS13_IS18_E10value_typeET4_jRbjT5_S1E_jjP12ihipStream_tbEUljE_ZNSN_ISO_Lb1ESQ_SR_ST_SU_SY_EESZ_S10_S11_S12_S16_S17_S18_S1B_S1C_jS1D_jS1E_S1E_jjS1G_bEUljE0_EEESZ_S10_S11_S18_S1C_S1E_T6_T7_T9_mT8_S1G_bDpT10_ENKUlT_T0_E_clISt17integral_constantIbLb0EES1T_IbLb1EEEEDaS1P_S1Q_EUlS1P_E_NS1_11comp_targetILNS1_3genE0ELNS1_11target_archE4294967295ELNS1_3gpuE0ELNS1_3repE0EEENS1_30default_config_static_selectorELNS0_4arch9wavefront6targetE0EEEvS12_: ; @_ZN7rocprim17ROCPRIM_400000_NS6detail17trampoline_kernelINS0_13select_configILj256ELj13ELNS0_17block_load_methodE3ELS4_3ELS4_3ELNS0_20block_scan_algorithmE0ELj4294967295EEENS1_25partition_config_selectorILNS1_17partition_subalgoE4EjNS0_10empty_typeEbEEZZNS1_14partition_implILS8_4ELb0ES6_15HIP_vector_typeIjLj2EENS0_17counting_iteratorIjlEEPS9_SG_NS0_5tupleIJPjSI_NS0_16reverse_iteratorISI_EEEEENSH_IJSG_SG_SG_EEES9_SI_JZNS1_25segmented_radix_sort_implINS0_14default_configELb1EPKfPfPKlPlN2at6native12_GLOBAL__N_18offset_tEEE10hipError_tPvRmT1_PNSt15iterator_traitsIS12_E10value_typeET2_T3_PNS13_IS18_E10value_typeET4_jRbjT5_S1E_jjP12ihipStream_tbEUljE_ZNSN_ISO_Lb1ESQ_SR_ST_SU_SY_EESZ_S10_S11_S12_S16_S17_S18_S1B_S1C_jS1D_jS1E_S1E_jjS1G_bEUljE0_EEESZ_S10_S11_S18_S1C_S1E_T6_T7_T9_mT8_S1G_bDpT10_ENKUlT_T0_E_clISt17integral_constantIbLb0EES1T_IbLb1EEEEDaS1P_S1Q_EUlS1P_E_NS1_11comp_targetILNS1_3genE0ELNS1_11target_archE4294967295ELNS1_3gpuE0ELNS1_3repE0EEENS1_30default_config_static_selectorELNS0_4arch9wavefront6targetE0EEEvS12_
; %bb.0:
	.section	.rodata,"a",@progbits
	.p2align	6, 0x0
	.amdhsa_kernel _ZN7rocprim17ROCPRIM_400000_NS6detail17trampoline_kernelINS0_13select_configILj256ELj13ELNS0_17block_load_methodE3ELS4_3ELS4_3ELNS0_20block_scan_algorithmE0ELj4294967295EEENS1_25partition_config_selectorILNS1_17partition_subalgoE4EjNS0_10empty_typeEbEEZZNS1_14partition_implILS8_4ELb0ES6_15HIP_vector_typeIjLj2EENS0_17counting_iteratorIjlEEPS9_SG_NS0_5tupleIJPjSI_NS0_16reverse_iteratorISI_EEEEENSH_IJSG_SG_SG_EEES9_SI_JZNS1_25segmented_radix_sort_implINS0_14default_configELb1EPKfPfPKlPlN2at6native12_GLOBAL__N_18offset_tEEE10hipError_tPvRmT1_PNSt15iterator_traitsIS12_E10value_typeET2_T3_PNS13_IS18_E10value_typeET4_jRbjT5_S1E_jjP12ihipStream_tbEUljE_ZNSN_ISO_Lb1ESQ_SR_ST_SU_SY_EESZ_S10_S11_S12_S16_S17_S18_S1B_S1C_jS1D_jS1E_S1E_jjS1G_bEUljE0_EEESZ_S10_S11_S18_S1C_S1E_T6_T7_T9_mT8_S1G_bDpT10_ENKUlT_T0_E_clISt17integral_constantIbLb0EES1T_IbLb1EEEEDaS1P_S1Q_EUlS1P_E_NS1_11comp_targetILNS1_3genE0ELNS1_11target_archE4294967295ELNS1_3gpuE0ELNS1_3repE0EEENS1_30default_config_static_selectorELNS0_4arch9wavefront6targetE0EEEvS12_
		.amdhsa_group_segment_fixed_size 0
		.amdhsa_private_segment_fixed_size 0
		.amdhsa_kernarg_size 184
		.amdhsa_user_sgpr_count 15
		.amdhsa_user_sgpr_dispatch_ptr 0
		.amdhsa_user_sgpr_queue_ptr 0
		.amdhsa_user_sgpr_kernarg_segment_ptr 1
		.amdhsa_user_sgpr_dispatch_id 0
		.amdhsa_user_sgpr_private_segment_size 0
		.amdhsa_wavefront_size32 1
		.amdhsa_uses_dynamic_stack 0
		.amdhsa_enable_private_segment 0
		.amdhsa_system_sgpr_workgroup_id_x 1
		.amdhsa_system_sgpr_workgroup_id_y 0
		.amdhsa_system_sgpr_workgroup_id_z 0
		.amdhsa_system_sgpr_workgroup_info 0
		.amdhsa_system_vgpr_workitem_id 0
		.amdhsa_next_free_vgpr 1
		.amdhsa_next_free_sgpr 1
		.amdhsa_reserve_vcc 0
		.amdhsa_float_round_mode_32 0
		.amdhsa_float_round_mode_16_64 0
		.amdhsa_float_denorm_mode_32 3
		.amdhsa_float_denorm_mode_16_64 3
		.amdhsa_dx10_clamp 1
		.amdhsa_ieee_mode 1
		.amdhsa_fp16_overflow 0
		.amdhsa_workgroup_processor_mode 1
		.amdhsa_memory_ordered 1
		.amdhsa_forward_progress 0
		.amdhsa_shared_vgpr_count 0
		.amdhsa_exception_fp_ieee_invalid_op 0
		.amdhsa_exception_fp_denorm_src 0
		.amdhsa_exception_fp_ieee_div_zero 0
		.amdhsa_exception_fp_ieee_overflow 0
		.amdhsa_exception_fp_ieee_underflow 0
		.amdhsa_exception_fp_ieee_inexact 0
		.amdhsa_exception_int_div_zero 0
	.end_amdhsa_kernel
	.section	.text._ZN7rocprim17ROCPRIM_400000_NS6detail17trampoline_kernelINS0_13select_configILj256ELj13ELNS0_17block_load_methodE3ELS4_3ELS4_3ELNS0_20block_scan_algorithmE0ELj4294967295EEENS1_25partition_config_selectorILNS1_17partition_subalgoE4EjNS0_10empty_typeEbEEZZNS1_14partition_implILS8_4ELb0ES6_15HIP_vector_typeIjLj2EENS0_17counting_iteratorIjlEEPS9_SG_NS0_5tupleIJPjSI_NS0_16reverse_iteratorISI_EEEEENSH_IJSG_SG_SG_EEES9_SI_JZNS1_25segmented_radix_sort_implINS0_14default_configELb1EPKfPfPKlPlN2at6native12_GLOBAL__N_18offset_tEEE10hipError_tPvRmT1_PNSt15iterator_traitsIS12_E10value_typeET2_T3_PNS13_IS18_E10value_typeET4_jRbjT5_S1E_jjP12ihipStream_tbEUljE_ZNSN_ISO_Lb1ESQ_SR_ST_SU_SY_EESZ_S10_S11_S12_S16_S17_S18_S1B_S1C_jS1D_jS1E_S1E_jjS1G_bEUljE0_EEESZ_S10_S11_S18_S1C_S1E_T6_T7_T9_mT8_S1G_bDpT10_ENKUlT_T0_E_clISt17integral_constantIbLb0EES1T_IbLb1EEEEDaS1P_S1Q_EUlS1P_E_NS1_11comp_targetILNS1_3genE0ELNS1_11target_archE4294967295ELNS1_3gpuE0ELNS1_3repE0EEENS1_30default_config_static_selectorELNS0_4arch9wavefront6targetE0EEEvS12_,"axG",@progbits,_ZN7rocprim17ROCPRIM_400000_NS6detail17trampoline_kernelINS0_13select_configILj256ELj13ELNS0_17block_load_methodE3ELS4_3ELS4_3ELNS0_20block_scan_algorithmE0ELj4294967295EEENS1_25partition_config_selectorILNS1_17partition_subalgoE4EjNS0_10empty_typeEbEEZZNS1_14partition_implILS8_4ELb0ES6_15HIP_vector_typeIjLj2EENS0_17counting_iteratorIjlEEPS9_SG_NS0_5tupleIJPjSI_NS0_16reverse_iteratorISI_EEEEENSH_IJSG_SG_SG_EEES9_SI_JZNS1_25segmented_radix_sort_implINS0_14default_configELb1EPKfPfPKlPlN2at6native12_GLOBAL__N_18offset_tEEE10hipError_tPvRmT1_PNSt15iterator_traitsIS12_E10value_typeET2_T3_PNS13_IS18_E10value_typeET4_jRbjT5_S1E_jjP12ihipStream_tbEUljE_ZNSN_ISO_Lb1ESQ_SR_ST_SU_SY_EESZ_S10_S11_S12_S16_S17_S18_S1B_S1C_jS1D_jS1E_S1E_jjS1G_bEUljE0_EEESZ_S10_S11_S18_S1C_S1E_T6_T7_T9_mT8_S1G_bDpT10_ENKUlT_T0_E_clISt17integral_constantIbLb0EES1T_IbLb1EEEEDaS1P_S1Q_EUlS1P_E_NS1_11comp_targetILNS1_3genE0ELNS1_11target_archE4294967295ELNS1_3gpuE0ELNS1_3repE0EEENS1_30default_config_static_selectorELNS0_4arch9wavefront6targetE0EEEvS12_,comdat
.Lfunc_end1285:
	.size	_ZN7rocprim17ROCPRIM_400000_NS6detail17trampoline_kernelINS0_13select_configILj256ELj13ELNS0_17block_load_methodE3ELS4_3ELS4_3ELNS0_20block_scan_algorithmE0ELj4294967295EEENS1_25partition_config_selectorILNS1_17partition_subalgoE4EjNS0_10empty_typeEbEEZZNS1_14partition_implILS8_4ELb0ES6_15HIP_vector_typeIjLj2EENS0_17counting_iteratorIjlEEPS9_SG_NS0_5tupleIJPjSI_NS0_16reverse_iteratorISI_EEEEENSH_IJSG_SG_SG_EEES9_SI_JZNS1_25segmented_radix_sort_implINS0_14default_configELb1EPKfPfPKlPlN2at6native12_GLOBAL__N_18offset_tEEE10hipError_tPvRmT1_PNSt15iterator_traitsIS12_E10value_typeET2_T3_PNS13_IS18_E10value_typeET4_jRbjT5_S1E_jjP12ihipStream_tbEUljE_ZNSN_ISO_Lb1ESQ_SR_ST_SU_SY_EESZ_S10_S11_S12_S16_S17_S18_S1B_S1C_jS1D_jS1E_S1E_jjS1G_bEUljE0_EEESZ_S10_S11_S18_S1C_S1E_T6_T7_T9_mT8_S1G_bDpT10_ENKUlT_T0_E_clISt17integral_constantIbLb0EES1T_IbLb1EEEEDaS1P_S1Q_EUlS1P_E_NS1_11comp_targetILNS1_3genE0ELNS1_11target_archE4294967295ELNS1_3gpuE0ELNS1_3repE0EEENS1_30default_config_static_selectorELNS0_4arch9wavefront6targetE0EEEvS12_, .Lfunc_end1285-_ZN7rocprim17ROCPRIM_400000_NS6detail17trampoline_kernelINS0_13select_configILj256ELj13ELNS0_17block_load_methodE3ELS4_3ELS4_3ELNS0_20block_scan_algorithmE0ELj4294967295EEENS1_25partition_config_selectorILNS1_17partition_subalgoE4EjNS0_10empty_typeEbEEZZNS1_14partition_implILS8_4ELb0ES6_15HIP_vector_typeIjLj2EENS0_17counting_iteratorIjlEEPS9_SG_NS0_5tupleIJPjSI_NS0_16reverse_iteratorISI_EEEEENSH_IJSG_SG_SG_EEES9_SI_JZNS1_25segmented_radix_sort_implINS0_14default_configELb1EPKfPfPKlPlN2at6native12_GLOBAL__N_18offset_tEEE10hipError_tPvRmT1_PNSt15iterator_traitsIS12_E10value_typeET2_T3_PNS13_IS18_E10value_typeET4_jRbjT5_S1E_jjP12ihipStream_tbEUljE_ZNSN_ISO_Lb1ESQ_SR_ST_SU_SY_EESZ_S10_S11_S12_S16_S17_S18_S1B_S1C_jS1D_jS1E_S1E_jjS1G_bEUljE0_EEESZ_S10_S11_S18_S1C_S1E_T6_T7_T9_mT8_S1G_bDpT10_ENKUlT_T0_E_clISt17integral_constantIbLb0EES1T_IbLb1EEEEDaS1P_S1Q_EUlS1P_E_NS1_11comp_targetILNS1_3genE0ELNS1_11target_archE4294967295ELNS1_3gpuE0ELNS1_3repE0EEENS1_30default_config_static_selectorELNS0_4arch9wavefront6targetE0EEEvS12_
                                        ; -- End function
	.section	.AMDGPU.csdata,"",@progbits
; Kernel info:
; codeLenInByte = 0
; NumSgprs: 0
; NumVgprs: 0
; ScratchSize: 0
; MemoryBound: 0
; FloatMode: 240
; IeeeMode: 1
; LDSByteSize: 0 bytes/workgroup (compile time only)
; SGPRBlocks: 0
; VGPRBlocks: 0
; NumSGPRsForWavesPerEU: 1
; NumVGPRsForWavesPerEU: 1
; Occupancy: 16
; WaveLimiterHint : 0
; COMPUTE_PGM_RSRC2:SCRATCH_EN: 0
; COMPUTE_PGM_RSRC2:USER_SGPR: 15
; COMPUTE_PGM_RSRC2:TRAP_HANDLER: 0
; COMPUTE_PGM_RSRC2:TGID_X_EN: 1
; COMPUTE_PGM_RSRC2:TGID_Y_EN: 0
; COMPUTE_PGM_RSRC2:TGID_Z_EN: 0
; COMPUTE_PGM_RSRC2:TIDIG_COMP_CNT: 0
	.section	.text._ZN7rocprim17ROCPRIM_400000_NS6detail17trampoline_kernelINS0_13select_configILj256ELj13ELNS0_17block_load_methodE3ELS4_3ELS4_3ELNS0_20block_scan_algorithmE0ELj4294967295EEENS1_25partition_config_selectorILNS1_17partition_subalgoE4EjNS0_10empty_typeEbEEZZNS1_14partition_implILS8_4ELb0ES6_15HIP_vector_typeIjLj2EENS0_17counting_iteratorIjlEEPS9_SG_NS0_5tupleIJPjSI_NS0_16reverse_iteratorISI_EEEEENSH_IJSG_SG_SG_EEES9_SI_JZNS1_25segmented_radix_sort_implINS0_14default_configELb1EPKfPfPKlPlN2at6native12_GLOBAL__N_18offset_tEEE10hipError_tPvRmT1_PNSt15iterator_traitsIS12_E10value_typeET2_T3_PNS13_IS18_E10value_typeET4_jRbjT5_S1E_jjP12ihipStream_tbEUljE_ZNSN_ISO_Lb1ESQ_SR_ST_SU_SY_EESZ_S10_S11_S12_S16_S17_S18_S1B_S1C_jS1D_jS1E_S1E_jjS1G_bEUljE0_EEESZ_S10_S11_S18_S1C_S1E_T6_T7_T9_mT8_S1G_bDpT10_ENKUlT_T0_E_clISt17integral_constantIbLb0EES1T_IbLb1EEEEDaS1P_S1Q_EUlS1P_E_NS1_11comp_targetILNS1_3genE5ELNS1_11target_archE942ELNS1_3gpuE9ELNS1_3repE0EEENS1_30default_config_static_selectorELNS0_4arch9wavefront6targetE0EEEvS12_,"axG",@progbits,_ZN7rocprim17ROCPRIM_400000_NS6detail17trampoline_kernelINS0_13select_configILj256ELj13ELNS0_17block_load_methodE3ELS4_3ELS4_3ELNS0_20block_scan_algorithmE0ELj4294967295EEENS1_25partition_config_selectorILNS1_17partition_subalgoE4EjNS0_10empty_typeEbEEZZNS1_14partition_implILS8_4ELb0ES6_15HIP_vector_typeIjLj2EENS0_17counting_iteratorIjlEEPS9_SG_NS0_5tupleIJPjSI_NS0_16reverse_iteratorISI_EEEEENSH_IJSG_SG_SG_EEES9_SI_JZNS1_25segmented_radix_sort_implINS0_14default_configELb1EPKfPfPKlPlN2at6native12_GLOBAL__N_18offset_tEEE10hipError_tPvRmT1_PNSt15iterator_traitsIS12_E10value_typeET2_T3_PNS13_IS18_E10value_typeET4_jRbjT5_S1E_jjP12ihipStream_tbEUljE_ZNSN_ISO_Lb1ESQ_SR_ST_SU_SY_EESZ_S10_S11_S12_S16_S17_S18_S1B_S1C_jS1D_jS1E_S1E_jjS1G_bEUljE0_EEESZ_S10_S11_S18_S1C_S1E_T6_T7_T9_mT8_S1G_bDpT10_ENKUlT_T0_E_clISt17integral_constantIbLb0EES1T_IbLb1EEEEDaS1P_S1Q_EUlS1P_E_NS1_11comp_targetILNS1_3genE5ELNS1_11target_archE942ELNS1_3gpuE9ELNS1_3repE0EEENS1_30default_config_static_selectorELNS0_4arch9wavefront6targetE0EEEvS12_,comdat
	.globl	_ZN7rocprim17ROCPRIM_400000_NS6detail17trampoline_kernelINS0_13select_configILj256ELj13ELNS0_17block_load_methodE3ELS4_3ELS4_3ELNS0_20block_scan_algorithmE0ELj4294967295EEENS1_25partition_config_selectorILNS1_17partition_subalgoE4EjNS0_10empty_typeEbEEZZNS1_14partition_implILS8_4ELb0ES6_15HIP_vector_typeIjLj2EENS0_17counting_iteratorIjlEEPS9_SG_NS0_5tupleIJPjSI_NS0_16reverse_iteratorISI_EEEEENSH_IJSG_SG_SG_EEES9_SI_JZNS1_25segmented_radix_sort_implINS0_14default_configELb1EPKfPfPKlPlN2at6native12_GLOBAL__N_18offset_tEEE10hipError_tPvRmT1_PNSt15iterator_traitsIS12_E10value_typeET2_T3_PNS13_IS18_E10value_typeET4_jRbjT5_S1E_jjP12ihipStream_tbEUljE_ZNSN_ISO_Lb1ESQ_SR_ST_SU_SY_EESZ_S10_S11_S12_S16_S17_S18_S1B_S1C_jS1D_jS1E_S1E_jjS1G_bEUljE0_EEESZ_S10_S11_S18_S1C_S1E_T6_T7_T9_mT8_S1G_bDpT10_ENKUlT_T0_E_clISt17integral_constantIbLb0EES1T_IbLb1EEEEDaS1P_S1Q_EUlS1P_E_NS1_11comp_targetILNS1_3genE5ELNS1_11target_archE942ELNS1_3gpuE9ELNS1_3repE0EEENS1_30default_config_static_selectorELNS0_4arch9wavefront6targetE0EEEvS12_ ; -- Begin function _ZN7rocprim17ROCPRIM_400000_NS6detail17trampoline_kernelINS0_13select_configILj256ELj13ELNS0_17block_load_methodE3ELS4_3ELS4_3ELNS0_20block_scan_algorithmE0ELj4294967295EEENS1_25partition_config_selectorILNS1_17partition_subalgoE4EjNS0_10empty_typeEbEEZZNS1_14partition_implILS8_4ELb0ES6_15HIP_vector_typeIjLj2EENS0_17counting_iteratorIjlEEPS9_SG_NS0_5tupleIJPjSI_NS0_16reverse_iteratorISI_EEEEENSH_IJSG_SG_SG_EEES9_SI_JZNS1_25segmented_radix_sort_implINS0_14default_configELb1EPKfPfPKlPlN2at6native12_GLOBAL__N_18offset_tEEE10hipError_tPvRmT1_PNSt15iterator_traitsIS12_E10value_typeET2_T3_PNS13_IS18_E10value_typeET4_jRbjT5_S1E_jjP12ihipStream_tbEUljE_ZNSN_ISO_Lb1ESQ_SR_ST_SU_SY_EESZ_S10_S11_S12_S16_S17_S18_S1B_S1C_jS1D_jS1E_S1E_jjS1G_bEUljE0_EEESZ_S10_S11_S18_S1C_S1E_T6_T7_T9_mT8_S1G_bDpT10_ENKUlT_T0_E_clISt17integral_constantIbLb0EES1T_IbLb1EEEEDaS1P_S1Q_EUlS1P_E_NS1_11comp_targetILNS1_3genE5ELNS1_11target_archE942ELNS1_3gpuE9ELNS1_3repE0EEENS1_30default_config_static_selectorELNS0_4arch9wavefront6targetE0EEEvS12_
	.p2align	8
	.type	_ZN7rocprim17ROCPRIM_400000_NS6detail17trampoline_kernelINS0_13select_configILj256ELj13ELNS0_17block_load_methodE3ELS4_3ELS4_3ELNS0_20block_scan_algorithmE0ELj4294967295EEENS1_25partition_config_selectorILNS1_17partition_subalgoE4EjNS0_10empty_typeEbEEZZNS1_14partition_implILS8_4ELb0ES6_15HIP_vector_typeIjLj2EENS0_17counting_iteratorIjlEEPS9_SG_NS0_5tupleIJPjSI_NS0_16reverse_iteratorISI_EEEEENSH_IJSG_SG_SG_EEES9_SI_JZNS1_25segmented_radix_sort_implINS0_14default_configELb1EPKfPfPKlPlN2at6native12_GLOBAL__N_18offset_tEEE10hipError_tPvRmT1_PNSt15iterator_traitsIS12_E10value_typeET2_T3_PNS13_IS18_E10value_typeET4_jRbjT5_S1E_jjP12ihipStream_tbEUljE_ZNSN_ISO_Lb1ESQ_SR_ST_SU_SY_EESZ_S10_S11_S12_S16_S17_S18_S1B_S1C_jS1D_jS1E_S1E_jjS1G_bEUljE0_EEESZ_S10_S11_S18_S1C_S1E_T6_T7_T9_mT8_S1G_bDpT10_ENKUlT_T0_E_clISt17integral_constantIbLb0EES1T_IbLb1EEEEDaS1P_S1Q_EUlS1P_E_NS1_11comp_targetILNS1_3genE5ELNS1_11target_archE942ELNS1_3gpuE9ELNS1_3repE0EEENS1_30default_config_static_selectorELNS0_4arch9wavefront6targetE0EEEvS12_,@function
_ZN7rocprim17ROCPRIM_400000_NS6detail17trampoline_kernelINS0_13select_configILj256ELj13ELNS0_17block_load_methodE3ELS4_3ELS4_3ELNS0_20block_scan_algorithmE0ELj4294967295EEENS1_25partition_config_selectorILNS1_17partition_subalgoE4EjNS0_10empty_typeEbEEZZNS1_14partition_implILS8_4ELb0ES6_15HIP_vector_typeIjLj2EENS0_17counting_iteratorIjlEEPS9_SG_NS0_5tupleIJPjSI_NS0_16reverse_iteratorISI_EEEEENSH_IJSG_SG_SG_EEES9_SI_JZNS1_25segmented_radix_sort_implINS0_14default_configELb1EPKfPfPKlPlN2at6native12_GLOBAL__N_18offset_tEEE10hipError_tPvRmT1_PNSt15iterator_traitsIS12_E10value_typeET2_T3_PNS13_IS18_E10value_typeET4_jRbjT5_S1E_jjP12ihipStream_tbEUljE_ZNSN_ISO_Lb1ESQ_SR_ST_SU_SY_EESZ_S10_S11_S12_S16_S17_S18_S1B_S1C_jS1D_jS1E_S1E_jjS1G_bEUljE0_EEESZ_S10_S11_S18_S1C_S1E_T6_T7_T9_mT8_S1G_bDpT10_ENKUlT_T0_E_clISt17integral_constantIbLb0EES1T_IbLb1EEEEDaS1P_S1Q_EUlS1P_E_NS1_11comp_targetILNS1_3genE5ELNS1_11target_archE942ELNS1_3gpuE9ELNS1_3repE0EEENS1_30default_config_static_selectorELNS0_4arch9wavefront6targetE0EEEvS12_: ; @_ZN7rocprim17ROCPRIM_400000_NS6detail17trampoline_kernelINS0_13select_configILj256ELj13ELNS0_17block_load_methodE3ELS4_3ELS4_3ELNS0_20block_scan_algorithmE0ELj4294967295EEENS1_25partition_config_selectorILNS1_17partition_subalgoE4EjNS0_10empty_typeEbEEZZNS1_14partition_implILS8_4ELb0ES6_15HIP_vector_typeIjLj2EENS0_17counting_iteratorIjlEEPS9_SG_NS0_5tupleIJPjSI_NS0_16reverse_iteratorISI_EEEEENSH_IJSG_SG_SG_EEES9_SI_JZNS1_25segmented_radix_sort_implINS0_14default_configELb1EPKfPfPKlPlN2at6native12_GLOBAL__N_18offset_tEEE10hipError_tPvRmT1_PNSt15iterator_traitsIS12_E10value_typeET2_T3_PNS13_IS18_E10value_typeET4_jRbjT5_S1E_jjP12ihipStream_tbEUljE_ZNSN_ISO_Lb1ESQ_SR_ST_SU_SY_EESZ_S10_S11_S12_S16_S17_S18_S1B_S1C_jS1D_jS1E_S1E_jjS1G_bEUljE0_EEESZ_S10_S11_S18_S1C_S1E_T6_T7_T9_mT8_S1G_bDpT10_ENKUlT_T0_E_clISt17integral_constantIbLb0EES1T_IbLb1EEEEDaS1P_S1Q_EUlS1P_E_NS1_11comp_targetILNS1_3genE5ELNS1_11target_archE942ELNS1_3gpuE9ELNS1_3repE0EEENS1_30default_config_static_selectorELNS0_4arch9wavefront6targetE0EEEvS12_
; %bb.0:
	.section	.rodata,"a",@progbits
	.p2align	6, 0x0
	.amdhsa_kernel _ZN7rocprim17ROCPRIM_400000_NS6detail17trampoline_kernelINS0_13select_configILj256ELj13ELNS0_17block_load_methodE3ELS4_3ELS4_3ELNS0_20block_scan_algorithmE0ELj4294967295EEENS1_25partition_config_selectorILNS1_17partition_subalgoE4EjNS0_10empty_typeEbEEZZNS1_14partition_implILS8_4ELb0ES6_15HIP_vector_typeIjLj2EENS0_17counting_iteratorIjlEEPS9_SG_NS0_5tupleIJPjSI_NS0_16reverse_iteratorISI_EEEEENSH_IJSG_SG_SG_EEES9_SI_JZNS1_25segmented_radix_sort_implINS0_14default_configELb1EPKfPfPKlPlN2at6native12_GLOBAL__N_18offset_tEEE10hipError_tPvRmT1_PNSt15iterator_traitsIS12_E10value_typeET2_T3_PNS13_IS18_E10value_typeET4_jRbjT5_S1E_jjP12ihipStream_tbEUljE_ZNSN_ISO_Lb1ESQ_SR_ST_SU_SY_EESZ_S10_S11_S12_S16_S17_S18_S1B_S1C_jS1D_jS1E_S1E_jjS1G_bEUljE0_EEESZ_S10_S11_S18_S1C_S1E_T6_T7_T9_mT8_S1G_bDpT10_ENKUlT_T0_E_clISt17integral_constantIbLb0EES1T_IbLb1EEEEDaS1P_S1Q_EUlS1P_E_NS1_11comp_targetILNS1_3genE5ELNS1_11target_archE942ELNS1_3gpuE9ELNS1_3repE0EEENS1_30default_config_static_selectorELNS0_4arch9wavefront6targetE0EEEvS12_
		.amdhsa_group_segment_fixed_size 0
		.amdhsa_private_segment_fixed_size 0
		.amdhsa_kernarg_size 184
		.amdhsa_user_sgpr_count 15
		.amdhsa_user_sgpr_dispatch_ptr 0
		.amdhsa_user_sgpr_queue_ptr 0
		.amdhsa_user_sgpr_kernarg_segment_ptr 1
		.amdhsa_user_sgpr_dispatch_id 0
		.amdhsa_user_sgpr_private_segment_size 0
		.amdhsa_wavefront_size32 1
		.amdhsa_uses_dynamic_stack 0
		.amdhsa_enable_private_segment 0
		.amdhsa_system_sgpr_workgroup_id_x 1
		.amdhsa_system_sgpr_workgroup_id_y 0
		.amdhsa_system_sgpr_workgroup_id_z 0
		.amdhsa_system_sgpr_workgroup_info 0
		.amdhsa_system_vgpr_workitem_id 0
		.amdhsa_next_free_vgpr 1
		.amdhsa_next_free_sgpr 1
		.amdhsa_reserve_vcc 0
		.amdhsa_float_round_mode_32 0
		.amdhsa_float_round_mode_16_64 0
		.amdhsa_float_denorm_mode_32 3
		.amdhsa_float_denorm_mode_16_64 3
		.amdhsa_dx10_clamp 1
		.amdhsa_ieee_mode 1
		.amdhsa_fp16_overflow 0
		.amdhsa_workgroup_processor_mode 1
		.amdhsa_memory_ordered 1
		.amdhsa_forward_progress 0
		.amdhsa_shared_vgpr_count 0
		.amdhsa_exception_fp_ieee_invalid_op 0
		.amdhsa_exception_fp_denorm_src 0
		.amdhsa_exception_fp_ieee_div_zero 0
		.amdhsa_exception_fp_ieee_overflow 0
		.amdhsa_exception_fp_ieee_underflow 0
		.amdhsa_exception_fp_ieee_inexact 0
		.amdhsa_exception_int_div_zero 0
	.end_amdhsa_kernel
	.section	.text._ZN7rocprim17ROCPRIM_400000_NS6detail17trampoline_kernelINS0_13select_configILj256ELj13ELNS0_17block_load_methodE3ELS4_3ELS4_3ELNS0_20block_scan_algorithmE0ELj4294967295EEENS1_25partition_config_selectorILNS1_17partition_subalgoE4EjNS0_10empty_typeEbEEZZNS1_14partition_implILS8_4ELb0ES6_15HIP_vector_typeIjLj2EENS0_17counting_iteratorIjlEEPS9_SG_NS0_5tupleIJPjSI_NS0_16reverse_iteratorISI_EEEEENSH_IJSG_SG_SG_EEES9_SI_JZNS1_25segmented_radix_sort_implINS0_14default_configELb1EPKfPfPKlPlN2at6native12_GLOBAL__N_18offset_tEEE10hipError_tPvRmT1_PNSt15iterator_traitsIS12_E10value_typeET2_T3_PNS13_IS18_E10value_typeET4_jRbjT5_S1E_jjP12ihipStream_tbEUljE_ZNSN_ISO_Lb1ESQ_SR_ST_SU_SY_EESZ_S10_S11_S12_S16_S17_S18_S1B_S1C_jS1D_jS1E_S1E_jjS1G_bEUljE0_EEESZ_S10_S11_S18_S1C_S1E_T6_T7_T9_mT8_S1G_bDpT10_ENKUlT_T0_E_clISt17integral_constantIbLb0EES1T_IbLb1EEEEDaS1P_S1Q_EUlS1P_E_NS1_11comp_targetILNS1_3genE5ELNS1_11target_archE942ELNS1_3gpuE9ELNS1_3repE0EEENS1_30default_config_static_selectorELNS0_4arch9wavefront6targetE0EEEvS12_,"axG",@progbits,_ZN7rocprim17ROCPRIM_400000_NS6detail17trampoline_kernelINS0_13select_configILj256ELj13ELNS0_17block_load_methodE3ELS4_3ELS4_3ELNS0_20block_scan_algorithmE0ELj4294967295EEENS1_25partition_config_selectorILNS1_17partition_subalgoE4EjNS0_10empty_typeEbEEZZNS1_14partition_implILS8_4ELb0ES6_15HIP_vector_typeIjLj2EENS0_17counting_iteratorIjlEEPS9_SG_NS0_5tupleIJPjSI_NS0_16reverse_iteratorISI_EEEEENSH_IJSG_SG_SG_EEES9_SI_JZNS1_25segmented_radix_sort_implINS0_14default_configELb1EPKfPfPKlPlN2at6native12_GLOBAL__N_18offset_tEEE10hipError_tPvRmT1_PNSt15iterator_traitsIS12_E10value_typeET2_T3_PNS13_IS18_E10value_typeET4_jRbjT5_S1E_jjP12ihipStream_tbEUljE_ZNSN_ISO_Lb1ESQ_SR_ST_SU_SY_EESZ_S10_S11_S12_S16_S17_S18_S1B_S1C_jS1D_jS1E_S1E_jjS1G_bEUljE0_EEESZ_S10_S11_S18_S1C_S1E_T6_T7_T9_mT8_S1G_bDpT10_ENKUlT_T0_E_clISt17integral_constantIbLb0EES1T_IbLb1EEEEDaS1P_S1Q_EUlS1P_E_NS1_11comp_targetILNS1_3genE5ELNS1_11target_archE942ELNS1_3gpuE9ELNS1_3repE0EEENS1_30default_config_static_selectorELNS0_4arch9wavefront6targetE0EEEvS12_,comdat
.Lfunc_end1286:
	.size	_ZN7rocprim17ROCPRIM_400000_NS6detail17trampoline_kernelINS0_13select_configILj256ELj13ELNS0_17block_load_methodE3ELS4_3ELS4_3ELNS0_20block_scan_algorithmE0ELj4294967295EEENS1_25partition_config_selectorILNS1_17partition_subalgoE4EjNS0_10empty_typeEbEEZZNS1_14partition_implILS8_4ELb0ES6_15HIP_vector_typeIjLj2EENS0_17counting_iteratorIjlEEPS9_SG_NS0_5tupleIJPjSI_NS0_16reverse_iteratorISI_EEEEENSH_IJSG_SG_SG_EEES9_SI_JZNS1_25segmented_radix_sort_implINS0_14default_configELb1EPKfPfPKlPlN2at6native12_GLOBAL__N_18offset_tEEE10hipError_tPvRmT1_PNSt15iterator_traitsIS12_E10value_typeET2_T3_PNS13_IS18_E10value_typeET4_jRbjT5_S1E_jjP12ihipStream_tbEUljE_ZNSN_ISO_Lb1ESQ_SR_ST_SU_SY_EESZ_S10_S11_S12_S16_S17_S18_S1B_S1C_jS1D_jS1E_S1E_jjS1G_bEUljE0_EEESZ_S10_S11_S18_S1C_S1E_T6_T7_T9_mT8_S1G_bDpT10_ENKUlT_T0_E_clISt17integral_constantIbLb0EES1T_IbLb1EEEEDaS1P_S1Q_EUlS1P_E_NS1_11comp_targetILNS1_3genE5ELNS1_11target_archE942ELNS1_3gpuE9ELNS1_3repE0EEENS1_30default_config_static_selectorELNS0_4arch9wavefront6targetE0EEEvS12_, .Lfunc_end1286-_ZN7rocprim17ROCPRIM_400000_NS6detail17trampoline_kernelINS0_13select_configILj256ELj13ELNS0_17block_load_methodE3ELS4_3ELS4_3ELNS0_20block_scan_algorithmE0ELj4294967295EEENS1_25partition_config_selectorILNS1_17partition_subalgoE4EjNS0_10empty_typeEbEEZZNS1_14partition_implILS8_4ELb0ES6_15HIP_vector_typeIjLj2EENS0_17counting_iteratorIjlEEPS9_SG_NS0_5tupleIJPjSI_NS0_16reverse_iteratorISI_EEEEENSH_IJSG_SG_SG_EEES9_SI_JZNS1_25segmented_radix_sort_implINS0_14default_configELb1EPKfPfPKlPlN2at6native12_GLOBAL__N_18offset_tEEE10hipError_tPvRmT1_PNSt15iterator_traitsIS12_E10value_typeET2_T3_PNS13_IS18_E10value_typeET4_jRbjT5_S1E_jjP12ihipStream_tbEUljE_ZNSN_ISO_Lb1ESQ_SR_ST_SU_SY_EESZ_S10_S11_S12_S16_S17_S18_S1B_S1C_jS1D_jS1E_S1E_jjS1G_bEUljE0_EEESZ_S10_S11_S18_S1C_S1E_T6_T7_T9_mT8_S1G_bDpT10_ENKUlT_T0_E_clISt17integral_constantIbLb0EES1T_IbLb1EEEEDaS1P_S1Q_EUlS1P_E_NS1_11comp_targetILNS1_3genE5ELNS1_11target_archE942ELNS1_3gpuE9ELNS1_3repE0EEENS1_30default_config_static_selectorELNS0_4arch9wavefront6targetE0EEEvS12_
                                        ; -- End function
	.section	.AMDGPU.csdata,"",@progbits
; Kernel info:
; codeLenInByte = 0
; NumSgprs: 0
; NumVgprs: 0
; ScratchSize: 0
; MemoryBound: 0
; FloatMode: 240
; IeeeMode: 1
; LDSByteSize: 0 bytes/workgroup (compile time only)
; SGPRBlocks: 0
; VGPRBlocks: 0
; NumSGPRsForWavesPerEU: 1
; NumVGPRsForWavesPerEU: 1
; Occupancy: 16
; WaveLimiterHint : 0
; COMPUTE_PGM_RSRC2:SCRATCH_EN: 0
; COMPUTE_PGM_RSRC2:USER_SGPR: 15
; COMPUTE_PGM_RSRC2:TRAP_HANDLER: 0
; COMPUTE_PGM_RSRC2:TGID_X_EN: 1
; COMPUTE_PGM_RSRC2:TGID_Y_EN: 0
; COMPUTE_PGM_RSRC2:TGID_Z_EN: 0
; COMPUTE_PGM_RSRC2:TIDIG_COMP_CNT: 0
	.section	.text._ZN7rocprim17ROCPRIM_400000_NS6detail17trampoline_kernelINS0_13select_configILj256ELj13ELNS0_17block_load_methodE3ELS4_3ELS4_3ELNS0_20block_scan_algorithmE0ELj4294967295EEENS1_25partition_config_selectorILNS1_17partition_subalgoE4EjNS0_10empty_typeEbEEZZNS1_14partition_implILS8_4ELb0ES6_15HIP_vector_typeIjLj2EENS0_17counting_iteratorIjlEEPS9_SG_NS0_5tupleIJPjSI_NS0_16reverse_iteratorISI_EEEEENSH_IJSG_SG_SG_EEES9_SI_JZNS1_25segmented_radix_sort_implINS0_14default_configELb1EPKfPfPKlPlN2at6native12_GLOBAL__N_18offset_tEEE10hipError_tPvRmT1_PNSt15iterator_traitsIS12_E10value_typeET2_T3_PNS13_IS18_E10value_typeET4_jRbjT5_S1E_jjP12ihipStream_tbEUljE_ZNSN_ISO_Lb1ESQ_SR_ST_SU_SY_EESZ_S10_S11_S12_S16_S17_S18_S1B_S1C_jS1D_jS1E_S1E_jjS1G_bEUljE0_EEESZ_S10_S11_S18_S1C_S1E_T6_T7_T9_mT8_S1G_bDpT10_ENKUlT_T0_E_clISt17integral_constantIbLb0EES1T_IbLb1EEEEDaS1P_S1Q_EUlS1P_E_NS1_11comp_targetILNS1_3genE4ELNS1_11target_archE910ELNS1_3gpuE8ELNS1_3repE0EEENS1_30default_config_static_selectorELNS0_4arch9wavefront6targetE0EEEvS12_,"axG",@progbits,_ZN7rocprim17ROCPRIM_400000_NS6detail17trampoline_kernelINS0_13select_configILj256ELj13ELNS0_17block_load_methodE3ELS4_3ELS4_3ELNS0_20block_scan_algorithmE0ELj4294967295EEENS1_25partition_config_selectorILNS1_17partition_subalgoE4EjNS0_10empty_typeEbEEZZNS1_14partition_implILS8_4ELb0ES6_15HIP_vector_typeIjLj2EENS0_17counting_iteratorIjlEEPS9_SG_NS0_5tupleIJPjSI_NS0_16reverse_iteratorISI_EEEEENSH_IJSG_SG_SG_EEES9_SI_JZNS1_25segmented_radix_sort_implINS0_14default_configELb1EPKfPfPKlPlN2at6native12_GLOBAL__N_18offset_tEEE10hipError_tPvRmT1_PNSt15iterator_traitsIS12_E10value_typeET2_T3_PNS13_IS18_E10value_typeET4_jRbjT5_S1E_jjP12ihipStream_tbEUljE_ZNSN_ISO_Lb1ESQ_SR_ST_SU_SY_EESZ_S10_S11_S12_S16_S17_S18_S1B_S1C_jS1D_jS1E_S1E_jjS1G_bEUljE0_EEESZ_S10_S11_S18_S1C_S1E_T6_T7_T9_mT8_S1G_bDpT10_ENKUlT_T0_E_clISt17integral_constantIbLb0EES1T_IbLb1EEEEDaS1P_S1Q_EUlS1P_E_NS1_11comp_targetILNS1_3genE4ELNS1_11target_archE910ELNS1_3gpuE8ELNS1_3repE0EEENS1_30default_config_static_selectorELNS0_4arch9wavefront6targetE0EEEvS12_,comdat
	.globl	_ZN7rocprim17ROCPRIM_400000_NS6detail17trampoline_kernelINS0_13select_configILj256ELj13ELNS0_17block_load_methodE3ELS4_3ELS4_3ELNS0_20block_scan_algorithmE0ELj4294967295EEENS1_25partition_config_selectorILNS1_17partition_subalgoE4EjNS0_10empty_typeEbEEZZNS1_14partition_implILS8_4ELb0ES6_15HIP_vector_typeIjLj2EENS0_17counting_iteratorIjlEEPS9_SG_NS0_5tupleIJPjSI_NS0_16reverse_iteratorISI_EEEEENSH_IJSG_SG_SG_EEES9_SI_JZNS1_25segmented_radix_sort_implINS0_14default_configELb1EPKfPfPKlPlN2at6native12_GLOBAL__N_18offset_tEEE10hipError_tPvRmT1_PNSt15iterator_traitsIS12_E10value_typeET2_T3_PNS13_IS18_E10value_typeET4_jRbjT5_S1E_jjP12ihipStream_tbEUljE_ZNSN_ISO_Lb1ESQ_SR_ST_SU_SY_EESZ_S10_S11_S12_S16_S17_S18_S1B_S1C_jS1D_jS1E_S1E_jjS1G_bEUljE0_EEESZ_S10_S11_S18_S1C_S1E_T6_T7_T9_mT8_S1G_bDpT10_ENKUlT_T0_E_clISt17integral_constantIbLb0EES1T_IbLb1EEEEDaS1P_S1Q_EUlS1P_E_NS1_11comp_targetILNS1_3genE4ELNS1_11target_archE910ELNS1_3gpuE8ELNS1_3repE0EEENS1_30default_config_static_selectorELNS0_4arch9wavefront6targetE0EEEvS12_ ; -- Begin function _ZN7rocprim17ROCPRIM_400000_NS6detail17trampoline_kernelINS0_13select_configILj256ELj13ELNS0_17block_load_methodE3ELS4_3ELS4_3ELNS0_20block_scan_algorithmE0ELj4294967295EEENS1_25partition_config_selectorILNS1_17partition_subalgoE4EjNS0_10empty_typeEbEEZZNS1_14partition_implILS8_4ELb0ES6_15HIP_vector_typeIjLj2EENS0_17counting_iteratorIjlEEPS9_SG_NS0_5tupleIJPjSI_NS0_16reverse_iteratorISI_EEEEENSH_IJSG_SG_SG_EEES9_SI_JZNS1_25segmented_radix_sort_implINS0_14default_configELb1EPKfPfPKlPlN2at6native12_GLOBAL__N_18offset_tEEE10hipError_tPvRmT1_PNSt15iterator_traitsIS12_E10value_typeET2_T3_PNS13_IS18_E10value_typeET4_jRbjT5_S1E_jjP12ihipStream_tbEUljE_ZNSN_ISO_Lb1ESQ_SR_ST_SU_SY_EESZ_S10_S11_S12_S16_S17_S18_S1B_S1C_jS1D_jS1E_S1E_jjS1G_bEUljE0_EEESZ_S10_S11_S18_S1C_S1E_T6_T7_T9_mT8_S1G_bDpT10_ENKUlT_T0_E_clISt17integral_constantIbLb0EES1T_IbLb1EEEEDaS1P_S1Q_EUlS1P_E_NS1_11comp_targetILNS1_3genE4ELNS1_11target_archE910ELNS1_3gpuE8ELNS1_3repE0EEENS1_30default_config_static_selectorELNS0_4arch9wavefront6targetE0EEEvS12_
	.p2align	8
	.type	_ZN7rocprim17ROCPRIM_400000_NS6detail17trampoline_kernelINS0_13select_configILj256ELj13ELNS0_17block_load_methodE3ELS4_3ELS4_3ELNS0_20block_scan_algorithmE0ELj4294967295EEENS1_25partition_config_selectorILNS1_17partition_subalgoE4EjNS0_10empty_typeEbEEZZNS1_14partition_implILS8_4ELb0ES6_15HIP_vector_typeIjLj2EENS0_17counting_iteratorIjlEEPS9_SG_NS0_5tupleIJPjSI_NS0_16reverse_iteratorISI_EEEEENSH_IJSG_SG_SG_EEES9_SI_JZNS1_25segmented_radix_sort_implINS0_14default_configELb1EPKfPfPKlPlN2at6native12_GLOBAL__N_18offset_tEEE10hipError_tPvRmT1_PNSt15iterator_traitsIS12_E10value_typeET2_T3_PNS13_IS18_E10value_typeET4_jRbjT5_S1E_jjP12ihipStream_tbEUljE_ZNSN_ISO_Lb1ESQ_SR_ST_SU_SY_EESZ_S10_S11_S12_S16_S17_S18_S1B_S1C_jS1D_jS1E_S1E_jjS1G_bEUljE0_EEESZ_S10_S11_S18_S1C_S1E_T6_T7_T9_mT8_S1G_bDpT10_ENKUlT_T0_E_clISt17integral_constantIbLb0EES1T_IbLb1EEEEDaS1P_S1Q_EUlS1P_E_NS1_11comp_targetILNS1_3genE4ELNS1_11target_archE910ELNS1_3gpuE8ELNS1_3repE0EEENS1_30default_config_static_selectorELNS0_4arch9wavefront6targetE0EEEvS12_,@function
_ZN7rocprim17ROCPRIM_400000_NS6detail17trampoline_kernelINS0_13select_configILj256ELj13ELNS0_17block_load_methodE3ELS4_3ELS4_3ELNS0_20block_scan_algorithmE0ELj4294967295EEENS1_25partition_config_selectorILNS1_17partition_subalgoE4EjNS0_10empty_typeEbEEZZNS1_14partition_implILS8_4ELb0ES6_15HIP_vector_typeIjLj2EENS0_17counting_iteratorIjlEEPS9_SG_NS0_5tupleIJPjSI_NS0_16reverse_iteratorISI_EEEEENSH_IJSG_SG_SG_EEES9_SI_JZNS1_25segmented_radix_sort_implINS0_14default_configELb1EPKfPfPKlPlN2at6native12_GLOBAL__N_18offset_tEEE10hipError_tPvRmT1_PNSt15iterator_traitsIS12_E10value_typeET2_T3_PNS13_IS18_E10value_typeET4_jRbjT5_S1E_jjP12ihipStream_tbEUljE_ZNSN_ISO_Lb1ESQ_SR_ST_SU_SY_EESZ_S10_S11_S12_S16_S17_S18_S1B_S1C_jS1D_jS1E_S1E_jjS1G_bEUljE0_EEESZ_S10_S11_S18_S1C_S1E_T6_T7_T9_mT8_S1G_bDpT10_ENKUlT_T0_E_clISt17integral_constantIbLb0EES1T_IbLb1EEEEDaS1P_S1Q_EUlS1P_E_NS1_11comp_targetILNS1_3genE4ELNS1_11target_archE910ELNS1_3gpuE8ELNS1_3repE0EEENS1_30default_config_static_selectorELNS0_4arch9wavefront6targetE0EEEvS12_: ; @_ZN7rocprim17ROCPRIM_400000_NS6detail17trampoline_kernelINS0_13select_configILj256ELj13ELNS0_17block_load_methodE3ELS4_3ELS4_3ELNS0_20block_scan_algorithmE0ELj4294967295EEENS1_25partition_config_selectorILNS1_17partition_subalgoE4EjNS0_10empty_typeEbEEZZNS1_14partition_implILS8_4ELb0ES6_15HIP_vector_typeIjLj2EENS0_17counting_iteratorIjlEEPS9_SG_NS0_5tupleIJPjSI_NS0_16reverse_iteratorISI_EEEEENSH_IJSG_SG_SG_EEES9_SI_JZNS1_25segmented_radix_sort_implINS0_14default_configELb1EPKfPfPKlPlN2at6native12_GLOBAL__N_18offset_tEEE10hipError_tPvRmT1_PNSt15iterator_traitsIS12_E10value_typeET2_T3_PNS13_IS18_E10value_typeET4_jRbjT5_S1E_jjP12ihipStream_tbEUljE_ZNSN_ISO_Lb1ESQ_SR_ST_SU_SY_EESZ_S10_S11_S12_S16_S17_S18_S1B_S1C_jS1D_jS1E_S1E_jjS1G_bEUljE0_EEESZ_S10_S11_S18_S1C_S1E_T6_T7_T9_mT8_S1G_bDpT10_ENKUlT_T0_E_clISt17integral_constantIbLb0EES1T_IbLb1EEEEDaS1P_S1Q_EUlS1P_E_NS1_11comp_targetILNS1_3genE4ELNS1_11target_archE910ELNS1_3gpuE8ELNS1_3repE0EEENS1_30default_config_static_selectorELNS0_4arch9wavefront6targetE0EEEvS12_
; %bb.0:
	.section	.rodata,"a",@progbits
	.p2align	6, 0x0
	.amdhsa_kernel _ZN7rocprim17ROCPRIM_400000_NS6detail17trampoline_kernelINS0_13select_configILj256ELj13ELNS0_17block_load_methodE3ELS4_3ELS4_3ELNS0_20block_scan_algorithmE0ELj4294967295EEENS1_25partition_config_selectorILNS1_17partition_subalgoE4EjNS0_10empty_typeEbEEZZNS1_14partition_implILS8_4ELb0ES6_15HIP_vector_typeIjLj2EENS0_17counting_iteratorIjlEEPS9_SG_NS0_5tupleIJPjSI_NS0_16reverse_iteratorISI_EEEEENSH_IJSG_SG_SG_EEES9_SI_JZNS1_25segmented_radix_sort_implINS0_14default_configELb1EPKfPfPKlPlN2at6native12_GLOBAL__N_18offset_tEEE10hipError_tPvRmT1_PNSt15iterator_traitsIS12_E10value_typeET2_T3_PNS13_IS18_E10value_typeET4_jRbjT5_S1E_jjP12ihipStream_tbEUljE_ZNSN_ISO_Lb1ESQ_SR_ST_SU_SY_EESZ_S10_S11_S12_S16_S17_S18_S1B_S1C_jS1D_jS1E_S1E_jjS1G_bEUljE0_EEESZ_S10_S11_S18_S1C_S1E_T6_T7_T9_mT8_S1G_bDpT10_ENKUlT_T0_E_clISt17integral_constantIbLb0EES1T_IbLb1EEEEDaS1P_S1Q_EUlS1P_E_NS1_11comp_targetILNS1_3genE4ELNS1_11target_archE910ELNS1_3gpuE8ELNS1_3repE0EEENS1_30default_config_static_selectorELNS0_4arch9wavefront6targetE0EEEvS12_
		.amdhsa_group_segment_fixed_size 0
		.amdhsa_private_segment_fixed_size 0
		.amdhsa_kernarg_size 184
		.amdhsa_user_sgpr_count 15
		.amdhsa_user_sgpr_dispatch_ptr 0
		.amdhsa_user_sgpr_queue_ptr 0
		.amdhsa_user_sgpr_kernarg_segment_ptr 1
		.amdhsa_user_sgpr_dispatch_id 0
		.amdhsa_user_sgpr_private_segment_size 0
		.amdhsa_wavefront_size32 1
		.amdhsa_uses_dynamic_stack 0
		.amdhsa_enable_private_segment 0
		.amdhsa_system_sgpr_workgroup_id_x 1
		.amdhsa_system_sgpr_workgroup_id_y 0
		.amdhsa_system_sgpr_workgroup_id_z 0
		.amdhsa_system_sgpr_workgroup_info 0
		.amdhsa_system_vgpr_workitem_id 0
		.amdhsa_next_free_vgpr 1
		.amdhsa_next_free_sgpr 1
		.amdhsa_reserve_vcc 0
		.amdhsa_float_round_mode_32 0
		.amdhsa_float_round_mode_16_64 0
		.amdhsa_float_denorm_mode_32 3
		.amdhsa_float_denorm_mode_16_64 3
		.amdhsa_dx10_clamp 1
		.amdhsa_ieee_mode 1
		.amdhsa_fp16_overflow 0
		.amdhsa_workgroup_processor_mode 1
		.amdhsa_memory_ordered 1
		.amdhsa_forward_progress 0
		.amdhsa_shared_vgpr_count 0
		.amdhsa_exception_fp_ieee_invalid_op 0
		.amdhsa_exception_fp_denorm_src 0
		.amdhsa_exception_fp_ieee_div_zero 0
		.amdhsa_exception_fp_ieee_overflow 0
		.amdhsa_exception_fp_ieee_underflow 0
		.amdhsa_exception_fp_ieee_inexact 0
		.amdhsa_exception_int_div_zero 0
	.end_amdhsa_kernel
	.section	.text._ZN7rocprim17ROCPRIM_400000_NS6detail17trampoline_kernelINS0_13select_configILj256ELj13ELNS0_17block_load_methodE3ELS4_3ELS4_3ELNS0_20block_scan_algorithmE0ELj4294967295EEENS1_25partition_config_selectorILNS1_17partition_subalgoE4EjNS0_10empty_typeEbEEZZNS1_14partition_implILS8_4ELb0ES6_15HIP_vector_typeIjLj2EENS0_17counting_iteratorIjlEEPS9_SG_NS0_5tupleIJPjSI_NS0_16reverse_iteratorISI_EEEEENSH_IJSG_SG_SG_EEES9_SI_JZNS1_25segmented_radix_sort_implINS0_14default_configELb1EPKfPfPKlPlN2at6native12_GLOBAL__N_18offset_tEEE10hipError_tPvRmT1_PNSt15iterator_traitsIS12_E10value_typeET2_T3_PNS13_IS18_E10value_typeET4_jRbjT5_S1E_jjP12ihipStream_tbEUljE_ZNSN_ISO_Lb1ESQ_SR_ST_SU_SY_EESZ_S10_S11_S12_S16_S17_S18_S1B_S1C_jS1D_jS1E_S1E_jjS1G_bEUljE0_EEESZ_S10_S11_S18_S1C_S1E_T6_T7_T9_mT8_S1G_bDpT10_ENKUlT_T0_E_clISt17integral_constantIbLb0EES1T_IbLb1EEEEDaS1P_S1Q_EUlS1P_E_NS1_11comp_targetILNS1_3genE4ELNS1_11target_archE910ELNS1_3gpuE8ELNS1_3repE0EEENS1_30default_config_static_selectorELNS0_4arch9wavefront6targetE0EEEvS12_,"axG",@progbits,_ZN7rocprim17ROCPRIM_400000_NS6detail17trampoline_kernelINS0_13select_configILj256ELj13ELNS0_17block_load_methodE3ELS4_3ELS4_3ELNS0_20block_scan_algorithmE0ELj4294967295EEENS1_25partition_config_selectorILNS1_17partition_subalgoE4EjNS0_10empty_typeEbEEZZNS1_14partition_implILS8_4ELb0ES6_15HIP_vector_typeIjLj2EENS0_17counting_iteratorIjlEEPS9_SG_NS0_5tupleIJPjSI_NS0_16reverse_iteratorISI_EEEEENSH_IJSG_SG_SG_EEES9_SI_JZNS1_25segmented_radix_sort_implINS0_14default_configELb1EPKfPfPKlPlN2at6native12_GLOBAL__N_18offset_tEEE10hipError_tPvRmT1_PNSt15iterator_traitsIS12_E10value_typeET2_T3_PNS13_IS18_E10value_typeET4_jRbjT5_S1E_jjP12ihipStream_tbEUljE_ZNSN_ISO_Lb1ESQ_SR_ST_SU_SY_EESZ_S10_S11_S12_S16_S17_S18_S1B_S1C_jS1D_jS1E_S1E_jjS1G_bEUljE0_EEESZ_S10_S11_S18_S1C_S1E_T6_T7_T9_mT8_S1G_bDpT10_ENKUlT_T0_E_clISt17integral_constantIbLb0EES1T_IbLb1EEEEDaS1P_S1Q_EUlS1P_E_NS1_11comp_targetILNS1_3genE4ELNS1_11target_archE910ELNS1_3gpuE8ELNS1_3repE0EEENS1_30default_config_static_selectorELNS0_4arch9wavefront6targetE0EEEvS12_,comdat
.Lfunc_end1287:
	.size	_ZN7rocprim17ROCPRIM_400000_NS6detail17trampoline_kernelINS0_13select_configILj256ELj13ELNS0_17block_load_methodE3ELS4_3ELS4_3ELNS0_20block_scan_algorithmE0ELj4294967295EEENS1_25partition_config_selectorILNS1_17partition_subalgoE4EjNS0_10empty_typeEbEEZZNS1_14partition_implILS8_4ELb0ES6_15HIP_vector_typeIjLj2EENS0_17counting_iteratorIjlEEPS9_SG_NS0_5tupleIJPjSI_NS0_16reverse_iteratorISI_EEEEENSH_IJSG_SG_SG_EEES9_SI_JZNS1_25segmented_radix_sort_implINS0_14default_configELb1EPKfPfPKlPlN2at6native12_GLOBAL__N_18offset_tEEE10hipError_tPvRmT1_PNSt15iterator_traitsIS12_E10value_typeET2_T3_PNS13_IS18_E10value_typeET4_jRbjT5_S1E_jjP12ihipStream_tbEUljE_ZNSN_ISO_Lb1ESQ_SR_ST_SU_SY_EESZ_S10_S11_S12_S16_S17_S18_S1B_S1C_jS1D_jS1E_S1E_jjS1G_bEUljE0_EEESZ_S10_S11_S18_S1C_S1E_T6_T7_T9_mT8_S1G_bDpT10_ENKUlT_T0_E_clISt17integral_constantIbLb0EES1T_IbLb1EEEEDaS1P_S1Q_EUlS1P_E_NS1_11comp_targetILNS1_3genE4ELNS1_11target_archE910ELNS1_3gpuE8ELNS1_3repE0EEENS1_30default_config_static_selectorELNS0_4arch9wavefront6targetE0EEEvS12_, .Lfunc_end1287-_ZN7rocprim17ROCPRIM_400000_NS6detail17trampoline_kernelINS0_13select_configILj256ELj13ELNS0_17block_load_methodE3ELS4_3ELS4_3ELNS0_20block_scan_algorithmE0ELj4294967295EEENS1_25partition_config_selectorILNS1_17partition_subalgoE4EjNS0_10empty_typeEbEEZZNS1_14partition_implILS8_4ELb0ES6_15HIP_vector_typeIjLj2EENS0_17counting_iteratorIjlEEPS9_SG_NS0_5tupleIJPjSI_NS0_16reverse_iteratorISI_EEEEENSH_IJSG_SG_SG_EEES9_SI_JZNS1_25segmented_radix_sort_implINS0_14default_configELb1EPKfPfPKlPlN2at6native12_GLOBAL__N_18offset_tEEE10hipError_tPvRmT1_PNSt15iterator_traitsIS12_E10value_typeET2_T3_PNS13_IS18_E10value_typeET4_jRbjT5_S1E_jjP12ihipStream_tbEUljE_ZNSN_ISO_Lb1ESQ_SR_ST_SU_SY_EESZ_S10_S11_S12_S16_S17_S18_S1B_S1C_jS1D_jS1E_S1E_jjS1G_bEUljE0_EEESZ_S10_S11_S18_S1C_S1E_T6_T7_T9_mT8_S1G_bDpT10_ENKUlT_T0_E_clISt17integral_constantIbLb0EES1T_IbLb1EEEEDaS1P_S1Q_EUlS1P_E_NS1_11comp_targetILNS1_3genE4ELNS1_11target_archE910ELNS1_3gpuE8ELNS1_3repE0EEENS1_30default_config_static_selectorELNS0_4arch9wavefront6targetE0EEEvS12_
                                        ; -- End function
	.section	.AMDGPU.csdata,"",@progbits
; Kernel info:
; codeLenInByte = 0
; NumSgprs: 0
; NumVgprs: 0
; ScratchSize: 0
; MemoryBound: 0
; FloatMode: 240
; IeeeMode: 1
; LDSByteSize: 0 bytes/workgroup (compile time only)
; SGPRBlocks: 0
; VGPRBlocks: 0
; NumSGPRsForWavesPerEU: 1
; NumVGPRsForWavesPerEU: 1
; Occupancy: 16
; WaveLimiterHint : 0
; COMPUTE_PGM_RSRC2:SCRATCH_EN: 0
; COMPUTE_PGM_RSRC2:USER_SGPR: 15
; COMPUTE_PGM_RSRC2:TRAP_HANDLER: 0
; COMPUTE_PGM_RSRC2:TGID_X_EN: 1
; COMPUTE_PGM_RSRC2:TGID_Y_EN: 0
; COMPUTE_PGM_RSRC2:TGID_Z_EN: 0
; COMPUTE_PGM_RSRC2:TIDIG_COMP_CNT: 0
	.section	.text._ZN7rocprim17ROCPRIM_400000_NS6detail17trampoline_kernelINS0_13select_configILj256ELj13ELNS0_17block_load_methodE3ELS4_3ELS4_3ELNS0_20block_scan_algorithmE0ELj4294967295EEENS1_25partition_config_selectorILNS1_17partition_subalgoE4EjNS0_10empty_typeEbEEZZNS1_14partition_implILS8_4ELb0ES6_15HIP_vector_typeIjLj2EENS0_17counting_iteratorIjlEEPS9_SG_NS0_5tupleIJPjSI_NS0_16reverse_iteratorISI_EEEEENSH_IJSG_SG_SG_EEES9_SI_JZNS1_25segmented_radix_sort_implINS0_14default_configELb1EPKfPfPKlPlN2at6native12_GLOBAL__N_18offset_tEEE10hipError_tPvRmT1_PNSt15iterator_traitsIS12_E10value_typeET2_T3_PNS13_IS18_E10value_typeET4_jRbjT5_S1E_jjP12ihipStream_tbEUljE_ZNSN_ISO_Lb1ESQ_SR_ST_SU_SY_EESZ_S10_S11_S12_S16_S17_S18_S1B_S1C_jS1D_jS1E_S1E_jjS1G_bEUljE0_EEESZ_S10_S11_S18_S1C_S1E_T6_T7_T9_mT8_S1G_bDpT10_ENKUlT_T0_E_clISt17integral_constantIbLb0EES1T_IbLb1EEEEDaS1P_S1Q_EUlS1P_E_NS1_11comp_targetILNS1_3genE3ELNS1_11target_archE908ELNS1_3gpuE7ELNS1_3repE0EEENS1_30default_config_static_selectorELNS0_4arch9wavefront6targetE0EEEvS12_,"axG",@progbits,_ZN7rocprim17ROCPRIM_400000_NS6detail17trampoline_kernelINS0_13select_configILj256ELj13ELNS0_17block_load_methodE3ELS4_3ELS4_3ELNS0_20block_scan_algorithmE0ELj4294967295EEENS1_25partition_config_selectorILNS1_17partition_subalgoE4EjNS0_10empty_typeEbEEZZNS1_14partition_implILS8_4ELb0ES6_15HIP_vector_typeIjLj2EENS0_17counting_iteratorIjlEEPS9_SG_NS0_5tupleIJPjSI_NS0_16reverse_iteratorISI_EEEEENSH_IJSG_SG_SG_EEES9_SI_JZNS1_25segmented_radix_sort_implINS0_14default_configELb1EPKfPfPKlPlN2at6native12_GLOBAL__N_18offset_tEEE10hipError_tPvRmT1_PNSt15iterator_traitsIS12_E10value_typeET2_T3_PNS13_IS18_E10value_typeET4_jRbjT5_S1E_jjP12ihipStream_tbEUljE_ZNSN_ISO_Lb1ESQ_SR_ST_SU_SY_EESZ_S10_S11_S12_S16_S17_S18_S1B_S1C_jS1D_jS1E_S1E_jjS1G_bEUljE0_EEESZ_S10_S11_S18_S1C_S1E_T6_T7_T9_mT8_S1G_bDpT10_ENKUlT_T0_E_clISt17integral_constantIbLb0EES1T_IbLb1EEEEDaS1P_S1Q_EUlS1P_E_NS1_11comp_targetILNS1_3genE3ELNS1_11target_archE908ELNS1_3gpuE7ELNS1_3repE0EEENS1_30default_config_static_selectorELNS0_4arch9wavefront6targetE0EEEvS12_,comdat
	.globl	_ZN7rocprim17ROCPRIM_400000_NS6detail17trampoline_kernelINS0_13select_configILj256ELj13ELNS0_17block_load_methodE3ELS4_3ELS4_3ELNS0_20block_scan_algorithmE0ELj4294967295EEENS1_25partition_config_selectorILNS1_17partition_subalgoE4EjNS0_10empty_typeEbEEZZNS1_14partition_implILS8_4ELb0ES6_15HIP_vector_typeIjLj2EENS0_17counting_iteratorIjlEEPS9_SG_NS0_5tupleIJPjSI_NS0_16reverse_iteratorISI_EEEEENSH_IJSG_SG_SG_EEES9_SI_JZNS1_25segmented_radix_sort_implINS0_14default_configELb1EPKfPfPKlPlN2at6native12_GLOBAL__N_18offset_tEEE10hipError_tPvRmT1_PNSt15iterator_traitsIS12_E10value_typeET2_T3_PNS13_IS18_E10value_typeET4_jRbjT5_S1E_jjP12ihipStream_tbEUljE_ZNSN_ISO_Lb1ESQ_SR_ST_SU_SY_EESZ_S10_S11_S12_S16_S17_S18_S1B_S1C_jS1D_jS1E_S1E_jjS1G_bEUljE0_EEESZ_S10_S11_S18_S1C_S1E_T6_T7_T9_mT8_S1G_bDpT10_ENKUlT_T0_E_clISt17integral_constantIbLb0EES1T_IbLb1EEEEDaS1P_S1Q_EUlS1P_E_NS1_11comp_targetILNS1_3genE3ELNS1_11target_archE908ELNS1_3gpuE7ELNS1_3repE0EEENS1_30default_config_static_selectorELNS0_4arch9wavefront6targetE0EEEvS12_ ; -- Begin function _ZN7rocprim17ROCPRIM_400000_NS6detail17trampoline_kernelINS0_13select_configILj256ELj13ELNS0_17block_load_methodE3ELS4_3ELS4_3ELNS0_20block_scan_algorithmE0ELj4294967295EEENS1_25partition_config_selectorILNS1_17partition_subalgoE4EjNS0_10empty_typeEbEEZZNS1_14partition_implILS8_4ELb0ES6_15HIP_vector_typeIjLj2EENS0_17counting_iteratorIjlEEPS9_SG_NS0_5tupleIJPjSI_NS0_16reverse_iteratorISI_EEEEENSH_IJSG_SG_SG_EEES9_SI_JZNS1_25segmented_radix_sort_implINS0_14default_configELb1EPKfPfPKlPlN2at6native12_GLOBAL__N_18offset_tEEE10hipError_tPvRmT1_PNSt15iterator_traitsIS12_E10value_typeET2_T3_PNS13_IS18_E10value_typeET4_jRbjT5_S1E_jjP12ihipStream_tbEUljE_ZNSN_ISO_Lb1ESQ_SR_ST_SU_SY_EESZ_S10_S11_S12_S16_S17_S18_S1B_S1C_jS1D_jS1E_S1E_jjS1G_bEUljE0_EEESZ_S10_S11_S18_S1C_S1E_T6_T7_T9_mT8_S1G_bDpT10_ENKUlT_T0_E_clISt17integral_constantIbLb0EES1T_IbLb1EEEEDaS1P_S1Q_EUlS1P_E_NS1_11comp_targetILNS1_3genE3ELNS1_11target_archE908ELNS1_3gpuE7ELNS1_3repE0EEENS1_30default_config_static_selectorELNS0_4arch9wavefront6targetE0EEEvS12_
	.p2align	8
	.type	_ZN7rocprim17ROCPRIM_400000_NS6detail17trampoline_kernelINS0_13select_configILj256ELj13ELNS0_17block_load_methodE3ELS4_3ELS4_3ELNS0_20block_scan_algorithmE0ELj4294967295EEENS1_25partition_config_selectorILNS1_17partition_subalgoE4EjNS0_10empty_typeEbEEZZNS1_14partition_implILS8_4ELb0ES6_15HIP_vector_typeIjLj2EENS0_17counting_iteratorIjlEEPS9_SG_NS0_5tupleIJPjSI_NS0_16reverse_iteratorISI_EEEEENSH_IJSG_SG_SG_EEES9_SI_JZNS1_25segmented_radix_sort_implINS0_14default_configELb1EPKfPfPKlPlN2at6native12_GLOBAL__N_18offset_tEEE10hipError_tPvRmT1_PNSt15iterator_traitsIS12_E10value_typeET2_T3_PNS13_IS18_E10value_typeET4_jRbjT5_S1E_jjP12ihipStream_tbEUljE_ZNSN_ISO_Lb1ESQ_SR_ST_SU_SY_EESZ_S10_S11_S12_S16_S17_S18_S1B_S1C_jS1D_jS1E_S1E_jjS1G_bEUljE0_EEESZ_S10_S11_S18_S1C_S1E_T6_T7_T9_mT8_S1G_bDpT10_ENKUlT_T0_E_clISt17integral_constantIbLb0EES1T_IbLb1EEEEDaS1P_S1Q_EUlS1P_E_NS1_11comp_targetILNS1_3genE3ELNS1_11target_archE908ELNS1_3gpuE7ELNS1_3repE0EEENS1_30default_config_static_selectorELNS0_4arch9wavefront6targetE0EEEvS12_,@function
_ZN7rocprim17ROCPRIM_400000_NS6detail17trampoline_kernelINS0_13select_configILj256ELj13ELNS0_17block_load_methodE3ELS4_3ELS4_3ELNS0_20block_scan_algorithmE0ELj4294967295EEENS1_25partition_config_selectorILNS1_17partition_subalgoE4EjNS0_10empty_typeEbEEZZNS1_14partition_implILS8_4ELb0ES6_15HIP_vector_typeIjLj2EENS0_17counting_iteratorIjlEEPS9_SG_NS0_5tupleIJPjSI_NS0_16reverse_iteratorISI_EEEEENSH_IJSG_SG_SG_EEES9_SI_JZNS1_25segmented_radix_sort_implINS0_14default_configELb1EPKfPfPKlPlN2at6native12_GLOBAL__N_18offset_tEEE10hipError_tPvRmT1_PNSt15iterator_traitsIS12_E10value_typeET2_T3_PNS13_IS18_E10value_typeET4_jRbjT5_S1E_jjP12ihipStream_tbEUljE_ZNSN_ISO_Lb1ESQ_SR_ST_SU_SY_EESZ_S10_S11_S12_S16_S17_S18_S1B_S1C_jS1D_jS1E_S1E_jjS1G_bEUljE0_EEESZ_S10_S11_S18_S1C_S1E_T6_T7_T9_mT8_S1G_bDpT10_ENKUlT_T0_E_clISt17integral_constantIbLb0EES1T_IbLb1EEEEDaS1P_S1Q_EUlS1P_E_NS1_11comp_targetILNS1_3genE3ELNS1_11target_archE908ELNS1_3gpuE7ELNS1_3repE0EEENS1_30default_config_static_selectorELNS0_4arch9wavefront6targetE0EEEvS12_: ; @_ZN7rocprim17ROCPRIM_400000_NS6detail17trampoline_kernelINS0_13select_configILj256ELj13ELNS0_17block_load_methodE3ELS4_3ELS4_3ELNS0_20block_scan_algorithmE0ELj4294967295EEENS1_25partition_config_selectorILNS1_17partition_subalgoE4EjNS0_10empty_typeEbEEZZNS1_14partition_implILS8_4ELb0ES6_15HIP_vector_typeIjLj2EENS0_17counting_iteratorIjlEEPS9_SG_NS0_5tupleIJPjSI_NS0_16reverse_iteratorISI_EEEEENSH_IJSG_SG_SG_EEES9_SI_JZNS1_25segmented_radix_sort_implINS0_14default_configELb1EPKfPfPKlPlN2at6native12_GLOBAL__N_18offset_tEEE10hipError_tPvRmT1_PNSt15iterator_traitsIS12_E10value_typeET2_T3_PNS13_IS18_E10value_typeET4_jRbjT5_S1E_jjP12ihipStream_tbEUljE_ZNSN_ISO_Lb1ESQ_SR_ST_SU_SY_EESZ_S10_S11_S12_S16_S17_S18_S1B_S1C_jS1D_jS1E_S1E_jjS1G_bEUljE0_EEESZ_S10_S11_S18_S1C_S1E_T6_T7_T9_mT8_S1G_bDpT10_ENKUlT_T0_E_clISt17integral_constantIbLb0EES1T_IbLb1EEEEDaS1P_S1Q_EUlS1P_E_NS1_11comp_targetILNS1_3genE3ELNS1_11target_archE908ELNS1_3gpuE7ELNS1_3repE0EEENS1_30default_config_static_selectorELNS0_4arch9wavefront6targetE0EEEvS12_
; %bb.0:
	.section	.rodata,"a",@progbits
	.p2align	6, 0x0
	.amdhsa_kernel _ZN7rocprim17ROCPRIM_400000_NS6detail17trampoline_kernelINS0_13select_configILj256ELj13ELNS0_17block_load_methodE3ELS4_3ELS4_3ELNS0_20block_scan_algorithmE0ELj4294967295EEENS1_25partition_config_selectorILNS1_17partition_subalgoE4EjNS0_10empty_typeEbEEZZNS1_14partition_implILS8_4ELb0ES6_15HIP_vector_typeIjLj2EENS0_17counting_iteratorIjlEEPS9_SG_NS0_5tupleIJPjSI_NS0_16reverse_iteratorISI_EEEEENSH_IJSG_SG_SG_EEES9_SI_JZNS1_25segmented_radix_sort_implINS0_14default_configELb1EPKfPfPKlPlN2at6native12_GLOBAL__N_18offset_tEEE10hipError_tPvRmT1_PNSt15iterator_traitsIS12_E10value_typeET2_T3_PNS13_IS18_E10value_typeET4_jRbjT5_S1E_jjP12ihipStream_tbEUljE_ZNSN_ISO_Lb1ESQ_SR_ST_SU_SY_EESZ_S10_S11_S12_S16_S17_S18_S1B_S1C_jS1D_jS1E_S1E_jjS1G_bEUljE0_EEESZ_S10_S11_S18_S1C_S1E_T6_T7_T9_mT8_S1G_bDpT10_ENKUlT_T0_E_clISt17integral_constantIbLb0EES1T_IbLb1EEEEDaS1P_S1Q_EUlS1P_E_NS1_11comp_targetILNS1_3genE3ELNS1_11target_archE908ELNS1_3gpuE7ELNS1_3repE0EEENS1_30default_config_static_selectorELNS0_4arch9wavefront6targetE0EEEvS12_
		.amdhsa_group_segment_fixed_size 0
		.amdhsa_private_segment_fixed_size 0
		.amdhsa_kernarg_size 184
		.amdhsa_user_sgpr_count 15
		.amdhsa_user_sgpr_dispatch_ptr 0
		.amdhsa_user_sgpr_queue_ptr 0
		.amdhsa_user_sgpr_kernarg_segment_ptr 1
		.amdhsa_user_sgpr_dispatch_id 0
		.amdhsa_user_sgpr_private_segment_size 0
		.amdhsa_wavefront_size32 1
		.amdhsa_uses_dynamic_stack 0
		.amdhsa_enable_private_segment 0
		.amdhsa_system_sgpr_workgroup_id_x 1
		.amdhsa_system_sgpr_workgroup_id_y 0
		.amdhsa_system_sgpr_workgroup_id_z 0
		.amdhsa_system_sgpr_workgroup_info 0
		.amdhsa_system_vgpr_workitem_id 0
		.amdhsa_next_free_vgpr 1
		.amdhsa_next_free_sgpr 1
		.amdhsa_reserve_vcc 0
		.amdhsa_float_round_mode_32 0
		.amdhsa_float_round_mode_16_64 0
		.amdhsa_float_denorm_mode_32 3
		.amdhsa_float_denorm_mode_16_64 3
		.amdhsa_dx10_clamp 1
		.amdhsa_ieee_mode 1
		.amdhsa_fp16_overflow 0
		.amdhsa_workgroup_processor_mode 1
		.amdhsa_memory_ordered 1
		.amdhsa_forward_progress 0
		.amdhsa_shared_vgpr_count 0
		.amdhsa_exception_fp_ieee_invalid_op 0
		.amdhsa_exception_fp_denorm_src 0
		.amdhsa_exception_fp_ieee_div_zero 0
		.amdhsa_exception_fp_ieee_overflow 0
		.amdhsa_exception_fp_ieee_underflow 0
		.amdhsa_exception_fp_ieee_inexact 0
		.amdhsa_exception_int_div_zero 0
	.end_amdhsa_kernel
	.section	.text._ZN7rocprim17ROCPRIM_400000_NS6detail17trampoline_kernelINS0_13select_configILj256ELj13ELNS0_17block_load_methodE3ELS4_3ELS4_3ELNS0_20block_scan_algorithmE0ELj4294967295EEENS1_25partition_config_selectorILNS1_17partition_subalgoE4EjNS0_10empty_typeEbEEZZNS1_14partition_implILS8_4ELb0ES6_15HIP_vector_typeIjLj2EENS0_17counting_iteratorIjlEEPS9_SG_NS0_5tupleIJPjSI_NS0_16reverse_iteratorISI_EEEEENSH_IJSG_SG_SG_EEES9_SI_JZNS1_25segmented_radix_sort_implINS0_14default_configELb1EPKfPfPKlPlN2at6native12_GLOBAL__N_18offset_tEEE10hipError_tPvRmT1_PNSt15iterator_traitsIS12_E10value_typeET2_T3_PNS13_IS18_E10value_typeET4_jRbjT5_S1E_jjP12ihipStream_tbEUljE_ZNSN_ISO_Lb1ESQ_SR_ST_SU_SY_EESZ_S10_S11_S12_S16_S17_S18_S1B_S1C_jS1D_jS1E_S1E_jjS1G_bEUljE0_EEESZ_S10_S11_S18_S1C_S1E_T6_T7_T9_mT8_S1G_bDpT10_ENKUlT_T0_E_clISt17integral_constantIbLb0EES1T_IbLb1EEEEDaS1P_S1Q_EUlS1P_E_NS1_11comp_targetILNS1_3genE3ELNS1_11target_archE908ELNS1_3gpuE7ELNS1_3repE0EEENS1_30default_config_static_selectorELNS0_4arch9wavefront6targetE0EEEvS12_,"axG",@progbits,_ZN7rocprim17ROCPRIM_400000_NS6detail17trampoline_kernelINS0_13select_configILj256ELj13ELNS0_17block_load_methodE3ELS4_3ELS4_3ELNS0_20block_scan_algorithmE0ELj4294967295EEENS1_25partition_config_selectorILNS1_17partition_subalgoE4EjNS0_10empty_typeEbEEZZNS1_14partition_implILS8_4ELb0ES6_15HIP_vector_typeIjLj2EENS0_17counting_iteratorIjlEEPS9_SG_NS0_5tupleIJPjSI_NS0_16reverse_iteratorISI_EEEEENSH_IJSG_SG_SG_EEES9_SI_JZNS1_25segmented_radix_sort_implINS0_14default_configELb1EPKfPfPKlPlN2at6native12_GLOBAL__N_18offset_tEEE10hipError_tPvRmT1_PNSt15iterator_traitsIS12_E10value_typeET2_T3_PNS13_IS18_E10value_typeET4_jRbjT5_S1E_jjP12ihipStream_tbEUljE_ZNSN_ISO_Lb1ESQ_SR_ST_SU_SY_EESZ_S10_S11_S12_S16_S17_S18_S1B_S1C_jS1D_jS1E_S1E_jjS1G_bEUljE0_EEESZ_S10_S11_S18_S1C_S1E_T6_T7_T9_mT8_S1G_bDpT10_ENKUlT_T0_E_clISt17integral_constantIbLb0EES1T_IbLb1EEEEDaS1P_S1Q_EUlS1P_E_NS1_11comp_targetILNS1_3genE3ELNS1_11target_archE908ELNS1_3gpuE7ELNS1_3repE0EEENS1_30default_config_static_selectorELNS0_4arch9wavefront6targetE0EEEvS12_,comdat
.Lfunc_end1288:
	.size	_ZN7rocprim17ROCPRIM_400000_NS6detail17trampoline_kernelINS0_13select_configILj256ELj13ELNS0_17block_load_methodE3ELS4_3ELS4_3ELNS0_20block_scan_algorithmE0ELj4294967295EEENS1_25partition_config_selectorILNS1_17partition_subalgoE4EjNS0_10empty_typeEbEEZZNS1_14partition_implILS8_4ELb0ES6_15HIP_vector_typeIjLj2EENS0_17counting_iteratorIjlEEPS9_SG_NS0_5tupleIJPjSI_NS0_16reverse_iteratorISI_EEEEENSH_IJSG_SG_SG_EEES9_SI_JZNS1_25segmented_radix_sort_implINS0_14default_configELb1EPKfPfPKlPlN2at6native12_GLOBAL__N_18offset_tEEE10hipError_tPvRmT1_PNSt15iterator_traitsIS12_E10value_typeET2_T3_PNS13_IS18_E10value_typeET4_jRbjT5_S1E_jjP12ihipStream_tbEUljE_ZNSN_ISO_Lb1ESQ_SR_ST_SU_SY_EESZ_S10_S11_S12_S16_S17_S18_S1B_S1C_jS1D_jS1E_S1E_jjS1G_bEUljE0_EEESZ_S10_S11_S18_S1C_S1E_T6_T7_T9_mT8_S1G_bDpT10_ENKUlT_T0_E_clISt17integral_constantIbLb0EES1T_IbLb1EEEEDaS1P_S1Q_EUlS1P_E_NS1_11comp_targetILNS1_3genE3ELNS1_11target_archE908ELNS1_3gpuE7ELNS1_3repE0EEENS1_30default_config_static_selectorELNS0_4arch9wavefront6targetE0EEEvS12_, .Lfunc_end1288-_ZN7rocprim17ROCPRIM_400000_NS6detail17trampoline_kernelINS0_13select_configILj256ELj13ELNS0_17block_load_methodE3ELS4_3ELS4_3ELNS0_20block_scan_algorithmE0ELj4294967295EEENS1_25partition_config_selectorILNS1_17partition_subalgoE4EjNS0_10empty_typeEbEEZZNS1_14partition_implILS8_4ELb0ES6_15HIP_vector_typeIjLj2EENS0_17counting_iteratorIjlEEPS9_SG_NS0_5tupleIJPjSI_NS0_16reverse_iteratorISI_EEEEENSH_IJSG_SG_SG_EEES9_SI_JZNS1_25segmented_radix_sort_implINS0_14default_configELb1EPKfPfPKlPlN2at6native12_GLOBAL__N_18offset_tEEE10hipError_tPvRmT1_PNSt15iterator_traitsIS12_E10value_typeET2_T3_PNS13_IS18_E10value_typeET4_jRbjT5_S1E_jjP12ihipStream_tbEUljE_ZNSN_ISO_Lb1ESQ_SR_ST_SU_SY_EESZ_S10_S11_S12_S16_S17_S18_S1B_S1C_jS1D_jS1E_S1E_jjS1G_bEUljE0_EEESZ_S10_S11_S18_S1C_S1E_T6_T7_T9_mT8_S1G_bDpT10_ENKUlT_T0_E_clISt17integral_constantIbLb0EES1T_IbLb1EEEEDaS1P_S1Q_EUlS1P_E_NS1_11comp_targetILNS1_3genE3ELNS1_11target_archE908ELNS1_3gpuE7ELNS1_3repE0EEENS1_30default_config_static_selectorELNS0_4arch9wavefront6targetE0EEEvS12_
                                        ; -- End function
	.section	.AMDGPU.csdata,"",@progbits
; Kernel info:
; codeLenInByte = 0
; NumSgprs: 0
; NumVgprs: 0
; ScratchSize: 0
; MemoryBound: 0
; FloatMode: 240
; IeeeMode: 1
; LDSByteSize: 0 bytes/workgroup (compile time only)
; SGPRBlocks: 0
; VGPRBlocks: 0
; NumSGPRsForWavesPerEU: 1
; NumVGPRsForWavesPerEU: 1
; Occupancy: 16
; WaveLimiterHint : 0
; COMPUTE_PGM_RSRC2:SCRATCH_EN: 0
; COMPUTE_PGM_RSRC2:USER_SGPR: 15
; COMPUTE_PGM_RSRC2:TRAP_HANDLER: 0
; COMPUTE_PGM_RSRC2:TGID_X_EN: 1
; COMPUTE_PGM_RSRC2:TGID_Y_EN: 0
; COMPUTE_PGM_RSRC2:TGID_Z_EN: 0
; COMPUTE_PGM_RSRC2:TIDIG_COMP_CNT: 0
	.section	.text._ZN7rocprim17ROCPRIM_400000_NS6detail17trampoline_kernelINS0_13select_configILj256ELj13ELNS0_17block_load_methodE3ELS4_3ELS4_3ELNS0_20block_scan_algorithmE0ELj4294967295EEENS1_25partition_config_selectorILNS1_17partition_subalgoE4EjNS0_10empty_typeEbEEZZNS1_14partition_implILS8_4ELb0ES6_15HIP_vector_typeIjLj2EENS0_17counting_iteratorIjlEEPS9_SG_NS0_5tupleIJPjSI_NS0_16reverse_iteratorISI_EEEEENSH_IJSG_SG_SG_EEES9_SI_JZNS1_25segmented_radix_sort_implINS0_14default_configELb1EPKfPfPKlPlN2at6native12_GLOBAL__N_18offset_tEEE10hipError_tPvRmT1_PNSt15iterator_traitsIS12_E10value_typeET2_T3_PNS13_IS18_E10value_typeET4_jRbjT5_S1E_jjP12ihipStream_tbEUljE_ZNSN_ISO_Lb1ESQ_SR_ST_SU_SY_EESZ_S10_S11_S12_S16_S17_S18_S1B_S1C_jS1D_jS1E_S1E_jjS1G_bEUljE0_EEESZ_S10_S11_S18_S1C_S1E_T6_T7_T9_mT8_S1G_bDpT10_ENKUlT_T0_E_clISt17integral_constantIbLb0EES1T_IbLb1EEEEDaS1P_S1Q_EUlS1P_E_NS1_11comp_targetILNS1_3genE2ELNS1_11target_archE906ELNS1_3gpuE6ELNS1_3repE0EEENS1_30default_config_static_selectorELNS0_4arch9wavefront6targetE0EEEvS12_,"axG",@progbits,_ZN7rocprim17ROCPRIM_400000_NS6detail17trampoline_kernelINS0_13select_configILj256ELj13ELNS0_17block_load_methodE3ELS4_3ELS4_3ELNS0_20block_scan_algorithmE0ELj4294967295EEENS1_25partition_config_selectorILNS1_17partition_subalgoE4EjNS0_10empty_typeEbEEZZNS1_14partition_implILS8_4ELb0ES6_15HIP_vector_typeIjLj2EENS0_17counting_iteratorIjlEEPS9_SG_NS0_5tupleIJPjSI_NS0_16reverse_iteratorISI_EEEEENSH_IJSG_SG_SG_EEES9_SI_JZNS1_25segmented_radix_sort_implINS0_14default_configELb1EPKfPfPKlPlN2at6native12_GLOBAL__N_18offset_tEEE10hipError_tPvRmT1_PNSt15iterator_traitsIS12_E10value_typeET2_T3_PNS13_IS18_E10value_typeET4_jRbjT5_S1E_jjP12ihipStream_tbEUljE_ZNSN_ISO_Lb1ESQ_SR_ST_SU_SY_EESZ_S10_S11_S12_S16_S17_S18_S1B_S1C_jS1D_jS1E_S1E_jjS1G_bEUljE0_EEESZ_S10_S11_S18_S1C_S1E_T6_T7_T9_mT8_S1G_bDpT10_ENKUlT_T0_E_clISt17integral_constantIbLb0EES1T_IbLb1EEEEDaS1P_S1Q_EUlS1P_E_NS1_11comp_targetILNS1_3genE2ELNS1_11target_archE906ELNS1_3gpuE6ELNS1_3repE0EEENS1_30default_config_static_selectorELNS0_4arch9wavefront6targetE0EEEvS12_,comdat
	.globl	_ZN7rocprim17ROCPRIM_400000_NS6detail17trampoline_kernelINS0_13select_configILj256ELj13ELNS0_17block_load_methodE3ELS4_3ELS4_3ELNS0_20block_scan_algorithmE0ELj4294967295EEENS1_25partition_config_selectorILNS1_17partition_subalgoE4EjNS0_10empty_typeEbEEZZNS1_14partition_implILS8_4ELb0ES6_15HIP_vector_typeIjLj2EENS0_17counting_iteratorIjlEEPS9_SG_NS0_5tupleIJPjSI_NS0_16reverse_iteratorISI_EEEEENSH_IJSG_SG_SG_EEES9_SI_JZNS1_25segmented_radix_sort_implINS0_14default_configELb1EPKfPfPKlPlN2at6native12_GLOBAL__N_18offset_tEEE10hipError_tPvRmT1_PNSt15iterator_traitsIS12_E10value_typeET2_T3_PNS13_IS18_E10value_typeET4_jRbjT5_S1E_jjP12ihipStream_tbEUljE_ZNSN_ISO_Lb1ESQ_SR_ST_SU_SY_EESZ_S10_S11_S12_S16_S17_S18_S1B_S1C_jS1D_jS1E_S1E_jjS1G_bEUljE0_EEESZ_S10_S11_S18_S1C_S1E_T6_T7_T9_mT8_S1G_bDpT10_ENKUlT_T0_E_clISt17integral_constantIbLb0EES1T_IbLb1EEEEDaS1P_S1Q_EUlS1P_E_NS1_11comp_targetILNS1_3genE2ELNS1_11target_archE906ELNS1_3gpuE6ELNS1_3repE0EEENS1_30default_config_static_selectorELNS0_4arch9wavefront6targetE0EEEvS12_ ; -- Begin function _ZN7rocprim17ROCPRIM_400000_NS6detail17trampoline_kernelINS0_13select_configILj256ELj13ELNS0_17block_load_methodE3ELS4_3ELS4_3ELNS0_20block_scan_algorithmE0ELj4294967295EEENS1_25partition_config_selectorILNS1_17partition_subalgoE4EjNS0_10empty_typeEbEEZZNS1_14partition_implILS8_4ELb0ES6_15HIP_vector_typeIjLj2EENS0_17counting_iteratorIjlEEPS9_SG_NS0_5tupleIJPjSI_NS0_16reverse_iteratorISI_EEEEENSH_IJSG_SG_SG_EEES9_SI_JZNS1_25segmented_radix_sort_implINS0_14default_configELb1EPKfPfPKlPlN2at6native12_GLOBAL__N_18offset_tEEE10hipError_tPvRmT1_PNSt15iterator_traitsIS12_E10value_typeET2_T3_PNS13_IS18_E10value_typeET4_jRbjT5_S1E_jjP12ihipStream_tbEUljE_ZNSN_ISO_Lb1ESQ_SR_ST_SU_SY_EESZ_S10_S11_S12_S16_S17_S18_S1B_S1C_jS1D_jS1E_S1E_jjS1G_bEUljE0_EEESZ_S10_S11_S18_S1C_S1E_T6_T7_T9_mT8_S1G_bDpT10_ENKUlT_T0_E_clISt17integral_constantIbLb0EES1T_IbLb1EEEEDaS1P_S1Q_EUlS1P_E_NS1_11comp_targetILNS1_3genE2ELNS1_11target_archE906ELNS1_3gpuE6ELNS1_3repE0EEENS1_30default_config_static_selectorELNS0_4arch9wavefront6targetE0EEEvS12_
	.p2align	8
	.type	_ZN7rocprim17ROCPRIM_400000_NS6detail17trampoline_kernelINS0_13select_configILj256ELj13ELNS0_17block_load_methodE3ELS4_3ELS4_3ELNS0_20block_scan_algorithmE0ELj4294967295EEENS1_25partition_config_selectorILNS1_17partition_subalgoE4EjNS0_10empty_typeEbEEZZNS1_14partition_implILS8_4ELb0ES6_15HIP_vector_typeIjLj2EENS0_17counting_iteratorIjlEEPS9_SG_NS0_5tupleIJPjSI_NS0_16reverse_iteratorISI_EEEEENSH_IJSG_SG_SG_EEES9_SI_JZNS1_25segmented_radix_sort_implINS0_14default_configELb1EPKfPfPKlPlN2at6native12_GLOBAL__N_18offset_tEEE10hipError_tPvRmT1_PNSt15iterator_traitsIS12_E10value_typeET2_T3_PNS13_IS18_E10value_typeET4_jRbjT5_S1E_jjP12ihipStream_tbEUljE_ZNSN_ISO_Lb1ESQ_SR_ST_SU_SY_EESZ_S10_S11_S12_S16_S17_S18_S1B_S1C_jS1D_jS1E_S1E_jjS1G_bEUljE0_EEESZ_S10_S11_S18_S1C_S1E_T6_T7_T9_mT8_S1G_bDpT10_ENKUlT_T0_E_clISt17integral_constantIbLb0EES1T_IbLb1EEEEDaS1P_S1Q_EUlS1P_E_NS1_11comp_targetILNS1_3genE2ELNS1_11target_archE906ELNS1_3gpuE6ELNS1_3repE0EEENS1_30default_config_static_selectorELNS0_4arch9wavefront6targetE0EEEvS12_,@function
_ZN7rocprim17ROCPRIM_400000_NS6detail17trampoline_kernelINS0_13select_configILj256ELj13ELNS0_17block_load_methodE3ELS4_3ELS4_3ELNS0_20block_scan_algorithmE0ELj4294967295EEENS1_25partition_config_selectorILNS1_17partition_subalgoE4EjNS0_10empty_typeEbEEZZNS1_14partition_implILS8_4ELb0ES6_15HIP_vector_typeIjLj2EENS0_17counting_iteratorIjlEEPS9_SG_NS0_5tupleIJPjSI_NS0_16reverse_iteratorISI_EEEEENSH_IJSG_SG_SG_EEES9_SI_JZNS1_25segmented_radix_sort_implINS0_14default_configELb1EPKfPfPKlPlN2at6native12_GLOBAL__N_18offset_tEEE10hipError_tPvRmT1_PNSt15iterator_traitsIS12_E10value_typeET2_T3_PNS13_IS18_E10value_typeET4_jRbjT5_S1E_jjP12ihipStream_tbEUljE_ZNSN_ISO_Lb1ESQ_SR_ST_SU_SY_EESZ_S10_S11_S12_S16_S17_S18_S1B_S1C_jS1D_jS1E_S1E_jjS1G_bEUljE0_EEESZ_S10_S11_S18_S1C_S1E_T6_T7_T9_mT8_S1G_bDpT10_ENKUlT_T0_E_clISt17integral_constantIbLb0EES1T_IbLb1EEEEDaS1P_S1Q_EUlS1P_E_NS1_11comp_targetILNS1_3genE2ELNS1_11target_archE906ELNS1_3gpuE6ELNS1_3repE0EEENS1_30default_config_static_selectorELNS0_4arch9wavefront6targetE0EEEvS12_: ; @_ZN7rocprim17ROCPRIM_400000_NS6detail17trampoline_kernelINS0_13select_configILj256ELj13ELNS0_17block_load_methodE3ELS4_3ELS4_3ELNS0_20block_scan_algorithmE0ELj4294967295EEENS1_25partition_config_selectorILNS1_17partition_subalgoE4EjNS0_10empty_typeEbEEZZNS1_14partition_implILS8_4ELb0ES6_15HIP_vector_typeIjLj2EENS0_17counting_iteratorIjlEEPS9_SG_NS0_5tupleIJPjSI_NS0_16reverse_iteratorISI_EEEEENSH_IJSG_SG_SG_EEES9_SI_JZNS1_25segmented_radix_sort_implINS0_14default_configELb1EPKfPfPKlPlN2at6native12_GLOBAL__N_18offset_tEEE10hipError_tPvRmT1_PNSt15iterator_traitsIS12_E10value_typeET2_T3_PNS13_IS18_E10value_typeET4_jRbjT5_S1E_jjP12ihipStream_tbEUljE_ZNSN_ISO_Lb1ESQ_SR_ST_SU_SY_EESZ_S10_S11_S12_S16_S17_S18_S1B_S1C_jS1D_jS1E_S1E_jjS1G_bEUljE0_EEESZ_S10_S11_S18_S1C_S1E_T6_T7_T9_mT8_S1G_bDpT10_ENKUlT_T0_E_clISt17integral_constantIbLb0EES1T_IbLb1EEEEDaS1P_S1Q_EUlS1P_E_NS1_11comp_targetILNS1_3genE2ELNS1_11target_archE906ELNS1_3gpuE6ELNS1_3repE0EEENS1_30default_config_static_selectorELNS0_4arch9wavefront6targetE0EEEvS12_
; %bb.0:
	.section	.rodata,"a",@progbits
	.p2align	6, 0x0
	.amdhsa_kernel _ZN7rocprim17ROCPRIM_400000_NS6detail17trampoline_kernelINS0_13select_configILj256ELj13ELNS0_17block_load_methodE3ELS4_3ELS4_3ELNS0_20block_scan_algorithmE0ELj4294967295EEENS1_25partition_config_selectorILNS1_17partition_subalgoE4EjNS0_10empty_typeEbEEZZNS1_14partition_implILS8_4ELb0ES6_15HIP_vector_typeIjLj2EENS0_17counting_iteratorIjlEEPS9_SG_NS0_5tupleIJPjSI_NS0_16reverse_iteratorISI_EEEEENSH_IJSG_SG_SG_EEES9_SI_JZNS1_25segmented_radix_sort_implINS0_14default_configELb1EPKfPfPKlPlN2at6native12_GLOBAL__N_18offset_tEEE10hipError_tPvRmT1_PNSt15iterator_traitsIS12_E10value_typeET2_T3_PNS13_IS18_E10value_typeET4_jRbjT5_S1E_jjP12ihipStream_tbEUljE_ZNSN_ISO_Lb1ESQ_SR_ST_SU_SY_EESZ_S10_S11_S12_S16_S17_S18_S1B_S1C_jS1D_jS1E_S1E_jjS1G_bEUljE0_EEESZ_S10_S11_S18_S1C_S1E_T6_T7_T9_mT8_S1G_bDpT10_ENKUlT_T0_E_clISt17integral_constantIbLb0EES1T_IbLb1EEEEDaS1P_S1Q_EUlS1P_E_NS1_11comp_targetILNS1_3genE2ELNS1_11target_archE906ELNS1_3gpuE6ELNS1_3repE0EEENS1_30default_config_static_selectorELNS0_4arch9wavefront6targetE0EEEvS12_
		.amdhsa_group_segment_fixed_size 0
		.amdhsa_private_segment_fixed_size 0
		.amdhsa_kernarg_size 184
		.amdhsa_user_sgpr_count 15
		.amdhsa_user_sgpr_dispatch_ptr 0
		.amdhsa_user_sgpr_queue_ptr 0
		.amdhsa_user_sgpr_kernarg_segment_ptr 1
		.amdhsa_user_sgpr_dispatch_id 0
		.amdhsa_user_sgpr_private_segment_size 0
		.amdhsa_wavefront_size32 1
		.amdhsa_uses_dynamic_stack 0
		.amdhsa_enable_private_segment 0
		.amdhsa_system_sgpr_workgroup_id_x 1
		.amdhsa_system_sgpr_workgroup_id_y 0
		.amdhsa_system_sgpr_workgroup_id_z 0
		.amdhsa_system_sgpr_workgroup_info 0
		.amdhsa_system_vgpr_workitem_id 0
		.amdhsa_next_free_vgpr 1
		.amdhsa_next_free_sgpr 1
		.amdhsa_reserve_vcc 0
		.amdhsa_float_round_mode_32 0
		.amdhsa_float_round_mode_16_64 0
		.amdhsa_float_denorm_mode_32 3
		.amdhsa_float_denorm_mode_16_64 3
		.amdhsa_dx10_clamp 1
		.amdhsa_ieee_mode 1
		.amdhsa_fp16_overflow 0
		.amdhsa_workgroup_processor_mode 1
		.amdhsa_memory_ordered 1
		.amdhsa_forward_progress 0
		.amdhsa_shared_vgpr_count 0
		.amdhsa_exception_fp_ieee_invalid_op 0
		.amdhsa_exception_fp_denorm_src 0
		.amdhsa_exception_fp_ieee_div_zero 0
		.amdhsa_exception_fp_ieee_overflow 0
		.amdhsa_exception_fp_ieee_underflow 0
		.amdhsa_exception_fp_ieee_inexact 0
		.amdhsa_exception_int_div_zero 0
	.end_amdhsa_kernel
	.section	.text._ZN7rocprim17ROCPRIM_400000_NS6detail17trampoline_kernelINS0_13select_configILj256ELj13ELNS0_17block_load_methodE3ELS4_3ELS4_3ELNS0_20block_scan_algorithmE0ELj4294967295EEENS1_25partition_config_selectorILNS1_17partition_subalgoE4EjNS0_10empty_typeEbEEZZNS1_14partition_implILS8_4ELb0ES6_15HIP_vector_typeIjLj2EENS0_17counting_iteratorIjlEEPS9_SG_NS0_5tupleIJPjSI_NS0_16reverse_iteratorISI_EEEEENSH_IJSG_SG_SG_EEES9_SI_JZNS1_25segmented_radix_sort_implINS0_14default_configELb1EPKfPfPKlPlN2at6native12_GLOBAL__N_18offset_tEEE10hipError_tPvRmT1_PNSt15iterator_traitsIS12_E10value_typeET2_T3_PNS13_IS18_E10value_typeET4_jRbjT5_S1E_jjP12ihipStream_tbEUljE_ZNSN_ISO_Lb1ESQ_SR_ST_SU_SY_EESZ_S10_S11_S12_S16_S17_S18_S1B_S1C_jS1D_jS1E_S1E_jjS1G_bEUljE0_EEESZ_S10_S11_S18_S1C_S1E_T6_T7_T9_mT8_S1G_bDpT10_ENKUlT_T0_E_clISt17integral_constantIbLb0EES1T_IbLb1EEEEDaS1P_S1Q_EUlS1P_E_NS1_11comp_targetILNS1_3genE2ELNS1_11target_archE906ELNS1_3gpuE6ELNS1_3repE0EEENS1_30default_config_static_selectorELNS0_4arch9wavefront6targetE0EEEvS12_,"axG",@progbits,_ZN7rocprim17ROCPRIM_400000_NS6detail17trampoline_kernelINS0_13select_configILj256ELj13ELNS0_17block_load_methodE3ELS4_3ELS4_3ELNS0_20block_scan_algorithmE0ELj4294967295EEENS1_25partition_config_selectorILNS1_17partition_subalgoE4EjNS0_10empty_typeEbEEZZNS1_14partition_implILS8_4ELb0ES6_15HIP_vector_typeIjLj2EENS0_17counting_iteratorIjlEEPS9_SG_NS0_5tupleIJPjSI_NS0_16reverse_iteratorISI_EEEEENSH_IJSG_SG_SG_EEES9_SI_JZNS1_25segmented_radix_sort_implINS0_14default_configELb1EPKfPfPKlPlN2at6native12_GLOBAL__N_18offset_tEEE10hipError_tPvRmT1_PNSt15iterator_traitsIS12_E10value_typeET2_T3_PNS13_IS18_E10value_typeET4_jRbjT5_S1E_jjP12ihipStream_tbEUljE_ZNSN_ISO_Lb1ESQ_SR_ST_SU_SY_EESZ_S10_S11_S12_S16_S17_S18_S1B_S1C_jS1D_jS1E_S1E_jjS1G_bEUljE0_EEESZ_S10_S11_S18_S1C_S1E_T6_T7_T9_mT8_S1G_bDpT10_ENKUlT_T0_E_clISt17integral_constantIbLb0EES1T_IbLb1EEEEDaS1P_S1Q_EUlS1P_E_NS1_11comp_targetILNS1_3genE2ELNS1_11target_archE906ELNS1_3gpuE6ELNS1_3repE0EEENS1_30default_config_static_selectorELNS0_4arch9wavefront6targetE0EEEvS12_,comdat
.Lfunc_end1289:
	.size	_ZN7rocprim17ROCPRIM_400000_NS6detail17trampoline_kernelINS0_13select_configILj256ELj13ELNS0_17block_load_methodE3ELS4_3ELS4_3ELNS0_20block_scan_algorithmE0ELj4294967295EEENS1_25partition_config_selectorILNS1_17partition_subalgoE4EjNS0_10empty_typeEbEEZZNS1_14partition_implILS8_4ELb0ES6_15HIP_vector_typeIjLj2EENS0_17counting_iteratorIjlEEPS9_SG_NS0_5tupleIJPjSI_NS0_16reverse_iteratorISI_EEEEENSH_IJSG_SG_SG_EEES9_SI_JZNS1_25segmented_radix_sort_implINS0_14default_configELb1EPKfPfPKlPlN2at6native12_GLOBAL__N_18offset_tEEE10hipError_tPvRmT1_PNSt15iterator_traitsIS12_E10value_typeET2_T3_PNS13_IS18_E10value_typeET4_jRbjT5_S1E_jjP12ihipStream_tbEUljE_ZNSN_ISO_Lb1ESQ_SR_ST_SU_SY_EESZ_S10_S11_S12_S16_S17_S18_S1B_S1C_jS1D_jS1E_S1E_jjS1G_bEUljE0_EEESZ_S10_S11_S18_S1C_S1E_T6_T7_T9_mT8_S1G_bDpT10_ENKUlT_T0_E_clISt17integral_constantIbLb0EES1T_IbLb1EEEEDaS1P_S1Q_EUlS1P_E_NS1_11comp_targetILNS1_3genE2ELNS1_11target_archE906ELNS1_3gpuE6ELNS1_3repE0EEENS1_30default_config_static_selectorELNS0_4arch9wavefront6targetE0EEEvS12_, .Lfunc_end1289-_ZN7rocprim17ROCPRIM_400000_NS6detail17trampoline_kernelINS0_13select_configILj256ELj13ELNS0_17block_load_methodE3ELS4_3ELS4_3ELNS0_20block_scan_algorithmE0ELj4294967295EEENS1_25partition_config_selectorILNS1_17partition_subalgoE4EjNS0_10empty_typeEbEEZZNS1_14partition_implILS8_4ELb0ES6_15HIP_vector_typeIjLj2EENS0_17counting_iteratorIjlEEPS9_SG_NS0_5tupleIJPjSI_NS0_16reverse_iteratorISI_EEEEENSH_IJSG_SG_SG_EEES9_SI_JZNS1_25segmented_radix_sort_implINS0_14default_configELb1EPKfPfPKlPlN2at6native12_GLOBAL__N_18offset_tEEE10hipError_tPvRmT1_PNSt15iterator_traitsIS12_E10value_typeET2_T3_PNS13_IS18_E10value_typeET4_jRbjT5_S1E_jjP12ihipStream_tbEUljE_ZNSN_ISO_Lb1ESQ_SR_ST_SU_SY_EESZ_S10_S11_S12_S16_S17_S18_S1B_S1C_jS1D_jS1E_S1E_jjS1G_bEUljE0_EEESZ_S10_S11_S18_S1C_S1E_T6_T7_T9_mT8_S1G_bDpT10_ENKUlT_T0_E_clISt17integral_constantIbLb0EES1T_IbLb1EEEEDaS1P_S1Q_EUlS1P_E_NS1_11comp_targetILNS1_3genE2ELNS1_11target_archE906ELNS1_3gpuE6ELNS1_3repE0EEENS1_30default_config_static_selectorELNS0_4arch9wavefront6targetE0EEEvS12_
                                        ; -- End function
	.section	.AMDGPU.csdata,"",@progbits
; Kernel info:
; codeLenInByte = 0
; NumSgprs: 0
; NumVgprs: 0
; ScratchSize: 0
; MemoryBound: 0
; FloatMode: 240
; IeeeMode: 1
; LDSByteSize: 0 bytes/workgroup (compile time only)
; SGPRBlocks: 0
; VGPRBlocks: 0
; NumSGPRsForWavesPerEU: 1
; NumVGPRsForWavesPerEU: 1
; Occupancy: 16
; WaveLimiterHint : 0
; COMPUTE_PGM_RSRC2:SCRATCH_EN: 0
; COMPUTE_PGM_RSRC2:USER_SGPR: 15
; COMPUTE_PGM_RSRC2:TRAP_HANDLER: 0
; COMPUTE_PGM_RSRC2:TGID_X_EN: 1
; COMPUTE_PGM_RSRC2:TGID_Y_EN: 0
; COMPUTE_PGM_RSRC2:TGID_Z_EN: 0
; COMPUTE_PGM_RSRC2:TIDIG_COMP_CNT: 0
	.section	.text._ZN7rocprim17ROCPRIM_400000_NS6detail17trampoline_kernelINS0_13select_configILj256ELj13ELNS0_17block_load_methodE3ELS4_3ELS4_3ELNS0_20block_scan_algorithmE0ELj4294967295EEENS1_25partition_config_selectorILNS1_17partition_subalgoE4EjNS0_10empty_typeEbEEZZNS1_14partition_implILS8_4ELb0ES6_15HIP_vector_typeIjLj2EENS0_17counting_iteratorIjlEEPS9_SG_NS0_5tupleIJPjSI_NS0_16reverse_iteratorISI_EEEEENSH_IJSG_SG_SG_EEES9_SI_JZNS1_25segmented_radix_sort_implINS0_14default_configELb1EPKfPfPKlPlN2at6native12_GLOBAL__N_18offset_tEEE10hipError_tPvRmT1_PNSt15iterator_traitsIS12_E10value_typeET2_T3_PNS13_IS18_E10value_typeET4_jRbjT5_S1E_jjP12ihipStream_tbEUljE_ZNSN_ISO_Lb1ESQ_SR_ST_SU_SY_EESZ_S10_S11_S12_S16_S17_S18_S1B_S1C_jS1D_jS1E_S1E_jjS1G_bEUljE0_EEESZ_S10_S11_S18_S1C_S1E_T6_T7_T9_mT8_S1G_bDpT10_ENKUlT_T0_E_clISt17integral_constantIbLb0EES1T_IbLb1EEEEDaS1P_S1Q_EUlS1P_E_NS1_11comp_targetILNS1_3genE10ELNS1_11target_archE1200ELNS1_3gpuE4ELNS1_3repE0EEENS1_30default_config_static_selectorELNS0_4arch9wavefront6targetE0EEEvS12_,"axG",@progbits,_ZN7rocprim17ROCPRIM_400000_NS6detail17trampoline_kernelINS0_13select_configILj256ELj13ELNS0_17block_load_methodE3ELS4_3ELS4_3ELNS0_20block_scan_algorithmE0ELj4294967295EEENS1_25partition_config_selectorILNS1_17partition_subalgoE4EjNS0_10empty_typeEbEEZZNS1_14partition_implILS8_4ELb0ES6_15HIP_vector_typeIjLj2EENS0_17counting_iteratorIjlEEPS9_SG_NS0_5tupleIJPjSI_NS0_16reverse_iteratorISI_EEEEENSH_IJSG_SG_SG_EEES9_SI_JZNS1_25segmented_radix_sort_implINS0_14default_configELb1EPKfPfPKlPlN2at6native12_GLOBAL__N_18offset_tEEE10hipError_tPvRmT1_PNSt15iterator_traitsIS12_E10value_typeET2_T3_PNS13_IS18_E10value_typeET4_jRbjT5_S1E_jjP12ihipStream_tbEUljE_ZNSN_ISO_Lb1ESQ_SR_ST_SU_SY_EESZ_S10_S11_S12_S16_S17_S18_S1B_S1C_jS1D_jS1E_S1E_jjS1G_bEUljE0_EEESZ_S10_S11_S18_S1C_S1E_T6_T7_T9_mT8_S1G_bDpT10_ENKUlT_T0_E_clISt17integral_constantIbLb0EES1T_IbLb1EEEEDaS1P_S1Q_EUlS1P_E_NS1_11comp_targetILNS1_3genE10ELNS1_11target_archE1200ELNS1_3gpuE4ELNS1_3repE0EEENS1_30default_config_static_selectorELNS0_4arch9wavefront6targetE0EEEvS12_,comdat
	.globl	_ZN7rocprim17ROCPRIM_400000_NS6detail17trampoline_kernelINS0_13select_configILj256ELj13ELNS0_17block_load_methodE3ELS4_3ELS4_3ELNS0_20block_scan_algorithmE0ELj4294967295EEENS1_25partition_config_selectorILNS1_17partition_subalgoE4EjNS0_10empty_typeEbEEZZNS1_14partition_implILS8_4ELb0ES6_15HIP_vector_typeIjLj2EENS0_17counting_iteratorIjlEEPS9_SG_NS0_5tupleIJPjSI_NS0_16reverse_iteratorISI_EEEEENSH_IJSG_SG_SG_EEES9_SI_JZNS1_25segmented_radix_sort_implINS0_14default_configELb1EPKfPfPKlPlN2at6native12_GLOBAL__N_18offset_tEEE10hipError_tPvRmT1_PNSt15iterator_traitsIS12_E10value_typeET2_T3_PNS13_IS18_E10value_typeET4_jRbjT5_S1E_jjP12ihipStream_tbEUljE_ZNSN_ISO_Lb1ESQ_SR_ST_SU_SY_EESZ_S10_S11_S12_S16_S17_S18_S1B_S1C_jS1D_jS1E_S1E_jjS1G_bEUljE0_EEESZ_S10_S11_S18_S1C_S1E_T6_T7_T9_mT8_S1G_bDpT10_ENKUlT_T0_E_clISt17integral_constantIbLb0EES1T_IbLb1EEEEDaS1P_S1Q_EUlS1P_E_NS1_11comp_targetILNS1_3genE10ELNS1_11target_archE1200ELNS1_3gpuE4ELNS1_3repE0EEENS1_30default_config_static_selectorELNS0_4arch9wavefront6targetE0EEEvS12_ ; -- Begin function _ZN7rocprim17ROCPRIM_400000_NS6detail17trampoline_kernelINS0_13select_configILj256ELj13ELNS0_17block_load_methodE3ELS4_3ELS4_3ELNS0_20block_scan_algorithmE0ELj4294967295EEENS1_25partition_config_selectorILNS1_17partition_subalgoE4EjNS0_10empty_typeEbEEZZNS1_14partition_implILS8_4ELb0ES6_15HIP_vector_typeIjLj2EENS0_17counting_iteratorIjlEEPS9_SG_NS0_5tupleIJPjSI_NS0_16reverse_iteratorISI_EEEEENSH_IJSG_SG_SG_EEES9_SI_JZNS1_25segmented_radix_sort_implINS0_14default_configELb1EPKfPfPKlPlN2at6native12_GLOBAL__N_18offset_tEEE10hipError_tPvRmT1_PNSt15iterator_traitsIS12_E10value_typeET2_T3_PNS13_IS18_E10value_typeET4_jRbjT5_S1E_jjP12ihipStream_tbEUljE_ZNSN_ISO_Lb1ESQ_SR_ST_SU_SY_EESZ_S10_S11_S12_S16_S17_S18_S1B_S1C_jS1D_jS1E_S1E_jjS1G_bEUljE0_EEESZ_S10_S11_S18_S1C_S1E_T6_T7_T9_mT8_S1G_bDpT10_ENKUlT_T0_E_clISt17integral_constantIbLb0EES1T_IbLb1EEEEDaS1P_S1Q_EUlS1P_E_NS1_11comp_targetILNS1_3genE10ELNS1_11target_archE1200ELNS1_3gpuE4ELNS1_3repE0EEENS1_30default_config_static_selectorELNS0_4arch9wavefront6targetE0EEEvS12_
	.p2align	8
	.type	_ZN7rocprim17ROCPRIM_400000_NS6detail17trampoline_kernelINS0_13select_configILj256ELj13ELNS0_17block_load_methodE3ELS4_3ELS4_3ELNS0_20block_scan_algorithmE0ELj4294967295EEENS1_25partition_config_selectorILNS1_17partition_subalgoE4EjNS0_10empty_typeEbEEZZNS1_14partition_implILS8_4ELb0ES6_15HIP_vector_typeIjLj2EENS0_17counting_iteratorIjlEEPS9_SG_NS0_5tupleIJPjSI_NS0_16reverse_iteratorISI_EEEEENSH_IJSG_SG_SG_EEES9_SI_JZNS1_25segmented_radix_sort_implINS0_14default_configELb1EPKfPfPKlPlN2at6native12_GLOBAL__N_18offset_tEEE10hipError_tPvRmT1_PNSt15iterator_traitsIS12_E10value_typeET2_T3_PNS13_IS18_E10value_typeET4_jRbjT5_S1E_jjP12ihipStream_tbEUljE_ZNSN_ISO_Lb1ESQ_SR_ST_SU_SY_EESZ_S10_S11_S12_S16_S17_S18_S1B_S1C_jS1D_jS1E_S1E_jjS1G_bEUljE0_EEESZ_S10_S11_S18_S1C_S1E_T6_T7_T9_mT8_S1G_bDpT10_ENKUlT_T0_E_clISt17integral_constantIbLb0EES1T_IbLb1EEEEDaS1P_S1Q_EUlS1P_E_NS1_11comp_targetILNS1_3genE10ELNS1_11target_archE1200ELNS1_3gpuE4ELNS1_3repE0EEENS1_30default_config_static_selectorELNS0_4arch9wavefront6targetE0EEEvS12_,@function
_ZN7rocprim17ROCPRIM_400000_NS6detail17trampoline_kernelINS0_13select_configILj256ELj13ELNS0_17block_load_methodE3ELS4_3ELS4_3ELNS0_20block_scan_algorithmE0ELj4294967295EEENS1_25partition_config_selectorILNS1_17partition_subalgoE4EjNS0_10empty_typeEbEEZZNS1_14partition_implILS8_4ELb0ES6_15HIP_vector_typeIjLj2EENS0_17counting_iteratorIjlEEPS9_SG_NS0_5tupleIJPjSI_NS0_16reverse_iteratorISI_EEEEENSH_IJSG_SG_SG_EEES9_SI_JZNS1_25segmented_radix_sort_implINS0_14default_configELb1EPKfPfPKlPlN2at6native12_GLOBAL__N_18offset_tEEE10hipError_tPvRmT1_PNSt15iterator_traitsIS12_E10value_typeET2_T3_PNS13_IS18_E10value_typeET4_jRbjT5_S1E_jjP12ihipStream_tbEUljE_ZNSN_ISO_Lb1ESQ_SR_ST_SU_SY_EESZ_S10_S11_S12_S16_S17_S18_S1B_S1C_jS1D_jS1E_S1E_jjS1G_bEUljE0_EEESZ_S10_S11_S18_S1C_S1E_T6_T7_T9_mT8_S1G_bDpT10_ENKUlT_T0_E_clISt17integral_constantIbLb0EES1T_IbLb1EEEEDaS1P_S1Q_EUlS1P_E_NS1_11comp_targetILNS1_3genE10ELNS1_11target_archE1200ELNS1_3gpuE4ELNS1_3repE0EEENS1_30default_config_static_selectorELNS0_4arch9wavefront6targetE0EEEvS12_: ; @_ZN7rocprim17ROCPRIM_400000_NS6detail17trampoline_kernelINS0_13select_configILj256ELj13ELNS0_17block_load_methodE3ELS4_3ELS4_3ELNS0_20block_scan_algorithmE0ELj4294967295EEENS1_25partition_config_selectorILNS1_17partition_subalgoE4EjNS0_10empty_typeEbEEZZNS1_14partition_implILS8_4ELb0ES6_15HIP_vector_typeIjLj2EENS0_17counting_iteratorIjlEEPS9_SG_NS0_5tupleIJPjSI_NS0_16reverse_iteratorISI_EEEEENSH_IJSG_SG_SG_EEES9_SI_JZNS1_25segmented_radix_sort_implINS0_14default_configELb1EPKfPfPKlPlN2at6native12_GLOBAL__N_18offset_tEEE10hipError_tPvRmT1_PNSt15iterator_traitsIS12_E10value_typeET2_T3_PNS13_IS18_E10value_typeET4_jRbjT5_S1E_jjP12ihipStream_tbEUljE_ZNSN_ISO_Lb1ESQ_SR_ST_SU_SY_EESZ_S10_S11_S12_S16_S17_S18_S1B_S1C_jS1D_jS1E_S1E_jjS1G_bEUljE0_EEESZ_S10_S11_S18_S1C_S1E_T6_T7_T9_mT8_S1G_bDpT10_ENKUlT_T0_E_clISt17integral_constantIbLb0EES1T_IbLb1EEEEDaS1P_S1Q_EUlS1P_E_NS1_11comp_targetILNS1_3genE10ELNS1_11target_archE1200ELNS1_3gpuE4ELNS1_3repE0EEENS1_30default_config_static_selectorELNS0_4arch9wavefront6targetE0EEEvS12_
; %bb.0:
	.section	.rodata,"a",@progbits
	.p2align	6, 0x0
	.amdhsa_kernel _ZN7rocprim17ROCPRIM_400000_NS6detail17trampoline_kernelINS0_13select_configILj256ELj13ELNS0_17block_load_methodE3ELS4_3ELS4_3ELNS0_20block_scan_algorithmE0ELj4294967295EEENS1_25partition_config_selectorILNS1_17partition_subalgoE4EjNS0_10empty_typeEbEEZZNS1_14partition_implILS8_4ELb0ES6_15HIP_vector_typeIjLj2EENS0_17counting_iteratorIjlEEPS9_SG_NS0_5tupleIJPjSI_NS0_16reverse_iteratorISI_EEEEENSH_IJSG_SG_SG_EEES9_SI_JZNS1_25segmented_radix_sort_implINS0_14default_configELb1EPKfPfPKlPlN2at6native12_GLOBAL__N_18offset_tEEE10hipError_tPvRmT1_PNSt15iterator_traitsIS12_E10value_typeET2_T3_PNS13_IS18_E10value_typeET4_jRbjT5_S1E_jjP12ihipStream_tbEUljE_ZNSN_ISO_Lb1ESQ_SR_ST_SU_SY_EESZ_S10_S11_S12_S16_S17_S18_S1B_S1C_jS1D_jS1E_S1E_jjS1G_bEUljE0_EEESZ_S10_S11_S18_S1C_S1E_T6_T7_T9_mT8_S1G_bDpT10_ENKUlT_T0_E_clISt17integral_constantIbLb0EES1T_IbLb1EEEEDaS1P_S1Q_EUlS1P_E_NS1_11comp_targetILNS1_3genE10ELNS1_11target_archE1200ELNS1_3gpuE4ELNS1_3repE0EEENS1_30default_config_static_selectorELNS0_4arch9wavefront6targetE0EEEvS12_
		.amdhsa_group_segment_fixed_size 0
		.amdhsa_private_segment_fixed_size 0
		.amdhsa_kernarg_size 184
		.amdhsa_user_sgpr_count 15
		.amdhsa_user_sgpr_dispatch_ptr 0
		.amdhsa_user_sgpr_queue_ptr 0
		.amdhsa_user_sgpr_kernarg_segment_ptr 1
		.amdhsa_user_sgpr_dispatch_id 0
		.amdhsa_user_sgpr_private_segment_size 0
		.amdhsa_wavefront_size32 1
		.amdhsa_uses_dynamic_stack 0
		.amdhsa_enable_private_segment 0
		.amdhsa_system_sgpr_workgroup_id_x 1
		.amdhsa_system_sgpr_workgroup_id_y 0
		.amdhsa_system_sgpr_workgroup_id_z 0
		.amdhsa_system_sgpr_workgroup_info 0
		.amdhsa_system_vgpr_workitem_id 0
		.amdhsa_next_free_vgpr 1
		.amdhsa_next_free_sgpr 1
		.amdhsa_reserve_vcc 0
		.amdhsa_float_round_mode_32 0
		.amdhsa_float_round_mode_16_64 0
		.amdhsa_float_denorm_mode_32 3
		.amdhsa_float_denorm_mode_16_64 3
		.amdhsa_dx10_clamp 1
		.amdhsa_ieee_mode 1
		.amdhsa_fp16_overflow 0
		.amdhsa_workgroup_processor_mode 1
		.amdhsa_memory_ordered 1
		.amdhsa_forward_progress 0
		.amdhsa_shared_vgpr_count 0
		.amdhsa_exception_fp_ieee_invalid_op 0
		.amdhsa_exception_fp_denorm_src 0
		.amdhsa_exception_fp_ieee_div_zero 0
		.amdhsa_exception_fp_ieee_overflow 0
		.amdhsa_exception_fp_ieee_underflow 0
		.amdhsa_exception_fp_ieee_inexact 0
		.amdhsa_exception_int_div_zero 0
	.end_amdhsa_kernel
	.section	.text._ZN7rocprim17ROCPRIM_400000_NS6detail17trampoline_kernelINS0_13select_configILj256ELj13ELNS0_17block_load_methodE3ELS4_3ELS4_3ELNS0_20block_scan_algorithmE0ELj4294967295EEENS1_25partition_config_selectorILNS1_17partition_subalgoE4EjNS0_10empty_typeEbEEZZNS1_14partition_implILS8_4ELb0ES6_15HIP_vector_typeIjLj2EENS0_17counting_iteratorIjlEEPS9_SG_NS0_5tupleIJPjSI_NS0_16reverse_iteratorISI_EEEEENSH_IJSG_SG_SG_EEES9_SI_JZNS1_25segmented_radix_sort_implINS0_14default_configELb1EPKfPfPKlPlN2at6native12_GLOBAL__N_18offset_tEEE10hipError_tPvRmT1_PNSt15iterator_traitsIS12_E10value_typeET2_T3_PNS13_IS18_E10value_typeET4_jRbjT5_S1E_jjP12ihipStream_tbEUljE_ZNSN_ISO_Lb1ESQ_SR_ST_SU_SY_EESZ_S10_S11_S12_S16_S17_S18_S1B_S1C_jS1D_jS1E_S1E_jjS1G_bEUljE0_EEESZ_S10_S11_S18_S1C_S1E_T6_T7_T9_mT8_S1G_bDpT10_ENKUlT_T0_E_clISt17integral_constantIbLb0EES1T_IbLb1EEEEDaS1P_S1Q_EUlS1P_E_NS1_11comp_targetILNS1_3genE10ELNS1_11target_archE1200ELNS1_3gpuE4ELNS1_3repE0EEENS1_30default_config_static_selectorELNS0_4arch9wavefront6targetE0EEEvS12_,"axG",@progbits,_ZN7rocprim17ROCPRIM_400000_NS6detail17trampoline_kernelINS0_13select_configILj256ELj13ELNS0_17block_load_methodE3ELS4_3ELS4_3ELNS0_20block_scan_algorithmE0ELj4294967295EEENS1_25partition_config_selectorILNS1_17partition_subalgoE4EjNS0_10empty_typeEbEEZZNS1_14partition_implILS8_4ELb0ES6_15HIP_vector_typeIjLj2EENS0_17counting_iteratorIjlEEPS9_SG_NS0_5tupleIJPjSI_NS0_16reverse_iteratorISI_EEEEENSH_IJSG_SG_SG_EEES9_SI_JZNS1_25segmented_radix_sort_implINS0_14default_configELb1EPKfPfPKlPlN2at6native12_GLOBAL__N_18offset_tEEE10hipError_tPvRmT1_PNSt15iterator_traitsIS12_E10value_typeET2_T3_PNS13_IS18_E10value_typeET4_jRbjT5_S1E_jjP12ihipStream_tbEUljE_ZNSN_ISO_Lb1ESQ_SR_ST_SU_SY_EESZ_S10_S11_S12_S16_S17_S18_S1B_S1C_jS1D_jS1E_S1E_jjS1G_bEUljE0_EEESZ_S10_S11_S18_S1C_S1E_T6_T7_T9_mT8_S1G_bDpT10_ENKUlT_T0_E_clISt17integral_constantIbLb0EES1T_IbLb1EEEEDaS1P_S1Q_EUlS1P_E_NS1_11comp_targetILNS1_3genE10ELNS1_11target_archE1200ELNS1_3gpuE4ELNS1_3repE0EEENS1_30default_config_static_selectorELNS0_4arch9wavefront6targetE0EEEvS12_,comdat
.Lfunc_end1290:
	.size	_ZN7rocprim17ROCPRIM_400000_NS6detail17trampoline_kernelINS0_13select_configILj256ELj13ELNS0_17block_load_methodE3ELS4_3ELS4_3ELNS0_20block_scan_algorithmE0ELj4294967295EEENS1_25partition_config_selectorILNS1_17partition_subalgoE4EjNS0_10empty_typeEbEEZZNS1_14partition_implILS8_4ELb0ES6_15HIP_vector_typeIjLj2EENS0_17counting_iteratorIjlEEPS9_SG_NS0_5tupleIJPjSI_NS0_16reverse_iteratorISI_EEEEENSH_IJSG_SG_SG_EEES9_SI_JZNS1_25segmented_radix_sort_implINS0_14default_configELb1EPKfPfPKlPlN2at6native12_GLOBAL__N_18offset_tEEE10hipError_tPvRmT1_PNSt15iterator_traitsIS12_E10value_typeET2_T3_PNS13_IS18_E10value_typeET4_jRbjT5_S1E_jjP12ihipStream_tbEUljE_ZNSN_ISO_Lb1ESQ_SR_ST_SU_SY_EESZ_S10_S11_S12_S16_S17_S18_S1B_S1C_jS1D_jS1E_S1E_jjS1G_bEUljE0_EEESZ_S10_S11_S18_S1C_S1E_T6_T7_T9_mT8_S1G_bDpT10_ENKUlT_T0_E_clISt17integral_constantIbLb0EES1T_IbLb1EEEEDaS1P_S1Q_EUlS1P_E_NS1_11comp_targetILNS1_3genE10ELNS1_11target_archE1200ELNS1_3gpuE4ELNS1_3repE0EEENS1_30default_config_static_selectorELNS0_4arch9wavefront6targetE0EEEvS12_, .Lfunc_end1290-_ZN7rocprim17ROCPRIM_400000_NS6detail17trampoline_kernelINS0_13select_configILj256ELj13ELNS0_17block_load_methodE3ELS4_3ELS4_3ELNS0_20block_scan_algorithmE0ELj4294967295EEENS1_25partition_config_selectorILNS1_17partition_subalgoE4EjNS0_10empty_typeEbEEZZNS1_14partition_implILS8_4ELb0ES6_15HIP_vector_typeIjLj2EENS0_17counting_iteratorIjlEEPS9_SG_NS0_5tupleIJPjSI_NS0_16reverse_iteratorISI_EEEEENSH_IJSG_SG_SG_EEES9_SI_JZNS1_25segmented_radix_sort_implINS0_14default_configELb1EPKfPfPKlPlN2at6native12_GLOBAL__N_18offset_tEEE10hipError_tPvRmT1_PNSt15iterator_traitsIS12_E10value_typeET2_T3_PNS13_IS18_E10value_typeET4_jRbjT5_S1E_jjP12ihipStream_tbEUljE_ZNSN_ISO_Lb1ESQ_SR_ST_SU_SY_EESZ_S10_S11_S12_S16_S17_S18_S1B_S1C_jS1D_jS1E_S1E_jjS1G_bEUljE0_EEESZ_S10_S11_S18_S1C_S1E_T6_T7_T9_mT8_S1G_bDpT10_ENKUlT_T0_E_clISt17integral_constantIbLb0EES1T_IbLb1EEEEDaS1P_S1Q_EUlS1P_E_NS1_11comp_targetILNS1_3genE10ELNS1_11target_archE1200ELNS1_3gpuE4ELNS1_3repE0EEENS1_30default_config_static_selectorELNS0_4arch9wavefront6targetE0EEEvS12_
                                        ; -- End function
	.section	.AMDGPU.csdata,"",@progbits
; Kernel info:
; codeLenInByte = 0
; NumSgprs: 0
; NumVgprs: 0
; ScratchSize: 0
; MemoryBound: 0
; FloatMode: 240
; IeeeMode: 1
; LDSByteSize: 0 bytes/workgroup (compile time only)
; SGPRBlocks: 0
; VGPRBlocks: 0
; NumSGPRsForWavesPerEU: 1
; NumVGPRsForWavesPerEU: 1
; Occupancy: 16
; WaveLimiterHint : 0
; COMPUTE_PGM_RSRC2:SCRATCH_EN: 0
; COMPUTE_PGM_RSRC2:USER_SGPR: 15
; COMPUTE_PGM_RSRC2:TRAP_HANDLER: 0
; COMPUTE_PGM_RSRC2:TGID_X_EN: 1
; COMPUTE_PGM_RSRC2:TGID_Y_EN: 0
; COMPUTE_PGM_RSRC2:TGID_Z_EN: 0
; COMPUTE_PGM_RSRC2:TIDIG_COMP_CNT: 0
	.section	.text._ZN7rocprim17ROCPRIM_400000_NS6detail17trampoline_kernelINS0_13select_configILj256ELj13ELNS0_17block_load_methodE3ELS4_3ELS4_3ELNS0_20block_scan_algorithmE0ELj4294967295EEENS1_25partition_config_selectorILNS1_17partition_subalgoE4EjNS0_10empty_typeEbEEZZNS1_14partition_implILS8_4ELb0ES6_15HIP_vector_typeIjLj2EENS0_17counting_iteratorIjlEEPS9_SG_NS0_5tupleIJPjSI_NS0_16reverse_iteratorISI_EEEEENSH_IJSG_SG_SG_EEES9_SI_JZNS1_25segmented_radix_sort_implINS0_14default_configELb1EPKfPfPKlPlN2at6native12_GLOBAL__N_18offset_tEEE10hipError_tPvRmT1_PNSt15iterator_traitsIS12_E10value_typeET2_T3_PNS13_IS18_E10value_typeET4_jRbjT5_S1E_jjP12ihipStream_tbEUljE_ZNSN_ISO_Lb1ESQ_SR_ST_SU_SY_EESZ_S10_S11_S12_S16_S17_S18_S1B_S1C_jS1D_jS1E_S1E_jjS1G_bEUljE0_EEESZ_S10_S11_S18_S1C_S1E_T6_T7_T9_mT8_S1G_bDpT10_ENKUlT_T0_E_clISt17integral_constantIbLb0EES1T_IbLb1EEEEDaS1P_S1Q_EUlS1P_E_NS1_11comp_targetILNS1_3genE9ELNS1_11target_archE1100ELNS1_3gpuE3ELNS1_3repE0EEENS1_30default_config_static_selectorELNS0_4arch9wavefront6targetE0EEEvS12_,"axG",@progbits,_ZN7rocprim17ROCPRIM_400000_NS6detail17trampoline_kernelINS0_13select_configILj256ELj13ELNS0_17block_load_methodE3ELS4_3ELS4_3ELNS0_20block_scan_algorithmE0ELj4294967295EEENS1_25partition_config_selectorILNS1_17partition_subalgoE4EjNS0_10empty_typeEbEEZZNS1_14partition_implILS8_4ELb0ES6_15HIP_vector_typeIjLj2EENS0_17counting_iteratorIjlEEPS9_SG_NS0_5tupleIJPjSI_NS0_16reverse_iteratorISI_EEEEENSH_IJSG_SG_SG_EEES9_SI_JZNS1_25segmented_radix_sort_implINS0_14default_configELb1EPKfPfPKlPlN2at6native12_GLOBAL__N_18offset_tEEE10hipError_tPvRmT1_PNSt15iterator_traitsIS12_E10value_typeET2_T3_PNS13_IS18_E10value_typeET4_jRbjT5_S1E_jjP12ihipStream_tbEUljE_ZNSN_ISO_Lb1ESQ_SR_ST_SU_SY_EESZ_S10_S11_S12_S16_S17_S18_S1B_S1C_jS1D_jS1E_S1E_jjS1G_bEUljE0_EEESZ_S10_S11_S18_S1C_S1E_T6_T7_T9_mT8_S1G_bDpT10_ENKUlT_T0_E_clISt17integral_constantIbLb0EES1T_IbLb1EEEEDaS1P_S1Q_EUlS1P_E_NS1_11comp_targetILNS1_3genE9ELNS1_11target_archE1100ELNS1_3gpuE3ELNS1_3repE0EEENS1_30default_config_static_selectorELNS0_4arch9wavefront6targetE0EEEvS12_,comdat
	.globl	_ZN7rocprim17ROCPRIM_400000_NS6detail17trampoline_kernelINS0_13select_configILj256ELj13ELNS0_17block_load_methodE3ELS4_3ELS4_3ELNS0_20block_scan_algorithmE0ELj4294967295EEENS1_25partition_config_selectorILNS1_17partition_subalgoE4EjNS0_10empty_typeEbEEZZNS1_14partition_implILS8_4ELb0ES6_15HIP_vector_typeIjLj2EENS0_17counting_iteratorIjlEEPS9_SG_NS0_5tupleIJPjSI_NS0_16reverse_iteratorISI_EEEEENSH_IJSG_SG_SG_EEES9_SI_JZNS1_25segmented_radix_sort_implINS0_14default_configELb1EPKfPfPKlPlN2at6native12_GLOBAL__N_18offset_tEEE10hipError_tPvRmT1_PNSt15iterator_traitsIS12_E10value_typeET2_T3_PNS13_IS18_E10value_typeET4_jRbjT5_S1E_jjP12ihipStream_tbEUljE_ZNSN_ISO_Lb1ESQ_SR_ST_SU_SY_EESZ_S10_S11_S12_S16_S17_S18_S1B_S1C_jS1D_jS1E_S1E_jjS1G_bEUljE0_EEESZ_S10_S11_S18_S1C_S1E_T6_T7_T9_mT8_S1G_bDpT10_ENKUlT_T0_E_clISt17integral_constantIbLb0EES1T_IbLb1EEEEDaS1P_S1Q_EUlS1P_E_NS1_11comp_targetILNS1_3genE9ELNS1_11target_archE1100ELNS1_3gpuE3ELNS1_3repE0EEENS1_30default_config_static_selectorELNS0_4arch9wavefront6targetE0EEEvS12_ ; -- Begin function _ZN7rocprim17ROCPRIM_400000_NS6detail17trampoline_kernelINS0_13select_configILj256ELj13ELNS0_17block_load_methodE3ELS4_3ELS4_3ELNS0_20block_scan_algorithmE0ELj4294967295EEENS1_25partition_config_selectorILNS1_17partition_subalgoE4EjNS0_10empty_typeEbEEZZNS1_14partition_implILS8_4ELb0ES6_15HIP_vector_typeIjLj2EENS0_17counting_iteratorIjlEEPS9_SG_NS0_5tupleIJPjSI_NS0_16reverse_iteratorISI_EEEEENSH_IJSG_SG_SG_EEES9_SI_JZNS1_25segmented_radix_sort_implINS0_14default_configELb1EPKfPfPKlPlN2at6native12_GLOBAL__N_18offset_tEEE10hipError_tPvRmT1_PNSt15iterator_traitsIS12_E10value_typeET2_T3_PNS13_IS18_E10value_typeET4_jRbjT5_S1E_jjP12ihipStream_tbEUljE_ZNSN_ISO_Lb1ESQ_SR_ST_SU_SY_EESZ_S10_S11_S12_S16_S17_S18_S1B_S1C_jS1D_jS1E_S1E_jjS1G_bEUljE0_EEESZ_S10_S11_S18_S1C_S1E_T6_T7_T9_mT8_S1G_bDpT10_ENKUlT_T0_E_clISt17integral_constantIbLb0EES1T_IbLb1EEEEDaS1P_S1Q_EUlS1P_E_NS1_11comp_targetILNS1_3genE9ELNS1_11target_archE1100ELNS1_3gpuE3ELNS1_3repE0EEENS1_30default_config_static_selectorELNS0_4arch9wavefront6targetE0EEEvS12_
	.p2align	8
	.type	_ZN7rocprim17ROCPRIM_400000_NS6detail17trampoline_kernelINS0_13select_configILj256ELj13ELNS0_17block_load_methodE3ELS4_3ELS4_3ELNS0_20block_scan_algorithmE0ELj4294967295EEENS1_25partition_config_selectorILNS1_17partition_subalgoE4EjNS0_10empty_typeEbEEZZNS1_14partition_implILS8_4ELb0ES6_15HIP_vector_typeIjLj2EENS0_17counting_iteratorIjlEEPS9_SG_NS0_5tupleIJPjSI_NS0_16reverse_iteratorISI_EEEEENSH_IJSG_SG_SG_EEES9_SI_JZNS1_25segmented_radix_sort_implINS0_14default_configELb1EPKfPfPKlPlN2at6native12_GLOBAL__N_18offset_tEEE10hipError_tPvRmT1_PNSt15iterator_traitsIS12_E10value_typeET2_T3_PNS13_IS18_E10value_typeET4_jRbjT5_S1E_jjP12ihipStream_tbEUljE_ZNSN_ISO_Lb1ESQ_SR_ST_SU_SY_EESZ_S10_S11_S12_S16_S17_S18_S1B_S1C_jS1D_jS1E_S1E_jjS1G_bEUljE0_EEESZ_S10_S11_S18_S1C_S1E_T6_T7_T9_mT8_S1G_bDpT10_ENKUlT_T0_E_clISt17integral_constantIbLb0EES1T_IbLb1EEEEDaS1P_S1Q_EUlS1P_E_NS1_11comp_targetILNS1_3genE9ELNS1_11target_archE1100ELNS1_3gpuE3ELNS1_3repE0EEENS1_30default_config_static_selectorELNS0_4arch9wavefront6targetE0EEEvS12_,@function
_ZN7rocprim17ROCPRIM_400000_NS6detail17trampoline_kernelINS0_13select_configILj256ELj13ELNS0_17block_load_methodE3ELS4_3ELS4_3ELNS0_20block_scan_algorithmE0ELj4294967295EEENS1_25partition_config_selectorILNS1_17partition_subalgoE4EjNS0_10empty_typeEbEEZZNS1_14partition_implILS8_4ELb0ES6_15HIP_vector_typeIjLj2EENS0_17counting_iteratorIjlEEPS9_SG_NS0_5tupleIJPjSI_NS0_16reverse_iteratorISI_EEEEENSH_IJSG_SG_SG_EEES9_SI_JZNS1_25segmented_radix_sort_implINS0_14default_configELb1EPKfPfPKlPlN2at6native12_GLOBAL__N_18offset_tEEE10hipError_tPvRmT1_PNSt15iterator_traitsIS12_E10value_typeET2_T3_PNS13_IS18_E10value_typeET4_jRbjT5_S1E_jjP12ihipStream_tbEUljE_ZNSN_ISO_Lb1ESQ_SR_ST_SU_SY_EESZ_S10_S11_S12_S16_S17_S18_S1B_S1C_jS1D_jS1E_S1E_jjS1G_bEUljE0_EEESZ_S10_S11_S18_S1C_S1E_T6_T7_T9_mT8_S1G_bDpT10_ENKUlT_T0_E_clISt17integral_constantIbLb0EES1T_IbLb1EEEEDaS1P_S1Q_EUlS1P_E_NS1_11comp_targetILNS1_3genE9ELNS1_11target_archE1100ELNS1_3gpuE3ELNS1_3repE0EEENS1_30default_config_static_selectorELNS0_4arch9wavefront6targetE0EEEvS12_: ; @_ZN7rocprim17ROCPRIM_400000_NS6detail17trampoline_kernelINS0_13select_configILj256ELj13ELNS0_17block_load_methodE3ELS4_3ELS4_3ELNS0_20block_scan_algorithmE0ELj4294967295EEENS1_25partition_config_selectorILNS1_17partition_subalgoE4EjNS0_10empty_typeEbEEZZNS1_14partition_implILS8_4ELb0ES6_15HIP_vector_typeIjLj2EENS0_17counting_iteratorIjlEEPS9_SG_NS0_5tupleIJPjSI_NS0_16reverse_iteratorISI_EEEEENSH_IJSG_SG_SG_EEES9_SI_JZNS1_25segmented_radix_sort_implINS0_14default_configELb1EPKfPfPKlPlN2at6native12_GLOBAL__N_18offset_tEEE10hipError_tPvRmT1_PNSt15iterator_traitsIS12_E10value_typeET2_T3_PNS13_IS18_E10value_typeET4_jRbjT5_S1E_jjP12ihipStream_tbEUljE_ZNSN_ISO_Lb1ESQ_SR_ST_SU_SY_EESZ_S10_S11_S12_S16_S17_S18_S1B_S1C_jS1D_jS1E_S1E_jjS1G_bEUljE0_EEESZ_S10_S11_S18_S1C_S1E_T6_T7_T9_mT8_S1G_bDpT10_ENKUlT_T0_E_clISt17integral_constantIbLb0EES1T_IbLb1EEEEDaS1P_S1Q_EUlS1P_E_NS1_11comp_targetILNS1_3genE9ELNS1_11target_archE1100ELNS1_3gpuE3ELNS1_3repE0EEENS1_30default_config_static_selectorELNS0_4arch9wavefront6targetE0EEEvS12_
; %bb.0:
	s_clause 0x7
	s_load_b64 s[34:35], s[0:1], 0x10
	s_load_b128 s[28:31], s[0:1], 0x28
	s_load_b64 s[14:15], s[0:1], 0x38
	s_load_b128 s[24:27], s[0:1], 0x58
	s_load_b64 s[4:5], s[0:1], 0x68
	s_load_b64 s[36:37], s[0:1], 0x78
	;; [unrolled: 1-line block ×3, first 2 shown]
	s_load_b256 s[16:23], s[0:1], 0x90
	v_cmp_eq_u32_e64 s2, 0, v0
	s_delay_alu instid0(VALU_DEP_1)
	s_and_saveexec_b32 s3, s2
	s_cbranch_execz .LBB1291_4
; %bb.1:
	s_mov_b32 s7, exec_lo
	s_mov_b32 s6, exec_lo
	v_mbcnt_lo_u32_b32 v1, s7, 0
                                        ; implicit-def: $vgpr2
	s_delay_alu instid0(VALU_DEP_1)
	v_cmpx_eq_u32_e32 0, v1
	s_cbranch_execz .LBB1291_3
; %bb.2:
	s_load_b64 s[8:9], s[0:1], 0x88
	s_bcnt1_i32_b32 s7, s7
	s_delay_alu instid0(SALU_CYCLE_1)
	v_dual_mov_b32 v2, 0 :: v_dual_mov_b32 v3, s7
	s_waitcnt lgkmcnt(0)
	global_atomic_add_u32 v2, v2, v3, s[8:9] glc
.LBB1291_3:
	s_or_b32 exec_lo, exec_lo, s6
	s_waitcnt vmcnt(0)
	v_readfirstlane_b32 s6, v2
	s_delay_alu instid0(VALU_DEP_1)
	v_dual_mov_b32 v2, 0 :: v_dual_add_nc_u32 v1, s6, v1
	ds_store_b32 v2, v1
.LBB1291_4:
	s_or_b32 exec_lo, exec_lo, s3
	v_mov_b32_e32 v1, 0
	s_clause 0x1
	s_load_b32 s3, s[0:1], 0x8
	s_load_b32 s0, s[0:1], 0x80
	s_waitcnt lgkmcnt(0)
	s_barrier
	buffer_gl0_inv
	ds_load_b32 v5, v1
	s_waitcnt lgkmcnt(0)
	s_barrier
	buffer_gl0_inv
	global_load_b128 v[1:4], v1, s[26:27]
	s_add_i32 s3, s3, s34
	s_mul_i32 s1, s0, 0xd00
	s_add_i32 s0, s0, -1
	s_add_u32 s6, s34, s1
	s_addc_u32 s7, s35, 0
	v_mul_lo_u32 v30, 0xd00, v5
	v_readfirstlane_b32 s26, v5
	v_cmp_lt_u64_e64 s5, s[6:7], s[4:5]
	v_cmp_ne_u32_e32 vcc_lo, s0, v5
	s_delay_alu instid0(VALU_DEP_3) | instskip(SKIP_1) | instid1(VALU_DEP_4)
	s_cmp_eq_u32 s26, s0
	s_cselect_b32 s13, -1, 0
	v_add3_u32 v5, v30, s3, v0
	s_delay_alu instid0(VALU_DEP_3) | instskip(SKIP_2) | instid1(VALU_DEP_1)
	s_or_b32 s0, s5, vcc_lo
	s_mov_b32 s3, -1
	s_and_b32 vcc_lo, exec_lo, s0
	v_add_nc_u32_e32 v6, 0x100, v5
	v_add_nc_u32_e32 v7, 0x200, v5
	;; [unrolled: 1-line block ×12, first 2 shown]
	s_cbranch_vccz .LBB1291_6
; %bb.5:
	v_lshlrev_b32_e32 v18, 2, v0
	s_mov_b32 s3, 0
	ds_store_2addr_stride64_b32 v18, v5, v6 offset1:4
	ds_store_2addr_stride64_b32 v18, v7, v8 offset0:8 offset1:12
	ds_store_2addr_stride64_b32 v18, v9, v10 offset0:16 offset1:20
	;; [unrolled: 1-line block ×5, first 2 shown]
	ds_store_b32 v18, v17 offset:12288
	s_waitcnt vmcnt(0) lgkmcnt(0)
	s_barrier
.LBB1291_6:
	s_and_not1_b32 vcc_lo, exec_lo, s3
	s_add_i32 s1, s1, s34
	s_cbranch_vccnz .LBB1291_8
; %bb.7:
	v_lshlrev_b32_e32 v18, 2, v0
	ds_store_2addr_stride64_b32 v18, v5, v6 offset1:4
	ds_store_2addr_stride64_b32 v18, v7, v8 offset0:8 offset1:12
	ds_store_2addr_stride64_b32 v18, v9, v10 offset0:16 offset1:20
	;; [unrolled: 1-line block ×5, first 2 shown]
	ds_store_b32 v18, v17 offset:12288
	s_waitcnt vmcnt(0) lgkmcnt(0)
	s_barrier
.LBB1291_8:
	v_mul_u32_u24_e32 v33, 13, v0
	s_waitcnt vmcnt(0)
	buffer_gl0_inv
	v_cndmask_b32_e64 v31, 0, 1, s0
	s_sub_i32 s40, s4, s1
	s_and_not1_b32 vcc_lo, exec_lo, s0
	v_lshlrev_b32_e32 v5, 2, v33
	ds_load_2addr_b32 v[20:21], v5 offset1:1
	ds_load_2addr_b32 v[18:19], v5 offset0:2 offset1:3
	ds_load_2addr_b32 v[16:17], v5 offset0:4 offset1:5
	;; [unrolled: 1-line block ×5, first 2 shown]
	ds_load_b32 v32, v5 offset:48
	s_waitcnt lgkmcnt(0)
	s_barrier
	buffer_gl0_inv
	s_cbranch_vccnz .LBB1291_36
; %bb.9:
	v_add_nc_u32_e32 v5, s17, v20
	v_add_nc_u32_e32 v6, s19, v20
	s_mov_b32 s42, 0
	s_mov_b32 s41, 0
	s_mov_b32 s1, exec_lo
	v_mul_lo_u32 v5, v5, s16
	v_mul_lo_u32 v6, v6, s18
	s_delay_alu instid0(VALU_DEP_1) | instskip(NEXT) | instid1(VALU_DEP_1)
	v_sub_nc_u32_e32 v5, v5, v6
	v_cmp_lt_u32_e32 vcc_lo, s20, v5
	v_cmpx_ge_u32_e64 s20, v5
; %bb.10:
	v_add_nc_u32_e32 v5, s22, v20
	v_add_nc_u32_e32 v6, s38, v20
	s_delay_alu instid0(VALU_DEP_2) | instskip(NEXT) | instid1(VALU_DEP_2)
	v_mul_lo_u32 v5, v5, s21
	v_mul_lo_u32 v6, v6, s23
	s_delay_alu instid0(VALU_DEP_1) | instskip(NEXT) | instid1(VALU_DEP_1)
	v_sub_nc_u32_e32 v5, v5, v6
	v_cmp_lt_u32_e64 s0, s39, v5
	s_delay_alu instid0(VALU_DEP_1)
	s_and_b32 s41, s0, exec_lo
; %bb.11:
	s_or_b32 exec_lo, exec_lo, s1
	v_add_nc_u32_e32 v5, s17, v21
	v_add_nc_u32_e32 v6, s19, v21
	s_mov_b32 s3, exec_lo
	s_delay_alu instid0(VALU_DEP_2) | instskip(NEXT) | instid1(VALU_DEP_2)
	v_mul_lo_u32 v5, v5, s16
	v_mul_lo_u32 v6, v6, s18
	s_delay_alu instid0(VALU_DEP_1) | instskip(NEXT) | instid1(VALU_DEP_1)
	v_sub_nc_u32_e32 v5, v5, v6
	v_cmp_lt_u32_e64 s0, s20, v5
	v_cmpx_ge_u32_e64 s20, v5
; %bb.12:
	v_add_nc_u32_e32 v5, s22, v21
	v_add_nc_u32_e32 v6, s38, v21
	s_delay_alu instid0(VALU_DEP_2) | instskip(NEXT) | instid1(VALU_DEP_2)
	v_mul_lo_u32 v5, v5, s21
	v_mul_lo_u32 v6, v6, s23
	s_delay_alu instid0(VALU_DEP_1) | instskip(NEXT) | instid1(VALU_DEP_1)
	v_sub_nc_u32_e32 v5, v5, v6
	v_cmp_lt_u32_e64 s1, s39, v5
	s_delay_alu instid0(VALU_DEP_1)
	s_and_b32 s42, s1, exec_lo
; %bb.13:
	s_or_b32 exec_lo, exec_lo, s3
	v_add_nc_u32_e32 v5, s17, v18
	v_add_nc_u32_e32 v6, s19, v18
	s_mov_b32 s44, 0
	s_mov_b32 s43, 0
	s_mov_b32 s4, exec_lo
	v_mul_lo_u32 v5, v5, s16
	v_mul_lo_u32 v6, v6, s18
	s_delay_alu instid0(VALU_DEP_1) | instskip(NEXT) | instid1(VALU_DEP_1)
	v_sub_nc_u32_e32 v5, v5, v6
	v_cmp_lt_u32_e64 s1, s20, v5
	v_cmpx_ge_u32_e64 s20, v5
; %bb.14:
	v_add_nc_u32_e32 v5, s22, v18
	v_add_nc_u32_e32 v6, s38, v18
	s_delay_alu instid0(VALU_DEP_2) | instskip(NEXT) | instid1(VALU_DEP_2)
	v_mul_lo_u32 v5, v5, s21
	v_mul_lo_u32 v6, v6, s23
	s_delay_alu instid0(VALU_DEP_1) | instskip(NEXT) | instid1(VALU_DEP_1)
	v_sub_nc_u32_e32 v5, v5, v6
	v_cmp_lt_u32_e64 s3, s39, v5
	s_delay_alu instid0(VALU_DEP_1)
	s_and_b32 s43, s3, exec_lo
; %bb.15:
	s_or_b32 exec_lo, exec_lo, s4
	v_add_nc_u32_e32 v5, s17, v19
	v_add_nc_u32_e32 v6, s19, v19
	s_mov_b32 s5, exec_lo
	s_delay_alu instid0(VALU_DEP_2) | instskip(NEXT) | instid1(VALU_DEP_2)
	v_mul_lo_u32 v5, v5, s16
	v_mul_lo_u32 v6, v6, s18
	s_delay_alu instid0(VALU_DEP_1) | instskip(NEXT) | instid1(VALU_DEP_1)
	v_sub_nc_u32_e32 v5, v5, v6
	v_cmp_lt_u32_e64 s3, s20, v5
	v_cmpx_ge_u32_e64 s20, v5
; %bb.16:
	v_add_nc_u32_e32 v5, s22, v19
	v_add_nc_u32_e32 v6, s38, v19
	s_delay_alu instid0(VALU_DEP_2) | instskip(NEXT) | instid1(VALU_DEP_2)
	v_mul_lo_u32 v5, v5, s21
	v_mul_lo_u32 v6, v6, s23
	s_delay_alu instid0(VALU_DEP_1) | instskip(NEXT) | instid1(VALU_DEP_1)
	v_sub_nc_u32_e32 v5, v5, v6
	v_cmp_lt_u32_e64 s4, s39, v5
	s_delay_alu instid0(VALU_DEP_1)
	s_and_b32 s44, s4, exec_lo
; %bb.17:
	s_or_b32 exec_lo, exec_lo, s5
	v_add_nc_u32_e32 v5, s17, v16
	v_add_nc_u32_e32 v6, s19, v16
	s_mov_b32 s46, 0
	s_mov_b32 s45, 0
	s_mov_b32 s6, exec_lo
	v_mul_lo_u32 v5, v5, s16
	v_mul_lo_u32 v6, v6, s18
	s_delay_alu instid0(VALU_DEP_1) | instskip(NEXT) | instid1(VALU_DEP_1)
	v_sub_nc_u32_e32 v5, v5, v6
	v_cmp_lt_u32_e64 s4, s20, v5
	;; [unrolled: 47-line block ×5, first 2 shown]
	v_cmpx_ge_u32_e64 s20, v5
; %bb.30:
	v_add_nc_u32_e32 v5, s22, v10
	v_add_nc_u32_e32 v6, s38, v10
	s_delay_alu instid0(VALU_DEP_2) | instskip(NEXT) | instid1(VALU_DEP_2)
	v_mul_lo_u32 v5, v5, s21
	v_mul_lo_u32 v6, v6, s23
	s_delay_alu instid0(VALU_DEP_1) | instskip(NEXT) | instid1(VALU_DEP_1)
	v_sub_nc_u32_e32 v5, v5, v6
	v_cmp_lt_u32_e64 s11, s39, v5
	s_delay_alu instid0(VALU_DEP_1)
	s_and_b32 s53, s11, exec_lo
; %bb.31:
	s_or_b32 exec_lo, exec_lo, s12
	v_add_nc_u32_e32 v5, s17, v11
	v_add_nc_u32_e32 v6, s19, v11
	s_mov_b32 s27, exec_lo
	s_delay_alu instid0(VALU_DEP_2) | instskip(NEXT) | instid1(VALU_DEP_2)
	v_mul_lo_u32 v5, v5, s16
	v_mul_lo_u32 v6, v6, s18
	s_delay_alu instid0(VALU_DEP_1) | instskip(NEXT) | instid1(VALU_DEP_1)
	v_sub_nc_u32_e32 v5, v5, v6
	v_cmp_lt_u32_e64 s11, s20, v5
	v_cmpx_ge_u32_e64 s20, v5
; %bb.32:
	v_add_nc_u32_e32 v5, s22, v11
	v_add_nc_u32_e32 v6, s38, v11
	s_delay_alu instid0(VALU_DEP_2) | instskip(NEXT) | instid1(VALU_DEP_2)
	v_mul_lo_u32 v5, v5, s21
	v_mul_lo_u32 v6, v6, s23
	s_delay_alu instid0(VALU_DEP_1) | instskip(NEXT) | instid1(VALU_DEP_1)
	v_sub_nc_u32_e32 v5, v5, v6
	v_cmp_lt_u32_e64 s12, s39, v5
	s_delay_alu instid0(VALU_DEP_1)
	s_and_b32 s52, s12, exec_lo
; %bb.33:
	s_or_b32 exec_lo, exec_lo, s27
	v_add_nc_u32_e32 v5, s17, v32
	v_add_nc_u32_e32 v6, s19, v32
	s_mov_b32 s27, -1
	s_mov_b32 s49, 0
	s_mov_b32 s33, 0
	v_mul_lo_u32 v5, v5, s16
	v_mul_lo_u32 v6, v6, s18
	s_mov_b32 s54, exec_lo
	s_delay_alu instid0(VALU_DEP_1) | instskip(NEXT) | instid1(VALU_DEP_1)
	v_sub_nc_u32_e32 v5, v5, v6
	v_cmpx_ge_u32_e64 s20, v5
; %bb.34:
	v_add_nc_u32_e32 v5, s22, v32
	v_add_nc_u32_e32 v6, s38, v32
	s_xor_b32 s27, exec_lo, -1
	s_delay_alu instid0(VALU_DEP_2) | instskip(NEXT) | instid1(VALU_DEP_2)
	v_mul_lo_u32 v5, v5, s21
	v_mul_lo_u32 v6, v6, s23
	s_delay_alu instid0(VALU_DEP_1) | instskip(NEXT) | instid1(VALU_DEP_1)
	v_sub_nc_u32_e32 v5, v5, v6
	v_cmp_lt_u32_e64 s12, s39, v5
	s_delay_alu instid0(VALU_DEP_1)
	s_and_b32 s33, s12, exec_lo
; %bb.35:
	s_or_b32 exec_lo, exec_lo, s54
	v_cndmask_b32_e64 v53, 0, 1, s53
	v_cndmask_b32_e64 v56, 0, 1, s11
	;; [unrolled: 1-line block ×22, first 2 shown]
	v_cndmask_b32_e64 v34, 0, 1, vcc_lo
	v_cndmask_b32_e64 v57, 0, 1, s52
	s_and_b32 vcc_lo, exec_lo, s49
	s_add_i32 s4, s40, 0xd00
	s_cbranch_vccnz .LBB1291_37
	s_branch .LBB1291_90
.LBB1291_36:
                                        ; implicit-def: $sgpr27
                                        ; implicit-def: $sgpr33
                                        ; implicit-def: $vgpr57
                                        ; implicit-def: $vgpr53
                                        ; implicit-def: $vgpr52
                                        ; implicit-def: $vgpr50
                                        ; implicit-def: $vgpr48
                                        ; implicit-def: $vgpr46
                                        ; implicit-def: $vgpr44
                                        ; implicit-def: $vgpr42
                                        ; implicit-def: $vgpr39
                                        ; implicit-def: $vgpr34
                                        ; implicit-def: $vgpr37
                                        ; implicit-def: $vgpr36
                                        ; implicit-def: $vgpr41
                                        ; implicit-def: $vgpr43
                                        ; implicit-def: $vgpr45
                                        ; implicit-def: $vgpr47
                                        ; implicit-def: $vgpr49
                                        ; implicit-def: $vgpr51
                                        ; implicit-def: $vgpr54
                                        ; implicit-def: $vgpr55
                                        ; implicit-def: $vgpr56
                                        ; implicit-def: $vgpr35
                                        ; implicit-def: $vgpr40
                                        ; implicit-def: $vgpr38
	s_add_i32 s4, s40, 0xd00
	s_cbranch_execz .LBB1291_90
.LBB1291_37:
	v_dual_mov_b32 v35, 0 :: v_dual_mov_b32 v34, 0
	s_mov_b32 s3, 0
	s_mov_b32 s1, exec_lo
	v_cmpx_gt_u32_e64 s4, v33
	s_cbranch_execz .LBB1291_41
; %bb.38:
	v_add_nc_u32_e32 v5, s17, v20
	v_add_nc_u32_e32 v6, s19, v20
	s_mov_b32 s5, exec_lo
	s_delay_alu instid0(VALU_DEP_2) | instskip(NEXT) | instid1(VALU_DEP_2)
	v_mul_lo_u32 v5, v5, s16
	v_mul_lo_u32 v6, v6, s18
	s_delay_alu instid0(VALU_DEP_1) | instskip(NEXT) | instid1(VALU_DEP_1)
	v_sub_nc_u32_e32 v5, v5, v6
	v_cmp_lt_u32_e32 vcc_lo, s20, v5
	v_cmpx_ge_u32_e64 s20, v5
; %bb.39:
	v_add_nc_u32_e32 v5, s22, v20
	v_add_nc_u32_e32 v6, s38, v20
	s_delay_alu instid0(VALU_DEP_2) | instskip(NEXT) | instid1(VALU_DEP_2)
	v_mul_lo_u32 v5, v5, s21
	v_mul_lo_u32 v6, v6, s23
	s_delay_alu instid0(VALU_DEP_1) | instskip(NEXT) | instid1(VALU_DEP_1)
	v_sub_nc_u32_e32 v5, v5, v6
	v_cmp_lt_u32_e64 s0, s39, v5
	s_delay_alu instid0(VALU_DEP_1)
	s_and_b32 s3, s0, exec_lo
; %bb.40:
	s_or_b32 exec_lo, exec_lo, s5
	v_cndmask_b32_e64 v34, 0, 1, vcc_lo
	v_cndmask_b32_e64 v35, 0, 1, s3
.LBB1291_41:
	s_or_b32 exec_lo, exec_lo, s1
	v_dual_mov_b32 v40, 0 :: v_dual_add_nc_u32 v5, 1, v33
	v_mov_b32_e32 v37, 0
	s_mov_b32 s3, 0
	s_mov_b32 s1, exec_lo
	s_delay_alu instid0(VALU_DEP_2)
	v_cmpx_gt_u32_e64 s4, v5
	s_cbranch_execz .LBB1291_45
; %bb.42:
	v_add_nc_u32_e32 v5, s17, v21
	v_add_nc_u32_e32 v6, s19, v21
	s_mov_b32 s5, exec_lo
	s_delay_alu instid0(VALU_DEP_2) | instskip(NEXT) | instid1(VALU_DEP_2)
	v_mul_lo_u32 v5, v5, s16
	v_mul_lo_u32 v6, v6, s18
	s_delay_alu instid0(VALU_DEP_1) | instskip(NEXT) | instid1(VALU_DEP_1)
	v_sub_nc_u32_e32 v5, v5, v6
	v_cmp_lt_u32_e32 vcc_lo, s20, v5
	v_cmpx_ge_u32_e64 s20, v5
; %bb.43:
	v_add_nc_u32_e32 v5, s22, v21
	v_add_nc_u32_e32 v6, s38, v21
	s_delay_alu instid0(VALU_DEP_2) | instskip(NEXT) | instid1(VALU_DEP_2)
	v_mul_lo_u32 v5, v5, s21
	v_mul_lo_u32 v6, v6, s23
	s_delay_alu instid0(VALU_DEP_1) | instskip(NEXT) | instid1(VALU_DEP_1)
	v_sub_nc_u32_e32 v5, v5, v6
	v_cmp_lt_u32_e64 s0, s39, v5
	s_delay_alu instid0(VALU_DEP_1)
	s_and_b32 s3, s0, exec_lo
; %bb.44:
	s_or_b32 exec_lo, exec_lo, s5
	v_cndmask_b32_e64 v37, 0, 1, vcc_lo
	v_cndmask_b32_e64 v40, 0, 1, s3
.LBB1291_45:
	s_or_b32 exec_lo, exec_lo, s1
	v_dual_mov_b32 v36, 0 :: v_dual_add_nc_u32 v5, 2, v33
	v_mov_b32_e32 v38, 0
	s_mov_b32 s3, 0
	s_mov_b32 s1, exec_lo
	s_delay_alu instid0(VALU_DEP_2)
	v_cmpx_gt_u32_e64 s4, v5
	s_cbranch_execz .LBB1291_49
; %bb.46:
	v_add_nc_u32_e32 v5, s17, v18
	v_add_nc_u32_e32 v6, s19, v18
	s_mov_b32 s5, exec_lo
	s_delay_alu instid0(VALU_DEP_2) | instskip(NEXT) | instid1(VALU_DEP_2)
	v_mul_lo_u32 v5, v5, s16
	v_mul_lo_u32 v6, v6, s18
	s_delay_alu instid0(VALU_DEP_1) | instskip(NEXT) | instid1(VALU_DEP_1)
	v_sub_nc_u32_e32 v5, v5, v6
	v_cmp_lt_u32_e32 vcc_lo, s20, v5
	v_cmpx_ge_u32_e64 s20, v5
; %bb.47:
	v_add_nc_u32_e32 v5, s22, v18
	v_add_nc_u32_e32 v6, s38, v18
	s_delay_alu instid0(VALU_DEP_2) | instskip(NEXT) | instid1(VALU_DEP_2)
	v_mul_lo_u32 v5, v5, s21
	v_mul_lo_u32 v6, v6, s23
	s_delay_alu instid0(VALU_DEP_1) | instskip(NEXT) | instid1(VALU_DEP_1)
	v_sub_nc_u32_e32 v5, v5, v6
	v_cmp_lt_u32_e64 s0, s39, v5
	s_delay_alu instid0(VALU_DEP_1)
	s_and_b32 s3, s0, exec_lo
; %bb.48:
	s_or_b32 exec_lo, exec_lo, s5
	v_cndmask_b32_e64 v36, 0, 1, vcc_lo
	v_cndmask_b32_e64 v38, 0, 1, s3
.LBB1291_49:
	s_or_b32 exec_lo, exec_lo, s1
	v_add_nc_u32_e32 v5, 3, v33
	v_mov_b32_e32 v39, 0
	v_mov_b32_e32 v41, 0
	s_mov_b32 s3, 0
	s_mov_b32 s1, exec_lo
	v_cmpx_gt_u32_e64 s4, v5
	s_cbranch_execz .LBB1291_53
; %bb.50:
	v_add_nc_u32_e32 v5, s17, v19
	v_add_nc_u32_e32 v6, s19, v19
	s_mov_b32 s5, exec_lo
	s_delay_alu instid0(VALU_DEP_2) | instskip(NEXT) | instid1(VALU_DEP_2)
	v_mul_lo_u32 v5, v5, s16
	v_mul_lo_u32 v6, v6, s18
	s_delay_alu instid0(VALU_DEP_1) | instskip(NEXT) | instid1(VALU_DEP_1)
	v_sub_nc_u32_e32 v5, v5, v6
	v_cmp_lt_u32_e32 vcc_lo, s20, v5
	v_cmpx_ge_u32_e64 s20, v5
; %bb.51:
	v_add_nc_u32_e32 v5, s22, v19
	v_add_nc_u32_e32 v6, s38, v19
	s_delay_alu instid0(VALU_DEP_2) | instskip(NEXT) | instid1(VALU_DEP_2)
	v_mul_lo_u32 v5, v5, s21
	v_mul_lo_u32 v6, v6, s23
	s_delay_alu instid0(VALU_DEP_1) | instskip(NEXT) | instid1(VALU_DEP_1)
	v_sub_nc_u32_e32 v5, v5, v6
	v_cmp_lt_u32_e64 s0, s39, v5
	s_delay_alu instid0(VALU_DEP_1)
	s_and_b32 s3, s0, exec_lo
; %bb.52:
	s_or_b32 exec_lo, exec_lo, s5
	v_cndmask_b32_e64 v41, 0, 1, vcc_lo
	v_cndmask_b32_e64 v39, 0, 1, s3
.LBB1291_53:
	s_or_b32 exec_lo, exec_lo, s1
	v_dual_mov_b32 v42, 0 :: v_dual_add_nc_u32 v5, 4, v33
	v_mov_b32_e32 v43, 0
	s_mov_b32 s3, 0
	s_mov_b32 s1, exec_lo
	s_delay_alu instid0(VALU_DEP_2)
	v_cmpx_gt_u32_e64 s4, v5
	s_cbranch_execz .LBB1291_57
; %bb.54:
	v_add_nc_u32_e32 v5, s17, v16
	v_add_nc_u32_e32 v6, s19, v16
	s_mov_b32 s5, exec_lo
	s_delay_alu instid0(VALU_DEP_2) | instskip(NEXT) | instid1(VALU_DEP_2)
	v_mul_lo_u32 v5, v5, s16
	v_mul_lo_u32 v6, v6, s18
	s_delay_alu instid0(VALU_DEP_1) | instskip(NEXT) | instid1(VALU_DEP_1)
	v_sub_nc_u32_e32 v5, v5, v6
	v_cmp_lt_u32_e32 vcc_lo, s20, v5
	v_cmpx_ge_u32_e64 s20, v5
; %bb.55:
	v_add_nc_u32_e32 v5, s22, v16
	v_add_nc_u32_e32 v6, s38, v16
	s_delay_alu instid0(VALU_DEP_2) | instskip(NEXT) | instid1(VALU_DEP_2)
	v_mul_lo_u32 v5, v5, s21
	v_mul_lo_u32 v6, v6, s23
	s_delay_alu instid0(VALU_DEP_1) | instskip(NEXT) | instid1(VALU_DEP_1)
	v_sub_nc_u32_e32 v5, v5, v6
	v_cmp_lt_u32_e64 s0, s39, v5
	s_delay_alu instid0(VALU_DEP_1)
	s_and_b32 s3, s0, exec_lo
; %bb.56:
	s_or_b32 exec_lo, exec_lo, s5
	v_cndmask_b32_e64 v43, 0, 1, vcc_lo
	v_cndmask_b32_e64 v42, 0, 1, s3
.LBB1291_57:
	s_or_b32 exec_lo, exec_lo, s1
	v_dual_mov_b32 v44, 0 :: v_dual_add_nc_u32 v5, 5, v33
	v_mov_b32_e32 v45, 0
	s_mov_b32 s3, 0
	s_mov_b32 s1, exec_lo
	s_delay_alu instid0(VALU_DEP_2)
	;; [unrolled: 35-line block ×6, first 2 shown]
	v_cmpx_gt_u32_e64 s4, v5
	s_cbranch_execz .LBB1291_77
; %bb.74:
	v_add_nc_u32_e32 v5, s17, v13
	v_add_nc_u32_e32 v6, s19, v13
	s_mov_b32 s5, exec_lo
	s_delay_alu instid0(VALU_DEP_2) | instskip(NEXT) | instid1(VALU_DEP_2)
	v_mul_lo_u32 v5, v5, s16
	v_mul_lo_u32 v6, v6, s18
	s_delay_alu instid0(VALU_DEP_1) | instskip(NEXT) | instid1(VALU_DEP_1)
	v_sub_nc_u32_e32 v5, v5, v6
	v_cmp_lt_u32_e32 vcc_lo, s20, v5
	v_cmpx_ge_u32_e64 s20, v5
; %bb.75:
	v_add_nc_u32_e32 v5, s22, v13
	v_add_nc_u32_e32 v6, s38, v13
	s_delay_alu instid0(VALU_DEP_2) | instskip(NEXT) | instid1(VALU_DEP_2)
	v_mul_lo_u32 v5, v5, s21
	v_mul_lo_u32 v6, v6, s23
	s_delay_alu instid0(VALU_DEP_1) | instskip(NEXT) | instid1(VALU_DEP_1)
	v_sub_nc_u32_e32 v5, v5, v6
	v_cmp_lt_u32_e64 s0, s39, v5
	s_delay_alu instid0(VALU_DEP_1)
	s_and_b32 s3, s0, exec_lo
; %bb.76:
	s_or_b32 exec_lo, exec_lo, s5
	v_cndmask_b32_e64 v54, 0, 1, vcc_lo
	v_cndmask_b32_e64 v52, 0, 1, s3
.LBB1291_77:
	s_or_b32 exec_lo, exec_lo, s1
	v_add_nc_u32_e32 v5, 10, v33
	v_mov_b32_e32 v53, 0
	v_mov_b32_e32 v55, 0
	s_mov_b32 s3, 0
	s_mov_b32 s1, exec_lo
	v_cmpx_gt_u32_e64 s4, v5
	s_cbranch_execz .LBB1291_81
; %bb.78:
	v_add_nc_u32_e32 v5, s17, v10
	v_add_nc_u32_e32 v6, s19, v10
	s_mov_b32 s5, exec_lo
	s_delay_alu instid0(VALU_DEP_2) | instskip(NEXT) | instid1(VALU_DEP_2)
	v_mul_lo_u32 v5, v5, s16
	v_mul_lo_u32 v6, v6, s18
	s_delay_alu instid0(VALU_DEP_1) | instskip(NEXT) | instid1(VALU_DEP_1)
	v_sub_nc_u32_e32 v5, v5, v6
	v_cmp_lt_u32_e32 vcc_lo, s20, v5
	v_cmpx_ge_u32_e64 s20, v5
; %bb.79:
	v_add_nc_u32_e32 v5, s22, v10
	v_add_nc_u32_e32 v6, s38, v10
	s_delay_alu instid0(VALU_DEP_2) | instskip(NEXT) | instid1(VALU_DEP_2)
	v_mul_lo_u32 v5, v5, s21
	v_mul_lo_u32 v6, v6, s23
	s_delay_alu instid0(VALU_DEP_1) | instskip(NEXT) | instid1(VALU_DEP_1)
	v_sub_nc_u32_e32 v5, v5, v6
	v_cmp_lt_u32_e64 s0, s39, v5
	s_delay_alu instid0(VALU_DEP_1)
	s_and_b32 s3, s0, exec_lo
; %bb.80:
	s_or_b32 exec_lo, exec_lo, s5
	v_cndmask_b32_e64 v55, 0, 1, vcc_lo
	v_cndmask_b32_e64 v53, 0, 1, s3
.LBB1291_81:
	s_or_b32 exec_lo, exec_lo, s1
	v_dual_mov_b32 v56, 0 :: v_dual_add_nc_u32 v5, 11, v33
	v_mov_b32_e32 v57, 0
	s_mov_b32 s3, 0
	s_mov_b32 s1, exec_lo
	s_delay_alu instid0(VALU_DEP_2)
	v_cmpx_gt_u32_e64 s4, v5
	s_cbranch_execz .LBB1291_85
; %bb.82:
	v_add_nc_u32_e32 v5, s17, v11
	v_add_nc_u32_e32 v6, s19, v11
	s_mov_b32 s5, exec_lo
	s_delay_alu instid0(VALU_DEP_2) | instskip(NEXT) | instid1(VALU_DEP_2)
	v_mul_lo_u32 v5, v5, s16
	v_mul_lo_u32 v6, v6, s18
	s_delay_alu instid0(VALU_DEP_1) | instskip(NEXT) | instid1(VALU_DEP_1)
	v_sub_nc_u32_e32 v5, v5, v6
	v_cmp_lt_u32_e32 vcc_lo, s20, v5
	v_cmpx_ge_u32_e64 s20, v5
; %bb.83:
	v_add_nc_u32_e32 v5, s22, v11
	v_add_nc_u32_e32 v6, s38, v11
	s_delay_alu instid0(VALU_DEP_2) | instskip(NEXT) | instid1(VALU_DEP_2)
	v_mul_lo_u32 v5, v5, s21
	v_mul_lo_u32 v6, v6, s23
	s_delay_alu instid0(VALU_DEP_1) | instskip(NEXT) | instid1(VALU_DEP_1)
	v_sub_nc_u32_e32 v5, v5, v6
	v_cmp_lt_u32_e64 s0, s39, v5
	s_delay_alu instid0(VALU_DEP_1)
	s_and_b32 s3, s0, exec_lo
; %bb.84:
	s_or_b32 exec_lo, exec_lo, s5
	v_cndmask_b32_e64 v56, 0, 1, vcc_lo
	v_cndmask_b32_e64 v57, 0, 1, s3
.LBB1291_85:
	s_or_b32 exec_lo, exec_lo, s1
	v_add_nc_u32_e32 v5, 12, v33
	s_mov_b32 s27, 0
	s_mov_b32 s33, 0
	s_mov_b32 s0, exec_lo
	s_delay_alu instid0(VALU_DEP_1)
	v_cmpx_gt_u32_e64 s4, v5
	s_cbranch_execz .LBB1291_89
; %bb.86:
	v_add_nc_u32_e32 v5, s17, v32
	v_add_nc_u32_e32 v6, s19, v32
	s_mov_b32 s3, -1
	s_mov_b32 s5, 0
	s_mov_b32 s1, exec_lo
	v_mul_lo_u32 v5, v5, s16
	v_mul_lo_u32 v6, v6, s18
	s_delay_alu instid0(VALU_DEP_1) | instskip(NEXT) | instid1(VALU_DEP_1)
	v_sub_nc_u32_e32 v5, v5, v6
	v_cmpx_ge_u32_e64 s20, v5
; %bb.87:
	v_add_nc_u32_e32 v5, s22, v32
	v_add_nc_u32_e32 v6, s38, v32
	s_xor_b32 s3, exec_lo, -1
	s_delay_alu instid0(VALU_DEP_2) | instskip(NEXT) | instid1(VALU_DEP_2)
	v_mul_lo_u32 v5, v5, s21
	v_mul_lo_u32 v6, v6, s23
	s_delay_alu instid0(VALU_DEP_1) | instskip(NEXT) | instid1(VALU_DEP_1)
	v_sub_nc_u32_e32 v5, v5, v6
	v_cmp_lt_u32_e32 vcc_lo, s39, v5
	s_and_b32 s5, vcc_lo, exec_lo
; %bb.88:
	s_or_b32 exec_lo, exec_lo, s1
	s_delay_alu instid0(SALU_CYCLE_1)
	s_and_b32 s33, s5, exec_lo
	s_and_b32 s27, s3, exec_lo
.LBB1291_89:
	s_or_b32 exec_lo, exec_lo, s0
.LBB1291_90:
	v_and_b32_e32 v80, 0xff, v34
	v_and_b32_e32 v81, 0xff, v35
	;; [unrolled: 1-line block ×10, first 2 shown]
	v_add3_u32 v5, v76, v78, v80
	v_add3_u32 v6, v77, v79, v81
	v_and_b32_e32 v70, 0xff, v45
	v_and_b32_e32 v71, 0xff, v44
	v_and_b32_e32 v64, 0xff, v47
	v_and_b32_e32 v65, 0xff, v46
	v_add3_u32 v5, v5, v74, v72
	v_add3_u32 v6, v6, v75, v73
	v_and_b32_e32 v68, 0xff, v49
	v_and_b32_e32 v69, 0xff, v48
	v_and_b32_e32 v66, 0xff, v51
	v_and_b32_e32 v67, 0xff, v50
	v_add3_u32 v5, v5, v70, v64
	v_add3_u32 v6, v6, v71, v65
	v_and_b32_e32 v61, 0xff, v54
	v_and_b32_e32 v62, 0xff, v52
	v_and_b32_e32 v60, 0xff, v55
	v_and_b32_e32 v63, 0xff, v53
	v_add3_u32 v5, v5, v68, v66
	v_add3_u32 v6, v6, v69, v67
	v_mbcnt_lo_u32_b32 v82, -1, 0
	v_and_b32_e32 v58, 0xff, v56
	v_and_b32_e32 v59, 0xff, v57
	v_cndmask_b32_e64 v7, 0, 1, s33
	v_add3_u32 v5, v5, v61, v60
	v_cndmask_b32_e64 v8, 0, 1, s27
	v_add3_u32 v6, v6, v62, v63
	v_and_b32_e32 v86, 15, v82
	v_and_b32_e32 v85, 16, v82
	v_lshrrev_b32_e32 v83, 5, v0
	v_add3_u32 v87, v5, v58, v8
	v_add3_u32 v88, v6, v59, v7
	v_cmp_eq_u32_e64 s1, 0, v86
	v_cmp_lt_u32_e64 s0, 1, v86
	v_cmp_lt_u32_e64 s3, 3, v86
	v_cmp_lt_u32_e32 vcc_lo, 7, v86
	v_or_b32_e32 v84, 31, v0
	s_cmp_lg_u32 s26, 0
	s_mov_b32 s5, -1
	s_cbranch_scc0 .LBB1291_118
; %bb.91:
	v_mov_b32_dpp v5, v88 row_shr:1 row_mask:0xf bank_mask:0xf
	v_mov_b32_dpp v6, v87 row_shr:1 row_mask:0xf bank_mask:0xf
	s_delay_alu instid0(VALU_DEP_2) | instskip(NEXT) | instid1(VALU_DEP_2)
	v_add_nc_u32_e32 v5, v5, v88
	v_add_nc_u32_e32 v6, v6, v87
	s_delay_alu instid0(VALU_DEP_2) | instskip(NEXT) | instid1(VALU_DEP_2)
	v_cndmask_b32_e64 v5, v5, v88, s1
	v_cndmask_b32_e64 v6, v6, v87, s1
	s_delay_alu instid0(VALU_DEP_2) | instskip(NEXT) | instid1(VALU_DEP_2)
	v_mov_b32_dpp v7, v5 row_shr:2 row_mask:0xf bank_mask:0xf
	v_mov_b32_dpp v8, v6 row_shr:2 row_mask:0xf bank_mask:0xf
	s_delay_alu instid0(VALU_DEP_2) | instskip(NEXT) | instid1(VALU_DEP_1)
	v_add_nc_u32_e32 v7, v5, v7
	v_cndmask_b32_e64 v5, v5, v7, s0
	s_delay_alu instid0(VALU_DEP_1) | instskip(NEXT) | instid1(VALU_DEP_1)
	v_mov_b32_dpp v7, v5 row_shr:4 row_mask:0xf bank_mask:0xf
	v_add_nc_u32_e32 v7, v5, v7
	s_delay_alu instid0(VALU_DEP_1) | instskip(NEXT) | instid1(VALU_DEP_1)
	v_cndmask_b32_e64 v5, v5, v7, s3
	v_mov_b32_dpp v7, v5 row_shr:8 row_mask:0xf bank_mask:0xf
	s_delay_alu instid0(VALU_DEP_1) | instskip(NEXT) | instid1(VALU_DEP_1)
	v_add_nc_u32_e32 v7, v5, v7
	v_dual_cndmask_b32 v5, v5, v7 :: v_dual_add_nc_u32 v8, v6, v8
	s_delay_alu instid0(VALU_DEP_1) | instskip(NEXT) | instid1(VALU_DEP_1)
	v_cndmask_b32_e64 v6, v6, v8, s0
	v_mov_b32_dpp v8, v6 row_shr:4 row_mask:0xf bank_mask:0xf
	s_delay_alu instid0(VALU_DEP_1) | instskip(NEXT) | instid1(VALU_DEP_1)
	v_add_nc_u32_e32 v8, v6, v8
	v_cndmask_b32_e64 v6, v6, v8, s3
	s_mov_b32 s3, exec_lo
	s_delay_alu instid0(VALU_DEP_1) | instskip(NEXT) | instid1(VALU_DEP_1)
	v_mov_b32_dpp v8, v6 row_shr:8 row_mask:0xf bank_mask:0xf
	v_add_nc_u32_e32 v8, v6, v8
	s_delay_alu instid0(VALU_DEP_1)
	v_cndmask_b32_e32 v7, v6, v8, vcc_lo
	ds_swizzle_b32 v6, v5 offset:swizzle(BROADCAST,32,15)
	v_cmp_eq_u32_e32 vcc_lo, 0, v85
	s_waitcnt lgkmcnt(0)
	v_add_nc_u32_e32 v6, v5, v6
	ds_swizzle_b32 v8, v7 offset:swizzle(BROADCAST,32,15)
	v_cndmask_b32_e32 v6, v6, v5, vcc_lo
	s_waitcnt lgkmcnt(0)
	v_add_nc_u32_e32 v8, v7, v8
	s_delay_alu instid0(VALU_DEP_1)
	v_cndmask_b32_e32 v5, v8, v7, vcc_lo
	v_cmpx_eq_u32_e64 v84, v0
	s_cbranch_execz .LBB1291_93
; %bb.92:
	v_lshlrev_b32_e32 v7, 3, v83
	ds_store_b64 v7, v[5:6]
.LBB1291_93:
	s_or_b32 exec_lo, exec_lo, s3
	s_delay_alu instid0(SALU_CYCLE_1)
	s_mov_b32 s3, exec_lo
	s_waitcnt lgkmcnt(0)
	s_barrier
	buffer_gl0_inv
	v_cmpx_gt_u32_e32 8, v0
	s_cbranch_execz .LBB1291_95
; %bb.94:
	v_lshlrev_b32_e32 v9, 3, v0
	ds_load_b64 v[7:8], v9
	s_waitcnt lgkmcnt(0)
	v_mov_b32_dpp v22, v7 row_shr:1 row_mask:0xf bank_mask:0xf
	v_mov_b32_dpp v23, v8 row_shr:1 row_mask:0xf bank_mask:0xf
	s_delay_alu instid0(VALU_DEP_2) | instskip(SKIP_1) | instid1(VALU_DEP_3)
	v_add_nc_u32_e32 v22, v22, v7
	v_and_b32_e32 v24, 7, v82
	v_add_nc_u32_e32 v23, v23, v8
	s_delay_alu instid0(VALU_DEP_2) | instskip(NEXT) | instid1(VALU_DEP_2)
	v_cmp_eq_u32_e32 vcc_lo, 0, v24
	v_dual_cndmask_b32 v8, v23, v8 :: v_dual_cndmask_b32 v7, v22, v7
	v_cmp_lt_u32_e32 vcc_lo, 1, v24
	s_delay_alu instid0(VALU_DEP_2) | instskip(NEXT) | instid1(VALU_DEP_3)
	v_mov_b32_dpp v23, v8 row_shr:2 row_mask:0xf bank_mask:0xf
	v_mov_b32_dpp v22, v7 row_shr:2 row_mask:0xf bank_mask:0xf
	s_delay_alu instid0(VALU_DEP_2) | instskip(NEXT) | instid1(VALU_DEP_2)
	v_add_nc_u32_e32 v23, v8, v23
	v_add_nc_u32_e32 v22, v7, v22
	s_delay_alu instid0(VALU_DEP_1) | instskip(SKIP_1) | instid1(VALU_DEP_2)
	v_dual_cndmask_b32 v8, v8, v23 :: v_dual_cndmask_b32 v7, v7, v22
	v_cmp_lt_u32_e32 vcc_lo, 3, v24
	v_mov_b32_dpp v23, v8 row_shr:4 row_mask:0xf bank_mask:0xf
	s_delay_alu instid0(VALU_DEP_3) | instskip(NEXT) | instid1(VALU_DEP_1)
	v_mov_b32_dpp v22, v7 row_shr:4 row_mask:0xf bank_mask:0xf
	v_dual_cndmask_b32 v23, 0, v23 :: v_dual_cndmask_b32 v22, 0, v22
	s_delay_alu instid0(VALU_DEP_1) | instskip(NEXT) | instid1(VALU_DEP_2)
	v_add_nc_u32_e32 v8, v23, v8
	v_add_nc_u32_e32 v7, v22, v7
	ds_store_b64 v9, v[7:8]
.LBB1291_95:
	s_or_b32 exec_lo, exec_lo, s3
	v_cmp_gt_u32_e32 vcc_lo, 32, v0
	v_cmp_lt_u32_e64 s3, 31, v0
	s_waitcnt lgkmcnt(0)
	s_barrier
	buffer_gl0_inv
                                        ; implicit-def: $vgpr23
	s_and_saveexec_b32 s5, s3
	s_delay_alu instid0(SALU_CYCLE_1)
	s_xor_b32 s3, exec_lo, s5
	s_cbranch_execz .LBB1291_97
; %bb.96:
	v_lshl_add_u32 v7, v83, 3, -8
	ds_load_b64 v[22:23], v7
	s_waitcnt lgkmcnt(0)
	v_add_nc_u32_e32 v6, v23, v6
	v_add_nc_u32_e32 v5, v22, v5
.LBB1291_97:
	s_and_not1_saveexec_b32 s3, s3
; %bb.98:
                                        ; implicit-def: $vgpr22
; %bb.99:
	s_delay_alu instid0(SALU_CYCLE_1) | instskip(SKIP_1) | instid1(VALU_DEP_1)
	s_or_b32 exec_lo, exec_lo, s3
	v_add_nc_u32_e32 v7, -1, v82
	v_cmp_gt_i32_e64 s3, 0, v7
	s_delay_alu instid0(VALU_DEP_1) | instskip(SKIP_1) | instid1(VALU_DEP_2)
	v_cndmask_b32_e64 v7, v7, v82, s3
	v_cmp_eq_u32_e64 s3, 0, v82
	v_lshlrev_b32_e32 v7, 2, v7
	ds_bpermute_b32 v89, v7, v5
	ds_bpermute_b32 v90, v7, v6
	s_and_saveexec_b32 s5, vcc_lo
	s_cbranch_execz .LBB1291_117
; %bb.100:
	v_mov_b32_e32 v8, 0
	ds_load_b64 v[5:6], v8 offset:56
	s_waitcnt lgkmcnt(0)
	v_readfirstlane_b32 s6, v6
	s_and_saveexec_b32 s7, s3
	s_cbranch_execz .LBB1291_102
; %bb.101:
	s_add_i32 s8, s26, 32
	s_mov_b32 s9, 0
	v_mov_b32_e32 v7, 1
	s_lshl_b64 s[10:11], s[8:9], 4
	s_mov_b32 s16, s9
	s_add_u32 s10, s36, s10
	s_addc_u32 s11, s37, s11
	s_and_b32 s17, s6, 0xff000000
	s_and_b32 s19, s6, 0xff0000
	s_mov_b32 s18, s9
	v_dual_mov_b32 v25, s11 :: v_dual_mov_b32 v24, s10
	s_or_b64 s[16:17], s[18:19], s[16:17]
	s_and_b32 s19, s6, 0xff00
	s_delay_alu instid0(SALU_CYCLE_1) | instskip(SKIP_1) | instid1(SALU_CYCLE_1)
	s_or_b64 s[16:17], s[16:17], s[18:19]
	s_and_b32 s19, s6, 0xff
	s_or_b64 s[8:9], s[16:17], s[18:19]
	s_delay_alu instid0(SALU_CYCLE_1)
	v_mov_b32_e32 v6, s9
	;;#ASMSTART
	global_store_dwordx4 v[24:25], v[5:8] off	
s_waitcnt vmcnt(0)
	;;#ASMEND
.LBB1291_102:
	s_or_b32 exec_lo, exec_lo, s7
	v_xad_u32 v24, v82, -1, s26
	s_mov_b32 s8, 0
	s_mov_b32 s7, exec_lo
	s_delay_alu instid0(VALU_DEP_1) | instskip(NEXT) | instid1(VALU_DEP_1)
	v_add_nc_u32_e32 v7, 32, v24
	v_lshlrev_b64 v[6:7], 4, v[7:8]
	s_delay_alu instid0(VALU_DEP_1) | instskip(NEXT) | instid1(VALU_DEP_2)
	v_add_co_u32 v25, vcc_lo, s36, v6
	v_add_co_ci_u32_e32 v26, vcc_lo, s37, v7, vcc_lo
	;;#ASMSTART
	global_load_dwordx4 v[6:9], v[25:26] off glc	
s_waitcnt vmcnt(0)
	;;#ASMEND
	v_and_b32_e32 v9, 0xff, v7
	v_and_b32_e32 v27, 0xff00, v7
	v_or3_b32 v6, v6, 0, 0
	v_and_b32_e32 v28, 0xff000000, v7
	v_and_b32_e32 v7, 0xff0000, v7
	s_delay_alu instid0(VALU_DEP_4) | instskip(SKIP_2) | instid1(VALU_DEP_3)
	v_or3_b32 v9, 0, v9, v27
	v_and_b32_e32 v27, 0xff, v8
	v_or3_b32 v6, v6, 0, 0
	v_or3_b32 v7, v9, v7, v28
	s_delay_alu instid0(VALU_DEP_3)
	v_cmpx_eq_u16_e32 0, v27
	s_cbranch_execz .LBB1291_105
.LBB1291_103:                           ; =>This Inner Loop Header: Depth=1
	;;#ASMSTART
	global_load_dwordx4 v[6:9], v[25:26] off glc	
s_waitcnt vmcnt(0)
	;;#ASMEND
	v_and_b32_e32 v9, 0xff, v8
	s_delay_alu instid0(VALU_DEP_1) | instskip(SKIP_1) | instid1(SALU_CYCLE_1)
	v_cmp_ne_u16_e32 vcc_lo, 0, v9
	s_or_b32 s8, vcc_lo, s8
	s_and_not1_b32 exec_lo, exec_lo, s8
	s_cbranch_execnz .LBB1291_103
; %bb.104:
	s_or_b32 exec_lo, exec_lo, s8
.LBB1291_105:
	s_delay_alu instid0(SALU_CYCLE_1) | instskip(SKIP_3) | instid1(VALU_DEP_1)
	s_or_b32 exec_lo, exec_lo, s7
	v_cmp_ne_u32_e32 vcc_lo, 31, v82
	v_lshlrev_b32_e64 v92, v82, -1
	v_add_co_ci_u32_e32 v9, vcc_lo, 0, v82, vcc_lo
	v_lshlrev_b32_e32 v91, 2, v9
	ds_bpermute_b32 v25, v91, v7
	ds_bpermute_b32 v9, v91, v6
	s_waitcnt lgkmcnt(1)
	v_add_nc_u32_e32 v25, v25, v7
	v_and_b32_e32 v26, 0xff, v8
	s_waitcnt lgkmcnt(0)
	v_add_nc_u32_e32 v9, v9, v6
	s_delay_alu instid0(VALU_DEP_2) | instskip(SKIP_2) | instid1(VALU_DEP_2)
	v_cmp_eq_u16_e32 vcc_lo, 2, v26
	v_and_or_b32 v26, vcc_lo, v92, 0x80000000
	v_cmp_gt_u32_e32 vcc_lo, 30, v82
	v_ctz_i32_b32_e32 v26, v26
	v_cndmask_b32_e64 v27, 0, 1, vcc_lo
	s_delay_alu instid0(VALU_DEP_2) | instskip(NEXT) | instid1(VALU_DEP_2)
	v_cmp_lt_u32_e32 vcc_lo, v82, v26
	v_dual_cndmask_b32 v6, v6, v9 :: v_dual_lshlrev_b32 v27, 1, v27
	s_delay_alu instid0(VALU_DEP_1)
	v_add_lshl_u32 v93, v27, v82, 2
	v_cndmask_b32_e32 v7, v7, v25, vcc_lo
	v_cmp_gt_u32_e32 vcc_lo, 28, v82
	ds_bpermute_b32 v9, v93, v6
	ds_bpermute_b32 v25, v93, v7
	v_cndmask_b32_e64 v27, 0, 1, vcc_lo
	s_waitcnt lgkmcnt(1)
	v_add_nc_u32_e32 v9, v6, v9
	s_waitcnt lgkmcnt(0)
	v_add_nc_u32_e32 v25, v7, v25
	v_add_nc_u32_e32 v94, 2, v82
	s_delay_alu instid0(VALU_DEP_1) | instskip(NEXT) | instid1(VALU_DEP_3)
	v_cmp_gt_u32_e32 vcc_lo, v94, v26
	v_cndmask_b32_e32 v7, v25, v7, vcc_lo
	v_dual_cndmask_b32 v6, v9, v6 :: v_dual_lshlrev_b32 v27, 2, v27
	v_cmp_gt_u32_e32 vcc_lo, 24, v82
	s_delay_alu instid0(VALU_DEP_2) | instskip(SKIP_4) | instid1(VALU_DEP_1)
	v_add_lshl_u32 v95, v27, v82, 2
	v_cndmask_b32_e64 v27, 0, 1, vcc_lo
	ds_bpermute_b32 v25, v95, v7
	ds_bpermute_b32 v9, v95, v6
	v_lshlrev_b32_e32 v27, 3, v27
	v_add_lshl_u32 v97, v27, v82, 2
	s_waitcnt lgkmcnt(1)
	v_add_nc_u32_e32 v25, v7, v25
	v_add_nc_u32_e32 v96, 4, v82
	s_waitcnt lgkmcnt(0)
	v_add_nc_u32_e32 v9, v6, v9
	s_delay_alu instid0(VALU_DEP_2) | instskip(SKIP_1) | instid1(VALU_DEP_3)
	v_cmp_gt_u32_e32 vcc_lo, v96, v26
	v_cndmask_b32_e32 v7, v25, v7, vcc_lo
	v_cndmask_b32_e32 v6, v9, v6, vcc_lo
	v_cmp_gt_u32_e32 vcc_lo, 16, v82
	ds_bpermute_b32 v25, v97, v7
	ds_bpermute_b32 v9, v97, v6
	v_cndmask_b32_e64 v27, 0, 1, vcc_lo
	s_delay_alu instid0(VALU_DEP_1) | instskip(NEXT) | instid1(VALU_DEP_1)
	v_lshlrev_b32_e32 v27, 4, v27
	v_add_lshl_u32 v99, v27, v82, 2
	s_waitcnt lgkmcnt(1)
	v_add_nc_u32_e32 v25, v7, v25
	v_add_nc_u32_e32 v98, 8, v82
	s_waitcnt lgkmcnt(0)
	v_add_nc_u32_e32 v9, v6, v9
	s_delay_alu instid0(VALU_DEP_2) | instskip(SKIP_1) | instid1(VALU_DEP_3)
	v_cmp_gt_u32_e32 vcc_lo, v98, v26
	v_cndmask_b32_e32 v7, v25, v7, vcc_lo
	v_cndmask_b32_e32 v6, v9, v6, vcc_lo
	ds_bpermute_b32 v25, v99, v7
	ds_bpermute_b32 v9, v99, v6
	v_add_nc_u32_e32 v100, 16, v82
	s_delay_alu instid0(VALU_DEP_1) | instskip(SKIP_2) | instid1(VALU_DEP_1)
	v_cmp_le_u32_e32 vcc_lo, v100, v26
	s_waitcnt lgkmcnt(0)
	v_cndmask_b32_e32 v9, 0, v9, vcc_lo
	v_dual_cndmask_b32 v25, 0, v25 :: v_dual_add_nc_u32 v6, v9, v6
	s_delay_alu instid0(VALU_DEP_1)
	v_add_nc_u32_e32 v7, v25, v7
	v_mov_b32_e32 v25, 0
	s_branch .LBB1291_107
.LBB1291_106:                           ;   in Loop: Header=BB1291_107 Depth=1
	s_or_b32 exec_lo, exec_lo, s7
	ds_bpermute_b32 v9, v91, v6
	ds_bpermute_b32 v28, v91, v7
	v_subrev_nc_u32_e32 v24, 32, v24
	s_waitcnt lgkmcnt(1)
	v_add_nc_u32_e32 v9, v9, v6
	v_and_b32_e32 v29, 0xff, v8
	s_waitcnt lgkmcnt(0)
	v_add_nc_u32_e32 v28, v28, v7
	s_delay_alu instid0(VALU_DEP_2) | instskip(SKIP_1) | instid1(VALU_DEP_1)
	v_cmp_eq_u16_e32 vcc_lo, 2, v29
	v_and_or_b32 v29, vcc_lo, v92, 0x80000000
	v_ctz_i32_b32_e32 v29, v29
	s_delay_alu instid0(VALU_DEP_1)
	v_cmp_lt_u32_e32 vcc_lo, v82, v29
	v_cndmask_b32_e32 v6, v6, v9, vcc_lo
	ds_bpermute_b32 v9, v93, v6
	s_waitcnt lgkmcnt(0)
	v_add_nc_u32_e32 v9, v6, v9
	v_cndmask_b32_e32 v7, v7, v28, vcc_lo
	v_cmp_gt_u32_e32 vcc_lo, v94, v29
	s_delay_alu instid0(VALU_DEP_3)
	v_cndmask_b32_e32 v6, v9, v6, vcc_lo
	ds_bpermute_b32 v28, v93, v7
	ds_bpermute_b32 v9, v95, v6
	s_waitcnt lgkmcnt(1)
	v_add_nc_u32_e32 v28, v7, v28
	s_waitcnt lgkmcnt(0)
	v_add_nc_u32_e32 v9, v6, v9
	s_delay_alu instid0(VALU_DEP_2) | instskip(SKIP_1) | instid1(VALU_DEP_3)
	v_cndmask_b32_e32 v7, v28, v7, vcc_lo
	v_cmp_gt_u32_e32 vcc_lo, v96, v29
	v_cndmask_b32_e32 v6, v9, v6, vcc_lo
	ds_bpermute_b32 v28, v95, v7
	ds_bpermute_b32 v9, v97, v6
	s_waitcnt lgkmcnt(1)
	v_add_nc_u32_e32 v28, v7, v28
	s_waitcnt lgkmcnt(0)
	v_add_nc_u32_e32 v9, v6, v9
	s_delay_alu instid0(VALU_DEP_2) | instskip(SKIP_1) | instid1(VALU_DEP_3)
	v_cndmask_b32_e32 v7, v28, v7, vcc_lo
	v_cmp_gt_u32_e32 vcc_lo, v98, v29
	v_cndmask_b32_e32 v6, v9, v6, vcc_lo
	ds_bpermute_b32 v28, v97, v7
	ds_bpermute_b32 v9, v99, v6
	s_waitcnt lgkmcnt(1)
	v_add_nc_u32_e32 v28, v7, v28
	s_delay_alu instid0(VALU_DEP_1) | instskip(SKIP_4) | instid1(VALU_DEP_1)
	v_cndmask_b32_e32 v7, v28, v7, vcc_lo
	v_cmp_le_u32_e32 vcc_lo, v100, v29
	ds_bpermute_b32 v28, v99, v7
	s_waitcnt lgkmcnt(1)
	v_cndmask_b32_e32 v9, 0, v9, vcc_lo
	v_add3_u32 v6, v6, v26, v9
	s_waitcnt lgkmcnt(0)
	v_cndmask_b32_e32 v28, 0, v28, vcc_lo
	s_delay_alu instid0(VALU_DEP_1)
	v_add3_u32 v7, v7, v27, v28
.LBB1291_107:                           ; =>This Loop Header: Depth=1
                                        ;     Child Loop BB1291_110 Depth 2
	s_delay_alu instid0(VALU_DEP_1) | instskip(SKIP_1) | instid1(VALU_DEP_2)
	v_dual_mov_b32 v27, v7 :: v_dual_and_b32 v8, 0xff, v8
	v_mov_b32_e32 v26, v6
	v_cmp_ne_u16_e32 vcc_lo, 2, v8
	v_cndmask_b32_e64 v8, 0, 1, vcc_lo
	;;#ASMSTART
	;;#ASMEND
	s_delay_alu instid0(VALU_DEP_1)
	v_cmp_ne_u32_e32 vcc_lo, 0, v8
	s_cmp_lg_u32 vcc_lo, exec_lo
	s_cbranch_scc1 .LBB1291_112
; %bb.108:                              ;   in Loop: Header=BB1291_107 Depth=1
	v_lshlrev_b64 v[6:7], 4, v[24:25]
	s_mov_b32 s7, exec_lo
	s_delay_alu instid0(VALU_DEP_1) | instskip(NEXT) | instid1(VALU_DEP_2)
	v_add_co_u32 v28, vcc_lo, s36, v6
	v_add_co_ci_u32_e32 v29, vcc_lo, s37, v7, vcc_lo
	;;#ASMSTART
	global_load_dwordx4 v[6:9], v[28:29] off glc	
s_waitcnt vmcnt(0)
	;;#ASMEND
	v_and_b32_e32 v9, 0xff, v7
	v_and_b32_e32 v101, 0xff00, v7
	v_or3_b32 v6, v6, 0, 0
	v_and_b32_e32 v102, 0xff000000, v7
	v_and_b32_e32 v7, 0xff0000, v7
	s_delay_alu instid0(VALU_DEP_4) | instskip(SKIP_2) | instid1(VALU_DEP_3)
	v_or3_b32 v9, 0, v9, v101
	v_and_b32_e32 v101, 0xff, v8
	v_or3_b32 v6, v6, 0, 0
	v_or3_b32 v7, v9, v7, v102
	s_delay_alu instid0(VALU_DEP_3)
	v_cmpx_eq_u16_e32 0, v101
	s_cbranch_execz .LBB1291_106
; %bb.109:                              ;   in Loop: Header=BB1291_107 Depth=1
	s_mov_b32 s8, 0
.LBB1291_110:                           ;   Parent Loop BB1291_107 Depth=1
                                        ; =>  This Inner Loop Header: Depth=2
	;;#ASMSTART
	global_load_dwordx4 v[6:9], v[28:29] off glc	
s_waitcnt vmcnt(0)
	;;#ASMEND
	v_and_b32_e32 v9, 0xff, v8
	s_delay_alu instid0(VALU_DEP_1) | instskip(SKIP_1) | instid1(SALU_CYCLE_1)
	v_cmp_ne_u16_e32 vcc_lo, 0, v9
	s_or_b32 s8, vcc_lo, s8
	s_and_not1_b32 exec_lo, exec_lo, s8
	s_cbranch_execnz .LBB1291_110
; %bb.111:                              ;   in Loop: Header=BB1291_107 Depth=1
	s_or_b32 exec_lo, exec_lo, s8
	s_branch .LBB1291_106
.LBB1291_112:                           ;   in Loop: Header=BB1291_107 Depth=1
                                        ; implicit-def: $vgpr8
                                        ; implicit-def: $vgpr6_vgpr7
	s_cbranch_execz .LBB1291_107
; %bb.113:
	s_and_saveexec_b32 s7, s3
	s_cbranch_execnz .LBB1291_356
; %bb.114:
	s_or_b32 exec_lo, exec_lo, s7
	s_and_saveexec_b32 s7, s3
	s_cbranch_execnz .LBB1291_357
.LBB1291_115:
	s_or_b32 exec_lo, exec_lo, s7
	s_delay_alu instid0(SALU_CYCLE_1)
	s_and_b32 exec_lo, exec_lo, s2
	s_cbranch_execz .LBB1291_117
.LBB1291_116:
	v_mov_b32_e32 v5, 0
	ds_store_b64 v5, v[26:27] offset:56
.LBB1291_117:
	s_or_b32 exec_lo, exec_lo, s5
	s_waitcnt lgkmcnt(1)
	v_cndmask_b32_e64 v22, v89, v22, s3
	v_mov_b32_e32 v5, 0
	s_waitcnt lgkmcnt(0)
	s_barrier
	buffer_gl0_inv
	v_add_nc_u32_e64 v7, 0x3400, 0
	ds_load_b64 v[24:25], v5 offset:56
	s_waitcnt lgkmcnt(0)
	s_barrier
	buffer_gl0_inv
	ds_load_2addr_b32 v[5:6], v7 offset1:2
	ds_load_2addr_b32 v[7:8], v7 offset0:4 offset1:6
	v_cndmask_b32_e64 v9, v90, v23, s3
	v_add_nc_u32_e32 v22, v24, v22
	s_delay_alu instid0(VALU_DEP_2) | instskip(NEXT) | instid1(VALU_DEP_2)
	v_add_nc_u32_e32 v9, v25, v9
	v_cndmask_b32_e64 v22, v22, v24, s2
	s_delay_alu instid0(VALU_DEP_2)
	v_cndmask_b32_e64 v9, v9, v25, s2
	s_branch .LBB1291_128
.LBB1291_118:
                                        ; implicit-def: $vgpr9
                                        ; implicit-def: $vgpr7
                                        ; implicit-def: $vgpr5
                                        ; implicit-def: $vgpr22_vgpr23
	s_and_b32 vcc_lo, exec_lo, s5
	s_cbranch_vccz .LBB1291_128
; %bb.119:
	s_waitcnt lgkmcnt(1)
	v_mov_b32_dpp v6, v88 row_shr:1 row_mask:0xf bank_mask:0xf
	v_cmp_lt_u32_e32 vcc_lo, 3, v86
	v_mov_b32_dpp v5, v87 row_shr:1 row_mask:0xf bank_mask:0xf
	s_delay_alu instid0(VALU_DEP_3) | instskip(NEXT) | instid1(VALU_DEP_1)
	v_add_nc_u32_e32 v6, v6, v88
	v_cndmask_b32_e64 v6, v6, v88, s1
	s_waitcnt lgkmcnt(0)
	s_delay_alu instid0(VALU_DEP_1) | instskip(NEXT) | instid1(VALU_DEP_1)
	v_mov_b32_dpp v8, v6 row_shr:2 row_mask:0xf bank_mask:0xf
	v_add_nc_u32_e32 v8, v6, v8
	s_delay_alu instid0(VALU_DEP_1) | instskip(NEXT) | instid1(VALU_DEP_1)
	v_cndmask_b32_e64 v6, v6, v8, s0
	v_mov_b32_dpp v8, v6 row_shr:4 row_mask:0xf bank_mask:0xf
	s_delay_alu instid0(VALU_DEP_1) | instskip(NEXT) | instid1(VALU_DEP_1)
	v_add_nc_u32_e32 v8, v6, v8
	v_dual_cndmask_b32 v6, v6, v8 :: v_dual_add_nc_u32 v5, v5, v87
	s_delay_alu instid0(VALU_DEP_1) | instskip(NEXT) | instid1(VALU_DEP_2)
	v_cndmask_b32_e64 v5, v5, v87, s1
	v_mov_b32_dpp v8, v6 row_shr:8 row_mask:0xf bank_mask:0xf
	s_delay_alu instid0(VALU_DEP_2) | instskip(NEXT) | instid1(VALU_DEP_2)
	v_mov_b32_dpp v7, v5 row_shr:2 row_mask:0xf bank_mask:0xf
	v_add_nc_u32_e32 v8, v6, v8
	s_delay_alu instid0(VALU_DEP_2) | instskip(NEXT) | instid1(VALU_DEP_1)
	v_add_nc_u32_e32 v7, v5, v7
	v_cndmask_b32_e64 v5, v5, v7, s0
	s_mov_b32 s0, exec_lo
	s_delay_alu instid0(VALU_DEP_1) | instskip(NEXT) | instid1(VALU_DEP_1)
	v_mov_b32_dpp v7, v5 row_shr:4 row_mask:0xf bank_mask:0xf
	v_add_nc_u32_e32 v7, v5, v7
	s_delay_alu instid0(VALU_DEP_1) | instskip(SKIP_1) | instid1(VALU_DEP_2)
	v_cndmask_b32_e32 v5, v5, v7, vcc_lo
	v_cmp_lt_u32_e32 vcc_lo, 7, v86
	v_mov_b32_dpp v7, v5 row_shr:8 row_mask:0xf bank_mask:0xf
	s_delay_alu instid0(VALU_DEP_1) | instskip(NEXT) | instid1(VALU_DEP_1)
	v_dual_cndmask_b32 v6, v6, v8 :: v_dual_add_nc_u32 v7, v5, v7
	v_cndmask_b32_e32 v5, v5, v7, vcc_lo
	ds_swizzle_b32 v7, v6 offset:swizzle(BROADCAST,32,15)
	v_cmp_eq_u32_e32 vcc_lo, 0, v85
	ds_swizzle_b32 v8, v5 offset:swizzle(BROADCAST,32,15)
	s_waitcnt lgkmcnt(1)
	v_add_nc_u32_e32 v7, v6, v7
	s_waitcnt lgkmcnt(0)
	v_add_nc_u32_e32 v8, v5, v8
	s_delay_alu instid0(VALU_DEP_1)
	v_dual_cndmask_b32 v6, v7, v6 :: v_dual_cndmask_b32 v5, v8, v5
	v_cmpx_eq_u32_e64 v84, v0
	s_cbranch_execz .LBB1291_121
; %bb.120:
	v_lshlrev_b32_e32 v7, 3, v83
	ds_store_b64 v7, v[5:6]
.LBB1291_121:
	s_or_b32 exec_lo, exec_lo, s0
	s_delay_alu instid0(SALU_CYCLE_1)
	s_mov_b32 s0, exec_lo
	s_waitcnt lgkmcnt(0)
	s_barrier
	buffer_gl0_inv
	v_cmpx_gt_u32_e32 8, v0
	s_cbranch_execz .LBB1291_123
; %bb.122:
	v_lshlrev_b32_e32 v9, 3, v0
	ds_load_b64 v[7:8], v9
	s_waitcnt lgkmcnt(0)
	v_mov_b32_dpp v22, v7 row_shr:1 row_mask:0xf bank_mask:0xf
	v_mov_b32_dpp v23, v8 row_shr:1 row_mask:0xf bank_mask:0xf
	s_delay_alu instid0(VALU_DEP_2) | instskip(SKIP_1) | instid1(VALU_DEP_3)
	v_add_nc_u32_e32 v22, v22, v7
	v_and_b32_e32 v24, 7, v82
	v_add_nc_u32_e32 v23, v23, v8
	s_delay_alu instid0(VALU_DEP_2) | instskip(NEXT) | instid1(VALU_DEP_2)
	v_cmp_eq_u32_e32 vcc_lo, 0, v24
	v_dual_cndmask_b32 v8, v23, v8 :: v_dual_cndmask_b32 v7, v22, v7
	v_cmp_lt_u32_e32 vcc_lo, 1, v24
	s_delay_alu instid0(VALU_DEP_2) | instskip(NEXT) | instid1(VALU_DEP_3)
	v_mov_b32_dpp v23, v8 row_shr:2 row_mask:0xf bank_mask:0xf
	v_mov_b32_dpp v22, v7 row_shr:2 row_mask:0xf bank_mask:0xf
	s_delay_alu instid0(VALU_DEP_2) | instskip(NEXT) | instid1(VALU_DEP_2)
	v_add_nc_u32_e32 v23, v8, v23
	v_add_nc_u32_e32 v22, v7, v22
	s_delay_alu instid0(VALU_DEP_1) | instskip(SKIP_1) | instid1(VALU_DEP_2)
	v_dual_cndmask_b32 v8, v8, v23 :: v_dual_cndmask_b32 v7, v7, v22
	v_cmp_lt_u32_e32 vcc_lo, 3, v24
	v_mov_b32_dpp v23, v8 row_shr:4 row_mask:0xf bank_mask:0xf
	s_delay_alu instid0(VALU_DEP_3) | instskip(NEXT) | instid1(VALU_DEP_1)
	v_mov_b32_dpp v22, v7 row_shr:4 row_mask:0xf bank_mask:0xf
	v_dual_cndmask_b32 v23, 0, v23 :: v_dual_cndmask_b32 v22, 0, v22
	s_delay_alu instid0(VALU_DEP_1) | instskip(NEXT) | instid1(VALU_DEP_2)
	v_add_nc_u32_e32 v8, v23, v8
	v_add_nc_u32_e32 v7, v22, v7
	ds_store_b64 v9, v[7:8]
.LBB1291_123:
	s_or_b32 exec_lo, exec_lo, s0
	v_dual_mov_b32 v7, 0 :: v_dual_mov_b32 v22, 0
	v_mov_b32_e32 v23, 0
	s_mov_b32 s0, exec_lo
	s_waitcnt lgkmcnt(0)
	s_barrier
	buffer_gl0_inv
	v_cmpx_lt_u32_e32 31, v0
	s_cbranch_execz .LBB1291_125
; %bb.124:
	v_lshl_add_u32 v8, v83, 3, -8
	ds_load_b64 v[22:23], v8
.LBB1291_125:
	s_or_b32 exec_lo, exec_lo, s0
	v_add_nc_u32_e32 v8, -1, v82
	s_waitcnt lgkmcnt(0)
	v_add_nc_u32_e32 v24, v23, v6
	v_add_nc_u32_e32 v9, v22, v5
	ds_load_b64 v[5:6], v7 offset:56
	v_cmp_gt_i32_e32 vcc_lo, 0, v8
	v_cndmask_b32_e32 v8, v8, v82, vcc_lo
	s_delay_alu instid0(VALU_DEP_1)
	v_lshlrev_b32_e32 v8, 2, v8
	ds_bpermute_b32 v9, v8, v9
	ds_bpermute_b32 v24, v8, v24
	s_waitcnt lgkmcnt(2)
	v_readfirstlane_b32 s0, v6
	s_and_saveexec_b32 s1, s2
	s_cbranch_execz .LBB1291_127
; %bb.126:
	s_mov_b32 s8, 0
	s_add_u32 s6, s36, 0x200
	s_addc_u32 s7, s37, 0
	s_and_b32 s9, s0, 0xff000000
	s_and_b32 s11, s0, 0xff0000
	s_mov_b32 s10, s8
	v_mov_b32_e32 v26, s7
	s_or_b64 s[10:11], s[10:11], s[8:9]
	s_and_b32 s9, s0, 0xff00
	v_dual_mov_b32 v8, 0 :: v_dual_mov_b32 v25, s6
	s_or_b64 s[10:11], s[10:11], s[8:9]
	s_and_b32 s9, s0, 0xff
	v_mov_b32_e32 v7, 2
	s_or_b64 s[8:9], s[10:11], s[8:9]
	s_delay_alu instid0(SALU_CYCLE_1)
	v_mov_b32_e32 v6, s9
	;;#ASMSTART
	global_store_dwordx4 v[25:26], v[5:8] off	
s_waitcnt vmcnt(0)
	;;#ASMEND
.LBB1291_127:
	s_or_b32 exec_lo, exec_lo, s1
	v_cmp_eq_u32_e32 vcc_lo, 0, v82
	v_dual_mov_b32 v7, 0 :: v_dual_mov_b32 v6, s0
	s_waitcnt lgkmcnt(0)
	s_barrier
	v_dual_cndmask_b32 v8, v9, v22 :: v_dual_cndmask_b32 v9, v24, v23
	buffer_gl0_inv
	v_cndmask_b32_e64 v22, v8, 0, s2
	v_cndmask_b32_e64 v9, v9, 0, s2
	v_mov_b32_e32 v8, 0
.LBB1291_128:
	s_delay_alu instid0(VALU_DEP_1) | instskip(SKIP_1) | instid1(VALU_DEP_2)
	v_add_nc_u32_e32 v24, v9, v81
	s_waitcnt lgkmcnt(0)
	v_sub_nc_u32_e32 v9, v9, v8
	v_add_co_u32 v1, vcc_lo, v1, v7
	v_and_b32_e32 v35, 1, v35
	v_add_nc_u32_e32 v26, v24, v77
	v_sub_nc_u32_e32 v24, v24, v8
	v_lshlrev_b32_e32 v77, 1, v5
	v_add_nc_u32_e32 v9, v9, v5
	v_add_co_ci_u32_e32 v2, vcc_lo, 0, v2, vcc_lo
	v_add_nc_u32_e32 v28, v26, v79
	s_delay_alu instid0(VALU_DEP_4)
	v_add3_u32 v33, v77, v6, v33
	v_and_b32_e32 v40, 1, v40
	v_and_b32_e32 v37, 1, v37
	v_and_b32_e32 v36, 1, v36
	v_add_nc_u32_e32 v29, v28, v75
	v_sub_nc_u32_e32 v28, v28, v8
	v_sub_co_u32 v75, vcc_lo, v3, v5
	s_add_u32 s1, s14, -4
	s_delay_alu instid0(VALU_DEP_3) | instskip(SKIP_4) | instid1(VALU_DEP_3)
	v_add_nc_u32_e32 v73, v29, v73
	v_sub_nc_u32_e32 v29, v29, v8
	v_add_nc_u32_e32 v28, v28, v5
	v_add_nc_u32_e32 v24, v24, v5
	s_mov_b32 s3, -1
	v_add_nc_u32_e32 v29, v29, v5
	v_add_nc_u32_e32 v23, v22, v80
	v_sub_nc_u32_e32 v22, v22, v7
	s_delay_alu instid0(VALU_DEP_2) | instskip(SKIP_3) | instid1(VALU_DEP_3)
	v_add_nc_u32_e32 v25, v23, v76
	v_sub_nc_u32_e32 v23, v23, v7
	v_subrev_co_ci_u32_e32 v76, vcc_lo, 0, v4, vcc_lo
	v_cmp_eq_u32_e32 vcc_lo, 1, v35
	v_add_nc_u32_e32 v79, v24, v23
	s_delay_alu instid0(VALU_DEP_1) | instskip(NEXT) | instid1(VALU_DEP_1)
	v_sub_nc_u32_e32 v79, v33, v79
	v_add_nc_u32_e32 v79, 1, v79
	v_add_nc_u32_e32 v27, v25, v78
	;; [unrolled: 1-line block ×3, first 2 shown]
	s_delay_alu instid0(VALU_DEP_1) | instskip(NEXT) | instid1(VALU_DEP_1)
	v_sub_nc_u32_e32 v78, v33, v78
	v_dual_cndmask_b32 v9, v78, v9 :: v_dual_and_b32 v34, 1, v34
	v_cmp_eq_u32_e32 vcc_lo, 1, v40
	v_cndmask_b32_e32 v24, v79, v24, vcc_lo
	s_delay_alu instid0(VALU_DEP_3) | instskip(NEXT) | instid1(VALU_DEP_4)
	v_cmp_eq_u32_e32 vcc_lo, 1, v34
	v_cndmask_b32_e32 v9, v9, v22, vcc_lo
	v_sub_nc_u32_e32 v26, v26, v8
	v_cmp_eq_u32_e32 vcc_lo, 1, v37
	v_and_b32_e32 v37, 1, v38
	s_delay_alu instid0(VALU_DEP_4) | instskip(NEXT) | instid1(VALU_DEP_4)
	v_lshlrev_b32_e32 v9, 2, v9
	v_add_nc_u32_e32 v26, v26, v5
	v_cndmask_b32_e32 v24, v24, v23, vcc_lo
	v_sub_nc_u32_e32 v25, v25, v7
	v_add_co_u32 v22, vcc_lo, v75, v8
	v_add_co_ci_u32_e32 v23, vcc_lo, 0, v76, vcc_lo
	s_delay_alu instid0(VALU_DEP_3)
	v_add_nc_u32_e32 v34, v26, v25
	v_cmp_eq_u32_e32 vcc_lo, 1, v37
	v_lshlrev_b32_e32 v24, 2, v24
	ds_store_b32 v9, v20
	v_sub_nc_u32_e32 v34, v33, v34
	ds_store_b32 v24, v21
	v_and_b32_e32 v24, 1, v39
	v_add_nc_u32_e32 v34, 2, v34
	s_delay_alu instid0(VALU_DEP_1) | instskip(SKIP_3) | instid1(VALU_DEP_4)
	v_cndmask_b32_e32 v26, v34, v26, vcc_lo
	v_cmp_eq_u32_e32 vcc_lo, 1, v36
	v_add_nc_u32_e32 v74, v27, v74
	v_sub_nc_u32_e32 v27, v27, v7
	v_cndmask_b32_e32 v25, v26, v25, vcc_lo
	s_delay_alu instid0(VALU_DEP_3) | instskip(NEXT) | instid1(VALU_DEP_3)
	v_sub_nc_u32_e32 v37, v74, v7
	v_add_nc_u32_e32 v34, v27, v28
	v_cmp_eq_u32_e32 vcc_lo, 1, v24
	v_sub_nc_u32_e32 v26, v73, v8
	v_lshlrev_b32_e32 v21, 2, v25
	v_and_b32_e32 v25, 1, v41
	v_sub_nc_u32_e32 v9, v33, v34
	v_add_nc_u32_e32 v20, v37, v29
	v_and_b32_e32 v24, 1, v42
	v_add_nc_u32_e32 v26, v26, v5
	ds_store_b32 v21, v18
	v_add_nc_u32_e32 v9, 3, v9
	v_sub_nc_u32_e32 v20, v33, v20
	s_delay_alu instid0(VALU_DEP_2) | instskip(SKIP_2) | instid1(VALU_DEP_4)
	v_cndmask_b32_e32 v9, v9, v28, vcc_lo
	v_cmp_eq_u32_e32 vcc_lo, 1, v25
	v_add_nc_u32_e32 v72, v74, v72
	v_add_nc_u32_e32 v20, 4, v20
	v_and_b32_e32 v25, 1, v43
	v_cndmask_b32_e32 v9, v9, v27, vcc_lo
	s_delay_alu instid0(VALU_DEP_4)
	v_sub_nc_u32_e32 v28, v72, v7
	v_cmp_eq_u32_e32 vcc_lo, 1, v24
	v_and_b32_e32 v24, 1, v44
	v_add_nc_u32_e32 v70, v72, v70
	v_lshlrev_b32_e32 v9, 2, v9
	v_add_nc_u32_e32 v27, v28, v26
	v_cndmask_b32_e32 v20, v20, v29, vcc_lo
	v_cmp_eq_u32_e32 vcc_lo, 1, v25
	v_and_b32_e32 v25, 1, v45
	v_add_nc_u32_e32 v64, v70, v64
	v_sub_nc_u32_e32 v18, v33, v27
	v_sub_nc_u32_e32 v27, v70, v7
	v_cndmask_b32_e32 v20, v20, v37, vcc_lo
	v_cmp_eq_u32_e32 vcc_lo, 1, v24
	ds_store_b32 v9, v19
	v_add_nc_u32_e32 v18, 5, v18
	v_and_b32_e32 v19, 1, v46
	v_lshlrev_b32_e32 v20, 2, v20
	v_add_nc_u32_e32 v68, v64, v68
	s_delay_alu instid0(VALU_DEP_4)
	v_cndmask_b32_e32 v18, v18, v26, vcc_lo
	v_cmp_eq_u32_e32 vcc_lo, 1, v25
	v_sub_nc_u32_e32 v25, v64, v7
	ds_store_b32 v20, v16
	v_and_b32_e32 v20, 1, v49
	v_add_nc_u32_e32 v66, v68, v66
	v_dual_cndmask_b32 v18, v18, v28 :: v_dual_add_nc_u32 v71, v73, v71
	v_cmp_eq_u32_e32 vcc_lo, 1, v19
	v_and_b32_e32 v19, 1, v48
	s_delay_alu instid0(VALU_DEP_4) | instskip(NEXT) | instid1(VALU_DEP_4)
	v_add_nc_u32_e32 v61, v66, v61
	v_lshlrev_b32_e32 v18, 2, v18
	v_add_nc_u32_e32 v65, v71, v65
	v_sub_nc_u32_e32 v21, v71, v8
	s_delay_alu instid0(VALU_DEP_4)
	v_add_nc_u32_e32 v60, v61, v60
	ds_store_b32 v18, v17
	v_sub_nc_u32_e32 v24, v65, v8
	v_add_nc_u32_e32 v21, v21, v5
	v_add_nc_u32_e32 v69, v65, v69
	v_and_b32_e32 v17, 1, v47
	s_delay_alu instid0(VALU_DEP_4) | instskip(NEXT) | instid1(VALU_DEP_4)
	v_add_nc_u32_e32 v24, v24, v5
	v_add_nc_u32_e32 v26, v27, v21
	s_delay_alu instid0(VALU_DEP_4) | instskip(NEXT) | instid1(VALU_DEP_3)
	v_sub_nc_u32_e32 v18, v69, v8
	v_add_nc_u32_e32 v16, v25, v24
	s_delay_alu instid0(VALU_DEP_3) | instskip(NEXT) | instid1(VALU_DEP_3)
	v_sub_nc_u32_e32 v9, v33, v26
	v_add_nc_u32_e32 v18, v18, v5
	v_sub_nc_u32_e32 v26, v60, v7
	s_delay_alu instid0(VALU_DEP_4) | instskip(NEXT) | instid1(VALU_DEP_4)
	v_sub_nc_u32_e32 v16, v33, v16
	v_add_nc_u32_e32 v9, 6, v9
	s_delay_alu instid0(VALU_DEP_1) | instskip(SKIP_2) | instid1(VALU_DEP_3)
	v_dual_cndmask_b32 v9, v9, v21 :: v_dual_add_nc_u32 v16, 7, v16
	v_cmp_eq_u32_e32 vcc_lo, 1, v19
	v_sub_nc_u32_e32 v21, v68, v7
	v_cndmask_b32_e32 v16, v16, v24, vcc_lo
	v_cmp_eq_u32_e32 vcc_lo, 1, v17
	s_delay_alu instid0(VALU_DEP_3) | instskip(SKIP_3) | instid1(VALU_DEP_4)
	v_add_nc_u32_e32 v17, v21, v18
	v_cndmask_b32_e32 v9, v9, v27, vcc_lo
	v_cmp_eq_u32_e32 vcc_lo, 1, v20
	v_add_nc_u32_e32 v67, v69, v67
	v_sub_nc_u32_e32 v17, v33, v17
	v_sub_nc_u32_e32 v20, v66, v7
	v_lshlrev_b32_e32 v9, 2, v9
	v_cndmask_b32_e32 v16, v16, v25, vcc_lo
	v_sub_nc_u32_e32 v19, v67, v8
	v_add_nc_u32_e32 v62, v67, v62
	v_sub_nc_u32_e32 v25, v61, v7
	ds_store_b32 v9, v14
	v_and_b32_e32 v9, 1, v50
	v_add_nc_u32_e32 v19, v19, v5
	v_add_nc_u32_e32 v14, 8, v17
	v_lshlrev_b32_e32 v16, 2, v16
	v_add_nc_u32_e32 v63, v62, v63
	v_cmp_eq_u32_e32 vcc_lo, 1, v9
	v_add_nc_u32_e32 v17, v20, v19
	ds_store_b32 v16, v15
	v_and_b32_e32 v15, 1, v51
	v_cndmask_b32_e32 v9, v14, v18, vcc_lo
	v_sub_nc_u32_e32 v14, v33, v17
	v_and_b32_e32 v18, 1, v52
	v_sub_nc_u32_e32 v17, v62, v8
	v_and_b32_e32 v16, 1, v54
	v_sub_nc_u32_e32 v24, v63, v8
	v_add_nc_u32_e32 v14, 9, v14
	v_cmp_eq_u32_e32 vcc_lo, 1, v18
	v_add_nc_u32_e32 v17, v17, v5
	v_add_nc_u32_e32 v35, v63, v59
	;; [unrolled: 1-line block ×3, first 2 shown]
	v_cndmask_b32_e32 v14, v14, v19, vcc_lo
	v_cmp_eq_u32_e32 vcc_lo, 1, v15
	v_add_nc_u32_e32 v15, v25, v17
	s_delay_alu instid0(VALU_DEP_4)
	v_add_nc_u32_e32 v18, v26, v24
	v_and_b32_e32 v19, 1, v55
	v_cndmask_b32_e32 v9, v9, v21, vcc_lo
	v_cmp_eq_u32_e32 vcc_lo, 1, v16
	v_sub_nc_u32_e32 v15, v33, v15
	v_sub_nc_u32_e32 v18, v33, v18
	v_and_b32_e32 v21, 1, v57
	v_sub_nc_u32_e32 v16, v35, v8
	v_cndmask_b32_e32 v14, v14, v20, vcc_lo
	v_and_b32_e32 v20, 1, v53
	v_add_nc_u32_e32 v15, 10, v15
	v_add_nc_u32_e32 v18, 11, v18
	;; [unrolled: 1-line block ×3, first 2 shown]
	v_lshlrev_b32_e32 v9, 2, v9
	v_cmp_eq_u32_e32 vcc_lo, 1, v20
	v_dual_cndmask_b32 v15, v15, v17 :: v_dual_lshlrev_b32 v14, 2, v14
	v_cmp_eq_u32_e32 vcc_lo, 1, v21
	v_and_b32_e32 v17, 1, v56
	v_cndmask_b32_e32 v18, v18, v24, vcc_lo
	v_cmp_eq_u32_e32 vcc_lo, 1, v19
	v_cndmask_b32_e32 v15, v15, v25, vcc_lo
	s_delay_alu instid0(VALU_DEP_4) | instskip(NEXT) | instid1(VALU_DEP_2)
	v_cmp_eq_u32_e32 vcc_lo, 1, v17
	v_lshlrev_b32_e32 v15, 2, v15
	v_cndmask_b32_e32 v17, v18, v26, vcc_lo
	v_add_nc_u32_e32 v40, v60, v58
	s_delay_alu instid0(VALU_DEP_2) | instskip(NEXT) | instid1(VALU_DEP_2)
	v_lshlrev_b32_e32 v17, 2, v17
	v_sub_nc_u32_e32 v7, v40, v7
	ds_store_b32 v9, v12
	ds_store_b32 v14, v13
	;; [unrolled: 1-line block ×4, first 2 shown]
	v_add_co_u32 v9, s0, v6, v77
	s_delay_alu instid0(VALU_DEP_1) | instskip(SKIP_1) | instid1(VALU_DEP_3)
	v_add_co_ci_u32_e64 v10, null, 0, 0, s0
	v_add_nc_u32_e32 v27, v7, v16
	v_add_co_u32 v9, vcc_lo, v9, v22
	s_delay_alu instid0(VALU_DEP_3) | instskip(NEXT) | instid1(VALU_DEP_3)
	v_add_co_ci_u32_e32 v10, vcc_lo, v10, v23, vcc_lo
	v_sub_nc_u32_e32 v20, v33, v27
	v_add_co_u32 v11, s0, s34, v30
	s_delay_alu instid0(VALU_DEP_4) | instskip(NEXT) | instid1(VALU_DEP_3)
	v_add_co_u32 v9, vcc_lo, v9, v1
	v_add_nc_u32_e32 v18, 12, v20
	v_add_co_ci_u32_e64 v12, null, s35, 0, s0
	v_add_co_ci_u32_e32 v10, vcc_lo, v10, v2, vcc_lo
	s_delay_alu instid0(VALU_DEP_3) | instskip(SKIP_1) | instid1(VALU_DEP_2)
	v_cndmask_b32_e64 v16, v18, v16, s33
	v_add_nc_u32_e32 v14, v5, v6
	v_cndmask_b32_e64 v7, v16, v7, s27
	s_delay_alu instid0(VALU_DEP_1)
	v_lshlrev_b32_e32 v7, 2, v7
	ds_store_b32 v7, v32
	v_sub_co_u32 v7, vcc_lo, v11, v9
	v_sub_co_ci_u32_e32 v13, vcc_lo, v12, v10, vcc_lo
	v_lshlrev_b64 v[9:10], 2, v[22:23]
	v_lshlrev_b64 v[11:12], 2, v[1:2]
	s_waitcnt lgkmcnt(0)
	s_barrier
	buffer_gl0_inv
	v_add_co_u32 v9, vcc_lo, s30, v9
	v_add_co_ci_u32_e32 v10, vcc_lo, s31, v10, vcc_lo
	v_cmp_ne_u32_e32 vcc_lo, 1, v31
	v_add_co_u32 v11, s0, s28, v11
	s_delay_alu instid0(VALU_DEP_1)
	v_add_co_ci_u32_e64 v12, s0, s29, v12, s0
	s_addc_u32 s0, s15, -1
	s_cbranch_vccz .LBB1291_132
; %bb.129:
	s_and_b32 vcc_lo, exec_lo, s3
	s_cbranch_vccnz .LBB1291_237
.LBB1291_130:
	s_and_b32 s0, s2, s13
	s_delay_alu instid0(SALU_CYCLE_1)
	s_and_saveexec_b32 s1, s0
	s_cbranch_execnz .LBB1291_355
.LBB1291_131:
	s_nop 0
	s_sendmsg sendmsg(MSG_DEALLOC_VGPRS)
	s_endpgm
.LBB1291_132:
	s_mov_b32 s3, exec_lo
	v_cmpx_le_u32_e64 v5, v0
	s_xor_b32 s3, exec_lo, s3
	s_cbranch_execz .LBB1291_138
; %bb.133:
	s_mov_b32 s5, exec_lo
	v_cmpx_le_u32_e64 v14, v0
	s_xor_b32 s5, exec_lo, s5
	s_cbranch_execz .LBB1291_135
; %bb.134:
	v_lshlrev_b32_e32 v15, 2, v0
	ds_load_b32 v17, v15
	v_add_co_u32 v15, vcc_lo, v7, v0
	v_add_co_ci_u32_e32 v16, vcc_lo, 0, v13, vcc_lo
	s_delay_alu instid0(VALU_DEP_1) | instskip(NEXT) | instid1(VALU_DEP_1)
	v_lshlrev_b64 v[15:16], 2, v[15:16]
	v_sub_co_u32 v15, vcc_lo, s14, v15
	s_delay_alu instid0(VALU_DEP_2)
	v_sub_co_ci_u32_e32 v16, vcc_lo, s15, v16, vcc_lo
	s_waitcnt lgkmcnt(0)
	global_store_b32 v[15:16], v17, off offset:-4
.LBB1291_135:
	s_and_not1_saveexec_b32 s5, s5
	s_cbranch_execz .LBB1291_137
; %bb.136:
	v_lshlrev_b32_e32 v15, 2, v0
	v_readfirstlane_b32 s6, v9
	v_readfirstlane_b32 s7, v10
	ds_load_b32 v16, v15
	s_waitcnt lgkmcnt(0)
	global_store_b32 v15, v16, s[6:7]
.LBB1291_137:
	s_or_b32 exec_lo, exec_lo, s5
.LBB1291_138:
	s_and_not1_saveexec_b32 s3, s3
	s_cbranch_execz .LBB1291_140
; %bb.139:
	v_lshlrev_b32_e32 v15, 2, v0
	v_readfirstlane_b32 s6, v11
	v_readfirstlane_b32 s7, v12
	ds_load_b32 v16, v15
	s_waitcnt lgkmcnt(0)
	global_store_b32 v15, v16, s[6:7]
.LBB1291_140:
	s_or_b32 exec_lo, exec_lo, s3
	v_or_b32_e32 v15, 0x100, v0
	s_mov_b32 s3, exec_lo
	s_delay_alu instid0(VALU_DEP_1)
	v_cmpx_le_u32_e64 v5, v15
	s_xor_b32 s3, exec_lo, s3
	s_cbranch_execz .LBB1291_146
; %bb.141:
	s_mov_b32 s5, exec_lo
	v_cmpx_le_u32_e64 v14, v15
	s_xor_b32 s5, exec_lo, s5
	s_cbranch_execz .LBB1291_143
; %bb.142:
	v_lshlrev_b32_e32 v15, 2, v0
	ds_load_b32 v17, v15 offset:1024
	v_add_co_u32 v15, vcc_lo, v7, v0
	v_add_co_ci_u32_e32 v16, vcc_lo, 0, v13, vcc_lo
	s_delay_alu instid0(VALU_DEP_1) | instskip(NEXT) | instid1(VALU_DEP_1)
	v_lshlrev_b64 v[15:16], 2, v[15:16]
	v_sub_co_u32 v15, vcc_lo, s1, v15
	s_delay_alu instid0(VALU_DEP_2)
	v_sub_co_ci_u32_e32 v16, vcc_lo, s0, v16, vcc_lo
	s_waitcnt lgkmcnt(0)
	global_store_b32 v[15:16], v17, off offset:-1024
.LBB1291_143:
	s_and_not1_saveexec_b32 s5, s5
	s_cbranch_execz .LBB1291_145
; %bb.144:
	v_lshlrev_b32_e32 v15, 2, v0
	v_readfirstlane_b32 s6, v9
	v_readfirstlane_b32 s7, v10
	ds_load_b32 v16, v15 offset:1024
	s_waitcnt lgkmcnt(0)
	global_store_b32 v15, v16, s[6:7] offset:1024
.LBB1291_145:
	s_or_b32 exec_lo, exec_lo, s5
.LBB1291_146:
	s_and_not1_saveexec_b32 s3, s3
	s_cbranch_execz .LBB1291_148
; %bb.147:
	v_lshlrev_b32_e32 v15, 2, v0
	v_readfirstlane_b32 s6, v11
	v_readfirstlane_b32 s7, v12
	ds_load_b32 v16, v15 offset:1024
	s_waitcnt lgkmcnt(0)
	global_store_b32 v15, v16, s[6:7] offset:1024
.LBB1291_148:
	s_or_b32 exec_lo, exec_lo, s3
	v_or_b32_e32 v15, 0x200, v0
	s_mov_b32 s3, exec_lo
	s_delay_alu instid0(VALU_DEP_1)
	v_cmpx_le_u32_e64 v5, v15
	s_xor_b32 s3, exec_lo, s3
	s_cbranch_execz .LBB1291_154
; %bb.149:
	s_mov_b32 s5, exec_lo
	v_cmpx_le_u32_e64 v14, v15
	s_xor_b32 s5, exec_lo, s5
	s_cbranch_execz .LBB1291_151
; %bb.150:
	v_lshlrev_b32_e32 v15, 2, v0
	ds_load_b32 v17, v15 offset:2048
	v_add_co_u32 v15, vcc_lo, v7, v0
	v_add_co_ci_u32_e32 v16, vcc_lo, 0, v13, vcc_lo
	s_delay_alu instid0(VALU_DEP_1) | instskip(NEXT) | instid1(VALU_DEP_1)
	v_lshlrev_b64 v[15:16], 2, v[15:16]
	v_sub_co_u32 v15, vcc_lo, s1, v15
	s_delay_alu instid0(VALU_DEP_2)
	v_sub_co_ci_u32_e32 v16, vcc_lo, s0, v16, vcc_lo
	s_waitcnt lgkmcnt(0)
	global_store_b32 v[15:16], v17, off offset:-2048
.LBB1291_151:
	s_and_not1_saveexec_b32 s5, s5
	s_cbranch_execz .LBB1291_153
; %bb.152:
	v_lshlrev_b32_e32 v15, 2, v0
	v_readfirstlane_b32 s6, v9
	v_readfirstlane_b32 s7, v10
	ds_load_b32 v16, v15 offset:2048
	s_waitcnt lgkmcnt(0)
	global_store_b32 v15, v16, s[6:7] offset:2048
.LBB1291_153:
	s_or_b32 exec_lo, exec_lo, s5
.LBB1291_154:
	s_and_not1_saveexec_b32 s3, s3
	s_cbranch_execz .LBB1291_156
; %bb.155:
	v_lshlrev_b32_e32 v15, 2, v0
	v_readfirstlane_b32 s6, v11
	v_readfirstlane_b32 s7, v12
	ds_load_b32 v16, v15 offset:2048
	s_waitcnt lgkmcnt(0)
	global_store_b32 v15, v16, s[6:7] offset:2048
.LBB1291_156:
	;; [unrolled: 47-line block ×3, first 2 shown]
	s_or_b32 exec_lo, exec_lo, s3
	v_or_b32_e32 v15, 0x400, v0
	s_mov_b32 s3, exec_lo
	s_delay_alu instid0(VALU_DEP_1)
	v_cmpx_le_u32_e64 v5, v15
	s_xor_b32 s3, exec_lo, s3
	s_cbranch_execz .LBB1291_170
; %bb.165:
	s_mov_b32 s5, exec_lo
	v_cmpx_le_u32_e64 v14, v15
	s_xor_b32 s5, exec_lo, s5
	s_cbranch_execz .LBB1291_167
; %bb.166:
	v_lshlrev_b32_e32 v15, 2, v0
	ds_load_b32 v17, v15 offset:4096
	v_add_co_u32 v15, vcc_lo, v7, v0
	v_add_co_ci_u32_e32 v16, vcc_lo, 0, v13, vcc_lo
	s_delay_alu instid0(VALU_DEP_1) | instskip(NEXT) | instid1(VALU_DEP_1)
	v_lshlrev_b64 v[15:16], 2, v[15:16]
	v_sub_co_u32 v15, vcc_lo, s1, v15
	s_delay_alu instid0(VALU_DEP_2)
	v_sub_co_ci_u32_e32 v16, vcc_lo, s0, v16, vcc_lo
	s_waitcnt lgkmcnt(0)
	global_store_b32 v[15:16], v17, off offset:-4096
                                        ; implicit-def: $vgpr15
.LBB1291_167:
	s_and_not1_saveexec_b32 s5, s5
	s_cbranch_execz .LBB1291_169
; %bb.168:
	v_lshlrev_b32_e32 v16, 2, v0
	v_lshlrev_b32_e32 v15, 2, v15
	v_readfirstlane_b32 s6, v9
	v_readfirstlane_b32 s7, v10
	ds_load_b32 v16, v16 offset:4096
	s_waitcnt lgkmcnt(0)
	global_store_b32 v15, v16, s[6:7]
.LBB1291_169:
	s_or_b32 exec_lo, exec_lo, s5
                                        ; implicit-def: $vgpr15
.LBB1291_170:
	s_and_not1_saveexec_b32 s3, s3
	s_cbranch_execz .LBB1291_172
; %bb.171:
	v_lshlrev_b32_e32 v16, 2, v0
	v_lshlrev_b32_e32 v15, 2, v15
	v_readfirstlane_b32 s6, v11
	v_readfirstlane_b32 s7, v12
	ds_load_b32 v16, v16 offset:4096
	s_waitcnt lgkmcnt(0)
	global_store_b32 v15, v16, s[6:7]
.LBB1291_172:
	s_or_b32 exec_lo, exec_lo, s3
	v_or_b32_e32 v15, 0x500, v0
	s_mov_b32 s3, exec_lo
	s_delay_alu instid0(VALU_DEP_1)
	v_cmpx_le_u32_e64 v5, v15
	s_xor_b32 s3, exec_lo, s3
	s_cbranch_execz .LBB1291_178
; %bb.173:
	s_mov_b32 s5, exec_lo
	v_cmpx_le_u32_e64 v14, v15
	s_xor_b32 s5, exec_lo, s5
	s_cbranch_execz .LBB1291_175
; %bb.174:
	v_lshlrev_b32_e32 v16, 2, v0
	v_add_co_u32 v15, vcc_lo, v7, v15
	ds_load_b32 v17, v16 offset:5120
	v_add_co_ci_u32_e32 v16, vcc_lo, 0, v13, vcc_lo
	s_delay_alu instid0(VALU_DEP_1) | instskip(NEXT) | instid1(VALU_DEP_1)
	v_lshlrev_b64 v[15:16], 2, v[15:16]
	v_sub_co_u32 v15, vcc_lo, s1, v15
	s_delay_alu instid0(VALU_DEP_2)
	v_sub_co_ci_u32_e32 v16, vcc_lo, s0, v16, vcc_lo
	s_waitcnt lgkmcnt(0)
	global_store_b32 v[15:16], v17, off
                                        ; implicit-def: $vgpr15
.LBB1291_175:
	s_and_not1_saveexec_b32 s5, s5
	s_cbranch_execz .LBB1291_177
; %bb.176:
	v_lshlrev_b32_e32 v16, 2, v0
	v_lshlrev_b32_e32 v15, 2, v15
	v_readfirstlane_b32 s6, v9
	v_readfirstlane_b32 s7, v10
	ds_load_b32 v16, v16 offset:5120
	s_waitcnt lgkmcnt(0)
	global_store_b32 v15, v16, s[6:7]
.LBB1291_177:
	s_or_b32 exec_lo, exec_lo, s5
                                        ; implicit-def: $vgpr15
.LBB1291_178:
	s_and_not1_saveexec_b32 s3, s3
	s_cbranch_execz .LBB1291_180
; %bb.179:
	v_lshlrev_b32_e32 v16, 2, v0
	v_lshlrev_b32_e32 v15, 2, v15
	v_readfirstlane_b32 s6, v11
	v_readfirstlane_b32 s7, v12
	ds_load_b32 v16, v16 offset:5120
	s_waitcnt lgkmcnt(0)
	global_store_b32 v15, v16, s[6:7]
.LBB1291_180:
	s_or_b32 exec_lo, exec_lo, s3
	v_or_b32_e32 v15, 0x600, v0
	s_mov_b32 s3, exec_lo
	s_delay_alu instid0(VALU_DEP_1)
	v_cmpx_le_u32_e64 v5, v15
	s_xor_b32 s3, exec_lo, s3
	s_cbranch_execz .LBB1291_186
; %bb.181:
	s_mov_b32 s5, exec_lo
	v_cmpx_le_u32_e64 v14, v15
	s_xor_b32 s5, exec_lo, s5
	s_cbranch_execz .LBB1291_183
; %bb.182:
	v_lshlrev_b32_e32 v16, 2, v0
	v_add_co_u32 v15, vcc_lo, v7, v15
	ds_load_b32 v17, v16 offset:6144
	v_add_co_ci_u32_e32 v16, vcc_lo, 0, v13, vcc_lo
	s_delay_alu instid0(VALU_DEP_1) | instskip(NEXT) | instid1(VALU_DEP_1)
	v_lshlrev_b64 v[15:16], 2, v[15:16]
	v_sub_co_u32 v15, vcc_lo, s1, v15
	s_delay_alu instid0(VALU_DEP_2)
	v_sub_co_ci_u32_e32 v16, vcc_lo, s0, v16, vcc_lo
	s_waitcnt lgkmcnt(0)
	global_store_b32 v[15:16], v17, off
                                        ; implicit-def: $vgpr15
.LBB1291_183:
	s_and_not1_saveexec_b32 s5, s5
	s_cbranch_execz .LBB1291_185
; %bb.184:
	v_lshlrev_b32_e32 v16, 2, v0
	v_lshlrev_b32_e32 v15, 2, v15
	v_readfirstlane_b32 s6, v9
	v_readfirstlane_b32 s7, v10
	ds_load_b32 v16, v16 offset:6144
	s_waitcnt lgkmcnt(0)
	global_store_b32 v15, v16, s[6:7]
.LBB1291_185:
	s_or_b32 exec_lo, exec_lo, s5
                                        ; implicit-def: $vgpr15
.LBB1291_186:
	;; [unrolled: 51-line block ×8, first 2 shown]
	s_and_not1_saveexec_b32 s3, s3
	s_cbranch_execz .LBB1291_236
; %bb.235:
	v_lshlrev_b32_e32 v16, 2, v0
	v_lshlrev_b32_e32 v15, 2, v15
	v_readfirstlane_b32 s6, v11
	v_readfirstlane_b32 s7, v12
	ds_load_b32 v16, v16 offset:12288
	s_waitcnt lgkmcnt(0)
	global_store_b32 v15, v16, s[6:7]
.LBB1291_236:
	s_or_b32 exec_lo, exec_lo, s3
	s_branch .LBB1291_130
.LBB1291_237:
	s_mov_b32 s3, exec_lo
	v_cmpx_gt_u32_e64 s4, v0
	s_cbranch_execz .LBB1291_246
; %bb.238:
	s_mov_b32 s5, exec_lo
	v_cmpx_le_u32_e64 v5, v0
	s_xor_b32 s5, exec_lo, s5
	s_cbranch_execz .LBB1291_244
; %bb.239:
	s_mov_b32 s6, exec_lo
	v_cmpx_le_u32_e64 v14, v0
	s_xor_b32 s6, exec_lo, s6
	s_cbranch_execz .LBB1291_241
; %bb.240:
	v_lshlrev_b32_e32 v15, 2, v0
	ds_load_b32 v17, v15
	v_add_co_u32 v15, vcc_lo, v7, v0
	v_add_co_ci_u32_e32 v16, vcc_lo, 0, v13, vcc_lo
	s_delay_alu instid0(VALU_DEP_1) | instskip(NEXT) | instid1(VALU_DEP_1)
	v_lshlrev_b64 v[15:16], 2, v[15:16]
	v_sub_co_u32 v15, vcc_lo, s14, v15
	s_delay_alu instid0(VALU_DEP_2)
	v_sub_co_ci_u32_e32 v16, vcc_lo, s15, v16, vcc_lo
	s_waitcnt lgkmcnt(0)
	global_store_b32 v[15:16], v17, off offset:-4
.LBB1291_241:
	s_and_not1_saveexec_b32 s6, s6
	s_cbranch_execz .LBB1291_243
; %bb.242:
	v_lshlrev_b32_e32 v15, 2, v0
	v_readfirstlane_b32 s8, v9
	v_readfirstlane_b32 s9, v10
	ds_load_b32 v16, v15
	s_waitcnt lgkmcnt(0)
	global_store_b32 v15, v16, s[8:9]
.LBB1291_243:
	s_or_b32 exec_lo, exec_lo, s6
.LBB1291_244:
	s_and_not1_saveexec_b32 s5, s5
	s_cbranch_execz .LBB1291_246
; %bb.245:
	v_lshlrev_b32_e32 v15, 2, v0
	v_readfirstlane_b32 s6, v11
	v_readfirstlane_b32 s7, v12
	ds_load_b32 v16, v15
	s_waitcnt lgkmcnt(0)
	global_store_b32 v15, v16, s[6:7]
.LBB1291_246:
	s_or_b32 exec_lo, exec_lo, s3
	v_or_b32_e32 v15, 0x100, v0
	s_mov_b32 s3, exec_lo
	s_delay_alu instid0(VALU_DEP_1)
	v_cmpx_gt_u32_e64 s4, v15
	s_cbranch_execz .LBB1291_255
; %bb.247:
	s_mov_b32 s5, exec_lo
	v_cmpx_le_u32_e64 v5, v15
	s_xor_b32 s5, exec_lo, s5
	s_cbranch_execz .LBB1291_253
; %bb.248:
	s_mov_b32 s6, exec_lo
	v_cmpx_le_u32_e64 v14, v15
	s_xor_b32 s6, exec_lo, s6
	s_cbranch_execz .LBB1291_250
; %bb.249:
	v_lshlrev_b32_e32 v15, 2, v0
	ds_load_b32 v17, v15 offset:1024
	v_add_co_u32 v15, vcc_lo, v7, v0
	v_add_co_ci_u32_e32 v16, vcc_lo, 0, v13, vcc_lo
	s_delay_alu instid0(VALU_DEP_1) | instskip(NEXT) | instid1(VALU_DEP_1)
	v_lshlrev_b64 v[15:16], 2, v[15:16]
	v_sub_co_u32 v15, vcc_lo, s1, v15
	s_delay_alu instid0(VALU_DEP_2)
	v_sub_co_ci_u32_e32 v16, vcc_lo, s0, v16, vcc_lo
	s_waitcnt lgkmcnt(0)
	global_store_b32 v[15:16], v17, off offset:-1024
.LBB1291_250:
	s_and_not1_saveexec_b32 s6, s6
	s_cbranch_execz .LBB1291_252
; %bb.251:
	v_lshlrev_b32_e32 v15, 2, v0
	v_readfirstlane_b32 s8, v9
	v_readfirstlane_b32 s9, v10
	ds_load_b32 v16, v15 offset:1024
	s_waitcnt lgkmcnt(0)
	global_store_b32 v15, v16, s[8:9] offset:1024
.LBB1291_252:
	s_or_b32 exec_lo, exec_lo, s6
.LBB1291_253:
	s_and_not1_saveexec_b32 s5, s5
	s_cbranch_execz .LBB1291_255
; %bb.254:
	v_lshlrev_b32_e32 v15, 2, v0
	v_readfirstlane_b32 s6, v11
	v_readfirstlane_b32 s7, v12
	ds_load_b32 v16, v15 offset:1024
	s_waitcnt lgkmcnt(0)
	global_store_b32 v15, v16, s[6:7] offset:1024
.LBB1291_255:
	s_or_b32 exec_lo, exec_lo, s3
	v_or_b32_e32 v15, 0x200, v0
	s_mov_b32 s3, exec_lo
	s_delay_alu instid0(VALU_DEP_1)
	v_cmpx_gt_u32_e64 s4, v15
	s_cbranch_execz .LBB1291_264
; %bb.256:
	s_mov_b32 s5, exec_lo
	v_cmpx_le_u32_e64 v5, v15
	s_xor_b32 s5, exec_lo, s5
	s_cbranch_execz .LBB1291_262
; %bb.257:
	s_mov_b32 s6, exec_lo
	v_cmpx_le_u32_e64 v14, v15
	s_xor_b32 s6, exec_lo, s6
	s_cbranch_execz .LBB1291_259
; %bb.258:
	v_lshlrev_b32_e32 v15, 2, v0
	ds_load_b32 v17, v15 offset:2048
	v_add_co_u32 v15, vcc_lo, v7, v0
	v_add_co_ci_u32_e32 v16, vcc_lo, 0, v13, vcc_lo
	s_delay_alu instid0(VALU_DEP_1) | instskip(NEXT) | instid1(VALU_DEP_1)
	v_lshlrev_b64 v[15:16], 2, v[15:16]
	v_sub_co_u32 v15, vcc_lo, s1, v15
	s_delay_alu instid0(VALU_DEP_2)
	v_sub_co_ci_u32_e32 v16, vcc_lo, s0, v16, vcc_lo
	s_waitcnt lgkmcnt(0)
	global_store_b32 v[15:16], v17, off offset:-2048
.LBB1291_259:
	s_and_not1_saveexec_b32 s6, s6
	s_cbranch_execz .LBB1291_261
; %bb.260:
	v_lshlrev_b32_e32 v15, 2, v0
	v_readfirstlane_b32 s8, v9
	v_readfirstlane_b32 s9, v10
	ds_load_b32 v16, v15 offset:2048
	s_waitcnt lgkmcnt(0)
	global_store_b32 v15, v16, s[8:9] offset:2048
.LBB1291_261:
	s_or_b32 exec_lo, exec_lo, s6
.LBB1291_262:
	s_and_not1_saveexec_b32 s5, s5
	s_cbranch_execz .LBB1291_264
; %bb.263:
	v_lshlrev_b32_e32 v15, 2, v0
	v_readfirstlane_b32 s6, v11
	v_readfirstlane_b32 s7, v12
	ds_load_b32 v16, v15 offset:2048
	s_waitcnt lgkmcnt(0)
	global_store_b32 v15, v16, s[6:7] offset:2048
.LBB1291_264:
	s_or_b32 exec_lo, exec_lo, s3
	v_or_b32_e32 v15, 0x300, v0
	s_mov_b32 s3, exec_lo
	s_delay_alu instid0(VALU_DEP_1)
	v_cmpx_gt_u32_e64 s4, v15
	s_cbranch_execz .LBB1291_273
; %bb.265:
	s_mov_b32 s5, exec_lo
	v_cmpx_le_u32_e64 v5, v15
	s_xor_b32 s5, exec_lo, s5
	s_cbranch_execz .LBB1291_271
; %bb.266:
	s_mov_b32 s6, exec_lo
	v_cmpx_le_u32_e64 v14, v15
	s_xor_b32 s6, exec_lo, s6
	s_cbranch_execz .LBB1291_268
; %bb.267:
	v_lshlrev_b32_e32 v15, 2, v0
	ds_load_b32 v17, v15 offset:3072
	v_add_co_u32 v15, vcc_lo, v7, v0
	v_add_co_ci_u32_e32 v16, vcc_lo, 0, v13, vcc_lo
	s_delay_alu instid0(VALU_DEP_1) | instskip(NEXT) | instid1(VALU_DEP_1)
	v_lshlrev_b64 v[15:16], 2, v[15:16]
	v_sub_co_u32 v15, vcc_lo, s1, v15
	s_delay_alu instid0(VALU_DEP_2)
	v_sub_co_ci_u32_e32 v16, vcc_lo, s0, v16, vcc_lo
	s_waitcnt lgkmcnt(0)
	global_store_b32 v[15:16], v17, off offset:-3072
.LBB1291_268:
	s_and_not1_saveexec_b32 s6, s6
	s_cbranch_execz .LBB1291_270
; %bb.269:
	v_lshlrev_b32_e32 v15, 2, v0
	v_readfirstlane_b32 s8, v9
	v_readfirstlane_b32 s9, v10
	ds_load_b32 v16, v15 offset:3072
	s_waitcnt lgkmcnt(0)
	global_store_b32 v15, v16, s[8:9] offset:3072
.LBB1291_270:
	s_or_b32 exec_lo, exec_lo, s6
.LBB1291_271:
	s_and_not1_saveexec_b32 s5, s5
	s_cbranch_execz .LBB1291_273
; %bb.272:
	v_lshlrev_b32_e32 v15, 2, v0
	v_readfirstlane_b32 s6, v11
	v_readfirstlane_b32 s7, v12
	ds_load_b32 v16, v15 offset:3072
	s_waitcnt lgkmcnt(0)
	global_store_b32 v15, v16, s[6:7] offset:3072
.LBB1291_273:
	s_or_b32 exec_lo, exec_lo, s3
	v_or_b32_e32 v15, 0x400, v0
	s_mov_b32 s3, exec_lo
	s_delay_alu instid0(VALU_DEP_1)
	v_cmpx_gt_u32_e64 s4, v15
	s_cbranch_execz .LBB1291_282
; %bb.274:
	s_mov_b32 s5, exec_lo
	v_cmpx_le_u32_e64 v5, v15
	s_xor_b32 s5, exec_lo, s5
	s_cbranch_execz .LBB1291_280
; %bb.275:
	s_mov_b32 s6, exec_lo
	v_cmpx_le_u32_e64 v14, v15
	s_xor_b32 s6, exec_lo, s6
	s_cbranch_execz .LBB1291_277
; %bb.276:
	v_lshlrev_b32_e32 v15, 2, v0
	ds_load_b32 v17, v15 offset:4096
	v_add_co_u32 v15, vcc_lo, v7, v0
	v_add_co_ci_u32_e32 v16, vcc_lo, 0, v13, vcc_lo
	s_delay_alu instid0(VALU_DEP_1) | instskip(NEXT) | instid1(VALU_DEP_1)
	v_lshlrev_b64 v[15:16], 2, v[15:16]
	v_sub_co_u32 v15, vcc_lo, s1, v15
	s_delay_alu instid0(VALU_DEP_2)
	v_sub_co_ci_u32_e32 v16, vcc_lo, s0, v16, vcc_lo
	s_waitcnt lgkmcnt(0)
	global_store_b32 v[15:16], v17, off offset:-4096
                                        ; implicit-def: $vgpr15
.LBB1291_277:
	s_and_not1_saveexec_b32 s6, s6
	s_cbranch_execz .LBB1291_279
; %bb.278:
	v_lshlrev_b32_e32 v16, 2, v0
	v_lshlrev_b32_e32 v15, 2, v15
	v_readfirstlane_b32 s8, v9
	v_readfirstlane_b32 s9, v10
	ds_load_b32 v16, v16 offset:4096
	s_waitcnt lgkmcnt(0)
	global_store_b32 v15, v16, s[8:9]
.LBB1291_279:
	s_or_b32 exec_lo, exec_lo, s6
                                        ; implicit-def: $vgpr15
.LBB1291_280:
	s_and_not1_saveexec_b32 s5, s5
	s_cbranch_execz .LBB1291_282
; %bb.281:
	v_lshlrev_b32_e32 v16, 2, v0
	v_lshlrev_b32_e32 v15, 2, v15
	v_readfirstlane_b32 s6, v11
	v_readfirstlane_b32 s7, v12
	ds_load_b32 v16, v16 offset:4096
	s_waitcnt lgkmcnt(0)
	global_store_b32 v15, v16, s[6:7]
.LBB1291_282:
	s_or_b32 exec_lo, exec_lo, s3
	v_or_b32_e32 v15, 0x500, v0
	s_mov_b32 s3, exec_lo
	s_delay_alu instid0(VALU_DEP_1)
	v_cmpx_gt_u32_e64 s4, v15
	s_cbranch_execz .LBB1291_291
; %bb.283:
	s_mov_b32 s5, exec_lo
	v_cmpx_le_u32_e64 v5, v15
	s_xor_b32 s5, exec_lo, s5
	s_cbranch_execz .LBB1291_289
; %bb.284:
	s_mov_b32 s6, exec_lo
	v_cmpx_le_u32_e64 v14, v15
	s_xor_b32 s6, exec_lo, s6
	s_cbranch_execz .LBB1291_286
; %bb.285:
	v_lshlrev_b32_e32 v16, 2, v0
	v_add_co_u32 v15, vcc_lo, v7, v15
	ds_load_b32 v17, v16 offset:5120
	v_add_co_ci_u32_e32 v16, vcc_lo, 0, v13, vcc_lo
	s_delay_alu instid0(VALU_DEP_1) | instskip(NEXT) | instid1(VALU_DEP_1)
	v_lshlrev_b64 v[15:16], 2, v[15:16]
	v_sub_co_u32 v15, vcc_lo, s1, v15
	s_delay_alu instid0(VALU_DEP_2)
	v_sub_co_ci_u32_e32 v16, vcc_lo, s0, v16, vcc_lo
	s_waitcnt lgkmcnt(0)
	global_store_b32 v[15:16], v17, off
                                        ; implicit-def: $vgpr15
.LBB1291_286:
	s_and_not1_saveexec_b32 s6, s6
	s_cbranch_execz .LBB1291_288
; %bb.287:
	v_lshlrev_b32_e32 v16, 2, v0
	v_lshlrev_b32_e32 v15, 2, v15
	v_readfirstlane_b32 s8, v9
	v_readfirstlane_b32 s9, v10
	ds_load_b32 v16, v16 offset:5120
	s_waitcnt lgkmcnt(0)
	global_store_b32 v15, v16, s[8:9]
.LBB1291_288:
	s_or_b32 exec_lo, exec_lo, s6
                                        ; implicit-def: $vgpr15
.LBB1291_289:
	s_and_not1_saveexec_b32 s5, s5
	s_cbranch_execz .LBB1291_291
; %bb.290:
	v_lshlrev_b32_e32 v16, 2, v0
	v_lshlrev_b32_e32 v15, 2, v15
	v_readfirstlane_b32 s6, v11
	v_readfirstlane_b32 s7, v12
	ds_load_b32 v16, v16 offset:5120
	s_waitcnt lgkmcnt(0)
	global_store_b32 v15, v16, s[6:7]
.LBB1291_291:
	s_or_b32 exec_lo, exec_lo, s3
	v_or_b32_e32 v15, 0x600, v0
	s_mov_b32 s3, exec_lo
	s_delay_alu instid0(VALU_DEP_1)
	v_cmpx_gt_u32_e64 s4, v15
	s_cbranch_execz .LBB1291_300
; %bb.292:
	s_mov_b32 s5, exec_lo
	v_cmpx_le_u32_e64 v5, v15
	s_xor_b32 s5, exec_lo, s5
	s_cbranch_execz .LBB1291_298
; %bb.293:
	s_mov_b32 s6, exec_lo
	v_cmpx_le_u32_e64 v14, v15
	s_xor_b32 s6, exec_lo, s6
	s_cbranch_execz .LBB1291_295
; %bb.294:
	v_lshlrev_b32_e32 v16, 2, v0
	v_add_co_u32 v15, vcc_lo, v7, v15
	ds_load_b32 v17, v16 offset:6144
	v_add_co_ci_u32_e32 v16, vcc_lo, 0, v13, vcc_lo
	s_delay_alu instid0(VALU_DEP_1) | instskip(NEXT) | instid1(VALU_DEP_1)
	v_lshlrev_b64 v[15:16], 2, v[15:16]
	v_sub_co_u32 v15, vcc_lo, s1, v15
	s_delay_alu instid0(VALU_DEP_2)
	v_sub_co_ci_u32_e32 v16, vcc_lo, s0, v16, vcc_lo
	s_waitcnt lgkmcnt(0)
	global_store_b32 v[15:16], v17, off
                                        ; implicit-def: $vgpr15
.LBB1291_295:
	s_and_not1_saveexec_b32 s6, s6
	s_cbranch_execz .LBB1291_297
; %bb.296:
	v_lshlrev_b32_e32 v16, 2, v0
	v_lshlrev_b32_e32 v15, 2, v15
	v_readfirstlane_b32 s8, v9
	v_readfirstlane_b32 s9, v10
	ds_load_b32 v16, v16 offset:6144
	s_waitcnt lgkmcnt(0)
	global_store_b32 v15, v16, s[8:9]
.LBB1291_297:
	s_or_b32 exec_lo, exec_lo, s6
                                        ; implicit-def: $vgpr15
.LBB1291_298:
	s_and_not1_saveexec_b32 s5, s5
	s_cbranch_execz .LBB1291_300
; %bb.299:
	v_lshlrev_b32_e32 v16, 2, v0
	v_lshlrev_b32_e32 v15, 2, v15
	v_readfirstlane_b32 s6, v11
	v_readfirstlane_b32 s7, v12
	ds_load_b32 v16, v16 offset:6144
	s_waitcnt lgkmcnt(0)
	global_store_b32 v15, v16, s[6:7]
.LBB1291_300:
	;; [unrolled: 55-line block ×7, first 2 shown]
	s_or_b32 exec_lo, exec_lo, s3
	v_or_b32_e32 v15, 0xc00, v0
	s_mov_b32 s3, exec_lo
	s_delay_alu instid0(VALU_DEP_1)
	v_cmpx_gt_u32_e64 s4, v15
	s_cbranch_execz .LBB1291_354
; %bb.346:
	s_mov_b32 s4, exec_lo
	v_cmpx_le_u32_e64 v5, v15
	s_xor_b32 s4, exec_lo, s4
	s_cbranch_execz .LBB1291_352
; %bb.347:
	s_mov_b32 s5, exec_lo
	v_cmpx_le_u32_e64 v14, v15
	s_xor_b32 s5, exec_lo, s5
	s_cbranch_execz .LBB1291_349
; %bb.348:
	v_lshlrev_b32_e32 v0, 2, v0
	v_add_co_u32 v9, vcc_lo, v7, v15
	v_add_co_ci_u32_e32 v10, vcc_lo, 0, v13, vcc_lo
	ds_load_b32 v0, v0 offset:12288
                                        ; implicit-def: $vgpr15
	v_lshlrev_b64 v[9:10], 2, v[9:10]
	s_delay_alu instid0(VALU_DEP_1) | instskip(NEXT) | instid1(VALU_DEP_2)
	v_sub_co_u32 v9, vcc_lo, s1, v9
	v_sub_co_ci_u32_e32 v10, vcc_lo, s0, v10, vcc_lo
	s_waitcnt lgkmcnt(0)
	global_store_b32 v[9:10], v0, off
                                        ; implicit-def: $vgpr0
                                        ; implicit-def: $vgpr9_vgpr10
.LBB1291_349:
	s_and_not1_saveexec_b32 s0, s5
	s_cbranch_execz .LBB1291_351
; %bb.350:
	v_lshlrev_b32_e32 v0, 2, v0
	v_lshlrev_b32_e32 v7, 2, v15
	v_readfirstlane_b32 s6, v9
	v_readfirstlane_b32 s7, v10
	ds_load_b32 v0, v0 offset:12288
	s_waitcnt lgkmcnt(0)
	global_store_b32 v7, v0, s[6:7]
.LBB1291_351:
	s_or_b32 exec_lo, exec_lo, s0
                                        ; implicit-def: $vgpr0
                                        ; implicit-def: $vgpr15
                                        ; implicit-def: $vgpr11_vgpr12
.LBB1291_352:
	s_and_not1_saveexec_b32 s0, s4
	s_cbranch_execz .LBB1291_354
; %bb.353:
	v_lshlrev_b32_e32 v0, 2, v0
	v_lshlrev_b32_e32 v7, 2, v15
	v_readfirstlane_b32 s0, v11
	v_readfirstlane_b32 s1, v12
	ds_load_b32 v0, v0 offset:12288
	s_waitcnt lgkmcnt(0)
	global_store_b32 v7, v0, s[0:1]
.LBB1291_354:
	s_or_b32 exec_lo, exec_lo, s3
	s_and_b32 s0, s2, s13
	s_delay_alu instid0(SALU_CYCLE_1)
	s_and_saveexec_b32 s1, s0
	s_cbranch_execz .LBB1291_131
.LBB1291_355:
	v_add_co_u32 v3, vcc_lo, v3, v6
	v_add_co_ci_u32_e32 v4, vcc_lo, 0, v4, vcc_lo
	v_add_co_u32 v0, vcc_lo, v1, v5
	v_add_co_ci_u32_e32 v1, vcc_lo, 0, v2, vcc_lo
	s_delay_alu instid0(VALU_DEP_4)
	v_add_co_u32 v2, vcc_lo, v3, v8
	v_mov_b32_e32 v7, 0
	v_add_co_ci_u32_e32 v3, vcc_lo, 0, v4, vcc_lo
	global_store_b128 v7, v[0:3], s[24:25]
	s_nop 0
	s_sendmsg sendmsg(MSG_DEALLOC_VGPRS)
	s_endpgm
.LBB1291_356:
	v_add_nc_u32_e32 v7, s6, v27
	s_add_i32 s8, s26, 32
	s_mov_b32 s9, 0
	v_dual_mov_b32 v9, 0 :: v_dual_add_nc_u32 v6, v26, v5
	s_lshl_b64 s[8:9], s[8:9], 4
	v_and_b32_e32 v24, 0xff0000, v7
	s_add_u32 s8, s36, s8
	s_addc_u32 s9, s37, s9
	v_and_b32_e32 v8, 0xff000000, v7
	s_delay_alu instid0(VALU_DEP_1) | instskip(SKIP_2) | instid1(VALU_DEP_1)
	v_or_b32_e32 v24, v24, v8
	v_dual_mov_b32 v8, 2 :: v_dual_and_b32 v25, 0xff00, v7
	v_and_b32_e32 v7, 0xff, v7
	v_or3_b32 v7, v24, v25, v7
	v_dual_mov_b32 v25, s9 :: v_dual_mov_b32 v24, s8
	;;#ASMSTART
	global_store_dwordx4 v[24:25], v[6:9] off	
s_waitcnt vmcnt(0)
	;;#ASMEND
	s_or_b32 exec_lo, exec_lo, s7
	s_and_saveexec_b32 s7, s3
	s_cbranch_execz .LBB1291_115
.LBB1291_357:
	v_mov_b32_e32 v6, s6
	v_add_nc_u32_e64 v7, 0x3400, 0
	ds_store_2addr_b32 v7, v5, v6 offset1:2
	ds_store_2addr_b32 v7, v26, v27 offset0:4 offset1:6
	s_or_b32 exec_lo, exec_lo, s7
	s_delay_alu instid0(SALU_CYCLE_1)
	s_and_b32 exec_lo, exec_lo, s2
	s_cbranch_execnz .LBB1291_116
	s_branch .LBB1291_117
	.section	.rodata,"a",@progbits
	.p2align	6, 0x0
	.amdhsa_kernel _ZN7rocprim17ROCPRIM_400000_NS6detail17trampoline_kernelINS0_13select_configILj256ELj13ELNS0_17block_load_methodE3ELS4_3ELS4_3ELNS0_20block_scan_algorithmE0ELj4294967295EEENS1_25partition_config_selectorILNS1_17partition_subalgoE4EjNS0_10empty_typeEbEEZZNS1_14partition_implILS8_4ELb0ES6_15HIP_vector_typeIjLj2EENS0_17counting_iteratorIjlEEPS9_SG_NS0_5tupleIJPjSI_NS0_16reverse_iteratorISI_EEEEENSH_IJSG_SG_SG_EEES9_SI_JZNS1_25segmented_radix_sort_implINS0_14default_configELb1EPKfPfPKlPlN2at6native12_GLOBAL__N_18offset_tEEE10hipError_tPvRmT1_PNSt15iterator_traitsIS12_E10value_typeET2_T3_PNS13_IS18_E10value_typeET4_jRbjT5_S1E_jjP12ihipStream_tbEUljE_ZNSN_ISO_Lb1ESQ_SR_ST_SU_SY_EESZ_S10_S11_S12_S16_S17_S18_S1B_S1C_jS1D_jS1E_S1E_jjS1G_bEUljE0_EEESZ_S10_S11_S18_S1C_S1E_T6_T7_T9_mT8_S1G_bDpT10_ENKUlT_T0_E_clISt17integral_constantIbLb0EES1T_IbLb1EEEEDaS1P_S1Q_EUlS1P_E_NS1_11comp_targetILNS1_3genE9ELNS1_11target_archE1100ELNS1_3gpuE3ELNS1_3repE0EEENS1_30default_config_static_selectorELNS0_4arch9wavefront6targetE0EEEvS12_
		.amdhsa_group_segment_fixed_size 13340
		.amdhsa_private_segment_fixed_size 0
		.amdhsa_kernarg_size 184
		.amdhsa_user_sgpr_count 15
		.amdhsa_user_sgpr_dispatch_ptr 0
		.amdhsa_user_sgpr_queue_ptr 0
		.amdhsa_user_sgpr_kernarg_segment_ptr 1
		.amdhsa_user_sgpr_dispatch_id 0
		.amdhsa_user_sgpr_private_segment_size 0
		.amdhsa_wavefront_size32 1
		.amdhsa_uses_dynamic_stack 0
		.amdhsa_enable_private_segment 0
		.amdhsa_system_sgpr_workgroup_id_x 1
		.amdhsa_system_sgpr_workgroup_id_y 0
		.amdhsa_system_sgpr_workgroup_id_z 0
		.amdhsa_system_sgpr_workgroup_info 0
		.amdhsa_system_vgpr_workitem_id 0
		.amdhsa_next_free_vgpr 103
		.amdhsa_next_free_sgpr 55
		.amdhsa_reserve_vcc 1
		.amdhsa_float_round_mode_32 0
		.amdhsa_float_round_mode_16_64 0
		.amdhsa_float_denorm_mode_32 3
		.amdhsa_float_denorm_mode_16_64 3
		.amdhsa_dx10_clamp 1
		.amdhsa_ieee_mode 1
		.amdhsa_fp16_overflow 0
		.amdhsa_workgroup_processor_mode 1
		.amdhsa_memory_ordered 1
		.amdhsa_forward_progress 0
		.amdhsa_shared_vgpr_count 0
		.amdhsa_exception_fp_ieee_invalid_op 0
		.amdhsa_exception_fp_denorm_src 0
		.amdhsa_exception_fp_ieee_div_zero 0
		.amdhsa_exception_fp_ieee_overflow 0
		.amdhsa_exception_fp_ieee_underflow 0
		.amdhsa_exception_fp_ieee_inexact 0
		.amdhsa_exception_int_div_zero 0
	.end_amdhsa_kernel
	.section	.text._ZN7rocprim17ROCPRIM_400000_NS6detail17trampoline_kernelINS0_13select_configILj256ELj13ELNS0_17block_load_methodE3ELS4_3ELS4_3ELNS0_20block_scan_algorithmE0ELj4294967295EEENS1_25partition_config_selectorILNS1_17partition_subalgoE4EjNS0_10empty_typeEbEEZZNS1_14partition_implILS8_4ELb0ES6_15HIP_vector_typeIjLj2EENS0_17counting_iteratorIjlEEPS9_SG_NS0_5tupleIJPjSI_NS0_16reverse_iteratorISI_EEEEENSH_IJSG_SG_SG_EEES9_SI_JZNS1_25segmented_radix_sort_implINS0_14default_configELb1EPKfPfPKlPlN2at6native12_GLOBAL__N_18offset_tEEE10hipError_tPvRmT1_PNSt15iterator_traitsIS12_E10value_typeET2_T3_PNS13_IS18_E10value_typeET4_jRbjT5_S1E_jjP12ihipStream_tbEUljE_ZNSN_ISO_Lb1ESQ_SR_ST_SU_SY_EESZ_S10_S11_S12_S16_S17_S18_S1B_S1C_jS1D_jS1E_S1E_jjS1G_bEUljE0_EEESZ_S10_S11_S18_S1C_S1E_T6_T7_T9_mT8_S1G_bDpT10_ENKUlT_T0_E_clISt17integral_constantIbLb0EES1T_IbLb1EEEEDaS1P_S1Q_EUlS1P_E_NS1_11comp_targetILNS1_3genE9ELNS1_11target_archE1100ELNS1_3gpuE3ELNS1_3repE0EEENS1_30default_config_static_selectorELNS0_4arch9wavefront6targetE0EEEvS12_,"axG",@progbits,_ZN7rocprim17ROCPRIM_400000_NS6detail17trampoline_kernelINS0_13select_configILj256ELj13ELNS0_17block_load_methodE3ELS4_3ELS4_3ELNS0_20block_scan_algorithmE0ELj4294967295EEENS1_25partition_config_selectorILNS1_17partition_subalgoE4EjNS0_10empty_typeEbEEZZNS1_14partition_implILS8_4ELb0ES6_15HIP_vector_typeIjLj2EENS0_17counting_iteratorIjlEEPS9_SG_NS0_5tupleIJPjSI_NS0_16reverse_iteratorISI_EEEEENSH_IJSG_SG_SG_EEES9_SI_JZNS1_25segmented_radix_sort_implINS0_14default_configELb1EPKfPfPKlPlN2at6native12_GLOBAL__N_18offset_tEEE10hipError_tPvRmT1_PNSt15iterator_traitsIS12_E10value_typeET2_T3_PNS13_IS18_E10value_typeET4_jRbjT5_S1E_jjP12ihipStream_tbEUljE_ZNSN_ISO_Lb1ESQ_SR_ST_SU_SY_EESZ_S10_S11_S12_S16_S17_S18_S1B_S1C_jS1D_jS1E_S1E_jjS1G_bEUljE0_EEESZ_S10_S11_S18_S1C_S1E_T6_T7_T9_mT8_S1G_bDpT10_ENKUlT_T0_E_clISt17integral_constantIbLb0EES1T_IbLb1EEEEDaS1P_S1Q_EUlS1P_E_NS1_11comp_targetILNS1_3genE9ELNS1_11target_archE1100ELNS1_3gpuE3ELNS1_3repE0EEENS1_30default_config_static_selectorELNS0_4arch9wavefront6targetE0EEEvS12_,comdat
.Lfunc_end1291:
	.size	_ZN7rocprim17ROCPRIM_400000_NS6detail17trampoline_kernelINS0_13select_configILj256ELj13ELNS0_17block_load_methodE3ELS4_3ELS4_3ELNS0_20block_scan_algorithmE0ELj4294967295EEENS1_25partition_config_selectorILNS1_17partition_subalgoE4EjNS0_10empty_typeEbEEZZNS1_14partition_implILS8_4ELb0ES6_15HIP_vector_typeIjLj2EENS0_17counting_iteratorIjlEEPS9_SG_NS0_5tupleIJPjSI_NS0_16reverse_iteratorISI_EEEEENSH_IJSG_SG_SG_EEES9_SI_JZNS1_25segmented_radix_sort_implINS0_14default_configELb1EPKfPfPKlPlN2at6native12_GLOBAL__N_18offset_tEEE10hipError_tPvRmT1_PNSt15iterator_traitsIS12_E10value_typeET2_T3_PNS13_IS18_E10value_typeET4_jRbjT5_S1E_jjP12ihipStream_tbEUljE_ZNSN_ISO_Lb1ESQ_SR_ST_SU_SY_EESZ_S10_S11_S12_S16_S17_S18_S1B_S1C_jS1D_jS1E_S1E_jjS1G_bEUljE0_EEESZ_S10_S11_S18_S1C_S1E_T6_T7_T9_mT8_S1G_bDpT10_ENKUlT_T0_E_clISt17integral_constantIbLb0EES1T_IbLb1EEEEDaS1P_S1Q_EUlS1P_E_NS1_11comp_targetILNS1_3genE9ELNS1_11target_archE1100ELNS1_3gpuE3ELNS1_3repE0EEENS1_30default_config_static_selectorELNS0_4arch9wavefront6targetE0EEEvS12_, .Lfunc_end1291-_ZN7rocprim17ROCPRIM_400000_NS6detail17trampoline_kernelINS0_13select_configILj256ELj13ELNS0_17block_load_methodE3ELS4_3ELS4_3ELNS0_20block_scan_algorithmE0ELj4294967295EEENS1_25partition_config_selectorILNS1_17partition_subalgoE4EjNS0_10empty_typeEbEEZZNS1_14partition_implILS8_4ELb0ES6_15HIP_vector_typeIjLj2EENS0_17counting_iteratorIjlEEPS9_SG_NS0_5tupleIJPjSI_NS0_16reverse_iteratorISI_EEEEENSH_IJSG_SG_SG_EEES9_SI_JZNS1_25segmented_radix_sort_implINS0_14default_configELb1EPKfPfPKlPlN2at6native12_GLOBAL__N_18offset_tEEE10hipError_tPvRmT1_PNSt15iterator_traitsIS12_E10value_typeET2_T3_PNS13_IS18_E10value_typeET4_jRbjT5_S1E_jjP12ihipStream_tbEUljE_ZNSN_ISO_Lb1ESQ_SR_ST_SU_SY_EESZ_S10_S11_S12_S16_S17_S18_S1B_S1C_jS1D_jS1E_S1E_jjS1G_bEUljE0_EEESZ_S10_S11_S18_S1C_S1E_T6_T7_T9_mT8_S1G_bDpT10_ENKUlT_T0_E_clISt17integral_constantIbLb0EES1T_IbLb1EEEEDaS1P_S1Q_EUlS1P_E_NS1_11comp_targetILNS1_3genE9ELNS1_11target_archE1100ELNS1_3gpuE3ELNS1_3repE0EEENS1_30default_config_static_selectorELNS0_4arch9wavefront6targetE0EEEvS12_
                                        ; -- End function
	.section	.AMDGPU.csdata,"",@progbits
; Kernel info:
; codeLenInByte = 15060
; NumSgprs: 57
; NumVgprs: 103
; ScratchSize: 0
; MemoryBound: 0
; FloatMode: 240
; IeeeMode: 1
; LDSByteSize: 13340 bytes/workgroup (compile time only)
; SGPRBlocks: 7
; VGPRBlocks: 12
; NumSGPRsForWavesPerEU: 57
; NumVGPRsForWavesPerEU: 103
; Occupancy: 12
; WaveLimiterHint : 1
; COMPUTE_PGM_RSRC2:SCRATCH_EN: 0
; COMPUTE_PGM_RSRC2:USER_SGPR: 15
; COMPUTE_PGM_RSRC2:TRAP_HANDLER: 0
; COMPUTE_PGM_RSRC2:TGID_X_EN: 1
; COMPUTE_PGM_RSRC2:TGID_Y_EN: 0
; COMPUTE_PGM_RSRC2:TGID_Z_EN: 0
; COMPUTE_PGM_RSRC2:TIDIG_COMP_CNT: 0
	.section	.text._ZN7rocprim17ROCPRIM_400000_NS6detail17trampoline_kernelINS0_13select_configILj256ELj13ELNS0_17block_load_methodE3ELS4_3ELS4_3ELNS0_20block_scan_algorithmE0ELj4294967295EEENS1_25partition_config_selectorILNS1_17partition_subalgoE4EjNS0_10empty_typeEbEEZZNS1_14partition_implILS8_4ELb0ES6_15HIP_vector_typeIjLj2EENS0_17counting_iteratorIjlEEPS9_SG_NS0_5tupleIJPjSI_NS0_16reverse_iteratorISI_EEEEENSH_IJSG_SG_SG_EEES9_SI_JZNS1_25segmented_radix_sort_implINS0_14default_configELb1EPKfPfPKlPlN2at6native12_GLOBAL__N_18offset_tEEE10hipError_tPvRmT1_PNSt15iterator_traitsIS12_E10value_typeET2_T3_PNS13_IS18_E10value_typeET4_jRbjT5_S1E_jjP12ihipStream_tbEUljE_ZNSN_ISO_Lb1ESQ_SR_ST_SU_SY_EESZ_S10_S11_S12_S16_S17_S18_S1B_S1C_jS1D_jS1E_S1E_jjS1G_bEUljE0_EEESZ_S10_S11_S18_S1C_S1E_T6_T7_T9_mT8_S1G_bDpT10_ENKUlT_T0_E_clISt17integral_constantIbLb0EES1T_IbLb1EEEEDaS1P_S1Q_EUlS1P_E_NS1_11comp_targetILNS1_3genE8ELNS1_11target_archE1030ELNS1_3gpuE2ELNS1_3repE0EEENS1_30default_config_static_selectorELNS0_4arch9wavefront6targetE0EEEvS12_,"axG",@progbits,_ZN7rocprim17ROCPRIM_400000_NS6detail17trampoline_kernelINS0_13select_configILj256ELj13ELNS0_17block_load_methodE3ELS4_3ELS4_3ELNS0_20block_scan_algorithmE0ELj4294967295EEENS1_25partition_config_selectorILNS1_17partition_subalgoE4EjNS0_10empty_typeEbEEZZNS1_14partition_implILS8_4ELb0ES6_15HIP_vector_typeIjLj2EENS0_17counting_iteratorIjlEEPS9_SG_NS0_5tupleIJPjSI_NS0_16reverse_iteratorISI_EEEEENSH_IJSG_SG_SG_EEES9_SI_JZNS1_25segmented_radix_sort_implINS0_14default_configELb1EPKfPfPKlPlN2at6native12_GLOBAL__N_18offset_tEEE10hipError_tPvRmT1_PNSt15iterator_traitsIS12_E10value_typeET2_T3_PNS13_IS18_E10value_typeET4_jRbjT5_S1E_jjP12ihipStream_tbEUljE_ZNSN_ISO_Lb1ESQ_SR_ST_SU_SY_EESZ_S10_S11_S12_S16_S17_S18_S1B_S1C_jS1D_jS1E_S1E_jjS1G_bEUljE0_EEESZ_S10_S11_S18_S1C_S1E_T6_T7_T9_mT8_S1G_bDpT10_ENKUlT_T0_E_clISt17integral_constantIbLb0EES1T_IbLb1EEEEDaS1P_S1Q_EUlS1P_E_NS1_11comp_targetILNS1_3genE8ELNS1_11target_archE1030ELNS1_3gpuE2ELNS1_3repE0EEENS1_30default_config_static_selectorELNS0_4arch9wavefront6targetE0EEEvS12_,comdat
	.globl	_ZN7rocprim17ROCPRIM_400000_NS6detail17trampoline_kernelINS0_13select_configILj256ELj13ELNS0_17block_load_methodE3ELS4_3ELS4_3ELNS0_20block_scan_algorithmE0ELj4294967295EEENS1_25partition_config_selectorILNS1_17partition_subalgoE4EjNS0_10empty_typeEbEEZZNS1_14partition_implILS8_4ELb0ES6_15HIP_vector_typeIjLj2EENS0_17counting_iteratorIjlEEPS9_SG_NS0_5tupleIJPjSI_NS0_16reverse_iteratorISI_EEEEENSH_IJSG_SG_SG_EEES9_SI_JZNS1_25segmented_radix_sort_implINS0_14default_configELb1EPKfPfPKlPlN2at6native12_GLOBAL__N_18offset_tEEE10hipError_tPvRmT1_PNSt15iterator_traitsIS12_E10value_typeET2_T3_PNS13_IS18_E10value_typeET4_jRbjT5_S1E_jjP12ihipStream_tbEUljE_ZNSN_ISO_Lb1ESQ_SR_ST_SU_SY_EESZ_S10_S11_S12_S16_S17_S18_S1B_S1C_jS1D_jS1E_S1E_jjS1G_bEUljE0_EEESZ_S10_S11_S18_S1C_S1E_T6_T7_T9_mT8_S1G_bDpT10_ENKUlT_T0_E_clISt17integral_constantIbLb0EES1T_IbLb1EEEEDaS1P_S1Q_EUlS1P_E_NS1_11comp_targetILNS1_3genE8ELNS1_11target_archE1030ELNS1_3gpuE2ELNS1_3repE0EEENS1_30default_config_static_selectorELNS0_4arch9wavefront6targetE0EEEvS12_ ; -- Begin function _ZN7rocprim17ROCPRIM_400000_NS6detail17trampoline_kernelINS0_13select_configILj256ELj13ELNS0_17block_load_methodE3ELS4_3ELS4_3ELNS0_20block_scan_algorithmE0ELj4294967295EEENS1_25partition_config_selectorILNS1_17partition_subalgoE4EjNS0_10empty_typeEbEEZZNS1_14partition_implILS8_4ELb0ES6_15HIP_vector_typeIjLj2EENS0_17counting_iteratorIjlEEPS9_SG_NS0_5tupleIJPjSI_NS0_16reverse_iteratorISI_EEEEENSH_IJSG_SG_SG_EEES9_SI_JZNS1_25segmented_radix_sort_implINS0_14default_configELb1EPKfPfPKlPlN2at6native12_GLOBAL__N_18offset_tEEE10hipError_tPvRmT1_PNSt15iterator_traitsIS12_E10value_typeET2_T3_PNS13_IS18_E10value_typeET4_jRbjT5_S1E_jjP12ihipStream_tbEUljE_ZNSN_ISO_Lb1ESQ_SR_ST_SU_SY_EESZ_S10_S11_S12_S16_S17_S18_S1B_S1C_jS1D_jS1E_S1E_jjS1G_bEUljE0_EEESZ_S10_S11_S18_S1C_S1E_T6_T7_T9_mT8_S1G_bDpT10_ENKUlT_T0_E_clISt17integral_constantIbLb0EES1T_IbLb1EEEEDaS1P_S1Q_EUlS1P_E_NS1_11comp_targetILNS1_3genE8ELNS1_11target_archE1030ELNS1_3gpuE2ELNS1_3repE0EEENS1_30default_config_static_selectorELNS0_4arch9wavefront6targetE0EEEvS12_
	.p2align	8
	.type	_ZN7rocprim17ROCPRIM_400000_NS6detail17trampoline_kernelINS0_13select_configILj256ELj13ELNS0_17block_load_methodE3ELS4_3ELS4_3ELNS0_20block_scan_algorithmE0ELj4294967295EEENS1_25partition_config_selectorILNS1_17partition_subalgoE4EjNS0_10empty_typeEbEEZZNS1_14partition_implILS8_4ELb0ES6_15HIP_vector_typeIjLj2EENS0_17counting_iteratorIjlEEPS9_SG_NS0_5tupleIJPjSI_NS0_16reverse_iteratorISI_EEEEENSH_IJSG_SG_SG_EEES9_SI_JZNS1_25segmented_radix_sort_implINS0_14default_configELb1EPKfPfPKlPlN2at6native12_GLOBAL__N_18offset_tEEE10hipError_tPvRmT1_PNSt15iterator_traitsIS12_E10value_typeET2_T3_PNS13_IS18_E10value_typeET4_jRbjT5_S1E_jjP12ihipStream_tbEUljE_ZNSN_ISO_Lb1ESQ_SR_ST_SU_SY_EESZ_S10_S11_S12_S16_S17_S18_S1B_S1C_jS1D_jS1E_S1E_jjS1G_bEUljE0_EEESZ_S10_S11_S18_S1C_S1E_T6_T7_T9_mT8_S1G_bDpT10_ENKUlT_T0_E_clISt17integral_constantIbLb0EES1T_IbLb1EEEEDaS1P_S1Q_EUlS1P_E_NS1_11comp_targetILNS1_3genE8ELNS1_11target_archE1030ELNS1_3gpuE2ELNS1_3repE0EEENS1_30default_config_static_selectorELNS0_4arch9wavefront6targetE0EEEvS12_,@function
_ZN7rocprim17ROCPRIM_400000_NS6detail17trampoline_kernelINS0_13select_configILj256ELj13ELNS0_17block_load_methodE3ELS4_3ELS4_3ELNS0_20block_scan_algorithmE0ELj4294967295EEENS1_25partition_config_selectorILNS1_17partition_subalgoE4EjNS0_10empty_typeEbEEZZNS1_14partition_implILS8_4ELb0ES6_15HIP_vector_typeIjLj2EENS0_17counting_iteratorIjlEEPS9_SG_NS0_5tupleIJPjSI_NS0_16reverse_iteratorISI_EEEEENSH_IJSG_SG_SG_EEES9_SI_JZNS1_25segmented_radix_sort_implINS0_14default_configELb1EPKfPfPKlPlN2at6native12_GLOBAL__N_18offset_tEEE10hipError_tPvRmT1_PNSt15iterator_traitsIS12_E10value_typeET2_T3_PNS13_IS18_E10value_typeET4_jRbjT5_S1E_jjP12ihipStream_tbEUljE_ZNSN_ISO_Lb1ESQ_SR_ST_SU_SY_EESZ_S10_S11_S12_S16_S17_S18_S1B_S1C_jS1D_jS1E_S1E_jjS1G_bEUljE0_EEESZ_S10_S11_S18_S1C_S1E_T6_T7_T9_mT8_S1G_bDpT10_ENKUlT_T0_E_clISt17integral_constantIbLb0EES1T_IbLb1EEEEDaS1P_S1Q_EUlS1P_E_NS1_11comp_targetILNS1_3genE8ELNS1_11target_archE1030ELNS1_3gpuE2ELNS1_3repE0EEENS1_30default_config_static_selectorELNS0_4arch9wavefront6targetE0EEEvS12_: ; @_ZN7rocprim17ROCPRIM_400000_NS6detail17trampoline_kernelINS0_13select_configILj256ELj13ELNS0_17block_load_methodE3ELS4_3ELS4_3ELNS0_20block_scan_algorithmE0ELj4294967295EEENS1_25partition_config_selectorILNS1_17partition_subalgoE4EjNS0_10empty_typeEbEEZZNS1_14partition_implILS8_4ELb0ES6_15HIP_vector_typeIjLj2EENS0_17counting_iteratorIjlEEPS9_SG_NS0_5tupleIJPjSI_NS0_16reverse_iteratorISI_EEEEENSH_IJSG_SG_SG_EEES9_SI_JZNS1_25segmented_radix_sort_implINS0_14default_configELb1EPKfPfPKlPlN2at6native12_GLOBAL__N_18offset_tEEE10hipError_tPvRmT1_PNSt15iterator_traitsIS12_E10value_typeET2_T3_PNS13_IS18_E10value_typeET4_jRbjT5_S1E_jjP12ihipStream_tbEUljE_ZNSN_ISO_Lb1ESQ_SR_ST_SU_SY_EESZ_S10_S11_S12_S16_S17_S18_S1B_S1C_jS1D_jS1E_S1E_jjS1G_bEUljE0_EEESZ_S10_S11_S18_S1C_S1E_T6_T7_T9_mT8_S1G_bDpT10_ENKUlT_T0_E_clISt17integral_constantIbLb0EES1T_IbLb1EEEEDaS1P_S1Q_EUlS1P_E_NS1_11comp_targetILNS1_3genE8ELNS1_11target_archE1030ELNS1_3gpuE2ELNS1_3repE0EEENS1_30default_config_static_selectorELNS0_4arch9wavefront6targetE0EEEvS12_
; %bb.0:
	.section	.rodata,"a",@progbits
	.p2align	6, 0x0
	.amdhsa_kernel _ZN7rocprim17ROCPRIM_400000_NS6detail17trampoline_kernelINS0_13select_configILj256ELj13ELNS0_17block_load_methodE3ELS4_3ELS4_3ELNS0_20block_scan_algorithmE0ELj4294967295EEENS1_25partition_config_selectorILNS1_17partition_subalgoE4EjNS0_10empty_typeEbEEZZNS1_14partition_implILS8_4ELb0ES6_15HIP_vector_typeIjLj2EENS0_17counting_iteratorIjlEEPS9_SG_NS0_5tupleIJPjSI_NS0_16reverse_iteratorISI_EEEEENSH_IJSG_SG_SG_EEES9_SI_JZNS1_25segmented_radix_sort_implINS0_14default_configELb1EPKfPfPKlPlN2at6native12_GLOBAL__N_18offset_tEEE10hipError_tPvRmT1_PNSt15iterator_traitsIS12_E10value_typeET2_T3_PNS13_IS18_E10value_typeET4_jRbjT5_S1E_jjP12ihipStream_tbEUljE_ZNSN_ISO_Lb1ESQ_SR_ST_SU_SY_EESZ_S10_S11_S12_S16_S17_S18_S1B_S1C_jS1D_jS1E_S1E_jjS1G_bEUljE0_EEESZ_S10_S11_S18_S1C_S1E_T6_T7_T9_mT8_S1G_bDpT10_ENKUlT_T0_E_clISt17integral_constantIbLb0EES1T_IbLb1EEEEDaS1P_S1Q_EUlS1P_E_NS1_11comp_targetILNS1_3genE8ELNS1_11target_archE1030ELNS1_3gpuE2ELNS1_3repE0EEENS1_30default_config_static_selectorELNS0_4arch9wavefront6targetE0EEEvS12_
		.amdhsa_group_segment_fixed_size 0
		.amdhsa_private_segment_fixed_size 0
		.amdhsa_kernarg_size 184
		.amdhsa_user_sgpr_count 15
		.amdhsa_user_sgpr_dispatch_ptr 0
		.amdhsa_user_sgpr_queue_ptr 0
		.amdhsa_user_sgpr_kernarg_segment_ptr 1
		.amdhsa_user_sgpr_dispatch_id 0
		.amdhsa_user_sgpr_private_segment_size 0
		.amdhsa_wavefront_size32 1
		.amdhsa_uses_dynamic_stack 0
		.amdhsa_enable_private_segment 0
		.amdhsa_system_sgpr_workgroup_id_x 1
		.amdhsa_system_sgpr_workgroup_id_y 0
		.amdhsa_system_sgpr_workgroup_id_z 0
		.amdhsa_system_sgpr_workgroup_info 0
		.amdhsa_system_vgpr_workitem_id 0
		.amdhsa_next_free_vgpr 1
		.amdhsa_next_free_sgpr 1
		.amdhsa_reserve_vcc 0
		.amdhsa_float_round_mode_32 0
		.amdhsa_float_round_mode_16_64 0
		.amdhsa_float_denorm_mode_32 3
		.amdhsa_float_denorm_mode_16_64 3
		.amdhsa_dx10_clamp 1
		.amdhsa_ieee_mode 1
		.amdhsa_fp16_overflow 0
		.amdhsa_workgroup_processor_mode 1
		.amdhsa_memory_ordered 1
		.amdhsa_forward_progress 0
		.amdhsa_shared_vgpr_count 0
		.amdhsa_exception_fp_ieee_invalid_op 0
		.amdhsa_exception_fp_denorm_src 0
		.amdhsa_exception_fp_ieee_div_zero 0
		.amdhsa_exception_fp_ieee_overflow 0
		.amdhsa_exception_fp_ieee_underflow 0
		.amdhsa_exception_fp_ieee_inexact 0
		.amdhsa_exception_int_div_zero 0
	.end_amdhsa_kernel
	.section	.text._ZN7rocprim17ROCPRIM_400000_NS6detail17trampoline_kernelINS0_13select_configILj256ELj13ELNS0_17block_load_methodE3ELS4_3ELS4_3ELNS0_20block_scan_algorithmE0ELj4294967295EEENS1_25partition_config_selectorILNS1_17partition_subalgoE4EjNS0_10empty_typeEbEEZZNS1_14partition_implILS8_4ELb0ES6_15HIP_vector_typeIjLj2EENS0_17counting_iteratorIjlEEPS9_SG_NS0_5tupleIJPjSI_NS0_16reverse_iteratorISI_EEEEENSH_IJSG_SG_SG_EEES9_SI_JZNS1_25segmented_radix_sort_implINS0_14default_configELb1EPKfPfPKlPlN2at6native12_GLOBAL__N_18offset_tEEE10hipError_tPvRmT1_PNSt15iterator_traitsIS12_E10value_typeET2_T3_PNS13_IS18_E10value_typeET4_jRbjT5_S1E_jjP12ihipStream_tbEUljE_ZNSN_ISO_Lb1ESQ_SR_ST_SU_SY_EESZ_S10_S11_S12_S16_S17_S18_S1B_S1C_jS1D_jS1E_S1E_jjS1G_bEUljE0_EEESZ_S10_S11_S18_S1C_S1E_T6_T7_T9_mT8_S1G_bDpT10_ENKUlT_T0_E_clISt17integral_constantIbLb0EES1T_IbLb1EEEEDaS1P_S1Q_EUlS1P_E_NS1_11comp_targetILNS1_3genE8ELNS1_11target_archE1030ELNS1_3gpuE2ELNS1_3repE0EEENS1_30default_config_static_selectorELNS0_4arch9wavefront6targetE0EEEvS12_,"axG",@progbits,_ZN7rocprim17ROCPRIM_400000_NS6detail17trampoline_kernelINS0_13select_configILj256ELj13ELNS0_17block_load_methodE3ELS4_3ELS4_3ELNS0_20block_scan_algorithmE0ELj4294967295EEENS1_25partition_config_selectorILNS1_17partition_subalgoE4EjNS0_10empty_typeEbEEZZNS1_14partition_implILS8_4ELb0ES6_15HIP_vector_typeIjLj2EENS0_17counting_iteratorIjlEEPS9_SG_NS0_5tupleIJPjSI_NS0_16reverse_iteratorISI_EEEEENSH_IJSG_SG_SG_EEES9_SI_JZNS1_25segmented_radix_sort_implINS0_14default_configELb1EPKfPfPKlPlN2at6native12_GLOBAL__N_18offset_tEEE10hipError_tPvRmT1_PNSt15iterator_traitsIS12_E10value_typeET2_T3_PNS13_IS18_E10value_typeET4_jRbjT5_S1E_jjP12ihipStream_tbEUljE_ZNSN_ISO_Lb1ESQ_SR_ST_SU_SY_EESZ_S10_S11_S12_S16_S17_S18_S1B_S1C_jS1D_jS1E_S1E_jjS1G_bEUljE0_EEESZ_S10_S11_S18_S1C_S1E_T6_T7_T9_mT8_S1G_bDpT10_ENKUlT_T0_E_clISt17integral_constantIbLb0EES1T_IbLb1EEEEDaS1P_S1Q_EUlS1P_E_NS1_11comp_targetILNS1_3genE8ELNS1_11target_archE1030ELNS1_3gpuE2ELNS1_3repE0EEENS1_30default_config_static_selectorELNS0_4arch9wavefront6targetE0EEEvS12_,comdat
.Lfunc_end1292:
	.size	_ZN7rocprim17ROCPRIM_400000_NS6detail17trampoline_kernelINS0_13select_configILj256ELj13ELNS0_17block_load_methodE3ELS4_3ELS4_3ELNS0_20block_scan_algorithmE0ELj4294967295EEENS1_25partition_config_selectorILNS1_17partition_subalgoE4EjNS0_10empty_typeEbEEZZNS1_14partition_implILS8_4ELb0ES6_15HIP_vector_typeIjLj2EENS0_17counting_iteratorIjlEEPS9_SG_NS0_5tupleIJPjSI_NS0_16reverse_iteratorISI_EEEEENSH_IJSG_SG_SG_EEES9_SI_JZNS1_25segmented_radix_sort_implINS0_14default_configELb1EPKfPfPKlPlN2at6native12_GLOBAL__N_18offset_tEEE10hipError_tPvRmT1_PNSt15iterator_traitsIS12_E10value_typeET2_T3_PNS13_IS18_E10value_typeET4_jRbjT5_S1E_jjP12ihipStream_tbEUljE_ZNSN_ISO_Lb1ESQ_SR_ST_SU_SY_EESZ_S10_S11_S12_S16_S17_S18_S1B_S1C_jS1D_jS1E_S1E_jjS1G_bEUljE0_EEESZ_S10_S11_S18_S1C_S1E_T6_T7_T9_mT8_S1G_bDpT10_ENKUlT_T0_E_clISt17integral_constantIbLb0EES1T_IbLb1EEEEDaS1P_S1Q_EUlS1P_E_NS1_11comp_targetILNS1_3genE8ELNS1_11target_archE1030ELNS1_3gpuE2ELNS1_3repE0EEENS1_30default_config_static_selectorELNS0_4arch9wavefront6targetE0EEEvS12_, .Lfunc_end1292-_ZN7rocprim17ROCPRIM_400000_NS6detail17trampoline_kernelINS0_13select_configILj256ELj13ELNS0_17block_load_methodE3ELS4_3ELS4_3ELNS0_20block_scan_algorithmE0ELj4294967295EEENS1_25partition_config_selectorILNS1_17partition_subalgoE4EjNS0_10empty_typeEbEEZZNS1_14partition_implILS8_4ELb0ES6_15HIP_vector_typeIjLj2EENS0_17counting_iteratorIjlEEPS9_SG_NS0_5tupleIJPjSI_NS0_16reverse_iteratorISI_EEEEENSH_IJSG_SG_SG_EEES9_SI_JZNS1_25segmented_radix_sort_implINS0_14default_configELb1EPKfPfPKlPlN2at6native12_GLOBAL__N_18offset_tEEE10hipError_tPvRmT1_PNSt15iterator_traitsIS12_E10value_typeET2_T3_PNS13_IS18_E10value_typeET4_jRbjT5_S1E_jjP12ihipStream_tbEUljE_ZNSN_ISO_Lb1ESQ_SR_ST_SU_SY_EESZ_S10_S11_S12_S16_S17_S18_S1B_S1C_jS1D_jS1E_S1E_jjS1G_bEUljE0_EEESZ_S10_S11_S18_S1C_S1E_T6_T7_T9_mT8_S1G_bDpT10_ENKUlT_T0_E_clISt17integral_constantIbLb0EES1T_IbLb1EEEEDaS1P_S1Q_EUlS1P_E_NS1_11comp_targetILNS1_3genE8ELNS1_11target_archE1030ELNS1_3gpuE2ELNS1_3repE0EEENS1_30default_config_static_selectorELNS0_4arch9wavefront6targetE0EEEvS12_
                                        ; -- End function
	.section	.AMDGPU.csdata,"",@progbits
; Kernel info:
; codeLenInByte = 0
; NumSgprs: 0
; NumVgprs: 0
; ScratchSize: 0
; MemoryBound: 0
; FloatMode: 240
; IeeeMode: 1
; LDSByteSize: 0 bytes/workgroup (compile time only)
; SGPRBlocks: 0
; VGPRBlocks: 0
; NumSGPRsForWavesPerEU: 1
; NumVGPRsForWavesPerEU: 1
; Occupancy: 16
; WaveLimiterHint : 0
; COMPUTE_PGM_RSRC2:SCRATCH_EN: 0
; COMPUTE_PGM_RSRC2:USER_SGPR: 15
; COMPUTE_PGM_RSRC2:TRAP_HANDLER: 0
; COMPUTE_PGM_RSRC2:TGID_X_EN: 1
; COMPUTE_PGM_RSRC2:TGID_Y_EN: 0
; COMPUTE_PGM_RSRC2:TGID_Z_EN: 0
; COMPUTE_PGM_RSRC2:TIDIG_COMP_CNT: 0
	.section	.text._ZN7rocprim17ROCPRIM_400000_NS6detail17trampoline_kernelINS0_13select_configILj256ELj13ELNS0_17block_load_methodE3ELS4_3ELS4_3ELNS0_20block_scan_algorithmE0ELj4294967295EEENS1_25partition_config_selectorILNS1_17partition_subalgoE3EjNS0_10empty_typeEbEEZZNS1_14partition_implILS8_3ELb0ES6_jNS0_17counting_iteratorIjlEEPS9_SE_NS0_5tupleIJPjSE_EEENSF_IJSE_SE_EEES9_SG_JZNS1_25segmented_radix_sort_implINS0_14default_configELb1EPKfPfPKlPlN2at6native12_GLOBAL__N_18offset_tEEE10hipError_tPvRmT1_PNSt15iterator_traitsISY_E10value_typeET2_T3_PNSZ_IS14_E10value_typeET4_jRbjT5_S1A_jjP12ihipStream_tbEUljE_EEESV_SW_SX_S14_S18_S1A_T6_T7_T9_mT8_S1C_bDpT10_ENKUlT_T0_E_clISt17integral_constantIbLb0EES1P_EEDaS1K_S1L_EUlS1K_E_NS1_11comp_targetILNS1_3genE0ELNS1_11target_archE4294967295ELNS1_3gpuE0ELNS1_3repE0EEENS1_30default_config_static_selectorELNS0_4arch9wavefront6targetE0EEEvSY_,"axG",@progbits,_ZN7rocprim17ROCPRIM_400000_NS6detail17trampoline_kernelINS0_13select_configILj256ELj13ELNS0_17block_load_methodE3ELS4_3ELS4_3ELNS0_20block_scan_algorithmE0ELj4294967295EEENS1_25partition_config_selectorILNS1_17partition_subalgoE3EjNS0_10empty_typeEbEEZZNS1_14partition_implILS8_3ELb0ES6_jNS0_17counting_iteratorIjlEEPS9_SE_NS0_5tupleIJPjSE_EEENSF_IJSE_SE_EEES9_SG_JZNS1_25segmented_radix_sort_implINS0_14default_configELb1EPKfPfPKlPlN2at6native12_GLOBAL__N_18offset_tEEE10hipError_tPvRmT1_PNSt15iterator_traitsISY_E10value_typeET2_T3_PNSZ_IS14_E10value_typeET4_jRbjT5_S1A_jjP12ihipStream_tbEUljE_EEESV_SW_SX_S14_S18_S1A_T6_T7_T9_mT8_S1C_bDpT10_ENKUlT_T0_E_clISt17integral_constantIbLb0EES1P_EEDaS1K_S1L_EUlS1K_E_NS1_11comp_targetILNS1_3genE0ELNS1_11target_archE4294967295ELNS1_3gpuE0ELNS1_3repE0EEENS1_30default_config_static_selectorELNS0_4arch9wavefront6targetE0EEEvSY_,comdat
	.globl	_ZN7rocprim17ROCPRIM_400000_NS6detail17trampoline_kernelINS0_13select_configILj256ELj13ELNS0_17block_load_methodE3ELS4_3ELS4_3ELNS0_20block_scan_algorithmE0ELj4294967295EEENS1_25partition_config_selectorILNS1_17partition_subalgoE3EjNS0_10empty_typeEbEEZZNS1_14partition_implILS8_3ELb0ES6_jNS0_17counting_iteratorIjlEEPS9_SE_NS0_5tupleIJPjSE_EEENSF_IJSE_SE_EEES9_SG_JZNS1_25segmented_radix_sort_implINS0_14default_configELb1EPKfPfPKlPlN2at6native12_GLOBAL__N_18offset_tEEE10hipError_tPvRmT1_PNSt15iterator_traitsISY_E10value_typeET2_T3_PNSZ_IS14_E10value_typeET4_jRbjT5_S1A_jjP12ihipStream_tbEUljE_EEESV_SW_SX_S14_S18_S1A_T6_T7_T9_mT8_S1C_bDpT10_ENKUlT_T0_E_clISt17integral_constantIbLb0EES1P_EEDaS1K_S1L_EUlS1K_E_NS1_11comp_targetILNS1_3genE0ELNS1_11target_archE4294967295ELNS1_3gpuE0ELNS1_3repE0EEENS1_30default_config_static_selectorELNS0_4arch9wavefront6targetE0EEEvSY_ ; -- Begin function _ZN7rocprim17ROCPRIM_400000_NS6detail17trampoline_kernelINS0_13select_configILj256ELj13ELNS0_17block_load_methodE3ELS4_3ELS4_3ELNS0_20block_scan_algorithmE0ELj4294967295EEENS1_25partition_config_selectorILNS1_17partition_subalgoE3EjNS0_10empty_typeEbEEZZNS1_14partition_implILS8_3ELb0ES6_jNS0_17counting_iteratorIjlEEPS9_SE_NS0_5tupleIJPjSE_EEENSF_IJSE_SE_EEES9_SG_JZNS1_25segmented_radix_sort_implINS0_14default_configELb1EPKfPfPKlPlN2at6native12_GLOBAL__N_18offset_tEEE10hipError_tPvRmT1_PNSt15iterator_traitsISY_E10value_typeET2_T3_PNSZ_IS14_E10value_typeET4_jRbjT5_S1A_jjP12ihipStream_tbEUljE_EEESV_SW_SX_S14_S18_S1A_T6_T7_T9_mT8_S1C_bDpT10_ENKUlT_T0_E_clISt17integral_constantIbLb0EES1P_EEDaS1K_S1L_EUlS1K_E_NS1_11comp_targetILNS1_3genE0ELNS1_11target_archE4294967295ELNS1_3gpuE0ELNS1_3repE0EEENS1_30default_config_static_selectorELNS0_4arch9wavefront6targetE0EEEvSY_
	.p2align	8
	.type	_ZN7rocprim17ROCPRIM_400000_NS6detail17trampoline_kernelINS0_13select_configILj256ELj13ELNS0_17block_load_methodE3ELS4_3ELS4_3ELNS0_20block_scan_algorithmE0ELj4294967295EEENS1_25partition_config_selectorILNS1_17partition_subalgoE3EjNS0_10empty_typeEbEEZZNS1_14partition_implILS8_3ELb0ES6_jNS0_17counting_iteratorIjlEEPS9_SE_NS0_5tupleIJPjSE_EEENSF_IJSE_SE_EEES9_SG_JZNS1_25segmented_radix_sort_implINS0_14default_configELb1EPKfPfPKlPlN2at6native12_GLOBAL__N_18offset_tEEE10hipError_tPvRmT1_PNSt15iterator_traitsISY_E10value_typeET2_T3_PNSZ_IS14_E10value_typeET4_jRbjT5_S1A_jjP12ihipStream_tbEUljE_EEESV_SW_SX_S14_S18_S1A_T6_T7_T9_mT8_S1C_bDpT10_ENKUlT_T0_E_clISt17integral_constantIbLb0EES1P_EEDaS1K_S1L_EUlS1K_E_NS1_11comp_targetILNS1_3genE0ELNS1_11target_archE4294967295ELNS1_3gpuE0ELNS1_3repE0EEENS1_30default_config_static_selectorELNS0_4arch9wavefront6targetE0EEEvSY_,@function
_ZN7rocprim17ROCPRIM_400000_NS6detail17trampoline_kernelINS0_13select_configILj256ELj13ELNS0_17block_load_methodE3ELS4_3ELS4_3ELNS0_20block_scan_algorithmE0ELj4294967295EEENS1_25partition_config_selectorILNS1_17partition_subalgoE3EjNS0_10empty_typeEbEEZZNS1_14partition_implILS8_3ELb0ES6_jNS0_17counting_iteratorIjlEEPS9_SE_NS0_5tupleIJPjSE_EEENSF_IJSE_SE_EEES9_SG_JZNS1_25segmented_radix_sort_implINS0_14default_configELb1EPKfPfPKlPlN2at6native12_GLOBAL__N_18offset_tEEE10hipError_tPvRmT1_PNSt15iterator_traitsISY_E10value_typeET2_T3_PNSZ_IS14_E10value_typeET4_jRbjT5_S1A_jjP12ihipStream_tbEUljE_EEESV_SW_SX_S14_S18_S1A_T6_T7_T9_mT8_S1C_bDpT10_ENKUlT_T0_E_clISt17integral_constantIbLb0EES1P_EEDaS1K_S1L_EUlS1K_E_NS1_11comp_targetILNS1_3genE0ELNS1_11target_archE4294967295ELNS1_3gpuE0ELNS1_3repE0EEENS1_30default_config_static_selectorELNS0_4arch9wavefront6targetE0EEEvSY_: ; @_ZN7rocprim17ROCPRIM_400000_NS6detail17trampoline_kernelINS0_13select_configILj256ELj13ELNS0_17block_load_methodE3ELS4_3ELS4_3ELNS0_20block_scan_algorithmE0ELj4294967295EEENS1_25partition_config_selectorILNS1_17partition_subalgoE3EjNS0_10empty_typeEbEEZZNS1_14partition_implILS8_3ELb0ES6_jNS0_17counting_iteratorIjlEEPS9_SE_NS0_5tupleIJPjSE_EEENSF_IJSE_SE_EEES9_SG_JZNS1_25segmented_radix_sort_implINS0_14default_configELb1EPKfPfPKlPlN2at6native12_GLOBAL__N_18offset_tEEE10hipError_tPvRmT1_PNSt15iterator_traitsISY_E10value_typeET2_T3_PNSZ_IS14_E10value_typeET4_jRbjT5_S1A_jjP12ihipStream_tbEUljE_EEESV_SW_SX_S14_S18_S1A_T6_T7_T9_mT8_S1C_bDpT10_ENKUlT_T0_E_clISt17integral_constantIbLb0EES1P_EEDaS1K_S1L_EUlS1K_E_NS1_11comp_targetILNS1_3genE0ELNS1_11target_archE4294967295ELNS1_3gpuE0ELNS1_3repE0EEENS1_30default_config_static_selectorELNS0_4arch9wavefront6targetE0EEEvSY_
; %bb.0:
	.section	.rodata,"a",@progbits
	.p2align	6, 0x0
	.amdhsa_kernel _ZN7rocprim17ROCPRIM_400000_NS6detail17trampoline_kernelINS0_13select_configILj256ELj13ELNS0_17block_load_methodE3ELS4_3ELS4_3ELNS0_20block_scan_algorithmE0ELj4294967295EEENS1_25partition_config_selectorILNS1_17partition_subalgoE3EjNS0_10empty_typeEbEEZZNS1_14partition_implILS8_3ELb0ES6_jNS0_17counting_iteratorIjlEEPS9_SE_NS0_5tupleIJPjSE_EEENSF_IJSE_SE_EEES9_SG_JZNS1_25segmented_radix_sort_implINS0_14default_configELb1EPKfPfPKlPlN2at6native12_GLOBAL__N_18offset_tEEE10hipError_tPvRmT1_PNSt15iterator_traitsISY_E10value_typeET2_T3_PNSZ_IS14_E10value_typeET4_jRbjT5_S1A_jjP12ihipStream_tbEUljE_EEESV_SW_SX_S14_S18_S1A_T6_T7_T9_mT8_S1C_bDpT10_ENKUlT_T0_E_clISt17integral_constantIbLb0EES1P_EEDaS1K_S1L_EUlS1K_E_NS1_11comp_targetILNS1_3genE0ELNS1_11target_archE4294967295ELNS1_3gpuE0ELNS1_3repE0EEENS1_30default_config_static_selectorELNS0_4arch9wavefront6targetE0EEEvSY_
		.amdhsa_group_segment_fixed_size 0
		.amdhsa_private_segment_fixed_size 0
		.amdhsa_kernarg_size 144
		.amdhsa_user_sgpr_count 15
		.amdhsa_user_sgpr_dispatch_ptr 0
		.amdhsa_user_sgpr_queue_ptr 0
		.amdhsa_user_sgpr_kernarg_segment_ptr 1
		.amdhsa_user_sgpr_dispatch_id 0
		.amdhsa_user_sgpr_private_segment_size 0
		.amdhsa_wavefront_size32 1
		.amdhsa_uses_dynamic_stack 0
		.amdhsa_enable_private_segment 0
		.amdhsa_system_sgpr_workgroup_id_x 1
		.amdhsa_system_sgpr_workgroup_id_y 0
		.amdhsa_system_sgpr_workgroup_id_z 0
		.amdhsa_system_sgpr_workgroup_info 0
		.amdhsa_system_vgpr_workitem_id 0
		.amdhsa_next_free_vgpr 1
		.amdhsa_next_free_sgpr 1
		.amdhsa_reserve_vcc 0
		.amdhsa_float_round_mode_32 0
		.amdhsa_float_round_mode_16_64 0
		.amdhsa_float_denorm_mode_32 3
		.amdhsa_float_denorm_mode_16_64 3
		.amdhsa_dx10_clamp 1
		.amdhsa_ieee_mode 1
		.amdhsa_fp16_overflow 0
		.amdhsa_workgroup_processor_mode 1
		.amdhsa_memory_ordered 1
		.amdhsa_forward_progress 0
		.amdhsa_shared_vgpr_count 0
		.amdhsa_exception_fp_ieee_invalid_op 0
		.amdhsa_exception_fp_denorm_src 0
		.amdhsa_exception_fp_ieee_div_zero 0
		.amdhsa_exception_fp_ieee_overflow 0
		.amdhsa_exception_fp_ieee_underflow 0
		.amdhsa_exception_fp_ieee_inexact 0
		.amdhsa_exception_int_div_zero 0
	.end_amdhsa_kernel
	.section	.text._ZN7rocprim17ROCPRIM_400000_NS6detail17trampoline_kernelINS0_13select_configILj256ELj13ELNS0_17block_load_methodE3ELS4_3ELS4_3ELNS0_20block_scan_algorithmE0ELj4294967295EEENS1_25partition_config_selectorILNS1_17partition_subalgoE3EjNS0_10empty_typeEbEEZZNS1_14partition_implILS8_3ELb0ES6_jNS0_17counting_iteratorIjlEEPS9_SE_NS0_5tupleIJPjSE_EEENSF_IJSE_SE_EEES9_SG_JZNS1_25segmented_radix_sort_implINS0_14default_configELb1EPKfPfPKlPlN2at6native12_GLOBAL__N_18offset_tEEE10hipError_tPvRmT1_PNSt15iterator_traitsISY_E10value_typeET2_T3_PNSZ_IS14_E10value_typeET4_jRbjT5_S1A_jjP12ihipStream_tbEUljE_EEESV_SW_SX_S14_S18_S1A_T6_T7_T9_mT8_S1C_bDpT10_ENKUlT_T0_E_clISt17integral_constantIbLb0EES1P_EEDaS1K_S1L_EUlS1K_E_NS1_11comp_targetILNS1_3genE0ELNS1_11target_archE4294967295ELNS1_3gpuE0ELNS1_3repE0EEENS1_30default_config_static_selectorELNS0_4arch9wavefront6targetE0EEEvSY_,"axG",@progbits,_ZN7rocprim17ROCPRIM_400000_NS6detail17trampoline_kernelINS0_13select_configILj256ELj13ELNS0_17block_load_methodE3ELS4_3ELS4_3ELNS0_20block_scan_algorithmE0ELj4294967295EEENS1_25partition_config_selectorILNS1_17partition_subalgoE3EjNS0_10empty_typeEbEEZZNS1_14partition_implILS8_3ELb0ES6_jNS0_17counting_iteratorIjlEEPS9_SE_NS0_5tupleIJPjSE_EEENSF_IJSE_SE_EEES9_SG_JZNS1_25segmented_radix_sort_implINS0_14default_configELb1EPKfPfPKlPlN2at6native12_GLOBAL__N_18offset_tEEE10hipError_tPvRmT1_PNSt15iterator_traitsISY_E10value_typeET2_T3_PNSZ_IS14_E10value_typeET4_jRbjT5_S1A_jjP12ihipStream_tbEUljE_EEESV_SW_SX_S14_S18_S1A_T6_T7_T9_mT8_S1C_bDpT10_ENKUlT_T0_E_clISt17integral_constantIbLb0EES1P_EEDaS1K_S1L_EUlS1K_E_NS1_11comp_targetILNS1_3genE0ELNS1_11target_archE4294967295ELNS1_3gpuE0ELNS1_3repE0EEENS1_30default_config_static_selectorELNS0_4arch9wavefront6targetE0EEEvSY_,comdat
.Lfunc_end1293:
	.size	_ZN7rocprim17ROCPRIM_400000_NS6detail17trampoline_kernelINS0_13select_configILj256ELj13ELNS0_17block_load_methodE3ELS4_3ELS4_3ELNS0_20block_scan_algorithmE0ELj4294967295EEENS1_25partition_config_selectorILNS1_17partition_subalgoE3EjNS0_10empty_typeEbEEZZNS1_14partition_implILS8_3ELb0ES6_jNS0_17counting_iteratorIjlEEPS9_SE_NS0_5tupleIJPjSE_EEENSF_IJSE_SE_EEES9_SG_JZNS1_25segmented_radix_sort_implINS0_14default_configELb1EPKfPfPKlPlN2at6native12_GLOBAL__N_18offset_tEEE10hipError_tPvRmT1_PNSt15iterator_traitsISY_E10value_typeET2_T3_PNSZ_IS14_E10value_typeET4_jRbjT5_S1A_jjP12ihipStream_tbEUljE_EEESV_SW_SX_S14_S18_S1A_T6_T7_T9_mT8_S1C_bDpT10_ENKUlT_T0_E_clISt17integral_constantIbLb0EES1P_EEDaS1K_S1L_EUlS1K_E_NS1_11comp_targetILNS1_3genE0ELNS1_11target_archE4294967295ELNS1_3gpuE0ELNS1_3repE0EEENS1_30default_config_static_selectorELNS0_4arch9wavefront6targetE0EEEvSY_, .Lfunc_end1293-_ZN7rocprim17ROCPRIM_400000_NS6detail17trampoline_kernelINS0_13select_configILj256ELj13ELNS0_17block_load_methodE3ELS4_3ELS4_3ELNS0_20block_scan_algorithmE0ELj4294967295EEENS1_25partition_config_selectorILNS1_17partition_subalgoE3EjNS0_10empty_typeEbEEZZNS1_14partition_implILS8_3ELb0ES6_jNS0_17counting_iteratorIjlEEPS9_SE_NS0_5tupleIJPjSE_EEENSF_IJSE_SE_EEES9_SG_JZNS1_25segmented_radix_sort_implINS0_14default_configELb1EPKfPfPKlPlN2at6native12_GLOBAL__N_18offset_tEEE10hipError_tPvRmT1_PNSt15iterator_traitsISY_E10value_typeET2_T3_PNSZ_IS14_E10value_typeET4_jRbjT5_S1A_jjP12ihipStream_tbEUljE_EEESV_SW_SX_S14_S18_S1A_T6_T7_T9_mT8_S1C_bDpT10_ENKUlT_T0_E_clISt17integral_constantIbLb0EES1P_EEDaS1K_S1L_EUlS1K_E_NS1_11comp_targetILNS1_3genE0ELNS1_11target_archE4294967295ELNS1_3gpuE0ELNS1_3repE0EEENS1_30default_config_static_selectorELNS0_4arch9wavefront6targetE0EEEvSY_
                                        ; -- End function
	.section	.AMDGPU.csdata,"",@progbits
; Kernel info:
; codeLenInByte = 0
; NumSgprs: 0
; NumVgprs: 0
; ScratchSize: 0
; MemoryBound: 0
; FloatMode: 240
; IeeeMode: 1
; LDSByteSize: 0 bytes/workgroup (compile time only)
; SGPRBlocks: 0
; VGPRBlocks: 0
; NumSGPRsForWavesPerEU: 1
; NumVGPRsForWavesPerEU: 1
; Occupancy: 16
; WaveLimiterHint : 0
; COMPUTE_PGM_RSRC2:SCRATCH_EN: 0
; COMPUTE_PGM_RSRC2:USER_SGPR: 15
; COMPUTE_PGM_RSRC2:TRAP_HANDLER: 0
; COMPUTE_PGM_RSRC2:TGID_X_EN: 1
; COMPUTE_PGM_RSRC2:TGID_Y_EN: 0
; COMPUTE_PGM_RSRC2:TGID_Z_EN: 0
; COMPUTE_PGM_RSRC2:TIDIG_COMP_CNT: 0
	.section	.text._ZN7rocprim17ROCPRIM_400000_NS6detail17trampoline_kernelINS0_13select_configILj256ELj13ELNS0_17block_load_methodE3ELS4_3ELS4_3ELNS0_20block_scan_algorithmE0ELj4294967295EEENS1_25partition_config_selectorILNS1_17partition_subalgoE3EjNS0_10empty_typeEbEEZZNS1_14partition_implILS8_3ELb0ES6_jNS0_17counting_iteratorIjlEEPS9_SE_NS0_5tupleIJPjSE_EEENSF_IJSE_SE_EEES9_SG_JZNS1_25segmented_radix_sort_implINS0_14default_configELb1EPKfPfPKlPlN2at6native12_GLOBAL__N_18offset_tEEE10hipError_tPvRmT1_PNSt15iterator_traitsISY_E10value_typeET2_T3_PNSZ_IS14_E10value_typeET4_jRbjT5_S1A_jjP12ihipStream_tbEUljE_EEESV_SW_SX_S14_S18_S1A_T6_T7_T9_mT8_S1C_bDpT10_ENKUlT_T0_E_clISt17integral_constantIbLb0EES1P_EEDaS1K_S1L_EUlS1K_E_NS1_11comp_targetILNS1_3genE5ELNS1_11target_archE942ELNS1_3gpuE9ELNS1_3repE0EEENS1_30default_config_static_selectorELNS0_4arch9wavefront6targetE0EEEvSY_,"axG",@progbits,_ZN7rocprim17ROCPRIM_400000_NS6detail17trampoline_kernelINS0_13select_configILj256ELj13ELNS0_17block_load_methodE3ELS4_3ELS4_3ELNS0_20block_scan_algorithmE0ELj4294967295EEENS1_25partition_config_selectorILNS1_17partition_subalgoE3EjNS0_10empty_typeEbEEZZNS1_14partition_implILS8_3ELb0ES6_jNS0_17counting_iteratorIjlEEPS9_SE_NS0_5tupleIJPjSE_EEENSF_IJSE_SE_EEES9_SG_JZNS1_25segmented_radix_sort_implINS0_14default_configELb1EPKfPfPKlPlN2at6native12_GLOBAL__N_18offset_tEEE10hipError_tPvRmT1_PNSt15iterator_traitsISY_E10value_typeET2_T3_PNSZ_IS14_E10value_typeET4_jRbjT5_S1A_jjP12ihipStream_tbEUljE_EEESV_SW_SX_S14_S18_S1A_T6_T7_T9_mT8_S1C_bDpT10_ENKUlT_T0_E_clISt17integral_constantIbLb0EES1P_EEDaS1K_S1L_EUlS1K_E_NS1_11comp_targetILNS1_3genE5ELNS1_11target_archE942ELNS1_3gpuE9ELNS1_3repE0EEENS1_30default_config_static_selectorELNS0_4arch9wavefront6targetE0EEEvSY_,comdat
	.globl	_ZN7rocprim17ROCPRIM_400000_NS6detail17trampoline_kernelINS0_13select_configILj256ELj13ELNS0_17block_load_methodE3ELS4_3ELS4_3ELNS0_20block_scan_algorithmE0ELj4294967295EEENS1_25partition_config_selectorILNS1_17partition_subalgoE3EjNS0_10empty_typeEbEEZZNS1_14partition_implILS8_3ELb0ES6_jNS0_17counting_iteratorIjlEEPS9_SE_NS0_5tupleIJPjSE_EEENSF_IJSE_SE_EEES9_SG_JZNS1_25segmented_radix_sort_implINS0_14default_configELb1EPKfPfPKlPlN2at6native12_GLOBAL__N_18offset_tEEE10hipError_tPvRmT1_PNSt15iterator_traitsISY_E10value_typeET2_T3_PNSZ_IS14_E10value_typeET4_jRbjT5_S1A_jjP12ihipStream_tbEUljE_EEESV_SW_SX_S14_S18_S1A_T6_T7_T9_mT8_S1C_bDpT10_ENKUlT_T0_E_clISt17integral_constantIbLb0EES1P_EEDaS1K_S1L_EUlS1K_E_NS1_11comp_targetILNS1_3genE5ELNS1_11target_archE942ELNS1_3gpuE9ELNS1_3repE0EEENS1_30default_config_static_selectorELNS0_4arch9wavefront6targetE0EEEvSY_ ; -- Begin function _ZN7rocprim17ROCPRIM_400000_NS6detail17trampoline_kernelINS0_13select_configILj256ELj13ELNS0_17block_load_methodE3ELS4_3ELS4_3ELNS0_20block_scan_algorithmE0ELj4294967295EEENS1_25partition_config_selectorILNS1_17partition_subalgoE3EjNS0_10empty_typeEbEEZZNS1_14partition_implILS8_3ELb0ES6_jNS0_17counting_iteratorIjlEEPS9_SE_NS0_5tupleIJPjSE_EEENSF_IJSE_SE_EEES9_SG_JZNS1_25segmented_radix_sort_implINS0_14default_configELb1EPKfPfPKlPlN2at6native12_GLOBAL__N_18offset_tEEE10hipError_tPvRmT1_PNSt15iterator_traitsISY_E10value_typeET2_T3_PNSZ_IS14_E10value_typeET4_jRbjT5_S1A_jjP12ihipStream_tbEUljE_EEESV_SW_SX_S14_S18_S1A_T6_T7_T9_mT8_S1C_bDpT10_ENKUlT_T0_E_clISt17integral_constantIbLb0EES1P_EEDaS1K_S1L_EUlS1K_E_NS1_11comp_targetILNS1_3genE5ELNS1_11target_archE942ELNS1_3gpuE9ELNS1_3repE0EEENS1_30default_config_static_selectorELNS0_4arch9wavefront6targetE0EEEvSY_
	.p2align	8
	.type	_ZN7rocprim17ROCPRIM_400000_NS6detail17trampoline_kernelINS0_13select_configILj256ELj13ELNS0_17block_load_methodE3ELS4_3ELS4_3ELNS0_20block_scan_algorithmE0ELj4294967295EEENS1_25partition_config_selectorILNS1_17partition_subalgoE3EjNS0_10empty_typeEbEEZZNS1_14partition_implILS8_3ELb0ES6_jNS0_17counting_iteratorIjlEEPS9_SE_NS0_5tupleIJPjSE_EEENSF_IJSE_SE_EEES9_SG_JZNS1_25segmented_radix_sort_implINS0_14default_configELb1EPKfPfPKlPlN2at6native12_GLOBAL__N_18offset_tEEE10hipError_tPvRmT1_PNSt15iterator_traitsISY_E10value_typeET2_T3_PNSZ_IS14_E10value_typeET4_jRbjT5_S1A_jjP12ihipStream_tbEUljE_EEESV_SW_SX_S14_S18_S1A_T6_T7_T9_mT8_S1C_bDpT10_ENKUlT_T0_E_clISt17integral_constantIbLb0EES1P_EEDaS1K_S1L_EUlS1K_E_NS1_11comp_targetILNS1_3genE5ELNS1_11target_archE942ELNS1_3gpuE9ELNS1_3repE0EEENS1_30default_config_static_selectorELNS0_4arch9wavefront6targetE0EEEvSY_,@function
_ZN7rocprim17ROCPRIM_400000_NS6detail17trampoline_kernelINS0_13select_configILj256ELj13ELNS0_17block_load_methodE3ELS4_3ELS4_3ELNS0_20block_scan_algorithmE0ELj4294967295EEENS1_25partition_config_selectorILNS1_17partition_subalgoE3EjNS0_10empty_typeEbEEZZNS1_14partition_implILS8_3ELb0ES6_jNS0_17counting_iteratorIjlEEPS9_SE_NS0_5tupleIJPjSE_EEENSF_IJSE_SE_EEES9_SG_JZNS1_25segmented_radix_sort_implINS0_14default_configELb1EPKfPfPKlPlN2at6native12_GLOBAL__N_18offset_tEEE10hipError_tPvRmT1_PNSt15iterator_traitsISY_E10value_typeET2_T3_PNSZ_IS14_E10value_typeET4_jRbjT5_S1A_jjP12ihipStream_tbEUljE_EEESV_SW_SX_S14_S18_S1A_T6_T7_T9_mT8_S1C_bDpT10_ENKUlT_T0_E_clISt17integral_constantIbLb0EES1P_EEDaS1K_S1L_EUlS1K_E_NS1_11comp_targetILNS1_3genE5ELNS1_11target_archE942ELNS1_3gpuE9ELNS1_3repE0EEENS1_30default_config_static_selectorELNS0_4arch9wavefront6targetE0EEEvSY_: ; @_ZN7rocprim17ROCPRIM_400000_NS6detail17trampoline_kernelINS0_13select_configILj256ELj13ELNS0_17block_load_methodE3ELS4_3ELS4_3ELNS0_20block_scan_algorithmE0ELj4294967295EEENS1_25partition_config_selectorILNS1_17partition_subalgoE3EjNS0_10empty_typeEbEEZZNS1_14partition_implILS8_3ELb0ES6_jNS0_17counting_iteratorIjlEEPS9_SE_NS0_5tupleIJPjSE_EEENSF_IJSE_SE_EEES9_SG_JZNS1_25segmented_radix_sort_implINS0_14default_configELb1EPKfPfPKlPlN2at6native12_GLOBAL__N_18offset_tEEE10hipError_tPvRmT1_PNSt15iterator_traitsISY_E10value_typeET2_T3_PNSZ_IS14_E10value_typeET4_jRbjT5_S1A_jjP12ihipStream_tbEUljE_EEESV_SW_SX_S14_S18_S1A_T6_T7_T9_mT8_S1C_bDpT10_ENKUlT_T0_E_clISt17integral_constantIbLb0EES1P_EEDaS1K_S1L_EUlS1K_E_NS1_11comp_targetILNS1_3genE5ELNS1_11target_archE942ELNS1_3gpuE9ELNS1_3repE0EEENS1_30default_config_static_selectorELNS0_4arch9wavefront6targetE0EEEvSY_
; %bb.0:
	.section	.rodata,"a",@progbits
	.p2align	6, 0x0
	.amdhsa_kernel _ZN7rocprim17ROCPRIM_400000_NS6detail17trampoline_kernelINS0_13select_configILj256ELj13ELNS0_17block_load_methodE3ELS4_3ELS4_3ELNS0_20block_scan_algorithmE0ELj4294967295EEENS1_25partition_config_selectorILNS1_17partition_subalgoE3EjNS0_10empty_typeEbEEZZNS1_14partition_implILS8_3ELb0ES6_jNS0_17counting_iteratorIjlEEPS9_SE_NS0_5tupleIJPjSE_EEENSF_IJSE_SE_EEES9_SG_JZNS1_25segmented_radix_sort_implINS0_14default_configELb1EPKfPfPKlPlN2at6native12_GLOBAL__N_18offset_tEEE10hipError_tPvRmT1_PNSt15iterator_traitsISY_E10value_typeET2_T3_PNSZ_IS14_E10value_typeET4_jRbjT5_S1A_jjP12ihipStream_tbEUljE_EEESV_SW_SX_S14_S18_S1A_T6_T7_T9_mT8_S1C_bDpT10_ENKUlT_T0_E_clISt17integral_constantIbLb0EES1P_EEDaS1K_S1L_EUlS1K_E_NS1_11comp_targetILNS1_3genE5ELNS1_11target_archE942ELNS1_3gpuE9ELNS1_3repE0EEENS1_30default_config_static_selectorELNS0_4arch9wavefront6targetE0EEEvSY_
		.amdhsa_group_segment_fixed_size 0
		.amdhsa_private_segment_fixed_size 0
		.amdhsa_kernarg_size 144
		.amdhsa_user_sgpr_count 15
		.amdhsa_user_sgpr_dispatch_ptr 0
		.amdhsa_user_sgpr_queue_ptr 0
		.amdhsa_user_sgpr_kernarg_segment_ptr 1
		.amdhsa_user_sgpr_dispatch_id 0
		.amdhsa_user_sgpr_private_segment_size 0
		.amdhsa_wavefront_size32 1
		.amdhsa_uses_dynamic_stack 0
		.amdhsa_enable_private_segment 0
		.amdhsa_system_sgpr_workgroup_id_x 1
		.amdhsa_system_sgpr_workgroup_id_y 0
		.amdhsa_system_sgpr_workgroup_id_z 0
		.amdhsa_system_sgpr_workgroup_info 0
		.amdhsa_system_vgpr_workitem_id 0
		.amdhsa_next_free_vgpr 1
		.amdhsa_next_free_sgpr 1
		.amdhsa_reserve_vcc 0
		.amdhsa_float_round_mode_32 0
		.amdhsa_float_round_mode_16_64 0
		.amdhsa_float_denorm_mode_32 3
		.amdhsa_float_denorm_mode_16_64 3
		.amdhsa_dx10_clamp 1
		.amdhsa_ieee_mode 1
		.amdhsa_fp16_overflow 0
		.amdhsa_workgroup_processor_mode 1
		.amdhsa_memory_ordered 1
		.amdhsa_forward_progress 0
		.amdhsa_shared_vgpr_count 0
		.amdhsa_exception_fp_ieee_invalid_op 0
		.amdhsa_exception_fp_denorm_src 0
		.amdhsa_exception_fp_ieee_div_zero 0
		.amdhsa_exception_fp_ieee_overflow 0
		.amdhsa_exception_fp_ieee_underflow 0
		.amdhsa_exception_fp_ieee_inexact 0
		.amdhsa_exception_int_div_zero 0
	.end_amdhsa_kernel
	.section	.text._ZN7rocprim17ROCPRIM_400000_NS6detail17trampoline_kernelINS0_13select_configILj256ELj13ELNS0_17block_load_methodE3ELS4_3ELS4_3ELNS0_20block_scan_algorithmE0ELj4294967295EEENS1_25partition_config_selectorILNS1_17partition_subalgoE3EjNS0_10empty_typeEbEEZZNS1_14partition_implILS8_3ELb0ES6_jNS0_17counting_iteratorIjlEEPS9_SE_NS0_5tupleIJPjSE_EEENSF_IJSE_SE_EEES9_SG_JZNS1_25segmented_radix_sort_implINS0_14default_configELb1EPKfPfPKlPlN2at6native12_GLOBAL__N_18offset_tEEE10hipError_tPvRmT1_PNSt15iterator_traitsISY_E10value_typeET2_T3_PNSZ_IS14_E10value_typeET4_jRbjT5_S1A_jjP12ihipStream_tbEUljE_EEESV_SW_SX_S14_S18_S1A_T6_T7_T9_mT8_S1C_bDpT10_ENKUlT_T0_E_clISt17integral_constantIbLb0EES1P_EEDaS1K_S1L_EUlS1K_E_NS1_11comp_targetILNS1_3genE5ELNS1_11target_archE942ELNS1_3gpuE9ELNS1_3repE0EEENS1_30default_config_static_selectorELNS0_4arch9wavefront6targetE0EEEvSY_,"axG",@progbits,_ZN7rocprim17ROCPRIM_400000_NS6detail17trampoline_kernelINS0_13select_configILj256ELj13ELNS0_17block_load_methodE3ELS4_3ELS4_3ELNS0_20block_scan_algorithmE0ELj4294967295EEENS1_25partition_config_selectorILNS1_17partition_subalgoE3EjNS0_10empty_typeEbEEZZNS1_14partition_implILS8_3ELb0ES6_jNS0_17counting_iteratorIjlEEPS9_SE_NS0_5tupleIJPjSE_EEENSF_IJSE_SE_EEES9_SG_JZNS1_25segmented_radix_sort_implINS0_14default_configELb1EPKfPfPKlPlN2at6native12_GLOBAL__N_18offset_tEEE10hipError_tPvRmT1_PNSt15iterator_traitsISY_E10value_typeET2_T3_PNSZ_IS14_E10value_typeET4_jRbjT5_S1A_jjP12ihipStream_tbEUljE_EEESV_SW_SX_S14_S18_S1A_T6_T7_T9_mT8_S1C_bDpT10_ENKUlT_T0_E_clISt17integral_constantIbLb0EES1P_EEDaS1K_S1L_EUlS1K_E_NS1_11comp_targetILNS1_3genE5ELNS1_11target_archE942ELNS1_3gpuE9ELNS1_3repE0EEENS1_30default_config_static_selectorELNS0_4arch9wavefront6targetE0EEEvSY_,comdat
.Lfunc_end1294:
	.size	_ZN7rocprim17ROCPRIM_400000_NS6detail17trampoline_kernelINS0_13select_configILj256ELj13ELNS0_17block_load_methodE3ELS4_3ELS4_3ELNS0_20block_scan_algorithmE0ELj4294967295EEENS1_25partition_config_selectorILNS1_17partition_subalgoE3EjNS0_10empty_typeEbEEZZNS1_14partition_implILS8_3ELb0ES6_jNS0_17counting_iteratorIjlEEPS9_SE_NS0_5tupleIJPjSE_EEENSF_IJSE_SE_EEES9_SG_JZNS1_25segmented_radix_sort_implINS0_14default_configELb1EPKfPfPKlPlN2at6native12_GLOBAL__N_18offset_tEEE10hipError_tPvRmT1_PNSt15iterator_traitsISY_E10value_typeET2_T3_PNSZ_IS14_E10value_typeET4_jRbjT5_S1A_jjP12ihipStream_tbEUljE_EEESV_SW_SX_S14_S18_S1A_T6_T7_T9_mT8_S1C_bDpT10_ENKUlT_T0_E_clISt17integral_constantIbLb0EES1P_EEDaS1K_S1L_EUlS1K_E_NS1_11comp_targetILNS1_3genE5ELNS1_11target_archE942ELNS1_3gpuE9ELNS1_3repE0EEENS1_30default_config_static_selectorELNS0_4arch9wavefront6targetE0EEEvSY_, .Lfunc_end1294-_ZN7rocprim17ROCPRIM_400000_NS6detail17trampoline_kernelINS0_13select_configILj256ELj13ELNS0_17block_load_methodE3ELS4_3ELS4_3ELNS0_20block_scan_algorithmE0ELj4294967295EEENS1_25partition_config_selectorILNS1_17partition_subalgoE3EjNS0_10empty_typeEbEEZZNS1_14partition_implILS8_3ELb0ES6_jNS0_17counting_iteratorIjlEEPS9_SE_NS0_5tupleIJPjSE_EEENSF_IJSE_SE_EEES9_SG_JZNS1_25segmented_radix_sort_implINS0_14default_configELb1EPKfPfPKlPlN2at6native12_GLOBAL__N_18offset_tEEE10hipError_tPvRmT1_PNSt15iterator_traitsISY_E10value_typeET2_T3_PNSZ_IS14_E10value_typeET4_jRbjT5_S1A_jjP12ihipStream_tbEUljE_EEESV_SW_SX_S14_S18_S1A_T6_T7_T9_mT8_S1C_bDpT10_ENKUlT_T0_E_clISt17integral_constantIbLb0EES1P_EEDaS1K_S1L_EUlS1K_E_NS1_11comp_targetILNS1_3genE5ELNS1_11target_archE942ELNS1_3gpuE9ELNS1_3repE0EEENS1_30default_config_static_selectorELNS0_4arch9wavefront6targetE0EEEvSY_
                                        ; -- End function
	.section	.AMDGPU.csdata,"",@progbits
; Kernel info:
; codeLenInByte = 0
; NumSgprs: 0
; NumVgprs: 0
; ScratchSize: 0
; MemoryBound: 0
; FloatMode: 240
; IeeeMode: 1
; LDSByteSize: 0 bytes/workgroup (compile time only)
; SGPRBlocks: 0
; VGPRBlocks: 0
; NumSGPRsForWavesPerEU: 1
; NumVGPRsForWavesPerEU: 1
; Occupancy: 16
; WaveLimiterHint : 0
; COMPUTE_PGM_RSRC2:SCRATCH_EN: 0
; COMPUTE_PGM_RSRC2:USER_SGPR: 15
; COMPUTE_PGM_RSRC2:TRAP_HANDLER: 0
; COMPUTE_PGM_RSRC2:TGID_X_EN: 1
; COMPUTE_PGM_RSRC2:TGID_Y_EN: 0
; COMPUTE_PGM_RSRC2:TGID_Z_EN: 0
; COMPUTE_PGM_RSRC2:TIDIG_COMP_CNT: 0
	.section	.text._ZN7rocprim17ROCPRIM_400000_NS6detail17trampoline_kernelINS0_13select_configILj256ELj13ELNS0_17block_load_methodE3ELS4_3ELS4_3ELNS0_20block_scan_algorithmE0ELj4294967295EEENS1_25partition_config_selectorILNS1_17partition_subalgoE3EjNS0_10empty_typeEbEEZZNS1_14partition_implILS8_3ELb0ES6_jNS0_17counting_iteratorIjlEEPS9_SE_NS0_5tupleIJPjSE_EEENSF_IJSE_SE_EEES9_SG_JZNS1_25segmented_radix_sort_implINS0_14default_configELb1EPKfPfPKlPlN2at6native12_GLOBAL__N_18offset_tEEE10hipError_tPvRmT1_PNSt15iterator_traitsISY_E10value_typeET2_T3_PNSZ_IS14_E10value_typeET4_jRbjT5_S1A_jjP12ihipStream_tbEUljE_EEESV_SW_SX_S14_S18_S1A_T6_T7_T9_mT8_S1C_bDpT10_ENKUlT_T0_E_clISt17integral_constantIbLb0EES1P_EEDaS1K_S1L_EUlS1K_E_NS1_11comp_targetILNS1_3genE4ELNS1_11target_archE910ELNS1_3gpuE8ELNS1_3repE0EEENS1_30default_config_static_selectorELNS0_4arch9wavefront6targetE0EEEvSY_,"axG",@progbits,_ZN7rocprim17ROCPRIM_400000_NS6detail17trampoline_kernelINS0_13select_configILj256ELj13ELNS0_17block_load_methodE3ELS4_3ELS4_3ELNS0_20block_scan_algorithmE0ELj4294967295EEENS1_25partition_config_selectorILNS1_17partition_subalgoE3EjNS0_10empty_typeEbEEZZNS1_14partition_implILS8_3ELb0ES6_jNS0_17counting_iteratorIjlEEPS9_SE_NS0_5tupleIJPjSE_EEENSF_IJSE_SE_EEES9_SG_JZNS1_25segmented_radix_sort_implINS0_14default_configELb1EPKfPfPKlPlN2at6native12_GLOBAL__N_18offset_tEEE10hipError_tPvRmT1_PNSt15iterator_traitsISY_E10value_typeET2_T3_PNSZ_IS14_E10value_typeET4_jRbjT5_S1A_jjP12ihipStream_tbEUljE_EEESV_SW_SX_S14_S18_S1A_T6_T7_T9_mT8_S1C_bDpT10_ENKUlT_T0_E_clISt17integral_constantIbLb0EES1P_EEDaS1K_S1L_EUlS1K_E_NS1_11comp_targetILNS1_3genE4ELNS1_11target_archE910ELNS1_3gpuE8ELNS1_3repE0EEENS1_30default_config_static_selectorELNS0_4arch9wavefront6targetE0EEEvSY_,comdat
	.globl	_ZN7rocprim17ROCPRIM_400000_NS6detail17trampoline_kernelINS0_13select_configILj256ELj13ELNS0_17block_load_methodE3ELS4_3ELS4_3ELNS0_20block_scan_algorithmE0ELj4294967295EEENS1_25partition_config_selectorILNS1_17partition_subalgoE3EjNS0_10empty_typeEbEEZZNS1_14partition_implILS8_3ELb0ES6_jNS0_17counting_iteratorIjlEEPS9_SE_NS0_5tupleIJPjSE_EEENSF_IJSE_SE_EEES9_SG_JZNS1_25segmented_radix_sort_implINS0_14default_configELb1EPKfPfPKlPlN2at6native12_GLOBAL__N_18offset_tEEE10hipError_tPvRmT1_PNSt15iterator_traitsISY_E10value_typeET2_T3_PNSZ_IS14_E10value_typeET4_jRbjT5_S1A_jjP12ihipStream_tbEUljE_EEESV_SW_SX_S14_S18_S1A_T6_T7_T9_mT8_S1C_bDpT10_ENKUlT_T0_E_clISt17integral_constantIbLb0EES1P_EEDaS1K_S1L_EUlS1K_E_NS1_11comp_targetILNS1_3genE4ELNS1_11target_archE910ELNS1_3gpuE8ELNS1_3repE0EEENS1_30default_config_static_selectorELNS0_4arch9wavefront6targetE0EEEvSY_ ; -- Begin function _ZN7rocprim17ROCPRIM_400000_NS6detail17trampoline_kernelINS0_13select_configILj256ELj13ELNS0_17block_load_methodE3ELS4_3ELS4_3ELNS0_20block_scan_algorithmE0ELj4294967295EEENS1_25partition_config_selectorILNS1_17partition_subalgoE3EjNS0_10empty_typeEbEEZZNS1_14partition_implILS8_3ELb0ES6_jNS0_17counting_iteratorIjlEEPS9_SE_NS0_5tupleIJPjSE_EEENSF_IJSE_SE_EEES9_SG_JZNS1_25segmented_radix_sort_implINS0_14default_configELb1EPKfPfPKlPlN2at6native12_GLOBAL__N_18offset_tEEE10hipError_tPvRmT1_PNSt15iterator_traitsISY_E10value_typeET2_T3_PNSZ_IS14_E10value_typeET4_jRbjT5_S1A_jjP12ihipStream_tbEUljE_EEESV_SW_SX_S14_S18_S1A_T6_T7_T9_mT8_S1C_bDpT10_ENKUlT_T0_E_clISt17integral_constantIbLb0EES1P_EEDaS1K_S1L_EUlS1K_E_NS1_11comp_targetILNS1_3genE4ELNS1_11target_archE910ELNS1_3gpuE8ELNS1_3repE0EEENS1_30default_config_static_selectorELNS0_4arch9wavefront6targetE0EEEvSY_
	.p2align	8
	.type	_ZN7rocprim17ROCPRIM_400000_NS6detail17trampoline_kernelINS0_13select_configILj256ELj13ELNS0_17block_load_methodE3ELS4_3ELS4_3ELNS0_20block_scan_algorithmE0ELj4294967295EEENS1_25partition_config_selectorILNS1_17partition_subalgoE3EjNS0_10empty_typeEbEEZZNS1_14partition_implILS8_3ELb0ES6_jNS0_17counting_iteratorIjlEEPS9_SE_NS0_5tupleIJPjSE_EEENSF_IJSE_SE_EEES9_SG_JZNS1_25segmented_radix_sort_implINS0_14default_configELb1EPKfPfPKlPlN2at6native12_GLOBAL__N_18offset_tEEE10hipError_tPvRmT1_PNSt15iterator_traitsISY_E10value_typeET2_T3_PNSZ_IS14_E10value_typeET4_jRbjT5_S1A_jjP12ihipStream_tbEUljE_EEESV_SW_SX_S14_S18_S1A_T6_T7_T9_mT8_S1C_bDpT10_ENKUlT_T0_E_clISt17integral_constantIbLb0EES1P_EEDaS1K_S1L_EUlS1K_E_NS1_11comp_targetILNS1_3genE4ELNS1_11target_archE910ELNS1_3gpuE8ELNS1_3repE0EEENS1_30default_config_static_selectorELNS0_4arch9wavefront6targetE0EEEvSY_,@function
_ZN7rocprim17ROCPRIM_400000_NS6detail17trampoline_kernelINS0_13select_configILj256ELj13ELNS0_17block_load_methodE3ELS4_3ELS4_3ELNS0_20block_scan_algorithmE0ELj4294967295EEENS1_25partition_config_selectorILNS1_17partition_subalgoE3EjNS0_10empty_typeEbEEZZNS1_14partition_implILS8_3ELb0ES6_jNS0_17counting_iteratorIjlEEPS9_SE_NS0_5tupleIJPjSE_EEENSF_IJSE_SE_EEES9_SG_JZNS1_25segmented_radix_sort_implINS0_14default_configELb1EPKfPfPKlPlN2at6native12_GLOBAL__N_18offset_tEEE10hipError_tPvRmT1_PNSt15iterator_traitsISY_E10value_typeET2_T3_PNSZ_IS14_E10value_typeET4_jRbjT5_S1A_jjP12ihipStream_tbEUljE_EEESV_SW_SX_S14_S18_S1A_T6_T7_T9_mT8_S1C_bDpT10_ENKUlT_T0_E_clISt17integral_constantIbLb0EES1P_EEDaS1K_S1L_EUlS1K_E_NS1_11comp_targetILNS1_3genE4ELNS1_11target_archE910ELNS1_3gpuE8ELNS1_3repE0EEENS1_30default_config_static_selectorELNS0_4arch9wavefront6targetE0EEEvSY_: ; @_ZN7rocprim17ROCPRIM_400000_NS6detail17trampoline_kernelINS0_13select_configILj256ELj13ELNS0_17block_load_methodE3ELS4_3ELS4_3ELNS0_20block_scan_algorithmE0ELj4294967295EEENS1_25partition_config_selectorILNS1_17partition_subalgoE3EjNS0_10empty_typeEbEEZZNS1_14partition_implILS8_3ELb0ES6_jNS0_17counting_iteratorIjlEEPS9_SE_NS0_5tupleIJPjSE_EEENSF_IJSE_SE_EEES9_SG_JZNS1_25segmented_radix_sort_implINS0_14default_configELb1EPKfPfPKlPlN2at6native12_GLOBAL__N_18offset_tEEE10hipError_tPvRmT1_PNSt15iterator_traitsISY_E10value_typeET2_T3_PNSZ_IS14_E10value_typeET4_jRbjT5_S1A_jjP12ihipStream_tbEUljE_EEESV_SW_SX_S14_S18_S1A_T6_T7_T9_mT8_S1C_bDpT10_ENKUlT_T0_E_clISt17integral_constantIbLb0EES1P_EEDaS1K_S1L_EUlS1K_E_NS1_11comp_targetILNS1_3genE4ELNS1_11target_archE910ELNS1_3gpuE8ELNS1_3repE0EEENS1_30default_config_static_selectorELNS0_4arch9wavefront6targetE0EEEvSY_
; %bb.0:
	.section	.rodata,"a",@progbits
	.p2align	6, 0x0
	.amdhsa_kernel _ZN7rocprim17ROCPRIM_400000_NS6detail17trampoline_kernelINS0_13select_configILj256ELj13ELNS0_17block_load_methodE3ELS4_3ELS4_3ELNS0_20block_scan_algorithmE0ELj4294967295EEENS1_25partition_config_selectorILNS1_17partition_subalgoE3EjNS0_10empty_typeEbEEZZNS1_14partition_implILS8_3ELb0ES6_jNS0_17counting_iteratorIjlEEPS9_SE_NS0_5tupleIJPjSE_EEENSF_IJSE_SE_EEES9_SG_JZNS1_25segmented_radix_sort_implINS0_14default_configELb1EPKfPfPKlPlN2at6native12_GLOBAL__N_18offset_tEEE10hipError_tPvRmT1_PNSt15iterator_traitsISY_E10value_typeET2_T3_PNSZ_IS14_E10value_typeET4_jRbjT5_S1A_jjP12ihipStream_tbEUljE_EEESV_SW_SX_S14_S18_S1A_T6_T7_T9_mT8_S1C_bDpT10_ENKUlT_T0_E_clISt17integral_constantIbLb0EES1P_EEDaS1K_S1L_EUlS1K_E_NS1_11comp_targetILNS1_3genE4ELNS1_11target_archE910ELNS1_3gpuE8ELNS1_3repE0EEENS1_30default_config_static_selectorELNS0_4arch9wavefront6targetE0EEEvSY_
		.amdhsa_group_segment_fixed_size 0
		.amdhsa_private_segment_fixed_size 0
		.amdhsa_kernarg_size 144
		.amdhsa_user_sgpr_count 15
		.amdhsa_user_sgpr_dispatch_ptr 0
		.amdhsa_user_sgpr_queue_ptr 0
		.amdhsa_user_sgpr_kernarg_segment_ptr 1
		.amdhsa_user_sgpr_dispatch_id 0
		.amdhsa_user_sgpr_private_segment_size 0
		.amdhsa_wavefront_size32 1
		.amdhsa_uses_dynamic_stack 0
		.amdhsa_enable_private_segment 0
		.amdhsa_system_sgpr_workgroup_id_x 1
		.amdhsa_system_sgpr_workgroup_id_y 0
		.amdhsa_system_sgpr_workgroup_id_z 0
		.amdhsa_system_sgpr_workgroup_info 0
		.amdhsa_system_vgpr_workitem_id 0
		.amdhsa_next_free_vgpr 1
		.amdhsa_next_free_sgpr 1
		.amdhsa_reserve_vcc 0
		.amdhsa_float_round_mode_32 0
		.amdhsa_float_round_mode_16_64 0
		.amdhsa_float_denorm_mode_32 3
		.amdhsa_float_denorm_mode_16_64 3
		.amdhsa_dx10_clamp 1
		.amdhsa_ieee_mode 1
		.amdhsa_fp16_overflow 0
		.amdhsa_workgroup_processor_mode 1
		.amdhsa_memory_ordered 1
		.amdhsa_forward_progress 0
		.amdhsa_shared_vgpr_count 0
		.amdhsa_exception_fp_ieee_invalid_op 0
		.amdhsa_exception_fp_denorm_src 0
		.amdhsa_exception_fp_ieee_div_zero 0
		.amdhsa_exception_fp_ieee_overflow 0
		.amdhsa_exception_fp_ieee_underflow 0
		.amdhsa_exception_fp_ieee_inexact 0
		.amdhsa_exception_int_div_zero 0
	.end_amdhsa_kernel
	.section	.text._ZN7rocprim17ROCPRIM_400000_NS6detail17trampoline_kernelINS0_13select_configILj256ELj13ELNS0_17block_load_methodE3ELS4_3ELS4_3ELNS0_20block_scan_algorithmE0ELj4294967295EEENS1_25partition_config_selectorILNS1_17partition_subalgoE3EjNS0_10empty_typeEbEEZZNS1_14partition_implILS8_3ELb0ES6_jNS0_17counting_iteratorIjlEEPS9_SE_NS0_5tupleIJPjSE_EEENSF_IJSE_SE_EEES9_SG_JZNS1_25segmented_radix_sort_implINS0_14default_configELb1EPKfPfPKlPlN2at6native12_GLOBAL__N_18offset_tEEE10hipError_tPvRmT1_PNSt15iterator_traitsISY_E10value_typeET2_T3_PNSZ_IS14_E10value_typeET4_jRbjT5_S1A_jjP12ihipStream_tbEUljE_EEESV_SW_SX_S14_S18_S1A_T6_T7_T9_mT8_S1C_bDpT10_ENKUlT_T0_E_clISt17integral_constantIbLb0EES1P_EEDaS1K_S1L_EUlS1K_E_NS1_11comp_targetILNS1_3genE4ELNS1_11target_archE910ELNS1_3gpuE8ELNS1_3repE0EEENS1_30default_config_static_selectorELNS0_4arch9wavefront6targetE0EEEvSY_,"axG",@progbits,_ZN7rocprim17ROCPRIM_400000_NS6detail17trampoline_kernelINS0_13select_configILj256ELj13ELNS0_17block_load_methodE3ELS4_3ELS4_3ELNS0_20block_scan_algorithmE0ELj4294967295EEENS1_25partition_config_selectorILNS1_17partition_subalgoE3EjNS0_10empty_typeEbEEZZNS1_14partition_implILS8_3ELb0ES6_jNS0_17counting_iteratorIjlEEPS9_SE_NS0_5tupleIJPjSE_EEENSF_IJSE_SE_EEES9_SG_JZNS1_25segmented_radix_sort_implINS0_14default_configELb1EPKfPfPKlPlN2at6native12_GLOBAL__N_18offset_tEEE10hipError_tPvRmT1_PNSt15iterator_traitsISY_E10value_typeET2_T3_PNSZ_IS14_E10value_typeET4_jRbjT5_S1A_jjP12ihipStream_tbEUljE_EEESV_SW_SX_S14_S18_S1A_T6_T7_T9_mT8_S1C_bDpT10_ENKUlT_T0_E_clISt17integral_constantIbLb0EES1P_EEDaS1K_S1L_EUlS1K_E_NS1_11comp_targetILNS1_3genE4ELNS1_11target_archE910ELNS1_3gpuE8ELNS1_3repE0EEENS1_30default_config_static_selectorELNS0_4arch9wavefront6targetE0EEEvSY_,comdat
.Lfunc_end1295:
	.size	_ZN7rocprim17ROCPRIM_400000_NS6detail17trampoline_kernelINS0_13select_configILj256ELj13ELNS0_17block_load_methodE3ELS4_3ELS4_3ELNS0_20block_scan_algorithmE0ELj4294967295EEENS1_25partition_config_selectorILNS1_17partition_subalgoE3EjNS0_10empty_typeEbEEZZNS1_14partition_implILS8_3ELb0ES6_jNS0_17counting_iteratorIjlEEPS9_SE_NS0_5tupleIJPjSE_EEENSF_IJSE_SE_EEES9_SG_JZNS1_25segmented_radix_sort_implINS0_14default_configELb1EPKfPfPKlPlN2at6native12_GLOBAL__N_18offset_tEEE10hipError_tPvRmT1_PNSt15iterator_traitsISY_E10value_typeET2_T3_PNSZ_IS14_E10value_typeET4_jRbjT5_S1A_jjP12ihipStream_tbEUljE_EEESV_SW_SX_S14_S18_S1A_T6_T7_T9_mT8_S1C_bDpT10_ENKUlT_T0_E_clISt17integral_constantIbLb0EES1P_EEDaS1K_S1L_EUlS1K_E_NS1_11comp_targetILNS1_3genE4ELNS1_11target_archE910ELNS1_3gpuE8ELNS1_3repE0EEENS1_30default_config_static_selectorELNS0_4arch9wavefront6targetE0EEEvSY_, .Lfunc_end1295-_ZN7rocprim17ROCPRIM_400000_NS6detail17trampoline_kernelINS0_13select_configILj256ELj13ELNS0_17block_load_methodE3ELS4_3ELS4_3ELNS0_20block_scan_algorithmE0ELj4294967295EEENS1_25partition_config_selectorILNS1_17partition_subalgoE3EjNS0_10empty_typeEbEEZZNS1_14partition_implILS8_3ELb0ES6_jNS0_17counting_iteratorIjlEEPS9_SE_NS0_5tupleIJPjSE_EEENSF_IJSE_SE_EEES9_SG_JZNS1_25segmented_radix_sort_implINS0_14default_configELb1EPKfPfPKlPlN2at6native12_GLOBAL__N_18offset_tEEE10hipError_tPvRmT1_PNSt15iterator_traitsISY_E10value_typeET2_T3_PNSZ_IS14_E10value_typeET4_jRbjT5_S1A_jjP12ihipStream_tbEUljE_EEESV_SW_SX_S14_S18_S1A_T6_T7_T9_mT8_S1C_bDpT10_ENKUlT_T0_E_clISt17integral_constantIbLb0EES1P_EEDaS1K_S1L_EUlS1K_E_NS1_11comp_targetILNS1_3genE4ELNS1_11target_archE910ELNS1_3gpuE8ELNS1_3repE0EEENS1_30default_config_static_selectorELNS0_4arch9wavefront6targetE0EEEvSY_
                                        ; -- End function
	.section	.AMDGPU.csdata,"",@progbits
; Kernel info:
; codeLenInByte = 0
; NumSgprs: 0
; NumVgprs: 0
; ScratchSize: 0
; MemoryBound: 0
; FloatMode: 240
; IeeeMode: 1
; LDSByteSize: 0 bytes/workgroup (compile time only)
; SGPRBlocks: 0
; VGPRBlocks: 0
; NumSGPRsForWavesPerEU: 1
; NumVGPRsForWavesPerEU: 1
; Occupancy: 16
; WaveLimiterHint : 0
; COMPUTE_PGM_RSRC2:SCRATCH_EN: 0
; COMPUTE_PGM_RSRC2:USER_SGPR: 15
; COMPUTE_PGM_RSRC2:TRAP_HANDLER: 0
; COMPUTE_PGM_RSRC2:TGID_X_EN: 1
; COMPUTE_PGM_RSRC2:TGID_Y_EN: 0
; COMPUTE_PGM_RSRC2:TGID_Z_EN: 0
; COMPUTE_PGM_RSRC2:TIDIG_COMP_CNT: 0
	.section	.text._ZN7rocprim17ROCPRIM_400000_NS6detail17trampoline_kernelINS0_13select_configILj256ELj13ELNS0_17block_load_methodE3ELS4_3ELS4_3ELNS0_20block_scan_algorithmE0ELj4294967295EEENS1_25partition_config_selectorILNS1_17partition_subalgoE3EjNS0_10empty_typeEbEEZZNS1_14partition_implILS8_3ELb0ES6_jNS0_17counting_iteratorIjlEEPS9_SE_NS0_5tupleIJPjSE_EEENSF_IJSE_SE_EEES9_SG_JZNS1_25segmented_radix_sort_implINS0_14default_configELb1EPKfPfPKlPlN2at6native12_GLOBAL__N_18offset_tEEE10hipError_tPvRmT1_PNSt15iterator_traitsISY_E10value_typeET2_T3_PNSZ_IS14_E10value_typeET4_jRbjT5_S1A_jjP12ihipStream_tbEUljE_EEESV_SW_SX_S14_S18_S1A_T6_T7_T9_mT8_S1C_bDpT10_ENKUlT_T0_E_clISt17integral_constantIbLb0EES1P_EEDaS1K_S1L_EUlS1K_E_NS1_11comp_targetILNS1_3genE3ELNS1_11target_archE908ELNS1_3gpuE7ELNS1_3repE0EEENS1_30default_config_static_selectorELNS0_4arch9wavefront6targetE0EEEvSY_,"axG",@progbits,_ZN7rocprim17ROCPRIM_400000_NS6detail17trampoline_kernelINS0_13select_configILj256ELj13ELNS0_17block_load_methodE3ELS4_3ELS4_3ELNS0_20block_scan_algorithmE0ELj4294967295EEENS1_25partition_config_selectorILNS1_17partition_subalgoE3EjNS0_10empty_typeEbEEZZNS1_14partition_implILS8_3ELb0ES6_jNS0_17counting_iteratorIjlEEPS9_SE_NS0_5tupleIJPjSE_EEENSF_IJSE_SE_EEES9_SG_JZNS1_25segmented_radix_sort_implINS0_14default_configELb1EPKfPfPKlPlN2at6native12_GLOBAL__N_18offset_tEEE10hipError_tPvRmT1_PNSt15iterator_traitsISY_E10value_typeET2_T3_PNSZ_IS14_E10value_typeET4_jRbjT5_S1A_jjP12ihipStream_tbEUljE_EEESV_SW_SX_S14_S18_S1A_T6_T7_T9_mT8_S1C_bDpT10_ENKUlT_T0_E_clISt17integral_constantIbLb0EES1P_EEDaS1K_S1L_EUlS1K_E_NS1_11comp_targetILNS1_3genE3ELNS1_11target_archE908ELNS1_3gpuE7ELNS1_3repE0EEENS1_30default_config_static_selectorELNS0_4arch9wavefront6targetE0EEEvSY_,comdat
	.globl	_ZN7rocprim17ROCPRIM_400000_NS6detail17trampoline_kernelINS0_13select_configILj256ELj13ELNS0_17block_load_methodE3ELS4_3ELS4_3ELNS0_20block_scan_algorithmE0ELj4294967295EEENS1_25partition_config_selectorILNS1_17partition_subalgoE3EjNS0_10empty_typeEbEEZZNS1_14partition_implILS8_3ELb0ES6_jNS0_17counting_iteratorIjlEEPS9_SE_NS0_5tupleIJPjSE_EEENSF_IJSE_SE_EEES9_SG_JZNS1_25segmented_radix_sort_implINS0_14default_configELb1EPKfPfPKlPlN2at6native12_GLOBAL__N_18offset_tEEE10hipError_tPvRmT1_PNSt15iterator_traitsISY_E10value_typeET2_T3_PNSZ_IS14_E10value_typeET4_jRbjT5_S1A_jjP12ihipStream_tbEUljE_EEESV_SW_SX_S14_S18_S1A_T6_T7_T9_mT8_S1C_bDpT10_ENKUlT_T0_E_clISt17integral_constantIbLb0EES1P_EEDaS1K_S1L_EUlS1K_E_NS1_11comp_targetILNS1_3genE3ELNS1_11target_archE908ELNS1_3gpuE7ELNS1_3repE0EEENS1_30default_config_static_selectorELNS0_4arch9wavefront6targetE0EEEvSY_ ; -- Begin function _ZN7rocprim17ROCPRIM_400000_NS6detail17trampoline_kernelINS0_13select_configILj256ELj13ELNS0_17block_load_methodE3ELS4_3ELS4_3ELNS0_20block_scan_algorithmE0ELj4294967295EEENS1_25partition_config_selectorILNS1_17partition_subalgoE3EjNS0_10empty_typeEbEEZZNS1_14partition_implILS8_3ELb0ES6_jNS0_17counting_iteratorIjlEEPS9_SE_NS0_5tupleIJPjSE_EEENSF_IJSE_SE_EEES9_SG_JZNS1_25segmented_radix_sort_implINS0_14default_configELb1EPKfPfPKlPlN2at6native12_GLOBAL__N_18offset_tEEE10hipError_tPvRmT1_PNSt15iterator_traitsISY_E10value_typeET2_T3_PNSZ_IS14_E10value_typeET4_jRbjT5_S1A_jjP12ihipStream_tbEUljE_EEESV_SW_SX_S14_S18_S1A_T6_T7_T9_mT8_S1C_bDpT10_ENKUlT_T0_E_clISt17integral_constantIbLb0EES1P_EEDaS1K_S1L_EUlS1K_E_NS1_11comp_targetILNS1_3genE3ELNS1_11target_archE908ELNS1_3gpuE7ELNS1_3repE0EEENS1_30default_config_static_selectorELNS0_4arch9wavefront6targetE0EEEvSY_
	.p2align	8
	.type	_ZN7rocprim17ROCPRIM_400000_NS6detail17trampoline_kernelINS0_13select_configILj256ELj13ELNS0_17block_load_methodE3ELS4_3ELS4_3ELNS0_20block_scan_algorithmE0ELj4294967295EEENS1_25partition_config_selectorILNS1_17partition_subalgoE3EjNS0_10empty_typeEbEEZZNS1_14partition_implILS8_3ELb0ES6_jNS0_17counting_iteratorIjlEEPS9_SE_NS0_5tupleIJPjSE_EEENSF_IJSE_SE_EEES9_SG_JZNS1_25segmented_radix_sort_implINS0_14default_configELb1EPKfPfPKlPlN2at6native12_GLOBAL__N_18offset_tEEE10hipError_tPvRmT1_PNSt15iterator_traitsISY_E10value_typeET2_T3_PNSZ_IS14_E10value_typeET4_jRbjT5_S1A_jjP12ihipStream_tbEUljE_EEESV_SW_SX_S14_S18_S1A_T6_T7_T9_mT8_S1C_bDpT10_ENKUlT_T0_E_clISt17integral_constantIbLb0EES1P_EEDaS1K_S1L_EUlS1K_E_NS1_11comp_targetILNS1_3genE3ELNS1_11target_archE908ELNS1_3gpuE7ELNS1_3repE0EEENS1_30default_config_static_selectorELNS0_4arch9wavefront6targetE0EEEvSY_,@function
_ZN7rocprim17ROCPRIM_400000_NS6detail17trampoline_kernelINS0_13select_configILj256ELj13ELNS0_17block_load_methodE3ELS4_3ELS4_3ELNS0_20block_scan_algorithmE0ELj4294967295EEENS1_25partition_config_selectorILNS1_17partition_subalgoE3EjNS0_10empty_typeEbEEZZNS1_14partition_implILS8_3ELb0ES6_jNS0_17counting_iteratorIjlEEPS9_SE_NS0_5tupleIJPjSE_EEENSF_IJSE_SE_EEES9_SG_JZNS1_25segmented_radix_sort_implINS0_14default_configELb1EPKfPfPKlPlN2at6native12_GLOBAL__N_18offset_tEEE10hipError_tPvRmT1_PNSt15iterator_traitsISY_E10value_typeET2_T3_PNSZ_IS14_E10value_typeET4_jRbjT5_S1A_jjP12ihipStream_tbEUljE_EEESV_SW_SX_S14_S18_S1A_T6_T7_T9_mT8_S1C_bDpT10_ENKUlT_T0_E_clISt17integral_constantIbLb0EES1P_EEDaS1K_S1L_EUlS1K_E_NS1_11comp_targetILNS1_3genE3ELNS1_11target_archE908ELNS1_3gpuE7ELNS1_3repE0EEENS1_30default_config_static_selectorELNS0_4arch9wavefront6targetE0EEEvSY_: ; @_ZN7rocprim17ROCPRIM_400000_NS6detail17trampoline_kernelINS0_13select_configILj256ELj13ELNS0_17block_load_methodE3ELS4_3ELS4_3ELNS0_20block_scan_algorithmE0ELj4294967295EEENS1_25partition_config_selectorILNS1_17partition_subalgoE3EjNS0_10empty_typeEbEEZZNS1_14partition_implILS8_3ELb0ES6_jNS0_17counting_iteratorIjlEEPS9_SE_NS0_5tupleIJPjSE_EEENSF_IJSE_SE_EEES9_SG_JZNS1_25segmented_radix_sort_implINS0_14default_configELb1EPKfPfPKlPlN2at6native12_GLOBAL__N_18offset_tEEE10hipError_tPvRmT1_PNSt15iterator_traitsISY_E10value_typeET2_T3_PNSZ_IS14_E10value_typeET4_jRbjT5_S1A_jjP12ihipStream_tbEUljE_EEESV_SW_SX_S14_S18_S1A_T6_T7_T9_mT8_S1C_bDpT10_ENKUlT_T0_E_clISt17integral_constantIbLb0EES1P_EEDaS1K_S1L_EUlS1K_E_NS1_11comp_targetILNS1_3genE3ELNS1_11target_archE908ELNS1_3gpuE7ELNS1_3repE0EEENS1_30default_config_static_selectorELNS0_4arch9wavefront6targetE0EEEvSY_
; %bb.0:
	.section	.rodata,"a",@progbits
	.p2align	6, 0x0
	.amdhsa_kernel _ZN7rocprim17ROCPRIM_400000_NS6detail17trampoline_kernelINS0_13select_configILj256ELj13ELNS0_17block_load_methodE3ELS4_3ELS4_3ELNS0_20block_scan_algorithmE0ELj4294967295EEENS1_25partition_config_selectorILNS1_17partition_subalgoE3EjNS0_10empty_typeEbEEZZNS1_14partition_implILS8_3ELb0ES6_jNS0_17counting_iteratorIjlEEPS9_SE_NS0_5tupleIJPjSE_EEENSF_IJSE_SE_EEES9_SG_JZNS1_25segmented_radix_sort_implINS0_14default_configELb1EPKfPfPKlPlN2at6native12_GLOBAL__N_18offset_tEEE10hipError_tPvRmT1_PNSt15iterator_traitsISY_E10value_typeET2_T3_PNSZ_IS14_E10value_typeET4_jRbjT5_S1A_jjP12ihipStream_tbEUljE_EEESV_SW_SX_S14_S18_S1A_T6_T7_T9_mT8_S1C_bDpT10_ENKUlT_T0_E_clISt17integral_constantIbLb0EES1P_EEDaS1K_S1L_EUlS1K_E_NS1_11comp_targetILNS1_3genE3ELNS1_11target_archE908ELNS1_3gpuE7ELNS1_3repE0EEENS1_30default_config_static_selectorELNS0_4arch9wavefront6targetE0EEEvSY_
		.amdhsa_group_segment_fixed_size 0
		.amdhsa_private_segment_fixed_size 0
		.amdhsa_kernarg_size 144
		.amdhsa_user_sgpr_count 15
		.amdhsa_user_sgpr_dispatch_ptr 0
		.amdhsa_user_sgpr_queue_ptr 0
		.amdhsa_user_sgpr_kernarg_segment_ptr 1
		.amdhsa_user_sgpr_dispatch_id 0
		.amdhsa_user_sgpr_private_segment_size 0
		.amdhsa_wavefront_size32 1
		.amdhsa_uses_dynamic_stack 0
		.amdhsa_enable_private_segment 0
		.amdhsa_system_sgpr_workgroup_id_x 1
		.amdhsa_system_sgpr_workgroup_id_y 0
		.amdhsa_system_sgpr_workgroup_id_z 0
		.amdhsa_system_sgpr_workgroup_info 0
		.amdhsa_system_vgpr_workitem_id 0
		.amdhsa_next_free_vgpr 1
		.amdhsa_next_free_sgpr 1
		.amdhsa_reserve_vcc 0
		.amdhsa_float_round_mode_32 0
		.amdhsa_float_round_mode_16_64 0
		.amdhsa_float_denorm_mode_32 3
		.amdhsa_float_denorm_mode_16_64 3
		.amdhsa_dx10_clamp 1
		.amdhsa_ieee_mode 1
		.amdhsa_fp16_overflow 0
		.amdhsa_workgroup_processor_mode 1
		.amdhsa_memory_ordered 1
		.amdhsa_forward_progress 0
		.amdhsa_shared_vgpr_count 0
		.amdhsa_exception_fp_ieee_invalid_op 0
		.amdhsa_exception_fp_denorm_src 0
		.amdhsa_exception_fp_ieee_div_zero 0
		.amdhsa_exception_fp_ieee_overflow 0
		.amdhsa_exception_fp_ieee_underflow 0
		.amdhsa_exception_fp_ieee_inexact 0
		.amdhsa_exception_int_div_zero 0
	.end_amdhsa_kernel
	.section	.text._ZN7rocprim17ROCPRIM_400000_NS6detail17trampoline_kernelINS0_13select_configILj256ELj13ELNS0_17block_load_methodE3ELS4_3ELS4_3ELNS0_20block_scan_algorithmE0ELj4294967295EEENS1_25partition_config_selectorILNS1_17partition_subalgoE3EjNS0_10empty_typeEbEEZZNS1_14partition_implILS8_3ELb0ES6_jNS0_17counting_iteratorIjlEEPS9_SE_NS0_5tupleIJPjSE_EEENSF_IJSE_SE_EEES9_SG_JZNS1_25segmented_radix_sort_implINS0_14default_configELb1EPKfPfPKlPlN2at6native12_GLOBAL__N_18offset_tEEE10hipError_tPvRmT1_PNSt15iterator_traitsISY_E10value_typeET2_T3_PNSZ_IS14_E10value_typeET4_jRbjT5_S1A_jjP12ihipStream_tbEUljE_EEESV_SW_SX_S14_S18_S1A_T6_T7_T9_mT8_S1C_bDpT10_ENKUlT_T0_E_clISt17integral_constantIbLb0EES1P_EEDaS1K_S1L_EUlS1K_E_NS1_11comp_targetILNS1_3genE3ELNS1_11target_archE908ELNS1_3gpuE7ELNS1_3repE0EEENS1_30default_config_static_selectorELNS0_4arch9wavefront6targetE0EEEvSY_,"axG",@progbits,_ZN7rocprim17ROCPRIM_400000_NS6detail17trampoline_kernelINS0_13select_configILj256ELj13ELNS0_17block_load_methodE3ELS4_3ELS4_3ELNS0_20block_scan_algorithmE0ELj4294967295EEENS1_25partition_config_selectorILNS1_17partition_subalgoE3EjNS0_10empty_typeEbEEZZNS1_14partition_implILS8_3ELb0ES6_jNS0_17counting_iteratorIjlEEPS9_SE_NS0_5tupleIJPjSE_EEENSF_IJSE_SE_EEES9_SG_JZNS1_25segmented_radix_sort_implINS0_14default_configELb1EPKfPfPKlPlN2at6native12_GLOBAL__N_18offset_tEEE10hipError_tPvRmT1_PNSt15iterator_traitsISY_E10value_typeET2_T3_PNSZ_IS14_E10value_typeET4_jRbjT5_S1A_jjP12ihipStream_tbEUljE_EEESV_SW_SX_S14_S18_S1A_T6_T7_T9_mT8_S1C_bDpT10_ENKUlT_T0_E_clISt17integral_constantIbLb0EES1P_EEDaS1K_S1L_EUlS1K_E_NS1_11comp_targetILNS1_3genE3ELNS1_11target_archE908ELNS1_3gpuE7ELNS1_3repE0EEENS1_30default_config_static_selectorELNS0_4arch9wavefront6targetE0EEEvSY_,comdat
.Lfunc_end1296:
	.size	_ZN7rocprim17ROCPRIM_400000_NS6detail17trampoline_kernelINS0_13select_configILj256ELj13ELNS0_17block_load_methodE3ELS4_3ELS4_3ELNS0_20block_scan_algorithmE0ELj4294967295EEENS1_25partition_config_selectorILNS1_17partition_subalgoE3EjNS0_10empty_typeEbEEZZNS1_14partition_implILS8_3ELb0ES6_jNS0_17counting_iteratorIjlEEPS9_SE_NS0_5tupleIJPjSE_EEENSF_IJSE_SE_EEES9_SG_JZNS1_25segmented_radix_sort_implINS0_14default_configELb1EPKfPfPKlPlN2at6native12_GLOBAL__N_18offset_tEEE10hipError_tPvRmT1_PNSt15iterator_traitsISY_E10value_typeET2_T3_PNSZ_IS14_E10value_typeET4_jRbjT5_S1A_jjP12ihipStream_tbEUljE_EEESV_SW_SX_S14_S18_S1A_T6_T7_T9_mT8_S1C_bDpT10_ENKUlT_T0_E_clISt17integral_constantIbLb0EES1P_EEDaS1K_S1L_EUlS1K_E_NS1_11comp_targetILNS1_3genE3ELNS1_11target_archE908ELNS1_3gpuE7ELNS1_3repE0EEENS1_30default_config_static_selectorELNS0_4arch9wavefront6targetE0EEEvSY_, .Lfunc_end1296-_ZN7rocprim17ROCPRIM_400000_NS6detail17trampoline_kernelINS0_13select_configILj256ELj13ELNS0_17block_load_methodE3ELS4_3ELS4_3ELNS0_20block_scan_algorithmE0ELj4294967295EEENS1_25partition_config_selectorILNS1_17partition_subalgoE3EjNS0_10empty_typeEbEEZZNS1_14partition_implILS8_3ELb0ES6_jNS0_17counting_iteratorIjlEEPS9_SE_NS0_5tupleIJPjSE_EEENSF_IJSE_SE_EEES9_SG_JZNS1_25segmented_radix_sort_implINS0_14default_configELb1EPKfPfPKlPlN2at6native12_GLOBAL__N_18offset_tEEE10hipError_tPvRmT1_PNSt15iterator_traitsISY_E10value_typeET2_T3_PNSZ_IS14_E10value_typeET4_jRbjT5_S1A_jjP12ihipStream_tbEUljE_EEESV_SW_SX_S14_S18_S1A_T6_T7_T9_mT8_S1C_bDpT10_ENKUlT_T0_E_clISt17integral_constantIbLb0EES1P_EEDaS1K_S1L_EUlS1K_E_NS1_11comp_targetILNS1_3genE3ELNS1_11target_archE908ELNS1_3gpuE7ELNS1_3repE0EEENS1_30default_config_static_selectorELNS0_4arch9wavefront6targetE0EEEvSY_
                                        ; -- End function
	.section	.AMDGPU.csdata,"",@progbits
; Kernel info:
; codeLenInByte = 0
; NumSgprs: 0
; NumVgprs: 0
; ScratchSize: 0
; MemoryBound: 0
; FloatMode: 240
; IeeeMode: 1
; LDSByteSize: 0 bytes/workgroup (compile time only)
; SGPRBlocks: 0
; VGPRBlocks: 0
; NumSGPRsForWavesPerEU: 1
; NumVGPRsForWavesPerEU: 1
; Occupancy: 16
; WaveLimiterHint : 0
; COMPUTE_PGM_RSRC2:SCRATCH_EN: 0
; COMPUTE_PGM_RSRC2:USER_SGPR: 15
; COMPUTE_PGM_RSRC2:TRAP_HANDLER: 0
; COMPUTE_PGM_RSRC2:TGID_X_EN: 1
; COMPUTE_PGM_RSRC2:TGID_Y_EN: 0
; COMPUTE_PGM_RSRC2:TGID_Z_EN: 0
; COMPUTE_PGM_RSRC2:TIDIG_COMP_CNT: 0
	.section	.text._ZN7rocprim17ROCPRIM_400000_NS6detail17trampoline_kernelINS0_13select_configILj256ELj13ELNS0_17block_load_methodE3ELS4_3ELS4_3ELNS0_20block_scan_algorithmE0ELj4294967295EEENS1_25partition_config_selectorILNS1_17partition_subalgoE3EjNS0_10empty_typeEbEEZZNS1_14partition_implILS8_3ELb0ES6_jNS0_17counting_iteratorIjlEEPS9_SE_NS0_5tupleIJPjSE_EEENSF_IJSE_SE_EEES9_SG_JZNS1_25segmented_radix_sort_implINS0_14default_configELb1EPKfPfPKlPlN2at6native12_GLOBAL__N_18offset_tEEE10hipError_tPvRmT1_PNSt15iterator_traitsISY_E10value_typeET2_T3_PNSZ_IS14_E10value_typeET4_jRbjT5_S1A_jjP12ihipStream_tbEUljE_EEESV_SW_SX_S14_S18_S1A_T6_T7_T9_mT8_S1C_bDpT10_ENKUlT_T0_E_clISt17integral_constantIbLb0EES1P_EEDaS1K_S1L_EUlS1K_E_NS1_11comp_targetILNS1_3genE2ELNS1_11target_archE906ELNS1_3gpuE6ELNS1_3repE0EEENS1_30default_config_static_selectorELNS0_4arch9wavefront6targetE0EEEvSY_,"axG",@progbits,_ZN7rocprim17ROCPRIM_400000_NS6detail17trampoline_kernelINS0_13select_configILj256ELj13ELNS0_17block_load_methodE3ELS4_3ELS4_3ELNS0_20block_scan_algorithmE0ELj4294967295EEENS1_25partition_config_selectorILNS1_17partition_subalgoE3EjNS0_10empty_typeEbEEZZNS1_14partition_implILS8_3ELb0ES6_jNS0_17counting_iteratorIjlEEPS9_SE_NS0_5tupleIJPjSE_EEENSF_IJSE_SE_EEES9_SG_JZNS1_25segmented_radix_sort_implINS0_14default_configELb1EPKfPfPKlPlN2at6native12_GLOBAL__N_18offset_tEEE10hipError_tPvRmT1_PNSt15iterator_traitsISY_E10value_typeET2_T3_PNSZ_IS14_E10value_typeET4_jRbjT5_S1A_jjP12ihipStream_tbEUljE_EEESV_SW_SX_S14_S18_S1A_T6_T7_T9_mT8_S1C_bDpT10_ENKUlT_T0_E_clISt17integral_constantIbLb0EES1P_EEDaS1K_S1L_EUlS1K_E_NS1_11comp_targetILNS1_3genE2ELNS1_11target_archE906ELNS1_3gpuE6ELNS1_3repE0EEENS1_30default_config_static_selectorELNS0_4arch9wavefront6targetE0EEEvSY_,comdat
	.globl	_ZN7rocprim17ROCPRIM_400000_NS6detail17trampoline_kernelINS0_13select_configILj256ELj13ELNS0_17block_load_methodE3ELS4_3ELS4_3ELNS0_20block_scan_algorithmE0ELj4294967295EEENS1_25partition_config_selectorILNS1_17partition_subalgoE3EjNS0_10empty_typeEbEEZZNS1_14partition_implILS8_3ELb0ES6_jNS0_17counting_iteratorIjlEEPS9_SE_NS0_5tupleIJPjSE_EEENSF_IJSE_SE_EEES9_SG_JZNS1_25segmented_radix_sort_implINS0_14default_configELb1EPKfPfPKlPlN2at6native12_GLOBAL__N_18offset_tEEE10hipError_tPvRmT1_PNSt15iterator_traitsISY_E10value_typeET2_T3_PNSZ_IS14_E10value_typeET4_jRbjT5_S1A_jjP12ihipStream_tbEUljE_EEESV_SW_SX_S14_S18_S1A_T6_T7_T9_mT8_S1C_bDpT10_ENKUlT_T0_E_clISt17integral_constantIbLb0EES1P_EEDaS1K_S1L_EUlS1K_E_NS1_11comp_targetILNS1_3genE2ELNS1_11target_archE906ELNS1_3gpuE6ELNS1_3repE0EEENS1_30default_config_static_selectorELNS0_4arch9wavefront6targetE0EEEvSY_ ; -- Begin function _ZN7rocprim17ROCPRIM_400000_NS6detail17trampoline_kernelINS0_13select_configILj256ELj13ELNS0_17block_load_methodE3ELS4_3ELS4_3ELNS0_20block_scan_algorithmE0ELj4294967295EEENS1_25partition_config_selectorILNS1_17partition_subalgoE3EjNS0_10empty_typeEbEEZZNS1_14partition_implILS8_3ELb0ES6_jNS0_17counting_iteratorIjlEEPS9_SE_NS0_5tupleIJPjSE_EEENSF_IJSE_SE_EEES9_SG_JZNS1_25segmented_radix_sort_implINS0_14default_configELb1EPKfPfPKlPlN2at6native12_GLOBAL__N_18offset_tEEE10hipError_tPvRmT1_PNSt15iterator_traitsISY_E10value_typeET2_T3_PNSZ_IS14_E10value_typeET4_jRbjT5_S1A_jjP12ihipStream_tbEUljE_EEESV_SW_SX_S14_S18_S1A_T6_T7_T9_mT8_S1C_bDpT10_ENKUlT_T0_E_clISt17integral_constantIbLb0EES1P_EEDaS1K_S1L_EUlS1K_E_NS1_11comp_targetILNS1_3genE2ELNS1_11target_archE906ELNS1_3gpuE6ELNS1_3repE0EEENS1_30default_config_static_selectorELNS0_4arch9wavefront6targetE0EEEvSY_
	.p2align	8
	.type	_ZN7rocprim17ROCPRIM_400000_NS6detail17trampoline_kernelINS0_13select_configILj256ELj13ELNS0_17block_load_methodE3ELS4_3ELS4_3ELNS0_20block_scan_algorithmE0ELj4294967295EEENS1_25partition_config_selectorILNS1_17partition_subalgoE3EjNS0_10empty_typeEbEEZZNS1_14partition_implILS8_3ELb0ES6_jNS0_17counting_iteratorIjlEEPS9_SE_NS0_5tupleIJPjSE_EEENSF_IJSE_SE_EEES9_SG_JZNS1_25segmented_radix_sort_implINS0_14default_configELb1EPKfPfPKlPlN2at6native12_GLOBAL__N_18offset_tEEE10hipError_tPvRmT1_PNSt15iterator_traitsISY_E10value_typeET2_T3_PNSZ_IS14_E10value_typeET4_jRbjT5_S1A_jjP12ihipStream_tbEUljE_EEESV_SW_SX_S14_S18_S1A_T6_T7_T9_mT8_S1C_bDpT10_ENKUlT_T0_E_clISt17integral_constantIbLb0EES1P_EEDaS1K_S1L_EUlS1K_E_NS1_11comp_targetILNS1_3genE2ELNS1_11target_archE906ELNS1_3gpuE6ELNS1_3repE0EEENS1_30default_config_static_selectorELNS0_4arch9wavefront6targetE0EEEvSY_,@function
_ZN7rocprim17ROCPRIM_400000_NS6detail17trampoline_kernelINS0_13select_configILj256ELj13ELNS0_17block_load_methodE3ELS4_3ELS4_3ELNS0_20block_scan_algorithmE0ELj4294967295EEENS1_25partition_config_selectorILNS1_17partition_subalgoE3EjNS0_10empty_typeEbEEZZNS1_14partition_implILS8_3ELb0ES6_jNS0_17counting_iteratorIjlEEPS9_SE_NS0_5tupleIJPjSE_EEENSF_IJSE_SE_EEES9_SG_JZNS1_25segmented_radix_sort_implINS0_14default_configELb1EPKfPfPKlPlN2at6native12_GLOBAL__N_18offset_tEEE10hipError_tPvRmT1_PNSt15iterator_traitsISY_E10value_typeET2_T3_PNSZ_IS14_E10value_typeET4_jRbjT5_S1A_jjP12ihipStream_tbEUljE_EEESV_SW_SX_S14_S18_S1A_T6_T7_T9_mT8_S1C_bDpT10_ENKUlT_T0_E_clISt17integral_constantIbLb0EES1P_EEDaS1K_S1L_EUlS1K_E_NS1_11comp_targetILNS1_3genE2ELNS1_11target_archE906ELNS1_3gpuE6ELNS1_3repE0EEENS1_30default_config_static_selectorELNS0_4arch9wavefront6targetE0EEEvSY_: ; @_ZN7rocprim17ROCPRIM_400000_NS6detail17trampoline_kernelINS0_13select_configILj256ELj13ELNS0_17block_load_methodE3ELS4_3ELS4_3ELNS0_20block_scan_algorithmE0ELj4294967295EEENS1_25partition_config_selectorILNS1_17partition_subalgoE3EjNS0_10empty_typeEbEEZZNS1_14partition_implILS8_3ELb0ES6_jNS0_17counting_iteratorIjlEEPS9_SE_NS0_5tupleIJPjSE_EEENSF_IJSE_SE_EEES9_SG_JZNS1_25segmented_radix_sort_implINS0_14default_configELb1EPKfPfPKlPlN2at6native12_GLOBAL__N_18offset_tEEE10hipError_tPvRmT1_PNSt15iterator_traitsISY_E10value_typeET2_T3_PNSZ_IS14_E10value_typeET4_jRbjT5_S1A_jjP12ihipStream_tbEUljE_EEESV_SW_SX_S14_S18_S1A_T6_T7_T9_mT8_S1C_bDpT10_ENKUlT_T0_E_clISt17integral_constantIbLb0EES1P_EEDaS1K_S1L_EUlS1K_E_NS1_11comp_targetILNS1_3genE2ELNS1_11target_archE906ELNS1_3gpuE6ELNS1_3repE0EEENS1_30default_config_static_selectorELNS0_4arch9wavefront6targetE0EEEvSY_
; %bb.0:
	.section	.rodata,"a",@progbits
	.p2align	6, 0x0
	.amdhsa_kernel _ZN7rocprim17ROCPRIM_400000_NS6detail17trampoline_kernelINS0_13select_configILj256ELj13ELNS0_17block_load_methodE3ELS4_3ELS4_3ELNS0_20block_scan_algorithmE0ELj4294967295EEENS1_25partition_config_selectorILNS1_17partition_subalgoE3EjNS0_10empty_typeEbEEZZNS1_14partition_implILS8_3ELb0ES6_jNS0_17counting_iteratorIjlEEPS9_SE_NS0_5tupleIJPjSE_EEENSF_IJSE_SE_EEES9_SG_JZNS1_25segmented_radix_sort_implINS0_14default_configELb1EPKfPfPKlPlN2at6native12_GLOBAL__N_18offset_tEEE10hipError_tPvRmT1_PNSt15iterator_traitsISY_E10value_typeET2_T3_PNSZ_IS14_E10value_typeET4_jRbjT5_S1A_jjP12ihipStream_tbEUljE_EEESV_SW_SX_S14_S18_S1A_T6_T7_T9_mT8_S1C_bDpT10_ENKUlT_T0_E_clISt17integral_constantIbLb0EES1P_EEDaS1K_S1L_EUlS1K_E_NS1_11comp_targetILNS1_3genE2ELNS1_11target_archE906ELNS1_3gpuE6ELNS1_3repE0EEENS1_30default_config_static_selectorELNS0_4arch9wavefront6targetE0EEEvSY_
		.amdhsa_group_segment_fixed_size 0
		.amdhsa_private_segment_fixed_size 0
		.amdhsa_kernarg_size 144
		.amdhsa_user_sgpr_count 15
		.amdhsa_user_sgpr_dispatch_ptr 0
		.amdhsa_user_sgpr_queue_ptr 0
		.amdhsa_user_sgpr_kernarg_segment_ptr 1
		.amdhsa_user_sgpr_dispatch_id 0
		.amdhsa_user_sgpr_private_segment_size 0
		.amdhsa_wavefront_size32 1
		.amdhsa_uses_dynamic_stack 0
		.amdhsa_enable_private_segment 0
		.amdhsa_system_sgpr_workgroup_id_x 1
		.amdhsa_system_sgpr_workgroup_id_y 0
		.amdhsa_system_sgpr_workgroup_id_z 0
		.amdhsa_system_sgpr_workgroup_info 0
		.amdhsa_system_vgpr_workitem_id 0
		.amdhsa_next_free_vgpr 1
		.amdhsa_next_free_sgpr 1
		.amdhsa_reserve_vcc 0
		.amdhsa_float_round_mode_32 0
		.amdhsa_float_round_mode_16_64 0
		.amdhsa_float_denorm_mode_32 3
		.amdhsa_float_denorm_mode_16_64 3
		.amdhsa_dx10_clamp 1
		.amdhsa_ieee_mode 1
		.amdhsa_fp16_overflow 0
		.amdhsa_workgroup_processor_mode 1
		.amdhsa_memory_ordered 1
		.amdhsa_forward_progress 0
		.amdhsa_shared_vgpr_count 0
		.amdhsa_exception_fp_ieee_invalid_op 0
		.amdhsa_exception_fp_denorm_src 0
		.amdhsa_exception_fp_ieee_div_zero 0
		.amdhsa_exception_fp_ieee_overflow 0
		.amdhsa_exception_fp_ieee_underflow 0
		.amdhsa_exception_fp_ieee_inexact 0
		.amdhsa_exception_int_div_zero 0
	.end_amdhsa_kernel
	.section	.text._ZN7rocprim17ROCPRIM_400000_NS6detail17trampoline_kernelINS0_13select_configILj256ELj13ELNS0_17block_load_methodE3ELS4_3ELS4_3ELNS0_20block_scan_algorithmE0ELj4294967295EEENS1_25partition_config_selectorILNS1_17partition_subalgoE3EjNS0_10empty_typeEbEEZZNS1_14partition_implILS8_3ELb0ES6_jNS0_17counting_iteratorIjlEEPS9_SE_NS0_5tupleIJPjSE_EEENSF_IJSE_SE_EEES9_SG_JZNS1_25segmented_radix_sort_implINS0_14default_configELb1EPKfPfPKlPlN2at6native12_GLOBAL__N_18offset_tEEE10hipError_tPvRmT1_PNSt15iterator_traitsISY_E10value_typeET2_T3_PNSZ_IS14_E10value_typeET4_jRbjT5_S1A_jjP12ihipStream_tbEUljE_EEESV_SW_SX_S14_S18_S1A_T6_T7_T9_mT8_S1C_bDpT10_ENKUlT_T0_E_clISt17integral_constantIbLb0EES1P_EEDaS1K_S1L_EUlS1K_E_NS1_11comp_targetILNS1_3genE2ELNS1_11target_archE906ELNS1_3gpuE6ELNS1_3repE0EEENS1_30default_config_static_selectorELNS0_4arch9wavefront6targetE0EEEvSY_,"axG",@progbits,_ZN7rocprim17ROCPRIM_400000_NS6detail17trampoline_kernelINS0_13select_configILj256ELj13ELNS0_17block_load_methodE3ELS4_3ELS4_3ELNS0_20block_scan_algorithmE0ELj4294967295EEENS1_25partition_config_selectorILNS1_17partition_subalgoE3EjNS0_10empty_typeEbEEZZNS1_14partition_implILS8_3ELb0ES6_jNS0_17counting_iteratorIjlEEPS9_SE_NS0_5tupleIJPjSE_EEENSF_IJSE_SE_EEES9_SG_JZNS1_25segmented_radix_sort_implINS0_14default_configELb1EPKfPfPKlPlN2at6native12_GLOBAL__N_18offset_tEEE10hipError_tPvRmT1_PNSt15iterator_traitsISY_E10value_typeET2_T3_PNSZ_IS14_E10value_typeET4_jRbjT5_S1A_jjP12ihipStream_tbEUljE_EEESV_SW_SX_S14_S18_S1A_T6_T7_T9_mT8_S1C_bDpT10_ENKUlT_T0_E_clISt17integral_constantIbLb0EES1P_EEDaS1K_S1L_EUlS1K_E_NS1_11comp_targetILNS1_3genE2ELNS1_11target_archE906ELNS1_3gpuE6ELNS1_3repE0EEENS1_30default_config_static_selectorELNS0_4arch9wavefront6targetE0EEEvSY_,comdat
.Lfunc_end1297:
	.size	_ZN7rocprim17ROCPRIM_400000_NS6detail17trampoline_kernelINS0_13select_configILj256ELj13ELNS0_17block_load_methodE3ELS4_3ELS4_3ELNS0_20block_scan_algorithmE0ELj4294967295EEENS1_25partition_config_selectorILNS1_17partition_subalgoE3EjNS0_10empty_typeEbEEZZNS1_14partition_implILS8_3ELb0ES6_jNS0_17counting_iteratorIjlEEPS9_SE_NS0_5tupleIJPjSE_EEENSF_IJSE_SE_EEES9_SG_JZNS1_25segmented_radix_sort_implINS0_14default_configELb1EPKfPfPKlPlN2at6native12_GLOBAL__N_18offset_tEEE10hipError_tPvRmT1_PNSt15iterator_traitsISY_E10value_typeET2_T3_PNSZ_IS14_E10value_typeET4_jRbjT5_S1A_jjP12ihipStream_tbEUljE_EEESV_SW_SX_S14_S18_S1A_T6_T7_T9_mT8_S1C_bDpT10_ENKUlT_T0_E_clISt17integral_constantIbLb0EES1P_EEDaS1K_S1L_EUlS1K_E_NS1_11comp_targetILNS1_3genE2ELNS1_11target_archE906ELNS1_3gpuE6ELNS1_3repE0EEENS1_30default_config_static_selectorELNS0_4arch9wavefront6targetE0EEEvSY_, .Lfunc_end1297-_ZN7rocprim17ROCPRIM_400000_NS6detail17trampoline_kernelINS0_13select_configILj256ELj13ELNS0_17block_load_methodE3ELS4_3ELS4_3ELNS0_20block_scan_algorithmE0ELj4294967295EEENS1_25partition_config_selectorILNS1_17partition_subalgoE3EjNS0_10empty_typeEbEEZZNS1_14partition_implILS8_3ELb0ES6_jNS0_17counting_iteratorIjlEEPS9_SE_NS0_5tupleIJPjSE_EEENSF_IJSE_SE_EEES9_SG_JZNS1_25segmented_radix_sort_implINS0_14default_configELb1EPKfPfPKlPlN2at6native12_GLOBAL__N_18offset_tEEE10hipError_tPvRmT1_PNSt15iterator_traitsISY_E10value_typeET2_T3_PNSZ_IS14_E10value_typeET4_jRbjT5_S1A_jjP12ihipStream_tbEUljE_EEESV_SW_SX_S14_S18_S1A_T6_T7_T9_mT8_S1C_bDpT10_ENKUlT_T0_E_clISt17integral_constantIbLb0EES1P_EEDaS1K_S1L_EUlS1K_E_NS1_11comp_targetILNS1_3genE2ELNS1_11target_archE906ELNS1_3gpuE6ELNS1_3repE0EEENS1_30default_config_static_selectorELNS0_4arch9wavefront6targetE0EEEvSY_
                                        ; -- End function
	.section	.AMDGPU.csdata,"",@progbits
; Kernel info:
; codeLenInByte = 0
; NumSgprs: 0
; NumVgprs: 0
; ScratchSize: 0
; MemoryBound: 0
; FloatMode: 240
; IeeeMode: 1
; LDSByteSize: 0 bytes/workgroup (compile time only)
; SGPRBlocks: 0
; VGPRBlocks: 0
; NumSGPRsForWavesPerEU: 1
; NumVGPRsForWavesPerEU: 1
; Occupancy: 16
; WaveLimiterHint : 0
; COMPUTE_PGM_RSRC2:SCRATCH_EN: 0
; COMPUTE_PGM_RSRC2:USER_SGPR: 15
; COMPUTE_PGM_RSRC2:TRAP_HANDLER: 0
; COMPUTE_PGM_RSRC2:TGID_X_EN: 1
; COMPUTE_PGM_RSRC2:TGID_Y_EN: 0
; COMPUTE_PGM_RSRC2:TGID_Z_EN: 0
; COMPUTE_PGM_RSRC2:TIDIG_COMP_CNT: 0
	.section	.text._ZN7rocprim17ROCPRIM_400000_NS6detail17trampoline_kernelINS0_13select_configILj256ELj13ELNS0_17block_load_methodE3ELS4_3ELS4_3ELNS0_20block_scan_algorithmE0ELj4294967295EEENS1_25partition_config_selectorILNS1_17partition_subalgoE3EjNS0_10empty_typeEbEEZZNS1_14partition_implILS8_3ELb0ES6_jNS0_17counting_iteratorIjlEEPS9_SE_NS0_5tupleIJPjSE_EEENSF_IJSE_SE_EEES9_SG_JZNS1_25segmented_radix_sort_implINS0_14default_configELb1EPKfPfPKlPlN2at6native12_GLOBAL__N_18offset_tEEE10hipError_tPvRmT1_PNSt15iterator_traitsISY_E10value_typeET2_T3_PNSZ_IS14_E10value_typeET4_jRbjT5_S1A_jjP12ihipStream_tbEUljE_EEESV_SW_SX_S14_S18_S1A_T6_T7_T9_mT8_S1C_bDpT10_ENKUlT_T0_E_clISt17integral_constantIbLb0EES1P_EEDaS1K_S1L_EUlS1K_E_NS1_11comp_targetILNS1_3genE10ELNS1_11target_archE1200ELNS1_3gpuE4ELNS1_3repE0EEENS1_30default_config_static_selectorELNS0_4arch9wavefront6targetE0EEEvSY_,"axG",@progbits,_ZN7rocprim17ROCPRIM_400000_NS6detail17trampoline_kernelINS0_13select_configILj256ELj13ELNS0_17block_load_methodE3ELS4_3ELS4_3ELNS0_20block_scan_algorithmE0ELj4294967295EEENS1_25partition_config_selectorILNS1_17partition_subalgoE3EjNS0_10empty_typeEbEEZZNS1_14partition_implILS8_3ELb0ES6_jNS0_17counting_iteratorIjlEEPS9_SE_NS0_5tupleIJPjSE_EEENSF_IJSE_SE_EEES9_SG_JZNS1_25segmented_radix_sort_implINS0_14default_configELb1EPKfPfPKlPlN2at6native12_GLOBAL__N_18offset_tEEE10hipError_tPvRmT1_PNSt15iterator_traitsISY_E10value_typeET2_T3_PNSZ_IS14_E10value_typeET4_jRbjT5_S1A_jjP12ihipStream_tbEUljE_EEESV_SW_SX_S14_S18_S1A_T6_T7_T9_mT8_S1C_bDpT10_ENKUlT_T0_E_clISt17integral_constantIbLb0EES1P_EEDaS1K_S1L_EUlS1K_E_NS1_11comp_targetILNS1_3genE10ELNS1_11target_archE1200ELNS1_3gpuE4ELNS1_3repE0EEENS1_30default_config_static_selectorELNS0_4arch9wavefront6targetE0EEEvSY_,comdat
	.globl	_ZN7rocprim17ROCPRIM_400000_NS6detail17trampoline_kernelINS0_13select_configILj256ELj13ELNS0_17block_load_methodE3ELS4_3ELS4_3ELNS0_20block_scan_algorithmE0ELj4294967295EEENS1_25partition_config_selectorILNS1_17partition_subalgoE3EjNS0_10empty_typeEbEEZZNS1_14partition_implILS8_3ELb0ES6_jNS0_17counting_iteratorIjlEEPS9_SE_NS0_5tupleIJPjSE_EEENSF_IJSE_SE_EEES9_SG_JZNS1_25segmented_radix_sort_implINS0_14default_configELb1EPKfPfPKlPlN2at6native12_GLOBAL__N_18offset_tEEE10hipError_tPvRmT1_PNSt15iterator_traitsISY_E10value_typeET2_T3_PNSZ_IS14_E10value_typeET4_jRbjT5_S1A_jjP12ihipStream_tbEUljE_EEESV_SW_SX_S14_S18_S1A_T6_T7_T9_mT8_S1C_bDpT10_ENKUlT_T0_E_clISt17integral_constantIbLb0EES1P_EEDaS1K_S1L_EUlS1K_E_NS1_11comp_targetILNS1_3genE10ELNS1_11target_archE1200ELNS1_3gpuE4ELNS1_3repE0EEENS1_30default_config_static_selectorELNS0_4arch9wavefront6targetE0EEEvSY_ ; -- Begin function _ZN7rocprim17ROCPRIM_400000_NS6detail17trampoline_kernelINS0_13select_configILj256ELj13ELNS0_17block_load_methodE3ELS4_3ELS4_3ELNS0_20block_scan_algorithmE0ELj4294967295EEENS1_25partition_config_selectorILNS1_17partition_subalgoE3EjNS0_10empty_typeEbEEZZNS1_14partition_implILS8_3ELb0ES6_jNS0_17counting_iteratorIjlEEPS9_SE_NS0_5tupleIJPjSE_EEENSF_IJSE_SE_EEES9_SG_JZNS1_25segmented_radix_sort_implINS0_14default_configELb1EPKfPfPKlPlN2at6native12_GLOBAL__N_18offset_tEEE10hipError_tPvRmT1_PNSt15iterator_traitsISY_E10value_typeET2_T3_PNSZ_IS14_E10value_typeET4_jRbjT5_S1A_jjP12ihipStream_tbEUljE_EEESV_SW_SX_S14_S18_S1A_T6_T7_T9_mT8_S1C_bDpT10_ENKUlT_T0_E_clISt17integral_constantIbLb0EES1P_EEDaS1K_S1L_EUlS1K_E_NS1_11comp_targetILNS1_3genE10ELNS1_11target_archE1200ELNS1_3gpuE4ELNS1_3repE0EEENS1_30default_config_static_selectorELNS0_4arch9wavefront6targetE0EEEvSY_
	.p2align	8
	.type	_ZN7rocprim17ROCPRIM_400000_NS6detail17trampoline_kernelINS0_13select_configILj256ELj13ELNS0_17block_load_methodE3ELS4_3ELS4_3ELNS0_20block_scan_algorithmE0ELj4294967295EEENS1_25partition_config_selectorILNS1_17partition_subalgoE3EjNS0_10empty_typeEbEEZZNS1_14partition_implILS8_3ELb0ES6_jNS0_17counting_iteratorIjlEEPS9_SE_NS0_5tupleIJPjSE_EEENSF_IJSE_SE_EEES9_SG_JZNS1_25segmented_radix_sort_implINS0_14default_configELb1EPKfPfPKlPlN2at6native12_GLOBAL__N_18offset_tEEE10hipError_tPvRmT1_PNSt15iterator_traitsISY_E10value_typeET2_T3_PNSZ_IS14_E10value_typeET4_jRbjT5_S1A_jjP12ihipStream_tbEUljE_EEESV_SW_SX_S14_S18_S1A_T6_T7_T9_mT8_S1C_bDpT10_ENKUlT_T0_E_clISt17integral_constantIbLb0EES1P_EEDaS1K_S1L_EUlS1K_E_NS1_11comp_targetILNS1_3genE10ELNS1_11target_archE1200ELNS1_3gpuE4ELNS1_3repE0EEENS1_30default_config_static_selectorELNS0_4arch9wavefront6targetE0EEEvSY_,@function
_ZN7rocprim17ROCPRIM_400000_NS6detail17trampoline_kernelINS0_13select_configILj256ELj13ELNS0_17block_load_methodE3ELS4_3ELS4_3ELNS0_20block_scan_algorithmE0ELj4294967295EEENS1_25partition_config_selectorILNS1_17partition_subalgoE3EjNS0_10empty_typeEbEEZZNS1_14partition_implILS8_3ELb0ES6_jNS0_17counting_iteratorIjlEEPS9_SE_NS0_5tupleIJPjSE_EEENSF_IJSE_SE_EEES9_SG_JZNS1_25segmented_radix_sort_implINS0_14default_configELb1EPKfPfPKlPlN2at6native12_GLOBAL__N_18offset_tEEE10hipError_tPvRmT1_PNSt15iterator_traitsISY_E10value_typeET2_T3_PNSZ_IS14_E10value_typeET4_jRbjT5_S1A_jjP12ihipStream_tbEUljE_EEESV_SW_SX_S14_S18_S1A_T6_T7_T9_mT8_S1C_bDpT10_ENKUlT_T0_E_clISt17integral_constantIbLb0EES1P_EEDaS1K_S1L_EUlS1K_E_NS1_11comp_targetILNS1_3genE10ELNS1_11target_archE1200ELNS1_3gpuE4ELNS1_3repE0EEENS1_30default_config_static_selectorELNS0_4arch9wavefront6targetE0EEEvSY_: ; @_ZN7rocprim17ROCPRIM_400000_NS6detail17trampoline_kernelINS0_13select_configILj256ELj13ELNS0_17block_load_methodE3ELS4_3ELS4_3ELNS0_20block_scan_algorithmE0ELj4294967295EEENS1_25partition_config_selectorILNS1_17partition_subalgoE3EjNS0_10empty_typeEbEEZZNS1_14partition_implILS8_3ELb0ES6_jNS0_17counting_iteratorIjlEEPS9_SE_NS0_5tupleIJPjSE_EEENSF_IJSE_SE_EEES9_SG_JZNS1_25segmented_radix_sort_implINS0_14default_configELb1EPKfPfPKlPlN2at6native12_GLOBAL__N_18offset_tEEE10hipError_tPvRmT1_PNSt15iterator_traitsISY_E10value_typeET2_T3_PNSZ_IS14_E10value_typeET4_jRbjT5_S1A_jjP12ihipStream_tbEUljE_EEESV_SW_SX_S14_S18_S1A_T6_T7_T9_mT8_S1C_bDpT10_ENKUlT_T0_E_clISt17integral_constantIbLb0EES1P_EEDaS1K_S1L_EUlS1K_E_NS1_11comp_targetILNS1_3genE10ELNS1_11target_archE1200ELNS1_3gpuE4ELNS1_3repE0EEENS1_30default_config_static_selectorELNS0_4arch9wavefront6targetE0EEEvSY_
; %bb.0:
	.section	.rodata,"a",@progbits
	.p2align	6, 0x0
	.amdhsa_kernel _ZN7rocprim17ROCPRIM_400000_NS6detail17trampoline_kernelINS0_13select_configILj256ELj13ELNS0_17block_load_methodE3ELS4_3ELS4_3ELNS0_20block_scan_algorithmE0ELj4294967295EEENS1_25partition_config_selectorILNS1_17partition_subalgoE3EjNS0_10empty_typeEbEEZZNS1_14partition_implILS8_3ELb0ES6_jNS0_17counting_iteratorIjlEEPS9_SE_NS0_5tupleIJPjSE_EEENSF_IJSE_SE_EEES9_SG_JZNS1_25segmented_radix_sort_implINS0_14default_configELb1EPKfPfPKlPlN2at6native12_GLOBAL__N_18offset_tEEE10hipError_tPvRmT1_PNSt15iterator_traitsISY_E10value_typeET2_T3_PNSZ_IS14_E10value_typeET4_jRbjT5_S1A_jjP12ihipStream_tbEUljE_EEESV_SW_SX_S14_S18_S1A_T6_T7_T9_mT8_S1C_bDpT10_ENKUlT_T0_E_clISt17integral_constantIbLb0EES1P_EEDaS1K_S1L_EUlS1K_E_NS1_11comp_targetILNS1_3genE10ELNS1_11target_archE1200ELNS1_3gpuE4ELNS1_3repE0EEENS1_30default_config_static_selectorELNS0_4arch9wavefront6targetE0EEEvSY_
		.amdhsa_group_segment_fixed_size 0
		.amdhsa_private_segment_fixed_size 0
		.amdhsa_kernarg_size 144
		.amdhsa_user_sgpr_count 15
		.amdhsa_user_sgpr_dispatch_ptr 0
		.amdhsa_user_sgpr_queue_ptr 0
		.amdhsa_user_sgpr_kernarg_segment_ptr 1
		.amdhsa_user_sgpr_dispatch_id 0
		.amdhsa_user_sgpr_private_segment_size 0
		.amdhsa_wavefront_size32 1
		.amdhsa_uses_dynamic_stack 0
		.amdhsa_enable_private_segment 0
		.amdhsa_system_sgpr_workgroup_id_x 1
		.amdhsa_system_sgpr_workgroup_id_y 0
		.amdhsa_system_sgpr_workgroup_id_z 0
		.amdhsa_system_sgpr_workgroup_info 0
		.amdhsa_system_vgpr_workitem_id 0
		.amdhsa_next_free_vgpr 1
		.amdhsa_next_free_sgpr 1
		.amdhsa_reserve_vcc 0
		.amdhsa_float_round_mode_32 0
		.amdhsa_float_round_mode_16_64 0
		.amdhsa_float_denorm_mode_32 3
		.amdhsa_float_denorm_mode_16_64 3
		.amdhsa_dx10_clamp 1
		.amdhsa_ieee_mode 1
		.amdhsa_fp16_overflow 0
		.amdhsa_workgroup_processor_mode 1
		.amdhsa_memory_ordered 1
		.amdhsa_forward_progress 0
		.amdhsa_shared_vgpr_count 0
		.amdhsa_exception_fp_ieee_invalid_op 0
		.amdhsa_exception_fp_denorm_src 0
		.amdhsa_exception_fp_ieee_div_zero 0
		.amdhsa_exception_fp_ieee_overflow 0
		.amdhsa_exception_fp_ieee_underflow 0
		.amdhsa_exception_fp_ieee_inexact 0
		.amdhsa_exception_int_div_zero 0
	.end_amdhsa_kernel
	.section	.text._ZN7rocprim17ROCPRIM_400000_NS6detail17trampoline_kernelINS0_13select_configILj256ELj13ELNS0_17block_load_methodE3ELS4_3ELS4_3ELNS0_20block_scan_algorithmE0ELj4294967295EEENS1_25partition_config_selectorILNS1_17partition_subalgoE3EjNS0_10empty_typeEbEEZZNS1_14partition_implILS8_3ELb0ES6_jNS0_17counting_iteratorIjlEEPS9_SE_NS0_5tupleIJPjSE_EEENSF_IJSE_SE_EEES9_SG_JZNS1_25segmented_radix_sort_implINS0_14default_configELb1EPKfPfPKlPlN2at6native12_GLOBAL__N_18offset_tEEE10hipError_tPvRmT1_PNSt15iterator_traitsISY_E10value_typeET2_T3_PNSZ_IS14_E10value_typeET4_jRbjT5_S1A_jjP12ihipStream_tbEUljE_EEESV_SW_SX_S14_S18_S1A_T6_T7_T9_mT8_S1C_bDpT10_ENKUlT_T0_E_clISt17integral_constantIbLb0EES1P_EEDaS1K_S1L_EUlS1K_E_NS1_11comp_targetILNS1_3genE10ELNS1_11target_archE1200ELNS1_3gpuE4ELNS1_3repE0EEENS1_30default_config_static_selectorELNS0_4arch9wavefront6targetE0EEEvSY_,"axG",@progbits,_ZN7rocprim17ROCPRIM_400000_NS6detail17trampoline_kernelINS0_13select_configILj256ELj13ELNS0_17block_load_methodE3ELS4_3ELS4_3ELNS0_20block_scan_algorithmE0ELj4294967295EEENS1_25partition_config_selectorILNS1_17partition_subalgoE3EjNS0_10empty_typeEbEEZZNS1_14partition_implILS8_3ELb0ES6_jNS0_17counting_iteratorIjlEEPS9_SE_NS0_5tupleIJPjSE_EEENSF_IJSE_SE_EEES9_SG_JZNS1_25segmented_radix_sort_implINS0_14default_configELb1EPKfPfPKlPlN2at6native12_GLOBAL__N_18offset_tEEE10hipError_tPvRmT1_PNSt15iterator_traitsISY_E10value_typeET2_T3_PNSZ_IS14_E10value_typeET4_jRbjT5_S1A_jjP12ihipStream_tbEUljE_EEESV_SW_SX_S14_S18_S1A_T6_T7_T9_mT8_S1C_bDpT10_ENKUlT_T0_E_clISt17integral_constantIbLb0EES1P_EEDaS1K_S1L_EUlS1K_E_NS1_11comp_targetILNS1_3genE10ELNS1_11target_archE1200ELNS1_3gpuE4ELNS1_3repE0EEENS1_30default_config_static_selectorELNS0_4arch9wavefront6targetE0EEEvSY_,comdat
.Lfunc_end1298:
	.size	_ZN7rocprim17ROCPRIM_400000_NS6detail17trampoline_kernelINS0_13select_configILj256ELj13ELNS0_17block_load_methodE3ELS4_3ELS4_3ELNS0_20block_scan_algorithmE0ELj4294967295EEENS1_25partition_config_selectorILNS1_17partition_subalgoE3EjNS0_10empty_typeEbEEZZNS1_14partition_implILS8_3ELb0ES6_jNS0_17counting_iteratorIjlEEPS9_SE_NS0_5tupleIJPjSE_EEENSF_IJSE_SE_EEES9_SG_JZNS1_25segmented_radix_sort_implINS0_14default_configELb1EPKfPfPKlPlN2at6native12_GLOBAL__N_18offset_tEEE10hipError_tPvRmT1_PNSt15iterator_traitsISY_E10value_typeET2_T3_PNSZ_IS14_E10value_typeET4_jRbjT5_S1A_jjP12ihipStream_tbEUljE_EEESV_SW_SX_S14_S18_S1A_T6_T7_T9_mT8_S1C_bDpT10_ENKUlT_T0_E_clISt17integral_constantIbLb0EES1P_EEDaS1K_S1L_EUlS1K_E_NS1_11comp_targetILNS1_3genE10ELNS1_11target_archE1200ELNS1_3gpuE4ELNS1_3repE0EEENS1_30default_config_static_selectorELNS0_4arch9wavefront6targetE0EEEvSY_, .Lfunc_end1298-_ZN7rocprim17ROCPRIM_400000_NS6detail17trampoline_kernelINS0_13select_configILj256ELj13ELNS0_17block_load_methodE3ELS4_3ELS4_3ELNS0_20block_scan_algorithmE0ELj4294967295EEENS1_25partition_config_selectorILNS1_17partition_subalgoE3EjNS0_10empty_typeEbEEZZNS1_14partition_implILS8_3ELb0ES6_jNS0_17counting_iteratorIjlEEPS9_SE_NS0_5tupleIJPjSE_EEENSF_IJSE_SE_EEES9_SG_JZNS1_25segmented_radix_sort_implINS0_14default_configELb1EPKfPfPKlPlN2at6native12_GLOBAL__N_18offset_tEEE10hipError_tPvRmT1_PNSt15iterator_traitsISY_E10value_typeET2_T3_PNSZ_IS14_E10value_typeET4_jRbjT5_S1A_jjP12ihipStream_tbEUljE_EEESV_SW_SX_S14_S18_S1A_T6_T7_T9_mT8_S1C_bDpT10_ENKUlT_T0_E_clISt17integral_constantIbLb0EES1P_EEDaS1K_S1L_EUlS1K_E_NS1_11comp_targetILNS1_3genE10ELNS1_11target_archE1200ELNS1_3gpuE4ELNS1_3repE0EEENS1_30default_config_static_selectorELNS0_4arch9wavefront6targetE0EEEvSY_
                                        ; -- End function
	.section	.AMDGPU.csdata,"",@progbits
; Kernel info:
; codeLenInByte = 0
; NumSgprs: 0
; NumVgprs: 0
; ScratchSize: 0
; MemoryBound: 0
; FloatMode: 240
; IeeeMode: 1
; LDSByteSize: 0 bytes/workgroup (compile time only)
; SGPRBlocks: 0
; VGPRBlocks: 0
; NumSGPRsForWavesPerEU: 1
; NumVGPRsForWavesPerEU: 1
; Occupancy: 16
; WaveLimiterHint : 0
; COMPUTE_PGM_RSRC2:SCRATCH_EN: 0
; COMPUTE_PGM_RSRC2:USER_SGPR: 15
; COMPUTE_PGM_RSRC2:TRAP_HANDLER: 0
; COMPUTE_PGM_RSRC2:TGID_X_EN: 1
; COMPUTE_PGM_RSRC2:TGID_Y_EN: 0
; COMPUTE_PGM_RSRC2:TGID_Z_EN: 0
; COMPUTE_PGM_RSRC2:TIDIG_COMP_CNT: 0
	.section	.text._ZN7rocprim17ROCPRIM_400000_NS6detail17trampoline_kernelINS0_13select_configILj256ELj13ELNS0_17block_load_methodE3ELS4_3ELS4_3ELNS0_20block_scan_algorithmE0ELj4294967295EEENS1_25partition_config_selectorILNS1_17partition_subalgoE3EjNS0_10empty_typeEbEEZZNS1_14partition_implILS8_3ELb0ES6_jNS0_17counting_iteratorIjlEEPS9_SE_NS0_5tupleIJPjSE_EEENSF_IJSE_SE_EEES9_SG_JZNS1_25segmented_radix_sort_implINS0_14default_configELb1EPKfPfPKlPlN2at6native12_GLOBAL__N_18offset_tEEE10hipError_tPvRmT1_PNSt15iterator_traitsISY_E10value_typeET2_T3_PNSZ_IS14_E10value_typeET4_jRbjT5_S1A_jjP12ihipStream_tbEUljE_EEESV_SW_SX_S14_S18_S1A_T6_T7_T9_mT8_S1C_bDpT10_ENKUlT_T0_E_clISt17integral_constantIbLb0EES1P_EEDaS1K_S1L_EUlS1K_E_NS1_11comp_targetILNS1_3genE9ELNS1_11target_archE1100ELNS1_3gpuE3ELNS1_3repE0EEENS1_30default_config_static_selectorELNS0_4arch9wavefront6targetE0EEEvSY_,"axG",@progbits,_ZN7rocprim17ROCPRIM_400000_NS6detail17trampoline_kernelINS0_13select_configILj256ELj13ELNS0_17block_load_methodE3ELS4_3ELS4_3ELNS0_20block_scan_algorithmE0ELj4294967295EEENS1_25partition_config_selectorILNS1_17partition_subalgoE3EjNS0_10empty_typeEbEEZZNS1_14partition_implILS8_3ELb0ES6_jNS0_17counting_iteratorIjlEEPS9_SE_NS0_5tupleIJPjSE_EEENSF_IJSE_SE_EEES9_SG_JZNS1_25segmented_radix_sort_implINS0_14default_configELb1EPKfPfPKlPlN2at6native12_GLOBAL__N_18offset_tEEE10hipError_tPvRmT1_PNSt15iterator_traitsISY_E10value_typeET2_T3_PNSZ_IS14_E10value_typeET4_jRbjT5_S1A_jjP12ihipStream_tbEUljE_EEESV_SW_SX_S14_S18_S1A_T6_T7_T9_mT8_S1C_bDpT10_ENKUlT_T0_E_clISt17integral_constantIbLb0EES1P_EEDaS1K_S1L_EUlS1K_E_NS1_11comp_targetILNS1_3genE9ELNS1_11target_archE1100ELNS1_3gpuE3ELNS1_3repE0EEENS1_30default_config_static_selectorELNS0_4arch9wavefront6targetE0EEEvSY_,comdat
	.globl	_ZN7rocprim17ROCPRIM_400000_NS6detail17trampoline_kernelINS0_13select_configILj256ELj13ELNS0_17block_load_methodE3ELS4_3ELS4_3ELNS0_20block_scan_algorithmE0ELj4294967295EEENS1_25partition_config_selectorILNS1_17partition_subalgoE3EjNS0_10empty_typeEbEEZZNS1_14partition_implILS8_3ELb0ES6_jNS0_17counting_iteratorIjlEEPS9_SE_NS0_5tupleIJPjSE_EEENSF_IJSE_SE_EEES9_SG_JZNS1_25segmented_radix_sort_implINS0_14default_configELb1EPKfPfPKlPlN2at6native12_GLOBAL__N_18offset_tEEE10hipError_tPvRmT1_PNSt15iterator_traitsISY_E10value_typeET2_T3_PNSZ_IS14_E10value_typeET4_jRbjT5_S1A_jjP12ihipStream_tbEUljE_EEESV_SW_SX_S14_S18_S1A_T6_T7_T9_mT8_S1C_bDpT10_ENKUlT_T0_E_clISt17integral_constantIbLb0EES1P_EEDaS1K_S1L_EUlS1K_E_NS1_11comp_targetILNS1_3genE9ELNS1_11target_archE1100ELNS1_3gpuE3ELNS1_3repE0EEENS1_30default_config_static_selectorELNS0_4arch9wavefront6targetE0EEEvSY_ ; -- Begin function _ZN7rocprim17ROCPRIM_400000_NS6detail17trampoline_kernelINS0_13select_configILj256ELj13ELNS0_17block_load_methodE3ELS4_3ELS4_3ELNS0_20block_scan_algorithmE0ELj4294967295EEENS1_25partition_config_selectorILNS1_17partition_subalgoE3EjNS0_10empty_typeEbEEZZNS1_14partition_implILS8_3ELb0ES6_jNS0_17counting_iteratorIjlEEPS9_SE_NS0_5tupleIJPjSE_EEENSF_IJSE_SE_EEES9_SG_JZNS1_25segmented_radix_sort_implINS0_14default_configELb1EPKfPfPKlPlN2at6native12_GLOBAL__N_18offset_tEEE10hipError_tPvRmT1_PNSt15iterator_traitsISY_E10value_typeET2_T3_PNSZ_IS14_E10value_typeET4_jRbjT5_S1A_jjP12ihipStream_tbEUljE_EEESV_SW_SX_S14_S18_S1A_T6_T7_T9_mT8_S1C_bDpT10_ENKUlT_T0_E_clISt17integral_constantIbLb0EES1P_EEDaS1K_S1L_EUlS1K_E_NS1_11comp_targetILNS1_3genE9ELNS1_11target_archE1100ELNS1_3gpuE3ELNS1_3repE0EEENS1_30default_config_static_selectorELNS0_4arch9wavefront6targetE0EEEvSY_
	.p2align	8
	.type	_ZN7rocprim17ROCPRIM_400000_NS6detail17trampoline_kernelINS0_13select_configILj256ELj13ELNS0_17block_load_methodE3ELS4_3ELS4_3ELNS0_20block_scan_algorithmE0ELj4294967295EEENS1_25partition_config_selectorILNS1_17partition_subalgoE3EjNS0_10empty_typeEbEEZZNS1_14partition_implILS8_3ELb0ES6_jNS0_17counting_iteratorIjlEEPS9_SE_NS0_5tupleIJPjSE_EEENSF_IJSE_SE_EEES9_SG_JZNS1_25segmented_radix_sort_implINS0_14default_configELb1EPKfPfPKlPlN2at6native12_GLOBAL__N_18offset_tEEE10hipError_tPvRmT1_PNSt15iterator_traitsISY_E10value_typeET2_T3_PNSZ_IS14_E10value_typeET4_jRbjT5_S1A_jjP12ihipStream_tbEUljE_EEESV_SW_SX_S14_S18_S1A_T6_T7_T9_mT8_S1C_bDpT10_ENKUlT_T0_E_clISt17integral_constantIbLb0EES1P_EEDaS1K_S1L_EUlS1K_E_NS1_11comp_targetILNS1_3genE9ELNS1_11target_archE1100ELNS1_3gpuE3ELNS1_3repE0EEENS1_30default_config_static_selectorELNS0_4arch9wavefront6targetE0EEEvSY_,@function
_ZN7rocprim17ROCPRIM_400000_NS6detail17trampoline_kernelINS0_13select_configILj256ELj13ELNS0_17block_load_methodE3ELS4_3ELS4_3ELNS0_20block_scan_algorithmE0ELj4294967295EEENS1_25partition_config_selectorILNS1_17partition_subalgoE3EjNS0_10empty_typeEbEEZZNS1_14partition_implILS8_3ELb0ES6_jNS0_17counting_iteratorIjlEEPS9_SE_NS0_5tupleIJPjSE_EEENSF_IJSE_SE_EEES9_SG_JZNS1_25segmented_radix_sort_implINS0_14default_configELb1EPKfPfPKlPlN2at6native12_GLOBAL__N_18offset_tEEE10hipError_tPvRmT1_PNSt15iterator_traitsISY_E10value_typeET2_T3_PNSZ_IS14_E10value_typeET4_jRbjT5_S1A_jjP12ihipStream_tbEUljE_EEESV_SW_SX_S14_S18_S1A_T6_T7_T9_mT8_S1C_bDpT10_ENKUlT_T0_E_clISt17integral_constantIbLb0EES1P_EEDaS1K_S1L_EUlS1K_E_NS1_11comp_targetILNS1_3genE9ELNS1_11target_archE1100ELNS1_3gpuE3ELNS1_3repE0EEENS1_30default_config_static_selectorELNS0_4arch9wavefront6targetE0EEEvSY_: ; @_ZN7rocprim17ROCPRIM_400000_NS6detail17trampoline_kernelINS0_13select_configILj256ELj13ELNS0_17block_load_methodE3ELS4_3ELS4_3ELNS0_20block_scan_algorithmE0ELj4294967295EEENS1_25partition_config_selectorILNS1_17partition_subalgoE3EjNS0_10empty_typeEbEEZZNS1_14partition_implILS8_3ELb0ES6_jNS0_17counting_iteratorIjlEEPS9_SE_NS0_5tupleIJPjSE_EEENSF_IJSE_SE_EEES9_SG_JZNS1_25segmented_radix_sort_implINS0_14default_configELb1EPKfPfPKlPlN2at6native12_GLOBAL__N_18offset_tEEE10hipError_tPvRmT1_PNSt15iterator_traitsISY_E10value_typeET2_T3_PNSZ_IS14_E10value_typeET4_jRbjT5_S1A_jjP12ihipStream_tbEUljE_EEESV_SW_SX_S14_S18_S1A_T6_T7_T9_mT8_S1C_bDpT10_ENKUlT_T0_E_clISt17integral_constantIbLb0EES1P_EEDaS1K_S1L_EUlS1K_E_NS1_11comp_targetILNS1_3genE9ELNS1_11target_archE1100ELNS1_3gpuE3ELNS1_3repE0EEENS1_30default_config_static_selectorELNS0_4arch9wavefront6targetE0EEEvSY_
; %bb.0:
	s_clause 0x5
	s_load_b32 s2, s[0:1], 0x70
	s_load_b64 s[16:17], s[0:1], 0x10
	s_load_b64 s[12:13], s[0:1], 0x58
	s_load_b32 s18, s[0:1], 0x8
	s_load_b128 s[8:11], s[0:1], 0x48
	s_load_b128 s[4:7], s[0:1], 0x78
	s_mul_i32 s23, s15, 0xd00
	v_lshlrev_b32_e32 v30, 2, v0
	s_waitcnt lgkmcnt(0)
	s_mul_i32 s20, s2, 0xd00
	s_add_i32 s19, s2, -1
	s_add_u32 s2, s16, s20
	s_addc_u32 s3, s17, 0
	s_cmp_eq_u32 s15, s19
	v_cmp_lt_u64_e64 s3, s[2:3], s[12:13]
	s_cselect_b32 s14, -1, 0
	s_cmp_lg_u32 s15, s19
	s_cselect_b32 s21, -1, 0
	s_add_i32 s2, s18, s23
	s_delay_alu instid0(VALU_DEP_1)
	s_or_b32 s3, s21, s3
	s_add_i32 s18, s2, s16
	s_load_b32 s2, s[0:1], 0x88
	v_add_nc_u32_e32 v1, s18, v0
	s_load_b64 s[18:19], s[10:11], 0x0
	s_and_b32 vcc_lo, exec_lo, s3
	s_mov_b32 s10, -1
	s_delay_alu instid0(VALU_DEP_1)
	v_add_nc_u32_e32 v2, 0x100, v1
	v_add_nc_u32_e32 v3, 0x200, v1
	;; [unrolled: 1-line block ×12, first 2 shown]
	s_cbranch_vccz .LBB1299_2
; %bb.1:
	ds_store_2addr_stride64_b32 v30, v1, v2 offset1:4
	ds_store_2addr_stride64_b32 v30, v3, v4 offset0:8 offset1:12
	ds_store_2addr_stride64_b32 v30, v5, v6 offset0:16 offset1:20
	;; [unrolled: 1-line block ×5, first 2 shown]
	ds_store_b32 v30, v13 offset:12288
	s_waitcnt lgkmcnt(0)
	s_mov_b32 s10, 0
	s_barrier
.LBB1299_2:
	s_and_not1_b32 vcc_lo, exec_lo, s10
	s_add_i32 s20, s20, s16
	s_cbranch_vccnz .LBB1299_4
; %bb.3:
	ds_store_2addr_stride64_b32 v30, v1, v2 offset1:4
	ds_store_2addr_stride64_b32 v30, v3, v4 offset0:8 offset1:12
	ds_store_2addr_stride64_b32 v30, v5, v6 offset0:16 offset1:20
	;; [unrolled: 1-line block ×5, first 2 shown]
	ds_store_b32 v30, v13 offset:12288
	s_waitcnt lgkmcnt(0)
	s_barrier
.LBB1299_4:
	v_mul_u32_u24_e32 v33, 13, v0
	s_waitcnt lgkmcnt(0)
	buffer_gl0_inv
	v_cndmask_b32_e64 v31, 0, 1, s3
	s_sub_i32 s22, s12, s20
	s_and_not1_b32 vcc_lo, exec_lo, s3
	v_lshlrev_b32_e32 v1, 2, v33
	ds_load_2addr_b32 v[28:29], v1 offset1:1
	ds_load_2addr_b32 v[26:27], v1 offset0:2 offset1:3
	ds_load_2addr_b32 v[24:25], v1 offset0:4 offset1:5
	;; [unrolled: 1-line block ×5, first 2 shown]
	ds_load_b32 v32, v1 offset:48
	s_waitcnt lgkmcnt(0)
	s_barrier
	buffer_gl0_inv
	s_cbranch_vccnz .LBB1299_6
; %bb.5:
	v_add_nc_u32_e32 v1, s5, v28
	v_add_nc_u32_e32 v2, s7, v28
	;; [unrolled: 1-line block ×5, first 2 shown]
	v_mul_lo_u32 v1, v1, s4
	v_mul_lo_u32 v2, v2, s6
	;; [unrolled: 1-line block ×4, first 2 shown]
	v_add_nc_u32_e32 v6, s7, v26
	v_add_nc_u32_e32 v7, s5, v27
	;; [unrolled: 1-line block ×3, first 2 shown]
	v_mul_lo_u32 v5, v5, s4
	v_add_nc_u32_e32 v9, s5, v22
	v_sub_nc_u32_e32 v1, v1, v2
	v_mul_lo_u32 v2, v6, s6
	v_sub_nc_u32_e32 v3, v3, v4
	v_mul_lo_u32 v4, v7, s4
	v_mul_lo_u32 v6, v8, s6
	v_add_nc_u32_e32 v7, s5, v24
	v_cmp_lt_u32_e32 vcc_lo, s2, v1
	v_add_nc_u32_e32 v8, s5, v25
	v_add_nc_u32_e32 v10, s7, v22
	v_sub_nc_u32_e32 v2, v5, v2
	v_add_nc_u32_e32 v5, s7, v24
	v_cndmask_b32_e64 v1, 0, 1, vcc_lo
	v_sub_nc_u32_e32 v4, v4, v6
	v_mul_lo_u32 v6, v7, s4
	v_add_nc_u32_e32 v7, s7, v25
	v_cmp_lt_u32_e32 vcc_lo, s2, v3
	v_mul_lo_u32 v5, v5, s6
	v_mul_lo_u32 v8, v8, s4
	;; [unrolled: 1-line block ×4, first 2 shown]
	v_cndmask_b32_e64 v3, 0, 1, vcc_lo
	v_cmp_lt_u32_e32 vcc_lo, s2, v2
	v_mul_lo_u32 v10, v10, s6
	v_add_nc_u32_e32 v11, s5, v20
	v_sub_nc_u32_e32 v5, v6, v5
	v_add_nc_u32_e32 v12, s7, v20
	v_cndmask_b32_e64 v2, 0, 1, vcc_lo
	v_sub_nc_u32_e32 v6, v8, v7
	v_add_nc_u32_e32 v7, s5, v23
	v_add_nc_u32_e32 v8, s7, v23
	v_cmp_lt_u32_e32 vcc_lo, s2, v4
	v_sub_nc_u32_e32 v9, v9, v10
	v_mul_lo_u32 v10, v11, s4
	v_mul_lo_u32 v7, v7, s4
	;; [unrolled: 1-line block ×4, first 2 shown]
	v_cndmask_b32_e64 v4, 0, 1, vcc_lo
	v_cmp_lt_u32_e32 vcc_lo, s2, v5
	v_add_nc_u32_e32 v12, s5, v21
	v_add_nc_u32_e32 v13, s7, v18
	;; [unrolled: 1-line block ×4, first 2 shown]
	v_cndmask_b32_e64 v5, 0, 1, vcc_lo
	v_cmp_lt_u32_e32 vcc_lo, s2, v6
	v_sub_nc_u32_e32 v7, v7, v8
	v_sub_nc_u32_e32 v8, v10, v11
	v_add_nc_u32_e32 v11, s7, v21
	v_mul_lo_u32 v10, v12, s4
	v_cndmask_b32_e64 v6, 0, 1, vcc_lo
	v_cmp_lt_u32_e32 vcc_lo, s2, v9
	v_add_nc_u32_e32 v12, s5, v18
	v_mul_lo_u32 v11, v11, s6
	v_mul_lo_u32 v13, v13, s6
	;; [unrolled: 1-line block ×3, first 2 shown]
	v_cndmask_b32_e64 v9, 0, 1, vcc_lo
	v_cmp_lt_u32_e32 vcc_lo, s2, v7
	v_mul_lo_u32 v12, v12, s4
	v_mul_lo_u32 v15, v15, s6
	v_lshlrev_b16 v3, 8, v3
	v_sub_nc_u32_e32 v10, v10, v11
	v_cndmask_b32_e64 v7, 0, 1, vcc_lo
	v_cmp_lt_u32_e32 vcc_lo, s2, v8
	v_add_nc_u32_e32 v11, s5, v32
	v_or_b32_e32 v1, v1, v3
	v_sub_nc_u32_e32 v12, v12, v13
	v_sub_nc_u32_e32 v13, v14, v15
	v_cndmask_b32_e64 v8, 0, 1, vcc_lo
	v_cmp_lt_u32_e32 vcc_lo, s2, v10
	v_add_nc_u32_e32 v16, s7, v32
	v_mul_lo_u32 v11, v11, s4
	v_lshlrev_b16 v4, 8, v4
	v_lshlrev_b16 v6, 8, v6
	v_cndmask_b32_e64 v10, 0, 1, vcc_lo
	v_cmp_lt_u32_e32 vcc_lo, s2, v12
	v_mul_lo_u32 v14, v16, s6
	v_lshlrev_b16 v7, 8, v7
	v_or_b32_e32 v2, v2, v4
	v_lshlrev_b16 v10, 8, v10
	v_cndmask_b32_e64 v3, 0, 1, vcc_lo
	v_cmp_lt_u32_e32 vcc_lo, s2, v13
	v_or_b32_e32 v4, v5, v6
	v_or_b32_e32 v5, v9, v7
	v_sub_nc_u32_e32 v11, v11, v14
	v_or_b32_e32 v6, v8, v10
	v_cndmask_b32_e64 v12, 0, 1, vcc_lo
	v_and_b32_e32 v1, 0xffff, v1
	v_lshlrev_b32_e32 v2, 16, v2
	v_and_b32_e32 v4, 0xffff, v4
	v_lshlrev_b32_e32 v5, 16, v5
	v_lshlrev_b16 v12, 8, v12
	v_and_b32_e32 v6, 0xffff, v6
	v_cmp_lt_u32_e32 vcc_lo, s2, v11
	v_or_b32_e32 v39, v1, v2
	v_or_b32_e32 v37, v4, v5
	;; [unrolled: 1-line block ×3, first 2 shown]
	s_mov_b32 s3, 0
	v_cndmask_b32_e64 v34, 0, 1, vcc_lo
	s_delay_alu instid0(VALU_DEP_2) | instskip(NEXT) | instid1(VALU_DEP_1)
	v_lshlrev_b32_e32 v3, 16, v3
	v_or_b32_e32 v35, v6, v3
	s_branch .LBB1299_7
.LBB1299_6:
	s_mov_b32 s3, -1
                                        ; implicit-def: $vgpr34
                                        ; implicit-def: $vgpr35
                                        ; implicit-def: $vgpr37
                                        ; implicit-def: $vgpr39
.LBB1299_7:
	s_clause 0x1
	s_load_b64 s[10:11], s[0:1], 0x28
	s_load_b64 s[20:21], s[0:1], 0x68
	s_and_not1_b32 vcc_lo, exec_lo, s3
	s_addk_i32 s22, 0xd00
	s_cbranch_vccnz .LBB1299_35
; %bb.8:
	v_dual_mov_b32 v2, 0 :: v_dual_mov_b32 v1, 0
	s_mov_b32 s0, exec_lo
	v_cmpx_gt_u32_e64 s22, v33
; %bb.9:
	v_add_nc_u32_e32 v1, s5, v28
	v_add_nc_u32_e32 v3, s7, v28
	s_delay_alu instid0(VALU_DEP_2) | instskip(NEXT) | instid1(VALU_DEP_2)
	v_mul_lo_u32 v1, v1, s4
	v_mul_lo_u32 v3, v3, s6
	s_delay_alu instid0(VALU_DEP_1) | instskip(NEXT) | instid1(VALU_DEP_1)
	v_sub_nc_u32_e32 v1, v1, v3
	v_cmp_lt_u32_e32 vcc_lo, s2, v1
	v_cndmask_b32_e64 v1, 0, 1, vcc_lo
; %bb.10:
	s_or_b32 exec_lo, exec_lo, s0
	v_add_nc_u32_e32 v3, 1, v33
	s_mov_b32 s0, exec_lo
	s_delay_alu instid0(VALU_DEP_1)
	v_cmpx_gt_u32_e64 s22, v3
; %bb.11:
	v_add_nc_u32_e32 v2, s5, v29
	v_add_nc_u32_e32 v3, s7, v29
	s_delay_alu instid0(VALU_DEP_2) | instskip(NEXT) | instid1(VALU_DEP_2)
	v_mul_lo_u32 v2, v2, s4
	v_mul_lo_u32 v3, v3, s6
	s_delay_alu instid0(VALU_DEP_1) | instskip(NEXT) | instid1(VALU_DEP_1)
	v_sub_nc_u32_e32 v2, v2, v3
	v_cmp_lt_u32_e32 vcc_lo, s2, v2
	v_cndmask_b32_e64 v2, 0, 1, vcc_lo
; %bb.12:
	s_or_b32 exec_lo, exec_lo, s0
	v_dual_mov_b32 v4, 0 :: v_dual_add_nc_u32 v3, 2, v33
	s_delay_alu instid0(VALU_DEP_1)
	v_cmp_gt_u32_e32 vcc_lo, s22, v3
	v_mov_b32_e32 v3, 0
	s_and_saveexec_b32 s0, vcc_lo
; %bb.13:
	v_add_nc_u32_e32 v3, s5, v26
	v_add_nc_u32_e32 v5, s7, v26
	s_delay_alu instid0(VALU_DEP_2) | instskip(NEXT) | instid1(VALU_DEP_2)
	v_mul_lo_u32 v3, v3, s4
	v_mul_lo_u32 v5, v5, s6
	s_delay_alu instid0(VALU_DEP_1) | instskip(NEXT) | instid1(VALU_DEP_1)
	v_sub_nc_u32_e32 v3, v3, v5
	v_cmp_lt_u32_e32 vcc_lo, s2, v3
	v_cndmask_b32_e64 v3, 0, 1, vcc_lo
; %bb.14:
	s_or_b32 exec_lo, exec_lo, s0
	v_add_nc_u32_e32 v5, 3, v33
	s_mov_b32 s0, exec_lo
	s_delay_alu instid0(VALU_DEP_1)
	v_cmpx_gt_u32_e64 s22, v5
; %bb.15:
	v_add_nc_u32_e32 v4, s5, v27
	v_add_nc_u32_e32 v5, s7, v27
	s_delay_alu instid0(VALU_DEP_2) | instskip(NEXT) | instid1(VALU_DEP_2)
	v_mul_lo_u32 v4, v4, s4
	v_mul_lo_u32 v5, v5, s6
	s_delay_alu instid0(VALU_DEP_1) | instskip(NEXT) | instid1(VALU_DEP_1)
	v_sub_nc_u32_e32 v4, v4, v5
	v_cmp_lt_u32_e32 vcc_lo, s2, v4
	v_cndmask_b32_e64 v4, 0, 1, vcc_lo
; %bb.16:
	s_or_b32 exec_lo, exec_lo, s0
	v_dual_mov_b32 v6, 0 :: v_dual_add_nc_u32 v5, 4, v33
	s_delay_alu instid0(VALU_DEP_1)
	v_cmp_gt_u32_e32 vcc_lo, s22, v5
	v_mov_b32_e32 v5, 0
	s_and_saveexec_b32 s0, vcc_lo
; %bb.17:
	v_add_nc_u32_e32 v5, s5, v24
	v_add_nc_u32_e32 v7, s7, v24
	s_delay_alu instid0(VALU_DEP_2) | instskip(NEXT) | instid1(VALU_DEP_2)
	v_mul_lo_u32 v5, v5, s4
	v_mul_lo_u32 v7, v7, s6
	s_delay_alu instid0(VALU_DEP_1) | instskip(NEXT) | instid1(VALU_DEP_1)
	v_sub_nc_u32_e32 v5, v5, v7
	v_cmp_lt_u32_e32 vcc_lo, s2, v5
	v_cndmask_b32_e64 v5, 0, 1, vcc_lo
; %bb.18:
	s_or_b32 exec_lo, exec_lo, s0
	v_add_nc_u32_e32 v7, 5, v33
	s_mov_b32 s0, exec_lo
	s_delay_alu instid0(VALU_DEP_1)
	v_cmpx_gt_u32_e64 s22, v7
; %bb.19:
	v_add_nc_u32_e32 v6, s5, v25
	v_add_nc_u32_e32 v7, s7, v25
	s_delay_alu instid0(VALU_DEP_2) | instskip(NEXT) | instid1(VALU_DEP_2)
	v_mul_lo_u32 v6, v6, s4
	v_mul_lo_u32 v7, v7, s6
	s_delay_alu instid0(VALU_DEP_1) | instskip(NEXT) | instid1(VALU_DEP_1)
	v_sub_nc_u32_e32 v6, v6, v7
	v_cmp_lt_u32_e32 vcc_lo, s2, v6
	v_cndmask_b32_e64 v6, 0, 1, vcc_lo
; %bb.20:
	s_or_b32 exec_lo, exec_lo, s0
	v_dual_mov_b32 v8, 0 :: v_dual_add_nc_u32 v7, 6, v33
	s_delay_alu instid0(VALU_DEP_1)
	v_cmp_gt_u32_e32 vcc_lo, s22, v7
	v_mov_b32_e32 v7, 0
	s_and_saveexec_b32 s0, vcc_lo
; %bb.21:
	v_add_nc_u32_e32 v7, s5, v22
	v_add_nc_u32_e32 v9, s7, v22
	s_delay_alu instid0(VALU_DEP_2) | instskip(NEXT) | instid1(VALU_DEP_2)
	v_mul_lo_u32 v7, v7, s4
	v_mul_lo_u32 v9, v9, s6
	s_delay_alu instid0(VALU_DEP_1) | instskip(NEXT) | instid1(VALU_DEP_1)
	v_sub_nc_u32_e32 v7, v7, v9
	v_cmp_lt_u32_e32 vcc_lo, s2, v7
	v_cndmask_b32_e64 v7, 0, 1, vcc_lo
; %bb.22:
	s_or_b32 exec_lo, exec_lo, s0
	v_add_nc_u32_e32 v9, 7, v33
	s_mov_b32 s0, exec_lo
	s_delay_alu instid0(VALU_DEP_1)
	v_cmpx_gt_u32_e64 s22, v9
; %bb.23:
	v_add_nc_u32_e32 v8, s5, v23
	v_add_nc_u32_e32 v9, s7, v23
	s_delay_alu instid0(VALU_DEP_2) | instskip(NEXT) | instid1(VALU_DEP_2)
	v_mul_lo_u32 v8, v8, s4
	v_mul_lo_u32 v9, v9, s6
	s_delay_alu instid0(VALU_DEP_1) | instskip(NEXT) | instid1(VALU_DEP_1)
	v_sub_nc_u32_e32 v8, v8, v9
	v_cmp_lt_u32_e32 vcc_lo, s2, v8
	v_cndmask_b32_e64 v8, 0, 1, vcc_lo
; %bb.24:
	s_or_b32 exec_lo, exec_lo, s0
	v_dual_mov_b32 v10, 0 :: v_dual_add_nc_u32 v9, 8, v33
	s_delay_alu instid0(VALU_DEP_1)
	v_cmp_gt_u32_e32 vcc_lo, s22, v9
	v_mov_b32_e32 v9, 0
	s_and_saveexec_b32 s0, vcc_lo
; %bb.25:
	v_add_nc_u32_e32 v9, s5, v20
	v_add_nc_u32_e32 v11, s7, v20
	s_delay_alu instid0(VALU_DEP_2) | instskip(NEXT) | instid1(VALU_DEP_2)
	v_mul_lo_u32 v9, v9, s4
	v_mul_lo_u32 v11, v11, s6
	s_delay_alu instid0(VALU_DEP_1) | instskip(NEXT) | instid1(VALU_DEP_1)
	v_sub_nc_u32_e32 v9, v9, v11
	v_cmp_lt_u32_e32 vcc_lo, s2, v9
	v_cndmask_b32_e64 v9, 0, 1, vcc_lo
; %bb.26:
	s_or_b32 exec_lo, exec_lo, s0
	v_add_nc_u32_e32 v11, 9, v33
	s_mov_b32 s0, exec_lo
	s_delay_alu instid0(VALU_DEP_1)
	v_cmpx_gt_u32_e64 s22, v11
; %bb.27:
	v_add_nc_u32_e32 v10, s5, v21
	v_add_nc_u32_e32 v11, s7, v21
	s_delay_alu instid0(VALU_DEP_2) | instskip(NEXT) | instid1(VALU_DEP_2)
	v_mul_lo_u32 v10, v10, s4
	v_mul_lo_u32 v11, v11, s6
	s_delay_alu instid0(VALU_DEP_1) | instskip(NEXT) | instid1(VALU_DEP_1)
	v_sub_nc_u32_e32 v10, v10, v11
	v_cmp_lt_u32_e32 vcc_lo, s2, v10
	v_cndmask_b32_e64 v10, 0, 1, vcc_lo
; %bb.28:
	s_or_b32 exec_lo, exec_lo, s0
	v_dual_mov_b32 v12, 0 :: v_dual_add_nc_u32 v11, 10, v33
	s_delay_alu instid0(VALU_DEP_1)
	v_cmp_gt_u32_e32 vcc_lo, s22, v11
	v_mov_b32_e32 v11, 0
	s_and_saveexec_b32 s0, vcc_lo
; %bb.29:
	v_add_nc_u32_e32 v11, s5, v18
	v_add_nc_u32_e32 v13, s7, v18
	s_delay_alu instid0(VALU_DEP_2) | instskip(NEXT) | instid1(VALU_DEP_2)
	v_mul_lo_u32 v11, v11, s4
	v_mul_lo_u32 v13, v13, s6
	s_delay_alu instid0(VALU_DEP_1) | instskip(NEXT) | instid1(VALU_DEP_1)
	v_sub_nc_u32_e32 v11, v11, v13
	v_cmp_lt_u32_e32 vcc_lo, s2, v11
	v_cndmask_b32_e64 v11, 0, 1, vcc_lo
; %bb.30:
	s_or_b32 exec_lo, exec_lo, s0
	v_add_nc_u32_e32 v13, 11, v33
	s_mov_b32 s0, exec_lo
	s_delay_alu instid0(VALU_DEP_1)
	v_cmpx_gt_u32_e64 s22, v13
; %bb.31:
	v_add_nc_u32_e32 v12, s5, v19
	v_add_nc_u32_e32 v13, s7, v19
	s_delay_alu instid0(VALU_DEP_2) | instskip(NEXT) | instid1(VALU_DEP_2)
	v_mul_lo_u32 v12, v12, s4
	v_mul_lo_u32 v13, v13, s6
	s_delay_alu instid0(VALU_DEP_1) | instskip(NEXT) | instid1(VALU_DEP_1)
	v_sub_nc_u32_e32 v12, v12, v13
	v_cmp_lt_u32_e32 vcc_lo, s2, v12
	v_cndmask_b32_e64 v12, 0, 1, vcc_lo
; %bb.32:
	s_or_b32 exec_lo, exec_lo, s0
	v_dual_mov_b32 v34, 0 :: v_dual_add_nc_u32 v13, 12, v33
	s_mov_b32 s0, exec_lo
	s_delay_alu instid0(VALU_DEP_1)
	v_cmpx_gt_u32_e64 s22, v13
; %bb.33:
	v_add_nc_u32_e32 v13, s5, v32
	v_add_nc_u32_e32 v14, s7, v32
	s_delay_alu instid0(VALU_DEP_2) | instskip(NEXT) | instid1(VALU_DEP_2)
	v_mul_lo_u32 v13, v13, s4
	v_mul_lo_u32 v14, v14, s6
	s_delay_alu instid0(VALU_DEP_1) | instskip(NEXT) | instid1(VALU_DEP_1)
	v_sub_nc_u32_e32 v13, v13, v14
	v_cmp_lt_u32_e32 vcc_lo, s2, v13
	v_cndmask_b32_e64 v34, 0, 1, vcc_lo
; %bb.34:
	s_or_b32 exec_lo, exec_lo, s0
	v_lshlrev_b16 v2, 8, v2
	v_lshlrev_b16 v4, 8, v4
	v_lshlrev_b16 v6, 8, v6
	v_lshlrev_b16 v8, 8, v8
	v_lshlrev_b16 v10, 8, v10
	v_or_b32_e32 v1, v1, v2
	v_lshlrev_b16 v2, 8, v12
	v_or_b32_e32 v3, v3, v4
	v_or_b32_e32 v4, v5, v6
	;; [unrolled: 1-line block ×5, first 2 shown]
	v_and_b32_e32 v1, 0xffff, v1
	v_lshlrev_b32_e32 v3, 16, v3
	v_and_b32_e32 v4, 0xffff, v4
	v_lshlrev_b32_e32 v5, 16, v5
	;; [unrolled: 2-line block ×3, first 2 shown]
	v_or_b32_e32 v39, v1, v3
	s_delay_alu instid0(VALU_DEP_4) | instskip(NEXT) | instid1(VALU_DEP_3)
	v_or_b32_e32 v37, v4, v5
	v_or_b32_e32 v35, v6, v2
.LBB1299_35:
	s_delay_alu instid0(VALU_DEP_3)
	v_and_b32_e32 v41, 0xff, v39
	v_bfe_u32 v42, v39, 8, 8
	v_bfe_u32 v43, v39, 16, 8
	v_lshrrev_b32_e32 v40, 24, v39
	v_and_b32_e32 v44, 0xff, v37
	v_bfe_u32 v45, v37, 8, 8
	v_bfe_u32 v46, v37, 16, 8
	v_add3_u32 v1, v42, v41, v43
	v_lshrrev_b32_e32 v38, 24, v37
	v_and_b32_e32 v47, 0xff, v35
	v_bfe_u32 v48, v35, 8, 8
	v_mbcnt_lo_u32_b32 v50, -1, 0
	v_add3_u32 v1, v1, v40, v44
	v_bfe_u32 v49, v35, 16, 8
	v_lshrrev_b32_e32 v36, 24, v35
	v_and_b32_e32 v2, 0xff, v34
	v_and_b32_e32 v3, 15, v50
	v_add3_u32 v1, v1, v45, v46
	v_or_b32_e32 v4, 31, v0
	v_and_b32_e32 v5, 16, v50
	v_lshrrev_b32_e32 v51, 5, v0
	v_cmp_eq_u32_e64 s5, 0, v3
	v_add3_u32 v1, v1, v38, v47
	v_cmp_lt_u32_e64 s4, 1, v3
	v_cmp_lt_u32_e64 s3, 3, v3
	;; [unrolled: 1-line block ×3, first 2 shown]
	v_cmp_eq_u32_e64 s1, 0, v5
	v_add3_u32 v1, v1, v48, v49
	v_cmp_eq_u32_e64 s0, v4, v0
	s_cmp_lg_u32 s15, 0
	s_mov_b32 s6, -1
	s_delay_alu instid0(VALU_DEP_2)
	v_add3_u32 v52, v1, v36, v2
	s_cbranch_scc0 .LBB1299_61
; %bb.36:
	s_delay_alu instid0(VALU_DEP_1) | instskip(NEXT) | instid1(VALU_DEP_1)
	v_mov_b32_dpp v1, v52 row_shr:1 row_mask:0xf bank_mask:0xf
	v_cndmask_b32_e64 v1, v1, 0, s5
	s_delay_alu instid0(VALU_DEP_1) | instskip(NEXT) | instid1(VALU_DEP_1)
	v_add_nc_u32_e32 v1, v1, v52
	v_mov_b32_dpp v2, v1 row_shr:2 row_mask:0xf bank_mask:0xf
	s_delay_alu instid0(VALU_DEP_1) | instskip(NEXT) | instid1(VALU_DEP_1)
	v_cndmask_b32_e64 v2, 0, v2, s4
	v_add_nc_u32_e32 v1, v1, v2
	s_delay_alu instid0(VALU_DEP_1) | instskip(NEXT) | instid1(VALU_DEP_1)
	v_mov_b32_dpp v2, v1 row_shr:4 row_mask:0xf bank_mask:0xf
	v_cndmask_b32_e64 v2, 0, v2, s3
	s_delay_alu instid0(VALU_DEP_1) | instskip(NEXT) | instid1(VALU_DEP_1)
	v_add_nc_u32_e32 v1, v1, v2
	v_mov_b32_dpp v2, v1 row_shr:8 row_mask:0xf bank_mask:0xf
	s_delay_alu instid0(VALU_DEP_1) | instskip(NEXT) | instid1(VALU_DEP_1)
	v_cndmask_b32_e64 v2, 0, v2, s2
	v_add_nc_u32_e32 v1, v1, v2
	ds_swizzle_b32 v2, v1 offset:swizzle(BROADCAST,32,15)
	s_waitcnt lgkmcnt(0)
	v_cndmask_b32_e64 v2, v2, 0, s1
	s_delay_alu instid0(VALU_DEP_1)
	v_add_nc_u32_e32 v1, v1, v2
	s_and_saveexec_b32 s6, s0
	s_cbranch_execz .LBB1299_38
; %bb.37:
	v_lshlrev_b32_e32 v2, 2, v51
	ds_store_b32 v2, v1
.LBB1299_38:
	s_or_b32 exec_lo, exec_lo, s6
	s_delay_alu instid0(SALU_CYCLE_1)
	s_mov_b32 s6, exec_lo
	s_waitcnt lgkmcnt(0)
	s_barrier
	buffer_gl0_inv
	v_cmpx_gt_u32_e32 8, v0
	s_cbranch_execz .LBB1299_40
; %bb.39:
	ds_load_b32 v2, v30
	s_waitcnt lgkmcnt(0)
	v_mov_b32_dpp v4, v2 row_shr:1 row_mask:0xf bank_mask:0xf
	v_and_b32_e32 v3, 7, v50
	s_delay_alu instid0(VALU_DEP_1) | instskip(NEXT) | instid1(VALU_DEP_3)
	v_cmp_ne_u32_e32 vcc_lo, 0, v3
	v_cndmask_b32_e32 v4, 0, v4, vcc_lo
	v_cmp_lt_u32_e32 vcc_lo, 1, v3
	s_delay_alu instid0(VALU_DEP_2) | instskip(NEXT) | instid1(VALU_DEP_1)
	v_add_nc_u32_e32 v2, v4, v2
	v_mov_b32_dpp v4, v2 row_shr:2 row_mask:0xf bank_mask:0xf
	s_delay_alu instid0(VALU_DEP_1) | instskip(SKIP_1) | instid1(VALU_DEP_2)
	v_cndmask_b32_e32 v4, 0, v4, vcc_lo
	v_cmp_lt_u32_e32 vcc_lo, 3, v3
	v_add_nc_u32_e32 v2, v2, v4
	s_delay_alu instid0(VALU_DEP_1) | instskip(NEXT) | instid1(VALU_DEP_1)
	v_mov_b32_dpp v4, v2 row_shr:4 row_mask:0xf bank_mask:0xf
	v_cndmask_b32_e32 v3, 0, v4, vcc_lo
	s_delay_alu instid0(VALU_DEP_1)
	v_add_nc_u32_e32 v2, v2, v3
	ds_store_b32 v30, v2
.LBB1299_40:
	s_or_b32 exec_lo, exec_lo, s6
	v_cmp_gt_u32_e32 vcc_lo, 32, v0
	s_mov_b32 s7, exec_lo
	s_waitcnt lgkmcnt(0)
	s_barrier
	buffer_gl0_inv
                                        ; implicit-def: $vgpr8
	v_cmpx_lt_u32_e32 31, v0
	s_cbranch_execz .LBB1299_42
; %bb.41:
	v_lshl_add_u32 v2, v51, 2, -4
	ds_load_b32 v8, v2
	s_waitcnt lgkmcnt(0)
	v_add_nc_u32_e32 v1, v8, v1
.LBB1299_42:
	s_or_b32 exec_lo, exec_lo, s7
	v_add_nc_u32_e32 v2, -1, v50
	s_delay_alu instid0(VALU_DEP_1) | instskip(NEXT) | instid1(VALU_DEP_1)
	v_cmp_gt_i32_e64 s6, 0, v2
	v_cndmask_b32_e64 v2, v2, v50, s6
	v_cmp_eq_u32_e64 s6, 0, v50
	s_delay_alu instid0(VALU_DEP_2)
	v_lshlrev_b32_e32 v2, 2, v2
	ds_bpermute_b32 v9, v2, v1
	s_and_saveexec_b32 s7, vcc_lo
	s_cbranch_execz .LBB1299_60
; %bb.43:
	v_mov_b32_e32 v4, 0
	ds_load_b32 v1, v4 offset:28
	s_and_saveexec_b32 s24, s6
	s_cbranch_execz .LBB1299_45
; %bb.44:
	s_add_i32 s26, s15, 32
	s_mov_b32 s27, 0
	v_mov_b32_e32 v2, 1
	s_lshl_b64 s[26:27], s[26:27], 3
	s_delay_alu instid0(SALU_CYCLE_1)
	s_add_u32 s26, s20, s26
	s_addc_u32 s27, s21, s27
	s_waitcnt lgkmcnt(0)
	global_store_b64 v4, v[1:2], s[26:27]
.LBB1299_45:
	s_or_b32 exec_lo, exec_lo, s24
	v_xad_u32 v2, v50, -1, s15
	s_mov_b32 s25, 0
	s_mov_b32 s24, exec_lo
	s_delay_alu instid0(VALU_DEP_1) | instskip(NEXT) | instid1(VALU_DEP_1)
	v_add_nc_u32_e32 v3, 32, v2
	v_lshlrev_b64 v[3:4], 3, v[3:4]
	s_delay_alu instid0(VALU_DEP_1) | instskip(NEXT) | instid1(VALU_DEP_2)
	v_add_co_u32 v6, vcc_lo, s20, v3
	v_add_co_ci_u32_e32 v7, vcc_lo, s21, v4, vcc_lo
	global_load_b64 v[4:5], v[6:7], off glc
	s_waitcnt vmcnt(0)
	v_and_b32_e32 v3, 0xff, v5
	s_delay_alu instid0(VALU_DEP_1)
	v_cmpx_eq_u16_e32 0, v3
	s_cbranch_execz .LBB1299_48
.LBB1299_46:                            ; =>This Inner Loop Header: Depth=1
	global_load_b64 v[4:5], v[6:7], off glc
	s_waitcnt vmcnt(0)
	v_and_b32_e32 v3, 0xff, v5
	s_delay_alu instid0(VALU_DEP_1) | instskip(SKIP_1) | instid1(SALU_CYCLE_1)
	v_cmp_ne_u16_e32 vcc_lo, 0, v3
	s_or_b32 s25, vcc_lo, s25
	s_and_not1_b32 exec_lo, exec_lo, s25
	s_cbranch_execnz .LBB1299_46
; %bb.47:
	s_or_b32 exec_lo, exec_lo, s25
.LBB1299_48:
	s_delay_alu instid0(SALU_CYCLE_1)
	s_or_b32 exec_lo, exec_lo, s24
	v_cmp_ne_u32_e32 vcc_lo, 31, v50
	v_lshlrev_b32_e64 v11, v50, -1
	v_add_nc_u32_e32 v13, 2, v50
	v_add_nc_u32_e32 v16, 4, v50
	;; [unrolled: 1-line block ×3, first 2 shown]
	v_add_co_ci_u32_e32 v3, vcc_lo, 0, v50, vcc_lo
	v_add_nc_u32_e32 v55, 16, v50
	s_delay_alu instid0(VALU_DEP_2) | instskip(SKIP_2) | instid1(VALU_DEP_1)
	v_lshlrev_b32_e32 v10, 2, v3
	ds_bpermute_b32 v6, v10, v4
	v_and_b32_e32 v3, 0xff, v5
	v_cmp_eq_u16_e32 vcc_lo, 2, v3
	v_and_or_b32 v3, vcc_lo, v11, 0x80000000
	v_cmp_gt_u32_e32 vcc_lo, 30, v50
	s_delay_alu instid0(VALU_DEP_2) | instskip(SKIP_1) | instid1(VALU_DEP_2)
	v_ctz_i32_b32_e32 v3, v3
	v_cndmask_b32_e64 v7, 0, 1, vcc_lo
	v_cmp_lt_u32_e32 vcc_lo, v50, v3
	s_waitcnt lgkmcnt(0)
	s_delay_alu instid0(VALU_DEP_2) | instskip(NEXT) | instid1(VALU_DEP_1)
	v_dual_cndmask_b32 v6, 0, v6 :: v_dual_lshlrev_b32 v7, 1, v7
	v_add_lshl_u32 v12, v7, v50, 2
	v_cmp_gt_u32_e32 vcc_lo, 28, v50
	s_delay_alu instid0(VALU_DEP_3) | instskip(SKIP_4) | instid1(VALU_DEP_1)
	v_add_nc_u32_e32 v4, v6, v4
	v_cndmask_b32_e64 v7, 0, 1, vcc_lo
	v_cmp_le_u32_e32 vcc_lo, v13, v3
	ds_bpermute_b32 v6, v12, v4
	v_lshlrev_b32_e32 v7, 2, v7
	v_add_lshl_u32 v14, v7, v50, 2
	s_waitcnt lgkmcnt(0)
	v_cndmask_b32_e32 v6, 0, v6, vcc_lo
	v_cmp_gt_u32_e32 vcc_lo, 24, v50
	s_delay_alu instid0(VALU_DEP_2) | instskip(SKIP_4) | instid1(VALU_DEP_1)
	v_add_nc_u32_e32 v4, v4, v6
	v_cndmask_b32_e64 v7, 0, 1, vcc_lo
	v_cmp_le_u32_e32 vcc_lo, v16, v3
	ds_bpermute_b32 v6, v14, v4
	v_lshlrev_b32_e32 v7, 3, v7
	v_add_lshl_u32 v17, v7, v50, 2
	s_waitcnt lgkmcnt(0)
	v_cndmask_b32_e32 v6, 0, v6, vcc_lo
	v_cmp_gt_u32_e32 vcc_lo, 16, v50
	s_delay_alu instid0(VALU_DEP_2) | instskip(SKIP_4) | instid1(VALU_DEP_1)
	v_add_nc_u32_e32 v4, v4, v6
	v_cndmask_b32_e64 v7, 0, 1, vcc_lo
	v_cmp_le_u32_e32 vcc_lo, v53, v3
	ds_bpermute_b32 v6, v17, v4
	v_lshlrev_b32_e32 v7, 4, v7
	v_add_lshl_u32 v54, v7, v50, 2
	s_waitcnt lgkmcnt(0)
	v_cndmask_b32_e32 v6, 0, v6, vcc_lo
	v_cmp_le_u32_e32 vcc_lo, v55, v3
	s_delay_alu instid0(VALU_DEP_2) | instskip(SKIP_3) | instid1(VALU_DEP_1)
	v_add_nc_u32_e32 v4, v4, v6
	ds_bpermute_b32 v6, v54, v4
	s_waitcnt lgkmcnt(0)
	v_cndmask_b32_e32 v3, 0, v6, vcc_lo
	v_dual_mov_b32 v3, 0 :: v_dual_add_nc_u32 v4, v4, v3
	s_branch .LBB1299_50
.LBB1299_49:                            ;   in Loop: Header=BB1299_50 Depth=1
	s_or_b32 exec_lo, exec_lo, s24
	ds_bpermute_b32 v7, v10, v4
	v_and_b32_e32 v6, 0xff, v5
	v_subrev_nc_u32_e32 v2, 32, v2
	s_delay_alu instid0(VALU_DEP_2) | instskip(SKIP_1) | instid1(VALU_DEP_1)
	v_cmp_eq_u16_e32 vcc_lo, 2, v6
	v_and_or_b32 v6, vcc_lo, v11, 0x80000000
	v_ctz_i32_b32_e32 v6, v6
	s_delay_alu instid0(VALU_DEP_1) | instskip(SKIP_3) | instid1(VALU_DEP_2)
	v_cmp_lt_u32_e32 vcc_lo, v50, v6
	s_waitcnt lgkmcnt(0)
	v_cndmask_b32_e32 v7, 0, v7, vcc_lo
	v_cmp_le_u32_e32 vcc_lo, v13, v6
	v_add_nc_u32_e32 v4, v7, v4
	ds_bpermute_b32 v7, v12, v4
	s_waitcnt lgkmcnt(0)
	v_cndmask_b32_e32 v7, 0, v7, vcc_lo
	v_cmp_le_u32_e32 vcc_lo, v16, v6
	s_delay_alu instid0(VALU_DEP_2) | instskip(SKIP_4) | instid1(VALU_DEP_2)
	v_add_nc_u32_e32 v4, v4, v7
	ds_bpermute_b32 v7, v14, v4
	s_waitcnt lgkmcnt(0)
	v_cndmask_b32_e32 v7, 0, v7, vcc_lo
	v_cmp_le_u32_e32 vcc_lo, v53, v6
	v_add_nc_u32_e32 v4, v4, v7
	ds_bpermute_b32 v7, v17, v4
	s_waitcnt lgkmcnt(0)
	v_cndmask_b32_e32 v7, 0, v7, vcc_lo
	v_cmp_le_u32_e32 vcc_lo, v55, v6
	s_delay_alu instid0(VALU_DEP_2) | instskip(SKIP_3) | instid1(VALU_DEP_1)
	v_add_nc_u32_e32 v4, v4, v7
	ds_bpermute_b32 v7, v54, v4
	s_waitcnt lgkmcnt(0)
	v_cndmask_b32_e32 v6, 0, v7, vcc_lo
	v_add3_u32 v4, v6, v15, v4
.LBB1299_50:                            ; =>This Loop Header: Depth=1
                                        ;     Child Loop BB1299_53 Depth 2
	v_and_b32_e32 v5, 0xff, v5
	s_delay_alu instid0(VALU_DEP_2) | instskip(NEXT) | instid1(VALU_DEP_2)
	v_mov_b32_e32 v15, v4
	v_cmp_ne_u16_e32 vcc_lo, 2, v5
	v_cndmask_b32_e64 v5, 0, 1, vcc_lo
	;;#ASMSTART
	;;#ASMEND
	s_delay_alu instid0(VALU_DEP_1)
	v_cmp_ne_u32_e32 vcc_lo, 0, v5
	s_cmp_lg_u32 vcc_lo, exec_lo
	s_cbranch_scc1 .LBB1299_55
; %bb.51:                               ;   in Loop: Header=BB1299_50 Depth=1
	v_lshlrev_b64 v[4:5], 3, v[2:3]
	s_mov_b32 s24, exec_lo
	s_delay_alu instid0(VALU_DEP_1) | instskip(NEXT) | instid1(VALU_DEP_2)
	v_add_co_u32 v6, vcc_lo, s20, v4
	v_add_co_ci_u32_e32 v7, vcc_lo, s21, v5, vcc_lo
	global_load_b64 v[4:5], v[6:7], off glc
	s_waitcnt vmcnt(0)
	v_and_b32_e32 v56, 0xff, v5
	s_delay_alu instid0(VALU_DEP_1)
	v_cmpx_eq_u16_e32 0, v56
	s_cbranch_execz .LBB1299_49
; %bb.52:                               ;   in Loop: Header=BB1299_50 Depth=1
	s_mov_b32 s25, 0
.LBB1299_53:                            ;   Parent Loop BB1299_50 Depth=1
                                        ; =>  This Inner Loop Header: Depth=2
	global_load_b64 v[4:5], v[6:7], off glc
	s_waitcnt vmcnt(0)
	v_and_b32_e32 v56, 0xff, v5
	s_delay_alu instid0(VALU_DEP_1) | instskip(SKIP_1) | instid1(SALU_CYCLE_1)
	v_cmp_ne_u16_e32 vcc_lo, 0, v56
	s_or_b32 s25, vcc_lo, s25
	s_and_not1_b32 exec_lo, exec_lo, s25
	s_cbranch_execnz .LBB1299_53
; %bb.54:                               ;   in Loop: Header=BB1299_50 Depth=1
	s_or_b32 exec_lo, exec_lo, s25
	s_branch .LBB1299_49
.LBB1299_55:                            ;   in Loop: Header=BB1299_50 Depth=1
                                        ; implicit-def: $vgpr4
                                        ; implicit-def: $vgpr5
	s_cbranch_execz .LBB1299_50
; %bb.56:
	s_and_saveexec_b32 s24, s6
	s_cbranch_execz .LBB1299_58
; %bb.57:
	s_add_i32 s26, s15, 32
	s_mov_b32 s27, 0
	v_dual_mov_b32 v3, 2 :: v_dual_add_nc_u32 v2, v15, v1
	s_lshl_b64 s[26:27], s[26:27], 3
	v_mov_b32_e32 v4, 0
	v_add_nc_u32_e64 v5, 0x3400, 0
	s_add_u32 s26, s20, s26
	s_addc_u32 s27, s21, s27
	global_store_b64 v4, v[2:3], s[26:27]
	ds_store_2addr_b32 v5, v1, v15 offset1:2
.LBB1299_58:
	s_or_b32 exec_lo, exec_lo, s24
	v_cmp_eq_u32_e32 vcc_lo, 0, v0
	s_and_b32 exec_lo, exec_lo, vcc_lo
	s_cbranch_execz .LBB1299_60
; %bb.59:
	v_mov_b32_e32 v1, 0
	ds_store_b32 v1, v15 offset:28
.LBB1299_60:
	s_or_b32 exec_lo, exec_lo, s7
	s_waitcnt lgkmcnt(0)
	v_cndmask_b32_e64 v2, v9, v8, s6
	v_cmp_ne_u32_e32 vcc_lo, 0, v0
	v_mov_b32_e32 v1, 0
	s_waitcnt_vscnt null, 0x0
	s_barrier
	buffer_gl0_inv
	v_cndmask_b32_e32 v2, 0, v2, vcc_lo
	ds_load_b32 v1, v1 offset:28
	v_add_nc_u32_e64 v11, 0x3400, 0
	s_waitcnt lgkmcnt(0)
	s_barrier
	buffer_gl0_inv
	ds_load_2addr_b32 v[16:17], v11 offset1:2
	v_add_nc_u32_e32 v1, v1, v2
	s_delay_alu instid0(VALU_DEP_1) | instskip(NEXT) | instid1(VALU_DEP_1)
	v_add_nc_u32_e32 v2, v1, v41
	v_add_nc_u32_e32 v3, v2, v42
	s_delay_alu instid0(VALU_DEP_1) | instskip(NEXT) | instid1(VALU_DEP_1)
	v_add_nc_u32_e32 v4, v3, v43
	v_add_nc_u32_e32 v5, v4, v40
	s_delay_alu instid0(VALU_DEP_1) | instskip(NEXT) | instid1(VALU_DEP_1)
	v_add_nc_u32_e32 v6, v5, v44
	v_add_nc_u32_e32 v7, v6, v45
	s_delay_alu instid0(VALU_DEP_1) | instskip(NEXT) | instid1(VALU_DEP_1)
	v_add_nc_u32_e32 v8, v7, v46
	v_add_nc_u32_e32 v9, v8, v38
	s_delay_alu instid0(VALU_DEP_1) | instskip(NEXT) | instid1(VALU_DEP_1)
	v_add_nc_u32_e32 v10, v9, v47
	v_add_nc_u32_e32 v11, v10, v48
	s_delay_alu instid0(VALU_DEP_1) | instskip(NEXT) | instid1(VALU_DEP_1)
	v_add_nc_u32_e32 v12, v11, v49
	v_add_nc_u32_e32 v13, v12, v36
	s_branch .LBB1299_71
.LBB1299_61:
                                        ; implicit-def: $vgpr17
                                        ; implicit-def: $vgpr1_vgpr2_vgpr3_vgpr4_vgpr5_vgpr6_vgpr7_vgpr8_vgpr9_vgpr10_vgpr11_vgpr12_vgpr13_vgpr14_vgpr15_vgpr16
	s_and_b32 vcc_lo, exec_lo, s6
	s_cbranch_vccz .LBB1299_71
; %bb.62:
	s_delay_alu instid0(VALU_DEP_1) | instskip(NEXT) | instid1(VALU_DEP_1)
	v_mov_b32_dpp v1, v52 row_shr:1 row_mask:0xf bank_mask:0xf
	v_cndmask_b32_e64 v1, v1, 0, s5
	s_delay_alu instid0(VALU_DEP_1) | instskip(NEXT) | instid1(VALU_DEP_1)
	v_add_nc_u32_e32 v1, v1, v52
	v_mov_b32_dpp v2, v1 row_shr:2 row_mask:0xf bank_mask:0xf
	s_delay_alu instid0(VALU_DEP_1) | instskip(NEXT) | instid1(VALU_DEP_1)
	v_cndmask_b32_e64 v2, 0, v2, s4
	v_add_nc_u32_e32 v1, v1, v2
	s_delay_alu instid0(VALU_DEP_1) | instskip(NEXT) | instid1(VALU_DEP_1)
	v_mov_b32_dpp v2, v1 row_shr:4 row_mask:0xf bank_mask:0xf
	v_cndmask_b32_e64 v2, 0, v2, s3
	s_delay_alu instid0(VALU_DEP_1) | instskip(NEXT) | instid1(VALU_DEP_1)
	v_add_nc_u32_e32 v1, v1, v2
	v_mov_b32_dpp v2, v1 row_shr:8 row_mask:0xf bank_mask:0xf
	s_delay_alu instid0(VALU_DEP_1) | instskip(NEXT) | instid1(VALU_DEP_1)
	v_cndmask_b32_e64 v2, 0, v2, s2
	v_add_nc_u32_e32 v1, v1, v2
	ds_swizzle_b32 v2, v1 offset:swizzle(BROADCAST,32,15)
	s_waitcnt lgkmcnt(0)
	v_cndmask_b32_e64 v2, v2, 0, s1
	s_delay_alu instid0(VALU_DEP_1)
	v_add_nc_u32_e32 v1, v1, v2
	s_and_saveexec_b32 s1, s0
	s_cbranch_execz .LBB1299_64
; %bb.63:
	v_lshlrev_b32_e32 v2, 2, v51
	ds_store_b32 v2, v1
.LBB1299_64:
	s_or_b32 exec_lo, exec_lo, s1
	s_delay_alu instid0(SALU_CYCLE_1)
	s_mov_b32 s0, exec_lo
	s_waitcnt lgkmcnt(0)
	s_barrier
	buffer_gl0_inv
	v_cmpx_gt_u32_e32 8, v0
	s_cbranch_execz .LBB1299_66
; %bb.65:
	ds_load_b32 v2, v30
	s_waitcnt lgkmcnt(0)
	v_mov_b32_dpp v4, v2 row_shr:1 row_mask:0xf bank_mask:0xf
	v_and_b32_e32 v3, 7, v50
	s_delay_alu instid0(VALU_DEP_1) | instskip(NEXT) | instid1(VALU_DEP_3)
	v_cmp_ne_u32_e32 vcc_lo, 0, v3
	v_cndmask_b32_e32 v4, 0, v4, vcc_lo
	v_cmp_lt_u32_e32 vcc_lo, 1, v3
	s_delay_alu instid0(VALU_DEP_2) | instskip(NEXT) | instid1(VALU_DEP_1)
	v_add_nc_u32_e32 v2, v4, v2
	v_mov_b32_dpp v4, v2 row_shr:2 row_mask:0xf bank_mask:0xf
	s_delay_alu instid0(VALU_DEP_1) | instskip(SKIP_1) | instid1(VALU_DEP_2)
	v_cndmask_b32_e32 v4, 0, v4, vcc_lo
	v_cmp_lt_u32_e32 vcc_lo, 3, v3
	v_add_nc_u32_e32 v2, v2, v4
	s_delay_alu instid0(VALU_DEP_1) | instskip(NEXT) | instid1(VALU_DEP_1)
	v_mov_b32_dpp v4, v2 row_shr:4 row_mask:0xf bank_mask:0xf
	v_cndmask_b32_e32 v3, 0, v4, vcc_lo
	s_delay_alu instid0(VALU_DEP_1)
	v_add_nc_u32_e32 v2, v2, v3
	ds_store_b32 v30, v2
.LBB1299_66:
	s_or_b32 exec_lo, exec_lo, s0
	v_dual_mov_b32 v3, 0 :: v_dual_mov_b32 v2, 0
	s_mov_b32 s0, exec_lo
	s_waitcnt lgkmcnt(0)
	s_barrier
	buffer_gl0_inv
	v_cmpx_lt_u32_e32 31, v0
	s_cbranch_execz .LBB1299_68
; %bb.67:
	v_lshl_add_u32 v2, v51, 2, -4
	ds_load_b32 v2, v2
.LBB1299_68:
	s_or_b32 exec_lo, exec_lo, s0
	v_add_nc_u32_e32 v4, -1, v50
	ds_load_b32 v16, v3 offset:28
	s_waitcnt lgkmcnt(1)
	v_add_nc_u32_e32 v1, v2, v1
	v_cmp_gt_i32_e32 vcc_lo, 0, v4
	v_cndmask_b32_e32 v4, v4, v50, vcc_lo
	v_cmp_eq_u32_e32 vcc_lo, 0, v0
	s_delay_alu instid0(VALU_DEP_2)
	v_lshlrev_b32_e32 v4, 2, v4
	ds_bpermute_b32 v1, v4, v1
	s_and_saveexec_b32 s0, vcc_lo
	s_cbranch_execz .LBB1299_70
; %bb.69:
	v_mov_b32_e32 v3, 0
	v_mov_b32_e32 v17, 2
	s_waitcnt lgkmcnt(1)
	global_store_b64 v3, v[16:17], s[20:21] offset:256
.LBB1299_70:
	s_or_b32 exec_lo, exec_lo, s0
	v_cmp_eq_u32_e64 s0, 0, v50
	s_waitcnt lgkmcnt(0)
	s_waitcnt_vscnt null, 0x0
	s_barrier
	buffer_gl0_inv
	v_mov_b32_e32 v17, 0
	v_cndmask_b32_e64 v1, v1, v2, s0
	s_delay_alu instid0(VALU_DEP_1) | instskip(NEXT) | instid1(VALU_DEP_1)
	v_cndmask_b32_e64 v1, v1, 0, vcc_lo
	v_add_nc_u32_e32 v2, v1, v41
	s_delay_alu instid0(VALU_DEP_1) | instskip(NEXT) | instid1(VALU_DEP_1)
	v_add_nc_u32_e32 v3, v2, v42
	v_add_nc_u32_e32 v4, v3, v43
	s_delay_alu instid0(VALU_DEP_1) | instskip(NEXT) | instid1(VALU_DEP_1)
	v_add_nc_u32_e32 v5, v4, v40
	;; [unrolled: 3-line block ×5, first 2 shown]
	v_add_nc_u32_e32 v12, v11, v49
	s_delay_alu instid0(VALU_DEP_1)
	v_add_nc_u32_e32 v13, v12, v36
.LBB1299_71:
	v_lshrrev_b32_e32 v44, 8, v39
	v_lshrrev_b32_e32 v43, 16, v39
	s_waitcnt lgkmcnt(0)
	v_sub_nc_u32_e32 v1, v1, v17
	v_and_b32_e32 v39, 1, v39
	v_sub_nc_u32_e32 v3, v3, v17
	v_add_nc_u32_e32 v33, v16, v33
	v_sub_nc_u32_e32 v2, v2, v17
	v_sub_nc_u32_e32 v4, v4, v17
	v_cmp_eq_u32_e32 vcc_lo, 1, v39
	v_and_b32_e32 v39, 1, v43
	v_sub_nc_u32_e32 v45, v33, v1
	v_and_b32_e32 v44, 1, v44
	v_sub_nc_u32_e32 v43, v33, v2
	v_lshrrev_b32_e32 v42, 8, v37
	v_lshrrev_b32_e32 v41, 16, v37
	v_cndmask_b32_e32 v1, v45, v1, vcc_lo
	v_sub_nc_u32_e32 v45, v33, v3
	v_add_nc_u32_e32 v43, 1, v43
	v_cmp_eq_u32_e32 vcc_lo, 1, v44
	v_and_b32_e32 v40, 1, v40
	v_lshlrev_b32_e32 v1, 2, v1
	v_add_nc_u32_e32 v45, 2, v45
	v_lshrrev_b32_e32 v15, 8, v35
	v_lshrrev_b32_e32 v14, 16, v35
	ds_store_b32 v1, v28
	v_cndmask_b32_e32 v1, v43, v2, vcc_lo
	v_cmp_eq_u32_e32 vcc_lo, 1, v39
	v_or_b32_e32 v28, 0x500, v0
	s_delay_alu instid0(VALU_DEP_3)
	v_dual_cndmask_b32 v2, v45, v3 :: v_dual_lshlrev_b32 v1, 2, v1
	v_sub_nc_u32_e32 v46, v33, v4
	v_cmp_eq_u32_e32 vcc_lo, 1, v40
	ds_store_b32 v1, v29
	v_lshlrev_b32_e32 v2, 2, v2
	v_add_nc_u32_e32 v46, 3, v46
	v_or_b32_e32 v29, 0x400, v0
	s_delay_alu instid0(VALU_DEP_2) | instskip(SKIP_2) | instid1(VALU_DEP_3)
	v_cndmask_b32_e32 v3, v46, v4, vcc_lo
	v_sub_nc_u32_e32 v4, v5, v17
	v_sub_nc_u32_e32 v5, v6, v17
	v_lshlrev_b32_e32 v3, 2, v3
	s_delay_alu instid0(VALU_DEP_3) | instskip(NEXT) | instid1(VALU_DEP_3)
	v_sub_nc_u32_e32 v1, v33, v4
	v_sub_nc_u32_e32 v6, v33, v5
	ds_store_b32 v2, v26
	ds_store_b32 v3, v27
	v_and_b32_e32 v2, 1, v37
	v_add_nc_u32_e32 v1, 4, v1
	v_add_nc_u32_e32 v3, 5, v6
	v_sub_nc_u32_e32 v6, v7, v17
	v_and_b32_e32 v7, 1, v42
	v_cmp_eq_u32_e32 vcc_lo, 1, v2
	v_sub_nc_u32_e32 v2, v8, v17
	v_and_b32_e32 v8, 1, v38
	v_or_b32_e32 v27, 0x600, v0
	v_or_b32_e32 v26, 0x700, v0
	v_cndmask_b32_e32 v1, v1, v4, vcc_lo
	v_sub_nc_u32_e32 v4, v33, v6
	v_cmp_eq_u32_e32 vcc_lo, 1, v7
	v_and_b32_e32 v7, 1, v41
	s_delay_alu instid0(VALU_DEP_4) | instskip(NEXT) | instid1(VALU_DEP_4)
	v_lshlrev_b32_e32 v1, 2, v1
	v_dual_cndmask_b32 v3, v3, v5 :: v_dual_add_nc_u32 v4, 6, v4
	v_sub_nc_u32_e32 v5, v33, v2
	s_delay_alu instid0(VALU_DEP_4) | instskip(SKIP_1) | instid1(VALU_DEP_4)
	v_cmp_eq_u32_e32 vcc_lo, 1, v7
	v_sub_nc_u32_e32 v7, v13, v17
	v_lshlrev_b32_e32 v3, 2, v3
	s_delay_alu instid0(VALU_DEP_4)
	v_dual_cndmask_b32 v4, v4, v6 :: v_dual_add_nc_u32 v5, 7, v5
	v_cmp_eq_u32_e32 vcc_lo, 1, v8
	v_sub_nc_u32_e32 v6, v9, v17
	ds_store_b32 v1, v24
	ds_store_b32 v3, v25
	v_or_b32_e32 v25, 0x800, v0
	v_dual_cndmask_b32 v2, v5, v2 :: v_dual_lshlrev_b32 v3, 2, v4
	v_and_b32_e32 v5, 1, v35
	v_sub_nc_u32_e32 v1, v33, v6
	v_sub_nc_u32_e32 v4, v10, v17
	v_and_b32_e32 v10, 1, v36
	v_or_b32_e32 v24, 0x900, v0
	v_cmp_eq_u32_e32 vcc_lo, 1, v5
	v_sub_nc_u32_e32 v5, v12, v17
	v_add_nc_u32_e32 v1, 8, v1
	s_delay_alu instid0(VALU_DEP_2) | instskip(NEXT) | instid1(VALU_DEP_2)
	v_sub_nc_u32_e32 v9, v33, v5
	v_dual_cndmask_b32 v1, v1, v6 :: v_dual_and_b32 v6, 1, v15
	v_add_co_u32 v15, s0, s18, v17
	s_delay_alu instid0(VALU_DEP_3)
	v_add_nc_u32_e32 v9, 11, v9
	v_lshlrev_b32_e32 v2, 2, v2
	ds_store_b32 v3, v22
	ds_store_b32 v2, v23
	v_sub_nc_u32_e32 v3, v11, v17
	v_sub_nc_u32_e32 v2, v33, v4
	v_cmp_eq_u32_e32 vcc_lo, 1, v6
	v_and_b32_e32 v11, 1, v34
	v_lshlrev_b32_e32 v1, 2, v1
	v_sub_nc_u32_e32 v8, v33, v3
	v_add_nc_u32_e32 v2, 9, v2
	v_add_co_ci_u32_e64 v17, null, s19, 0, s0
	s_add_u32 s0, s16, s23
	s_delay_alu instid0(VALU_DEP_3)
	v_add_nc_u32_e32 v6, 10, v8
	v_and_b32_e32 v8, 1, v14
	v_cndmask_b32_e32 v2, v2, v4, vcc_lo
	v_sub_nc_u32_e32 v4, v33, v7
	s_addc_u32 s1, s17, 0
	s_sub_u32 s0, s12, s0
	v_cmp_eq_u32_e32 vcc_lo, 1, v8
	v_lshlrev_b32_e32 v2, 2, v2
	v_add_nc_u32_e32 v4, 12, v4
	s_subb_u32 s1, s13, s1
	v_add_co_u32 v13, s0, s0, v16
	v_cndmask_b32_e32 v3, v6, v3, vcc_lo
	v_cmp_eq_u32_e32 vcc_lo, 1, v10
	v_add_co_ci_u32_e64 v14, null, s1, 0, s0
	v_or_b32_e32 v34, 0x100, v0
	s_delay_alu instid0(VALU_DEP_4)
	v_lshlrev_b32_e32 v3, 2, v3
	v_cndmask_b32_e32 v5, v9, v5, vcc_lo
	v_cmp_eq_u32_e32 vcc_lo, 1, v11
	v_or_b32_e32 v33, 0x200, v0
	v_or_b32_e32 v23, 0xa00, v0
	;; [unrolled: 1-line block ×3, first 2 shown]
	v_dual_cndmask_b32 v4, v4, v7 :: v_dual_lshlrev_b32 v5, 2, v5
	v_cmp_ne_u32_e32 vcc_lo, 1, v31
	s_delay_alu instid0(VALU_DEP_2)
	v_lshlrev_b32_e32 v4, 2, v4
	ds_store_b32 v1, v20
	ds_store_b32 v2, v21
	;; [unrolled: 1-line block ×5, first 2 shown]
	s_waitcnt lgkmcnt(0)
	s_barrier
	buffer_gl0_inv
	ds_load_2addr_stride64_b32 v[11:12], v30 offset1:4
	ds_load_2addr_stride64_b32 v[9:10], v30 offset0:8 offset1:12
	ds_load_2addr_stride64_b32 v[7:8], v30 offset0:16 offset1:20
	;; [unrolled: 1-line block ×5, first 2 shown]
	ds_load_b32 v18, v30 offset:12288
	v_add_co_u32 v20, s0, v13, v15
	v_or_b32_e32 v32, 0x300, v0
	v_or_b32_e32 v19, 0xc00, v0
	v_add_co_ci_u32_e64 v21, s0, v14, v17, s0
	s_mov_b32 s0, 0
	s_cbranch_vccnz .LBB1299_125
; %bb.72:
	s_mov_b32 s0, exec_lo
                                        ; implicit-def: $vgpr13_vgpr14
	v_cmpx_ge_u32_e64 v0, v16
	s_xor_b32 s0, exec_lo, s0
; %bb.73:
	v_not_b32_e32 v13, v0
	s_delay_alu instid0(VALU_DEP_1) | instskip(SKIP_1) | instid1(VALU_DEP_2)
	v_ashrrev_i32_e32 v14, 31, v13
	v_add_co_u32 v13, vcc_lo, v20, v13
	v_add_co_ci_u32_e32 v14, vcc_lo, v21, v14, vcc_lo
; %bb.74:
	s_and_not1_saveexec_b32 s0, s0
; %bb.75:
	v_add_co_u32 v13, vcc_lo, v15, v0
	v_add_co_ci_u32_e32 v14, vcc_lo, 0, v17, vcc_lo
; %bb.76:
	s_or_b32 exec_lo, exec_lo, s0
	s_delay_alu instid0(VALU_DEP_1) | instskip(SKIP_1) | instid1(VALU_DEP_1)
	v_lshlrev_b64 v[13:14], 2, v[13:14]
	s_mov_b32 s0, exec_lo
	v_add_co_u32 v13, vcc_lo, s10, v13
	s_delay_alu instid0(VALU_DEP_2)
	v_add_co_ci_u32_e32 v14, vcc_lo, s11, v14, vcc_lo
	s_waitcnt lgkmcnt(6)
	global_store_b32 v[13:14], v11, off
                                        ; implicit-def: $vgpr13_vgpr14
	v_cmpx_ge_u32_e64 v34, v16
	s_xor_b32 s0, exec_lo, s0
; %bb.77:
	v_xor_b32_e32 v13, 0xfffffeff, v0
	s_delay_alu instid0(VALU_DEP_1) | instskip(SKIP_1) | instid1(VALU_DEP_2)
	v_ashrrev_i32_e32 v14, 31, v13
	v_add_co_u32 v13, vcc_lo, v20, v13
	v_add_co_ci_u32_e32 v14, vcc_lo, v21, v14, vcc_lo
; %bb.78:
	s_and_not1_saveexec_b32 s0, s0
; %bb.79:
	v_add_co_u32 v13, vcc_lo, v15, v34
	v_add_co_ci_u32_e32 v14, vcc_lo, 0, v17, vcc_lo
; %bb.80:
	s_or_b32 exec_lo, exec_lo, s0
	s_delay_alu instid0(VALU_DEP_1) | instskip(SKIP_1) | instid1(VALU_DEP_1)
	v_lshlrev_b64 v[13:14], 2, v[13:14]
	s_mov_b32 s0, exec_lo
	v_add_co_u32 v13, vcc_lo, s10, v13
	s_delay_alu instid0(VALU_DEP_2)
	v_add_co_ci_u32_e32 v14, vcc_lo, s11, v14, vcc_lo
	global_store_b32 v[13:14], v12, off
                                        ; implicit-def: $vgpr13_vgpr14
	v_cmpx_ge_u32_e64 v33, v16
	s_xor_b32 s0, exec_lo, s0
; %bb.81:
	v_xor_b32_e32 v13, 0xfffffdff, v0
	s_delay_alu instid0(VALU_DEP_1) | instskip(SKIP_1) | instid1(VALU_DEP_2)
	v_ashrrev_i32_e32 v14, 31, v13
	v_add_co_u32 v13, vcc_lo, v20, v13
	v_add_co_ci_u32_e32 v14, vcc_lo, v21, v14, vcc_lo
; %bb.82:
	s_and_not1_saveexec_b32 s0, s0
; %bb.83:
	v_add_co_u32 v13, vcc_lo, v15, v33
	v_add_co_ci_u32_e32 v14, vcc_lo, 0, v17, vcc_lo
; %bb.84:
	s_or_b32 exec_lo, exec_lo, s0
	s_delay_alu instid0(VALU_DEP_1) | instskip(SKIP_1) | instid1(VALU_DEP_1)
	v_lshlrev_b64 v[13:14], 2, v[13:14]
	s_mov_b32 s0, exec_lo
	v_add_co_u32 v13, vcc_lo, s10, v13
	s_delay_alu instid0(VALU_DEP_2)
	v_add_co_ci_u32_e32 v14, vcc_lo, s11, v14, vcc_lo
	s_waitcnt lgkmcnt(5)
	global_store_b32 v[13:14], v9, off
                                        ; implicit-def: $vgpr13_vgpr14
	v_cmpx_ge_u32_e64 v32, v16
	s_xor_b32 s0, exec_lo, s0
; %bb.85:
	v_xor_b32_e32 v13, 0xfffffcff, v0
	s_delay_alu instid0(VALU_DEP_1) | instskip(SKIP_1) | instid1(VALU_DEP_2)
	v_ashrrev_i32_e32 v14, 31, v13
	v_add_co_u32 v13, vcc_lo, v20, v13
	v_add_co_ci_u32_e32 v14, vcc_lo, v21, v14, vcc_lo
; %bb.86:
	s_and_not1_saveexec_b32 s0, s0
; %bb.87:
	v_add_co_u32 v13, vcc_lo, v15, v32
	v_add_co_ci_u32_e32 v14, vcc_lo, 0, v17, vcc_lo
; %bb.88:
	s_or_b32 exec_lo, exec_lo, s0
	s_delay_alu instid0(VALU_DEP_1) | instskip(SKIP_1) | instid1(VALU_DEP_1)
	v_lshlrev_b64 v[13:14], 2, v[13:14]
	s_mov_b32 s0, exec_lo
	v_add_co_u32 v13, vcc_lo, s10, v13
	s_delay_alu instid0(VALU_DEP_2)
	v_add_co_ci_u32_e32 v14, vcc_lo, s11, v14, vcc_lo
	global_store_b32 v[13:14], v10, off
                                        ; implicit-def: $vgpr13_vgpr14
	v_cmpx_ge_u32_e64 v29, v16
	s_xor_b32 s0, exec_lo, s0
; %bb.89:
	v_xor_b32_e32 v13, 0xfffffbff, v0
	;; [unrolled: 47-line block ×6, first 2 shown]
	s_delay_alu instid0(VALU_DEP_1) | instskip(SKIP_1) | instid1(VALU_DEP_2)
	v_ashrrev_i32_e32 v14, 31, v13
	v_add_co_u32 v13, vcc_lo, v20, v13
	v_add_co_ci_u32_e32 v14, vcc_lo, v21, v14, vcc_lo
; %bb.122:
	s_and_not1_saveexec_b32 s0, s0
; %bb.123:
	v_add_co_u32 v13, vcc_lo, v15, v19
	v_add_co_ci_u32_e32 v14, vcc_lo, 0, v17, vcc_lo
; %bb.124:
	s_or_b32 exec_lo, exec_lo, s0
	s_mov_b32 s0, -1
	s_branch .LBB1299_205
.LBB1299_125:
                                        ; implicit-def: $vgpr13_vgpr14
	s_cbranch_execz .LBB1299_205
; %bb.126:
	s_mov_b32 s1, exec_lo
	v_cmpx_gt_u32_e64 s22, v0
	s_cbranch_execz .LBB1299_162
; %bb.127:
	s_mov_b32 s2, exec_lo
                                        ; implicit-def: $vgpr13_vgpr14
	v_cmpx_ge_u32_e64 v0, v16
	s_xor_b32 s2, exec_lo, s2
; %bb.128:
	v_not_b32_e32 v13, v0
	s_delay_alu instid0(VALU_DEP_1) | instskip(SKIP_1) | instid1(VALU_DEP_2)
	v_ashrrev_i32_e32 v14, 31, v13
	v_add_co_u32 v13, vcc_lo, v20, v13
	v_add_co_ci_u32_e32 v14, vcc_lo, v21, v14, vcc_lo
; %bb.129:
	s_and_not1_saveexec_b32 s2, s2
; %bb.130:
	v_add_co_u32 v13, vcc_lo, v15, v0
	v_add_co_ci_u32_e32 v14, vcc_lo, 0, v17, vcc_lo
; %bb.131:
	s_or_b32 exec_lo, exec_lo, s2
	s_delay_alu instid0(VALU_DEP_1) | instskip(NEXT) | instid1(VALU_DEP_1)
	v_lshlrev_b64 v[13:14], 2, v[13:14]
	v_add_co_u32 v13, vcc_lo, s10, v13
	s_delay_alu instid0(VALU_DEP_2) | instskip(SKIP_3) | instid1(SALU_CYCLE_1)
	v_add_co_ci_u32_e32 v14, vcc_lo, s11, v14, vcc_lo
	s_waitcnt lgkmcnt(6)
	global_store_b32 v[13:14], v11, off
	s_or_b32 exec_lo, exec_lo, s1
	s_mov_b32 s1, exec_lo
	v_cmpx_gt_u32_e64 s22, v34
	s_cbranch_execnz .LBB1299_163
.LBB1299_132:
	s_or_b32 exec_lo, exec_lo, s1
	s_delay_alu instid0(SALU_CYCLE_1)
	s_mov_b32 s1, exec_lo
	v_cmpx_gt_u32_e64 s22, v33
	s_cbranch_execz .LBB1299_168
.LBB1299_133:
	s_mov_b32 s2, exec_lo
                                        ; implicit-def: $vgpr11_vgpr12
	v_cmpx_ge_u32_e64 v33, v16
	s_xor_b32 s2, exec_lo, s2
	s_cbranch_execz .LBB1299_135
; %bb.134:
	s_waitcnt lgkmcnt(6)
	v_xor_b32_e32 v11, 0xfffffdff, v0
                                        ; implicit-def: $vgpr33
	s_delay_alu instid0(VALU_DEP_1) | instskip(SKIP_1) | instid1(VALU_DEP_2)
	v_ashrrev_i32_e32 v12, 31, v11
	v_add_co_u32 v11, vcc_lo, v20, v11
	v_add_co_ci_u32_e32 v12, vcc_lo, v21, v12, vcc_lo
.LBB1299_135:
	s_and_not1_saveexec_b32 s2, s2
	s_cbranch_execz .LBB1299_137
; %bb.136:
	s_waitcnt lgkmcnt(6)
	v_add_co_u32 v11, vcc_lo, v15, v33
	v_add_co_ci_u32_e32 v12, vcc_lo, 0, v17, vcc_lo
.LBB1299_137:
	s_or_b32 exec_lo, exec_lo, s2
	s_waitcnt lgkmcnt(6)
	s_delay_alu instid0(VALU_DEP_1) | instskip(NEXT) | instid1(VALU_DEP_1)
	v_lshlrev_b64 v[11:12], 2, v[11:12]
	v_add_co_u32 v11, vcc_lo, s10, v11
	s_delay_alu instid0(VALU_DEP_2) | instskip(SKIP_3) | instid1(SALU_CYCLE_1)
	v_add_co_ci_u32_e32 v12, vcc_lo, s11, v12, vcc_lo
	s_waitcnt lgkmcnt(5)
	global_store_b32 v[11:12], v9, off
	s_or_b32 exec_lo, exec_lo, s1
	s_mov_b32 s1, exec_lo
	v_cmpx_gt_u32_e64 s22, v32
	s_cbranch_execnz .LBB1299_169
.LBB1299_138:
	s_or_b32 exec_lo, exec_lo, s1
	s_delay_alu instid0(SALU_CYCLE_1)
	s_mov_b32 s1, exec_lo
	v_cmpx_gt_u32_e64 s22, v29
	s_cbranch_execz .LBB1299_174
.LBB1299_139:
	s_mov_b32 s2, exec_lo
                                        ; implicit-def: $vgpr9_vgpr10
	v_cmpx_ge_u32_e64 v29, v16
	s_xor_b32 s2, exec_lo, s2
	s_cbranch_execz .LBB1299_141
; %bb.140:
	s_waitcnt lgkmcnt(5)
	v_xor_b32_e32 v9, 0xfffffbff, v0
                                        ; implicit-def: $vgpr29
	s_delay_alu instid0(VALU_DEP_1) | instskip(SKIP_1) | instid1(VALU_DEP_2)
	v_ashrrev_i32_e32 v10, 31, v9
	v_add_co_u32 v9, vcc_lo, v20, v9
	v_add_co_ci_u32_e32 v10, vcc_lo, v21, v10, vcc_lo
.LBB1299_141:
	s_and_not1_saveexec_b32 s2, s2
	s_cbranch_execz .LBB1299_143
; %bb.142:
	s_waitcnt lgkmcnt(5)
	v_add_co_u32 v9, vcc_lo, v15, v29
	v_add_co_ci_u32_e32 v10, vcc_lo, 0, v17, vcc_lo
.LBB1299_143:
	s_or_b32 exec_lo, exec_lo, s2
	s_waitcnt lgkmcnt(5)
	s_delay_alu instid0(VALU_DEP_1) | instskip(NEXT) | instid1(VALU_DEP_1)
	v_lshlrev_b64 v[9:10], 2, v[9:10]
	v_add_co_u32 v9, vcc_lo, s10, v9
	s_delay_alu instid0(VALU_DEP_2) | instskip(SKIP_3) | instid1(SALU_CYCLE_1)
	v_add_co_ci_u32_e32 v10, vcc_lo, s11, v10, vcc_lo
	s_waitcnt lgkmcnt(4)
	global_store_b32 v[9:10], v7, off
	s_or_b32 exec_lo, exec_lo, s1
	s_mov_b32 s1, exec_lo
	v_cmpx_gt_u32_e64 s22, v28
	s_cbranch_execnz .LBB1299_175
.LBB1299_144:
	s_or_b32 exec_lo, exec_lo, s1
	s_delay_alu instid0(SALU_CYCLE_1)
	s_mov_b32 s1, exec_lo
	v_cmpx_gt_u32_e64 s22, v27
	s_cbranch_execz .LBB1299_180
.LBB1299_145:
	s_mov_b32 s2, exec_lo
                                        ; implicit-def: $vgpr7_vgpr8
	v_cmpx_ge_u32_e64 v27, v16
	s_xor_b32 s2, exec_lo, s2
	s_cbranch_execz .LBB1299_147
; %bb.146:
	s_waitcnt lgkmcnt(4)
	v_xor_b32_e32 v7, 0xfffff9ff, v0
                                        ; implicit-def: $vgpr27
	s_delay_alu instid0(VALU_DEP_1) | instskip(SKIP_1) | instid1(VALU_DEP_2)
	v_ashrrev_i32_e32 v8, 31, v7
	v_add_co_u32 v7, vcc_lo, v20, v7
	v_add_co_ci_u32_e32 v8, vcc_lo, v21, v8, vcc_lo
.LBB1299_147:
	s_and_not1_saveexec_b32 s2, s2
	s_cbranch_execz .LBB1299_149
; %bb.148:
	s_waitcnt lgkmcnt(4)
	v_add_co_u32 v7, vcc_lo, v15, v27
	v_add_co_ci_u32_e32 v8, vcc_lo, 0, v17, vcc_lo
.LBB1299_149:
	s_or_b32 exec_lo, exec_lo, s2
	s_waitcnt lgkmcnt(4)
	s_delay_alu instid0(VALU_DEP_1) | instskip(NEXT) | instid1(VALU_DEP_1)
	v_lshlrev_b64 v[7:8], 2, v[7:8]
	v_add_co_u32 v7, vcc_lo, s10, v7
	s_delay_alu instid0(VALU_DEP_2) | instskip(SKIP_3) | instid1(SALU_CYCLE_1)
	v_add_co_ci_u32_e32 v8, vcc_lo, s11, v8, vcc_lo
	s_waitcnt lgkmcnt(3)
	global_store_b32 v[7:8], v5, off
	s_or_b32 exec_lo, exec_lo, s1
	s_mov_b32 s1, exec_lo
	v_cmpx_gt_u32_e64 s22, v26
	s_cbranch_execnz .LBB1299_181
.LBB1299_150:
	s_or_b32 exec_lo, exec_lo, s1
	s_delay_alu instid0(SALU_CYCLE_1)
	s_mov_b32 s1, exec_lo
	v_cmpx_gt_u32_e64 s22, v25
	s_cbranch_execz .LBB1299_186
.LBB1299_151:
	s_mov_b32 s2, exec_lo
                                        ; implicit-def: $vgpr5_vgpr6
	v_cmpx_ge_u32_e64 v25, v16
	s_xor_b32 s2, exec_lo, s2
	s_cbranch_execz .LBB1299_153
; %bb.152:
	s_waitcnt lgkmcnt(3)
	v_xor_b32_e32 v5, 0xfffff7ff, v0
                                        ; implicit-def: $vgpr25
	s_delay_alu instid0(VALU_DEP_1) | instskip(SKIP_1) | instid1(VALU_DEP_2)
	v_ashrrev_i32_e32 v6, 31, v5
	v_add_co_u32 v5, vcc_lo, v20, v5
	v_add_co_ci_u32_e32 v6, vcc_lo, v21, v6, vcc_lo
.LBB1299_153:
	s_and_not1_saveexec_b32 s2, s2
	s_cbranch_execz .LBB1299_155
; %bb.154:
	s_waitcnt lgkmcnt(3)
	v_add_co_u32 v5, vcc_lo, v15, v25
	v_add_co_ci_u32_e32 v6, vcc_lo, 0, v17, vcc_lo
.LBB1299_155:
	s_or_b32 exec_lo, exec_lo, s2
	s_waitcnt lgkmcnt(3)
	s_delay_alu instid0(VALU_DEP_1) | instskip(NEXT) | instid1(VALU_DEP_1)
	v_lshlrev_b64 v[5:6], 2, v[5:6]
	v_add_co_u32 v5, vcc_lo, s10, v5
	s_delay_alu instid0(VALU_DEP_2) | instskip(SKIP_3) | instid1(SALU_CYCLE_1)
	v_add_co_ci_u32_e32 v6, vcc_lo, s11, v6, vcc_lo
	s_waitcnt lgkmcnt(2)
	global_store_b32 v[5:6], v3, off
	s_or_b32 exec_lo, exec_lo, s1
	s_mov_b32 s1, exec_lo
	v_cmpx_gt_u32_e64 s22, v24
	s_cbranch_execnz .LBB1299_187
.LBB1299_156:
	s_or_b32 exec_lo, exec_lo, s1
	s_delay_alu instid0(SALU_CYCLE_1)
	s_mov_b32 s1, exec_lo
	v_cmpx_gt_u32_e64 s22, v23
	s_cbranch_execz .LBB1299_192
.LBB1299_157:
	s_mov_b32 s2, exec_lo
                                        ; implicit-def: $vgpr3_vgpr4
	v_cmpx_ge_u32_e64 v23, v16
	s_xor_b32 s2, exec_lo, s2
	s_cbranch_execz .LBB1299_159
; %bb.158:
	s_waitcnt lgkmcnt(2)
	v_xor_b32_e32 v3, 0xfffff5ff, v0
                                        ; implicit-def: $vgpr23
	s_delay_alu instid0(VALU_DEP_1) | instskip(SKIP_1) | instid1(VALU_DEP_2)
	v_ashrrev_i32_e32 v4, 31, v3
	v_add_co_u32 v3, vcc_lo, v20, v3
	v_add_co_ci_u32_e32 v4, vcc_lo, v21, v4, vcc_lo
.LBB1299_159:
	s_and_not1_saveexec_b32 s2, s2
	s_cbranch_execz .LBB1299_161
; %bb.160:
	s_waitcnt lgkmcnt(2)
	v_add_co_u32 v3, vcc_lo, v15, v23
	v_add_co_ci_u32_e32 v4, vcc_lo, 0, v17, vcc_lo
.LBB1299_161:
	s_or_b32 exec_lo, exec_lo, s2
	s_waitcnt lgkmcnt(2)
	s_delay_alu instid0(VALU_DEP_1) | instskip(NEXT) | instid1(VALU_DEP_1)
	v_lshlrev_b64 v[3:4], 2, v[3:4]
	v_add_co_u32 v3, vcc_lo, s10, v3
	s_delay_alu instid0(VALU_DEP_2) | instskip(SKIP_3) | instid1(SALU_CYCLE_1)
	v_add_co_ci_u32_e32 v4, vcc_lo, s11, v4, vcc_lo
	s_waitcnt lgkmcnt(1)
	global_store_b32 v[3:4], v1, off
	s_or_b32 exec_lo, exec_lo, s1
	s_mov_b32 s1, exec_lo
	v_cmpx_gt_u32_e64 s22, v22
	s_cbranch_execz .LBB1299_198
	s_branch .LBB1299_193
.LBB1299_162:
	s_or_b32 exec_lo, exec_lo, s1
	s_delay_alu instid0(SALU_CYCLE_1)
	s_mov_b32 s1, exec_lo
	v_cmpx_gt_u32_e64 s22, v34
	s_cbranch_execz .LBB1299_132
.LBB1299_163:
	s_mov_b32 s2, exec_lo
                                        ; implicit-def: $vgpr13_vgpr14
	v_cmpx_ge_u32_e64 v34, v16
	s_xor_b32 s2, exec_lo, s2
	s_cbranch_execz .LBB1299_165
; %bb.164:
	s_waitcnt lgkmcnt(6)
	v_xor_b32_e32 v11, 0xfffffeff, v0
                                        ; implicit-def: $vgpr34
	s_delay_alu instid0(VALU_DEP_1) | instskip(SKIP_1) | instid1(VALU_DEP_2)
	v_ashrrev_i32_e32 v14, 31, v11
	v_add_co_u32 v13, vcc_lo, v20, v11
	v_add_co_ci_u32_e32 v14, vcc_lo, v21, v14, vcc_lo
.LBB1299_165:
	s_and_not1_saveexec_b32 s2, s2
; %bb.166:
	v_add_co_u32 v13, vcc_lo, v15, v34
	v_add_co_ci_u32_e32 v14, vcc_lo, 0, v17, vcc_lo
; %bb.167:
	s_or_b32 exec_lo, exec_lo, s2
	s_delay_alu instid0(VALU_DEP_1) | instskip(NEXT) | instid1(VALU_DEP_1)
	v_lshlrev_b64 v[13:14], 2, v[13:14]
	v_add_co_u32 v13, vcc_lo, s10, v13
	s_delay_alu instid0(VALU_DEP_2) | instskip(SKIP_3) | instid1(SALU_CYCLE_1)
	v_add_co_ci_u32_e32 v14, vcc_lo, s11, v14, vcc_lo
	s_waitcnt lgkmcnt(6)
	global_store_b32 v[13:14], v12, off
	s_or_b32 exec_lo, exec_lo, s1
	s_mov_b32 s1, exec_lo
	v_cmpx_gt_u32_e64 s22, v33
	s_cbranch_execnz .LBB1299_133
.LBB1299_168:
	s_or_b32 exec_lo, exec_lo, s1
	s_delay_alu instid0(SALU_CYCLE_1)
	s_mov_b32 s1, exec_lo
	v_cmpx_gt_u32_e64 s22, v32
	s_cbranch_execz .LBB1299_138
.LBB1299_169:
	s_mov_b32 s2, exec_lo
                                        ; implicit-def: $vgpr11_vgpr12
	v_cmpx_ge_u32_e64 v32, v16
	s_xor_b32 s2, exec_lo, s2
	s_cbranch_execz .LBB1299_171
; %bb.170:
	s_waitcnt lgkmcnt(5)
	v_xor_b32_e32 v9, 0xfffffcff, v0
                                        ; implicit-def: $vgpr32
	s_delay_alu instid0(VALU_DEP_1) | instskip(SKIP_1) | instid1(VALU_DEP_2)
	v_ashrrev_i32_e32 v12, 31, v9
	v_add_co_u32 v11, vcc_lo, v20, v9
	v_add_co_ci_u32_e32 v12, vcc_lo, v21, v12, vcc_lo
.LBB1299_171:
	s_and_not1_saveexec_b32 s2, s2
	s_cbranch_execz .LBB1299_173
; %bb.172:
	s_waitcnt lgkmcnt(6)
	v_add_co_u32 v11, vcc_lo, v15, v32
	v_add_co_ci_u32_e32 v12, vcc_lo, 0, v17, vcc_lo
.LBB1299_173:
	s_or_b32 exec_lo, exec_lo, s2
	s_waitcnt lgkmcnt(6)
	s_delay_alu instid0(VALU_DEP_1) | instskip(NEXT) | instid1(VALU_DEP_1)
	v_lshlrev_b64 v[11:12], 2, v[11:12]
	v_add_co_u32 v11, vcc_lo, s10, v11
	s_delay_alu instid0(VALU_DEP_2) | instskip(SKIP_3) | instid1(SALU_CYCLE_1)
	v_add_co_ci_u32_e32 v12, vcc_lo, s11, v12, vcc_lo
	s_waitcnt lgkmcnt(5)
	global_store_b32 v[11:12], v10, off
	s_or_b32 exec_lo, exec_lo, s1
	s_mov_b32 s1, exec_lo
	v_cmpx_gt_u32_e64 s22, v29
	s_cbranch_execnz .LBB1299_139
.LBB1299_174:
	s_or_b32 exec_lo, exec_lo, s1
	s_delay_alu instid0(SALU_CYCLE_1)
	s_mov_b32 s1, exec_lo
	v_cmpx_gt_u32_e64 s22, v28
	s_cbranch_execz .LBB1299_144
.LBB1299_175:
	s_mov_b32 s2, exec_lo
                                        ; implicit-def: $vgpr9_vgpr10
	v_cmpx_ge_u32_e64 v28, v16
	s_xor_b32 s2, exec_lo, s2
	s_cbranch_execz .LBB1299_177
; %bb.176:
	s_waitcnt lgkmcnt(4)
	v_xor_b32_e32 v7, 0xfffffaff, v0
                                        ; implicit-def: $vgpr28
	s_delay_alu instid0(VALU_DEP_1) | instskip(SKIP_1) | instid1(VALU_DEP_2)
	v_ashrrev_i32_e32 v10, 31, v7
	v_add_co_u32 v9, vcc_lo, v20, v7
	v_add_co_ci_u32_e32 v10, vcc_lo, v21, v10, vcc_lo
.LBB1299_177:
	s_and_not1_saveexec_b32 s2, s2
	s_cbranch_execz .LBB1299_179
; %bb.178:
	s_waitcnt lgkmcnt(5)
	v_add_co_u32 v9, vcc_lo, v15, v28
	v_add_co_ci_u32_e32 v10, vcc_lo, 0, v17, vcc_lo
.LBB1299_179:
	s_or_b32 exec_lo, exec_lo, s2
	s_waitcnt lgkmcnt(5)
	s_delay_alu instid0(VALU_DEP_1) | instskip(NEXT) | instid1(VALU_DEP_1)
	v_lshlrev_b64 v[9:10], 2, v[9:10]
	v_add_co_u32 v9, vcc_lo, s10, v9
	s_delay_alu instid0(VALU_DEP_2) | instskip(SKIP_3) | instid1(SALU_CYCLE_1)
	v_add_co_ci_u32_e32 v10, vcc_lo, s11, v10, vcc_lo
	s_waitcnt lgkmcnt(4)
	global_store_b32 v[9:10], v8, off
	s_or_b32 exec_lo, exec_lo, s1
	s_mov_b32 s1, exec_lo
	v_cmpx_gt_u32_e64 s22, v27
	s_cbranch_execnz .LBB1299_145
.LBB1299_180:
	s_or_b32 exec_lo, exec_lo, s1
	s_delay_alu instid0(SALU_CYCLE_1)
	s_mov_b32 s1, exec_lo
	v_cmpx_gt_u32_e64 s22, v26
	s_cbranch_execz .LBB1299_150
.LBB1299_181:
	s_mov_b32 s2, exec_lo
                                        ; implicit-def: $vgpr7_vgpr8
	v_cmpx_ge_u32_e64 v26, v16
	s_xor_b32 s2, exec_lo, s2
	s_cbranch_execz .LBB1299_183
; %bb.182:
	s_waitcnt lgkmcnt(3)
	v_xor_b32_e32 v5, 0xfffff8ff, v0
                                        ; implicit-def: $vgpr26
	s_delay_alu instid0(VALU_DEP_1) | instskip(SKIP_1) | instid1(VALU_DEP_2)
	v_ashrrev_i32_e32 v8, 31, v5
	v_add_co_u32 v7, vcc_lo, v20, v5
	v_add_co_ci_u32_e32 v8, vcc_lo, v21, v8, vcc_lo
.LBB1299_183:
	s_and_not1_saveexec_b32 s2, s2
	s_cbranch_execz .LBB1299_185
; %bb.184:
	s_waitcnt lgkmcnt(4)
	v_add_co_u32 v7, vcc_lo, v15, v26
	v_add_co_ci_u32_e32 v8, vcc_lo, 0, v17, vcc_lo
.LBB1299_185:
	s_or_b32 exec_lo, exec_lo, s2
	s_waitcnt lgkmcnt(4)
	s_delay_alu instid0(VALU_DEP_1) | instskip(NEXT) | instid1(VALU_DEP_1)
	v_lshlrev_b64 v[7:8], 2, v[7:8]
	v_add_co_u32 v7, vcc_lo, s10, v7
	s_delay_alu instid0(VALU_DEP_2) | instskip(SKIP_3) | instid1(SALU_CYCLE_1)
	v_add_co_ci_u32_e32 v8, vcc_lo, s11, v8, vcc_lo
	s_waitcnt lgkmcnt(3)
	global_store_b32 v[7:8], v6, off
	s_or_b32 exec_lo, exec_lo, s1
	s_mov_b32 s1, exec_lo
	v_cmpx_gt_u32_e64 s22, v25
	s_cbranch_execnz .LBB1299_151
.LBB1299_186:
	s_or_b32 exec_lo, exec_lo, s1
	s_delay_alu instid0(SALU_CYCLE_1)
	s_mov_b32 s1, exec_lo
	v_cmpx_gt_u32_e64 s22, v24
	s_cbranch_execz .LBB1299_156
.LBB1299_187:
	s_mov_b32 s2, exec_lo
                                        ; implicit-def: $vgpr5_vgpr6
	v_cmpx_ge_u32_e64 v24, v16
	s_xor_b32 s2, exec_lo, s2
	s_cbranch_execz .LBB1299_189
; %bb.188:
	s_waitcnt lgkmcnt(2)
	v_xor_b32_e32 v3, 0xfffff6ff, v0
                                        ; implicit-def: $vgpr24
	s_delay_alu instid0(VALU_DEP_1) | instskip(SKIP_1) | instid1(VALU_DEP_2)
	v_ashrrev_i32_e32 v6, 31, v3
	v_add_co_u32 v5, vcc_lo, v20, v3
	v_add_co_ci_u32_e32 v6, vcc_lo, v21, v6, vcc_lo
.LBB1299_189:
	s_and_not1_saveexec_b32 s2, s2
	s_cbranch_execz .LBB1299_191
; %bb.190:
	s_waitcnt lgkmcnt(3)
	v_add_co_u32 v5, vcc_lo, v15, v24
	v_add_co_ci_u32_e32 v6, vcc_lo, 0, v17, vcc_lo
.LBB1299_191:
	s_or_b32 exec_lo, exec_lo, s2
	s_waitcnt lgkmcnt(3)
	s_delay_alu instid0(VALU_DEP_1) | instskip(NEXT) | instid1(VALU_DEP_1)
	v_lshlrev_b64 v[5:6], 2, v[5:6]
	v_add_co_u32 v5, vcc_lo, s10, v5
	s_delay_alu instid0(VALU_DEP_2) | instskip(SKIP_3) | instid1(SALU_CYCLE_1)
	v_add_co_ci_u32_e32 v6, vcc_lo, s11, v6, vcc_lo
	s_waitcnt lgkmcnt(2)
	global_store_b32 v[5:6], v4, off
	s_or_b32 exec_lo, exec_lo, s1
	s_mov_b32 s1, exec_lo
	v_cmpx_gt_u32_e64 s22, v23
	s_cbranch_execnz .LBB1299_157
.LBB1299_192:
	s_or_b32 exec_lo, exec_lo, s1
	s_delay_alu instid0(SALU_CYCLE_1)
	s_mov_b32 s1, exec_lo
	v_cmpx_gt_u32_e64 s22, v22
	s_cbranch_execz .LBB1299_198
.LBB1299_193:
	s_mov_b32 s2, exec_lo
                                        ; implicit-def: $vgpr3_vgpr4
	v_cmpx_ge_u32_e64 v22, v16
	s_xor_b32 s2, exec_lo, s2
	s_cbranch_execz .LBB1299_195
; %bb.194:
	s_waitcnt lgkmcnt(1)
	v_xor_b32_e32 v1, 0xfffff4ff, v0
                                        ; implicit-def: $vgpr22
	s_delay_alu instid0(VALU_DEP_1) | instskip(SKIP_1) | instid1(VALU_DEP_2)
	v_ashrrev_i32_e32 v4, 31, v1
	v_add_co_u32 v3, vcc_lo, v20, v1
	v_add_co_ci_u32_e32 v4, vcc_lo, v21, v4, vcc_lo
.LBB1299_195:
	s_and_not1_saveexec_b32 s2, s2
	s_cbranch_execz .LBB1299_197
; %bb.196:
	s_waitcnt lgkmcnt(2)
	v_add_co_u32 v3, vcc_lo, v15, v22
	v_add_co_ci_u32_e32 v4, vcc_lo, 0, v17, vcc_lo
.LBB1299_197:
	s_or_b32 exec_lo, exec_lo, s2
	s_waitcnt lgkmcnt(2)
	s_delay_alu instid0(VALU_DEP_1) | instskip(NEXT) | instid1(VALU_DEP_1)
	v_lshlrev_b64 v[3:4], 2, v[3:4]
	v_add_co_u32 v3, vcc_lo, s10, v3
	s_delay_alu instid0(VALU_DEP_2)
	v_add_co_ci_u32_e32 v4, vcc_lo, s11, v4, vcc_lo
	s_waitcnt lgkmcnt(1)
	global_store_b32 v[3:4], v2, off
.LBB1299_198:
	s_or_b32 exec_lo, exec_lo, s1
	s_delay_alu instid0(SALU_CYCLE_1)
	s_mov_b32 s1, exec_lo
                                        ; implicit-def: $vgpr13_vgpr14
	v_cmpx_gt_u32_e64 s22, v19
	s_cbranch_execz .LBB1299_204
; %bb.199:
	s_mov_b32 s2, exec_lo
                                        ; implicit-def: $vgpr13_vgpr14
	v_cmpx_ge_u32_e64 v19, v16
	s_xor_b32 s2, exec_lo, s2
	s_cbranch_execz .LBB1299_201
; %bb.200:
	s_waitcnt lgkmcnt(1)
	v_xor_b32_e32 v1, 0xfffff3ff, v0
                                        ; implicit-def: $vgpr19
	s_delay_alu instid0(VALU_DEP_1) | instskip(SKIP_1) | instid1(VALU_DEP_2)
	v_ashrrev_i32_e32 v2, 31, v1
	v_add_co_u32 v13, vcc_lo, v20, v1
	v_add_co_ci_u32_e32 v14, vcc_lo, v21, v2, vcc_lo
.LBB1299_201:
	s_and_not1_saveexec_b32 s2, s2
; %bb.202:
	v_add_co_u32 v13, vcc_lo, v15, v19
	v_add_co_ci_u32_e32 v14, vcc_lo, 0, v17, vcc_lo
; %bb.203:
	s_or_b32 exec_lo, exec_lo, s2
	s_delay_alu instid0(SALU_CYCLE_1)
	s_or_b32 s0, s0, exec_lo
.LBB1299_204:
	s_or_b32 exec_lo, exec_lo, s1
.LBB1299_205:
	s_and_saveexec_b32 s1, s0
	s_cbranch_execz .LBB1299_207
; %bb.206:
	s_waitcnt lgkmcnt(1)
	v_lshlrev_b64 v[1:2], 2, v[13:14]
	s_delay_alu instid0(VALU_DEP_1) | instskip(NEXT) | instid1(VALU_DEP_2)
	v_add_co_u32 v1, vcc_lo, s10, v1
	v_add_co_ci_u32_e32 v2, vcc_lo, s11, v2, vcc_lo
	s_waitcnt lgkmcnt(0)
	global_store_b32 v[1:2], v18, off
.LBB1299_207:
	s_or_b32 exec_lo, exec_lo, s1
	v_cmp_eq_u32_e32 vcc_lo, 0, v0
	s_and_b32 s0, vcc_lo, s14
	s_delay_alu instid0(SALU_CYCLE_1)
	s_and_saveexec_b32 s1, s0
	s_cbranch_execz .LBB1299_209
; %bb.208:
	v_add_co_u32 v0, vcc_lo, v15, v16
	s_waitcnt lgkmcnt(1)
	v_mov_b32_e32 v2, 0
	v_add_co_ci_u32_e32 v1, vcc_lo, 0, v17, vcc_lo
	global_store_b64 v2, v[0:1], s[8:9]
.LBB1299_209:
	s_nop 0
	s_sendmsg sendmsg(MSG_DEALLOC_VGPRS)
	s_endpgm
	.section	.rodata,"a",@progbits
	.p2align	6, 0x0
	.amdhsa_kernel _ZN7rocprim17ROCPRIM_400000_NS6detail17trampoline_kernelINS0_13select_configILj256ELj13ELNS0_17block_load_methodE3ELS4_3ELS4_3ELNS0_20block_scan_algorithmE0ELj4294967295EEENS1_25partition_config_selectorILNS1_17partition_subalgoE3EjNS0_10empty_typeEbEEZZNS1_14partition_implILS8_3ELb0ES6_jNS0_17counting_iteratorIjlEEPS9_SE_NS0_5tupleIJPjSE_EEENSF_IJSE_SE_EEES9_SG_JZNS1_25segmented_radix_sort_implINS0_14default_configELb1EPKfPfPKlPlN2at6native12_GLOBAL__N_18offset_tEEE10hipError_tPvRmT1_PNSt15iterator_traitsISY_E10value_typeET2_T3_PNSZ_IS14_E10value_typeET4_jRbjT5_S1A_jjP12ihipStream_tbEUljE_EEESV_SW_SX_S14_S18_S1A_T6_T7_T9_mT8_S1C_bDpT10_ENKUlT_T0_E_clISt17integral_constantIbLb0EES1P_EEDaS1K_S1L_EUlS1K_E_NS1_11comp_targetILNS1_3genE9ELNS1_11target_archE1100ELNS1_3gpuE3ELNS1_3repE0EEENS1_30default_config_static_selectorELNS0_4arch9wavefront6targetE0EEEvSY_
		.amdhsa_group_segment_fixed_size 13324
		.amdhsa_private_segment_fixed_size 0
		.amdhsa_kernarg_size 144
		.amdhsa_user_sgpr_count 15
		.amdhsa_user_sgpr_dispatch_ptr 0
		.amdhsa_user_sgpr_queue_ptr 0
		.amdhsa_user_sgpr_kernarg_segment_ptr 1
		.amdhsa_user_sgpr_dispatch_id 0
		.amdhsa_user_sgpr_private_segment_size 0
		.amdhsa_wavefront_size32 1
		.amdhsa_uses_dynamic_stack 0
		.amdhsa_enable_private_segment 0
		.amdhsa_system_sgpr_workgroup_id_x 1
		.amdhsa_system_sgpr_workgroup_id_y 0
		.amdhsa_system_sgpr_workgroup_id_z 0
		.amdhsa_system_sgpr_workgroup_info 0
		.amdhsa_system_vgpr_workitem_id 0
		.amdhsa_next_free_vgpr 57
		.amdhsa_next_free_sgpr 28
		.amdhsa_reserve_vcc 1
		.amdhsa_float_round_mode_32 0
		.amdhsa_float_round_mode_16_64 0
		.amdhsa_float_denorm_mode_32 3
		.amdhsa_float_denorm_mode_16_64 3
		.amdhsa_dx10_clamp 1
		.amdhsa_ieee_mode 1
		.amdhsa_fp16_overflow 0
		.amdhsa_workgroup_processor_mode 1
		.amdhsa_memory_ordered 1
		.amdhsa_forward_progress 0
		.amdhsa_shared_vgpr_count 0
		.amdhsa_exception_fp_ieee_invalid_op 0
		.amdhsa_exception_fp_denorm_src 0
		.amdhsa_exception_fp_ieee_div_zero 0
		.amdhsa_exception_fp_ieee_overflow 0
		.amdhsa_exception_fp_ieee_underflow 0
		.amdhsa_exception_fp_ieee_inexact 0
		.amdhsa_exception_int_div_zero 0
	.end_amdhsa_kernel
	.section	.text._ZN7rocprim17ROCPRIM_400000_NS6detail17trampoline_kernelINS0_13select_configILj256ELj13ELNS0_17block_load_methodE3ELS4_3ELS4_3ELNS0_20block_scan_algorithmE0ELj4294967295EEENS1_25partition_config_selectorILNS1_17partition_subalgoE3EjNS0_10empty_typeEbEEZZNS1_14partition_implILS8_3ELb0ES6_jNS0_17counting_iteratorIjlEEPS9_SE_NS0_5tupleIJPjSE_EEENSF_IJSE_SE_EEES9_SG_JZNS1_25segmented_radix_sort_implINS0_14default_configELb1EPKfPfPKlPlN2at6native12_GLOBAL__N_18offset_tEEE10hipError_tPvRmT1_PNSt15iterator_traitsISY_E10value_typeET2_T3_PNSZ_IS14_E10value_typeET4_jRbjT5_S1A_jjP12ihipStream_tbEUljE_EEESV_SW_SX_S14_S18_S1A_T6_T7_T9_mT8_S1C_bDpT10_ENKUlT_T0_E_clISt17integral_constantIbLb0EES1P_EEDaS1K_S1L_EUlS1K_E_NS1_11comp_targetILNS1_3genE9ELNS1_11target_archE1100ELNS1_3gpuE3ELNS1_3repE0EEENS1_30default_config_static_selectorELNS0_4arch9wavefront6targetE0EEEvSY_,"axG",@progbits,_ZN7rocprim17ROCPRIM_400000_NS6detail17trampoline_kernelINS0_13select_configILj256ELj13ELNS0_17block_load_methodE3ELS4_3ELS4_3ELNS0_20block_scan_algorithmE0ELj4294967295EEENS1_25partition_config_selectorILNS1_17partition_subalgoE3EjNS0_10empty_typeEbEEZZNS1_14partition_implILS8_3ELb0ES6_jNS0_17counting_iteratorIjlEEPS9_SE_NS0_5tupleIJPjSE_EEENSF_IJSE_SE_EEES9_SG_JZNS1_25segmented_radix_sort_implINS0_14default_configELb1EPKfPfPKlPlN2at6native12_GLOBAL__N_18offset_tEEE10hipError_tPvRmT1_PNSt15iterator_traitsISY_E10value_typeET2_T3_PNSZ_IS14_E10value_typeET4_jRbjT5_S1A_jjP12ihipStream_tbEUljE_EEESV_SW_SX_S14_S18_S1A_T6_T7_T9_mT8_S1C_bDpT10_ENKUlT_T0_E_clISt17integral_constantIbLb0EES1P_EEDaS1K_S1L_EUlS1K_E_NS1_11comp_targetILNS1_3genE9ELNS1_11target_archE1100ELNS1_3gpuE3ELNS1_3repE0EEENS1_30default_config_static_selectorELNS0_4arch9wavefront6targetE0EEEvSY_,comdat
.Lfunc_end1299:
	.size	_ZN7rocprim17ROCPRIM_400000_NS6detail17trampoline_kernelINS0_13select_configILj256ELj13ELNS0_17block_load_methodE3ELS4_3ELS4_3ELNS0_20block_scan_algorithmE0ELj4294967295EEENS1_25partition_config_selectorILNS1_17partition_subalgoE3EjNS0_10empty_typeEbEEZZNS1_14partition_implILS8_3ELb0ES6_jNS0_17counting_iteratorIjlEEPS9_SE_NS0_5tupleIJPjSE_EEENSF_IJSE_SE_EEES9_SG_JZNS1_25segmented_radix_sort_implINS0_14default_configELb1EPKfPfPKlPlN2at6native12_GLOBAL__N_18offset_tEEE10hipError_tPvRmT1_PNSt15iterator_traitsISY_E10value_typeET2_T3_PNSZ_IS14_E10value_typeET4_jRbjT5_S1A_jjP12ihipStream_tbEUljE_EEESV_SW_SX_S14_S18_S1A_T6_T7_T9_mT8_S1C_bDpT10_ENKUlT_T0_E_clISt17integral_constantIbLb0EES1P_EEDaS1K_S1L_EUlS1K_E_NS1_11comp_targetILNS1_3genE9ELNS1_11target_archE1100ELNS1_3gpuE3ELNS1_3repE0EEENS1_30default_config_static_selectorELNS0_4arch9wavefront6targetE0EEEvSY_, .Lfunc_end1299-_ZN7rocprim17ROCPRIM_400000_NS6detail17trampoline_kernelINS0_13select_configILj256ELj13ELNS0_17block_load_methodE3ELS4_3ELS4_3ELNS0_20block_scan_algorithmE0ELj4294967295EEENS1_25partition_config_selectorILNS1_17partition_subalgoE3EjNS0_10empty_typeEbEEZZNS1_14partition_implILS8_3ELb0ES6_jNS0_17counting_iteratorIjlEEPS9_SE_NS0_5tupleIJPjSE_EEENSF_IJSE_SE_EEES9_SG_JZNS1_25segmented_radix_sort_implINS0_14default_configELb1EPKfPfPKlPlN2at6native12_GLOBAL__N_18offset_tEEE10hipError_tPvRmT1_PNSt15iterator_traitsISY_E10value_typeET2_T3_PNSZ_IS14_E10value_typeET4_jRbjT5_S1A_jjP12ihipStream_tbEUljE_EEESV_SW_SX_S14_S18_S1A_T6_T7_T9_mT8_S1C_bDpT10_ENKUlT_T0_E_clISt17integral_constantIbLb0EES1P_EEDaS1K_S1L_EUlS1K_E_NS1_11comp_targetILNS1_3genE9ELNS1_11target_archE1100ELNS1_3gpuE3ELNS1_3repE0EEENS1_30default_config_static_selectorELNS0_4arch9wavefront6targetE0EEEvSY_
                                        ; -- End function
	.section	.AMDGPU.csdata,"",@progbits
; Kernel info:
; codeLenInByte = 8864
; NumSgprs: 30
; NumVgprs: 57
; ScratchSize: 0
; MemoryBound: 0
; FloatMode: 240
; IeeeMode: 1
; LDSByteSize: 13324 bytes/workgroup (compile time only)
; SGPRBlocks: 3
; VGPRBlocks: 7
; NumSGPRsForWavesPerEU: 30
; NumVGPRsForWavesPerEU: 57
; Occupancy: 16
; WaveLimiterHint : 0
; COMPUTE_PGM_RSRC2:SCRATCH_EN: 0
; COMPUTE_PGM_RSRC2:USER_SGPR: 15
; COMPUTE_PGM_RSRC2:TRAP_HANDLER: 0
; COMPUTE_PGM_RSRC2:TGID_X_EN: 1
; COMPUTE_PGM_RSRC2:TGID_Y_EN: 0
; COMPUTE_PGM_RSRC2:TGID_Z_EN: 0
; COMPUTE_PGM_RSRC2:TIDIG_COMP_CNT: 0
	.section	.text._ZN7rocprim17ROCPRIM_400000_NS6detail17trampoline_kernelINS0_13select_configILj256ELj13ELNS0_17block_load_methodE3ELS4_3ELS4_3ELNS0_20block_scan_algorithmE0ELj4294967295EEENS1_25partition_config_selectorILNS1_17partition_subalgoE3EjNS0_10empty_typeEbEEZZNS1_14partition_implILS8_3ELb0ES6_jNS0_17counting_iteratorIjlEEPS9_SE_NS0_5tupleIJPjSE_EEENSF_IJSE_SE_EEES9_SG_JZNS1_25segmented_radix_sort_implINS0_14default_configELb1EPKfPfPKlPlN2at6native12_GLOBAL__N_18offset_tEEE10hipError_tPvRmT1_PNSt15iterator_traitsISY_E10value_typeET2_T3_PNSZ_IS14_E10value_typeET4_jRbjT5_S1A_jjP12ihipStream_tbEUljE_EEESV_SW_SX_S14_S18_S1A_T6_T7_T9_mT8_S1C_bDpT10_ENKUlT_T0_E_clISt17integral_constantIbLb0EES1P_EEDaS1K_S1L_EUlS1K_E_NS1_11comp_targetILNS1_3genE8ELNS1_11target_archE1030ELNS1_3gpuE2ELNS1_3repE0EEENS1_30default_config_static_selectorELNS0_4arch9wavefront6targetE0EEEvSY_,"axG",@progbits,_ZN7rocprim17ROCPRIM_400000_NS6detail17trampoline_kernelINS0_13select_configILj256ELj13ELNS0_17block_load_methodE3ELS4_3ELS4_3ELNS0_20block_scan_algorithmE0ELj4294967295EEENS1_25partition_config_selectorILNS1_17partition_subalgoE3EjNS0_10empty_typeEbEEZZNS1_14partition_implILS8_3ELb0ES6_jNS0_17counting_iteratorIjlEEPS9_SE_NS0_5tupleIJPjSE_EEENSF_IJSE_SE_EEES9_SG_JZNS1_25segmented_radix_sort_implINS0_14default_configELb1EPKfPfPKlPlN2at6native12_GLOBAL__N_18offset_tEEE10hipError_tPvRmT1_PNSt15iterator_traitsISY_E10value_typeET2_T3_PNSZ_IS14_E10value_typeET4_jRbjT5_S1A_jjP12ihipStream_tbEUljE_EEESV_SW_SX_S14_S18_S1A_T6_T7_T9_mT8_S1C_bDpT10_ENKUlT_T0_E_clISt17integral_constantIbLb0EES1P_EEDaS1K_S1L_EUlS1K_E_NS1_11comp_targetILNS1_3genE8ELNS1_11target_archE1030ELNS1_3gpuE2ELNS1_3repE0EEENS1_30default_config_static_selectorELNS0_4arch9wavefront6targetE0EEEvSY_,comdat
	.globl	_ZN7rocprim17ROCPRIM_400000_NS6detail17trampoline_kernelINS0_13select_configILj256ELj13ELNS0_17block_load_methodE3ELS4_3ELS4_3ELNS0_20block_scan_algorithmE0ELj4294967295EEENS1_25partition_config_selectorILNS1_17partition_subalgoE3EjNS0_10empty_typeEbEEZZNS1_14partition_implILS8_3ELb0ES6_jNS0_17counting_iteratorIjlEEPS9_SE_NS0_5tupleIJPjSE_EEENSF_IJSE_SE_EEES9_SG_JZNS1_25segmented_radix_sort_implINS0_14default_configELb1EPKfPfPKlPlN2at6native12_GLOBAL__N_18offset_tEEE10hipError_tPvRmT1_PNSt15iterator_traitsISY_E10value_typeET2_T3_PNSZ_IS14_E10value_typeET4_jRbjT5_S1A_jjP12ihipStream_tbEUljE_EEESV_SW_SX_S14_S18_S1A_T6_T7_T9_mT8_S1C_bDpT10_ENKUlT_T0_E_clISt17integral_constantIbLb0EES1P_EEDaS1K_S1L_EUlS1K_E_NS1_11comp_targetILNS1_3genE8ELNS1_11target_archE1030ELNS1_3gpuE2ELNS1_3repE0EEENS1_30default_config_static_selectorELNS0_4arch9wavefront6targetE0EEEvSY_ ; -- Begin function _ZN7rocprim17ROCPRIM_400000_NS6detail17trampoline_kernelINS0_13select_configILj256ELj13ELNS0_17block_load_methodE3ELS4_3ELS4_3ELNS0_20block_scan_algorithmE0ELj4294967295EEENS1_25partition_config_selectorILNS1_17partition_subalgoE3EjNS0_10empty_typeEbEEZZNS1_14partition_implILS8_3ELb0ES6_jNS0_17counting_iteratorIjlEEPS9_SE_NS0_5tupleIJPjSE_EEENSF_IJSE_SE_EEES9_SG_JZNS1_25segmented_radix_sort_implINS0_14default_configELb1EPKfPfPKlPlN2at6native12_GLOBAL__N_18offset_tEEE10hipError_tPvRmT1_PNSt15iterator_traitsISY_E10value_typeET2_T3_PNSZ_IS14_E10value_typeET4_jRbjT5_S1A_jjP12ihipStream_tbEUljE_EEESV_SW_SX_S14_S18_S1A_T6_T7_T9_mT8_S1C_bDpT10_ENKUlT_T0_E_clISt17integral_constantIbLb0EES1P_EEDaS1K_S1L_EUlS1K_E_NS1_11comp_targetILNS1_3genE8ELNS1_11target_archE1030ELNS1_3gpuE2ELNS1_3repE0EEENS1_30default_config_static_selectorELNS0_4arch9wavefront6targetE0EEEvSY_
	.p2align	8
	.type	_ZN7rocprim17ROCPRIM_400000_NS6detail17trampoline_kernelINS0_13select_configILj256ELj13ELNS0_17block_load_methodE3ELS4_3ELS4_3ELNS0_20block_scan_algorithmE0ELj4294967295EEENS1_25partition_config_selectorILNS1_17partition_subalgoE3EjNS0_10empty_typeEbEEZZNS1_14partition_implILS8_3ELb0ES6_jNS0_17counting_iteratorIjlEEPS9_SE_NS0_5tupleIJPjSE_EEENSF_IJSE_SE_EEES9_SG_JZNS1_25segmented_radix_sort_implINS0_14default_configELb1EPKfPfPKlPlN2at6native12_GLOBAL__N_18offset_tEEE10hipError_tPvRmT1_PNSt15iterator_traitsISY_E10value_typeET2_T3_PNSZ_IS14_E10value_typeET4_jRbjT5_S1A_jjP12ihipStream_tbEUljE_EEESV_SW_SX_S14_S18_S1A_T6_T7_T9_mT8_S1C_bDpT10_ENKUlT_T0_E_clISt17integral_constantIbLb0EES1P_EEDaS1K_S1L_EUlS1K_E_NS1_11comp_targetILNS1_3genE8ELNS1_11target_archE1030ELNS1_3gpuE2ELNS1_3repE0EEENS1_30default_config_static_selectorELNS0_4arch9wavefront6targetE0EEEvSY_,@function
_ZN7rocprim17ROCPRIM_400000_NS6detail17trampoline_kernelINS0_13select_configILj256ELj13ELNS0_17block_load_methodE3ELS4_3ELS4_3ELNS0_20block_scan_algorithmE0ELj4294967295EEENS1_25partition_config_selectorILNS1_17partition_subalgoE3EjNS0_10empty_typeEbEEZZNS1_14partition_implILS8_3ELb0ES6_jNS0_17counting_iteratorIjlEEPS9_SE_NS0_5tupleIJPjSE_EEENSF_IJSE_SE_EEES9_SG_JZNS1_25segmented_radix_sort_implINS0_14default_configELb1EPKfPfPKlPlN2at6native12_GLOBAL__N_18offset_tEEE10hipError_tPvRmT1_PNSt15iterator_traitsISY_E10value_typeET2_T3_PNSZ_IS14_E10value_typeET4_jRbjT5_S1A_jjP12ihipStream_tbEUljE_EEESV_SW_SX_S14_S18_S1A_T6_T7_T9_mT8_S1C_bDpT10_ENKUlT_T0_E_clISt17integral_constantIbLb0EES1P_EEDaS1K_S1L_EUlS1K_E_NS1_11comp_targetILNS1_3genE8ELNS1_11target_archE1030ELNS1_3gpuE2ELNS1_3repE0EEENS1_30default_config_static_selectorELNS0_4arch9wavefront6targetE0EEEvSY_: ; @_ZN7rocprim17ROCPRIM_400000_NS6detail17trampoline_kernelINS0_13select_configILj256ELj13ELNS0_17block_load_methodE3ELS4_3ELS4_3ELNS0_20block_scan_algorithmE0ELj4294967295EEENS1_25partition_config_selectorILNS1_17partition_subalgoE3EjNS0_10empty_typeEbEEZZNS1_14partition_implILS8_3ELb0ES6_jNS0_17counting_iteratorIjlEEPS9_SE_NS0_5tupleIJPjSE_EEENSF_IJSE_SE_EEES9_SG_JZNS1_25segmented_radix_sort_implINS0_14default_configELb1EPKfPfPKlPlN2at6native12_GLOBAL__N_18offset_tEEE10hipError_tPvRmT1_PNSt15iterator_traitsISY_E10value_typeET2_T3_PNSZ_IS14_E10value_typeET4_jRbjT5_S1A_jjP12ihipStream_tbEUljE_EEESV_SW_SX_S14_S18_S1A_T6_T7_T9_mT8_S1C_bDpT10_ENKUlT_T0_E_clISt17integral_constantIbLb0EES1P_EEDaS1K_S1L_EUlS1K_E_NS1_11comp_targetILNS1_3genE8ELNS1_11target_archE1030ELNS1_3gpuE2ELNS1_3repE0EEENS1_30default_config_static_selectorELNS0_4arch9wavefront6targetE0EEEvSY_
; %bb.0:
	.section	.rodata,"a",@progbits
	.p2align	6, 0x0
	.amdhsa_kernel _ZN7rocprim17ROCPRIM_400000_NS6detail17trampoline_kernelINS0_13select_configILj256ELj13ELNS0_17block_load_methodE3ELS4_3ELS4_3ELNS0_20block_scan_algorithmE0ELj4294967295EEENS1_25partition_config_selectorILNS1_17partition_subalgoE3EjNS0_10empty_typeEbEEZZNS1_14partition_implILS8_3ELb0ES6_jNS0_17counting_iteratorIjlEEPS9_SE_NS0_5tupleIJPjSE_EEENSF_IJSE_SE_EEES9_SG_JZNS1_25segmented_radix_sort_implINS0_14default_configELb1EPKfPfPKlPlN2at6native12_GLOBAL__N_18offset_tEEE10hipError_tPvRmT1_PNSt15iterator_traitsISY_E10value_typeET2_T3_PNSZ_IS14_E10value_typeET4_jRbjT5_S1A_jjP12ihipStream_tbEUljE_EEESV_SW_SX_S14_S18_S1A_T6_T7_T9_mT8_S1C_bDpT10_ENKUlT_T0_E_clISt17integral_constantIbLb0EES1P_EEDaS1K_S1L_EUlS1K_E_NS1_11comp_targetILNS1_3genE8ELNS1_11target_archE1030ELNS1_3gpuE2ELNS1_3repE0EEENS1_30default_config_static_selectorELNS0_4arch9wavefront6targetE0EEEvSY_
		.amdhsa_group_segment_fixed_size 0
		.amdhsa_private_segment_fixed_size 0
		.amdhsa_kernarg_size 144
		.amdhsa_user_sgpr_count 15
		.amdhsa_user_sgpr_dispatch_ptr 0
		.amdhsa_user_sgpr_queue_ptr 0
		.amdhsa_user_sgpr_kernarg_segment_ptr 1
		.amdhsa_user_sgpr_dispatch_id 0
		.amdhsa_user_sgpr_private_segment_size 0
		.amdhsa_wavefront_size32 1
		.amdhsa_uses_dynamic_stack 0
		.amdhsa_enable_private_segment 0
		.amdhsa_system_sgpr_workgroup_id_x 1
		.amdhsa_system_sgpr_workgroup_id_y 0
		.amdhsa_system_sgpr_workgroup_id_z 0
		.amdhsa_system_sgpr_workgroup_info 0
		.amdhsa_system_vgpr_workitem_id 0
		.amdhsa_next_free_vgpr 1
		.amdhsa_next_free_sgpr 1
		.amdhsa_reserve_vcc 0
		.amdhsa_float_round_mode_32 0
		.amdhsa_float_round_mode_16_64 0
		.amdhsa_float_denorm_mode_32 3
		.amdhsa_float_denorm_mode_16_64 3
		.amdhsa_dx10_clamp 1
		.amdhsa_ieee_mode 1
		.amdhsa_fp16_overflow 0
		.amdhsa_workgroup_processor_mode 1
		.amdhsa_memory_ordered 1
		.amdhsa_forward_progress 0
		.amdhsa_shared_vgpr_count 0
		.amdhsa_exception_fp_ieee_invalid_op 0
		.amdhsa_exception_fp_denorm_src 0
		.amdhsa_exception_fp_ieee_div_zero 0
		.amdhsa_exception_fp_ieee_overflow 0
		.amdhsa_exception_fp_ieee_underflow 0
		.amdhsa_exception_fp_ieee_inexact 0
		.amdhsa_exception_int_div_zero 0
	.end_amdhsa_kernel
	.section	.text._ZN7rocprim17ROCPRIM_400000_NS6detail17trampoline_kernelINS0_13select_configILj256ELj13ELNS0_17block_load_methodE3ELS4_3ELS4_3ELNS0_20block_scan_algorithmE0ELj4294967295EEENS1_25partition_config_selectorILNS1_17partition_subalgoE3EjNS0_10empty_typeEbEEZZNS1_14partition_implILS8_3ELb0ES6_jNS0_17counting_iteratorIjlEEPS9_SE_NS0_5tupleIJPjSE_EEENSF_IJSE_SE_EEES9_SG_JZNS1_25segmented_radix_sort_implINS0_14default_configELb1EPKfPfPKlPlN2at6native12_GLOBAL__N_18offset_tEEE10hipError_tPvRmT1_PNSt15iterator_traitsISY_E10value_typeET2_T3_PNSZ_IS14_E10value_typeET4_jRbjT5_S1A_jjP12ihipStream_tbEUljE_EEESV_SW_SX_S14_S18_S1A_T6_T7_T9_mT8_S1C_bDpT10_ENKUlT_T0_E_clISt17integral_constantIbLb0EES1P_EEDaS1K_S1L_EUlS1K_E_NS1_11comp_targetILNS1_3genE8ELNS1_11target_archE1030ELNS1_3gpuE2ELNS1_3repE0EEENS1_30default_config_static_selectorELNS0_4arch9wavefront6targetE0EEEvSY_,"axG",@progbits,_ZN7rocprim17ROCPRIM_400000_NS6detail17trampoline_kernelINS0_13select_configILj256ELj13ELNS0_17block_load_methodE3ELS4_3ELS4_3ELNS0_20block_scan_algorithmE0ELj4294967295EEENS1_25partition_config_selectorILNS1_17partition_subalgoE3EjNS0_10empty_typeEbEEZZNS1_14partition_implILS8_3ELb0ES6_jNS0_17counting_iteratorIjlEEPS9_SE_NS0_5tupleIJPjSE_EEENSF_IJSE_SE_EEES9_SG_JZNS1_25segmented_radix_sort_implINS0_14default_configELb1EPKfPfPKlPlN2at6native12_GLOBAL__N_18offset_tEEE10hipError_tPvRmT1_PNSt15iterator_traitsISY_E10value_typeET2_T3_PNSZ_IS14_E10value_typeET4_jRbjT5_S1A_jjP12ihipStream_tbEUljE_EEESV_SW_SX_S14_S18_S1A_T6_T7_T9_mT8_S1C_bDpT10_ENKUlT_T0_E_clISt17integral_constantIbLb0EES1P_EEDaS1K_S1L_EUlS1K_E_NS1_11comp_targetILNS1_3genE8ELNS1_11target_archE1030ELNS1_3gpuE2ELNS1_3repE0EEENS1_30default_config_static_selectorELNS0_4arch9wavefront6targetE0EEEvSY_,comdat
.Lfunc_end1300:
	.size	_ZN7rocprim17ROCPRIM_400000_NS6detail17trampoline_kernelINS0_13select_configILj256ELj13ELNS0_17block_load_methodE3ELS4_3ELS4_3ELNS0_20block_scan_algorithmE0ELj4294967295EEENS1_25partition_config_selectorILNS1_17partition_subalgoE3EjNS0_10empty_typeEbEEZZNS1_14partition_implILS8_3ELb0ES6_jNS0_17counting_iteratorIjlEEPS9_SE_NS0_5tupleIJPjSE_EEENSF_IJSE_SE_EEES9_SG_JZNS1_25segmented_radix_sort_implINS0_14default_configELb1EPKfPfPKlPlN2at6native12_GLOBAL__N_18offset_tEEE10hipError_tPvRmT1_PNSt15iterator_traitsISY_E10value_typeET2_T3_PNSZ_IS14_E10value_typeET4_jRbjT5_S1A_jjP12ihipStream_tbEUljE_EEESV_SW_SX_S14_S18_S1A_T6_T7_T9_mT8_S1C_bDpT10_ENKUlT_T0_E_clISt17integral_constantIbLb0EES1P_EEDaS1K_S1L_EUlS1K_E_NS1_11comp_targetILNS1_3genE8ELNS1_11target_archE1030ELNS1_3gpuE2ELNS1_3repE0EEENS1_30default_config_static_selectorELNS0_4arch9wavefront6targetE0EEEvSY_, .Lfunc_end1300-_ZN7rocprim17ROCPRIM_400000_NS6detail17trampoline_kernelINS0_13select_configILj256ELj13ELNS0_17block_load_methodE3ELS4_3ELS4_3ELNS0_20block_scan_algorithmE0ELj4294967295EEENS1_25partition_config_selectorILNS1_17partition_subalgoE3EjNS0_10empty_typeEbEEZZNS1_14partition_implILS8_3ELb0ES6_jNS0_17counting_iteratorIjlEEPS9_SE_NS0_5tupleIJPjSE_EEENSF_IJSE_SE_EEES9_SG_JZNS1_25segmented_radix_sort_implINS0_14default_configELb1EPKfPfPKlPlN2at6native12_GLOBAL__N_18offset_tEEE10hipError_tPvRmT1_PNSt15iterator_traitsISY_E10value_typeET2_T3_PNSZ_IS14_E10value_typeET4_jRbjT5_S1A_jjP12ihipStream_tbEUljE_EEESV_SW_SX_S14_S18_S1A_T6_T7_T9_mT8_S1C_bDpT10_ENKUlT_T0_E_clISt17integral_constantIbLb0EES1P_EEDaS1K_S1L_EUlS1K_E_NS1_11comp_targetILNS1_3genE8ELNS1_11target_archE1030ELNS1_3gpuE2ELNS1_3repE0EEENS1_30default_config_static_selectorELNS0_4arch9wavefront6targetE0EEEvSY_
                                        ; -- End function
	.section	.AMDGPU.csdata,"",@progbits
; Kernel info:
; codeLenInByte = 0
; NumSgprs: 0
; NumVgprs: 0
; ScratchSize: 0
; MemoryBound: 0
; FloatMode: 240
; IeeeMode: 1
; LDSByteSize: 0 bytes/workgroup (compile time only)
; SGPRBlocks: 0
; VGPRBlocks: 0
; NumSGPRsForWavesPerEU: 1
; NumVGPRsForWavesPerEU: 1
; Occupancy: 16
; WaveLimiterHint : 0
; COMPUTE_PGM_RSRC2:SCRATCH_EN: 0
; COMPUTE_PGM_RSRC2:USER_SGPR: 15
; COMPUTE_PGM_RSRC2:TRAP_HANDLER: 0
; COMPUTE_PGM_RSRC2:TGID_X_EN: 1
; COMPUTE_PGM_RSRC2:TGID_Y_EN: 0
; COMPUTE_PGM_RSRC2:TGID_Z_EN: 0
; COMPUTE_PGM_RSRC2:TIDIG_COMP_CNT: 0
	.section	.text._ZN7rocprim17ROCPRIM_400000_NS6detail17trampoline_kernelINS0_13select_configILj256ELj13ELNS0_17block_load_methodE3ELS4_3ELS4_3ELNS0_20block_scan_algorithmE0ELj4294967295EEENS1_25partition_config_selectorILNS1_17partition_subalgoE3EjNS0_10empty_typeEbEEZZNS1_14partition_implILS8_3ELb0ES6_jNS0_17counting_iteratorIjlEEPS9_SE_NS0_5tupleIJPjSE_EEENSF_IJSE_SE_EEES9_SG_JZNS1_25segmented_radix_sort_implINS0_14default_configELb1EPKfPfPKlPlN2at6native12_GLOBAL__N_18offset_tEEE10hipError_tPvRmT1_PNSt15iterator_traitsISY_E10value_typeET2_T3_PNSZ_IS14_E10value_typeET4_jRbjT5_S1A_jjP12ihipStream_tbEUljE_EEESV_SW_SX_S14_S18_S1A_T6_T7_T9_mT8_S1C_bDpT10_ENKUlT_T0_E_clISt17integral_constantIbLb1EES1P_EEDaS1K_S1L_EUlS1K_E_NS1_11comp_targetILNS1_3genE0ELNS1_11target_archE4294967295ELNS1_3gpuE0ELNS1_3repE0EEENS1_30default_config_static_selectorELNS0_4arch9wavefront6targetE0EEEvSY_,"axG",@progbits,_ZN7rocprim17ROCPRIM_400000_NS6detail17trampoline_kernelINS0_13select_configILj256ELj13ELNS0_17block_load_methodE3ELS4_3ELS4_3ELNS0_20block_scan_algorithmE0ELj4294967295EEENS1_25partition_config_selectorILNS1_17partition_subalgoE3EjNS0_10empty_typeEbEEZZNS1_14partition_implILS8_3ELb0ES6_jNS0_17counting_iteratorIjlEEPS9_SE_NS0_5tupleIJPjSE_EEENSF_IJSE_SE_EEES9_SG_JZNS1_25segmented_radix_sort_implINS0_14default_configELb1EPKfPfPKlPlN2at6native12_GLOBAL__N_18offset_tEEE10hipError_tPvRmT1_PNSt15iterator_traitsISY_E10value_typeET2_T3_PNSZ_IS14_E10value_typeET4_jRbjT5_S1A_jjP12ihipStream_tbEUljE_EEESV_SW_SX_S14_S18_S1A_T6_T7_T9_mT8_S1C_bDpT10_ENKUlT_T0_E_clISt17integral_constantIbLb1EES1P_EEDaS1K_S1L_EUlS1K_E_NS1_11comp_targetILNS1_3genE0ELNS1_11target_archE4294967295ELNS1_3gpuE0ELNS1_3repE0EEENS1_30default_config_static_selectorELNS0_4arch9wavefront6targetE0EEEvSY_,comdat
	.globl	_ZN7rocprim17ROCPRIM_400000_NS6detail17trampoline_kernelINS0_13select_configILj256ELj13ELNS0_17block_load_methodE3ELS4_3ELS4_3ELNS0_20block_scan_algorithmE0ELj4294967295EEENS1_25partition_config_selectorILNS1_17partition_subalgoE3EjNS0_10empty_typeEbEEZZNS1_14partition_implILS8_3ELb0ES6_jNS0_17counting_iteratorIjlEEPS9_SE_NS0_5tupleIJPjSE_EEENSF_IJSE_SE_EEES9_SG_JZNS1_25segmented_radix_sort_implINS0_14default_configELb1EPKfPfPKlPlN2at6native12_GLOBAL__N_18offset_tEEE10hipError_tPvRmT1_PNSt15iterator_traitsISY_E10value_typeET2_T3_PNSZ_IS14_E10value_typeET4_jRbjT5_S1A_jjP12ihipStream_tbEUljE_EEESV_SW_SX_S14_S18_S1A_T6_T7_T9_mT8_S1C_bDpT10_ENKUlT_T0_E_clISt17integral_constantIbLb1EES1P_EEDaS1K_S1L_EUlS1K_E_NS1_11comp_targetILNS1_3genE0ELNS1_11target_archE4294967295ELNS1_3gpuE0ELNS1_3repE0EEENS1_30default_config_static_selectorELNS0_4arch9wavefront6targetE0EEEvSY_ ; -- Begin function _ZN7rocprim17ROCPRIM_400000_NS6detail17trampoline_kernelINS0_13select_configILj256ELj13ELNS0_17block_load_methodE3ELS4_3ELS4_3ELNS0_20block_scan_algorithmE0ELj4294967295EEENS1_25partition_config_selectorILNS1_17partition_subalgoE3EjNS0_10empty_typeEbEEZZNS1_14partition_implILS8_3ELb0ES6_jNS0_17counting_iteratorIjlEEPS9_SE_NS0_5tupleIJPjSE_EEENSF_IJSE_SE_EEES9_SG_JZNS1_25segmented_radix_sort_implINS0_14default_configELb1EPKfPfPKlPlN2at6native12_GLOBAL__N_18offset_tEEE10hipError_tPvRmT1_PNSt15iterator_traitsISY_E10value_typeET2_T3_PNSZ_IS14_E10value_typeET4_jRbjT5_S1A_jjP12ihipStream_tbEUljE_EEESV_SW_SX_S14_S18_S1A_T6_T7_T9_mT8_S1C_bDpT10_ENKUlT_T0_E_clISt17integral_constantIbLb1EES1P_EEDaS1K_S1L_EUlS1K_E_NS1_11comp_targetILNS1_3genE0ELNS1_11target_archE4294967295ELNS1_3gpuE0ELNS1_3repE0EEENS1_30default_config_static_selectorELNS0_4arch9wavefront6targetE0EEEvSY_
	.p2align	8
	.type	_ZN7rocprim17ROCPRIM_400000_NS6detail17trampoline_kernelINS0_13select_configILj256ELj13ELNS0_17block_load_methodE3ELS4_3ELS4_3ELNS0_20block_scan_algorithmE0ELj4294967295EEENS1_25partition_config_selectorILNS1_17partition_subalgoE3EjNS0_10empty_typeEbEEZZNS1_14partition_implILS8_3ELb0ES6_jNS0_17counting_iteratorIjlEEPS9_SE_NS0_5tupleIJPjSE_EEENSF_IJSE_SE_EEES9_SG_JZNS1_25segmented_radix_sort_implINS0_14default_configELb1EPKfPfPKlPlN2at6native12_GLOBAL__N_18offset_tEEE10hipError_tPvRmT1_PNSt15iterator_traitsISY_E10value_typeET2_T3_PNSZ_IS14_E10value_typeET4_jRbjT5_S1A_jjP12ihipStream_tbEUljE_EEESV_SW_SX_S14_S18_S1A_T6_T7_T9_mT8_S1C_bDpT10_ENKUlT_T0_E_clISt17integral_constantIbLb1EES1P_EEDaS1K_S1L_EUlS1K_E_NS1_11comp_targetILNS1_3genE0ELNS1_11target_archE4294967295ELNS1_3gpuE0ELNS1_3repE0EEENS1_30default_config_static_selectorELNS0_4arch9wavefront6targetE0EEEvSY_,@function
_ZN7rocprim17ROCPRIM_400000_NS6detail17trampoline_kernelINS0_13select_configILj256ELj13ELNS0_17block_load_methodE3ELS4_3ELS4_3ELNS0_20block_scan_algorithmE0ELj4294967295EEENS1_25partition_config_selectorILNS1_17partition_subalgoE3EjNS0_10empty_typeEbEEZZNS1_14partition_implILS8_3ELb0ES6_jNS0_17counting_iteratorIjlEEPS9_SE_NS0_5tupleIJPjSE_EEENSF_IJSE_SE_EEES9_SG_JZNS1_25segmented_radix_sort_implINS0_14default_configELb1EPKfPfPKlPlN2at6native12_GLOBAL__N_18offset_tEEE10hipError_tPvRmT1_PNSt15iterator_traitsISY_E10value_typeET2_T3_PNSZ_IS14_E10value_typeET4_jRbjT5_S1A_jjP12ihipStream_tbEUljE_EEESV_SW_SX_S14_S18_S1A_T6_T7_T9_mT8_S1C_bDpT10_ENKUlT_T0_E_clISt17integral_constantIbLb1EES1P_EEDaS1K_S1L_EUlS1K_E_NS1_11comp_targetILNS1_3genE0ELNS1_11target_archE4294967295ELNS1_3gpuE0ELNS1_3repE0EEENS1_30default_config_static_selectorELNS0_4arch9wavefront6targetE0EEEvSY_: ; @_ZN7rocprim17ROCPRIM_400000_NS6detail17trampoline_kernelINS0_13select_configILj256ELj13ELNS0_17block_load_methodE3ELS4_3ELS4_3ELNS0_20block_scan_algorithmE0ELj4294967295EEENS1_25partition_config_selectorILNS1_17partition_subalgoE3EjNS0_10empty_typeEbEEZZNS1_14partition_implILS8_3ELb0ES6_jNS0_17counting_iteratorIjlEEPS9_SE_NS0_5tupleIJPjSE_EEENSF_IJSE_SE_EEES9_SG_JZNS1_25segmented_radix_sort_implINS0_14default_configELb1EPKfPfPKlPlN2at6native12_GLOBAL__N_18offset_tEEE10hipError_tPvRmT1_PNSt15iterator_traitsISY_E10value_typeET2_T3_PNSZ_IS14_E10value_typeET4_jRbjT5_S1A_jjP12ihipStream_tbEUljE_EEESV_SW_SX_S14_S18_S1A_T6_T7_T9_mT8_S1C_bDpT10_ENKUlT_T0_E_clISt17integral_constantIbLb1EES1P_EEDaS1K_S1L_EUlS1K_E_NS1_11comp_targetILNS1_3genE0ELNS1_11target_archE4294967295ELNS1_3gpuE0ELNS1_3repE0EEENS1_30default_config_static_selectorELNS0_4arch9wavefront6targetE0EEEvSY_
; %bb.0:
	.section	.rodata,"a",@progbits
	.p2align	6, 0x0
	.amdhsa_kernel _ZN7rocprim17ROCPRIM_400000_NS6detail17trampoline_kernelINS0_13select_configILj256ELj13ELNS0_17block_load_methodE3ELS4_3ELS4_3ELNS0_20block_scan_algorithmE0ELj4294967295EEENS1_25partition_config_selectorILNS1_17partition_subalgoE3EjNS0_10empty_typeEbEEZZNS1_14partition_implILS8_3ELb0ES6_jNS0_17counting_iteratorIjlEEPS9_SE_NS0_5tupleIJPjSE_EEENSF_IJSE_SE_EEES9_SG_JZNS1_25segmented_radix_sort_implINS0_14default_configELb1EPKfPfPKlPlN2at6native12_GLOBAL__N_18offset_tEEE10hipError_tPvRmT1_PNSt15iterator_traitsISY_E10value_typeET2_T3_PNSZ_IS14_E10value_typeET4_jRbjT5_S1A_jjP12ihipStream_tbEUljE_EEESV_SW_SX_S14_S18_S1A_T6_T7_T9_mT8_S1C_bDpT10_ENKUlT_T0_E_clISt17integral_constantIbLb1EES1P_EEDaS1K_S1L_EUlS1K_E_NS1_11comp_targetILNS1_3genE0ELNS1_11target_archE4294967295ELNS1_3gpuE0ELNS1_3repE0EEENS1_30default_config_static_selectorELNS0_4arch9wavefront6targetE0EEEvSY_
		.amdhsa_group_segment_fixed_size 0
		.amdhsa_private_segment_fixed_size 0
		.amdhsa_kernarg_size 152
		.amdhsa_user_sgpr_count 15
		.amdhsa_user_sgpr_dispatch_ptr 0
		.amdhsa_user_sgpr_queue_ptr 0
		.amdhsa_user_sgpr_kernarg_segment_ptr 1
		.amdhsa_user_sgpr_dispatch_id 0
		.amdhsa_user_sgpr_private_segment_size 0
		.amdhsa_wavefront_size32 1
		.amdhsa_uses_dynamic_stack 0
		.amdhsa_enable_private_segment 0
		.amdhsa_system_sgpr_workgroup_id_x 1
		.amdhsa_system_sgpr_workgroup_id_y 0
		.amdhsa_system_sgpr_workgroup_id_z 0
		.amdhsa_system_sgpr_workgroup_info 0
		.amdhsa_system_vgpr_workitem_id 0
		.amdhsa_next_free_vgpr 1
		.amdhsa_next_free_sgpr 1
		.amdhsa_reserve_vcc 0
		.amdhsa_float_round_mode_32 0
		.amdhsa_float_round_mode_16_64 0
		.amdhsa_float_denorm_mode_32 3
		.amdhsa_float_denorm_mode_16_64 3
		.amdhsa_dx10_clamp 1
		.amdhsa_ieee_mode 1
		.amdhsa_fp16_overflow 0
		.amdhsa_workgroup_processor_mode 1
		.amdhsa_memory_ordered 1
		.amdhsa_forward_progress 0
		.amdhsa_shared_vgpr_count 0
		.amdhsa_exception_fp_ieee_invalid_op 0
		.amdhsa_exception_fp_denorm_src 0
		.amdhsa_exception_fp_ieee_div_zero 0
		.amdhsa_exception_fp_ieee_overflow 0
		.amdhsa_exception_fp_ieee_underflow 0
		.amdhsa_exception_fp_ieee_inexact 0
		.amdhsa_exception_int_div_zero 0
	.end_amdhsa_kernel
	.section	.text._ZN7rocprim17ROCPRIM_400000_NS6detail17trampoline_kernelINS0_13select_configILj256ELj13ELNS0_17block_load_methodE3ELS4_3ELS4_3ELNS0_20block_scan_algorithmE0ELj4294967295EEENS1_25partition_config_selectorILNS1_17partition_subalgoE3EjNS0_10empty_typeEbEEZZNS1_14partition_implILS8_3ELb0ES6_jNS0_17counting_iteratorIjlEEPS9_SE_NS0_5tupleIJPjSE_EEENSF_IJSE_SE_EEES9_SG_JZNS1_25segmented_radix_sort_implINS0_14default_configELb1EPKfPfPKlPlN2at6native12_GLOBAL__N_18offset_tEEE10hipError_tPvRmT1_PNSt15iterator_traitsISY_E10value_typeET2_T3_PNSZ_IS14_E10value_typeET4_jRbjT5_S1A_jjP12ihipStream_tbEUljE_EEESV_SW_SX_S14_S18_S1A_T6_T7_T9_mT8_S1C_bDpT10_ENKUlT_T0_E_clISt17integral_constantIbLb1EES1P_EEDaS1K_S1L_EUlS1K_E_NS1_11comp_targetILNS1_3genE0ELNS1_11target_archE4294967295ELNS1_3gpuE0ELNS1_3repE0EEENS1_30default_config_static_selectorELNS0_4arch9wavefront6targetE0EEEvSY_,"axG",@progbits,_ZN7rocprim17ROCPRIM_400000_NS6detail17trampoline_kernelINS0_13select_configILj256ELj13ELNS0_17block_load_methodE3ELS4_3ELS4_3ELNS0_20block_scan_algorithmE0ELj4294967295EEENS1_25partition_config_selectorILNS1_17partition_subalgoE3EjNS0_10empty_typeEbEEZZNS1_14partition_implILS8_3ELb0ES6_jNS0_17counting_iteratorIjlEEPS9_SE_NS0_5tupleIJPjSE_EEENSF_IJSE_SE_EEES9_SG_JZNS1_25segmented_radix_sort_implINS0_14default_configELb1EPKfPfPKlPlN2at6native12_GLOBAL__N_18offset_tEEE10hipError_tPvRmT1_PNSt15iterator_traitsISY_E10value_typeET2_T3_PNSZ_IS14_E10value_typeET4_jRbjT5_S1A_jjP12ihipStream_tbEUljE_EEESV_SW_SX_S14_S18_S1A_T6_T7_T9_mT8_S1C_bDpT10_ENKUlT_T0_E_clISt17integral_constantIbLb1EES1P_EEDaS1K_S1L_EUlS1K_E_NS1_11comp_targetILNS1_3genE0ELNS1_11target_archE4294967295ELNS1_3gpuE0ELNS1_3repE0EEENS1_30default_config_static_selectorELNS0_4arch9wavefront6targetE0EEEvSY_,comdat
.Lfunc_end1301:
	.size	_ZN7rocprim17ROCPRIM_400000_NS6detail17trampoline_kernelINS0_13select_configILj256ELj13ELNS0_17block_load_methodE3ELS4_3ELS4_3ELNS0_20block_scan_algorithmE0ELj4294967295EEENS1_25partition_config_selectorILNS1_17partition_subalgoE3EjNS0_10empty_typeEbEEZZNS1_14partition_implILS8_3ELb0ES6_jNS0_17counting_iteratorIjlEEPS9_SE_NS0_5tupleIJPjSE_EEENSF_IJSE_SE_EEES9_SG_JZNS1_25segmented_radix_sort_implINS0_14default_configELb1EPKfPfPKlPlN2at6native12_GLOBAL__N_18offset_tEEE10hipError_tPvRmT1_PNSt15iterator_traitsISY_E10value_typeET2_T3_PNSZ_IS14_E10value_typeET4_jRbjT5_S1A_jjP12ihipStream_tbEUljE_EEESV_SW_SX_S14_S18_S1A_T6_T7_T9_mT8_S1C_bDpT10_ENKUlT_T0_E_clISt17integral_constantIbLb1EES1P_EEDaS1K_S1L_EUlS1K_E_NS1_11comp_targetILNS1_3genE0ELNS1_11target_archE4294967295ELNS1_3gpuE0ELNS1_3repE0EEENS1_30default_config_static_selectorELNS0_4arch9wavefront6targetE0EEEvSY_, .Lfunc_end1301-_ZN7rocprim17ROCPRIM_400000_NS6detail17trampoline_kernelINS0_13select_configILj256ELj13ELNS0_17block_load_methodE3ELS4_3ELS4_3ELNS0_20block_scan_algorithmE0ELj4294967295EEENS1_25partition_config_selectorILNS1_17partition_subalgoE3EjNS0_10empty_typeEbEEZZNS1_14partition_implILS8_3ELb0ES6_jNS0_17counting_iteratorIjlEEPS9_SE_NS0_5tupleIJPjSE_EEENSF_IJSE_SE_EEES9_SG_JZNS1_25segmented_radix_sort_implINS0_14default_configELb1EPKfPfPKlPlN2at6native12_GLOBAL__N_18offset_tEEE10hipError_tPvRmT1_PNSt15iterator_traitsISY_E10value_typeET2_T3_PNSZ_IS14_E10value_typeET4_jRbjT5_S1A_jjP12ihipStream_tbEUljE_EEESV_SW_SX_S14_S18_S1A_T6_T7_T9_mT8_S1C_bDpT10_ENKUlT_T0_E_clISt17integral_constantIbLb1EES1P_EEDaS1K_S1L_EUlS1K_E_NS1_11comp_targetILNS1_3genE0ELNS1_11target_archE4294967295ELNS1_3gpuE0ELNS1_3repE0EEENS1_30default_config_static_selectorELNS0_4arch9wavefront6targetE0EEEvSY_
                                        ; -- End function
	.section	.AMDGPU.csdata,"",@progbits
; Kernel info:
; codeLenInByte = 0
; NumSgprs: 0
; NumVgprs: 0
; ScratchSize: 0
; MemoryBound: 0
; FloatMode: 240
; IeeeMode: 1
; LDSByteSize: 0 bytes/workgroup (compile time only)
; SGPRBlocks: 0
; VGPRBlocks: 0
; NumSGPRsForWavesPerEU: 1
; NumVGPRsForWavesPerEU: 1
; Occupancy: 16
; WaveLimiterHint : 0
; COMPUTE_PGM_RSRC2:SCRATCH_EN: 0
; COMPUTE_PGM_RSRC2:USER_SGPR: 15
; COMPUTE_PGM_RSRC2:TRAP_HANDLER: 0
; COMPUTE_PGM_RSRC2:TGID_X_EN: 1
; COMPUTE_PGM_RSRC2:TGID_Y_EN: 0
; COMPUTE_PGM_RSRC2:TGID_Z_EN: 0
; COMPUTE_PGM_RSRC2:TIDIG_COMP_CNT: 0
	.section	.text._ZN7rocprim17ROCPRIM_400000_NS6detail17trampoline_kernelINS0_13select_configILj256ELj13ELNS0_17block_load_methodE3ELS4_3ELS4_3ELNS0_20block_scan_algorithmE0ELj4294967295EEENS1_25partition_config_selectorILNS1_17partition_subalgoE3EjNS0_10empty_typeEbEEZZNS1_14partition_implILS8_3ELb0ES6_jNS0_17counting_iteratorIjlEEPS9_SE_NS0_5tupleIJPjSE_EEENSF_IJSE_SE_EEES9_SG_JZNS1_25segmented_radix_sort_implINS0_14default_configELb1EPKfPfPKlPlN2at6native12_GLOBAL__N_18offset_tEEE10hipError_tPvRmT1_PNSt15iterator_traitsISY_E10value_typeET2_T3_PNSZ_IS14_E10value_typeET4_jRbjT5_S1A_jjP12ihipStream_tbEUljE_EEESV_SW_SX_S14_S18_S1A_T6_T7_T9_mT8_S1C_bDpT10_ENKUlT_T0_E_clISt17integral_constantIbLb1EES1P_EEDaS1K_S1L_EUlS1K_E_NS1_11comp_targetILNS1_3genE5ELNS1_11target_archE942ELNS1_3gpuE9ELNS1_3repE0EEENS1_30default_config_static_selectorELNS0_4arch9wavefront6targetE0EEEvSY_,"axG",@progbits,_ZN7rocprim17ROCPRIM_400000_NS6detail17trampoline_kernelINS0_13select_configILj256ELj13ELNS0_17block_load_methodE3ELS4_3ELS4_3ELNS0_20block_scan_algorithmE0ELj4294967295EEENS1_25partition_config_selectorILNS1_17partition_subalgoE3EjNS0_10empty_typeEbEEZZNS1_14partition_implILS8_3ELb0ES6_jNS0_17counting_iteratorIjlEEPS9_SE_NS0_5tupleIJPjSE_EEENSF_IJSE_SE_EEES9_SG_JZNS1_25segmented_radix_sort_implINS0_14default_configELb1EPKfPfPKlPlN2at6native12_GLOBAL__N_18offset_tEEE10hipError_tPvRmT1_PNSt15iterator_traitsISY_E10value_typeET2_T3_PNSZ_IS14_E10value_typeET4_jRbjT5_S1A_jjP12ihipStream_tbEUljE_EEESV_SW_SX_S14_S18_S1A_T6_T7_T9_mT8_S1C_bDpT10_ENKUlT_T0_E_clISt17integral_constantIbLb1EES1P_EEDaS1K_S1L_EUlS1K_E_NS1_11comp_targetILNS1_3genE5ELNS1_11target_archE942ELNS1_3gpuE9ELNS1_3repE0EEENS1_30default_config_static_selectorELNS0_4arch9wavefront6targetE0EEEvSY_,comdat
	.globl	_ZN7rocprim17ROCPRIM_400000_NS6detail17trampoline_kernelINS0_13select_configILj256ELj13ELNS0_17block_load_methodE3ELS4_3ELS4_3ELNS0_20block_scan_algorithmE0ELj4294967295EEENS1_25partition_config_selectorILNS1_17partition_subalgoE3EjNS0_10empty_typeEbEEZZNS1_14partition_implILS8_3ELb0ES6_jNS0_17counting_iteratorIjlEEPS9_SE_NS0_5tupleIJPjSE_EEENSF_IJSE_SE_EEES9_SG_JZNS1_25segmented_radix_sort_implINS0_14default_configELb1EPKfPfPKlPlN2at6native12_GLOBAL__N_18offset_tEEE10hipError_tPvRmT1_PNSt15iterator_traitsISY_E10value_typeET2_T3_PNSZ_IS14_E10value_typeET4_jRbjT5_S1A_jjP12ihipStream_tbEUljE_EEESV_SW_SX_S14_S18_S1A_T6_T7_T9_mT8_S1C_bDpT10_ENKUlT_T0_E_clISt17integral_constantIbLb1EES1P_EEDaS1K_S1L_EUlS1K_E_NS1_11comp_targetILNS1_3genE5ELNS1_11target_archE942ELNS1_3gpuE9ELNS1_3repE0EEENS1_30default_config_static_selectorELNS0_4arch9wavefront6targetE0EEEvSY_ ; -- Begin function _ZN7rocprim17ROCPRIM_400000_NS6detail17trampoline_kernelINS0_13select_configILj256ELj13ELNS0_17block_load_methodE3ELS4_3ELS4_3ELNS0_20block_scan_algorithmE0ELj4294967295EEENS1_25partition_config_selectorILNS1_17partition_subalgoE3EjNS0_10empty_typeEbEEZZNS1_14partition_implILS8_3ELb0ES6_jNS0_17counting_iteratorIjlEEPS9_SE_NS0_5tupleIJPjSE_EEENSF_IJSE_SE_EEES9_SG_JZNS1_25segmented_radix_sort_implINS0_14default_configELb1EPKfPfPKlPlN2at6native12_GLOBAL__N_18offset_tEEE10hipError_tPvRmT1_PNSt15iterator_traitsISY_E10value_typeET2_T3_PNSZ_IS14_E10value_typeET4_jRbjT5_S1A_jjP12ihipStream_tbEUljE_EEESV_SW_SX_S14_S18_S1A_T6_T7_T9_mT8_S1C_bDpT10_ENKUlT_T0_E_clISt17integral_constantIbLb1EES1P_EEDaS1K_S1L_EUlS1K_E_NS1_11comp_targetILNS1_3genE5ELNS1_11target_archE942ELNS1_3gpuE9ELNS1_3repE0EEENS1_30default_config_static_selectorELNS0_4arch9wavefront6targetE0EEEvSY_
	.p2align	8
	.type	_ZN7rocprim17ROCPRIM_400000_NS6detail17trampoline_kernelINS0_13select_configILj256ELj13ELNS0_17block_load_methodE3ELS4_3ELS4_3ELNS0_20block_scan_algorithmE0ELj4294967295EEENS1_25partition_config_selectorILNS1_17partition_subalgoE3EjNS0_10empty_typeEbEEZZNS1_14partition_implILS8_3ELb0ES6_jNS0_17counting_iteratorIjlEEPS9_SE_NS0_5tupleIJPjSE_EEENSF_IJSE_SE_EEES9_SG_JZNS1_25segmented_radix_sort_implINS0_14default_configELb1EPKfPfPKlPlN2at6native12_GLOBAL__N_18offset_tEEE10hipError_tPvRmT1_PNSt15iterator_traitsISY_E10value_typeET2_T3_PNSZ_IS14_E10value_typeET4_jRbjT5_S1A_jjP12ihipStream_tbEUljE_EEESV_SW_SX_S14_S18_S1A_T6_T7_T9_mT8_S1C_bDpT10_ENKUlT_T0_E_clISt17integral_constantIbLb1EES1P_EEDaS1K_S1L_EUlS1K_E_NS1_11comp_targetILNS1_3genE5ELNS1_11target_archE942ELNS1_3gpuE9ELNS1_3repE0EEENS1_30default_config_static_selectorELNS0_4arch9wavefront6targetE0EEEvSY_,@function
_ZN7rocprim17ROCPRIM_400000_NS6detail17trampoline_kernelINS0_13select_configILj256ELj13ELNS0_17block_load_methodE3ELS4_3ELS4_3ELNS0_20block_scan_algorithmE0ELj4294967295EEENS1_25partition_config_selectorILNS1_17partition_subalgoE3EjNS0_10empty_typeEbEEZZNS1_14partition_implILS8_3ELb0ES6_jNS0_17counting_iteratorIjlEEPS9_SE_NS0_5tupleIJPjSE_EEENSF_IJSE_SE_EEES9_SG_JZNS1_25segmented_radix_sort_implINS0_14default_configELb1EPKfPfPKlPlN2at6native12_GLOBAL__N_18offset_tEEE10hipError_tPvRmT1_PNSt15iterator_traitsISY_E10value_typeET2_T3_PNSZ_IS14_E10value_typeET4_jRbjT5_S1A_jjP12ihipStream_tbEUljE_EEESV_SW_SX_S14_S18_S1A_T6_T7_T9_mT8_S1C_bDpT10_ENKUlT_T0_E_clISt17integral_constantIbLb1EES1P_EEDaS1K_S1L_EUlS1K_E_NS1_11comp_targetILNS1_3genE5ELNS1_11target_archE942ELNS1_3gpuE9ELNS1_3repE0EEENS1_30default_config_static_selectorELNS0_4arch9wavefront6targetE0EEEvSY_: ; @_ZN7rocprim17ROCPRIM_400000_NS6detail17trampoline_kernelINS0_13select_configILj256ELj13ELNS0_17block_load_methodE3ELS4_3ELS4_3ELNS0_20block_scan_algorithmE0ELj4294967295EEENS1_25partition_config_selectorILNS1_17partition_subalgoE3EjNS0_10empty_typeEbEEZZNS1_14partition_implILS8_3ELb0ES6_jNS0_17counting_iteratorIjlEEPS9_SE_NS0_5tupleIJPjSE_EEENSF_IJSE_SE_EEES9_SG_JZNS1_25segmented_radix_sort_implINS0_14default_configELb1EPKfPfPKlPlN2at6native12_GLOBAL__N_18offset_tEEE10hipError_tPvRmT1_PNSt15iterator_traitsISY_E10value_typeET2_T3_PNSZ_IS14_E10value_typeET4_jRbjT5_S1A_jjP12ihipStream_tbEUljE_EEESV_SW_SX_S14_S18_S1A_T6_T7_T9_mT8_S1C_bDpT10_ENKUlT_T0_E_clISt17integral_constantIbLb1EES1P_EEDaS1K_S1L_EUlS1K_E_NS1_11comp_targetILNS1_3genE5ELNS1_11target_archE942ELNS1_3gpuE9ELNS1_3repE0EEENS1_30default_config_static_selectorELNS0_4arch9wavefront6targetE0EEEvSY_
; %bb.0:
	.section	.rodata,"a",@progbits
	.p2align	6, 0x0
	.amdhsa_kernel _ZN7rocprim17ROCPRIM_400000_NS6detail17trampoline_kernelINS0_13select_configILj256ELj13ELNS0_17block_load_methodE3ELS4_3ELS4_3ELNS0_20block_scan_algorithmE0ELj4294967295EEENS1_25partition_config_selectorILNS1_17partition_subalgoE3EjNS0_10empty_typeEbEEZZNS1_14partition_implILS8_3ELb0ES6_jNS0_17counting_iteratorIjlEEPS9_SE_NS0_5tupleIJPjSE_EEENSF_IJSE_SE_EEES9_SG_JZNS1_25segmented_radix_sort_implINS0_14default_configELb1EPKfPfPKlPlN2at6native12_GLOBAL__N_18offset_tEEE10hipError_tPvRmT1_PNSt15iterator_traitsISY_E10value_typeET2_T3_PNSZ_IS14_E10value_typeET4_jRbjT5_S1A_jjP12ihipStream_tbEUljE_EEESV_SW_SX_S14_S18_S1A_T6_T7_T9_mT8_S1C_bDpT10_ENKUlT_T0_E_clISt17integral_constantIbLb1EES1P_EEDaS1K_S1L_EUlS1K_E_NS1_11comp_targetILNS1_3genE5ELNS1_11target_archE942ELNS1_3gpuE9ELNS1_3repE0EEENS1_30default_config_static_selectorELNS0_4arch9wavefront6targetE0EEEvSY_
		.amdhsa_group_segment_fixed_size 0
		.amdhsa_private_segment_fixed_size 0
		.amdhsa_kernarg_size 152
		.amdhsa_user_sgpr_count 15
		.amdhsa_user_sgpr_dispatch_ptr 0
		.amdhsa_user_sgpr_queue_ptr 0
		.amdhsa_user_sgpr_kernarg_segment_ptr 1
		.amdhsa_user_sgpr_dispatch_id 0
		.amdhsa_user_sgpr_private_segment_size 0
		.amdhsa_wavefront_size32 1
		.amdhsa_uses_dynamic_stack 0
		.amdhsa_enable_private_segment 0
		.amdhsa_system_sgpr_workgroup_id_x 1
		.amdhsa_system_sgpr_workgroup_id_y 0
		.amdhsa_system_sgpr_workgroup_id_z 0
		.amdhsa_system_sgpr_workgroup_info 0
		.amdhsa_system_vgpr_workitem_id 0
		.amdhsa_next_free_vgpr 1
		.amdhsa_next_free_sgpr 1
		.amdhsa_reserve_vcc 0
		.amdhsa_float_round_mode_32 0
		.amdhsa_float_round_mode_16_64 0
		.amdhsa_float_denorm_mode_32 3
		.amdhsa_float_denorm_mode_16_64 3
		.amdhsa_dx10_clamp 1
		.amdhsa_ieee_mode 1
		.amdhsa_fp16_overflow 0
		.amdhsa_workgroup_processor_mode 1
		.amdhsa_memory_ordered 1
		.amdhsa_forward_progress 0
		.amdhsa_shared_vgpr_count 0
		.amdhsa_exception_fp_ieee_invalid_op 0
		.amdhsa_exception_fp_denorm_src 0
		.amdhsa_exception_fp_ieee_div_zero 0
		.amdhsa_exception_fp_ieee_overflow 0
		.amdhsa_exception_fp_ieee_underflow 0
		.amdhsa_exception_fp_ieee_inexact 0
		.amdhsa_exception_int_div_zero 0
	.end_amdhsa_kernel
	.section	.text._ZN7rocprim17ROCPRIM_400000_NS6detail17trampoline_kernelINS0_13select_configILj256ELj13ELNS0_17block_load_methodE3ELS4_3ELS4_3ELNS0_20block_scan_algorithmE0ELj4294967295EEENS1_25partition_config_selectorILNS1_17partition_subalgoE3EjNS0_10empty_typeEbEEZZNS1_14partition_implILS8_3ELb0ES6_jNS0_17counting_iteratorIjlEEPS9_SE_NS0_5tupleIJPjSE_EEENSF_IJSE_SE_EEES9_SG_JZNS1_25segmented_radix_sort_implINS0_14default_configELb1EPKfPfPKlPlN2at6native12_GLOBAL__N_18offset_tEEE10hipError_tPvRmT1_PNSt15iterator_traitsISY_E10value_typeET2_T3_PNSZ_IS14_E10value_typeET4_jRbjT5_S1A_jjP12ihipStream_tbEUljE_EEESV_SW_SX_S14_S18_S1A_T6_T7_T9_mT8_S1C_bDpT10_ENKUlT_T0_E_clISt17integral_constantIbLb1EES1P_EEDaS1K_S1L_EUlS1K_E_NS1_11comp_targetILNS1_3genE5ELNS1_11target_archE942ELNS1_3gpuE9ELNS1_3repE0EEENS1_30default_config_static_selectorELNS0_4arch9wavefront6targetE0EEEvSY_,"axG",@progbits,_ZN7rocprim17ROCPRIM_400000_NS6detail17trampoline_kernelINS0_13select_configILj256ELj13ELNS0_17block_load_methodE3ELS4_3ELS4_3ELNS0_20block_scan_algorithmE0ELj4294967295EEENS1_25partition_config_selectorILNS1_17partition_subalgoE3EjNS0_10empty_typeEbEEZZNS1_14partition_implILS8_3ELb0ES6_jNS0_17counting_iteratorIjlEEPS9_SE_NS0_5tupleIJPjSE_EEENSF_IJSE_SE_EEES9_SG_JZNS1_25segmented_radix_sort_implINS0_14default_configELb1EPKfPfPKlPlN2at6native12_GLOBAL__N_18offset_tEEE10hipError_tPvRmT1_PNSt15iterator_traitsISY_E10value_typeET2_T3_PNSZ_IS14_E10value_typeET4_jRbjT5_S1A_jjP12ihipStream_tbEUljE_EEESV_SW_SX_S14_S18_S1A_T6_T7_T9_mT8_S1C_bDpT10_ENKUlT_T0_E_clISt17integral_constantIbLb1EES1P_EEDaS1K_S1L_EUlS1K_E_NS1_11comp_targetILNS1_3genE5ELNS1_11target_archE942ELNS1_3gpuE9ELNS1_3repE0EEENS1_30default_config_static_selectorELNS0_4arch9wavefront6targetE0EEEvSY_,comdat
.Lfunc_end1302:
	.size	_ZN7rocprim17ROCPRIM_400000_NS6detail17trampoline_kernelINS0_13select_configILj256ELj13ELNS0_17block_load_methodE3ELS4_3ELS4_3ELNS0_20block_scan_algorithmE0ELj4294967295EEENS1_25partition_config_selectorILNS1_17partition_subalgoE3EjNS0_10empty_typeEbEEZZNS1_14partition_implILS8_3ELb0ES6_jNS0_17counting_iteratorIjlEEPS9_SE_NS0_5tupleIJPjSE_EEENSF_IJSE_SE_EEES9_SG_JZNS1_25segmented_radix_sort_implINS0_14default_configELb1EPKfPfPKlPlN2at6native12_GLOBAL__N_18offset_tEEE10hipError_tPvRmT1_PNSt15iterator_traitsISY_E10value_typeET2_T3_PNSZ_IS14_E10value_typeET4_jRbjT5_S1A_jjP12ihipStream_tbEUljE_EEESV_SW_SX_S14_S18_S1A_T6_T7_T9_mT8_S1C_bDpT10_ENKUlT_T0_E_clISt17integral_constantIbLb1EES1P_EEDaS1K_S1L_EUlS1K_E_NS1_11comp_targetILNS1_3genE5ELNS1_11target_archE942ELNS1_3gpuE9ELNS1_3repE0EEENS1_30default_config_static_selectorELNS0_4arch9wavefront6targetE0EEEvSY_, .Lfunc_end1302-_ZN7rocprim17ROCPRIM_400000_NS6detail17trampoline_kernelINS0_13select_configILj256ELj13ELNS0_17block_load_methodE3ELS4_3ELS4_3ELNS0_20block_scan_algorithmE0ELj4294967295EEENS1_25partition_config_selectorILNS1_17partition_subalgoE3EjNS0_10empty_typeEbEEZZNS1_14partition_implILS8_3ELb0ES6_jNS0_17counting_iteratorIjlEEPS9_SE_NS0_5tupleIJPjSE_EEENSF_IJSE_SE_EEES9_SG_JZNS1_25segmented_radix_sort_implINS0_14default_configELb1EPKfPfPKlPlN2at6native12_GLOBAL__N_18offset_tEEE10hipError_tPvRmT1_PNSt15iterator_traitsISY_E10value_typeET2_T3_PNSZ_IS14_E10value_typeET4_jRbjT5_S1A_jjP12ihipStream_tbEUljE_EEESV_SW_SX_S14_S18_S1A_T6_T7_T9_mT8_S1C_bDpT10_ENKUlT_T0_E_clISt17integral_constantIbLb1EES1P_EEDaS1K_S1L_EUlS1K_E_NS1_11comp_targetILNS1_3genE5ELNS1_11target_archE942ELNS1_3gpuE9ELNS1_3repE0EEENS1_30default_config_static_selectorELNS0_4arch9wavefront6targetE0EEEvSY_
                                        ; -- End function
	.section	.AMDGPU.csdata,"",@progbits
; Kernel info:
; codeLenInByte = 0
; NumSgprs: 0
; NumVgprs: 0
; ScratchSize: 0
; MemoryBound: 0
; FloatMode: 240
; IeeeMode: 1
; LDSByteSize: 0 bytes/workgroup (compile time only)
; SGPRBlocks: 0
; VGPRBlocks: 0
; NumSGPRsForWavesPerEU: 1
; NumVGPRsForWavesPerEU: 1
; Occupancy: 16
; WaveLimiterHint : 0
; COMPUTE_PGM_RSRC2:SCRATCH_EN: 0
; COMPUTE_PGM_RSRC2:USER_SGPR: 15
; COMPUTE_PGM_RSRC2:TRAP_HANDLER: 0
; COMPUTE_PGM_RSRC2:TGID_X_EN: 1
; COMPUTE_PGM_RSRC2:TGID_Y_EN: 0
; COMPUTE_PGM_RSRC2:TGID_Z_EN: 0
; COMPUTE_PGM_RSRC2:TIDIG_COMP_CNT: 0
	.section	.text._ZN7rocprim17ROCPRIM_400000_NS6detail17trampoline_kernelINS0_13select_configILj256ELj13ELNS0_17block_load_methodE3ELS4_3ELS4_3ELNS0_20block_scan_algorithmE0ELj4294967295EEENS1_25partition_config_selectorILNS1_17partition_subalgoE3EjNS0_10empty_typeEbEEZZNS1_14partition_implILS8_3ELb0ES6_jNS0_17counting_iteratorIjlEEPS9_SE_NS0_5tupleIJPjSE_EEENSF_IJSE_SE_EEES9_SG_JZNS1_25segmented_radix_sort_implINS0_14default_configELb1EPKfPfPKlPlN2at6native12_GLOBAL__N_18offset_tEEE10hipError_tPvRmT1_PNSt15iterator_traitsISY_E10value_typeET2_T3_PNSZ_IS14_E10value_typeET4_jRbjT5_S1A_jjP12ihipStream_tbEUljE_EEESV_SW_SX_S14_S18_S1A_T6_T7_T9_mT8_S1C_bDpT10_ENKUlT_T0_E_clISt17integral_constantIbLb1EES1P_EEDaS1K_S1L_EUlS1K_E_NS1_11comp_targetILNS1_3genE4ELNS1_11target_archE910ELNS1_3gpuE8ELNS1_3repE0EEENS1_30default_config_static_selectorELNS0_4arch9wavefront6targetE0EEEvSY_,"axG",@progbits,_ZN7rocprim17ROCPRIM_400000_NS6detail17trampoline_kernelINS0_13select_configILj256ELj13ELNS0_17block_load_methodE3ELS4_3ELS4_3ELNS0_20block_scan_algorithmE0ELj4294967295EEENS1_25partition_config_selectorILNS1_17partition_subalgoE3EjNS0_10empty_typeEbEEZZNS1_14partition_implILS8_3ELb0ES6_jNS0_17counting_iteratorIjlEEPS9_SE_NS0_5tupleIJPjSE_EEENSF_IJSE_SE_EEES9_SG_JZNS1_25segmented_radix_sort_implINS0_14default_configELb1EPKfPfPKlPlN2at6native12_GLOBAL__N_18offset_tEEE10hipError_tPvRmT1_PNSt15iterator_traitsISY_E10value_typeET2_T3_PNSZ_IS14_E10value_typeET4_jRbjT5_S1A_jjP12ihipStream_tbEUljE_EEESV_SW_SX_S14_S18_S1A_T6_T7_T9_mT8_S1C_bDpT10_ENKUlT_T0_E_clISt17integral_constantIbLb1EES1P_EEDaS1K_S1L_EUlS1K_E_NS1_11comp_targetILNS1_3genE4ELNS1_11target_archE910ELNS1_3gpuE8ELNS1_3repE0EEENS1_30default_config_static_selectorELNS0_4arch9wavefront6targetE0EEEvSY_,comdat
	.globl	_ZN7rocprim17ROCPRIM_400000_NS6detail17trampoline_kernelINS0_13select_configILj256ELj13ELNS0_17block_load_methodE3ELS4_3ELS4_3ELNS0_20block_scan_algorithmE0ELj4294967295EEENS1_25partition_config_selectorILNS1_17partition_subalgoE3EjNS0_10empty_typeEbEEZZNS1_14partition_implILS8_3ELb0ES6_jNS0_17counting_iteratorIjlEEPS9_SE_NS0_5tupleIJPjSE_EEENSF_IJSE_SE_EEES9_SG_JZNS1_25segmented_radix_sort_implINS0_14default_configELb1EPKfPfPKlPlN2at6native12_GLOBAL__N_18offset_tEEE10hipError_tPvRmT1_PNSt15iterator_traitsISY_E10value_typeET2_T3_PNSZ_IS14_E10value_typeET4_jRbjT5_S1A_jjP12ihipStream_tbEUljE_EEESV_SW_SX_S14_S18_S1A_T6_T7_T9_mT8_S1C_bDpT10_ENKUlT_T0_E_clISt17integral_constantIbLb1EES1P_EEDaS1K_S1L_EUlS1K_E_NS1_11comp_targetILNS1_3genE4ELNS1_11target_archE910ELNS1_3gpuE8ELNS1_3repE0EEENS1_30default_config_static_selectorELNS0_4arch9wavefront6targetE0EEEvSY_ ; -- Begin function _ZN7rocprim17ROCPRIM_400000_NS6detail17trampoline_kernelINS0_13select_configILj256ELj13ELNS0_17block_load_methodE3ELS4_3ELS4_3ELNS0_20block_scan_algorithmE0ELj4294967295EEENS1_25partition_config_selectorILNS1_17partition_subalgoE3EjNS0_10empty_typeEbEEZZNS1_14partition_implILS8_3ELb0ES6_jNS0_17counting_iteratorIjlEEPS9_SE_NS0_5tupleIJPjSE_EEENSF_IJSE_SE_EEES9_SG_JZNS1_25segmented_radix_sort_implINS0_14default_configELb1EPKfPfPKlPlN2at6native12_GLOBAL__N_18offset_tEEE10hipError_tPvRmT1_PNSt15iterator_traitsISY_E10value_typeET2_T3_PNSZ_IS14_E10value_typeET4_jRbjT5_S1A_jjP12ihipStream_tbEUljE_EEESV_SW_SX_S14_S18_S1A_T6_T7_T9_mT8_S1C_bDpT10_ENKUlT_T0_E_clISt17integral_constantIbLb1EES1P_EEDaS1K_S1L_EUlS1K_E_NS1_11comp_targetILNS1_3genE4ELNS1_11target_archE910ELNS1_3gpuE8ELNS1_3repE0EEENS1_30default_config_static_selectorELNS0_4arch9wavefront6targetE0EEEvSY_
	.p2align	8
	.type	_ZN7rocprim17ROCPRIM_400000_NS6detail17trampoline_kernelINS0_13select_configILj256ELj13ELNS0_17block_load_methodE3ELS4_3ELS4_3ELNS0_20block_scan_algorithmE0ELj4294967295EEENS1_25partition_config_selectorILNS1_17partition_subalgoE3EjNS0_10empty_typeEbEEZZNS1_14partition_implILS8_3ELb0ES6_jNS0_17counting_iteratorIjlEEPS9_SE_NS0_5tupleIJPjSE_EEENSF_IJSE_SE_EEES9_SG_JZNS1_25segmented_radix_sort_implINS0_14default_configELb1EPKfPfPKlPlN2at6native12_GLOBAL__N_18offset_tEEE10hipError_tPvRmT1_PNSt15iterator_traitsISY_E10value_typeET2_T3_PNSZ_IS14_E10value_typeET4_jRbjT5_S1A_jjP12ihipStream_tbEUljE_EEESV_SW_SX_S14_S18_S1A_T6_T7_T9_mT8_S1C_bDpT10_ENKUlT_T0_E_clISt17integral_constantIbLb1EES1P_EEDaS1K_S1L_EUlS1K_E_NS1_11comp_targetILNS1_3genE4ELNS1_11target_archE910ELNS1_3gpuE8ELNS1_3repE0EEENS1_30default_config_static_selectorELNS0_4arch9wavefront6targetE0EEEvSY_,@function
_ZN7rocprim17ROCPRIM_400000_NS6detail17trampoline_kernelINS0_13select_configILj256ELj13ELNS0_17block_load_methodE3ELS4_3ELS4_3ELNS0_20block_scan_algorithmE0ELj4294967295EEENS1_25partition_config_selectorILNS1_17partition_subalgoE3EjNS0_10empty_typeEbEEZZNS1_14partition_implILS8_3ELb0ES6_jNS0_17counting_iteratorIjlEEPS9_SE_NS0_5tupleIJPjSE_EEENSF_IJSE_SE_EEES9_SG_JZNS1_25segmented_radix_sort_implINS0_14default_configELb1EPKfPfPKlPlN2at6native12_GLOBAL__N_18offset_tEEE10hipError_tPvRmT1_PNSt15iterator_traitsISY_E10value_typeET2_T3_PNSZ_IS14_E10value_typeET4_jRbjT5_S1A_jjP12ihipStream_tbEUljE_EEESV_SW_SX_S14_S18_S1A_T6_T7_T9_mT8_S1C_bDpT10_ENKUlT_T0_E_clISt17integral_constantIbLb1EES1P_EEDaS1K_S1L_EUlS1K_E_NS1_11comp_targetILNS1_3genE4ELNS1_11target_archE910ELNS1_3gpuE8ELNS1_3repE0EEENS1_30default_config_static_selectorELNS0_4arch9wavefront6targetE0EEEvSY_: ; @_ZN7rocprim17ROCPRIM_400000_NS6detail17trampoline_kernelINS0_13select_configILj256ELj13ELNS0_17block_load_methodE3ELS4_3ELS4_3ELNS0_20block_scan_algorithmE0ELj4294967295EEENS1_25partition_config_selectorILNS1_17partition_subalgoE3EjNS0_10empty_typeEbEEZZNS1_14partition_implILS8_3ELb0ES6_jNS0_17counting_iteratorIjlEEPS9_SE_NS0_5tupleIJPjSE_EEENSF_IJSE_SE_EEES9_SG_JZNS1_25segmented_radix_sort_implINS0_14default_configELb1EPKfPfPKlPlN2at6native12_GLOBAL__N_18offset_tEEE10hipError_tPvRmT1_PNSt15iterator_traitsISY_E10value_typeET2_T3_PNSZ_IS14_E10value_typeET4_jRbjT5_S1A_jjP12ihipStream_tbEUljE_EEESV_SW_SX_S14_S18_S1A_T6_T7_T9_mT8_S1C_bDpT10_ENKUlT_T0_E_clISt17integral_constantIbLb1EES1P_EEDaS1K_S1L_EUlS1K_E_NS1_11comp_targetILNS1_3genE4ELNS1_11target_archE910ELNS1_3gpuE8ELNS1_3repE0EEENS1_30default_config_static_selectorELNS0_4arch9wavefront6targetE0EEEvSY_
; %bb.0:
	.section	.rodata,"a",@progbits
	.p2align	6, 0x0
	.amdhsa_kernel _ZN7rocprim17ROCPRIM_400000_NS6detail17trampoline_kernelINS0_13select_configILj256ELj13ELNS0_17block_load_methodE3ELS4_3ELS4_3ELNS0_20block_scan_algorithmE0ELj4294967295EEENS1_25partition_config_selectorILNS1_17partition_subalgoE3EjNS0_10empty_typeEbEEZZNS1_14partition_implILS8_3ELb0ES6_jNS0_17counting_iteratorIjlEEPS9_SE_NS0_5tupleIJPjSE_EEENSF_IJSE_SE_EEES9_SG_JZNS1_25segmented_radix_sort_implINS0_14default_configELb1EPKfPfPKlPlN2at6native12_GLOBAL__N_18offset_tEEE10hipError_tPvRmT1_PNSt15iterator_traitsISY_E10value_typeET2_T3_PNSZ_IS14_E10value_typeET4_jRbjT5_S1A_jjP12ihipStream_tbEUljE_EEESV_SW_SX_S14_S18_S1A_T6_T7_T9_mT8_S1C_bDpT10_ENKUlT_T0_E_clISt17integral_constantIbLb1EES1P_EEDaS1K_S1L_EUlS1K_E_NS1_11comp_targetILNS1_3genE4ELNS1_11target_archE910ELNS1_3gpuE8ELNS1_3repE0EEENS1_30default_config_static_selectorELNS0_4arch9wavefront6targetE0EEEvSY_
		.amdhsa_group_segment_fixed_size 0
		.amdhsa_private_segment_fixed_size 0
		.amdhsa_kernarg_size 152
		.amdhsa_user_sgpr_count 15
		.amdhsa_user_sgpr_dispatch_ptr 0
		.amdhsa_user_sgpr_queue_ptr 0
		.amdhsa_user_sgpr_kernarg_segment_ptr 1
		.amdhsa_user_sgpr_dispatch_id 0
		.amdhsa_user_sgpr_private_segment_size 0
		.amdhsa_wavefront_size32 1
		.amdhsa_uses_dynamic_stack 0
		.amdhsa_enable_private_segment 0
		.amdhsa_system_sgpr_workgroup_id_x 1
		.amdhsa_system_sgpr_workgroup_id_y 0
		.amdhsa_system_sgpr_workgroup_id_z 0
		.amdhsa_system_sgpr_workgroup_info 0
		.amdhsa_system_vgpr_workitem_id 0
		.amdhsa_next_free_vgpr 1
		.amdhsa_next_free_sgpr 1
		.amdhsa_reserve_vcc 0
		.amdhsa_float_round_mode_32 0
		.amdhsa_float_round_mode_16_64 0
		.amdhsa_float_denorm_mode_32 3
		.amdhsa_float_denorm_mode_16_64 3
		.amdhsa_dx10_clamp 1
		.amdhsa_ieee_mode 1
		.amdhsa_fp16_overflow 0
		.amdhsa_workgroup_processor_mode 1
		.amdhsa_memory_ordered 1
		.amdhsa_forward_progress 0
		.amdhsa_shared_vgpr_count 0
		.amdhsa_exception_fp_ieee_invalid_op 0
		.amdhsa_exception_fp_denorm_src 0
		.amdhsa_exception_fp_ieee_div_zero 0
		.amdhsa_exception_fp_ieee_overflow 0
		.amdhsa_exception_fp_ieee_underflow 0
		.amdhsa_exception_fp_ieee_inexact 0
		.amdhsa_exception_int_div_zero 0
	.end_amdhsa_kernel
	.section	.text._ZN7rocprim17ROCPRIM_400000_NS6detail17trampoline_kernelINS0_13select_configILj256ELj13ELNS0_17block_load_methodE3ELS4_3ELS4_3ELNS0_20block_scan_algorithmE0ELj4294967295EEENS1_25partition_config_selectorILNS1_17partition_subalgoE3EjNS0_10empty_typeEbEEZZNS1_14partition_implILS8_3ELb0ES6_jNS0_17counting_iteratorIjlEEPS9_SE_NS0_5tupleIJPjSE_EEENSF_IJSE_SE_EEES9_SG_JZNS1_25segmented_radix_sort_implINS0_14default_configELb1EPKfPfPKlPlN2at6native12_GLOBAL__N_18offset_tEEE10hipError_tPvRmT1_PNSt15iterator_traitsISY_E10value_typeET2_T3_PNSZ_IS14_E10value_typeET4_jRbjT5_S1A_jjP12ihipStream_tbEUljE_EEESV_SW_SX_S14_S18_S1A_T6_T7_T9_mT8_S1C_bDpT10_ENKUlT_T0_E_clISt17integral_constantIbLb1EES1P_EEDaS1K_S1L_EUlS1K_E_NS1_11comp_targetILNS1_3genE4ELNS1_11target_archE910ELNS1_3gpuE8ELNS1_3repE0EEENS1_30default_config_static_selectorELNS0_4arch9wavefront6targetE0EEEvSY_,"axG",@progbits,_ZN7rocprim17ROCPRIM_400000_NS6detail17trampoline_kernelINS0_13select_configILj256ELj13ELNS0_17block_load_methodE3ELS4_3ELS4_3ELNS0_20block_scan_algorithmE0ELj4294967295EEENS1_25partition_config_selectorILNS1_17partition_subalgoE3EjNS0_10empty_typeEbEEZZNS1_14partition_implILS8_3ELb0ES6_jNS0_17counting_iteratorIjlEEPS9_SE_NS0_5tupleIJPjSE_EEENSF_IJSE_SE_EEES9_SG_JZNS1_25segmented_radix_sort_implINS0_14default_configELb1EPKfPfPKlPlN2at6native12_GLOBAL__N_18offset_tEEE10hipError_tPvRmT1_PNSt15iterator_traitsISY_E10value_typeET2_T3_PNSZ_IS14_E10value_typeET4_jRbjT5_S1A_jjP12ihipStream_tbEUljE_EEESV_SW_SX_S14_S18_S1A_T6_T7_T9_mT8_S1C_bDpT10_ENKUlT_T0_E_clISt17integral_constantIbLb1EES1P_EEDaS1K_S1L_EUlS1K_E_NS1_11comp_targetILNS1_3genE4ELNS1_11target_archE910ELNS1_3gpuE8ELNS1_3repE0EEENS1_30default_config_static_selectorELNS0_4arch9wavefront6targetE0EEEvSY_,comdat
.Lfunc_end1303:
	.size	_ZN7rocprim17ROCPRIM_400000_NS6detail17trampoline_kernelINS0_13select_configILj256ELj13ELNS0_17block_load_methodE3ELS4_3ELS4_3ELNS0_20block_scan_algorithmE0ELj4294967295EEENS1_25partition_config_selectorILNS1_17partition_subalgoE3EjNS0_10empty_typeEbEEZZNS1_14partition_implILS8_3ELb0ES6_jNS0_17counting_iteratorIjlEEPS9_SE_NS0_5tupleIJPjSE_EEENSF_IJSE_SE_EEES9_SG_JZNS1_25segmented_radix_sort_implINS0_14default_configELb1EPKfPfPKlPlN2at6native12_GLOBAL__N_18offset_tEEE10hipError_tPvRmT1_PNSt15iterator_traitsISY_E10value_typeET2_T3_PNSZ_IS14_E10value_typeET4_jRbjT5_S1A_jjP12ihipStream_tbEUljE_EEESV_SW_SX_S14_S18_S1A_T6_T7_T9_mT8_S1C_bDpT10_ENKUlT_T0_E_clISt17integral_constantIbLb1EES1P_EEDaS1K_S1L_EUlS1K_E_NS1_11comp_targetILNS1_3genE4ELNS1_11target_archE910ELNS1_3gpuE8ELNS1_3repE0EEENS1_30default_config_static_selectorELNS0_4arch9wavefront6targetE0EEEvSY_, .Lfunc_end1303-_ZN7rocprim17ROCPRIM_400000_NS6detail17trampoline_kernelINS0_13select_configILj256ELj13ELNS0_17block_load_methodE3ELS4_3ELS4_3ELNS0_20block_scan_algorithmE0ELj4294967295EEENS1_25partition_config_selectorILNS1_17partition_subalgoE3EjNS0_10empty_typeEbEEZZNS1_14partition_implILS8_3ELb0ES6_jNS0_17counting_iteratorIjlEEPS9_SE_NS0_5tupleIJPjSE_EEENSF_IJSE_SE_EEES9_SG_JZNS1_25segmented_radix_sort_implINS0_14default_configELb1EPKfPfPKlPlN2at6native12_GLOBAL__N_18offset_tEEE10hipError_tPvRmT1_PNSt15iterator_traitsISY_E10value_typeET2_T3_PNSZ_IS14_E10value_typeET4_jRbjT5_S1A_jjP12ihipStream_tbEUljE_EEESV_SW_SX_S14_S18_S1A_T6_T7_T9_mT8_S1C_bDpT10_ENKUlT_T0_E_clISt17integral_constantIbLb1EES1P_EEDaS1K_S1L_EUlS1K_E_NS1_11comp_targetILNS1_3genE4ELNS1_11target_archE910ELNS1_3gpuE8ELNS1_3repE0EEENS1_30default_config_static_selectorELNS0_4arch9wavefront6targetE0EEEvSY_
                                        ; -- End function
	.section	.AMDGPU.csdata,"",@progbits
; Kernel info:
; codeLenInByte = 0
; NumSgprs: 0
; NumVgprs: 0
; ScratchSize: 0
; MemoryBound: 0
; FloatMode: 240
; IeeeMode: 1
; LDSByteSize: 0 bytes/workgroup (compile time only)
; SGPRBlocks: 0
; VGPRBlocks: 0
; NumSGPRsForWavesPerEU: 1
; NumVGPRsForWavesPerEU: 1
; Occupancy: 16
; WaveLimiterHint : 0
; COMPUTE_PGM_RSRC2:SCRATCH_EN: 0
; COMPUTE_PGM_RSRC2:USER_SGPR: 15
; COMPUTE_PGM_RSRC2:TRAP_HANDLER: 0
; COMPUTE_PGM_RSRC2:TGID_X_EN: 1
; COMPUTE_PGM_RSRC2:TGID_Y_EN: 0
; COMPUTE_PGM_RSRC2:TGID_Z_EN: 0
; COMPUTE_PGM_RSRC2:TIDIG_COMP_CNT: 0
	.section	.text._ZN7rocprim17ROCPRIM_400000_NS6detail17trampoline_kernelINS0_13select_configILj256ELj13ELNS0_17block_load_methodE3ELS4_3ELS4_3ELNS0_20block_scan_algorithmE0ELj4294967295EEENS1_25partition_config_selectorILNS1_17partition_subalgoE3EjNS0_10empty_typeEbEEZZNS1_14partition_implILS8_3ELb0ES6_jNS0_17counting_iteratorIjlEEPS9_SE_NS0_5tupleIJPjSE_EEENSF_IJSE_SE_EEES9_SG_JZNS1_25segmented_radix_sort_implINS0_14default_configELb1EPKfPfPKlPlN2at6native12_GLOBAL__N_18offset_tEEE10hipError_tPvRmT1_PNSt15iterator_traitsISY_E10value_typeET2_T3_PNSZ_IS14_E10value_typeET4_jRbjT5_S1A_jjP12ihipStream_tbEUljE_EEESV_SW_SX_S14_S18_S1A_T6_T7_T9_mT8_S1C_bDpT10_ENKUlT_T0_E_clISt17integral_constantIbLb1EES1P_EEDaS1K_S1L_EUlS1K_E_NS1_11comp_targetILNS1_3genE3ELNS1_11target_archE908ELNS1_3gpuE7ELNS1_3repE0EEENS1_30default_config_static_selectorELNS0_4arch9wavefront6targetE0EEEvSY_,"axG",@progbits,_ZN7rocprim17ROCPRIM_400000_NS6detail17trampoline_kernelINS0_13select_configILj256ELj13ELNS0_17block_load_methodE3ELS4_3ELS4_3ELNS0_20block_scan_algorithmE0ELj4294967295EEENS1_25partition_config_selectorILNS1_17partition_subalgoE3EjNS0_10empty_typeEbEEZZNS1_14partition_implILS8_3ELb0ES6_jNS0_17counting_iteratorIjlEEPS9_SE_NS0_5tupleIJPjSE_EEENSF_IJSE_SE_EEES9_SG_JZNS1_25segmented_radix_sort_implINS0_14default_configELb1EPKfPfPKlPlN2at6native12_GLOBAL__N_18offset_tEEE10hipError_tPvRmT1_PNSt15iterator_traitsISY_E10value_typeET2_T3_PNSZ_IS14_E10value_typeET4_jRbjT5_S1A_jjP12ihipStream_tbEUljE_EEESV_SW_SX_S14_S18_S1A_T6_T7_T9_mT8_S1C_bDpT10_ENKUlT_T0_E_clISt17integral_constantIbLb1EES1P_EEDaS1K_S1L_EUlS1K_E_NS1_11comp_targetILNS1_3genE3ELNS1_11target_archE908ELNS1_3gpuE7ELNS1_3repE0EEENS1_30default_config_static_selectorELNS0_4arch9wavefront6targetE0EEEvSY_,comdat
	.globl	_ZN7rocprim17ROCPRIM_400000_NS6detail17trampoline_kernelINS0_13select_configILj256ELj13ELNS0_17block_load_methodE3ELS4_3ELS4_3ELNS0_20block_scan_algorithmE0ELj4294967295EEENS1_25partition_config_selectorILNS1_17partition_subalgoE3EjNS0_10empty_typeEbEEZZNS1_14partition_implILS8_3ELb0ES6_jNS0_17counting_iteratorIjlEEPS9_SE_NS0_5tupleIJPjSE_EEENSF_IJSE_SE_EEES9_SG_JZNS1_25segmented_radix_sort_implINS0_14default_configELb1EPKfPfPKlPlN2at6native12_GLOBAL__N_18offset_tEEE10hipError_tPvRmT1_PNSt15iterator_traitsISY_E10value_typeET2_T3_PNSZ_IS14_E10value_typeET4_jRbjT5_S1A_jjP12ihipStream_tbEUljE_EEESV_SW_SX_S14_S18_S1A_T6_T7_T9_mT8_S1C_bDpT10_ENKUlT_T0_E_clISt17integral_constantIbLb1EES1P_EEDaS1K_S1L_EUlS1K_E_NS1_11comp_targetILNS1_3genE3ELNS1_11target_archE908ELNS1_3gpuE7ELNS1_3repE0EEENS1_30default_config_static_selectorELNS0_4arch9wavefront6targetE0EEEvSY_ ; -- Begin function _ZN7rocprim17ROCPRIM_400000_NS6detail17trampoline_kernelINS0_13select_configILj256ELj13ELNS0_17block_load_methodE3ELS4_3ELS4_3ELNS0_20block_scan_algorithmE0ELj4294967295EEENS1_25partition_config_selectorILNS1_17partition_subalgoE3EjNS0_10empty_typeEbEEZZNS1_14partition_implILS8_3ELb0ES6_jNS0_17counting_iteratorIjlEEPS9_SE_NS0_5tupleIJPjSE_EEENSF_IJSE_SE_EEES9_SG_JZNS1_25segmented_radix_sort_implINS0_14default_configELb1EPKfPfPKlPlN2at6native12_GLOBAL__N_18offset_tEEE10hipError_tPvRmT1_PNSt15iterator_traitsISY_E10value_typeET2_T3_PNSZ_IS14_E10value_typeET4_jRbjT5_S1A_jjP12ihipStream_tbEUljE_EEESV_SW_SX_S14_S18_S1A_T6_T7_T9_mT8_S1C_bDpT10_ENKUlT_T0_E_clISt17integral_constantIbLb1EES1P_EEDaS1K_S1L_EUlS1K_E_NS1_11comp_targetILNS1_3genE3ELNS1_11target_archE908ELNS1_3gpuE7ELNS1_3repE0EEENS1_30default_config_static_selectorELNS0_4arch9wavefront6targetE0EEEvSY_
	.p2align	8
	.type	_ZN7rocprim17ROCPRIM_400000_NS6detail17trampoline_kernelINS0_13select_configILj256ELj13ELNS0_17block_load_methodE3ELS4_3ELS4_3ELNS0_20block_scan_algorithmE0ELj4294967295EEENS1_25partition_config_selectorILNS1_17partition_subalgoE3EjNS0_10empty_typeEbEEZZNS1_14partition_implILS8_3ELb0ES6_jNS0_17counting_iteratorIjlEEPS9_SE_NS0_5tupleIJPjSE_EEENSF_IJSE_SE_EEES9_SG_JZNS1_25segmented_radix_sort_implINS0_14default_configELb1EPKfPfPKlPlN2at6native12_GLOBAL__N_18offset_tEEE10hipError_tPvRmT1_PNSt15iterator_traitsISY_E10value_typeET2_T3_PNSZ_IS14_E10value_typeET4_jRbjT5_S1A_jjP12ihipStream_tbEUljE_EEESV_SW_SX_S14_S18_S1A_T6_T7_T9_mT8_S1C_bDpT10_ENKUlT_T0_E_clISt17integral_constantIbLb1EES1P_EEDaS1K_S1L_EUlS1K_E_NS1_11comp_targetILNS1_3genE3ELNS1_11target_archE908ELNS1_3gpuE7ELNS1_3repE0EEENS1_30default_config_static_selectorELNS0_4arch9wavefront6targetE0EEEvSY_,@function
_ZN7rocprim17ROCPRIM_400000_NS6detail17trampoline_kernelINS0_13select_configILj256ELj13ELNS0_17block_load_methodE3ELS4_3ELS4_3ELNS0_20block_scan_algorithmE0ELj4294967295EEENS1_25partition_config_selectorILNS1_17partition_subalgoE3EjNS0_10empty_typeEbEEZZNS1_14partition_implILS8_3ELb0ES6_jNS0_17counting_iteratorIjlEEPS9_SE_NS0_5tupleIJPjSE_EEENSF_IJSE_SE_EEES9_SG_JZNS1_25segmented_radix_sort_implINS0_14default_configELb1EPKfPfPKlPlN2at6native12_GLOBAL__N_18offset_tEEE10hipError_tPvRmT1_PNSt15iterator_traitsISY_E10value_typeET2_T3_PNSZ_IS14_E10value_typeET4_jRbjT5_S1A_jjP12ihipStream_tbEUljE_EEESV_SW_SX_S14_S18_S1A_T6_T7_T9_mT8_S1C_bDpT10_ENKUlT_T0_E_clISt17integral_constantIbLb1EES1P_EEDaS1K_S1L_EUlS1K_E_NS1_11comp_targetILNS1_3genE3ELNS1_11target_archE908ELNS1_3gpuE7ELNS1_3repE0EEENS1_30default_config_static_selectorELNS0_4arch9wavefront6targetE0EEEvSY_: ; @_ZN7rocprim17ROCPRIM_400000_NS6detail17trampoline_kernelINS0_13select_configILj256ELj13ELNS0_17block_load_methodE3ELS4_3ELS4_3ELNS0_20block_scan_algorithmE0ELj4294967295EEENS1_25partition_config_selectorILNS1_17partition_subalgoE3EjNS0_10empty_typeEbEEZZNS1_14partition_implILS8_3ELb0ES6_jNS0_17counting_iteratorIjlEEPS9_SE_NS0_5tupleIJPjSE_EEENSF_IJSE_SE_EEES9_SG_JZNS1_25segmented_radix_sort_implINS0_14default_configELb1EPKfPfPKlPlN2at6native12_GLOBAL__N_18offset_tEEE10hipError_tPvRmT1_PNSt15iterator_traitsISY_E10value_typeET2_T3_PNSZ_IS14_E10value_typeET4_jRbjT5_S1A_jjP12ihipStream_tbEUljE_EEESV_SW_SX_S14_S18_S1A_T6_T7_T9_mT8_S1C_bDpT10_ENKUlT_T0_E_clISt17integral_constantIbLb1EES1P_EEDaS1K_S1L_EUlS1K_E_NS1_11comp_targetILNS1_3genE3ELNS1_11target_archE908ELNS1_3gpuE7ELNS1_3repE0EEENS1_30default_config_static_selectorELNS0_4arch9wavefront6targetE0EEEvSY_
; %bb.0:
	.section	.rodata,"a",@progbits
	.p2align	6, 0x0
	.amdhsa_kernel _ZN7rocprim17ROCPRIM_400000_NS6detail17trampoline_kernelINS0_13select_configILj256ELj13ELNS0_17block_load_methodE3ELS4_3ELS4_3ELNS0_20block_scan_algorithmE0ELj4294967295EEENS1_25partition_config_selectorILNS1_17partition_subalgoE3EjNS0_10empty_typeEbEEZZNS1_14partition_implILS8_3ELb0ES6_jNS0_17counting_iteratorIjlEEPS9_SE_NS0_5tupleIJPjSE_EEENSF_IJSE_SE_EEES9_SG_JZNS1_25segmented_radix_sort_implINS0_14default_configELb1EPKfPfPKlPlN2at6native12_GLOBAL__N_18offset_tEEE10hipError_tPvRmT1_PNSt15iterator_traitsISY_E10value_typeET2_T3_PNSZ_IS14_E10value_typeET4_jRbjT5_S1A_jjP12ihipStream_tbEUljE_EEESV_SW_SX_S14_S18_S1A_T6_T7_T9_mT8_S1C_bDpT10_ENKUlT_T0_E_clISt17integral_constantIbLb1EES1P_EEDaS1K_S1L_EUlS1K_E_NS1_11comp_targetILNS1_3genE3ELNS1_11target_archE908ELNS1_3gpuE7ELNS1_3repE0EEENS1_30default_config_static_selectorELNS0_4arch9wavefront6targetE0EEEvSY_
		.amdhsa_group_segment_fixed_size 0
		.amdhsa_private_segment_fixed_size 0
		.amdhsa_kernarg_size 152
		.amdhsa_user_sgpr_count 15
		.amdhsa_user_sgpr_dispatch_ptr 0
		.amdhsa_user_sgpr_queue_ptr 0
		.amdhsa_user_sgpr_kernarg_segment_ptr 1
		.amdhsa_user_sgpr_dispatch_id 0
		.amdhsa_user_sgpr_private_segment_size 0
		.amdhsa_wavefront_size32 1
		.amdhsa_uses_dynamic_stack 0
		.amdhsa_enable_private_segment 0
		.amdhsa_system_sgpr_workgroup_id_x 1
		.amdhsa_system_sgpr_workgroup_id_y 0
		.amdhsa_system_sgpr_workgroup_id_z 0
		.amdhsa_system_sgpr_workgroup_info 0
		.amdhsa_system_vgpr_workitem_id 0
		.amdhsa_next_free_vgpr 1
		.amdhsa_next_free_sgpr 1
		.amdhsa_reserve_vcc 0
		.amdhsa_float_round_mode_32 0
		.amdhsa_float_round_mode_16_64 0
		.amdhsa_float_denorm_mode_32 3
		.amdhsa_float_denorm_mode_16_64 3
		.amdhsa_dx10_clamp 1
		.amdhsa_ieee_mode 1
		.amdhsa_fp16_overflow 0
		.amdhsa_workgroup_processor_mode 1
		.amdhsa_memory_ordered 1
		.amdhsa_forward_progress 0
		.amdhsa_shared_vgpr_count 0
		.amdhsa_exception_fp_ieee_invalid_op 0
		.amdhsa_exception_fp_denorm_src 0
		.amdhsa_exception_fp_ieee_div_zero 0
		.amdhsa_exception_fp_ieee_overflow 0
		.amdhsa_exception_fp_ieee_underflow 0
		.amdhsa_exception_fp_ieee_inexact 0
		.amdhsa_exception_int_div_zero 0
	.end_amdhsa_kernel
	.section	.text._ZN7rocprim17ROCPRIM_400000_NS6detail17trampoline_kernelINS0_13select_configILj256ELj13ELNS0_17block_load_methodE3ELS4_3ELS4_3ELNS0_20block_scan_algorithmE0ELj4294967295EEENS1_25partition_config_selectorILNS1_17partition_subalgoE3EjNS0_10empty_typeEbEEZZNS1_14partition_implILS8_3ELb0ES6_jNS0_17counting_iteratorIjlEEPS9_SE_NS0_5tupleIJPjSE_EEENSF_IJSE_SE_EEES9_SG_JZNS1_25segmented_radix_sort_implINS0_14default_configELb1EPKfPfPKlPlN2at6native12_GLOBAL__N_18offset_tEEE10hipError_tPvRmT1_PNSt15iterator_traitsISY_E10value_typeET2_T3_PNSZ_IS14_E10value_typeET4_jRbjT5_S1A_jjP12ihipStream_tbEUljE_EEESV_SW_SX_S14_S18_S1A_T6_T7_T9_mT8_S1C_bDpT10_ENKUlT_T0_E_clISt17integral_constantIbLb1EES1P_EEDaS1K_S1L_EUlS1K_E_NS1_11comp_targetILNS1_3genE3ELNS1_11target_archE908ELNS1_3gpuE7ELNS1_3repE0EEENS1_30default_config_static_selectorELNS0_4arch9wavefront6targetE0EEEvSY_,"axG",@progbits,_ZN7rocprim17ROCPRIM_400000_NS6detail17trampoline_kernelINS0_13select_configILj256ELj13ELNS0_17block_load_methodE3ELS4_3ELS4_3ELNS0_20block_scan_algorithmE0ELj4294967295EEENS1_25partition_config_selectorILNS1_17partition_subalgoE3EjNS0_10empty_typeEbEEZZNS1_14partition_implILS8_3ELb0ES6_jNS0_17counting_iteratorIjlEEPS9_SE_NS0_5tupleIJPjSE_EEENSF_IJSE_SE_EEES9_SG_JZNS1_25segmented_radix_sort_implINS0_14default_configELb1EPKfPfPKlPlN2at6native12_GLOBAL__N_18offset_tEEE10hipError_tPvRmT1_PNSt15iterator_traitsISY_E10value_typeET2_T3_PNSZ_IS14_E10value_typeET4_jRbjT5_S1A_jjP12ihipStream_tbEUljE_EEESV_SW_SX_S14_S18_S1A_T6_T7_T9_mT8_S1C_bDpT10_ENKUlT_T0_E_clISt17integral_constantIbLb1EES1P_EEDaS1K_S1L_EUlS1K_E_NS1_11comp_targetILNS1_3genE3ELNS1_11target_archE908ELNS1_3gpuE7ELNS1_3repE0EEENS1_30default_config_static_selectorELNS0_4arch9wavefront6targetE0EEEvSY_,comdat
.Lfunc_end1304:
	.size	_ZN7rocprim17ROCPRIM_400000_NS6detail17trampoline_kernelINS0_13select_configILj256ELj13ELNS0_17block_load_methodE3ELS4_3ELS4_3ELNS0_20block_scan_algorithmE0ELj4294967295EEENS1_25partition_config_selectorILNS1_17partition_subalgoE3EjNS0_10empty_typeEbEEZZNS1_14partition_implILS8_3ELb0ES6_jNS0_17counting_iteratorIjlEEPS9_SE_NS0_5tupleIJPjSE_EEENSF_IJSE_SE_EEES9_SG_JZNS1_25segmented_radix_sort_implINS0_14default_configELb1EPKfPfPKlPlN2at6native12_GLOBAL__N_18offset_tEEE10hipError_tPvRmT1_PNSt15iterator_traitsISY_E10value_typeET2_T3_PNSZ_IS14_E10value_typeET4_jRbjT5_S1A_jjP12ihipStream_tbEUljE_EEESV_SW_SX_S14_S18_S1A_T6_T7_T9_mT8_S1C_bDpT10_ENKUlT_T0_E_clISt17integral_constantIbLb1EES1P_EEDaS1K_S1L_EUlS1K_E_NS1_11comp_targetILNS1_3genE3ELNS1_11target_archE908ELNS1_3gpuE7ELNS1_3repE0EEENS1_30default_config_static_selectorELNS0_4arch9wavefront6targetE0EEEvSY_, .Lfunc_end1304-_ZN7rocprim17ROCPRIM_400000_NS6detail17trampoline_kernelINS0_13select_configILj256ELj13ELNS0_17block_load_methodE3ELS4_3ELS4_3ELNS0_20block_scan_algorithmE0ELj4294967295EEENS1_25partition_config_selectorILNS1_17partition_subalgoE3EjNS0_10empty_typeEbEEZZNS1_14partition_implILS8_3ELb0ES6_jNS0_17counting_iteratorIjlEEPS9_SE_NS0_5tupleIJPjSE_EEENSF_IJSE_SE_EEES9_SG_JZNS1_25segmented_radix_sort_implINS0_14default_configELb1EPKfPfPKlPlN2at6native12_GLOBAL__N_18offset_tEEE10hipError_tPvRmT1_PNSt15iterator_traitsISY_E10value_typeET2_T3_PNSZ_IS14_E10value_typeET4_jRbjT5_S1A_jjP12ihipStream_tbEUljE_EEESV_SW_SX_S14_S18_S1A_T6_T7_T9_mT8_S1C_bDpT10_ENKUlT_T0_E_clISt17integral_constantIbLb1EES1P_EEDaS1K_S1L_EUlS1K_E_NS1_11comp_targetILNS1_3genE3ELNS1_11target_archE908ELNS1_3gpuE7ELNS1_3repE0EEENS1_30default_config_static_selectorELNS0_4arch9wavefront6targetE0EEEvSY_
                                        ; -- End function
	.section	.AMDGPU.csdata,"",@progbits
; Kernel info:
; codeLenInByte = 0
; NumSgprs: 0
; NumVgprs: 0
; ScratchSize: 0
; MemoryBound: 0
; FloatMode: 240
; IeeeMode: 1
; LDSByteSize: 0 bytes/workgroup (compile time only)
; SGPRBlocks: 0
; VGPRBlocks: 0
; NumSGPRsForWavesPerEU: 1
; NumVGPRsForWavesPerEU: 1
; Occupancy: 16
; WaveLimiterHint : 0
; COMPUTE_PGM_RSRC2:SCRATCH_EN: 0
; COMPUTE_PGM_RSRC2:USER_SGPR: 15
; COMPUTE_PGM_RSRC2:TRAP_HANDLER: 0
; COMPUTE_PGM_RSRC2:TGID_X_EN: 1
; COMPUTE_PGM_RSRC2:TGID_Y_EN: 0
; COMPUTE_PGM_RSRC2:TGID_Z_EN: 0
; COMPUTE_PGM_RSRC2:TIDIG_COMP_CNT: 0
	.section	.text._ZN7rocprim17ROCPRIM_400000_NS6detail17trampoline_kernelINS0_13select_configILj256ELj13ELNS0_17block_load_methodE3ELS4_3ELS4_3ELNS0_20block_scan_algorithmE0ELj4294967295EEENS1_25partition_config_selectorILNS1_17partition_subalgoE3EjNS0_10empty_typeEbEEZZNS1_14partition_implILS8_3ELb0ES6_jNS0_17counting_iteratorIjlEEPS9_SE_NS0_5tupleIJPjSE_EEENSF_IJSE_SE_EEES9_SG_JZNS1_25segmented_radix_sort_implINS0_14default_configELb1EPKfPfPKlPlN2at6native12_GLOBAL__N_18offset_tEEE10hipError_tPvRmT1_PNSt15iterator_traitsISY_E10value_typeET2_T3_PNSZ_IS14_E10value_typeET4_jRbjT5_S1A_jjP12ihipStream_tbEUljE_EEESV_SW_SX_S14_S18_S1A_T6_T7_T9_mT8_S1C_bDpT10_ENKUlT_T0_E_clISt17integral_constantIbLb1EES1P_EEDaS1K_S1L_EUlS1K_E_NS1_11comp_targetILNS1_3genE2ELNS1_11target_archE906ELNS1_3gpuE6ELNS1_3repE0EEENS1_30default_config_static_selectorELNS0_4arch9wavefront6targetE0EEEvSY_,"axG",@progbits,_ZN7rocprim17ROCPRIM_400000_NS6detail17trampoline_kernelINS0_13select_configILj256ELj13ELNS0_17block_load_methodE3ELS4_3ELS4_3ELNS0_20block_scan_algorithmE0ELj4294967295EEENS1_25partition_config_selectorILNS1_17partition_subalgoE3EjNS0_10empty_typeEbEEZZNS1_14partition_implILS8_3ELb0ES6_jNS0_17counting_iteratorIjlEEPS9_SE_NS0_5tupleIJPjSE_EEENSF_IJSE_SE_EEES9_SG_JZNS1_25segmented_radix_sort_implINS0_14default_configELb1EPKfPfPKlPlN2at6native12_GLOBAL__N_18offset_tEEE10hipError_tPvRmT1_PNSt15iterator_traitsISY_E10value_typeET2_T3_PNSZ_IS14_E10value_typeET4_jRbjT5_S1A_jjP12ihipStream_tbEUljE_EEESV_SW_SX_S14_S18_S1A_T6_T7_T9_mT8_S1C_bDpT10_ENKUlT_T0_E_clISt17integral_constantIbLb1EES1P_EEDaS1K_S1L_EUlS1K_E_NS1_11comp_targetILNS1_3genE2ELNS1_11target_archE906ELNS1_3gpuE6ELNS1_3repE0EEENS1_30default_config_static_selectorELNS0_4arch9wavefront6targetE0EEEvSY_,comdat
	.globl	_ZN7rocprim17ROCPRIM_400000_NS6detail17trampoline_kernelINS0_13select_configILj256ELj13ELNS0_17block_load_methodE3ELS4_3ELS4_3ELNS0_20block_scan_algorithmE0ELj4294967295EEENS1_25partition_config_selectorILNS1_17partition_subalgoE3EjNS0_10empty_typeEbEEZZNS1_14partition_implILS8_3ELb0ES6_jNS0_17counting_iteratorIjlEEPS9_SE_NS0_5tupleIJPjSE_EEENSF_IJSE_SE_EEES9_SG_JZNS1_25segmented_radix_sort_implINS0_14default_configELb1EPKfPfPKlPlN2at6native12_GLOBAL__N_18offset_tEEE10hipError_tPvRmT1_PNSt15iterator_traitsISY_E10value_typeET2_T3_PNSZ_IS14_E10value_typeET4_jRbjT5_S1A_jjP12ihipStream_tbEUljE_EEESV_SW_SX_S14_S18_S1A_T6_T7_T9_mT8_S1C_bDpT10_ENKUlT_T0_E_clISt17integral_constantIbLb1EES1P_EEDaS1K_S1L_EUlS1K_E_NS1_11comp_targetILNS1_3genE2ELNS1_11target_archE906ELNS1_3gpuE6ELNS1_3repE0EEENS1_30default_config_static_selectorELNS0_4arch9wavefront6targetE0EEEvSY_ ; -- Begin function _ZN7rocprim17ROCPRIM_400000_NS6detail17trampoline_kernelINS0_13select_configILj256ELj13ELNS0_17block_load_methodE3ELS4_3ELS4_3ELNS0_20block_scan_algorithmE0ELj4294967295EEENS1_25partition_config_selectorILNS1_17partition_subalgoE3EjNS0_10empty_typeEbEEZZNS1_14partition_implILS8_3ELb0ES6_jNS0_17counting_iteratorIjlEEPS9_SE_NS0_5tupleIJPjSE_EEENSF_IJSE_SE_EEES9_SG_JZNS1_25segmented_radix_sort_implINS0_14default_configELb1EPKfPfPKlPlN2at6native12_GLOBAL__N_18offset_tEEE10hipError_tPvRmT1_PNSt15iterator_traitsISY_E10value_typeET2_T3_PNSZ_IS14_E10value_typeET4_jRbjT5_S1A_jjP12ihipStream_tbEUljE_EEESV_SW_SX_S14_S18_S1A_T6_T7_T9_mT8_S1C_bDpT10_ENKUlT_T0_E_clISt17integral_constantIbLb1EES1P_EEDaS1K_S1L_EUlS1K_E_NS1_11comp_targetILNS1_3genE2ELNS1_11target_archE906ELNS1_3gpuE6ELNS1_3repE0EEENS1_30default_config_static_selectorELNS0_4arch9wavefront6targetE0EEEvSY_
	.p2align	8
	.type	_ZN7rocprim17ROCPRIM_400000_NS6detail17trampoline_kernelINS0_13select_configILj256ELj13ELNS0_17block_load_methodE3ELS4_3ELS4_3ELNS0_20block_scan_algorithmE0ELj4294967295EEENS1_25partition_config_selectorILNS1_17partition_subalgoE3EjNS0_10empty_typeEbEEZZNS1_14partition_implILS8_3ELb0ES6_jNS0_17counting_iteratorIjlEEPS9_SE_NS0_5tupleIJPjSE_EEENSF_IJSE_SE_EEES9_SG_JZNS1_25segmented_radix_sort_implINS0_14default_configELb1EPKfPfPKlPlN2at6native12_GLOBAL__N_18offset_tEEE10hipError_tPvRmT1_PNSt15iterator_traitsISY_E10value_typeET2_T3_PNSZ_IS14_E10value_typeET4_jRbjT5_S1A_jjP12ihipStream_tbEUljE_EEESV_SW_SX_S14_S18_S1A_T6_T7_T9_mT8_S1C_bDpT10_ENKUlT_T0_E_clISt17integral_constantIbLb1EES1P_EEDaS1K_S1L_EUlS1K_E_NS1_11comp_targetILNS1_3genE2ELNS1_11target_archE906ELNS1_3gpuE6ELNS1_3repE0EEENS1_30default_config_static_selectorELNS0_4arch9wavefront6targetE0EEEvSY_,@function
_ZN7rocprim17ROCPRIM_400000_NS6detail17trampoline_kernelINS0_13select_configILj256ELj13ELNS0_17block_load_methodE3ELS4_3ELS4_3ELNS0_20block_scan_algorithmE0ELj4294967295EEENS1_25partition_config_selectorILNS1_17partition_subalgoE3EjNS0_10empty_typeEbEEZZNS1_14partition_implILS8_3ELb0ES6_jNS0_17counting_iteratorIjlEEPS9_SE_NS0_5tupleIJPjSE_EEENSF_IJSE_SE_EEES9_SG_JZNS1_25segmented_radix_sort_implINS0_14default_configELb1EPKfPfPKlPlN2at6native12_GLOBAL__N_18offset_tEEE10hipError_tPvRmT1_PNSt15iterator_traitsISY_E10value_typeET2_T3_PNSZ_IS14_E10value_typeET4_jRbjT5_S1A_jjP12ihipStream_tbEUljE_EEESV_SW_SX_S14_S18_S1A_T6_T7_T9_mT8_S1C_bDpT10_ENKUlT_T0_E_clISt17integral_constantIbLb1EES1P_EEDaS1K_S1L_EUlS1K_E_NS1_11comp_targetILNS1_3genE2ELNS1_11target_archE906ELNS1_3gpuE6ELNS1_3repE0EEENS1_30default_config_static_selectorELNS0_4arch9wavefront6targetE0EEEvSY_: ; @_ZN7rocprim17ROCPRIM_400000_NS6detail17trampoline_kernelINS0_13select_configILj256ELj13ELNS0_17block_load_methodE3ELS4_3ELS4_3ELNS0_20block_scan_algorithmE0ELj4294967295EEENS1_25partition_config_selectorILNS1_17partition_subalgoE3EjNS0_10empty_typeEbEEZZNS1_14partition_implILS8_3ELb0ES6_jNS0_17counting_iteratorIjlEEPS9_SE_NS0_5tupleIJPjSE_EEENSF_IJSE_SE_EEES9_SG_JZNS1_25segmented_radix_sort_implINS0_14default_configELb1EPKfPfPKlPlN2at6native12_GLOBAL__N_18offset_tEEE10hipError_tPvRmT1_PNSt15iterator_traitsISY_E10value_typeET2_T3_PNSZ_IS14_E10value_typeET4_jRbjT5_S1A_jjP12ihipStream_tbEUljE_EEESV_SW_SX_S14_S18_S1A_T6_T7_T9_mT8_S1C_bDpT10_ENKUlT_T0_E_clISt17integral_constantIbLb1EES1P_EEDaS1K_S1L_EUlS1K_E_NS1_11comp_targetILNS1_3genE2ELNS1_11target_archE906ELNS1_3gpuE6ELNS1_3repE0EEENS1_30default_config_static_selectorELNS0_4arch9wavefront6targetE0EEEvSY_
; %bb.0:
	.section	.rodata,"a",@progbits
	.p2align	6, 0x0
	.amdhsa_kernel _ZN7rocprim17ROCPRIM_400000_NS6detail17trampoline_kernelINS0_13select_configILj256ELj13ELNS0_17block_load_methodE3ELS4_3ELS4_3ELNS0_20block_scan_algorithmE0ELj4294967295EEENS1_25partition_config_selectorILNS1_17partition_subalgoE3EjNS0_10empty_typeEbEEZZNS1_14partition_implILS8_3ELb0ES6_jNS0_17counting_iteratorIjlEEPS9_SE_NS0_5tupleIJPjSE_EEENSF_IJSE_SE_EEES9_SG_JZNS1_25segmented_radix_sort_implINS0_14default_configELb1EPKfPfPKlPlN2at6native12_GLOBAL__N_18offset_tEEE10hipError_tPvRmT1_PNSt15iterator_traitsISY_E10value_typeET2_T3_PNSZ_IS14_E10value_typeET4_jRbjT5_S1A_jjP12ihipStream_tbEUljE_EEESV_SW_SX_S14_S18_S1A_T6_T7_T9_mT8_S1C_bDpT10_ENKUlT_T0_E_clISt17integral_constantIbLb1EES1P_EEDaS1K_S1L_EUlS1K_E_NS1_11comp_targetILNS1_3genE2ELNS1_11target_archE906ELNS1_3gpuE6ELNS1_3repE0EEENS1_30default_config_static_selectorELNS0_4arch9wavefront6targetE0EEEvSY_
		.amdhsa_group_segment_fixed_size 0
		.amdhsa_private_segment_fixed_size 0
		.amdhsa_kernarg_size 152
		.amdhsa_user_sgpr_count 15
		.amdhsa_user_sgpr_dispatch_ptr 0
		.amdhsa_user_sgpr_queue_ptr 0
		.amdhsa_user_sgpr_kernarg_segment_ptr 1
		.amdhsa_user_sgpr_dispatch_id 0
		.amdhsa_user_sgpr_private_segment_size 0
		.amdhsa_wavefront_size32 1
		.amdhsa_uses_dynamic_stack 0
		.amdhsa_enable_private_segment 0
		.amdhsa_system_sgpr_workgroup_id_x 1
		.amdhsa_system_sgpr_workgroup_id_y 0
		.amdhsa_system_sgpr_workgroup_id_z 0
		.amdhsa_system_sgpr_workgroup_info 0
		.amdhsa_system_vgpr_workitem_id 0
		.amdhsa_next_free_vgpr 1
		.amdhsa_next_free_sgpr 1
		.amdhsa_reserve_vcc 0
		.amdhsa_float_round_mode_32 0
		.amdhsa_float_round_mode_16_64 0
		.amdhsa_float_denorm_mode_32 3
		.amdhsa_float_denorm_mode_16_64 3
		.amdhsa_dx10_clamp 1
		.amdhsa_ieee_mode 1
		.amdhsa_fp16_overflow 0
		.amdhsa_workgroup_processor_mode 1
		.amdhsa_memory_ordered 1
		.amdhsa_forward_progress 0
		.amdhsa_shared_vgpr_count 0
		.amdhsa_exception_fp_ieee_invalid_op 0
		.amdhsa_exception_fp_denorm_src 0
		.amdhsa_exception_fp_ieee_div_zero 0
		.amdhsa_exception_fp_ieee_overflow 0
		.amdhsa_exception_fp_ieee_underflow 0
		.amdhsa_exception_fp_ieee_inexact 0
		.amdhsa_exception_int_div_zero 0
	.end_amdhsa_kernel
	.section	.text._ZN7rocprim17ROCPRIM_400000_NS6detail17trampoline_kernelINS0_13select_configILj256ELj13ELNS0_17block_load_methodE3ELS4_3ELS4_3ELNS0_20block_scan_algorithmE0ELj4294967295EEENS1_25partition_config_selectorILNS1_17partition_subalgoE3EjNS0_10empty_typeEbEEZZNS1_14partition_implILS8_3ELb0ES6_jNS0_17counting_iteratorIjlEEPS9_SE_NS0_5tupleIJPjSE_EEENSF_IJSE_SE_EEES9_SG_JZNS1_25segmented_radix_sort_implINS0_14default_configELb1EPKfPfPKlPlN2at6native12_GLOBAL__N_18offset_tEEE10hipError_tPvRmT1_PNSt15iterator_traitsISY_E10value_typeET2_T3_PNSZ_IS14_E10value_typeET4_jRbjT5_S1A_jjP12ihipStream_tbEUljE_EEESV_SW_SX_S14_S18_S1A_T6_T7_T9_mT8_S1C_bDpT10_ENKUlT_T0_E_clISt17integral_constantIbLb1EES1P_EEDaS1K_S1L_EUlS1K_E_NS1_11comp_targetILNS1_3genE2ELNS1_11target_archE906ELNS1_3gpuE6ELNS1_3repE0EEENS1_30default_config_static_selectorELNS0_4arch9wavefront6targetE0EEEvSY_,"axG",@progbits,_ZN7rocprim17ROCPRIM_400000_NS6detail17trampoline_kernelINS0_13select_configILj256ELj13ELNS0_17block_load_methodE3ELS4_3ELS4_3ELNS0_20block_scan_algorithmE0ELj4294967295EEENS1_25partition_config_selectorILNS1_17partition_subalgoE3EjNS0_10empty_typeEbEEZZNS1_14partition_implILS8_3ELb0ES6_jNS0_17counting_iteratorIjlEEPS9_SE_NS0_5tupleIJPjSE_EEENSF_IJSE_SE_EEES9_SG_JZNS1_25segmented_radix_sort_implINS0_14default_configELb1EPKfPfPKlPlN2at6native12_GLOBAL__N_18offset_tEEE10hipError_tPvRmT1_PNSt15iterator_traitsISY_E10value_typeET2_T3_PNSZ_IS14_E10value_typeET4_jRbjT5_S1A_jjP12ihipStream_tbEUljE_EEESV_SW_SX_S14_S18_S1A_T6_T7_T9_mT8_S1C_bDpT10_ENKUlT_T0_E_clISt17integral_constantIbLb1EES1P_EEDaS1K_S1L_EUlS1K_E_NS1_11comp_targetILNS1_3genE2ELNS1_11target_archE906ELNS1_3gpuE6ELNS1_3repE0EEENS1_30default_config_static_selectorELNS0_4arch9wavefront6targetE0EEEvSY_,comdat
.Lfunc_end1305:
	.size	_ZN7rocprim17ROCPRIM_400000_NS6detail17trampoline_kernelINS0_13select_configILj256ELj13ELNS0_17block_load_methodE3ELS4_3ELS4_3ELNS0_20block_scan_algorithmE0ELj4294967295EEENS1_25partition_config_selectorILNS1_17partition_subalgoE3EjNS0_10empty_typeEbEEZZNS1_14partition_implILS8_3ELb0ES6_jNS0_17counting_iteratorIjlEEPS9_SE_NS0_5tupleIJPjSE_EEENSF_IJSE_SE_EEES9_SG_JZNS1_25segmented_radix_sort_implINS0_14default_configELb1EPKfPfPKlPlN2at6native12_GLOBAL__N_18offset_tEEE10hipError_tPvRmT1_PNSt15iterator_traitsISY_E10value_typeET2_T3_PNSZ_IS14_E10value_typeET4_jRbjT5_S1A_jjP12ihipStream_tbEUljE_EEESV_SW_SX_S14_S18_S1A_T6_T7_T9_mT8_S1C_bDpT10_ENKUlT_T0_E_clISt17integral_constantIbLb1EES1P_EEDaS1K_S1L_EUlS1K_E_NS1_11comp_targetILNS1_3genE2ELNS1_11target_archE906ELNS1_3gpuE6ELNS1_3repE0EEENS1_30default_config_static_selectorELNS0_4arch9wavefront6targetE0EEEvSY_, .Lfunc_end1305-_ZN7rocprim17ROCPRIM_400000_NS6detail17trampoline_kernelINS0_13select_configILj256ELj13ELNS0_17block_load_methodE3ELS4_3ELS4_3ELNS0_20block_scan_algorithmE0ELj4294967295EEENS1_25partition_config_selectorILNS1_17partition_subalgoE3EjNS0_10empty_typeEbEEZZNS1_14partition_implILS8_3ELb0ES6_jNS0_17counting_iteratorIjlEEPS9_SE_NS0_5tupleIJPjSE_EEENSF_IJSE_SE_EEES9_SG_JZNS1_25segmented_radix_sort_implINS0_14default_configELb1EPKfPfPKlPlN2at6native12_GLOBAL__N_18offset_tEEE10hipError_tPvRmT1_PNSt15iterator_traitsISY_E10value_typeET2_T3_PNSZ_IS14_E10value_typeET4_jRbjT5_S1A_jjP12ihipStream_tbEUljE_EEESV_SW_SX_S14_S18_S1A_T6_T7_T9_mT8_S1C_bDpT10_ENKUlT_T0_E_clISt17integral_constantIbLb1EES1P_EEDaS1K_S1L_EUlS1K_E_NS1_11comp_targetILNS1_3genE2ELNS1_11target_archE906ELNS1_3gpuE6ELNS1_3repE0EEENS1_30default_config_static_selectorELNS0_4arch9wavefront6targetE0EEEvSY_
                                        ; -- End function
	.section	.AMDGPU.csdata,"",@progbits
; Kernel info:
; codeLenInByte = 0
; NumSgprs: 0
; NumVgprs: 0
; ScratchSize: 0
; MemoryBound: 0
; FloatMode: 240
; IeeeMode: 1
; LDSByteSize: 0 bytes/workgroup (compile time only)
; SGPRBlocks: 0
; VGPRBlocks: 0
; NumSGPRsForWavesPerEU: 1
; NumVGPRsForWavesPerEU: 1
; Occupancy: 16
; WaveLimiterHint : 0
; COMPUTE_PGM_RSRC2:SCRATCH_EN: 0
; COMPUTE_PGM_RSRC2:USER_SGPR: 15
; COMPUTE_PGM_RSRC2:TRAP_HANDLER: 0
; COMPUTE_PGM_RSRC2:TGID_X_EN: 1
; COMPUTE_PGM_RSRC2:TGID_Y_EN: 0
; COMPUTE_PGM_RSRC2:TGID_Z_EN: 0
; COMPUTE_PGM_RSRC2:TIDIG_COMP_CNT: 0
	.section	.text._ZN7rocprim17ROCPRIM_400000_NS6detail17trampoline_kernelINS0_13select_configILj256ELj13ELNS0_17block_load_methodE3ELS4_3ELS4_3ELNS0_20block_scan_algorithmE0ELj4294967295EEENS1_25partition_config_selectorILNS1_17partition_subalgoE3EjNS0_10empty_typeEbEEZZNS1_14partition_implILS8_3ELb0ES6_jNS0_17counting_iteratorIjlEEPS9_SE_NS0_5tupleIJPjSE_EEENSF_IJSE_SE_EEES9_SG_JZNS1_25segmented_radix_sort_implINS0_14default_configELb1EPKfPfPKlPlN2at6native12_GLOBAL__N_18offset_tEEE10hipError_tPvRmT1_PNSt15iterator_traitsISY_E10value_typeET2_T3_PNSZ_IS14_E10value_typeET4_jRbjT5_S1A_jjP12ihipStream_tbEUljE_EEESV_SW_SX_S14_S18_S1A_T6_T7_T9_mT8_S1C_bDpT10_ENKUlT_T0_E_clISt17integral_constantIbLb1EES1P_EEDaS1K_S1L_EUlS1K_E_NS1_11comp_targetILNS1_3genE10ELNS1_11target_archE1200ELNS1_3gpuE4ELNS1_3repE0EEENS1_30default_config_static_selectorELNS0_4arch9wavefront6targetE0EEEvSY_,"axG",@progbits,_ZN7rocprim17ROCPRIM_400000_NS6detail17trampoline_kernelINS0_13select_configILj256ELj13ELNS0_17block_load_methodE3ELS4_3ELS4_3ELNS0_20block_scan_algorithmE0ELj4294967295EEENS1_25partition_config_selectorILNS1_17partition_subalgoE3EjNS0_10empty_typeEbEEZZNS1_14partition_implILS8_3ELb0ES6_jNS0_17counting_iteratorIjlEEPS9_SE_NS0_5tupleIJPjSE_EEENSF_IJSE_SE_EEES9_SG_JZNS1_25segmented_radix_sort_implINS0_14default_configELb1EPKfPfPKlPlN2at6native12_GLOBAL__N_18offset_tEEE10hipError_tPvRmT1_PNSt15iterator_traitsISY_E10value_typeET2_T3_PNSZ_IS14_E10value_typeET4_jRbjT5_S1A_jjP12ihipStream_tbEUljE_EEESV_SW_SX_S14_S18_S1A_T6_T7_T9_mT8_S1C_bDpT10_ENKUlT_T0_E_clISt17integral_constantIbLb1EES1P_EEDaS1K_S1L_EUlS1K_E_NS1_11comp_targetILNS1_3genE10ELNS1_11target_archE1200ELNS1_3gpuE4ELNS1_3repE0EEENS1_30default_config_static_selectorELNS0_4arch9wavefront6targetE0EEEvSY_,comdat
	.globl	_ZN7rocprim17ROCPRIM_400000_NS6detail17trampoline_kernelINS0_13select_configILj256ELj13ELNS0_17block_load_methodE3ELS4_3ELS4_3ELNS0_20block_scan_algorithmE0ELj4294967295EEENS1_25partition_config_selectorILNS1_17partition_subalgoE3EjNS0_10empty_typeEbEEZZNS1_14partition_implILS8_3ELb0ES6_jNS0_17counting_iteratorIjlEEPS9_SE_NS0_5tupleIJPjSE_EEENSF_IJSE_SE_EEES9_SG_JZNS1_25segmented_radix_sort_implINS0_14default_configELb1EPKfPfPKlPlN2at6native12_GLOBAL__N_18offset_tEEE10hipError_tPvRmT1_PNSt15iterator_traitsISY_E10value_typeET2_T3_PNSZ_IS14_E10value_typeET4_jRbjT5_S1A_jjP12ihipStream_tbEUljE_EEESV_SW_SX_S14_S18_S1A_T6_T7_T9_mT8_S1C_bDpT10_ENKUlT_T0_E_clISt17integral_constantIbLb1EES1P_EEDaS1K_S1L_EUlS1K_E_NS1_11comp_targetILNS1_3genE10ELNS1_11target_archE1200ELNS1_3gpuE4ELNS1_3repE0EEENS1_30default_config_static_selectorELNS0_4arch9wavefront6targetE0EEEvSY_ ; -- Begin function _ZN7rocprim17ROCPRIM_400000_NS6detail17trampoline_kernelINS0_13select_configILj256ELj13ELNS0_17block_load_methodE3ELS4_3ELS4_3ELNS0_20block_scan_algorithmE0ELj4294967295EEENS1_25partition_config_selectorILNS1_17partition_subalgoE3EjNS0_10empty_typeEbEEZZNS1_14partition_implILS8_3ELb0ES6_jNS0_17counting_iteratorIjlEEPS9_SE_NS0_5tupleIJPjSE_EEENSF_IJSE_SE_EEES9_SG_JZNS1_25segmented_radix_sort_implINS0_14default_configELb1EPKfPfPKlPlN2at6native12_GLOBAL__N_18offset_tEEE10hipError_tPvRmT1_PNSt15iterator_traitsISY_E10value_typeET2_T3_PNSZ_IS14_E10value_typeET4_jRbjT5_S1A_jjP12ihipStream_tbEUljE_EEESV_SW_SX_S14_S18_S1A_T6_T7_T9_mT8_S1C_bDpT10_ENKUlT_T0_E_clISt17integral_constantIbLb1EES1P_EEDaS1K_S1L_EUlS1K_E_NS1_11comp_targetILNS1_3genE10ELNS1_11target_archE1200ELNS1_3gpuE4ELNS1_3repE0EEENS1_30default_config_static_selectorELNS0_4arch9wavefront6targetE0EEEvSY_
	.p2align	8
	.type	_ZN7rocprim17ROCPRIM_400000_NS6detail17trampoline_kernelINS0_13select_configILj256ELj13ELNS0_17block_load_methodE3ELS4_3ELS4_3ELNS0_20block_scan_algorithmE0ELj4294967295EEENS1_25partition_config_selectorILNS1_17partition_subalgoE3EjNS0_10empty_typeEbEEZZNS1_14partition_implILS8_3ELb0ES6_jNS0_17counting_iteratorIjlEEPS9_SE_NS0_5tupleIJPjSE_EEENSF_IJSE_SE_EEES9_SG_JZNS1_25segmented_radix_sort_implINS0_14default_configELb1EPKfPfPKlPlN2at6native12_GLOBAL__N_18offset_tEEE10hipError_tPvRmT1_PNSt15iterator_traitsISY_E10value_typeET2_T3_PNSZ_IS14_E10value_typeET4_jRbjT5_S1A_jjP12ihipStream_tbEUljE_EEESV_SW_SX_S14_S18_S1A_T6_T7_T9_mT8_S1C_bDpT10_ENKUlT_T0_E_clISt17integral_constantIbLb1EES1P_EEDaS1K_S1L_EUlS1K_E_NS1_11comp_targetILNS1_3genE10ELNS1_11target_archE1200ELNS1_3gpuE4ELNS1_3repE0EEENS1_30default_config_static_selectorELNS0_4arch9wavefront6targetE0EEEvSY_,@function
_ZN7rocprim17ROCPRIM_400000_NS6detail17trampoline_kernelINS0_13select_configILj256ELj13ELNS0_17block_load_methodE3ELS4_3ELS4_3ELNS0_20block_scan_algorithmE0ELj4294967295EEENS1_25partition_config_selectorILNS1_17partition_subalgoE3EjNS0_10empty_typeEbEEZZNS1_14partition_implILS8_3ELb0ES6_jNS0_17counting_iteratorIjlEEPS9_SE_NS0_5tupleIJPjSE_EEENSF_IJSE_SE_EEES9_SG_JZNS1_25segmented_radix_sort_implINS0_14default_configELb1EPKfPfPKlPlN2at6native12_GLOBAL__N_18offset_tEEE10hipError_tPvRmT1_PNSt15iterator_traitsISY_E10value_typeET2_T3_PNSZ_IS14_E10value_typeET4_jRbjT5_S1A_jjP12ihipStream_tbEUljE_EEESV_SW_SX_S14_S18_S1A_T6_T7_T9_mT8_S1C_bDpT10_ENKUlT_T0_E_clISt17integral_constantIbLb1EES1P_EEDaS1K_S1L_EUlS1K_E_NS1_11comp_targetILNS1_3genE10ELNS1_11target_archE1200ELNS1_3gpuE4ELNS1_3repE0EEENS1_30default_config_static_selectorELNS0_4arch9wavefront6targetE0EEEvSY_: ; @_ZN7rocprim17ROCPRIM_400000_NS6detail17trampoline_kernelINS0_13select_configILj256ELj13ELNS0_17block_load_methodE3ELS4_3ELS4_3ELNS0_20block_scan_algorithmE0ELj4294967295EEENS1_25partition_config_selectorILNS1_17partition_subalgoE3EjNS0_10empty_typeEbEEZZNS1_14partition_implILS8_3ELb0ES6_jNS0_17counting_iteratorIjlEEPS9_SE_NS0_5tupleIJPjSE_EEENSF_IJSE_SE_EEES9_SG_JZNS1_25segmented_radix_sort_implINS0_14default_configELb1EPKfPfPKlPlN2at6native12_GLOBAL__N_18offset_tEEE10hipError_tPvRmT1_PNSt15iterator_traitsISY_E10value_typeET2_T3_PNSZ_IS14_E10value_typeET4_jRbjT5_S1A_jjP12ihipStream_tbEUljE_EEESV_SW_SX_S14_S18_S1A_T6_T7_T9_mT8_S1C_bDpT10_ENKUlT_T0_E_clISt17integral_constantIbLb1EES1P_EEDaS1K_S1L_EUlS1K_E_NS1_11comp_targetILNS1_3genE10ELNS1_11target_archE1200ELNS1_3gpuE4ELNS1_3repE0EEENS1_30default_config_static_selectorELNS0_4arch9wavefront6targetE0EEEvSY_
; %bb.0:
	.section	.rodata,"a",@progbits
	.p2align	6, 0x0
	.amdhsa_kernel _ZN7rocprim17ROCPRIM_400000_NS6detail17trampoline_kernelINS0_13select_configILj256ELj13ELNS0_17block_load_methodE3ELS4_3ELS4_3ELNS0_20block_scan_algorithmE0ELj4294967295EEENS1_25partition_config_selectorILNS1_17partition_subalgoE3EjNS0_10empty_typeEbEEZZNS1_14partition_implILS8_3ELb0ES6_jNS0_17counting_iteratorIjlEEPS9_SE_NS0_5tupleIJPjSE_EEENSF_IJSE_SE_EEES9_SG_JZNS1_25segmented_radix_sort_implINS0_14default_configELb1EPKfPfPKlPlN2at6native12_GLOBAL__N_18offset_tEEE10hipError_tPvRmT1_PNSt15iterator_traitsISY_E10value_typeET2_T3_PNSZ_IS14_E10value_typeET4_jRbjT5_S1A_jjP12ihipStream_tbEUljE_EEESV_SW_SX_S14_S18_S1A_T6_T7_T9_mT8_S1C_bDpT10_ENKUlT_T0_E_clISt17integral_constantIbLb1EES1P_EEDaS1K_S1L_EUlS1K_E_NS1_11comp_targetILNS1_3genE10ELNS1_11target_archE1200ELNS1_3gpuE4ELNS1_3repE0EEENS1_30default_config_static_selectorELNS0_4arch9wavefront6targetE0EEEvSY_
		.amdhsa_group_segment_fixed_size 0
		.amdhsa_private_segment_fixed_size 0
		.amdhsa_kernarg_size 152
		.amdhsa_user_sgpr_count 15
		.amdhsa_user_sgpr_dispatch_ptr 0
		.amdhsa_user_sgpr_queue_ptr 0
		.amdhsa_user_sgpr_kernarg_segment_ptr 1
		.amdhsa_user_sgpr_dispatch_id 0
		.amdhsa_user_sgpr_private_segment_size 0
		.amdhsa_wavefront_size32 1
		.amdhsa_uses_dynamic_stack 0
		.amdhsa_enable_private_segment 0
		.amdhsa_system_sgpr_workgroup_id_x 1
		.amdhsa_system_sgpr_workgroup_id_y 0
		.amdhsa_system_sgpr_workgroup_id_z 0
		.amdhsa_system_sgpr_workgroup_info 0
		.amdhsa_system_vgpr_workitem_id 0
		.amdhsa_next_free_vgpr 1
		.amdhsa_next_free_sgpr 1
		.amdhsa_reserve_vcc 0
		.amdhsa_float_round_mode_32 0
		.amdhsa_float_round_mode_16_64 0
		.amdhsa_float_denorm_mode_32 3
		.amdhsa_float_denorm_mode_16_64 3
		.amdhsa_dx10_clamp 1
		.amdhsa_ieee_mode 1
		.amdhsa_fp16_overflow 0
		.amdhsa_workgroup_processor_mode 1
		.amdhsa_memory_ordered 1
		.amdhsa_forward_progress 0
		.amdhsa_shared_vgpr_count 0
		.amdhsa_exception_fp_ieee_invalid_op 0
		.amdhsa_exception_fp_denorm_src 0
		.amdhsa_exception_fp_ieee_div_zero 0
		.amdhsa_exception_fp_ieee_overflow 0
		.amdhsa_exception_fp_ieee_underflow 0
		.amdhsa_exception_fp_ieee_inexact 0
		.amdhsa_exception_int_div_zero 0
	.end_amdhsa_kernel
	.section	.text._ZN7rocprim17ROCPRIM_400000_NS6detail17trampoline_kernelINS0_13select_configILj256ELj13ELNS0_17block_load_methodE3ELS4_3ELS4_3ELNS0_20block_scan_algorithmE0ELj4294967295EEENS1_25partition_config_selectorILNS1_17partition_subalgoE3EjNS0_10empty_typeEbEEZZNS1_14partition_implILS8_3ELb0ES6_jNS0_17counting_iteratorIjlEEPS9_SE_NS0_5tupleIJPjSE_EEENSF_IJSE_SE_EEES9_SG_JZNS1_25segmented_radix_sort_implINS0_14default_configELb1EPKfPfPKlPlN2at6native12_GLOBAL__N_18offset_tEEE10hipError_tPvRmT1_PNSt15iterator_traitsISY_E10value_typeET2_T3_PNSZ_IS14_E10value_typeET4_jRbjT5_S1A_jjP12ihipStream_tbEUljE_EEESV_SW_SX_S14_S18_S1A_T6_T7_T9_mT8_S1C_bDpT10_ENKUlT_T0_E_clISt17integral_constantIbLb1EES1P_EEDaS1K_S1L_EUlS1K_E_NS1_11comp_targetILNS1_3genE10ELNS1_11target_archE1200ELNS1_3gpuE4ELNS1_3repE0EEENS1_30default_config_static_selectorELNS0_4arch9wavefront6targetE0EEEvSY_,"axG",@progbits,_ZN7rocprim17ROCPRIM_400000_NS6detail17trampoline_kernelINS0_13select_configILj256ELj13ELNS0_17block_load_methodE3ELS4_3ELS4_3ELNS0_20block_scan_algorithmE0ELj4294967295EEENS1_25partition_config_selectorILNS1_17partition_subalgoE3EjNS0_10empty_typeEbEEZZNS1_14partition_implILS8_3ELb0ES6_jNS0_17counting_iteratorIjlEEPS9_SE_NS0_5tupleIJPjSE_EEENSF_IJSE_SE_EEES9_SG_JZNS1_25segmented_radix_sort_implINS0_14default_configELb1EPKfPfPKlPlN2at6native12_GLOBAL__N_18offset_tEEE10hipError_tPvRmT1_PNSt15iterator_traitsISY_E10value_typeET2_T3_PNSZ_IS14_E10value_typeET4_jRbjT5_S1A_jjP12ihipStream_tbEUljE_EEESV_SW_SX_S14_S18_S1A_T6_T7_T9_mT8_S1C_bDpT10_ENKUlT_T0_E_clISt17integral_constantIbLb1EES1P_EEDaS1K_S1L_EUlS1K_E_NS1_11comp_targetILNS1_3genE10ELNS1_11target_archE1200ELNS1_3gpuE4ELNS1_3repE0EEENS1_30default_config_static_selectorELNS0_4arch9wavefront6targetE0EEEvSY_,comdat
.Lfunc_end1306:
	.size	_ZN7rocprim17ROCPRIM_400000_NS6detail17trampoline_kernelINS0_13select_configILj256ELj13ELNS0_17block_load_methodE3ELS4_3ELS4_3ELNS0_20block_scan_algorithmE0ELj4294967295EEENS1_25partition_config_selectorILNS1_17partition_subalgoE3EjNS0_10empty_typeEbEEZZNS1_14partition_implILS8_3ELb0ES6_jNS0_17counting_iteratorIjlEEPS9_SE_NS0_5tupleIJPjSE_EEENSF_IJSE_SE_EEES9_SG_JZNS1_25segmented_radix_sort_implINS0_14default_configELb1EPKfPfPKlPlN2at6native12_GLOBAL__N_18offset_tEEE10hipError_tPvRmT1_PNSt15iterator_traitsISY_E10value_typeET2_T3_PNSZ_IS14_E10value_typeET4_jRbjT5_S1A_jjP12ihipStream_tbEUljE_EEESV_SW_SX_S14_S18_S1A_T6_T7_T9_mT8_S1C_bDpT10_ENKUlT_T0_E_clISt17integral_constantIbLb1EES1P_EEDaS1K_S1L_EUlS1K_E_NS1_11comp_targetILNS1_3genE10ELNS1_11target_archE1200ELNS1_3gpuE4ELNS1_3repE0EEENS1_30default_config_static_selectorELNS0_4arch9wavefront6targetE0EEEvSY_, .Lfunc_end1306-_ZN7rocprim17ROCPRIM_400000_NS6detail17trampoline_kernelINS0_13select_configILj256ELj13ELNS0_17block_load_methodE3ELS4_3ELS4_3ELNS0_20block_scan_algorithmE0ELj4294967295EEENS1_25partition_config_selectorILNS1_17partition_subalgoE3EjNS0_10empty_typeEbEEZZNS1_14partition_implILS8_3ELb0ES6_jNS0_17counting_iteratorIjlEEPS9_SE_NS0_5tupleIJPjSE_EEENSF_IJSE_SE_EEES9_SG_JZNS1_25segmented_radix_sort_implINS0_14default_configELb1EPKfPfPKlPlN2at6native12_GLOBAL__N_18offset_tEEE10hipError_tPvRmT1_PNSt15iterator_traitsISY_E10value_typeET2_T3_PNSZ_IS14_E10value_typeET4_jRbjT5_S1A_jjP12ihipStream_tbEUljE_EEESV_SW_SX_S14_S18_S1A_T6_T7_T9_mT8_S1C_bDpT10_ENKUlT_T0_E_clISt17integral_constantIbLb1EES1P_EEDaS1K_S1L_EUlS1K_E_NS1_11comp_targetILNS1_3genE10ELNS1_11target_archE1200ELNS1_3gpuE4ELNS1_3repE0EEENS1_30default_config_static_selectorELNS0_4arch9wavefront6targetE0EEEvSY_
                                        ; -- End function
	.section	.AMDGPU.csdata,"",@progbits
; Kernel info:
; codeLenInByte = 0
; NumSgprs: 0
; NumVgprs: 0
; ScratchSize: 0
; MemoryBound: 0
; FloatMode: 240
; IeeeMode: 1
; LDSByteSize: 0 bytes/workgroup (compile time only)
; SGPRBlocks: 0
; VGPRBlocks: 0
; NumSGPRsForWavesPerEU: 1
; NumVGPRsForWavesPerEU: 1
; Occupancy: 16
; WaveLimiterHint : 0
; COMPUTE_PGM_RSRC2:SCRATCH_EN: 0
; COMPUTE_PGM_RSRC2:USER_SGPR: 15
; COMPUTE_PGM_RSRC2:TRAP_HANDLER: 0
; COMPUTE_PGM_RSRC2:TGID_X_EN: 1
; COMPUTE_PGM_RSRC2:TGID_Y_EN: 0
; COMPUTE_PGM_RSRC2:TGID_Z_EN: 0
; COMPUTE_PGM_RSRC2:TIDIG_COMP_CNT: 0
	.section	.text._ZN7rocprim17ROCPRIM_400000_NS6detail17trampoline_kernelINS0_13select_configILj256ELj13ELNS0_17block_load_methodE3ELS4_3ELS4_3ELNS0_20block_scan_algorithmE0ELj4294967295EEENS1_25partition_config_selectorILNS1_17partition_subalgoE3EjNS0_10empty_typeEbEEZZNS1_14partition_implILS8_3ELb0ES6_jNS0_17counting_iteratorIjlEEPS9_SE_NS0_5tupleIJPjSE_EEENSF_IJSE_SE_EEES9_SG_JZNS1_25segmented_radix_sort_implINS0_14default_configELb1EPKfPfPKlPlN2at6native12_GLOBAL__N_18offset_tEEE10hipError_tPvRmT1_PNSt15iterator_traitsISY_E10value_typeET2_T3_PNSZ_IS14_E10value_typeET4_jRbjT5_S1A_jjP12ihipStream_tbEUljE_EEESV_SW_SX_S14_S18_S1A_T6_T7_T9_mT8_S1C_bDpT10_ENKUlT_T0_E_clISt17integral_constantIbLb1EES1P_EEDaS1K_S1L_EUlS1K_E_NS1_11comp_targetILNS1_3genE9ELNS1_11target_archE1100ELNS1_3gpuE3ELNS1_3repE0EEENS1_30default_config_static_selectorELNS0_4arch9wavefront6targetE0EEEvSY_,"axG",@progbits,_ZN7rocprim17ROCPRIM_400000_NS6detail17trampoline_kernelINS0_13select_configILj256ELj13ELNS0_17block_load_methodE3ELS4_3ELS4_3ELNS0_20block_scan_algorithmE0ELj4294967295EEENS1_25partition_config_selectorILNS1_17partition_subalgoE3EjNS0_10empty_typeEbEEZZNS1_14partition_implILS8_3ELb0ES6_jNS0_17counting_iteratorIjlEEPS9_SE_NS0_5tupleIJPjSE_EEENSF_IJSE_SE_EEES9_SG_JZNS1_25segmented_radix_sort_implINS0_14default_configELb1EPKfPfPKlPlN2at6native12_GLOBAL__N_18offset_tEEE10hipError_tPvRmT1_PNSt15iterator_traitsISY_E10value_typeET2_T3_PNSZ_IS14_E10value_typeET4_jRbjT5_S1A_jjP12ihipStream_tbEUljE_EEESV_SW_SX_S14_S18_S1A_T6_T7_T9_mT8_S1C_bDpT10_ENKUlT_T0_E_clISt17integral_constantIbLb1EES1P_EEDaS1K_S1L_EUlS1K_E_NS1_11comp_targetILNS1_3genE9ELNS1_11target_archE1100ELNS1_3gpuE3ELNS1_3repE0EEENS1_30default_config_static_selectorELNS0_4arch9wavefront6targetE0EEEvSY_,comdat
	.globl	_ZN7rocprim17ROCPRIM_400000_NS6detail17trampoline_kernelINS0_13select_configILj256ELj13ELNS0_17block_load_methodE3ELS4_3ELS4_3ELNS0_20block_scan_algorithmE0ELj4294967295EEENS1_25partition_config_selectorILNS1_17partition_subalgoE3EjNS0_10empty_typeEbEEZZNS1_14partition_implILS8_3ELb0ES6_jNS0_17counting_iteratorIjlEEPS9_SE_NS0_5tupleIJPjSE_EEENSF_IJSE_SE_EEES9_SG_JZNS1_25segmented_radix_sort_implINS0_14default_configELb1EPKfPfPKlPlN2at6native12_GLOBAL__N_18offset_tEEE10hipError_tPvRmT1_PNSt15iterator_traitsISY_E10value_typeET2_T3_PNSZ_IS14_E10value_typeET4_jRbjT5_S1A_jjP12ihipStream_tbEUljE_EEESV_SW_SX_S14_S18_S1A_T6_T7_T9_mT8_S1C_bDpT10_ENKUlT_T0_E_clISt17integral_constantIbLb1EES1P_EEDaS1K_S1L_EUlS1K_E_NS1_11comp_targetILNS1_3genE9ELNS1_11target_archE1100ELNS1_3gpuE3ELNS1_3repE0EEENS1_30default_config_static_selectorELNS0_4arch9wavefront6targetE0EEEvSY_ ; -- Begin function _ZN7rocprim17ROCPRIM_400000_NS6detail17trampoline_kernelINS0_13select_configILj256ELj13ELNS0_17block_load_methodE3ELS4_3ELS4_3ELNS0_20block_scan_algorithmE0ELj4294967295EEENS1_25partition_config_selectorILNS1_17partition_subalgoE3EjNS0_10empty_typeEbEEZZNS1_14partition_implILS8_3ELb0ES6_jNS0_17counting_iteratorIjlEEPS9_SE_NS0_5tupleIJPjSE_EEENSF_IJSE_SE_EEES9_SG_JZNS1_25segmented_radix_sort_implINS0_14default_configELb1EPKfPfPKlPlN2at6native12_GLOBAL__N_18offset_tEEE10hipError_tPvRmT1_PNSt15iterator_traitsISY_E10value_typeET2_T3_PNSZ_IS14_E10value_typeET4_jRbjT5_S1A_jjP12ihipStream_tbEUljE_EEESV_SW_SX_S14_S18_S1A_T6_T7_T9_mT8_S1C_bDpT10_ENKUlT_T0_E_clISt17integral_constantIbLb1EES1P_EEDaS1K_S1L_EUlS1K_E_NS1_11comp_targetILNS1_3genE9ELNS1_11target_archE1100ELNS1_3gpuE3ELNS1_3repE0EEENS1_30default_config_static_selectorELNS0_4arch9wavefront6targetE0EEEvSY_
	.p2align	8
	.type	_ZN7rocprim17ROCPRIM_400000_NS6detail17trampoline_kernelINS0_13select_configILj256ELj13ELNS0_17block_load_methodE3ELS4_3ELS4_3ELNS0_20block_scan_algorithmE0ELj4294967295EEENS1_25partition_config_selectorILNS1_17partition_subalgoE3EjNS0_10empty_typeEbEEZZNS1_14partition_implILS8_3ELb0ES6_jNS0_17counting_iteratorIjlEEPS9_SE_NS0_5tupleIJPjSE_EEENSF_IJSE_SE_EEES9_SG_JZNS1_25segmented_radix_sort_implINS0_14default_configELb1EPKfPfPKlPlN2at6native12_GLOBAL__N_18offset_tEEE10hipError_tPvRmT1_PNSt15iterator_traitsISY_E10value_typeET2_T3_PNSZ_IS14_E10value_typeET4_jRbjT5_S1A_jjP12ihipStream_tbEUljE_EEESV_SW_SX_S14_S18_S1A_T6_T7_T9_mT8_S1C_bDpT10_ENKUlT_T0_E_clISt17integral_constantIbLb1EES1P_EEDaS1K_S1L_EUlS1K_E_NS1_11comp_targetILNS1_3genE9ELNS1_11target_archE1100ELNS1_3gpuE3ELNS1_3repE0EEENS1_30default_config_static_selectorELNS0_4arch9wavefront6targetE0EEEvSY_,@function
_ZN7rocprim17ROCPRIM_400000_NS6detail17trampoline_kernelINS0_13select_configILj256ELj13ELNS0_17block_load_methodE3ELS4_3ELS4_3ELNS0_20block_scan_algorithmE0ELj4294967295EEENS1_25partition_config_selectorILNS1_17partition_subalgoE3EjNS0_10empty_typeEbEEZZNS1_14partition_implILS8_3ELb0ES6_jNS0_17counting_iteratorIjlEEPS9_SE_NS0_5tupleIJPjSE_EEENSF_IJSE_SE_EEES9_SG_JZNS1_25segmented_radix_sort_implINS0_14default_configELb1EPKfPfPKlPlN2at6native12_GLOBAL__N_18offset_tEEE10hipError_tPvRmT1_PNSt15iterator_traitsISY_E10value_typeET2_T3_PNSZ_IS14_E10value_typeET4_jRbjT5_S1A_jjP12ihipStream_tbEUljE_EEESV_SW_SX_S14_S18_S1A_T6_T7_T9_mT8_S1C_bDpT10_ENKUlT_T0_E_clISt17integral_constantIbLb1EES1P_EEDaS1K_S1L_EUlS1K_E_NS1_11comp_targetILNS1_3genE9ELNS1_11target_archE1100ELNS1_3gpuE3ELNS1_3repE0EEENS1_30default_config_static_selectorELNS0_4arch9wavefront6targetE0EEEvSY_: ; @_ZN7rocprim17ROCPRIM_400000_NS6detail17trampoline_kernelINS0_13select_configILj256ELj13ELNS0_17block_load_methodE3ELS4_3ELS4_3ELNS0_20block_scan_algorithmE0ELj4294967295EEENS1_25partition_config_selectorILNS1_17partition_subalgoE3EjNS0_10empty_typeEbEEZZNS1_14partition_implILS8_3ELb0ES6_jNS0_17counting_iteratorIjlEEPS9_SE_NS0_5tupleIJPjSE_EEENSF_IJSE_SE_EEES9_SG_JZNS1_25segmented_radix_sort_implINS0_14default_configELb1EPKfPfPKlPlN2at6native12_GLOBAL__N_18offset_tEEE10hipError_tPvRmT1_PNSt15iterator_traitsISY_E10value_typeET2_T3_PNSZ_IS14_E10value_typeET4_jRbjT5_S1A_jjP12ihipStream_tbEUljE_EEESV_SW_SX_S14_S18_S1A_T6_T7_T9_mT8_S1C_bDpT10_ENKUlT_T0_E_clISt17integral_constantIbLb1EES1P_EEDaS1K_S1L_EUlS1K_E_NS1_11comp_targetILNS1_3genE9ELNS1_11target_archE1100ELNS1_3gpuE3ELNS1_3repE0EEENS1_30default_config_static_selectorELNS0_4arch9wavefront6targetE0EEEvSY_
; %bb.0:
	s_clause 0x6
	s_load_b64 s[16:17], s[0:1], 0x10
	s_load_b64 s[12:13], s[0:1], 0x28
	;; [unrolled: 1-line block ×3, first 2 shown]
	s_load_b128 s[8:11], s[0:1], 0x48
	s_load_b32 s3, s[0:1], 0x90
	s_load_b64 s[18:19], s[0:1], 0x68
	s_load_b128 s[4:7], s[0:1], 0x80
	v_cmp_eq_u32_e64 s2, 0, v0
	s_delay_alu instid0(VALU_DEP_1)
	s_and_saveexec_b32 s20, s2
	s_cbranch_execz .LBB1307_4
; %bb.1:
	s_mov_b32 s22, exec_lo
	s_mov_b32 s21, exec_lo
	v_mbcnt_lo_u32_b32 v1, s22, 0
                                        ; implicit-def: $vgpr2
	s_delay_alu instid0(VALU_DEP_1)
	v_cmpx_eq_u32_e32 0, v1
	s_cbranch_execz .LBB1307_3
; %bb.2:
	s_load_b64 s[24:25], s[0:1], 0x78
	s_bcnt1_i32_b32 s22, s22
	s_delay_alu instid0(SALU_CYCLE_1)
	v_dual_mov_b32 v2, 0 :: v_dual_mov_b32 v3, s22
	s_waitcnt lgkmcnt(0)
	global_atomic_add_u32 v2, v2, v3, s[24:25] glc
.LBB1307_3:
	s_or_b32 exec_lo, exec_lo, s21
	s_waitcnt vmcnt(0)
	v_readfirstlane_b32 s21, v2
	s_delay_alu instid0(VALU_DEP_1)
	v_dual_mov_b32 v2, 0 :: v_dual_add_nc_u32 v1, s21, v1
	ds_store_b32 v2, v1
.LBB1307_4:
	s_or_b32 exec_lo, exec_lo, s20
	v_mov_b32_e32 v1, 0
	s_clause 0x1
	s_load_b32 s20, s[0:1], 0x8
	s_load_b32 s0, s[0:1], 0x70
	s_waitcnt lgkmcnt(0)
	s_barrier
	buffer_gl0_inv
	ds_load_b32 v2, v1
	s_waitcnt lgkmcnt(0)
	s_barrier
	buffer_gl0_inv
	global_load_b64 v[18:19], v1, s[10:11]
	v_lshlrev_b32_e32 v33, 2, v0
	s_add_i32 s21, s20, s16
	s_mul_i32 s1, s0, 0xd00
	s_add_i32 s0, s0, -1
	s_add_u32 s10, s16, s1
	s_addc_u32 s11, s17, 0
	v_mul_lo_u32 v32, 0xd00, v2
	v_readfirstlane_b32 s20, v2
	v_cmp_lt_u64_e64 s11, s[10:11], s[14:15]
	v_cmp_ne_u32_e32 vcc_lo, s0, v2
	s_delay_alu instid0(VALU_DEP_3) | instskip(SKIP_1) | instid1(VALU_DEP_4)
	s_cmp_eq_u32 s20, s0
	s_cselect_b32 s10, -1, 0
	v_add3_u32 v1, v32, s21, v0
	s_delay_alu instid0(VALU_DEP_3) | instskip(SKIP_2) | instid1(VALU_DEP_1)
	s_or_b32 s0, s11, vcc_lo
	s_mov_b32 s11, -1
	s_and_b32 vcc_lo, exec_lo, s0
	v_add_nc_u32_e32 v2, 0x100, v1
	v_add_nc_u32_e32 v3, 0x200, v1
	;; [unrolled: 1-line block ×12, first 2 shown]
	s_cbranch_vccz .LBB1307_6
; %bb.5:
	ds_store_2addr_stride64_b32 v33, v1, v2 offset1:4
	ds_store_2addr_stride64_b32 v33, v3, v4 offset0:8 offset1:12
	ds_store_2addr_stride64_b32 v33, v5, v6 offset0:16 offset1:20
	;; [unrolled: 1-line block ×5, first 2 shown]
	ds_store_b32 v33, v13 offset:12288
	s_waitcnt vmcnt(0) lgkmcnt(0)
	s_mov_b32 s11, 0
	s_barrier
.LBB1307_6:
	s_and_not1_b32 vcc_lo, exec_lo, s11
	s_add_i32 s1, s1, s16
	s_cbranch_vccnz .LBB1307_8
; %bb.7:
	ds_store_2addr_stride64_b32 v33, v1, v2 offset1:4
	ds_store_2addr_stride64_b32 v33, v3, v4 offset0:8 offset1:12
	ds_store_2addr_stride64_b32 v33, v5, v6 offset0:16 offset1:20
	;; [unrolled: 1-line block ×5, first 2 shown]
	ds_store_b32 v33, v13 offset:12288
	s_waitcnt vmcnt(0) lgkmcnt(0)
	s_barrier
.LBB1307_8:
	v_mul_u32_u24_e32 v36, 13, v0
	s_waitcnt vmcnt(0)
	buffer_gl0_inv
	v_cndmask_b32_e64 v34, 0, 1, s0
	s_sub_i32 s11, s14, s1
	s_and_not1_b32 vcc_lo, exec_lo, s0
	v_lshlrev_b32_e32 v1, 2, v36
	ds_load_2addr_b32 v[30:31], v1 offset1:1
	ds_load_2addr_b32 v[28:29], v1 offset0:2 offset1:3
	ds_load_2addr_b32 v[26:27], v1 offset0:4 offset1:5
	;; [unrolled: 1-line block ×5, first 2 shown]
	ds_load_b32 v35, v1 offset:48
	s_waitcnt lgkmcnt(0)
	s_barrier
	buffer_gl0_inv
	s_cbranch_vccnz .LBB1307_10
; %bb.9:
	v_add_nc_u32_e32 v1, s5, v30
	v_add_nc_u32_e32 v2, s7, v30
	;; [unrolled: 1-line block ×5, first 2 shown]
	v_mul_lo_u32 v1, v1, s4
	v_mul_lo_u32 v2, v2, s6
	;; [unrolled: 1-line block ×4, first 2 shown]
	v_add_nc_u32_e32 v6, s7, v28
	v_add_nc_u32_e32 v7, s5, v29
	;; [unrolled: 1-line block ×3, first 2 shown]
	v_mul_lo_u32 v5, v5, s4
	v_add_nc_u32_e32 v9, s5, v24
	v_sub_nc_u32_e32 v1, v1, v2
	v_mul_lo_u32 v2, v6, s6
	v_sub_nc_u32_e32 v3, v3, v4
	v_mul_lo_u32 v4, v7, s4
	v_mul_lo_u32 v6, v8, s6
	v_add_nc_u32_e32 v7, s5, v26
	v_cmp_lt_u32_e32 vcc_lo, s3, v1
	v_add_nc_u32_e32 v8, s5, v27
	v_add_nc_u32_e32 v10, s7, v24
	v_sub_nc_u32_e32 v2, v5, v2
	v_add_nc_u32_e32 v5, s7, v26
	v_cndmask_b32_e64 v1, 0, 1, vcc_lo
	v_sub_nc_u32_e32 v4, v4, v6
	v_mul_lo_u32 v6, v7, s4
	v_add_nc_u32_e32 v7, s7, v27
	v_cmp_lt_u32_e32 vcc_lo, s3, v3
	v_mul_lo_u32 v5, v5, s6
	v_mul_lo_u32 v8, v8, s4
	;; [unrolled: 1-line block ×4, first 2 shown]
	v_cndmask_b32_e64 v3, 0, 1, vcc_lo
	v_cmp_lt_u32_e32 vcc_lo, s3, v2
	v_mul_lo_u32 v10, v10, s6
	v_add_nc_u32_e32 v11, s5, v22
	v_sub_nc_u32_e32 v5, v6, v5
	v_add_nc_u32_e32 v12, s7, v22
	v_cndmask_b32_e64 v2, 0, 1, vcc_lo
	v_sub_nc_u32_e32 v6, v8, v7
	v_add_nc_u32_e32 v7, s5, v25
	v_add_nc_u32_e32 v8, s7, v25
	v_cmp_lt_u32_e32 vcc_lo, s3, v4
	v_sub_nc_u32_e32 v9, v9, v10
	v_mul_lo_u32 v10, v11, s4
	v_mul_lo_u32 v7, v7, s4
	;; [unrolled: 1-line block ×4, first 2 shown]
	v_cndmask_b32_e64 v4, 0, 1, vcc_lo
	v_cmp_lt_u32_e32 vcc_lo, s3, v5
	v_add_nc_u32_e32 v12, s5, v23
	v_add_nc_u32_e32 v13, s7, v20
	;; [unrolled: 1-line block ×4, first 2 shown]
	v_cndmask_b32_e64 v5, 0, 1, vcc_lo
	v_cmp_lt_u32_e32 vcc_lo, s3, v6
	v_sub_nc_u32_e32 v7, v7, v8
	v_sub_nc_u32_e32 v8, v10, v11
	v_add_nc_u32_e32 v11, s7, v23
	v_mul_lo_u32 v10, v12, s4
	v_cndmask_b32_e64 v6, 0, 1, vcc_lo
	v_cmp_lt_u32_e32 vcc_lo, s3, v9
	v_add_nc_u32_e32 v12, s5, v20
	v_mul_lo_u32 v11, v11, s6
	v_mul_lo_u32 v13, v13, s6
	;; [unrolled: 1-line block ×3, first 2 shown]
	v_cndmask_b32_e64 v9, 0, 1, vcc_lo
	v_cmp_lt_u32_e32 vcc_lo, s3, v7
	v_mul_lo_u32 v12, v12, s4
	v_mul_lo_u32 v15, v15, s6
	v_lshlrev_b16 v3, 8, v3
	v_sub_nc_u32_e32 v10, v10, v11
	v_cndmask_b32_e64 v7, 0, 1, vcc_lo
	v_cmp_lt_u32_e32 vcc_lo, s3, v8
	v_add_nc_u32_e32 v11, s5, v35
	v_or_b32_e32 v1, v1, v3
	v_sub_nc_u32_e32 v12, v12, v13
	v_sub_nc_u32_e32 v13, v14, v15
	v_cndmask_b32_e64 v8, 0, 1, vcc_lo
	v_cmp_lt_u32_e32 vcc_lo, s3, v10
	v_add_nc_u32_e32 v16, s7, v35
	v_mul_lo_u32 v11, v11, s4
	v_lshlrev_b16 v4, 8, v4
	v_lshlrev_b16 v6, 8, v6
	v_cndmask_b32_e64 v10, 0, 1, vcc_lo
	v_cmp_lt_u32_e32 vcc_lo, s3, v12
	v_mul_lo_u32 v14, v16, s6
	v_lshlrev_b16 v7, 8, v7
	v_or_b32_e32 v2, v2, v4
	v_lshlrev_b16 v10, 8, v10
	v_cndmask_b32_e64 v3, 0, 1, vcc_lo
	v_cmp_lt_u32_e32 vcc_lo, s3, v13
	v_or_b32_e32 v4, v5, v6
	v_or_b32_e32 v5, v9, v7
	v_sub_nc_u32_e32 v11, v11, v14
	v_or_b32_e32 v6, v8, v10
	v_cndmask_b32_e64 v12, 0, 1, vcc_lo
	v_and_b32_e32 v1, 0xffff, v1
	v_lshlrev_b32_e32 v2, 16, v2
	v_and_b32_e32 v4, 0xffff, v4
	v_lshlrev_b32_e32 v5, 16, v5
	v_lshlrev_b16 v12, 8, v12
	v_and_b32_e32 v6, 0xffff, v6
	v_cmp_lt_u32_e32 vcc_lo, s3, v11
	v_or_b32_e32 v42, v1, v2
	v_or_b32_e32 v40, v4, v5
	;; [unrolled: 1-line block ×3, first 2 shown]
	v_cndmask_b32_e64 v37, 0, 1, vcc_lo
	s_delay_alu instid0(VALU_DEP_2) | instskip(NEXT) | instid1(VALU_DEP_1)
	v_lshlrev_b32_e32 v3, 16, v3
	v_or_b32_e32 v38, v6, v3
	s_addk_i32 s11, 0xd00
	s_cbranch_execz .LBB1307_11
	s_branch .LBB1307_38
.LBB1307_10:
                                        ; implicit-def: $vgpr37
                                        ; implicit-def: $vgpr38
                                        ; implicit-def: $vgpr40
                                        ; implicit-def: $vgpr42
	s_addk_i32 s11, 0xd00
.LBB1307_11:
	v_dual_mov_b32 v2, 0 :: v_dual_mov_b32 v1, 0
	s_mov_b32 s0, exec_lo
	v_cmpx_gt_u32_e64 s11, v36
; %bb.12:
	v_add_nc_u32_e32 v1, s5, v30
	v_add_nc_u32_e32 v3, s7, v30
	s_delay_alu instid0(VALU_DEP_2) | instskip(NEXT) | instid1(VALU_DEP_2)
	v_mul_lo_u32 v1, v1, s4
	v_mul_lo_u32 v3, v3, s6
	s_delay_alu instid0(VALU_DEP_1) | instskip(NEXT) | instid1(VALU_DEP_1)
	v_sub_nc_u32_e32 v1, v1, v3
	v_cmp_lt_u32_e32 vcc_lo, s3, v1
	v_cndmask_b32_e64 v1, 0, 1, vcc_lo
; %bb.13:
	s_or_b32 exec_lo, exec_lo, s0
	v_add_nc_u32_e32 v3, 1, v36
	s_mov_b32 s0, exec_lo
	s_delay_alu instid0(VALU_DEP_1)
	v_cmpx_gt_u32_e64 s11, v3
; %bb.14:
	v_add_nc_u32_e32 v2, s5, v31
	v_add_nc_u32_e32 v3, s7, v31
	s_delay_alu instid0(VALU_DEP_2) | instskip(NEXT) | instid1(VALU_DEP_2)
	v_mul_lo_u32 v2, v2, s4
	v_mul_lo_u32 v3, v3, s6
	s_delay_alu instid0(VALU_DEP_1) | instskip(NEXT) | instid1(VALU_DEP_1)
	v_sub_nc_u32_e32 v2, v2, v3
	v_cmp_lt_u32_e32 vcc_lo, s3, v2
	v_cndmask_b32_e64 v2, 0, 1, vcc_lo
; %bb.15:
	s_or_b32 exec_lo, exec_lo, s0
	v_dual_mov_b32 v4, 0 :: v_dual_add_nc_u32 v3, 2, v36
	s_delay_alu instid0(VALU_DEP_1)
	v_cmp_gt_u32_e32 vcc_lo, s11, v3
	v_mov_b32_e32 v3, 0
	s_and_saveexec_b32 s0, vcc_lo
; %bb.16:
	v_add_nc_u32_e32 v3, s5, v28
	v_add_nc_u32_e32 v5, s7, v28
	s_delay_alu instid0(VALU_DEP_2) | instskip(NEXT) | instid1(VALU_DEP_2)
	v_mul_lo_u32 v3, v3, s4
	v_mul_lo_u32 v5, v5, s6
	s_delay_alu instid0(VALU_DEP_1) | instskip(NEXT) | instid1(VALU_DEP_1)
	v_sub_nc_u32_e32 v3, v3, v5
	v_cmp_lt_u32_e32 vcc_lo, s3, v3
	v_cndmask_b32_e64 v3, 0, 1, vcc_lo
; %bb.17:
	s_or_b32 exec_lo, exec_lo, s0
	v_add_nc_u32_e32 v5, 3, v36
	s_mov_b32 s0, exec_lo
	s_delay_alu instid0(VALU_DEP_1)
	v_cmpx_gt_u32_e64 s11, v5
; %bb.18:
	v_add_nc_u32_e32 v4, s5, v29
	v_add_nc_u32_e32 v5, s7, v29
	s_delay_alu instid0(VALU_DEP_2) | instskip(NEXT) | instid1(VALU_DEP_2)
	v_mul_lo_u32 v4, v4, s4
	v_mul_lo_u32 v5, v5, s6
	s_delay_alu instid0(VALU_DEP_1) | instskip(NEXT) | instid1(VALU_DEP_1)
	v_sub_nc_u32_e32 v4, v4, v5
	v_cmp_lt_u32_e32 vcc_lo, s3, v4
	v_cndmask_b32_e64 v4, 0, 1, vcc_lo
; %bb.19:
	s_or_b32 exec_lo, exec_lo, s0
	v_dual_mov_b32 v6, 0 :: v_dual_add_nc_u32 v5, 4, v36
	s_delay_alu instid0(VALU_DEP_1)
	v_cmp_gt_u32_e32 vcc_lo, s11, v5
	v_mov_b32_e32 v5, 0
	s_and_saveexec_b32 s0, vcc_lo
; %bb.20:
	v_add_nc_u32_e32 v5, s5, v26
	v_add_nc_u32_e32 v7, s7, v26
	s_delay_alu instid0(VALU_DEP_2) | instskip(NEXT) | instid1(VALU_DEP_2)
	v_mul_lo_u32 v5, v5, s4
	v_mul_lo_u32 v7, v7, s6
	s_delay_alu instid0(VALU_DEP_1) | instskip(NEXT) | instid1(VALU_DEP_1)
	v_sub_nc_u32_e32 v5, v5, v7
	v_cmp_lt_u32_e32 vcc_lo, s3, v5
	v_cndmask_b32_e64 v5, 0, 1, vcc_lo
; %bb.21:
	s_or_b32 exec_lo, exec_lo, s0
	v_add_nc_u32_e32 v7, 5, v36
	s_mov_b32 s0, exec_lo
	s_delay_alu instid0(VALU_DEP_1)
	v_cmpx_gt_u32_e64 s11, v7
; %bb.22:
	v_add_nc_u32_e32 v6, s5, v27
	v_add_nc_u32_e32 v7, s7, v27
	s_delay_alu instid0(VALU_DEP_2) | instskip(NEXT) | instid1(VALU_DEP_2)
	v_mul_lo_u32 v6, v6, s4
	v_mul_lo_u32 v7, v7, s6
	s_delay_alu instid0(VALU_DEP_1) | instskip(NEXT) | instid1(VALU_DEP_1)
	v_sub_nc_u32_e32 v6, v6, v7
	v_cmp_lt_u32_e32 vcc_lo, s3, v6
	v_cndmask_b32_e64 v6, 0, 1, vcc_lo
; %bb.23:
	s_or_b32 exec_lo, exec_lo, s0
	v_dual_mov_b32 v8, 0 :: v_dual_add_nc_u32 v7, 6, v36
	s_delay_alu instid0(VALU_DEP_1)
	v_cmp_gt_u32_e32 vcc_lo, s11, v7
	v_mov_b32_e32 v7, 0
	s_and_saveexec_b32 s0, vcc_lo
; %bb.24:
	v_add_nc_u32_e32 v7, s5, v24
	v_add_nc_u32_e32 v9, s7, v24
	s_delay_alu instid0(VALU_DEP_2) | instskip(NEXT) | instid1(VALU_DEP_2)
	v_mul_lo_u32 v7, v7, s4
	v_mul_lo_u32 v9, v9, s6
	s_delay_alu instid0(VALU_DEP_1) | instskip(NEXT) | instid1(VALU_DEP_1)
	v_sub_nc_u32_e32 v7, v7, v9
	v_cmp_lt_u32_e32 vcc_lo, s3, v7
	v_cndmask_b32_e64 v7, 0, 1, vcc_lo
; %bb.25:
	s_or_b32 exec_lo, exec_lo, s0
	v_add_nc_u32_e32 v9, 7, v36
	s_mov_b32 s0, exec_lo
	s_delay_alu instid0(VALU_DEP_1)
	v_cmpx_gt_u32_e64 s11, v9
; %bb.26:
	v_add_nc_u32_e32 v8, s5, v25
	v_add_nc_u32_e32 v9, s7, v25
	s_delay_alu instid0(VALU_DEP_2) | instskip(NEXT) | instid1(VALU_DEP_2)
	v_mul_lo_u32 v8, v8, s4
	v_mul_lo_u32 v9, v9, s6
	s_delay_alu instid0(VALU_DEP_1) | instskip(NEXT) | instid1(VALU_DEP_1)
	v_sub_nc_u32_e32 v8, v8, v9
	v_cmp_lt_u32_e32 vcc_lo, s3, v8
	v_cndmask_b32_e64 v8, 0, 1, vcc_lo
; %bb.27:
	s_or_b32 exec_lo, exec_lo, s0
	v_dual_mov_b32 v10, 0 :: v_dual_add_nc_u32 v9, 8, v36
	s_delay_alu instid0(VALU_DEP_1)
	v_cmp_gt_u32_e32 vcc_lo, s11, v9
	v_mov_b32_e32 v9, 0
	s_and_saveexec_b32 s0, vcc_lo
; %bb.28:
	v_add_nc_u32_e32 v9, s5, v22
	v_add_nc_u32_e32 v11, s7, v22
	s_delay_alu instid0(VALU_DEP_2) | instskip(NEXT) | instid1(VALU_DEP_2)
	v_mul_lo_u32 v9, v9, s4
	v_mul_lo_u32 v11, v11, s6
	s_delay_alu instid0(VALU_DEP_1) | instskip(NEXT) | instid1(VALU_DEP_1)
	v_sub_nc_u32_e32 v9, v9, v11
	v_cmp_lt_u32_e32 vcc_lo, s3, v9
	v_cndmask_b32_e64 v9, 0, 1, vcc_lo
; %bb.29:
	s_or_b32 exec_lo, exec_lo, s0
	v_add_nc_u32_e32 v11, 9, v36
	s_mov_b32 s0, exec_lo
	s_delay_alu instid0(VALU_DEP_1)
	v_cmpx_gt_u32_e64 s11, v11
; %bb.30:
	v_add_nc_u32_e32 v10, s5, v23
	v_add_nc_u32_e32 v11, s7, v23
	s_delay_alu instid0(VALU_DEP_2) | instskip(NEXT) | instid1(VALU_DEP_2)
	v_mul_lo_u32 v10, v10, s4
	v_mul_lo_u32 v11, v11, s6
	s_delay_alu instid0(VALU_DEP_1) | instskip(NEXT) | instid1(VALU_DEP_1)
	v_sub_nc_u32_e32 v10, v10, v11
	v_cmp_lt_u32_e32 vcc_lo, s3, v10
	v_cndmask_b32_e64 v10, 0, 1, vcc_lo
; %bb.31:
	s_or_b32 exec_lo, exec_lo, s0
	v_dual_mov_b32 v12, 0 :: v_dual_add_nc_u32 v11, 10, v36
	s_delay_alu instid0(VALU_DEP_1)
	v_cmp_gt_u32_e32 vcc_lo, s11, v11
	v_mov_b32_e32 v11, 0
	s_and_saveexec_b32 s0, vcc_lo
; %bb.32:
	v_add_nc_u32_e32 v11, s5, v20
	v_add_nc_u32_e32 v13, s7, v20
	s_delay_alu instid0(VALU_DEP_2) | instskip(NEXT) | instid1(VALU_DEP_2)
	v_mul_lo_u32 v11, v11, s4
	v_mul_lo_u32 v13, v13, s6
	s_delay_alu instid0(VALU_DEP_1) | instskip(NEXT) | instid1(VALU_DEP_1)
	v_sub_nc_u32_e32 v11, v11, v13
	v_cmp_lt_u32_e32 vcc_lo, s3, v11
	v_cndmask_b32_e64 v11, 0, 1, vcc_lo
; %bb.33:
	s_or_b32 exec_lo, exec_lo, s0
	v_add_nc_u32_e32 v13, 11, v36
	s_mov_b32 s0, exec_lo
	s_delay_alu instid0(VALU_DEP_1)
	v_cmpx_gt_u32_e64 s11, v13
; %bb.34:
	v_add_nc_u32_e32 v12, s5, v21
	v_add_nc_u32_e32 v13, s7, v21
	s_delay_alu instid0(VALU_DEP_2) | instskip(NEXT) | instid1(VALU_DEP_2)
	v_mul_lo_u32 v12, v12, s4
	v_mul_lo_u32 v13, v13, s6
	s_delay_alu instid0(VALU_DEP_1) | instskip(NEXT) | instid1(VALU_DEP_1)
	v_sub_nc_u32_e32 v12, v12, v13
	v_cmp_lt_u32_e32 vcc_lo, s3, v12
	v_cndmask_b32_e64 v12, 0, 1, vcc_lo
; %bb.35:
	s_or_b32 exec_lo, exec_lo, s0
	v_add_nc_u32_e32 v13, 12, v36
	v_mov_b32_e32 v37, 0
	s_mov_b32 s0, exec_lo
	s_delay_alu instid0(VALU_DEP_2)
	v_cmpx_gt_u32_e64 s11, v13
; %bb.36:
	v_add_nc_u32_e32 v13, s5, v35
	v_add_nc_u32_e32 v14, s7, v35
	s_delay_alu instid0(VALU_DEP_2) | instskip(NEXT) | instid1(VALU_DEP_2)
	v_mul_lo_u32 v13, v13, s4
	v_mul_lo_u32 v14, v14, s6
	s_delay_alu instid0(VALU_DEP_1) | instskip(NEXT) | instid1(VALU_DEP_1)
	v_sub_nc_u32_e32 v13, v13, v14
	v_cmp_lt_u32_e32 vcc_lo, s3, v13
	v_cndmask_b32_e64 v37, 0, 1, vcc_lo
; %bb.37:
	s_or_b32 exec_lo, exec_lo, s0
	v_lshlrev_b16 v2, 8, v2
	v_lshlrev_b16 v4, 8, v4
	v_lshlrev_b16 v6, 8, v6
	v_lshlrev_b16 v8, 8, v8
	v_lshlrev_b16 v10, 8, v10
	v_or_b32_e32 v1, v1, v2
	v_lshlrev_b16 v2, 8, v12
	v_or_b32_e32 v3, v3, v4
	v_or_b32_e32 v4, v5, v6
	;; [unrolled: 1-line block ×5, first 2 shown]
	v_and_b32_e32 v1, 0xffff, v1
	v_lshlrev_b32_e32 v3, 16, v3
	v_and_b32_e32 v4, 0xffff, v4
	v_lshlrev_b32_e32 v5, 16, v5
	;; [unrolled: 2-line block ×3, first 2 shown]
	v_or_b32_e32 v42, v1, v3
	s_delay_alu instid0(VALU_DEP_4) | instskip(NEXT) | instid1(VALU_DEP_3)
	v_or_b32_e32 v40, v4, v5
	v_or_b32_e32 v38, v6, v2
.LBB1307_38:
	s_delay_alu instid0(VALU_DEP_3)
	v_and_b32_e32 v44, 0xff, v42
	v_bfe_u32 v45, v42, 8, 8
	v_bfe_u32 v46, v42, 16, 8
	v_lshrrev_b32_e32 v43, 24, v42
	v_and_b32_e32 v47, 0xff, v40
	v_bfe_u32 v48, v40, 8, 8
	v_bfe_u32 v49, v40, 16, 8
	v_add3_u32 v1, v45, v44, v46
	v_lshrrev_b32_e32 v41, 24, v40
	v_and_b32_e32 v50, 0xff, v38
	v_bfe_u32 v51, v38, 8, 8
	v_mbcnt_lo_u32_b32 v53, -1, 0
	v_add3_u32 v1, v1, v43, v47
	v_bfe_u32 v52, v38, 16, 8
	v_lshrrev_b32_e32 v39, 24, v38
	v_and_b32_e32 v2, 0xff, v37
	v_and_b32_e32 v3, 15, v53
	v_add3_u32 v1, v1, v48, v49
	v_or_b32_e32 v4, 31, v0
	v_and_b32_e32 v5, 16, v53
	v_lshrrev_b32_e32 v54, 5, v0
	v_cmp_eq_u32_e64 s6, 0, v3
	v_add3_u32 v1, v1, v41, v50
	v_cmp_lt_u32_e64 s5, 1, v3
	v_cmp_lt_u32_e64 s4, 3, v3
	;; [unrolled: 1-line block ×3, first 2 shown]
	v_cmp_eq_u32_e64 s1, 0, v5
	v_add3_u32 v1, v1, v51, v52
	v_cmp_eq_u32_e64 s0, v4, v0
	s_cmp_lg_u32 s20, 0
	s_mov_b32 s7, -1
	s_delay_alu instid0(VALU_DEP_2)
	v_add3_u32 v55, v1, v39, v2
	s_cbranch_scc0 .LBB1307_69
; %bb.39:
	s_delay_alu instid0(VALU_DEP_1) | instskip(NEXT) | instid1(VALU_DEP_1)
	v_mov_b32_dpp v1, v55 row_shr:1 row_mask:0xf bank_mask:0xf
	v_cndmask_b32_e64 v1, v1, 0, s6
	s_delay_alu instid0(VALU_DEP_1) | instskip(NEXT) | instid1(VALU_DEP_1)
	v_add_nc_u32_e32 v1, v1, v55
	v_mov_b32_dpp v2, v1 row_shr:2 row_mask:0xf bank_mask:0xf
	s_delay_alu instid0(VALU_DEP_1) | instskip(NEXT) | instid1(VALU_DEP_1)
	v_cndmask_b32_e64 v2, 0, v2, s5
	v_add_nc_u32_e32 v1, v1, v2
	s_delay_alu instid0(VALU_DEP_1) | instskip(NEXT) | instid1(VALU_DEP_1)
	v_mov_b32_dpp v2, v1 row_shr:4 row_mask:0xf bank_mask:0xf
	v_cndmask_b32_e64 v2, 0, v2, s4
	s_delay_alu instid0(VALU_DEP_1) | instskip(NEXT) | instid1(VALU_DEP_1)
	v_add_nc_u32_e32 v1, v1, v2
	v_mov_b32_dpp v2, v1 row_shr:8 row_mask:0xf bank_mask:0xf
	s_delay_alu instid0(VALU_DEP_1) | instskip(NEXT) | instid1(VALU_DEP_1)
	v_cndmask_b32_e64 v2, 0, v2, s3
	v_add_nc_u32_e32 v1, v1, v2
	ds_swizzle_b32 v2, v1 offset:swizzle(BROADCAST,32,15)
	s_waitcnt lgkmcnt(0)
	v_cndmask_b32_e64 v2, v2, 0, s1
	s_delay_alu instid0(VALU_DEP_1)
	v_add_nc_u32_e32 v1, v1, v2
	s_and_saveexec_b32 s7, s0
	s_cbranch_execz .LBB1307_41
; %bb.40:
	v_lshlrev_b32_e32 v2, 2, v54
	ds_store_b32 v2, v1
.LBB1307_41:
	s_or_b32 exec_lo, exec_lo, s7
	s_delay_alu instid0(SALU_CYCLE_1)
	s_mov_b32 s7, exec_lo
	s_waitcnt lgkmcnt(0)
	s_barrier
	buffer_gl0_inv
	v_cmpx_gt_u32_e32 8, v0
	s_cbranch_execz .LBB1307_43
; %bb.42:
	ds_load_b32 v2, v33
	s_waitcnt lgkmcnt(0)
	v_mov_b32_dpp v4, v2 row_shr:1 row_mask:0xf bank_mask:0xf
	v_and_b32_e32 v3, 7, v53
	s_delay_alu instid0(VALU_DEP_1) | instskip(NEXT) | instid1(VALU_DEP_3)
	v_cmp_ne_u32_e32 vcc_lo, 0, v3
	v_cndmask_b32_e32 v4, 0, v4, vcc_lo
	v_cmp_lt_u32_e32 vcc_lo, 1, v3
	s_delay_alu instid0(VALU_DEP_2) | instskip(NEXT) | instid1(VALU_DEP_1)
	v_add_nc_u32_e32 v2, v4, v2
	v_mov_b32_dpp v4, v2 row_shr:2 row_mask:0xf bank_mask:0xf
	s_delay_alu instid0(VALU_DEP_1) | instskip(SKIP_1) | instid1(VALU_DEP_2)
	v_cndmask_b32_e32 v4, 0, v4, vcc_lo
	v_cmp_lt_u32_e32 vcc_lo, 3, v3
	v_add_nc_u32_e32 v2, v2, v4
	s_delay_alu instid0(VALU_DEP_1) | instskip(NEXT) | instid1(VALU_DEP_1)
	v_mov_b32_dpp v4, v2 row_shr:4 row_mask:0xf bank_mask:0xf
	v_cndmask_b32_e32 v3, 0, v4, vcc_lo
	s_delay_alu instid0(VALU_DEP_1)
	v_add_nc_u32_e32 v2, v2, v3
	ds_store_b32 v33, v2
.LBB1307_43:
	s_or_b32 exec_lo, exec_lo, s7
	v_cmp_gt_u32_e32 vcc_lo, 32, v0
	s_mov_b32 s21, exec_lo
	s_waitcnt lgkmcnt(0)
	s_barrier
	buffer_gl0_inv
                                        ; implicit-def: $vgpr8
	v_cmpx_lt_u32_e32 31, v0
	s_cbranch_execz .LBB1307_45
; %bb.44:
	v_lshl_add_u32 v2, v54, 2, -4
	ds_load_b32 v8, v2
	s_waitcnt lgkmcnt(0)
	v_add_nc_u32_e32 v1, v8, v1
.LBB1307_45:
	s_or_b32 exec_lo, exec_lo, s21
	v_add_nc_u32_e32 v2, -1, v53
	s_delay_alu instid0(VALU_DEP_1) | instskip(NEXT) | instid1(VALU_DEP_1)
	v_cmp_gt_i32_e64 s7, 0, v2
	v_cndmask_b32_e64 v2, v2, v53, s7
	v_cmp_eq_u32_e64 s7, 0, v53
	s_delay_alu instid0(VALU_DEP_2)
	v_lshlrev_b32_e32 v2, 2, v2
	ds_bpermute_b32 v9, v2, v1
	s_and_saveexec_b32 s21, vcc_lo
	s_cbranch_execz .LBB1307_68
; %bb.46:
	v_mov_b32_e32 v4, 0
	ds_load_b32 v1, v4 offset:28
	s_and_saveexec_b32 s22, s7
	s_cbranch_execz .LBB1307_48
; %bb.47:
	s_add_i32 s24, s20, 32
	s_mov_b32 s25, 0
	v_mov_b32_e32 v2, 1
	s_lshl_b64 s[24:25], s[24:25], 3
	s_delay_alu instid0(SALU_CYCLE_1)
	s_add_u32 s24, s18, s24
	s_addc_u32 s25, s19, s25
	s_waitcnt lgkmcnt(0)
	global_store_b64 v4, v[1:2], s[24:25]
.LBB1307_48:
	s_or_b32 exec_lo, exec_lo, s22
	v_xad_u32 v2, v53, -1, s20
	s_mov_b32 s23, 0
	s_mov_b32 s22, exec_lo
	s_delay_alu instid0(VALU_DEP_1) | instskip(NEXT) | instid1(VALU_DEP_1)
	v_add_nc_u32_e32 v3, 32, v2
	v_lshlrev_b64 v[3:4], 3, v[3:4]
	s_delay_alu instid0(VALU_DEP_1) | instskip(NEXT) | instid1(VALU_DEP_2)
	v_add_co_u32 v6, vcc_lo, s18, v3
	v_add_co_ci_u32_e32 v7, vcc_lo, s19, v4, vcc_lo
	global_load_b64 v[4:5], v[6:7], off glc
	s_waitcnt vmcnt(0)
	v_and_b32_e32 v3, 0xff, v5
	s_delay_alu instid0(VALU_DEP_1)
	v_cmpx_eq_u16_e32 0, v3
	s_cbranch_execz .LBB1307_54
; %bb.49:
	s_mov_b32 s24, 1
	.p2align	6
.LBB1307_50:                            ; =>This Loop Header: Depth=1
                                        ;     Child Loop BB1307_51 Depth 2
	s_delay_alu instid0(SALU_CYCLE_1)
	s_max_u32 s25, s24, 1
.LBB1307_51:                            ;   Parent Loop BB1307_50 Depth=1
                                        ; =>  This Inner Loop Header: Depth=2
	s_delay_alu instid0(SALU_CYCLE_1)
	s_add_i32 s25, s25, -1
	s_sleep 1
	s_cmp_eq_u32 s25, 0
	s_cbranch_scc0 .LBB1307_51
; %bb.52:                               ;   in Loop: Header=BB1307_50 Depth=1
	global_load_b64 v[4:5], v[6:7], off glc
	s_cmp_lt_u32 s24, 32
	s_cselect_b32 s25, -1, 0
	s_delay_alu instid0(SALU_CYCLE_1) | instskip(SKIP_3) | instid1(VALU_DEP_1)
	s_cmp_lg_u32 s25, 0
	s_addc_u32 s24, s24, 0
	s_waitcnt vmcnt(0)
	v_and_b32_e32 v3, 0xff, v5
	v_cmp_ne_u16_e32 vcc_lo, 0, v3
	s_or_b32 s23, vcc_lo, s23
	s_delay_alu instid0(SALU_CYCLE_1)
	s_and_not1_b32 exec_lo, exec_lo, s23
	s_cbranch_execnz .LBB1307_50
; %bb.53:
	s_or_b32 exec_lo, exec_lo, s23
.LBB1307_54:
	s_delay_alu instid0(SALU_CYCLE_1)
	s_or_b32 exec_lo, exec_lo, s22
	v_cmp_ne_u32_e32 vcc_lo, 31, v53
	v_lshlrev_b32_e64 v11, v53, -1
	v_add_nc_u32_e32 v13, 2, v53
	v_add_nc_u32_e32 v15, 4, v53
	;; [unrolled: 1-line block ×3, first 2 shown]
	v_add_co_ci_u32_e32 v3, vcc_lo, 0, v53, vcc_lo
	v_add_nc_u32_e32 v58, 16, v53
	s_delay_alu instid0(VALU_DEP_2) | instskip(SKIP_2) | instid1(VALU_DEP_1)
	v_lshlrev_b32_e32 v10, 2, v3
	ds_bpermute_b32 v6, v10, v4
	v_and_b32_e32 v3, 0xff, v5
	v_cmp_eq_u16_e32 vcc_lo, 2, v3
	v_and_or_b32 v3, vcc_lo, v11, 0x80000000
	v_cmp_gt_u32_e32 vcc_lo, 30, v53
	s_delay_alu instid0(VALU_DEP_2) | instskip(SKIP_1) | instid1(VALU_DEP_2)
	v_ctz_i32_b32_e32 v3, v3
	v_cndmask_b32_e64 v7, 0, 1, vcc_lo
	v_cmp_lt_u32_e32 vcc_lo, v53, v3
	s_waitcnt lgkmcnt(0)
	s_delay_alu instid0(VALU_DEP_2) | instskip(NEXT) | instid1(VALU_DEP_1)
	v_dual_cndmask_b32 v6, 0, v6 :: v_dual_lshlrev_b32 v7, 1, v7
	v_add_lshl_u32 v12, v7, v53, 2
	v_cmp_gt_u32_e32 vcc_lo, 28, v53
	s_delay_alu instid0(VALU_DEP_3) | instskip(SKIP_4) | instid1(VALU_DEP_1)
	v_add_nc_u32_e32 v4, v6, v4
	v_cndmask_b32_e64 v7, 0, 1, vcc_lo
	v_cmp_le_u32_e32 vcc_lo, v13, v3
	ds_bpermute_b32 v6, v12, v4
	v_lshlrev_b32_e32 v7, 2, v7
	v_add_lshl_u32 v14, v7, v53, 2
	s_waitcnt lgkmcnt(0)
	v_cndmask_b32_e32 v6, 0, v6, vcc_lo
	v_cmp_gt_u32_e32 vcc_lo, 24, v53
	s_delay_alu instid0(VALU_DEP_2) | instskip(SKIP_4) | instid1(VALU_DEP_1)
	v_add_nc_u32_e32 v4, v4, v6
	v_cndmask_b32_e64 v7, 0, 1, vcc_lo
	v_cmp_le_u32_e32 vcc_lo, v15, v3
	ds_bpermute_b32 v6, v14, v4
	v_lshlrev_b32_e32 v7, 3, v7
	v_add_lshl_u32 v17, v7, v53, 2
	s_waitcnt lgkmcnt(0)
	v_cndmask_b32_e32 v6, 0, v6, vcc_lo
	v_cmp_gt_u32_e32 vcc_lo, 16, v53
	s_delay_alu instid0(VALU_DEP_2) | instskip(SKIP_4) | instid1(VALU_DEP_1)
	v_add_nc_u32_e32 v4, v4, v6
	v_cndmask_b32_e64 v7, 0, 1, vcc_lo
	v_cmp_le_u32_e32 vcc_lo, v56, v3
	ds_bpermute_b32 v6, v17, v4
	v_lshlrev_b32_e32 v7, 4, v7
	v_add_lshl_u32 v57, v7, v53, 2
	s_waitcnt lgkmcnt(0)
	v_cndmask_b32_e32 v6, 0, v6, vcc_lo
	v_cmp_le_u32_e32 vcc_lo, v58, v3
	s_delay_alu instid0(VALU_DEP_2) | instskip(SKIP_3) | instid1(VALU_DEP_1)
	v_add_nc_u32_e32 v4, v4, v6
	ds_bpermute_b32 v6, v57, v4
	s_waitcnt lgkmcnt(0)
	v_cndmask_b32_e32 v3, 0, v6, vcc_lo
	v_dual_mov_b32 v3, 0 :: v_dual_add_nc_u32 v4, v4, v3
	s_branch .LBB1307_56
.LBB1307_55:                            ;   in Loop: Header=BB1307_56 Depth=1
	s_or_b32 exec_lo, exec_lo, s22
	ds_bpermute_b32 v7, v10, v4
	v_and_b32_e32 v6, 0xff, v5
	v_subrev_nc_u32_e32 v2, 32, v2
	s_delay_alu instid0(VALU_DEP_2) | instskip(SKIP_1) | instid1(VALU_DEP_1)
	v_cmp_eq_u16_e32 vcc_lo, 2, v6
	v_and_or_b32 v6, vcc_lo, v11, 0x80000000
	v_ctz_i32_b32_e32 v6, v6
	s_delay_alu instid0(VALU_DEP_1) | instskip(SKIP_3) | instid1(VALU_DEP_2)
	v_cmp_lt_u32_e32 vcc_lo, v53, v6
	s_waitcnt lgkmcnt(0)
	v_cndmask_b32_e32 v7, 0, v7, vcc_lo
	v_cmp_le_u32_e32 vcc_lo, v13, v6
	v_add_nc_u32_e32 v4, v7, v4
	ds_bpermute_b32 v7, v12, v4
	s_waitcnt lgkmcnt(0)
	v_cndmask_b32_e32 v7, 0, v7, vcc_lo
	v_cmp_le_u32_e32 vcc_lo, v15, v6
	s_delay_alu instid0(VALU_DEP_2) | instskip(SKIP_4) | instid1(VALU_DEP_2)
	v_add_nc_u32_e32 v4, v4, v7
	ds_bpermute_b32 v7, v14, v4
	s_waitcnt lgkmcnt(0)
	v_cndmask_b32_e32 v7, 0, v7, vcc_lo
	v_cmp_le_u32_e32 vcc_lo, v56, v6
	v_add_nc_u32_e32 v4, v4, v7
	ds_bpermute_b32 v7, v17, v4
	s_waitcnt lgkmcnt(0)
	v_cndmask_b32_e32 v7, 0, v7, vcc_lo
	v_cmp_le_u32_e32 vcc_lo, v58, v6
	s_delay_alu instid0(VALU_DEP_2) | instskip(SKIP_3) | instid1(VALU_DEP_1)
	v_add_nc_u32_e32 v4, v4, v7
	ds_bpermute_b32 v7, v57, v4
	s_waitcnt lgkmcnt(0)
	v_cndmask_b32_e32 v6, 0, v7, vcc_lo
	v_add3_u32 v4, v6, v16, v4
.LBB1307_56:                            ; =>This Loop Header: Depth=1
                                        ;     Child Loop BB1307_59 Depth 2
                                        ;       Child Loop BB1307_60 Depth 3
	s_delay_alu instid0(VALU_DEP_1) | instskip(NEXT) | instid1(VALU_DEP_1)
	v_dual_mov_b32 v16, v4 :: v_dual_and_b32 v5, 0xff, v5
	v_cmp_ne_u16_e32 vcc_lo, 2, v5
	v_cndmask_b32_e64 v5, 0, 1, vcc_lo
	;;#ASMSTART
	;;#ASMEND
	s_delay_alu instid0(VALU_DEP_1)
	v_cmp_ne_u32_e32 vcc_lo, 0, v5
	s_cmp_lg_u32 vcc_lo, exec_lo
	s_cbranch_scc1 .LBB1307_63
; %bb.57:                               ;   in Loop: Header=BB1307_56 Depth=1
	v_lshlrev_b64 v[4:5], 3, v[2:3]
	s_mov_b32 s22, exec_lo
	s_delay_alu instid0(VALU_DEP_1) | instskip(NEXT) | instid1(VALU_DEP_2)
	v_add_co_u32 v6, vcc_lo, s18, v4
	v_add_co_ci_u32_e32 v7, vcc_lo, s19, v5, vcc_lo
	global_load_b64 v[4:5], v[6:7], off glc
	s_waitcnt vmcnt(0)
	v_and_b32_e32 v59, 0xff, v5
	s_delay_alu instid0(VALU_DEP_1)
	v_cmpx_eq_u16_e32 0, v59
	s_cbranch_execz .LBB1307_55
; %bb.58:                               ;   in Loop: Header=BB1307_56 Depth=1
	s_mov_b32 s24, 1
	s_mov_b32 s23, 0
	.p2align	6
.LBB1307_59:                            ;   Parent Loop BB1307_56 Depth=1
                                        ; =>  This Loop Header: Depth=2
                                        ;       Child Loop BB1307_60 Depth 3
	s_max_u32 s25, s24, 1
.LBB1307_60:                            ;   Parent Loop BB1307_56 Depth=1
                                        ;     Parent Loop BB1307_59 Depth=2
                                        ; =>    This Inner Loop Header: Depth=3
	s_delay_alu instid0(SALU_CYCLE_1)
	s_add_i32 s25, s25, -1
	s_sleep 1
	s_cmp_eq_u32 s25, 0
	s_cbranch_scc0 .LBB1307_60
; %bb.61:                               ;   in Loop: Header=BB1307_59 Depth=2
	global_load_b64 v[4:5], v[6:7], off glc
	s_cmp_lt_u32 s24, 32
	s_cselect_b32 s25, -1, 0
	s_delay_alu instid0(SALU_CYCLE_1) | instskip(SKIP_3) | instid1(VALU_DEP_1)
	s_cmp_lg_u32 s25, 0
	s_addc_u32 s24, s24, 0
	s_waitcnt vmcnt(0)
	v_and_b32_e32 v59, 0xff, v5
	v_cmp_ne_u16_e32 vcc_lo, 0, v59
	s_or_b32 s23, vcc_lo, s23
	s_delay_alu instid0(SALU_CYCLE_1)
	s_and_not1_b32 exec_lo, exec_lo, s23
	s_cbranch_execnz .LBB1307_59
; %bb.62:                               ;   in Loop: Header=BB1307_56 Depth=1
	s_or_b32 exec_lo, exec_lo, s23
	s_branch .LBB1307_55
.LBB1307_63:                            ;   in Loop: Header=BB1307_56 Depth=1
                                        ; implicit-def: $vgpr4
                                        ; implicit-def: $vgpr5
	s_cbranch_execz .LBB1307_56
; %bb.64:
	s_and_saveexec_b32 s22, s7
	s_cbranch_execz .LBB1307_66
; %bb.65:
	s_add_i32 s24, s20, 32
	s_mov_b32 s25, 0
	v_dual_mov_b32 v3, 2 :: v_dual_add_nc_u32 v2, v16, v1
	s_lshl_b64 s[24:25], s[24:25], 3
	v_mov_b32_e32 v4, 0
	v_add_nc_u32_e64 v5, 0x3400, 0
	s_add_u32 s24, s18, s24
	s_addc_u32 s25, s19, s25
	global_store_b64 v4, v[2:3], s[24:25]
	ds_store_2addr_b32 v5, v1, v16 offset1:2
.LBB1307_66:
	s_or_b32 exec_lo, exec_lo, s22
	s_delay_alu instid0(SALU_CYCLE_1)
	s_and_b32 exec_lo, exec_lo, s2
	s_cbranch_execz .LBB1307_68
; %bb.67:
	v_mov_b32_e32 v1, 0
	ds_store_b32 v1, v16 offset:28
.LBB1307_68:
	s_or_b32 exec_lo, exec_lo, s21
	v_mov_b32_e32 v1, 0
	s_waitcnt lgkmcnt(0)
	s_waitcnt_vscnt null, 0x0
	s_barrier
	buffer_gl0_inv
	v_cndmask_b32_e64 v2, v9, v8, s7
	ds_load_b32 v1, v1 offset:28
	v_add_nc_u32_e64 v11, 0x3400, 0
	s_waitcnt lgkmcnt(0)
	s_barrier
	v_cndmask_b32_e64 v2, v2, 0, s2
	buffer_gl0_inv
	ds_load_2addr_b32 v[16:17], v11 offset1:2
	v_add_nc_u32_e32 v1, v1, v2
	s_delay_alu instid0(VALU_DEP_1) | instskip(NEXT) | instid1(VALU_DEP_1)
	v_add_nc_u32_e32 v2, v1, v44
	v_add_nc_u32_e32 v3, v2, v45
	s_delay_alu instid0(VALU_DEP_1) | instskip(NEXT) | instid1(VALU_DEP_1)
	v_add_nc_u32_e32 v4, v3, v46
	;; [unrolled: 3-line block ×6, first 2 shown]
	v_add_nc_u32_e32 v13, v12, v39
	s_branch .LBB1307_79
.LBB1307_69:
                                        ; implicit-def: $vgpr17
                                        ; implicit-def: $vgpr1_vgpr2_vgpr3_vgpr4_vgpr5_vgpr6_vgpr7_vgpr8_vgpr9_vgpr10_vgpr11_vgpr12_vgpr13_vgpr14_vgpr15_vgpr16
	s_and_b32 vcc_lo, exec_lo, s7
	s_cbranch_vccz .LBB1307_79
; %bb.70:
	s_delay_alu instid0(VALU_DEP_1) | instskip(NEXT) | instid1(VALU_DEP_1)
	v_mov_b32_dpp v1, v55 row_shr:1 row_mask:0xf bank_mask:0xf
	v_cndmask_b32_e64 v1, v1, 0, s6
	s_delay_alu instid0(VALU_DEP_1) | instskip(NEXT) | instid1(VALU_DEP_1)
	v_add_nc_u32_e32 v1, v1, v55
	v_mov_b32_dpp v2, v1 row_shr:2 row_mask:0xf bank_mask:0xf
	s_delay_alu instid0(VALU_DEP_1) | instskip(NEXT) | instid1(VALU_DEP_1)
	v_cndmask_b32_e64 v2, 0, v2, s5
	v_add_nc_u32_e32 v1, v1, v2
	s_delay_alu instid0(VALU_DEP_1) | instskip(NEXT) | instid1(VALU_DEP_1)
	v_mov_b32_dpp v2, v1 row_shr:4 row_mask:0xf bank_mask:0xf
	v_cndmask_b32_e64 v2, 0, v2, s4
	s_delay_alu instid0(VALU_DEP_1) | instskip(NEXT) | instid1(VALU_DEP_1)
	v_add_nc_u32_e32 v1, v1, v2
	v_mov_b32_dpp v2, v1 row_shr:8 row_mask:0xf bank_mask:0xf
	s_delay_alu instid0(VALU_DEP_1) | instskip(NEXT) | instid1(VALU_DEP_1)
	v_cndmask_b32_e64 v2, 0, v2, s3
	v_add_nc_u32_e32 v1, v1, v2
	ds_swizzle_b32 v2, v1 offset:swizzle(BROADCAST,32,15)
	s_waitcnt lgkmcnt(0)
	v_cndmask_b32_e64 v2, v2, 0, s1
	s_delay_alu instid0(VALU_DEP_1)
	v_add_nc_u32_e32 v1, v1, v2
	s_and_saveexec_b32 s1, s0
	s_cbranch_execz .LBB1307_72
; %bb.71:
	v_lshlrev_b32_e32 v2, 2, v54
	ds_store_b32 v2, v1
.LBB1307_72:
	s_or_b32 exec_lo, exec_lo, s1
	s_delay_alu instid0(SALU_CYCLE_1)
	s_mov_b32 s0, exec_lo
	s_waitcnt lgkmcnt(0)
	s_barrier
	buffer_gl0_inv
	v_cmpx_gt_u32_e32 8, v0
	s_cbranch_execz .LBB1307_74
; %bb.73:
	ds_load_b32 v2, v33
	s_waitcnt lgkmcnt(0)
	v_mov_b32_dpp v4, v2 row_shr:1 row_mask:0xf bank_mask:0xf
	v_and_b32_e32 v3, 7, v53
	s_delay_alu instid0(VALU_DEP_1) | instskip(NEXT) | instid1(VALU_DEP_3)
	v_cmp_ne_u32_e32 vcc_lo, 0, v3
	v_cndmask_b32_e32 v4, 0, v4, vcc_lo
	v_cmp_lt_u32_e32 vcc_lo, 1, v3
	s_delay_alu instid0(VALU_DEP_2) | instskip(NEXT) | instid1(VALU_DEP_1)
	v_add_nc_u32_e32 v2, v4, v2
	v_mov_b32_dpp v4, v2 row_shr:2 row_mask:0xf bank_mask:0xf
	s_delay_alu instid0(VALU_DEP_1) | instskip(SKIP_1) | instid1(VALU_DEP_2)
	v_cndmask_b32_e32 v4, 0, v4, vcc_lo
	v_cmp_lt_u32_e32 vcc_lo, 3, v3
	v_add_nc_u32_e32 v2, v2, v4
	s_delay_alu instid0(VALU_DEP_1) | instskip(NEXT) | instid1(VALU_DEP_1)
	v_mov_b32_dpp v4, v2 row_shr:4 row_mask:0xf bank_mask:0xf
	v_cndmask_b32_e32 v3, 0, v4, vcc_lo
	s_delay_alu instid0(VALU_DEP_1)
	v_add_nc_u32_e32 v2, v2, v3
	ds_store_b32 v33, v2
.LBB1307_74:
	s_or_b32 exec_lo, exec_lo, s0
	v_dual_mov_b32 v3, 0 :: v_dual_mov_b32 v2, 0
	s_mov_b32 s0, exec_lo
	s_waitcnt lgkmcnt(0)
	s_barrier
	buffer_gl0_inv
	v_cmpx_lt_u32_e32 31, v0
	s_cbranch_execz .LBB1307_76
; %bb.75:
	v_lshl_add_u32 v2, v54, 2, -4
	ds_load_b32 v2, v2
.LBB1307_76:
	s_or_b32 exec_lo, exec_lo, s0
	v_add_nc_u32_e32 v4, -1, v53
	s_waitcnt lgkmcnt(0)
	v_add_nc_u32_e32 v1, v2, v1
	ds_load_b32 v16, v3 offset:28
	v_cmp_gt_i32_e32 vcc_lo, 0, v4
	v_cndmask_b32_e32 v4, v4, v53, vcc_lo
	s_delay_alu instid0(VALU_DEP_1)
	v_lshlrev_b32_e32 v4, 2, v4
	ds_bpermute_b32 v1, v4, v1
	s_and_saveexec_b32 s0, s2
	s_cbranch_execz .LBB1307_78
; %bb.77:
	v_mov_b32_e32 v3, 0
	v_mov_b32_e32 v17, 2
	s_waitcnt lgkmcnt(1)
	global_store_b64 v3, v[16:17], s[18:19] offset:256
.LBB1307_78:
	s_or_b32 exec_lo, exec_lo, s0
	v_cmp_eq_u32_e32 vcc_lo, 0, v53
	s_waitcnt lgkmcnt(0)
	s_waitcnt_vscnt null, 0x0
	s_barrier
	buffer_gl0_inv
	v_mov_b32_e32 v17, 0
	v_cndmask_b32_e32 v1, v1, v2, vcc_lo
	s_delay_alu instid0(VALU_DEP_1) | instskip(NEXT) | instid1(VALU_DEP_1)
	v_cndmask_b32_e64 v1, v1, 0, s2
	v_add_nc_u32_e32 v2, v1, v44
	s_delay_alu instid0(VALU_DEP_1) | instskip(NEXT) | instid1(VALU_DEP_1)
	v_add_nc_u32_e32 v3, v2, v45
	v_add_nc_u32_e32 v4, v3, v46
	s_delay_alu instid0(VALU_DEP_1) | instskip(NEXT) | instid1(VALU_DEP_1)
	v_add_nc_u32_e32 v5, v4, v43
	;; [unrolled: 3-line block ×5, first 2 shown]
	v_add_nc_u32_e32 v12, v11, v52
	s_delay_alu instid0(VALU_DEP_1)
	v_add_nc_u32_e32 v13, v12, v39
.LBB1307_79:
	s_waitcnt lgkmcnt(0)
	v_sub_nc_u32_e32 v1, v1, v17
	v_sub_nc_u32_e32 v2, v2, v17
	v_add_nc_u32_e32 v36, v16, v36
	v_lshrrev_b32_e32 v47, 8, v42
	v_lshrrev_b32_e32 v46, 16, v42
	v_sub_nc_u32_e32 v4, v4, v17
	v_sub_nc_u32_e32 v3, v3, v17
	v_sub_nc_u32_e32 v48, v36, v1
	v_and_b32_e32 v42, 1, v42
	v_and_b32_e32 v47, 1, v47
	;; [unrolled: 1-line block ×3, first 2 shown]
	v_lshrrev_b32_e32 v45, 8, v40
	v_lshrrev_b32_e32 v44, 16, v40
	v_cmp_eq_u32_e32 vcc_lo, 1, v42
	v_and_b32_e32 v42, 1, v46
	v_sub_nc_u32_e32 v46, v36, v2
	v_lshrrev_b32_e32 v15, 8, v38
	v_lshrrev_b32_e32 v14, 16, v38
	v_cndmask_b32_e32 v1, v48, v1, vcc_lo
	v_cmp_eq_u32_e32 vcc_lo, 1, v47
	v_add_nc_u32_e32 v46, 1, v46
	s_delay_alu instid0(VALU_DEP_3)
	v_lshlrev_b32_e32 v1, 2, v1
	ds_store_b32 v1, v30
	v_cndmask_b32_e32 v1, v46, v2, vcc_lo
	v_sub_nc_u32_e32 v48, v36, v3
	v_sub_nc_u32_e32 v49, v36, v4
	v_cmp_eq_u32_e32 vcc_lo, 1, v42
	v_or_b32_e32 v30, 0x300, v0
	v_lshlrev_b32_e32 v1, 2, v1
	v_add_nc_u32_e32 v48, 2, v48
	v_add_nc_u32_e32 v49, 3, v49
	ds_store_b32 v1, v31
	v_cndmask_b32_e32 v2, v48, v3, vcc_lo
	v_cmp_eq_u32_e32 vcc_lo, 1, v43
	v_or_b32_e32 v31, 0x200, v0
	s_delay_alu instid0(VALU_DEP_3) | instskip(SKIP_2) | instid1(VALU_DEP_3)
	v_dual_cndmask_b32 v3, v49, v4 :: v_dual_lshlrev_b32 v2, 2, v2
	v_sub_nc_u32_e32 v4, v5, v17
	v_sub_nc_u32_e32 v5, v6, v17
	v_lshlrev_b32_e32 v3, 2, v3
	s_delay_alu instid0(VALU_DEP_3) | instskip(NEXT) | instid1(VALU_DEP_3)
	v_sub_nc_u32_e32 v1, v36, v4
	v_sub_nc_u32_e32 v6, v36, v5
	ds_store_b32 v2, v28
	ds_store_b32 v3, v29
	v_and_b32_e32 v2, 1, v40
	v_add_nc_u32_e32 v1, 4, v1
	v_add_nc_u32_e32 v3, 5, v6
	v_sub_nc_u32_e32 v6, v7, v17
	v_and_b32_e32 v7, 1, v45
	v_cmp_eq_u32_e32 vcc_lo, 1, v2
	v_sub_nc_u32_e32 v2, v8, v17
	v_and_b32_e32 v8, 1, v41
	v_or_b32_e32 v29, 0x400, v0
	v_or_b32_e32 v28, 0x500, v0
	v_cndmask_b32_e32 v1, v1, v4, vcc_lo
	v_sub_nc_u32_e32 v4, v36, v6
	v_cmp_eq_u32_e32 vcc_lo, 1, v7
	v_and_b32_e32 v7, 1, v44
	s_delay_alu instid0(VALU_DEP_4) | instskip(NEXT) | instid1(VALU_DEP_4)
	v_lshlrev_b32_e32 v1, 2, v1
	v_dual_cndmask_b32 v3, v3, v5 :: v_dual_add_nc_u32 v4, 6, v4
	v_sub_nc_u32_e32 v5, v36, v2
	s_delay_alu instid0(VALU_DEP_4) | instskip(SKIP_2) | instid1(VALU_DEP_4)
	v_cmp_eq_u32_e32 vcc_lo, 1, v7
	v_sub_nc_u32_e32 v7, v13, v17
	v_add_co_u32 v13, s0, s16, v32
	v_dual_cndmask_b32 v4, v4, v6 :: v_dual_add_nc_u32 v5, 7, v5
	v_cmp_eq_u32_e32 vcc_lo, 1, v8
	v_sub_nc_u32_e32 v6, v9, v17
	v_lshlrev_b32_e32 v3, 2, v3
	ds_store_b32 v1, v26
	ds_store_b32 v3, v27
	v_cndmask_b32_e32 v2, v5, v2, vcc_lo
	v_sub_nc_u32_e32 v1, v36, v6
	v_lshlrev_b32_e32 v3, 2, v4
	v_and_b32_e32 v5, 1, v38
	v_sub_nc_u32_e32 v4, v10, v17
	v_lshlrev_b32_e32 v2, 2, v2
	v_add_nc_u32_e32 v1, 8, v1
	ds_store_b32 v3, v24
	ds_store_b32 v2, v25
	v_cmp_eq_u32_e32 vcc_lo, 1, v5
	v_sub_nc_u32_e32 v3, v11, v17
	v_sub_nc_u32_e32 v2, v36, v4
	;; [unrolled: 1-line block ×3, first 2 shown]
	v_dual_cndmask_b32 v1, v1, v6 :: v_dual_and_b32 v10, 1, v39
	v_and_b32_e32 v6, 1, v15
	v_sub_nc_u32_e32 v8, v36, v3
	v_add_nc_u32_e32 v2, 9, v2
	v_sub_nc_u32_e32 v9, v36, v5
	v_and_b32_e32 v11, 1, v37
	v_cmp_eq_u32_e32 vcc_lo, 1, v6
	v_add_nc_u32_e32 v6, 10, v8
	v_and_b32_e32 v8, 1, v14
	v_add_nc_u32_e32 v9, 11, v9
	v_dual_cndmask_b32 v2, v2, v4 :: v_dual_lshlrev_b32 v1, 2, v1
	v_sub_nc_u32_e32 v4, v36, v7
	s_delay_alu instid0(VALU_DEP_4) | instskip(SKIP_1) | instid1(VALU_DEP_4)
	v_cmp_eq_u32_e32 vcc_lo, 1, v8
	v_add_co_ci_u32_e64 v14, null, s17, 0, s0
	v_lshlrev_b32_e32 v2, 2, v2
	s_delay_alu instid0(VALU_DEP_4)
	v_dual_cndmask_b32 v3, v6, v3 :: v_dual_add_nc_u32 v4, 12, v4
	v_cmp_eq_u32_e32 vcc_lo, 1, v10
	v_or_b32_e32 v27, 0x600, v0
	v_or_b32_e32 v26, 0x700, v0
	;; [unrolled: 1-line block ×3, first 2 shown]
	v_lshlrev_b32_e32 v3, 2, v3
	v_cndmask_b32_e32 v5, v9, v5, vcc_lo
	v_cmp_eq_u32_e32 vcc_lo, 1, v11
	v_or_b32_e32 v24, 0x900, v0
	s_delay_alu instid0(VALU_DEP_3) | instskip(SKIP_2) | instid1(VALU_DEP_3)
	v_dual_cndmask_b32 v4, v4, v7 :: v_dual_lshlrev_b32 v5, 2, v5
	v_sub_co_u32 v13, vcc_lo, s14, v13
	v_sub_co_ci_u32_e32 v14, vcc_lo, s15, v14, vcc_lo
	v_lshlrev_b32_e32 v4, 2, v4
	ds_store_b32 v1, v22
	ds_store_b32 v2, v23
	;; [unrolled: 1-line block ×5, first 2 shown]
	s_waitcnt lgkmcnt(0)
	s_barrier
	buffer_gl0_inv
	ds_load_2addr_stride64_b32 v[11:12], v33 offset1:4
	ds_load_2addr_stride64_b32 v[9:10], v33 offset0:8 offset1:12
	ds_load_2addr_stride64_b32 v[7:8], v33 offset0:16 offset1:20
	;; [unrolled: 1-line block ×5, first 2 shown]
	ds_load_b32 v20, v33 offset:12288
	v_add_co_u32 v15, vcc_lo, v18, v17
	v_add_co_ci_u32_e32 v17, vcc_lo, 0, v19, vcc_lo
	v_add_co_u32 v13, vcc_lo, v13, v16
	v_add_co_ci_u32_e32 v14, vcc_lo, 0, v14, vcc_lo
	v_cmp_ne_u32_e32 vcc_lo, 1, v34
	s_delay_alu instid0(VALU_DEP_3)
	v_add_co_u32 v18, s0, v13, v15
	v_or_b32_e32 v35, 0x100, v0
	v_or_b32_e32 v23, 0xa00, v0
	;; [unrolled: 1-line block ×4, first 2 shown]
	v_add_co_ci_u32_e64 v19, s0, v14, v17, s0
	s_mov_b32 s0, 0
	s_cbranch_vccnz .LBB1307_136
; %bb.80:
	s_mov_b32 s0, exec_lo
                                        ; implicit-def: $vgpr13_vgpr14
	v_cmpx_ge_u32_e64 v0, v16
	s_xor_b32 s0, exec_lo, s0
; %bb.81:
	v_not_b32_e32 v13, v0
	s_delay_alu instid0(VALU_DEP_1) | instskip(SKIP_1) | instid1(VALU_DEP_2)
	v_ashrrev_i32_e32 v14, 31, v13
	v_add_co_u32 v13, vcc_lo, v18, v13
	v_add_co_ci_u32_e32 v14, vcc_lo, v19, v14, vcc_lo
; %bb.82:
	s_and_not1_saveexec_b32 s0, s0
; %bb.83:
	v_add_co_u32 v13, vcc_lo, v15, v0
	v_add_co_ci_u32_e32 v14, vcc_lo, 0, v17, vcc_lo
; %bb.84:
	s_or_b32 exec_lo, exec_lo, s0
	s_delay_alu instid0(VALU_DEP_1) | instskip(SKIP_1) | instid1(VALU_DEP_1)
	v_lshlrev_b64 v[13:14], 2, v[13:14]
	s_mov_b32 s0, exec_lo
	v_add_co_u32 v13, vcc_lo, s12, v13
	s_delay_alu instid0(VALU_DEP_2)
	v_add_co_ci_u32_e32 v14, vcc_lo, s13, v14, vcc_lo
	s_waitcnt lgkmcnt(6)
	global_store_b32 v[13:14], v11, off
                                        ; implicit-def: $vgpr13_vgpr14
	v_cmpx_ge_u32_e64 v35, v16
	s_xor_b32 s0, exec_lo, s0
; %bb.85:
	v_xor_b32_e32 v13, 0xfffffeff, v0
	s_delay_alu instid0(VALU_DEP_1) | instskip(SKIP_1) | instid1(VALU_DEP_2)
	v_ashrrev_i32_e32 v14, 31, v13
	v_add_co_u32 v13, vcc_lo, v18, v13
	v_add_co_ci_u32_e32 v14, vcc_lo, v19, v14, vcc_lo
; %bb.86:
	s_and_not1_saveexec_b32 s0, s0
; %bb.87:
	v_add_co_u32 v13, vcc_lo, v15, v35
	v_add_co_ci_u32_e32 v14, vcc_lo, 0, v17, vcc_lo
; %bb.88:
	s_or_b32 exec_lo, exec_lo, s0
	s_delay_alu instid0(VALU_DEP_1) | instskip(SKIP_1) | instid1(VALU_DEP_1)
	v_lshlrev_b64 v[13:14], 2, v[13:14]
	s_mov_b32 s0, exec_lo
	v_add_co_u32 v13, vcc_lo, s12, v13
	s_delay_alu instid0(VALU_DEP_2)
	v_add_co_ci_u32_e32 v14, vcc_lo, s13, v14, vcc_lo
	global_store_b32 v[13:14], v12, off
                                        ; implicit-def: $vgpr13_vgpr14
	v_cmpx_ge_u32_e64 v31, v16
	s_xor_b32 s0, exec_lo, s0
; %bb.89:
	v_xor_b32_e32 v13, 0xfffffdff, v0
	s_delay_alu instid0(VALU_DEP_1) | instskip(SKIP_1) | instid1(VALU_DEP_2)
	v_ashrrev_i32_e32 v14, 31, v13
	v_add_co_u32 v13, vcc_lo, v18, v13
	v_add_co_ci_u32_e32 v14, vcc_lo, v19, v14, vcc_lo
; %bb.90:
	s_and_not1_saveexec_b32 s0, s0
; %bb.91:
	v_add_co_u32 v13, vcc_lo, v15, v31
	v_add_co_ci_u32_e32 v14, vcc_lo, 0, v17, vcc_lo
; %bb.92:
	s_or_b32 exec_lo, exec_lo, s0
	s_delay_alu instid0(VALU_DEP_1) | instskip(SKIP_1) | instid1(VALU_DEP_1)
	v_lshlrev_b64 v[13:14], 2, v[13:14]
	s_mov_b32 s0, exec_lo
	v_add_co_u32 v13, vcc_lo, s12, v13
	s_delay_alu instid0(VALU_DEP_2)
	v_add_co_ci_u32_e32 v14, vcc_lo, s13, v14, vcc_lo
	s_waitcnt lgkmcnt(5)
	global_store_b32 v[13:14], v9, off
                                        ; implicit-def: $vgpr13_vgpr14
	v_cmpx_ge_u32_e64 v30, v16
	s_xor_b32 s0, exec_lo, s0
; %bb.93:
	v_xor_b32_e32 v13, 0xfffffcff, v0
	s_delay_alu instid0(VALU_DEP_1) | instskip(SKIP_1) | instid1(VALU_DEP_2)
	v_ashrrev_i32_e32 v14, 31, v13
	v_add_co_u32 v13, vcc_lo, v18, v13
	v_add_co_ci_u32_e32 v14, vcc_lo, v19, v14, vcc_lo
; %bb.94:
	s_and_not1_saveexec_b32 s0, s0
; %bb.95:
	v_add_co_u32 v13, vcc_lo, v15, v30
	v_add_co_ci_u32_e32 v14, vcc_lo, 0, v17, vcc_lo
; %bb.96:
	s_or_b32 exec_lo, exec_lo, s0
	s_delay_alu instid0(VALU_DEP_1) | instskip(SKIP_1) | instid1(VALU_DEP_1)
	v_lshlrev_b64 v[13:14], 2, v[13:14]
	s_mov_b32 s0, exec_lo
	v_add_co_u32 v13, vcc_lo, s12, v13
	s_delay_alu instid0(VALU_DEP_2)
	v_add_co_ci_u32_e32 v14, vcc_lo, s13, v14, vcc_lo
	global_store_b32 v[13:14], v10, off
                                        ; implicit-def: $vgpr13_vgpr14
	v_cmpx_ge_u32_e64 v29, v16
	s_xor_b32 s0, exec_lo, s0
; %bb.97:
	v_xor_b32_e32 v13, 0xfffffbff, v0
	;; [unrolled: 47-line block ×6, first 2 shown]
	s_delay_alu instid0(VALU_DEP_1) | instskip(SKIP_1) | instid1(VALU_DEP_2)
	v_ashrrev_i32_e32 v14, 31, v13
	v_add_co_u32 v13, vcc_lo, v18, v13
	v_add_co_ci_u32_e32 v14, vcc_lo, v19, v14, vcc_lo
; %bb.130:
	s_and_not1_saveexec_b32 s0, s0
; %bb.131:
	v_add_co_u32 v13, vcc_lo, v15, v21
	v_add_co_ci_u32_e32 v14, vcc_lo, 0, v17, vcc_lo
; %bb.132:
	s_or_b32 exec_lo, exec_lo, s0
	s_mov_b32 s0, -1
.LBB1307_133:
	s_delay_alu instid0(SALU_CYCLE_1)
	s_and_saveexec_b32 s1, s0
	s_cbranch_execz .LBB1307_216
.LBB1307_134:
	s_waitcnt lgkmcnt(1)
	v_lshlrev_b64 v[0:1], 2, v[13:14]
	s_delay_alu instid0(VALU_DEP_1) | instskip(NEXT) | instid1(VALU_DEP_2)
	v_add_co_u32 v0, vcc_lo, s12, v0
	v_add_co_ci_u32_e32 v1, vcc_lo, s13, v1, vcc_lo
	s_waitcnt lgkmcnt(0)
	global_store_b32 v[0:1], v20, off
	s_or_b32 exec_lo, exec_lo, s1
	s_and_b32 s0, s2, s10
	s_delay_alu instid0(SALU_CYCLE_1)
	s_and_saveexec_b32 s1, s0
	s_cbranch_execnz .LBB1307_217
.LBB1307_135:
	s_nop 0
	s_sendmsg sendmsg(MSG_DEALLOC_VGPRS)
	s_endpgm
.LBB1307_136:
                                        ; implicit-def: $vgpr13_vgpr14
	s_cbranch_execz .LBB1307_133
; %bb.137:
	s_mov_b32 s1, exec_lo
	v_cmpx_gt_u32_e64 s11, v0
	s_cbranch_execz .LBB1307_173
; %bb.138:
	s_mov_b32 s3, exec_lo
                                        ; implicit-def: $vgpr13_vgpr14
	v_cmpx_ge_u32_e64 v0, v16
	s_xor_b32 s3, exec_lo, s3
; %bb.139:
	v_not_b32_e32 v13, v0
	s_delay_alu instid0(VALU_DEP_1) | instskip(SKIP_1) | instid1(VALU_DEP_2)
	v_ashrrev_i32_e32 v14, 31, v13
	v_add_co_u32 v13, vcc_lo, v18, v13
	v_add_co_ci_u32_e32 v14, vcc_lo, v19, v14, vcc_lo
; %bb.140:
	s_and_not1_saveexec_b32 s3, s3
; %bb.141:
	v_add_co_u32 v13, vcc_lo, v15, v0
	v_add_co_ci_u32_e32 v14, vcc_lo, 0, v17, vcc_lo
; %bb.142:
	s_or_b32 exec_lo, exec_lo, s3
	s_delay_alu instid0(VALU_DEP_1) | instskip(NEXT) | instid1(VALU_DEP_1)
	v_lshlrev_b64 v[13:14], 2, v[13:14]
	v_add_co_u32 v13, vcc_lo, s12, v13
	s_delay_alu instid0(VALU_DEP_2) | instskip(SKIP_3) | instid1(SALU_CYCLE_1)
	v_add_co_ci_u32_e32 v14, vcc_lo, s13, v14, vcc_lo
	s_waitcnt lgkmcnt(6)
	global_store_b32 v[13:14], v11, off
	s_or_b32 exec_lo, exec_lo, s1
	s_mov_b32 s1, exec_lo
	v_cmpx_gt_u32_e64 s11, v35
	s_cbranch_execnz .LBB1307_174
.LBB1307_143:
	s_or_b32 exec_lo, exec_lo, s1
	s_delay_alu instid0(SALU_CYCLE_1)
	s_mov_b32 s1, exec_lo
	v_cmpx_gt_u32_e64 s11, v31
	s_cbranch_execz .LBB1307_179
.LBB1307_144:
	s_mov_b32 s3, exec_lo
                                        ; implicit-def: $vgpr11_vgpr12
	v_cmpx_ge_u32_e64 v31, v16
	s_xor_b32 s3, exec_lo, s3
	s_cbranch_execz .LBB1307_146
; %bb.145:
	s_waitcnt lgkmcnt(6)
	v_xor_b32_e32 v11, 0xfffffdff, v0
                                        ; implicit-def: $vgpr31
	s_delay_alu instid0(VALU_DEP_1) | instskip(SKIP_1) | instid1(VALU_DEP_2)
	v_ashrrev_i32_e32 v12, 31, v11
	v_add_co_u32 v11, vcc_lo, v18, v11
	v_add_co_ci_u32_e32 v12, vcc_lo, v19, v12, vcc_lo
.LBB1307_146:
	s_and_not1_saveexec_b32 s3, s3
	s_cbranch_execz .LBB1307_148
; %bb.147:
	s_waitcnt lgkmcnt(6)
	v_add_co_u32 v11, vcc_lo, v15, v31
	v_add_co_ci_u32_e32 v12, vcc_lo, 0, v17, vcc_lo
.LBB1307_148:
	s_or_b32 exec_lo, exec_lo, s3
	s_waitcnt lgkmcnt(6)
	s_delay_alu instid0(VALU_DEP_1) | instskip(NEXT) | instid1(VALU_DEP_1)
	v_lshlrev_b64 v[11:12], 2, v[11:12]
	v_add_co_u32 v11, vcc_lo, s12, v11
	s_delay_alu instid0(VALU_DEP_2) | instskip(SKIP_3) | instid1(SALU_CYCLE_1)
	v_add_co_ci_u32_e32 v12, vcc_lo, s13, v12, vcc_lo
	s_waitcnt lgkmcnt(5)
	global_store_b32 v[11:12], v9, off
	s_or_b32 exec_lo, exec_lo, s1
	s_mov_b32 s1, exec_lo
	v_cmpx_gt_u32_e64 s11, v30
	s_cbranch_execnz .LBB1307_180
.LBB1307_149:
	s_or_b32 exec_lo, exec_lo, s1
	s_delay_alu instid0(SALU_CYCLE_1)
	s_mov_b32 s1, exec_lo
	v_cmpx_gt_u32_e64 s11, v29
	s_cbranch_execz .LBB1307_185
.LBB1307_150:
	s_mov_b32 s3, exec_lo
                                        ; implicit-def: $vgpr9_vgpr10
	v_cmpx_ge_u32_e64 v29, v16
	s_xor_b32 s3, exec_lo, s3
	s_cbranch_execz .LBB1307_152
; %bb.151:
	s_waitcnt lgkmcnt(5)
	v_xor_b32_e32 v9, 0xfffffbff, v0
                                        ; implicit-def: $vgpr29
	s_delay_alu instid0(VALU_DEP_1) | instskip(SKIP_1) | instid1(VALU_DEP_2)
	v_ashrrev_i32_e32 v10, 31, v9
	v_add_co_u32 v9, vcc_lo, v18, v9
	v_add_co_ci_u32_e32 v10, vcc_lo, v19, v10, vcc_lo
.LBB1307_152:
	s_and_not1_saveexec_b32 s3, s3
	s_cbranch_execz .LBB1307_154
; %bb.153:
	s_waitcnt lgkmcnt(5)
	v_add_co_u32 v9, vcc_lo, v15, v29
	v_add_co_ci_u32_e32 v10, vcc_lo, 0, v17, vcc_lo
.LBB1307_154:
	s_or_b32 exec_lo, exec_lo, s3
	s_waitcnt lgkmcnt(5)
	s_delay_alu instid0(VALU_DEP_1) | instskip(NEXT) | instid1(VALU_DEP_1)
	v_lshlrev_b64 v[9:10], 2, v[9:10]
	v_add_co_u32 v9, vcc_lo, s12, v9
	s_delay_alu instid0(VALU_DEP_2) | instskip(SKIP_3) | instid1(SALU_CYCLE_1)
	v_add_co_ci_u32_e32 v10, vcc_lo, s13, v10, vcc_lo
	s_waitcnt lgkmcnt(4)
	global_store_b32 v[9:10], v7, off
	s_or_b32 exec_lo, exec_lo, s1
	s_mov_b32 s1, exec_lo
	v_cmpx_gt_u32_e64 s11, v28
	s_cbranch_execnz .LBB1307_186
.LBB1307_155:
	s_or_b32 exec_lo, exec_lo, s1
	s_delay_alu instid0(SALU_CYCLE_1)
	s_mov_b32 s1, exec_lo
	v_cmpx_gt_u32_e64 s11, v27
	s_cbranch_execz .LBB1307_191
.LBB1307_156:
	s_mov_b32 s3, exec_lo
                                        ; implicit-def: $vgpr7_vgpr8
	v_cmpx_ge_u32_e64 v27, v16
	s_xor_b32 s3, exec_lo, s3
	s_cbranch_execz .LBB1307_158
; %bb.157:
	s_waitcnt lgkmcnt(4)
	v_xor_b32_e32 v7, 0xfffff9ff, v0
                                        ; implicit-def: $vgpr27
	s_delay_alu instid0(VALU_DEP_1) | instskip(SKIP_1) | instid1(VALU_DEP_2)
	v_ashrrev_i32_e32 v8, 31, v7
	v_add_co_u32 v7, vcc_lo, v18, v7
	v_add_co_ci_u32_e32 v8, vcc_lo, v19, v8, vcc_lo
.LBB1307_158:
	s_and_not1_saveexec_b32 s3, s3
	s_cbranch_execz .LBB1307_160
; %bb.159:
	s_waitcnt lgkmcnt(4)
	v_add_co_u32 v7, vcc_lo, v15, v27
	v_add_co_ci_u32_e32 v8, vcc_lo, 0, v17, vcc_lo
.LBB1307_160:
	s_or_b32 exec_lo, exec_lo, s3
	s_waitcnt lgkmcnt(4)
	s_delay_alu instid0(VALU_DEP_1) | instskip(NEXT) | instid1(VALU_DEP_1)
	v_lshlrev_b64 v[7:8], 2, v[7:8]
	v_add_co_u32 v7, vcc_lo, s12, v7
	s_delay_alu instid0(VALU_DEP_2) | instskip(SKIP_3) | instid1(SALU_CYCLE_1)
	v_add_co_ci_u32_e32 v8, vcc_lo, s13, v8, vcc_lo
	s_waitcnt lgkmcnt(3)
	global_store_b32 v[7:8], v5, off
	s_or_b32 exec_lo, exec_lo, s1
	s_mov_b32 s1, exec_lo
	v_cmpx_gt_u32_e64 s11, v26
	s_cbranch_execnz .LBB1307_192
.LBB1307_161:
	s_or_b32 exec_lo, exec_lo, s1
	s_delay_alu instid0(SALU_CYCLE_1)
	s_mov_b32 s1, exec_lo
	v_cmpx_gt_u32_e64 s11, v25
	s_cbranch_execz .LBB1307_197
.LBB1307_162:
	s_mov_b32 s3, exec_lo
                                        ; implicit-def: $vgpr5_vgpr6
	v_cmpx_ge_u32_e64 v25, v16
	s_xor_b32 s3, exec_lo, s3
	s_cbranch_execz .LBB1307_164
; %bb.163:
	s_waitcnt lgkmcnt(3)
	v_xor_b32_e32 v5, 0xfffff7ff, v0
                                        ; implicit-def: $vgpr25
	s_delay_alu instid0(VALU_DEP_1) | instskip(SKIP_1) | instid1(VALU_DEP_2)
	v_ashrrev_i32_e32 v6, 31, v5
	v_add_co_u32 v5, vcc_lo, v18, v5
	v_add_co_ci_u32_e32 v6, vcc_lo, v19, v6, vcc_lo
.LBB1307_164:
	s_and_not1_saveexec_b32 s3, s3
	s_cbranch_execz .LBB1307_166
; %bb.165:
	s_waitcnt lgkmcnt(3)
	v_add_co_u32 v5, vcc_lo, v15, v25
	v_add_co_ci_u32_e32 v6, vcc_lo, 0, v17, vcc_lo
.LBB1307_166:
	s_or_b32 exec_lo, exec_lo, s3
	s_waitcnt lgkmcnt(3)
	s_delay_alu instid0(VALU_DEP_1) | instskip(NEXT) | instid1(VALU_DEP_1)
	v_lshlrev_b64 v[5:6], 2, v[5:6]
	v_add_co_u32 v5, vcc_lo, s12, v5
	s_delay_alu instid0(VALU_DEP_2) | instskip(SKIP_3) | instid1(SALU_CYCLE_1)
	v_add_co_ci_u32_e32 v6, vcc_lo, s13, v6, vcc_lo
	s_waitcnt lgkmcnt(2)
	global_store_b32 v[5:6], v3, off
	s_or_b32 exec_lo, exec_lo, s1
	s_mov_b32 s1, exec_lo
	v_cmpx_gt_u32_e64 s11, v24
	s_cbranch_execnz .LBB1307_198
.LBB1307_167:
	s_or_b32 exec_lo, exec_lo, s1
	s_delay_alu instid0(SALU_CYCLE_1)
	s_mov_b32 s1, exec_lo
	v_cmpx_gt_u32_e64 s11, v23
	s_cbranch_execz .LBB1307_203
.LBB1307_168:
	s_mov_b32 s3, exec_lo
                                        ; implicit-def: $vgpr3_vgpr4
	v_cmpx_ge_u32_e64 v23, v16
	s_xor_b32 s3, exec_lo, s3
	s_cbranch_execz .LBB1307_170
; %bb.169:
	s_waitcnt lgkmcnt(2)
	v_xor_b32_e32 v3, 0xfffff5ff, v0
                                        ; implicit-def: $vgpr23
	s_delay_alu instid0(VALU_DEP_1) | instskip(SKIP_1) | instid1(VALU_DEP_2)
	v_ashrrev_i32_e32 v4, 31, v3
	v_add_co_u32 v3, vcc_lo, v18, v3
	v_add_co_ci_u32_e32 v4, vcc_lo, v19, v4, vcc_lo
.LBB1307_170:
	s_and_not1_saveexec_b32 s3, s3
	s_cbranch_execz .LBB1307_172
; %bb.171:
	s_waitcnt lgkmcnt(2)
	v_add_co_u32 v3, vcc_lo, v15, v23
	v_add_co_ci_u32_e32 v4, vcc_lo, 0, v17, vcc_lo
.LBB1307_172:
	s_or_b32 exec_lo, exec_lo, s3
	s_waitcnt lgkmcnt(2)
	s_delay_alu instid0(VALU_DEP_1) | instskip(NEXT) | instid1(VALU_DEP_1)
	v_lshlrev_b64 v[3:4], 2, v[3:4]
	v_add_co_u32 v3, vcc_lo, s12, v3
	s_delay_alu instid0(VALU_DEP_2) | instskip(SKIP_3) | instid1(SALU_CYCLE_1)
	v_add_co_ci_u32_e32 v4, vcc_lo, s13, v4, vcc_lo
	s_waitcnt lgkmcnt(1)
	global_store_b32 v[3:4], v1, off
	s_or_b32 exec_lo, exec_lo, s1
	s_mov_b32 s1, exec_lo
	v_cmpx_gt_u32_e64 s11, v22
	s_cbranch_execz .LBB1307_209
	s_branch .LBB1307_204
.LBB1307_173:
	s_or_b32 exec_lo, exec_lo, s1
	s_delay_alu instid0(SALU_CYCLE_1)
	s_mov_b32 s1, exec_lo
	v_cmpx_gt_u32_e64 s11, v35
	s_cbranch_execz .LBB1307_143
.LBB1307_174:
	s_mov_b32 s3, exec_lo
                                        ; implicit-def: $vgpr13_vgpr14
	v_cmpx_ge_u32_e64 v35, v16
	s_xor_b32 s3, exec_lo, s3
	s_cbranch_execz .LBB1307_176
; %bb.175:
	s_waitcnt lgkmcnt(6)
	v_xor_b32_e32 v11, 0xfffffeff, v0
                                        ; implicit-def: $vgpr35
	s_delay_alu instid0(VALU_DEP_1) | instskip(SKIP_1) | instid1(VALU_DEP_2)
	v_ashrrev_i32_e32 v14, 31, v11
	v_add_co_u32 v13, vcc_lo, v18, v11
	v_add_co_ci_u32_e32 v14, vcc_lo, v19, v14, vcc_lo
.LBB1307_176:
	s_and_not1_saveexec_b32 s3, s3
; %bb.177:
	v_add_co_u32 v13, vcc_lo, v15, v35
	v_add_co_ci_u32_e32 v14, vcc_lo, 0, v17, vcc_lo
; %bb.178:
	s_or_b32 exec_lo, exec_lo, s3
	s_delay_alu instid0(VALU_DEP_1) | instskip(NEXT) | instid1(VALU_DEP_1)
	v_lshlrev_b64 v[13:14], 2, v[13:14]
	v_add_co_u32 v13, vcc_lo, s12, v13
	s_delay_alu instid0(VALU_DEP_2) | instskip(SKIP_3) | instid1(SALU_CYCLE_1)
	v_add_co_ci_u32_e32 v14, vcc_lo, s13, v14, vcc_lo
	s_waitcnt lgkmcnt(6)
	global_store_b32 v[13:14], v12, off
	s_or_b32 exec_lo, exec_lo, s1
	s_mov_b32 s1, exec_lo
	v_cmpx_gt_u32_e64 s11, v31
	s_cbranch_execnz .LBB1307_144
.LBB1307_179:
	s_or_b32 exec_lo, exec_lo, s1
	s_delay_alu instid0(SALU_CYCLE_1)
	s_mov_b32 s1, exec_lo
	v_cmpx_gt_u32_e64 s11, v30
	s_cbranch_execz .LBB1307_149
.LBB1307_180:
	s_mov_b32 s3, exec_lo
                                        ; implicit-def: $vgpr11_vgpr12
	v_cmpx_ge_u32_e64 v30, v16
	s_xor_b32 s3, exec_lo, s3
	s_cbranch_execz .LBB1307_182
; %bb.181:
	s_waitcnt lgkmcnt(5)
	v_xor_b32_e32 v9, 0xfffffcff, v0
                                        ; implicit-def: $vgpr30
	s_delay_alu instid0(VALU_DEP_1) | instskip(SKIP_1) | instid1(VALU_DEP_2)
	v_ashrrev_i32_e32 v12, 31, v9
	v_add_co_u32 v11, vcc_lo, v18, v9
	v_add_co_ci_u32_e32 v12, vcc_lo, v19, v12, vcc_lo
.LBB1307_182:
	s_and_not1_saveexec_b32 s3, s3
	s_cbranch_execz .LBB1307_184
; %bb.183:
	s_waitcnt lgkmcnt(6)
	v_add_co_u32 v11, vcc_lo, v15, v30
	v_add_co_ci_u32_e32 v12, vcc_lo, 0, v17, vcc_lo
.LBB1307_184:
	s_or_b32 exec_lo, exec_lo, s3
	s_waitcnt lgkmcnt(6)
	s_delay_alu instid0(VALU_DEP_1) | instskip(NEXT) | instid1(VALU_DEP_1)
	v_lshlrev_b64 v[11:12], 2, v[11:12]
	v_add_co_u32 v11, vcc_lo, s12, v11
	s_delay_alu instid0(VALU_DEP_2) | instskip(SKIP_3) | instid1(SALU_CYCLE_1)
	v_add_co_ci_u32_e32 v12, vcc_lo, s13, v12, vcc_lo
	s_waitcnt lgkmcnt(5)
	global_store_b32 v[11:12], v10, off
	s_or_b32 exec_lo, exec_lo, s1
	s_mov_b32 s1, exec_lo
	v_cmpx_gt_u32_e64 s11, v29
	s_cbranch_execnz .LBB1307_150
.LBB1307_185:
	s_or_b32 exec_lo, exec_lo, s1
	s_delay_alu instid0(SALU_CYCLE_1)
	s_mov_b32 s1, exec_lo
	v_cmpx_gt_u32_e64 s11, v28
	s_cbranch_execz .LBB1307_155
.LBB1307_186:
	s_mov_b32 s3, exec_lo
                                        ; implicit-def: $vgpr9_vgpr10
	v_cmpx_ge_u32_e64 v28, v16
	s_xor_b32 s3, exec_lo, s3
	s_cbranch_execz .LBB1307_188
; %bb.187:
	s_waitcnt lgkmcnt(4)
	v_xor_b32_e32 v7, 0xfffffaff, v0
                                        ; implicit-def: $vgpr28
	s_delay_alu instid0(VALU_DEP_1) | instskip(SKIP_1) | instid1(VALU_DEP_2)
	v_ashrrev_i32_e32 v10, 31, v7
	v_add_co_u32 v9, vcc_lo, v18, v7
	v_add_co_ci_u32_e32 v10, vcc_lo, v19, v10, vcc_lo
.LBB1307_188:
	s_and_not1_saveexec_b32 s3, s3
	s_cbranch_execz .LBB1307_190
; %bb.189:
	s_waitcnt lgkmcnt(5)
	v_add_co_u32 v9, vcc_lo, v15, v28
	v_add_co_ci_u32_e32 v10, vcc_lo, 0, v17, vcc_lo
.LBB1307_190:
	s_or_b32 exec_lo, exec_lo, s3
	s_waitcnt lgkmcnt(5)
	s_delay_alu instid0(VALU_DEP_1) | instskip(NEXT) | instid1(VALU_DEP_1)
	v_lshlrev_b64 v[9:10], 2, v[9:10]
	v_add_co_u32 v9, vcc_lo, s12, v9
	s_delay_alu instid0(VALU_DEP_2) | instskip(SKIP_3) | instid1(SALU_CYCLE_1)
	v_add_co_ci_u32_e32 v10, vcc_lo, s13, v10, vcc_lo
	s_waitcnt lgkmcnt(4)
	global_store_b32 v[9:10], v8, off
	s_or_b32 exec_lo, exec_lo, s1
	s_mov_b32 s1, exec_lo
	v_cmpx_gt_u32_e64 s11, v27
	s_cbranch_execnz .LBB1307_156
.LBB1307_191:
	s_or_b32 exec_lo, exec_lo, s1
	s_delay_alu instid0(SALU_CYCLE_1)
	s_mov_b32 s1, exec_lo
	v_cmpx_gt_u32_e64 s11, v26
	s_cbranch_execz .LBB1307_161
.LBB1307_192:
	s_mov_b32 s3, exec_lo
                                        ; implicit-def: $vgpr7_vgpr8
	v_cmpx_ge_u32_e64 v26, v16
	s_xor_b32 s3, exec_lo, s3
	s_cbranch_execz .LBB1307_194
; %bb.193:
	s_waitcnt lgkmcnt(3)
	v_xor_b32_e32 v5, 0xfffff8ff, v0
                                        ; implicit-def: $vgpr26
	s_delay_alu instid0(VALU_DEP_1) | instskip(SKIP_1) | instid1(VALU_DEP_2)
	v_ashrrev_i32_e32 v8, 31, v5
	v_add_co_u32 v7, vcc_lo, v18, v5
	v_add_co_ci_u32_e32 v8, vcc_lo, v19, v8, vcc_lo
.LBB1307_194:
	s_and_not1_saveexec_b32 s3, s3
	s_cbranch_execz .LBB1307_196
; %bb.195:
	s_waitcnt lgkmcnt(4)
	v_add_co_u32 v7, vcc_lo, v15, v26
	v_add_co_ci_u32_e32 v8, vcc_lo, 0, v17, vcc_lo
.LBB1307_196:
	s_or_b32 exec_lo, exec_lo, s3
	s_waitcnt lgkmcnt(4)
	s_delay_alu instid0(VALU_DEP_1) | instskip(NEXT) | instid1(VALU_DEP_1)
	v_lshlrev_b64 v[7:8], 2, v[7:8]
	v_add_co_u32 v7, vcc_lo, s12, v7
	s_delay_alu instid0(VALU_DEP_2) | instskip(SKIP_3) | instid1(SALU_CYCLE_1)
	v_add_co_ci_u32_e32 v8, vcc_lo, s13, v8, vcc_lo
	s_waitcnt lgkmcnt(3)
	global_store_b32 v[7:8], v6, off
	s_or_b32 exec_lo, exec_lo, s1
	s_mov_b32 s1, exec_lo
	v_cmpx_gt_u32_e64 s11, v25
	s_cbranch_execnz .LBB1307_162
.LBB1307_197:
	s_or_b32 exec_lo, exec_lo, s1
	s_delay_alu instid0(SALU_CYCLE_1)
	s_mov_b32 s1, exec_lo
	v_cmpx_gt_u32_e64 s11, v24
	s_cbranch_execz .LBB1307_167
.LBB1307_198:
	s_mov_b32 s3, exec_lo
                                        ; implicit-def: $vgpr5_vgpr6
	v_cmpx_ge_u32_e64 v24, v16
	s_xor_b32 s3, exec_lo, s3
	s_cbranch_execz .LBB1307_200
; %bb.199:
	s_waitcnt lgkmcnt(2)
	v_xor_b32_e32 v3, 0xfffff6ff, v0
                                        ; implicit-def: $vgpr24
	s_delay_alu instid0(VALU_DEP_1) | instskip(SKIP_1) | instid1(VALU_DEP_2)
	v_ashrrev_i32_e32 v6, 31, v3
	v_add_co_u32 v5, vcc_lo, v18, v3
	v_add_co_ci_u32_e32 v6, vcc_lo, v19, v6, vcc_lo
.LBB1307_200:
	s_and_not1_saveexec_b32 s3, s3
	s_cbranch_execz .LBB1307_202
; %bb.201:
	s_waitcnt lgkmcnt(3)
	v_add_co_u32 v5, vcc_lo, v15, v24
	v_add_co_ci_u32_e32 v6, vcc_lo, 0, v17, vcc_lo
.LBB1307_202:
	s_or_b32 exec_lo, exec_lo, s3
	s_waitcnt lgkmcnt(3)
	s_delay_alu instid0(VALU_DEP_1) | instskip(NEXT) | instid1(VALU_DEP_1)
	v_lshlrev_b64 v[5:6], 2, v[5:6]
	v_add_co_u32 v5, vcc_lo, s12, v5
	s_delay_alu instid0(VALU_DEP_2) | instskip(SKIP_3) | instid1(SALU_CYCLE_1)
	v_add_co_ci_u32_e32 v6, vcc_lo, s13, v6, vcc_lo
	s_waitcnt lgkmcnt(2)
	global_store_b32 v[5:6], v4, off
	s_or_b32 exec_lo, exec_lo, s1
	s_mov_b32 s1, exec_lo
	v_cmpx_gt_u32_e64 s11, v23
	s_cbranch_execnz .LBB1307_168
.LBB1307_203:
	s_or_b32 exec_lo, exec_lo, s1
	s_delay_alu instid0(SALU_CYCLE_1)
	s_mov_b32 s1, exec_lo
	v_cmpx_gt_u32_e64 s11, v22
	s_cbranch_execz .LBB1307_209
.LBB1307_204:
	s_mov_b32 s3, exec_lo
                                        ; implicit-def: $vgpr3_vgpr4
	v_cmpx_ge_u32_e64 v22, v16
	s_xor_b32 s3, exec_lo, s3
	s_cbranch_execz .LBB1307_206
; %bb.205:
	s_waitcnt lgkmcnt(1)
	v_xor_b32_e32 v1, 0xfffff4ff, v0
                                        ; implicit-def: $vgpr22
	s_delay_alu instid0(VALU_DEP_1) | instskip(SKIP_1) | instid1(VALU_DEP_2)
	v_ashrrev_i32_e32 v4, 31, v1
	v_add_co_u32 v3, vcc_lo, v18, v1
	v_add_co_ci_u32_e32 v4, vcc_lo, v19, v4, vcc_lo
.LBB1307_206:
	s_and_not1_saveexec_b32 s3, s3
	s_cbranch_execz .LBB1307_208
; %bb.207:
	s_waitcnt lgkmcnt(2)
	v_add_co_u32 v3, vcc_lo, v15, v22
	v_add_co_ci_u32_e32 v4, vcc_lo, 0, v17, vcc_lo
.LBB1307_208:
	s_or_b32 exec_lo, exec_lo, s3
	s_waitcnt lgkmcnt(2)
	s_delay_alu instid0(VALU_DEP_1) | instskip(NEXT) | instid1(VALU_DEP_1)
	v_lshlrev_b64 v[3:4], 2, v[3:4]
	v_add_co_u32 v3, vcc_lo, s12, v3
	s_delay_alu instid0(VALU_DEP_2)
	v_add_co_ci_u32_e32 v4, vcc_lo, s13, v4, vcc_lo
	s_waitcnt lgkmcnt(1)
	global_store_b32 v[3:4], v2, off
.LBB1307_209:
	s_or_b32 exec_lo, exec_lo, s1
	s_delay_alu instid0(SALU_CYCLE_1)
	s_mov_b32 s1, exec_lo
                                        ; implicit-def: $vgpr13_vgpr14
	v_cmpx_gt_u32_e64 s11, v21
	s_cbranch_execz .LBB1307_215
; %bb.210:
	s_mov_b32 s3, exec_lo
                                        ; implicit-def: $vgpr13_vgpr14
	v_cmpx_ge_u32_e64 v21, v16
	s_xor_b32 s3, exec_lo, s3
	s_cbranch_execz .LBB1307_212
; %bb.211:
	v_xor_b32_e32 v0, 0xfffff3ff, v0
                                        ; implicit-def: $vgpr21
	s_waitcnt lgkmcnt(1)
	s_delay_alu instid0(VALU_DEP_1) | instskip(SKIP_1) | instid1(VALU_DEP_2)
	v_ashrrev_i32_e32 v1, 31, v0
	v_add_co_u32 v13, vcc_lo, v18, v0
	v_add_co_ci_u32_e32 v14, vcc_lo, v19, v1, vcc_lo
.LBB1307_212:
	s_and_not1_saveexec_b32 s3, s3
; %bb.213:
	v_add_co_u32 v13, vcc_lo, v15, v21
	v_add_co_ci_u32_e32 v14, vcc_lo, 0, v17, vcc_lo
; %bb.214:
	s_or_b32 exec_lo, exec_lo, s3
	s_delay_alu instid0(SALU_CYCLE_1)
	s_or_b32 s0, s0, exec_lo
.LBB1307_215:
	s_or_b32 exec_lo, exec_lo, s1
	s_and_saveexec_b32 s1, s0
	s_cbranch_execnz .LBB1307_134
.LBB1307_216:
	s_or_b32 exec_lo, exec_lo, s1
	s_and_b32 s0, s2, s10
	s_delay_alu instid0(SALU_CYCLE_1)
	s_and_saveexec_b32 s1, s0
	s_cbranch_execz .LBB1307_135
.LBB1307_217:
	v_add_co_u32 v0, vcc_lo, v15, v16
	s_waitcnt lgkmcnt(1)
	v_mov_b32_e32 v2, 0
	v_add_co_ci_u32_e32 v1, vcc_lo, 0, v17, vcc_lo
	global_store_b64 v2, v[0:1], s[8:9]
	s_nop 0
	s_sendmsg sendmsg(MSG_DEALLOC_VGPRS)
	s_endpgm
	.section	.rodata,"a",@progbits
	.p2align	6, 0x0
	.amdhsa_kernel _ZN7rocprim17ROCPRIM_400000_NS6detail17trampoline_kernelINS0_13select_configILj256ELj13ELNS0_17block_load_methodE3ELS4_3ELS4_3ELNS0_20block_scan_algorithmE0ELj4294967295EEENS1_25partition_config_selectorILNS1_17partition_subalgoE3EjNS0_10empty_typeEbEEZZNS1_14partition_implILS8_3ELb0ES6_jNS0_17counting_iteratorIjlEEPS9_SE_NS0_5tupleIJPjSE_EEENSF_IJSE_SE_EEES9_SG_JZNS1_25segmented_radix_sort_implINS0_14default_configELb1EPKfPfPKlPlN2at6native12_GLOBAL__N_18offset_tEEE10hipError_tPvRmT1_PNSt15iterator_traitsISY_E10value_typeET2_T3_PNSZ_IS14_E10value_typeET4_jRbjT5_S1A_jjP12ihipStream_tbEUljE_EEESV_SW_SX_S14_S18_S1A_T6_T7_T9_mT8_S1C_bDpT10_ENKUlT_T0_E_clISt17integral_constantIbLb1EES1P_EEDaS1K_S1L_EUlS1K_E_NS1_11comp_targetILNS1_3genE9ELNS1_11target_archE1100ELNS1_3gpuE3ELNS1_3repE0EEENS1_30default_config_static_selectorELNS0_4arch9wavefront6targetE0EEEvSY_
		.amdhsa_group_segment_fixed_size 13324
		.amdhsa_private_segment_fixed_size 0
		.amdhsa_kernarg_size 152
		.amdhsa_user_sgpr_count 15
		.amdhsa_user_sgpr_dispatch_ptr 0
		.amdhsa_user_sgpr_queue_ptr 0
		.amdhsa_user_sgpr_kernarg_segment_ptr 1
		.amdhsa_user_sgpr_dispatch_id 0
		.amdhsa_user_sgpr_private_segment_size 0
		.amdhsa_wavefront_size32 1
		.amdhsa_uses_dynamic_stack 0
		.amdhsa_enable_private_segment 0
		.amdhsa_system_sgpr_workgroup_id_x 1
		.amdhsa_system_sgpr_workgroup_id_y 0
		.amdhsa_system_sgpr_workgroup_id_z 0
		.amdhsa_system_sgpr_workgroup_info 0
		.amdhsa_system_vgpr_workitem_id 0
		.amdhsa_next_free_vgpr 60
		.amdhsa_next_free_sgpr 26
		.amdhsa_reserve_vcc 1
		.amdhsa_float_round_mode_32 0
		.amdhsa_float_round_mode_16_64 0
		.amdhsa_float_denorm_mode_32 3
		.amdhsa_float_denorm_mode_16_64 3
		.amdhsa_dx10_clamp 1
		.amdhsa_ieee_mode 1
		.amdhsa_fp16_overflow 0
		.amdhsa_workgroup_processor_mode 1
		.amdhsa_memory_ordered 1
		.amdhsa_forward_progress 0
		.amdhsa_shared_vgpr_count 0
		.amdhsa_exception_fp_ieee_invalid_op 0
		.amdhsa_exception_fp_denorm_src 0
		.amdhsa_exception_fp_ieee_div_zero 0
		.amdhsa_exception_fp_ieee_overflow 0
		.amdhsa_exception_fp_ieee_underflow 0
		.amdhsa_exception_fp_ieee_inexact 0
		.amdhsa_exception_int_div_zero 0
	.end_amdhsa_kernel
	.section	.text._ZN7rocprim17ROCPRIM_400000_NS6detail17trampoline_kernelINS0_13select_configILj256ELj13ELNS0_17block_load_methodE3ELS4_3ELS4_3ELNS0_20block_scan_algorithmE0ELj4294967295EEENS1_25partition_config_selectorILNS1_17partition_subalgoE3EjNS0_10empty_typeEbEEZZNS1_14partition_implILS8_3ELb0ES6_jNS0_17counting_iteratorIjlEEPS9_SE_NS0_5tupleIJPjSE_EEENSF_IJSE_SE_EEES9_SG_JZNS1_25segmented_radix_sort_implINS0_14default_configELb1EPKfPfPKlPlN2at6native12_GLOBAL__N_18offset_tEEE10hipError_tPvRmT1_PNSt15iterator_traitsISY_E10value_typeET2_T3_PNSZ_IS14_E10value_typeET4_jRbjT5_S1A_jjP12ihipStream_tbEUljE_EEESV_SW_SX_S14_S18_S1A_T6_T7_T9_mT8_S1C_bDpT10_ENKUlT_T0_E_clISt17integral_constantIbLb1EES1P_EEDaS1K_S1L_EUlS1K_E_NS1_11comp_targetILNS1_3genE9ELNS1_11target_archE1100ELNS1_3gpuE3ELNS1_3repE0EEENS1_30default_config_static_selectorELNS0_4arch9wavefront6targetE0EEEvSY_,"axG",@progbits,_ZN7rocprim17ROCPRIM_400000_NS6detail17trampoline_kernelINS0_13select_configILj256ELj13ELNS0_17block_load_methodE3ELS4_3ELS4_3ELNS0_20block_scan_algorithmE0ELj4294967295EEENS1_25partition_config_selectorILNS1_17partition_subalgoE3EjNS0_10empty_typeEbEEZZNS1_14partition_implILS8_3ELb0ES6_jNS0_17counting_iteratorIjlEEPS9_SE_NS0_5tupleIJPjSE_EEENSF_IJSE_SE_EEES9_SG_JZNS1_25segmented_radix_sort_implINS0_14default_configELb1EPKfPfPKlPlN2at6native12_GLOBAL__N_18offset_tEEE10hipError_tPvRmT1_PNSt15iterator_traitsISY_E10value_typeET2_T3_PNSZ_IS14_E10value_typeET4_jRbjT5_S1A_jjP12ihipStream_tbEUljE_EEESV_SW_SX_S14_S18_S1A_T6_T7_T9_mT8_S1C_bDpT10_ENKUlT_T0_E_clISt17integral_constantIbLb1EES1P_EEDaS1K_S1L_EUlS1K_E_NS1_11comp_targetILNS1_3genE9ELNS1_11target_archE1100ELNS1_3gpuE3ELNS1_3repE0EEENS1_30default_config_static_selectorELNS0_4arch9wavefront6targetE0EEEvSY_,comdat
.Lfunc_end1307:
	.size	_ZN7rocprim17ROCPRIM_400000_NS6detail17trampoline_kernelINS0_13select_configILj256ELj13ELNS0_17block_load_methodE3ELS4_3ELS4_3ELNS0_20block_scan_algorithmE0ELj4294967295EEENS1_25partition_config_selectorILNS1_17partition_subalgoE3EjNS0_10empty_typeEbEEZZNS1_14partition_implILS8_3ELb0ES6_jNS0_17counting_iteratorIjlEEPS9_SE_NS0_5tupleIJPjSE_EEENSF_IJSE_SE_EEES9_SG_JZNS1_25segmented_radix_sort_implINS0_14default_configELb1EPKfPfPKlPlN2at6native12_GLOBAL__N_18offset_tEEE10hipError_tPvRmT1_PNSt15iterator_traitsISY_E10value_typeET2_T3_PNSZ_IS14_E10value_typeET4_jRbjT5_S1A_jjP12ihipStream_tbEUljE_EEESV_SW_SX_S14_S18_S1A_T6_T7_T9_mT8_S1C_bDpT10_ENKUlT_T0_E_clISt17integral_constantIbLb1EES1P_EEDaS1K_S1L_EUlS1K_E_NS1_11comp_targetILNS1_3genE9ELNS1_11target_archE1100ELNS1_3gpuE3ELNS1_3repE0EEENS1_30default_config_static_selectorELNS0_4arch9wavefront6targetE0EEEvSY_, .Lfunc_end1307-_ZN7rocprim17ROCPRIM_400000_NS6detail17trampoline_kernelINS0_13select_configILj256ELj13ELNS0_17block_load_methodE3ELS4_3ELS4_3ELNS0_20block_scan_algorithmE0ELj4294967295EEENS1_25partition_config_selectorILNS1_17partition_subalgoE3EjNS0_10empty_typeEbEEZZNS1_14partition_implILS8_3ELb0ES6_jNS0_17counting_iteratorIjlEEPS9_SE_NS0_5tupleIJPjSE_EEENSF_IJSE_SE_EEES9_SG_JZNS1_25segmented_radix_sort_implINS0_14default_configELb1EPKfPfPKlPlN2at6native12_GLOBAL__N_18offset_tEEE10hipError_tPvRmT1_PNSt15iterator_traitsISY_E10value_typeET2_T3_PNSZ_IS14_E10value_typeET4_jRbjT5_S1A_jjP12ihipStream_tbEUljE_EEESV_SW_SX_S14_S18_S1A_T6_T7_T9_mT8_S1C_bDpT10_ENKUlT_T0_E_clISt17integral_constantIbLb1EES1P_EEDaS1K_S1L_EUlS1K_E_NS1_11comp_targetILNS1_3genE9ELNS1_11target_archE1100ELNS1_3gpuE3ELNS1_3repE0EEENS1_30default_config_static_selectorELNS0_4arch9wavefront6targetE0EEEvSY_
                                        ; -- End function
	.section	.AMDGPU.csdata,"",@progbits
; Kernel info:
; codeLenInByte = 9140
; NumSgprs: 28
; NumVgprs: 60
; ScratchSize: 0
; MemoryBound: 0
; FloatMode: 240
; IeeeMode: 1
; LDSByteSize: 13324 bytes/workgroup (compile time only)
; SGPRBlocks: 3
; VGPRBlocks: 7
; NumSGPRsForWavesPerEU: 28
; NumVGPRsForWavesPerEU: 60
; Occupancy: 16
; WaveLimiterHint : 0
; COMPUTE_PGM_RSRC2:SCRATCH_EN: 0
; COMPUTE_PGM_RSRC2:USER_SGPR: 15
; COMPUTE_PGM_RSRC2:TRAP_HANDLER: 0
; COMPUTE_PGM_RSRC2:TGID_X_EN: 1
; COMPUTE_PGM_RSRC2:TGID_Y_EN: 0
; COMPUTE_PGM_RSRC2:TGID_Z_EN: 0
; COMPUTE_PGM_RSRC2:TIDIG_COMP_CNT: 0
	.section	.text._ZN7rocprim17ROCPRIM_400000_NS6detail17trampoline_kernelINS0_13select_configILj256ELj13ELNS0_17block_load_methodE3ELS4_3ELS4_3ELNS0_20block_scan_algorithmE0ELj4294967295EEENS1_25partition_config_selectorILNS1_17partition_subalgoE3EjNS0_10empty_typeEbEEZZNS1_14partition_implILS8_3ELb0ES6_jNS0_17counting_iteratorIjlEEPS9_SE_NS0_5tupleIJPjSE_EEENSF_IJSE_SE_EEES9_SG_JZNS1_25segmented_radix_sort_implINS0_14default_configELb1EPKfPfPKlPlN2at6native12_GLOBAL__N_18offset_tEEE10hipError_tPvRmT1_PNSt15iterator_traitsISY_E10value_typeET2_T3_PNSZ_IS14_E10value_typeET4_jRbjT5_S1A_jjP12ihipStream_tbEUljE_EEESV_SW_SX_S14_S18_S1A_T6_T7_T9_mT8_S1C_bDpT10_ENKUlT_T0_E_clISt17integral_constantIbLb1EES1P_EEDaS1K_S1L_EUlS1K_E_NS1_11comp_targetILNS1_3genE8ELNS1_11target_archE1030ELNS1_3gpuE2ELNS1_3repE0EEENS1_30default_config_static_selectorELNS0_4arch9wavefront6targetE0EEEvSY_,"axG",@progbits,_ZN7rocprim17ROCPRIM_400000_NS6detail17trampoline_kernelINS0_13select_configILj256ELj13ELNS0_17block_load_methodE3ELS4_3ELS4_3ELNS0_20block_scan_algorithmE0ELj4294967295EEENS1_25partition_config_selectorILNS1_17partition_subalgoE3EjNS0_10empty_typeEbEEZZNS1_14partition_implILS8_3ELb0ES6_jNS0_17counting_iteratorIjlEEPS9_SE_NS0_5tupleIJPjSE_EEENSF_IJSE_SE_EEES9_SG_JZNS1_25segmented_radix_sort_implINS0_14default_configELb1EPKfPfPKlPlN2at6native12_GLOBAL__N_18offset_tEEE10hipError_tPvRmT1_PNSt15iterator_traitsISY_E10value_typeET2_T3_PNSZ_IS14_E10value_typeET4_jRbjT5_S1A_jjP12ihipStream_tbEUljE_EEESV_SW_SX_S14_S18_S1A_T6_T7_T9_mT8_S1C_bDpT10_ENKUlT_T0_E_clISt17integral_constantIbLb1EES1P_EEDaS1K_S1L_EUlS1K_E_NS1_11comp_targetILNS1_3genE8ELNS1_11target_archE1030ELNS1_3gpuE2ELNS1_3repE0EEENS1_30default_config_static_selectorELNS0_4arch9wavefront6targetE0EEEvSY_,comdat
	.globl	_ZN7rocprim17ROCPRIM_400000_NS6detail17trampoline_kernelINS0_13select_configILj256ELj13ELNS0_17block_load_methodE3ELS4_3ELS4_3ELNS0_20block_scan_algorithmE0ELj4294967295EEENS1_25partition_config_selectorILNS1_17partition_subalgoE3EjNS0_10empty_typeEbEEZZNS1_14partition_implILS8_3ELb0ES6_jNS0_17counting_iteratorIjlEEPS9_SE_NS0_5tupleIJPjSE_EEENSF_IJSE_SE_EEES9_SG_JZNS1_25segmented_radix_sort_implINS0_14default_configELb1EPKfPfPKlPlN2at6native12_GLOBAL__N_18offset_tEEE10hipError_tPvRmT1_PNSt15iterator_traitsISY_E10value_typeET2_T3_PNSZ_IS14_E10value_typeET4_jRbjT5_S1A_jjP12ihipStream_tbEUljE_EEESV_SW_SX_S14_S18_S1A_T6_T7_T9_mT8_S1C_bDpT10_ENKUlT_T0_E_clISt17integral_constantIbLb1EES1P_EEDaS1K_S1L_EUlS1K_E_NS1_11comp_targetILNS1_3genE8ELNS1_11target_archE1030ELNS1_3gpuE2ELNS1_3repE0EEENS1_30default_config_static_selectorELNS0_4arch9wavefront6targetE0EEEvSY_ ; -- Begin function _ZN7rocprim17ROCPRIM_400000_NS6detail17trampoline_kernelINS0_13select_configILj256ELj13ELNS0_17block_load_methodE3ELS4_3ELS4_3ELNS0_20block_scan_algorithmE0ELj4294967295EEENS1_25partition_config_selectorILNS1_17partition_subalgoE3EjNS0_10empty_typeEbEEZZNS1_14partition_implILS8_3ELb0ES6_jNS0_17counting_iteratorIjlEEPS9_SE_NS0_5tupleIJPjSE_EEENSF_IJSE_SE_EEES9_SG_JZNS1_25segmented_radix_sort_implINS0_14default_configELb1EPKfPfPKlPlN2at6native12_GLOBAL__N_18offset_tEEE10hipError_tPvRmT1_PNSt15iterator_traitsISY_E10value_typeET2_T3_PNSZ_IS14_E10value_typeET4_jRbjT5_S1A_jjP12ihipStream_tbEUljE_EEESV_SW_SX_S14_S18_S1A_T6_T7_T9_mT8_S1C_bDpT10_ENKUlT_T0_E_clISt17integral_constantIbLb1EES1P_EEDaS1K_S1L_EUlS1K_E_NS1_11comp_targetILNS1_3genE8ELNS1_11target_archE1030ELNS1_3gpuE2ELNS1_3repE0EEENS1_30default_config_static_selectorELNS0_4arch9wavefront6targetE0EEEvSY_
	.p2align	8
	.type	_ZN7rocprim17ROCPRIM_400000_NS6detail17trampoline_kernelINS0_13select_configILj256ELj13ELNS0_17block_load_methodE3ELS4_3ELS4_3ELNS0_20block_scan_algorithmE0ELj4294967295EEENS1_25partition_config_selectorILNS1_17partition_subalgoE3EjNS0_10empty_typeEbEEZZNS1_14partition_implILS8_3ELb0ES6_jNS0_17counting_iteratorIjlEEPS9_SE_NS0_5tupleIJPjSE_EEENSF_IJSE_SE_EEES9_SG_JZNS1_25segmented_radix_sort_implINS0_14default_configELb1EPKfPfPKlPlN2at6native12_GLOBAL__N_18offset_tEEE10hipError_tPvRmT1_PNSt15iterator_traitsISY_E10value_typeET2_T3_PNSZ_IS14_E10value_typeET4_jRbjT5_S1A_jjP12ihipStream_tbEUljE_EEESV_SW_SX_S14_S18_S1A_T6_T7_T9_mT8_S1C_bDpT10_ENKUlT_T0_E_clISt17integral_constantIbLb1EES1P_EEDaS1K_S1L_EUlS1K_E_NS1_11comp_targetILNS1_3genE8ELNS1_11target_archE1030ELNS1_3gpuE2ELNS1_3repE0EEENS1_30default_config_static_selectorELNS0_4arch9wavefront6targetE0EEEvSY_,@function
_ZN7rocprim17ROCPRIM_400000_NS6detail17trampoline_kernelINS0_13select_configILj256ELj13ELNS0_17block_load_methodE3ELS4_3ELS4_3ELNS0_20block_scan_algorithmE0ELj4294967295EEENS1_25partition_config_selectorILNS1_17partition_subalgoE3EjNS0_10empty_typeEbEEZZNS1_14partition_implILS8_3ELb0ES6_jNS0_17counting_iteratorIjlEEPS9_SE_NS0_5tupleIJPjSE_EEENSF_IJSE_SE_EEES9_SG_JZNS1_25segmented_radix_sort_implINS0_14default_configELb1EPKfPfPKlPlN2at6native12_GLOBAL__N_18offset_tEEE10hipError_tPvRmT1_PNSt15iterator_traitsISY_E10value_typeET2_T3_PNSZ_IS14_E10value_typeET4_jRbjT5_S1A_jjP12ihipStream_tbEUljE_EEESV_SW_SX_S14_S18_S1A_T6_T7_T9_mT8_S1C_bDpT10_ENKUlT_T0_E_clISt17integral_constantIbLb1EES1P_EEDaS1K_S1L_EUlS1K_E_NS1_11comp_targetILNS1_3genE8ELNS1_11target_archE1030ELNS1_3gpuE2ELNS1_3repE0EEENS1_30default_config_static_selectorELNS0_4arch9wavefront6targetE0EEEvSY_: ; @_ZN7rocprim17ROCPRIM_400000_NS6detail17trampoline_kernelINS0_13select_configILj256ELj13ELNS0_17block_load_methodE3ELS4_3ELS4_3ELNS0_20block_scan_algorithmE0ELj4294967295EEENS1_25partition_config_selectorILNS1_17partition_subalgoE3EjNS0_10empty_typeEbEEZZNS1_14partition_implILS8_3ELb0ES6_jNS0_17counting_iteratorIjlEEPS9_SE_NS0_5tupleIJPjSE_EEENSF_IJSE_SE_EEES9_SG_JZNS1_25segmented_radix_sort_implINS0_14default_configELb1EPKfPfPKlPlN2at6native12_GLOBAL__N_18offset_tEEE10hipError_tPvRmT1_PNSt15iterator_traitsISY_E10value_typeET2_T3_PNSZ_IS14_E10value_typeET4_jRbjT5_S1A_jjP12ihipStream_tbEUljE_EEESV_SW_SX_S14_S18_S1A_T6_T7_T9_mT8_S1C_bDpT10_ENKUlT_T0_E_clISt17integral_constantIbLb1EES1P_EEDaS1K_S1L_EUlS1K_E_NS1_11comp_targetILNS1_3genE8ELNS1_11target_archE1030ELNS1_3gpuE2ELNS1_3repE0EEENS1_30default_config_static_selectorELNS0_4arch9wavefront6targetE0EEEvSY_
; %bb.0:
	.section	.rodata,"a",@progbits
	.p2align	6, 0x0
	.amdhsa_kernel _ZN7rocprim17ROCPRIM_400000_NS6detail17trampoline_kernelINS0_13select_configILj256ELj13ELNS0_17block_load_methodE3ELS4_3ELS4_3ELNS0_20block_scan_algorithmE0ELj4294967295EEENS1_25partition_config_selectorILNS1_17partition_subalgoE3EjNS0_10empty_typeEbEEZZNS1_14partition_implILS8_3ELb0ES6_jNS0_17counting_iteratorIjlEEPS9_SE_NS0_5tupleIJPjSE_EEENSF_IJSE_SE_EEES9_SG_JZNS1_25segmented_radix_sort_implINS0_14default_configELb1EPKfPfPKlPlN2at6native12_GLOBAL__N_18offset_tEEE10hipError_tPvRmT1_PNSt15iterator_traitsISY_E10value_typeET2_T3_PNSZ_IS14_E10value_typeET4_jRbjT5_S1A_jjP12ihipStream_tbEUljE_EEESV_SW_SX_S14_S18_S1A_T6_T7_T9_mT8_S1C_bDpT10_ENKUlT_T0_E_clISt17integral_constantIbLb1EES1P_EEDaS1K_S1L_EUlS1K_E_NS1_11comp_targetILNS1_3genE8ELNS1_11target_archE1030ELNS1_3gpuE2ELNS1_3repE0EEENS1_30default_config_static_selectorELNS0_4arch9wavefront6targetE0EEEvSY_
		.amdhsa_group_segment_fixed_size 0
		.amdhsa_private_segment_fixed_size 0
		.amdhsa_kernarg_size 152
		.amdhsa_user_sgpr_count 15
		.amdhsa_user_sgpr_dispatch_ptr 0
		.amdhsa_user_sgpr_queue_ptr 0
		.amdhsa_user_sgpr_kernarg_segment_ptr 1
		.amdhsa_user_sgpr_dispatch_id 0
		.amdhsa_user_sgpr_private_segment_size 0
		.amdhsa_wavefront_size32 1
		.amdhsa_uses_dynamic_stack 0
		.amdhsa_enable_private_segment 0
		.amdhsa_system_sgpr_workgroup_id_x 1
		.amdhsa_system_sgpr_workgroup_id_y 0
		.amdhsa_system_sgpr_workgroup_id_z 0
		.amdhsa_system_sgpr_workgroup_info 0
		.amdhsa_system_vgpr_workitem_id 0
		.amdhsa_next_free_vgpr 1
		.amdhsa_next_free_sgpr 1
		.amdhsa_reserve_vcc 0
		.amdhsa_float_round_mode_32 0
		.amdhsa_float_round_mode_16_64 0
		.amdhsa_float_denorm_mode_32 3
		.amdhsa_float_denorm_mode_16_64 3
		.amdhsa_dx10_clamp 1
		.amdhsa_ieee_mode 1
		.amdhsa_fp16_overflow 0
		.amdhsa_workgroup_processor_mode 1
		.amdhsa_memory_ordered 1
		.amdhsa_forward_progress 0
		.amdhsa_shared_vgpr_count 0
		.amdhsa_exception_fp_ieee_invalid_op 0
		.amdhsa_exception_fp_denorm_src 0
		.amdhsa_exception_fp_ieee_div_zero 0
		.amdhsa_exception_fp_ieee_overflow 0
		.amdhsa_exception_fp_ieee_underflow 0
		.amdhsa_exception_fp_ieee_inexact 0
		.amdhsa_exception_int_div_zero 0
	.end_amdhsa_kernel
	.section	.text._ZN7rocprim17ROCPRIM_400000_NS6detail17trampoline_kernelINS0_13select_configILj256ELj13ELNS0_17block_load_methodE3ELS4_3ELS4_3ELNS0_20block_scan_algorithmE0ELj4294967295EEENS1_25partition_config_selectorILNS1_17partition_subalgoE3EjNS0_10empty_typeEbEEZZNS1_14partition_implILS8_3ELb0ES6_jNS0_17counting_iteratorIjlEEPS9_SE_NS0_5tupleIJPjSE_EEENSF_IJSE_SE_EEES9_SG_JZNS1_25segmented_radix_sort_implINS0_14default_configELb1EPKfPfPKlPlN2at6native12_GLOBAL__N_18offset_tEEE10hipError_tPvRmT1_PNSt15iterator_traitsISY_E10value_typeET2_T3_PNSZ_IS14_E10value_typeET4_jRbjT5_S1A_jjP12ihipStream_tbEUljE_EEESV_SW_SX_S14_S18_S1A_T6_T7_T9_mT8_S1C_bDpT10_ENKUlT_T0_E_clISt17integral_constantIbLb1EES1P_EEDaS1K_S1L_EUlS1K_E_NS1_11comp_targetILNS1_3genE8ELNS1_11target_archE1030ELNS1_3gpuE2ELNS1_3repE0EEENS1_30default_config_static_selectorELNS0_4arch9wavefront6targetE0EEEvSY_,"axG",@progbits,_ZN7rocprim17ROCPRIM_400000_NS6detail17trampoline_kernelINS0_13select_configILj256ELj13ELNS0_17block_load_methodE3ELS4_3ELS4_3ELNS0_20block_scan_algorithmE0ELj4294967295EEENS1_25partition_config_selectorILNS1_17partition_subalgoE3EjNS0_10empty_typeEbEEZZNS1_14partition_implILS8_3ELb0ES6_jNS0_17counting_iteratorIjlEEPS9_SE_NS0_5tupleIJPjSE_EEENSF_IJSE_SE_EEES9_SG_JZNS1_25segmented_radix_sort_implINS0_14default_configELb1EPKfPfPKlPlN2at6native12_GLOBAL__N_18offset_tEEE10hipError_tPvRmT1_PNSt15iterator_traitsISY_E10value_typeET2_T3_PNSZ_IS14_E10value_typeET4_jRbjT5_S1A_jjP12ihipStream_tbEUljE_EEESV_SW_SX_S14_S18_S1A_T6_T7_T9_mT8_S1C_bDpT10_ENKUlT_T0_E_clISt17integral_constantIbLb1EES1P_EEDaS1K_S1L_EUlS1K_E_NS1_11comp_targetILNS1_3genE8ELNS1_11target_archE1030ELNS1_3gpuE2ELNS1_3repE0EEENS1_30default_config_static_selectorELNS0_4arch9wavefront6targetE0EEEvSY_,comdat
.Lfunc_end1308:
	.size	_ZN7rocprim17ROCPRIM_400000_NS6detail17trampoline_kernelINS0_13select_configILj256ELj13ELNS0_17block_load_methodE3ELS4_3ELS4_3ELNS0_20block_scan_algorithmE0ELj4294967295EEENS1_25partition_config_selectorILNS1_17partition_subalgoE3EjNS0_10empty_typeEbEEZZNS1_14partition_implILS8_3ELb0ES6_jNS0_17counting_iteratorIjlEEPS9_SE_NS0_5tupleIJPjSE_EEENSF_IJSE_SE_EEES9_SG_JZNS1_25segmented_radix_sort_implINS0_14default_configELb1EPKfPfPKlPlN2at6native12_GLOBAL__N_18offset_tEEE10hipError_tPvRmT1_PNSt15iterator_traitsISY_E10value_typeET2_T3_PNSZ_IS14_E10value_typeET4_jRbjT5_S1A_jjP12ihipStream_tbEUljE_EEESV_SW_SX_S14_S18_S1A_T6_T7_T9_mT8_S1C_bDpT10_ENKUlT_T0_E_clISt17integral_constantIbLb1EES1P_EEDaS1K_S1L_EUlS1K_E_NS1_11comp_targetILNS1_3genE8ELNS1_11target_archE1030ELNS1_3gpuE2ELNS1_3repE0EEENS1_30default_config_static_selectorELNS0_4arch9wavefront6targetE0EEEvSY_, .Lfunc_end1308-_ZN7rocprim17ROCPRIM_400000_NS6detail17trampoline_kernelINS0_13select_configILj256ELj13ELNS0_17block_load_methodE3ELS4_3ELS4_3ELNS0_20block_scan_algorithmE0ELj4294967295EEENS1_25partition_config_selectorILNS1_17partition_subalgoE3EjNS0_10empty_typeEbEEZZNS1_14partition_implILS8_3ELb0ES6_jNS0_17counting_iteratorIjlEEPS9_SE_NS0_5tupleIJPjSE_EEENSF_IJSE_SE_EEES9_SG_JZNS1_25segmented_radix_sort_implINS0_14default_configELb1EPKfPfPKlPlN2at6native12_GLOBAL__N_18offset_tEEE10hipError_tPvRmT1_PNSt15iterator_traitsISY_E10value_typeET2_T3_PNSZ_IS14_E10value_typeET4_jRbjT5_S1A_jjP12ihipStream_tbEUljE_EEESV_SW_SX_S14_S18_S1A_T6_T7_T9_mT8_S1C_bDpT10_ENKUlT_T0_E_clISt17integral_constantIbLb1EES1P_EEDaS1K_S1L_EUlS1K_E_NS1_11comp_targetILNS1_3genE8ELNS1_11target_archE1030ELNS1_3gpuE2ELNS1_3repE0EEENS1_30default_config_static_selectorELNS0_4arch9wavefront6targetE0EEEvSY_
                                        ; -- End function
	.section	.AMDGPU.csdata,"",@progbits
; Kernel info:
; codeLenInByte = 0
; NumSgprs: 0
; NumVgprs: 0
; ScratchSize: 0
; MemoryBound: 0
; FloatMode: 240
; IeeeMode: 1
; LDSByteSize: 0 bytes/workgroup (compile time only)
; SGPRBlocks: 0
; VGPRBlocks: 0
; NumSGPRsForWavesPerEU: 1
; NumVGPRsForWavesPerEU: 1
; Occupancy: 16
; WaveLimiterHint : 0
; COMPUTE_PGM_RSRC2:SCRATCH_EN: 0
; COMPUTE_PGM_RSRC2:USER_SGPR: 15
; COMPUTE_PGM_RSRC2:TRAP_HANDLER: 0
; COMPUTE_PGM_RSRC2:TGID_X_EN: 1
; COMPUTE_PGM_RSRC2:TGID_Y_EN: 0
; COMPUTE_PGM_RSRC2:TGID_Z_EN: 0
; COMPUTE_PGM_RSRC2:TIDIG_COMP_CNT: 0
	.section	.text._ZN7rocprim17ROCPRIM_400000_NS6detail17trampoline_kernelINS0_13select_configILj256ELj13ELNS0_17block_load_methodE3ELS4_3ELS4_3ELNS0_20block_scan_algorithmE0ELj4294967295EEENS1_25partition_config_selectorILNS1_17partition_subalgoE3EjNS0_10empty_typeEbEEZZNS1_14partition_implILS8_3ELb0ES6_jNS0_17counting_iteratorIjlEEPS9_SE_NS0_5tupleIJPjSE_EEENSF_IJSE_SE_EEES9_SG_JZNS1_25segmented_radix_sort_implINS0_14default_configELb1EPKfPfPKlPlN2at6native12_GLOBAL__N_18offset_tEEE10hipError_tPvRmT1_PNSt15iterator_traitsISY_E10value_typeET2_T3_PNSZ_IS14_E10value_typeET4_jRbjT5_S1A_jjP12ihipStream_tbEUljE_EEESV_SW_SX_S14_S18_S1A_T6_T7_T9_mT8_S1C_bDpT10_ENKUlT_T0_E_clISt17integral_constantIbLb1EES1O_IbLb0EEEEDaS1K_S1L_EUlS1K_E_NS1_11comp_targetILNS1_3genE0ELNS1_11target_archE4294967295ELNS1_3gpuE0ELNS1_3repE0EEENS1_30default_config_static_selectorELNS0_4arch9wavefront6targetE0EEEvSY_,"axG",@progbits,_ZN7rocprim17ROCPRIM_400000_NS6detail17trampoline_kernelINS0_13select_configILj256ELj13ELNS0_17block_load_methodE3ELS4_3ELS4_3ELNS0_20block_scan_algorithmE0ELj4294967295EEENS1_25partition_config_selectorILNS1_17partition_subalgoE3EjNS0_10empty_typeEbEEZZNS1_14partition_implILS8_3ELb0ES6_jNS0_17counting_iteratorIjlEEPS9_SE_NS0_5tupleIJPjSE_EEENSF_IJSE_SE_EEES9_SG_JZNS1_25segmented_radix_sort_implINS0_14default_configELb1EPKfPfPKlPlN2at6native12_GLOBAL__N_18offset_tEEE10hipError_tPvRmT1_PNSt15iterator_traitsISY_E10value_typeET2_T3_PNSZ_IS14_E10value_typeET4_jRbjT5_S1A_jjP12ihipStream_tbEUljE_EEESV_SW_SX_S14_S18_S1A_T6_T7_T9_mT8_S1C_bDpT10_ENKUlT_T0_E_clISt17integral_constantIbLb1EES1O_IbLb0EEEEDaS1K_S1L_EUlS1K_E_NS1_11comp_targetILNS1_3genE0ELNS1_11target_archE4294967295ELNS1_3gpuE0ELNS1_3repE0EEENS1_30default_config_static_selectorELNS0_4arch9wavefront6targetE0EEEvSY_,comdat
	.globl	_ZN7rocprim17ROCPRIM_400000_NS6detail17trampoline_kernelINS0_13select_configILj256ELj13ELNS0_17block_load_methodE3ELS4_3ELS4_3ELNS0_20block_scan_algorithmE0ELj4294967295EEENS1_25partition_config_selectorILNS1_17partition_subalgoE3EjNS0_10empty_typeEbEEZZNS1_14partition_implILS8_3ELb0ES6_jNS0_17counting_iteratorIjlEEPS9_SE_NS0_5tupleIJPjSE_EEENSF_IJSE_SE_EEES9_SG_JZNS1_25segmented_radix_sort_implINS0_14default_configELb1EPKfPfPKlPlN2at6native12_GLOBAL__N_18offset_tEEE10hipError_tPvRmT1_PNSt15iterator_traitsISY_E10value_typeET2_T3_PNSZ_IS14_E10value_typeET4_jRbjT5_S1A_jjP12ihipStream_tbEUljE_EEESV_SW_SX_S14_S18_S1A_T6_T7_T9_mT8_S1C_bDpT10_ENKUlT_T0_E_clISt17integral_constantIbLb1EES1O_IbLb0EEEEDaS1K_S1L_EUlS1K_E_NS1_11comp_targetILNS1_3genE0ELNS1_11target_archE4294967295ELNS1_3gpuE0ELNS1_3repE0EEENS1_30default_config_static_selectorELNS0_4arch9wavefront6targetE0EEEvSY_ ; -- Begin function _ZN7rocprim17ROCPRIM_400000_NS6detail17trampoline_kernelINS0_13select_configILj256ELj13ELNS0_17block_load_methodE3ELS4_3ELS4_3ELNS0_20block_scan_algorithmE0ELj4294967295EEENS1_25partition_config_selectorILNS1_17partition_subalgoE3EjNS0_10empty_typeEbEEZZNS1_14partition_implILS8_3ELb0ES6_jNS0_17counting_iteratorIjlEEPS9_SE_NS0_5tupleIJPjSE_EEENSF_IJSE_SE_EEES9_SG_JZNS1_25segmented_radix_sort_implINS0_14default_configELb1EPKfPfPKlPlN2at6native12_GLOBAL__N_18offset_tEEE10hipError_tPvRmT1_PNSt15iterator_traitsISY_E10value_typeET2_T3_PNSZ_IS14_E10value_typeET4_jRbjT5_S1A_jjP12ihipStream_tbEUljE_EEESV_SW_SX_S14_S18_S1A_T6_T7_T9_mT8_S1C_bDpT10_ENKUlT_T0_E_clISt17integral_constantIbLb1EES1O_IbLb0EEEEDaS1K_S1L_EUlS1K_E_NS1_11comp_targetILNS1_3genE0ELNS1_11target_archE4294967295ELNS1_3gpuE0ELNS1_3repE0EEENS1_30default_config_static_selectorELNS0_4arch9wavefront6targetE0EEEvSY_
	.p2align	8
	.type	_ZN7rocprim17ROCPRIM_400000_NS6detail17trampoline_kernelINS0_13select_configILj256ELj13ELNS0_17block_load_methodE3ELS4_3ELS4_3ELNS0_20block_scan_algorithmE0ELj4294967295EEENS1_25partition_config_selectorILNS1_17partition_subalgoE3EjNS0_10empty_typeEbEEZZNS1_14partition_implILS8_3ELb0ES6_jNS0_17counting_iteratorIjlEEPS9_SE_NS0_5tupleIJPjSE_EEENSF_IJSE_SE_EEES9_SG_JZNS1_25segmented_radix_sort_implINS0_14default_configELb1EPKfPfPKlPlN2at6native12_GLOBAL__N_18offset_tEEE10hipError_tPvRmT1_PNSt15iterator_traitsISY_E10value_typeET2_T3_PNSZ_IS14_E10value_typeET4_jRbjT5_S1A_jjP12ihipStream_tbEUljE_EEESV_SW_SX_S14_S18_S1A_T6_T7_T9_mT8_S1C_bDpT10_ENKUlT_T0_E_clISt17integral_constantIbLb1EES1O_IbLb0EEEEDaS1K_S1L_EUlS1K_E_NS1_11comp_targetILNS1_3genE0ELNS1_11target_archE4294967295ELNS1_3gpuE0ELNS1_3repE0EEENS1_30default_config_static_selectorELNS0_4arch9wavefront6targetE0EEEvSY_,@function
_ZN7rocprim17ROCPRIM_400000_NS6detail17trampoline_kernelINS0_13select_configILj256ELj13ELNS0_17block_load_methodE3ELS4_3ELS4_3ELNS0_20block_scan_algorithmE0ELj4294967295EEENS1_25partition_config_selectorILNS1_17partition_subalgoE3EjNS0_10empty_typeEbEEZZNS1_14partition_implILS8_3ELb0ES6_jNS0_17counting_iteratorIjlEEPS9_SE_NS0_5tupleIJPjSE_EEENSF_IJSE_SE_EEES9_SG_JZNS1_25segmented_radix_sort_implINS0_14default_configELb1EPKfPfPKlPlN2at6native12_GLOBAL__N_18offset_tEEE10hipError_tPvRmT1_PNSt15iterator_traitsISY_E10value_typeET2_T3_PNSZ_IS14_E10value_typeET4_jRbjT5_S1A_jjP12ihipStream_tbEUljE_EEESV_SW_SX_S14_S18_S1A_T6_T7_T9_mT8_S1C_bDpT10_ENKUlT_T0_E_clISt17integral_constantIbLb1EES1O_IbLb0EEEEDaS1K_S1L_EUlS1K_E_NS1_11comp_targetILNS1_3genE0ELNS1_11target_archE4294967295ELNS1_3gpuE0ELNS1_3repE0EEENS1_30default_config_static_selectorELNS0_4arch9wavefront6targetE0EEEvSY_: ; @_ZN7rocprim17ROCPRIM_400000_NS6detail17trampoline_kernelINS0_13select_configILj256ELj13ELNS0_17block_load_methodE3ELS4_3ELS4_3ELNS0_20block_scan_algorithmE0ELj4294967295EEENS1_25partition_config_selectorILNS1_17partition_subalgoE3EjNS0_10empty_typeEbEEZZNS1_14partition_implILS8_3ELb0ES6_jNS0_17counting_iteratorIjlEEPS9_SE_NS0_5tupleIJPjSE_EEENSF_IJSE_SE_EEES9_SG_JZNS1_25segmented_radix_sort_implINS0_14default_configELb1EPKfPfPKlPlN2at6native12_GLOBAL__N_18offset_tEEE10hipError_tPvRmT1_PNSt15iterator_traitsISY_E10value_typeET2_T3_PNSZ_IS14_E10value_typeET4_jRbjT5_S1A_jjP12ihipStream_tbEUljE_EEESV_SW_SX_S14_S18_S1A_T6_T7_T9_mT8_S1C_bDpT10_ENKUlT_T0_E_clISt17integral_constantIbLb1EES1O_IbLb0EEEEDaS1K_S1L_EUlS1K_E_NS1_11comp_targetILNS1_3genE0ELNS1_11target_archE4294967295ELNS1_3gpuE0ELNS1_3repE0EEENS1_30default_config_static_selectorELNS0_4arch9wavefront6targetE0EEEvSY_
; %bb.0:
	.section	.rodata,"a",@progbits
	.p2align	6, 0x0
	.amdhsa_kernel _ZN7rocprim17ROCPRIM_400000_NS6detail17trampoline_kernelINS0_13select_configILj256ELj13ELNS0_17block_load_methodE3ELS4_3ELS4_3ELNS0_20block_scan_algorithmE0ELj4294967295EEENS1_25partition_config_selectorILNS1_17partition_subalgoE3EjNS0_10empty_typeEbEEZZNS1_14partition_implILS8_3ELb0ES6_jNS0_17counting_iteratorIjlEEPS9_SE_NS0_5tupleIJPjSE_EEENSF_IJSE_SE_EEES9_SG_JZNS1_25segmented_radix_sort_implINS0_14default_configELb1EPKfPfPKlPlN2at6native12_GLOBAL__N_18offset_tEEE10hipError_tPvRmT1_PNSt15iterator_traitsISY_E10value_typeET2_T3_PNSZ_IS14_E10value_typeET4_jRbjT5_S1A_jjP12ihipStream_tbEUljE_EEESV_SW_SX_S14_S18_S1A_T6_T7_T9_mT8_S1C_bDpT10_ENKUlT_T0_E_clISt17integral_constantIbLb1EES1O_IbLb0EEEEDaS1K_S1L_EUlS1K_E_NS1_11comp_targetILNS1_3genE0ELNS1_11target_archE4294967295ELNS1_3gpuE0ELNS1_3repE0EEENS1_30default_config_static_selectorELNS0_4arch9wavefront6targetE0EEEvSY_
		.amdhsa_group_segment_fixed_size 0
		.amdhsa_private_segment_fixed_size 0
		.amdhsa_kernarg_size 144
		.amdhsa_user_sgpr_count 15
		.amdhsa_user_sgpr_dispatch_ptr 0
		.amdhsa_user_sgpr_queue_ptr 0
		.amdhsa_user_sgpr_kernarg_segment_ptr 1
		.amdhsa_user_sgpr_dispatch_id 0
		.amdhsa_user_sgpr_private_segment_size 0
		.amdhsa_wavefront_size32 1
		.amdhsa_uses_dynamic_stack 0
		.amdhsa_enable_private_segment 0
		.amdhsa_system_sgpr_workgroup_id_x 1
		.amdhsa_system_sgpr_workgroup_id_y 0
		.amdhsa_system_sgpr_workgroup_id_z 0
		.amdhsa_system_sgpr_workgroup_info 0
		.amdhsa_system_vgpr_workitem_id 0
		.amdhsa_next_free_vgpr 1
		.amdhsa_next_free_sgpr 1
		.amdhsa_reserve_vcc 0
		.amdhsa_float_round_mode_32 0
		.amdhsa_float_round_mode_16_64 0
		.amdhsa_float_denorm_mode_32 3
		.amdhsa_float_denorm_mode_16_64 3
		.amdhsa_dx10_clamp 1
		.amdhsa_ieee_mode 1
		.amdhsa_fp16_overflow 0
		.amdhsa_workgroup_processor_mode 1
		.amdhsa_memory_ordered 1
		.amdhsa_forward_progress 0
		.amdhsa_shared_vgpr_count 0
		.amdhsa_exception_fp_ieee_invalid_op 0
		.amdhsa_exception_fp_denorm_src 0
		.amdhsa_exception_fp_ieee_div_zero 0
		.amdhsa_exception_fp_ieee_overflow 0
		.amdhsa_exception_fp_ieee_underflow 0
		.amdhsa_exception_fp_ieee_inexact 0
		.amdhsa_exception_int_div_zero 0
	.end_amdhsa_kernel
	.section	.text._ZN7rocprim17ROCPRIM_400000_NS6detail17trampoline_kernelINS0_13select_configILj256ELj13ELNS0_17block_load_methodE3ELS4_3ELS4_3ELNS0_20block_scan_algorithmE0ELj4294967295EEENS1_25partition_config_selectorILNS1_17partition_subalgoE3EjNS0_10empty_typeEbEEZZNS1_14partition_implILS8_3ELb0ES6_jNS0_17counting_iteratorIjlEEPS9_SE_NS0_5tupleIJPjSE_EEENSF_IJSE_SE_EEES9_SG_JZNS1_25segmented_radix_sort_implINS0_14default_configELb1EPKfPfPKlPlN2at6native12_GLOBAL__N_18offset_tEEE10hipError_tPvRmT1_PNSt15iterator_traitsISY_E10value_typeET2_T3_PNSZ_IS14_E10value_typeET4_jRbjT5_S1A_jjP12ihipStream_tbEUljE_EEESV_SW_SX_S14_S18_S1A_T6_T7_T9_mT8_S1C_bDpT10_ENKUlT_T0_E_clISt17integral_constantIbLb1EES1O_IbLb0EEEEDaS1K_S1L_EUlS1K_E_NS1_11comp_targetILNS1_3genE0ELNS1_11target_archE4294967295ELNS1_3gpuE0ELNS1_3repE0EEENS1_30default_config_static_selectorELNS0_4arch9wavefront6targetE0EEEvSY_,"axG",@progbits,_ZN7rocprim17ROCPRIM_400000_NS6detail17trampoline_kernelINS0_13select_configILj256ELj13ELNS0_17block_load_methodE3ELS4_3ELS4_3ELNS0_20block_scan_algorithmE0ELj4294967295EEENS1_25partition_config_selectorILNS1_17partition_subalgoE3EjNS0_10empty_typeEbEEZZNS1_14partition_implILS8_3ELb0ES6_jNS0_17counting_iteratorIjlEEPS9_SE_NS0_5tupleIJPjSE_EEENSF_IJSE_SE_EEES9_SG_JZNS1_25segmented_radix_sort_implINS0_14default_configELb1EPKfPfPKlPlN2at6native12_GLOBAL__N_18offset_tEEE10hipError_tPvRmT1_PNSt15iterator_traitsISY_E10value_typeET2_T3_PNSZ_IS14_E10value_typeET4_jRbjT5_S1A_jjP12ihipStream_tbEUljE_EEESV_SW_SX_S14_S18_S1A_T6_T7_T9_mT8_S1C_bDpT10_ENKUlT_T0_E_clISt17integral_constantIbLb1EES1O_IbLb0EEEEDaS1K_S1L_EUlS1K_E_NS1_11comp_targetILNS1_3genE0ELNS1_11target_archE4294967295ELNS1_3gpuE0ELNS1_3repE0EEENS1_30default_config_static_selectorELNS0_4arch9wavefront6targetE0EEEvSY_,comdat
.Lfunc_end1309:
	.size	_ZN7rocprim17ROCPRIM_400000_NS6detail17trampoline_kernelINS0_13select_configILj256ELj13ELNS0_17block_load_methodE3ELS4_3ELS4_3ELNS0_20block_scan_algorithmE0ELj4294967295EEENS1_25partition_config_selectorILNS1_17partition_subalgoE3EjNS0_10empty_typeEbEEZZNS1_14partition_implILS8_3ELb0ES6_jNS0_17counting_iteratorIjlEEPS9_SE_NS0_5tupleIJPjSE_EEENSF_IJSE_SE_EEES9_SG_JZNS1_25segmented_radix_sort_implINS0_14default_configELb1EPKfPfPKlPlN2at6native12_GLOBAL__N_18offset_tEEE10hipError_tPvRmT1_PNSt15iterator_traitsISY_E10value_typeET2_T3_PNSZ_IS14_E10value_typeET4_jRbjT5_S1A_jjP12ihipStream_tbEUljE_EEESV_SW_SX_S14_S18_S1A_T6_T7_T9_mT8_S1C_bDpT10_ENKUlT_T0_E_clISt17integral_constantIbLb1EES1O_IbLb0EEEEDaS1K_S1L_EUlS1K_E_NS1_11comp_targetILNS1_3genE0ELNS1_11target_archE4294967295ELNS1_3gpuE0ELNS1_3repE0EEENS1_30default_config_static_selectorELNS0_4arch9wavefront6targetE0EEEvSY_, .Lfunc_end1309-_ZN7rocprim17ROCPRIM_400000_NS6detail17trampoline_kernelINS0_13select_configILj256ELj13ELNS0_17block_load_methodE3ELS4_3ELS4_3ELNS0_20block_scan_algorithmE0ELj4294967295EEENS1_25partition_config_selectorILNS1_17partition_subalgoE3EjNS0_10empty_typeEbEEZZNS1_14partition_implILS8_3ELb0ES6_jNS0_17counting_iteratorIjlEEPS9_SE_NS0_5tupleIJPjSE_EEENSF_IJSE_SE_EEES9_SG_JZNS1_25segmented_radix_sort_implINS0_14default_configELb1EPKfPfPKlPlN2at6native12_GLOBAL__N_18offset_tEEE10hipError_tPvRmT1_PNSt15iterator_traitsISY_E10value_typeET2_T3_PNSZ_IS14_E10value_typeET4_jRbjT5_S1A_jjP12ihipStream_tbEUljE_EEESV_SW_SX_S14_S18_S1A_T6_T7_T9_mT8_S1C_bDpT10_ENKUlT_T0_E_clISt17integral_constantIbLb1EES1O_IbLb0EEEEDaS1K_S1L_EUlS1K_E_NS1_11comp_targetILNS1_3genE0ELNS1_11target_archE4294967295ELNS1_3gpuE0ELNS1_3repE0EEENS1_30default_config_static_selectorELNS0_4arch9wavefront6targetE0EEEvSY_
                                        ; -- End function
	.section	.AMDGPU.csdata,"",@progbits
; Kernel info:
; codeLenInByte = 0
; NumSgprs: 0
; NumVgprs: 0
; ScratchSize: 0
; MemoryBound: 0
; FloatMode: 240
; IeeeMode: 1
; LDSByteSize: 0 bytes/workgroup (compile time only)
; SGPRBlocks: 0
; VGPRBlocks: 0
; NumSGPRsForWavesPerEU: 1
; NumVGPRsForWavesPerEU: 1
; Occupancy: 16
; WaveLimiterHint : 0
; COMPUTE_PGM_RSRC2:SCRATCH_EN: 0
; COMPUTE_PGM_RSRC2:USER_SGPR: 15
; COMPUTE_PGM_RSRC2:TRAP_HANDLER: 0
; COMPUTE_PGM_RSRC2:TGID_X_EN: 1
; COMPUTE_PGM_RSRC2:TGID_Y_EN: 0
; COMPUTE_PGM_RSRC2:TGID_Z_EN: 0
; COMPUTE_PGM_RSRC2:TIDIG_COMP_CNT: 0
	.section	.text._ZN7rocprim17ROCPRIM_400000_NS6detail17trampoline_kernelINS0_13select_configILj256ELj13ELNS0_17block_load_methodE3ELS4_3ELS4_3ELNS0_20block_scan_algorithmE0ELj4294967295EEENS1_25partition_config_selectorILNS1_17partition_subalgoE3EjNS0_10empty_typeEbEEZZNS1_14partition_implILS8_3ELb0ES6_jNS0_17counting_iteratorIjlEEPS9_SE_NS0_5tupleIJPjSE_EEENSF_IJSE_SE_EEES9_SG_JZNS1_25segmented_radix_sort_implINS0_14default_configELb1EPKfPfPKlPlN2at6native12_GLOBAL__N_18offset_tEEE10hipError_tPvRmT1_PNSt15iterator_traitsISY_E10value_typeET2_T3_PNSZ_IS14_E10value_typeET4_jRbjT5_S1A_jjP12ihipStream_tbEUljE_EEESV_SW_SX_S14_S18_S1A_T6_T7_T9_mT8_S1C_bDpT10_ENKUlT_T0_E_clISt17integral_constantIbLb1EES1O_IbLb0EEEEDaS1K_S1L_EUlS1K_E_NS1_11comp_targetILNS1_3genE5ELNS1_11target_archE942ELNS1_3gpuE9ELNS1_3repE0EEENS1_30default_config_static_selectorELNS0_4arch9wavefront6targetE0EEEvSY_,"axG",@progbits,_ZN7rocprim17ROCPRIM_400000_NS6detail17trampoline_kernelINS0_13select_configILj256ELj13ELNS0_17block_load_methodE3ELS4_3ELS4_3ELNS0_20block_scan_algorithmE0ELj4294967295EEENS1_25partition_config_selectorILNS1_17partition_subalgoE3EjNS0_10empty_typeEbEEZZNS1_14partition_implILS8_3ELb0ES6_jNS0_17counting_iteratorIjlEEPS9_SE_NS0_5tupleIJPjSE_EEENSF_IJSE_SE_EEES9_SG_JZNS1_25segmented_radix_sort_implINS0_14default_configELb1EPKfPfPKlPlN2at6native12_GLOBAL__N_18offset_tEEE10hipError_tPvRmT1_PNSt15iterator_traitsISY_E10value_typeET2_T3_PNSZ_IS14_E10value_typeET4_jRbjT5_S1A_jjP12ihipStream_tbEUljE_EEESV_SW_SX_S14_S18_S1A_T6_T7_T9_mT8_S1C_bDpT10_ENKUlT_T0_E_clISt17integral_constantIbLb1EES1O_IbLb0EEEEDaS1K_S1L_EUlS1K_E_NS1_11comp_targetILNS1_3genE5ELNS1_11target_archE942ELNS1_3gpuE9ELNS1_3repE0EEENS1_30default_config_static_selectorELNS0_4arch9wavefront6targetE0EEEvSY_,comdat
	.globl	_ZN7rocprim17ROCPRIM_400000_NS6detail17trampoline_kernelINS0_13select_configILj256ELj13ELNS0_17block_load_methodE3ELS4_3ELS4_3ELNS0_20block_scan_algorithmE0ELj4294967295EEENS1_25partition_config_selectorILNS1_17partition_subalgoE3EjNS0_10empty_typeEbEEZZNS1_14partition_implILS8_3ELb0ES6_jNS0_17counting_iteratorIjlEEPS9_SE_NS0_5tupleIJPjSE_EEENSF_IJSE_SE_EEES9_SG_JZNS1_25segmented_radix_sort_implINS0_14default_configELb1EPKfPfPKlPlN2at6native12_GLOBAL__N_18offset_tEEE10hipError_tPvRmT1_PNSt15iterator_traitsISY_E10value_typeET2_T3_PNSZ_IS14_E10value_typeET4_jRbjT5_S1A_jjP12ihipStream_tbEUljE_EEESV_SW_SX_S14_S18_S1A_T6_T7_T9_mT8_S1C_bDpT10_ENKUlT_T0_E_clISt17integral_constantIbLb1EES1O_IbLb0EEEEDaS1K_S1L_EUlS1K_E_NS1_11comp_targetILNS1_3genE5ELNS1_11target_archE942ELNS1_3gpuE9ELNS1_3repE0EEENS1_30default_config_static_selectorELNS0_4arch9wavefront6targetE0EEEvSY_ ; -- Begin function _ZN7rocprim17ROCPRIM_400000_NS6detail17trampoline_kernelINS0_13select_configILj256ELj13ELNS0_17block_load_methodE3ELS4_3ELS4_3ELNS0_20block_scan_algorithmE0ELj4294967295EEENS1_25partition_config_selectorILNS1_17partition_subalgoE3EjNS0_10empty_typeEbEEZZNS1_14partition_implILS8_3ELb0ES6_jNS0_17counting_iteratorIjlEEPS9_SE_NS0_5tupleIJPjSE_EEENSF_IJSE_SE_EEES9_SG_JZNS1_25segmented_radix_sort_implINS0_14default_configELb1EPKfPfPKlPlN2at6native12_GLOBAL__N_18offset_tEEE10hipError_tPvRmT1_PNSt15iterator_traitsISY_E10value_typeET2_T3_PNSZ_IS14_E10value_typeET4_jRbjT5_S1A_jjP12ihipStream_tbEUljE_EEESV_SW_SX_S14_S18_S1A_T6_T7_T9_mT8_S1C_bDpT10_ENKUlT_T0_E_clISt17integral_constantIbLb1EES1O_IbLb0EEEEDaS1K_S1L_EUlS1K_E_NS1_11comp_targetILNS1_3genE5ELNS1_11target_archE942ELNS1_3gpuE9ELNS1_3repE0EEENS1_30default_config_static_selectorELNS0_4arch9wavefront6targetE0EEEvSY_
	.p2align	8
	.type	_ZN7rocprim17ROCPRIM_400000_NS6detail17trampoline_kernelINS0_13select_configILj256ELj13ELNS0_17block_load_methodE3ELS4_3ELS4_3ELNS0_20block_scan_algorithmE0ELj4294967295EEENS1_25partition_config_selectorILNS1_17partition_subalgoE3EjNS0_10empty_typeEbEEZZNS1_14partition_implILS8_3ELb0ES6_jNS0_17counting_iteratorIjlEEPS9_SE_NS0_5tupleIJPjSE_EEENSF_IJSE_SE_EEES9_SG_JZNS1_25segmented_radix_sort_implINS0_14default_configELb1EPKfPfPKlPlN2at6native12_GLOBAL__N_18offset_tEEE10hipError_tPvRmT1_PNSt15iterator_traitsISY_E10value_typeET2_T3_PNSZ_IS14_E10value_typeET4_jRbjT5_S1A_jjP12ihipStream_tbEUljE_EEESV_SW_SX_S14_S18_S1A_T6_T7_T9_mT8_S1C_bDpT10_ENKUlT_T0_E_clISt17integral_constantIbLb1EES1O_IbLb0EEEEDaS1K_S1L_EUlS1K_E_NS1_11comp_targetILNS1_3genE5ELNS1_11target_archE942ELNS1_3gpuE9ELNS1_3repE0EEENS1_30default_config_static_selectorELNS0_4arch9wavefront6targetE0EEEvSY_,@function
_ZN7rocprim17ROCPRIM_400000_NS6detail17trampoline_kernelINS0_13select_configILj256ELj13ELNS0_17block_load_methodE3ELS4_3ELS4_3ELNS0_20block_scan_algorithmE0ELj4294967295EEENS1_25partition_config_selectorILNS1_17partition_subalgoE3EjNS0_10empty_typeEbEEZZNS1_14partition_implILS8_3ELb0ES6_jNS0_17counting_iteratorIjlEEPS9_SE_NS0_5tupleIJPjSE_EEENSF_IJSE_SE_EEES9_SG_JZNS1_25segmented_radix_sort_implINS0_14default_configELb1EPKfPfPKlPlN2at6native12_GLOBAL__N_18offset_tEEE10hipError_tPvRmT1_PNSt15iterator_traitsISY_E10value_typeET2_T3_PNSZ_IS14_E10value_typeET4_jRbjT5_S1A_jjP12ihipStream_tbEUljE_EEESV_SW_SX_S14_S18_S1A_T6_T7_T9_mT8_S1C_bDpT10_ENKUlT_T0_E_clISt17integral_constantIbLb1EES1O_IbLb0EEEEDaS1K_S1L_EUlS1K_E_NS1_11comp_targetILNS1_3genE5ELNS1_11target_archE942ELNS1_3gpuE9ELNS1_3repE0EEENS1_30default_config_static_selectorELNS0_4arch9wavefront6targetE0EEEvSY_: ; @_ZN7rocprim17ROCPRIM_400000_NS6detail17trampoline_kernelINS0_13select_configILj256ELj13ELNS0_17block_load_methodE3ELS4_3ELS4_3ELNS0_20block_scan_algorithmE0ELj4294967295EEENS1_25partition_config_selectorILNS1_17partition_subalgoE3EjNS0_10empty_typeEbEEZZNS1_14partition_implILS8_3ELb0ES6_jNS0_17counting_iteratorIjlEEPS9_SE_NS0_5tupleIJPjSE_EEENSF_IJSE_SE_EEES9_SG_JZNS1_25segmented_radix_sort_implINS0_14default_configELb1EPKfPfPKlPlN2at6native12_GLOBAL__N_18offset_tEEE10hipError_tPvRmT1_PNSt15iterator_traitsISY_E10value_typeET2_T3_PNSZ_IS14_E10value_typeET4_jRbjT5_S1A_jjP12ihipStream_tbEUljE_EEESV_SW_SX_S14_S18_S1A_T6_T7_T9_mT8_S1C_bDpT10_ENKUlT_T0_E_clISt17integral_constantIbLb1EES1O_IbLb0EEEEDaS1K_S1L_EUlS1K_E_NS1_11comp_targetILNS1_3genE5ELNS1_11target_archE942ELNS1_3gpuE9ELNS1_3repE0EEENS1_30default_config_static_selectorELNS0_4arch9wavefront6targetE0EEEvSY_
; %bb.0:
	.section	.rodata,"a",@progbits
	.p2align	6, 0x0
	.amdhsa_kernel _ZN7rocprim17ROCPRIM_400000_NS6detail17trampoline_kernelINS0_13select_configILj256ELj13ELNS0_17block_load_methodE3ELS4_3ELS4_3ELNS0_20block_scan_algorithmE0ELj4294967295EEENS1_25partition_config_selectorILNS1_17partition_subalgoE3EjNS0_10empty_typeEbEEZZNS1_14partition_implILS8_3ELb0ES6_jNS0_17counting_iteratorIjlEEPS9_SE_NS0_5tupleIJPjSE_EEENSF_IJSE_SE_EEES9_SG_JZNS1_25segmented_radix_sort_implINS0_14default_configELb1EPKfPfPKlPlN2at6native12_GLOBAL__N_18offset_tEEE10hipError_tPvRmT1_PNSt15iterator_traitsISY_E10value_typeET2_T3_PNSZ_IS14_E10value_typeET4_jRbjT5_S1A_jjP12ihipStream_tbEUljE_EEESV_SW_SX_S14_S18_S1A_T6_T7_T9_mT8_S1C_bDpT10_ENKUlT_T0_E_clISt17integral_constantIbLb1EES1O_IbLb0EEEEDaS1K_S1L_EUlS1K_E_NS1_11comp_targetILNS1_3genE5ELNS1_11target_archE942ELNS1_3gpuE9ELNS1_3repE0EEENS1_30default_config_static_selectorELNS0_4arch9wavefront6targetE0EEEvSY_
		.amdhsa_group_segment_fixed_size 0
		.amdhsa_private_segment_fixed_size 0
		.amdhsa_kernarg_size 144
		.amdhsa_user_sgpr_count 15
		.amdhsa_user_sgpr_dispatch_ptr 0
		.amdhsa_user_sgpr_queue_ptr 0
		.amdhsa_user_sgpr_kernarg_segment_ptr 1
		.amdhsa_user_sgpr_dispatch_id 0
		.amdhsa_user_sgpr_private_segment_size 0
		.amdhsa_wavefront_size32 1
		.amdhsa_uses_dynamic_stack 0
		.amdhsa_enable_private_segment 0
		.amdhsa_system_sgpr_workgroup_id_x 1
		.amdhsa_system_sgpr_workgroup_id_y 0
		.amdhsa_system_sgpr_workgroup_id_z 0
		.amdhsa_system_sgpr_workgroup_info 0
		.amdhsa_system_vgpr_workitem_id 0
		.amdhsa_next_free_vgpr 1
		.amdhsa_next_free_sgpr 1
		.amdhsa_reserve_vcc 0
		.amdhsa_float_round_mode_32 0
		.amdhsa_float_round_mode_16_64 0
		.amdhsa_float_denorm_mode_32 3
		.amdhsa_float_denorm_mode_16_64 3
		.amdhsa_dx10_clamp 1
		.amdhsa_ieee_mode 1
		.amdhsa_fp16_overflow 0
		.amdhsa_workgroup_processor_mode 1
		.amdhsa_memory_ordered 1
		.amdhsa_forward_progress 0
		.amdhsa_shared_vgpr_count 0
		.amdhsa_exception_fp_ieee_invalid_op 0
		.amdhsa_exception_fp_denorm_src 0
		.amdhsa_exception_fp_ieee_div_zero 0
		.amdhsa_exception_fp_ieee_overflow 0
		.amdhsa_exception_fp_ieee_underflow 0
		.amdhsa_exception_fp_ieee_inexact 0
		.amdhsa_exception_int_div_zero 0
	.end_amdhsa_kernel
	.section	.text._ZN7rocprim17ROCPRIM_400000_NS6detail17trampoline_kernelINS0_13select_configILj256ELj13ELNS0_17block_load_methodE3ELS4_3ELS4_3ELNS0_20block_scan_algorithmE0ELj4294967295EEENS1_25partition_config_selectorILNS1_17partition_subalgoE3EjNS0_10empty_typeEbEEZZNS1_14partition_implILS8_3ELb0ES6_jNS0_17counting_iteratorIjlEEPS9_SE_NS0_5tupleIJPjSE_EEENSF_IJSE_SE_EEES9_SG_JZNS1_25segmented_radix_sort_implINS0_14default_configELb1EPKfPfPKlPlN2at6native12_GLOBAL__N_18offset_tEEE10hipError_tPvRmT1_PNSt15iterator_traitsISY_E10value_typeET2_T3_PNSZ_IS14_E10value_typeET4_jRbjT5_S1A_jjP12ihipStream_tbEUljE_EEESV_SW_SX_S14_S18_S1A_T6_T7_T9_mT8_S1C_bDpT10_ENKUlT_T0_E_clISt17integral_constantIbLb1EES1O_IbLb0EEEEDaS1K_S1L_EUlS1K_E_NS1_11comp_targetILNS1_3genE5ELNS1_11target_archE942ELNS1_3gpuE9ELNS1_3repE0EEENS1_30default_config_static_selectorELNS0_4arch9wavefront6targetE0EEEvSY_,"axG",@progbits,_ZN7rocprim17ROCPRIM_400000_NS6detail17trampoline_kernelINS0_13select_configILj256ELj13ELNS0_17block_load_methodE3ELS4_3ELS4_3ELNS0_20block_scan_algorithmE0ELj4294967295EEENS1_25partition_config_selectorILNS1_17partition_subalgoE3EjNS0_10empty_typeEbEEZZNS1_14partition_implILS8_3ELb0ES6_jNS0_17counting_iteratorIjlEEPS9_SE_NS0_5tupleIJPjSE_EEENSF_IJSE_SE_EEES9_SG_JZNS1_25segmented_radix_sort_implINS0_14default_configELb1EPKfPfPKlPlN2at6native12_GLOBAL__N_18offset_tEEE10hipError_tPvRmT1_PNSt15iterator_traitsISY_E10value_typeET2_T3_PNSZ_IS14_E10value_typeET4_jRbjT5_S1A_jjP12ihipStream_tbEUljE_EEESV_SW_SX_S14_S18_S1A_T6_T7_T9_mT8_S1C_bDpT10_ENKUlT_T0_E_clISt17integral_constantIbLb1EES1O_IbLb0EEEEDaS1K_S1L_EUlS1K_E_NS1_11comp_targetILNS1_3genE5ELNS1_11target_archE942ELNS1_3gpuE9ELNS1_3repE0EEENS1_30default_config_static_selectorELNS0_4arch9wavefront6targetE0EEEvSY_,comdat
.Lfunc_end1310:
	.size	_ZN7rocprim17ROCPRIM_400000_NS6detail17trampoline_kernelINS0_13select_configILj256ELj13ELNS0_17block_load_methodE3ELS4_3ELS4_3ELNS0_20block_scan_algorithmE0ELj4294967295EEENS1_25partition_config_selectorILNS1_17partition_subalgoE3EjNS0_10empty_typeEbEEZZNS1_14partition_implILS8_3ELb0ES6_jNS0_17counting_iteratorIjlEEPS9_SE_NS0_5tupleIJPjSE_EEENSF_IJSE_SE_EEES9_SG_JZNS1_25segmented_radix_sort_implINS0_14default_configELb1EPKfPfPKlPlN2at6native12_GLOBAL__N_18offset_tEEE10hipError_tPvRmT1_PNSt15iterator_traitsISY_E10value_typeET2_T3_PNSZ_IS14_E10value_typeET4_jRbjT5_S1A_jjP12ihipStream_tbEUljE_EEESV_SW_SX_S14_S18_S1A_T6_T7_T9_mT8_S1C_bDpT10_ENKUlT_T0_E_clISt17integral_constantIbLb1EES1O_IbLb0EEEEDaS1K_S1L_EUlS1K_E_NS1_11comp_targetILNS1_3genE5ELNS1_11target_archE942ELNS1_3gpuE9ELNS1_3repE0EEENS1_30default_config_static_selectorELNS0_4arch9wavefront6targetE0EEEvSY_, .Lfunc_end1310-_ZN7rocprim17ROCPRIM_400000_NS6detail17trampoline_kernelINS0_13select_configILj256ELj13ELNS0_17block_load_methodE3ELS4_3ELS4_3ELNS0_20block_scan_algorithmE0ELj4294967295EEENS1_25partition_config_selectorILNS1_17partition_subalgoE3EjNS0_10empty_typeEbEEZZNS1_14partition_implILS8_3ELb0ES6_jNS0_17counting_iteratorIjlEEPS9_SE_NS0_5tupleIJPjSE_EEENSF_IJSE_SE_EEES9_SG_JZNS1_25segmented_radix_sort_implINS0_14default_configELb1EPKfPfPKlPlN2at6native12_GLOBAL__N_18offset_tEEE10hipError_tPvRmT1_PNSt15iterator_traitsISY_E10value_typeET2_T3_PNSZ_IS14_E10value_typeET4_jRbjT5_S1A_jjP12ihipStream_tbEUljE_EEESV_SW_SX_S14_S18_S1A_T6_T7_T9_mT8_S1C_bDpT10_ENKUlT_T0_E_clISt17integral_constantIbLb1EES1O_IbLb0EEEEDaS1K_S1L_EUlS1K_E_NS1_11comp_targetILNS1_3genE5ELNS1_11target_archE942ELNS1_3gpuE9ELNS1_3repE0EEENS1_30default_config_static_selectorELNS0_4arch9wavefront6targetE0EEEvSY_
                                        ; -- End function
	.section	.AMDGPU.csdata,"",@progbits
; Kernel info:
; codeLenInByte = 0
; NumSgprs: 0
; NumVgprs: 0
; ScratchSize: 0
; MemoryBound: 0
; FloatMode: 240
; IeeeMode: 1
; LDSByteSize: 0 bytes/workgroup (compile time only)
; SGPRBlocks: 0
; VGPRBlocks: 0
; NumSGPRsForWavesPerEU: 1
; NumVGPRsForWavesPerEU: 1
; Occupancy: 16
; WaveLimiterHint : 0
; COMPUTE_PGM_RSRC2:SCRATCH_EN: 0
; COMPUTE_PGM_RSRC2:USER_SGPR: 15
; COMPUTE_PGM_RSRC2:TRAP_HANDLER: 0
; COMPUTE_PGM_RSRC2:TGID_X_EN: 1
; COMPUTE_PGM_RSRC2:TGID_Y_EN: 0
; COMPUTE_PGM_RSRC2:TGID_Z_EN: 0
; COMPUTE_PGM_RSRC2:TIDIG_COMP_CNT: 0
	.section	.text._ZN7rocprim17ROCPRIM_400000_NS6detail17trampoline_kernelINS0_13select_configILj256ELj13ELNS0_17block_load_methodE3ELS4_3ELS4_3ELNS0_20block_scan_algorithmE0ELj4294967295EEENS1_25partition_config_selectorILNS1_17partition_subalgoE3EjNS0_10empty_typeEbEEZZNS1_14partition_implILS8_3ELb0ES6_jNS0_17counting_iteratorIjlEEPS9_SE_NS0_5tupleIJPjSE_EEENSF_IJSE_SE_EEES9_SG_JZNS1_25segmented_radix_sort_implINS0_14default_configELb1EPKfPfPKlPlN2at6native12_GLOBAL__N_18offset_tEEE10hipError_tPvRmT1_PNSt15iterator_traitsISY_E10value_typeET2_T3_PNSZ_IS14_E10value_typeET4_jRbjT5_S1A_jjP12ihipStream_tbEUljE_EEESV_SW_SX_S14_S18_S1A_T6_T7_T9_mT8_S1C_bDpT10_ENKUlT_T0_E_clISt17integral_constantIbLb1EES1O_IbLb0EEEEDaS1K_S1L_EUlS1K_E_NS1_11comp_targetILNS1_3genE4ELNS1_11target_archE910ELNS1_3gpuE8ELNS1_3repE0EEENS1_30default_config_static_selectorELNS0_4arch9wavefront6targetE0EEEvSY_,"axG",@progbits,_ZN7rocprim17ROCPRIM_400000_NS6detail17trampoline_kernelINS0_13select_configILj256ELj13ELNS0_17block_load_methodE3ELS4_3ELS4_3ELNS0_20block_scan_algorithmE0ELj4294967295EEENS1_25partition_config_selectorILNS1_17partition_subalgoE3EjNS0_10empty_typeEbEEZZNS1_14partition_implILS8_3ELb0ES6_jNS0_17counting_iteratorIjlEEPS9_SE_NS0_5tupleIJPjSE_EEENSF_IJSE_SE_EEES9_SG_JZNS1_25segmented_radix_sort_implINS0_14default_configELb1EPKfPfPKlPlN2at6native12_GLOBAL__N_18offset_tEEE10hipError_tPvRmT1_PNSt15iterator_traitsISY_E10value_typeET2_T3_PNSZ_IS14_E10value_typeET4_jRbjT5_S1A_jjP12ihipStream_tbEUljE_EEESV_SW_SX_S14_S18_S1A_T6_T7_T9_mT8_S1C_bDpT10_ENKUlT_T0_E_clISt17integral_constantIbLb1EES1O_IbLb0EEEEDaS1K_S1L_EUlS1K_E_NS1_11comp_targetILNS1_3genE4ELNS1_11target_archE910ELNS1_3gpuE8ELNS1_3repE0EEENS1_30default_config_static_selectorELNS0_4arch9wavefront6targetE0EEEvSY_,comdat
	.globl	_ZN7rocprim17ROCPRIM_400000_NS6detail17trampoline_kernelINS0_13select_configILj256ELj13ELNS0_17block_load_methodE3ELS4_3ELS4_3ELNS0_20block_scan_algorithmE0ELj4294967295EEENS1_25partition_config_selectorILNS1_17partition_subalgoE3EjNS0_10empty_typeEbEEZZNS1_14partition_implILS8_3ELb0ES6_jNS0_17counting_iteratorIjlEEPS9_SE_NS0_5tupleIJPjSE_EEENSF_IJSE_SE_EEES9_SG_JZNS1_25segmented_radix_sort_implINS0_14default_configELb1EPKfPfPKlPlN2at6native12_GLOBAL__N_18offset_tEEE10hipError_tPvRmT1_PNSt15iterator_traitsISY_E10value_typeET2_T3_PNSZ_IS14_E10value_typeET4_jRbjT5_S1A_jjP12ihipStream_tbEUljE_EEESV_SW_SX_S14_S18_S1A_T6_T7_T9_mT8_S1C_bDpT10_ENKUlT_T0_E_clISt17integral_constantIbLb1EES1O_IbLb0EEEEDaS1K_S1L_EUlS1K_E_NS1_11comp_targetILNS1_3genE4ELNS1_11target_archE910ELNS1_3gpuE8ELNS1_3repE0EEENS1_30default_config_static_selectorELNS0_4arch9wavefront6targetE0EEEvSY_ ; -- Begin function _ZN7rocprim17ROCPRIM_400000_NS6detail17trampoline_kernelINS0_13select_configILj256ELj13ELNS0_17block_load_methodE3ELS4_3ELS4_3ELNS0_20block_scan_algorithmE0ELj4294967295EEENS1_25partition_config_selectorILNS1_17partition_subalgoE3EjNS0_10empty_typeEbEEZZNS1_14partition_implILS8_3ELb0ES6_jNS0_17counting_iteratorIjlEEPS9_SE_NS0_5tupleIJPjSE_EEENSF_IJSE_SE_EEES9_SG_JZNS1_25segmented_radix_sort_implINS0_14default_configELb1EPKfPfPKlPlN2at6native12_GLOBAL__N_18offset_tEEE10hipError_tPvRmT1_PNSt15iterator_traitsISY_E10value_typeET2_T3_PNSZ_IS14_E10value_typeET4_jRbjT5_S1A_jjP12ihipStream_tbEUljE_EEESV_SW_SX_S14_S18_S1A_T6_T7_T9_mT8_S1C_bDpT10_ENKUlT_T0_E_clISt17integral_constantIbLb1EES1O_IbLb0EEEEDaS1K_S1L_EUlS1K_E_NS1_11comp_targetILNS1_3genE4ELNS1_11target_archE910ELNS1_3gpuE8ELNS1_3repE0EEENS1_30default_config_static_selectorELNS0_4arch9wavefront6targetE0EEEvSY_
	.p2align	8
	.type	_ZN7rocprim17ROCPRIM_400000_NS6detail17trampoline_kernelINS0_13select_configILj256ELj13ELNS0_17block_load_methodE3ELS4_3ELS4_3ELNS0_20block_scan_algorithmE0ELj4294967295EEENS1_25partition_config_selectorILNS1_17partition_subalgoE3EjNS0_10empty_typeEbEEZZNS1_14partition_implILS8_3ELb0ES6_jNS0_17counting_iteratorIjlEEPS9_SE_NS0_5tupleIJPjSE_EEENSF_IJSE_SE_EEES9_SG_JZNS1_25segmented_radix_sort_implINS0_14default_configELb1EPKfPfPKlPlN2at6native12_GLOBAL__N_18offset_tEEE10hipError_tPvRmT1_PNSt15iterator_traitsISY_E10value_typeET2_T3_PNSZ_IS14_E10value_typeET4_jRbjT5_S1A_jjP12ihipStream_tbEUljE_EEESV_SW_SX_S14_S18_S1A_T6_T7_T9_mT8_S1C_bDpT10_ENKUlT_T0_E_clISt17integral_constantIbLb1EES1O_IbLb0EEEEDaS1K_S1L_EUlS1K_E_NS1_11comp_targetILNS1_3genE4ELNS1_11target_archE910ELNS1_3gpuE8ELNS1_3repE0EEENS1_30default_config_static_selectorELNS0_4arch9wavefront6targetE0EEEvSY_,@function
_ZN7rocprim17ROCPRIM_400000_NS6detail17trampoline_kernelINS0_13select_configILj256ELj13ELNS0_17block_load_methodE3ELS4_3ELS4_3ELNS0_20block_scan_algorithmE0ELj4294967295EEENS1_25partition_config_selectorILNS1_17partition_subalgoE3EjNS0_10empty_typeEbEEZZNS1_14partition_implILS8_3ELb0ES6_jNS0_17counting_iteratorIjlEEPS9_SE_NS0_5tupleIJPjSE_EEENSF_IJSE_SE_EEES9_SG_JZNS1_25segmented_radix_sort_implINS0_14default_configELb1EPKfPfPKlPlN2at6native12_GLOBAL__N_18offset_tEEE10hipError_tPvRmT1_PNSt15iterator_traitsISY_E10value_typeET2_T3_PNSZ_IS14_E10value_typeET4_jRbjT5_S1A_jjP12ihipStream_tbEUljE_EEESV_SW_SX_S14_S18_S1A_T6_T7_T9_mT8_S1C_bDpT10_ENKUlT_T0_E_clISt17integral_constantIbLb1EES1O_IbLb0EEEEDaS1K_S1L_EUlS1K_E_NS1_11comp_targetILNS1_3genE4ELNS1_11target_archE910ELNS1_3gpuE8ELNS1_3repE0EEENS1_30default_config_static_selectorELNS0_4arch9wavefront6targetE0EEEvSY_: ; @_ZN7rocprim17ROCPRIM_400000_NS6detail17trampoline_kernelINS0_13select_configILj256ELj13ELNS0_17block_load_methodE3ELS4_3ELS4_3ELNS0_20block_scan_algorithmE0ELj4294967295EEENS1_25partition_config_selectorILNS1_17partition_subalgoE3EjNS0_10empty_typeEbEEZZNS1_14partition_implILS8_3ELb0ES6_jNS0_17counting_iteratorIjlEEPS9_SE_NS0_5tupleIJPjSE_EEENSF_IJSE_SE_EEES9_SG_JZNS1_25segmented_radix_sort_implINS0_14default_configELb1EPKfPfPKlPlN2at6native12_GLOBAL__N_18offset_tEEE10hipError_tPvRmT1_PNSt15iterator_traitsISY_E10value_typeET2_T3_PNSZ_IS14_E10value_typeET4_jRbjT5_S1A_jjP12ihipStream_tbEUljE_EEESV_SW_SX_S14_S18_S1A_T6_T7_T9_mT8_S1C_bDpT10_ENKUlT_T0_E_clISt17integral_constantIbLb1EES1O_IbLb0EEEEDaS1K_S1L_EUlS1K_E_NS1_11comp_targetILNS1_3genE4ELNS1_11target_archE910ELNS1_3gpuE8ELNS1_3repE0EEENS1_30default_config_static_selectorELNS0_4arch9wavefront6targetE0EEEvSY_
; %bb.0:
	.section	.rodata,"a",@progbits
	.p2align	6, 0x0
	.amdhsa_kernel _ZN7rocprim17ROCPRIM_400000_NS6detail17trampoline_kernelINS0_13select_configILj256ELj13ELNS0_17block_load_methodE3ELS4_3ELS4_3ELNS0_20block_scan_algorithmE0ELj4294967295EEENS1_25partition_config_selectorILNS1_17partition_subalgoE3EjNS0_10empty_typeEbEEZZNS1_14partition_implILS8_3ELb0ES6_jNS0_17counting_iteratorIjlEEPS9_SE_NS0_5tupleIJPjSE_EEENSF_IJSE_SE_EEES9_SG_JZNS1_25segmented_radix_sort_implINS0_14default_configELb1EPKfPfPKlPlN2at6native12_GLOBAL__N_18offset_tEEE10hipError_tPvRmT1_PNSt15iterator_traitsISY_E10value_typeET2_T3_PNSZ_IS14_E10value_typeET4_jRbjT5_S1A_jjP12ihipStream_tbEUljE_EEESV_SW_SX_S14_S18_S1A_T6_T7_T9_mT8_S1C_bDpT10_ENKUlT_T0_E_clISt17integral_constantIbLb1EES1O_IbLb0EEEEDaS1K_S1L_EUlS1K_E_NS1_11comp_targetILNS1_3genE4ELNS1_11target_archE910ELNS1_3gpuE8ELNS1_3repE0EEENS1_30default_config_static_selectorELNS0_4arch9wavefront6targetE0EEEvSY_
		.amdhsa_group_segment_fixed_size 0
		.amdhsa_private_segment_fixed_size 0
		.amdhsa_kernarg_size 144
		.amdhsa_user_sgpr_count 15
		.amdhsa_user_sgpr_dispatch_ptr 0
		.amdhsa_user_sgpr_queue_ptr 0
		.amdhsa_user_sgpr_kernarg_segment_ptr 1
		.amdhsa_user_sgpr_dispatch_id 0
		.amdhsa_user_sgpr_private_segment_size 0
		.amdhsa_wavefront_size32 1
		.amdhsa_uses_dynamic_stack 0
		.amdhsa_enable_private_segment 0
		.amdhsa_system_sgpr_workgroup_id_x 1
		.amdhsa_system_sgpr_workgroup_id_y 0
		.amdhsa_system_sgpr_workgroup_id_z 0
		.amdhsa_system_sgpr_workgroup_info 0
		.amdhsa_system_vgpr_workitem_id 0
		.amdhsa_next_free_vgpr 1
		.amdhsa_next_free_sgpr 1
		.amdhsa_reserve_vcc 0
		.amdhsa_float_round_mode_32 0
		.amdhsa_float_round_mode_16_64 0
		.amdhsa_float_denorm_mode_32 3
		.amdhsa_float_denorm_mode_16_64 3
		.amdhsa_dx10_clamp 1
		.amdhsa_ieee_mode 1
		.amdhsa_fp16_overflow 0
		.amdhsa_workgroup_processor_mode 1
		.amdhsa_memory_ordered 1
		.amdhsa_forward_progress 0
		.amdhsa_shared_vgpr_count 0
		.amdhsa_exception_fp_ieee_invalid_op 0
		.amdhsa_exception_fp_denorm_src 0
		.amdhsa_exception_fp_ieee_div_zero 0
		.amdhsa_exception_fp_ieee_overflow 0
		.amdhsa_exception_fp_ieee_underflow 0
		.amdhsa_exception_fp_ieee_inexact 0
		.amdhsa_exception_int_div_zero 0
	.end_amdhsa_kernel
	.section	.text._ZN7rocprim17ROCPRIM_400000_NS6detail17trampoline_kernelINS0_13select_configILj256ELj13ELNS0_17block_load_methodE3ELS4_3ELS4_3ELNS0_20block_scan_algorithmE0ELj4294967295EEENS1_25partition_config_selectorILNS1_17partition_subalgoE3EjNS0_10empty_typeEbEEZZNS1_14partition_implILS8_3ELb0ES6_jNS0_17counting_iteratorIjlEEPS9_SE_NS0_5tupleIJPjSE_EEENSF_IJSE_SE_EEES9_SG_JZNS1_25segmented_radix_sort_implINS0_14default_configELb1EPKfPfPKlPlN2at6native12_GLOBAL__N_18offset_tEEE10hipError_tPvRmT1_PNSt15iterator_traitsISY_E10value_typeET2_T3_PNSZ_IS14_E10value_typeET4_jRbjT5_S1A_jjP12ihipStream_tbEUljE_EEESV_SW_SX_S14_S18_S1A_T6_T7_T9_mT8_S1C_bDpT10_ENKUlT_T0_E_clISt17integral_constantIbLb1EES1O_IbLb0EEEEDaS1K_S1L_EUlS1K_E_NS1_11comp_targetILNS1_3genE4ELNS1_11target_archE910ELNS1_3gpuE8ELNS1_3repE0EEENS1_30default_config_static_selectorELNS0_4arch9wavefront6targetE0EEEvSY_,"axG",@progbits,_ZN7rocprim17ROCPRIM_400000_NS6detail17trampoline_kernelINS0_13select_configILj256ELj13ELNS0_17block_load_methodE3ELS4_3ELS4_3ELNS0_20block_scan_algorithmE0ELj4294967295EEENS1_25partition_config_selectorILNS1_17partition_subalgoE3EjNS0_10empty_typeEbEEZZNS1_14partition_implILS8_3ELb0ES6_jNS0_17counting_iteratorIjlEEPS9_SE_NS0_5tupleIJPjSE_EEENSF_IJSE_SE_EEES9_SG_JZNS1_25segmented_radix_sort_implINS0_14default_configELb1EPKfPfPKlPlN2at6native12_GLOBAL__N_18offset_tEEE10hipError_tPvRmT1_PNSt15iterator_traitsISY_E10value_typeET2_T3_PNSZ_IS14_E10value_typeET4_jRbjT5_S1A_jjP12ihipStream_tbEUljE_EEESV_SW_SX_S14_S18_S1A_T6_T7_T9_mT8_S1C_bDpT10_ENKUlT_T0_E_clISt17integral_constantIbLb1EES1O_IbLb0EEEEDaS1K_S1L_EUlS1K_E_NS1_11comp_targetILNS1_3genE4ELNS1_11target_archE910ELNS1_3gpuE8ELNS1_3repE0EEENS1_30default_config_static_selectorELNS0_4arch9wavefront6targetE0EEEvSY_,comdat
.Lfunc_end1311:
	.size	_ZN7rocprim17ROCPRIM_400000_NS6detail17trampoline_kernelINS0_13select_configILj256ELj13ELNS0_17block_load_methodE3ELS4_3ELS4_3ELNS0_20block_scan_algorithmE0ELj4294967295EEENS1_25partition_config_selectorILNS1_17partition_subalgoE3EjNS0_10empty_typeEbEEZZNS1_14partition_implILS8_3ELb0ES6_jNS0_17counting_iteratorIjlEEPS9_SE_NS0_5tupleIJPjSE_EEENSF_IJSE_SE_EEES9_SG_JZNS1_25segmented_radix_sort_implINS0_14default_configELb1EPKfPfPKlPlN2at6native12_GLOBAL__N_18offset_tEEE10hipError_tPvRmT1_PNSt15iterator_traitsISY_E10value_typeET2_T3_PNSZ_IS14_E10value_typeET4_jRbjT5_S1A_jjP12ihipStream_tbEUljE_EEESV_SW_SX_S14_S18_S1A_T6_T7_T9_mT8_S1C_bDpT10_ENKUlT_T0_E_clISt17integral_constantIbLb1EES1O_IbLb0EEEEDaS1K_S1L_EUlS1K_E_NS1_11comp_targetILNS1_3genE4ELNS1_11target_archE910ELNS1_3gpuE8ELNS1_3repE0EEENS1_30default_config_static_selectorELNS0_4arch9wavefront6targetE0EEEvSY_, .Lfunc_end1311-_ZN7rocprim17ROCPRIM_400000_NS6detail17trampoline_kernelINS0_13select_configILj256ELj13ELNS0_17block_load_methodE3ELS4_3ELS4_3ELNS0_20block_scan_algorithmE0ELj4294967295EEENS1_25partition_config_selectorILNS1_17partition_subalgoE3EjNS0_10empty_typeEbEEZZNS1_14partition_implILS8_3ELb0ES6_jNS0_17counting_iteratorIjlEEPS9_SE_NS0_5tupleIJPjSE_EEENSF_IJSE_SE_EEES9_SG_JZNS1_25segmented_radix_sort_implINS0_14default_configELb1EPKfPfPKlPlN2at6native12_GLOBAL__N_18offset_tEEE10hipError_tPvRmT1_PNSt15iterator_traitsISY_E10value_typeET2_T3_PNSZ_IS14_E10value_typeET4_jRbjT5_S1A_jjP12ihipStream_tbEUljE_EEESV_SW_SX_S14_S18_S1A_T6_T7_T9_mT8_S1C_bDpT10_ENKUlT_T0_E_clISt17integral_constantIbLb1EES1O_IbLb0EEEEDaS1K_S1L_EUlS1K_E_NS1_11comp_targetILNS1_3genE4ELNS1_11target_archE910ELNS1_3gpuE8ELNS1_3repE0EEENS1_30default_config_static_selectorELNS0_4arch9wavefront6targetE0EEEvSY_
                                        ; -- End function
	.section	.AMDGPU.csdata,"",@progbits
; Kernel info:
; codeLenInByte = 0
; NumSgprs: 0
; NumVgprs: 0
; ScratchSize: 0
; MemoryBound: 0
; FloatMode: 240
; IeeeMode: 1
; LDSByteSize: 0 bytes/workgroup (compile time only)
; SGPRBlocks: 0
; VGPRBlocks: 0
; NumSGPRsForWavesPerEU: 1
; NumVGPRsForWavesPerEU: 1
; Occupancy: 16
; WaveLimiterHint : 0
; COMPUTE_PGM_RSRC2:SCRATCH_EN: 0
; COMPUTE_PGM_RSRC2:USER_SGPR: 15
; COMPUTE_PGM_RSRC2:TRAP_HANDLER: 0
; COMPUTE_PGM_RSRC2:TGID_X_EN: 1
; COMPUTE_PGM_RSRC2:TGID_Y_EN: 0
; COMPUTE_PGM_RSRC2:TGID_Z_EN: 0
; COMPUTE_PGM_RSRC2:TIDIG_COMP_CNT: 0
	.section	.text._ZN7rocprim17ROCPRIM_400000_NS6detail17trampoline_kernelINS0_13select_configILj256ELj13ELNS0_17block_load_methodE3ELS4_3ELS4_3ELNS0_20block_scan_algorithmE0ELj4294967295EEENS1_25partition_config_selectorILNS1_17partition_subalgoE3EjNS0_10empty_typeEbEEZZNS1_14partition_implILS8_3ELb0ES6_jNS0_17counting_iteratorIjlEEPS9_SE_NS0_5tupleIJPjSE_EEENSF_IJSE_SE_EEES9_SG_JZNS1_25segmented_radix_sort_implINS0_14default_configELb1EPKfPfPKlPlN2at6native12_GLOBAL__N_18offset_tEEE10hipError_tPvRmT1_PNSt15iterator_traitsISY_E10value_typeET2_T3_PNSZ_IS14_E10value_typeET4_jRbjT5_S1A_jjP12ihipStream_tbEUljE_EEESV_SW_SX_S14_S18_S1A_T6_T7_T9_mT8_S1C_bDpT10_ENKUlT_T0_E_clISt17integral_constantIbLb1EES1O_IbLb0EEEEDaS1K_S1L_EUlS1K_E_NS1_11comp_targetILNS1_3genE3ELNS1_11target_archE908ELNS1_3gpuE7ELNS1_3repE0EEENS1_30default_config_static_selectorELNS0_4arch9wavefront6targetE0EEEvSY_,"axG",@progbits,_ZN7rocprim17ROCPRIM_400000_NS6detail17trampoline_kernelINS0_13select_configILj256ELj13ELNS0_17block_load_methodE3ELS4_3ELS4_3ELNS0_20block_scan_algorithmE0ELj4294967295EEENS1_25partition_config_selectorILNS1_17partition_subalgoE3EjNS0_10empty_typeEbEEZZNS1_14partition_implILS8_3ELb0ES6_jNS0_17counting_iteratorIjlEEPS9_SE_NS0_5tupleIJPjSE_EEENSF_IJSE_SE_EEES9_SG_JZNS1_25segmented_radix_sort_implINS0_14default_configELb1EPKfPfPKlPlN2at6native12_GLOBAL__N_18offset_tEEE10hipError_tPvRmT1_PNSt15iterator_traitsISY_E10value_typeET2_T3_PNSZ_IS14_E10value_typeET4_jRbjT5_S1A_jjP12ihipStream_tbEUljE_EEESV_SW_SX_S14_S18_S1A_T6_T7_T9_mT8_S1C_bDpT10_ENKUlT_T0_E_clISt17integral_constantIbLb1EES1O_IbLb0EEEEDaS1K_S1L_EUlS1K_E_NS1_11comp_targetILNS1_3genE3ELNS1_11target_archE908ELNS1_3gpuE7ELNS1_3repE0EEENS1_30default_config_static_selectorELNS0_4arch9wavefront6targetE0EEEvSY_,comdat
	.globl	_ZN7rocprim17ROCPRIM_400000_NS6detail17trampoline_kernelINS0_13select_configILj256ELj13ELNS0_17block_load_methodE3ELS4_3ELS4_3ELNS0_20block_scan_algorithmE0ELj4294967295EEENS1_25partition_config_selectorILNS1_17partition_subalgoE3EjNS0_10empty_typeEbEEZZNS1_14partition_implILS8_3ELb0ES6_jNS0_17counting_iteratorIjlEEPS9_SE_NS0_5tupleIJPjSE_EEENSF_IJSE_SE_EEES9_SG_JZNS1_25segmented_radix_sort_implINS0_14default_configELb1EPKfPfPKlPlN2at6native12_GLOBAL__N_18offset_tEEE10hipError_tPvRmT1_PNSt15iterator_traitsISY_E10value_typeET2_T3_PNSZ_IS14_E10value_typeET4_jRbjT5_S1A_jjP12ihipStream_tbEUljE_EEESV_SW_SX_S14_S18_S1A_T6_T7_T9_mT8_S1C_bDpT10_ENKUlT_T0_E_clISt17integral_constantIbLb1EES1O_IbLb0EEEEDaS1K_S1L_EUlS1K_E_NS1_11comp_targetILNS1_3genE3ELNS1_11target_archE908ELNS1_3gpuE7ELNS1_3repE0EEENS1_30default_config_static_selectorELNS0_4arch9wavefront6targetE0EEEvSY_ ; -- Begin function _ZN7rocprim17ROCPRIM_400000_NS6detail17trampoline_kernelINS0_13select_configILj256ELj13ELNS0_17block_load_methodE3ELS4_3ELS4_3ELNS0_20block_scan_algorithmE0ELj4294967295EEENS1_25partition_config_selectorILNS1_17partition_subalgoE3EjNS0_10empty_typeEbEEZZNS1_14partition_implILS8_3ELb0ES6_jNS0_17counting_iteratorIjlEEPS9_SE_NS0_5tupleIJPjSE_EEENSF_IJSE_SE_EEES9_SG_JZNS1_25segmented_radix_sort_implINS0_14default_configELb1EPKfPfPKlPlN2at6native12_GLOBAL__N_18offset_tEEE10hipError_tPvRmT1_PNSt15iterator_traitsISY_E10value_typeET2_T3_PNSZ_IS14_E10value_typeET4_jRbjT5_S1A_jjP12ihipStream_tbEUljE_EEESV_SW_SX_S14_S18_S1A_T6_T7_T9_mT8_S1C_bDpT10_ENKUlT_T0_E_clISt17integral_constantIbLb1EES1O_IbLb0EEEEDaS1K_S1L_EUlS1K_E_NS1_11comp_targetILNS1_3genE3ELNS1_11target_archE908ELNS1_3gpuE7ELNS1_3repE0EEENS1_30default_config_static_selectorELNS0_4arch9wavefront6targetE0EEEvSY_
	.p2align	8
	.type	_ZN7rocprim17ROCPRIM_400000_NS6detail17trampoline_kernelINS0_13select_configILj256ELj13ELNS0_17block_load_methodE3ELS4_3ELS4_3ELNS0_20block_scan_algorithmE0ELj4294967295EEENS1_25partition_config_selectorILNS1_17partition_subalgoE3EjNS0_10empty_typeEbEEZZNS1_14partition_implILS8_3ELb0ES6_jNS0_17counting_iteratorIjlEEPS9_SE_NS0_5tupleIJPjSE_EEENSF_IJSE_SE_EEES9_SG_JZNS1_25segmented_radix_sort_implINS0_14default_configELb1EPKfPfPKlPlN2at6native12_GLOBAL__N_18offset_tEEE10hipError_tPvRmT1_PNSt15iterator_traitsISY_E10value_typeET2_T3_PNSZ_IS14_E10value_typeET4_jRbjT5_S1A_jjP12ihipStream_tbEUljE_EEESV_SW_SX_S14_S18_S1A_T6_T7_T9_mT8_S1C_bDpT10_ENKUlT_T0_E_clISt17integral_constantIbLb1EES1O_IbLb0EEEEDaS1K_S1L_EUlS1K_E_NS1_11comp_targetILNS1_3genE3ELNS1_11target_archE908ELNS1_3gpuE7ELNS1_3repE0EEENS1_30default_config_static_selectorELNS0_4arch9wavefront6targetE0EEEvSY_,@function
_ZN7rocprim17ROCPRIM_400000_NS6detail17trampoline_kernelINS0_13select_configILj256ELj13ELNS0_17block_load_methodE3ELS4_3ELS4_3ELNS0_20block_scan_algorithmE0ELj4294967295EEENS1_25partition_config_selectorILNS1_17partition_subalgoE3EjNS0_10empty_typeEbEEZZNS1_14partition_implILS8_3ELb0ES6_jNS0_17counting_iteratorIjlEEPS9_SE_NS0_5tupleIJPjSE_EEENSF_IJSE_SE_EEES9_SG_JZNS1_25segmented_radix_sort_implINS0_14default_configELb1EPKfPfPKlPlN2at6native12_GLOBAL__N_18offset_tEEE10hipError_tPvRmT1_PNSt15iterator_traitsISY_E10value_typeET2_T3_PNSZ_IS14_E10value_typeET4_jRbjT5_S1A_jjP12ihipStream_tbEUljE_EEESV_SW_SX_S14_S18_S1A_T6_T7_T9_mT8_S1C_bDpT10_ENKUlT_T0_E_clISt17integral_constantIbLb1EES1O_IbLb0EEEEDaS1K_S1L_EUlS1K_E_NS1_11comp_targetILNS1_3genE3ELNS1_11target_archE908ELNS1_3gpuE7ELNS1_3repE0EEENS1_30default_config_static_selectorELNS0_4arch9wavefront6targetE0EEEvSY_: ; @_ZN7rocprim17ROCPRIM_400000_NS6detail17trampoline_kernelINS0_13select_configILj256ELj13ELNS0_17block_load_methodE3ELS4_3ELS4_3ELNS0_20block_scan_algorithmE0ELj4294967295EEENS1_25partition_config_selectorILNS1_17partition_subalgoE3EjNS0_10empty_typeEbEEZZNS1_14partition_implILS8_3ELb0ES6_jNS0_17counting_iteratorIjlEEPS9_SE_NS0_5tupleIJPjSE_EEENSF_IJSE_SE_EEES9_SG_JZNS1_25segmented_radix_sort_implINS0_14default_configELb1EPKfPfPKlPlN2at6native12_GLOBAL__N_18offset_tEEE10hipError_tPvRmT1_PNSt15iterator_traitsISY_E10value_typeET2_T3_PNSZ_IS14_E10value_typeET4_jRbjT5_S1A_jjP12ihipStream_tbEUljE_EEESV_SW_SX_S14_S18_S1A_T6_T7_T9_mT8_S1C_bDpT10_ENKUlT_T0_E_clISt17integral_constantIbLb1EES1O_IbLb0EEEEDaS1K_S1L_EUlS1K_E_NS1_11comp_targetILNS1_3genE3ELNS1_11target_archE908ELNS1_3gpuE7ELNS1_3repE0EEENS1_30default_config_static_selectorELNS0_4arch9wavefront6targetE0EEEvSY_
; %bb.0:
	.section	.rodata,"a",@progbits
	.p2align	6, 0x0
	.amdhsa_kernel _ZN7rocprim17ROCPRIM_400000_NS6detail17trampoline_kernelINS0_13select_configILj256ELj13ELNS0_17block_load_methodE3ELS4_3ELS4_3ELNS0_20block_scan_algorithmE0ELj4294967295EEENS1_25partition_config_selectorILNS1_17partition_subalgoE3EjNS0_10empty_typeEbEEZZNS1_14partition_implILS8_3ELb0ES6_jNS0_17counting_iteratorIjlEEPS9_SE_NS0_5tupleIJPjSE_EEENSF_IJSE_SE_EEES9_SG_JZNS1_25segmented_radix_sort_implINS0_14default_configELb1EPKfPfPKlPlN2at6native12_GLOBAL__N_18offset_tEEE10hipError_tPvRmT1_PNSt15iterator_traitsISY_E10value_typeET2_T3_PNSZ_IS14_E10value_typeET4_jRbjT5_S1A_jjP12ihipStream_tbEUljE_EEESV_SW_SX_S14_S18_S1A_T6_T7_T9_mT8_S1C_bDpT10_ENKUlT_T0_E_clISt17integral_constantIbLb1EES1O_IbLb0EEEEDaS1K_S1L_EUlS1K_E_NS1_11comp_targetILNS1_3genE3ELNS1_11target_archE908ELNS1_3gpuE7ELNS1_3repE0EEENS1_30default_config_static_selectorELNS0_4arch9wavefront6targetE0EEEvSY_
		.amdhsa_group_segment_fixed_size 0
		.amdhsa_private_segment_fixed_size 0
		.amdhsa_kernarg_size 144
		.amdhsa_user_sgpr_count 15
		.amdhsa_user_sgpr_dispatch_ptr 0
		.amdhsa_user_sgpr_queue_ptr 0
		.amdhsa_user_sgpr_kernarg_segment_ptr 1
		.amdhsa_user_sgpr_dispatch_id 0
		.amdhsa_user_sgpr_private_segment_size 0
		.amdhsa_wavefront_size32 1
		.amdhsa_uses_dynamic_stack 0
		.amdhsa_enable_private_segment 0
		.amdhsa_system_sgpr_workgroup_id_x 1
		.amdhsa_system_sgpr_workgroup_id_y 0
		.amdhsa_system_sgpr_workgroup_id_z 0
		.amdhsa_system_sgpr_workgroup_info 0
		.amdhsa_system_vgpr_workitem_id 0
		.amdhsa_next_free_vgpr 1
		.amdhsa_next_free_sgpr 1
		.amdhsa_reserve_vcc 0
		.amdhsa_float_round_mode_32 0
		.amdhsa_float_round_mode_16_64 0
		.amdhsa_float_denorm_mode_32 3
		.amdhsa_float_denorm_mode_16_64 3
		.amdhsa_dx10_clamp 1
		.amdhsa_ieee_mode 1
		.amdhsa_fp16_overflow 0
		.amdhsa_workgroup_processor_mode 1
		.amdhsa_memory_ordered 1
		.amdhsa_forward_progress 0
		.amdhsa_shared_vgpr_count 0
		.amdhsa_exception_fp_ieee_invalid_op 0
		.amdhsa_exception_fp_denorm_src 0
		.amdhsa_exception_fp_ieee_div_zero 0
		.amdhsa_exception_fp_ieee_overflow 0
		.amdhsa_exception_fp_ieee_underflow 0
		.amdhsa_exception_fp_ieee_inexact 0
		.amdhsa_exception_int_div_zero 0
	.end_amdhsa_kernel
	.section	.text._ZN7rocprim17ROCPRIM_400000_NS6detail17trampoline_kernelINS0_13select_configILj256ELj13ELNS0_17block_load_methodE3ELS4_3ELS4_3ELNS0_20block_scan_algorithmE0ELj4294967295EEENS1_25partition_config_selectorILNS1_17partition_subalgoE3EjNS0_10empty_typeEbEEZZNS1_14partition_implILS8_3ELb0ES6_jNS0_17counting_iteratorIjlEEPS9_SE_NS0_5tupleIJPjSE_EEENSF_IJSE_SE_EEES9_SG_JZNS1_25segmented_radix_sort_implINS0_14default_configELb1EPKfPfPKlPlN2at6native12_GLOBAL__N_18offset_tEEE10hipError_tPvRmT1_PNSt15iterator_traitsISY_E10value_typeET2_T3_PNSZ_IS14_E10value_typeET4_jRbjT5_S1A_jjP12ihipStream_tbEUljE_EEESV_SW_SX_S14_S18_S1A_T6_T7_T9_mT8_S1C_bDpT10_ENKUlT_T0_E_clISt17integral_constantIbLb1EES1O_IbLb0EEEEDaS1K_S1L_EUlS1K_E_NS1_11comp_targetILNS1_3genE3ELNS1_11target_archE908ELNS1_3gpuE7ELNS1_3repE0EEENS1_30default_config_static_selectorELNS0_4arch9wavefront6targetE0EEEvSY_,"axG",@progbits,_ZN7rocprim17ROCPRIM_400000_NS6detail17trampoline_kernelINS0_13select_configILj256ELj13ELNS0_17block_load_methodE3ELS4_3ELS4_3ELNS0_20block_scan_algorithmE0ELj4294967295EEENS1_25partition_config_selectorILNS1_17partition_subalgoE3EjNS0_10empty_typeEbEEZZNS1_14partition_implILS8_3ELb0ES6_jNS0_17counting_iteratorIjlEEPS9_SE_NS0_5tupleIJPjSE_EEENSF_IJSE_SE_EEES9_SG_JZNS1_25segmented_radix_sort_implINS0_14default_configELb1EPKfPfPKlPlN2at6native12_GLOBAL__N_18offset_tEEE10hipError_tPvRmT1_PNSt15iterator_traitsISY_E10value_typeET2_T3_PNSZ_IS14_E10value_typeET4_jRbjT5_S1A_jjP12ihipStream_tbEUljE_EEESV_SW_SX_S14_S18_S1A_T6_T7_T9_mT8_S1C_bDpT10_ENKUlT_T0_E_clISt17integral_constantIbLb1EES1O_IbLb0EEEEDaS1K_S1L_EUlS1K_E_NS1_11comp_targetILNS1_3genE3ELNS1_11target_archE908ELNS1_3gpuE7ELNS1_3repE0EEENS1_30default_config_static_selectorELNS0_4arch9wavefront6targetE0EEEvSY_,comdat
.Lfunc_end1312:
	.size	_ZN7rocprim17ROCPRIM_400000_NS6detail17trampoline_kernelINS0_13select_configILj256ELj13ELNS0_17block_load_methodE3ELS4_3ELS4_3ELNS0_20block_scan_algorithmE0ELj4294967295EEENS1_25partition_config_selectorILNS1_17partition_subalgoE3EjNS0_10empty_typeEbEEZZNS1_14partition_implILS8_3ELb0ES6_jNS0_17counting_iteratorIjlEEPS9_SE_NS0_5tupleIJPjSE_EEENSF_IJSE_SE_EEES9_SG_JZNS1_25segmented_radix_sort_implINS0_14default_configELb1EPKfPfPKlPlN2at6native12_GLOBAL__N_18offset_tEEE10hipError_tPvRmT1_PNSt15iterator_traitsISY_E10value_typeET2_T3_PNSZ_IS14_E10value_typeET4_jRbjT5_S1A_jjP12ihipStream_tbEUljE_EEESV_SW_SX_S14_S18_S1A_T6_T7_T9_mT8_S1C_bDpT10_ENKUlT_T0_E_clISt17integral_constantIbLb1EES1O_IbLb0EEEEDaS1K_S1L_EUlS1K_E_NS1_11comp_targetILNS1_3genE3ELNS1_11target_archE908ELNS1_3gpuE7ELNS1_3repE0EEENS1_30default_config_static_selectorELNS0_4arch9wavefront6targetE0EEEvSY_, .Lfunc_end1312-_ZN7rocprim17ROCPRIM_400000_NS6detail17trampoline_kernelINS0_13select_configILj256ELj13ELNS0_17block_load_methodE3ELS4_3ELS4_3ELNS0_20block_scan_algorithmE0ELj4294967295EEENS1_25partition_config_selectorILNS1_17partition_subalgoE3EjNS0_10empty_typeEbEEZZNS1_14partition_implILS8_3ELb0ES6_jNS0_17counting_iteratorIjlEEPS9_SE_NS0_5tupleIJPjSE_EEENSF_IJSE_SE_EEES9_SG_JZNS1_25segmented_radix_sort_implINS0_14default_configELb1EPKfPfPKlPlN2at6native12_GLOBAL__N_18offset_tEEE10hipError_tPvRmT1_PNSt15iterator_traitsISY_E10value_typeET2_T3_PNSZ_IS14_E10value_typeET4_jRbjT5_S1A_jjP12ihipStream_tbEUljE_EEESV_SW_SX_S14_S18_S1A_T6_T7_T9_mT8_S1C_bDpT10_ENKUlT_T0_E_clISt17integral_constantIbLb1EES1O_IbLb0EEEEDaS1K_S1L_EUlS1K_E_NS1_11comp_targetILNS1_3genE3ELNS1_11target_archE908ELNS1_3gpuE7ELNS1_3repE0EEENS1_30default_config_static_selectorELNS0_4arch9wavefront6targetE0EEEvSY_
                                        ; -- End function
	.section	.AMDGPU.csdata,"",@progbits
; Kernel info:
; codeLenInByte = 0
; NumSgprs: 0
; NumVgprs: 0
; ScratchSize: 0
; MemoryBound: 0
; FloatMode: 240
; IeeeMode: 1
; LDSByteSize: 0 bytes/workgroup (compile time only)
; SGPRBlocks: 0
; VGPRBlocks: 0
; NumSGPRsForWavesPerEU: 1
; NumVGPRsForWavesPerEU: 1
; Occupancy: 16
; WaveLimiterHint : 0
; COMPUTE_PGM_RSRC2:SCRATCH_EN: 0
; COMPUTE_PGM_RSRC2:USER_SGPR: 15
; COMPUTE_PGM_RSRC2:TRAP_HANDLER: 0
; COMPUTE_PGM_RSRC2:TGID_X_EN: 1
; COMPUTE_PGM_RSRC2:TGID_Y_EN: 0
; COMPUTE_PGM_RSRC2:TGID_Z_EN: 0
; COMPUTE_PGM_RSRC2:TIDIG_COMP_CNT: 0
	.section	.text._ZN7rocprim17ROCPRIM_400000_NS6detail17trampoline_kernelINS0_13select_configILj256ELj13ELNS0_17block_load_methodE3ELS4_3ELS4_3ELNS0_20block_scan_algorithmE0ELj4294967295EEENS1_25partition_config_selectorILNS1_17partition_subalgoE3EjNS0_10empty_typeEbEEZZNS1_14partition_implILS8_3ELb0ES6_jNS0_17counting_iteratorIjlEEPS9_SE_NS0_5tupleIJPjSE_EEENSF_IJSE_SE_EEES9_SG_JZNS1_25segmented_radix_sort_implINS0_14default_configELb1EPKfPfPKlPlN2at6native12_GLOBAL__N_18offset_tEEE10hipError_tPvRmT1_PNSt15iterator_traitsISY_E10value_typeET2_T3_PNSZ_IS14_E10value_typeET4_jRbjT5_S1A_jjP12ihipStream_tbEUljE_EEESV_SW_SX_S14_S18_S1A_T6_T7_T9_mT8_S1C_bDpT10_ENKUlT_T0_E_clISt17integral_constantIbLb1EES1O_IbLb0EEEEDaS1K_S1L_EUlS1K_E_NS1_11comp_targetILNS1_3genE2ELNS1_11target_archE906ELNS1_3gpuE6ELNS1_3repE0EEENS1_30default_config_static_selectorELNS0_4arch9wavefront6targetE0EEEvSY_,"axG",@progbits,_ZN7rocprim17ROCPRIM_400000_NS6detail17trampoline_kernelINS0_13select_configILj256ELj13ELNS0_17block_load_methodE3ELS4_3ELS4_3ELNS0_20block_scan_algorithmE0ELj4294967295EEENS1_25partition_config_selectorILNS1_17partition_subalgoE3EjNS0_10empty_typeEbEEZZNS1_14partition_implILS8_3ELb0ES6_jNS0_17counting_iteratorIjlEEPS9_SE_NS0_5tupleIJPjSE_EEENSF_IJSE_SE_EEES9_SG_JZNS1_25segmented_radix_sort_implINS0_14default_configELb1EPKfPfPKlPlN2at6native12_GLOBAL__N_18offset_tEEE10hipError_tPvRmT1_PNSt15iterator_traitsISY_E10value_typeET2_T3_PNSZ_IS14_E10value_typeET4_jRbjT5_S1A_jjP12ihipStream_tbEUljE_EEESV_SW_SX_S14_S18_S1A_T6_T7_T9_mT8_S1C_bDpT10_ENKUlT_T0_E_clISt17integral_constantIbLb1EES1O_IbLb0EEEEDaS1K_S1L_EUlS1K_E_NS1_11comp_targetILNS1_3genE2ELNS1_11target_archE906ELNS1_3gpuE6ELNS1_3repE0EEENS1_30default_config_static_selectorELNS0_4arch9wavefront6targetE0EEEvSY_,comdat
	.globl	_ZN7rocprim17ROCPRIM_400000_NS6detail17trampoline_kernelINS0_13select_configILj256ELj13ELNS0_17block_load_methodE3ELS4_3ELS4_3ELNS0_20block_scan_algorithmE0ELj4294967295EEENS1_25partition_config_selectorILNS1_17partition_subalgoE3EjNS0_10empty_typeEbEEZZNS1_14partition_implILS8_3ELb0ES6_jNS0_17counting_iteratorIjlEEPS9_SE_NS0_5tupleIJPjSE_EEENSF_IJSE_SE_EEES9_SG_JZNS1_25segmented_radix_sort_implINS0_14default_configELb1EPKfPfPKlPlN2at6native12_GLOBAL__N_18offset_tEEE10hipError_tPvRmT1_PNSt15iterator_traitsISY_E10value_typeET2_T3_PNSZ_IS14_E10value_typeET4_jRbjT5_S1A_jjP12ihipStream_tbEUljE_EEESV_SW_SX_S14_S18_S1A_T6_T7_T9_mT8_S1C_bDpT10_ENKUlT_T0_E_clISt17integral_constantIbLb1EES1O_IbLb0EEEEDaS1K_S1L_EUlS1K_E_NS1_11comp_targetILNS1_3genE2ELNS1_11target_archE906ELNS1_3gpuE6ELNS1_3repE0EEENS1_30default_config_static_selectorELNS0_4arch9wavefront6targetE0EEEvSY_ ; -- Begin function _ZN7rocprim17ROCPRIM_400000_NS6detail17trampoline_kernelINS0_13select_configILj256ELj13ELNS0_17block_load_methodE3ELS4_3ELS4_3ELNS0_20block_scan_algorithmE0ELj4294967295EEENS1_25partition_config_selectorILNS1_17partition_subalgoE3EjNS0_10empty_typeEbEEZZNS1_14partition_implILS8_3ELb0ES6_jNS0_17counting_iteratorIjlEEPS9_SE_NS0_5tupleIJPjSE_EEENSF_IJSE_SE_EEES9_SG_JZNS1_25segmented_radix_sort_implINS0_14default_configELb1EPKfPfPKlPlN2at6native12_GLOBAL__N_18offset_tEEE10hipError_tPvRmT1_PNSt15iterator_traitsISY_E10value_typeET2_T3_PNSZ_IS14_E10value_typeET4_jRbjT5_S1A_jjP12ihipStream_tbEUljE_EEESV_SW_SX_S14_S18_S1A_T6_T7_T9_mT8_S1C_bDpT10_ENKUlT_T0_E_clISt17integral_constantIbLb1EES1O_IbLb0EEEEDaS1K_S1L_EUlS1K_E_NS1_11comp_targetILNS1_3genE2ELNS1_11target_archE906ELNS1_3gpuE6ELNS1_3repE0EEENS1_30default_config_static_selectorELNS0_4arch9wavefront6targetE0EEEvSY_
	.p2align	8
	.type	_ZN7rocprim17ROCPRIM_400000_NS6detail17trampoline_kernelINS0_13select_configILj256ELj13ELNS0_17block_load_methodE3ELS4_3ELS4_3ELNS0_20block_scan_algorithmE0ELj4294967295EEENS1_25partition_config_selectorILNS1_17partition_subalgoE3EjNS0_10empty_typeEbEEZZNS1_14partition_implILS8_3ELb0ES6_jNS0_17counting_iteratorIjlEEPS9_SE_NS0_5tupleIJPjSE_EEENSF_IJSE_SE_EEES9_SG_JZNS1_25segmented_radix_sort_implINS0_14default_configELb1EPKfPfPKlPlN2at6native12_GLOBAL__N_18offset_tEEE10hipError_tPvRmT1_PNSt15iterator_traitsISY_E10value_typeET2_T3_PNSZ_IS14_E10value_typeET4_jRbjT5_S1A_jjP12ihipStream_tbEUljE_EEESV_SW_SX_S14_S18_S1A_T6_T7_T9_mT8_S1C_bDpT10_ENKUlT_T0_E_clISt17integral_constantIbLb1EES1O_IbLb0EEEEDaS1K_S1L_EUlS1K_E_NS1_11comp_targetILNS1_3genE2ELNS1_11target_archE906ELNS1_3gpuE6ELNS1_3repE0EEENS1_30default_config_static_selectorELNS0_4arch9wavefront6targetE0EEEvSY_,@function
_ZN7rocprim17ROCPRIM_400000_NS6detail17trampoline_kernelINS0_13select_configILj256ELj13ELNS0_17block_load_methodE3ELS4_3ELS4_3ELNS0_20block_scan_algorithmE0ELj4294967295EEENS1_25partition_config_selectorILNS1_17partition_subalgoE3EjNS0_10empty_typeEbEEZZNS1_14partition_implILS8_3ELb0ES6_jNS0_17counting_iteratorIjlEEPS9_SE_NS0_5tupleIJPjSE_EEENSF_IJSE_SE_EEES9_SG_JZNS1_25segmented_radix_sort_implINS0_14default_configELb1EPKfPfPKlPlN2at6native12_GLOBAL__N_18offset_tEEE10hipError_tPvRmT1_PNSt15iterator_traitsISY_E10value_typeET2_T3_PNSZ_IS14_E10value_typeET4_jRbjT5_S1A_jjP12ihipStream_tbEUljE_EEESV_SW_SX_S14_S18_S1A_T6_T7_T9_mT8_S1C_bDpT10_ENKUlT_T0_E_clISt17integral_constantIbLb1EES1O_IbLb0EEEEDaS1K_S1L_EUlS1K_E_NS1_11comp_targetILNS1_3genE2ELNS1_11target_archE906ELNS1_3gpuE6ELNS1_3repE0EEENS1_30default_config_static_selectorELNS0_4arch9wavefront6targetE0EEEvSY_: ; @_ZN7rocprim17ROCPRIM_400000_NS6detail17trampoline_kernelINS0_13select_configILj256ELj13ELNS0_17block_load_methodE3ELS4_3ELS4_3ELNS0_20block_scan_algorithmE0ELj4294967295EEENS1_25partition_config_selectorILNS1_17partition_subalgoE3EjNS0_10empty_typeEbEEZZNS1_14partition_implILS8_3ELb0ES6_jNS0_17counting_iteratorIjlEEPS9_SE_NS0_5tupleIJPjSE_EEENSF_IJSE_SE_EEES9_SG_JZNS1_25segmented_radix_sort_implINS0_14default_configELb1EPKfPfPKlPlN2at6native12_GLOBAL__N_18offset_tEEE10hipError_tPvRmT1_PNSt15iterator_traitsISY_E10value_typeET2_T3_PNSZ_IS14_E10value_typeET4_jRbjT5_S1A_jjP12ihipStream_tbEUljE_EEESV_SW_SX_S14_S18_S1A_T6_T7_T9_mT8_S1C_bDpT10_ENKUlT_T0_E_clISt17integral_constantIbLb1EES1O_IbLb0EEEEDaS1K_S1L_EUlS1K_E_NS1_11comp_targetILNS1_3genE2ELNS1_11target_archE906ELNS1_3gpuE6ELNS1_3repE0EEENS1_30default_config_static_selectorELNS0_4arch9wavefront6targetE0EEEvSY_
; %bb.0:
	.section	.rodata,"a",@progbits
	.p2align	6, 0x0
	.amdhsa_kernel _ZN7rocprim17ROCPRIM_400000_NS6detail17trampoline_kernelINS0_13select_configILj256ELj13ELNS0_17block_load_methodE3ELS4_3ELS4_3ELNS0_20block_scan_algorithmE0ELj4294967295EEENS1_25partition_config_selectorILNS1_17partition_subalgoE3EjNS0_10empty_typeEbEEZZNS1_14partition_implILS8_3ELb0ES6_jNS0_17counting_iteratorIjlEEPS9_SE_NS0_5tupleIJPjSE_EEENSF_IJSE_SE_EEES9_SG_JZNS1_25segmented_radix_sort_implINS0_14default_configELb1EPKfPfPKlPlN2at6native12_GLOBAL__N_18offset_tEEE10hipError_tPvRmT1_PNSt15iterator_traitsISY_E10value_typeET2_T3_PNSZ_IS14_E10value_typeET4_jRbjT5_S1A_jjP12ihipStream_tbEUljE_EEESV_SW_SX_S14_S18_S1A_T6_T7_T9_mT8_S1C_bDpT10_ENKUlT_T0_E_clISt17integral_constantIbLb1EES1O_IbLb0EEEEDaS1K_S1L_EUlS1K_E_NS1_11comp_targetILNS1_3genE2ELNS1_11target_archE906ELNS1_3gpuE6ELNS1_3repE0EEENS1_30default_config_static_selectorELNS0_4arch9wavefront6targetE0EEEvSY_
		.amdhsa_group_segment_fixed_size 0
		.amdhsa_private_segment_fixed_size 0
		.amdhsa_kernarg_size 144
		.amdhsa_user_sgpr_count 15
		.amdhsa_user_sgpr_dispatch_ptr 0
		.amdhsa_user_sgpr_queue_ptr 0
		.amdhsa_user_sgpr_kernarg_segment_ptr 1
		.amdhsa_user_sgpr_dispatch_id 0
		.amdhsa_user_sgpr_private_segment_size 0
		.amdhsa_wavefront_size32 1
		.amdhsa_uses_dynamic_stack 0
		.amdhsa_enable_private_segment 0
		.amdhsa_system_sgpr_workgroup_id_x 1
		.amdhsa_system_sgpr_workgroup_id_y 0
		.amdhsa_system_sgpr_workgroup_id_z 0
		.amdhsa_system_sgpr_workgroup_info 0
		.amdhsa_system_vgpr_workitem_id 0
		.amdhsa_next_free_vgpr 1
		.amdhsa_next_free_sgpr 1
		.amdhsa_reserve_vcc 0
		.amdhsa_float_round_mode_32 0
		.amdhsa_float_round_mode_16_64 0
		.amdhsa_float_denorm_mode_32 3
		.amdhsa_float_denorm_mode_16_64 3
		.amdhsa_dx10_clamp 1
		.amdhsa_ieee_mode 1
		.amdhsa_fp16_overflow 0
		.amdhsa_workgroup_processor_mode 1
		.amdhsa_memory_ordered 1
		.amdhsa_forward_progress 0
		.amdhsa_shared_vgpr_count 0
		.amdhsa_exception_fp_ieee_invalid_op 0
		.amdhsa_exception_fp_denorm_src 0
		.amdhsa_exception_fp_ieee_div_zero 0
		.amdhsa_exception_fp_ieee_overflow 0
		.amdhsa_exception_fp_ieee_underflow 0
		.amdhsa_exception_fp_ieee_inexact 0
		.amdhsa_exception_int_div_zero 0
	.end_amdhsa_kernel
	.section	.text._ZN7rocprim17ROCPRIM_400000_NS6detail17trampoline_kernelINS0_13select_configILj256ELj13ELNS0_17block_load_methodE3ELS4_3ELS4_3ELNS0_20block_scan_algorithmE0ELj4294967295EEENS1_25partition_config_selectorILNS1_17partition_subalgoE3EjNS0_10empty_typeEbEEZZNS1_14partition_implILS8_3ELb0ES6_jNS0_17counting_iteratorIjlEEPS9_SE_NS0_5tupleIJPjSE_EEENSF_IJSE_SE_EEES9_SG_JZNS1_25segmented_radix_sort_implINS0_14default_configELb1EPKfPfPKlPlN2at6native12_GLOBAL__N_18offset_tEEE10hipError_tPvRmT1_PNSt15iterator_traitsISY_E10value_typeET2_T3_PNSZ_IS14_E10value_typeET4_jRbjT5_S1A_jjP12ihipStream_tbEUljE_EEESV_SW_SX_S14_S18_S1A_T6_T7_T9_mT8_S1C_bDpT10_ENKUlT_T0_E_clISt17integral_constantIbLb1EES1O_IbLb0EEEEDaS1K_S1L_EUlS1K_E_NS1_11comp_targetILNS1_3genE2ELNS1_11target_archE906ELNS1_3gpuE6ELNS1_3repE0EEENS1_30default_config_static_selectorELNS0_4arch9wavefront6targetE0EEEvSY_,"axG",@progbits,_ZN7rocprim17ROCPRIM_400000_NS6detail17trampoline_kernelINS0_13select_configILj256ELj13ELNS0_17block_load_methodE3ELS4_3ELS4_3ELNS0_20block_scan_algorithmE0ELj4294967295EEENS1_25partition_config_selectorILNS1_17partition_subalgoE3EjNS0_10empty_typeEbEEZZNS1_14partition_implILS8_3ELb0ES6_jNS0_17counting_iteratorIjlEEPS9_SE_NS0_5tupleIJPjSE_EEENSF_IJSE_SE_EEES9_SG_JZNS1_25segmented_radix_sort_implINS0_14default_configELb1EPKfPfPKlPlN2at6native12_GLOBAL__N_18offset_tEEE10hipError_tPvRmT1_PNSt15iterator_traitsISY_E10value_typeET2_T3_PNSZ_IS14_E10value_typeET4_jRbjT5_S1A_jjP12ihipStream_tbEUljE_EEESV_SW_SX_S14_S18_S1A_T6_T7_T9_mT8_S1C_bDpT10_ENKUlT_T0_E_clISt17integral_constantIbLb1EES1O_IbLb0EEEEDaS1K_S1L_EUlS1K_E_NS1_11comp_targetILNS1_3genE2ELNS1_11target_archE906ELNS1_3gpuE6ELNS1_3repE0EEENS1_30default_config_static_selectorELNS0_4arch9wavefront6targetE0EEEvSY_,comdat
.Lfunc_end1313:
	.size	_ZN7rocprim17ROCPRIM_400000_NS6detail17trampoline_kernelINS0_13select_configILj256ELj13ELNS0_17block_load_methodE3ELS4_3ELS4_3ELNS0_20block_scan_algorithmE0ELj4294967295EEENS1_25partition_config_selectorILNS1_17partition_subalgoE3EjNS0_10empty_typeEbEEZZNS1_14partition_implILS8_3ELb0ES6_jNS0_17counting_iteratorIjlEEPS9_SE_NS0_5tupleIJPjSE_EEENSF_IJSE_SE_EEES9_SG_JZNS1_25segmented_radix_sort_implINS0_14default_configELb1EPKfPfPKlPlN2at6native12_GLOBAL__N_18offset_tEEE10hipError_tPvRmT1_PNSt15iterator_traitsISY_E10value_typeET2_T3_PNSZ_IS14_E10value_typeET4_jRbjT5_S1A_jjP12ihipStream_tbEUljE_EEESV_SW_SX_S14_S18_S1A_T6_T7_T9_mT8_S1C_bDpT10_ENKUlT_T0_E_clISt17integral_constantIbLb1EES1O_IbLb0EEEEDaS1K_S1L_EUlS1K_E_NS1_11comp_targetILNS1_3genE2ELNS1_11target_archE906ELNS1_3gpuE6ELNS1_3repE0EEENS1_30default_config_static_selectorELNS0_4arch9wavefront6targetE0EEEvSY_, .Lfunc_end1313-_ZN7rocprim17ROCPRIM_400000_NS6detail17trampoline_kernelINS0_13select_configILj256ELj13ELNS0_17block_load_methodE3ELS4_3ELS4_3ELNS0_20block_scan_algorithmE0ELj4294967295EEENS1_25partition_config_selectorILNS1_17partition_subalgoE3EjNS0_10empty_typeEbEEZZNS1_14partition_implILS8_3ELb0ES6_jNS0_17counting_iteratorIjlEEPS9_SE_NS0_5tupleIJPjSE_EEENSF_IJSE_SE_EEES9_SG_JZNS1_25segmented_radix_sort_implINS0_14default_configELb1EPKfPfPKlPlN2at6native12_GLOBAL__N_18offset_tEEE10hipError_tPvRmT1_PNSt15iterator_traitsISY_E10value_typeET2_T3_PNSZ_IS14_E10value_typeET4_jRbjT5_S1A_jjP12ihipStream_tbEUljE_EEESV_SW_SX_S14_S18_S1A_T6_T7_T9_mT8_S1C_bDpT10_ENKUlT_T0_E_clISt17integral_constantIbLb1EES1O_IbLb0EEEEDaS1K_S1L_EUlS1K_E_NS1_11comp_targetILNS1_3genE2ELNS1_11target_archE906ELNS1_3gpuE6ELNS1_3repE0EEENS1_30default_config_static_selectorELNS0_4arch9wavefront6targetE0EEEvSY_
                                        ; -- End function
	.section	.AMDGPU.csdata,"",@progbits
; Kernel info:
; codeLenInByte = 0
; NumSgprs: 0
; NumVgprs: 0
; ScratchSize: 0
; MemoryBound: 0
; FloatMode: 240
; IeeeMode: 1
; LDSByteSize: 0 bytes/workgroup (compile time only)
; SGPRBlocks: 0
; VGPRBlocks: 0
; NumSGPRsForWavesPerEU: 1
; NumVGPRsForWavesPerEU: 1
; Occupancy: 16
; WaveLimiterHint : 0
; COMPUTE_PGM_RSRC2:SCRATCH_EN: 0
; COMPUTE_PGM_RSRC2:USER_SGPR: 15
; COMPUTE_PGM_RSRC2:TRAP_HANDLER: 0
; COMPUTE_PGM_RSRC2:TGID_X_EN: 1
; COMPUTE_PGM_RSRC2:TGID_Y_EN: 0
; COMPUTE_PGM_RSRC2:TGID_Z_EN: 0
; COMPUTE_PGM_RSRC2:TIDIG_COMP_CNT: 0
	.section	.text._ZN7rocprim17ROCPRIM_400000_NS6detail17trampoline_kernelINS0_13select_configILj256ELj13ELNS0_17block_load_methodE3ELS4_3ELS4_3ELNS0_20block_scan_algorithmE0ELj4294967295EEENS1_25partition_config_selectorILNS1_17partition_subalgoE3EjNS0_10empty_typeEbEEZZNS1_14partition_implILS8_3ELb0ES6_jNS0_17counting_iteratorIjlEEPS9_SE_NS0_5tupleIJPjSE_EEENSF_IJSE_SE_EEES9_SG_JZNS1_25segmented_radix_sort_implINS0_14default_configELb1EPKfPfPKlPlN2at6native12_GLOBAL__N_18offset_tEEE10hipError_tPvRmT1_PNSt15iterator_traitsISY_E10value_typeET2_T3_PNSZ_IS14_E10value_typeET4_jRbjT5_S1A_jjP12ihipStream_tbEUljE_EEESV_SW_SX_S14_S18_S1A_T6_T7_T9_mT8_S1C_bDpT10_ENKUlT_T0_E_clISt17integral_constantIbLb1EES1O_IbLb0EEEEDaS1K_S1L_EUlS1K_E_NS1_11comp_targetILNS1_3genE10ELNS1_11target_archE1200ELNS1_3gpuE4ELNS1_3repE0EEENS1_30default_config_static_selectorELNS0_4arch9wavefront6targetE0EEEvSY_,"axG",@progbits,_ZN7rocprim17ROCPRIM_400000_NS6detail17trampoline_kernelINS0_13select_configILj256ELj13ELNS0_17block_load_methodE3ELS4_3ELS4_3ELNS0_20block_scan_algorithmE0ELj4294967295EEENS1_25partition_config_selectorILNS1_17partition_subalgoE3EjNS0_10empty_typeEbEEZZNS1_14partition_implILS8_3ELb0ES6_jNS0_17counting_iteratorIjlEEPS9_SE_NS0_5tupleIJPjSE_EEENSF_IJSE_SE_EEES9_SG_JZNS1_25segmented_radix_sort_implINS0_14default_configELb1EPKfPfPKlPlN2at6native12_GLOBAL__N_18offset_tEEE10hipError_tPvRmT1_PNSt15iterator_traitsISY_E10value_typeET2_T3_PNSZ_IS14_E10value_typeET4_jRbjT5_S1A_jjP12ihipStream_tbEUljE_EEESV_SW_SX_S14_S18_S1A_T6_T7_T9_mT8_S1C_bDpT10_ENKUlT_T0_E_clISt17integral_constantIbLb1EES1O_IbLb0EEEEDaS1K_S1L_EUlS1K_E_NS1_11comp_targetILNS1_3genE10ELNS1_11target_archE1200ELNS1_3gpuE4ELNS1_3repE0EEENS1_30default_config_static_selectorELNS0_4arch9wavefront6targetE0EEEvSY_,comdat
	.globl	_ZN7rocprim17ROCPRIM_400000_NS6detail17trampoline_kernelINS0_13select_configILj256ELj13ELNS0_17block_load_methodE3ELS4_3ELS4_3ELNS0_20block_scan_algorithmE0ELj4294967295EEENS1_25partition_config_selectorILNS1_17partition_subalgoE3EjNS0_10empty_typeEbEEZZNS1_14partition_implILS8_3ELb0ES6_jNS0_17counting_iteratorIjlEEPS9_SE_NS0_5tupleIJPjSE_EEENSF_IJSE_SE_EEES9_SG_JZNS1_25segmented_radix_sort_implINS0_14default_configELb1EPKfPfPKlPlN2at6native12_GLOBAL__N_18offset_tEEE10hipError_tPvRmT1_PNSt15iterator_traitsISY_E10value_typeET2_T3_PNSZ_IS14_E10value_typeET4_jRbjT5_S1A_jjP12ihipStream_tbEUljE_EEESV_SW_SX_S14_S18_S1A_T6_T7_T9_mT8_S1C_bDpT10_ENKUlT_T0_E_clISt17integral_constantIbLb1EES1O_IbLb0EEEEDaS1K_S1L_EUlS1K_E_NS1_11comp_targetILNS1_3genE10ELNS1_11target_archE1200ELNS1_3gpuE4ELNS1_3repE0EEENS1_30default_config_static_selectorELNS0_4arch9wavefront6targetE0EEEvSY_ ; -- Begin function _ZN7rocprim17ROCPRIM_400000_NS6detail17trampoline_kernelINS0_13select_configILj256ELj13ELNS0_17block_load_methodE3ELS4_3ELS4_3ELNS0_20block_scan_algorithmE0ELj4294967295EEENS1_25partition_config_selectorILNS1_17partition_subalgoE3EjNS0_10empty_typeEbEEZZNS1_14partition_implILS8_3ELb0ES6_jNS0_17counting_iteratorIjlEEPS9_SE_NS0_5tupleIJPjSE_EEENSF_IJSE_SE_EEES9_SG_JZNS1_25segmented_radix_sort_implINS0_14default_configELb1EPKfPfPKlPlN2at6native12_GLOBAL__N_18offset_tEEE10hipError_tPvRmT1_PNSt15iterator_traitsISY_E10value_typeET2_T3_PNSZ_IS14_E10value_typeET4_jRbjT5_S1A_jjP12ihipStream_tbEUljE_EEESV_SW_SX_S14_S18_S1A_T6_T7_T9_mT8_S1C_bDpT10_ENKUlT_T0_E_clISt17integral_constantIbLb1EES1O_IbLb0EEEEDaS1K_S1L_EUlS1K_E_NS1_11comp_targetILNS1_3genE10ELNS1_11target_archE1200ELNS1_3gpuE4ELNS1_3repE0EEENS1_30default_config_static_selectorELNS0_4arch9wavefront6targetE0EEEvSY_
	.p2align	8
	.type	_ZN7rocprim17ROCPRIM_400000_NS6detail17trampoline_kernelINS0_13select_configILj256ELj13ELNS0_17block_load_methodE3ELS4_3ELS4_3ELNS0_20block_scan_algorithmE0ELj4294967295EEENS1_25partition_config_selectorILNS1_17partition_subalgoE3EjNS0_10empty_typeEbEEZZNS1_14partition_implILS8_3ELb0ES6_jNS0_17counting_iteratorIjlEEPS9_SE_NS0_5tupleIJPjSE_EEENSF_IJSE_SE_EEES9_SG_JZNS1_25segmented_radix_sort_implINS0_14default_configELb1EPKfPfPKlPlN2at6native12_GLOBAL__N_18offset_tEEE10hipError_tPvRmT1_PNSt15iterator_traitsISY_E10value_typeET2_T3_PNSZ_IS14_E10value_typeET4_jRbjT5_S1A_jjP12ihipStream_tbEUljE_EEESV_SW_SX_S14_S18_S1A_T6_T7_T9_mT8_S1C_bDpT10_ENKUlT_T0_E_clISt17integral_constantIbLb1EES1O_IbLb0EEEEDaS1K_S1L_EUlS1K_E_NS1_11comp_targetILNS1_3genE10ELNS1_11target_archE1200ELNS1_3gpuE4ELNS1_3repE0EEENS1_30default_config_static_selectorELNS0_4arch9wavefront6targetE0EEEvSY_,@function
_ZN7rocprim17ROCPRIM_400000_NS6detail17trampoline_kernelINS0_13select_configILj256ELj13ELNS0_17block_load_methodE3ELS4_3ELS4_3ELNS0_20block_scan_algorithmE0ELj4294967295EEENS1_25partition_config_selectorILNS1_17partition_subalgoE3EjNS0_10empty_typeEbEEZZNS1_14partition_implILS8_3ELb0ES6_jNS0_17counting_iteratorIjlEEPS9_SE_NS0_5tupleIJPjSE_EEENSF_IJSE_SE_EEES9_SG_JZNS1_25segmented_radix_sort_implINS0_14default_configELb1EPKfPfPKlPlN2at6native12_GLOBAL__N_18offset_tEEE10hipError_tPvRmT1_PNSt15iterator_traitsISY_E10value_typeET2_T3_PNSZ_IS14_E10value_typeET4_jRbjT5_S1A_jjP12ihipStream_tbEUljE_EEESV_SW_SX_S14_S18_S1A_T6_T7_T9_mT8_S1C_bDpT10_ENKUlT_T0_E_clISt17integral_constantIbLb1EES1O_IbLb0EEEEDaS1K_S1L_EUlS1K_E_NS1_11comp_targetILNS1_3genE10ELNS1_11target_archE1200ELNS1_3gpuE4ELNS1_3repE0EEENS1_30default_config_static_selectorELNS0_4arch9wavefront6targetE0EEEvSY_: ; @_ZN7rocprim17ROCPRIM_400000_NS6detail17trampoline_kernelINS0_13select_configILj256ELj13ELNS0_17block_load_methodE3ELS4_3ELS4_3ELNS0_20block_scan_algorithmE0ELj4294967295EEENS1_25partition_config_selectorILNS1_17partition_subalgoE3EjNS0_10empty_typeEbEEZZNS1_14partition_implILS8_3ELb0ES6_jNS0_17counting_iteratorIjlEEPS9_SE_NS0_5tupleIJPjSE_EEENSF_IJSE_SE_EEES9_SG_JZNS1_25segmented_radix_sort_implINS0_14default_configELb1EPKfPfPKlPlN2at6native12_GLOBAL__N_18offset_tEEE10hipError_tPvRmT1_PNSt15iterator_traitsISY_E10value_typeET2_T3_PNSZ_IS14_E10value_typeET4_jRbjT5_S1A_jjP12ihipStream_tbEUljE_EEESV_SW_SX_S14_S18_S1A_T6_T7_T9_mT8_S1C_bDpT10_ENKUlT_T0_E_clISt17integral_constantIbLb1EES1O_IbLb0EEEEDaS1K_S1L_EUlS1K_E_NS1_11comp_targetILNS1_3genE10ELNS1_11target_archE1200ELNS1_3gpuE4ELNS1_3repE0EEENS1_30default_config_static_selectorELNS0_4arch9wavefront6targetE0EEEvSY_
; %bb.0:
	.section	.rodata,"a",@progbits
	.p2align	6, 0x0
	.amdhsa_kernel _ZN7rocprim17ROCPRIM_400000_NS6detail17trampoline_kernelINS0_13select_configILj256ELj13ELNS0_17block_load_methodE3ELS4_3ELS4_3ELNS0_20block_scan_algorithmE0ELj4294967295EEENS1_25partition_config_selectorILNS1_17partition_subalgoE3EjNS0_10empty_typeEbEEZZNS1_14partition_implILS8_3ELb0ES6_jNS0_17counting_iteratorIjlEEPS9_SE_NS0_5tupleIJPjSE_EEENSF_IJSE_SE_EEES9_SG_JZNS1_25segmented_radix_sort_implINS0_14default_configELb1EPKfPfPKlPlN2at6native12_GLOBAL__N_18offset_tEEE10hipError_tPvRmT1_PNSt15iterator_traitsISY_E10value_typeET2_T3_PNSZ_IS14_E10value_typeET4_jRbjT5_S1A_jjP12ihipStream_tbEUljE_EEESV_SW_SX_S14_S18_S1A_T6_T7_T9_mT8_S1C_bDpT10_ENKUlT_T0_E_clISt17integral_constantIbLb1EES1O_IbLb0EEEEDaS1K_S1L_EUlS1K_E_NS1_11comp_targetILNS1_3genE10ELNS1_11target_archE1200ELNS1_3gpuE4ELNS1_3repE0EEENS1_30default_config_static_selectorELNS0_4arch9wavefront6targetE0EEEvSY_
		.amdhsa_group_segment_fixed_size 0
		.amdhsa_private_segment_fixed_size 0
		.amdhsa_kernarg_size 144
		.amdhsa_user_sgpr_count 15
		.amdhsa_user_sgpr_dispatch_ptr 0
		.amdhsa_user_sgpr_queue_ptr 0
		.amdhsa_user_sgpr_kernarg_segment_ptr 1
		.amdhsa_user_sgpr_dispatch_id 0
		.amdhsa_user_sgpr_private_segment_size 0
		.amdhsa_wavefront_size32 1
		.amdhsa_uses_dynamic_stack 0
		.amdhsa_enable_private_segment 0
		.amdhsa_system_sgpr_workgroup_id_x 1
		.amdhsa_system_sgpr_workgroup_id_y 0
		.amdhsa_system_sgpr_workgroup_id_z 0
		.amdhsa_system_sgpr_workgroup_info 0
		.amdhsa_system_vgpr_workitem_id 0
		.amdhsa_next_free_vgpr 1
		.amdhsa_next_free_sgpr 1
		.amdhsa_reserve_vcc 0
		.amdhsa_float_round_mode_32 0
		.amdhsa_float_round_mode_16_64 0
		.amdhsa_float_denorm_mode_32 3
		.amdhsa_float_denorm_mode_16_64 3
		.amdhsa_dx10_clamp 1
		.amdhsa_ieee_mode 1
		.amdhsa_fp16_overflow 0
		.amdhsa_workgroup_processor_mode 1
		.amdhsa_memory_ordered 1
		.amdhsa_forward_progress 0
		.amdhsa_shared_vgpr_count 0
		.amdhsa_exception_fp_ieee_invalid_op 0
		.amdhsa_exception_fp_denorm_src 0
		.amdhsa_exception_fp_ieee_div_zero 0
		.amdhsa_exception_fp_ieee_overflow 0
		.amdhsa_exception_fp_ieee_underflow 0
		.amdhsa_exception_fp_ieee_inexact 0
		.amdhsa_exception_int_div_zero 0
	.end_amdhsa_kernel
	.section	.text._ZN7rocprim17ROCPRIM_400000_NS6detail17trampoline_kernelINS0_13select_configILj256ELj13ELNS0_17block_load_methodE3ELS4_3ELS4_3ELNS0_20block_scan_algorithmE0ELj4294967295EEENS1_25partition_config_selectorILNS1_17partition_subalgoE3EjNS0_10empty_typeEbEEZZNS1_14partition_implILS8_3ELb0ES6_jNS0_17counting_iteratorIjlEEPS9_SE_NS0_5tupleIJPjSE_EEENSF_IJSE_SE_EEES9_SG_JZNS1_25segmented_radix_sort_implINS0_14default_configELb1EPKfPfPKlPlN2at6native12_GLOBAL__N_18offset_tEEE10hipError_tPvRmT1_PNSt15iterator_traitsISY_E10value_typeET2_T3_PNSZ_IS14_E10value_typeET4_jRbjT5_S1A_jjP12ihipStream_tbEUljE_EEESV_SW_SX_S14_S18_S1A_T6_T7_T9_mT8_S1C_bDpT10_ENKUlT_T0_E_clISt17integral_constantIbLb1EES1O_IbLb0EEEEDaS1K_S1L_EUlS1K_E_NS1_11comp_targetILNS1_3genE10ELNS1_11target_archE1200ELNS1_3gpuE4ELNS1_3repE0EEENS1_30default_config_static_selectorELNS0_4arch9wavefront6targetE0EEEvSY_,"axG",@progbits,_ZN7rocprim17ROCPRIM_400000_NS6detail17trampoline_kernelINS0_13select_configILj256ELj13ELNS0_17block_load_methodE3ELS4_3ELS4_3ELNS0_20block_scan_algorithmE0ELj4294967295EEENS1_25partition_config_selectorILNS1_17partition_subalgoE3EjNS0_10empty_typeEbEEZZNS1_14partition_implILS8_3ELb0ES6_jNS0_17counting_iteratorIjlEEPS9_SE_NS0_5tupleIJPjSE_EEENSF_IJSE_SE_EEES9_SG_JZNS1_25segmented_radix_sort_implINS0_14default_configELb1EPKfPfPKlPlN2at6native12_GLOBAL__N_18offset_tEEE10hipError_tPvRmT1_PNSt15iterator_traitsISY_E10value_typeET2_T3_PNSZ_IS14_E10value_typeET4_jRbjT5_S1A_jjP12ihipStream_tbEUljE_EEESV_SW_SX_S14_S18_S1A_T6_T7_T9_mT8_S1C_bDpT10_ENKUlT_T0_E_clISt17integral_constantIbLb1EES1O_IbLb0EEEEDaS1K_S1L_EUlS1K_E_NS1_11comp_targetILNS1_3genE10ELNS1_11target_archE1200ELNS1_3gpuE4ELNS1_3repE0EEENS1_30default_config_static_selectorELNS0_4arch9wavefront6targetE0EEEvSY_,comdat
.Lfunc_end1314:
	.size	_ZN7rocprim17ROCPRIM_400000_NS6detail17trampoline_kernelINS0_13select_configILj256ELj13ELNS0_17block_load_methodE3ELS4_3ELS4_3ELNS0_20block_scan_algorithmE0ELj4294967295EEENS1_25partition_config_selectorILNS1_17partition_subalgoE3EjNS0_10empty_typeEbEEZZNS1_14partition_implILS8_3ELb0ES6_jNS0_17counting_iteratorIjlEEPS9_SE_NS0_5tupleIJPjSE_EEENSF_IJSE_SE_EEES9_SG_JZNS1_25segmented_radix_sort_implINS0_14default_configELb1EPKfPfPKlPlN2at6native12_GLOBAL__N_18offset_tEEE10hipError_tPvRmT1_PNSt15iterator_traitsISY_E10value_typeET2_T3_PNSZ_IS14_E10value_typeET4_jRbjT5_S1A_jjP12ihipStream_tbEUljE_EEESV_SW_SX_S14_S18_S1A_T6_T7_T9_mT8_S1C_bDpT10_ENKUlT_T0_E_clISt17integral_constantIbLb1EES1O_IbLb0EEEEDaS1K_S1L_EUlS1K_E_NS1_11comp_targetILNS1_3genE10ELNS1_11target_archE1200ELNS1_3gpuE4ELNS1_3repE0EEENS1_30default_config_static_selectorELNS0_4arch9wavefront6targetE0EEEvSY_, .Lfunc_end1314-_ZN7rocprim17ROCPRIM_400000_NS6detail17trampoline_kernelINS0_13select_configILj256ELj13ELNS0_17block_load_methodE3ELS4_3ELS4_3ELNS0_20block_scan_algorithmE0ELj4294967295EEENS1_25partition_config_selectorILNS1_17partition_subalgoE3EjNS0_10empty_typeEbEEZZNS1_14partition_implILS8_3ELb0ES6_jNS0_17counting_iteratorIjlEEPS9_SE_NS0_5tupleIJPjSE_EEENSF_IJSE_SE_EEES9_SG_JZNS1_25segmented_radix_sort_implINS0_14default_configELb1EPKfPfPKlPlN2at6native12_GLOBAL__N_18offset_tEEE10hipError_tPvRmT1_PNSt15iterator_traitsISY_E10value_typeET2_T3_PNSZ_IS14_E10value_typeET4_jRbjT5_S1A_jjP12ihipStream_tbEUljE_EEESV_SW_SX_S14_S18_S1A_T6_T7_T9_mT8_S1C_bDpT10_ENKUlT_T0_E_clISt17integral_constantIbLb1EES1O_IbLb0EEEEDaS1K_S1L_EUlS1K_E_NS1_11comp_targetILNS1_3genE10ELNS1_11target_archE1200ELNS1_3gpuE4ELNS1_3repE0EEENS1_30default_config_static_selectorELNS0_4arch9wavefront6targetE0EEEvSY_
                                        ; -- End function
	.section	.AMDGPU.csdata,"",@progbits
; Kernel info:
; codeLenInByte = 0
; NumSgprs: 0
; NumVgprs: 0
; ScratchSize: 0
; MemoryBound: 0
; FloatMode: 240
; IeeeMode: 1
; LDSByteSize: 0 bytes/workgroup (compile time only)
; SGPRBlocks: 0
; VGPRBlocks: 0
; NumSGPRsForWavesPerEU: 1
; NumVGPRsForWavesPerEU: 1
; Occupancy: 16
; WaveLimiterHint : 0
; COMPUTE_PGM_RSRC2:SCRATCH_EN: 0
; COMPUTE_PGM_RSRC2:USER_SGPR: 15
; COMPUTE_PGM_RSRC2:TRAP_HANDLER: 0
; COMPUTE_PGM_RSRC2:TGID_X_EN: 1
; COMPUTE_PGM_RSRC2:TGID_Y_EN: 0
; COMPUTE_PGM_RSRC2:TGID_Z_EN: 0
; COMPUTE_PGM_RSRC2:TIDIG_COMP_CNT: 0
	.section	.text._ZN7rocprim17ROCPRIM_400000_NS6detail17trampoline_kernelINS0_13select_configILj256ELj13ELNS0_17block_load_methodE3ELS4_3ELS4_3ELNS0_20block_scan_algorithmE0ELj4294967295EEENS1_25partition_config_selectorILNS1_17partition_subalgoE3EjNS0_10empty_typeEbEEZZNS1_14partition_implILS8_3ELb0ES6_jNS0_17counting_iteratorIjlEEPS9_SE_NS0_5tupleIJPjSE_EEENSF_IJSE_SE_EEES9_SG_JZNS1_25segmented_radix_sort_implINS0_14default_configELb1EPKfPfPKlPlN2at6native12_GLOBAL__N_18offset_tEEE10hipError_tPvRmT1_PNSt15iterator_traitsISY_E10value_typeET2_T3_PNSZ_IS14_E10value_typeET4_jRbjT5_S1A_jjP12ihipStream_tbEUljE_EEESV_SW_SX_S14_S18_S1A_T6_T7_T9_mT8_S1C_bDpT10_ENKUlT_T0_E_clISt17integral_constantIbLb1EES1O_IbLb0EEEEDaS1K_S1L_EUlS1K_E_NS1_11comp_targetILNS1_3genE9ELNS1_11target_archE1100ELNS1_3gpuE3ELNS1_3repE0EEENS1_30default_config_static_selectorELNS0_4arch9wavefront6targetE0EEEvSY_,"axG",@progbits,_ZN7rocprim17ROCPRIM_400000_NS6detail17trampoline_kernelINS0_13select_configILj256ELj13ELNS0_17block_load_methodE3ELS4_3ELS4_3ELNS0_20block_scan_algorithmE0ELj4294967295EEENS1_25partition_config_selectorILNS1_17partition_subalgoE3EjNS0_10empty_typeEbEEZZNS1_14partition_implILS8_3ELb0ES6_jNS0_17counting_iteratorIjlEEPS9_SE_NS0_5tupleIJPjSE_EEENSF_IJSE_SE_EEES9_SG_JZNS1_25segmented_radix_sort_implINS0_14default_configELb1EPKfPfPKlPlN2at6native12_GLOBAL__N_18offset_tEEE10hipError_tPvRmT1_PNSt15iterator_traitsISY_E10value_typeET2_T3_PNSZ_IS14_E10value_typeET4_jRbjT5_S1A_jjP12ihipStream_tbEUljE_EEESV_SW_SX_S14_S18_S1A_T6_T7_T9_mT8_S1C_bDpT10_ENKUlT_T0_E_clISt17integral_constantIbLb1EES1O_IbLb0EEEEDaS1K_S1L_EUlS1K_E_NS1_11comp_targetILNS1_3genE9ELNS1_11target_archE1100ELNS1_3gpuE3ELNS1_3repE0EEENS1_30default_config_static_selectorELNS0_4arch9wavefront6targetE0EEEvSY_,comdat
	.globl	_ZN7rocprim17ROCPRIM_400000_NS6detail17trampoline_kernelINS0_13select_configILj256ELj13ELNS0_17block_load_methodE3ELS4_3ELS4_3ELNS0_20block_scan_algorithmE0ELj4294967295EEENS1_25partition_config_selectorILNS1_17partition_subalgoE3EjNS0_10empty_typeEbEEZZNS1_14partition_implILS8_3ELb0ES6_jNS0_17counting_iteratorIjlEEPS9_SE_NS0_5tupleIJPjSE_EEENSF_IJSE_SE_EEES9_SG_JZNS1_25segmented_radix_sort_implINS0_14default_configELb1EPKfPfPKlPlN2at6native12_GLOBAL__N_18offset_tEEE10hipError_tPvRmT1_PNSt15iterator_traitsISY_E10value_typeET2_T3_PNSZ_IS14_E10value_typeET4_jRbjT5_S1A_jjP12ihipStream_tbEUljE_EEESV_SW_SX_S14_S18_S1A_T6_T7_T9_mT8_S1C_bDpT10_ENKUlT_T0_E_clISt17integral_constantIbLb1EES1O_IbLb0EEEEDaS1K_S1L_EUlS1K_E_NS1_11comp_targetILNS1_3genE9ELNS1_11target_archE1100ELNS1_3gpuE3ELNS1_3repE0EEENS1_30default_config_static_selectorELNS0_4arch9wavefront6targetE0EEEvSY_ ; -- Begin function _ZN7rocprim17ROCPRIM_400000_NS6detail17trampoline_kernelINS0_13select_configILj256ELj13ELNS0_17block_load_methodE3ELS4_3ELS4_3ELNS0_20block_scan_algorithmE0ELj4294967295EEENS1_25partition_config_selectorILNS1_17partition_subalgoE3EjNS0_10empty_typeEbEEZZNS1_14partition_implILS8_3ELb0ES6_jNS0_17counting_iteratorIjlEEPS9_SE_NS0_5tupleIJPjSE_EEENSF_IJSE_SE_EEES9_SG_JZNS1_25segmented_radix_sort_implINS0_14default_configELb1EPKfPfPKlPlN2at6native12_GLOBAL__N_18offset_tEEE10hipError_tPvRmT1_PNSt15iterator_traitsISY_E10value_typeET2_T3_PNSZ_IS14_E10value_typeET4_jRbjT5_S1A_jjP12ihipStream_tbEUljE_EEESV_SW_SX_S14_S18_S1A_T6_T7_T9_mT8_S1C_bDpT10_ENKUlT_T0_E_clISt17integral_constantIbLb1EES1O_IbLb0EEEEDaS1K_S1L_EUlS1K_E_NS1_11comp_targetILNS1_3genE9ELNS1_11target_archE1100ELNS1_3gpuE3ELNS1_3repE0EEENS1_30default_config_static_selectorELNS0_4arch9wavefront6targetE0EEEvSY_
	.p2align	8
	.type	_ZN7rocprim17ROCPRIM_400000_NS6detail17trampoline_kernelINS0_13select_configILj256ELj13ELNS0_17block_load_methodE3ELS4_3ELS4_3ELNS0_20block_scan_algorithmE0ELj4294967295EEENS1_25partition_config_selectorILNS1_17partition_subalgoE3EjNS0_10empty_typeEbEEZZNS1_14partition_implILS8_3ELb0ES6_jNS0_17counting_iteratorIjlEEPS9_SE_NS0_5tupleIJPjSE_EEENSF_IJSE_SE_EEES9_SG_JZNS1_25segmented_radix_sort_implINS0_14default_configELb1EPKfPfPKlPlN2at6native12_GLOBAL__N_18offset_tEEE10hipError_tPvRmT1_PNSt15iterator_traitsISY_E10value_typeET2_T3_PNSZ_IS14_E10value_typeET4_jRbjT5_S1A_jjP12ihipStream_tbEUljE_EEESV_SW_SX_S14_S18_S1A_T6_T7_T9_mT8_S1C_bDpT10_ENKUlT_T0_E_clISt17integral_constantIbLb1EES1O_IbLb0EEEEDaS1K_S1L_EUlS1K_E_NS1_11comp_targetILNS1_3genE9ELNS1_11target_archE1100ELNS1_3gpuE3ELNS1_3repE0EEENS1_30default_config_static_selectorELNS0_4arch9wavefront6targetE0EEEvSY_,@function
_ZN7rocprim17ROCPRIM_400000_NS6detail17trampoline_kernelINS0_13select_configILj256ELj13ELNS0_17block_load_methodE3ELS4_3ELS4_3ELNS0_20block_scan_algorithmE0ELj4294967295EEENS1_25partition_config_selectorILNS1_17partition_subalgoE3EjNS0_10empty_typeEbEEZZNS1_14partition_implILS8_3ELb0ES6_jNS0_17counting_iteratorIjlEEPS9_SE_NS0_5tupleIJPjSE_EEENSF_IJSE_SE_EEES9_SG_JZNS1_25segmented_radix_sort_implINS0_14default_configELb1EPKfPfPKlPlN2at6native12_GLOBAL__N_18offset_tEEE10hipError_tPvRmT1_PNSt15iterator_traitsISY_E10value_typeET2_T3_PNSZ_IS14_E10value_typeET4_jRbjT5_S1A_jjP12ihipStream_tbEUljE_EEESV_SW_SX_S14_S18_S1A_T6_T7_T9_mT8_S1C_bDpT10_ENKUlT_T0_E_clISt17integral_constantIbLb1EES1O_IbLb0EEEEDaS1K_S1L_EUlS1K_E_NS1_11comp_targetILNS1_3genE9ELNS1_11target_archE1100ELNS1_3gpuE3ELNS1_3repE0EEENS1_30default_config_static_selectorELNS0_4arch9wavefront6targetE0EEEvSY_: ; @_ZN7rocprim17ROCPRIM_400000_NS6detail17trampoline_kernelINS0_13select_configILj256ELj13ELNS0_17block_load_methodE3ELS4_3ELS4_3ELNS0_20block_scan_algorithmE0ELj4294967295EEENS1_25partition_config_selectorILNS1_17partition_subalgoE3EjNS0_10empty_typeEbEEZZNS1_14partition_implILS8_3ELb0ES6_jNS0_17counting_iteratorIjlEEPS9_SE_NS0_5tupleIJPjSE_EEENSF_IJSE_SE_EEES9_SG_JZNS1_25segmented_radix_sort_implINS0_14default_configELb1EPKfPfPKlPlN2at6native12_GLOBAL__N_18offset_tEEE10hipError_tPvRmT1_PNSt15iterator_traitsISY_E10value_typeET2_T3_PNSZ_IS14_E10value_typeET4_jRbjT5_S1A_jjP12ihipStream_tbEUljE_EEESV_SW_SX_S14_S18_S1A_T6_T7_T9_mT8_S1C_bDpT10_ENKUlT_T0_E_clISt17integral_constantIbLb1EES1O_IbLb0EEEEDaS1K_S1L_EUlS1K_E_NS1_11comp_targetILNS1_3genE9ELNS1_11target_archE1100ELNS1_3gpuE3ELNS1_3repE0EEENS1_30default_config_static_selectorELNS0_4arch9wavefront6targetE0EEEvSY_
; %bb.0:
	s_clause 0x5
	s_load_b32 s2, s[0:1], 0x70
	s_load_b64 s[16:17], s[0:1], 0x10
	s_load_b64 s[12:13], s[0:1], 0x58
	s_load_b32 s18, s[0:1], 0x8
	s_load_b128 s[8:11], s[0:1], 0x48
	s_load_b128 s[4:7], s[0:1], 0x78
	s_mul_i32 s23, s15, 0xd00
	v_lshlrev_b32_e32 v30, 2, v0
	s_waitcnt lgkmcnt(0)
	s_mul_i32 s20, s2, 0xd00
	s_add_i32 s19, s2, -1
	s_add_u32 s2, s16, s20
	s_addc_u32 s3, s17, 0
	s_cmp_eq_u32 s15, s19
	v_cmp_lt_u64_e64 s3, s[2:3], s[12:13]
	s_cselect_b32 s14, -1, 0
	s_cmp_lg_u32 s15, s19
	s_cselect_b32 s21, -1, 0
	s_add_i32 s2, s18, s23
	s_delay_alu instid0(VALU_DEP_1)
	s_or_b32 s3, s21, s3
	s_add_i32 s18, s2, s16
	s_load_b32 s2, s[0:1], 0x88
	v_add_nc_u32_e32 v1, s18, v0
	s_load_b64 s[18:19], s[10:11], 0x0
	s_and_b32 vcc_lo, exec_lo, s3
	s_mov_b32 s10, -1
	s_delay_alu instid0(VALU_DEP_1)
	v_add_nc_u32_e32 v2, 0x100, v1
	v_add_nc_u32_e32 v3, 0x200, v1
	;; [unrolled: 1-line block ×12, first 2 shown]
	s_cbranch_vccz .LBB1315_2
; %bb.1:
	ds_store_2addr_stride64_b32 v30, v1, v2 offset1:4
	ds_store_2addr_stride64_b32 v30, v3, v4 offset0:8 offset1:12
	ds_store_2addr_stride64_b32 v30, v5, v6 offset0:16 offset1:20
	;; [unrolled: 1-line block ×5, first 2 shown]
	ds_store_b32 v30, v13 offset:12288
	s_waitcnt lgkmcnt(0)
	s_mov_b32 s10, 0
	s_barrier
.LBB1315_2:
	s_and_not1_b32 vcc_lo, exec_lo, s10
	s_add_i32 s20, s20, s16
	s_cbranch_vccnz .LBB1315_4
; %bb.3:
	ds_store_2addr_stride64_b32 v30, v1, v2 offset1:4
	ds_store_2addr_stride64_b32 v30, v3, v4 offset0:8 offset1:12
	ds_store_2addr_stride64_b32 v30, v5, v6 offset0:16 offset1:20
	;; [unrolled: 1-line block ×5, first 2 shown]
	ds_store_b32 v30, v13 offset:12288
	s_waitcnt lgkmcnt(0)
	s_barrier
.LBB1315_4:
	v_mul_u32_u24_e32 v33, 13, v0
	s_waitcnt lgkmcnt(0)
	buffer_gl0_inv
	v_cndmask_b32_e64 v31, 0, 1, s3
	s_sub_i32 s22, s12, s20
	s_and_not1_b32 vcc_lo, exec_lo, s3
	v_lshlrev_b32_e32 v1, 2, v33
	ds_load_2addr_b32 v[28:29], v1 offset1:1
	ds_load_2addr_b32 v[26:27], v1 offset0:2 offset1:3
	ds_load_2addr_b32 v[24:25], v1 offset0:4 offset1:5
	;; [unrolled: 1-line block ×5, first 2 shown]
	ds_load_b32 v32, v1 offset:48
	s_waitcnt lgkmcnt(0)
	s_barrier
	buffer_gl0_inv
	s_cbranch_vccnz .LBB1315_6
; %bb.5:
	v_add_nc_u32_e32 v1, s5, v28
	v_add_nc_u32_e32 v2, s7, v28
	;; [unrolled: 1-line block ×5, first 2 shown]
	v_mul_lo_u32 v1, v1, s4
	v_mul_lo_u32 v2, v2, s6
	;; [unrolled: 1-line block ×4, first 2 shown]
	v_add_nc_u32_e32 v6, s7, v26
	v_add_nc_u32_e32 v7, s5, v27
	;; [unrolled: 1-line block ×3, first 2 shown]
	v_mul_lo_u32 v5, v5, s4
	v_add_nc_u32_e32 v9, s5, v22
	v_sub_nc_u32_e32 v1, v1, v2
	v_mul_lo_u32 v2, v6, s6
	v_sub_nc_u32_e32 v3, v3, v4
	v_mul_lo_u32 v4, v7, s4
	v_mul_lo_u32 v6, v8, s6
	v_add_nc_u32_e32 v7, s5, v24
	v_cmp_lt_u32_e32 vcc_lo, s2, v1
	v_add_nc_u32_e32 v8, s5, v25
	v_add_nc_u32_e32 v10, s7, v22
	v_sub_nc_u32_e32 v2, v5, v2
	v_add_nc_u32_e32 v5, s7, v24
	v_cndmask_b32_e64 v1, 0, 1, vcc_lo
	v_sub_nc_u32_e32 v4, v4, v6
	v_mul_lo_u32 v6, v7, s4
	v_add_nc_u32_e32 v7, s7, v25
	v_cmp_lt_u32_e32 vcc_lo, s2, v3
	v_mul_lo_u32 v5, v5, s6
	v_mul_lo_u32 v8, v8, s4
	v_mul_lo_u32 v9, v9, s4
	v_mul_lo_u32 v7, v7, s6
	v_cndmask_b32_e64 v3, 0, 1, vcc_lo
	v_cmp_lt_u32_e32 vcc_lo, s2, v2
	v_mul_lo_u32 v10, v10, s6
	v_add_nc_u32_e32 v11, s5, v20
	v_sub_nc_u32_e32 v5, v6, v5
	v_add_nc_u32_e32 v12, s7, v20
	v_cndmask_b32_e64 v2, 0, 1, vcc_lo
	v_sub_nc_u32_e32 v6, v8, v7
	v_add_nc_u32_e32 v7, s5, v23
	v_add_nc_u32_e32 v8, s7, v23
	v_cmp_lt_u32_e32 vcc_lo, s2, v4
	v_sub_nc_u32_e32 v9, v9, v10
	v_mul_lo_u32 v10, v11, s4
	v_mul_lo_u32 v7, v7, s4
	;; [unrolled: 1-line block ×4, first 2 shown]
	v_cndmask_b32_e64 v4, 0, 1, vcc_lo
	v_cmp_lt_u32_e32 vcc_lo, s2, v5
	v_add_nc_u32_e32 v12, s5, v21
	v_add_nc_u32_e32 v13, s7, v18
	;; [unrolled: 1-line block ×4, first 2 shown]
	v_cndmask_b32_e64 v5, 0, 1, vcc_lo
	v_cmp_lt_u32_e32 vcc_lo, s2, v6
	v_sub_nc_u32_e32 v7, v7, v8
	v_sub_nc_u32_e32 v8, v10, v11
	v_add_nc_u32_e32 v11, s7, v21
	v_mul_lo_u32 v10, v12, s4
	v_cndmask_b32_e64 v6, 0, 1, vcc_lo
	v_cmp_lt_u32_e32 vcc_lo, s2, v9
	v_add_nc_u32_e32 v12, s5, v18
	v_mul_lo_u32 v11, v11, s6
	v_mul_lo_u32 v13, v13, s6
	v_mul_lo_u32 v14, v14, s4
	v_cndmask_b32_e64 v9, 0, 1, vcc_lo
	v_cmp_lt_u32_e32 vcc_lo, s2, v7
	v_mul_lo_u32 v12, v12, s4
	v_mul_lo_u32 v15, v15, s6
	v_lshlrev_b16 v3, 8, v3
	v_sub_nc_u32_e32 v10, v10, v11
	v_cndmask_b32_e64 v7, 0, 1, vcc_lo
	v_cmp_lt_u32_e32 vcc_lo, s2, v8
	v_add_nc_u32_e32 v11, s5, v32
	v_or_b32_e32 v1, v1, v3
	v_sub_nc_u32_e32 v12, v12, v13
	v_sub_nc_u32_e32 v13, v14, v15
	v_cndmask_b32_e64 v8, 0, 1, vcc_lo
	v_cmp_lt_u32_e32 vcc_lo, s2, v10
	v_add_nc_u32_e32 v16, s7, v32
	v_mul_lo_u32 v11, v11, s4
	v_lshlrev_b16 v4, 8, v4
	v_lshlrev_b16 v6, 8, v6
	v_cndmask_b32_e64 v10, 0, 1, vcc_lo
	v_cmp_lt_u32_e32 vcc_lo, s2, v12
	v_mul_lo_u32 v14, v16, s6
	v_lshlrev_b16 v7, 8, v7
	v_or_b32_e32 v2, v2, v4
	v_lshlrev_b16 v10, 8, v10
	v_cndmask_b32_e64 v3, 0, 1, vcc_lo
	v_cmp_lt_u32_e32 vcc_lo, s2, v13
	v_or_b32_e32 v4, v5, v6
	v_or_b32_e32 v5, v9, v7
	v_sub_nc_u32_e32 v11, v11, v14
	v_or_b32_e32 v6, v8, v10
	v_cndmask_b32_e64 v12, 0, 1, vcc_lo
	v_and_b32_e32 v1, 0xffff, v1
	v_lshlrev_b32_e32 v2, 16, v2
	v_and_b32_e32 v4, 0xffff, v4
	v_lshlrev_b32_e32 v5, 16, v5
	v_lshlrev_b16 v12, 8, v12
	v_and_b32_e32 v6, 0xffff, v6
	v_cmp_lt_u32_e32 vcc_lo, s2, v11
	v_or_b32_e32 v39, v1, v2
	v_or_b32_e32 v37, v4, v5
	;; [unrolled: 1-line block ×3, first 2 shown]
	s_mov_b32 s3, 0
	v_cndmask_b32_e64 v34, 0, 1, vcc_lo
	s_delay_alu instid0(VALU_DEP_2) | instskip(NEXT) | instid1(VALU_DEP_1)
	v_lshlrev_b32_e32 v3, 16, v3
	v_or_b32_e32 v35, v6, v3
	s_branch .LBB1315_7
.LBB1315_6:
	s_mov_b32 s3, -1
                                        ; implicit-def: $vgpr34
                                        ; implicit-def: $vgpr35
                                        ; implicit-def: $vgpr37
                                        ; implicit-def: $vgpr39
.LBB1315_7:
	s_clause 0x1
	s_load_b64 s[10:11], s[0:1], 0x28
	s_load_b64 s[20:21], s[0:1], 0x68
	s_and_not1_b32 vcc_lo, exec_lo, s3
	s_addk_i32 s22, 0xd00
	s_cbranch_vccnz .LBB1315_35
; %bb.8:
	v_dual_mov_b32 v2, 0 :: v_dual_mov_b32 v1, 0
	s_mov_b32 s0, exec_lo
	v_cmpx_gt_u32_e64 s22, v33
; %bb.9:
	v_add_nc_u32_e32 v1, s5, v28
	v_add_nc_u32_e32 v3, s7, v28
	s_delay_alu instid0(VALU_DEP_2) | instskip(NEXT) | instid1(VALU_DEP_2)
	v_mul_lo_u32 v1, v1, s4
	v_mul_lo_u32 v3, v3, s6
	s_delay_alu instid0(VALU_DEP_1) | instskip(NEXT) | instid1(VALU_DEP_1)
	v_sub_nc_u32_e32 v1, v1, v3
	v_cmp_lt_u32_e32 vcc_lo, s2, v1
	v_cndmask_b32_e64 v1, 0, 1, vcc_lo
; %bb.10:
	s_or_b32 exec_lo, exec_lo, s0
	v_add_nc_u32_e32 v3, 1, v33
	s_mov_b32 s0, exec_lo
	s_delay_alu instid0(VALU_DEP_1)
	v_cmpx_gt_u32_e64 s22, v3
; %bb.11:
	v_add_nc_u32_e32 v2, s5, v29
	v_add_nc_u32_e32 v3, s7, v29
	s_delay_alu instid0(VALU_DEP_2) | instskip(NEXT) | instid1(VALU_DEP_2)
	v_mul_lo_u32 v2, v2, s4
	v_mul_lo_u32 v3, v3, s6
	s_delay_alu instid0(VALU_DEP_1) | instskip(NEXT) | instid1(VALU_DEP_1)
	v_sub_nc_u32_e32 v2, v2, v3
	v_cmp_lt_u32_e32 vcc_lo, s2, v2
	v_cndmask_b32_e64 v2, 0, 1, vcc_lo
; %bb.12:
	s_or_b32 exec_lo, exec_lo, s0
	v_dual_mov_b32 v4, 0 :: v_dual_add_nc_u32 v3, 2, v33
	s_delay_alu instid0(VALU_DEP_1)
	v_cmp_gt_u32_e32 vcc_lo, s22, v3
	v_mov_b32_e32 v3, 0
	s_and_saveexec_b32 s0, vcc_lo
; %bb.13:
	v_add_nc_u32_e32 v3, s5, v26
	v_add_nc_u32_e32 v5, s7, v26
	s_delay_alu instid0(VALU_DEP_2) | instskip(NEXT) | instid1(VALU_DEP_2)
	v_mul_lo_u32 v3, v3, s4
	v_mul_lo_u32 v5, v5, s6
	s_delay_alu instid0(VALU_DEP_1) | instskip(NEXT) | instid1(VALU_DEP_1)
	v_sub_nc_u32_e32 v3, v3, v5
	v_cmp_lt_u32_e32 vcc_lo, s2, v3
	v_cndmask_b32_e64 v3, 0, 1, vcc_lo
; %bb.14:
	s_or_b32 exec_lo, exec_lo, s0
	v_add_nc_u32_e32 v5, 3, v33
	s_mov_b32 s0, exec_lo
	s_delay_alu instid0(VALU_DEP_1)
	v_cmpx_gt_u32_e64 s22, v5
; %bb.15:
	v_add_nc_u32_e32 v4, s5, v27
	v_add_nc_u32_e32 v5, s7, v27
	s_delay_alu instid0(VALU_DEP_2) | instskip(NEXT) | instid1(VALU_DEP_2)
	v_mul_lo_u32 v4, v4, s4
	v_mul_lo_u32 v5, v5, s6
	s_delay_alu instid0(VALU_DEP_1) | instskip(NEXT) | instid1(VALU_DEP_1)
	v_sub_nc_u32_e32 v4, v4, v5
	v_cmp_lt_u32_e32 vcc_lo, s2, v4
	v_cndmask_b32_e64 v4, 0, 1, vcc_lo
; %bb.16:
	s_or_b32 exec_lo, exec_lo, s0
	v_dual_mov_b32 v6, 0 :: v_dual_add_nc_u32 v5, 4, v33
	s_delay_alu instid0(VALU_DEP_1)
	v_cmp_gt_u32_e32 vcc_lo, s22, v5
	v_mov_b32_e32 v5, 0
	s_and_saveexec_b32 s0, vcc_lo
	;; [unrolled: 33-line block ×5, first 2 shown]
; %bb.29:
	v_add_nc_u32_e32 v11, s5, v18
	v_add_nc_u32_e32 v13, s7, v18
	s_delay_alu instid0(VALU_DEP_2) | instskip(NEXT) | instid1(VALU_DEP_2)
	v_mul_lo_u32 v11, v11, s4
	v_mul_lo_u32 v13, v13, s6
	s_delay_alu instid0(VALU_DEP_1) | instskip(NEXT) | instid1(VALU_DEP_1)
	v_sub_nc_u32_e32 v11, v11, v13
	v_cmp_lt_u32_e32 vcc_lo, s2, v11
	v_cndmask_b32_e64 v11, 0, 1, vcc_lo
; %bb.30:
	s_or_b32 exec_lo, exec_lo, s0
	v_add_nc_u32_e32 v13, 11, v33
	s_mov_b32 s0, exec_lo
	s_delay_alu instid0(VALU_DEP_1)
	v_cmpx_gt_u32_e64 s22, v13
; %bb.31:
	v_add_nc_u32_e32 v12, s5, v19
	v_add_nc_u32_e32 v13, s7, v19
	s_delay_alu instid0(VALU_DEP_2) | instskip(NEXT) | instid1(VALU_DEP_2)
	v_mul_lo_u32 v12, v12, s4
	v_mul_lo_u32 v13, v13, s6
	s_delay_alu instid0(VALU_DEP_1) | instskip(NEXT) | instid1(VALU_DEP_1)
	v_sub_nc_u32_e32 v12, v12, v13
	v_cmp_lt_u32_e32 vcc_lo, s2, v12
	v_cndmask_b32_e64 v12, 0, 1, vcc_lo
; %bb.32:
	s_or_b32 exec_lo, exec_lo, s0
	v_dual_mov_b32 v34, 0 :: v_dual_add_nc_u32 v13, 12, v33
	s_mov_b32 s0, exec_lo
	s_delay_alu instid0(VALU_DEP_1)
	v_cmpx_gt_u32_e64 s22, v13
; %bb.33:
	v_add_nc_u32_e32 v13, s5, v32
	v_add_nc_u32_e32 v14, s7, v32
	s_delay_alu instid0(VALU_DEP_2) | instskip(NEXT) | instid1(VALU_DEP_2)
	v_mul_lo_u32 v13, v13, s4
	v_mul_lo_u32 v14, v14, s6
	s_delay_alu instid0(VALU_DEP_1) | instskip(NEXT) | instid1(VALU_DEP_1)
	v_sub_nc_u32_e32 v13, v13, v14
	v_cmp_lt_u32_e32 vcc_lo, s2, v13
	v_cndmask_b32_e64 v34, 0, 1, vcc_lo
; %bb.34:
	s_or_b32 exec_lo, exec_lo, s0
	v_lshlrev_b16 v2, 8, v2
	v_lshlrev_b16 v4, 8, v4
	;; [unrolled: 1-line block ×5, first 2 shown]
	v_or_b32_e32 v1, v1, v2
	v_lshlrev_b16 v2, 8, v12
	v_or_b32_e32 v3, v3, v4
	v_or_b32_e32 v4, v5, v6
	;; [unrolled: 1-line block ×5, first 2 shown]
	v_and_b32_e32 v1, 0xffff, v1
	v_lshlrev_b32_e32 v3, 16, v3
	v_and_b32_e32 v4, 0xffff, v4
	v_lshlrev_b32_e32 v5, 16, v5
	;; [unrolled: 2-line block ×3, first 2 shown]
	v_or_b32_e32 v39, v1, v3
	s_delay_alu instid0(VALU_DEP_4) | instskip(NEXT) | instid1(VALU_DEP_3)
	v_or_b32_e32 v37, v4, v5
	v_or_b32_e32 v35, v6, v2
.LBB1315_35:
	s_delay_alu instid0(VALU_DEP_3)
	v_and_b32_e32 v41, 0xff, v39
	v_bfe_u32 v42, v39, 8, 8
	v_bfe_u32 v43, v39, 16, 8
	v_lshrrev_b32_e32 v40, 24, v39
	v_and_b32_e32 v44, 0xff, v37
	v_bfe_u32 v45, v37, 8, 8
	v_bfe_u32 v46, v37, 16, 8
	v_add3_u32 v1, v42, v41, v43
	v_lshrrev_b32_e32 v38, 24, v37
	v_and_b32_e32 v47, 0xff, v35
	v_bfe_u32 v48, v35, 8, 8
	v_mbcnt_lo_u32_b32 v50, -1, 0
	v_add3_u32 v1, v1, v40, v44
	v_bfe_u32 v49, v35, 16, 8
	v_lshrrev_b32_e32 v36, 24, v35
	v_and_b32_e32 v2, 0xff, v34
	v_and_b32_e32 v3, 15, v50
	v_add3_u32 v1, v1, v45, v46
	v_or_b32_e32 v4, 31, v0
	v_and_b32_e32 v5, 16, v50
	v_lshrrev_b32_e32 v51, 5, v0
	v_cmp_eq_u32_e64 s5, 0, v3
	v_add3_u32 v1, v1, v38, v47
	v_cmp_lt_u32_e64 s4, 1, v3
	v_cmp_lt_u32_e64 s3, 3, v3
	v_cmp_lt_u32_e64 s2, 7, v3
	v_cmp_eq_u32_e64 s1, 0, v5
	v_add3_u32 v1, v1, v48, v49
	v_cmp_eq_u32_e64 s0, v4, v0
	s_cmp_lg_u32 s15, 0
	s_mov_b32 s6, -1
	s_delay_alu instid0(VALU_DEP_2)
	v_add3_u32 v52, v1, v36, v2
	s_cbranch_scc0 .LBB1315_66
; %bb.36:
	s_delay_alu instid0(VALU_DEP_1) | instskip(NEXT) | instid1(VALU_DEP_1)
	v_mov_b32_dpp v1, v52 row_shr:1 row_mask:0xf bank_mask:0xf
	v_cndmask_b32_e64 v1, v1, 0, s5
	s_delay_alu instid0(VALU_DEP_1) | instskip(NEXT) | instid1(VALU_DEP_1)
	v_add_nc_u32_e32 v1, v1, v52
	v_mov_b32_dpp v2, v1 row_shr:2 row_mask:0xf bank_mask:0xf
	s_delay_alu instid0(VALU_DEP_1) | instskip(NEXT) | instid1(VALU_DEP_1)
	v_cndmask_b32_e64 v2, 0, v2, s4
	v_add_nc_u32_e32 v1, v1, v2
	s_delay_alu instid0(VALU_DEP_1) | instskip(NEXT) | instid1(VALU_DEP_1)
	v_mov_b32_dpp v2, v1 row_shr:4 row_mask:0xf bank_mask:0xf
	v_cndmask_b32_e64 v2, 0, v2, s3
	s_delay_alu instid0(VALU_DEP_1) | instskip(NEXT) | instid1(VALU_DEP_1)
	v_add_nc_u32_e32 v1, v1, v2
	v_mov_b32_dpp v2, v1 row_shr:8 row_mask:0xf bank_mask:0xf
	s_delay_alu instid0(VALU_DEP_1) | instskip(NEXT) | instid1(VALU_DEP_1)
	v_cndmask_b32_e64 v2, 0, v2, s2
	v_add_nc_u32_e32 v1, v1, v2
	ds_swizzle_b32 v2, v1 offset:swizzle(BROADCAST,32,15)
	s_waitcnt lgkmcnt(0)
	v_cndmask_b32_e64 v2, v2, 0, s1
	s_delay_alu instid0(VALU_DEP_1)
	v_add_nc_u32_e32 v1, v1, v2
	s_and_saveexec_b32 s6, s0
	s_cbranch_execz .LBB1315_38
; %bb.37:
	v_lshlrev_b32_e32 v2, 2, v51
	ds_store_b32 v2, v1
.LBB1315_38:
	s_or_b32 exec_lo, exec_lo, s6
	s_delay_alu instid0(SALU_CYCLE_1)
	s_mov_b32 s6, exec_lo
	s_waitcnt lgkmcnt(0)
	s_barrier
	buffer_gl0_inv
	v_cmpx_gt_u32_e32 8, v0
	s_cbranch_execz .LBB1315_40
; %bb.39:
	ds_load_b32 v2, v30
	s_waitcnt lgkmcnt(0)
	v_mov_b32_dpp v4, v2 row_shr:1 row_mask:0xf bank_mask:0xf
	v_and_b32_e32 v3, 7, v50
	s_delay_alu instid0(VALU_DEP_1) | instskip(NEXT) | instid1(VALU_DEP_3)
	v_cmp_ne_u32_e32 vcc_lo, 0, v3
	v_cndmask_b32_e32 v4, 0, v4, vcc_lo
	v_cmp_lt_u32_e32 vcc_lo, 1, v3
	s_delay_alu instid0(VALU_DEP_2) | instskip(NEXT) | instid1(VALU_DEP_1)
	v_add_nc_u32_e32 v2, v4, v2
	v_mov_b32_dpp v4, v2 row_shr:2 row_mask:0xf bank_mask:0xf
	s_delay_alu instid0(VALU_DEP_1) | instskip(SKIP_1) | instid1(VALU_DEP_2)
	v_cndmask_b32_e32 v4, 0, v4, vcc_lo
	v_cmp_lt_u32_e32 vcc_lo, 3, v3
	v_add_nc_u32_e32 v2, v2, v4
	s_delay_alu instid0(VALU_DEP_1) | instskip(NEXT) | instid1(VALU_DEP_1)
	v_mov_b32_dpp v4, v2 row_shr:4 row_mask:0xf bank_mask:0xf
	v_cndmask_b32_e32 v3, 0, v4, vcc_lo
	s_delay_alu instid0(VALU_DEP_1)
	v_add_nc_u32_e32 v2, v2, v3
	ds_store_b32 v30, v2
.LBB1315_40:
	s_or_b32 exec_lo, exec_lo, s6
	v_cmp_gt_u32_e32 vcc_lo, 32, v0
	s_mov_b32 s7, exec_lo
	s_waitcnt lgkmcnt(0)
	s_barrier
	buffer_gl0_inv
                                        ; implicit-def: $vgpr8
	v_cmpx_lt_u32_e32 31, v0
	s_cbranch_execz .LBB1315_42
; %bb.41:
	v_lshl_add_u32 v2, v51, 2, -4
	ds_load_b32 v8, v2
	s_waitcnt lgkmcnt(0)
	v_add_nc_u32_e32 v1, v8, v1
.LBB1315_42:
	s_or_b32 exec_lo, exec_lo, s7
	v_add_nc_u32_e32 v2, -1, v50
	s_delay_alu instid0(VALU_DEP_1) | instskip(NEXT) | instid1(VALU_DEP_1)
	v_cmp_gt_i32_e64 s6, 0, v2
	v_cndmask_b32_e64 v2, v2, v50, s6
	v_cmp_eq_u32_e64 s6, 0, v50
	s_delay_alu instid0(VALU_DEP_2)
	v_lshlrev_b32_e32 v2, 2, v2
	ds_bpermute_b32 v9, v2, v1
	s_and_saveexec_b32 s7, vcc_lo
	s_cbranch_execz .LBB1315_65
; %bb.43:
	v_mov_b32_e32 v4, 0
	ds_load_b32 v1, v4 offset:28
	s_and_saveexec_b32 s24, s6
	s_cbranch_execz .LBB1315_45
; %bb.44:
	s_add_i32 s26, s15, 32
	s_mov_b32 s27, 0
	v_mov_b32_e32 v2, 1
	s_lshl_b64 s[26:27], s[26:27], 3
	s_delay_alu instid0(SALU_CYCLE_1)
	s_add_u32 s26, s20, s26
	s_addc_u32 s27, s21, s27
	s_waitcnt lgkmcnt(0)
	global_store_b64 v4, v[1:2], s[26:27]
.LBB1315_45:
	s_or_b32 exec_lo, exec_lo, s24
	v_xad_u32 v2, v50, -1, s15
	s_mov_b32 s25, 0
	s_mov_b32 s24, exec_lo
	s_delay_alu instid0(VALU_DEP_1) | instskip(NEXT) | instid1(VALU_DEP_1)
	v_add_nc_u32_e32 v3, 32, v2
	v_lshlrev_b64 v[3:4], 3, v[3:4]
	s_delay_alu instid0(VALU_DEP_1) | instskip(NEXT) | instid1(VALU_DEP_2)
	v_add_co_u32 v6, vcc_lo, s20, v3
	v_add_co_ci_u32_e32 v7, vcc_lo, s21, v4, vcc_lo
	global_load_b64 v[4:5], v[6:7], off glc
	s_waitcnt vmcnt(0)
	v_and_b32_e32 v3, 0xff, v5
	s_delay_alu instid0(VALU_DEP_1)
	v_cmpx_eq_u16_e32 0, v3
	s_cbranch_execz .LBB1315_51
; %bb.46:
	s_mov_b32 s26, 1
	.p2align	6
.LBB1315_47:                            ; =>This Loop Header: Depth=1
                                        ;     Child Loop BB1315_48 Depth 2
	s_delay_alu instid0(SALU_CYCLE_1)
	s_max_u32 s27, s26, 1
.LBB1315_48:                            ;   Parent Loop BB1315_47 Depth=1
                                        ; =>  This Inner Loop Header: Depth=2
	s_delay_alu instid0(SALU_CYCLE_1)
	s_add_i32 s27, s27, -1
	s_sleep 1
	s_cmp_eq_u32 s27, 0
	s_cbranch_scc0 .LBB1315_48
; %bb.49:                               ;   in Loop: Header=BB1315_47 Depth=1
	global_load_b64 v[4:5], v[6:7], off glc
	s_cmp_lt_u32 s26, 32
	s_cselect_b32 s27, -1, 0
	s_delay_alu instid0(SALU_CYCLE_1) | instskip(SKIP_3) | instid1(VALU_DEP_1)
	s_cmp_lg_u32 s27, 0
	s_addc_u32 s26, s26, 0
	s_waitcnt vmcnt(0)
	v_and_b32_e32 v3, 0xff, v5
	v_cmp_ne_u16_e32 vcc_lo, 0, v3
	s_or_b32 s25, vcc_lo, s25
	s_delay_alu instid0(SALU_CYCLE_1)
	s_and_not1_b32 exec_lo, exec_lo, s25
	s_cbranch_execnz .LBB1315_47
; %bb.50:
	s_or_b32 exec_lo, exec_lo, s25
.LBB1315_51:
	s_delay_alu instid0(SALU_CYCLE_1)
	s_or_b32 exec_lo, exec_lo, s24
	v_cmp_ne_u32_e32 vcc_lo, 31, v50
	v_lshlrev_b32_e64 v11, v50, -1
	v_add_nc_u32_e32 v13, 2, v50
	v_add_nc_u32_e32 v16, 4, v50
	;; [unrolled: 1-line block ×3, first 2 shown]
	v_add_co_ci_u32_e32 v3, vcc_lo, 0, v50, vcc_lo
	v_add_nc_u32_e32 v55, 16, v50
	s_delay_alu instid0(VALU_DEP_2) | instskip(SKIP_2) | instid1(VALU_DEP_1)
	v_lshlrev_b32_e32 v10, 2, v3
	ds_bpermute_b32 v6, v10, v4
	v_and_b32_e32 v3, 0xff, v5
	v_cmp_eq_u16_e32 vcc_lo, 2, v3
	v_and_or_b32 v3, vcc_lo, v11, 0x80000000
	v_cmp_gt_u32_e32 vcc_lo, 30, v50
	s_delay_alu instid0(VALU_DEP_2) | instskip(SKIP_1) | instid1(VALU_DEP_2)
	v_ctz_i32_b32_e32 v3, v3
	v_cndmask_b32_e64 v7, 0, 1, vcc_lo
	v_cmp_lt_u32_e32 vcc_lo, v50, v3
	s_waitcnt lgkmcnt(0)
	s_delay_alu instid0(VALU_DEP_2) | instskip(NEXT) | instid1(VALU_DEP_1)
	v_dual_cndmask_b32 v6, 0, v6 :: v_dual_lshlrev_b32 v7, 1, v7
	v_add_lshl_u32 v12, v7, v50, 2
	v_cmp_gt_u32_e32 vcc_lo, 28, v50
	s_delay_alu instid0(VALU_DEP_3) | instskip(SKIP_4) | instid1(VALU_DEP_1)
	v_add_nc_u32_e32 v4, v6, v4
	v_cndmask_b32_e64 v7, 0, 1, vcc_lo
	v_cmp_le_u32_e32 vcc_lo, v13, v3
	ds_bpermute_b32 v6, v12, v4
	v_lshlrev_b32_e32 v7, 2, v7
	v_add_lshl_u32 v14, v7, v50, 2
	s_waitcnt lgkmcnt(0)
	v_cndmask_b32_e32 v6, 0, v6, vcc_lo
	v_cmp_gt_u32_e32 vcc_lo, 24, v50
	s_delay_alu instid0(VALU_DEP_2) | instskip(SKIP_4) | instid1(VALU_DEP_1)
	v_add_nc_u32_e32 v4, v4, v6
	v_cndmask_b32_e64 v7, 0, 1, vcc_lo
	v_cmp_le_u32_e32 vcc_lo, v16, v3
	ds_bpermute_b32 v6, v14, v4
	v_lshlrev_b32_e32 v7, 3, v7
	v_add_lshl_u32 v17, v7, v50, 2
	s_waitcnt lgkmcnt(0)
	v_cndmask_b32_e32 v6, 0, v6, vcc_lo
	v_cmp_gt_u32_e32 vcc_lo, 16, v50
	s_delay_alu instid0(VALU_DEP_2) | instskip(SKIP_4) | instid1(VALU_DEP_1)
	v_add_nc_u32_e32 v4, v4, v6
	v_cndmask_b32_e64 v7, 0, 1, vcc_lo
	v_cmp_le_u32_e32 vcc_lo, v53, v3
	ds_bpermute_b32 v6, v17, v4
	v_lshlrev_b32_e32 v7, 4, v7
	v_add_lshl_u32 v54, v7, v50, 2
	s_waitcnt lgkmcnt(0)
	v_cndmask_b32_e32 v6, 0, v6, vcc_lo
	v_cmp_le_u32_e32 vcc_lo, v55, v3
	s_delay_alu instid0(VALU_DEP_2) | instskip(SKIP_3) | instid1(VALU_DEP_1)
	v_add_nc_u32_e32 v4, v4, v6
	ds_bpermute_b32 v6, v54, v4
	s_waitcnt lgkmcnt(0)
	v_cndmask_b32_e32 v3, 0, v6, vcc_lo
	v_dual_mov_b32 v3, 0 :: v_dual_add_nc_u32 v4, v4, v3
	s_branch .LBB1315_53
.LBB1315_52:                            ;   in Loop: Header=BB1315_53 Depth=1
	s_or_b32 exec_lo, exec_lo, s24
	ds_bpermute_b32 v7, v10, v4
	v_and_b32_e32 v6, 0xff, v5
	v_subrev_nc_u32_e32 v2, 32, v2
	s_delay_alu instid0(VALU_DEP_2) | instskip(SKIP_1) | instid1(VALU_DEP_1)
	v_cmp_eq_u16_e32 vcc_lo, 2, v6
	v_and_or_b32 v6, vcc_lo, v11, 0x80000000
	v_ctz_i32_b32_e32 v6, v6
	s_delay_alu instid0(VALU_DEP_1) | instskip(SKIP_3) | instid1(VALU_DEP_2)
	v_cmp_lt_u32_e32 vcc_lo, v50, v6
	s_waitcnt lgkmcnt(0)
	v_cndmask_b32_e32 v7, 0, v7, vcc_lo
	v_cmp_le_u32_e32 vcc_lo, v13, v6
	v_add_nc_u32_e32 v4, v7, v4
	ds_bpermute_b32 v7, v12, v4
	s_waitcnt lgkmcnt(0)
	v_cndmask_b32_e32 v7, 0, v7, vcc_lo
	v_cmp_le_u32_e32 vcc_lo, v16, v6
	s_delay_alu instid0(VALU_DEP_2) | instskip(SKIP_4) | instid1(VALU_DEP_2)
	v_add_nc_u32_e32 v4, v4, v7
	ds_bpermute_b32 v7, v14, v4
	s_waitcnt lgkmcnt(0)
	v_cndmask_b32_e32 v7, 0, v7, vcc_lo
	v_cmp_le_u32_e32 vcc_lo, v53, v6
	v_add_nc_u32_e32 v4, v4, v7
	ds_bpermute_b32 v7, v17, v4
	s_waitcnt lgkmcnt(0)
	v_cndmask_b32_e32 v7, 0, v7, vcc_lo
	v_cmp_le_u32_e32 vcc_lo, v55, v6
	s_delay_alu instid0(VALU_DEP_2) | instskip(SKIP_3) | instid1(VALU_DEP_1)
	v_add_nc_u32_e32 v4, v4, v7
	ds_bpermute_b32 v7, v54, v4
	s_waitcnt lgkmcnt(0)
	v_cndmask_b32_e32 v6, 0, v7, vcc_lo
	v_add3_u32 v4, v6, v15, v4
.LBB1315_53:                            ; =>This Loop Header: Depth=1
                                        ;     Child Loop BB1315_56 Depth 2
                                        ;       Child Loop BB1315_57 Depth 3
	v_and_b32_e32 v5, 0xff, v5
	s_delay_alu instid0(VALU_DEP_2) | instskip(NEXT) | instid1(VALU_DEP_2)
	v_mov_b32_e32 v15, v4
	v_cmp_ne_u16_e32 vcc_lo, 2, v5
	v_cndmask_b32_e64 v5, 0, 1, vcc_lo
	;;#ASMSTART
	;;#ASMEND
	s_delay_alu instid0(VALU_DEP_1)
	v_cmp_ne_u32_e32 vcc_lo, 0, v5
	s_cmp_lg_u32 vcc_lo, exec_lo
	s_cbranch_scc1 .LBB1315_60
; %bb.54:                               ;   in Loop: Header=BB1315_53 Depth=1
	v_lshlrev_b64 v[4:5], 3, v[2:3]
	s_mov_b32 s24, exec_lo
	s_delay_alu instid0(VALU_DEP_1) | instskip(NEXT) | instid1(VALU_DEP_2)
	v_add_co_u32 v6, vcc_lo, s20, v4
	v_add_co_ci_u32_e32 v7, vcc_lo, s21, v5, vcc_lo
	global_load_b64 v[4:5], v[6:7], off glc
	s_waitcnt vmcnt(0)
	v_and_b32_e32 v56, 0xff, v5
	s_delay_alu instid0(VALU_DEP_1)
	v_cmpx_eq_u16_e32 0, v56
	s_cbranch_execz .LBB1315_52
; %bb.55:                               ;   in Loop: Header=BB1315_53 Depth=1
	s_mov_b32 s26, 1
	s_mov_b32 s25, 0
	.p2align	6
.LBB1315_56:                            ;   Parent Loop BB1315_53 Depth=1
                                        ; =>  This Loop Header: Depth=2
                                        ;       Child Loop BB1315_57 Depth 3
	s_max_u32 s27, s26, 1
.LBB1315_57:                            ;   Parent Loop BB1315_53 Depth=1
                                        ;     Parent Loop BB1315_56 Depth=2
                                        ; =>    This Inner Loop Header: Depth=3
	s_delay_alu instid0(SALU_CYCLE_1)
	s_add_i32 s27, s27, -1
	s_sleep 1
	s_cmp_eq_u32 s27, 0
	s_cbranch_scc0 .LBB1315_57
; %bb.58:                               ;   in Loop: Header=BB1315_56 Depth=2
	global_load_b64 v[4:5], v[6:7], off glc
	s_cmp_lt_u32 s26, 32
	s_cselect_b32 s27, -1, 0
	s_delay_alu instid0(SALU_CYCLE_1) | instskip(SKIP_3) | instid1(VALU_DEP_1)
	s_cmp_lg_u32 s27, 0
	s_addc_u32 s26, s26, 0
	s_waitcnt vmcnt(0)
	v_and_b32_e32 v56, 0xff, v5
	v_cmp_ne_u16_e32 vcc_lo, 0, v56
	s_or_b32 s25, vcc_lo, s25
	s_delay_alu instid0(SALU_CYCLE_1)
	s_and_not1_b32 exec_lo, exec_lo, s25
	s_cbranch_execnz .LBB1315_56
; %bb.59:                               ;   in Loop: Header=BB1315_53 Depth=1
	s_or_b32 exec_lo, exec_lo, s25
	s_branch .LBB1315_52
.LBB1315_60:                            ;   in Loop: Header=BB1315_53 Depth=1
                                        ; implicit-def: $vgpr4
                                        ; implicit-def: $vgpr5
	s_cbranch_execz .LBB1315_53
; %bb.61:
	s_and_saveexec_b32 s24, s6
	s_cbranch_execz .LBB1315_63
; %bb.62:
	s_add_i32 s26, s15, 32
	s_mov_b32 s27, 0
	v_dual_mov_b32 v3, 2 :: v_dual_add_nc_u32 v2, v15, v1
	s_lshl_b64 s[26:27], s[26:27], 3
	v_mov_b32_e32 v4, 0
	v_add_nc_u32_e64 v5, 0x3400, 0
	s_add_u32 s26, s20, s26
	s_addc_u32 s27, s21, s27
	global_store_b64 v4, v[2:3], s[26:27]
	ds_store_2addr_b32 v5, v1, v15 offset1:2
.LBB1315_63:
	s_or_b32 exec_lo, exec_lo, s24
	v_cmp_eq_u32_e32 vcc_lo, 0, v0
	s_and_b32 exec_lo, exec_lo, vcc_lo
	s_cbranch_execz .LBB1315_65
; %bb.64:
	v_mov_b32_e32 v1, 0
	ds_store_b32 v1, v15 offset:28
.LBB1315_65:
	s_or_b32 exec_lo, exec_lo, s7
	s_waitcnt lgkmcnt(0)
	v_cndmask_b32_e64 v2, v9, v8, s6
	v_cmp_ne_u32_e32 vcc_lo, 0, v0
	v_mov_b32_e32 v1, 0
	s_waitcnt_vscnt null, 0x0
	s_barrier
	buffer_gl0_inv
	v_cndmask_b32_e32 v2, 0, v2, vcc_lo
	ds_load_b32 v1, v1 offset:28
	v_add_nc_u32_e64 v11, 0x3400, 0
	s_waitcnt lgkmcnt(0)
	s_barrier
	buffer_gl0_inv
	ds_load_2addr_b32 v[16:17], v11 offset1:2
	v_add_nc_u32_e32 v1, v1, v2
	s_delay_alu instid0(VALU_DEP_1) | instskip(NEXT) | instid1(VALU_DEP_1)
	v_add_nc_u32_e32 v2, v1, v41
	v_add_nc_u32_e32 v3, v2, v42
	s_delay_alu instid0(VALU_DEP_1) | instskip(NEXT) | instid1(VALU_DEP_1)
	v_add_nc_u32_e32 v4, v3, v43
	;; [unrolled: 3-line block ×6, first 2 shown]
	v_add_nc_u32_e32 v13, v12, v36
	s_branch .LBB1315_76
.LBB1315_66:
                                        ; implicit-def: $vgpr17
                                        ; implicit-def: $vgpr1_vgpr2_vgpr3_vgpr4_vgpr5_vgpr6_vgpr7_vgpr8_vgpr9_vgpr10_vgpr11_vgpr12_vgpr13_vgpr14_vgpr15_vgpr16
	s_and_b32 vcc_lo, exec_lo, s6
	s_cbranch_vccz .LBB1315_76
; %bb.67:
	s_delay_alu instid0(VALU_DEP_1) | instskip(NEXT) | instid1(VALU_DEP_1)
	v_mov_b32_dpp v1, v52 row_shr:1 row_mask:0xf bank_mask:0xf
	v_cndmask_b32_e64 v1, v1, 0, s5
	s_delay_alu instid0(VALU_DEP_1) | instskip(NEXT) | instid1(VALU_DEP_1)
	v_add_nc_u32_e32 v1, v1, v52
	v_mov_b32_dpp v2, v1 row_shr:2 row_mask:0xf bank_mask:0xf
	s_delay_alu instid0(VALU_DEP_1) | instskip(NEXT) | instid1(VALU_DEP_1)
	v_cndmask_b32_e64 v2, 0, v2, s4
	v_add_nc_u32_e32 v1, v1, v2
	s_delay_alu instid0(VALU_DEP_1) | instskip(NEXT) | instid1(VALU_DEP_1)
	v_mov_b32_dpp v2, v1 row_shr:4 row_mask:0xf bank_mask:0xf
	v_cndmask_b32_e64 v2, 0, v2, s3
	s_delay_alu instid0(VALU_DEP_1) | instskip(NEXT) | instid1(VALU_DEP_1)
	v_add_nc_u32_e32 v1, v1, v2
	v_mov_b32_dpp v2, v1 row_shr:8 row_mask:0xf bank_mask:0xf
	s_delay_alu instid0(VALU_DEP_1) | instskip(NEXT) | instid1(VALU_DEP_1)
	v_cndmask_b32_e64 v2, 0, v2, s2
	v_add_nc_u32_e32 v1, v1, v2
	ds_swizzle_b32 v2, v1 offset:swizzle(BROADCAST,32,15)
	s_waitcnt lgkmcnt(0)
	v_cndmask_b32_e64 v2, v2, 0, s1
	s_delay_alu instid0(VALU_DEP_1)
	v_add_nc_u32_e32 v1, v1, v2
	s_and_saveexec_b32 s1, s0
	s_cbranch_execz .LBB1315_69
; %bb.68:
	v_lshlrev_b32_e32 v2, 2, v51
	ds_store_b32 v2, v1
.LBB1315_69:
	s_or_b32 exec_lo, exec_lo, s1
	s_delay_alu instid0(SALU_CYCLE_1)
	s_mov_b32 s0, exec_lo
	s_waitcnt lgkmcnt(0)
	s_barrier
	buffer_gl0_inv
	v_cmpx_gt_u32_e32 8, v0
	s_cbranch_execz .LBB1315_71
; %bb.70:
	ds_load_b32 v2, v30
	s_waitcnt lgkmcnt(0)
	v_mov_b32_dpp v4, v2 row_shr:1 row_mask:0xf bank_mask:0xf
	v_and_b32_e32 v3, 7, v50
	s_delay_alu instid0(VALU_DEP_1) | instskip(NEXT) | instid1(VALU_DEP_3)
	v_cmp_ne_u32_e32 vcc_lo, 0, v3
	v_cndmask_b32_e32 v4, 0, v4, vcc_lo
	v_cmp_lt_u32_e32 vcc_lo, 1, v3
	s_delay_alu instid0(VALU_DEP_2) | instskip(NEXT) | instid1(VALU_DEP_1)
	v_add_nc_u32_e32 v2, v4, v2
	v_mov_b32_dpp v4, v2 row_shr:2 row_mask:0xf bank_mask:0xf
	s_delay_alu instid0(VALU_DEP_1) | instskip(SKIP_1) | instid1(VALU_DEP_2)
	v_cndmask_b32_e32 v4, 0, v4, vcc_lo
	v_cmp_lt_u32_e32 vcc_lo, 3, v3
	v_add_nc_u32_e32 v2, v2, v4
	s_delay_alu instid0(VALU_DEP_1) | instskip(NEXT) | instid1(VALU_DEP_1)
	v_mov_b32_dpp v4, v2 row_shr:4 row_mask:0xf bank_mask:0xf
	v_cndmask_b32_e32 v3, 0, v4, vcc_lo
	s_delay_alu instid0(VALU_DEP_1)
	v_add_nc_u32_e32 v2, v2, v3
	ds_store_b32 v30, v2
.LBB1315_71:
	s_or_b32 exec_lo, exec_lo, s0
	v_dual_mov_b32 v3, 0 :: v_dual_mov_b32 v2, 0
	s_mov_b32 s0, exec_lo
	s_waitcnt lgkmcnt(0)
	s_barrier
	buffer_gl0_inv
	v_cmpx_lt_u32_e32 31, v0
	s_cbranch_execz .LBB1315_73
; %bb.72:
	v_lshl_add_u32 v2, v51, 2, -4
	ds_load_b32 v2, v2
.LBB1315_73:
	s_or_b32 exec_lo, exec_lo, s0
	v_add_nc_u32_e32 v4, -1, v50
	ds_load_b32 v16, v3 offset:28
	s_waitcnt lgkmcnt(1)
	v_add_nc_u32_e32 v1, v2, v1
	v_cmp_gt_i32_e32 vcc_lo, 0, v4
	v_cndmask_b32_e32 v4, v4, v50, vcc_lo
	v_cmp_eq_u32_e32 vcc_lo, 0, v0
	s_delay_alu instid0(VALU_DEP_2)
	v_lshlrev_b32_e32 v4, 2, v4
	ds_bpermute_b32 v1, v4, v1
	s_and_saveexec_b32 s0, vcc_lo
	s_cbranch_execz .LBB1315_75
; %bb.74:
	v_mov_b32_e32 v3, 0
	v_mov_b32_e32 v17, 2
	s_waitcnt lgkmcnt(1)
	global_store_b64 v3, v[16:17], s[20:21] offset:256
.LBB1315_75:
	s_or_b32 exec_lo, exec_lo, s0
	v_cmp_eq_u32_e64 s0, 0, v50
	s_waitcnt lgkmcnt(0)
	s_waitcnt_vscnt null, 0x0
	s_barrier
	buffer_gl0_inv
	v_mov_b32_e32 v17, 0
	v_cndmask_b32_e64 v1, v1, v2, s0
	s_delay_alu instid0(VALU_DEP_1) | instskip(NEXT) | instid1(VALU_DEP_1)
	v_cndmask_b32_e64 v1, v1, 0, vcc_lo
	v_add_nc_u32_e32 v2, v1, v41
	s_delay_alu instid0(VALU_DEP_1) | instskip(NEXT) | instid1(VALU_DEP_1)
	v_add_nc_u32_e32 v3, v2, v42
	v_add_nc_u32_e32 v4, v3, v43
	s_delay_alu instid0(VALU_DEP_1) | instskip(NEXT) | instid1(VALU_DEP_1)
	v_add_nc_u32_e32 v5, v4, v40
	;; [unrolled: 3-line block ×5, first 2 shown]
	v_add_nc_u32_e32 v12, v11, v49
	s_delay_alu instid0(VALU_DEP_1)
	v_add_nc_u32_e32 v13, v12, v36
.LBB1315_76:
	v_lshrrev_b32_e32 v44, 8, v39
	v_lshrrev_b32_e32 v43, 16, v39
	s_waitcnt lgkmcnt(0)
	v_sub_nc_u32_e32 v1, v1, v17
	v_and_b32_e32 v39, 1, v39
	v_sub_nc_u32_e32 v3, v3, v17
	v_add_nc_u32_e32 v33, v16, v33
	v_sub_nc_u32_e32 v2, v2, v17
	v_sub_nc_u32_e32 v4, v4, v17
	v_cmp_eq_u32_e32 vcc_lo, 1, v39
	v_and_b32_e32 v39, 1, v43
	v_sub_nc_u32_e32 v45, v33, v1
	v_and_b32_e32 v44, 1, v44
	v_sub_nc_u32_e32 v43, v33, v2
	v_lshrrev_b32_e32 v42, 8, v37
	v_lshrrev_b32_e32 v41, 16, v37
	v_cndmask_b32_e32 v1, v45, v1, vcc_lo
	v_sub_nc_u32_e32 v45, v33, v3
	v_add_nc_u32_e32 v43, 1, v43
	v_cmp_eq_u32_e32 vcc_lo, 1, v44
	v_and_b32_e32 v40, 1, v40
	v_lshlrev_b32_e32 v1, 2, v1
	v_add_nc_u32_e32 v45, 2, v45
	v_lshrrev_b32_e32 v15, 8, v35
	v_lshrrev_b32_e32 v14, 16, v35
	ds_store_b32 v1, v28
	v_cndmask_b32_e32 v1, v43, v2, vcc_lo
	v_cmp_eq_u32_e32 vcc_lo, 1, v39
	v_or_b32_e32 v28, 0x500, v0
	s_delay_alu instid0(VALU_DEP_3)
	v_dual_cndmask_b32 v2, v45, v3 :: v_dual_lshlrev_b32 v1, 2, v1
	v_sub_nc_u32_e32 v46, v33, v4
	v_cmp_eq_u32_e32 vcc_lo, 1, v40
	ds_store_b32 v1, v29
	v_lshlrev_b32_e32 v2, 2, v2
	v_add_nc_u32_e32 v46, 3, v46
	v_or_b32_e32 v29, 0x400, v0
	s_delay_alu instid0(VALU_DEP_2) | instskip(SKIP_2) | instid1(VALU_DEP_3)
	v_cndmask_b32_e32 v3, v46, v4, vcc_lo
	v_sub_nc_u32_e32 v4, v5, v17
	v_sub_nc_u32_e32 v5, v6, v17
	v_lshlrev_b32_e32 v3, 2, v3
	s_delay_alu instid0(VALU_DEP_3) | instskip(NEXT) | instid1(VALU_DEP_3)
	v_sub_nc_u32_e32 v1, v33, v4
	v_sub_nc_u32_e32 v6, v33, v5
	ds_store_b32 v2, v26
	ds_store_b32 v3, v27
	v_and_b32_e32 v2, 1, v37
	v_add_nc_u32_e32 v1, 4, v1
	v_add_nc_u32_e32 v3, 5, v6
	v_sub_nc_u32_e32 v6, v7, v17
	v_and_b32_e32 v7, 1, v42
	v_cmp_eq_u32_e32 vcc_lo, 1, v2
	v_sub_nc_u32_e32 v2, v8, v17
	v_and_b32_e32 v8, 1, v38
	v_or_b32_e32 v27, 0x600, v0
	v_or_b32_e32 v26, 0x700, v0
	v_cndmask_b32_e32 v1, v1, v4, vcc_lo
	v_sub_nc_u32_e32 v4, v33, v6
	v_cmp_eq_u32_e32 vcc_lo, 1, v7
	v_and_b32_e32 v7, 1, v41
	s_delay_alu instid0(VALU_DEP_4) | instskip(NEXT) | instid1(VALU_DEP_4)
	v_lshlrev_b32_e32 v1, 2, v1
	v_dual_cndmask_b32 v3, v3, v5 :: v_dual_add_nc_u32 v4, 6, v4
	v_sub_nc_u32_e32 v5, v33, v2
	s_delay_alu instid0(VALU_DEP_4) | instskip(SKIP_1) | instid1(VALU_DEP_4)
	v_cmp_eq_u32_e32 vcc_lo, 1, v7
	v_sub_nc_u32_e32 v7, v13, v17
	v_lshlrev_b32_e32 v3, 2, v3
	s_delay_alu instid0(VALU_DEP_4)
	v_dual_cndmask_b32 v4, v4, v6 :: v_dual_add_nc_u32 v5, 7, v5
	v_cmp_eq_u32_e32 vcc_lo, 1, v8
	v_sub_nc_u32_e32 v6, v9, v17
	ds_store_b32 v1, v24
	ds_store_b32 v3, v25
	v_or_b32_e32 v25, 0x800, v0
	v_dual_cndmask_b32 v2, v5, v2 :: v_dual_lshlrev_b32 v3, 2, v4
	v_and_b32_e32 v5, 1, v35
	v_sub_nc_u32_e32 v1, v33, v6
	v_sub_nc_u32_e32 v4, v10, v17
	v_and_b32_e32 v10, 1, v36
	v_or_b32_e32 v24, 0x900, v0
	v_cmp_eq_u32_e32 vcc_lo, 1, v5
	v_sub_nc_u32_e32 v5, v12, v17
	v_add_nc_u32_e32 v1, 8, v1
	s_delay_alu instid0(VALU_DEP_2) | instskip(NEXT) | instid1(VALU_DEP_2)
	v_sub_nc_u32_e32 v9, v33, v5
	v_dual_cndmask_b32 v1, v1, v6 :: v_dual_and_b32 v6, 1, v15
	v_add_co_u32 v15, s0, s18, v17
	s_delay_alu instid0(VALU_DEP_3)
	v_add_nc_u32_e32 v9, 11, v9
	v_lshlrev_b32_e32 v2, 2, v2
	ds_store_b32 v3, v22
	ds_store_b32 v2, v23
	v_sub_nc_u32_e32 v3, v11, v17
	v_sub_nc_u32_e32 v2, v33, v4
	v_cmp_eq_u32_e32 vcc_lo, 1, v6
	v_and_b32_e32 v11, 1, v34
	v_lshlrev_b32_e32 v1, 2, v1
	v_sub_nc_u32_e32 v8, v33, v3
	v_add_nc_u32_e32 v2, 9, v2
	v_add_co_ci_u32_e64 v17, null, s19, 0, s0
	s_add_u32 s0, s16, s23
	s_delay_alu instid0(VALU_DEP_3)
	v_add_nc_u32_e32 v6, 10, v8
	v_and_b32_e32 v8, 1, v14
	v_cndmask_b32_e32 v2, v2, v4, vcc_lo
	v_sub_nc_u32_e32 v4, v33, v7
	s_addc_u32 s1, s17, 0
	s_sub_u32 s0, s12, s0
	v_cmp_eq_u32_e32 vcc_lo, 1, v8
	v_lshlrev_b32_e32 v2, 2, v2
	v_add_nc_u32_e32 v4, 12, v4
	s_subb_u32 s1, s13, s1
	v_add_co_u32 v13, s0, s0, v16
	v_cndmask_b32_e32 v3, v6, v3, vcc_lo
	v_cmp_eq_u32_e32 vcc_lo, 1, v10
	v_add_co_ci_u32_e64 v14, null, s1, 0, s0
	v_or_b32_e32 v34, 0x100, v0
	s_delay_alu instid0(VALU_DEP_4)
	v_lshlrev_b32_e32 v3, 2, v3
	v_cndmask_b32_e32 v5, v9, v5, vcc_lo
	v_cmp_eq_u32_e32 vcc_lo, 1, v11
	v_or_b32_e32 v33, 0x200, v0
	v_or_b32_e32 v23, 0xa00, v0
	v_or_b32_e32 v22, 0xb00, v0
	v_dual_cndmask_b32 v4, v4, v7 :: v_dual_lshlrev_b32 v5, 2, v5
	v_cmp_ne_u32_e32 vcc_lo, 1, v31
	s_delay_alu instid0(VALU_DEP_2)
	v_lshlrev_b32_e32 v4, 2, v4
	ds_store_b32 v1, v20
	ds_store_b32 v2, v21
	;; [unrolled: 1-line block ×5, first 2 shown]
	s_waitcnt lgkmcnt(0)
	s_barrier
	buffer_gl0_inv
	ds_load_2addr_stride64_b32 v[11:12], v30 offset1:4
	ds_load_2addr_stride64_b32 v[9:10], v30 offset0:8 offset1:12
	ds_load_2addr_stride64_b32 v[7:8], v30 offset0:16 offset1:20
	;; [unrolled: 1-line block ×5, first 2 shown]
	ds_load_b32 v18, v30 offset:12288
	v_add_co_u32 v20, s0, v13, v15
	v_or_b32_e32 v32, 0x300, v0
	v_or_b32_e32 v19, 0xc00, v0
	v_add_co_ci_u32_e64 v21, s0, v14, v17, s0
	s_mov_b32 s0, 0
	s_cbranch_vccnz .LBB1315_130
; %bb.77:
	s_mov_b32 s0, exec_lo
                                        ; implicit-def: $vgpr13_vgpr14
	v_cmpx_ge_u32_e64 v0, v16
	s_xor_b32 s0, exec_lo, s0
; %bb.78:
	v_not_b32_e32 v13, v0
	s_delay_alu instid0(VALU_DEP_1) | instskip(SKIP_1) | instid1(VALU_DEP_2)
	v_ashrrev_i32_e32 v14, 31, v13
	v_add_co_u32 v13, vcc_lo, v20, v13
	v_add_co_ci_u32_e32 v14, vcc_lo, v21, v14, vcc_lo
; %bb.79:
	s_and_not1_saveexec_b32 s0, s0
; %bb.80:
	v_add_co_u32 v13, vcc_lo, v15, v0
	v_add_co_ci_u32_e32 v14, vcc_lo, 0, v17, vcc_lo
; %bb.81:
	s_or_b32 exec_lo, exec_lo, s0
	s_delay_alu instid0(VALU_DEP_1) | instskip(SKIP_1) | instid1(VALU_DEP_1)
	v_lshlrev_b64 v[13:14], 2, v[13:14]
	s_mov_b32 s0, exec_lo
	v_add_co_u32 v13, vcc_lo, s10, v13
	s_delay_alu instid0(VALU_DEP_2)
	v_add_co_ci_u32_e32 v14, vcc_lo, s11, v14, vcc_lo
	s_waitcnt lgkmcnt(6)
	global_store_b32 v[13:14], v11, off
                                        ; implicit-def: $vgpr13_vgpr14
	v_cmpx_ge_u32_e64 v34, v16
	s_xor_b32 s0, exec_lo, s0
; %bb.82:
	v_xor_b32_e32 v13, 0xfffffeff, v0
	s_delay_alu instid0(VALU_DEP_1) | instskip(SKIP_1) | instid1(VALU_DEP_2)
	v_ashrrev_i32_e32 v14, 31, v13
	v_add_co_u32 v13, vcc_lo, v20, v13
	v_add_co_ci_u32_e32 v14, vcc_lo, v21, v14, vcc_lo
; %bb.83:
	s_and_not1_saveexec_b32 s0, s0
; %bb.84:
	v_add_co_u32 v13, vcc_lo, v15, v34
	v_add_co_ci_u32_e32 v14, vcc_lo, 0, v17, vcc_lo
; %bb.85:
	s_or_b32 exec_lo, exec_lo, s0
	s_delay_alu instid0(VALU_DEP_1) | instskip(SKIP_1) | instid1(VALU_DEP_1)
	v_lshlrev_b64 v[13:14], 2, v[13:14]
	s_mov_b32 s0, exec_lo
	v_add_co_u32 v13, vcc_lo, s10, v13
	s_delay_alu instid0(VALU_DEP_2)
	v_add_co_ci_u32_e32 v14, vcc_lo, s11, v14, vcc_lo
	global_store_b32 v[13:14], v12, off
                                        ; implicit-def: $vgpr13_vgpr14
	v_cmpx_ge_u32_e64 v33, v16
	s_xor_b32 s0, exec_lo, s0
; %bb.86:
	v_xor_b32_e32 v13, 0xfffffdff, v0
	s_delay_alu instid0(VALU_DEP_1) | instskip(SKIP_1) | instid1(VALU_DEP_2)
	v_ashrrev_i32_e32 v14, 31, v13
	v_add_co_u32 v13, vcc_lo, v20, v13
	v_add_co_ci_u32_e32 v14, vcc_lo, v21, v14, vcc_lo
; %bb.87:
	s_and_not1_saveexec_b32 s0, s0
; %bb.88:
	v_add_co_u32 v13, vcc_lo, v15, v33
	v_add_co_ci_u32_e32 v14, vcc_lo, 0, v17, vcc_lo
; %bb.89:
	s_or_b32 exec_lo, exec_lo, s0
	s_delay_alu instid0(VALU_DEP_1) | instskip(SKIP_1) | instid1(VALU_DEP_1)
	v_lshlrev_b64 v[13:14], 2, v[13:14]
	s_mov_b32 s0, exec_lo
	v_add_co_u32 v13, vcc_lo, s10, v13
	s_delay_alu instid0(VALU_DEP_2)
	v_add_co_ci_u32_e32 v14, vcc_lo, s11, v14, vcc_lo
	s_waitcnt lgkmcnt(5)
	global_store_b32 v[13:14], v9, off
                                        ; implicit-def: $vgpr13_vgpr14
	v_cmpx_ge_u32_e64 v32, v16
	s_xor_b32 s0, exec_lo, s0
; %bb.90:
	v_xor_b32_e32 v13, 0xfffffcff, v0
	s_delay_alu instid0(VALU_DEP_1) | instskip(SKIP_1) | instid1(VALU_DEP_2)
	v_ashrrev_i32_e32 v14, 31, v13
	v_add_co_u32 v13, vcc_lo, v20, v13
	v_add_co_ci_u32_e32 v14, vcc_lo, v21, v14, vcc_lo
; %bb.91:
	s_and_not1_saveexec_b32 s0, s0
; %bb.92:
	v_add_co_u32 v13, vcc_lo, v15, v32
	v_add_co_ci_u32_e32 v14, vcc_lo, 0, v17, vcc_lo
; %bb.93:
	s_or_b32 exec_lo, exec_lo, s0
	s_delay_alu instid0(VALU_DEP_1) | instskip(SKIP_1) | instid1(VALU_DEP_1)
	v_lshlrev_b64 v[13:14], 2, v[13:14]
	s_mov_b32 s0, exec_lo
	v_add_co_u32 v13, vcc_lo, s10, v13
	s_delay_alu instid0(VALU_DEP_2)
	v_add_co_ci_u32_e32 v14, vcc_lo, s11, v14, vcc_lo
	global_store_b32 v[13:14], v10, off
                                        ; implicit-def: $vgpr13_vgpr14
	v_cmpx_ge_u32_e64 v29, v16
	s_xor_b32 s0, exec_lo, s0
; %bb.94:
	v_xor_b32_e32 v13, 0xfffffbff, v0
	;; [unrolled: 47-line block ×6, first 2 shown]
	s_delay_alu instid0(VALU_DEP_1) | instskip(SKIP_1) | instid1(VALU_DEP_2)
	v_ashrrev_i32_e32 v14, 31, v13
	v_add_co_u32 v13, vcc_lo, v20, v13
	v_add_co_ci_u32_e32 v14, vcc_lo, v21, v14, vcc_lo
; %bb.127:
	s_and_not1_saveexec_b32 s0, s0
; %bb.128:
	v_add_co_u32 v13, vcc_lo, v15, v19
	v_add_co_ci_u32_e32 v14, vcc_lo, 0, v17, vcc_lo
; %bb.129:
	s_or_b32 exec_lo, exec_lo, s0
	s_mov_b32 s0, -1
	s_branch .LBB1315_210
.LBB1315_130:
                                        ; implicit-def: $vgpr13_vgpr14
	s_cbranch_execz .LBB1315_210
; %bb.131:
	s_mov_b32 s1, exec_lo
	v_cmpx_gt_u32_e64 s22, v0
	s_cbranch_execz .LBB1315_167
; %bb.132:
	s_mov_b32 s2, exec_lo
                                        ; implicit-def: $vgpr13_vgpr14
	v_cmpx_ge_u32_e64 v0, v16
	s_xor_b32 s2, exec_lo, s2
; %bb.133:
	v_not_b32_e32 v13, v0
	s_delay_alu instid0(VALU_DEP_1) | instskip(SKIP_1) | instid1(VALU_DEP_2)
	v_ashrrev_i32_e32 v14, 31, v13
	v_add_co_u32 v13, vcc_lo, v20, v13
	v_add_co_ci_u32_e32 v14, vcc_lo, v21, v14, vcc_lo
; %bb.134:
	s_and_not1_saveexec_b32 s2, s2
; %bb.135:
	v_add_co_u32 v13, vcc_lo, v15, v0
	v_add_co_ci_u32_e32 v14, vcc_lo, 0, v17, vcc_lo
; %bb.136:
	s_or_b32 exec_lo, exec_lo, s2
	s_delay_alu instid0(VALU_DEP_1) | instskip(NEXT) | instid1(VALU_DEP_1)
	v_lshlrev_b64 v[13:14], 2, v[13:14]
	v_add_co_u32 v13, vcc_lo, s10, v13
	s_delay_alu instid0(VALU_DEP_2) | instskip(SKIP_3) | instid1(SALU_CYCLE_1)
	v_add_co_ci_u32_e32 v14, vcc_lo, s11, v14, vcc_lo
	s_waitcnt lgkmcnt(6)
	global_store_b32 v[13:14], v11, off
	s_or_b32 exec_lo, exec_lo, s1
	s_mov_b32 s1, exec_lo
	v_cmpx_gt_u32_e64 s22, v34
	s_cbranch_execnz .LBB1315_168
.LBB1315_137:
	s_or_b32 exec_lo, exec_lo, s1
	s_delay_alu instid0(SALU_CYCLE_1)
	s_mov_b32 s1, exec_lo
	v_cmpx_gt_u32_e64 s22, v33
	s_cbranch_execz .LBB1315_173
.LBB1315_138:
	s_mov_b32 s2, exec_lo
                                        ; implicit-def: $vgpr11_vgpr12
	v_cmpx_ge_u32_e64 v33, v16
	s_xor_b32 s2, exec_lo, s2
	s_cbranch_execz .LBB1315_140
; %bb.139:
	s_waitcnt lgkmcnt(6)
	v_xor_b32_e32 v11, 0xfffffdff, v0
                                        ; implicit-def: $vgpr33
	s_delay_alu instid0(VALU_DEP_1) | instskip(SKIP_1) | instid1(VALU_DEP_2)
	v_ashrrev_i32_e32 v12, 31, v11
	v_add_co_u32 v11, vcc_lo, v20, v11
	v_add_co_ci_u32_e32 v12, vcc_lo, v21, v12, vcc_lo
.LBB1315_140:
	s_and_not1_saveexec_b32 s2, s2
	s_cbranch_execz .LBB1315_142
; %bb.141:
	s_waitcnt lgkmcnt(6)
	v_add_co_u32 v11, vcc_lo, v15, v33
	v_add_co_ci_u32_e32 v12, vcc_lo, 0, v17, vcc_lo
.LBB1315_142:
	s_or_b32 exec_lo, exec_lo, s2
	s_waitcnt lgkmcnt(6)
	s_delay_alu instid0(VALU_DEP_1) | instskip(NEXT) | instid1(VALU_DEP_1)
	v_lshlrev_b64 v[11:12], 2, v[11:12]
	v_add_co_u32 v11, vcc_lo, s10, v11
	s_delay_alu instid0(VALU_DEP_2) | instskip(SKIP_3) | instid1(SALU_CYCLE_1)
	v_add_co_ci_u32_e32 v12, vcc_lo, s11, v12, vcc_lo
	s_waitcnt lgkmcnt(5)
	global_store_b32 v[11:12], v9, off
	s_or_b32 exec_lo, exec_lo, s1
	s_mov_b32 s1, exec_lo
	v_cmpx_gt_u32_e64 s22, v32
	s_cbranch_execnz .LBB1315_174
.LBB1315_143:
	s_or_b32 exec_lo, exec_lo, s1
	s_delay_alu instid0(SALU_CYCLE_1)
	s_mov_b32 s1, exec_lo
	v_cmpx_gt_u32_e64 s22, v29
	s_cbranch_execz .LBB1315_179
.LBB1315_144:
	s_mov_b32 s2, exec_lo
                                        ; implicit-def: $vgpr9_vgpr10
	v_cmpx_ge_u32_e64 v29, v16
	s_xor_b32 s2, exec_lo, s2
	s_cbranch_execz .LBB1315_146
; %bb.145:
	s_waitcnt lgkmcnt(5)
	v_xor_b32_e32 v9, 0xfffffbff, v0
                                        ; implicit-def: $vgpr29
	s_delay_alu instid0(VALU_DEP_1) | instskip(SKIP_1) | instid1(VALU_DEP_2)
	v_ashrrev_i32_e32 v10, 31, v9
	v_add_co_u32 v9, vcc_lo, v20, v9
	v_add_co_ci_u32_e32 v10, vcc_lo, v21, v10, vcc_lo
.LBB1315_146:
	s_and_not1_saveexec_b32 s2, s2
	s_cbranch_execz .LBB1315_148
; %bb.147:
	s_waitcnt lgkmcnt(5)
	v_add_co_u32 v9, vcc_lo, v15, v29
	v_add_co_ci_u32_e32 v10, vcc_lo, 0, v17, vcc_lo
.LBB1315_148:
	s_or_b32 exec_lo, exec_lo, s2
	s_waitcnt lgkmcnt(5)
	s_delay_alu instid0(VALU_DEP_1) | instskip(NEXT) | instid1(VALU_DEP_1)
	v_lshlrev_b64 v[9:10], 2, v[9:10]
	v_add_co_u32 v9, vcc_lo, s10, v9
	s_delay_alu instid0(VALU_DEP_2) | instskip(SKIP_3) | instid1(SALU_CYCLE_1)
	v_add_co_ci_u32_e32 v10, vcc_lo, s11, v10, vcc_lo
	s_waitcnt lgkmcnt(4)
	global_store_b32 v[9:10], v7, off
	s_or_b32 exec_lo, exec_lo, s1
	s_mov_b32 s1, exec_lo
	v_cmpx_gt_u32_e64 s22, v28
	s_cbranch_execnz .LBB1315_180
.LBB1315_149:
	s_or_b32 exec_lo, exec_lo, s1
	s_delay_alu instid0(SALU_CYCLE_1)
	s_mov_b32 s1, exec_lo
	v_cmpx_gt_u32_e64 s22, v27
	s_cbranch_execz .LBB1315_185
.LBB1315_150:
	s_mov_b32 s2, exec_lo
                                        ; implicit-def: $vgpr7_vgpr8
	v_cmpx_ge_u32_e64 v27, v16
	s_xor_b32 s2, exec_lo, s2
	s_cbranch_execz .LBB1315_152
; %bb.151:
	s_waitcnt lgkmcnt(4)
	v_xor_b32_e32 v7, 0xfffff9ff, v0
                                        ; implicit-def: $vgpr27
	s_delay_alu instid0(VALU_DEP_1) | instskip(SKIP_1) | instid1(VALU_DEP_2)
	v_ashrrev_i32_e32 v8, 31, v7
	v_add_co_u32 v7, vcc_lo, v20, v7
	v_add_co_ci_u32_e32 v8, vcc_lo, v21, v8, vcc_lo
.LBB1315_152:
	s_and_not1_saveexec_b32 s2, s2
	s_cbranch_execz .LBB1315_154
; %bb.153:
	s_waitcnt lgkmcnt(4)
	v_add_co_u32 v7, vcc_lo, v15, v27
	v_add_co_ci_u32_e32 v8, vcc_lo, 0, v17, vcc_lo
.LBB1315_154:
	s_or_b32 exec_lo, exec_lo, s2
	s_waitcnt lgkmcnt(4)
	s_delay_alu instid0(VALU_DEP_1) | instskip(NEXT) | instid1(VALU_DEP_1)
	v_lshlrev_b64 v[7:8], 2, v[7:8]
	v_add_co_u32 v7, vcc_lo, s10, v7
	s_delay_alu instid0(VALU_DEP_2) | instskip(SKIP_3) | instid1(SALU_CYCLE_1)
	v_add_co_ci_u32_e32 v8, vcc_lo, s11, v8, vcc_lo
	s_waitcnt lgkmcnt(3)
	global_store_b32 v[7:8], v5, off
	s_or_b32 exec_lo, exec_lo, s1
	s_mov_b32 s1, exec_lo
	v_cmpx_gt_u32_e64 s22, v26
	s_cbranch_execnz .LBB1315_186
.LBB1315_155:
	s_or_b32 exec_lo, exec_lo, s1
	s_delay_alu instid0(SALU_CYCLE_1)
	s_mov_b32 s1, exec_lo
	v_cmpx_gt_u32_e64 s22, v25
	s_cbranch_execz .LBB1315_191
.LBB1315_156:
	s_mov_b32 s2, exec_lo
                                        ; implicit-def: $vgpr5_vgpr6
	v_cmpx_ge_u32_e64 v25, v16
	s_xor_b32 s2, exec_lo, s2
	s_cbranch_execz .LBB1315_158
; %bb.157:
	s_waitcnt lgkmcnt(3)
	v_xor_b32_e32 v5, 0xfffff7ff, v0
                                        ; implicit-def: $vgpr25
	s_delay_alu instid0(VALU_DEP_1) | instskip(SKIP_1) | instid1(VALU_DEP_2)
	v_ashrrev_i32_e32 v6, 31, v5
	v_add_co_u32 v5, vcc_lo, v20, v5
	v_add_co_ci_u32_e32 v6, vcc_lo, v21, v6, vcc_lo
.LBB1315_158:
	s_and_not1_saveexec_b32 s2, s2
	s_cbranch_execz .LBB1315_160
; %bb.159:
	s_waitcnt lgkmcnt(3)
	v_add_co_u32 v5, vcc_lo, v15, v25
	v_add_co_ci_u32_e32 v6, vcc_lo, 0, v17, vcc_lo
.LBB1315_160:
	s_or_b32 exec_lo, exec_lo, s2
	s_waitcnt lgkmcnt(3)
	s_delay_alu instid0(VALU_DEP_1) | instskip(NEXT) | instid1(VALU_DEP_1)
	v_lshlrev_b64 v[5:6], 2, v[5:6]
	v_add_co_u32 v5, vcc_lo, s10, v5
	s_delay_alu instid0(VALU_DEP_2) | instskip(SKIP_3) | instid1(SALU_CYCLE_1)
	v_add_co_ci_u32_e32 v6, vcc_lo, s11, v6, vcc_lo
	s_waitcnt lgkmcnt(2)
	global_store_b32 v[5:6], v3, off
	s_or_b32 exec_lo, exec_lo, s1
	s_mov_b32 s1, exec_lo
	v_cmpx_gt_u32_e64 s22, v24
	s_cbranch_execnz .LBB1315_192
.LBB1315_161:
	s_or_b32 exec_lo, exec_lo, s1
	s_delay_alu instid0(SALU_CYCLE_1)
	s_mov_b32 s1, exec_lo
	v_cmpx_gt_u32_e64 s22, v23
	s_cbranch_execz .LBB1315_197
.LBB1315_162:
	s_mov_b32 s2, exec_lo
                                        ; implicit-def: $vgpr3_vgpr4
	v_cmpx_ge_u32_e64 v23, v16
	s_xor_b32 s2, exec_lo, s2
	s_cbranch_execz .LBB1315_164
; %bb.163:
	s_waitcnt lgkmcnt(2)
	v_xor_b32_e32 v3, 0xfffff5ff, v0
                                        ; implicit-def: $vgpr23
	s_delay_alu instid0(VALU_DEP_1) | instskip(SKIP_1) | instid1(VALU_DEP_2)
	v_ashrrev_i32_e32 v4, 31, v3
	v_add_co_u32 v3, vcc_lo, v20, v3
	v_add_co_ci_u32_e32 v4, vcc_lo, v21, v4, vcc_lo
.LBB1315_164:
	s_and_not1_saveexec_b32 s2, s2
	s_cbranch_execz .LBB1315_166
; %bb.165:
	s_waitcnt lgkmcnt(2)
	v_add_co_u32 v3, vcc_lo, v15, v23
	v_add_co_ci_u32_e32 v4, vcc_lo, 0, v17, vcc_lo
.LBB1315_166:
	s_or_b32 exec_lo, exec_lo, s2
	s_waitcnt lgkmcnt(2)
	s_delay_alu instid0(VALU_DEP_1) | instskip(NEXT) | instid1(VALU_DEP_1)
	v_lshlrev_b64 v[3:4], 2, v[3:4]
	v_add_co_u32 v3, vcc_lo, s10, v3
	s_delay_alu instid0(VALU_DEP_2) | instskip(SKIP_3) | instid1(SALU_CYCLE_1)
	v_add_co_ci_u32_e32 v4, vcc_lo, s11, v4, vcc_lo
	s_waitcnt lgkmcnt(1)
	global_store_b32 v[3:4], v1, off
	s_or_b32 exec_lo, exec_lo, s1
	s_mov_b32 s1, exec_lo
	v_cmpx_gt_u32_e64 s22, v22
	s_cbranch_execz .LBB1315_203
	s_branch .LBB1315_198
.LBB1315_167:
	s_or_b32 exec_lo, exec_lo, s1
	s_delay_alu instid0(SALU_CYCLE_1)
	s_mov_b32 s1, exec_lo
	v_cmpx_gt_u32_e64 s22, v34
	s_cbranch_execz .LBB1315_137
.LBB1315_168:
	s_mov_b32 s2, exec_lo
                                        ; implicit-def: $vgpr13_vgpr14
	v_cmpx_ge_u32_e64 v34, v16
	s_xor_b32 s2, exec_lo, s2
	s_cbranch_execz .LBB1315_170
; %bb.169:
	s_waitcnt lgkmcnt(6)
	v_xor_b32_e32 v11, 0xfffffeff, v0
                                        ; implicit-def: $vgpr34
	s_delay_alu instid0(VALU_DEP_1) | instskip(SKIP_1) | instid1(VALU_DEP_2)
	v_ashrrev_i32_e32 v14, 31, v11
	v_add_co_u32 v13, vcc_lo, v20, v11
	v_add_co_ci_u32_e32 v14, vcc_lo, v21, v14, vcc_lo
.LBB1315_170:
	s_and_not1_saveexec_b32 s2, s2
; %bb.171:
	v_add_co_u32 v13, vcc_lo, v15, v34
	v_add_co_ci_u32_e32 v14, vcc_lo, 0, v17, vcc_lo
; %bb.172:
	s_or_b32 exec_lo, exec_lo, s2
	s_delay_alu instid0(VALU_DEP_1) | instskip(NEXT) | instid1(VALU_DEP_1)
	v_lshlrev_b64 v[13:14], 2, v[13:14]
	v_add_co_u32 v13, vcc_lo, s10, v13
	s_delay_alu instid0(VALU_DEP_2) | instskip(SKIP_3) | instid1(SALU_CYCLE_1)
	v_add_co_ci_u32_e32 v14, vcc_lo, s11, v14, vcc_lo
	s_waitcnt lgkmcnt(6)
	global_store_b32 v[13:14], v12, off
	s_or_b32 exec_lo, exec_lo, s1
	s_mov_b32 s1, exec_lo
	v_cmpx_gt_u32_e64 s22, v33
	s_cbranch_execnz .LBB1315_138
.LBB1315_173:
	s_or_b32 exec_lo, exec_lo, s1
	s_delay_alu instid0(SALU_CYCLE_1)
	s_mov_b32 s1, exec_lo
	v_cmpx_gt_u32_e64 s22, v32
	s_cbranch_execz .LBB1315_143
.LBB1315_174:
	s_mov_b32 s2, exec_lo
                                        ; implicit-def: $vgpr11_vgpr12
	v_cmpx_ge_u32_e64 v32, v16
	s_xor_b32 s2, exec_lo, s2
	s_cbranch_execz .LBB1315_176
; %bb.175:
	s_waitcnt lgkmcnt(5)
	v_xor_b32_e32 v9, 0xfffffcff, v0
                                        ; implicit-def: $vgpr32
	s_delay_alu instid0(VALU_DEP_1) | instskip(SKIP_1) | instid1(VALU_DEP_2)
	v_ashrrev_i32_e32 v12, 31, v9
	v_add_co_u32 v11, vcc_lo, v20, v9
	v_add_co_ci_u32_e32 v12, vcc_lo, v21, v12, vcc_lo
.LBB1315_176:
	s_and_not1_saveexec_b32 s2, s2
	s_cbranch_execz .LBB1315_178
; %bb.177:
	s_waitcnt lgkmcnt(6)
	v_add_co_u32 v11, vcc_lo, v15, v32
	v_add_co_ci_u32_e32 v12, vcc_lo, 0, v17, vcc_lo
.LBB1315_178:
	s_or_b32 exec_lo, exec_lo, s2
	s_waitcnt lgkmcnt(6)
	s_delay_alu instid0(VALU_DEP_1) | instskip(NEXT) | instid1(VALU_DEP_1)
	v_lshlrev_b64 v[11:12], 2, v[11:12]
	v_add_co_u32 v11, vcc_lo, s10, v11
	s_delay_alu instid0(VALU_DEP_2) | instskip(SKIP_3) | instid1(SALU_CYCLE_1)
	v_add_co_ci_u32_e32 v12, vcc_lo, s11, v12, vcc_lo
	s_waitcnt lgkmcnt(5)
	global_store_b32 v[11:12], v10, off
	s_or_b32 exec_lo, exec_lo, s1
	s_mov_b32 s1, exec_lo
	v_cmpx_gt_u32_e64 s22, v29
	s_cbranch_execnz .LBB1315_144
.LBB1315_179:
	s_or_b32 exec_lo, exec_lo, s1
	s_delay_alu instid0(SALU_CYCLE_1)
	s_mov_b32 s1, exec_lo
	v_cmpx_gt_u32_e64 s22, v28
	s_cbranch_execz .LBB1315_149
.LBB1315_180:
	s_mov_b32 s2, exec_lo
                                        ; implicit-def: $vgpr9_vgpr10
	v_cmpx_ge_u32_e64 v28, v16
	s_xor_b32 s2, exec_lo, s2
	s_cbranch_execz .LBB1315_182
; %bb.181:
	s_waitcnt lgkmcnt(4)
	v_xor_b32_e32 v7, 0xfffffaff, v0
                                        ; implicit-def: $vgpr28
	s_delay_alu instid0(VALU_DEP_1) | instskip(SKIP_1) | instid1(VALU_DEP_2)
	v_ashrrev_i32_e32 v10, 31, v7
	v_add_co_u32 v9, vcc_lo, v20, v7
	v_add_co_ci_u32_e32 v10, vcc_lo, v21, v10, vcc_lo
.LBB1315_182:
	s_and_not1_saveexec_b32 s2, s2
	s_cbranch_execz .LBB1315_184
; %bb.183:
	s_waitcnt lgkmcnt(5)
	v_add_co_u32 v9, vcc_lo, v15, v28
	v_add_co_ci_u32_e32 v10, vcc_lo, 0, v17, vcc_lo
.LBB1315_184:
	s_or_b32 exec_lo, exec_lo, s2
	s_waitcnt lgkmcnt(5)
	s_delay_alu instid0(VALU_DEP_1) | instskip(NEXT) | instid1(VALU_DEP_1)
	v_lshlrev_b64 v[9:10], 2, v[9:10]
	v_add_co_u32 v9, vcc_lo, s10, v9
	s_delay_alu instid0(VALU_DEP_2) | instskip(SKIP_3) | instid1(SALU_CYCLE_1)
	v_add_co_ci_u32_e32 v10, vcc_lo, s11, v10, vcc_lo
	s_waitcnt lgkmcnt(4)
	global_store_b32 v[9:10], v8, off
	s_or_b32 exec_lo, exec_lo, s1
	s_mov_b32 s1, exec_lo
	v_cmpx_gt_u32_e64 s22, v27
	s_cbranch_execnz .LBB1315_150
.LBB1315_185:
	s_or_b32 exec_lo, exec_lo, s1
	s_delay_alu instid0(SALU_CYCLE_1)
	s_mov_b32 s1, exec_lo
	v_cmpx_gt_u32_e64 s22, v26
	s_cbranch_execz .LBB1315_155
.LBB1315_186:
	s_mov_b32 s2, exec_lo
                                        ; implicit-def: $vgpr7_vgpr8
	v_cmpx_ge_u32_e64 v26, v16
	s_xor_b32 s2, exec_lo, s2
	s_cbranch_execz .LBB1315_188
; %bb.187:
	s_waitcnt lgkmcnt(3)
	v_xor_b32_e32 v5, 0xfffff8ff, v0
                                        ; implicit-def: $vgpr26
	s_delay_alu instid0(VALU_DEP_1) | instskip(SKIP_1) | instid1(VALU_DEP_2)
	v_ashrrev_i32_e32 v8, 31, v5
	v_add_co_u32 v7, vcc_lo, v20, v5
	v_add_co_ci_u32_e32 v8, vcc_lo, v21, v8, vcc_lo
.LBB1315_188:
	s_and_not1_saveexec_b32 s2, s2
	s_cbranch_execz .LBB1315_190
; %bb.189:
	s_waitcnt lgkmcnt(4)
	v_add_co_u32 v7, vcc_lo, v15, v26
	v_add_co_ci_u32_e32 v8, vcc_lo, 0, v17, vcc_lo
.LBB1315_190:
	s_or_b32 exec_lo, exec_lo, s2
	s_waitcnt lgkmcnt(4)
	s_delay_alu instid0(VALU_DEP_1) | instskip(NEXT) | instid1(VALU_DEP_1)
	v_lshlrev_b64 v[7:8], 2, v[7:8]
	v_add_co_u32 v7, vcc_lo, s10, v7
	s_delay_alu instid0(VALU_DEP_2) | instskip(SKIP_3) | instid1(SALU_CYCLE_1)
	v_add_co_ci_u32_e32 v8, vcc_lo, s11, v8, vcc_lo
	s_waitcnt lgkmcnt(3)
	global_store_b32 v[7:8], v6, off
	s_or_b32 exec_lo, exec_lo, s1
	s_mov_b32 s1, exec_lo
	v_cmpx_gt_u32_e64 s22, v25
	s_cbranch_execnz .LBB1315_156
.LBB1315_191:
	s_or_b32 exec_lo, exec_lo, s1
	s_delay_alu instid0(SALU_CYCLE_1)
	s_mov_b32 s1, exec_lo
	v_cmpx_gt_u32_e64 s22, v24
	s_cbranch_execz .LBB1315_161
.LBB1315_192:
	s_mov_b32 s2, exec_lo
                                        ; implicit-def: $vgpr5_vgpr6
	v_cmpx_ge_u32_e64 v24, v16
	s_xor_b32 s2, exec_lo, s2
	s_cbranch_execz .LBB1315_194
; %bb.193:
	s_waitcnt lgkmcnt(2)
	v_xor_b32_e32 v3, 0xfffff6ff, v0
                                        ; implicit-def: $vgpr24
	s_delay_alu instid0(VALU_DEP_1) | instskip(SKIP_1) | instid1(VALU_DEP_2)
	v_ashrrev_i32_e32 v6, 31, v3
	v_add_co_u32 v5, vcc_lo, v20, v3
	v_add_co_ci_u32_e32 v6, vcc_lo, v21, v6, vcc_lo
.LBB1315_194:
	s_and_not1_saveexec_b32 s2, s2
	s_cbranch_execz .LBB1315_196
; %bb.195:
	s_waitcnt lgkmcnt(3)
	v_add_co_u32 v5, vcc_lo, v15, v24
	v_add_co_ci_u32_e32 v6, vcc_lo, 0, v17, vcc_lo
.LBB1315_196:
	s_or_b32 exec_lo, exec_lo, s2
	s_waitcnt lgkmcnt(3)
	s_delay_alu instid0(VALU_DEP_1) | instskip(NEXT) | instid1(VALU_DEP_1)
	v_lshlrev_b64 v[5:6], 2, v[5:6]
	v_add_co_u32 v5, vcc_lo, s10, v5
	s_delay_alu instid0(VALU_DEP_2) | instskip(SKIP_3) | instid1(SALU_CYCLE_1)
	v_add_co_ci_u32_e32 v6, vcc_lo, s11, v6, vcc_lo
	s_waitcnt lgkmcnt(2)
	global_store_b32 v[5:6], v4, off
	s_or_b32 exec_lo, exec_lo, s1
	s_mov_b32 s1, exec_lo
	v_cmpx_gt_u32_e64 s22, v23
	s_cbranch_execnz .LBB1315_162
.LBB1315_197:
	s_or_b32 exec_lo, exec_lo, s1
	s_delay_alu instid0(SALU_CYCLE_1)
	s_mov_b32 s1, exec_lo
	v_cmpx_gt_u32_e64 s22, v22
	s_cbranch_execz .LBB1315_203
.LBB1315_198:
	s_mov_b32 s2, exec_lo
                                        ; implicit-def: $vgpr3_vgpr4
	v_cmpx_ge_u32_e64 v22, v16
	s_xor_b32 s2, exec_lo, s2
	s_cbranch_execz .LBB1315_200
; %bb.199:
	s_waitcnt lgkmcnt(1)
	v_xor_b32_e32 v1, 0xfffff4ff, v0
                                        ; implicit-def: $vgpr22
	s_delay_alu instid0(VALU_DEP_1) | instskip(SKIP_1) | instid1(VALU_DEP_2)
	v_ashrrev_i32_e32 v4, 31, v1
	v_add_co_u32 v3, vcc_lo, v20, v1
	v_add_co_ci_u32_e32 v4, vcc_lo, v21, v4, vcc_lo
.LBB1315_200:
	s_and_not1_saveexec_b32 s2, s2
	s_cbranch_execz .LBB1315_202
; %bb.201:
	s_waitcnt lgkmcnt(2)
	v_add_co_u32 v3, vcc_lo, v15, v22
	v_add_co_ci_u32_e32 v4, vcc_lo, 0, v17, vcc_lo
.LBB1315_202:
	s_or_b32 exec_lo, exec_lo, s2
	s_waitcnt lgkmcnt(2)
	s_delay_alu instid0(VALU_DEP_1) | instskip(NEXT) | instid1(VALU_DEP_1)
	v_lshlrev_b64 v[3:4], 2, v[3:4]
	v_add_co_u32 v3, vcc_lo, s10, v3
	s_delay_alu instid0(VALU_DEP_2)
	v_add_co_ci_u32_e32 v4, vcc_lo, s11, v4, vcc_lo
	s_waitcnt lgkmcnt(1)
	global_store_b32 v[3:4], v2, off
.LBB1315_203:
	s_or_b32 exec_lo, exec_lo, s1
	s_delay_alu instid0(SALU_CYCLE_1)
	s_mov_b32 s1, exec_lo
                                        ; implicit-def: $vgpr13_vgpr14
	v_cmpx_gt_u32_e64 s22, v19
	s_cbranch_execz .LBB1315_209
; %bb.204:
	s_mov_b32 s2, exec_lo
                                        ; implicit-def: $vgpr13_vgpr14
	v_cmpx_ge_u32_e64 v19, v16
	s_xor_b32 s2, exec_lo, s2
	s_cbranch_execz .LBB1315_206
; %bb.205:
	s_waitcnt lgkmcnt(1)
	v_xor_b32_e32 v1, 0xfffff3ff, v0
                                        ; implicit-def: $vgpr19
	s_delay_alu instid0(VALU_DEP_1) | instskip(SKIP_1) | instid1(VALU_DEP_2)
	v_ashrrev_i32_e32 v2, 31, v1
	v_add_co_u32 v13, vcc_lo, v20, v1
	v_add_co_ci_u32_e32 v14, vcc_lo, v21, v2, vcc_lo
.LBB1315_206:
	s_and_not1_saveexec_b32 s2, s2
; %bb.207:
	v_add_co_u32 v13, vcc_lo, v15, v19
	v_add_co_ci_u32_e32 v14, vcc_lo, 0, v17, vcc_lo
; %bb.208:
	s_or_b32 exec_lo, exec_lo, s2
	s_delay_alu instid0(SALU_CYCLE_1)
	s_or_b32 s0, s0, exec_lo
.LBB1315_209:
	s_or_b32 exec_lo, exec_lo, s1
.LBB1315_210:
	s_and_saveexec_b32 s1, s0
	s_cbranch_execz .LBB1315_212
; %bb.211:
	s_waitcnt lgkmcnt(1)
	v_lshlrev_b64 v[1:2], 2, v[13:14]
	s_delay_alu instid0(VALU_DEP_1) | instskip(NEXT) | instid1(VALU_DEP_2)
	v_add_co_u32 v1, vcc_lo, s10, v1
	v_add_co_ci_u32_e32 v2, vcc_lo, s11, v2, vcc_lo
	s_waitcnt lgkmcnt(0)
	global_store_b32 v[1:2], v18, off
.LBB1315_212:
	s_or_b32 exec_lo, exec_lo, s1
	v_cmp_eq_u32_e32 vcc_lo, 0, v0
	s_and_b32 s0, vcc_lo, s14
	s_delay_alu instid0(SALU_CYCLE_1)
	s_and_saveexec_b32 s1, s0
	s_cbranch_execz .LBB1315_214
; %bb.213:
	v_add_co_u32 v0, vcc_lo, v15, v16
	s_waitcnt lgkmcnt(1)
	v_mov_b32_e32 v2, 0
	v_add_co_ci_u32_e32 v1, vcc_lo, 0, v17, vcc_lo
	global_store_b64 v2, v[0:1], s[8:9]
.LBB1315_214:
	s_nop 0
	s_sendmsg sendmsg(MSG_DEALLOC_VGPRS)
	s_endpgm
	.section	.rodata,"a",@progbits
	.p2align	6, 0x0
	.amdhsa_kernel _ZN7rocprim17ROCPRIM_400000_NS6detail17trampoline_kernelINS0_13select_configILj256ELj13ELNS0_17block_load_methodE3ELS4_3ELS4_3ELNS0_20block_scan_algorithmE0ELj4294967295EEENS1_25partition_config_selectorILNS1_17partition_subalgoE3EjNS0_10empty_typeEbEEZZNS1_14partition_implILS8_3ELb0ES6_jNS0_17counting_iteratorIjlEEPS9_SE_NS0_5tupleIJPjSE_EEENSF_IJSE_SE_EEES9_SG_JZNS1_25segmented_radix_sort_implINS0_14default_configELb1EPKfPfPKlPlN2at6native12_GLOBAL__N_18offset_tEEE10hipError_tPvRmT1_PNSt15iterator_traitsISY_E10value_typeET2_T3_PNSZ_IS14_E10value_typeET4_jRbjT5_S1A_jjP12ihipStream_tbEUljE_EEESV_SW_SX_S14_S18_S1A_T6_T7_T9_mT8_S1C_bDpT10_ENKUlT_T0_E_clISt17integral_constantIbLb1EES1O_IbLb0EEEEDaS1K_S1L_EUlS1K_E_NS1_11comp_targetILNS1_3genE9ELNS1_11target_archE1100ELNS1_3gpuE3ELNS1_3repE0EEENS1_30default_config_static_selectorELNS0_4arch9wavefront6targetE0EEEvSY_
		.amdhsa_group_segment_fixed_size 13324
		.amdhsa_private_segment_fixed_size 0
		.amdhsa_kernarg_size 144
		.amdhsa_user_sgpr_count 15
		.amdhsa_user_sgpr_dispatch_ptr 0
		.amdhsa_user_sgpr_queue_ptr 0
		.amdhsa_user_sgpr_kernarg_segment_ptr 1
		.amdhsa_user_sgpr_dispatch_id 0
		.amdhsa_user_sgpr_private_segment_size 0
		.amdhsa_wavefront_size32 1
		.amdhsa_uses_dynamic_stack 0
		.amdhsa_enable_private_segment 0
		.amdhsa_system_sgpr_workgroup_id_x 1
		.amdhsa_system_sgpr_workgroup_id_y 0
		.amdhsa_system_sgpr_workgroup_id_z 0
		.amdhsa_system_sgpr_workgroup_info 0
		.amdhsa_system_vgpr_workitem_id 0
		.amdhsa_next_free_vgpr 57
		.amdhsa_next_free_sgpr 28
		.amdhsa_reserve_vcc 1
		.amdhsa_float_round_mode_32 0
		.amdhsa_float_round_mode_16_64 0
		.amdhsa_float_denorm_mode_32 3
		.amdhsa_float_denorm_mode_16_64 3
		.amdhsa_dx10_clamp 1
		.amdhsa_ieee_mode 1
		.amdhsa_fp16_overflow 0
		.amdhsa_workgroup_processor_mode 1
		.amdhsa_memory_ordered 1
		.amdhsa_forward_progress 0
		.amdhsa_shared_vgpr_count 0
		.amdhsa_exception_fp_ieee_invalid_op 0
		.amdhsa_exception_fp_denorm_src 0
		.amdhsa_exception_fp_ieee_div_zero 0
		.amdhsa_exception_fp_ieee_overflow 0
		.amdhsa_exception_fp_ieee_underflow 0
		.amdhsa_exception_fp_ieee_inexact 0
		.amdhsa_exception_int_div_zero 0
	.end_amdhsa_kernel
	.section	.text._ZN7rocprim17ROCPRIM_400000_NS6detail17trampoline_kernelINS0_13select_configILj256ELj13ELNS0_17block_load_methodE3ELS4_3ELS4_3ELNS0_20block_scan_algorithmE0ELj4294967295EEENS1_25partition_config_selectorILNS1_17partition_subalgoE3EjNS0_10empty_typeEbEEZZNS1_14partition_implILS8_3ELb0ES6_jNS0_17counting_iteratorIjlEEPS9_SE_NS0_5tupleIJPjSE_EEENSF_IJSE_SE_EEES9_SG_JZNS1_25segmented_radix_sort_implINS0_14default_configELb1EPKfPfPKlPlN2at6native12_GLOBAL__N_18offset_tEEE10hipError_tPvRmT1_PNSt15iterator_traitsISY_E10value_typeET2_T3_PNSZ_IS14_E10value_typeET4_jRbjT5_S1A_jjP12ihipStream_tbEUljE_EEESV_SW_SX_S14_S18_S1A_T6_T7_T9_mT8_S1C_bDpT10_ENKUlT_T0_E_clISt17integral_constantIbLb1EES1O_IbLb0EEEEDaS1K_S1L_EUlS1K_E_NS1_11comp_targetILNS1_3genE9ELNS1_11target_archE1100ELNS1_3gpuE3ELNS1_3repE0EEENS1_30default_config_static_selectorELNS0_4arch9wavefront6targetE0EEEvSY_,"axG",@progbits,_ZN7rocprim17ROCPRIM_400000_NS6detail17trampoline_kernelINS0_13select_configILj256ELj13ELNS0_17block_load_methodE3ELS4_3ELS4_3ELNS0_20block_scan_algorithmE0ELj4294967295EEENS1_25partition_config_selectorILNS1_17partition_subalgoE3EjNS0_10empty_typeEbEEZZNS1_14partition_implILS8_3ELb0ES6_jNS0_17counting_iteratorIjlEEPS9_SE_NS0_5tupleIJPjSE_EEENSF_IJSE_SE_EEES9_SG_JZNS1_25segmented_radix_sort_implINS0_14default_configELb1EPKfPfPKlPlN2at6native12_GLOBAL__N_18offset_tEEE10hipError_tPvRmT1_PNSt15iterator_traitsISY_E10value_typeET2_T3_PNSZ_IS14_E10value_typeET4_jRbjT5_S1A_jjP12ihipStream_tbEUljE_EEESV_SW_SX_S14_S18_S1A_T6_T7_T9_mT8_S1C_bDpT10_ENKUlT_T0_E_clISt17integral_constantIbLb1EES1O_IbLb0EEEEDaS1K_S1L_EUlS1K_E_NS1_11comp_targetILNS1_3genE9ELNS1_11target_archE1100ELNS1_3gpuE3ELNS1_3repE0EEENS1_30default_config_static_selectorELNS0_4arch9wavefront6targetE0EEEvSY_,comdat
.Lfunc_end1315:
	.size	_ZN7rocprim17ROCPRIM_400000_NS6detail17trampoline_kernelINS0_13select_configILj256ELj13ELNS0_17block_load_methodE3ELS4_3ELS4_3ELNS0_20block_scan_algorithmE0ELj4294967295EEENS1_25partition_config_selectorILNS1_17partition_subalgoE3EjNS0_10empty_typeEbEEZZNS1_14partition_implILS8_3ELb0ES6_jNS0_17counting_iteratorIjlEEPS9_SE_NS0_5tupleIJPjSE_EEENSF_IJSE_SE_EEES9_SG_JZNS1_25segmented_radix_sort_implINS0_14default_configELb1EPKfPfPKlPlN2at6native12_GLOBAL__N_18offset_tEEE10hipError_tPvRmT1_PNSt15iterator_traitsISY_E10value_typeET2_T3_PNSZ_IS14_E10value_typeET4_jRbjT5_S1A_jjP12ihipStream_tbEUljE_EEESV_SW_SX_S14_S18_S1A_T6_T7_T9_mT8_S1C_bDpT10_ENKUlT_T0_E_clISt17integral_constantIbLb1EES1O_IbLb0EEEEDaS1K_S1L_EUlS1K_E_NS1_11comp_targetILNS1_3genE9ELNS1_11target_archE1100ELNS1_3gpuE3ELNS1_3repE0EEENS1_30default_config_static_selectorELNS0_4arch9wavefront6targetE0EEEvSY_, .Lfunc_end1315-_ZN7rocprim17ROCPRIM_400000_NS6detail17trampoline_kernelINS0_13select_configILj256ELj13ELNS0_17block_load_methodE3ELS4_3ELS4_3ELNS0_20block_scan_algorithmE0ELj4294967295EEENS1_25partition_config_selectorILNS1_17partition_subalgoE3EjNS0_10empty_typeEbEEZZNS1_14partition_implILS8_3ELb0ES6_jNS0_17counting_iteratorIjlEEPS9_SE_NS0_5tupleIJPjSE_EEENSF_IJSE_SE_EEES9_SG_JZNS1_25segmented_radix_sort_implINS0_14default_configELb1EPKfPfPKlPlN2at6native12_GLOBAL__N_18offset_tEEE10hipError_tPvRmT1_PNSt15iterator_traitsISY_E10value_typeET2_T3_PNSZ_IS14_E10value_typeET4_jRbjT5_S1A_jjP12ihipStream_tbEUljE_EEESV_SW_SX_S14_S18_S1A_T6_T7_T9_mT8_S1C_bDpT10_ENKUlT_T0_E_clISt17integral_constantIbLb1EES1O_IbLb0EEEEDaS1K_S1L_EUlS1K_E_NS1_11comp_targetILNS1_3genE9ELNS1_11target_archE1100ELNS1_3gpuE3ELNS1_3repE0EEENS1_30default_config_static_selectorELNS0_4arch9wavefront6targetE0EEEvSY_
                                        ; -- End function
	.section	.AMDGPU.csdata,"",@progbits
; Kernel info:
; codeLenInByte = 8964
; NumSgprs: 30
; NumVgprs: 57
; ScratchSize: 0
; MemoryBound: 0
; FloatMode: 240
; IeeeMode: 1
; LDSByteSize: 13324 bytes/workgroup (compile time only)
; SGPRBlocks: 3
; VGPRBlocks: 7
; NumSGPRsForWavesPerEU: 30
; NumVGPRsForWavesPerEU: 57
; Occupancy: 16
; WaveLimiterHint : 0
; COMPUTE_PGM_RSRC2:SCRATCH_EN: 0
; COMPUTE_PGM_RSRC2:USER_SGPR: 15
; COMPUTE_PGM_RSRC2:TRAP_HANDLER: 0
; COMPUTE_PGM_RSRC2:TGID_X_EN: 1
; COMPUTE_PGM_RSRC2:TGID_Y_EN: 0
; COMPUTE_PGM_RSRC2:TGID_Z_EN: 0
; COMPUTE_PGM_RSRC2:TIDIG_COMP_CNT: 0
	.section	.text._ZN7rocprim17ROCPRIM_400000_NS6detail17trampoline_kernelINS0_13select_configILj256ELj13ELNS0_17block_load_methodE3ELS4_3ELS4_3ELNS0_20block_scan_algorithmE0ELj4294967295EEENS1_25partition_config_selectorILNS1_17partition_subalgoE3EjNS0_10empty_typeEbEEZZNS1_14partition_implILS8_3ELb0ES6_jNS0_17counting_iteratorIjlEEPS9_SE_NS0_5tupleIJPjSE_EEENSF_IJSE_SE_EEES9_SG_JZNS1_25segmented_radix_sort_implINS0_14default_configELb1EPKfPfPKlPlN2at6native12_GLOBAL__N_18offset_tEEE10hipError_tPvRmT1_PNSt15iterator_traitsISY_E10value_typeET2_T3_PNSZ_IS14_E10value_typeET4_jRbjT5_S1A_jjP12ihipStream_tbEUljE_EEESV_SW_SX_S14_S18_S1A_T6_T7_T9_mT8_S1C_bDpT10_ENKUlT_T0_E_clISt17integral_constantIbLb1EES1O_IbLb0EEEEDaS1K_S1L_EUlS1K_E_NS1_11comp_targetILNS1_3genE8ELNS1_11target_archE1030ELNS1_3gpuE2ELNS1_3repE0EEENS1_30default_config_static_selectorELNS0_4arch9wavefront6targetE0EEEvSY_,"axG",@progbits,_ZN7rocprim17ROCPRIM_400000_NS6detail17trampoline_kernelINS0_13select_configILj256ELj13ELNS0_17block_load_methodE3ELS4_3ELS4_3ELNS0_20block_scan_algorithmE0ELj4294967295EEENS1_25partition_config_selectorILNS1_17partition_subalgoE3EjNS0_10empty_typeEbEEZZNS1_14partition_implILS8_3ELb0ES6_jNS0_17counting_iteratorIjlEEPS9_SE_NS0_5tupleIJPjSE_EEENSF_IJSE_SE_EEES9_SG_JZNS1_25segmented_radix_sort_implINS0_14default_configELb1EPKfPfPKlPlN2at6native12_GLOBAL__N_18offset_tEEE10hipError_tPvRmT1_PNSt15iterator_traitsISY_E10value_typeET2_T3_PNSZ_IS14_E10value_typeET4_jRbjT5_S1A_jjP12ihipStream_tbEUljE_EEESV_SW_SX_S14_S18_S1A_T6_T7_T9_mT8_S1C_bDpT10_ENKUlT_T0_E_clISt17integral_constantIbLb1EES1O_IbLb0EEEEDaS1K_S1L_EUlS1K_E_NS1_11comp_targetILNS1_3genE8ELNS1_11target_archE1030ELNS1_3gpuE2ELNS1_3repE0EEENS1_30default_config_static_selectorELNS0_4arch9wavefront6targetE0EEEvSY_,comdat
	.globl	_ZN7rocprim17ROCPRIM_400000_NS6detail17trampoline_kernelINS0_13select_configILj256ELj13ELNS0_17block_load_methodE3ELS4_3ELS4_3ELNS0_20block_scan_algorithmE0ELj4294967295EEENS1_25partition_config_selectorILNS1_17partition_subalgoE3EjNS0_10empty_typeEbEEZZNS1_14partition_implILS8_3ELb0ES6_jNS0_17counting_iteratorIjlEEPS9_SE_NS0_5tupleIJPjSE_EEENSF_IJSE_SE_EEES9_SG_JZNS1_25segmented_radix_sort_implINS0_14default_configELb1EPKfPfPKlPlN2at6native12_GLOBAL__N_18offset_tEEE10hipError_tPvRmT1_PNSt15iterator_traitsISY_E10value_typeET2_T3_PNSZ_IS14_E10value_typeET4_jRbjT5_S1A_jjP12ihipStream_tbEUljE_EEESV_SW_SX_S14_S18_S1A_T6_T7_T9_mT8_S1C_bDpT10_ENKUlT_T0_E_clISt17integral_constantIbLb1EES1O_IbLb0EEEEDaS1K_S1L_EUlS1K_E_NS1_11comp_targetILNS1_3genE8ELNS1_11target_archE1030ELNS1_3gpuE2ELNS1_3repE0EEENS1_30default_config_static_selectorELNS0_4arch9wavefront6targetE0EEEvSY_ ; -- Begin function _ZN7rocprim17ROCPRIM_400000_NS6detail17trampoline_kernelINS0_13select_configILj256ELj13ELNS0_17block_load_methodE3ELS4_3ELS4_3ELNS0_20block_scan_algorithmE0ELj4294967295EEENS1_25partition_config_selectorILNS1_17partition_subalgoE3EjNS0_10empty_typeEbEEZZNS1_14partition_implILS8_3ELb0ES6_jNS0_17counting_iteratorIjlEEPS9_SE_NS0_5tupleIJPjSE_EEENSF_IJSE_SE_EEES9_SG_JZNS1_25segmented_radix_sort_implINS0_14default_configELb1EPKfPfPKlPlN2at6native12_GLOBAL__N_18offset_tEEE10hipError_tPvRmT1_PNSt15iterator_traitsISY_E10value_typeET2_T3_PNSZ_IS14_E10value_typeET4_jRbjT5_S1A_jjP12ihipStream_tbEUljE_EEESV_SW_SX_S14_S18_S1A_T6_T7_T9_mT8_S1C_bDpT10_ENKUlT_T0_E_clISt17integral_constantIbLb1EES1O_IbLb0EEEEDaS1K_S1L_EUlS1K_E_NS1_11comp_targetILNS1_3genE8ELNS1_11target_archE1030ELNS1_3gpuE2ELNS1_3repE0EEENS1_30default_config_static_selectorELNS0_4arch9wavefront6targetE0EEEvSY_
	.p2align	8
	.type	_ZN7rocprim17ROCPRIM_400000_NS6detail17trampoline_kernelINS0_13select_configILj256ELj13ELNS0_17block_load_methodE3ELS4_3ELS4_3ELNS0_20block_scan_algorithmE0ELj4294967295EEENS1_25partition_config_selectorILNS1_17partition_subalgoE3EjNS0_10empty_typeEbEEZZNS1_14partition_implILS8_3ELb0ES6_jNS0_17counting_iteratorIjlEEPS9_SE_NS0_5tupleIJPjSE_EEENSF_IJSE_SE_EEES9_SG_JZNS1_25segmented_radix_sort_implINS0_14default_configELb1EPKfPfPKlPlN2at6native12_GLOBAL__N_18offset_tEEE10hipError_tPvRmT1_PNSt15iterator_traitsISY_E10value_typeET2_T3_PNSZ_IS14_E10value_typeET4_jRbjT5_S1A_jjP12ihipStream_tbEUljE_EEESV_SW_SX_S14_S18_S1A_T6_T7_T9_mT8_S1C_bDpT10_ENKUlT_T0_E_clISt17integral_constantIbLb1EES1O_IbLb0EEEEDaS1K_S1L_EUlS1K_E_NS1_11comp_targetILNS1_3genE8ELNS1_11target_archE1030ELNS1_3gpuE2ELNS1_3repE0EEENS1_30default_config_static_selectorELNS0_4arch9wavefront6targetE0EEEvSY_,@function
_ZN7rocprim17ROCPRIM_400000_NS6detail17trampoline_kernelINS0_13select_configILj256ELj13ELNS0_17block_load_methodE3ELS4_3ELS4_3ELNS0_20block_scan_algorithmE0ELj4294967295EEENS1_25partition_config_selectorILNS1_17partition_subalgoE3EjNS0_10empty_typeEbEEZZNS1_14partition_implILS8_3ELb0ES6_jNS0_17counting_iteratorIjlEEPS9_SE_NS0_5tupleIJPjSE_EEENSF_IJSE_SE_EEES9_SG_JZNS1_25segmented_radix_sort_implINS0_14default_configELb1EPKfPfPKlPlN2at6native12_GLOBAL__N_18offset_tEEE10hipError_tPvRmT1_PNSt15iterator_traitsISY_E10value_typeET2_T3_PNSZ_IS14_E10value_typeET4_jRbjT5_S1A_jjP12ihipStream_tbEUljE_EEESV_SW_SX_S14_S18_S1A_T6_T7_T9_mT8_S1C_bDpT10_ENKUlT_T0_E_clISt17integral_constantIbLb1EES1O_IbLb0EEEEDaS1K_S1L_EUlS1K_E_NS1_11comp_targetILNS1_3genE8ELNS1_11target_archE1030ELNS1_3gpuE2ELNS1_3repE0EEENS1_30default_config_static_selectorELNS0_4arch9wavefront6targetE0EEEvSY_: ; @_ZN7rocprim17ROCPRIM_400000_NS6detail17trampoline_kernelINS0_13select_configILj256ELj13ELNS0_17block_load_methodE3ELS4_3ELS4_3ELNS0_20block_scan_algorithmE0ELj4294967295EEENS1_25partition_config_selectorILNS1_17partition_subalgoE3EjNS0_10empty_typeEbEEZZNS1_14partition_implILS8_3ELb0ES6_jNS0_17counting_iteratorIjlEEPS9_SE_NS0_5tupleIJPjSE_EEENSF_IJSE_SE_EEES9_SG_JZNS1_25segmented_radix_sort_implINS0_14default_configELb1EPKfPfPKlPlN2at6native12_GLOBAL__N_18offset_tEEE10hipError_tPvRmT1_PNSt15iterator_traitsISY_E10value_typeET2_T3_PNSZ_IS14_E10value_typeET4_jRbjT5_S1A_jjP12ihipStream_tbEUljE_EEESV_SW_SX_S14_S18_S1A_T6_T7_T9_mT8_S1C_bDpT10_ENKUlT_T0_E_clISt17integral_constantIbLb1EES1O_IbLb0EEEEDaS1K_S1L_EUlS1K_E_NS1_11comp_targetILNS1_3genE8ELNS1_11target_archE1030ELNS1_3gpuE2ELNS1_3repE0EEENS1_30default_config_static_selectorELNS0_4arch9wavefront6targetE0EEEvSY_
; %bb.0:
	.section	.rodata,"a",@progbits
	.p2align	6, 0x0
	.amdhsa_kernel _ZN7rocprim17ROCPRIM_400000_NS6detail17trampoline_kernelINS0_13select_configILj256ELj13ELNS0_17block_load_methodE3ELS4_3ELS4_3ELNS0_20block_scan_algorithmE0ELj4294967295EEENS1_25partition_config_selectorILNS1_17partition_subalgoE3EjNS0_10empty_typeEbEEZZNS1_14partition_implILS8_3ELb0ES6_jNS0_17counting_iteratorIjlEEPS9_SE_NS0_5tupleIJPjSE_EEENSF_IJSE_SE_EEES9_SG_JZNS1_25segmented_radix_sort_implINS0_14default_configELb1EPKfPfPKlPlN2at6native12_GLOBAL__N_18offset_tEEE10hipError_tPvRmT1_PNSt15iterator_traitsISY_E10value_typeET2_T3_PNSZ_IS14_E10value_typeET4_jRbjT5_S1A_jjP12ihipStream_tbEUljE_EEESV_SW_SX_S14_S18_S1A_T6_T7_T9_mT8_S1C_bDpT10_ENKUlT_T0_E_clISt17integral_constantIbLb1EES1O_IbLb0EEEEDaS1K_S1L_EUlS1K_E_NS1_11comp_targetILNS1_3genE8ELNS1_11target_archE1030ELNS1_3gpuE2ELNS1_3repE0EEENS1_30default_config_static_selectorELNS0_4arch9wavefront6targetE0EEEvSY_
		.amdhsa_group_segment_fixed_size 0
		.amdhsa_private_segment_fixed_size 0
		.amdhsa_kernarg_size 144
		.amdhsa_user_sgpr_count 15
		.amdhsa_user_sgpr_dispatch_ptr 0
		.amdhsa_user_sgpr_queue_ptr 0
		.amdhsa_user_sgpr_kernarg_segment_ptr 1
		.amdhsa_user_sgpr_dispatch_id 0
		.amdhsa_user_sgpr_private_segment_size 0
		.amdhsa_wavefront_size32 1
		.amdhsa_uses_dynamic_stack 0
		.amdhsa_enable_private_segment 0
		.amdhsa_system_sgpr_workgroup_id_x 1
		.amdhsa_system_sgpr_workgroup_id_y 0
		.amdhsa_system_sgpr_workgroup_id_z 0
		.amdhsa_system_sgpr_workgroup_info 0
		.amdhsa_system_vgpr_workitem_id 0
		.amdhsa_next_free_vgpr 1
		.amdhsa_next_free_sgpr 1
		.amdhsa_reserve_vcc 0
		.amdhsa_float_round_mode_32 0
		.amdhsa_float_round_mode_16_64 0
		.amdhsa_float_denorm_mode_32 3
		.amdhsa_float_denorm_mode_16_64 3
		.amdhsa_dx10_clamp 1
		.amdhsa_ieee_mode 1
		.amdhsa_fp16_overflow 0
		.amdhsa_workgroup_processor_mode 1
		.amdhsa_memory_ordered 1
		.amdhsa_forward_progress 0
		.amdhsa_shared_vgpr_count 0
		.amdhsa_exception_fp_ieee_invalid_op 0
		.amdhsa_exception_fp_denorm_src 0
		.amdhsa_exception_fp_ieee_div_zero 0
		.amdhsa_exception_fp_ieee_overflow 0
		.amdhsa_exception_fp_ieee_underflow 0
		.amdhsa_exception_fp_ieee_inexact 0
		.amdhsa_exception_int_div_zero 0
	.end_amdhsa_kernel
	.section	.text._ZN7rocprim17ROCPRIM_400000_NS6detail17trampoline_kernelINS0_13select_configILj256ELj13ELNS0_17block_load_methodE3ELS4_3ELS4_3ELNS0_20block_scan_algorithmE0ELj4294967295EEENS1_25partition_config_selectorILNS1_17partition_subalgoE3EjNS0_10empty_typeEbEEZZNS1_14partition_implILS8_3ELb0ES6_jNS0_17counting_iteratorIjlEEPS9_SE_NS0_5tupleIJPjSE_EEENSF_IJSE_SE_EEES9_SG_JZNS1_25segmented_radix_sort_implINS0_14default_configELb1EPKfPfPKlPlN2at6native12_GLOBAL__N_18offset_tEEE10hipError_tPvRmT1_PNSt15iterator_traitsISY_E10value_typeET2_T3_PNSZ_IS14_E10value_typeET4_jRbjT5_S1A_jjP12ihipStream_tbEUljE_EEESV_SW_SX_S14_S18_S1A_T6_T7_T9_mT8_S1C_bDpT10_ENKUlT_T0_E_clISt17integral_constantIbLb1EES1O_IbLb0EEEEDaS1K_S1L_EUlS1K_E_NS1_11comp_targetILNS1_3genE8ELNS1_11target_archE1030ELNS1_3gpuE2ELNS1_3repE0EEENS1_30default_config_static_selectorELNS0_4arch9wavefront6targetE0EEEvSY_,"axG",@progbits,_ZN7rocprim17ROCPRIM_400000_NS6detail17trampoline_kernelINS0_13select_configILj256ELj13ELNS0_17block_load_methodE3ELS4_3ELS4_3ELNS0_20block_scan_algorithmE0ELj4294967295EEENS1_25partition_config_selectorILNS1_17partition_subalgoE3EjNS0_10empty_typeEbEEZZNS1_14partition_implILS8_3ELb0ES6_jNS0_17counting_iteratorIjlEEPS9_SE_NS0_5tupleIJPjSE_EEENSF_IJSE_SE_EEES9_SG_JZNS1_25segmented_radix_sort_implINS0_14default_configELb1EPKfPfPKlPlN2at6native12_GLOBAL__N_18offset_tEEE10hipError_tPvRmT1_PNSt15iterator_traitsISY_E10value_typeET2_T3_PNSZ_IS14_E10value_typeET4_jRbjT5_S1A_jjP12ihipStream_tbEUljE_EEESV_SW_SX_S14_S18_S1A_T6_T7_T9_mT8_S1C_bDpT10_ENKUlT_T0_E_clISt17integral_constantIbLb1EES1O_IbLb0EEEEDaS1K_S1L_EUlS1K_E_NS1_11comp_targetILNS1_3genE8ELNS1_11target_archE1030ELNS1_3gpuE2ELNS1_3repE0EEENS1_30default_config_static_selectorELNS0_4arch9wavefront6targetE0EEEvSY_,comdat
.Lfunc_end1316:
	.size	_ZN7rocprim17ROCPRIM_400000_NS6detail17trampoline_kernelINS0_13select_configILj256ELj13ELNS0_17block_load_methodE3ELS4_3ELS4_3ELNS0_20block_scan_algorithmE0ELj4294967295EEENS1_25partition_config_selectorILNS1_17partition_subalgoE3EjNS0_10empty_typeEbEEZZNS1_14partition_implILS8_3ELb0ES6_jNS0_17counting_iteratorIjlEEPS9_SE_NS0_5tupleIJPjSE_EEENSF_IJSE_SE_EEES9_SG_JZNS1_25segmented_radix_sort_implINS0_14default_configELb1EPKfPfPKlPlN2at6native12_GLOBAL__N_18offset_tEEE10hipError_tPvRmT1_PNSt15iterator_traitsISY_E10value_typeET2_T3_PNSZ_IS14_E10value_typeET4_jRbjT5_S1A_jjP12ihipStream_tbEUljE_EEESV_SW_SX_S14_S18_S1A_T6_T7_T9_mT8_S1C_bDpT10_ENKUlT_T0_E_clISt17integral_constantIbLb1EES1O_IbLb0EEEEDaS1K_S1L_EUlS1K_E_NS1_11comp_targetILNS1_3genE8ELNS1_11target_archE1030ELNS1_3gpuE2ELNS1_3repE0EEENS1_30default_config_static_selectorELNS0_4arch9wavefront6targetE0EEEvSY_, .Lfunc_end1316-_ZN7rocprim17ROCPRIM_400000_NS6detail17trampoline_kernelINS0_13select_configILj256ELj13ELNS0_17block_load_methodE3ELS4_3ELS4_3ELNS0_20block_scan_algorithmE0ELj4294967295EEENS1_25partition_config_selectorILNS1_17partition_subalgoE3EjNS0_10empty_typeEbEEZZNS1_14partition_implILS8_3ELb0ES6_jNS0_17counting_iteratorIjlEEPS9_SE_NS0_5tupleIJPjSE_EEENSF_IJSE_SE_EEES9_SG_JZNS1_25segmented_radix_sort_implINS0_14default_configELb1EPKfPfPKlPlN2at6native12_GLOBAL__N_18offset_tEEE10hipError_tPvRmT1_PNSt15iterator_traitsISY_E10value_typeET2_T3_PNSZ_IS14_E10value_typeET4_jRbjT5_S1A_jjP12ihipStream_tbEUljE_EEESV_SW_SX_S14_S18_S1A_T6_T7_T9_mT8_S1C_bDpT10_ENKUlT_T0_E_clISt17integral_constantIbLb1EES1O_IbLb0EEEEDaS1K_S1L_EUlS1K_E_NS1_11comp_targetILNS1_3genE8ELNS1_11target_archE1030ELNS1_3gpuE2ELNS1_3repE0EEENS1_30default_config_static_selectorELNS0_4arch9wavefront6targetE0EEEvSY_
                                        ; -- End function
	.section	.AMDGPU.csdata,"",@progbits
; Kernel info:
; codeLenInByte = 0
; NumSgprs: 0
; NumVgprs: 0
; ScratchSize: 0
; MemoryBound: 0
; FloatMode: 240
; IeeeMode: 1
; LDSByteSize: 0 bytes/workgroup (compile time only)
; SGPRBlocks: 0
; VGPRBlocks: 0
; NumSGPRsForWavesPerEU: 1
; NumVGPRsForWavesPerEU: 1
; Occupancy: 16
; WaveLimiterHint : 0
; COMPUTE_PGM_RSRC2:SCRATCH_EN: 0
; COMPUTE_PGM_RSRC2:USER_SGPR: 15
; COMPUTE_PGM_RSRC2:TRAP_HANDLER: 0
; COMPUTE_PGM_RSRC2:TGID_X_EN: 1
; COMPUTE_PGM_RSRC2:TGID_Y_EN: 0
; COMPUTE_PGM_RSRC2:TGID_Z_EN: 0
; COMPUTE_PGM_RSRC2:TIDIG_COMP_CNT: 0
	.section	.text._ZN7rocprim17ROCPRIM_400000_NS6detail17trampoline_kernelINS0_13select_configILj256ELj13ELNS0_17block_load_methodE3ELS4_3ELS4_3ELNS0_20block_scan_algorithmE0ELj4294967295EEENS1_25partition_config_selectorILNS1_17partition_subalgoE3EjNS0_10empty_typeEbEEZZNS1_14partition_implILS8_3ELb0ES6_jNS0_17counting_iteratorIjlEEPS9_SE_NS0_5tupleIJPjSE_EEENSF_IJSE_SE_EEES9_SG_JZNS1_25segmented_radix_sort_implINS0_14default_configELb1EPKfPfPKlPlN2at6native12_GLOBAL__N_18offset_tEEE10hipError_tPvRmT1_PNSt15iterator_traitsISY_E10value_typeET2_T3_PNSZ_IS14_E10value_typeET4_jRbjT5_S1A_jjP12ihipStream_tbEUljE_EEESV_SW_SX_S14_S18_S1A_T6_T7_T9_mT8_S1C_bDpT10_ENKUlT_T0_E_clISt17integral_constantIbLb0EES1O_IbLb1EEEEDaS1K_S1L_EUlS1K_E_NS1_11comp_targetILNS1_3genE0ELNS1_11target_archE4294967295ELNS1_3gpuE0ELNS1_3repE0EEENS1_30default_config_static_selectorELNS0_4arch9wavefront6targetE0EEEvSY_,"axG",@progbits,_ZN7rocprim17ROCPRIM_400000_NS6detail17trampoline_kernelINS0_13select_configILj256ELj13ELNS0_17block_load_methodE3ELS4_3ELS4_3ELNS0_20block_scan_algorithmE0ELj4294967295EEENS1_25partition_config_selectorILNS1_17partition_subalgoE3EjNS0_10empty_typeEbEEZZNS1_14partition_implILS8_3ELb0ES6_jNS0_17counting_iteratorIjlEEPS9_SE_NS0_5tupleIJPjSE_EEENSF_IJSE_SE_EEES9_SG_JZNS1_25segmented_radix_sort_implINS0_14default_configELb1EPKfPfPKlPlN2at6native12_GLOBAL__N_18offset_tEEE10hipError_tPvRmT1_PNSt15iterator_traitsISY_E10value_typeET2_T3_PNSZ_IS14_E10value_typeET4_jRbjT5_S1A_jjP12ihipStream_tbEUljE_EEESV_SW_SX_S14_S18_S1A_T6_T7_T9_mT8_S1C_bDpT10_ENKUlT_T0_E_clISt17integral_constantIbLb0EES1O_IbLb1EEEEDaS1K_S1L_EUlS1K_E_NS1_11comp_targetILNS1_3genE0ELNS1_11target_archE4294967295ELNS1_3gpuE0ELNS1_3repE0EEENS1_30default_config_static_selectorELNS0_4arch9wavefront6targetE0EEEvSY_,comdat
	.globl	_ZN7rocprim17ROCPRIM_400000_NS6detail17trampoline_kernelINS0_13select_configILj256ELj13ELNS0_17block_load_methodE3ELS4_3ELS4_3ELNS0_20block_scan_algorithmE0ELj4294967295EEENS1_25partition_config_selectorILNS1_17partition_subalgoE3EjNS0_10empty_typeEbEEZZNS1_14partition_implILS8_3ELb0ES6_jNS0_17counting_iteratorIjlEEPS9_SE_NS0_5tupleIJPjSE_EEENSF_IJSE_SE_EEES9_SG_JZNS1_25segmented_radix_sort_implINS0_14default_configELb1EPKfPfPKlPlN2at6native12_GLOBAL__N_18offset_tEEE10hipError_tPvRmT1_PNSt15iterator_traitsISY_E10value_typeET2_T3_PNSZ_IS14_E10value_typeET4_jRbjT5_S1A_jjP12ihipStream_tbEUljE_EEESV_SW_SX_S14_S18_S1A_T6_T7_T9_mT8_S1C_bDpT10_ENKUlT_T0_E_clISt17integral_constantIbLb0EES1O_IbLb1EEEEDaS1K_S1L_EUlS1K_E_NS1_11comp_targetILNS1_3genE0ELNS1_11target_archE4294967295ELNS1_3gpuE0ELNS1_3repE0EEENS1_30default_config_static_selectorELNS0_4arch9wavefront6targetE0EEEvSY_ ; -- Begin function _ZN7rocprim17ROCPRIM_400000_NS6detail17trampoline_kernelINS0_13select_configILj256ELj13ELNS0_17block_load_methodE3ELS4_3ELS4_3ELNS0_20block_scan_algorithmE0ELj4294967295EEENS1_25partition_config_selectorILNS1_17partition_subalgoE3EjNS0_10empty_typeEbEEZZNS1_14partition_implILS8_3ELb0ES6_jNS0_17counting_iteratorIjlEEPS9_SE_NS0_5tupleIJPjSE_EEENSF_IJSE_SE_EEES9_SG_JZNS1_25segmented_radix_sort_implINS0_14default_configELb1EPKfPfPKlPlN2at6native12_GLOBAL__N_18offset_tEEE10hipError_tPvRmT1_PNSt15iterator_traitsISY_E10value_typeET2_T3_PNSZ_IS14_E10value_typeET4_jRbjT5_S1A_jjP12ihipStream_tbEUljE_EEESV_SW_SX_S14_S18_S1A_T6_T7_T9_mT8_S1C_bDpT10_ENKUlT_T0_E_clISt17integral_constantIbLb0EES1O_IbLb1EEEEDaS1K_S1L_EUlS1K_E_NS1_11comp_targetILNS1_3genE0ELNS1_11target_archE4294967295ELNS1_3gpuE0ELNS1_3repE0EEENS1_30default_config_static_selectorELNS0_4arch9wavefront6targetE0EEEvSY_
	.p2align	8
	.type	_ZN7rocprim17ROCPRIM_400000_NS6detail17trampoline_kernelINS0_13select_configILj256ELj13ELNS0_17block_load_methodE3ELS4_3ELS4_3ELNS0_20block_scan_algorithmE0ELj4294967295EEENS1_25partition_config_selectorILNS1_17partition_subalgoE3EjNS0_10empty_typeEbEEZZNS1_14partition_implILS8_3ELb0ES6_jNS0_17counting_iteratorIjlEEPS9_SE_NS0_5tupleIJPjSE_EEENSF_IJSE_SE_EEES9_SG_JZNS1_25segmented_radix_sort_implINS0_14default_configELb1EPKfPfPKlPlN2at6native12_GLOBAL__N_18offset_tEEE10hipError_tPvRmT1_PNSt15iterator_traitsISY_E10value_typeET2_T3_PNSZ_IS14_E10value_typeET4_jRbjT5_S1A_jjP12ihipStream_tbEUljE_EEESV_SW_SX_S14_S18_S1A_T6_T7_T9_mT8_S1C_bDpT10_ENKUlT_T0_E_clISt17integral_constantIbLb0EES1O_IbLb1EEEEDaS1K_S1L_EUlS1K_E_NS1_11comp_targetILNS1_3genE0ELNS1_11target_archE4294967295ELNS1_3gpuE0ELNS1_3repE0EEENS1_30default_config_static_selectorELNS0_4arch9wavefront6targetE0EEEvSY_,@function
_ZN7rocprim17ROCPRIM_400000_NS6detail17trampoline_kernelINS0_13select_configILj256ELj13ELNS0_17block_load_methodE3ELS4_3ELS4_3ELNS0_20block_scan_algorithmE0ELj4294967295EEENS1_25partition_config_selectorILNS1_17partition_subalgoE3EjNS0_10empty_typeEbEEZZNS1_14partition_implILS8_3ELb0ES6_jNS0_17counting_iteratorIjlEEPS9_SE_NS0_5tupleIJPjSE_EEENSF_IJSE_SE_EEES9_SG_JZNS1_25segmented_radix_sort_implINS0_14default_configELb1EPKfPfPKlPlN2at6native12_GLOBAL__N_18offset_tEEE10hipError_tPvRmT1_PNSt15iterator_traitsISY_E10value_typeET2_T3_PNSZ_IS14_E10value_typeET4_jRbjT5_S1A_jjP12ihipStream_tbEUljE_EEESV_SW_SX_S14_S18_S1A_T6_T7_T9_mT8_S1C_bDpT10_ENKUlT_T0_E_clISt17integral_constantIbLb0EES1O_IbLb1EEEEDaS1K_S1L_EUlS1K_E_NS1_11comp_targetILNS1_3genE0ELNS1_11target_archE4294967295ELNS1_3gpuE0ELNS1_3repE0EEENS1_30default_config_static_selectorELNS0_4arch9wavefront6targetE0EEEvSY_: ; @_ZN7rocprim17ROCPRIM_400000_NS6detail17trampoline_kernelINS0_13select_configILj256ELj13ELNS0_17block_load_methodE3ELS4_3ELS4_3ELNS0_20block_scan_algorithmE0ELj4294967295EEENS1_25partition_config_selectorILNS1_17partition_subalgoE3EjNS0_10empty_typeEbEEZZNS1_14partition_implILS8_3ELb0ES6_jNS0_17counting_iteratorIjlEEPS9_SE_NS0_5tupleIJPjSE_EEENSF_IJSE_SE_EEES9_SG_JZNS1_25segmented_radix_sort_implINS0_14default_configELb1EPKfPfPKlPlN2at6native12_GLOBAL__N_18offset_tEEE10hipError_tPvRmT1_PNSt15iterator_traitsISY_E10value_typeET2_T3_PNSZ_IS14_E10value_typeET4_jRbjT5_S1A_jjP12ihipStream_tbEUljE_EEESV_SW_SX_S14_S18_S1A_T6_T7_T9_mT8_S1C_bDpT10_ENKUlT_T0_E_clISt17integral_constantIbLb0EES1O_IbLb1EEEEDaS1K_S1L_EUlS1K_E_NS1_11comp_targetILNS1_3genE0ELNS1_11target_archE4294967295ELNS1_3gpuE0ELNS1_3repE0EEENS1_30default_config_static_selectorELNS0_4arch9wavefront6targetE0EEEvSY_
; %bb.0:
	.section	.rodata,"a",@progbits
	.p2align	6, 0x0
	.amdhsa_kernel _ZN7rocprim17ROCPRIM_400000_NS6detail17trampoline_kernelINS0_13select_configILj256ELj13ELNS0_17block_load_methodE3ELS4_3ELS4_3ELNS0_20block_scan_algorithmE0ELj4294967295EEENS1_25partition_config_selectorILNS1_17partition_subalgoE3EjNS0_10empty_typeEbEEZZNS1_14partition_implILS8_3ELb0ES6_jNS0_17counting_iteratorIjlEEPS9_SE_NS0_5tupleIJPjSE_EEENSF_IJSE_SE_EEES9_SG_JZNS1_25segmented_radix_sort_implINS0_14default_configELb1EPKfPfPKlPlN2at6native12_GLOBAL__N_18offset_tEEE10hipError_tPvRmT1_PNSt15iterator_traitsISY_E10value_typeET2_T3_PNSZ_IS14_E10value_typeET4_jRbjT5_S1A_jjP12ihipStream_tbEUljE_EEESV_SW_SX_S14_S18_S1A_T6_T7_T9_mT8_S1C_bDpT10_ENKUlT_T0_E_clISt17integral_constantIbLb0EES1O_IbLb1EEEEDaS1K_S1L_EUlS1K_E_NS1_11comp_targetILNS1_3genE0ELNS1_11target_archE4294967295ELNS1_3gpuE0ELNS1_3repE0EEENS1_30default_config_static_selectorELNS0_4arch9wavefront6targetE0EEEvSY_
		.amdhsa_group_segment_fixed_size 0
		.amdhsa_private_segment_fixed_size 0
		.amdhsa_kernarg_size 152
		.amdhsa_user_sgpr_count 15
		.amdhsa_user_sgpr_dispatch_ptr 0
		.amdhsa_user_sgpr_queue_ptr 0
		.amdhsa_user_sgpr_kernarg_segment_ptr 1
		.amdhsa_user_sgpr_dispatch_id 0
		.amdhsa_user_sgpr_private_segment_size 0
		.amdhsa_wavefront_size32 1
		.amdhsa_uses_dynamic_stack 0
		.amdhsa_enable_private_segment 0
		.amdhsa_system_sgpr_workgroup_id_x 1
		.amdhsa_system_sgpr_workgroup_id_y 0
		.amdhsa_system_sgpr_workgroup_id_z 0
		.amdhsa_system_sgpr_workgroup_info 0
		.amdhsa_system_vgpr_workitem_id 0
		.amdhsa_next_free_vgpr 1
		.amdhsa_next_free_sgpr 1
		.amdhsa_reserve_vcc 0
		.amdhsa_float_round_mode_32 0
		.amdhsa_float_round_mode_16_64 0
		.amdhsa_float_denorm_mode_32 3
		.amdhsa_float_denorm_mode_16_64 3
		.amdhsa_dx10_clamp 1
		.amdhsa_ieee_mode 1
		.amdhsa_fp16_overflow 0
		.amdhsa_workgroup_processor_mode 1
		.amdhsa_memory_ordered 1
		.amdhsa_forward_progress 0
		.amdhsa_shared_vgpr_count 0
		.amdhsa_exception_fp_ieee_invalid_op 0
		.amdhsa_exception_fp_denorm_src 0
		.amdhsa_exception_fp_ieee_div_zero 0
		.amdhsa_exception_fp_ieee_overflow 0
		.amdhsa_exception_fp_ieee_underflow 0
		.amdhsa_exception_fp_ieee_inexact 0
		.amdhsa_exception_int_div_zero 0
	.end_amdhsa_kernel
	.section	.text._ZN7rocprim17ROCPRIM_400000_NS6detail17trampoline_kernelINS0_13select_configILj256ELj13ELNS0_17block_load_methodE3ELS4_3ELS4_3ELNS0_20block_scan_algorithmE0ELj4294967295EEENS1_25partition_config_selectorILNS1_17partition_subalgoE3EjNS0_10empty_typeEbEEZZNS1_14partition_implILS8_3ELb0ES6_jNS0_17counting_iteratorIjlEEPS9_SE_NS0_5tupleIJPjSE_EEENSF_IJSE_SE_EEES9_SG_JZNS1_25segmented_radix_sort_implINS0_14default_configELb1EPKfPfPKlPlN2at6native12_GLOBAL__N_18offset_tEEE10hipError_tPvRmT1_PNSt15iterator_traitsISY_E10value_typeET2_T3_PNSZ_IS14_E10value_typeET4_jRbjT5_S1A_jjP12ihipStream_tbEUljE_EEESV_SW_SX_S14_S18_S1A_T6_T7_T9_mT8_S1C_bDpT10_ENKUlT_T0_E_clISt17integral_constantIbLb0EES1O_IbLb1EEEEDaS1K_S1L_EUlS1K_E_NS1_11comp_targetILNS1_3genE0ELNS1_11target_archE4294967295ELNS1_3gpuE0ELNS1_3repE0EEENS1_30default_config_static_selectorELNS0_4arch9wavefront6targetE0EEEvSY_,"axG",@progbits,_ZN7rocprim17ROCPRIM_400000_NS6detail17trampoline_kernelINS0_13select_configILj256ELj13ELNS0_17block_load_methodE3ELS4_3ELS4_3ELNS0_20block_scan_algorithmE0ELj4294967295EEENS1_25partition_config_selectorILNS1_17partition_subalgoE3EjNS0_10empty_typeEbEEZZNS1_14partition_implILS8_3ELb0ES6_jNS0_17counting_iteratorIjlEEPS9_SE_NS0_5tupleIJPjSE_EEENSF_IJSE_SE_EEES9_SG_JZNS1_25segmented_radix_sort_implINS0_14default_configELb1EPKfPfPKlPlN2at6native12_GLOBAL__N_18offset_tEEE10hipError_tPvRmT1_PNSt15iterator_traitsISY_E10value_typeET2_T3_PNSZ_IS14_E10value_typeET4_jRbjT5_S1A_jjP12ihipStream_tbEUljE_EEESV_SW_SX_S14_S18_S1A_T6_T7_T9_mT8_S1C_bDpT10_ENKUlT_T0_E_clISt17integral_constantIbLb0EES1O_IbLb1EEEEDaS1K_S1L_EUlS1K_E_NS1_11comp_targetILNS1_3genE0ELNS1_11target_archE4294967295ELNS1_3gpuE0ELNS1_3repE0EEENS1_30default_config_static_selectorELNS0_4arch9wavefront6targetE0EEEvSY_,comdat
.Lfunc_end1317:
	.size	_ZN7rocprim17ROCPRIM_400000_NS6detail17trampoline_kernelINS0_13select_configILj256ELj13ELNS0_17block_load_methodE3ELS4_3ELS4_3ELNS0_20block_scan_algorithmE0ELj4294967295EEENS1_25partition_config_selectorILNS1_17partition_subalgoE3EjNS0_10empty_typeEbEEZZNS1_14partition_implILS8_3ELb0ES6_jNS0_17counting_iteratorIjlEEPS9_SE_NS0_5tupleIJPjSE_EEENSF_IJSE_SE_EEES9_SG_JZNS1_25segmented_radix_sort_implINS0_14default_configELb1EPKfPfPKlPlN2at6native12_GLOBAL__N_18offset_tEEE10hipError_tPvRmT1_PNSt15iterator_traitsISY_E10value_typeET2_T3_PNSZ_IS14_E10value_typeET4_jRbjT5_S1A_jjP12ihipStream_tbEUljE_EEESV_SW_SX_S14_S18_S1A_T6_T7_T9_mT8_S1C_bDpT10_ENKUlT_T0_E_clISt17integral_constantIbLb0EES1O_IbLb1EEEEDaS1K_S1L_EUlS1K_E_NS1_11comp_targetILNS1_3genE0ELNS1_11target_archE4294967295ELNS1_3gpuE0ELNS1_3repE0EEENS1_30default_config_static_selectorELNS0_4arch9wavefront6targetE0EEEvSY_, .Lfunc_end1317-_ZN7rocprim17ROCPRIM_400000_NS6detail17trampoline_kernelINS0_13select_configILj256ELj13ELNS0_17block_load_methodE3ELS4_3ELS4_3ELNS0_20block_scan_algorithmE0ELj4294967295EEENS1_25partition_config_selectorILNS1_17partition_subalgoE3EjNS0_10empty_typeEbEEZZNS1_14partition_implILS8_3ELb0ES6_jNS0_17counting_iteratorIjlEEPS9_SE_NS0_5tupleIJPjSE_EEENSF_IJSE_SE_EEES9_SG_JZNS1_25segmented_radix_sort_implINS0_14default_configELb1EPKfPfPKlPlN2at6native12_GLOBAL__N_18offset_tEEE10hipError_tPvRmT1_PNSt15iterator_traitsISY_E10value_typeET2_T3_PNSZ_IS14_E10value_typeET4_jRbjT5_S1A_jjP12ihipStream_tbEUljE_EEESV_SW_SX_S14_S18_S1A_T6_T7_T9_mT8_S1C_bDpT10_ENKUlT_T0_E_clISt17integral_constantIbLb0EES1O_IbLb1EEEEDaS1K_S1L_EUlS1K_E_NS1_11comp_targetILNS1_3genE0ELNS1_11target_archE4294967295ELNS1_3gpuE0ELNS1_3repE0EEENS1_30default_config_static_selectorELNS0_4arch9wavefront6targetE0EEEvSY_
                                        ; -- End function
	.section	.AMDGPU.csdata,"",@progbits
; Kernel info:
; codeLenInByte = 0
; NumSgprs: 0
; NumVgprs: 0
; ScratchSize: 0
; MemoryBound: 0
; FloatMode: 240
; IeeeMode: 1
; LDSByteSize: 0 bytes/workgroup (compile time only)
; SGPRBlocks: 0
; VGPRBlocks: 0
; NumSGPRsForWavesPerEU: 1
; NumVGPRsForWavesPerEU: 1
; Occupancy: 16
; WaveLimiterHint : 0
; COMPUTE_PGM_RSRC2:SCRATCH_EN: 0
; COMPUTE_PGM_RSRC2:USER_SGPR: 15
; COMPUTE_PGM_RSRC2:TRAP_HANDLER: 0
; COMPUTE_PGM_RSRC2:TGID_X_EN: 1
; COMPUTE_PGM_RSRC2:TGID_Y_EN: 0
; COMPUTE_PGM_RSRC2:TGID_Z_EN: 0
; COMPUTE_PGM_RSRC2:TIDIG_COMP_CNT: 0
	.section	.text._ZN7rocprim17ROCPRIM_400000_NS6detail17trampoline_kernelINS0_13select_configILj256ELj13ELNS0_17block_load_methodE3ELS4_3ELS4_3ELNS0_20block_scan_algorithmE0ELj4294967295EEENS1_25partition_config_selectorILNS1_17partition_subalgoE3EjNS0_10empty_typeEbEEZZNS1_14partition_implILS8_3ELb0ES6_jNS0_17counting_iteratorIjlEEPS9_SE_NS0_5tupleIJPjSE_EEENSF_IJSE_SE_EEES9_SG_JZNS1_25segmented_radix_sort_implINS0_14default_configELb1EPKfPfPKlPlN2at6native12_GLOBAL__N_18offset_tEEE10hipError_tPvRmT1_PNSt15iterator_traitsISY_E10value_typeET2_T3_PNSZ_IS14_E10value_typeET4_jRbjT5_S1A_jjP12ihipStream_tbEUljE_EEESV_SW_SX_S14_S18_S1A_T6_T7_T9_mT8_S1C_bDpT10_ENKUlT_T0_E_clISt17integral_constantIbLb0EES1O_IbLb1EEEEDaS1K_S1L_EUlS1K_E_NS1_11comp_targetILNS1_3genE5ELNS1_11target_archE942ELNS1_3gpuE9ELNS1_3repE0EEENS1_30default_config_static_selectorELNS0_4arch9wavefront6targetE0EEEvSY_,"axG",@progbits,_ZN7rocprim17ROCPRIM_400000_NS6detail17trampoline_kernelINS0_13select_configILj256ELj13ELNS0_17block_load_methodE3ELS4_3ELS4_3ELNS0_20block_scan_algorithmE0ELj4294967295EEENS1_25partition_config_selectorILNS1_17partition_subalgoE3EjNS0_10empty_typeEbEEZZNS1_14partition_implILS8_3ELb0ES6_jNS0_17counting_iteratorIjlEEPS9_SE_NS0_5tupleIJPjSE_EEENSF_IJSE_SE_EEES9_SG_JZNS1_25segmented_radix_sort_implINS0_14default_configELb1EPKfPfPKlPlN2at6native12_GLOBAL__N_18offset_tEEE10hipError_tPvRmT1_PNSt15iterator_traitsISY_E10value_typeET2_T3_PNSZ_IS14_E10value_typeET4_jRbjT5_S1A_jjP12ihipStream_tbEUljE_EEESV_SW_SX_S14_S18_S1A_T6_T7_T9_mT8_S1C_bDpT10_ENKUlT_T0_E_clISt17integral_constantIbLb0EES1O_IbLb1EEEEDaS1K_S1L_EUlS1K_E_NS1_11comp_targetILNS1_3genE5ELNS1_11target_archE942ELNS1_3gpuE9ELNS1_3repE0EEENS1_30default_config_static_selectorELNS0_4arch9wavefront6targetE0EEEvSY_,comdat
	.globl	_ZN7rocprim17ROCPRIM_400000_NS6detail17trampoline_kernelINS0_13select_configILj256ELj13ELNS0_17block_load_methodE3ELS4_3ELS4_3ELNS0_20block_scan_algorithmE0ELj4294967295EEENS1_25partition_config_selectorILNS1_17partition_subalgoE3EjNS0_10empty_typeEbEEZZNS1_14partition_implILS8_3ELb0ES6_jNS0_17counting_iteratorIjlEEPS9_SE_NS0_5tupleIJPjSE_EEENSF_IJSE_SE_EEES9_SG_JZNS1_25segmented_radix_sort_implINS0_14default_configELb1EPKfPfPKlPlN2at6native12_GLOBAL__N_18offset_tEEE10hipError_tPvRmT1_PNSt15iterator_traitsISY_E10value_typeET2_T3_PNSZ_IS14_E10value_typeET4_jRbjT5_S1A_jjP12ihipStream_tbEUljE_EEESV_SW_SX_S14_S18_S1A_T6_T7_T9_mT8_S1C_bDpT10_ENKUlT_T0_E_clISt17integral_constantIbLb0EES1O_IbLb1EEEEDaS1K_S1L_EUlS1K_E_NS1_11comp_targetILNS1_3genE5ELNS1_11target_archE942ELNS1_3gpuE9ELNS1_3repE0EEENS1_30default_config_static_selectorELNS0_4arch9wavefront6targetE0EEEvSY_ ; -- Begin function _ZN7rocprim17ROCPRIM_400000_NS6detail17trampoline_kernelINS0_13select_configILj256ELj13ELNS0_17block_load_methodE3ELS4_3ELS4_3ELNS0_20block_scan_algorithmE0ELj4294967295EEENS1_25partition_config_selectorILNS1_17partition_subalgoE3EjNS0_10empty_typeEbEEZZNS1_14partition_implILS8_3ELb0ES6_jNS0_17counting_iteratorIjlEEPS9_SE_NS0_5tupleIJPjSE_EEENSF_IJSE_SE_EEES9_SG_JZNS1_25segmented_radix_sort_implINS0_14default_configELb1EPKfPfPKlPlN2at6native12_GLOBAL__N_18offset_tEEE10hipError_tPvRmT1_PNSt15iterator_traitsISY_E10value_typeET2_T3_PNSZ_IS14_E10value_typeET4_jRbjT5_S1A_jjP12ihipStream_tbEUljE_EEESV_SW_SX_S14_S18_S1A_T6_T7_T9_mT8_S1C_bDpT10_ENKUlT_T0_E_clISt17integral_constantIbLb0EES1O_IbLb1EEEEDaS1K_S1L_EUlS1K_E_NS1_11comp_targetILNS1_3genE5ELNS1_11target_archE942ELNS1_3gpuE9ELNS1_3repE0EEENS1_30default_config_static_selectorELNS0_4arch9wavefront6targetE0EEEvSY_
	.p2align	8
	.type	_ZN7rocprim17ROCPRIM_400000_NS6detail17trampoline_kernelINS0_13select_configILj256ELj13ELNS0_17block_load_methodE3ELS4_3ELS4_3ELNS0_20block_scan_algorithmE0ELj4294967295EEENS1_25partition_config_selectorILNS1_17partition_subalgoE3EjNS0_10empty_typeEbEEZZNS1_14partition_implILS8_3ELb0ES6_jNS0_17counting_iteratorIjlEEPS9_SE_NS0_5tupleIJPjSE_EEENSF_IJSE_SE_EEES9_SG_JZNS1_25segmented_radix_sort_implINS0_14default_configELb1EPKfPfPKlPlN2at6native12_GLOBAL__N_18offset_tEEE10hipError_tPvRmT1_PNSt15iterator_traitsISY_E10value_typeET2_T3_PNSZ_IS14_E10value_typeET4_jRbjT5_S1A_jjP12ihipStream_tbEUljE_EEESV_SW_SX_S14_S18_S1A_T6_T7_T9_mT8_S1C_bDpT10_ENKUlT_T0_E_clISt17integral_constantIbLb0EES1O_IbLb1EEEEDaS1K_S1L_EUlS1K_E_NS1_11comp_targetILNS1_3genE5ELNS1_11target_archE942ELNS1_3gpuE9ELNS1_3repE0EEENS1_30default_config_static_selectorELNS0_4arch9wavefront6targetE0EEEvSY_,@function
_ZN7rocprim17ROCPRIM_400000_NS6detail17trampoline_kernelINS0_13select_configILj256ELj13ELNS0_17block_load_methodE3ELS4_3ELS4_3ELNS0_20block_scan_algorithmE0ELj4294967295EEENS1_25partition_config_selectorILNS1_17partition_subalgoE3EjNS0_10empty_typeEbEEZZNS1_14partition_implILS8_3ELb0ES6_jNS0_17counting_iteratorIjlEEPS9_SE_NS0_5tupleIJPjSE_EEENSF_IJSE_SE_EEES9_SG_JZNS1_25segmented_radix_sort_implINS0_14default_configELb1EPKfPfPKlPlN2at6native12_GLOBAL__N_18offset_tEEE10hipError_tPvRmT1_PNSt15iterator_traitsISY_E10value_typeET2_T3_PNSZ_IS14_E10value_typeET4_jRbjT5_S1A_jjP12ihipStream_tbEUljE_EEESV_SW_SX_S14_S18_S1A_T6_T7_T9_mT8_S1C_bDpT10_ENKUlT_T0_E_clISt17integral_constantIbLb0EES1O_IbLb1EEEEDaS1K_S1L_EUlS1K_E_NS1_11comp_targetILNS1_3genE5ELNS1_11target_archE942ELNS1_3gpuE9ELNS1_3repE0EEENS1_30default_config_static_selectorELNS0_4arch9wavefront6targetE0EEEvSY_: ; @_ZN7rocprim17ROCPRIM_400000_NS6detail17trampoline_kernelINS0_13select_configILj256ELj13ELNS0_17block_load_methodE3ELS4_3ELS4_3ELNS0_20block_scan_algorithmE0ELj4294967295EEENS1_25partition_config_selectorILNS1_17partition_subalgoE3EjNS0_10empty_typeEbEEZZNS1_14partition_implILS8_3ELb0ES6_jNS0_17counting_iteratorIjlEEPS9_SE_NS0_5tupleIJPjSE_EEENSF_IJSE_SE_EEES9_SG_JZNS1_25segmented_radix_sort_implINS0_14default_configELb1EPKfPfPKlPlN2at6native12_GLOBAL__N_18offset_tEEE10hipError_tPvRmT1_PNSt15iterator_traitsISY_E10value_typeET2_T3_PNSZ_IS14_E10value_typeET4_jRbjT5_S1A_jjP12ihipStream_tbEUljE_EEESV_SW_SX_S14_S18_S1A_T6_T7_T9_mT8_S1C_bDpT10_ENKUlT_T0_E_clISt17integral_constantIbLb0EES1O_IbLb1EEEEDaS1K_S1L_EUlS1K_E_NS1_11comp_targetILNS1_3genE5ELNS1_11target_archE942ELNS1_3gpuE9ELNS1_3repE0EEENS1_30default_config_static_selectorELNS0_4arch9wavefront6targetE0EEEvSY_
; %bb.0:
	.section	.rodata,"a",@progbits
	.p2align	6, 0x0
	.amdhsa_kernel _ZN7rocprim17ROCPRIM_400000_NS6detail17trampoline_kernelINS0_13select_configILj256ELj13ELNS0_17block_load_methodE3ELS4_3ELS4_3ELNS0_20block_scan_algorithmE0ELj4294967295EEENS1_25partition_config_selectorILNS1_17partition_subalgoE3EjNS0_10empty_typeEbEEZZNS1_14partition_implILS8_3ELb0ES6_jNS0_17counting_iteratorIjlEEPS9_SE_NS0_5tupleIJPjSE_EEENSF_IJSE_SE_EEES9_SG_JZNS1_25segmented_radix_sort_implINS0_14default_configELb1EPKfPfPKlPlN2at6native12_GLOBAL__N_18offset_tEEE10hipError_tPvRmT1_PNSt15iterator_traitsISY_E10value_typeET2_T3_PNSZ_IS14_E10value_typeET4_jRbjT5_S1A_jjP12ihipStream_tbEUljE_EEESV_SW_SX_S14_S18_S1A_T6_T7_T9_mT8_S1C_bDpT10_ENKUlT_T0_E_clISt17integral_constantIbLb0EES1O_IbLb1EEEEDaS1K_S1L_EUlS1K_E_NS1_11comp_targetILNS1_3genE5ELNS1_11target_archE942ELNS1_3gpuE9ELNS1_3repE0EEENS1_30default_config_static_selectorELNS0_4arch9wavefront6targetE0EEEvSY_
		.amdhsa_group_segment_fixed_size 0
		.amdhsa_private_segment_fixed_size 0
		.amdhsa_kernarg_size 152
		.amdhsa_user_sgpr_count 15
		.amdhsa_user_sgpr_dispatch_ptr 0
		.amdhsa_user_sgpr_queue_ptr 0
		.amdhsa_user_sgpr_kernarg_segment_ptr 1
		.amdhsa_user_sgpr_dispatch_id 0
		.amdhsa_user_sgpr_private_segment_size 0
		.amdhsa_wavefront_size32 1
		.amdhsa_uses_dynamic_stack 0
		.amdhsa_enable_private_segment 0
		.amdhsa_system_sgpr_workgroup_id_x 1
		.amdhsa_system_sgpr_workgroup_id_y 0
		.amdhsa_system_sgpr_workgroup_id_z 0
		.amdhsa_system_sgpr_workgroup_info 0
		.amdhsa_system_vgpr_workitem_id 0
		.amdhsa_next_free_vgpr 1
		.amdhsa_next_free_sgpr 1
		.amdhsa_reserve_vcc 0
		.amdhsa_float_round_mode_32 0
		.amdhsa_float_round_mode_16_64 0
		.amdhsa_float_denorm_mode_32 3
		.amdhsa_float_denorm_mode_16_64 3
		.amdhsa_dx10_clamp 1
		.amdhsa_ieee_mode 1
		.amdhsa_fp16_overflow 0
		.amdhsa_workgroup_processor_mode 1
		.amdhsa_memory_ordered 1
		.amdhsa_forward_progress 0
		.amdhsa_shared_vgpr_count 0
		.amdhsa_exception_fp_ieee_invalid_op 0
		.amdhsa_exception_fp_denorm_src 0
		.amdhsa_exception_fp_ieee_div_zero 0
		.amdhsa_exception_fp_ieee_overflow 0
		.amdhsa_exception_fp_ieee_underflow 0
		.amdhsa_exception_fp_ieee_inexact 0
		.amdhsa_exception_int_div_zero 0
	.end_amdhsa_kernel
	.section	.text._ZN7rocprim17ROCPRIM_400000_NS6detail17trampoline_kernelINS0_13select_configILj256ELj13ELNS0_17block_load_methodE3ELS4_3ELS4_3ELNS0_20block_scan_algorithmE0ELj4294967295EEENS1_25partition_config_selectorILNS1_17partition_subalgoE3EjNS0_10empty_typeEbEEZZNS1_14partition_implILS8_3ELb0ES6_jNS0_17counting_iteratorIjlEEPS9_SE_NS0_5tupleIJPjSE_EEENSF_IJSE_SE_EEES9_SG_JZNS1_25segmented_radix_sort_implINS0_14default_configELb1EPKfPfPKlPlN2at6native12_GLOBAL__N_18offset_tEEE10hipError_tPvRmT1_PNSt15iterator_traitsISY_E10value_typeET2_T3_PNSZ_IS14_E10value_typeET4_jRbjT5_S1A_jjP12ihipStream_tbEUljE_EEESV_SW_SX_S14_S18_S1A_T6_T7_T9_mT8_S1C_bDpT10_ENKUlT_T0_E_clISt17integral_constantIbLb0EES1O_IbLb1EEEEDaS1K_S1L_EUlS1K_E_NS1_11comp_targetILNS1_3genE5ELNS1_11target_archE942ELNS1_3gpuE9ELNS1_3repE0EEENS1_30default_config_static_selectorELNS0_4arch9wavefront6targetE0EEEvSY_,"axG",@progbits,_ZN7rocprim17ROCPRIM_400000_NS6detail17trampoline_kernelINS0_13select_configILj256ELj13ELNS0_17block_load_methodE3ELS4_3ELS4_3ELNS0_20block_scan_algorithmE0ELj4294967295EEENS1_25partition_config_selectorILNS1_17partition_subalgoE3EjNS0_10empty_typeEbEEZZNS1_14partition_implILS8_3ELb0ES6_jNS0_17counting_iteratorIjlEEPS9_SE_NS0_5tupleIJPjSE_EEENSF_IJSE_SE_EEES9_SG_JZNS1_25segmented_radix_sort_implINS0_14default_configELb1EPKfPfPKlPlN2at6native12_GLOBAL__N_18offset_tEEE10hipError_tPvRmT1_PNSt15iterator_traitsISY_E10value_typeET2_T3_PNSZ_IS14_E10value_typeET4_jRbjT5_S1A_jjP12ihipStream_tbEUljE_EEESV_SW_SX_S14_S18_S1A_T6_T7_T9_mT8_S1C_bDpT10_ENKUlT_T0_E_clISt17integral_constantIbLb0EES1O_IbLb1EEEEDaS1K_S1L_EUlS1K_E_NS1_11comp_targetILNS1_3genE5ELNS1_11target_archE942ELNS1_3gpuE9ELNS1_3repE0EEENS1_30default_config_static_selectorELNS0_4arch9wavefront6targetE0EEEvSY_,comdat
.Lfunc_end1318:
	.size	_ZN7rocprim17ROCPRIM_400000_NS6detail17trampoline_kernelINS0_13select_configILj256ELj13ELNS0_17block_load_methodE3ELS4_3ELS4_3ELNS0_20block_scan_algorithmE0ELj4294967295EEENS1_25partition_config_selectorILNS1_17partition_subalgoE3EjNS0_10empty_typeEbEEZZNS1_14partition_implILS8_3ELb0ES6_jNS0_17counting_iteratorIjlEEPS9_SE_NS0_5tupleIJPjSE_EEENSF_IJSE_SE_EEES9_SG_JZNS1_25segmented_radix_sort_implINS0_14default_configELb1EPKfPfPKlPlN2at6native12_GLOBAL__N_18offset_tEEE10hipError_tPvRmT1_PNSt15iterator_traitsISY_E10value_typeET2_T3_PNSZ_IS14_E10value_typeET4_jRbjT5_S1A_jjP12ihipStream_tbEUljE_EEESV_SW_SX_S14_S18_S1A_T6_T7_T9_mT8_S1C_bDpT10_ENKUlT_T0_E_clISt17integral_constantIbLb0EES1O_IbLb1EEEEDaS1K_S1L_EUlS1K_E_NS1_11comp_targetILNS1_3genE5ELNS1_11target_archE942ELNS1_3gpuE9ELNS1_3repE0EEENS1_30default_config_static_selectorELNS0_4arch9wavefront6targetE0EEEvSY_, .Lfunc_end1318-_ZN7rocprim17ROCPRIM_400000_NS6detail17trampoline_kernelINS0_13select_configILj256ELj13ELNS0_17block_load_methodE3ELS4_3ELS4_3ELNS0_20block_scan_algorithmE0ELj4294967295EEENS1_25partition_config_selectorILNS1_17partition_subalgoE3EjNS0_10empty_typeEbEEZZNS1_14partition_implILS8_3ELb0ES6_jNS0_17counting_iteratorIjlEEPS9_SE_NS0_5tupleIJPjSE_EEENSF_IJSE_SE_EEES9_SG_JZNS1_25segmented_radix_sort_implINS0_14default_configELb1EPKfPfPKlPlN2at6native12_GLOBAL__N_18offset_tEEE10hipError_tPvRmT1_PNSt15iterator_traitsISY_E10value_typeET2_T3_PNSZ_IS14_E10value_typeET4_jRbjT5_S1A_jjP12ihipStream_tbEUljE_EEESV_SW_SX_S14_S18_S1A_T6_T7_T9_mT8_S1C_bDpT10_ENKUlT_T0_E_clISt17integral_constantIbLb0EES1O_IbLb1EEEEDaS1K_S1L_EUlS1K_E_NS1_11comp_targetILNS1_3genE5ELNS1_11target_archE942ELNS1_3gpuE9ELNS1_3repE0EEENS1_30default_config_static_selectorELNS0_4arch9wavefront6targetE0EEEvSY_
                                        ; -- End function
	.section	.AMDGPU.csdata,"",@progbits
; Kernel info:
; codeLenInByte = 0
; NumSgprs: 0
; NumVgprs: 0
; ScratchSize: 0
; MemoryBound: 0
; FloatMode: 240
; IeeeMode: 1
; LDSByteSize: 0 bytes/workgroup (compile time only)
; SGPRBlocks: 0
; VGPRBlocks: 0
; NumSGPRsForWavesPerEU: 1
; NumVGPRsForWavesPerEU: 1
; Occupancy: 16
; WaveLimiterHint : 0
; COMPUTE_PGM_RSRC2:SCRATCH_EN: 0
; COMPUTE_PGM_RSRC2:USER_SGPR: 15
; COMPUTE_PGM_RSRC2:TRAP_HANDLER: 0
; COMPUTE_PGM_RSRC2:TGID_X_EN: 1
; COMPUTE_PGM_RSRC2:TGID_Y_EN: 0
; COMPUTE_PGM_RSRC2:TGID_Z_EN: 0
; COMPUTE_PGM_RSRC2:TIDIG_COMP_CNT: 0
	.section	.text._ZN7rocprim17ROCPRIM_400000_NS6detail17trampoline_kernelINS0_13select_configILj256ELj13ELNS0_17block_load_methodE3ELS4_3ELS4_3ELNS0_20block_scan_algorithmE0ELj4294967295EEENS1_25partition_config_selectorILNS1_17partition_subalgoE3EjNS0_10empty_typeEbEEZZNS1_14partition_implILS8_3ELb0ES6_jNS0_17counting_iteratorIjlEEPS9_SE_NS0_5tupleIJPjSE_EEENSF_IJSE_SE_EEES9_SG_JZNS1_25segmented_radix_sort_implINS0_14default_configELb1EPKfPfPKlPlN2at6native12_GLOBAL__N_18offset_tEEE10hipError_tPvRmT1_PNSt15iterator_traitsISY_E10value_typeET2_T3_PNSZ_IS14_E10value_typeET4_jRbjT5_S1A_jjP12ihipStream_tbEUljE_EEESV_SW_SX_S14_S18_S1A_T6_T7_T9_mT8_S1C_bDpT10_ENKUlT_T0_E_clISt17integral_constantIbLb0EES1O_IbLb1EEEEDaS1K_S1L_EUlS1K_E_NS1_11comp_targetILNS1_3genE4ELNS1_11target_archE910ELNS1_3gpuE8ELNS1_3repE0EEENS1_30default_config_static_selectorELNS0_4arch9wavefront6targetE0EEEvSY_,"axG",@progbits,_ZN7rocprim17ROCPRIM_400000_NS6detail17trampoline_kernelINS0_13select_configILj256ELj13ELNS0_17block_load_methodE3ELS4_3ELS4_3ELNS0_20block_scan_algorithmE0ELj4294967295EEENS1_25partition_config_selectorILNS1_17partition_subalgoE3EjNS0_10empty_typeEbEEZZNS1_14partition_implILS8_3ELb0ES6_jNS0_17counting_iteratorIjlEEPS9_SE_NS0_5tupleIJPjSE_EEENSF_IJSE_SE_EEES9_SG_JZNS1_25segmented_radix_sort_implINS0_14default_configELb1EPKfPfPKlPlN2at6native12_GLOBAL__N_18offset_tEEE10hipError_tPvRmT1_PNSt15iterator_traitsISY_E10value_typeET2_T3_PNSZ_IS14_E10value_typeET4_jRbjT5_S1A_jjP12ihipStream_tbEUljE_EEESV_SW_SX_S14_S18_S1A_T6_T7_T9_mT8_S1C_bDpT10_ENKUlT_T0_E_clISt17integral_constantIbLb0EES1O_IbLb1EEEEDaS1K_S1L_EUlS1K_E_NS1_11comp_targetILNS1_3genE4ELNS1_11target_archE910ELNS1_3gpuE8ELNS1_3repE0EEENS1_30default_config_static_selectorELNS0_4arch9wavefront6targetE0EEEvSY_,comdat
	.globl	_ZN7rocprim17ROCPRIM_400000_NS6detail17trampoline_kernelINS0_13select_configILj256ELj13ELNS0_17block_load_methodE3ELS4_3ELS4_3ELNS0_20block_scan_algorithmE0ELj4294967295EEENS1_25partition_config_selectorILNS1_17partition_subalgoE3EjNS0_10empty_typeEbEEZZNS1_14partition_implILS8_3ELb0ES6_jNS0_17counting_iteratorIjlEEPS9_SE_NS0_5tupleIJPjSE_EEENSF_IJSE_SE_EEES9_SG_JZNS1_25segmented_radix_sort_implINS0_14default_configELb1EPKfPfPKlPlN2at6native12_GLOBAL__N_18offset_tEEE10hipError_tPvRmT1_PNSt15iterator_traitsISY_E10value_typeET2_T3_PNSZ_IS14_E10value_typeET4_jRbjT5_S1A_jjP12ihipStream_tbEUljE_EEESV_SW_SX_S14_S18_S1A_T6_T7_T9_mT8_S1C_bDpT10_ENKUlT_T0_E_clISt17integral_constantIbLb0EES1O_IbLb1EEEEDaS1K_S1L_EUlS1K_E_NS1_11comp_targetILNS1_3genE4ELNS1_11target_archE910ELNS1_3gpuE8ELNS1_3repE0EEENS1_30default_config_static_selectorELNS0_4arch9wavefront6targetE0EEEvSY_ ; -- Begin function _ZN7rocprim17ROCPRIM_400000_NS6detail17trampoline_kernelINS0_13select_configILj256ELj13ELNS0_17block_load_methodE3ELS4_3ELS4_3ELNS0_20block_scan_algorithmE0ELj4294967295EEENS1_25partition_config_selectorILNS1_17partition_subalgoE3EjNS0_10empty_typeEbEEZZNS1_14partition_implILS8_3ELb0ES6_jNS0_17counting_iteratorIjlEEPS9_SE_NS0_5tupleIJPjSE_EEENSF_IJSE_SE_EEES9_SG_JZNS1_25segmented_radix_sort_implINS0_14default_configELb1EPKfPfPKlPlN2at6native12_GLOBAL__N_18offset_tEEE10hipError_tPvRmT1_PNSt15iterator_traitsISY_E10value_typeET2_T3_PNSZ_IS14_E10value_typeET4_jRbjT5_S1A_jjP12ihipStream_tbEUljE_EEESV_SW_SX_S14_S18_S1A_T6_T7_T9_mT8_S1C_bDpT10_ENKUlT_T0_E_clISt17integral_constantIbLb0EES1O_IbLb1EEEEDaS1K_S1L_EUlS1K_E_NS1_11comp_targetILNS1_3genE4ELNS1_11target_archE910ELNS1_3gpuE8ELNS1_3repE0EEENS1_30default_config_static_selectorELNS0_4arch9wavefront6targetE0EEEvSY_
	.p2align	8
	.type	_ZN7rocprim17ROCPRIM_400000_NS6detail17trampoline_kernelINS0_13select_configILj256ELj13ELNS0_17block_load_methodE3ELS4_3ELS4_3ELNS0_20block_scan_algorithmE0ELj4294967295EEENS1_25partition_config_selectorILNS1_17partition_subalgoE3EjNS0_10empty_typeEbEEZZNS1_14partition_implILS8_3ELb0ES6_jNS0_17counting_iteratorIjlEEPS9_SE_NS0_5tupleIJPjSE_EEENSF_IJSE_SE_EEES9_SG_JZNS1_25segmented_radix_sort_implINS0_14default_configELb1EPKfPfPKlPlN2at6native12_GLOBAL__N_18offset_tEEE10hipError_tPvRmT1_PNSt15iterator_traitsISY_E10value_typeET2_T3_PNSZ_IS14_E10value_typeET4_jRbjT5_S1A_jjP12ihipStream_tbEUljE_EEESV_SW_SX_S14_S18_S1A_T6_T7_T9_mT8_S1C_bDpT10_ENKUlT_T0_E_clISt17integral_constantIbLb0EES1O_IbLb1EEEEDaS1K_S1L_EUlS1K_E_NS1_11comp_targetILNS1_3genE4ELNS1_11target_archE910ELNS1_3gpuE8ELNS1_3repE0EEENS1_30default_config_static_selectorELNS0_4arch9wavefront6targetE0EEEvSY_,@function
_ZN7rocprim17ROCPRIM_400000_NS6detail17trampoline_kernelINS0_13select_configILj256ELj13ELNS0_17block_load_methodE3ELS4_3ELS4_3ELNS0_20block_scan_algorithmE0ELj4294967295EEENS1_25partition_config_selectorILNS1_17partition_subalgoE3EjNS0_10empty_typeEbEEZZNS1_14partition_implILS8_3ELb0ES6_jNS0_17counting_iteratorIjlEEPS9_SE_NS0_5tupleIJPjSE_EEENSF_IJSE_SE_EEES9_SG_JZNS1_25segmented_radix_sort_implINS0_14default_configELb1EPKfPfPKlPlN2at6native12_GLOBAL__N_18offset_tEEE10hipError_tPvRmT1_PNSt15iterator_traitsISY_E10value_typeET2_T3_PNSZ_IS14_E10value_typeET4_jRbjT5_S1A_jjP12ihipStream_tbEUljE_EEESV_SW_SX_S14_S18_S1A_T6_T7_T9_mT8_S1C_bDpT10_ENKUlT_T0_E_clISt17integral_constantIbLb0EES1O_IbLb1EEEEDaS1K_S1L_EUlS1K_E_NS1_11comp_targetILNS1_3genE4ELNS1_11target_archE910ELNS1_3gpuE8ELNS1_3repE0EEENS1_30default_config_static_selectorELNS0_4arch9wavefront6targetE0EEEvSY_: ; @_ZN7rocprim17ROCPRIM_400000_NS6detail17trampoline_kernelINS0_13select_configILj256ELj13ELNS0_17block_load_methodE3ELS4_3ELS4_3ELNS0_20block_scan_algorithmE0ELj4294967295EEENS1_25partition_config_selectorILNS1_17partition_subalgoE3EjNS0_10empty_typeEbEEZZNS1_14partition_implILS8_3ELb0ES6_jNS0_17counting_iteratorIjlEEPS9_SE_NS0_5tupleIJPjSE_EEENSF_IJSE_SE_EEES9_SG_JZNS1_25segmented_radix_sort_implINS0_14default_configELb1EPKfPfPKlPlN2at6native12_GLOBAL__N_18offset_tEEE10hipError_tPvRmT1_PNSt15iterator_traitsISY_E10value_typeET2_T3_PNSZ_IS14_E10value_typeET4_jRbjT5_S1A_jjP12ihipStream_tbEUljE_EEESV_SW_SX_S14_S18_S1A_T6_T7_T9_mT8_S1C_bDpT10_ENKUlT_T0_E_clISt17integral_constantIbLb0EES1O_IbLb1EEEEDaS1K_S1L_EUlS1K_E_NS1_11comp_targetILNS1_3genE4ELNS1_11target_archE910ELNS1_3gpuE8ELNS1_3repE0EEENS1_30default_config_static_selectorELNS0_4arch9wavefront6targetE0EEEvSY_
; %bb.0:
	.section	.rodata,"a",@progbits
	.p2align	6, 0x0
	.amdhsa_kernel _ZN7rocprim17ROCPRIM_400000_NS6detail17trampoline_kernelINS0_13select_configILj256ELj13ELNS0_17block_load_methodE3ELS4_3ELS4_3ELNS0_20block_scan_algorithmE0ELj4294967295EEENS1_25partition_config_selectorILNS1_17partition_subalgoE3EjNS0_10empty_typeEbEEZZNS1_14partition_implILS8_3ELb0ES6_jNS0_17counting_iteratorIjlEEPS9_SE_NS0_5tupleIJPjSE_EEENSF_IJSE_SE_EEES9_SG_JZNS1_25segmented_radix_sort_implINS0_14default_configELb1EPKfPfPKlPlN2at6native12_GLOBAL__N_18offset_tEEE10hipError_tPvRmT1_PNSt15iterator_traitsISY_E10value_typeET2_T3_PNSZ_IS14_E10value_typeET4_jRbjT5_S1A_jjP12ihipStream_tbEUljE_EEESV_SW_SX_S14_S18_S1A_T6_T7_T9_mT8_S1C_bDpT10_ENKUlT_T0_E_clISt17integral_constantIbLb0EES1O_IbLb1EEEEDaS1K_S1L_EUlS1K_E_NS1_11comp_targetILNS1_3genE4ELNS1_11target_archE910ELNS1_3gpuE8ELNS1_3repE0EEENS1_30default_config_static_selectorELNS0_4arch9wavefront6targetE0EEEvSY_
		.amdhsa_group_segment_fixed_size 0
		.amdhsa_private_segment_fixed_size 0
		.amdhsa_kernarg_size 152
		.amdhsa_user_sgpr_count 15
		.amdhsa_user_sgpr_dispatch_ptr 0
		.amdhsa_user_sgpr_queue_ptr 0
		.amdhsa_user_sgpr_kernarg_segment_ptr 1
		.amdhsa_user_sgpr_dispatch_id 0
		.amdhsa_user_sgpr_private_segment_size 0
		.amdhsa_wavefront_size32 1
		.amdhsa_uses_dynamic_stack 0
		.amdhsa_enable_private_segment 0
		.amdhsa_system_sgpr_workgroup_id_x 1
		.amdhsa_system_sgpr_workgroup_id_y 0
		.amdhsa_system_sgpr_workgroup_id_z 0
		.amdhsa_system_sgpr_workgroup_info 0
		.amdhsa_system_vgpr_workitem_id 0
		.amdhsa_next_free_vgpr 1
		.amdhsa_next_free_sgpr 1
		.amdhsa_reserve_vcc 0
		.amdhsa_float_round_mode_32 0
		.amdhsa_float_round_mode_16_64 0
		.amdhsa_float_denorm_mode_32 3
		.amdhsa_float_denorm_mode_16_64 3
		.amdhsa_dx10_clamp 1
		.amdhsa_ieee_mode 1
		.amdhsa_fp16_overflow 0
		.amdhsa_workgroup_processor_mode 1
		.amdhsa_memory_ordered 1
		.amdhsa_forward_progress 0
		.amdhsa_shared_vgpr_count 0
		.amdhsa_exception_fp_ieee_invalid_op 0
		.amdhsa_exception_fp_denorm_src 0
		.amdhsa_exception_fp_ieee_div_zero 0
		.amdhsa_exception_fp_ieee_overflow 0
		.amdhsa_exception_fp_ieee_underflow 0
		.amdhsa_exception_fp_ieee_inexact 0
		.amdhsa_exception_int_div_zero 0
	.end_amdhsa_kernel
	.section	.text._ZN7rocprim17ROCPRIM_400000_NS6detail17trampoline_kernelINS0_13select_configILj256ELj13ELNS0_17block_load_methodE3ELS4_3ELS4_3ELNS0_20block_scan_algorithmE0ELj4294967295EEENS1_25partition_config_selectorILNS1_17partition_subalgoE3EjNS0_10empty_typeEbEEZZNS1_14partition_implILS8_3ELb0ES6_jNS0_17counting_iteratorIjlEEPS9_SE_NS0_5tupleIJPjSE_EEENSF_IJSE_SE_EEES9_SG_JZNS1_25segmented_radix_sort_implINS0_14default_configELb1EPKfPfPKlPlN2at6native12_GLOBAL__N_18offset_tEEE10hipError_tPvRmT1_PNSt15iterator_traitsISY_E10value_typeET2_T3_PNSZ_IS14_E10value_typeET4_jRbjT5_S1A_jjP12ihipStream_tbEUljE_EEESV_SW_SX_S14_S18_S1A_T6_T7_T9_mT8_S1C_bDpT10_ENKUlT_T0_E_clISt17integral_constantIbLb0EES1O_IbLb1EEEEDaS1K_S1L_EUlS1K_E_NS1_11comp_targetILNS1_3genE4ELNS1_11target_archE910ELNS1_3gpuE8ELNS1_3repE0EEENS1_30default_config_static_selectorELNS0_4arch9wavefront6targetE0EEEvSY_,"axG",@progbits,_ZN7rocprim17ROCPRIM_400000_NS6detail17trampoline_kernelINS0_13select_configILj256ELj13ELNS0_17block_load_methodE3ELS4_3ELS4_3ELNS0_20block_scan_algorithmE0ELj4294967295EEENS1_25partition_config_selectorILNS1_17partition_subalgoE3EjNS0_10empty_typeEbEEZZNS1_14partition_implILS8_3ELb0ES6_jNS0_17counting_iteratorIjlEEPS9_SE_NS0_5tupleIJPjSE_EEENSF_IJSE_SE_EEES9_SG_JZNS1_25segmented_radix_sort_implINS0_14default_configELb1EPKfPfPKlPlN2at6native12_GLOBAL__N_18offset_tEEE10hipError_tPvRmT1_PNSt15iterator_traitsISY_E10value_typeET2_T3_PNSZ_IS14_E10value_typeET4_jRbjT5_S1A_jjP12ihipStream_tbEUljE_EEESV_SW_SX_S14_S18_S1A_T6_T7_T9_mT8_S1C_bDpT10_ENKUlT_T0_E_clISt17integral_constantIbLb0EES1O_IbLb1EEEEDaS1K_S1L_EUlS1K_E_NS1_11comp_targetILNS1_3genE4ELNS1_11target_archE910ELNS1_3gpuE8ELNS1_3repE0EEENS1_30default_config_static_selectorELNS0_4arch9wavefront6targetE0EEEvSY_,comdat
.Lfunc_end1319:
	.size	_ZN7rocprim17ROCPRIM_400000_NS6detail17trampoline_kernelINS0_13select_configILj256ELj13ELNS0_17block_load_methodE3ELS4_3ELS4_3ELNS0_20block_scan_algorithmE0ELj4294967295EEENS1_25partition_config_selectorILNS1_17partition_subalgoE3EjNS0_10empty_typeEbEEZZNS1_14partition_implILS8_3ELb0ES6_jNS0_17counting_iteratorIjlEEPS9_SE_NS0_5tupleIJPjSE_EEENSF_IJSE_SE_EEES9_SG_JZNS1_25segmented_radix_sort_implINS0_14default_configELb1EPKfPfPKlPlN2at6native12_GLOBAL__N_18offset_tEEE10hipError_tPvRmT1_PNSt15iterator_traitsISY_E10value_typeET2_T3_PNSZ_IS14_E10value_typeET4_jRbjT5_S1A_jjP12ihipStream_tbEUljE_EEESV_SW_SX_S14_S18_S1A_T6_T7_T9_mT8_S1C_bDpT10_ENKUlT_T0_E_clISt17integral_constantIbLb0EES1O_IbLb1EEEEDaS1K_S1L_EUlS1K_E_NS1_11comp_targetILNS1_3genE4ELNS1_11target_archE910ELNS1_3gpuE8ELNS1_3repE0EEENS1_30default_config_static_selectorELNS0_4arch9wavefront6targetE0EEEvSY_, .Lfunc_end1319-_ZN7rocprim17ROCPRIM_400000_NS6detail17trampoline_kernelINS0_13select_configILj256ELj13ELNS0_17block_load_methodE3ELS4_3ELS4_3ELNS0_20block_scan_algorithmE0ELj4294967295EEENS1_25partition_config_selectorILNS1_17partition_subalgoE3EjNS0_10empty_typeEbEEZZNS1_14partition_implILS8_3ELb0ES6_jNS0_17counting_iteratorIjlEEPS9_SE_NS0_5tupleIJPjSE_EEENSF_IJSE_SE_EEES9_SG_JZNS1_25segmented_radix_sort_implINS0_14default_configELb1EPKfPfPKlPlN2at6native12_GLOBAL__N_18offset_tEEE10hipError_tPvRmT1_PNSt15iterator_traitsISY_E10value_typeET2_T3_PNSZ_IS14_E10value_typeET4_jRbjT5_S1A_jjP12ihipStream_tbEUljE_EEESV_SW_SX_S14_S18_S1A_T6_T7_T9_mT8_S1C_bDpT10_ENKUlT_T0_E_clISt17integral_constantIbLb0EES1O_IbLb1EEEEDaS1K_S1L_EUlS1K_E_NS1_11comp_targetILNS1_3genE4ELNS1_11target_archE910ELNS1_3gpuE8ELNS1_3repE0EEENS1_30default_config_static_selectorELNS0_4arch9wavefront6targetE0EEEvSY_
                                        ; -- End function
	.section	.AMDGPU.csdata,"",@progbits
; Kernel info:
; codeLenInByte = 0
; NumSgprs: 0
; NumVgprs: 0
; ScratchSize: 0
; MemoryBound: 0
; FloatMode: 240
; IeeeMode: 1
; LDSByteSize: 0 bytes/workgroup (compile time only)
; SGPRBlocks: 0
; VGPRBlocks: 0
; NumSGPRsForWavesPerEU: 1
; NumVGPRsForWavesPerEU: 1
; Occupancy: 16
; WaveLimiterHint : 0
; COMPUTE_PGM_RSRC2:SCRATCH_EN: 0
; COMPUTE_PGM_RSRC2:USER_SGPR: 15
; COMPUTE_PGM_RSRC2:TRAP_HANDLER: 0
; COMPUTE_PGM_RSRC2:TGID_X_EN: 1
; COMPUTE_PGM_RSRC2:TGID_Y_EN: 0
; COMPUTE_PGM_RSRC2:TGID_Z_EN: 0
; COMPUTE_PGM_RSRC2:TIDIG_COMP_CNT: 0
	.section	.text._ZN7rocprim17ROCPRIM_400000_NS6detail17trampoline_kernelINS0_13select_configILj256ELj13ELNS0_17block_load_methodE3ELS4_3ELS4_3ELNS0_20block_scan_algorithmE0ELj4294967295EEENS1_25partition_config_selectorILNS1_17partition_subalgoE3EjNS0_10empty_typeEbEEZZNS1_14partition_implILS8_3ELb0ES6_jNS0_17counting_iteratorIjlEEPS9_SE_NS0_5tupleIJPjSE_EEENSF_IJSE_SE_EEES9_SG_JZNS1_25segmented_radix_sort_implINS0_14default_configELb1EPKfPfPKlPlN2at6native12_GLOBAL__N_18offset_tEEE10hipError_tPvRmT1_PNSt15iterator_traitsISY_E10value_typeET2_T3_PNSZ_IS14_E10value_typeET4_jRbjT5_S1A_jjP12ihipStream_tbEUljE_EEESV_SW_SX_S14_S18_S1A_T6_T7_T9_mT8_S1C_bDpT10_ENKUlT_T0_E_clISt17integral_constantIbLb0EES1O_IbLb1EEEEDaS1K_S1L_EUlS1K_E_NS1_11comp_targetILNS1_3genE3ELNS1_11target_archE908ELNS1_3gpuE7ELNS1_3repE0EEENS1_30default_config_static_selectorELNS0_4arch9wavefront6targetE0EEEvSY_,"axG",@progbits,_ZN7rocprim17ROCPRIM_400000_NS6detail17trampoline_kernelINS0_13select_configILj256ELj13ELNS0_17block_load_methodE3ELS4_3ELS4_3ELNS0_20block_scan_algorithmE0ELj4294967295EEENS1_25partition_config_selectorILNS1_17partition_subalgoE3EjNS0_10empty_typeEbEEZZNS1_14partition_implILS8_3ELb0ES6_jNS0_17counting_iteratorIjlEEPS9_SE_NS0_5tupleIJPjSE_EEENSF_IJSE_SE_EEES9_SG_JZNS1_25segmented_radix_sort_implINS0_14default_configELb1EPKfPfPKlPlN2at6native12_GLOBAL__N_18offset_tEEE10hipError_tPvRmT1_PNSt15iterator_traitsISY_E10value_typeET2_T3_PNSZ_IS14_E10value_typeET4_jRbjT5_S1A_jjP12ihipStream_tbEUljE_EEESV_SW_SX_S14_S18_S1A_T6_T7_T9_mT8_S1C_bDpT10_ENKUlT_T0_E_clISt17integral_constantIbLb0EES1O_IbLb1EEEEDaS1K_S1L_EUlS1K_E_NS1_11comp_targetILNS1_3genE3ELNS1_11target_archE908ELNS1_3gpuE7ELNS1_3repE0EEENS1_30default_config_static_selectorELNS0_4arch9wavefront6targetE0EEEvSY_,comdat
	.globl	_ZN7rocprim17ROCPRIM_400000_NS6detail17trampoline_kernelINS0_13select_configILj256ELj13ELNS0_17block_load_methodE3ELS4_3ELS4_3ELNS0_20block_scan_algorithmE0ELj4294967295EEENS1_25partition_config_selectorILNS1_17partition_subalgoE3EjNS0_10empty_typeEbEEZZNS1_14partition_implILS8_3ELb0ES6_jNS0_17counting_iteratorIjlEEPS9_SE_NS0_5tupleIJPjSE_EEENSF_IJSE_SE_EEES9_SG_JZNS1_25segmented_radix_sort_implINS0_14default_configELb1EPKfPfPKlPlN2at6native12_GLOBAL__N_18offset_tEEE10hipError_tPvRmT1_PNSt15iterator_traitsISY_E10value_typeET2_T3_PNSZ_IS14_E10value_typeET4_jRbjT5_S1A_jjP12ihipStream_tbEUljE_EEESV_SW_SX_S14_S18_S1A_T6_T7_T9_mT8_S1C_bDpT10_ENKUlT_T0_E_clISt17integral_constantIbLb0EES1O_IbLb1EEEEDaS1K_S1L_EUlS1K_E_NS1_11comp_targetILNS1_3genE3ELNS1_11target_archE908ELNS1_3gpuE7ELNS1_3repE0EEENS1_30default_config_static_selectorELNS0_4arch9wavefront6targetE0EEEvSY_ ; -- Begin function _ZN7rocprim17ROCPRIM_400000_NS6detail17trampoline_kernelINS0_13select_configILj256ELj13ELNS0_17block_load_methodE3ELS4_3ELS4_3ELNS0_20block_scan_algorithmE0ELj4294967295EEENS1_25partition_config_selectorILNS1_17partition_subalgoE3EjNS0_10empty_typeEbEEZZNS1_14partition_implILS8_3ELb0ES6_jNS0_17counting_iteratorIjlEEPS9_SE_NS0_5tupleIJPjSE_EEENSF_IJSE_SE_EEES9_SG_JZNS1_25segmented_radix_sort_implINS0_14default_configELb1EPKfPfPKlPlN2at6native12_GLOBAL__N_18offset_tEEE10hipError_tPvRmT1_PNSt15iterator_traitsISY_E10value_typeET2_T3_PNSZ_IS14_E10value_typeET4_jRbjT5_S1A_jjP12ihipStream_tbEUljE_EEESV_SW_SX_S14_S18_S1A_T6_T7_T9_mT8_S1C_bDpT10_ENKUlT_T0_E_clISt17integral_constantIbLb0EES1O_IbLb1EEEEDaS1K_S1L_EUlS1K_E_NS1_11comp_targetILNS1_3genE3ELNS1_11target_archE908ELNS1_3gpuE7ELNS1_3repE0EEENS1_30default_config_static_selectorELNS0_4arch9wavefront6targetE0EEEvSY_
	.p2align	8
	.type	_ZN7rocprim17ROCPRIM_400000_NS6detail17trampoline_kernelINS0_13select_configILj256ELj13ELNS0_17block_load_methodE3ELS4_3ELS4_3ELNS0_20block_scan_algorithmE0ELj4294967295EEENS1_25partition_config_selectorILNS1_17partition_subalgoE3EjNS0_10empty_typeEbEEZZNS1_14partition_implILS8_3ELb0ES6_jNS0_17counting_iteratorIjlEEPS9_SE_NS0_5tupleIJPjSE_EEENSF_IJSE_SE_EEES9_SG_JZNS1_25segmented_radix_sort_implINS0_14default_configELb1EPKfPfPKlPlN2at6native12_GLOBAL__N_18offset_tEEE10hipError_tPvRmT1_PNSt15iterator_traitsISY_E10value_typeET2_T3_PNSZ_IS14_E10value_typeET4_jRbjT5_S1A_jjP12ihipStream_tbEUljE_EEESV_SW_SX_S14_S18_S1A_T6_T7_T9_mT8_S1C_bDpT10_ENKUlT_T0_E_clISt17integral_constantIbLb0EES1O_IbLb1EEEEDaS1K_S1L_EUlS1K_E_NS1_11comp_targetILNS1_3genE3ELNS1_11target_archE908ELNS1_3gpuE7ELNS1_3repE0EEENS1_30default_config_static_selectorELNS0_4arch9wavefront6targetE0EEEvSY_,@function
_ZN7rocprim17ROCPRIM_400000_NS6detail17trampoline_kernelINS0_13select_configILj256ELj13ELNS0_17block_load_methodE3ELS4_3ELS4_3ELNS0_20block_scan_algorithmE0ELj4294967295EEENS1_25partition_config_selectorILNS1_17partition_subalgoE3EjNS0_10empty_typeEbEEZZNS1_14partition_implILS8_3ELb0ES6_jNS0_17counting_iteratorIjlEEPS9_SE_NS0_5tupleIJPjSE_EEENSF_IJSE_SE_EEES9_SG_JZNS1_25segmented_radix_sort_implINS0_14default_configELb1EPKfPfPKlPlN2at6native12_GLOBAL__N_18offset_tEEE10hipError_tPvRmT1_PNSt15iterator_traitsISY_E10value_typeET2_T3_PNSZ_IS14_E10value_typeET4_jRbjT5_S1A_jjP12ihipStream_tbEUljE_EEESV_SW_SX_S14_S18_S1A_T6_T7_T9_mT8_S1C_bDpT10_ENKUlT_T0_E_clISt17integral_constantIbLb0EES1O_IbLb1EEEEDaS1K_S1L_EUlS1K_E_NS1_11comp_targetILNS1_3genE3ELNS1_11target_archE908ELNS1_3gpuE7ELNS1_3repE0EEENS1_30default_config_static_selectorELNS0_4arch9wavefront6targetE0EEEvSY_: ; @_ZN7rocprim17ROCPRIM_400000_NS6detail17trampoline_kernelINS0_13select_configILj256ELj13ELNS0_17block_load_methodE3ELS4_3ELS4_3ELNS0_20block_scan_algorithmE0ELj4294967295EEENS1_25partition_config_selectorILNS1_17partition_subalgoE3EjNS0_10empty_typeEbEEZZNS1_14partition_implILS8_3ELb0ES6_jNS0_17counting_iteratorIjlEEPS9_SE_NS0_5tupleIJPjSE_EEENSF_IJSE_SE_EEES9_SG_JZNS1_25segmented_radix_sort_implINS0_14default_configELb1EPKfPfPKlPlN2at6native12_GLOBAL__N_18offset_tEEE10hipError_tPvRmT1_PNSt15iterator_traitsISY_E10value_typeET2_T3_PNSZ_IS14_E10value_typeET4_jRbjT5_S1A_jjP12ihipStream_tbEUljE_EEESV_SW_SX_S14_S18_S1A_T6_T7_T9_mT8_S1C_bDpT10_ENKUlT_T0_E_clISt17integral_constantIbLb0EES1O_IbLb1EEEEDaS1K_S1L_EUlS1K_E_NS1_11comp_targetILNS1_3genE3ELNS1_11target_archE908ELNS1_3gpuE7ELNS1_3repE0EEENS1_30default_config_static_selectorELNS0_4arch9wavefront6targetE0EEEvSY_
; %bb.0:
	.section	.rodata,"a",@progbits
	.p2align	6, 0x0
	.amdhsa_kernel _ZN7rocprim17ROCPRIM_400000_NS6detail17trampoline_kernelINS0_13select_configILj256ELj13ELNS0_17block_load_methodE3ELS4_3ELS4_3ELNS0_20block_scan_algorithmE0ELj4294967295EEENS1_25partition_config_selectorILNS1_17partition_subalgoE3EjNS0_10empty_typeEbEEZZNS1_14partition_implILS8_3ELb0ES6_jNS0_17counting_iteratorIjlEEPS9_SE_NS0_5tupleIJPjSE_EEENSF_IJSE_SE_EEES9_SG_JZNS1_25segmented_radix_sort_implINS0_14default_configELb1EPKfPfPKlPlN2at6native12_GLOBAL__N_18offset_tEEE10hipError_tPvRmT1_PNSt15iterator_traitsISY_E10value_typeET2_T3_PNSZ_IS14_E10value_typeET4_jRbjT5_S1A_jjP12ihipStream_tbEUljE_EEESV_SW_SX_S14_S18_S1A_T6_T7_T9_mT8_S1C_bDpT10_ENKUlT_T0_E_clISt17integral_constantIbLb0EES1O_IbLb1EEEEDaS1K_S1L_EUlS1K_E_NS1_11comp_targetILNS1_3genE3ELNS1_11target_archE908ELNS1_3gpuE7ELNS1_3repE0EEENS1_30default_config_static_selectorELNS0_4arch9wavefront6targetE0EEEvSY_
		.amdhsa_group_segment_fixed_size 0
		.amdhsa_private_segment_fixed_size 0
		.amdhsa_kernarg_size 152
		.amdhsa_user_sgpr_count 15
		.amdhsa_user_sgpr_dispatch_ptr 0
		.amdhsa_user_sgpr_queue_ptr 0
		.amdhsa_user_sgpr_kernarg_segment_ptr 1
		.amdhsa_user_sgpr_dispatch_id 0
		.amdhsa_user_sgpr_private_segment_size 0
		.amdhsa_wavefront_size32 1
		.amdhsa_uses_dynamic_stack 0
		.amdhsa_enable_private_segment 0
		.amdhsa_system_sgpr_workgroup_id_x 1
		.amdhsa_system_sgpr_workgroup_id_y 0
		.amdhsa_system_sgpr_workgroup_id_z 0
		.amdhsa_system_sgpr_workgroup_info 0
		.amdhsa_system_vgpr_workitem_id 0
		.amdhsa_next_free_vgpr 1
		.amdhsa_next_free_sgpr 1
		.amdhsa_reserve_vcc 0
		.amdhsa_float_round_mode_32 0
		.amdhsa_float_round_mode_16_64 0
		.amdhsa_float_denorm_mode_32 3
		.amdhsa_float_denorm_mode_16_64 3
		.amdhsa_dx10_clamp 1
		.amdhsa_ieee_mode 1
		.amdhsa_fp16_overflow 0
		.amdhsa_workgroup_processor_mode 1
		.amdhsa_memory_ordered 1
		.amdhsa_forward_progress 0
		.amdhsa_shared_vgpr_count 0
		.amdhsa_exception_fp_ieee_invalid_op 0
		.amdhsa_exception_fp_denorm_src 0
		.amdhsa_exception_fp_ieee_div_zero 0
		.amdhsa_exception_fp_ieee_overflow 0
		.amdhsa_exception_fp_ieee_underflow 0
		.amdhsa_exception_fp_ieee_inexact 0
		.amdhsa_exception_int_div_zero 0
	.end_amdhsa_kernel
	.section	.text._ZN7rocprim17ROCPRIM_400000_NS6detail17trampoline_kernelINS0_13select_configILj256ELj13ELNS0_17block_load_methodE3ELS4_3ELS4_3ELNS0_20block_scan_algorithmE0ELj4294967295EEENS1_25partition_config_selectorILNS1_17partition_subalgoE3EjNS0_10empty_typeEbEEZZNS1_14partition_implILS8_3ELb0ES6_jNS0_17counting_iteratorIjlEEPS9_SE_NS0_5tupleIJPjSE_EEENSF_IJSE_SE_EEES9_SG_JZNS1_25segmented_radix_sort_implINS0_14default_configELb1EPKfPfPKlPlN2at6native12_GLOBAL__N_18offset_tEEE10hipError_tPvRmT1_PNSt15iterator_traitsISY_E10value_typeET2_T3_PNSZ_IS14_E10value_typeET4_jRbjT5_S1A_jjP12ihipStream_tbEUljE_EEESV_SW_SX_S14_S18_S1A_T6_T7_T9_mT8_S1C_bDpT10_ENKUlT_T0_E_clISt17integral_constantIbLb0EES1O_IbLb1EEEEDaS1K_S1L_EUlS1K_E_NS1_11comp_targetILNS1_3genE3ELNS1_11target_archE908ELNS1_3gpuE7ELNS1_3repE0EEENS1_30default_config_static_selectorELNS0_4arch9wavefront6targetE0EEEvSY_,"axG",@progbits,_ZN7rocprim17ROCPRIM_400000_NS6detail17trampoline_kernelINS0_13select_configILj256ELj13ELNS0_17block_load_methodE3ELS4_3ELS4_3ELNS0_20block_scan_algorithmE0ELj4294967295EEENS1_25partition_config_selectorILNS1_17partition_subalgoE3EjNS0_10empty_typeEbEEZZNS1_14partition_implILS8_3ELb0ES6_jNS0_17counting_iteratorIjlEEPS9_SE_NS0_5tupleIJPjSE_EEENSF_IJSE_SE_EEES9_SG_JZNS1_25segmented_radix_sort_implINS0_14default_configELb1EPKfPfPKlPlN2at6native12_GLOBAL__N_18offset_tEEE10hipError_tPvRmT1_PNSt15iterator_traitsISY_E10value_typeET2_T3_PNSZ_IS14_E10value_typeET4_jRbjT5_S1A_jjP12ihipStream_tbEUljE_EEESV_SW_SX_S14_S18_S1A_T6_T7_T9_mT8_S1C_bDpT10_ENKUlT_T0_E_clISt17integral_constantIbLb0EES1O_IbLb1EEEEDaS1K_S1L_EUlS1K_E_NS1_11comp_targetILNS1_3genE3ELNS1_11target_archE908ELNS1_3gpuE7ELNS1_3repE0EEENS1_30default_config_static_selectorELNS0_4arch9wavefront6targetE0EEEvSY_,comdat
.Lfunc_end1320:
	.size	_ZN7rocprim17ROCPRIM_400000_NS6detail17trampoline_kernelINS0_13select_configILj256ELj13ELNS0_17block_load_methodE3ELS4_3ELS4_3ELNS0_20block_scan_algorithmE0ELj4294967295EEENS1_25partition_config_selectorILNS1_17partition_subalgoE3EjNS0_10empty_typeEbEEZZNS1_14partition_implILS8_3ELb0ES6_jNS0_17counting_iteratorIjlEEPS9_SE_NS0_5tupleIJPjSE_EEENSF_IJSE_SE_EEES9_SG_JZNS1_25segmented_radix_sort_implINS0_14default_configELb1EPKfPfPKlPlN2at6native12_GLOBAL__N_18offset_tEEE10hipError_tPvRmT1_PNSt15iterator_traitsISY_E10value_typeET2_T3_PNSZ_IS14_E10value_typeET4_jRbjT5_S1A_jjP12ihipStream_tbEUljE_EEESV_SW_SX_S14_S18_S1A_T6_T7_T9_mT8_S1C_bDpT10_ENKUlT_T0_E_clISt17integral_constantIbLb0EES1O_IbLb1EEEEDaS1K_S1L_EUlS1K_E_NS1_11comp_targetILNS1_3genE3ELNS1_11target_archE908ELNS1_3gpuE7ELNS1_3repE0EEENS1_30default_config_static_selectorELNS0_4arch9wavefront6targetE0EEEvSY_, .Lfunc_end1320-_ZN7rocprim17ROCPRIM_400000_NS6detail17trampoline_kernelINS0_13select_configILj256ELj13ELNS0_17block_load_methodE3ELS4_3ELS4_3ELNS0_20block_scan_algorithmE0ELj4294967295EEENS1_25partition_config_selectorILNS1_17partition_subalgoE3EjNS0_10empty_typeEbEEZZNS1_14partition_implILS8_3ELb0ES6_jNS0_17counting_iteratorIjlEEPS9_SE_NS0_5tupleIJPjSE_EEENSF_IJSE_SE_EEES9_SG_JZNS1_25segmented_radix_sort_implINS0_14default_configELb1EPKfPfPKlPlN2at6native12_GLOBAL__N_18offset_tEEE10hipError_tPvRmT1_PNSt15iterator_traitsISY_E10value_typeET2_T3_PNSZ_IS14_E10value_typeET4_jRbjT5_S1A_jjP12ihipStream_tbEUljE_EEESV_SW_SX_S14_S18_S1A_T6_T7_T9_mT8_S1C_bDpT10_ENKUlT_T0_E_clISt17integral_constantIbLb0EES1O_IbLb1EEEEDaS1K_S1L_EUlS1K_E_NS1_11comp_targetILNS1_3genE3ELNS1_11target_archE908ELNS1_3gpuE7ELNS1_3repE0EEENS1_30default_config_static_selectorELNS0_4arch9wavefront6targetE0EEEvSY_
                                        ; -- End function
	.section	.AMDGPU.csdata,"",@progbits
; Kernel info:
; codeLenInByte = 0
; NumSgprs: 0
; NumVgprs: 0
; ScratchSize: 0
; MemoryBound: 0
; FloatMode: 240
; IeeeMode: 1
; LDSByteSize: 0 bytes/workgroup (compile time only)
; SGPRBlocks: 0
; VGPRBlocks: 0
; NumSGPRsForWavesPerEU: 1
; NumVGPRsForWavesPerEU: 1
; Occupancy: 16
; WaveLimiterHint : 0
; COMPUTE_PGM_RSRC2:SCRATCH_EN: 0
; COMPUTE_PGM_RSRC2:USER_SGPR: 15
; COMPUTE_PGM_RSRC2:TRAP_HANDLER: 0
; COMPUTE_PGM_RSRC2:TGID_X_EN: 1
; COMPUTE_PGM_RSRC2:TGID_Y_EN: 0
; COMPUTE_PGM_RSRC2:TGID_Z_EN: 0
; COMPUTE_PGM_RSRC2:TIDIG_COMP_CNT: 0
	.section	.text._ZN7rocprim17ROCPRIM_400000_NS6detail17trampoline_kernelINS0_13select_configILj256ELj13ELNS0_17block_load_methodE3ELS4_3ELS4_3ELNS0_20block_scan_algorithmE0ELj4294967295EEENS1_25partition_config_selectorILNS1_17partition_subalgoE3EjNS0_10empty_typeEbEEZZNS1_14partition_implILS8_3ELb0ES6_jNS0_17counting_iteratorIjlEEPS9_SE_NS0_5tupleIJPjSE_EEENSF_IJSE_SE_EEES9_SG_JZNS1_25segmented_radix_sort_implINS0_14default_configELb1EPKfPfPKlPlN2at6native12_GLOBAL__N_18offset_tEEE10hipError_tPvRmT1_PNSt15iterator_traitsISY_E10value_typeET2_T3_PNSZ_IS14_E10value_typeET4_jRbjT5_S1A_jjP12ihipStream_tbEUljE_EEESV_SW_SX_S14_S18_S1A_T6_T7_T9_mT8_S1C_bDpT10_ENKUlT_T0_E_clISt17integral_constantIbLb0EES1O_IbLb1EEEEDaS1K_S1L_EUlS1K_E_NS1_11comp_targetILNS1_3genE2ELNS1_11target_archE906ELNS1_3gpuE6ELNS1_3repE0EEENS1_30default_config_static_selectorELNS0_4arch9wavefront6targetE0EEEvSY_,"axG",@progbits,_ZN7rocprim17ROCPRIM_400000_NS6detail17trampoline_kernelINS0_13select_configILj256ELj13ELNS0_17block_load_methodE3ELS4_3ELS4_3ELNS0_20block_scan_algorithmE0ELj4294967295EEENS1_25partition_config_selectorILNS1_17partition_subalgoE3EjNS0_10empty_typeEbEEZZNS1_14partition_implILS8_3ELb0ES6_jNS0_17counting_iteratorIjlEEPS9_SE_NS0_5tupleIJPjSE_EEENSF_IJSE_SE_EEES9_SG_JZNS1_25segmented_radix_sort_implINS0_14default_configELb1EPKfPfPKlPlN2at6native12_GLOBAL__N_18offset_tEEE10hipError_tPvRmT1_PNSt15iterator_traitsISY_E10value_typeET2_T3_PNSZ_IS14_E10value_typeET4_jRbjT5_S1A_jjP12ihipStream_tbEUljE_EEESV_SW_SX_S14_S18_S1A_T6_T7_T9_mT8_S1C_bDpT10_ENKUlT_T0_E_clISt17integral_constantIbLb0EES1O_IbLb1EEEEDaS1K_S1L_EUlS1K_E_NS1_11comp_targetILNS1_3genE2ELNS1_11target_archE906ELNS1_3gpuE6ELNS1_3repE0EEENS1_30default_config_static_selectorELNS0_4arch9wavefront6targetE0EEEvSY_,comdat
	.globl	_ZN7rocprim17ROCPRIM_400000_NS6detail17trampoline_kernelINS0_13select_configILj256ELj13ELNS0_17block_load_methodE3ELS4_3ELS4_3ELNS0_20block_scan_algorithmE0ELj4294967295EEENS1_25partition_config_selectorILNS1_17partition_subalgoE3EjNS0_10empty_typeEbEEZZNS1_14partition_implILS8_3ELb0ES6_jNS0_17counting_iteratorIjlEEPS9_SE_NS0_5tupleIJPjSE_EEENSF_IJSE_SE_EEES9_SG_JZNS1_25segmented_radix_sort_implINS0_14default_configELb1EPKfPfPKlPlN2at6native12_GLOBAL__N_18offset_tEEE10hipError_tPvRmT1_PNSt15iterator_traitsISY_E10value_typeET2_T3_PNSZ_IS14_E10value_typeET4_jRbjT5_S1A_jjP12ihipStream_tbEUljE_EEESV_SW_SX_S14_S18_S1A_T6_T7_T9_mT8_S1C_bDpT10_ENKUlT_T0_E_clISt17integral_constantIbLb0EES1O_IbLb1EEEEDaS1K_S1L_EUlS1K_E_NS1_11comp_targetILNS1_3genE2ELNS1_11target_archE906ELNS1_3gpuE6ELNS1_3repE0EEENS1_30default_config_static_selectorELNS0_4arch9wavefront6targetE0EEEvSY_ ; -- Begin function _ZN7rocprim17ROCPRIM_400000_NS6detail17trampoline_kernelINS0_13select_configILj256ELj13ELNS0_17block_load_methodE3ELS4_3ELS4_3ELNS0_20block_scan_algorithmE0ELj4294967295EEENS1_25partition_config_selectorILNS1_17partition_subalgoE3EjNS0_10empty_typeEbEEZZNS1_14partition_implILS8_3ELb0ES6_jNS0_17counting_iteratorIjlEEPS9_SE_NS0_5tupleIJPjSE_EEENSF_IJSE_SE_EEES9_SG_JZNS1_25segmented_radix_sort_implINS0_14default_configELb1EPKfPfPKlPlN2at6native12_GLOBAL__N_18offset_tEEE10hipError_tPvRmT1_PNSt15iterator_traitsISY_E10value_typeET2_T3_PNSZ_IS14_E10value_typeET4_jRbjT5_S1A_jjP12ihipStream_tbEUljE_EEESV_SW_SX_S14_S18_S1A_T6_T7_T9_mT8_S1C_bDpT10_ENKUlT_T0_E_clISt17integral_constantIbLb0EES1O_IbLb1EEEEDaS1K_S1L_EUlS1K_E_NS1_11comp_targetILNS1_3genE2ELNS1_11target_archE906ELNS1_3gpuE6ELNS1_3repE0EEENS1_30default_config_static_selectorELNS0_4arch9wavefront6targetE0EEEvSY_
	.p2align	8
	.type	_ZN7rocprim17ROCPRIM_400000_NS6detail17trampoline_kernelINS0_13select_configILj256ELj13ELNS0_17block_load_methodE3ELS4_3ELS4_3ELNS0_20block_scan_algorithmE0ELj4294967295EEENS1_25partition_config_selectorILNS1_17partition_subalgoE3EjNS0_10empty_typeEbEEZZNS1_14partition_implILS8_3ELb0ES6_jNS0_17counting_iteratorIjlEEPS9_SE_NS0_5tupleIJPjSE_EEENSF_IJSE_SE_EEES9_SG_JZNS1_25segmented_radix_sort_implINS0_14default_configELb1EPKfPfPKlPlN2at6native12_GLOBAL__N_18offset_tEEE10hipError_tPvRmT1_PNSt15iterator_traitsISY_E10value_typeET2_T3_PNSZ_IS14_E10value_typeET4_jRbjT5_S1A_jjP12ihipStream_tbEUljE_EEESV_SW_SX_S14_S18_S1A_T6_T7_T9_mT8_S1C_bDpT10_ENKUlT_T0_E_clISt17integral_constantIbLb0EES1O_IbLb1EEEEDaS1K_S1L_EUlS1K_E_NS1_11comp_targetILNS1_3genE2ELNS1_11target_archE906ELNS1_3gpuE6ELNS1_3repE0EEENS1_30default_config_static_selectorELNS0_4arch9wavefront6targetE0EEEvSY_,@function
_ZN7rocprim17ROCPRIM_400000_NS6detail17trampoline_kernelINS0_13select_configILj256ELj13ELNS0_17block_load_methodE3ELS4_3ELS4_3ELNS0_20block_scan_algorithmE0ELj4294967295EEENS1_25partition_config_selectorILNS1_17partition_subalgoE3EjNS0_10empty_typeEbEEZZNS1_14partition_implILS8_3ELb0ES6_jNS0_17counting_iteratorIjlEEPS9_SE_NS0_5tupleIJPjSE_EEENSF_IJSE_SE_EEES9_SG_JZNS1_25segmented_radix_sort_implINS0_14default_configELb1EPKfPfPKlPlN2at6native12_GLOBAL__N_18offset_tEEE10hipError_tPvRmT1_PNSt15iterator_traitsISY_E10value_typeET2_T3_PNSZ_IS14_E10value_typeET4_jRbjT5_S1A_jjP12ihipStream_tbEUljE_EEESV_SW_SX_S14_S18_S1A_T6_T7_T9_mT8_S1C_bDpT10_ENKUlT_T0_E_clISt17integral_constantIbLb0EES1O_IbLb1EEEEDaS1K_S1L_EUlS1K_E_NS1_11comp_targetILNS1_3genE2ELNS1_11target_archE906ELNS1_3gpuE6ELNS1_3repE0EEENS1_30default_config_static_selectorELNS0_4arch9wavefront6targetE0EEEvSY_: ; @_ZN7rocprim17ROCPRIM_400000_NS6detail17trampoline_kernelINS0_13select_configILj256ELj13ELNS0_17block_load_methodE3ELS4_3ELS4_3ELNS0_20block_scan_algorithmE0ELj4294967295EEENS1_25partition_config_selectorILNS1_17partition_subalgoE3EjNS0_10empty_typeEbEEZZNS1_14partition_implILS8_3ELb0ES6_jNS0_17counting_iteratorIjlEEPS9_SE_NS0_5tupleIJPjSE_EEENSF_IJSE_SE_EEES9_SG_JZNS1_25segmented_radix_sort_implINS0_14default_configELb1EPKfPfPKlPlN2at6native12_GLOBAL__N_18offset_tEEE10hipError_tPvRmT1_PNSt15iterator_traitsISY_E10value_typeET2_T3_PNSZ_IS14_E10value_typeET4_jRbjT5_S1A_jjP12ihipStream_tbEUljE_EEESV_SW_SX_S14_S18_S1A_T6_T7_T9_mT8_S1C_bDpT10_ENKUlT_T0_E_clISt17integral_constantIbLb0EES1O_IbLb1EEEEDaS1K_S1L_EUlS1K_E_NS1_11comp_targetILNS1_3genE2ELNS1_11target_archE906ELNS1_3gpuE6ELNS1_3repE0EEENS1_30default_config_static_selectorELNS0_4arch9wavefront6targetE0EEEvSY_
; %bb.0:
	.section	.rodata,"a",@progbits
	.p2align	6, 0x0
	.amdhsa_kernel _ZN7rocprim17ROCPRIM_400000_NS6detail17trampoline_kernelINS0_13select_configILj256ELj13ELNS0_17block_load_methodE3ELS4_3ELS4_3ELNS0_20block_scan_algorithmE0ELj4294967295EEENS1_25partition_config_selectorILNS1_17partition_subalgoE3EjNS0_10empty_typeEbEEZZNS1_14partition_implILS8_3ELb0ES6_jNS0_17counting_iteratorIjlEEPS9_SE_NS0_5tupleIJPjSE_EEENSF_IJSE_SE_EEES9_SG_JZNS1_25segmented_radix_sort_implINS0_14default_configELb1EPKfPfPKlPlN2at6native12_GLOBAL__N_18offset_tEEE10hipError_tPvRmT1_PNSt15iterator_traitsISY_E10value_typeET2_T3_PNSZ_IS14_E10value_typeET4_jRbjT5_S1A_jjP12ihipStream_tbEUljE_EEESV_SW_SX_S14_S18_S1A_T6_T7_T9_mT8_S1C_bDpT10_ENKUlT_T0_E_clISt17integral_constantIbLb0EES1O_IbLb1EEEEDaS1K_S1L_EUlS1K_E_NS1_11comp_targetILNS1_3genE2ELNS1_11target_archE906ELNS1_3gpuE6ELNS1_3repE0EEENS1_30default_config_static_selectorELNS0_4arch9wavefront6targetE0EEEvSY_
		.amdhsa_group_segment_fixed_size 0
		.amdhsa_private_segment_fixed_size 0
		.amdhsa_kernarg_size 152
		.amdhsa_user_sgpr_count 15
		.amdhsa_user_sgpr_dispatch_ptr 0
		.amdhsa_user_sgpr_queue_ptr 0
		.amdhsa_user_sgpr_kernarg_segment_ptr 1
		.amdhsa_user_sgpr_dispatch_id 0
		.amdhsa_user_sgpr_private_segment_size 0
		.amdhsa_wavefront_size32 1
		.amdhsa_uses_dynamic_stack 0
		.amdhsa_enable_private_segment 0
		.amdhsa_system_sgpr_workgroup_id_x 1
		.amdhsa_system_sgpr_workgroup_id_y 0
		.amdhsa_system_sgpr_workgroup_id_z 0
		.amdhsa_system_sgpr_workgroup_info 0
		.amdhsa_system_vgpr_workitem_id 0
		.amdhsa_next_free_vgpr 1
		.amdhsa_next_free_sgpr 1
		.amdhsa_reserve_vcc 0
		.amdhsa_float_round_mode_32 0
		.amdhsa_float_round_mode_16_64 0
		.amdhsa_float_denorm_mode_32 3
		.amdhsa_float_denorm_mode_16_64 3
		.amdhsa_dx10_clamp 1
		.amdhsa_ieee_mode 1
		.amdhsa_fp16_overflow 0
		.amdhsa_workgroup_processor_mode 1
		.amdhsa_memory_ordered 1
		.amdhsa_forward_progress 0
		.amdhsa_shared_vgpr_count 0
		.amdhsa_exception_fp_ieee_invalid_op 0
		.amdhsa_exception_fp_denorm_src 0
		.amdhsa_exception_fp_ieee_div_zero 0
		.amdhsa_exception_fp_ieee_overflow 0
		.amdhsa_exception_fp_ieee_underflow 0
		.amdhsa_exception_fp_ieee_inexact 0
		.amdhsa_exception_int_div_zero 0
	.end_amdhsa_kernel
	.section	.text._ZN7rocprim17ROCPRIM_400000_NS6detail17trampoline_kernelINS0_13select_configILj256ELj13ELNS0_17block_load_methodE3ELS4_3ELS4_3ELNS0_20block_scan_algorithmE0ELj4294967295EEENS1_25partition_config_selectorILNS1_17partition_subalgoE3EjNS0_10empty_typeEbEEZZNS1_14partition_implILS8_3ELb0ES6_jNS0_17counting_iteratorIjlEEPS9_SE_NS0_5tupleIJPjSE_EEENSF_IJSE_SE_EEES9_SG_JZNS1_25segmented_radix_sort_implINS0_14default_configELb1EPKfPfPKlPlN2at6native12_GLOBAL__N_18offset_tEEE10hipError_tPvRmT1_PNSt15iterator_traitsISY_E10value_typeET2_T3_PNSZ_IS14_E10value_typeET4_jRbjT5_S1A_jjP12ihipStream_tbEUljE_EEESV_SW_SX_S14_S18_S1A_T6_T7_T9_mT8_S1C_bDpT10_ENKUlT_T0_E_clISt17integral_constantIbLb0EES1O_IbLb1EEEEDaS1K_S1L_EUlS1K_E_NS1_11comp_targetILNS1_3genE2ELNS1_11target_archE906ELNS1_3gpuE6ELNS1_3repE0EEENS1_30default_config_static_selectorELNS0_4arch9wavefront6targetE0EEEvSY_,"axG",@progbits,_ZN7rocprim17ROCPRIM_400000_NS6detail17trampoline_kernelINS0_13select_configILj256ELj13ELNS0_17block_load_methodE3ELS4_3ELS4_3ELNS0_20block_scan_algorithmE0ELj4294967295EEENS1_25partition_config_selectorILNS1_17partition_subalgoE3EjNS0_10empty_typeEbEEZZNS1_14partition_implILS8_3ELb0ES6_jNS0_17counting_iteratorIjlEEPS9_SE_NS0_5tupleIJPjSE_EEENSF_IJSE_SE_EEES9_SG_JZNS1_25segmented_radix_sort_implINS0_14default_configELb1EPKfPfPKlPlN2at6native12_GLOBAL__N_18offset_tEEE10hipError_tPvRmT1_PNSt15iterator_traitsISY_E10value_typeET2_T3_PNSZ_IS14_E10value_typeET4_jRbjT5_S1A_jjP12ihipStream_tbEUljE_EEESV_SW_SX_S14_S18_S1A_T6_T7_T9_mT8_S1C_bDpT10_ENKUlT_T0_E_clISt17integral_constantIbLb0EES1O_IbLb1EEEEDaS1K_S1L_EUlS1K_E_NS1_11comp_targetILNS1_3genE2ELNS1_11target_archE906ELNS1_3gpuE6ELNS1_3repE0EEENS1_30default_config_static_selectorELNS0_4arch9wavefront6targetE0EEEvSY_,comdat
.Lfunc_end1321:
	.size	_ZN7rocprim17ROCPRIM_400000_NS6detail17trampoline_kernelINS0_13select_configILj256ELj13ELNS0_17block_load_methodE3ELS4_3ELS4_3ELNS0_20block_scan_algorithmE0ELj4294967295EEENS1_25partition_config_selectorILNS1_17partition_subalgoE3EjNS0_10empty_typeEbEEZZNS1_14partition_implILS8_3ELb0ES6_jNS0_17counting_iteratorIjlEEPS9_SE_NS0_5tupleIJPjSE_EEENSF_IJSE_SE_EEES9_SG_JZNS1_25segmented_radix_sort_implINS0_14default_configELb1EPKfPfPKlPlN2at6native12_GLOBAL__N_18offset_tEEE10hipError_tPvRmT1_PNSt15iterator_traitsISY_E10value_typeET2_T3_PNSZ_IS14_E10value_typeET4_jRbjT5_S1A_jjP12ihipStream_tbEUljE_EEESV_SW_SX_S14_S18_S1A_T6_T7_T9_mT8_S1C_bDpT10_ENKUlT_T0_E_clISt17integral_constantIbLb0EES1O_IbLb1EEEEDaS1K_S1L_EUlS1K_E_NS1_11comp_targetILNS1_3genE2ELNS1_11target_archE906ELNS1_3gpuE6ELNS1_3repE0EEENS1_30default_config_static_selectorELNS0_4arch9wavefront6targetE0EEEvSY_, .Lfunc_end1321-_ZN7rocprim17ROCPRIM_400000_NS6detail17trampoline_kernelINS0_13select_configILj256ELj13ELNS0_17block_load_methodE3ELS4_3ELS4_3ELNS0_20block_scan_algorithmE0ELj4294967295EEENS1_25partition_config_selectorILNS1_17partition_subalgoE3EjNS0_10empty_typeEbEEZZNS1_14partition_implILS8_3ELb0ES6_jNS0_17counting_iteratorIjlEEPS9_SE_NS0_5tupleIJPjSE_EEENSF_IJSE_SE_EEES9_SG_JZNS1_25segmented_radix_sort_implINS0_14default_configELb1EPKfPfPKlPlN2at6native12_GLOBAL__N_18offset_tEEE10hipError_tPvRmT1_PNSt15iterator_traitsISY_E10value_typeET2_T3_PNSZ_IS14_E10value_typeET4_jRbjT5_S1A_jjP12ihipStream_tbEUljE_EEESV_SW_SX_S14_S18_S1A_T6_T7_T9_mT8_S1C_bDpT10_ENKUlT_T0_E_clISt17integral_constantIbLb0EES1O_IbLb1EEEEDaS1K_S1L_EUlS1K_E_NS1_11comp_targetILNS1_3genE2ELNS1_11target_archE906ELNS1_3gpuE6ELNS1_3repE0EEENS1_30default_config_static_selectorELNS0_4arch9wavefront6targetE0EEEvSY_
                                        ; -- End function
	.section	.AMDGPU.csdata,"",@progbits
; Kernel info:
; codeLenInByte = 0
; NumSgprs: 0
; NumVgprs: 0
; ScratchSize: 0
; MemoryBound: 0
; FloatMode: 240
; IeeeMode: 1
; LDSByteSize: 0 bytes/workgroup (compile time only)
; SGPRBlocks: 0
; VGPRBlocks: 0
; NumSGPRsForWavesPerEU: 1
; NumVGPRsForWavesPerEU: 1
; Occupancy: 16
; WaveLimiterHint : 0
; COMPUTE_PGM_RSRC2:SCRATCH_EN: 0
; COMPUTE_PGM_RSRC2:USER_SGPR: 15
; COMPUTE_PGM_RSRC2:TRAP_HANDLER: 0
; COMPUTE_PGM_RSRC2:TGID_X_EN: 1
; COMPUTE_PGM_RSRC2:TGID_Y_EN: 0
; COMPUTE_PGM_RSRC2:TGID_Z_EN: 0
; COMPUTE_PGM_RSRC2:TIDIG_COMP_CNT: 0
	.section	.text._ZN7rocprim17ROCPRIM_400000_NS6detail17trampoline_kernelINS0_13select_configILj256ELj13ELNS0_17block_load_methodE3ELS4_3ELS4_3ELNS0_20block_scan_algorithmE0ELj4294967295EEENS1_25partition_config_selectorILNS1_17partition_subalgoE3EjNS0_10empty_typeEbEEZZNS1_14partition_implILS8_3ELb0ES6_jNS0_17counting_iteratorIjlEEPS9_SE_NS0_5tupleIJPjSE_EEENSF_IJSE_SE_EEES9_SG_JZNS1_25segmented_radix_sort_implINS0_14default_configELb1EPKfPfPKlPlN2at6native12_GLOBAL__N_18offset_tEEE10hipError_tPvRmT1_PNSt15iterator_traitsISY_E10value_typeET2_T3_PNSZ_IS14_E10value_typeET4_jRbjT5_S1A_jjP12ihipStream_tbEUljE_EEESV_SW_SX_S14_S18_S1A_T6_T7_T9_mT8_S1C_bDpT10_ENKUlT_T0_E_clISt17integral_constantIbLb0EES1O_IbLb1EEEEDaS1K_S1L_EUlS1K_E_NS1_11comp_targetILNS1_3genE10ELNS1_11target_archE1200ELNS1_3gpuE4ELNS1_3repE0EEENS1_30default_config_static_selectorELNS0_4arch9wavefront6targetE0EEEvSY_,"axG",@progbits,_ZN7rocprim17ROCPRIM_400000_NS6detail17trampoline_kernelINS0_13select_configILj256ELj13ELNS0_17block_load_methodE3ELS4_3ELS4_3ELNS0_20block_scan_algorithmE0ELj4294967295EEENS1_25partition_config_selectorILNS1_17partition_subalgoE3EjNS0_10empty_typeEbEEZZNS1_14partition_implILS8_3ELb0ES6_jNS0_17counting_iteratorIjlEEPS9_SE_NS0_5tupleIJPjSE_EEENSF_IJSE_SE_EEES9_SG_JZNS1_25segmented_radix_sort_implINS0_14default_configELb1EPKfPfPKlPlN2at6native12_GLOBAL__N_18offset_tEEE10hipError_tPvRmT1_PNSt15iterator_traitsISY_E10value_typeET2_T3_PNSZ_IS14_E10value_typeET4_jRbjT5_S1A_jjP12ihipStream_tbEUljE_EEESV_SW_SX_S14_S18_S1A_T6_T7_T9_mT8_S1C_bDpT10_ENKUlT_T0_E_clISt17integral_constantIbLb0EES1O_IbLb1EEEEDaS1K_S1L_EUlS1K_E_NS1_11comp_targetILNS1_3genE10ELNS1_11target_archE1200ELNS1_3gpuE4ELNS1_3repE0EEENS1_30default_config_static_selectorELNS0_4arch9wavefront6targetE0EEEvSY_,comdat
	.globl	_ZN7rocprim17ROCPRIM_400000_NS6detail17trampoline_kernelINS0_13select_configILj256ELj13ELNS0_17block_load_methodE3ELS4_3ELS4_3ELNS0_20block_scan_algorithmE0ELj4294967295EEENS1_25partition_config_selectorILNS1_17partition_subalgoE3EjNS0_10empty_typeEbEEZZNS1_14partition_implILS8_3ELb0ES6_jNS0_17counting_iteratorIjlEEPS9_SE_NS0_5tupleIJPjSE_EEENSF_IJSE_SE_EEES9_SG_JZNS1_25segmented_radix_sort_implINS0_14default_configELb1EPKfPfPKlPlN2at6native12_GLOBAL__N_18offset_tEEE10hipError_tPvRmT1_PNSt15iterator_traitsISY_E10value_typeET2_T3_PNSZ_IS14_E10value_typeET4_jRbjT5_S1A_jjP12ihipStream_tbEUljE_EEESV_SW_SX_S14_S18_S1A_T6_T7_T9_mT8_S1C_bDpT10_ENKUlT_T0_E_clISt17integral_constantIbLb0EES1O_IbLb1EEEEDaS1K_S1L_EUlS1K_E_NS1_11comp_targetILNS1_3genE10ELNS1_11target_archE1200ELNS1_3gpuE4ELNS1_3repE0EEENS1_30default_config_static_selectorELNS0_4arch9wavefront6targetE0EEEvSY_ ; -- Begin function _ZN7rocprim17ROCPRIM_400000_NS6detail17trampoline_kernelINS0_13select_configILj256ELj13ELNS0_17block_load_methodE3ELS4_3ELS4_3ELNS0_20block_scan_algorithmE0ELj4294967295EEENS1_25partition_config_selectorILNS1_17partition_subalgoE3EjNS0_10empty_typeEbEEZZNS1_14partition_implILS8_3ELb0ES6_jNS0_17counting_iteratorIjlEEPS9_SE_NS0_5tupleIJPjSE_EEENSF_IJSE_SE_EEES9_SG_JZNS1_25segmented_radix_sort_implINS0_14default_configELb1EPKfPfPKlPlN2at6native12_GLOBAL__N_18offset_tEEE10hipError_tPvRmT1_PNSt15iterator_traitsISY_E10value_typeET2_T3_PNSZ_IS14_E10value_typeET4_jRbjT5_S1A_jjP12ihipStream_tbEUljE_EEESV_SW_SX_S14_S18_S1A_T6_T7_T9_mT8_S1C_bDpT10_ENKUlT_T0_E_clISt17integral_constantIbLb0EES1O_IbLb1EEEEDaS1K_S1L_EUlS1K_E_NS1_11comp_targetILNS1_3genE10ELNS1_11target_archE1200ELNS1_3gpuE4ELNS1_3repE0EEENS1_30default_config_static_selectorELNS0_4arch9wavefront6targetE0EEEvSY_
	.p2align	8
	.type	_ZN7rocprim17ROCPRIM_400000_NS6detail17trampoline_kernelINS0_13select_configILj256ELj13ELNS0_17block_load_methodE3ELS4_3ELS4_3ELNS0_20block_scan_algorithmE0ELj4294967295EEENS1_25partition_config_selectorILNS1_17partition_subalgoE3EjNS0_10empty_typeEbEEZZNS1_14partition_implILS8_3ELb0ES6_jNS0_17counting_iteratorIjlEEPS9_SE_NS0_5tupleIJPjSE_EEENSF_IJSE_SE_EEES9_SG_JZNS1_25segmented_radix_sort_implINS0_14default_configELb1EPKfPfPKlPlN2at6native12_GLOBAL__N_18offset_tEEE10hipError_tPvRmT1_PNSt15iterator_traitsISY_E10value_typeET2_T3_PNSZ_IS14_E10value_typeET4_jRbjT5_S1A_jjP12ihipStream_tbEUljE_EEESV_SW_SX_S14_S18_S1A_T6_T7_T9_mT8_S1C_bDpT10_ENKUlT_T0_E_clISt17integral_constantIbLb0EES1O_IbLb1EEEEDaS1K_S1L_EUlS1K_E_NS1_11comp_targetILNS1_3genE10ELNS1_11target_archE1200ELNS1_3gpuE4ELNS1_3repE0EEENS1_30default_config_static_selectorELNS0_4arch9wavefront6targetE0EEEvSY_,@function
_ZN7rocprim17ROCPRIM_400000_NS6detail17trampoline_kernelINS0_13select_configILj256ELj13ELNS0_17block_load_methodE3ELS4_3ELS4_3ELNS0_20block_scan_algorithmE0ELj4294967295EEENS1_25partition_config_selectorILNS1_17partition_subalgoE3EjNS0_10empty_typeEbEEZZNS1_14partition_implILS8_3ELb0ES6_jNS0_17counting_iteratorIjlEEPS9_SE_NS0_5tupleIJPjSE_EEENSF_IJSE_SE_EEES9_SG_JZNS1_25segmented_radix_sort_implINS0_14default_configELb1EPKfPfPKlPlN2at6native12_GLOBAL__N_18offset_tEEE10hipError_tPvRmT1_PNSt15iterator_traitsISY_E10value_typeET2_T3_PNSZ_IS14_E10value_typeET4_jRbjT5_S1A_jjP12ihipStream_tbEUljE_EEESV_SW_SX_S14_S18_S1A_T6_T7_T9_mT8_S1C_bDpT10_ENKUlT_T0_E_clISt17integral_constantIbLb0EES1O_IbLb1EEEEDaS1K_S1L_EUlS1K_E_NS1_11comp_targetILNS1_3genE10ELNS1_11target_archE1200ELNS1_3gpuE4ELNS1_3repE0EEENS1_30default_config_static_selectorELNS0_4arch9wavefront6targetE0EEEvSY_: ; @_ZN7rocprim17ROCPRIM_400000_NS6detail17trampoline_kernelINS0_13select_configILj256ELj13ELNS0_17block_load_methodE3ELS4_3ELS4_3ELNS0_20block_scan_algorithmE0ELj4294967295EEENS1_25partition_config_selectorILNS1_17partition_subalgoE3EjNS0_10empty_typeEbEEZZNS1_14partition_implILS8_3ELb0ES6_jNS0_17counting_iteratorIjlEEPS9_SE_NS0_5tupleIJPjSE_EEENSF_IJSE_SE_EEES9_SG_JZNS1_25segmented_radix_sort_implINS0_14default_configELb1EPKfPfPKlPlN2at6native12_GLOBAL__N_18offset_tEEE10hipError_tPvRmT1_PNSt15iterator_traitsISY_E10value_typeET2_T3_PNSZ_IS14_E10value_typeET4_jRbjT5_S1A_jjP12ihipStream_tbEUljE_EEESV_SW_SX_S14_S18_S1A_T6_T7_T9_mT8_S1C_bDpT10_ENKUlT_T0_E_clISt17integral_constantIbLb0EES1O_IbLb1EEEEDaS1K_S1L_EUlS1K_E_NS1_11comp_targetILNS1_3genE10ELNS1_11target_archE1200ELNS1_3gpuE4ELNS1_3repE0EEENS1_30default_config_static_selectorELNS0_4arch9wavefront6targetE0EEEvSY_
; %bb.0:
	.section	.rodata,"a",@progbits
	.p2align	6, 0x0
	.amdhsa_kernel _ZN7rocprim17ROCPRIM_400000_NS6detail17trampoline_kernelINS0_13select_configILj256ELj13ELNS0_17block_load_methodE3ELS4_3ELS4_3ELNS0_20block_scan_algorithmE0ELj4294967295EEENS1_25partition_config_selectorILNS1_17partition_subalgoE3EjNS0_10empty_typeEbEEZZNS1_14partition_implILS8_3ELb0ES6_jNS0_17counting_iteratorIjlEEPS9_SE_NS0_5tupleIJPjSE_EEENSF_IJSE_SE_EEES9_SG_JZNS1_25segmented_radix_sort_implINS0_14default_configELb1EPKfPfPKlPlN2at6native12_GLOBAL__N_18offset_tEEE10hipError_tPvRmT1_PNSt15iterator_traitsISY_E10value_typeET2_T3_PNSZ_IS14_E10value_typeET4_jRbjT5_S1A_jjP12ihipStream_tbEUljE_EEESV_SW_SX_S14_S18_S1A_T6_T7_T9_mT8_S1C_bDpT10_ENKUlT_T0_E_clISt17integral_constantIbLb0EES1O_IbLb1EEEEDaS1K_S1L_EUlS1K_E_NS1_11comp_targetILNS1_3genE10ELNS1_11target_archE1200ELNS1_3gpuE4ELNS1_3repE0EEENS1_30default_config_static_selectorELNS0_4arch9wavefront6targetE0EEEvSY_
		.amdhsa_group_segment_fixed_size 0
		.amdhsa_private_segment_fixed_size 0
		.amdhsa_kernarg_size 152
		.amdhsa_user_sgpr_count 15
		.amdhsa_user_sgpr_dispatch_ptr 0
		.amdhsa_user_sgpr_queue_ptr 0
		.amdhsa_user_sgpr_kernarg_segment_ptr 1
		.amdhsa_user_sgpr_dispatch_id 0
		.amdhsa_user_sgpr_private_segment_size 0
		.amdhsa_wavefront_size32 1
		.amdhsa_uses_dynamic_stack 0
		.amdhsa_enable_private_segment 0
		.amdhsa_system_sgpr_workgroup_id_x 1
		.amdhsa_system_sgpr_workgroup_id_y 0
		.amdhsa_system_sgpr_workgroup_id_z 0
		.amdhsa_system_sgpr_workgroup_info 0
		.amdhsa_system_vgpr_workitem_id 0
		.amdhsa_next_free_vgpr 1
		.amdhsa_next_free_sgpr 1
		.amdhsa_reserve_vcc 0
		.amdhsa_float_round_mode_32 0
		.amdhsa_float_round_mode_16_64 0
		.amdhsa_float_denorm_mode_32 3
		.amdhsa_float_denorm_mode_16_64 3
		.amdhsa_dx10_clamp 1
		.amdhsa_ieee_mode 1
		.amdhsa_fp16_overflow 0
		.amdhsa_workgroup_processor_mode 1
		.amdhsa_memory_ordered 1
		.amdhsa_forward_progress 0
		.amdhsa_shared_vgpr_count 0
		.amdhsa_exception_fp_ieee_invalid_op 0
		.amdhsa_exception_fp_denorm_src 0
		.amdhsa_exception_fp_ieee_div_zero 0
		.amdhsa_exception_fp_ieee_overflow 0
		.amdhsa_exception_fp_ieee_underflow 0
		.amdhsa_exception_fp_ieee_inexact 0
		.amdhsa_exception_int_div_zero 0
	.end_amdhsa_kernel
	.section	.text._ZN7rocprim17ROCPRIM_400000_NS6detail17trampoline_kernelINS0_13select_configILj256ELj13ELNS0_17block_load_methodE3ELS4_3ELS4_3ELNS0_20block_scan_algorithmE0ELj4294967295EEENS1_25partition_config_selectorILNS1_17partition_subalgoE3EjNS0_10empty_typeEbEEZZNS1_14partition_implILS8_3ELb0ES6_jNS0_17counting_iteratorIjlEEPS9_SE_NS0_5tupleIJPjSE_EEENSF_IJSE_SE_EEES9_SG_JZNS1_25segmented_radix_sort_implINS0_14default_configELb1EPKfPfPKlPlN2at6native12_GLOBAL__N_18offset_tEEE10hipError_tPvRmT1_PNSt15iterator_traitsISY_E10value_typeET2_T3_PNSZ_IS14_E10value_typeET4_jRbjT5_S1A_jjP12ihipStream_tbEUljE_EEESV_SW_SX_S14_S18_S1A_T6_T7_T9_mT8_S1C_bDpT10_ENKUlT_T0_E_clISt17integral_constantIbLb0EES1O_IbLb1EEEEDaS1K_S1L_EUlS1K_E_NS1_11comp_targetILNS1_3genE10ELNS1_11target_archE1200ELNS1_3gpuE4ELNS1_3repE0EEENS1_30default_config_static_selectorELNS0_4arch9wavefront6targetE0EEEvSY_,"axG",@progbits,_ZN7rocprim17ROCPRIM_400000_NS6detail17trampoline_kernelINS0_13select_configILj256ELj13ELNS0_17block_load_methodE3ELS4_3ELS4_3ELNS0_20block_scan_algorithmE0ELj4294967295EEENS1_25partition_config_selectorILNS1_17partition_subalgoE3EjNS0_10empty_typeEbEEZZNS1_14partition_implILS8_3ELb0ES6_jNS0_17counting_iteratorIjlEEPS9_SE_NS0_5tupleIJPjSE_EEENSF_IJSE_SE_EEES9_SG_JZNS1_25segmented_radix_sort_implINS0_14default_configELb1EPKfPfPKlPlN2at6native12_GLOBAL__N_18offset_tEEE10hipError_tPvRmT1_PNSt15iterator_traitsISY_E10value_typeET2_T3_PNSZ_IS14_E10value_typeET4_jRbjT5_S1A_jjP12ihipStream_tbEUljE_EEESV_SW_SX_S14_S18_S1A_T6_T7_T9_mT8_S1C_bDpT10_ENKUlT_T0_E_clISt17integral_constantIbLb0EES1O_IbLb1EEEEDaS1K_S1L_EUlS1K_E_NS1_11comp_targetILNS1_3genE10ELNS1_11target_archE1200ELNS1_3gpuE4ELNS1_3repE0EEENS1_30default_config_static_selectorELNS0_4arch9wavefront6targetE0EEEvSY_,comdat
.Lfunc_end1322:
	.size	_ZN7rocprim17ROCPRIM_400000_NS6detail17trampoline_kernelINS0_13select_configILj256ELj13ELNS0_17block_load_methodE3ELS4_3ELS4_3ELNS0_20block_scan_algorithmE0ELj4294967295EEENS1_25partition_config_selectorILNS1_17partition_subalgoE3EjNS0_10empty_typeEbEEZZNS1_14partition_implILS8_3ELb0ES6_jNS0_17counting_iteratorIjlEEPS9_SE_NS0_5tupleIJPjSE_EEENSF_IJSE_SE_EEES9_SG_JZNS1_25segmented_radix_sort_implINS0_14default_configELb1EPKfPfPKlPlN2at6native12_GLOBAL__N_18offset_tEEE10hipError_tPvRmT1_PNSt15iterator_traitsISY_E10value_typeET2_T3_PNSZ_IS14_E10value_typeET4_jRbjT5_S1A_jjP12ihipStream_tbEUljE_EEESV_SW_SX_S14_S18_S1A_T6_T7_T9_mT8_S1C_bDpT10_ENKUlT_T0_E_clISt17integral_constantIbLb0EES1O_IbLb1EEEEDaS1K_S1L_EUlS1K_E_NS1_11comp_targetILNS1_3genE10ELNS1_11target_archE1200ELNS1_3gpuE4ELNS1_3repE0EEENS1_30default_config_static_selectorELNS0_4arch9wavefront6targetE0EEEvSY_, .Lfunc_end1322-_ZN7rocprim17ROCPRIM_400000_NS6detail17trampoline_kernelINS0_13select_configILj256ELj13ELNS0_17block_load_methodE3ELS4_3ELS4_3ELNS0_20block_scan_algorithmE0ELj4294967295EEENS1_25partition_config_selectorILNS1_17partition_subalgoE3EjNS0_10empty_typeEbEEZZNS1_14partition_implILS8_3ELb0ES6_jNS0_17counting_iteratorIjlEEPS9_SE_NS0_5tupleIJPjSE_EEENSF_IJSE_SE_EEES9_SG_JZNS1_25segmented_radix_sort_implINS0_14default_configELb1EPKfPfPKlPlN2at6native12_GLOBAL__N_18offset_tEEE10hipError_tPvRmT1_PNSt15iterator_traitsISY_E10value_typeET2_T3_PNSZ_IS14_E10value_typeET4_jRbjT5_S1A_jjP12ihipStream_tbEUljE_EEESV_SW_SX_S14_S18_S1A_T6_T7_T9_mT8_S1C_bDpT10_ENKUlT_T0_E_clISt17integral_constantIbLb0EES1O_IbLb1EEEEDaS1K_S1L_EUlS1K_E_NS1_11comp_targetILNS1_3genE10ELNS1_11target_archE1200ELNS1_3gpuE4ELNS1_3repE0EEENS1_30default_config_static_selectorELNS0_4arch9wavefront6targetE0EEEvSY_
                                        ; -- End function
	.section	.AMDGPU.csdata,"",@progbits
; Kernel info:
; codeLenInByte = 0
; NumSgprs: 0
; NumVgprs: 0
; ScratchSize: 0
; MemoryBound: 0
; FloatMode: 240
; IeeeMode: 1
; LDSByteSize: 0 bytes/workgroup (compile time only)
; SGPRBlocks: 0
; VGPRBlocks: 0
; NumSGPRsForWavesPerEU: 1
; NumVGPRsForWavesPerEU: 1
; Occupancy: 16
; WaveLimiterHint : 0
; COMPUTE_PGM_RSRC2:SCRATCH_EN: 0
; COMPUTE_PGM_RSRC2:USER_SGPR: 15
; COMPUTE_PGM_RSRC2:TRAP_HANDLER: 0
; COMPUTE_PGM_RSRC2:TGID_X_EN: 1
; COMPUTE_PGM_RSRC2:TGID_Y_EN: 0
; COMPUTE_PGM_RSRC2:TGID_Z_EN: 0
; COMPUTE_PGM_RSRC2:TIDIG_COMP_CNT: 0
	.section	.text._ZN7rocprim17ROCPRIM_400000_NS6detail17trampoline_kernelINS0_13select_configILj256ELj13ELNS0_17block_load_methodE3ELS4_3ELS4_3ELNS0_20block_scan_algorithmE0ELj4294967295EEENS1_25partition_config_selectorILNS1_17partition_subalgoE3EjNS0_10empty_typeEbEEZZNS1_14partition_implILS8_3ELb0ES6_jNS0_17counting_iteratorIjlEEPS9_SE_NS0_5tupleIJPjSE_EEENSF_IJSE_SE_EEES9_SG_JZNS1_25segmented_radix_sort_implINS0_14default_configELb1EPKfPfPKlPlN2at6native12_GLOBAL__N_18offset_tEEE10hipError_tPvRmT1_PNSt15iterator_traitsISY_E10value_typeET2_T3_PNSZ_IS14_E10value_typeET4_jRbjT5_S1A_jjP12ihipStream_tbEUljE_EEESV_SW_SX_S14_S18_S1A_T6_T7_T9_mT8_S1C_bDpT10_ENKUlT_T0_E_clISt17integral_constantIbLb0EES1O_IbLb1EEEEDaS1K_S1L_EUlS1K_E_NS1_11comp_targetILNS1_3genE9ELNS1_11target_archE1100ELNS1_3gpuE3ELNS1_3repE0EEENS1_30default_config_static_selectorELNS0_4arch9wavefront6targetE0EEEvSY_,"axG",@progbits,_ZN7rocprim17ROCPRIM_400000_NS6detail17trampoline_kernelINS0_13select_configILj256ELj13ELNS0_17block_load_methodE3ELS4_3ELS4_3ELNS0_20block_scan_algorithmE0ELj4294967295EEENS1_25partition_config_selectorILNS1_17partition_subalgoE3EjNS0_10empty_typeEbEEZZNS1_14partition_implILS8_3ELb0ES6_jNS0_17counting_iteratorIjlEEPS9_SE_NS0_5tupleIJPjSE_EEENSF_IJSE_SE_EEES9_SG_JZNS1_25segmented_radix_sort_implINS0_14default_configELb1EPKfPfPKlPlN2at6native12_GLOBAL__N_18offset_tEEE10hipError_tPvRmT1_PNSt15iterator_traitsISY_E10value_typeET2_T3_PNSZ_IS14_E10value_typeET4_jRbjT5_S1A_jjP12ihipStream_tbEUljE_EEESV_SW_SX_S14_S18_S1A_T6_T7_T9_mT8_S1C_bDpT10_ENKUlT_T0_E_clISt17integral_constantIbLb0EES1O_IbLb1EEEEDaS1K_S1L_EUlS1K_E_NS1_11comp_targetILNS1_3genE9ELNS1_11target_archE1100ELNS1_3gpuE3ELNS1_3repE0EEENS1_30default_config_static_selectorELNS0_4arch9wavefront6targetE0EEEvSY_,comdat
	.globl	_ZN7rocprim17ROCPRIM_400000_NS6detail17trampoline_kernelINS0_13select_configILj256ELj13ELNS0_17block_load_methodE3ELS4_3ELS4_3ELNS0_20block_scan_algorithmE0ELj4294967295EEENS1_25partition_config_selectorILNS1_17partition_subalgoE3EjNS0_10empty_typeEbEEZZNS1_14partition_implILS8_3ELb0ES6_jNS0_17counting_iteratorIjlEEPS9_SE_NS0_5tupleIJPjSE_EEENSF_IJSE_SE_EEES9_SG_JZNS1_25segmented_radix_sort_implINS0_14default_configELb1EPKfPfPKlPlN2at6native12_GLOBAL__N_18offset_tEEE10hipError_tPvRmT1_PNSt15iterator_traitsISY_E10value_typeET2_T3_PNSZ_IS14_E10value_typeET4_jRbjT5_S1A_jjP12ihipStream_tbEUljE_EEESV_SW_SX_S14_S18_S1A_T6_T7_T9_mT8_S1C_bDpT10_ENKUlT_T0_E_clISt17integral_constantIbLb0EES1O_IbLb1EEEEDaS1K_S1L_EUlS1K_E_NS1_11comp_targetILNS1_3genE9ELNS1_11target_archE1100ELNS1_3gpuE3ELNS1_3repE0EEENS1_30default_config_static_selectorELNS0_4arch9wavefront6targetE0EEEvSY_ ; -- Begin function _ZN7rocprim17ROCPRIM_400000_NS6detail17trampoline_kernelINS0_13select_configILj256ELj13ELNS0_17block_load_methodE3ELS4_3ELS4_3ELNS0_20block_scan_algorithmE0ELj4294967295EEENS1_25partition_config_selectorILNS1_17partition_subalgoE3EjNS0_10empty_typeEbEEZZNS1_14partition_implILS8_3ELb0ES6_jNS0_17counting_iteratorIjlEEPS9_SE_NS0_5tupleIJPjSE_EEENSF_IJSE_SE_EEES9_SG_JZNS1_25segmented_radix_sort_implINS0_14default_configELb1EPKfPfPKlPlN2at6native12_GLOBAL__N_18offset_tEEE10hipError_tPvRmT1_PNSt15iterator_traitsISY_E10value_typeET2_T3_PNSZ_IS14_E10value_typeET4_jRbjT5_S1A_jjP12ihipStream_tbEUljE_EEESV_SW_SX_S14_S18_S1A_T6_T7_T9_mT8_S1C_bDpT10_ENKUlT_T0_E_clISt17integral_constantIbLb0EES1O_IbLb1EEEEDaS1K_S1L_EUlS1K_E_NS1_11comp_targetILNS1_3genE9ELNS1_11target_archE1100ELNS1_3gpuE3ELNS1_3repE0EEENS1_30default_config_static_selectorELNS0_4arch9wavefront6targetE0EEEvSY_
	.p2align	8
	.type	_ZN7rocprim17ROCPRIM_400000_NS6detail17trampoline_kernelINS0_13select_configILj256ELj13ELNS0_17block_load_methodE3ELS4_3ELS4_3ELNS0_20block_scan_algorithmE0ELj4294967295EEENS1_25partition_config_selectorILNS1_17partition_subalgoE3EjNS0_10empty_typeEbEEZZNS1_14partition_implILS8_3ELb0ES6_jNS0_17counting_iteratorIjlEEPS9_SE_NS0_5tupleIJPjSE_EEENSF_IJSE_SE_EEES9_SG_JZNS1_25segmented_radix_sort_implINS0_14default_configELb1EPKfPfPKlPlN2at6native12_GLOBAL__N_18offset_tEEE10hipError_tPvRmT1_PNSt15iterator_traitsISY_E10value_typeET2_T3_PNSZ_IS14_E10value_typeET4_jRbjT5_S1A_jjP12ihipStream_tbEUljE_EEESV_SW_SX_S14_S18_S1A_T6_T7_T9_mT8_S1C_bDpT10_ENKUlT_T0_E_clISt17integral_constantIbLb0EES1O_IbLb1EEEEDaS1K_S1L_EUlS1K_E_NS1_11comp_targetILNS1_3genE9ELNS1_11target_archE1100ELNS1_3gpuE3ELNS1_3repE0EEENS1_30default_config_static_selectorELNS0_4arch9wavefront6targetE0EEEvSY_,@function
_ZN7rocprim17ROCPRIM_400000_NS6detail17trampoline_kernelINS0_13select_configILj256ELj13ELNS0_17block_load_methodE3ELS4_3ELS4_3ELNS0_20block_scan_algorithmE0ELj4294967295EEENS1_25partition_config_selectorILNS1_17partition_subalgoE3EjNS0_10empty_typeEbEEZZNS1_14partition_implILS8_3ELb0ES6_jNS0_17counting_iteratorIjlEEPS9_SE_NS0_5tupleIJPjSE_EEENSF_IJSE_SE_EEES9_SG_JZNS1_25segmented_radix_sort_implINS0_14default_configELb1EPKfPfPKlPlN2at6native12_GLOBAL__N_18offset_tEEE10hipError_tPvRmT1_PNSt15iterator_traitsISY_E10value_typeET2_T3_PNSZ_IS14_E10value_typeET4_jRbjT5_S1A_jjP12ihipStream_tbEUljE_EEESV_SW_SX_S14_S18_S1A_T6_T7_T9_mT8_S1C_bDpT10_ENKUlT_T0_E_clISt17integral_constantIbLb0EES1O_IbLb1EEEEDaS1K_S1L_EUlS1K_E_NS1_11comp_targetILNS1_3genE9ELNS1_11target_archE1100ELNS1_3gpuE3ELNS1_3repE0EEENS1_30default_config_static_selectorELNS0_4arch9wavefront6targetE0EEEvSY_: ; @_ZN7rocprim17ROCPRIM_400000_NS6detail17trampoline_kernelINS0_13select_configILj256ELj13ELNS0_17block_load_methodE3ELS4_3ELS4_3ELNS0_20block_scan_algorithmE0ELj4294967295EEENS1_25partition_config_selectorILNS1_17partition_subalgoE3EjNS0_10empty_typeEbEEZZNS1_14partition_implILS8_3ELb0ES6_jNS0_17counting_iteratorIjlEEPS9_SE_NS0_5tupleIJPjSE_EEENSF_IJSE_SE_EEES9_SG_JZNS1_25segmented_radix_sort_implINS0_14default_configELb1EPKfPfPKlPlN2at6native12_GLOBAL__N_18offset_tEEE10hipError_tPvRmT1_PNSt15iterator_traitsISY_E10value_typeET2_T3_PNSZ_IS14_E10value_typeET4_jRbjT5_S1A_jjP12ihipStream_tbEUljE_EEESV_SW_SX_S14_S18_S1A_T6_T7_T9_mT8_S1C_bDpT10_ENKUlT_T0_E_clISt17integral_constantIbLb0EES1O_IbLb1EEEEDaS1K_S1L_EUlS1K_E_NS1_11comp_targetILNS1_3genE9ELNS1_11target_archE1100ELNS1_3gpuE3ELNS1_3repE0EEENS1_30default_config_static_selectorELNS0_4arch9wavefront6targetE0EEEvSY_
; %bb.0:
	s_clause 0x6
	s_load_b64 s[16:17], s[0:1], 0x10
	s_load_b64 s[12:13], s[0:1], 0x28
	;; [unrolled: 1-line block ×3, first 2 shown]
	s_load_b128 s[8:11], s[0:1], 0x48
	s_load_b32 s3, s[0:1], 0x90
	s_load_b64 s[18:19], s[0:1], 0x68
	s_load_b128 s[4:7], s[0:1], 0x80
	v_cmp_eq_u32_e64 s2, 0, v0
	s_delay_alu instid0(VALU_DEP_1)
	s_and_saveexec_b32 s20, s2
	s_cbranch_execz .LBB1323_4
; %bb.1:
	s_mov_b32 s22, exec_lo
	s_mov_b32 s21, exec_lo
	v_mbcnt_lo_u32_b32 v1, s22, 0
                                        ; implicit-def: $vgpr2
	s_delay_alu instid0(VALU_DEP_1)
	v_cmpx_eq_u32_e32 0, v1
	s_cbranch_execz .LBB1323_3
; %bb.2:
	s_load_b64 s[24:25], s[0:1], 0x78
	s_bcnt1_i32_b32 s22, s22
	s_delay_alu instid0(SALU_CYCLE_1)
	v_dual_mov_b32 v2, 0 :: v_dual_mov_b32 v3, s22
	s_waitcnt lgkmcnt(0)
	global_atomic_add_u32 v2, v2, v3, s[24:25] glc
.LBB1323_3:
	s_or_b32 exec_lo, exec_lo, s21
	s_waitcnt vmcnt(0)
	v_readfirstlane_b32 s21, v2
	s_delay_alu instid0(VALU_DEP_1)
	v_dual_mov_b32 v2, 0 :: v_dual_add_nc_u32 v1, s21, v1
	ds_store_b32 v2, v1
.LBB1323_4:
	s_or_b32 exec_lo, exec_lo, s20
	v_mov_b32_e32 v1, 0
	s_clause 0x1
	s_load_b32 s20, s[0:1], 0x8
	s_load_b32 s0, s[0:1], 0x70
	s_waitcnt lgkmcnt(0)
	s_barrier
	buffer_gl0_inv
	ds_load_b32 v2, v1
	s_waitcnt lgkmcnt(0)
	s_barrier
	buffer_gl0_inv
	global_load_b64 v[18:19], v1, s[10:11]
	v_lshlrev_b32_e32 v33, 2, v0
	s_add_i32 s21, s20, s16
	s_mul_i32 s1, s0, 0xd00
	s_add_i32 s0, s0, -1
	s_add_u32 s10, s16, s1
	s_addc_u32 s11, s17, 0
	v_mul_lo_u32 v32, 0xd00, v2
	v_readfirstlane_b32 s20, v2
	v_cmp_lt_u64_e64 s11, s[10:11], s[14:15]
	v_cmp_ne_u32_e32 vcc_lo, s0, v2
	s_delay_alu instid0(VALU_DEP_3) | instskip(SKIP_1) | instid1(VALU_DEP_4)
	s_cmp_eq_u32 s20, s0
	s_cselect_b32 s10, -1, 0
	v_add3_u32 v1, v32, s21, v0
	s_delay_alu instid0(VALU_DEP_3) | instskip(SKIP_2) | instid1(VALU_DEP_1)
	s_or_b32 s0, s11, vcc_lo
	s_mov_b32 s11, -1
	s_and_b32 vcc_lo, exec_lo, s0
	v_add_nc_u32_e32 v2, 0x100, v1
	v_add_nc_u32_e32 v3, 0x200, v1
	;; [unrolled: 1-line block ×12, first 2 shown]
	s_cbranch_vccz .LBB1323_6
; %bb.5:
	ds_store_2addr_stride64_b32 v33, v1, v2 offset1:4
	ds_store_2addr_stride64_b32 v33, v3, v4 offset0:8 offset1:12
	ds_store_2addr_stride64_b32 v33, v5, v6 offset0:16 offset1:20
	;; [unrolled: 1-line block ×5, first 2 shown]
	ds_store_b32 v33, v13 offset:12288
	s_waitcnt vmcnt(0) lgkmcnt(0)
	s_mov_b32 s11, 0
	s_barrier
.LBB1323_6:
	s_and_not1_b32 vcc_lo, exec_lo, s11
	s_add_i32 s1, s1, s16
	s_cbranch_vccnz .LBB1323_8
; %bb.7:
	ds_store_2addr_stride64_b32 v33, v1, v2 offset1:4
	ds_store_2addr_stride64_b32 v33, v3, v4 offset0:8 offset1:12
	ds_store_2addr_stride64_b32 v33, v5, v6 offset0:16 offset1:20
	;; [unrolled: 1-line block ×5, first 2 shown]
	ds_store_b32 v33, v13 offset:12288
	s_waitcnt vmcnt(0) lgkmcnt(0)
	s_barrier
.LBB1323_8:
	v_mul_u32_u24_e32 v36, 13, v0
	s_waitcnt vmcnt(0)
	buffer_gl0_inv
	v_cndmask_b32_e64 v34, 0, 1, s0
	s_sub_i32 s11, s14, s1
	s_and_not1_b32 vcc_lo, exec_lo, s0
	v_lshlrev_b32_e32 v1, 2, v36
	ds_load_2addr_b32 v[30:31], v1 offset1:1
	ds_load_2addr_b32 v[28:29], v1 offset0:2 offset1:3
	ds_load_2addr_b32 v[26:27], v1 offset0:4 offset1:5
	;; [unrolled: 1-line block ×5, first 2 shown]
	ds_load_b32 v35, v1 offset:48
	s_waitcnt lgkmcnt(0)
	s_barrier
	buffer_gl0_inv
	s_cbranch_vccnz .LBB1323_10
; %bb.9:
	v_add_nc_u32_e32 v1, s5, v30
	v_add_nc_u32_e32 v2, s7, v30
	;; [unrolled: 1-line block ×5, first 2 shown]
	v_mul_lo_u32 v1, v1, s4
	v_mul_lo_u32 v2, v2, s6
	;; [unrolled: 1-line block ×4, first 2 shown]
	v_add_nc_u32_e32 v6, s7, v28
	v_add_nc_u32_e32 v7, s5, v29
	;; [unrolled: 1-line block ×3, first 2 shown]
	v_mul_lo_u32 v5, v5, s4
	v_add_nc_u32_e32 v9, s5, v24
	v_sub_nc_u32_e32 v1, v1, v2
	v_mul_lo_u32 v2, v6, s6
	v_sub_nc_u32_e32 v3, v3, v4
	v_mul_lo_u32 v4, v7, s4
	v_mul_lo_u32 v6, v8, s6
	v_add_nc_u32_e32 v7, s5, v26
	v_cmp_lt_u32_e32 vcc_lo, s3, v1
	v_add_nc_u32_e32 v8, s5, v27
	v_add_nc_u32_e32 v10, s7, v24
	v_sub_nc_u32_e32 v2, v5, v2
	v_add_nc_u32_e32 v5, s7, v26
	v_cndmask_b32_e64 v1, 0, 1, vcc_lo
	v_sub_nc_u32_e32 v4, v4, v6
	v_mul_lo_u32 v6, v7, s4
	v_add_nc_u32_e32 v7, s7, v27
	v_cmp_lt_u32_e32 vcc_lo, s3, v3
	v_mul_lo_u32 v5, v5, s6
	v_mul_lo_u32 v8, v8, s4
	;; [unrolled: 1-line block ×4, first 2 shown]
	v_cndmask_b32_e64 v3, 0, 1, vcc_lo
	v_cmp_lt_u32_e32 vcc_lo, s3, v2
	v_mul_lo_u32 v10, v10, s6
	v_add_nc_u32_e32 v11, s5, v22
	v_sub_nc_u32_e32 v5, v6, v5
	v_add_nc_u32_e32 v12, s7, v22
	v_cndmask_b32_e64 v2, 0, 1, vcc_lo
	v_sub_nc_u32_e32 v6, v8, v7
	v_add_nc_u32_e32 v7, s5, v25
	v_add_nc_u32_e32 v8, s7, v25
	v_cmp_lt_u32_e32 vcc_lo, s3, v4
	v_sub_nc_u32_e32 v9, v9, v10
	v_mul_lo_u32 v10, v11, s4
	v_mul_lo_u32 v7, v7, s4
	;; [unrolled: 1-line block ×4, first 2 shown]
	v_cndmask_b32_e64 v4, 0, 1, vcc_lo
	v_cmp_lt_u32_e32 vcc_lo, s3, v5
	v_add_nc_u32_e32 v12, s5, v23
	v_add_nc_u32_e32 v13, s7, v20
	;; [unrolled: 1-line block ×4, first 2 shown]
	v_cndmask_b32_e64 v5, 0, 1, vcc_lo
	v_cmp_lt_u32_e32 vcc_lo, s3, v6
	v_sub_nc_u32_e32 v7, v7, v8
	v_sub_nc_u32_e32 v8, v10, v11
	v_add_nc_u32_e32 v11, s7, v23
	v_mul_lo_u32 v10, v12, s4
	v_cndmask_b32_e64 v6, 0, 1, vcc_lo
	v_cmp_lt_u32_e32 vcc_lo, s3, v9
	v_add_nc_u32_e32 v12, s5, v20
	v_mul_lo_u32 v11, v11, s6
	v_mul_lo_u32 v13, v13, s6
	;; [unrolled: 1-line block ×3, first 2 shown]
	v_cndmask_b32_e64 v9, 0, 1, vcc_lo
	v_cmp_lt_u32_e32 vcc_lo, s3, v7
	v_mul_lo_u32 v12, v12, s4
	v_mul_lo_u32 v15, v15, s6
	v_lshlrev_b16 v3, 8, v3
	v_sub_nc_u32_e32 v10, v10, v11
	v_cndmask_b32_e64 v7, 0, 1, vcc_lo
	v_cmp_lt_u32_e32 vcc_lo, s3, v8
	v_add_nc_u32_e32 v11, s5, v35
	v_or_b32_e32 v1, v1, v3
	v_sub_nc_u32_e32 v12, v12, v13
	v_sub_nc_u32_e32 v13, v14, v15
	v_cndmask_b32_e64 v8, 0, 1, vcc_lo
	v_cmp_lt_u32_e32 vcc_lo, s3, v10
	v_add_nc_u32_e32 v16, s7, v35
	v_mul_lo_u32 v11, v11, s4
	v_lshlrev_b16 v4, 8, v4
	v_lshlrev_b16 v6, 8, v6
	v_cndmask_b32_e64 v10, 0, 1, vcc_lo
	v_cmp_lt_u32_e32 vcc_lo, s3, v12
	v_mul_lo_u32 v14, v16, s6
	v_lshlrev_b16 v7, 8, v7
	v_or_b32_e32 v2, v2, v4
	v_lshlrev_b16 v10, 8, v10
	v_cndmask_b32_e64 v3, 0, 1, vcc_lo
	v_cmp_lt_u32_e32 vcc_lo, s3, v13
	v_or_b32_e32 v4, v5, v6
	v_or_b32_e32 v5, v9, v7
	v_sub_nc_u32_e32 v11, v11, v14
	v_or_b32_e32 v6, v8, v10
	v_cndmask_b32_e64 v12, 0, 1, vcc_lo
	v_and_b32_e32 v1, 0xffff, v1
	v_lshlrev_b32_e32 v2, 16, v2
	v_and_b32_e32 v4, 0xffff, v4
	v_lshlrev_b32_e32 v5, 16, v5
	v_lshlrev_b16 v12, 8, v12
	v_and_b32_e32 v6, 0xffff, v6
	v_cmp_lt_u32_e32 vcc_lo, s3, v11
	v_or_b32_e32 v42, v1, v2
	v_or_b32_e32 v40, v4, v5
	;; [unrolled: 1-line block ×3, first 2 shown]
	v_cndmask_b32_e64 v37, 0, 1, vcc_lo
	s_delay_alu instid0(VALU_DEP_2) | instskip(NEXT) | instid1(VALU_DEP_1)
	v_lshlrev_b32_e32 v3, 16, v3
	v_or_b32_e32 v38, v6, v3
	s_addk_i32 s11, 0xd00
	s_cbranch_execz .LBB1323_11
	s_branch .LBB1323_38
.LBB1323_10:
                                        ; implicit-def: $vgpr37
                                        ; implicit-def: $vgpr38
                                        ; implicit-def: $vgpr40
                                        ; implicit-def: $vgpr42
	s_addk_i32 s11, 0xd00
.LBB1323_11:
	v_dual_mov_b32 v2, 0 :: v_dual_mov_b32 v1, 0
	s_mov_b32 s0, exec_lo
	v_cmpx_gt_u32_e64 s11, v36
; %bb.12:
	v_add_nc_u32_e32 v1, s5, v30
	v_add_nc_u32_e32 v3, s7, v30
	s_delay_alu instid0(VALU_DEP_2) | instskip(NEXT) | instid1(VALU_DEP_2)
	v_mul_lo_u32 v1, v1, s4
	v_mul_lo_u32 v3, v3, s6
	s_delay_alu instid0(VALU_DEP_1) | instskip(NEXT) | instid1(VALU_DEP_1)
	v_sub_nc_u32_e32 v1, v1, v3
	v_cmp_lt_u32_e32 vcc_lo, s3, v1
	v_cndmask_b32_e64 v1, 0, 1, vcc_lo
; %bb.13:
	s_or_b32 exec_lo, exec_lo, s0
	v_add_nc_u32_e32 v3, 1, v36
	s_mov_b32 s0, exec_lo
	s_delay_alu instid0(VALU_DEP_1)
	v_cmpx_gt_u32_e64 s11, v3
; %bb.14:
	v_add_nc_u32_e32 v2, s5, v31
	v_add_nc_u32_e32 v3, s7, v31
	s_delay_alu instid0(VALU_DEP_2) | instskip(NEXT) | instid1(VALU_DEP_2)
	v_mul_lo_u32 v2, v2, s4
	v_mul_lo_u32 v3, v3, s6
	s_delay_alu instid0(VALU_DEP_1) | instskip(NEXT) | instid1(VALU_DEP_1)
	v_sub_nc_u32_e32 v2, v2, v3
	v_cmp_lt_u32_e32 vcc_lo, s3, v2
	v_cndmask_b32_e64 v2, 0, 1, vcc_lo
; %bb.15:
	s_or_b32 exec_lo, exec_lo, s0
	v_dual_mov_b32 v4, 0 :: v_dual_add_nc_u32 v3, 2, v36
	s_delay_alu instid0(VALU_DEP_1)
	v_cmp_gt_u32_e32 vcc_lo, s11, v3
	v_mov_b32_e32 v3, 0
	s_and_saveexec_b32 s0, vcc_lo
; %bb.16:
	v_add_nc_u32_e32 v3, s5, v28
	v_add_nc_u32_e32 v5, s7, v28
	s_delay_alu instid0(VALU_DEP_2) | instskip(NEXT) | instid1(VALU_DEP_2)
	v_mul_lo_u32 v3, v3, s4
	v_mul_lo_u32 v5, v5, s6
	s_delay_alu instid0(VALU_DEP_1) | instskip(NEXT) | instid1(VALU_DEP_1)
	v_sub_nc_u32_e32 v3, v3, v5
	v_cmp_lt_u32_e32 vcc_lo, s3, v3
	v_cndmask_b32_e64 v3, 0, 1, vcc_lo
; %bb.17:
	s_or_b32 exec_lo, exec_lo, s0
	v_add_nc_u32_e32 v5, 3, v36
	s_mov_b32 s0, exec_lo
	s_delay_alu instid0(VALU_DEP_1)
	v_cmpx_gt_u32_e64 s11, v5
; %bb.18:
	v_add_nc_u32_e32 v4, s5, v29
	v_add_nc_u32_e32 v5, s7, v29
	s_delay_alu instid0(VALU_DEP_2) | instskip(NEXT) | instid1(VALU_DEP_2)
	v_mul_lo_u32 v4, v4, s4
	v_mul_lo_u32 v5, v5, s6
	s_delay_alu instid0(VALU_DEP_1) | instskip(NEXT) | instid1(VALU_DEP_1)
	v_sub_nc_u32_e32 v4, v4, v5
	v_cmp_lt_u32_e32 vcc_lo, s3, v4
	v_cndmask_b32_e64 v4, 0, 1, vcc_lo
; %bb.19:
	s_or_b32 exec_lo, exec_lo, s0
	v_dual_mov_b32 v6, 0 :: v_dual_add_nc_u32 v5, 4, v36
	s_delay_alu instid0(VALU_DEP_1)
	v_cmp_gt_u32_e32 vcc_lo, s11, v5
	v_mov_b32_e32 v5, 0
	s_and_saveexec_b32 s0, vcc_lo
	;; [unrolled: 33-line block ×5, first 2 shown]
; %bb.32:
	v_add_nc_u32_e32 v11, s5, v20
	v_add_nc_u32_e32 v13, s7, v20
	s_delay_alu instid0(VALU_DEP_2) | instskip(NEXT) | instid1(VALU_DEP_2)
	v_mul_lo_u32 v11, v11, s4
	v_mul_lo_u32 v13, v13, s6
	s_delay_alu instid0(VALU_DEP_1) | instskip(NEXT) | instid1(VALU_DEP_1)
	v_sub_nc_u32_e32 v11, v11, v13
	v_cmp_lt_u32_e32 vcc_lo, s3, v11
	v_cndmask_b32_e64 v11, 0, 1, vcc_lo
; %bb.33:
	s_or_b32 exec_lo, exec_lo, s0
	v_add_nc_u32_e32 v13, 11, v36
	s_mov_b32 s0, exec_lo
	s_delay_alu instid0(VALU_DEP_1)
	v_cmpx_gt_u32_e64 s11, v13
; %bb.34:
	v_add_nc_u32_e32 v12, s5, v21
	v_add_nc_u32_e32 v13, s7, v21
	s_delay_alu instid0(VALU_DEP_2) | instskip(NEXT) | instid1(VALU_DEP_2)
	v_mul_lo_u32 v12, v12, s4
	v_mul_lo_u32 v13, v13, s6
	s_delay_alu instid0(VALU_DEP_1) | instskip(NEXT) | instid1(VALU_DEP_1)
	v_sub_nc_u32_e32 v12, v12, v13
	v_cmp_lt_u32_e32 vcc_lo, s3, v12
	v_cndmask_b32_e64 v12, 0, 1, vcc_lo
; %bb.35:
	s_or_b32 exec_lo, exec_lo, s0
	v_add_nc_u32_e32 v13, 12, v36
	v_mov_b32_e32 v37, 0
	s_mov_b32 s0, exec_lo
	s_delay_alu instid0(VALU_DEP_2)
	v_cmpx_gt_u32_e64 s11, v13
; %bb.36:
	v_add_nc_u32_e32 v13, s5, v35
	v_add_nc_u32_e32 v14, s7, v35
	s_delay_alu instid0(VALU_DEP_2) | instskip(NEXT) | instid1(VALU_DEP_2)
	v_mul_lo_u32 v13, v13, s4
	v_mul_lo_u32 v14, v14, s6
	s_delay_alu instid0(VALU_DEP_1) | instskip(NEXT) | instid1(VALU_DEP_1)
	v_sub_nc_u32_e32 v13, v13, v14
	v_cmp_lt_u32_e32 vcc_lo, s3, v13
	v_cndmask_b32_e64 v37, 0, 1, vcc_lo
; %bb.37:
	s_or_b32 exec_lo, exec_lo, s0
	v_lshlrev_b16 v2, 8, v2
	v_lshlrev_b16 v4, 8, v4
	;; [unrolled: 1-line block ×5, first 2 shown]
	v_or_b32_e32 v1, v1, v2
	v_lshlrev_b16 v2, 8, v12
	v_or_b32_e32 v3, v3, v4
	v_or_b32_e32 v4, v5, v6
	;; [unrolled: 1-line block ×5, first 2 shown]
	v_and_b32_e32 v1, 0xffff, v1
	v_lshlrev_b32_e32 v3, 16, v3
	v_and_b32_e32 v4, 0xffff, v4
	v_lshlrev_b32_e32 v5, 16, v5
	;; [unrolled: 2-line block ×3, first 2 shown]
	v_or_b32_e32 v42, v1, v3
	s_delay_alu instid0(VALU_DEP_4) | instskip(NEXT) | instid1(VALU_DEP_3)
	v_or_b32_e32 v40, v4, v5
	v_or_b32_e32 v38, v6, v2
.LBB1323_38:
	s_delay_alu instid0(VALU_DEP_3)
	v_and_b32_e32 v44, 0xff, v42
	v_bfe_u32 v45, v42, 8, 8
	v_bfe_u32 v46, v42, 16, 8
	v_lshrrev_b32_e32 v43, 24, v42
	v_and_b32_e32 v47, 0xff, v40
	v_bfe_u32 v48, v40, 8, 8
	v_bfe_u32 v49, v40, 16, 8
	v_add3_u32 v1, v45, v44, v46
	v_lshrrev_b32_e32 v41, 24, v40
	v_and_b32_e32 v50, 0xff, v38
	v_bfe_u32 v51, v38, 8, 8
	v_mbcnt_lo_u32_b32 v53, -1, 0
	v_add3_u32 v1, v1, v43, v47
	v_bfe_u32 v52, v38, 16, 8
	v_lshrrev_b32_e32 v39, 24, v38
	v_and_b32_e32 v2, 0xff, v37
	v_and_b32_e32 v3, 15, v53
	v_add3_u32 v1, v1, v48, v49
	v_or_b32_e32 v4, 31, v0
	v_and_b32_e32 v5, 16, v53
	v_lshrrev_b32_e32 v54, 5, v0
	v_cmp_eq_u32_e64 s6, 0, v3
	v_add3_u32 v1, v1, v41, v50
	v_cmp_lt_u32_e64 s5, 1, v3
	v_cmp_lt_u32_e64 s4, 3, v3
	;; [unrolled: 1-line block ×3, first 2 shown]
	v_cmp_eq_u32_e64 s1, 0, v5
	v_add3_u32 v1, v1, v51, v52
	v_cmp_eq_u32_e64 s0, v4, v0
	s_cmp_lg_u32 s20, 0
	s_mov_b32 s7, -1
	s_delay_alu instid0(VALU_DEP_2)
	v_add3_u32 v55, v1, v39, v2
	s_cbranch_scc0 .LBB1323_64
; %bb.39:
	s_delay_alu instid0(VALU_DEP_1) | instskip(NEXT) | instid1(VALU_DEP_1)
	v_mov_b32_dpp v1, v55 row_shr:1 row_mask:0xf bank_mask:0xf
	v_cndmask_b32_e64 v1, v1, 0, s6
	s_delay_alu instid0(VALU_DEP_1) | instskip(NEXT) | instid1(VALU_DEP_1)
	v_add_nc_u32_e32 v1, v1, v55
	v_mov_b32_dpp v2, v1 row_shr:2 row_mask:0xf bank_mask:0xf
	s_delay_alu instid0(VALU_DEP_1) | instskip(NEXT) | instid1(VALU_DEP_1)
	v_cndmask_b32_e64 v2, 0, v2, s5
	v_add_nc_u32_e32 v1, v1, v2
	s_delay_alu instid0(VALU_DEP_1) | instskip(NEXT) | instid1(VALU_DEP_1)
	v_mov_b32_dpp v2, v1 row_shr:4 row_mask:0xf bank_mask:0xf
	v_cndmask_b32_e64 v2, 0, v2, s4
	s_delay_alu instid0(VALU_DEP_1) | instskip(NEXT) | instid1(VALU_DEP_1)
	v_add_nc_u32_e32 v1, v1, v2
	v_mov_b32_dpp v2, v1 row_shr:8 row_mask:0xf bank_mask:0xf
	s_delay_alu instid0(VALU_DEP_1) | instskip(NEXT) | instid1(VALU_DEP_1)
	v_cndmask_b32_e64 v2, 0, v2, s3
	v_add_nc_u32_e32 v1, v1, v2
	ds_swizzle_b32 v2, v1 offset:swizzle(BROADCAST,32,15)
	s_waitcnt lgkmcnt(0)
	v_cndmask_b32_e64 v2, v2, 0, s1
	s_delay_alu instid0(VALU_DEP_1)
	v_add_nc_u32_e32 v1, v1, v2
	s_and_saveexec_b32 s7, s0
	s_cbranch_execz .LBB1323_41
; %bb.40:
	v_lshlrev_b32_e32 v2, 2, v54
	ds_store_b32 v2, v1
.LBB1323_41:
	s_or_b32 exec_lo, exec_lo, s7
	s_delay_alu instid0(SALU_CYCLE_1)
	s_mov_b32 s7, exec_lo
	s_waitcnt lgkmcnt(0)
	s_barrier
	buffer_gl0_inv
	v_cmpx_gt_u32_e32 8, v0
	s_cbranch_execz .LBB1323_43
; %bb.42:
	ds_load_b32 v2, v33
	s_waitcnt lgkmcnt(0)
	v_mov_b32_dpp v4, v2 row_shr:1 row_mask:0xf bank_mask:0xf
	v_and_b32_e32 v3, 7, v53
	s_delay_alu instid0(VALU_DEP_1) | instskip(NEXT) | instid1(VALU_DEP_3)
	v_cmp_ne_u32_e32 vcc_lo, 0, v3
	v_cndmask_b32_e32 v4, 0, v4, vcc_lo
	v_cmp_lt_u32_e32 vcc_lo, 1, v3
	s_delay_alu instid0(VALU_DEP_2) | instskip(NEXT) | instid1(VALU_DEP_1)
	v_add_nc_u32_e32 v2, v4, v2
	v_mov_b32_dpp v4, v2 row_shr:2 row_mask:0xf bank_mask:0xf
	s_delay_alu instid0(VALU_DEP_1) | instskip(SKIP_1) | instid1(VALU_DEP_2)
	v_cndmask_b32_e32 v4, 0, v4, vcc_lo
	v_cmp_lt_u32_e32 vcc_lo, 3, v3
	v_add_nc_u32_e32 v2, v2, v4
	s_delay_alu instid0(VALU_DEP_1) | instskip(NEXT) | instid1(VALU_DEP_1)
	v_mov_b32_dpp v4, v2 row_shr:4 row_mask:0xf bank_mask:0xf
	v_cndmask_b32_e32 v3, 0, v4, vcc_lo
	s_delay_alu instid0(VALU_DEP_1)
	v_add_nc_u32_e32 v2, v2, v3
	ds_store_b32 v33, v2
.LBB1323_43:
	s_or_b32 exec_lo, exec_lo, s7
	v_cmp_gt_u32_e32 vcc_lo, 32, v0
	s_mov_b32 s21, exec_lo
	s_waitcnt lgkmcnt(0)
	s_barrier
	buffer_gl0_inv
                                        ; implicit-def: $vgpr8
	v_cmpx_lt_u32_e32 31, v0
	s_cbranch_execz .LBB1323_45
; %bb.44:
	v_lshl_add_u32 v2, v54, 2, -4
	ds_load_b32 v8, v2
	s_waitcnt lgkmcnt(0)
	v_add_nc_u32_e32 v1, v8, v1
.LBB1323_45:
	s_or_b32 exec_lo, exec_lo, s21
	v_add_nc_u32_e32 v2, -1, v53
	s_delay_alu instid0(VALU_DEP_1) | instskip(NEXT) | instid1(VALU_DEP_1)
	v_cmp_gt_i32_e64 s7, 0, v2
	v_cndmask_b32_e64 v2, v2, v53, s7
	v_cmp_eq_u32_e64 s7, 0, v53
	s_delay_alu instid0(VALU_DEP_2)
	v_lshlrev_b32_e32 v2, 2, v2
	ds_bpermute_b32 v9, v2, v1
	s_and_saveexec_b32 s21, vcc_lo
	s_cbranch_execz .LBB1323_63
; %bb.46:
	v_mov_b32_e32 v4, 0
	ds_load_b32 v1, v4 offset:28
	s_and_saveexec_b32 s22, s7
	s_cbranch_execz .LBB1323_48
; %bb.47:
	s_add_i32 s24, s20, 32
	s_mov_b32 s25, 0
	v_mov_b32_e32 v2, 1
	s_lshl_b64 s[24:25], s[24:25], 3
	s_delay_alu instid0(SALU_CYCLE_1)
	s_add_u32 s24, s18, s24
	s_addc_u32 s25, s19, s25
	s_waitcnt lgkmcnt(0)
	global_store_b64 v4, v[1:2], s[24:25]
.LBB1323_48:
	s_or_b32 exec_lo, exec_lo, s22
	v_xad_u32 v2, v53, -1, s20
	s_mov_b32 s23, 0
	s_mov_b32 s22, exec_lo
	s_delay_alu instid0(VALU_DEP_1) | instskip(NEXT) | instid1(VALU_DEP_1)
	v_add_nc_u32_e32 v3, 32, v2
	v_lshlrev_b64 v[3:4], 3, v[3:4]
	s_delay_alu instid0(VALU_DEP_1) | instskip(NEXT) | instid1(VALU_DEP_2)
	v_add_co_u32 v6, vcc_lo, s18, v3
	v_add_co_ci_u32_e32 v7, vcc_lo, s19, v4, vcc_lo
	global_load_b64 v[4:5], v[6:7], off glc
	s_waitcnt vmcnt(0)
	v_and_b32_e32 v3, 0xff, v5
	s_delay_alu instid0(VALU_DEP_1)
	v_cmpx_eq_u16_e32 0, v3
	s_cbranch_execz .LBB1323_51
.LBB1323_49:                            ; =>This Inner Loop Header: Depth=1
	global_load_b64 v[4:5], v[6:7], off glc
	s_waitcnt vmcnt(0)
	v_and_b32_e32 v3, 0xff, v5
	s_delay_alu instid0(VALU_DEP_1) | instskip(SKIP_1) | instid1(SALU_CYCLE_1)
	v_cmp_ne_u16_e32 vcc_lo, 0, v3
	s_or_b32 s23, vcc_lo, s23
	s_and_not1_b32 exec_lo, exec_lo, s23
	s_cbranch_execnz .LBB1323_49
; %bb.50:
	s_or_b32 exec_lo, exec_lo, s23
.LBB1323_51:
	s_delay_alu instid0(SALU_CYCLE_1)
	s_or_b32 exec_lo, exec_lo, s22
	v_cmp_ne_u32_e32 vcc_lo, 31, v53
	v_lshlrev_b32_e64 v11, v53, -1
	v_add_nc_u32_e32 v13, 2, v53
	v_add_nc_u32_e32 v15, 4, v53
	;; [unrolled: 1-line block ×3, first 2 shown]
	v_add_co_ci_u32_e32 v3, vcc_lo, 0, v53, vcc_lo
	v_add_nc_u32_e32 v58, 16, v53
	s_delay_alu instid0(VALU_DEP_2) | instskip(SKIP_2) | instid1(VALU_DEP_1)
	v_lshlrev_b32_e32 v10, 2, v3
	ds_bpermute_b32 v6, v10, v4
	v_and_b32_e32 v3, 0xff, v5
	v_cmp_eq_u16_e32 vcc_lo, 2, v3
	v_and_or_b32 v3, vcc_lo, v11, 0x80000000
	v_cmp_gt_u32_e32 vcc_lo, 30, v53
	s_delay_alu instid0(VALU_DEP_2) | instskip(SKIP_1) | instid1(VALU_DEP_2)
	v_ctz_i32_b32_e32 v3, v3
	v_cndmask_b32_e64 v7, 0, 1, vcc_lo
	v_cmp_lt_u32_e32 vcc_lo, v53, v3
	s_waitcnt lgkmcnt(0)
	s_delay_alu instid0(VALU_DEP_2) | instskip(NEXT) | instid1(VALU_DEP_1)
	v_dual_cndmask_b32 v6, 0, v6 :: v_dual_lshlrev_b32 v7, 1, v7
	v_add_lshl_u32 v12, v7, v53, 2
	v_cmp_gt_u32_e32 vcc_lo, 28, v53
	s_delay_alu instid0(VALU_DEP_3) | instskip(SKIP_4) | instid1(VALU_DEP_1)
	v_add_nc_u32_e32 v4, v6, v4
	v_cndmask_b32_e64 v7, 0, 1, vcc_lo
	v_cmp_le_u32_e32 vcc_lo, v13, v3
	ds_bpermute_b32 v6, v12, v4
	v_lshlrev_b32_e32 v7, 2, v7
	v_add_lshl_u32 v14, v7, v53, 2
	s_waitcnt lgkmcnt(0)
	v_cndmask_b32_e32 v6, 0, v6, vcc_lo
	v_cmp_gt_u32_e32 vcc_lo, 24, v53
	s_delay_alu instid0(VALU_DEP_2) | instskip(SKIP_4) | instid1(VALU_DEP_1)
	v_add_nc_u32_e32 v4, v4, v6
	v_cndmask_b32_e64 v7, 0, 1, vcc_lo
	v_cmp_le_u32_e32 vcc_lo, v15, v3
	ds_bpermute_b32 v6, v14, v4
	v_lshlrev_b32_e32 v7, 3, v7
	v_add_lshl_u32 v17, v7, v53, 2
	s_waitcnt lgkmcnt(0)
	v_cndmask_b32_e32 v6, 0, v6, vcc_lo
	v_cmp_gt_u32_e32 vcc_lo, 16, v53
	s_delay_alu instid0(VALU_DEP_2) | instskip(SKIP_4) | instid1(VALU_DEP_1)
	v_add_nc_u32_e32 v4, v4, v6
	v_cndmask_b32_e64 v7, 0, 1, vcc_lo
	v_cmp_le_u32_e32 vcc_lo, v56, v3
	ds_bpermute_b32 v6, v17, v4
	v_lshlrev_b32_e32 v7, 4, v7
	v_add_lshl_u32 v57, v7, v53, 2
	s_waitcnt lgkmcnt(0)
	v_cndmask_b32_e32 v6, 0, v6, vcc_lo
	v_cmp_le_u32_e32 vcc_lo, v58, v3
	s_delay_alu instid0(VALU_DEP_2) | instskip(SKIP_3) | instid1(VALU_DEP_1)
	v_add_nc_u32_e32 v4, v4, v6
	ds_bpermute_b32 v6, v57, v4
	s_waitcnt lgkmcnt(0)
	v_cndmask_b32_e32 v3, 0, v6, vcc_lo
	v_dual_mov_b32 v3, 0 :: v_dual_add_nc_u32 v4, v4, v3
	s_branch .LBB1323_53
.LBB1323_52:                            ;   in Loop: Header=BB1323_53 Depth=1
	s_or_b32 exec_lo, exec_lo, s22
	ds_bpermute_b32 v7, v10, v4
	v_and_b32_e32 v6, 0xff, v5
	v_subrev_nc_u32_e32 v2, 32, v2
	s_delay_alu instid0(VALU_DEP_2) | instskip(SKIP_1) | instid1(VALU_DEP_1)
	v_cmp_eq_u16_e32 vcc_lo, 2, v6
	v_and_or_b32 v6, vcc_lo, v11, 0x80000000
	v_ctz_i32_b32_e32 v6, v6
	s_delay_alu instid0(VALU_DEP_1) | instskip(SKIP_3) | instid1(VALU_DEP_2)
	v_cmp_lt_u32_e32 vcc_lo, v53, v6
	s_waitcnt lgkmcnt(0)
	v_cndmask_b32_e32 v7, 0, v7, vcc_lo
	v_cmp_le_u32_e32 vcc_lo, v13, v6
	v_add_nc_u32_e32 v4, v7, v4
	ds_bpermute_b32 v7, v12, v4
	s_waitcnt lgkmcnt(0)
	v_cndmask_b32_e32 v7, 0, v7, vcc_lo
	v_cmp_le_u32_e32 vcc_lo, v15, v6
	s_delay_alu instid0(VALU_DEP_2) | instskip(SKIP_4) | instid1(VALU_DEP_2)
	v_add_nc_u32_e32 v4, v4, v7
	ds_bpermute_b32 v7, v14, v4
	s_waitcnt lgkmcnt(0)
	v_cndmask_b32_e32 v7, 0, v7, vcc_lo
	v_cmp_le_u32_e32 vcc_lo, v56, v6
	v_add_nc_u32_e32 v4, v4, v7
	ds_bpermute_b32 v7, v17, v4
	s_waitcnt lgkmcnt(0)
	v_cndmask_b32_e32 v7, 0, v7, vcc_lo
	v_cmp_le_u32_e32 vcc_lo, v58, v6
	s_delay_alu instid0(VALU_DEP_2) | instskip(SKIP_3) | instid1(VALU_DEP_1)
	v_add_nc_u32_e32 v4, v4, v7
	ds_bpermute_b32 v7, v57, v4
	s_waitcnt lgkmcnt(0)
	v_cndmask_b32_e32 v6, 0, v7, vcc_lo
	v_add3_u32 v4, v6, v16, v4
.LBB1323_53:                            ; =>This Loop Header: Depth=1
                                        ;     Child Loop BB1323_56 Depth 2
	s_delay_alu instid0(VALU_DEP_1) | instskip(NEXT) | instid1(VALU_DEP_1)
	v_dual_mov_b32 v16, v4 :: v_dual_and_b32 v5, 0xff, v5
	v_cmp_ne_u16_e32 vcc_lo, 2, v5
	v_cndmask_b32_e64 v5, 0, 1, vcc_lo
	;;#ASMSTART
	;;#ASMEND
	s_delay_alu instid0(VALU_DEP_1)
	v_cmp_ne_u32_e32 vcc_lo, 0, v5
	s_cmp_lg_u32 vcc_lo, exec_lo
	s_cbranch_scc1 .LBB1323_58
; %bb.54:                               ;   in Loop: Header=BB1323_53 Depth=1
	v_lshlrev_b64 v[4:5], 3, v[2:3]
	s_mov_b32 s22, exec_lo
	s_delay_alu instid0(VALU_DEP_1) | instskip(NEXT) | instid1(VALU_DEP_2)
	v_add_co_u32 v6, vcc_lo, s18, v4
	v_add_co_ci_u32_e32 v7, vcc_lo, s19, v5, vcc_lo
	global_load_b64 v[4:5], v[6:7], off glc
	s_waitcnt vmcnt(0)
	v_and_b32_e32 v59, 0xff, v5
	s_delay_alu instid0(VALU_DEP_1)
	v_cmpx_eq_u16_e32 0, v59
	s_cbranch_execz .LBB1323_52
; %bb.55:                               ;   in Loop: Header=BB1323_53 Depth=1
	s_mov_b32 s23, 0
.LBB1323_56:                            ;   Parent Loop BB1323_53 Depth=1
                                        ; =>  This Inner Loop Header: Depth=2
	global_load_b64 v[4:5], v[6:7], off glc
	s_waitcnt vmcnt(0)
	v_and_b32_e32 v59, 0xff, v5
	s_delay_alu instid0(VALU_DEP_1) | instskip(SKIP_1) | instid1(SALU_CYCLE_1)
	v_cmp_ne_u16_e32 vcc_lo, 0, v59
	s_or_b32 s23, vcc_lo, s23
	s_and_not1_b32 exec_lo, exec_lo, s23
	s_cbranch_execnz .LBB1323_56
; %bb.57:                               ;   in Loop: Header=BB1323_53 Depth=1
	s_or_b32 exec_lo, exec_lo, s23
	s_branch .LBB1323_52
.LBB1323_58:                            ;   in Loop: Header=BB1323_53 Depth=1
                                        ; implicit-def: $vgpr4
                                        ; implicit-def: $vgpr5
	s_cbranch_execz .LBB1323_53
; %bb.59:
	s_and_saveexec_b32 s22, s7
	s_cbranch_execz .LBB1323_61
; %bb.60:
	s_add_i32 s24, s20, 32
	s_mov_b32 s25, 0
	v_dual_mov_b32 v3, 2 :: v_dual_add_nc_u32 v2, v16, v1
	s_lshl_b64 s[24:25], s[24:25], 3
	v_mov_b32_e32 v4, 0
	v_add_nc_u32_e64 v5, 0x3400, 0
	s_add_u32 s24, s18, s24
	s_addc_u32 s25, s19, s25
	global_store_b64 v4, v[2:3], s[24:25]
	ds_store_2addr_b32 v5, v1, v16 offset1:2
.LBB1323_61:
	s_or_b32 exec_lo, exec_lo, s22
	s_delay_alu instid0(SALU_CYCLE_1)
	s_and_b32 exec_lo, exec_lo, s2
	s_cbranch_execz .LBB1323_63
; %bb.62:
	v_mov_b32_e32 v1, 0
	ds_store_b32 v1, v16 offset:28
.LBB1323_63:
	s_or_b32 exec_lo, exec_lo, s21
	v_mov_b32_e32 v1, 0
	s_waitcnt lgkmcnt(0)
	s_waitcnt_vscnt null, 0x0
	s_barrier
	buffer_gl0_inv
	v_cndmask_b32_e64 v2, v9, v8, s7
	ds_load_b32 v1, v1 offset:28
	v_add_nc_u32_e64 v11, 0x3400, 0
	s_waitcnt lgkmcnt(0)
	s_barrier
	v_cndmask_b32_e64 v2, v2, 0, s2
	buffer_gl0_inv
	ds_load_2addr_b32 v[16:17], v11 offset1:2
	v_add_nc_u32_e32 v1, v1, v2
	s_delay_alu instid0(VALU_DEP_1) | instskip(NEXT) | instid1(VALU_DEP_1)
	v_add_nc_u32_e32 v2, v1, v44
	v_add_nc_u32_e32 v3, v2, v45
	s_delay_alu instid0(VALU_DEP_1) | instskip(NEXT) | instid1(VALU_DEP_1)
	v_add_nc_u32_e32 v4, v3, v46
	;; [unrolled: 3-line block ×6, first 2 shown]
	v_add_nc_u32_e32 v13, v12, v39
	s_branch .LBB1323_74
.LBB1323_64:
                                        ; implicit-def: $vgpr17
                                        ; implicit-def: $vgpr1_vgpr2_vgpr3_vgpr4_vgpr5_vgpr6_vgpr7_vgpr8_vgpr9_vgpr10_vgpr11_vgpr12_vgpr13_vgpr14_vgpr15_vgpr16
	s_and_b32 vcc_lo, exec_lo, s7
	s_cbranch_vccz .LBB1323_74
; %bb.65:
	s_delay_alu instid0(VALU_DEP_1) | instskip(NEXT) | instid1(VALU_DEP_1)
	v_mov_b32_dpp v1, v55 row_shr:1 row_mask:0xf bank_mask:0xf
	v_cndmask_b32_e64 v1, v1, 0, s6
	s_delay_alu instid0(VALU_DEP_1) | instskip(NEXT) | instid1(VALU_DEP_1)
	v_add_nc_u32_e32 v1, v1, v55
	v_mov_b32_dpp v2, v1 row_shr:2 row_mask:0xf bank_mask:0xf
	s_delay_alu instid0(VALU_DEP_1) | instskip(NEXT) | instid1(VALU_DEP_1)
	v_cndmask_b32_e64 v2, 0, v2, s5
	v_add_nc_u32_e32 v1, v1, v2
	s_delay_alu instid0(VALU_DEP_1) | instskip(NEXT) | instid1(VALU_DEP_1)
	v_mov_b32_dpp v2, v1 row_shr:4 row_mask:0xf bank_mask:0xf
	v_cndmask_b32_e64 v2, 0, v2, s4
	s_delay_alu instid0(VALU_DEP_1) | instskip(NEXT) | instid1(VALU_DEP_1)
	v_add_nc_u32_e32 v1, v1, v2
	v_mov_b32_dpp v2, v1 row_shr:8 row_mask:0xf bank_mask:0xf
	s_delay_alu instid0(VALU_DEP_1) | instskip(NEXT) | instid1(VALU_DEP_1)
	v_cndmask_b32_e64 v2, 0, v2, s3
	v_add_nc_u32_e32 v1, v1, v2
	ds_swizzle_b32 v2, v1 offset:swizzle(BROADCAST,32,15)
	s_waitcnt lgkmcnt(0)
	v_cndmask_b32_e64 v2, v2, 0, s1
	s_delay_alu instid0(VALU_DEP_1)
	v_add_nc_u32_e32 v1, v1, v2
	s_and_saveexec_b32 s1, s0
	s_cbranch_execz .LBB1323_67
; %bb.66:
	v_lshlrev_b32_e32 v2, 2, v54
	ds_store_b32 v2, v1
.LBB1323_67:
	s_or_b32 exec_lo, exec_lo, s1
	s_delay_alu instid0(SALU_CYCLE_1)
	s_mov_b32 s0, exec_lo
	s_waitcnt lgkmcnt(0)
	s_barrier
	buffer_gl0_inv
	v_cmpx_gt_u32_e32 8, v0
	s_cbranch_execz .LBB1323_69
; %bb.68:
	ds_load_b32 v2, v33
	s_waitcnt lgkmcnt(0)
	v_mov_b32_dpp v4, v2 row_shr:1 row_mask:0xf bank_mask:0xf
	v_and_b32_e32 v3, 7, v53
	s_delay_alu instid0(VALU_DEP_1) | instskip(NEXT) | instid1(VALU_DEP_3)
	v_cmp_ne_u32_e32 vcc_lo, 0, v3
	v_cndmask_b32_e32 v4, 0, v4, vcc_lo
	v_cmp_lt_u32_e32 vcc_lo, 1, v3
	s_delay_alu instid0(VALU_DEP_2) | instskip(NEXT) | instid1(VALU_DEP_1)
	v_add_nc_u32_e32 v2, v4, v2
	v_mov_b32_dpp v4, v2 row_shr:2 row_mask:0xf bank_mask:0xf
	s_delay_alu instid0(VALU_DEP_1) | instskip(SKIP_1) | instid1(VALU_DEP_2)
	v_cndmask_b32_e32 v4, 0, v4, vcc_lo
	v_cmp_lt_u32_e32 vcc_lo, 3, v3
	v_add_nc_u32_e32 v2, v2, v4
	s_delay_alu instid0(VALU_DEP_1) | instskip(NEXT) | instid1(VALU_DEP_1)
	v_mov_b32_dpp v4, v2 row_shr:4 row_mask:0xf bank_mask:0xf
	v_cndmask_b32_e32 v3, 0, v4, vcc_lo
	s_delay_alu instid0(VALU_DEP_1)
	v_add_nc_u32_e32 v2, v2, v3
	ds_store_b32 v33, v2
.LBB1323_69:
	s_or_b32 exec_lo, exec_lo, s0
	v_dual_mov_b32 v3, 0 :: v_dual_mov_b32 v2, 0
	s_mov_b32 s0, exec_lo
	s_waitcnt lgkmcnt(0)
	s_barrier
	buffer_gl0_inv
	v_cmpx_lt_u32_e32 31, v0
	s_cbranch_execz .LBB1323_71
; %bb.70:
	v_lshl_add_u32 v2, v54, 2, -4
	ds_load_b32 v2, v2
.LBB1323_71:
	s_or_b32 exec_lo, exec_lo, s0
	v_add_nc_u32_e32 v4, -1, v53
	s_waitcnt lgkmcnt(0)
	v_add_nc_u32_e32 v1, v2, v1
	ds_load_b32 v16, v3 offset:28
	v_cmp_gt_i32_e32 vcc_lo, 0, v4
	v_cndmask_b32_e32 v4, v4, v53, vcc_lo
	s_delay_alu instid0(VALU_DEP_1)
	v_lshlrev_b32_e32 v4, 2, v4
	ds_bpermute_b32 v1, v4, v1
	s_and_saveexec_b32 s0, s2
	s_cbranch_execz .LBB1323_73
; %bb.72:
	v_mov_b32_e32 v3, 0
	v_mov_b32_e32 v17, 2
	s_waitcnt lgkmcnt(1)
	global_store_b64 v3, v[16:17], s[18:19] offset:256
.LBB1323_73:
	s_or_b32 exec_lo, exec_lo, s0
	v_cmp_eq_u32_e32 vcc_lo, 0, v53
	s_waitcnt lgkmcnt(0)
	s_waitcnt_vscnt null, 0x0
	s_barrier
	buffer_gl0_inv
	v_mov_b32_e32 v17, 0
	v_cndmask_b32_e32 v1, v1, v2, vcc_lo
	s_delay_alu instid0(VALU_DEP_1) | instskip(NEXT) | instid1(VALU_DEP_1)
	v_cndmask_b32_e64 v1, v1, 0, s2
	v_add_nc_u32_e32 v2, v1, v44
	s_delay_alu instid0(VALU_DEP_1) | instskip(NEXT) | instid1(VALU_DEP_1)
	v_add_nc_u32_e32 v3, v2, v45
	v_add_nc_u32_e32 v4, v3, v46
	s_delay_alu instid0(VALU_DEP_1) | instskip(NEXT) | instid1(VALU_DEP_1)
	v_add_nc_u32_e32 v5, v4, v43
	;; [unrolled: 3-line block ×5, first 2 shown]
	v_add_nc_u32_e32 v12, v11, v52
	s_delay_alu instid0(VALU_DEP_1)
	v_add_nc_u32_e32 v13, v12, v39
.LBB1323_74:
	s_waitcnt lgkmcnt(0)
	v_sub_nc_u32_e32 v1, v1, v17
	v_sub_nc_u32_e32 v2, v2, v17
	v_add_nc_u32_e32 v36, v16, v36
	v_lshrrev_b32_e32 v47, 8, v42
	v_lshrrev_b32_e32 v46, 16, v42
	v_sub_nc_u32_e32 v4, v4, v17
	v_sub_nc_u32_e32 v3, v3, v17
	;; [unrolled: 1-line block ×3, first 2 shown]
	v_and_b32_e32 v42, 1, v42
	v_and_b32_e32 v47, 1, v47
	;; [unrolled: 1-line block ×3, first 2 shown]
	v_lshrrev_b32_e32 v45, 8, v40
	v_lshrrev_b32_e32 v44, 16, v40
	v_cmp_eq_u32_e32 vcc_lo, 1, v42
	v_and_b32_e32 v42, 1, v46
	v_sub_nc_u32_e32 v46, v36, v2
	v_lshrrev_b32_e32 v15, 8, v38
	v_lshrrev_b32_e32 v14, 16, v38
	v_cndmask_b32_e32 v1, v48, v1, vcc_lo
	v_cmp_eq_u32_e32 vcc_lo, 1, v47
	v_add_nc_u32_e32 v46, 1, v46
	s_delay_alu instid0(VALU_DEP_3)
	v_lshlrev_b32_e32 v1, 2, v1
	ds_store_b32 v1, v30
	v_cndmask_b32_e32 v1, v46, v2, vcc_lo
	v_sub_nc_u32_e32 v48, v36, v3
	v_sub_nc_u32_e32 v49, v36, v4
	v_cmp_eq_u32_e32 vcc_lo, 1, v42
	v_or_b32_e32 v30, 0x300, v0
	v_lshlrev_b32_e32 v1, 2, v1
	v_add_nc_u32_e32 v48, 2, v48
	v_add_nc_u32_e32 v49, 3, v49
	ds_store_b32 v1, v31
	v_cndmask_b32_e32 v2, v48, v3, vcc_lo
	v_cmp_eq_u32_e32 vcc_lo, 1, v43
	v_or_b32_e32 v31, 0x200, v0
	s_delay_alu instid0(VALU_DEP_3) | instskip(SKIP_2) | instid1(VALU_DEP_3)
	v_dual_cndmask_b32 v3, v49, v4 :: v_dual_lshlrev_b32 v2, 2, v2
	v_sub_nc_u32_e32 v4, v5, v17
	v_sub_nc_u32_e32 v5, v6, v17
	v_lshlrev_b32_e32 v3, 2, v3
	s_delay_alu instid0(VALU_DEP_3) | instskip(NEXT) | instid1(VALU_DEP_3)
	v_sub_nc_u32_e32 v1, v36, v4
	v_sub_nc_u32_e32 v6, v36, v5
	ds_store_b32 v2, v28
	ds_store_b32 v3, v29
	v_and_b32_e32 v2, 1, v40
	v_add_nc_u32_e32 v1, 4, v1
	v_add_nc_u32_e32 v3, 5, v6
	v_sub_nc_u32_e32 v6, v7, v17
	v_and_b32_e32 v7, 1, v45
	v_cmp_eq_u32_e32 vcc_lo, 1, v2
	v_sub_nc_u32_e32 v2, v8, v17
	v_and_b32_e32 v8, 1, v41
	v_or_b32_e32 v29, 0x400, v0
	v_or_b32_e32 v28, 0x500, v0
	v_cndmask_b32_e32 v1, v1, v4, vcc_lo
	v_sub_nc_u32_e32 v4, v36, v6
	v_cmp_eq_u32_e32 vcc_lo, 1, v7
	v_and_b32_e32 v7, 1, v44
	s_delay_alu instid0(VALU_DEP_4) | instskip(NEXT) | instid1(VALU_DEP_4)
	v_lshlrev_b32_e32 v1, 2, v1
	v_dual_cndmask_b32 v3, v3, v5 :: v_dual_add_nc_u32 v4, 6, v4
	v_sub_nc_u32_e32 v5, v36, v2
	s_delay_alu instid0(VALU_DEP_4) | instskip(SKIP_2) | instid1(VALU_DEP_4)
	v_cmp_eq_u32_e32 vcc_lo, 1, v7
	v_sub_nc_u32_e32 v7, v13, v17
	v_add_co_u32 v13, s0, s16, v32
	v_dual_cndmask_b32 v4, v4, v6 :: v_dual_add_nc_u32 v5, 7, v5
	v_cmp_eq_u32_e32 vcc_lo, 1, v8
	v_sub_nc_u32_e32 v6, v9, v17
	v_lshlrev_b32_e32 v3, 2, v3
	ds_store_b32 v1, v26
	ds_store_b32 v3, v27
	v_cndmask_b32_e32 v2, v5, v2, vcc_lo
	v_sub_nc_u32_e32 v1, v36, v6
	v_lshlrev_b32_e32 v3, 2, v4
	v_and_b32_e32 v5, 1, v38
	v_sub_nc_u32_e32 v4, v10, v17
	v_lshlrev_b32_e32 v2, 2, v2
	v_add_nc_u32_e32 v1, 8, v1
	ds_store_b32 v3, v24
	ds_store_b32 v2, v25
	v_cmp_eq_u32_e32 vcc_lo, 1, v5
	v_sub_nc_u32_e32 v3, v11, v17
	v_sub_nc_u32_e32 v2, v36, v4
	v_sub_nc_u32_e32 v5, v12, v17
	v_dual_cndmask_b32 v1, v1, v6 :: v_dual_and_b32 v10, 1, v39
	v_and_b32_e32 v6, 1, v15
	v_sub_nc_u32_e32 v8, v36, v3
	v_add_nc_u32_e32 v2, 9, v2
	v_sub_nc_u32_e32 v9, v36, v5
	v_and_b32_e32 v11, 1, v37
	v_cmp_eq_u32_e32 vcc_lo, 1, v6
	v_add_nc_u32_e32 v6, 10, v8
	v_and_b32_e32 v8, 1, v14
	v_add_nc_u32_e32 v9, 11, v9
	v_dual_cndmask_b32 v2, v2, v4 :: v_dual_lshlrev_b32 v1, 2, v1
	v_sub_nc_u32_e32 v4, v36, v7
	s_delay_alu instid0(VALU_DEP_4) | instskip(SKIP_1) | instid1(VALU_DEP_4)
	v_cmp_eq_u32_e32 vcc_lo, 1, v8
	v_add_co_ci_u32_e64 v14, null, s17, 0, s0
	v_lshlrev_b32_e32 v2, 2, v2
	s_delay_alu instid0(VALU_DEP_4)
	v_dual_cndmask_b32 v3, v6, v3 :: v_dual_add_nc_u32 v4, 12, v4
	v_cmp_eq_u32_e32 vcc_lo, 1, v10
	v_or_b32_e32 v27, 0x600, v0
	v_or_b32_e32 v26, 0x700, v0
	;; [unrolled: 1-line block ×3, first 2 shown]
	v_lshlrev_b32_e32 v3, 2, v3
	v_cndmask_b32_e32 v5, v9, v5, vcc_lo
	v_cmp_eq_u32_e32 vcc_lo, 1, v11
	v_or_b32_e32 v24, 0x900, v0
	s_delay_alu instid0(VALU_DEP_3) | instskip(SKIP_2) | instid1(VALU_DEP_3)
	v_dual_cndmask_b32 v4, v4, v7 :: v_dual_lshlrev_b32 v5, 2, v5
	v_sub_co_u32 v13, vcc_lo, s14, v13
	v_sub_co_ci_u32_e32 v14, vcc_lo, s15, v14, vcc_lo
	v_lshlrev_b32_e32 v4, 2, v4
	ds_store_b32 v1, v22
	ds_store_b32 v2, v23
	;; [unrolled: 1-line block ×5, first 2 shown]
	s_waitcnt lgkmcnt(0)
	s_barrier
	buffer_gl0_inv
	ds_load_2addr_stride64_b32 v[11:12], v33 offset1:4
	ds_load_2addr_stride64_b32 v[9:10], v33 offset0:8 offset1:12
	ds_load_2addr_stride64_b32 v[7:8], v33 offset0:16 offset1:20
	;; [unrolled: 1-line block ×5, first 2 shown]
	ds_load_b32 v20, v33 offset:12288
	v_add_co_u32 v15, vcc_lo, v18, v17
	v_add_co_ci_u32_e32 v17, vcc_lo, 0, v19, vcc_lo
	v_add_co_u32 v13, vcc_lo, v13, v16
	v_add_co_ci_u32_e32 v14, vcc_lo, 0, v14, vcc_lo
	v_cmp_ne_u32_e32 vcc_lo, 1, v34
	s_delay_alu instid0(VALU_DEP_3)
	v_add_co_u32 v18, s0, v13, v15
	v_or_b32_e32 v35, 0x100, v0
	v_or_b32_e32 v23, 0xa00, v0
	v_or_b32_e32 v22, 0xb00, v0
	v_or_b32_e32 v21, 0xc00, v0
	v_add_co_ci_u32_e64 v19, s0, v14, v17, s0
	s_mov_b32 s0, 0
	s_cbranch_vccnz .LBB1323_131
; %bb.75:
	s_mov_b32 s0, exec_lo
                                        ; implicit-def: $vgpr13_vgpr14
	v_cmpx_ge_u32_e64 v0, v16
	s_xor_b32 s0, exec_lo, s0
; %bb.76:
	v_not_b32_e32 v13, v0
	s_delay_alu instid0(VALU_DEP_1) | instskip(SKIP_1) | instid1(VALU_DEP_2)
	v_ashrrev_i32_e32 v14, 31, v13
	v_add_co_u32 v13, vcc_lo, v18, v13
	v_add_co_ci_u32_e32 v14, vcc_lo, v19, v14, vcc_lo
; %bb.77:
	s_and_not1_saveexec_b32 s0, s0
; %bb.78:
	v_add_co_u32 v13, vcc_lo, v15, v0
	v_add_co_ci_u32_e32 v14, vcc_lo, 0, v17, vcc_lo
; %bb.79:
	s_or_b32 exec_lo, exec_lo, s0
	s_delay_alu instid0(VALU_DEP_1) | instskip(SKIP_1) | instid1(VALU_DEP_1)
	v_lshlrev_b64 v[13:14], 2, v[13:14]
	s_mov_b32 s0, exec_lo
	v_add_co_u32 v13, vcc_lo, s12, v13
	s_delay_alu instid0(VALU_DEP_2)
	v_add_co_ci_u32_e32 v14, vcc_lo, s13, v14, vcc_lo
	s_waitcnt lgkmcnt(6)
	global_store_b32 v[13:14], v11, off
                                        ; implicit-def: $vgpr13_vgpr14
	v_cmpx_ge_u32_e64 v35, v16
	s_xor_b32 s0, exec_lo, s0
; %bb.80:
	v_xor_b32_e32 v13, 0xfffffeff, v0
	s_delay_alu instid0(VALU_DEP_1) | instskip(SKIP_1) | instid1(VALU_DEP_2)
	v_ashrrev_i32_e32 v14, 31, v13
	v_add_co_u32 v13, vcc_lo, v18, v13
	v_add_co_ci_u32_e32 v14, vcc_lo, v19, v14, vcc_lo
; %bb.81:
	s_and_not1_saveexec_b32 s0, s0
; %bb.82:
	v_add_co_u32 v13, vcc_lo, v15, v35
	v_add_co_ci_u32_e32 v14, vcc_lo, 0, v17, vcc_lo
; %bb.83:
	s_or_b32 exec_lo, exec_lo, s0
	s_delay_alu instid0(VALU_DEP_1) | instskip(SKIP_1) | instid1(VALU_DEP_1)
	v_lshlrev_b64 v[13:14], 2, v[13:14]
	s_mov_b32 s0, exec_lo
	v_add_co_u32 v13, vcc_lo, s12, v13
	s_delay_alu instid0(VALU_DEP_2)
	v_add_co_ci_u32_e32 v14, vcc_lo, s13, v14, vcc_lo
	global_store_b32 v[13:14], v12, off
                                        ; implicit-def: $vgpr13_vgpr14
	v_cmpx_ge_u32_e64 v31, v16
	s_xor_b32 s0, exec_lo, s0
; %bb.84:
	v_xor_b32_e32 v13, 0xfffffdff, v0
	s_delay_alu instid0(VALU_DEP_1) | instskip(SKIP_1) | instid1(VALU_DEP_2)
	v_ashrrev_i32_e32 v14, 31, v13
	v_add_co_u32 v13, vcc_lo, v18, v13
	v_add_co_ci_u32_e32 v14, vcc_lo, v19, v14, vcc_lo
; %bb.85:
	s_and_not1_saveexec_b32 s0, s0
; %bb.86:
	v_add_co_u32 v13, vcc_lo, v15, v31
	v_add_co_ci_u32_e32 v14, vcc_lo, 0, v17, vcc_lo
; %bb.87:
	s_or_b32 exec_lo, exec_lo, s0
	s_delay_alu instid0(VALU_DEP_1) | instskip(SKIP_1) | instid1(VALU_DEP_1)
	v_lshlrev_b64 v[13:14], 2, v[13:14]
	s_mov_b32 s0, exec_lo
	v_add_co_u32 v13, vcc_lo, s12, v13
	s_delay_alu instid0(VALU_DEP_2)
	v_add_co_ci_u32_e32 v14, vcc_lo, s13, v14, vcc_lo
	s_waitcnt lgkmcnt(5)
	global_store_b32 v[13:14], v9, off
                                        ; implicit-def: $vgpr13_vgpr14
	v_cmpx_ge_u32_e64 v30, v16
	s_xor_b32 s0, exec_lo, s0
; %bb.88:
	v_xor_b32_e32 v13, 0xfffffcff, v0
	s_delay_alu instid0(VALU_DEP_1) | instskip(SKIP_1) | instid1(VALU_DEP_2)
	v_ashrrev_i32_e32 v14, 31, v13
	v_add_co_u32 v13, vcc_lo, v18, v13
	v_add_co_ci_u32_e32 v14, vcc_lo, v19, v14, vcc_lo
; %bb.89:
	s_and_not1_saveexec_b32 s0, s0
; %bb.90:
	v_add_co_u32 v13, vcc_lo, v15, v30
	v_add_co_ci_u32_e32 v14, vcc_lo, 0, v17, vcc_lo
; %bb.91:
	s_or_b32 exec_lo, exec_lo, s0
	s_delay_alu instid0(VALU_DEP_1) | instskip(SKIP_1) | instid1(VALU_DEP_1)
	v_lshlrev_b64 v[13:14], 2, v[13:14]
	s_mov_b32 s0, exec_lo
	v_add_co_u32 v13, vcc_lo, s12, v13
	s_delay_alu instid0(VALU_DEP_2)
	v_add_co_ci_u32_e32 v14, vcc_lo, s13, v14, vcc_lo
	global_store_b32 v[13:14], v10, off
                                        ; implicit-def: $vgpr13_vgpr14
	v_cmpx_ge_u32_e64 v29, v16
	s_xor_b32 s0, exec_lo, s0
; %bb.92:
	v_xor_b32_e32 v13, 0xfffffbff, v0
	;; [unrolled: 47-line block ×6, first 2 shown]
	s_delay_alu instid0(VALU_DEP_1) | instskip(SKIP_1) | instid1(VALU_DEP_2)
	v_ashrrev_i32_e32 v14, 31, v13
	v_add_co_u32 v13, vcc_lo, v18, v13
	v_add_co_ci_u32_e32 v14, vcc_lo, v19, v14, vcc_lo
; %bb.125:
	s_and_not1_saveexec_b32 s0, s0
; %bb.126:
	v_add_co_u32 v13, vcc_lo, v15, v21
	v_add_co_ci_u32_e32 v14, vcc_lo, 0, v17, vcc_lo
; %bb.127:
	s_or_b32 exec_lo, exec_lo, s0
	s_mov_b32 s0, -1
.LBB1323_128:
	s_delay_alu instid0(SALU_CYCLE_1)
	s_and_saveexec_b32 s1, s0
	s_cbranch_execz .LBB1323_211
.LBB1323_129:
	s_waitcnt lgkmcnt(1)
	v_lshlrev_b64 v[0:1], 2, v[13:14]
	s_delay_alu instid0(VALU_DEP_1) | instskip(NEXT) | instid1(VALU_DEP_2)
	v_add_co_u32 v0, vcc_lo, s12, v0
	v_add_co_ci_u32_e32 v1, vcc_lo, s13, v1, vcc_lo
	s_waitcnt lgkmcnt(0)
	global_store_b32 v[0:1], v20, off
	s_or_b32 exec_lo, exec_lo, s1
	s_and_b32 s0, s2, s10
	s_delay_alu instid0(SALU_CYCLE_1)
	s_and_saveexec_b32 s1, s0
	s_cbranch_execnz .LBB1323_212
.LBB1323_130:
	s_nop 0
	s_sendmsg sendmsg(MSG_DEALLOC_VGPRS)
	s_endpgm
.LBB1323_131:
                                        ; implicit-def: $vgpr13_vgpr14
	s_cbranch_execz .LBB1323_128
; %bb.132:
	s_mov_b32 s1, exec_lo
	v_cmpx_gt_u32_e64 s11, v0
	s_cbranch_execz .LBB1323_168
; %bb.133:
	s_mov_b32 s3, exec_lo
                                        ; implicit-def: $vgpr13_vgpr14
	v_cmpx_ge_u32_e64 v0, v16
	s_xor_b32 s3, exec_lo, s3
; %bb.134:
	v_not_b32_e32 v13, v0
	s_delay_alu instid0(VALU_DEP_1) | instskip(SKIP_1) | instid1(VALU_DEP_2)
	v_ashrrev_i32_e32 v14, 31, v13
	v_add_co_u32 v13, vcc_lo, v18, v13
	v_add_co_ci_u32_e32 v14, vcc_lo, v19, v14, vcc_lo
; %bb.135:
	s_and_not1_saveexec_b32 s3, s3
; %bb.136:
	v_add_co_u32 v13, vcc_lo, v15, v0
	v_add_co_ci_u32_e32 v14, vcc_lo, 0, v17, vcc_lo
; %bb.137:
	s_or_b32 exec_lo, exec_lo, s3
	s_delay_alu instid0(VALU_DEP_1) | instskip(NEXT) | instid1(VALU_DEP_1)
	v_lshlrev_b64 v[13:14], 2, v[13:14]
	v_add_co_u32 v13, vcc_lo, s12, v13
	s_delay_alu instid0(VALU_DEP_2) | instskip(SKIP_3) | instid1(SALU_CYCLE_1)
	v_add_co_ci_u32_e32 v14, vcc_lo, s13, v14, vcc_lo
	s_waitcnt lgkmcnt(6)
	global_store_b32 v[13:14], v11, off
	s_or_b32 exec_lo, exec_lo, s1
	s_mov_b32 s1, exec_lo
	v_cmpx_gt_u32_e64 s11, v35
	s_cbranch_execnz .LBB1323_169
.LBB1323_138:
	s_or_b32 exec_lo, exec_lo, s1
	s_delay_alu instid0(SALU_CYCLE_1)
	s_mov_b32 s1, exec_lo
	v_cmpx_gt_u32_e64 s11, v31
	s_cbranch_execz .LBB1323_174
.LBB1323_139:
	s_mov_b32 s3, exec_lo
                                        ; implicit-def: $vgpr11_vgpr12
	v_cmpx_ge_u32_e64 v31, v16
	s_xor_b32 s3, exec_lo, s3
	s_cbranch_execz .LBB1323_141
; %bb.140:
	s_waitcnt lgkmcnt(6)
	v_xor_b32_e32 v11, 0xfffffdff, v0
                                        ; implicit-def: $vgpr31
	s_delay_alu instid0(VALU_DEP_1) | instskip(SKIP_1) | instid1(VALU_DEP_2)
	v_ashrrev_i32_e32 v12, 31, v11
	v_add_co_u32 v11, vcc_lo, v18, v11
	v_add_co_ci_u32_e32 v12, vcc_lo, v19, v12, vcc_lo
.LBB1323_141:
	s_and_not1_saveexec_b32 s3, s3
	s_cbranch_execz .LBB1323_143
; %bb.142:
	s_waitcnt lgkmcnt(6)
	v_add_co_u32 v11, vcc_lo, v15, v31
	v_add_co_ci_u32_e32 v12, vcc_lo, 0, v17, vcc_lo
.LBB1323_143:
	s_or_b32 exec_lo, exec_lo, s3
	s_waitcnt lgkmcnt(6)
	s_delay_alu instid0(VALU_DEP_1) | instskip(NEXT) | instid1(VALU_DEP_1)
	v_lshlrev_b64 v[11:12], 2, v[11:12]
	v_add_co_u32 v11, vcc_lo, s12, v11
	s_delay_alu instid0(VALU_DEP_2) | instskip(SKIP_3) | instid1(SALU_CYCLE_1)
	v_add_co_ci_u32_e32 v12, vcc_lo, s13, v12, vcc_lo
	s_waitcnt lgkmcnt(5)
	global_store_b32 v[11:12], v9, off
	s_or_b32 exec_lo, exec_lo, s1
	s_mov_b32 s1, exec_lo
	v_cmpx_gt_u32_e64 s11, v30
	s_cbranch_execnz .LBB1323_175
.LBB1323_144:
	s_or_b32 exec_lo, exec_lo, s1
	s_delay_alu instid0(SALU_CYCLE_1)
	s_mov_b32 s1, exec_lo
	v_cmpx_gt_u32_e64 s11, v29
	s_cbranch_execz .LBB1323_180
.LBB1323_145:
	s_mov_b32 s3, exec_lo
                                        ; implicit-def: $vgpr9_vgpr10
	v_cmpx_ge_u32_e64 v29, v16
	s_xor_b32 s3, exec_lo, s3
	s_cbranch_execz .LBB1323_147
; %bb.146:
	s_waitcnt lgkmcnt(5)
	v_xor_b32_e32 v9, 0xfffffbff, v0
                                        ; implicit-def: $vgpr29
	s_delay_alu instid0(VALU_DEP_1) | instskip(SKIP_1) | instid1(VALU_DEP_2)
	v_ashrrev_i32_e32 v10, 31, v9
	v_add_co_u32 v9, vcc_lo, v18, v9
	v_add_co_ci_u32_e32 v10, vcc_lo, v19, v10, vcc_lo
.LBB1323_147:
	s_and_not1_saveexec_b32 s3, s3
	s_cbranch_execz .LBB1323_149
; %bb.148:
	s_waitcnt lgkmcnt(5)
	v_add_co_u32 v9, vcc_lo, v15, v29
	v_add_co_ci_u32_e32 v10, vcc_lo, 0, v17, vcc_lo
.LBB1323_149:
	s_or_b32 exec_lo, exec_lo, s3
	s_waitcnt lgkmcnt(5)
	s_delay_alu instid0(VALU_DEP_1) | instskip(NEXT) | instid1(VALU_DEP_1)
	v_lshlrev_b64 v[9:10], 2, v[9:10]
	v_add_co_u32 v9, vcc_lo, s12, v9
	s_delay_alu instid0(VALU_DEP_2) | instskip(SKIP_3) | instid1(SALU_CYCLE_1)
	v_add_co_ci_u32_e32 v10, vcc_lo, s13, v10, vcc_lo
	s_waitcnt lgkmcnt(4)
	global_store_b32 v[9:10], v7, off
	s_or_b32 exec_lo, exec_lo, s1
	s_mov_b32 s1, exec_lo
	v_cmpx_gt_u32_e64 s11, v28
	s_cbranch_execnz .LBB1323_181
.LBB1323_150:
	s_or_b32 exec_lo, exec_lo, s1
	s_delay_alu instid0(SALU_CYCLE_1)
	s_mov_b32 s1, exec_lo
	v_cmpx_gt_u32_e64 s11, v27
	s_cbranch_execz .LBB1323_186
.LBB1323_151:
	s_mov_b32 s3, exec_lo
                                        ; implicit-def: $vgpr7_vgpr8
	v_cmpx_ge_u32_e64 v27, v16
	s_xor_b32 s3, exec_lo, s3
	s_cbranch_execz .LBB1323_153
; %bb.152:
	s_waitcnt lgkmcnt(4)
	v_xor_b32_e32 v7, 0xfffff9ff, v0
                                        ; implicit-def: $vgpr27
	s_delay_alu instid0(VALU_DEP_1) | instskip(SKIP_1) | instid1(VALU_DEP_2)
	v_ashrrev_i32_e32 v8, 31, v7
	v_add_co_u32 v7, vcc_lo, v18, v7
	v_add_co_ci_u32_e32 v8, vcc_lo, v19, v8, vcc_lo
.LBB1323_153:
	s_and_not1_saveexec_b32 s3, s3
	s_cbranch_execz .LBB1323_155
; %bb.154:
	s_waitcnt lgkmcnt(4)
	v_add_co_u32 v7, vcc_lo, v15, v27
	v_add_co_ci_u32_e32 v8, vcc_lo, 0, v17, vcc_lo
.LBB1323_155:
	s_or_b32 exec_lo, exec_lo, s3
	s_waitcnt lgkmcnt(4)
	s_delay_alu instid0(VALU_DEP_1) | instskip(NEXT) | instid1(VALU_DEP_1)
	v_lshlrev_b64 v[7:8], 2, v[7:8]
	v_add_co_u32 v7, vcc_lo, s12, v7
	s_delay_alu instid0(VALU_DEP_2) | instskip(SKIP_3) | instid1(SALU_CYCLE_1)
	v_add_co_ci_u32_e32 v8, vcc_lo, s13, v8, vcc_lo
	s_waitcnt lgkmcnt(3)
	global_store_b32 v[7:8], v5, off
	s_or_b32 exec_lo, exec_lo, s1
	s_mov_b32 s1, exec_lo
	v_cmpx_gt_u32_e64 s11, v26
	s_cbranch_execnz .LBB1323_187
.LBB1323_156:
	s_or_b32 exec_lo, exec_lo, s1
	s_delay_alu instid0(SALU_CYCLE_1)
	s_mov_b32 s1, exec_lo
	v_cmpx_gt_u32_e64 s11, v25
	s_cbranch_execz .LBB1323_192
.LBB1323_157:
	s_mov_b32 s3, exec_lo
                                        ; implicit-def: $vgpr5_vgpr6
	v_cmpx_ge_u32_e64 v25, v16
	s_xor_b32 s3, exec_lo, s3
	s_cbranch_execz .LBB1323_159
; %bb.158:
	s_waitcnt lgkmcnt(3)
	v_xor_b32_e32 v5, 0xfffff7ff, v0
                                        ; implicit-def: $vgpr25
	s_delay_alu instid0(VALU_DEP_1) | instskip(SKIP_1) | instid1(VALU_DEP_2)
	v_ashrrev_i32_e32 v6, 31, v5
	v_add_co_u32 v5, vcc_lo, v18, v5
	v_add_co_ci_u32_e32 v6, vcc_lo, v19, v6, vcc_lo
.LBB1323_159:
	s_and_not1_saveexec_b32 s3, s3
	s_cbranch_execz .LBB1323_161
; %bb.160:
	s_waitcnt lgkmcnt(3)
	v_add_co_u32 v5, vcc_lo, v15, v25
	v_add_co_ci_u32_e32 v6, vcc_lo, 0, v17, vcc_lo
.LBB1323_161:
	s_or_b32 exec_lo, exec_lo, s3
	s_waitcnt lgkmcnt(3)
	s_delay_alu instid0(VALU_DEP_1) | instskip(NEXT) | instid1(VALU_DEP_1)
	v_lshlrev_b64 v[5:6], 2, v[5:6]
	v_add_co_u32 v5, vcc_lo, s12, v5
	s_delay_alu instid0(VALU_DEP_2) | instskip(SKIP_3) | instid1(SALU_CYCLE_1)
	v_add_co_ci_u32_e32 v6, vcc_lo, s13, v6, vcc_lo
	s_waitcnt lgkmcnt(2)
	global_store_b32 v[5:6], v3, off
	s_or_b32 exec_lo, exec_lo, s1
	s_mov_b32 s1, exec_lo
	v_cmpx_gt_u32_e64 s11, v24
	s_cbranch_execnz .LBB1323_193
.LBB1323_162:
	s_or_b32 exec_lo, exec_lo, s1
	s_delay_alu instid0(SALU_CYCLE_1)
	s_mov_b32 s1, exec_lo
	v_cmpx_gt_u32_e64 s11, v23
	s_cbranch_execz .LBB1323_198
.LBB1323_163:
	s_mov_b32 s3, exec_lo
                                        ; implicit-def: $vgpr3_vgpr4
	v_cmpx_ge_u32_e64 v23, v16
	s_xor_b32 s3, exec_lo, s3
	s_cbranch_execz .LBB1323_165
; %bb.164:
	s_waitcnt lgkmcnt(2)
	v_xor_b32_e32 v3, 0xfffff5ff, v0
                                        ; implicit-def: $vgpr23
	s_delay_alu instid0(VALU_DEP_1) | instskip(SKIP_1) | instid1(VALU_DEP_2)
	v_ashrrev_i32_e32 v4, 31, v3
	v_add_co_u32 v3, vcc_lo, v18, v3
	v_add_co_ci_u32_e32 v4, vcc_lo, v19, v4, vcc_lo
.LBB1323_165:
	s_and_not1_saveexec_b32 s3, s3
	s_cbranch_execz .LBB1323_167
; %bb.166:
	s_waitcnt lgkmcnt(2)
	v_add_co_u32 v3, vcc_lo, v15, v23
	v_add_co_ci_u32_e32 v4, vcc_lo, 0, v17, vcc_lo
.LBB1323_167:
	s_or_b32 exec_lo, exec_lo, s3
	s_waitcnt lgkmcnt(2)
	s_delay_alu instid0(VALU_DEP_1) | instskip(NEXT) | instid1(VALU_DEP_1)
	v_lshlrev_b64 v[3:4], 2, v[3:4]
	v_add_co_u32 v3, vcc_lo, s12, v3
	s_delay_alu instid0(VALU_DEP_2) | instskip(SKIP_3) | instid1(SALU_CYCLE_1)
	v_add_co_ci_u32_e32 v4, vcc_lo, s13, v4, vcc_lo
	s_waitcnt lgkmcnt(1)
	global_store_b32 v[3:4], v1, off
	s_or_b32 exec_lo, exec_lo, s1
	s_mov_b32 s1, exec_lo
	v_cmpx_gt_u32_e64 s11, v22
	s_cbranch_execz .LBB1323_204
	s_branch .LBB1323_199
.LBB1323_168:
	s_or_b32 exec_lo, exec_lo, s1
	s_delay_alu instid0(SALU_CYCLE_1)
	s_mov_b32 s1, exec_lo
	v_cmpx_gt_u32_e64 s11, v35
	s_cbranch_execz .LBB1323_138
.LBB1323_169:
	s_mov_b32 s3, exec_lo
                                        ; implicit-def: $vgpr13_vgpr14
	v_cmpx_ge_u32_e64 v35, v16
	s_xor_b32 s3, exec_lo, s3
	s_cbranch_execz .LBB1323_171
; %bb.170:
	s_waitcnt lgkmcnt(6)
	v_xor_b32_e32 v11, 0xfffffeff, v0
                                        ; implicit-def: $vgpr35
	s_delay_alu instid0(VALU_DEP_1) | instskip(SKIP_1) | instid1(VALU_DEP_2)
	v_ashrrev_i32_e32 v14, 31, v11
	v_add_co_u32 v13, vcc_lo, v18, v11
	v_add_co_ci_u32_e32 v14, vcc_lo, v19, v14, vcc_lo
.LBB1323_171:
	s_and_not1_saveexec_b32 s3, s3
; %bb.172:
	v_add_co_u32 v13, vcc_lo, v15, v35
	v_add_co_ci_u32_e32 v14, vcc_lo, 0, v17, vcc_lo
; %bb.173:
	s_or_b32 exec_lo, exec_lo, s3
	s_delay_alu instid0(VALU_DEP_1) | instskip(NEXT) | instid1(VALU_DEP_1)
	v_lshlrev_b64 v[13:14], 2, v[13:14]
	v_add_co_u32 v13, vcc_lo, s12, v13
	s_delay_alu instid0(VALU_DEP_2) | instskip(SKIP_3) | instid1(SALU_CYCLE_1)
	v_add_co_ci_u32_e32 v14, vcc_lo, s13, v14, vcc_lo
	s_waitcnt lgkmcnt(6)
	global_store_b32 v[13:14], v12, off
	s_or_b32 exec_lo, exec_lo, s1
	s_mov_b32 s1, exec_lo
	v_cmpx_gt_u32_e64 s11, v31
	s_cbranch_execnz .LBB1323_139
.LBB1323_174:
	s_or_b32 exec_lo, exec_lo, s1
	s_delay_alu instid0(SALU_CYCLE_1)
	s_mov_b32 s1, exec_lo
	v_cmpx_gt_u32_e64 s11, v30
	s_cbranch_execz .LBB1323_144
.LBB1323_175:
	s_mov_b32 s3, exec_lo
                                        ; implicit-def: $vgpr11_vgpr12
	v_cmpx_ge_u32_e64 v30, v16
	s_xor_b32 s3, exec_lo, s3
	s_cbranch_execz .LBB1323_177
; %bb.176:
	s_waitcnt lgkmcnt(5)
	v_xor_b32_e32 v9, 0xfffffcff, v0
                                        ; implicit-def: $vgpr30
	s_delay_alu instid0(VALU_DEP_1) | instskip(SKIP_1) | instid1(VALU_DEP_2)
	v_ashrrev_i32_e32 v12, 31, v9
	v_add_co_u32 v11, vcc_lo, v18, v9
	v_add_co_ci_u32_e32 v12, vcc_lo, v19, v12, vcc_lo
.LBB1323_177:
	s_and_not1_saveexec_b32 s3, s3
	s_cbranch_execz .LBB1323_179
; %bb.178:
	s_waitcnt lgkmcnt(6)
	v_add_co_u32 v11, vcc_lo, v15, v30
	v_add_co_ci_u32_e32 v12, vcc_lo, 0, v17, vcc_lo
.LBB1323_179:
	s_or_b32 exec_lo, exec_lo, s3
	s_waitcnt lgkmcnt(6)
	s_delay_alu instid0(VALU_DEP_1) | instskip(NEXT) | instid1(VALU_DEP_1)
	v_lshlrev_b64 v[11:12], 2, v[11:12]
	v_add_co_u32 v11, vcc_lo, s12, v11
	s_delay_alu instid0(VALU_DEP_2) | instskip(SKIP_3) | instid1(SALU_CYCLE_1)
	v_add_co_ci_u32_e32 v12, vcc_lo, s13, v12, vcc_lo
	s_waitcnt lgkmcnt(5)
	global_store_b32 v[11:12], v10, off
	s_or_b32 exec_lo, exec_lo, s1
	s_mov_b32 s1, exec_lo
	v_cmpx_gt_u32_e64 s11, v29
	s_cbranch_execnz .LBB1323_145
.LBB1323_180:
	s_or_b32 exec_lo, exec_lo, s1
	s_delay_alu instid0(SALU_CYCLE_1)
	s_mov_b32 s1, exec_lo
	v_cmpx_gt_u32_e64 s11, v28
	s_cbranch_execz .LBB1323_150
.LBB1323_181:
	s_mov_b32 s3, exec_lo
                                        ; implicit-def: $vgpr9_vgpr10
	v_cmpx_ge_u32_e64 v28, v16
	s_xor_b32 s3, exec_lo, s3
	s_cbranch_execz .LBB1323_183
; %bb.182:
	s_waitcnt lgkmcnt(4)
	v_xor_b32_e32 v7, 0xfffffaff, v0
                                        ; implicit-def: $vgpr28
	s_delay_alu instid0(VALU_DEP_1) | instskip(SKIP_1) | instid1(VALU_DEP_2)
	v_ashrrev_i32_e32 v10, 31, v7
	v_add_co_u32 v9, vcc_lo, v18, v7
	v_add_co_ci_u32_e32 v10, vcc_lo, v19, v10, vcc_lo
.LBB1323_183:
	s_and_not1_saveexec_b32 s3, s3
	s_cbranch_execz .LBB1323_185
; %bb.184:
	s_waitcnt lgkmcnt(5)
	v_add_co_u32 v9, vcc_lo, v15, v28
	v_add_co_ci_u32_e32 v10, vcc_lo, 0, v17, vcc_lo
.LBB1323_185:
	s_or_b32 exec_lo, exec_lo, s3
	s_waitcnt lgkmcnt(5)
	s_delay_alu instid0(VALU_DEP_1) | instskip(NEXT) | instid1(VALU_DEP_1)
	v_lshlrev_b64 v[9:10], 2, v[9:10]
	v_add_co_u32 v9, vcc_lo, s12, v9
	s_delay_alu instid0(VALU_DEP_2) | instskip(SKIP_3) | instid1(SALU_CYCLE_1)
	v_add_co_ci_u32_e32 v10, vcc_lo, s13, v10, vcc_lo
	s_waitcnt lgkmcnt(4)
	global_store_b32 v[9:10], v8, off
	s_or_b32 exec_lo, exec_lo, s1
	s_mov_b32 s1, exec_lo
	v_cmpx_gt_u32_e64 s11, v27
	s_cbranch_execnz .LBB1323_151
.LBB1323_186:
	s_or_b32 exec_lo, exec_lo, s1
	s_delay_alu instid0(SALU_CYCLE_1)
	s_mov_b32 s1, exec_lo
	v_cmpx_gt_u32_e64 s11, v26
	s_cbranch_execz .LBB1323_156
.LBB1323_187:
	s_mov_b32 s3, exec_lo
                                        ; implicit-def: $vgpr7_vgpr8
	v_cmpx_ge_u32_e64 v26, v16
	s_xor_b32 s3, exec_lo, s3
	s_cbranch_execz .LBB1323_189
; %bb.188:
	s_waitcnt lgkmcnt(3)
	v_xor_b32_e32 v5, 0xfffff8ff, v0
                                        ; implicit-def: $vgpr26
	s_delay_alu instid0(VALU_DEP_1) | instskip(SKIP_1) | instid1(VALU_DEP_2)
	v_ashrrev_i32_e32 v8, 31, v5
	v_add_co_u32 v7, vcc_lo, v18, v5
	v_add_co_ci_u32_e32 v8, vcc_lo, v19, v8, vcc_lo
.LBB1323_189:
	s_and_not1_saveexec_b32 s3, s3
	s_cbranch_execz .LBB1323_191
; %bb.190:
	s_waitcnt lgkmcnt(4)
	v_add_co_u32 v7, vcc_lo, v15, v26
	v_add_co_ci_u32_e32 v8, vcc_lo, 0, v17, vcc_lo
.LBB1323_191:
	s_or_b32 exec_lo, exec_lo, s3
	s_waitcnt lgkmcnt(4)
	s_delay_alu instid0(VALU_DEP_1) | instskip(NEXT) | instid1(VALU_DEP_1)
	v_lshlrev_b64 v[7:8], 2, v[7:8]
	v_add_co_u32 v7, vcc_lo, s12, v7
	s_delay_alu instid0(VALU_DEP_2) | instskip(SKIP_3) | instid1(SALU_CYCLE_1)
	v_add_co_ci_u32_e32 v8, vcc_lo, s13, v8, vcc_lo
	s_waitcnt lgkmcnt(3)
	global_store_b32 v[7:8], v6, off
	s_or_b32 exec_lo, exec_lo, s1
	s_mov_b32 s1, exec_lo
	v_cmpx_gt_u32_e64 s11, v25
	s_cbranch_execnz .LBB1323_157
.LBB1323_192:
	s_or_b32 exec_lo, exec_lo, s1
	s_delay_alu instid0(SALU_CYCLE_1)
	s_mov_b32 s1, exec_lo
	v_cmpx_gt_u32_e64 s11, v24
	s_cbranch_execz .LBB1323_162
.LBB1323_193:
	s_mov_b32 s3, exec_lo
                                        ; implicit-def: $vgpr5_vgpr6
	v_cmpx_ge_u32_e64 v24, v16
	s_xor_b32 s3, exec_lo, s3
	s_cbranch_execz .LBB1323_195
; %bb.194:
	s_waitcnt lgkmcnt(2)
	v_xor_b32_e32 v3, 0xfffff6ff, v0
                                        ; implicit-def: $vgpr24
	s_delay_alu instid0(VALU_DEP_1) | instskip(SKIP_1) | instid1(VALU_DEP_2)
	v_ashrrev_i32_e32 v6, 31, v3
	v_add_co_u32 v5, vcc_lo, v18, v3
	v_add_co_ci_u32_e32 v6, vcc_lo, v19, v6, vcc_lo
.LBB1323_195:
	s_and_not1_saveexec_b32 s3, s3
	s_cbranch_execz .LBB1323_197
; %bb.196:
	s_waitcnt lgkmcnt(3)
	v_add_co_u32 v5, vcc_lo, v15, v24
	v_add_co_ci_u32_e32 v6, vcc_lo, 0, v17, vcc_lo
.LBB1323_197:
	s_or_b32 exec_lo, exec_lo, s3
	s_waitcnt lgkmcnt(3)
	s_delay_alu instid0(VALU_DEP_1) | instskip(NEXT) | instid1(VALU_DEP_1)
	v_lshlrev_b64 v[5:6], 2, v[5:6]
	v_add_co_u32 v5, vcc_lo, s12, v5
	s_delay_alu instid0(VALU_DEP_2) | instskip(SKIP_3) | instid1(SALU_CYCLE_1)
	v_add_co_ci_u32_e32 v6, vcc_lo, s13, v6, vcc_lo
	s_waitcnt lgkmcnt(2)
	global_store_b32 v[5:6], v4, off
	s_or_b32 exec_lo, exec_lo, s1
	s_mov_b32 s1, exec_lo
	v_cmpx_gt_u32_e64 s11, v23
	s_cbranch_execnz .LBB1323_163
.LBB1323_198:
	s_or_b32 exec_lo, exec_lo, s1
	s_delay_alu instid0(SALU_CYCLE_1)
	s_mov_b32 s1, exec_lo
	v_cmpx_gt_u32_e64 s11, v22
	s_cbranch_execz .LBB1323_204
.LBB1323_199:
	s_mov_b32 s3, exec_lo
                                        ; implicit-def: $vgpr3_vgpr4
	v_cmpx_ge_u32_e64 v22, v16
	s_xor_b32 s3, exec_lo, s3
	s_cbranch_execz .LBB1323_201
; %bb.200:
	s_waitcnt lgkmcnt(1)
	v_xor_b32_e32 v1, 0xfffff4ff, v0
                                        ; implicit-def: $vgpr22
	s_delay_alu instid0(VALU_DEP_1) | instskip(SKIP_1) | instid1(VALU_DEP_2)
	v_ashrrev_i32_e32 v4, 31, v1
	v_add_co_u32 v3, vcc_lo, v18, v1
	v_add_co_ci_u32_e32 v4, vcc_lo, v19, v4, vcc_lo
.LBB1323_201:
	s_and_not1_saveexec_b32 s3, s3
	s_cbranch_execz .LBB1323_203
; %bb.202:
	s_waitcnt lgkmcnt(2)
	v_add_co_u32 v3, vcc_lo, v15, v22
	v_add_co_ci_u32_e32 v4, vcc_lo, 0, v17, vcc_lo
.LBB1323_203:
	s_or_b32 exec_lo, exec_lo, s3
	s_waitcnt lgkmcnt(2)
	s_delay_alu instid0(VALU_DEP_1) | instskip(NEXT) | instid1(VALU_DEP_1)
	v_lshlrev_b64 v[3:4], 2, v[3:4]
	v_add_co_u32 v3, vcc_lo, s12, v3
	s_delay_alu instid0(VALU_DEP_2)
	v_add_co_ci_u32_e32 v4, vcc_lo, s13, v4, vcc_lo
	s_waitcnt lgkmcnt(1)
	global_store_b32 v[3:4], v2, off
.LBB1323_204:
	s_or_b32 exec_lo, exec_lo, s1
	s_delay_alu instid0(SALU_CYCLE_1)
	s_mov_b32 s1, exec_lo
                                        ; implicit-def: $vgpr13_vgpr14
	v_cmpx_gt_u32_e64 s11, v21
	s_cbranch_execz .LBB1323_210
; %bb.205:
	s_mov_b32 s3, exec_lo
                                        ; implicit-def: $vgpr13_vgpr14
	v_cmpx_ge_u32_e64 v21, v16
	s_xor_b32 s3, exec_lo, s3
	s_cbranch_execz .LBB1323_207
; %bb.206:
	v_xor_b32_e32 v0, 0xfffff3ff, v0
                                        ; implicit-def: $vgpr21
	s_waitcnt lgkmcnt(1)
	s_delay_alu instid0(VALU_DEP_1) | instskip(SKIP_1) | instid1(VALU_DEP_2)
	v_ashrrev_i32_e32 v1, 31, v0
	v_add_co_u32 v13, vcc_lo, v18, v0
	v_add_co_ci_u32_e32 v14, vcc_lo, v19, v1, vcc_lo
.LBB1323_207:
	s_and_not1_saveexec_b32 s3, s3
; %bb.208:
	v_add_co_u32 v13, vcc_lo, v15, v21
	v_add_co_ci_u32_e32 v14, vcc_lo, 0, v17, vcc_lo
; %bb.209:
	s_or_b32 exec_lo, exec_lo, s3
	s_delay_alu instid0(SALU_CYCLE_1)
	s_or_b32 s0, s0, exec_lo
.LBB1323_210:
	s_or_b32 exec_lo, exec_lo, s1
	s_and_saveexec_b32 s1, s0
	s_cbranch_execnz .LBB1323_129
.LBB1323_211:
	s_or_b32 exec_lo, exec_lo, s1
	s_and_b32 s0, s2, s10
	s_delay_alu instid0(SALU_CYCLE_1)
	s_and_saveexec_b32 s1, s0
	s_cbranch_execz .LBB1323_130
.LBB1323_212:
	v_add_co_u32 v0, vcc_lo, v15, v16
	s_waitcnt lgkmcnt(1)
	v_mov_b32_e32 v2, 0
	v_add_co_ci_u32_e32 v1, vcc_lo, 0, v17, vcc_lo
	global_store_b64 v2, v[0:1], s[8:9]
	s_nop 0
	s_sendmsg sendmsg(MSG_DEALLOC_VGPRS)
	s_endpgm
	.section	.rodata,"a",@progbits
	.p2align	6, 0x0
	.amdhsa_kernel _ZN7rocprim17ROCPRIM_400000_NS6detail17trampoline_kernelINS0_13select_configILj256ELj13ELNS0_17block_load_methodE3ELS4_3ELS4_3ELNS0_20block_scan_algorithmE0ELj4294967295EEENS1_25partition_config_selectorILNS1_17partition_subalgoE3EjNS0_10empty_typeEbEEZZNS1_14partition_implILS8_3ELb0ES6_jNS0_17counting_iteratorIjlEEPS9_SE_NS0_5tupleIJPjSE_EEENSF_IJSE_SE_EEES9_SG_JZNS1_25segmented_radix_sort_implINS0_14default_configELb1EPKfPfPKlPlN2at6native12_GLOBAL__N_18offset_tEEE10hipError_tPvRmT1_PNSt15iterator_traitsISY_E10value_typeET2_T3_PNSZ_IS14_E10value_typeET4_jRbjT5_S1A_jjP12ihipStream_tbEUljE_EEESV_SW_SX_S14_S18_S1A_T6_T7_T9_mT8_S1C_bDpT10_ENKUlT_T0_E_clISt17integral_constantIbLb0EES1O_IbLb1EEEEDaS1K_S1L_EUlS1K_E_NS1_11comp_targetILNS1_3genE9ELNS1_11target_archE1100ELNS1_3gpuE3ELNS1_3repE0EEENS1_30default_config_static_selectorELNS0_4arch9wavefront6targetE0EEEvSY_
		.amdhsa_group_segment_fixed_size 13324
		.amdhsa_private_segment_fixed_size 0
		.amdhsa_kernarg_size 152
		.amdhsa_user_sgpr_count 15
		.amdhsa_user_sgpr_dispatch_ptr 0
		.amdhsa_user_sgpr_queue_ptr 0
		.amdhsa_user_sgpr_kernarg_segment_ptr 1
		.amdhsa_user_sgpr_dispatch_id 0
		.amdhsa_user_sgpr_private_segment_size 0
		.amdhsa_wavefront_size32 1
		.amdhsa_uses_dynamic_stack 0
		.amdhsa_enable_private_segment 0
		.amdhsa_system_sgpr_workgroup_id_x 1
		.amdhsa_system_sgpr_workgroup_id_y 0
		.amdhsa_system_sgpr_workgroup_id_z 0
		.amdhsa_system_sgpr_workgroup_info 0
		.amdhsa_system_vgpr_workitem_id 0
		.amdhsa_next_free_vgpr 60
		.amdhsa_next_free_sgpr 26
		.amdhsa_reserve_vcc 1
		.amdhsa_float_round_mode_32 0
		.amdhsa_float_round_mode_16_64 0
		.amdhsa_float_denorm_mode_32 3
		.amdhsa_float_denorm_mode_16_64 3
		.amdhsa_dx10_clamp 1
		.amdhsa_ieee_mode 1
		.amdhsa_fp16_overflow 0
		.amdhsa_workgroup_processor_mode 1
		.amdhsa_memory_ordered 1
		.amdhsa_forward_progress 0
		.amdhsa_shared_vgpr_count 0
		.amdhsa_exception_fp_ieee_invalid_op 0
		.amdhsa_exception_fp_denorm_src 0
		.amdhsa_exception_fp_ieee_div_zero 0
		.amdhsa_exception_fp_ieee_overflow 0
		.amdhsa_exception_fp_ieee_underflow 0
		.amdhsa_exception_fp_ieee_inexact 0
		.amdhsa_exception_int_div_zero 0
	.end_amdhsa_kernel
	.section	.text._ZN7rocprim17ROCPRIM_400000_NS6detail17trampoline_kernelINS0_13select_configILj256ELj13ELNS0_17block_load_methodE3ELS4_3ELS4_3ELNS0_20block_scan_algorithmE0ELj4294967295EEENS1_25partition_config_selectorILNS1_17partition_subalgoE3EjNS0_10empty_typeEbEEZZNS1_14partition_implILS8_3ELb0ES6_jNS0_17counting_iteratorIjlEEPS9_SE_NS0_5tupleIJPjSE_EEENSF_IJSE_SE_EEES9_SG_JZNS1_25segmented_radix_sort_implINS0_14default_configELb1EPKfPfPKlPlN2at6native12_GLOBAL__N_18offset_tEEE10hipError_tPvRmT1_PNSt15iterator_traitsISY_E10value_typeET2_T3_PNSZ_IS14_E10value_typeET4_jRbjT5_S1A_jjP12ihipStream_tbEUljE_EEESV_SW_SX_S14_S18_S1A_T6_T7_T9_mT8_S1C_bDpT10_ENKUlT_T0_E_clISt17integral_constantIbLb0EES1O_IbLb1EEEEDaS1K_S1L_EUlS1K_E_NS1_11comp_targetILNS1_3genE9ELNS1_11target_archE1100ELNS1_3gpuE3ELNS1_3repE0EEENS1_30default_config_static_selectorELNS0_4arch9wavefront6targetE0EEEvSY_,"axG",@progbits,_ZN7rocprim17ROCPRIM_400000_NS6detail17trampoline_kernelINS0_13select_configILj256ELj13ELNS0_17block_load_methodE3ELS4_3ELS4_3ELNS0_20block_scan_algorithmE0ELj4294967295EEENS1_25partition_config_selectorILNS1_17partition_subalgoE3EjNS0_10empty_typeEbEEZZNS1_14partition_implILS8_3ELb0ES6_jNS0_17counting_iteratorIjlEEPS9_SE_NS0_5tupleIJPjSE_EEENSF_IJSE_SE_EEES9_SG_JZNS1_25segmented_radix_sort_implINS0_14default_configELb1EPKfPfPKlPlN2at6native12_GLOBAL__N_18offset_tEEE10hipError_tPvRmT1_PNSt15iterator_traitsISY_E10value_typeET2_T3_PNSZ_IS14_E10value_typeET4_jRbjT5_S1A_jjP12ihipStream_tbEUljE_EEESV_SW_SX_S14_S18_S1A_T6_T7_T9_mT8_S1C_bDpT10_ENKUlT_T0_E_clISt17integral_constantIbLb0EES1O_IbLb1EEEEDaS1K_S1L_EUlS1K_E_NS1_11comp_targetILNS1_3genE9ELNS1_11target_archE1100ELNS1_3gpuE3ELNS1_3repE0EEENS1_30default_config_static_selectorELNS0_4arch9wavefront6targetE0EEEvSY_,comdat
.Lfunc_end1323:
	.size	_ZN7rocprim17ROCPRIM_400000_NS6detail17trampoline_kernelINS0_13select_configILj256ELj13ELNS0_17block_load_methodE3ELS4_3ELS4_3ELNS0_20block_scan_algorithmE0ELj4294967295EEENS1_25partition_config_selectorILNS1_17partition_subalgoE3EjNS0_10empty_typeEbEEZZNS1_14partition_implILS8_3ELb0ES6_jNS0_17counting_iteratorIjlEEPS9_SE_NS0_5tupleIJPjSE_EEENSF_IJSE_SE_EEES9_SG_JZNS1_25segmented_radix_sort_implINS0_14default_configELb1EPKfPfPKlPlN2at6native12_GLOBAL__N_18offset_tEEE10hipError_tPvRmT1_PNSt15iterator_traitsISY_E10value_typeET2_T3_PNSZ_IS14_E10value_typeET4_jRbjT5_S1A_jjP12ihipStream_tbEUljE_EEESV_SW_SX_S14_S18_S1A_T6_T7_T9_mT8_S1C_bDpT10_ENKUlT_T0_E_clISt17integral_constantIbLb0EES1O_IbLb1EEEEDaS1K_S1L_EUlS1K_E_NS1_11comp_targetILNS1_3genE9ELNS1_11target_archE1100ELNS1_3gpuE3ELNS1_3repE0EEENS1_30default_config_static_selectorELNS0_4arch9wavefront6targetE0EEEvSY_, .Lfunc_end1323-_ZN7rocprim17ROCPRIM_400000_NS6detail17trampoline_kernelINS0_13select_configILj256ELj13ELNS0_17block_load_methodE3ELS4_3ELS4_3ELNS0_20block_scan_algorithmE0ELj4294967295EEENS1_25partition_config_selectorILNS1_17partition_subalgoE3EjNS0_10empty_typeEbEEZZNS1_14partition_implILS8_3ELb0ES6_jNS0_17counting_iteratorIjlEEPS9_SE_NS0_5tupleIJPjSE_EEENSF_IJSE_SE_EEES9_SG_JZNS1_25segmented_radix_sort_implINS0_14default_configELb1EPKfPfPKlPlN2at6native12_GLOBAL__N_18offset_tEEE10hipError_tPvRmT1_PNSt15iterator_traitsISY_E10value_typeET2_T3_PNSZ_IS14_E10value_typeET4_jRbjT5_S1A_jjP12ihipStream_tbEUljE_EEESV_SW_SX_S14_S18_S1A_T6_T7_T9_mT8_S1C_bDpT10_ENKUlT_T0_E_clISt17integral_constantIbLb0EES1O_IbLb1EEEEDaS1K_S1L_EUlS1K_E_NS1_11comp_targetILNS1_3genE9ELNS1_11target_archE1100ELNS1_3gpuE3ELNS1_3repE0EEENS1_30default_config_static_selectorELNS0_4arch9wavefront6targetE0EEEvSY_
                                        ; -- End function
	.section	.AMDGPU.csdata,"",@progbits
; Kernel info:
; codeLenInByte = 9040
; NumSgprs: 28
; NumVgprs: 60
; ScratchSize: 0
; MemoryBound: 0
; FloatMode: 240
; IeeeMode: 1
; LDSByteSize: 13324 bytes/workgroup (compile time only)
; SGPRBlocks: 3
; VGPRBlocks: 7
; NumSGPRsForWavesPerEU: 28
; NumVGPRsForWavesPerEU: 60
; Occupancy: 16
; WaveLimiterHint : 0
; COMPUTE_PGM_RSRC2:SCRATCH_EN: 0
; COMPUTE_PGM_RSRC2:USER_SGPR: 15
; COMPUTE_PGM_RSRC2:TRAP_HANDLER: 0
; COMPUTE_PGM_RSRC2:TGID_X_EN: 1
; COMPUTE_PGM_RSRC2:TGID_Y_EN: 0
; COMPUTE_PGM_RSRC2:TGID_Z_EN: 0
; COMPUTE_PGM_RSRC2:TIDIG_COMP_CNT: 0
	.section	.text._ZN7rocprim17ROCPRIM_400000_NS6detail17trampoline_kernelINS0_13select_configILj256ELj13ELNS0_17block_load_methodE3ELS4_3ELS4_3ELNS0_20block_scan_algorithmE0ELj4294967295EEENS1_25partition_config_selectorILNS1_17partition_subalgoE3EjNS0_10empty_typeEbEEZZNS1_14partition_implILS8_3ELb0ES6_jNS0_17counting_iteratorIjlEEPS9_SE_NS0_5tupleIJPjSE_EEENSF_IJSE_SE_EEES9_SG_JZNS1_25segmented_radix_sort_implINS0_14default_configELb1EPKfPfPKlPlN2at6native12_GLOBAL__N_18offset_tEEE10hipError_tPvRmT1_PNSt15iterator_traitsISY_E10value_typeET2_T3_PNSZ_IS14_E10value_typeET4_jRbjT5_S1A_jjP12ihipStream_tbEUljE_EEESV_SW_SX_S14_S18_S1A_T6_T7_T9_mT8_S1C_bDpT10_ENKUlT_T0_E_clISt17integral_constantIbLb0EES1O_IbLb1EEEEDaS1K_S1L_EUlS1K_E_NS1_11comp_targetILNS1_3genE8ELNS1_11target_archE1030ELNS1_3gpuE2ELNS1_3repE0EEENS1_30default_config_static_selectorELNS0_4arch9wavefront6targetE0EEEvSY_,"axG",@progbits,_ZN7rocprim17ROCPRIM_400000_NS6detail17trampoline_kernelINS0_13select_configILj256ELj13ELNS0_17block_load_methodE3ELS4_3ELS4_3ELNS0_20block_scan_algorithmE0ELj4294967295EEENS1_25partition_config_selectorILNS1_17partition_subalgoE3EjNS0_10empty_typeEbEEZZNS1_14partition_implILS8_3ELb0ES6_jNS0_17counting_iteratorIjlEEPS9_SE_NS0_5tupleIJPjSE_EEENSF_IJSE_SE_EEES9_SG_JZNS1_25segmented_radix_sort_implINS0_14default_configELb1EPKfPfPKlPlN2at6native12_GLOBAL__N_18offset_tEEE10hipError_tPvRmT1_PNSt15iterator_traitsISY_E10value_typeET2_T3_PNSZ_IS14_E10value_typeET4_jRbjT5_S1A_jjP12ihipStream_tbEUljE_EEESV_SW_SX_S14_S18_S1A_T6_T7_T9_mT8_S1C_bDpT10_ENKUlT_T0_E_clISt17integral_constantIbLb0EES1O_IbLb1EEEEDaS1K_S1L_EUlS1K_E_NS1_11comp_targetILNS1_3genE8ELNS1_11target_archE1030ELNS1_3gpuE2ELNS1_3repE0EEENS1_30default_config_static_selectorELNS0_4arch9wavefront6targetE0EEEvSY_,comdat
	.globl	_ZN7rocprim17ROCPRIM_400000_NS6detail17trampoline_kernelINS0_13select_configILj256ELj13ELNS0_17block_load_methodE3ELS4_3ELS4_3ELNS0_20block_scan_algorithmE0ELj4294967295EEENS1_25partition_config_selectorILNS1_17partition_subalgoE3EjNS0_10empty_typeEbEEZZNS1_14partition_implILS8_3ELb0ES6_jNS0_17counting_iteratorIjlEEPS9_SE_NS0_5tupleIJPjSE_EEENSF_IJSE_SE_EEES9_SG_JZNS1_25segmented_radix_sort_implINS0_14default_configELb1EPKfPfPKlPlN2at6native12_GLOBAL__N_18offset_tEEE10hipError_tPvRmT1_PNSt15iterator_traitsISY_E10value_typeET2_T3_PNSZ_IS14_E10value_typeET4_jRbjT5_S1A_jjP12ihipStream_tbEUljE_EEESV_SW_SX_S14_S18_S1A_T6_T7_T9_mT8_S1C_bDpT10_ENKUlT_T0_E_clISt17integral_constantIbLb0EES1O_IbLb1EEEEDaS1K_S1L_EUlS1K_E_NS1_11comp_targetILNS1_3genE8ELNS1_11target_archE1030ELNS1_3gpuE2ELNS1_3repE0EEENS1_30default_config_static_selectorELNS0_4arch9wavefront6targetE0EEEvSY_ ; -- Begin function _ZN7rocprim17ROCPRIM_400000_NS6detail17trampoline_kernelINS0_13select_configILj256ELj13ELNS0_17block_load_methodE3ELS4_3ELS4_3ELNS0_20block_scan_algorithmE0ELj4294967295EEENS1_25partition_config_selectorILNS1_17partition_subalgoE3EjNS0_10empty_typeEbEEZZNS1_14partition_implILS8_3ELb0ES6_jNS0_17counting_iteratorIjlEEPS9_SE_NS0_5tupleIJPjSE_EEENSF_IJSE_SE_EEES9_SG_JZNS1_25segmented_radix_sort_implINS0_14default_configELb1EPKfPfPKlPlN2at6native12_GLOBAL__N_18offset_tEEE10hipError_tPvRmT1_PNSt15iterator_traitsISY_E10value_typeET2_T3_PNSZ_IS14_E10value_typeET4_jRbjT5_S1A_jjP12ihipStream_tbEUljE_EEESV_SW_SX_S14_S18_S1A_T6_T7_T9_mT8_S1C_bDpT10_ENKUlT_T0_E_clISt17integral_constantIbLb0EES1O_IbLb1EEEEDaS1K_S1L_EUlS1K_E_NS1_11comp_targetILNS1_3genE8ELNS1_11target_archE1030ELNS1_3gpuE2ELNS1_3repE0EEENS1_30default_config_static_selectorELNS0_4arch9wavefront6targetE0EEEvSY_
	.p2align	8
	.type	_ZN7rocprim17ROCPRIM_400000_NS6detail17trampoline_kernelINS0_13select_configILj256ELj13ELNS0_17block_load_methodE3ELS4_3ELS4_3ELNS0_20block_scan_algorithmE0ELj4294967295EEENS1_25partition_config_selectorILNS1_17partition_subalgoE3EjNS0_10empty_typeEbEEZZNS1_14partition_implILS8_3ELb0ES6_jNS0_17counting_iteratorIjlEEPS9_SE_NS0_5tupleIJPjSE_EEENSF_IJSE_SE_EEES9_SG_JZNS1_25segmented_radix_sort_implINS0_14default_configELb1EPKfPfPKlPlN2at6native12_GLOBAL__N_18offset_tEEE10hipError_tPvRmT1_PNSt15iterator_traitsISY_E10value_typeET2_T3_PNSZ_IS14_E10value_typeET4_jRbjT5_S1A_jjP12ihipStream_tbEUljE_EEESV_SW_SX_S14_S18_S1A_T6_T7_T9_mT8_S1C_bDpT10_ENKUlT_T0_E_clISt17integral_constantIbLb0EES1O_IbLb1EEEEDaS1K_S1L_EUlS1K_E_NS1_11comp_targetILNS1_3genE8ELNS1_11target_archE1030ELNS1_3gpuE2ELNS1_3repE0EEENS1_30default_config_static_selectorELNS0_4arch9wavefront6targetE0EEEvSY_,@function
_ZN7rocprim17ROCPRIM_400000_NS6detail17trampoline_kernelINS0_13select_configILj256ELj13ELNS0_17block_load_methodE3ELS4_3ELS4_3ELNS0_20block_scan_algorithmE0ELj4294967295EEENS1_25partition_config_selectorILNS1_17partition_subalgoE3EjNS0_10empty_typeEbEEZZNS1_14partition_implILS8_3ELb0ES6_jNS0_17counting_iteratorIjlEEPS9_SE_NS0_5tupleIJPjSE_EEENSF_IJSE_SE_EEES9_SG_JZNS1_25segmented_radix_sort_implINS0_14default_configELb1EPKfPfPKlPlN2at6native12_GLOBAL__N_18offset_tEEE10hipError_tPvRmT1_PNSt15iterator_traitsISY_E10value_typeET2_T3_PNSZ_IS14_E10value_typeET4_jRbjT5_S1A_jjP12ihipStream_tbEUljE_EEESV_SW_SX_S14_S18_S1A_T6_T7_T9_mT8_S1C_bDpT10_ENKUlT_T0_E_clISt17integral_constantIbLb0EES1O_IbLb1EEEEDaS1K_S1L_EUlS1K_E_NS1_11comp_targetILNS1_3genE8ELNS1_11target_archE1030ELNS1_3gpuE2ELNS1_3repE0EEENS1_30default_config_static_selectorELNS0_4arch9wavefront6targetE0EEEvSY_: ; @_ZN7rocprim17ROCPRIM_400000_NS6detail17trampoline_kernelINS0_13select_configILj256ELj13ELNS0_17block_load_methodE3ELS4_3ELS4_3ELNS0_20block_scan_algorithmE0ELj4294967295EEENS1_25partition_config_selectorILNS1_17partition_subalgoE3EjNS0_10empty_typeEbEEZZNS1_14partition_implILS8_3ELb0ES6_jNS0_17counting_iteratorIjlEEPS9_SE_NS0_5tupleIJPjSE_EEENSF_IJSE_SE_EEES9_SG_JZNS1_25segmented_radix_sort_implINS0_14default_configELb1EPKfPfPKlPlN2at6native12_GLOBAL__N_18offset_tEEE10hipError_tPvRmT1_PNSt15iterator_traitsISY_E10value_typeET2_T3_PNSZ_IS14_E10value_typeET4_jRbjT5_S1A_jjP12ihipStream_tbEUljE_EEESV_SW_SX_S14_S18_S1A_T6_T7_T9_mT8_S1C_bDpT10_ENKUlT_T0_E_clISt17integral_constantIbLb0EES1O_IbLb1EEEEDaS1K_S1L_EUlS1K_E_NS1_11comp_targetILNS1_3genE8ELNS1_11target_archE1030ELNS1_3gpuE2ELNS1_3repE0EEENS1_30default_config_static_selectorELNS0_4arch9wavefront6targetE0EEEvSY_
; %bb.0:
	.section	.rodata,"a",@progbits
	.p2align	6, 0x0
	.amdhsa_kernel _ZN7rocprim17ROCPRIM_400000_NS6detail17trampoline_kernelINS0_13select_configILj256ELj13ELNS0_17block_load_methodE3ELS4_3ELS4_3ELNS0_20block_scan_algorithmE0ELj4294967295EEENS1_25partition_config_selectorILNS1_17partition_subalgoE3EjNS0_10empty_typeEbEEZZNS1_14partition_implILS8_3ELb0ES6_jNS0_17counting_iteratorIjlEEPS9_SE_NS0_5tupleIJPjSE_EEENSF_IJSE_SE_EEES9_SG_JZNS1_25segmented_radix_sort_implINS0_14default_configELb1EPKfPfPKlPlN2at6native12_GLOBAL__N_18offset_tEEE10hipError_tPvRmT1_PNSt15iterator_traitsISY_E10value_typeET2_T3_PNSZ_IS14_E10value_typeET4_jRbjT5_S1A_jjP12ihipStream_tbEUljE_EEESV_SW_SX_S14_S18_S1A_T6_T7_T9_mT8_S1C_bDpT10_ENKUlT_T0_E_clISt17integral_constantIbLb0EES1O_IbLb1EEEEDaS1K_S1L_EUlS1K_E_NS1_11comp_targetILNS1_3genE8ELNS1_11target_archE1030ELNS1_3gpuE2ELNS1_3repE0EEENS1_30default_config_static_selectorELNS0_4arch9wavefront6targetE0EEEvSY_
		.amdhsa_group_segment_fixed_size 0
		.amdhsa_private_segment_fixed_size 0
		.amdhsa_kernarg_size 152
		.amdhsa_user_sgpr_count 15
		.amdhsa_user_sgpr_dispatch_ptr 0
		.amdhsa_user_sgpr_queue_ptr 0
		.amdhsa_user_sgpr_kernarg_segment_ptr 1
		.amdhsa_user_sgpr_dispatch_id 0
		.amdhsa_user_sgpr_private_segment_size 0
		.amdhsa_wavefront_size32 1
		.amdhsa_uses_dynamic_stack 0
		.amdhsa_enable_private_segment 0
		.amdhsa_system_sgpr_workgroup_id_x 1
		.amdhsa_system_sgpr_workgroup_id_y 0
		.amdhsa_system_sgpr_workgroup_id_z 0
		.amdhsa_system_sgpr_workgroup_info 0
		.amdhsa_system_vgpr_workitem_id 0
		.amdhsa_next_free_vgpr 1
		.amdhsa_next_free_sgpr 1
		.amdhsa_reserve_vcc 0
		.amdhsa_float_round_mode_32 0
		.amdhsa_float_round_mode_16_64 0
		.amdhsa_float_denorm_mode_32 3
		.amdhsa_float_denorm_mode_16_64 3
		.amdhsa_dx10_clamp 1
		.amdhsa_ieee_mode 1
		.amdhsa_fp16_overflow 0
		.amdhsa_workgroup_processor_mode 1
		.amdhsa_memory_ordered 1
		.amdhsa_forward_progress 0
		.amdhsa_shared_vgpr_count 0
		.amdhsa_exception_fp_ieee_invalid_op 0
		.amdhsa_exception_fp_denorm_src 0
		.amdhsa_exception_fp_ieee_div_zero 0
		.amdhsa_exception_fp_ieee_overflow 0
		.amdhsa_exception_fp_ieee_underflow 0
		.amdhsa_exception_fp_ieee_inexact 0
		.amdhsa_exception_int_div_zero 0
	.end_amdhsa_kernel
	.section	.text._ZN7rocprim17ROCPRIM_400000_NS6detail17trampoline_kernelINS0_13select_configILj256ELj13ELNS0_17block_load_methodE3ELS4_3ELS4_3ELNS0_20block_scan_algorithmE0ELj4294967295EEENS1_25partition_config_selectorILNS1_17partition_subalgoE3EjNS0_10empty_typeEbEEZZNS1_14partition_implILS8_3ELb0ES6_jNS0_17counting_iteratorIjlEEPS9_SE_NS0_5tupleIJPjSE_EEENSF_IJSE_SE_EEES9_SG_JZNS1_25segmented_radix_sort_implINS0_14default_configELb1EPKfPfPKlPlN2at6native12_GLOBAL__N_18offset_tEEE10hipError_tPvRmT1_PNSt15iterator_traitsISY_E10value_typeET2_T3_PNSZ_IS14_E10value_typeET4_jRbjT5_S1A_jjP12ihipStream_tbEUljE_EEESV_SW_SX_S14_S18_S1A_T6_T7_T9_mT8_S1C_bDpT10_ENKUlT_T0_E_clISt17integral_constantIbLb0EES1O_IbLb1EEEEDaS1K_S1L_EUlS1K_E_NS1_11comp_targetILNS1_3genE8ELNS1_11target_archE1030ELNS1_3gpuE2ELNS1_3repE0EEENS1_30default_config_static_selectorELNS0_4arch9wavefront6targetE0EEEvSY_,"axG",@progbits,_ZN7rocprim17ROCPRIM_400000_NS6detail17trampoline_kernelINS0_13select_configILj256ELj13ELNS0_17block_load_methodE3ELS4_3ELS4_3ELNS0_20block_scan_algorithmE0ELj4294967295EEENS1_25partition_config_selectorILNS1_17partition_subalgoE3EjNS0_10empty_typeEbEEZZNS1_14partition_implILS8_3ELb0ES6_jNS0_17counting_iteratorIjlEEPS9_SE_NS0_5tupleIJPjSE_EEENSF_IJSE_SE_EEES9_SG_JZNS1_25segmented_radix_sort_implINS0_14default_configELb1EPKfPfPKlPlN2at6native12_GLOBAL__N_18offset_tEEE10hipError_tPvRmT1_PNSt15iterator_traitsISY_E10value_typeET2_T3_PNSZ_IS14_E10value_typeET4_jRbjT5_S1A_jjP12ihipStream_tbEUljE_EEESV_SW_SX_S14_S18_S1A_T6_T7_T9_mT8_S1C_bDpT10_ENKUlT_T0_E_clISt17integral_constantIbLb0EES1O_IbLb1EEEEDaS1K_S1L_EUlS1K_E_NS1_11comp_targetILNS1_3genE8ELNS1_11target_archE1030ELNS1_3gpuE2ELNS1_3repE0EEENS1_30default_config_static_selectorELNS0_4arch9wavefront6targetE0EEEvSY_,comdat
.Lfunc_end1324:
	.size	_ZN7rocprim17ROCPRIM_400000_NS6detail17trampoline_kernelINS0_13select_configILj256ELj13ELNS0_17block_load_methodE3ELS4_3ELS4_3ELNS0_20block_scan_algorithmE0ELj4294967295EEENS1_25partition_config_selectorILNS1_17partition_subalgoE3EjNS0_10empty_typeEbEEZZNS1_14partition_implILS8_3ELb0ES6_jNS0_17counting_iteratorIjlEEPS9_SE_NS0_5tupleIJPjSE_EEENSF_IJSE_SE_EEES9_SG_JZNS1_25segmented_radix_sort_implINS0_14default_configELb1EPKfPfPKlPlN2at6native12_GLOBAL__N_18offset_tEEE10hipError_tPvRmT1_PNSt15iterator_traitsISY_E10value_typeET2_T3_PNSZ_IS14_E10value_typeET4_jRbjT5_S1A_jjP12ihipStream_tbEUljE_EEESV_SW_SX_S14_S18_S1A_T6_T7_T9_mT8_S1C_bDpT10_ENKUlT_T0_E_clISt17integral_constantIbLb0EES1O_IbLb1EEEEDaS1K_S1L_EUlS1K_E_NS1_11comp_targetILNS1_3genE8ELNS1_11target_archE1030ELNS1_3gpuE2ELNS1_3repE0EEENS1_30default_config_static_selectorELNS0_4arch9wavefront6targetE0EEEvSY_, .Lfunc_end1324-_ZN7rocprim17ROCPRIM_400000_NS6detail17trampoline_kernelINS0_13select_configILj256ELj13ELNS0_17block_load_methodE3ELS4_3ELS4_3ELNS0_20block_scan_algorithmE0ELj4294967295EEENS1_25partition_config_selectorILNS1_17partition_subalgoE3EjNS0_10empty_typeEbEEZZNS1_14partition_implILS8_3ELb0ES6_jNS0_17counting_iteratorIjlEEPS9_SE_NS0_5tupleIJPjSE_EEENSF_IJSE_SE_EEES9_SG_JZNS1_25segmented_radix_sort_implINS0_14default_configELb1EPKfPfPKlPlN2at6native12_GLOBAL__N_18offset_tEEE10hipError_tPvRmT1_PNSt15iterator_traitsISY_E10value_typeET2_T3_PNSZ_IS14_E10value_typeET4_jRbjT5_S1A_jjP12ihipStream_tbEUljE_EEESV_SW_SX_S14_S18_S1A_T6_T7_T9_mT8_S1C_bDpT10_ENKUlT_T0_E_clISt17integral_constantIbLb0EES1O_IbLb1EEEEDaS1K_S1L_EUlS1K_E_NS1_11comp_targetILNS1_3genE8ELNS1_11target_archE1030ELNS1_3gpuE2ELNS1_3repE0EEENS1_30default_config_static_selectorELNS0_4arch9wavefront6targetE0EEEvSY_
                                        ; -- End function
	.section	.AMDGPU.csdata,"",@progbits
; Kernel info:
; codeLenInByte = 0
; NumSgprs: 0
; NumVgprs: 0
; ScratchSize: 0
; MemoryBound: 0
; FloatMode: 240
; IeeeMode: 1
; LDSByteSize: 0 bytes/workgroup (compile time only)
; SGPRBlocks: 0
; VGPRBlocks: 0
; NumSGPRsForWavesPerEU: 1
; NumVGPRsForWavesPerEU: 1
; Occupancy: 16
; WaveLimiterHint : 0
; COMPUTE_PGM_RSRC2:SCRATCH_EN: 0
; COMPUTE_PGM_RSRC2:USER_SGPR: 15
; COMPUTE_PGM_RSRC2:TRAP_HANDLER: 0
; COMPUTE_PGM_RSRC2:TGID_X_EN: 1
; COMPUTE_PGM_RSRC2:TGID_Y_EN: 0
; COMPUTE_PGM_RSRC2:TGID_Z_EN: 0
; COMPUTE_PGM_RSRC2:TIDIG_COMP_CNT: 0
	.section	.text._ZN7rocprim17ROCPRIM_400000_NS6detail17trampoline_kernelINS0_14default_configENS1_36segmented_radix_sort_config_selectorIflEEZNS1_25segmented_radix_sort_implIS3_Lb1EPKfPfPKlPlN2at6native12_GLOBAL__N_18offset_tEEE10hipError_tPvRmT1_PNSt15iterator_traitsISK_E10value_typeET2_T3_PNSL_ISQ_E10value_typeET4_jRbjT5_SW_jjP12ihipStream_tbEUlT_E_NS1_11comp_targetILNS1_3genE0ELNS1_11target_archE4294967295ELNS1_3gpuE0ELNS1_3repE0EEENS1_30default_config_static_selectorELNS0_4arch9wavefront6targetE0EEEvSK_,"axG",@progbits,_ZN7rocprim17ROCPRIM_400000_NS6detail17trampoline_kernelINS0_14default_configENS1_36segmented_radix_sort_config_selectorIflEEZNS1_25segmented_radix_sort_implIS3_Lb1EPKfPfPKlPlN2at6native12_GLOBAL__N_18offset_tEEE10hipError_tPvRmT1_PNSt15iterator_traitsISK_E10value_typeET2_T3_PNSL_ISQ_E10value_typeET4_jRbjT5_SW_jjP12ihipStream_tbEUlT_E_NS1_11comp_targetILNS1_3genE0ELNS1_11target_archE4294967295ELNS1_3gpuE0ELNS1_3repE0EEENS1_30default_config_static_selectorELNS0_4arch9wavefront6targetE0EEEvSK_,comdat
	.globl	_ZN7rocprim17ROCPRIM_400000_NS6detail17trampoline_kernelINS0_14default_configENS1_36segmented_radix_sort_config_selectorIflEEZNS1_25segmented_radix_sort_implIS3_Lb1EPKfPfPKlPlN2at6native12_GLOBAL__N_18offset_tEEE10hipError_tPvRmT1_PNSt15iterator_traitsISK_E10value_typeET2_T3_PNSL_ISQ_E10value_typeET4_jRbjT5_SW_jjP12ihipStream_tbEUlT_E_NS1_11comp_targetILNS1_3genE0ELNS1_11target_archE4294967295ELNS1_3gpuE0ELNS1_3repE0EEENS1_30default_config_static_selectorELNS0_4arch9wavefront6targetE0EEEvSK_ ; -- Begin function _ZN7rocprim17ROCPRIM_400000_NS6detail17trampoline_kernelINS0_14default_configENS1_36segmented_radix_sort_config_selectorIflEEZNS1_25segmented_radix_sort_implIS3_Lb1EPKfPfPKlPlN2at6native12_GLOBAL__N_18offset_tEEE10hipError_tPvRmT1_PNSt15iterator_traitsISK_E10value_typeET2_T3_PNSL_ISQ_E10value_typeET4_jRbjT5_SW_jjP12ihipStream_tbEUlT_E_NS1_11comp_targetILNS1_3genE0ELNS1_11target_archE4294967295ELNS1_3gpuE0ELNS1_3repE0EEENS1_30default_config_static_selectorELNS0_4arch9wavefront6targetE0EEEvSK_
	.p2align	8
	.type	_ZN7rocprim17ROCPRIM_400000_NS6detail17trampoline_kernelINS0_14default_configENS1_36segmented_radix_sort_config_selectorIflEEZNS1_25segmented_radix_sort_implIS3_Lb1EPKfPfPKlPlN2at6native12_GLOBAL__N_18offset_tEEE10hipError_tPvRmT1_PNSt15iterator_traitsISK_E10value_typeET2_T3_PNSL_ISQ_E10value_typeET4_jRbjT5_SW_jjP12ihipStream_tbEUlT_E_NS1_11comp_targetILNS1_3genE0ELNS1_11target_archE4294967295ELNS1_3gpuE0ELNS1_3repE0EEENS1_30default_config_static_selectorELNS0_4arch9wavefront6targetE0EEEvSK_,@function
_ZN7rocprim17ROCPRIM_400000_NS6detail17trampoline_kernelINS0_14default_configENS1_36segmented_radix_sort_config_selectorIflEEZNS1_25segmented_radix_sort_implIS3_Lb1EPKfPfPKlPlN2at6native12_GLOBAL__N_18offset_tEEE10hipError_tPvRmT1_PNSt15iterator_traitsISK_E10value_typeET2_T3_PNSL_ISQ_E10value_typeET4_jRbjT5_SW_jjP12ihipStream_tbEUlT_E_NS1_11comp_targetILNS1_3genE0ELNS1_11target_archE4294967295ELNS1_3gpuE0ELNS1_3repE0EEENS1_30default_config_static_selectorELNS0_4arch9wavefront6targetE0EEEvSK_: ; @_ZN7rocprim17ROCPRIM_400000_NS6detail17trampoline_kernelINS0_14default_configENS1_36segmented_radix_sort_config_selectorIflEEZNS1_25segmented_radix_sort_implIS3_Lb1EPKfPfPKlPlN2at6native12_GLOBAL__N_18offset_tEEE10hipError_tPvRmT1_PNSt15iterator_traitsISK_E10value_typeET2_T3_PNSL_ISQ_E10value_typeET4_jRbjT5_SW_jjP12ihipStream_tbEUlT_E_NS1_11comp_targetILNS1_3genE0ELNS1_11target_archE4294967295ELNS1_3gpuE0ELNS1_3repE0EEENS1_30default_config_static_selectorELNS0_4arch9wavefront6targetE0EEEvSK_
; %bb.0:
	.section	.rodata,"a",@progbits
	.p2align	6, 0x0
	.amdhsa_kernel _ZN7rocprim17ROCPRIM_400000_NS6detail17trampoline_kernelINS0_14default_configENS1_36segmented_radix_sort_config_selectorIflEEZNS1_25segmented_radix_sort_implIS3_Lb1EPKfPfPKlPlN2at6native12_GLOBAL__N_18offset_tEEE10hipError_tPvRmT1_PNSt15iterator_traitsISK_E10value_typeET2_T3_PNSL_ISQ_E10value_typeET4_jRbjT5_SW_jjP12ihipStream_tbEUlT_E_NS1_11comp_targetILNS1_3genE0ELNS1_11target_archE4294967295ELNS1_3gpuE0ELNS1_3repE0EEENS1_30default_config_static_selectorELNS0_4arch9wavefront6targetE0EEEvSK_
		.amdhsa_group_segment_fixed_size 0
		.amdhsa_private_segment_fixed_size 0
		.amdhsa_kernarg_size 96
		.amdhsa_user_sgpr_count 15
		.amdhsa_user_sgpr_dispatch_ptr 0
		.amdhsa_user_sgpr_queue_ptr 0
		.amdhsa_user_sgpr_kernarg_segment_ptr 1
		.amdhsa_user_sgpr_dispatch_id 0
		.amdhsa_user_sgpr_private_segment_size 0
		.amdhsa_wavefront_size32 1
		.amdhsa_uses_dynamic_stack 0
		.amdhsa_enable_private_segment 0
		.amdhsa_system_sgpr_workgroup_id_x 1
		.amdhsa_system_sgpr_workgroup_id_y 0
		.amdhsa_system_sgpr_workgroup_id_z 0
		.amdhsa_system_sgpr_workgroup_info 0
		.amdhsa_system_vgpr_workitem_id 0
		.amdhsa_next_free_vgpr 1
		.amdhsa_next_free_sgpr 1
		.amdhsa_reserve_vcc 0
		.amdhsa_float_round_mode_32 0
		.amdhsa_float_round_mode_16_64 0
		.amdhsa_float_denorm_mode_32 3
		.amdhsa_float_denorm_mode_16_64 3
		.amdhsa_dx10_clamp 1
		.amdhsa_ieee_mode 1
		.amdhsa_fp16_overflow 0
		.amdhsa_workgroup_processor_mode 1
		.amdhsa_memory_ordered 1
		.amdhsa_forward_progress 0
		.amdhsa_shared_vgpr_count 0
		.amdhsa_exception_fp_ieee_invalid_op 0
		.amdhsa_exception_fp_denorm_src 0
		.amdhsa_exception_fp_ieee_div_zero 0
		.amdhsa_exception_fp_ieee_overflow 0
		.amdhsa_exception_fp_ieee_underflow 0
		.amdhsa_exception_fp_ieee_inexact 0
		.amdhsa_exception_int_div_zero 0
	.end_amdhsa_kernel
	.section	.text._ZN7rocprim17ROCPRIM_400000_NS6detail17trampoline_kernelINS0_14default_configENS1_36segmented_radix_sort_config_selectorIflEEZNS1_25segmented_radix_sort_implIS3_Lb1EPKfPfPKlPlN2at6native12_GLOBAL__N_18offset_tEEE10hipError_tPvRmT1_PNSt15iterator_traitsISK_E10value_typeET2_T3_PNSL_ISQ_E10value_typeET4_jRbjT5_SW_jjP12ihipStream_tbEUlT_E_NS1_11comp_targetILNS1_3genE0ELNS1_11target_archE4294967295ELNS1_3gpuE0ELNS1_3repE0EEENS1_30default_config_static_selectorELNS0_4arch9wavefront6targetE0EEEvSK_,"axG",@progbits,_ZN7rocprim17ROCPRIM_400000_NS6detail17trampoline_kernelINS0_14default_configENS1_36segmented_radix_sort_config_selectorIflEEZNS1_25segmented_radix_sort_implIS3_Lb1EPKfPfPKlPlN2at6native12_GLOBAL__N_18offset_tEEE10hipError_tPvRmT1_PNSt15iterator_traitsISK_E10value_typeET2_T3_PNSL_ISQ_E10value_typeET4_jRbjT5_SW_jjP12ihipStream_tbEUlT_E_NS1_11comp_targetILNS1_3genE0ELNS1_11target_archE4294967295ELNS1_3gpuE0ELNS1_3repE0EEENS1_30default_config_static_selectorELNS0_4arch9wavefront6targetE0EEEvSK_,comdat
.Lfunc_end1325:
	.size	_ZN7rocprim17ROCPRIM_400000_NS6detail17trampoline_kernelINS0_14default_configENS1_36segmented_radix_sort_config_selectorIflEEZNS1_25segmented_radix_sort_implIS3_Lb1EPKfPfPKlPlN2at6native12_GLOBAL__N_18offset_tEEE10hipError_tPvRmT1_PNSt15iterator_traitsISK_E10value_typeET2_T3_PNSL_ISQ_E10value_typeET4_jRbjT5_SW_jjP12ihipStream_tbEUlT_E_NS1_11comp_targetILNS1_3genE0ELNS1_11target_archE4294967295ELNS1_3gpuE0ELNS1_3repE0EEENS1_30default_config_static_selectorELNS0_4arch9wavefront6targetE0EEEvSK_, .Lfunc_end1325-_ZN7rocprim17ROCPRIM_400000_NS6detail17trampoline_kernelINS0_14default_configENS1_36segmented_radix_sort_config_selectorIflEEZNS1_25segmented_radix_sort_implIS3_Lb1EPKfPfPKlPlN2at6native12_GLOBAL__N_18offset_tEEE10hipError_tPvRmT1_PNSt15iterator_traitsISK_E10value_typeET2_T3_PNSL_ISQ_E10value_typeET4_jRbjT5_SW_jjP12ihipStream_tbEUlT_E_NS1_11comp_targetILNS1_3genE0ELNS1_11target_archE4294967295ELNS1_3gpuE0ELNS1_3repE0EEENS1_30default_config_static_selectorELNS0_4arch9wavefront6targetE0EEEvSK_
                                        ; -- End function
	.section	.AMDGPU.csdata,"",@progbits
; Kernel info:
; codeLenInByte = 0
; NumSgprs: 0
; NumVgprs: 0
; ScratchSize: 0
; MemoryBound: 0
; FloatMode: 240
; IeeeMode: 1
; LDSByteSize: 0 bytes/workgroup (compile time only)
; SGPRBlocks: 0
; VGPRBlocks: 0
; NumSGPRsForWavesPerEU: 1
; NumVGPRsForWavesPerEU: 1
; Occupancy: 16
; WaveLimiterHint : 0
; COMPUTE_PGM_RSRC2:SCRATCH_EN: 0
; COMPUTE_PGM_RSRC2:USER_SGPR: 15
; COMPUTE_PGM_RSRC2:TRAP_HANDLER: 0
; COMPUTE_PGM_RSRC2:TGID_X_EN: 1
; COMPUTE_PGM_RSRC2:TGID_Y_EN: 0
; COMPUTE_PGM_RSRC2:TGID_Z_EN: 0
; COMPUTE_PGM_RSRC2:TIDIG_COMP_CNT: 0
	.section	.text._ZN7rocprim17ROCPRIM_400000_NS6detail17trampoline_kernelINS0_14default_configENS1_36segmented_radix_sort_config_selectorIflEEZNS1_25segmented_radix_sort_implIS3_Lb1EPKfPfPKlPlN2at6native12_GLOBAL__N_18offset_tEEE10hipError_tPvRmT1_PNSt15iterator_traitsISK_E10value_typeET2_T3_PNSL_ISQ_E10value_typeET4_jRbjT5_SW_jjP12ihipStream_tbEUlT_E_NS1_11comp_targetILNS1_3genE5ELNS1_11target_archE942ELNS1_3gpuE9ELNS1_3repE0EEENS1_30default_config_static_selectorELNS0_4arch9wavefront6targetE0EEEvSK_,"axG",@progbits,_ZN7rocprim17ROCPRIM_400000_NS6detail17trampoline_kernelINS0_14default_configENS1_36segmented_radix_sort_config_selectorIflEEZNS1_25segmented_radix_sort_implIS3_Lb1EPKfPfPKlPlN2at6native12_GLOBAL__N_18offset_tEEE10hipError_tPvRmT1_PNSt15iterator_traitsISK_E10value_typeET2_T3_PNSL_ISQ_E10value_typeET4_jRbjT5_SW_jjP12ihipStream_tbEUlT_E_NS1_11comp_targetILNS1_3genE5ELNS1_11target_archE942ELNS1_3gpuE9ELNS1_3repE0EEENS1_30default_config_static_selectorELNS0_4arch9wavefront6targetE0EEEvSK_,comdat
	.globl	_ZN7rocprim17ROCPRIM_400000_NS6detail17trampoline_kernelINS0_14default_configENS1_36segmented_radix_sort_config_selectorIflEEZNS1_25segmented_radix_sort_implIS3_Lb1EPKfPfPKlPlN2at6native12_GLOBAL__N_18offset_tEEE10hipError_tPvRmT1_PNSt15iterator_traitsISK_E10value_typeET2_T3_PNSL_ISQ_E10value_typeET4_jRbjT5_SW_jjP12ihipStream_tbEUlT_E_NS1_11comp_targetILNS1_3genE5ELNS1_11target_archE942ELNS1_3gpuE9ELNS1_3repE0EEENS1_30default_config_static_selectorELNS0_4arch9wavefront6targetE0EEEvSK_ ; -- Begin function _ZN7rocprim17ROCPRIM_400000_NS6detail17trampoline_kernelINS0_14default_configENS1_36segmented_radix_sort_config_selectorIflEEZNS1_25segmented_radix_sort_implIS3_Lb1EPKfPfPKlPlN2at6native12_GLOBAL__N_18offset_tEEE10hipError_tPvRmT1_PNSt15iterator_traitsISK_E10value_typeET2_T3_PNSL_ISQ_E10value_typeET4_jRbjT5_SW_jjP12ihipStream_tbEUlT_E_NS1_11comp_targetILNS1_3genE5ELNS1_11target_archE942ELNS1_3gpuE9ELNS1_3repE0EEENS1_30default_config_static_selectorELNS0_4arch9wavefront6targetE0EEEvSK_
	.p2align	8
	.type	_ZN7rocprim17ROCPRIM_400000_NS6detail17trampoline_kernelINS0_14default_configENS1_36segmented_radix_sort_config_selectorIflEEZNS1_25segmented_radix_sort_implIS3_Lb1EPKfPfPKlPlN2at6native12_GLOBAL__N_18offset_tEEE10hipError_tPvRmT1_PNSt15iterator_traitsISK_E10value_typeET2_T3_PNSL_ISQ_E10value_typeET4_jRbjT5_SW_jjP12ihipStream_tbEUlT_E_NS1_11comp_targetILNS1_3genE5ELNS1_11target_archE942ELNS1_3gpuE9ELNS1_3repE0EEENS1_30default_config_static_selectorELNS0_4arch9wavefront6targetE0EEEvSK_,@function
_ZN7rocprim17ROCPRIM_400000_NS6detail17trampoline_kernelINS0_14default_configENS1_36segmented_radix_sort_config_selectorIflEEZNS1_25segmented_radix_sort_implIS3_Lb1EPKfPfPKlPlN2at6native12_GLOBAL__N_18offset_tEEE10hipError_tPvRmT1_PNSt15iterator_traitsISK_E10value_typeET2_T3_PNSL_ISQ_E10value_typeET4_jRbjT5_SW_jjP12ihipStream_tbEUlT_E_NS1_11comp_targetILNS1_3genE5ELNS1_11target_archE942ELNS1_3gpuE9ELNS1_3repE0EEENS1_30default_config_static_selectorELNS0_4arch9wavefront6targetE0EEEvSK_: ; @_ZN7rocprim17ROCPRIM_400000_NS6detail17trampoline_kernelINS0_14default_configENS1_36segmented_radix_sort_config_selectorIflEEZNS1_25segmented_radix_sort_implIS3_Lb1EPKfPfPKlPlN2at6native12_GLOBAL__N_18offset_tEEE10hipError_tPvRmT1_PNSt15iterator_traitsISK_E10value_typeET2_T3_PNSL_ISQ_E10value_typeET4_jRbjT5_SW_jjP12ihipStream_tbEUlT_E_NS1_11comp_targetILNS1_3genE5ELNS1_11target_archE942ELNS1_3gpuE9ELNS1_3repE0EEENS1_30default_config_static_selectorELNS0_4arch9wavefront6targetE0EEEvSK_
; %bb.0:
	.section	.rodata,"a",@progbits
	.p2align	6, 0x0
	.amdhsa_kernel _ZN7rocprim17ROCPRIM_400000_NS6detail17trampoline_kernelINS0_14default_configENS1_36segmented_radix_sort_config_selectorIflEEZNS1_25segmented_radix_sort_implIS3_Lb1EPKfPfPKlPlN2at6native12_GLOBAL__N_18offset_tEEE10hipError_tPvRmT1_PNSt15iterator_traitsISK_E10value_typeET2_T3_PNSL_ISQ_E10value_typeET4_jRbjT5_SW_jjP12ihipStream_tbEUlT_E_NS1_11comp_targetILNS1_3genE5ELNS1_11target_archE942ELNS1_3gpuE9ELNS1_3repE0EEENS1_30default_config_static_selectorELNS0_4arch9wavefront6targetE0EEEvSK_
		.amdhsa_group_segment_fixed_size 0
		.amdhsa_private_segment_fixed_size 0
		.amdhsa_kernarg_size 96
		.amdhsa_user_sgpr_count 15
		.amdhsa_user_sgpr_dispatch_ptr 0
		.amdhsa_user_sgpr_queue_ptr 0
		.amdhsa_user_sgpr_kernarg_segment_ptr 1
		.amdhsa_user_sgpr_dispatch_id 0
		.amdhsa_user_sgpr_private_segment_size 0
		.amdhsa_wavefront_size32 1
		.amdhsa_uses_dynamic_stack 0
		.amdhsa_enable_private_segment 0
		.amdhsa_system_sgpr_workgroup_id_x 1
		.amdhsa_system_sgpr_workgroup_id_y 0
		.amdhsa_system_sgpr_workgroup_id_z 0
		.amdhsa_system_sgpr_workgroup_info 0
		.amdhsa_system_vgpr_workitem_id 0
		.amdhsa_next_free_vgpr 1
		.amdhsa_next_free_sgpr 1
		.amdhsa_reserve_vcc 0
		.amdhsa_float_round_mode_32 0
		.amdhsa_float_round_mode_16_64 0
		.amdhsa_float_denorm_mode_32 3
		.amdhsa_float_denorm_mode_16_64 3
		.amdhsa_dx10_clamp 1
		.amdhsa_ieee_mode 1
		.amdhsa_fp16_overflow 0
		.amdhsa_workgroup_processor_mode 1
		.amdhsa_memory_ordered 1
		.amdhsa_forward_progress 0
		.amdhsa_shared_vgpr_count 0
		.amdhsa_exception_fp_ieee_invalid_op 0
		.amdhsa_exception_fp_denorm_src 0
		.amdhsa_exception_fp_ieee_div_zero 0
		.amdhsa_exception_fp_ieee_overflow 0
		.amdhsa_exception_fp_ieee_underflow 0
		.amdhsa_exception_fp_ieee_inexact 0
		.amdhsa_exception_int_div_zero 0
	.end_amdhsa_kernel
	.section	.text._ZN7rocprim17ROCPRIM_400000_NS6detail17trampoline_kernelINS0_14default_configENS1_36segmented_radix_sort_config_selectorIflEEZNS1_25segmented_radix_sort_implIS3_Lb1EPKfPfPKlPlN2at6native12_GLOBAL__N_18offset_tEEE10hipError_tPvRmT1_PNSt15iterator_traitsISK_E10value_typeET2_T3_PNSL_ISQ_E10value_typeET4_jRbjT5_SW_jjP12ihipStream_tbEUlT_E_NS1_11comp_targetILNS1_3genE5ELNS1_11target_archE942ELNS1_3gpuE9ELNS1_3repE0EEENS1_30default_config_static_selectorELNS0_4arch9wavefront6targetE0EEEvSK_,"axG",@progbits,_ZN7rocprim17ROCPRIM_400000_NS6detail17trampoline_kernelINS0_14default_configENS1_36segmented_radix_sort_config_selectorIflEEZNS1_25segmented_radix_sort_implIS3_Lb1EPKfPfPKlPlN2at6native12_GLOBAL__N_18offset_tEEE10hipError_tPvRmT1_PNSt15iterator_traitsISK_E10value_typeET2_T3_PNSL_ISQ_E10value_typeET4_jRbjT5_SW_jjP12ihipStream_tbEUlT_E_NS1_11comp_targetILNS1_3genE5ELNS1_11target_archE942ELNS1_3gpuE9ELNS1_3repE0EEENS1_30default_config_static_selectorELNS0_4arch9wavefront6targetE0EEEvSK_,comdat
.Lfunc_end1326:
	.size	_ZN7rocprim17ROCPRIM_400000_NS6detail17trampoline_kernelINS0_14default_configENS1_36segmented_radix_sort_config_selectorIflEEZNS1_25segmented_radix_sort_implIS3_Lb1EPKfPfPKlPlN2at6native12_GLOBAL__N_18offset_tEEE10hipError_tPvRmT1_PNSt15iterator_traitsISK_E10value_typeET2_T3_PNSL_ISQ_E10value_typeET4_jRbjT5_SW_jjP12ihipStream_tbEUlT_E_NS1_11comp_targetILNS1_3genE5ELNS1_11target_archE942ELNS1_3gpuE9ELNS1_3repE0EEENS1_30default_config_static_selectorELNS0_4arch9wavefront6targetE0EEEvSK_, .Lfunc_end1326-_ZN7rocprim17ROCPRIM_400000_NS6detail17trampoline_kernelINS0_14default_configENS1_36segmented_radix_sort_config_selectorIflEEZNS1_25segmented_radix_sort_implIS3_Lb1EPKfPfPKlPlN2at6native12_GLOBAL__N_18offset_tEEE10hipError_tPvRmT1_PNSt15iterator_traitsISK_E10value_typeET2_T3_PNSL_ISQ_E10value_typeET4_jRbjT5_SW_jjP12ihipStream_tbEUlT_E_NS1_11comp_targetILNS1_3genE5ELNS1_11target_archE942ELNS1_3gpuE9ELNS1_3repE0EEENS1_30default_config_static_selectorELNS0_4arch9wavefront6targetE0EEEvSK_
                                        ; -- End function
	.section	.AMDGPU.csdata,"",@progbits
; Kernel info:
; codeLenInByte = 0
; NumSgprs: 0
; NumVgprs: 0
; ScratchSize: 0
; MemoryBound: 0
; FloatMode: 240
; IeeeMode: 1
; LDSByteSize: 0 bytes/workgroup (compile time only)
; SGPRBlocks: 0
; VGPRBlocks: 0
; NumSGPRsForWavesPerEU: 1
; NumVGPRsForWavesPerEU: 1
; Occupancy: 16
; WaveLimiterHint : 0
; COMPUTE_PGM_RSRC2:SCRATCH_EN: 0
; COMPUTE_PGM_RSRC2:USER_SGPR: 15
; COMPUTE_PGM_RSRC2:TRAP_HANDLER: 0
; COMPUTE_PGM_RSRC2:TGID_X_EN: 1
; COMPUTE_PGM_RSRC2:TGID_Y_EN: 0
; COMPUTE_PGM_RSRC2:TGID_Z_EN: 0
; COMPUTE_PGM_RSRC2:TIDIG_COMP_CNT: 0
	.section	.text._ZN7rocprim17ROCPRIM_400000_NS6detail17trampoline_kernelINS0_14default_configENS1_36segmented_radix_sort_config_selectorIflEEZNS1_25segmented_radix_sort_implIS3_Lb1EPKfPfPKlPlN2at6native12_GLOBAL__N_18offset_tEEE10hipError_tPvRmT1_PNSt15iterator_traitsISK_E10value_typeET2_T3_PNSL_ISQ_E10value_typeET4_jRbjT5_SW_jjP12ihipStream_tbEUlT_E_NS1_11comp_targetILNS1_3genE4ELNS1_11target_archE910ELNS1_3gpuE8ELNS1_3repE0EEENS1_30default_config_static_selectorELNS0_4arch9wavefront6targetE0EEEvSK_,"axG",@progbits,_ZN7rocprim17ROCPRIM_400000_NS6detail17trampoline_kernelINS0_14default_configENS1_36segmented_radix_sort_config_selectorIflEEZNS1_25segmented_radix_sort_implIS3_Lb1EPKfPfPKlPlN2at6native12_GLOBAL__N_18offset_tEEE10hipError_tPvRmT1_PNSt15iterator_traitsISK_E10value_typeET2_T3_PNSL_ISQ_E10value_typeET4_jRbjT5_SW_jjP12ihipStream_tbEUlT_E_NS1_11comp_targetILNS1_3genE4ELNS1_11target_archE910ELNS1_3gpuE8ELNS1_3repE0EEENS1_30default_config_static_selectorELNS0_4arch9wavefront6targetE0EEEvSK_,comdat
	.globl	_ZN7rocprim17ROCPRIM_400000_NS6detail17trampoline_kernelINS0_14default_configENS1_36segmented_radix_sort_config_selectorIflEEZNS1_25segmented_radix_sort_implIS3_Lb1EPKfPfPKlPlN2at6native12_GLOBAL__N_18offset_tEEE10hipError_tPvRmT1_PNSt15iterator_traitsISK_E10value_typeET2_T3_PNSL_ISQ_E10value_typeET4_jRbjT5_SW_jjP12ihipStream_tbEUlT_E_NS1_11comp_targetILNS1_3genE4ELNS1_11target_archE910ELNS1_3gpuE8ELNS1_3repE0EEENS1_30default_config_static_selectorELNS0_4arch9wavefront6targetE0EEEvSK_ ; -- Begin function _ZN7rocprim17ROCPRIM_400000_NS6detail17trampoline_kernelINS0_14default_configENS1_36segmented_radix_sort_config_selectorIflEEZNS1_25segmented_radix_sort_implIS3_Lb1EPKfPfPKlPlN2at6native12_GLOBAL__N_18offset_tEEE10hipError_tPvRmT1_PNSt15iterator_traitsISK_E10value_typeET2_T3_PNSL_ISQ_E10value_typeET4_jRbjT5_SW_jjP12ihipStream_tbEUlT_E_NS1_11comp_targetILNS1_3genE4ELNS1_11target_archE910ELNS1_3gpuE8ELNS1_3repE0EEENS1_30default_config_static_selectorELNS0_4arch9wavefront6targetE0EEEvSK_
	.p2align	8
	.type	_ZN7rocprim17ROCPRIM_400000_NS6detail17trampoline_kernelINS0_14default_configENS1_36segmented_radix_sort_config_selectorIflEEZNS1_25segmented_radix_sort_implIS3_Lb1EPKfPfPKlPlN2at6native12_GLOBAL__N_18offset_tEEE10hipError_tPvRmT1_PNSt15iterator_traitsISK_E10value_typeET2_T3_PNSL_ISQ_E10value_typeET4_jRbjT5_SW_jjP12ihipStream_tbEUlT_E_NS1_11comp_targetILNS1_3genE4ELNS1_11target_archE910ELNS1_3gpuE8ELNS1_3repE0EEENS1_30default_config_static_selectorELNS0_4arch9wavefront6targetE0EEEvSK_,@function
_ZN7rocprim17ROCPRIM_400000_NS6detail17trampoline_kernelINS0_14default_configENS1_36segmented_radix_sort_config_selectorIflEEZNS1_25segmented_radix_sort_implIS3_Lb1EPKfPfPKlPlN2at6native12_GLOBAL__N_18offset_tEEE10hipError_tPvRmT1_PNSt15iterator_traitsISK_E10value_typeET2_T3_PNSL_ISQ_E10value_typeET4_jRbjT5_SW_jjP12ihipStream_tbEUlT_E_NS1_11comp_targetILNS1_3genE4ELNS1_11target_archE910ELNS1_3gpuE8ELNS1_3repE0EEENS1_30default_config_static_selectorELNS0_4arch9wavefront6targetE0EEEvSK_: ; @_ZN7rocprim17ROCPRIM_400000_NS6detail17trampoline_kernelINS0_14default_configENS1_36segmented_radix_sort_config_selectorIflEEZNS1_25segmented_radix_sort_implIS3_Lb1EPKfPfPKlPlN2at6native12_GLOBAL__N_18offset_tEEE10hipError_tPvRmT1_PNSt15iterator_traitsISK_E10value_typeET2_T3_PNSL_ISQ_E10value_typeET4_jRbjT5_SW_jjP12ihipStream_tbEUlT_E_NS1_11comp_targetILNS1_3genE4ELNS1_11target_archE910ELNS1_3gpuE8ELNS1_3repE0EEENS1_30default_config_static_selectorELNS0_4arch9wavefront6targetE0EEEvSK_
; %bb.0:
	.section	.rodata,"a",@progbits
	.p2align	6, 0x0
	.amdhsa_kernel _ZN7rocprim17ROCPRIM_400000_NS6detail17trampoline_kernelINS0_14default_configENS1_36segmented_radix_sort_config_selectorIflEEZNS1_25segmented_radix_sort_implIS3_Lb1EPKfPfPKlPlN2at6native12_GLOBAL__N_18offset_tEEE10hipError_tPvRmT1_PNSt15iterator_traitsISK_E10value_typeET2_T3_PNSL_ISQ_E10value_typeET4_jRbjT5_SW_jjP12ihipStream_tbEUlT_E_NS1_11comp_targetILNS1_3genE4ELNS1_11target_archE910ELNS1_3gpuE8ELNS1_3repE0EEENS1_30default_config_static_selectorELNS0_4arch9wavefront6targetE0EEEvSK_
		.amdhsa_group_segment_fixed_size 0
		.amdhsa_private_segment_fixed_size 0
		.amdhsa_kernarg_size 96
		.amdhsa_user_sgpr_count 15
		.amdhsa_user_sgpr_dispatch_ptr 0
		.amdhsa_user_sgpr_queue_ptr 0
		.amdhsa_user_sgpr_kernarg_segment_ptr 1
		.amdhsa_user_sgpr_dispatch_id 0
		.amdhsa_user_sgpr_private_segment_size 0
		.amdhsa_wavefront_size32 1
		.amdhsa_uses_dynamic_stack 0
		.amdhsa_enable_private_segment 0
		.amdhsa_system_sgpr_workgroup_id_x 1
		.amdhsa_system_sgpr_workgroup_id_y 0
		.amdhsa_system_sgpr_workgroup_id_z 0
		.amdhsa_system_sgpr_workgroup_info 0
		.amdhsa_system_vgpr_workitem_id 0
		.amdhsa_next_free_vgpr 1
		.amdhsa_next_free_sgpr 1
		.amdhsa_reserve_vcc 0
		.amdhsa_float_round_mode_32 0
		.amdhsa_float_round_mode_16_64 0
		.amdhsa_float_denorm_mode_32 3
		.amdhsa_float_denorm_mode_16_64 3
		.amdhsa_dx10_clamp 1
		.amdhsa_ieee_mode 1
		.amdhsa_fp16_overflow 0
		.amdhsa_workgroup_processor_mode 1
		.amdhsa_memory_ordered 1
		.amdhsa_forward_progress 0
		.amdhsa_shared_vgpr_count 0
		.amdhsa_exception_fp_ieee_invalid_op 0
		.amdhsa_exception_fp_denorm_src 0
		.amdhsa_exception_fp_ieee_div_zero 0
		.amdhsa_exception_fp_ieee_overflow 0
		.amdhsa_exception_fp_ieee_underflow 0
		.amdhsa_exception_fp_ieee_inexact 0
		.amdhsa_exception_int_div_zero 0
	.end_amdhsa_kernel
	.section	.text._ZN7rocprim17ROCPRIM_400000_NS6detail17trampoline_kernelINS0_14default_configENS1_36segmented_radix_sort_config_selectorIflEEZNS1_25segmented_radix_sort_implIS3_Lb1EPKfPfPKlPlN2at6native12_GLOBAL__N_18offset_tEEE10hipError_tPvRmT1_PNSt15iterator_traitsISK_E10value_typeET2_T3_PNSL_ISQ_E10value_typeET4_jRbjT5_SW_jjP12ihipStream_tbEUlT_E_NS1_11comp_targetILNS1_3genE4ELNS1_11target_archE910ELNS1_3gpuE8ELNS1_3repE0EEENS1_30default_config_static_selectorELNS0_4arch9wavefront6targetE0EEEvSK_,"axG",@progbits,_ZN7rocprim17ROCPRIM_400000_NS6detail17trampoline_kernelINS0_14default_configENS1_36segmented_radix_sort_config_selectorIflEEZNS1_25segmented_radix_sort_implIS3_Lb1EPKfPfPKlPlN2at6native12_GLOBAL__N_18offset_tEEE10hipError_tPvRmT1_PNSt15iterator_traitsISK_E10value_typeET2_T3_PNSL_ISQ_E10value_typeET4_jRbjT5_SW_jjP12ihipStream_tbEUlT_E_NS1_11comp_targetILNS1_3genE4ELNS1_11target_archE910ELNS1_3gpuE8ELNS1_3repE0EEENS1_30default_config_static_selectorELNS0_4arch9wavefront6targetE0EEEvSK_,comdat
.Lfunc_end1327:
	.size	_ZN7rocprim17ROCPRIM_400000_NS6detail17trampoline_kernelINS0_14default_configENS1_36segmented_radix_sort_config_selectorIflEEZNS1_25segmented_radix_sort_implIS3_Lb1EPKfPfPKlPlN2at6native12_GLOBAL__N_18offset_tEEE10hipError_tPvRmT1_PNSt15iterator_traitsISK_E10value_typeET2_T3_PNSL_ISQ_E10value_typeET4_jRbjT5_SW_jjP12ihipStream_tbEUlT_E_NS1_11comp_targetILNS1_3genE4ELNS1_11target_archE910ELNS1_3gpuE8ELNS1_3repE0EEENS1_30default_config_static_selectorELNS0_4arch9wavefront6targetE0EEEvSK_, .Lfunc_end1327-_ZN7rocprim17ROCPRIM_400000_NS6detail17trampoline_kernelINS0_14default_configENS1_36segmented_radix_sort_config_selectorIflEEZNS1_25segmented_radix_sort_implIS3_Lb1EPKfPfPKlPlN2at6native12_GLOBAL__N_18offset_tEEE10hipError_tPvRmT1_PNSt15iterator_traitsISK_E10value_typeET2_T3_PNSL_ISQ_E10value_typeET4_jRbjT5_SW_jjP12ihipStream_tbEUlT_E_NS1_11comp_targetILNS1_3genE4ELNS1_11target_archE910ELNS1_3gpuE8ELNS1_3repE0EEENS1_30default_config_static_selectorELNS0_4arch9wavefront6targetE0EEEvSK_
                                        ; -- End function
	.section	.AMDGPU.csdata,"",@progbits
; Kernel info:
; codeLenInByte = 0
; NumSgprs: 0
; NumVgprs: 0
; ScratchSize: 0
; MemoryBound: 0
; FloatMode: 240
; IeeeMode: 1
; LDSByteSize: 0 bytes/workgroup (compile time only)
; SGPRBlocks: 0
; VGPRBlocks: 0
; NumSGPRsForWavesPerEU: 1
; NumVGPRsForWavesPerEU: 1
; Occupancy: 16
; WaveLimiterHint : 0
; COMPUTE_PGM_RSRC2:SCRATCH_EN: 0
; COMPUTE_PGM_RSRC2:USER_SGPR: 15
; COMPUTE_PGM_RSRC2:TRAP_HANDLER: 0
; COMPUTE_PGM_RSRC2:TGID_X_EN: 1
; COMPUTE_PGM_RSRC2:TGID_Y_EN: 0
; COMPUTE_PGM_RSRC2:TGID_Z_EN: 0
; COMPUTE_PGM_RSRC2:TIDIG_COMP_CNT: 0
	.section	.text._ZN7rocprim17ROCPRIM_400000_NS6detail17trampoline_kernelINS0_14default_configENS1_36segmented_radix_sort_config_selectorIflEEZNS1_25segmented_radix_sort_implIS3_Lb1EPKfPfPKlPlN2at6native12_GLOBAL__N_18offset_tEEE10hipError_tPvRmT1_PNSt15iterator_traitsISK_E10value_typeET2_T3_PNSL_ISQ_E10value_typeET4_jRbjT5_SW_jjP12ihipStream_tbEUlT_E_NS1_11comp_targetILNS1_3genE3ELNS1_11target_archE908ELNS1_3gpuE7ELNS1_3repE0EEENS1_30default_config_static_selectorELNS0_4arch9wavefront6targetE0EEEvSK_,"axG",@progbits,_ZN7rocprim17ROCPRIM_400000_NS6detail17trampoline_kernelINS0_14default_configENS1_36segmented_radix_sort_config_selectorIflEEZNS1_25segmented_radix_sort_implIS3_Lb1EPKfPfPKlPlN2at6native12_GLOBAL__N_18offset_tEEE10hipError_tPvRmT1_PNSt15iterator_traitsISK_E10value_typeET2_T3_PNSL_ISQ_E10value_typeET4_jRbjT5_SW_jjP12ihipStream_tbEUlT_E_NS1_11comp_targetILNS1_3genE3ELNS1_11target_archE908ELNS1_3gpuE7ELNS1_3repE0EEENS1_30default_config_static_selectorELNS0_4arch9wavefront6targetE0EEEvSK_,comdat
	.globl	_ZN7rocprim17ROCPRIM_400000_NS6detail17trampoline_kernelINS0_14default_configENS1_36segmented_radix_sort_config_selectorIflEEZNS1_25segmented_radix_sort_implIS3_Lb1EPKfPfPKlPlN2at6native12_GLOBAL__N_18offset_tEEE10hipError_tPvRmT1_PNSt15iterator_traitsISK_E10value_typeET2_T3_PNSL_ISQ_E10value_typeET4_jRbjT5_SW_jjP12ihipStream_tbEUlT_E_NS1_11comp_targetILNS1_3genE3ELNS1_11target_archE908ELNS1_3gpuE7ELNS1_3repE0EEENS1_30default_config_static_selectorELNS0_4arch9wavefront6targetE0EEEvSK_ ; -- Begin function _ZN7rocprim17ROCPRIM_400000_NS6detail17trampoline_kernelINS0_14default_configENS1_36segmented_radix_sort_config_selectorIflEEZNS1_25segmented_radix_sort_implIS3_Lb1EPKfPfPKlPlN2at6native12_GLOBAL__N_18offset_tEEE10hipError_tPvRmT1_PNSt15iterator_traitsISK_E10value_typeET2_T3_PNSL_ISQ_E10value_typeET4_jRbjT5_SW_jjP12ihipStream_tbEUlT_E_NS1_11comp_targetILNS1_3genE3ELNS1_11target_archE908ELNS1_3gpuE7ELNS1_3repE0EEENS1_30default_config_static_selectorELNS0_4arch9wavefront6targetE0EEEvSK_
	.p2align	8
	.type	_ZN7rocprim17ROCPRIM_400000_NS6detail17trampoline_kernelINS0_14default_configENS1_36segmented_radix_sort_config_selectorIflEEZNS1_25segmented_radix_sort_implIS3_Lb1EPKfPfPKlPlN2at6native12_GLOBAL__N_18offset_tEEE10hipError_tPvRmT1_PNSt15iterator_traitsISK_E10value_typeET2_T3_PNSL_ISQ_E10value_typeET4_jRbjT5_SW_jjP12ihipStream_tbEUlT_E_NS1_11comp_targetILNS1_3genE3ELNS1_11target_archE908ELNS1_3gpuE7ELNS1_3repE0EEENS1_30default_config_static_selectorELNS0_4arch9wavefront6targetE0EEEvSK_,@function
_ZN7rocprim17ROCPRIM_400000_NS6detail17trampoline_kernelINS0_14default_configENS1_36segmented_radix_sort_config_selectorIflEEZNS1_25segmented_radix_sort_implIS3_Lb1EPKfPfPKlPlN2at6native12_GLOBAL__N_18offset_tEEE10hipError_tPvRmT1_PNSt15iterator_traitsISK_E10value_typeET2_T3_PNSL_ISQ_E10value_typeET4_jRbjT5_SW_jjP12ihipStream_tbEUlT_E_NS1_11comp_targetILNS1_3genE3ELNS1_11target_archE908ELNS1_3gpuE7ELNS1_3repE0EEENS1_30default_config_static_selectorELNS0_4arch9wavefront6targetE0EEEvSK_: ; @_ZN7rocprim17ROCPRIM_400000_NS6detail17trampoline_kernelINS0_14default_configENS1_36segmented_radix_sort_config_selectorIflEEZNS1_25segmented_radix_sort_implIS3_Lb1EPKfPfPKlPlN2at6native12_GLOBAL__N_18offset_tEEE10hipError_tPvRmT1_PNSt15iterator_traitsISK_E10value_typeET2_T3_PNSL_ISQ_E10value_typeET4_jRbjT5_SW_jjP12ihipStream_tbEUlT_E_NS1_11comp_targetILNS1_3genE3ELNS1_11target_archE908ELNS1_3gpuE7ELNS1_3repE0EEENS1_30default_config_static_selectorELNS0_4arch9wavefront6targetE0EEEvSK_
; %bb.0:
	.section	.rodata,"a",@progbits
	.p2align	6, 0x0
	.amdhsa_kernel _ZN7rocprim17ROCPRIM_400000_NS6detail17trampoline_kernelINS0_14default_configENS1_36segmented_radix_sort_config_selectorIflEEZNS1_25segmented_radix_sort_implIS3_Lb1EPKfPfPKlPlN2at6native12_GLOBAL__N_18offset_tEEE10hipError_tPvRmT1_PNSt15iterator_traitsISK_E10value_typeET2_T3_PNSL_ISQ_E10value_typeET4_jRbjT5_SW_jjP12ihipStream_tbEUlT_E_NS1_11comp_targetILNS1_3genE3ELNS1_11target_archE908ELNS1_3gpuE7ELNS1_3repE0EEENS1_30default_config_static_selectorELNS0_4arch9wavefront6targetE0EEEvSK_
		.amdhsa_group_segment_fixed_size 0
		.amdhsa_private_segment_fixed_size 0
		.amdhsa_kernarg_size 96
		.amdhsa_user_sgpr_count 15
		.amdhsa_user_sgpr_dispatch_ptr 0
		.amdhsa_user_sgpr_queue_ptr 0
		.amdhsa_user_sgpr_kernarg_segment_ptr 1
		.amdhsa_user_sgpr_dispatch_id 0
		.amdhsa_user_sgpr_private_segment_size 0
		.amdhsa_wavefront_size32 1
		.amdhsa_uses_dynamic_stack 0
		.amdhsa_enable_private_segment 0
		.amdhsa_system_sgpr_workgroup_id_x 1
		.amdhsa_system_sgpr_workgroup_id_y 0
		.amdhsa_system_sgpr_workgroup_id_z 0
		.amdhsa_system_sgpr_workgroup_info 0
		.amdhsa_system_vgpr_workitem_id 0
		.amdhsa_next_free_vgpr 1
		.amdhsa_next_free_sgpr 1
		.amdhsa_reserve_vcc 0
		.amdhsa_float_round_mode_32 0
		.amdhsa_float_round_mode_16_64 0
		.amdhsa_float_denorm_mode_32 3
		.amdhsa_float_denorm_mode_16_64 3
		.amdhsa_dx10_clamp 1
		.amdhsa_ieee_mode 1
		.amdhsa_fp16_overflow 0
		.amdhsa_workgroup_processor_mode 1
		.amdhsa_memory_ordered 1
		.amdhsa_forward_progress 0
		.amdhsa_shared_vgpr_count 0
		.amdhsa_exception_fp_ieee_invalid_op 0
		.amdhsa_exception_fp_denorm_src 0
		.amdhsa_exception_fp_ieee_div_zero 0
		.amdhsa_exception_fp_ieee_overflow 0
		.amdhsa_exception_fp_ieee_underflow 0
		.amdhsa_exception_fp_ieee_inexact 0
		.amdhsa_exception_int_div_zero 0
	.end_amdhsa_kernel
	.section	.text._ZN7rocprim17ROCPRIM_400000_NS6detail17trampoline_kernelINS0_14default_configENS1_36segmented_radix_sort_config_selectorIflEEZNS1_25segmented_radix_sort_implIS3_Lb1EPKfPfPKlPlN2at6native12_GLOBAL__N_18offset_tEEE10hipError_tPvRmT1_PNSt15iterator_traitsISK_E10value_typeET2_T3_PNSL_ISQ_E10value_typeET4_jRbjT5_SW_jjP12ihipStream_tbEUlT_E_NS1_11comp_targetILNS1_3genE3ELNS1_11target_archE908ELNS1_3gpuE7ELNS1_3repE0EEENS1_30default_config_static_selectorELNS0_4arch9wavefront6targetE0EEEvSK_,"axG",@progbits,_ZN7rocprim17ROCPRIM_400000_NS6detail17trampoline_kernelINS0_14default_configENS1_36segmented_radix_sort_config_selectorIflEEZNS1_25segmented_radix_sort_implIS3_Lb1EPKfPfPKlPlN2at6native12_GLOBAL__N_18offset_tEEE10hipError_tPvRmT1_PNSt15iterator_traitsISK_E10value_typeET2_T3_PNSL_ISQ_E10value_typeET4_jRbjT5_SW_jjP12ihipStream_tbEUlT_E_NS1_11comp_targetILNS1_3genE3ELNS1_11target_archE908ELNS1_3gpuE7ELNS1_3repE0EEENS1_30default_config_static_selectorELNS0_4arch9wavefront6targetE0EEEvSK_,comdat
.Lfunc_end1328:
	.size	_ZN7rocprim17ROCPRIM_400000_NS6detail17trampoline_kernelINS0_14default_configENS1_36segmented_radix_sort_config_selectorIflEEZNS1_25segmented_radix_sort_implIS3_Lb1EPKfPfPKlPlN2at6native12_GLOBAL__N_18offset_tEEE10hipError_tPvRmT1_PNSt15iterator_traitsISK_E10value_typeET2_T3_PNSL_ISQ_E10value_typeET4_jRbjT5_SW_jjP12ihipStream_tbEUlT_E_NS1_11comp_targetILNS1_3genE3ELNS1_11target_archE908ELNS1_3gpuE7ELNS1_3repE0EEENS1_30default_config_static_selectorELNS0_4arch9wavefront6targetE0EEEvSK_, .Lfunc_end1328-_ZN7rocprim17ROCPRIM_400000_NS6detail17trampoline_kernelINS0_14default_configENS1_36segmented_radix_sort_config_selectorIflEEZNS1_25segmented_radix_sort_implIS3_Lb1EPKfPfPKlPlN2at6native12_GLOBAL__N_18offset_tEEE10hipError_tPvRmT1_PNSt15iterator_traitsISK_E10value_typeET2_T3_PNSL_ISQ_E10value_typeET4_jRbjT5_SW_jjP12ihipStream_tbEUlT_E_NS1_11comp_targetILNS1_3genE3ELNS1_11target_archE908ELNS1_3gpuE7ELNS1_3repE0EEENS1_30default_config_static_selectorELNS0_4arch9wavefront6targetE0EEEvSK_
                                        ; -- End function
	.section	.AMDGPU.csdata,"",@progbits
; Kernel info:
; codeLenInByte = 0
; NumSgprs: 0
; NumVgprs: 0
; ScratchSize: 0
; MemoryBound: 0
; FloatMode: 240
; IeeeMode: 1
; LDSByteSize: 0 bytes/workgroup (compile time only)
; SGPRBlocks: 0
; VGPRBlocks: 0
; NumSGPRsForWavesPerEU: 1
; NumVGPRsForWavesPerEU: 1
; Occupancy: 16
; WaveLimiterHint : 0
; COMPUTE_PGM_RSRC2:SCRATCH_EN: 0
; COMPUTE_PGM_RSRC2:USER_SGPR: 15
; COMPUTE_PGM_RSRC2:TRAP_HANDLER: 0
; COMPUTE_PGM_RSRC2:TGID_X_EN: 1
; COMPUTE_PGM_RSRC2:TGID_Y_EN: 0
; COMPUTE_PGM_RSRC2:TGID_Z_EN: 0
; COMPUTE_PGM_RSRC2:TIDIG_COMP_CNT: 0
	.section	.text._ZN7rocprim17ROCPRIM_400000_NS6detail17trampoline_kernelINS0_14default_configENS1_36segmented_radix_sort_config_selectorIflEEZNS1_25segmented_radix_sort_implIS3_Lb1EPKfPfPKlPlN2at6native12_GLOBAL__N_18offset_tEEE10hipError_tPvRmT1_PNSt15iterator_traitsISK_E10value_typeET2_T3_PNSL_ISQ_E10value_typeET4_jRbjT5_SW_jjP12ihipStream_tbEUlT_E_NS1_11comp_targetILNS1_3genE2ELNS1_11target_archE906ELNS1_3gpuE6ELNS1_3repE0EEENS1_30default_config_static_selectorELNS0_4arch9wavefront6targetE0EEEvSK_,"axG",@progbits,_ZN7rocprim17ROCPRIM_400000_NS6detail17trampoline_kernelINS0_14default_configENS1_36segmented_radix_sort_config_selectorIflEEZNS1_25segmented_radix_sort_implIS3_Lb1EPKfPfPKlPlN2at6native12_GLOBAL__N_18offset_tEEE10hipError_tPvRmT1_PNSt15iterator_traitsISK_E10value_typeET2_T3_PNSL_ISQ_E10value_typeET4_jRbjT5_SW_jjP12ihipStream_tbEUlT_E_NS1_11comp_targetILNS1_3genE2ELNS1_11target_archE906ELNS1_3gpuE6ELNS1_3repE0EEENS1_30default_config_static_selectorELNS0_4arch9wavefront6targetE0EEEvSK_,comdat
	.globl	_ZN7rocprim17ROCPRIM_400000_NS6detail17trampoline_kernelINS0_14default_configENS1_36segmented_radix_sort_config_selectorIflEEZNS1_25segmented_radix_sort_implIS3_Lb1EPKfPfPKlPlN2at6native12_GLOBAL__N_18offset_tEEE10hipError_tPvRmT1_PNSt15iterator_traitsISK_E10value_typeET2_T3_PNSL_ISQ_E10value_typeET4_jRbjT5_SW_jjP12ihipStream_tbEUlT_E_NS1_11comp_targetILNS1_3genE2ELNS1_11target_archE906ELNS1_3gpuE6ELNS1_3repE0EEENS1_30default_config_static_selectorELNS0_4arch9wavefront6targetE0EEEvSK_ ; -- Begin function _ZN7rocprim17ROCPRIM_400000_NS6detail17trampoline_kernelINS0_14default_configENS1_36segmented_radix_sort_config_selectorIflEEZNS1_25segmented_radix_sort_implIS3_Lb1EPKfPfPKlPlN2at6native12_GLOBAL__N_18offset_tEEE10hipError_tPvRmT1_PNSt15iterator_traitsISK_E10value_typeET2_T3_PNSL_ISQ_E10value_typeET4_jRbjT5_SW_jjP12ihipStream_tbEUlT_E_NS1_11comp_targetILNS1_3genE2ELNS1_11target_archE906ELNS1_3gpuE6ELNS1_3repE0EEENS1_30default_config_static_selectorELNS0_4arch9wavefront6targetE0EEEvSK_
	.p2align	8
	.type	_ZN7rocprim17ROCPRIM_400000_NS6detail17trampoline_kernelINS0_14default_configENS1_36segmented_radix_sort_config_selectorIflEEZNS1_25segmented_radix_sort_implIS3_Lb1EPKfPfPKlPlN2at6native12_GLOBAL__N_18offset_tEEE10hipError_tPvRmT1_PNSt15iterator_traitsISK_E10value_typeET2_T3_PNSL_ISQ_E10value_typeET4_jRbjT5_SW_jjP12ihipStream_tbEUlT_E_NS1_11comp_targetILNS1_3genE2ELNS1_11target_archE906ELNS1_3gpuE6ELNS1_3repE0EEENS1_30default_config_static_selectorELNS0_4arch9wavefront6targetE0EEEvSK_,@function
_ZN7rocprim17ROCPRIM_400000_NS6detail17trampoline_kernelINS0_14default_configENS1_36segmented_radix_sort_config_selectorIflEEZNS1_25segmented_radix_sort_implIS3_Lb1EPKfPfPKlPlN2at6native12_GLOBAL__N_18offset_tEEE10hipError_tPvRmT1_PNSt15iterator_traitsISK_E10value_typeET2_T3_PNSL_ISQ_E10value_typeET4_jRbjT5_SW_jjP12ihipStream_tbEUlT_E_NS1_11comp_targetILNS1_3genE2ELNS1_11target_archE906ELNS1_3gpuE6ELNS1_3repE0EEENS1_30default_config_static_selectorELNS0_4arch9wavefront6targetE0EEEvSK_: ; @_ZN7rocprim17ROCPRIM_400000_NS6detail17trampoline_kernelINS0_14default_configENS1_36segmented_radix_sort_config_selectorIflEEZNS1_25segmented_radix_sort_implIS3_Lb1EPKfPfPKlPlN2at6native12_GLOBAL__N_18offset_tEEE10hipError_tPvRmT1_PNSt15iterator_traitsISK_E10value_typeET2_T3_PNSL_ISQ_E10value_typeET4_jRbjT5_SW_jjP12ihipStream_tbEUlT_E_NS1_11comp_targetILNS1_3genE2ELNS1_11target_archE906ELNS1_3gpuE6ELNS1_3repE0EEENS1_30default_config_static_selectorELNS0_4arch9wavefront6targetE0EEEvSK_
; %bb.0:
	.section	.rodata,"a",@progbits
	.p2align	6, 0x0
	.amdhsa_kernel _ZN7rocprim17ROCPRIM_400000_NS6detail17trampoline_kernelINS0_14default_configENS1_36segmented_radix_sort_config_selectorIflEEZNS1_25segmented_radix_sort_implIS3_Lb1EPKfPfPKlPlN2at6native12_GLOBAL__N_18offset_tEEE10hipError_tPvRmT1_PNSt15iterator_traitsISK_E10value_typeET2_T3_PNSL_ISQ_E10value_typeET4_jRbjT5_SW_jjP12ihipStream_tbEUlT_E_NS1_11comp_targetILNS1_3genE2ELNS1_11target_archE906ELNS1_3gpuE6ELNS1_3repE0EEENS1_30default_config_static_selectorELNS0_4arch9wavefront6targetE0EEEvSK_
		.amdhsa_group_segment_fixed_size 0
		.amdhsa_private_segment_fixed_size 0
		.amdhsa_kernarg_size 96
		.amdhsa_user_sgpr_count 15
		.amdhsa_user_sgpr_dispatch_ptr 0
		.amdhsa_user_sgpr_queue_ptr 0
		.amdhsa_user_sgpr_kernarg_segment_ptr 1
		.amdhsa_user_sgpr_dispatch_id 0
		.amdhsa_user_sgpr_private_segment_size 0
		.amdhsa_wavefront_size32 1
		.amdhsa_uses_dynamic_stack 0
		.amdhsa_enable_private_segment 0
		.amdhsa_system_sgpr_workgroup_id_x 1
		.amdhsa_system_sgpr_workgroup_id_y 0
		.amdhsa_system_sgpr_workgroup_id_z 0
		.amdhsa_system_sgpr_workgroup_info 0
		.amdhsa_system_vgpr_workitem_id 0
		.amdhsa_next_free_vgpr 1
		.amdhsa_next_free_sgpr 1
		.amdhsa_reserve_vcc 0
		.amdhsa_float_round_mode_32 0
		.amdhsa_float_round_mode_16_64 0
		.amdhsa_float_denorm_mode_32 3
		.amdhsa_float_denorm_mode_16_64 3
		.amdhsa_dx10_clamp 1
		.amdhsa_ieee_mode 1
		.amdhsa_fp16_overflow 0
		.amdhsa_workgroup_processor_mode 1
		.amdhsa_memory_ordered 1
		.amdhsa_forward_progress 0
		.amdhsa_shared_vgpr_count 0
		.amdhsa_exception_fp_ieee_invalid_op 0
		.amdhsa_exception_fp_denorm_src 0
		.amdhsa_exception_fp_ieee_div_zero 0
		.amdhsa_exception_fp_ieee_overflow 0
		.amdhsa_exception_fp_ieee_underflow 0
		.amdhsa_exception_fp_ieee_inexact 0
		.amdhsa_exception_int_div_zero 0
	.end_amdhsa_kernel
	.section	.text._ZN7rocprim17ROCPRIM_400000_NS6detail17trampoline_kernelINS0_14default_configENS1_36segmented_radix_sort_config_selectorIflEEZNS1_25segmented_radix_sort_implIS3_Lb1EPKfPfPKlPlN2at6native12_GLOBAL__N_18offset_tEEE10hipError_tPvRmT1_PNSt15iterator_traitsISK_E10value_typeET2_T3_PNSL_ISQ_E10value_typeET4_jRbjT5_SW_jjP12ihipStream_tbEUlT_E_NS1_11comp_targetILNS1_3genE2ELNS1_11target_archE906ELNS1_3gpuE6ELNS1_3repE0EEENS1_30default_config_static_selectorELNS0_4arch9wavefront6targetE0EEEvSK_,"axG",@progbits,_ZN7rocprim17ROCPRIM_400000_NS6detail17trampoline_kernelINS0_14default_configENS1_36segmented_radix_sort_config_selectorIflEEZNS1_25segmented_radix_sort_implIS3_Lb1EPKfPfPKlPlN2at6native12_GLOBAL__N_18offset_tEEE10hipError_tPvRmT1_PNSt15iterator_traitsISK_E10value_typeET2_T3_PNSL_ISQ_E10value_typeET4_jRbjT5_SW_jjP12ihipStream_tbEUlT_E_NS1_11comp_targetILNS1_3genE2ELNS1_11target_archE906ELNS1_3gpuE6ELNS1_3repE0EEENS1_30default_config_static_selectorELNS0_4arch9wavefront6targetE0EEEvSK_,comdat
.Lfunc_end1329:
	.size	_ZN7rocprim17ROCPRIM_400000_NS6detail17trampoline_kernelINS0_14default_configENS1_36segmented_radix_sort_config_selectorIflEEZNS1_25segmented_radix_sort_implIS3_Lb1EPKfPfPKlPlN2at6native12_GLOBAL__N_18offset_tEEE10hipError_tPvRmT1_PNSt15iterator_traitsISK_E10value_typeET2_T3_PNSL_ISQ_E10value_typeET4_jRbjT5_SW_jjP12ihipStream_tbEUlT_E_NS1_11comp_targetILNS1_3genE2ELNS1_11target_archE906ELNS1_3gpuE6ELNS1_3repE0EEENS1_30default_config_static_selectorELNS0_4arch9wavefront6targetE0EEEvSK_, .Lfunc_end1329-_ZN7rocprim17ROCPRIM_400000_NS6detail17trampoline_kernelINS0_14default_configENS1_36segmented_radix_sort_config_selectorIflEEZNS1_25segmented_radix_sort_implIS3_Lb1EPKfPfPKlPlN2at6native12_GLOBAL__N_18offset_tEEE10hipError_tPvRmT1_PNSt15iterator_traitsISK_E10value_typeET2_T3_PNSL_ISQ_E10value_typeET4_jRbjT5_SW_jjP12ihipStream_tbEUlT_E_NS1_11comp_targetILNS1_3genE2ELNS1_11target_archE906ELNS1_3gpuE6ELNS1_3repE0EEENS1_30default_config_static_selectorELNS0_4arch9wavefront6targetE0EEEvSK_
                                        ; -- End function
	.section	.AMDGPU.csdata,"",@progbits
; Kernel info:
; codeLenInByte = 0
; NumSgprs: 0
; NumVgprs: 0
; ScratchSize: 0
; MemoryBound: 0
; FloatMode: 240
; IeeeMode: 1
; LDSByteSize: 0 bytes/workgroup (compile time only)
; SGPRBlocks: 0
; VGPRBlocks: 0
; NumSGPRsForWavesPerEU: 1
; NumVGPRsForWavesPerEU: 1
; Occupancy: 16
; WaveLimiterHint : 0
; COMPUTE_PGM_RSRC2:SCRATCH_EN: 0
; COMPUTE_PGM_RSRC2:USER_SGPR: 15
; COMPUTE_PGM_RSRC2:TRAP_HANDLER: 0
; COMPUTE_PGM_RSRC2:TGID_X_EN: 1
; COMPUTE_PGM_RSRC2:TGID_Y_EN: 0
; COMPUTE_PGM_RSRC2:TGID_Z_EN: 0
; COMPUTE_PGM_RSRC2:TIDIG_COMP_CNT: 0
	.section	.text._ZN7rocprim17ROCPRIM_400000_NS6detail17trampoline_kernelINS0_14default_configENS1_36segmented_radix_sort_config_selectorIflEEZNS1_25segmented_radix_sort_implIS3_Lb1EPKfPfPKlPlN2at6native12_GLOBAL__N_18offset_tEEE10hipError_tPvRmT1_PNSt15iterator_traitsISK_E10value_typeET2_T3_PNSL_ISQ_E10value_typeET4_jRbjT5_SW_jjP12ihipStream_tbEUlT_E_NS1_11comp_targetILNS1_3genE10ELNS1_11target_archE1201ELNS1_3gpuE5ELNS1_3repE0EEENS1_30default_config_static_selectorELNS0_4arch9wavefront6targetE0EEEvSK_,"axG",@progbits,_ZN7rocprim17ROCPRIM_400000_NS6detail17trampoline_kernelINS0_14default_configENS1_36segmented_radix_sort_config_selectorIflEEZNS1_25segmented_radix_sort_implIS3_Lb1EPKfPfPKlPlN2at6native12_GLOBAL__N_18offset_tEEE10hipError_tPvRmT1_PNSt15iterator_traitsISK_E10value_typeET2_T3_PNSL_ISQ_E10value_typeET4_jRbjT5_SW_jjP12ihipStream_tbEUlT_E_NS1_11comp_targetILNS1_3genE10ELNS1_11target_archE1201ELNS1_3gpuE5ELNS1_3repE0EEENS1_30default_config_static_selectorELNS0_4arch9wavefront6targetE0EEEvSK_,comdat
	.globl	_ZN7rocprim17ROCPRIM_400000_NS6detail17trampoline_kernelINS0_14default_configENS1_36segmented_radix_sort_config_selectorIflEEZNS1_25segmented_radix_sort_implIS3_Lb1EPKfPfPKlPlN2at6native12_GLOBAL__N_18offset_tEEE10hipError_tPvRmT1_PNSt15iterator_traitsISK_E10value_typeET2_T3_PNSL_ISQ_E10value_typeET4_jRbjT5_SW_jjP12ihipStream_tbEUlT_E_NS1_11comp_targetILNS1_3genE10ELNS1_11target_archE1201ELNS1_3gpuE5ELNS1_3repE0EEENS1_30default_config_static_selectorELNS0_4arch9wavefront6targetE0EEEvSK_ ; -- Begin function _ZN7rocprim17ROCPRIM_400000_NS6detail17trampoline_kernelINS0_14default_configENS1_36segmented_radix_sort_config_selectorIflEEZNS1_25segmented_radix_sort_implIS3_Lb1EPKfPfPKlPlN2at6native12_GLOBAL__N_18offset_tEEE10hipError_tPvRmT1_PNSt15iterator_traitsISK_E10value_typeET2_T3_PNSL_ISQ_E10value_typeET4_jRbjT5_SW_jjP12ihipStream_tbEUlT_E_NS1_11comp_targetILNS1_3genE10ELNS1_11target_archE1201ELNS1_3gpuE5ELNS1_3repE0EEENS1_30default_config_static_selectorELNS0_4arch9wavefront6targetE0EEEvSK_
	.p2align	8
	.type	_ZN7rocprim17ROCPRIM_400000_NS6detail17trampoline_kernelINS0_14default_configENS1_36segmented_radix_sort_config_selectorIflEEZNS1_25segmented_radix_sort_implIS3_Lb1EPKfPfPKlPlN2at6native12_GLOBAL__N_18offset_tEEE10hipError_tPvRmT1_PNSt15iterator_traitsISK_E10value_typeET2_T3_PNSL_ISQ_E10value_typeET4_jRbjT5_SW_jjP12ihipStream_tbEUlT_E_NS1_11comp_targetILNS1_3genE10ELNS1_11target_archE1201ELNS1_3gpuE5ELNS1_3repE0EEENS1_30default_config_static_selectorELNS0_4arch9wavefront6targetE0EEEvSK_,@function
_ZN7rocprim17ROCPRIM_400000_NS6detail17trampoline_kernelINS0_14default_configENS1_36segmented_radix_sort_config_selectorIflEEZNS1_25segmented_radix_sort_implIS3_Lb1EPKfPfPKlPlN2at6native12_GLOBAL__N_18offset_tEEE10hipError_tPvRmT1_PNSt15iterator_traitsISK_E10value_typeET2_T3_PNSL_ISQ_E10value_typeET4_jRbjT5_SW_jjP12ihipStream_tbEUlT_E_NS1_11comp_targetILNS1_3genE10ELNS1_11target_archE1201ELNS1_3gpuE5ELNS1_3repE0EEENS1_30default_config_static_selectorELNS0_4arch9wavefront6targetE0EEEvSK_: ; @_ZN7rocprim17ROCPRIM_400000_NS6detail17trampoline_kernelINS0_14default_configENS1_36segmented_radix_sort_config_selectorIflEEZNS1_25segmented_radix_sort_implIS3_Lb1EPKfPfPKlPlN2at6native12_GLOBAL__N_18offset_tEEE10hipError_tPvRmT1_PNSt15iterator_traitsISK_E10value_typeET2_T3_PNSL_ISQ_E10value_typeET4_jRbjT5_SW_jjP12ihipStream_tbEUlT_E_NS1_11comp_targetILNS1_3genE10ELNS1_11target_archE1201ELNS1_3gpuE5ELNS1_3repE0EEENS1_30default_config_static_selectorELNS0_4arch9wavefront6targetE0EEEvSK_
; %bb.0:
	.section	.rodata,"a",@progbits
	.p2align	6, 0x0
	.amdhsa_kernel _ZN7rocprim17ROCPRIM_400000_NS6detail17trampoline_kernelINS0_14default_configENS1_36segmented_radix_sort_config_selectorIflEEZNS1_25segmented_radix_sort_implIS3_Lb1EPKfPfPKlPlN2at6native12_GLOBAL__N_18offset_tEEE10hipError_tPvRmT1_PNSt15iterator_traitsISK_E10value_typeET2_T3_PNSL_ISQ_E10value_typeET4_jRbjT5_SW_jjP12ihipStream_tbEUlT_E_NS1_11comp_targetILNS1_3genE10ELNS1_11target_archE1201ELNS1_3gpuE5ELNS1_3repE0EEENS1_30default_config_static_selectorELNS0_4arch9wavefront6targetE0EEEvSK_
		.amdhsa_group_segment_fixed_size 0
		.amdhsa_private_segment_fixed_size 0
		.amdhsa_kernarg_size 96
		.amdhsa_user_sgpr_count 15
		.amdhsa_user_sgpr_dispatch_ptr 0
		.amdhsa_user_sgpr_queue_ptr 0
		.amdhsa_user_sgpr_kernarg_segment_ptr 1
		.amdhsa_user_sgpr_dispatch_id 0
		.amdhsa_user_sgpr_private_segment_size 0
		.amdhsa_wavefront_size32 1
		.amdhsa_uses_dynamic_stack 0
		.amdhsa_enable_private_segment 0
		.amdhsa_system_sgpr_workgroup_id_x 1
		.amdhsa_system_sgpr_workgroup_id_y 0
		.amdhsa_system_sgpr_workgroup_id_z 0
		.amdhsa_system_sgpr_workgroup_info 0
		.amdhsa_system_vgpr_workitem_id 0
		.amdhsa_next_free_vgpr 1
		.amdhsa_next_free_sgpr 1
		.amdhsa_reserve_vcc 0
		.amdhsa_float_round_mode_32 0
		.amdhsa_float_round_mode_16_64 0
		.amdhsa_float_denorm_mode_32 3
		.amdhsa_float_denorm_mode_16_64 3
		.amdhsa_dx10_clamp 1
		.amdhsa_ieee_mode 1
		.amdhsa_fp16_overflow 0
		.amdhsa_workgroup_processor_mode 1
		.amdhsa_memory_ordered 1
		.amdhsa_forward_progress 0
		.amdhsa_shared_vgpr_count 0
		.amdhsa_exception_fp_ieee_invalid_op 0
		.amdhsa_exception_fp_denorm_src 0
		.amdhsa_exception_fp_ieee_div_zero 0
		.amdhsa_exception_fp_ieee_overflow 0
		.amdhsa_exception_fp_ieee_underflow 0
		.amdhsa_exception_fp_ieee_inexact 0
		.amdhsa_exception_int_div_zero 0
	.end_amdhsa_kernel
	.section	.text._ZN7rocprim17ROCPRIM_400000_NS6detail17trampoline_kernelINS0_14default_configENS1_36segmented_radix_sort_config_selectorIflEEZNS1_25segmented_radix_sort_implIS3_Lb1EPKfPfPKlPlN2at6native12_GLOBAL__N_18offset_tEEE10hipError_tPvRmT1_PNSt15iterator_traitsISK_E10value_typeET2_T3_PNSL_ISQ_E10value_typeET4_jRbjT5_SW_jjP12ihipStream_tbEUlT_E_NS1_11comp_targetILNS1_3genE10ELNS1_11target_archE1201ELNS1_3gpuE5ELNS1_3repE0EEENS1_30default_config_static_selectorELNS0_4arch9wavefront6targetE0EEEvSK_,"axG",@progbits,_ZN7rocprim17ROCPRIM_400000_NS6detail17trampoline_kernelINS0_14default_configENS1_36segmented_radix_sort_config_selectorIflEEZNS1_25segmented_radix_sort_implIS3_Lb1EPKfPfPKlPlN2at6native12_GLOBAL__N_18offset_tEEE10hipError_tPvRmT1_PNSt15iterator_traitsISK_E10value_typeET2_T3_PNSL_ISQ_E10value_typeET4_jRbjT5_SW_jjP12ihipStream_tbEUlT_E_NS1_11comp_targetILNS1_3genE10ELNS1_11target_archE1201ELNS1_3gpuE5ELNS1_3repE0EEENS1_30default_config_static_selectorELNS0_4arch9wavefront6targetE0EEEvSK_,comdat
.Lfunc_end1330:
	.size	_ZN7rocprim17ROCPRIM_400000_NS6detail17trampoline_kernelINS0_14default_configENS1_36segmented_radix_sort_config_selectorIflEEZNS1_25segmented_radix_sort_implIS3_Lb1EPKfPfPKlPlN2at6native12_GLOBAL__N_18offset_tEEE10hipError_tPvRmT1_PNSt15iterator_traitsISK_E10value_typeET2_T3_PNSL_ISQ_E10value_typeET4_jRbjT5_SW_jjP12ihipStream_tbEUlT_E_NS1_11comp_targetILNS1_3genE10ELNS1_11target_archE1201ELNS1_3gpuE5ELNS1_3repE0EEENS1_30default_config_static_selectorELNS0_4arch9wavefront6targetE0EEEvSK_, .Lfunc_end1330-_ZN7rocprim17ROCPRIM_400000_NS6detail17trampoline_kernelINS0_14default_configENS1_36segmented_radix_sort_config_selectorIflEEZNS1_25segmented_radix_sort_implIS3_Lb1EPKfPfPKlPlN2at6native12_GLOBAL__N_18offset_tEEE10hipError_tPvRmT1_PNSt15iterator_traitsISK_E10value_typeET2_T3_PNSL_ISQ_E10value_typeET4_jRbjT5_SW_jjP12ihipStream_tbEUlT_E_NS1_11comp_targetILNS1_3genE10ELNS1_11target_archE1201ELNS1_3gpuE5ELNS1_3repE0EEENS1_30default_config_static_selectorELNS0_4arch9wavefront6targetE0EEEvSK_
                                        ; -- End function
	.section	.AMDGPU.csdata,"",@progbits
; Kernel info:
; codeLenInByte = 0
; NumSgprs: 0
; NumVgprs: 0
; ScratchSize: 0
; MemoryBound: 0
; FloatMode: 240
; IeeeMode: 1
; LDSByteSize: 0 bytes/workgroup (compile time only)
; SGPRBlocks: 0
; VGPRBlocks: 0
; NumSGPRsForWavesPerEU: 1
; NumVGPRsForWavesPerEU: 1
; Occupancy: 16
; WaveLimiterHint : 0
; COMPUTE_PGM_RSRC2:SCRATCH_EN: 0
; COMPUTE_PGM_RSRC2:USER_SGPR: 15
; COMPUTE_PGM_RSRC2:TRAP_HANDLER: 0
; COMPUTE_PGM_RSRC2:TGID_X_EN: 1
; COMPUTE_PGM_RSRC2:TGID_Y_EN: 0
; COMPUTE_PGM_RSRC2:TGID_Z_EN: 0
; COMPUTE_PGM_RSRC2:TIDIG_COMP_CNT: 0
	.section	.text._ZN7rocprim17ROCPRIM_400000_NS6detail17trampoline_kernelINS0_14default_configENS1_36segmented_radix_sort_config_selectorIflEEZNS1_25segmented_radix_sort_implIS3_Lb1EPKfPfPKlPlN2at6native12_GLOBAL__N_18offset_tEEE10hipError_tPvRmT1_PNSt15iterator_traitsISK_E10value_typeET2_T3_PNSL_ISQ_E10value_typeET4_jRbjT5_SW_jjP12ihipStream_tbEUlT_E_NS1_11comp_targetILNS1_3genE10ELNS1_11target_archE1200ELNS1_3gpuE4ELNS1_3repE0EEENS1_30default_config_static_selectorELNS0_4arch9wavefront6targetE0EEEvSK_,"axG",@progbits,_ZN7rocprim17ROCPRIM_400000_NS6detail17trampoline_kernelINS0_14default_configENS1_36segmented_radix_sort_config_selectorIflEEZNS1_25segmented_radix_sort_implIS3_Lb1EPKfPfPKlPlN2at6native12_GLOBAL__N_18offset_tEEE10hipError_tPvRmT1_PNSt15iterator_traitsISK_E10value_typeET2_T3_PNSL_ISQ_E10value_typeET4_jRbjT5_SW_jjP12ihipStream_tbEUlT_E_NS1_11comp_targetILNS1_3genE10ELNS1_11target_archE1200ELNS1_3gpuE4ELNS1_3repE0EEENS1_30default_config_static_selectorELNS0_4arch9wavefront6targetE0EEEvSK_,comdat
	.globl	_ZN7rocprim17ROCPRIM_400000_NS6detail17trampoline_kernelINS0_14default_configENS1_36segmented_radix_sort_config_selectorIflEEZNS1_25segmented_radix_sort_implIS3_Lb1EPKfPfPKlPlN2at6native12_GLOBAL__N_18offset_tEEE10hipError_tPvRmT1_PNSt15iterator_traitsISK_E10value_typeET2_T3_PNSL_ISQ_E10value_typeET4_jRbjT5_SW_jjP12ihipStream_tbEUlT_E_NS1_11comp_targetILNS1_3genE10ELNS1_11target_archE1200ELNS1_3gpuE4ELNS1_3repE0EEENS1_30default_config_static_selectorELNS0_4arch9wavefront6targetE0EEEvSK_ ; -- Begin function _ZN7rocprim17ROCPRIM_400000_NS6detail17trampoline_kernelINS0_14default_configENS1_36segmented_radix_sort_config_selectorIflEEZNS1_25segmented_radix_sort_implIS3_Lb1EPKfPfPKlPlN2at6native12_GLOBAL__N_18offset_tEEE10hipError_tPvRmT1_PNSt15iterator_traitsISK_E10value_typeET2_T3_PNSL_ISQ_E10value_typeET4_jRbjT5_SW_jjP12ihipStream_tbEUlT_E_NS1_11comp_targetILNS1_3genE10ELNS1_11target_archE1200ELNS1_3gpuE4ELNS1_3repE0EEENS1_30default_config_static_selectorELNS0_4arch9wavefront6targetE0EEEvSK_
	.p2align	8
	.type	_ZN7rocprim17ROCPRIM_400000_NS6detail17trampoline_kernelINS0_14default_configENS1_36segmented_radix_sort_config_selectorIflEEZNS1_25segmented_radix_sort_implIS3_Lb1EPKfPfPKlPlN2at6native12_GLOBAL__N_18offset_tEEE10hipError_tPvRmT1_PNSt15iterator_traitsISK_E10value_typeET2_T3_PNSL_ISQ_E10value_typeET4_jRbjT5_SW_jjP12ihipStream_tbEUlT_E_NS1_11comp_targetILNS1_3genE10ELNS1_11target_archE1200ELNS1_3gpuE4ELNS1_3repE0EEENS1_30default_config_static_selectorELNS0_4arch9wavefront6targetE0EEEvSK_,@function
_ZN7rocprim17ROCPRIM_400000_NS6detail17trampoline_kernelINS0_14default_configENS1_36segmented_radix_sort_config_selectorIflEEZNS1_25segmented_radix_sort_implIS3_Lb1EPKfPfPKlPlN2at6native12_GLOBAL__N_18offset_tEEE10hipError_tPvRmT1_PNSt15iterator_traitsISK_E10value_typeET2_T3_PNSL_ISQ_E10value_typeET4_jRbjT5_SW_jjP12ihipStream_tbEUlT_E_NS1_11comp_targetILNS1_3genE10ELNS1_11target_archE1200ELNS1_3gpuE4ELNS1_3repE0EEENS1_30default_config_static_selectorELNS0_4arch9wavefront6targetE0EEEvSK_: ; @_ZN7rocprim17ROCPRIM_400000_NS6detail17trampoline_kernelINS0_14default_configENS1_36segmented_radix_sort_config_selectorIflEEZNS1_25segmented_radix_sort_implIS3_Lb1EPKfPfPKlPlN2at6native12_GLOBAL__N_18offset_tEEE10hipError_tPvRmT1_PNSt15iterator_traitsISK_E10value_typeET2_T3_PNSL_ISQ_E10value_typeET4_jRbjT5_SW_jjP12ihipStream_tbEUlT_E_NS1_11comp_targetILNS1_3genE10ELNS1_11target_archE1200ELNS1_3gpuE4ELNS1_3repE0EEENS1_30default_config_static_selectorELNS0_4arch9wavefront6targetE0EEEvSK_
; %bb.0:
	.section	.rodata,"a",@progbits
	.p2align	6, 0x0
	.amdhsa_kernel _ZN7rocprim17ROCPRIM_400000_NS6detail17trampoline_kernelINS0_14default_configENS1_36segmented_radix_sort_config_selectorIflEEZNS1_25segmented_radix_sort_implIS3_Lb1EPKfPfPKlPlN2at6native12_GLOBAL__N_18offset_tEEE10hipError_tPvRmT1_PNSt15iterator_traitsISK_E10value_typeET2_T3_PNSL_ISQ_E10value_typeET4_jRbjT5_SW_jjP12ihipStream_tbEUlT_E_NS1_11comp_targetILNS1_3genE10ELNS1_11target_archE1200ELNS1_3gpuE4ELNS1_3repE0EEENS1_30default_config_static_selectorELNS0_4arch9wavefront6targetE0EEEvSK_
		.amdhsa_group_segment_fixed_size 0
		.amdhsa_private_segment_fixed_size 0
		.amdhsa_kernarg_size 96
		.amdhsa_user_sgpr_count 15
		.amdhsa_user_sgpr_dispatch_ptr 0
		.amdhsa_user_sgpr_queue_ptr 0
		.amdhsa_user_sgpr_kernarg_segment_ptr 1
		.amdhsa_user_sgpr_dispatch_id 0
		.amdhsa_user_sgpr_private_segment_size 0
		.amdhsa_wavefront_size32 1
		.amdhsa_uses_dynamic_stack 0
		.amdhsa_enable_private_segment 0
		.amdhsa_system_sgpr_workgroup_id_x 1
		.amdhsa_system_sgpr_workgroup_id_y 0
		.amdhsa_system_sgpr_workgroup_id_z 0
		.amdhsa_system_sgpr_workgroup_info 0
		.amdhsa_system_vgpr_workitem_id 0
		.amdhsa_next_free_vgpr 1
		.amdhsa_next_free_sgpr 1
		.amdhsa_reserve_vcc 0
		.amdhsa_float_round_mode_32 0
		.amdhsa_float_round_mode_16_64 0
		.amdhsa_float_denorm_mode_32 3
		.amdhsa_float_denorm_mode_16_64 3
		.amdhsa_dx10_clamp 1
		.amdhsa_ieee_mode 1
		.amdhsa_fp16_overflow 0
		.amdhsa_workgroup_processor_mode 1
		.amdhsa_memory_ordered 1
		.amdhsa_forward_progress 0
		.amdhsa_shared_vgpr_count 0
		.amdhsa_exception_fp_ieee_invalid_op 0
		.amdhsa_exception_fp_denorm_src 0
		.amdhsa_exception_fp_ieee_div_zero 0
		.amdhsa_exception_fp_ieee_overflow 0
		.amdhsa_exception_fp_ieee_underflow 0
		.amdhsa_exception_fp_ieee_inexact 0
		.amdhsa_exception_int_div_zero 0
	.end_amdhsa_kernel
	.section	.text._ZN7rocprim17ROCPRIM_400000_NS6detail17trampoline_kernelINS0_14default_configENS1_36segmented_radix_sort_config_selectorIflEEZNS1_25segmented_radix_sort_implIS3_Lb1EPKfPfPKlPlN2at6native12_GLOBAL__N_18offset_tEEE10hipError_tPvRmT1_PNSt15iterator_traitsISK_E10value_typeET2_T3_PNSL_ISQ_E10value_typeET4_jRbjT5_SW_jjP12ihipStream_tbEUlT_E_NS1_11comp_targetILNS1_3genE10ELNS1_11target_archE1200ELNS1_3gpuE4ELNS1_3repE0EEENS1_30default_config_static_selectorELNS0_4arch9wavefront6targetE0EEEvSK_,"axG",@progbits,_ZN7rocprim17ROCPRIM_400000_NS6detail17trampoline_kernelINS0_14default_configENS1_36segmented_radix_sort_config_selectorIflEEZNS1_25segmented_radix_sort_implIS3_Lb1EPKfPfPKlPlN2at6native12_GLOBAL__N_18offset_tEEE10hipError_tPvRmT1_PNSt15iterator_traitsISK_E10value_typeET2_T3_PNSL_ISQ_E10value_typeET4_jRbjT5_SW_jjP12ihipStream_tbEUlT_E_NS1_11comp_targetILNS1_3genE10ELNS1_11target_archE1200ELNS1_3gpuE4ELNS1_3repE0EEENS1_30default_config_static_selectorELNS0_4arch9wavefront6targetE0EEEvSK_,comdat
.Lfunc_end1331:
	.size	_ZN7rocprim17ROCPRIM_400000_NS6detail17trampoline_kernelINS0_14default_configENS1_36segmented_radix_sort_config_selectorIflEEZNS1_25segmented_radix_sort_implIS3_Lb1EPKfPfPKlPlN2at6native12_GLOBAL__N_18offset_tEEE10hipError_tPvRmT1_PNSt15iterator_traitsISK_E10value_typeET2_T3_PNSL_ISQ_E10value_typeET4_jRbjT5_SW_jjP12ihipStream_tbEUlT_E_NS1_11comp_targetILNS1_3genE10ELNS1_11target_archE1200ELNS1_3gpuE4ELNS1_3repE0EEENS1_30default_config_static_selectorELNS0_4arch9wavefront6targetE0EEEvSK_, .Lfunc_end1331-_ZN7rocprim17ROCPRIM_400000_NS6detail17trampoline_kernelINS0_14default_configENS1_36segmented_radix_sort_config_selectorIflEEZNS1_25segmented_radix_sort_implIS3_Lb1EPKfPfPKlPlN2at6native12_GLOBAL__N_18offset_tEEE10hipError_tPvRmT1_PNSt15iterator_traitsISK_E10value_typeET2_T3_PNSL_ISQ_E10value_typeET4_jRbjT5_SW_jjP12ihipStream_tbEUlT_E_NS1_11comp_targetILNS1_3genE10ELNS1_11target_archE1200ELNS1_3gpuE4ELNS1_3repE0EEENS1_30default_config_static_selectorELNS0_4arch9wavefront6targetE0EEEvSK_
                                        ; -- End function
	.section	.AMDGPU.csdata,"",@progbits
; Kernel info:
; codeLenInByte = 0
; NumSgprs: 0
; NumVgprs: 0
; ScratchSize: 0
; MemoryBound: 0
; FloatMode: 240
; IeeeMode: 1
; LDSByteSize: 0 bytes/workgroup (compile time only)
; SGPRBlocks: 0
; VGPRBlocks: 0
; NumSGPRsForWavesPerEU: 1
; NumVGPRsForWavesPerEU: 1
; Occupancy: 16
; WaveLimiterHint : 0
; COMPUTE_PGM_RSRC2:SCRATCH_EN: 0
; COMPUTE_PGM_RSRC2:USER_SGPR: 15
; COMPUTE_PGM_RSRC2:TRAP_HANDLER: 0
; COMPUTE_PGM_RSRC2:TGID_X_EN: 1
; COMPUTE_PGM_RSRC2:TGID_Y_EN: 0
; COMPUTE_PGM_RSRC2:TGID_Z_EN: 0
; COMPUTE_PGM_RSRC2:TIDIG_COMP_CNT: 0
	.text
	.p2align	2                               ; -- Begin function _ZN7rocprim17ROCPRIM_400000_NS6detail40segmented_radix_sort_single_block_helperIflLj256ELj8ELb1EE4sortIPKfPfPKlPlEEbT_T0_T1_T2_jjjjRNS3_12storage_typeE
	.type	_ZN7rocprim17ROCPRIM_400000_NS6detail40segmented_radix_sort_single_block_helperIflLj256ELj8ELb1EE4sortIPKfPfPKlPlEEbT_T0_T1_T2_jjjjRNS3_12storage_typeE,@function
_ZN7rocprim17ROCPRIM_400000_NS6detail40segmented_radix_sort_single_block_helperIflLj256ELj8ELb1EE4sortIPKfPfPKlPlEEbT_T0_T1_T2_jjjjRNS3_12storage_typeE: ; @_ZN7rocprim17ROCPRIM_400000_NS6detail40segmented_radix_sort_single_block_helperIflLj256ELj8ELb1EE4sortIPKfPfPKlPlEEbT_T0_T1_T2_jjjjRNS3_12storage_typeE
; %bb.0:
	s_waitcnt vmcnt(0) expcnt(0) lgkmcnt(0)
	s_or_saveexec_b32 s0, -1
	scratch_store_b32 off, v40, s32         ; 4-byte Folded Spill
	s_mov_b32 exec_lo, s0
	v_writelane_b32 v40, s36, 0
	v_writelane_b32 v40, s37, 1
	;; [unrolled: 1-line block ×8, first 2 shown]
	v_sub_nc_u32_e32 v39, v9, v8
	s_mov_b32 s24, exec_lo
	s_delay_alu instid0(VALU_DEP_1)
	v_cmpx_gt_u32_e32 0x801, v39
	s_cbranch_execz .LBB1332_199
; %bb.1:
	v_bfe_u32 v14, v31, 10, 10
	v_bfe_u32 v15, v31, 20, 10
	v_and_b32_e32 v26, 0x3ff, v31
	v_mbcnt_lo_u32_b32 v37, -1, 0
	s_mov_b32 s0, exec_lo
	v_cmpx_lt_u32_e32 0x400, v39
	s_xor_b32 s19, exec_lo, s0
	s_cbranch_execz .LBB1332_79
; %bb.2:
	s_load_b64 s[0:1], s[8:9], 0x0
	v_mov_b32_e32 v9, 0
	s_mov_b32 s36, -1
	s_delay_alu instid0(SALU_CYCLE_1)
	s_mov_b32 s37, s36
	s_mov_b32 s38, s36
	;; [unrolled: 1-line block ×7, first 2 shown]
	s_waitcnt lgkmcnt(0)
	s_cmp_lt_u32 s13, s1
	s_cselect_b32 s1, 14, 20
	s_delay_alu instid0(SALU_CYCLE_1) | instskip(SKIP_4) | instid1(SALU_CYCLE_1)
	s_add_u32 s2, s8, s1
	s_addc_u32 s3, s9, 0
	s_cmp_lt_u32 s12, s0
	global_load_u16 v16, v9, s[2:3]
	s_cselect_b32 s0, 12, 18
	s_add_u32 s0, s8, s0
	s_addc_u32 s1, s9, 0
	global_load_u16 v17, v9, s[0:1]
	s_waitcnt vmcnt(1)
	v_mad_u32_u24 v14, v15, v16, v14
	s_waitcnt vmcnt(0)
	s_delay_alu instid0(VALU_DEP_1) | instskip(SKIP_2) | instid1(VALU_DEP_3)
	v_mad_u64_u32 v[27:28], null, v14, v17, v[26:27]
	v_lshlrev_b32_e32 v14, 2, v37
	v_lshlrev_b64 v[29:30], 2, v[8:9]
	v_lshlrev_b32_e32 v15, 3, v27
	s_delay_alu instid0(VALU_DEP_1) | instskip(NEXT) | instid1(VALU_DEP_3)
	v_dual_mov_b32 v23, v9 :: v_dual_and_b32 v22, 0xffffff00, v15
	v_add_co_u32 v15, vcc_lo, v0, v29
	s_delay_alu instid0(VALU_DEP_4) | instskip(NEXT) | instid1(VALU_DEP_3)
	v_add_co_ci_u32_e32 v16, vcc_lo, v1, v30, vcc_lo
	v_lshlrev_b64 v[0:1], 2, v[22:23]
	s_delay_alu instid0(VALU_DEP_3) | instskip(NEXT) | instid1(VALU_DEP_3)
	v_add_co_u32 v14, vcc_lo, v15, v14
	v_add_co_ci_u32_e32 v15, vcc_lo, 0, v16, vcc_lo
	v_or_b32_e32 v24, v22, v37
	s_delay_alu instid0(VALU_DEP_3) | instskip(NEXT) | instid1(VALU_DEP_1)
	v_add_co_u32 v0, s0, v14, v0
	v_add_co_ci_u32_e64 v1, s0, v15, v1, s0
	v_dual_mov_b32 v14, s36 :: v_dual_mov_b32 v15, s37
	s_delay_alu instid0(VALU_DEP_4)
	v_cmp_lt_u32_e32 vcc_lo, v24, v39
	v_dual_mov_b32 v16, s38 :: v_dual_mov_b32 v17, s39
	v_dual_mov_b32 v18, s40 :: v_dual_mov_b32 v19, s41
	v_dual_mov_b32 v20, s42 :: v_dual_mov_b32 v21, s43
	s_and_saveexec_b32 s0, vcc_lo
	s_cbranch_execz .LBB1332_4
; %bb.3:
	flat_load_b32 v14, v[0:1]
	v_mov_b32_e32 v15, -1
	s_delay_alu instid0(VALU_DEP_1)
	v_mov_b32_e32 v16, v15
	v_mov_b32_e32 v17, v15
	;; [unrolled: 1-line block ×6, first 2 shown]
.LBB1332_4:
	s_or_b32 exec_lo, exec_lo, s0
	v_or_b32_e32 v25, 32, v24
	s_delay_alu instid0(VALU_DEP_1) | instskip(NEXT) | instid1(VALU_DEP_1)
	v_cmp_lt_u32_e64 s0, v25, v39
	s_and_saveexec_b32 s1, s0
	s_cbranch_execz .LBB1332_6
; %bb.5:
	flat_load_b32 v15, v[0:1] offset:128
.LBB1332_6:
	s_or_b32 exec_lo, exec_lo, s1
	v_or_b32_e32 v25, 64, v24
	s_delay_alu instid0(VALU_DEP_1) | instskip(NEXT) | instid1(VALU_DEP_1)
	v_cmp_lt_u32_e64 s1, v25, v39
	s_and_saveexec_b32 s2, s1
	s_cbranch_execz .LBB1332_8
; %bb.7:
	flat_load_b32 v16, v[0:1] offset:256
.LBB1332_8:
	;; [unrolled: 9-line block ×7, first 2 shown]
	s_or_b32 exec_lo, exec_lo, s7
	v_lshlrev_b64 v[0:1], 3, v[8:9]
	v_lshlrev_b32_e32 v8, 3, v37
	s_delay_alu instid0(VALU_DEP_2) | instskip(NEXT) | instid1(VALU_DEP_1)
	v_add_co_u32 v9, s7, v4, v0
	v_add_co_ci_u32_e64 v24, s7, v5, v1, s7
	v_lshlrev_b64 v[4:5], 3, v[22:23]
	s_delay_alu instid0(VALU_DEP_3) | instskip(NEXT) | instid1(VALU_DEP_1)
	v_add_co_u32 v8, s7, v9, v8
	v_add_co_ci_u32_e64 v9, s7, 0, v24, s7
                                        ; implicit-def: $vgpr22_vgpr23
	s_delay_alu instid0(VALU_DEP_2) | instskip(NEXT) | instid1(VALU_DEP_1)
	v_add_co_u32 v4, s7, v8, v4
	v_add_co_ci_u32_e64 v5, s7, v9, v5, s7
	s_and_saveexec_b32 s7, vcc_lo
	s_cbranch_execnz .LBB1332_112
; %bb.19:
	s_or_b32 exec_lo, exec_lo, s7
                                        ; implicit-def: $vgpr24_vgpr25
	s_and_saveexec_b32 s7, s0
	s_cbranch_execnz .LBB1332_113
.LBB1332_20:
	s_or_b32 exec_lo, exec_lo, s7
                                        ; implicit-def: $vgpr84_vgpr85
	s_and_saveexec_b32 s0, s1
	s_cbranch_execnz .LBB1332_114
.LBB1332_21:
	s_or_b32 exec_lo, exec_lo, s0
                                        ; implicit-def: $vgpr86_vgpr87
	s_and_saveexec_b32 s0, s2
	s_cbranch_execnz .LBB1332_115
.LBB1332_22:
	s_or_b32 exec_lo, exec_lo, s0
                                        ; implicit-def: $vgpr96_vgpr97
	s_and_saveexec_b32 s0, s3
	s_cbranch_execnz .LBB1332_116
.LBB1332_23:
	s_or_b32 exec_lo, exec_lo, s0
                                        ; implicit-def: $vgpr98_vgpr99
	s_and_saveexec_b32 s0, s4
	s_cbranch_execnz .LBB1332_117
.LBB1332_24:
	s_or_b32 exec_lo, exec_lo, s0
                                        ; implicit-def: $vgpr100_vgpr101
	s_and_saveexec_b32 s0, s5
	s_cbranch_execnz .LBB1332_118
.LBB1332_25:
	s_or_b32 exec_lo, exec_lo, s0
                                        ; implicit-def: $vgpr102_vgpr103
	s_and_saveexec_b32 s0, s6
	s_cbranch_execz .LBB1332_27
.LBB1332_26:
	flat_load_b64 v[102:103], v[4:5] offset:1792
.LBB1332_27:
	s_or_b32 exec_lo, exec_lo, s0
	s_waitcnt vmcnt(0) lgkmcnt(0)
	v_cmp_gt_i32_e32 vcc_lo, 0, v14
	s_mov_b32 s20, 0
	s_getpc_b64 s[0:1]
	s_add_u32 s0, s0, _ZN7rocprim17ROCPRIM_400000_NS16block_radix_sortIfLj256ELj8ElLj1ELj1ELj8ELNS0_26block_radix_rank_algorithmE2ELNS0_18block_padding_hintE2ELNS0_4arch9wavefront6targetE0EE19radix_bits_per_passE@rel32@lo+4
	s_addc_u32 s1, s1, _ZN7rocprim17ROCPRIM_400000_NS16block_radix_sortIfLj256ELj8ElLj1ELj1ELj8ELNS0_26block_radix_rank_algorithmE2ELNS0_18block_padding_hintE2ELNS0_4arch9wavefront6targetE0EE19radix_bits_per_passE@rel32@hi+12
	s_mov_b32 s21, s20
	s_mov_b32 s22, s20
	v_cndmask_b32_e64 v4, 0x7fffffff, 0, vcc_lo
	v_cmp_gt_i32_e32 vcc_lo, 0, v15
	s_mov_b32 s23, s20
	s_load_b32 s25, s[0:1], 0x0
	v_lshlrev_b32_e32 v28, 2, v26
	v_xor_b32_e32 v196, v4, v14
	v_cndmask_b32_e64 v5, 0x7fffffff, 0, vcc_lo
	v_cmp_gt_i32_e32 vcc_lo, 0, v16
	v_lshlrev_b32_e32 v14, 3, v26
	v_cmp_eq_u32_e64 s7, 0, v37
	v_lshrrev_b32_e32 v166, 5, v27
	v_xor_b32_e32 v193, v5, v15
	v_cndmask_b32_e64 v8, 0x7fffffff, 0, vcc_lo
	v_cmp_gt_i32_e32 vcc_lo, 0, v17
	v_and_b32_e32 v15, 15, v37
	v_and_or_b32 v14, 0x1f00, v14, v37
	v_cmp_gt_u32_e64 s5, 8, v26
	v_xor_b32_e32 v194, v8, v16
	v_cndmask_b32_e64 v9, 0x7fffffff, 0, vcc_lo
	v_cmp_gt_i32_e32 vcc_lo, 0, v18
	v_and_b32_e32 v16, 0x3e0, v26
	v_cmp_lt_u32_e64 s0, 1, v15
	v_cmp_lt_u32_e64 s1, 3, v15
	v_xor_b32_e32 v195, v9, v17
	v_cndmask_b32_e64 v4, 0x7fffffff, 0, vcc_lo
	v_cmp_gt_i32_e32 vcc_lo, 0, v19
	v_add_nc_u32_e32 v17, -1, v37
	v_cmp_lt_u32_e64 s2, 7, v15
	v_cmp_lt_u32_e64 s6, 31, v26
	v_xor_b32_e32 v197, v4, v18
	v_cndmask_b32_e64 v5, 0x7fffffff, 0, vcc_lo
	v_cmp_gt_i32_e32 vcc_lo, 0, v20
	v_lshlrev_b32_e32 v4, 5, v26
	v_cmp_gt_i32_e64 s4, 0, v17
	v_cmp_eq_u32_e64 s10, 0, v26
	v_xor_b32_e32 v198, v5, v19
	v_mov_b32_e32 v5, 0
	v_cndmask_b32_e64 v8, 0x7fffffff, 0, vcc_lo
	v_cmp_gt_i32_e32 vcc_lo, 0, v21
	v_sub_nc_u32_e32 v176, v11, v10
	s_waitcnt lgkmcnt(0)
	s_waitcnt_vscnt null, 0x0
	s_barrier
	v_xor_b32_e32 v199, v8, v20
	v_cndmask_b32_e64 v9, 0x7fffffff, 0, vcc_lo
	v_add_co_u32 v164, vcc_lo, v12, 32
	v_add_co_ci_u32_e32 v165, vcc_lo, 0, v13, vcc_lo
	v_add_co_u32 v8, vcc_lo, v12, v4
	s_delay_alu instid0(VALU_DEP_4)
	v_xor_b32_e32 v208, v9, v21
	v_add_co_ci_u32_e32 v9, vcc_lo, 0, v13, vcc_lo
	v_add_co_u32 v31, vcc_lo, v164, v4
	v_min_u32_e32 v4, 0xe0, v16
	v_and_b32_e32 v16, 16, v37
	v_add_co_ci_u32_e32 v32, vcc_lo, 0, v165, vcc_lo
	v_cmp_eq_u32_e32 vcc_lo, 0, v15
	s_delay_alu instid0(VALU_DEP_4) | instskip(NEXT) | instid1(VALU_DEP_4)
	v_or_b32_e32 v4, 31, v4
	v_cmp_eq_u32_e64 s3, 0, v16
	v_lshrrev_b32_e32 v16, 5, v26
	v_cndmask_b32_e64 v15, v17, v37, s4
	buffer_gl0_inv
	v_cmp_eq_u32_e64 s4, v4, v26
	v_lshlrev_b32_e32 v4, 2, v16
	v_lshlrev_b32_e32 v167, 2, v15
	v_and_b32_e32 v15, 7, v37
	s_delay_alu instid0(VALU_DEP_3)
	v_add_co_u32 v35, s11, v12, v4
	v_add_nc_u32_e32 v4, -1, v16
	v_add_co_ci_u32_e64 v36, s11, 0, v13, s11
	v_add_co_u32 v33, s11, v12, v28
	v_lshlrev_b32_e32 v16, 2, v14
	v_add_co_ci_u32_e64 v34, s11, 0, v13, s11
	v_cmp_eq_u32_e64 s11, 0, v15
	v_cmp_lt_u32_e64 s14, 1, v15
	v_cmp_lt_u32_e64 s15, 3, v15
	v_lshlrev_b64 v[14:15], 2, v[4:5]
	v_add_co_u32 v37, s16, v12, v16
	s_delay_alu instid0(VALU_DEP_1) | instskip(NEXT) | instid1(VALU_DEP_3)
	v_add_co_ci_u32_e64 v38, s16, 0, v13, s16
	v_add_co_u32 v48, s16, v12, v14
	s_delay_alu instid0(VALU_DEP_1) | instskip(NEXT) | instid1(VALU_DEP_4)
	v_add_co_ci_u32_e64 v49, s16, v13, v15, s16
	v_add_co_u32 v50, s16, v37, v16
	v_mov_b32_e32 v14, s20
	v_add_co_ci_u32_e64 v51, s16, 0, v38, s16
	v_dual_mov_b32 v15, s21 :: v_dual_mov_b32 v16, s22
	v_mov_b32_e32 v17, s23
	s_branch .LBB1332_29
.LBB1332_28:                            ;   in Loop: Header=BB1332_29 Depth=1
	s_or_b32 exec_lo, exec_lo, s17
	s_delay_alu instid0(SALU_CYCLE_1) | instskip(NEXT) | instid1(SALU_CYCLE_1)
	s_and_b32 s16, exec_lo, s18
	s_or_b32 s20, s16, s20
	s_delay_alu instid0(SALU_CYCLE_1)
	s_and_not1_b32 exec_lo, exec_lo, s20
	s_cbranch_execz .LBB1332_53
.LBB1332_29:                            ; =>This Inner Loop Header: Depth=1
	v_dual_mov_b32 v177, v196 :: v_dual_mov_b32 v180, v198
	v_min_u32_e32 v4, s25, v176
	v_dual_mov_b32 v178, v208 :: v_dual_mov_b32 v179, v199
	s_delay_alu instid0(VALU_DEP_3) | instskip(SKIP_1) | instid1(VALU_DEP_4)
	v_cmp_ne_u32_e64 s16, 0x80000000, v177
	v_dual_mov_b32 v182, v195 :: v_dual_mov_b32 v183, v194
	v_lshlrev_b32_e64 v4, v4, -1
	s_clause 0x1
	flat_store_b128 v[8:9], v[14:17] offset:32
	flat_store_b128 v[31:32], v[14:17] offset:16
	v_cndmask_b32_e64 v19, 0x7fffffff, v177, s16
	s_waitcnt lgkmcnt(0)
	s_waitcnt_vscnt null, 0x0
	s_barrier
	v_not_b32_e32 v18, v4
	buffer_gl0_inv
	v_lshrrev_b32_e32 v4, v10, v19
	; wave barrier
	v_mov_b32_e32 v181, v197
	v_mov_b32_e32 v192, v193
	s_delay_alu instid0(VALU_DEP_3) | instskip(SKIP_1) | instid1(VALU_DEP_2)
	v_dual_mov_b32 v83, v23 :: v_dual_and_b32 v4, v4, v18
	v_dual_mov_b32 v81, v25 :: v_dual_mov_b32 v82, v22
	v_dual_mov_b32 v80, v24 :: v_dual_and_b32 v19, 1, v4
	v_lshlrev_b32_e32 v20, 30, v4
	v_lshlrev_b32_e32 v21, 29, v4
	;; [unrolled: 1-line block ×4, first 2 shown]
	v_add_co_u32 v19, s16, v19, -1
	s_delay_alu instid0(VALU_DEP_1)
	v_cndmask_b32_e64 v53, 0, 1, s16
	v_not_b32_e32 v65, v20
	v_cmp_gt_i32_e64 s17, 0, v20
	v_not_b32_e32 v20, v21
	v_lshlrev_b32_e32 v55, 26, v4
	v_cmp_ne_u32_e64 s16, 0, v53
	v_ashrrev_i32_e32 v65, 31, v65
	v_dual_mov_b32 v70, v84 :: v_dual_lshlrev_b32 v53, 24, v4
	v_ashrrev_i32_e32 v20, 31, v20
	s_delay_alu instid0(VALU_DEP_4)
	v_xor_b32_e32 v19, s16, v19
	v_cmp_gt_i32_e64 s16, 0, v21
	v_not_b32_e32 v21, v52
	v_xor_b32_e32 v65, s17, v65
	v_cmp_gt_i32_e64 s17, 0, v52
	v_dual_mov_b32 v68, v86 :: v_dual_and_b32 v19, exec_lo, v19
	s_delay_alu instid0(VALU_DEP_4)
	v_ashrrev_i32_e32 v21, 31, v21
	v_xor_b32_e32 v20, s16, v20
	v_mov_b32_e32 v71, v85
	v_not_b32_e32 v52, v54
	v_dual_mov_b32 v66, v96 :: v_dual_and_b32 v19, v19, v65
	v_dual_mov_b32 v69, v87 :: v_dual_lshlrev_b32 v64, 25, v4
	v_cmp_gt_i32_e64 s16, 0, v54
	v_not_b32_e32 v54, v55
	v_ashrrev_i32_e32 v52, 31, v52
	v_xor_b32_e32 v21, s17, v21
	v_and_b32_e32 v19, v19, v20
	v_cmp_gt_i32_e64 s17, 0, v55
	v_not_b32_e32 v20, v64
	v_ashrrev_i32_e32 v54, 31, v54
	v_xor_b32_e32 v52, s16, v52
	v_cmp_gt_i32_e64 s16, 0, v64
	v_dual_mov_b32 v64, v98 :: v_dual_and_b32 v19, v19, v21
	v_not_b32_e32 v21, v53
	v_ashrrev_i32_e32 v20, 31, v20
	v_xor_b32_e32 v54, s17, v54
	v_cmp_gt_i32_e64 s17, 0, v53
	v_dual_mov_b32 v52, v102 :: v_dual_and_b32 v19, v19, v52
	v_ashrrev_i32_e32 v21, 31, v21
	v_xor_b32_e32 v20, s16, v20
	v_lshl_add_u32 v4, v4, 3, v166
	s_delay_alu instid0(VALU_DEP_4) | instskip(NEXT) | instid1(VALU_DEP_4)
	v_dual_mov_b32 v54, v100 :: v_dual_and_b32 v19, v19, v54
	v_xor_b32_e32 v21, s17, v21
	v_mov_b32_e32 v67, v97
	v_mov_b32_e32 v65, v99
	s_delay_alu instid0(VALU_DEP_4) | instskip(SKIP_2) | instid1(VALU_DEP_3)
	v_and_b32_e32 v19, v19, v20
	v_mov_b32_e32 v55, v101
	v_mov_b32_e32 v53, v103
	v_and_b32_e32 v19, v19, v21
	v_lshlrev_b64 v[20:21], 2, v[4:5]
	s_delay_alu instid0(VALU_DEP_2) | instskip(SKIP_1) | instid1(VALU_DEP_3)
	v_mbcnt_lo_u32_b32 v116, v19, 0
	v_cmp_ne_u32_e64 s16, 0, v19
	v_add_co_u32 v84, s18, v164, v20
	s_delay_alu instid0(VALU_DEP_1) | instskip(NEXT) | instid1(VALU_DEP_4)
	v_add_co_ci_u32_e64 v85, s18, v165, v21, s18
	v_cmp_eq_u32_e64 s17, 0, v116
	s_delay_alu instid0(VALU_DEP_1) | instskip(NEXT) | instid1(SALU_CYCLE_1)
	s_and_b32 s17, s16, s17
	s_and_saveexec_b32 s16, s17
	s_cbranch_execz .LBB1332_31
; %bb.30:                               ;   in Loop: Header=BB1332_29 Depth=1
	v_bcnt_u32_b32 v4, v19, 0
	flat_store_b32 v[84:85], v4
.LBB1332_31:                            ;   in Loop: Header=BB1332_29 Depth=1
	s_or_b32 exec_lo, exec_lo, s16
	v_cmp_ne_u32_e64 s16, 0x80000000, v192
	; wave barrier
	s_delay_alu instid0(VALU_DEP_1) | instskip(NEXT) | instid1(VALU_DEP_1)
	v_cndmask_b32_e64 v4, 0x7fffffff, v192, s16
	v_lshrrev_b32_e32 v4, v10, v4
	s_delay_alu instid0(VALU_DEP_1) | instskip(NEXT) | instid1(VALU_DEP_1)
	v_and_b32_e32 v21, v4, v18
	v_lshl_add_u32 v4, v21, 3, v166
	v_lshlrev_b32_e32 v22, 29, v21
	v_lshlrev_b32_e32 v23, 28, v21
	s_delay_alu instid0(VALU_DEP_3) | instskip(SKIP_1) | instid1(VALU_DEP_2)
	v_lshlrev_b64 v[19:20], 2, v[4:5]
	v_and_b32_e32 v4, 1, v21
	v_add_co_u32 v86, s16, v164, v19
	s_delay_alu instid0(VALU_DEP_1) | instskip(NEXT) | instid1(VALU_DEP_3)
	v_add_co_ci_u32_e64 v87, s16, v165, v20, s16
	v_add_co_u32 v4, s16, v4, -1
	s_delay_alu instid0(VALU_DEP_1) | instskip(SKIP_3) | instid1(VALU_DEP_2)
	v_cndmask_b32_e64 v19, 0, 1, s16
	flat_load_b32 v117, v[86:87]
	v_lshlrev_b32_e32 v20, 30, v21
	; wave barrier
	v_cmp_ne_u32_e64 s16, 0, v19
	v_not_b32_e32 v19, v20
	s_delay_alu instid0(VALU_DEP_2) | instskip(SKIP_1) | instid1(VALU_DEP_3)
	v_xor_b32_e32 v4, s16, v4
	v_cmp_gt_i32_e64 s16, 0, v20
	v_ashrrev_i32_e32 v19, 31, v19
	v_not_b32_e32 v20, v22
	s_delay_alu instid0(VALU_DEP_4) | instskip(NEXT) | instid1(VALU_DEP_3)
	v_and_b32_e32 v4, exec_lo, v4
	v_xor_b32_e32 v19, s16, v19
	v_cmp_gt_i32_e64 s16, 0, v22
	s_delay_alu instid0(VALU_DEP_4) | instskip(SKIP_1) | instid1(VALU_DEP_4)
	v_ashrrev_i32_e32 v20, 31, v20
	v_not_b32_e32 v22, v23
	v_and_b32_e32 v4, v4, v19
	v_lshlrev_b32_e32 v19, 27, v21
	s_delay_alu instid0(VALU_DEP_4) | instskip(SKIP_2) | instid1(VALU_DEP_4)
	v_xor_b32_e32 v20, s16, v20
	v_cmp_gt_i32_e64 s16, 0, v23
	v_ashrrev_i32_e32 v22, 31, v22
	v_not_b32_e32 v23, v19
	s_delay_alu instid0(VALU_DEP_4) | instskip(SKIP_1) | instid1(VALU_DEP_4)
	v_and_b32_e32 v4, v4, v20
	v_lshlrev_b32_e32 v20, 26, v21
	v_xor_b32_e32 v22, s16, v22
	v_cmp_gt_i32_e64 s16, 0, v19
	v_ashrrev_i32_e32 v19, 31, v23
	s_delay_alu instid0(VALU_DEP_4) | instskip(NEXT) | instid1(VALU_DEP_4)
	v_not_b32_e32 v23, v20
	v_and_b32_e32 v4, v4, v22
	v_lshlrev_b32_e32 v22, 25, v21
	s_delay_alu instid0(VALU_DEP_4) | instskip(SKIP_2) | instid1(VALU_DEP_4)
	v_xor_b32_e32 v19, s16, v19
	v_cmp_gt_i32_e64 s16, 0, v20
	v_ashrrev_i32_e32 v20, 31, v23
	v_not_b32_e32 v23, v22
	s_delay_alu instid0(VALU_DEP_4) | instskip(SKIP_1) | instid1(VALU_DEP_4)
	v_and_b32_e32 v4, v4, v19
	v_lshlrev_b32_e32 v19, 24, v21
	v_xor_b32_e32 v20, s16, v20
	v_cmp_gt_i32_e64 s16, 0, v22
	v_ashrrev_i32_e32 v21, 31, v23
	s_delay_alu instid0(VALU_DEP_4) | instskip(NEXT) | instid1(VALU_DEP_4)
	v_not_b32_e32 v22, v19
	v_and_b32_e32 v4, v4, v20
	s_delay_alu instid0(VALU_DEP_3) | instskip(SKIP_1) | instid1(VALU_DEP_4)
	v_xor_b32_e32 v20, s16, v21
	v_cmp_gt_i32_e64 s16, 0, v19
	v_ashrrev_i32_e32 v19, 31, v22
	s_delay_alu instid0(VALU_DEP_3) | instskip(NEXT) | instid1(VALU_DEP_2)
	v_and_b32_e32 v4, v4, v20
	v_xor_b32_e32 v19, s16, v19
	s_delay_alu instid0(VALU_DEP_1) | instskip(NEXT) | instid1(VALU_DEP_1)
	v_and_b32_e32 v4, v4, v19
	v_mbcnt_lo_u32_b32 v118, v4, 0
	v_cmp_ne_u32_e64 s17, 0, v4
	s_delay_alu instid0(VALU_DEP_2) | instskip(NEXT) | instid1(VALU_DEP_1)
	v_cmp_eq_u32_e64 s16, 0, v118
	s_and_b32 s17, s17, s16
	s_delay_alu instid0(SALU_CYCLE_1)
	s_and_saveexec_b32 s16, s17
	s_cbranch_execz .LBB1332_33
; %bb.32:                               ;   in Loop: Header=BB1332_29 Depth=1
	s_waitcnt vmcnt(0) lgkmcnt(0)
	v_bcnt_u32_b32 v4, v4, v117
	flat_store_b32 v[86:87], v4
.LBB1332_33:                            ;   in Loop: Header=BB1332_29 Depth=1
	s_or_b32 exec_lo, exec_lo, s16
	v_cmp_ne_u32_e64 s16, 0x80000000, v183
	; wave barrier
	s_delay_alu instid0(VALU_DEP_1) | instskip(NEXT) | instid1(VALU_DEP_1)
	v_cndmask_b32_e64 v4, 0x7fffffff, v183, s16
	v_lshrrev_b32_e32 v4, v10, v4
	s_delay_alu instid0(VALU_DEP_1) | instskip(NEXT) | instid1(VALU_DEP_1)
	v_and_b32_e32 v21, v4, v18
	v_lshl_add_u32 v4, v21, 3, v166
	v_lshlrev_b32_e32 v22, 29, v21
	v_lshlrev_b32_e32 v23, 28, v21
	s_delay_alu instid0(VALU_DEP_3) | instskip(SKIP_1) | instid1(VALU_DEP_2)
	v_lshlrev_b64 v[19:20], 2, v[4:5]
	v_and_b32_e32 v4, 1, v21
	v_add_co_u32 v96, s16, v164, v19
	s_delay_alu instid0(VALU_DEP_1) | instskip(NEXT) | instid1(VALU_DEP_3)
	v_add_co_ci_u32_e64 v97, s16, v165, v20, s16
	v_add_co_u32 v4, s16, v4, -1
	s_delay_alu instid0(VALU_DEP_1) | instskip(SKIP_3) | instid1(VALU_DEP_2)
	v_cndmask_b32_e64 v19, 0, 1, s16
	flat_load_b32 v119, v[96:97]
	v_lshlrev_b32_e32 v20, 30, v21
	; wave barrier
	v_cmp_ne_u32_e64 s16, 0, v19
	v_not_b32_e32 v19, v20
	s_delay_alu instid0(VALU_DEP_2) | instskip(SKIP_1) | instid1(VALU_DEP_3)
	v_xor_b32_e32 v4, s16, v4
	v_cmp_gt_i32_e64 s16, 0, v20
	v_ashrrev_i32_e32 v19, 31, v19
	v_not_b32_e32 v20, v22
	s_delay_alu instid0(VALU_DEP_4) | instskip(NEXT) | instid1(VALU_DEP_3)
	v_and_b32_e32 v4, exec_lo, v4
	v_xor_b32_e32 v19, s16, v19
	v_cmp_gt_i32_e64 s16, 0, v22
	s_delay_alu instid0(VALU_DEP_4) | instskip(SKIP_1) | instid1(VALU_DEP_4)
	v_ashrrev_i32_e32 v20, 31, v20
	v_not_b32_e32 v22, v23
	v_and_b32_e32 v4, v4, v19
	v_lshlrev_b32_e32 v19, 27, v21
	s_delay_alu instid0(VALU_DEP_4) | instskip(SKIP_2) | instid1(VALU_DEP_4)
	v_xor_b32_e32 v20, s16, v20
	v_cmp_gt_i32_e64 s16, 0, v23
	v_ashrrev_i32_e32 v22, 31, v22
	v_not_b32_e32 v23, v19
	s_delay_alu instid0(VALU_DEP_4) | instskip(SKIP_1) | instid1(VALU_DEP_4)
	v_and_b32_e32 v4, v4, v20
	v_lshlrev_b32_e32 v20, 26, v21
	v_xor_b32_e32 v22, s16, v22
	v_cmp_gt_i32_e64 s16, 0, v19
	v_ashrrev_i32_e32 v19, 31, v23
	s_delay_alu instid0(VALU_DEP_4) | instskip(NEXT) | instid1(VALU_DEP_4)
	v_not_b32_e32 v23, v20
	v_and_b32_e32 v4, v4, v22
	v_lshlrev_b32_e32 v22, 25, v21
	s_delay_alu instid0(VALU_DEP_4) | instskip(SKIP_2) | instid1(VALU_DEP_4)
	v_xor_b32_e32 v19, s16, v19
	v_cmp_gt_i32_e64 s16, 0, v20
	v_ashrrev_i32_e32 v20, 31, v23
	v_not_b32_e32 v23, v22
	s_delay_alu instid0(VALU_DEP_4) | instskip(SKIP_1) | instid1(VALU_DEP_4)
	v_and_b32_e32 v4, v4, v19
	v_lshlrev_b32_e32 v19, 24, v21
	v_xor_b32_e32 v20, s16, v20
	v_cmp_gt_i32_e64 s16, 0, v22
	v_ashrrev_i32_e32 v21, 31, v23
	s_delay_alu instid0(VALU_DEP_4) | instskip(NEXT) | instid1(VALU_DEP_4)
	v_not_b32_e32 v22, v19
	v_and_b32_e32 v4, v4, v20
	s_delay_alu instid0(VALU_DEP_3) | instskip(SKIP_1) | instid1(VALU_DEP_4)
	v_xor_b32_e32 v20, s16, v21
	v_cmp_gt_i32_e64 s16, 0, v19
	v_ashrrev_i32_e32 v19, 31, v22
	s_delay_alu instid0(VALU_DEP_3) | instskip(NEXT) | instid1(VALU_DEP_2)
	v_and_b32_e32 v4, v4, v20
	v_xor_b32_e32 v19, s16, v19
	s_delay_alu instid0(VALU_DEP_1) | instskip(NEXT) | instid1(VALU_DEP_1)
	v_and_b32_e32 v4, v4, v19
	v_mbcnt_lo_u32_b32 v128, v4, 0
	v_cmp_ne_u32_e64 s17, 0, v4
	s_delay_alu instid0(VALU_DEP_2) | instskip(NEXT) | instid1(VALU_DEP_1)
	v_cmp_eq_u32_e64 s16, 0, v128
	s_and_b32 s17, s17, s16
	s_delay_alu instid0(SALU_CYCLE_1)
	s_and_saveexec_b32 s16, s17
	s_cbranch_execz .LBB1332_35
; %bb.34:                               ;   in Loop: Header=BB1332_29 Depth=1
	s_waitcnt vmcnt(0) lgkmcnt(0)
	v_bcnt_u32_b32 v4, v4, v119
	flat_store_b32 v[96:97], v4
.LBB1332_35:                            ;   in Loop: Header=BB1332_29 Depth=1
	s_or_b32 exec_lo, exec_lo, s16
	v_cmp_ne_u32_e64 s16, 0x80000000, v182
	; wave barrier
	s_delay_alu instid0(VALU_DEP_1) | instskip(NEXT) | instid1(VALU_DEP_1)
	v_cndmask_b32_e64 v4, 0x7fffffff, v182, s16
	v_lshrrev_b32_e32 v4, v10, v4
	s_delay_alu instid0(VALU_DEP_1) | instskip(NEXT) | instid1(VALU_DEP_1)
	v_and_b32_e32 v21, v4, v18
	v_lshl_add_u32 v4, v21, 3, v166
	v_lshlrev_b32_e32 v22, 29, v21
	v_lshlrev_b32_e32 v23, 28, v21
	s_delay_alu instid0(VALU_DEP_3) | instskip(SKIP_1) | instid1(VALU_DEP_2)
	v_lshlrev_b64 v[19:20], 2, v[4:5]
	v_and_b32_e32 v4, 1, v21
	v_add_co_u32 v98, s16, v164, v19
	s_delay_alu instid0(VALU_DEP_1) | instskip(NEXT) | instid1(VALU_DEP_3)
	v_add_co_ci_u32_e64 v99, s16, v165, v20, s16
	v_add_co_u32 v4, s16, v4, -1
	s_delay_alu instid0(VALU_DEP_1) | instskip(SKIP_3) | instid1(VALU_DEP_2)
	v_cndmask_b32_e64 v19, 0, 1, s16
	flat_load_b32 v129, v[98:99]
	v_lshlrev_b32_e32 v20, 30, v21
	; wave barrier
	v_cmp_ne_u32_e64 s16, 0, v19
	v_not_b32_e32 v19, v20
	s_delay_alu instid0(VALU_DEP_2) | instskip(SKIP_1) | instid1(VALU_DEP_3)
	v_xor_b32_e32 v4, s16, v4
	v_cmp_gt_i32_e64 s16, 0, v20
	v_ashrrev_i32_e32 v19, 31, v19
	v_not_b32_e32 v20, v22
	s_delay_alu instid0(VALU_DEP_4) | instskip(NEXT) | instid1(VALU_DEP_3)
	v_and_b32_e32 v4, exec_lo, v4
	v_xor_b32_e32 v19, s16, v19
	v_cmp_gt_i32_e64 s16, 0, v22
	s_delay_alu instid0(VALU_DEP_4) | instskip(SKIP_1) | instid1(VALU_DEP_4)
	v_ashrrev_i32_e32 v20, 31, v20
	v_not_b32_e32 v22, v23
	v_and_b32_e32 v4, v4, v19
	v_lshlrev_b32_e32 v19, 27, v21
	s_delay_alu instid0(VALU_DEP_4) | instskip(SKIP_2) | instid1(VALU_DEP_4)
	v_xor_b32_e32 v20, s16, v20
	v_cmp_gt_i32_e64 s16, 0, v23
	v_ashrrev_i32_e32 v22, 31, v22
	v_not_b32_e32 v23, v19
	s_delay_alu instid0(VALU_DEP_4) | instskip(SKIP_1) | instid1(VALU_DEP_4)
	v_and_b32_e32 v4, v4, v20
	v_lshlrev_b32_e32 v20, 26, v21
	v_xor_b32_e32 v22, s16, v22
	v_cmp_gt_i32_e64 s16, 0, v19
	v_ashrrev_i32_e32 v19, 31, v23
	s_delay_alu instid0(VALU_DEP_4) | instskip(NEXT) | instid1(VALU_DEP_4)
	v_not_b32_e32 v23, v20
	v_and_b32_e32 v4, v4, v22
	v_lshlrev_b32_e32 v22, 25, v21
	s_delay_alu instid0(VALU_DEP_4) | instskip(SKIP_2) | instid1(VALU_DEP_4)
	v_xor_b32_e32 v19, s16, v19
	v_cmp_gt_i32_e64 s16, 0, v20
	v_ashrrev_i32_e32 v20, 31, v23
	v_not_b32_e32 v23, v22
	s_delay_alu instid0(VALU_DEP_4) | instskip(SKIP_1) | instid1(VALU_DEP_4)
	v_and_b32_e32 v4, v4, v19
	v_lshlrev_b32_e32 v19, 24, v21
	v_xor_b32_e32 v20, s16, v20
	v_cmp_gt_i32_e64 s16, 0, v22
	v_ashrrev_i32_e32 v21, 31, v23
	s_delay_alu instid0(VALU_DEP_4) | instskip(NEXT) | instid1(VALU_DEP_4)
	v_not_b32_e32 v22, v19
	v_and_b32_e32 v4, v4, v20
	s_delay_alu instid0(VALU_DEP_3) | instskip(SKIP_1) | instid1(VALU_DEP_4)
	v_xor_b32_e32 v20, s16, v21
	v_cmp_gt_i32_e64 s16, 0, v19
	v_ashrrev_i32_e32 v19, 31, v22
	s_delay_alu instid0(VALU_DEP_3) | instskip(NEXT) | instid1(VALU_DEP_2)
	v_and_b32_e32 v4, v4, v20
	v_xor_b32_e32 v19, s16, v19
	s_delay_alu instid0(VALU_DEP_1) | instskip(NEXT) | instid1(VALU_DEP_1)
	v_and_b32_e32 v4, v4, v19
	v_mbcnt_lo_u32_b32 v130, v4, 0
	v_cmp_ne_u32_e64 s17, 0, v4
	s_delay_alu instid0(VALU_DEP_2) | instskip(NEXT) | instid1(VALU_DEP_1)
	v_cmp_eq_u32_e64 s16, 0, v130
	s_and_b32 s17, s17, s16
	s_delay_alu instid0(SALU_CYCLE_1)
	s_and_saveexec_b32 s16, s17
	s_cbranch_execz .LBB1332_37
; %bb.36:                               ;   in Loop: Header=BB1332_29 Depth=1
	s_waitcnt vmcnt(0) lgkmcnt(0)
	v_bcnt_u32_b32 v4, v4, v129
	flat_store_b32 v[98:99], v4
.LBB1332_37:                            ;   in Loop: Header=BB1332_29 Depth=1
	s_or_b32 exec_lo, exec_lo, s16
	v_cmp_ne_u32_e64 s16, 0x80000000, v181
	; wave barrier
	s_delay_alu instid0(VALU_DEP_1) | instskip(NEXT) | instid1(VALU_DEP_1)
	v_cndmask_b32_e64 v4, 0x7fffffff, v181, s16
	v_lshrrev_b32_e32 v4, v10, v4
	s_delay_alu instid0(VALU_DEP_1) | instskip(NEXT) | instid1(VALU_DEP_1)
	v_and_b32_e32 v21, v4, v18
	v_lshl_add_u32 v4, v21, 3, v166
	v_lshlrev_b32_e32 v22, 29, v21
	v_lshlrev_b32_e32 v23, 28, v21
	s_delay_alu instid0(VALU_DEP_3) | instskip(SKIP_1) | instid1(VALU_DEP_2)
	v_lshlrev_b64 v[19:20], 2, v[4:5]
	v_and_b32_e32 v4, 1, v21
	v_add_co_u32 v100, s16, v164, v19
	s_delay_alu instid0(VALU_DEP_1) | instskip(NEXT) | instid1(VALU_DEP_3)
	v_add_co_ci_u32_e64 v101, s16, v165, v20, s16
	v_add_co_u32 v4, s16, v4, -1
	s_delay_alu instid0(VALU_DEP_1) | instskip(SKIP_3) | instid1(VALU_DEP_2)
	v_cndmask_b32_e64 v19, 0, 1, s16
	flat_load_b32 v131, v[100:101]
	v_lshlrev_b32_e32 v20, 30, v21
	; wave barrier
	v_cmp_ne_u32_e64 s16, 0, v19
	v_not_b32_e32 v19, v20
	s_delay_alu instid0(VALU_DEP_2) | instskip(SKIP_1) | instid1(VALU_DEP_3)
	v_xor_b32_e32 v4, s16, v4
	v_cmp_gt_i32_e64 s16, 0, v20
	v_ashrrev_i32_e32 v19, 31, v19
	v_not_b32_e32 v20, v22
	s_delay_alu instid0(VALU_DEP_4) | instskip(NEXT) | instid1(VALU_DEP_3)
	v_and_b32_e32 v4, exec_lo, v4
	v_xor_b32_e32 v19, s16, v19
	v_cmp_gt_i32_e64 s16, 0, v22
	s_delay_alu instid0(VALU_DEP_4) | instskip(SKIP_1) | instid1(VALU_DEP_4)
	v_ashrrev_i32_e32 v20, 31, v20
	v_not_b32_e32 v22, v23
	v_and_b32_e32 v4, v4, v19
	v_lshlrev_b32_e32 v19, 27, v21
	s_delay_alu instid0(VALU_DEP_4) | instskip(SKIP_2) | instid1(VALU_DEP_4)
	v_xor_b32_e32 v20, s16, v20
	v_cmp_gt_i32_e64 s16, 0, v23
	v_ashrrev_i32_e32 v22, 31, v22
	v_not_b32_e32 v23, v19
	s_delay_alu instid0(VALU_DEP_4) | instskip(SKIP_1) | instid1(VALU_DEP_4)
	v_and_b32_e32 v4, v4, v20
	v_lshlrev_b32_e32 v20, 26, v21
	v_xor_b32_e32 v22, s16, v22
	v_cmp_gt_i32_e64 s16, 0, v19
	v_ashrrev_i32_e32 v19, 31, v23
	s_delay_alu instid0(VALU_DEP_4) | instskip(NEXT) | instid1(VALU_DEP_4)
	v_not_b32_e32 v23, v20
	v_and_b32_e32 v4, v4, v22
	v_lshlrev_b32_e32 v22, 25, v21
	s_delay_alu instid0(VALU_DEP_4) | instskip(SKIP_2) | instid1(VALU_DEP_4)
	v_xor_b32_e32 v19, s16, v19
	v_cmp_gt_i32_e64 s16, 0, v20
	v_ashrrev_i32_e32 v20, 31, v23
	v_not_b32_e32 v23, v22
	s_delay_alu instid0(VALU_DEP_4) | instskip(SKIP_1) | instid1(VALU_DEP_4)
	v_and_b32_e32 v4, v4, v19
	v_lshlrev_b32_e32 v19, 24, v21
	v_xor_b32_e32 v20, s16, v20
	v_cmp_gt_i32_e64 s16, 0, v22
	v_ashrrev_i32_e32 v21, 31, v23
	s_delay_alu instid0(VALU_DEP_4) | instskip(NEXT) | instid1(VALU_DEP_4)
	v_not_b32_e32 v22, v19
	v_and_b32_e32 v4, v4, v20
	s_delay_alu instid0(VALU_DEP_3) | instskip(SKIP_1) | instid1(VALU_DEP_4)
	v_xor_b32_e32 v20, s16, v21
	v_cmp_gt_i32_e64 s16, 0, v19
	v_ashrrev_i32_e32 v19, 31, v22
	s_delay_alu instid0(VALU_DEP_3) | instskip(NEXT) | instid1(VALU_DEP_2)
	v_and_b32_e32 v4, v4, v20
	v_xor_b32_e32 v19, s16, v19
	s_delay_alu instid0(VALU_DEP_1) | instskip(NEXT) | instid1(VALU_DEP_1)
	v_and_b32_e32 v4, v4, v19
	v_mbcnt_lo_u32_b32 v132, v4, 0
	v_cmp_ne_u32_e64 s17, 0, v4
	s_delay_alu instid0(VALU_DEP_2) | instskip(NEXT) | instid1(VALU_DEP_1)
	v_cmp_eq_u32_e64 s16, 0, v132
	s_and_b32 s17, s17, s16
	s_delay_alu instid0(SALU_CYCLE_1)
	s_and_saveexec_b32 s16, s17
	s_cbranch_execz .LBB1332_39
; %bb.38:                               ;   in Loop: Header=BB1332_29 Depth=1
	s_waitcnt vmcnt(0) lgkmcnt(0)
	v_bcnt_u32_b32 v4, v4, v131
	flat_store_b32 v[100:101], v4
.LBB1332_39:                            ;   in Loop: Header=BB1332_29 Depth=1
	s_or_b32 exec_lo, exec_lo, s16
	v_cmp_ne_u32_e64 s16, 0x80000000, v180
	; wave barrier
	s_delay_alu instid0(VALU_DEP_1) | instskip(NEXT) | instid1(VALU_DEP_1)
	v_cndmask_b32_e64 v4, 0x7fffffff, v180, s16
	v_lshrrev_b32_e32 v4, v10, v4
	s_delay_alu instid0(VALU_DEP_1) | instskip(NEXT) | instid1(VALU_DEP_1)
	v_and_b32_e32 v21, v4, v18
	v_lshl_add_u32 v4, v21, 3, v166
	v_lshlrev_b32_e32 v22, 29, v21
	v_lshlrev_b32_e32 v23, 28, v21
	s_delay_alu instid0(VALU_DEP_3) | instskip(SKIP_1) | instid1(VALU_DEP_2)
	v_lshlrev_b64 v[19:20], 2, v[4:5]
	v_and_b32_e32 v4, 1, v21
	v_add_co_u32 v102, s16, v164, v19
	s_delay_alu instid0(VALU_DEP_1) | instskip(NEXT) | instid1(VALU_DEP_3)
	v_add_co_ci_u32_e64 v103, s16, v165, v20, s16
	v_add_co_u32 v4, s16, v4, -1
	s_delay_alu instid0(VALU_DEP_1) | instskip(SKIP_3) | instid1(VALU_DEP_2)
	v_cndmask_b32_e64 v19, 0, 1, s16
	flat_load_b32 v133, v[102:103]
	v_lshlrev_b32_e32 v20, 30, v21
	; wave barrier
	v_cmp_ne_u32_e64 s16, 0, v19
	v_not_b32_e32 v19, v20
	s_delay_alu instid0(VALU_DEP_2) | instskip(SKIP_1) | instid1(VALU_DEP_3)
	v_xor_b32_e32 v4, s16, v4
	v_cmp_gt_i32_e64 s16, 0, v20
	v_ashrrev_i32_e32 v19, 31, v19
	v_not_b32_e32 v20, v22
	s_delay_alu instid0(VALU_DEP_4) | instskip(NEXT) | instid1(VALU_DEP_3)
	v_and_b32_e32 v4, exec_lo, v4
	v_xor_b32_e32 v19, s16, v19
	v_cmp_gt_i32_e64 s16, 0, v22
	s_delay_alu instid0(VALU_DEP_4) | instskip(SKIP_1) | instid1(VALU_DEP_4)
	v_ashrrev_i32_e32 v20, 31, v20
	v_not_b32_e32 v22, v23
	v_and_b32_e32 v4, v4, v19
	v_lshlrev_b32_e32 v19, 27, v21
	s_delay_alu instid0(VALU_DEP_4) | instskip(SKIP_2) | instid1(VALU_DEP_4)
	v_xor_b32_e32 v20, s16, v20
	v_cmp_gt_i32_e64 s16, 0, v23
	v_ashrrev_i32_e32 v22, 31, v22
	v_not_b32_e32 v23, v19
	s_delay_alu instid0(VALU_DEP_4) | instskip(SKIP_1) | instid1(VALU_DEP_4)
	v_and_b32_e32 v4, v4, v20
	v_lshlrev_b32_e32 v20, 26, v21
	v_xor_b32_e32 v22, s16, v22
	v_cmp_gt_i32_e64 s16, 0, v19
	v_ashrrev_i32_e32 v19, 31, v23
	s_delay_alu instid0(VALU_DEP_4) | instskip(NEXT) | instid1(VALU_DEP_4)
	v_not_b32_e32 v23, v20
	v_and_b32_e32 v4, v4, v22
	v_lshlrev_b32_e32 v22, 25, v21
	s_delay_alu instid0(VALU_DEP_4) | instskip(SKIP_2) | instid1(VALU_DEP_4)
	v_xor_b32_e32 v19, s16, v19
	v_cmp_gt_i32_e64 s16, 0, v20
	v_ashrrev_i32_e32 v20, 31, v23
	v_not_b32_e32 v23, v22
	s_delay_alu instid0(VALU_DEP_4) | instskip(SKIP_1) | instid1(VALU_DEP_4)
	v_and_b32_e32 v4, v4, v19
	v_lshlrev_b32_e32 v19, 24, v21
	v_xor_b32_e32 v20, s16, v20
	v_cmp_gt_i32_e64 s16, 0, v22
	v_ashrrev_i32_e32 v21, 31, v23
	s_delay_alu instid0(VALU_DEP_4) | instskip(NEXT) | instid1(VALU_DEP_4)
	v_not_b32_e32 v22, v19
	v_and_b32_e32 v4, v4, v20
	s_delay_alu instid0(VALU_DEP_3) | instskip(SKIP_1) | instid1(VALU_DEP_4)
	v_xor_b32_e32 v20, s16, v21
	v_cmp_gt_i32_e64 s16, 0, v19
	v_ashrrev_i32_e32 v19, 31, v22
	s_delay_alu instid0(VALU_DEP_3) | instskip(NEXT) | instid1(VALU_DEP_2)
	v_and_b32_e32 v4, v4, v20
	v_xor_b32_e32 v19, s16, v19
	s_delay_alu instid0(VALU_DEP_1) | instskip(NEXT) | instid1(VALU_DEP_1)
	v_and_b32_e32 v4, v4, v19
	v_mbcnt_lo_u32_b32 v134, v4, 0
	v_cmp_ne_u32_e64 s17, 0, v4
	s_delay_alu instid0(VALU_DEP_2) | instskip(NEXT) | instid1(VALU_DEP_1)
	v_cmp_eq_u32_e64 s16, 0, v134
	s_and_b32 s17, s17, s16
	s_delay_alu instid0(SALU_CYCLE_1)
	s_and_saveexec_b32 s16, s17
	s_cbranch_execz .LBB1332_41
; %bb.40:                               ;   in Loop: Header=BB1332_29 Depth=1
	s_waitcnt vmcnt(0) lgkmcnt(0)
	v_bcnt_u32_b32 v4, v4, v133
	flat_store_b32 v[102:103], v4
.LBB1332_41:                            ;   in Loop: Header=BB1332_29 Depth=1
	s_or_b32 exec_lo, exec_lo, s16
	v_cmp_ne_u32_e64 s16, 0x80000000, v179
	; wave barrier
	s_delay_alu instid0(VALU_DEP_1) | instskip(NEXT) | instid1(VALU_DEP_1)
	v_cndmask_b32_e64 v4, 0x7fffffff, v179, s16
	v_lshrrev_b32_e32 v4, v10, v4
	s_delay_alu instid0(VALU_DEP_1) | instskip(NEXT) | instid1(VALU_DEP_1)
	v_and_b32_e32 v21, v4, v18
	v_lshl_add_u32 v4, v21, 3, v166
	v_lshlrev_b32_e32 v22, 29, v21
	v_lshlrev_b32_e32 v23, 28, v21
	s_delay_alu instid0(VALU_DEP_3) | instskip(SKIP_1) | instid1(VALU_DEP_2)
	v_lshlrev_b64 v[19:20], 2, v[4:5]
	v_and_b32_e32 v4, 1, v21
	v_add_co_u32 v112, s16, v164, v19
	s_delay_alu instid0(VALU_DEP_1) | instskip(NEXT) | instid1(VALU_DEP_3)
	v_add_co_ci_u32_e64 v113, s16, v165, v20, s16
	v_add_co_u32 v4, s16, v4, -1
	s_delay_alu instid0(VALU_DEP_1) | instskip(SKIP_3) | instid1(VALU_DEP_2)
	v_cndmask_b32_e64 v19, 0, 1, s16
	flat_load_b32 v135, v[112:113]
	v_lshlrev_b32_e32 v20, 30, v21
	; wave barrier
	v_cmp_ne_u32_e64 s16, 0, v19
	v_not_b32_e32 v19, v20
	s_delay_alu instid0(VALU_DEP_2) | instskip(SKIP_1) | instid1(VALU_DEP_3)
	v_xor_b32_e32 v4, s16, v4
	v_cmp_gt_i32_e64 s16, 0, v20
	v_ashrrev_i32_e32 v19, 31, v19
	v_not_b32_e32 v20, v22
	s_delay_alu instid0(VALU_DEP_4) | instskip(NEXT) | instid1(VALU_DEP_3)
	v_and_b32_e32 v4, exec_lo, v4
	v_xor_b32_e32 v19, s16, v19
	v_cmp_gt_i32_e64 s16, 0, v22
	s_delay_alu instid0(VALU_DEP_4) | instskip(SKIP_1) | instid1(VALU_DEP_4)
	v_ashrrev_i32_e32 v20, 31, v20
	v_not_b32_e32 v22, v23
	v_and_b32_e32 v4, v4, v19
	v_lshlrev_b32_e32 v19, 27, v21
	s_delay_alu instid0(VALU_DEP_4) | instskip(SKIP_2) | instid1(VALU_DEP_4)
	v_xor_b32_e32 v20, s16, v20
	v_cmp_gt_i32_e64 s16, 0, v23
	v_ashrrev_i32_e32 v22, 31, v22
	v_not_b32_e32 v23, v19
	s_delay_alu instid0(VALU_DEP_4) | instskip(SKIP_1) | instid1(VALU_DEP_4)
	v_and_b32_e32 v4, v4, v20
	v_lshlrev_b32_e32 v20, 26, v21
	v_xor_b32_e32 v22, s16, v22
	v_cmp_gt_i32_e64 s16, 0, v19
	v_ashrrev_i32_e32 v19, 31, v23
	s_delay_alu instid0(VALU_DEP_4) | instskip(NEXT) | instid1(VALU_DEP_4)
	v_not_b32_e32 v23, v20
	v_and_b32_e32 v4, v4, v22
	v_lshlrev_b32_e32 v22, 25, v21
	s_delay_alu instid0(VALU_DEP_4) | instskip(SKIP_2) | instid1(VALU_DEP_4)
	v_xor_b32_e32 v19, s16, v19
	v_cmp_gt_i32_e64 s16, 0, v20
	v_ashrrev_i32_e32 v20, 31, v23
	v_not_b32_e32 v23, v22
	s_delay_alu instid0(VALU_DEP_4) | instskip(SKIP_1) | instid1(VALU_DEP_4)
	v_and_b32_e32 v4, v4, v19
	v_lshlrev_b32_e32 v19, 24, v21
	v_xor_b32_e32 v20, s16, v20
	v_cmp_gt_i32_e64 s16, 0, v22
	v_ashrrev_i32_e32 v21, 31, v23
	s_delay_alu instid0(VALU_DEP_4) | instskip(NEXT) | instid1(VALU_DEP_4)
	v_not_b32_e32 v22, v19
	v_and_b32_e32 v4, v4, v20
	s_delay_alu instid0(VALU_DEP_3) | instskip(SKIP_1) | instid1(VALU_DEP_4)
	v_xor_b32_e32 v20, s16, v21
	v_cmp_gt_i32_e64 s16, 0, v19
	v_ashrrev_i32_e32 v19, 31, v22
	s_delay_alu instid0(VALU_DEP_3) | instskip(NEXT) | instid1(VALU_DEP_2)
	v_and_b32_e32 v4, v4, v20
	v_xor_b32_e32 v19, s16, v19
	s_delay_alu instid0(VALU_DEP_1) | instskip(NEXT) | instid1(VALU_DEP_1)
	v_and_b32_e32 v4, v4, v19
	v_mbcnt_lo_u32_b32 v144, v4, 0
	v_cmp_ne_u32_e64 s17, 0, v4
	s_delay_alu instid0(VALU_DEP_2) | instskip(NEXT) | instid1(VALU_DEP_1)
	v_cmp_eq_u32_e64 s16, 0, v144
	s_and_b32 s17, s17, s16
	s_delay_alu instid0(SALU_CYCLE_1)
	s_and_saveexec_b32 s16, s17
	s_cbranch_execz .LBB1332_43
; %bb.42:                               ;   in Loop: Header=BB1332_29 Depth=1
	s_waitcnt vmcnt(0) lgkmcnt(0)
	v_bcnt_u32_b32 v4, v4, v135
	flat_store_b32 v[112:113], v4
.LBB1332_43:                            ;   in Loop: Header=BB1332_29 Depth=1
	s_or_b32 exec_lo, exec_lo, s16
	v_cmp_ne_u32_e64 s16, 0x80000000, v178
	; wave barrier
	s_delay_alu instid0(VALU_DEP_1) | instskip(NEXT) | instid1(VALU_DEP_1)
	v_cndmask_b32_e64 v4, 0x7fffffff, v178, s16
	v_lshrrev_b32_e32 v4, v10, v4
	s_delay_alu instid0(VALU_DEP_1) | instskip(NEXT) | instid1(VALU_DEP_1)
	v_and_b32_e32 v20, v4, v18
	v_lshl_add_u32 v4, v20, 3, v166
	v_lshlrev_b32_e32 v21, 29, v20
	v_lshlrev_b32_e32 v22, 28, v20
	s_delay_alu instid0(VALU_DEP_3) | instskip(SKIP_1) | instid1(VALU_DEP_2)
	v_lshlrev_b64 v[18:19], 2, v[4:5]
	v_and_b32_e32 v4, 1, v20
	v_add_co_u32 v114, s16, v164, v18
	s_delay_alu instid0(VALU_DEP_1) | instskip(NEXT) | instid1(VALU_DEP_3)
	v_add_co_ci_u32_e64 v115, s16, v165, v19, s16
	v_add_co_u32 v4, s16, v4, -1
	s_delay_alu instid0(VALU_DEP_1) | instskip(SKIP_3) | instid1(VALU_DEP_2)
	v_cndmask_b32_e64 v18, 0, 1, s16
	flat_load_b32 v145, v[114:115]
	v_lshlrev_b32_e32 v19, 30, v20
	; wave barrier
	v_cmp_ne_u32_e64 s16, 0, v18
	v_not_b32_e32 v18, v19
	s_delay_alu instid0(VALU_DEP_2) | instskip(SKIP_1) | instid1(VALU_DEP_3)
	v_xor_b32_e32 v4, s16, v4
	v_cmp_gt_i32_e64 s16, 0, v19
	v_ashrrev_i32_e32 v18, 31, v18
	v_not_b32_e32 v19, v21
	s_delay_alu instid0(VALU_DEP_4) | instskip(NEXT) | instid1(VALU_DEP_3)
	v_and_b32_e32 v4, exec_lo, v4
	v_xor_b32_e32 v18, s16, v18
	v_cmp_gt_i32_e64 s16, 0, v21
	s_delay_alu instid0(VALU_DEP_4) | instskip(SKIP_1) | instid1(VALU_DEP_4)
	v_ashrrev_i32_e32 v19, 31, v19
	v_not_b32_e32 v21, v22
	v_and_b32_e32 v4, v4, v18
	v_lshlrev_b32_e32 v18, 27, v20
	s_delay_alu instid0(VALU_DEP_4) | instskip(SKIP_2) | instid1(VALU_DEP_4)
	v_xor_b32_e32 v19, s16, v19
	v_cmp_gt_i32_e64 s16, 0, v22
	v_ashrrev_i32_e32 v21, 31, v21
	v_not_b32_e32 v22, v18
	s_delay_alu instid0(VALU_DEP_4) | instskip(SKIP_1) | instid1(VALU_DEP_4)
	v_and_b32_e32 v4, v4, v19
	v_lshlrev_b32_e32 v19, 26, v20
	v_xor_b32_e32 v21, s16, v21
	v_cmp_gt_i32_e64 s16, 0, v18
	v_ashrrev_i32_e32 v18, 31, v22
	s_delay_alu instid0(VALU_DEP_4) | instskip(NEXT) | instid1(VALU_DEP_4)
	v_not_b32_e32 v22, v19
	v_and_b32_e32 v4, v4, v21
	v_lshlrev_b32_e32 v21, 25, v20
	s_delay_alu instid0(VALU_DEP_4) | instskip(SKIP_2) | instid1(VALU_DEP_4)
	v_xor_b32_e32 v18, s16, v18
	v_cmp_gt_i32_e64 s16, 0, v19
	v_ashrrev_i32_e32 v19, 31, v22
	v_not_b32_e32 v22, v21
	s_delay_alu instid0(VALU_DEP_4) | instskip(SKIP_1) | instid1(VALU_DEP_4)
	v_and_b32_e32 v4, v4, v18
	v_lshlrev_b32_e32 v18, 24, v20
	v_xor_b32_e32 v19, s16, v19
	v_cmp_gt_i32_e64 s16, 0, v21
	v_ashrrev_i32_e32 v20, 31, v22
	s_delay_alu instid0(VALU_DEP_4) | instskip(NEXT) | instid1(VALU_DEP_4)
	v_not_b32_e32 v21, v18
	v_and_b32_e32 v4, v4, v19
	s_delay_alu instid0(VALU_DEP_3) | instskip(SKIP_1) | instid1(VALU_DEP_4)
	v_xor_b32_e32 v19, s16, v20
	v_cmp_gt_i32_e64 s16, 0, v18
	v_ashrrev_i32_e32 v18, 31, v21
	s_delay_alu instid0(VALU_DEP_3) | instskip(NEXT) | instid1(VALU_DEP_2)
	v_and_b32_e32 v4, v4, v19
	v_xor_b32_e32 v18, s16, v18
	s_delay_alu instid0(VALU_DEP_1) | instskip(NEXT) | instid1(VALU_DEP_1)
	v_and_b32_e32 v4, v4, v18
	v_mbcnt_lo_u32_b32 v146, v4, 0
	v_cmp_ne_u32_e64 s17, 0, v4
	s_delay_alu instid0(VALU_DEP_2) | instskip(NEXT) | instid1(VALU_DEP_1)
	v_cmp_eq_u32_e64 s16, 0, v146
	s_and_b32 s17, s17, s16
	s_delay_alu instid0(SALU_CYCLE_1)
	s_and_saveexec_b32 s16, s17
	s_cbranch_execz .LBB1332_45
; %bb.44:                               ;   in Loop: Header=BB1332_29 Depth=1
	s_waitcnt vmcnt(0) lgkmcnt(0)
	v_bcnt_u32_b32 v4, v4, v145
	flat_store_b32 v[114:115], v4
.LBB1332_45:                            ;   in Loop: Header=BB1332_29 Depth=1
	s_or_b32 exec_lo, exec_lo, s16
	; wave barrier
	s_waitcnt vmcnt(0) lgkmcnt(0)
	s_waitcnt_vscnt null, 0x0
	s_barrier
	buffer_gl0_inv
	s_clause 0x1
	flat_load_b128 v[22:25], v[8:9] offset:32
	flat_load_b128 v[18:21], v[31:32] offset:16
	s_waitcnt vmcnt(1) lgkmcnt(1)
	v_add_nc_u32_e32 v4, v23, v22
	s_delay_alu instid0(VALU_DEP_1) | instskip(SKIP_1) | instid1(VALU_DEP_1)
	v_add3_u32 v4, v4, v24, v25
	s_waitcnt vmcnt(0) lgkmcnt(0)
	v_add3_u32 v4, v4, v18, v19
	s_delay_alu instid0(VALU_DEP_1) | instskip(NEXT) | instid1(VALU_DEP_1)
	v_add3_u32 v4, v4, v20, v21
	v_mov_b32_dpp v21, v4 row_shr:1 row_mask:0xf bank_mask:0xf
	s_delay_alu instid0(VALU_DEP_1) | instskip(NEXT) | instid1(VALU_DEP_1)
	v_cndmask_b32_e64 v21, v21, 0, vcc_lo
	v_add_nc_u32_e32 v4, v21, v4
	s_delay_alu instid0(VALU_DEP_1) | instskip(NEXT) | instid1(VALU_DEP_1)
	v_mov_b32_dpp v21, v4 row_shr:2 row_mask:0xf bank_mask:0xf
	v_cndmask_b32_e64 v21, 0, v21, s0
	s_delay_alu instid0(VALU_DEP_1) | instskip(NEXT) | instid1(VALU_DEP_1)
	v_add_nc_u32_e32 v4, v4, v21
	v_mov_b32_dpp v21, v4 row_shr:4 row_mask:0xf bank_mask:0xf
	s_delay_alu instid0(VALU_DEP_1) | instskip(NEXT) | instid1(VALU_DEP_1)
	v_cndmask_b32_e64 v21, 0, v21, s1
	v_add_nc_u32_e32 v4, v4, v21
	s_delay_alu instid0(VALU_DEP_1) | instskip(NEXT) | instid1(VALU_DEP_1)
	v_mov_b32_dpp v21, v4 row_shr:8 row_mask:0xf bank_mask:0xf
	v_cndmask_b32_e64 v21, 0, v21, s2
	s_delay_alu instid0(VALU_DEP_1) | instskip(SKIP_3) | instid1(VALU_DEP_1)
	v_add_nc_u32_e32 v4, v4, v21
	ds_swizzle_b32 v21, v4 offset:swizzle(BROADCAST,32,15)
	s_waitcnt lgkmcnt(0)
	v_cndmask_b32_e64 v21, v21, 0, s3
	v_add_nc_u32_e32 v4, v4, v21
	s_and_saveexec_b32 s16, s4
	s_cbranch_execz .LBB1332_47
; %bb.46:                               ;   in Loop: Header=BB1332_29 Depth=1
	flat_store_b32 v[35:36], v4
.LBB1332_47:                            ;   in Loop: Header=BB1332_29 Depth=1
	s_or_b32 exec_lo, exec_lo, s16
	s_waitcnt lgkmcnt(0)
	s_waitcnt_vscnt null, 0x0
	s_barrier
	buffer_gl0_inv
	s_and_saveexec_b32 s16, s5
	s_cbranch_execz .LBB1332_49
; %bb.48:                               ;   in Loop: Header=BB1332_29 Depth=1
	flat_load_b32 v21, v[33:34]
	s_waitcnt vmcnt(0) lgkmcnt(0)
	v_mov_b32_dpp v147, v21 row_shr:1 row_mask:0xf bank_mask:0xf
	s_delay_alu instid0(VALU_DEP_1) | instskip(NEXT) | instid1(VALU_DEP_1)
	v_cndmask_b32_e64 v147, v147, 0, s11
	v_add_nc_u32_e32 v21, v147, v21
	s_delay_alu instid0(VALU_DEP_1) | instskip(NEXT) | instid1(VALU_DEP_1)
	v_mov_b32_dpp v147, v21 row_shr:2 row_mask:0xf bank_mask:0xf
	v_cndmask_b32_e64 v147, 0, v147, s14
	s_delay_alu instid0(VALU_DEP_1) | instskip(NEXT) | instid1(VALU_DEP_1)
	v_add_nc_u32_e32 v21, v21, v147
	v_mov_b32_dpp v147, v21 row_shr:4 row_mask:0xf bank_mask:0xf
	s_delay_alu instid0(VALU_DEP_1) | instskip(NEXT) | instid1(VALU_DEP_1)
	v_cndmask_b32_e64 v147, 0, v147, s15
	v_add_nc_u32_e32 v21, v21, v147
	flat_store_b32 v[33:34], v21
.LBB1332_49:                            ;   in Loop: Header=BB1332_29 Depth=1
	s_or_b32 exec_lo, exec_lo, s16
	v_mov_b32_e32 v21, 0
	s_waitcnt lgkmcnt(0)
	s_waitcnt_vscnt null, 0x0
	s_barrier
	buffer_gl0_inv
	s_and_saveexec_b32 s16, s6
	s_cbranch_execz .LBB1332_51
; %bb.50:                               ;   in Loop: Header=BB1332_29 Depth=1
	flat_load_b32 v21, v[48:49]
.LBB1332_51:                            ;   in Loop: Header=BB1332_29 Depth=1
	s_or_b32 exec_lo, exec_lo, s16
	s_waitcnt vmcnt(0) lgkmcnt(0)
	v_add_nc_u32_e32 v4, v21, v4
	v_add_nc_u32_e32 v10, 8, v10
	s_mov_b32 s18, -1
                                        ; implicit-def: $vgpr208
                                        ; implicit-def: $vgpr199
                                        ; implicit-def: $vgpr198
                                        ; implicit-def: $vgpr197
                                        ; implicit-def: $vgpr195
                                        ; implicit-def: $vgpr194
                                        ; implicit-def: $vgpr193
                                        ; implicit-def: $vgpr196
	ds_bpermute_b32 v4, v167, v4
	s_waitcnt lgkmcnt(0)
	v_cndmask_b32_e64 v4, v4, v21, s7
	s_delay_alu instid0(VALU_DEP_1) | instskip(NEXT) | instid1(VALU_DEP_1)
	v_cndmask_b32_e64 v21, v4, 0, s10
	v_add_nc_u32_e32 v22, v21, v22
	s_delay_alu instid0(VALU_DEP_1) | instskip(NEXT) | instid1(VALU_DEP_1)
	v_add_nc_u32_e32 v23, v22, v23
	v_add_nc_u32_e32 v24, v23, v24
	s_delay_alu instid0(VALU_DEP_1) | instskip(NEXT) | instid1(VALU_DEP_1)
	v_add_nc_u32_e32 v147, v24, v25
	v_add_nc_u32_e32 v148, v147, v18
	s_delay_alu instid0(VALU_DEP_1) | instskip(SKIP_1) | instid1(VALU_DEP_2)
	v_add_nc_u32_e32 v149, v148, v19
	v_mov_b32_e32 v19, v5
	v_add_nc_u32_e32 v150, v149, v20
	s_clause 0x1
	flat_store_b128 v[8:9], v[21:24] offset:32
	flat_store_b128 v[31:32], v[147:150] offset:16
	v_mov_b32_e32 v21, v5
	s_waitcnt lgkmcnt(0)
	s_waitcnt_vscnt null, 0x0
	s_barrier
	buffer_gl0_inv
	s_clause 0x7
	flat_load_b32 v4, v[84:85]
	flat_load_b32 v18, v[86:87]
	;; [unrolled: 1-line block ×8, first 2 shown]
	v_mov_b32_e32 v25, v5
	v_mov_b32_e32 v23, v5
	;; [unrolled: 1-line block ×5, first 2 shown]
	v_cmp_lt_u32_e64 s16, v10, v11
	s_waitcnt vmcnt(0) lgkmcnt(0)
	s_waitcnt_vscnt null, 0x0
                                        ; implicit-def: $vgpr98_vgpr99
                                        ; implicit-def: $vgpr100_vgpr101
                                        ; implicit-def: $vgpr102_vgpr103
	s_waitcnt vmcnt(7) lgkmcnt(7)
	v_add_nc_u32_e32 v4, v4, v116
	s_waitcnt vmcnt(6) lgkmcnt(6)
	v_add3_u32 v18, v118, v117, v18
	s_waitcnt vmcnt(5) lgkmcnt(5)
	v_add3_u32 v20, v128, v119, v20
	;; [unrolled: 2-line block ×4, first 2 shown]
	v_lshlrev_b64 v[148:149], 2, v[4:5]
	s_waitcnt vmcnt(1) lgkmcnt(1)
	v_add3_u32 v86, v144, v135, v86
	s_waitcnt vmcnt(0) lgkmcnt(0)
	v_add3_u32 v96, v146, v145, v96
	v_lshlrev_b64 v[144:145], 2, v[18:19]
	v_add3_u32 v84, v134, v133, v84
	v_lshlrev_b64 v[134:135], 2, v[20:21]
	v_add_co_u32 v162, s17, v12, v148
	s_delay_alu instid0(VALU_DEP_1) | instskip(SKIP_2) | instid1(VALU_DEP_1)
	v_add_co_ci_u32_e64 v163, s17, v13, v149, s17
	v_lshlrev_b64 v[128:129], 2, v[22:23]
	v_add_co_u32 v160, s17, v12, v144
	v_add_co_ci_u32_e64 v161, s17, v13, v145, s17
	v_lshlrev_b64 v[114:115], 2, v[24:25]
	v_add_co_u32 v150, s17, v12, v134
	s_delay_alu instid0(VALU_DEP_1) | instskip(SKIP_2) | instid1(VALU_DEP_1)
	v_add_co_ci_u32_e64 v151, s17, v13, v135, s17
	v_lshlrev_b64 v[112:113], 2, v[84:85]
	v_add_co_u32 v146, s17, v12, v128
	v_add_co_ci_u32_e64 v147, s17, v13, v129, s17
	;; [unrolled: 7-line block ×3, first 2 shown]
	v_add_co_u32 v118, s17, v12, v20
	s_delay_alu instid0(VALU_DEP_1) | instskip(SKIP_1) | instid1(VALU_DEP_1)
	v_add_co_ci_u32_e64 v119, s17, v13, v21, s17
	v_add_co_u32 v116, s17, v12, v18
	v_add_co_ci_u32_e64 v117, s17, v13, v19, s17
                                        ; implicit-def: $vgpr22_vgpr23
                                        ; implicit-def: $vgpr24_vgpr25
                                        ; implicit-def: $vgpr84_vgpr85
                                        ; implicit-def: $vgpr86_vgpr87
                                        ; implicit-def: $vgpr96_vgpr97
	s_and_saveexec_b32 s17, s16
	s_cbranch_execz .LBB1332_28
; %bb.52:                               ;   in Loop: Header=BB1332_29 Depth=1
	v_add_co_u32 v22, s16, v162, v148
	s_delay_alu instid0(VALU_DEP_1) | instskip(SKIP_1) | instid1(VALU_DEP_1)
	v_add_co_ci_u32_e64 v23, s16, v163, v149, s16
	v_add_co_u32 v24, s16, v160, v144
	v_add_co_ci_u32_e64 v25, s16, v161, v145, s16
	v_add_co_u32 v84, s16, v150, v134
	s_delay_alu instid0(VALU_DEP_1)
	v_add_co_ci_u32_e64 v85, s16, v151, v135, s16
	s_barrier
	buffer_gl0_inv
	s_clause 0x7
	flat_store_b32 v[162:163], v177
	flat_store_b32 v[160:161], v192
	;; [unrolled: 1-line block ×8, first 2 shown]
	s_waitcnt lgkmcnt(0)
	s_waitcnt_vscnt null, 0x0
	s_barrier
	buffer_gl0_inv
	s_clause 0x7
	flat_load_b32 v196, v[37:38]
	flat_load_b32 v193, v[37:38] offset:128
	flat_load_b32 v194, v[37:38] offset:256
	;; [unrolled: 1-line block ×7, first 2 shown]
	s_waitcnt vmcnt(0) lgkmcnt(0)
	s_barrier
	buffer_gl0_inv
	s_clause 0x2
	flat_store_b64 v[22:23], v[82:83]
	flat_store_b64 v[24:25], v[80:81]
	;; [unrolled: 1-line block ×3, first 2 shown]
	v_add_co_u32 v22, s16, v146, v128
	s_delay_alu instid0(VALU_DEP_1) | instskip(SKIP_1) | instid1(VALU_DEP_1)
	v_add_co_ci_u32_e64 v23, s16, v147, v129, s16
	v_add_co_u32 v24, s16, v132, v114
	v_add_co_ci_u32_e64 v25, s16, v133, v115, s16
	v_add_co_u32 v84, s16, v130, v112
	s_delay_alu instid0(VALU_DEP_1) | instskip(SKIP_1) | instid1(VALU_DEP_1)
	v_add_co_ci_u32_e64 v85, s16, v131, v113, s16
	v_add_co_u32 v86, s16, v118, v20
	v_add_co_ci_u32_e64 v87, s16, v119, v21, s16
	v_add_co_u32 v96, s16, v116, v18
	s_delay_alu instid0(VALU_DEP_1)
	v_add_co_ci_u32_e64 v97, s16, v117, v19, s16
	s_clause 0x4
	flat_store_b64 v[22:23], v[68:69]
	flat_store_b64 v[24:25], v[66:67]
	;; [unrolled: 1-line block ×5, first 2 shown]
	s_waitcnt lgkmcnt(0)
	s_waitcnt_vscnt null, 0x0
	s_barrier
	buffer_gl0_inv
	s_clause 0x7
	flat_load_b64 v[22:23], v[50:51]
	flat_load_b64 v[24:25], v[50:51] offset:256
	flat_load_b64 v[84:85], v[50:51] offset:512
	;; [unrolled: 1-line block ×7, first 2 shown]
	v_add_nc_u32_e32 v176, -8, v176
	s_xor_b32 s18, exec_lo, -1
	s_waitcnt vmcnt(0) lgkmcnt(0)
	s_barrier
	buffer_gl0_inv
	s_branch .LBB1332_28
.LBB1332_53:
	s_or_b32 exec_lo, exec_lo, s20
	v_or_b32_e32 v37, 0x1000, v28
	s_barrier
	buffer_gl0_inv
	s_clause 0x7
	flat_store_b32 v[162:163], v177
	flat_store_b32 v[160:161], v192
	;; [unrolled: 1-line block ×8, first 2 shown]
	s_waitcnt lgkmcnt(0)
	s_waitcnt_vscnt null, 0x0
	v_add_co_u32 v4, vcc_lo, v12, v37
	v_add_co_ci_u32_e32 v5, vcc_lo, 0, v13, vcc_lo
	v_add_co_u32 v38, vcc_lo, 0x1400, v33
	v_add_co_ci_u32_e32 v48, vcc_lo, 0, v34, vcc_lo
	v_add_co_u32 v8, vcc_lo, 0x1000, v33
	v_add_co_ci_u32_e32 v9, vcc_lo, 0, v34, vcc_lo
	v_add_co_u32 v49, vcc_lo, 0x1800, v33
	v_add_co_ci_u32_e32 v50, vcc_lo, 0, v34, vcc_lo
	v_add_co_u32 v51, vcc_lo, 0x1c00, v33
	v_add_co_ci_u32_e32 v84, vcc_lo, 0, v34, vcc_lo
	s_barrier
	buffer_gl0_inv
	s_clause 0x7
	flat_load_b32 v36, v[33:34]
	flat_load_b32 v35, v[33:34] offset:1024
	flat_load_b32 v32, v[33:34] offset:2048
	;; [unrolled: 1-line block ×3, first 2 shown]
	flat_load_b32 v25, v[4:5]
	flat_load_b32 v24, v[8:9] offset:1024
	flat_load_b32 v23, v[8:9] offset:2048
	;; [unrolled: 1-line block ×3, first 2 shown]
	v_add_co_u32 v8, vcc_lo, v162, v148
	v_add_co_ci_u32_e32 v9, vcc_lo, v163, v149, vcc_lo
	v_add_co_u32 v10, vcc_lo, v160, v144
	v_add_co_ci_u32_e32 v11, vcc_lo, v161, v145, vcc_lo
	;; [unrolled: 2-line block ×4, first 2 shown]
	s_waitcnt vmcnt(0) lgkmcnt(0)
	s_barrier
	buffer_gl0_inv
	s_clause 0x3
	flat_store_b64 v[8:9], v[82:83]
	flat_store_b64 v[10:11], v[80:81]
	;; [unrolled: 1-line block ×4, first 2 shown]
	v_add_co_u32 v8, vcc_lo, v132, v114
	v_add_co_ci_u32_e32 v9, vcc_lo, v133, v115, vcc_lo
	v_add_co_u32 v10, vcc_lo, v130, v112
	v_add_co_ci_u32_e32 v11, vcc_lo, v131, v113, vcc_lo
	;; [unrolled: 2-line block ×3, first 2 shown]
	s_clause 0x2
	flat_store_b64 v[8:9], v[66:67]
	flat_store_b64 v[10:11], v[64:65]
	flat_store_b64 v[14:15], v[54:55]
	v_lshlrev_b32_e32 v8, 3, v26
	v_add_co_u32 v16, vcc_lo, v116, v18
	v_add_co_ci_u32_e32 v17, vcc_lo, v117, v19, vcc_lo
	s_delay_alu instid0(VALU_DEP_3) | instskip(SKIP_2) | instid1(VALU_DEP_3)
	v_add_co_u32 v8, vcc_lo, v12, v8
	v_add_co_ci_u32_e32 v9, vcc_lo, 0, v13, vcc_lo
	v_add_nc_u32_e32 v12, 0x1400, v28
	v_add_co_u32 v10, vcc_lo, 0x1000, v8
	s_delay_alu instid0(VALU_DEP_3)
	v_add_co_ci_u32_e32 v11, vcc_lo, 0, v9, vcc_lo
	v_add_co_u32 v4, vcc_lo, v4, v37
	v_add_nc_u32_e32 v13, 0x1800, v28
	v_add_co_ci_u32_e32 v5, vcc_lo, 0, v5, vcc_lo
	v_add_co_u32 v33, vcc_lo, v38, v12
	v_add_nc_u32_e32 v12, 0x1c00, v28
	v_mov_b32_e32 v28, 0
	v_add_co_ci_u32_e32 v34, vcc_lo, 0, v48, vcc_lo
	v_add_co_u32 v37, vcc_lo, v49, v13
	v_add_co_ci_u32_e32 v38, vcc_lo, 0, v50, vcc_lo
	v_add_co_u32 v48, vcc_lo, v51, v12
	flat_store_b64 v[16:17], v[52:53]
	s_waitcnt lgkmcnt(0)
	s_waitcnt_vscnt null, 0x0
	s_barrier
	buffer_gl0_inv
	v_add_co_ci_u32_e32 v49, vcc_lo, 0, v84, vcc_lo
	s_clause 0x7
	flat_load_b64 v[20:21], v[8:9]
	flat_load_b64 v[18:19], v[8:9] offset:2048
	flat_load_b64 v[16:17], v[10:11]
	flat_load_b64 v[14:15], v[10:11] offset:2048
	flat_load_b64 v[12:13], v[4:5]
	flat_load_b64 v[10:11], v[33:34]
	;; [unrolled: 1-line block ×4, first 2 shown]
	v_lshlrev_b64 v[33:34], 2, v[27:28]
	v_add_co_u32 v2, vcc_lo, v2, v29
	v_add_co_ci_u32_e32 v3, vcc_lo, v3, v30, vcc_lo
	s_waitcnt vmcnt(0) lgkmcnt(0)
	s_delay_alu instid0(VALU_DEP_2) | instskip(NEXT) | instid1(VALU_DEP_2)
	v_add_co_u32 v2, vcc_lo, v2, v33
	v_add_co_ci_u32_e32 v3, vcc_lo, v3, v34, vcc_lo
	v_cmp_lt_u32_e32 vcc_lo, v27, v39
	s_barrier
	buffer_gl0_inv
	s_and_saveexec_b32 s1, vcc_lo
	s_cbranch_execz .LBB1332_55
; %bb.54:
	v_cmp_gt_i32_e64 s0, 0, v36
	s_delay_alu instid0(VALU_DEP_1) | instskip(NEXT) | instid1(VALU_DEP_1)
	v_cndmask_b32_e64 v26, 0x7fffffff, 0, s0
	v_xor_b32_e32 v26, v26, v36
	flat_store_b32 v[2:3], v26
.LBB1332_55:
	s_or_b32 exec_lo, exec_lo, s1
	v_add_nc_u32_e32 v26, 0x100, v27
	s_delay_alu instid0(VALU_DEP_1) | instskip(NEXT) | instid1(VALU_DEP_1)
	v_cmp_lt_u32_e64 s0, v26, v39
	s_and_saveexec_b32 s2, s0
	s_cbranch_execz .LBB1332_57
; %bb.56:
	v_cmp_gt_i32_e64 s1, 0, v35
	s_delay_alu instid0(VALU_DEP_1) | instskip(NEXT) | instid1(VALU_DEP_1)
	v_cndmask_b32_e64 v26, 0x7fffffff, 0, s1
	v_xor_b32_e32 v26, v26, v35
	flat_store_b32 v[2:3], v26 offset:1024
.LBB1332_57:
	s_or_b32 exec_lo, exec_lo, s2
	v_add_nc_u32_e32 v26, 0x200, v27
	s_delay_alu instid0(VALU_DEP_1) | instskip(NEXT) | instid1(VALU_DEP_1)
	v_cmp_lt_u32_e64 s1, v26, v39
	s_and_saveexec_b32 s3, s1
	s_cbranch_execz .LBB1332_59
; %bb.58:
	v_cmp_gt_i32_e64 s2, 0, v32
	s_delay_alu instid0(VALU_DEP_1) | instskip(NEXT) | instid1(VALU_DEP_1)
	v_cndmask_b32_e64 v26, 0x7fffffff, 0, s2
	v_xor_b32_e32 v26, v26, v32
	flat_store_b32 v[2:3], v26 offset:2048
.LBB1332_59:
	;; [unrolled: 13-line block ×3, first 2 shown]
	s_or_b32 exec_lo, exec_lo, s4
	v_add_nc_u32_e32 v26, 0x400, v27
	s_delay_alu instid0(VALU_DEP_1) | instskip(NEXT) | instid1(VALU_DEP_1)
	v_cmp_lt_u32_e64 s3, v26, v39
	s_and_saveexec_b32 s5, s3
	s_cbranch_execz .LBB1332_63
; %bb.62:
	v_cmp_gt_i32_e64 s4, 0, v25
	s_delay_alu instid0(VALU_DEP_1) | instskip(NEXT) | instid1(VALU_DEP_1)
	v_cndmask_b32_e64 v26, 0x7fffffff, 0, s4
	v_xor_b32_e32 v29, v26, v25
	v_add_co_u32 v25, s4, 0x1000, v2
	s_delay_alu instid0(VALU_DEP_1)
	v_add_co_ci_u32_e64 v26, s4, 0, v3, s4
	flat_store_b32 v[25:26], v29
.LBB1332_63:
	s_or_b32 exec_lo, exec_lo, s5
	v_add_nc_u32_e32 v25, 0x500, v27
	s_delay_alu instid0(VALU_DEP_1) | instskip(NEXT) | instid1(VALU_DEP_1)
	v_cmp_lt_u32_e64 s4, v25, v39
	s_and_saveexec_b32 s6, s4
	s_cbranch_execz .LBB1332_65
; %bb.64:
	v_cmp_gt_i32_e64 s5, 0, v24
	s_delay_alu instid0(VALU_DEP_1) | instskip(NEXT) | instid1(VALU_DEP_1)
	v_cndmask_b32_e64 v25, 0x7fffffff, 0, s5
	v_xor_b32_e32 v26, v25, v24
	v_add_co_u32 v24, s5, 0x1000, v2
	s_delay_alu instid0(VALU_DEP_1)
	v_add_co_ci_u32_e64 v25, s5, 0, v3, s5
	flat_store_b32 v[24:25], v26 offset:1024
.LBB1332_65:
	s_or_b32 exec_lo, exec_lo, s6
	v_add_nc_u32_e32 v24, 0x600, v27
	s_delay_alu instid0(VALU_DEP_1) | instskip(NEXT) | instid1(VALU_DEP_1)
	v_cmp_lt_u32_e64 s5, v24, v39
	s_and_saveexec_b32 s7, s5
	s_cbranch_execz .LBB1332_67
; %bb.66:
	v_cmp_gt_i32_e64 s6, 0, v23
	s_delay_alu instid0(VALU_DEP_1) | instskip(NEXT) | instid1(VALU_DEP_1)
	v_cndmask_b32_e64 v24, 0x7fffffff, 0, s6
	v_xor_b32_e32 v25, v24, v23
	v_add_co_u32 v23, s6, 0x1000, v2
	s_delay_alu instid0(VALU_DEP_1)
	v_add_co_ci_u32_e64 v24, s6, 0, v3, s6
	flat_store_b32 v[23:24], v25 offset:2048
.LBB1332_67:
	s_or_b32 exec_lo, exec_lo, s7
	v_add_nc_u32_e32 v23, 0x700, v27
	s_delay_alu instid0(VALU_DEP_1) | instskip(NEXT) | instid1(VALU_DEP_1)
	v_cmp_lt_u32_e64 s6, v23, v39
	s_and_saveexec_b32 s10, s6
	s_cbranch_execz .LBB1332_69
; %bb.68:
	v_cmp_gt_i32_e64 s7, 0, v22
	s_delay_alu instid0(VALU_DEP_1) | instskip(SKIP_1) | instid1(VALU_DEP_1)
	v_cndmask_b32_e64 v23, 0x7fffffff, 0, s7
	v_add_co_u32 v2, s7, 0x1000, v2
	v_add_co_ci_u32_e64 v3, s7, 0, v3, s7
	s_delay_alu instid0(VALU_DEP_3)
	v_xor_b32_e32 v22, v23, v22
	flat_store_b32 v[2:3], v22 offset:3072
.LBB1332_69:
	s_or_b32 exec_lo, exec_lo, s10
	v_lshlrev_b64 v[2:3], 3, v[27:28]
	v_add_co_u32 v0, s7, v6, v0
	s_delay_alu instid0(VALU_DEP_1) | instskip(NEXT) | instid1(VALU_DEP_2)
	v_add_co_ci_u32_e64 v1, s7, v7, v1, s7
	v_add_co_u32 v0, s7, v0, v2
	s_delay_alu instid0(VALU_DEP_1)
	v_add_co_ci_u32_e64 v1, s7, v1, v3, s7
	s_and_saveexec_b32 s7, vcc_lo
	s_cbranch_execnz .LBB1332_119
; %bb.70:
	s_or_b32 exec_lo, exec_lo, s7
	s_and_saveexec_b32 s7, s0
	s_cbranch_execnz .LBB1332_120
.LBB1332_71:
	s_or_b32 exec_lo, exec_lo, s7
	s_and_saveexec_b32 s0, s1
	s_cbranch_execnz .LBB1332_121
.LBB1332_72:
	s_or_b32 exec_lo, exec_lo, s0
	s_and_saveexec_b32 s0, s2
	s_cbranch_execnz .LBB1332_122
.LBB1332_73:
	s_or_b32 exec_lo, exec_lo, s0
	s_and_saveexec_b32 s0, s3
	s_cbranch_execnz .LBB1332_123
.LBB1332_74:
	s_or_b32 exec_lo, exec_lo, s0
	s_and_saveexec_b32 s0, s4
	s_cbranch_execnz .LBB1332_124
.LBB1332_75:
	s_or_b32 exec_lo, exec_lo, s0
	s_and_saveexec_b32 s0, s5
	s_cbranch_execnz .LBB1332_125
.LBB1332_76:
	s_or_b32 exec_lo, exec_lo, s0
	s_and_saveexec_b32 s0, s6
	s_cbranch_execz .LBB1332_78
.LBB1332_77:
	v_add_co_u32 v0, vcc_lo, 0x3000, v0
	v_add_co_ci_u32_e32 v1, vcc_lo, 0, v1, vcc_lo
	flat_store_b64 v[0:1], v[4:5] offset:2048
.LBB1332_78:
	s_or_b32 exec_lo, exec_lo, s0
                                        ; implicit-def: $vgpr39
                                        ; implicit-def: $vgpr0
                                        ; implicit-def: $vgpr1
                                        ; implicit-def: $vgpr2
                                        ; implicit-def: $vgpr3
                                        ; implicit-def: $vgpr4
                                        ; implicit-def: $vgpr5
                                        ; implicit-def: $vgpr6
                                        ; implicit-def: $vgpr7
                                        ; implicit-def: $vgpr8
                                        ; implicit-def: $vgpr10
                                        ; implicit-def: $vgpr11
                                        ; implicit-def: $vgpr12
                                        ; implicit-def: $vgpr13
                                        ; implicit-def: $vgpr14
                                        ; implicit-def: $vgpr15
                                        ; implicit-def: $vgpr26
                                        ; implicit-def: $vgpr37
.LBB1332_79:
	s_and_not1_saveexec_b32 s0, s19
	s_cbranch_execz .LBB1332_199
; %bb.80:
	s_mov_b32 s0, exec_lo
	v_cmpx_lt_u32_e32 0x200, v39
	s_xor_b32 s19, exec_lo, s0
	s_cbranch_execz .LBB1332_140
; %bb.81:
	s_load_b64 s[0:1], s[8:9], 0x0
	v_mov_b32_e32 v9, 0
	s_mov_b32 s4, -1
	s_delay_alu instid0(SALU_CYCLE_1)
	s_mov_b32 s5, s4
	s_mov_b32 s6, s4
	;; [unrolled: 1-line block ×3, first 2 shown]
	s_waitcnt lgkmcnt(0)
	s_cmp_lt_u32 s13, s1
	s_cselect_b32 s1, 14, 20
	s_delay_alu instid0(SALU_CYCLE_1) | instskip(SKIP_4) | instid1(SALU_CYCLE_1)
	s_add_u32 s2, s8, s1
	s_addc_u32 s3, s9, 0
	s_cmp_lt_u32 s12, s0
	global_load_u16 v16, v9, s[2:3]
	s_cselect_b32 s0, 12, 18
	s_add_u32 s0, s8, s0
	s_addc_u32 s1, s9, 0
	global_load_u16 v17, v9, s[0:1]
	s_waitcnt vmcnt(1)
	v_mad_u32_u24 v14, v15, v16, v14
	s_waitcnt vmcnt(0)
	s_delay_alu instid0(VALU_DEP_1) | instskip(SKIP_2) | instid1(VALU_DEP_3)
	v_mad_u64_u32 v[27:28], null, v14, v17, v[26:27]
	v_lshlrev_b32_e32 v14, 2, v37
	v_lshlrev_b64 v[29:30], 2, v[8:9]
	v_lshlrev_b32_e32 v15, 2, v27
	s_delay_alu instid0(VALU_DEP_1) | instskip(NEXT) | instid1(VALU_DEP_3)
	v_dual_mov_b32 v19, v9 :: v_dual_and_b32 v18, 0xffffff80, v15
	v_add_co_u32 v15, vcc_lo, v0, v29
	s_delay_alu instid0(VALU_DEP_4) | instskip(NEXT) | instid1(VALU_DEP_3)
	v_add_co_ci_u32_e32 v16, vcc_lo, v1, v30, vcc_lo
	v_lshlrev_b64 v[0:1], 2, v[18:19]
	s_delay_alu instid0(VALU_DEP_3) | instskip(NEXT) | instid1(VALU_DEP_3)
	v_add_co_u32 v14, vcc_lo, v15, v14
	v_add_co_ci_u32_e32 v15, vcc_lo, 0, v16, vcc_lo
	v_or_b32_e32 v20, v18, v37
	s_delay_alu instid0(VALU_DEP_3) | instskip(NEXT) | instid1(VALU_DEP_1)
	v_add_co_u32 v0, s0, v14, v0
	v_add_co_ci_u32_e64 v1, s0, v15, v1, s0
	v_dual_mov_b32 v17, s7 :: v_dual_mov_b32 v14, s4
	s_delay_alu instid0(VALU_DEP_4)
	v_cmp_lt_u32_e32 vcc_lo, v20, v39
	v_dual_mov_b32 v16, s6 :: v_dual_mov_b32 v15, s5
	s_and_saveexec_b32 s0, vcc_lo
	s_cbranch_execz .LBB1332_83
; %bb.82:
	flat_load_b32 v14, v[0:1]
	v_mov_b32_e32 v15, -1
	s_delay_alu instid0(VALU_DEP_1)
	v_mov_b32_e32 v16, v15
	v_mov_b32_e32 v17, v15
.LBB1332_83:
	s_or_b32 exec_lo, exec_lo, s0
	v_or_b32_e32 v21, 32, v20
	s_delay_alu instid0(VALU_DEP_1) | instskip(NEXT) | instid1(VALU_DEP_1)
	v_cmp_lt_u32_e64 s0, v21, v39
	s_and_saveexec_b32 s1, s0
	s_cbranch_execz .LBB1332_85
; %bb.84:
	flat_load_b32 v15, v[0:1] offset:128
.LBB1332_85:
	s_or_b32 exec_lo, exec_lo, s1
	v_or_b32_e32 v21, 64, v20
	s_delay_alu instid0(VALU_DEP_1) | instskip(NEXT) | instid1(VALU_DEP_1)
	v_cmp_lt_u32_e64 s1, v21, v39
	s_and_saveexec_b32 s2, s1
	s_cbranch_execz .LBB1332_87
; %bb.86:
	flat_load_b32 v16, v[0:1] offset:256
.LBB1332_87:
	;; [unrolled: 9-line block ×3, first 2 shown]
	s_or_b32 exec_lo, exec_lo, s3
	v_lshlrev_b64 v[0:1], 3, v[8:9]
	v_lshlrev_b32_e32 v8, 3, v37
	s_delay_alu instid0(VALU_DEP_2) | instskip(NEXT) | instid1(VALU_DEP_1)
	v_add_co_u32 v9, s3, v4, v0
	v_add_co_ci_u32_e64 v20, s3, v5, v1, s3
	v_lshlrev_b64 v[4:5], 3, v[18:19]
	s_delay_alu instid0(VALU_DEP_3) | instskip(NEXT) | instid1(VALU_DEP_1)
	v_add_co_u32 v8, s3, v9, v8
	v_add_co_ci_u32_e64 v9, s3, 0, v20, s3
                                        ; implicit-def: $vgpr18_vgpr19
	s_delay_alu instid0(VALU_DEP_2) | instskip(NEXT) | instid1(VALU_DEP_1)
	v_add_co_u32 v4, s3, v8, v4
	v_add_co_ci_u32_e64 v5, s3, v9, v5, s3
	s_and_saveexec_b32 s3, vcc_lo
	s_cbranch_execnz .LBB1332_164
; %bb.90:
	s_or_b32 exec_lo, exec_lo, s3
                                        ; implicit-def: $vgpr20_vgpr21
	s_and_saveexec_b32 s3, s0
	s_cbranch_execnz .LBB1332_165
.LBB1332_91:
	s_or_b32 exec_lo, exec_lo, s3
                                        ; implicit-def: $vgpr22_vgpr23
	s_and_saveexec_b32 s0, s1
	s_cbranch_execnz .LBB1332_166
.LBB1332_92:
	s_or_b32 exec_lo, exec_lo, s0
                                        ; implicit-def: $vgpr24_vgpr25
	s_and_saveexec_b32 s0, s2
	s_cbranch_execz .LBB1332_94
.LBB1332_93:
	flat_load_b64 v[24:25], v[4:5] offset:768
.LBB1332_94:
	s_or_b32 exec_lo, exec_lo, s0
	s_waitcnt vmcnt(0) lgkmcnt(0)
	v_cmp_gt_i32_e32 vcc_lo, 0, v14
	s_mov_b32 s20, 0
	s_getpc_b64 s[0:1]
	s_add_u32 s0, s0, _ZN7rocprim17ROCPRIM_400000_NS16block_radix_sortIfLj256ELj4ElLj1ELj1ELj8ELNS0_26block_radix_rank_algorithmE2ELNS0_18block_padding_hintE2ELNS0_4arch9wavefront6targetE0EE19radix_bits_per_passE@rel32@lo+4
	s_addc_u32 s1, s1, _ZN7rocprim17ROCPRIM_400000_NS16block_radix_sortIfLj256ELj4ElLj1ELj1ELj8ELNS0_26block_radix_rank_algorithmE2ELNS0_18block_padding_hintE2ELNS0_4arch9wavefront6targetE0EE19radix_bits_per_passE@rel32@hi+12
	s_mov_b32 s21, s20
	s_mov_b32 s22, s20
	v_cndmask_b32_e64 v4, 0x7fffffff, 0, vcc_lo
	v_cmp_gt_i32_e32 vcc_lo, 0, v15
	s_mov_b32 s23, s20
	s_load_b32 s25, s[0:1], 0x0
	v_cmp_eq_u32_e64 s7, 0, v37
	v_xor_b32_e32 v119, v4, v14
	v_cndmask_b32_e64 v5, 0x7fffffff, 0, vcc_lo
	v_cmp_gt_i32_e32 vcc_lo, 0, v16
	v_lshlrev_b32_e32 v4, 5, v26
	v_and_b32_e32 v14, 15, v37
	v_lshrrev_b32_e32 v101, 5, v27
	v_xor_b32_e32 v116, v5, v15
	v_cndmask_b32_e64 v8, 0x7fffffff, 0, vcc_lo
	v_cmp_gt_i32_e32 vcc_lo, 0, v17
	v_and_b32_e32 v15, 0x3e0, v26
	v_mov_b32_e32 v5, 0
	v_cmp_lt_u32_e64 s0, 1, v14
	v_xor_b32_e32 v117, v8, v16
	v_add_nc_u32_e32 v16, -1, v37
	v_cndmask_b32_e64 v9, 0x7fffffff, 0, vcc_lo
	v_add_co_u32 v28, vcc_lo, v12, 32
	v_add_co_ci_u32_e32 v100, vcc_lo, 0, v13, vcc_lo
	v_add_co_u32 v8, vcc_lo, v12, v4
	v_cmp_gt_i32_e64 s4, 0, v16
	v_xor_b32_e32 v118, v9, v17
	v_add_co_ci_u32_e32 v9, vcc_lo, 0, v13, vcc_lo
	v_add_co_u32 v31, vcc_lo, v28, v4
	v_min_u32_e32 v4, 0xe0, v15
	v_and_b32_e32 v15, 16, v37
	v_add_co_ci_u32_e32 v32, vcc_lo, 0, v100, vcc_lo
	v_cmp_eq_u32_e32 vcc_lo, 0, v14
	v_cmp_lt_u32_e64 s1, 3, v14
	v_cmp_lt_u32_e64 s2, 7, v14
	v_cndmask_b32_e64 v14, v16, v37, s4
	v_or_b32_e32 v4, 31, v4
	v_cmp_eq_u32_e64 s3, 0, v15
	v_lshrrev_b32_e32 v15, 5, v26
	v_and_b32_e32 v16, 7, v37
	v_lshlrev_b32_e32 v102, 2, v14
	v_lshlrev_b32_e32 v14, 2, v26
	v_cmp_eq_u32_e64 s4, v4, v26
	v_lshlrev_b32_e32 v4, 2, v15
	v_cmp_lt_u32_e64 s14, 1, v16
	v_cmp_lt_u32_e64 s15, 3, v16
	v_and_or_b32 v17, 0xf80, v14, v37
	v_cmp_gt_u32_e64 s5, 8, v26
	v_add_co_u32 v33, s11, v12, v4
	v_add_nc_u32_e32 v4, -1, v15
	s_delay_alu instid0(VALU_DEP_4) | instskip(SKIP_2) | instid1(VALU_DEP_4)
	v_lshlrev_b32_e32 v17, 2, v17
	v_add_co_ci_u32_e64 v34, s11, 0, v13, s11
	v_add_co_u32 v35, s11, v12, v14
	v_lshlrev_b64 v[14:15], 2, v[4:5]
	s_delay_alu instid0(VALU_DEP_4) | instskip(NEXT) | instid1(VALU_DEP_1)
	v_add_co_u32 v37, s16, v12, v17
	v_add_co_ci_u32_e64 v38, s16, 0, v13, s16
	v_add_co_ci_u32_e64 v36, s11, 0, v13, s11
	s_delay_alu instid0(VALU_DEP_4) | instskip(NEXT) | instid1(VALU_DEP_1)
	v_add_co_u32 v48, s16, v12, v14
	v_add_co_ci_u32_e64 v49, s16, v13, v15, s16
	v_add_co_u32 v50, s16, v37, v17
	v_cmp_eq_u32_e64 s11, 0, v16
	v_dual_mov_b32 v14, s20 :: v_dual_mov_b32 v17, s23
	v_cmp_lt_u32_e64 s6, 31, v26
	v_cmp_eq_u32_e64 s10, 0, v26
	v_add_co_ci_u32_e64 v51, s16, 0, v38, s16
	v_sub_nc_u32_e32 v103, v11, v10
	v_dual_mov_b32 v15, s21 :: v_dual_mov_b32 v16, s22
	s_waitcnt lgkmcnt(0)
	s_waitcnt_vscnt null, 0x0
	s_barrier
	buffer_gl0_inv
	s_branch .LBB1332_96
.LBB1332_95:                            ;   in Loop: Header=BB1332_96 Depth=1
	s_or_b32 exec_lo, exec_lo, s17
	s_delay_alu instid0(SALU_CYCLE_1) | instskip(NEXT) | instid1(SALU_CYCLE_1)
	s_and_b32 s16, exec_lo, s18
	s_or_b32 s20, s16, s20
	s_delay_alu instid0(SALU_CYCLE_1)
	s_and_not1_b32 exec_lo, exec_lo, s20
	s_cbranch_execz .LBB1332_126
.LBB1332_96:                            ; =>This Inner Loop Header: Depth=1
	v_mov_b32_e32 v112, v119
	v_min_u32_e32 v4, s25, v103
	s_clause 0x1
	flat_store_b128 v[8:9], v[14:17] offset:32
	flat_store_b128 v[31:32], v[14:17] offset:16
	s_waitcnt lgkmcnt(0)
	s_waitcnt_vscnt null, 0x0
	s_barrier
	v_cmp_ne_u32_e64 s16, 0x80000000, v112
	v_lshlrev_b32_e64 v4, v4, -1
	buffer_gl0_inv
	; wave barrier
	v_cndmask_b32_e64 v52, 0x7fffffff, v112, s16
	v_not_b32_e32 v82, v4
	v_mov_b32_e32 v113, v118
	v_dual_mov_b32 v115, v116 :: v_dual_mov_b32 v114, v117
	s_delay_alu instid0(VALU_DEP_4) | instskip(NEXT) | instid1(VALU_DEP_1)
	v_lshrrev_b32_e32 v4, v10, v52
	v_and_b32_e32 v4, v4, v82
	s_delay_alu instid0(VALU_DEP_1)
	v_and_b32_e32 v52, 1, v4
	v_lshlrev_b32_e32 v53, 30, v4
	v_lshlrev_b32_e32 v54, 29, v4
	;; [unrolled: 1-line block ×4, first 2 shown]
	v_add_co_u32 v52, s16, v52, -1
	s_delay_alu instid0(VALU_DEP_1)
	v_cndmask_b32_e64 v64, 0, 1, s16
	v_not_b32_e32 v68, v53
	v_cmp_gt_i32_e64 s17, 0, v53
	v_not_b32_e32 v53, v54
	v_lshlrev_b32_e32 v66, 26, v4
	v_cmp_ne_u32_e64 s16, 0, v64
	v_ashrrev_i32_e32 v68, 31, v68
	v_lshlrev_b32_e32 v64, 24, v4
	v_ashrrev_i32_e32 v53, 31, v53
	v_lshlrev_b32_e32 v67, 25, v4
	v_xor_b32_e32 v52, s16, v52
	v_cmp_gt_i32_e64 s16, 0, v54
	v_not_b32_e32 v54, v55
	v_xor_b32_e32 v68, s17, v68
	v_cmp_gt_i32_e64 s17, 0, v55
	v_and_b32_e32 v52, exec_lo, v52
	v_xor_b32_e32 v53, s16, v53
	v_ashrrev_i32_e32 v54, 31, v54
	v_not_b32_e32 v55, v65
	v_cmp_gt_i32_e64 s16, 0, v65
	v_and_b32_e32 v52, v52, v68
	v_not_b32_e32 v65, v66
	v_xor_b32_e32 v54, s17, v54
	v_ashrrev_i32_e32 v55, 31, v55
	v_cmp_gt_i32_e64 s17, 0, v66
	v_and_b32_e32 v52, v52, v53
	v_ashrrev_i32_e32 v65, 31, v65
	v_lshl_add_u32 v4, v4, 3, v101
	v_xor_b32_e32 v55, s16, v55
	s_delay_alu instid0(VALU_DEP_4) | instskip(SKIP_3) | instid1(VALU_DEP_4)
	v_and_b32_e32 v52, v52, v54
	v_not_b32_e32 v54, v64
	v_xor_b32_e32 v65, s17, v65
	v_cmp_gt_i32_e64 s17, 0, v64
	v_and_b32_e32 v52, v52, v55
	s_delay_alu instid0(VALU_DEP_4) | instskip(NEXT) | instid1(VALU_DEP_2)
	v_ashrrev_i32_e32 v54, 31, v54
	v_and_b32_e32 v52, v52, v65
	s_delay_alu instid0(VALU_DEP_2)
	v_xor_b32_e32 v64, s17, v54
	v_dual_mov_b32 v55, v21 :: v_dual_mov_b32 v54, v20
	v_not_b32_e32 v53, v67
	v_cmp_gt_i32_e64 s16, 0, v67
	v_dual_mov_b32 v67, v19 :: v_dual_mov_b32 v66, v18
	v_lshlrev_b64 v[19:20], 2, v[4:5]
	s_delay_alu instid0(VALU_DEP_4) | instskip(NEXT) | instid1(VALU_DEP_2)
	v_ashrrev_i32_e32 v53, 31, v53
	v_add_co_u32 v68, s18, v28, v19
	s_delay_alu instid0(VALU_DEP_2) | instskip(NEXT) | instid1(VALU_DEP_4)
	v_xor_b32_e32 v53, s16, v53
	v_add_co_ci_u32_e64 v69, s18, v100, v20, s18
	s_delay_alu instid0(VALU_DEP_2) | instskip(SKIP_1) | instid1(VALU_DEP_2)
	v_and_b32_e32 v65, v52, v53
	v_dual_mov_b32 v53, v23 :: v_dual_mov_b32 v52, v22
	v_and_b32_e32 v18, v65, v64
	v_dual_mov_b32 v65, v25 :: v_dual_mov_b32 v64, v24
	s_delay_alu instid0(VALU_DEP_2) | instskip(SKIP_1) | instid1(VALU_DEP_2)
	v_mbcnt_lo_u32_b32 v84, v18, 0
	v_cmp_ne_u32_e64 s16, 0, v18
	v_cmp_eq_u32_e64 s17, 0, v84
	s_delay_alu instid0(VALU_DEP_1) | instskip(NEXT) | instid1(SALU_CYCLE_1)
	s_and_b32 s17, s16, s17
	s_and_saveexec_b32 s16, s17
	s_cbranch_execz .LBB1332_98
; %bb.97:                               ;   in Loop: Header=BB1332_96 Depth=1
	v_bcnt_u32_b32 v4, v18, 0
	flat_store_b32 v[68:69], v4
.LBB1332_98:                            ;   in Loop: Header=BB1332_96 Depth=1
	s_or_b32 exec_lo, exec_lo, s16
	v_cmp_ne_u32_e64 s16, 0x80000000, v115
	; wave barrier
	s_delay_alu instid0(VALU_DEP_1) | instskip(NEXT) | instid1(VALU_DEP_1)
	v_cndmask_b32_e64 v4, 0x7fffffff, v115, s16
	v_lshrrev_b32_e32 v4, v10, v4
	s_delay_alu instid0(VALU_DEP_1) | instskip(NEXT) | instid1(VALU_DEP_1)
	v_and_b32_e32 v20, v4, v82
	v_lshl_add_u32 v4, v20, 3, v101
	v_lshlrev_b32_e32 v21, 29, v20
	v_lshlrev_b32_e32 v22, 28, v20
	s_delay_alu instid0(VALU_DEP_3) | instskip(SKIP_1) | instid1(VALU_DEP_2)
	v_lshlrev_b64 v[18:19], 2, v[4:5]
	v_and_b32_e32 v4, 1, v20
	v_add_co_u32 v70, s16, v28, v18
	s_delay_alu instid0(VALU_DEP_1) | instskip(NEXT) | instid1(VALU_DEP_3)
	v_add_co_ci_u32_e64 v71, s16, v100, v19, s16
	v_add_co_u32 v4, s16, v4, -1
	s_delay_alu instid0(VALU_DEP_1) | instskip(SKIP_3) | instid1(VALU_DEP_2)
	v_cndmask_b32_e64 v18, 0, 1, s16
	flat_load_b32 v85, v[70:71]
	v_lshlrev_b32_e32 v19, 30, v20
	; wave barrier
	v_cmp_ne_u32_e64 s16, 0, v18
	v_not_b32_e32 v18, v19
	s_delay_alu instid0(VALU_DEP_2) | instskip(SKIP_1) | instid1(VALU_DEP_3)
	v_xor_b32_e32 v4, s16, v4
	v_cmp_gt_i32_e64 s16, 0, v19
	v_ashrrev_i32_e32 v18, 31, v18
	v_not_b32_e32 v19, v21
	s_delay_alu instid0(VALU_DEP_4) | instskip(NEXT) | instid1(VALU_DEP_3)
	v_and_b32_e32 v4, exec_lo, v4
	v_xor_b32_e32 v18, s16, v18
	v_cmp_gt_i32_e64 s16, 0, v21
	s_delay_alu instid0(VALU_DEP_4) | instskip(SKIP_1) | instid1(VALU_DEP_4)
	v_ashrrev_i32_e32 v19, 31, v19
	v_not_b32_e32 v21, v22
	v_and_b32_e32 v4, v4, v18
	v_lshlrev_b32_e32 v18, 27, v20
	s_delay_alu instid0(VALU_DEP_4) | instskip(SKIP_2) | instid1(VALU_DEP_4)
	v_xor_b32_e32 v19, s16, v19
	v_cmp_gt_i32_e64 s16, 0, v22
	v_ashrrev_i32_e32 v21, 31, v21
	v_not_b32_e32 v22, v18
	s_delay_alu instid0(VALU_DEP_4) | instskip(SKIP_1) | instid1(VALU_DEP_4)
	v_and_b32_e32 v4, v4, v19
	v_lshlrev_b32_e32 v19, 26, v20
	v_xor_b32_e32 v21, s16, v21
	v_cmp_gt_i32_e64 s16, 0, v18
	v_ashrrev_i32_e32 v18, 31, v22
	s_delay_alu instid0(VALU_DEP_4) | instskip(NEXT) | instid1(VALU_DEP_4)
	v_not_b32_e32 v22, v19
	v_and_b32_e32 v4, v4, v21
	v_lshlrev_b32_e32 v21, 25, v20
	s_delay_alu instid0(VALU_DEP_4) | instskip(SKIP_2) | instid1(VALU_DEP_4)
	v_xor_b32_e32 v18, s16, v18
	v_cmp_gt_i32_e64 s16, 0, v19
	v_ashrrev_i32_e32 v19, 31, v22
	v_not_b32_e32 v22, v21
	s_delay_alu instid0(VALU_DEP_4) | instskip(SKIP_1) | instid1(VALU_DEP_4)
	v_and_b32_e32 v4, v4, v18
	v_lshlrev_b32_e32 v18, 24, v20
	v_xor_b32_e32 v19, s16, v19
	v_cmp_gt_i32_e64 s16, 0, v21
	v_ashrrev_i32_e32 v20, 31, v22
	s_delay_alu instid0(VALU_DEP_4) | instskip(NEXT) | instid1(VALU_DEP_4)
	v_not_b32_e32 v21, v18
	v_and_b32_e32 v4, v4, v19
	s_delay_alu instid0(VALU_DEP_3) | instskip(SKIP_1) | instid1(VALU_DEP_4)
	v_xor_b32_e32 v19, s16, v20
	v_cmp_gt_i32_e64 s16, 0, v18
	v_ashrrev_i32_e32 v18, 31, v21
	s_delay_alu instid0(VALU_DEP_3) | instskip(NEXT) | instid1(VALU_DEP_2)
	v_and_b32_e32 v4, v4, v19
	v_xor_b32_e32 v18, s16, v18
	s_delay_alu instid0(VALU_DEP_1) | instskip(NEXT) | instid1(VALU_DEP_1)
	v_and_b32_e32 v4, v4, v18
	v_mbcnt_lo_u32_b32 v86, v4, 0
	v_cmp_ne_u32_e64 s17, 0, v4
	s_delay_alu instid0(VALU_DEP_2) | instskip(NEXT) | instid1(VALU_DEP_1)
	v_cmp_eq_u32_e64 s16, 0, v86
	s_and_b32 s17, s17, s16
	s_delay_alu instid0(SALU_CYCLE_1)
	s_and_saveexec_b32 s16, s17
	s_cbranch_execz .LBB1332_100
; %bb.99:                               ;   in Loop: Header=BB1332_96 Depth=1
	s_waitcnt vmcnt(0) lgkmcnt(0)
	v_bcnt_u32_b32 v4, v4, v85
	flat_store_b32 v[70:71], v4
.LBB1332_100:                           ;   in Loop: Header=BB1332_96 Depth=1
	s_or_b32 exec_lo, exec_lo, s16
	v_cmp_ne_u32_e64 s16, 0x80000000, v114
	; wave barrier
	s_delay_alu instid0(VALU_DEP_1) | instskip(NEXT) | instid1(VALU_DEP_1)
	v_cndmask_b32_e64 v4, 0x7fffffff, v114, s16
	v_lshrrev_b32_e32 v4, v10, v4
	s_delay_alu instid0(VALU_DEP_1) | instskip(NEXT) | instid1(VALU_DEP_1)
	v_and_b32_e32 v20, v4, v82
	v_lshl_add_u32 v4, v20, 3, v101
	v_lshlrev_b32_e32 v21, 29, v20
	v_lshlrev_b32_e32 v22, 28, v20
	s_delay_alu instid0(VALU_DEP_3) | instskip(SKIP_1) | instid1(VALU_DEP_2)
	v_lshlrev_b64 v[18:19], 2, v[4:5]
	v_and_b32_e32 v4, 1, v20
	v_add_co_u32 v80, s16, v28, v18
	s_delay_alu instid0(VALU_DEP_1) | instskip(NEXT) | instid1(VALU_DEP_3)
	v_add_co_ci_u32_e64 v81, s16, v100, v19, s16
	v_add_co_u32 v4, s16, v4, -1
	s_delay_alu instid0(VALU_DEP_1) | instskip(SKIP_3) | instid1(VALU_DEP_2)
	v_cndmask_b32_e64 v18, 0, 1, s16
	flat_load_b32 v87, v[80:81]
	v_lshlrev_b32_e32 v19, 30, v20
	; wave barrier
	v_cmp_ne_u32_e64 s16, 0, v18
	v_not_b32_e32 v18, v19
	s_delay_alu instid0(VALU_DEP_2) | instskip(SKIP_1) | instid1(VALU_DEP_3)
	v_xor_b32_e32 v4, s16, v4
	v_cmp_gt_i32_e64 s16, 0, v19
	v_ashrrev_i32_e32 v18, 31, v18
	v_not_b32_e32 v19, v21
	s_delay_alu instid0(VALU_DEP_4) | instskip(NEXT) | instid1(VALU_DEP_3)
	v_and_b32_e32 v4, exec_lo, v4
	v_xor_b32_e32 v18, s16, v18
	v_cmp_gt_i32_e64 s16, 0, v21
	s_delay_alu instid0(VALU_DEP_4) | instskip(SKIP_1) | instid1(VALU_DEP_4)
	v_ashrrev_i32_e32 v19, 31, v19
	v_not_b32_e32 v21, v22
	v_and_b32_e32 v4, v4, v18
	v_lshlrev_b32_e32 v18, 27, v20
	s_delay_alu instid0(VALU_DEP_4) | instskip(SKIP_2) | instid1(VALU_DEP_4)
	v_xor_b32_e32 v19, s16, v19
	v_cmp_gt_i32_e64 s16, 0, v22
	v_ashrrev_i32_e32 v21, 31, v21
	v_not_b32_e32 v22, v18
	s_delay_alu instid0(VALU_DEP_4) | instskip(SKIP_1) | instid1(VALU_DEP_4)
	v_and_b32_e32 v4, v4, v19
	v_lshlrev_b32_e32 v19, 26, v20
	v_xor_b32_e32 v21, s16, v21
	v_cmp_gt_i32_e64 s16, 0, v18
	v_ashrrev_i32_e32 v18, 31, v22
	s_delay_alu instid0(VALU_DEP_4) | instskip(NEXT) | instid1(VALU_DEP_4)
	v_not_b32_e32 v22, v19
	v_and_b32_e32 v4, v4, v21
	v_lshlrev_b32_e32 v21, 25, v20
	s_delay_alu instid0(VALU_DEP_4) | instskip(SKIP_2) | instid1(VALU_DEP_4)
	v_xor_b32_e32 v18, s16, v18
	v_cmp_gt_i32_e64 s16, 0, v19
	v_ashrrev_i32_e32 v19, 31, v22
	v_not_b32_e32 v22, v21
	s_delay_alu instid0(VALU_DEP_4) | instskip(SKIP_1) | instid1(VALU_DEP_4)
	v_and_b32_e32 v4, v4, v18
	v_lshlrev_b32_e32 v18, 24, v20
	v_xor_b32_e32 v19, s16, v19
	v_cmp_gt_i32_e64 s16, 0, v21
	v_ashrrev_i32_e32 v20, 31, v22
	s_delay_alu instid0(VALU_DEP_4) | instskip(NEXT) | instid1(VALU_DEP_4)
	v_not_b32_e32 v21, v18
	v_and_b32_e32 v4, v4, v19
	s_delay_alu instid0(VALU_DEP_3) | instskip(SKIP_1) | instid1(VALU_DEP_4)
	v_xor_b32_e32 v19, s16, v20
	v_cmp_gt_i32_e64 s16, 0, v18
	v_ashrrev_i32_e32 v18, 31, v21
	s_delay_alu instid0(VALU_DEP_3) | instskip(NEXT) | instid1(VALU_DEP_2)
	v_and_b32_e32 v4, v4, v19
	v_xor_b32_e32 v18, s16, v18
	s_delay_alu instid0(VALU_DEP_1) | instskip(NEXT) | instid1(VALU_DEP_1)
	v_and_b32_e32 v4, v4, v18
	v_mbcnt_lo_u32_b32 v96, v4, 0
	v_cmp_ne_u32_e64 s17, 0, v4
	s_delay_alu instid0(VALU_DEP_2) | instskip(NEXT) | instid1(VALU_DEP_1)
	v_cmp_eq_u32_e64 s16, 0, v96
	s_and_b32 s17, s17, s16
	s_delay_alu instid0(SALU_CYCLE_1)
	s_and_saveexec_b32 s16, s17
	s_cbranch_execz .LBB1332_102
; %bb.101:                              ;   in Loop: Header=BB1332_96 Depth=1
	s_waitcnt vmcnt(0) lgkmcnt(0)
	v_bcnt_u32_b32 v4, v4, v87
	flat_store_b32 v[80:81], v4
.LBB1332_102:                           ;   in Loop: Header=BB1332_96 Depth=1
	s_or_b32 exec_lo, exec_lo, s16
	v_cmp_ne_u32_e64 s16, 0x80000000, v113
	; wave barrier
	s_delay_alu instid0(VALU_DEP_1) | instskip(NEXT) | instid1(VALU_DEP_1)
	v_cndmask_b32_e64 v4, 0x7fffffff, v113, s16
	v_lshrrev_b32_e32 v4, v10, v4
	s_delay_alu instid0(VALU_DEP_1) | instskip(NEXT) | instid1(VALU_DEP_1)
	v_and_b32_e32 v20, v4, v82
	v_lshl_add_u32 v4, v20, 3, v101
	v_lshlrev_b32_e32 v21, 29, v20
	v_lshlrev_b32_e32 v22, 28, v20
	s_delay_alu instid0(VALU_DEP_3) | instskip(SKIP_1) | instid1(VALU_DEP_2)
	v_lshlrev_b64 v[18:19], 2, v[4:5]
	v_and_b32_e32 v4, 1, v20
	v_add_co_u32 v82, s16, v28, v18
	s_delay_alu instid0(VALU_DEP_1) | instskip(NEXT) | instid1(VALU_DEP_3)
	v_add_co_ci_u32_e64 v83, s16, v100, v19, s16
	v_add_co_u32 v4, s16, v4, -1
	s_delay_alu instid0(VALU_DEP_1) | instskip(SKIP_3) | instid1(VALU_DEP_2)
	v_cndmask_b32_e64 v18, 0, 1, s16
	flat_load_b32 v97, v[82:83]
	v_lshlrev_b32_e32 v19, 30, v20
	; wave barrier
	v_cmp_ne_u32_e64 s16, 0, v18
	v_not_b32_e32 v18, v19
	s_delay_alu instid0(VALU_DEP_2) | instskip(SKIP_1) | instid1(VALU_DEP_3)
	v_xor_b32_e32 v4, s16, v4
	v_cmp_gt_i32_e64 s16, 0, v19
	v_ashrrev_i32_e32 v18, 31, v18
	v_not_b32_e32 v19, v21
	s_delay_alu instid0(VALU_DEP_4) | instskip(NEXT) | instid1(VALU_DEP_3)
	v_and_b32_e32 v4, exec_lo, v4
	v_xor_b32_e32 v18, s16, v18
	v_cmp_gt_i32_e64 s16, 0, v21
	s_delay_alu instid0(VALU_DEP_4) | instskip(SKIP_1) | instid1(VALU_DEP_4)
	v_ashrrev_i32_e32 v19, 31, v19
	v_not_b32_e32 v21, v22
	v_and_b32_e32 v4, v4, v18
	v_lshlrev_b32_e32 v18, 27, v20
	s_delay_alu instid0(VALU_DEP_4) | instskip(SKIP_2) | instid1(VALU_DEP_4)
	v_xor_b32_e32 v19, s16, v19
	v_cmp_gt_i32_e64 s16, 0, v22
	v_ashrrev_i32_e32 v21, 31, v21
	v_not_b32_e32 v22, v18
	s_delay_alu instid0(VALU_DEP_4) | instskip(SKIP_1) | instid1(VALU_DEP_4)
	v_and_b32_e32 v4, v4, v19
	v_lshlrev_b32_e32 v19, 26, v20
	v_xor_b32_e32 v21, s16, v21
	v_cmp_gt_i32_e64 s16, 0, v18
	v_ashrrev_i32_e32 v18, 31, v22
	s_delay_alu instid0(VALU_DEP_4) | instskip(NEXT) | instid1(VALU_DEP_4)
	v_not_b32_e32 v22, v19
	v_and_b32_e32 v4, v4, v21
	v_lshlrev_b32_e32 v21, 25, v20
	s_delay_alu instid0(VALU_DEP_4) | instskip(SKIP_2) | instid1(VALU_DEP_4)
	v_xor_b32_e32 v18, s16, v18
	v_cmp_gt_i32_e64 s16, 0, v19
	v_ashrrev_i32_e32 v19, 31, v22
	v_not_b32_e32 v22, v21
	s_delay_alu instid0(VALU_DEP_4) | instskip(SKIP_1) | instid1(VALU_DEP_4)
	v_and_b32_e32 v4, v4, v18
	v_lshlrev_b32_e32 v18, 24, v20
	v_xor_b32_e32 v19, s16, v19
	v_cmp_gt_i32_e64 s16, 0, v21
	v_ashrrev_i32_e32 v20, 31, v22
	s_delay_alu instid0(VALU_DEP_4) | instskip(NEXT) | instid1(VALU_DEP_4)
	v_not_b32_e32 v21, v18
	v_and_b32_e32 v4, v4, v19
	s_delay_alu instid0(VALU_DEP_3) | instskip(SKIP_1) | instid1(VALU_DEP_4)
	v_xor_b32_e32 v19, s16, v20
	v_cmp_gt_i32_e64 s16, 0, v18
	v_ashrrev_i32_e32 v18, 31, v21
	s_delay_alu instid0(VALU_DEP_3) | instskip(NEXT) | instid1(VALU_DEP_2)
	v_and_b32_e32 v4, v4, v19
	v_xor_b32_e32 v18, s16, v18
	s_delay_alu instid0(VALU_DEP_1) | instskip(NEXT) | instid1(VALU_DEP_1)
	v_and_b32_e32 v4, v4, v18
	v_mbcnt_lo_u32_b32 v98, v4, 0
	v_cmp_ne_u32_e64 s17, 0, v4
	s_delay_alu instid0(VALU_DEP_2) | instskip(NEXT) | instid1(VALU_DEP_1)
	v_cmp_eq_u32_e64 s16, 0, v98
	s_and_b32 s17, s17, s16
	s_delay_alu instid0(SALU_CYCLE_1)
	s_and_saveexec_b32 s16, s17
	s_cbranch_execz .LBB1332_104
; %bb.103:                              ;   in Loop: Header=BB1332_96 Depth=1
	s_waitcnt vmcnt(0) lgkmcnt(0)
	v_bcnt_u32_b32 v4, v4, v97
	flat_store_b32 v[82:83], v4
.LBB1332_104:                           ;   in Loop: Header=BB1332_96 Depth=1
	s_or_b32 exec_lo, exec_lo, s16
	; wave barrier
	s_waitcnt vmcnt(0) lgkmcnt(0)
	s_waitcnt_vscnt null, 0x0
	s_barrier
	buffer_gl0_inv
	s_clause 0x1
	flat_load_b128 v[22:25], v[8:9] offset:32
	flat_load_b128 v[18:21], v[31:32] offset:16
	s_waitcnt vmcnt(1) lgkmcnt(1)
	v_add_nc_u32_e32 v4, v23, v22
	s_delay_alu instid0(VALU_DEP_1) | instskip(SKIP_1) | instid1(VALU_DEP_1)
	v_add3_u32 v4, v4, v24, v25
	s_waitcnt vmcnt(0) lgkmcnt(0)
	v_add3_u32 v4, v4, v18, v19
	s_delay_alu instid0(VALU_DEP_1) | instskip(NEXT) | instid1(VALU_DEP_1)
	v_add3_u32 v4, v4, v20, v21
	v_mov_b32_dpp v21, v4 row_shr:1 row_mask:0xf bank_mask:0xf
	s_delay_alu instid0(VALU_DEP_1) | instskip(NEXT) | instid1(VALU_DEP_1)
	v_cndmask_b32_e64 v21, v21, 0, vcc_lo
	v_add_nc_u32_e32 v4, v21, v4
	s_delay_alu instid0(VALU_DEP_1) | instskip(NEXT) | instid1(VALU_DEP_1)
	v_mov_b32_dpp v21, v4 row_shr:2 row_mask:0xf bank_mask:0xf
	v_cndmask_b32_e64 v21, 0, v21, s0
	s_delay_alu instid0(VALU_DEP_1) | instskip(NEXT) | instid1(VALU_DEP_1)
	v_add_nc_u32_e32 v4, v4, v21
	v_mov_b32_dpp v21, v4 row_shr:4 row_mask:0xf bank_mask:0xf
	s_delay_alu instid0(VALU_DEP_1) | instskip(NEXT) | instid1(VALU_DEP_1)
	v_cndmask_b32_e64 v21, 0, v21, s1
	v_add_nc_u32_e32 v4, v4, v21
	s_delay_alu instid0(VALU_DEP_1) | instskip(NEXT) | instid1(VALU_DEP_1)
	v_mov_b32_dpp v21, v4 row_shr:8 row_mask:0xf bank_mask:0xf
	v_cndmask_b32_e64 v21, 0, v21, s2
	s_delay_alu instid0(VALU_DEP_1) | instskip(SKIP_3) | instid1(VALU_DEP_1)
	v_add_nc_u32_e32 v4, v4, v21
	ds_swizzle_b32 v21, v4 offset:swizzle(BROADCAST,32,15)
	s_waitcnt lgkmcnt(0)
	v_cndmask_b32_e64 v21, v21, 0, s3
	v_add_nc_u32_e32 v4, v4, v21
	s_and_saveexec_b32 s16, s4
	s_cbranch_execz .LBB1332_106
; %bb.105:                              ;   in Loop: Header=BB1332_96 Depth=1
	flat_store_b32 v[33:34], v4
.LBB1332_106:                           ;   in Loop: Header=BB1332_96 Depth=1
	s_or_b32 exec_lo, exec_lo, s16
	s_waitcnt lgkmcnt(0)
	s_waitcnt_vscnt null, 0x0
	s_barrier
	buffer_gl0_inv
	s_and_saveexec_b32 s16, s5
	s_cbranch_execz .LBB1332_108
; %bb.107:                              ;   in Loop: Header=BB1332_96 Depth=1
	flat_load_b32 v21, v[35:36]
	s_waitcnt vmcnt(0) lgkmcnt(0)
	v_mov_b32_dpp v99, v21 row_shr:1 row_mask:0xf bank_mask:0xf
	s_delay_alu instid0(VALU_DEP_1) | instskip(NEXT) | instid1(VALU_DEP_1)
	v_cndmask_b32_e64 v99, v99, 0, s11
	v_add_nc_u32_e32 v21, v99, v21
	s_delay_alu instid0(VALU_DEP_1) | instskip(NEXT) | instid1(VALU_DEP_1)
	v_mov_b32_dpp v99, v21 row_shr:2 row_mask:0xf bank_mask:0xf
	v_cndmask_b32_e64 v99, 0, v99, s14
	s_delay_alu instid0(VALU_DEP_1) | instskip(NEXT) | instid1(VALU_DEP_1)
	v_add_nc_u32_e32 v21, v21, v99
	v_mov_b32_dpp v99, v21 row_shr:4 row_mask:0xf bank_mask:0xf
	s_delay_alu instid0(VALU_DEP_1) | instskip(NEXT) | instid1(VALU_DEP_1)
	v_cndmask_b32_e64 v99, 0, v99, s15
	v_add_nc_u32_e32 v21, v21, v99
	flat_store_b32 v[35:36], v21
.LBB1332_108:                           ;   in Loop: Header=BB1332_96 Depth=1
	s_or_b32 exec_lo, exec_lo, s16
	v_mov_b32_e32 v21, 0
	s_waitcnt lgkmcnt(0)
	s_waitcnt_vscnt null, 0x0
	s_barrier
	buffer_gl0_inv
	s_and_saveexec_b32 s16, s6
	s_cbranch_execz .LBB1332_110
; %bb.109:                              ;   in Loop: Header=BB1332_96 Depth=1
	flat_load_b32 v21, v[48:49]
.LBB1332_110:                           ;   in Loop: Header=BB1332_96 Depth=1
	s_or_b32 exec_lo, exec_lo, s16
	s_waitcnt vmcnt(0) lgkmcnt(0)
	v_add_nc_u32_e32 v4, v21, v4
	v_add_nc_u32_e32 v10, 8, v10
	s_mov_b32 s18, -1
	ds_bpermute_b32 v4, v102, v4
	s_waitcnt lgkmcnt(0)
	v_cndmask_b32_e64 v4, v4, v21, s7
	s_delay_alu instid0(VALU_DEP_1) | instskip(NEXT) | instid1(VALU_DEP_1)
	v_cndmask_b32_e64 v21, v4, 0, s10
	v_add_nc_u32_e32 v22, v21, v22
	s_delay_alu instid0(VALU_DEP_1) | instskip(NEXT) | instid1(VALU_DEP_1)
	v_add_nc_u32_e32 v23, v22, v23
	v_add_nc_u32_e32 v24, v23, v24
	s_delay_alu instid0(VALU_DEP_1) | instskip(NEXT) | instid1(VALU_DEP_1)
	v_add_nc_u32_e32 v116, v24, v25
	v_add_nc_u32_e32 v117, v116, v18
	s_delay_alu instid0(VALU_DEP_1) | instskip(SKIP_1) | instid1(VALU_DEP_2)
	v_add_nc_u32_e32 v118, v117, v19
	v_mov_b32_e32 v19, v5
	v_add_nc_u32_e32 v119, v118, v20
	s_clause 0x1
	flat_store_b128 v[8:9], v[21:24] offset:32
	flat_store_b128 v[31:32], v[116:119] offset:16
	v_mov_b32_e32 v21, v5
	s_waitcnt lgkmcnt(0)
	s_waitcnt_vscnt null, 0x0
	s_barrier
	buffer_gl0_inv
	s_clause 0x3
	flat_load_b32 v4, v[68:69]
	flat_load_b32 v18, v[70:71]
	;; [unrolled: 1-line block ×4, first 2 shown]
	v_mov_b32_e32 v23, v5
	v_cmp_lt_u32_e64 s16, v10, v11
	s_waitcnt vmcnt(0) lgkmcnt(0)
	s_waitcnt_vscnt null, 0x0
                                        ; implicit-def: $vgpr118
                                        ; implicit-def: $vgpr117
                                        ; implicit-def: $vgpr116
                                        ; implicit-def: $vgpr119
                                        ; implicit-def: $vgpr24_vgpr25
	s_waitcnt vmcnt(3) lgkmcnt(3)
	v_add_nc_u32_e32 v4, v4, v84
	s_waitcnt vmcnt(2) lgkmcnt(2)
	v_add3_u32 v18, v86, v85, v18
	s_waitcnt vmcnt(1) lgkmcnt(1)
	v_add3_u32 v20, v96, v87, v20
	;; [unrolled: 2-line block ×3, first 2 shown]
	v_lshlrev_b64 v[86:87], 2, v[4:5]
	v_lshlrev_b64 v[82:83], 2, v[18:19]
	;; [unrolled: 1-line block ×3, first 2 shown]
	s_delay_alu instid0(VALU_DEP_4) | instskip(NEXT) | instid1(VALU_DEP_4)
	v_lshlrev_b64 v[68:69], 2, v[22:23]
                                        ; implicit-def: $vgpr18_vgpr19
                                        ; implicit-def: $vgpr20_vgpr21
                                        ; implicit-def: $vgpr22_vgpr23
	v_add_co_u32 v98, s17, v12, v86
	s_delay_alu instid0(VALU_DEP_1) | instskip(SKIP_1) | instid1(VALU_DEP_1)
	v_add_co_ci_u32_e64 v99, s17, v13, v87, s17
	v_add_co_u32 v96, s17, v12, v82
	v_add_co_ci_u32_e64 v97, s17, v13, v83, s17
	v_add_co_u32 v84, s17, v12, v70
	s_delay_alu instid0(VALU_DEP_1) | instskip(SKIP_1) | instid1(VALU_DEP_1)
	v_add_co_ci_u32_e64 v85, s17, v13, v71, s17
	v_add_co_u32 v80, s17, v12, v68
	v_add_co_ci_u32_e64 v81, s17, v13, v69, s17
	s_and_saveexec_b32 s17, s16
	s_cbranch_execz .LBB1332_95
; %bb.111:                              ;   in Loop: Header=BB1332_96 Depth=1
	v_add_co_u32 v18, s16, v98, v86
	s_delay_alu instid0(VALU_DEP_1) | instskip(SKIP_1) | instid1(VALU_DEP_1)
	v_add_co_ci_u32_e64 v19, s16, v99, v87, s16
	v_add_co_u32 v20, s16, v96, v82
	v_add_co_ci_u32_e64 v21, s16, v97, v83, s16
	v_add_co_u32 v22, s16, v84, v70
	s_delay_alu instid0(VALU_DEP_1) | instskip(SKIP_1) | instid1(VALU_DEP_1)
	v_add_co_ci_u32_e64 v23, s16, v85, v71, s16
	v_add_co_u32 v24, s16, v80, v68
	v_add_co_ci_u32_e64 v25, s16, v81, v69, s16
	s_barrier
	buffer_gl0_inv
	s_clause 0x3
	flat_store_b32 v[98:99], v112
	flat_store_b32 v[96:97], v115
	;; [unrolled: 1-line block ×4, first 2 shown]
	s_waitcnt lgkmcnt(0)
	s_waitcnt_vscnt null, 0x0
	s_barrier
	buffer_gl0_inv
	s_clause 0x3
	flat_load_b32 v119, v[37:38]
	flat_load_b32 v116, v[37:38] offset:128
	flat_load_b32 v117, v[37:38] offset:256
	;; [unrolled: 1-line block ×3, first 2 shown]
	s_waitcnt vmcnt(0) lgkmcnt(0)
	s_barrier
	buffer_gl0_inv
	s_clause 0x3
	flat_store_b64 v[18:19], v[66:67]
	flat_store_b64 v[20:21], v[54:55]
	;; [unrolled: 1-line block ×4, first 2 shown]
	s_waitcnt lgkmcnt(0)
	s_waitcnt_vscnt null, 0x0
	s_barrier
	buffer_gl0_inv
	s_clause 0x3
	flat_load_b64 v[18:19], v[50:51]
	flat_load_b64 v[20:21], v[50:51] offset:256
	flat_load_b64 v[22:23], v[50:51] offset:512
	;; [unrolled: 1-line block ×3, first 2 shown]
	v_add_nc_u32_e32 v103, -8, v103
	s_xor_b32 s18, exec_lo, -1
	s_waitcnt vmcnt(0) lgkmcnt(0)
	s_barrier
	buffer_gl0_inv
	s_branch .LBB1332_95
.LBB1332_112:
	flat_load_b64 v[22:23], v[4:5]
	s_or_b32 exec_lo, exec_lo, s7
                                        ; implicit-def: $vgpr24_vgpr25
	s_and_saveexec_b32 s7, s0
	s_cbranch_execz .LBB1332_20
.LBB1332_113:
	flat_load_b64 v[24:25], v[4:5] offset:256
	s_or_b32 exec_lo, exec_lo, s7
                                        ; implicit-def: $vgpr84_vgpr85
	s_and_saveexec_b32 s0, s1
	s_cbranch_execz .LBB1332_21
.LBB1332_114:
	flat_load_b64 v[84:85], v[4:5] offset:512
	s_or_b32 exec_lo, exec_lo, s0
                                        ; implicit-def: $vgpr86_vgpr87
	s_and_saveexec_b32 s0, s2
	s_cbranch_execz .LBB1332_22
.LBB1332_115:
	flat_load_b64 v[86:87], v[4:5] offset:768
	s_or_b32 exec_lo, exec_lo, s0
                                        ; implicit-def: $vgpr96_vgpr97
	s_and_saveexec_b32 s0, s3
	s_cbranch_execz .LBB1332_23
.LBB1332_116:
	flat_load_b64 v[96:97], v[4:5] offset:1024
	s_or_b32 exec_lo, exec_lo, s0
                                        ; implicit-def: $vgpr98_vgpr99
	s_and_saveexec_b32 s0, s4
	s_cbranch_execz .LBB1332_24
.LBB1332_117:
	flat_load_b64 v[98:99], v[4:5] offset:1280
	s_or_b32 exec_lo, exec_lo, s0
                                        ; implicit-def: $vgpr100_vgpr101
	s_and_saveexec_b32 s0, s5
	s_cbranch_execz .LBB1332_25
.LBB1332_118:
	flat_load_b64 v[100:101], v[4:5] offset:1536
	s_or_b32 exec_lo, exec_lo, s0
                                        ; implicit-def: $vgpr102_vgpr103
	s_and_saveexec_b32 s0, s6
	s_cbranch_execnz .LBB1332_26
	s_branch .LBB1332_27
.LBB1332_119:
	flat_store_b64 v[0:1], v[20:21]
	s_or_b32 exec_lo, exec_lo, s7
	s_and_saveexec_b32 s7, s0
	s_cbranch_execz .LBB1332_71
.LBB1332_120:
	flat_store_b64 v[0:1], v[18:19] offset:2048
	s_or_b32 exec_lo, exec_lo, s7
	s_and_saveexec_b32 s0, s1
	s_cbranch_execz .LBB1332_72
.LBB1332_121:
	v_add_co_u32 v2, vcc_lo, 0x1000, v0
	v_add_co_ci_u32_e32 v3, vcc_lo, 0, v1, vcc_lo
	flat_store_b64 v[2:3], v[16:17]
	s_or_b32 exec_lo, exec_lo, s0
	s_and_saveexec_b32 s0, s2
	s_cbranch_execz .LBB1332_73
.LBB1332_122:
	v_add_co_u32 v2, vcc_lo, 0x1000, v0
	v_add_co_ci_u32_e32 v3, vcc_lo, 0, v1, vcc_lo
	flat_store_b64 v[2:3], v[14:15] offset:2048
	s_or_b32 exec_lo, exec_lo, s0
	s_and_saveexec_b32 s0, s3
	s_cbranch_execz .LBB1332_74
.LBB1332_123:
	v_add_co_u32 v2, vcc_lo, 0x2000, v0
	v_add_co_ci_u32_e32 v3, vcc_lo, 0, v1, vcc_lo
	flat_store_b64 v[2:3], v[12:13]
	s_or_b32 exec_lo, exec_lo, s0
	s_and_saveexec_b32 s0, s4
	s_cbranch_execz .LBB1332_75
.LBB1332_124:
	v_add_co_u32 v2, vcc_lo, 0x2000, v0
	v_add_co_ci_u32_e32 v3, vcc_lo, 0, v1, vcc_lo
	flat_store_b64 v[2:3], v[10:11] offset:2048
	s_or_b32 exec_lo, exec_lo, s0
	s_and_saveexec_b32 s0, s5
	s_cbranch_execz .LBB1332_76
.LBB1332_125:
	v_add_co_u32 v2, vcc_lo, 0x3000, v0
	v_add_co_ci_u32_e32 v3, vcc_lo, 0, v1, vcc_lo
	flat_store_b64 v[2:3], v[8:9]
	s_or_b32 exec_lo, exec_lo, s0
	s_and_saveexec_b32 s0, s6
	s_cbranch_execnz .LBB1332_77
	s_branch .LBB1332_78
.LBB1332_126:
	s_or_b32 exec_lo, exec_lo, s20
	v_add_co_u32 v4, vcc_lo, v98, v86
	v_add_co_ci_u32_e32 v5, vcc_lo, v99, v87, vcc_lo
	v_add_co_u32 v8, vcc_lo, v96, v82
	v_add_co_ci_u32_e32 v9, vcc_lo, v97, v83, vcc_lo
	v_add_co_u32 v10, vcc_lo, v84, v70
	s_barrier
	buffer_gl0_inv
	s_clause 0x3
	flat_store_b32 v[98:99], v112
	flat_store_b32 v[96:97], v115
	;; [unrolled: 1-line block ×4, first 2 shown]
	s_waitcnt lgkmcnt(0)
	s_waitcnt_vscnt null, 0x0
	s_barrier
	buffer_gl0_inv
	s_clause 0x3
	flat_load_b32 v17, v[35:36]
	flat_load_b32 v16, v[35:36] offset:1024
	flat_load_b32 v15, v[35:36] offset:2048
	;; [unrolled: 1-line block ×3, first 2 shown]
	s_waitcnt vmcnt(0) lgkmcnt(0)
	s_barrier
	buffer_gl0_inv
	flat_store_b64 v[4:5], v[66:67]
	v_lshlrev_b32_e32 v4, 3, v26
	v_add_co_ci_u32_e32 v11, vcc_lo, v85, v71, vcc_lo
	v_add_co_u32 v18, vcc_lo, v80, v68
	v_add_co_ci_u32_e32 v19, vcc_lo, v81, v69, vcc_lo
	s_delay_alu instid0(VALU_DEP_4)
	v_add_co_u32 v4, vcc_lo, v12, v4
	v_add_co_ci_u32_e32 v5, vcc_lo, 0, v13, vcc_lo
	s_clause 0x2
	flat_store_b64 v[8:9], v[54:55]
	flat_store_b64 v[10:11], v[52:53]
	;; [unrolled: 1-line block ×3, first 2 shown]
	v_add_co_u32 v18, vcc_lo, 0x1000, v4
	v_add_co_ci_u32_e32 v19, vcc_lo, 0, v5, vcc_lo
	s_waitcnt lgkmcnt(0)
	s_waitcnt_vscnt null, 0x0
	s_barrier
	buffer_gl0_inv
	s_clause 0x3
	flat_load_b64 v[12:13], v[4:5]
	flat_load_b64 v[10:11], v[4:5] offset:2048
	flat_load_b64 v[8:9], v[18:19]
	flat_load_b64 v[4:5], v[18:19] offset:2048
	v_mov_b32_e32 v28, 0
	v_add_co_u32 v2, vcc_lo, v2, v29
	v_add_co_ci_u32_e32 v3, vcc_lo, v3, v30, vcc_lo
	s_delay_alu instid0(VALU_DEP_3)
	v_lshlrev_b64 v[18:19], 2, v[27:28]
	s_waitcnt vmcnt(0) lgkmcnt(0)
	s_barrier
	buffer_gl0_inv
	v_add_co_u32 v2, vcc_lo, v2, v18
	v_add_co_ci_u32_e32 v3, vcc_lo, v3, v19, vcc_lo
	v_cmp_lt_u32_e32 vcc_lo, v27, v39
	s_and_saveexec_b32 s1, vcc_lo
	s_cbranch_execz .LBB1332_128
; %bb.127:
	v_cmp_gt_i32_e64 s0, 0, v17
	s_delay_alu instid0(VALU_DEP_1) | instskip(NEXT) | instid1(VALU_DEP_1)
	v_cndmask_b32_e64 v18, 0x7fffffff, 0, s0
	v_xor_b32_e32 v17, v18, v17
	flat_store_b32 v[2:3], v17
.LBB1332_128:
	s_or_b32 exec_lo, exec_lo, s1
	v_add_nc_u32_e32 v17, 0x100, v27
	s_delay_alu instid0(VALU_DEP_1) | instskip(NEXT) | instid1(VALU_DEP_1)
	v_cmp_lt_u32_e64 s0, v17, v39
	s_and_saveexec_b32 s2, s0
	s_cbranch_execz .LBB1332_130
; %bb.129:
	v_cmp_gt_i32_e64 s1, 0, v16
	s_delay_alu instid0(VALU_DEP_1) | instskip(NEXT) | instid1(VALU_DEP_1)
	v_cndmask_b32_e64 v17, 0x7fffffff, 0, s1
	v_xor_b32_e32 v16, v17, v16
	flat_store_b32 v[2:3], v16 offset:1024
.LBB1332_130:
	s_or_b32 exec_lo, exec_lo, s2
	v_add_nc_u32_e32 v16, 0x200, v27
	s_delay_alu instid0(VALU_DEP_1) | instskip(NEXT) | instid1(VALU_DEP_1)
	v_cmp_lt_u32_e64 s1, v16, v39
	s_and_saveexec_b32 s3, s1
	s_cbranch_execz .LBB1332_132
; %bb.131:
	v_cmp_gt_i32_e64 s2, 0, v15
	s_delay_alu instid0(VALU_DEP_1) | instskip(NEXT) | instid1(VALU_DEP_1)
	v_cndmask_b32_e64 v16, 0x7fffffff, 0, s2
	v_xor_b32_e32 v15, v16, v15
	flat_store_b32 v[2:3], v15 offset:2048
.LBB1332_132:
	s_or_b32 exec_lo, exec_lo, s3
	v_add_nc_u32_e32 v15, 0x300, v27
	s_delay_alu instid0(VALU_DEP_1) | instskip(NEXT) | instid1(VALU_DEP_1)
	v_cmp_lt_u32_e64 s2, v15, v39
	s_and_saveexec_b32 s4, s2
	s_cbranch_execz .LBB1332_134
; %bb.133:
	v_cmp_gt_i32_e64 s3, 0, v14
	s_delay_alu instid0(VALU_DEP_1) | instskip(NEXT) | instid1(VALU_DEP_1)
	v_cndmask_b32_e64 v15, 0x7fffffff, 0, s3
	v_xor_b32_e32 v14, v15, v14
	flat_store_b32 v[2:3], v14 offset:3072
.LBB1332_134:
	s_or_b32 exec_lo, exec_lo, s4
	v_lshlrev_b64 v[2:3], 3, v[27:28]
	v_add_co_u32 v0, s3, v6, v0
	s_delay_alu instid0(VALU_DEP_1) | instskip(NEXT) | instid1(VALU_DEP_2)
	v_add_co_ci_u32_e64 v1, s3, v7, v1, s3
	v_add_co_u32 v0, s3, v0, v2
	s_delay_alu instid0(VALU_DEP_1)
	v_add_co_ci_u32_e64 v1, s3, v1, v3, s3
	s_and_saveexec_b32 s3, vcc_lo
	s_cbranch_execnz .LBB1332_167
; %bb.135:
	s_or_b32 exec_lo, exec_lo, s3
	s_and_saveexec_b32 s3, s0
	s_cbranch_execnz .LBB1332_168
.LBB1332_136:
	s_or_b32 exec_lo, exec_lo, s3
	s_and_saveexec_b32 s0, s1
	s_cbranch_execnz .LBB1332_169
.LBB1332_137:
	s_or_b32 exec_lo, exec_lo, s0
	s_and_saveexec_b32 s0, s2
	s_cbranch_execz .LBB1332_139
.LBB1332_138:
	v_add_co_u32 v0, vcc_lo, 0x1000, v0
	v_add_co_ci_u32_e32 v1, vcc_lo, 0, v1, vcc_lo
	flat_store_b64 v[0:1], v[4:5] offset:2048
.LBB1332_139:
	s_or_b32 exec_lo, exec_lo, s0
                                        ; implicit-def: $vgpr39
                                        ; implicit-def: $vgpr0
                                        ; implicit-def: $vgpr1
                                        ; implicit-def: $vgpr2
                                        ; implicit-def: $vgpr3
                                        ; implicit-def: $vgpr4
                                        ; implicit-def: $vgpr5
                                        ; implicit-def: $vgpr6
                                        ; implicit-def: $vgpr7
                                        ; implicit-def: $vgpr8
                                        ; implicit-def: $vgpr10
                                        ; implicit-def: $vgpr11
                                        ; implicit-def: $vgpr12
                                        ; implicit-def: $vgpr13
                                        ; implicit-def: $vgpr14
                                        ; implicit-def: $vgpr15
                                        ; implicit-def: $vgpr26
                                        ; implicit-def: $vgpr37
.LBB1332_140:
	s_and_not1_saveexec_b32 s0, s19
	s_cbranch_execz .LBB1332_199
; %bb.141:
	s_load_b64 s[0:1], s[8:9], 0x0
	v_mov_b32_e32 v9, 0
	s_delay_alu instid0(VALU_DEP_1) | instskip(SKIP_3) | instid1(SALU_CYCLE_1)
	v_lshlrev_b64 v[29:30], 2, v[8:9]
	s_waitcnt lgkmcnt(0)
	s_cmp_lt_u32 s13, s1
	s_cselect_b32 s1, 14, 20
	s_add_u32 s2, s8, s1
	s_addc_u32 s3, s9, 0
	s_cmp_lt_u32 s12, s0
	global_load_u16 v16, v9, s[2:3]
	s_cselect_b32 s0, 12, 18
	s_delay_alu instid0(SALU_CYCLE_1)
	s_add_u32 s0, s8, s0
	s_addc_u32 s1, s9, 0
	global_load_u16 v17, v9, s[0:1]
	s_mov_b32 s0, exec_lo
	s_waitcnt vmcnt(1)
	v_mad_u32_u24 v14, v15, v16, v14
	s_waitcnt vmcnt(0)
	s_delay_alu instid0(VALU_DEP_1)
	v_mad_u64_u32 v[27:28], null, v14, v17, v[26:27]
	v_cmpx_lt_u32_e32 0x100, v39
	s_xor_b32 s15, exec_lo, s0
	s_cbranch_execz .LBB1332_179
; %bb.142:
	s_delay_alu instid0(VALU_DEP_2) | instskip(SKIP_1) | instid1(SALU_CYCLE_1)
	v_dual_mov_b32 v17, v9 :: v_dual_lshlrev_b32 v14, 1, v27
	s_mov_b32 s0, -1
	s_mov_b32 s1, s0
	s_delay_alu instid0(VALU_DEP_1) | instskip(SKIP_3) | instid1(VALU_DEP_4)
	v_and_b32_e32 v16, 0xffffffc0, v14
	v_lshlrev_b32_e32 v15, 2, v37
	v_add_co_u32 v14, vcc_lo, v0, v29
	v_add_co_ci_u32_e32 v18, vcc_lo, v1, v30, vcc_lo
	v_lshlrev_b64 v[0:1], 2, v[16:17]
	s_delay_alu instid0(VALU_DEP_3) | instskip(NEXT) | instid1(VALU_DEP_3)
	v_add_co_u32 v14, vcc_lo, v14, v15
	v_add_co_ci_u32_e32 v15, vcc_lo, 0, v18, vcc_lo
	s_delay_alu instid0(VALU_DEP_2) | instskip(NEXT) | instid1(VALU_DEP_2)
	v_add_co_u32 v0, vcc_lo, v14, v0
	v_add_co_ci_u32_e32 v1, vcc_lo, v15, v1, vcc_lo
	v_dual_mov_b32 v15, s1 :: v_dual_mov_b32 v14, s0
	v_or_b32_e32 v18, v37, v16
	s_delay_alu instid0(VALU_DEP_1)
	v_cmp_lt_u32_e32 vcc_lo, v18, v39
	s_and_saveexec_b32 s0, vcc_lo
	s_cbranch_execz .LBB1332_144
; %bb.143:
	flat_load_b32 v14, v[0:1]
	v_mov_b32_e32 v15, -1
.LBB1332_144:
	s_or_b32 exec_lo, exec_lo, s0
	v_or_b32_e32 v18, 32, v18
	s_delay_alu instid0(VALU_DEP_1) | instskip(NEXT) | instid1(VALU_DEP_1)
	v_cmp_lt_u32_e64 s0, v18, v39
	s_and_saveexec_b32 s1, s0
	s_cbranch_execz .LBB1332_146
; %bb.145:
	flat_load_b32 v15, v[0:1] offset:128
.LBB1332_146:
	s_or_b32 exec_lo, exec_lo, s1
	v_lshlrev_b64 v[0:1], 3, v[8:9]
	v_lshlrev_b32_e32 v8, 3, v37
	s_delay_alu instid0(VALU_DEP_2) | instskip(NEXT) | instid1(VALU_DEP_1)
	v_add_co_u32 v9, s1, v4, v0
	v_add_co_ci_u32_e64 v18, s1, v5, v1, s1
	v_lshlrev_b64 v[4:5], 3, v[16:17]
	s_delay_alu instid0(VALU_DEP_3) | instskip(NEXT) | instid1(VALU_DEP_1)
	v_add_co_u32 v8, s1, v9, v8
	v_add_co_ci_u32_e64 v9, s1, 0, v18, s1
                                        ; implicit-def: $vgpr18_vgpr19
	s_delay_alu instid0(VALU_DEP_2) | instskip(NEXT) | instid1(VALU_DEP_1)
	v_add_co_u32 v4, s1, v8, v4
	v_add_co_ci_u32_e64 v5, s1, v9, v5, s1
	s_and_saveexec_b32 s1, vcc_lo
	s_cbranch_execz .LBB1332_148
; %bb.147:
	flat_load_b64 v[18:19], v[4:5]
.LBB1332_148:
	s_or_b32 exec_lo, exec_lo, s1
                                        ; implicit-def: $vgpr20_vgpr21
	s_and_saveexec_b32 s1, s0
	s_cbranch_execz .LBB1332_150
; %bb.149:
	flat_load_b64 v[20:21], v[4:5] offset:256
.LBB1332_150:
	s_or_b32 exec_lo, exec_lo, s1
	s_waitcnt vmcnt(0) lgkmcnt(0)
	v_cmp_gt_i32_e32 vcc_lo, 0, v14
	s_mov_b32 s16, 0
	s_getpc_b64 s[0:1]
	s_add_u32 s0, s0, _ZN7rocprim17ROCPRIM_400000_NS16block_radix_sortIfLj256ELj2ElLj1ELj1ELj8ELNS0_26block_radix_rank_algorithmE2ELNS0_18block_padding_hintE2ELNS0_4arch9wavefront6targetE0EE19radix_bits_per_passE@rel32@lo+4
	s_addc_u32 s1, s1, _ZN7rocprim17ROCPRIM_400000_NS16block_radix_sortIfLj256ELj2ElLj1ELj1ELj8ELNS0_26block_radix_rank_algorithmE2ELNS0_18block_padding_hintE2ELNS0_4arch9wavefront6targetE0EE19radix_bits_per_passE@rel32@hi+12
	s_mov_b32 s17, s16
	s_mov_b32 s18, s16
	v_cndmask_b32_e64 v4, 0x7fffffff, 0, vcc_lo
	v_cmp_gt_i32_e32 vcc_lo, 0, v15
	s_mov_b32 s19, s16
	v_add_nc_u32_e32 v16, -1, v37
	s_load_b32 s20, s[0:1], 0x0
	v_xor_b32_e32 v83, v4, v14
	v_cndmask_b32_e64 v5, 0x7fffffff, 0, vcc_lo
	v_lshlrev_b32_e32 v4, 5, v26
	v_add_co_u32 v28, vcc_lo, v12, 32
	v_add_co_ci_u32_e32 v68, vcc_lo, 0, v13, vcc_lo
	s_delay_alu instid0(VALU_DEP_4)
	v_xor_b32_e32 v82, v5, v15
	v_mov_b32_e32 v5, 0
	v_and_b32_e32 v15, 0x3e0, v26
	v_add_co_u32 v8, vcc_lo, v12, v4
	v_add_co_ci_u32_e32 v9, vcc_lo, 0, v13, vcc_lo
	v_add_co_u32 v31, vcc_lo, v28, v4
	s_delay_alu instid0(VALU_DEP_4)
	v_min_u32_e32 v4, 0xe0, v15
	v_and_b32_e32 v15, 16, v37
	v_and_b32_e32 v14, 15, v37
	v_cmp_gt_i32_e64 s4, 0, v16
	v_add_co_ci_u32_e32 v32, vcc_lo, 0, v68, vcc_lo
	v_or_b32_e32 v4, 31, v4
	v_cmp_eq_u32_e64 s3, 0, v15
	v_lshrrev_b32_e32 v15, 5, v26
	v_cmp_eq_u32_e32 vcc_lo, 0, v14
	v_cmp_lt_u32_e64 s0, 1, v14
	v_cmp_lt_u32_e64 s1, 3, v14
	;; [unrolled: 1-line block ×3, first 2 shown]
	v_cndmask_b32_e64 v14, v16, v37, s4
	v_lshlrev_b32_e32 v16, 1, v26
	v_cmp_eq_u32_e64 s4, v4, v26
	v_lshlrev_b32_e32 v4, 2, v15
	v_cmp_eq_u32_e64 s7, 0, v37
	v_lshlrev_b32_e32 v70, 2, v14
	v_and_or_b32 v16, 0x7c0, v16, v37
	v_lshlrev_b32_e32 v14, 2, v26
	v_add_co_u32 v35, s9, v12, v4
	v_add_nc_u32_e32 v4, -1, v15
	s_delay_alu instid0(VALU_DEP_4) | instskip(SKIP_2) | instid1(VALU_DEP_4)
	v_lshlrev_b32_e32 v16, 2, v16
	v_add_co_ci_u32_e64 v36, s9, 0, v13, s9
	v_add_co_u32 v33, s9, v12, v14
	v_lshlrev_b64 v[14:15], 2, v[4:5]
	v_and_b32_e32 v17, 7, v37
	v_add_co_u32 v37, s12, v12, v16
	s_delay_alu instid0(VALU_DEP_1) | instskip(NEXT) | instid1(VALU_DEP_4)
	v_add_co_ci_u32_e64 v38, s12, 0, v13, s12
	v_add_co_u32 v48, s12, v12, v14
	s_delay_alu instid0(VALU_DEP_1)
	v_add_co_ci_u32_e64 v49, s12, v13, v15, s12
	v_add_co_ci_u32_e64 v34, s9, 0, v13, s9
	v_add_co_u32 v50, s12, v37, v16
	v_cmp_eq_u32_e64 s9, 0, v17
	v_cmp_lt_u32_e64 s10, 1, v17
	v_cmp_lt_u32_e64 s11, 3, v17
	v_dual_mov_b32 v14, s16 :: v_dual_mov_b32 v15, s17
	v_lshrrev_b32_e32 v69, 5, v27
	v_cmp_gt_u32_e64 s5, 8, v26
	v_cmp_lt_u32_e64 s6, 31, v26
	v_cmp_eq_u32_e64 s8, 0, v26
	v_add_co_ci_u32_e64 v51, s12, 0, v38, s12
	v_sub_nc_u32_e32 v71, v11, v10
	v_dual_mov_b32 v16, s18 :: v_dual_mov_b32 v17, s19
	s_waitcnt lgkmcnt(0)
	s_waitcnt_vscnt null, 0x0
	s_barrier
	buffer_gl0_inv
	s_branch .LBB1332_152
.LBB1332_151:                           ;   in Loop: Header=BB1332_152 Depth=1
	s_or_b32 exec_lo, exec_lo, s13
	s_delay_alu instid0(SALU_CYCLE_1) | instskip(NEXT) | instid1(SALU_CYCLE_1)
	s_and_b32 s12, exec_lo, s14
	s_or_b32 s16, s12, s16
	s_delay_alu instid0(SALU_CYCLE_1)
	s_and_not1_b32 exec_lo, exec_lo, s16
	s_cbranch_execz .LBB1332_170
.LBB1332_152:                           ; =>This Inner Loop Header: Depth=1
	v_mov_b32_e32 v80, v83
	v_min_u32_e32 v4, s20, v71
	s_clause 0x1
	flat_store_b128 v[8:9], v[14:17] offset:32
	flat_store_b128 v[31:32], v[14:17] offset:16
	s_waitcnt lgkmcnt(0)
	s_waitcnt_vscnt null, 0x0
	s_barrier
	v_cmp_ne_u32_e64 s12, 0x80000000, v80
	v_lshlrev_b32_e64 v4, v4, -1
	buffer_gl0_inv
	; wave barrier
	v_cndmask_b32_e64 v23, 0x7fffffff, v80, s12
	v_not_b32_e32 v22, v4
	v_mov_b32_e32 v81, v82
	s_delay_alu instid0(VALU_DEP_3) | instskip(NEXT) | instid1(VALU_DEP_1)
	v_lshrrev_b32_e32 v4, v10, v23
	v_and_b32_e32 v4, v4, v22
	s_delay_alu instid0(VALU_DEP_1)
	v_and_b32_e32 v23, 1, v4
	v_lshlrev_b32_e32 v24, 30, v4
	v_lshlrev_b32_e32 v25, 29, v4
	;; [unrolled: 1-line block ×4, first 2 shown]
	v_add_co_u32 v23, s12, v23, -1
	s_delay_alu instid0(VALU_DEP_1)
	v_cndmask_b32_e64 v53, 0, 1, s12
	v_not_b32_e32 v65, v24
	v_cmp_gt_i32_e64 s13, 0, v24
	v_not_b32_e32 v24, v25
	v_lshlrev_b32_e32 v55, 26, v4
	v_cmp_ne_u32_e64 s12, 0, v53
	v_ashrrev_i32_e32 v65, 31, v65
	v_lshlrev_b32_e32 v64, 25, v4
	v_ashrrev_i32_e32 v24, 31, v24
	v_lshlrev_b32_e32 v53, 24, v4
	v_xor_b32_e32 v23, s12, v23
	v_cmp_gt_i32_e64 s12, 0, v25
	v_not_b32_e32 v25, v52
	v_xor_b32_e32 v65, s13, v65
	v_cmp_gt_i32_e64 s13, 0, v52
	v_and_b32_e32 v23, exec_lo, v23
	v_not_b32_e32 v52, v54
	v_ashrrev_i32_e32 v25, 31, v25
	v_xor_b32_e32 v24, s12, v24
	v_cmp_gt_i32_e64 s12, 0, v54
	v_and_b32_e32 v23, v23, v65
	v_not_b32_e32 v54, v55
	v_ashrrev_i32_e32 v52, 31, v52
	v_xor_b32_e32 v25, s13, v25
	v_cmp_gt_i32_e64 s13, 0, v55
	v_and_b32_e32 v23, v23, v24
	;; [unrolled: 5-line block ×4, first 2 shown]
	v_ashrrev_i32_e32 v25, 31, v25
	v_xor_b32_e32 v24, s12, v24
	v_mov_b32_e32 v53, v21
	v_lshl_add_u32 v4, v4, 3, v69
	v_and_b32_e32 v23, v23, v54
	v_xor_b32_e32 v25, s13, v25
	v_dual_mov_b32 v52, v20 :: v_dual_mov_b32 v55, v19
	s_delay_alu instid0(VALU_DEP_3) | instskip(SKIP_1) | instid1(VALU_DEP_2)
	v_dual_mov_b32 v54, v18 :: v_dual_and_b32 v23, v23, v24
	v_lshlrev_b64 v[18:19], 2, v[4:5]
	v_and_b32_e32 v20, v23, v25
	s_delay_alu instid0(VALU_DEP_2) | instskip(NEXT) | instid1(VALU_DEP_1)
	v_add_co_u32 v64, s14, v28, v18
	v_add_co_ci_u32_e64 v65, s14, v68, v19, s14
	s_delay_alu instid0(VALU_DEP_3) | instskip(SKIP_1) | instid1(VALU_DEP_2)
	v_mbcnt_lo_u32_b32 v82, v20, 0
	v_cmp_ne_u32_e64 s12, 0, v20
	v_cmp_eq_u32_e64 s13, 0, v82
	s_delay_alu instid0(VALU_DEP_1) | instskip(NEXT) | instid1(SALU_CYCLE_1)
	s_and_b32 s13, s12, s13
	s_and_saveexec_b32 s12, s13
	s_cbranch_execz .LBB1332_154
; %bb.153:                              ;   in Loop: Header=BB1332_152 Depth=1
	v_bcnt_u32_b32 v4, v20, 0
	flat_store_b32 v[64:65], v4
.LBB1332_154:                           ;   in Loop: Header=BB1332_152 Depth=1
	s_or_b32 exec_lo, exec_lo, s12
	v_cmp_ne_u32_e64 s12, 0x80000000, v81
	; wave barrier
	s_delay_alu instid0(VALU_DEP_1) | instskip(NEXT) | instid1(VALU_DEP_1)
	v_cndmask_b32_e64 v4, 0x7fffffff, v81, s12
	v_lshrrev_b32_e32 v4, v10, v4
	s_delay_alu instid0(VALU_DEP_1) | instskip(NEXT) | instid1(VALU_DEP_1)
	v_and_b32_e32 v20, v4, v22
	v_lshl_add_u32 v4, v20, 3, v69
	v_lshlrev_b32_e32 v21, 29, v20
	v_lshlrev_b32_e32 v22, 28, v20
	s_delay_alu instid0(VALU_DEP_3) | instskip(SKIP_1) | instid1(VALU_DEP_2)
	v_lshlrev_b64 v[18:19], 2, v[4:5]
	v_and_b32_e32 v4, 1, v20
	v_add_co_u32 v66, s12, v28, v18
	s_delay_alu instid0(VALU_DEP_1) | instskip(NEXT) | instid1(VALU_DEP_3)
	v_add_co_ci_u32_e64 v67, s12, v68, v19, s12
	v_add_co_u32 v4, s12, v4, -1
	s_delay_alu instid0(VALU_DEP_1) | instskip(SKIP_3) | instid1(VALU_DEP_2)
	v_cndmask_b32_e64 v18, 0, 1, s12
	flat_load_b32 v83, v[66:67]
	v_lshlrev_b32_e32 v19, 30, v20
	; wave barrier
	v_cmp_ne_u32_e64 s12, 0, v18
	v_not_b32_e32 v18, v19
	s_delay_alu instid0(VALU_DEP_2) | instskip(SKIP_1) | instid1(VALU_DEP_3)
	v_xor_b32_e32 v4, s12, v4
	v_cmp_gt_i32_e64 s12, 0, v19
	v_ashrrev_i32_e32 v18, 31, v18
	v_not_b32_e32 v19, v21
	s_delay_alu instid0(VALU_DEP_4) | instskip(NEXT) | instid1(VALU_DEP_3)
	v_and_b32_e32 v4, exec_lo, v4
	v_xor_b32_e32 v18, s12, v18
	v_cmp_gt_i32_e64 s12, 0, v21
	s_delay_alu instid0(VALU_DEP_4) | instskip(SKIP_1) | instid1(VALU_DEP_4)
	v_ashrrev_i32_e32 v19, 31, v19
	v_not_b32_e32 v21, v22
	v_and_b32_e32 v4, v4, v18
	v_lshlrev_b32_e32 v18, 27, v20
	s_delay_alu instid0(VALU_DEP_4) | instskip(SKIP_2) | instid1(VALU_DEP_4)
	v_xor_b32_e32 v19, s12, v19
	v_cmp_gt_i32_e64 s12, 0, v22
	v_ashrrev_i32_e32 v21, 31, v21
	v_not_b32_e32 v22, v18
	s_delay_alu instid0(VALU_DEP_4) | instskip(SKIP_1) | instid1(VALU_DEP_4)
	v_and_b32_e32 v4, v4, v19
	v_lshlrev_b32_e32 v19, 26, v20
	v_xor_b32_e32 v21, s12, v21
	v_cmp_gt_i32_e64 s12, 0, v18
	v_ashrrev_i32_e32 v18, 31, v22
	s_delay_alu instid0(VALU_DEP_4) | instskip(NEXT) | instid1(VALU_DEP_4)
	v_not_b32_e32 v22, v19
	v_and_b32_e32 v4, v4, v21
	v_lshlrev_b32_e32 v21, 25, v20
	s_delay_alu instid0(VALU_DEP_4) | instskip(SKIP_2) | instid1(VALU_DEP_4)
	v_xor_b32_e32 v18, s12, v18
	v_cmp_gt_i32_e64 s12, 0, v19
	v_ashrrev_i32_e32 v19, 31, v22
	v_not_b32_e32 v22, v21
	s_delay_alu instid0(VALU_DEP_4) | instskip(SKIP_1) | instid1(VALU_DEP_4)
	v_and_b32_e32 v4, v4, v18
	v_lshlrev_b32_e32 v18, 24, v20
	v_xor_b32_e32 v19, s12, v19
	v_cmp_gt_i32_e64 s12, 0, v21
	v_ashrrev_i32_e32 v20, 31, v22
	s_delay_alu instid0(VALU_DEP_4) | instskip(NEXT) | instid1(VALU_DEP_4)
	v_not_b32_e32 v21, v18
	v_and_b32_e32 v4, v4, v19
	s_delay_alu instid0(VALU_DEP_3) | instskip(SKIP_1) | instid1(VALU_DEP_4)
	v_xor_b32_e32 v19, s12, v20
	v_cmp_gt_i32_e64 s12, 0, v18
	v_ashrrev_i32_e32 v18, 31, v21
	s_delay_alu instid0(VALU_DEP_3) | instskip(NEXT) | instid1(VALU_DEP_2)
	v_and_b32_e32 v4, v4, v19
	v_xor_b32_e32 v18, s12, v18
	s_delay_alu instid0(VALU_DEP_1) | instskip(NEXT) | instid1(VALU_DEP_1)
	v_and_b32_e32 v4, v4, v18
	v_mbcnt_lo_u32_b32 v84, v4, 0
	v_cmp_ne_u32_e64 s13, 0, v4
	s_delay_alu instid0(VALU_DEP_2) | instskip(NEXT) | instid1(VALU_DEP_1)
	v_cmp_eq_u32_e64 s12, 0, v84
	s_and_b32 s13, s13, s12
	s_delay_alu instid0(SALU_CYCLE_1)
	s_and_saveexec_b32 s12, s13
	s_cbranch_execz .LBB1332_156
; %bb.155:                              ;   in Loop: Header=BB1332_152 Depth=1
	s_waitcnt vmcnt(0) lgkmcnt(0)
	v_bcnt_u32_b32 v4, v4, v83
	flat_store_b32 v[66:67], v4
.LBB1332_156:                           ;   in Loop: Header=BB1332_152 Depth=1
	s_or_b32 exec_lo, exec_lo, s12
	; wave barrier
	s_waitcnt vmcnt(0) lgkmcnt(0)
	s_waitcnt_vscnt null, 0x0
	s_barrier
	buffer_gl0_inv
	s_clause 0x1
	flat_load_b128 v[22:25], v[8:9] offset:32
	flat_load_b128 v[18:21], v[31:32] offset:16
	s_waitcnt vmcnt(1) lgkmcnt(1)
	v_add_nc_u32_e32 v4, v23, v22
	s_delay_alu instid0(VALU_DEP_1) | instskip(SKIP_1) | instid1(VALU_DEP_1)
	v_add3_u32 v4, v4, v24, v25
	s_waitcnt vmcnt(0) lgkmcnt(0)
	v_add3_u32 v4, v4, v18, v19
	s_delay_alu instid0(VALU_DEP_1) | instskip(NEXT) | instid1(VALU_DEP_1)
	v_add3_u32 v4, v4, v20, v21
	v_mov_b32_dpp v21, v4 row_shr:1 row_mask:0xf bank_mask:0xf
	s_delay_alu instid0(VALU_DEP_1) | instskip(NEXT) | instid1(VALU_DEP_1)
	v_cndmask_b32_e64 v21, v21, 0, vcc_lo
	v_add_nc_u32_e32 v4, v21, v4
	s_delay_alu instid0(VALU_DEP_1) | instskip(NEXT) | instid1(VALU_DEP_1)
	v_mov_b32_dpp v21, v4 row_shr:2 row_mask:0xf bank_mask:0xf
	v_cndmask_b32_e64 v21, 0, v21, s0
	s_delay_alu instid0(VALU_DEP_1) | instskip(NEXT) | instid1(VALU_DEP_1)
	v_add_nc_u32_e32 v4, v4, v21
	v_mov_b32_dpp v21, v4 row_shr:4 row_mask:0xf bank_mask:0xf
	s_delay_alu instid0(VALU_DEP_1) | instskip(NEXT) | instid1(VALU_DEP_1)
	v_cndmask_b32_e64 v21, 0, v21, s1
	v_add_nc_u32_e32 v4, v4, v21
	s_delay_alu instid0(VALU_DEP_1) | instskip(NEXT) | instid1(VALU_DEP_1)
	v_mov_b32_dpp v21, v4 row_shr:8 row_mask:0xf bank_mask:0xf
	v_cndmask_b32_e64 v21, 0, v21, s2
	s_delay_alu instid0(VALU_DEP_1) | instskip(SKIP_3) | instid1(VALU_DEP_1)
	v_add_nc_u32_e32 v4, v4, v21
	ds_swizzle_b32 v21, v4 offset:swizzle(BROADCAST,32,15)
	s_waitcnt lgkmcnt(0)
	v_cndmask_b32_e64 v21, v21, 0, s3
	v_add_nc_u32_e32 v4, v4, v21
	s_and_saveexec_b32 s12, s4
	s_cbranch_execz .LBB1332_158
; %bb.157:                              ;   in Loop: Header=BB1332_152 Depth=1
	flat_store_b32 v[35:36], v4
.LBB1332_158:                           ;   in Loop: Header=BB1332_152 Depth=1
	s_or_b32 exec_lo, exec_lo, s12
	s_waitcnt lgkmcnt(0)
	s_waitcnt_vscnt null, 0x0
	s_barrier
	buffer_gl0_inv
	s_and_saveexec_b32 s12, s5
	s_cbranch_execz .LBB1332_160
; %bb.159:                              ;   in Loop: Header=BB1332_152 Depth=1
	flat_load_b32 v21, v[33:34]
	s_waitcnt vmcnt(0) lgkmcnt(0)
	v_mov_b32_dpp v85, v21 row_shr:1 row_mask:0xf bank_mask:0xf
	s_delay_alu instid0(VALU_DEP_1) | instskip(NEXT) | instid1(VALU_DEP_1)
	v_cndmask_b32_e64 v85, v85, 0, s9
	v_add_nc_u32_e32 v21, v85, v21
	s_delay_alu instid0(VALU_DEP_1) | instskip(NEXT) | instid1(VALU_DEP_1)
	v_mov_b32_dpp v85, v21 row_shr:2 row_mask:0xf bank_mask:0xf
	v_cndmask_b32_e64 v85, 0, v85, s10
	s_delay_alu instid0(VALU_DEP_1) | instskip(NEXT) | instid1(VALU_DEP_1)
	v_add_nc_u32_e32 v21, v21, v85
	v_mov_b32_dpp v85, v21 row_shr:4 row_mask:0xf bank_mask:0xf
	s_delay_alu instid0(VALU_DEP_1) | instskip(NEXT) | instid1(VALU_DEP_1)
	v_cndmask_b32_e64 v85, 0, v85, s11
	v_add_nc_u32_e32 v21, v21, v85
	flat_store_b32 v[33:34], v21
.LBB1332_160:                           ;   in Loop: Header=BB1332_152 Depth=1
	s_or_b32 exec_lo, exec_lo, s12
	v_mov_b32_e32 v21, 0
	s_waitcnt lgkmcnt(0)
	s_waitcnt_vscnt null, 0x0
	s_barrier
	buffer_gl0_inv
	s_and_saveexec_b32 s12, s6
	s_cbranch_execz .LBB1332_162
; %bb.161:                              ;   in Loop: Header=BB1332_152 Depth=1
	flat_load_b32 v21, v[48:49]
.LBB1332_162:                           ;   in Loop: Header=BB1332_152 Depth=1
	s_or_b32 exec_lo, exec_lo, s12
	s_waitcnt vmcnt(0) lgkmcnt(0)
	v_add_nc_u32_e32 v4, v21, v4
	v_add_nc_u32_e32 v10, 8, v10
	s_mov_b32 s14, -1
	ds_bpermute_b32 v4, v70, v4
	s_waitcnt lgkmcnt(0)
	v_cndmask_b32_e64 v4, v4, v21, s7
	s_delay_alu instid0(VALU_DEP_1) | instskip(NEXT) | instid1(VALU_DEP_1)
	v_cndmask_b32_e64 v21, v4, 0, s8
	v_add_nc_u32_e32 v22, v21, v22
	s_delay_alu instid0(VALU_DEP_1) | instskip(NEXT) | instid1(VALU_DEP_1)
	v_add_nc_u32_e32 v23, v22, v23
	v_add_nc_u32_e32 v24, v23, v24
	s_delay_alu instid0(VALU_DEP_1) | instskip(NEXT) | instid1(VALU_DEP_1)
	v_add_nc_u32_e32 v96, v24, v25
	v_add_nc_u32_e32 v97, v96, v18
	s_delay_alu instid0(VALU_DEP_1) | instskip(SKIP_1) | instid1(VALU_DEP_2)
	v_add_nc_u32_e32 v98, v97, v19
	v_mov_b32_e32 v19, v5
	v_add_nc_u32_e32 v99, v98, v20
	s_clause 0x1
	flat_store_b128 v[8:9], v[21:24] offset:32
	flat_store_b128 v[31:32], v[96:99] offset:16
	s_waitcnt lgkmcnt(0)
	s_waitcnt_vscnt null, 0x0
	s_barrier
	buffer_gl0_inv
	s_clause 0x1
	flat_load_b32 v4, v[64:65]
	flat_load_b32 v18, v[66:67]
	s_waitcnt vmcnt(0) lgkmcnt(0)
	s_waitcnt_vscnt null, 0x0
                                        ; implicit-def: $vgpr20_vgpr21
	s_waitcnt vmcnt(1) lgkmcnt(1)
	v_add_nc_u32_e32 v4, v4, v82
	s_waitcnt vmcnt(0) lgkmcnt(0)
	v_add3_u32 v18, v84, v83, v18
                                        ; implicit-def: $vgpr82
                                        ; implicit-def: $vgpr83
	s_delay_alu instid0(VALU_DEP_2) | instskip(NEXT) | instid1(VALU_DEP_2)
	v_lshlrev_b64 v[64:65], 2, v[4:5]
	v_lshlrev_b64 v[22:23], 2, v[18:19]
                                        ; implicit-def: $vgpr18_vgpr19
	s_delay_alu instid0(VALU_DEP_2) | instskip(NEXT) | instid1(VALU_DEP_1)
	v_add_co_u32 v66, s13, v12, v64
	v_add_co_ci_u32_e64 v67, s13, v13, v65, s13
	s_delay_alu instid0(VALU_DEP_3) | instskip(NEXT) | instid1(VALU_DEP_1)
	v_add_co_u32 v24, s13, v12, v22
	v_add_co_ci_u32_e64 v25, s13, v13, v23, s13
	s_mov_b32 s13, exec_lo
	v_cmpx_lt_u32_e64 v10, v11
	s_cbranch_execz .LBB1332_151
; %bb.163:                              ;   in Loop: Header=BB1332_152 Depth=1
	v_add_co_u32 v18, s12, v66, v64
	s_delay_alu instid0(VALU_DEP_1) | instskip(SKIP_1) | instid1(VALU_DEP_1)
	v_add_co_ci_u32_e64 v19, s12, v67, v65, s12
	v_add_co_u32 v20, s12, v24, v22
	v_add_co_ci_u32_e64 v21, s12, v25, v23, s12
	s_barrier
	buffer_gl0_inv
	s_clause 0x1
	flat_store_b32 v[66:67], v80
	flat_store_b32 v[24:25], v81
	s_waitcnt lgkmcnt(0)
	s_waitcnt_vscnt null, 0x0
	s_barrier
	buffer_gl0_inv
	s_clause 0x1
	flat_load_b32 v83, v[37:38]
	flat_load_b32 v82, v[37:38] offset:128
	s_waitcnt vmcnt(0) lgkmcnt(0)
	s_barrier
	buffer_gl0_inv
	s_clause 0x1
	flat_store_b64 v[18:19], v[54:55]
	flat_store_b64 v[20:21], v[52:53]
	s_waitcnt lgkmcnt(0)
	s_waitcnt_vscnt null, 0x0
	s_barrier
	buffer_gl0_inv
	s_clause 0x1
	flat_load_b64 v[18:19], v[50:51]
	flat_load_b64 v[20:21], v[50:51] offset:256
	v_add_nc_u32_e32 v71, -8, v71
	s_xor_b32 s14, exec_lo, -1
	s_waitcnt vmcnt(0) lgkmcnt(0)
	s_barrier
	buffer_gl0_inv
	s_branch .LBB1332_151
.LBB1332_164:
	flat_load_b64 v[18:19], v[4:5]
	s_or_b32 exec_lo, exec_lo, s3
                                        ; implicit-def: $vgpr20_vgpr21
	s_and_saveexec_b32 s3, s0
	s_cbranch_execz .LBB1332_91
.LBB1332_165:
	flat_load_b64 v[20:21], v[4:5] offset:256
	s_or_b32 exec_lo, exec_lo, s3
                                        ; implicit-def: $vgpr22_vgpr23
	s_and_saveexec_b32 s0, s1
	s_cbranch_execz .LBB1332_92
.LBB1332_166:
	flat_load_b64 v[22:23], v[4:5] offset:512
	s_or_b32 exec_lo, exec_lo, s0
                                        ; implicit-def: $vgpr24_vgpr25
	s_and_saveexec_b32 s0, s2
	s_cbranch_execnz .LBB1332_93
	s_branch .LBB1332_94
.LBB1332_167:
	flat_store_b64 v[0:1], v[12:13]
	s_or_b32 exec_lo, exec_lo, s3
	s_and_saveexec_b32 s3, s0
	s_cbranch_execz .LBB1332_136
.LBB1332_168:
	flat_store_b64 v[0:1], v[10:11] offset:2048
	s_or_b32 exec_lo, exec_lo, s3
	s_and_saveexec_b32 s0, s1
	s_cbranch_execz .LBB1332_137
.LBB1332_169:
	v_add_co_u32 v2, vcc_lo, 0x1000, v0
	v_add_co_ci_u32_e32 v3, vcc_lo, 0, v1, vcc_lo
	flat_store_b64 v[2:3], v[8:9]
	s_or_b32 exec_lo, exec_lo, s0
	s_and_saveexec_b32 s0, s2
	s_cbranch_execnz .LBB1332_138
	s_branch .LBB1332_139
.LBB1332_170:
	s_or_b32 exec_lo, exec_lo, s16
	v_add_co_u32 v4, vcc_lo, v66, v64
	v_add_co_ci_u32_e32 v5, vcc_lo, v67, v65, vcc_lo
	v_lshlrev_b32_e32 v8, 3, v26
	s_barrier
	buffer_gl0_inv
	s_clause 0x1
	flat_store_b32 v[66:67], v80
	flat_store_b32 v[24:25], v81
	s_waitcnt lgkmcnt(0)
	s_waitcnt_vscnt null, 0x0
	s_barrier
	buffer_gl0_inv
	s_clause 0x1
	flat_load_b32 v11, v[33:34]
	flat_load_b32 v10, v[33:34] offset:1024
	s_waitcnt vmcnt(0) lgkmcnt(0)
	s_barrier
	buffer_gl0_inv
	flat_store_b64 v[4:5], v[54:55]
	v_add_co_u32 v4, vcc_lo, v24, v22
	v_add_co_ci_u32_e32 v5, vcc_lo, v25, v23, vcc_lo
	v_add_co_u32 v12, vcc_lo, v12, v8
	v_add_co_ci_u32_e32 v13, vcc_lo, 0, v13, vcc_lo
	flat_store_b64 v[4:5], v[52:53]
	s_waitcnt lgkmcnt(0)
	s_waitcnt_vscnt null, 0x0
	s_barrier
	buffer_gl0_inv
	s_clause 0x1
	flat_load_b64 v[8:9], v[12:13]
	flat_load_b64 v[4:5], v[12:13] offset:2048
	v_mov_b32_e32 v28, 0
	v_add_co_u32 v2, vcc_lo, v2, v29
	v_add_co_ci_u32_e32 v3, vcc_lo, v3, v30, vcc_lo
	s_delay_alu instid0(VALU_DEP_3)
	v_lshlrev_b64 v[12:13], 2, v[27:28]
	s_waitcnt vmcnt(0) lgkmcnt(0)
	s_barrier
	buffer_gl0_inv
	v_add_co_u32 v2, vcc_lo, v2, v12
	v_add_co_ci_u32_e32 v3, vcc_lo, v3, v13, vcc_lo
	v_cmp_lt_u32_e32 vcc_lo, v27, v39
	s_and_saveexec_b32 s1, vcc_lo
	s_cbranch_execz .LBB1332_172
; %bb.171:
	v_cmp_gt_i32_e64 s0, 0, v11
	s_delay_alu instid0(VALU_DEP_1) | instskip(NEXT) | instid1(VALU_DEP_1)
	v_cndmask_b32_e64 v12, 0x7fffffff, 0, s0
	v_xor_b32_e32 v11, v12, v11
	flat_store_b32 v[2:3], v11
.LBB1332_172:
	s_or_b32 exec_lo, exec_lo, s1
	v_add_nc_u32_e32 v11, 0x100, v27
	s_delay_alu instid0(VALU_DEP_1) | instskip(NEXT) | instid1(VALU_DEP_1)
	v_cmp_lt_u32_e64 s0, v11, v39
	s_and_saveexec_b32 s2, s0
	s_cbranch_execz .LBB1332_174
; %bb.173:
	v_cmp_gt_i32_e64 s1, 0, v10
	s_delay_alu instid0(VALU_DEP_1) | instskip(NEXT) | instid1(VALU_DEP_1)
	v_cndmask_b32_e64 v11, 0x7fffffff, 0, s1
	v_xor_b32_e32 v10, v11, v10
	flat_store_b32 v[2:3], v10 offset:1024
.LBB1332_174:
	s_or_b32 exec_lo, exec_lo, s2
	v_lshlrev_b64 v[2:3], 3, v[27:28]
	v_add_co_u32 v0, s1, v6, v0
	s_delay_alu instid0(VALU_DEP_1) | instskip(NEXT) | instid1(VALU_DEP_2)
	v_add_co_ci_u32_e64 v1, s1, v7, v1, s1
	v_add_co_u32 v0, s1, v0, v2
	s_delay_alu instid0(VALU_DEP_1)
	v_add_co_ci_u32_e64 v1, s1, v1, v3, s1
	s_and_saveexec_b32 s1, vcc_lo
	s_cbranch_execz .LBB1332_176
; %bb.175:
	flat_store_b64 v[0:1], v[8:9]
.LBB1332_176:
	s_or_b32 exec_lo, exec_lo, s1
	s_and_saveexec_b32 s1, s0
	s_cbranch_execz .LBB1332_178
; %bb.177:
	flat_store_b64 v[0:1], v[4:5] offset:2048
.LBB1332_178:
	s_or_b32 exec_lo, exec_lo, s1
                                        ; implicit-def: $vgpr27_vgpr28
                                        ; implicit-def: $vgpr8_vgpr9
                                        ; implicit-def: $vgpr29_vgpr30
                                        ; implicit-def: $vgpr39
                                        ; implicit-def: $vgpr0
                                        ; implicit-def: $vgpr1
                                        ; implicit-def: $vgpr2
                                        ; implicit-def: $vgpr3
                                        ; implicit-def: $vgpr4
                                        ; implicit-def: $vgpr5
                                        ; implicit-def: $vgpr6
                                        ; implicit-def: $vgpr7
                                        ; implicit-def: $vgpr10
                                        ; implicit-def: $vgpr11
                                        ; implicit-def: $vgpr12
                                        ; implicit-def: $vgpr13
                                        ; implicit-def: $vgpr26
                                        ; implicit-def: $vgpr37
.LBB1332_179:
	s_and_not1_saveexec_b32 s0, s15
	s_cbranch_execz .LBB1332_199
; %bb.180:
	s_delay_alu instid0(VALU_DEP_2) | instskip(SKIP_1) | instid1(VALU_DEP_2)
	v_and_b32_e32 v14, 0xffffffe0, v27
	v_mov_b32_e32 v16, -1
	v_or_b32_e32 v15, v37, v14
	s_delay_alu instid0(VALU_DEP_1)
	v_cmp_lt_u32_e32 vcc_lo, v15, v39
	s_and_saveexec_b32 s1, vcc_lo
	s_cbranch_execz .LBB1332_182
; %bb.181:
	v_dual_mov_b32 v15, 0 :: v_dual_lshlrev_b32 v16, 2, v37
	v_add_co_u32 v17, s0, v0, v29
	s_delay_alu instid0(VALU_DEP_1) | instskip(NEXT) | instid1(VALU_DEP_3)
	v_add_co_ci_u32_e64 v18, s0, v1, v30, s0
	v_lshlrev_b64 v[0:1], 2, v[14:15]
	s_delay_alu instid0(VALU_DEP_3) | instskip(NEXT) | instid1(VALU_DEP_1)
	v_add_co_u32 v15, s0, v17, v16
	v_add_co_ci_u32_e64 v16, s0, 0, v18, s0
	s_delay_alu instid0(VALU_DEP_2) | instskip(NEXT) | instid1(VALU_DEP_1)
	v_add_co_u32 v0, s0, v15, v0
	v_add_co_ci_u32_e64 v1, s0, v16, v1, s0
	flat_load_b32 v16, v[0:1]
.LBB1332_182:
	s_or_b32 exec_lo, exec_lo, s1
	v_lshlrev_b64 v[0:1], 3, v[8:9]
                                        ; implicit-def: $vgpr18_vgpr19
	s_and_saveexec_b32 s0, vcc_lo
	s_cbranch_execz .LBB1332_184
; %bb.183:
	v_dual_mov_b32 v15, 0 :: v_dual_lshlrev_b32 v8, 3, v37
	s_delay_alu instid0(VALU_DEP_2) | instskip(NEXT) | instid1(VALU_DEP_3)
	v_add_co_u32 v9, vcc_lo, v4, v0
	v_add_co_ci_u32_e32 v17, vcc_lo, v5, v1, vcc_lo
	s_delay_alu instid0(VALU_DEP_3) | instskip(NEXT) | instid1(VALU_DEP_3)
	v_lshlrev_b64 v[4:5], 3, v[14:15]
	v_add_co_u32 v8, vcc_lo, v9, v8
	s_delay_alu instid0(VALU_DEP_3) | instskip(NEXT) | instid1(VALU_DEP_2)
	v_add_co_ci_u32_e32 v9, vcc_lo, 0, v17, vcc_lo
	v_add_co_u32 v4, vcc_lo, v8, v4
	s_delay_alu instid0(VALU_DEP_2)
	v_add_co_ci_u32_e32 v5, vcc_lo, v9, v5, vcc_lo
	flat_load_b64 v[18:19], v[4:5]
.LBB1332_184:
	s_or_b32 exec_lo, exec_lo, s0
	s_waitcnt vmcnt(0) lgkmcnt(0)
	v_cmp_gt_i32_e32 vcc_lo, 0, v16
	s_mov_b32 s16, 0
	v_add_nc_u32_e32 v17, -1, v37
	s_mov_b32 s17, s16
	s_mov_b32 s18, s16
	v_cndmask_b32_e64 v4, 0x7fffffff, 0, vcc_lo
	v_add_co_u32 v28, vcc_lo, v12, 32
	s_mov_b32 s19, s16
	v_and_b32_e32 v15, 0x3e0, v26
	s_delay_alu instid0(VALU_DEP_3) | instskip(SKIP_3) | instid1(VALU_DEP_3)
	v_xor_b32_e32 v24, v4, v16
	v_dual_mov_b32 v5, 0 :: v_dual_lshlrev_b32 v4, 5, v26
	v_add_co_ci_u32_e32 v64, vcc_lo, 0, v13, vcc_lo
	v_and_b32_e32 v16, 16, v37
	v_add_co_u32 v8, vcc_lo, v12, v4
	v_add_co_ci_u32_e32 v9, vcc_lo, 0, v13, vcc_lo
	v_add_co_u32 v31, vcc_lo, v28, v4
	v_min_u32_e32 v4, 0xe0, v15
	v_and_b32_e32 v14, 15, v37
	v_cmp_eq_u32_e64 s3, 0, v16
	v_cmp_gt_i32_e64 s4, 0, v17
	v_lshrrev_b32_e32 v16, 5, v26
	v_or_b32_e32 v4, 31, v4
	s_getpc_b64 s[0:1]
	s_add_u32 s0, s0, _ZN7rocprim17ROCPRIM_400000_NS16block_radix_sortIfLj256ELj1ElLj1ELj1ELj8ELNS0_26block_radix_rank_algorithmE2ELNS0_18block_padding_hintE2ELNS0_4arch9wavefront6targetE0EE19radix_bits_per_passE@rel32@lo+4
	s_addc_u32 s1, s1, _ZN7rocprim17ROCPRIM_400000_NS16block_radix_sortIfLj256ELj1ElLj1ELj1ELj8ELNS0_26block_radix_rank_algorithmE2ELNS0_18block_padding_hintE2ELNS0_4arch9wavefront6targetE0EE19radix_bits_per_passE@rel32@hi+12
	v_add_co_ci_u32_e32 v32, vcc_lo, 0, v64, vcc_lo
	s_load_b32 s15, s[0:1], 0x0
	v_cmp_eq_u32_e32 vcc_lo, 0, v14
	v_cmp_lt_u32_e64 s0, 1, v14
	v_cmp_lt_u32_e64 s1, 3, v14
	;; [unrolled: 1-line block ×3, first 2 shown]
	v_cndmask_b32_e64 v14, v17, v37, s4
	v_cmp_eq_u32_e64 s4, v4, v26
	v_lshlrev_b32_e32 v4, 2, v16
	v_or_b32_e32 v15, v37, v15
	v_cmp_eq_u32_e64 s7, 0, v37
	v_lshlrev_b32_e32 v66, 2, v14
	v_lshlrev_b32_e32 v14, 2, v26
	v_add_co_u32 v33, s9, v12, v4
	v_add_nc_u32_e32 v4, -1, v16
	v_lshlrev_b32_e32 v16, 2, v15
	v_add_co_ci_u32_e64 v34, s9, 0, v13, s9
	v_add_co_u32 v35, s9, v12, v14
	s_delay_alu instid0(VALU_DEP_4) | instskip(SKIP_2) | instid1(VALU_DEP_1)
	v_lshlrev_b64 v[14:15], 2, v[4:5]
	v_and_b32_e32 v17, 7, v37
	v_add_co_u32 v37, s12, v12, v16
	v_add_co_ci_u32_e64 v38, s12, 0, v13, s12
	s_delay_alu instid0(VALU_DEP_4) | instskip(NEXT) | instid1(VALU_DEP_1)
	v_add_co_u32 v48, s12, v12, v14
	v_add_co_ci_u32_e64 v49, s12, v13, v15, s12
	v_add_co_ci_u32_e64 v36, s9, 0, v13, s9
	v_add_co_u32 v50, s12, v37, v16
	v_cmp_eq_u32_e64 s9, 0, v17
	v_cmp_lt_u32_e64 s10, 1, v17
	v_cmp_lt_u32_e64 s11, 3, v17
	v_dual_mov_b32 v14, s16 :: v_dual_mov_b32 v15, s17
	v_lshrrev_b32_e32 v65, 5, v27
	v_cmp_gt_u32_e64 s5, 8, v26
	v_cmp_lt_u32_e64 s6, 31, v26
	v_cmp_eq_u32_e64 s8, 0, v26
	v_add_co_ci_u32_e64 v51, s12, 0, v38, s12
	v_sub_nc_u32_e32 v67, v11, v10
	v_dual_mov_b32 v16, s18 :: v_dual_mov_b32 v17, s19
	s_waitcnt lgkmcnt(0)
	s_waitcnt_vscnt null, 0x0
	s_barrier
	buffer_gl0_inv
	s_branch .LBB1332_186
.LBB1332_185:                           ;   in Loop: Header=BB1332_186 Depth=1
	s_or_b32 exec_lo, exec_lo, s13
	s_delay_alu instid0(SALU_CYCLE_1) | instskip(NEXT) | instid1(SALU_CYCLE_1)
	s_and_b32 s12, exec_lo, s14
	s_or_b32 s16, s12, s16
	s_delay_alu instid0(SALU_CYCLE_1)
	s_and_not1_b32 exec_lo, exec_lo, s16
	s_cbranch_execz .LBB1332_196
.LBB1332_186:                           ; =>This Inner Loop Header: Depth=1
	v_mov_b32_e32 v68, v24
	v_min_u32_e32 v20, s15, v67
	s_clause 0x1
	flat_store_b128 v[8:9], v[14:17] offset:32
	flat_store_b128 v[31:32], v[14:17] offset:16
	s_waitcnt lgkmcnt(0)
	s_waitcnt_vscnt null, 0x0
	s_barrier
	v_cmp_ne_u32_e64 s12, 0x80000000, v68
	buffer_gl0_inv
	; wave barrier
	v_cndmask_b32_e64 v4, 0x7fffffff, v68, s12
	s_delay_alu instid0(VALU_DEP_1) | instskip(NEXT) | instid1(VALU_DEP_1)
	v_lshrrev_b32_e32 v4, v10, v4
	v_bfe_u32 v4, v4, 0, v20
	s_delay_alu instid0(VALU_DEP_1)
	v_lshlrev_b32_e32 v21, 30, v4
	v_and_b32_e32 v20, 1, v4
	v_lshlrev_b32_e32 v22, 29, v4
	v_lshlrev_b32_e32 v23, 28, v4
	;; [unrolled: 1-line block ×3, first 2 shown]
	v_not_b32_e32 v54, v21
	v_add_co_u32 v20, s12, v20, -1
	s_delay_alu instid0(VALU_DEP_1)
	v_cndmask_b32_e64 v24, 0, 1, s12
	v_cmp_gt_i32_e64 s13, 0, v21
	v_not_b32_e32 v21, v22
	v_ashrrev_i32_e32 v54, 31, v54
	v_lshlrev_b32_e32 v52, 26, v4
	v_cmp_ne_u32_e64 s12, 0, v24
	v_lshlrev_b32_e32 v53, 25, v4
	v_ashrrev_i32_e32 v21, 31, v21
	v_xor_b32_e32 v54, s13, v54
	v_cmp_gt_i32_e64 s13, 0, v23
	v_xor_b32_e32 v20, s12, v20
	v_cmp_gt_i32_e64 s12, 0, v22
	v_not_b32_e32 v22, v23
	v_not_b32_e32 v23, v25
	v_lshlrev_b32_e32 v24, 24, v4
	v_and_b32_e32 v20, exec_lo, v20
	v_xor_b32_e32 v21, s12, v21
	v_ashrrev_i32_e32 v22, 31, v22
	v_cmp_gt_i32_e64 s12, 0, v25
	v_not_b32_e32 v25, v52
	v_and_b32_e32 v20, v20, v54
	v_ashrrev_i32_e32 v23, 31, v23
	v_xor_b32_e32 v22, s13, v22
	v_cmp_gt_i32_e64 s13, 0, v52
	v_ashrrev_i32_e32 v25, 31, v25
	v_and_b32_e32 v20, v20, v21
	v_not_b32_e32 v21, v53
	v_xor_b32_e32 v23, s12, v23
	v_cmp_gt_i32_e64 s12, 0, v53
	v_xor_b32_e32 v25, s13, v25
	v_and_b32_e32 v20, v20, v22
	v_not_b32_e32 v22, v24
	v_ashrrev_i32_e32 v21, 31, v21
	v_cmp_gt_i32_e64 s13, 0, v24
	v_lshl_add_u32 v4, v4, 3, v65
	v_and_b32_e32 v20, v20, v23
	v_ashrrev_i32_e32 v22, 31, v22
	v_xor_b32_e32 v21, s12, v21
	v_dual_mov_b32 v53, v19 :: v_dual_mov_b32 v52, v18
	s_delay_alu instid0(VALU_DEP_4) | instskip(NEXT) | instid1(VALU_DEP_4)
	v_and_b32_e32 v20, v20, v25
	v_xor_b32_e32 v22, s13, v22
	v_lshlrev_b64 v[18:19], 2, v[4:5]
	s_delay_alu instid0(VALU_DEP_3) | instskip(NEXT) | instid1(VALU_DEP_2)
	v_and_b32_e32 v20, v20, v21
	v_add_co_u32 v54, s14, v28, v18
	s_delay_alu instid0(VALU_DEP_2) | instskip(NEXT) | instid1(VALU_DEP_4)
	v_and_b32_e32 v20, v20, v22
	v_add_co_ci_u32_e64 v55, s14, v64, v19, s14
	s_delay_alu instid0(VALU_DEP_2) | instskip(SKIP_1) | instid1(VALU_DEP_2)
	v_mbcnt_lo_u32_b32 v69, v20, 0
	v_cmp_ne_u32_e64 s12, 0, v20
	v_cmp_eq_u32_e64 s13, 0, v69
	s_delay_alu instid0(VALU_DEP_1) | instskip(NEXT) | instid1(SALU_CYCLE_1)
	s_and_b32 s13, s12, s13
	s_and_saveexec_b32 s12, s13
	s_cbranch_execz .LBB1332_188
; %bb.187:                              ;   in Loop: Header=BB1332_186 Depth=1
	v_bcnt_u32_b32 v4, v20, 0
	flat_store_b32 v[54:55], v4
.LBB1332_188:                           ;   in Loop: Header=BB1332_186 Depth=1
	s_or_b32 exec_lo, exec_lo, s12
	; wave barrier
	s_waitcnt lgkmcnt(0)
	s_waitcnt_vscnt null, 0x0
	s_barrier
	buffer_gl0_inv
	s_clause 0x1
	flat_load_b128 v[22:25], v[8:9] offset:32
	flat_load_b128 v[18:21], v[31:32] offset:16
	s_waitcnt vmcnt(1) lgkmcnt(1)
	v_add_nc_u32_e32 v4, v23, v22
	s_delay_alu instid0(VALU_DEP_1) | instskip(SKIP_1) | instid1(VALU_DEP_1)
	v_add3_u32 v4, v4, v24, v25
	s_waitcnt vmcnt(0) lgkmcnt(0)
	v_add3_u32 v4, v4, v18, v19
	s_delay_alu instid0(VALU_DEP_1) | instskip(NEXT) | instid1(VALU_DEP_1)
	v_add3_u32 v4, v4, v20, v21
	v_mov_b32_dpp v21, v4 row_shr:1 row_mask:0xf bank_mask:0xf
	s_delay_alu instid0(VALU_DEP_1) | instskip(NEXT) | instid1(VALU_DEP_1)
	v_cndmask_b32_e64 v21, v21, 0, vcc_lo
	v_add_nc_u32_e32 v4, v21, v4
	s_delay_alu instid0(VALU_DEP_1) | instskip(NEXT) | instid1(VALU_DEP_1)
	v_mov_b32_dpp v21, v4 row_shr:2 row_mask:0xf bank_mask:0xf
	v_cndmask_b32_e64 v21, 0, v21, s0
	s_delay_alu instid0(VALU_DEP_1) | instskip(NEXT) | instid1(VALU_DEP_1)
	v_add_nc_u32_e32 v4, v4, v21
	v_mov_b32_dpp v21, v4 row_shr:4 row_mask:0xf bank_mask:0xf
	s_delay_alu instid0(VALU_DEP_1) | instskip(NEXT) | instid1(VALU_DEP_1)
	v_cndmask_b32_e64 v21, 0, v21, s1
	v_add_nc_u32_e32 v4, v4, v21
	s_delay_alu instid0(VALU_DEP_1) | instskip(NEXT) | instid1(VALU_DEP_1)
	v_mov_b32_dpp v21, v4 row_shr:8 row_mask:0xf bank_mask:0xf
	v_cndmask_b32_e64 v21, 0, v21, s2
	s_delay_alu instid0(VALU_DEP_1) | instskip(SKIP_3) | instid1(VALU_DEP_1)
	v_add_nc_u32_e32 v4, v4, v21
	ds_swizzle_b32 v21, v4 offset:swizzle(BROADCAST,32,15)
	s_waitcnt lgkmcnt(0)
	v_cndmask_b32_e64 v21, v21, 0, s3
	v_add_nc_u32_e32 v4, v4, v21
	s_and_saveexec_b32 s12, s4
	s_cbranch_execz .LBB1332_190
; %bb.189:                              ;   in Loop: Header=BB1332_186 Depth=1
	flat_store_b32 v[33:34], v4
.LBB1332_190:                           ;   in Loop: Header=BB1332_186 Depth=1
	s_or_b32 exec_lo, exec_lo, s12
	s_waitcnt lgkmcnt(0)
	s_waitcnt_vscnt null, 0x0
	s_barrier
	buffer_gl0_inv
	s_and_saveexec_b32 s12, s5
	s_cbranch_execz .LBB1332_192
; %bb.191:                              ;   in Loop: Header=BB1332_186 Depth=1
	flat_load_b32 v21, v[35:36]
	s_waitcnt vmcnt(0) lgkmcnt(0)
	v_mov_b32_dpp v70, v21 row_shr:1 row_mask:0xf bank_mask:0xf
	s_delay_alu instid0(VALU_DEP_1) | instskip(NEXT) | instid1(VALU_DEP_1)
	v_cndmask_b32_e64 v70, v70, 0, s9
	v_add_nc_u32_e32 v21, v70, v21
	s_delay_alu instid0(VALU_DEP_1) | instskip(NEXT) | instid1(VALU_DEP_1)
	v_mov_b32_dpp v70, v21 row_shr:2 row_mask:0xf bank_mask:0xf
	v_cndmask_b32_e64 v70, 0, v70, s10
	s_delay_alu instid0(VALU_DEP_1) | instskip(NEXT) | instid1(VALU_DEP_1)
	v_add_nc_u32_e32 v21, v21, v70
	v_mov_b32_dpp v70, v21 row_shr:4 row_mask:0xf bank_mask:0xf
	s_delay_alu instid0(VALU_DEP_1) | instskip(NEXT) | instid1(VALU_DEP_1)
	v_cndmask_b32_e64 v70, 0, v70, s11
	v_add_nc_u32_e32 v21, v21, v70
	flat_store_b32 v[35:36], v21
.LBB1332_192:                           ;   in Loop: Header=BB1332_186 Depth=1
	s_or_b32 exec_lo, exec_lo, s12
	v_mov_b32_e32 v21, 0
	s_waitcnt lgkmcnt(0)
	s_waitcnt_vscnt null, 0x0
	s_barrier
	buffer_gl0_inv
	s_and_saveexec_b32 s12, s6
	s_cbranch_execz .LBB1332_194
; %bb.193:                              ;   in Loop: Header=BB1332_186 Depth=1
	flat_load_b32 v21, v[48:49]
.LBB1332_194:                           ;   in Loop: Header=BB1332_186 Depth=1
	s_or_b32 exec_lo, exec_lo, s12
	s_waitcnt vmcnt(0) lgkmcnt(0)
	v_add_nc_u32_e32 v4, v21, v4
	v_add_nc_u32_e32 v10, 8, v10
	s_mov_b32 s14, -1
	ds_bpermute_b32 v4, v66, v4
	s_waitcnt lgkmcnt(0)
	v_cndmask_b32_e64 v4, v4, v21, s7
	s_delay_alu instid0(VALU_DEP_1) | instskip(NEXT) | instid1(VALU_DEP_1)
	v_cndmask_b32_e64 v21, v4, 0, s8
	v_add_nc_u32_e32 v22, v21, v22
	s_delay_alu instid0(VALU_DEP_1) | instskip(NEXT) | instid1(VALU_DEP_1)
	v_add_nc_u32_e32 v23, v22, v23
	v_add_nc_u32_e32 v24, v23, v24
	s_delay_alu instid0(VALU_DEP_1) | instskip(NEXT) | instid1(VALU_DEP_1)
	v_add_nc_u32_e32 v80, v24, v25
	;; [unrolled: 3-line block ×3, first 2 shown]
	v_add_nc_u32_e32 v83, v82, v20
	s_clause 0x1
	flat_store_b128 v[8:9], v[21:24] offset:32
	flat_store_b128 v[31:32], v[80:83] offset:16
	s_waitcnt lgkmcnt(0)
	s_waitcnt_vscnt null, 0x0
	s_barrier
	buffer_gl0_inv
	flat_load_b32 v4, v[54:55]
	s_waitcnt vmcnt(0) lgkmcnt(0)
	s_waitcnt_vscnt null, 0x0
                                        ; implicit-def: $vgpr24
	s_waitcnt vmcnt(0) lgkmcnt(0)
	v_add_nc_u32_e32 v4, v4, v69
	s_delay_alu instid0(VALU_DEP_1) | instskip(NEXT) | instid1(VALU_DEP_1)
	v_lshlrev_b64 v[18:19], 2, v[4:5]
	v_add_co_u32 v22, s12, v12, v18
	s_delay_alu instid0(VALU_DEP_1) | instskip(NEXT) | instid1(VALU_DEP_2)
	v_add_co_ci_u32_e64 v23, s12, v13, v19, s12
	v_add_co_u32 v20, s13, v22, v18
	s_delay_alu instid0(VALU_DEP_1)
	v_add_co_ci_u32_e64 v21, s13, v23, v19, s13
	s_mov_b32 s13, exec_lo
                                        ; implicit-def: $vgpr18_vgpr19
	v_cmpx_lt_u32_e64 v10, v11
	s_cbranch_execz .LBB1332_185
; %bb.195:                              ;   in Loop: Header=BB1332_186 Depth=1
	s_barrier
	buffer_gl0_inv
	flat_store_b32 v[22:23], v68
	s_waitcnt lgkmcnt(0)
	s_waitcnt_vscnt null, 0x0
	s_barrier
	buffer_gl0_inv
	flat_load_b32 v24, v[37:38]
	s_waitcnt vmcnt(0) lgkmcnt(0)
	s_barrier
	buffer_gl0_inv
	flat_store_b64 v[20:21], v[52:53]
	s_waitcnt lgkmcnt(0)
	s_waitcnt_vscnt null, 0x0
	s_barrier
	buffer_gl0_inv
	flat_load_b64 v[18:19], v[50:51]
	v_add_nc_u32_e32 v67, -8, v67
	s_xor_b32 s14, exec_lo, -1
	s_waitcnt vmcnt(0) lgkmcnt(0)
	s_barrier
	buffer_gl0_inv
	s_branch .LBB1332_185
.LBB1332_196:
	s_or_b32 exec_lo, exec_lo, s16
	v_lshlrev_b32_e32 v4, 3, v26
	s_barrier
	buffer_gl0_inv
	flat_store_b32 v[22:23], v68
	s_waitcnt lgkmcnt(0)
	s_waitcnt_vscnt null, 0x0
	v_add_co_u32 v4, vcc_lo, v12, v4
	v_add_co_ci_u32_e32 v5, vcc_lo, 0, v13, vcc_lo
	s_barrier
	buffer_gl0_inv
	flat_load_b32 v8, v[35:36]
	s_waitcnt vmcnt(0) lgkmcnt(0)
	s_barrier
	buffer_gl0_inv
	flat_store_b64 v[20:21], v[52:53]
	s_waitcnt lgkmcnt(0)
	s_waitcnt_vscnt null, 0x0
	s_barrier
	buffer_gl0_inv
	flat_load_b64 v[4:5], v[4:5]
	v_mov_b32_e32 v28, 0
	s_mov_b32 s0, exec_lo
	s_waitcnt vmcnt(0) lgkmcnt(0)
	s_barrier
	buffer_gl0_inv
	v_cmpx_lt_u32_e64 v27, v39
	s_cbranch_execz .LBB1332_198
; %bb.197:
	v_add_co_u32 v9, vcc_lo, v6, v0
	v_add_co_ci_u32_e32 v10, vcc_lo, v7, v1, vcc_lo
	v_cmp_gt_i32_e32 vcc_lo, 0, v8
	v_lshlrev_b64 v[6:7], 2, v[27:28]
	v_lshlrev_b64 v[0:1], 3, v[27:28]
	v_cndmask_b32_e64 v11, 0x7fffffff, 0, vcc_lo
	v_add_co_u32 v2, vcc_lo, v2, v29
	v_add_co_ci_u32_e32 v3, vcc_lo, v3, v30, vcc_lo
	s_delay_alu instid0(VALU_DEP_3) | instskip(NEXT) | instid1(VALU_DEP_3)
	v_xor_b32_e32 v8, v11, v8
	v_add_co_u32 v2, vcc_lo, v2, v6
	s_delay_alu instid0(VALU_DEP_3)
	v_add_co_ci_u32_e32 v3, vcc_lo, v3, v7, vcc_lo
	v_add_co_u32 v0, vcc_lo, v9, v0
	v_add_co_ci_u32_e32 v1, vcc_lo, v10, v1, vcc_lo
	flat_store_b32 v[2:3], v8
	flat_store_b64 v[0:1], v[4:5]
.LBB1332_198:
	s_or_b32 exec_lo, exec_lo, s0
.LBB1332_199:
	s_delay_alu instid0(SALU_CYCLE_1)
	s_or_b32 exec_lo, exec_lo, s24
	v_readlane_b32 s43, v40, 7
	v_readlane_b32 s42, v40, 6
	;; [unrolled: 1-line block ×8, first 2 shown]
	s_or_saveexec_b32 s0, -1
	scratch_load_b32 v40, off, s32          ; 4-byte Folded Reload
	s_mov_b32 exec_lo, s0
	s_waitcnt vmcnt(0) lgkmcnt(0)
	s_setpc_b64 s[30:31]
.Lfunc_end1332:
	.size	_ZN7rocprim17ROCPRIM_400000_NS6detail40segmented_radix_sort_single_block_helperIflLj256ELj8ELb1EE4sortIPKfPfPKlPlEEbT_T0_T1_T2_jjjjRNS3_12storage_typeE, .Lfunc_end1332-_ZN7rocprim17ROCPRIM_400000_NS6detail40segmented_radix_sort_single_block_helperIflLj256ELj8ELb1EE4sortIPKfPfPKlPlEEbT_T0_T1_T2_jjjjRNS3_12storage_typeE
                                        ; -- End function
	.section	.AMDGPU.csdata,"",@progbits
; Function info:
; codeLenInByte = 18772
; NumSgprs: 46
; NumVgprs: 209
; ScratchSize: 8
; MemoryBound: 1
	.section	.text._ZN7rocprim17ROCPRIM_400000_NS6detail17trampoline_kernelINS0_14default_configENS1_36segmented_radix_sort_config_selectorIflEEZNS1_25segmented_radix_sort_implIS3_Lb1EPKfPfPKlPlN2at6native12_GLOBAL__N_18offset_tEEE10hipError_tPvRmT1_PNSt15iterator_traitsISK_E10value_typeET2_T3_PNSL_ISQ_E10value_typeET4_jRbjT5_SW_jjP12ihipStream_tbEUlT_E_NS1_11comp_targetILNS1_3genE9ELNS1_11target_archE1100ELNS1_3gpuE3ELNS1_3repE0EEENS1_30default_config_static_selectorELNS0_4arch9wavefront6targetE0EEEvSK_,"axG",@progbits,_ZN7rocprim17ROCPRIM_400000_NS6detail17trampoline_kernelINS0_14default_configENS1_36segmented_radix_sort_config_selectorIflEEZNS1_25segmented_radix_sort_implIS3_Lb1EPKfPfPKlPlN2at6native12_GLOBAL__N_18offset_tEEE10hipError_tPvRmT1_PNSt15iterator_traitsISK_E10value_typeET2_T3_PNSL_ISQ_E10value_typeET4_jRbjT5_SW_jjP12ihipStream_tbEUlT_E_NS1_11comp_targetILNS1_3genE9ELNS1_11target_archE1100ELNS1_3gpuE3ELNS1_3repE0EEENS1_30default_config_static_selectorELNS0_4arch9wavefront6targetE0EEEvSK_,comdat
	.globl	_ZN7rocprim17ROCPRIM_400000_NS6detail17trampoline_kernelINS0_14default_configENS1_36segmented_radix_sort_config_selectorIflEEZNS1_25segmented_radix_sort_implIS3_Lb1EPKfPfPKlPlN2at6native12_GLOBAL__N_18offset_tEEE10hipError_tPvRmT1_PNSt15iterator_traitsISK_E10value_typeET2_T3_PNSL_ISQ_E10value_typeET4_jRbjT5_SW_jjP12ihipStream_tbEUlT_E_NS1_11comp_targetILNS1_3genE9ELNS1_11target_archE1100ELNS1_3gpuE3ELNS1_3repE0EEENS1_30default_config_static_selectorELNS0_4arch9wavefront6targetE0EEEvSK_ ; -- Begin function _ZN7rocprim17ROCPRIM_400000_NS6detail17trampoline_kernelINS0_14default_configENS1_36segmented_radix_sort_config_selectorIflEEZNS1_25segmented_radix_sort_implIS3_Lb1EPKfPfPKlPlN2at6native12_GLOBAL__N_18offset_tEEE10hipError_tPvRmT1_PNSt15iterator_traitsISK_E10value_typeET2_T3_PNSL_ISQ_E10value_typeET4_jRbjT5_SW_jjP12ihipStream_tbEUlT_E_NS1_11comp_targetILNS1_3genE9ELNS1_11target_archE1100ELNS1_3gpuE3ELNS1_3repE0EEENS1_30default_config_static_selectorELNS0_4arch9wavefront6targetE0EEEvSK_
	.p2align	8
	.type	_ZN7rocprim17ROCPRIM_400000_NS6detail17trampoline_kernelINS0_14default_configENS1_36segmented_radix_sort_config_selectorIflEEZNS1_25segmented_radix_sort_implIS3_Lb1EPKfPfPKlPlN2at6native12_GLOBAL__N_18offset_tEEE10hipError_tPvRmT1_PNSt15iterator_traitsISK_E10value_typeET2_T3_PNSL_ISQ_E10value_typeET4_jRbjT5_SW_jjP12ihipStream_tbEUlT_E_NS1_11comp_targetILNS1_3genE9ELNS1_11target_archE1100ELNS1_3gpuE3ELNS1_3repE0EEENS1_30default_config_static_selectorELNS0_4arch9wavefront6targetE0EEEvSK_,@function
_ZN7rocprim17ROCPRIM_400000_NS6detail17trampoline_kernelINS0_14default_configENS1_36segmented_radix_sort_config_selectorIflEEZNS1_25segmented_radix_sort_implIS3_Lb1EPKfPfPKlPlN2at6native12_GLOBAL__N_18offset_tEEE10hipError_tPvRmT1_PNSt15iterator_traitsISK_E10value_typeET2_T3_PNSL_ISQ_E10value_typeET4_jRbjT5_SW_jjP12ihipStream_tbEUlT_E_NS1_11comp_targetILNS1_3genE9ELNS1_11target_archE1100ELNS1_3gpuE3ELNS1_3repE0EEENS1_30default_config_static_selectorELNS0_4arch9wavefront6targetE0EEEvSK_: ; @_ZN7rocprim17ROCPRIM_400000_NS6detail17trampoline_kernelINS0_14default_configENS1_36segmented_radix_sort_config_selectorIflEEZNS1_25segmented_radix_sort_implIS3_Lb1EPKfPfPKlPlN2at6native12_GLOBAL__N_18offset_tEEE10hipError_tPvRmT1_PNSt15iterator_traitsISK_E10value_typeET2_T3_PNSL_ISQ_E10value_typeET4_jRbjT5_SW_jjP12ihipStream_tbEUlT_E_NS1_11comp_targetILNS1_3genE9ELNS1_11target_archE1100ELNS1_3gpuE3ELNS1_3repE0EEENS1_30default_config_static_selectorELNS0_4arch9wavefront6targetE0EEEvSK_
; %bb.0:
	s_clause 0x1
	s_load_b64 s[2:3], s[0:1], 0x38
	s_load_b128 s[4:7], s[0:1], 0x40
	s_mov_b32 s26, s14
	s_mov_b32 s27, 0
	;; [unrolled: 1-line block ×3, first 2 shown]
	s_lshl_b64 s[8:9], s[26:27], 2
	s_waitcnt lgkmcnt(0)
	s_add_u32 s2, s2, s8
	s_addc_u32 s3, s3, s9
	s_load_b32 s2, s[2:3], 0x0
	s_waitcnt lgkmcnt(0)
	s_add_i32 s27, s2, s5
	s_add_i32 s33, s2, s7
	s_mul_i32 s27, s27, s4
	s_mul_i32 s33, s33, s6
	s_delay_alu instid0(SALU_CYCLE_1)
	s_cmp_le_u32 s33, s27
	s_cbranch_scc1 .LBB1333_678
; %bb.1:
	s_clause 0x3
	s_load_b32 s2, s[0:1], 0x30
	s_load_b128 s[52:55], s[0:1], 0x20
	s_load_b128 s[56:59], s[0:1], 0x50
	s_load_b256 s[44:51], s[0:1], 0x0
	s_waitcnt lgkmcnt(0)
	s_bitcmp1_b32 s2, 0
	s_mov_b32 s2, -1
	s_cselect_b32 s34, -1, 0
	s_sub_i32 s35, s33, s27
	s_delay_alu instid0(SALU_CYCLE_1)
	s_cmpk_lt_u32 s35, 0x801
	s_cbranch_scc0 .LBB1333_7
; %bb.2:
	v_cndmask_b32_e64 v1, 0, 1, s34
	s_and_b32 s2, s56, 1
	s_delay_alu instid0(VALU_DEP_1) | instid1(SALU_CYCLE_1)
	v_cmp_ne_u32_e32 vcc_lo, s2, v1
	s_mov_b32 s2, -1
	s_cbranch_vccnz .LBB1333_4
; %bb.3:
	s_mov_b64 s[2:3], src_shared_base
	v_mov_b32_e32 v31, v0
	v_dual_mov_b32 v41, v0 :: v_dual_mov_b32 v2, s48
	v_dual_mov_b32 v0, s44 :: v_dual_mov_b32 v1, s45
	;; [unrolled: 1-line block ×7, first 2 shown]
	v_mov_b32_e32 v13, s3
	s_add_u32 s8, s0, 0x60
	s_addc_u32 s9, s1, 0
	s_mov_b32 s12, s26
	s_mov_b32 s13, s15
	s_getpc_b64 s[4:5]
	s_add_u32 s4, s4, _ZN7rocprim17ROCPRIM_400000_NS6detail40segmented_radix_sort_single_block_helperIflLj256ELj8ELb1EE4sortIPKfPfPKlPlEEbT_T0_T1_T2_jjjjRNS3_12storage_typeE@rel32@lo+4
	s_addc_u32 s5, s5, _ZN7rocprim17ROCPRIM_400000_NS6detail40segmented_radix_sort_single_block_helperIflLj256ELj8ELb1EE4sortIPKfPfPKlPlEEbT_T0_T1_T2_jjjjRNS3_12storage_typeE@rel32@hi+12
	s_mov_b64 s[28:29], s[0:1]
	s_mov_b32 s56, s15
	s_swappc_b64 s[30:31], s[4:5]
	v_mov_b32_e32 v0, v41
	s_mov_b32 s15, s56
	s_mov_b64 s[0:1], s[28:29]
	s_mov_b32 s2, 0
.LBB1333_4:
	s_delay_alu instid0(SALU_CYCLE_1)
	s_and_not1_b32 vcc_lo, exec_lo, s2
	s_cbranch_vccnz .LBB1333_6
; %bb.5:
	s_mov_b64 s[2:3], src_shared_base
	v_mov_b32_e32 v31, v0
	v_dual_mov_b32 v41, v0 :: v_dual_mov_b32 v2, s46
	v_dual_mov_b32 v0, s44 :: v_dual_mov_b32 v1, s45
	;; [unrolled: 1-line block ×7, first 2 shown]
	v_mov_b32_e32 v13, s3
	s_add_u32 s8, s0, 0x60
	s_addc_u32 s9, s1, 0
	s_mov_b32 s12, s26
	s_mov_b32 s13, s15
	s_getpc_b64 s[4:5]
	s_add_u32 s4, s4, _ZN7rocprim17ROCPRIM_400000_NS6detail40segmented_radix_sort_single_block_helperIflLj256ELj8ELb1EE4sortIPKfPfPKlPlEEbT_T0_T1_T2_jjjjRNS3_12storage_typeE@rel32@lo+4
	s_addc_u32 s5, s5, _ZN7rocprim17ROCPRIM_400000_NS6detail40segmented_radix_sort_single_block_helperIflLj256ELj8ELb1EE4sortIPKfPfPKlPlEEbT_T0_T1_T2_jjjjRNS3_12storage_typeE@rel32@hi+12
	s_mov_b64 s[28:29], s[0:1]
	s_mov_b32 s56, s15
	s_swappc_b64 s[30:31], s[4:5]
	v_mov_b32_e32 v0, v41
	s_mov_b32 s15, s56
	s_mov_b64 s[0:1], s[28:29]
.LBB1333_6:
	s_mov_b32 s2, 0
.LBB1333_7:
	s_delay_alu instid0(SALU_CYCLE_1)
	s_and_not1_b32 vcc_lo, exec_lo, s2
	s_cbranch_vccnz .LBB1333_678
; %bb.8:
	s_cmp_ge_u32 s57, s58
	s_cbranch_scc1 .LBB1333_678
; %bb.9:
	v_dual_mov_b32 v71, 1 :: v_dual_and_b32 v18, 0x3ff, v0
	v_bfe_u32 v48, v0, 20, 10
	v_bfe_u32 v50, v0, 10, 10
	s_delay_alu instid0(VALU_DEP_3)
	v_dual_mov_b32 v20, 0 :: v_dual_lshlrev_b32 v31, 2, v18
	v_lshrrev_b32_e32 v1, 3, v18
	v_or_b32_e32 v2, 31, v18
	v_lshlrev_b32_e32 v3, 5, v18
	v_or_b32_e32 v32, 0x100, v18
	v_mad_u32_u24 v43, v18, 12, v31
	v_and_b32_e32 v41, 28, v1
	v_lshlrev_b32_e32 v1, 3, v18
	v_cmp_eq_u32_e64 s3, v2, v18
	v_add_nc_u32_e32 v2, 1, v18
	v_mad_u32_u24 v49, v18, 20, v43
	v_add_co_u32 v36, s2, s48, v31
	v_and_b32_e32 v47, 0x700, v1
	v_mul_u32_u24_e32 v1, 9, v18
	v_mul_u32_u24_e32 v0, 9, v2
	v_or_b32_e32 v33, 0x200, v18
	v_or_b32_e32 v34, 0x300, v18
	v_and_b32_e32 v35, 3, v18
	v_lshl_add_u32 v51, v1, 2, 0x420
	v_lshlrev_b32_e32 v1, 3, v47
	v_lshlrev_b32_e32 v53, 2, v0
	;; [unrolled: 1-line block ×3, first 2 shown]
	v_add_co_ci_u32_e64 v37, null, s49, 0, s2
	s_delay_alu instid0(VALU_DEP_4) | instskip(NEXT) | instid1(VALU_DEP_1)
	v_add_co_u32 v54, s7, s54, v1
	v_add_co_ci_u32_e64 v55, null, s55, 0, s7
	s_delay_alu instid0(VALU_DEP_4) | instskip(NEXT) | instid1(VALU_DEP_1)
	v_add_co_u32 v56, s7, s48, v0
	v_add_co_ci_u32_e64 v57, null, s49, 0, s7
	v_add_co_u32 v59, s7, s46, v31
	s_delay_alu instid0(VALU_DEP_1) | instskip(SKIP_1) | instid1(VALU_DEP_1)
	v_add_co_ci_u32_e64 v60, null, s47, 0, s7
	v_add_co_u32 v61, s7, s52, v1
	v_add_co_ci_u32_e64 v62, null, s53, 0, s7
	v_add_co_u32 v63, s7, s46, v0
	s_delay_alu instid0(VALU_DEP_1) | instskip(SKIP_1) | instid1(VALU_DEP_1)
	v_add_co_ci_u32_e64 v64, null, s47, 0, s7
	v_add_co_u32 v65, s7, s44, v31
	v_add_co_ci_u32_e64 v66, null, s45, 0, s7
	v_add_co_u32 v67, s7, s50, v1
	s_delay_alu instid0(VALU_DEP_1)
	v_add_co_ci_u32_e64 v68, null, s51, 0, s7
	v_add_co_u32 v69, s7, s44, v0
	v_or_b32_e32 v38, 0x400, v18
	v_or_b32_e32 v39, 0x500, v18
	;; [unrolled: 1-line block ×4, first 2 shown]
	v_cmp_gt_u32_e64 s2, 0x100, v18
	v_or_b32_e32 v44, 0x4400, v41
	v_cmp_gt_u32_e64 s4, 8, v18
	v_add_nc_u32_e32 v45, 0x4400, v31
	v_cmp_lt_u32_e64 s5, 31, v18
	v_dual_mov_b32 v1, -1 :: v_dual_add_nc_u32 v46, 0x43fc, v41
	s_add_u32 s28, s0, 0x60
	v_sub_nc_u32_e32 v52, v49, v3
	v_cmp_eq_u32_e64 s0, 0, v18
	v_cmp_ne_u32_e64 s6, 0x100, v2
	v_add_nc_u32_e32 v58, 0x400, v31
	v_add_co_ci_u32_e64 v70, null, s45, 0, s7
	v_mbcnt_lo_u32_b32 v72, -1, 0
	s_mov_b32 s25, 0
	s_addc_u32 s29, s1, 0
	s_mov_b32 s36, -1
	s_mov_b32 s30, s57
	s_branch .LBB1333_12
.LBB1333_10:                            ;   in Loop: Header=BB1333_12 Depth=1
	s_waitcnt lgkmcnt(0)
	s_barrier
.LBB1333_11:                            ;   in Loop: Header=BB1333_12 Depth=1
	s_add_i32 s30, s30, 8
	buffer_gl0_inv
	s_cmp_ge_u32 s30, s58
	s_cbranch_scc1 .LBB1333_678
.LBB1333_12:                            ; =>This Loop Header: Depth=1
                                        ;     Child Loop BB1333_16 Depth 2
                                        ;     Child Loop BB1333_66 Depth 2
	;; [unrolled: 1-line block ×8, first 2 shown]
	s_sub_i32 s1, s58, s30
	s_xor_b32 s34, s34, -1
	s_min_u32 s1, s1, 8
	ds_store_2addr_stride64_b32 v31, v20, v20 offset1:4
	s_lshl_b32 s1, -1, s1
	ds_store_2addr_stride64_b32 v31, v20, v20 offset0:8 offset1:12
	s_not_b32 s31, s1
	s_cmp_lg_u32 s30, s57
	s_mov_b32 s1, s36
	s_waitcnt lgkmcnt(0)
	s_waitcnt_vscnt null, 0x0
	s_cbranch_scc0 .LBB1333_346
; %bb.13:                               ;   in Loop: Header=BB1333_12 Depth=1
	s_and_b32 vcc_lo, exec_lo, s34
	s_mov_b32 s1, -1
	s_cbranch_vccz .LBB1333_179
; %bb.14:                               ;   in Loop: Header=BB1333_12 Depth=1
	s_mov_b32 s1, s35
	s_mov_b32 s24, s27
	s_barrier
	buffer_gl0_inv
                                        ; implicit-def: $vgpr2_vgpr3_vgpr4_vgpr5_vgpr6_vgpr7_vgpr8_vgpr9
	s_branch .LBB1333_16
.LBB1333_15:                            ;   in Loop: Header=BB1333_16 Depth=2
	s_or_b32 exec_lo, exec_lo, s8
	s_addk_i32 s1, 0xf800
	s_cmp_ge_u32 s7, s33
	s_mov_b32 s24, s7
	s_cbranch_scc1 .LBB1333_54
.LBB1333_16:                            ;   Parent Loop BB1333_12 Depth=1
                                        ; =>  This Inner Loop Header: Depth=2
	s_add_i32 s7, s24, 0x800
	s_delay_alu instid0(SALU_CYCLE_1)
	s_cmp_gt_u32 s7, s33
	s_cbranch_scc1 .LBB1333_19
; %bb.17:                               ;   in Loop: Header=BB1333_16 Depth=2
	s_mov_b32 s9, 0
	s_mov_b32 s8, s24
	s_delay_alu instid0(SALU_CYCLE_1) | instskip(NEXT) | instid1(SALU_CYCLE_1)
	s_lshl_b64 s[10:11], s[8:9], 2
	v_add_co_u32 v21, vcc_lo, v36, s10
	v_add_co_ci_u32_e32 v22, vcc_lo, s11, v37, vcc_lo
	s_mov_b32 s10, -1
	s_waitcnt vmcnt(0)
	s_delay_alu instid0(VALU_DEP_2) | instskip(NEXT) | instid1(VALU_DEP_2)
	v_add_co_u32 v16, vcc_lo, 0x1000, v21
	v_add_co_ci_u32_e32 v17, vcc_lo, 0, v22, vcc_lo
	s_clause 0x6
	global_load_b32 v10, v[21:22], off
	global_load_b32 v11, v[21:22], off offset:1024
	global_load_b32 v12, v[21:22], off offset:2048
	;; [unrolled: 1-line block ×3, first 2 shown]
	global_load_b32 v14, v[16:17], off
	global_load_b32 v15, v[16:17], off offset:1024
	global_load_b32 v16, v[16:17], off offset:2048
	v_add_co_u32 v21, vcc_lo, 0x1c00, v21
	v_add_co_ci_u32_e32 v22, vcc_lo, 0, v22, vcc_lo
	s_movk_i32 s11, 0x800
	s_cbranch_execz .LBB1333_20
; %bb.18:                               ;   in Loop: Header=BB1333_16 Depth=2
                                        ; implicit-def: $vgpr2_vgpr3_vgpr4_vgpr5_vgpr6_vgpr7_vgpr8_vgpr9
	v_mov_b32_e32 v0, s1
	s_and_saveexec_b32 s8, s10
	s_cbranch_execnz .LBB1333_31
	s_branch .LBB1333_32
.LBB1333_19:                            ;   in Loop: Header=BB1333_16 Depth=2
	s_mov_b32 s10, 0
                                        ; implicit-def: $sgpr11
                                        ; implicit-def: $vgpr10_vgpr11_vgpr12_vgpr13_vgpr14_vgpr15_vgpr16_vgpr17
                                        ; implicit-def: $vgpr21_vgpr22
.LBB1333_20:                            ;   in Loop: Header=BB1333_16 Depth=2
	s_lshl_b64 s[8:9], s[24:25], 2
	s_mov_b32 s11, exec_lo
	s_add_u32 s8, s48, s8
	s_addc_u32 s9, s49, s9
	v_cmpx_gt_u32_e64 s1, v18
	s_cbranch_execz .LBB1333_48
; %bb.21:                               ;   in Loop: Header=BB1333_16 Depth=2
	v_lshlrev_b32_e32 v0, 2, v18
	global_load_b32 v2, v0, s[8:9]
	s_or_b32 exec_lo, exec_lo, s11
	s_delay_alu instid0(SALU_CYCLE_1)
	s_mov_b32 s11, exec_lo
	v_cmpx_gt_u32_e64 s1, v32
	s_cbranch_execnz .LBB1333_49
.LBB1333_22:                            ;   in Loop: Header=BB1333_16 Depth=2
	s_or_b32 exec_lo, exec_lo, s11
	s_delay_alu instid0(SALU_CYCLE_1)
	s_mov_b32 s11, exec_lo
	v_cmpx_gt_u32_e64 s1, v33
	s_cbranch_execz .LBB1333_50
.LBB1333_23:                            ;   in Loop: Header=BB1333_16 Depth=2
	v_lshlrev_b32_e32 v0, 2, v18
	global_load_b32 v4, v0, s[8:9] offset:2048
	s_or_b32 exec_lo, exec_lo, s11
	s_delay_alu instid0(SALU_CYCLE_1)
	s_mov_b32 s11, exec_lo
	v_cmpx_gt_u32_e64 s1, v34
	s_cbranch_execnz .LBB1333_51
.LBB1333_24:                            ;   in Loop: Header=BB1333_16 Depth=2
	s_or_b32 exec_lo, exec_lo, s11
	s_delay_alu instid0(SALU_CYCLE_1)
	s_mov_b32 s11, exec_lo
	v_cmpx_gt_u32_e64 s1, v38
	s_cbranch_execz .LBB1333_52
.LBB1333_25:                            ;   in Loop: Header=BB1333_16 Depth=2
	v_lshlrev_b32_e32 v0, 2, v38
	global_load_b32 v6, v0, s[8:9]
	s_or_b32 exec_lo, exec_lo, s11
	s_delay_alu instid0(SALU_CYCLE_1)
	s_mov_b32 s11, exec_lo
	v_cmpx_gt_u32_e64 s1, v39
	s_cbranch_execnz .LBB1333_53
.LBB1333_26:                            ;   in Loop: Header=BB1333_16 Depth=2
	s_or_b32 exec_lo, exec_lo, s11
	s_delay_alu instid0(SALU_CYCLE_1)
	s_mov_b32 s11, exec_lo
	v_cmpx_gt_u32_e64 s1, v40
	s_cbranch_execz .LBB1333_28
.LBB1333_27:                            ;   in Loop: Header=BB1333_16 Depth=2
	v_lshlrev_b32_e32 v0, 2, v40
	global_load_b32 v8, v0, s[8:9]
.LBB1333_28:                            ;   in Loop: Header=BB1333_16 Depth=2
	s_or_b32 exec_lo, exec_lo, s11
	s_delay_alu instid0(SALU_CYCLE_1)
	s_mov_b32 s12, exec_lo
                                        ; implicit-def: $sgpr11
                                        ; implicit-def: $vgpr21_vgpr22
	v_cmpx_gt_u32_e64 s1, v42
; %bb.29:                               ;   in Loop: Header=BB1333_16 Depth=2
	v_lshlrev_b32_e32 v0, 2, v42
	s_sub_i32 s11, s33, s24
	s_or_b32 s10, s10, exec_lo
	s_delay_alu instid0(VALU_DEP_1) | instskip(NEXT) | instid1(VALU_DEP_1)
	v_add_co_u32 v21, s8, s8, v0
	v_add_co_ci_u32_e64 v22, null, s9, 0, s8
; %bb.30:                               ;   in Loop: Header=BB1333_16 Depth=2
	s_or_b32 exec_lo, exec_lo, s12
	s_waitcnt vmcnt(0)
	v_dual_mov_b32 v17, v9 :: v_dual_mov_b32 v16, v8
	v_dual_mov_b32 v15, v7 :: v_dual_mov_b32 v14, v6
	;; [unrolled: 1-line block ×4, first 2 shown]
	v_mov_b32_e32 v0, s1
	s_and_saveexec_b32 s8, s10
	s_cbranch_execz .LBB1333_32
.LBB1333_31:                            ;   in Loop: Header=BB1333_16 Depth=2
	global_load_b32 v17, v[21:22], off
	s_waitcnt vmcnt(0)
	v_dual_mov_b32 v2, v10 :: v_dual_mov_b32 v5, v13
	v_dual_mov_b32 v0, s11 :: v_dual_mov_b32 v3, v11
	;; [unrolled: 1-line block ×3, first 2 shown]
	v_mov_b32_e32 v6, v14
	v_dual_mov_b32 v8, v16 :: v_dual_mov_b32 v9, v17
.LBB1333_32:                            ;   in Loop: Header=BB1333_16 Depth=2
	s_or_b32 exec_lo, exec_lo, s8
	s_delay_alu instid0(SALU_CYCLE_1)
	s_mov_b32 s8, exec_lo
	v_cmpx_lt_u32_e64 v18, v0
	s_cbranch_execz .LBB1333_40
; %bb.33:                               ;   in Loop: Header=BB1333_16 Depth=2
	v_cmp_gt_i32_e32 vcc_lo, 0, v2
	s_waitcnt vmcnt(5)
	v_lshlrev_b32_e32 v11, 2, v35
	v_cndmask_b32_e64 v10, 0x7fffffff, 0, vcc_lo
	s_delay_alu instid0(VALU_DEP_1) | instskip(NEXT) | instid1(VALU_DEP_1)
	v_xor_b32_e32 v10, v10, v2
	v_cmp_ne_u32_e32 vcc_lo, 0x80000000, v10
	v_cndmask_b32_e32 v10, 0x7fffffff, v10, vcc_lo
	s_delay_alu instid0(VALU_DEP_1) | instskip(NEXT) | instid1(VALU_DEP_1)
	v_lshrrev_b32_e32 v10, s30, v10
	v_and_b32_e32 v10, s31, v10
	s_delay_alu instid0(VALU_DEP_1) | instskip(SKIP_2) | instid1(SALU_CYCLE_1)
	v_lshl_or_b32 v10, v10, 4, v11
	ds_add_u32 v10, v71
	s_or_b32 exec_lo, exec_lo, s8
	s_mov_b32 s8, exec_lo
	v_cmpx_lt_u32_e64 v32, v0
	s_cbranch_execnz .LBB1333_41
.LBB1333_34:                            ;   in Loop: Header=BB1333_16 Depth=2
	s_or_b32 exec_lo, exec_lo, s8
	s_delay_alu instid0(SALU_CYCLE_1)
	s_mov_b32 s8, exec_lo
	v_cmpx_lt_u32_e64 v33, v0
	s_cbranch_execz .LBB1333_42
.LBB1333_35:                            ;   in Loop: Header=BB1333_16 Depth=2
	v_cmp_gt_i32_e32 vcc_lo, 0, v4
	s_waitcnt vmcnt(5)
	v_lshlrev_b32_e32 v11, 2, v35
	v_cndmask_b32_e64 v10, 0x7fffffff, 0, vcc_lo
	s_delay_alu instid0(VALU_DEP_1) | instskip(NEXT) | instid1(VALU_DEP_1)
	v_xor_b32_e32 v10, v10, v4
	v_cmp_ne_u32_e32 vcc_lo, 0x80000000, v10
	v_cndmask_b32_e32 v10, 0x7fffffff, v10, vcc_lo
	s_delay_alu instid0(VALU_DEP_1) | instskip(NEXT) | instid1(VALU_DEP_1)
	v_lshrrev_b32_e32 v10, s30, v10
	v_and_b32_e32 v10, s31, v10
	s_delay_alu instid0(VALU_DEP_1) | instskip(SKIP_2) | instid1(SALU_CYCLE_1)
	v_lshl_or_b32 v10, v10, 4, v11
	ds_add_u32 v10, v71
	s_or_b32 exec_lo, exec_lo, s8
	s_mov_b32 s8, exec_lo
	v_cmpx_lt_u32_e64 v34, v0
	s_cbranch_execnz .LBB1333_43
.LBB1333_36:                            ;   in Loop: Header=BB1333_16 Depth=2
	s_or_b32 exec_lo, exec_lo, s8
	s_delay_alu instid0(SALU_CYCLE_1)
	s_mov_b32 s8, exec_lo
	v_cmpx_lt_u32_e64 v38, v0
	s_cbranch_execz .LBB1333_44
.LBB1333_37:                            ;   in Loop: Header=BB1333_16 Depth=2
	v_cmp_gt_i32_e32 vcc_lo, 0, v6
	s_waitcnt vmcnt(5)
	v_lshlrev_b32_e32 v11, 2, v35
	v_cndmask_b32_e64 v10, 0x7fffffff, 0, vcc_lo
	s_delay_alu instid0(VALU_DEP_1) | instskip(NEXT) | instid1(VALU_DEP_1)
	v_xor_b32_e32 v10, v10, v6
	v_cmp_ne_u32_e32 vcc_lo, 0x80000000, v10
	v_cndmask_b32_e32 v10, 0x7fffffff, v10, vcc_lo
	s_delay_alu instid0(VALU_DEP_1) | instskip(NEXT) | instid1(VALU_DEP_1)
	v_lshrrev_b32_e32 v10, s30, v10
	v_and_b32_e32 v10, s31, v10
	s_delay_alu instid0(VALU_DEP_1) | instskip(SKIP_2) | instid1(SALU_CYCLE_1)
	v_lshl_or_b32 v10, v10, 4, v11
	ds_add_u32 v10, v71
	s_or_b32 exec_lo, exec_lo, s8
	s_mov_b32 s8, exec_lo
	v_cmpx_lt_u32_e64 v39, v0
	s_cbranch_execnz .LBB1333_45
.LBB1333_38:                            ;   in Loop: Header=BB1333_16 Depth=2
	s_or_b32 exec_lo, exec_lo, s8
	s_delay_alu instid0(SALU_CYCLE_1)
	s_mov_b32 s8, exec_lo
	v_cmpx_lt_u32_e64 v40, v0
	s_cbranch_execz .LBB1333_46
.LBB1333_39:                            ;   in Loop: Header=BB1333_16 Depth=2
	v_cmp_gt_i32_e32 vcc_lo, 0, v8
	s_waitcnt vmcnt(5)
	v_lshlrev_b32_e32 v11, 2, v35
	v_cndmask_b32_e64 v10, 0x7fffffff, 0, vcc_lo
	s_delay_alu instid0(VALU_DEP_1) | instskip(NEXT) | instid1(VALU_DEP_1)
	v_xor_b32_e32 v10, v10, v8
	v_cmp_ne_u32_e32 vcc_lo, 0x80000000, v10
	v_cndmask_b32_e32 v10, 0x7fffffff, v10, vcc_lo
	s_delay_alu instid0(VALU_DEP_1) | instskip(NEXT) | instid1(VALU_DEP_1)
	v_lshrrev_b32_e32 v10, s30, v10
	v_and_b32_e32 v10, s31, v10
	s_delay_alu instid0(VALU_DEP_1) | instskip(SKIP_2) | instid1(SALU_CYCLE_1)
	v_lshl_or_b32 v10, v10, 4, v11
	ds_add_u32 v10, v71
	s_or_b32 exec_lo, exec_lo, s8
	s_mov_b32 s8, exec_lo
	v_cmpx_lt_u32_e64 v42, v0
	s_cbranch_execz .LBB1333_15
	s_branch .LBB1333_47
.LBB1333_40:                            ;   in Loop: Header=BB1333_16 Depth=2
	s_or_b32 exec_lo, exec_lo, s8
	s_delay_alu instid0(SALU_CYCLE_1)
	s_mov_b32 s8, exec_lo
	v_cmpx_lt_u32_e64 v32, v0
	s_cbranch_execz .LBB1333_34
.LBB1333_41:                            ;   in Loop: Header=BB1333_16 Depth=2
	v_cmp_gt_i32_e32 vcc_lo, 0, v3
	s_waitcnt vmcnt(5)
	v_lshlrev_b32_e32 v11, 2, v35
	v_cndmask_b32_e64 v10, 0x7fffffff, 0, vcc_lo
	s_delay_alu instid0(VALU_DEP_1) | instskip(NEXT) | instid1(VALU_DEP_1)
	v_xor_b32_e32 v10, v10, v3
	v_cmp_ne_u32_e32 vcc_lo, 0x80000000, v10
	v_cndmask_b32_e32 v10, 0x7fffffff, v10, vcc_lo
	s_delay_alu instid0(VALU_DEP_1) | instskip(NEXT) | instid1(VALU_DEP_1)
	v_lshrrev_b32_e32 v10, s30, v10
	v_and_b32_e32 v10, s31, v10
	s_delay_alu instid0(VALU_DEP_1) | instskip(SKIP_2) | instid1(SALU_CYCLE_1)
	v_lshl_or_b32 v10, v10, 4, v11
	ds_add_u32 v10, v71
	s_or_b32 exec_lo, exec_lo, s8
	s_mov_b32 s8, exec_lo
	v_cmpx_lt_u32_e64 v33, v0
	s_cbranch_execnz .LBB1333_35
.LBB1333_42:                            ;   in Loop: Header=BB1333_16 Depth=2
	s_or_b32 exec_lo, exec_lo, s8
	s_delay_alu instid0(SALU_CYCLE_1)
	s_mov_b32 s8, exec_lo
	v_cmpx_lt_u32_e64 v34, v0
	s_cbranch_execz .LBB1333_36
.LBB1333_43:                            ;   in Loop: Header=BB1333_16 Depth=2
	v_cmp_gt_i32_e32 vcc_lo, 0, v5
	s_waitcnt vmcnt(5)
	v_lshlrev_b32_e32 v11, 2, v35
	v_cndmask_b32_e64 v10, 0x7fffffff, 0, vcc_lo
	s_delay_alu instid0(VALU_DEP_1) | instskip(NEXT) | instid1(VALU_DEP_1)
	v_xor_b32_e32 v10, v10, v5
	v_cmp_ne_u32_e32 vcc_lo, 0x80000000, v10
	v_cndmask_b32_e32 v10, 0x7fffffff, v10, vcc_lo
	s_delay_alu instid0(VALU_DEP_1) | instskip(NEXT) | instid1(VALU_DEP_1)
	v_lshrrev_b32_e32 v10, s30, v10
	v_and_b32_e32 v10, s31, v10
	s_delay_alu instid0(VALU_DEP_1) | instskip(SKIP_2) | instid1(SALU_CYCLE_1)
	v_lshl_or_b32 v10, v10, 4, v11
	ds_add_u32 v10, v71
	s_or_b32 exec_lo, exec_lo, s8
	s_mov_b32 s8, exec_lo
	v_cmpx_lt_u32_e64 v38, v0
	s_cbranch_execnz .LBB1333_37
.LBB1333_44:                            ;   in Loop: Header=BB1333_16 Depth=2
	s_or_b32 exec_lo, exec_lo, s8
	s_delay_alu instid0(SALU_CYCLE_1)
	s_mov_b32 s8, exec_lo
	v_cmpx_lt_u32_e64 v39, v0
	s_cbranch_execz .LBB1333_38
.LBB1333_45:                            ;   in Loop: Header=BB1333_16 Depth=2
	v_cmp_gt_i32_e32 vcc_lo, 0, v7
	s_waitcnt vmcnt(5)
	v_lshlrev_b32_e32 v11, 2, v35
	v_cndmask_b32_e64 v10, 0x7fffffff, 0, vcc_lo
	s_delay_alu instid0(VALU_DEP_1) | instskip(NEXT) | instid1(VALU_DEP_1)
	v_xor_b32_e32 v10, v10, v7
	v_cmp_ne_u32_e32 vcc_lo, 0x80000000, v10
	v_cndmask_b32_e32 v10, 0x7fffffff, v10, vcc_lo
	s_delay_alu instid0(VALU_DEP_1) | instskip(NEXT) | instid1(VALU_DEP_1)
	v_lshrrev_b32_e32 v10, s30, v10
	v_and_b32_e32 v10, s31, v10
	s_delay_alu instid0(VALU_DEP_1) | instskip(SKIP_2) | instid1(SALU_CYCLE_1)
	v_lshl_or_b32 v10, v10, 4, v11
	ds_add_u32 v10, v71
	s_or_b32 exec_lo, exec_lo, s8
	s_mov_b32 s8, exec_lo
	v_cmpx_lt_u32_e64 v40, v0
	s_cbranch_execnz .LBB1333_39
.LBB1333_46:                            ;   in Loop: Header=BB1333_16 Depth=2
	s_or_b32 exec_lo, exec_lo, s8
	s_delay_alu instid0(SALU_CYCLE_1)
	s_mov_b32 s8, exec_lo
	v_cmpx_lt_u32_e64 v42, v0
	s_cbranch_execz .LBB1333_15
.LBB1333_47:                            ;   in Loop: Header=BB1333_16 Depth=2
	v_cmp_gt_i32_e32 vcc_lo, 0, v9
	s_waitcnt vmcnt(6)
	v_lshlrev_b32_e32 v10, 2, v35
	v_cndmask_b32_e64 v0, 0x7fffffff, 0, vcc_lo
	s_delay_alu instid0(VALU_DEP_1) | instskip(NEXT) | instid1(VALU_DEP_1)
	v_xor_b32_e32 v0, v0, v9
	v_cmp_ne_u32_e32 vcc_lo, 0x80000000, v0
	v_cndmask_b32_e32 v0, 0x7fffffff, v0, vcc_lo
	s_delay_alu instid0(VALU_DEP_1) | instskip(NEXT) | instid1(VALU_DEP_1)
	v_lshrrev_b32_e32 v0, s30, v0
	v_and_b32_e32 v0, s31, v0
	s_delay_alu instid0(VALU_DEP_1)
	v_lshl_or_b32 v0, v0, 4, v10
	ds_add_u32 v0, v71
	s_branch .LBB1333_15
.LBB1333_48:                            ;   in Loop: Header=BB1333_16 Depth=2
	s_or_b32 exec_lo, exec_lo, s11
	s_delay_alu instid0(SALU_CYCLE_1)
	s_mov_b32 s11, exec_lo
	v_cmpx_gt_u32_e64 s1, v32
	s_cbranch_execz .LBB1333_22
.LBB1333_49:                            ;   in Loop: Header=BB1333_16 Depth=2
	v_lshlrev_b32_e32 v0, 2, v18
	global_load_b32 v3, v0, s[8:9] offset:1024
	s_or_b32 exec_lo, exec_lo, s11
	s_delay_alu instid0(SALU_CYCLE_1)
	s_mov_b32 s11, exec_lo
	v_cmpx_gt_u32_e64 s1, v33
	s_cbranch_execnz .LBB1333_23
.LBB1333_50:                            ;   in Loop: Header=BB1333_16 Depth=2
	s_or_b32 exec_lo, exec_lo, s11
	s_delay_alu instid0(SALU_CYCLE_1)
	s_mov_b32 s11, exec_lo
	v_cmpx_gt_u32_e64 s1, v34
	s_cbranch_execz .LBB1333_24
.LBB1333_51:                            ;   in Loop: Header=BB1333_16 Depth=2
	v_lshlrev_b32_e32 v0, 2, v18
	global_load_b32 v5, v0, s[8:9] offset:3072
	s_or_b32 exec_lo, exec_lo, s11
	s_delay_alu instid0(SALU_CYCLE_1)
	s_mov_b32 s11, exec_lo
	v_cmpx_gt_u32_e64 s1, v38
	s_cbranch_execnz .LBB1333_25
.LBB1333_52:                            ;   in Loop: Header=BB1333_16 Depth=2
	s_or_b32 exec_lo, exec_lo, s11
	s_delay_alu instid0(SALU_CYCLE_1)
	s_mov_b32 s11, exec_lo
	v_cmpx_gt_u32_e64 s1, v39
	s_cbranch_execz .LBB1333_26
.LBB1333_53:                            ;   in Loop: Header=BB1333_16 Depth=2
	v_lshlrev_b32_e32 v0, 2, v39
	global_load_b32 v7, v0, s[8:9]
	s_or_b32 exec_lo, exec_lo, s11
	s_delay_alu instid0(SALU_CYCLE_1)
	s_mov_b32 s11, exec_lo
	v_cmpx_gt_u32_e64 s1, v40
	s_cbranch_execz .LBB1333_28
	s_branch .LBB1333_27
.LBB1333_54:                            ;   in Loop: Header=BB1333_12 Depth=1
	v_mov_b32_e32 v0, 0
	s_waitcnt vmcnt(0) lgkmcnt(0)
	s_barrier
	buffer_gl0_inv
	s_and_saveexec_b32 s1, s2
	s_cbranch_execz .LBB1333_56
; %bb.55:                               ;   in Loop: Header=BB1333_12 Depth=1
	ds_load_2addr_b64 v[2:5], v43 offset1:1
	s_waitcnt lgkmcnt(0)
	v_add_nc_u32_e32 v0, v3, v2
	s_delay_alu instid0(VALU_DEP_1)
	v_add3_u32 v0, v0, v4, v5
.LBB1333_56:                            ;   in Loop: Header=BB1333_12 Depth=1
	s_or_b32 exec_lo, exec_lo, s1
	v_and_b32_e32 v2, 15, v72
	s_delay_alu instid0(VALU_DEP_2) | instskip(SKIP_1) | instid1(VALU_DEP_3)
	v_mov_b32_dpp v3, v0 row_shr:1 row_mask:0xf bank_mask:0xf
	v_and_b32_e32 v4, 16, v72
	v_cmp_eq_u32_e64 s1, 0, v2
	v_cmp_lt_u32_e64 s7, 1, v2
	v_cmp_lt_u32_e64 s8, 3, v2
	;; [unrolled: 1-line block ×3, first 2 shown]
	v_cmp_eq_u32_e64 s10, 0, v4
	v_cndmask_b32_e64 v3, v3, 0, s1
	s_delay_alu instid0(VALU_DEP_1) | instskip(NEXT) | instid1(VALU_DEP_1)
	v_add_nc_u32_e32 v0, v3, v0
	v_mov_b32_dpp v3, v0 row_shr:2 row_mask:0xf bank_mask:0xf
	s_delay_alu instid0(VALU_DEP_1) | instskip(NEXT) | instid1(VALU_DEP_1)
	v_cndmask_b32_e64 v3, 0, v3, s7
	v_add_nc_u32_e32 v0, v0, v3
	s_delay_alu instid0(VALU_DEP_1) | instskip(NEXT) | instid1(VALU_DEP_1)
	v_mov_b32_dpp v3, v0 row_shr:4 row_mask:0xf bank_mask:0xf
	v_cndmask_b32_e64 v3, 0, v3, s8
	s_delay_alu instid0(VALU_DEP_1) | instskip(NEXT) | instid1(VALU_DEP_1)
	v_add_nc_u32_e32 v0, v0, v3
	v_mov_b32_dpp v3, v0 row_shr:8 row_mask:0xf bank_mask:0xf
	s_delay_alu instid0(VALU_DEP_1) | instskip(SKIP_1) | instid1(VALU_DEP_2)
	v_cndmask_b32_e64 v2, 0, v3, s9
	v_bfe_i32 v3, v72, 4, 1
	v_add_nc_u32_e32 v0, v0, v2
	ds_swizzle_b32 v2, v0 offset:swizzle(BROADCAST,32,15)
	s_waitcnt lgkmcnt(0)
	v_and_b32_e32 v2, v3, v2
	s_delay_alu instid0(VALU_DEP_1)
	v_add_nc_u32_e32 v2, v0, v2
	s_and_saveexec_b32 s11, s3
	s_cbranch_execz .LBB1333_58
; %bb.57:                               ;   in Loop: Header=BB1333_12 Depth=1
	ds_store_b32 v44, v2
.LBB1333_58:                            ;   in Loop: Header=BB1333_12 Depth=1
	s_or_b32 exec_lo, exec_lo, s11
	v_and_b32_e32 v0, 7, v72
	s_waitcnt lgkmcnt(0)
	s_barrier
	buffer_gl0_inv
	s_and_saveexec_b32 s11, s4
	s_cbranch_execz .LBB1333_60
; %bb.59:                               ;   in Loop: Header=BB1333_12 Depth=1
	ds_load_b32 v3, v45
	v_cmp_ne_u32_e32 vcc_lo, 0, v0
	s_waitcnt lgkmcnt(0)
	v_mov_b32_dpp v4, v3 row_shr:1 row_mask:0xf bank_mask:0xf
	s_delay_alu instid0(VALU_DEP_1) | instskip(SKIP_1) | instid1(VALU_DEP_2)
	v_cndmask_b32_e32 v4, 0, v4, vcc_lo
	v_cmp_lt_u32_e32 vcc_lo, 1, v0
	v_add_nc_u32_e32 v3, v4, v3
	s_delay_alu instid0(VALU_DEP_1) | instskip(NEXT) | instid1(VALU_DEP_1)
	v_mov_b32_dpp v4, v3 row_shr:2 row_mask:0xf bank_mask:0xf
	v_cndmask_b32_e32 v4, 0, v4, vcc_lo
	v_cmp_lt_u32_e32 vcc_lo, 3, v0
	s_delay_alu instid0(VALU_DEP_2) | instskip(NEXT) | instid1(VALU_DEP_1)
	v_add_nc_u32_e32 v3, v3, v4
	v_mov_b32_dpp v4, v3 row_shr:4 row_mask:0xf bank_mask:0xf
	s_delay_alu instid0(VALU_DEP_1) | instskip(NEXT) | instid1(VALU_DEP_1)
	v_cndmask_b32_e32 v4, 0, v4, vcc_lo
	v_add_nc_u32_e32 v3, v3, v4
	ds_store_b32 v45, v3
.LBB1333_60:                            ;   in Loop: Header=BB1333_12 Depth=1
	s_or_b32 exec_lo, exec_lo, s11
	v_mov_b32_e32 v3, 0
	s_waitcnt lgkmcnt(0)
	s_barrier
	buffer_gl0_inv
	s_and_saveexec_b32 s11, s5
	s_cbranch_execz .LBB1333_62
; %bb.61:                               ;   in Loop: Header=BB1333_12 Depth=1
	ds_load_b32 v3, v46
.LBB1333_62:                            ;   in Loop: Header=BB1333_12 Depth=1
	s_or_b32 exec_lo, exec_lo, s11
	v_add_nc_u32_e32 v4, -1, v72
	s_waitcnt lgkmcnt(0)
	v_add_nc_u32_e32 v2, v3, v2
	v_cmp_eq_u32_e64 s11, 0, v72
	s_barrier
	v_cmp_gt_i32_e32 vcc_lo, 0, v4
	buffer_gl0_inv
	v_cndmask_b32_e32 v4, v4, v72, vcc_lo
	s_delay_alu instid0(VALU_DEP_1)
	v_lshlrev_b32_e32 v73, 2, v4
	ds_bpermute_b32 v2, v73, v2
	s_and_saveexec_b32 s12, s2
	s_cbranch_execz .LBB1333_64
; %bb.63:                               ;   in Loop: Header=BB1333_12 Depth=1
	s_waitcnt lgkmcnt(0)
	v_cndmask_b32_e64 v2, v2, v3, s11
	s_delay_alu instid0(VALU_DEP_1)
	v_add_nc_u32_e32 v2, s27, v2
	ds_store_b32 v31, v2
.LBB1333_64:                            ;   in Loop: Header=BB1333_12 Depth=1
	s_or_b32 exec_lo, exec_lo, s12
	s_clause 0x1
	s_load_b32 s12, s[28:29], 0x4
	s_load_b32 s16, s[28:29], 0xc
	v_lshlrev_b32_e32 v3, 3, v72
	v_cmp_lt_u32_e64 s14, 3, v0
	v_or_b32_e32 v74, v72, v47
	s_mov_b32 s50, s35
	s_mov_b32 s24, s27
	v_add_co_u32 v75, vcc_lo, v54, v3
	v_add_co_ci_u32_e32 v76, vcc_lo, 0, v55, vcc_lo
	v_or_b32_e32 v77, 32, v74
	v_or_b32_e32 v78, 64, v74
	;; [unrolled: 1-line block ×7, first 2 shown]
                                        ; implicit-def: $vgpr10_vgpr11
                                        ; implicit-def: $vgpr12_vgpr13
                                        ; implicit-def: $vgpr14_vgpr15
                                        ; implicit-def: $vgpr16_vgpr17
                                        ; implicit-def: $vgpr21_vgpr22
                                        ; implicit-def: $vgpr23_vgpr24
                                        ; implicit-def: $vgpr25_vgpr26
                                        ; implicit-def: $vgpr27_vgpr28
                                        ; implicit-def: $vgpr89
                                        ; implicit-def: $vgpr90
                                        ; implicit-def: $vgpr91
                                        ; implicit-def: $vgpr92
                                        ; implicit-def: $vgpr93
                                        ; implicit-def: $vgpr94
                                        ; implicit-def: $vgpr95
                                        ; implicit-def: $vgpr96
	s_waitcnt lgkmcnt(0)
	s_cmp_lt_u32 s15, s12
	s_cselect_b32 s12, 14, 20
	s_delay_alu instid0(SALU_CYCLE_1)
	s_add_u32 s12, s28, s12
	s_addc_u32 s13, s29, 0
	s_and_b32 s16, s16, 0xffff
	global_load_u16 v2, v20, s[12:13]
	v_cmp_eq_u32_e64 s12, 0, v0
	v_cmp_lt_u32_e64 s13, 1, v0
	v_lshlrev_b32_e32 v0, 2, v72
	s_delay_alu instid0(VALU_DEP_1) | instskip(SKIP_1) | instid1(VALU_DEP_2)
	v_add_co_u32 v84, vcc_lo, v56, v0
	v_add_co_ci_u32_e32 v85, vcc_lo, 0, v57, vcc_lo
	v_add_co_u32 v87, vcc_lo, 0x380, v84
	s_delay_alu instid0(VALU_DEP_2) | instskip(SKIP_2) | instid1(VALU_DEP_1)
	v_add_co_ci_u32_e32 v88, vcc_lo, 0, v85, vcc_lo
	s_waitcnt vmcnt(0)
	v_mad_u32_u24 v4, v48, v2, v50
	v_mad_u64_u32 v[2:3], null, v4, s16, v[18:19]
	s_delay_alu instid0(VALU_DEP_1)
	v_lshrrev_b32_e32 v86, 5, v2
	s_branch .LBB1333_66
.LBB1333_65:                            ;   in Loop: Header=BB1333_66 Depth=2
	s_or_b32 exec_lo, exec_lo, s16
	s_addk_i32 s50, 0xf800
	s_cmp_lt_u32 s51, s33
	s_mov_b32 s24, s51
	s_cbranch_scc0 .LBB1333_178
.LBB1333_66:                            ;   Parent Loop BB1333_12 Depth=1
                                        ; =>  This Inner Loop Header: Depth=2
	s_add_i32 s51, s24, 0x800
	s_delay_alu instid0(SALU_CYCLE_1)
	s_cmp_gt_u32 s51, s33
	s_cbranch_scc1 .LBB1333_68
; %bb.67:                               ;   in Loop: Header=BB1333_66 Depth=2
	s_mov_b32 s17, 0
	s_mov_b32 s16, s24
	s_delay_alu instid0(SALU_CYCLE_1) | instskip(NEXT) | instid1(SALU_CYCLE_1)
	s_lshl_b64 s[18:19], s[16:17], 2
	v_add_co_u32 v8, vcc_lo, v84, s18
	v_add_co_ci_u32_e32 v9, vcc_lo, s19, v85, vcc_lo
	s_mov_b32 s19, -1
	s_movk_i32 s18, 0x800
	s_clause 0x6
	global_load_b32 v2, v[8:9], off
	global_load_b32 v3, v[8:9], off offset:128
	global_load_b32 v4, v[8:9], off offset:256
	;; [unrolled: 1-line block ×6, first 2 shown]
	s_cbranch_execz .LBB1333_69
	s_branch .LBB1333_78
.LBB1333_68:                            ;   in Loop: Header=BB1333_66 Depth=2
	s_mov_b32 s17, -1
	s_mov_b32 s19, 0
                                        ; implicit-def: $sgpr18
                                        ; implicit-def: $vgpr2_vgpr3_vgpr4_vgpr5_vgpr6_vgpr7_vgpr8_vgpr9
.LBB1333_69:                            ;   in Loop: Header=BB1333_66 Depth=2
	s_lshl_b64 s[16:17], s[24:25], 2
	s_mov_b32 s37, s36
	v_add_co_u32 v29, vcc_lo, v84, s16
	s_mov_b32 s38, s36
	s_mov_b32 s39, s36
	;; [unrolled: 1-line block ×6, first 2 shown]
	s_waitcnt vmcnt(0)
	v_dual_mov_b32 v2, s36 :: v_dual_mov_b32 v3, s37
	v_add_co_ci_u32_e32 v30, vcc_lo, s17, v85, vcc_lo
	v_dual_mov_b32 v4, s38 :: v_dual_mov_b32 v5, s39
	v_dual_mov_b32 v6, s40 :: v_dual_mov_b32 v7, s41
	;; [unrolled: 1-line block ×3, first 2 shown]
	s_mov_b32 s16, exec_lo
	v_cmpx_gt_u32_e64 s50, v74
	s_cbranch_execz .LBB1333_172
; %bb.70:                               ;   in Loop: Header=BB1333_66 Depth=2
	global_load_b32 v0, v[29:30], off
	v_mov_b32_e32 v7, v1
	v_mov_b32_e32 v2, v1
	v_mov_b32_e32 v3, v1
	v_mov_b32_e32 v4, v1
	v_mov_b32_e32 v5, v1
	v_mov_b32_e32 v6, v1
	s_waitcnt vmcnt(0)
	v_mov_b32_e32 v9, v7
	s_delay_alu instid0(VALU_DEP_2)
	v_dual_mov_b32 v8, v6 :: v_dual_mov_b32 v7, v5
	v_mov_b32_e32 v6, v4
	v_mov_b32_e32 v5, v3
	v_mov_b32_e32 v4, v2
	v_mov_b32_e32 v3, v1
	v_mov_b32_e32 v2, v0
	s_or_b32 exec_lo, exec_lo, s16
	s_delay_alu instid0(SALU_CYCLE_1)
	s_mov_b32 s16, exec_lo
	v_cmpx_gt_u32_e64 s50, v77
	s_cbranch_execnz .LBB1333_173
.LBB1333_71:                            ;   in Loop: Header=BB1333_66 Depth=2
	s_or_b32 exec_lo, exec_lo, s16
	s_delay_alu instid0(SALU_CYCLE_1)
	s_mov_b32 s16, exec_lo
	v_cmpx_gt_u32_e64 s50, v78
	s_cbranch_execz .LBB1333_174
.LBB1333_72:                            ;   in Loop: Header=BB1333_66 Depth=2
	global_load_b32 v4, v[29:30], off offset:256
	s_or_b32 exec_lo, exec_lo, s16
	s_delay_alu instid0(SALU_CYCLE_1)
	s_mov_b32 s16, exec_lo
	v_cmpx_gt_u32_e64 s50, v79
	s_cbranch_execnz .LBB1333_175
.LBB1333_73:                            ;   in Loop: Header=BB1333_66 Depth=2
	s_or_b32 exec_lo, exec_lo, s16
	s_delay_alu instid0(SALU_CYCLE_1)
	s_mov_b32 s16, exec_lo
	v_cmpx_gt_u32_e64 s50, v80
	s_cbranch_execz .LBB1333_176
.LBB1333_74:                            ;   in Loop: Header=BB1333_66 Depth=2
	global_load_b32 v6, v[29:30], off offset:512
	s_or_b32 exec_lo, exec_lo, s16
	s_delay_alu instid0(SALU_CYCLE_1)
	s_mov_b32 s16, exec_lo
	v_cmpx_gt_u32_e64 s50, v81
	s_cbranch_execnz .LBB1333_177
.LBB1333_75:                            ;   in Loop: Header=BB1333_66 Depth=2
	s_or_b32 exec_lo, exec_lo, s16
	s_delay_alu instid0(SALU_CYCLE_1)
	s_mov_b32 s16, exec_lo
	v_cmpx_gt_u32_e64 s50, v82
	s_cbranch_execz .LBB1333_77
.LBB1333_76:                            ;   in Loop: Header=BB1333_66 Depth=2
	global_load_b32 v8, v[29:30], off offset:768
.LBB1333_77:                            ;   in Loop: Header=BB1333_66 Depth=2
	s_or_b32 exec_lo, exec_lo, s16
	v_cmp_gt_u32_e64 s19, s50, v83
	s_sub_i32 s18, s33, s24
	s_mov_b64 s[16:17], s[24:25]
.LBB1333_78:                            ;   in Loop: Header=BB1333_66 Depth=2
	v_mov_b32_e32 v0, s50
	s_delay_alu instid0(VALU_DEP_2)
	s_and_saveexec_b32 s20, s19
	s_cbranch_execz .LBB1333_80
; %bb.79:                               ;   in Loop: Header=BB1333_66 Depth=2
	s_lshl_b64 s[16:17], s[16:17], 2
	v_mov_b32_e32 v0, s18
	v_add_co_u32 v29, vcc_lo, v87, s16
	v_add_co_ci_u32_e32 v30, vcc_lo, s17, v88, vcc_lo
	global_load_b32 v9, v[29:30], off
.LBB1333_80:                            ;   in Loop: Header=BB1333_66 Depth=2
	s_or_b32 exec_lo, exec_lo, s20
	s_waitcnt vmcnt(6)
	v_cmp_gt_i32_e32 vcc_lo, 0, v2
	ds_store_b32 v49, v20 offset:1056
	ds_store_2addr_b32 v51, v20, v20 offset0:1 offset1:2
	ds_store_2addr_b32 v51, v20, v20 offset0:3 offset1:4
	;; [unrolled: 1-line block ×4, first 2 shown]
	s_waitcnt vmcnt(0) lgkmcnt(0)
	s_barrier
	v_cndmask_b32_e64 v19, 0x7fffffff, 0, vcc_lo
	buffer_gl0_inv
	; wave barrier
	v_xor_b32_e32 v19, v19, v2
	s_delay_alu instid0(VALU_DEP_1) | instskip(SKIP_1) | instid1(VALU_DEP_1)
	v_cmp_ne_u32_e32 vcc_lo, 0x80000000, v19
	v_cndmask_b32_e32 v2, 0x7fffffff, v19, vcc_lo
	v_lshrrev_b32_e32 v2, s30, v2
	s_delay_alu instid0(VALU_DEP_1) | instskip(NEXT) | instid1(VALU_DEP_1)
	v_and_b32_e32 v30, s31, v2
	v_lshlrev_b32_e32 v29, 30, v30
	v_and_b32_e32 v2, 1, v30
	v_lshlrev_b32_e32 v97, 29, v30
	v_lshlrev_b32_e32 v98, 28, v30
	;; [unrolled: 1-line block ×3, first 2 shown]
	v_not_b32_e32 v103, v29
	v_add_co_u32 v2, s16, v2, -1
	s_delay_alu instid0(VALU_DEP_1)
	v_cndmask_b32_e64 v99, 0, 1, s16
	v_cmp_gt_i32_e64 s16, 0, v29
	v_not_b32_e32 v29, v97
	v_ashrrev_i32_e32 v103, 31, v103
	v_lshlrev_b32_e32 v101, 26, v30
	v_cmp_ne_u32_e32 vcc_lo, 0, v99
	v_lshlrev_b32_e32 v102, 25, v30
	v_ashrrev_i32_e32 v29, 31, v29
	v_xor_b32_e32 v103, s16, v103
	v_cmp_gt_i32_e64 s16, 0, v98
	v_xor_b32_e32 v2, vcc_lo, v2
	v_cmp_gt_i32_e32 vcc_lo, 0, v97
	v_not_b32_e32 v97, v98
	v_not_b32_e32 v98, v100
	v_lshlrev_b32_e32 v99, 24, v30
	v_and_b32_e32 v2, exec_lo, v2
	v_xor_b32_e32 v29, vcc_lo, v29
	v_ashrrev_i32_e32 v97, 31, v97
	v_cmp_gt_i32_e32 vcc_lo, 0, v100
	v_not_b32_e32 v100, v101
	v_and_b32_e32 v2, v2, v103
	v_ashrrev_i32_e32 v98, 31, v98
	v_xor_b32_e32 v97, s16, v97
	v_cmp_gt_i32_e64 s16, 0, v101
	v_ashrrev_i32_e32 v100, 31, v100
	v_and_b32_e32 v2, v2, v29
	v_not_b32_e32 v29, v102
	v_xor_b32_e32 v98, vcc_lo, v98
	v_cmp_gt_i32_e32 vcc_lo, 0, v102
	v_xor_b32_e32 v100, s16, v100
	v_and_b32_e32 v2, v2, v97
	v_not_b32_e32 v97, v99
	v_ashrrev_i32_e32 v29, 31, v29
	v_cmp_gt_i32_e64 s16, 0, v99
	v_mad_u32_u24 v30, v30, 9, v86
	v_and_b32_e32 v2, v2, v98
	v_ashrrev_i32_e32 v97, 31, v97
	v_xor_b32_e32 v29, vcc_lo, v29
	s_delay_alu instid0(VALU_DEP_3) | instskip(NEXT) | instid1(VALU_DEP_3)
	v_and_b32_e32 v2, v2, v100
	v_xor_b32_e32 v97, s16, v97
	s_delay_alu instid0(VALU_DEP_2) | instskip(NEXT) | instid1(VALU_DEP_1)
	v_and_b32_e32 v2, v2, v29
	v_and_b32_e32 v2, v2, v97
	v_lshl_add_u32 v97, v30, 2, 0x420
	s_delay_alu instid0(VALU_DEP_2) | instskip(SKIP_1) | instid1(VALU_DEP_2)
	v_mbcnt_lo_u32_b32 v29, v2, 0
	v_cmp_ne_u32_e64 s16, 0, v2
	v_cmp_eq_u32_e32 vcc_lo, 0, v29
	s_delay_alu instid0(VALU_DEP_2) | instskip(NEXT) | instid1(SALU_CYCLE_1)
	s_and_b32 s17, s16, vcc_lo
	s_and_saveexec_b32 s16, s17
	s_cbranch_execz .LBB1333_82
; %bb.81:                               ;   in Loop: Header=BB1333_66 Depth=2
	v_bcnt_u32_b32 v2, v2, 0
	ds_store_b32 v97, v2
.LBB1333_82:                            ;   in Loop: Header=BB1333_66 Depth=2
	s_or_b32 exec_lo, exec_lo, s16
	v_cmp_gt_i32_e32 vcc_lo, 0, v3
	; wave barrier
	v_cndmask_b32_e64 v2, 0x7fffffff, 0, vcc_lo
	s_delay_alu instid0(VALU_DEP_1) | instskip(NEXT) | instid1(VALU_DEP_1)
	v_xor_b32_e32 v30, v2, v3
	v_cmp_ne_u32_e32 vcc_lo, 0x80000000, v30
	v_cndmask_b32_e32 v2, 0x7fffffff, v30, vcc_lo
	s_delay_alu instid0(VALU_DEP_1) | instskip(NEXT) | instid1(VALU_DEP_1)
	v_lshrrev_b32_e32 v2, s30, v2
	v_and_b32_e32 v2, s31, v2
	s_delay_alu instid0(VALU_DEP_1)
	v_and_b32_e32 v3, 1, v2
	v_lshlrev_b32_e32 v98, 30, v2
	v_lshlrev_b32_e32 v99, 29, v2
	;; [unrolled: 1-line block ×4, first 2 shown]
	v_add_co_u32 v3, s16, v3, -1
	s_delay_alu instid0(VALU_DEP_1)
	v_cndmask_b32_e64 v101, 0, 1, s16
	v_not_b32_e32 v105, v98
	v_cmp_gt_i32_e64 s16, 0, v98
	v_not_b32_e32 v98, v99
	v_lshlrev_b32_e32 v103, 26, v2
	v_cmp_ne_u32_e32 vcc_lo, 0, v101
	v_ashrrev_i32_e32 v105, 31, v105
	v_lshlrev_b32_e32 v104, 25, v2
	v_ashrrev_i32_e32 v98, 31, v98
	v_lshlrev_b32_e32 v101, 24, v2
	v_xor_b32_e32 v3, vcc_lo, v3
	v_cmp_gt_i32_e32 vcc_lo, 0, v99
	v_not_b32_e32 v99, v100
	v_xor_b32_e32 v105, s16, v105
	v_cmp_gt_i32_e64 s16, 0, v100
	v_and_b32_e32 v3, exec_lo, v3
	v_not_b32_e32 v100, v102
	v_ashrrev_i32_e32 v99, 31, v99
	v_xor_b32_e32 v98, vcc_lo, v98
	v_cmp_gt_i32_e32 vcc_lo, 0, v102
	v_and_b32_e32 v3, v3, v105
	v_not_b32_e32 v102, v103
	v_ashrrev_i32_e32 v100, 31, v100
	v_xor_b32_e32 v99, s16, v99
	v_cmp_gt_i32_e64 s16, 0, v103
	v_and_b32_e32 v3, v3, v98
	v_not_b32_e32 v98, v104
	v_ashrrev_i32_e32 v102, 31, v102
	v_xor_b32_e32 v100, vcc_lo, v100
	v_cmp_gt_i32_e32 vcc_lo, 0, v104
	v_and_b32_e32 v3, v3, v99
	v_not_b32_e32 v99, v101
	v_ashrrev_i32_e32 v98, 31, v98
	v_xor_b32_e32 v102, s16, v102
	v_mul_u32_u24_e32 v2, 9, v2
	v_and_b32_e32 v3, v3, v100
	v_cmp_gt_i32_e64 s16, 0, v101
	v_ashrrev_i32_e32 v99, 31, v99
	v_xor_b32_e32 v98, vcc_lo, v98
	v_add_lshl_u32 v100, v2, v86, 2
	v_and_b32_e32 v3, v3, v102
	s_delay_alu instid0(VALU_DEP_4) | instskip(NEXT) | instid1(VALU_DEP_3)
	v_xor_b32_e32 v2, s16, v99
	v_add_nc_u32_e32 v101, 0x420, v100
	s_delay_alu instid0(VALU_DEP_3) | instskip(SKIP_2) | instid1(VALU_DEP_1)
	v_and_b32_e32 v3, v3, v98
	ds_load_b32 v98, v100 offset:1056
	; wave barrier
	v_and_b32_e32 v2, v3, v2
	v_mbcnt_lo_u32_b32 v99, v2, 0
	v_cmp_ne_u32_e64 s16, 0, v2
	s_delay_alu instid0(VALU_DEP_2) | instskip(NEXT) | instid1(VALU_DEP_2)
	v_cmp_eq_u32_e32 vcc_lo, 0, v99
	s_and_b32 s17, s16, vcc_lo
	s_delay_alu instid0(SALU_CYCLE_1)
	s_and_saveexec_b32 s16, s17
	s_cbranch_execz .LBB1333_84
; %bb.83:                               ;   in Loop: Header=BB1333_66 Depth=2
	s_waitcnt lgkmcnt(0)
	v_bcnt_u32_b32 v2, v2, v98
	ds_store_b32 v101, v2
.LBB1333_84:                            ;   in Loop: Header=BB1333_66 Depth=2
	s_or_b32 exec_lo, exec_lo, s16
	v_cmp_gt_i32_e32 vcc_lo, 0, v4
	; wave barrier
	v_cndmask_b32_e64 v2, 0x7fffffff, 0, vcc_lo
	s_delay_alu instid0(VALU_DEP_1) | instskip(NEXT) | instid1(VALU_DEP_1)
	v_xor_b32_e32 v100, v2, v4
	v_cmp_ne_u32_e32 vcc_lo, 0x80000000, v100
	v_cndmask_b32_e32 v2, 0x7fffffff, v100, vcc_lo
	s_delay_alu instid0(VALU_DEP_1) | instskip(NEXT) | instid1(VALU_DEP_1)
	v_lshrrev_b32_e32 v2, s30, v2
	v_and_b32_e32 v2, s31, v2
	s_delay_alu instid0(VALU_DEP_1)
	v_and_b32_e32 v3, 1, v2
	v_lshlrev_b32_e32 v4, 30, v2
	v_lshlrev_b32_e32 v102, 29, v2
	;; [unrolled: 1-line block ×4, first 2 shown]
	v_add_co_u32 v3, s16, v3, -1
	s_delay_alu instid0(VALU_DEP_1)
	v_cndmask_b32_e64 v104, 0, 1, s16
	v_not_b32_e32 v108, v4
	v_cmp_gt_i32_e64 s16, 0, v4
	v_not_b32_e32 v4, v102
	v_lshlrev_b32_e32 v106, 26, v2
	v_cmp_ne_u32_e32 vcc_lo, 0, v104
	v_ashrrev_i32_e32 v108, 31, v108
	v_lshlrev_b32_e32 v107, 25, v2
	v_ashrrev_i32_e32 v4, 31, v4
	v_lshlrev_b32_e32 v104, 24, v2
	v_xor_b32_e32 v3, vcc_lo, v3
	v_cmp_gt_i32_e32 vcc_lo, 0, v102
	v_not_b32_e32 v102, v103
	v_xor_b32_e32 v108, s16, v108
	v_cmp_gt_i32_e64 s16, 0, v103
	v_and_b32_e32 v3, exec_lo, v3
	v_not_b32_e32 v103, v105
	v_ashrrev_i32_e32 v102, 31, v102
	v_xor_b32_e32 v4, vcc_lo, v4
	v_cmp_gt_i32_e32 vcc_lo, 0, v105
	v_and_b32_e32 v3, v3, v108
	v_not_b32_e32 v105, v106
	v_ashrrev_i32_e32 v103, 31, v103
	v_xor_b32_e32 v102, s16, v102
	v_cmp_gt_i32_e64 s16, 0, v106
	v_and_b32_e32 v3, v3, v4
	v_not_b32_e32 v4, v107
	v_ashrrev_i32_e32 v105, 31, v105
	v_xor_b32_e32 v103, vcc_lo, v103
	v_cmp_gt_i32_e32 vcc_lo, 0, v107
	v_and_b32_e32 v3, v3, v102
	v_not_b32_e32 v102, v104
	v_ashrrev_i32_e32 v4, 31, v4
	v_xor_b32_e32 v105, s16, v105
	v_mul_u32_u24_e32 v2, 9, v2
	v_and_b32_e32 v3, v3, v103
	v_cmp_gt_i32_e64 s16, 0, v104
	v_ashrrev_i32_e32 v102, 31, v102
	v_xor_b32_e32 v4, vcc_lo, v4
	v_add_lshl_u32 v103, v2, v86, 2
	v_and_b32_e32 v3, v3, v105
	s_delay_alu instid0(VALU_DEP_4) | instskip(SKIP_3) | instid1(VALU_DEP_2)
	v_xor_b32_e32 v2, s16, v102
	ds_load_b32 v102, v103 offset:1056
	v_and_b32_e32 v3, v3, v4
	v_add_nc_u32_e32 v105, 0x420, v103
	; wave barrier
	v_and_b32_e32 v2, v3, v2
	s_delay_alu instid0(VALU_DEP_1) | instskip(SKIP_1) | instid1(VALU_DEP_2)
	v_mbcnt_lo_u32_b32 v104, v2, 0
	v_cmp_ne_u32_e64 s16, 0, v2
	v_cmp_eq_u32_e32 vcc_lo, 0, v104
	s_delay_alu instid0(VALU_DEP_2) | instskip(NEXT) | instid1(SALU_CYCLE_1)
	s_and_b32 s17, s16, vcc_lo
	s_and_saveexec_b32 s16, s17
	s_cbranch_execz .LBB1333_86
; %bb.85:                               ;   in Loop: Header=BB1333_66 Depth=2
	s_waitcnt lgkmcnt(0)
	v_bcnt_u32_b32 v2, v2, v102
	ds_store_b32 v105, v2
.LBB1333_86:                            ;   in Loop: Header=BB1333_66 Depth=2
	s_or_b32 exec_lo, exec_lo, s16
	v_cmp_gt_i32_e32 vcc_lo, 0, v5
	; wave barrier
	v_cndmask_b32_e64 v2, 0x7fffffff, 0, vcc_lo
	s_delay_alu instid0(VALU_DEP_1) | instskip(NEXT) | instid1(VALU_DEP_1)
	v_xor_b32_e32 v103, v2, v5
	v_cmp_ne_u32_e32 vcc_lo, 0x80000000, v103
	v_cndmask_b32_e32 v2, 0x7fffffff, v103, vcc_lo
	s_delay_alu instid0(VALU_DEP_1) | instskip(NEXT) | instid1(VALU_DEP_1)
	v_lshrrev_b32_e32 v2, s30, v2
	v_and_b32_e32 v2, s31, v2
	s_delay_alu instid0(VALU_DEP_1)
	v_and_b32_e32 v3, 1, v2
	v_lshlrev_b32_e32 v4, 30, v2
	v_lshlrev_b32_e32 v5, 29, v2
	;; [unrolled: 1-line block ×4, first 2 shown]
	v_add_co_u32 v3, s16, v3, -1
	s_delay_alu instid0(VALU_DEP_1)
	v_cndmask_b32_e64 v107, 0, 1, s16
	v_not_b32_e32 v111, v4
	v_cmp_gt_i32_e64 s16, 0, v4
	v_not_b32_e32 v4, v5
	v_lshlrev_b32_e32 v109, 26, v2
	v_cmp_ne_u32_e32 vcc_lo, 0, v107
	v_ashrrev_i32_e32 v111, 31, v111
	v_lshlrev_b32_e32 v110, 25, v2
	v_ashrrev_i32_e32 v4, 31, v4
	v_lshlrev_b32_e32 v107, 24, v2
	v_xor_b32_e32 v3, vcc_lo, v3
	v_cmp_gt_i32_e32 vcc_lo, 0, v5
	v_not_b32_e32 v5, v106
	v_xor_b32_e32 v111, s16, v111
	v_cmp_gt_i32_e64 s16, 0, v106
	v_and_b32_e32 v3, exec_lo, v3
	v_not_b32_e32 v106, v108
	v_ashrrev_i32_e32 v5, 31, v5
	v_xor_b32_e32 v4, vcc_lo, v4
	v_cmp_gt_i32_e32 vcc_lo, 0, v108
	v_and_b32_e32 v3, v3, v111
	v_not_b32_e32 v108, v109
	v_ashrrev_i32_e32 v106, 31, v106
	v_xor_b32_e32 v5, s16, v5
	v_cmp_gt_i32_e64 s16, 0, v109
	v_and_b32_e32 v3, v3, v4
	v_not_b32_e32 v4, v110
	v_ashrrev_i32_e32 v108, 31, v108
	v_xor_b32_e32 v106, vcc_lo, v106
	v_cmp_gt_i32_e32 vcc_lo, 0, v110
	v_and_b32_e32 v3, v3, v5
	v_not_b32_e32 v5, v107
	v_ashrrev_i32_e32 v4, 31, v4
	v_xor_b32_e32 v108, s16, v108
	v_mul_u32_u24_e32 v2, 9, v2
	v_and_b32_e32 v3, v3, v106
	v_cmp_gt_i32_e64 s16, 0, v107
	v_ashrrev_i32_e32 v5, 31, v5
	v_xor_b32_e32 v4, vcc_lo, v4
	v_add_lshl_u32 v106, v2, v86, 2
	v_and_b32_e32 v3, v3, v108
	s_delay_alu instid0(VALU_DEP_4) | instskip(SKIP_3) | instid1(VALU_DEP_2)
	v_xor_b32_e32 v2, s16, v5
	ds_load_b32 v107, v106 offset:1056
	v_and_b32_e32 v3, v3, v4
	v_add_nc_u32_e32 v109, 0x420, v106
	; wave barrier
	v_and_b32_e32 v2, v3, v2
	s_delay_alu instid0(VALU_DEP_1) | instskip(SKIP_1) | instid1(VALU_DEP_2)
	v_mbcnt_lo_u32_b32 v108, v2, 0
	v_cmp_ne_u32_e64 s16, 0, v2
	v_cmp_eq_u32_e32 vcc_lo, 0, v108
	s_delay_alu instid0(VALU_DEP_2) | instskip(NEXT) | instid1(SALU_CYCLE_1)
	s_and_b32 s17, s16, vcc_lo
	s_and_saveexec_b32 s16, s17
	s_cbranch_execz .LBB1333_88
; %bb.87:                               ;   in Loop: Header=BB1333_66 Depth=2
	s_waitcnt lgkmcnt(0)
	v_bcnt_u32_b32 v2, v2, v107
	ds_store_b32 v109, v2
.LBB1333_88:                            ;   in Loop: Header=BB1333_66 Depth=2
	s_or_b32 exec_lo, exec_lo, s16
	v_cmp_gt_i32_e32 vcc_lo, 0, v6
	; wave barrier
	v_cndmask_b32_e64 v2, 0x7fffffff, 0, vcc_lo
	s_delay_alu instid0(VALU_DEP_1) | instskip(NEXT) | instid1(VALU_DEP_1)
	v_xor_b32_e32 v106, v2, v6
	v_cmp_ne_u32_e32 vcc_lo, 0x80000000, v106
	v_cndmask_b32_e32 v2, 0x7fffffff, v106, vcc_lo
	s_delay_alu instid0(VALU_DEP_1) | instskip(NEXT) | instid1(VALU_DEP_1)
	v_lshrrev_b32_e32 v2, s30, v2
	v_and_b32_e32 v2, s31, v2
	s_delay_alu instid0(VALU_DEP_1)
	v_and_b32_e32 v3, 1, v2
	v_lshlrev_b32_e32 v4, 30, v2
	v_lshlrev_b32_e32 v5, 29, v2
	;; [unrolled: 1-line block ×4, first 2 shown]
	v_add_co_u32 v3, s16, v3, -1
	s_delay_alu instid0(VALU_DEP_1)
	v_cndmask_b32_e64 v110, 0, 1, s16
	v_not_b32_e32 v114, v4
	v_cmp_gt_i32_e64 s16, 0, v4
	v_not_b32_e32 v4, v5
	v_lshlrev_b32_e32 v112, 26, v2
	v_cmp_ne_u32_e32 vcc_lo, 0, v110
	v_ashrrev_i32_e32 v114, 31, v114
	v_lshlrev_b32_e32 v113, 25, v2
	v_ashrrev_i32_e32 v4, 31, v4
	v_lshlrev_b32_e32 v110, 24, v2
	v_xor_b32_e32 v3, vcc_lo, v3
	v_cmp_gt_i32_e32 vcc_lo, 0, v5
	v_not_b32_e32 v5, v6
	v_xor_b32_e32 v114, s16, v114
	v_cmp_gt_i32_e64 s16, 0, v6
	v_and_b32_e32 v3, exec_lo, v3
	v_not_b32_e32 v6, v111
	v_ashrrev_i32_e32 v5, 31, v5
	v_xor_b32_e32 v4, vcc_lo, v4
	v_cmp_gt_i32_e32 vcc_lo, 0, v111
	v_and_b32_e32 v3, v3, v114
	v_not_b32_e32 v111, v112
	v_ashrrev_i32_e32 v6, 31, v6
	v_xor_b32_e32 v5, s16, v5
	v_cmp_gt_i32_e64 s16, 0, v112
	v_and_b32_e32 v3, v3, v4
	v_not_b32_e32 v4, v113
	v_ashrrev_i32_e32 v111, 31, v111
	v_xor_b32_e32 v6, vcc_lo, v6
	v_cmp_gt_i32_e32 vcc_lo, 0, v113
	v_and_b32_e32 v3, v3, v5
	v_not_b32_e32 v5, v110
	v_ashrrev_i32_e32 v4, 31, v4
	v_xor_b32_e32 v111, s16, v111
	v_mul_u32_u24_e32 v2, 9, v2
	v_and_b32_e32 v3, v3, v6
	v_cmp_gt_i32_e64 s16, 0, v110
	v_ashrrev_i32_e32 v5, 31, v5
	v_xor_b32_e32 v4, vcc_lo, v4
	v_add_lshl_u32 v6, v2, v86, 2
	v_and_b32_e32 v3, v3, v111
	s_delay_alu instid0(VALU_DEP_4) | instskip(SKIP_3) | instid1(VALU_DEP_2)
	v_xor_b32_e32 v2, s16, v5
	ds_load_b32 v111, v6 offset:1056
	v_and_b32_e32 v3, v3, v4
	v_add_nc_u32_e32 v113, 0x420, v6
	; wave barrier
	v_and_b32_e32 v2, v3, v2
	s_delay_alu instid0(VALU_DEP_1) | instskip(SKIP_1) | instid1(VALU_DEP_2)
	v_mbcnt_lo_u32_b32 v112, v2, 0
	v_cmp_ne_u32_e64 s16, 0, v2
	v_cmp_eq_u32_e32 vcc_lo, 0, v112
	s_delay_alu instid0(VALU_DEP_2) | instskip(NEXT) | instid1(SALU_CYCLE_1)
	s_and_b32 s17, s16, vcc_lo
	s_and_saveexec_b32 s16, s17
	s_cbranch_execz .LBB1333_90
; %bb.89:                               ;   in Loop: Header=BB1333_66 Depth=2
	s_waitcnt lgkmcnt(0)
	v_bcnt_u32_b32 v2, v2, v111
	ds_store_b32 v113, v2
.LBB1333_90:                            ;   in Loop: Header=BB1333_66 Depth=2
	s_or_b32 exec_lo, exec_lo, s16
	v_cmp_gt_i32_e32 vcc_lo, 0, v7
	; wave barrier
	v_cndmask_b32_e64 v2, 0x7fffffff, 0, vcc_lo
	s_delay_alu instid0(VALU_DEP_1) | instskip(NEXT) | instid1(VALU_DEP_1)
	v_xor_b32_e32 v110, v2, v7
	v_cmp_ne_u32_e32 vcc_lo, 0x80000000, v110
	v_cndmask_b32_e32 v2, 0x7fffffff, v110, vcc_lo
	s_delay_alu instid0(VALU_DEP_1) | instskip(NEXT) | instid1(VALU_DEP_1)
	v_lshrrev_b32_e32 v2, s30, v2
	v_and_b32_e32 v2, s31, v2
	s_delay_alu instid0(VALU_DEP_1)
	v_and_b32_e32 v3, 1, v2
	v_lshlrev_b32_e32 v4, 30, v2
	v_lshlrev_b32_e32 v5, 29, v2
	;; [unrolled: 1-line block ×4, first 2 shown]
	v_add_co_u32 v3, s16, v3, -1
	s_delay_alu instid0(VALU_DEP_1)
	v_cndmask_b32_e64 v7, 0, 1, s16
	v_not_b32_e32 v117, v4
	v_cmp_gt_i32_e64 s16, 0, v4
	v_not_b32_e32 v4, v5
	v_lshlrev_b32_e32 v115, 26, v2
	v_cmp_ne_u32_e32 vcc_lo, 0, v7
	v_ashrrev_i32_e32 v117, 31, v117
	v_lshlrev_b32_e32 v116, 25, v2
	v_ashrrev_i32_e32 v4, 31, v4
	v_lshlrev_b32_e32 v7, 24, v2
	v_xor_b32_e32 v3, vcc_lo, v3
	v_cmp_gt_i32_e32 vcc_lo, 0, v5
	v_not_b32_e32 v5, v6
	v_xor_b32_e32 v117, s16, v117
	v_cmp_gt_i32_e64 s16, 0, v6
	v_and_b32_e32 v3, exec_lo, v3
	v_not_b32_e32 v6, v114
	v_ashrrev_i32_e32 v5, 31, v5
	v_xor_b32_e32 v4, vcc_lo, v4
	v_cmp_gt_i32_e32 vcc_lo, 0, v114
	v_and_b32_e32 v3, v3, v117
	v_not_b32_e32 v114, v115
	v_ashrrev_i32_e32 v6, 31, v6
	v_xor_b32_e32 v5, s16, v5
	v_cmp_gt_i32_e64 s16, 0, v115
	v_and_b32_e32 v3, v3, v4
	v_not_b32_e32 v4, v116
	v_ashrrev_i32_e32 v114, 31, v114
	v_xor_b32_e32 v6, vcc_lo, v6
	v_cmp_gt_i32_e32 vcc_lo, 0, v116
	v_and_b32_e32 v3, v3, v5
	v_not_b32_e32 v5, v7
	v_ashrrev_i32_e32 v4, 31, v4
	v_xor_b32_e32 v114, s16, v114
	v_mul_u32_u24_e32 v2, 9, v2
	v_and_b32_e32 v3, v3, v6
	v_cmp_gt_i32_e64 s16, 0, v7
	v_ashrrev_i32_e32 v5, 31, v5
	v_xor_b32_e32 v4, vcc_lo, v4
	v_add_lshl_u32 v6, v2, v86, 2
	v_and_b32_e32 v3, v3, v114
	s_delay_alu instid0(VALU_DEP_4) | instskip(SKIP_3) | instid1(VALU_DEP_2)
	v_xor_b32_e32 v2, s16, v5
	ds_load_b32 v115, v6 offset:1056
	v_and_b32_e32 v3, v3, v4
	v_add_nc_u32_e32 v117, 0x420, v6
	; wave barrier
	v_and_b32_e32 v2, v3, v2
	s_delay_alu instid0(VALU_DEP_1) | instskip(SKIP_1) | instid1(VALU_DEP_2)
	v_mbcnt_lo_u32_b32 v116, v2, 0
	v_cmp_ne_u32_e64 s16, 0, v2
	v_cmp_eq_u32_e32 vcc_lo, 0, v116
	s_delay_alu instid0(VALU_DEP_2) | instskip(NEXT) | instid1(SALU_CYCLE_1)
	s_and_b32 s17, s16, vcc_lo
	s_and_saveexec_b32 s16, s17
	s_cbranch_execz .LBB1333_92
; %bb.91:                               ;   in Loop: Header=BB1333_66 Depth=2
	s_waitcnt lgkmcnt(0)
	v_bcnt_u32_b32 v2, v2, v115
	ds_store_b32 v117, v2
.LBB1333_92:                            ;   in Loop: Header=BB1333_66 Depth=2
	s_or_b32 exec_lo, exec_lo, s16
	v_cmp_gt_i32_e32 vcc_lo, 0, v8
	; wave barrier
	v_cndmask_b32_e64 v2, 0x7fffffff, 0, vcc_lo
	s_delay_alu instid0(VALU_DEP_1) | instskip(NEXT) | instid1(VALU_DEP_1)
	v_xor_b32_e32 v114, v2, v8
	v_cmp_ne_u32_e32 vcc_lo, 0x80000000, v114
	v_cndmask_b32_e32 v2, 0x7fffffff, v114, vcc_lo
	s_delay_alu instid0(VALU_DEP_1) | instskip(NEXT) | instid1(VALU_DEP_1)
	v_lshrrev_b32_e32 v2, s30, v2
	v_and_b32_e32 v2, s31, v2
	s_delay_alu instid0(VALU_DEP_1)
	v_and_b32_e32 v3, 1, v2
	v_lshlrev_b32_e32 v4, 30, v2
	v_lshlrev_b32_e32 v5, 29, v2
	v_lshlrev_b32_e32 v6, 28, v2
	v_lshlrev_b32_e32 v8, 27, v2
	v_add_co_u32 v3, s16, v3, -1
	s_delay_alu instid0(VALU_DEP_1)
	v_cndmask_b32_e64 v7, 0, 1, s16
	v_not_b32_e32 v120, v4
	v_cmp_gt_i32_e64 s16, 0, v4
	v_not_b32_e32 v4, v5
	v_lshlrev_b32_e32 v118, 26, v2
	v_cmp_ne_u32_e32 vcc_lo, 0, v7
	v_ashrrev_i32_e32 v120, 31, v120
	v_lshlrev_b32_e32 v119, 25, v2
	v_ashrrev_i32_e32 v4, 31, v4
	v_lshlrev_b32_e32 v7, 24, v2
	v_xor_b32_e32 v3, vcc_lo, v3
	v_cmp_gt_i32_e32 vcc_lo, 0, v5
	v_not_b32_e32 v5, v6
	v_xor_b32_e32 v120, s16, v120
	v_cmp_gt_i32_e64 s16, 0, v6
	v_and_b32_e32 v3, exec_lo, v3
	v_not_b32_e32 v6, v8
	v_ashrrev_i32_e32 v5, 31, v5
	v_xor_b32_e32 v4, vcc_lo, v4
	v_cmp_gt_i32_e32 vcc_lo, 0, v8
	v_and_b32_e32 v3, v3, v120
	v_not_b32_e32 v8, v118
	v_ashrrev_i32_e32 v6, 31, v6
	v_xor_b32_e32 v5, s16, v5
	v_cmp_gt_i32_e64 s16, 0, v118
	v_and_b32_e32 v3, v3, v4
	v_not_b32_e32 v4, v119
	v_ashrrev_i32_e32 v8, 31, v8
	v_xor_b32_e32 v6, vcc_lo, v6
	v_cmp_gt_i32_e32 vcc_lo, 0, v119
	v_and_b32_e32 v3, v3, v5
	v_not_b32_e32 v5, v7
	v_ashrrev_i32_e32 v4, 31, v4
	v_xor_b32_e32 v8, s16, v8
	v_mul_u32_u24_e32 v2, 9, v2
	v_and_b32_e32 v3, v3, v6
	v_cmp_gt_i32_e64 s16, 0, v7
	v_ashrrev_i32_e32 v5, 31, v5
	v_xor_b32_e32 v4, vcc_lo, v4
	v_add_lshl_u32 v6, v2, v86, 2
	v_and_b32_e32 v3, v3, v8
	s_delay_alu instid0(VALU_DEP_4) | instskip(SKIP_3) | instid1(VALU_DEP_2)
	v_xor_b32_e32 v2, s16, v5
	ds_load_b32 v119, v6 offset:1056
	v_and_b32_e32 v3, v3, v4
	v_add_nc_u32_e32 v121, 0x420, v6
	; wave barrier
	v_and_b32_e32 v2, v3, v2
	s_delay_alu instid0(VALU_DEP_1) | instskip(SKIP_1) | instid1(VALU_DEP_2)
	v_mbcnt_lo_u32_b32 v120, v2, 0
	v_cmp_ne_u32_e64 s16, 0, v2
	v_cmp_eq_u32_e32 vcc_lo, 0, v120
	s_delay_alu instid0(VALU_DEP_2) | instskip(NEXT) | instid1(SALU_CYCLE_1)
	s_and_b32 s17, s16, vcc_lo
	s_and_saveexec_b32 s16, s17
	s_cbranch_execz .LBB1333_94
; %bb.93:                               ;   in Loop: Header=BB1333_66 Depth=2
	s_waitcnt lgkmcnt(0)
	v_bcnt_u32_b32 v2, v2, v119
	ds_store_b32 v121, v2
.LBB1333_94:                            ;   in Loop: Header=BB1333_66 Depth=2
	s_or_b32 exec_lo, exec_lo, s16
	v_cmp_gt_i32_e32 vcc_lo, 0, v9
	; wave barrier
	v_cndmask_b32_e64 v2, 0x7fffffff, 0, vcc_lo
	s_delay_alu instid0(VALU_DEP_1) | instskip(NEXT) | instid1(VALU_DEP_1)
	v_xor_b32_e32 v118, v2, v9
	v_cmp_ne_u32_e32 vcc_lo, 0x80000000, v118
	v_cndmask_b32_e32 v2, 0x7fffffff, v118, vcc_lo
	s_delay_alu instid0(VALU_DEP_1) | instskip(NEXT) | instid1(VALU_DEP_1)
	v_lshrrev_b32_e32 v2, s30, v2
	v_and_b32_e32 v2, s31, v2
	s_delay_alu instid0(VALU_DEP_1)
	v_and_b32_e32 v3, 1, v2
	v_lshlrev_b32_e32 v4, 30, v2
	v_lshlrev_b32_e32 v5, 29, v2
	;; [unrolled: 1-line block ×4, first 2 shown]
	v_add_co_u32 v3, s16, v3, -1
	s_delay_alu instid0(VALU_DEP_1)
	v_cndmask_b32_e64 v7, 0, 1, s16
	v_not_b32_e32 v123, v4
	v_cmp_gt_i32_e64 s16, 0, v4
	v_not_b32_e32 v4, v5
	v_lshlrev_b32_e32 v9, 26, v2
	v_cmp_ne_u32_e32 vcc_lo, 0, v7
	v_ashrrev_i32_e32 v123, 31, v123
	v_lshlrev_b32_e32 v122, 25, v2
	v_ashrrev_i32_e32 v4, 31, v4
	v_lshlrev_b32_e32 v7, 24, v2
	v_xor_b32_e32 v3, vcc_lo, v3
	v_cmp_gt_i32_e32 vcc_lo, 0, v5
	v_not_b32_e32 v5, v6
	v_xor_b32_e32 v123, s16, v123
	v_cmp_gt_i32_e64 s16, 0, v6
	v_and_b32_e32 v3, exec_lo, v3
	v_not_b32_e32 v6, v8
	v_ashrrev_i32_e32 v5, 31, v5
	v_xor_b32_e32 v4, vcc_lo, v4
	v_cmp_gt_i32_e32 vcc_lo, 0, v8
	v_and_b32_e32 v3, v3, v123
	v_not_b32_e32 v8, v9
	v_ashrrev_i32_e32 v6, 31, v6
	v_xor_b32_e32 v5, s16, v5
	v_cmp_gt_i32_e64 s16, 0, v9
	v_and_b32_e32 v3, v3, v4
	v_not_b32_e32 v4, v122
	v_ashrrev_i32_e32 v8, 31, v8
	v_xor_b32_e32 v6, vcc_lo, v6
	v_cmp_gt_i32_e32 vcc_lo, 0, v122
	v_and_b32_e32 v3, v3, v5
	v_not_b32_e32 v5, v7
	v_ashrrev_i32_e32 v4, 31, v4
	v_xor_b32_e32 v8, s16, v8
	v_mul_u32_u24_e32 v2, 9, v2
	v_and_b32_e32 v3, v3, v6
	v_cmp_gt_i32_e64 s16, 0, v7
	v_ashrrev_i32_e32 v5, 31, v5
	v_xor_b32_e32 v4, vcc_lo, v4
	v_add_lshl_u32 v6, v2, v86, 2
	v_and_b32_e32 v3, v3, v8
	s_delay_alu instid0(VALU_DEP_4) | instskip(SKIP_3) | instid1(VALU_DEP_2)
	v_xor_b32_e32 v2, s16, v5
	ds_load_b32 v122, v6 offset:1056
	v_and_b32_e32 v3, v3, v4
	v_add_nc_u32_e32 v124, 0x420, v6
	; wave barrier
	v_and_b32_e32 v2, v3, v2
	s_delay_alu instid0(VALU_DEP_1) | instskip(SKIP_1) | instid1(VALU_DEP_2)
	v_mbcnt_lo_u32_b32 v123, v2, 0
	v_cmp_ne_u32_e64 s16, 0, v2
	v_cmp_eq_u32_e32 vcc_lo, 0, v123
	s_delay_alu instid0(VALU_DEP_2) | instskip(NEXT) | instid1(SALU_CYCLE_1)
	s_and_b32 s17, s16, vcc_lo
	s_and_saveexec_b32 s16, s17
	s_cbranch_execz .LBB1333_96
; %bb.95:                               ;   in Loop: Header=BB1333_66 Depth=2
	s_waitcnt lgkmcnt(0)
	v_bcnt_u32_b32 v2, v2, v122
	ds_store_b32 v124, v2
.LBB1333_96:                            ;   in Loop: Header=BB1333_66 Depth=2
	s_or_b32 exec_lo, exec_lo, s16
	; wave barrier
	s_waitcnt lgkmcnt(0)
	s_barrier
	buffer_gl0_inv
	ds_load_b32 v125, v49 offset:1056
	ds_load_2addr_b32 v[8:9], v51 offset0:1 offset1:2
	ds_load_2addr_b32 v[6:7], v51 offset0:3 offset1:4
	;; [unrolled: 1-line block ×4, first 2 shown]
	s_waitcnt lgkmcnt(3)
	v_add3_u32 v126, v8, v125, v9
	s_waitcnt lgkmcnt(2)
	s_delay_alu instid0(VALU_DEP_1) | instskip(SKIP_1) | instid1(VALU_DEP_1)
	v_add3_u32 v126, v126, v6, v7
	s_waitcnt lgkmcnt(1)
	v_add3_u32 v126, v126, v2, v3
	s_waitcnt lgkmcnt(0)
	s_delay_alu instid0(VALU_DEP_1) | instskip(NEXT) | instid1(VALU_DEP_1)
	v_add3_u32 v5, v126, v4, v5
	v_mov_b32_dpp v126, v5 row_shr:1 row_mask:0xf bank_mask:0xf
	s_delay_alu instid0(VALU_DEP_1) | instskip(NEXT) | instid1(VALU_DEP_1)
	v_cndmask_b32_e64 v126, v126, 0, s1
	v_add_nc_u32_e32 v5, v126, v5
	s_delay_alu instid0(VALU_DEP_1) | instskip(NEXT) | instid1(VALU_DEP_1)
	v_mov_b32_dpp v126, v5 row_shr:2 row_mask:0xf bank_mask:0xf
	v_cndmask_b32_e64 v126, 0, v126, s7
	s_delay_alu instid0(VALU_DEP_1) | instskip(NEXT) | instid1(VALU_DEP_1)
	v_add_nc_u32_e32 v5, v5, v126
	v_mov_b32_dpp v126, v5 row_shr:4 row_mask:0xf bank_mask:0xf
	s_delay_alu instid0(VALU_DEP_1) | instskip(NEXT) | instid1(VALU_DEP_1)
	v_cndmask_b32_e64 v126, 0, v126, s8
	v_add_nc_u32_e32 v5, v5, v126
	s_delay_alu instid0(VALU_DEP_1) | instskip(NEXT) | instid1(VALU_DEP_1)
	v_mov_b32_dpp v126, v5 row_shr:8 row_mask:0xf bank_mask:0xf
	v_cndmask_b32_e64 v126, 0, v126, s9
	s_delay_alu instid0(VALU_DEP_1) | instskip(SKIP_3) | instid1(VALU_DEP_1)
	v_add_nc_u32_e32 v5, v5, v126
	ds_swizzle_b32 v126, v5 offset:swizzle(BROADCAST,32,15)
	s_waitcnt lgkmcnt(0)
	v_cndmask_b32_e64 v126, v126, 0, s10
	v_add_nc_u32_e32 v5, v5, v126
	s_and_saveexec_b32 s16, s3
	s_cbranch_execz .LBB1333_98
; %bb.97:                               ;   in Loop: Header=BB1333_66 Depth=2
	ds_store_b32 v41, v5 offset:1024
.LBB1333_98:                            ;   in Loop: Header=BB1333_66 Depth=2
	s_or_b32 exec_lo, exec_lo, s16
	s_waitcnt lgkmcnt(0)
	s_barrier
	buffer_gl0_inv
	s_and_saveexec_b32 s16, s4
	s_cbranch_execz .LBB1333_100
; %bb.99:                               ;   in Loop: Header=BB1333_66 Depth=2
	ds_load_b32 v126, v52 offset:1024
	s_waitcnt lgkmcnt(0)
	v_mov_b32_dpp v127, v126 row_shr:1 row_mask:0xf bank_mask:0xf
	s_delay_alu instid0(VALU_DEP_1) | instskip(NEXT) | instid1(VALU_DEP_1)
	v_cndmask_b32_e64 v127, v127, 0, s12
	v_add_nc_u32_e32 v126, v127, v126
	s_delay_alu instid0(VALU_DEP_1) | instskip(NEXT) | instid1(VALU_DEP_1)
	v_mov_b32_dpp v127, v126 row_shr:2 row_mask:0xf bank_mask:0xf
	v_cndmask_b32_e64 v127, 0, v127, s13
	s_delay_alu instid0(VALU_DEP_1) | instskip(NEXT) | instid1(VALU_DEP_1)
	v_add_nc_u32_e32 v126, v126, v127
	v_mov_b32_dpp v127, v126 row_shr:4 row_mask:0xf bank_mask:0xf
	s_delay_alu instid0(VALU_DEP_1) | instskip(NEXT) | instid1(VALU_DEP_1)
	v_cndmask_b32_e64 v127, 0, v127, s14
	v_add_nc_u32_e32 v126, v126, v127
	ds_store_b32 v52, v126 offset:1024
.LBB1333_100:                           ;   in Loop: Header=BB1333_66 Depth=2
	s_or_b32 exec_lo, exec_lo, s16
	v_mov_b32_e32 v126, 0
	s_waitcnt lgkmcnt(0)
	s_barrier
	buffer_gl0_inv
	s_and_saveexec_b32 s16, s5
	s_cbranch_execz .LBB1333_102
; %bb.101:                              ;   in Loop: Header=BB1333_66 Depth=2
	ds_load_b32 v126, v41 offset:1020
.LBB1333_102:                           ;   in Loop: Header=BB1333_66 Depth=2
	s_or_b32 exec_lo, exec_lo, s16
	s_waitcnt lgkmcnt(0)
	v_add_nc_u32_e32 v5, v126, v5
	ds_bpermute_b32 v5, v73, v5
	s_waitcnt lgkmcnt(0)
	v_cndmask_b32_e64 v5, v5, v126, s11
	s_delay_alu instid0(VALU_DEP_1) | instskip(NEXT) | instid1(VALU_DEP_1)
	v_cndmask_b32_e64 v5, v5, 0, s0
	v_add_nc_u32_e32 v125, v5, v125
	s_delay_alu instid0(VALU_DEP_1) | instskip(NEXT) | instid1(VALU_DEP_1)
	v_add_nc_u32_e32 v8, v125, v8
	v_add_nc_u32_e32 v9, v8, v9
	s_delay_alu instid0(VALU_DEP_1) | instskip(NEXT) | instid1(VALU_DEP_1)
	v_add_nc_u32_e32 v6, v9, v6
	;; [unrolled: 3-line block ×3, first 2 shown]
	v_add_nc_u32_e32 v3, v2, v3
	s_delay_alu instid0(VALU_DEP_1)
	v_add_nc_u32_e32 v4, v3, v4
	ds_store_b32 v49, v5 offset:1056
	ds_store_2addr_b32 v51, v125, v8 offset0:1 offset1:2
	ds_store_2addr_b32 v51, v9, v6 offset0:3 offset1:4
	;; [unrolled: 1-line block ×4, first 2 shown]
	v_mov_b32_e32 v4, 0x800
	s_waitcnt lgkmcnt(0)
	s_barrier
	buffer_gl0_inv
	ds_load_b32 v5, v101
	ds_load_b32 v6, v105
	;; [unrolled: 1-line block ×8, first 2 shown]
	ds_load_b32 v101, v49 offset:1056
	s_and_saveexec_b32 s16, s6
	s_cbranch_execz .LBB1333_104
; %bb.103:                              ;   in Loop: Header=BB1333_66 Depth=2
	ds_load_b32 v4, v53 offset:1056
.LBB1333_104:                           ;   in Loop: Header=BB1333_66 Depth=2
	s_or_b32 exec_lo, exec_lo, s16
	s_waitcnt lgkmcnt(0)
	s_barrier
	buffer_gl0_inv
	s_and_saveexec_b32 s16, s2
	s_cbranch_execz .LBB1333_106
; %bb.105:                              ;   in Loop: Header=BB1333_66 Depth=2
	ds_load_b32 v105, v31
	s_waitcnt lgkmcnt(0)
	v_sub_nc_u32_e32 v101, v105, v101
	ds_store_b32 v31, v101
.LBB1333_106:                           ;   in Loop: Header=BB1333_66 Depth=2
	s_or_b32 exec_lo, exec_lo, s16
	v_add_nc_u32_e32 v101, v97, v29
	v_add3_u32 v29, v104, v102, v6
	v_add3_u32 v7, v108, v107, v7
	;; [unrolled: 1-line block ×5, first 2 shown]
	v_lshlrev_b32_e32 v98, 2, v101
	v_add3_u32 v8, v120, v119, v3
	v_lshlrev_b32_e32 v3, 2, v29
	v_add3_u32 v9, v123, v122, v2
	v_lshlrev_b32_e32 v2, 2, v7
	v_lshlrev_b32_e32 v99, 2, v97
	ds_store_b32 v98, v19 offset:1024
	ds_store_b32 v99, v30 offset:1024
	;; [unrolled: 1-line block ×3, first 2 shown]
	v_lshlrev_b32_e32 v3, 2, v6
	ds_store_b32 v2, v103 offset:1024
	v_lshlrev_b32_e32 v2, 2, v9
	v_cmp_lt_u32_e32 vcc_lo, v18, v0
	v_lshlrev_b32_e32 v19, 2, v5
	v_lshlrev_b32_e32 v30, 2, v8
	ds_store_b32 v3, v106 offset:1024
	ds_store_b32 v19, v110 offset:1024
	;; [unrolled: 1-line block ×4, first 2 shown]
	s_waitcnt lgkmcnt(0)
	s_barrier
	buffer_gl0_inv
	s_and_saveexec_b32 s17, vcc_lo
	s_cbranch_execz .LBB1333_114
; %bb.107:                              ;   in Loop: Header=BB1333_66 Depth=2
	ds_load_b32 v30, v52 offset:1024
	s_waitcnt lgkmcnt(0)
	v_cmp_ne_u32_e64 s16, 0x80000000, v30
	s_delay_alu instid0(VALU_DEP_1) | instskip(SKIP_1) | instid1(VALU_DEP_2)
	v_cndmask_b32_e64 v2, 0x7fffffff, v30, s16
	v_cmp_gt_i32_e64 s16, 0, v30
	v_lshrrev_b32_e32 v2, s30, v2
	s_delay_alu instid0(VALU_DEP_2) | instskip(NEXT) | instid1(VALU_DEP_2)
	v_cndmask_b32_e64 v98, 0x7fffffff, 0, s16
	v_and_b32_e32 v2, s31, v2
	s_delay_alu instid0(VALU_DEP_1) | instskip(SKIP_3) | instid1(VALU_DEP_1)
	v_lshlrev_b32_e32 v2, 2, v2
	ds_load_b32 v2, v2
	s_waitcnt lgkmcnt(0)
	v_add_nc_u32_e32 v19, v2, v18
	v_lshlrev_b64 v[2:3], 2, v[19:20]
	v_xor_b32_e32 v19, v98, v30
	s_delay_alu instid0(VALU_DEP_2) | instskip(NEXT) | instid1(VALU_DEP_1)
	v_add_co_u32 v2, s16, s46, v2
	v_add_co_ci_u32_e64 v3, s16, s47, v3, s16
	global_store_b32 v[2:3], v19, off
	s_or_b32 exec_lo, exec_lo, s17
	v_cmp_lt_u32_e64 s16, v32, v0
	s_delay_alu instid0(VALU_DEP_1)
	s_and_saveexec_b32 s18, s16
	s_cbranch_execnz .LBB1333_115
.LBB1333_108:                           ;   in Loop: Header=BB1333_66 Depth=2
	s_or_b32 exec_lo, exec_lo, s18
	v_cmp_lt_u32_e64 s17, v33, v0
	s_delay_alu instid0(VALU_DEP_1)
	s_and_saveexec_b32 s19, s17
	s_cbranch_execz .LBB1333_116
.LBB1333_109:                           ;   in Loop: Header=BB1333_66 Depth=2
	ds_load_b32 v30, v58 offset:2048
	s_waitcnt lgkmcnt(0)
	v_cmp_ne_u32_e64 s18, 0x80000000, v30
	s_delay_alu instid0(VALU_DEP_1) | instskip(SKIP_1) | instid1(VALU_DEP_2)
	v_cndmask_b32_e64 v2, 0x7fffffff, v30, s18
	v_cmp_gt_i32_e64 s18, 0, v30
	v_lshrrev_b32_e32 v2, s30, v2
	s_delay_alu instid0(VALU_DEP_2) | instskip(NEXT) | instid1(VALU_DEP_2)
	v_cndmask_b32_e64 v98, 0x7fffffff, 0, s18
	v_and_b32_e32 v2, s31, v2
	s_delay_alu instid0(VALU_DEP_1) | instskip(SKIP_3) | instid1(VALU_DEP_1)
	v_lshlrev_b32_e32 v2, 2, v2
	ds_load_b32 v2, v2
	s_waitcnt lgkmcnt(0)
	v_add_nc_u32_e32 v19, v2, v33
	v_lshlrev_b64 v[2:3], 2, v[19:20]
	v_xor_b32_e32 v19, v98, v30
	s_delay_alu instid0(VALU_DEP_2) | instskip(NEXT) | instid1(VALU_DEP_1)
	v_add_co_u32 v2, s18, s46, v2
	v_add_co_ci_u32_e64 v3, s18, s47, v3, s18
	global_store_b32 v[2:3], v19, off
	s_or_b32 exec_lo, exec_lo, s19
	v_cmp_lt_u32_e64 s18, v34, v0
	s_delay_alu instid0(VALU_DEP_1)
	s_and_saveexec_b32 s20, s18
	s_cbranch_execnz .LBB1333_117
.LBB1333_110:                           ;   in Loop: Header=BB1333_66 Depth=2
	s_or_b32 exec_lo, exec_lo, s20
	v_cmp_lt_u32_e64 s19, v38, v0
	s_delay_alu instid0(VALU_DEP_1)
	s_and_saveexec_b32 s21, s19
	s_cbranch_execz .LBB1333_118
.LBB1333_111:                           ;   in Loop: Header=BB1333_66 Depth=2
	ds_load_b32 v30, v58 offset:4096
	s_waitcnt lgkmcnt(0)
	v_cmp_ne_u32_e64 s20, 0x80000000, v30
	s_delay_alu instid0(VALU_DEP_1) | instskip(SKIP_1) | instid1(VALU_DEP_2)
	v_cndmask_b32_e64 v2, 0x7fffffff, v30, s20
	v_cmp_gt_i32_e64 s20, 0, v30
	v_lshrrev_b32_e32 v2, s30, v2
	s_delay_alu instid0(VALU_DEP_2) | instskip(NEXT) | instid1(VALU_DEP_2)
	v_cndmask_b32_e64 v98, 0x7fffffff, 0, s20
	v_and_b32_e32 v2, s31, v2
	s_delay_alu instid0(VALU_DEP_1) | instskip(SKIP_3) | instid1(VALU_DEP_1)
	v_lshlrev_b32_e32 v2, 2, v2
	ds_load_b32 v2, v2
	s_waitcnt lgkmcnt(0)
	v_add_nc_u32_e32 v19, v2, v38
	v_lshlrev_b64 v[2:3], 2, v[19:20]
	v_xor_b32_e32 v19, v98, v30
	s_delay_alu instid0(VALU_DEP_2) | instskip(NEXT) | instid1(VALU_DEP_1)
	v_add_co_u32 v2, s20, s46, v2
	v_add_co_ci_u32_e64 v3, s20, s47, v3, s20
	global_store_b32 v[2:3], v19, off
	s_or_b32 exec_lo, exec_lo, s21
	v_cmp_lt_u32_e64 s20, v39, v0
	s_delay_alu instid0(VALU_DEP_1)
	s_and_saveexec_b32 s22, s20
	s_cbranch_execnz .LBB1333_119
.LBB1333_112:                           ;   in Loop: Header=BB1333_66 Depth=2
	s_or_b32 exec_lo, exec_lo, s22
	v_cmp_lt_u32_e64 s21, v40, v0
	s_delay_alu instid0(VALU_DEP_1)
	s_and_saveexec_b32 s23, s21
	s_cbranch_execz .LBB1333_120
.LBB1333_113:                           ;   in Loop: Header=BB1333_66 Depth=2
	ds_load_b32 v30, v58 offset:6144
	s_waitcnt lgkmcnt(0)
	v_cmp_ne_u32_e64 s22, 0x80000000, v30
	s_delay_alu instid0(VALU_DEP_1) | instskip(SKIP_1) | instid1(VALU_DEP_2)
	v_cndmask_b32_e64 v2, 0x7fffffff, v30, s22
	v_cmp_gt_i32_e64 s22, 0, v30
	v_lshrrev_b32_e32 v2, s30, v2
	s_delay_alu instid0(VALU_DEP_2) | instskip(NEXT) | instid1(VALU_DEP_2)
	v_cndmask_b32_e64 v98, 0x7fffffff, 0, s22
	v_and_b32_e32 v2, s31, v2
	s_delay_alu instid0(VALU_DEP_1) | instskip(SKIP_3) | instid1(VALU_DEP_1)
	v_lshlrev_b32_e32 v2, 2, v2
	ds_load_b32 v2, v2
	s_waitcnt lgkmcnt(0)
	v_add_nc_u32_e32 v19, v2, v40
	v_lshlrev_b64 v[2:3], 2, v[19:20]
	v_xor_b32_e32 v19, v98, v30
	s_delay_alu instid0(VALU_DEP_2) | instskip(NEXT) | instid1(VALU_DEP_1)
	v_add_co_u32 v2, s22, s46, v2
	v_add_co_ci_u32_e64 v3, s22, s47, v3, s22
	global_store_b32 v[2:3], v19, off
	s_or_b32 exec_lo, exec_lo, s23
	v_cmp_lt_u32_e64 s22, v42, v0
	s_delay_alu instid0(VALU_DEP_1)
	s_and_saveexec_b32 s37, s22
	s_cbranch_execnz .LBB1333_121
	s_branch .LBB1333_122
.LBB1333_114:                           ;   in Loop: Header=BB1333_66 Depth=2
	s_or_b32 exec_lo, exec_lo, s17
	v_cmp_lt_u32_e64 s16, v32, v0
	s_delay_alu instid0(VALU_DEP_1)
	s_and_saveexec_b32 s18, s16
	s_cbranch_execz .LBB1333_108
.LBB1333_115:                           ;   in Loop: Header=BB1333_66 Depth=2
	ds_load_b32 v30, v58 offset:1024
	s_waitcnt lgkmcnt(0)
	v_cmp_ne_u32_e64 s17, 0x80000000, v30
	s_delay_alu instid0(VALU_DEP_1) | instskip(SKIP_1) | instid1(VALU_DEP_2)
	v_cndmask_b32_e64 v2, 0x7fffffff, v30, s17
	v_cmp_gt_i32_e64 s17, 0, v30
	v_lshrrev_b32_e32 v2, s30, v2
	s_delay_alu instid0(VALU_DEP_2) | instskip(NEXT) | instid1(VALU_DEP_2)
	v_cndmask_b32_e64 v98, 0x7fffffff, 0, s17
	v_and_b32_e32 v2, s31, v2
	s_delay_alu instid0(VALU_DEP_1) | instskip(SKIP_3) | instid1(VALU_DEP_1)
	v_lshlrev_b32_e32 v2, 2, v2
	ds_load_b32 v2, v2
	s_waitcnt lgkmcnt(0)
	v_add_nc_u32_e32 v19, v2, v32
	v_lshlrev_b64 v[2:3], 2, v[19:20]
	v_xor_b32_e32 v19, v98, v30
	s_delay_alu instid0(VALU_DEP_2) | instskip(NEXT) | instid1(VALU_DEP_1)
	v_add_co_u32 v2, s17, s46, v2
	v_add_co_ci_u32_e64 v3, s17, s47, v3, s17
	global_store_b32 v[2:3], v19, off
	s_or_b32 exec_lo, exec_lo, s18
	v_cmp_lt_u32_e64 s17, v33, v0
	s_delay_alu instid0(VALU_DEP_1)
	s_and_saveexec_b32 s19, s17
	s_cbranch_execnz .LBB1333_109
.LBB1333_116:                           ;   in Loop: Header=BB1333_66 Depth=2
	s_or_b32 exec_lo, exec_lo, s19
	v_cmp_lt_u32_e64 s18, v34, v0
	s_delay_alu instid0(VALU_DEP_1)
	s_and_saveexec_b32 s20, s18
	s_cbranch_execz .LBB1333_110
.LBB1333_117:                           ;   in Loop: Header=BB1333_66 Depth=2
	ds_load_b32 v30, v58 offset:3072
	s_waitcnt lgkmcnt(0)
	v_cmp_ne_u32_e64 s19, 0x80000000, v30
	s_delay_alu instid0(VALU_DEP_1) | instskip(SKIP_1) | instid1(VALU_DEP_2)
	v_cndmask_b32_e64 v2, 0x7fffffff, v30, s19
	v_cmp_gt_i32_e64 s19, 0, v30
	v_lshrrev_b32_e32 v2, s30, v2
	s_delay_alu instid0(VALU_DEP_2) | instskip(NEXT) | instid1(VALU_DEP_2)
	v_cndmask_b32_e64 v98, 0x7fffffff, 0, s19
	v_and_b32_e32 v2, s31, v2
	s_delay_alu instid0(VALU_DEP_1) | instskip(SKIP_3) | instid1(VALU_DEP_1)
	v_lshlrev_b32_e32 v2, 2, v2
	ds_load_b32 v2, v2
	s_waitcnt lgkmcnt(0)
	v_add_nc_u32_e32 v19, v2, v34
	v_lshlrev_b64 v[2:3], 2, v[19:20]
	v_xor_b32_e32 v19, v98, v30
	s_delay_alu instid0(VALU_DEP_2) | instskip(NEXT) | instid1(VALU_DEP_1)
	v_add_co_u32 v2, s19, s46, v2
	v_add_co_ci_u32_e64 v3, s19, s47, v3, s19
	global_store_b32 v[2:3], v19, off
	s_or_b32 exec_lo, exec_lo, s20
	v_cmp_lt_u32_e64 s19, v38, v0
	s_delay_alu instid0(VALU_DEP_1)
	s_and_saveexec_b32 s21, s19
	s_cbranch_execnz .LBB1333_111
.LBB1333_118:                           ;   in Loop: Header=BB1333_66 Depth=2
	s_or_b32 exec_lo, exec_lo, s21
	v_cmp_lt_u32_e64 s20, v39, v0
	s_delay_alu instid0(VALU_DEP_1)
	s_and_saveexec_b32 s22, s20
	s_cbranch_execz .LBB1333_112
.LBB1333_119:                           ;   in Loop: Header=BB1333_66 Depth=2
	ds_load_b32 v30, v58 offset:5120
	s_waitcnt lgkmcnt(0)
	v_cmp_ne_u32_e64 s21, 0x80000000, v30
	s_delay_alu instid0(VALU_DEP_1) | instskip(SKIP_1) | instid1(VALU_DEP_2)
	v_cndmask_b32_e64 v2, 0x7fffffff, v30, s21
	v_cmp_gt_i32_e64 s21, 0, v30
	v_lshrrev_b32_e32 v2, s30, v2
	s_delay_alu instid0(VALU_DEP_2) | instskip(NEXT) | instid1(VALU_DEP_2)
	v_cndmask_b32_e64 v98, 0x7fffffff, 0, s21
	v_and_b32_e32 v2, s31, v2
	s_delay_alu instid0(VALU_DEP_1) | instskip(SKIP_3) | instid1(VALU_DEP_1)
	v_lshlrev_b32_e32 v2, 2, v2
	ds_load_b32 v2, v2
	s_waitcnt lgkmcnt(0)
	v_add_nc_u32_e32 v19, v2, v39
	v_lshlrev_b64 v[2:3], 2, v[19:20]
	v_xor_b32_e32 v19, v98, v30
	s_delay_alu instid0(VALU_DEP_2) | instskip(NEXT) | instid1(VALU_DEP_1)
	v_add_co_u32 v2, s21, s46, v2
	v_add_co_ci_u32_e64 v3, s21, s47, v3, s21
	global_store_b32 v[2:3], v19, off
	s_or_b32 exec_lo, exec_lo, s22
	v_cmp_lt_u32_e64 s21, v40, v0
	s_delay_alu instid0(VALU_DEP_1)
	s_and_saveexec_b32 s23, s21
	s_cbranch_execnz .LBB1333_113
.LBB1333_120:                           ;   in Loop: Header=BB1333_66 Depth=2
	s_or_b32 exec_lo, exec_lo, s23
	v_cmp_lt_u32_e64 s22, v42, v0
	s_delay_alu instid0(VALU_DEP_1)
	s_and_saveexec_b32 s37, s22
	s_cbranch_execz .LBB1333_122
.LBB1333_121:                           ;   in Loop: Header=BB1333_66 Depth=2
	ds_load_b32 v30, v58 offset:7168
	s_waitcnt lgkmcnt(0)
	v_cmp_ne_u32_e64 s23, 0x80000000, v30
	s_delay_alu instid0(VALU_DEP_1) | instskip(SKIP_1) | instid1(VALU_DEP_2)
	v_cndmask_b32_e64 v2, 0x7fffffff, v30, s23
	v_cmp_gt_i32_e64 s23, 0, v30
	v_lshrrev_b32_e32 v2, s30, v2
	s_delay_alu instid0(VALU_DEP_2) | instskip(NEXT) | instid1(VALU_DEP_2)
	v_cndmask_b32_e64 v98, 0x7fffffff, 0, s23
	v_and_b32_e32 v2, s31, v2
	s_delay_alu instid0(VALU_DEP_1) | instskip(SKIP_3) | instid1(VALU_DEP_1)
	v_lshlrev_b32_e32 v2, 2, v2
	ds_load_b32 v2, v2
	s_waitcnt lgkmcnt(0)
	v_add_nc_u32_e32 v19, v2, v42
	v_lshlrev_b64 v[2:3], 2, v[19:20]
	v_xor_b32_e32 v19, v98, v30
	s_delay_alu instid0(VALU_DEP_2) | instskip(NEXT) | instid1(VALU_DEP_1)
	v_add_co_u32 v2, s23, s46, v2
	v_add_co_ci_u32_e64 v3, s23, s47, v3, s23
	global_store_b32 v[2:3], v19, off
.LBB1333_122:                           ;   in Loop: Header=BB1333_66 Depth=2
	s_or_b32 exec_lo, exec_lo, s37
	s_lshl_b64 s[38:39], s[24:25], 3
	s_delay_alu instid0(SALU_CYCLE_1) | instskip(NEXT) | instid1(VALU_DEP_1)
	v_add_co_u32 v2, s23, v75, s38
	v_add_co_ci_u32_e64 v3, s23, s39, v76, s23
	v_cmp_lt_u32_e64 s23, v74, v0
	s_delay_alu instid0(VALU_DEP_1) | instskip(NEXT) | instid1(SALU_CYCLE_1)
	s_and_saveexec_b32 s24, s23
	s_xor_b32 s23, exec_lo, s24
	s_cbranch_execz .LBB1333_138
; %bb.123:                              ;   in Loop: Header=BB1333_66 Depth=2
	global_load_b64 v[27:28], v[2:3], off
	s_or_b32 exec_lo, exec_lo, s23
	s_delay_alu instid0(SALU_CYCLE_1)
	s_mov_b32 s24, exec_lo
	v_cmpx_lt_u32_e64 v77, v0
	s_cbranch_execnz .LBB1333_139
.LBB1333_124:                           ;   in Loop: Header=BB1333_66 Depth=2
	s_or_b32 exec_lo, exec_lo, s24
	s_delay_alu instid0(SALU_CYCLE_1)
	s_mov_b32 s24, exec_lo
	v_cmpx_lt_u32_e64 v78, v0
	s_cbranch_execz .LBB1333_140
.LBB1333_125:                           ;   in Loop: Header=BB1333_66 Depth=2
	global_load_b64 v[23:24], v[2:3], off offset:512
	s_or_b32 exec_lo, exec_lo, s24
	s_delay_alu instid0(SALU_CYCLE_1)
	s_mov_b32 s24, exec_lo
	v_cmpx_lt_u32_e64 v79, v0
	s_cbranch_execnz .LBB1333_141
.LBB1333_126:                           ;   in Loop: Header=BB1333_66 Depth=2
	s_or_b32 exec_lo, exec_lo, s24
	s_delay_alu instid0(SALU_CYCLE_1)
	s_mov_b32 s24, exec_lo
	v_cmpx_lt_u32_e64 v80, v0
	s_cbranch_execz .LBB1333_142
.LBB1333_127:                           ;   in Loop: Header=BB1333_66 Depth=2
	global_load_b64 v[16:17], v[2:3], off offset:1024
	s_or_b32 exec_lo, exec_lo, s24
	s_delay_alu instid0(SALU_CYCLE_1)
	s_mov_b32 s24, exec_lo
	v_cmpx_lt_u32_e64 v81, v0
	s_cbranch_execnz .LBB1333_143
.LBB1333_128:                           ;   in Loop: Header=BB1333_66 Depth=2
	s_or_b32 exec_lo, exec_lo, s24
	s_delay_alu instid0(SALU_CYCLE_1)
	s_mov_b32 s24, exec_lo
	v_cmpx_lt_u32_e64 v82, v0
	s_cbranch_execz .LBB1333_144
.LBB1333_129:                           ;   in Loop: Header=BB1333_66 Depth=2
	global_load_b64 v[12:13], v[2:3], off offset:1536
	s_or_b32 exec_lo, exec_lo, s24
	s_delay_alu instid0(SALU_CYCLE_1)
	s_mov_b32 s24, exec_lo
	v_cmpx_lt_u32_e64 v83, v0
	s_cbranch_execnz .LBB1333_145
.LBB1333_130:                           ;   in Loop: Header=BB1333_66 Depth=2
	s_or_b32 exec_lo, exec_lo, s24
	s_and_saveexec_b32 s24, vcc_lo
	s_cbranch_execz .LBB1333_146
.LBB1333_131:                           ;   in Loop: Header=BB1333_66 Depth=2
	ds_load_b32 v0, v52 offset:1024
	s_waitcnt lgkmcnt(0)
	v_cmp_ne_u32_e64 s23, 0x80000000, v0
	s_delay_alu instid0(VALU_DEP_1) | instskip(NEXT) | instid1(VALU_DEP_1)
	v_cndmask_b32_e64 v0, 0x7fffffff, v0, s23
	v_lshrrev_b32_e32 v0, s30, v0
	s_delay_alu instid0(VALU_DEP_1)
	v_and_b32_e32 v96, s31, v0
	s_or_b32 exec_lo, exec_lo, s24
	s_and_saveexec_b32 s24, s16
	s_cbranch_execnz .LBB1333_147
.LBB1333_132:                           ;   in Loop: Header=BB1333_66 Depth=2
	s_or_b32 exec_lo, exec_lo, s24
	s_and_saveexec_b32 s24, s17
	s_cbranch_execz .LBB1333_148
.LBB1333_133:                           ;   in Loop: Header=BB1333_66 Depth=2
	ds_load_b32 v0, v58 offset:2048
	s_waitcnt lgkmcnt(0)
	v_cmp_ne_u32_e64 s23, 0x80000000, v0
	s_delay_alu instid0(VALU_DEP_1) | instskip(NEXT) | instid1(VALU_DEP_1)
	v_cndmask_b32_e64 v0, 0x7fffffff, v0, s23
	v_lshrrev_b32_e32 v0, s30, v0
	s_delay_alu instid0(VALU_DEP_1)
	v_and_b32_e32 v94, s31, v0
	s_or_b32 exec_lo, exec_lo, s24
	s_and_saveexec_b32 s24, s18
	s_cbranch_execnz .LBB1333_149
.LBB1333_134:                           ;   in Loop: Header=BB1333_66 Depth=2
	s_or_b32 exec_lo, exec_lo, s24
	s_and_saveexec_b32 s24, s19
	s_cbranch_execz .LBB1333_150
.LBB1333_135:                           ;   in Loop: Header=BB1333_66 Depth=2
	ds_load_b32 v0, v58 offset:4096
	s_waitcnt lgkmcnt(0)
	v_cmp_ne_u32_e64 s23, 0x80000000, v0
	s_delay_alu instid0(VALU_DEP_1) | instskip(NEXT) | instid1(VALU_DEP_1)
	v_cndmask_b32_e64 v0, 0x7fffffff, v0, s23
	v_lshrrev_b32_e32 v0, s30, v0
	s_delay_alu instid0(VALU_DEP_1)
	v_and_b32_e32 v92, s31, v0
	s_or_b32 exec_lo, exec_lo, s24
	s_and_saveexec_b32 s24, s20
	s_cbranch_execnz .LBB1333_151
.LBB1333_136:                           ;   in Loop: Header=BB1333_66 Depth=2
	s_or_b32 exec_lo, exec_lo, s24
	s_and_saveexec_b32 s24, s21
	s_cbranch_execz .LBB1333_152
.LBB1333_137:                           ;   in Loop: Header=BB1333_66 Depth=2
	ds_load_b32 v0, v58 offset:6144
	s_waitcnt lgkmcnt(0)
	v_cmp_ne_u32_e64 s23, 0x80000000, v0
	s_delay_alu instid0(VALU_DEP_1) | instskip(NEXT) | instid1(VALU_DEP_1)
	v_cndmask_b32_e64 v0, 0x7fffffff, v0, s23
	v_lshrrev_b32_e32 v0, s30, v0
	s_delay_alu instid0(VALU_DEP_1)
	v_and_b32_e32 v90, s31, v0
	s_or_b32 exec_lo, exec_lo, s24
	s_and_saveexec_b32 s24, s22
	s_cbranch_execnz .LBB1333_153
	s_branch .LBB1333_154
.LBB1333_138:                           ;   in Loop: Header=BB1333_66 Depth=2
	s_or_b32 exec_lo, exec_lo, s23
	s_delay_alu instid0(SALU_CYCLE_1)
	s_mov_b32 s24, exec_lo
	v_cmpx_lt_u32_e64 v77, v0
	s_cbranch_execz .LBB1333_124
.LBB1333_139:                           ;   in Loop: Header=BB1333_66 Depth=2
	global_load_b64 v[25:26], v[2:3], off offset:256
	s_or_b32 exec_lo, exec_lo, s24
	s_delay_alu instid0(SALU_CYCLE_1)
	s_mov_b32 s24, exec_lo
	v_cmpx_lt_u32_e64 v78, v0
	s_cbranch_execnz .LBB1333_125
.LBB1333_140:                           ;   in Loop: Header=BB1333_66 Depth=2
	s_or_b32 exec_lo, exec_lo, s24
	s_delay_alu instid0(SALU_CYCLE_1)
	s_mov_b32 s24, exec_lo
	v_cmpx_lt_u32_e64 v79, v0
	s_cbranch_execz .LBB1333_126
.LBB1333_141:                           ;   in Loop: Header=BB1333_66 Depth=2
	global_load_b64 v[21:22], v[2:3], off offset:768
	s_or_b32 exec_lo, exec_lo, s24
	s_delay_alu instid0(SALU_CYCLE_1)
	s_mov_b32 s24, exec_lo
	v_cmpx_lt_u32_e64 v80, v0
	s_cbranch_execnz .LBB1333_127
.LBB1333_142:                           ;   in Loop: Header=BB1333_66 Depth=2
	s_or_b32 exec_lo, exec_lo, s24
	s_delay_alu instid0(SALU_CYCLE_1)
	s_mov_b32 s24, exec_lo
	v_cmpx_lt_u32_e64 v81, v0
	s_cbranch_execz .LBB1333_128
.LBB1333_143:                           ;   in Loop: Header=BB1333_66 Depth=2
	global_load_b64 v[14:15], v[2:3], off offset:1280
	s_or_b32 exec_lo, exec_lo, s24
	s_delay_alu instid0(SALU_CYCLE_1)
	s_mov_b32 s24, exec_lo
	v_cmpx_lt_u32_e64 v82, v0
	s_cbranch_execnz .LBB1333_129
.LBB1333_144:                           ;   in Loop: Header=BB1333_66 Depth=2
	s_or_b32 exec_lo, exec_lo, s24
	s_delay_alu instid0(SALU_CYCLE_1)
	s_mov_b32 s24, exec_lo
	v_cmpx_lt_u32_e64 v83, v0
	s_cbranch_execz .LBB1333_130
.LBB1333_145:                           ;   in Loop: Header=BB1333_66 Depth=2
	global_load_b64 v[10:11], v[2:3], off offset:1792
	s_or_b32 exec_lo, exec_lo, s24
	s_and_saveexec_b32 s24, vcc_lo
	s_cbranch_execnz .LBB1333_131
.LBB1333_146:                           ;   in Loop: Header=BB1333_66 Depth=2
	s_or_b32 exec_lo, exec_lo, s24
	s_and_saveexec_b32 s24, s16
	s_cbranch_execz .LBB1333_132
.LBB1333_147:                           ;   in Loop: Header=BB1333_66 Depth=2
	ds_load_b32 v0, v58 offset:1024
	s_waitcnt lgkmcnt(0)
	v_cmp_ne_u32_e64 s23, 0x80000000, v0
	s_delay_alu instid0(VALU_DEP_1) | instskip(NEXT) | instid1(VALU_DEP_1)
	v_cndmask_b32_e64 v0, 0x7fffffff, v0, s23
	v_lshrrev_b32_e32 v0, s30, v0
	s_delay_alu instid0(VALU_DEP_1)
	v_and_b32_e32 v95, s31, v0
	s_or_b32 exec_lo, exec_lo, s24
	s_and_saveexec_b32 s24, s17
	s_cbranch_execnz .LBB1333_133
.LBB1333_148:                           ;   in Loop: Header=BB1333_66 Depth=2
	s_or_b32 exec_lo, exec_lo, s24
	s_and_saveexec_b32 s24, s18
	s_cbranch_execz .LBB1333_134
.LBB1333_149:                           ;   in Loop: Header=BB1333_66 Depth=2
	ds_load_b32 v0, v58 offset:3072
	s_waitcnt lgkmcnt(0)
	v_cmp_ne_u32_e64 s23, 0x80000000, v0
	s_delay_alu instid0(VALU_DEP_1) | instskip(NEXT) | instid1(VALU_DEP_1)
	v_cndmask_b32_e64 v0, 0x7fffffff, v0, s23
	v_lshrrev_b32_e32 v0, s30, v0
	s_delay_alu instid0(VALU_DEP_1)
	v_and_b32_e32 v93, s31, v0
	s_or_b32 exec_lo, exec_lo, s24
	s_and_saveexec_b32 s24, s19
	s_cbranch_execnz .LBB1333_135
.LBB1333_150:                           ;   in Loop: Header=BB1333_66 Depth=2
	s_or_b32 exec_lo, exec_lo, s24
	s_and_saveexec_b32 s24, s20
	s_cbranch_execz .LBB1333_136
.LBB1333_151:                           ;   in Loop: Header=BB1333_66 Depth=2
	ds_load_b32 v0, v58 offset:5120
	s_waitcnt lgkmcnt(0)
	v_cmp_ne_u32_e64 s23, 0x80000000, v0
	s_delay_alu instid0(VALU_DEP_1) | instskip(NEXT) | instid1(VALU_DEP_1)
	v_cndmask_b32_e64 v0, 0x7fffffff, v0, s23
	v_lshrrev_b32_e32 v0, s30, v0
	s_delay_alu instid0(VALU_DEP_1)
	v_and_b32_e32 v91, s31, v0
	s_or_b32 exec_lo, exec_lo, s24
	s_and_saveexec_b32 s24, s21
	s_cbranch_execnz .LBB1333_137
.LBB1333_152:                           ;   in Loop: Header=BB1333_66 Depth=2
	s_or_b32 exec_lo, exec_lo, s24
	s_and_saveexec_b32 s24, s22
	s_cbranch_execz .LBB1333_154
.LBB1333_153:                           ;   in Loop: Header=BB1333_66 Depth=2
	ds_load_b32 v0, v58 offset:7168
	s_waitcnt lgkmcnt(0)
	v_cmp_ne_u32_e64 s23, 0x80000000, v0
	s_delay_alu instid0(VALU_DEP_1) | instskip(NEXT) | instid1(VALU_DEP_1)
	v_cndmask_b32_e64 v0, 0x7fffffff, v0, s23
	v_lshrrev_b32_e32 v0, s30, v0
	s_delay_alu instid0(VALU_DEP_1)
	v_and_b32_e32 v89, s31, v0
.LBB1333_154:                           ;   in Loop: Header=BB1333_66 Depth=2
	s_or_b32 exec_lo, exec_lo, s24
	v_lshlrev_b32_e32 v0, 3, v101
	v_lshlrev_b32_e32 v2, 3, v97
	;; [unrolled: 1-line block ×3, first 2 shown]
	s_waitcnt vmcnt(0)
	s_waitcnt_vscnt null, 0x0
	s_barrier
	buffer_gl0_inv
	ds_store_b64 v0, v[27:28] offset:1024
	ds_store_b64 v2, v[25:26] offset:1024
	;; [unrolled: 1-line block ×3, first 2 shown]
	v_lshlrev_b32_e32 v0, 3, v7
	v_lshlrev_b32_e32 v2, 3, v6
	;; [unrolled: 1-line block ×5, first 2 shown]
	ds_store_b64 v0, v[21:22] offset:1024
	ds_store_b64 v2, v[16:17] offset:1024
	;; [unrolled: 1-line block ×5, first 2 shown]
	s_waitcnt lgkmcnt(0)
	s_barrier
	buffer_gl0_inv
	s_and_saveexec_b32 s23, vcc_lo
	s_cbranch_execz .LBB1333_162
; %bb.155:                              ;   in Loop: Header=BB1333_66 Depth=2
	v_lshlrev_b32_e32 v0, 2, v96
	v_add_nc_u32_e32 v2, v52, v31
	ds_load_b32 v0, v0
	ds_load_b64 v[2:3], v2 offset:1024
	s_waitcnt lgkmcnt(1)
	v_add_nc_u32_e32 v19, v0, v18
	s_delay_alu instid0(VALU_DEP_1) | instskip(NEXT) | instid1(VALU_DEP_1)
	v_lshlrev_b64 v[5:6], 3, v[19:20]
	v_add_co_u32 v5, vcc_lo, s52, v5
	s_delay_alu instid0(VALU_DEP_2)
	v_add_co_ci_u32_e32 v6, vcc_lo, s53, v6, vcc_lo
	s_waitcnt lgkmcnt(0)
	global_store_b64 v[5:6], v[2:3], off
	s_or_b32 exec_lo, exec_lo, s23
	s_and_saveexec_b32 s23, s16
	s_cbranch_execnz .LBB1333_163
.LBB1333_156:                           ;   in Loop: Header=BB1333_66 Depth=2
	s_or_b32 exec_lo, exec_lo, s23
	s_and_saveexec_b32 s16, s17
	s_cbranch_execz .LBB1333_164
.LBB1333_157:                           ;   in Loop: Header=BB1333_66 Depth=2
	v_lshlrev_b32_e32 v0, 2, v94
	v_add_nc_u32_e32 v2, v58, v31
	ds_load_b32 v0, v0
	ds_load_b64 v[2:3], v2 offset:4096
	s_waitcnt lgkmcnt(1)
	v_add_nc_u32_e32 v19, v0, v33
	s_delay_alu instid0(VALU_DEP_1) | instskip(NEXT) | instid1(VALU_DEP_1)
	v_lshlrev_b64 v[5:6], 3, v[19:20]
	v_add_co_u32 v5, vcc_lo, s52, v5
	s_delay_alu instid0(VALU_DEP_2)
	v_add_co_ci_u32_e32 v6, vcc_lo, s53, v6, vcc_lo
	s_waitcnt lgkmcnt(0)
	global_store_b64 v[5:6], v[2:3], off
	s_or_b32 exec_lo, exec_lo, s16
	s_and_saveexec_b32 s16, s18
	s_cbranch_execnz .LBB1333_165
.LBB1333_158:                           ;   in Loop: Header=BB1333_66 Depth=2
	s_or_b32 exec_lo, exec_lo, s16
	s_and_saveexec_b32 s16, s19
	s_cbranch_execz .LBB1333_166
.LBB1333_159:                           ;   in Loop: Header=BB1333_66 Depth=2
	v_lshlrev_b32_e32 v0, 2, v92
	v_add_nc_u32_e32 v2, v58, v31
	ds_load_b32 v0, v0
	ds_load_b64 v[2:3], v2 offset:8192
	s_waitcnt lgkmcnt(1)
	v_add_nc_u32_e32 v19, v0, v38
	s_delay_alu instid0(VALU_DEP_1) | instskip(NEXT) | instid1(VALU_DEP_1)
	v_lshlrev_b64 v[5:6], 3, v[19:20]
	v_add_co_u32 v5, vcc_lo, s52, v5
	s_delay_alu instid0(VALU_DEP_2)
	v_add_co_ci_u32_e32 v6, vcc_lo, s53, v6, vcc_lo
	s_waitcnt lgkmcnt(0)
	global_store_b64 v[5:6], v[2:3], off
	s_or_b32 exec_lo, exec_lo, s16
	s_and_saveexec_b32 s16, s20
	s_cbranch_execnz .LBB1333_167
.LBB1333_160:                           ;   in Loop: Header=BB1333_66 Depth=2
	s_or_b32 exec_lo, exec_lo, s16
	s_and_saveexec_b32 s16, s21
	s_cbranch_execz .LBB1333_168
.LBB1333_161:                           ;   in Loop: Header=BB1333_66 Depth=2
	v_lshlrev_b32_e32 v0, 2, v90
	v_add_nc_u32_e32 v2, v58, v31
	ds_load_b32 v0, v0
	ds_load_b64 v[2:3], v2 offset:12288
	s_waitcnt lgkmcnt(1)
	v_add_nc_u32_e32 v19, v0, v40
	s_delay_alu instid0(VALU_DEP_1) | instskip(NEXT) | instid1(VALU_DEP_1)
	v_lshlrev_b64 v[5:6], 3, v[19:20]
	v_add_co_u32 v5, vcc_lo, s52, v5
	s_delay_alu instid0(VALU_DEP_2)
	v_add_co_ci_u32_e32 v6, vcc_lo, s53, v6, vcc_lo
	s_waitcnt lgkmcnt(0)
	global_store_b64 v[5:6], v[2:3], off
	s_or_b32 exec_lo, exec_lo, s16
	s_and_saveexec_b32 s16, s22
	s_cbranch_execnz .LBB1333_169
	s_branch .LBB1333_170
.LBB1333_162:                           ;   in Loop: Header=BB1333_66 Depth=2
	s_or_b32 exec_lo, exec_lo, s23
	s_and_saveexec_b32 s23, s16
	s_cbranch_execz .LBB1333_156
.LBB1333_163:                           ;   in Loop: Header=BB1333_66 Depth=2
	v_lshlrev_b32_e32 v0, 2, v95
	v_add_nc_u32_e32 v2, v58, v31
	ds_load_b32 v0, v0
	ds_load_b64 v[2:3], v2 offset:2048
	s_waitcnt lgkmcnt(1)
	v_add_nc_u32_e32 v19, v0, v32
	s_delay_alu instid0(VALU_DEP_1) | instskip(NEXT) | instid1(VALU_DEP_1)
	v_lshlrev_b64 v[5:6], 3, v[19:20]
	v_add_co_u32 v5, vcc_lo, s52, v5
	s_delay_alu instid0(VALU_DEP_2)
	v_add_co_ci_u32_e32 v6, vcc_lo, s53, v6, vcc_lo
	s_waitcnt lgkmcnt(0)
	global_store_b64 v[5:6], v[2:3], off
	s_or_b32 exec_lo, exec_lo, s23
	s_and_saveexec_b32 s16, s17
	s_cbranch_execnz .LBB1333_157
.LBB1333_164:                           ;   in Loop: Header=BB1333_66 Depth=2
	s_or_b32 exec_lo, exec_lo, s16
	s_and_saveexec_b32 s16, s18
	s_cbranch_execz .LBB1333_158
.LBB1333_165:                           ;   in Loop: Header=BB1333_66 Depth=2
	v_lshlrev_b32_e32 v0, 2, v93
	v_add_nc_u32_e32 v2, v58, v31
	ds_load_b32 v0, v0
	ds_load_b64 v[2:3], v2 offset:6144
	s_waitcnt lgkmcnt(1)
	v_add_nc_u32_e32 v19, v0, v34
	s_delay_alu instid0(VALU_DEP_1) | instskip(NEXT) | instid1(VALU_DEP_1)
	v_lshlrev_b64 v[5:6], 3, v[19:20]
	v_add_co_u32 v5, vcc_lo, s52, v5
	s_delay_alu instid0(VALU_DEP_2)
	v_add_co_ci_u32_e32 v6, vcc_lo, s53, v6, vcc_lo
	s_waitcnt lgkmcnt(0)
	global_store_b64 v[5:6], v[2:3], off
	s_or_b32 exec_lo, exec_lo, s16
	s_and_saveexec_b32 s16, s19
	s_cbranch_execnz .LBB1333_159
.LBB1333_166:                           ;   in Loop: Header=BB1333_66 Depth=2
	s_or_b32 exec_lo, exec_lo, s16
	s_and_saveexec_b32 s16, s20
	s_cbranch_execz .LBB1333_160
.LBB1333_167:                           ;   in Loop: Header=BB1333_66 Depth=2
	v_lshlrev_b32_e32 v0, 2, v91
	v_add_nc_u32_e32 v2, v58, v31
	ds_load_b32 v0, v0
	ds_load_b64 v[2:3], v2 offset:10240
	s_waitcnt lgkmcnt(1)
	v_add_nc_u32_e32 v19, v0, v39
	s_delay_alu instid0(VALU_DEP_1) | instskip(NEXT) | instid1(VALU_DEP_1)
	v_lshlrev_b64 v[5:6], 3, v[19:20]
	v_add_co_u32 v5, vcc_lo, s52, v5
	s_delay_alu instid0(VALU_DEP_2)
	v_add_co_ci_u32_e32 v6, vcc_lo, s53, v6, vcc_lo
	s_waitcnt lgkmcnt(0)
	global_store_b64 v[5:6], v[2:3], off
	s_or_b32 exec_lo, exec_lo, s16
	s_and_saveexec_b32 s16, s21
	s_cbranch_execnz .LBB1333_161
.LBB1333_168:                           ;   in Loop: Header=BB1333_66 Depth=2
	s_or_b32 exec_lo, exec_lo, s16
	s_and_saveexec_b32 s16, s22
	s_cbranch_execz .LBB1333_170
.LBB1333_169:                           ;   in Loop: Header=BB1333_66 Depth=2
	v_lshlrev_b32_e32 v0, 2, v89
	v_add_nc_u32_e32 v2, v58, v31
	ds_load_b32 v0, v0
	ds_load_b64 v[2:3], v2 offset:14336
	s_waitcnt lgkmcnt(1)
	v_add_nc_u32_e32 v19, v0, v42
	s_delay_alu instid0(VALU_DEP_1) | instskip(NEXT) | instid1(VALU_DEP_1)
	v_lshlrev_b64 v[5:6], 3, v[19:20]
	v_add_co_u32 v5, vcc_lo, s52, v5
	s_delay_alu instid0(VALU_DEP_2)
	v_add_co_ci_u32_e32 v6, vcc_lo, s53, v6, vcc_lo
	s_waitcnt lgkmcnt(0)
	global_store_b64 v[5:6], v[2:3], off
.LBB1333_170:                           ;   in Loop: Header=BB1333_66 Depth=2
	s_or_b32 exec_lo, exec_lo, s16
	s_waitcnt_vscnt null, 0x0
	s_barrier
	buffer_gl0_inv
	s_and_saveexec_b32 s16, s2
	s_cbranch_execz .LBB1333_65
; %bb.171:                              ;   in Loop: Header=BB1333_66 Depth=2
	ds_load_b32 v0, v31
	s_waitcnt lgkmcnt(0)
	v_add_nc_u32_e32 v0, v0, v4
	ds_store_b32 v31, v0
	s_branch .LBB1333_65
.LBB1333_172:                           ;   in Loop: Header=BB1333_66 Depth=2
	s_or_b32 exec_lo, exec_lo, s16
	s_delay_alu instid0(SALU_CYCLE_1)
	s_mov_b32 s16, exec_lo
	v_cmpx_gt_u32_e64 s50, v77
	s_cbranch_execz .LBB1333_71
.LBB1333_173:                           ;   in Loop: Header=BB1333_66 Depth=2
	global_load_b32 v3, v[29:30], off offset:128
	s_or_b32 exec_lo, exec_lo, s16
	s_delay_alu instid0(SALU_CYCLE_1)
	s_mov_b32 s16, exec_lo
	v_cmpx_gt_u32_e64 s50, v78
	s_cbranch_execnz .LBB1333_72
.LBB1333_174:                           ;   in Loop: Header=BB1333_66 Depth=2
	s_or_b32 exec_lo, exec_lo, s16
	s_delay_alu instid0(SALU_CYCLE_1)
	s_mov_b32 s16, exec_lo
	v_cmpx_gt_u32_e64 s50, v79
	s_cbranch_execz .LBB1333_73
.LBB1333_175:                           ;   in Loop: Header=BB1333_66 Depth=2
	global_load_b32 v5, v[29:30], off offset:384
	s_or_b32 exec_lo, exec_lo, s16
	s_delay_alu instid0(SALU_CYCLE_1)
	s_mov_b32 s16, exec_lo
	v_cmpx_gt_u32_e64 s50, v80
	s_cbranch_execnz .LBB1333_74
.LBB1333_176:                           ;   in Loop: Header=BB1333_66 Depth=2
	s_or_b32 exec_lo, exec_lo, s16
	s_delay_alu instid0(SALU_CYCLE_1)
	s_mov_b32 s16, exec_lo
	v_cmpx_gt_u32_e64 s50, v81
	s_cbranch_execz .LBB1333_75
.LBB1333_177:                           ;   in Loop: Header=BB1333_66 Depth=2
	global_load_b32 v7, v[29:30], off offset:640
	s_or_b32 exec_lo, exec_lo, s16
	s_delay_alu instid0(SALU_CYCLE_1)
	s_mov_b32 s16, exec_lo
	v_cmpx_gt_u32_e64 s50, v82
	s_cbranch_execnz .LBB1333_76
	s_branch .LBB1333_77
.LBB1333_178:                           ;   in Loop: Header=BB1333_12 Depth=1
	s_waitcnt lgkmcnt(0)
	s_mov_b32 s1, 0
	s_barrier
.LBB1333_179:                           ;   in Loop: Header=BB1333_12 Depth=1
	s_and_b32 vcc_lo, exec_lo, s1
	s_cbranch_vccz .LBB1333_345
; %bb.180:                              ;   in Loop: Header=BB1333_12 Depth=1
	s_mov_b32 s1, s35
	s_mov_b32 s24, s27
	s_barrier
	buffer_gl0_inv
                                        ; implicit-def: $vgpr2_vgpr3_vgpr4_vgpr5_vgpr6_vgpr7_vgpr8_vgpr9
	s_branch .LBB1333_182
.LBB1333_181:                           ;   in Loop: Header=BB1333_182 Depth=2
	s_or_b32 exec_lo, exec_lo, s8
	s_addk_i32 s1, 0xf800
	s_cmp_ge_u32 s7, s33
	s_mov_b32 s24, s7
	s_cbranch_scc1 .LBB1333_220
.LBB1333_182:                           ;   Parent Loop BB1333_12 Depth=1
                                        ; =>  This Inner Loop Header: Depth=2
	s_add_i32 s7, s24, 0x800
	s_delay_alu instid0(SALU_CYCLE_1)
	s_cmp_gt_u32 s7, s33
	s_cbranch_scc1 .LBB1333_185
; %bb.183:                              ;   in Loop: Header=BB1333_182 Depth=2
	s_mov_b32 s9, 0
	s_mov_b32 s8, s24
	s_delay_alu instid0(SALU_CYCLE_1) | instskip(NEXT) | instid1(SALU_CYCLE_1)
	s_lshl_b64 s[10:11], s[8:9], 2
	v_add_co_u32 v21, vcc_lo, v59, s10
	v_add_co_ci_u32_e32 v22, vcc_lo, s11, v60, vcc_lo
	s_mov_b32 s10, -1
	s_waitcnt vmcnt(0)
	s_delay_alu instid0(VALU_DEP_2) | instskip(NEXT) | instid1(VALU_DEP_2)
	v_add_co_u32 v16, vcc_lo, 0x1000, v21
	v_add_co_ci_u32_e32 v17, vcc_lo, 0, v22, vcc_lo
	s_clause 0x6
	global_load_b32 v10, v[21:22], off
	global_load_b32 v11, v[21:22], off offset:1024
	global_load_b32 v12, v[21:22], off offset:2048
	;; [unrolled: 1-line block ×3, first 2 shown]
	global_load_b32 v14, v[16:17], off
	global_load_b32 v15, v[16:17], off offset:1024
	global_load_b32 v16, v[16:17], off offset:2048
	v_add_co_u32 v21, vcc_lo, 0x1c00, v21
	v_add_co_ci_u32_e32 v22, vcc_lo, 0, v22, vcc_lo
	s_movk_i32 s11, 0x800
	s_cbranch_execz .LBB1333_186
; %bb.184:                              ;   in Loop: Header=BB1333_182 Depth=2
                                        ; implicit-def: $vgpr2_vgpr3_vgpr4_vgpr5_vgpr6_vgpr7_vgpr8_vgpr9
	v_mov_b32_e32 v0, s1
	s_and_saveexec_b32 s8, s10
	s_cbranch_execnz .LBB1333_197
	s_branch .LBB1333_198
.LBB1333_185:                           ;   in Loop: Header=BB1333_182 Depth=2
	s_mov_b32 s10, 0
                                        ; implicit-def: $sgpr11
                                        ; implicit-def: $vgpr10_vgpr11_vgpr12_vgpr13_vgpr14_vgpr15_vgpr16_vgpr17
                                        ; implicit-def: $vgpr21_vgpr22
.LBB1333_186:                           ;   in Loop: Header=BB1333_182 Depth=2
	s_lshl_b64 s[8:9], s[24:25], 2
	s_mov_b32 s11, exec_lo
	s_add_u32 s8, s46, s8
	s_addc_u32 s9, s47, s9
	v_cmpx_gt_u32_e64 s1, v18
	s_cbranch_execz .LBB1333_214
; %bb.187:                              ;   in Loop: Header=BB1333_182 Depth=2
	v_lshlrev_b32_e32 v0, 2, v18
	global_load_b32 v2, v0, s[8:9]
	s_or_b32 exec_lo, exec_lo, s11
	s_delay_alu instid0(SALU_CYCLE_1)
	s_mov_b32 s11, exec_lo
	v_cmpx_gt_u32_e64 s1, v32
	s_cbranch_execnz .LBB1333_215
.LBB1333_188:                           ;   in Loop: Header=BB1333_182 Depth=2
	s_or_b32 exec_lo, exec_lo, s11
	s_delay_alu instid0(SALU_CYCLE_1)
	s_mov_b32 s11, exec_lo
	v_cmpx_gt_u32_e64 s1, v33
	s_cbranch_execz .LBB1333_216
.LBB1333_189:                           ;   in Loop: Header=BB1333_182 Depth=2
	v_lshlrev_b32_e32 v0, 2, v18
	global_load_b32 v4, v0, s[8:9] offset:2048
	s_or_b32 exec_lo, exec_lo, s11
	s_delay_alu instid0(SALU_CYCLE_1)
	s_mov_b32 s11, exec_lo
	v_cmpx_gt_u32_e64 s1, v34
	s_cbranch_execnz .LBB1333_217
.LBB1333_190:                           ;   in Loop: Header=BB1333_182 Depth=2
	s_or_b32 exec_lo, exec_lo, s11
	s_delay_alu instid0(SALU_CYCLE_1)
	s_mov_b32 s11, exec_lo
	v_cmpx_gt_u32_e64 s1, v38
	s_cbranch_execz .LBB1333_218
.LBB1333_191:                           ;   in Loop: Header=BB1333_182 Depth=2
	v_lshlrev_b32_e32 v0, 2, v38
	global_load_b32 v6, v0, s[8:9]
	s_or_b32 exec_lo, exec_lo, s11
	s_delay_alu instid0(SALU_CYCLE_1)
	s_mov_b32 s11, exec_lo
	v_cmpx_gt_u32_e64 s1, v39
	s_cbranch_execnz .LBB1333_219
.LBB1333_192:                           ;   in Loop: Header=BB1333_182 Depth=2
	s_or_b32 exec_lo, exec_lo, s11
	s_delay_alu instid0(SALU_CYCLE_1)
	s_mov_b32 s11, exec_lo
	v_cmpx_gt_u32_e64 s1, v40
	s_cbranch_execz .LBB1333_194
.LBB1333_193:                           ;   in Loop: Header=BB1333_182 Depth=2
	v_lshlrev_b32_e32 v0, 2, v40
	global_load_b32 v8, v0, s[8:9]
.LBB1333_194:                           ;   in Loop: Header=BB1333_182 Depth=2
	s_or_b32 exec_lo, exec_lo, s11
	s_delay_alu instid0(SALU_CYCLE_1)
	s_mov_b32 s12, exec_lo
                                        ; implicit-def: $sgpr11
                                        ; implicit-def: $vgpr21_vgpr22
	v_cmpx_gt_u32_e64 s1, v42
; %bb.195:                              ;   in Loop: Header=BB1333_182 Depth=2
	v_lshlrev_b32_e32 v0, 2, v42
	s_sub_i32 s11, s33, s24
	s_or_b32 s10, s10, exec_lo
	s_delay_alu instid0(VALU_DEP_1) | instskip(NEXT) | instid1(VALU_DEP_1)
	v_add_co_u32 v21, s8, s8, v0
	v_add_co_ci_u32_e64 v22, null, s9, 0, s8
; %bb.196:                              ;   in Loop: Header=BB1333_182 Depth=2
	s_or_b32 exec_lo, exec_lo, s12
	s_waitcnt vmcnt(0)
	v_dual_mov_b32 v17, v9 :: v_dual_mov_b32 v16, v8
	v_dual_mov_b32 v15, v7 :: v_dual_mov_b32 v14, v6
	;; [unrolled: 1-line block ×4, first 2 shown]
	v_mov_b32_e32 v0, s1
	s_and_saveexec_b32 s8, s10
	s_cbranch_execz .LBB1333_198
.LBB1333_197:                           ;   in Loop: Header=BB1333_182 Depth=2
	global_load_b32 v17, v[21:22], off
	s_waitcnt vmcnt(0)
	v_dual_mov_b32 v2, v10 :: v_dual_mov_b32 v5, v13
	v_dual_mov_b32 v0, s11 :: v_dual_mov_b32 v3, v11
	;; [unrolled: 1-line block ×3, first 2 shown]
	v_mov_b32_e32 v6, v14
	v_dual_mov_b32 v8, v16 :: v_dual_mov_b32 v9, v17
.LBB1333_198:                           ;   in Loop: Header=BB1333_182 Depth=2
	s_or_b32 exec_lo, exec_lo, s8
	s_delay_alu instid0(SALU_CYCLE_1)
	s_mov_b32 s8, exec_lo
	v_cmpx_lt_u32_e64 v18, v0
	s_cbranch_execz .LBB1333_206
; %bb.199:                              ;   in Loop: Header=BB1333_182 Depth=2
	v_cmp_gt_i32_e32 vcc_lo, 0, v2
	s_waitcnt vmcnt(5)
	v_lshlrev_b32_e32 v11, 2, v35
	v_cndmask_b32_e64 v10, 0x7fffffff, 0, vcc_lo
	s_delay_alu instid0(VALU_DEP_1) | instskip(NEXT) | instid1(VALU_DEP_1)
	v_xor_b32_e32 v10, v10, v2
	v_cmp_ne_u32_e32 vcc_lo, 0x80000000, v10
	v_cndmask_b32_e32 v10, 0x7fffffff, v10, vcc_lo
	s_delay_alu instid0(VALU_DEP_1) | instskip(NEXT) | instid1(VALU_DEP_1)
	v_lshrrev_b32_e32 v10, s30, v10
	v_and_b32_e32 v10, s31, v10
	s_delay_alu instid0(VALU_DEP_1) | instskip(SKIP_2) | instid1(SALU_CYCLE_1)
	v_lshl_or_b32 v10, v10, 4, v11
	ds_add_u32 v10, v71
	s_or_b32 exec_lo, exec_lo, s8
	s_mov_b32 s8, exec_lo
	v_cmpx_lt_u32_e64 v32, v0
	s_cbranch_execnz .LBB1333_207
.LBB1333_200:                           ;   in Loop: Header=BB1333_182 Depth=2
	s_or_b32 exec_lo, exec_lo, s8
	s_delay_alu instid0(SALU_CYCLE_1)
	s_mov_b32 s8, exec_lo
	v_cmpx_lt_u32_e64 v33, v0
	s_cbranch_execz .LBB1333_208
.LBB1333_201:                           ;   in Loop: Header=BB1333_182 Depth=2
	v_cmp_gt_i32_e32 vcc_lo, 0, v4
	s_waitcnt vmcnt(5)
	v_lshlrev_b32_e32 v11, 2, v35
	v_cndmask_b32_e64 v10, 0x7fffffff, 0, vcc_lo
	s_delay_alu instid0(VALU_DEP_1) | instskip(NEXT) | instid1(VALU_DEP_1)
	v_xor_b32_e32 v10, v10, v4
	v_cmp_ne_u32_e32 vcc_lo, 0x80000000, v10
	v_cndmask_b32_e32 v10, 0x7fffffff, v10, vcc_lo
	s_delay_alu instid0(VALU_DEP_1) | instskip(NEXT) | instid1(VALU_DEP_1)
	v_lshrrev_b32_e32 v10, s30, v10
	v_and_b32_e32 v10, s31, v10
	s_delay_alu instid0(VALU_DEP_1) | instskip(SKIP_2) | instid1(SALU_CYCLE_1)
	v_lshl_or_b32 v10, v10, 4, v11
	ds_add_u32 v10, v71
	s_or_b32 exec_lo, exec_lo, s8
	s_mov_b32 s8, exec_lo
	v_cmpx_lt_u32_e64 v34, v0
	s_cbranch_execnz .LBB1333_209
.LBB1333_202:                           ;   in Loop: Header=BB1333_182 Depth=2
	s_or_b32 exec_lo, exec_lo, s8
	s_delay_alu instid0(SALU_CYCLE_1)
	s_mov_b32 s8, exec_lo
	v_cmpx_lt_u32_e64 v38, v0
	s_cbranch_execz .LBB1333_210
.LBB1333_203:                           ;   in Loop: Header=BB1333_182 Depth=2
	v_cmp_gt_i32_e32 vcc_lo, 0, v6
	s_waitcnt vmcnt(5)
	v_lshlrev_b32_e32 v11, 2, v35
	v_cndmask_b32_e64 v10, 0x7fffffff, 0, vcc_lo
	s_delay_alu instid0(VALU_DEP_1) | instskip(NEXT) | instid1(VALU_DEP_1)
	v_xor_b32_e32 v10, v10, v6
	v_cmp_ne_u32_e32 vcc_lo, 0x80000000, v10
	v_cndmask_b32_e32 v10, 0x7fffffff, v10, vcc_lo
	s_delay_alu instid0(VALU_DEP_1) | instskip(NEXT) | instid1(VALU_DEP_1)
	v_lshrrev_b32_e32 v10, s30, v10
	v_and_b32_e32 v10, s31, v10
	s_delay_alu instid0(VALU_DEP_1) | instskip(SKIP_2) | instid1(SALU_CYCLE_1)
	v_lshl_or_b32 v10, v10, 4, v11
	ds_add_u32 v10, v71
	s_or_b32 exec_lo, exec_lo, s8
	s_mov_b32 s8, exec_lo
	v_cmpx_lt_u32_e64 v39, v0
	s_cbranch_execnz .LBB1333_211
.LBB1333_204:                           ;   in Loop: Header=BB1333_182 Depth=2
	s_or_b32 exec_lo, exec_lo, s8
	s_delay_alu instid0(SALU_CYCLE_1)
	s_mov_b32 s8, exec_lo
	v_cmpx_lt_u32_e64 v40, v0
	s_cbranch_execz .LBB1333_212
.LBB1333_205:                           ;   in Loop: Header=BB1333_182 Depth=2
	v_cmp_gt_i32_e32 vcc_lo, 0, v8
	s_waitcnt vmcnt(5)
	v_lshlrev_b32_e32 v11, 2, v35
	v_cndmask_b32_e64 v10, 0x7fffffff, 0, vcc_lo
	s_delay_alu instid0(VALU_DEP_1) | instskip(NEXT) | instid1(VALU_DEP_1)
	v_xor_b32_e32 v10, v10, v8
	v_cmp_ne_u32_e32 vcc_lo, 0x80000000, v10
	v_cndmask_b32_e32 v10, 0x7fffffff, v10, vcc_lo
	s_delay_alu instid0(VALU_DEP_1) | instskip(NEXT) | instid1(VALU_DEP_1)
	v_lshrrev_b32_e32 v10, s30, v10
	v_and_b32_e32 v10, s31, v10
	s_delay_alu instid0(VALU_DEP_1) | instskip(SKIP_2) | instid1(SALU_CYCLE_1)
	v_lshl_or_b32 v10, v10, 4, v11
	ds_add_u32 v10, v71
	s_or_b32 exec_lo, exec_lo, s8
	s_mov_b32 s8, exec_lo
	v_cmpx_lt_u32_e64 v42, v0
	s_cbranch_execz .LBB1333_181
	s_branch .LBB1333_213
.LBB1333_206:                           ;   in Loop: Header=BB1333_182 Depth=2
	s_or_b32 exec_lo, exec_lo, s8
	s_delay_alu instid0(SALU_CYCLE_1)
	s_mov_b32 s8, exec_lo
	v_cmpx_lt_u32_e64 v32, v0
	s_cbranch_execz .LBB1333_200
.LBB1333_207:                           ;   in Loop: Header=BB1333_182 Depth=2
	v_cmp_gt_i32_e32 vcc_lo, 0, v3
	s_waitcnt vmcnt(5)
	v_lshlrev_b32_e32 v11, 2, v35
	v_cndmask_b32_e64 v10, 0x7fffffff, 0, vcc_lo
	s_delay_alu instid0(VALU_DEP_1) | instskip(NEXT) | instid1(VALU_DEP_1)
	v_xor_b32_e32 v10, v10, v3
	v_cmp_ne_u32_e32 vcc_lo, 0x80000000, v10
	v_cndmask_b32_e32 v10, 0x7fffffff, v10, vcc_lo
	s_delay_alu instid0(VALU_DEP_1) | instskip(NEXT) | instid1(VALU_DEP_1)
	v_lshrrev_b32_e32 v10, s30, v10
	v_and_b32_e32 v10, s31, v10
	s_delay_alu instid0(VALU_DEP_1) | instskip(SKIP_2) | instid1(SALU_CYCLE_1)
	v_lshl_or_b32 v10, v10, 4, v11
	ds_add_u32 v10, v71
	s_or_b32 exec_lo, exec_lo, s8
	s_mov_b32 s8, exec_lo
	v_cmpx_lt_u32_e64 v33, v0
	s_cbranch_execnz .LBB1333_201
.LBB1333_208:                           ;   in Loop: Header=BB1333_182 Depth=2
	s_or_b32 exec_lo, exec_lo, s8
	s_delay_alu instid0(SALU_CYCLE_1)
	s_mov_b32 s8, exec_lo
	v_cmpx_lt_u32_e64 v34, v0
	s_cbranch_execz .LBB1333_202
.LBB1333_209:                           ;   in Loop: Header=BB1333_182 Depth=2
	v_cmp_gt_i32_e32 vcc_lo, 0, v5
	s_waitcnt vmcnt(5)
	v_lshlrev_b32_e32 v11, 2, v35
	v_cndmask_b32_e64 v10, 0x7fffffff, 0, vcc_lo
	s_delay_alu instid0(VALU_DEP_1) | instskip(NEXT) | instid1(VALU_DEP_1)
	v_xor_b32_e32 v10, v10, v5
	v_cmp_ne_u32_e32 vcc_lo, 0x80000000, v10
	v_cndmask_b32_e32 v10, 0x7fffffff, v10, vcc_lo
	s_delay_alu instid0(VALU_DEP_1) | instskip(NEXT) | instid1(VALU_DEP_1)
	v_lshrrev_b32_e32 v10, s30, v10
	v_and_b32_e32 v10, s31, v10
	s_delay_alu instid0(VALU_DEP_1) | instskip(SKIP_2) | instid1(SALU_CYCLE_1)
	v_lshl_or_b32 v10, v10, 4, v11
	ds_add_u32 v10, v71
	s_or_b32 exec_lo, exec_lo, s8
	s_mov_b32 s8, exec_lo
	v_cmpx_lt_u32_e64 v38, v0
	s_cbranch_execnz .LBB1333_203
.LBB1333_210:                           ;   in Loop: Header=BB1333_182 Depth=2
	s_or_b32 exec_lo, exec_lo, s8
	s_delay_alu instid0(SALU_CYCLE_1)
	s_mov_b32 s8, exec_lo
	v_cmpx_lt_u32_e64 v39, v0
	s_cbranch_execz .LBB1333_204
.LBB1333_211:                           ;   in Loop: Header=BB1333_182 Depth=2
	v_cmp_gt_i32_e32 vcc_lo, 0, v7
	s_waitcnt vmcnt(5)
	v_lshlrev_b32_e32 v11, 2, v35
	v_cndmask_b32_e64 v10, 0x7fffffff, 0, vcc_lo
	s_delay_alu instid0(VALU_DEP_1) | instskip(NEXT) | instid1(VALU_DEP_1)
	v_xor_b32_e32 v10, v10, v7
	v_cmp_ne_u32_e32 vcc_lo, 0x80000000, v10
	v_cndmask_b32_e32 v10, 0x7fffffff, v10, vcc_lo
	s_delay_alu instid0(VALU_DEP_1) | instskip(NEXT) | instid1(VALU_DEP_1)
	v_lshrrev_b32_e32 v10, s30, v10
	v_and_b32_e32 v10, s31, v10
	s_delay_alu instid0(VALU_DEP_1) | instskip(SKIP_2) | instid1(SALU_CYCLE_1)
	v_lshl_or_b32 v10, v10, 4, v11
	ds_add_u32 v10, v71
	s_or_b32 exec_lo, exec_lo, s8
	s_mov_b32 s8, exec_lo
	v_cmpx_lt_u32_e64 v40, v0
	s_cbranch_execnz .LBB1333_205
.LBB1333_212:                           ;   in Loop: Header=BB1333_182 Depth=2
	s_or_b32 exec_lo, exec_lo, s8
	s_delay_alu instid0(SALU_CYCLE_1)
	s_mov_b32 s8, exec_lo
	v_cmpx_lt_u32_e64 v42, v0
	s_cbranch_execz .LBB1333_181
.LBB1333_213:                           ;   in Loop: Header=BB1333_182 Depth=2
	v_cmp_gt_i32_e32 vcc_lo, 0, v9
	s_waitcnt vmcnt(6)
	v_lshlrev_b32_e32 v10, 2, v35
	v_cndmask_b32_e64 v0, 0x7fffffff, 0, vcc_lo
	s_delay_alu instid0(VALU_DEP_1) | instskip(NEXT) | instid1(VALU_DEP_1)
	v_xor_b32_e32 v0, v0, v9
	v_cmp_ne_u32_e32 vcc_lo, 0x80000000, v0
	v_cndmask_b32_e32 v0, 0x7fffffff, v0, vcc_lo
	s_delay_alu instid0(VALU_DEP_1) | instskip(NEXT) | instid1(VALU_DEP_1)
	v_lshrrev_b32_e32 v0, s30, v0
	v_and_b32_e32 v0, s31, v0
	s_delay_alu instid0(VALU_DEP_1)
	v_lshl_or_b32 v0, v0, 4, v10
	ds_add_u32 v0, v71
	s_branch .LBB1333_181
.LBB1333_214:                           ;   in Loop: Header=BB1333_182 Depth=2
	s_or_b32 exec_lo, exec_lo, s11
	s_delay_alu instid0(SALU_CYCLE_1)
	s_mov_b32 s11, exec_lo
	v_cmpx_gt_u32_e64 s1, v32
	s_cbranch_execz .LBB1333_188
.LBB1333_215:                           ;   in Loop: Header=BB1333_182 Depth=2
	v_lshlrev_b32_e32 v0, 2, v18
	global_load_b32 v3, v0, s[8:9] offset:1024
	s_or_b32 exec_lo, exec_lo, s11
	s_delay_alu instid0(SALU_CYCLE_1)
	s_mov_b32 s11, exec_lo
	v_cmpx_gt_u32_e64 s1, v33
	s_cbranch_execnz .LBB1333_189
.LBB1333_216:                           ;   in Loop: Header=BB1333_182 Depth=2
	s_or_b32 exec_lo, exec_lo, s11
	s_delay_alu instid0(SALU_CYCLE_1)
	s_mov_b32 s11, exec_lo
	v_cmpx_gt_u32_e64 s1, v34
	s_cbranch_execz .LBB1333_190
.LBB1333_217:                           ;   in Loop: Header=BB1333_182 Depth=2
	v_lshlrev_b32_e32 v0, 2, v18
	global_load_b32 v5, v0, s[8:9] offset:3072
	s_or_b32 exec_lo, exec_lo, s11
	s_delay_alu instid0(SALU_CYCLE_1)
	s_mov_b32 s11, exec_lo
	v_cmpx_gt_u32_e64 s1, v38
	s_cbranch_execnz .LBB1333_191
.LBB1333_218:                           ;   in Loop: Header=BB1333_182 Depth=2
	s_or_b32 exec_lo, exec_lo, s11
	s_delay_alu instid0(SALU_CYCLE_1)
	s_mov_b32 s11, exec_lo
	v_cmpx_gt_u32_e64 s1, v39
	s_cbranch_execz .LBB1333_192
.LBB1333_219:                           ;   in Loop: Header=BB1333_182 Depth=2
	v_lshlrev_b32_e32 v0, 2, v39
	global_load_b32 v7, v0, s[8:9]
	s_or_b32 exec_lo, exec_lo, s11
	s_delay_alu instid0(SALU_CYCLE_1)
	s_mov_b32 s11, exec_lo
	v_cmpx_gt_u32_e64 s1, v40
	s_cbranch_execz .LBB1333_194
	s_branch .LBB1333_193
.LBB1333_220:                           ;   in Loop: Header=BB1333_12 Depth=1
	v_mov_b32_e32 v0, 0
	s_waitcnt vmcnt(0) lgkmcnt(0)
	s_barrier
	buffer_gl0_inv
	s_and_saveexec_b32 s1, s2
	s_cbranch_execz .LBB1333_222
; %bb.221:                              ;   in Loop: Header=BB1333_12 Depth=1
	ds_load_2addr_b64 v[2:5], v43 offset1:1
	s_waitcnt lgkmcnt(0)
	v_add_nc_u32_e32 v0, v3, v2
	s_delay_alu instid0(VALU_DEP_1)
	v_add3_u32 v0, v0, v4, v5
.LBB1333_222:                           ;   in Loop: Header=BB1333_12 Depth=1
	s_or_b32 exec_lo, exec_lo, s1
	v_and_b32_e32 v2, 15, v72
	s_delay_alu instid0(VALU_DEP_2) | instskip(SKIP_1) | instid1(VALU_DEP_3)
	v_mov_b32_dpp v3, v0 row_shr:1 row_mask:0xf bank_mask:0xf
	v_and_b32_e32 v4, 16, v72
	v_cmp_eq_u32_e64 s1, 0, v2
	v_cmp_lt_u32_e64 s7, 1, v2
	v_cmp_lt_u32_e64 s8, 3, v2
	;; [unrolled: 1-line block ×3, first 2 shown]
	v_cmp_eq_u32_e64 s10, 0, v4
	v_cndmask_b32_e64 v3, v3, 0, s1
	s_delay_alu instid0(VALU_DEP_1) | instskip(NEXT) | instid1(VALU_DEP_1)
	v_add_nc_u32_e32 v0, v3, v0
	v_mov_b32_dpp v3, v0 row_shr:2 row_mask:0xf bank_mask:0xf
	s_delay_alu instid0(VALU_DEP_1) | instskip(NEXT) | instid1(VALU_DEP_1)
	v_cndmask_b32_e64 v3, 0, v3, s7
	v_add_nc_u32_e32 v0, v0, v3
	s_delay_alu instid0(VALU_DEP_1) | instskip(NEXT) | instid1(VALU_DEP_1)
	v_mov_b32_dpp v3, v0 row_shr:4 row_mask:0xf bank_mask:0xf
	v_cndmask_b32_e64 v3, 0, v3, s8
	s_delay_alu instid0(VALU_DEP_1) | instskip(NEXT) | instid1(VALU_DEP_1)
	v_add_nc_u32_e32 v0, v0, v3
	v_mov_b32_dpp v3, v0 row_shr:8 row_mask:0xf bank_mask:0xf
	s_delay_alu instid0(VALU_DEP_1) | instskip(SKIP_1) | instid1(VALU_DEP_2)
	v_cndmask_b32_e64 v2, 0, v3, s9
	v_bfe_i32 v3, v72, 4, 1
	v_add_nc_u32_e32 v0, v0, v2
	ds_swizzle_b32 v2, v0 offset:swizzle(BROADCAST,32,15)
	s_waitcnt lgkmcnt(0)
	v_and_b32_e32 v2, v3, v2
	s_delay_alu instid0(VALU_DEP_1)
	v_add_nc_u32_e32 v2, v0, v2
	s_and_saveexec_b32 s11, s3
	s_cbranch_execz .LBB1333_224
; %bb.223:                              ;   in Loop: Header=BB1333_12 Depth=1
	ds_store_b32 v44, v2
.LBB1333_224:                           ;   in Loop: Header=BB1333_12 Depth=1
	s_or_b32 exec_lo, exec_lo, s11
	v_and_b32_e32 v0, 7, v72
	s_waitcnt lgkmcnt(0)
	s_barrier
	buffer_gl0_inv
	s_and_saveexec_b32 s11, s4
	s_cbranch_execz .LBB1333_226
; %bb.225:                              ;   in Loop: Header=BB1333_12 Depth=1
	ds_load_b32 v3, v45
	v_cmp_ne_u32_e32 vcc_lo, 0, v0
	s_waitcnt lgkmcnt(0)
	v_mov_b32_dpp v4, v3 row_shr:1 row_mask:0xf bank_mask:0xf
	s_delay_alu instid0(VALU_DEP_1) | instskip(SKIP_1) | instid1(VALU_DEP_2)
	v_cndmask_b32_e32 v4, 0, v4, vcc_lo
	v_cmp_lt_u32_e32 vcc_lo, 1, v0
	v_add_nc_u32_e32 v3, v4, v3
	s_delay_alu instid0(VALU_DEP_1) | instskip(NEXT) | instid1(VALU_DEP_1)
	v_mov_b32_dpp v4, v3 row_shr:2 row_mask:0xf bank_mask:0xf
	v_cndmask_b32_e32 v4, 0, v4, vcc_lo
	v_cmp_lt_u32_e32 vcc_lo, 3, v0
	s_delay_alu instid0(VALU_DEP_2) | instskip(NEXT) | instid1(VALU_DEP_1)
	v_add_nc_u32_e32 v3, v3, v4
	v_mov_b32_dpp v4, v3 row_shr:4 row_mask:0xf bank_mask:0xf
	s_delay_alu instid0(VALU_DEP_1) | instskip(NEXT) | instid1(VALU_DEP_1)
	v_cndmask_b32_e32 v4, 0, v4, vcc_lo
	v_add_nc_u32_e32 v3, v3, v4
	ds_store_b32 v45, v3
.LBB1333_226:                           ;   in Loop: Header=BB1333_12 Depth=1
	s_or_b32 exec_lo, exec_lo, s11
	v_mov_b32_e32 v3, 0
	s_waitcnt lgkmcnt(0)
	s_barrier
	buffer_gl0_inv
	s_and_saveexec_b32 s11, s5
	s_cbranch_execz .LBB1333_228
; %bb.227:                              ;   in Loop: Header=BB1333_12 Depth=1
	ds_load_b32 v3, v46
.LBB1333_228:                           ;   in Loop: Header=BB1333_12 Depth=1
	s_or_b32 exec_lo, exec_lo, s11
	v_add_nc_u32_e32 v4, -1, v72
	s_waitcnt lgkmcnt(0)
	v_add_nc_u32_e32 v2, v3, v2
	v_cmp_eq_u32_e64 s11, 0, v72
	s_barrier
	v_cmp_gt_i32_e32 vcc_lo, 0, v4
	buffer_gl0_inv
	v_cndmask_b32_e32 v4, v4, v72, vcc_lo
	s_delay_alu instid0(VALU_DEP_1)
	v_lshlrev_b32_e32 v73, 2, v4
	ds_bpermute_b32 v2, v73, v2
	s_and_saveexec_b32 s12, s2
	s_cbranch_execz .LBB1333_230
; %bb.229:                              ;   in Loop: Header=BB1333_12 Depth=1
	s_waitcnt lgkmcnt(0)
	v_cndmask_b32_e64 v2, v2, v3, s11
	s_delay_alu instid0(VALU_DEP_1)
	v_add_nc_u32_e32 v2, s27, v2
	ds_store_b32 v31, v2
.LBB1333_230:                           ;   in Loop: Header=BB1333_12 Depth=1
	s_or_b32 exec_lo, exec_lo, s12
	s_load_b64 s[12:13], s[28:29], 0x0
	v_lshlrev_b32_e32 v3, 3, v72
	v_cmp_lt_u32_e64 s14, 3, v0
	v_or_b32_e32 v74, v72, v47
	s_mov_b32 s50, s35
	s_mov_b32 s24, s27
	v_add_co_u32 v75, vcc_lo, v61, v3
	v_add_co_ci_u32_e32 v76, vcc_lo, 0, v62, vcc_lo
	v_or_b32_e32 v77, 32, v74
	v_or_b32_e32 v78, 64, v74
	;; [unrolled: 1-line block ×7, first 2 shown]
                                        ; implicit-def: $vgpr10_vgpr11
                                        ; implicit-def: $vgpr12_vgpr13
                                        ; implicit-def: $vgpr14_vgpr15
                                        ; implicit-def: $vgpr16_vgpr17
                                        ; implicit-def: $vgpr21_vgpr22
                                        ; implicit-def: $vgpr23_vgpr24
                                        ; implicit-def: $vgpr25_vgpr26
                                        ; implicit-def: $vgpr27_vgpr28
                                        ; implicit-def: $vgpr89
                                        ; implicit-def: $vgpr90
                                        ; implicit-def: $vgpr91
                                        ; implicit-def: $vgpr92
                                        ; implicit-def: $vgpr93
                                        ; implicit-def: $vgpr94
                                        ; implicit-def: $vgpr95
                                        ; implicit-def: $vgpr96
	s_waitcnt lgkmcnt(0)
	s_cmp_lt_u32 s15, s13
	s_cselect_b32 s13, 14, 20
	s_delay_alu instid0(SALU_CYCLE_1) | instskip(SKIP_4) | instid1(SALU_CYCLE_1)
	s_add_u32 s16, s28, s13
	s_addc_u32 s17, s29, 0
	s_cmp_lt_u32 s26, s12
	global_load_u16 v2, v20, s[16:17]
	s_cselect_b32 s12, 12, 18
	s_add_u32 s12, s28, s12
	s_addc_u32 s13, s29, 0
	global_load_u16 v4, v20, s[12:13]
	v_cmp_eq_u32_e64 s12, 0, v0
	v_cmp_lt_u32_e64 s13, 1, v0
	v_lshlrev_b32_e32 v0, 2, v72
	s_delay_alu instid0(VALU_DEP_1) | instskip(SKIP_1) | instid1(VALU_DEP_2)
	v_add_co_u32 v84, vcc_lo, v63, v0
	v_add_co_ci_u32_e32 v85, vcc_lo, 0, v64, vcc_lo
	v_add_co_u32 v87, vcc_lo, 0x380, v84
	s_delay_alu instid0(VALU_DEP_2) | instskip(SKIP_3) | instid1(VALU_DEP_1)
	v_add_co_ci_u32_e32 v88, vcc_lo, 0, v85, vcc_lo
	s_waitcnt vmcnt(1)
	v_mad_u32_u24 v5, v48, v2, v50
	s_waitcnt vmcnt(0)
	v_mad_u64_u32 v[2:3], null, v5, v4, v[18:19]
	s_delay_alu instid0(VALU_DEP_1)
	v_lshrrev_b32_e32 v86, 5, v2
	s_branch .LBB1333_232
.LBB1333_231:                           ;   in Loop: Header=BB1333_232 Depth=2
	s_or_b32 exec_lo, exec_lo, s16
	s_addk_i32 s50, 0xf800
	s_cmp_lt_u32 s51, s33
	s_mov_b32 s24, s51
	s_cbranch_scc0 .LBB1333_344
.LBB1333_232:                           ;   Parent Loop BB1333_12 Depth=1
                                        ; =>  This Inner Loop Header: Depth=2
	s_add_i32 s51, s24, 0x800
	s_delay_alu instid0(SALU_CYCLE_1)
	s_cmp_gt_u32 s51, s33
	s_cbranch_scc1 .LBB1333_234
; %bb.233:                              ;   in Loop: Header=BB1333_232 Depth=2
	s_mov_b32 s17, 0
	s_mov_b32 s16, s24
	s_delay_alu instid0(SALU_CYCLE_1) | instskip(NEXT) | instid1(SALU_CYCLE_1)
	s_lshl_b64 s[18:19], s[16:17], 2
	v_add_co_u32 v8, vcc_lo, v84, s18
	v_add_co_ci_u32_e32 v9, vcc_lo, s19, v85, vcc_lo
	s_mov_b32 s19, -1
	s_movk_i32 s18, 0x800
	s_clause 0x6
	global_load_b32 v2, v[8:9], off
	global_load_b32 v3, v[8:9], off offset:128
	global_load_b32 v4, v[8:9], off offset:256
	;; [unrolled: 1-line block ×6, first 2 shown]
	s_cbranch_execz .LBB1333_235
	s_branch .LBB1333_244
.LBB1333_234:                           ;   in Loop: Header=BB1333_232 Depth=2
	s_mov_b32 s17, -1
	s_mov_b32 s19, 0
                                        ; implicit-def: $sgpr18
                                        ; implicit-def: $vgpr2_vgpr3_vgpr4_vgpr5_vgpr6_vgpr7_vgpr8_vgpr9
.LBB1333_235:                           ;   in Loop: Header=BB1333_232 Depth=2
	s_lshl_b64 s[16:17], s[24:25], 2
	s_mov_b32 s37, s36
	v_add_co_u32 v29, vcc_lo, v84, s16
	s_mov_b32 s38, s36
	s_mov_b32 s39, s36
	;; [unrolled: 1-line block ×6, first 2 shown]
	s_waitcnt vmcnt(0)
	v_dual_mov_b32 v2, s36 :: v_dual_mov_b32 v3, s37
	v_add_co_ci_u32_e32 v30, vcc_lo, s17, v85, vcc_lo
	v_dual_mov_b32 v4, s38 :: v_dual_mov_b32 v5, s39
	v_dual_mov_b32 v6, s40 :: v_dual_mov_b32 v7, s41
	;; [unrolled: 1-line block ×3, first 2 shown]
	s_mov_b32 s16, exec_lo
	v_cmpx_gt_u32_e64 s50, v74
	s_cbranch_execz .LBB1333_338
; %bb.236:                              ;   in Loop: Header=BB1333_232 Depth=2
	global_load_b32 v0, v[29:30], off
	v_mov_b32_e32 v7, v1
	v_mov_b32_e32 v2, v1
	;; [unrolled: 1-line block ×6, first 2 shown]
	s_waitcnt vmcnt(0)
	v_mov_b32_e32 v9, v7
	s_delay_alu instid0(VALU_DEP_2)
	v_dual_mov_b32 v8, v6 :: v_dual_mov_b32 v7, v5
	v_mov_b32_e32 v6, v4
	v_mov_b32_e32 v5, v3
	;; [unrolled: 1-line block ×5, first 2 shown]
	s_or_b32 exec_lo, exec_lo, s16
	s_delay_alu instid0(SALU_CYCLE_1)
	s_mov_b32 s16, exec_lo
	v_cmpx_gt_u32_e64 s50, v77
	s_cbranch_execnz .LBB1333_339
.LBB1333_237:                           ;   in Loop: Header=BB1333_232 Depth=2
	s_or_b32 exec_lo, exec_lo, s16
	s_delay_alu instid0(SALU_CYCLE_1)
	s_mov_b32 s16, exec_lo
	v_cmpx_gt_u32_e64 s50, v78
	s_cbranch_execz .LBB1333_340
.LBB1333_238:                           ;   in Loop: Header=BB1333_232 Depth=2
	global_load_b32 v4, v[29:30], off offset:256
	s_or_b32 exec_lo, exec_lo, s16
	s_delay_alu instid0(SALU_CYCLE_1)
	s_mov_b32 s16, exec_lo
	v_cmpx_gt_u32_e64 s50, v79
	s_cbranch_execnz .LBB1333_341
.LBB1333_239:                           ;   in Loop: Header=BB1333_232 Depth=2
	s_or_b32 exec_lo, exec_lo, s16
	s_delay_alu instid0(SALU_CYCLE_1)
	s_mov_b32 s16, exec_lo
	v_cmpx_gt_u32_e64 s50, v80
	s_cbranch_execz .LBB1333_342
.LBB1333_240:                           ;   in Loop: Header=BB1333_232 Depth=2
	global_load_b32 v6, v[29:30], off offset:512
	s_or_b32 exec_lo, exec_lo, s16
	s_delay_alu instid0(SALU_CYCLE_1)
	s_mov_b32 s16, exec_lo
	v_cmpx_gt_u32_e64 s50, v81
	s_cbranch_execnz .LBB1333_343
.LBB1333_241:                           ;   in Loop: Header=BB1333_232 Depth=2
	s_or_b32 exec_lo, exec_lo, s16
	s_delay_alu instid0(SALU_CYCLE_1)
	s_mov_b32 s16, exec_lo
	v_cmpx_gt_u32_e64 s50, v82
	s_cbranch_execz .LBB1333_243
.LBB1333_242:                           ;   in Loop: Header=BB1333_232 Depth=2
	global_load_b32 v8, v[29:30], off offset:768
.LBB1333_243:                           ;   in Loop: Header=BB1333_232 Depth=2
	s_or_b32 exec_lo, exec_lo, s16
	v_cmp_gt_u32_e64 s19, s50, v83
	s_sub_i32 s18, s33, s24
	s_mov_b64 s[16:17], s[24:25]
.LBB1333_244:                           ;   in Loop: Header=BB1333_232 Depth=2
	v_mov_b32_e32 v0, s50
	s_delay_alu instid0(VALU_DEP_2)
	s_and_saveexec_b32 s20, s19
	s_cbranch_execz .LBB1333_246
; %bb.245:                              ;   in Loop: Header=BB1333_232 Depth=2
	s_lshl_b64 s[16:17], s[16:17], 2
	v_mov_b32_e32 v0, s18
	v_add_co_u32 v29, vcc_lo, v87, s16
	v_add_co_ci_u32_e32 v30, vcc_lo, s17, v88, vcc_lo
	global_load_b32 v9, v[29:30], off
.LBB1333_246:                           ;   in Loop: Header=BB1333_232 Depth=2
	s_or_b32 exec_lo, exec_lo, s20
	s_waitcnt vmcnt(6)
	v_cmp_gt_i32_e32 vcc_lo, 0, v2
	ds_store_b32 v49, v20 offset:1056
	ds_store_2addr_b32 v51, v20, v20 offset0:1 offset1:2
	ds_store_2addr_b32 v51, v20, v20 offset0:3 offset1:4
	ds_store_2addr_b32 v51, v20, v20 offset0:5 offset1:6
	ds_store_2addr_b32 v51, v20, v20 offset0:7 offset1:8
	s_waitcnt vmcnt(0) lgkmcnt(0)
	s_barrier
	v_cndmask_b32_e64 v19, 0x7fffffff, 0, vcc_lo
	buffer_gl0_inv
	; wave barrier
	v_xor_b32_e32 v19, v19, v2
	s_delay_alu instid0(VALU_DEP_1) | instskip(SKIP_1) | instid1(VALU_DEP_1)
	v_cmp_ne_u32_e32 vcc_lo, 0x80000000, v19
	v_cndmask_b32_e32 v2, 0x7fffffff, v19, vcc_lo
	v_lshrrev_b32_e32 v2, s30, v2
	s_delay_alu instid0(VALU_DEP_1) | instskip(NEXT) | instid1(VALU_DEP_1)
	v_and_b32_e32 v30, s31, v2
	v_lshlrev_b32_e32 v29, 30, v30
	v_and_b32_e32 v2, 1, v30
	v_lshlrev_b32_e32 v97, 29, v30
	v_lshlrev_b32_e32 v98, 28, v30
	;; [unrolled: 1-line block ×3, first 2 shown]
	v_not_b32_e32 v103, v29
	v_add_co_u32 v2, s16, v2, -1
	s_delay_alu instid0(VALU_DEP_1)
	v_cndmask_b32_e64 v99, 0, 1, s16
	v_cmp_gt_i32_e64 s16, 0, v29
	v_not_b32_e32 v29, v97
	v_ashrrev_i32_e32 v103, 31, v103
	v_lshlrev_b32_e32 v101, 26, v30
	v_cmp_ne_u32_e32 vcc_lo, 0, v99
	v_lshlrev_b32_e32 v102, 25, v30
	v_ashrrev_i32_e32 v29, 31, v29
	v_xor_b32_e32 v103, s16, v103
	v_cmp_gt_i32_e64 s16, 0, v98
	v_xor_b32_e32 v2, vcc_lo, v2
	v_cmp_gt_i32_e32 vcc_lo, 0, v97
	v_not_b32_e32 v97, v98
	v_not_b32_e32 v98, v100
	v_lshlrev_b32_e32 v99, 24, v30
	v_and_b32_e32 v2, exec_lo, v2
	v_xor_b32_e32 v29, vcc_lo, v29
	v_ashrrev_i32_e32 v97, 31, v97
	v_cmp_gt_i32_e32 vcc_lo, 0, v100
	v_not_b32_e32 v100, v101
	v_and_b32_e32 v2, v2, v103
	v_ashrrev_i32_e32 v98, 31, v98
	v_xor_b32_e32 v97, s16, v97
	v_cmp_gt_i32_e64 s16, 0, v101
	v_ashrrev_i32_e32 v100, 31, v100
	v_and_b32_e32 v2, v2, v29
	v_not_b32_e32 v29, v102
	v_xor_b32_e32 v98, vcc_lo, v98
	v_cmp_gt_i32_e32 vcc_lo, 0, v102
	v_xor_b32_e32 v100, s16, v100
	v_and_b32_e32 v2, v2, v97
	v_not_b32_e32 v97, v99
	v_ashrrev_i32_e32 v29, 31, v29
	v_cmp_gt_i32_e64 s16, 0, v99
	v_mad_u32_u24 v30, v30, 9, v86
	v_and_b32_e32 v2, v2, v98
	v_ashrrev_i32_e32 v97, 31, v97
	v_xor_b32_e32 v29, vcc_lo, v29
	s_delay_alu instid0(VALU_DEP_3) | instskip(NEXT) | instid1(VALU_DEP_3)
	v_and_b32_e32 v2, v2, v100
	v_xor_b32_e32 v97, s16, v97
	s_delay_alu instid0(VALU_DEP_2) | instskip(NEXT) | instid1(VALU_DEP_1)
	v_and_b32_e32 v2, v2, v29
	v_and_b32_e32 v2, v2, v97
	v_lshl_add_u32 v97, v30, 2, 0x420
	s_delay_alu instid0(VALU_DEP_2) | instskip(SKIP_1) | instid1(VALU_DEP_2)
	v_mbcnt_lo_u32_b32 v29, v2, 0
	v_cmp_ne_u32_e64 s16, 0, v2
	v_cmp_eq_u32_e32 vcc_lo, 0, v29
	s_delay_alu instid0(VALU_DEP_2) | instskip(NEXT) | instid1(SALU_CYCLE_1)
	s_and_b32 s17, s16, vcc_lo
	s_and_saveexec_b32 s16, s17
	s_cbranch_execz .LBB1333_248
; %bb.247:                              ;   in Loop: Header=BB1333_232 Depth=2
	v_bcnt_u32_b32 v2, v2, 0
	ds_store_b32 v97, v2
.LBB1333_248:                           ;   in Loop: Header=BB1333_232 Depth=2
	s_or_b32 exec_lo, exec_lo, s16
	v_cmp_gt_i32_e32 vcc_lo, 0, v3
	; wave barrier
	v_cndmask_b32_e64 v2, 0x7fffffff, 0, vcc_lo
	s_delay_alu instid0(VALU_DEP_1) | instskip(NEXT) | instid1(VALU_DEP_1)
	v_xor_b32_e32 v30, v2, v3
	v_cmp_ne_u32_e32 vcc_lo, 0x80000000, v30
	v_cndmask_b32_e32 v2, 0x7fffffff, v30, vcc_lo
	s_delay_alu instid0(VALU_DEP_1) | instskip(NEXT) | instid1(VALU_DEP_1)
	v_lshrrev_b32_e32 v2, s30, v2
	v_and_b32_e32 v2, s31, v2
	s_delay_alu instid0(VALU_DEP_1)
	v_and_b32_e32 v3, 1, v2
	v_lshlrev_b32_e32 v98, 30, v2
	v_lshlrev_b32_e32 v99, 29, v2
	;; [unrolled: 1-line block ×4, first 2 shown]
	v_add_co_u32 v3, s16, v3, -1
	s_delay_alu instid0(VALU_DEP_1)
	v_cndmask_b32_e64 v101, 0, 1, s16
	v_not_b32_e32 v105, v98
	v_cmp_gt_i32_e64 s16, 0, v98
	v_not_b32_e32 v98, v99
	v_lshlrev_b32_e32 v103, 26, v2
	v_cmp_ne_u32_e32 vcc_lo, 0, v101
	v_ashrrev_i32_e32 v105, 31, v105
	v_lshlrev_b32_e32 v104, 25, v2
	v_ashrrev_i32_e32 v98, 31, v98
	v_lshlrev_b32_e32 v101, 24, v2
	v_xor_b32_e32 v3, vcc_lo, v3
	v_cmp_gt_i32_e32 vcc_lo, 0, v99
	v_not_b32_e32 v99, v100
	v_xor_b32_e32 v105, s16, v105
	v_cmp_gt_i32_e64 s16, 0, v100
	v_and_b32_e32 v3, exec_lo, v3
	v_not_b32_e32 v100, v102
	v_ashrrev_i32_e32 v99, 31, v99
	v_xor_b32_e32 v98, vcc_lo, v98
	v_cmp_gt_i32_e32 vcc_lo, 0, v102
	v_and_b32_e32 v3, v3, v105
	v_not_b32_e32 v102, v103
	v_ashrrev_i32_e32 v100, 31, v100
	v_xor_b32_e32 v99, s16, v99
	v_cmp_gt_i32_e64 s16, 0, v103
	v_and_b32_e32 v3, v3, v98
	v_not_b32_e32 v98, v104
	v_ashrrev_i32_e32 v102, 31, v102
	v_xor_b32_e32 v100, vcc_lo, v100
	v_cmp_gt_i32_e32 vcc_lo, 0, v104
	v_and_b32_e32 v3, v3, v99
	v_not_b32_e32 v99, v101
	v_ashrrev_i32_e32 v98, 31, v98
	v_xor_b32_e32 v102, s16, v102
	v_mul_u32_u24_e32 v2, 9, v2
	v_and_b32_e32 v3, v3, v100
	v_cmp_gt_i32_e64 s16, 0, v101
	v_ashrrev_i32_e32 v99, 31, v99
	v_xor_b32_e32 v98, vcc_lo, v98
	v_add_lshl_u32 v100, v2, v86, 2
	v_and_b32_e32 v3, v3, v102
	s_delay_alu instid0(VALU_DEP_4) | instskip(NEXT) | instid1(VALU_DEP_3)
	v_xor_b32_e32 v2, s16, v99
	v_add_nc_u32_e32 v101, 0x420, v100
	s_delay_alu instid0(VALU_DEP_3) | instskip(SKIP_2) | instid1(VALU_DEP_1)
	v_and_b32_e32 v3, v3, v98
	ds_load_b32 v98, v100 offset:1056
	; wave barrier
	v_and_b32_e32 v2, v3, v2
	v_mbcnt_lo_u32_b32 v99, v2, 0
	v_cmp_ne_u32_e64 s16, 0, v2
	s_delay_alu instid0(VALU_DEP_2) | instskip(NEXT) | instid1(VALU_DEP_2)
	v_cmp_eq_u32_e32 vcc_lo, 0, v99
	s_and_b32 s17, s16, vcc_lo
	s_delay_alu instid0(SALU_CYCLE_1)
	s_and_saveexec_b32 s16, s17
	s_cbranch_execz .LBB1333_250
; %bb.249:                              ;   in Loop: Header=BB1333_232 Depth=2
	s_waitcnt lgkmcnt(0)
	v_bcnt_u32_b32 v2, v2, v98
	ds_store_b32 v101, v2
.LBB1333_250:                           ;   in Loop: Header=BB1333_232 Depth=2
	s_or_b32 exec_lo, exec_lo, s16
	v_cmp_gt_i32_e32 vcc_lo, 0, v4
	; wave barrier
	v_cndmask_b32_e64 v2, 0x7fffffff, 0, vcc_lo
	s_delay_alu instid0(VALU_DEP_1) | instskip(NEXT) | instid1(VALU_DEP_1)
	v_xor_b32_e32 v100, v2, v4
	v_cmp_ne_u32_e32 vcc_lo, 0x80000000, v100
	v_cndmask_b32_e32 v2, 0x7fffffff, v100, vcc_lo
	s_delay_alu instid0(VALU_DEP_1) | instskip(NEXT) | instid1(VALU_DEP_1)
	v_lshrrev_b32_e32 v2, s30, v2
	v_and_b32_e32 v2, s31, v2
	s_delay_alu instid0(VALU_DEP_1)
	v_and_b32_e32 v3, 1, v2
	v_lshlrev_b32_e32 v4, 30, v2
	v_lshlrev_b32_e32 v102, 29, v2
	v_lshlrev_b32_e32 v103, 28, v2
	v_lshlrev_b32_e32 v105, 27, v2
	v_add_co_u32 v3, s16, v3, -1
	s_delay_alu instid0(VALU_DEP_1)
	v_cndmask_b32_e64 v104, 0, 1, s16
	v_not_b32_e32 v108, v4
	v_cmp_gt_i32_e64 s16, 0, v4
	v_not_b32_e32 v4, v102
	v_lshlrev_b32_e32 v106, 26, v2
	v_cmp_ne_u32_e32 vcc_lo, 0, v104
	v_ashrrev_i32_e32 v108, 31, v108
	v_lshlrev_b32_e32 v107, 25, v2
	v_ashrrev_i32_e32 v4, 31, v4
	v_lshlrev_b32_e32 v104, 24, v2
	v_xor_b32_e32 v3, vcc_lo, v3
	v_cmp_gt_i32_e32 vcc_lo, 0, v102
	v_not_b32_e32 v102, v103
	v_xor_b32_e32 v108, s16, v108
	v_cmp_gt_i32_e64 s16, 0, v103
	v_and_b32_e32 v3, exec_lo, v3
	v_not_b32_e32 v103, v105
	v_ashrrev_i32_e32 v102, 31, v102
	v_xor_b32_e32 v4, vcc_lo, v4
	v_cmp_gt_i32_e32 vcc_lo, 0, v105
	v_and_b32_e32 v3, v3, v108
	v_not_b32_e32 v105, v106
	v_ashrrev_i32_e32 v103, 31, v103
	v_xor_b32_e32 v102, s16, v102
	v_cmp_gt_i32_e64 s16, 0, v106
	v_and_b32_e32 v3, v3, v4
	v_not_b32_e32 v4, v107
	v_ashrrev_i32_e32 v105, 31, v105
	v_xor_b32_e32 v103, vcc_lo, v103
	v_cmp_gt_i32_e32 vcc_lo, 0, v107
	v_and_b32_e32 v3, v3, v102
	v_not_b32_e32 v102, v104
	v_ashrrev_i32_e32 v4, 31, v4
	v_xor_b32_e32 v105, s16, v105
	v_mul_u32_u24_e32 v2, 9, v2
	v_and_b32_e32 v3, v3, v103
	v_cmp_gt_i32_e64 s16, 0, v104
	v_ashrrev_i32_e32 v102, 31, v102
	v_xor_b32_e32 v4, vcc_lo, v4
	v_add_lshl_u32 v103, v2, v86, 2
	v_and_b32_e32 v3, v3, v105
	s_delay_alu instid0(VALU_DEP_4) | instskip(SKIP_3) | instid1(VALU_DEP_2)
	v_xor_b32_e32 v2, s16, v102
	ds_load_b32 v102, v103 offset:1056
	v_and_b32_e32 v3, v3, v4
	v_add_nc_u32_e32 v105, 0x420, v103
	; wave barrier
	v_and_b32_e32 v2, v3, v2
	s_delay_alu instid0(VALU_DEP_1) | instskip(SKIP_1) | instid1(VALU_DEP_2)
	v_mbcnt_lo_u32_b32 v104, v2, 0
	v_cmp_ne_u32_e64 s16, 0, v2
	v_cmp_eq_u32_e32 vcc_lo, 0, v104
	s_delay_alu instid0(VALU_DEP_2) | instskip(NEXT) | instid1(SALU_CYCLE_1)
	s_and_b32 s17, s16, vcc_lo
	s_and_saveexec_b32 s16, s17
	s_cbranch_execz .LBB1333_252
; %bb.251:                              ;   in Loop: Header=BB1333_232 Depth=2
	s_waitcnt lgkmcnt(0)
	v_bcnt_u32_b32 v2, v2, v102
	ds_store_b32 v105, v2
.LBB1333_252:                           ;   in Loop: Header=BB1333_232 Depth=2
	s_or_b32 exec_lo, exec_lo, s16
	v_cmp_gt_i32_e32 vcc_lo, 0, v5
	; wave barrier
	v_cndmask_b32_e64 v2, 0x7fffffff, 0, vcc_lo
	s_delay_alu instid0(VALU_DEP_1) | instskip(NEXT) | instid1(VALU_DEP_1)
	v_xor_b32_e32 v103, v2, v5
	v_cmp_ne_u32_e32 vcc_lo, 0x80000000, v103
	v_cndmask_b32_e32 v2, 0x7fffffff, v103, vcc_lo
	s_delay_alu instid0(VALU_DEP_1) | instskip(NEXT) | instid1(VALU_DEP_1)
	v_lshrrev_b32_e32 v2, s30, v2
	v_and_b32_e32 v2, s31, v2
	s_delay_alu instid0(VALU_DEP_1)
	v_and_b32_e32 v3, 1, v2
	v_lshlrev_b32_e32 v4, 30, v2
	v_lshlrev_b32_e32 v5, 29, v2
	;; [unrolled: 1-line block ×4, first 2 shown]
	v_add_co_u32 v3, s16, v3, -1
	s_delay_alu instid0(VALU_DEP_1)
	v_cndmask_b32_e64 v107, 0, 1, s16
	v_not_b32_e32 v111, v4
	v_cmp_gt_i32_e64 s16, 0, v4
	v_not_b32_e32 v4, v5
	v_lshlrev_b32_e32 v109, 26, v2
	v_cmp_ne_u32_e32 vcc_lo, 0, v107
	v_ashrrev_i32_e32 v111, 31, v111
	v_lshlrev_b32_e32 v110, 25, v2
	v_ashrrev_i32_e32 v4, 31, v4
	v_lshlrev_b32_e32 v107, 24, v2
	v_xor_b32_e32 v3, vcc_lo, v3
	v_cmp_gt_i32_e32 vcc_lo, 0, v5
	v_not_b32_e32 v5, v106
	v_xor_b32_e32 v111, s16, v111
	v_cmp_gt_i32_e64 s16, 0, v106
	v_and_b32_e32 v3, exec_lo, v3
	v_not_b32_e32 v106, v108
	v_ashrrev_i32_e32 v5, 31, v5
	v_xor_b32_e32 v4, vcc_lo, v4
	v_cmp_gt_i32_e32 vcc_lo, 0, v108
	v_and_b32_e32 v3, v3, v111
	v_not_b32_e32 v108, v109
	v_ashrrev_i32_e32 v106, 31, v106
	v_xor_b32_e32 v5, s16, v5
	v_cmp_gt_i32_e64 s16, 0, v109
	v_and_b32_e32 v3, v3, v4
	v_not_b32_e32 v4, v110
	v_ashrrev_i32_e32 v108, 31, v108
	v_xor_b32_e32 v106, vcc_lo, v106
	v_cmp_gt_i32_e32 vcc_lo, 0, v110
	v_and_b32_e32 v3, v3, v5
	v_not_b32_e32 v5, v107
	v_ashrrev_i32_e32 v4, 31, v4
	v_xor_b32_e32 v108, s16, v108
	v_mul_u32_u24_e32 v2, 9, v2
	v_and_b32_e32 v3, v3, v106
	v_cmp_gt_i32_e64 s16, 0, v107
	v_ashrrev_i32_e32 v5, 31, v5
	v_xor_b32_e32 v4, vcc_lo, v4
	v_add_lshl_u32 v106, v2, v86, 2
	v_and_b32_e32 v3, v3, v108
	s_delay_alu instid0(VALU_DEP_4) | instskip(SKIP_3) | instid1(VALU_DEP_2)
	v_xor_b32_e32 v2, s16, v5
	ds_load_b32 v107, v106 offset:1056
	v_and_b32_e32 v3, v3, v4
	v_add_nc_u32_e32 v109, 0x420, v106
	; wave barrier
	v_and_b32_e32 v2, v3, v2
	s_delay_alu instid0(VALU_DEP_1) | instskip(SKIP_1) | instid1(VALU_DEP_2)
	v_mbcnt_lo_u32_b32 v108, v2, 0
	v_cmp_ne_u32_e64 s16, 0, v2
	v_cmp_eq_u32_e32 vcc_lo, 0, v108
	s_delay_alu instid0(VALU_DEP_2) | instskip(NEXT) | instid1(SALU_CYCLE_1)
	s_and_b32 s17, s16, vcc_lo
	s_and_saveexec_b32 s16, s17
	s_cbranch_execz .LBB1333_254
; %bb.253:                              ;   in Loop: Header=BB1333_232 Depth=2
	s_waitcnt lgkmcnt(0)
	v_bcnt_u32_b32 v2, v2, v107
	ds_store_b32 v109, v2
.LBB1333_254:                           ;   in Loop: Header=BB1333_232 Depth=2
	s_or_b32 exec_lo, exec_lo, s16
	v_cmp_gt_i32_e32 vcc_lo, 0, v6
	; wave barrier
	v_cndmask_b32_e64 v2, 0x7fffffff, 0, vcc_lo
	s_delay_alu instid0(VALU_DEP_1) | instskip(NEXT) | instid1(VALU_DEP_1)
	v_xor_b32_e32 v106, v2, v6
	v_cmp_ne_u32_e32 vcc_lo, 0x80000000, v106
	v_cndmask_b32_e32 v2, 0x7fffffff, v106, vcc_lo
	s_delay_alu instid0(VALU_DEP_1) | instskip(NEXT) | instid1(VALU_DEP_1)
	v_lshrrev_b32_e32 v2, s30, v2
	v_and_b32_e32 v2, s31, v2
	s_delay_alu instid0(VALU_DEP_1)
	v_and_b32_e32 v3, 1, v2
	v_lshlrev_b32_e32 v4, 30, v2
	v_lshlrev_b32_e32 v5, 29, v2
	;; [unrolled: 1-line block ×4, first 2 shown]
	v_add_co_u32 v3, s16, v3, -1
	s_delay_alu instid0(VALU_DEP_1)
	v_cndmask_b32_e64 v110, 0, 1, s16
	v_not_b32_e32 v114, v4
	v_cmp_gt_i32_e64 s16, 0, v4
	v_not_b32_e32 v4, v5
	v_lshlrev_b32_e32 v112, 26, v2
	v_cmp_ne_u32_e32 vcc_lo, 0, v110
	v_ashrrev_i32_e32 v114, 31, v114
	v_lshlrev_b32_e32 v113, 25, v2
	v_ashrrev_i32_e32 v4, 31, v4
	v_lshlrev_b32_e32 v110, 24, v2
	v_xor_b32_e32 v3, vcc_lo, v3
	v_cmp_gt_i32_e32 vcc_lo, 0, v5
	v_not_b32_e32 v5, v6
	v_xor_b32_e32 v114, s16, v114
	v_cmp_gt_i32_e64 s16, 0, v6
	v_and_b32_e32 v3, exec_lo, v3
	v_not_b32_e32 v6, v111
	v_ashrrev_i32_e32 v5, 31, v5
	v_xor_b32_e32 v4, vcc_lo, v4
	v_cmp_gt_i32_e32 vcc_lo, 0, v111
	v_and_b32_e32 v3, v3, v114
	v_not_b32_e32 v111, v112
	v_ashrrev_i32_e32 v6, 31, v6
	v_xor_b32_e32 v5, s16, v5
	v_cmp_gt_i32_e64 s16, 0, v112
	v_and_b32_e32 v3, v3, v4
	v_not_b32_e32 v4, v113
	v_ashrrev_i32_e32 v111, 31, v111
	v_xor_b32_e32 v6, vcc_lo, v6
	v_cmp_gt_i32_e32 vcc_lo, 0, v113
	v_and_b32_e32 v3, v3, v5
	v_not_b32_e32 v5, v110
	v_ashrrev_i32_e32 v4, 31, v4
	v_xor_b32_e32 v111, s16, v111
	v_mul_u32_u24_e32 v2, 9, v2
	v_and_b32_e32 v3, v3, v6
	v_cmp_gt_i32_e64 s16, 0, v110
	v_ashrrev_i32_e32 v5, 31, v5
	v_xor_b32_e32 v4, vcc_lo, v4
	v_add_lshl_u32 v6, v2, v86, 2
	v_and_b32_e32 v3, v3, v111
	s_delay_alu instid0(VALU_DEP_4) | instskip(SKIP_3) | instid1(VALU_DEP_2)
	v_xor_b32_e32 v2, s16, v5
	ds_load_b32 v111, v6 offset:1056
	v_and_b32_e32 v3, v3, v4
	v_add_nc_u32_e32 v113, 0x420, v6
	; wave barrier
	v_and_b32_e32 v2, v3, v2
	s_delay_alu instid0(VALU_DEP_1) | instskip(SKIP_1) | instid1(VALU_DEP_2)
	v_mbcnt_lo_u32_b32 v112, v2, 0
	v_cmp_ne_u32_e64 s16, 0, v2
	v_cmp_eq_u32_e32 vcc_lo, 0, v112
	s_delay_alu instid0(VALU_DEP_2) | instskip(NEXT) | instid1(SALU_CYCLE_1)
	s_and_b32 s17, s16, vcc_lo
	s_and_saveexec_b32 s16, s17
	s_cbranch_execz .LBB1333_256
; %bb.255:                              ;   in Loop: Header=BB1333_232 Depth=2
	s_waitcnt lgkmcnt(0)
	v_bcnt_u32_b32 v2, v2, v111
	ds_store_b32 v113, v2
.LBB1333_256:                           ;   in Loop: Header=BB1333_232 Depth=2
	s_or_b32 exec_lo, exec_lo, s16
	v_cmp_gt_i32_e32 vcc_lo, 0, v7
	; wave barrier
	v_cndmask_b32_e64 v2, 0x7fffffff, 0, vcc_lo
	s_delay_alu instid0(VALU_DEP_1) | instskip(NEXT) | instid1(VALU_DEP_1)
	v_xor_b32_e32 v110, v2, v7
	v_cmp_ne_u32_e32 vcc_lo, 0x80000000, v110
	v_cndmask_b32_e32 v2, 0x7fffffff, v110, vcc_lo
	s_delay_alu instid0(VALU_DEP_1) | instskip(NEXT) | instid1(VALU_DEP_1)
	v_lshrrev_b32_e32 v2, s30, v2
	v_and_b32_e32 v2, s31, v2
	s_delay_alu instid0(VALU_DEP_1)
	v_and_b32_e32 v3, 1, v2
	v_lshlrev_b32_e32 v4, 30, v2
	v_lshlrev_b32_e32 v5, 29, v2
	;; [unrolled: 1-line block ×4, first 2 shown]
	v_add_co_u32 v3, s16, v3, -1
	s_delay_alu instid0(VALU_DEP_1)
	v_cndmask_b32_e64 v7, 0, 1, s16
	v_not_b32_e32 v117, v4
	v_cmp_gt_i32_e64 s16, 0, v4
	v_not_b32_e32 v4, v5
	v_lshlrev_b32_e32 v115, 26, v2
	v_cmp_ne_u32_e32 vcc_lo, 0, v7
	v_ashrrev_i32_e32 v117, 31, v117
	v_lshlrev_b32_e32 v116, 25, v2
	v_ashrrev_i32_e32 v4, 31, v4
	v_lshlrev_b32_e32 v7, 24, v2
	v_xor_b32_e32 v3, vcc_lo, v3
	v_cmp_gt_i32_e32 vcc_lo, 0, v5
	v_not_b32_e32 v5, v6
	v_xor_b32_e32 v117, s16, v117
	v_cmp_gt_i32_e64 s16, 0, v6
	v_and_b32_e32 v3, exec_lo, v3
	v_not_b32_e32 v6, v114
	v_ashrrev_i32_e32 v5, 31, v5
	v_xor_b32_e32 v4, vcc_lo, v4
	v_cmp_gt_i32_e32 vcc_lo, 0, v114
	v_and_b32_e32 v3, v3, v117
	v_not_b32_e32 v114, v115
	v_ashrrev_i32_e32 v6, 31, v6
	v_xor_b32_e32 v5, s16, v5
	v_cmp_gt_i32_e64 s16, 0, v115
	v_and_b32_e32 v3, v3, v4
	v_not_b32_e32 v4, v116
	v_ashrrev_i32_e32 v114, 31, v114
	v_xor_b32_e32 v6, vcc_lo, v6
	v_cmp_gt_i32_e32 vcc_lo, 0, v116
	v_and_b32_e32 v3, v3, v5
	v_not_b32_e32 v5, v7
	v_ashrrev_i32_e32 v4, 31, v4
	v_xor_b32_e32 v114, s16, v114
	v_mul_u32_u24_e32 v2, 9, v2
	v_and_b32_e32 v3, v3, v6
	v_cmp_gt_i32_e64 s16, 0, v7
	v_ashrrev_i32_e32 v5, 31, v5
	v_xor_b32_e32 v4, vcc_lo, v4
	v_add_lshl_u32 v6, v2, v86, 2
	v_and_b32_e32 v3, v3, v114
	s_delay_alu instid0(VALU_DEP_4) | instskip(SKIP_3) | instid1(VALU_DEP_2)
	v_xor_b32_e32 v2, s16, v5
	ds_load_b32 v115, v6 offset:1056
	v_and_b32_e32 v3, v3, v4
	v_add_nc_u32_e32 v117, 0x420, v6
	; wave barrier
	v_and_b32_e32 v2, v3, v2
	s_delay_alu instid0(VALU_DEP_1) | instskip(SKIP_1) | instid1(VALU_DEP_2)
	v_mbcnt_lo_u32_b32 v116, v2, 0
	v_cmp_ne_u32_e64 s16, 0, v2
	v_cmp_eq_u32_e32 vcc_lo, 0, v116
	s_delay_alu instid0(VALU_DEP_2) | instskip(NEXT) | instid1(SALU_CYCLE_1)
	s_and_b32 s17, s16, vcc_lo
	s_and_saveexec_b32 s16, s17
	s_cbranch_execz .LBB1333_258
; %bb.257:                              ;   in Loop: Header=BB1333_232 Depth=2
	s_waitcnt lgkmcnt(0)
	v_bcnt_u32_b32 v2, v2, v115
	ds_store_b32 v117, v2
.LBB1333_258:                           ;   in Loop: Header=BB1333_232 Depth=2
	s_or_b32 exec_lo, exec_lo, s16
	v_cmp_gt_i32_e32 vcc_lo, 0, v8
	; wave barrier
	v_cndmask_b32_e64 v2, 0x7fffffff, 0, vcc_lo
	s_delay_alu instid0(VALU_DEP_1) | instskip(NEXT) | instid1(VALU_DEP_1)
	v_xor_b32_e32 v114, v2, v8
	v_cmp_ne_u32_e32 vcc_lo, 0x80000000, v114
	v_cndmask_b32_e32 v2, 0x7fffffff, v114, vcc_lo
	s_delay_alu instid0(VALU_DEP_1) | instskip(NEXT) | instid1(VALU_DEP_1)
	v_lshrrev_b32_e32 v2, s30, v2
	v_and_b32_e32 v2, s31, v2
	s_delay_alu instid0(VALU_DEP_1)
	v_and_b32_e32 v3, 1, v2
	v_lshlrev_b32_e32 v4, 30, v2
	v_lshlrev_b32_e32 v5, 29, v2
	;; [unrolled: 1-line block ×4, first 2 shown]
	v_add_co_u32 v3, s16, v3, -1
	s_delay_alu instid0(VALU_DEP_1)
	v_cndmask_b32_e64 v7, 0, 1, s16
	v_not_b32_e32 v120, v4
	v_cmp_gt_i32_e64 s16, 0, v4
	v_not_b32_e32 v4, v5
	v_lshlrev_b32_e32 v118, 26, v2
	v_cmp_ne_u32_e32 vcc_lo, 0, v7
	v_ashrrev_i32_e32 v120, 31, v120
	v_lshlrev_b32_e32 v119, 25, v2
	v_ashrrev_i32_e32 v4, 31, v4
	v_lshlrev_b32_e32 v7, 24, v2
	v_xor_b32_e32 v3, vcc_lo, v3
	v_cmp_gt_i32_e32 vcc_lo, 0, v5
	v_not_b32_e32 v5, v6
	v_xor_b32_e32 v120, s16, v120
	v_cmp_gt_i32_e64 s16, 0, v6
	v_and_b32_e32 v3, exec_lo, v3
	v_not_b32_e32 v6, v8
	v_ashrrev_i32_e32 v5, 31, v5
	v_xor_b32_e32 v4, vcc_lo, v4
	v_cmp_gt_i32_e32 vcc_lo, 0, v8
	v_and_b32_e32 v3, v3, v120
	v_not_b32_e32 v8, v118
	v_ashrrev_i32_e32 v6, 31, v6
	v_xor_b32_e32 v5, s16, v5
	v_cmp_gt_i32_e64 s16, 0, v118
	v_and_b32_e32 v3, v3, v4
	v_not_b32_e32 v4, v119
	v_ashrrev_i32_e32 v8, 31, v8
	v_xor_b32_e32 v6, vcc_lo, v6
	v_cmp_gt_i32_e32 vcc_lo, 0, v119
	v_and_b32_e32 v3, v3, v5
	v_not_b32_e32 v5, v7
	v_ashrrev_i32_e32 v4, 31, v4
	v_xor_b32_e32 v8, s16, v8
	v_mul_u32_u24_e32 v2, 9, v2
	v_and_b32_e32 v3, v3, v6
	v_cmp_gt_i32_e64 s16, 0, v7
	v_ashrrev_i32_e32 v5, 31, v5
	v_xor_b32_e32 v4, vcc_lo, v4
	v_add_lshl_u32 v6, v2, v86, 2
	v_and_b32_e32 v3, v3, v8
	s_delay_alu instid0(VALU_DEP_4) | instskip(SKIP_3) | instid1(VALU_DEP_2)
	v_xor_b32_e32 v2, s16, v5
	ds_load_b32 v119, v6 offset:1056
	v_and_b32_e32 v3, v3, v4
	v_add_nc_u32_e32 v121, 0x420, v6
	; wave barrier
	v_and_b32_e32 v2, v3, v2
	s_delay_alu instid0(VALU_DEP_1) | instskip(SKIP_1) | instid1(VALU_DEP_2)
	v_mbcnt_lo_u32_b32 v120, v2, 0
	v_cmp_ne_u32_e64 s16, 0, v2
	v_cmp_eq_u32_e32 vcc_lo, 0, v120
	s_delay_alu instid0(VALU_DEP_2) | instskip(NEXT) | instid1(SALU_CYCLE_1)
	s_and_b32 s17, s16, vcc_lo
	s_and_saveexec_b32 s16, s17
	s_cbranch_execz .LBB1333_260
; %bb.259:                              ;   in Loop: Header=BB1333_232 Depth=2
	s_waitcnt lgkmcnt(0)
	v_bcnt_u32_b32 v2, v2, v119
	ds_store_b32 v121, v2
.LBB1333_260:                           ;   in Loop: Header=BB1333_232 Depth=2
	s_or_b32 exec_lo, exec_lo, s16
	v_cmp_gt_i32_e32 vcc_lo, 0, v9
	; wave barrier
	v_cndmask_b32_e64 v2, 0x7fffffff, 0, vcc_lo
	s_delay_alu instid0(VALU_DEP_1) | instskip(NEXT) | instid1(VALU_DEP_1)
	v_xor_b32_e32 v118, v2, v9
	v_cmp_ne_u32_e32 vcc_lo, 0x80000000, v118
	v_cndmask_b32_e32 v2, 0x7fffffff, v118, vcc_lo
	s_delay_alu instid0(VALU_DEP_1) | instskip(NEXT) | instid1(VALU_DEP_1)
	v_lshrrev_b32_e32 v2, s30, v2
	v_and_b32_e32 v2, s31, v2
	s_delay_alu instid0(VALU_DEP_1)
	v_and_b32_e32 v3, 1, v2
	v_lshlrev_b32_e32 v4, 30, v2
	v_lshlrev_b32_e32 v5, 29, v2
	;; [unrolled: 1-line block ×4, first 2 shown]
	v_add_co_u32 v3, s16, v3, -1
	s_delay_alu instid0(VALU_DEP_1)
	v_cndmask_b32_e64 v7, 0, 1, s16
	v_not_b32_e32 v123, v4
	v_cmp_gt_i32_e64 s16, 0, v4
	v_not_b32_e32 v4, v5
	v_lshlrev_b32_e32 v9, 26, v2
	v_cmp_ne_u32_e32 vcc_lo, 0, v7
	v_ashrrev_i32_e32 v123, 31, v123
	v_lshlrev_b32_e32 v122, 25, v2
	v_ashrrev_i32_e32 v4, 31, v4
	v_lshlrev_b32_e32 v7, 24, v2
	v_xor_b32_e32 v3, vcc_lo, v3
	v_cmp_gt_i32_e32 vcc_lo, 0, v5
	v_not_b32_e32 v5, v6
	v_xor_b32_e32 v123, s16, v123
	v_cmp_gt_i32_e64 s16, 0, v6
	v_and_b32_e32 v3, exec_lo, v3
	v_not_b32_e32 v6, v8
	v_ashrrev_i32_e32 v5, 31, v5
	v_xor_b32_e32 v4, vcc_lo, v4
	v_cmp_gt_i32_e32 vcc_lo, 0, v8
	v_and_b32_e32 v3, v3, v123
	v_not_b32_e32 v8, v9
	v_ashrrev_i32_e32 v6, 31, v6
	v_xor_b32_e32 v5, s16, v5
	v_cmp_gt_i32_e64 s16, 0, v9
	v_and_b32_e32 v3, v3, v4
	v_not_b32_e32 v4, v122
	v_ashrrev_i32_e32 v8, 31, v8
	v_xor_b32_e32 v6, vcc_lo, v6
	v_cmp_gt_i32_e32 vcc_lo, 0, v122
	v_and_b32_e32 v3, v3, v5
	v_not_b32_e32 v5, v7
	v_ashrrev_i32_e32 v4, 31, v4
	v_xor_b32_e32 v8, s16, v8
	v_mul_u32_u24_e32 v2, 9, v2
	v_and_b32_e32 v3, v3, v6
	v_cmp_gt_i32_e64 s16, 0, v7
	v_ashrrev_i32_e32 v5, 31, v5
	v_xor_b32_e32 v4, vcc_lo, v4
	v_add_lshl_u32 v6, v2, v86, 2
	v_and_b32_e32 v3, v3, v8
	s_delay_alu instid0(VALU_DEP_4) | instskip(SKIP_3) | instid1(VALU_DEP_2)
	v_xor_b32_e32 v2, s16, v5
	ds_load_b32 v122, v6 offset:1056
	v_and_b32_e32 v3, v3, v4
	v_add_nc_u32_e32 v124, 0x420, v6
	; wave barrier
	v_and_b32_e32 v2, v3, v2
	s_delay_alu instid0(VALU_DEP_1) | instskip(SKIP_1) | instid1(VALU_DEP_2)
	v_mbcnt_lo_u32_b32 v123, v2, 0
	v_cmp_ne_u32_e64 s16, 0, v2
	v_cmp_eq_u32_e32 vcc_lo, 0, v123
	s_delay_alu instid0(VALU_DEP_2) | instskip(NEXT) | instid1(SALU_CYCLE_1)
	s_and_b32 s17, s16, vcc_lo
	s_and_saveexec_b32 s16, s17
	s_cbranch_execz .LBB1333_262
; %bb.261:                              ;   in Loop: Header=BB1333_232 Depth=2
	s_waitcnt lgkmcnt(0)
	v_bcnt_u32_b32 v2, v2, v122
	ds_store_b32 v124, v2
.LBB1333_262:                           ;   in Loop: Header=BB1333_232 Depth=2
	s_or_b32 exec_lo, exec_lo, s16
	; wave barrier
	s_waitcnt lgkmcnt(0)
	s_barrier
	buffer_gl0_inv
	ds_load_b32 v125, v49 offset:1056
	ds_load_2addr_b32 v[8:9], v51 offset0:1 offset1:2
	ds_load_2addr_b32 v[6:7], v51 offset0:3 offset1:4
	;; [unrolled: 1-line block ×4, first 2 shown]
	s_waitcnt lgkmcnt(3)
	v_add3_u32 v126, v8, v125, v9
	s_waitcnt lgkmcnt(2)
	s_delay_alu instid0(VALU_DEP_1) | instskip(SKIP_1) | instid1(VALU_DEP_1)
	v_add3_u32 v126, v126, v6, v7
	s_waitcnt lgkmcnt(1)
	v_add3_u32 v126, v126, v2, v3
	s_waitcnt lgkmcnt(0)
	s_delay_alu instid0(VALU_DEP_1) | instskip(NEXT) | instid1(VALU_DEP_1)
	v_add3_u32 v5, v126, v4, v5
	v_mov_b32_dpp v126, v5 row_shr:1 row_mask:0xf bank_mask:0xf
	s_delay_alu instid0(VALU_DEP_1) | instskip(NEXT) | instid1(VALU_DEP_1)
	v_cndmask_b32_e64 v126, v126, 0, s1
	v_add_nc_u32_e32 v5, v126, v5
	s_delay_alu instid0(VALU_DEP_1) | instskip(NEXT) | instid1(VALU_DEP_1)
	v_mov_b32_dpp v126, v5 row_shr:2 row_mask:0xf bank_mask:0xf
	v_cndmask_b32_e64 v126, 0, v126, s7
	s_delay_alu instid0(VALU_DEP_1) | instskip(NEXT) | instid1(VALU_DEP_1)
	v_add_nc_u32_e32 v5, v5, v126
	v_mov_b32_dpp v126, v5 row_shr:4 row_mask:0xf bank_mask:0xf
	s_delay_alu instid0(VALU_DEP_1) | instskip(NEXT) | instid1(VALU_DEP_1)
	v_cndmask_b32_e64 v126, 0, v126, s8
	v_add_nc_u32_e32 v5, v5, v126
	s_delay_alu instid0(VALU_DEP_1) | instskip(NEXT) | instid1(VALU_DEP_1)
	v_mov_b32_dpp v126, v5 row_shr:8 row_mask:0xf bank_mask:0xf
	v_cndmask_b32_e64 v126, 0, v126, s9
	s_delay_alu instid0(VALU_DEP_1) | instskip(SKIP_3) | instid1(VALU_DEP_1)
	v_add_nc_u32_e32 v5, v5, v126
	ds_swizzle_b32 v126, v5 offset:swizzle(BROADCAST,32,15)
	s_waitcnt lgkmcnt(0)
	v_cndmask_b32_e64 v126, v126, 0, s10
	v_add_nc_u32_e32 v5, v5, v126
	s_and_saveexec_b32 s16, s3
	s_cbranch_execz .LBB1333_264
; %bb.263:                              ;   in Loop: Header=BB1333_232 Depth=2
	ds_store_b32 v41, v5 offset:1024
.LBB1333_264:                           ;   in Loop: Header=BB1333_232 Depth=2
	s_or_b32 exec_lo, exec_lo, s16
	s_waitcnt lgkmcnt(0)
	s_barrier
	buffer_gl0_inv
	s_and_saveexec_b32 s16, s4
	s_cbranch_execz .LBB1333_266
; %bb.265:                              ;   in Loop: Header=BB1333_232 Depth=2
	ds_load_b32 v126, v52 offset:1024
	s_waitcnt lgkmcnt(0)
	v_mov_b32_dpp v127, v126 row_shr:1 row_mask:0xf bank_mask:0xf
	s_delay_alu instid0(VALU_DEP_1) | instskip(NEXT) | instid1(VALU_DEP_1)
	v_cndmask_b32_e64 v127, v127, 0, s12
	v_add_nc_u32_e32 v126, v127, v126
	s_delay_alu instid0(VALU_DEP_1) | instskip(NEXT) | instid1(VALU_DEP_1)
	v_mov_b32_dpp v127, v126 row_shr:2 row_mask:0xf bank_mask:0xf
	v_cndmask_b32_e64 v127, 0, v127, s13
	s_delay_alu instid0(VALU_DEP_1) | instskip(NEXT) | instid1(VALU_DEP_1)
	v_add_nc_u32_e32 v126, v126, v127
	v_mov_b32_dpp v127, v126 row_shr:4 row_mask:0xf bank_mask:0xf
	s_delay_alu instid0(VALU_DEP_1) | instskip(NEXT) | instid1(VALU_DEP_1)
	v_cndmask_b32_e64 v127, 0, v127, s14
	v_add_nc_u32_e32 v126, v126, v127
	ds_store_b32 v52, v126 offset:1024
.LBB1333_266:                           ;   in Loop: Header=BB1333_232 Depth=2
	s_or_b32 exec_lo, exec_lo, s16
	v_mov_b32_e32 v126, 0
	s_waitcnt lgkmcnt(0)
	s_barrier
	buffer_gl0_inv
	s_and_saveexec_b32 s16, s5
	s_cbranch_execz .LBB1333_268
; %bb.267:                              ;   in Loop: Header=BB1333_232 Depth=2
	ds_load_b32 v126, v41 offset:1020
.LBB1333_268:                           ;   in Loop: Header=BB1333_232 Depth=2
	s_or_b32 exec_lo, exec_lo, s16
	s_waitcnt lgkmcnt(0)
	v_add_nc_u32_e32 v5, v126, v5
	ds_bpermute_b32 v5, v73, v5
	s_waitcnt lgkmcnt(0)
	v_cndmask_b32_e64 v5, v5, v126, s11
	s_delay_alu instid0(VALU_DEP_1) | instskip(NEXT) | instid1(VALU_DEP_1)
	v_cndmask_b32_e64 v5, v5, 0, s0
	v_add_nc_u32_e32 v125, v5, v125
	s_delay_alu instid0(VALU_DEP_1) | instskip(NEXT) | instid1(VALU_DEP_1)
	v_add_nc_u32_e32 v8, v125, v8
	v_add_nc_u32_e32 v9, v8, v9
	s_delay_alu instid0(VALU_DEP_1) | instskip(NEXT) | instid1(VALU_DEP_1)
	v_add_nc_u32_e32 v6, v9, v6
	;; [unrolled: 3-line block ×3, first 2 shown]
	v_add_nc_u32_e32 v3, v2, v3
	s_delay_alu instid0(VALU_DEP_1)
	v_add_nc_u32_e32 v4, v3, v4
	ds_store_b32 v49, v5 offset:1056
	ds_store_2addr_b32 v51, v125, v8 offset0:1 offset1:2
	ds_store_2addr_b32 v51, v9, v6 offset0:3 offset1:4
	;; [unrolled: 1-line block ×4, first 2 shown]
	v_mov_b32_e32 v4, 0x800
	s_waitcnt lgkmcnt(0)
	s_barrier
	buffer_gl0_inv
	ds_load_b32 v5, v101
	ds_load_b32 v6, v105
	;; [unrolled: 1-line block ×8, first 2 shown]
	ds_load_b32 v101, v49 offset:1056
	s_and_saveexec_b32 s16, s6
	s_cbranch_execz .LBB1333_270
; %bb.269:                              ;   in Loop: Header=BB1333_232 Depth=2
	ds_load_b32 v4, v53 offset:1056
.LBB1333_270:                           ;   in Loop: Header=BB1333_232 Depth=2
	s_or_b32 exec_lo, exec_lo, s16
	s_waitcnt lgkmcnt(0)
	s_barrier
	buffer_gl0_inv
	s_and_saveexec_b32 s16, s2
	s_cbranch_execz .LBB1333_272
; %bb.271:                              ;   in Loop: Header=BB1333_232 Depth=2
	ds_load_b32 v105, v31
	s_waitcnt lgkmcnt(0)
	v_sub_nc_u32_e32 v101, v105, v101
	ds_store_b32 v31, v101
.LBB1333_272:                           ;   in Loop: Header=BB1333_232 Depth=2
	s_or_b32 exec_lo, exec_lo, s16
	v_add_nc_u32_e32 v101, v97, v29
	v_add3_u32 v29, v104, v102, v6
	v_add3_u32 v7, v108, v107, v7
	;; [unrolled: 1-line block ×5, first 2 shown]
	v_lshlrev_b32_e32 v98, 2, v101
	v_add3_u32 v8, v120, v119, v3
	v_lshlrev_b32_e32 v3, 2, v29
	v_add3_u32 v9, v123, v122, v2
	v_lshlrev_b32_e32 v2, 2, v7
	v_lshlrev_b32_e32 v99, 2, v97
	ds_store_b32 v98, v19 offset:1024
	ds_store_b32 v99, v30 offset:1024
	;; [unrolled: 1-line block ×3, first 2 shown]
	v_lshlrev_b32_e32 v3, 2, v6
	ds_store_b32 v2, v103 offset:1024
	v_lshlrev_b32_e32 v2, 2, v9
	v_cmp_lt_u32_e32 vcc_lo, v18, v0
	v_lshlrev_b32_e32 v19, 2, v5
	v_lshlrev_b32_e32 v30, 2, v8
	ds_store_b32 v3, v106 offset:1024
	ds_store_b32 v19, v110 offset:1024
	;; [unrolled: 1-line block ×4, first 2 shown]
	s_waitcnt lgkmcnt(0)
	s_barrier
	buffer_gl0_inv
	s_and_saveexec_b32 s17, vcc_lo
	s_cbranch_execz .LBB1333_280
; %bb.273:                              ;   in Loop: Header=BB1333_232 Depth=2
	ds_load_b32 v30, v52 offset:1024
	s_waitcnt lgkmcnt(0)
	v_cmp_ne_u32_e64 s16, 0x80000000, v30
	s_delay_alu instid0(VALU_DEP_1) | instskip(SKIP_1) | instid1(VALU_DEP_2)
	v_cndmask_b32_e64 v2, 0x7fffffff, v30, s16
	v_cmp_gt_i32_e64 s16, 0, v30
	v_lshrrev_b32_e32 v2, s30, v2
	s_delay_alu instid0(VALU_DEP_2) | instskip(NEXT) | instid1(VALU_DEP_2)
	v_cndmask_b32_e64 v98, 0x7fffffff, 0, s16
	v_and_b32_e32 v2, s31, v2
	s_delay_alu instid0(VALU_DEP_1) | instskip(SKIP_3) | instid1(VALU_DEP_1)
	v_lshlrev_b32_e32 v2, 2, v2
	ds_load_b32 v2, v2
	s_waitcnt lgkmcnt(0)
	v_add_nc_u32_e32 v19, v2, v18
	v_lshlrev_b64 v[2:3], 2, v[19:20]
	v_xor_b32_e32 v19, v98, v30
	s_delay_alu instid0(VALU_DEP_2) | instskip(NEXT) | instid1(VALU_DEP_1)
	v_add_co_u32 v2, s16, s48, v2
	v_add_co_ci_u32_e64 v3, s16, s49, v3, s16
	global_store_b32 v[2:3], v19, off
	s_or_b32 exec_lo, exec_lo, s17
	v_cmp_lt_u32_e64 s16, v32, v0
	s_delay_alu instid0(VALU_DEP_1)
	s_and_saveexec_b32 s18, s16
	s_cbranch_execnz .LBB1333_281
.LBB1333_274:                           ;   in Loop: Header=BB1333_232 Depth=2
	s_or_b32 exec_lo, exec_lo, s18
	v_cmp_lt_u32_e64 s17, v33, v0
	s_delay_alu instid0(VALU_DEP_1)
	s_and_saveexec_b32 s19, s17
	s_cbranch_execz .LBB1333_282
.LBB1333_275:                           ;   in Loop: Header=BB1333_232 Depth=2
	ds_load_b32 v30, v58 offset:2048
	s_waitcnt lgkmcnt(0)
	v_cmp_ne_u32_e64 s18, 0x80000000, v30
	s_delay_alu instid0(VALU_DEP_1) | instskip(SKIP_1) | instid1(VALU_DEP_2)
	v_cndmask_b32_e64 v2, 0x7fffffff, v30, s18
	v_cmp_gt_i32_e64 s18, 0, v30
	v_lshrrev_b32_e32 v2, s30, v2
	s_delay_alu instid0(VALU_DEP_2) | instskip(NEXT) | instid1(VALU_DEP_2)
	v_cndmask_b32_e64 v98, 0x7fffffff, 0, s18
	v_and_b32_e32 v2, s31, v2
	s_delay_alu instid0(VALU_DEP_1) | instskip(SKIP_3) | instid1(VALU_DEP_1)
	v_lshlrev_b32_e32 v2, 2, v2
	ds_load_b32 v2, v2
	s_waitcnt lgkmcnt(0)
	v_add_nc_u32_e32 v19, v2, v33
	v_lshlrev_b64 v[2:3], 2, v[19:20]
	v_xor_b32_e32 v19, v98, v30
	s_delay_alu instid0(VALU_DEP_2) | instskip(NEXT) | instid1(VALU_DEP_1)
	v_add_co_u32 v2, s18, s48, v2
	v_add_co_ci_u32_e64 v3, s18, s49, v3, s18
	global_store_b32 v[2:3], v19, off
	s_or_b32 exec_lo, exec_lo, s19
	v_cmp_lt_u32_e64 s18, v34, v0
	s_delay_alu instid0(VALU_DEP_1)
	s_and_saveexec_b32 s20, s18
	s_cbranch_execnz .LBB1333_283
.LBB1333_276:                           ;   in Loop: Header=BB1333_232 Depth=2
	s_or_b32 exec_lo, exec_lo, s20
	v_cmp_lt_u32_e64 s19, v38, v0
	s_delay_alu instid0(VALU_DEP_1)
	s_and_saveexec_b32 s21, s19
	s_cbranch_execz .LBB1333_284
.LBB1333_277:                           ;   in Loop: Header=BB1333_232 Depth=2
	ds_load_b32 v30, v58 offset:4096
	s_waitcnt lgkmcnt(0)
	v_cmp_ne_u32_e64 s20, 0x80000000, v30
	s_delay_alu instid0(VALU_DEP_1) | instskip(SKIP_1) | instid1(VALU_DEP_2)
	v_cndmask_b32_e64 v2, 0x7fffffff, v30, s20
	v_cmp_gt_i32_e64 s20, 0, v30
	v_lshrrev_b32_e32 v2, s30, v2
	s_delay_alu instid0(VALU_DEP_2) | instskip(NEXT) | instid1(VALU_DEP_2)
	v_cndmask_b32_e64 v98, 0x7fffffff, 0, s20
	v_and_b32_e32 v2, s31, v2
	s_delay_alu instid0(VALU_DEP_1) | instskip(SKIP_3) | instid1(VALU_DEP_1)
	v_lshlrev_b32_e32 v2, 2, v2
	ds_load_b32 v2, v2
	s_waitcnt lgkmcnt(0)
	v_add_nc_u32_e32 v19, v2, v38
	v_lshlrev_b64 v[2:3], 2, v[19:20]
	v_xor_b32_e32 v19, v98, v30
	s_delay_alu instid0(VALU_DEP_2) | instskip(NEXT) | instid1(VALU_DEP_1)
	v_add_co_u32 v2, s20, s48, v2
	v_add_co_ci_u32_e64 v3, s20, s49, v3, s20
	global_store_b32 v[2:3], v19, off
	s_or_b32 exec_lo, exec_lo, s21
	v_cmp_lt_u32_e64 s20, v39, v0
	s_delay_alu instid0(VALU_DEP_1)
	s_and_saveexec_b32 s22, s20
	s_cbranch_execnz .LBB1333_285
.LBB1333_278:                           ;   in Loop: Header=BB1333_232 Depth=2
	s_or_b32 exec_lo, exec_lo, s22
	v_cmp_lt_u32_e64 s21, v40, v0
	s_delay_alu instid0(VALU_DEP_1)
	s_and_saveexec_b32 s23, s21
	s_cbranch_execz .LBB1333_286
.LBB1333_279:                           ;   in Loop: Header=BB1333_232 Depth=2
	ds_load_b32 v30, v58 offset:6144
	s_waitcnt lgkmcnt(0)
	v_cmp_ne_u32_e64 s22, 0x80000000, v30
	s_delay_alu instid0(VALU_DEP_1) | instskip(SKIP_1) | instid1(VALU_DEP_2)
	v_cndmask_b32_e64 v2, 0x7fffffff, v30, s22
	v_cmp_gt_i32_e64 s22, 0, v30
	v_lshrrev_b32_e32 v2, s30, v2
	s_delay_alu instid0(VALU_DEP_2) | instskip(NEXT) | instid1(VALU_DEP_2)
	v_cndmask_b32_e64 v98, 0x7fffffff, 0, s22
	v_and_b32_e32 v2, s31, v2
	s_delay_alu instid0(VALU_DEP_1) | instskip(SKIP_3) | instid1(VALU_DEP_1)
	v_lshlrev_b32_e32 v2, 2, v2
	ds_load_b32 v2, v2
	s_waitcnt lgkmcnt(0)
	v_add_nc_u32_e32 v19, v2, v40
	v_lshlrev_b64 v[2:3], 2, v[19:20]
	v_xor_b32_e32 v19, v98, v30
	s_delay_alu instid0(VALU_DEP_2) | instskip(NEXT) | instid1(VALU_DEP_1)
	v_add_co_u32 v2, s22, s48, v2
	v_add_co_ci_u32_e64 v3, s22, s49, v3, s22
	global_store_b32 v[2:3], v19, off
	s_or_b32 exec_lo, exec_lo, s23
	v_cmp_lt_u32_e64 s22, v42, v0
	s_delay_alu instid0(VALU_DEP_1)
	s_and_saveexec_b32 s37, s22
	s_cbranch_execnz .LBB1333_287
	s_branch .LBB1333_288
.LBB1333_280:                           ;   in Loop: Header=BB1333_232 Depth=2
	s_or_b32 exec_lo, exec_lo, s17
	v_cmp_lt_u32_e64 s16, v32, v0
	s_delay_alu instid0(VALU_DEP_1)
	s_and_saveexec_b32 s18, s16
	s_cbranch_execz .LBB1333_274
.LBB1333_281:                           ;   in Loop: Header=BB1333_232 Depth=2
	ds_load_b32 v30, v58 offset:1024
	s_waitcnt lgkmcnt(0)
	v_cmp_ne_u32_e64 s17, 0x80000000, v30
	s_delay_alu instid0(VALU_DEP_1) | instskip(SKIP_1) | instid1(VALU_DEP_2)
	v_cndmask_b32_e64 v2, 0x7fffffff, v30, s17
	v_cmp_gt_i32_e64 s17, 0, v30
	v_lshrrev_b32_e32 v2, s30, v2
	s_delay_alu instid0(VALU_DEP_2) | instskip(NEXT) | instid1(VALU_DEP_2)
	v_cndmask_b32_e64 v98, 0x7fffffff, 0, s17
	v_and_b32_e32 v2, s31, v2
	s_delay_alu instid0(VALU_DEP_1) | instskip(SKIP_3) | instid1(VALU_DEP_1)
	v_lshlrev_b32_e32 v2, 2, v2
	ds_load_b32 v2, v2
	s_waitcnt lgkmcnt(0)
	v_add_nc_u32_e32 v19, v2, v32
	v_lshlrev_b64 v[2:3], 2, v[19:20]
	v_xor_b32_e32 v19, v98, v30
	s_delay_alu instid0(VALU_DEP_2) | instskip(NEXT) | instid1(VALU_DEP_1)
	v_add_co_u32 v2, s17, s48, v2
	v_add_co_ci_u32_e64 v3, s17, s49, v3, s17
	global_store_b32 v[2:3], v19, off
	s_or_b32 exec_lo, exec_lo, s18
	v_cmp_lt_u32_e64 s17, v33, v0
	s_delay_alu instid0(VALU_DEP_1)
	s_and_saveexec_b32 s19, s17
	s_cbranch_execnz .LBB1333_275
.LBB1333_282:                           ;   in Loop: Header=BB1333_232 Depth=2
	s_or_b32 exec_lo, exec_lo, s19
	v_cmp_lt_u32_e64 s18, v34, v0
	s_delay_alu instid0(VALU_DEP_1)
	s_and_saveexec_b32 s20, s18
	s_cbranch_execz .LBB1333_276
.LBB1333_283:                           ;   in Loop: Header=BB1333_232 Depth=2
	ds_load_b32 v30, v58 offset:3072
	s_waitcnt lgkmcnt(0)
	v_cmp_ne_u32_e64 s19, 0x80000000, v30
	s_delay_alu instid0(VALU_DEP_1) | instskip(SKIP_1) | instid1(VALU_DEP_2)
	v_cndmask_b32_e64 v2, 0x7fffffff, v30, s19
	v_cmp_gt_i32_e64 s19, 0, v30
	v_lshrrev_b32_e32 v2, s30, v2
	s_delay_alu instid0(VALU_DEP_2) | instskip(NEXT) | instid1(VALU_DEP_2)
	v_cndmask_b32_e64 v98, 0x7fffffff, 0, s19
	v_and_b32_e32 v2, s31, v2
	s_delay_alu instid0(VALU_DEP_1) | instskip(SKIP_3) | instid1(VALU_DEP_1)
	v_lshlrev_b32_e32 v2, 2, v2
	ds_load_b32 v2, v2
	s_waitcnt lgkmcnt(0)
	v_add_nc_u32_e32 v19, v2, v34
	v_lshlrev_b64 v[2:3], 2, v[19:20]
	v_xor_b32_e32 v19, v98, v30
	s_delay_alu instid0(VALU_DEP_2) | instskip(NEXT) | instid1(VALU_DEP_1)
	v_add_co_u32 v2, s19, s48, v2
	v_add_co_ci_u32_e64 v3, s19, s49, v3, s19
	global_store_b32 v[2:3], v19, off
	s_or_b32 exec_lo, exec_lo, s20
	v_cmp_lt_u32_e64 s19, v38, v0
	s_delay_alu instid0(VALU_DEP_1)
	s_and_saveexec_b32 s21, s19
	s_cbranch_execnz .LBB1333_277
.LBB1333_284:                           ;   in Loop: Header=BB1333_232 Depth=2
	s_or_b32 exec_lo, exec_lo, s21
	v_cmp_lt_u32_e64 s20, v39, v0
	s_delay_alu instid0(VALU_DEP_1)
	s_and_saveexec_b32 s22, s20
	s_cbranch_execz .LBB1333_278
.LBB1333_285:                           ;   in Loop: Header=BB1333_232 Depth=2
	ds_load_b32 v30, v58 offset:5120
	s_waitcnt lgkmcnt(0)
	v_cmp_ne_u32_e64 s21, 0x80000000, v30
	s_delay_alu instid0(VALU_DEP_1) | instskip(SKIP_1) | instid1(VALU_DEP_2)
	v_cndmask_b32_e64 v2, 0x7fffffff, v30, s21
	v_cmp_gt_i32_e64 s21, 0, v30
	v_lshrrev_b32_e32 v2, s30, v2
	s_delay_alu instid0(VALU_DEP_2) | instskip(NEXT) | instid1(VALU_DEP_2)
	v_cndmask_b32_e64 v98, 0x7fffffff, 0, s21
	v_and_b32_e32 v2, s31, v2
	s_delay_alu instid0(VALU_DEP_1) | instskip(SKIP_3) | instid1(VALU_DEP_1)
	v_lshlrev_b32_e32 v2, 2, v2
	ds_load_b32 v2, v2
	s_waitcnt lgkmcnt(0)
	v_add_nc_u32_e32 v19, v2, v39
	v_lshlrev_b64 v[2:3], 2, v[19:20]
	v_xor_b32_e32 v19, v98, v30
	s_delay_alu instid0(VALU_DEP_2) | instskip(NEXT) | instid1(VALU_DEP_1)
	v_add_co_u32 v2, s21, s48, v2
	v_add_co_ci_u32_e64 v3, s21, s49, v3, s21
	global_store_b32 v[2:3], v19, off
	s_or_b32 exec_lo, exec_lo, s22
	v_cmp_lt_u32_e64 s21, v40, v0
	s_delay_alu instid0(VALU_DEP_1)
	s_and_saveexec_b32 s23, s21
	s_cbranch_execnz .LBB1333_279
.LBB1333_286:                           ;   in Loop: Header=BB1333_232 Depth=2
	s_or_b32 exec_lo, exec_lo, s23
	v_cmp_lt_u32_e64 s22, v42, v0
	s_delay_alu instid0(VALU_DEP_1)
	s_and_saveexec_b32 s37, s22
	s_cbranch_execz .LBB1333_288
.LBB1333_287:                           ;   in Loop: Header=BB1333_232 Depth=2
	ds_load_b32 v30, v58 offset:7168
	s_waitcnt lgkmcnt(0)
	v_cmp_ne_u32_e64 s23, 0x80000000, v30
	s_delay_alu instid0(VALU_DEP_1) | instskip(SKIP_1) | instid1(VALU_DEP_2)
	v_cndmask_b32_e64 v2, 0x7fffffff, v30, s23
	v_cmp_gt_i32_e64 s23, 0, v30
	v_lshrrev_b32_e32 v2, s30, v2
	s_delay_alu instid0(VALU_DEP_2) | instskip(NEXT) | instid1(VALU_DEP_2)
	v_cndmask_b32_e64 v98, 0x7fffffff, 0, s23
	v_and_b32_e32 v2, s31, v2
	s_delay_alu instid0(VALU_DEP_1) | instskip(SKIP_3) | instid1(VALU_DEP_1)
	v_lshlrev_b32_e32 v2, 2, v2
	ds_load_b32 v2, v2
	s_waitcnt lgkmcnt(0)
	v_add_nc_u32_e32 v19, v2, v42
	v_lshlrev_b64 v[2:3], 2, v[19:20]
	v_xor_b32_e32 v19, v98, v30
	s_delay_alu instid0(VALU_DEP_2) | instskip(NEXT) | instid1(VALU_DEP_1)
	v_add_co_u32 v2, s23, s48, v2
	v_add_co_ci_u32_e64 v3, s23, s49, v3, s23
	global_store_b32 v[2:3], v19, off
.LBB1333_288:                           ;   in Loop: Header=BB1333_232 Depth=2
	s_or_b32 exec_lo, exec_lo, s37
	s_lshl_b64 s[38:39], s[24:25], 3
	s_delay_alu instid0(SALU_CYCLE_1) | instskip(NEXT) | instid1(VALU_DEP_1)
	v_add_co_u32 v2, s23, v75, s38
	v_add_co_ci_u32_e64 v3, s23, s39, v76, s23
	v_cmp_lt_u32_e64 s23, v74, v0
	s_delay_alu instid0(VALU_DEP_1) | instskip(NEXT) | instid1(SALU_CYCLE_1)
	s_and_saveexec_b32 s24, s23
	s_xor_b32 s23, exec_lo, s24
	s_cbranch_execz .LBB1333_304
; %bb.289:                              ;   in Loop: Header=BB1333_232 Depth=2
	global_load_b64 v[27:28], v[2:3], off
	s_or_b32 exec_lo, exec_lo, s23
	s_delay_alu instid0(SALU_CYCLE_1)
	s_mov_b32 s24, exec_lo
	v_cmpx_lt_u32_e64 v77, v0
	s_cbranch_execnz .LBB1333_305
.LBB1333_290:                           ;   in Loop: Header=BB1333_232 Depth=2
	s_or_b32 exec_lo, exec_lo, s24
	s_delay_alu instid0(SALU_CYCLE_1)
	s_mov_b32 s24, exec_lo
	v_cmpx_lt_u32_e64 v78, v0
	s_cbranch_execz .LBB1333_306
.LBB1333_291:                           ;   in Loop: Header=BB1333_232 Depth=2
	global_load_b64 v[23:24], v[2:3], off offset:512
	s_or_b32 exec_lo, exec_lo, s24
	s_delay_alu instid0(SALU_CYCLE_1)
	s_mov_b32 s24, exec_lo
	v_cmpx_lt_u32_e64 v79, v0
	s_cbranch_execnz .LBB1333_307
.LBB1333_292:                           ;   in Loop: Header=BB1333_232 Depth=2
	s_or_b32 exec_lo, exec_lo, s24
	s_delay_alu instid0(SALU_CYCLE_1)
	s_mov_b32 s24, exec_lo
	v_cmpx_lt_u32_e64 v80, v0
	s_cbranch_execz .LBB1333_308
.LBB1333_293:                           ;   in Loop: Header=BB1333_232 Depth=2
	global_load_b64 v[16:17], v[2:3], off offset:1024
	s_or_b32 exec_lo, exec_lo, s24
	s_delay_alu instid0(SALU_CYCLE_1)
	s_mov_b32 s24, exec_lo
	v_cmpx_lt_u32_e64 v81, v0
	s_cbranch_execnz .LBB1333_309
.LBB1333_294:                           ;   in Loop: Header=BB1333_232 Depth=2
	s_or_b32 exec_lo, exec_lo, s24
	s_delay_alu instid0(SALU_CYCLE_1)
	s_mov_b32 s24, exec_lo
	v_cmpx_lt_u32_e64 v82, v0
	s_cbranch_execz .LBB1333_310
.LBB1333_295:                           ;   in Loop: Header=BB1333_232 Depth=2
	global_load_b64 v[12:13], v[2:3], off offset:1536
	s_or_b32 exec_lo, exec_lo, s24
	s_delay_alu instid0(SALU_CYCLE_1)
	s_mov_b32 s24, exec_lo
	v_cmpx_lt_u32_e64 v83, v0
	s_cbranch_execnz .LBB1333_311
.LBB1333_296:                           ;   in Loop: Header=BB1333_232 Depth=2
	s_or_b32 exec_lo, exec_lo, s24
	s_and_saveexec_b32 s24, vcc_lo
	s_cbranch_execz .LBB1333_312
.LBB1333_297:                           ;   in Loop: Header=BB1333_232 Depth=2
	ds_load_b32 v0, v52 offset:1024
	s_waitcnt lgkmcnt(0)
	v_cmp_ne_u32_e64 s23, 0x80000000, v0
	s_delay_alu instid0(VALU_DEP_1) | instskip(NEXT) | instid1(VALU_DEP_1)
	v_cndmask_b32_e64 v0, 0x7fffffff, v0, s23
	v_lshrrev_b32_e32 v0, s30, v0
	s_delay_alu instid0(VALU_DEP_1)
	v_and_b32_e32 v96, s31, v0
	s_or_b32 exec_lo, exec_lo, s24
	s_and_saveexec_b32 s24, s16
	s_cbranch_execnz .LBB1333_313
.LBB1333_298:                           ;   in Loop: Header=BB1333_232 Depth=2
	s_or_b32 exec_lo, exec_lo, s24
	s_and_saveexec_b32 s24, s17
	s_cbranch_execz .LBB1333_314
.LBB1333_299:                           ;   in Loop: Header=BB1333_232 Depth=2
	ds_load_b32 v0, v58 offset:2048
	s_waitcnt lgkmcnt(0)
	v_cmp_ne_u32_e64 s23, 0x80000000, v0
	s_delay_alu instid0(VALU_DEP_1) | instskip(NEXT) | instid1(VALU_DEP_1)
	v_cndmask_b32_e64 v0, 0x7fffffff, v0, s23
	v_lshrrev_b32_e32 v0, s30, v0
	s_delay_alu instid0(VALU_DEP_1)
	v_and_b32_e32 v94, s31, v0
	s_or_b32 exec_lo, exec_lo, s24
	s_and_saveexec_b32 s24, s18
	s_cbranch_execnz .LBB1333_315
.LBB1333_300:                           ;   in Loop: Header=BB1333_232 Depth=2
	s_or_b32 exec_lo, exec_lo, s24
	s_and_saveexec_b32 s24, s19
	s_cbranch_execz .LBB1333_316
.LBB1333_301:                           ;   in Loop: Header=BB1333_232 Depth=2
	ds_load_b32 v0, v58 offset:4096
	s_waitcnt lgkmcnt(0)
	v_cmp_ne_u32_e64 s23, 0x80000000, v0
	s_delay_alu instid0(VALU_DEP_1) | instskip(NEXT) | instid1(VALU_DEP_1)
	v_cndmask_b32_e64 v0, 0x7fffffff, v0, s23
	v_lshrrev_b32_e32 v0, s30, v0
	s_delay_alu instid0(VALU_DEP_1)
	v_and_b32_e32 v92, s31, v0
	s_or_b32 exec_lo, exec_lo, s24
	s_and_saveexec_b32 s24, s20
	s_cbranch_execnz .LBB1333_317
.LBB1333_302:                           ;   in Loop: Header=BB1333_232 Depth=2
	s_or_b32 exec_lo, exec_lo, s24
	s_and_saveexec_b32 s24, s21
	s_cbranch_execz .LBB1333_318
.LBB1333_303:                           ;   in Loop: Header=BB1333_232 Depth=2
	ds_load_b32 v0, v58 offset:6144
	s_waitcnt lgkmcnt(0)
	v_cmp_ne_u32_e64 s23, 0x80000000, v0
	s_delay_alu instid0(VALU_DEP_1) | instskip(NEXT) | instid1(VALU_DEP_1)
	v_cndmask_b32_e64 v0, 0x7fffffff, v0, s23
	v_lshrrev_b32_e32 v0, s30, v0
	s_delay_alu instid0(VALU_DEP_1)
	v_and_b32_e32 v90, s31, v0
	s_or_b32 exec_lo, exec_lo, s24
	s_and_saveexec_b32 s24, s22
	s_cbranch_execnz .LBB1333_319
	s_branch .LBB1333_320
.LBB1333_304:                           ;   in Loop: Header=BB1333_232 Depth=2
	s_or_b32 exec_lo, exec_lo, s23
	s_delay_alu instid0(SALU_CYCLE_1)
	s_mov_b32 s24, exec_lo
	v_cmpx_lt_u32_e64 v77, v0
	s_cbranch_execz .LBB1333_290
.LBB1333_305:                           ;   in Loop: Header=BB1333_232 Depth=2
	global_load_b64 v[25:26], v[2:3], off offset:256
	s_or_b32 exec_lo, exec_lo, s24
	s_delay_alu instid0(SALU_CYCLE_1)
	s_mov_b32 s24, exec_lo
	v_cmpx_lt_u32_e64 v78, v0
	s_cbranch_execnz .LBB1333_291
.LBB1333_306:                           ;   in Loop: Header=BB1333_232 Depth=2
	s_or_b32 exec_lo, exec_lo, s24
	s_delay_alu instid0(SALU_CYCLE_1)
	s_mov_b32 s24, exec_lo
	v_cmpx_lt_u32_e64 v79, v0
	s_cbranch_execz .LBB1333_292
.LBB1333_307:                           ;   in Loop: Header=BB1333_232 Depth=2
	global_load_b64 v[21:22], v[2:3], off offset:768
	s_or_b32 exec_lo, exec_lo, s24
	s_delay_alu instid0(SALU_CYCLE_1)
	s_mov_b32 s24, exec_lo
	v_cmpx_lt_u32_e64 v80, v0
	s_cbranch_execnz .LBB1333_293
.LBB1333_308:                           ;   in Loop: Header=BB1333_232 Depth=2
	s_or_b32 exec_lo, exec_lo, s24
	s_delay_alu instid0(SALU_CYCLE_1)
	s_mov_b32 s24, exec_lo
	v_cmpx_lt_u32_e64 v81, v0
	s_cbranch_execz .LBB1333_294
.LBB1333_309:                           ;   in Loop: Header=BB1333_232 Depth=2
	global_load_b64 v[14:15], v[2:3], off offset:1280
	s_or_b32 exec_lo, exec_lo, s24
	s_delay_alu instid0(SALU_CYCLE_1)
	s_mov_b32 s24, exec_lo
	v_cmpx_lt_u32_e64 v82, v0
	s_cbranch_execnz .LBB1333_295
.LBB1333_310:                           ;   in Loop: Header=BB1333_232 Depth=2
	s_or_b32 exec_lo, exec_lo, s24
	s_delay_alu instid0(SALU_CYCLE_1)
	s_mov_b32 s24, exec_lo
	v_cmpx_lt_u32_e64 v83, v0
	s_cbranch_execz .LBB1333_296
.LBB1333_311:                           ;   in Loop: Header=BB1333_232 Depth=2
	global_load_b64 v[10:11], v[2:3], off offset:1792
	s_or_b32 exec_lo, exec_lo, s24
	s_and_saveexec_b32 s24, vcc_lo
	s_cbranch_execnz .LBB1333_297
.LBB1333_312:                           ;   in Loop: Header=BB1333_232 Depth=2
	s_or_b32 exec_lo, exec_lo, s24
	s_and_saveexec_b32 s24, s16
	s_cbranch_execz .LBB1333_298
.LBB1333_313:                           ;   in Loop: Header=BB1333_232 Depth=2
	ds_load_b32 v0, v58 offset:1024
	s_waitcnt lgkmcnt(0)
	v_cmp_ne_u32_e64 s23, 0x80000000, v0
	s_delay_alu instid0(VALU_DEP_1) | instskip(NEXT) | instid1(VALU_DEP_1)
	v_cndmask_b32_e64 v0, 0x7fffffff, v0, s23
	v_lshrrev_b32_e32 v0, s30, v0
	s_delay_alu instid0(VALU_DEP_1)
	v_and_b32_e32 v95, s31, v0
	s_or_b32 exec_lo, exec_lo, s24
	s_and_saveexec_b32 s24, s17
	s_cbranch_execnz .LBB1333_299
.LBB1333_314:                           ;   in Loop: Header=BB1333_232 Depth=2
	s_or_b32 exec_lo, exec_lo, s24
	s_and_saveexec_b32 s24, s18
	s_cbranch_execz .LBB1333_300
.LBB1333_315:                           ;   in Loop: Header=BB1333_232 Depth=2
	ds_load_b32 v0, v58 offset:3072
	s_waitcnt lgkmcnt(0)
	v_cmp_ne_u32_e64 s23, 0x80000000, v0
	s_delay_alu instid0(VALU_DEP_1) | instskip(NEXT) | instid1(VALU_DEP_1)
	v_cndmask_b32_e64 v0, 0x7fffffff, v0, s23
	v_lshrrev_b32_e32 v0, s30, v0
	s_delay_alu instid0(VALU_DEP_1)
	v_and_b32_e32 v93, s31, v0
	s_or_b32 exec_lo, exec_lo, s24
	s_and_saveexec_b32 s24, s19
	s_cbranch_execnz .LBB1333_301
.LBB1333_316:                           ;   in Loop: Header=BB1333_232 Depth=2
	s_or_b32 exec_lo, exec_lo, s24
	s_and_saveexec_b32 s24, s20
	s_cbranch_execz .LBB1333_302
.LBB1333_317:                           ;   in Loop: Header=BB1333_232 Depth=2
	ds_load_b32 v0, v58 offset:5120
	s_waitcnt lgkmcnt(0)
	v_cmp_ne_u32_e64 s23, 0x80000000, v0
	s_delay_alu instid0(VALU_DEP_1) | instskip(NEXT) | instid1(VALU_DEP_1)
	v_cndmask_b32_e64 v0, 0x7fffffff, v0, s23
	v_lshrrev_b32_e32 v0, s30, v0
	s_delay_alu instid0(VALU_DEP_1)
	v_and_b32_e32 v91, s31, v0
	s_or_b32 exec_lo, exec_lo, s24
	s_and_saveexec_b32 s24, s21
	s_cbranch_execnz .LBB1333_303
.LBB1333_318:                           ;   in Loop: Header=BB1333_232 Depth=2
	s_or_b32 exec_lo, exec_lo, s24
	s_and_saveexec_b32 s24, s22
	s_cbranch_execz .LBB1333_320
.LBB1333_319:                           ;   in Loop: Header=BB1333_232 Depth=2
	ds_load_b32 v0, v58 offset:7168
	s_waitcnt lgkmcnt(0)
	v_cmp_ne_u32_e64 s23, 0x80000000, v0
	s_delay_alu instid0(VALU_DEP_1) | instskip(NEXT) | instid1(VALU_DEP_1)
	v_cndmask_b32_e64 v0, 0x7fffffff, v0, s23
	v_lshrrev_b32_e32 v0, s30, v0
	s_delay_alu instid0(VALU_DEP_1)
	v_and_b32_e32 v89, s31, v0
.LBB1333_320:                           ;   in Loop: Header=BB1333_232 Depth=2
	s_or_b32 exec_lo, exec_lo, s24
	v_lshlrev_b32_e32 v0, 3, v101
	v_lshlrev_b32_e32 v2, 3, v97
	;; [unrolled: 1-line block ×3, first 2 shown]
	s_waitcnt vmcnt(0)
	s_waitcnt_vscnt null, 0x0
	s_barrier
	buffer_gl0_inv
	ds_store_b64 v0, v[27:28] offset:1024
	ds_store_b64 v2, v[25:26] offset:1024
	;; [unrolled: 1-line block ×3, first 2 shown]
	v_lshlrev_b32_e32 v0, 3, v7
	v_lshlrev_b32_e32 v2, 3, v6
	;; [unrolled: 1-line block ×5, first 2 shown]
	ds_store_b64 v0, v[21:22] offset:1024
	ds_store_b64 v2, v[16:17] offset:1024
	;; [unrolled: 1-line block ×5, first 2 shown]
	s_waitcnt lgkmcnt(0)
	s_barrier
	buffer_gl0_inv
	s_and_saveexec_b32 s23, vcc_lo
	s_cbranch_execz .LBB1333_328
; %bb.321:                              ;   in Loop: Header=BB1333_232 Depth=2
	v_lshlrev_b32_e32 v0, 2, v96
	v_add_nc_u32_e32 v2, v52, v31
	ds_load_b32 v0, v0
	ds_load_b64 v[2:3], v2 offset:1024
	s_waitcnt lgkmcnt(1)
	v_add_nc_u32_e32 v19, v0, v18
	s_delay_alu instid0(VALU_DEP_1) | instskip(NEXT) | instid1(VALU_DEP_1)
	v_lshlrev_b64 v[5:6], 3, v[19:20]
	v_add_co_u32 v5, vcc_lo, s54, v5
	s_delay_alu instid0(VALU_DEP_2)
	v_add_co_ci_u32_e32 v6, vcc_lo, s55, v6, vcc_lo
	s_waitcnt lgkmcnt(0)
	global_store_b64 v[5:6], v[2:3], off
	s_or_b32 exec_lo, exec_lo, s23
	s_and_saveexec_b32 s23, s16
	s_cbranch_execnz .LBB1333_329
.LBB1333_322:                           ;   in Loop: Header=BB1333_232 Depth=2
	s_or_b32 exec_lo, exec_lo, s23
	s_and_saveexec_b32 s16, s17
	s_cbranch_execz .LBB1333_330
.LBB1333_323:                           ;   in Loop: Header=BB1333_232 Depth=2
	v_lshlrev_b32_e32 v0, 2, v94
	v_add_nc_u32_e32 v2, v58, v31
	ds_load_b32 v0, v0
	ds_load_b64 v[2:3], v2 offset:4096
	s_waitcnt lgkmcnt(1)
	v_add_nc_u32_e32 v19, v0, v33
	s_delay_alu instid0(VALU_DEP_1) | instskip(NEXT) | instid1(VALU_DEP_1)
	v_lshlrev_b64 v[5:6], 3, v[19:20]
	v_add_co_u32 v5, vcc_lo, s54, v5
	s_delay_alu instid0(VALU_DEP_2)
	v_add_co_ci_u32_e32 v6, vcc_lo, s55, v6, vcc_lo
	s_waitcnt lgkmcnt(0)
	global_store_b64 v[5:6], v[2:3], off
	s_or_b32 exec_lo, exec_lo, s16
	s_and_saveexec_b32 s16, s18
	s_cbranch_execnz .LBB1333_331
.LBB1333_324:                           ;   in Loop: Header=BB1333_232 Depth=2
	s_or_b32 exec_lo, exec_lo, s16
	s_and_saveexec_b32 s16, s19
	s_cbranch_execz .LBB1333_332
.LBB1333_325:                           ;   in Loop: Header=BB1333_232 Depth=2
	v_lshlrev_b32_e32 v0, 2, v92
	v_add_nc_u32_e32 v2, v58, v31
	ds_load_b32 v0, v0
	ds_load_b64 v[2:3], v2 offset:8192
	s_waitcnt lgkmcnt(1)
	v_add_nc_u32_e32 v19, v0, v38
	s_delay_alu instid0(VALU_DEP_1) | instskip(NEXT) | instid1(VALU_DEP_1)
	v_lshlrev_b64 v[5:6], 3, v[19:20]
	v_add_co_u32 v5, vcc_lo, s54, v5
	s_delay_alu instid0(VALU_DEP_2)
	v_add_co_ci_u32_e32 v6, vcc_lo, s55, v6, vcc_lo
	s_waitcnt lgkmcnt(0)
	global_store_b64 v[5:6], v[2:3], off
	s_or_b32 exec_lo, exec_lo, s16
	s_and_saveexec_b32 s16, s20
	s_cbranch_execnz .LBB1333_333
.LBB1333_326:                           ;   in Loop: Header=BB1333_232 Depth=2
	s_or_b32 exec_lo, exec_lo, s16
	s_and_saveexec_b32 s16, s21
	s_cbranch_execz .LBB1333_334
.LBB1333_327:                           ;   in Loop: Header=BB1333_232 Depth=2
	v_lshlrev_b32_e32 v0, 2, v90
	v_add_nc_u32_e32 v2, v58, v31
	ds_load_b32 v0, v0
	ds_load_b64 v[2:3], v2 offset:12288
	s_waitcnt lgkmcnt(1)
	v_add_nc_u32_e32 v19, v0, v40
	s_delay_alu instid0(VALU_DEP_1) | instskip(NEXT) | instid1(VALU_DEP_1)
	v_lshlrev_b64 v[5:6], 3, v[19:20]
	v_add_co_u32 v5, vcc_lo, s54, v5
	s_delay_alu instid0(VALU_DEP_2)
	v_add_co_ci_u32_e32 v6, vcc_lo, s55, v6, vcc_lo
	s_waitcnt lgkmcnt(0)
	global_store_b64 v[5:6], v[2:3], off
	s_or_b32 exec_lo, exec_lo, s16
	s_and_saveexec_b32 s16, s22
	s_cbranch_execnz .LBB1333_335
	s_branch .LBB1333_336
.LBB1333_328:                           ;   in Loop: Header=BB1333_232 Depth=2
	s_or_b32 exec_lo, exec_lo, s23
	s_and_saveexec_b32 s23, s16
	s_cbranch_execz .LBB1333_322
.LBB1333_329:                           ;   in Loop: Header=BB1333_232 Depth=2
	v_lshlrev_b32_e32 v0, 2, v95
	v_add_nc_u32_e32 v2, v58, v31
	ds_load_b32 v0, v0
	ds_load_b64 v[2:3], v2 offset:2048
	s_waitcnt lgkmcnt(1)
	v_add_nc_u32_e32 v19, v0, v32
	s_delay_alu instid0(VALU_DEP_1) | instskip(NEXT) | instid1(VALU_DEP_1)
	v_lshlrev_b64 v[5:6], 3, v[19:20]
	v_add_co_u32 v5, vcc_lo, s54, v5
	s_delay_alu instid0(VALU_DEP_2)
	v_add_co_ci_u32_e32 v6, vcc_lo, s55, v6, vcc_lo
	s_waitcnt lgkmcnt(0)
	global_store_b64 v[5:6], v[2:3], off
	s_or_b32 exec_lo, exec_lo, s23
	s_and_saveexec_b32 s16, s17
	s_cbranch_execnz .LBB1333_323
.LBB1333_330:                           ;   in Loop: Header=BB1333_232 Depth=2
	s_or_b32 exec_lo, exec_lo, s16
	s_and_saveexec_b32 s16, s18
	s_cbranch_execz .LBB1333_324
.LBB1333_331:                           ;   in Loop: Header=BB1333_232 Depth=2
	v_lshlrev_b32_e32 v0, 2, v93
	v_add_nc_u32_e32 v2, v58, v31
	ds_load_b32 v0, v0
	ds_load_b64 v[2:3], v2 offset:6144
	s_waitcnt lgkmcnt(1)
	v_add_nc_u32_e32 v19, v0, v34
	s_delay_alu instid0(VALU_DEP_1) | instskip(NEXT) | instid1(VALU_DEP_1)
	v_lshlrev_b64 v[5:6], 3, v[19:20]
	v_add_co_u32 v5, vcc_lo, s54, v5
	s_delay_alu instid0(VALU_DEP_2)
	v_add_co_ci_u32_e32 v6, vcc_lo, s55, v6, vcc_lo
	s_waitcnt lgkmcnt(0)
	global_store_b64 v[5:6], v[2:3], off
	s_or_b32 exec_lo, exec_lo, s16
	s_and_saveexec_b32 s16, s19
	s_cbranch_execnz .LBB1333_325
.LBB1333_332:                           ;   in Loop: Header=BB1333_232 Depth=2
	s_or_b32 exec_lo, exec_lo, s16
	s_and_saveexec_b32 s16, s20
	s_cbranch_execz .LBB1333_326
.LBB1333_333:                           ;   in Loop: Header=BB1333_232 Depth=2
	v_lshlrev_b32_e32 v0, 2, v91
	v_add_nc_u32_e32 v2, v58, v31
	ds_load_b32 v0, v0
	ds_load_b64 v[2:3], v2 offset:10240
	s_waitcnt lgkmcnt(1)
	v_add_nc_u32_e32 v19, v0, v39
	s_delay_alu instid0(VALU_DEP_1) | instskip(NEXT) | instid1(VALU_DEP_1)
	v_lshlrev_b64 v[5:6], 3, v[19:20]
	v_add_co_u32 v5, vcc_lo, s54, v5
	s_delay_alu instid0(VALU_DEP_2)
	v_add_co_ci_u32_e32 v6, vcc_lo, s55, v6, vcc_lo
	s_waitcnt lgkmcnt(0)
	global_store_b64 v[5:6], v[2:3], off
	s_or_b32 exec_lo, exec_lo, s16
	s_and_saveexec_b32 s16, s21
	s_cbranch_execnz .LBB1333_327
.LBB1333_334:                           ;   in Loop: Header=BB1333_232 Depth=2
	s_or_b32 exec_lo, exec_lo, s16
	s_and_saveexec_b32 s16, s22
	s_cbranch_execz .LBB1333_336
.LBB1333_335:                           ;   in Loop: Header=BB1333_232 Depth=2
	v_lshlrev_b32_e32 v0, 2, v89
	v_add_nc_u32_e32 v2, v58, v31
	ds_load_b32 v0, v0
	ds_load_b64 v[2:3], v2 offset:14336
	s_waitcnt lgkmcnt(1)
	v_add_nc_u32_e32 v19, v0, v42
	s_delay_alu instid0(VALU_DEP_1) | instskip(NEXT) | instid1(VALU_DEP_1)
	v_lshlrev_b64 v[5:6], 3, v[19:20]
	v_add_co_u32 v5, vcc_lo, s54, v5
	s_delay_alu instid0(VALU_DEP_2)
	v_add_co_ci_u32_e32 v6, vcc_lo, s55, v6, vcc_lo
	s_waitcnt lgkmcnt(0)
	global_store_b64 v[5:6], v[2:3], off
.LBB1333_336:                           ;   in Loop: Header=BB1333_232 Depth=2
	s_or_b32 exec_lo, exec_lo, s16
	s_waitcnt_vscnt null, 0x0
	s_barrier
	buffer_gl0_inv
	s_and_saveexec_b32 s16, s2
	s_cbranch_execz .LBB1333_231
; %bb.337:                              ;   in Loop: Header=BB1333_232 Depth=2
	ds_load_b32 v0, v31
	s_waitcnt lgkmcnt(0)
	v_add_nc_u32_e32 v0, v0, v4
	ds_store_b32 v31, v0
	s_branch .LBB1333_231
.LBB1333_338:                           ;   in Loop: Header=BB1333_232 Depth=2
	s_or_b32 exec_lo, exec_lo, s16
	s_delay_alu instid0(SALU_CYCLE_1)
	s_mov_b32 s16, exec_lo
	v_cmpx_gt_u32_e64 s50, v77
	s_cbranch_execz .LBB1333_237
.LBB1333_339:                           ;   in Loop: Header=BB1333_232 Depth=2
	global_load_b32 v3, v[29:30], off offset:128
	s_or_b32 exec_lo, exec_lo, s16
	s_delay_alu instid0(SALU_CYCLE_1)
	s_mov_b32 s16, exec_lo
	v_cmpx_gt_u32_e64 s50, v78
	s_cbranch_execnz .LBB1333_238
.LBB1333_340:                           ;   in Loop: Header=BB1333_232 Depth=2
	s_or_b32 exec_lo, exec_lo, s16
	s_delay_alu instid0(SALU_CYCLE_1)
	s_mov_b32 s16, exec_lo
	v_cmpx_gt_u32_e64 s50, v79
	s_cbranch_execz .LBB1333_239
.LBB1333_341:                           ;   in Loop: Header=BB1333_232 Depth=2
	global_load_b32 v5, v[29:30], off offset:384
	s_or_b32 exec_lo, exec_lo, s16
	s_delay_alu instid0(SALU_CYCLE_1)
	s_mov_b32 s16, exec_lo
	v_cmpx_gt_u32_e64 s50, v80
	s_cbranch_execnz .LBB1333_240
.LBB1333_342:                           ;   in Loop: Header=BB1333_232 Depth=2
	s_or_b32 exec_lo, exec_lo, s16
	s_delay_alu instid0(SALU_CYCLE_1)
	s_mov_b32 s16, exec_lo
	v_cmpx_gt_u32_e64 s50, v81
	s_cbranch_execz .LBB1333_241
.LBB1333_343:                           ;   in Loop: Header=BB1333_232 Depth=2
	global_load_b32 v7, v[29:30], off offset:640
	s_or_b32 exec_lo, exec_lo, s16
	s_delay_alu instid0(SALU_CYCLE_1)
	s_mov_b32 s16, exec_lo
	v_cmpx_gt_u32_e64 s50, v82
	s_cbranch_execnz .LBB1333_242
	s_branch .LBB1333_243
.LBB1333_344:                           ;   in Loop: Header=BB1333_12 Depth=1
	s_waitcnt lgkmcnt(0)
	s_barrier
.LBB1333_345:                           ;   in Loop: Header=BB1333_12 Depth=1
	s_mov_b32 s1, 0
.LBB1333_346:                           ;   in Loop: Header=BB1333_12 Depth=1
	s_delay_alu instid0(SALU_CYCLE_1)
	s_and_not1_b32 vcc_lo, exec_lo, s1
	s_cbranch_vccnz .LBB1333_11
; %bb.347:                              ;   in Loop: Header=BB1333_12 Depth=1
	s_and_b32 vcc_lo, exec_lo, s34
	s_mov_b32 s1, -1
	s_cbranch_vccz .LBB1333_513
; %bb.348:                              ;   in Loop: Header=BB1333_12 Depth=1
	s_mov_b32 s1, s35
	s_mov_b32 s24, s27
	s_barrier
	buffer_gl0_inv
                                        ; implicit-def: $vgpr2_vgpr3_vgpr4_vgpr5_vgpr6_vgpr7_vgpr8_vgpr9
	s_branch .LBB1333_350
.LBB1333_349:                           ;   in Loop: Header=BB1333_350 Depth=2
	s_or_b32 exec_lo, exec_lo, s8
	s_addk_i32 s1, 0xf800
	s_cmp_ge_u32 s7, s33
	s_mov_b32 s24, s7
	s_cbranch_scc1 .LBB1333_388
.LBB1333_350:                           ;   Parent Loop BB1333_12 Depth=1
                                        ; =>  This Inner Loop Header: Depth=2
	s_add_i32 s7, s24, 0x800
	s_delay_alu instid0(SALU_CYCLE_1)
	s_cmp_gt_u32 s7, s33
	s_cbranch_scc1 .LBB1333_353
; %bb.351:                              ;   in Loop: Header=BB1333_350 Depth=2
	s_mov_b32 s9, 0
	s_mov_b32 s8, s24
	s_delay_alu instid0(SALU_CYCLE_1) | instskip(NEXT) | instid1(SALU_CYCLE_1)
	s_lshl_b64 s[10:11], s[8:9], 2
	v_add_co_u32 v21, vcc_lo, v65, s10
	v_add_co_ci_u32_e32 v22, vcc_lo, s11, v66, vcc_lo
	s_mov_b32 s10, -1
	s_waitcnt vmcnt(0)
	s_delay_alu instid0(VALU_DEP_2) | instskip(NEXT) | instid1(VALU_DEP_2)
	v_add_co_u32 v16, vcc_lo, 0x1000, v21
	v_add_co_ci_u32_e32 v17, vcc_lo, 0, v22, vcc_lo
	s_clause 0x6
	global_load_b32 v10, v[21:22], off
	global_load_b32 v11, v[21:22], off offset:1024
	global_load_b32 v12, v[21:22], off offset:2048
	;; [unrolled: 1-line block ×3, first 2 shown]
	global_load_b32 v14, v[16:17], off
	global_load_b32 v15, v[16:17], off offset:1024
	global_load_b32 v16, v[16:17], off offset:2048
	v_add_co_u32 v21, vcc_lo, 0x1c00, v21
	v_add_co_ci_u32_e32 v22, vcc_lo, 0, v22, vcc_lo
	s_movk_i32 s11, 0x800
	s_cbranch_execz .LBB1333_354
; %bb.352:                              ;   in Loop: Header=BB1333_350 Depth=2
                                        ; implicit-def: $vgpr2_vgpr3_vgpr4_vgpr5_vgpr6_vgpr7_vgpr8_vgpr9
	v_mov_b32_e32 v0, s1
	s_and_saveexec_b32 s8, s10
	s_cbranch_execnz .LBB1333_365
	s_branch .LBB1333_366
.LBB1333_353:                           ;   in Loop: Header=BB1333_350 Depth=2
	s_mov_b32 s10, 0
                                        ; implicit-def: $sgpr11
                                        ; implicit-def: $vgpr10_vgpr11_vgpr12_vgpr13_vgpr14_vgpr15_vgpr16_vgpr17
                                        ; implicit-def: $vgpr21_vgpr22
.LBB1333_354:                           ;   in Loop: Header=BB1333_350 Depth=2
	s_lshl_b64 s[8:9], s[24:25], 2
	s_mov_b32 s11, exec_lo
	s_add_u32 s8, s44, s8
	s_addc_u32 s9, s45, s9
	v_cmpx_gt_u32_e64 s1, v18
	s_cbranch_execz .LBB1333_382
; %bb.355:                              ;   in Loop: Header=BB1333_350 Depth=2
	v_lshlrev_b32_e32 v0, 2, v18
	global_load_b32 v2, v0, s[8:9]
	s_or_b32 exec_lo, exec_lo, s11
	s_delay_alu instid0(SALU_CYCLE_1)
	s_mov_b32 s11, exec_lo
	v_cmpx_gt_u32_e64 s1, v32
	s_cbranch_execnz .LBB1333_383
.LBB1333_356:                           ;   in Loop: Header=BB1333_350 Depth=2
	s_or_b32 exec_lo, exec_lo, s11
	s_delay_alu instid0(SALU_CYCLE_1)
	s_mov_b32 s11, exec_lo
	v_cmpx_gt_u32_e64 s1, v33
	s_cbranch_execz .LBB1333_384
.LBB1333_357:                           ;   in Loop: Header=BB1333_350 Depth=2
	v_lshlrev_b32_e32 v0, 2, v18
	global_load_b32 v4, v0, s[8:9] offset:2048
	s_or_b32 exec_lo, exec_lo, s11
	s_delay_alu instid0(SALU_CYCLE_1)
	s_mov_b32 s11, exec_lo
	v_cmpx_gt_u32_e64 s1, v34
	s_cbranch_execnz .LBB1333_385
.LBB1333_358:                           ;   in Loop: Header=BB1333_350 Depth=2
	s_or_b32 exec_lo, exec_lo, s11
	s_delay_alu instid0(SALU_CYCLE_1)
	s_mov_b32 s11, exec_lo
	v_cmpx_gt_u32_e64 s1, v38
	s_cbranch_execz .LBB1333_386
.LBB1333_359:                           ;   in Loop: Header=BB1333_350 Depth=2
	v_lshlrev_b32_e32 v0, 2, v38
	global_load_b32 v6, v0, s[8:9]
	s_or_b32 exec_lo, exec_lo, s11
	s_delay_alu instid0(SALU_CYCLE_1)
	s_mov_b32 s11, exec_lo
	v_cmpx_gt_u32_e64 s1, v39
	s_cbranch_execnz .LBB1333_387
.LBB1333_360:                           ;   in Loop: Header=BB1333_350 Depth=2
	s_or_b32 exec_lo, exec_lo, s11
	s_delay_alu instid0(SALU_CYCLE_1)
	s_mov_b32 s11, exec_lo
	v_cmpx_gt_u32_e64 s1, v40
	s_cbranch_execz .LBB1333_362
.LBB1333_361:                           ;   in Loop: Header=BB1333_350 Depth=2
	v_lshlrev_b32_e32 v0, 2, v40
	global_load_b32 v8, v0, s[8:9]
.LBB1333_362:                           ;   in Loop: Header=BB1333_350 Depth=2
	s_or_b32 exec_lo, exec_lo, s11
	s_delay_alu instid0(SALU_CYCLE_1)
	s_mov_b32 s12, exec_lo
                                        ; implicit-def: $sgpr11
                                        ; implicit-def: $vgpr21_vgpr22
	v_cmpx_gt_u32_e64 s1, v42
; %bb.363:                              ;   in Loop: Header=BB1333_350 Depth=2
	v_lshlrev_b32_e32 v0, 2, v42
	s_sub_i32 s11, s33, s24
	s_or_b32 s10, s10, exec_lo
	s_delay_alu instid0(VALU_DEP_1) | instskip(NEXT) | instid1(VALU_DEP_1)
	v_add_co_u32 v21, s8, s8, v0
	v_add_co_ci_u32_e64 v22, null, s9, 0, s8
; %bb.364:                              ;   in Loop: Header=BB1333_350 Depth=2
	s_or_b32 exec_lo, exec_lo, s12
	s_waitcnt vmcnt(0)
	v_dual_mov_b32 v17, v9 :: v_dual_mov_b32 v16, v8
	v_dual_mov_b32 v15, v7 :: v_dual_mov_b32 v14, v6
	;; [unrolled: 1-line block ×4, first 2 shown]
	v_mov_b32_e32 v0, s1
	s_and_saveexec_b32 s8, s10
	s_cbranch_execz .LBB1333_366
.LBB1333_365:                           ;   in Loop: Header=BB1333_350 Depth=2
	global_load_b32 v17, v[21:22], off
	s_waitcnt vmcnt(0)
	v_dual_mov_b32 v2, v10 :: v_dual_mov_b32 v5, v13
	v_dual_mov_b32 v0, s11 :: v_dual_mov_b32 v3, v11
	;; [unrolled: 1-line block ×3, first 2 shown]
	v_mov_b32_e32 v6, v14
	v_dual_mov_b32 v8, v16 :: v_dual_mov_b32 v9, v17
.LBB1333_366:                           ;   in Loop: Header=BB1333_350 Depth=2
	s_or_b32 exec_lo, exec_lo, s8
	s_delay_alu instid0(SALU_CYCLE_1)
	s_mov_b32 s8, exec_lo
	v_cmpx_lt_u32_e64 v18, v0
	s_cbranch_execz .LBB1333_374
; %bb.367:                              ;   in Loop: Header=BB1333_350 Depth=2
	v_cmp_gt_i32_e32 vcc_lo, 0, v2
	s_waitcnt vmcnt(5)
	v_lshlrev_b32_e32 v11, 2, v35
	v_cndmask_b32_e64 v10, 0x7fffffff, 0, vcc_lo
	s_delay_alu instid0(VALU_DEP_1) | instskip(NEXT) | instid1(VALU_DEP_1)
	v_xor_b32_e32 v10, v10, v2
	v_cmp_ne_u32_e32 vcc_lo, 0x80000000, v10
	v_cndmask_b32_e32 v10, 0x7fffffff, v10, vcc_lo
	s_delay_alu instid0(VALU_DEP_1) | instskip(NEXT) | instid1(VALU_DEP_1)
	v_lshrrev_b32_e32 v10, s57, v10
	v_and_b32_e32 v10, s31, v10
	s_delay_alu instid0(VALU_DEP_1) | instskip(SKIP_2) | instid1(SALU_CYCLE_1)
	v_lshl_or_b32 v10, v10, 4, v11
	ds_add_u32 v10, v71
	s_or_b32 exec_lo, exec_lo, s8
	s_mov_b32 s8, exec_lo
	v_cmpx_lt_u32_e64 v32, v0
	s_cbranch_execnz .LBB1333_375
.LBB1333_368:                           ;   in Loop: Header=BB1333_350 Depth=2
	s_or_b32 exec_lo, exec_lo, s8
	s_delay_alu instid0(SALU_CYCLE_1)
	s_mov_b32 s8, exec_lo
	v_cmpx_lt_u32_e64 v33, v0
	s_cbranch_execz .LBB1333_376
.LBB1333_369:                           ;   in Loop: Header=BB1333_350 Depth=2
	v_cmp_gt_i32_e32 vcc_lo, 0, v4
	s_waitcnt vmcnt(5)
	v_lshlrev_b32_e32 v11, 2, v35
	v_cndmask_b32_e64 v10, 0x7fffffff, 0, vcc_lo
	s_delay_alu instid0(VALU_DEP_1) | instskip(NEXT) | instid1(VALU_DEP_1)
	v_xor_b32_e32 v10, v10, v4
	v_cmp_ne_u32_e32 vcc_lo, 0x80000000, v10
	v_cndmask_b32_e32 v10, 0x7fffffff, v10, vcc_lo
	s_delay_alu instid0(VALU_DEP_1) | instskip(NEXT) | instid1(VALU_DEP_1)
	v_lshrrev_b32_e32 v10, s57, v10
	v_and_b32_e32 v10, s31, v10
	s_delay_alu instid0(VALU_DEP_1) | instskip(SKIP_2) | instid1(SALU_CYCLE_1)
	v_lshl_or_b32 v10, v10, 4, v11
	ds_add_u32 v10, v71
	s_or_b32 exec_lo, exec_lo, s8
	s_mov_b32 s8, exec_lo
	v_cmpx_lt_u32_e64 v34, v0
	s_cbranch_execnz .LBB1333_377
.LBB1333_370:                           ;   in Loop: Header=BB1333_350 Depth=2
	s_or_b32 exec_lo, exec_lo, s8
	s_delay_alu instid0(SALU_CYCLE_1)
	s_mov_b32 s8, exec_lo
	v_cmpx_lt_u32_e64 v38, v0
	s_cbranch_execz .LBB1333_378
.LBB1333_371:                           ;   in Loop: Header=BB1333_350 Depth=2
	v_cmp_gt_i32_e32 vcc_lo, 0, v6
	s_waitcnt vmcnt(5)
	v_lshlrev_b32_e32 v11, 2, v35
	v_cndmask_b32_e64 v10, 0x7fffffff, 0, vcc_lo
	s_delay_alu instid0(VALU_DEP_1) | instskip(NEXT) | instid1(VALU_DEP_1)
	v_xor_b32_e32 v10, v10, v6
	v_cmp_ne_u32_e32 vcc_lo, 0x80000000, v10
	v_cndmask_b32_e32 v10, 0x7fffffff, v10, vcc_lo
	s_delay_alu instid0(VALU_DEP_1) | instskip(NEXT) | instid1(VALU_DEP_1)
	v_lshrrev_b32_e32 v10, s57, v10
	v_and_b32_e32 v10, s31, v10
	s_delay_alu instid0(VALU_DEP_1) | instskip(SKIP_2) | instid1(SALU_CYCLE_1)
	v_lshl_or_b32 v10, v10, 4, v11
	ds_add_u32 v10, v71
	s_or_b32 exec_lo, exec_lo, s8
	s_mov_b32 s8, exec_lo
	v_cmpx_lt_u32_e64 v39, v0
	s_cbranch_execnz .LBB1333_379
.LBB1333_372:                           ;   in Loop: Header=BB1333_350 Depth=2
	s_or_b32 exec_lo, exec_lo, s8
	s_delay_alu instid0(SALU_CYCLE_1)
	s_mov_b32 s8, exec_lo
	v_cmpx_lt_u32_e64 v40, v0
	s_cbranch_execz .LBB1333_380
.LBB1333_373:                           ;   in Loop: Header=BB1333_350 Depth=2
	v_cmp_gt_i32_e32 vcc_lo, 0, v8
	s_waitcnt vmcnt(5)
	v_lshlrev_b32_e32 v11, 2, v35
	v_cndmask_b32_e64 v10, 0x7fffffff, 0, vcc_lo
	s_delay_alu instid0(VALU_DEP_1) | instskip(NEXT) | instid1(VALU_DEP_1)
	v_xor_b32_e32 v10, v10, v8
	v_cmp_ne_u32_e32 vcc_lo, 0x80000000, v10
	v_cndmask_b32_e32 v10, 0x7fffffff, v10, vcc_lo
	s_delay_alu instid0(VALU_DEP_1) | instskip(NEXT) | instid1(VALU_DEP_1)
	v_lshrrev_b32_e32 v10, s57, v10
	v_and_b32_e32 v10, s31, v10
	s_delay_alu instid0(VALU_DEP_1) | instskip(SKIP_2) | instid1(SALU_CYCLE_1)
	v_lshl_or_b32 v10, v10, 4, v11
	ds_add_u32 v10, v71
	s_or_b32 exec_lo, exec_lo, s8
	s_mov_b32 s8, exec_lo
	v_cmpx_lt_u32_e64 v42, v0
	s_cbranch_execz .LBB1333_349
	s_branch .LBB1333_381
.LBB1333_374:                           ;   in Loop: Header=BB1333_350 Depth=2
	s_or_b32 exec_lo, exec_lo, s8
	s_delay_alu instid0(SALU_CYCLE_1)
	s_mov_b32 s8, exec_lo
	v_cmpx_lt_u32_e64 v32, v0
	s_cbranch_execz .LBB1333_368
.LBB1333_375:                           ;   in Loop: Header=BB1333_350 Depth=2
	v_cmp_gt_i32_e32 vcc_lo, 0, v3
	s_waitcnt vmcnt(5)
	v_lshlrev_b32_e32 v11, 2, v35
	v_cndmask_b32_e64 v10, 0x7fffffff, 0, vcc_lo
	s_delay_alu instid0(VALU_DEP_1) | instskip(NEXT) | instid1(VALU_DEP_1)
	v_xor_b32_e32 v10, v10, v3
	v_cmp_ne_u32_e32 vcc_lo, 0x80000000, v10
	v_cndmask_b32_e32 v10, 0x7fffffff, v10, vcc_lo
	s_delay_alu instid0(VALU_DEP_1) | instskip(NEXT) | instid1(VALU_DEP_1)
	v_lshrrev_b32_e32 v10, s57, v10
	v_and_b32_e32 v10, s31, v10
	s_delay_alu instid0(VALU_DEP_1) | instskip(SKIP_2) | instid1(SALU_CYCLE_1)
	v_lshl_or_b32 v10, v10, 4, v11
	ds_add_u32 v10, v71
	s_or_b32 exec_lo, exec_lo, s8
	s_mov_b32 s8, exec_lo
	v_cmpx_lt_u32_e64 v33, v0
	s_cbranch_execnz .LBB1333_369
.LBB1333_376:                           ;   in Loop: Header=BB1333_350 Depth=2
	s_or_b32 exec_lo, exec_lo, s8
	s_delay_alu instid0(SALU_CYCLE_1)
	s_mov_b32 s8, exec_lo
	v_cmpx_lt_u32_e64 v34, v0
	s_cbranch_execz .LBB1333_370
.LBB1333_377:                           ;   in Loop: Header=BB1333_350 Depth=2
	v_cmp_gt_i32_e32 vcc_lo, 0, v5
	s_waitcnt vmcnt(5)
	v_lshlrev_b32_e32 v11, 2, v35
	v_cndmask_b32_e64 v10, 0x7fffffff, 0, vcc_lo
	s_delay_alu instid0(VALU_DEP_1) | instskip(NEXT) | instid1(VALU_DEP_1)
	v_xor_b32_e32 v10, v10, v5
	v_cmp_ne_u32_e32 vcc_lo, 0x80000000, v10
	v_cndmask_b32_e32 v10, 0x7fffffff, v10, vcc_lo
	s_delay_alu instid0(VALU_DEP_1) | instskip(NEXT) | instid1(VALU_DEP_1)
	v_lshrrev_b32_e32 v10, s57, v10
	v_and_b32_e32 v10, s31, v10
	s_delay_alu instid0(VALU_DEP_1) | instskip(SKIP_2) | instid1(SALU_CYCLE_1)
	v_lshl_or_b32 v10, v10, 4, v11
	ds_add_u32 v10, v71
	s_or_b32 exec_lo, exec_lo, s8
	s_mov_b32 s8, exec_lo
	v_cmpx_lt_u32_e64 v38, v0
	s_cbranch_execnz .LBB1333_371
.LBB1333_378:                           ;   in Loop: Header=BB1333_350 Depth=2
	s_or_b32 exec_lo, exec_lo, s8
	s_delay_alu instid0(SALU_CYCLE_1)
	s_mov_b32 s8, exec_lo
	v_cmpx_lt_u32_e64 v39, v0
	s_cbranch_execz .LBB1333_372
.LBB1333_379:                           ;   in Loop: Header=BB1333_350 Depth=2
	v_cmp_gt_i32_e32 vcc_lo, 0, v7
	s_waitcnt vmcnt(5)
	v_lshlrev_b32_e32 v11, 2, v35
	v_cndmask_b32_e64 v10, 0x7fffffff, 0, vcc_lo
	s_delay_alu instid0(VALU_DEP_1) | instskip(NEXT) | instid1(VALU_DEP_1)
	v_xor_b32_e32 v10, v10, v7
	v_cmp_ne_u32_e32 vcc_lo, 0x80000000, v10
	v_cndmask_b32_e32 v10, 0x7fffffff, v10, vcc_lo
	s_delay_alu instid0(VALU_DEP_1) | instskip(NEXT) | instid1(VALU_DEP_1)
	v_lshrrev_b32_e32 v10, s57, v10
	v_and_b32_e32 v10, s31, v10
	s_delay_alu instid0(VALU_DEP_1) | instskip(SKIP_2) | instid1(SALU_CYCLE_1)
	v_lshl_or_b32 v10, v10, 4, v11
	ds_add_u32 v10, v71
	s_or_b32 exec_lo, exec_lo, s8
	s_mov_b32 s8, exec_lo
	v_cmpx_lt_u32_e64 v40, v0
	s_cbranch_execnz .LBB1333_373
.LBB1333_380:                           ;   in Loop: Header=BB1333_350 Depth=2
	s_or_b32 exec_lo, exec_lo, s8
	s_delay_alu instid0(SALU_CYCLE_1)
	s_mov_b32 s8, exec_lo
	v_cmpx_lt_u32_e64 v42, v0
	s_cbranch_execz .LBB1333_349
.LBB1333_381:                           ;   in Loop: Header=BB1333_350 Depth=2
	v_cmp_gt_i32_e32 vcc_lo, 0, v9
	s_waitcnt vmcnt(6)
	v_lshlrev_b32_e32 v10, 2, v35
	v_cndmask_b32_e64 v0, 0x7fffffff, 0, vcc_lo
	s_delay_alu instid0(VALU_DEP_1) | instskip(NEXT) | instid1(VALU_DEP_1)
	v_xor_b32_e32 v0, v0, v9
	v_cmp_ne_u32_e32 vcc_lo, 0x80000000, v0
	v_cndmask_b32_e32 v0, 0x7fffffff, v0, vcc_lo
	s_delay_alu instid0(VALU_DEP_1) | instskip(NEXT) | instid1(VALU_DEP_1)
	v_lshrrev_b32_e32 v0, s57, v0
	v_and_b32_e32 v0, s31, v0
	s_delay_alu instid0(VALU_DEP_1)
	v_lshl_or_b32 v0, v0, 4, v10
	ds_add_u32 v0, v71
	s_branch .LBB1333_349
.LBB1333_382:                           ;   in Loop: Header=BB1333_350 Depth=2
	s_or_b32 exec_lo, exec_lo, s11
	s_delay_alu instid0(SALU_CYCLE_1)
	s_mov_b32 s11, exec_lo
	v_cmpx_gt_u32_e64 s1, v32
	s_cbranch_execz .LBB1333_356
.LBB1333_383:                           ;   in Loop: Header=BB1333_350 Depth=2
	v_lshlrev_b32_e32 v0, 2, v18
	global_load_b32 v3, v0, s[8:9] offset:1024
	s_or_b32 exec_lo, exec_lo, s11
	s_delay_alu instid0(SALU_CYCLE_1)
	s_mov_b32 s11, exec_lo
	v_cmpx_gt_u32_e64 s1, v33
	s_cbranch_execnz .LBB1333_357
.LBB1333_384:                           ;   in Loop: Header=BB1333_350 Depth=2
	s_or_b32 exec_lo, exec_lo, s11
	s_delay_alu instid0(SALU_CYCLE_1)
	s_mov_b32 s11, exec_lo
	v_cmpx_gt_u32_e64 s1, v34
	s_cbranch_execz .LBB1333_358
.LBB1333_385:                           ;   in Loop: Header=BB1333_350 Depth=2
	v_lshlrev_b32_e32 v0, 2, v18
	global_load_b32 v5, v0, s[8:9] offset:3072
	s_or_b32 exec_lo, exec_lo, s11
	s_delay_alu instid0(SALU_CYCLE_1)
	s_mov_b32 s11, exec_lo
	v_cmpx_gt_u32_e64 s1, v38
	s_cbranch_execnz .LBB1333_359
.LBB1333_386:                           ;   in Loop: Header=BB1333_350 Depth=2
	s_or_b32 exec_lo, exec_lo, s11
	s_delay_alu instid0(SALU_CYCLE_1)
	s_mov_b32 s11, exec_lo
	v_cmpx_gt_u32_e64 s1, v39
	s_cbranch_execz .LBB1333_360
.LBB1333_387:                           ;   in Loop: Header=BB1333_350 Depth=2
	v_lshlrev_b32_e32 v0, 2, v39
	global_load_b32 v7, v0, s[8:9]
	s_or_b32 exec_lo, exec_lo, s11
	s_delay_alu instid0(SALU_CYCLE_1)
	s_mov_b32 s11, exec_lo
	v_cmpx_gt_u32_e64 s1, v40
	s_cbranch_execz .LBB1333_362
	s_branch .LBB1333_361
.LBB1333_388:                           ;   in Loop: Header=BB1333_12 Depth=1
	v_mov_b32_e32 v0, 0
	s_waitcnt vmcnt(0) lgkmcnt(0)
	s_barrier
	buffer_gl0_inv
	s_and_saveexec_b32 s1, s2
	s_cbranch_execz .LBB1333_390
; %bb.389:                              ;   in Loop: Header=BB1333_12 Depth=1
	ds_load_2addr_b64 v[2:5], v43 offset1:1
	s_waitcnt lgkmcnt(0)
	v_add_nc_u32_e32 v0, v3, v2
	s_delay_alu instid0(VALU_DEP_1)
	v_add3_u32 v0, v0, v4, v5
.LBB1333_390:                           ;   in Loop: Header=BB1333_12 Depth=1
	s_or_b32 exec_lo, exec_lo, s1
	v_and_b32_e32 v2, 15, v72
	s_delay_alu instid0(VALU_DEP_2) | instskip(SKIP_1) | instid1(VALU_DEP_3)
	v_mov_b32_dpp v3, v0 row_shr:1 row_mask:0xf bank_mask:0xf
	v_and_b32_e32 v4, 16, v72
	v_cmp_eq_u32_e64 s1, 0, v2
	v_cmp_lt_u32_e64 s7, 1, v2
	v_cmp_lt_u32_e64 s8, 3, v2
	;; [unrolled: 1-line block ×3, first 2 shown]
	v_cmp_eq_u32_e64 s10, 0, v4
	v_cndmask_b32_e64 v3, v3, 0, s1
	s_delay_alu instid0(VALU_DEP_1) | instskip(NEXT) | instid1(VALU_DEP_1)
	v_add_nc_u32_e32 v0, v3, v0
	v_mov_b32_dpp v3, v0 row_shr:2 row_mask:0xf bank_mask:0xf
	s_delay_alu instid0(VALU_DEP_1) | instskip(NEXT) | instid1(VALU_DEP_1)
	v_cndmask_b32_e64 v3, 0, v3, s7
	v_add_nc_u32_e32 v0, v0, v3
	s_delay_alu instid0(VALU_DEP_1) | instskip(NEXT) | instid1(VALU_DEP_1)
	v_mov_b32_dpp v3, v0 row_shr:4 row_mask:0xf bank_mask:0xf
	v_cndmask_b32_e64 v3, 0, v3, s8
	s_delay_alu instid0(VALU_DEP_1) | instskip(NEXT) | instid1(VALU_DEP_1)
	v_add_nc_u32_e32 v0, v0, v3
	v_mov_b32_dpp v3, v0 row_shr:8 row_mask:0xf bank_mask:0xf
	s_delay_alu instid0(VALU_DEP_1) | instskip(SKIP_1) | instid1(VALU_DEP_2)
	v_cndmask_b32_e64 v2, 0, v3, s9
	v_bfe_i32 v3, v72, 4, 1
	v_add_nc_u32_e32 v0, v0, v2
	ds_swizzle_b32 v2, v0 offset:swizzle(BROADCAST,32,15)
	s_waitcnt lgkmcnt(0)
	v_and_b32_e32 v2, v3, v2
	s_delay_alu instid0(VALU_DEP_1)
	v_add_nc_u32_e32 v2, v0, v2
	s_and_saveexec_b32 s11, s3
	s_cbranch_execz .LBB1333_392
; %bb.391:                              ;   in Loop: Header=BB1333_12 Depth=1
	ds_store_b32 v44, v2
.LBB1333_392:                           ;   in Loop: Header=BB1333_12 Depth=1
	s_or_b32 exec_lo, exec_lo, s11
	v_and_b32_e32 v0, 7, v72
	s_waitcnt lgkmcnt(0)
	s_barrier
	buffer_gl0_inv
	s_and_saveexec_b32 s11, s4
	s_cbranch_execz .LBB1333_394
; %bb.393:                              ;   in Loop: Header=BB1333_12 Depth=1
	ds_load_b32 v3, v45
	v_cmp_ne_u32_e32 vcc_lo, 0, v0
	s_waitcnt lgkmcnt(0)
	v_mov_b32_dpp v4, v3 row_shr:1 row_mask:0xf bank_mask:0xf
	s_delay_alu instid0(VALU_DEP_1) | instskip(SKIP_1) | instid1(VALU_DEP_2)
	v_cndmask_b32_e32 v4, 0, v4, vcc_lo
	v_cmp_lt_u32_e32 vcc_lo, 1, v0
	v_add_nc_u32_e32 v3, v4, v3
	s_delay_alu instid0(VALU_DEP_1) | instskip(NEXT) | instid1(VALU_DEP_1)
	v_mov_b32_dpp v4, v3 row_shr:2 row_mask:0xf bank_mask:0xf
	v_cndmask_b32_e32 v4, 0, v4, vcc_lo
	v_cmp_lt_u32_e32 vcc_lo, 3, v0
	s_delay_alu instid0(VALU_DEP_2) | instskip(NEXT) | instid1(VALU_DEP_1)
	v_add_nc_u32_e32 v3, v3, v4
	v_mov_b32_dpp v4, v3 row_shr:4 row_mask:0xf bank_mask:0xf
	s_delay_alu instid0(VALU_DEP_1) | instskip(NEXT) | instid1(VALU_DEP_1)
	v_cndmask_b32_e32 v4, 0, v4, vcc_lo
	v_add_nc_u32_e32 v3, v3, v4
	ds_store_b32 v45, v3
.LBB1333_394:                           ;   in Loop: Header=BB1333_12 Depth=1
	s_or_b32 exec_lo, exec_lo, s11
	v_mov_b32_e32 v3, 0
	s_waitcnt lgkmcnt(0)
	s_barrier
	buffer_gl0_inv
	s_and_saveexec_b32 s11, s5
	s_cbranch_execz .LBB1333_396
; %bb.395:                              ;   in Loop: Header=BB1333_12 Depth=1
	ds_load_b32 v3, v46
.LBB1333_396:                           ;   in Loop: Header=BB1333_12 Depth=1
	s_or_b32 exec_lo, exec_lo, s11
	v_add_nc_u32_e32 v4, -1, v72
	s_waitcnt lgkmcnt(0)
	v_add_nc_u32_e32 v2, v3, v2
	v_cmp_eq_u32_e64 s11, 0, v72
	s_barrier
	v_cmp_gt_i32_e32 vcc_lo, 0, v4
	buffer_gl0_inv
	v_cndmask_b32_e32 v4, v4, v72, vcc_lo
	s_delay_alu instid0(VALU_DEP_1)
	v_lshlrev_b32_e32 v73, 2, v4
	ds_bpermute_b32 v2, v73, v2
	s_and_saveexec_b32 s12, s2
	s_cbranch_execz .LBB1333_398
; %bb.397:                              ;   in Loop: Header=BB1333_12 Depth=1
	s_waitcnt lgkmcnt(0)
	v_cndmask_b32_e64 v2, v2, v3, s11
	s_delay_alu instid0(VALU_DEP_1)
	v_add_nc_u32_e32 v2, s27, v2
	ds_store_b32 v31, v2
.LBB1333_398:                           ;   in Loop: Header=BB1333_12 Depth=1
	s_or_b32 exec_lo, exec_lo, s12
	s_load_b64 s[12:13], s[28:29], 0x0
	v_lshlrev_b32_e32 v3, 3, v72
	v_cmp_lt_u32_e64 s14, 3, v0
	v_or_b32_e32 v74, v72, v47
	s_mov_b32 s50, s35
	s_mov_b32 s24, s27
	v_add_co_u32 v75, vcc_lo, v67, v3
	v_add_co_ci_u32_e32 v76, vcc_lo, 0, v68, vcc_lo
	v_or_b32_e32 v77, 32, v74
	v_or_b32_e32 v78, 64, v74
	;; [unrolled: 1-line block ×7, first 2 shown]
                                        ; implicit-def: $vgpr10_vgpr11
                                        ; implicit-def: $vgpr12_vgpr13
                                        ; implicit-def: $vgpr14_vgpr15
                                        ; implicit-def: $vgpr16_vgpr17
                                        ; implicit-def: $vgpr21_vgpr22
                                        ; implicit-def: $vgpr23_vgpr24
                                        ; implicit-def: $vgpr25_vgpr26
                                        ; implicit-def: $vgpr27_vgpr28
                                        ; implicit-def: $vgpr89
                                        ; implicit-def: $vgpr90
                                        ; implicit-def: $vgpr91
                                        ; implicit-def: $vgpr92
                                        ; implicit-def: $vgpr93
                                        ; implicit-def: $vgpr94
                                        ; implicit-def: $vgpr95
                                        ; implicit-def: $vgpr96
	s_waitcnt lgkmcnt(0)
	s_cmp_lt_u32 s15, s13
	s_cselect_b32 s13, 14, 20
	s_delay_alu instid0(SALU_CYCLE_1) | instskip(SKIP_4) | instid1(SALU_CYCLE_1)
	s_add_u32 s16, s28, s13
	s_addc_u32 s17, s29, 0
	s_cmp_lt_u32 s26, s12
	global_load_u16 v2, v20, s[16:17]
	s_cselect_b32 s12, 12, 18
	s_add_u32 s12, s28, s12
	s_addc_u32 s13, s29, 0
	global_load_u16 v4, v20, s[12:13]
	v_cmp_eq_u32_e64 s12, 0, v0
	v_cmp_lt_u32_e64 s13, 1, v0
	v_lshlrev_b32_e32 v0, 2, v72
	s_delay_alu instid0(VALU_DEP_1) | instskip(SKIP_1) | instid1(VALU_DEP_2)
	v_add_co_u32 v84, vcc_lo, v69, v0
	v_add_co_ci_u32_e32 v85, vcc_lo, 0, v70, vcc_lo
	v_add_co_u32 v87, vcc_lo, 0x380, v84
	s_delay_alu instid0(VALU_DEP_2) | instskip(SKIP_3) | instid1(VALU_DEP_1)
	v_add_co_ci_u32_e32 v88, vcc_lo, 0, v85, vcc_lo
	s_waitcnt vmcnt(1)
	v_mad_u32_u24 v5, v48, v2, v50
	s_waitcnt vmcnt(0)
	v_mad_u64_u32 v[2:3], null, v5, v4, v[18:19]
	s_delay_alu instid0(VALU_DEP_1)
	v_lshrrev_b32_e32 v86, 5, v2
	s_branch .LBB1333_400
.LBB1333_399:                           ;   in Loop: Header=BB1333_400 Depth=2
	s_or_b32 exec_lo, exec_lo, s16
	s_addk_i32 s50, 0xf800
	s_cmp_lt_u32 s51, s33
	s_mov_b32 s24, s51
	s_cbranch_scc0 .LBB1333_512
.LBB1333_400:                           ;   Parent Loop BB1333_12 Depth=1
                                        ; =>  This Inner Loop Header: Depth=2
	s_add_i32 s51, s24, 0x800
	s_delay_alu instid0(SALU_CYCLE_1)
	s_cmp_gt_u32 s51, s33
	s_cbranch_scc1 .LBB1333_402
; %bb.401:                              ;   in Loop: Header=BB1333_400 Depth=2
	s_mov_b32 s17, 0
	s_mov_b32 s16, s24
	s_delay_alu instid0(SALU_CYCLE_1) | instskip(NEXT) | instid1(SALU_CYCLE_1)
	s_lshl_b64 s[18:19], s[16:17], 2
	v_add_co_u32 v8, vcc_lo, v84, s18
	v_add_co_ci_u32_e32 v9, vcc_lo, s19, v85, vcc_lo
	s_mov_b32 s19, -1
	s_movk_i32 s18, 0x800
	s_clause 0x6
	global_load_b32 v2, v[8:9], off
	global_load_b32 v3, v[8:9], off offset:128
	global_load_b32 v4, v[8:9], off offset:256
	;; [unrolled: 1-line block ×6, first 2 shown]
	s_cbranch_execz .LBB1333_403
	s_branch .LBB1333_412
.LBB1333_402:                           ;   in Loop: Header=BB1333_400 Depth=2
	s_mov_b32 s17, -1
	s_mov_b32 s19, 0
                                        ; implicit-def: $sgpr18
                                        ; implicit-def: $vgpr2_vgpr3_vgpr4_vgpr5_vgpr6_vgpr7_vgpr8_vgpr9
.LBB1333_403:                           ;   in Loop: Header=BB1333_400 Depth=2
	s_lshl_b64 s[16:17], s[24:25], 2
	s_mov_b32 s37, s36
	v_add_co_u32 v29, vcc_lo, v84, s16
	s_mov_b32 s38, s36
	s_mov_b32 s39, s36
	;; [unrolled: 1-line block ×6, first 2 shown]
	s_waitcnt vmcnt(0)
	v_dual_mov_b32 v2, s36 :: v_dual_mov_b32 v3, s37
	v_add_co_ci_u32_e32 v30, vcc_lo, s17, v85, vcc_lo
	v_dual_mov_b32 v4, s38 :: v_dual_mov_b32 v5, s39
	v_dual_mov_b32 v6, s40 :: v_dual_mov_b32 v7, s41
	;; [unrolled: 1-line block ×3, first 2 shown]
	s_mov_b32 s16, exec_lo
	v_cmpx_gt_u32_e64 s50, v74
	s_cbranch_execz .LBB1333_506
; %bb.404:                              ;   in Loop: Header=BB1333_400 Depth=2
	global_load_b32 v0, v[29:30], off
	v_mov_b32_e32 v7, v1
	v_mov_b32_e32 v2, v1
	;; [unrolled: 1-line block ×6, first 2 shown]
	s_waitcnt vmcnt(0)
	v_mov_b32_e32 v9, v7
	s_delay_alu instid0(VALU_DEP_2)
	v_dual_mov_b32 v8, v6 :: v_dual_mov_b32 v7, v5
	v_mov_b32_e32 v6, v4
	v_mov_b32_e32 v5, v3
	;; [unrolled: 1-line block ×5, first 2 shown]
	s_or_b32 exec_lo, exec_lo, s16
	s_delay_alu instid0(SALU_CYCLE_1)
	s_mov_b32 s16, exec_lo
	v_cmpx_gt_u32_e64 s50, v77
	s_cbranch_execnz .LBB1333_507
.LBB1333_405:                           ;   in Loop: Header=BB1333_400 Depth=2
	s_or_b32 exec_lo, exec_lo, s16
	s_delay_alu instid0(SALU_CYCLE_1)
	s_mov_b32 s16, exec_lo
	v_cmpx_gt_u32_e64 s50, v78
	s_cbranch_execz .LBB1333_508
.LBB1333_406:                           ;   in Loop: Header=BB1333_400 Depth=2
	global_load_b32 v4, v[29:30], off offset:256
	s_or_b32 exec_lo, exec_lo, s16
	s_delay_alu instid0(SALU_CYCLE_1)
	s_mov_b32 s16, exec_lo
	v_cmpx_gt_u32_e64 s50, v79
	s_cbranch_execnz .LBB1333_509
.LBB1333_407:                           ;   in Loop: Header=BB1333_400 Depth=2
	s_or_b32 exec_lo, exec_lo, s16
	s_delay_alu instid0(SALU_CYCLE_1)
	s_mov_b32 s16, exec_lo
	v_cmpx_gt_u32_e64 s50, v80
	s_cbranch_execz .LBB1333_510
.LBB1333_408:                           ;   in Loop: Header=BB1333_400 Depth=2
	global_load_b32 v6, v[29:30], off offset:512
	s_or_b32 exec_lo, exec_lo, s16
	s_delay_alu instid0(SALU_CYCLE_1)
	s_mov_b32 s16, exec_lo
	v_cmpx_gt_u32_e64 s50, v81
	s_cbranch_execnz .LBB1333_511
.LBB1333_409:                           ;   in Loop: Header=BB1333_400 Depth=2
	s_or_b32 exec_lo, exec_lo, s16
	s_delay_alu instid0(SALU_CYCLE_1)
	s_mov_b32 s16, exec_lo
	v_cmpx_gt_u32_e64 s50, v82
	s_cbranch_execz .LBB1333_411
.LBB1333_410:                           ;   in Loop: Header=BB1333_400 Depth=2
	global_load_b32 v8, v[29:30], off offset:768
.LBB1333_411:                           ;   in Loop: Header=BB1333_400 Depth=2
	s_or_b32 exec_lo, exec_lo, s16
	v_cmp_gt_u32_e64 s19, s50, v83
	s_sub_i32 s18, s33, s24
	s_mov_b64 s[16:17], s[24:25]
.LBB1333_412:                           ;   in Loop: Header=BB1333_400 Depth=2
	v_mov_b32_e32 v0, s50
	s_delay_alu instid0(VALU_DEP_2)
	s_and_saveexec_b32 s20, s19
	s_cbranch_execz .LBB1333_414
; %bb.413:                              ;   in Loop: Header=BB1333_400 Depth=2
	s_lshl_b64 s[16:17], s[16:17], 2
	v_mov_b32_e32 v0, s18
	v_add_co_u32 v29, vcc_lo, v87, s16
	v_add_co_ci_u32_e32 v30, vcc_lo, s17, v88, vcc_lo
	global_load_b32 v9, v[29:30], off
.LBB1333_414:                           ;   in Loop: Header=BB1333_400 Depth=2
	s_or_b32 exec_lo, exec_lo, s20
	s_waitcnt vmcnt(6)
	v_cmp_gt_i32_e32 vcc_lo, 0, v2
	ds_store_b32 v49, v20 offset:1056
	ds_store_2addr_b32 v51, v20, v20 offset0:1 offset1:2
	ds_store_2addr_b32 v51, v20, v20 offset0:3 offset1:4
	;; [unrolled: 1-line block ×4, first 2 shown]
	s_waitcnt vmcnt(0) lgkmcnt(0)
	s_barrier
	v_cndmask_b32_e64 v19, 0x7fffffff, 0, vcc_lo
	buffer_gl0_inv
	; wave barrier
	v_xor_b32_e32 v19, v19, v2
	s_delay_alu instid0(VALU_DEP_1) | instskip(SKIP_1) | instid1(VALU_DEP_1)
	v_cmp_ne_u32_e32 vcc_lo, 0x80000000, v19
	v_cndmask_b32_e32 v2, 0x7fffffff, v19, vcc_lo
	v_lshrrev_b32_e32 v2, s57, v2
	s_delay_alu instid0(VALU_DEP_1) | instskip(NEXT) | instid1(VALU_DEP_1)
	v_and_b32_e32 v30, s31, v2
	v_lshlrev_b32_e32 v29, 30, v30
	v_and_b32_e32 v2, 1, v30
	v_lshlrev_b32_e32 v97, 29, v30
	v_lshlrev_b32_e32 v98, 28, v30
	;; [unrolled: 1-line block ×3, first 2 shown]
	v_not_b32_e32 v103, v29
	v_add_co_u32 v2, s16, v2, -1
	s_delay_alu instid0(VALU_DEP_1)
	v_cndmask_b32_e64 v99, 0, 1, s16
	v_cmp_gt_i32_e64 s16, 0, v29
	v_not_b32_e32 v29, v97
	v_ashrrev_i32_e32 v103, 31, v103
	v_lshlrev_b32_e32 v101, 26, v30
	v_cmp_ne_u32_e32 vcc_lo, 0, v99
	v_lshlrev_b32_e32 v102, 25, v30
	v_ashrrev_i32_e32 v29, 31, v29
	v_xor_b32_e32 v103, s16, v103
	v_cmp_gt_i32_e64 s16, 0, v98
	v_xor_b32_e32 v2, vcc_lo, v2
	v_cmp_gt_i32_e32 vcc_lo, 0, v97
	v_not_b32_e32 v97, v98
	v_not_b32_e32 v98, v100
	v_lshlrev_b32_e32 v99, 24, v30
	v_and_b32_e32 v2, exec_lo, v2
	v_xor_b32_e32 v29, vcc_lo, v29
	v_ashrrev_i32_e32 v97, 31, v97
	v_cmp_gt_i32_e32 vcc_lo, 0, v100
	v_not_b32_e32 v100, v101
	v_and_b32_e32 v2, v2, v103
	v_ashrrev_i32_e32 v98, 31, v98
	v_xor_b32_e32 v97, s16, v97
	v_cmp_gt_i32_e64 s16, 0, v101
	v_ashrrev_i32_e32 v100, 31, v100
	v_and_b32_e32 v2, v2, v29
	v_not_b32_e32 v29, v102
	v_xor_b32_e32 v98, vcc_lo, v98
	v_cmp_gt_i32_e32 vcc_lo, 0, v102
	v_xor_b32_e32 v100, s16, v100
	v_and_b32_e32 v2, v2, v97
	v_not_b32_e32 v97, v99
	v_ashrrev_i32_e32 v29, 31, v29
	v_cmp_gt_i32_e64 s16, 0, v99
	v_mad_u32_u24 v30, v30, 9, v86
	v_and_b32_e32 v2, v2, v98
	v_ashrrev_i32_e32 v97, 31, v97
	v_xor_b32_e32 v29, vcc_lo, v29
	s_delay_alu instid0(VALU_DEP_3) | instskip(NEXT) | instid1(VALU_DEP_3)
	v_and_b32_e32 v2, v2, v100
	v_xor_b32_e32 v97, s16, v97
	s_delay_alu instid0(VALU_DEP_2) | instskip(NEXT) | instid1(VALU_DEP_1)
	v_and_b32_e32 v2, v2, v29
	v_and_b32_e32 v2, v2, v97
	v_lshl_add_u32 v97, v30, 2, 0x420
	s_delay_alu instid0(VALU_DEP_2) | instskip(SKIP_1) | instid1(VALU_DEP_2)
	v_mbcnt_lo_u32_b32 v29, v2, 0
	v_cmp_ne_u32_e64 s16, 0, v2
	v_cmp_eq_u32_e32 vcc_lo, 0, v29
	s_delay_alu instid0(VALU_DEP_2) | instskip(NEXT) | instid1(SALU_CYCLE_1)
	s_and_b32 s17, s16, vcc_lo
	s_and_saveexec_b32 s16, s17
	s_cbranch_execz .LBB1333_416
; %bb.415:                              ;   in Loop: Header=BB1333_400 Depth=2
	v_bcnt_u32_b32 v2, v2, 0
	ds_store_b32 v97, v2
.LBB1333_416:                           ;   in Loop: Header=BB1333_400 Depth=2
	s_or_b32 exec_lo, exec_lo, s16
	v_cmp_gt_i32_e32 vcc_lo, 0, v3
	; wave barrier
	v_cndmask_b32_e64 v2, 0x7fffffff, 0, vcc_lo
	s_delay_alu instid0(VALU_DEP_1) | instskip(NEXT) | instid1(VALU_DEP_1)
	v_xor_b32_e32 v30, v2, v3
	v_cmp_ne_u32_e32 vcc_lo, 0x80000000, v30
	v_cndmask_b32_e32 v2, 0x7fffffff, v30, vcc_lo
	s_delay_alu instid0(VALU_DEP_1) | instskip(NEXT) | instid1(VALU_DEP_1)
	v_lshrrev_b32_e32 v2, s57, v2
	v_and_b32_e32 v2, s31, v2
	s_delay_alu instid0(VALU_DEP_1)
	v_and_b32_e32 v3, 1, v2
	v_lshlrev_b32_e32 v98, 30, v2
	v_lshlrev_b32_e32 v99, 29, v2
	;; [unrolled: 1-line block ×4, first 2 shown]
	v_add_co_u32 v3, s16, v3, -1
	s_delay_alu instid0(VALU_DEP_1)
	v_cndmask_b32_e64 v101, 0, 1, s16
	v_not_b32_e32 v105, v98
	v_cmp_gt_i32_e64 s16, 0, v98
	v_not_b32_e32 v98, v99
	v_lshlrev_b32_e32 v103, 26, v2
	v_cmp_ne_u32_e32 vcc_lo, 0, v101
	v_ashrrev_i32_e32 v105, 31, v105
	v_lshlrev_b32_e32 v104, 25, v2
	v_ashrrev_i32_e32 v98, 31, v98
	v_lshlrev_b32_e32 v101, 24, v2
	v_xor_b32_e32 v3, vcc_lo, v3
	v_cmp_gt_i32_e32 vcc_lo, 0, v99
	v_not_b32_e32 v99, v100
	v_xor_b32_e32 v105, s16, v105
	v_cmp_gt_i32_e64 s16, 0, v100
	v_and_b32_e32 v3, exec_lo, v3
	v_not_b32_e32 v100, v102
	v_ashrrev_i32_e32 v99, 31, v99
	v_xor_b32_e32 v98, vcc_lo, v98
	v_cmp_gt_i32_e32 vcc_lo, 0, v102
	v_and_b32_e32 v3, v3, v105
	v_not_b32_e32 v102, v103
	v_ashrrev_i32_e32 v100, 31, v100
	v_xor_b32_e32 v99, s16, v99
	v_cmp_gt_i32_e64 s16, 0, v103
	v_and_b32_e32 v3, v3, v98
	v_not_b32_e32 v98, v104
	v_ashrrev_i32_e32 v102, 31, v102
	v_xor_b32_e32 v100, vcc_lo, v100
	v_cmp_gt_i32_e32 vcc_lo, 0, v104
	v_and_b32_e32 v3, v3, v99
	v_not_b32_e32 v99, v101
	v_ashrrev_i32_e32 v98, 31, v98
	v_xor_b32_e32 v102, s16, v102
	v_mul_u32_u24_e32 v2, 9, v2
	v_and_b32_e32 v3, v3, v100
	v_cmp_gt_i32_e64 s16, 0, v101
	v_ashrrev_i32_e32 v99, 31, v99
	v_xor_b32_e32 v98, vcc_lo, v98
	v_add_lshl_u32 v100, v2, v86, 2
	v_and_b32_e32 v3, v3, v102
	s_delay_alu instid0(VALU_DEP_4) | instskip(NEXT) | instid1(VALU_DEP_3)
	v_xor_b32_e32 v2, s16, v99
	v_add_nc_u32_e32 v101, 0x420, v100
	s_delay_alu instid0(VALU_DEP_3) | instskip(SKIP_2) | instid1(VALU_DEP_1)
	v_and_b32_e32 v3, v3, v98
	ds_load_b32 v98, v100 offset:1056
	; wave barrier
	v_and_b32_e32 v2, v3, v2
	v_mbcnt_lo_u32_b32 v99, v2, 0
	v_cmp_ne_u32_e64 s16, 0, v2
	s_delay_alu instid0(VALU_DEP_2) | instskip(NEXT) | instid1(VALU_DEP_2)
	v_cmp_eq_u32_e32 vcc_lo, 0, v99
	s_and_b32 s17, s16, vcc_lo
	s_delay_alu instid0(SALU_CYCLE_1)
	s_and_saveexec_b32 s16, s17
	s_cbranch_execz .LBB1333_418
; %bb.417:                              ;   in Loop: Header=BB1333_400 Depth=2
	s_waitcnt lgkmcnt(0)
	v_bcnt_u32_b32 v2, v2, v98
	ds_store_b32 v101, v2
.LBB1333_418:                           ;   in Loop: Header=BB1333_400 Depth=2
	s_or_b32 exec_lo, exec_lo, s16
	v_cmp_gt_i32_e32 vcc_lo, 0, v4
	; wave barrier
	v_cndmask_b32_e64 v2, 0x7fffffff, 0, vcc_lo
	s_delay_alu instid0(VALU_DEP_1) | instskip(NEXT) | instid1(VALU_DEP_1)
	v_xor_b32_e32 v100, v2, v4
	v_cmp_ne_u32_e32 vcc_lo, 0x80000000, v100
	v_cndmask_b32_e32 v2, 0x7fffffff, v100, vcc_lo
	s_delay_alu instid0(VALU_DEP_1) | instskip(NEXT) | instid1(VALU_DEP_1)
	v_lshrrev_b32_e32 v2, s57, v2
	v_and_b32_e32 v2, s31, v2
	s_delay_alu instid0(VALU_DEP_1)
	v_and_b32_e32 v3, 1, v2
	v_lshlrev_b32_e32 v4, 30, v2
	v_lshlrev_b32_e32 v102, 29, v2
	;; [unrolled: 1-line block ×4, first 2 shown]
	v_add_co_u32 v3, s16, v3, -1
	s_delay_alu instid0(VALU_DEP_1)
	v_cndmask_b32_e64 v104, 0, 1, s16
	v_not_b32_e32 v108, v4
	v_cmp_gt_i32_e64 s16, 0, v4
	v_not_b32_e32 v4, v102
	v_lshlrev_b32_e32 v106, 26, v2
	v_cmp_ne_u32_e32 vcc_lo, 0, v104
	v_ashrrev_i32_e32 v108, 31, v108
	v_lshlrev_b32_e32 v107, 25, v2
	v_ashrrev_i32_e32 v4, 31, v4
	v_lshlrev_b32_e32 v104, 24, v2
	v_xor_b32_e32 v3, vcc_lo, v3
	v_cmp_gt_i32_e32 vcc_lo, 0, v102
	v_not_b32_e32 v102, v103
	v_xor_b32_e32 v108, s16, v108
	v_cmp_gt_i32_e64 s16, 0, v103
	v_and_b32_e32 v3, exec_lo, v3
	v_not_b32_e32 v103, v105
	v_ashrrev_i32_e32 v102, 31, v102
	v_xor_b32_e32 v4, vcc_lo, v4
	v_cmp_gt_i32_e32 vcc_lo, 0, v105
	v_and_b32_e32 v3, v3, v108
	v_not_b32_e32 v105, v106
	v_ashrrev_i32_e32 v103, 31, v103
	v_xor_b32_e32 v102, s16, v102
	v_cmp_gt_i32_e64 s16, 0, v106
	v_and_b32_e32 v3, v3, v4
	v_not_b32_e32 v4, v107
	v_ashrrev_i32_e32 v105, 31, v105
	v_xor_b32_e32 v103, vcc_lo, v103
	v_cmp_gt_i32_e32 vcc_lo, 0, v107
	v_and_b32_e32 v3, v3, v102
	v_not_b32_e32 v102, v104
	v_ashrrev_i32_e32 v4, 31, v4
	v_xor_b32_e32 v105, s16, v105
	v_mul_u32_u24_e32 v2, 9, v2
	v_and_b32_e32 v3, v3, v103
	v_cmp_gt_i32_e64 s16, 0, v104
	v_ashrrev_i32_e32 v102, 31, v102
	v_xor_b32_e32 v4, vcc_lo, v4
	v_add_lshl_u32 v103, v2, v86, 2
	v_and_b32_e32 v3, v3, v105
	s_delay_alu instid0(VALU_DEP_4) | instskip(SKIP_3) | instid1(VALU_DEP_2)
	v_xor_b32_e32 v2, s16, v102
	ds_load_b32 v102, v103 offset:1056
	v_and_b32_e32 v3, v3, v4
	v_add_nc_u32_e32 v105, 0x420, v103
	; wave barrier
	v_and_b32_e32 v2, v3, v2
	s_delay_alu instid0(VALU_DEP_1) | instskip(SKIP_1) | instid1(VALU_DEP_2)
	v_mbcnt_lo_u32_b32 v104, v2, 0
	v_cmp_ne_u32_e64 s16, 0, v2
	v_cmp_eq_u32_e32 vcc_lo, 0, v104
	s_delay_alu instid0(VALU_DEP_2) | instskip(NEXT) | instid1(SALU_CYCLE_1)
	s_and_b32 s17, s16, vcc_lo
	s_and_saveexec_b32 s16, s17
	s_cbranch_execz .LBB1333_420
; %bb.419:                              ;   in Loop: Header=BB1333_400 Depth=2
	s_waitcnt lgkmcnt(0)
	v_bcnt_u32_b32 v2, v2, v102
	ds_store_b32 v105, v2
.LBB1333_420:                           ;   in Loop: Header=BB1333_400 Depth=2
	s_or_b32 exec_lo, exec_lo, s16
	v_cmp_gt_i32_e32 vcc_lo, 0, v5
	; wave barrier
	v_cndmask_b32_e64 v2, 0x7fffffff, 0, vcc_lo
	s_delay_alu instid0(VALU_DEP_1) | instskip(NEXT) | instid1(VALU_DEP_1)
	v_xor_b32_e32 v103, v2, v5
	v_cmp_ne_u32_e32 vcc_lo, 0x80000000, v103
	v_cndmask_b32_e32 v2, 0x7fffffff, v103, vcc_lo
	s_delay_alu instid0(VALU_DEP_1) | instskip(NEXT) | instid1(VALU_DEP_1)
	v_lshrrev_b32_e32 v2, s57, v2
	v_and_b32_e32 v2, s31, v2
	s_delay_alu instid0(VALU_DEP_1)
	v_and_b32_e32 v3, 1, v2
	v_lshlrev_b32_e32 v4, 30, v2
	v_lshlrev_b32_e32 v5, 29, v2
	;; [unrolled: 1-line block ×4, first 2 shown]
	v_add_co_u32 v3, s16, v3, -1
	s_delay_alu instid0(VALU_DEP_1)
	v_cndmask_b32_e64 v107, 0, 1, s16
	v_not_b32_e32 v111, v4
	v_cmp_gt_i32_e64 s16, 0, v4
	v_not_b32_e32 v4, v5
	v_lshlrev_b32_e32 v109, 26, v2
	v_cmp_ne_u32_e32 vcc_lo, 0, v107
	v_ashrrev_i32_e32 v111, 31, v111
	v_lshlrev_b32_e32 v110, 25, v2
	v_ashrrev_i32_e32 v4, 31, v4
	v_lshlrev_b32_e32 v107, 24, v2
	v_xor_b32_e32 v3, vcc_lo, v3
	v_cmp_gt_i32_e32 vcc_lo, 0, v5
	v_not_b32_e32 v5, v106
	v_xor_b32_e32 v111, s16, v111
	v_cmp_gt_i32_e64 s16, 0, v106
	v_and_b32_e32 v3, exec_lo, v3
	v_not_b32_e32 v106, v108
	v_ashrrev_i32_e32 v5, 31, v5
	v_xor_b32_e32 v4, vcc_lo, v4
	v_cmp_gt_i32_e32 vcc_lo, 0, v108
	v_and_b32_e32 v3, v3, v111
	v_not_b32_e32 v108, v109
	v_ashrrev_i32_e32 v106, 31, v106
	v_xor_b32_e32 v5, s16, v5
	v_cmp_gt_i32_e64 s16, 0, v109
	v_and_b32_e32 v3, v3, v4
	v_not_b32_e32 v4, v110
	v_ashrrev_i32_e32 v108, 31, v108
	v_xor_b32_e32 v106, vcc_lo, v106
	v_cmp_gt_i32_e32 vcc_lo, 0, v110
	v_and_b32_e32 v3, v3, v5
	v_not_b32_e32 v5, v107
	v_ashrrev_i32_e32 v4, 31, v4
	v_xor_b32_e32 v108, s16, v108
	v_mul_u32_u24_e32 v2, 9, v2
	v_and_b32_e32 v3, v3, v106
	v_cmp_gt_i32_e64 s16, 0, v107
	v_ashrrev_i32_e32 v5, 31, v5
	v_xor_b32_e32 v4, vcc_lo, v4
	v_add_lshl_u32 v106, v2, v86, 2
	v_and_b32_e32 v3, v3, v108
	s_delay_alu instid0(VALU_DEP_4) | instskip(SKIP_3) | instid1(VALU_DEP_2)
	v_xor_b32_e32 v2, s16, v5
	ds_load_b32 v107, v106 offset:1056
	v_and_b32_e32 v3, v3, v4
	v_add_nc_u32_e32 v109, 0x420, v106
	; wave barrier
	v_and_b32_e32 v2, v3, v2
	s_delay_alu instid0(VALU_DEP_1) | instskip(SKIP_1) | instid1(VALU_DEP_2)
	v_mbcnt_lo_u32_b32 v108, v2, 0
	v_cmp_ne_u32_e64 s16, 0, v2
	v_cmp_eq_u32_e32 vcc_lo, 0, v108
	s_delay_alu instid0(VALU_DEP_2) | instskip(NEXT) | instid1(SALU_CYCLE_1)
	s_and_b32 s17, s16, vcc_lo
	s_and_saveexec_b32 s16, s17
	s_cbranch_execz .LBB1333_422
; %bb.421:                              ;   in Loop: Header=BB1333_400 Depth=2
	s_waitcnt lgkmcnt(0)
	v_bcnt_u32_b32 v2, v2, v107
	ds_store_b32 v109, v2
.LBB1333_422:                           ;   in Loop: Header=BB1333_400 Depth=2
	s_or_b32 exec_lo, exec_lo, s16
	v_cmp_gt_i32_e32 vcc_lo, 0, v6
	; wave barrier
	v_cndmask_b32_e64 v2, 0x7fffffff, 0, vcc_lo
	s_delay_alu instid0(VALU_DEP_1) | instskip(NEXT) | instid1(VALU_DEP_1)
	v_xor_b32_e32 v106, v2, v6
	v_cmp_ne_u32_e32 vcc_lo, 0x80000000, v106
	v_cndmask_b32_e32 v2, 0x7fffffff, v106, vcc_lo
	s_delay_alu instid0(VALU_DEP_1) | instskip(NEXT) | instid1(VALU_DEP_1)
	v_lshrrev_b32_e32 v2, s57, v2
	v_and_b32_e32 v2, s31, v2
	s_delay_alu instid0(VALU_DEP_1)
	v_and_b32_e32 v3, 1, v2
	v_lshlrev_b32_e32 v4, 30, v2
	v_lshlrev_b32_e32 v5, 29, v2
	;; [unrolled: 1-line block ×4, first 2 shown]
	v_add_co_u32 v3, s16, v3, -1
	s_delay_alu instid0(VALU_DEP_1)
	v_cndmask_b32_e64 v110, 0, 1, s16
	v_not_b32_e32 v114, v4
	v_cmp_gt_i32_e64 s16, 0, v4
	v_not_b32_e32 v4, v5
	v_lshlrev_b32_e32 v112, 26, v2
	v_cmp_ne_u32_e32 vcc_lo, 0, v110
	v_ashrrev_i32_e32 v114, 31, v114
	v_lshlrev_b32_e32 v113, 25, v2
	v_ashrrev_i32_e32 v4, 31, v4
	v_lshlrev_b32_e32 v110, 24, v2
	v_xor_b32_e32 v3, vcc_lo, v3
	v_cmp_gt_i32_e32 vcc_lo, 0, v5
	v_not_b32_e32 v5, v6
	v_xor_b32_e32 v114, s16, v114
	v_cmp_gt_i32_e64 s16, 0, v6
	v_and_b32_e32 v3, exec_lo, v3
	v_not_b32_e32 v6, v111
	v_ashrrev_i32_e32 v5, 31, v5
	v_xor_b32_e32 v4, vcc_lo, v4
	v_cmp_gt_i32_e32 vcc_lo, 0, v111
	v_and_b32_e32 v3, v3, v114
	v_not_b32_e32 v111, v112
	v_ashrrev_i32_e32 v6, 31, v6
	v_xor_b32_e32 v5, s16, v5
	v_cmp_gt_i32_e64 s16, 0, v112
	v_and_b32_e32 v3, v3, v4
	v_not_b32_e32 v4, v113
	v_ashrrev_i32_e32 v111, 31, v111
	v_xor_b32_e32 v6, vcc_lo, v6
	v_cmp_gt_i32_e32 vcc_lo, 0, v113
	v_and_b32_e32 v3, v3, v5
	v_not_b32_e32 v5, v110
	v_ashrrev_i32_e32 v4, 31, v4
	v_xor_b32_e32 v111, s16, v111
	v_mul_u32_u24_e32 v2, 9, v2
	v_and_b32_e32 v3, v3, v6
	v_cmp_gt_i32_e64 s16, 0, v110
	v_ashrrev_i32_e32 v5, 31, v5
	v_xor_b32_e32 v4, vcc_lo, v4
	v_add_lshl_u32 v6, v2, v86, 2
	v_and_b32_e32 v3, v3, v111
	s_delay_alu instid0(VALU_DEP_4) | instskip(SKIP_3) | instid1(VALU_DEP_2)
	v_xor_b32_e32 v2, s16, v5
	ds_load_b32 v111, v6 offset:1056
	v_and_b32_e32 v3, v3, v4
	v_add_nc_u32_e32 v113, 0x420, v6
	; wave barrier
	v_and_b32_e32 v2, v3, v2
	s_delay_alu instid0(VALU_DEP_1) | instskip(SKIP_1) | instid1(VALU_DEP_2)
	v_mbcnt_lo_u32_b32 v112, v2, 0
	v_cmp_ne_u32_e64 s16, 0, v2
	v_cmp_eq_u32_e32 vcc_lo, 0, v112
	s_delay_alu instid0(VALU_DEP_2) | instskip(NEXT) | instid1(SALU_CYCLE_1)
	s_and_b32 s17, s16, vcc_lo
	s_and_saveexec_b32 s16, s17
	s_cbranch_execz .LBB1333_424
; %bb.423:                              ;   in Loop: Header=BB1333_400 Depth=2
	s_waitcnt lgkmcnt(0)
	v_bcnt_u32_b32 v2, v2, v111
	ds_store_b32 v113, v2
.LBB1333_424:                           ;   in Loop: Header=BB1333_400 Depth=2
	s_or_b32 exec_lo, exec_lo, s16
	v_cmp_gt_i32_e32 vcc_lo, 0, v7
	; wave barrier
	v_cndmask_b32_e64 v2, 0x7fffffff, 0, vcc_lo
	s_delay_alu instid0(VALU_DEP_1) | instskip(NEXT) | instid1(VALU_DEP_1)
	v_xor_b32_e32 v110, v2, v7
	v_cmp_ne_u32_e32 vcc_lo, 0x80000000, v110
	v_cndmask_b32_e32 v2, 0x7fffffff, v110, vcc_lo
	s_delay_alu instid0(VALU_DEP_1) | instskip(NEXT) | instid1(VALU_DEP_1)
	v_lshrrev_b32_e32 v2, s57, v2
	v_and_b32_e32 v2, s31, v2
	s_delay_alu instid0(VALU_DEP_1)
	v_and_b32_e32 v3, 1, v2
	v_lshlrev_b32_e32 v4, 30, v2
	v_lshlrev_b32_e32 v5, 29, v2
	;; [unrolled: 1-line block ×4, first 2 shown]
	v_add_co_u32 v3, s16, v3, -1
	s_delay_alu instid0(VALU_DEP_1)
	v_cndmask_b32_e64 v7, 0, 1, s16
	v_not_b32_e32 v117, v4
	v_cmp_gt_i32_e64 s16, 0, v4
	v_not_b32_e32 v4, v5
	v_lshlrev_b32_e32 v115, 26, v2
	v_cmp_ne_u32_e32 vcc_lo, 0, v7
	v_ashrrev_i32_e32 v117, 31, v117
	v_lshlrev_b32_e32 v116, 25, v2
	v_ashrrev_i32_e32 v4, 31, v4
	v_lshlrev_b32_e32 v7, 24, v2
	v_xor_b32_e32 v3, vcc_lo, v3
	v_cmp_gt_i32_e32 vcc_lo, 0, v5
	v_not_b32_e32 v5, v6
	v_xor_b32_e32 v117, s16, v117
	v_cmp_gt_i32_e64 s16, 0, v6
	v_and_b32_e32 v3, exec_lo, v3
	v_not_b32_e32 v6, v114
	v_ashrrev_i32_e32 v5, 31, v5
	v_xor_b32_e32 v4, vcc_lo, v4
	v_cmp_gt_i32_e32 vcc_lo, 0, v114
	v_and_b32_e32 v3, v3, v117
	v_not_b32_e32 v114, v115
	v_ashrrev_i32_e32 v6, 31, v6
	v_xor_b32_e32 v5, s16, v5
	v_cmp_gt_i32_e64 s16, 0, v115
	v_and_b32_e32 v3, v3, v4
	v_not_b32_e32 v4, v116
	v_ashrrev_i32_e32 v114, 31, v114
	v_xor_b32_e32 v6, vcc_lo, v6
	v_cmp_gt_i32_e32 vcc_lo, 0, v116
	v_and_b32_e32 v3, v3, v5
	v_not_b32_e32 v5, v7
	v_ashrrev_i32_e32 v4, 31, v4
	v_xor_b32_e32 v114, s16, v114
	v_mul_u32_u24_e32 v2, 9, v2
	v_and_b32_e32 v3, v3, v6
	v_cmp_gt_i32_e64 s16, 0, v7
	v_ashrrev_i32_e32 v5, 31, v5
	v_xor_b32_e32 v4, vcc_lo, v4
	v_add_lshl_u32 v6, v2, v86, 2
	v_and_b32_e32 v3, v3, v114
	s_delay_alu instid0(VALU_DEP_4) | instskip(SKIP_3) | instid1(VALU_DEP_2)
	v_xor_b32_e32 v2, s16, v5
	ds_load_b32 v115, v6 offset:1056
	v_and_b32_e32 v3, v3, v4
	v_add_nc_u32_e32 v117, 0x420, v6
	; wave barrier
	v_and_b32_e32 v2, v3, v2
	s_delay_alu instid0(VALU_DEP_1) | instskip(SKIP_1) | instid1(VALU_DEP_2)
	v_mbcnt_lo_u32_b32 v116, v2, 0
	v_cmp_ne_u32_e64 s16, 0, v2
	v_cmp_eq_u32_e32 vcc_lo, 0, v116
	s_delay_alu instid0(VALU_DEP_2) | instskip(NEXT) | instid1(SALU_CYCLE_1)
	s_and_b32 s17, s16, vcc_lo
	s_and_saveexec_b32 s16, s17
	s_cbranch_execz .LBB1333_426
; %bb.425:                              ;   in Loop: Header=BB1333_400 Depth=2
	s_waitcnt lgkmcnt(0)
	v_bcnt_u32_b32 v2, v2, v115
	ds_store_b32 v117, v2
.LBB1333_426:                           ;   in Loop: Header=BB1333_400 Depth=2
	s_or_b32 exec_lo, exec_lo, s16
	v_cmp_gt_i32_e32 vcc_lo, 0, v8
	; wave barrier
	v_cndmask_b32_e64 v2, 0x7fffffff, 0, vcc_lo
	s_delay_alu instid0(VALU_DEP_1) | instskip(NEXT) | instid1(VALU_DEP_1)
	v_xor_b32_e32 v114, v2, v8
	v_cmp_ne_u32_e32 vcc_lo, 0x80000000, v114
	v_cndmask_b32_e32 v2, 0x7fffffff, v114, vcc_lo
	s_delay_alu instid0(VALU_DEP_1) | instskip(NEXT) | instid1(VALU_DEP_1)
	v_lshrrev_b32_e32 v2, s57, v2
	v_and_b32_e32 v2, s31, v2
	s_delay_alu instid0(VALU_DEP_1)
	v_and_b32_e32 v3, 1, v2
	v_lshlrev_b32_e32 v4, 30, v2
	v_lshlrev_b32_e32 v5, 29, v2
	;; [unrolled: 1-line block ×4, first 2 shown]
	v_add_co_u32 v3, s16, v3, -1
	s_delay_alu instid0(VALU_DEP_1)
	v_cndmask_b32_e64 v7, 0, 1, s16
	v_not_b32_e32 v120, v4
	v_cmp_gt_i32_e64 s16, 0, v4
	v_not_b32_e32 v4, v5
	v_lshlrev_b32_e32 v118, 26, v2
	v_cmp_ne_u32_e32 vcc_lo, 0, v7
	v_ashrrev_i32_e32 v120, 31, v120
	v_lshlrev_b32_e32 v119, 25, v2
	v_ashrrev_i32_e32 v4, 31, v4
	v_lshlrev_b32_e32 v7, 24, v2
	v_xor_b32_e32 v3, vcc_lo, v3
	v_cmp_gt_i32_e32 vcc_lo, 0, v5
	v_not_b32_e32 v5, v6
	v_xor_b32_e32 v120, s16, v120
	v_cmp_gt_i32_e64 s16, 0, v6
	v_and_b32_e32 v3, exec_lo, v3
	v_not_b32_e32 v6, v8
	v_ashrrev_i32_e32 v5, 31, v5
	v_xor_b32_e32 v4, vcc_lo, v4
	v_cmp_gt_i32_e32 vcc_lo, 0, v8
	v_and_b32_e32 v3, v3, v120
	v_not_b32_e32 v8, v118
	v_ashrrev_i32_e32 v6, 31, v6
	v_xor_b32_e32 v5, s16, v5
	v_cmp_gt_i32_e64 s16, 0, v118
	v_and_b32_e32 v3, v3, v4
	v_not_b32_e32 v4, v119
	v_ashrrev_i32_e32 v8, 31, v8
	v_xor_b32_e32 v6, vcc_lo, v6
	v_cmp_gt_i32_e32 vcc_lo, 0, v119
	v_and_b32_e32 v3, v3, v5
	v_not_b32_e32 v5, v7
	v_ashrrev_i32_e32 v4, 31, v4
	v_xor_b32_e32 v8, s16, v8
	v_mul_u32_u24_e32 v2, 9, v2
	v_and_b32_e32 v3, v3, v6
	v_cmp_gt_i32_e64 s16, 0, v7
	v_ashrrev_i32_e32 v5, 31, v5
	v_xor_b32_e32 v4, vcc_lo, v4
	v_add_lshl_u32 v6, v2, v86, 2
	v_and_b32_e32 v3, v3, v8
	s_delay_alu instid0(VALU_DEP_4) | instskip(SKIP_3) | instid1(VALU_DEP_2)
	v_xor_b32_e32 v2, s16, v5
	ds_load_b32 v119, v6 offset:1056
	v_and_b32_e32 v3, v3, v4
	v_add_nc_u32_e32 v121, 0x420, v6
	; wave barrier
	v_and_b32_e32 v2, v3, v2
	s_delay_alu instid0(VALU_DEP_1) | instskip(SKIP_1) | instid1(VALU_DEP_2)
	v_mbcnt_lo_u32_b32 v120, v2, 0
	v_cmp_ne_u32_e64 s16, 0, v2
	v_cmp_eq_u32_e32 vcc_lo, 0, v120
	s_delay_alu instid0(VALU_DEP_2) | instskip(NEXT) | instid1(SALU_CYCLE_1)
	s_and_b32 s17, s16, vcc_lo
	s_and_saveexec_b32 s16, s17
	s_cbranch_execz .LBB1333_428
; %bb.427:                              ;   in Loop: Header=BB1333_400 Depth=2
	s_waitcnt lgkmcnt(0)
	v_bcnt_u32_b32 v2, v2, v119
	ds_store_b32 v121, v2
.LBB1333_428:                           ;   in Loop: Header=BB1333_400 Depth=2
	s_or_b32 exec_lo, exec_lo, s16
	v_cmp_gt_i32_e32 vcc_lo, 0, v9
	; wave barrier
	v_cndmask_b32_e64 v2, 0x7fffffff, 0, vcc_lo
	s_delay_alu instid0(VALU_DEP_1) | instskip(NEXT) | instid1(VALU_DEP_1)
	v_xor_b32_e32 v118, v2, v9
	v_cmp_ne_u32_e32 vcc_lo, 0x80000000, v118
	v_cndmask_b32_e32 v2, 0x7fffffff, v118, vcc_lo
	s_delay_alu instid0(VALU_DEP_1) | instskip(NEXT) | instid1(VALU_DEP_1)
	v_lshrrev_b32_e32 v2, s57, v2
	v_and_b32_e32 v2, s31, v2
	s_delay_alu instid0(VALU_DEP_1)
	v_and_b32_e32 v3, 1, v2
	v_lshlrev_b32_e32 v4, 30, v2
	v_lshlrev_b32_e32 v5, 29, v2
	;; [unrolled: 1-line block ×4, first 2 shown]
	v_add_co_u32 v3, s16, v3, -1
	s_delay_alu instid0(VALU_DEP_1)
	v_cndmask_b32_e64 v7, 0, 1, s16
	v_not_b32_e32 v123, v4
	v_cmp_gt_i32_e64 s16, 0, v4
	v_not_b32_e32 v4, v5
	v_lshlrev_b32_e32 v9, 26, v2
	v_cmp_ne_u32_e32 vcc_lo, 0, v7
	v_ashrrev_i32_e32 v123, 31, v123
	v_lshlrev_b32_e32 v122, 25, v2
	v_ashrrev_i32_e32 v4, 31, v4
	v_lshlrev_b32_e32 v7, 24, v2
	v_xor_b32_e32 v3, vcc_lo, v3
	v_cmp_gt_i32_e32 vcc_lo, 0, v5
	v_not_b32_e32 v5, v6
	v_xor_b32_e32 v123, s16, v123
	v_cmp_gt_i32_e64 s16, 0, v6
	v_and_b32_e32 v3, exec_lo, v3
	v_not_b32_e32 v6, v8
	v_ashrrev_i32_e32 v5, 31, v5
	v_xor_b32_e32 v4, vcc_lo, v4
	v_cmp_gt_i32_e32 vcc_lo, 0, v8
	v_and_b32_e32 v3, v3, v123
	v_not_b32_e32 v8, v9
	v_ashrrev_i32_e32 v6, 31, v6
	v_xor_b32_e32 v5, s16, v5
	v_cmp_gt_i32_e64 s16, 0, v9
	v_and_b32_e32 v3, v3, v4
	v_not_b32_e32 v4, v122
	v_ashrrev_i32_e32 v8, 31, v8
	v_xor_b32_e32 v6, vcc_lo, v6
	v_cmp_gt_i32_e32 vcc_lo, 0, v122
	v_and_b32_e32 v3, v3, v5
	v_not_b32_e32 v5, v7
	v_ashrrev_i32_e32 v4, 31, v4
	v_xor_b32_e32 v8, s16, v8
	v_mul_u32_u24_e32 v2, 9, v2
	v_and_b32_e32 v3, v3, v6
	v_cmp_gt_i32_e64 s16, 0, v7
	v_ashrrev_i32_e32 v5, 31, v5
	v_xor_b32_e32 v4, vcc_lo, v4
	v_add_lshl_u32 v6, v2, v86, 2
	v_and_b32_e32 v3, v3, v8
	s_delay_alu instid0(VALU_DEP_4) | instskip(SKIP_3) | instid1(VALU_DEP_2)
	v_xor_b32_e32 v2, s16, v5
	ds_load_b32 v122, v6 offset:1056
	v_and_b32_e32 v3, v3, v4
	v_add_nc_u32_e32 v124, 0x420, v6
	; wave barrier
	v_and_b32_e32 v2, v3, v2
	s_delay_alu instid0(VALU_DEP_1) | instskip(SKIP_1) | instid1(VALU_DEP_2)
	v_mbcnt_lo_u32_b32 v123, v2, 0
	v_cmp_ne_u32_e64 s16, 0, v2
	v_cmp_eq_u32_e32 vcc_lo, 0, v123
	s_delay_alu instid0(VALU_DEP_2) | instskip(NEXT) | instid1(SALU_CYCLE_1)
	s_and_b32 s17, s16, vcc_lo
	s_and_saveexec_b32 s16, s17
	s_cbranch_execz .LBB1333_430
; %bb.429:                              ;   in Loop: Header=BB1333_400 Depth=2
	s_waitcnt lgkmcnt(0)
	v_bcnt_u32_b32 v2, v2, v122
	ds_store_b32 v124, v2
.LBB1333_430:                           ;   in Loop: Header=BB1333_400 Depth=2
	s_or_b32 exec_lo, exec_lo, s16
	; wave barrier
	s_waitcnt lgkmcnt(0)
	s_barrier
	buffer_gl0_inv
	ds_load_b32 v125, v49 offset:1056
	ds_load_2addr_b32 v[8:9], v51 offset0:1 offset1:2
	ds_load_2addr_b32 v[6:7], v51 offset0:3 offset1:4
	;; [unrolled: 1-line block ×4, first 2 shown]
	s_waitcnt lgkmcnt(3)
	v_add3_u32 v126, v8, v125, v9
	s_waitcnt lgkmcnt(2)
	s_delay_alu instid0(VALU_DEP_1) | instskip(SKIP_1) | instid1(VALU_DEP_1)
	v_add3_u32 v126, v126, v6, v7
	s_waitcnt lgkmcnt(1)
	v_add3_u32 v126, v126, v2, v3
	s_waitcnt lgkmcnt(0)
	s_delay_alu instid0(VALU_DEP_1) | instskip(NEXT) | instid1(VALU_DEP_1)
	v_add3_u32 v5, v126, v4, v5
	v_mov_b32_dpp v126, v5 row_shr:1 row_mask:0xf bank_mask:0xf
	s_delay_alu instid0(VALU_DEP_1) | instskip(NEXT) | instid1(VALU_DEP_1)
	v_cndmask_b32_e64 v126, v126, 0, s1
	v_add_nc_u32_e32 v5, v126, v5
	s_delay_alu instid0(VALU_DEP_1) | instskip(NEXT) | instid1(VALU_DEP_1)
	v_mov_b32_dpp v126, v5 row_shr:2 row_mask:0xf bank_mask:0xf
	v_cndmask_b32_e64 v126, 0, v126, s7
	s_delay_alu instid0(VALU_DEP_1) | instskip(NEXT) | instid1(VALU_DEP_1)
	v_add_nc_u32_e32 v5, v5, v126
	v_mov_b32_dpp v126, v5 row_shr:4 row_mask:0xf bank_mask:0xf
	s_delay_alu instid0(VALU_DEP_1) | instskip(NEXT) | instid1(VALU_DEP_1)
	v_cndmask_b32_e64 v126, 0, v126, s8
	v_add_nc_u32_e32 v5, v5, v126
	s_delay_alu instid0(VALU_DEP_1) | instskip(NEXT) | instid1(VALU_DEP_1)
	v_mov_b32_dpp v126, v5 row_shr:8 row_mask:0xf bank_mask:0xf
	v_cndmask_b32_e64 v126, 0, v126, s9
	s_delay_alu instid0(VALU_DEP_1) | instskip(SKIP_3) | instid1(VALU_DEP_1)
	v_add_nc_u32_e32 v5, v5, v126
	ds_swizzle_b32 v126, v5 offset:swizzle(BROADCAST,32,15)
	s_waitcnt lgkmcnt(0)
	v_cndmask_b32_e64 v126, v126, 0, s10
	v_add_nc_u32_e32 v5, v5, v126
	s_and_saveexec_b32 s16, s3
	s_cbranch_execz .LBB1333_432
; %bb.431:                              ;   in Loop: Header=BB1333_400 Depth=2
	ds_store_b32 v41, v5 offset:1024
.LBB1333_432:                           ;   in Loop: Header=BB1333_400 Depth=2
	s_or_b32 exec_lo, exec_lo, s16
	s_waitcnt lgkmcnt(0)
	s_barrier
	buffer_gl0_inv
	s_and_saveexec_b32 s16, s4
	s_cbranch_execz .LBB1333_434
; %bb.433:                              ;   in Loop: Header=BB1333_400 Depth=2
	ds_load_b32 v126, v52 offset:1024
	s_waitcnt lgkmcnt(0)
	v_mov_b32_dpp v127, v126 row_shr:1 row_mask:0xf bank_mask:0xf
	s_delay_alu instid0(VALU_DEP_1) | instskip(NEXT) | instid1(VALU_DEP_1)
	v_cndmask_b32_e64 v127, v127, 0, s12
	v_add_nc_u32_e32 v126, v127, v126
	s_delay_alu instid0(VALU_DEP_1) | instskip(NEXT) | instid1(VALU_DEP_1)
	v_mov_b32_dpp v127, v126 row_shr:2 row_mask:0xf bank_mask:0xf
	v_cndmask_b32_e64 v127, 0, v127, s13
	s_delay_alu instid0(VALU_DEP_1) | instskip(NEXT) | instid1(VALU_DEP_1)
	v_add_nc_u32_e32 v126, v126, v127
	v_mov_b32_dpp v127, v126 row_shr:4 row_mask:0xf bank_mask:0xf
	s_delay_alu instid0(VALU_DEP_1) | instskip(NEXT) | instid1(VALU_DEP_1)
	v_cndmask_b32_e64 v127, 0, v127, s14
	v_add_nc_u32_e32 v126, v126, v127
	ds_store_b32 v52, v126 offset:1024
.LBB1333_434:                           ;   in Loop: Header=BB1333_400 Depth=2
	s_or_b32 exec_lo, exec_lo, s16
	v_mov_b32_e32 v126, 0
	s_waitcnt lgkmcnt(0)
	s_barrier
	buffer_gl0_inv
	s_and_saveexec_b32 s16, s5
	s_cbranch_execz .LBB1333_436
; %bb.435:                              ;   in Loop: Header=BB1333_400 Depth=2
	ds_load_b32 v126, v41 offset:1020
.LBB1333_436:                           ;   in Loop: Header=BB1333_400 Depth=2
	s_or_b32 exec_lo, exec_lo, s16
	s_waitcnt lgkmcnt(0)
	v_add_nc_u32_e32 v5, v126, v5
	ds_bpermute_b32 v5, v73, v5
	s_waitcnt lgkmcnt(0)
	v_cndmask_b32_e64 v5, v5, v126, s11
	s_delay_alu instid0(VALU_DEP_1) | instskip(NEXT) | instid1(VALU_DEP_1)
	v_cndmask_b32_e64 v5, v5, 0, s0
	v_add_nc_u32_e32 v125, v5, v125
	s_delay_alu instid0(VALU_DEP_1) | instskip(NEXT) | instid1(VALU_DEP_1)
	v_add_nc_u32_e32 v8, v125, v8
	v_add_nc_u32_e32 v9, v8, v9
	s_delay_alu instid0(VALU_DEP_1) | instskip(NEXT) | instid1(VALU_DEP_1)
	v_add_nc_u32_e32 v6, v9, v6
	;; [unrolled: 3-line block ×3, first 2 shown]
	v_add_nc_u32_e32 v3, v2, v3
	s_delay_alu instid0(VALU_DEP_1)
	v_add_nc_u32_e32 v4, v3, v4
	ds_store_b32 v49, v5 offset:1056
	ds_store_2addr_b32 v51, v125, v8 offset0:1 offset1:2
	ds_store_2addr_b32 v51, v9, v6 offset0:3 offset1:4
	;; [unrolled: 1-line block ×4, first 2 shown]
	v_mov_b32_e32 v4, 0x800
	s_waitcnt lgkmcnt(0)
	s_barrier
	buffer_gl0_inv
	ds_load_b32 v5, v101
	ds_load_b32 v6, v105
	;; [unrolled: 1-line block ×8, first 2 shown]
	ds_load_b32 v101, v49 offset:1056
	s_and_saveexec_b32 s16, s6
	s_cbranch_execz .LBB1333_438
; %bb.437:                              ;   in Loop: Header=BB1333_400 Depth=2
	ds_load_b32 v4, v53 offset:1056
.LBB1333_438:                           ;   in Loop: Header=BB1333_400 Depth=2
	s_or_b32 exec_lo, exec_lo, s16
	s_waitcnt lgkmcnt(0)
	s_barrier
	buffer_gl0_inv
	s_and_saveexec_b32 s16, s2
	s_cbranch_execz .LBB1333_440
; %bb.439:                              ;   in Loop: Header=BB1333_400 Depth=2
	ds_load_b32 v105, v31
	s_waitcnt lgkmcnt(0)
	v_sub_nc_u32_e32 v101, v105, v101
	ds_store_b32 v31, v101
.LBB1333_440:                           ;   in Loop: Header=BB1333_400 Depth=2
	s_or_b32 exec_lo, exec_lo, s16
	v_add_nc_u32_e32 v101, v97, v29
	v_add3_u32 v29, v104, v102, v6
	v_add3_u32 v7, v108, v107, v7
	;; [unrolled: 1-line block ×5, first 2 shown]
	v_lshlrev_b32_e32 v98, 2, v101
	v_add3_u32 v8, v120, v119, v3
	v_lshlrev_b32_e32 v3, 2, v29
	v_add3_u32 v9, v123, v122, v2
	v_lshlrev_b32_e32 v2, 2, v7
	v_lshlrev_b32_e32 v99, 2, v97
	ds_store_b32 v98, v19 offset:1024
	ds_store_b32 v99, v30 offset:1024
	;; [unrolled: 1-line block ×3, first 2 shown]
	v_lshlrev_b32_e32 v3, 2, v6
	ds_store_b32 v2, v103 offset:1024
	v_lshlrev_b32_e32 v2, 2, v9
	v_cmp_lt_u32_e32 vcc_lo, v18, v0
	v_lshlrev_b32_e32 v19, 2, v5
	v_lshlrev_b32_e32 v30, 2, v8
	ds_store_b32 v3, v106 offset:1024
	ds_store_b32 v19, v110 offset:1024
	;; [unrolled: 1-line block ×4, first 2 shown]
	s_waitcnt lgkmcnt(0)
	s_barrier
	buffer_gl0_inv
	s_and_saveexec_b32 s17, vcc_lo
	s_cbranch_execz .LBB1333_448
; %bb.441:                              ;   in Loop: Header=BB1333_400 Depth=2
	ds_load_b32 v30, v52 offset:1024
	s_waitcnt lgkmcnt(0)
	v_cmp_ne_u32_e64 s16, 0x80000000, v30
	s_delay_alu instid0(VALU_DEP_1) | instskip(SKIP_1) | instid1(VALU_DEP_2)
	v_cndmask_b32_e64 v2, 0x7fffffff, v30, s16
	v_cmp_gt_i32_e64 s16, 0, v30
	v_lshrrev_b32_e32 v2, s57, v2
	s_delay_alu instid0(VALU_DEP_2) | instskip(NEXT) | instid1(VALU_DEP_2)
	v_cndmask_b32_e64 v98, 0x7fffffff, 0, s16
	v_and_b32_e32 v2, s31, v2
	s_delay_alu instid0(VALU_DEP_1) | instskip(SKIP_3) | instid1(VALU_DEP_1)
	v_lshlrev_b32_e32 v2, 2, v2
	ds_load_b32 v2, v2
	s_waitcnt lgkmcnt(0)
	v_add_nc_u32_e32 v19, v2, v18
	v_lshlrev_b64 v[2:3], 2, v[19:20]
	v_xor_b32_e32 v19, v98, v30
	s_delay_alu instid0(VALU_DEP_2) | instskip(NEXT) | instid1(VALU_DEP_1)
	v_add_co_u32 v2, s16, s46, v2
	v_add_co_ci_u32_e64 v3, s16, s47, v3, s16
	global_store_b32 v[2:3], v19, off
	s_or_b32 exec_lo, exec_lo, s17
	v_cmp_lt_u32_e64 s16, v32, v0
	s_delay_alu instid0(VALU_DEP_1)
	s_and_saveexec_b32 s18, s16
	s_cbranch_execnz .LBB1333_449
.LBB1333_442:                           ;   in Loop: Header=BB1333_400 Depth=2
	s_or_b32 exec_lo, exec_lo, s18
	v_cmp_lt_u32_e64 s17, v33, v0
	s_delay_alu instid0(VALU_DEP_1)
	s_and_saveexec_b32 s19, s17
	s_cbranch_execz .LBB1333_450
.LBB1333_443:                           ;   in Loop: Header=BB1333_400 Depth=2
	ds_load_b32 v30, v58 offset:2048
	s_waitcnt lgkmcnt(0)
	v_cmp_ne_u32_e64 s18, 0x80000000, v30
	s_delay_alu instid0(VALU_DEP_1) | instskip(SKIP_1) | instid1(VALU_DEP_2)
	v_cndmask_b32_e64 v2, 0x7fffffff, v30, s18
	v_cmp_gt_i32_e64 s18, 0, v30
	v_lshrrev_b32_e32 v2, s57, v2
	s_delay_alu instid0(VALU_DEP_2) | instskip(NEXT) | instid1(VALU_DEP_2)
	v_cndmask_b32_e64 v98, 0x7fffffff, 0, s18
	v_and_b32_e32 v2, s31, v2
	s_delay_alu instid0(VALU_DEP_1) | instskip(SKIP_3) | instid1(VALU_DEP_1)
	v_lshlrev_b32_e32 v2, 2, v2
	ds_load_b32 v2, v2
	s_waitcnt lgkmcnt(0)
	v_add_nc_u32_e32 v19, v2, v33
	v_lshlrev_b64 v[2:3], 2, v[19:20]
	v_xor_b32_e32 v19, v98, v30
	s_delay_alu instid0(VALU_DEP_2) | instskip(NEXT) | instid1(VALU_DEP_1)
	v_add_co_u32 v2, s18, s46, v2
	v_add_co_ci_u32_e64 v3, s18, s47, v3, s18
	global_store_b32 v[2:3], v19, off
	s_or_b32 exec_lo, exec_lo, s19
	v_cmp_lt_u32_e64 s18, v34, v0
	s_delay_alu instid0(VALU_DEP_1)
	s_and_saveexec_b32 s20, s18
	s_cbranch_execnz .LBB1333_451
.LBB1333_444:                           ;   in Loop: Header=BB1333_400 Depth=2
	s_or_b32 exec_lo, exec_lo, s20
	v_cmp_lt_u32_e64 s19, v38, v0
	s_delay_alu instid0(VALU_DEP_1)
	s_and_saveexec_b32 s21, s19
	s_cbranch_execz .LBB1333_452
.LBB1333_445:                           ;   in Loop: Header=BB1333_400 Depth=2
	ds_load_b32 v30, v58 offset:4096
	s_waitcnt lgkmcnt(0)
	v_cmp_ne_u32_e64 s20, 0x80000000, v30
	s_delay_alu instid0(VALU_DEP_1) | instskip(SKIP_1) | instid1(VALU_DEP_2)
	v_cndmask_b32_e64 v2, 0x7fffffff, v30, s20
	v_cmp_gt_i32_e64 s20, 0, v30
	v_lshrrev_b32_e32 v2, s57, v2
	s_delay_alu instid0(VALU_DEP_2) | instskip(NEXT) | instid1(VALU_DEP_2)
	v_cndmask_b32_e64 v98, 0x7fffffff, 0, s20
	v_and_b32_e32 v2, s31, v2
	s_delay_alu instid0(VALU_DEP_1) | instskip(SKIP_3) | instid1(VALU_DEP_1)
	v_lshlrev_b32_e32 v2, 2, v2
	ds_load_b32 v2, v2
	s_waitcnt lgkmcnt(0)
	v_add_nc_u32_e32 v19, v2, v38
	v_lshlrev_b64 v[2:3], 2, v[19:20]
	v_xor_b32_e32 v19, v98, v30
	s_delay_alu instid0(VALU_DEP_2) | instskip(NEXT) | instid1(VALU_DEP_1)
	v_add_co_u32 v2, s20, s46, v2
	v_add_co_ci_u32_e64 v3, s20, s47, v3, s20
	global_store_b32 v[2:3], v19, off
	s_or_b32 exec_lo, exec_lo, s21
	v_cmp_lt_u32_e64 s20, v39, v0
	s_delay_alu instid0(VALU_DEP_1)
	s_and_saveexec_b32 s22, s20
	s_cbranch_execnz .LBB1333_453
.LBB1333_446:                           ;   in Loop: Header=BB1333_400 Depth=2
	s_or_b32 exec_lo, exec_lo, s22
	v_cmp_lt_u32_e64 s21, v40, v0
	s_delay_alu instid0(VALU_DEP_1)
	s_and_saveexec_b32 s23, s21
	s_cbranch_execz .LBB1333_454
.LBB1333_447:                           ;   in Loop: Header=BB1333_400 Depth=2
	ds_load_b32 v30, v58 offset:6144
	s_waitcnt lgkmcnt(0)
	v_cmp_ne_u32_e64 s22, 0x80000000, v30
	s_delay_alu instid0(VALU_DEP_1) | instskip(SKIP_1) | instid1(VALU_DEP_2)
	v_cndmask_b32_e64 v2, 0x7fffffff, v30, s22
	v_cmp_gt_i32_e64 s22, 0, v30
	v_lshrrev_b32_e32 v2, s57, v2
	s_delay_alu instid0(VALU_DEP_2) | instskip(NEXT) | instid1(VALU_DEP_2)
	v_cndmask_b32_e64 v98, 0x7fffffff, 0, s22
	v_and_b32_e32 v2, s31, v2
	s_delay_alu instid0(VALU_DEP_1) | instskip(SKIP_3) | instid1(VALU_DEP_1)
	v_lshlrev_b32_e32 v2, 2, v2
	ds_load_b32 v2, v2
	s_waitcnt lgkmcnt(0)
	v_add_nc_u32_e32 v19, v2, v40
	v_lshlrev_b64 v[2:3], 2, v[19:20]
	v_xor_b32_e32 v19, v98, v30
	s_delay_alu instid0(VALU_DEP_2) | instskip(NEXT) | instid1(VALU_DEP_1)
	v_add_co_u32 v2, s22, s46, v2
	v_add_co_ci_u32_e64 v3, s22, s47, v3, s22
	global_store_b32 v[2:3], v19, off
	s_or_b32 exec_lo, exec_lo, s23
	v_cmp_lt_u32_e64 s22, v42, v0
	s_delay_alu instid0(VALU_DEP_1)
	s_and_saveexec_b32 s37, s22
	s_cbranch_execnz .LBB1333_455
	s_branch .LBB1333_456
.LBB1333_448:                           ;   in Loop: Header=BB1333_400 Depth=2
	s_or_b32 exec_lo, exec_lo, s17
	v_cmp_lt_u32_e64 s16, v32, v0
	s_delay_alu instid0(VALU_DEP_1)
	s_and_saveexec_b32 s18, s16
	s_cbranch_execz .LBB1333_442
.LBB1333_449:                           ;   in Loop: Header=BB1333_400 Depth=2
	ds_load_b32 v30, v58 offset:1024
	s_waitcnt lgkmcnt(0)
	v_cmp_ne_u32_e64 s17, 0x80000000, v30
	s_delay_alu instid0(VALU_DEP_1) | instskip(SKIP_1) | instid1(VALU_DEP_2)
	v_cndmask_b32_e64 v2, 0x7fffffff, v30, s17
	v_cmp_gt_i32_e64 s17, 0, v30
	v_lshrrev_b32_e32 v2, s57, v2
	s_delay_alu instid0(VALU_DEP_2) | instskip(NEXT) | instid1(VALU_DEP_2)
	v_cndmask_b32_e64 v98, 0x7fffffff, 0, s17
	v_and_b32_e32 v2, s31, v2
	s_delay_alu instid0(VALU_DEP_1) | instskip(SKIP_3) | instid1(VALU_DEP_1)
	v_lshlrev_b32_e32 v2, 2, v2
	ds_load_b32 v2, v2
	s_waitcnt lgkmcnt(0)
	v_add_nc_u32_e32 v19, v2, v32
	v_lshlrev_b64 v[2:3], 2, v[19:20]
	v_xor_b32_e32 v19, v98, v30
	s_delay_alu instid0(VALU_DEP_2) | instskip(NEXT) | instid1(VALU_DEP_1)
	v_add_co_u32 v2, s17, s46, v2
	v_add_co_ci_u32_e64 v3, s17, s47, v3, s17
	global_store_b32 v[2:3], v19, off
	s_or_b32 exec_lo, exec_lo, s18
	v_cmp_lt_u32_e64 s17, v33, v0
	s_delay_alu instid0(VALU_DEP_1)
	s_and_saveexec_b32 s19, s17
	s_cbranch_execnz .LBB1333_443
.LBB1333_450:                           ;   in Loop: Header=BB1333_400 Depth=2
	s_or_b32 exec_lo, exec_lo, s19
	v_cmp_lt_u32_e64 s18, v34, v0
	s_delay_alu instid0(VALU_DEP_1)
	s_and_saveexec_b32 s20, s18
	s_cbranch_execz .LBB1333_444
.LBB1333_451:                           ;   in Loop: Header=BB1333_400 Depth=2
	ds_load_b32 v30, v58 offset:3072
	s_waitcnt lgkmcnt(0)
	v_cmp_ne_u32_e64 s19, 0x80000000, v30
	s_delay_alu instid0(VALU_DEP_1) | instskip(SKIP_1) | instid1(VALU_DEP_2)
	v_cndmask_b32_e64 v2, 0x7fffffff, v30, s19
	v_cmp_gt_i32_e64 s19, 0, v30
	v_lshrrev_b32_e32 v2, s57, v2
	s_delay_alu instid0(VALU_DEP_2) | instskip(NEXT) | instid1(VALU_DEP_2)
	v_cndmask_b32_e64 v98, 0x7fffffff, 0, s19
	v_and_b32_e32 v2, s31, v2
	s_delay_alu instid0(VALU_DEP_1) | instskip(SKIP_3) | instid1(VALU_DEP_1)
	v_lshlrev_b32_e32 v2, 2, v2
	ds_load_b32 v2, v2
	s_waitcnt lgkmcnt(0)
	v_add_nc_u32_e32 v19, v2, v34
	v_lshlrev_b64 v[2:3], 2, v[19:20]
	v_xor_b32_e32 v19, v98, v30
	s_delay_alu instid0(VALU_DEP_2) | instskip(NEXT) | instid1(VALU_DEP_1)
	v_add_co_u32 v2, s19, s46, v2
	v_add_co_ci_u32_e64 v3, s19, s47, v3, s19
	global_store_b32 v[2:3], v19, off
	s_or_b32 exec_lo, exec_lo, s20
	v_cmp_lt_u32_e64 s19, v38, v0
	s_delay_alu instid0(VALU_DEP_1)
	s_and_saveexec_b32 s21, s19
	s_cbranch_execnz .LBB1333_445
.LBB1333_452:                           ;   in Loop: Header=BB1333_400 Depth=2
	s_or_b32 exec_lo, exec_lo, s21
	v_cmp_lt_u32_e64 s20, v39, v0
	s_delay_alu instid0(VALU_DEP_1)
	s_and_saveexec_b32 s22, s20
	s_cbranch_execz .LBB1333_446
.LBB1333_453:                           ;   in Loop: Header=BB1333_400 Depth=2
	ds_load_b32 v30, v58 offset:5120
	s_waitcnt lgkmcnt(0)
	v_cmp_ne_u32_e64 s21, 0x80000000, v30
	s_delay_alu instid0(VALU_DEP_1) | instskip(SKIP_1) | instid1(VALU_DEP_2)
	v_cndmask_b32_e64 v2, 0x7fffffff, v30, s21
	v_cmp_gt_i32_e64 s21, 0, v30
	v_lshrrev_b32_e32 v2, s57, v2
	s_delay_alu instid0(VALU_DEP_2) | instskip(NEXT) | instid1(VALU_DEP_2)
	v_cndmask_b32_e64 v98, 0x7fffffff, 0, s21
	v_and_b32_e32 v2, s31, v2
	s_delay_alu instid0(VALU_DEP_1) | instskip(SKIP_3) | instid1(VALU_DEP_1)
	v_lshlrev_b32_e32 v2, 2, v2
	ds_load_b32 v2, v2
	s_waitcnt lgkmcnt(0)
	v_add_nc_u32_e32 v19, v2, v39
	v_lshlrev_b64 v[2:3], 2, v[19:20]
	v_xor_b32_e32 v19, v98, v30
	s_delay_alu instid0(VALU_DEP_2) | instskip(NEXT) | instid1(VALU_DEP_1)
	v_add_co_u32 v2, s21, s46, v2
	v_add_co_ci_u32_e64 v3, s21, s47, v3, s21
	global_store_b32 v[2:3], v19, off
	s_or_b32 exec_lo, exec_lo, s22
	v_cmp_lt_u32_e64 s21, v40, v0
	s_delay_alu instid0(VALU_DEP_1)
	s_and_saveexec_b32 s23, s21
	s_cbranch_execnz .LBB1333_447
.LBB1333_454:                           ;   in Loop: Header=BB1333_400 Depth=2
	s_or_b32 exec_lo, exec_lo, s23
	v_cmp_lt_u32_e64 s22, v42, v0
	s_delay_alu instid0(VALU_DEP_1)
	s_and_saveexec_b32 s37, s22
	s_cbranch_execz .LBB1333_456
.LBB1333_455:                           ;   in Loop: Header=BB1333_400 Depth=2
	ds_load_b32 v30, v58 offset:7168
	s_waitcnt lgkmcnt(0)
	v_cmp_ne_u32_e64 s23, 0x80000000, v30
	s_delay_alu instid0(VALU_DEP_1) | instskip(SKIP_1) | instid1(VALU_DEP_2)
	v_cndmask_b32_e64 v2, 0x7fffffff, v30, s23
	v_cmp_gt_i32_e64 s23, 0, v30
	v_lshrrev_b32_e32 v2, s57, v2
	s_delay_alu instid0(VALU_DEP_2) | instskip(NEXT) | instid1(VALU_DEP_2)
	v_cndmask_b32_e64 v98, 0x7fffffff, 0, s23
	v_and_b32_e32 v2, s31, v2
	s_delay_alu instid0(VALU_DEP_1) | instskip(SKIP_3) | instid1(VALU_DEP_1)
	v_lshlrev_b32_e32 v2, 2, v2
	ds_load_b32 v2, v2
	s_waitcnt lgkmcnt(0)
	v_add_nc_u32_e32 v19, v2, v42
	v_lshlrev_b64 v[2:3], 2, v[19:20]
	v_xor_b32_e32 v19, v98, v30
	s_delay_alu instid0(VALU_DEP_2) | instskip(NEXT) | instid1(VALU_DEP_1)
	v_add_co_u32 v2, s23, s46, v2
	v_add_co_ci_u32_e64 v3, s23, s47, v3, s23
	global_store_b32 v[2:3], v19, off
.LBB1333_456:                           ;   in Loop: Header=BB1333_400 Depth=2
	s_or_b32 exec_lo, exec_lo, s37
	s_lshl_b64 s[38:39], s[24:25], 3
	s_delay_alu instid0(SALU_CYCLE_1) | instskip(NEXT) | instid1(VALU_DEP_1)
	v_add_co_u32 v2, s23, v75, s38
	v_add_co_ci_u32_e64 v3, s23, s39, v76, s23
	v_cmp_lt_u32_e64 s23, v74, v0
	s_delay_alu instid0(VALU_DEP_1) | instskip(NEXT) | instid1(SALU_CYCLE_1)
	s_and_saveexec_b32 s24, s23
	s_xor_b32 s23, exec_lo, s24
	s_cbranch_execz .LBB1333_472
; %bb.457:                              ;   in Loop: Header=BB1333_400 Depth=2
	global_load_b64 v[27:28], v[2:3], off
	s_or_b32 exec_lo, exec_lo, s23
	s_delay_alu instid0(SALU_CYCLE_1)
	s_mov_b32 s24, exec_lo
	v_cmpx_lt_u32_e64 v77, v0
	s_cbranch_execnz .LBB1333_473
.LBB1333_458:                           ;   in Loop: Header=BB1333_400 Depth=2
	s_or_b32 exec_lo, exec_lo, s24
	s_delay_alu instid0(SALU_CYCLE_1)
	s_mov_b32 s24, exec_lo
	v_cmpx_lt_u32_e64 v78, v0
	s_cbranch_execz .LBB1333_474
.LBB1333_459:                           ;   in Loop: Header=BB1333_400 Depth=2
	global_load_b64 v[23:24], v[2:3], off offset:512
	s_or_b32 exec_lo, exec_lo, s24
	s_delay_alu instid0(SALU_CYCLE_1)
	s_mov_b32 s24, exec_lo
	v_cmpx_lt_u32_e64 v79, v0
	s_cbranch_execnz .LBB1333_475
.LBB1333_460:                           ;   in Loop: Header=BB1333_400 Depth=2
	s_or_b32 exec_lo, exec_lo, s24
	s_delay_alu instid0(SALU_CYCLE_1)
	s_mov_b32 s24, exec_lo
	v_cmpx_lt_u32_e64 v80, v0
	s_cbranch_execz .LBB1333_476
.LBB1333_461:                           ;   in Loop: Header=BB1333_400 Depth=2
	global_load_b64 v[16:17], v[2:3], off offset:1024
	s_or_b32 exec_lo, exec_lo, s24
	s_delay_alu instid0(SALU_CYCLE_1)
	s_mov_b32 s24, exec_lo
	v_cmpx_lt_u32_e64 v81, v0
	s_cbranch_execnz .LBB1333_477
.LBB1333_462:                           ;   in Loop: Header=BB1333_400 Depth=2
	s_or_b32 exec_lo, exec_lo, s24
	s_delay_alu instid0(SALU_CYCLE_1)
	s_mov_b32 s24, exec_lo
	v_cmpx_lt_u32_e64 v82, v0
	s_cbranch_execz .LBB1333_478
.LBB1333_463:                           ;   in Loop: Header=BB1333_400 Depth=2
	global_load_b64 v[12:13], v[2:3], off offset:1536
	s_or_b32 exec_lo, exec_lo, s24
	s_delay_alu instid0(SALU_CYCLE_1)
	s_mov_b32 s24, exec_lo
	v_cmpx_lt_u32_e64 v83, v0
	s_cbranch_execnz .LBB1333_479
.LBB1333_464:                           ;   in Loop: Header=BB1333_400 Depth=2
	s_or_b32 exec_lo, exec_lo, s24
	s_and_saveexec_b32 s24, vcc_lo
	s_cbranch_execz .LBB1333_480
.LBB1333_465:                           ;   in Loop: Header=BB1333_400 Depth=2
	ds_load_b32 v0, v52 offset:1024
	s_waitcnt lgkmcnt(0)
	v_cmp_ne_u32_e64 s23, 0x80000000, v0
	s_delay_alu instid0(VALU_DEP_1) | instskip(NEXT) | instid1(VALU_DEP_1)
	v_cndmask_b32_e64 v0, 0x7fffffff, v0, s23
	v_lshrrev_b32_e32 v0, s57, v0
	s_delay_alu instid0(VALU_DEP_1)
	v_and_b32_e32 v96, s31, v0
	s_or_b32 exec_lo, exec_lo, s24
	s_and_saveexec_b32 s24, s16
	s_cbranch_execnz .LBB1333_481
.LBB1333_466:                           ;   in Loop: Header=BB1333_400 Depth=2
	s_or_b32 exec_lo, exec_lo, s24
	s_and_saveexec_b32 s24, s17
	s_cbranch_execz .LBB1333_482
.LBB1333_467:                           ;   in Loop: Header=BB1333_400 Depth=2
	ds_load_b32 v0, v58 offset:2048
	s_waitcnt lgkmcnt(0)
	v_cmp_ne_u32_e64 s23, 0x80000000, v0
	s_delay_alu instid0(VALU_DEP_1) | instskip(NEXT) | instid1(VALU_DEP_1)
	v_cndmask_b32_e64 v0, 0x7fffffff, v0, s23
	v_lshrrev_b32_e32 v0, s57, v0
	s_delay_alu instid0(VALU_DEP_1)
	v_and_b32_e32 v94, s31, v0
	s_or_b32 exec_lo, exec_lo, s24
	s_and_saveexec_b32 s24, s18
	s_cbranch_execnz .LBB1333_483
.LBB1333_468:                           ;   in Loop: Header=BB1333_400 Depth=2
	s_or_b32 exec_lo, exec_lo, s24
	s_and_saveexec_b32 s24, s19
	s_cbranch_execz .LBB1333_484
.LBB1333_469:                           ;   in Loop: Header=BB1333_400 Depth=2
	ds_load_b32 v0, v58 offset:4096
	s_waitcnt lgkmcnt(0)
	v_cmp_ne_u32_e64 s23, 0x80000000, v0
	s_delay_alu instid0(VALU_DEP_1) | instskip(NEXT) | instid1(VALU_DEP_1)
	v_cndmask_b32_e64 v0, 0x7fffffff, v0, s23
	v_lshrrev_b32_e32 v0, s57, v0
	s_delay_alu instid0(VALU_DEP_1)
	v_and_b32_e32 v92, s31, v0
	s_or_b32 exec_lo, exec_lo, s24
	s_and_saveexec_b32 s24, s20
	s_cbranch_execnz .LBB1333_485
.LBB1333_470:                           ;   in Loop: Header=BB1333_400 Depth=2
	s_or_b32 exec_lo, exec_lo, s24
	s_and_saveexec_b32 s24, s21
	s_cbranch_execz .LBB1333_486
.LBB1333_471:                           ;   in Loop: Header=BB1333_400 Depth=2
	ds_load_b32 v0, v58 offset:6144
	s_waitcnt lgkmcnt(0)
	v_cmp_ne_u32_e64 s23, 0x80000000, v0
	s_delay_alu instid0(VALU_DEP_1) | instskip(NEXT) | instid1(VALU_DEP_1)
	v_cndmask_b32_e64 v0, 0x7fffffff, v0, s23
	v_lshrrev_b32_e32 v0, s57, v0
	s_delay_alu instid0(VALU_DEP_1)
	v_and_b32_e32 v90, s31, v0
	s_or_b32 exec_lo, exec_lo, s24
	s_and_saveexec_b32 s24, s22
	s_cbranch_execnz .LBB1333_487
	s_branch .LBB1333_488
.LBB1333_472:                           ;   in Loop: Header=BB1333_400 Depth=2
	s_or_b32 exec_lo, exec_lo, s23
	s_delay_alu instid0(SALU_CYCLE_1)
	s_mov_b32 s24, exec_lo
	v_cmpx_lt_u32_e64 v77, v0
	s_cbranch_execz .LBB1333_458
.LBB1333_473:                           ;   in Loop: Header=BB1333_400 Depth=2
	global_load_b64 v[25:26], v[2:3], off offset:256
	s_or_b32 exec_lo, exec_lo, s24
	s_delay_alu instid0(SALU_CYCLE_1)
	s_mov_b32 s24, exec_lo
	v_cmpx_lt_u32_e64 v78, v0
	s_cbranch_execnz .LBB1333_459
.LBB1333_474:                           ;   in Loop: Header=BB1333_400 Depth=2
	s_or_b32 exec_lo, exec_lo, s24
	s_delay_alu instid0(SALU_CYCLE_1)
	s_mov_b32 s24, exec_lo
	v_cmpx_lt_u32_e64 v79, v0
	s_cbranch_execz .LBB1333_460
.LBB1333_475:                           ;   in Loop: Header=BB1333_400 Depth=2
	global_load_b64 v[21:22], v[2:3], off offset:768
	s_or_b32 exec_lo, exec_lo, s24
	s_delay_alu instid0(SALU_CYCLE_1)
	s_mov_b32 s24, exec_lo
	v_cmpx_lt_u32_e64 v80, v0
	s_cbranch_execnz .LBB1333_461
.LBB1333_476:                           ;   in Loop: Header=BB1333_400 Depth=2
	s_or_b32 exec_lo, exec_lo, s24
	s_delay_alu instid0(SALU_CYCLE_1)
	s_mov_b32 s24, exec_lo
	v_cmpx_lt_u32_e64 v81, v0
	s_cbranch_execz .LBB1333_462
.LBB1333_477:                           ;   in Loop: Header=BB1333_400 Depth=2
	global_load_b64 v[14:15], v[2:3], off offset:1280
	s_or_b32 exec_lo, exec_lo, s24
	s_delay_alu instid0(SALU_CYCLE_1)
	s_mov_b32 s24, exec_lo
	v_cmpx_lt_u32_e64 v82, v0
	s_cbranch_execnz .LBB1333_463
.LBB1333_478:                           ;   in Loop: Header=BB1333_400 Depth=2
	s_or_b32 exec_lo, exec_lo, s24
	s_delay_alu instid0(SALU_CYCLE_1)
	s_mov_b32 s24, exec_lo
	v_cmpx_lt_u32_e64 v83, v0
	s_cbranch_execz .LBB1333_464
.LBB1333_479:                           ;   in Loop: Header=BB1333_400 Depth=2
	global_load_b64 v[10:11], v[2:3], off offset:1792
	s_or_b32 exec_lo, exec_lo, s24
	s_and_saveexec_b32 s24, vcc_lo
	s_cbranch_execnz .LBB1333_465
.LBB1333_480:                           ;   in Loop: Header=BB1333_400 Depth=2
	s_or_b32 exec_lo, exec_lo, s24
	s_and_saveexec_b32 s24, s16
	s_cbranch_execz .LBB1333_466
.LBB1333_481:                           ;   in Loop: Header=BB1333_400 Depth=2
	ds_load_b32 v0, v58 offset:1024
	s_waitcnt lgkmcnt(0)
	v_cmp_ne_u32_e64 s23, 0x80000000, v0
	s_delay_alu instid0(VALU_DEP_1) | instskip(NEXT) | instid1(VALU_DEP_1)
	v_cndmask_b32_e64 v0, 0x7fffffff, v0, s23
	v_lshrrev_b32_e32 v0, s57, v0
	s_delay_alu instid0(VALU_DEP_1)
	v_and_b32_e32 v95, s31, v0
	s_or_b32 exec_lo, exec_lo, s24
	s_and_saveexec_b32 s24, s17
	s_cbranch_execnz .LBB1333_467
.LBB1333_482:                           ;   in Loop: Header=BB1333_400 Depth=2
	s_or_b32 exec_lo, exec_lo, s24
	s_and_saveexec_b32 s24, s18
	s_cbranch_execz .LBB1333_468
.LBB1333_483:                           ;   in Loop: Header=BB1333_400 Depth=2
	ds_load_b32 v0, v58 offset:3072
	s_waitcnt lgkmcnt(0)
	v_cmp_ne_u32_e64 s23, 0x80000000, v0
	s_delay_alu instid0(VALU_DEP_1) | instskip(NEXT) | instid1(VALU_DEP_1)
	v_cndmask_b32_e64 v0, 0x7fffffff, v0, s23
	v_lshrrev_b32_e32 v0, s57, v0
	s_delay_alu instid0(VALU_DEP_1)
	v_and_b32_e32 v93, s31, v0
	s_or_b32 exec_lo, exec_lo, s24
	s_and_saveexec_b32 s24, s19
	s_cbranch_execnz .LBB1333_469
.LBB1333_484:                           ;   in Loop: Header=BB1333_400 Depth=2
	s_or_b32 exec_lo, exec_lo, s24
	s_and_saveexec_b32 s24, s20
	s_cbranch_execz .LBB1333_470
.LBB1333_485:                           ;   in Loop: Header=BB1333_400 Depth=2
	ds_load_b32 v0, v58 offset:5120
	s_waitcnt lgkmcnt(0)
	v_cmp_ne_u32_e64 s23, 0x80000000, v0
	s_delay_alu instid0(VALU_DEP_1) | instskip(NEXT) | instid1(VALU_DEP_1)
	v_cndmask_b32_e64 v0, 0x7fffffff, v0, s23
	v_lshrrev_b32_e32 v0, s57, v0
	s_delay_alu instid0(VALU_DEP_1)
	v_and_b32_e32 v91, s31, v0
	s_or_b32 exec_lo, exec_lo, s24
	s_and_saveexec_b32 s24, s21
	s_cbranch_execnz .LBB1333_471
.LBB1333_486:                           ;   in Loop: Header=BB1333_400 Depth=2
	s_or_b32 exec_lo, exec_lo, s24
	s_and_saveexec_b32 s24, s22
	s_cbranch_execz .LBB1333_488
.LBB1333_487:                           ;   in Loop: Header=BB1333_400 Depth=2
	ds_load_b32 v0, v58 offset:7168
	s_waitcnt lgkmcnt(0)
	v_cmp_ne_u32_e64 s23, 0x80000000, v0
	s_delay_alu instid0(VALU_DEP_1) | instskip(NEXT) | instid1(VALU_DEP_1)
	v_cndmask_b32_e64 v0, 0x7fffffff, v0, s23
	v_lshrrev_b32_e32 v0, s57, v0
	s_delay_alu instid0(VALU_DEP_1)
	v_and_b32_e32 v89, s31, v0
.LBB1333_488:                           ;   in Loop: Header=BB1333_400 Depth=2
	s_or_b32 exec_lo, exec_lo, s24
	v_lshlrev_b32_e32 v0, 3, v101
	v_lshlrev_b32_e32 v2, 3, v97
	;; [unrolled: 1-line block ×3, first 2 shown]
	s_waitcnt vmcnt(0)
	s_waitcnt_vscnt null, 0x0
	s_barrier
	buffer_gl0_inv
	ds_store_b64 v0, v[27:28] offset:1024
	ds_store_b64 v2, v[25:26] offset:1024
	;; [unrolled: 1-line block ×3, first 2 shown]
	v_lshlrev_b32_e32 v0, 3, v7
	v_lshlrev_b32_e32 v2, 3, v6
	v_lshlrev_b32_e32 v3, 3, v5
	v_lshlrev_b32_e32 v5, 3, v8
	v_lshlrev_b32_e32 v6, 3, v9
	ds_store_b64 v0, v[21:22] offset:1024
	ds_store_b64 v2, v[16:17] offset:1024
	;; [unrolled: 1-line block ×5, first 2 shown]
	s_waitcnt lgkmcnt(0)
	s_barrier
	buffer_gl0_inv
	s_and_saveexec_b32 s23, vcc_lo
	s_cbranch_execz .LBB1333_496
; %bb.489:                              ;   in Loop: Header=BB1333_400 Depth=2
	v_lshlrev_b32_e32 v0, 2, v96
	v_add_nc_u32_e32 v2, v52, v31
	ds_load_b32 v0, v0
	ds_load_b64 v[2:3], v2 offset:1024
	s_waitcnt lgkmcnt(1)
	v_add_nc_u32_e32 v19, v0, v18
	s_delay_alu instid0(VALU_DEP_1) | instskip(NEXT) | instid1(VALU_DEP_1)
	v_lshlrev_b64 v[5:6], 3, v[19:20]
	v_add_co_u32 v5, vcc_lo, s52, v5
	s_delay_alu instid0(VALU_DEP_2)
	v_add_co_ci_u32_e32 v6, vcc_lo, s53, v6, vcc_lo
	s_waitcnt lgkmcnt(0)
	global_store_b64 v[5:6], v[2:3], off
	s_or_b32 exec_lo, exec_lo, s23
	s_and_saveexec_b32 s23, s16
	s_cbranch_execnz .LBB1333_497
.LBB1333_490:                           ;   in Loop: Header=BB1333_400 Depth=2
	s_or_b32 exec_lo, exec_lo, s23
	s_and_saveexec_b32 s16, s17
	s_cbranch_execz .LBB1333_498
.LBB1333_491:                           ;   in Loop: Header=BB1333_400 Depth=2
	v_lshlrev_b32_e32 v0, 2, v94
	v_add_nc_u32_e32 v2, v58, v31
	ds_load_b32 v0, v0
	ds_load_b64 v[2:3], v2 offset:4096
	s_waitcnt lgkmcnt(1)
	v_add_nc_u32_e32 v19, v0, v33
	s_delay_alu instid0(VALU_DEP_1) | instskip(NEXT) | instid1(VALU_DEP_1)
	v_lshlrev_b64 v[5:6], 3, v[19:20]
	v_add_co_u32 v5, vcc_lo, s52, v5
	s_delay_alu instid0(VALU_DEP_2)
	v_add_co_ci_u32_e32 v6, vcc_lo, s53, v6, vcc_lo
	s_waitcnt lgkmcnt(0)
	global_store_b64 v[5:6], v[2:3], off
	s_or_b32 exec_lo, exec_lo, s16
	s_and_saveexec_b32 s16, s18
	s_cbranch_execnz .LBB1333_499
.LBB1333_492:                           ;   in Loop: Header=BB1333_400 Depth=2
	s_or_b32 exec_lo, exec_lo, s16
	s_and_saveexec_b32 s16, s19
	s_cbranch_execz .LBB1333_500
.LBB1333_493:                           ;   in Loop: Header=BB1333_400 Depth=2
	v_lshlrev_b32_e32 v0, 2, v92
	v_add_nc_u32_e32 v2, v58, v31
	ds_load_b32 v0, v0
	ds_load_b64 v[2:3], v2 offset:8192
	s_waitcnt lgkmcnt(1)
	v_add_nc_u32_e32 v19, v0, v38
	s_delay_alu instid0(VALU_DEP_1) | instskip(NEXT) | instid1(VALU_DEP_1)
	v_lshlrev_b64 v[5:6], 3, v[19:20]
	v_add_co_u32 v5, vcc_lo, s52, v5
	s_delay_alu instid0(VALU_DEP_2)
	v_add_co_ci_u32_e32 v6, vcc_lo, s53, v6, vcc_lo
	s_waitcnt lgkmcnt(0)
	global_store_b64 v[5:6], v[2:3], off
	s_or_b32 exec_lo, exec_lo, s16
	s_and_saveexec_b32 s16, s20
	s_cbranch_execnz .LBB1333_501
.LBB1333_494:                           ;   in Loop: Header=BB1333_400 Depth=2
	s_or_b32 exec_lo, exec_lo, s16
	s_and_saveexec_b32 s16, s21
	s_cbranch_execz .LBB1333_502
.LBB1333_495:                           ;   in Loop: Header=BB1333_400 Depth=2
	v_lshlrev_b32_e32 v0, 2, v90
	v_add_nc_u32_e32 v2, v58, v31
	ds_load_b32 v0, v0
	ds_load_b64 v[2:3], v2 offset:12288
	s_waitcnt lgkmcnt(1)
	v_add_nc_u32_e32 v19, v0, v40
	s_delay_alu instid0(VALU_DEP_1) | instskip(NEXT) | instid1(VALU_DEP_1)
	v_lshlrev_b64 v[5:6], 3, v[19:20]
	v_add_co_u32 v5, vcc_lo, s52, v5
	s_delay_alu instid0(VALU_DEP_2)
	v_add_co_ci_u32_e32 v6, vcc_lo, s53, v6, vcc_lo
	s_waitcnt lgkmcnt(0)
	global_store_b64 v[5:6], v[2:3], off
	s_or_b32 exec_lo, exec_lo, s16
	s_and_saveexec_b32 s16, s22
	s_cbranch_execnz .LBB1333_503
	s_branch .LBB1333_504
.LBB1333_496:                           ;   in Loop: Header=BB1333_400 Depth=2
	s_or_b32 exec_lo, exec_lo, s23
	s_and_saveexec_b32 s23, s16
	s_cbranch_execz .LBB1333_490
.LBB1333_497:                           ;   in Loop: Header=BB1333_400 Depth=2
	v_lshlrev_b32_e32 v0, 2, v95
	v_add_nc_u32_e32 v2, v58, v31
	ds_load_b32 v0, v0
	ds_load_b64 v[2:3], v2 offset:2048
	s_waitcnt lgkmcnt(1)
	v_add_nc_u32_e32 v19, v0, v32
	s_delay_alu instid0(VALU_DEP_1) | instskip(NEXT) | instid1(VALU_DEP_1)
	v_lshlrev_b64 v[5:6], 3, v[19:20]
	v_add_co_u32 v5, vcc_lo, s52, v5
	s_delay_alu instid0(VALU_DEP_2)
	v_add_co_ci_u32_e32 v6, vcc_lo, s53, v6, vcc_lo
	s_waitcnt lgkmcnt(0)
	global_store_b64 v[5:6], v[2:3], off
	s_or_b32 exec_lo, exec_lo, s23
	s_and_saveexec_b32 s16, s17
	s_cbranch_execnz .LBB1333_491
.LBB1333_498:                           ;   in Loop: Header=BB1333_400 Depth=2
	s_or_b32 exec_lo, exec_lo, s16
	s_and_saveexec_b32 s16, s18
	s_cbranch_execz .LBB1333_492
.LBB1333_499:                           ;   in Loop: Header=BB1333_400 Depth=2
	v_lshlrev_b32_e32 v0, 2, v93
	v_add_nc_u32_e32 v2, v58, v31
	ds_load_b32 v0, v0
	ds_load_b64 v[2:3], v2 offset:6144
	s_waitcnt lgkmcnt(1)
	v_add_nc_u32_e32 v19, v0, v34
	s_delay_alu instid0(VALU_DEP_1) | instskip(NEXT) | instid1(VALU_DEP_1)
	v_lshlrev_b64 v[5:6], 3, v[19:20]
	v_add_co_u32 v5, vcc_lo, s52, v5
	s_delay_alu instid0(VALU_DEP_2)
	v_add_co_ci_u32_e32 v6, vcc_lo, s53, v6, vcc_lo
	s_waitcnt lgkmcnt(0)
	global_store_b64 v[5:6], v[2:3], off
	s_or_b32 exec_lo, exec_lo, s16
	s_and_saveexec_b32 s16, s19
	s_cbranch_execnz .LBB1333_493
.LBB1333_500:                           ;   in Loop: Header=BB1333_400 Depth=2
	s_or_b32 exec_lo, exec_lo, s16
	s_and_saveexec_b32 s16, s20
	s_cbranch_execz .LBB1333_494
.LBB1333_501:                           ;   in Loop: Header=BB1333_400 Depth=2
	v_lshlrev_b32_e32 v0, 2, v91
	v_add_nc_u32_e32 v2, v58, v31
	ds_load_b32 v0, v0
	ds_load_b64 v[2:3], v2 offset:10240
	s_waitcnt lgkmcnt(1)
	v_add_nc_u32_e32 v19, v0, v39
	s_delay_alu instid0(VALU_DEP_1) | instskip(NEXT) | instid1(VALU_DEP_1)
	v_lshlrev_b64 v[5:6], 3, v[19:20]
	v_add_co_u32 v5, vcc_lo, s52, v5
	s_delay_alu instid0(VALU_DEP_2)
	v_add_co_ci_u32_e32 v6, vcc_lo, s53, v6, vcc_lo
	s_waitcnt lgkmcnt(0)
	global_store_b64 v[5:6], v[2:3], off
	s_or_b32 exec_lo, exec_lo, s16
	s_and_saveexec_b32 s16, s21
	s_cbranch_execnz .LBB1333_495
.LBB1333_502:                           ;   in Loop: Header=BB1333_400 Depth=2
	s_or_b32 exec_lo, exec_lo, s16
	s_and_saveexec_b32 s16, s22
	s_cbranch_execz .LBB1333_504
.LBB1333_503:                           ;   in Loop: Header=BB1333_400 Depth=2
	v_lshlrev_b32_e32 v0, 2, v89
	v_add_nc_u32_e32 v2, v58, v31
	ds_load_b32 v0, v0
	ds_load_b64 v[2:3], v2 offset:14336
	s_waitcnt lgkmcnt(1)
	v_add_nc_u32_e32 v19, v0, v42
	s_delay_alu instid0(VALU_DEP_1) | instskip(NEXT) | instid1(VALU_DEP_1)
	v_lshlrev_b64 v[5:6], 3, v[19:20]
	v_add_co_u32 v5, vcc_lo, s52, v5
	s_delay_alu instid0(VALU_DEP_2)
	v_add_co_ci_u32_e32 v6, vcc_lo, s53, v6, vcc_lo
	s_waitcnt lgkmcnt(0)
	global_store_b64 v[5:6], v[2:3], off
.LBB1333_504:                           ;   in Loop: Header=BB1333_400 Depth=2
	s_or_b32 exec_lo, exec_lo, s16
	s_waitcnt_vscnt null, 0x0
	s_barrier
	buffer_gl0_inv
	s_and_saveexec_b32 s16, s2
	s_cbranch_execz .LBB1333_399
; %bb.505:                              ;   in Loop: Header=BB1333_400 Depth=2
	ds_load_b32 v0, v31
	s_waitcnt lgkmcnt(0)
	v_add_nc_u32_e32 v0, v0, v4
	ds_store_b32 v31, v0
	s_branch .LBB1333_399
.LBB1333_506:                           ;   in Loop: Header=BB1333_400 Depth=2
	s_or_b32 exec_lo, exec_lo, s16
	s_delay_alu instid0(SALU_CYCLE_1)
	s_mov_b32 s16, exec_lo
	v_cmpx_gt_u32_e64 s50, v77
	s_cbranch_execz .LBB1333_405
.LBB1333_507:                           ;   in Loop: Header=BB1333_400 Depth=2
	global_load_b32 v3, v[29:30], off offset:128
	s_or_b32 exec_lo, exec_lo, s16
	s_delay_alu instid0(SALU_CYCLE_1)
	s_mov_b32 s16, exec_lo
	v_cmpx_gt_u32_e64 s50, v78
	s_cbranch_execnz .LBB1333_406
.LBB1333_508:                           ;   in Loop: Header=BB1333_400 Depth=2
	s_or_b32 exec_lo, exec_lo, s16
	s_delay_alu instid0(SALU_CYCLE_1)
	s_mov_b32 s16, exec_lo
	v_cmpx_gt_u32_e64 s50, v79
	s_cbranch_execz .LBB1333_407
.LBB1333_509:                           ;   in Loop: Header=BB1333_400 Depth=2
	global_load_b32 v5, v[29:30], off offset:384
	s_or_b32 exec_lo, exec_lo, s16
	s_delay_alu instid0(SALU_CYCLE_1)
	s_mov_b32 s16, exec_lo
	v_cmpx_gt_u32_e64 s50, v80
	s_cbranch_execnz .LBB1333_408
.LBB1333_510:                           ;   in Loop: Header=BB1333_400 Depth=2
	s_or_b32 exec_lo, exec_lo, s16
	s_delay_alu instid0(SALU_CYCLE_1)
	s_mov_b32 s16, exec_lo
	v_cmpx_gt_u32_e64 s50, v81
	s_cbranch_execz .LBB1333_409
.LBB1333_511:                           ;   in Loop: Header=BB1333_400 Depth=2
	global_load_b32 v7, v[29:30], off offset:640
	s_or_b32 exec_lo, exec_lo, s16
	s_delay_alu instid0(SALU_CYCLE_1)
	s_mov_b32 s16, exec_lo
	v_cmpx_gt_u32_e64 s50, v82
	s_cbranch_execnz .LBB1333_410
	s_branch .LBB1333_411
.LBB1333_512:                           ;   in Loop: Header=BB1333_12 Depth=1
	s_waitcnt lgkmcnt(0)
	s_mov_b32 s1, 0
	s_barrier
.LBB1333_513:                           ;   in Loop: Header=BB1333_12 Depth=1
	s_and_b32 vcc_lo, exec_lo, s1
	s_cbranch_vccz .LBB1333_11
; %bb.514:                              ;   in Loop: Header=BB1333_12 Depth=1
	s_mov_b32 s1, s35
	s_mov_b32 s24, s27
	s_barrier
	buffer_gl0_inv
                                        ; implicit-def: $vgpr2_vgpr3_vgpr4_vgpr5_vgpr6_vgpr7_vgpr8_vgpr9
	s_branch .LBB1333_516
.LBB1333_515:                           ;   in Loop: Header=BB1333_516 Depth=2
	s_or_b32 exec_lo, exec_lo, s8
	s_addk_i32 s1, 0xf800
	s_cmp_ge_u32 s7, s33
	s_mov_b32 s24, s7
	s_cbranch_scc1 .LBB1333_554
.LBB1333_516:                           ;   Parent Loop BB1333_12 Depth=1
                                        ; =>  This Inner Loop Header: Depth=2
	s_add_i32 s7, s24, 0x800
	s_delay_alu instid0(SALU_CYCLE_1)
	s_cmp_gt_u32 s7, s33
	s_cbranch_scc1 .LBB1333_519
; %bb.517:                              ;   in Loop: Header=BB1333_516 Depth=2
	s_mov_b32 s9, 0
	s_mov_b32 s8, s24
	s_delay_alu instid0(SALU_CYCLE_1) | instskip(NEXT) | instid1(SALU_CYCLE_1)
	s_lshl_b64 s[10:11], s[8:9], 2
	v_add_co_u32 v21, vcc_lo, v65, s10
	v_add_co_ci_u32_e32 v22, vcc_lo, s11, v66, vcc_lo
	s_mov_b32 s10, -1
	s_waitcnt vmcnt(0)
	s_delay_alu instid0(VALU_DEP_2) | instskip(NEXT) | instid1(VALU_DEP_2)
	v_add_co_u32 v16, vcc_lo, 0x1000, v21
	v_add_co_ci_u32_e32 v17, vcc_lo, 0, v22, vcc_lo
	s_clause 0x6
	global_load_b32 v10, v[21:22], off
	global_load_b32 v11, v[21:22], off offset:1024
	global_load_b32 v12, v[21:22], off offset:2048
	;; [unrolled: 1-line block ×3, first 2 shown]
	global_load_b32 v14, v[16:17], off
	global_load_b32 v15, v[16:17], off offset:1024
	global_load_b32 v16, v[16:17], off offset:2048
	v_add_co_u32 v21, vcc_lo, 0x1c00, v21
	v_add_co_ci_u32_e32 v22, vcc_lo, 0, v22, vcc_lo
	s_movk_i32 s11, 0x800
	s_cbranch_execz .LBB1333_520
; %bb.518:                              ;   in Loop: Header=BB1333_516 Depth=2
                                        ; implicit-def: $vgpr2_vgpr3_vgpr4_vgpr5_vgpr6_vgpr7_vgpr8_vgpr9
	v_mov_b32_e32 v0, s1
	s_and_saveexec_b32 s8, s10
	s_cbranch_execnz .LBB1333_531
	s_branch .LBB1333_532
.LBB1333_519:                           ;   in Loop: Header=BB1333_516 Depth=2
	s_mov_b32 s10, 0
                                        ; implicit-def: $sgpr11
                                        ; implicit-def: $vgpr10_vgpr11_vgpr12_vgpr13_vgpr14_vgpr15_vgpr16_vgpr17
                                        ; implicit-def: $vgpr21_vgpr22
.LBB1333_520:                           ;   in Loop: Header=BB1333_516 Depth=2
	s_lshl_b64 s[8:9], s[24:25], 2
	v_lshlrev_b32_e32 v0, 2, v18
	s_add_u32 s8, s44, s8
	s_addc_u32 s9, s45, s9
	s_mov_b32 s11, exec_lo
	v_cmpx_gt_u32_e64 s1, v18
	s_cbranch_execz .LBB1333_548
; %bb.521:                              ;   in Loop: Header=BB1333_516 Depth=2
	global_load_b32 v2, v0, s[8:9]
	s_or_b32 exec_lo, exec_lo, s11
	s_delay_alu instid0(SALU_CYCLE_1)
	s_mov_b32 s11, exec_lo
	v_cmpx_gt_u32_e64 s1, v32
	s_cbranch_execnz .LBB1333_549
.LBB1333_522:                           ;   in Loop: Header=BB1333_516 Depth=2
	s_or_b32 exec_lo, exec_lo, s11
	s_delay_alu instid0(SALU_CYCLE_1)
	s_mov_b32 s11, exec_lo
	v_cmpx_gt_u32_e64 s1, v33
	s_cbranch_execz .LBB1333_550
.LBB1333_523:                           ;   in Loop: Header=BB1333_516 Depth=2
	global_load_b32 v4, v0, s[8:9] offset:2048
	s_or_b32 exec_lo, exec_lo, s11
	s_delay_alu instid0(SALU_CYCLE_1)
	s_mov_b32 s11, exec_lo
	v_cmpx_gt_u32_e64 s1, v34
	s_cbranch_execnz .LBB1333_551
.LBB1333_524:                           ;   in Loop: Header=BB1333_516 Depth=2
	s_or_b32 exec_lo, exec_lo, s11
	s_delay_alu instid0(SALU_CYCLE_1)
	s_mov_b32 s11, exec_lo
	v_cmpx_gt_u32_e64 s1, v38
	s_cbranch_execz .LBB1333_552
.LBB1333_525:                           ;   in Loop: Header=BB1333_516 Depth=2
	v_lshlrev_b32_e32 v0, 2, v38
	global_load_b32 v6, v0, s[8:9]
	s_or_b32 exec_lo, exec_lo, s11
	s_delay_alu instid0(SALU_CYCLE_1)
	s_mov_b32 s11, exec_lo
	v_cmpx_gt_u32_e64 s1, v39
	s_cbranch_execnz .LBB1333_553
.LBB1333_526:                           ;   in Loop: Header=BB1333_516 Depth=2
	s_or_b32 exec_lo, exec_lo, s11
	s_delay_alu instid0(SALU_CYCLE_1)
	s_mov_b32 s11, exec_lo
	v_cmpx_gt_u32_e64 s1, v40
	s_cbranch_execz .LBB1333_528
.LBB1333_527:                           ;   in Loop: Header=BB1333_516 Depth=2
	v_lshlrev_b32_e32 v0, 2, v40
	global_load_b32 v8, v0, s[8:9]
.LBB1333_528:                           ;   in Loop: Header=BB1333_516 Depth=2
	s_or_b32 exec_lo, exec_lo, s11
	s_delay_alu instid0(SALU_CYCLE_1)
	s_mov_b32 s12, exec_lo
                                        ; implicit-def: $sgpr11
                                        ; implicit-def: $vgpr21_vgpr22
	v_cmpx_gt_u32_e64 s1, v42
; %bb.529:                              ;   in Loop: Header=BB1333_516 Depth=2
	v_lshlrev_b32_e32 v0, 2, v42
	s_sub_i32 s11, s33, s24
	s_or_b32 s10, s10, exec_lo
	s_delay_alu instid0(VALU_DEP_1) | instskip(NEXT) | instid1(VALU_DEP_1)
	v_add_co_u32 v21, s8, s8, v0
	v_add_co_ci_u32_e64 v22, null, s9, 0, s8
; %bb.530:                              ;   in Loop: Header=BB1333_516 Depth=2
	s_or_b32 exec_lo, exec_lo, s12
	s_waitcnt vmcnt(0)
	v_dual_mov_b32 v17, v9 :: v_dual_mov_b32 v16, v8
	v_dual_mov_b32 v15, v7 :: v_dual_mov_b32 v14, v6
	;; [unrolled: 1-line block ×4, first 2 shown]
	v_mov_b32_e32 v0, s1
	s_and_saveexec_b32 s8, s10
	s_cbranch_execz .LBB1333_532
.LBB1333_531:                           ;   in Loop: Header=BB1333_516 Depth=2
	global_load_b32 v17, v[21:22], off
	s_waitcnt vmcnt(0)
	v_dual_mov_b32 v2, v10 :: v_dual_mov_b32 v5, v13
	v_dual_mov_b32 v0, s11 :: v_dual_mov_b32 v3, v11
	;; [unrolled: 1-line block ×3, first 2 shown]
	v_mov_b32_e32 v6, v14
	v_dual_mov_b32 v8, v16 :: v_dual_mov_b32 v9, v17
.LBB1333_532:                           ;   in Loop: Header=BB1333_516 Depth=2
	s_or_b32 exec_lo, exec_lo, s8
	s_waitcnt vmcnt(6)
	v_lshlrev_b32_e32 v10, 2, v35
	s_mov_b32 s8, exec_lo
	v_cmpx_lt_u32_e64 v18, v0
	s_cbranch_execz .LBB1333_540
; %bb.533:                              ;   in Loop: Header=BB1333_516 Depth=2
	v_cmp_gt_i32_e32 vcc_lo, 0, v2
	s_waitcnt vmcnt(5)
	v_cndmask_b32_e64 v11, 0x7fffffff, 0, vcc_lo
	s_delay_alu instid0(VALU_DEP_1) | instskip(NEXT) | instid1(VALU_DEP_1)
	v_xor_b32_e32 v11, v11, v2
	v_cmp_ne_u32_e32 vcc_lo, 0x80000000, v11
	v_cndmask_b32_e32 v11, 0x7fffffff, v11, vcc_lo
	s_delay_alu instid0(VALU_DEP_1) | instskip(NEXT) | instid1(VALU_DEP_1)
	v_lshrrev_b32_e32 v11, s57, v11
	v_and_b32_e32 v11, s31, v11
	s_delay_alu instid0(VALU_DEP_1) | instskip(SKIP_2) | instid1(SALU_CYCLE_1)
	v_lshl_or_b32 v11, v11, 4, v10
	ds_add_u32 v11, v71
	s_or_b32 exec_lo, exec_lo, s8
	s_mov_b32 s8, exec_lo
	v_cmpx_lt_u32_e64 v32, v0
	s_cbranch_execnz .LBB1333_541
.LBB1333_534:                           ;   in Loop: Header=BB1333_516 Depth=2
	s_or_b32 exec_lo, exec_lo, s8
	s_delay_alu instid0(SALU_CYCLE_1)
	s_mov_b32 s8, exec_lo
	v_cmpx_lt_u32_e64 v33, v0
	s_cbranch_execz .LBB1333_542
.LBB1333_535:                           ;   in Loop: Header=BB1333_516 Depth=2
	v_cmp_gt_i32_e32 vcc_lo, 0, v4
	s_waitcnt vmcnt(5)
	v_cndmask_b32_e64 v11, 0x7fffffff, 0, vcc_lo
	s_delay_alu instid0(VALU_DEP_1) | instskip(NEXT) | instid1(VALU_DEP_1)
	v_xor_b32_e32 v11, v11, v4
	v_cmp_ne_u32_e32 vcc_lo, 0x80000000, v11
	v_cndmask_b32_e32 v11, 0x7fffffff, v11, vcc_lo
	s_delay_alu instid0(VALU_DEP_1) | instskip(NEXT) | instid1(VALU_DEP_1)
	v_lshrrev_b32_e32 v11, s57, v11
	v_and_b32_e32 v11, s31, v11
	s_delay_alu instid0(VALU_DEP_1) | instskip(SKIP_2) | instid1(SALU_CYCLE_1)
	v_lshl_or_b32 v11, v11, 4, v10
	ds_add_u32 v11, v71
	s_or_b32 exec_lo, exec_lo, s8
	s_mov_b32 s8, exec_lo
	v_cmpx_lt_u32_e64 v34, v0
	s_cbranch_execnz .LBB1333_543
.LBB1333_536:                           ;   in Loop: Header=BB1333_516 Depth=2
	s_or_b32 exec_lo, exec_lo, s8
	s_delay_alu instid0(SALU_CYCLE_1)
	s_mov_b32 s8, exec_lo
	v_cmpx_lt_u32_e64 v38, v0
	s_cbranch_execz .LBB1333_544
.LBB1333_537:                           ;   in Loop: Header=BB1333_516 Depth=2
	v_cmp_gt_i32_e32 vcc_lo, 0, v6
	s_waitcnt vmcnt(5)
	v_cndmask_b32_e64 v11, 0x7fffffff, 0, vcc_lo
	s_delay_alu instid0(VALU_DEP_1) | instskip(NEXT) | instid1(VALU_DEP_1)
	v_xor_b32_e32 v11, v11, v6
	v_cmp_ne_u32_e32 vcc_lo, 0x80000000, v11
	v_cndmask_b32_e32 v11, 0x7fffffff, v11, vcc_lo
	s_delay_alu instid0(VALU_DEP_1) | instskip(NEXT) | instid1(VALU_DEP_1)
	v_lshrrev_b32_e32 v11, s57, v11
	v_and_b32_e32 v11, s31, v11
	s_delay_alu instid0(VALU_DEP_1) | instskip(SKIP_2) | instid1(SALU_CYCLE_1)
	v_lshl_or_b32 v11, v11, 4, v10
	ds_add_u32 v11, v71
	s_or_b32 exec_lo, exec_lo, s8
	s_mov_b32 s8, exec_lo
	v_cmpx_lt_u32_e64 v39, v0
	s_cbranch_execnz .LBB1333_545
.LBB1333_538:                           ;   in Loop: Header=BB1333_516 Depth=2
	s_or_b32 exec_lo, exec_lo, s8
	s_delay_alu instid0(SALU_CYCLE_1)
	s_mov_b32 s8, exec_lo
	v_cmpx_lt_u32_e64 v40, v0
	s_cbranch_execz .LBB1333_546
.LBB1333_539:                           ;   in Loop: Header=BB1333_516 Depth=2
	v_cmp_gt_i32_e32 vcc_lo, 0, v8
	s_waitcnt vmcnt(5)
	v_cndmask_b32_e64 v11, 0x7fffffff, 0, vcc_lo
	s_delay_alu instid0(VALU_DEP_1) | instskip(NEXT) | instid1(VALU_DEP_1)
	v_xor_b32_e32 v11, v11, v8
	v_cmp_ne_u32_e32 vcc_lo, 0x80000000, v11
	v_cndmask_b32_e32 v11, 0x7fffffff, v11, vcc_lo
	s_delay_alu instid0(VALU_DEP_1) | instskip(NEXT) | instid1(VALU_DEP_1)
	v_lshrrev_b32_e32 v11, s57, v11
	v_and_b32_e32 v11, s31, v11
	s_delay_alu instid0(VALU_DEP_1) | instskip(SKIP_2) | instid1(SALU_CYCLE_1)
	v_lshl_or_b32 v11, v11, 4, v10
	ds_add_u32 v11, v71
	s_or_b32 exec_lo, exec_lo, s8
	s_mov_b32 s8, exec_lo
	v_cmpx_lt_u32_e64 v42, v0
	s_cbranch_execz .LBB1333_515
	s_branch .LBB1333_547
.LBB1333_540:                           ;   in Loop: Header=BB1333_516 Depth=2
	s_or_b32 exec_lo, exec_lo, s8
	s_delay_alu instid0(SALU_CYCLE_1)
	s_mov_b32 s8, exec_lo
	v_cmpx_lt_u32_e64 v32, v0
	s_cbranch_execz .LBB1333_534
.LBB1333_541:                           ;   in Loop: Header=BB1333_516 Depth=2
	v_cmp_gt_i32_e32 vcc_lo, 0, v3
	s_waitcnt vmcnt(5)
	v_cndmask_b32_e64 v11, 0x7fffffff, 0, vcc_lo
	s_delay_alu instid0(VALU_DEP_1) | instskip(NEXT) | instid1(VALU_DEP_1)
	v_xor_b32_e32 v11, v11, v3
	v_cmp_ne_u32_e32 vcc_lo, 0x80000000, v11
	v_cndmask_b32_e32 v11, 0x7fffffff, v11, vcc_lo
	s_delay_alu instid0(VALU_DEP_1) | instskip(NEXT) | instid1(VALU_DEP_1)
	v_lshrrev_b32_e32 v11, s57, v11
	v_and_b32_e32 v11, s31, v11
	s_delay_alu instid0(VALU_DEP_1) | instskip(SKIP_2) | instid1(SALU_CYCLE_1)
	v_lshl_or_b32 v11, v11, 4, v10
	ds_add_u32 v11, v71
	s_or_b32 exec_lo, exec_lo, s8
	s_mov_b32 s8, exec_lo
	v_cmpx_lt_u32_e64 v33, v0
	s_cbranch_execnz .LBB1333_535
.LBB1333_542:                           ;   in Loop: Header=BB1333_516 Depth=2
	s_or_b32 exec_lo, exec_lo, s8
	s_delay_alu instid0(SALU_CYCLE_1)
	s_mov_b32 s8, exec_lo
	v_cmpx_lt_u32_e64 v34, v0
	s_cbranch_execz .LBB1333_536
.LBB1333_543:                           ;   in Loop: Header=BB1333_516 Depth=2
	v_cmp_gt_i32_e32 vcc_lo, 0, v5
	s_waitcnt vmcnt(5)
	v_cndmask_b32_e64 v11, 0x7fffffff, 0, vcc_lo
	s_delay_alu instid0(VALU_DEP_1) | instskip(NEXT) | instid1(VALU_DEP_1)
	v_xor_b32_e32 v11, v11, v5
	v_cmp_ne_u32_e32 vcc_lo, 0x80000000, v11
	v_cndmask_b32_e32 v11, 0x7fffffff, v11, vcc_lo
	s_delay_alu instid0(VALU_DEP_1) | instskip(NEXT) | instid1(VALU_DEP_1)
	v_lshrrev_b32_e32 v11, s57, v11
	v_and_b32_e32 v11, s31, v11
	s_delay_alu instid0(VALU_DEP_1) | instskip(SKIP_2) | instid1(SALU_CYCLE_1)
	v_lshl_or_b32 v11, v11, 4, v10
	ds_add_u32 v11, v71
	s_or_b32 exec_lo, exec_lo, s8
	s_mov_b32 s8, exec_lo
	v_cmpx_lt_u32_e64 v38, v0
	s_cbranch_execnz .LBB1333_537
.LBB1333_544:                           ;   in Loop: Header=BB1333_516 Depth=2
	s_or_b32 exec_lo, exec_lo, s8
	s_delay_alu instid0(SALU_CYCLE_1)
	s_mov_b32 s8, exec_lo
	v_cmpx_lt_u32_e64 v39, v0
	s_cbranch_execz .LBB1333_538
.LBB1333_545:                           ;   in Loop: Header=BB1333_516 Depth=2
	v_cmp_gt_i32_e32 vcc_lo, 0, v7
	s_waitcnt vmcnt(5)
	v_cndmask_b32_e64 v11, 0x7fffffff, 0, vcc_lo
	s_delay_alu instid0(VALU_DEP_1) | instskip(NEXT) | instid1(VALU_DEP_1)
	v_xor_b32_e32 v11, v11, v7
	v_cmp_ne_u32_e32 vcc_lo, 0x80000000, v11
	v_cndmask_b32_e32 v11, 0x7fffffff, v11, vcc_lo
	s_delay_alu instid0(VALU_DEP_1) | instskip(NEXT) | instid1(VALU_DEP_1)
	v_lshrrev_b32_e32 v11, s57, v11
	v_and_b32_e32 v11, s31, v11
	s_delay_alu instid0(VALU_DEP_1) | instskip(SKIP_2) | instid1(SALU_CYCLE_1)
	v_lshl_or_b32 v11, v11, 4, v10
	ds_add_u32 v11, v71
	s_or_b32 exec_lo, exec_lo, s8
	s_mov_b32 s8, exec_lo
	v_cmpx_lt_u32_e64 v40, v0
	s_cbranch_execnz .LBB1333_539
.LBB1333_546:                           ;   in Loop: Header=BB1333_516 Depth=2
	s_or_b32 exec_lo, exec_lo, s8
	s_delay_alu instid0(SALU_CYCLE_1)
	s_mov_b32 s8, exec_lo
	v_cmpx_lt_u32_e64 v42, v0
	s_cbranch_execz .LBB1333_515
.LBB1333_547:                           ;   in Loop: Header=BB1333_516 Depth=2
	v_cmp_gt_i32_e32 vcc_lo, 0, v9
	v_cndmask_b32_e64 v0, 0x7fffffff, 0, vcc_lo
	s_delay_alu instid0(VALU_DEP_1) | instskip(NEXT) | instid1(VALU_DEP_1)
	v_xor_b32_e32 v0, v0, v9
	v_cmp_ne_u32_e32 vcc_lo, 0x80000000, v0
	v_cndmask_b32_e32 v0, 0x7fffffff, v0, vcc_lo
	s_delay_alu instid0(VALU_DEP_1) | instskip(NEXT) | instid1(VALU_DEP_1)
	v_lshrrev_b32_e32 v0, s57, v0
	v_and_b32_e32 v0, s31, v0
	s_delay_alu instid0(VALU_DEP_1)
	v_lshl_or_b32 v0, v0, 4, v10
	ds_add_u32 v0, v71
	s_branch .LBB1333_515
.LBB1333_548:                           ;   in Loop: Header=BB1333_516 Depth=2
	s_or_b32 exec_lo, exec_lo, s11
	s_delay_alu instid0(SALU_CYCLE_1)
	s_mov_b32 s11, exec_lo
	v_cmpx_gt_u32_e64 s1, v32
	s_cbranch_execz .LBB1333_522
.LBB1333_549:                           ;   in Loop: Header=BB1333_516 Depth=2
	global_load_b32 v3, v0, s[8:9] offset:1024
	s_or_b32 exec_lo, exec_lo, s11
	s_delay_alu instid0(SALU_CYCLE_1)
	s_mov_b32 s11, exec_lo
	v_cmpx_gt_u32_e64 s1, v33
	s_cbranch_execnz .LBB1333_523
.LBB1333_550:                           ;   in Loop: Header=BB1333_516 Depth=2
	s_or_b32 exec_lo, exec_lo, s11
	s_delay_alu instid0(SALU_CYCLE_1)
	s_mov_b32 s11, exec_lo
	v_cmpx_gt_u32_e64 s1, v34
	s_cbranch_execz .LBB1333_524
.LBB1333_551:                           ;   in Loop: Header=BB1333_516 Depth=2
	global_load_b32 v5, v0, s[8:9] offset:3072
	s_or_b32 exec_lo, exec_lo, s11
	s_delay_alu instid0(SALU_CYCLE_1)
	s_mov_b32 s11, exec_lo
	v_cmpx_gt_u32_e64 s1, v38
	s_cbranch_execnz .LBB1333_525
.LBB1333_552:                           ;   in Loop: Header=BB1333_516 Depth=2
	s_or_b32 exec_lo, exec_lo, s11
	s_delay_alu instid0(SALU_CYCLE_1)
	s_mov_b32 s11, exec_lo
	v_cmpx_gt_u32_e64 s1, v39
	s_cbranch_execz .LBB1333_526
.LBB1333_553:                           ;   in Loop: Header=BB1333_516 Depth=2
	v_lshlrev_b32_e32 v0, 2, v39
	global_load_b32 v7, v0, s[8:9]
	s_or_b32 exec_lo, exec_lo, s11
	s_delay_alu instid0(SALU_CYCLE_1)
	s_mov_b32 s11, exec_lo
	v_cmpx_gt_u32_e64 s1, v40
	s_cbranch_execz .LBB1333_528
	s_branch .LBB1333_527
.LBB1333_554:                           ;   in Loop: Header=BB1333_12 Depth=1
	v_mov_b32_e32 v0, 0
	s_waitcnt vmcnt(0) lgkmcnt(0)
	s_barrier
	buffer_gl0_inv
	s_and_saveexec_b32 s1, s2
	s_cbranch_execz .LBB1333_556
; %bb.555:                              ;   in Loop: Header=BB1333_12 Depth=1
	ds_load_2addr_b64 v[2:5], v43 offset1:1
	s_waitcnt lgkmcnt(0)
	v_add_nc_u32_e32 v0, v3, v2
	s_delay_alu instid0(VALU_DEP_1)
	v_add3_u32 v0, v0, v4, v5
.LBB1333_556:                           ;   in Loop: Header=BB1333_12 Depth=1
	s_or_b32 exec_lo, exec_lo, s1
	v_and_b32_e32 v2, 15, v72
	s_delay_alu instid0(VALU_DEP_2) | instskip(SKIP_1) | instid1(VALU_DEP_3)
	v_mov_b32_dpp v3, v0 row_shr:1 row_mask:0xf bank_mask:0xf
	v_and_b32_e32 v4, 16, v72
	v_cmp_eq_u32_e64 s1, 0, v2
	v_cmp_lt_u32_e64 s7, 1, v2
	v_cmp_lt_u32_e64 s8, 3, v2
	;; [unrolled: 1-line block ×3, first 2 shown]
	v_cmp_eq_u32_e64 s10, 0, v4
	v_cndmask_b32_e64 v3, v3, 0, s1
	s_delay_alu instid0(VALU_DEP_1) | instskip(NEXT) | instid1(VALU_DEP_1)
	v_add_nc_u32_e32 v0, v3, v0
	v_mov_b32_dpp v3, v0 row_shr:2 row_mask:0xf bank_mask:0xf
	s_delay_alu instid0(VALU_DEP_1) | instskip(NEXT) | instid1(VALU_DEP_1)
	v_cndmask_b32_e64 v3, 0, v3, s7
	v_add_nc_u32_e32 v0, v0, v3
	s_delay_alu instid0(VALU_DEP_1) | instskip(NEXT) | instid1(VALU_DEP_1)
	v_mov_b32_dpp v3, v0 row_shr:4 row_mask:0xf bank_mask:0xf
	v_cndmask_b32_e64 v3, 0, v3, s8
	s_delay_alu instid0(VALU_DEP_1) | instskip(NEXT) | instid1(VALU_DEP_1)
	v_add_nc_u32_e32 v0, v0, v3
	v_mov_b32_dpp v3, v0 row_shr:8 row_mask:0xf bank_mask:0xf
	s_delay_alu instid0(VALU_DEP_1) | instskip(SKIP_1) | instid1(VALU_DEP_2)
	v_cndmask_b32_e64 v2, 0, v3, s9
	v_bfe_i32 v3, v72, 4, 1
	v_add_nc_u32_e32 v0, v0, v2
	ds_swizzle_b32 v2, v0 offset:swizzle(BROADCAST,32,15)
	s_waitcnt lgkmcnt(0)
	v_and_b32_e32 v2, v3, v2
	s_delay_alu instid0(VALU_DEP_1)
	v_add_nc_u32_e32 v2, v0, v2
	s_and_saveexec_b32 s11, s3
	s_cbranch_execz .LBB1333_558
; %bb.557:                              ;   in Loop: Header=BB1333_12 Depth=1
	ds_store_b32 v44, v2
.LBB1333_558:                           ;   in Loop: Header=BB1333_12 Depth=1
	s_or_b32 exec_lo, exec_lo, s11
	v_and_b32_e32 v0, 7, v72
	s_waitcnt lgkmcnt(0)
	s_barrier
	buffer_gl0_inv
	s_and_saveexec_b32 s11, s4
	s_cbranch_execz .LBB1333_560
; %bb.559:                              ;   in Loop: Header=BB1333_12 Depth=1
	ds_load_b32 v3, v45
	v_cmp_ne_u32_e32 vcc_lo, 0, v0
	s_waitcnt lgkmcnt(0)
	v_mov_b32_dpp v4, v3 row_shr:1 row_mask:0xf bank_mask:0xf
	s_delay_alu instid0(VALU_DEP_1) | instskip(SKIP_1) | instid1(VALU_DEP_2)
	v_cndmask_b32_e32 v4, 0, v4, vcc_lo
	v_cmp_lt_u32_e32 vcc_lo, 1, v0
	v_add_nc_u32_e32 v3, v4, v3
	s_delay_alu instid0(VALU_DEP_1) | instskip(NEXT) | instid1(VALU_DEP_1)
	v_mov_b32_dpp v4, v3 row_shr:2 row_mask:0xf bank_mask:0xf
	v_cndmask_b32_e32 v4, 0, v4, vcc_lo
	v_cmp_lt_u32_e32 vcc_lo, 3, v0
	s_delay_alu instid0(VALU_DEP_2) | instskip(NEXT) | instid1(VALU_DEP_1)
	v_add_nc_u32_e32 v3, v3, v4
	v_mov_b32_dpp v4, v3 row_shr:4 row_mask:0xf bank_mask:0xf
	s_delay_alu instid0(VALU_DEP_1) | instskip(NEXT) | instid1(VALU_DEP_1)
	v_cndmask_b32_e32 v4, 0, v4, vcc_lo
	v_add_nc_u32_e32 v3, v3, v4
	ds_store_b32 v45, v3
.LBB1333_560:                           ;   in Loop: Header=BB1333_12 Depth=1
	s_or_b32 exec_lo, exec_lo, s11
	v_mov_b32_e32 v3, 0
	s_waitcnt lgkmcnt(0)
	s_barrier
	buffer_gl0_inv
	s_and_saveexec_b32 s11, s5
	s_cbranch_execz .LBB1333_562
; %bb.561:                              ;   in Loop: Header=BB1333_12 Depth=1
	ds_load_b32 v3, v46
.LBB1333_562:                           ;   in Loop: Header=BB1333_12 Depth=1
	s_or_b32 exec_lo, exec_lo, s11
	v_add_nc_u32_e32 v4, -1, v72
	s_waitcnt lgkmcnt(0)
	v_add_nc_u32_e32 v2, v3, v2
	v_cmp_eq_u32_e64 s11, 0, v72
	s_barrier
	v_cmp_gt_i32_e32 vcc_lo, 0, v4
	buffer_gl0_inv
	v_cndmask_b32_e32 v4, v4, v72, vcc_lo
	s_delay_alu instid0(VALU_DEP_1)
	v_lshlrev_b32_e32 v73, 2, v4
	ds_bpermute_b32 v2, v73, v2
	s_and_saveexec_b32 s12, s2
	s_cbranch_execz .LBB1333_564
; %bb.563:                              ;   in Loop: Header=BB1333_12 Depth=1
	s_waitcnt lgkmcnt(0)
	v_cndmask_b32_e64 v2, v2, v3, s11
	s_delay_alu instid0(VALU_DEP_1)
	v_add_nc_u32_e32 v2, s27, v2
	ds_store_b32 v31, v2
.LBB1333_564:                           ;   in Loop: Header=BB1333_12 Depth=1
	s_or_b32 exec_lo, exec_lo, s12
	s_load_b64 s[12:13], s[28:29], 0x0
	v_lshlrev_b32_e32 v3, 3, v72
	v_cmp_lt_u32_e64 s14, 3, v0
	v_or_b32_e32 v74, v72, v47
	s_mov_b32 s50, s35
	s_mov_b32 s24, s27
	v_add_co_u32 v75, vcc_lo, v67, v3
	v_add_co_ci_u32_e32 v76, vcc_lo, 0, v68, vcc_lo
	v_or_b32_e32 v77, 32, v74
	v_or_b32_e32 v78, 64, v74
	;; [unrolled: 1-line block ×7, first 2 shown]
                                        ; implicit-def: $vgpr10_vgpr11
                                        ; implicit-def: $vgpr12_vgpr13
                                        ; implicit-def: $vgpr14_vgpr15
                                        ; implicit-def: $vgpr16_vgpr17
                                        ; implicit-def: $vgpr21_vgpr22
                                        ; implicit-def: $vgpr23_vgpr24
                                        ; implicit-def: $vgpr25_vgpr26
                                        ; implicit-def: $vgpr27_vgpr28
                                        ; implicit-def: $vgpr89
                                        ; implicit-def: $vgpr90
                                        ; implicit-def: $vgpr91
                                        ; implicit-def: $vgpr92
                                        ; implicit-def: $vgpr93
                                        ; implicit-def: $vgpr94
                                        ; implicit-def: $vgpr95
                                        ; implicit-def: $vgpr96
	s_waitcnt lgkmcnt(0)
	s_cmp_lt_u32 s15, s13
	s_cselect_b32 s13, 14, 20
	s_delay_alu instid0(SALU_CYCLE_1) | instskip(SKIP_4) | instid1(SALU_CYCLE_1)
	s_add_u32 s16, s28, s13
	s_addc_u32 s17, s29, 0
	s_cmp_lt_u32 s26, s12
	global_load_u16 v2, v20, s[16:17]
	s_cselect_b32 s12, 12, 18
	s_add_u32 s12, s28, s12
	s_addc_u32 s13, s29, 0
	global_load_u16 v4, v20, s[12:13]
	v_cmp_eq_u32_e64 s12, 0, v0
	v_cmp_lt_u32_e64 s13, 1, v0
	v_lshlrev_b32_e32 v0, 2, v72
	s_delay_alu instid0(VALU_DEP_1) | instskip(SKIP_1) | instid1(VALU_DEP_2)
	v_add_co_u32 v84, vcc_lo, v69, v0
	v_add_co_ci_u32_e32 v85, vcc_lo, 0, v70, vcc_lo
	v_add_co_u32 v87, vcc_lo, 0x380, v84
	s_delay_alu instid0(VALU_DEP_2) | instskip(SKIP_3) | instid1(VALU_DEP_1)
	v_add_co_ci_u32_e32 v88, vcc_lo, 0, v85, vcc_lo
	s_waitcnt vmcnt(1)
	v_mad_u32_u24 v5, v48, v2, v50
	s_waitcnt vmcnt(0)
	v_mad_u64_u32 v[2:3], null, v5, v4, v[18:19]
	s_delay_alu instid0(VALU_DEP_1)
	v_lshrrev_b32_e32 v86, 5, v2
	s_branch .LBB1333_566
.LBB1333_565:                           ;   in Loop: Header=BB1333_566 Depth=2
	s_or_b32 exec_lo, exec_lo, s16
	s_addk_i32 s50, 0xf800
	s_cmp_lt_u32 s51, s33
	s_mov_b32 s24, s51
	s_cbranch_scc0 .LBB1333_10
.LBB1333_566:                           ;   Parent Loop BB1333_12 Depth=1
                                        ; =>  This Inner Loop Header: Depth=2
	s_add_i32 s51, s24, 0x800
	s_delay_alu instid0(SALU_CYCLE_1)
	s_cmp_gt_u32 s51, s33
	s_cbranch_scc1 .LBB1333_568
; %bb.567:                              ;   in Loop: Header=BB1333_566 Depth=2
	s_mov_b32 s17, 0
	s_mov_b32 s16, s24
	s_delay_alu instid0(SALU_CYCLE_1) | instskip(NEXT) | instid1(SALU_CYCLE_1)
	s_lshl_b64 s[18:19], s[16:17], 2
	v_add_co_u32 v8, vcc_lo, v84, s18
	v_add_co_ci_u32_e32 v9, vcc_lo, s19, v85, vcc_lo
	s_mov_b32 s19, -1
	s_movk_i32 s18, 0x800
	s_clause 0x6
	global_load_b32 v2, v[8:9], off
	global_load_b32 v3, v[8:9], off offset:128
	global_load_b32 v4, v[8:9], off offset:256
	;; [unrolled: 1-line block ×6, first 2 shown]
	s_cbranch_execz .LBB1333_569
	s_branch .LBB1333_578
.LBB1333_568:                           ;   in Loop: Header=BB1333_566 Depth=2
	s_mov_b32 s17, -1
	s_mov_b32 s19, 0
                                        ; implicit-def: $sgpr18
                                        ; implicit-def: $vgpr2_vgpr3_vgpr4_vgpr5_vgpr6_vgpr7_vgpr8_vgpr9
.LBB1333_569:                           ;   in Loop: Header=BB1333_566 Depth=2
	s_lshl_b64 s[16:17], s[24:25], 2
	s_mov_b32 s37, s36
	v_add_co_u32 v29, vcc_lo, v84, s16
	s_mov_b32 s38, s36
	s_mov_b32 s39, s36
	;; [unrolled: 1-line block ×6, first 2 shown]
	s_waitcnt vmcnt(0)
	v_dual_mov_b32 v2, s36 :: v_dual_mov_b32 v3, s37
	v_add_co_ci_u32_e32 v30, vcc_lo, s17, v85, vcc_lo
	v_dual_mov_b32 v4, s38 :: v_dual_mov_b32 v5, s39
	v_dual_mov_b32 v6, s40 :: v_dual_mov_b32 v7, s41
	;; [unrolled: 1-line block ×3, first 2 shown]
	s_mov_b32 s16, exec_lo
	v_cmpx_gt_u32_e64 s50, v74
	s_cbranch_execz .LBB1333_672
; %bb.570:                              ;   in Loop: Header=BB1333_566 Depth=2
	global_load_b32 v0, v[29:30], off
	v_mov_b32_e32 v7, v1
	v_mov_b32_e32 v2, v1
	;; [unrolled: 1-line block ×6, first 2 shown]
	s_waitcnt vmcnt(0)
	v_mov_b32_e32 v9, v7
	s_delay_alu instid0(VALU_DEP_2)
	v_dual_mov_b32 v8, v6 :: v_dual_mov_b32 v7, v5
	v_mov_b32_e32 v6, v4
	v_mov_b32_e32 v5, v3
	;; [unrolled: 1-line block ×5, first 2 shown]
	s_or_b32 exec_lo, exec_lo, s16
	s_delay_alu instid0(SALU_CYCLE_1)
	s_mov_b32 s16, exec_lo
	v_cmpx_gt_u32_e64 s50, v77
	s_cbranch_execnz .LBB1333_673
.LBB1333_571:                           ;   in Loop: Header=BB1333_566 Depth=2
	s_or_b32 exec_lo, exec_lo, s16
	s_delay_alu instid0(SALU_CYCLE_1)
	s_mov_b32 s16, exec_lo
	v_cmpx_gt_u32_e64 s50, v78
	s_cbranch_execz .LBB1333_674
.LBB1333_572:                           ;   in Loop: Header=BB1333_566 Depth=2
	global_load_b32 v4, v[29:30], off offset:256
	s_or_b32 exec_lo, exec_lo, s16
	s_delay_alu instid0(SALU_CYCLE_1)
	s_mov_b32 s16, exec_lo
	v_cmpx_gt_u32_e64 s50, v79
	s_cbranch_execnz .LBB1333_675
.LBB1333_573:                           ;   in Loop: Header=BB1333_566 Depth=2
	s_or_b32 exec_lo, exec_lo, s16
	s_delay_alu instid0(SALU_CYCLE_1)
	s_mov_b32 s16, exec_lo
	v_cmpx_gt_u32_e64 s50, v80
	s_cbranch_execz .LBB1333_676
.LBB1333_574:                           ;   in Loop: Header=BB1333_566 Depth=2
	global_load_b32 v6, v[29:30], off offset:512
	s_or_b32 exec_lo, exec_lo, s16
	s_delay_alu instid0(SALU_CYCLE_1)
	s_mov_b32 s16, exec_lo
	v_cmpx_gt_u32_e64 s50, v81
	s_cbranch_execnz .LBB1333_677
.LBB1333_575:                           ;   in Loop: Header=BB1333_566 Depth=2
	s_or_b32 exec_lo, exec_lo, s16
	s_delay_alu instid0(SALU_CYCLE_1)
	s_mov_b32 s16, exec_lo
	v_cmpx_gt_u32_e64 s50, v82
	s_cbranch_execz .LBB1333_577
.LBB1333_576:                           ;   in Loop: Header=BB1333_566 Depth=2
	global_load_b32 v8, v[29:30], off offset:768
.LBB1333_577:                           ;   in Loop: Header=BB1333_566 Depth=2
	s_or_b32 exec_lo, exec_lo, s16
	v_cmp_gt_u32_e64 s19, s50, v83
	s_sub_i32 s18, s33, s24
	s_mov_b64 s[16:17], s[24:25]
.LBB1333_578:                           ;   in Loop: Header=BB1333_566 Depth=2
	v_mov_b32_e32 v0, s50
	s_delay_alu instid0(VALU_DEP_2)
	s_and_saveexec_b32 s20, s19
	s_cbranch_execz .LBB1333_580
; %bb.579:                              ;   in Loop: Header=BB1333_566 Depth=2
	s_lshl_b64 s[16:17], s[16:17], 2
	v_mov_b32_e32 v0, s18
	v_add_co_u32 v29, vcc_lo, v87, s16
	v_add_co_ci_u32_e32 v30, vcc_lo, s17, v88, vcc_lo
	global_load_b32 v9, v[29:30], off
.LBB1333_580:                           ;   in Loop: Header=BB1333_566 Depth=2
	s_or_b32 exec_lo, exec_lo, s20
	s_waitcnt vmcnt(6)
	v_cmp_gt_i32_e32 vcc_lo, 0, v2
	ds_store_b32 v49, v20 offset:1056
	ds_store_2addr_b32 v51, v20, v20 offset0:1 offset1:2
	ds_store_2addr_b32 v51, v20, v20 offset0:3 offset1:4
	;; [unrolled: 1-line block ×4, first 2 shown]
	s_waitcnt vmcnt(0) lgkmcnt(0)
	s_barrier
	v_cndmask_b32_e64 v19, 0x7fffffff, 0, vcc_lo
	buffer_gl0_inv
	; wave barrier
	v_xor_b32_e32 v19, v19, v2
	s_delay_alu instid0(VALU_DEP_1) | instskip(SKIP_1) | instid1(VALU_DEP_1)
	v_cmp_ne_u32_e32 vcc_lo, 0x80000000, v19
	v_cndmask_b32_e32 v2, 0x7fffffff, v19, vcc_lo
	v_lshrrev_b32_e32 v2, s57, v2
	s_delay_alu instid0(VALU_DEP_1) | instskip(NEXT) | instid1(VALU_DEP_1)
	v_and_b32_e32 v30, s31, v2
	v_lshlrev_b32_e32 v29, 30, v30
	v_and_b32_e32 v2, 1, v30
	v_lshlrev_b32_e32 v97, 29, v30
	v_lshlrev_b32_e32 v98, 28, v30
	;; [unrolled: 1-line block ×3, first 2 shown]
	v_not_b32_e32 v103, v29
	v_add_co_u32 v2, s16, v2, -1
	s_delay_alu instid0(VALU_DEP_1)
	v_cndmask_b32_e64 v99, 0, 1, s16
	v_cmp_gt_i32_e64 s16, 0, v29
	v_not_b32_e32 v29, v97
	v_ashrrev_i32_e32 v103, 31, v103
	v_lshlrev_b32_e32 v101, 26, v30
	v_cmp_ne_u32_e32 vcc_lo, 0, v99
	v_lshlrev_b32_e32 v102, 25, v30
	v_ashrrev_i32_e32 v29, 31, v29
	v_xor_b32_e32 v103, s16, v103
	v_cmp_gt_i32_e64 s16, 0, v98
	v_xor_b32_e32 v2, vcc_lo, v2
	v_cmp_gt_i32_e32 vcc_lo, 0, v97
	v_not_b32_e32 v97, v98
	v_not_b32_e32 v98, v100
	v_lshlrev_b32_e32 v99, 24, v30
	v_and_b32_e32 v2, exec_lo, v2
	v_xor_b32_e32 v29, vcc_lo, v29
	v_ashrrev_i32_e32 v97, 31, v97
	v_cmp_gt_i32_e32 vcc_lo, 0, v100
	v_not_b32_e32 v100, v101
	v_and_b32_e32 v2, v2, v103
	v_ashrrev_i32_e32 v98, 31, v98
	v_xor_b32_e32 v97, s16, v97
	v_cmp_gt_i32_e64 s16, 0, v101
	v_ashrrev_i32_e32 v100, 31, v100
	v_and_b32_e32 v2, v2, v29
	v_not_b32_e32 v29, v102
	v_xor_b32_e32 v98, vcc_lo, v98
	v_cmp_gt_i32_e32 vcc_lo, 0, v102
	v_xor_b32_e32 v100, s16, v100
	v_and_b32_e32 v2, v2, v97
	v_not_b32_e32 v97, v99
	v_ashrrev_i32_e32 v29, 31, v29
	v_cmp_gt_i32_e64 s16, 0, v99
	v_mad_u32_u24 v30, v30, 9, v86
	v_and_b32_e32 v2, v2, v98
	v_ashrrev_i32_e32 v97, 31, v97
	v_xor_b32_e32 v29, vcc_lo, v29
	s_delay_alu instid0(VALU_DEP_3) | instskip(NEXT) | instid1(VALU_DEP_3)
	v_and_b32_e32 v2, v2, v100
	v_xor_b32_e32 v97, s16, v97
	s_delay_alu instid0(VALU_DEP_2) | instskip(NEXT) | instid1(VALU_DEP_1)
	v_and_b32_e32 v2, v2, v29
	v_and_b32_e32 v2, v2, v97
	v_lshl_add_u32 v97, v30, 2, 0x420
	s_delay_alu instid0(VALU_DEP_2) | instskip(SKIP_1) | instid1(VALU_DEP_2)
	v_mbcnt_lo_u32_b32 v29, v2, 0
	v_cmp_ne_u32_e64 s16, 0, v2
	v_cmp_eq_u32_e32 vcc_lo, 0, v29
	s_delay_alu instid0(VALU_DEP_2) | instskip(NEXT) | instid1(SALU_CYCLE_1)
	s_and_b32 s17, s16, vcc_lo
	s_and_saveexec_b32 s16, s17
	s_cbranch_execz .LBB1333_582
; %bb.581:                              ;   in Loop: Header=BB1333_566 Depth=2
	v_bcnt_u32_b32 v2, v2, 0
	ds_store_b32 v97, v2
.LBB1333_582:                           ;   in Loop: Header=BB1333_566 Depth=2
	s_or_b32 exec_lo, exec_lo, s16
	v_cmp_gt_i32_e32 vcc_lo, 0, v3
	; wave barrier
	v_cndmask_b32_e64 v2, 0x7fffffff, 0, vcc_lo
	s_delay_alu instid0(VALU_DEP_1) | instskip(NEXT) | instid1(VALU_DEP_1)
	v_xor_b32_e32 v30, v2, v3
	v_cmp_ne_u32_e32 vcc_lo, 0x80000000, v30
	v_cndmask_b32_e32 v2, 0x7fffffff, v30, vcc_lo
	s_delay_alu instid0(VALU_DEP_1) | instskip(NEXT) | instid1(VALU_DEP_1)
	v_lshrrev_b32_e32 v2, s57, v2
	v_and_b32_e32 v2, s31, v2
	s_delay_alu instid0(VALU_DEP_1)
	v_and_b32_e32 v3, 1, v2
	v_lshlrev_b32_e32 v98, 30, v2
	v_lshlrev_b32_e32 v99, 29, v2
	;; [unrolled: 1-line block ×4, first 2 shown]
	v_add_co_u32 v3, s16, v3, -1
	s_delay_alu instid0(VALU_DEP_1)
	v_cndmask_b32_e64 v101, 0, 1, s16
	v_not_b32_e32 v105, v98
	v_cmp_gt_i32_e64 s16, 0, v98
	v_not_b32_e32 v98, v99
	v_lshlrev_b32_e32 v103, 26, v2
	v_cmp_ne_u32_e32 vcc_lo, 0, v101
	v_ashrrev_i32_e32 v105, 31, v105
	v_lshlrev_b32_e32 v104, 25, v2
	v_ashrrev_i32_e32 v98, 31, v98
	v_lshlrev_b32_e32 v101, 24, v2
	v_xor_b32_e32 v3, vcc_lo, v3
	v_cmp_gt_i32_e32 vcc_lo, 0, v99
	v_not_b32_e32 v99, v100
	v_xor_b32_e32 v105, s16, v105
	v_cmp_gt_i32_e64 s16, 0, v100
	v_and_b32_e32 v3, exec_lo, v3
	v_not_b32_e32 v100, v102
	v_ashrrev_i32_e32 v99, 31, v99
	v_xor_b32_e32 v98, vcc_lo, v98
	v_cmp_gt_i32_e32 vcc_lo, 0, v102
	v_and_b32_e32 v3, v3, v105
	v_not_b32_e32 v102, v103
	v_ashrrev_i32_e32 v100, 31, v100
	v_xor_b32_e32 v99, s16, v99
	v_cmp_gt_i32_e64 s16, 0, v103
	v_and_b32_e32 v3, v3, v98
	v_not_b32_e32 v98, v104
	v_ashrrev_i32_e32 v102, 31, v102
	v_xor_b32_e32 v100, vcc_lo, v100
	v_cmp_gt_i32_e32 vcc_lo, 0, v104
	v_and_b32_e32 v3, v3, v99
	v_not_b32_e32 v99, v101
	v_ashrrev_i32_e32 v98, 31, v98
	v_xor_b32_e32 v102, s16, v102
	v_mul_u32_u24_e32 v2, 9, v2
	v_and_b32_e32 v3, v3, v100
	v_cmp_gt_i32_e64 s16, 0, v101
	v_ashrrev_i32_e32 v99, 31, v99
	v_xor_b32_e32 v98, vcc_lo, v98
	v_add_lshl_u32 v100, v2, v86, 2
	v_and_b32_e32 v3, v3, v102
	s_delay_alu instid0(VALU_DEP_4) | instskip(NEXT) | instid1(VALU_DEP_3)
	v_xor_b32_e32 v2, s16, v99
	v_add_nc_u32_e32 v101, 0x420, v100
	s_delay_alu instid0(VALU_DEP_3) | instskip(SKIP_2) | instid1(VALU_DEP_1)
	v_and_b32_e32 v3, v3, v98
	ds_load_b32 v98, v100 offset:1056
	; wave barrier
	v_and_b32_e32 v2, v3, v2
	v_mbcnt_lo_u32_b32 v99, v2, 0
	v_cmp_ne_u32_e64 s16, 0, v2
	s_delay_alu instid0(VALU_DEP_2) | instskip(NEXT) | instid1(VALU_DEP_2)
	v_cmp_eq_u32_e32 vcc_lo, 0, v99
	s_and_b32 s17, s16, vcc_lo
	s_delay_alu instid0(SALU_CYCLE_1)
	s_and_saveexec_b32 s16, s17
	s_cbranch_execz .LBB1333_584
; %bb.583:                              ;   in Loop: Header=BB1333_566 Depth=2
	s_waitcnt lgkmcnt(0)
	v_bcnt_u32_b32 v2, v2, v98
	ds_store_b32 v101, v2
.LBB1333_584:                           ;   in Loop: Header=BB1333_566 Depth=2
	s_or_b32 exec_lo, exec_lo, s16
	v_cmp_gt_i32_e32 vcc_lo, 0, v4
	; wave barrier
	v_cndmask_b32_e64 v2, 0x7fffffff, 0, vcc_lo
	s_delay_alu instid0(VALU_DEP_1) | instskip(NEXT) | instid1(VALU_DEP_1)
	v_xor_b32_e32 v100, v2, v4
	v_cmp_ne_u32_e32 vcc_lo, 0x80000000, v100
	v_cndmask_b32_e32 v2, 0x7fffffff, v100, vcc_lo
	s_delay_alu instid0(VALU_DEP_1) | instskip(NEXT) | instid1(VALU_DEP_1)
	v_lshrrev_b32_e32 v2, s57, v2
	v_and_b32_e32 v2, s31, v2
	s_delay_alu instid0(VALU_DEP_1)
	v_and_b32_e32 v3, 1, v2
	v_lshlrev_b32_e32 v4, 30, v2
	v_lshlrev_b32_e32 v102, 29, v2
	;; [unrolled: 1-line block ×4, first 2 shown]
	v_add_co_u32 v3, s16, v3, -1
	s_delay_alu instid0(VALU_DEP_1)
	v_cndmask_b32_e64 v104, 0, 1, s16
	v_not_b32_e32 v108, v4
	v_cmp_gt_i32_e64 s16, 0, v4
	v_not_b32_e32 v4, v102
	v_lshlrev_b32_e32 v106, 26, v2
	v_cmp_ne_u32_e32 vcc_lo, 0, v104
	v_ashrrev_i32_e32 v108, 31, v108
	v_lshlrev_b32_e32 v107, 25, v2
	v_ashrrev_i32_e32 v4, 31, v4
	v_lshlrev_b32_e32 v104, 24, v2
	v_xor_b32_e32 v3, vcc_lo, v3
	v_cmp_gt_i32_e32 vcc_lo, 0, v102
	v_not_b32_e32 v102, v103
	v_xor_b32_e32 v108, s16, v108
	v_cmp_gt_i32_e64 s16, 0, v103
	v_and_b32_e32 v3, exec_lo, v3
	v_not_b32_e32 v103, v105
	v_ashrrev_i32_e32 v102, 31, v102
	v_xor_b32_e32 v4, vcc_lo, v4
	v_cmp_gt_i32_e32 vcc_lo, 0, v105
	v_and_b32_e32 v3, v3, v108
	v_not_b32_e32 v105, v106
	v_ashrrev_i32_e32 v103, 31, v103
	v_xor_b32_e32 v102, s16, v102
	v_cmp_gt_i32_e64 s16, 0, v106
	v_and_b32_e32 v3, v3, v4
	v_not_b32_e32 v4, v107
	v_ashrrev_i32_e32 v105, 31, v105
	v_xor_b32_e32 v103, vcc_lo, v103
	v_cmp_gt_i32_e32 vcc_lo, 0, v107
	v_and_b32_e32 v3, v3, v102
	v_not_b32_e32 v102, v104
	v_ashrrev_i32_e32 v4, 31, v4
	v_xor_b32_e32 v105, s16, v105
	v_mul_u32_u24_e32 v2, 9, v2
	v_and_b32_e32 v3, v3, v103
	v_cmp_gt_i32_e64 s16, 0, v104
	v_ashrrev_i32_e32 v102, 31, v102
	v_xor_b32_e32 v4, vcc_lo, v4
	v_add_lshl_u32 v103, v2, v86, 2
	v_and_b32_e32 v3, v3, v105
	s_delay_alu instid0(VALU_DEP_4) | instskip(SKIP_3) | instid1(VALU_DEP_2)
	v_xor_b32_e32 v2, s16, v102
	ds_load_b32 v102, v103 offset:1056
	v_and_b32_e32 v3, v3, v4
	v_add_nc_u32_e32 v105, 0x420, v103
	; wave barrier
	v_and_b32_e32 v2, v3, v2
	s_delay_alu instid0(VALU_DEP_1) | instskip(SKIP_1) | instid1(VALU_DEP_2)
	v_mbcnt_lo_u32_b32 v104, v2, 0
	v_cmp_ne_u32_e64 s16, 0, v2
	v_cmp_eq_u32_e32 vcc_lo, 0, v104
	s_delay_alu instid0(VALU_DEP_2) | instskip(NEXT) | instid1(SALU_CYCLE_1)
	s_and_b32 s17, s16, vcc_lo
	s_and_saveexec_b32 s16, s17
	s_cbranch_execz .LBB1333_586
; %bb.585:                              ;   in Loop: Header=BB1333_566 Depth=2
	s_waitcnt lgkmcnt(0)
	v_bcnt_u32_b32 v2, v2, v102
	ds_store_b32 v105, v2
.LBB1333_586:                           ;   in Loop: Header=BB1333_566 Depth=2
	s_or_b32 exec_lo, exec_lo, s16
	v_cmp_gt_i32_e32 vcc_lo, 0, v5
	; wave barrier
	v_cndmask_b32_e64 v2, 0x7fffffff, 0, vcc_lo
	s_delay_alu instid0(VALU_DEP_1) | instskip(NEXT) | instid1(VALU_DEP_1)
	v_xor_b32_e32 v103, v2, v5
	v_cmp_ne_u32_e32 vcc_lo, 0x80000000, v103
	v_cndmask_b32_e32 v2, 0x7fffffff, v103, vcc_lo
	s_delay_alu instid0(VALU_DEP_1) | instskip(NEXT) | instid1(VALU_DEP_1)
	v_lshrrev_b32_e32 v2, s57, v2
	v_and_b32_e32 v2, s31, v2
	s_delay_alu instid0(VALU_DEP_1)
	v_and_b32_e32 v3, 1, v2
	v_lshlrev_b32_e32 v4, 30, v2
	v_lshlrev_b32_e32 v5, 29, v2
	;; [unrolled: 1-line block ×4, first 2 shown]
	v_add_co_u32 v3, s16, v3, -1
	s_delay_alu instid0(VALU_DEP_1)
	v_cndmask_b32_e64 v107, 0, 1, s16
	v_not_b32_e32 v111, v4
	v_cmp_gt_i32_e64 s16, 0, v4
	v_not_b32_e32 v4, v5
	v_lshlrev_b32_e32 v109, 26, v2
	v_cmp_ne_u32_e32 vcc_lo, 0, v107
	v_ashrrev_i32_e32 v111, 31, v111
	v_lshlrev_b32_e32 v110, 25, v2
	v_ashrrev_i32_e32 v4, 31, v4
	v_lshlrev_b32_e32 v107, 24, v2
	v_xor_b32_e32 v3, vcc_lo, v3
	v_cmp_gt_i32_e32 vcc_lo, 0, v5
	v_not_b32_e32 v5, v106
	v_xor_b32_e32 v111, s16, v111
	v_cmp_gt_i32_e64 s16, 0, v106
	v_and_b32_e32 v3, exec_lo, v3
	v_not_b32_e32 v106, v108
	v_ashrrev_i32_e32 v5, 31, v5
	v_xor_b32_e32 v4, vcc_lo, v4
	v_cmp_gt_i32_e32 vcc_lo, 0, v108
	v_and_b32_e32 v3, v3, v111
	v_not_b32_e32 v108, v109
	v_ashrrev_i32_e32 v106, 31, v106
	v_xor_b32_e32 v5, s16, v5
	v_cmp_gt_i32_e64 s16, 0, v109
	v_and_b32_e32 v3, v3, v4
	v_not_b32_e32 v4, v110
	v_ashrrev_i32_e32 v108, 31, v108
	v_xor_b32_e32 v106, vcc_lo, v106
	v_cmp_gt_i32_e32 vcc_lo, 0, v110
	v_and_b32_e32 v3, v3, v5
	v_not_b32_e32 v5, v107
	v_ashrrev_i32_e32 v4, 31, v4
	v_xor_b32_e32 v108, s16, v108
	v_mul_u32_u24_e32 v2, 9, v2
	v_and_b32_e32 v3, v3, v106
	v_cmp_gt_i32_e64 s16, 0, v107
	v_ashrrev_i32_e32 v5, 31, v5
	v_xor_b32_e32 v4, vcc_lo, v4
	v_add_lshl_u32 v106, v2, v86, 2
	v_and_b32_e32 v3, v3, v108
	s_delay_alu instid0(VALU_DEP_4) | instskip(SKIP_3) | instid1(VALU_DEP_2)
	v_xor_b32_e32 v2, s16, v5
	ds_load_b32 v107, v106 offset:1056
	v_and_b32_e32 v3, v3, v4
	v_add_nc_u32_e32 v109, 0x420, v106
	; wave barrier
	v_and_b32_e32 v2, v3, v2
	s_delay_alu instid0(VALU_DEP_1) | instskip(SKIP_1) | instid1(VALU_DEP_2)
	v_mbcnt_lo_u32_b32 v108, v2, 0
	v_cmp_ne_u32_e64 s16, 0, v2
	v_cmp_eq_u32_e32 vcc_lo, 0, v108
	s_delay_alu instid0(VALU_DEP_2) | instskip(NEXT) | instid1(SALU_CYCLE_1)
	s_and_b32 s17, s16, vcc_lo
	s_and_saveexec_b32 s16, s17
	s_cbranch_execz .LBB1333_588
; %bb.587:                              ;   in Loop: Header=BB1333_566 Depth=2
	s_waitcnt lgkmcnt(0)
	v_bcnt_u32_b32 v2, v2, v107
	ds_store_b32 v109, v2
.LBB1333_588:                           ;   in Loop: Header=BB1333_566 Depth=2
	s_or_b32 exec_lo, exec_lo, s16
	v_cmp_gt_i32_e32 vcc_lo, 0, v6
	; wave barrier
	v_cndmask_b32_e64 v2, 0x7fffffff, 0, vcc_lo
	s_delay_alu instid0(VALU_DEP_1) | instskip(NEXT) | instid1(VALU_DEP_1)
	v_xor_b32_e32 v106, v2, v6
	v_cmp_ne_u32_e32 vcc_lo, 0x80000000, v106
	v_cndmask_b32_e32 v2, 0x7fffffff, v106, vcc_lo
	s_delay_alu instid0(VALU_DEP_1) | instskip(NEXT) | instid1(VALU_DEP_1)
	v_lshrrev_b32_e32 v2, s57, v2
	v_and_b32_e32 v2, s31, v2
	s_delay_alu instid0(VALU_DEP_1)
	v_and_b32_e32 v3, 1, v2
	v_lshlrev_b32_e32 v4, 30, v2
	v_lshlrev_b32_e32 v5, 29, v2
	;; [unrolled: 1-line block ×4, first 2 shown]
	v_add_co_u32 v3, s16, v3, -1
	s_delay_alu instid0(VALU_DEP_1)
	v_cndmask_b32_e64 v110, 0, 1, s16
	v_not_b32_e32 v114, v4
	v_cmp_gt_i32_e64 s16, 0, v4
	v_not_b32_e32 v4, v5
	v_lshlrev_b32_e32 v112, 26, v2
	v_cmp_ne_u32_e32 vcc_lo, 0, v110
	v_ashrrev_i32_e32 v114, 31, v114
	v_lshlrev_b32_e32 v113, 25, v2
	v_ashrrev_i32_e32 v4, 31, v4
	v_lshlrev_b32_e32 v110, 24, v2
	v_xor_b32_e32 v3, vcc_lo, v3
	v_cmp_gt_i32_e32 vcc_lo, 0, v5
	v_not_b32_e32 v5, v6
	v_xor_b32_e32 v114, s16, v114
	v_cmp_gt_i32_e64 s16, 0, v6
	v_and_b32_e32 v3, exec_lo, v3
	v_not_b32_e32 v6, v111
	v_ashrrev_i32_e32 v5, 31, v5
	v_xor_b32_e32 v4, vcc_lo, v4
	v_cmp_gt_i32_e32 vcc_lo, 0, v111
	v_and_b32_e32 v3, v3, v114
	v_not_b32_e32 v111, v112
	v_ashrrev_i32_e32 v6, 31, v6
	v_xor_b32_e32 v5, s16, v5
	v_cmp_gt_i32_e64 s16, 0, v112
	v_and_b32_e32 v3, v3, v4
	v_not_b32_e32 v4, v113
	v_ashrrev_i32_e32 v111, 31, v111
	v_xor_b32_e32 v6, vcc_lo, v6
	v_cmp_gt_i32_e32 vcc_lo, 0, v113
	v_and_b32_e32 v3, v3, v5
	v_not_b32_e32 v5, v110
	v_ashrrev_i32_e32 v4, 31, v4
	v_xor_b32_e32 v111, s16, v111
	v_mul_u32_u24_e32 v2, 9, v2
	v_and_b32_e32 v3, v3, v6
	v_cmp_gt_i32_e64 s16, 0, v110
	v_ashrrev_i32_e32 v5, 31, v5
	v_xor_b32_e32 v4, vcc_lo, v4
	v_add_lshl_u32 v6, v2, v86, 2
	v_and_b32_e32 v3, v3, v111
	s_delay_alu instid0(VALU_DEP_4) | instskip(SKIP_3) | instid1(VALU_DEP_2)
	v_xor_b32_e32 v2, s16, v5
	ds_load_b32 v111, v6 offset:1056
	v_and_b32_e32 v3, v3, v4
	v_add_nc_u32_e32 v113, 0x420, v6
	; wave barrier
	v_and_b32_e32 v2, v3, v2
	s_delay_alu instid0(VALU_DEP_1) | instskip(SKIP_1) | instid1(VALU_DEP_2)
	v_mbcnt_lo_u32_b32 v112, v2, 0
	v_cmp_ne_u32_e64 s16, 0, v2
	v_cmp_eq_u32_e32 vcc_lo, 0, v112
	s_delay_alu instid0(VALU_DEP_2) | instskip(NEXT) | instid1(SALU_CYCLE_1)
	s_and_b32 s17, s16, vcc_lo
	s_and_saveexec_b32 s16, s17
	s_cbranch_execz .LBB1333_590
; %bb.589:                              ;   in Loop: Header=BB1333_566 Depth=2
	s_waitcnt lgkmcnt(0)
	v_bcnt_u32_b32 v2, v2, v111
	ds_store_b32 v113, v2
.LBB1333_590:                           ;   in Loop: Header=BB1333_566 Depth=2
	s_or_b32 exec_lo, exec_lo, s16
	v_cmp_gt_i32_e32 vcc_lo, 0, v7
	; wave barrier
	v_cndmask_b32_e64 v2, 0x7fffffff, 0, vcc_lo
	s_delay_alu instid0(VALU_DEP_1) | instskip(NEXT) | instid1(VALU_DEP_1)
	v_xor_b32_e32 v110, v2, v7
	v_cmp_ne_u32_e32 vcc_lo, 0x80000000, v110
	v_cndmask_b32_e32 v2, 0x7fffffff, v110, vcc_lo
	s_delay_alu instid0(VALU_DEP_1) | instskip(NEXT) | instid1(VALU_DEP_1)
	v_lshrrev_b32_e32 v2, s57, v2
	v_and_b32_e32 v2, s31, v2
	s_delay_alu instid0(VALU_DEP_1)
	v_and_b32_e32 v3, 1, v2
	v_lshlrev_b32_e32 v4, 30, v2
	v_lshlrev_b32_e32 v5, 29, v2
	v_lshlrev_b32_e32 v6, 28, v2
	v_lshlrev_b32_e32 v114, 27, v2
	v_add_co_u32 v3, s16, v3, -1
	s_delay_alu instid0(VALU_DEP_1)
	v_cndmask_b32_e64 v7, 0, 1, s16
	v_not_b32_e32 v117, v4
	v_cmp_gt_i32_e64 s16, 0, v4
	v_not_b32_e32 v4, v5
	v_lshlrev_b32_e32 v115, 26, v2
	v_cmp_ne_u32_e32 vcc_lo, 0, v7
	v_ashrrev_i32_e32 v117, 31, v117
	v_lshlrev_b32_e32 v116, 25, v2
	v_ashrrev_i32_e32 v4, 31, v4
	v_lshlrev_b32_e32 v7, 24, v2
	v_xor_b32_e32 v3, vcc_lo, v3
	v_cmp_gt_i32_e32 vcc_lo, 0, v5
	v_not_b32_e32 v5, v6
	v_xor_b32_e32 v117, s16, v117
	v_cmp_gt_i32_e64 s16, 0, v6
	v_and_b32_e32 v3, exec_lo, v3
	v_not_b32_e32 v6, v114
	v_ashrrev_i32_e32 v5, 31, v5
	v_xor_b32_e32 v4, vcc_lo, v4
	v_cmp_gt_i32_e32 vcc_lo, 0, v114
	v_and_b32_e32 v3, v3, v117
	v_not_b32_e32 v114, v115
	v_ashrrev_i32_e32 v6, 31, v6
	v_xor_b32_e32 v5, s16, v5
	v_cmp_gt_i32_e64 s16, 0, v115
	v_and_b32_e32 v3, v3, v4
	v_not_b32_e32 v4, v116
	v_ashrrev_i32_e32 v114, 31, v114
	v_xor_b32_e32 v6, vcc_lo, v6
	v_cmp_gt_i32_e32 vcc_lo, 0, v116
	v_and_b32_e32 v3, v3, v5
	v_not_b32_e32 v5, v7
	v_ashrrev_i32_e32 v4, 31, v4
	v_xor_b32_e32 v114, s16, v114
	v_mul_u32_u24_e32 v2, 9, v2
	v_and_b32_e32 v3, v3, v6
	v_cmp_gt_i32_e64 s16, 0, v7
	v_ashrrev_i32_e32 v5, 31, v5
	v_xor_b32_e32 v4, vcc_lo, v4
	v_add_lshl_u32 v6, v2, v86, 2
	v_and_b32_e32 v3, v3, v114
	s_delay_alu instid0(VALU_DEP_4) | instskip(SKIP_3) | instid1(VALU_DEP_2)
	v_xor_b32_e32 v2, s16, v5
	ds_load_b32 v115, v6 offset:1056
	v_and_b32_e32 v3, v3, v4
	v_add_nc_u32_e32 v117, 0x420, v6
	; wave barrier
	v_and_b32_e32 v2, v3, v2
	s_delay_alu instid0(VALU_DEP_1) | instskip(SKIP_1) | instid1(VALU_DEP_2)
	v_mbcnt_lo_u32_b32 v116, v2, 0
	v_cmp_ne_u32_e64 s16, 0, v2
	v_cmp_eq_u32_e32 vcc_lo, 0, v116
	s_delay_alu instid0(VALU_DEP_2) | instskip(NEXT) | instid1(SALU_CYCLE_1)
	s_and_b32 s17, s16, vcc_lo
	s_and_saveexec_b32 s16, s17
	s_cbranch_execz .LBB1333_592
; %bb.591:                              ;   in Loop: Header=BB1333_566 Depth=2
	s_waitcnt lgkmcnt(0)
	v_bcnt_u32_b32 v2, v2, v115
	ds_store_b32 v117, v2
.LBB1333_592:                           ;   in Loop: Header=BB1333_566 Depth=2
	s_or_b32 exec_lo, exec_lo, s16
	v_cmp_gt_i32_e32 vcc_lo, 0, v8
	; wave barrier
	v_cndmask_b32_e64 v2, 0x7fffffff, 0, vcc_lo
	s_delay_alu instid0(VALU_DEP_1) | instskip(NEXT) | instid1(VALU_DEP_1)
	v_xor_b32_e32 v114, v2, v8
	v_cmp_ne_u32_e32 vcc_lo, 0x80000000, v114
	v_cndmask_b32_e32 v2, 0x7fffffff, v114, vcc_lo
	s_delay_alu instid0(VALU_DEP_1) | instskip(NEXT) | instid1(VALU_DEP_1)
	v_lshrrev_b32_e32 v2, s57, v2
	v_and_b32_e32 v2, s31, v2
	s_delay_alu instid0(VALU_DEP_1)
	v_and_b32_e32 v3, 1, v2
	v_lshlrev_b32_e32 v4, 30, v2
	v_lshlrev_b32_e32 v5, 29, v2
	;; [unrolled: 1-line block ×4, first 2 shown]
	v_add_co_u32 v3, s16, v3, -1
	s_delay_alu instid0(VALU_DEP_1)
	v_cndmask_b32_e64 v7, 0, 1, s16
	v_not_b32_e32 v120, v4
	v_cmp_gt_i32_e64 s16, 0, v4
	v_not_b32_e32 v4, v5
	v_lshlrev_b32_e32 v118, 26, v2
	v_cmp_ne_u32_e32 vcc_lo, 0, v7
	v_ashrrev_i32_e32 v120, 31, v120
	v_lshlrev_b32_e32 v119, 25, v2
	v_ashrrev_i32_e32 v4, 31, v4
	v_lshlrev_b32_e32 v7, 24, v2
	v_xor_b32_e32 v3, vcc_lo, v3
	v_cmp_gt_i32_e32 vcc_lo, 0, v5
	v_not_b32_e32 v5, v6
	v_xor_b32_e32 v120, s16, v120
	v_cmp_gt_i32_e64 s16, 0, v6
	v_and_b32_e32 v3, exec_lo, v3
	v_not_b32_e32 v6, v8
	v_ashrrev_i32_e32 v5, 31, v5
	v_xor_b32_e32 v4, vcc_lo, v4
	v_cmp_gt_i32_e32 vcc_lo, 0, v8
	v_and_b32_e32 v3, v3, v120
	v_not_b32_e32 v8, v118
	v_ashrrev_i32_e32 v6, 31, v6
	v_xor_b32_e32 v5, s16, v5
	v_cmp_gt_i32_e64 s16, 0, v118
	v_and_b32_e32 v3, v3, v4
	v_not_b32_e32 v4, v119
	v_ashrrev_i32_e32 v8, 31, v8
	v_xor_b32_e32 v6, vcc_lo, v6
	v_cmp_gt_i32_e32 vcc_lo, 0, v119
	v_and_b32_e32 v3, v3, v5
	v_not_b32_e32 v5, v7
	v_ashrrev_i32_e32 v4, 31, v4
	v_xor_b32_e32 v8, s16, v8
	v_mul_u32_u24_e32 v2, 9, v2
	v_and_b32_e32 v3, v3, v6
	v_cmp_gt_i32_e64 s16, 0, v7
	v_ashrrev_i32_e32 v5, 31, v5
	v_xor_b32_e32 v4, vcc_lo, v4
	v_add_lshl_u32 v6, v2, v86, 2
	v_and_b32_e32 v3, v3, v8
	s_delay_alu instid0(VALU_DEP_4) | instskip(SKIP_3) | instid1(VALU_DEP_2)
	v_xor_b32_e32 v2, s16, v5
	ds_load_b32 v119, v6 offset:1056
	v_and_b32_e32 v3, v3, v4
	v_add_nc_u32_e32 v121, 0x420, v6
	; wave barrier
	v_and_b32_e32 v2, v3, v2
	s_delay_alu instid0(VALU_DEP_1) | instskip(SKIP_1) | instid1(VALU_DEP_2)
	v_mbcnt_lo_u32_b32 v120, v2, 0
	v_cmp_ne_u32_e64 s16, 0, v2
	v_cmp_eq_u32_e32 vcc_lo, 0, v120
	s_delay_alu instid0(VALU_DEP_2) | instskip(NEXT) | instid1(SALU_CYCLE_1)
	s_and_b32 s17, s16, vcc_lo
	s_and_saveexec_b32 s16, s17
	s_cbranch_execz .LBB1333_594
; %bb.593:                              ;   in Loop: Header=BB1333_566 Depth=2
	s_waitcnt lgkmcnt(0)
	v_bcnt_u32_b32 v2, v2, v119
	ds_store_b32 v121, v2
.LBB1333_594:                           ;   in Loop: Header=BB1333_566 Depth=2
	s_or_b32 exec_lo, exec_lo, s16
	v_cmp_gt_i32_e32 vcc_lo, 0, v9
	; wave barrier
	v_cndmask_b32_e64 v2, 0x7fffffff, 0, vcc_lo
	s_delay_alu instid0(VALU_DEP_1) | instskip(NEXT) | instid1(VALU_DEP_1)
	v_xor_b32_e32 v118, v2, v9
	v_cmp_ne_u32_e32 vcc_lo, 0x80000000, v118
	v_cndmask_b32_e32 v2, 0x7fffffff, v118, vcc_lo
	s_delay_alu instid0(VALU_DEP_1) | instskip(NEXT) | instid1(VALU_DEP_1)
	v_lshrrev_b32_e32 v2, s57, v2
	v_and_b32_e32 v2, s31, v2
	s_delay_alu instid0(VALU_DEP_1)
	v_and_b32_e32 v3, 1, v2
	v_lshlrev_b32_e32 v4, 30, v2
	v_lshlrev_b32_e32 v5, 29, v2
	;; [unrolled: 1-line block ×4, first 2 shown]
	v_add_co_u32 v3, s16, v3, -1
	s_delay_alu instid0(VALU_DEP_1)
	v_cndmask_b32_e64 v7, 0, 1, s16
	v_not_b32_e32 v123, v4
	v_cmp_gt_i32_e64 s16, 0, v4
	v_not_b32_e32 v4, v5
	v_lshlrev_b32_e32 v9, 26, v2
	v_cmp_ne_u32_e32 vcc_lo, 0, v7
	v_ashrrev_i32_e32 v123, 31, v123
	v_lshlrev_b32_e32 v122, 25, v2
	v_ashrrev_i32_e32 v4, 31, v4
	v_lshlrev_b32_e32 v7, 24, v2
	v_xor_b32_e32 v3, vcc_lo, v3
	v_cmp_gt_i32_e32 vcc_lo, 0, v5
	v_not_b32_e32 v5, v6
	v_xor_b32_e32 v123, s16, v123
	v_cmp_gt_i32_e64 s16, 0, v6
	v_and_b32_e32 v3, exec_lo, v3
	v_not_b32_e32 v6, v8
	v_ashrrev_i32_e32 v5, 31, v5
	v_xor_b32_e32 v4, vcc_lo, v4
	v_cmp_gt_i32_e32 vcc_lo, 0, v8
	v_and_b32_e32 v3, v3, v123
	v_not_b32_e32 v8, v9
	v_ashrrev_i32_e32 v6, 31, v6
	v_xor_b32_e32 v5, s16, v5
	v_cmp_gt_i32_e64 s16, 0, v9
	v_and_b32_e32 v3, v3, v4
	v_not_b32_e32 v4, v122
	v_ashrrev_i32_e32 v8, 31, v8
	v_xor_b32_e32 v6, vcc_lo, v6
	v_cmp_gt_i32_e32 vcc_lo, 0, v122
	v_and_b32_e32 v3, v3, v5
	v_not_b32_e32 v5, v7
	v_ashrrev_i32_e32 v4, 31, v4
	v_xor_b32_e32 v8, s16, v8
	v_mul_u32_u24_e32 v2, 9, v2
	v_and_b32_e32 v3, v3, v6
	v_cmp_gt_i32_e64 s16, 0, v7
	v_ashrrev_i32_e32 v5, 31, v5
	v_xor_b32_e32 v4, vcc_lo, v4
	v_add_lshl_u32 v6, v2, v86, 2
	v_and_b32_e32 v3, v3, v8
	s_delay_alu instid0(VALU_DEP_4) | instskip(SKIP_3) | instid1(VALU_DEP_2)
	v_xor_b32_e32 v2, s16, v5
	ds_load_b32 v122, v6 offset:1056
	v_and_b32_e32 v3, v3, v4
	v_add_nc_u32_e32 v124, 0x420, v6
	; wave barrier
	v_and_b32_e32 v2, v3, v2
	s_delay_alu instid0(VALU_DEP_1) | instskip(SKIP_1) | instid1(VALU_DEP_2)
	v_mbcnt_lo_u32_b32 v123, v2, 0
	v_cmp_ne_u32_e64 s16, 0, v2
	v_cmp_eq_u32_e32 vcc_lo, 0, v123
	s_delay_alu instid0(VALU_DEP_2) | instskip(NEXT) | instid1(SALU_CYCLE_1)
	s_and_b32 s17, s16, vcc_lo
	s_and_saveexec_b32 s16, s17
	s_cbranch_execz .LBB1333_596
; %bb.595:                              ;   in Loop: Header=BB1333_566 Depth=2
	s_waitcnt lgkmcnt(0)
	v_bcnt_u32_b32 v2, v2, v122
	ds_store_b32 v124, v2
.LBB1333_596:                           ;   in Loop: Header=BB1333_566 Depth=2
	s_or_b32 exec_lo, exec_lo, s16
	; wave barrier
	s_waitcnt lgkmcnt(0)
	s_barrier
	buffer_gl0_inv
	ds_load_b32 v125, v49 offset:1056
	ds_load_2addr_b32 v[8:9], v51 offset0:1 offset1:2
	ds_load_2addr_b32 v[6:7], v51 offset0:3 offset1:4
	;; [unrolled: 1-line block ×4, first 2 shown]
	s_waitcnt lgkmcnt(3)
	v_add3_u32 v126, v8, v125, v9
	s_waitcnt lgkmcnt(2)
	s_delay_alu instid0(VALU_DEP_1) | instskip(SKIP_1) | instid1(VALU_DEP_1)
	v_add3_u32 v126, v126, v6, v7
	s_waitcnt lgkmcnt(1)
	v_add3_u32 v126, v126, v2, v3
	s_waitcnt lgkmcnt(0)
	s_delay_alu instid0(VALU_DEP_1) | instskip(NEXT) | instid1(VALU_DEP_1)
	v_add3_u32 v5, v126, v4, v5
	v_mov_b32_dpp v126, v5 row_shr:1 row_mask:0xf bank_mask:0xf
	s_delay_alu instid0(VALU_DEP_1) | instskip(NEXT) | instid1(VALU_DEP_1)
	v_cndmask_b32_e64 v126, v126, 0, s1
	v_add_nc_u32_e32 v5, v126, v5
	s_delay_alu instid0(VALU_DEP_1) | instskip(NEXT) | instid1(VALU_DEP_1)
	v_mov_b32_dpp v126, v5 row_shr:2 row_mask:0xf bank_mask:0xf
	v_cndmask_b32_e64 v126, 0, v126, s7
	s_delay_alu instid0(VALU_DEP_1) | instskip(NEXT) | instid1(VALU_DEP_1)
	v_add_nc_u32_e32 v5, v5, v126
	v_mov_b32_dpp v126, v5 row_shr:4 row_mask:0xf bank_mask:0xf
	s_delay_alu instid0(VALU_DEP_1) | instskip(NEXT) | instid1(VALU_DEP_1)
	v_cndmask_b32_e64 v126, 0, v126, s8
	v_add_nc_u32_e32 v5, v5, v126
	s_delay_alu instid0(VALU_DEP_1) | instskip(NEXT) | instid1(VALU_DEP_1)
	v_mov_b32_dpp v126, v5 row_shr:8 row_mask:0xf bank_mask:0xf
	v_cndmask_b32_e64 v126, 0, v126, s9
	s_delay_alu instid0(VALU_DEP_1) | instskip(SKIP_3) | instid1(VALU_DEP_1)
	v_add_nc_u32_e32 v5, v5, v126
	ds_swizzle_b32 v126, v5 offset:swizzle(BROADCAST,32,15)
	s_waitcnt lgkmcnt(0)
	v_cndmask_b32_e64 v126, v126, 0, s10
	v_add_nc_u32_e32 v5, v5, v126
	s_and_saveexec_b32 s16, s3
	s_cbranch_execz .LBB1333_598
; %bb.597:                              ;   in Loop: Header=BB1333_566 Depth=2
	ds_store_b32 v41, v5 offset:1024
.LBB1333_598:                           ;   in Loop: Header=BB1333_566 Depth=2
	s_or_b32 exec_lo, exec_lo, s16
	s_waitcnt lgkmcnt(0)
	s_barrier
	buffer_gl0_inv
	s_and_saveexec_b32 s16, s4
	s_cbranch_execz .LBB1333_600
; %bb.599:                              ;   in Loop: Header=BB1333_566 Depth=2
	ds_load_b32 v126, v52 offset:1024
	s_waitcnt lgkmcnt(0)
	v_mov_b32_dpp v127, v126 row_shr:1 row_mask:0xf bank_mask:0xf
	s_delay_alu instid0(VALU_DEP_1) | instskip(NEXT) | instid1(VALU_DEP_1)
	v_cndmask_b32_e64 v127, v127, 0, s12
	v_add_nc_u32_e32 v126, v127, v126
	s_delay_alu instid0(VALU_DEP_1) | instskip(NEXT) | instid1(VALU_DEP_1)
	v_mov_b32_dpp v127, v126 row_shr:2 row_mask:0xf bank_mask:0xf
	v_cndmask_b32_e64 v127, 0, v127, s13
	s_delay_alu instid0(VALU_DEP_1) | instskip(NEXT) | instid1(VALU_DEP_1)
	v_add_nc_u32_e32 v126, v126, v127
	v_mov_b32_dpp v127, v126 row_shr:4 row_mask:0xf bank_mask:0xf
	s_delay_alu instid0(VALU_DEP_1) | instskip(NEXT) | instid1(VALU_DEP_1)
	v_cndmask_b32_e64 v127, 0, v127, s14
	v_add_nc_u32_e32 v126, v126, v127
	ds_store_b32 v52, v126 offset:1024
.LBB1333_600:                           ;   in Loop: Header=BB1333_566 Depth=2
	s_or_b32 exec_lo, exec_lo, s16
	v_mov_b32_e32 v126, 0
	s_waitcnt lgkmcnt(0)
	s_barrier
	buffer_gl0_inv
	s_and_saveexec_b32 s16, s5
	s_cbranch_execz .LBB1333_602
; %bb.601:                              ;   in Loop: Header=BB1333_566 Depth=2
	ds_load_b32 v126, v41 offset:1020
.LBB1333_602:                           ;   in Loop: Header=BB1333_566 Depth=2
	s_or_b32 exec_lo, exec_lo, s16
	s_waitcnt lgkmcnt(0)
	v_add_nc_u32_e32 v5, v126, v5
	ds_bpermute_b32 v5, v73, v5
	s_waitcnt lgkmcnt(0)
	v_cndmask_b32_e64 v5, v5, v126, s11
	s_delay_alu instid0(VALU_DEP_1) | instskip(NEXT) | instid1(VALU_DEP_1)
	v_cndmask_b32_e64 v5, v5, 0, s0
	v_add_nc_u32_e32 v125, v5, v125
	s_delay_alu instid0(VALU_DEP_1) | instskip(NEXT) | instid1(VALU_DEP_1)
	v_add_nc_u32_e32 v8, v125, v8
	v_add_nc_u32_e32 v9, v8, v9
	s_delay_alu instid0(VALU_DEP_1) | instskip(NEXT) | instid1(VALU_DEP_1)
	v_add_nc_u32_e32 v6, v9, v6
	;; [unrolled: 3-line block ×3, first 2 shown]
	v_add_nc_u32_e32 v3, v2, v3
	s_delay_alu instid0(VALU_DEP_1)
	v_add_nc_u32_e32 v4, v3, v4
	ds_store_b32 v49, v5 offset:1056
	ds_store_2addr_b32 v51, v125, v8 offset0:1 offset1:2
	ds_store_2addr_b32 v51, v9, v6 offset0:3 offset1:4
	;; [unrolled: 1-line block ×4, first 2 shown]
	v_mov_b32_e32 v4, 0x800
	s_waitcnt lgkmcnt(0)
	s_barrier
	buffer_gl0_inv
	ds_load_b32 v5, v101
	ds_load_b32 v6, v105
	;; [unrolled: 1-line block ×8, first 2 shown]
	ds_load_b32 v101, v49 offset:1056
	s_and_saveexec_b32 s16, s6
	s_cbranch_execz .LBB1333_604
; %bb.603:                              ;   in Loop: Header=BB1333_566 Depth=2
	ds_load_b32 v4, v53 offset:1056
.LBB1333_604:                           ;   in Loop: Header=BB1333_566 Depth=2
	s_or_b32 exec_lo, exec_lo, s16
	s_waitcnt lgkmcnt(0)
	s_barrier
	buffer_gl0_inv
	s_and_saveexec_b32 s16, s2
	s_cbranch_execz .LBB1333_606
; %bb.605:                              ;   in Loop: Header=BB1333_566 Depth=2
	ds_load_b32 v105, v31
	s_waitcnt lgkmcnt(0)
	v_sub_nc_u32_e32 v101, v105, v101
	ds_store_b32 v31, v101
.LBB1333_606:                           ;   in Loop: Header=BB1333_566 Depth=2
	s_or_b32 exec_lo, exec_lo, s16
	v_add_nc_u32_e32 v101, v97, v29
	v_add3_u32 v29, v104, v102, v6
	v_add3_u32 v7, v108, v107, v7
	;; [unrolled: 1-line block ×5, first 2 shown]
	v_lshlrev_b32_e32 v98, 2, v101
	v_add3_u32 v8, v120, v119, v3
	v_lshlrev_b32_e32 v3, 2, v29
	v_add3_u32 v9, v123, v122, v2
	v_lshlrev_b32_e32 v2, 2, v7
	v_lshlrev_b32_e32 v99, 2, v97
	ds_store_b32 v98, v19 offset:1024
	ds_store_b32 v99, v30 offset:1024
	;; [unrolled: 1-line block ×3, first 2 shown]
	v_lshlrev_b32_e32 v3, 2, v6
	ds_store_b32 v2, v103 offset:1024
	v_lshlrev_b32_e32 v2, 2, v9
	v_cmp_lt_u32_e32 vcc_lo, v18, v0
	v_lshlrev_b32_e32 v19, 2, v5
	v_lshlrev_b32_e32 v30, 2, v8
	ds_store_b32 v3, v106 offset:1024
	ds_store_b32 v19, v110 offset:1024
	;; [unrolled: 1-line block ×4, first 2 shown]
	s_waitcnt lgkmcnt(0)
	s_barrier
	buffer_gl0_inv
	s_and_saveexec_b32 s17, vcc_lo
	s_cbranch_execz .LBB1333_614
; %bb.607:                              ;   in Loop: Header=BB1333_566 Depth=2
	ds_load_b32 v30, v52 offset:1024
	s_waitcnt lgkmcnt(0)
	v_cmp_ne_u32_e64 s16, 0x80000000, v30
	s_delay_alu instid0(VALU_DEP_1) | instskip(SKIP_1) | instid1(VALU_DEP_2)
	v_cndmask_b32_e64 v2, 0x7fffffff, v30, s16
	v_cmp_gt_i32_e64 s16, 0, v30
	v_lshrrev_b32_e32 v2, s57, v2
	s_delay_alu instid0(VALU_DEP_2) | instskip(NEXT) | instid1(VALU_DEP_2)
	v_cndmask_b32_e64 v98, 0x7fffffff, 0, s16
	v_and_b32_e32 v2, s31, v2
	s_delay_alu instid0(VALU_DEP_1) | instskip(SKIP_3) | instid1(VALU_DEP_1)
	v_lshlrev_b32_e32 v2, 2, v2
	ds_load_b32 v2, v2
	s_waitcnt lgkmcnt(0)
	v_add_nc_u32_e32 v19, v2, v18
	v_lshlrev_b64 v[2:3], 2, v[19:20]
	v_xor_b32_e32 v19, v98, v30
	s_delay_alu instid0(VALU_DEP_2) | instskip(NEXT) | instid1(VALU_DEP_1)
	v_add_co_u32 v2, s16, s48, v2
	v_add_co_ci_u32_e64 v3, s16, s49, v3, s16
	global_store_b32 v[2:3], v19, off
	s_or_b32 exec_lo, exec_lo, s17
	v_cmp_lt_u32_e64 s16, v32, v0
	s_delay_alu instid0(VALU_DEP_1)
	s_and_saveexec_b32 s18, s16
	s_cbranch_execnz .LBB1333_615
.LBB1333_608:                           ;   in Loop: Header=BB1333_566 Depth=2
	s_or_b32 exec_lo, exec_lo, s18
	v_cmp_lt_u32_e64 s17, v33, v0
	s_delay_alu instid0(VALU_DEP_1)
	s_and_saveexec_b32 s19, s17
	s_cbranch_execz .LBB1333_616
.LBB1333_609:                           ;   in Loop: Header=BB1333_566 Depth=2
	ds_load_b32 v30, v58 offset:2048
	s_waitcnt lgkmcnt(0)
	v_cmp_ne_u32_e64 s18, 0x80000000, v30
	s_delay_alu instid0(VALU_DEP_1) | instskip(SKIP_1) | instid1(VALU_DEP_2)
	v_cndmask_b32_e64 v2, 0x7fffffff, v30, s18
	v_cmp_gt_i32_e64 s18, 0, v30
	v_lshrrev_b32_e32 v2, s57, v2
	s_delay_alu instid0(VALU_DEP_2) | instskip(NEXT) | instid1(VALU_DEP_2)
	v_cndmask_b32_e64 v98, 0x7fffffff, 0, s18
	v_and_b32_e32 v2, s31, v2
	s_delay_alu instid0(VALU_DEP_1) | instskip(SKIP_3) | instid1(VALU_DEP_1)
	v_lshlrev_b32_e32 v2, 2, v2
	ds_load_b32 v2, v2
	s_waitcnt lgkmcnt(0)
	v_add_nc_u32_e32 v19, v2, v33
	v_lshlrev_b64 v[2:3], 2, v[19:20]
	v_xor_b32_e32 v19, v98, v30
	s_delay_alu instid0(VALU_DEP_2) | instskip(NEXT) | instid1(VALU_DEP_1)
	v_add_co_u32 v2, s18, s48, v2
	v_add_co_ci_u32_e64 v3, s18, s49, v3, s18
	global_store_b32 v[2:3], v19, off
	s_or_b32 exec_lo, exec_lo, s19
	v_cmp_lt_u32_e64 s18, v34, v0
	s_delay_alu instid0(VALU_DEP_1)
	s_and_saveexec_b32 s20, s18
	s_cbranch_execnz .LBB1333_617
.LBB1333_610:                           ;   in Loop: Header=BB1333_566 Depth=2
	s_or_b32 exec_lo, exec_lo, s20
	v_cmp_lt_u32_e64 s19, v38, v0
	s_delay_alu instid0(VALU_DEP_1)
	s_and_saveexec_b32 s21, s19
	s_cbranch_execz .LBB1333_618
.LBB1333_611:                           ;   in Loop: Header=BB1333_566 Depth=2
	ds_load_b32 v30, v58 offset:4096
	s_waitcnt lgkmcnt(0)
	v_cmp_ne_u32_e64 s20, 0x80000000, v30
	s_delay_alu instid0(VALU_DEP_1) | instskip(SKIP_1) | instid1(VALU_DEP_2)
	v_cndmask_b32_e64 v2, 0x7fffffff, v30, s20
	v_cmp_gt_i32_e64 s20, 0, v30
	v_lshrrev_b32_e32 v2, s57, v2
	s_delay_alu instid0(VALU_DEP_2) | instskip(NEXT) | instid1(VALU_DEP_2)
	v_cndmask_b32_e64 v98, 0x7fffffff, 0, s20
	v_and_b32_e32 v2, s31, v2
	s_delay_alu instid0(VALU_DEP_1) | instskip(SKIP_3) | instid1(VALU_DEP_1)
	v_lshlrev_b32_e32 v2, 2, v2
	ds_load_b32 v2, v2
	s_waitcnt lgkmcnt(0)
	v_add_nc_u32_e32 v19, v2, v38
	v_lshlrev_b64 v[2:3], 2, v[19:20]
	v_xor_b32_e32 v19, v98, v30
	s_delay_alu instid0(VALU_DEP_2) | instskip(NEXT) | instid1(VALU_DEP_1)
	v_add_co_u32 v2, s20, s48, v2
	v_add_co_ci_u32_e64 v3, s20, s49, v3, s20
	global_store_b32 v[2:3], v19, off
	s_or_b32 exec_lo, exec_lo, s21
	v_cmp_lt_u32_e64 s20, v39, v0
	s_delay_alu instid0(VALU_DEP_1)
	s_and_saveexec_b32 s22, s20
	s_cbranch_execnz .LBB1333_619
.LBB1333_612:                           ;   in Loop: Header=BB1333_566 Depth=2
	s_or_b32 exec_lo, exec_lo, s22
	v_cmp_lt_u32_e64 s21, v40, v0
	s_delay_alu instid0(VALU_DEP_1)
	s_and_saveexec_b32 s23, s21
	s_cbranch_execz .LBB1333_620
.LBB1333_613:                           ;   in Loop: Header=BB1333_566 Depth=2
	ds_load_b32 v30, v58 offset:6144
	s_waitcnt lgkmcnt(0)
	v_cmp_ne_u32_e64 s22, 0x80000000, v30
	s_delay_alu instid0(VALU_DEP_1) | instskip(SKIP_1) | instid1(VALU_DEP_2)
	v_cndmask_b32_e64 v2, 0x7fffffff, v30, s22
	v_cmp_gt_i32_e64 s22, 0, v30
	v_lshrrev_b32_e32 v2, s57, v2
	s_delay_alu instid0(VALU_DEP_2) | instskip(NEXT) | instid1(VALU_DEP_2)
	v_cndmask_b32_e64 v98, 0x7fffffff, 0, s22
	v_and_b32_e32 v2, s31, v2
	s_delay_alu instid0(VALU_DEP_1) | instskip(SKIP_3) | instid1(VALU_DEP_1)
	v_lshlrev_b32_e32 v2, 2, v2
	ds_load_b32 v2, v2
	s_waitcnt lgkmcnt(0)
	v_add_nc_u32_e32 v19, v2, v40
	v_lshlrev_b64 v[2:3], 2, v[19:20]
	v_xor_b32_e32 v19, v98, v30
	s_delay_alu instid0(VALU_DEP_2) | instskip(NEXT) | instid1(VALU_DEP_1)
	v_add_co_u32 v2, s22, s48, v2
	v_add_co_ci_u32_e64 v3, s22, s49, v3, s22
	global_store_b32 v[2:3], v19, off
	s_or_b32 exec_lo, exec_lo, s23
	v_cmp_lt_u32_e64 s22, v42, v0
	s_delay_alu instid0(VALU_DEP_1)
	s_and_saveexec_b32 s37, s22
	s_cbranch_execnz .LBB1333_621
	s_branch .LBB1333_622
.LBB1333_614:                           ;   in Loop: Header=BB1333_566 Depth=2
	s_or_b32 exec_lo, exec_lo, s17
	v_cmp_lt_u32_e64 s16, v32, v0
	s_delay_alu instid0(VALU_DEP_1)
	s_and_saveexec_b32 s18, s16
	s_cbranch_execz .LBB1333_608
.LBB1333_615:                           ;   in Loop: Header=BB1333_566 Depth=2
	ds_load_b32 v30, v58 offset:1024
	s_waitcnt lgkmcnt(0)
	v_cmp_ne_u32_e64 s17, 0x80000000, v30
	s_delay_alu instid0(VALU_DEP_1) | instskip(SKIP_1) | instid1(VALU_DEP_2)
	v_cndmask_b32_e64 v2, 0x7fffffff, v30, s17
	v_cmp_gt_i32_e64 s17, 0, v30
	v_lshrrev_b32_e32 v2, s57, v2
	s_delay_alu instid0(VALU_DEP_2) | instskip(NEXT) | instid1(VALU_DEP_2)
	v_cndmask_b32_e64 v98, 0x7fffffff, 0, s17
	v_and_b32_e32 v2, s31, v2
	s_delay_alu instid0(VALU_DEP_1) | instskip(SKIP_3) | instid1(VALU_DEP_1)
	v_lshlrev_b32_e32 v2, 2, v2
	ds_load_b32 v2, v2
	s_waitcnt lgkmcnt(0)
	v_add_nc_u32_e32 v19, v2, v32
	v_lshlrev_b64 v[2:3], 2, v[19:20]
	v_xor_b32_e32 v19, v98, v30
	s_delay_alu instid0(VALU_DEP_2) | instskip(NEXT) | instid1(VALU_DEP_1)
	v_add_co_u32 v2, s17, s48, v2
	v_add_co_ci_u32_e64 v3, s17, s49, v3, s17
	global_store_b32 v[2:3], v19, off
	s_or_b32 exec_lo, exec_lo, s18
	v_cmp_lt_u32_e64 s17, v33, v0
	s_delay_alu instid0(VALU_DEP_1)
	s_and_saveexec_b32 s19, s17
	s_cbranch_execnz .LBB1333_609
.LBB1333_616:                           ;   in Loop: Header=BB1333_566 Depth=2
	s_or_b32 exec_lo, exec_lo, s19
	v_cmp_lt_u32_e64 s18, v34, v0
	s_delay_alu instid0(VALU_DEP_1)
	s_and_saveexec_b32 s20, s18
	s_cbranch_execz .LBB1333_610
.LBB1333_617:                           ;   in Loop: Header=BB1333_566 Depth=2
	ds_load_b32 v30, v58 offset:3072
	s_waitcnt lgkmcnt(0)
	v_cmp_ne_u32_e64 s19, 0x80000000, v30
	s_delay_alu instid0(VALU_DEP_1) | instskip(SKIP_1) | instid1(VALU_DEP_2)
	v_cndmask_b32_e64 v2, 0x7fffffff, v30, s19
	v_cmp_gt_i32_e64 s19, 0, v30
	v_lshrrev_b32_e32 v2, s57, v2
	s_delay_alu instid0(VALU_DEP_2) | instskip(NEXT) | instid1(VALU_DEP_2)
	v_cndmask_b32_e64 v98, 0x7fffffff, 0, s19
	v_and_b32_e32 v2, s31, v2
	s_delay_alu instid0(VALU_DEP_1) | instskip(SKIP_3) | instid1(VALU_DEP_1)
	v_lshlrev_b32_e32 v2, 2, v2
	ds_load_b32 v2, v2
	s_waitcnt lgkmcnt(0)
	v_add_nc_u32_e32 v19, v2, v34
	v_lshlrev_b64 v[2:3], 2, v[19:20]
	v_xor_b32_e32 v19, v98, v30
	s_delay_alu instid0(VALU_DEP_2) | instskip(NEXT) | instid1(VALU_DEP_1)
	v_add_co_u32 v2, s19, s48, v2
	v_add_co_ci_u32_e64 v3, s19, s49, v3, s19
	global_store_b32 v[2:3], v19, off
	s_or_b32 exec_lo, exec_lo, s20
	v_cmp_lt_u32_e64 s19, v38, v0
	s_delay_alu instid0(VALU_DEP_1)
	s_and_saveexec_b32 s21, s19
	s_cbranch_execnz .LBB1333_611
.LBB1333_618:                           ;   in Loop: Header=BB1333_566 Depth=2
	s_or_b32 exec_lo, exec_lo, s21
	v_cmp_lt_u32_e64 s20, v39, v0
	s_delay_alu instid0(VALU_DEP_1)
	s_and_saveexec_b32 s22, s20
	s_cbranch_execz .LBB1333_612
.LBB1333_619:                           ;   in Loop: Header=BB1333_566 Depth=2
	ds_load_b32 v30, v58 offset:5120
	s_waitcnt lgkmcnt(0)
	v_cmp_ne_u32_e64 s21, 0x80000000, v30
	s_delay_alu instid0(VALU_DEP_1) | instskip(SKIP_1) | instid1(VALU_DEP_2)
	v_cndmask_b32_e64 v2, 0x7fffffff, v30, s21
	v_cmp_gt_i32_e64 s21, 0, v30
	v_lshrrev_b32_e32 v2, s57, v2
	s_delay_alu instid0(VALU_DEP_2) | instskip(NEXT) | instid1(VALU_DEP_2)
	v_cndmask_b32_e64 v98, 0x7fffffff, 0, s21
	v_and_b32_e32 v2, s31, v2
	s_delay_alu instid0(VALU_DEP_1) | instskip(SKIP_3) | instid1(VALU_DEP_1)
	v_lshlrev_b32_e32 v2, 2, v2
	ds_load_b32 v2, v2
	s_waitcnt lgkmcnt(0)
	v_add_nc_u32_e32 v19, v2, v39
	v_lshlrev_b64 v[2:3], 2, v[19:20]
	v_xor_b32_e32 v19, v98, v30
	s_delay_alu instid0(VALU_DEP_2) | instskip(NEXT) | instid1(VALU_DEP_1)
	v_add_co_u32 v2, s21, s48, v2
	v_add_co_ci_u32_e64 v3, s21, s49, v3, s21
	global_store_b32 v[2:3], v19, off
	s_or_b32 exec_lo, exec_lo, s22
	v_cmp_lt_u32_e64 s21, v40, v0
	s_delay_alu instid0(VALU_DEP_1)
	s_and_saveexec_b32 s23, s21
	s_cbranch_execnz .LBB1333_613
.LBB1333_620:                           ;   in Loop: Header=BB1333_566 Depth=2
	s_or_b32 exec_lo, exec_lo, s23
	v_cmp_lt_u32_e64 s22, v42, v0
	s_delay_alu instid0(VALU_DEP_1)
	s_and_saveexec_b32 s37, s22
	s_cbranch_execz .LBB1333_622
.LBB1333_621:                           ;   in Loop: Header=BB1333_566 Depth=2
	ds_load_b32 v30, v58 offset:7168
	s_waitcnt lgkmcnt(0)
	v_cmp_ne_u32_e64 s23, 0x80000000, v30
	s_delay_alu instid0(VALU_DEP_1) | instskip(SKIP_1) | instid1(VALU_DEP_2)
	v_cndmask_b32_e64 v2, 0x7fffffff, v30, s23
	v_cmp_gt_i32_e64 s23, 0, v30
	v_lshrrev_b32_e32 v2, s57, v2
	s_delay_alu instid0(VALU_DEP_2) | instskip(NEXT) | instid1(VALU_DEP_2)
	v_cndmask_b32_e64 v98, 0x7fffffff, 0, s23
	v_and_b32_e32 v2, s31, v2
	s_delay_alu instid0(VALU_DEP_1) | instskip(SKIP_3) | instid1(VALU_DEP_1)
	v_lshlrev_b32_e32 v2, 2, v2
	ds_load_b32 v2, v2
	s_waitcnt lgkmcnt(0)
	v_add_nc_u32_e32 v19, v2, v42
	v_lshlrev_b64 v[2:3], 2, v[19:20]
	v_xor_b32_e32 v19, v98, v30
	s_delay_alu instid0(VALU_DEP_2) | instskip(NEXT) | instid1(VALU_DEP_1)
	v_add_co_u32 v2, s23, s48, v2
	v_add_co_ci_u32_e64 v3, s23, s49, v3, s23
	global_store_b32 v[2:3], v19, off
.LBB1333_622:                           ;   in Loop: Header=BB1333_566 Depth=2
	s_or_b32 exec_lo, exec_lo, s37
	s_lshl_b64 s[38:39], s[24:25], 3
	s_delay_alu instid0(SALU_CYCLE_1) | instskip(NEXT) | instid1(VALU_DEP_1)
	v_add_co_u32 v2, s23, v75, s38
	v_add_co_ci_u32_e64 v3, s23, s39, v76, s23
	v_cmp_lt_u32_e64 s23, v74, v0
	s_delay_alu instid0(VALU_DEP_1) | instskip(NEXT) | instid1(SALU_CYCLE_1)
	s_and_saveexec_b32 s24, s23
	s_xor_b32 s23, exec_lo, s24
	s_cbranch_execz .LBB1333_638
; %bb.623:                              ;   in Loop: Header=BB1333_566 Depth=2
	global_load_b64 v[27:28], v[2:3], off
	s_or_b32 exec_lo, exec_lo, s23
	s_delay_alu instid0(SALU_CYCLE_1)
	s_mov_b32 s24, exec_lo
	v_cmpx_lt_u32_e64 v77, v0
	s_cbranch_execnz .LBB1333_639
.LBB1333_624:                           ;   in Loop: Header=BB1333_566 Depth=2
	s_or_b32 exec_lo, exec_lo, s24
	s_delay_alu instid0(SALU_CYCLE_1)
	s_mov_b32 s24, exec_lo
	v_cmpx_lt_u32_e64 v78, v0
	s_cbranch_execz .LBB1333_640
.LBB1333_625:                           ;   in Loop: Header=BB1333_566 Depth=2
	global_load_b64 v[23:24], v[2:3], off offset:512
	s_or_b32 exec_lo, exec_lo, s24
	s_delay_alu instid0(SALU_CYCLE_1)
	s_mov_b32 s24, exec_lo
	v_cmpx_lt_u32_e64 v79, v0
	s_cbranch_execnz .LBB1333_641
.LBB1333_626:                           ;   in Loop: Header=BB1333_566 Depth=2
	s_or_b32 exec_lo, exec_lo, s24
	s_delay_alu instid0(SALU_CYCLE_1)
	s_mov_b32 s24, exec_lo
	v_cmpx_lt_u32_e64 v80, v0
	s_cbranch_execz .LBB1333_642
.LBB1333_627:                           ;   in Loop: Header=BB1333_566 Depth=2
	global_load_b64 v[16:17], v[2:3], off offset:1024
	s_or_b32 exec_lo, exec_lo, s24
	s_delay_alu instid0(SALU_CYCLE_1)
	s_mov_b32 s24, exec_lo
	v_cmpx_lt_u32_e64 v81, v0
	s_cbranch_execnz .LBB1333_643
.LBB1333_628:                           ;   in Loop: Header=BB1333_566 Depth=2
	s_or_b32 exec_lo, exec_lo, s24
	s_delay_alu instid0(SALU_CYCLE_1)
	s_mov_b32 s24, exec_lo
	v_cmpx_lt_u32_e64 v82, v0
	s_cbranch_execz .LBB1333_644
.LBB1333_629:                           ;   in Loop: Header=BB1333_566 Depth=2
	global_load_b64 v[12:13], v[2:3], off offset:1536
	s_or_b32 exec_lo, exec_lo, s24
	s_delay_alu instid0(SALU_CYCLE_1)
	s_mov_b32 s24, exec_lo
	v_cmpx_lt_u32_e64 v83, v0
	s_cbranch_execnz .LBB1333_645
.LBB1333_630:                           ;   in Loop: Header=BB1333_566 Depth=2
	s_or_b32 exec_lo, exec_lo, s24
	s_and_saveexec_b32 s24, vcc_lo
	s_cbranch_execz .LBB1333_646
.LBB1333_631:                           ;   in Loop: Header=BB1333_566 Depth=2
	ds_load_b32 v0, v52 offset:1024
	s_waitcnt lgkmcnt(0)
	v_cmp_ne_u32_e64 s23, 0x80000000, v0
	s_delay_alu instid0(VALU_DEP_1) | instskip(NEXT) | instid1(VALU_DEP_1)
	v_cndmask_b32_e64 v0, 0x7fffffff, v0, s23
	v_lshrrev_b32_e32 v0, s57, v0
	s_delay_alu instid0(VALU_DEP_1)
	v_and_b32_e32 v96, s31, v0
	s_or_b32 exec_lo, exec_lo, s24
	s_and_saveexec_b32 s24, s16
	s_cbranch_execnz .LBB1333_647
.LBB1333_632:                           ;   in Loop: Header=BB1333_566 Depth=2
	s_or_b32 exec_lo, exec_lo, s24
	s_and_saveexec_b32 s24, s17
	s_cbranch_execz .LBB1333_648
.LBB1333_633:                           ;   in Loop: Header=BB1333_566 Depth=2
	ds_load_b32 v0, v58 offset:2048
	s_waitcnt lgkmcnt(0)
	v_cmp_ne_u32_e64 s23, 0x80000000, v0
	s_delay_alu instid0(VALU_DEP_1) | instskip(NEXT) | instid1(VALU_DEP_1)
	v_cndmask_b32_e64 v0, 0x7fffffff, v0, s23
	v_lshrrev_b32_e32 v0, s57, v0
	s_delay_alu instid0(VALU_DEP_1)
	v_and_b32_e32 v94, s31, v0
	s_or_b32 exec_lo, exec_lo, s24
	s_and_saveexec_b32 s24, s18
	s_cbranch_execnz .LBB1333_649
.LBB1333_634:                           ;   in Loop: Header=BB1333_566 Depth=2
	s_or_b32 exec_lo, exec_lo, s24
	s_and_saveexec_b32 s24, s19
	s_cbranch_execz .LBB1333_650
.LBB1333_635:                           ;   in Loop: Header=BB1333_566 Depth=2
	ds_load_b32 v0, v58 offset:4096
	s_waitcnt lgkmcnt(0)
	v_cmp_ne_u32_e64 s23, 0x80000000, v0
	s_delay_alu instid0(VALU_DEP_1) | instskip(NEXT) | instid1(VALU_DEP_1)
	v_cndmask_b32_e64 v0, 0x7fffffff, v0, s23
	v_lshrrev_b32_e32 v0, s57, v0
	s_delay_alu instid0(VALU_DEP_1)
	v_and_b32_e32 v92, s31, v0
	s_or_b32 exec_lo, exec_lo, s24
	s_and_saveexec_b32 s24, s20
	s_cbranch_execnz .LBB1333_651
.LBB1333_636:                           ;   in Loop: Header=BB1333_566 Depth=2
	s_or_b32 exec_lo, exec_lo, s24
	s_and_saveexec_b32 s24, s21
	s_cbranch_execz .LBB1333_652
.LBB1333_637:                           ;   in Loop: Header=BB1333_566 Depth=2
	ds_load_b32 v0, v58 offset:6144
	s_waitcnt lgkmcnt(0)
	v_cmp_ne_u32_e64 s23, 0x80000000, v0
	s_delay_alu instid0(VALU_DEP_1) | instskip(NEXT) | instid1(VALU_DEP_1)
	v_cndmask_b32_e64 v0, 0x7fffffff, v0, s23
	v_lshrrev_b32_e32 v0, s57, v0
	s_delay_alu instid0(VALU_DEP_1)
	v_and_b32_e32 v90, s31, v0
	s_or_b32 exec_lo, exec_lo, s24
	s_and_saveexec_b32 s24, s22
	s_cbranch_execnz .LBB1333_653
	s_branch .LBB1333_654
.LBB1333_638:                           ;   in Loop: Header=BB1333_566 Depth=2
	s_or_b32 exec_lo, exec_lo, s23
	s_delay_alu instid0(SALU_CYCLE_1)
	s_mov_b32 s24, exec_lo
	v_cmpx_lt_u32_e64 v77, v0
	s_cbranch_execz .LBB1333_624
.LBB1333_639:                           ;   in Loop: Header=BB1333_566 Depth=2
	global_load_b64 v[25:26], v[2:3], off offset:256
	s_or_b32 exec_lo, exec_lo, s24
	s_delay_alu instid0(SALU_CYCLE_1)
	s_mov_b32 s24, exec_lo
	v_cmpx_lt_u32_e64 v78, v0
	s_cbranch_execnz .LBB1333_625
.LBB1333_640:                           ;   in Loop: Header=BB1333_566 Depth=2
	s_or_b32 exec_lo, exec_lo, s24
	s_delay_alu instid0(SALU_CYCLE_1)
	s_mov_b32 s24, exec_lo
	v_cmpx_lt_u32_e64 v79, v0
	s_cbranch_execz .LBB1333_626
.LBB1333_641:                           ;   in Loop: Header=BB1333_566 Depth=2
	global_load_b64 v[21:22], v[2:3], off offset:768
	s_or_b32 exec_lo, exec_lo, s24
	s_delay_alu instid0(SALU_CYCLE_1)
	s_mov_b32 s24, exec_lo
	v_cmpx_lt_u32_e64 v80, v0
	s_cbranch_execnz .LBB1333_627
.LBB1333_642:                           ;   in Loop: Header=BB1333_566 Depth=2
	s_or_b32 exec_lo, exec_lo, s24
	s_delay_alu instid0(SALU_CYCLE_1)
	s_mov_b32 s24, exec_lo
	v_cmpx_lt_u32_e64 v81, v0
	s_cbranch_execz .LBB1333_628
.LBB1333_643:                           ;   in Loop: Header=BB1333_566 Depth=2
	global_load_b64 v[14:15], v[2:3], off offset:1280
	s_or_b32 exec_lo, exec_lo, s24
	s_delay_alu instid0(SALU_CYCLE_1)
	s_mov_b32 s24, exec_lo
	v_cmpx_lt_u32_e64 v82, v0
	s_cbranch_execnz .LBB1333_629
.LBB1333_644:                           ;   in Loop: Header=BB1333_566 Depth=2
	s_or_b32 exec_lo, exec_lo, s24
	s_delay_alu instid0(SALU_CYCLE_1)
	s_mov_b32 s24, exec_lo
	v_cmpx_lt_u32_e64 v83, v0
	s_cbranch_execz .LBB1333_630
.LBB1333_645:                           ;   in Loop: Header=BB1333_566 Depth=2
	global_load_b64 v[10:11], v[2:3], off offset:1792
	s_or_b32 exec_lo, exec_lo, s24
	s_and_saveexec_b32 s24, vcc_lo
	s_cbranch_execnz .LBB1333_631
.LBB1333_646:                           ;   in Loop: Header=BB1333_566 Depth=2
	s_or_b32 exec_lo, exec_lo, s24
	s_and_saveexec_b32 s24, s16
	s_cbranch_execz .LBB1333_632
.LBB1333_647:                           ;   in Loop: Header=BB1333_566 Depth=2
	ds_load_b32 v0, v58 offset:1024
	s_waitcnt lgkmcnt(0)
	v_cmp_ne_u32_e64 s23, 0x80000000, v0
	s_delay_alu instid0(VALU_DEP_1) | instskip(NEXT) | instid1(VALU_DEP_1)
	v_cndmask_b32_e64 v0, 0x7fffffff, v0, s23
	v_lshrrev_b32_e32 v0, s57, v0
	s_delay_alu instid0(VALU_DEP_1)
	v_and_b32_e32 v95, s31, v0
	s_or_b32 exec_lo, exec_lo, s24
	s_and_saveexec_b32 s24, s17
	s_cbranch_execnz .LBB1333_633
.LBB1333_648:                           ;   in Loop: Header=BB1333_566 Depth=2
	s_or_b32 exec_lo, exec_lo, s24
	s_and_saveexec_b32 s24, s18
	s_cbranch_execz .LBB1333_634
.LBB1333_649:                           ;   in Loop: Header=BB1333_566 Depth=2
	ds_load_b32 v0, v58 offset:3072
	s_waitcnt lgkmcnt(0)
	v_cmp_ne_u32_e64 s23, 0x80000000, v0
	s_delay_alu instid0(VALU_DEP_1) | instskip(NEXT) | instid1(VALU_DEP_1)
	v_cndmask_b32_e64 v0, 0x7fffffff, v0, s23
	v_lshrrev_b32_e32 v0, s57, v0
	s_delay_alu instid0(VALU_DEP_1)
	v_and_b32_e32 v93, s31, v0
	s_or_b32 exec_lo, exec_lo, s24
	s_and_saveexec_b32 s24, s19
	s_cbranch_execnz .LBB1333_635
.LBB1333_650:                           ;   in Loop: Header=BB1333_566 Depth=2
	s_or_b32 exec_lo, exec_lo, s24
	s_and_saveexec_b32 s24, s20
	s_cbranch_execz .LBB1333_636
.LBB1333_651:                           ;   in Loop: Header=BB1333_566 Depth=2
	ds_load_b32 v0, v58 offset:5120
	s_waitcnt lgkmcnt(0)
	v_cmp_ne_u32_e64 s23, 0x80000000, v0
	s_delay_alu instid0(VALU_DEP_1) | instskip(NEXT) | instid1(VALU_DEP_1)
	v_cndmask_b32_e64 v0, 0x7fffffff, v0, s23
	v_lshrrev_b32_e32 v0, s57, v0
	s_delay_alu instid0(VALU_DEP_1)
	v_and_b32_e32 v91, s31, v0
	s_or_b32 exec_lo, exec_lo, s24
	s_and_saveexec_b32 s24, s21
	s_cbranch_execnz .LBB1333_637
.LBB1333_652:                           ;   in Loop: Header=BB1333_566 Depth=2
	s_or_b32 exec_lo, exec_lo, s24
	s_and_saveexec_b32 s24, s22
	s_cbranch_execz .LBB1333_654
.LBB1333_653:                           ;   in Loop: Header=BB1333_566 Depth=2
	ds_load_b32 v0, v58 offset:7168
	s_waitcnt lgkmcnt(0)
	v_cmp_ne_u32_e64 s23, 0x80000000, v0
	s_delay_alu instid0(VALU_DEP_1) | instskip(NEXT) | instid1(VALU_DEP_1)
	v_cndmask_b32_e64 v0, 0x7fffffff, v0, s23
	v_lshrrev_b32_e32 v0, s57, v0
	s_delay_alu instid0(VALU_DEP_1)
	v_and_b32_e32 v89, s31, v0
.LBB1333_654:                           ;   in Loop: Header=BB1333_566 Depth=2
	s_or_b32 exec_lo, exec_lo, s24
	v_lshlrev_b32_e32 v0, 3, v101
	v_lshlrev_b32_e32 v2, 3, v97
	;; [unrolled: 1-line block ×3, first 2 shown]
	s_waitcnt vmcnt(0)
	s_waitcnt_vscnt null, 0x0
	s_barrier
	buffer_gl0_inv
	ds_store_b64 v0, v[27:28] offset:1024
	ds_store_b64 v2, v[25:26] offset:1024
	;; [unrolled: 1-line block ×3, first 2 shown]
	v_lshlrev_b32_e32 v0, 3, v7
	v_lshlrev_b32_e32 v2, 3, v6
	;; [unrolled: 1-line block ×5, first 2 shown]
	ds_store_b64 v0, v[21:22] offset:1024
	ds_store_b64 v2, v[16:17] offset:1024
	;; [unrolled: 1-line block ×5, first 2 shown]
	s_waitcnt lgkmcnt(0)
	s_barrier
	buffer_gl0_inv
	s_and_saveexec_b32 s23, vcc_lo
	s_cbranch_execz .LBB1333_662
; %bb.655:                              ;   in Loop: Header=BB1333_566 Depth=2
	v_lshlrev_b32_e32 v0, 2, v96
	v_add_nc_u32_e32 v2, v52, v31
	ds_load_b32 v0, v0
	ds_load_b64 v[2:3], v2 offset:1024
	s_waitcnt lgkmcnt(1)
	v_add_nc_u32_e32 v19, v0, v18
	s_delay_alu instid0(VALU_DEP_1) | instskip(NEXT) | instid1(VALU_DEP_1)
	v_lshlrev_b64 v[5:6], 3, v[19:20]
	v_add_co_u32 v5, vcc_lo, s54, v5
	s_delay_alu instid0(VALU_DEP_2)
	v_add_co_ci_u32_e32 v6, vcc_lo, s55, v6, vcc_lo
	s_waitcnt lgkmcnt(0)
	global_store_b64 v[5:6], v[2:3], off
	s_or_b32 exec_lo, exec_lo, s23
	v_add_nc_u32_e32 v0, v58, v31
	s_and_saveexec_b32 s23, s16
	s_cbranch_execnz .LBB1333_663
.LBB1333_656:                           ;   in Loop: Header=BB1333_566 Depth=2
	s_or_b32 exec_lo, exec_lo, s23
	s_and_saveexec_b32 s16, s17
	s_cbranch_execz .LBB1333_664
.LBB1333_657:                           ;   in Loop: Header=BB1333_566 Depth=2
	v_lshlrev_b32_e32 v2, 2, v94
	ds_load_b32 v5, v2
	ds_load_b64 v[2:3], v0 offset:4096
	s_waitcnt lgkmcnt(1)
	v_add_nc_u32_e32 v19, v5, v33
	s_delay_alu instid0(VALU_DEP_1) | instskip(NEXT) | instid1(VALU_DEP_1)
	v_lshlrev_b64 v[5:6], 3, v[19:20]
	v_add_co_u32 v5, vcc_lo, s54, v5
	s_delay_alu instid0(VALU_DEP_2)
	v_add_co_ci_u32_e32 v6, vcc_lo, s55, v6, vcc_lo
	s_waitcnt lgkmcnt(0)
	global_store_b64 v[5:6], v[2:3], off
	s_or_b32 exec_lo, exec_lo, s16
	s_and_saveexec_b32 s16, s18
	s_cbranch_execnz .LBB1333_665
.LBB1333_658:                           ;   in Loop: Header=BB1333_566 Depth=2
	s_or_b32 exec_lo, exec_lo, s16
	s_and_saveexec_b32 s16, s19
	s_cbranch_execz .LBB1333_666
.LBB1333_659:                           ;   in Loop: Header=BB1333_566 Depth=2
	v_lshlrev_b32_e32 v2, 2, v92
	ds_load_b32 v5, v2
	ds_load_b64 v[2:3], v0 offset:8192
	s_waitcnt lgkmcnt(1)
	v_add_nc_u32_e32 v19, v5, v38
	s_delay_alu instid0(VALU_DEP_1) | instskip(NEXT) | instid1(VALU_DEP_1)
	v_lshlrev_b64 v[5:6], 3, v[19:20]
	v_add_co_u32 v5, vcc_lo, s54, v5
	s_delay_alu instid0(VALU_DEP_2)
	v_add_co_ci_u32_e32 v6, vcc_lo, s55, v6, vcc_lo
	s_waitcnt lgkmcnt(0)
	global_store_b64 v[5:6], v[2:3], off
	s_or_b32 exec_lo, exec_lo, s16
	s_and_saveexec_b32 s16, s20
	s_cbranch_execnz .LBB1333_667
.LBB1333_660:                           ;   in Loop: Header=BB1333_566 Depth=2
	s_or_b32 exec_lo, exec_lo, s16
	s_and_saveexec_b32 s16, s21
	s_cbranch_execz .LBB1333_668
.LBB1333_661:                           ;   in Loop: Header=BB1333_566 Depth=2
	v_lshlrev_b32_e32 v2, 2, v90
	ds_load_b32 v5, v2
	ds_load_b64 v[2:3], v0 offset:12288
	s_waitcnt lgkmcnt(1)
	v_add_nc_u32_e32 v19, v5, v40
	s_delay_alu instid0(VALU_DEP_1) | instskip(NEXT) | instid1(VALU_DEP_1)
	v_lshlrev_b64 v[5:6], 3, v[19:20]
	v_add_co_u32 v5, vcc_lo, s54, v5
	s_delay_alu instid0(VALU_DEP_2)
	v_add_co_ci_u32_e32 v6, vcc_lo, s55, v6, vcc_lo
	s_waitcnt lgkmcnt(0)
	global_store_b64 v[5:6], v[2:3], off
	s_or_b32 exec_lo, exec_lo, s16
	s_and_saveexec_b32 s16, s22
	s_cbranch_execnz .LBB1333_669
	s_branch .LBB1333_670
.LBB1333_662:                           ;   in Loop: Header=BB1333_566 Depth=2
	s_or_b32 exec_lo, exec_lo, s23
	v_add_nc_u32_e32 v0, v58, v31
	s_and_saveexec_b32 s23, s16
	s_cbranch_execz .LBB1333_656
.LBB1333_663:                           ;   in Loop: Header=BB1333_566 Depth=2
	v_lshlrev_b32_e32 v2, 2, v95
	ds_load_b32 v5, v2
	ds_load_b64 v[2:3], v0 offset:2048
	s_waitcnt lgkmcnt(1)
	v_add_nc_u32_e32 v19, v5, v32
	s_delay_alu instid0(VALU_DEP_1) | instskip(NEXT) | instid1(VALU_DEP_1)
	v_lshlrev_b64 v[5:6], 3, v[19:20]
	v_add_co_u32 v5, vcc_lo, s54, v5
	s_delay_alu instid0(VALU_DEP_2)
	v_add_co_ci_u32_e32 v6, vcc_lo, s55, v6, vcc_lo
	s_waitcnt lgkmcnt(0)
	global_store_b64 v[5:6], v[2:3], off
	s_or_b32 exec_lo, exec_lo, s23
	s_and_saveexec_b32 s16, s17
	s_cbranch_execnz .LBB1333_657
.LBB1333_664:                           ;   in Loop: Header=BB1333_566 Depth=2
	s_or_b32 exec_lo, exec_lo, s16
	s_and_saveexec_b32 s16, s18
	s_cbranch_execz .LBB1333_658
.LBB1333_665:                           ;   in Loop: Header=BB1333_566 Depth=2
	v_lshlrev_b32_e32 v2, 2, v93
	ds_load_b32 v5, v2
	ds_load_b64 v[2:3], v0 offset:6144
	s_waitcnt lgkmcnt(1)
	v_add_nc_u32_e32 v19, v5, v34
	s_delay_alu instid0(VALU_DEP_1) | instskip(NEXT) | instid1(VALU_DEP_1)
	v_lshlrev_b64 v[5:6], 3, v[19:20]
	v_add_co_u32 v5, vcc_lo, s54, v5
	s_delay_alu instid0(VALU_DEP_2)
	v_add_co_ci_u32_e32 v6, vcc_lo, s55, v6, vcc_lo
	s_waitcnt lgkmcnt(0)
	global_store_b64 v[5:6], v[2:3], off
	s_or_b32 exec_lo, exec_lo, s16
	s_and_saveexec_b32 s16, s19
	s_cbranch_execnz .LBB1333_659
.LBB1333_666:                           ;   in Loop: Header=BB1333_566 Depth=2
	s_or_b32 exec_lo, exec_lo, s16
	s_and_saveexec_b32 s16, s20
	s_cbranch_execz .LBB1333_660
.LBB1333_667:                           ;   in Loop: Header=BB1333_566 Depth=2
	v_lshlrev_b32_e32 v2, 2, v91
	ds_load_b32 v5, v2
	ds_load_b64 v[2:3], v0 offset:10240
	s_waitcnt lgkmcnt(1)
	v_add_nc_u32_e32 v19, v5, v39
	s_delay_alu instid0(VALU_DEP_1) | instskip(NEXT) | instid1(VALU_DEP_1)
	v_lshlrev_b64 v[5:6], 3, v[19:20]
	v_add_co_u32 v5, vcc_lo, s54, v5
	s_delay_alu instid0(VALU_DEP_2)
	v_add_co_ci_u32_e32 v6, vcc_lo, s55, v6, vcc_lo
	s_waitcnt lgkmcnt(0)
	global_store_b64 v[5:6], v[2:3], off
	s_or_b32 exec_lo, exec_lo, s16
	s_and_saveexec_b32 s16, s21
	s_cbranch_execnz .LBB1333_661
.LBB1333_668:                           ;   in Loop: Header=BB1333_566 Depth=2
	s_or_b32 exec_lo, exec_lo, s16
	s_and_saveexec_b32 s16, s22
	s_cbranch_execz .LBB1333_670
.LBB1333_669:                           ;   in Loop: Header=BB1333_566 Depth=2
	v_lshlrev_b32_e32 v2, 2, v89
	ds_load_b32 v5, v2
	ds_load_b64 v[2:3], v0 offset:14336
	s_waitcnt lgkmcnt(1)
	v_add_nc_u32_e32 v19, v5, v42
	s_delay_alu instid0(VALU_DEP_1) | instskip(NEXT) | instid1(VALU_DEP_1)
	v_lshlrev_b64 v[5:6], 3, v[19:20]
	v_add_co_u32 v5, vcc_lo, s54, v5
	s_delay_alu instid0(VALU_DEP_2)
	v_add_co_ci_u32_e32 v6, vcc_lo, s55, v6, vcc_lo
	s_waitcnt lgkmcnt(0)
	global_store_b64 v[5:6], v[2:3], off
.LBB1333_670:                           ;   in Loop: Header=BB1333_566 Depth=2
	s_or_b32 exec_lo, exec_lo, s16
	s_waitcnt_vscnt null, 0x0
	s_barrier
	buffer_gl0_inv
	s_and_saveexec_b32 s16, s2
	s_cbranch_execz .LBB1333_565
; %bb.671:                              ;   in Loop: Header=BB1333_566 Depth=2
	ds_load_b32 v0, v31
	s_waitcnt lgkmcnt(0)
	v_add_nc_u32_e32 v0, v0, v4
	ds_store_b32 v31, v0
	s_branch .LBB1333_565
.LBB1333_672:                           ;   in Loop: Header=BB1333_566 Depth=2
	s_or_b32 exec_lo, exec_lo, s16
	s_delay_alu instid0(SALU_CYCLE_1)
	s_mov_b32 s16, exec_lo
	v_cmpx_gt_u32_e64 s50, v77
	s_cbranch_execz .LBB1333_571
.LBB1333_673:                           ;   in Loop: Header=BB1333_566 Depth=2
	global_load_b32 v3, v[29:30], off offset:128
	s_or_b32 exec_lo, exec_lo, s16
	s_delay_alu instid0(SALU_CYCLE_1)
	s_mov_b32 s16, exec_lo
	v_cmpx_gt_u32_e64 s50, v78
	s_cbranch_execnz .LBB1333_572
.LBB1333_674:                           ;   in Loop: Header=BB1333_566 Depth=2
	s_or_b32 exec_lo, exec_lo, s16
	s_delay_alu instid0(SALU_CYCLE_1)
	s_mov_b32 s16, exec_lo
	v_cmpx_gt_u32_e64 s50, v79
	s_cbranch_execz .LBB1333_573
.LBB1333_675:                           ;   in Loop: Header=BB1333_566 Depth=2
	global_load_b32 v5, v[29:30], off offset:384
	s_or_b32 exec_lo, exec_lo, s16
	s_delay_alu instid0(SALU_CYCLE_1)
	s_mov_b32 s16, exec_lo
	v_cmpx_gt_u32_e64 s50, v80
	s_cbranch_execnz .LBB1333_574
.LBB1333_676:                           ;   in Loop: Header=BB1333_566 Depth=2
	s_or_b32 exec_lo, exec_lo, s16
	s_delay_alu instid0(SALU_CYCLE_1)
	s_mov_b32 s16, exec_lo
	v_cmpx_gt_u32_e64 s50, v81
	s_cbranch_execz .LBB1333_575
.LBB1333_677:                           ;   in Loop: Header=BB1333_566 Depth=2
	global_load_b32 v7, v[29:30], off offset:640
	s_or_b32 exec_lo, exec_lo, s16
	s_delay_alu instid0(SALU_CYCLE_1)
	s_mov_b32 s16, exec_lo
	v_cmpx_gt_u32_e64 s50, v82
	s_cbranch_execnz .LBB1333_576
	s_branch .LBB1333_577
.LBB1333_678:
	s_endpgm
	.section	.rodata,"a",@progbits
	.p2align	6, 0x0
	.amdhsa_kernel _ZN7rocprim17ROCPRIM_400000_NS6detail17trampoline_kernelINS0_14default_configENS1_36segmented_radix_sort_config_selectorIflEEZNS1_25segmented_radix_sort_implIS3_Lb1EPKfPfPKlPlN2at6native12_GLOBAL__N_18offset_tEEE10hipError_tPvRmT1_PNSt15iterator_traitsISK_E10value_typeET2_T3_PNSL_ISQ_E10value_typeET4_jRbjT5_SW_jjP12ihipStream_tbEUlT_E_NS1_11comp_targetILNS1_3genE9ELNS1_11target_archE1100ELNS1_3gpuE3ELNS1_3repE0EEENS1_30default_config_static_selectorELNS0_4arch9wavefront6targetE0EEEvSK_
		.amdhsa_group_segment_fixed_size 17440
		.amdhsa_private_segment_fixed_size 8
		.amdhsa_kernarg_size 352
		.amdhsa_user_sgpr_count 14
		.amdhsa_user_sgpr_dispatch_ptr 0
		.amdhsa_user_sgpr_queue_ptr 0
		.amdhsa_user_sgpr_kernarg_segment_ptr 1
		.amdhsa_user_sgpr_dispatch_id 0
		.amdhsa_user_sgpr_private_segment_size 0
		.amdhsa_wavefront_size32 1
		.amdhsa_uses_dynamic_stack 0
		.amdhsa_enable_private_segment 1
		.amdhsa_system_sgpr_workgroup_id_x 1
		.amdhsa_system_sgpr_workgroup_id_y 1
		.amdhsa_system_sgpr_workgroup_id_z 0
		.amdhsa_system_sgpr_workgroup_info 0
		.amdhsa_system_vgpr_workitem_id 2
		.amdhsa_next_free_vgpr 209
		.amdhsa_next_free_sgpr 60
		.amdhsa_reserve_vcc 1
		.amdhsa_float_round_mode_32 0
		.amdhsa_float_round_mode_16_64 0
		.amdhsa_float_denorm_mode_32 3
		.amdhsa_float_denorm_mode_16_64 3
		.amdhsa_dx10_clamp 1
		.amdhsa_ieee_mode 1
		.amdhsa_fp16_overflow 0
		.amdhsa_workgroup_processor_mode 1
		.amdhsa_memory_ordered 1
		.amdhsa_forward_progress 0
		.amdhsa_shared_vgpr_count 0
		.amdhsa_exception_fp_ieee_invalid_op 0
		.amdhsa_exception_fp_denorm_src 0
		.amdhsa_exception_fp_ieee_div_zero 0
		.amdhsa_exception_fp_ieee_overflow 0
		.amdhsa_exception_fp_ieee_underflow 0
		.amdhsa_exception_fp_ieee_inexact 0
		.amdhsa_exception_int_div_zero 0
	.end_amdhsa_kernel
	.section	.text._ZN7rocprim17ROCPRIM_400000_NS6detail17trampoline_kernelINS0_14default_configENS1_36segmented_radix_sort_config_selectorIflEEZNS1_25segmented_radix_sort_implIS3_Lb1EPKfPfPKlPlN2at6native12_GLOBAL__N_18offset_tEEE10hipError_tPvRmT1_PNSt15iterator_traitsISK_E10value_typeET2_T3_PNSL_ISQ_E10value_typeET4_jRbjT5_SW_jjP12ihipStream_tbEUlT_E_NS1_11comp_targetILNS1_3genE9ELNS1_11target_archE1100ELNS1_3gpuE3ELNS1_3repE0EEENS1_30default_config_static_selectorELNS0_4arch9wavefront6targetE0EEEvSK_,"axG",@progbits,_ZN7rocprim17ROCPRIM_400000_NS6detail17trampoline_kernelINS0_14default_configENS1_36segmented_radix_sort_config_selectorIflEEZNS1_25segmented_radix_sort_implIS3_Lb1EPKfPfPKlPlN2at6native12_GLOBAL__N_18offset_tEEE10hipError_tPvRmT1_PNSt15iterator_traitsISK_E10value_typeET2_T3_PNSL_ISQ_E10value_typeET4_jRbjT5_SW_jjP12ihipStream_tbEUlT_E_NS1_11comp_targetILNS1_3genE9ELNS1_11target_archE1100ELNS1_3gpuE3ELNS1_3repE0EEENS1_30default_config_static_selectorELNS0_4arch9wavefront6targetE0EEEvSK_,comdat
.Lfunc_end1333:
	.size	_ZN7rocprim17ROCPRIM_400000_NS6detail17trampoline_kernelINS0_14default_configENS1_36segmented_radix_sort_config_selectorIflEEZNS1_25segmented_radix_sort_implIS3_Lb1EPKfPfPKlPlN2at6native12_GLOBAL__N_18offset_tEEE10hipError_tPvRmT1_PNSt15iterator_traitsISK_E10value_typeET2_T3_PNSL_ISQ_E10value_typeET4_jRbjT5_SW_jjP12ihipStream_tbEUlT_E_NS1_11comp_targetILNS1_3genE9ELNS1_11target_archE1100ELNS1_3gpuE3ELNS1_3repE0EEENS1_30default_config_static_selectorELNS0_4arch9wavefront6targetE0EEEvSK_, .Lfunc_end1333-_ZN7rocprim17ROCPRIM_400000_NS6detail17trampoline_kernelINS0_14default_configENS1_36segmented_radix_sort_config_selectorIflEEZNS1_25segmented_radix_sort_implIS3_Lb1EPKfPfPKlPlN2at6native12_GLOBAL__N_18offset_tEEE10hipError_tPvRmT1_PNSt15iterator_traitsISK_E10value_typeET2_T3_PNSL_ISQ_E10value_typeET4_jRbjT5_SW_jjP12ihipStream_tbEUlT_E_NS1_11comp_targetILNS1_3genE9ELNS1_11target_archE1100ELNS1_3gpuE3ELNS1_3repE0EEENS1_30default_config_static_selectorELNS0_4arch9wavefront6targetE0EEEvSK_
                                        ; -- End function
	.section	.AMDGPU.csdata,"",@progbits
; Kernel info:
; codeLenInByte = 43580
; NumSgprs: 62
; NumVgprs: 209
; ScratchSize: 8
; MemoryBound: 0
; FloatMode: 240
; IeeeMode: 1
; LDSByteSize: 17440 bytes/workgroup (compile time only)
; SGPRBlocks: 7
; VGPRBlocks: 26
; NumSGPRsForWavesPerEU: 62
; NumVGPRsForWavesPerEU: 209
; Occupancy: 7
; WaveLimiterHint : 1
; COMPUTE_PGM_RSRC2:SCRATCH_EN: 1
; COMPUTE_PGM_RSRC2:USER_SGPR: 14
; COMPUTE_PGM_RSRC2:TRAP_HANDLER: 0
; COMPUTE_PGM_RSRC2:TGID_X_EN: 1
; COMPUTE_PGM_RSRC2:TGID_Y_EN: 1
; COMPUTE_PGM_RSRC2:TGID_Z_EN: 0
; COMPUTE_PGM_RSRC2:TIDIG_COMP_CNT: 2
	.section	.text._ZN7rocprim17ROCPRIM_400000_NS6detail17trampoline_kernelINS0_14default_configENS1_36segmented_radix_sort_config_selectorIflEEZNS1_25segmented_radix_sort_implIS3_Lb1EPKfPfPKlPlN2at6native12_GLOBAL__N_18offset_tEEE10hipError_tPvRmT1_PNSt15iterator_traitsISK_E10value_typeET2_T3_PNSL_ISQ_E10value_typeET4_jRbjT5_SW_jjP12ihipStream_tbEUlT_E_NS1_11comp_targetILNS1_3genE8ELNS1_11target_archE1030ELNS1_3gpuE2ELNS1_3repE0EEENS1_30default_config_static_selectorELNS0_4arch9wavefront6targetE0EEEvSK_,"axG",@progbits,_ZN7rocprim17ROCPRIM_400000_NS6detail17trampoline_kernelINS0_14default_configENS1_36segmented_radix_sort_config_selectorIflEEZNS1_25segmented_radix_sort_implIS3_Lb1EPKfPfPKlPlN2at6native12_GLOBAL__N_18offset_tEEE10hipError_tPvRmT1_PNSt15iterator_traitsISK_E10value_typeET2_T3_PNSL_ISQ_E10value_typeET4_jRbjT5_SW_jjP12ihipStream_tbEUlT_E_NS1_11comp_targetILNS1_3genE8ELNS1_11target_archE1030ELNS1_3gpuE2ELNS1_3repE0EEENS1_30default_config_static_selectorELNS0_4arch9wavefront6targetE0EEEvSK_,comdat
	.globl	_ZN7rocprim17ROCPRIM_400000_NS6detail17trampoline_kernelINS0_14default_configENS1_36segmented_radix_sort_config_selectorIflEEZNS1_25segmented_radix_sort_implIS3_Lb1EPKfPfPKlPlN2at6native12_GLOBAL__N_18offset_tEEE10hipError_tPvRmT1_PNSt15iterator_traitsISK_E10value_typeET2_T3_PNSL_ISQ_E10value_typeET4_jRbjT5_SW_jjP12ihipStream_tbEUlT_E_NS1_11comp_targetILNS1_3genE8ELNS1_11target_archE1030ELNS1_3gpuE2ELNS1_3repE0EEENS1_30default_config_static_selectorELNS0_4arch9wavefront6targetE0EEEvSK_ ; -- Begin function _ZN7rocprim17ROCPRIM_400000_NS6detail17trampoline_kernelINS0_14default_configENS1_36segmented_radix_sort_config_selectorIflEEZNS1_25segmented_radix_sort_implIS3_Lb1EPKfPfPKlPlN2at6native12_GLOBAL__N_18offset_tEEE10hipError_tPvRmT1_PNSt15iterator_traitsISK_E10value_typeET2_T3_PNSL_ISQ_E10value_typeET4_jRbjT5_SW_jjP12ihipStream_tbEUlT_E_NS1_11comp_targetILNS1_3genE8ELNS1_11target_archE1030ELNS1_3gpuE2ELNS1_3repE0EEENS1_30default_config_static_selectorELNS0_4arch9wavefront6targetE0EEEvSK_
	.p2align	8
	.type	_ZN7rocprim17ROCPRIM_400000_NS6detail17trampoline_kernelINS0_14default_configENS1_36segmented_radix_sort_config_selectorIflEEZNS1_25segmented_radix_sort_implIS3_Lb1EPKfPfPKlPlN2at6native12_GLOBAL__N_18offset_tEEE10hipError_tPvRmT1_PNSt15iterator_traitsISK_E10value_typeET2_T3_PNSL_ISQ_E10value_typeET4_jRbjT5_SW_jjP12ihipStream_tbEUlT_E_NS1_11comp_targetILNS1_3genE8ELNS1_11target_archE1030ELNS1_3gpuE2ELNS1_3repE0EEENS1_30default_config_static_selectorELNS0_4arch9wavefront6targetE0EEEvSK_,@function
_ZN7rocprim17ROCPRIM_400000_NS6detail17trampoline_kernelINS0_14default_configENS1_36segmented_radix_sort_config_selectorIflEEZNS1_25segmented_radix_sort_implIS3_Lb1EPKfPfPKlPlN2at6native12_GLOBAL__N_18offset_tEEE10hipError_tPvRmT1_PNSt15iterator_traitsISK_E10value_typeET2_T3_PNSL_ISQ_E10value_typeET4_jRbjT5_SW_jjP12ihipStream_tbEUlT_E_NS1_11comp_targetILNS1_3genE8ELNS1_11target_archE1030ELNS1_3gpuE2ELNS1_3repE0EEENS1_30default_config_static_selectorELNS0_4arch9wavefront6targetE0EEEvSK_: ; @_ZN7rocprim17ROCPRIM_400000_NS6detail17trampoline_kernelINS0_14default_configENS1_36segmented_radix_sort_config_selectorIflEEZNS1_25segmented_radix_sort_implIS3_Lb1EPKfPfPKlPlN2at6native12_GLOBAL__N_18offset_tEEE10hipError_tPvRmT1_PNSt15iterator_traitsISK_E10value_typeET2_T3_PNSL_ISQ_E10value_typeET4_jRbjT5_SW_jjP12ihipStream_tbEUlT_E_NS1_11comp_targetILNS1_3genE8ELNS1_11target_archE1030ELNS1_3gpuE2ELNS1_3repE0EEENS1_30default_config_static_selectorELNS0_4arch9wavefront6targetE0EEEvSK_
; %bb.0:
	.section	.rodata,"a",@progbits
	.p2align	6, 0x0
	.amdhsa_kernel _ZN7rocprim17ROCPRIM_400000_NS6detail17trampoline_kernelINS0_14default_configENS1_36segmented_radix_sort_config_selectorIflEEZNS1_25segmented_radix_sort_implIS3_Lb1EPKfPfPKlPlN2at6native12_GLOBAL__N_18offset_tEEE10hipError_tPvRmT1_PNSt15iterator_traitsISK_E10value_typeET2_T3_PNSL_ISQ_E10value_typeET4_jRbjT5_SW_jjP12ihipStream_tbEUlT_E_NS1_11comp_targetILNS1_3genE8ELNS1_11target_archE1030ELNS1_3gpuE2ELNS1_3repE0EEENS1_30default_config_static_selectorELNS0_4arch9wavefront6targetE0EEEvSK_
		.amdhsa_group_segment_fixed_size 0
		.amdhsa_private_segment_fixed_size 0
		.amdhsa_kernarg_size 96
		.amdhsa_user_sgpr_count 15
		.amdhsa_user_sgpr_dispatch_ptr 0
		.amdhsa_user_sgpr_queue_ptr 0
		.amdhsa_user_sgpr_kernarg_segment_ptr 1
		.amdhsa_user_sgpr_dispatch_id 0
		.amdhsa_user_sgpr_private_segment_size 0
		.amdhsa_wavefront_size32 1
		.amdhsa_uses_dynamic_stack 0
		.amdhsa_enable_private_segment 0
		.amdhsa_system_sgpr_workgroup_id_x 1
		.amdhsa_system_sgpr_workgroup_id_y 0
		.amdhsa_system_sgpr_workgroup_id_z 0
		.amdhsa_system_sgpr_workgroup_info 0
		.amdhsa_system_vgpr_workitem_id 0
		.amdhsa_next_free_vgpr 1
		.amdhsa_next_free_sgpr 1
		.amdhsa_reserve_vcc 0
		.amdhsa_float_round_mode_32 0
		.amdhsa_float_round_mode_16_64 0
		.amdhsa_float_denorm_mode_32 3
		.amdhsa_float_denorm_mode_16_64 3
		.amdhsa_dx10_clamp 1
		.amdhsa_ieee_mode 1
		.amdhsa_fp16_overflow 0
		.amdhsa_workgroup_processor_mode 1
		.amdhsa_memory_ordered 1
		.amdhsa_forward_progress 0
		.amdhsa_shared_vgpr_count 0
		.amdhsa_exception_fp_ieee_invalid_op 0
		.amdhsa_exception_fp_denorm_src 0
		.amdhsa_exception_fp_ieee_div_zero 0
		.amdhsa_exception_fp_ieee_overflow 0
		.amdhsa_exception_fp_ieee_underflow 0
		.amdhsa_exception_fp_ieee_inexact 0
		.amdhsa_exception_int_div_zero 0
	.end_amdhsa_kernel
	.section	.text._ZN7rocprim17ROCPRIM_400000_NS6detail17trampoline_kernelINS0_14default_configENS1_36segmented_radix_sort_config_selectorIflEEZNS1_25segmented_radix_sort_implIS3_Lb1EPKfPfPKlPlN2at6native12_GLOBAL__N_18offset_tEEE10hipError_tPvRmT1_PNSt15iterator_traitsISK_E10value_typeET2_T3_PNSL_ISQ_E10value_typeET4_jRbjT5_SW_jjP12ihipStream_tbEUlT_E_NS1_11comp_targetILNS1_3genE8ELNS1_11target_archE1030ELNS1_3gpuE2ELNS1_3repE0EEENS1_30default_config_static_selectorELNS0_4arch9wavefront6targetE0EEEvSK_,"axG",@progbits,_ZN7rocprim17ROCPRIM_400000_NS6detail17trampoline_kernelINS0_14default_configENS1_36segmented_radix_sort_config_selectorIflEEZNS1_25segmented_radix_sort_implIS3_Lb1EPKfPfPKlPlN2at6native12_GLOBAL__N_18offset_tEEE10hipError_tPvRmT1_PNSt15iterator_traitsISK_E10value_typeET2_T3_PNSL_ISQ_E10value_typeET4_jRbjT5_SW_jjP12ihipStream_tbEUlT_E_NS1_11comp_targetILNS1_3genE8ELNS1_11target_archE1030ELNS1_3gpuE2ELNS1_3repE0EEENS1_30default_config_static_selectorELNS0_4arch9wavefront6targetE0EEEvSK_,comdat
.Lfunc_end1334:
	.size	_ZN7rocprim17ROCPRIM_400000_NS6detail17trampoline_kernelINS0_14default_configENS1_36segmented_radix_sort_config_selectorIflEEZNS1_25segmented_radix_sort_implIS3_Lb1EPKfPfPKlPlN2at6native12_GLOBAL__N_18offset_tEEE10hipError_tPvRmT1_PNSt15iterator_traitsISK_E10value_typeET2_T3_PNSL_ISQ_E10value_typeET4_jRbjT5_SW_jjP12ihipStream_tbEUlT_E_NS1_11comp_targetILNS1_3genE8ELNS1_11target_archE1030ELNS1_3gpuE2ELNS1_3repE0EEENS1_30default_config_static_selectorELNS0_4arch9wavefront6targetE0EEEvSK_, .Lfunc_end1334-_ZN7rocprim17ROCPRIM_400000_NS6detail17trampoline_kernelINS0_14default_configENS1_36segmented_radix_sort_config_selectorIflEEZNS1_25segmented_radix_sort_implIS3_Lb1EPKfPfPKlPlN2at6native12_GLOBAL__N_18offset_tEEE10hipError_tPvRmT1_PNSt15iterator_traitsISK_E10value_typeET2_T3_PNSL_ISQ_E10value_typeET4_jRbjT5_SW_jjP12ihipStream_tbEUlT_E_NS1_11comp_targetILNS1_3genE8ELNS1_11target_archE1030ELNS1_3gpuE2ELNS1_3repE0EEENS1_30default_config_static_selectorELNS0_4arch9wavefront6targetE0EEEvSK_
                                        ; -- End function
	.section	.AMDGPU.csdata,"",@progbits
; Kernel info:
; codeLenInByte = 0
; NumSgprs: 0
; NumVgprs: 0
; ScratchSize: 0
; MemoryBound: 0
; FloatMode: 240
; IeeeMode: 1
; LDSByteSize: 0 bytes/workgroup (compile time only)
; SGPRBlocks: 0
; VGPRBlocks: 0
; NumSGPRsForWavesPerEU: 1
; NumVGPRsForWavesPerEU: 1
; Occupancy: 16
; WaveLimiterHint : 0
; COMPUTE_PGM_RSRC2:SCRATCH_EN: 0
; COMPUTE_PGM_RSRC2:USER_SGPR: 15
; COMPUTE_PGM_RSRC2:TRAP_HANDLER: 0
; COMPUTE_PGM_RSRC2:TGID_X_EN: 1
; COMPUTE_PGM_RSRC2:TGID_Y_EN: 0
; COMPUTE_PGM_RSRC2:TGID_Z_EN: 0
; COMPUTE_PGM_RSRC2:TIDIG_COMP_CNT: 0
	.section	.text._ZN7rocprim17ROCPRIM_400000_NS6detail17trampoline_kernelINS0_14default_configENS1_36segmented_radix_sort_config_selectorIflEEZNS1_25segmented_radix_sort_implIS3_Lb1EPKfPfPKlPlN2at6native12_GLOBAL__N_18offset_tEEE10hipError_tPvRmT1_PNSt15iterator_traitsISK_E10value_typeET2_T3_PNSL_ISQ_E10value_typeET4_jRbjT5_SW_jjP12ihipStream_tbEUlT_E0_NS1_11comp_targetILNS1_3genE0ELNS1_11target_archE4294967295ELNS1_3gpuE0ELNS1_3repE0EEENS1_60segmented_radix_sort_warp_sort_medium_config_static_selectorELNS0_4arch9wavefront6targetE0EEEvSK_,"axG",@progbits,_ZN7rocprim17ROCPRIM_400000_NS6detail17trampoline_kernelINS0_14default_configENS1_36segmented_radix_sort_config_selectorIflEEZNS1_25segmented_radix_sort_implIS3_Lb1EPKfPfPKlPlN2at6native12_GLOBAL__N_18offset_tEEE10hipError_tPvRmT1_PNSt15iterator_traitsISK_E10value_typeET2_T3_PNSL_ISQ_E10value_typeET4_jRbjT5_SW_jjP12ihipStream_tbEUlT_E0_NS1_11comp_targetILNS1_3genE0ELNS1_11target_archE4294967295ELNS1_3gpuE0ELNS1_3repE0EEENS1_60segmented_radix_sort_warp_sort_medium_config_static_selectorELNS0_4arch9wavefront6targetE0EEEvSK_,comdat
	.globl	_ZN7rocprim17ROCPRIM_400000_NS6detail17trampoline_kernelINS0_14default_configENS1_36segmented_radix_sort_config_selectorIflEEZNS1_25segmented_radix_sort_implIS3_Lb1EPKfPfPKlPlN2at6native12_GLOBAL__N_18offset_tEEE10hipError_tPvRmT1_PNSt15iterator_traitsISK_E10value_typeET2_T3_PNSL_ISQ_E10value_typeET4_jRbjT5_SW_jjP12ihipStream_tbEUlT_E0_NS1_11comp_targetILNS1_3genE0ELNS1_11target_archE4294967295ELNS1_3gpuE0ELNS1_3repE0EEENS1_60segmented_radix_sort_warp_sort_medium_config_static_selectorELNS0_4arch9wavefront6targetE0EEEvSK_ ; -- Begin function _ZN7rocprim17ROCPRIM_400000_NS6detail17trampoline_kernelINS0_14default_configENS1_36segmented_radix_sort_config_selectorIflEEZNS1_25segmented_radix_sort_implIS3_Lb1EPKfPfPKlPlN2at6native12_GLOBAL__N_18offset_tEEE10hipError_tPvRmT1_PNSt15iterator_traitsISK_E10value_typeET2_T3_PNSL_ISQ_E10value_typeET4_jRbjT5_SW_jjP12ihipStream_tbEUlT_E0_NS1_11comp_targetILNS1_3genE0ELNS1_11target_archE4294967295ELNS1_3gpuE0ELNS1_3repE0EEENS1_60segmented_radix_sort_warp_sort_medium_config_static_selectorELNS0_4arch9wavefront6targetE0EEEvSK_
	.p2align	8
	.type	_ZN7rocprim17ROCPRIM_400000_NS6detail17trampoline_kernelINS0_14default_configENS1_36segmented_radix_sort_config_selectorIflEEZNS1_25segmented_radix_sort_implIS3_Lb1EPKfPfPKlPlN2at6native12_GLOBAL__N_18offset_tEEE10hipError_tPvRmT1_PNSt15iterator_traitsISK_E10value_typeET2_T3_PNSL_ISQ_E10value_typeET4_jRbjT5_SW_jjP12ihipStream_tbEUlT_E0_NS1_11comp_targetILNS1_3genE0ELNS1_11target_archE4294967295ELNS1_3gpuE0ELNS1_3repE0EEENS1_60segmented_radix_sort_warp_sort_medium_config_static_selectorELNS0_4arch9wavefront6targetE0EEEvSK_,@function
_ZN7rocprim17ROCPRIM_400000_NS6detail17trampoline_kernelINS0_14default_configENS1_36segmented_radix_sort_config_selectorIflEEZNS1_25segmented_radix_sort_implIS3_Lb1EPKfPfPKlPlN2at6native12_GLOBAL__N_18offset_tEEE10hipError_tPvRmT1_PNSt15iterator_traitsISK_E10value_typeET2_T3_PNSL_ISQ_E10value_typeET4_jRbjT5_SW_jjP12ihipStream_tbEUlT_E0_NS1_11comp_targetILNS1_3genE0ELNS1_11target_archE4294967295ELNS1_3gpuE0ELNS1_3repE0EEENS1_60segmented_radix_sort_warp_sort_medium_config_static_selectorELNS0_4arch9wavefront6targetE0EEEvSK_: ; @_ZN7rocprim17ROCPRIM_400000_NS6detail17trampoline_kernelINS0_14default_configENS1_36segmented_radix_sort_config_selectorIflEEZNS1_25segmented_radix_sort_implIS3_Lb1EPKfPfPKlPlN2at6native12_GLOBAL__N_18offset_tEEE10hipError_tPvRmT1_PNSt15iterator_traitsISK_E10value_typeET2_T3_PNSL_ISQ_E10value_typeET4_jRbjT5_SW_jjP12ihipStream_tbEUlT_E0_NS1_11comp_targetILNS1_3genE0ELNS1_11target_archE4294967295ELNS1_3gpuE0ELNS1_3repE0EEENS1_60segmented_radix_sort_warp_sort_medium_config_static_selectorELNS0_4arch9wavefront6targetE0EEEvSK_
; %bb.0:
	.section	.rodata,"a",@progbits
	.p2align	6, 0x0
	.amdhsa_kernel _ZN7rocprim17ROCPRIM_400000_NS6detail17trampoline_kernelINS0_14default_configENS1_36segmented_radix_sort_config_selectorIflEEZNS1_25segmented_radix_sort_implIS3_Lb1EPKfPfPKlPlN2at6native12_GLOBAL__N_18offset_tEEE10hipError_tPvRmT1_PNSt15iterator_traitsISK_E10value_typeET2_T3_PNSL_ISQ_E10value_typeET4_jRbjT5_SW_jjP12ihipStream_tbEUlT_E0_NS1_11comp_targetILNS1_3genE0ELNS1_11target_archE4294967295ELNS1_3gpuE0ELNS1_3repE0EEENS1_60segmented_radix_sort_warp_sort_medium_config_static_selectorELNS0_4arch9wavefront6targetE0EEEvSK_
		.amdhsa_group_segment_fixed_size 0
		.amdhsa_private_segment_fixed_size 0
		.amdhsa_kernarg_size 88
		.amdhsa_user_sgpr_count 15
		.amdhsa_user_sgpr_dispatch_ptr 0
		.amdhsa_user_sgpr_queue_ptr 0
		.amdhsa_user_sgpr_kernarg_segment_ptr 1
		.amdhsa_user_sgpr_dispatch_id 0
		.amdhsa_user_sgpr_private_segment_size 0
		.amdhsa_wavefront_size32 1
		.amdhsa_uses_dynamic_stack 0
		.amdhsa_enable_private_segment 0
		.amdhsa_system_sgpr_workgroup_id_x 1
		.amdhsa_system_sgpr_workgroup_id_y 0
		.amdhsa_system_sgpr_workgroup_id_z 0
		.amdhsa_system_sgpr_workgroup_info 0
		.amdhsa_system_vgpr_workitem_id 0
		.amdhsa_next_free_vgpr 1
		.amdhsa_next_free_sgpr 1
		.amdhsa_reserve_vcc 0
		.amdhsa_float_round_mode_32 0
		.amdhsa_float_round_mode_16_64 0
		.amdhsa_float_denorm_mode_32 3
		.amdhsa_float_denorm_mode_16_64 3
		.amdhsa_dx10_clamp 1
		.amdhsa_ieee_mode 1
		.amdhsa_fp16_overflow 0
		.amdhsa_workgroup_processor_mode 1
		.amdhsa_memory_ordered 1
		.amdhsa_forward_progress 0
		.amdhsa_shared_vgpr_count 0
		.amdhsa_exception_fp_ieee_invalid_op 0
		.amdhsa_exception_fp_denorm_src 0
		.amdhsa_exception_fp_ieee_div_zero 0
		.amdhsa_exception_fp_ieee_overflow 0
		.amdhsa_exception_fp_ieee_underflow 0
		.amdhsa_exception_fp_ieee_inexact 0
		.amdhsa_exception_int_div_zero 0
	.end_amdhsa_kernel
	.section	.text._ZN7rocprim17ROCPRIM_400000_NS6detail17trampoline_kernelINS0_14default_configENS1_36segmented_radix_sort_config_selectorIflEEZNS1_25segmented_radix_sort_implIS3_Lb1EPKfPfPKlPlN2at6native12_GLOBAL__N_18offset_tEEE10hipError_tPvRmT1_PNSt15iterator_traitsISK_E10value_typeET2_T3_PNSL_ISQ_E10value_typeET4_jRbjT5_SW_jjP12ihipStream_tbEUlT_E0_NS1_11comp_targetILNS1_3genE0ELNS1_11target_archE4294967295ELNS1_3gpuE0ELNS1_3repE0EEENS1_60segmented_radix_sort_warp_sort_medium_config_static_selectorELNS0_4arch9wavefront6targetE0EEEvSK_,"axG",@progbits,_ZN7rocprim17ROCPRIM_400000_NS6detail17trampoline_kernelINS0_14default_configENS1_36segmented_radix_sort_config_selectorIflEEZNS1_25segmented_radix_sort_implIS3_Lb1EPKfPfPKlPlN2at6native12_GLOBAL__N_18offset_tEEE10hipError_tPvRmT1_PNSt15iterator_traitsISK_E10value_typeET2_T3_PNSL_ISQ_E10value_typeET4_jRbjT5_SW_jjP12ihipStream_tbEUlT_E0_NS1_11comp_targetILNS1_3genE0ELNS1_11target_archE4294967295ELNS1_3gpuE0ELNS1_3repE0EEENS1_60segmented_radix_sort_warp_sort_medium_config_static_selectorELNS0_4arch9wavefront6targetE0EEEvSK_,comdat
.Lfunc_end1335:
	.size	_ZN7rocprim17ROCPRIM_400000_NS6detail17trampoline_kernelINS0_14default_configENS1_36segmented_radix_sort_config_selectorIflEEZNS1_25segmented_radix_sort_implIS3_Lb1EPKfPfPKlPlN2at6native12_GLOBAL__N_18offset_tEEE10hipError_tPvRmT1_PNSt15iterator_traitsISK_E10value_typeET2_T3_PNSL_ISQ_E10value_typeET4_jRbjT5_SW_jjP12ihipStream_tbEUlT_E0_NS1_11comp_targetILNS1_3genE0ELNS1_11target_archE4294967295ELNS1_3gpuE0ELNS1_3repE0EEENS1_60segmented_radix_sort_warp_sort_medium_config_static_selectorELNS0_4arch9wavefront6targetE0EEEvSK_, .Lfunc_end1335-_ZN7rocprim17ROCPRIM_400000_NS6detail17trampoline_kernelINS0_14default_configENS1_36segmented_radix_sort_config_selectorIflEEZNS1_25segmented_radix_sort_implIS3_Lb1EPKfPfPKlPlN2at6native12_GLOBAL__N_18offset_tEEE10hipError_tPvRmT1_PNSt15iterator_traitsISK_E10value_typeET2_T3_PNSL_ISQ_E10value_typeET4_jRbjT5_SW_jjP12ihipStream_tbEUlT_E0_NS1_11comp_targetILNS1_3genE0ELNS1_11target_archE4294967295ELNS1_3gpuE0ELNS1_3repE0EEENS1_60segmented_radix_sort_warp_sort_medium_config_static_selectorELNS0_4arch9wavefront6targetE0EEEvSK_
                                        ; -- End function
	.section	.AMDGPU.csdata,"",@progbits
; Kernel info:
; codeLenInByte = 0
; NumSgprs: 0
; NumVgprs: 0
; ScratchSize: 0
; MemoryBound: 0
; FloatMode: 240
; IeeeMode: 1
; LDSByteSize: 0 bytes/workgroup (compile time only)
; SGPRBlocks: 0
; VGPRBlocks: 0
; NumSGPRsForWavesPerEU: 1
; NumVGPRsForWavesPerEU: 1
; Occupancy: 16
; WaveLimiterHint : 0
; COMPUTE_PGM_RSRC2:SCRATCH_EN: 0
; COMPUTE_PGM_RSRC2:USER_SGPR: 15
; COMPUTE_PGM_RSRC2:TRAP_HANDLER: 0
; COMPUTE_PGM_RSRC2:TGID_X_EN: 1
; COMPUTE_PGM_RSRC2:TGID_Y_EN: 0
; COMPUTE_PGM_RSRC2:TGID_Z_EN: 0
; COMPUTE_PGM_RSRC2:TIDIG_COMP_CNT: 0
	.section	.text._ZN7rocprim17ROCPRIM_400000_NS6detail17trampoline_kernelINS0_14default_configENS1_36segmented_radix_sort_config_selectorIflEEZNS1_25segmented_radix_sort_implIS3_Lb1EPKfPfPKlPlN2at6native12_GLOBAL__N_18offset_tEEE10hipError_tPvRmT1_PNSt15iterator_traitsISK_E10value_typeET2_T3_PNSL_ISQ_E10value_typeET4_jRbjT5_SW_jjP12ihipStream_tbEUlT_E0_NS1_11comp_targetILNS1_3genE5ELNS1_11target_archE942ELNS1_3gpuE9ELNS1_3repE0EEENS1_60segmented_radix_sort_warp_sort_medium_config_static_selectorELNS0_4arch9wavefront6targetE0EEEvSK_,"axG",@progbits,_ZN7rocprim17ROCPRIM_400000_NS6detail17trampoline_kernelINS0_14default_configENS1_36segmented_radix_sort_config_selectorIflEEZNS1_25segmented_radix_sort_implIS3_Lb1EPKfPfPKlPlN2at6native12_GLOBAL__N_18offset_tEEE10hipError_tPvRmT1_PNSt15iterator_traitsISK_E10value_typeET2_T3_PNSL_ISQ_E10value_typeET4_jRbjT5_SW_jjP12ihipStream_tbEUlT_E0_NS1_11comp_targetILNS1_3genE5ELNS1_11target_archE942ELNS1_3gpuE9ELNS1_3repE0EEENS1_60segmented_radix_sort_warp_sort_medium_config_static_selectorELNS0_4arch9wavefront6targetE0EEEvSK_,comdat
	.globl	_ZN7rocprim17ROCPRIM_400000_NS6detail17trampoline_kernelINS0_14default_configENS1_36segmented_radix_sort_config_selectorIflEEZNS1_25segmented_radix_sort_implIS3_Lb1EPKfPfPKlPlN2at6native12_GLOBAL__N_18offset_tEEE10hipError_tPvRmT1_PNSt15iterator_traitsISK_E10value_typeET2_T3_PNSL_ISQ_E10value_typeET4_jRbjT5_SW_jjP12ihipStream_tbEUlT_E0_NS1_11comp_targetILNS1_3genE5ELNS1_11target_archE942ELNS1_3gpuE9ELNS1_3repE0EEENS1_60segmented_radix_sort_warp_sort_medium_config_static_selectorELNS0_4arch9wavefront6targetE0EEEvSK_ ; -- Begin function _ZN7rocprim17ROCPRIM_400000_NS6detail17trampoline_kernelINS0_14default_configENS1_36segmented_radix_sort_config_selectorIflEEZNS1_25segmented_radix_sort_implIS3_Lb1EPKfPfPKlPlN2at6native12_GLOBAL__N_18offset_tEEE10hipError_tPvRmT1_PNSt15iterator_traitsISK_E10value_typeET2_T3_PNSL_ISQ_E10value_typeET4_jRbjT5_SW_jjP12ihipStream_tbEUlT_E0_NS1_11comp_targetILNS1_3genE5ELNS1_11target_archE942ELNS1_3gpuE9ELNS1_3repE0EEENS1_60segmented_radix_sort_warp_sort_medium_config_static_selectorELNS0_4arch9wavefront6targetE0EEEvSK_
	.p2align	8
	.type	_ZN7rocprim17ROCPRIM_400000_NS6detail17trampoline_kernelINS0_14default_configENS1_36segmented_radix_sort_config_selectorIflEEZNS1_25segmented_radix_sort_implIS3_Lb1EPKfPfPKlPlN2at6native12_GLOBAL__N_18offset_tEEE10hipError_tPvRmT1_PNSt15iterator_traitsISK_E10value_typeET2_T3_PNSL_ISQ_E10value_typeET4_jRbjT5_SW_jjP12ihipStream_tbEUlT_E0_NS1_11comp_targetILNS1_3genE5ELNS1_11target_archE942ELNS1_3gpuE9ELNS1_3repE0EEENS1_60segmented_radix_sort_warp_sort_medium_config_static_selectorELNS0_4arch9wavefront6targetE0EEEvSK_,@function
_ZN7rocprim17ROCPRIM_400000_NS6detail17trampoline_kernelINS0_14default_configENS1_36segmented_radix_sort_config_selectorIflEEZNS1_25segmented_radix_sort_implIS3_Lb1EPKfPfPKlPlN2at6native12_GLOBAL__N_18offset_tEEE10hipError_tPvRmT1_PNSt15iterator_traitsISK_E10value_typeET2_T3_PNSL_ISQ_E10value_typeET4_jRbjT5_SW_jjP12ihipStream_tbEUlT_E0_NS1_11comp_targetILNS1_3genE5ELNS1_11target_archE942ELNS1_3gpuE9ELNS1_3repE0EEENS1_60segmented_radix_sort_warp_sort_medium_config_static_selectorELNS0_4arch9wavefront6targetE0EEEvSK_: ; @_ZN7rocprim17ROCPRIM_400000_NS6detail17trampoline_kernelINS0_14default_configENS1_36segmented_radix_sort_config_selectorIflEEZNS1_25segmented_radix_sort_implIS3_Lb1EPKfPfPKlPlN2at6native12_GLOBAL__N_18offset_tEEE10hipError_tPvRmT1_PNSt15iterator_traitsISK_E10value_typeET2_T3_PNSL_ISQ_E10value_typeET4_jRbjT5_SW_jjP12ihipStream_tbEUlT_E0_NS1_11comp_targetILNS1_3genE5ELNS1_11target_archE942ELNS1_3gpuE9ELNS1_3repE0EEENS1_60segmented_radix_sort_warp_sort_medium_config_static_selectorELNS0_4arch9wavefront6targetE0EEEvSK_
; %bb.0:
	.section	.rodata,"a",@progbits
	.p2align	6, 0x0
	.amdhsa_kernel _ZN7rocprim17ROCPRIM_400000_NS6detail17trampoline_kernelINS0_14default_configENS1_36segmented_radix_sort_config_selectorIflEEZNS1_25segmented_radix_sort_implIS3_Lb1EPKfPfPKlPlN2at6native12_GLOBAL__N_18offset_tEEE10hipError_tPvRmT1_PNSt15iterator_traitsISK_E10value_typeET2_T3_PNSL_ISQ_E10value_typeET4_jRbjT5_SW_jjP12ihipStream_tbEUlT_E0_NS1_11comp_targetILNS1_3genE5ELNS1_11target_archE942ELNS1_3gpuE9ELNS1_3repE0EEENS1_60segmented_radix_sort_warp_sort_medium_config_static_selectorELNS0_4arch9wavefront6targetE0EEEvSK_
		.amdhsa_group_segment_fixed_size 0
		.amdhsa_private_segment_fixed_size 0
		.amdhsa_kernarg_size 88
		.amdhsa_user_sgpr_count 15
		.amdhsa_user_sgpr_dispatch_ptr 0
		.amdhsa_user_sgpr_queue_ptr 0
		.amdhsa_user_sgpr_kernarg_segment_ptr 1
		.amdhsa_user_sgpr_dispatch_id 0
		.amdhsa_user_sgpr_private_segment_size 0
		.amdhsa_wavefront_size32 1
		.amdhsa_uses_dynamic_stack 0
		.amdhsa_enable_private_segment 0
		.amdhsa_system_sgpr_workgroup_id_x 1
		.amdhsa_system_sgpr_workgroup_id_y 0
		.amdhsa_system_sgpr_workgroup_id_z 0
		.amdhsa_system_sgpr_workgroup_info 0
		.amdhsa_system_vgpr_workitem_id 0
		.amdhsa_next_free_vgpr 1
		.amdhsa_next_free_sgpr 1
		.amdhsa_reserve_vcc 0
		.amdhsa_float_round_mode_32 0
		.amdhsa_float_round_mode_16_64 0
		.amdhsa_float_denorm_mode_32 3
		.amdhsa_float_denorm_mode_16_64 3
		.amdhsa_dx10_clamp 1
		.amdhsa_ieee_mode 1
		.amdhsa_fp16_overflow 0
		.amdhsa_workgroup_processor_mode 1
		.amdhsa_memory_ordered 1
		.amdhsa_forward_progress 0
		.amdhsa_shared_vgpr_count 0
		.amdhsa_exception_fp_ieee_invalid_op 0
		.amdhsa_exception_fp_denorm_src 0
		.amdhsa_exception_fp_ieee_div_zero 0
		.amdhsa_exception_fp_ieee_overflow 0
		.amdhsa_exception_fp_ieee_underflow 0
		.amdhsa_exception_fp_ieee_inexact 0
		.amdhsa_exception_int_div_zero 0
	.end_amdhsa_kernel
	.section	.text._ZN7rocprim17ROCPRIM_400000_NS6detail17trampoline_kernelINS0_14default_configENS1_36segmented_radix_sort_config_selectorIflEEZNS1_25segmented_radix_sort_implIS3_Lb1EPKfPfPKlPlN2at6native12_GLOBAL__N_18offset_tEEE10hipError_tPvRmT1_PNSt15iterator_traitsISK_E10value_typeET2_T3_PNSL_ISQ_E10value_typeET4_jRbjT5_SW_jjP12ihipStream_tbEUlT_E0_NS1_11comp_targetILNS1_3genE5ELNS1_11target_archE942ELNS1_3gpuE9ELNS1_3repE0EEENS1_60segmented_radix_sort_warp_sort_medium_config_static_selectorELNS0_4arch9wavefront6targetE0EEEvSK_,"axG",@progbits,_ZN7rocprim17ROCPRIM_400000_NS6detail17trampoline_kernelINS0_14default_configENS1_36segmented_radix_sort_config_selectorIflEEZNS1_25segmented_radix_sort_implIS3_Lb1EPKfPfPKlPlN2at6native12_GLOBAL__N_18offset_tEEE10hipError_tPvRmT1_PNSt15iterator_traitsISK_E10value_typeET2_T3_PNSL_ISQ_E10value_typeET4_jRbjT5_SW_jjP12ihipStream_tbEUlT_E0_NS1_11comp_targetILNS1_3genE5ELNS1_11target_archE942ELNS1_3gpuE9ELNS1_3repE0EEENS1_60segmented_radix_sort_warp_sort_medium_config_static_selectorELNS0_4arch9wavefront6targetE0EEEvSK_,comdat
.Lfunc_end1336:
	.size	_ZN7rocprim17ROCPRIM_400000_NS6detail17trampoline_kernelINS0_14default_configENS1_36segmented_radix_sort_config_selectorIflEEZNS1_25segmented_radix_sort_implIS3_Lb1EPKfPfPKlPlN2at6native12_GLOBAL__N_18offset_tEEE10hipError_tPvRmT1_PNSt15iterator_traitsISK_E10value_typeET2_T3_PNSL_ISQ_E10value_typeET4_jRbjT5_SW_jjP12ihipStream_tbEUlT_E0_NS1_11comp_targetILNS1_3genE5ELNS1_11target_archE942ELNS1_3gpuE9ELNS1_3repE0EEENS1_60segmented_radix_sort_warp_sort_medium_config_static_selectorELNS0_4arch9wavefront6targetE0EEEvSK_, .Lfunc_end1336-_ZN7rocprim17ROCPRIM_400000_NS6detail17trampoline_kernelINS0_14default_configENS1_36segmented_radix_sort_config_selectorIflEEZNS1_25segmented_radix_sort_implIS3_Lb1EPKfPfPKlPlN2at6native12_GLOBAL__N_18offset_tEEE10hipError_tPvRmT1_PNSt15iterator_traitsISK_E10value_typeET2_T3_PNSL_ISQ_E10value_typeET4_jRbjT5_SW_jjP12ihipStream_tbEUlT_E0_NS1_11comp_targetILNS1_3genE5ELNS1_11target_archE942ELNS1_3gpuE9ELNS1_3repE0EEENS1_60segmented_radix_sort_warp_sort_medium_config_static_selectorELNS0_4arch9wavefront6targetE0EEEvSK_
                                        ; -- End function
	.section	.AMDGPU.csdata,"",@progbits
; Kernel info:
; codeLenInByte = 0
; NumSgprs: 0
; NumVgprs: 0
; ScratchSize: 0
; MemoryBound: 0
; FloatMode: 240
; IeeeMode: 1
; LDSByteSize: 0 bytes/workgroup (compile time only)
; SGPRBlocks: 0
; VGPRBlocks: 0
; NumSGPRsForWavesPerEU: 1
; NumVGPRsForWavesPerEU: 1
; Occupancy: 16
; WaveLimiterHint : 0
; COMPUTE_PGM_RSRC2:SCRATCH_EN: 0
; COMPUTE_PGM_RSRC2:USER_SGPR: 15
; COMPUTE_PGM_RSRC2:TRAP_HANDLER: 0
; COMPUTE_PGM_RSRC2:TGID_X_EN: 1
; COMPUTE_PGM_RSRC2:TGID_Y_EN: 0
; COMPUTE_PGM_RSRC2:TGID_Z_EN: 0
; COMPUTE_PGM_RSRC2:TIDIG_COMP_CNT: 0
	.section	.text._ZN7rocprim17ROCPRIM_400000_NS6detail17trampoline_kernelINS0_14default_configENS1_36segmented_radix_sort_config_selectorIflEEZNS1_25segmented_radix_sort_implIS3_Lb1EPKfPfPKlPlN2at6native12_GLOBAL__N_18offset_tEEE10hipError_tPvRmT1_PNSt15iterator_traitsISK_E10value_typeET2_T3_PNSL_ISQ_E10value_typeET4_jRbjT5_SW_jjP12ihipStream_tbEUlT_E0_NS1_11comp_targetILNS1_3genE4ELNS1_11target_archE910ELNS1_3gpuE8ELNS1_3repE0EEENS1_60segmented_radix_sort_warp_sort_medium_config_static_selectorELNS0_4arch9wavefront6targetE0EEEvSK_,"axG",@progbits,_ZN7rocprim17ROCPRIM_400000_NS6detail17trampoline_kernelINS0_14default_configENS1_36segmented_radix_sort_config_selectorIflEEZNS1_25segmented_radix_sort_implIS3_Lb1EPKfPfPKlPlN2at6native12_GLOBAL__N_18offset_tEEE10hipError_tPvRmT1_PNSt15iterator_traitsISK_E10value_typeET2_T3_PNSL_ISQ_E10value_typeET4_jRbjT5_SW_jjP12ihipStream_tbEUlT_E0_NS1_11comp_targetILNS1_3genE4ELNS1_11target_archE910ELNS1_3gpuE8ELNS1_3repE0EEENS1_60segmented_radix_sort_warp_sort_medium_config_static_selectorELNS0_4arch9wavefront6targetE0EEEvSK_,comdat
	.globl	_ZN7rocprim17ROCPRIM_400000_NS6detail17trampoline_kernelINS0_14default_configENS1_36segmented_radix_sort_config_selectorIflEEZNS1_25segmented_radix_sort_implIS3_Lb1EPKfPfPKlPlN2at6native12_GLOBAL__N_18offset_tEEE10hipError_tPvRmT1_PNSt15iterator_traitsISK_E10value_typeET2_T3_PNSL_ISQ_E10value_typeET4_jRbjT5_SW_jjP12ihipStream_tbEUlT_E0_NS1_11comp_targetILNS1_3genE4ELNS1_11target_archE910ELNS1_3gpuE8ELNS1_3repE0EEENS1_60segmented_radix_sort_warp_sort_medium_config_static_selectorELNS0_4arch9wavefront6targetE0EEEvSK_ ; -- Begin function _ZN7rocprim17ROCPRIM_400000_NS6detail17trampoline_kernelINS0_14default_configENS1_36segmented_radix_sort_config_selectorIflEEZNS1_25segmented_radix_sort_implIS3_Lb1EPKfPfPKlPlN2at6native12_GLOBAL__N_18offset_tEEE10hipError_tPvRmT1_PNSt15iterator_traitsISK_E10value_typeET2_T3_PNSL_ISQ_E10value_typeET4_jRbjT5_SW_jjP12ihipStream_tbEUlT_E0_NS1_11comp_targetILNS1_3genE4ELNS1_11target_archE910ELNS1_3gpuE8ELNS1_3repE0EEENS1_60segmented_radix_sort_warp_sort_medium_config_static_selectorELNS0_4arch9wavefront6targetE0EEEvSK_
	.p2align	8
	.type	_ZN7rocprim17ROCPRIM_400000_NS6detail17trampoline_kernelINS0_14default_configENS1_36segmented_radix_sort_config_selectorIflEEZNS1_25segmented_radix_sort_implIS3_Lb1EPKfPfPKlPlN2at6native12_GLOBAL__N_18offset_tEEE10hipError_tPvRmT1_PNSt15iterator_traitsISK_E10value_typeET2_T3_PNSL_ISQ_E10value_typeET4_jRbjT5_SW_jjP12ihipStream_tbEUlT_E0_NS1_11comp_targetILNS1_3genE4ELNS1_11target_archE910ELNS1_3gpuE8ELNS1_3repE0EEENS1_60segmented_radix_sort_warp_sort_medium_config_static_selectorELNS0_4arch9wavefront6targetE0EEEvSK_,@function
_ZN7rocprim17ROCPRIM_400000_NS6detail17trampoline_kernelINS0_14default_configENS1_36segmented_radix_sort_config_selectorIflEEZNS1_25segmented_radix_sort_implIS3_Lb1EPKfPfPKlPlN2at6native12_GLOBAL__N_18offset_tEEE10hipError_tPvRmT1_PNSt15iterator_traitsISK_E10value_typeET2_T3_PNSL_ISQ_E10value_typeET4_jRbjT5_SW_jjP12ihipStream_tbEUlT_E0_NS1_11comp_targetILNS1_3genE4ELNS1_11target_archE910ELNS1_3gpuE8ELNS1_3repE0EEENS1_60segmented_radix_sort_warp_sort_medium_config_static_selectorELNS0_4arch9wavefront6targetE0EEEvSK_: ; @_ZN7rocprim17ROCPRIM_400000_NS6detail17trampoline_kernelINS0_14default_configENS1_36segmented_radix_sort_config_selectorIflEEZNS1_25segmented_radix_sort_implIS3_Lb1EPKfPfPKlPlN2at6native12_GLOBAL__N_18offset_tEEE10hipError_tPvRmT1_PNSt15iterator_traitsISK_E10value_typeET2_T3_PNSL_ISQ_E10value_typeET4_jRbjT5_SW_jjP12ihipStream_tbEUlT_E0_NS1_11comp_targetILNS1_3genE4ELNS1_11target_archE910ELNS1_3gpuE8ELNS1_3repE0EEENS1_60segmented_radix_sort_warp_sort_medium_config_static_selectorELNS0_4arch9wavefront6targetE0EEEvSK_
; %bb.0:
	.section	.rodata,"a",@progbits
	.p2align	6, 0x0
	.amdhsa_kernel _ZN7rocprim17ROCPRIM_400000_NS6detail17trampoline_kernelINS0_14default_configENS1_36segmented_radix_sort_config_selectorIflEEZNS1_25segmented_radix_sort_implIS3_Lb1EPKfPfPKlPlN2at6native12_GLOBAL__N_18offset_tEEE10hipError_tPvRmT1_PNSt15iterator_traitsISK_E10value_typeET2_T3_PNSL_ISQ_E10value_typeET4_jRbjT5_SW_jjP12ihipStream_tbEUlT_E0_NS1_11comp_targetILNS1_3genE4ELNS1_11target_archE910ELNS1_3gpuE8ELNS1_3repE0EEENS1_60segmented_radix_sort_warp_sort_medium_config_static_selectorELNS0_4arch9wavefront6targetE0EEEvSK_
		.amdhsa_group_segment_fixed_size 0
		.amdhsa_private_segment_fixed_size 0
		.amdhsa_kernarg_size 88
		.amdhsa_user_sgpr_count 15
		.amdhsa_user_sgpr_dispatch_ptr 0
		.amdhsa_user_sgpr_queue_ptr 0
		.amdhsa_user_sgpr_kernarg_segment_ptr 1
		.amdhsa_user_sgpr_dispatch_id 0
		.amdhsa_user_sgpr_private_segment_size 0
		.amdhsa_wavefront_size32 1
		.amdhsa_uses_dynamic_stack 0
		.amdhsa_enable_private_segment 0
		.amdhsa_system_sgpr_workgroup_id_x 1
		.amdhsa_system_sgpr_workgroup_id_y 0
		.amdhsa_system_sgpr_workgroup_id_z 0
		.amdhsa_system_sgpr_workgroup_info 0
		.amdhsa_system_vgpr_workitem_id 0
		.amdhsa_next_free_vgpr 1
		.amdhsa_next_free_sgpr 1
		.amdhsa_reserve_vcc 0
		.amdhsa_float_round_mode_32 0
		.amdhsa_float_round_mode_16_64 0
		.amdhsa_float_denorm_mode_32 3
		.amdhsa_float_denorm_mode_16_64 3
		.amdhsa_dx10_clamp 1
		.amdhsa_ieee_mode 1
		.amdhsa_fp16_overflow 0
		.amdhsa_workgroup_processor_mode 1
		.amdhsa_memory_ordered 1
		.amdhsa_forward_progress 0
		.amdhsa_shared_vgpr_count 0
		.amdhsa_exception_fp_ieee_invalid_op 0
		.amdhsa_exception_fp_denorm_src 0
		.amdhsa_exception_fp_ieee_div_zero 0
		.amdhsa_exception_fp_ieee_overflow 0
		.amdhsa_exception_fp_ieee_underflow 0
		.amdhsa_exception_fp_ieee_inexact 0
		.amdhsa_exception_int_div_zero 0
	.end_amdhsa_kernel
	.section	.text._ZN7rocprim17ROCPRIM_400000_NS6detail17trampoline_kernelINS0_14default_configENS1_36segmented_radix_sort_config_selectorIflEEZNS1_25segmented_radix_sort_implIS3_Lb1EPKfPfPKlPlN2at6native12_GLOBAL__N_18offset_tEEE10hipError_tPvRmT1_PNSt15iterator_traitsISK_E10value_typeET2_T3_PNSL_ISQ_E10value_typeET4_jRbjT5_SW_jjP12ihipStream_tbEUlT_E0_NS1_11comp_targetILNS1_3genE4ELNS1_11target_archE910ELNS1_3gpuE8ELNS1_3repE0EEENS1_60segmented_radix_sort_warp_sort_medium_config_static_selectorELNS0_4arch9wavefront6targetE0EEEvSK_,"axG",@progbits,_ZN7rocprim17ROCPRIM_400000_NS6detail17trampoline_kernelINS0_14default_configENS1_36segmented_radix_sort_config_selectorIflEEZNS1_25segmented_radix_sort_implIS3_Lb1EPKfPfPKlPlN2at6native12_GLOBAL__N_18offset_tEEE10hipError_tPvRmT1_PNSt15iterator_traitsISK_E10value_typeET2_T3_PNSL_ISQ_E10value_typeET4_jRbjT5_SW_jjP12ihipStream_tbEUlT_E0_NS1_11comp_targetILNS1_3genE4ELNS1_11target_archE910ELNS1_3gpuE8ELNS1_3repE0EEENS1_60segmented_radix_sort_warp_sort_medium_config_static_selectorELNS0_4arch9wavefront6targetE0EEEvSK_,comdat
.Lfunc_end1337:
	.size	_ZN7rocprim17ROCPRIM_400000_NS6detail17trampoline_kernelINS0_14default_configENS1_36segmented_radix_sort_config_selectorIflEEZNS1_25segmented_radix_sort_implIS3_Lb1EPKfPfPKlPlN2at6native12_GLOBAL__N_18offset_tEEE10hipError_tPvRmT1_PNSt15iterator_traitsISK_E10value_typeET2_T3_PNSL_ISQ_E10value_typeET4_jRbjT5_SW_jjP12ihipStream_tbEUlT_E0_NS1_11comp_targetILNS1_3genE4ELNS1_11target_archE910ELNS1_3gpuE8ELNS1_3repE0EEENS1_60segmented_radix_sort_warp_sort_medium_config_static_selectorELNS0_4arch9wavefront6targetE0EEEvSK_, .Lfunc_end1337-_ZN7rocprim17ROCPRIM_400000_NS6detail17trampoline_kernelINS0_14default_configENS1_36segmented_radix_sort_config_selectorIflEEZNS1_25segmented_radix_sort_implIS3_Lb1EPKfPfPKlPlN2at6native12_GLOBAL__N_18offset_tEEE10hipError_tPvRmT1_PNSt15iterator_traitsISK_E10value_typeET2_T3_PNSL_ISQ_E10value_typeET4_jRbjT5_SW_jjP12ihipStream_tbEUlT_E0_NS1_11comp_targetILNS1_3genE4ELNS1_11target_archE910ELNS1_3gpuE8ELNS1_3repE0EEENS1_60segmented_radix_sort_warp_sort_medium_config_static_selectorELNS0_4arch9wavefront6targetE0EEEvSK_
                                        ; -- End function
	.section	.AMDGPU.csdata,"",@progbits
; Kernel info:
; codeLenInByte = 0
; NumSgprs: 0
; NumVgprs: 0
; ScratchSize: 0
; MemoryBound: 0
; FloatMode: 240
; IeeeMode: 1
; LDSByteSize: 0 bytes/workgroup (compile time only)
; SGPRBlocks: 0
; VGPRBlocks: 0
; NumSGPRsForWavesPerEU: 1
; NumVGPRsForWavesPerEU: 1
; Occupancy: 16
; WaveLimiterHint : 0
; COMPUTE_PGM_RSRC2:SCRATCH_EN: 0
; COMPUTE_PGM_RSRC2:USER_SGPR: 15
; COMPUTE_PGM_RSRC2:TRAP_HANDLER: 0
; COMPUTE_PGM_RSRC2:TGID_X_EN: 1
; COMPUTE_PGM_RSRC2:TGID_Y_EN: 0
; COMPUTE_PGM_RSRC2:TGID_Z_EN: 0
; COMPUTE_PGM_RSRC2:TIDIG_COMP_CNT: 0
	.section	.text._ZN7rocprim17ROCPRIM_400000_NS6detail17trampoline_kernelINS0_14default_configENS1_36segmented_radix_sort_config_selectorIflEEZNS1_25segmented_radix_sort_implIS3_Lb1EPKfPfPKlPlN2at6native12_GLOBAL__N_18offset_tEEE10hipError_tPvRmT1_PNSt15iterator_traitsISK_E10value_typeET2_T3_PNSL_ISQ_E10value_typeET4_jRbjT5_SW_jjP12ihipStream_tbEUlT_E0_NS1_11comp_targetILNS1_3genE3ELNS1_11target_archE908ELNS1_3gpuE7ELNS1_3repE0EEENS1_60segmented_radix_sort_warp_sort_medium_config_static_selectorELNS0_4arch9wavefront6targetE0EEEvSK_,"axG",@progbits,_ZN7rocprim17ROCPRIM_400000_NS6detail17trampoline_kernelINS0_14default_configENS1_36segmented_radix_sort_config_selectorIflEEZNS1_25segmented_radix_sort_implIS3_Lb1EPKfPfPKlPlN2at6native12_GLOBAL__N_18offset_tEEE10hipError_tPvRmT1_PNSt15iterator_traitsISK_E10value_typeET2_T3_PNSL_ISQ_E10value_typeET4_jRbjT5_SW_jjP12ihipStream_tbEUlT_E0_NS1_11comp_targetILNS1_3genE3ELNS1_11target_archE908ELNS1_3gpuE7ELNS1_3repE0EEENS1_60segmented_radix_sort_warp_sort_medium_config_static_selectorELNS0_4arch9wavefront6targetE0EEEvSK_,comdat
	.globl	_ZN7rocprim17ROCPRIM_400000_NS6detail17trampoline_kernelINS0_14default_configENS1_36segmented_radix_sort_config_selectorIflEEZNS1_25segmented_radix_sort_implIS3_Lb1EPKfPfPKlPlN2at6native12_GLOBAL__N_18offset_tEEE10hipError_tPvRmT1_PNSt15iterator_traitsISK_E10value_typeET2_T3_PNSL_ISQ_E10value_typeET4_jRbjT5_SW_jjP12ihipStream_tbEUlT_E0_NS1_11comp_targetILNS1_3genE3ELNS1_11target_archE908ELNS1_3gpuE7ELNS1_3repE0EEENS1_60segmented_radix_sort_warp_sort_medium_config_static_selectorELNS0_4arch9wavefront6targetE0EEEvSK_ ; -- Begin function _ZN7rocprim17ROCPRIM_400000_NS6detail17trampoline_kernelINS0_14default_configENS1_36segmented_radix_sort_config_selectorIflEEZNS1_25segmented_radix_sort_implIS3_Lb1EPKfPfPKlPlN2at6native12_GLOBAL__N_18offset_tEEE10hipError_tPvRmT1_PNSt15iterator_traitsISK_E10value_typeET2_T3_PNSL_ISQ_E10value_typeET4_jRbjT5_SW_jjP12ihipStream_tbEUlT_E0_NS1_11comp_targetILNS1_3genE3ELNS1_11target_archE908ELNS1_3gpuE7ELNS1_3repE0EEENS1_60segmented_radix_sort_warp_sort_medium_config_static_selectorELNS0_4arch9wavefront6targetE0EEEvSK_
	.p2align	8
	.type	_ZN7rocprim17ROCPRIM_400000_NS6detail17trampoline_kernelINS0_14default_configENS1_36segmented_radix_sort_config_selectorIflEEZNS1_25segmented_radix_sort_implIS3_Lb1EPKfPfPKlPlN2at6native12_GLOBAL__N_18offset_tEEE10hipError_tPvRmT1_PNSt15iterator_traitsISK_E10value_typeET2_T3_PNSL_ISQ_E10value_typeET4_jRbjT5_SW_jjP12ihipStream_tbEUlT_E0_NS1_11comp_targetILNS1_3genE3ELNS1_11target_archE908ELNS1_3gpuE7ELNS1_3repE0EEENS1_60segmented_radix_sort_warp_sort_medium_config_static_selectorELNS0_4arch9wavefront6targetE0EEEvSK_,@function
_ZN7rocprim17ROCPRIM_400000_NS6detail17trampoline_kernelINS0_14default_configENS1_36segmented_radix_sort_config_selectorIflEEZNS1_25segmented_radix_sort_implIS3_Lb1EPKfPfPKlPlN2at6native12_GLOBAL__N_18offset_tEEE10hipError_tPvRmT1_PNSt15iterator_traitsISK_E10value_typeET2_T3_PNSL_ISQ_E10value_typeET4_jRbjT5_SW_jjP12ihipStream_tbEUlT_E0_NS1_11comp_targetILNS1_3genE3ELNS1_11target_archE908ELNS1_3gpuE7ELNS1_3repE0EEENS1_60segmented_radix_sort_warp_sort_medium_config_static_selectorELNS0_4arch9wavefront6targetE0EEEvSK_: ; @_ZN7rocprim17ROCPRIM_400000_NS6detail17trampoline_kernelINS0_14default_configENS1_36segmented_radix_sort_config_selectorIflEEZNS1_25segmented_radix_sort_implIS3_Lb1EPKfPfPKlPlN2at6native12_GLOBAL__N_18offset_tEEE10hipError_tPvRmT1_PNSt15iterator_traitsISK_E10value_typeET2_T3_PNSL_ISQ_E10value_typeET4_jRbjT5_SW_jjP12ihipStream_tbEUlT_E0_NS1_11comp_targetILNS1_3genE3ELNS1_11target_archE908ELNS1_3gpuE7ELNS1_3repE0EEENS1_60segmented_radix_sort_warp_sort_medium_config_static_selectorELNS0_4arch9wavefront6targetE0EEEvSK_
; %bb.0:
	.section	.rodata,"a",@progbits
	.p2align	6, 0x0
	.amdhsa_kernel _ZN7rocprim17ROCPRIM_400000_NS6detail17trampoline_kernelINS0_14default_configENS1_36segmented_radix_sort_config_selectorIflEEZNS1_25segmented_radix_sort_implIS3_Lb1EPKfPfPKlPlN2at6native12_GLOBAL__N_18offset_tEEE10hipError_tPvRmT1_PNSt15iterator_traitsISK_E10value_typeET2_T3_PNSL_ISQ_E10value_typeET4_jRbjT5_SW_jjP12ihipStream_tbEUlT_E0_NS1_11comp_targetILNS1_3genE3ELNS1_11target_archE908ELNS1_3gpuE7ELNS1_3repE0EEENS1_60segmented_radix_sort_warp_sort_medium_config_static_selectorELNS0_4arch9wavefront6targetE0EEEvSK_
		.amdhsa_group_segment_fixed_size 0
		.amdhsa_private_segment_fixed_size 0
		.amdhsa_kernarg_size 88
		.amdhsa_user_sgpr_count 15
		.amdhsa_user_sgpr_dispatch_ptr 0
		.amdhsa_user_sgpr_queue_ptr 0
		.amdhsa_user_sgpr_kernarg_segment_ptr 1
		.amdhsa_user_sgpr_dispatch_id 0
		.amdhsa_user_sgpr_private_segment_size 0
		.amdhsa_wavefront_size32 1
		.amdhsa_uses_dynamic_stack 0
		.amdhsa_enable_private_segment 0
		.amdhsa_system_sgpr_workgroup_id_x 1
		.amdhsa_system_sgpr_workgroup_id_y 0
		.amdhsa_system_sgpr_workgroup_id_z 0
		.amdhsa_system_sgpr_workgroup_info 0
		.amdhsa_system_vgpr_workitem_id 0
		.amdhsa_next_free_vgpr 1
		.amdhsa_next_free_sgpr 1
		.amdhsa_reserve_vcc 0
		.amdhsa_float_round_mode_32 0
		.amdhsa_float_round_mode_16_64 0
		.amdhsa_float_denorm_mode_32 3
		.amdhsa_float_denorm_mode_16_64 3
		.amdhsa_dx10_clamp 1
		.amdhsa_ieee_mode 1
		.amdhsa_fp16_overflow 0
		.amdhsa_workgroup_processor_mode 1
		.amdhsa_memory_ordered 1
		.amdhsa_forward_progress 0
		.amdhsa_shared_vgpr_count 0
		.amdhsa_exception_fp_ieee_invalid_op 0
		.amdhsa_exception_fp_denorm_src 0
		.amdhsa_exception_fp_ieee_div_zero 0
		.amdhsa_exception_fp_ieee_overflow 0
		.amdhsa_exception_fp_ieee_underflow 0
		.amdhsa_exception_fp_ieee_inexact 0
		.amdhsa_exception_int_div_zero 0
	.end_amdhsa_kernel
	.section	.text._ZN7rocprim17ROCPRIM_400000_NS6detail17trampoline_kernelINS0_14default_configENS1_36segmented_radix_sort_config_selectorIflEEZNS1_25segmented_radix_sort_implIS3_Lb1EPKfPfPKlPlN2at6native12_GLOBAL__N_18offset_tEEE10hipError_tPvRmT1_PNSt15iterator_traitsISK_E10value_typeET2_T3_PNSL_ISQ_E10value_typeET4_jRbjT5_SW_jjP12ihipStream_tbEUlT_E0_NS1_11comp_targetILNS1_3genE3ELNS1_11target_archE908ELNS1_3gpuE7ELNS1_3repE0EEENS1_60segmented_radix_sort_warp_sort_medium_config_static_selectorELNS0_4arch9wavefront6targetE0EEEvSK_,"axG",@progbits,_ZN7rocprim17ROCPRIM_400000_NS6detail17trampoline_kernelINS0_14default_configENS1_36segmented_radix_sort_config_selectorIflEEZNS1_25segmented_radix_sort_implIS3_Lb1EPKfPfPKlPlN2at6native12_GLOBAL__N_18offset_tEEE10hipError_tPvRmT1_PNSt15iterator_traitsISK_E10value_typeET2_T3_PNSL_ISQ_E10value_typeET4_jRbjT5_SW_jjP12ihipStream_tbEUlT_E0_NS1_11comp_targetILNS1_3genE3ELNS1_11target_archE908ELNS1_3gpuE7ELNS1_3repE0EEENS1_60segmented_radix_sort_warp_sort_medium_config_static_selectorELNS0_4arch9wavefront6targetE0EEEvSK_,comdat
.Lfunc_end1338:
	.size	_ZN7rocprim17ROCPRIM_400000_NS6detail17trampoline_kernelINS0_14default_configENS1_36segmented_radix_sort_config_selectorIflEEZNS1_25segmented_radix_sort_implIS3_Lb1EPKfPfPKlPlN2at6native12_GLOBAL__N_18offset_tEEE10hipError_tPvRmT1_PNSt15iterator_traitsISK_E10value_typeET2_T3_PNSL_ISQ_E10value_typeET4_jRbjT5_SW_jjP12ihipStream_tbEUlT_E0_NS1_11comp_targetILNS1_3genE3ELNS1_11target_archE908ELNS1_3gpuE7ELNS1_3repE0EEENS1_60segmented_radix_sort_warp_sort_medium_config_static_selectorELNS0_4arch9wavefront6targetE0EEEvSK_, .Lfunc_end1338-_ZN7rocprim17ROCPRIM_400000_NS6detail17trampoline_kernelINS0_14default_configENS1_36segmented_radix_sort_config_selectorIflEEZNS1_25segmented_radix_sort_implIS3_Lb1EPKfPfPKlPlN2at6native12_GLOBAL__N_18offset_tEEE10hipError_tPvRmT1_PNSt15iterator_traitsISK_E10value_typeET2_T3_PNSL_ISQ_E10value_typeET4_jRbjT5_SW_jjP12ihipStream_tbEUlT_E0_NS1_11comp_targetILNS1_3genE3ELNS1_11target_archE908ELNS1_3gpuE7ELNS1_3repE0EEENS1_60segmented_radix_sort_warp_sort_medium_config_static_selectorELNS0_4arch9wavefront6targetE0EEEvSK_
                                        ; -- End function
	.section	.AMDGPU.csdata,"",@progbits
; Kernel info:
; codeLenInByte = 0
; NumSgprs: 0
; NumVgprs: 0
; ScratchSize: 0
; MemoryBound: 0
; FloatMode: 240
; IeeeMode: 1
; LDSByteSize: 0 bytes/workgroup (compile time only)
; SGPRBlocks: 0
; VGPRBlocks: 0
; NumSGPRsForWavesPerEU: 1
; NumVGPRsForWavesPerEU: 1
; Occupancy: 16
; WaveLimiterHint : 0
; COMPUTE_PGM_RSRC2:SCRATCH_EN: 0
; COMPUTE_PGM_RSRC2:USER_SGPR: 15
; COMPUTE_PGM_RSRC2:TRAP_HANDLER: 0
; COMPUTE_PGM_RSRC2:TGID_X_EN: 1
; COMPUTE_PGM_RSRC2:TGID_Y_EN: 0
; COMPUTE_PGM_RSRC2:TGID_Z_EN: 0
; COMPUTE_PGM_RSRC2:TIDIG_COMP_CNT: 0
	.section	.text._ZN7rocprim17ROCPRIM_400000_NS6detail17trampoline_kernelINS0_14default_configENS1_36segmented_radix_sort_config_selectorIflEEZNS1_25segmented_radix_sort_implIS3_Lb1EPKfPfPKlPlN2at6native12_GLOBAL__N_18offset_tEEE10hipError_tPvRmT1_PNSt15iterator_traitsISK_E10value_typeET2_T3_PNSL_ISQ_E10value_typeET4_jRbjT5_SW_jjP12ihipStream_tbEUlT_E0_NS1_11comp_targetILNS1_3genE2ELNS1_11target_archE906ELNS1_3gpuE6ELNS1_3repE0EEENS1_60segmented_radix_sort_warp_sort_medium_config_static_selectorELNS0_4arch9wavefront6targetE0EEEvSK_,"axG",@progbits,_ZN7rocprim17ROCPRIM_400000_NS6detail17trampoline_kernelINS0_14default_configENS1_36segmented_radix_sort_config_selectorIflEEZNS1_25segmented_radix_sort_implIS3_Lb1EPKfPfPKlPlN2at6native12_GLOBAL__N_18offset_tEEE10hipError_tPvRmT1_PNSt15iterator_traitsISK_E10value_typeET2_T3_PNSL_ISQ_E10value_typeET4_jRbjT5_SW_jjP12ihipStream_tbEUlT_E0_NS1_11comp_targetILNS1_3genE2ELNS1_11target_archE906ELNS1_3gpuE6ELNS1_3repE0EEENS1_60segmented_radix_sort_warp_sort_medium_config_static_selectorELNS0_4arch9wavefront6targetE0EEEvSK_,comdat
	.globl	_ZN7rocprim17ROCPRIM_400000_NS6detail17trampoline_kernelINS0_14default_configENS1_36segmented_radix_sort_config_selectorIflEEZNS1_25segmented_radix_sort_implIS3_Lb1EPKfPfPKlPlN2at6native12_GLOBAL__N_18offset_tEEE10hipError_tPvRmT1_PNSt15iterator_traitsISK_E10value_typeET2_T3_PNSL_ISQ_E10value_typeET4_jRbjT5_SW_jjP12ihipStream_tbEUlT_E0_NS1_11comp_targetILNS1_3genE2ELNS1_11target_archE906ELNS1_3gpuE6ELNS1_3repE0EEENS1_60segmented_radix_sort_warp_sort_medium_config_static_selectorELNS0_4arch9wavefront6targetE0EEEvSK_ ; -- Begin function _ZN7rocprim17ROCPRIM_400000_NS6detail17trampoline_kernelINS0_14default_configENS1_36segmented_radix_sort_config_selectorIflEEZNS1_25segmented_radix_sort_implIS3_Lb1EPKfPfPKlPlN2at6native12_GLOBAL__N_18offset_tEEE10hipError_tPvRmT1_PNSt15iterator_traitsISK_E10value_typeET2_T3_PNSL_ISQ_E10value_typeET4_jRbjT5_SW_jjP12ihipStream_tbEUlT_E0_NS1_11comp_targetILNS1_3genE2ELNS1_11target_archE906ELNS1_3gpuE6ELNS1_3repE0EEENS1_60segmented_radix_sort_warp_sort_medium_config_static_selectorELNS0_4arch9wavefront6targetE0EEEvSK_
	.p2align	8
	.type	_ZN7rocprim17ROCPRIM_400000_NS6detail17trampoline_kernelINS0_14default_configENS1_36segmented_radix_sort_config_selectorIflEEZNS1_25segmented_radix_sort_implIS3_Lb1EPKfPfPKlPlN2at6native12_GLOBAL__N_18offset_tEEE10hipError_tPvRmT1_PNSt15iterator_traitsISK_E10value_typeET2_T3_PNSL_ISQ_E10value_typeET4_jRbjT5_SW_jjP12ihipStream_tbEUlT_E0_NS1_11comp_targetILNS1_3genE2ELNS1_11target_archE906ELNS1_3gpuE6ELNS1_3repE0EEENS1_60segmented_radix_sort_warp_sort_medium_config_static_selectorELNS0_4arch9wavefront6targetE0EEEvSK_,@function
_ZN7rocprim17ROCPRIM_400000_NS6detail17trampoline_kernelINS0_14default_configENS1_36segmented_radix_sort_config_selectorIflEEZNS1_25segmented_radix_sort_implIS3_Lb1EPKfPfPKlPlN2at6native12_GLOBAL__N_18offset_tEEE10hipError_tPvRmT1_PNSt15iterator_traitsISK_E10value_typeET2_T3_PNSL_ISQ_E10value_typeET4_jRbjT5_SW_jjP12ihipStream_tbEUlT_E0_NS1_11comp_targetILNS1_3genE2ELNS1_11target_archE906ELNS1_3gpuE6ELNS1_3repE0EEENS1_60segmented_radix_sort_warp_sort_medium_config_static_selectorELNS0_4arch9wavefront6targetE0EEEvSK_: ; @_ZN7rocprim17ROCPRIM_400000_NS6detail17trampoline_kernelINS0_14default_configENS1_36segmented_radix_sort_config_selectorIflEEZNS1_25segmented_radix_sort_implIS3_Lb1EPKfPfPKlPlN2at6native12_GLOBAL__N_18offset_tEEE10hipError_tPvRmT1_PNSt15iterator_traitsISK_E10value_typeET2_T3_PNSL_ISQ_E10value_typeET4_jRbjT5_SW_jjP12ihipStream_tbEUlT_E0_NS1_11comp_targetILNS1_3genE2ELNS1_11target_archE906ELNS1_3gpuE6ELNS1_3repE0EEENS1_60segmented_radix_sort_warp_sort_medium_config_static_selectorELNS0_4arch9wavefront6targetE0EEEvSK_
; %bb.0:
	.section	.rodata,"a",@progbits
	.p2align	6, 0x0
	.amdhsa_kernel _ZN7rocprim17ROCPRIM_400000_NS6detail17trampoline_kernelINS0_14default_configENS1_36segmented_radix_sort_config_selectorIflEEZNS1_25segmented_radix_sort_implIS3_Lb1EPKfPfPKlPlN2at6native12_GLOBAL__N_18offset_tEEE10hipError_tPvRmT1_PNSt15iterator_traitsISK_E10value_typeET2_T3_PNSL_ISQ_E10value_typeET4_jRbjT5_SW_jjP12ihipStream_tbEUlT_E0_NS1_11comp_targetILNS1_3genE2ELNS1_11target_archE906ELNS1_3gpuE6ELNS1_3repE0EEENS1_60segmented_radix_sort_warp_sort_medium_config_static_selectorELNS0_4arch9wavefront6targetE0EEEvSK_
		.amdhsa_group_segment_fixed_size 0
		.amdhsa_private_segment_fixed_size 0
		.amdhsa_kernarg_size 88
		.amdhsa_user_sgpr_count 15
		.amdhsa_user_sgpr_dispatch_ptr 0
		.amdhsa_user_sgpr_queue_ptr 0
		.amdhsa_user_sgpr_kernarg_segment_ptr 1
		.amdhsa_user_sgpr_dispatch_id 0
		.amdhsa_user_sgpr_private_segment_size 0
		.amdhsa_wavefront_size32 1
		.amdhsa_uses_dynamic_stack 0
		.amdhsa_enable_private_segment 0
		.amdhsa_system_sgpr_workgroup_id_x 1
		.amdhsa_system_sgpr_workgroup_id_y 0
		.amdhsa_system_sgpr_workgroup_id_z 0
		.amdhsa_system_sgpr_workgroup_info 0
		.amdhsa_system_vgpr_workitem_id 0
		.amdhsa_next_free_vgpr 1
		.amdhsa_next_free_sgpr 1
		.amdhsa_reserve_vcc 0
		.amdhsa_float_round_mode_32 0
		.amdhsa_float_round_mode_16_64 0
		.amdhsa_float_denorm_mode_32 3
		.amdhsa_float_denorm_mode_16_64 3
		.amdhsa_dx10_clamp 1
		.amdhsa_ieee_mode 1
		.amdhsa_fp16_overflow 0
		.amdhsa_workgroup_processor_mode 1
		.amdhsa_memory_ordered 1
		.amdhsa_forward_progress 0
		.amdhsa_shared_vgpr_count 0
		.amdhsa_exception_fp_ieee_invalid_op 0
		.amdhsa_exception_fp_denorm_src 0
		.amdhsa_exception_fp_ieee_div_zero 0
		.amdhsa_exception_fp_ieee_overflow 0
		.amdhsa_exception_fp_ieee_underflow 0
		.amdhsa_exception_fp_ieee_inexact 0
		.amdhsa_exception_int_div_zero 0
	.end_amdhsa_kernel
	.section	.text._ZN7rocprim17ROCPRIM_400000_NS6detail17trampoline_kernelINS0_14default_configENS1_36segmented_radix_sort_config_selectorIflEEZNS1_25segmented_radix_sort_implIS3_Lb1EPKfPfPKlPlN2at6native12_GLOBAL__N_18offset_tEEE10hipError_tPvRmT1_PNSt15iterator_traitsISK_E10value_typeET2_T3_PNSL_ISQ_E10value_typeET4_jRbjT5_SW_jjP12ihipStream_tbEUlT_E0_NS1_11comp_targetILNS1_3genE2ELNS1_11target_archE906ELNS1_3gpuE6ELNS1_3repE0EEENS1_60segmented_radix_sort_warp_sort_medium_config_static_selectorELNS0_4arch9wavefront6targetE0EEEvSK_,"axG",@progbits,_ZN7rocprim17ROCPRIM_400000_NS6detail17trampoline_kernelINS0_14default_configENS1_36segmented_radix_sort_config_selectorIflEEZNS1_25segmented_radix_sort_implIS3_Lb1EPKfPfPKlPlN2at6native12_GLOBAL__N_18offset_tEEE10hipError_tPvRmT1_PNSt15iterator_traitsISK_E10value_typeET2_T3_PNSL_ISQ_E10value_typeET4_jRbjT5_SW_jjP12ihipStream_tbEUlT_E0_NS1_11comp_targetILNS1_3genE2ELNS1_11target_archE906ELNS1_3gpuE6ELNS1_3repE0EEENS1_60segmented_radix_sort_warp_sort_medium_config_static_selectorELNS0_4arch9wavefront6targetE0EEEvSK_,comdat
.Lfunc_end1339:
	.size	_ZN7rocprim17ROCPRIM_400000_NS6detail17trampoline_kernelINS0_14default_configENS1_36segmented_radix_sort_config_selectorIflEEZNS1_25segmented_radix_sort_implIS3_Lb1EPKfPfPKlPlN2at6native12_GLOBAL__N_18offset_tEEE10hipError_tPvRmT1_PNSt15iterator_traitsISK_E10value_typeET2_T3_PNSL_ISQ_E10value_typeET4_jRbjT5_SW_jjP12ihipStream_tbEUlT_E0_NS1_11comp_targetILNS1_3genE2ELNS1_11target_archE906ELNS1_3gpuE6ELNS1_3repE0EEENS1_60segmented_radix_sort_warp_sort_medium_config_static_selectorELNS0_4arch9wavefront6targetE0EEEvSK_, .Lfunc_end1339-_ZN7rocprim17ROCPRIM_400000_NS6detail17trampoline_kernelINS0_14default_configENS1_36segmented_radix_sort_config_selectorIflEEZNS1_25segmented_radix_sort_implIS3_Lb1EPKfPfPKlPlN2at6native12_GLOBAL__N_18offset_tEEE10hipError_tPvRmT1_PNSt15iterator_traitsISK_E10value_typeET2_T3_PNSL_ISQ_E10value_typeET4_jRbjT5_SW_jjP12ihipStream_tbEUlT_E0_NS1_11comp_targetILNS1_3genE2ELNS1_11target_archE906ELNS1_3gpuE6ELNS1_3repE0EEENS1_60segmented_radix_sort_warp_sort_medium_config_static_selectorELNS0_4arch9wavefront6targetE0EEEvSK_
                                        ; -- End function
	.section	.AMDGPU.csdata,"",@progbits
; Kernel info:
; codeLenInByte = 0
; NumSgprs: 0
; NumVgprs: 0
; ScratchSize: 0
; MemoryBound: 0
; FloatMode: 240
; IeeeMode: 1
; LDSByteSize: 0 bytes/workgroup (compile time only)
; SGPRBlocks: 0
; VGPRBlocks: 0
; NumSGPRsForWavesPerEU: 1
; NumVGPRsForWavesPerEU: 1
; Occupancy: 16
; WaveLimiterHint : 0
; COMPUTE_PGM_RSRC2:SCRATCH_EN: 0
; COMPUTE_PGM_RSRC2:USER_SGPR: 15
; COMPUTE_PGM_RSRC2:TRAP_HANDLER: 0
; COMPUTE_PGM_RSRC2:TGID_X_EN: 1
; COMPUTE_PGM_RSRC2:TGID_Y_EN: 0
; COMPUTE_PGM_RSRC2:TGID_Z_EN: 0
; COMPUTE_PGM_RSRC2:TIDIG_COMP_CNT: 0
	.section	.text._ZN7rocprim17ROCPRIM_400000_NS6detail17trampoline_kernelINS0_14default_configENS1_36segmented_radix_sort_config_selectorIflEEZNS1_25segmented_radix_sort_implIS3_Lb1EPKfPfPKlPlN2at6native12_GLOBAL__N_18offset_tEEE10hipError_tPvRmT1_PNSt15iterator_traitsISK_E10value_typeET2_T3_PNSL_ISQ_E10value_typeET4_jRbjT5_SW_jjP12ihipStream_tbEUlT_E0_NS1_11comp_targetILNS1_3genE10ELNS1_11target_archE1201ELNS1_3gpuE5ELNS1_3repE0EEENS1_60segmented_radix_sort_warp_sort_medium_config_static_selectorELNS0_4arch9wavefront6targetE0EEEvSK_,"axG",@progbits,_ZN7rocprim17ROCPRIM_400000_NS6detail17trampoline_kernelINS0_14default_configENS1_36segmented_radix_sort_config_selectorIflEEZNS1_25segmented_radix_sort_implIS3_Lb1EPKfPfPKlPlN2at6native12_GLOBAL__N_18offset_tEEE10hipError_tPvRmT1_PNSt15iterator_traitsISK_E10value_typeET2_T3_PNSL_ISQ_E10value_typeET4_jRbjT5_SW_jjP12ihipStream_tbEUlT_E0_NS1_11comp_targetILNS1_3genE10ELNS1_11target_archE1201ELNS1_3gpuE5ELNS1_3repE0EEENS1_60segmented_radix_sort_warp_sort_medium_config_static_selectorELNS0_4arch9wavefront6targetE0EEEvSK_,comdat
	.globl	_ZN7rocprim17ROCPRIM_400000_NS6detail17trampoline_kernelINS0_14default_configENS1_36segmented_radix_sort_config_selectorIflEEZNS1_25segmented_radix_sort_implIS3_Lb1EPKfPfPKlPlN2at6native12_GLOBAL__N_18offset_tEEE10hipError_tPvRmT1_PNSt15iterator_traitsISK_E10value_typeET2_T3_PNSL_ISQ_E10value_typeET4_jRbjT5_SW_jjP12ihipStream_tbEUlT_E0_NS1_11comp_targetILNS1_3genE10ELNS1_11target_archE1201ELNS1_3gpuE5ELNS1_3repE0EEENS1_60segmented_radix_sort_warp_sort_medium_config_static_selectorELNS0_4arch9wavefront6targetE0EEEvSK_ ; -- Begin function _ZN7rocprim17ROCPRIM_400000_NS6detail17trampoline_kernelINS0_14default_configENS1_36segmented_radix_sort_config_selectorIflEEZNS1_25segmented_radix_sort_implIS3_Lb1EPKfPfPKlPlN2at6native12_GLOBAL__N_18offset_tEEE10hipError_tPvRmT1_PNSt15iterator_traitsISK_E10value_typeET2_T3_PNSL_ISQ_E10value_typeET4_jRbjT5_SW_jjP12ihipStream_tbEUlT_E0_NS1_11comp_targetILNS1_3genE10ELNS1_11target_archE1201ELNS1_3gpuE5ELNS1_3repE0EEENS1_60segmented_radix_sort_warp_sort_medium_config_static_selectorELNS0_4arch9wavefront6targetE0EEEvSK_
	.p2align	8
	.type	_ZN7rocprim17ROCPRIM_400000_NS6detail17trampoline_kernelINS0_14default_configENS1_36segmented_radix_sort_config_selectorIflEEZNS1_25segmented_radix_sort_implIS3_Lb1EPKfPfPKlPlN2at6native12_GLOBAL__N_18offset_tEEE10hipError_tPvRmT1_PNSt15iterator_traitsISK_E10value_typeET2_T3_PNSL_ISQ_E10value_typeET4_jRbjT5_SW_jjP12ihipStream_tbEUlT_E0_NS1_11comp_targetILNS1_3genE10ELNS1_11target_archE1201ELNS1_3gpuE5ELNS1_3repE0EEENS1_60segmented_radix_sort_warp_sort_medium_config_static_selectorELNS0_4arch9wavefront6targetE0EEEvSK_,@function
_ZN7rocprim17ROCPRIM_400000_NS6detail17trampoline_kernelINS0_14default_configENS1_36segmented_radix_sort_config_selectorIflEEZNS1_25segmented_radix_sort_implIS3_Lb1EPKfPfPKlPlN2at6native12_GLOBAL__N_18offset_tEEE10hipError_tPvRmT1_PNSt15iterator_traitsISK_E10value_typeET2_T3_PNSL_ISQ_E10value_typeET4_jRbjT5_SW_jjP12ihipStream_tbEUlT_E0_NS1_11comp_targetILNS1_3genE10ELNS1_11target_archE1201ELNS1_3gpuE5ELNS1_3repE0EEENS1_60segmented_radix_sort_warp_sort_medium_config_static_selectorELNS0_4arch9wavefront6targetE0EEEvSK_: ; @_ZN7rocprim17ROCPRIM_400000_NS6detail17trampoline_kernelINS0_14default_configENS1_36segmented_radix_sort_config_selectorIflEEZNS1_25segmented_radix_sort_implIS3_Lb1EPKfPfPKlPlN2at6native12_GLOBAL__N_18offset_tEEE10hipError_tPvRmT1_PNSt15iterator_traitsISK_E10value_typeET2_T3_PNSL_ISQ_E10value_typeET4_jRbjT5_SW_jjP12ihipStream_tbEUlT_E0_NS1_11comp_targetILNS1_3genE10ELNS1_11target_archE1201ELNS1_3gpuE5ELNS1_3repE0EEENS1_60segmented_radix_sort_warp_sort_medium_config_static_selectorELNS0_4arch9wavefront6targetE0EEEvSK_
; %bb.0:
	.section	.rodata,"a",@progbits
	.p2align	6, 0x0
	.amdhsa_kernel _ZN7rocprim17ROCPRIM_400000_NS6detail17trampoline_kernelINS0_14default_configENS1_36segmented_radix_sort_config_selectorIflEEZNS1_25segmented_radix_sort_implIS3_Lb1EPKfPfPKlPlN2at6native12_GLOBAL__N_18offset_tEEE10hipError_tPvRmT1_PNSt15iterator_traitsISK_E10value_typeET2_T3_PNSL_ISQ_E10value_typeET4_jRbjT5_SW_jjP12ihipStream_tbEUlT_E0_NS1_11comp_targetILNS1_3genE10ELNS1_11target_archE1201ELNS1_3gpuE5ELNS1_3repE0EEENS1_60segmented_radix_sort_warp_sort_medium_config_static_selectorELNS0_4arch9wavefront6targetE0EEEvSK_
		.amdhsa_group_segment_fixed_size 0
		.amdhsa_private_segment_fixed_size 0
		.amdhsa_kernarg_size 88
		.amdhsa_user_sgpr_count 15
		.amdhsa_user_sgpr_dispatch_ptr 0
		.amdhsa_user_sgpr_queue_ptr 0
		.amdhsa_user_sgpr_kernarg_segment_ptr 1
		.amdhsa_user_sgpr_dispatch_id 0
		.amdhsa_user_sgpr_private_segment_size 0
		.amdhsa_wavefront_size32 1
		.amdhsa_uses_dynamic_stack 0
		.amdhsa_enable_private_segment 0
		.amdhsa_system_sgpr_workgroup_id_x 1
		.amdhsa_system_sgpr_workgroup_id_y 0
		.amdhsa_system_sgpr_workgroup_id_z 0
		.amdhsa_system_sgpr_workgroup_info 0
		.amdhsa_system_vgpr_workitem_id 0
		.amdhsa_next_free_vgpr 1
		.amdhsa_next_free_sgpr 1
		.amdhsa_reserve_vcc 0
		.amdhsa_float_round_mode_32 0
		.amdhsa_float_round_mode_16_64 0
		.amdhsa_float_denorm_mode_32 3
		.amdhsa_float_denorm_mode_16_64 3
		.amdhsa_dx10_clamp 1
		.amdhsa_ieee_mode 1
		.amdhsa_fp16_overflow 0
		.amdhsa_workgroup_processor_mode 1
		.amdhsa_memory_ordered 1
		.amdhsa_forward_progress 0
		.amdhsa_shared_vgpr_count 0
		.amdhsa_exception_fp_ieee_invalid_op 0
		.amdhsa_exception_fp_denorm_src 0
		.amdhsa_exception_fp_ieee_div_zero 0
		.amdhsa_exception_fp_ieee_overflow 0
		.amdhsa_exception_fp_ieee_underflow 0
		.amdhsa_exception_fp_ieee_inexact 0
		.amdhsa_exception_int_div_zero 0
	.end_amdhsa_kernel
	.section	.text._ZN7rocprim17ROCPRIM_400000_NS6detail17trampoline_kernelINS0_14default_configENS1_36segmented_radix_sort_config_selectorIflEEZNS1_25segmented_radix_sort_implIS3_Lb1EPKfPfPKlPlN2at6native12_GLOBAL__N_18offset_tEEE10hipError_tPvRmT1_PNSt15iterator_traitsISK_E10value_typeET2_T3_PNSL_ISQ_E10value_typeET4_jRbjT5_SW_jjP12ihipStream_tbEUlT_E0_NS1_11comp_targetILNS1_3genE10ELNS1_11target_archE1201ELNS1_3gpuE5ELNS1_3repE0EEENS1_60segmented_radix_sort_warp_sort_medium_config_static_selectorELNS0_4arch9wavefront6targetE0EEEvSK_,"axG",@progbits,_ZN7rocprim17ROCPRIM_400000_NS6detail17trampoline_kernelINS0_14default_configENS1_36segmented_radix_sort_config_selectorIflEEZNS1_25segmented_radix_sort_implIS3_Lb1EPKfPfPKlPlN2at6native12_GLOBAL__N_18offset_tEEE10hipError_tPvRmT1_PNSt15iterator_traitsISK_E10value_typeET2_T3_PNSL_ISQ_E10value_typeET4_jRbjT5_SW_jjP12ihipStream_tbEUlT_E0_NS1_11comp_targetILNS1_3genE10ELNS1_11target_archE1201ELNS1_3gpuE5ELNS1_3repE0EEENS1_60segmented_radix_sort_warp_sort_medium_config_static_selectorELNS0_4arch9wavefront6targetE0EEEvSK_,comdat
.Lfunc_end1340:
	.size	_ZN7rocprim17ROCPRIM_400000_NS6detail17trampoline_kernelINS0_14default_configENS1_36segmented_radix_sort_config_selectorIflEEZNS1_25segmented_radix_sort_implIS3_Lb1EPKfPfPKlPlN2at6native12_GLOBAL__N_18offset_tEEE10hipError_tPvRmT1_PNSt15iterator_traitsISK_E10value_typeET2_T3_PNSL_ISQ_E10value_typeET4_jRbjT5_SW_jjP12ihipStream_tbEUlT_E0_NS1_11comp_targetILNS1_3genE10ELNS1_11target_archE1201ELNS1_3gpuE5ELNS1_3repE0EEENS1_60segmented_radix_sort_warp_sort_medium_config_static_selectorELNS0_4arch9wavefront6targetE0EEEvSK_, .Lfunc_end1340-_ZN7rocprim17ROCPRIM_400000_NS6detail17trampoline_kernelINS0_14default_configENS1_36segmented_radix_sort_config_selectorIflEEZNS1_25segmented_radix_sort_implIS3_Lb1EPKfPfPKlPlN2at6native12_GLOBAL__N_18offset_tEEE10hipError_tPvRmT1_PNSt15iterator_traitsISK_E10value_typeET2_T3_PNSL_ISQ_E10value_typeET4_jRbjT5_SW_jjP12ihipStream_tbEUlT_E0_NS1_11comp_targetILNS1_3genE10ELNS1_11target_archE1201ELNS1_3gpuE5ELNS1_3repE0EEENS1_60segmented_radix_sort_warp_sort_medium_config_static_selectorELNS0_4arch9wavefront6targetE0EEEvSK_
                                        ; -- End function
	.section	.AMDGPU.csdata,"",@progbits
; Kernel info:
; codeLenInByte = 0
; NumSgprs: 0
; NumVgprs: 0
; ScratchSize: 0
; MemoryBound: 0
; FloatMode: 240
; IeeeMode: 1
; LDSByteSize: 0 bytes/workgroup (compile time only)
; SGPRBlocks: 0
; VGPRBlocks: 0
; NumSGPRsForWavesPerEU: 1
; NumVGPRsForWavesPerEU: 1
; Occupancy: 16
; WaveLimiterHint : 0
; COMPUTE_PGM_RSRC2:SCRATCH_EN: 0
; COMPUTE_PGM_RSRC2:USER_SGPR: 15
; COMPUTE_PGM_RSRC2:TRAP_HANDLER: 0
; COMPUTE_PGM_RSRC2:TGID_X_EN: 1
; COMPUTE_PGM_RSRC2:TGID_Y_EN: 0
; COMPUTE_PGM_RSRC2:TGID_Z_EN: 0
; COMPUTE_PGM_RSRC2:TIDIG_COMP_CNT: 0
	.section	.text._ZN7rocprim17ROCPRIM_400000_NS6detail17trampoline_kernelINS0_14default_configENS1_36segmented_radix_sort_config_selectorIflEEZNS1_25segmented_radix_sort_implIS3_Lb1EPKfPfPKlPlN2at6native12_GLOBAL__N_18offset_tEEE10hipError_tPvRmT1_PNSt15iterator_traitsISK_E10value_typeET2_T3_PNSL_ISQ_E10value_typeET4_jRbjT5_SW_jjP12ihipStream_tbEUlT_E0_NS1_11comp_targetILNS1_3genE10ELNS1_11target_archE1200ELNS1_3gpuE4ELNS1_3repE0EEENS1_60segmented_radix_sort_warp_sort_medium_config_static_selectorELNS0_4arch9wavefront6targetE0EEEvSK_,"axG",@progbits,_ZN7rocprim17ROCPRIM_400000_NS6detail17trampoline_kernelINS0_14default_configENS1_36segmented_radix_sort_config_selectorIflEEZNS1_25segmented_radix_sort_implIS3_Lb1EPKfPfPKlPlN2at6native12_GLOBAL__N_18offset_tEEE10hipError_tPvRmT1_PNSt15iterator_traitsISK_E10value_typeET2_T3_PNSL_ISQ_E10value_typeET4_jRbjT5_SW_jjP12ihipStream_tbEUlT_E0_NS1_11comp_targetILNS1_3genE10ELNS1_11target_archE1200ELNS1_3gpuE4ELNS1_3repE0EEENS1_60segmented_radix_sort_warp_sort_medium_config_static_selectorELNS0_4arch9wavefront6targetE0EEEvSK_,comdat
	.globl	_ZN7rocprim17ROCPRIM_400000_NS6detail17trampoline_kernelINS0_14default_configENS1_36segmented_radix_sort_config_selectorIflEEZNS1_25segmented_radix_sort_implIS3_Lb1EPKfPfPKlPlN2at6native12_GLOBAL__N_18offset_tEEE10hipError_tPvRmT1_PNSt15iterator_traitsISK_E10value_typeET2_T3_PNSL_ISQ_E10value_typeET4_jRbjT5_SW_jjP12ihipStream_tbEUlT_E0_NS1_11comp_targetILNS1_3genE10ELNS1_11target_archE1200ELNS1_3gpuE4ELNS1_3repE0EEENS1_60segmented_radix_sort_warp_sort_medium_config_static_selectorELNS0_4arch9wavefront6targetE0EEEvSK_ ; -- Begin function _ZN7rocprim17ROCPRIM_400000_NS6detail17trampoline_kernelINS0_14default_configENS1_36segmented_radix_sort_config_selectorIflEEZNS1_25segmented_radix_sort_implIS3_Lb1EPKfPfPKlPlN2at6native12_GLOBAL__N_18offset_tEEE10hipError_tPvRmT1_PNSt15iterator_traitsISK_E10value_typeET2_T3_PNSL_ISQ_E10value_typeET4_jRbjT5_SW_jjP12ihipStream_tbEUlT_E0_NS1_11comp_targetILNS1_3genE10ELNS1_11target_archE1200ELNS1_3gpuE4ELNS1_3repE0EEENS1_60segmented_radix_sort_warp_sort_medium_config_static_selectorELNS0_4arch9wavefront6targetE0EEEvSK_
	.p2align	8
	.type	_ZN7rocprim17ROCPRIM_400000_NS6detail17trampoline_kernelINS0_14default_configENS1_36segmented_radix_sort_config_selectorIflEEZNS1_25segmented_radix_sort_implIS3_Lb1EPKfPfPKlPlN2at6native12_GLOBAL__N_18offset_tEEE10hipError_tPvRmT1_PNSt15iterator_traitsISK_E10value_typeET2_T3_PNSL_ISQ_E10value_typeET4_jRbjT5_SW_jjP12ihipStream_tbEUlT_E0_NS1_11comp_targetILNS1_3genE10ELNS1_11target_archE1200ELNS1_3gpuE4ELNS1_3repE0EEENS1_60segmented_radix_sort_warp_sort_medium_config_static_selectorELNS0_4arch9wavefront6targetE0EEEvSK_,@function
_ZN7rocprim17ROCPRIM_400000_NS6detail17trampoline_kernelINS0_14default_configENS1_36segmented_radix_sort_config_selectorIflEEZNS1_25segmented_radix_sort_implIS3_Lb1EPKfPfPKlPlN2at6native12_GLOBAL__N_18offset_tEEE10hipError_tPvRmT1_PNSt15iterator_traitsISK_E10value_typeET2_T3_PNSL_ISQ_E10value_typeET4_jRbjT5_SW_jjP12ihipStream_tbEUlT_E0_NS1_11comp_targetILNS1_3genE10ELNS1_11target_archE1200ELNS1_3gpuE4ELNS1_3repE0EEENS1_60segmented_radix_sort_warp_sort_medium_config_static_selectorELNS0_4arch9wavefront6targetE0EEEvSK_: ; @_ZN7rocprim17ROCPRIM_400000_NS6detail17trampoline_kernelINS0_14default_configENS1_36segmented_radix_sort_config_selectorIflEEZNS1_25segmented_radix_sort_implIS3_Lb1EPKfPfPKlPlN2at6native12_GLOBAL__N_18offset_tEEE10hipError_tPvRmT1_PNSt15iterator_traitsISK_E10value_typeET2_T3_PNSL_ISQ_E10value_typeET4_jRbjT5_SW_jjP12ihipStream_tbEUlT_E0_NS1_11comp_targetILNS1_3genE10ELNS1_11target_archE1200ELNS1_3gpuE4ELNS1_3repE0EEENS1_60segmented_radix_sort_warp_sort_medium_config_static_selectorELNS0_4arch9wavefront6targetE0EEEvSK_
; %bb.0:
	.section	.rodata,"a",@progbits
	.p2align	6, 0x0
	.amdhsa_kernel _ZN7rocprim17ROCPRIM_400000_NS6detail17trampoline_kernelINS0_14default_configENS1_36segmented_radix_sort_config_selectorIflEEZNS1_25segmented_radix_sort_implIS3_Lb1EPKfPfPKlPlN2at6native12_GLOBAL__N_18offset_tEEE10hipError_tPvRmT1_PNSt15iterator_traitsISK_E10value_typeET2_T3_PNSL_ISQ_E10value_typeET4_jRbjT5_SW_jjP12ihipStream_tbEUlT_E0_NS1_11comp_targetILNS1_3genE10ELNS1_11target_archE1200ELNS1_3gpuE4ELNS1_3repE0EEENS1_60segmented_radix_sort_warp_sort_medium_config_static_selectorELNS0_4arch9wavefront6targetE0EEEvSK_
		.amdhsa_group_segment_fixed_size 0
		.amdhsa_private_segment_fixed_size 0
		.amdhsa_kernarg_size 88
		.amdhsa_user_sgpr_count 15
		.amdhsa_user_sgpr_dispatch_ptr 0
		.amdhsa_user_sgpr_queue_ptr 0
		.amdhsa_user_sgpr_kernarg_segment_ptr 1
		.amdhsa_user_sgpr_dispatch_id 0
		.amdhsa_user_sgpr_private_segment_size 0
		.amdhsa_wavefront_size32 1
		.amdhsa_uses_dynamic_stack 0
		.amdhsa_enable_private_segment 0
		.amdhsa_system_sgpr_workgroup_id_x 1
		.amdhsa_system_sgpr_workgroup_id_y 0
		.amdhsa_system_sgpr_workgroup_id_z 0
		.amdhsa_system_sgpr_workgroup_info 0
		.amdhsa_system_vgpr_workitem_id 0
		.amdhsa_next_free_vgpr 1
		.amdhsa_next_free_sgpr 1
		.amdhsa_reserve_vcc 0
		.amdhsa_float_round_mode_32 0
		.amdhsa_float_round_mode_16_64 0
		.amdhsa_float_denorm_mode_32 3
		.amdhsa_float_denorm_mode_16_64 3
		.amdhsa_dx10_clamp 1
		.amdhsa_ieee_mode 1
		.amdhsa_fp16_overflow 0
		.amdhsa_workgroup_processor_mode 1
		.amdhsa_memory_ordered 1
		.amdhsa_forward_progress 0
		.amdhsa_shared_vgpr_count 0
		.amdhsa_exception_fp_ieee_invalid_op 0
		.amdhsa_exception_fp_denorm_src 0
		.amdhsa_exception_fp_ieee_div_zero 0
		.amdhsa_exception_fp_ieee_overflow 0
		.amdhsa_exception_fp_ieee_underflow 0
		.amdhsa_exception_fp_ieee_inexact 0
		.amdhsa_exception_int_div_zero 0
	.end_amdhsa_kernel
	.section	.text._ZN7rocprim17ROCPRIM_400000_NS6detail17trampoline_kernelINS0_14default_configENS1_36segmented_radix_sort_config_selectorIflEEZNS1_25segmented_radix_sort_implIS3_Lb1EPKfPfPKlPlN2at6native12_GLOBAL__N_18offset_tEEE10hipError_tPvRmT1_PNSt15iterator_traitsISK_E10value_typeET2_T3_PNSL_ISQ_E10value_typeET4_jRbjT5_SW_jjP12ihipStream_tbEUlT_E0_NS1_11comp_targetILNS1_3genE10ELNS1_11target_archE1200ELNS1_3gpuE4ELNS1_3repE0EEENS1_60segmented_radix_sort_warp_sort_medium_config_static_selectorELNS0_4arch9wavefront6targetE0EEEvSK_,"axG",@progbits,_ZN7rocprim17ROCPRIM_400000_NS6detail17trampoline_kernelINS0_14default_configENS1_36segmented_radix_sort_config_selectorIflEEZNS1_25segmented_radix_sort_implIS3_Lb1EPKfPfPKlPlN2at6native12_GLOBAL__N_18offset_tEEE10hipError_tPvRmT1_PNSt15iterator_traitsISK_E10value_typeET2_T3_PNSL_ISQ_E10value_typeET4_jRbjT5_SW_jjP12ihipStream_tbEUlT_E0_NS1_11comp_targetILNS1_3genE10ELNS1_11target_archE1200ELNS1_3gpuE4ELNS1_3repE0EEENS1_60segmented_radix_sort_warp_sort_medium_config_static_selectorELNS0_4arch9wavefront6targetE0EEEvSK_,comdat
.Lfunc_end1341:
	.size	_ZN7rocprim17ROCPRIM_400000_NS6detail17trampoline_kernelINS0_14default_configENS1_36segmented_radix_sort_config_selectorIflEEZNS1_25segmented_radix_sort_implIS3_Lb1EPKfPfPKlPlN2at6native12_GLOBAL__N_18offset_tEEE10hipError_tPvRmT1_PNSt15iterator_traitsISK_E10value_typeET2_T3_PNSL_ISQ_E10value_typeET4_jRbjT5_SW_jjP12ihipStream_tbEUlT_E0_NS1_11comp_targetILNS1_3genE10ELNS1_11target_archE1200ELNS1_3gpuE4ELNS1_3repE0EEENS1_60segmented_radix_sort_warp_sort_medium_config_static_selectorELNS0_4arch9wavefront6targetE0EEEvSK_, .Lfunc_end1341-_ZN7rocprim17ROCPRIM_400000_NS6detail17trampoline_kernelINS0_14default_configENS1_36segmented_radix_sort_config_selectorIflEEZNS1_25segmented_radix_sort_implIS3_Lb1EPKfPfPKlPlN2at6native12_GLOBAL__N_18offset_tEEE10hipError_tPvRmT1_PNSt15iterator_traitsISK_E10value_typeET2_T3_PNSL_ISQ_E10value_typeET4_jRbjT5_SW_jjP12ihipStream_tbEUlT_E0_NS1_11comp_targetILNS1_3genE10ELNS1_11target_archE1200ELNS1_3gpuE4ELNS1_3repE0EEENS1_60segmented_radix_sort_warp_sort_medium_config_static_selectorELNS0_4arch9wavefront6targetE0EEEvSK_
                                        ; -- End function
	.section	.AMDGPU.csdata,"",@progbits
; Kernel info:
; codeLenInByte = 0
; NumSgprs: 0
; NumVgprs: 0
; ScratchSize: 0
; MemoryBound: 0
; FloatMode: 240
; IeeeMode: 1
; LDSByteSize: 0 bytes/workgroup (compile time only)
; SGPRBlocks: 0
; VGPRBlocks: 0
; NumSGPRsForWavesPerEU: 1
; NumVGPRsForWavesPerEU: 1
; Occupancy: 16
; WaveLimiterHint : 0
; COMPUTE_PGM_RSRC2:SCRATCH_EN: 0
; COMPUTE_PGM_RSRC2:USER_SGPR: 15
; COMPUTE_PGM_RSRC2:TRAP_HANDLER: 0
; COMPUTE_PGM_RSRC2:TGID_X_EN: 1
; COMPUTE_PGM_RSRC2:TGID_Y_EN: 0
; COMPUTE_PGM_RSRC2:TGID_Z_EN: 0
; COMPUTE_PGM_RSRC2:TIDIG_COMP_CNT: 0
	.text
	.p2align	2                               ; -- Begin function _ZN7rocprim17ROCPRIM_400000_NS6detail26segmented_warp_sort_helperINS1_20WarpSortHelperConfigILj16ELj8ELj256EEEflLi256ELb1EvE4sortIPKfPfPKlPlEEvT_T0_T1_T2_jjjjRNS5_12storage_typeE
	.type	_ZN7rocprim17ROCPRIM_400000_NS6detail26segmented_warp_sort_helperINS1_20WarpSortHelperConfigILj16ELj8ELj256EEEflLi256ELb1EvE4sortIPKfPfPKlPlEEvT_T0_T1_T2_jjjjRNS5_12storage_typeE,@function
_ZN7rocprim17ROCPRIM_400000_NS6detail26segmented_warp_sort_helperINS1_20WarpSortHelperConfigILj16ELj8ELj256EEEflLi256ELb1EvE4sortIPKfPfPKlPlEEvT_T0_T1_T2_jjjjRNS5_12storage_typeE: ; @_ZN7rocprim17ROCPRIM_400000_NS6detail26segmented_warp_sort_helperINS1_20WarpSortHelperConfigILj16ELj8ELj256EEEflLi256ELb1EvE4sortIPKfPfPKlPlEEvT_T0_T1_T2_jjjjRNS5_12storage_typeE
; %bb.0:
	s_waitcnt vmcnt(0) expcnt(0) lgkmcnt(0)
	v_mov_b32_e32 v10, v9
	v_mbcnt_lo_u32_b32 v9, -1, 0
	s_mov_b32 s0, -1
	s_delay_alu instid0(SALU_CYCLE_1) | instskip(SKIP_1) | instid1(VALU_DEP_1)
	s_mov_b32 s1, s0
	s_mov_b32 s2, s0
	v_lshlrev_b32_e32 v85, 3, v9
	v_mov_b32_e32 v9, 0
	s_mov_b32 s3, s0
	s_mov_b32 s4, s0
	s_mov_b32 s5, s0
	v_and_b32_e32 v84, 0x78, v85
	v_lshlrev_b64 v[54:55], 2, v[8:9]
	s_mov_b32 s6, s0
	s_mov_b32 s7, s0
	v_sub_nc_u32_e32 v10, v10, v8
	v_dual_mov_b32 v23, s7 :: v_dual_lshlrev_b32 v82, 2, v84
	s_delay_alu instid0(VALU_DEP_3) | instskip(SKIP_2) | instid1(VALU_DEP_3)
	v_add_co_u32 v0, vcc_lo, v0, v54
	v_add_co_ci_u32_e32 v1, vcc_lo, v1, v55, vcc_lo
	v_dual_mov_b32 v22, s6 :: v_dual_mov_b32 v21, s5
	v_add_co_u32 v0, vcc_lo, v0, v82
	s_delay_alu instid0(VALU_DEP_3)
	v_add_co_ci_u32_e32 v1, vcc_lo, 0, v1, vcc_lo
	v_cmp_lt_u32_e32 vcc_lo, v84, v10
	v_dual_mov_b32 v20, s4 :: v_dual_mov_b32 v19, s3
	v_dual_mov_b32 v18, s2 :: v_dual_mov_b32 v17, s1
	v_mov_b32_e32 v16, s0
	s_and_saveexec_b32 s0, vcc_lo
	s_cbranch_execz .LBB1342_2
; %bb.1:
	flat_load_b32 v16, v[0:1]
	v_mov_b32_e32 v17, -1
	s_delay_alu instid0(VALU_DEP_1)
	v_mov_b32_e32 v18, v17
	v_mov_b32_e32 v19, v17
	v_mov_b32_e32 v20, v17
	v_mov_b32_e32 v21, v17
	v_mov_b32_e32 v22, v17
	v_mov_b32_e32 v23, v17
.LBB1342_2:
	s_or_b32 exec_lo, exec_lo, s0
	v_or_b32_e32 v11, 1, v84
	s_delay_alu instid0(VALU_DEP_1) | instskip(NEXT) | instid1(VALU_DEP_1)
	v_cmp_lt_u32_e64 s0, v11, v10
	s_and_saveexec_b32 s1, s0
	s_cbranch_execz .LBB1342_4
; %bb.3:
	flat_load_b32 v17, v[0:1] offset:4
.LBB1342_4:
	s_or_b32 exec_lo, exec_lo, s1
	v_or_b32_e32 v11, 2, v84
	s_delay_alu instid0(VALU_DEP_1) | instskip(NEXT) | instid1(VALU_DEP_1)
	v_cmp_lt_u32_e64 s1, v11, v10
	s_and_saveexec_b32 s2, s1
	s_cbranch_execz .LBB1342_6
; %bb.5:
	flat_load_b32 v18, v[0:1] offset:8
.LBB1342_6:
	;; [unrolled: 9-line block ×7, first 2 shown]
	s_or_b32 exec_lo, exec_lo, s7
	v_lshlrev_b64 v[0:1], 3, v[8:9]
	v_lshlrev_b32_e32 v83, 3, v84
	; wave barrier
	s_delay_alu instid0(VALU_DEP_2) | instskip(NEXT) | instid1(VALU_DEP_1)
	v_add_co_u32 v4, s7, v4, v0
	v_add_co_ci_u32_e64 v5, s7, v5, v1, s7
	s_delay_alu instid0(VALU_DEP_2) | instskip(NEXT) | instid1(VALU_DEP_1)
	v_add_co_u32 v8, s7, v4, v83
	v_add_co_ci_u32_e64 v9, s7, 0, v5, s7
                                        ; implicit-def: $vgpr4_vgpr5
	s_and_saveexec_b32 s7, vcc_lo
	s_cbranch_execnz .LBB1342_257
; %bb.17:
	s_or_b32 exec_lo, exec_lo, s7
	s_and_saveexec_b32 s7, s0
                                        ; implicit-def: $vgpr32_vgpr33_vgpr34_vgpr35
	s_cbranch_execnz .LBB1342_258
.LBB1342_18:
	s_or_b32 exec_lo, exec_lo, s7
                                        ; implicit-def: $vgpr68_vgpr69
	s_and_saveexec_b32 s7, s1
	s_cbranch_execnz .LBB1342_259
.LBB1342_19:
	s_or_b32 exec_lo, exec_lo, s7
	s_and_saveexec_b32 s7, s2
                                        ; implicit-def: $vgpr50_vgpr51_vgpr52_vgpr53
	s_cbranch_execnz .LBB1342_260
.LBB1342_20:
	s_or_b32 exec_lo, exec_lo, s7
                                        ; implicit-def: $vgpr70_vgpr71
	s_and_saveexec_b32 s7, s3
	s_cbranch_execnz .LBB1342_261
.LBB1342_21:
	s_or_b32 exec_lo, exec_lo, s7
	s_and_saveexec_b32 s7, s4
                                        ; implicit-def: $vgpr64_vgpr65_vgpr66_vgpr67
	s_cbranch_execnz .LBB1342_262
.LBB1342_22:
	s_or_b32 exec_lo, exec_lo, s7
                                        ; implicit-def: $vgpr64_vgpr65
	s_and_saveexec_b32 s7, s5
	s_cbranch_execnz .LBB1342_263
.LBB1342_23:
	s_or_b32 exec_lo, exec_lo, s7
	s_and_saveexec_b32 s7, s6
                                        ; implicit-def: $vgpr48_vgpr49_vgpr50_vgpr51
	s_cbranch_execz .LBB1342_25
.LBB1342_24:
	flat_load_b64 v[50:51], v[8:9] offset:56
.LBB1342_25:
	s_or_b32 exec_lo, exec_lo, s7
	; wave barrier
	s_load_b64 s[10:11], s[8:9], 0x0
	v_mov_b32_e32 v8, 0
	v_bfe_u32 v10, v31, 10, 10
	v_bfe_u32 v11, v31, 20, 10
	s_waitcnt lgkmcnt(0)
	s_cmp_lt_u32 s13, s11
	s_cselect_b32 s7, 14, 20
	s_delay_alu instid0(SALU_CYCLE_1) | instskip(SKIP_4) | instid1(SALU_CYCLE_1)
	s_add_u32 s14, s8, s7
	s_addc_u32 s15, s9, 0
	s_cmp_lt_u32 s12, s10
	global_load_u16 v9, v8, s[14:15]
	s_cselect_b32 s7, 12, 18
	s_add_u32 s8, s8, s7
	s_addc_u32 s9, s9, 0
	global_load_u16 v8, v8, s[8:9]
	s_mov_b32 s9, exec_lo
	s_waitcnt vmcnt(1)
	v_mad_u32_u24 v9, v11, v9, v10
	s_waitcnt vmcnt(0)
	s_delay_alu instid0(VALU_DEP_1) | instskip(SKIP_1) | instid1(VALU_DEP_1)
	v_mul_lo_u32 v8, v9, v8
	v_and_b32_e32 v9, 0x3ff, v31
	v_add_lshl_u32 v86, v8, v9, 3
	v_dual_mov_b32 v8, v16 :: v_dual_mov_b32 v9, v17
	v_dual_mov_b32 v10, v18 :: v_dual_mov_b32 v11, v19
	;; [unrolled: 1-line block ×4, first 2 shown]
	v_cmpx_gt_u32_e32 0x800, v86
	s_cbranch_execz .LBB1342_79
; %bb.26:
	v_dual_add_f32 v8, 0, v17 :: v_dual_add_f32 v9, 0, v16
	v_dual_mov_b32 v31, v23 :: v_dual_mov_b32 v30, v22
	v_dual_mov_b32 v49, v35 :: v_dual_mov_b32 v48, v34
	s_delay_alu instid0(VALU_DEP_3) | instskip(NEXT) | instid1(VALU_DEP_4)
	v_ashrrev_i32_e32 v10, 31, v8
	v_ashrrev_i32_e32 v11, 31, v9
	v_dual_mov_b32 v29, v21 :: v_dual_mov_b32 v28, v20
	v_dual_mov_b32 v27, v19 :: v_dual_mov_b32 v26, v18
	s_delay_alu instid0(VALU_DEP_4) | instskip(NEXT) | instid1(VALU_DEP_4)
	v_or_b32_e32 v10, 0x80000000, v10
	v_or_b32_e32 v11, 0x80000000, v11
	v_dual_mov_b32 v25, v17 :: v_dual_mov_b32 v24, v16
	v_mov_b32_e32 v87, v16
	s_delay_alu instid0(VALU_DEP_4) | instskip(NEXT) | instid1(VALU_DEP_4)
	v_xor_b32_e32 v8, v10, v8
	v_xor_b32_e32 v9, v11, v9
	s_mov_b32 s8, exec_lo
	s_delay_alu instid0(VALU_DEP_1)
	v_cmpx_gt_u32_e64 v8, v9
; %bb.27:
	v_dual_mov_b32 v24, v17 :: v_dual_mov_b32 v25, v16
	v_dual_mov_b32 v26, v18 :: v_dual_mov_b32 v27, v19
	v_dual_mov_b32 v28, v20 :: v_dual_mov_b32 v29, v21
	v_dual_mov_b32 v30, v22 :: v_dual_mov_b32 v31, v23
	v_dual_mov_b32 v49, v5 :: v_dual_mov_b32 v48, v4
	v_dual_mov_b32 v4, v34 :: v_dual_mov_b32 v5, v35
	v_mov_b32_e32 v87, v17
	v_mov_b32_e32 v17, v16
; %bb.28:
	s_or_b32 exec_lo, exec_lo, s8
	v_dual_add_f32 v8, 0, v27 :: v_dual_add_f32 v9, 0, v26
	v_dual_mov_b32 v39, v31 :: v_dual_mov_b32 v38, v30
	v_dual_mov_b32 v81, v53 :: v_dual_mov_b32 v80, v52
	s_delay_alu instid0(VALU_DEP_3) | instskip(NEXT) | instid1(VALU_DEP_4)
	v_ashrrev_i32_e32 v10, 31, v8
	v_ashrrev_i32_e32 v11, 31, v9
	v_dual_mov_b32 v37, v29 :: v_dual_mov_b32 v36, v28
	v_dual_mov_b32 v35, v27 :: v_dual_mov_b32 v34, v26
	s_delay_alu instid0(VALU_DEP_4) | instskip(NEXT) | instid1(VALU_DEP_4)
	v_or_b32_e32 v10, 0x80000000, v10
	v_or_b32_e32 v11, 0x80000000, v11
	v_dual_mov_b32 v33, v25 :: v_dual_mov_b32 v32, v24
	v_mov_b32_e32 v16, v27
	s_delay_alu instid0(VALU_DEP_4) | instskip(NEXT) | instid1(VALU_DEP_4)
	v_xor_b32_e32 v8, v10, v8
	v_xor_b32_e32 v9, v11, v9
	s_mov_b32 s8, exec_lo
	s_delay_alu instid0(VALU_DEP_1)
	v_cmpx_gt_u32_e64 v8, v9
; %bb.29:
	v_dual_mov_b32 v32, v24 :: v_dual_mov_b32 v33, v25
	v_dual_mov_b32 v34, v27 :: v_dual_mov_b32 v35, v26
	v_dual_mov_b32 v36, v28 :: v_dual_mov_b32 v37, v29
	v_dual_mov_b32 v38, v30 :: v_dual_mov_b32 v39, v31
	v_dual_mov_b32 v81, v69 :: v_dual_mov_b32 v80, v68
	v_dual_mov_b32 v69, v53 :: v_dual_mov_b32 v68, v52
	v_mov_b32_e32 v16, v26
	v_mov_b32_e32 v26, v27
; %bb.30:
	s_or_b32 exec_lo, exec_lo, s8
	;; [unrolled: 30-line block ×3, first 2 shown]
	v_dual_add_f32 v8, 0, v25 :: v_dual_add_f32 v9, 0, v24
	v_dual_mov_b32 v29, v64 :: v_dual_mov_b32 v30, v65
	v_mov_b32_e32 v33, v25
	s_delay_alu instid0(VALU_DEP_3) | instskip(NEXT) | instid1(VALU_DEP_4)
	v_ashrrev_i32_e32 v10, 31, v8
	v_ashrrev_i32_e32 v11, 31, v9
	s_mov_b32 s8, exec_lo
	s_delay_alu instid0(VALU_DEP_2) | instskip(NEXT) | instid1(VALU_DEP_2)
	v_or_b32_e32 v10, 0x80000000, v10
	v_or_b32_e32 v11, 0x80000000, v11
	s_delay_alu instid0(VALU_DEP_2) | instskip(NEXT) | instid1(VALU_DEP_2)
	v_xor_b32_e32 v31, v10, v8
	v_xor_b32_e32 v32, v11, v9
	v_dual_mov_b32 v8, v18 :: v_dual_mov_b32 v9, v19
	v_dual_mov_b32 v10, v20 :: v_dual_mov_b32 v11, v21
	;; [unrolled: 1-line block ×4, first 2 shown]
	v_cmpx_gt_u32_e64 v31, v32
; %bb.33:
	v_dual_mov_b32 v8, v18 :: v_dual_mov_b32 v9, v19
	v_dual_mov_b32 v10, v20 :: v_dual_mov_b32 v11, v21
	;; [unrolled: 1-line block ×7, first 2 shown]
; %bb.34:
	s_or_b32 exec_lo, exec_lo, s8
	v_dual_add_f32 v18, 0, v26 :: v_dual_add_f32 v19, 0, v17
	v_mov_b32_e32 v35, v26
	s_delay_alu instid0(VALU_DEP_2) | instskip(NEXT) | instid1(VALU_DEP_3)
	v_ashrrev_i32_e32 v20, 31, v18
	v_ashrrev_i32_e32 v21, 31, v19
	s_delay_alu instid0(VALU_DEP_2) | instskip(NEXT) | instid1(VALU_DEP_2)
	v_or_b32_e32 v20, 0x80000000, v20
	v_or_b32_e32 v21, 0x80000000, v21
	s_delay_alu instid0(VALU_DEP_2) | instskip(NEXT) | instid1(VALU_DEP_2)
	v_xor_b32_e32 v20, v20, v18
	v_xor_b32_e32 v21, v21, v19
	v_dual_mov_b32 v18, v68 :: v_dual_mov_b32 v19, v69
	s_delay_alu instid0(VALU_DEP_2) | instskip(NEXT) | instid1(VALU_DEP_1)
	v_cmp_gt_u32_e64 s7, v20, v21
	s_and_saveexec_b32 s8, s7
	s_delay_alu instid0(SALU_CYCLE_1)
	s_xor_b32 s7, exec_lo, s8
; %bb.35:
	v_dual_mov_b32 v9, v26 :: v_dual_mov_b32 v10, v17
	v_dual_mov_b32 v18, v48 :: v_dual_mov_b32 v19, v49
	;; [unrolled: 1-line block ×3, first 2 shown]
	v_mov_b32_e32 v35, v17
	v_mov_b32_e32 v17, v26
; %bb.36:
	s_or_b32 exec_lo, exec_lo, s7
	v_dual_add_f32 v20, 0, v36 :: v_dual_mov_b32 v25, v80
	v_dual_add_f32 v21, 0, v16 :: v_dual_mov_b32 v26, v81
	v_mov_b32_e32 v37, v36
	s_delay_alu instid0(VALU_DEP_3) | instskip(SKIP_1) | instid1(VALU_DEP_3)
	v_ashrrev_i32_e32 v22, 31, v20
	s_mov_b32 s8, exec_lo
	v_ashrrev_i32_e32 v23, 31, v21
	s_delay_alu instid0(VALU_DEP_2) | instskip(NEXT) | instid1(VALU_DEP_2)
	v_or_b32_e32 v22, 0x80000000, v22
	v_or_b32_e32 v23, 0x80000000, v23
	s_delay_alu instid0(VALU_DEP_2) | instskip(NEXT) | instid1(VALU_DEP_2)
	v_xor_b32_e32 v20, v22, v20
	v_xor_b32_e32 v21, v23, v21
	s_delay_alu instid0(VALU_DEP_1)
	v_cmpx_gt_u32_e64 v20, v21
; %bb.37:
	v_dual_mov_b32 v12, v16 :: v_dual_mov_b32 v25, v27
	v_mov_b32_e32 v26, v28
	v_mov_b32_e32 v27, v80
	v_dual_mov_b32 v11, v36 :: v_dual_mov_b32 v28, v81
	v_mov_b32_e32 v37, v16
	v_mov_b32_e32 v16, v36
; %bb.38:
	s_or_b32 exec_lo, exec_lo, s8
	v_add_f32_e32 v20, 0, v24
	v_dual_add_f32 v21, 0, v52 :: v_dual_mov_b32 v36, v24
	s_mov_b32 s8, exec_lo
	s_delay_alu instid0(VALU_DEP_2) | instskip(NEXT) | instid1(VALU_DEP_2)
	v_ashrrev_i32_e32 v22, 31, v20
	v_ashrrev_i32_e32 v23, 31, v21
	s_delay_alu instid0(VALU_DEP_2) | instskip(NEXT) | instid1(VALU_DEP_2)
	v_or_b32_e32 v22, 0x80000000, v22
	v_or_b32_e32 v23, 0x80000000, v23
	s_delay_alu instid0(VALU_DEP_2) | instskip(NEXT) | instid1(VALU_DEP_2)
	v_xor_b32_e32 v22, v22, v20
	v_xor_b32_e32 v23, v23, v21
	v_dual_mov_b32 v20, v66 :: v_dual_mov_b32 v21, v67
	s_delay_alu instid0(VALU_DEP_2)
	v_cmpx_gt_u32_e64 v22, v23
; %bb.39:
	v_dual_mov_b32 v13, v24 :: v_dual_mov_b32 v20, v29
	v_dual_mov_b32 v14, v52 :: v_dual_mov_b32 v21, v30
	;; [unrolled: 1-line block ×3, first 2 shown]
	v_mov_b32_e32 v36, v52
	v_mov_b32_e32 v52, v24
; %bb.40:
	s_or_b32 exec_lo, exec_lo, s8
	v_dual_add_f32 v22, 0, v17 :: v_dual_add_f32 v23, 0, v87
	v_mov_b32_e32 v34, v87
	s_mov_b32 s8, exec_lo
	s_delay_alu instid0(VALU_DEP_2) | instskip(NEXT) | instid1(VALU_DEP_3)
	v_ashrrev_i32_e32 v24, 31, v22
	v_ashrrev_i32_e32 v31, 31, v23
	s_delay_alu instid0(VALU_DEP_2) | instskip(NEXT) | instid1(VALU_DEP_2)
	v_or_b32_e32 v24, 0x80000000, v24
	v_or_b32_e32 v31, 0x80000000, v31
	s_delay_alu instid0(VALU_DEP_2) | instskip(NEXT) | instid1(VALU_DEP_2)
	v_xor_b32_e32 v24, v24, v22
	v_xor_b32_e32 v31, v31, v23
	v_dual_mov_b32 v22, v48 :: v_dual_mov_b32 v23, v49
	s_delay_alu instid0(VALU_DEP_2)
	v_cmpx_gt_u32_e64 v24, v31
; %bb.41:
	v_dual_mov_b32 v8, v17 :: v_dual_mov_b32 v9, v87
	v_dual_mov_b32 v23, v5 :: v_dual_mov_b32 v22, v4
	;; [unrolled: 1-line block ×4, first 2 shown]
; %bb.42:
	s_or_b32 exec_lo, exec_lo, s8
	v_dual_add_f32 v24, 0, v16 :: v_dual_add_f32 v31, 0, v35
	s_delay_alu instid0(VALU_DEP_1) | instskip(NEXT) | instid1(VALU_DEP_2)
	v_ashrrev_i32_e32 v32, 31, v24
	v_ashrrev_i32_e32 v38, 31, v31
	s_delay_alu instid0(VALU_DEP_2) | instskip(NEXT) | instid1(VALU_DEP_2)
	v_or_b32_e32 v32, 0x80000000, v32
	v_or_b32_e32 v38, 0x80000000, v38
	s_delay_alu instid0(VALU_DEP_2) | instskip(NEXT) | instid1(VALU_DEP_2)
	v_xor_b32_e32 v24, v32, v24
	v_xor_b32_e32 v38, v38, v31
	v_dual_mov_b32 v32, v26 :: v_dual_mov_b32 v31, v25
	s_delay_alu instid0(VALU_DEP_2) | instskip(SKIP_1) | instid1(VALU_DEP_2)
	v_cmp_gt_u32_e64 s7, v24, v38
	v_mov_b32_e32 v38, v16
	s_and_saveexec_b32 s8, s7
; %bb.43:
	v_dual_mov_b32 v10, v16 :: v_dual_mov_b32 v11, v35
	v_dual_mov_b32 v32, v19 :: v_dual_mov_b32 v31, v18
	;; [unrolled: 1-line block ×4, first 2 shown]
; %bb.44:
	s_or_b32 exec_lo, exec_lo, s8
	v_add_f32_e32 v16, 0, v52
	v_dual_add_f32 v24, 0, v37 :: v_dual_mov_b32 v39, v52
	s_mov_b32 s8, exec_lo
	s_delay_alu instid0(VALU_DEP_2) | instskip(NEXT) | instid1(VALU_DEP_2)
	v_ashrrev_i32_e32 v25, 31, v16
	v_ashrrev_i32_e32 v26, 31, v24
	s_delay_alu instid0(VALU_DEP_2) | instskip(NEXT) | instid1(VALU_DEP_2)
	v_or_b32_e32 v25, 0x80000000, v25
	v_or_b32_e32 v26, 0x80000000, v26
	s_delay_alu instid0(VALU_DEP_2) | instskip(NEXT) | instid1(VALU_DEP_2)
	v_xor_b32_e32 v16, v25, v16
	v_xor_b32_e32 v26, v26, v24
	v_dual_mov_b32 v24, v27 :: v_dual_mov_b32 v25, v28
	s_delay_alu instid0(VALU_DEP_2)
	v_cmpx_gt_u32_e64 v16, v26
; %bb.45:
	v_dual_mov_b32 v12, v52 :: v_dual_mov_b32 v13, v37
	v_dual_mov_b32 v25, v21 :: v_dual_mov_b32 v24, v20
	;; [unrolled: 1-line block ×3, first 2 shown]
	v_mov_b32_e32 v39, v37
	v_mov_b32_e32 v37, v52
; %bb.46:
	s_or_b32 exec_lo, exec_lo, s8
	v_add_f32_e32 v16, 0, v33
	v_add_f32_e32 v26, 0, v36
	s_delay_alu instid0(VALU_DEP_2) | instskip(NEXT) | instid1(VALU_DEP_2)
	v_ashrrev_i32_e32 v27, 31, v16
	v_ashrrev_i32_e32 v28, 31, v26
	s_delay_alu instid0(VALU_DEP_2) | instskip(NEXT) | instid1(VALU_DEP_2)
	v_or_b32_e32 v27, 0x80000000, v27
	v_or_b32_e32 v28, 0x80000000, v28
	s_delay_alu instid0(VALU_DEP_2) | instskip(NEXT) | instid1(VALU_DEP_2)
	v_xor_b32_e32 v16, v27, v16
	v_xor_b32_e32 v28, v28, v26
	v_dual_mov_b32 v26, v29 :: v_dual_mov_b32 v27, v30
	s_delay_alu instid0(VALU_DEP_2) | instskip(SKIP_1) | instid1(VALU_DEP_2)
	v_cmp_gt_u32_e64 s7, v16, v28
	v_mov_b32_e32 v16, v33
	s_and_saveexec_b32 s8, s7
; %bb.47:
	v_dual_mov_b32 v14, v33 :: v_dual_mov_b32 v15, v36
	v_dual_mov_b32 v26, v50 :: v_dual_mov_b32 v27, v51
	;; [unrolled: 1-line block ×3, first 2 shown]
	v_mov_b32_e32 v16, v36
	v_mov_b32_e32 v36, v33
; %bb.48:
	s_or_b32 exec_lo, exec_lo, s8
	v_dual_add_f32 v28, 0, v35 :: v_dual_add_f32 v29, 0, v17
	v_mov_b32_e32 v48, v35
	s_mov_b32 s8, exec_lo
	s_delay_alu instid0(VALU_DEP_2) | instskip(NEXT) | instid1(VALU_DEP_3)
	v_ashrrev_i32_e32 v30, 31, v28
	v_ashrrev_i32_e32 v33, 31, v29
	s_delay_alu instid0(VALU_DEP_2) | instskip(NEXT) | instid1(VALU_DEP_2)
	v_or_b32_e32 v30, 0x80000000, v30
	v_or_b32_e32 v33, 0x80000000, v33
	s_delay_alu instid0(VALU_DEP_2) | instskip(NEXT) | instid1(VALU_DEP_2)
	v_xor_b32_e32 v30, v30, v28
	v_xor_b32_e32 v33, v33, v29
	v_dual_mov_b32 v29, v19 :: v_dual_mov_b32 v28, v18
	s_delay_alu instid0(VALU_DEP_2)
	v_cmpx_gt_u32_e64 v30, v33
; %bb.49:
	v_dual_mov_b32 v9, v35 :: v_dual_mov_b32 v10, v17
	v_dual_mov_b32 v29, v23 :: v_dual_mov_b32 v28, v22
	;; [unrolled: 1-line block ×4, first 2 shown]
; %bb.50:
	s_or_b32 exec_lo, exec_lo, s8
	v_dual_add_f32 v18, 0, v37 :: v_dual_add_f32 v19, 0, v38
	v_mov_b32_e32 v49, v37
	s_mov_b32 s8, exec_lo
	s_delay_alu instid0(VALU_DEP_2) | instskip(NEXT) | instid1(VALU_DEP_3)
	v_ashrrev_i32_e32 v30, 31, v18
	v_ashrrev_i32_e32 v33, 31, v19
	s_delay_alu instid0(VALU_DEP_2) | instskip(NEXT) | instid1(VALU_DEP_2)
	v_or_b32_e32 v30, 0x80000000, v30
	v_or_b32_e32 v33, 0x80000000, v33
	s_delay_alu instid0(VALU_DEP_2) | instskip(NEXT) | instid1(VALU_DEP_2)
	v_xor_b32_e32 v30, v30, v18
	v_xor_b32_e32 v33, v33, v19
	v_dual_mov_b32 v18, v31 :: v_dual_mov_b32 v19, v32
	s_delay_alu instid0(VALU_DEP_2)
	v_cmpx_gt_u32_e64 v30, v33
; %bb.51:
	v_dual_mov_b32 v11, v37 :: v_dual_mov_b32 v12, v38
	v_dual_mov_b32 v18, v24 :: v_dual_mov_b32 v19, v25
	;; [unrolled: 1-line block ×4, first 2 shown]
; %bb.52:
	s_or_b32 exec_lo, exec_lo, s8
	v_dual_add_f32 v30, 0, v36 :: v_dual_add_f32 v31, 0, v39
	v_mov_b32_e32 v37, v36
	s_mov_b32 s8, exec_lo
	s_delay_alu instid0(VALU_DEP_2) | instskip(NEXT) | instid1(VALU_DEP_3)
	v_ashrrev_i32_e32 v32, 31, v30
	v_ashrrev_i32_e32 v33, 31, v31
	s_delay_alu instid0(VALU_DEP_2) | instskip(NEXT) | instid1(VALU_DEP_2)
	v_or_b32_e32 v32, 0x80000000, v32
	v_or_b32_e32 v33, 0x80000000, v33
	s_delay_alu instid0(VALU_DEP_2) | instskip(NEXT) | instid1(VALU_DEP_2)
	v_xor_b32_e32 v32, v32, v30
	v_xor_b32_e32 v33, v33, v31
	v_dual_mov_b32 v31, v21 :: v_dual_mov_b32 v30, v20
	s_delay_alu instid0(VALU_DEP_2)
	v_cmpx_gt_u32_e64 v32, v33
; %bb.53:
	v_dual_mov_b32 v13, v36 :: v_dual_mov_b32 v14, v39
	v_dual_mov_b32 v31, v27 :: v_dual_mov_b32 v30, v26
	v_dual_mov_b32 v27, v21 :: v_dual_mov_b32 v26, v20
	v_mov_b32_e32 v37, v39
	v_mov_b32_e32 v39, v36
; %bb.54:
	s_or_b32 exec_lo, exec_lo, s8
	v_dual_add_f32 v20, 0, v17 :: v_dual_add_f32 v21, 0, v34
	v_mov_b32_e32 v35, v34
	s_mov_b32 s8, exec_lo
	s_delay_alu instid0(VALU_DEP_2) | instskip(NEXT) | instid1(VALU_DEP_3)
	v_ashrrev_i32_e32 v32, 31, v20
	v_ashrrev_i32_e32 v33, 31, v21
	s_delay_alu instid0(VALU_DEP_2) | instskip(NEXT) | instid1(VALU_DEP_2)
	v_or_b32_e32 v32, 0x80000000, v32
	v_or_b32_e32 v33, 0x80000000, v33
	s_delay_alu instid0(VALU_DEP_2) | instskip(NEXT) | instid1(VALU_DEP_2)
	v_xor_b32_e32 v32, v32, v20
	v_xor_b32_e32 v33, v33, v21
	v_dual_mov_b32 v20, v22 :: v_dual_mov_b32 v21, v23
	s_delay_alu instid0(VALU_DEP_2)
	v_cmpx_gt_u32_e64 v32, v33
; %bb.55:
	v_dual_mov_b32 v8, v17 :: v_dual_mov_b32 v9, v34
	v_dual_mov_b32 v21, v5 :: v_dual_mov_b32 v20, v4
	v_dual_mov_b32 v4, v22 :: v_dual_mov_b32 v5, v23
	v_mov_b32_e32 v35, v17
	v_mov_b32_e32 v17, v34
	;; [unrolled: 23-line block ×3, first 2 shown]
; %bb.58:
	s_or_b32 exec_lo, exec_lo, s8
	v_dual_add_f32 v18, 0, v39 :: v_dual_add_f32 v19, 0, v49
	v_mov_b32_e32 v38, v39
	s_mov_b32 s8, exec_lo
	s_delay_alu instid0(VALU_DEP_2) | instskip(NEXT) | instid1(VALU_DEP_3)
	v_ashrrev_i32_e32 v22, 31, v18
	v_ashrrev_i32_e32 v23, 31, v19
	s_delay_alu instid0(VALU_DEP_2) | instskip(NEXT) | instid1(VALU_DEP_2)
	v_or_b32_e32 v22, 0x80000000, v22
	v_or_b32_e32 v23, 0x80000000, v23
	s_delay_alu instid0(VALU_DEP_2) | instskip(NEXT) | instid1(VALU_DEP_2)
	v_xor_b32_e32 v18, v22, v18
	v_xor_b32_e32 v19, v23, v19
	v_dual_mov_b32 v22, v24 :: v_dual_mov_b32 v23, v25
	s_delay_alu instid0(VALU_DEP_2)
	v_cmpx_gt_u32_e64 v18, v19
; %bb.59:
	v_dual_mov_b32 v12, v39 :: v_dual_mov_b32 v13, v49
	v_dual_mov_b32 v22, v30 :: v_dual_mov_b32 v23, v31
	;; [unrolled: 1-line block ×4, first 2 shown]
; %bb.60:
	s_or_b32 exec_lo, exec_lo, s8
	v_dual_add_f32 v18, 0, v16 :: v_dual_add_f32 v19, 0, v37
	v_mov_b32_e32 v34, v16
	s_mov_b32 s8, exec_lo
	s_delay_alu instid0(VALU_DEP_2) | instskip(NEXT) | instid1(VALU_DEP_3)
	v_ashrrev_i32_e32 v24, 31, v18
	v_ashrrev_i32_e32 v25, 31, v19
	s_delay_alu instid0(VALU_DEP_2) | instskip(NEXT) | instid1(VALU_DEP_2)
	v_or_b32_e32 v24, 0x80000000, v24
	v_or_b32_e32 v25, 0x80000000, v25
	s_delay_alu instid0(VALU_DEP_2) | instskip(NEXT) | instid1(VALU_DEP_2)
	v_xor_b32_e32 v18, v24, v18
	v_xor_b32_e32 v19, v25, v19
	v_dual_mov_b32 v24, v26 :: v_dual_mov_b32 v25, v27
	s_delay_alu instid0(VALU_DEP_2)
	v_cmpx_gt_u32_e64 v18, v19
; %bb.61:
	v_dual_mov_b32 v14, v16 :: v_dual_mov_b32 v15, v37
	v_dual_mov_b32 v24, v50 :: v_dual_mov_b32 v25, v51
	;; [unrolled: 1-line block ×4, first 2 shown]
; %bb.62:
	s_or_b32 exec_lo, exec_lo, s8
	v_add_f32_e32 v16, 0, v48
	v_add_f32_e32 v18, 0, v17
	v_mov_b32_e32 v36, v48
	s_mov_b32 s8, exec_lo
	s_delay_alu instid0(VALU_DEP_3) | instskip(NEXT) | instid1(VALU_DEP_3)
	v_ashrrev_i32_e32 v19, 31, v16
	v_ashrrev_i32_e32 v26, 31, v18
	s_delay_alu instid0(VALU_DEP_2) | instskip(NEXT) | instid1(VALU_DEP_2)
	v_or_b32_e32 v19, 0x80000000, v19
	v_or_b32_e32 v26, 0x80000000, v26
	s_delay_alu instid0(VALU_DEP_2) | instskip(NEXT) | instid1(VALU_DEP_2)
	v_xor_b32_e32 v16, v19, v16
	v_xor_b32_e32 v26, v26, v18
	v_dual_mov_b32 v18, v28 :: v_dual_mov_b32 v19, v29
	s_delay_alu instid0(VALU_DEP_2)
	v_cmpx_gt_u32_e64 v16, v26
; %bb.63:
	v_dual_mov_b32 v9, v48 :: v_dual_mov_b32 v10, v17
	v_dual_mov_b32 v18, v20 :: v_dual_mov_b32 v19, v21
	;; [unrolled: 1-line block ×4, first 2 shown]
; %bb.64:
	s_or_b32 exec_lo, exec_lo, s8
	v_dual_add_f32 v26, 0, v52 :: v_dual_mov_b32 v39, v49
	v_add_f32_e32 v16, 0, v49
	s_mov_b32 s8, exec_lo
	s_delay_alu instid0(VALU_DEP_2) | instskip(NEXT) | instid1(VALU_DEP_1)
	v_ashrrev_i32_e32 v28, 31, v26
	v_or_b32_e32 v28, 0x80000000, v28
	s_delay_alu instid0(VALU_DEP_1) | instskip(SKIP_2) | instid1(VALU_DEP_1)
	v_xor_b32_e32 v26, v28, v26
	v_dual_mov_b32 v28, v32 :: v_dual_mov_b32 v29, v33
	v_ashrrev_i32_e32 v27, 31, v16
	v_or_b32_e32 v27, 0x80000000, v27
	s_delay_alu instid0(VALU_DEP_1) | instskip(NEXT) | instid1(VALU_DEP_1)
	v_xor_b32_e32 v16, v27, v16
	v_cmpx_gt_u32_e64 v16, v26
; %bb.65:
	v_dual_mov_b32 v11, v49 :: v_dual_mov_b32 v12, v52
	v_dual_mov_b32 v29, v23 :: v_dual_mov_b32 v28, v22
	;; [unrolled: 1-line block ×4, first 2 shown]
; %bb.66:
	s_or_b32 exec_lo, exec_lo, s8
	v_dual_add_f32 v16, 0, v37 :: v_dual_mov_b32 v67, v31
	v_add_f32_e32 v26, 0, v38
	v_mov_b32_e32 v66, v30
	s_mov_b32 s8, exec_lo
	s_delay_alu instid0(VALU_DEP_3) | instskip(NEXT) | instid1(VALU_DEP_3)
	v_ashrrev_i32_e32 v27, 31, v16
	v_ashrrev_i32_e32 v32, 31, v26
	s_delay_alu instid0(VALU_DEP_2) | instskip(NEXT) | instid1(VALU_DEP_2)
	v_or_b32_e32 v27, 0x80000000, v27
	v_or_b32_e32 v32, 0x80000000, v32
	s_delay_alu instid0(VALU_DEP_2) | instskip(NEXT) | instid1(VALU_DEP_2)
	v_xor_b32_e32 v16, v27, v16
	v_xor_b32_e32 v26, v32, v26
	v_mov_b32_e32 v32, v37
	s_delay_alu instid0(VALU_DEP_2)
	v_cmpx_gt_u32_e64 v16, v26
; %bb.67:
	v_dual_mov_b32 v13, v37 :: v_dual_mov_b32 v14, v38
	v_dual_mov_b32 v67, v25 :: v_dual_mov_b32 v66, v24
	;; [unrolled: 1-line block ×3, first 2 shown]
	v_mov_b32_e32 v32, v38
	v_mov_b32_e32 v38, v37
; %bb.68:
	s_or_b32 exec_lo, exec_lo, s8
	v_add_f32_e32 v16, 0, v17
	v_add_f32_e32 v26, 0, v35
	s_delay_alu instid0(VALU_DEP_2) | instskip(NEXT) | instid1(VALU_DEP_2)
	v_ashrrev_i32_e32 v27, 31, v16
	v_ashrrev_i32_e32 v30, 31, v26
	s_delay_alu instid0(VALU_DEP_2) | instskip(NEXT) | instid1(VALU_DEP_2)
	v_or_b32_e32 v27, 0x80000000, v27
	v_or_b32_e32 v30, 0x80000000, v30
	s_delay_alu instid0(VALU_DEP_2) | instskip(NEXT) | instid1(VALU_DEP_2)
	v_xor_b32_e32 v16, v27, v16
	v_xor_b32_e32 v30, v30, v26
	v_dual_mov_b32 v27, v21 :: v_dual_mov_b32 v26, v20
	s_delay_alu instid0(VALU_DEP_2) | instskip(SKIP_1) | instid1(VALU_DEP_2)
	v_cmp_gt_u32_e64 s7, v16, v30
	v_mov_b32_e32 v16, v35
	s_and_saveexec_b32 s8, s7
; %bb.69:
	v_dual_mov_b32 v8, v17 :: v_dual_mov_b32 v9, v35
	v_dual_mov_b32 v27, v5 :: v_dual_mov_b32 v26, v4
	;; [unrolled: 1-line block ×4, first 2 shown]
; %bb.70:
	s_or_b32 exec_lo, exec_lo, s8
	v_add_f32_e32 v20, 0, v52
	v_add_f32_e32 v21, 0, v36
	s_delay_alu instid0(VALU_DEP_2) | instskip(NEXT) | instid1(VALU_DEP_2)
	v_ashrrev_i32_e32 v30, 31, v20
	v_ashrrev_i32_e32 v31, 31, v21
	s_delay_alu instid0(VALU_DEP_2) | instskip(NEXT) | instid1(VALU_DEP_2)
	v_or_b32_e32 v30, 0x80000000, v30
	v_or_b32_e32 v31, 0x80000000, v31
	s_delay_alu instid0(VALU_DEP_2) | instskip(NEXT) | instid1(VALU_DEP_2)
	v_xor_b32_e32 v30, v30, v20
	v_xor_b32_e32 v31, v31, v21
	v_dual_mov_b32 v20, v28 :: v_dual_mov_b32 v21, v29
	s_delay_alu instid0(VALU_DEP_2) | instskip(SKIP_1) | instid1(VALU_DEP_2)
	v_cmp_gt_u32_e64 s7, v30, v31
	v_mov_b32_e32 v30, v52
	s_and_saveexec_b32 s8, s7
; %bb.71:
	v_dual_mov_b32 v10, v52 :: v_dual_mov_b32 v21, v19
	v_dual_mov_b32 v11, v36 :: v_dual_mov_b32 v20, v18
	;; [unrolled: 1-line block ×3, first 2 shown]
	v_mov_b32_e32 v30, v36
	v_mov_b32_e32 v36, v52
; %bb.72:
	s_or_b32 exec_lo, exec_lo, s8
	v_dual_add_f32 v28, 0, v38 :: v_dual_add_f32 v29, 0, v39
	s_delay_alu instid0(VALU_DEP_1) | instskip(NEXT) | instid1(VALU_DEP_2)
	v_ashrrev_i32_e32 v31, 31, v28
	v_ashrrev_i32_e32 v33, 31, v29
	s_delay_alu instid0(VALU_DEP_2) | instskip(NEXT) | instid1(VALU_DEP_2)
	v_or_b32_e32 v31, 0x80000000, v31
	v_or_b32_e32 v33, 0x80000000, v33
	s_delay_alu instid0(VALU_DEP_2) | instskip(NEXT) | instid1(VALU_DEP_2)
	v_xor_b32_e32 v31, v31, v28
	v_xor_b32_e32 v33, v33, v29
	v_dual_mov_b32 v29, v23 :: v_dual_mov_b32 v28, v22
	s_delay_alu instid0(VALU_DEP_2) | instskip(SKIP_1) | instid1(VALU_DEP_2)
	v_cmp_gt_u32_e64 s7, v31, v33
	v_mov_b32_e32 v31, v38
	s_and_saveexec_b32 s8, s7
; %bb.73:
	v_dual_mov_b32 v12, v38 :: v_dual_mov_b32 v13, v39
	v_dual_mov_b32 v28, v66 :: v_dual_mov_b32 v29, v67
	;; [unrolled: 1-line block ×3, first 2 shown]
	v_mov_b32_e32 v31, v39
	v_mov_b32_e32 v39, v38
; %bb.74:
	s_or_b32 exec_lo, exec_lo, s8
	v_dual_add_f32 v22, 0, v34 :: v_dual_add_f32 v23, 0, v32
	s_mov_b32 s8, exec_lo
	s_delay_alu instid0(VALU_DEP_1) | instskip(NEXT) | instid1(VALU_DEP_2)
	v_ashrrev_i32_e32 v33, 31, v22
	v_ashrrev_i32_e32 v35, 31, v23
	s_delay_alu instid0(VALU_DEP_2) | instskip(NEXT) | instid1(VALU_DEP_2)
	v_or_b32_e32 v33, 0x80000000, v33
	v_or_b32_e32 v37, 0x80000000, v35
	s_delay_alu instid0(VALU_DEP_2) | instskip(NEXT) | instid1(VALU_DEP_2)
	v_xor_b32_e32 v35, v33, v22
	v_xor_b32_e32 v33, v37, v23
	v_dual_mov_b32 v22, v24 :: v_dual_mov_b32 v23, v25
	s_delay_alu instid0(VALU_DEP_2)
	v_cmpx_gt_u32_e64 v35, v33
; %bb.75:
	v_dual_mov_b32 v33, v35 :: v_dual_mov_b32 v22, v50
	v_mov_b32_e32 v23, v51
	v_dual_mov_b32 v51, v25 :: v_dual_mov_b32 v14, v34
	v_mov_b32_e32 v15, v32
	v_mov_b32_e32 v50, v24
	;; [unrolled: 1-line block ×3, first 2 shown]
; %bb.76:
	s_or_b32 exec_lo, exec_lo, s8
	v_dual_add_f32 v24, 0, v36 :: v_dual_add_f32 v25, 0, v17
	v_dual_add_f32 v37, 0, v39 :: v_dual_add_f32 v38, 0, v30
	v_add_f32_e32 v64, 0, v31
	s_delay_alu instid0(VALU_DEP_3) | instskip(NEXT) | instid1(VALU_DEP_4)
	v_ashrrev_i32_e32 v34, 31, v24
	v_ashrrev_i32_e32 v35, 31, v25
	s_delay_alu instid0(VALU_DEP_4) | instskip(SKIP_1) | instid1(VALU_DEP_4)
	v_ashrrev_i32_e32 v48, 31, v37
	v_ashrrev_i32_e32 v49, 31, v38
	v_or_b32_e32 v34, 0x80000000, v34
	s_delay_alu instid0(VALU_DEP_4) | instskip(NEXT) | instid1(VALU_DEP_2)
	v_or_b32_e32 v35, 0x80000000, v35
	v_xor_b32_e32 v24, v34, v24
	s_delay_alu instid0(VALU_DEP_2) | instskip(SKIP_3) | instid1(VALU_DEP_4)
	v_xor_b32_e32 v25, v35, v25
	v_or_b32_e32 v34, 0x80000000, v48
	v_or_b32_e32 v35, 0x80000000, v49
	v_ashrrev_i32_e32 v48, 31, v64
	v_cmp_gt_u32_e64 s7, v24, v25
	s_delay_alu instid0(VALU_DEP_4) | instskip(NEXT) | instid1(VALU_DEP_4)
	v_xor_b32_e32 v24, v34, v37
	v_xor_b32_e32 v25, v35, v38
	s_delay_alu instid0(VALU_DEP_4) | instskip(NEXT) | instid1(VALU_DEP_4)
	v_or_b32_e32 v37, 0x80000000, v48
	v_cndmask_b32_e64 v69, v19, v27, s7
	v_cndmask_b32_e64 v68, v18, v26, s7
	s_delay_alu instid0(VALU_DEP_4)
	v_cmp_gt_u32_e64 s8, v24, v25
	v_cndmask_b32_e64 v35, v27, v19, s7
	v_cndmask_b32_e64 v34, v26, v18, s7
	;; [unrolled: 1-line block ×6, first 2 shown]
	v_xor_b32_e32 v17, v37, v64
	v_cndmask_b32_e64 v71, v29, v21, s8
	v_cndmask_b32_e64 v70, v28, v20, s8
	;; [unrolled: 1-line block ×4, first 2 shown]
	v_dual_mov_b32 v65, v23 :: v_dual_mov_b32 v64, v22
	s_mov_b32 s8, exec_lo
	v_cmpx_gt_u32_e64 v33, v17
; %bb.77:
	v_dual_mov_b32 v13, v32 :: v_dual_mov_b32 v14, v31
	v_dual_mov_b32 v64, v66 :: v_dual_mov_b32 v65, v67
	;; [unrolled: 1-line block ×3, first 2 shown]
; %bb.78:
	s_or_b32 exec_lo, exec_lo, s8
.LBB1342_79:
	s_delay_alu instid0(SALU_CYCLE_1) | instskip(SKIP_4) | instid1(VALU_DEP_4)
	s_or_b32 exec_lo, exec_lo, s9
	v_dual_mov_b32 v30, v11 :: v_dual_and_b32 v17, 0xffffff00, v86
	v_or_b32_e32 v18, 8, v85
	v_and_b32_e32 v25, 8, v85
	v_and_b32_e32 v26, 0xf0, v85
	v_sub_nc_u32_e64 v21, 0x800, v17 clamp
	v_lshlrev_b32_e32 v19, 2, v17
	v_mov_b32_e32 v17, v9
	s_mov_b32 s8, exec_lo
	s_delay_alu instid0(VALU_DEP_3) | instskip(NEXT) | instid1(VALU_DEP_3)
	v_min_u32_e32 v23, v21, v18
	v_dual_mov_b32 v29, v10 :: v_dual_add_nc_u32 v18, v19, v19
	v_lshl_or_b32 v22, v85, 2, v19
	v_min_u32_e32 v27, v21, v25
	s_delay_alu instid0(VALU_DEP_4) | instskip(NEXT) | instid1(VALU_DEP_4)
	v_add_nc_u32_e32 v20, 8, v23
	v_lshl_add_u32 v31, v85, 3, v18
	v_sub_nc_u32_e32 v32, v23, v26
	s_delay_alu instid0(VALU_DEP_3) | instskip(NEXT) | instid1(VALU_DEP_3)
	v_min_u32_e32 v24, v21, v20
	v_add_nc_u32_e32 v20, 0x2000, v31
	v_add_nc_u32_e32 v25, 0x2010, v31
	;; [unrolled: 1-line block ×4, first 2 shown]
	v_sub_nc_u32_e32 v28, v24, v23
	ds_store_2addr_b64 v20, v[4:5], v[34:35] offset1:1
	ds_store_2addr_b64 v25, v[68:69], v[52:53] offset1:1
	;; [unrolled: 1-line block ×3, first 2 shown]
	ds_store_2addr_b64 v22, v[12:13], v[14:15] offset0:2 offset1:3
	v_lshl_or_b32 v16, v26, 2, v19
	ds_store_2addr_b64 v33, v[70:71], v[66:67] offset1:1
	ds_store_2addr_b64 v31, v[64:65], v[50:51] offset1:1
	v_sub_nc_u32_e64 v25, v27, v28 clamp
	v_min_u32_e32 v28, v27, v32
	; wave barrier
	s_delay_alu instid0(VALU_DEP_1)
	v_cmpx_lt_u32_e64 v25, v28
	s_cbranch_execz .LBB1342_83
; %bb.80:
	v_lshlrev_b32_e32 v17, 2, v23
	v_lshlrev_b32_e32 v29, 2, v27
	s_mov_b32 s9, 0
	s_delay_alu instid0(VALU_DEP_1)
	v_add3_u32 v17, v19, v17, v29
	s_set_inst_prefetch_distance 0x1
	.p2align	6
.LBB1342_81:                            ; =>This Inner Loop Header: Depth=1
	v_add_nc_u32_e32 v29, v28, v25
	s_delay_alu instid0(VALU_DEP_1) | instskip(NEXT) | instid1(VALU_DEP_1)
	v_lshrrev_b32_e32 v29, 1, v29
	v_not_b32_e32 v30, v29
	v_lshl_add_u32 v31, v29, 2, v16
	s_delay_alu instid0(VALU_DEP_2) | instskip(SKIP_4) | instid1(VALU_DEP_1)
	v_lshl_add_u32 v30, v30, 2, v17
	ds_load_b32 v31, v31
	ds_load_b32 v30, v30
	s_waitcnt lgkmcnt(0)
	v_dual_add_f32 v31, 0, v31 :: v_dual_add_f32 v30, 0, v30
	v_ashrrev_i32_e32 v32, 31, v31
	s_delay_alu instid0(VALU_DEP_2) | instskip(NEXT) | instid1(VALU_DEP_2)
	v_ashrrev_i32_e32 v33, 31, v30
	v_or_b32_e32 v32, 0x80000000, v32
	s_delay_alu instid0(VALU_DEP_2) | instskip(NEXT) | instid1(VALU_DEP_2)
	v_or_b32_e32 v33, 0x80000000, v33
	v_xor_b32_e32 v31, v32, v31
	v_add_nc_u32_e32 v32, 1, v29
	s_delay_alu instid0(VALU_DEP_3) | instskip(NEXT) | instid1(VALU_DEP_1)
	v_xor_b32_e32 v30, v33, v30
	v_cmp_gt_u32_e64 s7, v30, v31
	s_delay_alu instid0(VALU_DEP_1) | instskip(NEXT) | instid1(VALU_DEP_4)
	v_cndmask_b32_e64 v28, v28, v29, s7
	v_cndmask_b32_e64 v25, v32, v25, s7
	s_delay_alu instid0(VALU_DEP_1) | instskip(NEXT) | instid1(VALU_DEP_1)
	v_cmp_ge_u32_e64 s7, v25, v28
	s_or_b32 s9, s7, s9
	s_delay_alu instid0(SALU_CYCLE_1)
	s_and_not1_b32 exec_lo, exec_lo, s9
	s_cbranch_execnz .LBB1342_81
; %bb.82:
	s_set_inst_prefetch_distance 0x2
	s_or_b32 exec_lo, exec_lo, s9
.LBB1342_83:
	s_delay_alu instid0(SALU_CYCLE_1) | instskip(SKIP_2) | instid1(VALU_DEP_2)
	s_or_b32 exec_lo, exec_lo, s8
	v_add_nc_u32_e32 v27, v23, v27
	v_add_nc_u32_e32 v17, v25, v26
	v_sub_nc_u32_e32 v26, v27, v25
	s_delay_alu instid0(VALU_DEP_2) | instskip(NEXT) | instid1(VALU_DEP_2)
	v_cmp_le_u32_e64 s7, v17, v23
	v_cmp_le_u32_e64 s8, v26, v24
	s_delay_alu instid0(VALU_DEP_1) | instskip(NEXT) | instid1(SALU_CYCLE_1)
	s_or_b32 s7, s7, s8
	s_and_saveexec_b32 s9, s7
	s_cbranch_execz .LBB1342_119
; %bb.84:
	v_cmp_ge_u32_e64 s7, v17, v23
	s_mov_b32 s10, exec_lo
                                        ; implicit-def: $vgpr8
	v_cmpx_lt_u32_e64 v17, v23
	s_cbranch_execz .LBB1342_86
; %bb.85:
	v_lshl_add_u32 v4, v25, 2, v16
	ds_load_b32 v8, v4
.LBB1342_86:
	s_or_b32 exec_lo, exec_lo, s10
	v_cmp_ge_u32_e64 s10, v26, v24
	s_mov_b32 s11, exec_lo
                                        ; implicit-def: $vgpr9
	v_cmpx_lt_u32_e64 v26, v24
	s_cbranch_execz .LBB1342_88
; %bb.87:
	v_lshl_add_u32 v4, v26, 2, v19
	ds_load_b32 v9, v4
.LBB1342_88:
	s_or_b32 exec_lo, exec_lo, s11
	s_or_b32 s7, s7, s10
	s_mov_b32 s8, -1
	s_xor_b32 s7, s7, -1
	s_delay_alu instid0(SALU_CYCLE_1)
	s_and_saveexec_b32 s11, s7
	s_cbranch_execz .LBB1342_90
; %bb.89:
	s_waitcnt lgkmcnt(0)
	v_dual_add_f32 v4, 0, v9 :: v_dual_add_f32 v5, 0, v8
	s_and_not1_b32 s10, s10, exec_lo
	s_delay_alu instid0(VALU_DEP_1) | instskip(NEXT) | instid1(VALU_DEP_2)
	v_ashrrev_i32_e32 v10, 31, v4
	v_ashrrev_i32_e32 v11, 31, v5
	s_delay_alu instid0(VALU_DEP_2) | instskip(NEXT) | instid1(VALU_DEP_2)
	v_or_b32_e32 v10, 0x80000000, v10
	v_or_b32_e32 v11, 0x80000000, v11
	s_delay_alu instid0(VALU_DEP_2) | instskip(NEXT) | instid1(VALU_DEP_2)
	v_xor_b32_e32 v4, v10, v4
	v_xor_b32_e32 v5, v11, v5
	s_delay_alu instid0(VALU_DEP_1) | instskip(NEXT) | instid1(VALU_DEP_1)
	v_cmp_le_u32_e64 s7, v4, v5
	s_and_b32 s7, s7, exec_lo
	s_delay_alu instid0(SALU_CYCLE_1)
	s_or_b32 s10, s10, s7
.LBB1342_90:
	s_or_b32 exec_lo, exec_lo, s11
	v_cndmask_b32_e64 v4, v26, v17, s10
	v_cndmask_b32_e64 v5, v24, v23, s10
	s_mov_b32 s11, exec_lo
	s_delay_alu instid0(VALU_DEP_2) | instskip(NEXT) | instid1(VALU_DEP_2)
	v_add_nc_u32_e32 v10, 1, v4
	v_add_nc_u32_e32 v5, -1, v5
	v_lshl_add_u32 v4, v4, 3, v18
	s_delay_alu instid0(VALU_DEP_3) | instskip(NEXT) | instid1(VALU_DEP_3)
	v_cndmask_b32_e64 v12, v10, v26, s10
	v_min_u32_e32 v5, v10, v5
	v_cndmask_b32_e64 v13, v17, v10, s10
	s_delay_alu instid0(VALU_DEP_2)
	v_lshl_add_u32 v5, v5, 2, v19
	ds_load_b32 v11, v5
	ds_load_b64 v[4:5], v4 offset:8192
	s_waitcnt lgkmcnt(1)
	v_cndmask_b32_e64 v10, v11, v9, s10
	v_cndmask_b32_e64 v11, v8, v11, s10
	v_cmpx_lt_u32_e64 v12, v24
	s_cbranch_execz .LBB1342_94
; %bb.91:
	s_mov_b32 s12, 0
	s_mov_b32 s8, exec_lo
	v_cmpx_lt_u32_e64 v13, v23
; %bb.92:
	v_dual_add_f32 v14, 0, v10 :: v_dual_add_f32 v15, 0, v11
	s_delay_alu instid0(VALU_DEP_1) | instskip(NEXT) | instid1(VALU_DEP_2)
	v_ashrrev_i32_e32 v16, 31, v14
	v_ashrrev_i32_e32 v17, 31, v15
	s_delay_alu instid0(VALU_DEP_2) | instskip(NEXT) | instid1(VALU_DEP_2)
	v_or_b32_e32 v16, 0x80000000, v16
	v_or_b32_e32 v17, 0x80000000, v17
	s_delay_alu instid0(VALU_DEP_2) | instskip(NEXT) | instid1(VALU_DEP_2)
	v_xor_b32_e32 v14, v16, v14
	v_xor_b32_e32 v15, v17, v15
	s_delay_alu instid0(VALU_DEP_1) | instskip(NEXT) | instid1(VALU_DEP_1)
	v_cmp_le_u32_e64 s7, v14, v15
	s_and_b32 s12, s7, exec_lo
; %bb.93:
	s_or_b32 exec_lo, exec_lo, s8
	s_delay_alu instid0(SALU_CYCLE_1)
	s_or_not1_b32 s8, s12, exec_lo
.LBB1342_94:
	s_or_b32 exec_lo, exec_lo, s11
	v_cndmask_b32_e64 v14, v12, v13, s8
	v_cndmask_b32_e64 v15, v24, v23, s8
	s_mov_b32 s11, -1
	s_mov_b32 s12, -1
	s_mov_b32 s13, exec_lo
	v_add_nc_u32_e32 v16, 1, v14
	v_add_nc_u32_e32 v15, -1, v15
	v_lshl_add_u32 v14, v14, 3, v18
	s_delay_alu instid0(VALU_DEP_2)
	v_min_u32_e32 v15, v16, v15
	ds_load_b64 v[34:35], v14 offset:8192
	v_cndmask_b32_e64 v14, v16, v12, s8
	v_lshl_add_u32 v15, v15, 2, v19
	ds_load_b32 v17, v15
	v_cndmask_b32_e64 v15, v13, v16, s8
	s_waitcnt lgkmcnt(0)
	v_cndmask_b32_e64 v12, v17, v10, s8
	v_cndmask_b32_e64 v13, v11, v17, s8
	v_cmpx_lt_u32_e64 v14, v24
	s_cbranch_execz .LBB1342_98
; %bb.95:
	s_mov_b32 s14, 0
	s_mov_b32 s12, exec_lo
	v_cmpx_lt_u32_e64 v15, v23
; %bb.96:
	v_dual_add_f32 v16, 0, v12 :: v_dual_add_f32 v17, 0, v13
	s_delay_alu instid0(VALU_DEP_1) | instskip(NEXT) | instid1(VALU_DEP_2)
	v_ashrrev_i32_e32 v25, 31, v16
	v_ashrrev_i32_e32 v26, 31, v17
	s_delay_alu instid0(VALU_DEP_2) | instskip(NEXT) | instid1(VALU_DEP_2)
	v_or_b32_e32 v25, 0x80000000, v25
	v_or_b32_e32 v26, 0x80000000, v26
	s_delay_alu instid0(VALU_DEP_2) | instskip(NEXT) | instid1(VALU_DEP_2)
	v_xor_b32_e32 v16, v25, v16
	v_xor_b32_e32 v17, v26, v17
	s_delay_alu instid0(VALU_DEP_1) | instskip(NEXT) | instid1(VALU_DEP_1)
	v_cmp_le_u32_e64 s7, v16, v17
	s_and_b32 s14, s7, exec_lo
; %bb.97:
	s_or_b32 exec_lo, exec_lo, s12
	s_delay_alu instid0(SALU_CYCLE_1)
	s_or_not1_b32 s12, s14, exec_lo
.LBB1342_98:
	s_or_b32 exec_lo, exec_lo, s13
	v_cndmask_b32_e64 v16, v14, v15, s12
	v_cndmask_b32_e64 v17, v24, v23, s12
	s_mov_b32 s13, exec_lo
	s_delay_alu instid0(VALU_DEP_2) | instskip(NEXT) | instid1(VALU_DEP_2)
	v_add_nc_u32_e32 v25, 1, v16
	v_add_nc_u32_e32 v17, -1, v17
	v_lshl_add_u32 v16, v16, 3, v18
	s_delay_alu instid0(VALU_DEP_2)
	v_min_u32_e32 v17, v25, v17
	ds_load_b64 v[68:69], v16 offset:8192
	v_cndmask_b32_e64 v16, v25, v14, s12
	v_lshl_add_u32 v17, v17, 2, v19
	ds_load_b32 v26, v17
	v_cndmask_b32_e64 v17, v15, v25, s12
	s_waitcnt lgkmcnt(0)
	v_cndmask_b32_e64 v14, v26, v12, s12
	v_cndmask_b32_e64 v15, v13, v26, s12
	v_cmpx_lt_u32_e64 v16, v24
	s_cbranch_execz .LBB1342_102
; %bb.99:
	s_mov_b32 s14, 0
	s_mov_b32 s11, exec_lo
	v_cmpx_lt_u32_e64 v17, v23
; %bb.100:
	v_dual_add_f32 v25, 0, v14 :: v_dual_add_f32 v26, 0, v15
	s_delay_alu instid0(VALU_DEP_1) | instskip(NEXT) | instid1(VALU_DEP_2)
	v_ashrrev_i32_e32 v27, 31, v25
	v_ashrrev_i32_e32 v28, 31, v26
	s_delay_alu instid0(VALU_DEP_2) | instskip(NEXT) | instid1(VALU_DEP_2)
	v_or_b32_e32 v27, 0x80000000, v27
	v_or_b32_e32 v28, 0x80000000, v28
	s_delay_alu instid0(VALU_DEP_2) | instskip(NEXT) | instid1(VALU_DEP_2)
	v_xor_b32_e32 v25, v27, v25
	v_xor_b32_e32 v26, v28, v26
	s_delay_alu instid0(VALU_DEP_1) | instskip(NEXT) | instid1(VALU_DEP_1)
	v_cmp_le_u32_e64 s7, v25, v26
	s_and_b32 s14, s7, exec_lo
; %bb.101:
	s_or_b32 exec_lo, exec_lo, s11
	s_delay_alu instid0(SALU_CYCLE_1)
	s_or_not1_b32 s11, s14, exec_lo
.LBB1342_102:
	s_or_b32 exec_lo, exec_lo, s13
	v_cndmask_b32_e64 v25, v16, v17, s11
	v_cndmask_b32_e64 v26, v24, v23, s11
	s_mov_b32 s13, -1
	s_mov_b32 s14, -1
	s_mov_b32 s15, exec_lo
	v_add_nc_u32_e32 v27, 1, v25
	v_add_nc_u32_e32 v26, -1, v26
	v_lshl_add_u32 v25, v25, 3, v18
	s_delay_alu instid0(VALU_DEP_2)
	v_min_u32_e32 v26, v27, v26
	ds_load_b64 v[52:53], v25 offset:8192
	v_cndmask_b32_e64 v25, v27, v16, s11
	v_lshl_add_u32 v26, v26, 2, v19
	ds_load_b32 v28, v26
	v_cndmask_b32_e64 v26, v17, v27, s11
	s_waitcnt lgkmcnt(0)
	v_cndmask_b32_e64 v16, v28, v14, s11
	v_cndmask_b32_e64 v17, v15, v28, s11
	v_cmpx_lt_u32_e64 v25, v24
	s_cbranch_execz .LBB1342_106
; %bb.103:
	s_mov_b32 s16, 0
	s_mov_b32 s14, exec_lo
	v_cmpx_lt_u32_e64 v26, v23
; %bb.104:
	v_dual_add_f32 v27, 0, v16 :: v_dual_add_f32 v28, 0, v17
	s_delay_alu instid0(VALU_DEP_1) | instskip(NEXT) | instid1(VALU_DEP_2)
	v_ashrrev_i32_e32 v29, 31, v27
	v_ashrrev_i32_e32 v30, 31, v28
	s_delay_alu instid0(VALU_DEP_2) | instskip(NEXT) | instid1(VALU_DEP_2)
	v_or_b32_e32 v29, 0x80000000, v29
	v_or_b32_e32 v30, 0x80000000, v30
	s_delay_alu instid0(VALU_DEP_2) | instskip(NEXT) | instid1(VALU_DEP_2)
	v_xor_b32_e32 v27, v29, v27
	v_xor_b32_e32 v28, v30, v28
	s_delay_alu instid0(VALU_DEP_1) | instskip(NEXT) | instid1(VALU_DEP_1)
	v_cmp_le_u32_e64 s7, v27, v28
	s_and_b32 s16, s7, exec_lo
; %bb.105:
	s_or_b32 exec_lo, exec_lo, s14
	s_delay_alu instid0(SALU_CYCLE_1)
	s_or_not1_b32 s14, s16, exec_lo
.LBB1342_106:
	s_or_b32 exec_lo, exec_lo, s15
	v_cndmask_b32_e64 v27, v25, v26, s14
	v_cndmask_b32_e64 v28, v24, v23, s14
	s_mov_b32 s15, exec_lo
	s_delay_alu instid0(VALU_DEP_2) | instskip(NEXT) | instid1(VALU_DEP_2)
	v_add_nc_u32_e32 v29, 1, v27
	v_add_nc_u32_e32 v28, -1, v28
	v_lshl_add_u32 v27, v27, 3, v18
	s_delay_alu instid0(VALU_DEP_2)
	v_min_u32_e32 v28, v29, v28
	ds_load_b64 v[70:71], v27 offset:8192
	v_cndmask_b32_e64 v27, v29, v25, s14
	v_lshl_add_u32 v28, v28, 2, v19
	ds_load_b32 v30, v28
	v_cndmask_b32_e64 v28, v26, v29, s14
	s_waitcnt lgkmcnt(0)
	v_cndmask_b32_e64 v25, v30, v16, s14
	v_cndmask_b32_e64 v26, v17, v30, s14
	v_cmpx_lt_u32_e64 v27, v24
	s_cbranch_execz .LBB1342_110
; %bb.107:
	s_mov_b32 s16, 0
	s_mov_b32 s13, exec_lo
	v_cmpx_lt_u32_e64 v28, v23
; %bb.108:
	v_dual_add_f32 v29, 0, v25 :: v_dual_add_f32 v30, 0, v26
	s_delay_alu instid0(VALU_DEP_1) | instskip(NEXT) | instid1(VALU_DEP_2)
	v_ashrrev_i32_e32 v31, 31, v29
	v_ashrrev_i32_e32 v32, 31, v30
	s_delay_alu instid0(VALU_DEP_2) | instskip(NEXT) | instid1(VALU_DEP_2)
	v_or_b32_e32 v31, 0x80000000, v31
	v_or_b32_e32 v32, 0x80000000, v32
	s_delay_alu instid0(VALU_DEP_2) | instskip(NEXT) | instid1(VALU_DEP_2)
	v_xor_b32_e32 v29, v31, v29
	v_xor_b32_e32 v30, v32, v30
	s_delay_alu instid0(VALU_DEP_1) | instskip(NEXT) | instid1(VALU_DEP_1)
	v_cmp_le_u32_e64 s7, v29, v30
	s_and_b32 s16, s7, exec_lo
; %bb.109:
	s_or_b32 exec_lo, exec_lo, s13
	s_delay_alu instid0(SALU_CYCLE_1)
	s_or_not1_b32 s13, s16, exec_lo
.LBB1342_110:
	s_or_b32 exec_lo, exec_lo, s15
	v_cndmask_b32_e64 v29, v27, v28, s13
	v_cndmask_b32_e64 v30, v24, v23, s13
	s_mov_b32 s15, -1
	s_mov_b32 s16, -1
	s_mov_b32 s17, exec_lo
	v_add_nc_u32_e32 v31, 1, v29
	v_add_nc_u32_e32 v30, -1, v30
	v_lshl_add_u32 v29, v29, 3, v18
	s_delay_alu instid0(VALU_DEP_2)
	v_min_u32_e32 v30, v31, v30
	ds_load_b64 v[66:67], v29 offset:8192
	v_cndmask_b32_e64 v29, v31, v27, s13
	v_lshl_add_u32 v30, v30, 2, v19
	ds_load_b32 v32, v30
	v_cndmask_b32_e64 v30, v28, v31, s13
	s_waitcnt lgkmcnt(0)
	v_cndmask_b32_e64 v27, v32, v25, s13
	v_cndmask_b32_e64 v28, v26, v32, s13
	v_cmpx_lt_u32_e64 v29, v24
	s_cbranch_execz .LBB1342_114
; %bb.111:
	s_mov_b32 s18, 0
	s_mov_b32 s16, exec_lo
	v_cmpx_lt_u32_e64 v30, v23
; %bb.112:
	v_dual_add_f32 v31, 0, v27 :: v_dual_add_f32 v32, 0, v28
	s_delay_alu instid0(VALU_DEP_1) | instskip(NEXT) | instid1(VALU_DEP_2)
	v_ashrrev_i32_e32 v33, 31, v31
	v_ashrrev_i32_e32 v36, 31, v32
	s_delay_alu instid0(VALU_DEP_2) | instskip(NEXT) | instid1(VALU_DEP_2)
	v_or_b32_e32 v33, 0x80000000, v33
	v_or_b32_e32 v36, 0x80000000, v36
	s_delay_alu instid0(VALU_DEP_2) | instskip(NEXT) | instid1(VALU_DEP_2)
	v_xor_b32_e32 v31, v33, v31
	v_xor_b32_e32 v32, v36, v32
	s_delay_alu instid0(VALU_DEP_1) | instskip(NEXT) | instid1(VALU_DEP_1)
	v_cmp_le_u32_e64 s7, v31, v32
	s_and_b32 s18, s7, exec_lo
; %bb.113:
	s_or_b32 exec_lo, exec_lo, s16
	s_delay_alu instid0(SALU_CYCLE_1)
	s_or_not1_b32 s16, s18, exec_lo
.LBB1342_114:
	s_or_b32 exec_lo, exec_lo, s17
	v_cndmask_b32_e64 v31, v29, v30, s16
	v_cndmask_b32_e64 v32, v24, v23, s16
	s_mov_b32 s17, exec_lo
	s_delay_alu instid0(VALU_DEP_2) | instskip(NEXT) | instid1(VALU_DEP_2)
	v_add_nc_u32_e32 v33, 1, v31
	v_add_nc_u32_e32 v32, -1, v32
	v_lshl_add_u32 v31, v31, 3, v18
	s_delay_alu instid0(VALU_DEP_2)
	v_min_u32_e32 v32, v33, v32
	ds_load_b64 v[64:65], v31 offset:8192
	v_cndmask_b32_e64 v31, v33, v29, s16
	v_lshl_add_u32 v32, v32, 2, v19
	ds_load_b32 v36, v32
	v_cndmask_b32_e64 v32, v30, v33, s16
	s_waitcnt lgkmcnt(0)
	v_cndmask_b32_e64 v29, v36, v27, s16
	v_cndmask_b32_e64 v30, v28, v36, s16
	v_cmpx_lt_u32_e64 v31, v24
	s_cbranch_execz .LBB1342_118
; %bb.115:
	s_mov_b32 s18, 0
	s_mov_b32 s15, exec_lo
	v_cmpx_lt_u32_e64 v32, v23
; %bb.116:
	v_dual_add_f32 v23, 0, v29 :: v_dual_add_f32 v24, 0, v30
	s_delay_alu instid0(VALU_DEP_1) | instskip(NEXT) | instid1(VALU_DEP_2)
	v_ashrrev_i32_e32 v33, 31, v23
	v_ashrrev_i32_e32 v36, 31, v24
	s_delay_alu instid0(VALU_DEP_2) | instskip(NEXT) | instid1(VALU_DEP_2)
	v_or_b32_e32 v33, 0x80000000, v33
	v_or_b32_e32 v36, 0x80000000, v36
	s_delay_alu instid0(VALU_DEP_2) | instskip(NEXT) | instid1(VALU_DEP_2)
	v_xor_b32_e32 v23, v33, v23
	v_xor_b32_e32 v24, v36, v24
	s_delay_alu instid0(VALU_DEP_1) | instskip(NEXT) | instid1(VALU_DEP_1)
	v_cmp_le_u32_e64 s7, v23, v24
	s_and_b32 s18, s7, exec_lo
; %bb.117:
	s_or_b32 exec_lo, exec_lo, s15
	s_delay_alu instid0(SALU_CYCLE_1)
	s_or_not1_b32 s15, s18, exec_lo
.LBB1342_118:
	s_or_b32 exec_lo, exec_lo, s17
	v_cndmask_b32_e64 v23, v31, v32, s15
	v_cndmask_b32_e64 v8, v9, v8, s10
	v_cndmask_b32_e64 v9, v10, v11, s8
	v_cndmask_b32_e64 v10, v12, v13, s12
	v_cndmask_b32_e64 v11, v14, v15, s11
	v_lshl_add_u32 v23, v23, 3, v18
	v_cndmask_b32_e64 v12, v16, v17, s14
	v_cndmask_b32_e64 v13, v25, v26, s13
	;; [unrolled: 1-line block ×4, first 2 shown]
	ds_load_b64 v[50:51], v23 offset:8192
.LBB1342_119:
	s_or_b32 exec_lo, exec_lo, s9
	v_and_b32_e32 v25, 0xe0, v85
	v_and_b32_e32 v23, 24, v85
	s_mov_b32 s8, exec_lo
	; wave barrier
	s_delay_alu instid0(VALU_DEP_2) | instskip(NEXT) | instid1(VALU_DEP_2)
	v_or_b32_e32 v16, 16, v25
	v_min_u32_e32 v26, v21, v23
	ds_store_2addr_b64 v20, v[4:5], v[34:35] offset1:1
	ds_store_2addr_b64 v20, v[68:69], v[52:53] offset0:2 offset1:3
	ds_store_2addr_b64 v22, v[8:9], v[10:11] offset1:1
	ds_store_2addr_b64 v22, v[12:13], v[14:15] offset0:2 offset1:3
	ds_store_2addr_b64 v20, v[70:71], v[66:67] offset0:4 offset1:5
	s_waitcnt lgkmcnt(5)
	ds_store_2addr_b64 v20, v[64:65], v[50:51] offset0:6 offset1:7
	v_min_u32_e32 v16, v21, v16
	; wave barrier
	s_delay_alu instid0(VALU_DEP_1) | instskip(SKIP_1) | instid1(VALU_DEP_2)
	v_add_nc_u32_e32 v17, 16, v16
	v_sub_nc_u32_e32 v23, v16, v25
	v_min_u32_e32 v17, v21, v17
	s_delay_alu instid0(VALU_DEP_2) | instskip(NEXT) | instid1(VALU_DEP_2)
	v_min_u32_e32 v27, v26, v23
	v_sub_nc_u32_e32 v24, v17, v16
	s_delay_alu instid0(VALU_DEP_1) | instskip(SKIP_1) | instid1(VALU_DEP_2)
	v_sub_nc_u32_e64 v23, v26, v24 clamp
	v_lshl_add_u32 v24, v25, 2, v19
	v_cmpx_lt_u32_e64 v23, v27
	s_cbranch_execz .LBB1342_123
; %bb.120:
	v_lshlrev_b32_e32 v28, 2, v16
	v_lshlrev_b32_e32 v29, 2, v26
	s_mov_b32 s9, 0
	s_delay_alu instid0(VALU_DEP_1)
	v_add3_u32 v28, v19, v28, v29
	s_set_inst_prefetch_distance 0x1
	.p2align	6
.LBB1342_121:                           ; =>This Inner Loop Header: Depth=1
	v_add_nc_u32_e32 v29, v27, v23
	s_delay_alu instid0(VALU_DEP_1) | instskip(NEXT) | instid1(VALU_DEP_1)
	v_lshrrev_b32_e32 v29, 1, v29
	v_not_b32_e32 v30, v29
	v_lshl_add_u32 v31, v29, 2, v24
	s_delay_alu instid0(VALU_DEP_2) | instskip(SKIP_4) | instid1(VALU_DEP_1)
	v_lshl_add_u32 v30, v30, 2, v28
	ds_load_b32 v31, v31
	ds_load_b32 v30, v30
	s_waitcnt lgkmcnt(0)
	v_dual_add_f32 v31, 0, v31 :: v_dual_add_f32 v30, 0, v30
	v_ashrrev_i32_e32 v32, 31, v31
	s_delay_alu instid0(VALU_DEP_2) | instskip(NEXT) | instid1(VALU_DEP_2)
	v_ashrrev_i32_e32 v33, 31, v30
	v_or_b32_e32 v32, 0x80000000, v32
	s_delay_alu instid0(VALU_DEP_2) | instskip(NEXT) | instid1(VALU_DEP_2)
	v_or_b32_e32 v33, 0x80000000, v33
	v_xor_b32_e32 v31, v32, v31
	v_add_nc_u32_e32 v32, 1, v29
	s_delay_alu instid0(VALU_DEP_3) | instskip(NEXT) | instid1(VALU_DEP_1)
	v_xor_b32_e32 v30, v33, v30
	v_cmp_gt_u32_e64 s7, v30, v31
	s_delay_alu instid0(VALU_DEP_1) | instskip(NEXT) | instid1(VALU_DEP_4)
	v_cndmask_b32_e64 v27, v27, v29, s7
	v_cndmask_b32_e64 v23, v32, v23, s7
	s_delay_alu instid0(VALU_DEP_1) | instskip(NEXT) | instid1(VALU_DEP_1)
	v_cmp_ge_u32_e64 s7, v23, v27
	s_or_b32 s9, s7, s9
	s_delay_alu instid0(SALU_CYCLE_1)
	s_and_not1_b32 exec_lo, exec_lo, s9
	s_cbranch_execnz .LBB1342_121
; %bb.122:
	s_set_inst_prefetch_distance 0x2
	s_or_b32 exec_lo, exec_lo, s9
.LBB1342_123:
	s_delay_alu instid0(SALU_CYCLE_1) | instskip(SKIP_2) | instid1(VALU_DEP_2)
	s_or_b32 exec_lo, exec_lo, s8
	v_add_nc_u32_e32 v26, v16, v26
	v_add_nc_u32_e32 v25, v23, v25
	v_sub_nc_u32_e32 v26, v26, v23
	s_delay_alu instid0(VALU_DEP_2) | instskip(NEXT) | instid1(VALU_DEP_2)
	v_cmp_le_u32_e64 s7, v25, v16
	v_cmp_le_u32_e64 s8, v26, v17
	s_delay_alu instid0(VALU_DEP_1) | instskip(NEXT) | instid1(SALU_CYCLE_1)
	s_or_b32 s7, s7, s8
	s_and_saveexec_b32 s9, s7
	s_cbranch_execz .LBB1342_159
; %bb.124:
	v_cmp_ge_u32_e64 s7, v25, v16
	s_mov_b32 s10, exec_lo
                                        ; implicit-def: $vgpr8
	v_cmpx_lt_u32_e64 v25, v16
	s_cbranch_execz .LBB1342_126
; %bb.125:
	v_lshl_add_u32 v4, v23, 2, v24
	ds_load_b32 v8, v4
.LBB1342_126:
	s_or_b32 exec_lo, exec_lo, s10
	v_cmp_ge_u32_e64 s10, v26, v17
	s_mov_b32 s11, exec_lo
                                        ; implicit-def: $vgpr9
	v_cmpx_lt_u32_e64 v26, v17
	s_cbranch_execz .LBB1342_128
; %bb.127:
	v_lshl_add_u32 v4, v26, 2, v19
	ds_load_b32 v9, v4
.LBB1342_128:
	s_or_b32 exec_lo, exec_lo, s11
	s_or_b32 s7, s7, s10
	s_mov_b32 s8, -1
	s_xor_b32 s7, s7, -1
	s_delay_alu instid0(SALU_CYCLE_1)
	s_and_saveexec_b32 s11, s7
	s_cbranch_execz .LBB1342_130
; %bb.129:
	s_waitcnt lgkmcnt(0)
	v_dual_add_f32 v4, 0, v9 :: v_dual_add_f32 v5, 0, v8
	s_and_not1_b32 s10, s10, exec_lo
	s_delay_alu instid0(VALU_DEP_1) | instskip(NEXT) | instid1(VALU_DEP_2)
	v_ashrrev_i32_e32 v10, 31, v4
	v_ashrrev_i32_e32 v11, 31, v5
	s_delay_alu instid0(VALU_DEP_2) | instskip(NEXT) | instid1(VALU_DEP_2)
	v_or_b32_e32 v10, 0x80000000, v10
	v_or_b32_e32 v11, 0x80000000, v11
	s_delay_alu instid0(VALU_DEP_2) | instskip(NEXT) | instid1(VALU_DEP_2)
	v_xor_b32_e32 v4, v10, v4
	v_xor_b32_e32 v5, v11, v5
	s_delay_alu instid0(VALU_DEP_1) | instskip(NEXT) | instid1(VALU_DEP_1)
	v_cmp_le_u32_e64 s7, v4, v5
	s_and_b32 s7, s7, exec_lo
	s_delay_alu instid0(SALU_CYCLE_1)
	s_or_b32 s10, s10, s7
.LBB1342_130:
	s_or_b32 exec_lo, exec_lo, s11
	v_cndmask_b32_e64 v4, v26, v25, s10
	v_cndmask_b32_e64 v5, v17, v16, s10
	s_mov_b32 s11, exec_lo
	s_delay_alu instid0(VALU_DEP_2) | instskip(NEXT) | instid1(VALU_DEP_2)
	v_add_nc_u32_e32 v10, 1, v4
	v_add_nc_u32_e32 v5, -1, v5
	v_lshl_add_u32 v4, v4, 3, v18
	s_delay_alu instid0(VALU_DEP_3) | instskip(NEXT) | instid1(VALU_DEP_3)
	v_cndmask_b32_e64 v12, v10, v26, s10
	v_min_u32_e32 v5, v10, v5
	v_cndmask_b32_e64 v13, v25, v10, s10
	s_delay_alu instid0(VALU_DEP_2)
	v_lshl_add_u32 v5, v5, 2, v19
	ds_load_b32 v11, v5
	ds_load_b64 v[4:5], v4 offset:8192
	s_waitcnt lgkmcnt(1)
	v_cndmask_b32_e64 v10, v11, v9, s10
	v_cndmask_b32_e64 v11, v8, v11, s10
	v_cmpx_lt_u32_e64 v12, v17
	s_cbranch_execz .LBB1342_134
; %bb.131:
	s_mov_b32 s12, 0
	s_mov_b32 s8, exec_lo
	v_cmpx_lt_u32_e64 v13, v16
; %bb.132:
	v_dual_add_f32 v14, 0, v10 :: v_dual_add_f32 v15, 0, v11
	s_delay_alu instid0(VALU_DEP_1) | instskip(NEXT) | instid1(VALU_DEP_2)
	v_ashrrev_i32_e32 v23, 31, v14
	v_ashrrev_i32_e32 v24, 31, v15
	s_delay_alu instid0(VALU_DEP_2) | instskip(NEXT) | instid1(VALU_DEP_2)
	v_or_b32_e32 v23, 0x80000000, v23
	v_or_b32_e32 v24, 0x80000000, v24
	s_delay_alu instid0(VALU_DEP_2) | instskip(NEXT) | instid1(VALU_DEP_2)
	v_xor_b32_e32 v14, v23, v14
	v_xor_b32_e32 v15, v24, v15
	s_delay_alu instid0(VALU_DEP_1) | instskip(NEXT) | instid1(VALU_DEP_1)
	v_cmp_le_u32_e64 s7, v14, v15
	s_and_b32 s12, s7, exec_lo
; %bb.133:
	s_or_b32 exec_lo, exec_lo, s8
	s_delay_alu instid0(SALU_CYCLE_1)
	s_or_not1_b32 s8, s12, exec_lo
.LBB1342_134:
	s_or_b32 exec_lo, exec_lo, s11
	v_cndmask_b32_e64 v14, v12, v13, s8
	v_cndmask_b32_e64 v15, v17, v16, s8
	s_mov_b32 s11, -1
	s_mov_b32 s12, -1
	s_mov_b32 s13, exec_lo
	v_add_nc_u32_e32 v23, 1, v14
	v_add_nc_u32_e32 v15, -1, v15
	v_lshl_add_u32 v14, v14, 3, v18
	s_delay_alu instid0(VALU_DEP_2)
	v_min_u32_e32 v15, v23, v15
	ds_load_b64 v[34:35], v14 offset:8192
	v_cndmask_b32_e64 v14, v23, v12, s8
	v_lshl_add_u32 v15, v15, 2, v19
	ds_load_b32 v24, v15
	v_cndmask_b32_e64 v15, v13, v23, s8
	s_waitcnt lgkmcnt(0)
	v_cndmask_b32_e64 v12, v24, v10, s8
	v_cndmask_b32_e64 v13, v11, v24, s8
	v_cmpx_lt_u32_e64 v14, v17
	s_cbranch_execz .LBB1342_138
; %bb.135:
	s_mov_b32 s14, 0
	s_mov_b32 s12, exec_lo
	v_cmpx_lt_u32_e64 v15, v16
; %bb.136:
	v_dual_add_f32 v23, 0, v12 :: v_dual_add_f32 v24, 0, v13
	s_delay_alu instid0(VALU_DEP_1) | instskip(NEXT) | instid1(VALU_DEP_2)
	v_ashrrev_i32_e32 v25, 31, v23
	v_ashrrev_i32_e32 v26, 31, v24
	s_delay_alu instid0(VALU_DEP_2) | instskip(NEXT) | instid1(VALU_DEP_2)
	v_or_b32_e32 v25, 0x80000000, v25
	v_or_b32_e32 v26, 0x80000000, v26
	s_delay_alu instid0(VALU_DEP_2) | instskip(NEXT) | instid1(VALU_DEP_2)
	v_xor_b32_e32 v23, v25, v23
	v_xor_b32_e32 v24, v26, v24
	s_delay_alu instid0(VALU_DEP_1) | instskip(NEXT) | instid1(VALU_DEP_1)
	v_cmp_le_u32_e64 s7, v23, v24
	s_and_b32 s14, s7, exec_lo
; %bb.137:
	s_or_b32 exec_lo, exec_lo, s12
	s_delay_alu instid0(SALU_CYCLE_1)
	s_or_not1_b32 s12, s14, exec_lo
.LBB1342_138:
	s_or_b32 exec_lo, exec_lo, s13
	v_cndmask_b32_e64 v23, v14, v15, s12
	v_cndmask_b32_e64 v24, v17, v16, s12
	s_mov_b32 s13, exec_lo
	s_delay_alu instid0(VALU_DEP_2) | instskip(NEXT) | instid1(VALU_DEP_2)
	v_add_nc_u32_e32 v25, 1, v23
	v_add_nc_u32_e32 v24, -1, v24
	v_lshl_add_u32 v23, v23, 3, v18
	s_delay_alu instid0(VALU_DEP_2)
	v_min_u32_e32 v24, v25, v24
	ds_load_b64 v[68:69], v23 offset:8192
	v_cndmask_b32_e64 v23, v25, v14, s12
	v_lshl_add_u32 v24, v24, 2, v19
	ds_load_b32 v26, v24
	v_cndmask_b32_e64 v24, v15, v25, s12
	s_waitcnt lgkmcnt(0)
	v_cndmask_b32_e64 v14, v26, v12, s12
	v_cndmask_b32_e64 v15, v13, v26, s12
	v_cmpx_lt_u32_e64 v23, v17
	s_cbranch_execz .LBB1342_142
; %bb.139:
	s_mov_b32 s14, 0
	s_mov_b32 s11, exec_lo
	v_cmpx_lt_u32_e64 v24, v16
; %bb.140:
	v_dual_add_f32 v25, 0, v14 :: v_dual_add_f32 v26, 0, v15
	s_delay_alu instid0(VALU_DEP_1) | instskip(NEXT) | instid1(VALU_DEP_2)
	v_ashrrev_i32_e32 v27, 31, v25
	v_ashrrev_i32_e32 v28, 31, v26
	s_delay_alu instid0(VALU_DEP_2) | instskip(NEXT) | instid1(VALU_DEP_2)
	v_or_b32_e32 v27, 0x80000000, v27
	v_or_b32_e32 v28, 0x80000000, v28
	s_delay_alu instid0(VALU_DEP_2) | instskip(NEXT) | instid1(VALU_DEP_2)
	v_xor_b32_e32 v25, v27, v25
	v_xor_b32_e32 v26, v28, v26
	s_delay_alu instid0(VALU_DEP_1) | instskip(NEXT) | instid1(VALU_DEP_1)
	v_cmp_le_u32_e64 s7, v25, v26
	s_and_b32 s14, s7, exec_lo
; %bb.141:
	s_or_b32 exec_lo, exec_lo, s11
	s_delay_alu instid0(SALU_CYCLE_1)
	s_or_not1_b32 s11, s14, exec_lo
.LBB1342_142:
	s_or_b32 exec_lo, exec_lo, s13
	v_cndmask_b32_e64 v25, v23, v24, s11
	v_cndmask_b32_e64 v26, v17, v16, s11
	s_mov_b32 s13, -1
	s_mov_b32 s14, -1
	s_mov_b32 s15, exec_lo
	v_add_nc_u32_e32 v27, 1, v25
	v_add_nc_u32_e32 v26, -1, v26
	v_lshl_add_u32 v25, v25, 3, v18
	s_delay_alu instid0(VALU_DEP_2)
	v_min_u32_e32 v26, v27, v26
	ds_load_b64 v[52:53], v25 offset:8192
	v_cndmask_b32_e64 v25, v27, v23, s11
	v_lshl_add_u32 v26, v26, 2, v19
	ds_load_b32 v28, v26
	v_cndmask_b32_e64 v26, v24, v27, s11
	s_waitcnt lgkmcnt(0)
	v_cndmask_b32_e64 v23, v28, v14, s11
	v_cndmask_b32_e64 v24, v15, v28, s11
	v_cmpx_lt_u32_e64 v25, v17
	s_cbranch_execz .LBB1342_146
; %bb.143:
	s_mov_b32 s16, 0
	s_mov_b32 s14, exec_lo
	v_cmpx_lt_u32_e64 v26, v16
; %bb.144:
	v_dual_add_f32 v27, 0, v23 :: v_dual_add_f32 v28, 0, v24
	s_delay_alu instid0(VALU_DEP_1) | instskip(NEXT) | instid1(VALU_DEP_2)
	v_ashrrev_i32_e32 v29, 31, v27
	v_ashrrev_i32_e32 v30, 31, v28
	s_delay_alu instid0(VALU_DEP_2) | instskip(NEXT) | instid1(VALU_DEP_2)
	v_or_b32_e32 v29, 0x80000000, v29
	v_or_b32_e32 v30, 0x80000000, v30
	s_delay_alu instid0(VALU_DEP_2) | instskip(NEXT) | instid1(VALU_DEP_2)
	v_xor_b32_e32 v27, v29, v27
	v_xor_b32_e32 v28, v30, v28
	s_delay_alu instid0(VALU_DEP_1) | instskip(NEXT) | instid1(VALU_DEP_1)
	v_cmp_le_u32_e64 s7, v27, v28
	s_and_b32 s16, s7, exec_lo
; %bb.145:
	s_or_b32 exec_lo, exec_lo, s14
	s_delay_alu instid0(SALU_CYCLE_1)
	s_or_not1_b32 s14, s16, exec_lo
.LBB1342_146:
	s_or_b32 exec_lo, exec_lo, s15
	v_cndmask_b32_e64 v27, v25, v26, s14
	v_cndmask_b32_e64 v28, v17, v16, s14
	s_mov_b32 s15, exec_lo
	s_delay_alu instid0(VALU_DEP_2) | instskip(NEXT) | instid1(VALU_DEP_2)
	v_add_nc_u32_e32 v29, 1, v27
	v_add_nc_u32_e32 v28, -1, v28
	v_lshl_add_u32 v27, v27, 3, v18
	s_delay_alu instid0(VALU_DEP_2)
	v_min_u32_e32 v28, v29, v28
	ds_load_b64 v[70:71], v27 offset:8192
	v_cndmask_b32_e64 v27, v29, v25, s14
	v_lshl_add_u32 v28, v28, 2, v19
	ds_load_b32 v30, v28
	v_cndmask_b32_e64 v28, v26, v29, s14
	s_waitcnt lgkmcnt(0)
	v_cndmask_b32_e64 v25, v30, v23, s14
	v_cndmask_b32_e64 v26, v24, v30, s14
	v_cmpx_lt_u32_e64 v27, v17
	s_cbranch_execz .LBB1342_150
; %bb.147:
	s_mov_b32 s16, 0
	s_mov_b32 s13, exec_lo
	v_cmpx_lt_u32_e64 v28, v16
; %bb.148:
	v_dual_add_f32 v29, 0, v25 :: v_dual_add_f32 v30, 0, v26
	s_delay_alu instid0(VALU_DEP_1) | instskip(NEXT) | instid1(VALU_DEP_2)
	v_ashrrev_i32_e32 v31, 31, v29
	v_ashrrev_i32_e32 v32, 31, v30
	s_delay_alu instid0(VALU_DEP_2) | instskip(NEXT) | instid1(VALU_DEP_2)
	v_or_b32_e32 v31, 0x80000000, v31
	v_or_b32_e32 v32, 0x80000000, v32
	s_delay_alu instid0(VALU_DEP_2) | instskip(NEXT) | instid1(VALU_DEP_2)
	v_xor_b32_e32 v29, v31, v29
	v_xor_b32_e32 v30, v32, v30
	s_delay_alu instid0(VALU_DEP_1) | instskip(NEXT) | instid1(VALU_DEP_1)
	v_cmp_le_u32_e64 s7, v29, v30
	s_and_b32 s16, s7, exec_lo
; %bb.149:
	s_or_b32 exec_lo, exec_lo, s13
	s_delay_alu instid0(SALU_CYCLE_1)
	s_or_not1_b32 s13, s16, exec_lo
.LBB1342_150:
	s_or_b32 exec_lo, exec_lo, s15
	v_cndmask_b32_e64 v29, v27, v28, s13
	v_cndmask_b32_e64 v30, v17, v16, s13
	s_mov_b32 s15, -1
	s_mov_b32 s16, -1
	s_mov_b32 s17, exec_lo
	v_add_nc_u32_e32 v31, 1, v29
	v_add_nc_u32_e32 v30, -1, v30
	v_lshl_add_u32 v29, v29, 3, v18
	s_delay_alu instid0(VALU_DEP_2)
	v_min_u32_e32 v30, v31, v30
	ds_load_b64 v[66:67], v29 offset:8192
	v_cndmask_b32_e64 v29, v31, v27, s13
	v_lshl_add_u32 v30, v30, 2, v19
	ds_load_b32 v32, v30
	v_cndmask_b32_e64 v30, v28, v31, s13
	s_waitcnt lgkmcnt(0)
	v_cndmask_b32_e64 v27, v32, v25, s13
	v_cndmask_b32_e64 v28, v26, v32, s13
	v_cmpx_lt_u32_e64 v29, v17
	s_cbranch_execz .LBB1342_154
; %bb.151:
	s_mov_b32 s18, 0
	s_mov_b32 s16, exec_lo
	v_cmpx_lt_u32_e64 v30, v16
; %bb.152:
	v_dual_add_f32 v31, 0, v27 :: v_dual_add_f32 v32, 0, v28
	s_delay_alu instid0(VALU_DEP_1) | instskip(NEXT) | instid1(VALU_DEP_2)
	v_ashrrev_i32_e32 v33, 31, v31
	v_ashrrev_i32_e32 v36, 31, v32
	s_delay_alu instid0(VALU_DEP_2) | instskip(NEXT) | instid1(VALU_DEP_2)
	v_or_b32_e32 v33, 0x80000000, v33
	v_or_b32_e32 v36, 0x80000000, v36
	s_delay_alu instid0(VALU_DEP_2) | instskip(NEXT) | instid1(VALU_DEP_2)
	v_xor_b32_e32 v31, v33, v31
	v_xor_b32_e32 v32, v36, v32
	s_delay_alu instid0(VALU_DEP_1) | instskip(NEXT) | instid1(VALU_DEP_1)
	v_cmp_le_u32_e64 s7, v31, v32
	s_and_b32 s18, s7, exec_lo
; %bb.153:
	s_or_b32 exec_lo, exec_lo, s16
	s_delay_alu instid0(SALU_CYCLE_1)
	s_or_not1_b32 s16, s18, exec_lo
.LBB1342_154:
	s_or_b32 exec_lo, exec_lo, s17
	v_cndmask_b32_e64 v31, v29, v30, s16
	v_cndmask_b32_e64 v32, v17, v16, s16
	s_mov_b32 s17, exec_lo
	s_delay_alu instid0(VALU_DEP_2) | instskip(NEXT) | instid1(VALU_DEP_2)
	v_add_nc_u32_e32 v33, 1, v31
	v_add_nc_u32_e32 v32, -1, v32
	v_lshl_add_u32 v31, v31, 3, v18
	s_delay_alu instid0(VALU_DEP_2)
	v_min_u32_e32 v32, v33, v32
	ds_load_b64 v[64:65], v31 offset:8192
	v_cndmask_b32_e64 v31, v33, v29, s16
	v_lshl_add_u32 v32, v32, 2, v19
	ds_load_b32 v36, v32
	v_cndmask_b32_e64 v32, v30, v33, s16
	s_waitcnt lgkmcnt(0)
	v_cndmask_b32_e64 v29, v36, v27, s16
	v_cndmask_b32_e64 v30, v28, v36, s16
	v_cmpx_lt_u32_e64 v31, v17
	s_cbranch_execz .LBB1342_158
; %bb.155:
	s_mov_b32 s18, 0
	s_mov_b32 s15, exec_lo
	v_cmpx_lt_u32_e64 v32, v16
; %bb.156:
	v_dual_add_f32 v16, 0, v29 :: v_dual_add_f32 v17, 0, v30
	s_delay_alu instid0(VALU_DEP_1) | instskip(NEXT) | instid1(VALU_DEP_2)
	v_ashrrev_i32_e32 v33, 31, v16
	v_ashrrev_i32_e32 v36, 31, v17
	s_delay_alu instid0(VALU_DEP_2) | instskip(NEXT) | instid1(VALU_DEP_2)
	v_or_b32_e32 v33, 0x80000000, v33
	v_or_b32_e32 v36, 0x80000000, v36
	s_delay_alu instid0(VALU_DEP_2) | instskip(NEXT) | instid1(VALU_DEP_2)
	v_xor_b32_e32 v16, v33, v16
	v_xor_b32_e32 v17, v36, v17
	s_delay_alu instid0(VALU_DEP_1) | instskip(NEXT) | instid1(VALU_DEP_1)
	v_cmp_le_u32_e64 s7, v16, v17
	s_and_b32 s18, s7, exec_lo
; %bb.157:
	s_or_b32 exec_lo, exec_lo, s15
	s_delay_alu instid0(SALU_CYCLE_1)
	s_or_not1_b32 s15, s18, exec_lo
.LBB1342_158:
	s_or_b32 exec_lo, exec_lo, s17
	v_cndmask_b32_e64 v16, v31, v32, s15
	v_cndmask_b32_e64 v8, v9, v8, s10
	;; [unrolled: 1-line block ×5, first 2 shown]
	v_lshl_add_u32 v16, v16, 3, v18
	v_cndmask_b32_e64 v12, v23, v24, s14
	v_cndmask_b32_e64 v13, v25, v26, s13
	;; [unrolled: 1-line block ×4, first 2 shown]
	ds_load_b64 v[50:51], v16 offset:8192
.LBB1342_159:
	s_or_b32 exec_lo, exec_lo, s9
	v_and_b32_e32 v25, 0xc0, v85
	v_and_b32_e32 v23, 56, v85
	s_mov_b32 s8, exec_lo
	; wave barrier
	s_delay_alu instid0(VALU_DEP_2) | instskip(NEXT) | instid1(VALU_DEP_2)
	v_or_b32_e32 v16, 32, v25
	v_min_u32_e32 v26, v21, v23
	ds_store_2addr_b64 v20, v[4:5], v[34:35] offset1:1
	ds_store_2addr_b64 v20, v[68:69], v[52:53] offset0:2 offset1:3
	ds_store_2addr_b64 v22, v[8:9], v[10:11] offset1:1
	ds_store_2addr_b64 v22, v[12:13], v[14:15] offset0:2 offset1:3
	ds_store_2addr_b64 v20, v[70:71], v[66:67] offset0:4 offset1:5
	s_waitcnt lgkmcnt(5)
	ds_store_2addr_b64 v20, v[64:65], v[50:51] offset0:6 offset1:7
	v_min_u32_e32 v16, v21, v16
	; wave barrier
	s_delay_alu instid0(VALU_DEP_1) | instskip(SKIP_1) | instid1(VALU_DEP_2)
	v_add_nc_u32_e32 v17, 32, v16
	v_sub_nc_u32_e32 v23, v16, v25
	v_min_u32_e32 v17, v21, v17
	s_delay_alu instid0(VALU_DEP_2) | instskip(NEXT) | instid1(VALU_DEP_2)
	v_min_u32_e32 v27, v26, v23
	v_sub_nc_u32_e32 v24, v17, v16
	s_delay_alu instid0(VALU_DEP_1) | instskip(SKIP_1) | instid1(VALU_DEP_2)
	v_sub_nc_u32_e64 v23, v26, v24 clamp
	v_lshl_add_u32 v24, v25, 2, v19
	v_cmpx_lt_u32_e64 v23, v27
	s_cbranch_execz .LBB1342_163
; %bb.160:
	v_lshlrev_b32_e32 v28, 2, v16
	v_lshlrev_b32_e32 v29, 2, v26
	s_mov_b32 s9, 0
	s_delay_alu instid0(VALU_DEP_1)
	v_add3_u32 v28, v19, v28, v29
	s_set_inst_prefetch_distance 0x1
	.p2align	6
.LBB1342_161:                           ; =>This Inner Loop Header: Depth=1
	v_add_nc_u32_e32 v29, v27, v23
	s_delay_alu instid0(VALU_DEP_1) | instskip(NEXT) | instid1(VALU_DEP_1)
	v_lshrrev_b32_e32 v29, 1, v29
	v_not_b32_e32 v30, v29
	v_lshl_add_u32 v31, v29, 2, v24
	s_delay_alu instid0(VALU_DEP_2) | instskip(SKIP_4) | instid1(VALU_DEP_1)
	v_lshl_add_u32 v30, v30, 2, v28
	ds_load_b32 v31, v31
	ds_load_b32 v30, v30
	s_waitcnt lgkmcnt(0)
	v_dual_add_f32 v31, 0, v31 :: v_dual_add_f32 v30, 0, v30
	v_ashrrev_i32_e32 v32, 31, v31
	s_delay_alu instid0(VALU_DEP_2) | instskip(NEXT) | instid1(VALU_DEP_2)
	v_ashrrev_i32_e32 v33, 31, v30
	v_or_b32_e32 v32, 0x80000000, v32
	s_delay_alu instid0(VALU_DEP_2) | instskip(NEXT) | instid1(VALU_DEP_2)
	v_or_b32_e32 v33, 0x80000000, v33
	v_xor_b32_e32 v31, v32, v31
	v_add_nc_u32_e32 v32, 1, v29
	s_delay_alu instid0(VALU_DEP_3) | instskip(NEXT) | instid1(VALU_DEP_1)
	v_xor_b32_e32 v30, v33, v30
	v_cmp_gt_u32_e64 s7, v30, v31
	s_delay_alu instid0(VALU_DEP_1) | instskip(NEXT) | instid1(VALU_DEP_4)
	v_cndmask_b32_e64 v27, v27, v29, s7
	v_cndmask_b32_e64 v23, v32, v23, s7
	s_delay_alu instid0(VALU_DEP_1) | instskip(NEXT) | instid1(VALU_DEP_1)
	v_cmp_ge_u32_e64 s7, v23, v27
	s_or_b32 s9, s7, s9
	s_delay_alu instid0(SALU_CYCLE_1)
	s_and_not1_b32 exec_lo, exec_lo, s9
	s_cbranch_execnz .LBB1342_161
; %bb.162:
	s_set_inst_prefetch_distance 0x2
	s_or_b32 exec_lo, exec_lo, s9
.LBB1342_163:
	s_delay_alu instid0(SALU_CYCLE_1) | instskip(SKIP_2) | instid1(VALU_DEP_2)
	s_or_b32 exec_lo, exec_lo, s8
	v_add_nc_u32_e32 v26, v16, v26
	v_add_nc_u32_e32 v25, v23, v25
	v_sub_nc_u32_e32 v26, v26, v23
	s_delay_alu instid0(VALU_DEP_2) | instskip(NEXT) | instid1(VALU_DEP_2)
	v_cmp_le_u32_e64 s7, v25, v16
	v_cmp_le_u32_e64 s8, v26, v17
	s_delay_alu instid0(VALU_DEP_1) | instskip(NEXT) | instid1(SALU_CYCLE_1)
	s_or_b32 s7, s7, s8
	s_and_saveexec_b32 s9, s7
	s_cbranch_execz .LBB1342_199
; %bb.164:
	v_cmp_ge_u32_e64 s7, v25, v16
	s_mov_b32 s10, exec_lo
                                        ; implicit-def: $vgpr8
	v_cmpx_lt_u32_e64 v25, v16
	s_cbranch_execz .LBB1342_166
; %bb.165:
	v_lshl_add_u32 v4, v23, 2, v24
	ds_load_b32 v8, v4
.LBB1342_166:
	s_or_b32 exec_lo, exec_lo, s10
	v_cmp_ge_u32_e64 s10, v26, v17
	s_mov_b32 s11, exec_lo
                                        ; implicit-def: $vgpr9
	v_cmpx_lt_u32_e64 v26, v17
	s_cbranch_execz .LBB1342_168
; %bb.167:
	v_lshl_add_u32 v4, v26, 2, v19
	ds_load_b32 v9, v4
.LBB1342_168:
	s_or_b32 exec_lo, exec_lo, s11
	s_or_b32 s7, s7, s10
	s_mov_b32 s8, -1
	s_xor_b32 s7, s7, -1
	s_delay_alu instid0(SALU_CYCLE_1)
	s_and_saveexec_b32 s11, s7
	s_cbranch_execz .LBB1342_170
; %bb.169:
	s_waitcnt lgkmcnt(0)
	v_dual_add_f32 v4, 0, v9 :: v_dual_add_f32 v5, 0, v8
	s_and_not1_b32 s10, s10, exec_lo
	s_delay_alu instid0(VALU_DEP_1) | instskip(NEXT) | instid1(VALU_DEP_2)
	v_ashrrev_i32_e32 v10, 31, v4
	v_ashrrev_i32_e32 v11, 31, v5
	s_delay_alu instid0(VALU_DEP_2) | instskip(NEXT) | instid1(VALU_DEP_2)
	v_or_b32_e32 v10, 0x80000000, v10
	v_or_b32_e32 v11, 0x80000000, v11
	s_delay_alu instid0(VALU_DEP_2) | instskip(NEXT) | instid1(VALU_DEP_2)
	v_xor_b32_e32 v4, v10, v4
	v_xor_b32_e32 v5, v11, v5
	s_delay_alu instid0(VALU_DEP_1) | instskip(NEXT) | instid1(VALU_DEP_1)
	v_cmp_le_u32_e64 s7, v4, v5
	s_and_b32 s7, s7, exec_lo
	s_delay_alu instid0(SALU_CYCLE_1)
	s_or_b32 s10, s10, s7
.LBB1342_170:
	s_or_b32 exec_lo, exec_lo, s11
	v_cndmask_b32_e64 v4, v26, v25, s10
	v_cndmask_b32_e64 v5, v17, v16, s10
	s_mov_b32 s11, exec_lo
	s_delay_alu instid0(VALU_DEP_2) | instskip(NEXT) | instid1(VALU_DEP_2)
	v_add_nc_u32_e32 v10, 1, v4
	v_add_nc_u32_e32 v5, -1, v5
	v_lshl_add_u32 v4, v4, 3, v18
	s_delay_alu instid0(VALU_DEP_3) | instskip(NEXT) | instid1(VALU_DEP_3)
	v_cndmask_b32_e64 v12, v10, v26, s10
	v_min_u32_e32 v5, v10, v5
	v_cndmask_b32_e64 v13, v25, v10, s10
	s_delay_alu instid0(VALU_DEP_2)
	v_lshl_add_u32 v5, v5, 2, v19
	ds_load_b32 v11, v5
	ds_load_b64 v[4:5], v4 offset:8192
	s_waitcnt lgkmcnt(1)
	v_cndmask_b32_e64 v10, v11, v9, s10
	v_cndmask_b32_e64 v11, v8, v11, s10
	v_cmpx_lt_u32_e64 v12, v17
	s_cbranch_execz .LBB1342_174
; %bb.171:
	s_mov_b32 s12, 0
	s_mov_b32 s8, exec_lo
	v_cmpx_lt_u32_e64 v13, v16
; %bb.172:
	v_dual_add_f32 v14, 0, v10 :: v_dual_add_f32 v15, 0, v11
	s_delay_alu instid0(VALU_DEP_1) | instskip(NEXT) | instid1(VALU_DEP_2)
	v_ashrrev_i32_e32 v23, 31, v14
	v_ashrrev_i32_e32 v24, 31, v15
	s_delay_alu instid0(VALU_DEP_2) | instskip(NEXT) | instid1(VALU_DEP_2)
	v_or_b32_e32 v23, 0x80000000, v23
	v_or_b32_e32 v24, 0x80000000, v24
	s_delay_alu instid0(VALU_DEP_2) | instskip(NEXT) | instid1(VALU_DEP_2)
	v_xor_b32_e32 v14, v23, v14
	v_xor_b32_e32 v15, v24, v15
	s_delay_alu instid0(VALU_DEP_1) | instskip(NEXT) | instid1(VALU_DEP_1)
	v_cmp_le_u32_e64 s7, v14, v15
	s_and_b32 s12, s7, exec_lo
; %bb.173:
	s_or_b32 exec_lo, exec_lo, s8
	s_delay_alu instid0(SALU_CYCLE_1)
	s_or_not1_b32 s8, s12, exec_lo
.LBB1342_174:
	s_or_b32 exec_lo, exec_lo, s11
	v_cndmask_b32_e64 v14, v12, v13, s8
	v_cndmask_b32_e64 v15, v17, v16, s8
	s_mov_b32 s11, -1
	s_mov_b32 s12, -1
	s_mov_b32 s13, exec_lo
	v_add_nc_u32_e32 v23, 1, v14
	v_add_nc_u32_e32 v15, -1, v15
	v_lshl_add_u32 v14, v14, 3, v18
	s_delay_alu instid0(VALU_DEP_2)
	v_min_u32_e32 v15, v23, v15
	ds_load_b64 v[34:35], v14 offset:8192
	v_cndmask_b32_e64 v14, v23, v12, s8
	v_lshl_add_u32 v15, v15, 2, v19
	ds_load_b32 v24, v15
	v_cndmask_b32_e64 v15, v13, v23, s8
	s_waitcnt lgkmcnt(0)
	v_cndmask_b32_e64 v12, v24, v10, s8
	v_cndmask_b32_e64 v13, v11, v24, s8
	v_cmpx_lt_u32_e64 v14, v17
	s_cbranch_execz .LBB1342_178
; %bb.175:
	s_mov_b32 s14, 0
	s_mov_b32 s12, exec_lo
	v_cmpx_lt_u32_e64 v15, v16
; %bb.176:
	v_dual_add_f32 v23, 0, v12 :: v_dual_add_f32 v24, 0, v13
	s_delay_alu instid0(VALU_DEP_1) | instskip(NEXT) | instid1(VALU_DEP_2)
	v_ashrrev_i32_e32 v25, 31, v23
	v_ashrrev_i32_e32 v26, 31, v24
	s_delay_alu instid0(VALU_DEP_2) | instskip(NEXT) | instid1(VALU_DEP_2)
	v_or_b32_e32 v25, 0x80000000, v25
	v_or_b32_e32 v26, 0x80000000, v26
	s_delay_alu instid0(VALU_DEP_2) | instskip(NEXT) | instid1(VALU_DEP_2)
	v_xor_b32_e32 v23, v25, v23
	v_xor_b32_e32 v24, v26, v24
	s_delay_alu instid0(VALU_DEP_1) | instskip(NEXT) | instid1(VALU_DEP_1)
	v_cmp_le_u32_e64 s7, v23, v24
	s_and_b32 s14, s7, exec_lo
; %bb.177:
	s_or_b32 exec_lo, exec_lo, s12
	s_delay_alu instid0(SALU_CYCLE_1)
	s_or_not1_b32 s12, s14, exec_lo
.LBB1342_178:
	s_or_b32 exec_lo, exec_lo, s13
	v_cndmask_b32_e64 v23, v14, v15, s12
	v_cndmask_b32_e64 v24, v17, v16, s12
	s_mov_b32 s13, exec_lo
	s_delay_alu instid0(VALU_DEP_2) | instskip(NEXT) | instid1(VALU_DEP_2)
	v_add_nc_u32_e32 v25, 1, v23
	v_add_nc_u32_e32 v24, -1, v24
	v_lshl_add_u32 v23, v23, 3, v18
	s_delay_alu instid0(VALU_DEP_2)
	v_min_u32_e32 v24, v25, v24
	ds_load_b64 v[68:69], v23 offset:8192
	v_cndmask_b32_e64 v23, v25, v14, s12
	v_lshl_add_u32 v24, v24, 2, v19
	ds_load_b32 v26, v24
	v_cndmask_b32_e64 v24, v15, v25, s12
	s_waitcnt lgkmcnt(0)
	v_cndmask_b32_e64 v14, v26, v12, s12
	v_cndmask_b32_e64 v15, v13, v26, s12
	v_cmpx_lt_u32_e64 v23, v17
	s_cbranch_execz .LBB1342_182
; %bb.179:
	s_mov_b32 s14, 0
	s_mov_b32 s11, exec_lo
	v_cmpx_lt_u32_e64 v24, v16
; %bb.180:
	v_dual_add_f32 v25, 0, v14 :: v_dual_add_f32 v26, 0, v15
	s_delay_alu instid0(VALU_DEP_1) | instskip(NEXT) | instid1(VALU_DEP_2)
	v_ashrrev_i32_e32 v27, 31, v25
	v_ashrrev_i32_e32 v28, 31, v26
	s_delay_alu instid0(VALU_DEP_2) | instskip(NEXT) | instid1(VALU_DEP_2)
	v_or_b32_e32 v27, 0x80000000, v27
	v_or_b32_e32 v28, 0x80000000, v28
	s_delay_alu instid0(VALU_DEP_2) | instskip(NEXT) | instid1(VALU_DEP_2)
	v_xor_b32_e32 v25, v27, v25
	v_xor_b32_e32 v26, v28, v26
	s_delay_alu instid0(VALU_DEP_1) | instskip(NEXT) | instid1(VALU_DEP_1)
	v_cmp_le_u32_e64 s7, v25, v26
	s_and_b32 s14, s7, exec_lo
; %bb.181:
	s_or_b32 exec_lo, exec_lo, s11
	s_delay_alu instid0(SALU_CYCLE_1)
	s_or_not1_b32 s11, s14, exec_lo
.LBB1342_182:
	s_or_b32 exec_lo, exec_lo, s13
	v_cndmask_b32_e64 v25, v23, v24, s11
	v_cndmask_b32_e64 v26, v17, v16, s11
	s_mov_b32 s13, -1
	s_mov_b32 s14, -1
	s_mov_b32 s15, exec_lo
	v_add_nc_u32_e32 v27, 1, v25
	v_add_nc_u32_e32 v26, -1, v26
	v_lshl_add_u32 v25, v25, 3, v18
	s_delay_alu instid0(VALU_DEP_2)
	v_min_u32_e32 v26, v27, v26
	ds_load_b64 v[52:53], v25 offset:8192
	v_cndmask_b32_e64 v25, v27, v23, s11
	v_lshl_add_u32 v26, v26, 2, v19
	ds_load_b32 v28, v26
	v_cndmask_b32_e64 v26, v24, v27, s11
	s_waitcnt lgkmcnt(0)
	v_cndmask_b32_e64 v23, v28, v14, s11
	v_cndmask_b32_e64 v24, v15, v28, s11
	v_cmpx_lt_u32_e64 v25, v17
	s_cbranch_execz .LBB1342_186
; %bb.183:
	s_mov_b32 s16, 0
	s_mov_b32 s14, exec_lo
	v_cmpx_lt_u32_e64 v26, v16
; %bb.184:
	v_dual_add_f32 v27, 0, v23 :: v_dual_add_f32 v28, 0, v24
	s_delay_alu instid0(VALU_DEP_1) | instskip(NEXT) | instid1(VALU_DEP_2)
	v_ashrrev_i32_e32 v29, 31, v27
	v_ashrrev_i32_e32 v30, 31, v28
	s_delay_alu instid0(VALU_DEP_2) | instskip(NEXT) | instid1(VALU_DEP_2)
	v_or_b32_e32 v29, 0x80000000, v29
	v_or_b32_e32 v30, 0x80000000, v30
	s_delay_alu instid0(VALU_DEP_2) | instskip(NEXT) | instid1(VALU_DEP_2)
	v_xor_b32_e32 v27, v29, v27
	v_xor_b32_e32 v28, v30, v28
	s_delay_alu instid0(VALU_DEP_1) | instskip(NEXT) | instid1(VALU_DEP_1)
	v_cmp_le_u32_e64 s7, v27, v28
	s_and_b32 s16, s7, exec_lo
; %bb.185:
	s_or_b32 exec_lo, exec_lo, s14
	s_delay_alu instid0(SALU_CYCLE_1)
	s_or_not1_b32 s14, s16, exec_lo
.LBB1342_186:
	s_or_b32 exec_lo, exec_lo, s15
	v_cndmask_b32_e64 v27, v25, v26, s14
	v_cndmask_b32_e64 v28, v17, v16, s14
	s_mov_b32 s15, exec_lo
	s_delay_alu instid0(VALU_DEP_2) | instskip(NEXT) | instid1(VALU_DEP_2)
	v_add_nc_u32_e32 v29, 1, v27
	v_add_nc_u32_e32 v28, -1, v28
	v_lshl_add_u32 v27, v27, 3, v18
	s_delay_alu instid0(VALU_DEP_2)
	v_min_u32_e32 v28, v29, v28
	ds_load_b64 v[70:71], v27 offset:8192
	v_cndmask_b32_e64 v27, v29, v25, s14
	v_lshl_add_u32 v28, v28, 2, v19
	ds_load_b32 v30, v28
	v_cndmask_b32_e64 v28, v26, v29, s14
	s_waitcnt lgkmcnt(0)
	v_cndmask_b32_e64 v25, v30, v23, s14
	v_cndmask_b32_e64 v26, v24, v30, s14
	v_cmpx_lt_u32_e64 v27, v17
	s_cbranch_execz .LBB1342_190
; %bb.187:
	s_mov_b32 s16, 0
	s_mov_b32 s13, exec_lo
	v_cmpx_lt_u32_e64 v28, v16
; %bb.188:
	v_dual_add_f32 v29, 0, v25 :: v_dual_add_f32 v30, 0, v26
	s_delay_alu instid0(VALU_DEP_1) | instskip(NEXT) | instid1(VALU_DEP_2)
	v_ashrrev_i32_e32 v31, 31, v29
	v_ashrrev_i32_e32 v32, 31, v30
	s_delay_alu instid0(VALU_DEP_2) | instskip(NEXT) | instid1(VALU_DEP_2)
	v_or_b32_e32 v31, 0x80000000, v31
	v_or_b32_e32 v32, 0x80000000, v32
	s_delay_alu instid0(VALU_DEP_2) | instskip(NEXT) | instid1(VALU_DEP_2)
	v_xor_b32_e32 v29, v31, v29
	v_xor_b32_e32 v30, v32, v30
	s_delay_alu instid0(VALU_DEP_1) | instskip(NEXT) | instid1(VALU_DEP_1)
	v_cmp_le_u32_e64 s7, v29, v30
	s_and_b32 s16, s7, exec_lo
; %bb.189:
	s_or_b32 exec_lo, exec_lo, s13
	s_delay_alu instid0(SALU_CYCLE_1)
	s_or_not1_b32 s13, s16, exec_lo
.LBB1342_190:
	s_or_b32 exec_lo, exec_lo, s15
	v_cndmask_b32_e64 v29, v27, v28, s13
	v_cndmask_b32_e64 v30, v17, v16, s13
	s_mov_b32 s15, -1
	s_mov_b32 s16, -1
	s_mov_b32 s17, exec_lo
	v_add_nc_u32_e32 v31, 1, v29
	v_add_nc_u32_e32 v30, -1, v30
	v_lshl_add_u32 v29, v29, 3, v18
	s_delay_alu instid0(VALU_DEP_2)
	v_min_u32_e32 v30, v31, v30
	ds_load_b64 v[66:67], v29 offset:8192
	v_cndmask_b32_e64 v29, v31, v27, s13
	v_lshl_add_u32 v30, v30, 2, v19
	ds_load_b32 v32, v30
	v_cndmask_b32_e64 v30, v28, v31, s13
	s_waitcnt lgkmcnt(0)
	v_cndmask_b32_e64 v27, v32, v25, s13
	v_cndmask_b32_e64 v28, v26, v32, s13
	v_cmpx_lt_u32_e64 v29, v17
	s_cbranch_execz .LBB1342_194
; %bb.191:
	s_mov_b32 s18, 0
	s_mov_b32 s16, exec_lo
	v_cmpx_lt_u32_e64 v30, v16
; %bb.192:
	v_dual_add_f32 v31, 0, v27 :: v_dual_add_f32 v32, 0, v28
	s_delay_alu instid0(VALU_DEP_1) | instskip(NEXT) | instid1(VALU_DEP_2)
	v_ashrrev_i32_e32 v33, 31, v31
	v_ashrrev_i32_e32 v36, 31, v32
	s_delay_alu instid0(VALU_DEP_2) | instskip(NEXT) | instid1(VALU_DEP_2)
	v_or_b32_e32 v33, 0x80000000, v33
	v_or_b32_e32 v36, 0x80000000, v36
	s_delay_alu instid0(VALU_DEP_2) | instskip(NEXT) | instid1(VALU_DEP_2)
	v_xor_b32_e32 v31, v33, v31
	v_xor_b32_e32 v32, v36, v32
	s_delay_alu instid0(VALU_DEP_1) | instskip(NEXT) | instid1(VALU_DEP_1)
	v_cmp_le_u32_e64 s7, v31, v32
	s_and_b32 s18, s7, exec_lo
; %bb.193:
	s_or_b32 exec_lo, exec_lo, s16
	s_delay_alu instid0(SALU_CYCLE_1)
	s_or_not1_b32 s16, s18, exec_lo
.LBB1342_194:
	s_or_b32 exec_lo, exec_lo, s17
	v_cndmask_b32_e64 v31, v29, v30, s16
	v_cndmask_b32_e64 v32, v17, v16, s16
	s_mov_b32 s17, exec_lo
	s_delay_alu instid0(VALU_DEP_2) | instskip(NEXT) | instid1(VALU_DEP_2)
	v_add_nc_u32_e32 v33, 1, v31
	v_add_nc_u32_e32 v32, -1, v32
	v_lshl_add_u32 v31, v31, 3, v18
	s_delay_alu instid0(VALU_DEP_2)
	v_min_u32_e32 v32, v33, v32
	ds_load_b64 v[64:65], v31 offset:8192
	v_cndmask_b32_e64 v31, v33, v29, s16
	v_lshl_add_u32 v32, v32, 2, v19
	ds_load_b32 v36, v32
	v_cndmask_b32_e64 v32, v30, v33, s16
	s_waitcnt lgkmcnt(0)
	v_cndmask_b32_e64 v29, v36, v27, s16
	v_cndmask_b32_e64 v30, v28, v36, s16
	v_cmpx_lt_u32_e64 v31, v17
	s_cbranch_execz .LBB1342_198
; %bb.195:
	s_mov_b32 s18, 0
	s_mov_b32 s15, exec_lo
	v_cmpx_lt_u32_e64 v32, v16
; %bb.196:
	v_dual_add_f32 v16, 0, v29 :: v_dual_add_f32 v17, 0, v30
	s_delay_alu instid0(VALU_DEP_1) | instskip(NEXT) | instid1(VALU_DEP_2)
	v_ashrrev_i32_e32 v33, 31, v16
	v_ashrrev_i32_e32 v36, 31, v17
	s_delay_alu instid0(VALU_DEP_2) | instskip(NEXT) | instid1(VALU_DEP_2)
	v_or_b32_e32 v33, 0x80000000, v33
	v_or_b32_e32 v36, 0x80000000, v36
	s_delay_alu instid0(VALU_DEP_2) | instskip(NEXT) | instid1(VALU_DEP_2)
	v_xor_b32_e32 v16, v33, v16
	v_xor_b32_e32 v17, v36, v17
	s_delay_alu instid0(VALU_DEP_1) | instskip(NEXT) | instid1(VALU_DEP_1)
	v_cmp_le_u32_e64 s7, v16, v17
	s_and_b32 s18, s7, exec_lo
; %bb.197:
	s_or_b32 exec_lo, exec_lo, s15
	s_delay_alu instid0(SALU_CYCLE_1)
	s_or_not1_b32 s15, s18, exec_lo
.LBB1342_198:
	s_or_b32 exec_lo, exec_lo, s17
	v_cndmask_b32_e64 v16, v31, v32, s15
	v_cndmask_b32_e64 v8, v9, v8, s10
	;; [unrolled: 1-line block ×5, first 2 shown]
	v_lshl_add_u32 v16, v16, 3, v18
	v_cndmask_b32_e64 v12, v23, v24, s14
	v_cndmask_b32_e64 v13, v25, v26, s13
	;; [unrolled: 1-line block ×4, first 2 shown]
	ds_load_b64 v[50:51], v16 offset:8192
.LBB1342_199:
	s_or_b32 exec_lo, exec_lo, s9
	v_and_b32_e32 v23, 0x80, v85
	v_min_u32_e32 v24, v21, v84
	; wave barrier
	ds_store_2addr_b64 v20, v[4:5], v[34:35] offset1:1
	ds_store_2addr_b64 v20, v[68:69], v[52:53] offset0:2 offset1:3
	ds_store_2addr_b64 v22, v[8:9], v[10:11] offset1:1
	ds_store_2addr_b64 v22, v[12:13], v[14:15] offset0:2 offset1:3
	v_or_b32_e32 v16, 64, v23
	v_lshl_add_u32 v22, v23, 2, v19
	s_mov_b32 s8, exec_lo
	ds_store_2addr_b64 v20, v[70:71], v[66:67] offset0:4 offset1:5
	s_waitcnt lgkmcnt(5)
	ds_store_2addr_b64 v20, v[64:65], v[50:51] offset0:6 offset1:7
	v_min_u32_e32 v16, v21, v16
	; wave barrier
	s_delay_alu instid0(VALU_DEP_1) | instskip(NEXT) | instid1(VALU_DEP_1)
	v_add_nc_u32_e32 v17, 64, v16
	v_min_u32_e32 v17, v21, v17
	v_sub_nc_u32_e32 v21, v16, v23
	s_delay_alu instid0(VALU_DEP_2) | instskip(NEXT) | instid1(VALU_DEP_2)
	v_sub_nc_u32_e32 v26, v17, v16
	v_min_u32_e32 v25, v24, v21
	s_delay_alu instid0(VALU_DEP_2) | instskip(NEXT) | instid1(VALU_DEP_1)
	v_sub_nc_u32_e64 v21, v24, v26 clamp
	v_cmpx_lt_u32_e64 v21, v25
	s_cbranch_execz .LBB1342_203
; %bb.200:
	v_lshlrev_b32_e32 v20, 2, v16
	v_lshlrev_b32_e32 v26, 2, v24
	s_mov_b32 s9, 0
	s_delay_alu instid0(VALU_DEP_1)
	v_add3_u32 v20, v19, v20, v26
	s_set_inst_prefetch_distance 0x1
	.p2align	6
.LBB1342_201:                           ; =>This Inner Loop Header: Depth=1
	v_add_nc_u32_e32 v26, v25, v21
	s_delay_alu instid0(VALU_DEP_1) | instskip(NEXT) | instid1(VALU_DEP_1)
	v_lshrrev_b32_e32 v26, 1, v26
	v_not_b32_e32 v27, v26
	v_lshl_add_u32 v28, v26, 2, v22
	s_delay_alu instid0(VALU_DEP_2) | instskip(SKIP_4) | instid1(VALU_DEP_1)
	v_lshl_add_u32 v27, v27, 2, v20
	ds_load_b32 v28, v28
	ds_load_b32 v27, v27
	s_waitcnt lgkmcnt(0)
	v_dual_add_f32 v28, 0, v28 :: v_dual_add_f32 v27, 0, v27
	v_ashrrev_i32_e32 v29, 31, v28
	s_delay_alu instid0(VALU_DEP_2) | instskip(NEXT) | instid1(VALU_DEP_2)
	v_ashrrev_i32_e32 v30, 31, v27
	v_or_b32_e32 v29, 0x80000000, v29
	s_delay_alu instid0(VALU_DEP_2) | instskip(NEXT) | instid1(VALU_DEP_2)
	v_or_b32_e32 v30, 0x80000000, v30
	v_xor_b32_e32 v28, v29, v28
	v_add_nc_u32_e32 v29, 1, v26
	s_delay_alu instid0(VALU_DEP_3) | instskip(NEXT) | instid1(VALU_DEP_1)
	v_xor_b32_e32 v27, v30, v27
	v_cmp_gt_u32_e64 s7, v27, v28
	s_delay_alu instid0(VALU_DEP_1) | instskip(NEXT) | instid1(VALU_DEP_4)
	v_cndmask_b32_e64 v25, v25, v26, s7
	v_cndmask_b32_e64 v21, v29, v21, s7
	s_delay_alu instid0(VALU_DEP_1) | instskip(NEXT) | instid1(VALU_DEP_1)
	v_cmp_ge_u32_e64 s7, v21, v25
	s_or_b32 s9, s7, s9
	s_delay_alu instid0(SALU_CYCLE_1)
	s_and_not1_b32 exec_lo, exec_lo, s9
	s_cbranch_execnz .LBB1342_201
; %bb.202:
	s_set_inst_prefetch_distance 0x2
	s_or_b32 exec_lo, exec_lo, s9
.LBB1342_203:
	s_delay_alu instid0(SALU_CYCLE_1) | instskip(SKIP_2) | instid1(VALU_DEP_2)
	s_or_b32 exec_lo, exec_lo, s8
	v_add_nc_u32_e32 v24, v16, v24
	v_add_nc_u32_e32 v20, v21, v23
	v_sub_nc_u32_e32 v23, v24, v21
	s_delay_alu instid0(VALU_DEP_2) | instskip(NEXT) | instid1(VALU_DEP_2)
	v_cmp_le_u32_e64 s7, v20, v16
	v_cmp_le_u32_e64 s8, v23, v17
	s_delay_alu instid0(VALU_DEP_1) | instskip(NEXT) | instid1(SALU_CYCLE_1)
	s_or_b32 s7, s7, s8
	s_and_saveexec_b32 s9, s7
	s_cbranch_execz .LBB1342_239
; %bb.204:
	v_cmp_ge_u32_e64 s7, v20, v16
	s_mov_b32 s10, exec_lo
                                        ; implicit-def: $vgpr8
	v_cmpx_lt_u32_e64 v20, v16
	s_cbranch_execz .LBB1342_206
; %bb.205:
	v_lshl_add_u32 v4, v21, 2, v22
	ds_load_b32 v8, v4
.LBB1342_206:
	s_or_b32 exec_lo, exec_lo, s10
	v_cmp_ge_u32_e64 s10, v23, v17
	s_mov_b32 s11, exec_lo
                                        ; implicit-def: $vgpr9
	v_cmpx_lt_u32_e64 v23, v17
	s_cbranch_execz .LBB1342_208
; %bb.207:
	v_lshl_add_u32 v4, v23, 2, v19
	ds_load_b32 v9, v4
.LBB1342_208:
	s_or_b32 exec_lo, exec_lo, s11
	s_or_b32 s7, s7, s10
	s_mov_b32 s8, -1
	s_xor_b32 s7, s7, -1
	s_delay_alu instid0(SALU_CYCLE_1)
	s_and_saveexec_b32 s11, s7
	s_cbranch_execz .LBB1342_210
; %bb.209:
	s_waitcnt lgkmcnt(0)
	v_dual_add_f32 v4, 0, v9 :: v_dual_add_f32 v5, 0, v8
	s_and_not1_b32 s10, s10, exec_lo
	s_delay_alu instid0(VALU_DEP_1) | instskip(NEXT) | instid1(VALU_DEP_2)
	v_ashrrev_i32_e32 v10, 31, v4
	v_ashrrev_i32_e32 v11, 31, v5
	s_delay_alu instid0(VALU_DEP_2) | instskip(NEXT) | instid1(VALU_DEP_2)
	v_or_b32_e32 v10, 0x80000000, v10
	v_or_b32_e32 v11, 0x80000000, v11
	s_delay_alu instid0(VALU_DEP_2) | instskip(NEXT) | instid1(VALU_DEP_2)
	v_xor_b32_e32 v4, v10, v4
	v_xor_b32_e32 v5, v11, v5
	s_delay_alu instid0(VALU_DEP_1) | instskip(NEXT) | instid1(VALU_DEP_1)
	v_cmp_le_u32_e64 s7, v4, v5
	s_and_b32 s7, s7, exec_lo
	s_delay_alu instid0(SALU_CYCLE_1)
	s_or_b32 s10, s10, s7
.LBB1342_210:
	s_or_b32 exec_lo, exec_lo, s11
	v_cndmask_b32_e64 v4, v23, v20, s10
	v_cndmask_b32_e64 v5, v17, v16, s10
	s_mov_b32 s11, exec_lo
	s_delay_alu instid0(VALU_DEP_2) | instskip(NEXT) | instid1(VALU_DEP_2)
	v_add_nc_u32_e32 v10, 1, v4
	v_add_nc_u32_e32 v5, -1, v5
	v_lshl_add_u32 v4, v4, 3, v18
	s_delay_alu instid0(VALU_DEP_3) | instskip(NEXT) | instid1(VALU_DEP_3)
	v_cndmask_b32_e64 v12, v10, v23, s10
	v_min_u32_e32 v5, v10, v5
	v_cndmask_b32_e64 v13, v20, v10, s10
	s_delay_alu instid0(VALU_DEP_2)
	v_lshl_add_u32 v5, v5, 2, v19
	ds_load_b32 v11, v5
	ds_load_b64 v[4:5], v4 offset:8192
	s_waitcnt lgkmcnt(1)
	v_cndmask_b32_e64 v10, v11, v9, s10
	v_cndmask_b32_e64 v11, v8, v11, s10
	v_cmpx_lt_u32_e64 v12, v17
	s_cbranch_execz .LBB1342_214
; %bb.211:
	s_mov_b32 s12, 0
	s_mov_b32 s8, exec_lo
	v_cmpx_lt_u32_e64 v13, v16
; %bb.212:
	v_dual_add_f32 v14, 0, v10 :: v_dual_add_f32 v15, 0, v11
	s_delay_alu instid0(VALU_DEP_1) | instskip(NEXT) | instid1(VALU_DEP_2)
	v_ashrrev_i32_e32 v20, 31, v14
	v_ashrrev_i32_e32 v21, 31, v15
	s_delay_alu instid0(VALU_DEP_2) | instskip(NEXT) | instid1(VALU_DEP_2)
	v_or_b32_e32 v20, 0x80000000, v20
	v_or_b32_e32 v21, 0x80000000, v21
	s_delay_alu instid0(VALU_DEP_2) | instskip(NEXT) | instid1(VALU_DEP_2)
	v_xor_b32_e32 v14, v20, v14
	v_xor_b32_e32 v15, v21, v15
	s_delay_alu instid0(VALU_DEP_1) | instskip(NEXT) | instid1(VALU_DEP_1)
	v_cmp_le_u32_e64 s7, v14, v15
	s_and_b32 s12, s7, exec_lo
; %bb.213:
	s_or_b32 exec_lo, exec_lo, s8
	s_delay_alu instid0(SALU_CYCLE_1)
	s_or_not1_b32 s8, s12, exec_lo
.LBB1342_214:
	s_or_b32 exec_lo, exec_lo, s11
	v_cndmask_b32_e64 v14, v12, v13, s8
	v_cndmask_b32_e64 v15, v17, v16, s8
	s_mov_b32 s11, -1
	s_mov_b32 s12, -1
	s_mov_b32 s13, exec_lo
	v_add_nc_u32_e32 v20, 1, v14
	v_add_nc_u32_e32 v15, -1, v15
	v_lshl_add_u32 v14, v14, 3, v18
	s_delay_alu instid0(VALU_DEP_2)
	v_min_u32_e32 v15, v20, v15
	ds_load_b64 v[34:35], v14 offset:8192
	v_cndmask_b32_e64 v14, v20, v12, s8
	v_lshl_add_u32 v15, v15, 2, v19
	ds_load_b32 v21, v15
	v_cndmask_b32_e64 v15, v13, v20, s8
	s_waitcnt lgkmcnt(0)
	v_cndmask_b32_e64 v12, v21, v10, s8
	v_cndmask_b32_e64 v13, v11, v21, s8
	v_cmpx_lt_u32_e64 v14, v17
	s_cbranch_execz .LBB1342_218
; %bb.215:
	s_mov_b32 s14, 0
	s_mov_b32 s12, exec_lo
	v_cmpx_lt_u32_e64 v15, v16
; %bb.216:
	v_dual_add_f32 v20, 0, v12 :: v_dual_add_f32 v21, 0, v13
	s_delay_alu instid0(VALU_DEP_1) | instskip(NEXT) | instid1(VALU_DEP_2)
	v_ashrrev_i32_e32 v22, 31, v20
	v_ashrrev_i32_e32 v23, 31, v21
	s_delay_alu instid0(VALU_DEP_2) | instskip(NEXT) | instid1(VALU_DEP_2)
	v_or_b32_e32 v22, 0x80000000, v22
	v_or_b32_e32 v23, 0x80000000, v23
	s_delay_alu instid0(VALU_DEP_2) | instskip(NEXT) | instid1(VALU_DEP_2)
	v_xor_b32_e32 v20, v22, v20
	v_xor_b32_e32 v21, v23, v21
	s_delay_alu instid0(VALU_DEP_1) | instskip(NEXT) | instid1(VALU_DEP_1)
	v_cmp_le_u32_e64 s7, v20, v21
	s_and_b32 s14, s7, exec_lo
; %bb.217:
	s_or_b32 exec_lo, exec_lo, s12
	s_delay_alu instid0(SALU_CYCLE_1)
	s_or_not1_b32 s12, s14, exec_lo
.LBB1342_218:
	s_or_b32 exec_lo, exec_lo, s13
	v_cndmask_b32_e64 v20, v14, v15, s12
	v_cndmask_b32_e64 v21, v17, v16, s12
	s_mov_b32 s13, exec_lo
	s_delay_alu instid0(VALU_DEP_2) | instskip(NEXT) | instid1(VALU_DEP_2)
	v_add_nc_u32_e32 v22, 1, v20
	v_add_nc_u32_e32 v21, -1, v21
	v_lshl_add_u32 v20, v20, 3, v18
	s_delay_alu instid0(VALU_DEP_2)
	v_min_u32_e32 v21, v22, v21
	ds_load_b64 v[68:69], v20 offset:8192
	v_cndmask_b32_e64 v20, v22, v14, s12
	v_lshl_add_u32 v21, v21, 2, v19
	ds_load_b32 v23, v21
	v_cndmask_b32_e64 v21, v15, v22, s12
	s_waitcnt lgkmcnt(0)
	v_cndmask_b32_e64 v14, v23, v12, s12
	v_cndmask_b32_e64 v15, v13, v23, s12
	v_cmpx_lt_u32_e64 v20, v17
	s_cbranch_execz .LBB1342_222
; %bb.219:
	s_mov_b32 s14, 0
	s_mov_b32 s11, exec_lo
	v_cmpx_lt_u32_e64 v21, v16
; %bb.220:
	v_dual_add_f32 v22, 0, v14 :: v_dual_add_f32 v23, 0, v15
	s_delay_alu instid0(VALU_DEP_1) | instskip(NEXT) | instid1(VALU_DEP_2)
	v_ashrrev_i32_e32 v24, 31, v22
	v_ashrrev_i32_e32 v25, 31, v23
	s_delay_alu instid0(VALU_DEP_2) | instskip(NEXT) | instid1(VALU_DEP_2)
	v_or_b32_e32 v24, 0x80000000, v24
	v_or_b32_e32 v25, 0x80000000, v25
	s_delay_alu instid0(VALU_DEP_2) | instskip(NEXT) | instid1(VALU_DEP_2)
	v_xor_b32_e32 v22, v24, v22
	v_xor_b32_e32 v23, v25, v23
	s_delay_alu instid0(VALU_DEP_1) | instskip(NEXT) | instid1(VALU_DEP_1)
	v_cmp_le_u32_e64 s7, v22, v23
	s_and_b32 s14, s7, exec_lo
; %bb.221:
	s_or_b32 exec_lo, exec_lo, s11
	s_delay_alu instid0(SALU_CYCLE_1)
	s_or_not1_b32 s11, s14, exec_lo
.LBB1342_222:
	s_or_b32 exec_lo, exec_lo, s13
	v_cndmask_b32_e64 v22, v20, v21, s11
	v_cndmask_b32_e64 v23, v17, v16, s11
	s_mov_b32 s13, -1
	s_mov_b32 s14, -1
	s_mov_b32 s15, exec_lo
	v_add_nc_u32_e32 v24, 1, v22
	v_add_nc_u32_e32 v23, -1, v23
	v_lshl_add_u32 v22, v22, 3, v18
	s_delay_alu instid0(VALU_DEP_2)
	v_min_u32_e32 v23, v24, v23
	ds_load_b64 v[52:53], v22 offset:8192
	v_cndmask_b32_e64 v22, v24, v20, s11
	v_lshl_add_u32 v23, v23, 2, v19
	ds_load_b32 v25, v23
	v_cndmask_b32_e64 v23, v21, v24, s11
	s_waitcnt lgkmcnt(0)
	v_cndmask_b32_e64 v20, v25, v14, s11
	v_cndmask_b32_e64 v21, v15, v25, s11
	v_cmpx_lt_u32_e64 v22, v17
	s_cbranch_execz .LBB1342_226
; %bb.223:
	s_mov_b32 s16, 0
	s_mov_b32 s14, exec_lo
	v_cmpx_lt_u32_e64 v23, v16
; %bb.224:
	v_dual_add_f32 v24, 0, v20 :: v_dual_add_f32 v25, 0, v21
	s_delay_alu instid0(VALU_DEP_1) | instskip(NEXT) | instid1(VALU_DEP_2)
	v_ashrrev_i32_e32 v26, 31, v24
	v_ashrrev_i32_e32 v27, 31, v25
	s_delay_alu instid0(VALU_DEP_2) | instskip(NEXT) | instid1(VALU_DEP_2)
	v_or_b32_e32 v26, 0x80000000, v26
	v_or_b32_e32 v27, 0x80000000, v27
	s_delay_alu instid0(VALU_DEP_2) | instskip(NEXT) | instid1(VALU_DEP_2)
	v_xor_b32_e32 v24, v26, v24
	v_xor_b32_e32 v25, v27, v25
	s_delay_alu instid0(VALU_DEP_1) | instskip(NEXT) | instid1(VALU_DEP_1)
	v_cmp_le_u32_e64 s7, v24, v25
	s_and_b32 s16, s7, exec_lo
; %bb.225:
	s_or_b32 exec_lo, exec_lo, s14
	s_delay_alu instid0(SALU_CYCLE_1)
	s_or_not1_b32 s14, s16, exec_lo
.LBB1342_226:
	s_or_b32 exec_lo, exec_lo, s15
	v_cndmask_b32_e64 v24, v22, v23, s14
	v_cndmask_b32_e64 v25, v17, v16, s14
	s_mov_b32 s15, exec_lo
	s_delay_alu instid0(VALU_DEP_2) | instskip(NEXT) | instid1(VALU_DEP_2)
	v_add_nc_u32_e32 v26, 1, v24
	v_add_nc_u32_e32 v25, -1, v25
	v_lshl_add_u32 v24, v24, 3, v18
	s_delay_alu instid0(VALU_DEP_2)
	v_min_u32_e32 v25, v26, v25
	ds_load_b64 v[70:71], v24 offset:8192
	v_cndmask_b32_e64 v24, v26, v22, s14
	v_lshl_add_u32 v25, v25, 2, v19
	ds_load_b32 v27, v25
	v_cndmask_b32_e64 v25, v23, v26, s14
	s_waitcnt lgkmcnt(0)
	v_cndmask_b32_e64 v22, v27, v20, s14
	v_cndmask_b32_e64 v23, v21, v27, s14
	v_cmpx_lt_u32_e64 v24, v17
	s_cbranch_execz .LBB1342_230
; %bb.227:
	s_mov_b32 s16, 0
	s_mov_b32 s13, exec_lo
	v_cmpx_lt_u32_e64 v25, v16
; %bb.228:
	v_dual_add_f32 v26, 0, v22 :: v_dual_add_f32 v27, 0, v23
	s_delay_alu instid0(VALU_DEP_1) | instskip(NEXT) | instid1(VALU_DEP_2)
	v_ashrrev_i32_e32 v28, 31, v26
	v_ashrrev_i32_e32 v29, 31, v27
	s_delay_alu instid0(VALU_DEP_2) | instskip(NEXT) | instid1(VALU_DEP_2)
	v_or_b32_e32 v28, 0x80000000, v28
	v_or_b32_e32 v29, 0x80000000, v29
	s_delay_alu instid0(VALU_DEP_2) | instskip(NEXT) | instid1(VALU_DEP_2)
	v_xor_b32_e32 v26, v28, v26
	v_xor_b32_e32 v27, v29, v27
	s_delay_alu instid0(VALU_DEP_1) | instskip(NEXT) | instid1(VALU_DEP_1)
	v_cmp_le_u32_e64 s7, v26, v27
	s_and_b32 s16, s7, exec_lo
; %bb.229:
	s_or_b32 exec_lo, exec_lo, s13
	s_delay_alu instid0(SALU_CYCLE_1)
	s_or_not1_b32 s13, s16, exec_lo
.LBB1342_230:
	s_or_b32 exec_lo, exec_lo, s15
	v_cndmask_b32_e64 v26, v24, v25, s13
	v_cndmask_b32_e64 v27, v17, v16, s13
	s_mov_b32 s15, -1
	s_mov_b32 s16, -1
	s_mov_b32 s17, exec_lo
	v_add_nc_u32_e32 v28, 1, v26
	v_add_nc_u32_e32 v27, -1, v27
	v_lshl_add_u32 v26, v26, 3, v18
	s_delay_alu instid0(VALU_DEP_2)
	v_min_u32_e32 v27, v28, v27
	ds_load_b64 v[66:67], v26 offset:8192
	v_cndmask_b32_e64 v26, v28, v24, s13
	v_lshl_add_u32 v27, v27, 2, v19
	ds_load_b32 v29, v27
	v_cndmask_b32_e64 v27, v25, v28, s13
	s_waitcnt lgkmcnt(0)
	v_cndmask_b32_e64 v24, v29, v22, s13
	v_cndmask_b32_e64 v25, v23, v29, s13
	v_cmpx_lt_u32_e64 v26, v17
	s_cbranch_execz .LBB1342_234
; %bb.231:
	s_mov_b32 s18, 0
	s_mov_b32 s16, exec_lo
	v_cmpx_lt_u32_e64 v27, v16
; %bb.232:
	v_dual_add_f32 v28, 0, v24 :: v_dual_add_f32 v29, 0, v25
	s_delay_alu instid0(VALU_DEP_1) | instskip(NEXT) | instid1(VALU_DEP_2)
	v_ashrrev_i32_e32 v30, 31, v28
	v_ashrrev_i32_e32 v31, 31, v29
	s_delay_alu instid0(VALU_DEP_2) | instskip(NEXT) | instid1(VALU_DEP_2)
	v_or_b32_e32 v30, 0x80000000, v30
	v_or_b32_e32 v31, 0x80000000, v31
	s_delay_alu instid0(VALU_DEP_2) | instskip(NEXT) | instid1(VALU_DEP_2)
	v_xor_b32_e32 v28, v30, v28
	v_xor_b32_e32 v29, v31, v29
	s_delay_alu instid0(VALU_DEP_1) | instskip(NEXT) | instid1(VALU_DEP_1)
	v_cmp_le_u32_e64 s7, v28, v29
	s_and_b32 s18, s7, exec_lo
; %bb.233:
	s_or_b32 exec_lo, exec_lo, s16
	s_delay_alu instid0(SALU_CYCLE_1)
	s_or_not1_b32 s16, s18, exec_lo
.LBB1342_234:
	s_or_b32 exec_lo, exec_lo, s17
	v_cndmask_b32_e64 v28, v26, v27, s16
	v_cndmask_b32_e64 v29, v17, v16, s16
	s_mov_b32 s17, exec_lo
	s_delay_alu instid0(VALU_DEP_2) | instskip(NEXT) | instid1(VALU_DEP_2)
	v_add_nc_u32_e32 v30, 1, v28
	v_add_nc_u32_e32 v29, -1, v29
	s_delay_alu instid0(VALU_DEP_2) | instskip(NEXT) | instid1(VALU_DEP_2)
	v_cndmask_b32_e64 v27, v27, v30, s16
	v_min_u32_e32 v29, v30, v29
	s_delay_alu instid0(VALU_DEP_1)
	v_lshl_add_u32 v19, v29, 2, v19
	ds_load_b32 v29, v19
	v_lshl_add_u32 v19, v28, 3, v18
	v_cndmask_b32_e64 v28, v30, v26, s16
	ds_load_b64 v[64:65], v19 offset:8192
	s_waitcnt lgkmcnt(1)
	v_cndmask_b32_e64 v19, v29, v24, s16
	v_cndmask_b32_e64 v26, v25, v29, s16
	v_cmpx_lt_u32_e64 v28, v17
	s_cbranch_execz .LBB1342_238
; %bb.235:
	s_mov_b32 s18, 0
	s_mov_b32 s15, exec_lo
	v_cmpx_lt_u32_e64 v27, v16
; %bb.236:
	v_dual_add_f32 v16, 0, v19 :: v_dual_add_f32 v17, 0, v26
	s_delay_alu instid0(VALU_DEP_1) | instskip(NEXT) | instid1(VALU_DEP_2)
	v_ashrrev_i32_e32 v29, 31, v16
	v_ashrrev_i32_e32 v30, 31, v17
	s_delay_alu instid0(VALU_DEP_2) | instskip(NEXT) | instid1(VALU_DEP_2)
	v_or_b32_e32 v29, 0x80000000, v29
	v_or_b32_e32 v30, 0x80000000, v30
	s_delay_alu instid0(VALU_DEP_2) | instskip(NEXT) | instid1(VALU_DEP_2)
	v_xor_b32_e32 v16, v29, v16
	v_xor_b32_e32 v17, v30, v17
	s_delay_alu instid0(VALU_DEP_1) | instskip(NEXT) | instid1(VALU_DEP_1)
	v_cmp_le_u32_e64 s7, v16, v17
	s_and_b32 s18, s7, exec_lo
; %bb.237:
	s_or_b32 exec_lo, exec_lo, s15
	s_delay_alu instid0(SALU_CYCLE_1)
	s_or_not1_b32 s15, s18, exec_lo
.LBB1342_238:
	s_or_b32 exec_lo, exec_lo, s17
	v_cndmask_b32_e64 v16, v28, v27, s15
	v_cndmask_b32_e64 v8, v9, v8, s10
	;; [unrolled: 1-line block ×5, first 2 shown]
	v_lshl_add_u32 v16, v16, 3, v18
	v_cndmask_b32_e64 v12, v20, v21, s14
	v_cndmask_b32_e64 v13, v22, v23, s13
	;; [unrolled: 1-line block ×4, first 2 shown]
	ds_load_b64 v[50:51], v16 offset:8192
.LBB1342_239:
	s_or_b32 exec_lo, exec_lo, s9
	v_add_co_u32 v2, s7, v2, v54
	s_delay_alu instid0(VALU_DEP_1) | instskip(NEXT) | instid1(VALU_DEP_2)
	v_add_co_ci_u32_e64 v3, s7, v3, v55, s7
	v_add_co_u32 v2, s7, v2, v82
	s_delay_alu instid0(VALU_DEP_1)
	v_add_co_ci_u32_e64 v3, s7, 0, v3, s7
	; wave barrier
	s_waitcnt lgkmcnt(0)
	s_waitcnt_vscnt null, 0x0
	s_barrier
	buffer_gl0_inv
	; wave barrier
	s_and_saveexec_b32 s7, vcc_lo
	s_cbranch_execnz .LBB1342_264
; %bb.240:
	s_or_b32 exec_lo, exec_lo, s7
	s_and_saveexec_b32 s7, s0
	s_cbranch_execnz .LBB1342_265
.LBB1342_241:
	s_or_b32 exec_lo, exec_lo, s7
	s_and_saveexec_b32 s7, s1
	s_cbranch_execnz .LBB1342_266
.LBB1342_242:
	s_or_b32 exec_lo, exec_lo, s7
	s_and_saveexec_b32 s7, s2
	s_cbranch_execnz .LBB1342_267
.LBB1342_243:
	s_or_b32 exec_lo, exec_lo, s7
	s_and_saveexec_b32 s7, s3
	s_cbranch_execnz .LBB1342_268
.LBB1342_244:
	s_or_b32 exec_lo, exec_lo, s7
	s_and_saveexec_b32 s7, s4
	s_cbranch_execnz .LBB1342_269
.LBB1342_245:
	s_or_b32 exec_lo, exec_lo, s7
	s_and_saveexec_b32 s7, s5
	s_cbranch_execnz .LBB1342_270
.LBB1342_246:
	s_or_b32 exec_lo, exec_lo, s7
	s_and_saveexec_b32 s7, s6
	s_cbranch_execz .LBB1342_248
.LBB1342_247:
	flat_store_b32 v[2:3], v15 offset:28
.LBB1342_248:
	s_or_b32 exec_lo, exec_lo, s7
	v_add_co_u32 v0, s7, v6, v0
	s_delay_alu instid0(VALU_DEP_1) | instskip(NEXT) | instid1(VALU_DEP_2)
	v_add_co_ci_u32_e64 v1, s7, v7, v1, s7
	v_add_co_u32 v0, s7, v0, v83
	s_delay_alu instid0(VALU_DEP_1)
	v_add_co_ci_u32_e64 v1, s7, 0, v1, s7
	; wave barrier
	s_and_saveexec_b32 s7, vcc_lo
	s_cbranch_execnz .LBB1342_271
; %bb.249:
	s_or_b32 exec_lo, exec_lo, s7
	s_and_saveexec_b32 s7, s0
	s_cbranch_execnz .LBB1342_272
.LBB1342_250:
	s_or_b32 exec_lo, exec_lo, s7
	s_and_saveexec_b32 s0, s1
	s_cbranch_execnz .LBB1342_273
.LBB1342_251:
	s_or_b32 exec_lo, exec_lo, s0
	s_and_saveexec_b32 s0, s2
	s_cbranch_execnz .LBB1342_274
.LBB1342_252:
	s_or_b32 exec_lo, exec_lo, s0
	s_and_saveexec_b32 s0, s3
	s_cbranch_execnz .LBB1342_275
.LBB1342_253:
	s_or_b32 exec_lo, exec_lo, s0
	s_and_saveexec_b32 s0, s4
	s_cbranch_execnz .LBB1342_276
.LBB1342_254:
	s_or_b32 exec_lo, exec_lo, s0
	s_and_saveexec_b32 s0, s5
	s_cbranch_execnz .LBB1342_277
.LBB1342_255:
	s_or_b32 exec_lo, exec_lo, s0
	s_and_saveexec_b32 s0, s6
	s_cbranch_execnz .LBB1342_278
.LBB1342_256:
	s_or_b32 exec_lo, exec_lo, s0
	s_waitcnt lgkmcnt(0)
	s_setpc_b64 s[30:31]
.LBB1342_257:
	flat_load_b64 v[4:5], v[8:9]
	s_or_b32 exec_lo, exec_lo, s7
	s_and_saveexec_b32 s7, s0
                                        ; implicit-def: $vgpr32_vgpr33_vgpr34_vgpr35
	s_cbranch_execz .LBB1342_18
.LBB1342_258:
	flat_load_b64 v[34:35], v[8:9] offset:8
	s_or_b32 exec_lo, exec_lo, s7
                                        ; implicit-def: $vgpr68_vgpr69
	s_and_saveexec_b32 s7, s1
	s_cbranch_execz .LBB1342_19
.LBB1342_259:
	flat_load_b64 v[68:69], v[8:9] offset:16
	s_or_b32 exec_lo, exec_lo, s7
	s_and_saveexec_b32 s7, s2
                                        ; implicit-def: $vgpr50_vgpr51_vgpr52_vgpr53
	s_cbranch_execz .LBB1342_20
.LBB1342_260:
	flat_load_b64 v[52:53], v[8:9] offset:24
	s_or_b32 exec_lo, exec_lo, s7
                                        ; implicit-def: $vgpr70_vgpr71
	s_and_saveexec_b32 s7, s3
	s_cbranch_execz .LBB1342_21
.LBB1342_261:
	flat_load_b64 v[70:71], v[8:9] offset:32
	s_or_b32 exec_lo, exec_lo, s7
	s_and_saveexec_b32 s7, s4
                                        ; implicit-def: $vgpr64_vgpr65_vgpr66_vgpr67
	s_cbranch_execz .LBB1342_22
.LBB1342_262:
	flat_load_b64 v[66:67], v[8:9] offset:40
	s_or_b32 exec_lo, exec_lo, s7
                                        ; implicit-def: $vgpr64_vgpr65
	s_and_saveexec_b32 s7, s5
	s_cbranch_execz .LBB1342_23
.LBB1342_263:
	flat_load_b64 v[64:65], v[8:9] offset:48
	s_or_b32 exec_lo, exec_lo, s7
	s_and_saveexec_b32 s7, s6
                                        ; implicit-def: $vgpr48_vgpr49_vgpr50_vgpr51
	s_cbranch_execnz .LBB1342_24
	s_branch .LBB1342_25
.LBB1342_264:
	flat_store_b32 v[2:3], v8
	s_or_b32 exec_lo, exec_lo, s7
	s_and_saveexec_b32 s7, s0
	s_cbranch_execz .LBB1342_241
.LBB1342_265:
	flat_store_b32 v[2:3], v9 offset:4
	s_or_b32 exec_lo, exec_lo, s7
	s_and_saveexec_b32 s7, s1
	s_cbranch_execz .LBB1342_242
.LBB1342_266:
	flat_store_b32 v[2:3], v10 offset:8
	s_or_b32 exec_lo, exec_lo, s7
	s_and_saveexec_b32 s7, s2
	s_cbranch_execz .LBB1342_243
.LBB1342_267:
	flat_store_b32 v[2:3], v11 offset:12
	s_or_b32 exec_lo, exec_lo, s7
	s_and_saveexec_b32 s7, s3
	s_cbranch_execz .LBB1342_244
.LBB1342_268:
	flat_store_b32 v[2:3], v12 offset:16
	s_or_b32 exec_lo, exec_lo, s7
	s_and_saveexec_b32 s7, s4
	s_cbranch_execz .LBB1342_245
.LBB1342_269:
	flat_store_b32 v[2:3], v13 offset:20
	s_or_b32 exec_lo, exec_lo, s7
	s_and_saveexec_b32 s7, s5
	s_cbranch_execz .LBB1342_246
.LBB1342_270:
	flat_store_b32 v[2:3], v14 offset:24
	s_or_b32 exec_lo, exec_lo, s7
	s_and_saveexec_b32 s7, s6
	s_cbranch_execnz .LBB1342_247
	s_branch .LBB1342_248
.LBB1342_271:
	flat_store_b64 v[0:1], v[4:5]
	s_or_b32 exec_lo, exec_lo, s7
	s_and_saveexec_b32 s7, s0
	s_cbranch_execz .LBB1342_250
.LBB1342_272:
	flat_store_b64 v[0:1], v[34:35] offset:8
	s_or_b32 exec_lo, exec_lo, s7
	s_and_saveexec_b32 s0, s1
	s_cbranch_execz .LBB1342_251
.LBB1342_273:
	flat_store_b64 v[0:1], v[68:69] offset:16
	s_or_b32 exec_lo, exec_lo, s0
	s_and_saveexec_b32 s0, s2
	s_cbranch_execz .LBB1342_252
.LBB1342_274:
	flat_store_b64 v[0:1], v[52:53] offset:24
	s_or_b32 exec_lo, exec_lo, s0
	s_and_saveexec_b32 s0, s3
	s_cbranch_execz .LBB1342_253
.LBB1342_275:
	flat_store_b64 v[0:1], v[70:71] offset:32
	s_or_b32 exec_lo, exec_lo, s0
	s_and_saveexec_b32 s0, s4
	s_cbranch_execz .LBB1342_254
.LBB1342_276:
	flat_store_b64 v[0:1], v[66:67] offset:40
	s_or_b32 exec_lo, exec_lo, s0
	s_and_saveexec_b32 s0, s5
	s_cbranch_execz .LBB1342_255
.LBB1342_277:
	flat_store_b64 v[0:1], v[64:65] offset:48
	s_or_b32 exec_lo, exec_lo, s0
	s_and_saveexec_b32 s0, s6
	s_cbranch_execz .LBB1342_256
.LBB1342_278:
	flat_store_b64 v[0:1], v[50:51] offset:56
	s_or_b32 exec_lo, exec_lo, s0
	s_waitcnt lgkmcnt(0)
	s_setpc_b64 s[30:31]
.Lfunc_end1342:
	.size	_ZN7rocprim17ROCPRIM_400000_NS6detail26segmented_warp_sort_helperINS1_20WarpSortHelperConfigILj16ELj8ELj256EEEflLi256ELb1EvE4sortIPKfPfPKlPlEEvT_T0_T1_T2_jjjjRNS5_12storage_typeE, .Lfunc_end1342-_ZN7rocprim17ROCPRIM_400000_NS6detail26segmented_warp_sort_helperINS1_20WarpSortHelperConfigILj16ELj8ELj256EEEflLi256ELb1EvE4sortIPKfPfPKlPlEEvT_T0_T1_T2_jjjjRNS5_12storage_typeE
                                        ; -- End function
	.section	.AMDGPU.csdata,"",@progbits
; Function info:
; codeLenInByte = 14048
; NumSgprs: 34
; NumVgprs: 88
; ScratchSize: 0
; MemoryBound: 0
	.section	.text._ZN7rocprim17ROCPRIM_400000_NS6detail17trampoline_kernelINS0_14default_configENS1_36segmented_radix_sort_config_selectorIflEEZNS1_25segmented_radix_sort_implIS3_Lb1EPKfPfPKlPlN2at6native12_GLOBAL__N_18offset_tEEE10hipError_tPvRmT1_PNSt15iterator_traitsISK_E10value_typeET2_T3_PNSL_ISQ_E10value_typeET4_jRbjT5_SW_jjP12ihipStream_tbEUlT_E0_NS1_11comp_targetILNS1_3genE9ELNS1_11target_archE1100ELNS1_3gpuE3ELNS1_3repE0EEENS1_60segmented_radix_sort_warp_sort_medium_config_static_selectorELNS0_4arch9wavefront6targetE0EEEvSK_,"axG",@progbits,_ZN7rocprim17ROCPRIM_400000_NS6detail17trampoline_kernelINS0_14default_configENS1_36segmented_radix_sort_config_selectorIflEEZNS1_25segmented_radix_sort_implIS3_Lb1EPKfPfPKlPlN2at6native12_GLOBAL__N_18offset_tEEE10hipError_tPvRmT1_PNSt15iterator_traitsISK_E10value_typeET2_T3_PNSL_ISQ_E10value_typeET4_jRbjT5_SW_jjP12ihipStream_tbEUlT_E0_NS1_11comp_targetILNS1_3genE9ELNS1_11target_archE1100ELNS1_3gpuE3ELNS1_3repE0EEENS1_60segmented_radix_sort_warp_sort_medium_config_static_selectorELNS0_4arch9wavefront6targetE0EEEvSK_,comdat
	.globl	_ZN7rocprim17ROCPRIM_400000_NS6detail17trampoline_kernelINS0_14default_configENS1_36segmented_radix_sort_config_selectorIflEEZNS1_25segmented_radix_sort_implIS3_Lb1EPKfPfPKlPlN2at6native12_GLOBAL__N_18offset_tEEE10hipError_tPvRmT1_PNSt15iterator_traitsISK_E10value_typeET2_T3_PNSL_ISQ_E10value_typeET4_jRbjT5_SW_jjP12ihipStream_tbEUlT_E0_NS1_11comp_targetILNS1_3genE9ELNS1_11target_archE1100ELNS1_3gpuE3ELNS1_3repE0EEENS1_60segmented_radix_sort_warp_sort_medium_config_static_selectorELNS0_4arch9wavefront6targetE0EEEvSK_ ; -- Begin function _ZN7rocprim17ROCPRIM_400000_NS6detail17trampoline_kernelINS0_14default_configENS1_36segmented_radix_sort_config_selectorIflEEZNS1_25segmented_radix_sort_implIS3_Lb1EPKfPfPKlPlN2at6native12_GLOBAL__N_18offset_tEEE10hipError_tPvRmT1_PNSt15iterator_traitsISK_E10value_typeET2_T3_PNSL_ISQ_E10value_typeET4_jRbjT5_SW_jjP12ihipStream_tbEUlT_E0_NS1_11comp_targetILNS1_3genE9ELNS1_11target_archE1100ELNS1_3gpuE3ELNS1_3repE0EEENS1_60segmented_radix_sort_warp_sort_medium_config_static_selectorELNS0_4arch9wavefront6targetE0EEEvSK_
	.p2align	8
	.type	_ZN7rocprim17ROCPRIM_400000_NS6detail17trampoline_kernelINS0_14default_configENS1_36segmented_radix_sort_config_selectorIflEEZNS1_25segmented_radix_sort_implIS3_Lb1EPKfPfPKlPlN2at6native12_GLOBAL__N_18offset_tEEE10hipError_tPvRmT1_PNSt15iterator_traitsISK_E10value_typeET2_T3_PNSL_ISQ_E10value_typeET4_jRbjT5_SW_jjP12ihipStream_tbEUlT_E0_NS1_11comp_targetILNS1_3genE9ELNS1_11target_archE1100ELNS1_3gpuE3ELNS1_3repE0EEENS1_60segmented_radix_sort_warp_sort_medium_config_static_selectorELNS0_4arch9wavefront6targetE0EEEvSK_,@function
_ZN7rocprim17ROCPRIM_400000_NS6detail17trampoline_kernelINS0_14default_configENS1_36segmented_radix_sort_config_selectorIflEEZNS1_25segmented_radix_sort_implIS3_Lb1EPKfPfPKlPlN2at6native12_GLOBAL__N_18offset_tEEE10hipError_tPvRmT1_PNSt15iterator_traitsISK_E10value_typeET2_T3_PNSL_ISQ_E10value_typeET4_jRbjT5_SW_jjP12ihipStream_tbEUlT_E0_NS1_11comp_targetILNS1_3genE9ELNS1_11target_archE1100ELNS1_3gpuE3ELNS1_3repE0EEENS1_60segmented_radix_sort_warp_sort_medium_config_static_selectorELNS0_4arch9wavefront6targetE0EEEvSK_: ; @_ZN7rocprim17ROCPRIM_400000_NS6detail17trampoline_kernelINS0_14default_configENS1_36segmented_radix_sort_config_selectorIflEEZNS1_25segmented_radix_sort_implIS3_Lb1EPKfPfPKlPlN2at6native12_GLOBAL__N_18offset_tEEE10hipError_tPvRmT1_PNSt15iterator_traitsISK_E10value_typeET2_T3_PNSL_ISQ_E10value_typeET4_jRbjT5_SW_jjP12ihipStream_tbEUlT_E0_NS1_11comp_targetILNS1_3genE9ELNS1_11target_archE1100ELNS1_3gpuE3ELNS1_3repE0EEENS1_60segmented_radix_sort_warp_sort_medium_config_static_selectorELNS0_4arch9wavefront6targetE0EEEvSK_
; %bb.0:
	s_load_b32 s2, s[0:1], 0x64
	v_bfe_u32 v1, v0, 10, 10
	v_bfe_u32 v2, v0, 20, 10
	s_mov_b32 s32, 0
	s_waitcnt lgkmcnt(0)
	s_lshr_b32 s3, s2, 16
	s_and_b32 s2, s2, 0xffff
	v_mad_u32_u24 v4, v2, s3, v1
	v_and_b32_e32 v1, 0x3ff, v0
	s_load_b32 s3, s[0:1], 0x34
	s_delay_alu instid0(VALU_DEP_1) | instskip(SKIP_1) | instid1(VALU_DEP_1)
	v_mad_u64_u32 v[2:3], null, v4, s2, v[1:2]
	s_mov_b32 s2, exec_lo
	v_lshrrev_b32_e32 v1, 4, v2
	s_delay_alu instid0(VALU_DEP_1) | instskip(SKIP_1) | instid1(VALU_DEP_1)
	v_lshl_add_u32 v1, s14, 4, v1
	s_waitcnt lgkmcnt(0)
	v_cmpx_gt_u32_e64 s3, v1
	s_cbranch_execz .LBB1343_6
; %bb.1:
	s_clause 0x1
	s_load_b64 s[2:3], s[0:1], 0x38
	s_load_b128 s[4:7], s[0:1], 0x40
	v_mov_b32_e32 v2, 0
	s_delay_alu instid0(VALU_DEP_1) | instskip(SKIP_1) | instid1(VALU_DEP_1)
	v_lshlrev_b64 v[1:2], 2, v[1:2]
	s_waitcnt lgkmcnt(0)
	v_add_co_u32 v1, vcc_lo, s2, v1
	s_delay_alu instid0(VALU_DEP_2) | instskip(SKIP_4) | instid1(VALU_DEP_2)
	v_add_co_ci_u32_e32 v2, vcc_lo, s3, v2, vcc_lo
	global_load_b32 v1, v[1:2], off
	s_waitcnt vmcnt(0)
	v_add_nc_u32_e32 v2, s5, v1
	v_add_nc_u32_e32 v1, s7, v1
	v_mul_lo_u32 v40, v2, s4
	s_delay_alu instid0(VALU_DEP_2) | instskip(NEXT) | instid1(VALU_DEP_1)
	v_mul_lo_u32 v41, v1, s6
	v_cmp_gt_u32_e32 vcc_lo, v41, v40
	s_and_b32 exec_lo, exec_lo, vcc_lo
	s_cbranch_execz .LBB1343_6
; %bb.2:
	s_clause 0x2
	s_load_b32 s2, s[0:1], 0x30
	s_load_b128 s[36:39], s[0:1], 0x20
	s_load_b256 s[20:27], s[0:1], 0x0
	s_waitcnt lgkmcnt(0)
	s_bitcmp0_b32 s2, 0
	s_mov_b32 s2, -1
	s_cbranch_scc0 .LBB1343_4
; %bb.3:
	v_mov_b32_e32 v31, v0
	v_dual_mov_b32 v42, v0 :: v_dual_mov_b32 v1, s21
	v_mov_b32_e32 v0, s20
	v_dual_mov_b32 v2, s22 :: v_dual_mov_b32 v3, s23
	v_dual_mov_b32 v4, s26 :: v_dual_mov_b32 v5, s27
	;; [unrolled: 1-line block ×4, first 2 shown]
	s_add_u32 s8, s0, 0x58
	s_addc_u32 s9, s1, 0
	s_mov_b32 s12, s14
	s_mov_b32 s13, s15
	s_getpc_b64 s[2:3]
	s_add_u32 s2, s2, _ZN7rocprim17ROCPRIM_400000_NS6detail26segmented_warp_sort_helperINS1_20WarpSortHelperConfigILj16ELj8ELj256EEEflLi256ELb1EvE4sortIPKfPfPKlPlEEvT_T0_T1_T2_jjjjRNS5_12storage_typeE@rel32@lo+4
	s_addc_u32 s3, s3, _ZN7rocprim17ROCPRIM_400000_NS6detail26segmented_warp_sort_helperINS1_20WarpSortHelperConfigILj16ELj8ELj256EEEflLi256ELb1EvE4sortIPKfPfPKlPlEEvT_T0_T1_T2_jjjjRNS5_12storage_typeE@rel32@hi+12
	s_mov_b64 s[22:23], s[0:1]
	s_mov_b32 s19, s15
	s_mov_b32 s28, s14
	s_swappc_b64 s[30:31], s[2:3]
	v_mov_b32_e32 v0, v42
	s_mov_b32 s14, s28
	s_mov_b32 s15, s19
	s_mov_b64 s[0:1], s[22:23]
	s_mov_b32 s2, 0
.LBB1343_4:
	s_delay_alu instid0(SALU_CYCLE_1)
	s_and_not1_b32 vcc_lo, exec_lo, s2
	s_cbranch_vccnz .LBB1343_6
; %bb.5:
	v_dual_mov_b32 v31, v0 :: v_dual_mov_b32 v0, s20
	v_dual_mov_b32 v1, s21 :: v_dual_mov_b32 v2, s24
	;; [unrolled: 1-line block ×5, first 2 shown]
	v_mov_b32_e32 v9, v41
	s_add_u32 s8, s0, 0x58
	s_addc_u32 s9, s1, 0
	s_mov_b32 s12, s14
	s_mov_b32 s13, s15
	s_getpc_b64 s[0:1]
	s_add_u32 s0, s0, _ZN7rocprim17ROCPRIM_400000_NS6detail26segmented_warp_sort_helperINS1_20WarpSortHelperConfigILj16ELj8ELj256EEEflLi256ELb1EvE4sortIPKfPfPKlPlEEvT_T0_T1_T2_jjjjRNS5_12storage_typeE@rel32@lo+4
	s_addc_u32 s1, s1, _ZN7rocprim17ROCPRIM_400000_NS6detail26segmented_warp_sort_helperINS1_20WarpSortHelperConfigILj16ELj8ELj256EEEflLi256ELb1EvE4sortIPKfPfPKlPlEEvT_T0_T1_T2_jjjjRNS5_12storage_typeE@rel32@hi+12
	s_delay_alu instid0(SALU_CYCLE_1)
	s_swappc_b64 s[30:31], s[0:1]
.LBB1343_6:
	s_endpgm
	.section	.rodata,"a",@progbits
	.p2align	6, 0x0
	.amdhsa_kernel _ZN7rocprim17ROCPRIM_400000_NS6detail17trampoline_kernelINS0_14default_configENS1_36segmented_radix_sort_config_selectorIflEEZNS1_25segmented_radix_sort_implIS3_Lb1EPKfPfPKlPlN2at6native12_GLOBAL__N_18offset_tEEE10hipError_tPvRmT1_PNSt15iterator_traitsISK_E10value_typeET2_T3_PNSL_ISQ_E10value_typeET4_jRbjT5_SW_jjP12ihipStream_tbEUlT_E0_NS1_11comp_targetILNS1_3genE9ELNS1_11target_archE1100ELNS1_3gpuE3ELNS1_3repE0EEENS1_60segmented_radix_sort_warp_sort_medium_config_static_selectorELNS0_4arch9wavefront6targetE0EEEvSK_
		.amdhsa_group_segment_fixed_size 24576
		.amdhsa_private_segment_fixed_size 0
		.amdhsa_kernarg_size 344
		.amdhsa_user_sgpr_count 14
		.amdhsa_user_sgpr_dispatch_ptr 0
		.amdhsa_user_sgpr_queue_ptr 0
		.amdhsa_user_sgpr_kernarg_segment_ptr 1
		.amdhsa_user_sgpr_dispatch_id 0
		.amdhsa_user_sgpr_private_segment_size 0
		.amdhsa_wavefront_size32 1
		.amdhsa_uses_dynamic_stack 0
		.amdhsa_enable_private_segment 0
		.amdhsa_system_sgpr_workgroup_id_x 1
		.amdhsa_system_sgpr_workgroup_id_y 1
		.amdhsa_system_sgpr_workgroup_id_z 0
		.amdhsa_system_sgpr_workgroup_info 0
		.amdhsa_system_vgpr_workitem_id 2
		.amdhsa_next_free_vgpr 88
		.amdhsa_next_free_sgpr 40
		.amdhsa_reserve_vcc 1
		.amdhsa_float_round_mode_32 0
		.amdhsa_float_round_mode_16_64 0
		.amdhsa_float_denorm_mode_32 3
		.amdhsa_float_denorm_mode_16_64 3
		.amdhsa_dx10_clamp 1
		.amdhsa_ieee_mode 1
		.amdhsa_fp16_overflow 0
		.amdhsa_workgroup_processor_mode 1
		.amdhsa_memory_ordered 1
		.amdhsa_forward_progress 0
		.amdhsa_shared_vgpr_count 0
		.amdhsa_exception_fp_ieee_invalid_op 0
		.amdhsa_exception_fp_denorm_src 0
		.amdhsa_exception_fp_ieee_div_zero 0
		.amdhsa_exception_fp_ieee_overflow 0
		.amdhsa_exception_fp_ieee_underflow 0
		.amdhsa_exception_fp_ieee_inexact 0
		.amdhsa_exception_int_div_zero 0
	.end_amdhsa_kernel
	.section	.text._ZN7rocprim17ROCPRIM_400000_NS6detail17trampoline_kernelINS0_14default_configENS1_36segmented_radix_sort_config_selectorIflEEZNS1_25segmented_radix_sort_implIS3_Lb1EPKfPfPKlPlN2at6native12_GLOBAL__N_18offset_tEEE10hipError_tPvRmT1_PNSt15iterator_traitsISK_E10value_typeET2_T3_PNSL_ISQ_E10value_typeET4_jRbjT5_SW_jjP12ihipStream_tbEUlT_E0_NS1_11comp_targetILNS1_3genE9ELNS1_11target_archE1100ELNS1_3gpuE3ELNS1_3repE0EEENS1_60segmented_radix_sort_warp_sort_medium_config_static_selectorELNS0_4arch9wavefront6targetE0EEEvSK_,"axG",@progbits,_ZN7rocprim17ROCPRIM_400000_NS6detail17trampoline_kernelINS0_14default_configENS1_36segmented_radix_sort_config_selectorIflEEZNS1_25segmented_radix_sort_implIS3_Lb1EPKfPfPKlPlN2at6native12_GLOBAL__N_18offset_tEEE10hipError_tPvRmT1_PNSt15iterator_traitsISK_E10value_typeET2_T3_PNSL_ISQ_E10value_typeET4_jRbjT5_SW_jjP12ihipStream_tbEUlT_E0_NS1_11comp_targetILNS1_3genE9ELNS1_11target_archE1100ELNS1_3gpuE3ELNS1_3repE0EEENS1_60segmented_radix_sort_warp_sort_medium_config_static_selectorELNS0_4arch9wavefront6targetE0EEEvSK_,comdat
.Lfunc_end1343:
	.size	_ZN7rocprim17ROCPRIM_400000_NS6detail17trampoline_kernelINS0_14default_configENS1_36segmented_radix_sort_config_selectorIflEEZNS1_25segmented_radix_sort_implIS3_Lb1EPKfPfPKlPlN2at6native12_GLOBAL__N_18offset_tEEE10hipError_tPvRmT1_PNSt15iterator_traitsISK_E10value_typeET2_T3_PNSL_ISQ_E10value_typeET4_jRbjT5_SW_jjP12ihipStream_tbEUlT_E0_NS1_11comp_targetILNS1_3genE9ELNS1_11target_archE1100ELNS1_3gpuE3ELNS1_3repE0EEENS1_60segmented_radix_sort_warp_sort_medium_config_static_selectorELNS0_4arch9wavefront6targetE0EEEvSK_, .Lfunc_end1343-_ZN7rocprim17ROCPRIM_400000_NS6detail17trampoline_kernelINS0_14default_configENS1_36segmented_radix_sort_config_selectorIflEEZNS1_25segmented_radix_sort_implIS3_Lb1EPKfPfPKlPlN2at6native12_GLOBAL__N_18offset_tEEE10hipError_tPvRmT1_PNSt15iterator_traitsISK_E10value_typeET2_T3_PNSL_ISQ_E10value_typeET4_jRbjT5_SW_jjP12ihipStream_tbEUlT_E0_NS1_11comp_targetILNS1_3genE9ELNS1_11target_archE1100ELNS1_3gpuE3ELNS1_3repE0EEENS1_60segmented_radix_sort_warp_sort_medium_config_static_selectorELNS0_4arch9wavefront6targetE0EEEvSK_
                                        ; -- End function
	.section	.AMDGPU.csdata,"",@progbits
; Kernel info:
; codeLenInByte = 500
; NumSgprs: 42
; NumVgprs: 88
; ScratchSize: 0
; MemoryBound: 0
; FloatMode: 240
; IeeeMode: 1
; LDSByteSize: 24576 bytes/workgroup (compile time only)
; SGPRBlocks: 5
; VGPRBlocks: 10
; NumSGPRsForWavesPerEU: 42
; NumVGPRsForWavesPerEU: 88
; Occupancy: 10
; WaveLimiterHint : 0
; COMPUTE_PGM_RSRC2:SCRATCH_EN: 0
; COMPUTE_PGM_RSRC2:USER_SGPR: 14
; COMPUTE_PGM_RSRC2:TRAP_HANDLER: 0
; COMPUTE_PGM_RSRC2:TGID_X_EN: 1
; COMPUTE_PGM_RSRC2:TGID_Y_EN: 1
; COMPUTE_PGM_RSRC2:TGID_Z_EN: 0
; COMPUTE_PGM_RSRC2:TIDIG_COMP_CNT: 2
	.section	.text._ZN7rocprim17ROCPRIM_400000_NS6detail17trampoline_kernelINS0_14default_configENS1_36segmented_radix_sort_config_selectorIflEEZNS1_25segmented_radix_sort_implIS3_Lb1EPKfPfPKlPlN2at6native12_GLOBAL__N_18offset_tEEE10hipError_tPvRmT1_PNSt15iterator_traitsISK_E10value_typeET2_T3_PNSL_ISQ_E10value_typeET4_jRbjT5_SW_jjP12ihipStream_tbEUlT_E0_NS1_11comp_targetILNS1_3genE8ELNS1_11target_archE1030ELNS1_3gpuE2ELNS1_3repE0EEENS1_60segmented_radix_sort_warp_sort_medium_config_static_selectorELNS0_4arch9wavefront6targetE0EEEvSK_,"axG",@progbits,_ZN7rocprim17ROCPRIM_400000_NS6detail17trampoline_kernelINS0_14default_configENS1_36segmented_radix_sort_config_selectorIflEEZNS1_25segmented_radix_sort_implIS3_Lb1EPKfPfPKlPlN2at6native12_GLOBAL__N_18offset_tEEE10hipError_tPvRmT1_PNSt15iterator_traitsISK_E10value_typeET2_T3_PNSL_ISQ_E10value_typeET4_jRbjT5_SW_jjP12ihipStream_tbEUlT_E0_NS1_11comp_targetILNS1_3genE8ELNS1_11target_archE1030ELNS1_3gpuE2ELNS1_3repE0EEENS1_60segmented_radix_sort_warp_sort_medium_config_static_selectorELNS0_4arch9wavefront6targetE0EEEvSK_,comdat
	.globl	_ZN7rocprim17ROCPRIM_400000_NS6detail17trampoline_kernelINS0_14default_configENS1_36segmented_radix_sort_config_selectorIflEEZNS1_25segmented_radix_sort_implIS3_Lb1EPKfPfPKlPlN2at6native12_GLOBAL__N_18offset_tEEE10hipError_tPvRmT1_PNSt15iterator_traitsISK_E10value_typeET2_T3_PNSL_ISQ_E10value_typeET4_jRbjT5_SW_jjP12ihipStream_tbEUlT_E0_NS1_11comp_targetILNS1_3genE8ELNS1_11target_archE1030ELNS1_3gpuE2ELNS1_3repE0EEENS1_60segmented_radix_sort_warp_sort_medium_config_static_selectorELNS0_4arch9wavefront6targetE0EEEvSK_ ; -- Begin function _ZN7rocprim17ROCPRIM_400000_NS6detail17trampoline_kernelINS0_14default_configENS1_36segmented_radix_sort_config_selectorIflEEZNS1_25segmented_radix_sort_implIS3_Lb1EPKfPfPKlPlN2at6native12_GLOBAL__N_18offset_tEEE10hipError_tPvRmT1_PNSt15iterator_traitsISK_E10value_typeET2_T3_PNSL_ISQ_E10value_typeET4_jRbjT5_SW_jjP12ihipStream_tbEUlT_E0_NS1_11comp_targetILNS1_3genE8ELNS1_11target_archE1030ELNS1_3gpuE2ELNS1_3repE0EEENS1_60segmented_radix_sort_warp_sort_medium_config_static_selectorELNS0_4arch9wavefront6targetE0EEEvSK_
	.p2align	8
	.type	_ZN7rocprim17ROCPRIM_400000_NS6detail17trampoline_kernelINS0_14default_configENS1_36segmented_radix_sort_config_selectorIflEEZNS1_25segmented_radix_sort_implIS3_Lb1EPKfPfPKlPlN2at6native12_GLOBAL__N_18offset_tEEE10hipError_tPvRmT1_PNSt15iterator_traitsISK_E10value_typeET2_T3_PNSL_ISQ_E10value_typeET4_jRbjT5_SW_jjP12ihipStream_tbEUlT_E0_NS1_11comp_targetILNS1_3genE8ELNS1_11target_archE1030ELNS1_3gpuE2ELNS1_3repE0EEENS1_60segmented_radix_sort_warp_sort_medium_config_static_selectorELNS0_4arch9wavefront6targetE0EEEvSK_,@function
_ZN7rocprim17ROCPRIM_400000_NS6detail17trampoline_kernelINS0_14default_configENS1_36segmented_radix_sort_config_selectorIflEEZNS1_25segmented_radix_sort_implIS3_Lb1EPKfPfPKlPlN2at6native12_GLOBAL__N_18offset_tEEE10hipError_tPvRmT1_PNSt15iterator_traitsISK_E10value_typeET2_T3_PNSL_ISQ_E10value_typeET4_jRbjT5_SW_jjP12ihipStream_tbEUlT_E0_NS1_11comp_targetILNS1_3genE8ELNS1_11target_archE1030ELNS1_3gpuE2ELNS1_3repE0EEENS1_60segmented_radix_sort_warp_sort_medium_config_static_selectorELNS0_4arch9wavefront6targetE0EEEvSK_: ; @_ZN7rocprim17ROCPRIM_400000_NS6detail17trampoline_kernelINS0_14default_configENS1_36segmented_radix_sort_config_selectorIflEEZNS1_25segmented_radix_sort_implIS3_Lb1EPKfPfPKlPlN2at6native12_GLOBAL__N_18offset_tEEE10hipError_tPvRmT1_PNSt15iterator_traitsISK_E10value_typeET2_T3_PNSL_ISQ_E10value_typeET4_jRbjT5_SW_jjP12ihipStream_tbEUlT_E0_NS1_11comp_targetILNS1_3genE8ELNS1_11target_archE1030ELNS1_3gpuE2ELNS1_3repE0EEENS1_60segmented_radix_sort_warp_sort_medium_config_static_selectorELNS0_4arch9wavefront6targetE0EEEvSK_
; %bb.0:
	.section	.rodata,"a",@progbits
	.p2align	6, 0x0
	.amdhsa_kernel _ZN7rocprim17ROCPRIM_400000_NS6detail17trampoline_kernelINS0_14default_configENS1_36segmented_radix_sort_config_selectorIflEEZNS1_25segmented_radix_sort_implIS3_Lb1EPKfPfPKlPlN2at6native12_GLOBAL__N_18offset_tEEE10hipError_tPvRmT1_PNSt15iterator_traitsISK_E10value_typeET2_T3_PNSL_ISQ_E10value_typeET4_jRbjT5_SW_jjP12ihipStream_tbEUlT_E0_NS1_11comp_targetILNS1_3genE8ELNS1_11target_archE1030ELNS1_3gpuE2ELNS1_3repE0EEENS1_60segmented_radix_sort_warp_sort_medium_config_static_selectorELNS0_4arch9wavefront6targetE0EEEvSK_
		.amdhsa_group_segment_fixed_size 0
		.amdhsa_private_segment_fixed_size 0
		.amdhsa_kernarg_size 88
		.amdhsa_user_sgpr_count 15
		.amdhsa_user_sgpr_dispatch_ptr 0
		.amdhsa_user_sgpr_queue_ptr 0
		.amdhsa_user_sgpr_kernarg_segment_ptr 1
		.amdhsa_user_sgpr_dispatch_id 0
		.amdhsa_user_sgpr_private_segment_size 0
		.amdhsa_wavefront_size32 1
		.amdhsa_uses_dynamic_stack 0
		.amdhsa_enable_private_segment 0
		.amdhsa_system_sgpr_workgroup_id_x 1
		.amdhsa_system_sgpr_workgroup_id_y 0
		.amdhsa_system_sgpr_workgroup_id_z 0
		.amdhsa_system_sgpr_workgroup_info 0
		.amdhsa_system_vgpr_workitem_id 0
		.amdhsa_next_free_vgpr 1
		.amdhsa_next_free_sgpr 1
		.amdhsa_reserve_vcc 0
		.amdhsa_float_round_mode_32 0
		.amdhsa_float_round_mode_16_64 0
		.amdhsa_float_denorm_mode_32 3
		.amdhsa_float_denorm_mode_16_64 3
		.amdhsa_dx10_clamp 1
		.amdhsa_ieee_mode 1
		.amdhsa_fp16_overflow 0
		.amdhsa_workgroup_processor_mode 1
		.amdhsa_memory_ordered 1
		.amdhsa_forward_progress 0
		.amdhsa_shared_vgpr_count 0
		.amdhsa_exception_fp_ieee_invalid_op 0
		.amdhsa_exception_fp_denorm_src 0
		.amdhsa_exception_fp_ieee_div_zero 0
		.amdhsa_exception_fp_ieee_overflow 0
		.amdhsa_exception_fp_ieee_underflow 0
		.amdhsa_exception_fp_ieee_inexact 0
		.amdhsa_exception_int_div_zero 0
	.end_amdhsa_kernel
	.section	.text._ZN7rocprim17ROCPRIM_400000_NS6detail17trampoline_kernelINS0_14default_configENS1_36segmented_radix_sort_config_selectorIflEEZNS1_25segmented_radix_sort_implIS3_Lb1EPKfPfPKlPlN2at6native12_GLOBAL__N_18offset_tEEE10hipError_tPvRmT1_PNSt15iterator_traitsISK_E10value_typeET2_T3_PNSL_ISQ_E10value_typeET4_jRbjT5_SW_jjP12ihipStream_tbEUlT_E0_NS1_11comp_targetILNS1_3genE8ELNS1_11target_archE1030ELNS1_3gpuE2ELNS1_3repE0EEENS1_60segmented_radix_sort_warp_sort_medium_config_static_selectorELNS0_4arch9wavefront6targetE0EEEvSK_,"axG",@progbits,_ZN7rocprim17ROCPRIM_400000_NS6detail17trampoline_kernelINS0_14default_configENS1_36segmented_radix_sort_config_selectorIflEEZNS1_25segmented_radix_sort_implIS3_Lb1EPKfPfPKlPlN2at6native12_GLOBAL__N_18offset_tEEE10hipError_tPvRmT1_PNSt15iterator_traitsISK_E10value_typeET2_T3_PNSL_ISQ_E10value_typeET4_jRbjT5_SW_jjP12ihipStream_tbEUlT_E0_NS1_11comp_targetILNS1_3genE8ELNS1_11target_archE1030ELNS1_3gpuE2ELNS1_3repE0EEENS1_60segmented_radix_sort_warp_sort_medium_config_static_selectorELNS0_4arch9wavefront6targetE0EEEvSK_,comdat
.Lfunc_end1344:
	.size	_ZN7rocprim17ROCPRIM_400000_NS6detail17trampoline_kernelINS0_14default_configENS1_36segmented_radix_sort_config_selectorIflEEZNS1_25segmented_radix_sort_implIS3_Lb1EPKfPfPKlPlN2at6native12_GLOBAL__N_18offset_tEEE10hipError_tPvRmT1_PNSt15iterator_traitsISK_E10value_typeET2_T3_PNSL_ISQ_E10value_typeET4_jRbjT5_SW_jjP12ihipStream_tbEUlT_E0_NS1_11comp_targetILNS1_3genE8ELNS1_11target_archE1030ELNS1_3gpuE2ELNS1_3repE0EEENS1_60segmented_radix_sort_warp_sort_medium_config_static_selectorELNS0_4arch9wavefront6targetE0EEEvSK_, .Lfunc_end1344-_ZN7rocprim17ROCPRIM_400000_NS6detail17trampoline_kernelINS0_14default_configENS1_36segmented_radix_sort_config_selectorIflEEZNS1_25segmented_radix_sort_implIS3_Lb1EPKfPfPKlPlN2at6native12_GLOBAL__N_18offset_tEEE10hipError_tPvRmT1_PNSt15iterator_traitsISK_E10value_typeET2_T3_PNSL_ISQ_E10value_typeET4_jRbjT5_SW_jjP12ihipStream_tbEUlT_E0_NS1_11comp_targetILNS1_3genE8ELNS1_11target_archE1030ELNS1_3gpuE2ELNS1_3repE0EEENS1_60segmented_radix_sort_warp_sort_medium_config_static_selectorELNS0_4arch9wavefront6targetE0EEEvSK_
                                        ; -- End function
	.section	.AMDGPU.csdata,"",@progbits
; Kernel info:
; codeLenInByte = 0
; NumSgprs: 0
; NumVgprs: 0
; ScratchSize: 0
; MemoryBound: 0
; FloatMode: 240
; IeeeMode: 1
; LDSByteSize: 0 bytes/workgroup (compile time only)
; SGPRBlocks: 0
; VGPRBlocks: 0
; NumSGPRsForWavesPerEU: 1
; NumVGPRsForWavesPerEU: 1
; Occupancy: 16
; WaveLimiterHint : 0
; COMPUTE_PGM_RSRC2:SCRATCH_EN: 0
; COMPUTE_PGM_RSRC2:USER_SGPR: 15
; COMPUTE_PGM_RSRC2:TRAP_HANDLER: 0
; COMPUTE_PGM_RSRC2:TGID_X_EN: 1
; COMPUTE_PGM_RSRC2:TGID_Y_EN: 0
; COMPUTE_PGM_RSRC2:TGID_Z_EN: 0
; COMPUTE_PGM_RSRC2:TIDIG_COMP_CNT: 0
	.section	.text._ZN7rocprim17ROCPRIM_400000_NS6detail17trampoline_kernelINS0_14default_configENS1_36segmented_radix_sort_config_selectorIflEEZNS1_25segmented_radix_sort_implIS3_Lb1EPKfPfPKlPlN2at6native12_GLOBAL__N_18offset_tEEE10hipError_tPvRmT1_PNSt15iterator_traitsISK_E10value_typeET2_T3_PNSL_ISQ_E10value_typeET4_jRbjT5_SW_jjP12ihipStream_tbEUlT_E1_NS1_11comp_targetILNS1_3genE0ELNS1_11target_archE4294967295ELNS1_3gpuE0ELNS1_3repE0EEENS1_59segmented_radix_sort_warp_sort_small_config_static_selectorELNS0_4arch9wavefront6targetE0EEEvSK_,"axG",@progbits,_ZN7rocprim17ROCPRIM_400000_NS6detail17trampoline_kernelINS0_14default_configENS1_36segmented_radix_sort_config_selectorIflEEZNS1_25segmented_radix_sort_implIS3_Lb1EPKfPfPKlPlN2at6native12_GLOBAL__N_18offset_tEEE10hipError_tPvRmT1_PNSt15iterator_traitsISK_E10value_typeET2_T3_PNSL_ISQ_E10value_typeET4_jRbjT5_SW_jjP12ihipStream_tbEUlT_E1_NS1_11comp_targetILNS1_3genE0ELNS1_11target_archE4294967295ELNS1_3gpuE0ELNS1_3repE0EEENS1_59segmented_radix_sort_warp_sort_small_config_static_selectorELNS0_4arch9wavefront6targetE0EEEvSK_,comdat
	.globl	_ZN7rocprim17ROCPRIM_400000_NS6detail17trampoline_kernelINS0_14default_configENS1_36segmented_radix_sort_config_selectorIflEEZNS1_25segmented_radix_sort_implIS3_Lb1EPKfPfPKlPlN2at6native12_GLOBAL__N_18offset_tEEE10hipError_tPvRmT1_PNSt15iterator_traitsISK_E10value_typeET2_T3_PNSL_ISQ_E10value_typeET4_jRbjT5_SW_jjP12ihipStream_tbEUlT_E1_NS1_11comp_targetILNS1_3genE0ELNS1_11target_archE4294967295ELNS1_3gpuE0ELNS1_3repE0EEENS1_59segmented_radix_sort_warp_sort_small_config_static_selectorELNS0_4arch9wavefront6targetE0EEEvSK_ ; -- Begin function _ZN7rocprim17ROCPRIM_400000_NS6detail17trampoline_kernelINS0_14default_configENS1_36segmented_radix_sort_config_selectorIflEEZNS1_25segmented_radix_sort_implIS3_Lb1EPKfPfPKlPlN2at6native12_GLOBAL__N_18offset_tEEE10hipError_tPvRmT1_PNSt15iterator_traitsISK_E10value_typeET2_T3_PNSL_ISQ_E10value_typeET4_jRbjT5_SW_jjP12ihipStream_tbEUlT_E1_NS1_11comp_targetILNS1_3genE0ELNS1_11target_archE4294967295ELNS1_3gpuE0ELNS1_3repE0EEENS1_59segmented_radix_sort_warp_sort_small_config_static_selectorELNS0_4arch9wavefront6targetE0EEEvSK_
	.p2align	8
	.type	_ZN7rocprim17ROCPRIM_400000_NS6detail17trampoline_kernelINS0_14default_configENS1_36segmented_radix_sort_config_selectorIflEEZNS1_25segmented_radix_sort_implIS3_Lb1EPKfPfPKlPlN2at6native12_GLOBAL__N_18offset_tEEE10hipError_tPvRmT1_PNSt15iterator_traitsISK_E10value_typeET2_T3_PNSL_ISQ_E10value_typeET4_jRbjT5_SW_jjP12ihipStream_tbEUlT_E1_NS1_11comp_targetILNS1_3genE0ELNS1_11target_archE4294967295ELNS1_3gpuE0ELNS1_3repE0EEENS1_59segmented_radix_sort_warp_sort_small_config_static_selectorELNS0_4arch9wavefront6targetE0EEEvSK_,@function
_ZN7rocprim17ROCPRIM_400000_NS6detail17trampoline_kernelINS0_14default_configENS1_36segmented_radix_sort_config_selectorIflEEZNS1_25segmented_radix_sort_implIS3_Lb1EPKfPfPKlPlN2at6native12_GLOBAL__N_18offset_tEEE10hipError_tPvRmT1_PNSt15iterator_traitsISK_E10value_typeET2_T3_PNSL_ISQ_E10value_typeET4_jRbjT5_SW_jjP12ihipStream_tbEUlT_E1_NS1_11comp_targetILNS1_3genE0ELNS1_11target_archE4294967295ELNS1_3gpuE0ELNS1_3repE0EEENS1_59segmented_radix_sort_warp_sort_small_config_static_selectorELNS0_4arch9wavefront6targetE0EEEvSK_: ; @_ZN7rocprim17ROCPRIM_400000_NS6detail17trampoline_kernelINS0_14default_configENS1_36segmented_radix_sort_config_selectorIflEEZNS1_25segmented_radix_sort_implIS3_Lb1EPKfPfPKlPlN2at6native12_GLOBAL__N_18offset_tEEE10hipError_tPvRmT1_PNSt15iterator_traitsISK_E10value_typeET2_T3_PNSL_ISQ_E10value_typeET4_jRbjT5_SW_jjP12ihipStream_tbEUlT_E1_NS1_11comp_targetILNS1_3genE0ELNS1_11target_archE4294967295ELNS1_3gpuE0ELNS1_3repE0EEENS1_59segmented_radix_sort_warp_sort_small_config_static_selectorELNS0_4arch9wavefront6targetE0EEEvSK_
; %bb.0:
	.section	.rodata,"a",@progbits
	.p2align	6, 0x0
	.amdhsa_kernel _ZN7rocprim17ROCPRIM_400000_NS6detail17trampoline_kernelINS0_14default_configENS1_36segmented_radix_sort_config_selectorIflEEZNS1_25segmented_radix_sort_implIS3_Lb1EPKfPfPKlPlN2at6native12_GLOBAL__N_18offset_tEEE10hipError_tPvRmT1_PNSt15iterator_traitsISK_E10value_typeET2_T3_PNSL_ISQ_E10value_typeET4_jRbjT5_SW_jjP12ihipStream_tbEUlT_E1_NS1_11comp_targetILNS1_3genE0ELNS1_11target_archE4294967295ELNS1_3gpuE0ELNS1_3repE0EEENS1_59segmented_radix_sort_warp_sort_small_config_static_selectorELNS0_4arch9wavefront6targetE0EEEvSK_
		.amdhsa_group_segment_fixed_size 0
		.amdhsa_private_segment_fixed_size 0
		.amdhsa_kernarg_size 88
		.amdhsa_user_sgpr_count 15
		.amdhsa_user_sgpr_dispatch_ptr 0
		.amdhsa_user_sgpr_queue_ptr 0
		.amdhsa_user_sgpr_kernarg_segment_ptr 1
		.amdhsa_user_sgpr_dispatch_id 0
		.amdhsa_user_sgpr_private_segment_size 0
		.amdhsa_wavefront_size32 1
		.amdhsa_uses_dynamic_stack 0
		.amdhsa_enable_private_segment 0
		.amdhsa_system_sgpr_workgroup_id_x 1
		.amdhsa_system_sgpr_workgroup_id_y 0
		.amdhsa_system_sgpr_workgroup_id_z 0
		.amdhsa_system_sgpr_workgroup_info 0
		.amdhsa_system_vgpr_workitem_id 0
		.amdhsa_next_free_vgpr 1
		.amdhsa_next_free_sgpr 1
		.amdhsa_reserve_vcc 0
		.amdhsa_float_round_mode_32 0
		.amdhsa_float_round_mode_16_64 0
		.amdhsa_float_denorm_mode_32 3
		.amdhsa_float_denorm_mode_16_64 3
		.amdhsa_dx10_clamp 1
		.amdhsa_ieee_mode 1
		.amdhsa_fp16_overflow 0
		.amdhsa_workgroup_processor_mode 1
		.amdhsa_memory_ordered 1
		.amdhsa_forward_progress 0
		.amdhsa_shared_vgpr_count 0
		.amdhsa_exception_fp_ieee_invalid_op 0
		.amdhsa_exception_fp_denorm_src 0
		.amdhsa_exception_fp_ieee_div_zero 0
		.amdhsa_exception_fp_ieee_overflow 0
		.amdhsa_exception_fp_ieee_underflow 0
		.amdhsa_exception_fp_ieee_inexact 0
		.amdhsa_exception_int_div_zero 0
	.end_amdhsa_kernel
	.section	.text._ZN7rocprim17ROCPRIM_400000_NS6detail17trampoline_kernelINS0_14default_configENS1_36segmented_radix_sort_config_selectorIflEEZNS1_25segmented_radix_sort_implIS3_Lb1EPKfPfPKlPlN2at6native12_GLOBAL__N_18offset_tEEE10hipError_tPvRmT1_PNSt15iterator_traitsISK_E10value_typeET2_T3_PNSL_ISQ_E10value_typeET4_jRbjT5_SW_jjP12ihipStream_tbEUlT_E1_NS1_11comp_targetILNS1_3genE0ELNS1_11target_archE4294967295ELNS1_3gpuE0ELNS1_3repE0EEENS1_59segmented_radix_sort_warp_sort_small_config_static_selectorELNS0_4arch9wavefront6targetE0EEEvSK_,"axG",@progbits,_ZN7rocprim17ROCPRIM_400000_NS6detail17trampoline_kernelINS0_14default_configENS1_36segmented_radix_sort_config_selectorIflEEZNS1_25segmented_radix_sort_implIS3_Lb1EPKfPfPKlPlN2at6native12_GLOBAL__N_18offset_tEEE10hipError_tPvRmT1_PNSt15iterator_traitsISK_E10value_typeET2_T3_PNSL_ISQ_E10value_typeET4_jRbjT5_SW_jjP12ihipStream_tbEUlT_E1_NS1_11comp_targetILNS1_3genE0ELNS1_11target_archE4294967295ELNS1_3gpuE0ELNS1_3repE0EEENS1_59segmented_radix_sort_warp_sort_small_config_static_selectorELNS0_4arch9wavefront6targetE0EEEvSK_,comdat
.Lfunc_end1345:
	.size	_ZN7rocprim17ROCPRIM_400000_NS6detail17trampoline_kernelINS0_14default_configENS1_36segmented_radix_sort_config_selectorIflEEZNS1_25segmented_radix_sort_implIS3_Lb1EPKfPfPKlPlN2at6native12_GLOBAL__N_18offset_tEEE10hipError_tPvRmT1_PNSt15iterator_traitsISK_E10value_typeET2_T3_PNSL_ISQ_E10value_typeET4_jRbjT5_SW_jjP12ihipStream_tbEUlT_E1_NS1_11comp_targetILNS1_3genE0ELNS1_11target_archE4294967295ELNS1_3gpuE0ELNS1_3repE0EEENS1_59segmented_radix_sort_warp_sort_small_config_static_selectorELNS0_4arch9wavefront6targetE0EEEvSK_, .Lfunc_end1345-_ZN7rocprim17ROCPRIM_400000_NS6detail17trampoline_kernelINS0_14default_configENS1_36segmented_radix_sort_config_selectorIflEEZNS1_25segmented_radix_sort_implIS3_Lb1EPKfPfPKlPlN2at6native12_GLOBAL__N_18offset_tEEE10hipError_tPvRmT1_PNSt15iterator_traitsISK_E10value_typeET2_T3_PNSL_ISQ_E10value_typeET4_jRbjT5_SW_jjP12ihipStream_tbEUlT_E1_NS1_11comp_targetILNS1_3genE0ELNS1_11target_archE4294967295ELNS1_3gpuE0ELNS1_3repE0EEENS1_59segmented_radix_sort_warp_sort_small_config_static_selectorELNS0_4arch9wavefront6targetE0EEEvSK_
                                        ; -- End function
	.section	.AMDGPU.csdata,"",@progbits
; Kernel info:
; codeLenInByte = 0
; NumSgprs: 0
; NumVgprs: 0
; ScratchSize: 0
; MemoryBound: 0
; FloatMode: 240
; IeeeMode: 1
; LDSByteSize: 0 bytes/workgroup (compile time only)
; SGPRBlocks: 0
; VGPRBlocks: 0
; NumSGPRsForWavesPerEU: 1
; NumVGPRsForWavesPerEU: 1
; Occupancy: 16
; WaveLimiterHint : 0
; COMPUTE_PGM_RSRC2:SCRATCH_EN: 0
; COMPUTE_PGM_RSRC2:USER_SGPR: 15
; COMPUTE_PGM_RSRC2:TRAP_HANDLER: 0
; COMPUTE_PGM_RSRC2:TGID_X_EN: 1
; COMPUTE_PGM_RSRC2:TGID_Y_EN: 0
; COMPUTE_PGM_RSRC2:TGID_Z_EN: 0
; COMPUTE_PGM_RSRC2:TIDIG_COMP_CNT: 0
	.section	.text._ZN7rocprim17ROCPRIM_400000_NS6detail17trampoline_kernelINS0_14default_configENS1_36segmented_radix_sort_config_selectorIflEEZNS1_25segmented_radix_sort_implIS3_Lb1EPKfPfPKlPlN2at6native12_GLOBAL__N_18offset_tEEE10hipError_tPvRmT1_PNSt15iterator_traitsISK_E10value_typeET2_T3_PNSL_ISQ_E10value_typeET4_jRbjT5_SW_jjP12ihipStream_tbEUlT_E1_NS1_11comp_targetILNS1_3genE5ELNS1_11target_archE942ELNS1_3gpuE9ELNS1_3repE0EEENS1_59segmented_radix_sort_warp_sort_small_config_static_selectorELNS0_4arch9wavefront6targetE0EEEvSK_,"axG",@progbits,_ZN7rocprim17ROCPRIM_400000_NS6detail17trampoline_kernelINS0_14default_configENS1_36segmented_radix_sort_config_selectorIflEEZNS1_25segmented_radix_sort_implIS3_Lb1EPKfPfPKlPlN2at6native12_GLOBAL__N_18offset_tEEE10hipError_tPvRmT1_PNSt15iterator_traitsISK_E10value_typeET2_T3_PNSL_ISQ_E10value_typeET4_jRbjT5_SW_jjP12ihipStream_tbEUlT_E1_NS1_11comp_targetILNS1_3genE5ELNS1_11target_archE942ELNS1_3gpuE9ELNS1_3repE0EEENS1_59segmented_radix_sort_warp_sort_small_config_static_selectorELNS0_4arch9wavefront6targetE0EEEvSK_,comdat
	.globl	_ZN7rocprim17ROCPRIM_400000_NS6detail17trampoline_kernelINS0_14default_configENS1_36segmented_radix_sort_config_selectorIflEEZNS1_25segmented_radix_sort_implIS3_Lb1EPKfPfPKlPlN2at6native12_GLOBAL__N_18offset_tEEE10hipError_tPvRmT1_PNSt15iterator_traitsISK_E10value_typeET2_T3_PNSL_ISQ_E10value_typeET4_jRbjT5_SW_jjP12ihipStream_tbEUlT_E1_NS1_11comp_targetILNS1_3genE5ELNS1_11target_archE942ELNS1_3gpuE9ELNS1_3repE0EEENS1_59segmented_radix_sort_warp_sort_small_config_static_selectorELNS0_4arch9wavefront6targetE0EEEvSK_ ; -- Begin function _ZN7rocprim17ROCPRIM_400000_NS6detail17trampoline_kernelINS0_14default_configENS1_36segmented_radix_sort_config_selectorIflEEZNS1_25segmented_radix_sort_implIS3_Lb1EPKfPfPKlPlN2at6native12_GLOBAL__N_18offset_tEEE10hipError_tPvRmT1_PNSt15iterator_traitsISK_E10value_typeET2_T3_PNSL_ISQ_E10value_typeET4_jRbjT5_SW_jjP12ihipStream_tbEUlT_E1_NS1_11comp_targetILNS1_3genE5ELNS1_11target_archE942ELNS1_3gpuE9ELNS1_3repE0EEENS1_59segmented_radix_sort_warp_sort_small_config_static_selectorELNS0_4arch9wavefront6targetE0EEEvSK_
	.p2align	8
	.type	_ZN7rocprim17ROCPRIM_400000_NS6detail17trampoline_kernelINS0_14default_configENS1_36segmented_radix_sort_config_selectorIflEEZNS1_25segmented_radix_sort_implIS3_Lb1EPKfPfPKlPlN2at6native12_GLOBAL__N_18offset_tEEE10hipError_tPvRmT1_PNSt15iterator_traitsISK_E10value_typeET2_T3_PNSL_ISQ_E10value_typeET4_jRbjT5_SW_jjP12ihipStream_tbEUlT_E1_NS1_11comp_targetILNS1_3genE5ELNS1_11target_archE942ELNS1_3gpuE9ELNS1_3repE0EEENS1_59segmented_radix_sort_warp_sort_small_config_static_selectorELNS0_4arch9wavefront6targetE0EEEvSK_,@function
_ZN7rocprim17ROCPRIM_400000_NS6detail17trampoline_kernelINS0_14default_configENS1_36segmented_radix_sort_config_selectorIflEEZNS1_25segmented_radix_sort_implIS3_Lb1EPKfPfPKlPlN2at6native12_GLOBAL__N_18offset_tEEE10hipError_tPvRmT1_PNSt15iterator_traitsISK_E10value_typeET2_T3_PNSL_ISQ_E10value_typeET4_jRbjT5_SW_jjP12ihipStream_tbEUlT_E1_NS1_11comp_targetILNS1_3genE5ELNS1_11target_archE942ELNS1_3gpuE9ELNS1_3repE0EEENS1_59segmented_radix_sort_warp_sort_small_config_static_selectorELNS0_4arch9wavefront6targetE0EEEvSK_: ; @_ZN7rocprim17ROCPRIM_400000_NS6detail17trampoline_kernelINS0_14default_configENS1_36segmented_radix_sort_config_selectorIflEEZNS1_25segmented_radix_sort_implIS3_Lb1EPKfPfPKlPlN2at6native12_GLOBAL__N_18offset_tEEE10hipError_tPvRmT1_PNSt15iterator_traitsISK_E10value_typeET2_T3_PNSL_ISQ_E10value_typeET4_jRbjT5_SW_jjP12ihipStream_tbEUlT_E1_NS1_11comp_targetILNS1_3genE5ELNS1_11target_archE942ELNS1_3gpuE9ELNS1_3repE0EEENS1_59segmented_radix_sort_warp_sort_small_config_static_selectorELNS0_4arch9wavefront6targetE0EEEvSK_
; %bb.0:
	.section	.rodata,"a",@progbits
	.p2align	6, 0x0
	.amdhsa_kernel _ZN7rocprim17ROCPRIM_400000_NS6detail17trampoline_kernelINS0_14default_configENS1_36segmented_radix_sort_config_selectorIflEEZNS1_25segmented_radix_sort_implIS3_Lb1EPKfPfPKlPlN2at6native12_GLOBAL__N_18offset_tEEE10hipError_tPvRmT1_PNSt15iterator_traitsISK_E10value_typeET2_T3_PNSL_ISQ_E10value_typeET4_jRbjT5_SW_jjP12ihipStream_tbEUlT_E1_NS1_11comp_targetILNS1_3genE5ELNS1_11target_archE942ELNS1_3gpuE9ELNS1_3repE0EEENS1_59segmented_radix_sort_warp_sort_small_config_static_selectorELNS0_4arch9wavefront6targetE0EEEvSK_
		.amdhsa_group_segment_fixed_size 0
		.amdhsa_private_segment_fixed_size 0
		.amdhsa_kernarg_size 88
		.amdhsa_user_sgpr_count 15
		.amdhsa_user_sgpr_dispatch_ptr 0
		.amdhsa_user_sgpr_queue_ptr 0
		.amdhsa_user_sgpr_kernarg_segment_ptr 1
		.amdhsa_user_sgpr_dispatch_id 0
		.amdhsa_user_sgpr_private_segment_size 0
		.amdhsa_wavefront_size32 1
		.amdhsa_uses_dynamic_stack 0
		.amdhsa_enable_private_segment 0
		.amdhsa_system_sgpr_workgroup_id_x 1
		.amdhsa_system_sgpr_workgroup_id_y 0
		.amdhsa_system_sgpr_workgroup_id_z 0
		.amdhsa_system_sgpr_workgroup_info 0
		.amdhsa_system_vgpr_workitem_id 0
		.amdhsa_next_free_vgpr 1
		.amdhsa_next_free_sgpr 1
		.amdhsa_reserve_vcc 0
		.amdhsa_float_round_mode_32 0
		.amdhsa_float_round_mode_16_64 0
		.amdhsa_float_denorm_mode_32 3
		.amdhsa_float_denorm_mode_16_64 3
		.amdhsa_dx10_clamp 1
		.amdhsa_ieee_mode 1
		.amdhsa_fp16_overflow 0
		.amdhsa_workgroup_processor_mode 1
		.amdhsa_memory_ordered 1
		.amdhsa_forward_progress 0
		.amdhsa_shared_vgpr_count 0
		.amdhsa_exception_fp_ieee_invalid_op 0
		.amdhsa_exception_fp_denorm_src 0
		.amdhsa_exception_fp_ieee_div_zero 0
		.amdhsa_exception_fp_ieee_overflow 0
		.amdhsa_exception_fp_ieee_underflow 0
		.amdhsa_exception_fp_ieee_inexact 0
		.amdhsa_exception_int_div_zero 0
	.end_amdhsa_kernel
	.section	.text._ZN7rocprim17ROCPRIM_400000_NS6detail17trampoline_kernelINS0_14default_configENS1_36segmented_radix_sort_config_selectorIflEEZNS1_25segmented_radix_sort_implIS3_Lb1EPKfPfPKlPlN2at6native12_GLOBAL__N_18offset_tEEE10hipError_tPvRmT1_PNSt15iterator_traitsISK_E10value_typeET2_T3_PNSL_ISQ_E10value_typeET4_jRbjT5_SW_jjP12ihipStream_tbEUlT_E1_NS1_11comp_targetILNS1_3genE5ELNS1_11target_archE942ELNS1_3gpuE9ELNS1_3repE0EEENS1_59segmented_radix_sort_warp_sort_small_config_static_selectorELNS0_4arch9wavefront6targetE0EEEvSK_,"axG",@progbits,_ZN7rocprim17ROCPRIM_400000_NS6detail17trampoline_kernelINS0_14default_configENS1_36segmented_radix_sort_config_selectorIflEEZNS1_25segmented_radix_sort_implIS3_Lb1EPKfPfPKlPlN2at6native12_GLOBAL__N_18offset_tEEE10hipError_tPvRmT1_PNSt15iterator_traitsISK_E10value_typeET2_T3_PNSL_ISQ_E10value_typeET4_jRbjT5_SW_jjP12ihipStream_tbEUlT_E1_NS1_11comp_targetILNS1_3genE5ELNS1_11target_archE942ELNS1_3gpuE9ELNS1_3repE0EEENS1_59segmented_radix_sort_warp_sort_small_config_static_selectorELNS0_4arch9wavefront6targetE0EEEvSK_,comdat
.Lfunc_end1346:
	.size	_ZN7rocprim17ROCPRIM_400000_NS6detail17trampoline_kernelINS0_14default_configENS1_36segmented_radix_sort_config_selectorIflEEZNS1_25segmented_radix_sort_implIS3_Lb1EPKfPfPKlPlN2at6native12_GLOBAL__N_18offset_tEEE10hipError_tPvRmT1_PNSt15iterator_traitsISK_E10value_typeET2_T3_PNSL_ISQ_E10value_typeET4_jRbjT5_SW_jjP12ihipStream_tbEUlT_E1_NS1_11comp_targetILNS1_3genE5ELNS1_11target_archE942ELNS1_3gpuE9ELNS1_3repE0EEENS1_59segmented_radix_sort_warp_sort_small_config_static_selectorELNS0_4arch9wavefront6targetE0EEEvSK_, .Lfunc_end1346-_ZN7rocprim17ROCPRIM_400000_NS6detail17trampoline_kernelINS0_14default_configENS1_36segmented_radix_sort_config_selectorIflEEZNS1_25segmented_radix_sort_implIS3_Lb1EPKfPfPKlPlN2at6native12_GLOBAL__N_18offset_tEEE10hipError_tPvRmT1_PNSt15iterator_traitsISK_E10value_typeET2_T3_PNSL_ISQ_E10value_typeET4_jRbjT5_SW_jjP12ihipStream_tbEUlT_E1_NS1_11comp_targetILNS1_3genE5ELNS1_11target_archE942ELNS1_3gpuE9ELNS1_3repE0EEENS1_59segmented_radix_sort_warp_sort_small_config_static_selectorELNS0_4arch9wavefront6targetE0EEEvSK_
                                        ; -- End function
	.section	.AMDGPU.csdata,"",@progbits
; Kernel info:
; codeLenInByte = 0
; NumSgprs: 0
; NumVgprs: 0
; ScratchSize: 0
; MemoryBound: 0
; FloatMode: 240
; IeeeMode: 1
; LDSByteSize: 0 bytes/workgroup (compile time only)
; SGPRBlocks: 0
; VGPRBlocks: 0
; NumSGPRsForWavesPerEU: 1
; NumVGPRsForWavesPerEU: 1
; Occupancy: 16
; WaveLimiterHint : 0
; COMPUTE_PGM_RSRC2:SCRATCH_EN: 0
; COMPUTE_PGM_RSRC2:USER_SGPR: 15
; COMPUTE_PGM_RSRC2:TRAP_HANDLER: 0
; COMPUTE_PGM_RSRC2:TGID_X_EN: 1
; COMPUTE_PGM_RSRC2:TGID_Y_EN: 0
; COMPUTE_PGM_RSRC2:TGID_Z_EN: 0
; COMPUTE_PGM_RSRC2:TIDIG_COMP_CNT: 0
	.section	.text._ZN7rocprim17ROCPRIM_400000_NS6detail17trampoline_kernelINS0_14default_configENS1_36segmented_radix_sort_config_selectorIflEEZNS1_25segmented_radix_sort_implIS3_Lb1EPKfPfPKlPlN2at6native12_GLOBAL__N_18offset_tEEE10hipError_tPvRmT1_PNSt15iterator_traitsISK_E10value_typeET2_T3_PNSL_ISQ_E10value_typeET4_jRbjT5_SW_jjP12ihipStream_tbEUlT_E1_NS1_11comp_targetILNS1_3genE4ELNS1_11target_archE910ELNS1_3gpuE8ELNS1_3repE0EEENS1_59segmented_radix_sort_warp_sort_small_config_static_selectorELNS0_4arch9wavefront6targetE0EEEvSK_,"axG",@progbits,_ZN7rocprim17ROCPRIM_400000_NS6detail17trampoline_kernelINS0_14default_configENS1_36segmented_radix_sort_config_selectorIflEEZNS1_25segmented_radix_sort_implIS3_Lb1EPKfPfPKlPlN2at6native12_GLOBAL__N_18offset_tEEE10hipError_tPvRmT1_PNSt15iterator_traitsISK_E10value_typeET2_T3_PNSL_ISQ_E10value_typeET4_jRbjT5_SW_jjP12ihipStream_tbEUlT_E1_NS1_11comp_targetILNS1_3genE4ELNS1_11target_archE910ELNS1_3gpuE8ELNS1_3repE0EEENS1_59segmented_radix_sort_warp_sort_small_config_static_selectorELNS0_4arch9wavefront6targetE0EEEvSK_,comdat
	.globl	_ZN7rocprim17ROCPRIM_400000_NS6detail17trampoline_kernelINS0_14default_configENS1_36segmented_radix_sort_config_selectorIflEEZNS1_25segmented_radix_sort_implIS3_Lb1EPKfPfPKlPlN2at6native12_GLOBAL__N_18offset_tEEE10hipError_tPvRmT1_PNSt15iterator_traitsISK_E10value_typeET2_T3_PNSL_ISQ_E10value_typeET4_jRbjT5_SW_jjP12ihipStream_tbEUlT_E1_NS1_11comp_targetILNS1_3genE4ELNS1_11target_archE910ELNS1_3gpuE8ELNS1_3repE0EEENS1_59segmented_radix_sort_warp_sort_small_config_static_selectorELNS0_4arch9wavefront6targetE0EEEvSK_ ; -- Begin function _ZN7rocprim17ROCPRIM_400000_NS6detail17trampoline_kernelINS0_14default_configENS1_36segmented_radix_sort_config_selectorIflEEZNS1_25segmented_radix_sort_implIS3_Lb1EPKfPfPKlPlN2at6native12_GLOBAL__N_18offset_tEEE10hipError_tPvRmT1_PNSt15iterator_traitsISK_E10value_typeET2_T3_PNSL_ISQ_E10value_typeET4_jRbjT5_SW_jjP12ihipStream_tbEUlT_E1_NS1_11comp_targetILNS1_3genE4ELNS1_11target_archE910ELNS1_3gpuE8ELNS1_3repE0EEENS1_59segmented_radix_sort_warp_sort_small_config_static_selectorELNS0_4arch9wavefront6targetE0EEEvSK_
	.p2align	8
	.type	_ZN7rocprim17ROCPRIM_400000_NS6detail17trampoline_kernelINS0_14default_configENS1_36segmented_radix_sort_config_selectorIflEEZNS1_25segmented_radix_sort_implIS3_Lb1EPKfPfPKlPlN2at6native12_GLOBAL__N_18offset_tEEE10hipError_tPvRmT1_PNSt15iterator_traitsISK_E10value_typeET2_T3_PNSL_ISQ_E10value_typeET4_jRbjT5_SW_jjP12ihipStream_tbEUlT_E1_NS1_11comp_targetILNS1_3genE4ELNS1_11target_archE910ELNS1_3gpuE8ELNS1_3repE0EEENS1_59segmented_radix_sort_warp_sort_small_config_static_selectorELNS0_4arch9wavefront6targetE0EEEvSK_,@function
_ZN7rocprim17ROCPRIM_400000_NS6detail17trampoline_kernelINS0_14default_configENS1_36segmented_radix_sort_config_selectorIflEEZNS1_25segmented_radix_sort_implIS3_Lb1EPKfPfPKlPlN2at6native12_GLOBAL__N_18offset_tEEE10hipError_tPvRmT1_PNSt15iterator_traitsISK_E10value_typeET2_T3_PNSL_ISQ_E10value_typeET4_jRbjT5_SW_jjP12ihipStream_tbEUlT_E1_NS1_11comp_targetILNS1_3genE4ELNS1_11target_archE910ELNS1_3gpuE8ELNS1_3repE0EEENS1_59segmented_radix_sort_warp_sort_small_config_static_selectorELNS0_4arch9wavefront6targetE0EEEvSK_: ; @_ZN7rocprim17ROCPRIM_400000_NS6detail17trampoline_kernelINS0_14default_configENS1_36segmented_radix_sort_config_selectorIflEEZNS1_25segmented_radix_sort_implIS3_Lb1EPKfPfPKlPlN2at6native12_GLOBAL__N_18offset_tEEE10hipError_tPvRmT1_PNSt15iterator_traitsISK_E10value_typeET2_T3_PNSL_ISQ_E10value_typeET4_jRbjT5_SW_jjP12ihipStream_tbEUlT_E1_NS1_11comp_targetILNS1_3genE4ELNS1_11target_archE910ELNS1_3gpuE8ELNS1_3repE0EEENS1_59segmented_radix_sort_warp_sort_small_config_static_selectorELNS0_4arch9wavefront6targetE0EEEvSK_
; %bb.0:
	.section	.rodata,"a",@progbits
	.p2align	6, 0x0
	.amdhsa_kernel _ZN7rocprim17ROCPRIM_400000_NS6detail17trampoline_kernelINS0_14default_configENS1_36segmented_radix_sort_config_selectorIflEEZNS1_25segmented_radix_sort_implIS3_Lb1EPKfPfPKlPlN2at6native12_GLOBAL__N_18offset_tEEE10hipError_tPvRmT1_PNSt15iterator_traitsISK_E10value_typeET2_T3_PNSL_ISQ_E10value_typeET4_jRbjT5_SW_jjP12ihipStream_tbEUlT_E1_NS1_11comp_targetILNS1_3genE4ELNS1_11target_archE910ELNS1_3gpuE8ELNS1_3repE0EEENS1_59segmented_radix_sort_warp_sort_small_config_static_selectorELNS0_4arch9wavefront6targetE0EEEvSK_
		.amdhsa_group_segment_fixed_size 0
		.amdhsa_private_segment_fixed_size 0
		.amdhsa_kernarg_size 88
		.amdhsa_user_sgpr_count 15
		.amdhsa_user_sgpr_dispatch_ptr 0
		.amdhsa_user_sgpr_queue_ptr 0
		.amdhsa_user_sgpr_kernarg_segment_ptr 1
		.amdhsa_user_sgpr_dispatch_id 0
		.amdhsa_user_sgpr_private_segment_size 0
		.amdhsa_wavefront_size32 1
		.amdhsa_uses_dynamic_stack 0
		.amdhsa_enable_private_segment 0
		.amdhsa_system_sgpr_workgroup_id_x 1
		.amdhsa_system_sgpr_workgroup_id_y 0
		.amdhsa_system_sgpr_workgroup_id_z 0
		.amdhsa_system_sgpr_workgroup_info 0
		.amdhsa_system_vgpr_workitem_id 0
		.amdhsa_next_free_vgpr 1
		.amdhsa_next_free_sgpr 1
		.amdhsa_reserve_vcc 0
		.amdhsa_float_round_mode_32 0
		.amdhsa_float_round_mode_16_64 0
		.amdhsa_float_denorm_mode_32 3
		.amdhsa_float_denorm_mode_16_64 3
		.amdhsa_dx10_clamp 1
		.amdhsa_ieee_mode 1
		.amdhsa_fp16_overflow 0
		.amdhsa_workgroup_processor_mode 1
		.amdhsa_memory_ordered 1
		.amdhsa_forward_progress 0
		.amdhsa_shared_vgpr_count 0
		.amdhsa_exception_fp_ieee_invalid_op 0
		.amdhsa_exception_fp_denorm_src 0
		.amdhsa_exception_fp_ieee_div_zero 0
		.amdhsa_exception_fp_ieee_overflow 0
		.amdhsa_exception_fp_ieee_underflow 0
		.amdhsa_exception_fp_ieee_inexact 0
		.amdhsa_exception_int_div_zero 0
	.end_amdhsa_kernel
	.section	.text._ZN7rocprim17ROCPRIM_400000_NS6detail17trampoline_kernelINS0_14default_configENS1_36segmented_radix_sort_config_selectorIflEEZNS1_25segmented_radix_sort_implIS3_Lb1EPKfPfPKlPlN2at6native12_GLOBAL__N_18offset_tEEE10hipError_tPvRmT1_PNSt15iterator_traitsISK_E10value_typeET2_T3_PNSL_ISQ_E10value_typeET4_jRbjT5_SW_jjP12ihipStream_tbEUlT_E1_NS1_11comp_targetILNS1_3genE4ELNS1_11target_archE910ELNS1_3gpuE8ELNS1_3repE0EEENS1_59segmented_radix_sort_warp_sort_small_config_static_selectorELNS0_4arch9wavefront6targetE0EEEvSK_,"axG",@progbits,_ZN7rocprim17ROCPRIM_400000_NS6detail17trampoline_kernelINS0_14default_configENS1_36segmented_radix_sort_config_selectorIflEEZNS1_25segmented_radix_sort_implIS3_Lb1EPKfPfPKlPlN2at6native12_GLOBAL__N_18offset_tEEE10hipError_tPvRmT1_PNSt15iterator_traitsISK_E10value_typeET2_T3_PNSL_ISQ_E10value_typeET4_jRbjT5_SW_jjP12ihipStream_tbEUlT_E1_NS1_11comp_targetILNS1_3genE4ELNS1_11target_archE910ELNS1_3gpuE8ELNS1_3repE0EEENS1_59segmented_radix_sort_warp_sort_small_config_static_selectorELNS0_4arch9wavefront6targetE0EEEvSK_,comdat
.Lfunc_end1347:
	.size	_ZN7rocprim17ROCPRIM_400000_NS6detail17trampoline_kernelINS0_14default_configENS1_36segmented_radix_sort_config_selectorIflEEZNS1_25segmented_radix_sort_implIS3_Lb1EPKfPfPKlPlN2at6native12_GLOBAL__N_18offset_tEEE10hipError_tPvRmT1_PNSt15iterator_traitsISK_E10value_typeET2_T3_PNSL_ISQ_E10value_typeET4_jRbjT5_SW_jjP12ihipStream_tbEUlT_E1_NS1_11comp_targetILNS1_3genE4ELNS1_11target_archE910ELNS1_3gpuE8ELNS1_3repE0EEENS1_59segmented_radix_sort_warp_sort_small_config_static_selectorELNS0_4arch9wavefront6targetE0EEEvSK_, .Lfunc_end1347-_ZN7rocprim17ROCPRIM_400000_NS6detail17trampoline_kernelINS0_14default_configENS1_36segmented_radix_sort_config_selectorIflEEZNS1_25segmented_radix_sort_implIS3_Lb1EPKfPfPKlPlN2at6native12_GLOBAL__N_18offset_tEEE10hipError_tPvRmT1_PNSt15iterator_traitsISK_E10value_typeET2_T3_PNSL_ISQ_E10value_typeET4_jRbjT5_SW_jjP12ihipStream_tbEUlT_E1_NS1_11comp_targetILNS1_3genE4ELNS1_11target_archE910ELNS1_3gpuE8ELNS1_3repE0EEENS1_59segmented_radix_sort_warp_sort_small_config_static_selectorELNS0_4arch9wavefront6targetE0EEEvSK_
                                        ; -- End function
	.section	.AMDGPU.csdata,"",@progbits
; Kernel info:
; codeLenInByte = 0
; NumSgprs: 0
; NumVgprs: 0
; ScratchSize: 0
; MemoryBound: 0
; FloatMode: 240
; IeeeMode: 1
; LDSByteSize: 0 bytes/workgroup (compile time only)
; SGPRBlocks: 0
; VGPRBlocks: 0
; NumSGPRsForWavesPerEU: 1
; NumVGPRsForWavesPerEU: 1
; Occupancy: 16
; WaveLimiterHint : 0
; COMPUTE_PGM_RSRC2:SCRATCH_EN: 0
; COMPUTE_PGM_RSRC2:USER_SGPR: 15
; COMPUTE_PGM_RSRC2:TRAP_HANDLER: 0
; COMPUTE_PGM_RSRC2:TGID_X_EN: 1
; COMPUTE_PGM_RSRC2:TGID_Y_EN: 0
; COMPUTE_PGM_RSRC2:TGID_Z_EN: 0
; COMPUTE_PGM_RSRC2:TIDIG_COMP_CNT: 0
	.section	.text._ZN7rocprim17ROCPRIM_400000_NS6detail17trampoline_kernelINS0_14default_configENS1_36segmented_radix_sort_config_selectorIflEEZNS1_25segmented_radix_sort_implIS3_Lb1EPKfPfPKlPlN2at6native12_GLOBAL__N_18offset_tEEE10hipError_tPvRmT1_PNSt15iterator_traitsISK_E10value_typeET2_T3_PNSL_ISQ_E10value_typeET4_jRbjT5_SW_jjP12ihipStream_tbEUlT_E1_NS1_11comp_targetILNS1_3genE3ELNS1_11target_archE908ELNS1_3gpuE7ELNS1_3repE0EEENS1_59segmented_radix_sort_warp_sort_small_config_static_selectorELNS0_4arch9wavefront6targetE0EEEvSK_,"axG",@progbits,_ZN7rocprim17ROCPRIM_400000_NS6detail17trampoline_kernelINS0_14default_configENS1_36segmented_radix_sort_config_selectorIflEEZNS1_25segmented_radix_sort_implIS3_Lb1EPKfPfPKlPlN2at6native12_GLOBAL__N_18offset_tEEE10hipError_tPvRmT1_PNSt15iterator_traitsISK_E10value_typeET2_T3_PNSL_ISQ_E10value_typeET4_jRbjT5_SW_jjP12ihipStream_tbEUlT_E1_NS1_11comp_targetILNS1_3genE3ELNS1_11target_archE908ELNS1_3gpuE7ELNS1_3repE0EEENS1_59segmented_radix_sort_warp_sort_small_config_static_selectorELNS0_4arch9wavefront6targetE0EEEvSK_,comdat
	.globl	_ZN7rocprim17ROCPRIM_400000_NS6detail17trampoline_kernelINS0_14default_configENS1_36segmented_radix_sort_config_selectorIflEEZNS1_25segmented_radix_sort_implIS3_Lb1EPKfPfPKlPlN2at6native12_GLOBAL__N_18offset_tEEE10hipError_tPvRmT1_PNSt15iterator_traitsISK_E10value_typeET2_T3_PNSL_ISQ_E10value_typeET4_jRbjT5_SW_jjP12ihipStream_tbEUlT_E1_NS1_11comp_targetILNS1_3genE3ELNS1_11target_archE908ELNS1_3gpuE7ELNS1_3repE0EEENS1_59segmented_radix_sort_warp_sort_small_config_static_selectorELNS0_4arch9wavefront6targetE0EEEvSK_ ; -- Begin function _ZN7rocprim17ROCPRIM_400000_NS6detail17trampoline_kernelINS0_14default_configENS1_36segmented_radix_sort_config_selectorIflEEZNS1_25segmented_radix_sort_implIS3_Lb1EPKfPfPKlPlN2at6native12_GLOBAL__N_18offset_tEEE10hipError_tPvRmT1_PNSt15iterator_traitsISK_E10value_typeET2_T3_PNSL_ISQ_E10value_typeET4_jRbjT5_SW_jjP12ihipStream_tbEUlT_E1_NS1_11comp_targetILNS1_3genE3ELNS1_11target_archE908ELNS1_3gpuE7ELNS1_3repE0EEENS1_59segmented_radix_sort_warp_sort_small_config_static_selectorELNS0_4arch9wavefront6targetE0EEEvSK_
	.p2align	8
	.type	_ZN7rocprim17ROCPRIM_400000_NS6detail17trampoline_kernelINS0_14default_configENS1_36segmented_radix_sort_config_selectorIflEEZNS1_25segmented_radix_sort_implIS3_Lb1EPKfPfPKlPlN2at6native12_GLOBAL__N_18offset_tEEE10hipError_tPvRmT1_PNSt15iterator_traitsISK_E10value_typeET2_T3_PNSL_ISQ_E10value_typeET4_jRbjT5_SW_jjP12ihipStream_tbEUlT_E1_NS1_11comp_targetILNS1_3genE3ELNS1_11target_archE908ELNS1_3gpuE7ELNS1_3repE0EEENS1_59segmented_radix_sort_warp_sort_small_config_static_selectorELNS0_4arch9wavefront6targetE0EEEvSK_,@function
_ZN7rocprim17ROCPRIM_400000_NS6detail17trampoline_kernelINS0_14default_configENS1_36segmented_radix_sort_config_selectorIflEEZNS1_25segmented_radix_sort_implIS3_Lb1EPKfPfPKlPlN2at6native12_GLOBAL__N_18offset_tEEE10hipError_tPvRmT1_PNSt15iterator_traitsISK_E10value_typeET2_T3_PNSL_ISQ_E10value_typeET4_jRbjT5_SW_jjP12ihipStream_tbEUlT_E1_NS1_11comp_targetILNS1_3genE3ELNS1_11target_archE908ELNS1_3gpuE7ELNS1_3repE0EEENS1_59segmented_radix_sort_warp_sort_small_config_static_selectorELNS0_4arch9wavefront6targetE0EEEvSK_: ; @_ZN7rocprim17ROCPRIM_400000_NS6detail17trampoline_kernelINS0_14default_configENS1_36segmented_radix_sort_config_selectorIflEEZNS1_25segmented_radix_sort_implIS3_Lb1EPKfPfPKlPlN2at6native12_GLOBAL__N_18offset_tEEE10hipError_tPvRmT1_PNSt15iterator_traitsISK_E10value_typeET2_T3_PNSL_ISQ_E10value_typeET4_jRbjT5_SW_jjP12ihipStream_tbEUlT_E1_NS1_11comp_targetILNS1_3genE3ELNS1_11target_archE908ELNS1_3gpuE7ELNS1_3repE0EEENS1_59segmented_radix_sort_warp_sort_small_config_static_selectorELNS0_4arch9wavefront6targetE0EEEvSK_
; %bb.0:
	.section	.rodata,"a",@progbits
	.p2align	6, 0x0
	.amdhsa_kernel _ZN7rocprim17ROCPRIM_400000_NS6detail17trampoline_kernelINS0_14default_configENS1_36segmented_radix_sort_config_selectorIflEEZNS1_25segmented_radix_sort_implIS3_Lb1EPKfPfPKlPlN2at6native12_GLOBAL__N_18offset_tEEE10hipError_tPvRmT1_PNSt15iterator_traitsISK_E10value_typeET2_T3_PNSL_ISQ_E10value_typeET4_jRbjT5_SW_jjP12ihipStream_tbEUlT_E1_NS1_11comp_targetILNS1_3genE3ELNS1_11target_archE908ELNS1_3gpuE7ELNS1_3repE0EEENS1_59segmented_radix_sort_warp_sort_small_config_static_selectorELNS0_4arch9wavefront6targetE0EEEvSK_
		.amdhsa_group_segment_fixed_size 0
		.amdhsa_private_segment_fixed_size 0
		.amdhsa_kernarg_size 88
		.amdhsa_user_sgpr_count 15
		.amdhsa_user_sgpr_dispatch_ptr 0
		.amdhsa_user_sgpr_queue_ptr 0
		.amdhsa_user_sgpr_kernarg_segment_ptr 1
		.amdhsa_user_sgpr_dispatch_id 0
		.amdhsa_user_sgpr_private_segment_size 0
		.amdhsa_wavefront_size32 1
		.amdhsa_uses_dynamic_stack 0
		.amdhsa_enable_private_segment 0
		.amdhsa_system_sgpr_workgroup_id_x 1
		.amdhsa_system_sgpr_workgroup_id_y 0
		.amdhsa_system_sgpr_workgroup_id_z 0
		.amdhsa_system_sgpr_workgroup_info 0
		.amdhsa_system_vgpr_workitem_id 0
		.amdhsa_next_free_vgpr 1
		.amdhsa_next_free_sgpr 1
		.amdhsa_reserve_vcc 0
		.amdhsa_float_round_mode_32 0
		.amdhsa_float_round_mode_16_64 0
		.amdhsa_float_denorm_mode_32 3
		.amdhsa_float_denorm_mode_16_64 3
		.amdhsa_dx10_clamp 1
		.amdhsa_ieee_mode 1
		.amdhsa_fp16_overflow 0
		.amdhsa_workgroup_processor_mode 1
		.amdhsa_memory_ordered 1
		.amdhsa_forward_progress 0
		.amdhsa_shared_vgpr_count 0
		.amdhsa_exception_fp_ieee_invalid_op 0
		.amdhsa_exception_fp_denorm_src 0
		.amdhsa_exception_fp_ieee_div_zero 0
		.amdhsa_exception_fp_ieee_overflow 0
		.amdhsa_exception_fp_ieee_underflow 0
		.amdhsa_exception_fp_ieee_inexact 0
		.amdhsa_exception_int_div_zero 0
	.end_amdhsa_kernel
	.section	.text._ZN7rocprim17ROCPRIM_400000_NS6detail17trampoline_kernelINS0_14default_configENS1_36segmented_radix_sort_config_selectorIflEEZNS1_25segmented_radix_sort_implIS3_Lb1EPKfPfPKlPlN2at6native12_GLOBAL__N_18offset_tEEE10hipError_tPvRmT1_PNSt15iterator_traitsISK_E10value_typeET2_T3_PNSL_ISQ_E10value_typeET4_jRbjT5_SW_jjP12ihipStream_tbEUlT_E1_NS1_11comp_targetILNS1_3genE3ELNS1_11target_archE908ELNS1_3gpuE7ELNS1_3repE0EEENS1_59segmented_radix_sort_warp_sort_small_config_static_selectorELNS0_4arch9wavefront6targetE0EEEvSK_,"axG",@progbits,_ZN7rocprim17ROCPRIM_400000_NS6detail17trampoline_kernelINS0_14default_configENS1_36segmented_radix_sort_config_selectorIflEEZNS1_25segmented_radix_sort_implIS3_Lb1EPKfPfPKlPlN2at6native12_GLOBAL__N_18offset_tEEE10hipError_tPvRmT1_PNSt15iterator_traitsISK_E10value_typeET2_T3_PNSL_ISQ_E10value_typeET4_jRbjT5_SW_jjP12ihipStream_tbEUlT_E1_NS1_11comp_targetILNS1_3genE3ELNS1_11target_archE908ELNS1_3gpuE7ELNS1_3repE0EEENS1_59segmented_radix_sort_warp_sort_small_config_static_selectorELNS0_4arch9wavefront6targetE0EEEvSK_,comdat
.Lfunc_end1348:
	.size	_ZN7rocprim17ROCPRIM_400000_NS6detail17trampoline_kernelINS0_14default_configENS1_36segmented_radix_sort_config_selectorIflEEZNS1_25segmented_radix_sort_implIS3_Lb1EPKfPfPKlPlN2at6native12_GLOBAL__N_18offset_tEEE10hipError_tPvRmT1_PNSt15iterator_traitsISK_E10value_typeET2_T3_PNSL_ISQ_E10value_typeET4_jRbjT5_SW_jjP12ihipStream_tbEUlT_E1_NS1_11comp_targetILNS1_3genE3ELNS1_11target_archE908ELNS1_3gpuE7ELNS1_3repE0EEENS1_59segmented_radix_sort_warp_sort_small_config_static_selectorELNS0_4arch9wavefront6targetE0EEEvSK_, .Lfunc_end1348-_ZN7rocprim17ROCPRIM_400000_NS6detail17trampoline_kernelINS0_14default_configENS1_36segmented_radix_sort_config_selectorIflEEZNS1_25segmented_radix_sort_implIS3_Lb1EPKfPfPKlPlN2at6native12_GLOBAL__N_18offset_tEEE10hipError_tPvRmT1_PNSt15iterator_traitsISK_E10value_typeET2_T3_PNSL_ISQ_E10value_typeET4_jRbjT5_SW_jjP12ihipStream_tbEUlT_E1_NS1_11comp_targetILNS1_3genE3ELNS1_11target_archE908ELNS1_3gpuE7ELNS1_3repE0EEENS1_59segmented_radix_sort_warp_sort_small_config_static_selectorELNS0_4arch9wavefront6targetE0EEEvSK_
                                        ; -- End function
	.section	.AMDGPU.csdata,"",@progbits
; Kernel info:
; codeLenInByte = 0
; NumSgprs: 0
; NumVgprs: 0
; ScratchSize: 0
; MemoryBound: 0
; FloatMode: 240
; IeeeMode: 1
; LDSByteSize: 0 bytes/workgroup (compile time only)
; SGPRBlocks: 0
; VGPRBlocks: 0
; NumSGPRsForWavesPerEU: 1
; NumVGPRsForWavesPerEU: 1
; Occupancy: 16
; WaveLimiterHint : 0
; COMPUTE_PGM_RSRC2:SCRATCH_EN: 0
; COMPUTE_PGM_RSRC2:USER_SGPR: 15
; COMPUTE_PGM_RSRC2:TRAP_HANDLER: 0
; COMPUTE_PGM_RSRC2:TGID_X_EN: 1
; COMPUTE_PGM_RSRC2:TGID_Y_EN: 0
; COMPUTE_PGM_RSRC2:TGID_Z_EN: 0
; COMPUTE_PGM_RSRC2:TIDIG_COMP_CNT: 0
	.section	.text._ZN7rocprim17ROCPRIM_400000_NS6detail17trampoline_kernelINS0_14default_configENS1_36segmented_radix_sort_config_selectorIflEEZNS1_25segmented_radix_sort_implIS3_Lb1EPKfPfPKlPlN2at6native12_GLOBAL__N_18offset_tEEE10hipError_tPvRmT1_PNSt15iterator_traitsISK_E10value_typeET2_T3_PNSL_ISQ_E10value_typeET4_jRbjT5_SW_jjP12ihipStream_tbEUlT_E1_NS1_11comp_targetILNS1_3genE2ELNS1_11target_archE906ELNS1_3gpuE6ELNS1_3repE0EEENS1_59segmented_radix_sort_warp_sort_small_config_static_selectorELNS0_4arch9wavefront6targetE0EEEvSK_,"axG",@progbits,_ZN7rocprim17ROCPRIM_400000_NS6detail17trampoline_kernelINS0_14default_configENS1_36segmented_radix_sort_config_selectorIflEEZNS1_25segmented_radix_sort_implIS3_Lb1EPKfPfPKlPlN2at6native12_GLOBAL__N_18offset_tEEE10hipError_tPvRmT1_PNSt15iterator_traitsISK_E10value_typeET2_T3_PNSL_ISQ_E10value_typeET4_jRbjT5_SW_jjP12ihipStream_tbEUlT_E1_NS1_11comp_targetILNS1_3genE2ELNS1_11target_archE906ELNS1_3gpuE6ELNS1_3repE0EEENS1_59segmented_radix_sort_warp_sort_small_config_static_selectorELNS0_4arch9wavefront6targetE0EEEvSK_,comdat
	.globl	_ZN7rocprim17ROCPRIM_400000_NS6detail17trampoline_kernelINS0_14default_configENS1_36segmented_radix_sort_config_selectorIflEEZNS1_25segmented_radix_sort_implIS3_Lb1EPKfPfPKlPlN2at6native12_GLOBAL__N_18offset_tEEE10hipError_tPvRmT1_PNSt15iterator_traitsISK_E10value_typeET2_T3_PNSL_ISQ_E10value_typeET4_jRbjT5_SW_jjP12ihipStream_tbEUlT_E1_NS1_11comp_targetILNS1_3genE2ELNS1_11target_archE906ELNS1_3gpuE6ELNS1_3repE0EEENS1_59segmented_radix_sort_warp_sort_small_config_static_selectorELNS0_4arch9wavefront6targetE0EEEvSK_ ; -- Begin function _ZN7rocprim17ROCPRIM_400000_NS6detail17trampoline_kernelINS0_14default_configENS1_36segmented_radix_sort_config_selectorIflEEZNS1_25segmented_radix_sort_implIS3_Lb1EPKfPfPKlPlN2at6native12_GLOBAL__N_18offset_tEEE10hipError_tPvRmT1_PNSt15iterator_traitsISK_E10value_typeET2_T3_PNSL_ISQ_E10value_typeET4_jRbjT5_SW_jjP12ihipStream_tbEUlT_E1_NS1_11comp_targetILNS1_3genE2ELNS1_11target_archE906ELNS1_3gpuE6ELNS1_3repE0EEENS1_59segmented_radix_sort_warp_sort_small_config_static_selectorELNS0_4arch9wavefront6targetE0EEEvSK_
	.p2align	8
	.type	_ZN7rocprim17ROCPRIM_400000_NS6detail17trampoline_kernelINS0_14default_configENS1_36segmented_radix_sort_config_selectorIflEEZNS1_25segmented_radix_sort_implIS3_Lb1EPKfPfPKlPlN2at6native12_GLOBAL__N_18offset_tEEE10hipError_tPvRmT1_PNSt15iterator_traitsISK_E10value_typeET2_T3_PNSL_ISQ_E10value_typeET4_jRbjT5_SW_jjP12ihipStream_tbEUlT_E1_NS1_11comp_targetILNS1_3genE2ELNS1_11target_archE906ELNS1_3gpuE6ELNS1_3repE0EEENS1_59segmented_radix_sort_warp_sort_small_config_static_selectorELNS0_4arch9wavefront6targetE0EEEvSK_,@function
_ZN7rocprim17ROCPRIM_400000_NS6detail17trampoline_kernelINS0_14default_configENS1_36segmented_radix_sort_config_selectorIflEEZNS1_25segmented_radix_sort_implIS3_Lb1EPKfPfPKlPlN2at6native12_GLOBAL__N_18offset_tEEE10hipError_tPvRmT1_PNSt15iterator_traitsISK_E10value_typeET2_T3_PNSL_ISQ_E10value_typeET4_jRbjT5_SW_jjP12ihipStream_tbEUlT_E1_NS1_11comp_targetILNS1_3genE2ELNS1_11target_archE906ELNS1_3gpuE6ELNS1_3repE0EEENS1_59segmented_radix_sort_warp_sort_small_config_static_selectorELNS0_4arch9wavefront6targetE0EEEvSK_: ; @_ZN7rocprim17ROCPRIM_400000_NS6detail17trampoline_kernelINS0_14default_configENS1_36segmented_radix_sort_config_selectorIflEEZNS1_25segmented_radix_sort_implIS3_Lb1EPKfPfPKlPlN2at6native12_GLOBAL__N_18offset_tEEE10hipError_tPvRmT1_PNSt15iterator_traitsISK_E10value_typeET2_T3_PNSL_ISQ_E10value_typeET4_jRbjT5_SW_jjP12ihipStream_tbEUlT_E1_NS1_11comp_targetILNS1_3genE2ELNS1_11target_archE906ELNS1_3gpuE6ELNS1_3repE0EEENS1_59segmented_radix_sort_warp_sort_small_config_static_selectorELNS0_4arch9wavefront6targetE0EEEvSK_
; %bb.0:
	.section	.rodata,"a",@progbits
	.p2align	6, 0x0
	.amdhsa_kernel _ZN7rocprim17ROCPRIM_400000_NS6detail17trampoline_kernelINS0_14default_configENS1_36segmented_radix_sort_config_selectorIflEEZNS1_25segmented_radix_sort_implIS3_Lb1EPKfPfPKlPlN2at6native12_GLOBAL__N_18offset_tEEE10hipError_tPvRmT1_PNSt15iterator_traitsISK_E10value_typeET2_T3_PNSL_ISQ_E10value_typeET4_jRbjT5_SW_jjP12ihipStream_tbEUlT_E1_NS1_11comp_targetILNS1_3genE2ELNS1_11target_archE906ELNS1_3gpuE6ELNS1_3repE0EEENS1_59segmented_radix_sort_warp_sort_small_config_static_selectorELNS0_4arch9wavefront6targetE0EEEvSK_
		.amdhsa_group_segment_fixed_size 0
		.amdhsa_private_segment_fixed_size 0
		.amdhsa_kernarg_size 88
		.amdhsa_user_sgpr_count 15
		.amdhsa_user_sgpr_dispatch_ptr 0
		.amdhsa_user_sgpr_queue_ptr 0
		.amdhsa_user_sgpr_kernarg_segment_ptr 1
		.amdhsa_user_sgpr_dispatch_id 0
		.amdhsa_user_sgpr_private_segment_size 0
		.amdhsa_wavefront_size32 1
		.amdhsa_uses_dynamic_stack 0
		.amdhsa_enable_private_segment 0
		.amdhsa_system_sgpr_workgroup_id_x 1
		.amdhsa_system_sgpr_workgroup_id_y 0
		.amdhsa_system_sgpr_workgroup_id_z 0
		.amdhsa_system_sgpr_workgroup_info 0
		.amdhsa_system_vgpr_workitem_id 0
		.amdhsa_next_free_vgpr 1
		.amdhsa_next_free_sgpr 1
		.amdhsa_reserve_vcc 0
		.amdhsa_float_round_mode_32 0
		.amdhsa_float_round_mode_16_64 0
		.amdhsa_float_denorm_mode_32 3
		.amdhsa_float_denorm_mode_16_64 3
		.amdhsa_dx10_clamp 1
		.amdhsa_ieee_mode 1
		.amdhsa_fp16_overflow 0
		.amdhsa_workgroup_processor_mode 1
		.amdhsa_memory_ordered 1
		.amdhsa_forward_progress 0
		.amdhsa_shared_vgpr_count 0
		.amdhsa_exception_fp_ieee_invalid_op 0
		.amdhsa_exception_fp_denorm_src 0
		.amdhsa_exception_fp_ieee_div_zero 0
		.amdhsa_exception_fp_ieee_overflow 0
		.amdhsa_exception_fp_ieee_underflow 0
		.amdhsa_exception_fp_ieee_inexact 0
		.amdhsa_exception_int_div_zero 0
	.end_amdhsa_kernel
	.section	.text._ZN7rocprim17ROCPRIM_400000_NS6detail17trampoline_kernelINS0_14default_configENS1_36segmented_radix_sort_config_selectorIflEEZNS1_25segmented_radix_sort_implIS3_Lb1EPKfPfPKlPlN2at6native12_GLOBAL__N_18offset_tEEE10hipError_tPvRmT1_PNSt15iterator_traitsISK_E10value_typeET2_T3_PNSL_ISQ_E10value_typeET4_jRbjT5_SW_jjP12ihipStream_tbEUlT_E1_NS1_11comp_targetILNS1_3genE2ELNS1_11target_archE906ELNS1_3gpuE6ELNS1_3repE0EEENS1_59segmented_radix_sort_warp_sort_small_config_static_selectorELNS0_4arch9wavefront6targetE0EEEvSK_,"axG",@progbits,_ZN7rocprim17ROCPRIM_400000_NS6detail17trampoline_kernelINS0_14default_configENS1_36segmented_radix_sort_config_selectorIflEEZNS1_25segmented_radix_sort_implIS3_Lb1EPKfPfPKlPlN2at6native12_GLOBAL__N_18offset_tEEE10hipError_tPvRmT1_PNSt15iterator_traitsISK_E10value_typeET2_T3_PNSL_ISQ_E10value_typeET4_jRbjT5_SW_jjP12ihipStream_tbEUlT_E1_NS1_11comp_targetILNS1_3genE2ELNS1_11target_archE906ELNS1_3gpuE6ELNS1_3repE0EEENS1_59segmented_radix_sort_warp_sort_small_config_static_selectorELNS0_4arch9wavefront6targetE0EEEvSK_,comdat
.Lfunc_end1349:
	.size	_ZN7rocprim17ROCPRIM_400000_NS6detail17trampoline_kernelINS0_14default_configENS1_36segmented_radix_sort_config_selectorIflEEZNS1_25segmented_radix_sort_implIS3_Lb1EPKfPfPKlPlN2at6native12_GLOBAL__N_18offset_tEEE10hipError_tPvRmT1_PNSt15iterator_traitsISK_E10value_typeET2_T3_PNSL_ISQ_E10value_typeET4_jRbjT5_SW_jjP12ihipStream_tbEUlT_E1_NS1_11comp_targetILNS1_3genE2ELNS1_11target_archE906ELNS1_3gpuE6ELNS1_3repE0EEENS1_59segmented_radix_sort_warp_sort_small_config_static_selectorELNS0_4arch9wavefront6targetE0EEEvSK_, .Lfunc_end1349-_ZN7rocprim17ROCPRIM_400000_NS6detail17trampoline_kernelINS0_14default_configENS1_36segmented_radix_sort_config_selectorIflEEZNS1_25segmented_radix_sort_implIS3_Lb1EPKfPfPKlPlN2at6native12_GLOBAL__N_18offset_tEEE10hipError_tPvRmT1_PNSt15iterator_traitsISK_E10value_typeET2_T3_PNSL_ISQ_E10value_typeET4_jRbjT5_SW_jjP12ihipStream_tbEUlT_E1_NS1_11comp_targetILNS1_3genE2ELNS1_11target_archE906ELNS1_3gpuE6ELNS1_3repE0EEENS1_59segmented_radix_sort_warp_sort_small_config_static_selectorELNS0_4arch9wavefront6targetE0EEEvSK_
                                        ; -- End function
	.section	.AMDGPU.csdata,"",@progbits
; Kernel info:
; codeLenInByte = 0
; NumSgprs: 0
; NumVgprs: 0
; ScratchSize: 0
; MemoryBound: 0
; FloatMode: 240
; IeeeMode: 1
; LDSByteSize: 0 bytes/workgroup (compile time only)
; SGPRBlocks: 0
; VGPRBlocks: 0
; NumSGPRsForWavesPerEU: 1
; NumVGPRsForWavesPerEU: 1
; Occupancy: 16
; WaveLimiterHint : 0
; COMPUTE_PGM_RSRC2:SCRATCH_EN: 0
; COMPUTE_PGM_RSRC2:USER_SGPR: 15
; COMPUTE_PGM_RSRC2:TRAP_HANDLER: 0
; COMPUTE_PGM_RSRC2:TGID_X_EN: 1
; COMPUTE_PGM_RSRC2:TGID_Y_EN: 0
; COMPUTE_PGM_RSRC2:TGID_Z_EN: 0
; COMPUTE_PGM_RSRC2:TIDIG_COMP_CNT: 0
	.section	.text._ZN7rocprim17ROCPRIM_400000_NS6detail17trampoline_kernelINS0_14default_configENS1_36segmented_radix_sort_config_selectorIflEEZNS1_25segmented_radix_sort_implIS3_Lb1EPKfPfPKlPlN2at6native12_GLOBAL__N_18offset_tEEE10hipError_tPvRmT1_PNSt15iterator_traitsISK_E10value_typeET2_T3_PNSL_ISQ_E10value_typeET4_jRbjT5_SW_jjP12ihipStream_tbEUlT_E1_NS1_11comp_targetILNS1_3genE10ELNS1_11target_archE1201ELNS1_3gpuE5ELNS1_3repE0EEENS1_59segmented_radix_sort_warp_sort_small_config_static_selectorELNS0_4arch9wavefront6targetE0EEEvSK_,"axG",@progbits,_ZN7rocprim17ROCPRIM_400000_NS6detail17trampoline_kernelINS0_14default_configENS1_36segmented_radix_sort_config_selectorIflEEZNS1_25segmented_radix_sort_implIS3_Lb1EPKfPfPKlPlN2at6native12_GLOBAL__N_18offset_tEEE10hipError_tPvRmT1_PNSt15iterator_traitsISK_E10value_typeET2_T3_PNSL_ISQ_E10value_typeET4_jRbjT5_SW_jjP12ihipStream_tbEUlT_E1_NS1_11comp_targetILNS1_3genE10ELNS1_11target_archE1201ELNS1_3gpuE5ELNS1_3repE0EEENS1_59segmented_radix_sort_warp_sort_small_config_static_selectorELNS0_4arch9wavefront6targetE0EEEvSK_,comdat
	.globl	_ZN7rocprim17ROCPRIM_400000_NS6detail17trampoline_kernelINS0_14default_configENS1_36segmented_radix_sort_config_selectorIflEEZNS1_25segmented_radix_sort_implIS3_Lb1EPKfPfPKlPlN2at6native12_GLOBAL__N_18offset_tEEE10hipError_tPvRmT1_PNSt15iterator_traitsISK_E10value_typeET2_T3_PNSL_ISQ_E10value_typeET4_jRbjT5_SW_jjP12ihipStream_tbEUlT_E1_NS1_11comp_targetILNS1_3genE10ELNS1_11target_archE1201ELNS1_3gpuE5ELNS1_3repE0EEENS1_59segmented_radix_sort_warp_sort_small_config_static_selectorELNS0_4arch9wavefront6targetE0EEEvSK_ ; -- Begin function _ZN7rocprim17ROCPRIM_400000_NS6detail17trampoline_kernelINS0_14default_configENS1_36segmented_radix_sort_config_selectorIflEEZNS1_25segmented_radix_sort_implIS3_Lb1EPKfPfPKlPlN2at6native12_GLOBAL__N_18offset_tEEE10hipError_tPvRmT1_PNSt15iterator_traitsISK_E10value_typeET2_T3_PNSL_ISQ_E10value_typeET4_jRbjT5_SW_jjP12ihipStream_tbEUlT_E1_NS1_11comp_targetILNS1_3genE10ELNS1_11target_archE1201ELNS1_3gpuE5ELNS1_3repE0EEENS1_59segmented_radix_sort_warp_sort_small_config_static_selectorELNS0_4arch9wavefront6targetE0EEEvSK_
	.p2align	8
	.type	_ZN7rocprim17ROCPRIM_400000_NS6detail17trampoline_kernelINS0_14default_configENS1_36segmented_radix_sort_config_selectorIflEEZNS1_25segmented_radix_sort_implIS3_Lb1EPKfPfPKlPlN2at6native12_GLOBAL__N_18offset_tEEE10hipError_tPvRmT1_PNSt15iterator_traitsISK_E10value_typeET2_T3_PNSL_ISQ_E10value_typeET4_jRbjT5_SW_jjP12ihipStream_tbEUlT_E1_NS1_11comp_targetILNS1_3genE10ELNS1_11target_archE1201ELNS1_3gpuE5ELNS1_3repE0EEENS1_59segmented_radix_sort_warp_sort_small_config_static_selectorELNS0_4arch9wavefront6targetE0EEEvSK_,@function
_ZN7rocprim17ROCPRIM_400000_NS6detail17trampoline_kernelINS0_14default_configENS1_36segmented_radix_sort_config_selectorIflEEZNS1_25segmented_radix_sort_implIS3_Lb1EPKfPfPKlPlN2at6native12_GLOBAL__N_18offset_tEEE10hipError_tPvRmT1_PNSt15iterator_traitsISK_E10value_typeET2_T3_PNSL_ISQ_E10value_typeET4_jRbjT5_SW_jjP12ihipStream_tbEUlT_E1_NS1_11comp_targetILNS1_3genE10ELNS1_11target_archE1201ELNS1_3gpuE5ELNS1_3repE0EEENS1_59segmented_radix_sort_warp_sort_small_config_static_selectorELNS0_4arch9wavefront6targetE0EEEvSK_: ; @_ZN7rocprim17ROCPRIM_400000_NS6detail17trampoline_kernelINS0_14default_configENS1_36segmented_radix_sort_config_selectorIflEEZNS1_25segmented_radix_sort_implIS3_Lb1EPKfPfPKlPlN2at6native12_GLOBAL__N_18offset_tEEE10hipError_tPvRmT1_PNSt15iterator_traitsISK_E10value_typeET2_T3_PNSL_ISQ_E10value_typeET4_jRbjT5_SW_jjP12ihipStream_tbEUlT_E1_NS1_11comp_targetILNS1_3genE10ELNS1_11target_archE1201ELNS1_3gpuE5ELNS1_3repE0EEENS1_59segmented_radix_sort_warp_sort_small_config_static_selectorELNS0_4arch9wavefront6targetE0EEEvSK_
; %bb.0:
	.section	.rodata,"a",@progbits
	.p2align	6, 0x0
	.amdhsa_kernel _ZN7rocprim17ROCPRIM_400000_NS6detail17trampoline_kernelINS0_14default_configENS1_36segmented_radix_sort_config_selectorIflEEZNS1_25segmented_radix_sort_implIS3_Lb1EPKfPfPKlPlN2at6native12_GLOBAL__N_18offset_tEEE10hipError_tPvRmT1_PNSt15iterator_traitsISK_E10value_typeET2_T3_PNSL_ISQ_E10value_typeET4_jRbjT5_SW_jjP12ihipStream_tbEUlT_E1_NS1_11comp_targetILNS1_3genE10ELNS1_11target_archE1201ELNS1_3gpuE5ELNS1_3repE0EEENS1_59segmented_radix_sort_warp_sort_small_config_static_selectorELNS0_4arch9wavefront6targetE0EEEvSK_
		.amdhsa_group_segment_fixed_size 0
		.amdhsa_private_segment_fixed_size 0
		.amdhsa_kernarg_size 88
		.amdhsa_user_sgpr_count 15
		.amdhsa_user_sgpr_dispatch_ptr 0
		.amdhsa_user_sgpr_queue_ptr 0
		.amdhsa_user_sgpr_kernarg_segment_ptr 1
		.amdhsa_user_sgpr_dispatch_id 0
		.amdhsa_user_sgpr_private_segment_size 0
		.amdhsa_wavefront_size32 1
		.amdhsa_uses_dynamic_stack 0
		.amdhsa_enable_private_segment 0
		.amdhsa_system_sgpr_workgroup_id_x 1
		.amdhsa_system_sgpr_workgroup_id_y 0
		.amdhsa_system_sgpr_workgroup_id_z 0
		.amdhsa_system_sgpr_workgroup_info 0
		.amdhsa_system_vgpr_workitem_id 0
		.amdhsa_next_free_vgpr 1
		.amdhsa_next_free_sgpr 1
		.amdhsa_reserve_vcc 0
		.amdhsa_float_round_mode_32 0
		.amdhsa_float_round_mode_16_64 0
		.amdhsa_float_denorm_mode_32 3
		.amdhsa_float_denorm_mode_16_64 3
		.amdhsa_dx10_clamp 1
		.amdhsa_ieee_mode 1
		.amdhsa_fp16_overflow 0
		.amdhsa_workgroup_processor_mode 1
		.amdhsa_memory_ordered 1
		.amdhsa_forward_progress 0
		.amdhsa_shared_vgpr_count 0
		.amdhsa_exception_fp_ieee_invalid_op 0
		.amdhsa_exception_fp_denorm_src 0
		.amdhsa_exception_fp_ieee_div_zero 0
		.amdhsa_exception_fp_ieee_overflow 0
		.amdhsa_exception_fp_ieee_underflow 0
		.amdhsa_exception_fp_ieee_inexact 0
		.amdhsa_exception_int_div_zero 0
	.end_amdhsa_kernel
	.section	.text._ZN7rocprim17ROCPRIM_400000_NS6detail17trampoline_kernelINS0_14default_configENS1_36segmented_radix_sort_config_selectorIflEEZNS1_25segmented_radix_sort_implIS3_Lb1EPKfPfPKlPlN2at6native12_GLOBAL__N_18offset_tEEE10hipError_tPvRmT1_PNSt15iterator_traitsISK_E10value_typeET2_T3_PNSL_ISQ_E10value_typeET4_jRbjT5_SW_jjP12ihipStream_tbEUlT_E1_NS1_11comp_targetILNS1_3genE10ELNS1_11target_archE1201ELNS1_3gpuE5ELNS1_3repE0EEENS1_59segmented_radix_sort_warp_sort_small_config_static_selectorELNS0_4arch9wavefront6targetE0EEEvSK_,"axG",@progbits,_ZN7rocprim17ROCPRIM_400000_NS6detail17trampoline_kernelINS0_14default_configENS1_36segmented_radix_sort_config_selectorIflEEZNS1_25segmented_radix_sort_implIS3_Lb1EPKfPfPKlPlN2at6native12_GLOBAL__N_18offset_tEEE10hipError_tPvRmT1_PNSt15iterator_traitsISK_E10value_typeET2_T3_PNSL_ISQ_E10value_typeET4_jRbjT5_SW_jjP12ihipStream_tbEUlT_E1_NS1_11comp_targetILNS1_3genE10ELNS1_11target_archE1201ELNS1_3gpuE5ELNS1_3repE0EEENS1_59segmented_radix_sort_warp_sort_small_config_static_selectorELNS0_4arch9wavefront6targetE0EEEvSK_,comdat
.Lfunc_end1350:
	.size	_ZN7rocprim17ROCPRIM_400000_NS6detail17trampoline_kernelINS0_14default_configENS1_36segmented_radix_sort_config_selectorIflEEZNS1_25segmented_radix_sort_implIS3_Lb1EPKfPfPKlPlN2at6native12_GLOBAL__N_18offset_tEEE10hipError_tPvRmT1_PNSt15iterator_traitsISK_E10value_typeET2_T3_PNSL_ISQ_E10value_typeET4_jRbjT5_SW_jjP12ihipStream_tbEUlT_E1_NS1_11comp_targetILNS1_3genE10ELNS1_11target_archE1201ELNS1_3gpuE5ELNS1_3repE0EEENS1_59segmented_radix_sort_warp_sort_small_config_static_selectorELNS0_4arch9wavefront6targetE0EEEvSK_, .Lfunc_end1350-_ZN7rocprim17ROCPRIM_400000_NS6detail17trampoline_kernelINS0_14default_configENS1_36segmented_radix_sort_config_selectorIflEEZNS1_25segmented_radix_sort_implIS3_Lb1EPKfPfPKlPlN2at6native12_GLOBAL__N_18offset_tEEE10hipError_tPvRmT1_PNSt15iterator_traitsISK_E10value_typeET2_T3_PNSL_ISQ_E10value_typeET4_jRbjT5_SW_jjP12ihipStream_tbEUlT_E1_NS1_11comp_targetILNS1_3genE10ELNS1_11target_archE1201ELNS1_3gpuE5ELNS1_3repE0EEENS1_59segmented_radix_sort_warp_sort_small_config_static_selectorELNS0_4arch9wavefront6targetE0EEEvSK_
                                        ; -- End function
	.section	.AMDGPU.csdata,"",@progbits
; Kernel info:
; codeLenInByte = 0
; NumSgprs: 0
; NumVgprs: 0
; ScratchSize: 0
; MemoryBound: 0
; FloatMode: 240
; IeeeMode: 1
; LDSByteSize: 0 bytes/workgroup (compile time only)
; SGPRBlocks: 0
; VGPRBlocks: 0
; NumSGPRsForWavesPerEU: 1
; NumVGPRsForWavesPerEU: 1
; Occupancy: 16
; WaveLimiterHint : 0
; COMPUTE_PGM_RSRC2:SCRATCH_EN: 0
; COMPUTE_PGM_RSRC2:USER_SGPR: 15
; COMPUTE_PGM_RSRC2:TRAP_HANDLER: 0
; COMPUTE_PGM_RSRC2:TGID_X_EN: 1
; COMPUTE_PGM_RSRC2:TGID_Y_EN: 0
; COMPUTE_PGM_RSRC2:TGID_Z_EN: 0
; COMPUTE_PGM_RSRC2:TIDIG_COMP_CNT: 0
	.section	.text._ZN7rocprim17ROCPRIM_400000_NS6detail17trampoline_kernelINS0_14default_configENS1_36segmented_radix_sort_config_selectorIflEEZNS1_25segmented_radix_sort_implIS3_Lb1EPKfPfPKlPlN2at6native12_GLOBAL__N_18offset_tEEE10hipError_tPvRmT1_PNSt15iterator_traitsISK_E10value_typeET2_T3_PNSL_ISQ_E10value_typeET4_jRbjT5_SW_jjP12ihipStream_tbEUlT_E1_NS1_11comp_targetILNS1_3genE10ELNS1_11target_archE1200ELNS1_3gpuE4ELNS1_3repE0EEENS1_59segmented_radix_sort_warp_sort_small_config_static_selectorELNS0_4arch9wavefront6targetE0EEEvSK_,"axG",@progbits,_ZN7rocprim17ROCPRIM_400000_NS6detail17trampoline_kernelINS0_14default_configENS1_36segmented_radix_sort_config_selectorIflEEZNS1_25segmented_radix_sort_implIS3_Lb1EPKfPfPKlPlN2at6native12_GLOBAL__N_18offset_tEEE10hipError_tPvRmT1_PNSt15iterator_traitsISK_E10value_typeET2_T3_PNSL_ISQ_E10value_typeET4_jRbjT5_SW_jjP12ihipStream_tbEUlT_E1_NS1_11comp_targetILNS1_3genE10ELNS1_11target_archE1200ELNS1_3gpuE4ELNS1_3repE0EEENS1_59segmented_radix_sort_warp_sort_small_config_static_selectorELNS0_4arch9wavefront6targetE0EEEvSK_,comdat
	.globl	_ZN7rocprim17ROCPRIM_400000_NS6detail17trampoline_kernelINS0_14default_configENS1_36segmented_radix_sort_config_selectorIflEEZNS1_25segmented_radix_sort_implIS3_Lb1EPKfPfPKlPlN2at6native12_GLOBAL__N_18offset_tEEE10hipError_tPvRmT1_PNSt15iterator_traitsISK_E10value_typeET2_T3_PNSL_ISQ_E10value_typeET4_jRbjT5_SW_jjP12ihipStream_tbEUlT_E1_NS1_11comp_targetILNS1_3genE10ELNS1_11target_archE1200ELNS1_3gpuE4ELNS1_3repE0EEENS1_59segmented_radix_sort_warp_sort_small_config_static_selectorELNS0_4arch9wavefront6targetE0EEEvSK_ ; -- Begin function _ZN7rocprim17ROCPRIM_400000_NS6detail17trampoline_kernelINS0_14default_configENS1_36segmented_radix_sort_config_selectorIflEEZNS1_25segmented_radix_sort_implIS3_Lb1EPKfPfPKlPlN2at6native12_GLOBAL__N_18offset_tEEE10hipError_tPvRmT1_PNSt15iterator_traitsISK_E10value_typeET2_T3_PNSL_ISQ_E10value_typeET4_jRbjT5_SW_jjP12ihipStream_tbEUlT_E1_NS1_11comp_targetILNS1_3genE10ELNS1_11target_archE1200ELNS1_3gpuE4ELNS1_3repE0EEENS1_59segmented_radix_sort_warp_sort_small_config_static_selectorELNS0_4arch9wavefront6targetE0EEEvSK_
	.p2align	8
	.type	_ZN7rocprim17ROCPRIM_400000_NS6detail17trampoline_kernelINS0_14default_configENS1_36segmented_radix_sort_config_selectorIflEEZNS1_25segmented_radix_sort_implIS3_Lb1EPKfPfPKlPlN2at6native12_GLOBAL__N_18offset_tEEE10hipError_tPvRmT1_PNSt15iterator_traitsISK_E10value_typeET2_T3_PNSL_ISQ_E10value_typeET4_jRbjT5_SW_jjP12ihipStream_tbEUlT_E1_NS1_11comp_targetILNS1_3genE10ELNS1_11target_archE1200ELNS1_3gpuE4ELNS1_3repE0EEENS1_59segmented_radix_sort_warp_sort_small_config_static_selectorELNS0_4arch9wavefront6targetE0EEEvSK_,@function
_ZN7rocprim17ROCPRIM_400000_NS6detail17trampoline_kernelINS0_14default_configENS1_36segmented_radix_sort_config_selectorIflEEZNS1_25segmented_radix_sort_implIS3_Lb1EPKfPfPKlPlN2at6native12_GLOBAL__N_18offset_tEEE10hipError_tPvRmT1_PNSt15iterator_traitsISK_E10value_typeET2_T3_PNSL_ISQ_E10value_typeET4_jRbjT5_SW_jjP12ihipStream_tbEUlT_E1_NS1_11comp_targetILNS1_3genE10ELNS1_11target_archE1200ELNS1_3gpuE4ELNS1_3repE0EEENS1_59segmented_radix_sort_warp_sort_small_config_static_selectorELNS0_4arch9wavefront6targetE0EEEvSK_: ; @_ZN7rocprim17ROCPRIM_400000_NS6detail17trampoline_kernelINS0_14default_configENS1_36segmented_radix_sort_config_selectorIflEEZNS1_25segmented_radix_sort_implIS3_Lb1EPKfPfPKlPlN2at6native12_GLOBAL__N_18offset_tEEE10hipError_tPvRmT1_PNSt15iterator_traitsISK_E10value_typeET2_T3_PNSL_ISQ_E10value_typeET4_jRbjT5_SW_jjP12ihipStream_tbEUlT_E1_NS1_11comp_targetILNS1_3genE10ELNS1_11target_archE1200ELNS1_3gpuE4ELNS1_3repE0EEENS1_59segmented_radix_sort_warp_sort_small_config_static_selectorELNS0_4arch9wavefront6targetE0EEEvSK_
; %bb.0:
	.section	.rodata,"a",@progbits
	.p2align	6, 0x0
	.amdhsa_kernel _ZN7rocprim17ROCPRIM_400000_NS6detail17trampoline_kernelINS0_14default_configENS1_36segmented_radix_sort_config_selectorIflEEZNS1_25segmented_radix_sort_implIS3_Lb1EPKfPfPKlPlN2at6native12_GLOBAL__N_18offset_tEEE10hipError_tPvRmT1_PNSt15iterator_traitsISK_E10value_typeET2_T3_PNSL_ISQ_E10value_typeET4_jRbjT5_SW_jjP12ihipStream_tbEUlT_E1_NS1_11comp_targetILNS1_3genE10ELNS1_11target_archE1200ELNS1_3gpuE4ELNS1_3repE0EEENS1_59segmented_radix_sort_warp_sort_small_config_static_selectorELNS0_4arch9wavefront6targetE0EEEvSK_
		.amdhsa_group_segment_fixed_size 0
		.amdhsa_private_segment_fixed_size 0
		.amdhsa_kernarg_size 88
		.amdhsa_user_sgpr_count 15
		.amdhsa_user_sgpr_dispatch_ptr 0
		.amdhsa_user_sgpr_queue_ptr 0
		.amdhsa_user_sgpr_kernarg_segment_ptr 1
		.amdhsa_user_sgpr_dispatch_id 0
		.amdhsa_user_sgpr_private_segment_size 0
		.amdhsa_wavefront_size32 1
		.amdhsa_uses_dynamic_stack 0
		.amdhsa_enable_private_segment 0
		.amdhsa_system_sgpr_workgroup_id_x 1
		.amdhsa_system_sgpr_workgroup_id_y 0
		.amdhsa_system_sgpr_workgroup_id_z 0
		.amdhsa_system_sgpr_workgroup_info 0
		.amdhsa_system_vgpr_workitem_id 0
		.amdhsa_next_free_vgpr 1
		.amdhsa_next_free_sgpr 1
		.amdhsa_reserve_vcc 0
		.amdhsa_float_round_mode_32 0
		.amdhsa_float_round_mode_16_64 0
		.amdhsa_float_denorm_mode_32 3
		.amdhsa_float_denorm_mode_16_64 3
		.amdhsa_dx10_clamp 1
		.amdhsa_ieee_mode 1
		.amdhsa_fp16_overflow 0
		.amdhsa_workgroup_processor_mode 1
		.amdhsa_memory_ordered 1
		.amdhsa_forward_progress 0
		.amdhsa_shared_vgpr_count 0
		.amdhsa_exception_fp_ieee_invalid_op 0
		.amdhsa_exception_fp_denorm_src 0
		.amdhsa_exception_fp_ieee_div_zero 0
		.amdhsa_exception_fp_ieee_overflow 0
		.amdhsa_exception_fp_ieee_underflow 0
		.amdhsa_exception_fp_ieee_inexact 0
		.amdhsa_exception_int_div_zero 0
	.end_amdhsa_kernel
	.section	.text._ZN7rocprim17ROCPRIM_400000_NS6detail17trampoline_kernelINS0_14default_configENS1_36segmented_radix_sort_config_selectorIflEEZNS1_25segmented_radix_sort_implIS3_Lb1EPKfPfPKlPlN2at6native12_GLOBAL__N_18offset_tEEE10hipError_tPvRmT1_PNSt15iterator_traitsISK_E10value_typeET2_T3_PNSL_ISQ_E10value_typeET4_jRbjT5_SW_jjP12ihipStream_tbEUlT_E1_NS1_11comp_targetILNS1_3genE10ELNS1_11target_archE1200ELNS1_3gpuE4ELNS1_3repE0EEENS1_59segmented_radix_sort_warp_sort_small_config_static_selectorELNS0_4arch9wavefront6targetE0EEEvSK_,"axG",@progbits,_ZN7rocprim17ROCPRIM_400000_NS6detail17trampoline_kernelINS0_14default_configENS1_36segmented_radix_sort_config_selectorIflEEZNS1_25segmented_radix_sort_implIS3_Lb1EPKfPfPKlPlN2at6native12_GLOBAL__N_18offset_tEEE10hipError_tPvRmT1_PNSt15iterator_traitsISK_E10value_typeET2_T3_PNSL_ISQ_E10value_typeET4_jRbjT5_SW_jjP12ihipStream_tbEUlT_E1_NS1_11comp_targetILNS1_3genE10ELNS1_11target_archE1200ELNS1_3gpuE4ELNS1_3repE0EEENS1_59segmented_radix_sort_warp_sort_small_config_static_selectorELNS0_4arch9wavefront6targetE0EEEvSK_,comdat
.Lfunc_end1351:
	.size	_ZN7rocprim17ROCPRIM_400000_NS6detail17trampoline_kernelINS0_14default_configENS1_36segmented_radix_sort_config_selectorIflEEZNS1_25segmented_radix_sort_implIS3_Lb1EPKfPfPKlPlN2at6native12_GLOBAL__N_18offset_tEEE10hipError_tPvRmT1_PNSt15iterator_traitsISK_E10value_typeET2_T3_PNSL_ISQ_E10value_typeET4_jRbjT5_SW_jjP12ihipStream_tbEUlT_E1_NS1_11comp_targetILNS1_3genE10ELNS1_11target_archE1200ELNS1_3gpuE4ELNS1_3repE0EEENS1_59segmented_radix_sort_warp_sort_small_config_static_selectorELNS0_4arch9wavefront6targetE0EEEvSK_, .Lfunc_end1351-_ZN7rocprim17ROCPRIM_400000_NS6detail17trampoline_kernelINS0_14default_configENS1_36segmented_radix_sort_config_selectorIflEEZNS1_25segmented_radix_sort_implIS3_Lb1EPKfPfPKlPlN2at6native12_GLOBAL__N_18offset_tEEE10hipError_tPvRmT1_PNSt15iterator_traitsISK_E10value_typeET2_T3_PNSL_ISQ_E10value_typeET4_jRbjT5_SW_jjP12ihipStream_tbEUlT_E1_NS1_11comp_targetILNS1_3genE10ELNS1_11target_archE1200ELNS1_3gpuE4ELNS1_3repE0EEENS1_59segmented_radix_sort_warp_sort_small_config_static_selectorELNS0_4arch9wavefront6targetE0EEEvSK_
                                        ; -- End function
	.section	.AMDGPU.csdata,"",@progbits
; Kernel info:
; codeLenInByte = 0
; NumSgprs: 0
; NumVgprs: 0
; ScratchSize: 0
; MemoryBound: 0
; FloatMode: 240
; IeeeMode: 1
; LDSByteSize: 0 bytes/workgroup (compile time only)
; SGPRBlocks: 0
; VGPRBlocks: 0
; NumSGPRsForWavesPerEU: 1
; NumVGPRsForWavesPerEU: 1
; Occupancy: 16
; WaveLimiterHint : 0
; COMPUTE_PGM_RSRC2:SCRATCH_EN: 0
; COMPUTE_PGM_RSRC2:USER_SGPR: 15
; COMPUTE_PGM_RSRC2:TRAP_HANDLER: 0
; COMPUTE_PGM_RSRC2:TGID_X_EN: 1
; COMPUTE_PGM_RSRC2:TGID_Y_EN: 0
; COMPUTE_PGM_RSRC2:TGID_Z_EN: 0
; COMPUTE_PGM_RSRC2:TIDIG_COMP_CNT: 0
	.text
	.p2align	2                               ; -- Begin function _ZN7rocprim17ROCPRIM_400000_NS6detail26segmented_warp_sort_helperINS1_20WarpSortHelperConfigILj8ELj4ELj256EEEflLi256ELb1EvE4sortIPKfPfPKlPlEEvT_S9_T0_T1_SC_T2_bjjjjRNS5_12storage_typeE
	.type	_ZN7rocprim17ROCPRIM_400000_NS6detail26segmented_warp_sort_helperINS1_20WarpSortHelperConfigILj8ELj4ELj256EEEflLi256ELb1EvE4sortIPKfPfPKlPlEEvT_S9_T0_T1_SC_T2_bjjjjRNS5_12storage_typeE,@function
_ZN7rocprim17ROCPRIM_400000_NS6detail26segmented_warp_sort_helperINS1_20WarpSortHelperConfigILj8ELj4ELj256EEEflLi256ELb1EvE4sortIPKfPfPKlPlEEvT_S9_T0_T1_SC_T2_bjjjjRNS5_12storage_typeE: ; @_ZN7rocprim17ROCPRIM_400000_NS6detail26segmented_warp_sort_helperINS1_20WarpSortHelperConfigILj8ELj4ELj256EEEflLi256ELb1EvE4sortIPKfPfPKlPlEEvT_S9_T0_T1_SC_T2_bjjjjRNS5_12storage_typeE
; %bb.0:
	s_waitcnt vmcnt(0) expcnt(0) lgkmcnt(0)
	v_mov_b32_e32 v17, v14
	v_mbcnt_lo_u32_b32 v14, -1, 0
	v_and_b32_e32 v12, 1, v12
	s_mov_b32 s5, 0
	s_delay_alu instid0(VALU_DEP_2) | instskip(NEXT) | instid1(VALU_DEP_2)
	v_lshlrev_b32_e32 v80, 2, v14
	v_cmp_eq_u32_e64 s0, 1, v12
	v_sub_nc_u32_e32 v12, v17, v13
                                        ; implicit-def: $vgpr17_vgpr18_vgpr19_vgpr20_vgpr21_vgpr22_vgpr23_vgpr24
	s_delay_alu instid0(VALU_DEP_3) | instskip(SKIP_1) | instid1(VALU_DEP_4)
	v_and_b32_e32 v70, 28, v80
	v_mov_b32_e32 v14, 0
	s_xor_b32 s0, s0, -1
	s_delay_alu instid0(VALU_DEP_2) | instskip(NEXT) | instid1(VALU_DEP_2)
	v_lshlrev_b32_e32 v71, 2, v70
	v_lshlrev_b64 v[68:69], 2, v[13:14]
	s_delay_alu instid0(VALU_DEP_1) | instskip(NEXT) | instid1(VALU_DEP_2)
	v_add_co_u32 v0, vcc_lo, v0, v68
	v_add_co_ci_u32_e32 v1, vcc_lo, v1, v69, vcc_lo
	s_delay_alu instid0(VALU_DEP_2) | instskip(NEXT) | instid1(VALU_DEP_2)
	v_add_co_u32 v25, vcc_lo, v0, v71
	v_add_co_ci_u32_e32 v26, vcc_lo, 0, v1, vcc_lo
	v_cmp_lt_u32_e32 vcc_lo, v70, v12
	s_and_saveexec_b32 s1, s0
	s_delay_alu instid0(SALU_CYCLE_1)
	s_xor_b32 s6, exec_lo, s1
	s_cbranch_execnz .LBB1352_4
; %bb.1:
	s_and_not1_saveexec_b32 s6, s6
	s_cbranch_execnz .LBB1352_111
.LBB1352_2:
	s_or_b32 exec_lo, exec_lo, s6
	s_and_saveexec_b32 s0, s5
	s_cbranch_execnz .LBB1352_218
.LBB1352_3:
	s_or_b32 exec_lo, exec_lo, s0
	s_waitcnt lgkmcnt(0)
	s_setpc_b64 s[30:31]
.LBB1352_4:
	v_dual_mov_b32 v65, -1 :: v_dual_mov_b32 v64, -1
	s_and_saveexec_b32 s0, vcc_lo
	s_cbranch_execz .LBB1352_6
; %bb.5:
	flat_load_b32 v64, v[25:26]
.LBB1352_6:
	s_or_b32 exec_lo, exec_lo, s0
	v_or_b32_e32 v0, 1, v70
	s_delay_alu instid0(VALU_DEP_1) | instskip(NEXT) | instid1(VALU_DEP_1)
	v_cmp_lt_u32_e64 s0, v0, v12
	s_and_saveexec_b32 s1, s0
	s_cbranch_execz .LBB1352_8
; %bb.7:
	flat_load_b32 v65, v[25:26] offset:4
.LBB1352_8:
	s_or_b32 exec_lo, exec_lo, s1
	v_or_b32_e32 v0, 2, v70
	v_dual_mov_b32 v67, -1 :: v_dual_mov_b32 v66, -1
	s_delay_alu instid0(VALU_DEP_2) | instskip(NEXT) | instid1(VALU_DEP_1)
	v_cmp_lt_u32_e64 s1, v0, v12
	s_and_saveexec_b32 s2, s1
	s_cbranch_execz .LBB1352_10
; %bb.9:
	flat_load_b32 v66, v[25:26] offset:8
.LBB1352_10:
	s_or_b32 exec_lo, exec_lo, s2
	v_or_b32_e32 v0, 3, v70
	s_delay_alu instid0(VALU_DEP_1) | instskip(NEXT) | instid1(VALU_DEP_1)
	v_cmp_lt_u32_e64 s2, v0, v12
	s_and_saveexec_b32 s3, s2
	s_cbranch_execz .LBB1352_12
; %bb.11:
	flat_load_b32 v67, v[25:26] offset:12
.LBB1352_12:
	s_or_b32 exec_lo, exec_lo, s3
	v_lshlrev_b64 v[0:1], 3, v[13:14]
	v_lshlrev_b32_e32 v81, 3, v70
	; wave barrier
                                        ; implicit-def: $vgpr17_vgpr18_vgpr19_vgpr20_vgpr21_vgpr22_vgpr23_vgpr24
	s_delay_alu instid0(VALU_DEP_2) | instskip(NEXT) | instid1(VALU_DEP_1)
	v_add_co_u32 v4, s3, v6, v0
	v_add_co_ci_u32_e64 v5, s3, v7, v1, s3
	s_delay_alu instid0(VALU_DEP_2) | instskip(NEXT) | instid1(VALU_DEP_1)
	v_add_co_u32 v4, s3, v4, v81
	v_add_co_ci_u32_e64 v5, s3, 0, v5, s3
	s_and_saveexec_b32 s3, vcc_lo
	s_cbranch_execnz .LBB1352_219
; %bb.13:
	s_or_b32 exec_lo, exec_lo, s3
	s_and_saveexec_b32 s3, s0
	s_cbranch_execnz .LBB1352_220
.LBB1352_14:
	s_or_b32 exec_lo, exec_lo, s3
	s_and_saveexec_b32 s3, s1
	s_cbranch_execnz .LBB1352_221
.LBB1352_15:
	s_or_b32 exec_lo, exec_lo, s3
	s_and_saveexec_b32 s3, s2
	s_cbranch_execz .LBB1352_17
.LBB1352_16:
	flat_load_b64 v[23:24], v[4:5] offset:24
.LBB1352_17:
	s_or_b32 exec_lo, exec_lo, s3
	; wave barrier
	s_load_b64 s[4:5], s[8:9], 0x0
	v_mov_b32_e32 v4, 0
	v_bfe_u32 v6, v31, 10, 10
	v_bfe_u32 v7, v31, 20, 10
	s_waitcnt lgkmcnt(0)
	s_cmp_lt_u32 s13, s5
	s_cselect_b32 s3, 14, 20
	s_delay_alu instid0(SALU_CYCLE_1) | instskip(SKIP_4) | instid1(SALU_CYCLE_1)
	s_add_u32 s10, s8, s3
	s_addc_u32 s11, s9, 0
	s_cmp_lt_u32 s12, s4
	global_load_u16 v5, v4, s[10:11]
	s_cselect_b32 s3, 12, 18
	s_add_u32 s4, s8, s3
	s_addc_u32 s5, s9, 0
	global_load_u16 v4, v4, s[4:5]
	s_mov_b32 s5, exec_lo
	s_waitcnt vmcnt(1)
	v_mad_u32_u24 v5, v7, v5, v6
	s_waitcnt vmcnt(0)
	s_delay_alu instid0(VALU_DEP_1) | instskip(SKIP_1) | instid1(VALU_DEP_1)
	v_mul_lo_u32 v4, v5, v4
	v_and_b32_e32 v5, 0x3ff, v31
	v_add_lshl_u32 v4, v4, v5, 2
	s_delay_alu instid0(VALU_DEP_1)
	v_cmpx_gt_u32_e32 0x400, v4
	s_cbranch_execz .LBB1352_29
; %bb.18:
	v_dual_add_f32 v5, 0, v65 :: v_dual_add_f32 v6, 0, v64
	v_dual_add_f32 v7, 0, v67 :: v_dual_add_f32 v10, 0, v66
	s_mov_b32 s7, exec_lo
	s_delay_alu instid0(VALU_DEP_2) | instskip(NEXT) | instid1(VALU_DEP_3)
	v_ashrrev_i32_e32 v11, 31, v5
	v_ashrrev_i32_e32 v12, 31, v6
	s_delay_alu instid0(VALU_DEP_3) | instskip(SKIP_1) | instid1(VALU_DEP_4)
	v_ashrrev_i32_e32 v25, 31, v7
	v_ashrrev_i32_e32 v26, 31, v10
	v_or_b32_e32 v11, 0x80000000, v11
	s_delay_alu instid0(VALU_DEP_4) | instskip(NEXT) | instid1(VALU_DEP_4)
	v_or_b32_e32 v12, 0x80000000, v12
	v_or_b32_e32 v25, 0x80000000, v25
	s_delay_alu instid0(VALU_DEP_4) | instskip(NEXT) | instid1(VALU_DEP_4)
	v_or_b32_e32 v26, 0x80000000, v26
	v_xor_b32_e32 v5, v11, v5
	s_delay_alu instid0(VALU_DEP_4) | instskip(NEXT) | instid1(VALU_DEP_4)
	v_xor_b32_e32 v6, v12, v6
	v_xor_b32_e32 v12, v25, v7
	s_delay_alu instid0(VALU_DEP_4) | instskip(SKIP_1) | instid1(VALU_DEP_4)
	v_xor_b32_e32 v82, v26, v10
	v_mov_b32_e32 v7, v66
	v_cmp_gt_u32_e64 s3, v5, v6
	s_delay_alu instid0(VALU_DEP_1)
	v_cndmask_b32_e64 v10, v20, v18, s3
	v_cndmask_b32_e64 v11, v19, v17, s3
	;; [unrolled: 1-line block ×4, first 2 shown]
	v_cmpx_gt_u32_e64 v12, v82
; %bb.19:
	v_dual_mov_b32 v17, v21 :: v_dual_mov_b32 v18, v22
	v_mov_b32_e32 v21, v23
	v_dual_mov_b32 v7, v67 :: v_dual_mov_b32 v82, v12
	v_dual_mov_b32 v67, v66 :: v_dual_mov_b32 v22, v24
	s_delay_alu instid0(VALU_DEP_4)
	v_dual_mov_b32 v24, v18 :: v_dual_mov_b32 v23, v17
; %bb.20:
	s_or_b32 exec_lo, exec_lo, s7
	v_cndmask_b32_e64 v17, v65, v64, s3
                                        ; implicit-def: $vgpr66
	s_delay_alu instid0(VALU_DEP_1) | instskip(NEXT) | instid1(VALU_DEP_1)
	v_add_f32_e32 v12, 0, v17
	v_ashrrev_i32_e32 v18, 31, v12
	s_delay_alu instid0(VALU_DEP_1) | instskip(NEXT) | instid1(VALU_DEP_1)
	v_or_b32_e32 v18, 0x80000000, v18
	v_xor_b32_e32 v12, v18, v12
	s_delay_alu instid0(VALU_DEP_1) | instskip(NEXT) | instid1(VALU_DEP_1)
	v_cmp_le_u32_e64 s4, v82, v12
	s_and_saveexec_b32 s7, s4
	s_delay_alu instid0(SALU_CYCLE_1)
	s_xor_b32 s4, exec_lo, s7
                                        ; implicit-def: $vgpr32_vgpr33_vgpr34_vgpr35_vgpr36_vgpr37_vgpr38_vgpr39
                                        ; implicit-def: $vgpr30_vgpr31_vgpr32_vgpr33_vgpr34_vgpr35_vgpr36_vgpr37
                                        ; implicit-def: $vgpr25_vgpr26_vgpr27_vgpr28_vgpr29_vgpr30_vgpr31_vgpr32
                                        ; implicit-def: $vgpr48_vgpr49_vgpr50_vgpr51_vgpr52_vgpr53_vgpr54_vgpr55
; %bb.21:
	v_dual_add_f32 v18, 0, v7 :: v_dual_mov_b32 v27, v11
	v_dual_mov_b32 v33, v10 :: v_dual_mov_b32 v38, v23
	v_dual_mov_b32 v11, v21 :: v_dual_mov_b32 v10, v22
	s_delay_alu instid0(VALU_DEP_3) | instskip(SKIP_1) | instid1(VALU_DEP_2)
	v_ashrrev_i32_e32 v19, 31, v18
	v_mov_b32_e32 v55, v24
                                        ; implicit-def: $vgpr21_vgpr22
                                        ; implicit-def: $vgpr82
	v_or_b32_e32 v19, 0x80000000, v19
	s_delay_alu instid0(VALU_DEP_1)
	v_xor_b32_e32 v66, v19, v18
; %bb.22:
	s_or_saveexec_b32 s4, s4
	v_mov_b32_e32 v25, v17
	s_xor_b32 exec_lo, exec_lo, s4
; %bb.23:
	v_dual_mov_b32 v27, v21 :: v_dual_mov_b32 v38, v23
	v_dual_mov_b32 v33, v22 :: v_dual_mov_b32 v66, v12
	v_dual_mov_b32 v55, v24 :: v_dual_mov_b32 v12, v82
	v_mov_b32_e32 v25, v7
	v_mov_b32_e32 v7, v17
; %bb.24:
	s_or_b32 exec_lo, exec_lo, s4
	v_cndmask_b32_e64 v26, v64, v65, s3
	v_dual_mov_b32 v21, v11 :: v_dual_mov_b32 v22, v10
	v_dual_mov_b32 v23, v38 :: v_dual_mov_b32 v24, v55
	s_delay_alu instid0(VALU_DEP_3) | instskip(SKIP_1) | instid1(VALU_DEP_1)
	v_dual_add_f32 v17, 0, v26 :: v_dual_add_f32 v18, 0, v67
	s_mov_b32 s7, exec_lo
	v_ashrrev_i32_e32 v19, 31, v17
	s_delay_alu instid0(VALU_DEP_2) | instskip(NEXT) | instid1(VALU_DEP_2)
	v_ashrrev_i32_e32 v20, 31, v18
	v_or_b32_e32 v19, 0x80000000, v19
	s_delay_alu instid0(VALU_DEP_2) | instskip(NEXT) | instid1(VALU_DEP_2)
	v_or_b32_e32 v20, 0x80000000, v20
	v_xor_b32_e32 v17, v19, v17
	s_delay_alu instid0(VALU_DEP_2) | instskip(NEXT) | instid1(VALU_DEP_2)
	v_xor_b32_e32 v11, v20, v18
	v_cmp_gt_u32_e64 s3, v12, v17
	s_delay_alu instid0(VALU_DEP_1)
	v_cndmask_b32_e64 v20, v33, v5, s3
	v_cndmask_b32_e64 v19, v27, v6, s3
	;; [unrolled: 1-line block ×4, first 2 shown]
	v_mov_b32_e32 v5, v7
	v_cmpx_gt_u32_e64 v11, v66
; %bb.25:
	s_delay_alu instid0(VALU_DEP_3) | instskip(SKIP_3) | instid1(VALU_DEP_4)
	v_dual_mov_b32 v27, v17 :: v_dual_mov_b32 v28, v18
	v_dual_mov_b32 v29, v19 :: v_dual_mov_b32 v30, v20
	;; [unrolled: 1-line block ×4, first 2 shown]
	v_mov_b32_e32 v17, v27
	v_dual_mov_b32 v5, v67 :: v_dual_mov_b32 v18, v28
	v_dual_mov_b32 v67, v7 :: v_dual_mov_b32 v20, v30
	s_delay_alu instid0(VALU_DEP_4)
	v_dual_mov_b32 v19, v29 :: v_dual_mov_b32 v24, v34
	v_dual_mov_b32 v21, v31 :: v_dual_mov_b32 v22, v32
	;; [unrolled: 1-line block ×3, first 2 shown]
; %bb.26:
	s_or_b32 exec_lo, exec_lo, s7
	v_cndmask_b32_e64 v65, v25, v26, s3
	s_delay_alu instid0(VALU_DEP_1) | instskip(NEXT) | instid1(VALU_DEP_1)
	v_add_f32_e32 v6, 0, v65
	v_ashrrev_i32_e32 v7, 31, v6
	s_delay_alu instid0(VALU_DEP_1) | instskip(NEXT) | instid1(VALU_DEP_1)
	v_or_b32_e32 v7, 0x80000000, v7
	v_xor_b32_e32 v6, v7, v6
	s_delay_alu instid0(VALU_DEP_1) | instskip(SKIP_1) | instid1(VALU_DEP_2)
	v_cmp_gt_u32_e64 s4, v66, v6
	v_mov_b32_e32 v66, v5
	s_and_saveexec_b32 s7, s4
; %bb.27:
	v_dual_mov_b32 v27, v17 :: v_dual_mov_b32 v28, v18
	v_dual_mov_b32 v29, v21 :: v_dual_mov_b32 v30, v22
	;; [unrolled: 1-line block ×4, first 2 shown]
	s_delay_alu instid0(VALU_DEP_4) | instskip(NEXT) | instid1(VALU_DEP_4)
	v_dual_mov_b32 v17, v27 :: v_dual_mov_b32 v18, v28
	v_dual_mov_b32 v19, v29 :: v_dual_mov_b32 v20, v30
	s_delay_alu instid0(VALU_DEP_4) | instskip(NEXT) | instid1(VALU_DEP_4)
	v_dual_mov_b32 v21, v31 :: v_dual_mov_b32 v22, v32
	v_dual_mov_b32 v23, v33 :: v_dual_mov_b32 v24, v34
	v_mov_b32_e32 v66, v65
	v_mov_b32_e32 v65, v5
; %bb.28:
	s_or_b32 exec_lo, exec_lo, s7
	v_cndmask_b32_e64 v64, v26, v25, s3
.LBB1352_29:
	s_or_b32 exec_lo, exec_lo, s5
	v_dual_mov_b32 v11, 0 :: v_dual_and_b32 v10, 0xffffff80, v4
	v_or_b32_e32 v12, 4, v80
	s_mov_b32 s4, 0
	s_mov_b32 s5, exec_lo
	s_delay_alu instid0(VALU_DEP_2) | instskip(SKIP_2) | instid1(VALU_DEP_3)
	v_sub_nc_u32_e64 v29, 0x400, v10 clamp
	v_lshlrev_b64 v[4:5], 2, v[10:11]
	v_lshlrev_b64 v[6:7], 3, v[10:11]
	v_min_u32_e32 v30, v29, v12
	v_and_b32_e32 v12, 0x78, v80
	s_delay_alu instid0(VALU_DEP_4) | instskip(NEXT) | instid1(VALU_DEP_1)
	v_add_co_u32 v27, s3, v15, v4
	v_add_co_ci_u32_e64 v28, s3, v16, v5, s3
	v_add_co_u32 v4, s3, v15, v6
	s_delay_alu instid0(VALU_DEP_1) | instskip(SKIP_1) | instid1(VALU_DEP_3)
	v_add_co_ci_u32_e64 v5, s3, v16, v7, s3
	v_add_nc_u32_e32 v6, 4, v30
	v_add_co_u32 v25, s3, 0x1000, v4
	s_delay_alu instid0(VALU_DEP_1) | instskip(SKIP_1) | instid1(VALU_DEP_4)
	v_add_co_ci_u32_e64 v26, s3, 0, v5, s3
	v_and_b32_e32 v4, 4, v80
	v_min_u32_e32 v31, v29, v6
	v_lshlrev_b32_e32 v5, 3, v80
	v_lshlrev_b32_e32 v6, 2, v80
	v_sub_nc_u32_e32 v7, v30, v12
	v_min_u32_e32 v15, v29, v4
	v_sub_nc_u32_e32 v10, v31, v30
	v_add_co_u32 v4, s3, v25, v5
	s_delay_alu instid0(VALU_DEP_1) | instskip(SKIP_1) | instid1(VALU_DEP_4)
	v_add_co_ci_u32_e64 v5, s3, 0, v26, s3
	v_add_co_u32 v6, s3, v27, v6
	v_sub_nc_u32_e64 v16, v15, v10 clamp
	v_min_u32_e32 v32, v15, v7
	v_add_co_ci_u32_e64 v7, s3, 0, v28, s3
	s_clause 0x2
	flat_store_b128 v[4:5], v[17:20]
	flat_store_b128 v[6:7], v[64:67]
	flat_store_b128 v[4:5], v[21:24] offset:16
	; wave barrier
	v_cmpx_lt_u32_e64 v16, v32
	s_cbranch_execz .LBB1352_33
; %bb.30:
	v_lshlrev_b32_e32 v10, 2, v12
	v_lshlrev_b32_e32 v35, 2, v30
	s_delay_alu instid0(VALU_DEP_2) | instskip(NEXT) | instid1(VALU_DEP_1)
	v_add_co_u32 v33, s3, v27, v10
	v_add_co_ci_u32_e64 v34, s3, 0, v28, s3
	s_delay_alu instid0(VALU_DEP_3) | instskip(NEXT) | instid1(VALU_DEP_1)
	v_add_co_u32 v35, s3, v27, v35
	v_add_co_ci_u32_e64 v36, s3, 0, v28, s3
	s_set_inst_prefetch_distance 0x1
	.p2align	6
.LBB1352_31:                            ; =>This Inner Loop Header: Depth=1
	v_add_nc_u32_e32 v10, v32, v16
	s_delay_alu instid0(VALU_DEP_1) | instskip(SKIP_1) | instid1(VALU_DEP_2)
	v_lshrrev_b32_e32 v10, 1, v10
	v_mov_b32_e32 v38, v11
	v_xad_u32 v37, v10, -1, v15
	v_lshlrev_b64 v[48:49], 2, v[10:11]
	s_delay_alu instid0(VALU_DEP_2) | instskip(NEXT) | instid1(VALU_DEP_2)
	v_lshlrev_b64 v[37:38], 2, v[37:38]
	v_add_co_u32 v48, s3, v33, v48
	s_delay_alu instid0(VALU_DEP_1) | instskip(NEXT) | instid1(VALU_DEP_3)
	v_add_co_ci_u32_e64 v49, s3, v34, v49, s3
	v_add_co_u32 v37, s3, v35, v37
	s_delay_alu instid0(VALU_DEP_1)
	v_add_co_ci_u32_e64 v38, s3, v36, v38, s3
	s_clause 0x1
	flat_load_b32 v39, v[48:49]
	flat_load_b32 v37, v[37:38]
	s_waitcnt vmcnt(0) lgkmcnt(0)
	v_dual_add_f32 v38, 0, v39 :: v_dual_add_f32 v37, 0, v37
	s_delay_alu instid0(VALU_DEP_1) | instskip(NEXT) | instid1(VALU_DEP_2)
	v_ashrrev_i32_e32 v39, 31, v38
	v_ashrrev_i32_e32 v48, 31, v37
	s_delay_alu instid0(VALU_DEP_2) | instskip(NEXT) | instid1(VALU_DEP_2)
	v_or_b32_e32 v39, 0x80000000, v39
	v_or_b32_e32 v48, 0x80000000, v48
	s_delay_alu instid0(VALU_DEP_2) | instskip(SKIP_1) | instid1(VALU_DEP_3)
	v_xor_b32_e32 v38, v39, v38
	v_add_nc_u32_e32 v39, 1, v10
	v_xor_b32_e32 v37, v48, v37
	s_delay_alu instid0(VALU_DEP_1) | instskip(NEXT) | instid1(VALU_DEP_1)
	v_cmp_gt_u32_e64 s3, v37, v38
	v_cndmask_b32_e64 v32, v32, v10, s3
	s_delay_alu instid0(VALU_DEP_4) | instskip(NEXT) | instid1(VALU_DEP_1)
	v_cndmask_b32_e64 v16, v39, v16, s3
	v_cmp_ge_u32_e64 s3, v16, v32
	s_delay_alu instid0(VALU_DEP_1) | instskip(NEXT) | instid1(SALU_CYCLE_1)
	s_or_b32 s4, s3, s4
	s_and_not1_b32 exec_lo, exec_lo, s4
	s_cbranch_execnz .LBB1352_31
; %bb.32:
	s_set_inst_prefetch_distance 0x2
	s_or_b32 exec_lo, exec_lo, s4
.LBB1352_33:
	s_delay_alu instid0(SALU_CYCLE_1) | instskip(SKIP_2) | instid1(VALU_DEP_2)
	s_or_b32 exec_lo, exec_lo, s5
	v_add_nc_u32_e32 v11, v30, v15
	v_add_nc_u32_e32 v10, v16, v12
	v_sub_nc_u32_e32 v15, v11, v16
	s_delay_alu instid0(VALU_DEP_2) | instskip(NEXT) | instid1(VALU_DEP_2)
	v_cmp_le_u32_e64 s3, v10, v30
	v_cmp_le_u32_e64 s4, v15, v31
	s_delay_alu instid0(VALU_DEP_1) | instskip(NEXT) | instid1(SALU_CYCLE_1)
	s_or_b32 s3, s3, s4
	s_and_saveexec_b32 s5, s3
	s_cbranch_execz .LBB1352_53
; %bb.34:
	v_cmp_ge_u32_e64 s3, v10, v30
	s_mov_b32 s7, exec_lo
                                        ; implicit-def: $vgpr32
	v_cmpx_lt_u32_e64 v10, v30
	s_cbranch_execz .LBB1352_36
; %bb.35:
	v_mov_b32_e32 v11, 0
	s_delay_alu instid0(VALU_DEP_1) | instskip(NEXT) | instid1(VALU_DEP_1)
	v_lshlrev_b64 v[11:12], 2, v[10:11]
	v_add_co_u32 v11, s4, v27, v11
	s_delay_alu instid0(VALU_DEP_1)
	v_add_co_ci_u32_e64 v12, s4, v28, v12, s4
	flat_load_b32 v32, v[11:12]
.LBB1352_36:
	s_or_b32 exec_lo, exec_lo, s7
	v_cmp_ge_u32_e64 s7, v15, v31
	s_mov_b32 s10, exec_lo
                                        ; implicit-def: $vgpr16
	v_cmpx_lt_u32_e64 v15, v31
	s_cbranch_execz .LBB1352_38
; %bb.37:
	v_mov_b32_e32 v16, 0
	s_delay_alu instid0(VALU_DEP_1) | instskip(NEXT) | instid1(VALU_DEP_1)
	v_lshlrev_b64 v[11:12], 2, v[15:16]
	v_add_co_u32 v11, s4, v27, v11
	s_delay_alu instid0(VALU_DEP_1)
	v_add_co_ci_u32_e64 v12, s4, v28, v12, s4
	flat_load_b32 v16, v[11:12]
.LBB1352_38:
	s_or_b32 exec_lo, exec_lo, s10
	s_or_b32 s3, s3, s7
	s_mov_b32 s4, -1
	s_xor_b32 s3, s3, -1
	s_delay_alu instid0(SALU_CYCLE_1)
	s_and_saveexec_b32 s10, s3
	s_cbranch_execz .LBB1352_40
; %bb.39:
	s_waitcnt vmcnt(0) lgkmcnt(0)
	v_add_f32_e32 v11, 0, v16
	v_add_f32_e32 v12, 0, v32
	s_and_not1_b32 s7, s7, exec_lo
	s_delay_alu instid0(VALU_DEP_2) | instskip(NEXT) | instid1(VALU_DEP_2)
	v_ashrrev_i32_e32 v17, 31, v11
	v_ashrrev_i32_e32 v18, 31, v12
	s_delay_alu instid0(VALU_DEP_2) | instskip(NEXT) | instid1(VALU_DEP_2)
	v_or_b32_e32 v17, 0x80000000, v17
	v_or_b32_e32 v18, 0x80000000, v18
	s_delay_alu instid0(VALU_DEP_2) | instskip(NEXT) | instid1(VALU_DEP_2)
	v_xor_b32_e32 v11, v17, v11
	v_xor_b32_e32 v12, v18, v12
	s_delay_alu instid0(VALU_DEP_1) | instskip(NEXT) | instid1(VALU_DEP_1)
	v_cmp_le_u32_e64 s3, v11, v12
	s_and_b32 s3, s3, exec_lo
	s_delay_alu instid0(SALU_CYCLE_1)
	s_or_b32 s7, s7, s3
.LBB1352_40:
	s_or_b32 exec_lo, exec_lo, s10
	v_cndmask_b32_e64 v11, v15, v10, s7
	v_cndmask_b32_e64 v17, v31, v30, s7
	v_mov_b32_e32 v12, 0
	s_mov_b32 s11, 0
	s_mov_b32 s10, exec_lo
	v_add_nc_u32_e32 v22, 1, v11
	v_add_nc_u32_e32 v19, -1, v17
	v_lshlrev_b64 v[17:18], 3, v[11:12]
	s_delay_alu instid0(VALU_DEP_3) | instskip(NEXT) | instid1(VALU_DEP_3)
	v_cndmask_b32_e64 v21, v22, v15, s7
	v_min_u32_e32 v11, v22, v19
	v_cndmask_b32_e64 v10, v10, v22, s7
	s_delay_alu instid0(VALU_DEP_2) | instskip(NEXT) | instid1(VALU_DEP_1)
	v_lshlrev_b64 v[19:20], 2, v[11:12]
	v_add_co_u32 v19, s3, v27, v19
	s_delay_alu instid0(VALU_DEP_1) | instskip(SKIP_1) | instid1(VALU_DEP_1)
	v_add_co_ci_u32_e64 v20, s3, v28, v20, s3
	v_add_co_u32 v17, s3, v25, v17
	v_add_co_ci_u32_e64 v18, s3, v26, v18, s3
	s_clause 0x1
	flat_load_b32 v11, v[19:20]
	flat_load_b64 v[17:18], v[17:18]
	s_waitcnt vmcnt(1) lgkmcnt(1)
	v_cndmask_b32_e64 v15, v11, v16, s7
	v_cndmask_b32_e64 v33, v32, v11, s7
	v_cmpx_lt_u32_e64 v21, v31
	s_cbranch_execz .LBB1352_44
; %bb.41:
	s_mov_b32 s4, exec_lo
	v_cmpx_lt_u32_e64 v10, v30
; %bb.42:
	v_add_f32_e32 v11, 0, v15
	v_add_f32_e32 v19, 0, v33
	s_delay_alu instid0(VALU_DEP_2) | instskip(NEXT) | instid1(VALU_DEP_2)
	v_ashrrev_i32_e32 v20, 31, v11
	v_ashrrev_i32_e32 v22, 31, v19
	s_delay_alu instid0(VALU_DEP_2) | instskip(NEXT) | instid1(VALU_DEP_2)
	v_or_b32_e32 v20, 0x80000000, v20
	v_or_b32_e32 v22, 0x80000000, v22
	s_delay_alu instid0(VALU_DEP_2) | instskip(NEXT) | instid1(VALU_DEP_2)
	v_xor_b32_e32 v11, v20, v11
	v_xor_b32_e32 v19, v22, v19
	s_delay_alu instid0(VALU_DEP_1) | instskip(NEXT) | instid1(VALU_DEP_1)
	v_cmp_le_u32_e64 s3, v11, v19
	s_and_b32 s11, s3, exec_lo
; %bb.43:
	s_or_b32 exec_lo, exec_lo, s4
	s_delay_alu instid0(SALU_CYCLE_1)
	s_or_not1_b32 s4, s11, exec_lo
.LBB1352_44:
	s_or_b32 exec_lo, exec_lo, s10
	v_cndmask_b32_e64 v11, v21, v10, s4
	v_cndmask_b32_e64 v19, v31, v30, s4
	s_mov_b32 s15, 0
	s_mov_b32 s10, -1
	s_mov_b32 s11, -1
	v_add_nc_u32_e32 v22, 1, v11
	v_add_nc_u32_e32 v23, -1, v19
	v_lshlrev_b64 v[19:20], 3, v[11:12]
	s_mov_b32 s14, exec_lo
	s_delay_alu instid0(VALU_DEP_3) | instskip(NEXT) | instid1(VALU_DEP_3)
	v_cndmask_b32_e64 v24, v10, v22, s4
	v_min_u32_e32 v11, v22, v23
	v_cndmask_b32_e64 v23, v22, v21, s4
	s_delay_alu instid0(VALU_DEP_2) | instskip(NEXT) | instid1(VALU_DEP_1)
	v_lshlrev_b64 v[11:12], 2, v[11:12]
	v_add_co_u32 v11, s3, v27, v11
	s_delay_alu instid0(VALU_DEP_1) | instskip(SKIP_2) | instid1(VALU_DEP_1)
	v_add_co_ci_u32_e64 v12, s3, v28, v12, s3
	flat_load_b32 v34, v[11:12]
	v_add_co_u32 v11, s3, v25, v19
	v_add_co_ci_u32_e64 v12, s3, v26, v20, s3
	flat_load_b64 v[19:20], v[11:12]
	s_waitcnt vmcnt(1) lgkmcnt(1)
	v_cndmask_b32_e64 v12, v34, v15, s4
	v_cndmask_b32_e64 v34, v33, v34, s4
	v_cmpx_lt_u32_e64 v23, v31
	s_cbranch_execz .LBB1352_48
; %bb.45:
	s_mov_b32 s11, exec_lo
	v_cmpx_lt_u32_e64 v24, v30
; %bb.46:
	v_dual_add_f32 v10, 0, v12 :: v_dual_add_f32 v11, 0, v34
	s_delay_alu instid0(VALU_DEP_1) | instskip(NEXT) | instid1(VALU_DEP_2)
	v_ashrrev_i32_e32 v21, 31, v10
	v_ashrrev_i32_e32 v22, 31, v11
	s_delay_alu instid0(VALU_DEP_2) | instskip(NEXT) | instid1(VALU_DEP_2)
	v_or_b32_e32 v21, 0x80000000, v21
	v_or_b32_e32 v22, 0x80000000, v22
	s_delay_alu instid0(VALU_DEP_2) | instskip(NEXT) | instid1(VALU_DEP_2)
	v_xor_b32_e32 v10, v21, v10
	v_xor_b32_e32 v11, v22, v11
	s_delay_alu instid0(VALU_DEP_1) | instskip(NEXT) | instid1(VALU_DEP_1)
	v_cmp_le_u32_e64 s3, v10, v11
	s_and_b32 s15, s3, exec_lo
; %bb.47:
	s_or_b32 exec_lo, exec_lo, s11
	s_delay_alu instid0(SALU_CYCLE_1)
	s_or_not1_b32 s11, s15, exec_lo
.LBB1352_48:
	s_or_b32 exec_lo, exec_lo, s14
	v_cndmask_b32_e64 v10, v23, v24, s11
	v_cndmask_b32_e64 v21, v31, v30, s11
	v_mov_b32_e32 v11, 0
	s_mov_b32 s15, 0
	s_mov_b32 s14, exec_lo
	v_add_nc_u32_e32 v37, 1, v10
	v_add_nc_u32_e32 v35, -1, v21
	v_lshlrev_b64 v[21:22], 3, v[10:11]
	s_delay_alu instid0(VALU_DEP_2) | instskip(NEXT) | instid1(VALU_DEP_1)
	v_min_u32_e32 v10, v37, v35
	v_lshlrev_b64 v[35:36], 2, v[10:11]
	v_cndmask_b32_e64 v10, v37, v23, s11
	v_cndmask_b32_e64 v23, v24, v37, s11
	s_delay_alu instid0(VALU_DEP_3) | instskip(NEXT) | instid1(VALU_DEP_1)
	v_add_co_u32 v35, s3, v27, v35
	v_add_co_ci_u32_e64 v36, s3, v28, v36, s3
	v_add_co_u32 v21, s3, v25, v21
	s_delay_alu instid0(VALU_DEP_1)
	v_add_co_ci_u32_e64 v22, s3, v26, v22, s3
	s_clause 0x1
	flat_load_b32 v36, v[35:36]
	flat_load_b64 v[21:22], v[21:22]
	s_waitcnt vmcnt(1) lgkmcnt(1)
	v_cndmask_b32_e64 v35, v36, v12, s11
	v_cndmask_b32_e64 v36, v34, v36, s11
	v_cmpx_lt_u32_e64 v10, v31
	s_cbranch_execz .LBB1352_52
; %bb.49:
	s_mov_b32 s10, exec_lo
	v_cmpx_lt_u32_e64 v23, v30
; %bb.50:
	v_add_f32_e32 v24, 0, v35
	v_add_f32_e32 v30, 0, v36
	s_delay_alu instid0(VALU_DEP_2) | instskip(NEXT) | instid1(VALU_DEP_2)
	v_ashrrev_i32_e32 v31, 31, v24
	v_ashrrev_i32_e32 v37, 31, v30
	s_delay_alu instid0(VALU_DEP_2) | instskip(NEXT) | instid1(VALU_DEP_2)
	v_or_b32_e32 v31, 0x80000000, v31
	v_or_b32_e32 v37, 0x80000000, v37
	s_delay_alu instid0(VALU_DEP_2) | instskip(NEXT) | instid1(VALU_DEP_2)
	v_xor_b32_e32 v24, v31, v24
	v_xor_b32_e32 v30, v37, v30
	s_delay_alu instid0(VALU_DEP_1) | instskip(NEXT) | instid1(VALU_DEP_1)
	v_cmp_le_u32_e64 s3, v24, v30
	s_and_b32 s15, s3, exec_lo
; %bb.51:
	s_or_b32 exec_lo, exec_lo, s10
	s_delay_alu instid0(SALU_CYCLE_1)
	s_or_not1_b32 s10, s15, exec_lo
.LBB1352_52:
	s_or_b32 exec_lo, exec_lo, s14
	v_cndmask_b32_e64 v10, v10, v23, s10
	v_cndmask_b32_e64 v66, v12, v34, s11
	;; [unrolled: 1-line block ×5, first 2 shown]
	v_lshlrev_b64 v[10:11], 3, v[10:11]
	s_delay_alu instid0(VALU_DEP_1) | instskip(NEXT) | instid1(VALU_DEP_1)
	v_add_co_u32 v10, s3, v25, v10
	v_add_co_ci_u32_e64 v11, s3, v26, v11, s3
	flat_load_b64 v[23:24], v[10:11]
.LBB1352_53:
	s_or_b32 exec_lo, exec_lo, s5
	v_and_b32_e32 v12, 0x70, v80
	v_and_b32_e32 v11, 12, v80
	s_mov_b32 s4, exec_lo
	; wave barrier
	s_delay_alu instid0(VALU_DEP_2) | instskip(NEXT) | instid1(VALU_DEP_2)
	v_or_b32_e32 v10, 8, v12
	v_min_u32_e32 v15, v29, v11
	s_clause 0x1
	flat_store_b128 v[4:5], v[17:20]
	flat_store_b128 v[6:7], v[64:67]
	s_waitcnt vmcnt(0) lgkmcnt(2)
	flat_store_b128 v[4:5], v[21:24] offset:16
	; wave barrier
	v_min_u32_e32 v30, v29, v10
	s_delay_alu instid0(VALU_DEP_1) | instskip(NEXT) | instid1(VALU_DEP_1)
	v_add_nc_u32_e32 v10, 8, v30
	v_min_u32_e32 v31, v29, v10
	v_sub_nc_u32_e32 v10, v30, v12
	s_delay_alu instid0(VALU_DEP_2) | instskip(NEXT) | instid1(VALU_DEP_2)
	v_sub_nc_u32_e32 v11, v31, v30
	v_min_u32_e32 v32, v15, v10
	s_delay_alu instid0(VALU_DEP_2) | instskip(NEXT) | instid1(VALU_DEP_1)
	v_sub_nc_u32_e64 v16, v15, v11 clamp
	v_cmpx_lt_u32_e64 v16, v32
	s_cbranch_execz .LBB1352_57
; %bb.54:
	v_lshlrev_b32_e32 v10, 2, v12
	v_lshlrev_b32_e32 v11, 2, v30
	s_mov_b32 s5, 0
	s_delay_alu instid0(VALU_DEP_2) | instskip(NEXT) | instid1(VALU_DEP_1)
	v_add_co_u32 v33, s3, v27, v10
	v_add_co_ci_u32_e64 v34, s3, 0, v28, s3
	s_delay_alu instid0(VALU_DEP_3)
	v_add_co_u32 v35, s3, v27, v11
	v_mov_b32_e32 v11, 0
	v_add_co_ci_u32_e64 v36, s3, 0, v28, s3
	s_set_inst_prefetch_distance 0x1
	.p2align	6
.LBB1352_55:                            ; =>This Inner Loop Header: Depth=1
	v_add_nc_u32_e32 v10, v32, v16
	s_delay_alu instid0(VALU_DEP_1) | instskip(SKIP_1) | instid1(VALU_DEP_2)
	v_lshrrev_b32_e32 v10, 1, v10
	v_mov_b32_e32 v38, v11
	v_xad_u32 v37, v10, -1, v15
	v_lshlrev_b64 v[48:49], 2, v[10:11]
	s_delay_alu instid0(VALU_DEP_2) | instskip(NEXT) | instid1(VALU_DEP_2)
	v_lshlrev_b64 v[37:38], 2, v[37:38]
	v_add_co_u32 v48, s3, v33, v48
	s_delay_alu instid0(VALU_DEP_1) | instskip(NEXT) | instid1(VALU_DEP_3)
	v_add_co_ci_u32_e64 v49, s3, v34, v49, s3
	v_add_co_u32 v37, s3, v35, v37
	s_delay_alu instid0(VALU_DEP_1)
	v_add_co_ci_u32_e64 v38, s3, v36, v38, s3
	s_clause 0x1
	flat_load_b32 v39, v[48:49]
	flat_load_b32 v37, v[37:38]
	s_waitcnt vmcnt(0) lgkmcnt(0)
	v_dual_add_f32 v38, 0, v39 :: v_dual_add_f32 v37, 0, v37
	s_delay_alu instid0(VALU_DEP_1) | instskip(NEXT) | instid1(VALU_DEP_2)
	v_ashrrev_i32_e32 v39, 31, v38
	v_ashrrev_i32_e32 v48, 31, v37
	s_delay_alu instid0(VALU_DEP_2) | instskip(NEXT) | instid1(VALU_DEP_2)
	v_or_b32_e32 v39, 0x80000000, v39
	v_or_b32_e32 v48, 0x80000000, v48
	s_delay_alu instid0(VALU_DEP_2) | instskip(SKIP_1) | instid1(VALU_DEP_3)
	v_xor_b32_e32 v38, v39, v38
	v_add_nc_u32_e32 v39, 1, v10
	v_xor_b32_e32 v37, v48, v37
	s_delay_alu instid0(VALU_DEP_1) | instskip(NEXT) | instid1(VALU_DEP_1)
	v_cmp_gt_u32_e64 s3, v37, v38
	v_cndmask_b32_e64 v32, v32, v10, s3
	s_delay_alu instid0(VALU_DEP_4) | instskip(NEXT) | instid1(VALU_DEP_1)
	v_cndmask_b32_e64 v16, v39, v16, s3
	v_cmp_ge_u32_e64 s3, v16, v32
	s_delay_alu instid0(VALU_DEP_1) | instskip(NEXT) | instid1(SALU_CYCLE_1)
	s_or_b32 s5, s3, s5
	s_and_not1_b32 exec_lo, exec_lo, s5
	s_cbranch_execnz .LBB1352_55
; %bb.56:
	s_set_inst_prefetch_distance 0x2
	s_or_b32 exec_lo, exec_lo, s5
.LBB1352_57:
	s_delay_alu instid0(SALU_CYCLE_1) | instskip(SKIP_2) | instid1(VALU_DEP_2)
	s_or_b32 exec_lo, exec_lo, s4
	v_add_nc_u32_e32 v11, v30, v15
	v_add_nc_u32_e32 v10, v16, v12
	v_sub_nc_u32_e32 v15, v11, v16
	s_delay_alu instid0(VALU_DEP_2) | instskip(NEXT) | instid1(VALU_DEP_2)
	v_cmp_le_u32_e64 s3, v10, v30
	v_cmp_le_u32_e64 s4, v15, v31
	s_delay_alu instid0(VALU_DEP_1) | instskip(NEXT) | instid1(SALU_CYCLE_1)
	s_or_b32 s3, s3, s4
	s_and_saveexec_b32 s5, s3
	s_cbranch_execz .LBB1352_77
; %bb.58:
	v_cmp_ge_u32_e64 s3, v10, v30
	s_mov_b32 s7, exec_lo
                                        ; implicit-def: $vgpr32
	v_cmpx_lt_u32_e64 v10, v30
	s_cbranch_execz .LBB1352_60
; %bb.59:
	v_mov_b32_e32 v11, 0
	s_delay_alu instid0(VALU_DEP_1) | instskip(NEXT) | instid1(VALU_DEP_1)
	v_lshlrev_b64 v[11:12], 2, v[10:11]
	v_add_co_u32 v11, s4, v27, v11
	s_delay_alu instid0(VALU_DEP_1)
	v_add_co_ci_u32_e64 v12, s4, v28, v12, s4
	flat_load_b32 v32, v[11:12]
.LBB1352_60:
	s_or_b32 exec_lo, exec_lo, s7
	v_cmp_ge_u32_e64 s7, v15, v31
	s_mov_b32 s10, exec_lo
                                        ; implicit-def: $vgpr16
	v_cmpx_lt_u32_e64 v15, v31
	s_cbranch_execz .LBB1352_62
; %bb.61:
	v_mov_b32_e32 v16, 0
	s_delay_alu instid0(VALU_DEP_1) | instskip(NEXT) | instid1(VALU_DEP_1)
	v_lshlrev_b64 v[11:12], 2, v[15:16]
	v_add_co_u32 v11, s4, v27, v11
	s_delay_alu instid0(VALU_DEP_1)
	v_add_co_ci_u32_e64 v12, s4, v28, v12, s4
	flat_load_b32 v16, v[11:12]
.LBB1352_62:
	s_or_b32 exec_lo, exec_lo, s10
	s_or_b32 s3, s3, s7
	s_mov_b32 s4, -1
	s_xor_b32 s3, s3, -1
	s_delay_alu instid0(SALU_CYCLE_1)
	s_and_saveexec_b32 s10, s3
	s_cbranch_execz .LBB1352_64
; %bb.63:
	s_waitcnt vmcnt(0) lgkmcnt(0)
	v_add_f32_e32 v11, 0, v16
	v_add_f32_e32 v12, 0, v32
	s_and_not1_b32 s7, s7, exec_lo
	s_delay_alu instid0(VALU_DEP_2) | instskip(NEXT) | instid1(VALU_DEP_2)
	v_ashrrev_i32_e32 v17, 31, v11
	v_ashrrev_i32_e32 v18, 31, v12
	s_delay_alu instid0(VALU_DEP_2) | instskip(NEXT) | instid1(VALU_DEP_2)
	v_or_b32_e32 v17, 0x80000000, v17
	v_or_b32_e32 v18, 0x80000000, v18
	s_delay_alu instid0(VALU_DEP_2) | instskip(NEXT) | instid1(VALU_DEP_2)
	v_xor_b32_e32 v11, v17, v11
	v_xor_b32_e32 v12, v18, v12
	s_delay_alu instid0(VALU_DEP_1) | instskip(NEXT) | instid1(VALU_DEP_1)
	v_cmp_le_u32_e64 s3, v11, v12
	s_and_b32 s3, s3, exec_lo
	s_delay_alu instid0(SALU_CYCLE_1)
	s_or_b32 s7, s7, s3
.LBB1352_64:
	s_or_b32 exec_lo, exec_lo, s10
	v_cndmask_b32_e64 v11, v15, v10, s7
	v_cndmask_b32_e64 v17, v31, v30, s7
	v_mov_b32_e32 v12, 0
	s_mov_b32 s11, 0
	s_mov_b32 s10, exec_lo
	v_add_nc_u32_e32 v22, 1, v11
	v_add_nc_u32_e32 v19, -1, v17
	v_lshlrev_b64 v[17:18], 3, v[11:12]
	s_delay_alu instid0(VALU_DEP_3) | instskip(NEXT) | instid1(VALU_DEP_3)
	v_cndmask_b32_e64 v21, v22, v15, s7
	v_min_u32_e32 v11, v22, v19
	v_cndmask_b32_e64 v10, v10, v22, s7
	s_delay_alu instid0(VALU_DEP_2) | instskip(NEXT) | instid1(VALU_DEP_1)
	v_lshlrev_b64 v[19:20], 2, v[11:12]
	v_add_co_u32 v19, s3, v27, v19
	s_delay_alu instid0(VALU_DEP_1) | instskip(SKIP_1) | instid1(VALU_DEP_1)
	v_add_co_ci_u32_e64 v20, s3, v28, v20, s3
	v_add_co_u32 v17, s3, v25, v17
	v_add_co_ci_u32_e64 v18, s3, v26, v18, s3
	s_clause 0x1
	flat_load_b32 v11, v[19:20]
	flat_load_b64 v[17:18], v[17:18]
	s_waitcnt vmcnt(1) lgkmcnt(1)
	v_cndmask_b32_e64 v15, v11, v16, s7
	v_cndmask_b32_e64 v33, v32, v11, s7
	v_cmpx_lt_u32_e64 v21, v31
	s_cbranch_execz .LBB1352_68
; %bb.65:
	s_mov_b32 s4, exec_lo
	v_cmpx_lt_u32_e64 v10, v30
; %bb.66:
	v_add_f32_e32 v11, 0, v15
	v_add_f32_e32 v19, 0, v33
	s_delay_alu instid0(VALU_DEP_2) | instskip(NEXT) | instid1(VALU_DEP_2)
	v_ashrrev_i32_e32 v20, 31, v11
	v_ashrrev_i32_e32 v22, 31, v19
	s_delay_alu instid0(VALU_DEP_2) | instskip(NEXT) | instid1(VALU_DEP_2)
	v_or_b32_e32 v20, 0x80000000, v20
	v_or_b32_e32 v22, 0x80000000, v22
	s_delay_alu instid0(VALU_DEP_2) | instskip(NEXT) | instid1(VALU_DEP_2)
	v_xor_b32_e32 v11, v20, v11
	v_xor_b32_e32 v19, v22, v19
	s_delay_alu instid0(VALU_DEP_1) | instskip(NEXT) | instid1(VALU_DEP_1)
	v_cmp_le_u32_e64 s3, v11, v19
	s_and_b32 s11, s3, exec_lo
; %bb.67:
	s_or_b32 exec_lo, exec_lo, s4
	s_delay_alu instid0(SALU_CYCLE_1)
	s_or_not1_b32 s4, s11, exec_lo
.LBB1352_68:
	s_or_b32 exec_lo, exec_lo, s10
	v_cndmask_b32_e64 v11, v21, v10, s4
	v_cndmask_b32_e64 v19, v31, v30, s4
	s_mov_b32 s15, 0
	s_mov_b32 s10, -1
	s_mov_b32 s11, -1
	v_add_nc_u32_e32 v22, 1, v11
	v_add_nc_u32_e32 v23, -1, v19
	v_lshlrev_b64 v[19:20], 3, v[11:12]
	s_mov_b32 s14, exec_lo
	s_delay_alu instid0(VALU_DEP_3) | instskip(NEXT) | instid1(VALU_DEP_3)
	v_cndmask_b32_e64 v24, v10, v22, s4
	v_min_u32_e32 v11, v22, v23
	v_cndmask_b32_e64 v23, v22, v21, s4
	s_delay_alu instid0(VALU_DEP_2) | instskip(NEXT) | instid1(VALU_DEP_1)
	v_lshlrev_b64 v[11:12], 2, v[11:12]
	v_add_co_u32 v11, s3, v27, v11
	s_delay_alu instid0(VALU_DEP_1) | instskip(SKIP_2) | instid1(VALU_DEP_1)
	v_add_co_ci_u32_e64 v12, s3, v28, v12, s3
	flat_load_b32 v34, v[11:12]
	v_add_co_u32 v11, s3, v25, v19
	v_add_co_ci_u32_e64 v12, s3, v26, v20, s3
	flat_load_b64 v[19:20], v[11:12]
	s_waitcnt vmcnt(1) lgkmcnt(1)
	v_cndmask_b32_e64 v12, v34, v15, s4
	v_cndmask_b32_e64 v34, v33, v34, s4
	v_cmpx_lt_u32_e64 v23, v31
	s_cbranch_execz .LBB1352_72
; %bb.69:
	s_mov_b32 s11, exec_lo
	v_cmpx_lt_u32_e64 v24, v30
; %bb.70:
	v_dual_add_f32 v10, 0, v12 :: v_dual_add_f32 v11, 0, v34
	s_delay_alu instid0(VALU_DEP_1) | instskip(NEXT) | instid1(VALU_DEP_2)
	v_ashrrev_i32_e32 v21, 31, v10
	v_ashrrev_i32_e32 v22, 31, v11
	s_delay_alu instid0(VALU_DEP_2) | instskip(NEXT) | instid1(VALU_DEP_2)
	v_or_b32_e32 v21, 0x80000000, v21
	v_or_b32_e32 v22, 0x80000000, v22
	s_delay_alu instid0(VALU_DEP_2) | instskip(NEXT) | instid1(VALU_DEP_2)
	v_xor_b32_e32 v10, v21, v10
	v_xor_b32_e32 v11, v22, v11
	s_delay_alu instid0(VALU_DEP_1) | instskip(NEXT) | instid1(VALU_DEP_1)
	v_cmp_le_u32_e64 s3, v10, v11
	s_and_b32 s15, s3, exec_lo
; %bb.71:
	s_or_b32 exec_lo, exec_lo, s11
	s_delay_alu instid0(SALU_CYCLE_1)
	s_or_not1_b32 s11, s15, exec_lo
.LBB1352_72:
	s_or_b32 exec_lo, exec_lo, s14
	v_cndmask_b32_e64 v10, v23, v24, s11
	v_cndmask_b32_e64 v21, v31, v30, s11
	v_mov_b32_e32 v11, 0
	s_mov_b32 s15, 0
	s_mov_b32 s14, exec_lo
	v_add_nc_u32_e32 v37, 1, v10
	v_add_nc_u32_e32 v35, -1, v21
	v_lshlrev_b64 v[21:22], 3, v[10:11]
	s_delay_alu instid0(VALU_DEP_2) | instskip(NEXT) | instid1(VALU_DEP_1)
	v_min_u32_e32 v10, v37, v35
	v_lshlrev_b64 v[35:36], 2, v[10:11]
	v_cndmask_b32_e64 v10, v37, v23, s11
	v_cndmask_b32_e64 v23, v24, v37, s11
	s_delay_alu instid0(VALU_DEP_3) | instskip(NEXT) | instid1(VALU_DEP_1)
	v_add_co_u32 v35, s3, v27, v35
	v_add_co_ci_u32_e64 v36, s3, v28, v36, s3
	v_add_co_u32 v21, s3, v25, v21
	s_delay_alu instid0(VALU_DEP_1)
	v_add_co_ci_u32_e64 v22, s3, v26, v22, s3
	s_clause 0x1
	flat_load_b32 v36, v[35:36]
	flat_load_b64 v[21:22], v[21:22]
	s_waitcnt vmcnt(1) lgkmcnt(1)
	v_cndmask_b32_e64 v35, v36, v12, s11
	v_cndmask_b32_e64 v36, v34, v36, s11
	v_cmpx_lt_u32_e64 v10, v31
	s_cbranch_execz .LBB1352_76
; %bb.73:
	s_mov_b32 s10, exec_lo
	v_cmpx_lt_u32_e64 v23, v30
; %bb.74:
	v_add_f32_e32 v24, 0, v35
	v_add_f32_e32 v30, 0, v36
	s_delay_alu instid0(VALU_DEP_2) | instskip(NEXT) | instid1(VALU_DEP_2)
	v_ashrrev_i32_e32 v31, 31, v24
	v_ashrrev_i32_e32 v37, 31, v30
	s_delay_alu instid0(VALU_DEP_2) | instskip(NEXT) | instid1(VALU_DEP_2)
	v_or_b32_e32 v31, 0x80000000, v31
	v_or_b32_e32 v37, 0x80000000, v37
	s_delay_alu instid0(VALU_DEP_2) | instskip(NEXT) | instid1(VALU_DEP_2)
	v_xor_b32_e32 v24, v31, v24
	v_xor_b32_e32 v30, v37, v30
	s_delay_alu instid0(VALU_DEP_1) | instskip(NEXT) | instid1(VALU_DEP_1)
	v_cmp_le_u32_e64 s3, v24, v30
	s_and_b32 s15, s3, exec_lo
; %bb.75:
	s_or_b32 exec_lo, exec_lo, s10
	s_delay_alu instid0(SALU_CYCLE_1)
	s_or_not1_b32 s10, s15, exec_lo
.LBB1352_76:
	s_or_b32 exec_lo, exec_lo, s14
	v_cndmask_b32_e64 v10, v10, v23, s10
	v_cndmask_b32_e64 v66, v12, v34, s11
	;; [unrolled: 1-line block ×5, first 2 shown]
	v_lshlrev_b64 v[10:11], 3, v[10:11]
	s_delay_alu instid0(VALU_DEP_1) | instskip(NEXT) | instid1(VALU_DEP_1)
	v_add_co_u32 v10, s3, v25, v10
	v_add_co_ci_u32_e64 v11, s3, v26, v11, s3
	flat_load_b64 v[23:24], v[10:11]
.LBB1352_77:
	s_or_b32 exec_lo, exec_lo, s5
	v_and_b32_e32 v10, 0x60, v80
	s_mov_b32 s4, exec_lo
	; wave barrier
	s_clause 0x1
	flat_store_b128 v[4:5], v[17:20]
	flat_store_b128 v[6:7], v[64:67]
	s_waitcnt vmcnt(0) lgkmcnt(2)
	flat_store_b128 v[4:5], v[21:24] offset:16
	v_or_b32_e32 v11, 16, v10
	; wave barrier
	s_delay_alu instid0(VALU_DEP_1) | instskip(NEXT) | instid1(VALU_DEP_1)
	v_min_u32_e32 v12, v29, v11
	v_add_nc_u32_e32 v11, 16, v12
	v_sub_nc_u32_e32 v16, v12, v10
	s_delay_alu instid0(VALU_DEP_2) | instskip(SKIP_1) | instid1(VALU_DEP_2)
	v_min_u32_e32 v15, v29, v11
	v_min_u32_e32 v11, v29, v70
	v_sub_nc_u32_e32 v30, v15, v12
	s_delay_alu instid0(VALU_DEP_2) | instskip(NEXT) | instid1(VALU_DEP_2)
	v_min_u32_e32 v29, v11, v16
	v_sub_nc_u32_e64 v16, v11, v30 clamp
	s_delay_alu instid0(VALU_DEP_1)
	v_cmpx_lt_u32_e64 v16, v29
	s_cbranch_execz .LBB1352_81
; %bb.78:
	v_lshlrev_b32_e32 v4, 2, v10
	v_lshlrev_b32_e32 v5, 2, v12
	s_mov_b32 s5, 0
	s_delay_alu instid0(VALU_DEP_2) | instskip(NEXT) | instid1(VALU_DEP_1)
	v_add_co_u32 v6, s3, v27, v4
	v_add_co_ci_u32_e64 v7, s3, 0, v28, s3
	s_delay_alu instid0(VALU_DEP_3)
	v_add_co_u32 v30, s3, v27, v5
	v_mov_b32_e32 v5, 0
	v_add_co_ci_u32_e64 v31, s3, 0, v28, s3
	s_set_inst_prefetch_distance 0x1
	.p2align	6
.LBB1352_79:                            ; =>This Inner Loop Header: Depth=1
	v_add_nc_u32_e32 v4, v29, v16
	s_delay_alu instid0(VALU_DEP_3) | instskip(NEXT) | instid1(VALU_DEP_2)
	v_mov_b32_e32 v33, v5
	v_lshrrev_b32_e32 v4, 1, v4
	s_delay_alu instid0(VALU_DEP_1) | instskip(SKIP_1) | instid1(VALU_DEP_2)
	v_xad_u32 v32, v4, -1, v11
	v_lshlrev_b64 v[34:35], 2, v[4:5]
	v_lshlrev_b64 v[32:33], 2, v[32:33]
	s_delay_alu instid0(VALU_DEP_2) | instskip(NEXT) | instid1(VALU_DEP_1)
	v_add_co_u32 v34, s3, v6, v34
	v_add_co_ci_u32_e64 v35, s3, v7, v35, s3
	s_delay_alu instid0(VALU_DEP_3) | instskip(NEXT) | instid1(VALU_DEP_1)
	v_add_co_u32 v32, s3, v30, v32
	v_add_co_ci_u32_e64 v33, s3, v31, v33, s3
	s_clause 0x1
	flat_load_b32 v34, v[34:35]
	flat_load_b32 v32, v[32:33]
	s_waitcnt vmcnt(0) lgkmcnt(0)
	v_dual_add_f32 v33, 0, v34 :: v_dual_add_f32 v32, 0, v32
	s_delay_alu instid0(VALU_DEP_1) | instskip(NEXT) | instid1(VALU_DEP_2)
	v_ashrrev_i32_e32 v34, 31, v33
	v_ashrrev_i32_e32 v35, 31, v32
	s_delay_alu instid0(VALU_DEP_2) | instskip(NEXT) | instid1(VALU_DEP_2)
	v_or_b32_e32 v34, 0x80000000, v34
	v_or_b32_e32 v35, 0x80000000, v35
	s_delay_alu instid0(VALU_DEP_2) | instskip(NEXT) | instid1(VALU_DEP_2)
	v_xor_b32_e32 v33, v34, v33
	v_xor_b32_e32 v32, v35, v32
	v_add_nc_u32_e32 v34, 1, v4
	s_delay_alu instid0(VALU_DEP_2) | instskip(NEXT) | instid1(VALU_DEP_1)
	v_cmp_gt_u32_e64 s3, v32, v33
	v_cndmask_b32_e64 v29, v29, v4, s3
	s_delay_alu instid0(VALU_DEP_3) | instskip(NEXT) | instid1(VALU_DEP_1)
	v_cndmask_b32_e64 v16, v34, v16, s3
	v_cmp_ge_u32_e64 s3, v16, v29
	s_delay_alu instid0(VALU_DEP_1) | instskip(NEXT) | instid1(SALU_CYCLE_1)
	s_or_b32 s5, s3, s5
	s_and_not1_b32 exec_lo, exec_lo, s5
	s_cbranch_execnz .LBB1352_79
; %bb.80:
	s_set_inst_prefetch_distance 0x2
	s_or_b32 exec_lo, exec_lo, s5
.LBB1352_81:
	s_delay_alu instid0(SALU_CYCLE_1) | instskip(SKIP_2) | instid1(VALU_DEP_2)
	s_or_b32 exec_lo, exec_lo, s4
	v_add_nc_u32_e32 v5, v12, v11
	v_add_nc_u32_e32 v4, v16, v10
	v_sub_nc_u32_e32 v6, v5, v16
	s_delay_alu instid0(VALU_DEP_2) | instskip(NEXT) | instid1(VALU_DEP_2)
	v_cmp_le_u32_e64 s3, v4, v12
	v_cmp_le_u32_e64 s4, v6, v15
	s_delay_alu instid0(VALU_DEP_1) | instskip(NEXT) | instid1(SALU_CYCLE_1)
	s_or_b32 s3, s3, s4
	s_and_saveexec_b32 s5, s3
	s_cbranch_execz .LBB1352_101
; %bb.82:
	v_cmp_ge_u32_e64 s3, v4, v12
	s_mov_b32 s7, exec_lo
                                        ; implicit-def: $vgpr16
	v_cmpx_lt_u32_e64 v4, v12
	s_cbranch_execz .LBB1352_84
; %bb.83:
	v_mov_b32_e32 v5, 0
	s_delay_alu instid0(VALU_DEP_1) | instskip(NEXT) | instid1(VALU_DEP_1)
	v_lshlrev_b64 v[10:11], 2, v[4:5]
	v_add_co_u32 v10, s4, v27, v10
	s_delay_alu instid0(VALU_DEP_1)
	v_add_co_ci_u32_e64 v11, s4, v28, v11, s4
	flat_load_b32 v16, v[10:11]
.LBB1352_84:
	s_or_b32 exec_lo, exec_lo, s7
	v_cmp_ge_u32_e64 s7, v6, v15
	s_mov_b32 s10, exec_lo
                                        ; implicit-def: $vgpr7
	v_cmpx_lt_u32_e64 v6, v15
	s_cbranch_execz .LBB1352_86
; %bb.85:
	v_mov_b32_e32 v7, 0
	s_delay_alu instid0(VALU_DEP_1) | instskip(NEXT) | instid1(VALU_DEP_1)
	v_lshlrev_b64 v[10:11], 2, v[6:7]
	v_add_co_u32 v10, s4, v27, v10
	s_delay_alu instid0(VALU_DEP_1)
	v_add_co_ci_u32_e64 v11, s4, v28, v11, s4
	flat_load_b32 v7, v[10:11]
.LBB1352_86:
	s_or_b32 exec_lo, exec_lo, s10
	s_or_b32 s3, s3, s7
	s_mov_b32 s4, -1
	s_xor_b32 s3, s3, -1
	s_delay_alu instid0(SALU_CYCLE_1)
	s_and_saveexec_b32 s10, s3
	s_cbranch_execz .LBB1352_88
; %bb.87:
	s_waitcnt vmcnt(0) lgkmcnt(0)
	v_dual_add_f32 v5, 0, v7 :: v_dual_add_f32 v10, 0, v16
	s_and_not1_b32 s7, s7, exec_lo
	s_delay_alu instid0(VALU_DEP_1) | instskip(NEXT) | instid1(VALU_DEP_2)
	v_ashrrev_i32_e32 v11, 31, v5
	v_ashrrev_i32_e32 v17, 31, v10
	s_delay_alu instid0(VALU_DEP_2) | instskip(NEXT) | instid1(VALU_DEP_2)
	v_or_b32_e32 v11, 0x80000000, v11
	v_or_b32_e32 v17, 0x80000000, v17
	s_delay_alu instid0(VALU_DEP_2) | instskip(NEXT) | instid1(VALU_DEP_2)
	v_xor_b32_e32 v5, v11, v5
	v_xor_b32_e32 v10, v17, v10
	s_delay_alu instid0(VALU_DEP_1) | instskip(NEXT) | instid1(VALU_DEP_1)
	v_cmp_le_u32_e64 s3, v5, v10
	s_and_b32 s3, s3, exec_lo
	s_delay_alu instid0(SALU_CYCLE_1)
	s_or_b32 s7, s7, s3
.LBB1352_88:
	s_or_b32 exec_lo, exec_lo, s10
	v_cndmask_b32_e64 v10, v6, v4, s7
	v_cndmask_b32_e64 v5, v15, v12, s7
	v_mov_b32_e32 v11, 0
	s_mov_b32 s11, 0
	s_mov_b32 s10, exec_lo
	v_add_nc_u32_e32 v21, 1, v10
	v_add_nc_u32_e32 v5, -1, v5
	v_lshlrev_b64 v[17:18], 3, v[10:11]
	s_delay_alu instid0(VALU_DEP_3) | instskip(NEXT) | instid1(VALU_DEP_3)
	v_cndmask_b32_e64 v4, v4, v21, s7
	v_min_u32_e32 v10, v21, v5
	v_cndmask_b32_e64 v5, v21, v6, s7
	s_delay_alu instid0(VALU_DEP_2) | instskip(NEXT) | instid1(VALU_DEP_1)
	v_lshlrev_b64 v[19:20], 2, v[10:11]
	v_add_co_u32 v19, s3, v27, v19
	s_delay_alu instid0(VALU_DEP_1) | instskip(SKIP_1) | instid1(VALU_DEP_1)
	v_add_co_ci_u32_e64 v20, s3, v28, v20, s3
	v_add_co_u32 v17, s3, v25, v17
	v_add_co_ci_u32_e64 v18, s3, v26, v18, s3
	s_clause 0x1
	flat_load_b32 v10, v[19:20]
	flat_load_b64 v[17:18], v[17:18]
	s_waitcnt vmcnt(1) lgkmcnt(1)
	v_cndmask_b32_e64 v6, v10, v7, s7
	v_cndmask_b32_e64 v29, v16, v10, s7
	v_cmpx_lt_u32_e64 v5, v15
	s_cbranch_execz .LBB1352_92
; %bb.89:
	s_mov_b32 s4, exec_lo
	v_cmpx_lt_u32_e64 v4, v12
; %bb.90:
	v_dual_add_f32 v10, 0, v6 :: v_dual_add_f32 v19, 0, v29
	s_delay_alu instid0(VALU_DEP_1) | instskip(NEXT) | instid1(VALU_DEP_2)
	v_ashrrev_i32_e32 v20, 31, v10
	v_ashrrev_i32_e32 v21, 31, v19
	s_delay_alu instid0(VALU_DEP_2) | instskip(NEXT) | instid1(VALU_DEP_2)
	v_or_b32_e32 v20, 0x80000000, v20
	v_or_b32_e32 v21, 0x80000000, v21
	s_delay_alu instid0(VALU_DEP_2) | instskip(NEXT) | instid1(VALU_DEP_2)
	v_xor_b32_e32 v10, v20, v10
	v_xor_b32_e32 v19, v21, v19
	s_delay_alu instid0(VALU_DEP_1) | instskip(NEXT) | instid1(VALU_DEP_1)
	v_cmp_le_u32_e64 s3, v10, v19
	s_and_b32 s11, s3, exec_lo
; %bb.91:
	s_or_b32 exec_lo, exec_lo, s4
	s_delay_alu instid0(SALU_CYCLE_1)
	s_or_not1_b32 s4, s11, exec_lo
.LBB1352_92:
	s_or_b32 exec_lo, exec_lo, s10
	v_cndmask_b32_e64 v10, v5, v4, s4
	v_cndmask_b32_e64 v19, v15, v12, s4
	s_mov_b32 s15, 0
	s_mov_b32 s10, -1
	s_mov_b32 s11, -1
	v_add_nc_u32_e32 v21, 1, v10
	v_add_nc_u32_e32 v22, -1, v19
	v_lshlrev_b64 v[19:20], 3, v[10:11]
	s_mov_b32 s14, exec_lo
	s_delay_alu instid0(VALU_DEP_3) | instskip(NEXT) | instid1(VALU_DEP_3)
	v_cndmask_b32_e64 v23, v21, v5, s4
	v_min_u32_e32 v10, v21, v22
	v_cndmask_b32_e64 v24, v4, v21, s4
	s_delay_alu instid0(VALU_DEP_2) | instskip(NEXT) | instid1(VALU_DEP_1)
	v_lshlrev_b64 v[10:11], 2, v[10:11]
	v_add_co_u32 v10, s3, v27, v10
	s_delay_alu instid0(VALU_DEP_1) | instskip(SKIP_2) | instid1(VALU_DEP_1)
	v_add_co_ci_u32_e64 v11, s3, v28, v11, s3
	flat_load_b32 v22, v[10:11]
	v_add_co_u32 v10, s3, v25, v19
	v_add_co_ci_u32_e64 v11, s3, v26, v20, s3
	flat_load_b64 v[19:20], v[10:11]
	s_waitcnt vmcnt(1) lgkmcnt(1)
	v_cndmask_b32_e64 v10, v22, v6, s4
	v_cndmask_b32_e64 v11, v29, v22, s4
	v_cmpx_lt_u32_e64 v23, v15
	s_cbranch_execz .LBB1352_96
; %bb.93:
	s_mov_b32 s11, exec_lo
	v_cmpx_lt_u32_e64 v24, v12
; %bb.94:
	v_dual_add_f32 v4, 0, v10 :: v_dual_add_f32 v5, 0, v11
	s_delay_alu instid0(VALU_DEP_1) | instskip(NEXT) | instid1(VALU_DEP_2)
	v_ashrrev_i32_e32 v21, 31, v4
	v_ashrrev_i32_e32 v22, 31, v5
	s_delay_alu instid0(VALU_DEP_2) | instskip(NEXT) | instid1(VALU_DEP_2)
	v_or_b32_e32 v21, 0x80000000, v21
	v_or_b32_e32 v22, 0x80000000, v22
	s_delay_alu instid0(VALU_DEP_2) | instskip(NEXT) | instid1(VALU_DEP_2)
	v_xor_b32_e32 v4, v21, v4
	v_xor_b32_e32 v5, v22, v5
	s_delay_alu instid0(VALU_DEP_1) | instskip(NEXT) | instid1(VALU_DEP_1)
	v_cmp_le_u32_e64 s3, v4, v5
	s_and_b32 s15, s3, exec_lo
; %bb.95:
	s_or_b32 exec_lo, exec_lo, s11
	s_delay_alu instid0(SALU_CYCLE_1)
	s_or_not1_b32 s11, s15, exec_lo
.LBB1352_96:
	s_or_b32 exec_lo, exec_lo, s14
	v_cndmask_b32_e64 v4, v23, v24, s11
	v_cndmask_b32_e64 v21, v15, v12, s11
	v_mov_b32_e32 v5, 0
	s_mov_b32 s15, 0
	s_mov_b32 s14, exec_lo
	v_add_nc_u32_e32 v32, 1, v4
	v_add_nc_u32_e32 v30, -1, v21
	v_lshlrev_b64 v[21:22], 3, v[4:5]
	s_delay_alu instid0(VALU_DEP_2) | instskip(NEXT) | instid1(VALU_DEP_1)
	v_min_u32_e32 v4, v32, v30
	v_lshlrev_b64 v[30:31], 2, v[4:5]
	v_cndmask_b32_e64 v4, v32, v23, s11
	v_cndmask_b32_e64 v23, v24, v32, s11
	s_delay_alu instid0(VALU_DEP_3) | instskip(NEXT) | instid1(VALU_DEP_1)
	v_add_co_u32 v27, s3, v27, v30
	v_add_co_ci_u32_e64 v28, s3, v28, v31, s3
	v_add_co_u32 v21, s3, v25, v21
	s_delay_alu instid0(VALU_DEP_1)
	v_add_co_ci_u32_e64 v22, s3, v26, v22, s3
	s_clause 0x1
	flat_load_b32 v28, v[27:28]
	flat_load_b64 v[21:22], v[21:22]
	s_waitcnt vmcnt(1) lgkmcnt(1)
	v_cndmask_b32_e64 v27, v28, v10, s11
	v_cndmask_b32_e64 v28, v11, v28, s11
	v_cmpx_lt_u32_e64 v4, v15
	s_cbranch_execz .LBB1352_100
; %bb.97:
	s_mov_b32 s10, exec_lo
	v_cmpx_lt_u32_e64 v23, v12
; %bb.98:
	v_dual_add_f32 v12, 0, v27 :: v_dual_add_f32 v15, 0, v28
	s_delay_alu instid0(VALU_DEP_1) | instskip(NEXT) | instid1(VALU_DEP_2)
	v_ashrrev_i32_e32 v24, 31, v12
	v_ashrrev_i32_e32 v30, 31, v15
	s_delay_alu instid0(VALU_DEP_2) | instskip(NEXT) | instid1(VALU_DEP_2)
	v_or_b32_e32 v24, 0x80000000, v24
	v_or_b32_e32 v30, 0x80000000, v30
	s_delay_alu instid0(VALU_DEP_2) | instskip(NEXT) | instid1(VALU_DEP_2)
	v_xor_b32_e32 v12, v24, v12
	v_xor_b32_e32 v15, v30, v15
	s_delay_alu instid0(VALU_DEP_1) | instskip(NEXT) | instid1(VALU_DEP_1)
	v_cmp_le_u32_e64 s3, v12, v15
	s_and_b32 s15, s3, exec_lo
; %bb.99:
	s_or_b32 exec_lo, exec_lo, s10
	s_delay_alu instid0(SALU_CYCLE_1)
	s_or_not1_b32 s10, s15, exec_lo
.LBB1352_100:
	s_or_b32 exec_lo, exec_lo, s14
	v_cndmask_b32_e64 v4, v4, v23, s10
	v_cndmask_b32_e64 v66, v10, v11, s11
	;; [unrolled: 1-line block ×5, first 2 shown]
	v_lshlrev_b64 v[4:5], 3, v[4:5]
	s_delay_alu instid0(VALU_DEP_1) | instskip(NEXT) | instid1(VALU_DEP_1)
	v_add_co_u32 v4, s3, v25, v4
	v_add_co_ci_u32_e64 v5, s3, v26, v5, s3
	flat_load_b64 v[23:24], v[4:5]
.LBB1352_101:
	s_or_b32 exec_lo, exec_lo, s5
	v_add_co_u32 v2, s3, v2, v68
	s_delay_alu instid0(VALU_DEP_1) | instskip(NEXT) | instid1(VALU_DEP_2)
	v_add_co_ci_u32_e64 v3, s3, v3, v69, s3
	v_add_co_u32 v2, s3, v2, v71
	s_delay_alu instid0(VALU_DEP_1)
	v_add_co_ci_u32_e64 v3, s3, 0, v3, s3
	; wave barrier
	s_waitcnt vmcnt(0) lgkmcnt(0)
	s_waitcnt_vscnt null, 0x0
	s_barrier
	buffer_gl0_inv
	; wave barrier
	s_and_saveexec_b32 s3, vcc_lo
	s_cbranch_execnz .LBB1352_222
; %bb.102:
	s_or_b32 exec_lo, exec_lo, s3
	s_and_saveexec_b32 s3, s0
	s_cbranch_execnz .LBB1352_223
.LBB1352_103:
	s_or_b32 exec_lo, exec_lo, s3
	s_and_saveexec_b32 s3, s1
	s_cbranch_execnz .LBB1352_224
.LBB1352_104:
	s_or_b32 exec_lo, exec_lo, s3
	s_and_saveexec_b32 s3, s2
	s_cbranch_execz .LBB1352_106
.LBB1352_105:
	flat_store_b32 v[2:3], v67 offset:12
.LBB1352_106:
	s_or_b32 exec_lo, exec_lo, s3
	v_add_co_u32 v0, s3, v8, v0
	s_delay_alu instid0(VALU_DEP_1) | instskip(NEXT) | instid1(VALU_DEP_2)
	v_add_co_ci_u32_e64 v1, s3, v9, v1, s3
	v_add_co_u32 v0, s3, v0, v81
	s_delay_alu instid0(VALU_DEP_1)
	v_add_co_ci_u32_e64 v1, s3, 0, v1, s3
	; wave barrier
	s_and_saveexec_b32 s3, vcc_lo
	s_cbranch_execnz .LBB1352_225
; %bb.107:
	s_or_b32 exec_lo, exec_lo, s3
	s_and_saveexec_b32 s3, s0
	s_cbranch_execnz .LBB1352_226
.LBB1352_108:
	s_or_b32 exec_lo, exec_lo, s3
	s_and_saveexec_b32 s0, s1
	s_cbranch_execz .LBB1352_110
.LBB1352_109:
	flat_store_b64 v[0:1], v[21:22] offset:16
.LBB1352_110:
	s_or_b32 exec_lo, exec_lo, s0
	s_delay_alu instid0(SALU_CYCLE_1)
	s_and_b32 s5, s2, exec_lo
                                        ; implicit-def: $vgpr12
                                        ; implicit-def: $vgpr80
                                        ; implicit-def: $vgpr25_vgpr26
                                        ; implicit-def: $vgpr4
                                        ; implicit-def: $vgpr5
                                        ; implicit-def: $vgpr6
                                        ; implicit-def: $vgpr7
                                        ; implicit-def: $vgpr10
                                        ; implicit-def: $vgpr15
                                        ; implicit-def: $vgpr16
                                        ; implicit-def: $vgpr68_vgpr69
                                        ; implicit-def: $vgpr71
                                        ; implicit-def: $vgpr31
	s_and_not1_saveexec_b32 s6, s6
	s_cbranch_execz .LBB1352_2
.LBB1352_111:
	v_dual_mov_b32 v1, -1 :: v_dual_mov_b32 v0, -1
	s_and_saveexec_b32 s0, vcc_lo
	s_cbranch_execz .LBB1352_113
; %bb.112:
	flat_load_b32 v0, v[25:26]
.LBB1352_113:
	s_or_b32 exec_lo, exec_lo, s0
	v_or_b32_e32 v2, 1, v70
	s_delay_alu instid0(VALU_DEP_1) | instskip(NEXT) | instid1(VALU_DEP_1)
	v_cmp_lt_u32_e64 s1, v2, v12
	s_and_saveexec_b32 s0, s1
	s_cbranch_execz .LBB1352_115
; %bb.114:
	flat_load_b32 v1, v[25:26] offset:4
.LBB1352_115:
	s_or_b32 exec_lo, exec_lo, s0
	v_or_b32_e32 v2, 2, v70
	v_mov_b32_e32 v3, -1
	s_delay_alu instid0(VALU_DEP_2) | instskip(SKIP_1) | instid1(VALU_DEP_2)
	v_cmp_lt_u32_e64 s2, v2, v12
	v_mov_b32_e32 v2, -1
	s_and_saveexec_b32 s0, s2
	s_cbranch_execz .LBB1352_117
; %bb.116:
	flat_load_b32 v2, v[25:26] offset:8
.LBB1352_117:
	s_or_b32 exec_lo, exec_lo, s0
	v_or_b32_e32 v8, 3, v70
	s_delay_alu instid0(VALU_DEP_1) | instskip(NEXT) | instid1(VALU_DEP_1)
	v_cmp_lt_u32_e64 s0, v8, v12
	s_and_saveexec_b32 s3, s0
	s_cbranch_execz .LBB1352_119
; %bb.118:
	flat_load_b32 v3, v[25:26] offset:12
.LBB1352_119:
	s_or_b32 exec_lo, exec_lo, s3
	v_lshlrev_b64 v[8:9], 3, v[13:14]
	v_lshlrev_b32_e32 v12, 3, v70
	; wave barrier
                                        ; implicit-def: $vgpr17_vgpr18_vgpr19_vgpr20_vgpr21_vgpr22_vgpr23_vgpr24
	s_delay_alu instid0(VALU_DEP_2) | instskip(NEXT) | instid1(VALU_DEP_1)
	v_add_co_u32 v6, s3, v6, v8
	v_add_co_ci_u32_e64 v7, s3, v7, v9, s3
	s_delay_alu instid0(VALU_DEP_2) | instskip(NEXT) | instid1(VALU_DEP_1)
	v_add_co_u32 v6, s3, v6, v12
	v_add_co_ci_u32_e64 v7, s3, 0, v7, s3
	s_and_saveexec_b32 s3, vcc_lo
	s_cbranch_execnz .LBB1352_227
; %bb.120:
	s_or_b32 exec_lo, exec_lo, s3
	s_and_saveexec_b32 s3, s1
	s_cbranch_execnz .LBB1352_228
.LBB1352_121:
	s_or_b32 exec_lo, exec_lo, s3
	s_and_saveexec_b32 s3, s2
	s_cbranch_execnz .LBB1352_229
.LBB1352_122:
	s_or_b32 exec_lo, exec_lo, s3
	s_and_saveexec_b32 s3, s0
	s_cbranch_execz .LBB1352_124
.LBB1352_123:
	flat_load_b64 v[23:24], v[6:7] offset:24
.LBB1352_124:
	s_or_b32 exec_lo, exec_lo, s3
	; wave barrier
	s_load_b64 s[10:11], s[8:9], 0x0
	v_mov_b32_e32 v6, 0
	v_bfe_u32 v25, v31, 10, 10
	v_bfe_u32 v26, v31, 20, 10
	s_mov_b32 s7, exec_lo
	s_waitcnt lgkmcnt(0)
	s_cmp_lt_u32 s13, s11
	s_cselect_b32 s3, 14, 20
	s_delay_alu instid0(SALU_CYCLE_1) | instskip(SKIP_4) | instid1(SALU_CYCLE_1)
	s_add_u32 s14, s8, s3
	s_addc_u32 s15, s9, 0
	s_cmp_lt_u32 s12, s10
	global_load_u16 v7, v6, s[14:15]
	s_cselect_b32 s3, 12, 18
	s_add_u32 s8, s8, s3
	s_addc_u32 s9, s9, 0
	global_load_u16 v6, v6, s[8:9]
	s_waitcnt vmcnt(1)
	v_mad_u32_u24 v7, v26, v7, v25
	s_waitcnt vmcnt(0)
	s_delay_alu instid0(VALU_DEP_1) | instskip(SKIP_1) | instid1(VALU_DEP_1)
	v_mul_lo_u32 v6, v7, v6
	v_and_b32_e32 v7, 0x3ff, v31
	v_add_lshl_u32 v6, v6, v7, 2
	s_delay_alu instid0(VALU_DEP_1)
	v_cmpx_gt_u32_e32 0x400, v6
	s_cbranch_execz .LBB1352_136
; %bb.125:
	v_dual_add_f32 v7, 0, v1 :: v_dual_add_f32 v26, 0, v3
	v_dual_add_f32 v25, 0, v0 :: v_dual_mov_b32 v64, v2
	v_add_f32_e32 v27, 0, v2
	s_delay_alu instid0(VALU_DEP_3) | instskip(NEXT) | instid1(VALU_DEP_4)
	v_ashrrev_i32_e32 v28, 31, v7
	v_ashrrev_i32_e32 v30, 31, v26
	s_delay_alu instid0(VALU_DEP_4)
	v_ashrrev_i32_e32 v29, 31, v25
	s_mov_b32 s8, exec_lo
	v_ashrrev_i32_e32 v31, 31, v27
	v_or_b32_e32 v28, 0x80000000, v28
	v_or_b32_e32 v30, 0x80000000, v30
	;; [unrolled: 1-line block ×3, first 2 shown]
	s_delay_alu instid0(VALU_DEP_4) | instskip(NEXT) | instid1(VALU_DEP_4)
	v_or_b32_e32 v31, 0x80000000, v31
	v_xor_b32_e32 v7, v28, v7
	s_delay_alu instid0(VALU_DEP_3) | instskip(SKIP_1) | instid1(VALU_DEP_4)
	v_xor_b32_e32 v28, v29, v25
	v_xor_b32_e32 v25, v30, v26
	;; [unrolled: 1-line block ×3, first 2 shown]
	s_delay_alu instid0(VALU_DEP_3) | instskip(NEXT) | instid1(VALU_DEP_1)
	v_cmp_gt_u32_e64 s3, v7, v28
	v_cndmask_b32_e64 v65, v20, v18, s3
	v_cndmask_b32_e64 v66, v19, v17, s3
	;; [unrolled: 1-line block ×4, first 2 shown]
	v_cmpx_gt_u32_e64 v25, v81
; %bb.126:
	v_dual_mov_b32 v18, v21 :: v_dual_mov_b32 v19, v22
	v_mov_b32_e32 v21, v23
	v_dual_mov_b32 v64, v3 :: v_dual_mov_b32 v3, v2
	v_dual_mov_b32 v81, v25 :: v_dual_mov_b32 v22, v24
	s_delay_alu instid0(VALU_DEP_4)
	v_dual_mov_b32 v24, v19 :: v_dual_mov_b32 v23, v18
; %bb.127:
	s_or_b32 exec_lo, exec_lo, s8
	v_cndmask_b32_e64 v18, v1, v0, s3
                                        ; implicit-def: $vgpr67
	s_delay_alu instid0(VALU_DEP_1) | instskip(NEXT) | instid1(VALU_DEP_1)
	v_add_f32_e32 v2, 0, v18
	v_ashrrev_i32_e32 v19, 31, v2
	s_delay_alu instid0(VALU_DEP_1) | instskip(NEXT) | instid1(VALU_DEP_1)
	v_or_b32_e32 v19, 0x80000000, v19
	v_xor_b32_e32 v2, v19, v2
	s_delay_alu instid0(VALU_DEP_1) | instskip(NEXT) | instid1(VALU_DEP_1)
	v_cmp_le_u32_e64 s4, v81, v2
	s_and_saveexec_b32 s8, s4
	s_delay_alu instid0(SALU_CYCLE_1)
	s_xor_b32 s4, exec_lo, s8
                                        ; implicit-def: $vgpr32_vgpr33_vgpr34_vgpr35_vgpr36_vgpr37_vgpr38_vgpr39
                                        ; implicit-def: $vgpr30_vgpr31_vgpr32_vgpr33_vgpr34_vgpr35_vgpr36_vgpr37
                                        ; implicit-def: $vgpr25_vgpr26_vgpr27_vgpr28_vgpr29_vgpr30_vgpr31_vgpr32
                                        ; implicit-def: $vgpr48_vgpr49_vgpr50_vgpr51_vgpr52_vgpr53_vgpr54_vgpr55
; %bb.128:
	v_add_f32_e32 v19, 0, v64
	v_dual_mov_b32 v27, v66 :: v_dual_mov_b32 v38, v23
	v_mov_b32_e32 v66, v21
	v_mov_b32_e32 v33, v65
	s_delay_alu instid0(VALU_DEP_4) | instskip(SKIP_2) | instid1(VALU_DEP_3)
	v_ashrrev_i32_e32 v20, 31, v19
	v_mov_b32_e32 v65, v22
	v_mov_b32_e32 v55, v24
                                        ; implicit-def: $vgpr21_vgpr22
                                        ; implicit-def: $vgpr81
	v_or_b32_e32 v20, 0x80000000, v20
	s_delay_alu instid0(VALU_DEP_1)
	v_xor_b32_e32 v67, v20, v19
; %bb.129:
	s_or_saveexec_b32 s4, s4
	v_mov_b32_e32 v25, v18
	s_xor_b32 exec_lo, exec_lo, s4
; %bb.130:
	v_dual_mov_b32 v27, v21 :: v_dual_mov_b32 v38, v23
	v_mov_b32_e32 v33, v22
	v_mov_b32_e32 v55, v24
	;; [unrolled: 1-line block ×3, first 2 shown]
	v_dual_mov_b32 v25, v64 :: v_dual_mov_b32 v64, v18
	v_mov_b32_e32 v2, v81
; %bb.131:
	s_or_b32 exec_lo, exec_lo, s4
	v_cndmask_b32_e64 v0, v0, v1, s3
	v_dual_mov_b32 v21, v66 :: v_dual_mov_b32 v22, v65
	v_dual_mov_b32 v23, v38 :: v_dual_mov_b32 v24, v55
	s_delay_alu instid0(VALU_DEP_3) | instskip(SKIP_1) | instid1(VALU_DEP_1)
	v_dual_add_f32 v1, 0, v0 :: v_dual_add_f32 v18, 0, v3
	s_mov_b32 s8, exec_lo
	v_ashrrev_i32_e32 v19, 31, v1
	s_delay_alu instid0(VALU_DEP_2) | instskip(NEXT) | instid1(VALU_DEP_2)
	v_ashrrev_i32_e32 v20, 31, v18
	v_or_b32_e32 v19, 0x80000000, v19
	s_delay_alu instid0(VALU_DEP_2) | instskip(NEXT) | instid1(VALU_DEP_2)
	v_or_b32_e32 v20, 0x80000000, v20
	v_xor_b32_e32 v19, v19, v1
	s_delay_alu instid0(VALU_DEP_2) | instskip(NEXT) | instid1(VALU_DEP_2)
	v_xor_b32_e32 v1, v20, v18
	v_cmp_gt_u32_e64 s3, v2, v19
	s_delay_alu instid0(VALU_DEP_1)
	v_cndmask_b32_e64 v20, v33, v7, s3
	v_cndmask_b32_e64 v19, v27, v17, s3
	v_cndmask_b32_e64 v18, v7, v33, s3
	v_cndmask_b32_e64 v17, v17, v27, s3
	v_mov_b32_e32 v7, v64
	v_cmpx_gt_u32_e64 v1, v67
; %bb.132:
	s_delay_alu instid0(VALU_DEP_3) | instskip(SKIP_3) | instid1(VALU_DEP_4)
	v_dual_mov_b32 v26, v17 :: v_dual_mov_b32 v27, v18
	v_dual_mov_b32 v28, v19 :: v_dual_mov_b32 v29, v20
	;; [unrolled: 1-line block ×4, first 2 shown]
	v_mov_b32_e32 v17, v26
	s_delay_alu instid0(VALU_DEP_4) | instskip(SKIP_1) | instid1(VALU_DEP_4)
	v_dual_mov_b32 v7, v3 :: v_dual_mov_b32 v20, v29
	v_dual_mov_b32 v3, v64 :: v_dual_mov_b32 v18, v27
	;; [unrolled: 1-line block ×4, first 2 shown]
	v_mov_b32_e32 v23, v32
	v_mov_b32_e32 v67, v1
; %bb.133:
	s_or_b32 exec_lo, exec_lo, s8
	v_cndmask_b32_e64 v1, v25, v0, s3
	s_delay_alu instid0(VALU_DEP_1) | instskip(NEXT) | instid1(VALU_DEP_1)
	v_add_f32_e32 v2, 0, v1
	v_ashrrev_i32_e32 v26, 31, v2
	s_delay_alu instid0(VALU_DEP_1) | instskip(NEXT) | instid1(VALU_DEP_1)
	v_or_b32_e32 v26, 0x80000000, v26
	v_xor_b32_e32 v2, v26, v2
	s_delay_alu instid0(VALU_DEP_1) | instskip(SKIP_1) | instid1(VALU_DEP_2)
	v_cmp_gt_u32_e64 s4, v67, v2
	v_mov_b32_e32 v2, v7
	s_and_saveexec_b32 s8, s4
; %bb.134:
	v_dual_mov_b32 v26, v17 :: v_dual_mov_b32 v27, v18
	v_dual_mov_b32 v28, v21 :: v_dual_mov_b32 v29, v22
	;; [unrolled: 1-line block ×4, first 2 shown]
	s_delay_alu instid0(VALU_DEP_4) | instskip(NEXT) | instid1(VALU_DEP_4)
	v_dual_mov_b32 v17, v26 :: v_dual_mov_b32 v18, v27
	v_dual_mov_b32 v19, v28 :: v_dual_mov_b32 v20, v29
	s_delay_alu instid0(VALU_DEP_4) | instskip(NEXT) | instid1(VALU_DEP_4)
	v_dual_mov_b32 v21, v30 :: v_dual_mov_b32 v22, v31
	v_dual_mov_b32 v23, v32 :: v_dual_mov_b32 v24, v33
	v_dual_mov_b32 v2, v1 :: v_dual_mov_b32 v1, v7
; %bb.135:
	s_or_b32 exec_lo, exec_lo, s8
	v_cndmask_b32_e64 v0, v0, v25, s3
.LBB1352_136:
	s_or_b32 exec_lo, exec_lo, s7
	v_dual_mov_b32 v26, 0 :: v_dual_and_b32 v25, 0xffffff80, v6
	v_or_b32_e32 v29, 4, v80
	s_mov_b32 s4, 0
	s_mov_b32 s7, exec_lo
	s_delay_alu instid0(VALU_DEP_2) | instskip(SKIP_2) | instid1(VALU_DEP_3)
	v_sub_nc_u32_e64 v33, 0x400, v25 clamp
	v_lshlrev_b64 v[6:7], 2, v[25:26]
	v_lshlrev_b64 v[27:28], 3, v[25:26]
	v_min_u32_e32 v34, v33, v29
	s_delay_alu instid0(VALU_DEP_3) | instskip(NEXT) | instid1(VALU_DEP_1)
	v_add_co_u32 v31, s3, v15, v6
	v_add_co_ci_u32_e64 v32, s3, v16, v7, s3
	s_delay_alu instid0(VALU_DEP_4) | instskip(NEXT) | instid1(VALU_DEP_1)
	v_add_co_u32 v6, s3, v15, v27
	v_add_co_ci_u32_e64 v7, s3, v16, v28, s3
	v_add_nc_u32_e32 v15, 4, v34
	s_delay_alu instid0(VALU_DEP_3) | instskip(NEXT) | instid1(VALU_DEP_1)
	v_add_co_u32 v29, s3, 0x1000, v6
	v_add_co_ci_u32_e64 v30, s3, 0, v7, s3
	v_and_b32_e32 v6, 4, v80
	v_and_b32_e32 v27, 0x78, v80
	v_min_u32_e32 v35, v33, v15
	v_lshlrev_b32_e32 v7, 3, v80
	v_lshlrev_b32_e32 v15, 2, v80
	v_min_u32_e32 v28, v33, v6
	v_sub_nc_u32_e32 v16, v34, v27
	v_sub_nc_u32_e32 v25, v35, v34
	v_add_co_u32 v6, s3, v29, v7
	s_delay_alu instid0(VALU_DEP_1) | instskip(SKIP_1) | instid1(VALU_DEP_4)
	v_add_co_ci_u32_e64 v7, s3, 0, v30, s3
	v_add_co_u32 v15, s3, v31, v15
	v_sub_nc_u32_e64 v36, v28, v25 clamp
	v_min_u32_e32 v37, v28, v16
	v_add_co_ci_u32_e64 v16, s3, 0, v32, s3
	s_clause 0x2
	flat_store_b128 v[6:7], v[17:20]
	flat_store_b128 v[15:16], v[0:3]
	flat_store_b128 v[6:7], v[21:24] offset:16
	; wave barrier
	v_cmpx_lt_u32_e64 v36, v37
	s_cbranch_execz .LBB1352_140
; %bb.137:
	v_lshlrev_b32_e32 v25, 2, v27
	v_lshlrev_b32_e32 v48, 2, v34
	s_delay_alu instid0(VALU_DEP_2) | instskip(NEXT) | instid1(VALU_DEP_1)
	v_add_co_u32 v38, s3, v31, v25
	v_add_co_ci_u32_e64 v39, s3, 0, v32, s3
	s_delay_alu instid0(VALU_DEP_3) | instskip(NEXT) | instid1(VALU_DEP_1)
	v_add_co_u32 v48, s3, v31, v48
	v_add_co_ci_u32_e64 v49, s3, 0, v32, s3
	s_set_inst_prefetch_distance 0x1
	.p2align	6
.LBB1352_138:                           ; =>This Inner Loop Header: Depth=1
	v_add_nc_u32_e32 v25, v37, v36
	s_delay_alu instid0(VALU_DEP_1) | instskip(SKIP_1) | instid1(VALU_DEP_2)
	v_lshrrev_b32_e32 v25, 1, v25
	v_mov_b32_e32 v51, v26
	v_xad_u32 v50, v25, -1, v28
	v_lshlrev_b64 v[52:53], 2, v[25:26]
	s_delay_alu instid0(VALU_DEP_2) | instskip(NEXT) | instid1(VALU_DEP_2)
	v_lshlrev_b64 v[50:51], 2, v[50:51]
	v_add_co_u32 v52, s3, v38, v52
	s_delay_alu instid0(VALU_DEP_1) | instskip(NEXT) | instid1(VALU_DEP_3)
	v_add_co_ci_u32_e64 v53, s3, v39, v53, s3
	v_add_co_u32 v50, s3, v48, v50
	s_delay_alu instid0(VALU_DEP_1)
	v_add_co_ci_u32_e64 v51, s3, v49, v51, s3
	s_clause 0x1
	flat_load_b32 v52, v[52:53]
	flat_load_b32 v50, v[50:51]
	s_waitcnt vmcnt(0) lgkmcnt(0)
	v_dual_add_f32 v51, 0, v52 :: v_dual_add_f32 v50, 0, v50
	s_delay_alu instid0(VALU_DEP_1) | instskip(NEXT) | instid1(VALU_DEP_2)
	v_ashrrev_i32_e32 v52, 31, v51
	v_ashrrev_i32_e32 v53, 31, v50
	s_delay_alu instid0(VALU_DEP_2) | instskip(NEXT) | instid1(VALU_DEP_2)
	v_or_b32_e32 v52, 0x80000000, v52
	v_or_b32_e32 v53, 0x80000000, v53
	s_delay_alu instid0(VALU_DEP_2) | instskip(SKIP_1) | instid1(VALU_DEP_3)
	v_xor_b32_e32 v51, v52, v51
	v_add_nc_u32_e32 v52, 1, v25
	v_xor_b32_e32 v50, v53, v50
	s_delay_alu instid0(VALU_DEP_1) | instskip(NEXT) | instid1(VALU_DEP_1)
	v_cmp_gt_u32_e64 s3, v50, v51
	v_cndmask_b32_e64 v37, v37, v25, s3
	s_delay_alu instid0(VALU_DEP_4) | instskip(NEXT) | instid1(VALU_DEP_1)
	v_cndmask_b32_e64 v36, v52, v36, s3
	v_cmp_ge_u32_e64 s3, v36, v37
	s_delay_alu instid0(VALU_DEP_1) | instskip(NEXT) | instid1(SALU_CYCLE_1)
	s_or_b32 s4, s3, s4
	s_and_not1_b32 exec_lo, exec_lo, s4
	s_cbranch_execnz .LBB1352_138
; %bb.139:
	s_set_inst_prefetch_distance 0x2
	s_or_b32 exec_lo, exec_lo, s4
.LBB1352_140:
	s_delay_alu instid0(SALU_CYCLE_1) | instskip(SKIP_2) | instid1(VALU_DEP_2)
	s_or_b32 exec_lo, exec_lo, s7
	v_add_nc_u32_e32 v26, v34, v28
	v_add_nc_u32_e32 v25, v36, v27
	v_sub_nc_u32_e32 v27, v26, v36
	s_delay_alu instid0(VALU_DEP_2) | instskip(NEXT) | instid1(VALU_DEP_2)
	v_cmp_le_u32_e64 s3, v25, v34
	v_cmp_le_u32_e64 s4, v27, v35
	s_delay_alu instid0(VALU_DEP_1) | instskip(NEXT) | instid1(SALU_CYCLE_1)
	s_or_b32 s3, s3, s4
	s_and_saveexec_b32 s7, s3
	s_cbranch_execz .LBB1352_160
; %bb.141:
	v_cmp_ge_u32_e64 s3, v25, v34
	s_mov_b32 s8, exec_lo
                                        ; implicit-def: $vgpr3
	v_cmpx_lt_u32_e64 v25, v34
	s_cbranch_execz .LBB1352_143
; %bb.142:
	v_mov_b32_e32 v26, 0
	s_delay_alu instid0(VALU_DEP_1) | instskip(NEXT) | instid1(VALU_DEP_1)
	v_lshlrev_b64 v[0:1], 2, v[25:26]
	v_add_co_u32 v0, s4, v31, v0
	s_delay_alu instid0(VALU_DEP_1)
	v_add_co_ci_u32_e64 v1, s4, v32, v1, s4
	flat_load_b32 v3, v[0:1]
.LBB1352_143:
	s_or_b32 exec_lo, exec_lo, s8
	v_cmp_ge_u32_e64 s8, v27, v35
	s_mov_b32 s9, exec_lo
                                        ; implicit-def: $vgpr26
	v_cmpx_lt_u32_e64 v27, v35
	s_cbranch_execz .LBB1352_145
; %bb.144:
	v_mov_b32_e32 v28, 0
	s_delay_alu instid0(VALU_DEP_1) | instskip(NEXT) | instid1(VALU_DEP_1)
	v_lshlrev_b64 v[0:1], 2, v[27:28]
	v_add_co_u32 v0, s4, v31, v0
	s_delay_alu instid0(VALU_DEP_1)
	v_add_co_ci_u32_e64 v1, s4, v32, v1, s4
	flat_load_b32 v26, v[0:1]
.LBB1352_145:
	s_or_b32 exec_lo, exec_lo, s9
	s_or_b32 s3, s3, s8
	s_mov_b32 s4, -1
	s_xor_b32 s3, s3, -1
	s_delay_alu instid0(SALU_CYCLE_1)
	s_and_saveexec_b32 s9, s3
	s_cbranch_execz .LBB1352_147
; %bb.146:
	s_waitcnt vmcnt(0) lgkmcnt(0)
	v_dual_add_f32 v0, 0, v26 :: v_dual_add_f32 v1, 0, v3
	s_and_not1_b32 s8, s8, exec_lo
	s_delay_alu instid0(VALU_DEP_1) | instskip(NEXT) | instid1(VALU_DEP_2)
	v_ashrrev_i32_e32 v2, 31, v0
	v_ashrrev_i32_e32 v17, 31, v1
	s_delay_alu instid0(VALU_DEP_2) | instskip(NEXT) | instid1(VALU_DEP_2)
	v_or_b32_e32 v2, 0x80000000, v2
	v_or_b32_e32 v17, 0x80000000, v17
	s_delay_alu instid0(VALU_DEP_2) | instskip(NEXT) | instid1(VALU_DEP_2)
	v_xor_b32_e32 v0, v2, v0
	v_xor_b32_e32 v1, v17, v1
	s_delay_alu instid0(VALU_DEP_1) | instskip(NEXT) | instid1(VALU_DEP_1)
	v_cmp_le_u32_e64 s3, v0, v1
	s_and_b32 s3, s3, exec_lo
	s_delay_alu instid0(SALU_CYCLE_1)
	s_or_b32 s8, s8, s3
.LBB1352_147:
	s_or_b32 exec_lo, exec_lo, s9
	v_cndmask_b32_e64 v0, v27, v25, s8
	v_cndmask_b32_e64 v2, v35, v34, s8
	v_mov_b32_e32 v1, 0
	s_mov_b32 s10, 0
	s_mov_b32 s9, exec_lo
	v_add_nc_u32_e32 v21, 1, v0
	v_add_nc_u32_e32 v2, -1, v2
	v_lshlrev_b64 v[17:18], 3, v[0:1]
	s_delay_alu instid0(VALU_DEP_2) | instskip(SKIP_2) | instid1(VALU_DEP_3)
	v_min_u32_e32 v0, v21, v2
	v_cndmask_b32_e64 v2, v21, v27, s8
	v_cndmask_b32_e64 v21, v25, v21, s8
	v_lshlrev_b64 v[19:20], 2, v[0:1]
	s_delay_alu instid0(VALU_DEP_1) | instskip(NEXT) | instid1(VALU_DEP_1)
	v_add_co_u32 v19, s3, v31, v19
	v_add_co_ci_u32_e64 v20, s3, v32, v20, s3
	v_add_co_u32 v17, s3, v29, v17
	s_delay_alu instid0(VALU_DEP_1)
	v_add_co_ci_u32_e64 v18, s3, v30, v18, s3
	s_clause 0x1
	flat_load_b32 v0, v[19:20]
	flat_load_b64 v[17:18], v[17:18]
	s_waitcnt vmcnt(1) lgkmcnt(1)
	v_cndmask_b32_e64 v25, v0, v26, s8
	v_cndmask_b32_e64 v27, v3, v0, s8
	v_cmpx_lt_u32_e64 v2, v35
	s_cbranch_execz .LBB1352_151
; %bb.148:
	s_mov_b32 s4, exec_lo
	v_cmpx_lt_u32_e64 v21, v34
; %bb.149:
	v_dual_add_f32 v0, 0, v25 :: v_dual_add_f32 v19, 0, v27
	s_delay_alu instid0(VALU_DEP_1) | instskip(NEXT) | instid1(VALU_DEP_2)
	v_ashrrev_i32_e32 v20, 31, v0
	v_ashrrev_i32_e32 v22, 31, v19
	s_delay_alu instid0(VALU_DEP_2) | instskip(NEXT) | instid1(VALU_DEP_2)
	v_or_b32_e32 v20, 0x80000000, v20
	v_or_b32_e32 v22, 0x80000000, v22
	s_delay_alu instid0(VALU_DEP_2) | instskip(NEXT) | instid1(VALU_DEP_2)
	v_xor_b32_e32 v0, v20, v0
	v_xor_b32_e32 v19, v22, v19
	s_delay_alu instid0(VALU_DEP_1) | instskip(NEXT) | instid1(VALU_DEP_1)
	v_cmp_le_u32_e64 s3, v0, v19
	s_and_b32 s10, s3, exec_lo
; %bb.150:
	s_or_b32 exec_lo, exec_lo, s4
	s_delay_alu instid0(SALU_CYCLE_1)
	s_or_not1_b32 s4, s10, exec_lo
.LBB1352_151:
	s_or_b32 exec_lo, exec_lo, s9
	v_cndmask_b32_e64 v0, v2, v21, s4
	v_cndmask_b32_e64 v19, v35, v34, s4
	s_mov_b32 s12, 0
	s_mov_b32 s9, -1
	s_mov_b32 s10, -1
	v_add_nc_u32_e32 v22, 1, v0
	v_add_nc_u32_e32 v23, -1, v19
	v_lshlrev_b64 v[19:20], 3, v[0:1]
	s_mov_b32 s11, exec_lo
	s_delay_alu instid0(VALU_DEP_3) | instskip(NEXT) | instid1(VALU_DEP_3)
	v_cndmask_b32_e64 v24, v21, v22, s4
	v_min_u32_e32 v0, v22, v23
	v_cndmask_b32_e64 v23, v22, v2, s4
	s_delay_alu instid0(VALU_DEP_2) | instskip(NEXT) | instid1(VALU_DEP_1)
	v_lshlrev_b64 v[0:1], 2, v[0:1]
	v_add_co_u32 v0, s3, v31, v0
	s_delay_alu instid0(VALU_DEP_1) | instskip(SKIP_2) | instid1(VALU_DEP_1)
	v_add_co_ci_u32_e64 v1, s3, v32, v1, s3
	flat_load_b32 v28, v[0:1]
	v_add_co_u32 v0, s3, v29, v19
	v_add_co_ci_u32_e64 v1, s3, v30, v20, s3
	flat_load_b64 v[19:20], v[0:1]
	s_waitcnt vmcnt(1) lgkmcnt(1)
	v_cndmask_b32_e64 v2, v28, v25, s4
	v_cndmask_b32_e64 v28, v27, v28, s4
	v_cmpx_lt_u32_e64 v23, v35
	s_cbranch_execz .LBB1352_155
; %bb.152:
	s_mov_b32 s10, exec_lo
	v_cmpx_lt_u32_e64 v24, v34
; %bb.153:
	v_dual_add_f32 v0, 0, v2 :: v_dual_add_f32 v1, 0, v28
	s_delay_alu instid0(VALU_DEP_1) | instskip(NEXT) | instid1(VALU_DEP_2)
	v_ashrrev_i32_e32 v21, 31, v0
	v_ashrrev_i32_e32 v22, 31, v1
	s_delay_alu instid0(VALU_DEP_2) | instskip(NEXT) | instid1(VALU_DEP_2)
	v_or_b32_e32 v21, 0x80000000, v21
	v_or_b32_e32 v22, 0x80000000, v22
	s_delay_alu instid0(VALU_DEP_2) | instskip(NEXT) | instid1(VALU_DEP_2)
	v_xor_b32_e32 v0, v21, v0
	v_xor_b32_e32 v1, v22, v1
	s_delay_alu instid0(VALU_DEP_1) | instskip(NEXT) | instid1(VALU_DEP_1)
	v_cmp_le_u32_e64 s3, v0, v1
	s_and_b32 s12, s3, exec_lo
; %bb.154:
	s_or_b32 exec_lo, exec_lo, s10
	s_delay_alu instid0(SALU_CYCLE_1)
	s_or_not1_b32 s10, s12, exec_lo
.LBB1352_155:
	s_or_b32 exec_lo, exec_lo, s11
	v_cndmask_b32_e64 v0, v23, v24, s10
	v_cndmask_b32_e64 v21, v35, v34, s10
	v_mov_b32_e32 v1, 0
	s_mov_b32 s12, 0
	s_mov_b32 s11, exec_lo
	v_add_nc_u32_e32 v38, 1, v0
	v_add_nc_u32_e32 v36, -1, v21
	v_lshlrev_b64 v[21:22], 3, v[0:1]
	s_delay_alu instid0(VALU_DEP_2) | instskip(NEXT) | instid1(VALU_DEP_1)
	v_min_u32_e32 v0, v38, v36
	v_lshlrev_b64 v[36:37], 2, v[0:1]
	v_cndmask_b32_e64 v0, v38, v23, s10
	v_cndmask_b32_e64 v23, v24, v38, s10
	s_delay_alu instid0(VALU_DEP_3) | instskip(NEXT) | instid1(VALU_DEP_1)
	v_add_co_u32 v36, s3, v31, v36
	v_add_co_ci_u32_e64 v37, s3, v32, v37, s3
	v_add_co_u32 v21, s3, v29, v21
	s_delay_alu instid0(VALU_DEP_1)
	v_add_co_ci_u32_e64 v22, s3, v30, v22, s3
	s_clause 0x1
	flat_load_b32 v37, v[36:37]
	flat_load_b64 v[21:22], v[21:22]
	s_waitcnt vmcnt(1) lgkmcnt(1)
	v_cndmask_b32_e64 v36, v37, v2, s10
	v_cndmask_b32_e64 v37, v28, v37, s10
	v_cmpx_lt_u32_e64 v0, v35
	s_cbranch_execz .LBB1352_159
; %bb.156:
	s_mov_b32 s9, exec_lo
	v_cmpx_lt_u32_e64 v23, v34
; %bb.157:
	v_add_f32_e32 v24, 0, v36
	v_add_f32_e32 v34, 0, v37
	s_delay_alu instid0(VALU_DEP_2) | instskip(NEXT) | instid1(VALU_DEP_2)
	v_ashrrev_i32_e32 v35, 31, v24
	v_ashrrev_i32_e32 v38, 31, v34
	s_delay_alu instid0(VALU_DEP_2) | instskip(NEXT) | instid1(VALU_DEP_2)
	v_or_b32_e32 v35, 0x80000000, v35
	v_or_b32_e32 v38, 0x80000000, v38
	s_delay_alu instid0(VALU_DEP_2) | instskip(NEXT) | instid1(VALU_DEP_2)
	v_xor_b32_e32 v24, v35, v24
	v_xor_b32_e32 v34, v38, v34
	s_delay_alu instid0(VALU_DEP_1) | instskip(NEXT) | instid1(VALU_DEP_1)
	v_cmp_le_u32_e64 s3, v24, v34
	s_and_b32 s12, s3, exec_lo
; %bb.158:
	s_or_b32 exec_lo, exec_lo, s9
	s_delay_alu instid0(SALU_CYCLE_1)
	s_or_not1_b32 s9, s12, exec_lo
.LBB1352_159:
	s_or_b32 exec_lo, exec_lo, s11
	v_cndmask_b32_e64 v0, v0, v23, s9
	v_cndmask_b32_e64 v2, v2, v28, s10
	s_delay_alu instid0(VALU_DEP_2) | instskip(NEXT) | instid1(VALU_DEP_1)
	v_lshlrev_b64 v[0:1], 3, v[0:1]
	v_add_co_u32 v0, s3, v29, v0
	s_delay_alu instid0(VALU_DEP_1)
	v_add_co_ci_u32_e64 v1, s3, v30, v1, s3
	flat_load_b64 v[23:24], v[0:1]
	v_cndmask_b32_e64 v1, v25, v27, s4
	v_cndmask_b32_e64 v0, v26, v3, s8
	;; [unrolled: 1-line block ×3, first 2 shown]
.LBB1352_160:
	s_or_b32 exec_lo, exec_lo, s7
	v_and_b32_e32 v27, 0x70, v80
	v_and_b32_e32 v26, 12, v80
	s_mov_b32 s4, exec_lo
	; wave barrier
	s_delay_alu instid0(VALU_DEP_2) | instskip(NEXT) | instid1(VALU_DEP_2)
	v_or_b32_e32 v25, 8, v27
	v_min_u32_e32 v28, v33, v26
	s_clause 0x1
	flat_store_b128 v[6:7], v[17:20]
	flat_store_b128 v[15:16], v[0:3]
	s_waitcnt vmcnt(0) lgkmcnt(2)
	flat_store_b128 v[6:7], v[21:24] offset:16
	; wave barrier
	v_min_u32_e32 v34, v33, v25
	s_delay_alu instid0(VALU_DEP_1) | instskip(NEXT) | instid1(VALU_DEP_1)
	v_add_nc_u32_e32 v25, 8, v34
	v_min_u32_e32 v35, v33, v25
	v_sub_nc_u32_e32 v25, v34, v27
	s_delay_alu instid0(VALU_DEP_2) | instskip(NEXT) | instid1(VALU_DEP_2)
	v_sub_nc_u32_e32 v26, v35, v34
	v_min_u32_e32 v37, v28, v25
	s_delay_alu instid0(VALU_DEP_2) | instskip(NEXT) | instid1(VALU_DEP_1)
	v_sub_nc_u32_e64 v36, v28, v26 clamp
	v_cmpx_lt_u32_e64 v36, v37
	s_cbranch_execz .LBB1352_164
; %bb.161:
	v_lshlrev_b32_e32 v25, 2, v27
	v_lshlrev_b32_e32 v26, 2, v34
	s_mov_b32 s7, 0
	s_delay_alu instid0(VALU_DEP_2) | instskip(NEXT) | instid1(VALU_DEP_1)
	v_add_co_u32 v38, s3, v31, v25
	v_add_co_ci_u32_e64 v39, s3, 0, v32, s3
	s_delay_alu instid0(VALU_DEP_3)
	v_add_co_u32 v48, s3, v31, v26
	v_mov_b32_e32 v26, 0
	v_add_co_ci_u32_e64 v49, s3, 0, v32, s3
	s_set_inst_prefetch_distance 0x1
	.p2align	6
.LBB1352_162:                           ; =>This Inner Loop Header: Depth=1
	v_add_nc_u32_e32 v25, v37, v36
	s_delay_alu instid0(VALU_DEP_1) | instskip(SKIP_1) | instid1(VALU_DEP_2)
	v_lshrrev_b32_e32 v25, 1, v25
	v_mov_b32_e32 v51, v26
	v_xad_u32 v50, v25, -1, v28
	v_lshlrev_b64 v[52:53], 2, v[25:26]
	s_delay_alu instid0(VALU_DEP_2) | instskip(NEXT) | instid1(VALU_DEP_2)
	v_lshlrev_b64 v[50:51], 2, v[50:51]
	v_add_co_u32 v52, s3, v38, v52
	s_delay_alu instid0(VALU_DEP_1) | instskip(NEXT) | instid1(VALU_DEP_3)
	v_add_co_ci_u32_e64 v53, s3, v39, v53, s3
	v_add_co_u32 v50, s3, v48, v50
	s_delay_alu instid0(VALU_DEP_1)
	v_add_co_ci_u32_e64 v51, s3, v49, v51, s3
	s_clause 0x1
	flat_load_b32 v52, v[52:53]
	flat_load_b32 v50, v[50:51]
	s_waitcnt vmcnt(0) lgkmcnt(0)
	v_dual_add_f32 v51, 0, v52 :: v_dual_add_f32 v50, 0, v50
	s_delay_alu instid0(VALU_DEP_1) | instskip(NEXT) | instid1(VALU_DEP_2)
	v_ashrrev_i32_e32 v52, 31, v51
	v_ashrrev_i32_e32 v53, 31, v50
	s_delay_alu instid0(VALU_DEP_2) | instskip(NEXT) | instid1(VALU_DEP_2)
	v_or_b32_e32 v52, 0x80000000, v52
	v_or_b32_e32 v53, 0x80000000, v53
	s_delay_alu instid0(VALU_DEP_2) | instskip(SKIP_1) | instid1(VALU_DEP_3)
	v_xor_b32_e32 v51, v52, v51
	v_add_nc_u32_e32 v52, 1, v25
	v_xor_b32_e32 v50, v53, v50
	s_delay_alu instid0(VALU_DEP_1) | instskip(NEXT) | instid1(VALU_DEP_1)
	v_cmp_gt_u32_e64 s3, v50, v51
	v_cndmask_b32_e64 v37, v37, v25, s3
	s_delay_alu instid0(VALU_DEP_4) | instskip(NEXT) | instid1(VALU_DEP_1)
	v_cndmask_b32_e64 v36, v52, v36, s3
	v_cmp_ge_u32_e64 s3, v36, v37
	s_delay_alu instid0(VALU_DEP_1) | instskip(NEXT) | instid1(SALU_CYCLE_1)
	s_or_b32 s7, s3, s7
	s_and_not1_b32 exec_lo, exec_lo, s7
	s_cbranch_execnz .LBB1352_162
; %bb.163:
	s_set_inst_prefetch_distance 0x2
	s_or_b32 exec_lo, exec_lo, s7
.LBB1352_164:
	s_delay_alu instid0(SALU_CYCLE_1) | instskip(SKIP_2) | instid1(VALU_DEP_2)
	s_or_b32 exec_lo, exec_lo, s4
	v_add_nc_u32_e32 v26, v34, v28
	v_add_nc_u32_e32 v25, v36, v27
	v_sub_nc_u32_e32 v27, v26, v36
	s_delay_alu instid0(VALU_DEP_2) | instskip(NEXT) | instid1(VALU_DEP_2)
	v_cmp_le_u32_e64 s3, v25, v34
	v_cmp_le_u32_e64 s4, v27, v35
	s_delay_alu instid0(VALU_DEP_1) | instskip(NEXT) | instid1(SALU_CYCLE_1)
	s_or_b32 s3, s3, s4
	s_and_saveexec_b32 s7, s3
	s_cbranch_execz .LBB1352_184
; %bb.165:
	v_cmp_ge_u32_e64 s3, v25, v34
	s_mov_b32 s8, exec_lo
                                        ; implicit-def: $vgpr3
	v_cmpx_lt_u32_e64 v25, v34
	s_cbranch_execz .LBB1352_167
; %bb.166:
	v_mov_b32_e32 v26, 0
	s_delay_alu instid0(VALU_DEP_1) | instskip(NEXT) | instid1(VALU_DEP_1)
	v_lshlrev_b64 v[0:1], 2, v[25:26]
	v_add_co_u32 v0, s4, v31, v0
	s_delay_alu instid0(VALU_DEP_1)
	v_add_co_ci_u32_e64 v1, s4, v32, v1, s4
	flat_load_b32 v3, v[0:1]
.LBB1352_167:
	s_or_b32 exec_lo, exec_lo, s8
	v_cmp_ge_u32_e64 s8, v27, v35
	s_mov_b32 s9, exec_lo
                                        ; implicit-def: $vgpr26
	v_cmpx_lt_u32_e64 v27, v35
	s_cbranch_execz .LBB1352_169
; %bb.168:
	v_mov_b32_e32 v28, 0
	s_delay_alu instid0(VALU_DEP_1) | instskip(NEXT) | instid1(VALU_DEP_1)
	v_lshlrev_b64 v[0:1], 2, v[27:28]
	v_add_co_u32 v0, s4, v31, v0
	s_delay_alu instid0(VALU_DEP_1)
	v_add_co_ci_u32_e64 v1, s4, v32, v1, s4
	flat_load_b32 v26, v[0:1]
.LBB1352_169:
	s_or_b32 exec_lo, exec_lo, s9
	s_or_b32 s3, s3, s8
	s_mov_b32 s4, -1
	s_xor_b32 s3, s3, -1
	s_delay_alu instid0(SALU_CYCLE_1)
	s_and_saveexec_b32 s9, s3
	s_cbranch_execz .LBB1352_171
; %bb.170:
	s_waitcnt vmcnt(0) lgkmcnt(0)
	v_dual_add_f32 v0, 0, v26 :: v_dual_add_f32 v1, 0, v3
	s_and_not1_b32 s8, s8, exec_lo
	s_delay_alu instid0(VALU_DEP_1) | instskip(NEXT) | instid1(VALU_DEP_2)
	v_ashrrev_i32_e32 v2, 31, v0
	v_ashrrev_i32_e32 v17, 31, v1
	s_delay_alu instid0(VALU_DEP_2) | instskip(NEXT) | instid1(VALU_DEP_2)
	v_or_b32_e32 v2, 0x80000000, v2
	v_or_b32_e32 v17, 0x80000000, v17
	s_delay_alu instid0(VALU_DEP_2) | instskip(NEXT) | instid1(VALU_DEP_2)
	v_xor_b32_e32 v0, v2, v0
	v_xor_b32_e32 v1, v17, v1
	s_delay_alu instid0(VALU_DEP_1) | instskip(NEXT) | instid1(VALU_DEP_1)
	v_cmp_le_u32_e64 s3, v0, v1
	s_and_b32 s3, s3, exec_lo
	s_delay_alu instid0(SALU_CYCLE_1)
	s_or_b32 s8, s8, s3
.LBB1352_171:
	s_or_b32 exec_lo, exec_lo, s9
	v_cndmask_b32_e64 v0, v27, v25, s8
	v_cndmask_b32_e64 v2, v35, v34, s8
	v_mov_b32_e32 v1, 0
	s_mov_b32 s10, 0
	s_mov_b32 s9, exec_lo
	v_add_nc_u32_e32 v21, 1, v0
	v_add_nc_u32_e32 v2, -1, v2
	v_lshlrev_b64 v[17:18], 3, v[0:1]
	s_delay_alu instid0(VALU_DEP_2) | instskip(SKIP_2) | instid1(VALU_DEP_3)
	v_min_u32_e32 v0, v21, v2
	v_cndmask_b32_e64 v2, v21, v27, s8
	v_cndmask_b32_e64 v21, v25, v21, s8
	v_lshlrev_b64 v[19:20], 2, v[0:1]
	s_delay_alu instid0(VALU_DEP_1) | instskip(NEXT) | instid1(VALU_DEP_1)
	v_add_co_u32 v19, s3, v31, v19
	v_add_co_ci_u32_e64 v20, s3, v32, v20, s3
	v_add_co_u32 v17, s3, v29, v17
	s_delay_alu instid0(VALU_DEP_1)
	v_add_co_ci_u32_e64 v18, s3, v30, v18, s3
	s_clause 0x1
	flat_load_b32 v0, v[19:20]
	flat_load_b64 v[17:18], v[17:18]
	s_waitcnt vmcnt(1) lgkmcnt(1)
	v_cndmask_b32_e64 v25, v0, v26, s8
	v_cndmask_b32_e64 v27, v3, v0, s8
	v_cmpx_lt_u32_e64 v2, v35
	s_cbranch_execz .LBB1352_175
; %bb.172:
	s_mov_b32 s4, exec_lo
	v_cmpx_lt_u32_e64 v21, v34
; %bb.173:
	v_dual_add_f32 v0, 0, v25 :: v_dual_add_f32 v19, 0, v27
	s_delay_alu instid0(VALU_DEP_1) | instskip(NEXT) | instid1(VALU_DEP_2)
	v_ashrrev_i32_e32 v20, 31, v0
	v_ashrrev_i32_e32 v22, 31, v19
	s_delay_alu instid0(VALU_DEP_2) | instskip(NEXT) | instid1(VALU_DEP_2)
	v_or_b32_e32 v20, 0x80000000, v20
	v_or_b32_e32 v22, 0x80000000, v22
	s_delay_alu instid0(VALU_DEP_2) | instskip(NEXT) | instid1(VALU_DEP_2)
	v_xor_b32_e32 v0, v20, v0
	v_xor_b32_e32 v19, v22, v19
	s_delay_alu instid0(VALU_DEP_1) | instskip(NEXT) | instid1(VALU_DEP_1)
	v_cmp_le_u32_e64 s3, v0, v19
	s_and_b32 s10, s3, exec_lo
; %bb.174:
	s_or_b32 exec_lo, exec_lo, s4
	s_delay_alu instid0(SALU_CYCLE_1)
	s_or_not1_b32 s4, s10, exec_lo
.LBB1352_175:
	s_or_b32 exec_lo, exec_lo, s9
	v_cndmask_b32_e64 v0, v2, v21, s4
	v_cndmask_b32_e64 v19, v35, v34, s4
	s_mov_b32 s12, 0
	s_mov_b32 s9, -1
	s_mov_b32 s10, -1
	v_add_nc_u32_e32 v22, 1, v0
	v_add_nc_u32_e32 v23, -1, v19
	v_lshlrev_b64 v[19:20], 3, v[0:1]
	s_mov_b32 s11, exec_lo
	s_delay_alu instid0(VALU_DEP_3) | instskip(NEXT) | instid1(VALU_DEP_3)
	v_cndmask_b32_e64 v24, v21, v22, s4
	v_min_u32_e32 v0, v22, v23
	v_cndmask_b32_e64 v23, v22, v2, s4
	s_delay_alu instid0(VALU_DEP_2) | instskip(NEXT) | instid1(VALU_DEP_1)
	v_lshlrev_b64 v[0:1], 2, v[0:1]
	v_add_co_u32 v0, s3, v31, v0
	s_delay_alu instid0(VALU_DEP_1) | instskip(SKIP_2) | instid1(VALU_DEP_1)
	v_add_co_ci_u32_e64 v1, s3, v32, v1, s3
	flat_load_b32 v28, v[0:1]
	v_add_co_u32 v0, s3, v29, v19
	v_add_co_ci_u32_e64 v1, s3, v30, v20, s3
	flat_load_b64 v[19:20], v[0:1]
	s_waitcnt vmcnt(1) lgkmcnt(1)
	v_cndmask_b32_e64 v2, v28, v25, s4
	v_cndmask_b32_e64 v28, v27, v28, s4
	v_cmpx_lt_u32_e64 v23, v35
	s_cbranch_execz .LBB1352_179
; %bb.176:
	s_mov_b32 s10, exec_lo
	v_cmpx_lt_u32_e64 v24, v34
; %bb.177:
	v_dual_add_f32 v0, 0, v2 :: v_dual_add_f32 v1, 0, v28
	s_delay_alu instid0(VALU_DEP_1) | instskip(NEXT) | instid1(VALU_DEP_2)
	v_ashrrev_i32_e32 v21, 31, v0
	v_ashrrev_i32_e32 v22, 31, v1
	s_delay_alu instid0(VALU_DEP_2) | instskip(NEXT) | instid1(VALU_DEP_2)
	v_or_b32_e32 v21, 0x80000000, v21
	v_or_b32_e32 v22, 0x80000000, v22
	s_delay_alu instid0(VALU_DEP_2) | instskip(NEXT) | instid1(VALU_DEP_2)
	v_xor_b32_e32 v0, v21, v0
	v_xor_b32_e32 v1, v22, v1
	s_delay_alu instid0(VALU_DEP_1) | instskip(NEXT) | instid1(VALU_DEP_1)
	v_cmp_le_u32_e64 s3, v0, v1
	s_and_b32 s12, s3, exec_lo
; %bb.178:
	s_or_b32 exec_lo, exec_lo, s10
	s_delay_alu instid0(SALU_CYCLE_1)
	s_or_not1_b32 s10, s12, exec_lo
.LBB1352_179:
	s_or_b32 exec_lo, exec_lo, s11
	v_cndmask_b32_e64 v0, v23, v24, s10
	v_cndmask_b32_e64 v21, v35, v34, s10
	v_mov_b32_e32 v1, 0
	s_mov_b32 s12, 0
	s_mov_b32 s11, exec_lo
	v_add_nc_u32_e32 v38, 1, v0
	v_add_nc_u32_e32 v36, -1, v21
	v_lshlrev_b64 v[21:22], 3, v[0:1]
	s_delay_alu instid0(VALU_DEP_2) | instskip(NEXT) | instid1(VALU_DEP_1)
	v_min_u32_e32 v0, v38, v36
	v_lshlrev_b64 v[36:37], 2, v[0:1]
	v_cndmask_b32_e64 v0, v38, v23, s10
	v_cndmask_b32_e64 v23, v24, v38, s10
	s_delay_alu instid0(VALU_DEP_3) | instskip(NEXT) | instid1(VALU_DEP_1)
	v_add_co_u32 v36, s3, v31, v36
	v_add_co_ci_u32_e64 v37, s3, v32, v37, s3
	v_add_co_u32 v21, s3, v29, v21
	s_delay_alu instid0(VALU_DEP_1)
	v_add_co_ci_u32_e64 v22, s3, v30, v22, s3
	s_clause 0x1
	flat_load_b32 v37, v[36:37]
	flat_load_b64 v[21:22], v[21:22]
	s_waitcnt vmcnt(1) lgkmcnt(1)
	v_cndmask_b32_e64 v36, v37, v2, s10
	v_cndmask_b32_e64 v37, v28, v37, s10
	v_cmpx_lt_u32_e64 v0, v35
	s_cbranch_execz .LBB1352_183
; %bb.180:
	s_mov_b32 s9, exec_lo
	v_cmpx_lt_u32_e64 v23, v34
; %bb.181:
	v_add_f32_e32 v24, 0, v36
	v_add_f32_e32 v34, 0, v37
	s_delay_alu instid0(VALU_DEP_2) | instskip(NEXT) | instid1(VALU_DEP_2)
	v_ashrrev_i32_e32 v35, 31, v24
	v_ashrrev_i32_e32 v38, 31, v34
	s_delay_alu instid0(VALU_DEP_2) | instskip(NEXT) | instid1(VALU_DEP_2)
	v_or_b32_e32 v35, 0x80000000, v35
	v_or_b32_e32 v38, 0x80000000, v38
	s_delay_alu instid0(VALU_DEP_2) | instskip(NEXT) | instid1(VALU_DEP_2)
	v_xor_b32_e32 v24, v35, v24
	v_xor_b32_e32 v34, v38, v34
	s_delay_alu instid0(VALU_DEP_1) | instskip(NEXT) | instid1(VALU_DEP_1)
	v_cmp_le_u32_e64 s3, v24, v34
	s_and_b32 s12, s3, exec_lo
; %bb.182:
	s_or_b32 exec_lo, exec_lo, s9
	s_delay_alu instid0(SALU_CYCLE_1)
	s_or_not1_b32 s9, s12, exec_lo
.LBB1352_183:
	s_or_b32 exec_lo, exec_lo, s11
	v_cndmask_b32_e64 v0, v0, v23, s9
	v_cndmask_b32_e64 v2, v2, v28, s10
	s_delay_alu instid0(VALU_DEP_2) | instskip(NEXT) | instid1(VALU_DEP_1)
	v_lshlrev_b64 v[0:1], 3, v[0:1]
	v_add_co_u32 v0, s3, v29, v0
	s_delay_alu instid0(VALU_DEP_1)
	v_add_co_ci_u32_e64 v1, s3, v30, v1, s3
	flat_load_b64 v[23:24], v[0:1]
	v_cndmask_b32_e64 v1, v25, v27, s4
	v_cndmask_b32_e64 v0, v26, v3, s8
	;; [unrolled: 1-line block ×3, first 2 shown]
.LBB1352_184:
	s_or_b32 exec_lo, exec_lo, s7
	v_and_b32_e32 v27, 0x60, v80
	v_min_u32_e32 v28, v33, v70
	s_mov_b32 s4, exec_lo
	; wave barrier
	s_delay_alu instid0(VALU_DEP_2)
	v_or_b32_e32 v25, 16, v27
	s_clause 0x1
	flat_store_b128 v[6:7], v[17:20]
	flat_store_b128 v[15:16], v[0:3]
	s_waitcnt vmcnt(0) lgkmcnt(2)
	flat_store_b128 v[6:7], v[21:24] offset:16
	; wave barrier
	v_min_u32_e32 v25, v33, v25
	s_delay_alu instid0(VALU_DEP_1) | instskip(NEXT) | instid1(VALU_DEP_1)
	v_add_nc_u32_e32 v26, 16, v25
	v_min_u32_e32 v26, v33, v26
	v_sub_nc_u32_e32 v33, v25, v27
	s_delay_alu instid0(VALU_DEP_2) | instskip(NEXT) | instid1(VALU_DEP_2)
	v_sub_nc_u32_e32 v35, v26, v25
	v_min_u32_e32 v34, v28, v33
	s_delay_alu instid0(VALU_DEP_2) | instskip(NEXT) | instid1(VALU_DEP_1)
	v_sub_nc_u32_e64 v33, v28, v35 clamp
	v_cmpx_lt_u32_e64 v33, v34
	s_cbranch_execz .LBB1352_188
; %bb.185:
	v_lshlrev_b32_e32 v6, 2, v27
	v_lshlrev_b32_e32 v7, 2, v25
	s_mov_b32 s7, 0
	s_delay_alu instid0(VALU_DEP_2) | instskip(NEXT) | instid1(VALU_DEP_1)
	v_add_co_u32 v15, s3, v31, v6
	v_add_co_ci_u32_e64 v16, s3, 0, v32, s3
	s_delay_alu instid0(VALU_DEP_3)
	v_add_co_u32 v35, s3, v31, v7
	v_mov_b32_e32 v7, 0
	v_add_co_ci_u32_e64 v36, s3, 0, v32, s3
	s_set_inst_prefetch_distance 0x1
	.p2align	6
.LBB1352_186:                           ; =>This Inner Loop Header: Depth=1
	v_add_nc_u32_e32 v6, v34, v33
	s_delay_alu instid0(VALU_DEP_3) | instskip(NEXT) | instid1(VALU_DEP_2)
	v_mov_b32_e32 v38, v7
	v_lshrrev_b32_e32 v6, 1, v6
	s_delay_alu instid0(VALU_DEP_1) | instskip(SKIP_1) | instid1(VALU_DEP_2)
	v_xad_u32 v37, v6, -1, v28
	v_lshlrev_b64 v[48:49], 2, v[6:7]
	v_lshlrev_b64 v[37:38], 2, v[37:38]
	s_delay_alu instid0(VALU_DEP_2) | instskip(NEXT) | instid1(VALU_DEP_1)
	v_add_co_u32 v48, s3, v15, v48
	v_add_co_ci_u32_e64 v49, s3, v16, v49, s3
	s_delay_alu instid0(VALU_DEP_3) | instskip(NEXT) | instid1(VALU_DEP_1)
	v_add_co_u32 v37, s3, v35, v37
	v_add_co_ci_u32_e64 v38, s3, v36, v38, s3
	s_clause 0x1
	flat_load_b32 v39, v[48:49]
	flat_load_b32 v37, v[37:38]
	s_waitcnt vmcnt(0) lgkmcnt(0)
	v_dual_add_f32 v38, 0, v39 :: v_dual_add_f32 v37, 0, v37
	s_delay_alu instid0(VALU_DEP_1) | instskip(NEXT) | instid1(VALU_DEP_2)
	v_ashrrev_i32_e32 v39, 31, v38
	v_ashrrev_i32_e32 v48, 31, v37
	s_delay_alu instid0(VALU_DEP_2) | instskip(NEXT) | instid1(VALU_DEP_2)
	v_or_b32_e32 v39, 0x80000000, v39
	v_or_b32_e32 v48, 0x80000000, v48
	s_delay_alu instid0(VALU_DEP_2) | instskip(SKIP_1) | instid1(VALU_DEP_3)
	v_xor_b32_e32 v38, v39, v38
	v_add_nc_u32_e32 v39, 1, v6
	v_xor_b32_e32 v37, v48, v37
	s_delay_alu instid0(VALU_DEP_1) | instskip(NEXT) | instid1(VALU_DEP_1)
	v_cmp_gt_u32_e64 s3, v37, v38
	v_cndmask_b32_e64 v34, v34, v6, s3
	s_delay_alu instid0(VALU_DEP_4) | instskip(NEXT) | instid1(VALU_DEP_1)
	v_cndmask_b32_e64 v33, v39, v33, s3
	v_cmp_ge_u32_e64 s3, v33, v34
	s_delay_alu instid0(VALU_DEP_1) | instskip(NEXT) | instid1(SALU_CYCLE_1)
	s_or_b32 s7, s3, s7
	s_and_not1_b32 exec_lo, exec_lo, s7
	s_cbranch_execnz .LBB1352_186
; %bb.187:
	s_set_inst_prefetch_distance 0x2
	s_or_b32 exec_lo, exec_lo, s7
.LBB1352_188:
	s_delay_alu instid0(SALU_CYCLE_1) | instskip(SKIP_2) | instid1(VALU_DEP_2)
	s_or_b32 exec_lo, exec_lo, s4
	v_add_nc_u32_e32 v7, v25, v28
	v_add_nc_u32_e32 v6, v33, v27
	v_sub_nc_u32_e32 v15, v7, v33
	s_delay_alu instid0(VALU_DEP_2) | instskip(NEXT) | instid1(VALU_DEP_2)
	v_cmp_le_u32_e64 s3, v6, v25
	v_cmp_le_u32_e64 s4, v15, v26
	s_delay_alu instid0(VALU_DEP_1) | instskip(NEXT) | instid1(SALU_CYCLE_1)
	s_or_b32 s3, s3, s4
	s_and_saveexec_b32 s7, s3
	s_cbranch_execz .LBB1352_208
; %bb.189:
	v_cmp_ge_u32_e64 s3, v6, v25
	s_mov_b32 s8, exec_lo
                                        ; implicit-def: $vgpr3
	v_cmpx_lt_u32_e64 v6, v25
	s_cbranch_execz .LBB1352_191
; %bb.190:
	v_mov_b32_e32 v7, 0
	s_delay_alu instid0(VALU_DEP_1) | instskip(NEXT) | instid1(VALU_DEP_1)
	v_lshlrev_b64 v[0:1], 2, v[6:7]
	v_add_co_u32 v0, s4, v31, v0
	s_delay_alu instid0(VALU_DEP_1)
	v_add_co_ci_u32_e64 v1, s4, v32, v1, s4
	flat_load_b32 v3, v[0:1]
.LBB1352_191:
	s_or_b32 exec_lo, exec_lo, s8
	v_cmp_ge_u32_e64 s8, v15, v26
	s_mov_b32 s9, exec_lo
                                        ; implicit-def: $vgpr7
	v_cmpx_lt_u32_e64 v15, v26
	s_cbranch_execz .LBB1352_193
; %bb.192:
	v_mov_b32_e32 v16, 0
	s_delay_alu instid0(VALU_DEP_1) | instskip(NEXT) | instid1(VALU_DEP_1)
	v_lshlrev_b64 v[0:1], 2, v[15:16]
	v_add_co_u32 v0, s4, v31, v0
	s_delay_alu instid0(VALU_DEP_1)
	v_add_co_ci_u32_e64 v1, s4, v32, v1, s4
	flat_load_b32 v7, v[0:1]
.LBB1352_193:
	s_or_b32 exec_lo, exec_lo, s9
	s_or_b32 s3, s3, s8
	s_mov_b32 s4, -1
	s_xor_b32 s3, s3, -1
	s_delay_alu instid0(SALU_CYCLE_1)
	s_and_saveexec_b32 s9, s3
	s_cbranch_execz .LBB1352_195
; %bb.194:
	s_waitcnt vmcnt(0) lgkmcnt(0)
	v_add_f32_e32 v0, 0, v7
	v_add_f32_e32 v1, 0, v3
	s_and_not1_b32 s8, s8, exec_lo
	s_delay_alu instid0(VALU_DEP_2) | instskip(NEXT) | instid1(VALU_DEP_2)
	v_ashrrev_i32_e32 v2, 31, v0
	v_ashrrev_i32_e32 v16, 31, v1
	s_delay_alu instid0(VALU_DEP_2) | instskip(NEXT) | instid1(VALU_DEP_2)
	v_or_b32_e32 v2, 0x80000000, v2
	v_or_b32_e32 v16, 0x80000000, v16
	s_delay_alu instid0(VALU_DEP_2) | instskip(NEXT) | instid1(VALU_DEP_2)
	v_xor_b32_e32 v0, v2, v0
	v_xor_b32_e32 v1, v16, v1
	s_delay_alu instid0(VALU_DEP_1) | instskip(NEXT) | instid1(VALU_DEP_1)
	v_cmp_le_u32_e64 s3, v0, v1
	s_and_b32 s3, s3, exec_lo
	s_delay_alu instid0(SALU_CYCLE_1)
	s_or_b32 s8, s8, s3
.LBB1352_195:
	s_or_b32 exec_lo, exec_lo, s9
	v_cndmask_b32_e64 v0, v15, v6, s8
	v_cndmask_b32_e64 v2, v26, v25, s8
	v_mov_b32_e32 v1, 0
	s_mov_b32 s10, 0
	s_mov_b32 s9, exec_lo
	v_add_nc_u32_e32 v20, 1, v0
	v_add_nc_u32_e32 v2, -1, v2
	v_lshlrev_b64 v[16:17], 3, v[0:1]
	s_delay_alu instid0(VALU_DEP_2) | instskip(SKIP_1) | instid1(VALU_DEP_2)
	v_min_u32_e32 v0, v20, v2
	v_cndmask_b32_e64 v2, v20, v15, s8
	v_lshlrev_b64 v[18:19], 2, v[0:1]
	s_delay_alu instid0(VALU_DEP_1) | instskip(NEXT) | instid1(VALU_DEP_1)
	v_add_co_u32 v18, s3, v31, v18
	v_add_co_ci_u32_e64 v19, s3, v32, v19, s3
	v_add_co_u32 v16, s3, v29, v16
	s_delay_alu instid0(VALU_DEP_1)
	v_add_co_ci_u32_e64 v17, s3, v30, v17, s3
	s_clause 0x1
	flat_load_b32 v0, v[18:19]
	flat_load_b64 v[17:18], v[16:17]
	v_cndmask_b32_e64 v16, v6, v20, s8
	s_waitcnt vmcnt(1) lgkmcnt(1)
	v_cndmask_b32_e64 v6, v0, v7, s8
	v_cndmask_b32_e64 v15, v3, v0, s8
	v_cmpx_lt_u32_e64 v2, v26
	s_cbranch_execz .LBB1352_199
; %bb.196:
	s_mov_b32 s4, exec_lo
	v_cmpx_lt_u32_e64 v16, v25
; %bb.197:
	v_dual_add_f32 v0, 0, v6 :: v_dual_add_f32 v19, 0, v15
	s_delay_alu instid0(VALU_DEP_1) | instskip(NEXT) | instid1(VALU_DEP_2)
	v_ashrrev_i32_e32 v20, 31, v0
	v_ashrrev_i32_e32 v21, 31, v19
	s_delay_alu instid0(VALU_DEP_2) | instskip(NEXT) | instid1(VALU_DEP_2)
	v_or_b32_e32 v20, 0x80000000, v20
	v_or_b32_e32 v21, 0x80000000, v21
	s_delay_alu instid0(VALU_DEP_2) | instskip(NEXT) | instid1(VALU_DEP_2)
	v_xor_b32_e32 v0, v20, v0
	v_xor_b32_e32 v19, v21, v19
	s_delay_alu instid0(VALU_DEP_1) | instskip(NEXT) | instid1(VALU_DEP_1)
	v_cmp_le_u32_e64 s3, v0, v19
	s_and_b32 s10, s3, exec_lo
; %bb.198:
	s_or_b32 exec_lo, exec_lo, s4
	s_delay_alu instid0(SALU_CYCLE_1)
	s_or_not1_b32 s4, s10, exec_lo
.LBB1352_199:
	s_or_b32 exec_lo, exec_lo, s9
	v_cndmask_b32_e64 v0, v2, v16, s4
	v_cndmask_b32_e64 v19, v26, v25, s4
	s_mov_b32 s12, 0
	s_mov_b32 s9, -1
	s_mov_b32 s10, -1
	v_add_nc_u32_e32 v21, 1, v0
	v_add_nc_u32_e32 v22, -1, v19
	v_lshlrev_b64 v[19:20], 3, v[0:1]
	s_mov_b32 s11, exec_lo
	s_delay_alu instid0(VALU_DEP_3) | instskip(NEXT) | instid1(VALU_DEP_3)
	v_cndmask_b32_e64 v23, v21, v2, s4
	v_min_u32_e32 v0, v21, v22
	v_cndmask_b32_e64 v24, v16, v21, s4
	s_delay_alu instid0(VALU_DEP_2) | instskip(NEXT) | instid1(VALU_DEP_1)
	v_lshlrev_b64 v[0:1], 2, v[0:1]
	v_add_co_u32 v0, s3, v31, v0
	s_delay_alu instid0(VALU_DEP_1) | instskip(SKIP_2) | instid1(VALU_DEP_1)
	v_add_co_ci_u32_e64 v1, s3, v32, v1, s3
	flat_load_b32 v22, v[0:1]
	v_add_co_u32 v0, s3, v29, v19
	v_add_co_ci_u32_e64 v1, s3, v30, v20, s3
	flat_load_b64 v[19:20], v[0:1]
	s_waitcnt vmcnt(1) lgkmcnt(1)
	v_cndmask_b32_e64 v2, v22, v6, s4
	v_cndmask_b32_e64 v16, v15, v22, s4
	v_cmpx_lt_u32_e64 v23, v26
	s_cbranch_execz .LBB1352_203
; %bb.200:
	s_mov_b32 s10, exec_lo
	v_cmpx_lt_u32_e64 v24, v25
; %bb.201:
	v_dual_add_f32 v0, 0, v2 :: v_dual_add_f32 v1, 0, v16
	s_delay_alu instid0(VALU_DEP_1) | instskip(NEXT) | instid1(VALU_DEP_2)
	v_ashrrev_i32_e32 v21, 31, v0
	v_ashrrev_i32_e32 v22, 31, v1
	s_delay_alu instid0(VALU_DEP_2) | instskip(NEXT) | instid1(VALU_DEP_2)
	v_or_b32_e32 v21, 0x80000000, v21
	v_or_b32_e32 v22, 0x80000000, v22
	s_delay_alu instid0(VALU_DEP_2) | instskip(NEXT) | instid1(VALU_DEP_2)
	v_xor_b32_e32 v0, v21, v0
	v_xor_b32_e32 v1, v22, v1
	s_delay_alu instid0(VALU_DEP_1) | instskip(NEXT) | instid1(VALU_DEP_1)
	v_cmp_le_u32_e64 s3, v0, v1
	s_and_b32 s12, s3, exec_lo
; %bb.202:
	s_or_b32 exec_lo, exec_lo, s10
	s_delay_alu instid0(SALU_CYCLE_1)
	s_or_not1_b32 s10, s12, exec_lo
.LBB1352_203:
	s_or_b32 exec_lo, exec_lo, s11
	v_cndmask_b32_e64 v0, v23, v24, s10
	v_cndmask_b32_e64 v21, v26, v25, s10
	v_mov_b32_e32 v1, 0
	s_mov_b32 s12, 0
	s_mov_b32 s11, exec_lo
	v_add_nc_u32_e32 v33, 1, v0
	v_add_nc_u32_e32 v27, -1, v21
	v_lshlrev_b64 v[21:22], 3, v[0:1]
	s_delay_alu instid0(VALU_DEP_2) | instskip(NEXT) | instid1(VALU_DEP_1)
	v_min_u32_e32 v0, v33, v27
	v_lshlrev_b64 v[27:28], 2, v[0:1]
	v_cndmask_b32_e64 v0, v33, v23, s10
	v_cndmask_b32_e64 v23, v24, v33, s10
	s_delay_alu instid0(VALU_DEP_3) | instskip(NEXT) | instid1(VALU_DEP_1)
	v_add_co_u32 v27, s3, v31, v27
	v_add_co_ci_u32_e64 v28, s3, v32, v28, s3
	v_add_co_u32 v21, s3, v29, v21
	s_delay_alu instid0(VALU_DEP_1)
	v_add_co_ci_u32_e64 v22, s3, v30, v22, s3
	s_clause 0x1
	flat_load_b32 v28, v[27:28]
	flat_load_b64 v[21:22], v[21:22]
	s_waitcnt vmcnt(1) lgkmcnt(1)
	v_cndmask_b32_e64 v27, v28, v2, s10
	v_cndmask_b32_e64 v28, v16, v28, s10
	v_cmpx_lt_u32_e64 v0, v26
	s_cbranch_execz .LBB1352_207
; %bb.204:
	s_mov_b32 s9, exec_lo
	v_cmpx_lt_u32_e64 v23, v25
; %bb.205:
	v_dual_add_f32 v24, 0, v27 :: v_dual_add_f32 v25, 0, v28
	s_delay_alu instid0(VALU_DEP_1) | instskip(NEXT) | instid1(VALU_DEP_2)
	v_ashrrev_i32_e32 v26, 31, v24
	v_ashrrev_i32_e32 v31, 31, v25
	s_delay_alu instid0(VALU_DEP_2) | instskip(NEXT) | instid1(VALU_DEP_2)
	v_or_b32_e32 v26, 0x80000000, v26
	v_or_b32_e32 v31, 0x80000000, v31
	s_delay_alu instid0(VALU_DEP_2) | instskip(NEXT) | instid1(VALU_DEP_2)
	v_xor_b32_e32 v24, v26, v24
	v_xor_b32_e32 v25, v31, v25
	s_delay_alu instid0(VALU_DEP_1) | instskip(NEXT) | instid1(VALU_DEP_1)
	v_cmp_le_u32_e64 s3, v24, v25
	s_and_b32 s12, s3, exec_lo
; %bb.206:
	s_or_b32 exec_lo, exec_lo, s9
	s_delay_alu instid0(SALU_CYCLE_1)
	s_or_not1_b32 s9, s12, exec_lo
.LBB1352_207:
	s_or_b32 exec_lo, exec_lo, s11
	v_cndmask_b32_e64 v0, v0, v23, s9
	v_cndmask_b32_e64 v2, v2, v16, s10
	s_delay_alu instid0(VALU_DEP_2) | instskip(NEXT) | instid1(VALU_DEP_1)
	v_lshlrev_b64 v[0:1], 3, v[0:1]
	v_add_co_u32 v0, s3, v29, v0
	s_delay_alu instid0(VALU_DEP_1)
	v_add_co_ci_u32_e64 v1, s3, v30, v1, s3
	flat_load_b64 v[23:24], v[0:1]
	v_cndmask_b32_e64 v1, v6, v15, s4
	v_cndmask_b32_e64 v0, v7, v3, s8
	;; [unrolled: 1-line block ×3, first 2 shown]
.LBB1352_208:
	s_or_b32 exec_lo, exec_lo, s7
	v_add_co_u32 v4, s3, v4, v68
	s_delay_alu instid0(VALU_DEP_1) | instskip(NEXT) | instid1(VALU_DEP_2)
	v_add_co_ci_u32_e64 v5, s3, v5, v69, s3
	v_add_co_u32 v4, s3, v4, v71
	s_delay_alu instid0(VALU_DEP_1)
	v_add_co_ci_u32_e64 v5, s3, 0, v5, s3
	; wave barrier
	s_waitcnt vmcnt(0) lgkmcnt(0)
	s_waitcnt_vscnt null, 0x0
	s_barrier
	buffer_gl0_inv
	; wave barrier
	s_and_saveexec_b32 s3, vcc_lo
	s_cbranch_execnz .LBB1352_230
; %bb.209:
	s_or_b32 exec_lo, exec_lo, s3
	s_and_saveexec_b32 s3, s1
	s_cbranch_execnz .LBB1352_231
.LBB1352_210:
	s_or_b32 exec_lo, exec_lo, s3
	s_and_saveexec_b32 s3, s2
	s_cbranch_execnz .LBB1352_232
.LBB1352_211:
	s_or_b32 exec_lo, exec_lo, s3
	s_and_saveexec_b32 s3, s0
	s_cbranch_execz .LBB1352_213
.LBB1352_212:
	flat_store_b32 v[4:5], v3 offset:12
.LBB1352_213:
	s_or_b32 exec_lo, exec_lo, s3
	v_add_co_u32 v0, s3, v10, v8
	s_delay_alu instid0(VALU_DEP_1) | instskip(NEXT) | instid1(VALU_DEP_2)
	v_add_co_ci_u32_e64 v1, s3, v11, v9, s3
	v_add_co_u32 v0, s3, v0, v12
	s_delay_alu instid0(VALU_DEP_1)
	v_add_co_ci_u32_e64 v1, s3, 0, v1, s3
	; wave barrier
	s_and_saveexec_b32 s3, vcc_lo
	s_cbranch_execnz .LBB1352_233
; %bb.214:
	s_or_b32 exec_lo, exec_lo, s3
	s_and_saveexec_b32 s3, s1
	s_cbranch_execnz .LBB1352_234
.LBB1352_215:
	s_or_b32 exec_lo, exec_lo, s3
	s_and_saveexec_b32 s1, s2
	s_cbranch_execz .LBB1352_217
.LBB1352_216:
	flat_store_b64 v[0:1], v[21:22] offset:16
.LBB1352_217:
	s_or_b32 exec_lo, exec_lo, s1
	v_dual_mov_b32 v8, v10 :: v_dual_mov_b32 v9, v11
	s_and_not1_b32 s1, s5, exec_lo
	s_and_b32 s0, s0, exec_lo
	s_delay_alu instid0(SALU_CYCLE_1)
	s_or_b32 s5, s1, s0
	s_or_b32 exec_lo, exec_lo, s6
	s_and_saveexec_b32 s0, s5
	s_cbranch_execz .LBB1352_3
.LBB1352_218:
	v_lshlrev_b64 v[0:1], 3, v[13:14]
	v_lshlrev_b32_e32 v2, 3, v70
	s_delay_alu instid0(VALU_DEP_2) | instskip(NEXT) | instid1(VALU_DEP_3)
	v_add_co_u32 v0, vcc_lo, v8, v0
	v_add_co_ci_u32_e32 v1, vcc_lo, v9, v1, vcc_lo
	s_delay_alu instid0(VALU_DEP_2) | instskip(NEXT) | instid1(VALU_DEP_2)
	v_add_co_u32 v0, vcc_lo, v0, v2
	v_add_co_ci_u32_e32 v1, vcc_lo, 0, v1, vcc_lo
	flat_store_b64 v[0:1], v[23:24] offset:24
	s_or_b32 exec_lo, exec_lo, s0
	s_waitcnt lgkmcnt(0)
	s_setpc_b64 s[30:31]
.LBB1352_219:
	flat_load_b64 v[17:18], v[4:5]
	s_or_b32 exec_lo, exec_lo, s3
	s_and_saveexec_b32 s3, s0
	s_cbranch_execz .LBB1352_14
.LBB1352_220:
	flat_load_b64 v[19:20], v[4:5] offset:8
	s_or_b32 exec_lo, exec_lo, s3
	s_and_saveexec_b32 s3, s1
	s_cbranch_execz .LBB1352_15
.LBB1352_221:
	flat_load_b64 v[21:22], v[4:5] offset:16
	s_or_b32 exec_lo, exec_lo, s3
	s_and_saveexec_b32 s3, s2
	s_cbranch_execnz .LBB1352_16
	s_branch .LBB1352_17
.LBB1352_222:
	flat_store_b32 v[2:3], v64
	s_or_b32 exec_lo, exec_lo, s3
	s_and_saveexec_b32 s3, s0
	s_cbranch_execz .LBB1352_103
.LBB1352_223:
	flat_store_b32 v[2:3], v65 offset:4
	s_or_b32 exec_lo, exec_lo, s3
	s_and_saveexec_b32 s3, s1
	s_cbranch_execz .LBB1352_104
.LBB1352_224:
	flat_store_b32 v[2:3], v66 offset:8
	s_or_b32 exec_lo, exec_lo, s3
	s_and_saveexec_b32 s3, s2
	s_cbranch_execnz .LBB1352_105
	s_branch .LBB1352_106
.LBB1352_225:
	flat_store_b64 v[0:1], v[17:18]
	s_or_b32 exec_lo, exec_lo, s3
	s_and_saveexec_b32 s3, s0
	s_cbranch_execz .LBB1352_108
.LBB1352_226:
	flat_store_b64 v[0:1], v[19:20] offset:8
	s_or_b32 exec_lo, exec_lo, s3
	s_and_saveexec_b32 s0, s1
	s_cbranch_execnz .LBB1352_109
	s_branch .LBB1352_110
.LBB1352_227:
	flat_load_b64 v[17:18], v[6:7]
	s_or_b32 exec_lo, exec_lo, s3
	s_and_saveexec_b32 s3, s1
	s_cbranch_execz .LBB1352_121
.LBB1352_228:
	flat_load_b64 v[19:20], v[6:7] offset:8
	s_or_b32 exec_lo, exec_lo, s3
	s_and_saveexec_b32 s3, s2
	s_cbranch_execz .LBB1352_122
.LBB1352_229:
	flat_load_b64 v[21:22], v[6:7] offset:16
	s_or_b32 exec_lo, exec_lo, s3
	s_and_saveexec_b32 s3, s0
	s_cbranch_execnz .LBB1352_123
	s_branch .LBB1352_124
.LBB1352_230:
	flat_store_b32 v[4:5], v0
	s_or_b32 exec_lo, exec_lo, s3
	s_and_saveexec_b32 s3, s1
	s_cbranch_execz .LBB1352_210
.LBB1352_231:
	flat_store_b32 v[4:5], v1 offset:4
	s_or_b32 exec_lo, exec_lo, s3
	s_and_saveexec_b32 s3, s2
	s_cbranch_execz .LBB1352_211
.LBB1352_232:
	flat_store_b32 v[4:5], v2 offset:8
	s_or_b32 exec_lo, exec_lo, s3
	s_and_saveexec_b32 s3, s0
	s_cbranch_execnz .LBB1352_212
	s_branch .LBB1352_213
.LBB1352_233:
	flat_store_b64 v[0:1], v[17:18]
	s_or_b32 exec_lo, exec_lo, s3
	s_and_saveexec_b32 s3, s1
	s_cbranch_execz .LBB1352_215
.LBB1352_234:
	flat_store_b64 v[0:1], v[19:20] offset:8
	s_or_b32 exec_lo, exec_lo, s3
	s_and_saveexec_b32 s1, s2
	s_cbranch_execnz .LBB1352_216
	s_branch .LBB1352_217
.Lfunc_end1352:
	.size	_ZN7rocprim17ROCPRIM_400000_NS6detail26segmented_warp_sort_helperINS1_20WarpSortHelperConfigILj8ELj4ELj256EEEflLi256ELb1EvE4sortIPKfPfPKlPlEEvT_S9_T0_T1_SC_T2_bjjjjRNS5_12storage_typeE, .Lfunc_end1352-_ZN7rocprim17ROCPRIM_400000_NS6detail26segmented_warp_sort_helperINS1_20WarpSortHelperConfigILj8ELj4ELj256EEEflLi256ELb1EvE4sortIPKfPfPKlPlEEvT_S9_T0_T1_SC_T2_bjjjjRNS5_12storage_typeE
                                        ; -- End function
	.section	.AMDGPU.csdata,"",@progbits
; Function info:
; codeLenInByte = 13096
; NumSgprs: 34
; NumVgprs: 83
; ScratchSize: 0
; MemoryBound: 1
	.section	.text._ZN7rocprim17ROCPRIM_400000_NS6detail17trampoline_kernelINS0_14default_configENS1_36segmented_radix_sort_config_selectorIflEEZNS1_25segmented_radix_sort_implIS3_Lb1EPKfPfPKlPlN2at6native12_GLOBAL__N_18offset_tEEE10hipError_tPvRmT1_PNSt15iterator_traitsISK_E10value_typeET2_T3_PNSL_ISQ_E10value_typeET4_jRbjT5_SW_jjP12ihipStream_tbEUlT_E1_NS1_11comp_targetILNS1_3genE9ELNS1_11target_archE1100ELNS1_3gpuE3ELNS1_3repE0EEENS1_59segmented_radix_sort_warp_sort_small_config_static_selectorELNS0_4arch9wavefront6targetE0EEEvSK_,"axG",@progbits,_ZN7rocprim17ROCPRIM_400000_NS6detail17trampoline_kernelINS0_14default_configENS1_36segmented_radix_sort_config_selectorIflEEZNS1_25segmented_radix_sort_implIS3_Lb1EPKfPfPKlPlN2at6native12_GLOBAL__N_18offset_tEEE10hipError_tPvRmT1_PNSt15iterator_traitsISK_E10value_typeET2_T3_PNSL_ISQ_E10value_typeET4_jRbjT5_SW_jjP12ihipStream_tbEUlT_E1_NS1_11comp_targetILNS1_3genE9ELNS1_11target_archE1100ELNS1_3gpuE3ELNS1_3repE0EEENS1_59segmented_radix_sort_warp_sort_small_config_static_selectorELNS0_4arch9wavefront6targetE0EEEvSK_,comdat
	.globl	_ZN7rocprim17ROCPRIM_400000_NS6detail17trampoline_kernelINS0_14default_configENS1_36segmented_radix_sort_config_selectorIflEEZNS1_25segmented_radix_sort_implIS3_Lb1EPKfPfPKlPlN2at6native12_GLOBAL__N_18offset_tEEE10hipError_tPvRmT1_PNSt15iterator_traitsISK_E10value_typeET2_T3_PNSL_ISQ_E10value_typeET4_jRbjT5_SW_jjP12ihipStream_tbEUlT_E1_NS1_11comp_targetILNS1_3genE9ELNS1_11target_archE1100ELNS1_3gpuE3ELNS1_3repE0EEENS1_59segmented_radix_sort_warp_sort_small_config_static_selectorELNS0_4arch9wavefront6targetE0EEEvSK_ ; -- Begin function _ZN7rocprim17ROCPRIM_400000_NS6detail17trampoline_kernelINS0_14default_configENS1_36segmented_radix_sort_config_selectorIflEEZNS1_25segmented_radix_sort_implIS3_Lb1EPKfPfPKlPlN2at6native12_GLOBAL__N_18offset_tEEE10hipError_tPvRmT1_PNSt15iterator_traitsISK_E10value_typeET2_T3_PNSL_ISQ_E10value_typeET4_jRbjT5_SW_jjP12ihipStream_tbEUlT_E1_NS1_11comp_targetILNS1_3genE9ELNS1_11target_archE1100ELNS1_3gpuE3ELNS1_3repE0EEENS1_59segmented_radix_sort_warp_sort_small_config_static_selectorELNS0_4arch9wavefront6targetE0EEEvSK_
	.p2align	8
	.type	_ZN7rocprim17ROCPRIM_400000_NS6detail17trampoline_kernelINS0_14default_configENS1_36segmented_radix_sort_config_selectorIflEEZNS1_25segmented_radix_sort_implIS3_Lb1EPKfPfPKlPlN2at6native12_GLOBAL__N_18offset_tEEE10hipError_tPvRmT1_PNSt15iterator_traitsISK_E10value_typeET2_T3_PNSL_ISQ_E10value_typeET4_jRbjT5_SW_jjP12ihipStream_tbEUlT_E1_NS1_11comp_targetILNS1_3genE9ELNS1_11target_archE1100ELNS1_3gpuE3ELNS1_3repE0EEENS1_59segmented_radix_sort_warp_sort_small_config_static_selectorELNS0_4arch9wavefront6targetE0EEEvSK_,@function
_ZN7rocprim17ROCPRIM_400000_NS6detail17trampoline_kernelINS0_14default_configENS1_36segmented_radix_sort_config_selectorIflEEZNS1_25segmented_radix_sort_implIS3_Lb1EPKfPfPKlPlN2at6native12_GLOBAL__N_18offset_tEEE10hipError_tPvRmT1_PNSt15iterator_traitsISK_E10value_typeET2_T3_PNSL_ISQ_E10value_typeET4_jRbjT5_SW_jjP12ihipStream_tbEUlT_E1_NS1_11comp_targetILNS1_3genE9ELNS1_11target_archE1100ELNS1_3gpuE3ELNS1_3repE0EEENS1_59segmented_radix_sort_warp_sort_small_config_static_selectorELNS0_4arch9wavefront6targetE0EEEvSK_: ; @_ZN7rocprim17ROCPRIM_400000_NS6detail17trampoline_kernelINS0_14default_configENS1_36segmented_radix_sort_config_selectorIflEEZNS1_25segmented_radix_sort_implIS3_Lb1EPKfPfPKlPlN2at6native12_GLOBAL__N_18offset_tEEE10hipError_tPvRmT1_PNSt15iterator_traitsISK_E10value_typeET2_T3_PNSL_ISQ_E10value_typeET4_jRbjT5_SW_jjP12ihipStream_tbEUlT_E1_NS1_11comp_targetILNS1_3genE9ELNS1_11target_archE1100ELNS1_3gpuE3ELNS1_3repE0EEENS1_59segmented_radix_sort_warp_sort_small_config_static_selectorELNS0_4arch9wavefront6targetE0EEEvSK_
; %bb.0:
	s_load_b32 s2, s[0:1], 0x64
	v_bfe_u32 v1, v0, 10, 10
	v_bfe_u32 v2, v0, 20, 10
	s_mov_b32 s32, 0
	s_waitcnt lgkmcnt(0)
	s_lshr_b32 s3, s2, 16
	s_and_b32 s2, s2, 0xffff
	v_mad_u32_u24 v4, v2, s3, v1
	v_and_b32_e32 v1, 0x3ff, v0
	s_load_b32 s3, s[0:1], 0x34
	s_delay_alu instid0(VALU_DEP_1) | instskip(SKIP_1) | instid1(VALU_DEP_1)
	v_mad_u64_u32 v[2:3], null, v4, s2, v[1:2]
	s_mov_b32 s2, exec_lo
	v_lshrrev_b32_e32 v1, 3, v2
	s_delay_alu instid0(VALU_DEP_1) | instskip(SKIP_1) | instid1(VALU_DEP_1)
	v_lshl_add_u32 v1, s14, 5, v1
	s_waitcnt lgkmcnt(0)
	v_cmpx_gt_u32_e64 s3, v1
	s_cbranch_execz .LBB1353_3
; %bb.1:
	s_clause 0x1
	s_load_b64 s[2:3], s[0:1], 0x38
	s_load_b128 s[4:7], s[0:1], 0x40
	v_mov_b32_e32 v2, 0
	s_delay_alu instid0(VALU_DEP_1) | instskip(SKIP_1) | instid1(VALU_DEP_1)
	v_lshlrev_b64 v[1:2], 2, v[1:2]
	s_waitcnt lgkmcnt(0)
	v_sub_co_u32 v1, vcc_lo, s2, v1
	s_delay_alu instid0(VALU_DEP_2) | instskip(SKIP_4) | instid1(VALU_DEP_2)
	v_sub_co_ci_u32_e32 v2, vcc_lo, s3, v2, vcc_lo
	global_load_b32 v1, v[1:2], off offset:-4
	s_waitcnt vmcnt(0)
	v_add_nc_u32_e32 v2, s5, v1
	v_add_nc_u32_e32 v1, s7, v1
	v_mul_lo_u32 v13, v2, s4
	s_delay_alu instid0(VALU_DEP_2) | instskip(NEXT) | instid1(VALU_DEP_1)
	v_mul_lo_u32 v14, v1, s6
	v_cmp_gt_u32_e32 vcc_lo, v14, v13
	s_and_b32 exec_lo, exec_lo, vcc_lo
	s_cbranch_execz .LBB1353_3
; %bb.2:
	s_clause 0x2
	s_load_b32 s10, s[0:1], 0x30
	s_load_b256 s[16:23], s[0:1], 0x0
	s_load_b128 s[4:7], s[0:1], 0x20
	s_add_u32 s8, s0, 0x58
	s_addc_u32 s9, s1, 0
	s_mov_b64 s[2:3], src_shared_base
	s_getpc_b64 s[0:1]
	s_add_u32 s0, s0, _ZN7rocprim17ROCPRIM_400000_NS6detail26segmented_warp_sort_helperINS1_20WarpSortHelperConfigILj8ELj4ELj256EEEflLi256ELb1EvE4sortIPKfPfPKlPlEEvT_S9_T0_T1_SC_T2_bjjjjRNS5_12storage_typeE@rel32@lo+4
	s_addc_u32 s1, s1, _ZN7rocprim17ROCPRIM_400000_NS6detail26segmented_warp_sort_helperINS1_20WarpSortHelperConfigILj8ELj4ELj256EEEflLi256ELb1EvE4sortIPKfPfPKlPlEEvT_S9_T0_T1_SC_T2_bjjjjRNS5_12storage_typeE@rel32@hi+12
	v_mov_b32_e32 v31, v0
	v_dual_mov_b32 v15, 0 :: v_dual_mov_b32 v16, s3
	s_mov_b32 s12, s14
	s_mov_b32 s13, s15
	s_waitcnt lgkmcnt(0)
	s_and_b32 s2, s10, 1
	v_dual_mov_b32 v0, s16 :: v_dual_mov_b32 v1, s17
	v_dual_mov_b32 v2, s18 :: v_dual_mov_b32 v3, s19
	;; [unrolled: 1-line block ×6, first 2 shown]
	v_mov_b32_e32 v12, s2
	s_swappc_b64 s[30:31], s[0:1]
.LBB1353_3:
	s_endpgm
	.section	.rodata,"a",@progbits
	.p2align	6, 0x0
	.amdhsa_kernel _ZN7rocprim17ROCPRIM_400000_NS6detail17trampoline_kernelINS0_14default_configENS1_36segmented_radix_sort_config_selectorIflEEZNS1_25segmented_radix_sort_implIS3_Lb1EPKfPfPKlPlN2at6native12_GLOBAL__N_18offset_tEEE10hipError_tPvRmT1_PNSt15iterator_traitsISK_E10value_typeET2_T3_PNSL_ISQ_E10value_typeET4_jRbjT5_SW_jjP12ihipStream_tbEUlT_E1_NS1_11comp_targetILNS1_3genE9ELNS1_11target_archE1100ELNS1_3gpuE3ELNS1_3repE0EEENS1_59segmented_radix_sort_warp_sort_small_config_static_selectorELNS0_4arch9wavefront6targetE0EEEvSK_
		.amdhsa_group_segment_fixed_size 12288
		.amdhsa_private_segment_fixed_size 0
		.amdhsa_kernarg_size 344
		.amdhsa_user_sgpr_count 14
		.amdhsa_user_sgpr_dispatch_ptr 0
		.amdhsa_user_sgpr_queue_ptr 0
		.amdhsa_user_sgpr_kernarg_segment_ptr 1
		.amdhsa_user_sgpr_dispatch_id 0
		.amdhsa_user_sgpr_private_segment_size 0
		.amdhsa_wavefront_size32 1
		.amdhsa_uses_dynamic_stack 0
		.amdhsa_enable_private_segment 0
		.amdhsa_system_sgpr_workgroup_id_x 1
		.amdhsa_system_sgpr_workgroup_id_y 1
		.amdhsa_system_sgpr_workgroup_id_z 0
		.amdhsa_system_sgpr_workgroup_info 0
		.amdhsa_system_vgpr_workitem_id 2
		.amdhsa_next_free_vgpr 83
		.amdhsa_next_free_sgpr 33
		.amdhsa_reserve_vcc 1
		.amdhsa_float_round_mode_32 0
		.amdhsa_float_round_mode_16_64 0
		.amdhsa_float_denorm_mode_32 3
		.amdhsa_float_denorm_mode_16_64 3
		.amdhsa_dx10_clamp 1
		.amdhsa_ieee_mode 1
		.amdhsa_fp16_overflow 0
		.amdhsa_workgroup_processor_mode 1
		.amdhsa_memory_ordered 1
		.amdhsa_forward_progress 0
		.amdhsa_shared_vgpr_count 0
		.amdhsa_exception_fp_ieee_invalid_op 0
		.amdhsa_exception_fp_denorm_src 0
		.amdhsa_exception_fp_ieee_div_zero 0
		.amdhsa_exception_fp_ieee_overflow 0
		.amdhsa_exception_fp_ieee_underflow 0
		.amdhsa_exception_fp_ieee_inexact 0
		.amdhsa_exception_int_div_zero 0
	.end_amdhsa_kernel
	.section	.text._ZN7rocprim17ROCPRIM_400000_NS6detail17trampoline_kernelINS0_14default_configENS1_36segmented_radix_sort_config_selectorIflEEZNS1_25segmented_radix_sort_implIS3_Lb1EPKfPfPKlPlN2at6native12_GLOBAL__N_18offset_tEEE10hipError_tPvRmT1_PNSt15iterator_traitsISK_E10value_typeET2_T3_PNSL_ISQ_E10value_typeET4_jRbjT5_SW_jjP12ihipStream_tbEUlT_E1_NS1_11comp_targetILNS1_3genE9ELNS1_11target_archE1100ELNS1_3gpuE3ELNS1_3repE0EEENS1_59segmented_radix_sort_warp_sort_small_config_static_selectorELNS0_4arch9wavefront6targetE0EEEvSK_,"axG",@progbits,_ZN7rocprim17ROCPRIM_400000_NS6detail17trampoline_kernelINS0_14default_configENS1_36segmented_radix_sort_config_selectorIflEEZNS1_25segmented_radix_sort_implIS3_Lb1EPKfPfPKlPlN2at6native12_GLOBAL__N_18offset_tEEE10hipError_tPvRmT1_PNSt15iterator_traitsISK_E10value_typeET2_T3_PNSL_ISQ_E10value_typeET4_jRbjT5_SW_jjP12ihipStream_tbEUlT_E1_NS1_11comp_targetILNS1_3genE9ELNS1_11target_archE1100ELNS1_3gpuE3ELNS1_3repE0EEENS1_59segmented_radix_sort_warp_sort_small_config_static_selectorELNS0_4arch9wavefront6targetE0EEEvSK_,comdat
.Lfunc_end1353:
	.size	_ZN7rocprim17ROCPRIM_400000_NS6detail17trampoline_kernelINS0_14default_configENS1_36segmented_radix_sort_config_selectorIflEEZNS1_25segmented_radix_sort_implIS3_Lb1EPKfPfPKlPlN2at6native12_GLOBAL__N_18offset_tEEE10hipError_tPvRmT1_PNSt15iterator_traitsISK_E10value_typeET2_T3_PNSL_ISQ_E10value_typeET4_jRbjT5_SW_jjP12ihipStream_tbEUlT_E1_NS1_11comp_targetILNS1_3genE9ELNS1_11target_archE1100ELNS1_3gpuE3ELNS1_3repE0EEENS1_59segmented_radix_sort_warp_sort_small_config_static_selectorELNS0_4arch9wavefront6targetE0EEEvSK_, .Lfunc_end1353-_ZN7rocprim17ROCPRIM_400000_NS6detail17trampoline_kernelINS0_14default_configENS1_36segmented_radix_sort_config_selectorIflEEZNS1_25segmented_radix_sort_implIS3_Lb1EPKfPfPKlPlN2at6native12_GLOBAL__N_18offset_tEEE10hipError_tPvRmT1_PNSt15iterator_traitsISK_E10value_typeET2_T3_PNSL_ISQ_E10value_typeET4_jRbjT5_SW_jjP12ihipStream_tbEUlT_E1_NS1_11comp_targetILNS1_3genE9ELNS1_11target_archE1100ELNS1_3gpuE3ELNS1_3repE0EEENS1_59segmented_radix_sort_warp_sort_small_config_static_selectorELNS0_4arch9wavefront6targetE0EEEvSK_
                                        ; -- End function
	.section	.AMDGPU.csdata,"",@progbits
; Kernel info:
; codeLenInByte = 376
; NumSgprs: 35
; NumVgprs: 83
; ScratchSize: 0
; MemoryBound: 0
; FloatMode: 240
; IeeeMode: 1
; LDSByteSize: 12288 bytes/workgroup (compile time only)
; SGPRBlocks: 4
; VGPRBlocks: 10
; NumSGPRsForWavesPerEU: 35
; NumVGPRsForWavesPerEU: 83
; Occupancy: 16
; WaveLimiterHint : 0
; COMPUTE_PGM_RSRC2:SCRATCH_EN: 0
; COMPUTE_PGM_RSRC2:USER_SGPR: 14
; COMPUTE_PGM_RSRC2:TRAP_HANDLER: 0
; COMPUTE_PGM_RSRC2:TGID_X_EN: 1
; COMPUTE_PGM_RSRC2:TGID_Y_EN: 1
; COMPUTE_PGM_RSRC2:TGID_Z_EN: 0
; COMPUTE_PGM_RSRC2:TIDIG_COMP_CNT: 2
	.section	.text._ZN7rocprim17ROCPRIM_400000_NS6detail17trampoline_kernelINS0_14default_configENS1_36segmented_radix_sort_config_selectorIflEEZNS1_25segmented_radix_sort_implIS3_Lb1EPKfPfPKlPlN2at6native12_GLOBAL__N_18offset_tEEE10hipError_tPvRmT1_PNSt15iterator_traitsISK_E10value_typeET2_T3_PNSL_ISQ_E10value_typeET4_jRbjT5_SW_jjP12ihipStream_tbEUlT_E1_NS1_11comp_targetILNS1_3genE8ELNS1_11target_archE1030ELNS1_3gpuE2ELNS1_3repE0EEENS1_59segmented_radix_sort_warp_sort_small_config_static_selectorELNS0_4arch9wavefront6targetE0EEEvSK_,"axG",@progbits,_ZN7rocprim17ROCPRIM_400000_NS6detail17trampoline_kernelINS0_14default_configENS1_36segmented_radix_sort_config_selectorIflEEZNS1_25segmented_radix_sort_implIS3_Lb1EPKfPfPKlPlN2at6native12_GLOBAL__N_18offset_tEEE10hipError_tPvRmT1_PNSt15iterator_traitsISK_E10value_typeET2_T3_PNSL_ISQ_E10value_typeET4_jRbjT5_SW_jjP12ihipStream_tbEUlT_E1_NS1_11comp_targetILNS1_3genE8ELNS1_11target_archE1030ELNS1_3gpuE2ELNS1_3repE0EEENS1_59segmented_radix_sort_warp_sort_small_config_static_selectorELNS0_4arch9wavefront6targetE0EEEvSK_,comdat
	.globl	_ZN7rocprim17ROCPRIM_400000_NS6detail17trampoline_kernelINS0_14default_configENS1_36segmented_radix_sort_config_selectorIflEEZNS1_25segmented_radix_sort_implIS3_Lb1EPKfPfPKlPlN2at6native12_GLOBAL__N_18offset_tEEE10hipError_tPvRmT1_PNSt15iterator_traitsISK_E10value_typeET2_T3_PNSL_ISQ_E10value_typeET4_jRbjT5_SW_jjP12ihipStream_tbEUlT_E1_NS1_11comp_targetILNS1_3genE8ELNS1_11target_archE1030ELNS1_3gpuE2ELNS1_3repE0EEENS1_59segmented_radix_sort_warp_sort_small_config_static_selectorELNS0_4arch9wavefront6targetE0EEEvSK_ ; -- Begin function _ZN7rocprim17ROCPRIM_400000_NS6detail17trampoline_kernelINS0_14default_configENS1_36segmented_radix_sort_config_selectorIflEEZNS1_25segmented_radix_sort_implIS3_Lb1EPKfPfPKlPlN2at6native12_GLOBAL__N_18offset_tEEE10hipError_tPvRmT1_PNSt15iterator_traitsISK_E10value_typeET2_T3_PNSL_ISQ_E10value_typeET4_jRbjT5_SW_jjP12ihipStream_tbEUlT_E1_NS1_11comp_targetILNS1_3genE8ELNS1_11target_archE1030ELNS1_3gpuE2ELNS1_3repE0EEENS1_59segmented_radix_sort_warp_sort_small_config_static_selectorELNS0_4arch9wavefront6targetE0EEEvSK_
	.p2align	8
	.type	_ZN7rocprim17ROCPRIM_400000_NS6detail17trampoline_kernelINS0_14default_configENS1_36segmented_radix_sort_config_selectorIflEEZNS1_25segmented_radix_sort_implIS3_Lb1EPKfPfPKlPlN2at6native12_GLOBAL__N_18offset_tEEE10hipError_tPvRmT1_PNSt15iterator_traitsISK_E10value_typeET2_T3_PNSL_ISQ_E10value_typeET4_jRbjT5_SW_jjP12ihipStream_tbEUlT_E1_NS1_11comp_targetILNS1_3genE8ELNS1_11target_archE1030ELNS1_3gpuE2ELNS1_3repE0EEENS1_59segmented_radix_sort_warp_sort_small_config_static_selectorELNS0_4arch9wavefront6targetE0EEEvSK_,@function
_ZN7rocprim17ROCPRIM_400000_NS6detail17trampoline_kernelINS0_14default_configENS1_36segmented_radix_sort_config_selectorIflEEZNS1_25segmented_radix_sort_implIS3_Lb1EPKfPfPKlPlN2at6native12_GLOBAL__N_18offset_tEEE10hipError_tPvRmT1_PNSt15iterator_traitsISK_E10value_typeET2_T3_PNSL_ISQ_E10value_typeET4_jRbjT5_SW_jjP12ihipStream_tbEUlT_E1_NS1_11comp_targetILNS1_3genE8ELNS1_11target_archE1030ELNS1_3gpuE2ELNS1_3repE0EEENS1_59segmented_radix_sort_warp_sort_small_config_static_selectorELNS0_4arch9wavefront6targetE0EEEvSK_: ; @_ZN7rocprim17ROCPRIM_400000_NS6detail17trampoline_kernelINS0_14default_configENS1_36segmented_radix_sort_config_selectorIflEEZNS1_25segmented_radix_sort_implIS3_Lb1EPKfPfPKlPlN2at6native12_GLOBAL__N_18offset_tEEE10hipError_tPvRmT1_PNSt15iterator_traitsISK_E10value_typeET2_T3_PNSL_ISQ_E10value_typeET4_jRbjT5_SW_jjP12ihipStream_tbEUlT_E1_NS1_11comp_targetILNS1_3genE8ELNS1_11target_archE1030ELNS1_3gpuE2ELNS1_3repE0EEENS1_59segmented_radix_sort_warp_sort_small_config_static_selectorELNS0_4arch9wavefront6targetE0EEEvSK_
; %bb.0:
	.section	.rodata,"a",@progbits
	.p2align	6, 0x0
	.amdhsa_kernel _ZN7rocprim17ROCPRIM_400000_NS6detail17trampoline_kernelINS0_14default_configENS1_36segmented_radix_sort_config_selectorIflEEZNS1_25segmented_radix_sort_implIS3_Lb1EPKfPfPKlPlN2at6native12_GLOBAL__N_18offset_tEEE10hipError_tPvRmT1_PNSt15iterator_traitsISK_E10value_typeET2_T3_PNSL_ISQ_E10value_typeET4_jRbjT5_SW_jjP12ihipStream_tbEUlT_E1_NS1_11comp_targetILNS1_3genE8ELNS1_11target_archE1030ELNS1_3gpuE2ELNS1_3repE0EEENS1_59segmented_radix_sort_warp_sort_small_config_static_selectorELNS0_4arch9wavefront6targetE0EEEvSK_
		.amdhsa_group_segment_fixed_size 0
		.amdhsa_private_segment_fixed_size 0
		.amdhsa_kernarg_size 88
		.amdhsa_user_sgpr_count 15
		.amdhsa_user_sgpr_dispatch_ptr 0
		.amdhsa_user_sgpr_queue_ptr 0
		.amdhsa_user_sgpr_kernarg_segment_ptr 1
		.amdhsa_user_sgpr_dispatch_id 0
		.amdhsa_user_sgpr_private_segment_size 0
		.amdhsa_wavefront_size32 1
		.amdhsa_uses_dynamic_stack 0
		.amdhsa_enable_private_segment 0
		.amdhsa_system_sgpr_workgroup_id_x 1
		.amdhsa_system_sgpr_workgroup_id_y 0
		.amdhsa_system_sgpr_workgroup_id_z 0
		.amdhsa_system_sgpr_workgroup_info 0
		.amdhsa_system_vgpr_workitem_id 0
		.amdhsa_next_free_vgpr 1
		.amdhsa_next_free_sgpr 1
		.amdhsa_reserve_vcc 0
		.amdhsa_float_round_mode_32 0
		.amdhsa_float_round_mode_16_64 0
		.amdhsa_float_denorm_mode_32 3
		.amdhsa_float_denorm_mode_16_64 3
		.amdhsa_dx10_clamp 1
		.amdhsa_ieee_mode 1
		.amdhsa_fp16_overflow 0
		.amdhsa_workgroup_processor_mode 1
		.amdhsa_memory_ordered 1
		.amdhsa_forward_progress 0
		.amdhsa_shared_vgpr_count 0
		.amdhsa_exception_fp_ieee_invalid_op 0
		.amdhsa_exception_fp_denorm_src 0
		.amdhsa_exception_fp_ieee_div_zero 0
		.amdhsa_exception_fp_ieee_overflow 0
		.amdhsa_exception_fp_ieee_underflow 0
		.amdhsa_exception_fp_ieee_inexact 0
		.amdhsa_exception_int_div_zero 0
	.end_amdhsa_kernel
	.section	.text._ZN7rocprim17ROCPRIM_400000_NS6detail17trampoline_kernelINS0_14default_configENS1_36segmented_radix_sort_config_selectorIflEEZNS1_25segmented_radix_sort_implIS3_Lb1EPKfPfPKlPlN2at6native12_GLOBAL__N_18offset_tEEE10hipError_tPvRmT1_PNSt15iterator_traitsISK_E10value_typeET2_T3_PNSL_ISQ_E10value_typeET4_jRbjT5_SW_jjP12ihipStream_tbEUlT_E1_NS1_11comp_targetILNS1_3genE8ELNS1_11target_archE1030ELNS1_3gpuE2ELNS1_3repE0EEENS1_59segmented_radix_sort_warp_sort_small_config_static_selectorELNS0_4arch9wavefront6targetE0EEEvSK_,"axG",@progbits,_ZN7rocprim17ROCPRIM_400000_NS6detail17trampoline_kernelINS0_14default_configENS1_36segmented_radix_sort_config_selectorIflEEZNS1_25segmented_radix_sort_implIS3_Lb1EPKfPfPKlPlN2at6native12_GLOBAL__N_18offset_tEEE10hipError_tPvRmT1_PNSt15iterator_traitsISK_E10value_typeET2_T3_PNSL_ISQ_E10value_typeET4_jRbjT5_SW_jjP12ihipStream_tbEUlT_E1_NS1_11comp_targetILNS1_3genE8ELNS1_11target_archE1030ELNS1_3gpuE2ELNS1_3repE0EEENS1_59segmented_radix_sort_warp_sort_small_config_static_selectorELNS0_4arch9wavefront6targetE0EEEvSK_,comdat
.Lfunc_end1354:
	.size	_ZN7rocprim17ROCPRIM_400000_NS6detail17trampoline_kernelINS0_14default_configENS1_36segmented_radix_sort_config_selectorIflEEZNS1_25segmented_radix_sort_implIS3_Lb1EPKfPfPKlPlN2at6native12_GLOBAL__N_18offset_tEEE10hipError_tPvRmT1_PNSt15iterator_traitsISK_E10value_typeET2_T3_PNSL_ISQ_E10value_typeET4_jRbjT5_SW_jjP12ihipStream_tbEUlT_E1_NS1_11comp_targetILNS1_3genE8ELNS1_11target_archE1030ELNS1_3gpuE2ELNS1_3repE0EEENS1_59segmented_radix_sort_warp_sort_small_config_static_selectorELNS0_4arch9wavefront6targetE0EEEvSK_, .Lfunc_end1354-_ZN7rocprim17ROCPRIM_400000_NS6detail17trampoline_kernelINS0_14default_configENS1_36segmented_radix_sort_config_selectorIflEEZNS1_25segmented_radix_sort_implIS3_Lb1EPKfPfPKlPlN2at6native12_GLOBAL__N_18offset_tEEE10hipError_tPvRmT1_PNSt15iterator_traitsISK_E10value_typeET2_T3_PNSL_ISQ_E10value_typeET4_jRbjT5_SW_jjP12ihipStream_tbEUlT_E1_NS1_11comp_targetILNS1_3genE8ELNS1_11target_archE1030ELNS1_3gpuE2ELNS1_3repE0EEENS1_59segmented_radix_sort_warp_sort_small_config_static_selectorELNS0_4arch9wavefront6targetE0EEEvSK_
                                        ; -- End function
	.section	.AMDGPU.csdata,"",@progbits
; Kernel info:
; codeLenInByte = 0
; NumSgprs: 0
; NumVgprs: 0
; ScratchSize: 0
; MemoryBound: 0
; FloatMode: 240
; IeeeMode: 1
; LDSByteSize: 0 bytes/workgroup (compile time only)
; SGPRBlocks: 0
; VGPRBlocks: 0
; NumSGPRsForWavesPerEU: 1
; NumVGPRsForWavesPerEU: 1
; Occupancy: 16
; WaveLimiterHint : 0
; COMPUTE_PGM_RSRC2:SCRATCH_EN: 0
; COMPUTE_PGM_RSRC2:USER_SGPR: 15
; COMPUTE_PGM_RSRC2:TRAP_HANDLER: 0
; COMPUTE_PGM_RSRC2:TGID_X_EN: 1
; COMPUTE_PGM_RSRC2:TGID_Y_EN: 0
; COMPUTE_PGM_RSRC2:TGID_Z_EN: 0
; COMPUTE_PGM_RSRC2:TIDIG_COMP_CNT: 0
	.section	.text._ZN7rocprim17ROCPRIM_400000_NS6detail17trampoline_kernelINS0_14default_configENS1_36segmented_radix_sort_config_selectorIflEEZNS1_25segmented_radix_sort_implIS3_Lb1EPKfPfPKlPlN2at6native12_GLOBAL__N_18offset_tEEE10hipError_tPvRmT1_PNSt15iterator_traitsISK_E10value_typeET2_T3_PNSL_ISQ_E10value_typeET4_jRbjT5_SW_jjP12ihipStream_tbEUlT_E2_NS1_11comp_targetILNS1_3genE0ELNS1_11target_archE4294967295ELNS1_3gpuE0ELNS1_3repE0EEENS1_30default_config_static_selectorELNS0_4arch9wavefront6targetE0EEEvSK_,"axG",@progbits,_ZN7rocprim17ROCPRIM_400000_NS6detail17trampoline_kernelINS0_14default_configENS1_36segmented_radix_sort_config_selectorIflEEZNS1_25segmented_radix_sort_implIS3_Lb1EPKfPfPKlPlN2at6native12_GLOBAL__N_18offset_tEEE10hipError_tPvRmT1_PNSt15iterator_traitsISK_E10value_typeET2_T3_PNSL_ISQ_E10value_typeET4_jRbjT5_SW_jjP12ihipStream_tbEUlT_E2_NS1_11comp_targetILNS1_3genE0ELNS1_11target_archE4294967295ELNS1_3gpuE0ELNS1_3repE0EEENS1_30default_config_static_selectorELNS0_4arch9wavefront6targetE0EEEvSK_,comdat
	.globl	_ZN7rocprim17ROCPRIM_400000_NS6detail17trampoline_kernelINS0_14default_configENS1_36segmented_radix_sort_config_selectorIflEEZNS1_25segmented_radix_sort_implIS3_Lb1EPKfPfPKlPlN2at6native12_GLOBAL__N_18offset_tEEE10hipError_tPvRmT1_PNSt15iterator_traitsISK_E10value_typeET2_T3_PNSL_ISQ_E10value_typeET4_jRbjT5_SW_jjP12ihipStream_tbEUlT_E2_NS1_11comp_targetILNS1_3genE0ELNS1_11target_archE4294967295ELNS1_3gpuE0ELNS1_3repE0EEENS1_30default_config_static_selectorELNS0_4arch9wavefront6targetE0EEEvSK_ ; -- Begin function _ZN7rocprim17ROCPRIM_400000_NS6detail17trampoline_kernelINS0_14default_configENS1_36segmented_radix_sort_config_selectorIflEEZNS1_25segmented_radix_sort_implIS3_Lb1EPKfPfPKlPlN2at6native12_GLOBAL__N_18offset_tEEE10hipError_tPvRmT1_PNSt15iterator_traitsISK_E10value_typeET2_T3_PNSL_ISQ_E10value_typeET4_jRbjT5_SW_jjP12ihipStream_tbEUlT_E2_NS1_11comp_targetILNS1_3genE0ELNS1_11target_archE4294967295ELNS1_3gpuE0ELNS1_3repE0EEENS1_30default_config_static_selectorELNS0_4arch9wavefront6targetE0EEEvSK_
	.p2align	8
	.type	_ZN7rocprim17ROCPRIM_400000_NS6detail17trampoline_kernelINS0_14default_configENS1_36segmented_radix_sort_config_selectorIflEEZNS1_25segmented_radix_sort_implIS3_Lb1EPKfPfPKlPlN2at6native12_GLOBAL__N_18offset_tEEE10hipError_tPvRmT1_PNSt15iterator_traitsISK_E10value_typeET2_T3_PNSL_ISQ_E10value_typeET4_jRbjT5_SW_jjP12ihipStream_tbEUlT_E2_NS1_11comp_targetILNS1_3genE0ELNS1_11target_archE4294967295ELNS1_3gpuE0ELNS1_3repE0EEENS1_30default_config_static_selectorELNS0_4arch9wavefront6targetE0EEEvSK_,@function
_ZN7rocprim17ROCPRIM_400000_NS6detail17trampoline_kernelINS0_14default_configENS1_36segmented_radix_sort_config_selectorIflEEZNS1_25segmented_radix_sort_implIS3_Lb1EPKfPfPKlPlN2at6native12_GLOBAL__N_18offset_tEEE10hipError_tPvRmT1_PNSt15iterator_traitsISK_E10value_typeET2_T3_PNSL_ISQ_E10value_typeET4_jRbjT5_SW_jjP12ihipStream_tbEUlT_E2_NS1_11comp_targetILNS1_3genE0ELNS1_11target_archE4294967295ELNS1_3gpuE0ELNS1_3repE0EEENS1_30default_config_static_selectorELNS0_4arch9wavefront6targetE0EEEvSK_: ; @_ZN7rocprim17ROCPRIM_400000_NS6detail17trampoline_kernelINS0_14default_configENS1_36segmented_radix_sort_config_selectorIflEEZNS1_25segmented_radix_sort_implIS3_Lb1EPKfPfPKlPlN2at6native12_GLOBAL__N_18offset_tEEE10hipError_tPvRmT1_PNSt15iterator_traitsISK_E10value_typeET2_T3_PNSL_ISQ_E10value_typeET4_jRbjT5_SW_jjP12ihipStream_tbEUlT_E2_NS1_11comp_targetILNS1_3genE0ELNS1_11target_archE4294967295ELNS1_3gpuE0ELNS1_3repE0EEENS1_30default_config_static_selectorELNS0_4arch9wavefront6targetE0EEEvSK_
; %bb.0:
	.section	.rodata,"a",@progbits
	.p2align	6, 0x0
	.amdhsa_kernel _ZN7rocprim17ROCPRIM_400000_NS6detail17trampoline_kernelINS0_14default_configENS1_36segmented_radix_sort_config_selectorIflEEZNS1_25segmented_radix_sort_implIS3_Lb1EPKfPfPKlPlN2at6native12_GLOBAL__N_18offset_tEEE10hipError_tPvRmT1_PNSt15iterator_traitsISK_E10value_typeET2_T3_PNSL_ISQ_E10value_typeET4_jRbjT5_SW_jjP12ihipStream_tbEUlT_E2_NS1_11comp_targetILNS1_3genE0ELNS1_11target_archE4294967295ELNS1_3gpuE0ELNS1_3repE0EEENS1_30default_config_static_selectorELNS0_4arch9wavefront6targetE0EEEvSK_
		.amdhsa_group_segment_fixed_size 0
		.amdhsa_private_segment_fixed_size 0
		.amdhsa_kernarg_size 80
		.amdhsa_user_sgpr_count 15
		.amdhsa_user_sgpr_dispatch_ptr 0
		.amdhsa_user_sgpr_queue_ptr 0
		.amdhsa_user_sgpr_kernarg_segment_ptr 1
		.amdhsa_user_sgpr_dispatch_id 0
		.amdhsa_user_sgpr_private_segment_size 0
		.amdhsa_wavefront_size32 1
		.amdhsa_uses_dynamic_stack 0
		.amdhsa_enable_private_segment 0
		.amdhsa_system_sgpr_workgroup_id_x 1
		.amdhsa_system_sgpr_workgroup_id_y 0
		.amdhsa_system_sgpr_workgroup_id_z 0
		.amdhsa_system_sgpr_workgroup_info 0
		.amdhsa_system_vgpr_workitem_id 0
		.amdhsa_next_free_vgpr 1
		.amdhsa_next_free_sgpr 1
		.amdhsa_reserve_vcc 0
		.amdhsa_float_round_mode_32 0
		.amdhsa_float_round_mode_16_64 0
		.amdhsa_float_denorm_mode_32 3
		.amdhsa_float_denorm_mode_16_64 3
		.amdhsa_dx10_clamp 1
		.amdhsa_ieee_mode 1
		.amdhsa_fp16_overflow 0
		.amdhsa_workgroup_processor_mode 1
		.amdhsa_memory_ordered 1
		.amdhsa_forward_progress 0
		.amdhsa_shared_vgpr_count 0
		.amdhsa_exception_fp_ieee_invalid_op 0
		.amdhsa_exception_fp_denorm_src 0
		.amdhsa_exception_fp_ieee_div_zero 0
		.amdhsa_exception_fp_ieee_overflow 0
		.amdhsa_exception_fp_ieee_underflow 0
		.amdhsa_exception_fp_ieee_inexact 0
		.amdhsa_exception_int_div_zero 0
	.end_amdhsa_kernel
	.section	.text._ZN7rocprim17ROCPRIM_400000_NS6detail17trampoline_kernelINS0_14default_configENS1_36segmented_radix_sort_config_selectorIflEEZNS1_25segmented_radix_sort_implIS3_Lb1EPKfPfPKlPlN2at6native12_GLOBAL__N_18offset_tEEE10hipError_tPvRmT1_PNSt15iterator_traitsISK_E10value_typeET2_T3_PNSL_ISQ_E10value_typeET4_jRbjT5_SW_jjP12ihipStream_tbEUlT_E2_NS1_11comp_targetILNS1_3genE0ELNS1_11target_archE4294967295ELNS1_3gpuE0ELNS1_3repE0EEENS1_30default_config_static_selectorELNS0_4arch9wavefront6targetE0EEEvSK_,"axG",@progbits,_ZN7rocprim17ROCPRIM_400000_NS6detail17trampoline_kernelINS0_14default_configENS1_36segmented_radix_sort_config_selectorIflEEZNS1_25segmented_radix_sort_implIS3_Lb1EPKfPfPKlPlN2at6native12_GLOBAL__N_18offset_tEEE10hipError_tPvRmT1_PNSt15iterator_traitsISK_E10value_typeET2_T3_PNSL_ISQ_E10value_typeET4_jRbjT5_SW_jjP12ihipStream_tbEUlT_E2_NS1_11comp_targetILNS1_3genE0ELNS1_11target_archE4294967295ELNS1_3gpuE0ELNS1_3repE0EEENS1_30default_config_static_selectorELNS0_4arch9wavefront6targetE0EEEvSK_,comdat
.Lfunc_end1355:
	.size	_ZN7rocprim17ROCPRIM_400000_NS6detail17trampoline_kernelINS0_14default_configENS1_36segmented_radix_sort_config_selectorIflEEZNS1_25segmented_radix_sort_implIS3_Lb1EPKfPfPKlPlN2at6native12_GLOBAL__N_18offset_tEEE10hipError_tPvRmT1_PNSt15iterator_traitsISK_E10value_typeET2_T3_PNSL_ISQ_E10value_typeET4_jRbjT5_SW_jjP12ihipStream_tbEUlT_E2_NS1_11comp_targetILNS1_3genE0ELNS1_11target_archE4294967295ELNS1_3gpuE0ELNS1_3repE0EEENS1_30default_config_static_selectorELNS0_4arch9wavefront6targetE0EEEvSK_, .Lfunc_end1355-_ZN7rocprim17ROCPRIM_400000_NS6detail17trampoline_kernelINS0_14default_configENS1_36segmented_radix_sort_config_selectorIflEEZNS1_25segmented_radix_sort_implIS3_Lb1EPKfPfPKlPlN2at6native12_GLOBAL__N_18offset_tEEE10hipError_tPvRmT1_PNSt15iterator_traitsISK_E10value_typeET2_T3_PNSL_ISQ_E10value_typeET4_jRbjT5_SW_jjP12ihipStream_tbEUlT_E2_NS1_11comp_targetILNS1_3genE0ELNS1_11target_archE4294967295ELNS1_3gpuE0ELNS1_3repE0EEENS1_30default_config_static_selectorELNS0_4arch9wavefront6targetE0EEEvSK_
                                        ; -- End function
	.section	.AMDGPU.csdata,"",@progbits
; Kernel info:
; codeLenInByte = 0
; NumSgprs: 0
; NumVgprs: 0
; ScratchSize: 0
; MemoryBound: 0
; FloatMode: 240
; IeeeMode: 1
; LDSByteSize: 0 bytes/workgroup (compile time only)
; SGPRBlocks: 0
; VGPRBlocks: 0
; NumSGPRsForWavesPerEU: 1
; NumVGPRsForWavesPerEU: 1
; Occupancy: 16
; WaveLimiterHint : 0
; COMPUTE_PGM_RSRC2:SCRATCH_EN: 0
; COMPUTE_PGM_RSRC2:USER_SGPR: 15
; COMPUTE_PGM_RSRC2:TRAP_HANDLER: 0
; COMPUTE_PGM_RSRC2:TGID_X_EN: 1
; COMPUTE_PGM_RSRC2:TGID_Y_EN: 0
; COMPUTE_PGM_RSRC2:TGID_Z_EN: 0
; COMPUTE_PGM_RSRC2:TIDIG_COMP_CNT: 0
	.section	.text._ZN7rocprim17ROCPRIM_400000_NS6detail17trampoline_kernelINS0_14default_configENS1_36segmented_radix_sort_config_selectorIflEEZNS1_25segmented_radix_sort_implIS3_Lb1EPKfPfPKlPlN2at6native12_GLOBAL__N_18offset_tEEE10hipError_tPvRmT1_PNSt15iterator_traitsISK_E10value_typeET2_T3_PNSL_ISQ_E10value_typeET4_jRbjT5_SW_jjP12ihipStream_tbEUlT_E2_NS1_11comp_targetILNS1_3genE5ELNS1_11target_archE942ELNS1_3gpuE9ELNS1_3repE0EEENS1_30default_config_static_selectorELNS0_4arch9wavefront6targetE0EEEvSK_,"axG",@progbits,_ZN7rocprim17ROCPRIM_400000_NS6detail17trampoline_kernelINS0_14default_configENS1_36segmented_radix_sort_config_selectorIflEEZNS1_25segmented_radix_sort_implIS3_Lb1EPKfPfPKlPlN2at6native12_GLOBAL__N_18offset_tEEE10hipError_tPvRmT1_PNSt15iterator_traitsISK_E10value_typeET2_T3_PNSL_ISQ_E10value_typeET4_jRbjT5_SW_jjP12ihipStream_tbEUlT_E2_NS1_11comp_targetILNS1_3genE5ELNS1_11target_archE942ELNS1_3gpuE9ELNS1_3repE0EEENS1_30default_config_static_selectorELNS0_4arch9wavefront6targetE0EEEvSK_,comdat
	.globl	_ZN7rocprim17ROCPRIM_400000_NS6detail17trampoline_kernelINS0_14default_configENS1_36segmented_radix_sort_config_selectorIflEEZNS1_25segmented_radix_sort_implIS3_Lb1EPKfPfPKlPlN2at6native12_GLOBAL__N_18offset_tEEE10hipError_tPvRmT1_PNSt15iterator_traitsISK_E10value_typeET2_T3_PNSL_ISQ_E10value_typeET4_jRbjT5_SW_jjP12ihipStream_tbEUlT_E2_NS1_11comp_targetILNS1_3genE5ELNS1_11target_archE942ELNS1_3gpuE9ELNS1_3repE0EEENS1_30default_config_static_selectorELNS0_4arch9wavefront6targetE0EEEvSK_ ; -- Begin function _ZN7rocprim17ROCPRIM_400000_NS6detail17trampoline_kernelINS0_14default_configENS1_36segmented_radix_sort_config_selectorIflEEZNS1_25segmented_radix_sort_implIS3_Lb1EPKfPfPKlPlN2at6native12_GLOBAL__N_18offset_tEEE10hipError_tPvRmT1_PNSt15iterator_traitsISK_E10value_typeET2_T3_PNSL_ISQ_E10value_typeET4_jRbjT5_SW_jjP12ihipStream_tbEUlT_E2_NS1_11comp_targetILNS1_3genE5ELNS1_11target_archE942ELNS1_3gpuE9ELNS1_3repE0EEENS1_30default_config_static_selectorELNS0_4arch9wavefront6targetE0EEEvSK_
	.p2align	8
	.type	_ZN7rocprim17ROCPRIM_400000_NS6detail17trampoline_kernelINS0_14default_configENS1_36segmented_radix_sort_config_selectorIflEEZNS1_25segmented_radix_sort_implIS3_Lb1EPKfPfPKlPlN2at6native12_GLOBAL__N_18offset_tEEE10hipError_tPvRmT1_PNSt15iterator_traitsISK_E10value_typeET2_T3_PNSL_ISQ_E10value_typeET4_jRbjT5_SW_jjP12ihipStream_tbEUlT_E2_NS1_11comp_targetILNS1_3genE5ELNS1_11target_archE942ELNS1_3gpuE9ELNS1_3repE0EEENS1_30default_config_static_selectorELNS0_4arch9wavefront6targetE0EEEvSK_,@function
_ZN7rocprim17ROCPRIM_400000_NS6detail17trampoline_kernelINS0_14default_configENS1_36segmented_radix_sort_config_selectorIflEEZNS1_25segmented_radix_sort_implIS3_Lb1EPKfPfPKlPlN2at6native12_GLOBAL__N_18offset_tEEE10hipError_tPvRmT1_PNSt15iterator_traitsISK_E10value_typeET2_T3_PNSL_ISQ_E10value_typeET4_jRbjT5_SW_jjP12ihipStream_tbEUlT_E2_NS1_11comp_targetILNS1_3genE5ELNS1_11target_archE942ELNS1_3gpuE9ELNS1_3repE0EEENS1_30default_config_static_selectorELNS0_4arch9wavefront6targetE0EEEvSK_: ; @_ZN7rocprim17ROCPRIM_400000_NS6detail17trampoline_kernelINS0_14default_configENS1_36segmented_radix_sort_config_selectorIflEEZNS1_25segmented_radix_sort_implIS3_Lb1EPKfPfPKlPlN2at6native12_GLOBAL__N_18offset_tEEE10hipError_tPvRmT1_PNSt15iterator_traitsISK_E10value_typeET2_T3_PNSL_ISQ_E10value_typeET4_jRbjT5_SW_jjP12ihipStream_tbEUlT_E2_NS1_11comp_targetILNS1_3genE5ELNS1_11target_archE942ELNS1_3gpuE9ELNS1_3repE0EEENS1_30default_config_static_selectorELNS0_4arch9wavefront6targetE0EEEvSK_
; %bb.0:
	.section	.rodata,"a",@progbits
	.p2align	6, 0x0
	.amdhsa_kernel _ZN7rocprim17ROCPRIM_400000_NS6detail17trampoline_kernelINS0_14default_configENS1_36segmented_radix_sort_config_selectorIflEEZNS1_25segmented_radix_sort_implIS3_Lb1EPKfPfPKlPlN2at6native12_GLOBAL__N_18offset_tEEE10hipError_tPvRmT1_PNSt15iterator_traitsISK_E10value_typeET2_T3_PNSL_ISQ_E10value_typeET4_jRbjT5_SW_jjP12ihipStream_tbEUlT_E2_NS1_11comp_targetILNS1_3genE5ELNS1_11target_archE942ELNS1_3gpuE9ELNS1_3repE0EEENS1_30default_config_static_selectorELNS0_4arch9wavefront6targetE0EEEvSK_
		.amdhsa_group_segment_fixed_size 0
		.amdhsa_private_segment_fixed_size 0
		.amdhsa_kernarg_size 80
		.amdhsa_user_sgpr_count 15
		.amdhsa_user_sgpr_dispatch_ptr 0
		.amdhsa_user_sgpr_queue_ptr 0
		.amdhsa_user_sgpr_kernarg_segment_ptr 1
		.amdhsa_user_sgpr_dispatch_id 0
		.amdhsa_user_sgpr_private_segment_size 0
		.amdhsa_wavefront_size32 1
		.amdhsa_uses_dynamic_stack 0
		.amdhsa_enable_private_segment 0
		.amdhsa_system_sgpr_workgroup_id_x 1
		.amdhsa_system_sgpr_workgroup_id_y 0
		.amdhsa_system_sgpr_workgroup_id_z 0
		.amdhsa_system_sgpr_workgroup_info 0
		.amdhsa_system_vgpr_workitem_id 0
		.amdhsa_next_free_vgpr 1
		.amdhsa_next_free_sgpr 1
		.amdhsa_reserve_vcc 0
		.amdhsa_float_round_mode_32 0
		.amdhsa_float_round_mode_16_64 0
		.amdhsa_float_denorm_mode_32 3
		.amdhsa_float_denorm_mode_16_64 3
		.amdhsa_dx10_clamp 1
		.amdhsa_ieee_mode 1
		.amdhsa_fp16_overflow 0
		.amdhsa_workgroup_processor_mode 1
		.amdhsa_memory_ordered 1
		.amdhsa_forward_progress 0
		.amdhsa_shared_vgpr_count 0
		.amdhsa_exception_fp_ieee_invalid_op 0
		.amdhsa_exception_fp_denorm_src 0
		.amdhsa_exception_fp_ieee_div_zero 0
		.amdhsa_exception_fp_ieee_overflow 0
		.amdhsa_exception_fp_ieee_underflow 0
		.amdhsa_exception_fp_ieee_inexact 0
		.amdhsa_exception_int_div_zero 0
	.end_amdhsa_kernel
	.section	.text._ZN7rocprim17ROCPRIM_400000_NS6detail17trampoline_kernelINS0_14default_configENS1_36segmented_radix_sort_config_selectorIflEEZNS1_25segmented_radix_sort_implIS3_Lb1EPKfPfPKlPlN2at6native12_GLOBAL__N_18offset_tEEE10hipError_tPvRmT1_PNSt15iterator_traitsISK_E10value_typeET2_T3_PNSL_ISQ_E10value_typeET4_jRbjT5_SW_jjP12ihipStream_tbEUlT_E2_NS1_11comp_targetILNS1_3genE5ELNS1_11target_archE942ELNS1_3gpuE9ELNS1_3repE0EEENS1_30default_config_static_selectorELNS0_4arch9wavefront6targetE0EEEvSK_,"axG",@progbits,_ZN7rocprim17ROCPRIM_400000_NS6detail17trampoline_kernelINS0_14default_configENS1_36segmented_radix_sort_config_selectorIflEEZNS1_25segmented_radix_sort_implIS3_Lb1EPKfPfPKlPlN2at6native12_GLOBAL__N_18offset_tEEE10hipError_tPvRmT1_PNSt15iterator_traitsISK_E10value_typeET2_T3_PNSL_ISQ_E10value_typeET4_jRbjT5_SW_jjP12ihipStream_tbEUlT_E2_NS1_11comp_targetILNS1_3genE5ELNS1_11target_archE942ELNS1_3gpuE9ELNS1_3repE0EEENS1_30default_config_static_selectorELNS0_4arch9wavefront6targetE0EEEvSK_,comdat
.Lfunc_end1356:
	.size	_ZN7rocprim17ROCPRIM_400000_NS6detail17trampoline_kernelINS0_14default_configENS1_36segmented_radix_sort_config_selectorIflEEZNS1_25segmented_radix_sort_implIS3_Lb1EPKfPfPKlPlN2at6native12_GLOBAL__N_18offset_tEEE10hipError_tPvRmT1_PNSt15iterator_traitsISK_E10value_typeET2_T3_PNSL_ISQ_E10value_typeET4_jRbjT5_SW_jjP12ihipStream_tbEUlT_E2_NS1_11comp_targetILNS1_3genE5ELNS1_11target_archE942ELNS1_3gpuE9ELNS1_3repE0EEENS1_30default_config_static_selectorELNS0_4arch9wavefront6targetE0EEEvSK_, .Lfunc_end1356-_ZN7rocprim17ROCPRIM_400000_NS6detail17trampoline_kernelINS0_14default_configENS1_36segmented_radix_sort_config_selectorIflEEZNS1_25segmented_radix_sort_implIS3_Lb1EPKfPfPKlPlN2at6native12_GLOBAL__N_18offset_tEEE10hipError_tPvRmT1_PNSt15iterator_traitsISK_E10value_typeET2_T3_PNSL_ISQ_E10value_typeET4_jRbjT5_SW_jjP12ihipStream_tbEUlT_E2_NS1_11comp_targetILNS1_3genE5ELNS1_11target_archE942ELNS1_3gpuE9ELNS1_3repE0EEENS1_30default_config_static_selectorELNS0_4arch9wavefront6targetE0EEEvSK_
                                        ; -- End function
	.section	.AMDGPU.csdata,"",@progbits
; Kernel info:
; codeLenInByte = 0
; NumSgprs: 0
; NumVgprs: 0
; ScratchSize: 0
; MemoryBound: 0
; FloatMode: 240
; IeeeMode: 1
; LDSByteSize: 0 bytes/workgroup (compile time only)
; SGPRBlocks: 0
; VGPRBlocks: 0
; NumSGPRsForWavesPerEU: 1
; NumVGPRsForWavesPerEU: 1
; Occupancy: 16
; WaveLimiterHint : 0
; COMPUTE_PGM_RSRC2:SCRATCH_EN: 0
; COMPUTE_PGM_RSRC2:USER_SGPR: 15
; COMPUTE_PGM_RSRC2:TRAP_HANDLER: 0
; COMPUTE_PGM_RSRC2:TGID_X_EN: 1
; COMPUTE_PGM_RSRC2:TGID_Y_EN: 0
; COMPUTE_PGM_RSRC2:TGID_Z_EN: 0
; COMPUTE_PGM_RSRC2:TIDIG_COMP_CNT: 0
	.section	.text._ZN7rocprim17ROCPRIM_400000_NS6detail17trampoline_kernelINS0_14default_configENS1_36segmented_radix_sort_config_selectorIflEEZNS1_25segmented_radix_sort_implIS3_Lb1EPKfPfPKlPlN2at6native12_GLOBAL__N_18offset_tEEE10hipError_tPvRmT1_PNSt15iterator_traitsISK_E10value_typeET2_T3_PNSL_ISQ_E10value_typeET4_jRbjT5_SW_jjP12ihipStream_tbEUlT_E2_NS1_11comp_targetILNS1_3genE4ELNS1_11target_archE910ELNS1_3gpuE8ELNS1_3repE0EEENS1_30default_config_static_selectorELNS0_4arch9wavefront6targetE0EEEvSK_,"axG",@progbits,_ZN7rocprim17ROCPRIM_400000_NS6detail17trampoline_kernelINS0_14default_configENS1_36segmented_radix_sort_config_selectorIflEEZNS1_25segmented_radix_sort_implIS3_Lb1EPKfPfPKlPlN2at6native12_GLOBAL__N_18offset_tEEE10hipError_tPvRmT1_PNSt15iterator_traitsISK_E10value_typeET2_T3_PNSL_ISQ_E10value_typeET4_jRbjT5_SW_jjP12ihipStream_tbEUlT_E2_NS1_11comp_targetILNS1_3genE4ELNS1_11target_archE910ELNS1_3gpuE8ELNS1_3repE0EEENS1_30default_config_static_selectorELNS0_4arch9wavefront6targetE0EEEvSK_,comdat
	.globl	_ZN7rocprim17ROCPRIM_400000_NS6detail17trampoline_kernelINS0_14default_configENS1_36segmented_radix_sort_config_selectorIflEEZNS1_25segmented_radix_sort_implIS3_Lb1EPKfPfPKlPlN2at6native12_GLOBAL__N_18offset_tEEE10hipError_tPvRmT1_PNSt15iterator_traitsISK_E10value_typeET2_T3_PNSL_ISQ_E10value_typeET4_jRbjT5_SW_jjP12ihipStream_tbEUlT_E2_NS1_11comp_targetILNS1_3genE4ELNS1_11target_archE910ELNS1_3gpuE8ELNS1_3repE0EEENS1_30default_config_static_selectorELNS0_4arch9wavefront6targetE0EEEvSK_ ; -- Begin function _ZN7rocprim17ROCPRIM_400000_NS6detail17trampoline_kernelINS0_14default_configENS1_36segmented_radix_sort_config_selectorIflEEZNS1_25segmented_radix_sort_implIS3_Lb1EPKfPfPKlPlN2at6native12_GLOBAL__N_18offset_tEEE10hipError_tPvRmT1_PNSt15iterator_traitsISK_E10value_typeET2_T3_PNSL_ISQ_E10value_typeET4_jRbjT5_SW_jjP12ihipStream_tbEUlT_E2_NS1_11comp_targetILNS1_3genE4ELNS1_11target_archE910ELNS1_3gpuE8ELNS1_3repE0EEENS1_30default_config_static_selectorELNS0_4arch9wavefront6targetE0EEEvSK_
	.p2align	8
	.type	_ZN7rocprim17ROCPRIM_400000_NS6detail17trampoline_kernelINS0_14default_configENS1_36segmented_radix_sort_config_selectorIflEEZNS1_25segmented_radix_sort_implIS3_Lb1EPKfPfPKlPlN2at6native12_GLOBAL__N_18offset_tEEE10hipError_tPvRmT1_PNSt15iterator_traitsISK_E10value_typeET2_T3_PNSL_ISQ_E10value_typeET4_jRbjT5_SW_jjP12ihipStream_tbEUlT_E2_NS1_11comp_targetILNS1_3genE4ELNS1_11target_archE910ELNS1_3gpuE8ELNS1_3repE0EEENS1_30default_config_static_selectorELNS0_4arch9wavefront6targetE0EEEvSK_,@function
_ZN7rocprim17ROCPRIM_400000_NS6detail17trampoline_kernelINS0_14default_configENS1_36segmented_radix_sort_config_selectorIflEEZNS1_25segmented_radix_sort_implIS3_Lb1EPKfPfPKlPlN2at6native12_GLOBAL__N_18offset_tEEE10hipError_tPvRmT1_PNSt15iterator_traitsISK_E10value_typeET2_T3_PNSL_ISQ_E10value_typeET4_jRbjT5_SW_jjP12ihipStream_tbEUlT_E2_NS1_11comp_targetILNS1_3genE4ELNS1_11target_archE910ELNS1_3gpuE8ELNS1_3repE0EEENS1_30default_config_static_selectorELNS0_4arch9wavefront6targetE0EEEvSK_: ; @_ZN7rocprim17ROCPRIM_400000_NS6detail17trampoline_kernelINS0_14default_configENS1_36segmented_radix_sort_config_selectorIflEEZNS1_25segmented_radix_sort_implIS3_Lb1EPKfPfPKlPlN2at6native12_GLOBAL__N_18offset_tEEE10hipError_tPvRmT1_PNSt15iterator_traitsISK_E10value_typeET2_T3_PNSL_ISQ_E10value_typeET4_jRbjT5_SW_jjP12ihipStream_tbEUlT_E2_NS1_11comp_targetILNS1_3genE4ELNS1_11target_archE910ELNS1_3gpuE8ELNS1_3repE0EEENS1_30default_config_static_selectorELNS0_4arch9wavefront6targetE0EEEvSK_
; %bb.0:
	.section	.rodata,"a",@progbits
	.p2align	6, 0x0
	.amdhsa_kernel _ZN7rocprim17ROCPRIM_400000_NS6detail17trampoline_kernelINS0_14default_configENS1_36segmented_radix_sort_config_selectorIflEEZNS1_25segmented_radix_sort_implIS3_Lb1EPKfPfPKlPlN2at6native12_GLOBAL__N_18offset_tEEE10hipError_tPvRmT1_PNSt15iterator_traitsISK_E10value_typeET2_T3_PNSL_ISQ_E10value_typeET4_jRbjT5_SW_jjP12ihipStream_tbEUlT_E2_NS1_11comp_targetILNS1_3genE4ELNS1_11target_archE910ELNS1_3gpuE8ELNS1_3repE0EEENS1_30default_config_static_selectorELNS0_4arch9wavefront6targetE0EEEvSK_
		.amdhsa_group_segment_fixed_size 0
		.amdhsa_private_segment_fixed_size 0
		.amdhsa_kernarg_size 80
		.amdhsa_user_sgpr_count 15
		.amdhsa_user_sgpr_dispatch_ptr 0
		.amdhsa_user_sgpr_queue_ptr 0
		.amdhsa_user_sgpr_kernarg_segment_ptr 1
		.amdhsa_user_sgpr_dispatch_id 0
		.amdhsa_user_sgpr_private_segment_size 0
		.amdhsa_wavefront_size32 1
		.amdhsa_uses_dynamic_stack 0
		.amdhsa_enable_private_segment 0
		.amdhsa_system_sgpr_workgroup_id_x 1
		.amdhsa_system_sgpr_workgroup_id_y 0
		.amdhsa_system_sgpr_workgroup_id_z 0
		.amdhsa_system_sgpr_workgroup_info 0
		.amdhsa_system_vgpr_workitem_id 0
		.amdhsa_next_free_vgpr 1
		.amdhsa_next_free_sgpr 1
		.amdhsa_reserve_vcc 0
		.amdhsa_float_round_mode_32 0
		.amdhsa_float_round_mode_16_64 0
		.amdhsa_float_denorm_mode_32 3
		.amdhsa_float_denorm_mode_16_64 3
		.amdhsa_dx10_clamp 1
		.amdhsa_ieee_mode 1
		.amdhsa_fp16_overflow 0
		.amdhsa_workgroup_processor_mode 1
		.amdhsa_memory_ordered 1
		.amdhsa_forward_progress 0
		.amdhsa_shared_vgpr_count 0
		.amdhsa_exception_fp_ieee_invalid_op 0
		.amdhsa_exception_fp_denorm_src 0
		.amdhsa_exception_fp_ieee_div_zero 0
		.amdhsa_exception_fp_ieee_overflow 0
		.amdhsa_exception_fp_ieee_underflow 0
		.amdhsa_exception_fp_ieee_inexact 0
		.amdhsa_exception_int_div_zero 0
	.end_amdhsa_kernel
	.section	.text._ZN7rocprim17ROCPRIM_400000_NS6detail17trampoline_kernelINS0_14default_configENS1_36segmented_radix_sort_config_selectorIflEEZNS1_25segmented_radix_sort_implIS3_Lb1EPKfPfPKlPlN2at6native12_GLOBAL__N_18offset_tEEE10hipError_tPvRmT1_PNSt15iterator_traitsISK_E10value_typeET2_T3_PNSL_ISQ_E10value_typeET4_jRbjT5_SW_jjP12ihipStream_tbEUlT_E2_NS1_11comp_targetILNS1_3genE4ELNS1_11target_archE910ELNS1_3gpuE8ELNS1_3repE0EEENS1_30default_config_static_selectorELNS0_4arch9wavefront6targetE0EEEvSK_,"axG",@progbits,_ZN7rocprim17ROCPRIM_400000_NS6detail17trampoline_kernelINS0_14default_configENS1_36segmented_radix_sort_config_selectorIflEEZNS1_25segmented_radix_sort_implIS3_Lb1EPKfPfPKlPlN2at6native12_GLOBAL__N_18offset_tEEE10hipError_tPvRmT1_PNSt15iterator_traitsISK_E10value_typeET2_T3_PNSL_ISQ_E10value_typeET4_jRbjT5_SW_jjP12ihipStream_tbEUlT_E2_NS1_11comp_targetILNS1_3genE4ELNS1_11target_archE910ELNS1_3gpuE8ELNS1_3repE0EEENS1_30default_config_static_selectorELNS0_4arch9wavefront6targetE0EEEvSK_,comdat
.Lfunc_end1357:
	.size	_ZN7rocprim17ROCPRIM_400000_NS6detail17trampoline_kernelINS0_14default_configENS1_36segmented_radix_sort_config_selectorIflEEZNS1_25segmented_radix_sort_implIS3_Lb1EPKfPfPKlPlN2at6native12_GLOBAL__N_18offset_tEEE10hipError_tPvRmT1_PNSt15iterator_traitsISK_E10value_typeET2_T3_PNSL_ISQ_E10value_typeET4_jRbjT5_SW_jjP12ihipStream_tbEUlT_E2_NS1_11comp_targetILNS1_3genE4ELNS1_11target_archE910ELNS1_3gpuE8ELNS1_3repE0EEENS1_30default_config_static_selectorELNS0_4arch9wavefront6targetE0EEEvSK_, .Lfunc_end1357-_ZN7rocprim17ROCPRIM_400000_NS6detail17trampoline_kernelINS0_14default_configENS1_36segmented_radix_sort_config_selectorIflEEZNS1_25segmented_radix_sort_implIS3_Lb1EPKfPfPKlPlN2at6native12_GLOBAL__N_18offset_tEEE10hipError_tPvRmT1_PNSt15iterator_traitsISK_E10value_typeET2_T3_PNSL_ISQ_E10value_typeET4_jRbjT5_SW_jjP12ihipStream_tbEUlT_E2_NS1_11comp_targetILNS1_3genE4ELNS1_11target_archE910ELNS1_3gpuE8ELNS1_3repE0EEENS1_30default_config_static_selectorELNS0_4arch9wavefront6targetE0EEEvSK_
                                        ; -- End function
	.section	.AMDGPU.csdata,"",@progbits
; Kernel info:
; codeLenInByte = 0
; NumSgprs: 0
; NumVgprs: 0
; ScratchSize: 0
; MemoryBound: 0
; FloatMode: 240
; IeeeMode: 1
; LDSByteSize: 0 bytes/workgroup (compile time only)
; SGPRBlocks: 0
; VGPRBlocks: 0
; NumSGPRsForWavesPerEU: 1
; NumVGPRsForWavesPerEU: 1
; Occupancy: 16
; WaveLimiterHint : 0
; COMPUTE_PGM_RSRC2:SCRATCH_EN: 0
; COMPUTE_PGM_RSRC2:USER_SGPR: 15
; COMPUTE_PGM_RSRC2:TRAP_HANDLER: 0
; COMPUTE_PGM_RSRC2:TGID_X_EN: 1
; COMPUTE_PGM_RSRC2:TGID_Y_EN: 0
; COMPUTE_PGM_RSRC2:TGID_Z_EN: 0
; COMPUTE_PGM_RSRC2:TIDIG_COMP_CNT: 0
	.section	.text._ZN7rocprim17ROCPRIM_400000_NS6detail17trampoline_kernelINS0_14default_configENS1_36segmented_radix_sort_config_selectorIflEEZNS1_25segmented_radix_sort_implIS3_Lb1EPKfPfPKlPlN2at6native12_GLOBAL__N_18offset_tEEE10hipError_tPvRmT1_PNSt15iterator_traitsISK_E10value_typeET2_T3_PNSL_ISQ_E10value_typeET4_jRbjT5_SW_jjP12ihipStream_tbEUlT_E2_NS1_11comp_targetILNS1_3genE3ELNS1_11target_archE908ELNS1_3gpuE7ELNS1_3repE0EEENS1_30default_config_static_selectorELNS0_4arch9wavefront6targetE0EEEvSK_,"axG",@progbits,_ZN7rocprim17ROCPRIM_400000_NS6detail17trampoline_kernelINS0_14default_configENS1_36segmented_radix_sort_config_selectorIflEEZNS1_25segmented_radix_sort_implIS3_Lb1EPKfPfPKlPlN2at6native12_GLOBAL__N_18offset_tEEE10hipError_tPvRmT1_PNSt15iterator_traitsISK_E10value_typeET2_T3_PNSL_ISQ_E10value_typeET4_jRbjT5_SW_jjP12ihipStream_tbEUlT_E2_NS1_11comp_targetILNS1_3genE3ELNS1_11target_archE908ELNS1_3gpuE7ELNS1_3repE0EEENS1_30default_config_static_selectorELNS0_4arch9wavefront6targetE0EEEvSK_,comdat
	.globl	_ZN7rocprim17ROCPRIM_400000_NS6detail17trampoline_kernelINS0_14default_configENS1_36segmented_radix_sort_config_selectorIflEEZNS1_25segmented_radix_sort_implIS3_Lb1EPKfPfPKlPlN2at6native12_GLOBAL__N_18offset_tEEE10hipError_tPvRmT1_PNSt15iterator_traitsISK_E10value_typeET2_T3_PNSL_ISQ_E10value_typeET4_jRbjT5_SW_jjP12ihipStream_tbEUlT_E2_NS1_11comp_targetILNS1_3genE3ELNS1_11target_archE908ELNS1_3gpuE7ELNS1_3repE0EEENS1_30default_config_static_selectorELNS0_4arch9wavefront6targetE0EEEvSK_ ; -- Begin function _ZN7rocprim17ROCPRIM_400000_NS6detail17trampoline_kernelINS0_14default_configENS1_36segmented_radix_sort_config_selectorIflEEZNS1_25segmented_radix_sort_implIS3_Lb1EPKfPfPKlPlN2at6native12_GLOBAL__N_18offset_tEEE10hipError_tPvRmT1_PNSt15iterator_traitsISK_E10value_typeET2_T3_PNSL_ISQ_E10value_typeET4_jRbjT5_SW_jjP12ihipStream_tbEUlT_E2_NS1_11comp_targetILNS1_3genE3ELNS1_11target_archE908ELNS1_3gpuE7ELNS1_3repE0EEENS1_30default_config_static_selectorELNS0_4arch9wavefront6targetE0EEEvSK_
	.p2align	8
	.type	_ZN7rocprim17ROCPRIM_400000_NS6detail17trampoline_kernelINS0_14default_configENS1_36segmented_radix_sort_config_selectorIflEEZNS1_25segmented_radix_sort_implIS3_Lb1EPKfPfPKlPlN2at6native12_GLOBAL__N_18offset_tEEE10hipError_tPvRmT1_PNSt15iterator_traitsISK_E10value_typeET2_T3_PNSL_ISQ_E10value_typeET4_jRbjT5_SW_jjP12ihipStream_tbEUlT_E2_NS1_11comp_targetILNS1_3genE3ELNS1_11target_archE908ELNS1_3gpuE7ELNS1_3repE0EEENS1_30default_config_static_selectorELNS0_4arch9wavefront6targetE0EEEvSK_,@function
_ZN7rocprim17ROCPRIM_400000_NS6detail17trampoline_kernelINS0_14default_configENS1_36segmented_radix_sort_config_selectorIflEEZNS1_25segmented_radix_sort_implIS3_Lb1EPKfPfPKlPlN2at6native12_GLOBAL__N_18offset_tEEE10hipError_tPvRmT1_PNSt15iterator_traitsISK_E10value_typeET2_T3_PNSL_ISQ_E10value_typeET4_jRbjT5_SW_jjP12ihipStream_tbEUlT_E2_NS1_11comp_targetILNS1_3genE3ELNS1_11target_archE908ELNS1_3gpuE7ELNS1_3repE0EEENS1_30default_config_static_selectorELNS0_4arch9wavefront6targetE0EEEvSK_: ; @_ZN7rocprim17ROCPRIM_400000_NS6detail17trampoline_kernelINS0_14default_configENS1_36segmented_radix_sort_config_selectorIflEEZNS1_25segmented_radix_sort_implIS3_Lb1EPKfPfPKlPlN2at6native12_GLOBAL__N_18offset_tEEE10hipError_tPvRmT1_PNSt15iterator_traitsISK_E10value_typeET2_T3_PNSL_ISQ_E10value_typeET4_jRbjT5_SW_jjP12ihipStream_tbEUlT_E2_NS1_11comp_targetILNS1_3genE3ELNS1_11target_archE908ELNS1_3gpuE7ELNS1_3repE0EEENS1_30default_config_static_selectorELNS0_4arch9wavefront6targetE0EEEvSK_
; %bb.0:
	.section	.rodata,"a",@progbits
	.p2align	6, 0x0
	.amdhsa_kernel _ZN7rocprim17ROCPRIM_400000_NS6detail17trampoline_kernelINS0_14default_configENS1_36segmented_radix_sort_config_selectorIflEEZNS1_25segmented_radix_sort_implIS3_Lb1EPKfPfPKlPlN2at6native12_GLOBAL__N_18offset_tEEE10hipError_tPvRmT1_PNSt15iterator_traitsISK_E10value_typeET2_T3_PNSL_ISQ_E10value_typeET4_jRbjT5_SW_jjP12ihipStream_tbEUlT_E2_NS1_11comp_targetILNS1_3genE3ELNS1_11target_archE908ELNS1_3gpuE7ELNS1_3repE0EEENS1_30default_config_static_selectorELNS0_4arch9wavefront6targetE0EEEvSK_
		.amdhsa_group_segment_fixed_size 0
		.amdhsa_private_segment_fixed_size 0
		.amdhsa_kernarg_size 80
		.amdhsa_user_sgpr_count 15
		.amdhsa_user_sgpr_dispatch_ptr 0
		.amdhsa_user_sgpr_queue_ptr 0
		.amdhsa_user_sgpr_kernarg_segment_ptr 1
		.amdhsa_user_sgpr_dispatch_id 0
		.amdhsa_user_sgpr_private_segment_size 0
		.amdhsa_wavefront_size32 1
		.amdhsa_uses_dynamic_stack 0
		.amdhsa_enable_private_segment 0
		.amdhsa_system_sgpr_workgroup_id_x 1
		.amdhsa_system_sgpr_workgroup_id_y 0
		.amdhsa_system_sgpr_workgroup_id_z 0
		.amdhsa_system_sgpr_workgroup_info 0
		.amdhsa_system_vgpr_workitem_id 0
		.amdhsa_next_free_vgpr 1
		.amdhsa_next_free_sgpr 1
		.amdhsa_reserve_vcc 0
		.amdhsa_float_round_mode_32 0
		.amdhsa_float_round_mode_16_64 0
		.amdhsa_float_denorm_mode_32 3
		.amdhsa_float_denorm_mode_16_64 3
		.amdhsa_dx10_clamp 1
		.amdhsa_ieee_mode 1
		.amdhsa_fp16_overflow 0
		.amdhsa_workgroup_processor_mode 1
		.amdhsa_memory_ordered 1
		.amdhsa_forward_progress 0
		.amdhsa_shared_vgpr_count 0
		.amdhsa_exception_fp_ieee_invalid_op 0
		.amdhsa_exception_fp_denorm_src 0
		.amdhsa_exception_fp_ieee_div_zero 0
		.amdhsa_exception_fp_ieee_overflow 0
		.amdhsa_exception_fp_ieee_underflow 0
		.amdhsa_exception_fp_ieee_inexact 0
		.amdhsa_exception_int_div_zero 0
	.end_amdhsa_kernel
	.section	.text._ZN7rocprim17ROCPRIM_400000_NS6detail17trampoline_kernelINS0_14default_configENS1_36segmented_radix_sort_config_selectorIflEEZNS1_25segmented_radix_sort_implIS3_Lb1EPKfPfPKlPlN2at6native12_GLOBAL__N_18offset_tEEE10hipError_tPvRmT1_PNSt15iterator_traitsISK_E10value_typeET2_T3_PNSL_ISQ_E10value_typeET4_jRbjT5_SW_jjP12ihipStream_tbEUlT_E2_NS1_11comp_targetILNS1_3genE3ELNS1_11target_archE908ELNS1_3gpuE7ELNS1_3repE0EEENS1_30default_config_static_selectorELNS0_4arch9wavefront6targetE0EEEvSK_,"axG",@progbits,_ZN7rocprim17ROCPRIM_400000_NS6detail17trampoline_kernelINS0_14default_configENS1_36segmented_radix_sort_config_selectorIflEEZNS1_25segmented_radix_sort_implIS3_Lb1EPKfPfPKlPlN2at6native12_GLOBAL__N_18offset_tEEE10hipError_tPvRmT1_PNSt15iterator_traitsISK_E10value_typeET2_T3_PNSL_ISQ_E10value_typeET4_jRbjT5_SW_jjP12ihipStream_tbEUlT_E2_NS1_11comp_targetILNS1_3genE3ELNS1_11target_archE908ELNS1_3gpuE7ELNS1_3repE0EEENS1_30default_config_static_selectorELNS0_4arch9wavefront6targetE0EEEvSK_,comdat
.Lfunc_end1358:
	.size	_ZN7rocprim17ROCPRIM_400000_NS6detail17trampoline_kernelINS0_14default_configENS1_36segmented_radix_sort_config_selectorIflEEZNS1_25segmented_radix_sort_implIS3_Lb1EPKfPfPKlPlN2at6native12_GLOBAL__N_18offset_tEEE10hipError_tPvRmT1_PNSt15iterator_traitsISK_E10value_typeET2_T3_PNSL_ISQ_E10value_typeET4_jRbjT5_SW_jjP12ihipStream_tbEUlT_E2_NS1_11comp_targetILNS1_3genE3ELNS1_11target_archE908ELNS1_3gpuE7ELNS1_3repE0EEENS1_30default_config_static_selectorELNS0_4arch9wavefront6targetE0EEEvSK_, .Lfunc_end1358-_ZN7rocprim17ROCPRIM_400000_NS6detail17trampoline_kernelINS0_14default_configENS1_36segmented_radix_sort_config_selectorIflEEZNS1_25segmented_radix_sort_implIS3_Lb1EPKfPfPKlPlN2at6native12_GLOBAL__N_18offset_tEEE10hipError_tPvRmT1_PNSt15iterator_traitsISK_E10value_typeET2_T3_PNSL_ISQ_E10value_typeET4_jRbjT5_SW_jjP12ihipStream_tbEUlT_E2_NS1_11comp_targetILNS1_3genE3ELNS1_11target_archE908ELNS1_3gpuE7ELNS1_3repE0EEENS1_30default_config_static_selectorELNS0_4arch9wavefront6targetE0EEEvSK_
                                        ; -- End function
	.section	.AMDGPU.csdata,"",@progbits
; Kernel info:
; codeLenInByte = 0
; NumSgprs: 0
; NumVgprs: 0
; ScratchSize: 0
; MemoryBound: 0
; FloatMode: 240
; IeeeMode: 1
; LDSByteSize: 0 bytes/workgroup (compile time only)
; SGPRBlocks: 0
; VGPRBlocks: 0
; NumSGPRsForWavesPerEU: 1
; NumVGPRsForWavesPerEU: 1
; Occupancy: 16
; WaveLimiterHint : 0
; COMPUTE_PGM_RSRC2:SCRATCH_EN: 0
; COMPUTE_PGM_RSRC2:USER_SGPR: 15
; COMPUTE_PGM_RSRC2:TRAP_HANDLER: 0
; COMPUTE_PGM_RSRC2:TGID_X_EN: 1
; COMPUTE_PGM_RSRC2:TGID_Y_EN: 0
; COMPUTE_PGM_RSRC2:TGID_Z_EN: 0
; COMPUTE_PGM_RSRC2:TIDIG_COMP_CNT: 0
	.section	.text._ZN7rocprim17ROCPRIM_400000_NS6detail17trampoline_kernelINS0_14default_configENS1_36segmented_radix_sort_config_selectorIflEEZNS1_25segmented_radix_sort_implIS3_Lb1EPKfPfPKlPlN2at6native12_GLOBAL__N_18offset_tEEE10hipError_tPvRmT1_PNSt15iterator_traitsISK_E10value_typeET2_T3_PNSL_ISQ_E10value_typeET4_jRbjT5_SW_jjP12ihipStream_tbEUlT_E2_NS1_11comp_targetILNS1_3genE2ELNS1_11target_archE906ELNS1_3gpuE6ELNS1_3repE0EEENS1_30default_config_static_selectorELNS0_4arch9wavefront6targetE0EEEvSK_,"axG",@progbits,_ZN7rocprim17ROCPRIM_400000_NS6detail17trampoline_kernelINS0_14default_configENS1_36segmented_radix_sort_config_selectorIflEEZNS1_25segmented_radix_sort_implIS3_Lb1EPKfPfPKlPlN2at6native12_GLOBAL__N_18offset_tEEE10hipError_tPvRmT1_PNSt15iterator_traitsISK_E10value_typeET2_T3_PNSL_ISQ_E10value_typeET4_jRbjT5_SW_jjP12ihipStream_tbEUlT_E2_NS1_11comp_targetILNS1_3genE2ELNS1_11target_archE906ELNS1_3gpuE6ELNS1_3repE0EEENS1_30default_config_static_selectorELNS0_4arch9wavefront6targetE0EEEvSK_,comdat
	.globl	_ZN7rocprim17ROCPRIM_400000_NS6detail17trampoline_kernelINS0_14default_configENS1_36segmented_radix_sort_config_selectorIflEEZNS1_25segmented_radix_sort_implIS3_Lb1EPKfPfPKlPlN2at6native12_GLOBAL__N_18offset_tEEE10hipError_tPvRmT1_PNSt15iterator_traitsISK_E10value_typeET2_T3_PNSL_ISQ_E10value_typeET4_jRbjT5_SW_jjP12ihipStream_tbEUlT_E2_NS1_11comp_targetILNS1_3genE2ELNS1_11target_archE906ELNS1_3gpuE6ELNS1_3repE0EEENS1_30default_config_static_selectorELNS0_4arch9wavefront6targetE0EEEvSK_ ; -- Begin function _ZN7rocprim17ROCPRIM_400000_NS6detail17trampoline_kernelINS0_14default_configENS1_36segmented_radix_sort_config_selectorIflEEZNS1_25segmented_radix_sort_implIS3_Lb1EPKfPfPKlPlN2at6native12_GLOBAL__N_18offset_tEEE10hipError_tPvRmT1_PNSt15iterator_traitsISK_E10value_typeET2_T3_PNSL_ISQ_E10value_typeET4_jRbjT5_SW_jjP12ihipStream_tbEUlT_E2_NS1_11comp_targetILNS1_3genE2ELNS1_11target_archE906ELNS1_3gpuE6ELNS1_3repE0EEENS1_30default_config_static_selectorELNS0_4arch9wavefront6targetE0EEEvSK_
	.p2align	8
	.type	_ZN7rocprim17ROCPRIM_400000_NS6detail17trampoline_kernelINS0_14default_configENS1_36segmented_radix_sort_config_selectorIflEEZNS1_25segmented_radix_sort_implIS3_Lb1EPKfPfPKlPlN2at6native12_GLOBAL__N_18offset_tEEE10hipError_tPvRmT1_PNSt15iterator_traitsISK_E10value_typeET2_T3_PNSL_ISQ_E10value_typeET4_jRbjT5_SW_jjP12ihipStream_tbEUlT_E2_NS1_11comp_targetILNS1_3genE2ELNS1_11target_archE906ELNS1_3gpuE6ELNS1_3repE0EEENS1_30default_config_static_selectorELNS0_4arch9wavefront6targetE0EEEvSK_,@function
_ZN7rocprim17ROCPRIM_400000_NS6detail17trampoline_kernelINS0_14default_configENS1_36segmented_radix_sort_config_selectorIflEEZNS1_25segmented_radix_sort_implIS3_Lb1EPKfPfPKlPlN2at6native12_GLOBAL__N_18offset_tEEE10hipError_tPvRmT1_PNSt15iterator_traitsISK_E10value_typeET2_T3_PNSL_ISQ_E10value_typeET4_jRbjT5_SW_jjP12ihipStream_tbEUlT_E2_NS1_11comp_targetILNS1_3genE2ELNS1_11target_archE906ELNS1_3gpuE6ELNS1_3repE0EEENS1_30default_config_static_selectorELNS0_4arch9wavefront6targetE0EEEvSK_: ; @_ZN7rocprim17ROCPRIM_400000_NS6detail17trampoline_kernelINS0_14default_configENS1_36segmented_radix_sort_config_selectorIflEEZNS1_25segmented_radix_sort_implIS3_Lb1EPKfPfPKlPlN2at6native12_GLOBAL__N_18offset_tEEE10hipError_tPvRmT1_PNSt15iterator_traitsISK_E10value_typeET2_T3_PNSL_ISQ_E10value_typeET4_jRbjT5_SW_jjP12ihipStream_tbEUlT_E2_NS1_11comp_targetILNS1_3genE2ELNS1_11target_archE906ELNS1_3gpuE6ELNS1_3repE0EEENS1_30default_config_static_selectorELNS0_4arch9wavefront6targetE0EEEvSK_
; %bb.0:
	.section	.rodata,"a",@progbits
	.p2align	6, 0x0
	.amdhsa_kernel _ZN7rocprim17ROCPRIM_400000_NS6detail17trampoline_kernelINS0_14default_configENS1_36segmented_radix_sort_config_selectorIflEEZNS1_25segmented_radix_sort_implIS3_Lb1EPKfPfPKlPlN2at6native12_GLOBAL__N_18offset_tEEE10hipError_tPvRmT1_PNSt15iterator_traitsISK_E10value_typeET2_T3_PNSL_ISQ_E10value_typeET4_jRbjT5_SW_jjP12ihipStream_tbEUlT_E2_NS1_11comp_targetILNS1_3genE2ELNS1_11target_archE906ELNS1_3gpuE6ELNS1_3repE0EEENS1_30default_config_static_selectorELNS0_4arch9wavefront6targetE0EEEvSK_
		.amdhsa_group_segment_fixed_size 0
		.amdhsa_private_segment_fixed_size 0
		.amdhsa_kernarg_size 80
		.amdhsa_user_sgpr_count 15
		.amdhsa_user_sgpr_dispatch_ptr 0
		.amdhsa_user_sgpr_queue_ptr 0
		.amdhsa_user_sgpr_kernarg_segment_ptr 1
		.amdhsa_user_sgpr_dispatch_id 0
		.amdhsa_user_sgpr_private_segment_size 0
		.amdhsa_wavefront_size32 1
		.amdhsa_uses_dynamic_stack 0
		.amdhsa_enable_private_segment 0
		.amdhsa_system_sgpr_workgroup_id_x 1
		.amdhsa_system_sgpr_workgroup_id_y 0
		.amdhsa_system_sgpr_workgroup_id_z 0
		.amdhsa_system_sgpr_workgroup_info 0
		.amdhsa_system_vgpr_workitem_id 0
		.amdhsa_next_free_vgpr 1
		.amdhsa_next_free_sgpr 1
		.amdhsa_reserve_vcc 0
		.amdhsa_float_round_mode_32 0
		.amdhsa_float_round_mode_16_64 0
		.amdhsa_float_denorm_mode_32 3
		.amdhsa_float_denorm_mode_16_64 3
		.amdhsa_dx10_clamp 1
		.amdhsa_ieee_mode 1
		.amdhsa_fp16_overflow 0
		.amdhsa_workgroup_processor_mode 1
		.amdhsa_memory_ordered 1
		.amdhsa_forward_progress 0
		.amdhsa_shared_vgpr_count 0
		.amdhsa_exception_fp_ieee_invalid_op 0
		.amdhsa_exception_fp_denorm_src 0
		.amdhsa_exception_fp_ieee_div_zero 0
		.amdhsa_exception_fp_ieee_overflow 0
		.amdhsa_exception_fp_ieee_underflow 0
		.amdhsa_exception_fp_ieee_inexact 0
		.amdhsa_exception_int_div_zero 0
	.end_amdhsa_kernel
	.section	.text._ZN7rocprim17ROCPRIM_400000_NS6detail17trampoline_kernelINS0_14default_configENS1_36segmented_radix_sort_config_selectorIflEEZNS1_25segmented_radix_sort_implIS3_Lb1EPKfPfPKlPlN2at6native12_GLOBAL__N_18offset_tEEE10hipError_tPvRmT1_PNSt15iterator_traitsISK_E10value_typeET2_T3_PNSL_ISQ_E10value_typeET4_jRbjT5_SW_jjP12ihipStream_tbEUlT_E2_NS1_11comp_targetILNS1_3genE2ELNS1_11target_archE906ELNS1_3gpuE6ELNS1_3repE0EEENS1_30default_config_static_selectorELNS0_4arch9wavefront6targetE0EEEvSK_,"axG",@progbits,_ZN7rocprim17ROCPRIM_400000_NS6detail17trampoline_kernelINS0_14default_configENS1_36segmented_radix_sort_config_selectorIflEEZNS1_25segmented_radix_sort_implIS3_Lb1EPKfPfPKlPlN2at6native12_GLOBAL__N_18offset_tEEE10hipError_tPvRmT1_PNSt15iterator_traitsISK_E10value_typeET2_T3_PNSL_ISQ_E10value_typeET4_jRbjT5_SW_jjP12ihipStream_tbEUlT_E2_NS1_11comp_targetILNS1_3genE2ELNS1_11target_archE906ELNS1_3gpuE6ELNS1_3repE0EEENS1_30default_config_static_selectorELNS0_4arch9wavefront6targetE0EEEvSK_,comdat
.Lfunc_end1359:
	.size	_ZN7rocprim17ROCPRIM_400000_NS6detail17trampoline_kernelINS0_14default_configENS1_36segmented_radix_sort_config_selectorIflEEZNS1_25segmented_radix_sort_implIS3_Lb1EPKfPfPKlPlN2at6native12_GLOBAL__N_18offset_tEEE10hipError_tPvRmT1_PNSt15iterator_traitsISK_E10value_typeET2_T3_PNSL_ISQ_E10value_typeET4_jRbjT5_SW_jjP12ihipStream_tbEUlT_E2_NS1_11comp_targetILNS1_3genE2ELNS1_11target_archE906ELNS1_3gpuE6ELNS1_3repE0EEENS1_30default_config_static_selectorELNS0_4arch9wavefront6targetE0EEEvSK_, .Lfunc_end1359-_ZN7rocprim17ROCPRIM_400000_NS6detail17trampoline_kernelINS0_14default_configENS1_36segmented_radix_sort_config_selectorIflEEZNS1_25segmented_radix_sort_implIS3_Lb1EPKfPfPKlPlN2at6native12_GLOBAL__N_18offset_tEEE10hipError_tPvRmT1_PNSt15iterator_traitsISK_E10value_typeET2_T3_PNSL_ISQ_E10value_typeET4_jRbjT5_SW_jjP12ihipStream_tbEUlT_E2_NS1_11comp_targetILNS1_3genE2ELNS1_11target_archE906ELNS1_3gpuE6ELNS1_3repE0EEENS1_30default_config_static_selectorELNS0_4arch9wavefront6targetE0EEEvSK_
                                        ; -- End function
	.section	.AMDGPU.csdata,"",@progbits
; Kernel info:
; codeLenInByte = 0
; NumSgprs: 0
; NumVgprs: 0
; ScratchSize: 0
; MemoryBound: 0
; FloatMode: 240
; IeeeMode: 1
; LDSByteSize: 0 bytes/workgroup (compile time only)
; SGPRBlocks: 0
; VGPRBlocks: 0
; NumSGPRsForWavesPerEU: 1
; NumVGPRsForWavesPerEU: 1
; Occupancy: 16
; WaveLimiterHint : 0
; COMPUTE_PGM_RSRC2:SCRATCH_EN: 0
; COMPUTE_PGM_RSRC2:USER_SGPR: 15
; COMPUTE_PGM_RSRC2:TRAP_HANDLER: 0
; COMPUTE_PGM_RSRC2:TGID_X_EN: 1
; COMPUTE_PGM_RSRC2:TGID_Y_EN: 0
; COMPUTE_PGM_RSRC2:TGID_Z_EN: 0
; COMPUTE_PGM_RSRC2:TIDIG_COMP_CNT: 0
	.section	.text._ZN7rocprim17ROCPRIM_400000_NS6detail17trampoline_kernelINS0_14default_configENS1_36segmented_radix_sort_config_selectorIflEEZNS1_25segmented_radix_sort_implIS3_Lb1EPKfPfPKlPlN2at6native12_GLOBAL__N_18offset_tEEE10hipError_tPvRmT1_PNSt15iterator_traitsISK_E10value_typeET2_T3_PNSL_ISQ_E10value_typeET4_jRbjT5_SW_jjP12ihipStream_tbEUlT_E2_NS1_11comp_targetILNS1_3genE10ELNS1_11target_archE1201ELNS1_3gpuE5ELNS1_3repE0EEENS1_30default_config_static_selectorELNS0_4arch9wavefront6targetE0EEEvSK_,"axG",@progbits,_ZN7rocprim17ROCPRIM_400000_NS6detail17trampoline_kernelINS0_14default_configENS1_36segmented_radix_sort_config_selectorIflEEZNS1_25segmented_radix_sort_implIS3_Lb1EPKfPfPKlPlN2at6native12_GLOBAL__N_18offset_tEEE10hipError_tPvRmT1_PNSt15iterator_traitsISK_E10value_typeET2_T3_PNSL_ISQ_E10value_typeET4_jRbjT5_SW_jjP12ihipStream_tbEUlT_E2_NS1_11comp_targetILNS1_3genE10ELNS1_11target_archE1201ELNS1_3gpuE5ELNS1_3repE0EEENS1_30default_config_static_selectorELNS0_4arch9wavefront6targetE0EEEvSK_,comdat
	.globl	_ZN7rocprim17ROCPRIM_400000_NS6detail17trampoline_kernelINS0_14default_configENS1_36segmented_radix_sort_config_selectorIflEEZNS1_25segmented_radix_sort_implIS3_Lb1EPKfPfPKlPlN2at6native12_GLOBAL__N_18offset_tEEE10hipError_tPvRmT1_PNSt15iterator_traitsISK_E10value_typeET2_T3_PNSL_ISQ_E10value_typeET4_jRbjT5_SW_jjP12ihipStream_tbEUlT_E2_NS1_11comp_targetILNS1_3genE10ELNS1_11target_archE1201ELNS1_3gpuE5ELNS1_3repE0EEENS1_30default_config_static_selectorELNS0_4arch9wavefront6targetE0EEEvSK_ ; -- Begin function _ZN7rocprim17ROCPRIM_400000_NS6detail17trampoline_kernelINS0_14default_configENS1_36segmented_radix_sort_config_selectorIflEEZNS1_25segmented_radix_sort_implIS3_Lb1EPKfPfPKlPlN2at6native12_GLOBAL__N_18offset_tEEE10hipError_tPvRmT1_PNSt15iterator_traitsISK_E10value_typeET2_T3_PNSL_ISQ_E10value_typeET4_jRbjT5_SW_jjP12ihipStream_tbEUlT_E2_NS1_11comp_targetILNS1_3genE10ELNS1_11target_archE1201ELNS1_3gpuE5ELNS1_3repE0EEENS1_30default_config_static_selectorELNS0_4arch9wavefront6targetE0EEEvSK_
	.p2align	8
	.type	_ZN7rocprim17ROCPRIM_400000_NS6detail17trampoline_kernelINS0_14default_configENS1_36segmented_radix_sort_config_selectorIflEEZNS1_25segmented_radix_sort_implIS3_Lb1EPKfPfPKlPlN2at6native12_GLOBAL__N_18offset_tEEE10hipError_tPvRmT1_PNSt15iterator_traitsISK_E10value_typeET2_T3_PNSL_ISQ_E10value_typeET4_jRbjT5_SW_jjP12ihipStream_tbEUlT_E2_NS1_11comp_targetILNS1_3genE10ELNS1_11target_archE1201ELNS1_3gpuE5ELNS1_3repE0EEENS1_30default_config_static_selectorELNS0_4arch9wavefront6targetE0EEEvSK_,@function
_ZN7rocprim17ROCPRIM_400000_NS6detail17trampoline_kernelINS0_14default_configENS1_36segmented_radix_sort_config_selectorIflEEZNS1_25segmented_radix_sort_implIS3_Lb1EPKfPfPKlPlN2at6native12_GLOBAL__N_18offset_tEEE10hipError_tPvRmT1_PNSt15iterator_traitsISK_E10value_typeET2_T3_PNSL_ISQ_E10value_typeET4_jRbjT5_SW_jjP12ihipStream_tbEUlT_E2_NS1_11comp_targetILNS1_3genE10ELNS1_11target_archE1201ELNS1_3gpuE5ELNS1_3repE0EEENS1_30default_config_static_selectorELNS0_4arch9wavefront6targetE0EEEvSK_: ; @_ZN7rocprim17ROCPRIM_400000_NS6detail17trampoline_kernelINS0_14default_configENS1_36segmented_radix_sort_config_selectorIflEEZNS1_25segmented_radix_sort_implIS3_Lb1EPKfPfPKlPlN2at6native12_GLOBAL__N_18offset_tEEE10hipError_tPvRmT1_PNSt15iterator_traitsISK_E10value_typeET2_T3_PNSL_ISQ_E10value_typeET4_jRbjT5_SW_jjP12ihipStream_tbEUlT_E2_NS1_11comp_targetILNS1_3genE10ELNS1_11target_archE1201ELNS1_3gpuE5ELNS1_3repE0EEENS1_30default_config_static_selectorELNS0_4arch9wavefront6targetE0EEEvSK_
; %bb.0:
	.section	.rodata,"a",@progbits
	.p2align	6, 0x0
	.amdhsa_kernel _ZN7rocprim17ROCPRIM_400000_NS6detail17trampoline_kernelINS0_14default_configENS1_36segmented_radix_sort_config_selectorIflEEZNS1_25segmented_radix_sort_implIS3_Lb1EPKfPfPKlPlN2at6native12_GLOBAL__N_18offset_tEEE10hipError_tPvRmT1_PNSt15iterator_traitsISK_E10value_typeET2_T3_PNSL_ISQ_E10value_typeET4_jRbjT5_SW_jjP12ihipStream_tbEUlT_E2_NS1_11comp_targetILNS1_3genE10ELNS1_11target_archE1201ELNS1_3gpuE5ELNS1_3repE0EEENS1_30default_config_static_selectorELNS0_4arch9wavefront6targetE0EEEvSK_
		.amdhsa_group_segment_fixed_size 0
		.amdhsa_private_segment_fixed_size 0
		.amdhsa_kernarg_size 80
		.amdhsa_user_sgpr_count 15
		.amdhsa_user_sgpr_dispatch_ptr 0
		.amdhsa_user_sgpr_queue_ptr 0
		.amdhsa_user_sgpr_kernarg_segment_ptr 1
		.amdhsa_user_sgpr_dispatch_id 0
		.amdhsa_user_sgpr_private_segment_size 0
		.amdhsa_wavefront_size32 1
		.amdhsa_uses_dynamic_stack 0
		.amdhsa_enable_private_segment 0
		.amdhsa_system_sgpr_workgroup_id_x 1
		.amdhsa_system_sgpr_workgroup_id_y 0
		.amdhsa_system_sgpr_workgroup_id_z 0
		.amdhsa_system_sgpr_workgroup_info 0
		.amdhsa_system_vgpr_workitem_id 0
		.amdhsa_next_free_vgpr 1
		.amdhsa_next_free_sgpr 1
		.amdhsa_reserve_vcc 0
		.amdhsa_float_round_mode_32 0
		.amdhsa_float_round_mode_16_64 0
		.amdhsa_float_denorm_mode_32 3
		.amdhsa_float_denorm_mode_16_64 3
		.amdhsa_dx10_clamp 1
		.amdhsa_ieee_mode 1
		.amdhsa_fp16_overflow 0
		.amdhsa_workgroup_processor_mode 1
		.amdhsa_memory_ordered 1
		.amdhsa_forward_progress 0
		.amdhsa_shared_vgpr_count 0
		.amdhsa_exception_fp_ieee_invalid_op 0
		.amdhsa_exception_fp_denorm_src 0
		.amdhsa_exception_fp_ieee_div_zero 0
		.amdhsa_exception_fp_ieee_overflow 0
		.amdhsa_exception_fp_ieee_underflow 0
		.amdhsa_exception_fp_ieee_inexact 0
		.amdhsa_exception_int_div_zero 0
	.end_amdhsa_kernel
	.section	.text._ZN7rocprim17ROCPRIM_400000_NS6detail17trampoline_kernelINS0_14default_configENS1_36segmented_radix_sort_config_selectorIflEEZNS1_25segmented_radix_sort_implIS3_Lb1EPKfPfPKlPlN2at6native12_GLOBAL__N_18offset_tEEE10hipError_tPvRmT1_PNSt15iterator_traitsISK_E10value_typeET2_T3_PNSL_ISQ_E10value_typeET4_jRbjT5_SW_jjP12ihipStream_tbEUlT_E2_NS1_11comp_targetILNS1_3genE10ELNS1_11target_archE1201ELNS1_3gpuE5ELNS1_3repE0EEENS1_30default_config_static_selectorELNS0_4arch9wavefront6targetE0EEEvSK_,"axG",@progbits,_ZN7rocprim17ROCPRIM_400000_NS6detail17trampoline_kernelINS0_14default_configENS1_36segmented_radix_sort_config_selectorIflEEZNS1_25segmented_radix_sort_implIS3_Lb1EPKfPfPKlPlN2at6native12_GLOBAL__N_18offset_tEEE10hipError_tPvRmT1_PNSt15iterator_traitsISK_E10value_typeET2_T3_PNSL_ISQ_E10value_typeET4_jRbjT5_SW_jjP12ihipStream_tbEUlT_E2_NS1_11comp_targetILNS1_3genE10ELNS1_11target_archE1201ELNS1_3gpuE5ELNS1_3repE0EEENS1_30default_config_static_selectorELNS0_4arch9wavefront6targetE0EEEvSK_,comdat
.Lfunc_end1360:
	.size	_ZN7rocprim17ROCPRIM_400000_NS6detail17trampoline_kernelINS0_14default_configENS1_36segmented_radix_sort_config_selectorIflEEZNS1_25segmented_radix_sort_implIS3_Lb1EPKfPfPKlPlN2at6native12_GLOBAL__N_18offset_tEEE10hipError_tPvRmT1_PNSt15iterator_traitsISK_E10value_typeET2_T3_PNSL_ISQ_E10value_typeET4_jRbjT5_SW_jjP12ihipStream_tbEUlT_E2_NS1_11comp_targetILNS1_3genE10ELNS1_11target_archE1201ELNS1_3gpuE5ELNS1_3repE0EEENS1_30default_config_static_selectorELNS0_4arch9wavefront6targetE0EEEvSK_, .Lfunc_end1360-_ZN7rocprim17ROCPRIM_400000_NS6detail17trampoline_kernelINS0_14default_configENS1_36segmented_radix_sort_config_selectorIflEEZNS1_25segmented_radix_sort_implIS3_Lb1EPKfPfPKlPlN2at6native12_GLOBAL__N_18offset_tEEE10hipError_tPvRmT1_PNSt15iterator_traitsISK_E10value_typeET2_T3_PNSL_ISQ_E10value_typeET4_jRbjT5_SW_jjP12ihipStream_tbEUlT_E2_NS1_11comp_targetILNS1_3genE10ELNS1_11target_archE1201ELNS1_3gpuE5ELNS1_3repE0EEENS1_30default_config_static_selectorELNS0_4arch9wavefront6targetE0EEEvSK_
                                        ; -- End function
	.section	.AMDGPU.csdata,"",@progbits
; Kernel info:
; codeLenInByte = 0
; NumSgprs: 0
; NumVgprs: 0
; ScratchSize: 0
; MemoryBound: 0
; FloatMode: 240
; IeeeMode: 1
; LDSByteSize: 0 bytes/workgroup (compile time only)
; SGPRBlocks: 0
; VGPRBlocks: 0
; NumSGPRsForWavesPerEU: 1
; NumVGPRsForWavesPerEU: 1
; Occupancy: 16
; WaveLimiterHint : 0
; COMPUTE_PGM_RSRC2:SCRATCH_EN: 0
; COMPUTE_PGM_RSRC2:USER_SGPR: 15
; COMPUTE_PGM_RSRC2:TRAP_HANDLER: 0
; COMPUTE_PGM_RSRC2:TGID_X_EN: 1
; COMPUTE_PGM_RSRC2:TGID_Y_EN: 0
; COMPUTE_PGM_RSRC2:TGID_Z_EN: 0
; COMPUTE_PGM_RSRC2:TIDIG_COMP_CNT: 0
	.section	.text._ZN7rocprim17ROCPRIM_400000_NS6detail17trampoline_kernelINS0_14default_configENS1_36segmented_radix_sort_config_selectorIflEEZNS1_25segmented_radix_sort_implIS3_Lb1EPKfPfPKlPlN2at6native12_GLOBAL__N_18offset_tEEE10hipError_tPvRmT1_PNSt15iterator_traitsISK_E10value_typeET2_T3_PNSL_ISQ_E10value_typeET4_jRbjT5_SW_jjP12ihipStream_tbEUlT_E2_NS1_11comp_targetILNS1_3genE10ELNS1_11target_archE1200ELNS1_3gpuE4ELNS1_3repE0EEENS1_30default_config_static_selectorELNS0_4arch9wavefront6targetE0EEEvSK_,"axG",@progbits,_ZN7rocprim17ROCPRIM_400000_NS6detail17trampoline_kernelINS0_14default_configENS1_36segmented_radix_sort_config_selectorIflEEZNS1_25segmented_radix_sort_implIS3_Lb1EPKfPfPKlPlN2at6native12_GLOBAL__N_18offset_tEEE10hipError_tPvRmT1_PNSt15iterator_traitsISK_E10value_typeET2_T3_PNSL_ISQ_E10value_typeET4_jRbjT5_SW_jjP12ihipStream_tbEUlT_E2_NS1_11comp_targetILNS1_3genE10ELNS1_11target_archE1200ELNS1_3gpuE4ELNS1_3repE0EEENS1_30default_config_static_selectorELNS0_4arch9wavefront6targetE0EEEvSK_,comdat
	.globl	_ZN7rocprim17ROCPRIM_400000_NS6detail17trampoline_kernelINS0_14default_configENS1_36segmented_radix_sort_config_selectorIflEEZNS1_25segmented_radix_sort_implIS3_Lb1EPKfPfPKlPlN2at6native12_GLOBAL__N_18offset_tEEE10hipError_tPvRmT1_PNSt15iterator_traitsISK_E10value_typeET2_T3_PNSL_ISQ_E10value_typeET4_jRbjT5_SW_jjP12ihipStream_tbEUlT_E2_NS1_11comp_targetILNS1_3genE10ELNS1_11target_archE1200ELNS1_3gpuE4ELNS1_3repE0EEENS1_30default_config_static_selectorELNS0_4arch9wavefront6targetE0EEEvSK_ ; -- Begin function _ZN7rocprim17ROCPRIM_400000_NS6detail17trampoline_kernelINS0_14default_configENS1_36segmented_radix_sort_config_selectorIflEEZNS1_25segmented_radix_sort_implIS3_Lb1EPKfPfPKlPlN2at6native12_GLOBAL__N_18offset_tEEE10hipError_tPvRmT1_PNSt15iterator_traitsISK_E10value_typeET2_T3_PNSL_ISQ_E10value_typeET4_jRbjT5_SW_jjP12ihipStream_tbEUlT_E2_NS1_11comp_targetILNS1_3genE10ELNS1_11target_archE1200ELNS1_3gpuE4ELNS1_3repE0EEENS1_30default_config_static_selectorELNS0_4arch9wavefront6targetE0EEEvSK_
	.p2align	8
	.type	_ZN7rocprim17ROCPRIM_400000_NS6detail17trampoline_kernelINS0_14default_configENS1_36segmented_radix_sort_config_selectorIflEEZNS1_25segmented_radix_sort_implIS3_Lb1EPKfPfPKlPlN2at6native12_GLOBAL__N_18offset_tEEE10hipError_tPvRmT1_PNSt15iterator_traitsISK_E10value_typeET2_T3_PNSL_ISQ_E10value_typeET4_jRbjT5_SW_jjP12ihipStream_tbEUlT_E2_NS1_11comp_targetILNS1_3genE10ELNS1_11target_archE1200ELNS1_3gpuE4ELNS1_3repE0EEENS1_30default_config_static_selectorELNS0_4arch9wavefront6targetE0EEEvSK_,@function
_ZN7rocprim17ROCPRIM_400000_NS6detail17trampoline_kernelINS0_14default_configENS1_36segmented_radix_sort_config_selectorIflEEZNS1_25segmented_radix_sort_implIS3_Lb1EPKfPfPKlPlN2at6native12_GLOBAL__N_18offset_tEEE10hipError_tPvRmT1_PNSt15iterator_traitsISK_E10value_typeET2_T3_PNSL_ISQ_E10value_typeET4_jRbjT5_SW_jjP12ihipStream_tbEUlT_E2_NS1_11comp_targetILNS1_3genE10ELNS1_11target_archE1200ELNS1_3gpuE4ELNS1_3repE0EEENS1_30default_config_static_selectorELNS0_4arch9wavefront6targetE0EEEvSK_: ; @_ZN7rocprim17ROCPRIM_400000_NS6detail17trampoline_kernelINS0_14default_configENS1_36segmented_radix_sort_config_selectorIflEEZNS1_25segmented_radix_sort_implIS3_Lb1EPKfPfPKlPlN2at6native12_GLOBAL__N_18offset_tEEE10hipError_tPvRmT1_PNSt15iterator_traitsISK_E10value_typeET2_T3_PNSL_ISQ_E10value_typeET4_jRbjT5_SW_jjP12ihipStream_tbEUlT_E2_NS1_11comp_targetILNS1_3genE10ELNS1_11target_archE1200ELNS1_3gpuE4ELNS1_3repE0EEENS1_30default_config_static_selectorELNS0_4arch9wavefront6targetE0EEEvSK_
; %bb.0:
	.section	.rodata,"a",@progbits
	.p2align	6, 0x0
	.amdhsa_kernel _ZN7rocprim17ROCPRIM_400000_NS6detail17trampoline_kernelINS0_14default_configENS1_36segmented_radix_sort_config_selectorIflEEZNS1_25segmented_radix_sort_implIS3_Lb1EPKfPfPKlPlN2at6native12_GLOBAL__N_18offset_tEEE10hipError_tPvRmT1_PNSt15iterator_traitsISK_E10value_typeET2_T3_PNSL_ISQ_E10value_typeET4_jRbjT5_SW_jjP12ihipStream_tbEUlT_E2_NS1_11comp_targetILNS1_3genE10ELNS1_11target_archE1200ELNS1_3gpuE4ELNS1_3repE0EEENS1_30default_config_static_selectorELNS0_4arch9wavefront6targetE0EEEvSK_
		.amdhsa_group_segment_fixed_size 0
		.amdhsa_private_segment_fixed_size 0
		.amdhsa_kernarg_size 80
		.amdhsa_user_sgpr_count 15
		.amdhsa_user_sgpr_dispatch_ptr 0
		.amdhsa_user_sgpr_queue_ptr 0
		.amdhsa_user_sgpr_kernarg_segment_ptr 1
		.amdhsa_user_sgpr_dispatch_id 0
		.amdhsa_user_sgpr_private_segment_size 0
		.amdhsa_wavefront_size32 1
		.amdhsa_uses_dynamic_stack 0
		.amdhsa_enable_private_segment 0
		.amdhsa_system_sgpr_workgroup_id_x 1
		.amdhsa_system_sgpr_workgroup_id_y 0
		.amdhsa_system_sgpr_workgroup_id_z 0
		.amdhsa_system_sgpr_workgroup_info 0
		.amdhsa_system_vgpr_workitem_id 0
		.amdhsa_next_free_vgpr 1
		.amdhsa_next_free_sgpr 1
		.amdhsa_reserve_vcc 0
		.amdhsa_float_round_mode_32 0
		.amdhsa_float_round_mode_16_64 0
		.amdhsa_float_denorm_mode_32 3
		.amdhsa_float_denorm_mode_16_64 3
		.amdhsa_dx10_clamp 1
		.amdhsa_ieee_mode 1
		.amdhsa_fp16_overflow 0
		.amdhsa_workgroup_processor_mode 1
		.amdhsa_memory_ordered 1
		.amdhsa_forward_progress 0
		.amdhsa_shared_vgpr_count 0
		.amdhsa_exception_fp_ieee_invalid_op 0
		.amdhsa_exception_fp_denorm_src 0
		.amdhsa_exception_fp_ieee_div_zero 0
		.amdhsa_exception_fp_ieee_overflow 0
		.amdhsa_exception_fp_ieee_underflow 0
		.amdhsa_exception_fp_ieee_inexact 0
		.amdhsa_exception_int_div_zero 0
	.end_amdhsa_kernel
	.section	.text._ZN7rocprim17ROCPRIM_400000_NS6detail17trampoline_kernelINS0_14default_configENS1_36segmented_radix_sort_config_selectorIflEEZNS1_25segmented_radix_sort_implIS3_Lb1EPKfPfPKlPlN2at6native12_GLOBAL__N_18offset_tEEE10hipError_tPvRmT1_PNSt15iterator_traitsISK_E10value_typeET2_T3_PNSL_ISQ_E10value_typeET4_jRbjT5_SW_jjP12ihipStream_tbEUlT_E2_NS1_11comp_targetILNS1_3genE10ELNS1_11target_archE1200ELNS1_3gpuE4ELNS1_3repE0EEENS1_30default_config_static_selectorELNS0_4arch9wavefront6targetE0EEEvSK_,"axG",@progbits,_ZN7rocprim17ROCPRIM_400000_NS6detail17trampoline_kernelINS0_14default_configENS1_36segmented_radix_sort_config_selectorIflEEZNS1_25segmented_radix_sort_implIS3_Lb1EPKfPfPKlPlN2at6native12_GLOBAL__N_18offset_tEEE10hipError_tPvRmT1_PNSt15iterator_traitsISK_E10value_typeET2_T3_PNSL_ISQ_E10value_typeET4_jRbjT5_SW_jjP12ihipStream_tbEUlT_E2_NS1_11comp_targetILNS1_3genE10ELNS1_11target_archE1200ELNS1_3gpuE4ELNS1_3repE0EEENS1_30default_config_static_selectorELNS0_4arch9wavefront6targetE0EEEvSK_,comdat
.Lfunc_end1361:
	.size	_ZN7rocprim17ROCPRIM_400000_NS6detail17trampoline_kernelINS0_14default_configENS1_36segmented_radix_sort_config_selectorIflEEZNS1_25segmented_radix_sort_implIS3_Lb1EPKfPfPKlPlN2at6native12_GLOBAL__N_18offset_tEEE10hipError_tPvRmT1_PNSt15iterator_traitsISK_E10value_typeET2_T3_PNSL_ISQ_E10value_typeET4_jRbjT5_SW_jjP12ihipStream_tbEUlT_E2_NS1_11comp_targetILNS1_3genE10ELNS1_11target_archE1200ELNS1_3gpuE4ELNS1_3repE0EEENS1_30default_config_static_selectorELNS0_4arch9wavefront6targetE0EEEvSK_, .Lfunc_end1361-_ZN7rocprim17ROCPRIM_400000_NS6detail17trampoline_kernelINS0_14default_configENS1_36segmented_radix_sort_config_selectorIflEEZNS1_25segmented_radix_sort_implIS3_Lb1EPKfPfPKlPlN2at6native12_GLOBAL__N_18offset_tEEE10hipError_tPvRmT1_PNSt15iterator_traitsISK_E10value_typeET2_T3_PNSL_ISQ_E10value_typeET4_jRbjT5_SW_jjP12ihipStream_tbEUlT_E2_NS1_11comp_targetILNS1_3genE10ELNS1_11target_archE1200ELNS1_3gpuE4ELNS1_3repE0EEENS1_30default_config_static_selectorELNS0_4arch9wavefront6targetE0EEEvSK_
                                        ; -- End function
	.section	.AMDGPU.csdata,"",@progbits
; Kernel info:
; codeLenInByte = 0
; NumSgprs: 0
; NumVgprs: 0
; ScratchSize: 0
; MemoryBound: 0
; FloatMode: 240
; IeeeMode: 1
; LDSByteSize: 0 bytes/workgroup (compile time only)
; SGPRBlocks: 0
; VGPRBlocks: 0
; NumSGPRsForWavesPerEU: 1
; NumVGPRsForWavesPerEU: 1
; Occupancy: 16
; WaveLimiterHint : 0
; COMPUTE_PGM_RSRC2:SCRATCH_EN: 0
; COMPUTE_PGM_RSRC2:USER_SGPR: 15
; COMPUTE_PGM_RSRC2:TRAP_HANDLER: 0
; COMPUTE_PGM_RSRC2:TGID_X_EN: 1
; COMPUTE_PGM_RSRC2:TGID_Y_EN: 0
; COMPUTE_PGM_RSRC2:TGID_Z_EN: 0
; COMPUTE_PGM_RSRC2:TIDIG_COMP_CNT: 0
	.section	.text._ZN7rocprim17ROCPRIM_400000_NS6detail17trampoline_kernelINS0_14default_configENS1_36segmented_radix_sort_config_selectorIflEEZNS1_25segmented_radix_sort_implIS3_Lb1EPKfPfPKlPlN2at6native12_GLOBAL__N_18offset_tEEE10hipError_tPvRmT1_PNSt15iterator_traitsISK_E10value_typeET2_T3_PNSL_ISQ_E10value_typeET4_jRbjT5_SW_jjP12ihipStream_tbEUlT_E2_NS1_11comp_targetILNS1_3genE9ELNS1_11target_archE1100ELNS1_3gpuE3ELNS1_3repE0EEENS1_30default_config_static_selectorELNS0_4arch9wavefront6targetE0EEEvSK_,"axG",@progbits,_ZN7rocprim17ROCPRIM_400000_NS6detail17trampoline_kernelINS0_14default_configENS1_36segmented_radix_sort_config_selectorIflEEZNS1_25segmented_radix_sort_implIS3_Lb1EPKfPfPKlPlN2at6native12_GLOBAL__N_18offset_tEEE10hipError_tPvRmT1_PNSt15iterator_traitsISK_E10value_typeET2_T3_PNSL_ISQ_E10value_typeET4_jRbjT5_SW_jjP12ihipStream_tbEUlT_E2_NS1_11comp_targetILNS1_3genE9ELNS1_11target_archE1100ELNS1_3gpuE3ELNS1_3repE0EEENS1_30default_config_static_selectorELNS0_4arch9wavefront6targetE0EEEvSK_,comdat
	.globl	_ZN7rocprim17ROCPRIM_400000_NS6detail17trampoline_kernelINS0_14default_configENS1_36segmented_radix_sort_config_selectorIflEEZNS1_25segmented_radix_sort_implIS3_Lb1EPKfPfPKlPlN2at6native12_GLOBAL__N_18offset_tEEE10hipError_tPvRmT1_PNSt15iterator_traitsISK_E10value_typeET2_T3_PNSL_ISQ_E10value_typeET4_jRbjT5_SW_jjP12ihipStream_tbEUlT_E2_NS1_11comp_targetILNS1_3genE9ELNS1_11target_archE1100ELNS1_3gpuE3ELNS1_3repE0EEENS1_30default_config_static_selectorELNS0_4arch9wavefront6targetE0EEEvSK_ ; -- Begin function _ZN7rocprim17ROCPRIM_400000_NS6detail17trampoline_kernelINS0_14default_configENS1_36segmented_radix_sort_config_selectorIflEEZNS1_25segmented_radix_sort_implIS3_Lb1EPKfPfPKlPlN2at6native12_GLOBAL__N_18offset_tEEE10hipError_tPvRmT1_PNSt15iterator_traitsISK_E10value_typeET2_T3_PNSL_ISQ_E10value_typeET4_jRbjT5_SW_jjP12ihipStream_tbEUlT_E2_NS1_11comp_targetILNS1_3genE9ELNS1_11target_archE1100ELNS1_3gpuE3ELNS1_3repE0EEENS1_30default_config_static_selectorELNS0_4arch9wavefront6targetE0EEEvSK_
	.p2align	8
	.type	_ZN7rocprim17ROCPRIM_400000_NS6detail17trampoline_kernelINS0_14default_configENS1_36segmented_radix_sort_config_selectorIflEEZNS1_25segmented_radix_sort_implIS3_Lb1EPKfPfPKlPlN2at6native12_GLOBAL__N_18offset_tEEE10hipError_tPvRmT1_PNSt15iterator_traitsISK_E10value_typeET2_T3_PNSL_ISQ_E10value_typeET4_jRbjT5_SW_jjP12ihipStream_tbEUlT_E2_NS1_11comp_targetILNS1_3genE9ELNS1_11target_archE1100ELNS1_3gpuE3ELNS1_3repE0EEENS1_30default_config_static_selectorELNS0_4arch9wavefront6targetE0EEEvSK_,@function
_ZN7rocprim17ROCPRIM_400000_NS6detail17trampoline_kernelINS0_14default_configENS1_36segmented_radix_sort_config_selectorIflEEZNS1_25segmented_radix_sort_implIS3_Lb1EPKfPfPKlPlN2at6native12_GLOBAL__N_18offset_tEEE10hipError_tPvRmT1_PNSt15iterator_traitsISK_E10value_typeET2_T3_PNSL_ISQ_E10value_typeET4_jRbjT5_SW_jjP12ihipStream_tbEUlT_E2_NS1_11comp_targetILNS1_3genE9ELNS1_11target_archE1100ELNS1_3gpuE3ELNS1_3repE0EEENS1_30default_config_static_selectorELNS0_4arch9wavefront6targetE0EEEvSK_: ; @_ZN7rocprim17ROCPRIM_400000_NS6detail17trampoline_kernelINS0_14default_configENS1_36segmented_radix_sort_config_selectorIflEEZNS1_25segmented_radix_sort_implIS3_Lb1EPKfPfPKlPlN2at6native12_GLOBAL__N_18offset_tEEE10hipError_tPvRmT1_PNSt15iterator_traitsISK_E10value_typeET2_T3_PNSL_ISQ_E10value_typeET4_jRbjT5_SW_jjP12ihipStream_tbEUlT_E2_NS1_11comp_targetILNS1_3genE9ELNS1_11target_archE1100ELNS1_3gpuE3ELNS1_3repE0EEENS1_30default_config_static_selectorELNS0_4arch9wavefront6targetE0EEEvSK_
; %bb.0:
	s_load_b128 s[4:7], s[0:1], 0x34
	s_mov_b32 s32, 0
	s_waitcnt lgkmcnt(0)
	s_add_i32 s33, s5, s14
	s_add_i32 s34, s7, s14
	s_mul_i32 s33, s33, s4
	s_mul_i32 s34, s34, s6
	s_delay_alu instid0(SALU_CYCLE_1)
	s_cmp_le_u32 s34, s33
	s_cbranch_scc1 .LBB1362_683
; %bb.1:
	s_clause 0x3
	s_load_b32 s2, s[0:1], 0x30
	s_load_b128 s[52:55], s[0:1], 0x20
	s_load_b128 s[56:59], s[0:1], 0x44
	s_load_b256 s[44:51], s[0:1], 0x0
	s_waitcnt lgkmcnt(0)
	s_bitcmp1_b32 s2, 0
	s_mov_b32 s2, -1
	s_cselect_b32 s35, -1, 0
	s_sub_i32 s59, s34, s33
	s_delay_alu instid0(SALU_CYCLE_1)
	s_cmpk_lt_u32 s59, 0x801
	s_cbranch_scc0 .LBB1362_12
; %bb.2:
	s_cmp_lt_u32 s59, 33
	s_cbranch_scc0 .LBB1362_6
; %bb.3:
	s_load_b32 s2, s[0:1], 0x5c
	v_bfe_u32 v1, v0, 10, 10
	v_bfe_u32 v2, v0, 20, 10
	s_mov_b32 s18, exec_lo
	s_waitcnt lgkmcnt(0)
	s_lshr_b32 s3, s2, 16
	s_and_b32 s2, s2, 0xffff
	v_mad_u32_u24 v4, v2, s3, v1
	v_and_b32_e32 v1, 0x3ff, v0
	s_delay_alu instid0(VALU_DEP_1) | instskip(NEXT) | instid1(VALU_DEP_1)
	v_mad_u64_u32 v[2:3], null, v4, s2, v[1:2]
	v_cmpx_gt_u32_e32 8, v2
	s_cbranch_execz .LBB1362_5
; %bb.4:
	s_bitcmp1_b32 s56, 0
	v_mov_b32_e32 v31, v0
	s_cselect_b32 s2, -1, 0
	v_dual_mov_b32 v40, v0 :: v_dual_mov_b32 v1, s45
	s_xor_b32 s4, s35, s2
	s_mov_b64 s[2:3], src_shared_base
	s_xor_b32 s2, s4, -1
	v_mov_b32_e32 v0, s44
	v_cndmask_b32_e64 v12, 0, 1, s2
	v_dual_mov_b32 v2, s46 :: v_dual_mov_b32 v3, s47
	v_dual_mov_b32 v4, s48 :: v_dual_mov_b32 v5, s49
	;; [unrolled: 1-line block ×7, first 2 shown]
	s_add_u32 s8, s0, 0x50
	s_addc_u32 s9, s1, 0
	s_mov_b32 s12, s14
	s_mov_b32 s13, s15
	s_getpc_b64 s[4:5]
	s_add_u32 s4, s4, _ZN7rocprim17ROCPRIM_400000_NS6detail26segmented_warp_sort_helperINS1_20WarpSortHelperConfigILj8ELj4ELj256EEEflLi256ELb1EvE4sortIPKfPfPKlPlEEvT_S9_T0_T1_SC_T2_bjjjjRNS5_12storage_typeE@rel32@lo+4
	s_addc_u32 s5, s5, _ZN7rocprim17ROCPRIM_400000_NS6detail26segmented_warp_sort_helperINS1_20WarpSortHelperConfigILj8ELj4ELj256EEEflLi256ELb1EvE4sortIPKfPfPKlPlEEvT_S9_T0_T1_SC_T2_bjjjjRNS5_12storage_typeE@rel32@hi+12
	s_mov_b64 s[16:17], s[0:1]
	s_mov_b32 s20, s15
	s_mov_b32 s19, s14
	s_swappc_b64 s[30:31], s[4:5]
	v_mov_b32_e32 v0, v40
	s_mov_b32 s14, s19
	s_mov_b32 s15, s20
	s_mov_b64 s[0:1], s[16:17]
.LBB1362_5:
	s_or_b32 exec_lo, exec_lo, s18
	s_mov_b32 s2, 0
.LBB1362_6:
	s_delay_alu instid0(SALU_CYCLE_1)
	s_and_not1_b32 vcc_lo, exec_lo, s2
	s_cbranch_vccnz .LBB1362_11
; %bb.7:
	v_cndmask_b32_e64 v1, 0, 1, s35
	s_and_b32 s2, s56, 1
	s_delay_alu instid0(VALU_DEP_1) | instid1(SALU_CYCLE_1)
	v_cmp_ne_u32_e32 vcc_lo, s2, v1
	s_mov_b32 s2, -1
	s_cbranch_vccnz .LBB1362_9
; %bb.8:
	s_mov_b64 s[2:3], src_shared_base
	v_mov_b32_e32 v31, v0
	v_dual_mov_b32 v41, v0 :: v_dual_mov_b32 v2, s48
	v_dual_mov_b32 v0, s44 :: v_dual_mov_b32 v1, s45
	;; [unrolled: 1-line block ×7, first 2 shown]
	v_mov_b32_e32 v13, s3
	s_add_u32 s8, s0, 0x50
	s_addc_u32 s9, s1, 0
	s_mov_b32 s12, s14
	s_mov_b32 s13, s15
	s_getpc_b64 s[4:5]
	s_add_u32 s4, s4, _ZN7rocprim17ROCPRIM_400000_NS6detail40segmented_radix_sort_single_block_helperIflLj256ELj8ELb1EE4sortIPKfPfPKlPlEEbT_T0_T1_T2_jjjjRNS3_12storage_typeE@rel32@lo+4
	s_addc_u32 s5, s5, _ZN7rocprim17ROCPRIM_400000_NS6detail40segmented_radix_sort_single_block_helperIflLj256ELj8ELb1EE4sortIPKfPfPKlPlEEbT_T0_T1_T2_jjjjRNS3_12storage_typeE@rel32@hi+12
	s_mov_b64 s[26:27], s[0:1]
	s_mov_b32 s28, s15
	s_mov_b32 s29, s14
	s_swappc_b64 s[30:31], s[4:5]
	v_mov_b32_e32 v0, v41
	s_mov_b32 s14, s29
	s_mov_b32 s15, s28
	s_mov_b64 s[0:1], s[26:27]
	s_mov_b32 s2, 0
.LBB1362_9:
	s_delay_alu instid0(SALU_CYCLE_1)
	s_and_not1_b32 vcc_lo, exec_lo, s2
	s_cbranch_vccnz .LBB1362_11
; %bb.10:
	s_mov_b64 s[2:3], src_shared_base
	v_mov_b32_e32 v31, v0
	v_dual_mov_b32 v41, v0 :: v_dual_mov_b32 v2, s46
	v_dual_mov_b32 v0, s44 :: v_dual_mov_b32 v1, s45
	;; [unrolled: 1-line block ×7, first 2 shown]
	v_mov_b32_e32 v13, s3
	s_add_u32 s8, s0, 0x50
	s_addc_u32 s9, s1, 0
	s_mov_b32 s12, s14
	s_mov_b32 s13, s15
	s_getpc_b64 s[4:5]
	s_add_u32 s4, s4, _ZN7rocprim17ROCPRIM_400000_NS6detail40segmented_radix_sort_single_block_helperIflLj256ELj8ELb1EE4sortIPKfPfPKlPlEEbT_T0_T1_T2_jjjjRNS3_12storage_typeE@rel32@lo+4
	s_addc_u32 s5, s5, _ZN7rocprim17ROCPRIM_400000_NS6detail40segmented_radix_sort_single_block_helperIflLj256ELj8ELb1EE4sortIPKfPfPKlPlEEbT_T0_T1_T2_jjjjRNS3_12storage_typeE@rel32@hi+12
	s_mov_b64 s[26:27], s[0:1]
	s_mov_b32 s29, s15
	s_mov_b32 s28, s14
	s_swappc_b64 s[30:31], s[4:5]
	v_mov_b32_e32 v0, v41
	s_mov_b32 s14, s28
	s_mov_b32 s15, s29
	s_mov_b64 s[0:1], s[26:27]
.LBB1362_11:
	s_mov_b32 s2, 0
.LBB1362_12:
	s_delay_alu instid0(SALU_CYCLE_1)
	s_and_not1_b32 vcc_lo, exec_lo, s2
	s_cbranch_vccnz .LBB1362_683
; %bb.13:
	s_cmp_ge_u32 s57, s58
	s_cbranch_scc1 .LBB1362_683
; %bb.14:
	v_dual_mov_b32 v71, 1 :: v_dual_and_b32 v18, 0x3ff, v0
	v_bfe_u32 v48, v0, 20, 10
	v_bfe_u32 v50, v0, 10, 10
	s_delay_alu instid0(VALU_DEP_3)
	v_dual_mov_b32 v20, 0 :: v_dual_lshlrev_b32 v31, 2, v18
	v_lshrrev_b32_e32 v1, 3, v18
	v_or_b32_e32 v2, 31, v18
	v_lshlrev_b32_e32 v3, 5, v18
	v_or_b32_e32 v32, 0x100, v18
	v_mad_u32_u24 v43, v18, 12, v31
	v_and_b32_e32 v41, 28, v1
	v_lshlrev_b32_e32 v1, 3, v18
	v_cmp_eq_u32_e64 s3, v2, v18
	v_add_nc_u32_e32 v2, 1, v18
	v_mad_u32_u24 v49, v18, 20, v43
	v_add_co_u32 v36, s2, s48, v31
	v_and_b32_e32 v47, 0x700, v1
	v_mul_u32_u24_e32 v1, 9, v18
	v_mul_u32_u24_e32 v0, 9, v2
	v_or_b32_e32 v33, 0x200, v18
	v_or_b32_e32 v34, 0x300, v18
	v_and_b32_e32 v35, 3, v18
	v_lshl_add_u32 v51, v1, 2, 0x420
	v_lshlrev_b32_e32 v1, 3, v47
	v_lshlrev_b32_e32 v53, 2, v0
	;; [unrolled: 1-line block ×3, first 2 shown]
	v_add_co_ci_u32_e64 v37, null, s49, 0, s2
	s_delay_alu instid0(VALU_DEP_4) | instskip(NEXT) | instid1(VALU_DEP_1)
	v_add_co_u32 v54, s7, s54, v1
	v_add_co_ci_u32_e64 v55, null, s55, 0, s7
	s_delay_alu instid0(VALU_DEP_4) | instskip(NEXT) | instid1(VALU_DEP_1)
	v_add_co_u32 v56, s7, s48, v0
	v_add_co_ci_u32_e64 v57, null, s49, 0, s7
	v_add_co_u32 v59, s7, s46, v31
	s_delay_alu instid0(VALU_DEP_1) | instskip(SKIP_1) | instid1(VALU_DEP_1)
	v_add_co_ci_u32_e64 v60, null, s47, 0, s7
	v_add_co_u32 v61, s7, s52, v1
	v_add_co_ci_u32_e64 v62, null, s53, 0, s7
	v_add_co_u32 v63, s7, s46, v0
	s_delay_alu instid0(VALU_DEP_1) | instskip(SKIP_1) | instid1(VALU_DEP_1)
	v_add_co_ci_u32_e64 v64, null, s47, 0, s7
	v_add_co_u32 v65, s7, s44, v31
	v_add_co_ci_u32_e64 v66, null, s45, 0, s7
	v_add_co_u32 v67, s7, s50, v1
	s_delay_alu instid0(VALU_DEP_1)
	v_add_co_ci_u32_e64 v68, null, s51, 0, s7
	v_add_co_u32 v69, s7, s44, v0
	v_or_b32_e32 v38, 0x400, v18
	v_or_b32_e32 v39, 0x500, v18
	v_or_b32_e32 v40, 0x600, v18
	v_or_b32_e32 v42, 0x700, v18
	v_cmp_gt_u32_e64 s2, 0x100, v18
	v_or_b32_e32 v44, 0x4400, v41
	v_cmp_gt_u32_e64 s4, 8, v18
	v_add_nc_u32_e32 v45, 0x4400, v31
	v_cmp_lt_u32_e64 s5, 31, v18
	v_dual_mov_b32 v1, -1 :: v_dual_add_nc_u32 v46, 0x43fc, v41
	s_add_u32 s28, s0, 0x50
	v_sub_nc_u32_e32 v52, v49, v3
	v_cmp_eq_u32_e64 s0, 0, v18
	v_cmp_ne_u32_e64 s6, 0x100, v2
	v_add_nc_u32_e32 v58, 0x400, v31
	v_add_co_ci_u32_e64 v70, null, s45, 0, s7
	v_mbcnt_lo_u32_b32 v72, -1, 0
	s_mov_b32 s27, 0
	s_addc_u32 s29, s1, 0
	s_mov_b32 s36, -1
	s_mov_b32 s25, s57
	s_branch .LBB1362_17
.LBB1362_15:                            ;   in Loop: Header=BB1362_17 Depth=1
	s_waitcnt lgkmcnt(0)
	s_barrier
.LBB1362_16:                            ;   in Loop: Header=BB1362_17 Depth=1
	s_add_i32 s25, s25, 8
	buffer_gl0_inv
	s_cmp_ge_u32 s25, s58
	s_cbranch_scc1 .LBB1362_683
.LBB1362_17:                            ; =>This Loop Header: Depth=1
                                        ;     Child Loop BB1362_21 Depth 2
                                        ;     Child Loop BB1362_71 Depth 2
	;; [unrolled: 1-line block ×8, first 2 shown]
	s_sub_i32 s1, s58, s25
	s_xor_b32 s35, s35, -1
	s_min_u32 s1, s1, 8
	ds_store_2addr_stride64_b32 v31, v20, v20 offset1:4
	s_lshl_b32 s1, -1, s1
	ds_store_2addr_stride64_b32 v31, v20, v20 offset0:8 offset1:12
	s_not_b32 s30, s1
	s_cmp_lg_u32 s25, s57
	s_mov_b32 s1, s36
	s_waitcnt lgkmcnt(0)
	s_waitcnt_vscnt null, 0x0
	s_cbranch_scc0 .LBB1362_351
; %bb.18:                               ;   in Loop: Header=BB1362_17 Depth=1
	s_and_b32 vcc_lo, exec_lo, s35
	s_mov_b32 s1, -1
	s_cbranch_vccz .LBB1362_184
; %bb.19:                               ;   in Loop: Header=BB1362_17 Depth=1
	s_mov_b32 s1, s59
	s_mov_b32 s26, s33
	s_barrier
	buffer_gl0_inv
                                        ; implicit-def: $vgpr2_vgpr3_vgpr4_vgpr5_vgpr6_vgpr7_vgpr8_vgpr9
	s_branch .LBB1362_21
.LBB1362_20:                            ;   in Loop: Header=BB1362_21 Depth=2
	s_or_b32 exec_lo, exec_lo, s8
	s_addk_i32 s1, 0xf800
	s_cmp_ge_u32 s7, s34
	s_mov_b32 s26, s7
	s_cbranch_scc1 .LBB1362_59
.LBB1362_21:                            ;   Parent Loop BB1362_17 Depth=1
                                        ; =>  This Inner Loop Header: Depth=2
	s_add_i32 s7, s26, 0x800
	s_delay_alu instid0(SALU_CYCLE_1)
	s_cmp_gt_u32 s7, s34
	s_cbranch_scc1 .LBB1362_24
; %bb.22:                               ;   in Loop: Header=BB1362_21 Depth=2
	s_mov_b32 s9, 0
	s_mov_b32 s8, s26
	s_delay_alu instid0(SALU_CYCLE_1) | instskip(NEXT) | instid1(SALU_CYCLE_1)
	s_lshl_b64 s[10:11], s[8:9], 2
	v_add_co_u32 v21, vcc_lo, v36, s10
	v_add_co_ci_u32_e32 v22, vcc_lo, s11, v37, vcc_lo
	s_mov_b32 s10, -1
	s_waitcnt vmcnt(0)
	s_delay_alu instid0(VALU_DEP_2) | instskip(NEXT) | instid1(VALU_DEP_2)
	v_add_co_u32 v16, vcc_lo, 0x1000, v21
	v_add_co_ci_u32_e32 v17, vcc_lo, 0, v22, vcc_lo
	s_clause 0x6
	global_load_b32 v10, v[21:22], off
	global_load_b32 v11, v[21:22], off offset:1024
	global_load_b32 v12, v[21:22], off offset:2048
	;; [unrolled: 1-line block ×3, first 2 shown]
	global_load_b32 v14, v[16:17], off
	global_load_b32 v15, v[16:17], off offset:1024
	global_load_b32 v16, v[16:17], off offset:2048
	v_add_co_u32 v21, vcc_lo, 0x1c00, v21
	v_add_co_ci_u32_e32 v22, vcc_lo, 0, v22, vcc_lo
	s_movk_i32 s11, 0x800
	s_cbranch_execz .LBB1362_25
; %bb.23:                               ;   in Loop: Header=BB1362_21 Depth=2
                                        ; implicit-def: $vgpr2_vgpr3_vgpr4_vgpr5_vgpr6_vgpr7_vgpr8_vgpr9
	v_mov_b32_e32 v0, s1
	s_and_saveexec_b32 s8, s10
	s_cbranch_execnz .LBB1362_36
	s_branch .LBB1362_37
.LBB1362_24:                            ;   in Loop: Header=BB1362_21 Depth=2
	s_mov_b32 s10, 0
                                        ; implicit-def: $sgpr11
                                        ; implicit-def: $vgpr10_vgpr11_vgpr12_vgpr13_vgpr14_vgpr15_vgpr16_vgpr17
                                        ; implicit-def: $vgpr21_vgpr22
.LBB1362_25:                            ;   in Loop: Header=BB1362_21 Depth=2
	s_lshl_b64 s[8:9], s[26:27], 2
	s_mov_b32 s11, exec_lo
	s_add_u32 s8, s48, s8
	s_addc_u32 s9, s49, s9
	v_cmpx_gt_u32_e64 s1, v18
	s_cbranch_execz .LBB1362_53
; %bb.26:                               ;   in Loop: Header=BB1362_21 Depth=2
	v_lshlrev_b32_e32 v0, 2, v18
	global_load_b32 v2, v0, s[8:9]
	s_or_b32 exec_lo, exec_lo, s11
	s_delay_alu instid0(SALU_CYCLE_1)
	s_mov_b32 s11, exec_lo
	v_cmpx_gt_u32_e64 s1, v32
	s_cbranch_execnz .LBB1362_54
.LBB1362_27:                            ;   in Loop: Header=BB1362_21 Depth=2
	s_or_b32 exec_lo, exec_lo, s11
	s_delay_alu instid0(SALU_CYCLE_1)
	s_mov_b32 s11, exec_lo
	v_cmpx_gt_u32_e64 s1, v33
	s_cbranch_execz .LBB1362_55
.LBB1362_28:                            ;   in Loop: Header=BB1362_21 Depth=2
	v_lshlrev_b32_e32 v0, 2, v18
	global_load_b32 v4, v0, s[8:9] offset:2048
	s_or_b32 exec_lo, exec_lo, s11
	s_delay_alu instid0(SALU_CYCLE_1)
	s_mov_b32 s11, exec_lo
	v_cmpx_gt_u32_e64 s1, v34
	s_cbranch_execnz .LBB1362_56
.LBB1362_29:                            ;   in Loop: Header=BB1362_21 Depth=2
	s_or_b32 exec_lo, exec_lo, s11
	s_delay_alu instid0(SALU_CYCLE_1)
	s_mov_b32 s11, exec_lo
	v_cmpx_gt_u32_e64 s1, v38
	s_cbranch_execz .LBB1362_57
.LBB1362_30:                            ;   in Loop: Header=BB1362_21 Depth=2
	v_lshlrev_b32_e32 v0, 2, v38
	global_load_b32 v6, v0, s[8:9]
	s_or_b32 exec_lo, exec_lo, s11
	s_delay_alu instid0(SALU_CYCLE_1)
	s_mov_b32 s11, exec_lo
	v_cmpx_gt_u32_e64 s1, v39
	s_cbranch_execnz .LBB1362_58
.LBB1362_31:                            ;   in Loop: Header=BB1362_21 Depth=2
	s_or_b32 exec_lo, exec_lo, s11
	s_delay_alu instid0(SALU_CYCLE_1)
	s_mov_b32 s11, exec_lo
	v_cmpx_gt_u32_e64 s1, v40
	s_cbranch_execz .LBB1362_33
.LBB1362_32:                            ;   in Loop: Header=BB1362_21 Depth=2
	v_lshlrev_b32_e32 v0, 2, v40
	global_load_b32 v8, v0, s[8:9]
.LBB1362_33:                            ;   in Loop: Header=BB1362_21 Depth=2
	s_or_b32 exec_lo, exec_lo, s11
	s_delay_alu instid0(SALU_CYCLE_1)
	s_mov_b32 s12, exec_lo
                                        ; implicit-def: $sgpr11
                                        ; implicit-def: $vgpr21_vgpr22
	v_cmpx_gt_u32_e64 s1, v42
; %bb.34:                               ;   in Loop: Header=BB1362_21 Depth=2
	v_lshlrev_b32_e32 v0, 2, v42
	s_sub_i32 s11, s34, s26
	s_or_b32 s10, s10, exec_lo
	s_delay_alu instid0(VALU_DEP_1) | instskip(NEXT) | instid1(VALU_DEP_1)
	v_add_co_u32 v21, s8, s8, v0
	v_add_co_ci_u32_e64 v22, null, s9, 0, s8
; %bb.35:                               ;   in Loop: Header=BB1362_21 Depth=2
	s_or_b32 exec_lo, exec_lo, s12
	s_waitcnt vmcnt(0)
	v_dual_mov_b32 v17, v9 :: v_dual_mov_b32 v16, v8
	v_dual_mov_b32 v15, v7 :: v_dual_mov_b32 v14, v6
	;; [unrolled: 1-line block ×4, first 2 shown]
	v_mov_b32_e32 v0, s1
	s_and_saveexec_b32 s8, s10
	s_cbranch_execz .LBB1362_37
.LBB1362_36:                            ;   in Loop: Header=BB1362_21 Depth=2
	global_load_b32 v17, v[21:22], off
	s_waitcnt vmcnt(0)
	v_dual_mov_b32 v2, v10 :: v_dual_mov_b32 v5, v13
	v_dual_mov_b32 v0, s11 :: v_dual_mov_b32 v3, v11
	;; [unrolled: 1-line block ×3, first 2 shown]
	v_mov_b32_e32 v6, v14
	v_dual_mov_b32 v8, v16 :: v_dual_mov_b32 v9, v17
.LBB1362_37:                            ;   in Loop: Header=BB1362_21 Depth=2
	s_or_b32 exec_lo, exec_lo, s8
	s_delay_alu instid0(SALU_CYCLE_1)
	s_mov_b32 s8, exec_lo
	v_cmpx_lt_u32_e64 v18, v0
	s_cbranch_execz .LBB1362_45
; %bb.38:                               ;   in Loop: Header=BB1362_21 Depth=2
	v_cmp_gt_i32_e32 vcc_lo, 0, v2
	s_waitcnt vmcnt(5)
	v_lshlrev_b32_e32 v11, 2, v35
	v_cndmask_b32_e64 v10, 0x7fffffff, 0, vcc_lo
	s_delay_alu instid0(VALU_DEP_1) | instskip(NEXT) | instid1(VALU_DEP_1)
	v_xor_b32_e32 v10, v10, v2
	v_cmp_ne_u32_e32 vcc_lo, 0x80000000, v10
	v_cndmask_b32_e32 v10, 0x7fffffff, v10, vcc_lo
	s_delay_alu instid0(VALU_DEP_1) | instskip(NEXT) | instid1(VALU_DEP_1)
	v_lshrrev_b32_e32 v10, s25, v10
	v_and_b32_e32 v10, s30, v10
	s_delay_alu instid0(VALU_DEP_1) | instskip(SKIP_2) | instid1(SALU_CYCLE_1)
	v_lshl_or_b32 v10, v10, 4, v11
	ds_add_u32 v10, v71
	s_or_b32 exec_lo, exec_lo, s8
	s_mov_b32 s8, exec_lo
	v_cmpx_lt_u32_e64 v32, v0
	s_cbranch_execnz .LBB1362_46
.LBB1362_39:                            ;   in Loop: Header=BB1362_21 Depth=2
	s_or_b32 exec_lo, exec_lo, s8
	s_delay_alu instid0(SALU_CYCLE_1)
	s_mov_b32 s8, exec_lo
	v_cmpx_lt_u32_e64 v33, v0
	s_cbranch_execz .LBB1362_47
.LBB1362_40:                            ;   in Loop: Header=BB1362_21 Depth=2
	v_cmp_gt_i32_e32 vcc_lo, 0, v4
	s_waitcnt vmcnt(5)
	v_lshlrev_b32_e32 v11, 2, v35
	v_cndmask_b32_e64 v10, 0x7fffffff, 0, vcc_lo
	s_delay_alu instid0(VALU_DEP_1) | instskip(NEXT) | instid1(VALU_DEP_1)
	v_xor_b32_e32 v10, v10, v4
	v_cmp_ne_u32_e32 vcc_lo, 0x80000000, v10
	v_cndmask_b32_e32 v10, 0x7fffffff, v10, vcc_lo
	s_delay_alu instid0(VALU_DEP_1) | instskip(NEXT) | instid1(VALU_DEP_1)
	v_lshrrev_b32_e32 v10, s25, v10
	v_and_b32_e32 v10, s30, v10
	s_delay_alu instid0(VALU_DEP_1) | instskip(SKIP_2) | instid1(SALU_CYCLE_1)
	v_lshl_or_b32 v10, v10, 4, v11
	ds_add_u32 v10, v71
	s_or_b32 exec_lo, exec_lo, s8
	s_mov_b32 s8, exec_lo
	v_cmpx_lt_u32_e64 v34, v0
	s_cbranch_execnz .LBB1362_48
.LBB1362_41:                            ;   in Loop: Header=BB1362_21 Depth=2
	s_or_b32 exec_lo, exec_lo, s8
	s_delay_alu instid0(SALU_CYCLE_1)
	s_mov_b32 s8, exec_lo
	v_cmpx_lt_u32_e64 v38, v0
	s_cbranch_execz .LBB1362_49
.LBB1362_42:                            ;   in Loop: Header=BB1362_21 Depth=2
	v_cmp_gt_i32_e32 vcc_lo, 0, v6
	s_waitcnt vmcnt(5)
	v_lshlrev_b32_e32 v11, 2, v35
	v_cndmask_b32_e64 v10, 0x7fffffff, 0, vcc_lo
	s_delay_alu instid0(VALU_DEP_1) | instskip(NEXT) | instid1(VALU_DEP_1)
	v_xor_b32_e32 v10, v10, v6
	v_cmp_ne_u32_e32 vcc_lo, 0x80000000, v10
	v_cndmask_b32_e32 v10, 0x7fffffff, v10, vcc_lo
	s_delay_alu instid0(VALU_DEP_1) | instskip(NEXT) | instid1(VALU_DEP_1)
	v_lshrrev_b32_e32 v10, s25, v10
	v_and_b32_e32 v10, s30, v10
	s_delay_alu instid0(VALU_DEP_1) | instskip(SKIP_2) | instid1(SALU_CYCLE_1)
	v_lshl_or_b32 v10, v10, 4, v11
	ds_add_u32 v10, v71
	s_or_b32 exec_lo, exec_lo, s8
	s_mov_b32 s8, exec_lo
	v_cmpx_lt_u32_e64 v39, v0
	s_cbranch_execnz .LBB1362_50
.LBB1362_43:                            ;   in Loop: Header=BB1362_21 Depth=2
	s_or_b32 exec_lo, exec_lo, s8
	s_delay_alu instid0(SALU_CYCLE_1)
	s_mov_b32 s8, exec_lo
	v_cmpx_lt_u32_e64 v40, v0
	s_cbranch_execz .LBB1362_51
.LBB1362_44:                            ;   in Loop: Header=BB1362_21 Depth=2
	v_cmp_gt_i32_e32 vcc_lo, 0, v8
	s_waitcnt vmcnt(5)
	v_lshlrev_b32_e32 v11, 2, v35
	v_cndmask_b32_e64 v10, 0x7fffffff, 0, vcc_lo
	s_delay_alu instid0(VALU_DEP_1) | instskip(NEXT) | instid1(VALU_DEP_1)
	v_xor_b32_e32 v10, v10, v8
	v_cmp_ne_u32_e32 vcc_lo, 0x80000000, v10
	v_cndmask_b32_e32 v10, 0x7fffffff, v10, vcc_lo
	s_delay_alu instid0(VALU_DEP_1) | instskip(NEXT) | instid1(VALU_DEP_1)
	v_lshrrev_b32_e32 v10, s25, v10
	v_and_b32_e32 v10, s30, v10
	s_delay_alu instid0(VALU_DEP_1) | instskip(SKIP_2) | instid1(SALU_CYCLE_1)
	v_lshl_or_b32 v10, v10, 4, v11
	ds_add_u32 v10, v71
	s_or_b32 exec_lo, exec_lo, s8
	s_mov_b32 s8, exec_lo
	v_cmpx_lt_u32_e64 v42, v0
	s_cbranch_execz .LBB1362_20
	s_branch .LBB1362_52
.LBB1362_45:                            ;   in Loop: Header=BB1362_21 Depth=2
	s_or_b32 exec_lo, exec_lo, s8
	s_delay_alu instid0(SALU_CYCLE_1)
	s_mov_b32 s8, exec_lo
	v_cmpx_lt_u32_e64 v32, v0
	s_cbranch_execz .LBB1362_39
.LBB1362_46:                            ;   in Loop: Header=BB1362_21 Depth=2
	v_cmp_gt_i32_e32 vcc_lo, 0, v3
	s_waitcnt vmcnt(5)
	v_lshlrev_b32_e32 v11, 2, v35
	v_cndmask_b32_e64 v10, 0x7fffffff, 0, vcc_lo
	s_delay_alu instid0(VALU_DEP_1) | instskip(NEXT) | instid1(VALU_DEP_1)
	v_xor_b32_e32 v10, v10, v3
	v_cmp_ne_u32_e32 vcc_lo, 0x80000000, v10
	v_cndmask_b32_e32 v10, 0x7fffffff, v10, vcc_lo
	s_delay_alu instid0(VALU_DEP_1) | instskip(NEXT) | instid1(VALU_DEP_1)
	v_lshrrev_b32_e32 v10, s25, v10
	v_and_b32_e32 v10, s30, v10
	s_delay_alu instid0(VALU_DEP_1) | instskip(SKIP_2) | instid1(SALU_CYCLE_1)
	v_lshl_or_b32 v10, v10, 4, v11
	ds_add_u32 v10, v71
	s_or_b32 exec_lo, exec_lo, s8
	s_mov_b32 s8, exec_lo
	v_cmpx_lt_u32_e64 v33, v0
	s_cbranch_execnz .LBB1362_40
.LBB1362_47:                            ;   in Loop: Header=BB1362_21 Depth=2
	s_or_b32 exec_lo, exec_lo, s8
	s_delay_alu instid0(SALU_CYCLE_1)
	s_mov_b32 s8, exec_lo
	v_cmpx_lt_u32_e64 v34, v0
	s_cbranch_execz .LBB1362_41
.LBB1362_48:                            ;   in Loop: Header=BB1362_21 Depth=2
	v_cmp_gt_i32_e32 vcc_lo, 0, v5
	s_waitcnt vmcnt(5)
	v_lshlrev_b32_e32 v11, 2, v35
	v_cndmask_b32_e64 v10, 0x7fffffff, 0, vcc_lo
	s_delay_alu instid0(VALU_DEP_1) | instskip(NEXT) | instid1(VALU_DEP_1)
	v_xor_b32_e32 v10, v10, v5
	v_cmp_ne_u32_e32 vcc_lo, 0x80000000, v10
	v_cndmask_b32_e32 v10, 0x7fffffff, v10, vcc_lo
	s_delay_alu instid0(VALU_DEP_1) | instskip(NEXT) | instid1(VALU_DEP_1)
	v_lshrrev_b32_e32 v10, s25, v10
	v_and_b32_e32 v10, s30, v10
	s_delay_alu instid0(VALU_DEP_1) | instskip(SKIP_2) | instid1(SALU_CYCLE_1)
	v_lshl_or_b32 v10, v10, 4, v11
	ds_add_u32 v10, v71
	s_or_b32 exec_lo, exec_lo, s8
	s_mov_b32 s8, exec_lo
	v_cmpx_lt_u32_e64 v38, v0
	s_cbranch_execnz .LBB1362_42
.LBB1362_49:                            ;   in Loop: Header=BB1362_21 Depth=2
	s_or_b32 exec_lo, exec_lo, s8
	s_delay_alu instid0(SALU_CYCLE_1)
	s_mov_b32 s8, exec_lo
	v_cmpx_lt_u32_e64 v39, v0
	s_cbranch_execz .LBB1362_43
.LBB1362_50:                            ;   in Loop: Header=BB1362_21 Depth=2
	v_cmp_gt_i32_e32 vcc_lo, 0, v7
	s_waitcnt vmcnt(5)
	v_lshlrev_b32_e32 v11, 2, v35
	v_cndmask_b32_e64 v10, 0x7fffffff, 0, vcc_lo
	s_delay_alu instid0(VALU_DEP_1) | instskip(NEXT) | instid1(VALU_DEP_1)
	v_xor_b32_e32 v10, v10, v7
	v_cmp_ne_u32_e32 vcc_lo, 0x80000000, v10
	v_cndmask_b32_e32 v10, 0x7fffffff, v10, vcc_lo
	s_delay_alu instid0(VALU_DEP_1) | instskip(NEXT) | instid1(VALU_DEP_1)
	v_lshrrev_b32_e32 v10, s25, v10
	v_and_b32_e32 v10, s30, v10
	s_delay_alu instid0(VALU_DEP_1) | instskip(SKIP_2) | instid1(SALU_CYCLE_1)
	v_lshl_or_b32 v10, v10, 4, v11
	ds_add_u32 v10, v71
	s_or_b32 exec_lo, exec_lo, s8
	s_mov_b32 s8, exec_lo
	v_cmpx_lt_u32_e64 v40, v0
	s_cbranch_execnz .LBB1362_44
.LBB1362_51:                            ;   in Loop: Header=BB1362_21 Depth=2
	s_or_b32 exec_lo, exec_lo, s8
	s_delay_alu instid0(SALU_CYCLE_1)
	s_mov_b32 s8, exec_lo
	v_cmpx_lt_u32_e64 v42, v0
	s_cbranch_execz .LBB1362_20
.LBB1362_52:                            ;   in Loop: Header=BB1362_21 Depth=2
	v_cmp_gt_i32_e32 vcc_lo, 0, v9
	s_waitcnt vmcnt(6)
	v_lshlrev_b32_e32 v10, 2, v35
	v_cndmask_b32_e64 v0, 0x7fffffff, 0, vcc_lo
	s_delay_alu instid0(VALU_DEP_1) | instskip(NEXT) | instid1(VALU_DEP_1)
	v_xor_b32_e32 v0, v0, v9
	v_cmp_ne_u32_e32 vcc_lo, 0x80000000, v0
	v_cndmask_b32_e32 v0, 0x7fffffff, v0, vcc_lo
	s_delay_alu instid0(VALU_DEP_1) | instskip(NEXT) | instid1(VALU_DEP_1)
	v_lshrrev_b32_e32 v0, s25, v0
	v_and_b32_e32 v0, s30, v0
	s_delay_alu instid0(VALU_DEP_1)
	v_lshl_or_b32 v0, v0, 4, v10
	ds_add_u32 v0, v71
	s_branch .LBB1362_20
.LBB1362_53:                            ;   in Loop: Header=BB1362_21 Depth=2
	s_or_b32 exec_lo, exec_lo, s11
	s_delay_alu instid0(SALU_CYCLE_1)
	s_mov_b32 s11, exec_lo
	v_cmpx_gt_u32_e64 s1, v32
	s_cbranch_execz .LBB1362_27
.LBB1362_54:                            ;   in Loop: Header=BB1362_21 Depth=2
	v_lshlrev_b32_e32 v0, 2, v18
	global_load_b32 v3, v0, s[8:9] offset:1024
	s_or_b32 exec_lo, exec_lo, s11
	s_delay_alu instid0(SALU_CYCLE_1)
	s_mov_b32 s11, exec_lo
	v_cmpx_gt_u32_e64 s1, v33
	s_cbranch_execnz .LBB1362_28
.LBB1362_55:                            ;   in Loop: Header=BB1362_21 Depth=2
	s_or_b32 exec_lo, exec_lo, s11
	s_delay_alu instid0(SALU_CYCLE_1)
	s_mov_b32 s11, exec_lo
	v_cmpx_gt_u32_e64 s1, v34
	s_cbranch_execz .LBB1362_29
.LBB1362_56:                            ;   in Loop: Header=BB1362_21 Depth=2
	v_lshlrev_b32_e32 v0, 2, v18
	global_load_b32 v5, v0, s[8:9] offset:3072
	s_or_b32 exec_lo, exec_lo, s11
	s_delay_alu instid0(SALU_CYCLE_1)
	s_mov_b32 s11, exec_lo
	v_cmpx_gt_u32_e64 s1, v38
	s_cbranch_execnz .LBB1362_30
.LBB1362_57:                            ;   in Loop: Header=BB1362_21 Depth=2
	s_or_b32 exec_lo, exec_lo, s11
	s_delay_alu instid0(SALU_CYCLE_1)
	s_mov_b32 s11, exec_lo
	v_cmpx_gt_u32_e64 s1, v39
	s_cbranch_execz .LBB1362_31
.LBB1362_58:                            ;   in Loop: Header=BB1362_21 Depth=2
	v_lshlrev_b32_e32 v0, 2, v39
	global_load_b32 v7, v0, s[8:9]
	s_or_b32 exec_lo, exec_lo, s11
	s_delay_alu instid0(SALU_CYCLE_1)
	s_mov_b32 s11, exec_lo
	v_cmpx_gt_u32_e64 s1, v40
	s_cbranch_execz .LBB1362_33
	s_branch .LBB1362_32
.LBB1362_59:                            ;   in Loop: Header=BB1362_17 Depth=1
	v_mov_b32_e32 v0, 0
	s_waitcnt vmcnt(0) lgkmcnt(0)
	s_barrier
	buffer_gl0_inv
	s_and_saveexec_b32 s1, s2
	s_cbranch_execz .LBB1362_61
; %bb.60:                               ;   in Loop: Header=BB1362_17 Depth=1
	ds_load_2addr_b64 v[2:5], v43 offset1:1
	s_waitcnt lgkmcnt(0)
	v_add_nc_u32_e32 v0, v3, v2
	s_delay_alu instid0(VALU_DEP_1)
	v_add3_u32 v0, v0, v4, v5
.LBB1362_61:                            ;   in Loop: Header=BB1362_17 Depth=1
	s_or_b32 exec_lo, exec_lo, s1
	v_and_b32_e32 v2, 15, v72
	s_delay_alu instid0(VALU_DEP_2) | instskip(SKIP_1) | instid1(VALU_DEP_3)
	v_mov_b32_dpp v3, v0 row_shr:1 row_mask:0xf bank_mask:0xf
	v_and_b32_e32 v4, 16, v72
	v_cmp_eq_u32_e64 s1, 0, v2
	v_cmp_lt_u32_e64 s7, 1, v2
	v_cmp_lt_u32_e64 s8, 3, v2
	v_cmp_lt_u32_e64 s9, 7, v2
	v_cmp_eq_u32_e64 s10, 0, v4
	v_cndmask_b32_e64 v3, v3, 0, s1
	s_delay_alu instid0(VALU_DEP_1) | instskip(NEXT) | instid1(VALU_DEP_1)
	v_add_nc_u32_e32 v0, v3, v0
	v_mov_b32_dpp v3, v0 row_shr:2 row_mask:0xf bank_mask:0xf
	s_delay_alu instid0(VALU_DEP_1) | instskip(NEXT) | instid1(VALU_DEP_1)
	v_cndmask_b32_e64 v3, 0, v3, s7
	v_add_nc_u32_e32 v0, v0, v3
	s_delay_alu instid0(VALU_DEP_1) | instskip(NEXT) | instid1(VALU_DEP_1)
	v_mov_b32_dpp v3, v0 row_shr:4 row_mask:0xf bank_mask:0xf
	v_cndmask_b32_e64 v3, 0, v3, s8
	s_delay_alu instid0(VALU_DEP_1) | instskip(NEXT) | instid1(VALU_DEP_1)
	v_add_nc_u32_e32 v0, v0, v3
	v_mov_b32_dpp v3, v0 row_shr:8 row_mask:0xf bank_mask:0xf
	s_delay_alu instid0(VALU_DEP_1) | instskip(SKIP_1) | instid1(VALU_DEP_2)
	v_cndmask_b32_e64 v2, 0, v3, s9
	v_bfe_i32 v3, v72, 4, 1
	v_add_nc_u32_e32 v0, v0, v2
	ds_swizzle_b32 v2, v0 offset:swizzle(BROADCAST,32,15)
	s_waitcnt lgkmcnt(0)
	v_and_b32_e32 v2, v3, v2
	s_delay_alu instid0(VALU_DEP_1)
	v_add_nc_u32_e32 v2, v0, v2
	s_and_saveexec_b32 s11, s3
	s_cbranch_execz .LBB1362_63
; %bb.62:                               ;   in Loop: Header=BB1362_17 Depth=1
	ds_store_b32 v44, v2
.LBB1362_63:                            ;   in Loop: Header=BB1362_17 Depth=1
	s_or_b32 exec_lo, exec_lo, s11
	v_and_b32_e32 v0, 7, v72
	s_waitcnt lgkmcnt(0)
	s_barrier
	buffer_gl0_inv
	s_and_saveexec_b32 s11, s4
	s_cbranch_execz .LBB1362_65
; %bb.64:                               ;   in Loop: Header=BB1362_17 Depth=1
	ds_load_b32 v3, v45
	v_cmp_ne_u32_e32 vcc_lo, 0, v0
	s_waitcnt lgkmcnt(0)
	v_mov_b32_dpp v4, v3 row_shr:1 row_mask:0xf bank_mask:0xf
	s_delay_alu instid0(VALU_DEP_1) | instskip(SKIP_1) | instid1(VALU_DEP_2)
	v_cndmask_b32_e32 v4, 0, v4, vcc_lo
	v_cmp_lt_u32_e32 vcc_lo, 1, v0
	v_add_nc_u32_e32 v3, v4, v3
	s_delay_alu instid0(VALU_DEP_1) | instskip(NEXT) | instid1(VALU_DEP_1)
	v_mov_b32_dpp v4, v3 row_shr:2 row_mask:0xf bank_mask:0xf
	v_cndmask_b32_e32 v4, 0, v4, vcc_lo
	v_cmp_lt_u32_e32 vcc_lo, 3, v0
	s_delay_alu instid0(VALU_DEP_2) | instskip(NEXT) | instid1(VALU_DEP_1)
	v_add_nc_u32_e32 v3, v3, v4
	v_mov_b32_dpp v4, v3 row_shr:4 row_mask:0xf bank_mask:0xf
	s_delay_alu instid0(VALU_DEP_1) | instskip(NEXT) | instid1(VALU_DEP_1)
	v_cndmask_b32_e32 v4, 0, v4, vcc_lo
	v_add_nc_u32_e32 v3, v3, v4
	ds_store_b32 v45, v3
.LBB1362_65:                            ;   in Loop: Header=BB1362_17 Depth=1
	s_or_b32 exec_lo, exec_lo, s11
	v_mov_b32_e32 v3, 0
	s_waitcnt lgkmcnt(0)
	s_barrier
	buffer_gl0_inv
	s_and_saveexec_b32 s11, s5
	s_cbranch_execz .LBB1362_67
; %bb.66:                               ;   in Loop: Header=BB1362_17 Depth=1
	ds_load_b32 v3, v46
.LBB1362_67:                            ;   in Loop: Header=BB1362_17 Depth=1
	s_or_b32 exec_lo, exec_lo, s11
	v_add_nc_u32_e32 v4, -1, v72
	s_waitcnt lgkmcnt(0)
	v_add_nc_u32_e32 v2, v3, v2
	v_cmp_eq_u32_e64 s11, 0, v72
	s_barrier
	v_cmp_gt_i32_e32 vcc_lo, 0, v4
	buffer_gl0_inv
	v_cndmask_b32_e32 v4, v4, v72, vcc_lo
	s_delay_alu instid0(VALU_DEP_1)
	v_lshlrev_b32_e32 v73, 2, v4
	ds_bpermute_b32 v2, v73, v2
	s_and_saveexec_b32 s12, s2
	s_cbranch_execz .LBB1362_69
; %bb.68:                               ;   in Loop: Header=BB1362_17 Depth=1
	s_waitcnt lgkmcnt(0)
	v_cndmask_b32_e64 v2, v2, v3, s11
	s_delay_alu instid0(VALU_DEP_1)
	v_add_nc_u32_e32 v2, s33, v2
	ds_store_b32 v31, v2
.LBB1362_69:                            ;   in Loop: Header=BB1362_17 Depth=1
	s_or_b32 exec_lo, exec_lo, s12
	s_clause 0x1
	s_load_b32 s12, s[28:29], 0x4
	s_load_b32 s17, s[28:29], 0xc
	v_lshlrev_b32_e32 v3, 3, v72
	v_cmp_lt_u32_e64 s16, 3, v0
	v_or_b32_e32 v74, v72, v47
	s_mov_b32 s31, s59
	s_mov_b32 s26, s33
	v_add_co_u32 v75, vcc_lo, v54, v3
	v_add_co_ci_u32_e32 v76, vcc_lo, 0, v55, vcc_lo
	v_or_b32_e32 v77, 32, v74
	v_or_b32_e32 v78, 64, v74
	;; [unrolled: 1-line block ×7, first 2 shown]
                                        ; implicit-def: $vgpr10_vgpr11
                                        ; implicit-def: $vgpr12_vgpr13
                                        ; implicit-def: $vgpr14_vgpr15
                                        ; implicit-def: $vgpr16_vgpr17
                                        ; implicit-def: $vgpr21_vgpr22
                                        ; implicit-def: $vgpr23_vgpr24
                                        ; implicit-def: $vgpr25_vgpr26
                                        ; implicit-def: $vgpr27_vgpr28
                                        ; implicit-def: $vgpr89
                                        ; implicit-def: $vgpr90
                                        ; implicit-def: $vgpr91
                                        ; implicit-def: $vgpr92
                                        ; implicit-def: $vgpr93
                                        ; implicit-def: $vgpr94
                                        ; implicit-def: $vgpr95
                                        ; implicit-def: $vgpr96
	s_waitcnt lgkmcnt(0)
	s_cmp_lt_u32 s15, s12
	s_cselect_b32 s12, 14, 20
	s_delay_alu instid0(SALU_CYCLE_1)
	s_add_u32 s12, s28, s12
	s_addc_u32 s13, s29, 0
	s_and_b32 s17, s17, 0xffff
	global_load_u16 v2, v20, s[12:13]
	v_cmp_eq_u32_e64 s12, 0, v0
	v_cmp_lt_u32_e64 s13, 1, v0
	v_lshlrev_b32_e32 v0, 2, v72
	s_delay_alu instid0(VALU_DEP_1) | instskip(SKIP_1) | instid1(VALU_DEP_2)
	v_add_co_u32 v84, vcc_lo, v56, v0
	v_add_co_ci_u32_e32 v85, vcc_lo, 0, v57, vcc_lo
	v_add_co_u32 v87, vcc_lo, 0x380, v84
	s_delay_alu instid0(VALU_DEP_2) | instskip(SKIP_2) | instid1(VALU_DEP_1)
	v_add_co_ci_u32_e32 v88, vcc_lo, 0, v85, vcc_lo
	s_waitcnt vmcnt(0)
	v_mad_u32_u24 v4, v48, v2, v50
	v_mad_u64_u32 v[2:3], null, v4, s17, v[18:19]
	s_delay_alu instid0(VALU_DEP_1)
	v_lshrrev_b32_e32 v86, 5, v2
	s_branch .LBB1362_71
.LBB1362_70:                            ;   in Loop: Header=BB1362_71 Depth=2
	s_or_b32 exec_lo, exec_lo, s17
	s_addk_i32 s31, 0xf800
	s_cmp_lt_u32 s50, s34
	s_mov_b32 s26, s50
	s_cbranch_scc0 .LBB1362_183
.LBB1362_71:                            ;   Parent Loop BB1362_17 Depth=1
                                        ; =>  This Inner Loop Header: Depth=2
	s_add_i32 s50, s26, 0x800
	s_delay_alu instid0(SALU_CYCLE_1)
	s_cmp_gt_u32 s50, s34
	s_cbranch_scc1 .LBB1362_73
; %bb.72:                               ;   in Loop: Header=BB1362_71 Depth=2
	s_mov_b32 s19, 0
	s_mov_b32 s18, s26
	s_movk_i32 s17, 0x800
	s_lshl_b64 s[20:21], s[18:19], 2
	s_delay_alu instid0(SALU_CYCLE_1)
	v_add_co_u32 v8, vcc_lo, v84, s20
	v_add_co_ci_u32_e32 v9, vcc_lo, s21, v85, vcc_lo
	s_mov_b32 s20, -1
	s_clause 0x6
	global_load_b32 v2, v[8:9], off
	global_load_b32 v3, v[8:9], off offset:128
	global_load_b32 v4, v[8:9], off offset:256
	;; [unrolled: 1-line block ×6, first 2 shown]
	s_cbranch_execz .LBB1362_74
	s_branch .LBB1362_83
.LBB1362_73:                            ;   in Loop: Header=BB1362_71 Depth=2
	s_mov_b32 s19, -1
	s_mov_b32 s20, 0
                                        ; implicit-def: $sgpr17
                                        ; implicit-def: $vgpr2_vgpr3_vgpr4_vgpr5_vgpr6_vgpr7_vgpr8_vgpr9
.LBB1362_74:                            ;   in Loop: Header=BB1362_71 Depth=2
	s_lshl_b64 s[18:19], s[26:27], 2
	s_mov_b32 s37, s36
	v_add_co_u32 v29, vcc_lo, v84, s18
	s_mov_b32 s38, s36
	s_mov_b32 s39, s36
	s_mov_b32 s40, s36
	s_mov_b32 s41, s36
	s_mov_b32 s42, s36
	s_mov_b32 s43, s36
	s_waitcnt vmcnt(0)
	v_dual_mov_b32 v2, s36 :: v_dual_mov_b32 v3, s37
	v_add_co_ci_u32_e32 v30, vcc_lo, s19, v85, vcc_lo
	v_dual_mov_b32 v4, s38 :: v_dual_mov_b32 v5, s39
	v_dual_mov_b32 v6, s40 :: v_dual_mov_b32 v7, s41
	;; [unrolled: 1-line block ×3, first 2 shown]
	s_mov_b32 s17, exec_lo
	v_cmpx_gt_u32_e64 s31, v74
	s_cbranch_execz .LBB1362_177
; %bb.75:                               ;   in Loop: Header=BB1362_71 Depth=2
	global_load_b32 v0, v[29:30], off
	v_mov_b32_e32 v7, v1
	v_mov_b32_e32 v2, v1
	;; [unrolled: 1-line block ×6, first 2 shown]
	s_waitcnt vmcnt(0)
	v_mov_b32_e32 v9, v7
	s_delay_alu instid0(VALU_DEP_2)
	v_dual_mov_b32 v8, v6 :: v_dual_mov_b32 v7, v5
	v_mov_b32_e32 v6, v4
	v_mov_b32_e32 v5, v3
	;; [unrolled: 1-line block ×5, first 2 shown]
	s_or_b32 exec_lo, exec_lo, s17
	s_delay_alu instid0(SALU_CYCLE_1)
	s_mov_b32 s17, exec_lo
	v_cmpx_gt_u32_e64 s31, v77
	s_cbranch_execnz .LBB1362_178
.LBB1362_76:                            ;   in Loop: Header=BB1362_71 Depth=2
	s_or_b32 exec_lo, exec_lo, s17
	s_delay_alu instid0(SALU_CYCLE_1)
	s_mov_b32 s17, exec_lo
	v_cmpx_gt_u32_e64 s31, v78
	s_cbranch_execz .LBB1362_179
.LBB1362_77:                            ;   in Loop: Header=BB1362_71 Depth=2
	global_load_b32 v4, v[29:30], off offset:256
	s_or_b32 exec_lo, exec_lo, s17
	s_delay_alu instid0(SALU_CYCLE_1)
	s_mov_b32 s17, exec_lo
	v_cmpx_gt_u32_e64 s31, v79
	s_cbranch_execnz .LBB1362_180
.LBB1362_78:                            ;   in Loop: Header=BB1362_71 Depth=2
	s_or_b32 exec_lo, exec_lo, s17
	s_delay_alu instid0(SALU_CYCLE_1)
	s_mov_b32 s17, exec_lo
	v_cmpx_gt_u32_e64 s31, v80
	s_cbranch_execz .LBB1362_181
.LBB1362_79:                            ;   in Loop: Header=BB1362_71 Depth=2
	global_load_b32 v6, v[29:30], off offset:512
	s_or_b32 exec_lo, exec_lo, s17
	s_delay_alu instid0(SALU_CYCLE_1)
	s_mov_b32 s17, exec_lo
	v_cmpx_gt_u32_e64 s31, v81
	s_cbranch_execnz .LBB1362_182
.LBB1362_80:                            ;   in Loop: Header=BB1362_71 Depth=2
	s_or_b32 exec_lo, exec_lo, s17
	s_delay_alu instid0(SALU_CYCLE_1)
	s_mov_b32 s17, exec_lo
	v_cmpx_gt_u32_e64 s31, v82
	s_cbranch_execz .LBB1362_82
.LBB1362_81:                            ;   in Loop: Header=BB1362_71 Depth=2
	global_load_b32 v8, v[29:30], off offset:768
.LBB1362_82:                            ;   in Loop: Header=BB1362_71 Depth=2
	s_or_b32 exec_lo, exec_lo, s17
	v_cmp_gt_u32_e64 s20, s31, v83
	s_sub_i32 s17, s34, s26
	s_mov_b64 s[18:19], s[26:27]
.LBB1362_83:                            ;   in Loop: Header=BB1362_71 Depth=2
	v_mov_b32_e32 v0, s31
	s_delay_alu instid0(VALU_DEP_2)
	s_and_saveexec_b32 s21, s20
	s_cbranch_execz .LBB1362_85
; %bb.84:                               ;   in Loop: Header=BB1362_71 Depth=2
	s_lshl_b64 s[18:19], s[18:19], 2
	v_mov_b32_e32 v0, s17
	v_add_co_u32 v29, vcc_lo, v87, s18
	v_add_co_ci_u32_e32 v30, vcc_lo, s19, v88, vcc_lo
	global_load_b32 v9, v[29:30], off
.LBB1362_85:                            ;   in Loop: Header=BB1362_71 Depth=2
	s_or_b32 exec_lo, exec_lo, s21
	s_waitcnt vmcnt(6)
	v_cmp_gt_i32_e32 vcc_lo, 0, v2
	ds_store_b32 v49, v20 offset:1056
	ds_store_2addr_b32 v51, v20, v20 offset0:1 offset1:2
	ds_store_2addr_b32 v51, v20, v20 offset0:3 offset1:4
	;; [unrolled: 1-line block ×4, first 2 shown]
	s_waitcnt vmcnt(0) lgkmcnt(0)
	s_barrier
	v_cndmask_b32_e64 v19, 0x7fffffff, 0, vcc_lo
	buffer_gl0_inv
	; wave barrier
	v_xor_b32_e32 v19, v19, v2
	s_delay_alu instid0(VALU_DEP_1) | instskip(SKIP_1) | instid1(VALU_DEP_1)
	v_cmp_ne_u32_e32 vcc_lo, 0x80000000, v19
	v_cndmask_b32_e32 v2, 0x7fffffff, v19, vcc_lo
	v_lshrrev_b32_e32 v2, s25, v2
	s_delay_alu instid0(VALU_DEP_1) | instskip(NEXT) | instid1(VALU_DEP_1)
	v_and_b32_e32 v30, s30, v2
	v_lshlrev_b32_e32 v29, 30, v30
	v_and_b32_e32 v2, 1, v30
	v_lshlrev_b32_e32 v97, 29, v30
	v_lshlrev_b32_e32 v98, 28, v30
	;; [unrolled: 1-line block ×3, first 2 shown]
	v_not_b32_e32 v103, v29
	v_add_co_u32 v2, s17, v2, -1
	s_delay_alu instid0(VALU_DEP_1)
	v_cndmask_b32_e64 v99, 0, 1, s17
	v_cmp_gt_i32_e64 s17, 0, v29
	v_not_b32_e32 v29, v97
	v_ashrrev_i32_e32 v103, 31, v103
	v_lshlrev_b32_e32 v101, 26, v30
	v_cmp_ne_u32_e32 vcc_lo, 0, v99
	v_lshlrev_b32_e32 v102, 25, v30
	v_ashrrev_i32_e32 v29, 31, v29
	v_xor_b32_e32 v103, s17, v103
	v_cmp_gt_i32_e64 s17, 0, v98
	v_xor_b32_e32 v2, vcc_lo, v2
	v_cmp_gt_i32_e32 vcc_lo, 0, v97
	v_not_b32_e32 v97, v98
	v_not_b32_e32 v98, v100
	v_lshlrev_b32_e32 v99, 24, v30
	v_and_b32_e32 v2, exec_lo, v2
	v_xor_b32_e32 v29, vcc_lo, v29
	v_ashrrev_i32_e32 v97, 31, v97
	v_cmp_gt_i32_e32 vcc_lo, 0, v100
	v_not_b32_e32 v100, v101
	v_and_b32_e32 v2, v2, v103
	v_ashrrev_i32_e32 v98, 31, v98
	v_xor_b32_e32 v97, s17, v97
	v_cmp_gt_i32_e64 s17, 0, v101
	v_ashrrev_i32_e32 v100, 31, v100
	v_and_b32_e32 v2, v2, v29
	v_not_b32_e32 v29, v102
	v_xor_b32_e32 v98, vcc_lo, v98
	v_cmp_gt_i32_e32 vcc_lo, 0, v102
	v_xor_b32_e32 v100, s17, v100
	v_and_b32_e32 v2, v2, v97
	v_not_b32_e32 v97, v99
	v_ashrrev_i32_e32 v29, 31, v29
	v_cmp_gt_i32_e64 s17, 0, v99
	v_mad_u32_u24 v30, v30, 9, v86
	v_and_b32_e32 v2, v2, v98
	v_ashrrev_i32_e32 v97, 31, v97
	v_xor_b32_e32 v29, vcc_lo, v29
	s_delay_alu instid0(VALU_DEP_3) | instskip(NEXT) | instid1(VALU_DEP_3)
	v_and_b32_e32 v2, v2, v100
	v_xor_b32_e32 v97, s17, v97
	s_delay_alu instid0(VALU_DEP_2) | instskip(NEXT) | instid1(VALU_DEP_1)
	v_and_b32_e32 v2, v2, v29
	v_and_b32_e32 v2, v2, v97
	v_lshl_add_u32 v97, v30, 2, 0x420
	s_delay_alu instid0(VALU_DEP_2) | instskip(SKIP_1) | instid1(VALU_DEP_2)
	v_mbcnt_lo_u32_b32 v29, v2, 0
	v_cmp_ne_u32_e64 s17, 0, v2
	v_cmp_eq_u32_e32 vcc_lo, 0, v29
	s_delay_alu instid0(VALU_DEP_2) | instskip(NEXT) | instid1(SALU_CYCLE_1)
	s_and_b32 s18, s17, vcc_lo
	s_and_saveexec_b32 s17, s18
	s_cbranch_execz .LBB1362_87
; %bb.86:                               ;   in Loop: Header=BB1362_71 Depth=2
	v_bcnt_u32_b32 v2, v2, 0
	ds_store_b32 v97, v2
.LBB1362_87:                            ;   in Loop: Header=BB1362_71 Depth=2
	s_or_b32 exec_lo, exec_lo, s17
	v_cmp_gt_i32_e32 vcc_lo, 0, v3
	; wave barrier
	v_cndmask_b32_e64 v2, 0x7fffffff, 0, vcc_lo
	s_delay_alu instid0(VALU_DEP_1) | instskip(NEXT) | instid1(VALU_DEP_1)
	v_xor_b32_e32 v30, v2, v3
	v_cmp_ne_u32_e32 vcc_lo, 0x80000000, v30
	v_cndmask_b32_e32 v2, 0x7fffffff, v30, vcc_lo
	s_delay_alu instid0(VALU_DEP_1) | instskip(NEXT) | instid1(VALU_DEP_1)
	v_lshrrev_b32_e32 v2, s25, v2
	v_and_b32_e32 v2, s30, v2
	s_delay_alu instid0(VALU_DEP_1)
	v_and_b32_e32 v3, 1, v2
	v_lshlrev_b32_e32 v98, 30, v2
	v_lshlrev_b32_e32 v99, 29, v2
	;; [unrolled: 1-line block ×4, first 2 shown]
	v_add_co_u32 v3, s17, v3, -1
	s_delay_alu instid0(VALU_DEP_1)
	v_cndmask_b32_e64 v101, 0, 1, s17
	v_not_b32_e32 v105, v98
	v_cmp_gt_i32_e64 s17, 0, v98
	v_not_b32_e32 v98, v99
	v_lshlrev_b32_e32 v103, 26, v2
	v_cmp_ne_u32_e32 vcc_lo, 0, v101
	v_ashrrev_i32_e32 v105, 31, v105
	v_lshlrev_b32_e32 v104, 25, v2
	v_ashrrev_i32_e32 v98, 31, v98
	v_lshlrev_b32_e32 v101, 24, v2
	v_xor_b32_e32 v3, vcc_lo, v3
	v_cmp_gt_i32_e32 vcc_lo, 0, v99
	v_not_b32_e32 v99, v100
	v_xor_b32_e32 v105, s17, v105
	v_cmp_gt_i32_e64 s17, 0, v100
	v_and_b32_e32 v3, exec_lo, v3
	v_not_b32_e32 v100, v102
	v_ashrrev_i32_e32 v99, 31, v99
	v_xor_b32_e32 v98, vcc_lo, v98
	v_cmp_gt_i32_e32 vcc_lo, 0, v102
	v_and_b32_e32 v3, v3, v105
	v_not_b32_e32 v102, v103
	v_ashrrev_i32_e32 v100, 31, v100
	v_xor_b32_e32 v99, s17, v99
	v_cmp_gt_i32_e64 s17, 0, v103
	v_and_b32_e32 v3, v3, v98
	v_not_b32_e32 v98, v104
	v_ashrrev_i32_e32 v102, 31, v102
	v_xor_b32_e32 v100, vcc_lo, v100
	v_cmp_gt_i32_e32 vcc_lo, 0, v104
	v_and_b32_e32 v3, v3, v99
	v_not_b32_e32 v99, v101
	v_ashrrev_i32_e32 v98, 31, v98
	v_xor_b32_e32 v102, s17, v102
	v_mul_u32_u24_e32 v2, 9, v2
	v_and_b32_e32 v3, v3, v100
	v_cmp_gt_i32_e64 s17, 0, v101
	v_ashrrev_i32_e32 v99, 31, v99
	v_xor_b32_e32 v98, vcc_lo, v98
	v_add_lshl_u32 v100, v2, v86, 2
	v_and_b32_e32 v3, v3, v102
	s_delay_alu instid0(VALU_DEP_4) | instskip(NEXT) | instid1(VALU_DEP_3)
	v_xor_b32_e32 v2, s17, v99
	v_add_nc_u32_e32 v101, 0x420, v100
	s_delay_alu instid0(VALU_DEP_3) | instskip(SKIP_2) | instid1(VALU_DEP_1)
	v_and_b32_e32 v3, v3, v98
	ds_load_b32 v98, v100 offset:1056
	; wave barrier
	v_and_b32_e32 v2, v3, v2
	v_mbcnt_lo_u32_b32 v99, v2, 0
	v_cmp_ne_u32_e64 s17, 0, v2
	s_delay_alu instid0(VALU_DEP_2) | instskip(NEXT) | instid1(VALU_DEP_2)
	v_cmp_eq_u32_e32 vcc_lo, 0, v99
	s_and_b32 s18, s17, vcc_lo
	s_delay_alu instid0(SALU_CYCLE_1)
	s_and_saveexec_b32 s17, s18
	s_cbranch_execz .LBB1362_89
; %bb.88:                               ;   in Loop: Header=BB1362_71 Depth=2
	s_waitcnt lgkmcnt(0)
	v_bcnt_u32_b32 v2, v2, v98
	ds_store_b32 v101, v2
.LBB1362_89:                            ;   in Loop: Header=BB1362_71 Depth=2
	s_or_b32 exec_lo, exec_lo, s17
	v_cmp_gt_i32_e32 vcc_lo, 0, v4
	; wave barrier
	v_cndmask_b32_e64 v2, 0x7fffffff, 0, vcc_lo
	s_delay_alu instid0(VALU_DEP_1) | instskip(NEXT) | instid1(VALU_DEP_1)
	v_xor_b32_e32 v100, v2, v4
	v_cmp_ne_u32_e32 vcc_lo, 0x80000000, v100
	v_cndmask_b32_e32 v2, 0x7fffffff, v100, vcc_lo
	s_delay_alu instid0(VALU_DEP_1) | instskip(NEXT) | instid1(VALU_DEP_1)
	v_lshrrev_b32_e32 v2, s25, v2
	v_and_b32_e32 v2, s30, v2
	s_delay_alu instid0(VALU_DEP_1)
	v_and_b32_e32 v3, 1, v2
	v_lshlrev_b32_e32 v4, 30, v2
	v_lshlrev_b32_e32 v102, 29, v2
	;; [unrolled: 1-line block ×4, first 2 shown]
	v_add_co_u32 v3, s17, v3, -1
	s_delay_alu instid0(VALU_DEP_1)
	v_cndmask_b32_e64 v104, 0, 1, s17
	v_not_b32_e32 v108, v4
	v_cmp_gt_i32_e64 s17, 0, v4
	v_not_b32_e32 v4, v102
	v_lshlrev_b32_e32 v106, 26, v2
	v_cmp_ne_u32_e32 vcc_lo, 0, v104
	v_ashrrev_i32_e32 v108, 31, v108
	v_lshlrev_b32_e32 v107, 25, v2
	v_ashrrev_i32_e32 v4, 31, v4
	v_lshlrev_b32_e32 v104, 24, v2
	v_xor_b32_e32 v3, vcc_lo, v3
	v_cmp_gt_i32_e32 vcc_lo, 0, v102
	v_not_b32_e32 v102, v103
	v_xor_b32_e32 v108, s17, v108
	v_cmp_gt_i32_e64 s17, 0, v103
	v_and_b32_e32 v3, exec_lo, v3
	v_not_b32_e32 v103, v105
	v_ashrrev_i32_e32 v102, 31, v102
	v_xor_b32_e32 v4, vcc_lo, v4
	v_cmp_gt_i32_e32 vcc_lo, 0, v105
	v_and_b32_e32 v3, v3, v108
	v_not_b32_e32 v105, v106
	v_ashrrev_i32_e32 v103, 31, v103
	v_xor_b32_e32 v102, s17, v102
	v_cmp_gt_i32_e64 s17, 0, v106
	v_and_b32_e32 v3, v3, v4
	v_not_b32_e32 v4, v107
	v_ashrrev_i32_e32 v105, 31, v105
	v_xor_b32_e32 v103, vcc_lo, v103
	v_cmp_gt_i32_e32 vcc_lo, 0, v107
	v_and_b32_e32 v3, v3, v102
	v_not_b32_e32 v102, v104
	v_ashrrev_i32_e32 v4, 31, v4
	v_xor_b32_e32 v105, s17, v105
	v_mul_u32_u24_e32 v2, 9, v2
	v_and_b32_e32 v3, v3, v103
	v_cmp_gt_i32_e64 s17, 0, v104
	v_ashrrev_i32_e32 v102, 31, v102
	v_xor_b32_e32 v4, vcc_lo, v4
	v_add_lshl_u32 v103, v2, v86, 2
	v_and_b32_e32 v3, v3, v105
	s_delay_alu instid0(VALU_DEP_4) | instskip(SKIP_3) | instid1(VALU_DEP_2)
	v_xor_b32_e32 v2, s17, v102
	ds_load_b32 v102, v103 offset:1056
	v_and_b32_e32 v3, v3, v4
	v_add_nc_u32_e32 v105, 0x420, v103
	; wave barrier
	v_and_b32_e32 v2, v3, v2
	s_delay_alu instid0(VALU_DEP_1) | instskip(SKIP_1) | instid1(VALU_DEP_2)
	v_mbcnt_lo_u32_b32 v104, v2, 0
	v_cmp_ne_u32_e64 s17, 0, v2
	v_cmp_eq_u32_e32 vcc_lo, 0, v104
	s_delay_alu instid0(VALU_DEP_2) | instskip(NEXT) | instid1(SALU_CYCLE_1)
	s_and_b32 s18, s17, vcc_lo
	s_and_saveexec_b32 s17, s18
	s_cbranch_execz .LBB1362_91
; %bb.90:                               ;   in Loop: Header=BB1362_71 Depth=2
	s_waitcnt lgkmcnt(0)
	v_bcnt_u32_b32 v2, v2, v102
	ds_store_b32 v105, v2
.LBB1362_91:                            ;   in Loop: Header=BB1362_71 Depth=2
	s_or_b32 exec_lo, exec_lo, s17
	v_cmp_gt_i32_e32 vcc_lo, 0, v5
	; wave barrier
	v_cndmask_b32_e64 v2, 0x7fffffff, 0, vcc_lo
	s_delay_alu instid0(VALU_DEP_1) | instskip(NEXT) | instid1(VALU_DEP_1)
	v_xor_b32_e32 v103, v2, v5
	v_cmp_ne_u32_e32 vcc_lo, 0x80000000, v103
	v_cndmask_b32_e32 v2, 0x7fffffff, v103, vcc_lo
	s_delay_alu instid0(VALU_DEP_1) | instskip(NEXT) | instid1(VALU_DEP_1)
	v_lshrrev_b32_e32 v2, s25, v2
	v_and_b32_e32 v2, s30, v2
	s_delay_alu instid0(VALU_DEP_1)
	v_and_b32_e32 v3, 1, v2
	v_lshlrev_b32_e32 v4, 30, v2
	v_lshlrev_b32_e32 v5, 29, v2
	;; [unrolled: 1-line block ×4, first 2 shown]
	v_add_co_u32 v3, s17, v3, -1
	s_delay_alu instid0(VALU_DEP_1)
	v_cndmask_b32_e64 v107, 0, 1, s17
	v_not_b32_e32 v111, v4
	v_cmp_gt_i32_e64 s17, 0, v4
	v_not_b32_e32 v4, v5
	v_lshlrev_b32_e32 v109, 26, v2
	v_cmp_ne_u32_e32 vcc_lo, 0, v107
	v_ashrrev_i32_e32 v111, 31, v111
	v_lshlrev_b32_e32 v110, 25, v2
	v_ashrrev_i32_e32 v4, 31, v4
	v_lshlrev_b32_e32 v107, 24, v2
	v_xor_b32_e32 v3, vcc_lo, v3
	v_cmp_gt_i32_e32 vcc_lo, 0, v5
	v_not_b32_e32 v5, v106
	v_xor_b32_e32 v111, s17, v111
	v_cmp_gt_i32_e64 s17, 0, v106
	v_and_b32_e32 v3, exec_lo, v3
	v_not_b32_e32 v106, v108
	v_ashrrev_i32_e32 v5, 31, v5
	v_xor_b32_e32 v4, vcc_lo, v4
	v_cmp_gt_i32_e32 vcc_lo, 0, v108
	v_and_b32_e32 v3, v3, v111
	v_not_b32_e32 v108, v109
	v_ashrrev_i32_e32 v106, 31, v106
	v_xor_b32_e32 v5, s17, v5
	v_cmp_gt_i32_e64 s17, 0, v109
	v_and_b32_e32 v3, v3, v4
	v_not_b32_e32 v4, v110
	v_ashrrev_i32_e32 v108, 31, v108
	v_xor_b32_e32 v106, vcc_lo, v106
	v_cmp_gt_i32_e32 vcc_lo, 0, v110
	v_and_b32_e32 v3, v3, v5
	v_not_b32_e32 v5, v107
	v_ashrrev_i32_e32 v4, 31, v4
	v_xor_b32_e32 v108, s17, v108
	v_mul_u32_u24_e32 v2, 9, v2
	v_and_b32_e32 v3, v3, v106
	v_cmp_gt_i32_e64 s17, 0, v107
	v_ashrrev_i32_e32 v5, 31, v5
	v_xor_b32_e32 v4, vcc_lo, v4
	v_add_lshl_u32 v106, v2, v86, 2
	v_and_b32_e32 v3, v3, v108
	s_delay_alu instid0(VALU_DEP_4) | instskip(SKIP_3) | instid1(VALU_DEP_2)
	v_xor_b32_e32 v2, s17, v5
	ds_load_b32 v107, v106 offset:1056
	v_and_b32_e32 v3, v3, v4
	v_add_nc_u32_e32 v109, 0x420, v106
	; wave barrier
	v_and_b32_e32 v2, v3, v2
	s_delay_alu instid0(VALU_DEP_1) | instskip(SKIP_1) | instid1(VALU_DEP_2)
	v_mbcnt_lo_u32_b32 v108, v2, 0
	v_cmp_ne_u32_e64 s17, 0, v2
	v_cmp_eq_u32_e32 vcc_lo, 0, v108
	s_delay_alu instid0(VALU_DEP_2) | instskip(NEXT) | instid1(SALU_CYCLE_1)
	s_and_b32 s18, s17, vcc_lo
	s_and_saveexec_b32 s17, s18
	s_cbranch_execz .LBB1362_93
; %bb.92:                               ;   in Loop: Header=BB1362_71 Depth=2
	s_waitcnt lgkmcnt(0)
	v_bcnt_u32_b32 v2, v2, v107
	ds_store_b32 v109, v2
.LBB1362_93:                            ;   in Loop: Header=BB1362_71 Depth=2
	s_or_b32 exec_lo, exec_lo, s17
	v_cmp_gt_i32_e32 vcc_lo, 0, v6
	; wave barrier
	v_cndmask_b32_e64 v2, 0x7fffffff, 0, vcc_lo
	s_delay_alu instid0(VALU_DEP_1) | instskip(NEXT) | instid1(VALU_DEP_1)
	v_xor_b32_e32 v106, v2, v6
	v_cmp_ne_u32_e32 vcc_lo, 0x80000000, v106
	v_cndmask_b32_e32 v2, 0x7fffffff, v106, vcc_lo
	s_delay_alu instid0(VALU_DEP_1) | instskip(NEXT) | instid1(VALU_DEP_1)
	v_lshrrev_b32_e32 v2, s25, v2
	v_and_b32_e32 v2, s30, v2
	s_delay_alu instid0(VALU_DEP_1)
	v_and_b32_e32 v3, 1, v2
	v_lshlrev_b32_e32 v4, 30, v2
	v_lshlrev_b32_e32 v5, 29, v2
	;; [unrolled: 1-line block ×4, first 2 shown]
	v_add_co_u32 v3, s17, v3, -1
	s_delay_alu instid0(VALU_DEP_1)
	v_cndmask_b32_e64 v110, 0, 1, s17
	v_not_b32_e32 v114, v4
	v_cmp_gt_i32_e64 s17, 0, v4
	v_not_b32_e32 v4, v5
	v_lshlrev_b32_e32 v112, 26, v2
	v_cmp_ne_u32_e32 vcc_lo, 0, v110
	v_ashrrev_i32_e32 v114, 31, v114
	v_lshlrev_b32_e32 v113, 25, v2
	v_ashrrev_i32_e32 v4, 31, v4
	v_lshlrev_b32_e32 v110, 24, v2
	v_xor_b32_e32 v3, vcc_lo, v3
	v_cmp_gt_i32_e32 vcc_lo, 0, v5
	v_not_b32_e32 v5, v6
	v_xor_b32_e32 v114, s17, v114
	v_cmp_gt_i32_e64 s17, 0, v6
	v_and_b32_e32 v3, exec_lo, v3
	v_not_b32_e32 v6, v111
	v_ashrrev_i32_e32 v5, 31, v5
	v_xor_b32_e32 v4, vcc_lo, v4
	v_cmp_gt_i32_e32 vcc_lo, 0, v111
	v_and_b32_e32 v3, v3, v114
	v_not_b32_e32 v111, v112
	v_ashrrev_i32_e32 v6, 31, v6
	v_xor_b32_e32 v5, s17, v5
	v_cmp_gt_i32_e64 s17, 0, v112
	v_and_b32_e32 v3, v3, v4
	v_not_b32_e32 v4, v113
	v_ashrrev_i32_e32 v111, 31, v111
	v_xor_b32_e32 v6, vcc_lo, v6
	v_cmp_gt_i32_e32 vcc_lo, 0, v113
	v_and_b32_e32 v3, v3, v5
	v_not_b32_e32 v5, v110
	v_ashrrev_i32_e32 v4, 31, v4
	v_xor_b32_e32 v111, s17, v111
	v_mul_u32_u24_e32 v2, 9, v2
	v_and_b32_e32 v3, v3, v6
	v_cmp_gt_i32_e64 s17, 0, v110
	v_ashrrev_i32_e32 v5, 31, v5
	v_xor_b32_e32 v4, vcc_lo, v4
	v_add_lshl_u32 v6, v2, v86, 2
	v_and_b32_e32 v3, v3, v111
	s_delay_alu instid0(VALU_DEP_4) | instskip(SKIP_3) | instid1(VALU_DEP_2)
	v_xor_b32_e32 v2, s17, v5
	ds_load_b32 v111, v6 offset:1056
	v_and_b32_e32 v3, v3, v4
	v_add_nc_u32_e32 v113, 0x420, v6
	; wave barrier
	v_and_b32_e32 v2, v3, v2
	s_delay_alu instid0(VALU_DEP_1) | instskip(SKIP_1) | instid1(VALU_DEP_2)
	v_mbcnt_lo_u32_b32 v112, v2, 0
	v_cmp_ne_u32_e64 s17, 0, v2
	v_cmp_eq_u32_e32 vcc_lo, 0, v112
	s_delay_alu instid0(VALU_DEP_2) | instskip(NEXT) | instid1(SALU_CYCLE_1)
	s_and_b32 s18, s17, vcc_lo
	s_and_saveexec_b32 s17, s18
	s_cbranch_execz .LBB1362_95
; %bb.94:                               ;   in Loop: Header=BB1362_71 Depth=2
	s_waitcnt lgkmcnt(0)
	v_bcnt_u32_b32 v2, v2, v111
	ds_store_b32 v113, v2
.LBB1362_95:                            ;   in Loop: Header=BB1362_71 Depth=2
	s_or_b32 exec_lo, exec_lo, s17
	v_cmp_gt_i32_e32 vcc_lo, 0, v7
	; wave barrier
	v_cndmask_b32_e64 v2, 0x7fffffff, 0, vcc_lo
	s_delay_alu instid0(VALU_DEP_1) | instskip(NEXT) | instid1(VALU_DEP_1)
	v_xor_b32_e32 v110, v2, v7
	v_cmp_ne_u32_e32 vcc_lo, 0x80000000, v110
	v_cndmask_b32_e32 v2, 0x7fffffff, v110, vcc_lo
	s_delay_alu instid0(VALU_DEP_1) | instskip(NEXT) | instid1(VALU_DEP_1)
	v_lshrrev_b32_e32 v2, s25, v2
	v_and_b32_e32 v2, s30, v2
	s_delay_alu instid0(VALU_DEP_1)
	v_and_b32_e32 v3, 1, v2
	v_lshlrev_b32_e32 v4, 30, v2
	v_lshlrev_b32_e32 v5, 29, v2
	;; [unrolled: 1-line block ×4, first 2 shown]
	v_add_co_u32 v3, s17, v3, -1
	s_delay_alu instid0(VALU_DEP_1)
	v_cndmask_b32_e64 v7, 0, 1, s17
	v_not_b32_e32 v117, v4
	v_cmp_gt_i32_e64 s17, 0, v4
	v_not_b32_e32 v4, v5
	v_lshlrev_b32_e32 v115, 26, v2
	v_cmp_ne_u32_e32 vcc_lo, 0, v7
	v_ashrrev_i32_e32 v117, 31, v117
	v_lshlrev_b32_e32 v116, 25, v2
	v_ashrrev_i32_e32 v4, 31, v4
	v_lshlrev_b32_e32 v7, 24, v2
	v_xor_b32_e32 v3, vcc_lo, v3
	v_cmp_gt_i32_e32 vcc_lo, 0, v5
	v_not_b32_e32 v5, v6
	v_xor_b32_e32 v117, s17, v117
	v_cmp_gt_i32_e64 s17, 0, v6
	v_and_b32_e32 v3, exec_lo, v3
	v_not_b32_e32 v6, v114
	v_ashrrev_i32_e32 v5, 31, v5
	v_xor_b32_e32 v4, vcc_lo, v4
	v_cmp_gt_i32_e32 vcc_lo, 0, v114
	v_and_b32_e32 v3, v3, v117
	v_not_b32_e32 v114, v115
	v_ashrrev_i32_e32 v6, 31, v6
	v_xor_b32_e32 v5, s17, v5
	v_cmp_gt_i32_e64 s17, 0, v115
	v_and_b32_e32 v3, v3, v4
	v_not_b32_e32 v4, v116
	v_ashrrev_i32_e32 v114, 31, v114
	v_xor_b32_e32 v6, vcc_lo, v6
	v_cmp_gt_i32_e32 vcc_lo, 0, v116
	v_and_b32_e32 v3, v3, v5
	v_not_b32_e32 v5, v7
	v_ashrrev_i32_e32 v4, 31, v4
	v_xor_b32_e32 v114, s17, v114
	v_mul_u32_u24_e32 v2, 9, v2
	v_and_b32_e32 v3, v3, v6
	v_cmp_gt_i32_e64 s17, 0, v7
	v_ashrrev_i32_e32 v5, 31, v5
	v_xor_b32_e32 v4, vcc_lo, v4
	v_add_lshl_u32 v6, v2, v86, 2
	v_and_b32_e32 v3, v3, v114
	s_delay_alu instid0(VALU_DEP_4) | instskip(SKIP_3) | instid1(VALU_DEP_2)
	v_xor_b32_e32 v2, s17, v5
	ds_load_b32 v115, v6 offset:1056
	v_and_b32_e32 v3, v3, v4
	v_add_nc_u32_e32 v117, 0x420, v6
	; wave barrier
	v_and_b32_e32 v2, v3, v2
	s_delay_alu instid0(VALU_DEP_1) | instskip(SKIP_1) | instid1(VALU_DEP_2)
	v_mbcnt_lo_u32_b32 v116, v2, 0
	v_cmp_ne_u32_e64 s17, 0, v2
	v_cmp_eq_u32_e32 vcc_lo, 0, v116
	s_delay_alu instid0(VALU_DEP_2) | instskip(NEXT) | instid1(SALU_CYCLE_1)
	s_and_b32 s18, s17, vcc_lo
	s_and_saveexec_b32 s17, s18
	s_cbranch_execz .LBB1362_97
; %bb.96:                               ;   in Loop: Header=BB1362_71 Depth=2
	s_waitcnt lgkmcnt(0)
	v_bcnt_u32_b32 v2, v2, v115
	ds_store_b32 v117, v2
.LBB1362_97:                            ;   in Loop: Header=BB1362_71 Depth=2
	s_or_b32 exec_lo, exec_lo, s17
	v_cmp_gt_i32_e32 vcc_lo, 0, v8
	; wave barrier
	v_cndmask_b32_e64 v2, 0x7fffffff, 0, vcc_lo
	s_delay_alu instid0(VALU_DEP_1) | instskip(NEXT) | instid1(VALU_DEP_1)
	v_xor_b32_e32 v114, v2, v8
	v_cmp_ne_u32_e32 vcc_lo, 0x80000000, v114
	v_cndmask_b32_e32 v2, 0x7fffffff, v114, vcc_lo
	s_delay_alu instid0(VALU_DEP_1) | instskip(NEXT) | instid1(VALU_DEP_1)
	v_lshrrev_b32_e32 v2, s25, v2
	v_and_b32_e32 v2, s30, v2
	s_delay_alu instid0(VALU_DEP_1)
	v_and_b32_e32 v3, 1, v2
	v_lshlrev_b32_e32 v4, 30, v2
	v_lshlrev_b32_e32 v5, 29, v2
	;; [unrolled: 1-line block ×4, first 2 shown]
	v_add_co_u32 v3, s17, v3, -1
	s_delay_alu instid0(VALU_DEP_1)
	v_cndmask_b32_e64 v7, 0, 1, s17
	v_not_b32_e32 v120, v4
	v_cmp_gt_i32_e64 s17, 0, v4
	v_not_b32_e32 v4, v5
	v_lshlrev_b32_e32 v118, 26, v2
	v_cmp_ne_u32_e32 vcc_lo, 0, v7
	v_ashrrev_i32_e32 v120, 31, v120
	v_lshlrev_b32_e32 v119, 25, v2
	v_ashrrev_i32_e32 v4, 31, v4
	v_lshlrev_b32_e32 v7, 24, v2
	v_xor_b32_e32 v3, vcc_lo, v3
	v_cmp_gt_i32_e32 vcc_lo, 0, v5
	v_not_b32_e32 v5, v6
	v_xor_b32_e32 v120, s17, v120
	v_cmp_gt_i32_e64 s17, 0, v6
	v_and_b32_e32 v3, exec_lo, v3
	v_not_b32_e32 v6, v8
	v_ashrrev_i32_e32 v5, 31, v5
	v_xor_b32_e32 v4, vcc_lo, v4
	v_cmp_gt_i32_e32 vcc_lo, 0, v8
	v_and_b32_e32 v3, v3, v120
	v_not_b32_e32 v8, v118
	v_ashrrev_i32_e32 v6, 31, v6
	v_xor_b32_e32 v5, s17, v5
	v_cmp_gt_i32_e64 s17, 0, v118
	v_and_b32_e32 v3, v3, v4
	v_not_b32_e32 v4, v119
	v_ashrrev_i32_e32 v8, 31, v8
	v_xor_b32_e32 v6, vcc_lo, v6
	v_cmp_gt_i32_e32 vcc_lo, 0, v119
	v_and_b32_e32 v3, v3, v5
	v_not_b32_e32 v5, v7
	v_ashrrev_i32_e32 v4, 31, v4
	v_xor_b32_e32 v8, s17, v8
	v_mul_u32_u24_e32 v2, 9, v2
	v_and_b32_e32 v3, v3, v6
	v_cmp_gt_i32_e64 s17, 0, v7
	v_ashrrev_i32_e32 v5, 31, v5
	v_xor_b32_e32 v4, vcc_lo, v4
	v_add_lshl_u32 v6, v2, v86, 2
	v_and_b32_e32 v3, v3, v8
	s_delay_alu instid0(VALU_DEP_4) | instskip(SKIP_3) | instid1(VALU_DEP_2)
	v_xor_b32_e32 v2, s17, v5
	ds_load_b32 v119, v6 offset:1056
	v_and_b32_e32 v3, v3, v4
	v_add_nc_u32_e32 v121, 0x420, v6
	; wave barrier
	v_and_b32_e32 v2, v3, v2
	s_delay_alu instid0(VALU_DEP_1) | instskip(SKIP_1) | instid1(VALU_DEP_2)
	v_mbcnt_lo_u32_b32 v120, v2, 0
	v_cmp_ne_u32_e64 s17, 0, v2
	v_cmp_eq_u32_e32 vcc_lo, 0, v120
	s_delay_alu instid0(VALU_DEP_2) | instskip(NEXT) | instid1(SALU_CYCLE_1)
	s_and_b32 s18, s17, vcc_lo
	s_and_saveexec_b32 s17, s18
	s_cbranch_execz .LBB1362_99
; %bb.98:                               ;   in Loop: Header=BB1362_71 Depth=2
	s_waitcnt lgkmcnt(0)
	v_bcnt_u32_b32 v2, v2, v119
	ds_store_b32 v121, v2
.LBB1362_99:                            ;   in Loop: Header=BB1362_71 Depth=2
	s_or_b32 exec_lo, exec_lo, s17
	v_cmp_gt_i32_e32 vcc_lo, 0, v9
	; wave barrier
	v_cndmask_b32_e64 v2, 0x7fffffff, 0, vcc_lo
	s_delay_alu instid0(VALU_DEP_1) | instskip(NEXT) | instid1(VALU_DEP_1)
	v_xor_b32_e32 v118, v2, v9
	v_cmp_ne_u32_e32 vcc_lo, 0x80000000, v118
	v_cndmask_b32_e32 v2, 0x7fffffff, v118, vcc_lo
	s_delay_alu instid0(VALU_DEP_1) | instskip(NEXT) | instid1(VALU_DEP_1)
	v_lshrrev_b32_e32 v2, s25, v2
	v_and_b32_e32 v2, s30, v2
	s_delay_alu instid0(VALU_DEP_1)
	v_and_b32_e32 v3, 1, v2
	v_lshlrev_b32_e32 v4, 30, v2
	v_lshlrev_b32_e32 v5, 29, v2
	;; [unrolled: 1-line block ×4, first 2 shown]
	v_add_co_u32 v3, s17, v3, -1
	s_delay_alu instid0(VALU_DEP_1)
	v_cndmask_b32_e64 v7, 0, 1, s17
	v_not_b32_e32 v123, v4
	v_cmp_gt_i32_e64 s17, 0, v4
	v_not_b32_e32 v4, v5
	v_lshlrev_b32_e32 v9, 26, v2
	v_cmp_ne_u32_e32 vcc_lo, 0, v7
	v_ashrrev_i32_e32 v123, 31, v123
	v_lshlrev_b32_e32 v122, 25, v2
	v_ashrrev_i32_e32 v4, 31, v4
	v_lshlrev_b32_e32 v7, 24, v2
	v_xor_b32_e32 v3, vcc_lo, v3
	v_cmp_gt_i32_e32 vcc_lo, 0, v5
	v_not_b32_e32 v5, v6
	v_xor_b32_e32 v123, s17, v123
	v_cmp_gt_i32_e64 s17, 0, v6
	v_and_b32_e32 v3, exec_lo, v3
	v_not_b32_e32 v6, v8
	v_ashrrev_i32_e32 v5, 31, v5
	v_xor_b32_e32 v4, vcc_lo, v4
	v_cmp_gt_i32_e32 vcc_lo, 0, v8
	v_and_b32_e32 v3, v3, v123
	v_not_b32_e32 v8, v9
	v_ashrrev_i32_e32 v6, 31, v6
	v_xor_b32_e32 v5, s17, v5
	v_cmp_gt_i32_e64 s17, 0, v9
	v_and_b32_e32 v3, v3, v4
	v_not_b32_e32 v4, v122
	v_ashrrev_i32_e32 v8, 31, v8
	v_xor_b32_e32 v6, vcc_lo, v6
	v_cmp_gt_i32_e32 vcc_lo, 0, v122
	v_and_b32_e32 v3, v3, v5
	v_not_b32_e32 v5, v7
	v_ashrrev_i32_e32 v4, 31, v4
	v_xor_b32_e32 v8, s17, v8
	v_mul_u32_u24_e32 v2, 9, v2
	v_and_b32_e32 v3, v3, v6
	v_cmp_gt_i32_e64 s17, 0, v7
	v_ashrrev_i32_e32 v5, 31, v5
	v_xor_b32_e32 v4, vcc_lo, v4
	v_add_lshl_u32 v6, v2, v86, 2
	v_and_b32_e32 v3, v3, v8
	s_delay_alu instid0(VALU_DEP_4) | instskip(SKIP_3) | instid1(VALU_DEP_2)
	v_xor_b32_e32 v2, s17, v5
	ds_load_b32 v122, v6 offset:1056
	v_and_b32_e32 v3, v3, v4
	v_add_nc_u32_e32 v124, 0x420, v6
	; wave barrier
	v_and_b32_e32 v2, v3, v2
	s_delay_alu instid0(VALU_DEP_1) | instskip(SKIP_1) | instid1(VALU_DEP_2)
	v_mbcnt_lo_u32_b32 v123, v2, 0
	v_cmp_ne_u32_e64 s17, 0, v2
	v_cmp_eq_u32_e32 vcc_lo, 0, v123
	s_delay_alu instid0(VALU_DEP_2) | instskip(NEXT) | instid1(SALU_CYCLE_1)
	s_and_b32 s18, s17, vcc_lo
	s_and_saveexec_b32 s17, s18
	s_cbranch_execz .LBB1362_101
; %bb.100:                              ;   in Loop: Header=BB1362_71 Depth=2
	s_waitcnt lgkmcnt(0)
	v_bcnt_u32_b32 v2, v2, v122
	ds_store_b32 v124, v2
.LBB1362_101:                           ;   in Loop: Header=BB1362_71 Depth=2
	s_or_b32 exec_lo, exec_lo, s17
	; wave barrier
	s_waitcnt lgkmcnt(0)
	s_barrier
	buffer_gl0_inv
	ds_load_b32 v125, v49 offset:1056
	ds_load_2addr_b32 v[8:9], v51 offset0:1 offset1:2
	ds_load_2addr_b32 v[6:7], v51 offset0:3 offset1:4
	;; [unrolled: 1-line block ×4, first 2 shown]
	s_waitcnt lgkmcnt(3)
	v_add3_u32 v126, v8, v125, v9
	s_waitcnt lgkmcnt(2)
	s_delay_alu instid0(VALU_DEP_1) | instskip(SKIP_1) | instid1(VALU_DEP_1)
	v_add3_u32 v126, v126, v6, v7
	s_waitcnt lgkmcnt(1)
	v_add3_u32 v126, v126, v2, v3
	s_waitcnt lgkmcnt(0)
	s_delay_alu instid0(VALU_DEP_1) | instskip(NEXT) | instid1(VALU_DEP_1)
	v_add3_u32 v5, v126, v4, v5
	v_mov_b32_dpp v126, v5 row_shr:1 row_mask:0xf bank_mask:0xf
	s_delay_alu instid0(VALU_DEP_1) | instskip(NEXT) | instid1(VALU_DEP_1)
	v_cndmask_b32_e64 v126, v126, 0, s1
	v_add_nc_u32_e32 v5, v126, v5
	s_delay_alu instid0(VALU_DEP_1) | instskip(NEXT) | instid1(VALU_DEP_1)
	v_mov_b32_dpp v126, v5 row_shr:2 row_mask:0xf bank_mask:0xf
	v_cndmask_b32_e64 v126, 0, v126, s7
	s_delay_alu instid0(VALU_DEP_1) | instskip(NEXT) | instid1(VALU_DEP_1)
	v_add_nc_u32_e32 v5, v5, v126
	v_mov_b32_dpp v126, v5 row_shr:4 row_mask:0xf bank_mask:0xf
	s_delay_alu instid0(VALU_DEP_1) | instskip(NEXT) | instid1(VALU_DEP_1)
	v_cndmask_b32_e64 v126, 0, v126, s8
	v_add_nc_u32_e32 v5, v5, v126
	s_delay_alu instid0(VALU_DEP_1) | instskip(NEXT) | instid1(VALU_DEP_1)
	v_mov_b32_dpp v126, v5 row_shr:8 row_mask:0xf bank_mask:0xf
	v_cndmask_b32_e64 v126, 0, v126, s9
	s_delay_alu instid0(VALU_DEP_1) | instskip(SKIP_3) | instid1(VALU_DEP_1)
	v_add_nc_u32_e32 v5, v5, v126
	ds_swizzle_b32 v126, v5 offset:swizzle(BROADCAST,32,15)
	s_waitcnt lgkmcnt(0)
	v_cndmask_b32_e64 v126, v126, 0, s10
	v_add_nc_u32_e32 v5, v5, v126
	s_and_saveexec_b32 s17, s3
	s_cbranch_execz .LBB1362_103
; %bb.102:                              ;   in Loop: Header=BB1362_71 Depth=2
	ds_store_b32 v41, v5 offset:1024
.LBB1362_103:                           ;   in Loop: Header=BB1362_71 Depth=2
	s_or_b32 exec_lo, exec_lo, s17
	s_waitcnt lgkmcnt(0)
	s_barrier
	buffer_gl0_inv
	s_and_saveexec_b32 s17, s4
	s_cbranch_execz .LBB1362_105
; %bb.104:                              ;   in Loop: Header=BB1362_71 Depth=2
	ds_load_b32 v126, v52 offset:1024
	s_waitcnt lgkmcnt(0)
	v_mov_b32_dpp v127, v126 row_shr:1 row_mask:0xf bank_mask:0xf
	s_delay_alu instid0(VALU_DEP_1) | instskip(NEXT) | instid1(VALU_DEP_1)
	v_cndmask_b32_e64 v127, v127, 0, s12
	v_add_nc_u32_e32 v126, v127, v126
	s_delay_alu instid0(VALU_DEP_1) | instskip(NEXT) | instid1(VALU_DEP_1)
	v_mov_b32_dpp v127, v126 row_shr:2 row_mask:0xf bank_mask:0xf
	v_cndmask_b32_e64 v127, 0, v127, s13
	s_delay_alu instid0(VALU_DEP_1) | instskip(NEXT) | instid1(VALU_DEP_1)
	v_add_nc_u32_e32 v126, v126, v127
	v_mov_b32_dpp v127, v126 row_shr:4 row_mask:0xf bank_mask:0xf
	s_delay_alu instid0(VALU_DEP_1) | instskip(NEXT) | instid1(VALU_DEP_1)
	v_cndmask_b32_e64 v127, 0, v127, s16
	v_add_nc_u32_e32 v126, v126, v127
	ds_store_b32 v52, v126 offset:1024
.LBB1362_105:                           ;   in Loop: Header=BB1362_71 Depth=2
	s_or_b32 exec_lo, exec_lo, s17
	v_mov_b32_e32 v126, 0
	s_waitcnt lgkmcnt(0)
	s_barrier
	buffer_gl0_inv
	s_and_saveexec_b32 s17, s5
	s_cbranch_execz .LBB1362_107
; %bb.106:                              ;   in Loop: Header=BB1362_71 Depth=2
	ds_load_b32 v126, v41 offset:1020
.LBB1362_107:                           ;   in Loop: Header=BB1362_71 Depth=2
	s_or_b32 exec_lo, exec_lo, s17
	s_waitcnt lgkmcnt(0)
	v_add_nc_u32_e32 v5, v126, v5
	ds_bpermute_b32 v5, v73, v5
	s_waitcnt lgkmcnt(0)
	v_cndmask_b32_e64 v5, v5, v126, s11
	s_delay_alu instid0(VALU_DEP_1) | instskip(NEXT) | instid1(VALU_DEP_1)
	v_cndmask_b32_e64 v5, v5, 0, s0
	v_add_nc_u32_e32 v125, v5, v125
	s_delay_alu instid0(VALU_DEP_1) | instskip(NEXT) | instid1(VALU_DEP_1)
	v_add_nc_u32_e32 v8, v125, v8
	v_add_nc_u32_e32 v9, v8, v9
	s_delay_alu instid0(VALU_DEP_1) | instskip(NEXT) | instid1(VALU_DEP_1)
	v_add_nc_u32_e32 v6, v9, v6
	;; [unrolled: 3-line block ×3, first 2 shown]
	v_add_nc_u32_e32 v3, v2, v3
	s_delay_alu instid0(VALU_DEP_1)
	v_add_nc_u32_e32 v4, v3, v4
	ds_store_b32 v49, v5 offset:1056
	ds_store_2addr_b32 v51, v125, v8 offset0:1 offset1:2
	ds_store_2addr_b32 v51, v9, v6 offset0:3 offset1:4
	;; [unrolled: 1-line block ×4, first 2 shown]
	v_mov_b32_e32 v4, 0x800
	s_waitcnt lgkmcnt(0)
	s_barrier
	buffer_gl0_inv
	ds_load_b32 v5, v101
	ds_load_b32 v6, v105
	;; [unrolled: 1-line block ×8, first 2 shown]
	ds_load_b32 v101, v49 offset:1056
	s_and_saveexec_b32 s17, s6
	s_cbranch_execz .LBB1362_109
; %bb.108:                              ;   in Loop: Header=BB1362_71 Depth=2
	ds_load_b32 v4, v53 offset:1056
.LBB1362_109:                           ;   in Loop: Header=BB1362_71 Depth=2
	s_or_b32 exec_lo, exec_lo, s17
	s_waitcnt lgkmcnt(0)
	s_barrier
	buffer_gl0_inv
	s_and_saveexec_b32 s17, s2
	s_cbranch_execz .LBB1362_111
; %bb.110:                              ;   in Loop: Header=BB1362_71 Depth=2
	ds_load_b32 v105, v31
	s_waitcnt lgkmcnt(0)
	v_sub_nc_u32_e32 v101, v105, v101
	ds_store_b32 v31, v101
.LBB1362_111:                           ;   in Loop: Header=BB1362_71 Depth=2
	s_or_b32 exec_lo, exec_lo, s17
	v_add_nc_u32_e32 v101, v97, v29
	v_add3_u32 v29, v104, v102, v6
	v_add3_u32 v7, v108, v107, v7
	;; [unrolled: 1-line block ×5, first 2 shown]
	v_lshlrev_b32_e32 v98, 2, v101
	v_add3_u32 v8, v120, v119, v3
	v_lshlrev_b32_e32 v3, 2, v29
	v_add3_u32 v9, v123, v122, v2
	v_lshlrev_b32_e32 v2, 2, v7
	v_lshlrev_b32_e32 v99, 2, v97
	ds_store_b32 v98, v19 offset:1024
	ds_store_b32 v99, v30 offset:1024
	;; [unrolled: 1-line block ×3, first 2 shown]
	v_lshlrev_b32_e32 v3, 2, v6
	ds_store_b32 v2, v103 offset:1024
	v_lshlrev_b32_e32 v2, 2, v9
	v_cmp_lt_u32_e32 vcc_lo, v18, v0
	v_lshlrev_b32_e32 v19, 2, v5
	v_lshlrev_b32_e32 v30, 2, v8
	ds_store_b32 v3, v106 offset:1024
	ds_store_b32 v19, v110 offset:1024
	;; [unrolled: 1-line block ×4, first 2 shown]
	s_waitcnt lgkmcnt(0)
	s_barrier
	buffer_gl0_inv
	s_and_saveexec_b32 s18, vcc_lo
	s_cbranch_execz .LBB1362_119
; %bb.112:                              ;   in Loop: Header=BB1362_71 Depth=2
	ds_load_b32 v30, v52 offset:1024
	s_waitcnt lgkmcnt(0)
	v_cmp_ne_u32_e64 s17, 0x80000000, v30
	s_delay_alu instid0(VALU_DEP_1) | instskip(SKIP_1) | instid1(VALU_DEP_2)
	v_cndmask_b32_e64 v2, 0x7fffffff, v30, s17
	v_cmp_gt_i32_e64 s17, 0, v30
	v_lshrrev_b32_e32 v2, s25, v2
	s_delay_alu instid0(VALU_DEP_2) | instskip(NEXT) | instid1(VALU_DEP_2)
	v_cndmask_b32_e64 v98, 0x7fffffff, 0, s17
	v_and_b32_e32 v2, s30, v2
	s_delay_alu instid0(VALU_DEP_1) | instskip(SKIP_3) | instid1(VALU_DEP_1)
	v_lshlrev_b32_e32 v2, 2, v2
	ds_load_b32 v2, v2
	s_waitcnt lgkmcnt(0)
	v_add_nc_u32_e32 v19, v2, v18
	v_lshlrev_b64 v[2:3], 2, v[19:20]
	v_xor_b32_e32 v19, v98, v30
	s_delay_alu instid0(VALU_DEP_2) | instskip(NEXT) | instid1(VALU_DEP_1)
	v_add_co_u32 v2, s17, s46, v2
	v_add_co_ci_u32_e64 v3, s17, s47, v3, s17
	global_store_b32 v[2:3], v19, off
	s_or_b32 exec_lo, exec_lo, s18
	v_cmp_lt_u32_e64 s17, v32, v0
	s_delay_alu instid0(VALU_DEP_1)
	s_and_saveexec_b32 s19, s17
	s_cbranch_execnz .LBB1362_120
.LBB1362_113:                           ;   in Loop: Header=BB1362_71 Depth=2
	s_or_b32 exec_lo, exec_lo, s19
	v_cmp_lt_u32_e64 s18, v33, v0
	s_delay_alu instid0(VALU_DEP_1)
	s_and_saveexec_b32 s20, s18
	s_cbranch_execz .LBB1362_121
.LBB1362_114:                           ;   in Loop: Header=BB1362_71 Depth=2
	ds_load_b32 v30, v58 offset:2048
	s_waitcnt lgkmcnt(0)
	v_cmp_ne_u32_e64 s19, 0x80000000, v30
	s_delay_alu instid0(VALU_DEP_1) | instskip(SKIP_1) | instid1(VALU_DEP_2)
	v_cndmask_b32_e64 v2, 0x7fffffff, v30, s19
	v_cmp_gt_i32_e64 s19, 0, v30
	v_lshrrev_b32_e32 v2, s25, v2
	s_delay_alu instid0(VALU_DEP_2) | instskip(NEXT) | instid1(VALU_DEP_2)
	v_cndmask_b32_e64 v98, 0x7fffffff, 0, s19
	v_and_b32_e32 v2, s30, v2
	s_delay_alu instid0(VALU_DEP_1) | instskip(SKIP_3) | instid1(VALU_DEP_1)
	v_lshlrev_b32_e32 v2, 2, v2
	ds_load_b32 v2, v2
	s_waitcnt lgkmcnt(0)
	v_add_nc_u32_e32 v19, v2, v33
	v_lshlrev_b64 v[2:3], 2, v[19:20]
	v_xor_b32_e32 v19, v98, v30
	s_delay_alu instid0(VALU_DEP_2) | instskip(NEXT) | instid1(VALU_DEP_1)
	v_add_co_u32 v2, s19, s46, v2
	v_add_co_ci_u32_e64 v3, s19, s47, v3, s19
	global_store_b32 v[2:3], v19, off
	s_or_b32 exec_lo, exec_lo, s20
	v_cmp_lt_u32_e64 s19, v34, v0
	s_delay_alu instid0(VALU_DEP_1)
	s_and_saveexec_b32 s21, s19
	s_cbranch_execnz .LBB1362_122
.LBB1362_115:                           ;   in Loop: Header=BB1362_71 Depth=2
	s_or_b32 exec_lo, exec_lo, s21
	v_cmp_lt_u32_e64 s20, v38, v0
	s_delay_alu instid0(VALU_DEP_1)
	s_and_saveexec_b32 s22, s20
	s_cbranch_execz .LBB1362_123
.LBB1362_116:                           ;   in Loop: Header=BB1362_71 Depth=2
	ds_load_b32 v30, v58 offset:4096
	s_waitcnt lgkmcnt(0)
	v_cmp_ne_u32_e64 s21, 0x80000000, v30
	s_delay_alu instid0(VALU_DEP_1) | instskip(SKIP_1) | instid1(VALU_DEP_2)
	v_cndmask_b32_e64 v2, 0x7fffffff, v30, s21
	v_cmp_gt_i32_e64 s21, 0, v30
	v_lshrrev_b32_e32 v2, s25, v2
	s_delay_alu instid0(VALU_DEP_2) | instskip(NEXT) | instid1(VALU_DEP_2)
	v_cndmask_b32_e64 v98, 0x7fffffff, 0, s21
	v_and_b32_e32 v2, s30, v2
	s_delay_alu instid0(VALU_DEP_1) | instskip(SKIP_3) | instid1(VALU_DEP_1)
	v_lshlrev_b32_e32 v2, 2, v2
	ds_load_b32 v2, v2
	s_waitcnt lgkmcnt(0)
	v_add_nc_u32_e32 v19, v2, v38
	v_lshlrev_b64 v[2:3], 2, v[19:20]
	v_xor_b32_e32 v19, v98, v30
	s_delay_alu instid0(VALU_DEP_2) | instskip(NEXT) | instid1(VALU_DEP_1)
	v_add_co_u32 v2, s21, s46, v2
	v_add_co_ci_u32_e64 v3, s21, s47, v3, s21
	global_store_b32 v[2:3], v19, off
	s_or_b32 exec_lo, exec_lo, s22
	v_cmp_lt_u32_e64 s21, v39, v0
	s_delay_alu instid0(VALU_DEP_1)
	s_and_saveexec_b32 s23, s21
	s_cbranch_execnz .LBB1362_124
.LBB1362_117:                           ;   in Loop: Header=BB1362_71 Depth=2
	s_or_b32 exec_lo, exec_lo, s23
	v_cmp_lt_u32_e64 s22, v40, v0
	s_delay_alu instid0(VALU_DEP_1)
	s_and_saveexec_b32 s24, s22
	s_cbranch_execz .LBB1362_125
.LBB1362_118:                           ;   in Loop: Header=BB1362_71 Depth=2
	ds_load_b32 v30, v58 offset:6144
	s_waitcnt lgkmcnt(0)
	v_cmp_ne_u32_e64 s23, 0x80000000, v30
	s_delay_alu instid0(VALU_DEP_1) | instskip(SKIP_1) | instid1(VALU_DEP_2)
	v_cndmask_b32_e64 v2, 0x7fffffff, v30, s23
	v_cmp_gt_i32_e64 s23, 0, v30
	v_lshrrev_b32_e32 v2, s25, v2
	s_delay_alu instid0(VALU_DEP_2) | instskip(NEXT) | instid1(VALU_DEP_2)
	v_cndmask_b32_e64 v98, 0x7fffffff, 0, s23
	v_and_b32_e32 v2, s30, v2
	s_delay_alu instid0(VALU_DEP_1) | instskip(SKIP_3) | instid1(VALU_DEP_1)
	v_lshlrev_b32_e32 v2, 2, v2
	ds_load_b32 v2, v2
	s_waitcnt lgkmcnt(0)
	v_add_nc_u32_e32 v19, v2, v40
	v_lshlrev_b64 v[2:3], 2, v[19:20]
	v_xor_b32_e32 v19, v98, v30
	s_delay_alu instid0(VALU_DEP_2) | instskip(NEXT) | instid1(VALU_DEP_1)
	v_add_co_u32 v2, s23, s46, v2
	v_add_co_ci_u32_e64 v3, s23, s47, v3, s23
	global_store_b32 v[2:3], v19, off
	s_or_b32 exec_lo, exec_lo, s24
	v_cmp_lt_u32_e64 s23, v42, v0
	s_delay_alu instid0(VALU_DEP_1)
	s_and_saveexec_b32 s37, s23
	s_cbranch_execnz .LBB1362_126
	s_branch .LBB1362_127
.LBB1362_119:                           ;   in Loop: Header=BB1362_71 Depth=2
	s_or_b32 exec_lo, exec_lo, s18
	v_cmp_lt_u32_e64 s17, v32, v0
	s_delay_alu instid0(VALU_DEP_1)
	s_and_saveexec_b32 s19, s17
	s_cbranch_execz .LBB1362_113
.LBB1362_120:                           ;   in Loop: Header=BB1362_71 Depth=2
	ds_load_b32 v30, v58 offset:1024
	s_waitcnt lgkmcnt(0)
	v_cmp_ne_u32_e64 s18, 0x80000000, v30
	s_delay_alu instid0(VALU_DEP_1) | instskip(SKIP_1) | instid1(VALU_DEP_2)
	v_cndmask_b32_e64 v2, 0x7fffffff, v30, s18
	v_cmp_gt_i32_e64 s18, 0, v30
	v_lshrrev_b32_e32 v2, s25, v2
	s_delay_alu instid0(VALU_DEP_2) | instskip(NEXT) | instid1(VALU_DEP_2)
	v_cndmask_b32_e64 v98, 0x7fffffff, 0, s18
	v_and_b32_e32 v2, s30, v2
	s_delay_alu instid0(VALU_DEP_1) | instskip(SKIP_3) | instid1(VALU_DEP_1)
	v_lshlrev_b32_e32 v2, 2, v2
	ds_load_b32 v2, v2
	s_waitcnt lgkmcnt(0)
	v_add_nc_u32_e32 v19, v2, v32
	v_lshlrev_b64 v[2:3], 2, v[19:20]
	v_xor_b32_e32 v19, v98, v30
	s_delay_alu instid0(VALU_DEP_2) | instskip(NEXT) | instid1(VALU_DEP_1)
	v_add_co_u32 v2, s18, s46, v2
	v_add_co_ci_u32_e64 v3, s18, s47, v3, s18
	global_store_b32 v[2:3], v19, off
	s_or_b32 exec_lo, exec_lo, s19
	v_cmp_lt_u32_e64 s18, v33, v0
	s_delay_alu instid0(VALU_DEP_1)
	s_and_saveexec_b32 s20, s18
	s_cbranch_execnz .LBB1362_114
.LBB1362_121:                           ;   in Loop: Header=BB1362_71 Depth=2
	s_or_b32 exec_lo, exec_lo, s20
	v_cmp_lt_u32_e64 s19, v34, v0
	s_delay_alu instid0(VALU_DEP_1)
	s_and_saveexec_b32 s21, s19
	s_cbranch_execz .LBB1362_115
.LBB1362_122:                           ;   in Loop: Header=BB1362_71 Depth=2
	ds_load_b32 v30, v58 offset:3072
	s_waitcnt lgkmcnt(0)
	v_cmp_ne_u32_e64 s20, 0x80000000, v30
	s_delay_alu instid0(VALU_DEP_1) | instskip(SKIP_1) | instid1(VALU_DEP_2)
	v_cndmask_b32_e64 v2, 0x7fffffff, v30, s20
	v_cmp_gt_i32_e64 s20, 0, v30
	v_lshrrev_b32_e32 v2, s25, v2
	s_delay_alu instid0(VALU_DEP_2) | instskip(NEXT) | instid1(VALU_DEP_2)
	v_cndmask_b32_e64 v98, 0x7fffffff, 0, s20
	v_and_b32_e32 v2, s30, v2
	s_delay_alu instid0(VALU_DEP_1) | instskip(SKIP_3) | instid1(VALU_DEP_1)
	v_lshlrev_b32_e32 v2, 2, v2
	ds_load_b32 v2, v2
	s_waitcnt lgkmcnt(0)
	v_add_nc_u32_e32 v19, v2, v34
	v_lshlrev_b64 v[2:3], 2, v[19:20]
	v_xor_b32_e32 v19, v98, v30
	s_delay_alu instid0(VALU_DEP_2) | instskip(NEXT) | instid1(VALU_DEP_1)
	v_add_co_u32 v2, s20, s46, v2
	v_add_co_ci_u32_e64 v3, s20, s47, v3, s20
	global_store_b32 v[2:3], v19, off
	s_or_b32 exec_lo, exec_lo, s21
	v_cmp_lt_u32_e64 s20, v38, v0
	s_delay_alu instid0(VALU_DEP_1)
	s_and_saveexec_b32 s22, s20
	s_cbranch_execnz .LBB1362_116
.LBB1362_123:                           ;   in Loop: Header=BB1362_71 Depth=2
	s_or_b32 exec_lo, exec_lo, s22
	v_cmp_lt_u32_e64 s21, v39, v0
	s_delay_alu instid0(VALU_DEP_1)
	s_and_saveexec_b32 s23, s21
	s_cbranch_execz .LBB1362_117
.LBB1362_124:                           ;   in Loop: Header=BB1362_71 Depth=2
	ds_load_b32 v30, v58 offset:5120
	s_waitcnt lgkmcnt(0)
	v_cmp_ne_u32_e64 s22, 0x80000000, v30
	s_delay_alu instid0(VALU_DEP_1) | instskip(SKIP_1) | instid1(VALU_DEP_2)
	v_cndmask_b32_e64 v2, 0x7fffffff, v30, s22
	v_cmp_gt_i32_e64 s22, 0, v30
	v_lshrrev_b32_e32 v2, s25, v2
	s_delay_alu instid0(VALU_DEP_2) | instskip(NEXT) | instid1(VALU_DEP_2)
	v_cndmask_b32_e64 v98, 0x7fffffff, 0, s22
	v_and_b32_e32 v2, s30, v2
	s_delay_alu instid0(VALU_DEP_1) | instskip(SKIP_3) | instid1(VALU_DEP_1)
	v_lshlrev_b32_e32 v2, 2, v2
	ds_load_b32 v2, v2
	s_waitcnt lgkmcnt(0)
	v_add_nc_u32_e32 v19, v2, v39
	v_lshlrev_b64 v[2:3], 2, v[19:20]
	v_xor_b32_e32 v19, v98, v30
	s_delay_alu instid0(VALU_DEP_2) | instskip(NEXT) | instid1(VALU_DEP_1)
	v_add_co_u32 v2, s22, s46, v2
	v_add_co_ci_u32_e64 v3, s22, s47, v3, s22
	global_store_b32 v[2:3], v19, off
	s_or_b32 exec_lo, exec_lo, s23
	v_cmp_lt_u32_e64 s22, v40, v0
	s_delay_alu instid0(VALU_DEP_1)
	s_and_saveexec_b32 s24, s22
	s_cbranch_execnz .LBB1362_118
.LBB1362_125:                           ;   in Loop: Header=BB1362_71 Depth=2
	s_or_b32 exec_lo, exec_lo, s24
	v_cmp_lt_u32_e64 s23, v42, v0
	s_delay_alu instid0(VALU_DEP_1)
	s_and_saveexec_b32 s37, s23
	s_cbranch_execz .LBB1362_127
.LBB1362_126:                           ;   in Loop: Header=BB1362_71 Depth=2
	ds_load_b32 v30, v58 offset:7168
	s_waitcnt lgkmcnt(0)
	v_cmp_ne_u32_e64 s24, 0x80000000, v30
	s_delay_alu instid0(VALU_DEP_1) | instskip(SKIP_1) | instid1(VALU_DEP_2)
	v_cndmask_b32_e64 v2, 0x7fffffff, v30, s24
	v_cmp_gt_i32_e64 s24, 0, v30
	v_lshrrev_b32_e32 v2, s25, v2
	s_delay_alu instid0(VALU_DEP_2) | instskip(NEXT) | instid1(VALU_DEP_2)
	v_cndmask_b32_e64 v98, 0x7fffffff, 0, s24
	v_and_b32_e32 v2, s30, v2
	s_delay_alu instid0(VALU_DEP_1) | instskip(SKIP_3) | instid1(VALU_DEP_1)
	v_lshlrev_b32_e32 v2, 2, v2
	ds_load_b32 v2, v2
	s_waitcnt lgkmcnt(0)
	v_add_nc_u32_e32 v19, v2, v42
	v_lshlrev_b64 v[2:3], 2, v[19:20]
	v_xor_b32_e32 v19, v98, v30
	s_delay_alu instid0(VALU_DEP_2) | instskip(NEXT) | instid1(VALU_DEP_1)
	v_add_co_u32 v2, s24, s46, v2
	v_add_co_ci_u32_e64 v3, s24, s47, v3, s24
	global_store_b32 v[2:3], v19, off
.LBB1362_127:                           ;   in Loop: Header=BB1362_71 Depth=2
	s_or_b32 exec_lo, exec_lo, s37
	s_lshl_b64 s[38:39], s[26:27], 3
	s_delay_alu instid0(SALU_CYCLE_1) | instskip(NEXT) | instid1(VALU_DEP_1)
	v_add_co_u32 v2, s24, v75, s38
	v_add_co_ci_u32_e64 v3, s24, s39, v76, s24
	v_cmp_lt_u32_e64 s24, v74, v0
	s_delay_alu instid0(VALU_DEP_1) | instskip(NEXT) | instid1(SALU_CYCLE_1)
	s_and_saveexec_b32 s26, s24
	s_xor_b32 s24, exec_lo, s26
	s_cbranch_execz .LBB1362_143
; %bb.128:                              ;   in Loop: Header=BB1362_71 Depth=2
	global_load_b64 v[27:28], v[2:3], off
	s_or_b32 exec_lo, exec_lo, s24
	s_delay_alu instid0(SALU_CYCLE_1)
	s_mov_b32 s26, exec_lo
	v_cmpx_lt_u32_e64 v77, v0
	s_cbranch_execnz .LBB1362_144
.LBB1362_129:                           ;   in Loop: Header=BB1362_71 Depth=2
	s_or_b32 exec_lo, exec_lo, s26
	s_delay_alu instid0(SALU_CYCLE_1)
	s_mov_b32 s26, exec_lo
	v_cmpx_lt_u32_e64 v78, v0
	s_cbranch_execz .LBB1362_145
.LBB1362_130:                           ;   in Loop: Header=BB1362_71 Depth=2
	global_load_b64 v[23:24], v[2:3], off offset:512
	s_or_b32 exec_lo, exec_lo, s26
	s_delay_alu instid0(SALU_CYCLE_1)
	s_mov_b32 s26, exec_lo
	v_cmpx_lt_u32_e64 v79, v0
	s_cbranch_execnz .LBB1362_146
.LBB1362_131:                           ;   in Loop: Header=BB1362_71 Depth=2
	s_or_b32 exec_lo, exec_lo, s26
	s_delay_alu instid0(SALU_CYCLE_1)
	s_mov_b32 s26, exec_lo
	v_cmpx_lt_u32_e64 v80, v0
	s_cbranch_execz .LBB1362_147
.LBB1362_132:                           ;   in Loop: Header=BB1362_71 Depth=2
	global_load_b64 v[16:17], v[2:3], off offset:1024
	s_or_b32 exec_lo, exec_lo, s26
	s_delay_alu instid0(SALU_CYCLE_1)
	s_mov_b32 s26, exec_lo
	v_cmpx_lt_u32_e64 v81, v0
	s_cbranch_execnz .LBB1362_148
.LBB1362_133:                           ;   in Loop: Header=BB1362_71 Depth=2
	s_or_b32 exec_lo, exec_lo, s26
	s_delay_alu instid0(SALU_CYCLE_1)
	s_mov_b32 s26, exec_lo
	v_cmpx_lt_u32_e64 v82, v0
	s_cbranch_execz .LBB1362_149
.LBB1362_134:                           ;   in Loop: Header=BB1362_71 Depth=2
	global_load_b64 v[12:13], v[2:3], off offset:1536
	s_or_b32 exec_lo, exec_lo, s26
	s_delay_alu instid0(SALU_CYCLE_1)
	s_mov_b32 s26, exec_lo
	v_cmpx_lt_u32_e64 v83, v0
	s_cbranch_execnz .LBB1362_150
.LBB1362_135:                           ;   in Loop: Header=BB1362_71 Depth=2
	s_or_b32 exec_lo, exec_lo, s26
	s_and_saveexec_b32 s26, vcc_lo
	s_cbranch_execz .LBB1362_151
.LBB1362_136:                           ;   in Loop: Header=BB1362_71 Depth=2
	ds_load_b32 v0, v52 offset:1024
	s_waitcnt lgkmcnt(0)
	v_cmp_ne_u32_e64 s24, 0x80000000, v0
	s_delay_alu instid0(VALU_DEP_1) | instskip(NEXT) | instid1(VALU_DEP_1)
	v_cndmask_b32_e64 v0, 0x7fffffff, v0, s24
	v_lshrrev_b32_e32 v0, s25, v0
	s_delay_alu instid0(VALU_DEP_1)
	v_and_b32_e32 v96, s30, v0
	s_or_b32 exec_lo, exec_lo, s26
	s_and_saveexec_b32 s26, s17
	s_cbranch_execnz .LBB1362_152
.LBB1362_137:                           ;   in Loop: Header=BB1362_71 Depth=2
	s_or_b32 exec_lo, exec_lo, s26
	s_and_saveexec_b32 s26, s18
	s_cbranch_execz .LBB1362_153
.LBB1362_138:                           ;   in Loop: Header=BB1362_71 Depth=2
	ds_load_b32 v0, v58 offset:2048
	s_waitcnt lgkmcnt(0)
	v_cmp_ne_u32_e64 s24, 0x80000000, v0
	s_delay_alu instid0(VALU_DEP_1) | instskip(NEXT) | instid1(VALU_DEP_1)
	v_cndmask_b32_e64 v0, 0x7fffffff, v0, s24
	v_lshrrev_b32_e32 v0, s25, v0
	s_delay_alu instid0(VALU_DEP_1)
	v_and_b32_e32 v94, s30, v0
	s_or_b32 exec_lo, exec_lo, s26
	s_and_saveexec_b32 s26, s19
	s_cbranch_execnz .LBB1362_154
.LBB1362_139:                           ;   in Loop: Header=BB1362_71 Depth=2
	s_or_b32 exec_lo, exec_lo, s26
	s_and_saveexec_b32 s26, s20
	s_cbranch_execz .LBB1362_155
.LBB1362_140:                           ;   in Loop: Header=BB1362_71 Depth=2
	ds_load_b32 v0, v58 offset:4096
	s_waitcnt lgkmcnt(0)
	v_cmp_ne_u32_e64 s24, 0x80000000, v0
	s_delay_alu instid0(VALU_DEP_1) | instskip(NEXT) | instid1(VALU_DEP_1)
	v_cndmask_b32_e64 v0, 0x7fffffff, v0, s24
	v_lshrrev_b32_e32 v0, s25, v0
	s_delay_alu instid0(VALU_DEP_1)
	v_and_b32_e32 v92, s30, v0
	s_or_b32 exec_lo, exec_lo, s26
	s_and_saveexec_b32 s26, s21
	s_cbranch_execnz .LBB1362_156
.LBB1362_141:                           ;   in Loop: Header=BB1362_71 Depth=2
	s_or_b32 exec_lo, exec_lo, s26
	s_and_saveexec_b32 s26, s22
	s_cbranch_execz .LBB1362_157
.LBB1362_142:                           ;   in Loop: Header=BB1362_71 Depth=2
	ds_load_b32 v0, v58 offset:6144
	s_waitcnt lgkmcnt(0)
	v_cmp_ne_u32_e64 s24, 0x80000000, v0
	s_delay_alu instid0(VALU_DEP_1) | instskip(NEXT) | instid1(VALU_DEP_1)
	v_cndmask_b32_e64 v0, 0x7fffffff, v0, s24
	v_lshrrev_b32_e32 v0, s25, v0
	s_delay_alu instid0(VALU_DEP_1)
	v_and_b32_e32 v90, s30, v0
	s_or_b32 exec_lo, exec_lo, s26
	s_and_saveexec_b32 s26, s23
	s_cbranch_execnz .LBB1362_158
	s_branch .LBB1362_159
.LBB1362_143:                           ;   in Loop: Header=BB1362_71 Depth=2
	s_or_b32 exec_lo, exec_lo, s24
	s_delay_alu instid0(SALU_CYCLE_1)
	s_mov_b32 s26, exec_lo
	v_cmpx_lt_u32_e64 v77, v0
	s_cbranch_execz .LBB1362_129
.LBB1362_144:                           ;   in Loop: Header=BB1362_71 Depth=2
	global_load_b64 v[25:26], v[2:3], off offset:256
	s_or_b32 exec_lo, exec_lo, s26
	s_delay_alu instid0(SALU_CYCLE_1)
	s_mov_b32 s26, exec_lo
	v_cmpx_lt_u32_e64 v78, v0
	s_cbranch_execnz .LBB1362_130
.LBB1362_145:                           ;   in Loop: Header=BB1362_71 Depth=2
	s_or_b32 exec_lo, exec_lo, s26
	s_delay_alu instid0(SALU_CYCLE_1)
	s_mov_b32 s26, exec_lo
	v_cmpx_lt_u32_e64 v79, v0
	s_cbranch_execz .LBB1362_131
.LBB1362_146:                           ;   in Loop: Header=BB1362_71 Depth=2
	global_load_b64 v[21:22], v[2:3], off offset:768
	s_or_b32 exec_lo, exec_lo, s26
	s_delay_alu instid0(SALU_CYCLE_1)
	s_mov_b32 s26, exec_lo
	v_cmpx_lt_u32_e64 v80, v0
	s_cbranch_execnz .LBB1362_132
.LBB1362_147:                           ;   in Loop: Header=BB1362_71 Depth=2
	s_or_b32 exec_lo, exec_lo, s26
	s_delay_alu instid0(SALU_CYCLE_1)
	s_mov_b32 s26, exec_lo
	v_cmpx_lt_u32_e64 v81, v0
	s_cbranch_execz .LBB1362_133
.LBB1362_148:                           ;   in Loop: Header=BB1362_71 Depth=2
	global_load_b64 v[14:15], v[2:3], off offset:1280
	s_or_b32 exec_lo, exec_lo, s26
	s_delay_alu instid0(SALU_CYCLE_1)
	s_mov_b32 s26, exec_lo
	v_cmpx_lt_u32_e64 v82, v0
	s_cbranch_execnz .LBB1362_134
.LBB1362_149:                           ;   in Loop: Header=BB1362_71 Depth=2
	s_or_b32 exec_lo, exec_lo, s26
	s_delay_alu instid0(SALU_CYCLE_1)
	s_mov_b32 s26, exec_lo
	v_cmpx_lt_u32_e64 v83, v0
	s_cbranch_execz .LBB1362_135
.LBB1362_150:                           ;   in Loop: Header=BB1362_71 Depth=2
	global_load_b64 v[10:11], v[2:3], off offset:1792
	s_or_b32 exec_lo, exec_lo, s26
	s_and_saveexec_b32 s26, vcc_lo
	s_cbranch_execnz .LBB1362_136
.LBB1362_151:                           ;   in Loop: Header=BB1362_71 Depth=2
	s_or_b32 exec_lo, exec_lo, s26
	s_and_saveexec_b32 s26, s17
	s_cbranch_execz .LBB1362_137
.LBB1362_152:                           ;   in Loop: Header=BB1362_71 Depth=2
	ds_load_b32 v0, v58 offset:1024
	s_waitcnt lgkmcnt(0)
	v_cmp_ne_u32_e64 s24, 0x80000000, v0
	s_delay_alu instid0(VALU_DEP_1) | instskip(NEXT) | instid1(VALU_DEP_1)
	v_cndmask_b32_e64 v0, 0x7fffffff, v0, s24
	v_lshrrev_b32_e32 v0, s25, v0
	s_delay_alu instid0(VALU_DEP_1)
	v_and_b32_e32 v95, s30, v0
	s_or_b32 exec_lo, exec_lo, s26
	s_and_saveexec_b32 s26, s18
	s_cbranch_execnz .LBB1362_138
.LBB1362_153:                           ;   in Loop: Header=BB1362_71 Depth=2
	s_or_b32 exec_lo, exec_lo, s26
	s_and_saveexec_b32 s26, s19
	s_cbranch_execz .LBB1362_139
.LBB1362_154:                           ;   in Loop: Header=BB1362_71 Depth=2
	ds_load_b32 v0, v58 offset:3072
	s_waitcnt lgkmcnt(0)
	v_cmp_ne_u32_e64 s24, 0x80000000, v0
	s_delay_alu instid0(VALU_DEP_1) | instskip(NEXT) | instid1(VALU_DEP_1)
	v_cndmask_b32_e64 v0, 0x7fffffff, v0, s24
	v_lshrrev_b32_e32 v0, s25, v0
	s_delay_alu instid0(VALU_DEP_1)
	v_and_b32_e32 v93, s30, v0
	s_or_b32 exec_lo, exec_lo, s26
	s_and_saveexec_b32 s26, s20
	s_cbranch_execnz .LBB1362_140
.LBB1362_155:                           ;   in Loop: Header=BB1362_71 Depth=2
	s_or_b32 exec_lo, exec_lo, s26
	s_and_saveexec_b32 s26, s21
	s_cbranch_execz .LBB1362_141
.LBB1362_156:                           ;   in Loop: Header=BB1362_71 Depth=2
	ds_load_b32 v0, v58 offset:5120
	s_waitcnt lgkmcnt(0)
	v_cmp_ne_u32_e64 s24, 0x80000000, v0
	s_delay_alu instid0(VALU_DEP_1) | instskip(NEXT) | instid1(VALU_DEP_1)
	v_cndmask_b32_e64 v0, 0x7fffffff, v0, s24
	v_lshrrev_b32_e32 v0, s25, v0
	s_delay_alu instid0(VALU_DEP_1)
	v_and_b32_e32 v91, s30, v0
	s_or_b32 exec_lo, exec_lo, s26
	s_and_saveexec_b32 s26, s22
	s_cbranch_execnz .LBB1362_142
.LBB1362_157:                           ;   in Loop: Header=BB1362_71 Depth=2
	s_or_b32 exec_lo, exec_lo, s26
	s_and_saveexec_b32 s26, s23
	s_cbranch_execz .LBB1362_159
.LBB1362_158:                           ;   in Loop: Header=BB1362_71 Depth=2
	ds_load_b32 v0, v58 offset:7168
	s_waitcnt lgkmcnt(0)
	v_cmp_ne_u32_e64 s24, 0x80000000, v0
	s_delay_alu instid0(VALU_DEP_1) | instskip(NEXT) | instid1(VALU_DEP_1)
	v_cndmask_b32_e64 v0, 0x7fffffff, v0, s24
	v_lshrrev_b32_e32 v0, s25, v0
	s_delay_alu instid0(VALU_DEP_1)
	v_and_b32_e32 v89, s30, v0
.LBB1362_159:                           ;   in Loop: Header=BB1362_71 Depth=2
	s_or_b32 exec_lo, exec_lo, s26
	v_lshlrev_b32_e32 v0, 3, v101
	v_lshlrev_b32_e32 v2, 3, v97
	;; [unrolled: 1-line block ×3, first 2 shown]
	s_waitcnt vmcnt(0)
	s_waitcnt_vscnt null, 0x0
	s_barrier
	buffer_gl0_inv
	ds_store_b64 v0, v[27:28] offset:1024
	ds_store_b64 v2, v[25:26] offset:1024
	;; [unrolled: 1-line block ×3, first 2 shown]
	v_lshlrev_b32_e32 v0, 3, v7
	v_lshlrev_b32_e32 v2, 3, v6
	;; [unrolled: 1-line block ×5, first 2 shown]
	ds_store_b64 v0, v[21:22] offset:1024
	ds_store_b64 v2, v[16:17] offset:1024
	;; [unrolled: 1-line block ×5, first 2 shown]
	s_waitcnt lgkmcnt(0)
	s_barrier
	buffer_gl0_inv
	s_and_saveexec_b32 s24, vcc_lo
	s_cbranch_execz .LBB1362_167
; %bb.160:                              ;   in Loop: Header=BB1362_71 Depth=2
	v_lshlrev_b32_e32 v0, 2, v96
	v_add_nc_u32_e32 v2, v52, v31
	ds_load_b32 v0, v0
	ds_load_b64 v[2:3], v2 offset:1024
	s_waitcnt lgkmcnt(1)
	v_add_nc_u32_e32 v19, v0, v18
	s_delay_alu instid0(VALU_DEP_1) | instskip(NEXT) | instid1(VALU_DEP_1)
	v_lshlrev_b64 v[5:6], 3, v[19:20]
	v_add_co_u32 v5, vcc_lo, s52, v5
	s_delay_alu instid0(VALU_DEP_2)
	v_add_co_ci_u32_e32 v6, vcc_lo, s53, v6, vcc_lo
	s_waitcnt lgkmcnt(0)
	global_store_b64 v[5:6], v[2:3], off
	s_or_b32 exec_lo, exec_lo, s24
	s_and_saveexec_b32 s24, s17
	s_cbranch_execnz .LBB1362_168
.LBB1362_161:                           ;   in Loop: Header=BB1362_71 Depth=2
	s_or_b32 exec_lo, exec_lo, s24
	s_and_saveexec_b32 s17, s18
	s_cbranch_execz .LBB1362_169
.LBB1362_162:                           ;   in Loop: Header=BB1362_71 Depth=2
	v_lshlrev_b32_e32 v0, 2, v94
	v_add_nc_u32_e32 v2, v58, v31
	ds_load_b32 v0, v0
	ds_load_b64 v[2:3], v2 offset:4096
	s_waitcnt lgkmcnt(1)
	v_add_nc_u32_e32 v19, v0, v33
	s_delay_alu instid0(VALU_DEP_1) | instskip(NEXT) | instid1(VALU_DEP_1)
	v_lshlrev_b64 v[5:6], 3, v[19:20]
	v_add_co_u32 v5, vcc_lo, s52, v5
	s_delay_alu instid0(VALU_DEP_2)
	v_add_co_ci_u32_e32 v6, vcc_lo, s53, v6, vcc_lo
	s_waitcnt lgkmcnt(0)
	global_store_b64 v[5:6], v[2:3], off
	s_or_b32 exec_lo, exec_lo, s17
	s_and_saveexec_b32 s17, s19
	s_cbranch_execnz .LBB1362_170
.LBB1362_163:                           ;   in Loop: Header=BB1362_71 Depth=2
	s_or_b32 exec_lo, exec_lo, s17
	s_and_saveexec_b32 s17, s20
	s_cbranch_execz .LBB1362_171
.LBB1362_164:                           ;   in Loop: Header=BB1362_71 Depth=2
	v_lshlrev_b32_e32 v0, 2, v92
	v_add_nc_u32_e32 v2, v58, v31
	ds_load_b32 v0, v0
	ds_load_b64 v[2:3], v2 offset:8192
	s_waitcnt lgkmcnt(1)
	v_add_nc_u32_e32 v19, v0, v38
	s_delay_alu instid0(VALU_DEP_1) | instskip(NEXT) | instid1(VALU_DEP_1)
	v_lshlrev_b64 v[5:6], 3, v[19:20]
	v_add_co_u32 v5, vcc_lo, s52, v5
	s_delay_alu instid0(VALU_DEP_2)
	v_add_co_ci_u32_e32 v6, vcc_lo, s53, v6, vcc_lo
	s_waitcnt lgkmcnt(0)
	global_store_b64 v[5:6], v[2:3], off
	s_or_b32 exec_lo, exec_lo, s17
	s_and_saveexec_b32 s17, s21
	s_cbranch_execnz .LBB1362_172
.LBB1362_165:                           ;   in Loop: Header=BB1362_71 Depth=2
	s_or_b32 exec_lo, exec_lo, s17
	s_and_saveexec_b32 s17, s22
	s_cbranch_execz .LBB1362_173
.LBB1362_166:                           ;   in Loop: Header=BB1362_71 Depth=2
	v_lshlrev_b32_e32 v0, 2, v90
	v_add_nc_u32_e32 v2, v58, v31
	ds_load_b32 v0, v0
	ds_load_b64 v[2:3], v2 offset:12288
	s_waitcnt lgkmcnt(1)
	v_add_nc_u32_e32 v19, v0, v40
	s_delay_alu instid0(VALU_DEP_1) | instskip(NEXT) | instid1(VALU_DEP_1)
	v_lshlrev_b64 v[5:6], 3, v[19:20]
	v_add_co_u32 v5, vcc_lo, s52, v5
	s_delay_alu instid0(VALU_DEP_2)
	v_add_co_ci_u32_e32 v6, vcc_lo, s53, v6, vcc_lo
	s_waitcnt lgkmcnt(0)
	global_store_b64 v[5:6], v[2:3], off
	s_or_b32 exec_lo, exec_lo, s17
	s_and_saveexec_b32 s17, s23
	s_cbranch_execnz .LBB1362_174
	s_branch .LBB1362_175
.LBB1362_167:                           ;   in Loop: Header=BB1362_71 Depth=2
	s_or_b32 exec_lo, exec_lo, s24
	s_and_saveexec_b32 s24, s17
	s_cbranch_execz .LBB1362_161
.LBB1362_168:                           ;   in Loop: Header=BB1362_71 Depth=2
	v_lshlrev_b32_e32 v0, 2, v95
	v_add_nc_u32_e32 v2, v58, v31
	ds_load_b32 v0, v0
	ds_load_b64 v[2:3], v2 offset:2048
	s_waitcnt lgkmcnt(1)
	v_add_nc_u32_e32 v19, v0, v32
	s_delay_alu instid0(VALU_DEP_1) | instskip(NEXT) | instid1(VALU_DEP_1)
	v_lshlrev_b64 v[5:6], 3, v[19:20]
	v_add_co_u32 v5, vcc_lo, s52, v5
	s_delay_alu instid0(VALU_DEP_2)
	v_add_co_ci_u32_e32 v6, vcc_lo, s53, v6, vcc_lo
	s_waitcnt lgkmcnt(0)
	global_store_b64 v[5:6], v[2:3], off
	s_or_b32 exec_lo, exec_lo, s24
	s_and_saveexec_b32 s17, s18
	s_cbranch_execnz .LBB1362_162
.LBB1362_169:                           ;   in Loop: Header=BB1362_71 Depth=2
	s_or_b32 exec_lo, exec_lo, s17
	s_and_saveexec_b32 s17, s19
	s_cbranch_execz .LBB1362_163
.LBB1362_170:                           ;   in Loop: Header=BB1362_71 Depth=2
	v_lshlrev_b32_e32 v0, 2, v93
	v_add_nc_u32_e32 v2, v58, v31
	ds_load_b32 v0, v0
	ds_load_b64 v[2:3], v2 offset:6144
	s_waitcnt lgkmcnt(1)
	v_add_nc_u32_e32 v19, v0, v34
	s_delay_alu instid0(VALU_DEP_1) | instskip(NEXT) | instid1(VALU_DEP_1)
	v_lshlrev_b64 v[5:6], 3, v[19:20]
	v_add_co_u32 v5, vcc_lo, s52, v5
	s_delay_alu instid0(VALU_DEP_2)
	v_add_co_ci_u32_e32 v6, vcc_lo, s53, v6, vcc_lo
	s_waitcnt lgkmcnt(0)
	global_store_b64 v[5:6], v[2:3], off
	s_or_b32 exec_lo, exec_lo, s17
	s_and_saveexec_b32 s17, s20
	s_cbranch_execnz .LBB1362_164
.LBB1362_171:                           ;   in Loop: Header=BB1362_71 Depth=2
	s_or_b32 exec_lo, exec_lo, s17
	s_and_saveexec_b32 s17, s21
	s_cbranch_execz .LBB1362_165
.LBB1362_172:                           ;   in Loop: Header=BB1362_71 Depth=2
	v_lshlrev_b32_e32 v0, 2, v91
	v_add_nc_u32_e32 v2, v58, v31
	ds_load_b32 v0, v0
	ds_load_b64 v[2:3], v2 offset:10240
	s_waitcnt lgkmcnt(1)
	v_add_nc_u32_e32 v19, v0, v39
	s_delay_alu instid0(VALU_DEP_1) | instskip(NEXT) | instid1(VALU_DEP_1)
	v_lshlrev_b64 v[5:6], 3, v[19:20]
	v_add_co_u32 v5, vcc_lo, s52, v5
	s_delay_alu instid0(VALU_DEP_2)
	v_add_co_ci_u32_e32 v6, vcc_lo, s53, v6, vcc_lo
	s_waitcnt lgkmcnt(0)
	global_store_b64 v[5:6], v[2:3], off
	s_or_b32 exec_lo, exec_lo, s17
	s_and_saveexec_b32 s17, s22
	s_cbranch_execnz .LBB1362_166
.LBB1362_173:                           ;   in Loop: Header=BB1362_71 Depth=2
	s_or_b32 exec_lo, exec_lo, s17
	s_and_saveexec_b32 s17, s23
	s_cbranch_execz .LBB1362_175
.LBB1362_174:                           ;   in Loop: Header=BB1362_71 Depth=2
	v_lshlrev_b32_e32 v0, 2, v89
	v_add_nc_u32_e32 v2, v58, v31
	ds_load_b32 v0, v0
	ds_load_b64 v[2:3], v2 offset:14336
	s_waitcnt lgkmcnt(1)
	v_add_nc_u32_e32 v19, v0, v42
	s_delay_alu instid0(VALU_DEP_1) | instskip(NEXT) | instid1(VALU_DEP_1)
	v_lshlrev_b64 v[5:6], 3, v[19:20]
	v_add_co_u32 v5, vcc_lo, s52, v5
	s_delay_alu instid0(VALU_DEP_2)
	v_add_co_ci_u32_e32 v6, vcc_lo, s53, v6, vcc_lo
	s_waitcnt lgkmcnt(0)
	global_store_b64 v[5:6], v[2:3], off
.LBB1362_175:                           ;   in Loop: Header=BB1362_71 Depth=2
	s_or_b32 exec_lo, exec_lo, s17
	s_waitcnt_vscnt null, 0x0
	s_barrier
	buffer_gl0_inv
	s_and_saveexec_b32 s17, s2
	s_cbranch_execz .LBB1362_70
; %bb.176:                              ;   in Loop: Header=BB1362_71 Depth=2
	ds_load_b32 v0, v31
	s_waitcnt lgkmcnt(0)
	v_add_nc_u32_e32 v0, v0, v4
	ds_store_b32 v31, v0
	s_branch .LBB1362_70
.LBB1362_177:                           ;   in Loop: Header=BB1362_71 Depth=2
	s_or_b32 exec_lo, exec_lo, s17
	s_delay_alu instid0(SALU_CYCLE_1)
	s_mov_b32 s17, exec_lo
	v_cmpx_gt_u32_e64 s31, v77
	s_cbranch_execz .LBB1362_76
.LBB1362_178:                           ;   in Loop: Header=BB1362_71 Depth=2
	global_load_b32 v3, v[29:30], off offset:128
	s_or_b32 exec_lo, exec_lo, s17
	s_delay_alu instid0(SALU_CYCLE_1)
	s_mov_b32 s17, exec_lo
	v_cmpx_gt_u32_e64 s31, v78
	s_cbranch_execnz .LBB1362_77
.LBB1362_179:                           ;   in Loop: Header=BB1362_71 Depth=2
	s_or_b32 exec_lo, exec_lo, s17
	s_delay_alu instid0(SALU_CYCLE_1)
	s_mov_b32 s17, exec_lo
	v_cmpx_gt_u32_e64 s31, v79
	s_cbranch_execz .LBB1362_78
.LBB1362_180:                           ;   in Loop: Header=BB1362_71 Depth=2
	global_load_b32 v5, v[29:30], off offset:384
	s_or_b32 exec_lo, exec_lo, s17
	s_delay_alu instid0(SALU_CYCLE_1)
	s_mov_b32 s17, exec_lo
	v_cmpx_gt_u32_e64 s31, v80
	s_cbranch_execnz .LBB1362_79
.LBB1362_181:                           ;   in Loop: Header=BB1362_71 Depth=2
	s_or_b32 exec_lo, exec_lo, s17
	s_delay_alu instid0(SALU_CYCLE_1)
	s_mov_b32 s17, exec_lo
	v_cmpx_gt_u32_e64 s31, v81
	s_cbranch_execz .LBB1362_80
.LBB1362_182:                           ;   in Loop: Header=BB1362_71 Depth=2
	global_load_b32 v7, v[29:30], off offset:640
	s_or_b32 exec_lo, exec_lo, s17
	s_delay_alu instid0(SALU_CYCLE_1)
	s_mov_b32 s17, exec_lo
	v_cmpx_gt_u32_e64 s31, v82
	s_cbranch_execnz .LBB1362_81
	s_branch .LBB1362_82
.LBB1362_183:                           ;   in Loop: Header=BB1362_17 Depth=1
	s_waitcnt lgkmcnt(0)
	s_mov_b32 s1, 0
	s_barrier
.LBB1362_184:                           ;   in Loop: Header=BB1362_17 Depth=1
	s_and_b32 vcc_lo, exec_lo, s1
	s_cbranch_vccz .LBB1362_350
; %bb.185:                              ;   in Loop: Header=BB1362_17 Depth=1
	s_mov_b32 s1, s59
	s_mov_b32 s26, s33
	s_barrier
	buffer_gl0_inv
                                        ; implicit-def: $vgpr2_vgpr3_vgpr4_vgpr5_vgpr6_vgpr7_vgpr8_vgpr9
	s_branch .LBB1362_187
.LBB1362_186:                           ;   in Loop: Header=BB1362_187 Depth=2
	s_or_b32 exec_lo, exec_lo, s8
	s_addk_i32 s1, 0xf800
	s_cmp_ge_u32 s7, s34
	s_mov_b32 s26, s7
	s_cbranch_scc1 .LBB1362_225
.LBB1362_187:                           ;   Parent Loop BB1362_17 Depth=1
                                        ; =>  This Inner Loop Header: Depth=2
	s_add_i32 s7, s26, 0x800
	s_delay_alu instid0(SALU_CYCLE_1)
	s_cmp_gt_u32 s7, s34
	s_cbranch_scc1 .LBB1362_190
; %bb.188:                              ;   in Loop: Header=BB1362_187 Depth=2
	s_mov_b32 s9, 0
	s_mov_b32 s8, s26
	s_delay_alu instid0(SALU_CYCLE_1) | instskip(NEXT) | instid1(SALU_CYCLE_1)
	s_lshl_b64 s[10:11], s[8:9], 2
	v_add_co_u32 v21, vcc_lo, v59, s10
	v_add_co_ci_u32_e32 v22, vcc_lo, s11, v60, vcc_lo
	s_mov_b32 s10, -1
	s_waitcnt vmcnt(0)
	s_delay_alu instid0(VALU_DEP_2) | instskip(NEXT) | instid1(VALU_DEP_2)
	v_add_co_u32 v16, vcc_lo, 0x1000, v21
	v_add_co_ci_u32_e32 v17, vcc_lo, 0, v22, vcc_lo
	s_clause 0x6
	global_load_b32 v10, v[21:22], off
	global_load_b32 v11, v[21:22], off offset:1024
	global_load_b32 v12, v[21:22], off offset:2048
	;; [unrolled: 1-line block ×3, first 2 shown]
	global_load_b32 v14, v[16:17], off
	global_load_b32 v15, v[16:17], off offset:1024
	global_load_b32 v16, v[16:17], off offset:2048
	v_add_co_u32 v21, vcc_lo, 0x1c00, v21
	v_add_co_ci_u32_e32 v22, vcc_lo, 0, v22, vcc_lo
	s_movk_i32 s11, 0x800
	s_cbranch_execz .LBB1362_191
; %bb.189:                              ;   in Loop: Header=BB1362_187 Depth=2
                                        ; implicit-def: $vgpr2_vgpr3_vgpr4_vgpr5_vgpr6_vgpr7_vgpr8_vgpr9
	v_mov_b32_e32 v0, s1
	s_and_saveexec_b32 s8, s10
	s_cbranch_execnz .LBB1362_202
	s_branch .LBB1362_203
.LBB1362_190:                           ;   in Loop: Header=BB1362_187 Depth=2
	s_mov_b32 s10, 0
                                        ; implicit-def: $sgpr11
                                        ; implicit-def: $vgpr10_vgpr11_vgpr12_vgpr13_vgpr14_vgpr15_vgpr16_vgpr17
                                        ; implicit-def: $vgpr21_vgpr22
.LBB1362_191:                           ;   in Loop: Header=BB1362_187 Depth=2
	s_lshl_b64 s[8:9], s[26:27], 2
	s_mov_b32 s11, exec_lo
	s_add_u32 s8, s46, s8
	s_addc_u32 s9, s47, s9
	v_cmpx_gt_u32_e64 s1, v18
	s_cbranch_execz .LBB1362_219
; %bb.192:                              ;   in Loop: Header=BB1362_187 Depth=2
	v_lshlrev_b32_e32 v0, 2, v18
	global_load_b32 v2, v0, s[8:9]
	s_or_b32 exec_lo, exec_lo, s11
	s_delay_alu instid0(SALU_CYCLE_1)
	s_mov_b32 s11, exec_lo
	v_cmpx_gt_u32_e64 s1, v32
	s_cbranch_execnz .LBB1362_220
.LBB1362_193:                           ;   in Loop: Header=BB1362_187 Depth=2
	s_or_b32 exec_lo, exec_lo, s11
	s_delay_alu instid0(SALU_CYCLE_1)
	s_mov_b32 s11, exec_lo
	v_cmpx_gt_u32_e64 s1, v33
	s_cbranch_execz .LBB1362_221
.LBB1362_194:                           ;   in Loop: Header=BB1362_187 Depth=2
	v_lshlrev_b32_e32 v0, 2, v18
	global_load_b32 v4, v0, s[8:9] offset:2048
	s_or_b32 exec_lo, exec_lo, s11
	s_delay_alu instid0(SALU_CYCLE_1)
	s_mov_b32 s11, exec_lo
	v_cmpx_gt_u32_e64 s1, v34
	s_cbranch_execnz .LBB1362_222
.LBB1362_195:                           ;   in Loop: Header=BB1362_187 Depth=2
	s_or_b32 exec_lo, exec_lo, s11
	s_delay_alu instid0(SALU_CYCLE_1)
	s_mov_b32 s11, exec_lo
	v_cmpx_gt_u32_e64 s1, v38
	s_cbranch_execz .LBB1362_223
.LBB1362_196:                           ;   in Loop: Header=BB1362_187 Depth=2
	v_lshlrev_b32_e32 v0, 2, v38
	global_load_b32 v6, v0, s[8:9]
	s_or_b32 exec_lo, exec_lo, s11
	s_delay_alu instid0(SALU_CYCLE_1)
	s_mov_b32 s11, exec_lo
	v_cmpx_gt_u32_e64 s1, v39
	s_cbranch_execnz .LBB1362_224
.LBB1362_197:                           ;   in Loop: Header=BB1362_187 Depth=2
	s_or_b32 exec_lo, exec_lo, s11
	s_delay_alu instid0(SALU_CYCLE_1)
	s_mov_b32 s11, exec_lo
	v_cmpx_gt_u32_e64 s1, v40
	s_cbranch_execz .LBB1362_199
.LBB1362_198:                           ;   in Loop: Header=BB1362_187 Depth=2
	v_lshlrev_b32_e32 v0, 2, v40
	global_load_b32 v8, v0, s[8:9]
.LBB1362_199:                           ;   in Loop: Header=BB1362_187 Depth=2
	s_or_b32 exec_lo, exec_lo, s11
	s_delay_alu instid0(SALU_CYCLE_1)
	s_mov_b32 s12, exec_lo
                                        ; implicit-def: $sgpr11
                                        ; implicit-def: $vgpr21_vgpr22
	v_cmpx_gt_u32_e64 s1, v42
; %bb.200:                              ;   in Loop: Header=BB1362_187 Depth=2
	v_lshlrev_b32_e32 v0, 2, v42
	s_sub_i32 s11, s34, s26
	s_or_b32 s10, s10, exec_lo
	s_delay_alu instid0(VALU_DEP_1) | instskip(NEXT) | instid1(VALU_DEP_1)
	v_add_co_u32 v21, s8, s8, v0
	v_add_co_ci_u32_e64 v22, null, s9, 0, s8
; %bb.201:                              ;   in Loop: Header=BB1362_187 Depth=2
	s_or_b32 exec_lo, exec_lo, s12
	s_waitcnt vmcnt(0)
	v_dual_mov_b32 v17, v9 :: v_dual_mov_b32 v16, v8
	v_dual_mov_b32 v15, v7 :: v_dual_mov_b32 v14, v6
	;; [unrolled: 1-line block ×4, first 2 shown]
	v_mov_b32_e32 v0, s1
	s_and_saveexec_b32 s8, s10
	s_cbranch_execz .LBB1362_203
.LBB1362_202:                           ;   in Loop: Header=BB1362_187 Depth=2
	global_load_b32 v17, v[21:22], off
	s_waitcnt vmcnt(0)
	v_dual_mov_b32 v2, v10 :: v_dual_mov_b32 v5, v13
	v_dual_mov_b32 v0, s11 :: v_dual_mov_b32 v3, v11
	;; [unrolled: 1-line block ×3, first 2 shown]
	v_mov_b32_e32 v6, v14
	v_dual_mov_b32 v8, v16 :: v_dual_mov_b32 v9, v17
.LBB1362_203:                           ;   in Loop: Header=BB1362_187 Depth=2
	s_or_b32 exec_lo, exec_lo, s8
	s_delay_alu instid0(SALU_CYCLE_1)
	s_mov_b32 s8, exec_lo
	v_cmpx_lt_u32_e64 v18, v0
	s_cbranch_execz .LBB1362_211
; %bb.204:                              ;   in Loop: Header=BB1362_187 Depth=2
	v_cmp_gt_i32_e32 vcc_lo, 0, v2
	s_waitcnt vmcnt(5)
	v_lshlrev_b32_e32 v11, 2, v35
	v_cndmask_b32_e64 v10, 0x7fffffff, 0, vcc_lo
	s_delay_alu instid0(VALU_DEP_1) | instskip(NEXT) | instid1(VALU_DEP_1)
	v_xor_b32_e32 v10, v10, v2
	v_cmp_ne_u32_e32 vcc_lo, 0x80000000, v10
	v_cndmask_b32_e32 v10, 0x7fffffff, v10, vcc_lo
	s_delay_alu instid0(VALU_DEP_1) | instskip(NEXT) | instid1(VALU_DEP_1)
	v_lshrrev_b32_e32 v10, s25, v10
	v_and_b32_e32 v10, s30, v10
	s_delay_alu instid0(VALU_DEP_1) | instskip(SKIP_2) | instid1(SALU_CYCLE_1)
	v_lshl_or_b32 v10, v10, 4, v11
	ds_add_u32 v10, v71
	s_or_b32 exec_lo, exec_lo, s8
	s_mov_b32 s8, exec_lo
	v_cmpx_lt_u32_e64 v32, v0
	s_cbranch_execnz .LBB1362_212
.LBB1362_205:                           ;   in Loop: Header=BB1362_187 Depth=2
	s_or_b32 exec_lo, exec_lo, s8
	s_delay_alu instid0(SALU_CYCLE_1)
	s_mov_b32 s8, exec_lo
	v_cmpx_lt_u32_e64 v33, v0
	s_cbranch_execz .LBB1362_213
.LBB1362_206:                           ;   in Loop: Header=BB1362_187 Depth=2
	v_cmp_gt_i32_e32 vcc_lo, 0, v4
	s_waitcnt vmcnt(5)
	v_lshlrev_b32_e32 v11, 2, v35
	v_cndmask_b32_e64 v10, 0x7fffffff, 0, vcc_lo
	s_delay_alu instid0(VALU_DEP_1) | instskip(NEXT) | instid1(VALU_DEP_1)
	v_xor_b32_e32 v10, v10, v4
	v_cmp_ne_u32_e32 vcc_lo, 0x80000000, v10
	v_cndmask_b32_e32 v10, 0x7fffffff, v10, vcc_lo
	s_delay_alu instid0(VALU_DEP_1) | instskip(NEXT) | instid1(VALU_DEP_1)
	v_lshrrev_b32_e32 v10, s25, v10
	v_and_b32_e32 v10, s30, v10
	s_delay_alu instid0(VALU_DEP_1) | instskip(SKIP_2) | instid1(SALU_CYCLE_1)
	v_lshl_or_b32 v10, v10, 4, v11
	ds_add_u32 v10, v71
	s_or_b32 exec_lo, exec_lo, s8
	s_mov_b32 s8, exec_lo
	v_cmpx_lt_u32_e64 v34, v0
	s_cbranch_execnz .LBB1362_214
.LBB1362_207:                           ;   in Loop: Header=BB1362_187 Depth=2
	s_or_b32 exec_lo, exec_lo, s8
	s_delay_alu instid0(SALU_CYCLE_1)
	s_mov_b32 s8, exec_lo
	v_cmpx_lt_u32_e64 v38, v0
	s_cbranch_execz .LBB1362_215
.LBB1362_208:                           ;   in Loop: Header=BB1362_187 Depth=2
	v_cmp_gt_i32_e32 vcc_lo, 0, v6
	s_waitcnt vmcnt(5)
	v_lshlrev_b32_e32 v11, 2, v35
	v_cndmask_b32_e64 v10, 0x7fffffff, 0, vcc_lo
	s_delay_alu instid0(VALU_DEP_1) | instskip(NEXT) | instid1(VALU_DEP_1)
	v_xor_b32_e32 v10, v10, v6
	v_cmp_ne_u32_e32 vcc_lo, 0x80000000, v10
	v_cndmask_b32_e32 v10, 0x7fffffff, v10, vcc_lo
	s_delay_alu instid0(VALU_DEP_1) | instskip(NEXT) | instid1(VALU_DEP_1)
	v_lshrrev_b32_e32 v10, s25, v10
	v_and_b32_e32 v10, s30, v10
	s_delay_alu instid0(VALU_DEP_1) | instskip(SKIP_2) | instid1(SALU_CYCLE_1)
	v_lshl_or_b32 v10, v10, 4, v11
	ds_add_u32 v10, v71
	s_or_b32 exec_lo, exec_lo, s8
	s_mov_b32 s8, exec_lo
	v_cmpx_lt_u32_e64 v39, v0
	s_cbranch_execnz .LBB1362_216
.LBB1362_209:                           ;   in Loop: Header=BB1362_187 Depth=2
	s_or_b32 exec_lo, exec_lo, s8
	s_delay_alu instid0(SALU_CYCLE_1)
	s_mov_b32 s8, exec_lo
	v_cmpx_lt_u32_e64 v40, v0
	s_cbranch_execz .LBB1362_217
.LBB1362_210:                           ;   in Loop: Header=BB1362_187 Depth=2
	v_cmp_gt_i32_e32 vcc_lo, 0, v8
	s_waitcnt vmcnt(5)
	v_lshlrev_b32_e32 v11, 2, v35
	v_cndmask_b32_e64 v10, 0x7fffffff, 0, vcc_lo
	s_delay_alu instid0(VALU_DEP_1) | instskip(NEXT) | instid1(VALU_DEP_1)
	v_xor_b32_e32 v10, v10, v8
	v_cmp_ne_u32_e32 vcc_lo, 0x80000000, v10
	v_cndmask_b32_e32 v10, 0x7fffffff, v10, vcc_lo
	s_delay_alu instid0(VALU_DEP_1) | instskip(NEXT) | instid1(VALU_DEP_1)
	v_lshrrev_b32_e32 v10, s25, v10
	v_and_b32_e32 v10, s30, v10
	s_delay_alu instid0(VALU_DEP_1) | instskip(SKIP_2) | instid1(SALU_CYCLE_1)
	v_lshl_or_b32 v10, v10, 4, v11
	ds_add_u32 v10, v71
	s_or_b32 exec_lo, exec_lo, s8
	s_mov_b32 s8, exec_lo
	v_cmpx_lt_u32_e64 v42, v0
	s_cbranch_execz .LBB1362_186
	s_branch .LBB1362_218
.LBB1362_211:                           ;   in Loop: Header=BB1362_187 Depth=2
	s_or_b32 exec_lo, exec_lo, s8
	s_delay_alu instid0(SALU_CYCLE_1)
	s_mov_b32 s8, exec_lo
	v_cmpx_lt_u32_e64 v32, v0
	s_cbranch_execz .LBB1362_205
.LBB1362_212:                           ;   in Loop: Header=BB1362_187 Depth=2
	v_cmp_gt_i32_e32 vcc_lo, 0, v3
	s_waitcnt vmcnt(5)
	v_lshlrev_b32_e32 v11, 2, v35
	v_cndmask_b32_e64 v10, 0x7fffffff, 0, vcc_lo
	s_delay_alu instid0(VALU_DEP_1) | instskip(NEXT) | instid1(VALU_DEP_1)
	v_xor_b32_e32 v10, v10, v3
	v_cmp_ne_u32_e32 vcc_lo, 0x80000000, v10
	v_cndmask_b32_e32 v10, 0x7fffffff, v10, vcc_lo
	s_delay_alu instid0(VALU_DEP_1) | instskip(NEXT) | instid1(VALU_DEP_1)
	v_lshrrev_b32_e32 v10, s25, v10
	v_and_b32_e32 v10, s30, v10
	s_delay_alu instid0(VALU_DEP_1) | instskip(SKIP_2) | instid1(SALU_CYCLE_1)
	v_lshl_or_b32 v10, v10, 4, v11
	ds_add_u32 v10, v71
	s_or_b32 exec_lo, exec_lo, s8
	s_mov_b32 s8, exec_lo
	v_cmpx_lt_u32_e64 v33, v0
	s_cbranch_execnz .LBB1362_206
.LBB1362_213:                           ;   in Loop: Header=BB1362_187 Depth=2
	s_or_b32 exec_lo, exec_lo, s8
	s_delay_alu instid0(SALU_CYCLE_1)
	s_mov_b32 s8, exec_lo
	v_cmpx_lt_u32_e64 v34, v0
	s_cbranch_execz .LBB1362_207
.LBB1362_214:                           ;   in Loop: Header=BB1362_187 Depth=2
	v_cmp_gt_i32_e32 vcc_lo, 0, v5
	s_waitcnt vmcnt(5)
	v_lshlrev_b32_e32 v11, 2, v35
	v_cndmask_b32_e64 v10, 0x7fffffff, 0, vcc_lo
	s_delay_alu instid0(VALU_DEP_1) | instskip(NEXT) | instid1(VALU_DEP_1)
	v_xor_b32_e32 v10, v10, v5
	v_cmp_ne_u32_e32 vcc_lo, 0x80000000, v10
	v_cndmask_b32_e32 v10, 0x7fffffff, v10, vcc_lo
	s_delay_alu instid0(VALU_DEP_1) | instskip(NEXT) | instid1(VALU_DEP_1)
	v_lshrrev_b32_e32 v10, s25, v10
	v_and_b32_e32 v10, s30, v10
	s_delay_alu instid0(VALU_DEP_1) | instskip(SKIP_2) | instid1(SALU_CYCLE_1)
	v_lshl_or_b32 v10, v10, 4, v11
	ds_add_u32 v10, v71
	s_or_b32 exec_lo, exec_lo, s8
	s_mov_b32 s8, exec_lo
	v_cmpx_lt_u32_e64 v38, v0
	s_cbranch_execnz .LBB1362_208
.LBB1362_215:                           ;   in Loop: Header=BB1362_187 Depth=2
	s_or_b32 exec_lo, exec_lo, s8
	s_delay_alu instid0(SALU_CYCLE_1)
	s_mov_b32 s8, exec_lo
	v_cmpx_lt_u32_e64 v39, v0
	s_cbranch_execz .LBB1362_209
.LBB1362_216:                           ;   in Loop: Header=BB1362_187 Depth=2
	v_cmp_gt_i32_e32 vcc_lo, 0, v7
	s_waitcnt vmcnt(5)
	v_lshlrev_b32_e32 v11, 2, v35
	v_cndmask_b32_e64 v10, 0x7fffffff, 0, vcc_lo
	s_delay_alu instid0(VALU_DEP_1) | instskip(NEXT) | instid1(VALU_DEP_1)
	v_xor_b32_e32 v10, v10, v7
	v_cmp_ne_u32_e32 vcc_lo, 0x80000000, v10
	v_cndmask_b32_e32 v10, 0x7fffffff, v10, vcc_lo
	s_delay_alu instid0(VALU_DEP_1) | instskip(NEXT) | instid1(VALU_DEP_1)
	v_lshrrev_b32_e32 v10, s25, v10
	v_and_b32_e32 v10, s30, v10
	s_delay_alu instid0(VALU_DEP_1) | instskip(SKIP_2) | instid1(SALU_CYCLE_1)
	v_lshl_or_b32 v10, v10, 4, v11
	ds_add_u32 v10, v71
	s_or_b32 exec_lo, exec_lo, s8
	s_mov_b32 s8, exec_lo
	v_cmpx_lt_u32_e64 v40, v0
	s_cbranch_execnz .LBB1362_210
.LBB1362_217:                           ;   in Loop: Header=BB1362_187 Depth=2
	s_or_b32 exec_lo, exec_lo, s8
	s_delay_alu instid0(SALU_CYCLE_1)
	s_mov_b32 s8, exec_lo
	v_cmpx_lt_u32_e64 v42, v0
	s_cbranch_execz .LBB1362_186
.LBB1362_218:                           ;   in Loop: Header=BB1362_187 Depth=2
	v_cmp_gt_i32_e32 vcc_lo, 0, v9
	s_waitcnt vmcnt(6)
	v_lshlrev_b32_e32 v10, 2, v35
	v_cndmask_b32_e64 v0, 0x7fffffff, 0, vcc_lo
	s_delay_alu instid0(VALU_DEP_1) | instskip(NEXT) | instid1(VALU_DEP_1)
	v_xor_b32_e32 v0, v0, v9
	v_cmp_ne_u32_e32 vcc_lo, 0x80000000, v0
	v_cndmask_b32_e32 v0, 0x7fffffff, v0, vcc_lo
	s_delay_alu instid0(VALU_DEP_1) | instskip(NEXT) | instid1(VALU_DEP_1)
	v_lshrrev_b32_e32 v0, s25, v0
	v_and_b32_e32 v0, s30, v0
	s_delay_alu instid0(VALU_DEP_1)
	v_lshl_or_b32 v0, v0, 4, v10
	ds_add_u32 v0, v71
	s_branch .LBB1362_186
.LBB1362_219:                           ;   in Loop: Header=BB1362_187 Depth=2
	s_or_b32 exec_lo, exec_lo, s11
	s_delay_alu instid0(SALU_CYCLE_1)
	s_mov_b32 s11, exec_lo
	v_cmpx_gt_u32_e64 s1, v32
	s_cbranch_execz .LBB1362_193
.LBB1362_220:                           ;   in Loop: Header=BB1362_187 Depth=2
	v_lshlrev_b32_e32 v0, 2, v18
	global_load_b32 v3, v0, s[8:9] offset:1024
	s_or_b32 exec_lo, exec_lo, s11
	s_delay_alu instid0(SALU_CYCLE_1)
	s_mov_b32 s11, exec_lo
	v_cmpx_gt_u32_e64 s1, v33
	s_cbranch_execnz .LBB1362_194
.LBB1362_221:                           ;   in Loop: Header=BB1362_187 Depth=2
	s_or_b32 exec_lo, exec_lo, s11
	s_delay_alu instid0(SALU_CYCLE_1)
	s_mov_b32 s11, exec_lo
	v_cmpx_gt_u32_e64 s1, v34
	s_cbranch_execz .LBB1362_195
.LBB1362_222:                           ;   in Loop: Header=BB1362_187 Depth=2
	v_lshlrev_b32_e32 v0, 2, v18
	global_load_b32 v5, v0, s[8:9] offset:3072
	s_or_b32 exec_lo, exec_lo, s11
	s_delay_alu instid0(SALU_CYCLE_1)
	s_mov_b32 s11, exec_lo
	v_cmpx_gt_u32_e64 s1, v38
	s_cbranch_execnz .LBB1362_196
.LBB1362_223:                           ;   in Loop: Header=BB1362_187 Depth=2
	s_or_b32 exec_lo, exec_lo, s11
	s_delay_alu instid0(SALU_CYCLE_1)
	s_mov_b32 s11, exec_lo
	v_cmpx_gt_u32_e64 s1, v39
	s_cbranch_execz .LBB1362_197
.LBB1362_224:                           ;   in Loop: Header=BB1362_187 Depth=2
	v_lshlrev_b32_e32 v0, 2, v39
	global_load_b32 v7, v0, s[8:9]
	s_or_b32 exec_lo, exec_lo, s11
	s_delay_alu instid0(SALU_CYCLE_1)
	s_mov_b32 s11, exec_lo
	v_cmpx_gt_u32_e64 s1, v40
	s_cbranch_execz .LBB1362_199
	s_branch .LBB1362_198
.LBB1362_225:                           ;   in Loop: Header=BB1362_17 Depth=1
	v_mov_b32_e32 v0, 0
	s_waitcnt vmcnt(0) lgkmcnt(0)
	s_barrier
	buffer_gl0_inv
	s_and_saveexec_b32 s1, s2
	s_cbranch_execz .LBB1362_227
; %bb.226:                              ;   in Loop: Header=BB1362_17 Depth=1
	ds_load_2addr_b64 v[2:5], v43 offset1:1
	s_waitcnt lgkmcnt(0)
	v_add_nc_u32_e32 v0, v3, v2
	s_delay_alu instid0(VALU_DEP_1)
	v_add3_u32 v0, v0, v4, v5
.LBB1362_227:                           ;   in Loop: Header=BB1362_17 Depth=1
	s_or_b32 exec_lo, exec_lo, s1
	v_and_b32_e32 v2, 15, v72
	s_delay_alu instid0(VALU_DEP_2) | instskip(SKIP_1) | instid1(VALU_DEP_3)
	v_mov_b32_dpp v3, v0 row_shr:1 row_mask:0xf bank_mask:0xf
	v_and_b32_e32 v4, 16, v72
	v_cmp_eq_u32_e64 s1, 0, v2
	v_cmp_lt_u32_e64 s7, 1, v2
	v_cmp_lt_u32_e64 s8, 3, v2
	;; [unrolled: 1-line block ×3, first 2 shown]
	v_cmp_eq_u32_e64 s10, 0, v4
	v_cndmask_b32_e64 v3, v3, 0, s1
	s_delay_alu instid0(VALU_DEP_1) | instskip(NEXT) | instid1(VALU_DEP_1)
	v_add_nc_u32_e32 v0, v3, v0
	v_mov_b32_dpp v3, v0 row_shr:2 row_mask:0xf bank_mask:0xf
	s_delay_alu instid0(VALU_DEP_1) | instskip(NEXT) | instid1(VALU_DEP_1)
	v_cndmask_b32_e64 v3, 0, v3, s7
	v_add_nc_u32_e32 v0, v0, v3
	s_delay_alu instid0(VALU_DEP_1) | instskip(NEXT) | instid1(VALU_DEP_1)
	v_mov_b32_dpp v3, v0 row_shr:4 row_mask:0xf bank_mask:0xf
	v_cndmask_b32_e64 v3, 0, v3, s8
	s_delay_alu instid0(VALU_DEP_1) | instskip(NEXT) | instid1(VALU_DEP_1)
	v_add_nc_u32_e32 v0, v0, v3
	v_mov_b32_dpp v3, v0 row_shr:8 row_mask:0xf bank_mask:0xf
	s_delay_alu instid0(VALU_DEP_1) | instskip(SKIP_1) | instid1(VALU_DEP_2)
	v_cndmask_b32_e64 v2, 0, v3, s9
	v_bfe_i32 v3, v72, 4, 1
	v_add_nc_u32_e32 v0, v0, v2
	ds_swizzle_b32 v2, v0 offset:swizzle(BROADCAST,32,15)
	s_waitcnt lgkmcnt(0)
	v_and_b32_e32 v2, v3, v2
	s_delay_alu instid0(VALU_DEP_1)
	v_add_nc_u32_e32 v2, v0, v2
	s_and_saveexec_b32 s11, s3
	s_cbranch_execz .LBB1362_229
; %bb.228:                              ;   in Loop: Header=BB1362_17 Depth=1
	ds_store_b32 v44, v2
.LBB1362_229:                           ;   in Loop: Header=BB1362_17 Depth=1
	s_or_b32 exec_lo, exec_lo, s11
	v_and_b32_e32 v0, 7, v72
	s_waitcnt lgkmcnt(0)
	s_barrier
	buffer_gl0_inv
	s_and_saveexec_b32 s11, s4
	s_cbranch_execz .LBB1362_231
; %bb.230:                              ;   in Loop: Header=BB1362_17 Depth=1
	ds_load_b32 v3, v45
	v_cmp_ne_u32_e32 vcc_lo, 0, v0
	s_waitcnt lgkmcnt(0)
	v_mov_b32_dpp v4, v3 row_shr:1 row_mask:0xf bank_mask:0xf
	s_delay_alu instid0(VALU_DEP_1) | instskip(SKIP_1) | instid1(VALU_DEP_2)
	v_cndmask_b32_e32 v4, 0, v4, vcc_lo
	v_cmp_lt_u32_e32 vcc_lo, 1, v0
	v_add_nc_u32_e32 v3, v4, v3
	s_delay_alu instid0(VALU_DEP_1) | instskip(NEXT) | instid1(VALU_DEP_1)
	v_mov_b32_dpp v4, v3 row_shr:2 row_mask:0xf bank_mask:0xf
	v_cndmask_b32_e32 v4, 0, v4, vcc_lo
	v_cmp_lt_u32_e32 vcc_lo, 3, v0
	s_delay_alu instid0(VALU_DEP_2) | instskip(NEXT) | instid1(VALU_DEP_1)
	v_add_nc_u32_e32 v3, v3, v4
	v_mov_b32_dpp v4, v3 row_shr:4 row_mask:0xf bank_mask:0xf
	s_delay_alu instid0(VALU_DEP_1) | instskip(NEXT) | instid1(VALU_DEP_1)
	v_cndmask_b32_e32 v4, 0, v4, vcc_lo
	v_add_nc_u32_e32 v3, v3, v4
	ds_store_b32 v45, v3
.LBB1362_231:                           ;   in Loop: Header=BB1362_17 Depth=1
	s_or_b32 exec_lo, exec_lo, s11
	v_mov_b32_e32 v3, 0
	s_waitcnt lgkmcnt(0)
	s_barrier
	buffer_gl0_inv
	s_and_saveexec_b32 s11, s5
	s_cbranch_execz .LBB1362_233
; %bb.232:                              ;   in Loop: Header=BB1362_17 Depth=1
	ds_load_b32 v3, v46
.LBB1362_233:                           ;   in Loop: Header=BB1362_17 Depth=1
	s_or_b32 exec_lo, exec_lo, s11
	v_add_nc_u32_e32 v4, -1, v72
	s_waitcnt lgkmcnt(0)
	v_add_nc_u32_e32 v2, v3, v2
	v_cmp_eq_u32_e64 s11, 0, v72
	s_barrier
	v_cmp_gt_i32_e32 vcc_lo, 0, v4
	buffer_gl0_inv
	v_cndmask_b32_e32 v4, v4, v72, vcc_lo
	s_delay_alu instid0(VALU_DEP_1)
	v_lshlrev_b32_e32 v73, 2, v4
	ds_bpermute_b32 v2, v73, v2
	s_and_saveexec_b32 s12, s2
	s_cbranch_execz .LBB1362_235
; %bb.234:                              ;   in Loop: Header=BB1362_17 Depth=1
	s_waitcnt lgkmcnt(0)
	v_cndmask_b32_e64 v2, v2, v3, s11
	s_delay_alu instid0(VALU_DEP_1)
	v_add_nc_u32_e32 v2, s33, v2
	ds_store_b32 v31, v2
.LBB1362_235:                           ;   in Loop: Header=BB1362_17 Depth=1
	s_or_b32 exec_lo, exec_lo, s12
	s_load_b64 s[12:13], s[28:29], 0x0
	v_lshlrev_b32_e32 v3, 3, v72
	v_or_b32_e32 v74, v72, v47
	s_mov_b32 s31, s59
	s_mov_b32 s26, s33
                                        ; implicit-def: $vgpr10_vgpr11
                                        ; implicit-def: $vgpr12_vgpr13
                                        ; implicit-def: $vgpr14_vgpr15
                                        ; implicit-def: $vgpr16_vgpr17
                                        ; implicit-def: $vgpr21_vgpr22
                                        ; implicit-def: $vgpr23_vgpr24
                                        ; implicit-def: $vgpr25_vgpr26
                                        ; implicit-def: $vgpr27_vgpr28
                                        ; implicit-def: $vgpr89
                                        ; implicit-def: $vgpr90
                                        ; implicit-def: $vgpr91
                                        ; implicit-def: $vgpr92
                                        ; implicit-def: $vgpr93
                                        ; implicit-def: $vgpr94
                                        ; implicit-def: $vgpr95
                                        ; implicit-def: $vgpr96
	s_delay_alu instid0(VALU_DEP_2)
	v_add_co_u32 v75, vcc_lo, v61, v3
	v_add_co_ci_u32_e32 v76, vcc_lo, 0, v62, vcc_lo
	v_or_b32_e32 v77, 32, v74
	v_or_b32_e32 v78, 64, v74
	;; [unrolled: 1-line block ×7, first 2 shown]
	s_waitcnt lgkmcnt(0)
	s_cmp_lt_u32 s15, s13
	s_cselect_b32 s13, 14, 20
	s_delay_alu instid0(SALU_CYCLE_1) | instskip(SKIP_4) | instid1(SALU_CYCLE_1)
	s_add_u32 s16, s28, s13
	s_addc_u32 s17, s29, 0
	s_cmp_lt_u32 s14, s12
	global_load_u16 v2, v20, s[16:17]
	s_cselect_b32 s12, 12, 18
	s_add_u32 s12, s28, s12
	s_addc_u32 s13, s29, 0
	global_load_u16 v4, v20, s[12:13]
	v_cmp_eq_u32_e64 s12, 0, v0
	v_cmp_lt_u32_e64 s13, 1, v0
	v_cmp_lt_u32_e64 s16, 3, v0
	v_lshlrev_b32_e32 v0, 2, v72
	s_delay_alu instid0(VALU_DEP_1) | instskip(SKIP_1) | instid1(VALU_DEP_2)
	v_add_co_u32 v84, vcc_lo, v63, v0
	v_add_co_ci_u32_e32 v85, vcc_lo, 0, v64, vcc_lo
	v_add_co_u32 v87, vcc_lo, 0x380, v84
	s_delay_alu instid0(VALU_DEP_2) | instskip(SKIP_3) | instid1(VALU_DEP_1)
	v_add_co_ci_u32_e32 v88, vcc_lo, 0, v85, vcc_lo
	s_waitcnt vmcnt(1)
	v_mad_u32_u24 v5, v48, v2, v50
	s_waitcnt vmcnt(0)
	v_mad_u64_u32 v[2:3], null, v5, v4, v[18:19]
	s_delay_alu instid0(VALU_DEP_1)
	v_lshrrev_b32_e32 v86, 5, v2
	s_branch .LBB1362_237
.LBB1362_236:                           ;   in Loop: Header=BB1362_237 Depth=2
	s_or_b32 exec_lo, exec_lo, s17
	s_addk_i32 s31, 0xf800
	s_cmp_lt_u32 s50, s34
	s_mov_b32 s26, s50
	s_cbranch_scc0 .LBB1362_349
.LBB1362_237:                           ;   Parent Loop BB1362_17 Depth=1
                                        ; =>  This Inner Loop Header: Depth=2
	s_add_i32 s50, s26, 0x800
	s_delay_alu instid0(SALU_CYCLE_1)
	s_cmp_gt_u32 s50, s34
	s_cbranch_scc1 .LBB1362_239
; %bb.238:                              ;   in Loop: Header=BB1362_237 Depth=2
	s_mov_b32 s19, 0
	s_mov_b32 s18, s26
	s_movk_i32 s17, 0x800
	s_lshl_b64 s[20:21], s[18:19], 2
	s_delay_alu instid0(SALU_CYCLE_1)
	v_add_co_u32 v8, vcc_lo, v84, s20
	v_add_co_ci_u32_e32 v9, vcc_lo, s21, v85, vcc_lo
	s_mov_b32 s20, -1
	s_clause 0x6
	global_load_b32 v2, v[8:9], off
	global_load_b32 v3, v[8:9], off offset:128
	global_load_b32 v4, v[8:9], off offset:256
	;; [unrolled: 1-line block ×6, first 2 shown]
	s_cbranch_execz .LBB1362_240
	s_branch .LBB1362_249
.LBB1362_239:                           ;   in Loop: Header=BB1362_237 Depth=2
	s_mov_b32 s19, -1
	s_mov_b32 s20, 0
                                        ; implicit-def: $sgpr17
                                        ; implicit-def: $vgpr2_vgpr3_vgpr4_vgpr5_vgpr6_vgpr7_vgpr8_vgpr9
.LBB1362_240:                           ;   in Loop: Header=BB1362_237 Depth=2
	s_lshl_b64 s[18:19], s[26:27], 2
	s_mov_b32 s37, s36
	v_add_co_u32 v29, vcc_lo, v84, s18
	s_mov_b32 s38, s36
	s_mov_b32 s39, s36
	;; [unrolled: 1-line block ×6, first 2 shown]
	s_waitcnt vmcnt(0)
	v_dual_mov_b32 v2, s36 :: v_dual_mov_b32 v3, s37
	v_add_co_ci_u32_e32 v30, vcc_lo, s19, v85, vcc_lo
	v_dual_mov_b32 v4, s38 :: v_dual_mov_b32 v5, s39
	v_dual_mov_b32 v6, s40 :: v_dual_mov_b32 v7, s41
	;; [unrolled: 1-line block ×3, first 2 shown]
	s_mov_b32 s17, exec_lo
	v_cmpx_gt_u32_e64 s31, v74
	s_cbranch_execz .LBB1362_343
; %bb.241:                              ;   in Loop: Header=BB1362_237 Depth=2
	global_load_b32 v0, v[29:30], off
	v_mov_b32_e32 v7, v1
	v_mov_b32_e32 v2, v1
	;; [unrolled: 1-line block ×6, first 2 shown]
	s_waitcnt vmcnt(0)
	v_mov_b32_e32 v9, v7
	s_delay_alu instid0(VALU_DEP_2)
	v_dual_mov_b32 v8, v6 :: v_dual_mov_b32 v7, v5
	v_mov_b32_e32 v6, v4
	v_mov_b32_e32 v5, v3
	;; [unrolled: 1-line block ×5, first 2 shown]
	s_or_b32 exec_lo, exec_lo, s17
	s_delay_alu instid0(SALU_CYCLE_1)
	s_mov_b32 s17, exec_lo
	v_cmpx_gt_u32_e64 s31, v77
	s_cbranch_execnz .LBB1362_344
.LBB1362_242:                           ;   in Loop: Header=BB1362_237 Depth=2
	s_or_b32 exec_lo, exec_lo, s17
	s_delay_alu instid0(SALU_CYCLE_1)
	s_mov_b32 s17, exec_lo
	v_cmpx_gt_u32_e64 s31, v78
	s_cbranch_execz .LBB1362_345
.LBB1362_243:                           ;   in Loop: Header=BB1362_237 Depth=2
	global_load_b32 v4, v[29:30], off offset:256
	s_or_b32 exec_lo, exec_lo, s17
	s_delay_alu instid0(SALU_CYCLE_1)
	s_mov_b32 s17, exec_lo
	v_cmpx_gt_u32_e64 s31, v79
	s_cbranch_execnz .LBB1362_346
.LBB1362_244:                           ;   in Loop: Header=BB1362_237 Depth=2
	s_or_b32 exec_lo, exec_lo, s17
	s_delay_alu instid0(SALU_CYCLE_1)
	s_mov_b32 s17, exec_lo
	v_cmpx_gt_u32_e64 s31, v80
	s_cbranch_execz .LBB1362_347
.LBB1362_245:                           ;   in Loop: Header=BB1362_237 Depth=2
	global_load_b32 v6, v[29:30], off offset:512
	s_or_b32 exec_lo, exec_lo, s17
	s_delay_alu instid0(SALU_CYCLE_1)
	s_mov_b32 s17, exec_lo
	v_cmpx_gt_u32_e64 s31, v81
	s_cbranch_execnz .LBB1362_348
.LBB1362_246:                           ;   in Loop: Header=BB1362_237 Depth=2
	s_or_b32 exec_lo, exec_lo, s17
	s_delay_alu instid0(SALU_CYCLE_1)
	s_mov_b32 s17, exec_lo
	v_cmpx_gt_u32_e64 s31, v82
	s_cbranch_execz .LBB1362_248
.LBB1362_247:                           ;   in Loop: Header=BB1362_237 Depth=2
	global_load_b32 v8, v[29:30], off offset:768
.LBB1362_248:                           ;   in Loop: Header=BB1362_237 Depth=2
	s_or_b32 exec_lo, exec_lo, s17
	v_cmp_gt_u32_e64 s20, s31, v83
	s_sub_i32 s17, s34, s26
	s_mov_b64 s[18:19], s[26:27]
.LBB1362_249:                           ;   in Loop: Header=BB1362_237 Depth=2
	v_mov_b32_e32 v0, s31
	s_delay_alu instid0(VALU_DEP_2)
	s_and_saveexec_b32 s21, s20
	s_cbranch_execz .LBB1362_251
; %bb.250:                              ;   in Loop: Header=BB1362_237 Depth=2
	s_lshl_b64 s[18:19], s[18:19], 2
	v_mov_b32_e32 v0, s17
	v_add_co_u32 v29, vcc_lo, v87, s18
	v_add_co_ci_u32_e32 v30, vcc_lo, s19, v88, vcc_lo
	global_load_b32 v9, v[29:30], off
.LBB1362_251:                           ;   in Loop: Header=BB1362_237 Depth=2
	s_or_b32 exec_lo, exec_lo, s21
	s_waitcnt vmcnt(6)
	v_cmp_gt_i32_e32 vcc_lo, 0, v2
	ds_store_b32 v49, v20 offset:1056
	ds_store_2addr_b32 v51, v20, v20 offset0:1 offset1:2
	ds_store_2addr_b32 v51, v20, v20 offset0:3 offset1:4
	;; [unrolled: 1-line block ×4, first 2 shown]
	s_waitcnt vmcnt(0) lgkmcnt(0)
	s_barrier
	v_cndmask_b32_e64 v19, 0x7fffffff, 0, vcc_lo
	buffer_gl0_inv
	; wave barrier
	v_xor_b32_e32 v19, v19, v2
	s_delay_alu instid0(VALU_DEP_1) | instskip(SKIP_1) | instid1(VALU_DEP_1)
	v_cmp_ne_u32_e32 vcc_lo, 0x80000000, v19
	v_cndmask_b32_e32 v2, 0x7fffffff, v19, vcc_lo
	v_lshrrev_b32_e32 v2, s25, v2
	s_delay_alu instid0(VALU_DEP_1) | instskip(NEXT) | instid1(VALU_DEP_1)
	v_and_b32_e32 v30, s30, v2
	v_lshlrev_b32_e32 v29, 30, v30
	v_and_b32_e32 v2, 1, v30
	v_lshlrev_b32_e32 v97, 29, v30
	v_lshlrev_b32_e32 v98, 28, v30
	;; [unrolled: 1-line block ×3, first 2 shown]
	v_not_b32_e32 v103, v29
	v_add_co_u32 v2, s17, v2, -1
	s_delay_alu instid0(VALU_DEP_1)
	v_cndmask_b32_e64 v99, 0, 1, s17
	v_cmp_gt_i32_e64 s17, 0, v29
	v_not_b32_e32 v29, v97
	v_ashrrev_i32_e32 v103, 31, v103
	v_lshlrev_b32_e32 v101, 26, v30
	v_cmp_ne_u32_e32 vcc_lo, 0, v99
	v_lshlrev_b32_e32 v102, 25, v30
	v_ashrrev_i32_e32 v29, 31, v29
	v_xor_b32_e32 v103, s17, v103
	v_cmp_gt_i32_e64 s17, 0, v98
	v_xor_b32_e32 v2, vcc_lo, v2
	v_cmp_gt_i32_e32 vcc_lo, 0, v97
	v_not_b32_e32 v97, v98
	v_not_b32_e32 v98, v100
	v_lshlrev_b32_e32 v99, 24, v30
	v_and_b32_e32 v2, exec_lo, v2
	v_xor_b32_e32 v29, vcc_lo, v29
	v_ashrrev_i32_e32 v97, 31, v97
	v_cmp_gt_i32_e32 vcc_lo, 0, v100
	v_not_b32_e32 v100, v101
	v_and_b32_e32 v2, v2, v103
	v_ashrrev_i32_e32 v98, 31, v98
	v_xor_b32_e32 v97, s17, v97
	v_cmp_gt_i32_e64 s17, 0, v101
	v_ashrrev_i32_e32 v100, 31, v100
	v_and_b32_e32 v2, v2, v29
	v_not_b32_e32 v29, v102
	v_xor_b32_e32 v98, vcc_lo, v98
	v_cmp_gt_i32_e32 vcc_lo, 0, v102
	v_xor_b32_e32 v100, s17, v100
	v_and_b32_e32 v2, v2, v97
	v_not_b32_e32 v97, v99
	v_ashrrev_i32_e32 v29, 31, v29
	v_cmp_gt_i32_e64 s17, 0, v99
	v_mad_u32_u24 v30, v30, 9, v86
	v_and_b32_e32 v2, v2, v98
	v_ashrrev_i32_e32 v97, 31, v97
	v_xor_b32_e32 v29, vcc_lo, v29
	s_delay_alu instid0(VALU_DEP_3) | instskip(NEXT) | instid1(VALU_DEP_3)
	v_and_b32_e32 v2, v2, v100
	v_xor_b32_e32 v97, s17, v97
	s_delay_alu instid0(VALU_DEP_2) | instskip(NEXT) | instid1(VALU_DEP_1)
	v_and_b32_e32 v2, v2, v29
	v_and_b32_e32 v2, v2, v97
	v_lshl_add_u32 v97, v30, 2, 0x420
	s_delay_alu instid0(VALU_DEP_2) | instskip(SKIP_1) | instid1(VALU_DEP_2)
	v_mbcnt_lo_u32_b32 v29, v2, 0
	v_cmp_ne_u32_e64 s17, 0, v2
	v_cmp_eq_u32_e32 vcc_lo, 0, v29
	s_delay_alu instid0(VALU_DEP_2) | instskip(NEXT) | instid1(SALU_CYCLE_1)
	s_and_b32 s18, s17, vcc_lo
	s_and_saveexec_b32 s17, s18
	s_cbranch_execz .LBB1362_253
; %bb.252:                              ;   in Loop: Header=BB1362_237 Depth=2
	v_bcnt_u32_b32 v2, v2, 0
	ds_store_b32 v97, v2
.LBB1362_253:                           ;   in Loop: Header=BB1362_237 Depth=2
	s_or_b32 exec_lo, exec_lo, s17
	v_cmp_gt_i32_e32 vcc_lo, 0, v3
	; wave barrier
	v_cndmask_b32_e64 v2, 0x7fffffff, 0, vcc_lo
	s_delay_alu instid0(VALU_DEP_1) | instskip(NEXT) | instid1(VALU_DEP_1)
	v_xor_b32_e32 v30, v2, v3
	v_cmp_ne_u32_e32 vcc_lo, 0x80000000, v30
	v_cndmask_b32_e32 v2, 0x7fffffff, v30, vcc_lo
	s_delay_alu instid0(VALU_DEP_1) | instskip(NEXT) | instid1(VALU_DEP_1)
	v_lshrrev_b32_e32 v2, s25, v2
	v_and_b32_e32 v2, s30, v2
	s_delay_alu instid0(VALU_DEP_1)
	v_and_b32_e32 v3, 1, v2
	v_lshlrev_b32_e32 v98, 30, v2
	v_lshlrev_b32_e32 v99, 29, v2
	;; [unrolled: 1-line block ×4, first 2 shown]
	v_add_co_u32 v3, s17, v3, -1
	s_delay_alu instid0(VALU_DEP_1)
	v_cndmask_b32_e64 v101, 0, 1, s17
	v_not_b32_e32 v105, v98
	v_cmp_gt_i32_e64 s17, 0, v98
	v_not_b32_e32 v98, v99
	v_lshlrev_b32_e32 v103, 26, v2
	v_cmp_ne_u32_e32 vcc_lo, 0, v101
	v_ashrrev_i32_e32 v105, 31, v105
	v_lshlrev_b32_e32 v104, 25, v2
	v_ashrrev_i32_e32 v98, 31, v98
	v_lshlrev_b32_e32 v101, 24, v2
	v_xor_b32_e32 v3, vcc_lo, v3
	v_cmp_gt_i32_e32 vcc_lo, 0, v99
	v_not_b32_e32 v99, v100
	v_xor_b32_e32 v105, s17, v105
	v_cmp_gt_i32_e64 s17, 0, v100
	v_and_b32_e32 v3, exec_lo, v3
	v_not_b32_e32 v100, v102
	v_ashrrev_i32_e32 v99, 31, v99
	v_xor_b32_e32 v98, vcc_lo, v98
	v_cmp_gt_i32_e32 vcc_lo, 0, v102
	v_and_b32_e32 v3, v3, v105
	v_not_b32_e32 v102, v103
	v_ashrrev_i32_e32 v100, 31, v100
	v_xor_b32_e32 v99, s17, v99
	v_cmp_gt_i32_e64 s17, 0, v103
	v_and_b32_e32 v3, v3, v98
	v_not_b32_e32 v98, v104
	v_ashrrev_i32_e32 v102, 31, v102
	v_xor_b32_e32 v100, vcc_lo, v100
	v_cmp_gt_i32_e32 vcc_lo, 0, v104
	v_and_b32_e32 v3, v3, v99
	v_not_b32_e32 v99, v101
	v_ashrrev_i32_e32 v98, 31, v98
	v_xor_b32_e32 v102, s17, v102
	v_mul_u32_u24_e32 v2, 9, v2
	v_and_b32_e32 v3, v3, v100
	v_cmp_gt_i32_e64 s17, 0, v101
	v_ashrrev_i32_e32 v99, 31, v99
	v_xor_b32_e32 v98, vcc_lo, v98
	v_add_lshl_u32 v100, v2, v86, 2
	v_and_b32_e32 v3, v3, v102
	s_delay_alu instid0(VALU_DEP_4) | instskip(NEXT) | instid1(VALU_DEP_3)
	v_xor_b32_e32 v2, s17, v99
	v_add_nc_u32_e32 v101, 0x420, v100
	s_delay_alu instid0(VALU_DEP_3) | instskip(SKIP_2) | instid1(VALU_DEP_1)
	v_and_b32_e32 v3, v3, v98
	ds_load_b32 v98, v100 offset:1056
	; wave barrier
	v_and_b32_e32 v2, v3, v2
	v_mbcnt_lo_u32_b32 v99, v2, 0
	v_cmp_ne_u32_e64 s17, 0, v2
	s_delay_alu instid0(VALU_DEP_2) | instskip(NEXT) | instid1(VALU_DEP_2)
	v_cmp_eq_u32_e32 vcc_lo, 0, v99
	s_and_b32 s18, s17, vcc_lo
	s_delay_alu instid0(SALU_CYCLE_1)
	s_and_saveexec_b32 s17, s18
	s_cbranch_execz .LBB1362_255
; %bb.254:                              ;   in Loop: Header=BB1362_237 Depth=2
	s_waitcnt lgkmcnt(0)
	v_bcnt_u32_b32 v2, v2, v98
	ds_store_b32 v101, v2
.LBB1362_255:                           ;   in Loop: Header=BB1362_237 Depth=2
	s_or_b32 exec_lo, exec_lo, s17
	v_cmp_gt_i32_e32 vcc_lo, 0, v4
	; wave barrier
	v_cndmask_b32_e64 v2, 0x7fffffff, 0, vcc_lo
	s_delay_alu instid0(VALU_DEP_1) | instskip(NEXT) | instid1(VALU_DEP_1)
	v_xor_b32_e32 v100, v2, v4
	v_cmp_ne_u32_e32 vcc_lo, 0x80000000, v100
	v_cndmask_b32_e32 v2, 0x7fffffff, v100, vcc_lo
	s_delay_alu instid0(VALU_DEP_1) | instskip(NEXT) | instid1(VALU_DEP_1)
	v_lshrrev_b32_e32 v2, s25, v2
	v_and_b32_e32 v2, s30, v2
	s_delay_alu instid0(VALU_DEP_1)
	v_and_b32_e32 v3, 1, v2
	v_lshlrev_b32_e32 v4, 30, v2
	v_lshlrev_b32_e32 v102, 29, v2
	;; [unrolled: 1-line block ×4, first 2 shown]
	v_add_co_u32 v3, s17, v3, -1
	s_delay_alu instid0(VALU_DEP_1)
	v_cndmask_b32_e64 v104, 0, 1, s17
	v_not_b32_e32 v108, v4
	v_cmp_gt_i32_e64 s17, 0, v4
	v_not_b32_e32 v4, v102
	v_lshlrev_b32_e32 v106, 26, v2
	v_cmp_ne_u32_e32 vcc_lo, 0, v104
	v_ashrrev_i32_e32 v108, 31, v108
	v_lshlrev_b32_e32 v107, 25, v2
	v_ashrrev_i32_e32 v4, 31, v4
	v_lshlrev_b32_e32 v104, 24, v2
	v_xor_b32_e32 v3, vcc_lo, v3
	v_cmp_gt_i32_e32 vcc_lo, 0, v102
	v_not_b32_e32 v102, v103
	v_xor_b32_e32 v108, s17, v108
	v_cmp_gt_i32_e64 s17, 0, v103
	v_and_b32_e32 v3, exec_lo, v3
	v_not_b32_e32 v103, v105
	v_ashrrev_i32_e32 v102, 31, v102
	v_xor_b32_e32 v4, vcc_lo, v4
	v_cmp_gt_i32_e32 vcc_lo, 0, v105
	v_and_b32_e32 v3, v3, v108
	v_not_b32_e32 v105, v106
	v_ashrrev_i32_e32 v103, 31, v103
	v_xor_b32_e32 v102, s17, v102
	v_cmp_gt_i32_e64 s17, 0, v106
	v_and_b32_e32 v3, v3, v4
	v_not_b32_e32 v4, v107
	v_ashrrev_i32_e32 v105, 31, v105
	v_xor_b32_e32 v103, vcc_lo, v103
	v_cmp_gt_i32_e32 vcc_lo, 0, v107
	v_and_b32_e32 v3, v3, v102
	v_not_b32_e32 v102, v104
	v_ashrrev_i32_e32 v4, 31, v4
	v_xor_b32_e32 v105, s17, v105
	v_mul_u32_u24_e32 v2, 9, v2
	v_and_b32_e32 v3, v3, v103
	v_cmp_gt_i32_e64 s17, 0, v104
	v_ashrrev_i32_e32 v102, 31, v102
	v_xor_b32_e32 v4, vcc_lo, v4
	v_add_lshl_u32 v103, v2, v86, 2
	v_and_b32_e32 v3, v3, v105
	s_delay_alu instid0(VALU_DEP_4) | instskip(SKIP_3) | instid1(VALU_DEP_2)
	v_xor_b32_e32 v2, s17, v102
	ds_load_b32 v102, v103 offset:1056
	v_and_b32_e32 v3, v3, v4
	v_add_nc_u32_e32 v105, 0x420, v103
	; wave barrier
	v_and_b32_e32 v2, v3, v2
	s_delay_alu instid0(VALU_DEP_1) | instskip(SKIP_1) | instid1(VALU_DEP_2)
	v_mbcnt_lo_u32_b32 v104, v2, 0
	v_cmp_ne_u32_e64 s17, 0, v2
	v_cmp_eq_u32_e32 vcc_lo, 0, v104
	s_delay_alu instid0(VALU_DEP_2) | instskip(NEXT) | instid1(SALU_CYCLE_1)
	s_and_b32 s18, s17, vcc_lo
	s_and_saveexec_b32 s17, s18
	s_cbranch_execz .LBB1362_257
; %bb.256:                              ;   in Loop: Header=BB1362_237 Depth=2
	s_waitcnt lgkmcnt(0)
	v_bcnt_u32_b32 v2, v2, v102
	ds_store_b32 v105, v2
.LBB1362_257:                           ;   in Loop: Header=BB1362_237 Depth=2
	s_or_b32 exec_lo, exec_lo, s17
	v_cmp_gt_i32_e32 vcc_lo, 0, v5
	; wave barrier
	v_cndmask_b32_e64 v2, 0x7fffffff, 0, vcc_lo
	s_delay_alu instid0(VALU_DEP_1) | instskip(NEXT) | instid1(VALU_DEP_1)
	v_xor_b32_e32 v103, v2, v5
	v_cmp_ne_u32_e32 vcc_lo, 0x80000000, v103
	v_cndmask_b32_e32 v2, 0x7fffffff, v103, vcc_lo
	s_delay_alu instid0(VALU_DEP_1) | instskip(NEXT) | instid1(VALU_DEP_1)
	v_lshrrev_b32_e32 v2, s25, v2
	v_and_b32_e32 v2, s30, v2
	s_delay_alu instid0(VALU_DEP_1)
	v_and_b32_e32 v3, 1, v2
	v_lshlrev_b32_e32 v4, 30, v2
	v_lshlrev_b32_e32 v5, 29, v2
	;; [unrolled: 1-line block ×4, first 2 shown]
	v_add_co_u32 v3, s17, v3, -1
	s_delay_alu instid0(VALU_DEP_1)
	v_cndmask_b32_e64 v107, 0, 1, s17
	v_not_b32_e32 v111, v4
	v_cmp_gt_i32_e64 s17, 0, v4
	v_not_b32_e32 v4, v5
	v_lshlrev_b32_e32 v109, 26, v2
	v_cmp_ne_u32_e32 vcc_lo, 0, v107
	v_ashrrev_i32_e32 v111, 31, v111
	v_lshlrev_b32_e32 v110, 25, v2
	v_ashrrev_i32_e32 v4, 31, v4
	v_lshlrev_b32_e32 v107, 24, v2
	v_xor_b32_e32 v3, vcc_lo, v3
	v_cmp_gt_i32_e32 vcc_lo, 0, v5
	v_not_b32_e32 v5, v106
	v_xor_b32_e32 v111, s17, v111
	v_cmp_gt_i32_e64 s17, 0, v106
	v_and_b32_e32 v3, exec_lo, v3
	v_not_b32_e32 v106, v108
	v_ashrrev_i32_e32 v5, 31, v5
	v_xor_b32_e32 v4, vcc_lo, v4
	v_cmp_gt_i32_e32 vcc_lo, 0, v108
	v_and_b32_e32 v3, v3, v111
	v_not_b32_e32 v108, v109
	v_ashrrev_i32_e32 v106, 31, v106
	v_xor_b32_e32 v5, s17, v5
	v_cmp_gt_i32_e64 s17, 0, v109
	v_and_b32_e32 v3, v3, v4
	v_not_b32_e32 v4, v110
	v_ashrrev_i32_e32 v108, 31, v108
	v_xor_b32_e32 v106, vcc_lo, v106
	v_cmp_gt_i32_e32 vcc_lo, 0, v110
	v_and_b32_e32 v3, v3, v5
	v_not_b32_e32 v5, v107
	v_ashrrev_i32_e32 v4, 31, v4
	v_xor_b32_e32 v108, s17, v108
	v_mul_u32_u24_e32 v2, 9, v2
	v_and_b32_e32 v3, v3, v106
	v_cmp_gt_i32_e64 s17, 0, v107
	v_ashrrev_i32_e32 v5, 31, v5
	v_xor_b32_e32 v4, vcc_lo, v4
	v_add_lshl_u32 v106, v2, v86, 2
	v_and_b32_e32 v3, v3, v108
	s_delay_alu instid0(VALU_DEP_4) | instskip(SKIP_3) | instid1(VALU_DEP_2)
	v_xor_b32_e32 v2, s17, v5
	ds_load_b32 v107, v106 offset:1056
	v_and_b32_e32 v3, v3, v4
	v_add_nc_u32_e32 v109, 0x420, v106
	; wave barrier
	v_and_b32_e32 v2, v3, v2
	s_delay_alu instid0(VALU_DEP_1) | instskip(SKIP_1) | instid1(VALU_DEP_2)
	v_mbcnt_lo_u32_b32 v108, v2, 0
	v_cmp_ne_u32_e64 s17, 0, v2
	v_cmp_eq_u32_e32 vcc_lo, 0, v108
	s_delay_alu instid0(VALU_DEP_2) | instskip(NEXT) | instid1(SALU_CYCLE_1)
	s_and_b32 s18, s17, vcc_lo
	s_and_saveexec_b32 s17, s18
	s_cbranch_execz .LBB1362_259
; %bb.258:                              ;   in Loop: Header=BB1362_237 Depth=2
	s_waitcnt lgkmcnt(0)
	v_bcnt_u32_b32 v2, v2, v107
	ds_store_b32 v109, v2
.LBB1362_259:                           ;   in Loop: Header=BB1362_237 Depth=2
	s_or_b32 exec_lo, exec_lo, s17
	v_cmp_gt_i32_e32 vcc_lo, 0, v6
	; wave barrier
	v_cndmask_b32_e64 v2, 0x7fffffff, 0, vcc_lo
	s_delay_alu instid0(VALU_DEP_1) | instskip(NEXT) | instid1(VALU_DEP_1)
	v_xor_b32_e32 v106, v2, v6
	v_cmp_ne_u32_e32 vcc_lo, 0x80000000, v106
	v_cndmask_b32_e32 v2, 0x7fffffff, v106, vcc_lo
	s_delay_alu instid0(VALU_DEP_1) | instskip(NEXT) | instid1(VALU_DEP_1)
	v_lshrrev_b32_e32 v2, s25, v2
	v_and_b32_e32 v2, s30, v2
	s_delay_alu instid0(VALU_DEP_1)
	v_and_b32_e32 v3, 1, v2
	v_lshlrev_b32_e32 v4, 30, v2
	v_lshlrev_b32_e32 v5, 29, v2
	;; [unrolled: 1-line block ×4, first 2 shown]
	v_add_co_u32 v3, s17, v3, -1
	s_delay_alu instid0(VALU_DEP_1)
	v_cndmask_b32_e64 v110, 0, 1, s17
	v_not_b32_e32 v114, v4
	v_cmp_gt_i32_e64 s17, 0, v4
	v_not_b32_e32 v4, v5
	v_lshlrev_b32_e32 v112, 26, v2
	v_cmp_ne_u32_e32 vcc_lo, 0, v110
	v_ashrrev_i32_e32 v114, 31, v114
	v_lshlrev_b32_e32 v113, 25, v2
	v_ashrrev_i32_e32 v4, 31, v4
	v_lshlrev_b32_e32 v110, 24, v2
	v_xor_b32_e32 v3, vcc_lo, v3
	v_cmp_gt_i32_e32 vcc_lo, 0, v5
	v_not_b32_e32 v5, v6
	v_xor_b32_e32 v114, s17, v114
	v_cmp_gt_i32_e64 s17, 0, v6
	v_and_b32_e32 v3, exec_lo, v3
	v_not_b32_e32 v6, v111
	v_ashrrev_i32_e32 v5, 31, v5
	v_xor_b32_e32 v4, vcc_lo, v4
	v_cmp_gt_i32_e32 vcc_lo, 0, v111
	v_and_b32_e32 v3, v3, v114
	v_not_b32_e32 v111, v112
	v_ashrrev_i32_e32 v6, 31, v6
	v_xor_b32_e32 v5, s17, v5
	v_cmp_gt_i32_e64 s17, 0, v112
	v_and_b32_e32 v3, v3, v4
	v_not_b32_e32 v4, v113
	v_ashrrev_i32_e32 v111, 31, v111
	v_xor_b32_e32 v6, vcc_lo, v6
	v_cmp_gt_i32_e32 vcc_lo, 0, v113
	v_and_b32_e32 v3, v3, v5
	v_not_b32_e32 v5, v110
	v_ashrrev_i32_e32 v4, 31, v4
	v_xor_b32_e32 v111, s17, v111
	v_mul_u32_u24_e32 v2, 9, v2
	v_and_b32_e32 v3, v3, v6
	v_cmp_gt_i32_e64 s17, 0, v110
	v_ashrrev_i32_e32 v5, 31, v5
	v_xor_b32_e32 v4, vcc_lo, v4
	v_add_lshl_u32 v6, v2, v86, 2
	v_and_b32_e32 v3, v3, v111
	s_delay_alu instid0(VALU_DEP_4) | instskip(SKIP_3) | instid1(VALU_DEP_2)
	v_xor_b32_e32 v2, s17, v5
	ds_load_b32 v111, v6 offset:1056
	v_and_b32_e32 v3, v3, v4
	v_add_nc_u32_e32 v113, 0x420, v6
	; wave barrier
	v_and_b32_e32 v2, v3, v2
	s_delay_alu instid0(VALU_DEP_1) | instskip(SKIP_1) | instid1(VALU_DEP_2)
	v_mbcnt_lo_u32_b32 v112, v2, 0
	v_cmp_ne_u32_e64 s17, 0, v2
	v_cmp_eq_u32_e32 vcc_lo, 0, v112
	s_delay_alu instid0(VALU_DEP_2) | instskip(NEXT) | instid1(SALU_CYCLE_1)
	s_and_b32 s18, s17, vcc_lo
	s_and_saveexec_b32 s17, s18
	s_cbranch_execz .LBB1362_261
; %bb.260:                              ;   in Loop: Header=BB1362_237 Depth=2
	s_waitcnt lgkmcnt(0)
	v_bcnt_u32_b32 v2, v2, v111
	ds_store_b32 v113, v2
.LBB1362_261:                           ;   in Loop: Header=BB1362_237 Depth=2
	s_or_b32 exec_lo, exec_lo, s17
	v_cmp_gt_i32_e32 vcc_lo, 0, v7
	; wave barrier
	v_cndmask_b32_e64 v2, 0x7fffffff, 0, vcc_lo
	s_delay_alu instid0(VALU_DEP_1) | instskip(NEXT) | instid1(VALU_DEP_1)
	v_xor_b32_e32 v110, v2, v7
	v_cmp_ne_u32_e32 vcc_lo, 0x80000000, v110
	v_cndmask_b32_e32 v2, 0x7fffffff, v110, vcc_lo
	s_delay_alu instid0(VALU_DEP_1) | instskip(NEXT) | instid1(VALU_DEP_1)
	v_lshrrev_b32_e32 v2, s25, v2
	v_and_b32_e32 v2, s30, v2
	s_delay_alu instid0(VALU_DEP_1)
	v_and_b32_e32 v3, 1, v2
	v_lshlrev_b32_e32 v4, 30, v2
	v_lshlrev_b32_e32 v5, 29, v2
	;; [unrolled: 1-line block ×4, first 2 shown]
	v_add_co_u32 v3, s17, v3, -1
	s_delay_alu instid0(VALU_DEP_1)
	v_cndmask_b32_e64 v7, 0, 1, s17
	v_not_b32_e32 v117, v4
	v_cmp_gt_i32_e64 s17, 0, v4
	v_not_b32_e32 v4, v5
	v_lshlrev_b32_e32 v115, 26, v2
	v_cmp_ne_u32_e32 vcc_lo, 0, v7
	v_ashrrev_i32_e32 v117, 31, v117
	v_lshlrev_b32_e32 v116, 25, v2
	v_ashrrev_i32_e32 v4, 31, v4
	v_lshlrev_b32_e32 v7, 24, v2
	v_xor_b32_e32 v3, vcc_lo, v3
	v_cmp_gt_i32_e32 vcc_lo, 0, v5
	v_not_b32_e32 v5, v6
	v_xor_b32_e32 v117, s17, v117
	v_cmp_gt_i32_e64 s17, 0, v6
	v_and_b32_e32 v3, exec_lo, v3
	v_not_b32_e32 v6, v114
	v_ashrrev_i32_e32 v5, 31, v5
	v_xor_b32_e32 v4, vcc_lo, v4
	v_cmp_gt_i32_e32 vcc_lo, 0, v114
	v_and_b32_e32 v3, v3, v117
	v_not_b32_e32 v114, v115
	v_ashrrev_i32_e32 v6, 31, v6
	v_xor_b32_e32 v5, s17, v5
	v_cmp_gt_i32_e64 s17, 0, v115
	v_and_b32_e32 v3, v3, v4
	v_not_b32_e32 v4, v116
	v_ashrrev_i32_e32 v114, 31, v114
	v_xor_b32_e32 v6, vcc_lo, v6
	v_cmp_gt_i32_e32 vcc_lo, 0, v116
	v_and_b32_e32 v3, v3, v5
	v_not_b32_e32 v5, v7
	v_ashrrev_i32_e32 v4, 31, v4
	v_xor_b32_e32 v114, s17, v114
	v_mul_u32_u24_e32 v2, 9, v2
	v_and_b32_e32 v3, v3, v6
	v_cmp_gt_i32_e64 s17, 0, v7
	v_ashrrev_i32_e32 v5, 31, v5
	v_xor_b32_e32 v4, vcc_lo, v4
	v_add_lshl_u32 v6, v2, v86, 2
	v_and_b32_e32 v3, v3, v114
	s_delay_alu instid0(VALU_DEP_4) | instskip(SKIP_3) | instid1(VALU_DEP_2)
	v_xor_b32_e32 v2, s17, v5
	ds_load_b32 v115, v6 offset:1056
	v_and_b32_e32 v3, v3, v4
	v_add_nc_u32_e32 v117, 0x420, v6
	; wave barrier
	v_and_b32_e32 v2, v3, v2
	s_delay_alu instid0(VALU_DEP_1) | instskip(SKIP_1) | instid1(VALU_DEP_2)
	v_mbcnt_lo_u32_b32 v116, v2, 0
	v_cmp_ne_u32_e64 s17, 0, v2
	v_cmp_eq_u32_e32 vcc_lo, 0, v116
	s_delay_alu instid0(VALU_DEP_2) | instskip(NEXT) | instid1(SALU_CYCLE_1)
	s_and_b32 s18, s17, vcc_lo
	s_and_saveexec_b32 s17, s18
	s_cbranch_execz .LBB1362_263
; %bb.262:                              ;   in Loop: Header=BB1362_237 Depth=2
	s_waitcnt lgkmcnt(0)
	v_bcnt_u32_b32 v2, v2, v115
	ds_store_b32 v117, v2
.LBB1362_263:                           ;   in Loop: Header=BB1362_237 Depth=2
	s_or_b32 exec_lo, exec_lo, s17
	v_cmp_gt_i32_e32 vcc_lo, 0, v8
	; wave barrier
	v_cndmask_b32_e64 v2, 0x7fffffff, 0, vcc_lo
	s_delay_alu instid0(VALU_DEP_1) | instskip(NEXT) | instid1(VALU_DEP_1)
	v_xor_b32_e32 v114, v2, v8
	v_cmp_ne_u32_e32 vcc_lo, 0x80000000, v114
	v_cndmask_b32_e32 v2, 0x7fffffff, v114, vcc_lo
	s_delay_alu instid0(VALU_DEP_1) | instskip(NEXT) | instid1(VALU_DEP_1)
	v_lshrrev_b32_e32 v2, s25, v2
	v_and_b32_e32 v2, s30, v2
	s_delay_alu instid0(VALU_DEP_1)
	v_and_b32_e32 v3, 1, v2
	v_lshlrev_b32_e32 v4, 30, v2
	v_lshlrev_b32_e32 v5, 29, v2
	;; [unrolled: 1-line block ×4, first 2 shown]
	v_add_co_u32 v3, s17, v3, -1
	s_delay_alu instid0(VALU_DEP_1)
	v_cndmask_b32_e64 v7, 0, 1, s17
	v_not_b32_e32 v120, v4
	v_cmp_gt_i32_e64 s17, 0, v4
	v_not_b32_e32 v4, v5
	v_lshlrev_b32_e32 v118, 26, v2
	v_cmp_ne_u32_e32 vcc_lo, 0, v7
	v_ashrrev_i32_e32 v120, 31, v120
	v_lshlrev_b32_e32 v119, 25, v2
	v_ashrrev_i32_e32 v4, 31, v4
	v_lshlrev_b32_e32 v7, 24, v2
	v_xor_b32_e32 v3, vcc_lo, v3
	v_cmp_gt_i32_e32 vcc_lo, 0, v5
	v_not_b32_e32 v5, v6
	v_xor_b32_e32 v120, s17, v120
	v_cmp_gt_i32_e64 s17, 0, v6
	v_and_b32_e32 v3, exec_lo, v3
	v_not_b32_e32 v6, v8
	v_ashrrev_i32_e32 v5, 31, v5
	v_xor_b32_e32 v4, vcc_lo, v4
	v_cmp_gt_i32_e32 vcc_lo, 0, v8
	v_and_b32_e32 v3, v3, v120
	v_not_b32_e32 v8, v118
	v_ashrrev_i32_e32 v6, 31, v6
	v_xor_b32_e32 v5, s17, v5
	v_cmp_gt_i32_e64 s17, 0, v118
	v_and_b32_e32 v3, v3, v4
	v_not_b32_e32 v4, v119
	v_ashrrev_i32_e32 v8, 31, v8
	v_xor_b32_e32 v6, vcc_lo, v6
	v_cmp_gt_i32_e32 vcc_lo, 0, v119
	v_and_b32_e32 v3, v3, v5
	v_not_b32_e32 v5, v7
	v_ashrrev_i32_e32 v4, 31, v4
	v_xor_b32_e32 v8, s17, v8
	v_mul_u32_u24_e32 v2, 9, v2
	v_and_b32_e32 v3, v3, v6
	v_cmp_gt_i32_e64 s17, 0, v7
	v_ashrrev_i32_e32 v5, 31, v5
	v_xor_b32_e32 v4, vcc_lo, v4
	v_add_lshl_u32 v6, v2, v86, 2
	v_and_b32_e32 v3, v3, v8
	s_delay_alu instid0(VALU_DEP_4) | instskip(SKIP_3) | instid1(VALU_DEP_2)
	v_xor_b32_e32 v2, s17, v5
	ds_load_b32 v119, v6 offset:1056
	v_and_b32_e32 v3, v3, v4
	v_add_nc_u32_e32 v121, 0x420, v6
	; wave barrier
	v_and_b32_e32 v2, v3, v2
	s_delay_alu instid0(VALU_DEP_1) | instskip(SKIP_1) | instid1(VALU_DEP_2)
	v_mbcnt_lo_u32_b32 v120, v2, 0
	v_cmp_ne_u32_e64 s17, 0, v2
	v_cmp_eq_u32_e32 vcc_lo, 0, v120
	s_delay_alu instid0(VALU_DEP_2) | instskip(NEXT) | instid1(SALU_CYCLE_1)
	s_and_b32 s18, s17, vcc_lo
	s_and_saveexec_b32 s17, s18
	s_cbranch_execz .LBB1362_265
; %bb.264:                              ;   in Loop: Header=BB1362_237 Depth=2
	s_waitcnt lgkmcnt(0)
	v_bcnt_u32_b32 v2, v2, v119
	ds_store_b32 v121, v2
.LBB1362_265:                           ;   in Loop: Header=BB1362_237 Depth=2
	s_or_b32 exec_lo, exec_lo, s17
	v_cmp_gt_i32_e32 vcc_lo, 0, v9
	; wave barrier
	v_cndmask_b32_e64 v2, 0x7fffffff, 0, vcc_lo
	s_delay_alu instid0(VALU_DEP_1) | instskip(NEXT) | instid1(VALU_DEP_1)
	v_xor_b32_e32 v118, v2, v9
	v_cmp_ne_u32_e32 vcc_lo, 0x80000000, v118
	v_cndmask_b32_e32 v2, 0x7fffffff, v118, vcc_lo
	s_delay_alu instid0(VALU_DEP_1) | instskip(NEXT) | instid1(VALU_DEP_1)
	v_lshrrev_b32_e32 v2, s25, v2
	v_and_b32_e32 v2, s30, v2
	s_delay_alu instid0(VALU_DEP_1)
	v_and_b32_e32 v3, 1, v2
	v_lshlrev_b32_e32 v4, 30, v2
	v_lshlrev_b32_e32 v5, 29, v2
	;; [unrolled: 1-line block ×4, first 2 shown]
	v_add_co_u32 v3, s17, v3, -1
	s_delay_alu instid0(VALU_DEP_1)
	v_cndmask_b32_e64 v7, 0, 1, s17
	v_not_b32_e32 v123, v4
	v_cmp_gt_i32_e64 s17, 0, v4
	v_not_b32_e32 v4, v5
	v_lshlrev_b32_e32 v9, 26, v2
	v_cmp_ne_u32_e32 vcc_lo, 0, v7
	v_ashrrev_i32_e32 v123, 31, v123
	v_lshlrev_b32_e32 v122, 25, v2
	v_ashrrev_i32_e32 v4, 31, v4
	v_lshlrev_b32_e32 v7, 24, v2
	v_xor_b32_e32 v3, vcc_lo, v3
	v_cmp_gt_i32_e32 vcc_lo, 0, v5
	v_not_b32_e32 v5, v6
	v_xor_b32_e32 v123, s17, v123
	v_cmp_gt_i32_e64 s17, 0, v6
	v_and_b32_e32 v3, exec_lo, v3
	v_not_b32_e32 v6, v8
	v_ashrrev_i32_e32 v5, 31, v5
	v_xor_b32_e32 v4, vcc_lo, v4
	v_cmp_gt_i32_e32 vcc_lo, 0, v8
	v_and_b32_e32 v3, v3, v123
	v_not_b32_e32 v8, v9
	v_ashrrev_i32_e32 v6, 31, v6
	v_xor_b32_e32 v5, s17, v5
	v_cmp_gt_i32_e64 s17, 0, v9
	v_and_b32_e32 v3, v3, v4
	v_not_b32_e32 v4, v122
	v_ashrrev_i32_e32 v8, 31, v8
	v_xor_b32_e32 v6, vcc_lo, v6
	v_cmp_gt_i32_e32 vcc_lo, 0, v122
	v_and_b32_e32 v3, v3, v5
	v_not_b32_e32 v5, v7
	v_ashrrev_i32_e32 v4, 31, v4
	v_xor_b32_e32 v8, s17, v8
	v_mul_u32_u24_e32 v2, 9, v2
	v_and_b32_e32 v3, v3, v6
	v_cmp_gt_i32_e64 s17, 0, v7
	v_ashrrev_i32_e32 v5, 31, v5
	v_xor_b32_e32 v4, vcc_lo, v4
	v_add_lshl_u32 v6, v2, v86, 2
	v_and_b32_e32 v3, v3, v8
	s_delay_alu instid0(VALU_DEP_4) | instskip(SKIP_3) | instid1(VALU_DEP_2)
	v_xor_b32_e32 v2, s17, v5
	ds_load_b32 v122, v6 offset:1056
	v_and_b32_e32 v3, v3, v4
	v_add_nc_u32_e32 v124, 0x420, v6
	; wave barrier
	v_and_b32_e32 v2, v3, v2
	s_delay_alu instid0(VALU_DEP_1) | instskip(SKIP_1) | instid1(VALU_DEP_2)
	v_mbcnt_lo_u32_b32 v123, v2, 0
	v_cmp_ne_u32_e64 s17, 0, v2
	v_cmp_eq_u32_e32 vcc_lo, 0, v123
	s_delay_alu instid0(VALU_DEP_2) | instskip(NEXT) | instid1(SALU_CYCLE_1)
	s_and_b32 s18, s17, vcc_lo
	s_and_saveexec_b32 s17, s18
	s_cbranch_execz .LBB1362_267
; %bb.266:                              ;   in Loop: Header=BB1362_237 Depth=2
	s_waitcnt lgkmcnt(0)
	v_bcnt_u32_b32 v2, v2, v122
	ds_store_b32 v124, v2
.LBB1362_267:                           ;   in Loop: Header=BB1362_237 Depth=2
	s_or_b32 exec_lo, exec_lo, s17
	; wave barrier
	s_waitcnt lgkmcnt(0)
	s_barrier
	buffer_gl0_inv
	ds_load_b32 v125, v49 offset:1056
	ds_load_2addr_b32 v[8:9], v51 offset0:1 offset1:2
	ds_load_2addr_b32 v[6:7], v51 offset0:3 offset1:4
	;; [unrolled: 1-line block ×4, first 2 shown]
	s_waitcnt lgkmcnt(3)
	v_add3_u32 v126, v8, v125, v9
	s_waitcnt lgkmcnt(2)
	s_delay_alu instid0(VALU_DEP_1) | instskip(SKIP_1) | instid1(VALU_DEP_1)
	v_add3_u32 v126, v126, v6, v7
	s_waitcnt lgkmcnt(1)
	v_add3_u32 v126, v126, v2, v3
	s_waitcnt lgkmcnt(0)
	s_delay_alu instid0(VALU_DEP_1) | instskip(NEXT) | instid1(VALU_DEP_1)
	v_add3_u32 v5, v126, v4, v5
	v_mov_b32_dpp v126, v5 row_shr:1 row_mask:0xf bank_mask:0xf
	s_delay_alu instid0(VALU_DEP_1) | instskip(NEXT) | instid1(VALU_DEP_1)
	v_cndmask_b32_e64 v126, v126, 0, s1
	v_add_nc_u32_e32 v5, v126, v5
	s_delay_alu instid0(VALU_DEP_1) | instskip(NEXT) | instid1(VALU_DEP_1)
	v_mov_b32_dpp v126, v5 row_shr:2 row_mask:0xf bank_mask:0xf
	v_cndmask_b32_e64 v126, 0, v126, s7
	s_delay_alu instid0(VALU_DEP_1) | instskip(NEXT) | instid1(VALU_DEP_1)
	v_add_nc_u32_e32 v5, v5, v126
	v_mov_b32_dpp v126, v5 row_shr:4 row_mask:0xf bank_mask:0xf
	s_delay_alu instid0(VALU_DEP_1) | instskip(NEXT) | instid1(VALU_DEP_1)
	v_cndmask_b32_e64 v126, 0, v126, s8
	v_add_nc_u32_e32 v5, v5, v126
	s_delay_alu instid0(VALU_DEP_1) | instskip(NEXT) | instid1(VALU_DEP_1)
	v_mov_b32_dpp v126, v5 row_shr:8 row_mask:0xf bank_mask:0xf
	v_cndmask_b32_e64 v126, 0, v126, s9
	s_delay_alu instid0(VALU_DEP_1) | instskip(SKIP_3) | instid1(VALU_DEP_1)
	v_add_nc_u32_e32 v5, v5, v126
	ds_swizzle_b32 v126, v5 offset:swizzle(BROADCAST,32,15)
	s_waitcnt lgkmcnt(0)
	v_cndmask_b32_e64 v126, v126, 0, s10
	v_add_nc_u32_e32 v5, v5, v126
	s_and_saveexec_b32 s17, s3
	s_cbranch_execz .LBB1362_269
; %bb.268:                              ;   in Loop: Header=BB1362_237 Depth=2
	ds_store_b32 v41, v5 offset:1024
.LBB1362_269:                           ;   in Loop: Header=BB1362_237 Depth=2
	s_or_b32 exec_lo, exec_lo, s17
	s_waitcnt lgkmcnt(0)
	s_barrier
	buffer_gl0_inv
	s_and_saveexec_b32 s17, s4
	s_cbranch_execz .LBB1362_271
; %bb.270:                              ;   in Loop: Header=BB1362_237 Depth=2
	ds_load_b32 v126, v52 offset:1024
	s_waitcnt lgkmcnt(0)
	v_mov_b32_dpp v127, v126 row_shr:1 row_mask:0xf bank_mask:0xf
	s_delay_alu instid0(VALU_DEP_1) | instskip(NEXT) | instid1(VALU_DEP_1)
	v_cndmask_b32_e64 v127, v127, 0, s12
	v_add_nc_u32_e32 v126, v127, v126
	s_delay_alu instid0(VALU_DEP_1) | instskip(NEXT) | instid1(VALU_DEP_1)
	v_mov_b32_dpp v127, v126 row_shr:2 row_mask:0xf bank_mask:0xf
	v_cndmask_b32_e64 v127, 0, v127, s13
	s_delay_alu instid0(VALU_DEP_1) | instskip(NEXT) | instid1(VALU_DEP_1)
	v_add_nc_u32_e32 v126, v126, v127
	v_mov_b32_dpp v127, v126 row_shr:4 row_mask:0xf bank_mask:0xf
	s_delay_alu instid0(VALU_DEP_1) | instskip(NEXT) | instid1(VALU_DEP_1)
	v_cndmask_b32_e64 v127, 0, v127, s16
	v_add_nc_u32_e32 v126, v126, v127
	ds_store_b32 v52, v126 offset:1024
.LBB1362_271:                           ;   in Loop: Header=BB1362_237 Depth=2
	s_or_b32 exec_lo, exec_lo, s17
	v_mov_b32_e32 v126, 0
	s_waitcnt lgkmcnt(0)
	s_barrier
	buffer_gl0_inv
	s_and_saveexec_b32 s17, s5
	s_cbranch_execz .LBB1362_273
; %bb.272:                              ;   in Loop: Header=BB1362_237 Depth=2
	ds_load_b32 v126, v41 offset:1020
.LBB1362_273:                           ;   in Loop: Header=BB1362_237 Depth=2
	s_or_b32 exec_lo, exec_lo, s17
	s_waitcnt lgkmcnt(0)
	v_add_nc_u32_e32 v5, v126, v5
	ds_bpermute_b32 v5, v73, v5
	s_waitcnt lgkmcnt(0)
	v_cndmask_b32_e64 v5, v5, v126, s11
	s_delay_alu instid0(VALU_DEP_1) | instskip(NEXT) | instid1(VALU_DEP_1)
	v_cndmask_b32_e64 v5, v5, 0, s0
	v_add_nc_u32_e32 v125, v5, v125
	s_delay_alu instid0(VALU_DEP_1) | instskip(NEXT) | instid1(VALU_DEP_1)
	v_add_nc_u32_e32 v8, v125, v8
	v_add_nc_u32_e32 v9, v8, v9
	s_delay_alu instid0(VALU_DEP_1) | instskip(NEXT) | instid1(VALU_DEP_1)
	v_add_nc_u32_e32 v6, v9, v6
	v_add_nc_u32_e32 v7, v6, v7
	s_delay_alu instid0(VALU_DEP_1) | instskip(NEXT) | instid1(VALU_DEP_1)
	v_add_nc_u32_e32 v2, v7, v2
	v_add_nc_u32_e32 v3, v2, v3
	s_delay_alu instid0(VALU_DEP_1)
	v_add_nc_u32_e32 v4, v3, v4
	ds_store_b32 v49, v5 offset:1056
	ds_store_2addr_b32 v51, v125, v8 offset0:1 offset1:2
	ds_store_2addr_b32 v51, v9, v6 offset0:3 offset1:4
	;; [unrolled: 1-line block ×4, first 2 shown]
	v_mov_b32_e32 v4, 0x800
	s_waitcnt lgkmcnt(0)
	s_barrier
	buffer_gl0_inv
	ds_load_b32 v5, v101
	ds_load_b32 v6, v105
	;; [unrolled: 1-line block ×8, first 2 shown]
	ds_load_b32 v101, v49 offset:1056
	s_and_saveexec_b32 s17, s6
	s_cbranch_execz .LBB1362_275
; %bb.274:                              ;   in Loop: Header=BB1362_237 Depth=2
	ds_load_b32 v4, v53 offset:1056
.LBB1362_275:                           ;   in Loop: Header=BB1362_237 Depth=2
	s_or_b32 exec_lo, exec_lo, s17
	s_waitcnt lgkmcnt(0)
	s_barrier
	buffer_gl0_inv
	s_and_saveexec_b32 s17, s2
	s_cbranch_execz .LBB1362_277
; %bb.276:                              ;   in Loop: Header=BB1362_237 Depth=2
	ds_load_b32 v105, v31
	s_waitcnt lgkmcnt(0)
	v_sub_nc_u32_e32 v101, v105, v101
	ds_store_b32 v31, v101
.LBB1362_277:                           ;   in Loop: Header=BB1362_237 Depth=2
	s_or_b32 exec_lo, exec_lo, s17
	v_add_nc_u32_e32 v101, v97, v29
	v_add3_u32 v29, v104, v102, v6
	v_add3_u32 v7, v108, v107, v7
	;; [unrolled: 1-line block ×5, first 2 shown]
	v_lshlrev_b32_e32 v98, 2, v101
	v_add3_u32 v8, v120, v119, v3
	v_lshlrev_b32_e32 v3, 2, v29
	v_add3_u32 v9, v123, v122, v2
	v_lshlrev_b32_e32 v2, 2, v7
	v_lshlrev_b32_e32 v99, 2, v97
	ds_store_b32 v98, v19 offset:1024
	ds_store_b32 v99, v30 offset:1024
	;; [unrolled: 1-line block ×3, first 2 shown]
	v_lshlrev_b32_e32 v3, 2, v6
	ds_store_b32 v2, v103 offset:1024
	v_lshlrev_b32_e32 v2, 2, v9
	v_cmp_lt_u32_e32 vcc_lo, v18, v0
	v_lshlrev_b32_e32 v19, 2, v5
	v_lshlrev_b32_e32 v30, 2, v8
	ds_store_b32 v3, v106 offset:1024
	ds_store_b32 v19, v110 offset:1024
	;; [unrolled: 1-line block ×4, first 2 shown]
	s_waitcnt lgkmcnt(0)
	s_barrier
	buffer_gl0_inv
	s_and_saveexec_b32 s18, vcc_lo
	s_cbranch_execz .LBB1362_285
; %bb.278:                              ;   in Loop: Header=BB1362_237 Depth=2
	ds_load_b32 v30, v52 offset:1024
	s_waitcnt lgkmcnt(0)
	v_cmp_ne_u32_e64 s17, 0x80000000, v30
	s_delay_alu instid0(VALU_DEP_1) | instskip(SKIP_1) | instid1(VALU_DEP_2)
	v_cndmask_b32_e64 v2, 0x7fffffff, v30, s17
	v_cmp_gt_i32_e64 s17, 0, v30
	v_lshrrev_b32_e32 v2, s25, v2
	s_delay_alu instid0(VALU_DEP_2) | instskip(NEXT) | instid1(VALU_DEP_2)
	v_cndmask_b32_e64 v98, 0x7fffffff, 0, s17
	v_and_b32_e32 v2, s30, v2
	s_delay_alu instid0(VALU_DEP_1) | instskip(SKIP_3) | instid1(VALU_DEP_1)
	v_lshlrev_b32_e32 v2, 2, v2
	ds_load_b32 v2, v2
	s_waitcnt lgkmcnt(0)
	v_add_nc_u32_e32 v19, v2, v18
	v_lshlrev_b64 v[2:3], 2, v[19:20]
	v_xor_b32_e32 v19, v98, v30
	s_delay_alu instid0(VALU_DEP_2) | instskip(NEXT) | instid1(VALU_DEP_1)
	v_add_co_u32 v2, s17, s48, v2
	v_add_co_ci_u32_e64 v3, s17, s49, v3, s17
	global_store_b32 v[2:3], v19, off
	s_or_b32 exec_lo, exec_lo, s18
	v_cmp_lt_u32_e64 s17, v32, v0
	s_delay_alu instid0(VALU_DEP_1)
	s_and_saveexec_b32 s19, s17
	s_cbranch_execnz .LBB1362_286
.LBB1362_279:                           ;   in Loop: Header=BB1362_237 Depth=2
	s_or_b32 exec_lo, exec_lo, s19
	v_cmp_lt_u32_e64 s18, v33, v0
	s_delay_alu instid0(VALU_DEP_1)
	s_and_saveexec_b32 s20, s18
	s_cbranch_execz .LBB1362_287
.LBB1362_280:                           ;   in Loop: Header=BB1362_237 Depth=2
	ds_load_b32 v30, v58 offset:2048
	s_waitcnt lgkmcnt(0)
	v_cmp_ne_u32_e64 s19, 0x80000000, v30
	s_delay_alu instid0(VALU_DEP_1) | instskip(SKIP_1) | instid1(VALU_DEP_2)
	v_cndmask_b32_e64 v2, 0x7fffffff, v30, s19
	v_cmp_gt_i32_e64 s19, 0, v30
	v_lshrrev_b32_e32 v2, s25, v2
	s_delay_alu instid0(VALU_DEP_2) | instskip(NEXT) | instid1(VALU_DEP_2)
	v_cndmask_b32_e64 v98, 0x7fffffff, 0, s19
	v_and_b32_e32 v2, s30, v2
	s_delay_alu instid0(VALU_DEP_1) | instskip(SKIP_3) | instid1(VALU_DEP_1)
	v_lshlrev_b32_e32 v2, 2, v2
	ds_load_b32 v2, v2
	s_waitcnt lgkmcnt(0)
	v_add_nc_u32_e32 v19, v2, v33
	v_lshlrev_b64 v[2:3], 2, v[19:20]
	v_xor_b32_e32 v19, v98, v30
	s_delay_alu instid0(VALU_DEP_2) | instskip(NEXT) | instid1(VALU_DEP_1)
	v_add_co_u32 v2, s19, s48, v2
	v_add_co_ci_u32_e64 v3, s19, s49, v3, s19
	global_store_b32 v[2:3], v19, off
	s_or_b32 exec_lo, exec_lo, s20
	v_cmp_lt_u32_e64 s19, v34, v0
	s_delay_alu instid0(VALU_DEP_1)
	s_and_saveexec_b32 s21, s19
	s_cbranch_execnz .LBB1362_288
.LBB1362_281:                           ;   in Loop: Header=BB1362_237 Depth=2
	s_or_b32 exec_lo, exec_lo, s21
	v_cmp_lt_u32_e64 s20, v38, v0
	s_delay_alu instid0(VALU_DEP_1)
	s_and_saveexec_b32 s22, s20
	s_cbranch_execz .LBB1362_289
.LBB1362_282:                           ;   in Loop: Header=BB1362_237 Depth=2
	ds_load_b32 v30, v58 offset:4096
	s_waitcnt lgkmcnt(0)
	v_cmp_ne_u32_e64 s21, 0x80000000, v30
	s_delay_alu instid0(VALU_DEP_1) | instskip(SKIP_1) | instid1(VALU_DEP_2)
	v_cndmask_b32_e64 v2, 0x7fffffff, v30, s21
	v_cmp_gt_i32_e64 s21, 0, v30
	v_lshrrev_b32_e32 v2, s25, v2
	s_delay_alu instid0(VALU_DEP_2) | instskip(NEXT) | instid1(VALU_DEP_2)
	v_cndmask_b32_e64 v98, 0x7fffffff, 0, s21
	v_and_b32_e32 v2, s30, v2
	s_delay_alu instid0(VALU_DEP_1) | instskip(SKIP_3) | instid1(VALU_DEP_1)
	v_lshlrev_b32_e32 v2, 2, v2
	ds_load_b32 v2, v2
	s_waitcnt lgkmcnt(0)
	v_add_nc_u32_e32 v19, v2, v38
	v_lshlrev_b64 v[2:3], 2, v[19:20]
	v_xor_b32_e32 v19, v98, v30
	s_delay_alu instid0(VALU_DEP_2) | instskip(NEXT) | instid1(VALU_DEP_1)
	v_add_co_u32 v2, s21, s48, v2
	v_add_co_ci_u32_e64 v3, s21, s49, v3, s21
	global_store_b32 v[2:3], v19, off
	s_or_b32 exec_lo, exec_lo, s22
	v_cmp_lt_u32_e64 s21, v39, v0
	s_delay_alu instid0(VALU_DEP_1)
	s_and_saveexec_b32 s23, s21
	s_cbranch_execnz .LBB1362_290
.LBB1362_283:                           ;   in Loop: Header=BB1362_237 Depth=2
	s_or_b32 exec_lo, exec_lo, s23
	v_cmp_lt_u32_e64 s22, v40, v0
	s_delay_alu instid0(VALU_DEP_1)
	s_and_saveexec_b32 s24, s22
	s_cbranch_execz .LBB1362_291
.LBB1362_284:                           ;   in Loop: Header=BB1362_237 Depth=2
	ds_load_b32 v30, v58 offset:6144
	s_waitcnt lgkmcnt(0)
	v_cmp_ne_u32_e64 s23, 0x80000000, v30
	s_delay_alu instid0(VALU_DEP_1) | instskip(SKIP_1) | instid1(VALU_DEP_2)
	v_cndmask_b32_e64 v2, 0x7fffffff, v30, s23
	v_cmp_gt_i32_e64 s23, 0, v30
	v_lshrrev_b32_e32 v2, s25, v2
	s_delay_alu instid0(VALU_DEP_2) | instskip(NEXT) | instid1(VALU_DEP_2)
	v_cndmask_b32_e64 v98, 0x7fffffff, 0, s23
	v_and_b32_e32 v2, s30, v2
	s_delay_alu instid0(VALU_DEP_1) | instskip(SKIP_3) | instid1(VALU_DEP_1)
	v_lshlrev_b32_e32 v2, 2, v2
	ds_load_b32 v2, v2
	s_waitcnt lgkmcnt(0)
	v_add_nc_u32_e32 v19, v2, v40
	v_lshlrev_b64 v[2:3], 2, v[19:20]
	v_xor_b32_e32 v19, v98, v30
	s_delay_alu instid0(VALU_DEP_2) | instskip(NEXT) | instid1(VALU_DEP_1)
	v_add_co_u32 v2, s23, s48, v2
	v_add_co_ci_u32_e64 v3, s23, s49, v3, s23
	global_store_b32 v[2:3], v19, off
	s_or_b32 exec_lo, exec_lo, s24
	v_cmp_lt_u32_e64 s23, v42, v0
	s_delay_alu instid0(VALU_DEP_1)
	s_and_saveexec_b32 s37, s23
	s_cbranch_execnz .LBB1362_292
	s_branch .LBB1362_293
.LBB1362_285:                           ;   in Loop: Header=BB1362_237 Depth=2
	s_or_b32 exec_lo, exec_lo, s18
	v_cmp_lt_u32_e64 s17, v32, v0
	s_delay_alu instid0(VALU_DEP_1)
	s_and_saveexec_b32 s19, s17
	s_cbranch_execz .LBB1362_279
.LBB1362_286:                           ;   in Loop: Header=BB1362_237 Depth=2
	ds_load_b32 v30, v58 offset:1024
	s_waitcnt lgkmcnt(0)
	v_cmp_ne_u32_e64 s18, 0x80000000, v30
	s_delay_alu instid0(VALU_DEP_1) | instskip(SKIP_1) | instid1(VALU_DEP_2)
	v_cndmask_b32_e64 v2, 0x7fffffff, v30, s18
	v_cmp_gt_i32_e64 s18, 0, v30
	v_lshrrev_b32_e32 v2, s25, v2
	s_delay_alu instid0(VALU_DEP_2) | instskip(NEXT) | instid1(VALU_DEP_2)
	v_cndmask_b32_e64 v98, 0x7fffffff, 0, s18
	v_and_b32_e32 v2, s30, v2
	s_delay_alu instid0(VALU_DEP_1) | instskip(SKIP_3) | instid1(VALU_DEP_1)
	v_lshlrev_b32_e32 v2, 2, v2
	ds_load_b32 v2, v2
	s_waitcnt lgkmcnt(0)
	v_add_nc_u32_e32 v19, v2, v32
	v_lshlrev_b64 v[2:3], 2, v[19:20]
	v_xor_b32_e32 v19, v98, v30
	s_delay_alu instid0(VALU_DEP_2) | instskip(NEXT) | instid1(VALU_DEP_1)
	v_add_co_u32 v2, s18, s48, v2
	v_add_co_ci_u32_e64 v3, s18, s49, v3, s18
	global_store_b32 v[2:3], v19, off
	s_or_b32 exec_lo, exec_lo, s19
	v_cmp_lt_u32_e64 s18, v33, v0
	s_delay_alu instid0(VALU_DEP_1)
	s_and_saveexec_b32 s20, s18
	s_cbranch_execnz .LBB1362_280
.LBB1362_287:                           ;   in Loop: Header=BB1362_237 Depth=2
	s_or_b32 exec_lo, exec_lo, s20
	v_cmp_lt_u32_e64 s19, v34, v0
	s_delay_alu instid0(VALU_DEP_1)
	s_and_saveexec_b32 s21, s19
	s_cbranch_execz .LBB1362_281
.LBB1362_288:                           ;   in Loop: Header=BB1362_237 Depth=2
	ds_load_b32 v30, v58 offset:3072
	s_waitcnt lgkmcnt(0)
	v_cmp_ne_u32_e64 s20, 0x80000000, v30
	s_delay_alu instid0(VALU_DEP_1) | instskip(SKIP_1) | instid1(VALU_DEP_2)
	v_cndmask_b32_e64 v2, 0x7fffffff, v30, s20
	v_cmp_gt_i32_e64 s20, 0, v30
	v_lshrrev_b32_e32 v2, s25, v2
	s_delay_alu instid0(VALU_DEP_2) | instskip(NEXT) | instid1(VALU_DEP_2)
	v_cndmask_b32_e64 v98, 0x7fffffff, 0, s20
	v_and_b32_e32 v2, s30, v2
	s_delay_alu instid0(VALU_DEP_1) | instskip(SKIP_3) | instid1(VALU_DEP_1)
	v_lshlrev_b32_e32 v2, 2, v2
	ds_load_b32 v2, v2
	s_waitcnt lgkmcnt(0)
	v_add_nc_u32_e32 v19, v2, v34
	v_lshlrev_b64 v[2:3], 2, v[19:20]
	v_xor_b32_e32 v19, v98, v30
	s_delay_alu instid0(VALU_DEP_2) | instskip(NEXT) | instid1(VALU_DEP_1)
	v_add_co_u32 v2, s20, s48, v2
	v_add_co_ci_u32_e64 v3, s20, s49, v3, s20
	global_store_b32 v[2:3], v19, off
	s_or_b32 exec_lo, exec_lo, s21
	v_cmp_lt_u32_e64 s20, v38, v0
	s_delay_alu instid0(VALU_DEP_1)
	s_and_saveexec_b32 s22, s20
	s_cbranch_execnz .LBB1362_282
.LBB1362_289:                           ;   in Loop: Header=BB1362_237 Depth=2
	s_or_b32 exec_lo, exec_lo, s22
	v_cmp_lt_u32_e64 s21, v39, v0
	s_delay_alu instid0(VALU_DEP_1)
	s_and_saveexec_b32 s23, s21
	s_cbranch_execz .LBB1362_283
.LBB1362_290:                           ;   in Loop: Header=BB1362_237 Depth=2
	ds_load_b32 v30, v58 offset:5120
	s_waitcnt lgkmcnt(0)
	v_cmp_ne_u32_e64 s22, 0x80000000, v30
	s_delay_alu instid0(VALU_DEP_1) | instskip(SKIP_1) | instid1(VALU_DEP_2)
	v_cndmask_b32_e64 v2, 0x7fffffff, v30, s22
	v_cmp_gt_i32_e64 s22, 0, v30
	v_lshrrev_b32_e32 v2, s25, v2
	s_delay_alu instid0(VALU_DEP_2) | instskip(NEXT) | instid1(VALU_DEP_2)
	v_cndmask_b32_e64 v98, 0x7fffffff, 0, s22
	v_and_b32_e32 v2, s30, v2
	s_delay_alu instid0(VALU_DEP_1) | instskip(SKIP_3) | instid1(VALU_DEP_1)
	v_lshlrev_b32_e32 v2, 2, v2
	ds_load_b32 v2, v2
	s_waitcnt lgkmcnt(0)
	v_add_nc_u32_e32 v19, v2, v39
	v_lshlrev_b64 v[2:3], 2, v[19:20]
	v_xor_b32_e32 v19, v98, v30
	s_delay_alu instid0(VALU_DEP_2) | instskip(NEXT) | instid1(VALU_DEP_1)
	v_add_co_u32 v2, s22, s48, v2
	v_add_co_ci_u32_e64 v3, s22, s49, v3, s22
	global_store_b32 v[2:3], v19, off
	s_or_b32 exec_lo, exec_lo, s23
	v_cmp_lt_u32_e64 s22, v40, v0
	s_delay_alu instid0(VALU_DEP_1)
	s_and_saveexec_b32 s24, s22
	s_cbranch_execnz .LBB1362_284
.LBB1362_291:                           ;   in Loop: Header=BB1362_237 Depth=2
	s_or_b32 exec_lo, exec_lo, s24
	v_cmp_lt_u32_e64 s23, v42, v0
	s_delay_alu instid0(VALU_DEP_1)
	s_and_saveexec_b32 s37, s23
	s_cbranch_execz .LBB1362_293
.LBB1362_292:                           ;   in Loop: Header=BB1362_237 Depth=2
	ds_load_b32 v30, v58 offset:7168
	s_waitcnt lgkmcnt(0)
	v_cmp_ne_u32_e64 s24, 0x80000000, v30
	s_delay_alu instid0(VALU_DEP_1) | instskip(SKIP_1) | instid1(VALU_DEP_2)
	v_cndmask_b32_e64 v2, 0x7fffffff, v30, s24
	v_cmp_gt_i32_e64 s24, 0, v30
	v_lshrrev_b32_e32 v2, s25, v2
	s_delay_alu instid0(VALU_DEP_2) | instskip(NEXT) | instid1(VALU_DEP_2)
	v_cndmask_b32_e64 v98, 0x7fffffff, 0, s24
	v_and_b32_e32 v2, s30, v2
	s_delay_alu instid0(VALU_DEP_1) | instskip(SKIP_3) | instid1(VALU_DEP_1)
	v_lshlrev_b32_e32 v2, 2, v2
	ds_load_b32 v2, v2
	s_waitcnt lgkmcnt(0)
	v_add_nc_u32_e32 v19, v2, v42
	v_lshlrev_b64 v[2:3], 2, v[19:20]
	v_xor_b32_e32 v19, v98, v30
	s_delay_alu instid0(VALU_DEP_2) | instskip(NEXT) | instid1(VALU_DEP_1)
	v_add_co_u32 v2, s24, s48, v2
	v_add_co_ci_u32_e64 v3, s24, s49, v3, s24
	global_store_b32 v[2:3], v19, off
.LBB1362_293:                           ;   in Loop: Header=BB1362_237 Depth=2
	s_or_b32 exec_lo, exec_lo, s37
	s_lshl_b64 s[38:39], s[26:27], 3
	s_delay_alu instid0(SALU_CYCLE_1) | instskip(NEXT) | instid1(VALU_DEP_1)
	v_add_co_u32 v2, s24, v75, s38
	v_add_co_ci_u32_e64 v3, s24, s39, v76, s24
	v_cmp_lt_u32_e64 s24, v74, v0
	s_delay_alu instid0(VALU_DEP_1) | instskip(NEXT) | instid1(SALU_CYCLE_1)
	s_and_saveexec_b32 s26, s24
	s_xor_b32 s24, exec_lo, s26
	s_cbranch_execz .LBB1362_309
; %bb.294:                              ;   in Loop: Header=BB1362_237 Depth=2
	global_load_b64 v[27:28], v[2:3], off
	s_or_b32 exec_lo, exec_lo, s24
	s_delay_alu instid0(SALU_CYCLE_1)
	s_mov_b32 s26, exec_lo
	v_cmpx_lt_u32_e64 v77, v0
	s_cbranch_execnz .LBB1362_310
.LBB1362_295:                           ;   in Loop: Header=BB1362_237 Depth=2
	s_or_b32 exec_lo, exec_lo, s26
	s_delay_alu instid0(SALU_CYCLE_1)
	s_mov_b32 s26, exec_lo
	v_cmpx_lt_u32_e64 v78, v0
	s_cbranch_execz .LBB1362_311
.LBB1362_296:                           ;   in Loop: Header=BB1362_237 Depth=2
	global_load_b64 v[23:24], v[2:3], off offset:512
	s_or_b32 exec_lo, exec_lo, s26
	s_delay_alu instid0(SALU_CYCLE_1)
	s_mov_b32 s26, exec_lo
	v_cmpx_lt_u32_e64 v79, v0
	s_cbranch_execnz .LBB1362_312
.LBB1362_297:                           ;   in Loop: Header=BB1362_237 Depth=2
	s_or_b32 exec_lo, exec_lo, s26
	s_delay_alu instid0(SALU_CYCLE_1)
	s_mov_b32 s26, exec_lo
	v_cmpx_lt_u32_e64 v80, v0
	s_cbranch_execz .LBB1362_313
.LBB1362_298:                           ;   in Loop: Header=BB1362_237 Depth=2
	global_load_b64 v[16:17], v[2:3], off offset:1024
	s_or_b32 exec_lo, exec_lo, s26
	s_delay_alu instid0(SALU_CYCLE_1)
	s_mov_b32 s26, exec_lo
	v_cmpx_lt_u32_e64 v81, v0
	s_cbranch_execnz .LBB1362_314
.LBB1362_299:                           ;   in Loop: Header=BB1362_237 Depth=2
	s_or_b32 exec_lo, exec_lo, s26
	s_delay_alu instid0(SALU_CYCLE_1)
	s_mov_b32 s26, exec_lo
	v_cmpx_lt_u32_e64 v82, v0
	s_cbranch_execz .LBB1362_315
.LBB1362_300:                           ;   in Loop: Header=BB1362_237 Depth=2
	global_load_b64 v[12:13], v[2:3], off offset:1536
	s_or_b32 exec_lo, exec_lo, s26
	s_delay_alu instid0(SALU_CYCLE_1)
	s_mov_b32 s26, exec_lo
	v_cmpx_lt_u32_e64 v83, v0
	s_cbranch_execnz .LBB1362_316
.LBB1362_301:                           ;   in Loop: Header=BB1362_237 Depth=2
	s_or_b32 exec_lo, exec_lo, s26
	s_and_saveexec_b32 s26, vcc_lo
	s_cbranch_execz .LBB1362_317
.LBB1362_302:                           ;   in Loop: Header=BB1362_237 Depth=2
	ds_load_b32 v0, v52 offset:1024
	s_waitcnt lgkmcnt(0)
	v_cmp_ne_u32_e64 s24, 0x80000000, v0
	s_delay_alu instid0(VALU_DEP_1) | instskip(NEXT) | instid1(VALU_DEP_1)
	v_cndmask_b32_e64 v0, 0x7fffffff, v0, s24
	v_lshrrev_b32_e32 v0, s25, v0
	s_delay_alu instid0(VALU_DEP_1)
	v_and_b32_e32 v96, s30, v0
	s_or_b32 exec_lo, exec_lo, s26
	s_and_saveexec_b32 s26, s17
	s_cbranch_execnz .LBB1362_318
.LBB1362_303:                           ;   in Loop: Header=BB1362_237 Depth=2
	s_or_b32 exec_lo, exec_lo, s26
	s_and_saveexec_b32 s26, s18
	s_cbranch_execz .LBB1362_319
.LBB1362_304:                           ;   in Loop: Header=BB1362_237 Depth=2
	ds_load_b32 v0, v58 offset:2048
	s_waitcnt lgkmcnt(0)
	v_cmp_ne_u32_e64 s24, 0x80000000, v0
	s_delay_alu instid0(VALU_DEP_1) | instskip(NEXT) | instid1(VALU_DEP_1)
	v_cndmask_b32_e64 v0, 0x7fffffff, v0, s24
	v_lshrrev_b32_e32 v0, s25, v0
	s_delay_alu instid0(VALU_DEP_1)
	v_and_b32_e32 v94, s30, v0
	s_or_b32 exec_lo, exec_lo, s26
	s_and_saveexec_b32 s26, s19
	s_cbranch_execnz .LBB1362_320
.LBB1362_305:                           ;   in Loop: Header=BB1362_237 Depth=2
	s_or_b32 exec_lo, exec_lo, s26
	s_and_saveexec_b32 s26, s20
	s_cbranch_execz .LBB1362_321
.LBB1362_306:                           ;   in Loop: Header=BB1362_237 Depth=2
	ds_load_b32 v0, v58 offset:4096
	s_waitcnt lgkmcnt(0)
	v_cmp_ne_u32_e64 s24, 0x80000000, v0
	s_delay_alu instid0(VALU_DEP_1) | instskip(NEXT) | instid1(VALU_DEP_1)
	v_cndmask_b32_e64 v0, 0x7fffffff, v0, s24
	v_lshrrev_b32_e32 v0, s25, v0
	s_delay_alu instid0(VALU_DEP_1)
	v_and_b32_e32 v92, s30, v0
	s_or_b32 exec_lo, exec_lo, s26
	s_and_saveexec_b32 s26, s21
	s_cbranch_execnz .LBB1362_322
.LBB1362_307:                           ;   in Loop: Header=BB1362_237 Depth=2
	s_or_b32 exec_lo, exec_lo, s26
	s_and_saveexec_b32 s26, s22
	s_cbranch_execz .LBB1362_323
.LBB1362_308:                           ;   in Loop: Header=BB1362_237 Depth=2
	ds_load_b32 v0, v58 offset:6144
	s_waitcnt lgkmcnt(0)
	v_cmp_ne_u32_e64 s24, 0x80000000, v0
	s_delay_alu instid0(VALU_DEP_1) | instskip(NEXT) | instid1(VALU_DEP_1)
	v_cndmask_b32_e64 v0, 0x7fffffff, v0, s24
	v_lshrrev_b32_e32 v0, s25, v0
	s_delay_alu instid0(VALU_DEP_1)
	v_and_b32_e32 v90, s30, v0
	s_or_b32 exec_lo, exec_lo, s26
	s_and_saveexec_b32 s26, s23
	s_cbranch_execnz .LBB1362_324
	s_branch .LBB1362_325
.LBB1362_309:                           ;   in Loop: Header=BB1362_237 Depth=2
	s_or_b32 exec_lo, exec_lo, s24
	s_delay_alu instid0(SALU_CYCLE_1)
	s_mov_b32 s26, exec_lo
	v_cmpx_lt_u32_e64 v77, v0
	s_cbranch_execz .LBB1362_295
.LBB1362_310:                           ;   in Loop: Header=BB1362_237 Depth=2
	global_load_b64 v[25:26], v[2:3], off offset:256
	s_or_b32 exec_lo, exec_lo, s26
	s_delay_alu instid0(SALU_CYCLE_1)
	s_mov_b32 s26, exec_lo
	v_cmpx_lt_u32_e64 v78, v0
	s_cbranch_execnz .LBB1362_296
.LBB1362_311:                           ;   in Loop: Header=BB1362_237 Depth=2
	s_or_b32 exec_lo, exec_lo, s26
	s_delay_alu instid0(SALU_CYCLE_1)
	s_mov_b32 s26, exec_lo
	v_cmpx_lt_u32_e64 v79, v0
	s_cbranch_execz .LBB1362_297
.LBB1362_312:                           ;   in Loop: Header=BB1362_237 Depth=2
	global_load_b64 v[21:22], v[2:3], off offset:768
	s_or_b32 exec_lo, exec_lo, s26
	s_delay_alu instid0(SALU_CYCLE_1)
	s_mov_b32 s26, exec_lo
	v_cmpx_lt_u32_e64 v80, v0
	s_cbranch_execnz .LBB1362_298
.LBB1362_313:                           ;   in Loop: Header=BB1362_237 Depth=2
	s_or_b32 exec_lo, exec_lo, s26
	s_delay_alu instid0(SALU_CYCLE_1)
	s_mov_b32 s26, exec_lo
	v_cmpx_lt_u32_e64 v81, v0
	s_cbranch_execz .LBB1362_299
.LBB1362_314:                           ;   in Loop: Header=BB1362_237 Depth=2
	global_load_b64 v[14:15], v[2:3], off offset:1280
	s_or_b32 exec_lo, exec_lo, s26
	s_delay_alu instid0(SALU_CYCLE_1)
	s_mov_b32 s26, exec_lo
	v_cmpx_lt_u32_e64 v82, v0
	s_cbranch_execnz .LBB1362_300
.LBB1362_315:                           ;   in Loop: Header=BB1362_237 Depth=2
	s_or_b32 exec_lo, exec_lo, s26
	s_delay_alu instid0(SALU_CYCLE_1)
	s_mov_b32 s26, exec_lo
	v_cmpx_lt_u32_e64 v83, v0
	s_cbranch_execz .LBB1362_301
.LBB1362_316:                           ;   in Loop: Header=BB1362_237 Depth=2
	global_load_b64 v[10:11], v[2:3], off offset:1792
	s_or_b32 exec_lo, exec_lo, s26
	s_and_saveexec_b32 s26, vcc_lo
	s_cbranch_execnz .LBB1362_302
.LBB1362_317:                           ;   in Loop: Header=BB1362_237 Depth=2
	s_or_b32 exec_lo, exec_lo, s26
	s_and_saveexec_b32 s26, s17
	s_cbranch_execz .LBB1362_303
.LBB1362_318:                           ;   in Loop: Header=BB1362_237 Depth=2
	ds_load_b32 v0, v58 offset:1024
	s_waitcnt lgkmcnt(0)
	v_cmp_ne_u32_e64 s24, 0x80000000, v0
	s_delay_alu instid0(VALU_DEP_1) | instskip(NEXT) | instid1(VALU_DEP_1)
	v_cndmask_b32_e64 v0, 0x7fffffff, v0, s24
	v_lshrrev_b32_e32 v0, s25, v0
	s_delay_alu instid0(VALU_DEP_1)
	v_and_b32_e32 v95, s30, v0
	s_or_b32 exec_lo, exec_lo, s26
	s_and_saveexec_b32 s26, s18
	s_cbranch_execnz .LBB1362_304
.LBB1362_319:                           ;   in Loop: Header=BB1362_237 Depth=2
	s_or_b32 exec_lo, exec_lo, s26
	s_and_saveexec_b32 s26, s19
	s_cbranch_execz .LBB1362_305
.LBB1362_320:                           ;   in Loop: Header=BB1362_237 Depth=2
	ds_load_b32 v0, v58 offset:3072
	s_waitcnt lgkmcnt(0)
	v_cmp_ne_u32_e64 s24, 0x80000000, v0
	s_delay_alu instid0(VALU_DEP_1) | instskip(NEXT) | instid1(VALU_DEP_1)
	v_cndmask_b32_e64 v0, 0x7fffffff, v0, s24
	v_lshrrev_b32_e32 v0, s25, v0
	s_delay_alu instid0(VALU_DEP_1)
	v_and_b32_e32 v93, s30, v0
	s_or_b32 exec_lo, exec_lo, s26
	s_and_saveexec_b32 s26, s20
	s_cbranch_execnz .LBB1362_306
.LBB1362_321:                           ;   in Loop: Header=BB1362_237 Depth=2
	s_or_b32 exec_lo, exec_lo, s26
	s_and_saveexec_b32 s26, s21
	s_cbranch_execz .LBB1362_307
.LBB1362_322:                           ;   in Loop: Header=BB1362_237 Depth=2
	ds_load_b32 v0, v58 offset:5120
	s_waitcnt lgkmcnt(0)
	v_cmp_ne_u32_e64 s24, 0x80000000, v0
	s_delay_alu instid0(VALU_DEP_1) | instskip(NEXT) | instid1(VALU_DEP_1)
	v_cndmask_b32_e64 v0, 0x7fffffff, v0, s24
	v_lshrrev_b32_e32 v0, s25, v0
	s_delay_alu instid0(VALU_DEP_1)
	v_and_b32_e32 v91, s30, v0
	s_or_b32 exec_lo, exec_lo, s26
	s_and_saveexec_b32 s26, s22
	s_cbranch_execnz .LBB1362_308
.LBB1362_323:                           ;   in Loop: Header=BB1362_237 Depth=2
	s_or_b32 exec_lo, exec_lo, s26
	s_and_saveexec_b32 s26, s23
	s_cbranch_execz .LBB1362_325
.LBB1362_324:                           ;   in Loop: Header=BB1362_237 Depth=2
	ds_load_b32 v0, v58 offset:7168
	s_waitcnt lgkmcnt(0)
	v_cmp_ne_u32_e64 s24, 0x80000000, v0
	s_delay_alu instid0(VALU_DEP_1) | instskip(NEXT) | instid1(VALU_DEP_1)
	v_cndmask_b32_e64 v0, 0x7fffffff, v0, s24
	v_lshrrev_b32_e32 v0, s25, v0
	s_delay_alu instid0(VALU_DEP_1)
	v_and_b32_e32 v89, s30, v0
.LBB1362_325:                           ;   in Loop: Header=BB1362_237 Depth=2
	s_or_b32 exec_lo, exec_lo, s26
	v_lshlrev_b32_e32 v0, 3, v101
	v_lshlrev_b32_e32 v2, 3, v97
	;; [unrolled: 1-line block ×3, first 2 shown]
	s_waitcnt vmcnt(0)
	s_waitcnt_vscnt null, 0x0
	s_barrier
	buffer_gl0_inv
	ds_store_b64 v0, v[27:28] offset:1024
	ds_store_b64 v2, v[25:26] offset:1024
	;; [unrolled: 1-line block ×3, first 2 shown]
	v_lshlrev_b32_e32 v0, 3, v7
	v_lshlrev_b32_e32 v2, 3, v6
	;; [unrolled: 1-line block ×5, first 2 shown]
	ds_store_b64 v0, v[21:22] offset:1024
	ds_store_b64 v2, v[16:17] offset:1024
	;; [unrolled: 1-line block ×5, first 2 shown]
	s_waitcnt lgkmcnt(0)
	s_barrier
	buffer_gl0_inv
	s_and_saveexec_b32 s24, vcc_lo
	s_cbranch_execz .LBB1362_333
; %bb.326:                              ;   in Loop: Header=BB1362_237 Depth=2
	v_lshlrev_b32_e32 v0, 2, v96
	v_add_nc_u32_e32 v2, v52, v31
	ds_load_b32 v0, v0
	ds_load_b64 v[2:3], v2 offset:1024
	s_waitcnt lgkmcnt(1)
	v_add_nc_u32_e32 v19, v0, v18
	s_delay_alu instid0(VALU_DEP_1) | instskip(NEXT) | instid1(VALU_DEP_1)
	v_lshlrev_b64 v[5:6], 3, v[19:20]
	v_add_co_u32 v5, vcc_lo, s54, v5
	s_delay_alu instid0(VALU_DEP_2)
	v_add_co_ci_u32_e32 v6, vcc_lo, s55, v6, vcc_lo
	s_waitcnt lgkmcnt(0)
	global_store_b64 v[5:6], v[2:3], off
	s_or_b32 exec_lo, exec_lo, s24
	s_and_saveexec_b32 s24, s17
	s_cbranch_execnz .LBB1362_334
.LBB1362_327:                           ;   in Loop: Header=BB1362_237 Depth=2
	s_or_b32 exec_lo, exec_lo, s24
	s_and_saveexec_b32 s17, s18
	s_cbranch_execz .LBB1362_335
.LBB1362_328:                           ;   in Loop: Header=BB1362_237 Depth=2
	v_lshlrev_b32_e32 v0, 2, v94
	v_add_nc_u32_e32 v2, v58, v31
	ds_load_b32 v0, v0
	ds_load_b64 v[2:3], v2 offset:4096
	s_waitcnt lgkmcnt(1)
	v_add_nc_u32_e32 v19, v0, v33
	s_delay_alu instid0(VALU_DEP_1) | instskip(NEXT) | instid1(VALU_DEP_1)
	v_lshlrev_b64 v[5:6], 3, v[19:20]
	v_add_co_u32 v5, vcc_lo, s54, v5
	s_delay_alu instid0(VALU_DEP_2)
	v_add_co_ci_u32_e32 v6, vcc_lo, s55, v6, vcc_lo
	s_waitcnt lgkmcnt(0)
	global_store_b64 v[5:6], v[2:3], off
	s_or_b32 exec_lo, exec_lo, s17
	s_and_saveexec_b32 s17, s19
	s_cbranch_execnz .LBB1362_336
.LBB1362_329:                           ;   in Loop: Header=BB1362_237 Depth=2
	s_or_b32 exec_lo, exec_lo, s17
	s_and_saveexec_b32 s17, s20
	s_cbranch_execz .LBB1362_337
.LBB1362_330:                           ;   in Loop: Header=BB1362_237 Depth=2
	v_lshlrev_b32_e32 v0, 2, v92
	v_add_nc_u32_e32 v2, v58, v31
	ds_load_b32 v0, v0
	ds_load_b64 v[2:3], v2 offset:8192
	s_waitcnt lgkmcnt(1)
	v_add_nc_u32_e32 v19, v0, v38
	s_delay_alu instid0(VALU_DEP_1) | instskip(NEXT) | instid1(VALU_DEP_1)
	v_lshlrev_b64 v[5:6], 3, v[19:20]
	v_add_co_u32 v5, vcc_lo, s54, v5
	s_delay_alu instid0(VALU_DEP_2)
	v_add_co_ci_u32_e32 v6, vcc_lo, s55, v6, vcc_lo
	s_waitcnt lgkmcnt(0)
	global_store_b64 v[5:6], v[2:3], off
	s_or_b32 exec_lo, exec_lo, s17
	s_and_saveexec_b32 s17, s21
	s_cbranch_execnz .LBB1362_338
.LBB1362_331:                           ;   in Loop: Header=BB1362_237 Depth=2
	s_or_b32 exec_lo, exec_lo, s17
	s_and_saveexec_b32 s17, s22
	s_cbranch_execz .LBB1362_339
.LBB1362_332:                           ;   in Loop: Header=BB1362_237 Depth=2
	v_lshlrev_b32_e32 v0, 2, v90
	v_add_nc_u32_e32 v2, v58, v31
	ds_load_b32 v0, v0
	ds_load_b64 v[2:3], v2 offset:12288
	s_waitcnt lgkmcnt(1)
	v_add_nc_u32_e32 v19, v0, v40
	s_delay_alu instid0(VALU_DEP_1) | instskip(NEXT) | instid1(VALU_DEP_1)
	v_lshlrev_b64 v[5:6], 3, v[19:20]
	v_add_co_u32 v5, vcc_lo, s54, v5
	s_delay_alu instid0(VALU_DEP_2)
	v_add_co_ci_u32_e32 v6, vcc_lo, s55, v6, vcc_lo
	s_waitcnt lgkmcnt(0)
	global_store_b64 v[5:6], v[2:3], off
	s_or_b32 exec_lo, exec_lo, s17
	s_and_saveexec_b32 s17, s23
	s_cbranch_execnz .LBB1362_340
	s_branch .LBB1362_341
.LBB1362_333:                           ;   in Loop: Header=BB1362_237 Depth=2
	s_or_b32 exec_lo, exec_lo, s24
	s_and_saveexec_b32 s24, s17
	s_cbranch_execz .LBB1362_327
.LBB1362_334:                           ;   in Loop: Header=BB1362_237 Depth=2
	v_lshlrev_b32_e32 v0, 2, v95
	v_add_nc_u32_e32 v2, v58, v31
	ds_load_b32 v0, v0
	ds_load_b64 v[2:3], v2 offset:2048
	s_waitcnt lgkmcnt(1)
	v_add_nc_u32_e32 v19, v0, v32
	s_delay_alu instid0(VALU_DEP_1) | instskip(NEXT) | instid1(VALU_DEP_1)
	v_lshlrev_b64 v[5:6], 3, v[19:20]
	v_add_co_u32 v5, vcc_lo, s54, v5
	s_delay_alu instid0(VALU_DEP_2)
	v_add_co_ci_u32_e32 v6, vcc_lo, s55, v6, vcc_lo
	s_waitcnt lgkmcnt(0)
	global_store_b64 v[5:6], v[2:3], off
	s_or_b32 exec_lo, exec_lo, s24
	s_and_saveexec_b32 s17, s18
	s_cbranch_execnz .LBB1362_328
.LBB1362_335:                           ;   in Loop: Header=BB1362_237 Depth=2
	s_or_b32 exec_lo, exec_lo, s17
	s_and_saveexec_b32 s17, s19
	s_cbranch_execz .LBB1362_329
.LBB1362_336:                           ;   in Loop: Header=BB1362_237 Depth=2
	v_lshlrev_b32_e32 v0, 2, v93
	v_add_nc_u32_e32 v2, v58, v31
	ds_load_b32 v0, v0
	ds_load_b64 v[2:3], v2 offset:6144
	s_waitcnt lgkmcnt(1)
	v_add_nc_u32_e32 v19, v0, v34
	s_delay_alu instid0(VALU_DEP_1) | instskip(NEXT) | instid1(VALU_DEP_1)
	v_lshlrev_b64 v[5:6], 3, v[19:20]
	v_add_co_u32 v5, vcc_lo, s54, v5
	s_delay_alu instid0(VALU_DEP_2)
	v_add_co_ci_u32_e32 v6, vcc_lo, s55, v6, vcc_lo
	s_waitcnt lgkmcnt(0)
	global_store_b64 v[5:6], v[2:3], off
	s_or_b32 exec_lo, exec_lo, s17
	s_and_saveexec_b32 s17, s20
	s_cbranch_execnz .LBB1362_330
.LBB1362_337:                           ;   in Loop: Header=BB1362_237 Depth=2
	s_or_b32 exec_lo, exec_lo, s17
	s_and_saveexec_b32 s17, s21
	s_cbranch_execz .LBB1362_331
.LBB1362_338:                           ;   in Loop: Header=BB1362_237 Depth=2
	v_lshlrev_b32_e32 v0, 2, v91
	v_add_nc_u32_e32 v2, v58, v31
	ds_load_b32 v0, v0
	ds_load_b64 v[2:3], v2 offset:10240
	s_waitcnt lgkmcnt(1)
	v_add_nc_u32_e32 v19, v0, v39
	s_delay_alu instid0(VALU_DEP_1) | instskip(NEXT) | instid1(VALU_DEP_1)
	v_lshlrev_b64 v[5:6], 3, v[19:20]
	v_add_co_u32 v5, vcc_lo, s54, v5
	s_delay_alu instid0(VALU_DEP_2)
	v_add_co_ci_u32_e32 v6, vcc_lo, s55, v6, vcc_lo
	s_waitcnt lgkmcnt(0)
	global_store_b64 v[5:6], v[2:3], off
	s_or_b32 exec_lo, exec_lo, s17
	s_and_saveexec_b32 s17, s22
	s_cbranch_execnz .LBB1362_332
.LBB1362_339:                           ;   in Loop: Header=BB1362_237 Depth=2
	s_or_b32 exec_lo, exec_lo, s17
	s_and_saveexec_b32 s17, s23
	s_cbranch_execz .LBB1362_341
.LBB1362_340:                           ;   in Loop: Header=BB1362_237 Depth=2
	v_lshlrev_b32_e32 v0, 2, v89
	v_add_nc_u32_e32 v2, v58, v31
	ds_load_b32 v0, v0
	ds_load_b64 v[2:3], v2 offset:14336
	s_waitcnt lgkmcnt(1)
	v_add_nc_u32_e32 v19, v0, v42
	s_delay_alu instid0(VALU_DEP_1) | instskip(NEXT) | instid1(VALU_DEP_1)
	v_lshlrev_b64 v[5:6], 3, v[19:20]
	v_add_co_u32 v5, vcc_lo, s54, v5
	s_delay_alu instid0(VALU_DEP_2)
	v_add_co_ci_u32_e32 v6, vcc_lo, s55, v6, vcc_lo
	s_waitcnt lgkmcnt(0)
	global_store_b64 v[5:6], v[2:3], off
.LBB1362_341:                           ;   in Loop: Header=BB1362_237 Depth=2
	s_or_b32 exec_lo, exec_lo, s17
	s_waitcnt_vscnt null, 0x0
	s_barrier
	buffer_gl0_inv
	s_and_saveexec_b32 s17, s2
	s_cbranch_execz .LBB1362_236
; %bb.342:                              ;   in Loop: Header=BB1362_237 Depth=2
	ds_load_b32 v0, v31
	s_waitcnt lgkmcnt(0)
	v_add_nc_u32_e32 v0, v0, v4
	ds_store_b32 v31, v0
	s_branch .LBB1362_236
.LBB1362_343:                           ;   in Loop: Header=BB1362_237 Depth=2
	s_or_b32 exec_lo, exec_lo, s17
	s_delay_alu instid0(SALU_CYCLE_1)
	s_mov_b32 s17, exec_lo
	v_cmpx_gt_u32_e64 s31, v77
	s_cbranch_execz .LBB1362_242
.LBB1362_344:                           ;   in Loop: Header=BB1362_237 Depth=2
	global_load_b32 v3, v[29:30], off offset:128
	s_or_b32 exec_lo, exec_lo, s17
	s_delay_alu instid0(SALU_CYCLE_1)
	s_mov_b32 s17, exec_lo
	v_cmpx_gt_u32_e64 s31, v78
	s_cbranch_execnz .LBB1362_243
.LBB1362_345:                           ;   in Loop: Header=BB1362_237 Depth=2
	s_or_b32 exec_lo, exec_lo, s17
	s_delay_alu instid0(SALU_CYCLE_1)
	s_mov_b32 s17, exec_lo
	v_cmpx_gt_u32_e64 s31, v79
	s_cbranch_execz .LBB1362_244
.LBB1362_346:                           ;   in Loop: Header=BB1362_237 Depth=2
	global_load_b32 v5, v[29:30], off offset:384
	s_or_b32 exec_lo, exec_lo, s17
	s_delay_alu instid0(SALU_CYCLE_1)
	s_mov_b32 s17, exec_lo
	v_cmpx_gt_u32_e64 s31, v80
	s_cbranch_execnz .LBB1362_245
.LBB1362_347:                           ;   in Loop: Header=BB1362_237 Depth=2
	s_or_b32 exec_lo, exec_lo, s17
	s_delay_alu instid0(SALU_CYCLE_1)
	s_mov_b32 s17, exec_lo
	v_cmpx_gt_u32_e64 s31, v81
	s_cbranch_execz .LBB1362_246
.LBB1362_348:                           ;   in Loop: Header=BB1362_237 Depth=2
	global_load_b32 v7, v[29:30], off offset:640
	s_or_b32 exec_lo, exec_lo, s17
	s_delay_alu instid0(SALU_CYCLE_1)
	s_mov_b32 s17, exec_lo
	v_cmpx_gt_u32_e64 s31, v82
	s_cbranch_execnz .LBB1362_247
	s_branch .LBB1362_248
.LBB1362_349:                           ;   in Loop: Header=BB1362_17 Depth=1
	s_waitcnt lgkmcnt(0)
	s_barrier
.LBB1362_350:                           ;   in Loop: Header=BB1362_17 Depth=1
	s_mov_b32 s1, 0
.LBB1362_351:                           ;   in Loop: Header=BB1362_17 Depth=1
	s_delay_alu instid0(SALU_CYCLE_1)
	s_and_not1_b32 vcc_lo, exec_lo, s1
	s_cbranch_vccnz .LBB1362_16
; %bb.352:                              ;   in Loop: Header=BB1362_17 Depth=1
	s_and_b32 vcc_lo, exec_lo, s35
	s_mov_b32 s1, -1
	s_cbranch_vccz .LBB1362_518
; %bb.353:                              ;   in Loop: Header=BB1362_17 Depth=1
	s_mov_b32 s1, s59
	s_mov_b32 s26, s33
	s_barrier
	buffer_gl0_inv
                                        ; implicit-def: $vgpr2_vgpr3_vgpr4_vgpr5_vgpr6_vgpr7_vgpr8_vgpr9
	s_branch .LBB1362_355
.LBB1362_354:                           ;   in Loop: Header=BB1362_355 Depth=2
	s_or_b32 exec_lo, exec_lo, s8
	s_addk_i32 s1, 0xf800
	s_cmp_ge_u32 s7, s34
	s_mov_b32 s26, s7
	s_cbranch_scc1 .LBB1362_393
.LBB1362_355:                           ;   Parent Loop BB1362_17 Depth=1
                                        ; =>  This Inner Loop Header: Depth=2
	s_add_i32 s7, s26, 0x800
	s_delay_alu instid0(SALU_CYCLE_1)
	s_cmp_gt_u32 s7, s34
	s_cbranch_scc1 .LBB1362_358
; %bb.356:                              ;   in Loop: Header=BB1362_355 Depth=2
	s_mov_b32 s9, 0
	s_mov_b32 s8, s26
	s_delay_alu instid0(SALU_CYCLE_1) | instskip(NEXT) | instid1(SALU_CYCLE_1)
	s_lshl_b64 s[10:11], s[8:9], 2
	v_add_co_u32 v21, vcc_lo, v65, s10
	v_add_co_ci_u32_e32 v22, vcc_lo, s11, v66, vcc_lo
	s_mov_b32 s10, -1
	s_waitcnt vmcnt(0)
	s_delay_alu instid0(VALU_DEP_2) | instskip(NEXT) | instid1(VALU_DEP_2)
	v_add_co_u32 v16, vcc_lo, 0x1000, v21
	v_add_co_ci_u32_e32 v17, vcc_lo, 0, v22, vcc_lo
	s_clause 0x6
	global_load_b32 v10, v[21:22], off
	global_load_b32 v11, v[21:22], off offset:1024
	global_load_b32 v12, v[21:22], off offset:2048
	;; [unrolled: 1-line block ×3, first 2 shown]
	global_load_b32 v14, v[16:17], off
	global_load_b32 v15, v[16:17], off offset:1024
	global_load_b32 v16, v[16:17], off offset:2048
	v_add_co_u32 v21, vcc_lo, 0x1c00, v21
	v_add_co_ci_u32_e32 v22, vcc_lo, 0, v22, vcc_lo
	s_movk_i32 s11, 0x800
	s_cbranch_execz .LBB1362_359
; %bb.357:                              ;   in Loop: Header=BB1362_355 Depth=2
                                        ; implicit-def: $vgpr2_vgpr3_vgpr4_vgpr5_vgpr6_vgpr7_vgpr8_vgpr9
	v_mov_b32_e32 v0, s1
	s_and_saveexec_b32 s8, s10
	s_cbranch_execnz .LBB1362_370
	s_branch .LBB1362_371
.LBB1362_358:                           ;   in Loop: Header=BB1362_355 Depth=2
	s_mov_b32 s10, 0
                                        ; implicit-def: $sgpr11
                                        ; implicit-def: $vgpr10_vgpr11_vgpr12_vgpr13_vgpr14_vgpr15_vgpr16_vgpr17
                                        ; implicit-def: $vgpr21_vgpr22
.LBB1362_359:                           ;   in Loop: Header=BB1362_355 Depth=2
	s_lshl_b64 s[8:9], s[26:27], 2
	s_mov_b32 s11, exec_lo
	s_add_u32 s8, s44, s8
	s_addc_u32 s9, s45, s9
	v_cmpx_gt_u32_e64 s1, v18
	s_cbranch_execz .LBB1362_387
; %bb.360:                              ;   in Loop: Header=BB1362_355 Depth=2
	v_lshlrev_b32_e32 v0, 2, v18
	global_load_b32 v2, v0, s[8:9]
	s_or_b32 exec_lo, exec_lo, s11
	s_delay_alu instid0(SALU_CYCLE_1)
	s_mov_b32 s11, exec_lo
	v_cmpx_gt_u32_e64 s1, v32
	s_cbranch_execnz .LBB1362_388
.LBB1362_361:                           ;   in Loop: Header=BB1362_355 Depth=2
	s_or_b32 exec_lo, exec_lo, s11
	s_delay_alu instid0(SALU_CYCLE_1)
	s_mov_b32 s11, exec_lo
	v_cmpx_gt_u32_e64 s1, v33
	s_cbranch_execz .LBB1362_389
.LBB1362_362:                           ;   in Loop: Header=BB1362_355 Depth=2
	v_lshlrev_b32_e32 v0, 2, v18
	global_load_b32 v4, v0, s[8:9] offset:2048
	s_or_b32 exec_lo, exec_lo, s11
	s_delay_alu instid0(SALU_CYCLE_1)
	s_mov_b32 s11, exec_lo
	v_cmpx_gt_u32_e64 s1, v34
	s_cbranch_execnz .LBB1362_390
.LBB1362_363:                           ;   in Loop: Header=BB1362_355 Depth=2
	s_or_b32 exec_lo, exec_lo, s11
	s_delay_alu instid0(SALU_CYCLE_1)
	s_mov_b32 s11, exec_lo
	v_cmpx_gt_u32_e64 s1, v38
	s_cbranch_execz .LBB1362_391
.LBB1362_364:                           ;   in Loop: Header=BB1362_355 Depth=2
	v_lshlrev_b32_e32 v0, 2, v38
	global_load_b32 v6, v0, s[8:9]
	s_or_b32 exec_lo, exec_lo, s11
	s_delay_alu instid0(SALU_CYCLE_1)
	s_mov_b32 s11, exec_lo
	v_cmpx_gt_u32_e64 s1, v39
	s_cbranch_execnz .LBB1362_392
.LBB1362_365:                           ;   in Loop: Header=BB1362_355 Depth=2
	s_or_b32 exec_lo, exec_lo, s11
	s_delay_alu instid0(SALU_CYCLE_1)
	s_mov_b32 s11, exec_lo
	v_cmpx_gt_u32_e64 s1, v40
	s_cbranch_execz .LBB1362_367
.LBB1362_366:                           ;   in Loop: Header=BB1362_355 Depth=2
	v_lshlrev_b32_e32 v0, 2, v40
	global_load_b32 v8, v0, s[8:9]
.LBB1362_367:                           ;   in Loop: Header=BB1362_355 Depth=2
	s_or_b32 exec_lo, exec_lo, s11
	s_delay_alu instid0(SALU_CYCLE_1)
	s_mov_b32 s12, exec_lo
                                        ; implicit-def: $sgpr11
                                        ; implicit-def: $vgpr21_vgpr22
	v_cmpx_gt_u32_e64 s1, v42
; %bb.368:                              ;   in Loop: Header=BB1362_355 Depth=2
	v_lshlrev_b32_e32 v0, 2, v42
	s_sub_i32 s11, s34, s26
	s_or_b32 s10, s10, exec_lo
	s_delay_alu instid0(VALU_DEP_1) | instskip(NEXT) | instid1(VALU_DEP_1)
	v_add_co_u32 v21, s8, s8, v0
	v_add_co_ci_u32_e64 v22, null, s9, 0, s8
; %bb.369:                              ;   in Loop: Header=BB1362_355 Depth=2
	s_or_b32 exec_lo, exec_lo, s12
	s_waitcnt vmcnt(0)
	v_dual_mov_b32 v17, v9 :: v_dual_mov_b32 v16, v8
	v_dual_mov_b32 v15, v7 :: v_dual_mov_b32 v14, v6
	;; [unrolled: 1-line block ×4, first 2 shown]
	v_mov_b32_e32 v0, s1
	s_and_saveexec_b32 s8, s10
	s_cbranch_execz .LBB1362_371
.LBB1362_370:                           ;   in Loop: Header=BB1362_355 Depth=2
	global_load_b32 v17, v[21:22], off
	s_waitcnt vmcnt(0)
	v_dual_mov_b32 v2, v10 :: v_dual_mov_b32 v5, v13
	v_dual_mov_b32 v0, s11 :: v_dual_mov_b32 v3, v11
	;; [unrolled: 1-line block ×3, first 2 shown]
	v_mov_b32_e32 v6, v14
	v_dual_mov_b32 v8, v16 :: v_dual_mov_b32 v9, v17
.LBB1362_371:                           ;   in Loop: Header=BB1362_355 Depth=2
	s_or_b32 exec_lo, exec_lo, s8
	s_delay_alu instid0(SALU_CYCLE_1)
	s_mov_b32 s8, exec_lo
	v_cmpx_lt_u32_e64 v18, v0
	s_cbranch_execz .LBB1362_379
; %bb.372:                              ;   in Loop: Header=BB1362_355 Depth=2
	v_cmp_gt_i32_e32 vcc_lo, 0, v2
	s_waitcnt vmcnt(5)
	v_lshlrev_b32_e32 v11, 2, v35
	v_cndmask_b32_e64 v10, 0x7fffffff, 0, vcc_lo
	s_delay_alu instid0(VALU_DEP_1) | instskip(NEXT) | instid1(VALU_DEP_1)
	v_xor_b32_e32 v10, v10, v2
	v_cmp_ne_u32_e32 vcc_lo, 0x80000000, v10
	v_cndmask_b32_e32 v10, 0x7fffffff, v10, vcc_lo
	s_delay_alu instid0(VALU_DEP_1) | instskip(NEXT) | instid1(VALU_DEP_1)
	v_lshrrev_b32_e32 v10, s57, v10
	v_and_b32_e32 v10, s30, v10
	s_delay_alu instid0(VALU_DEP_1) | instskip(SKIP_2) | instid1(SALU_CYCLE_1)
	v_lshl_or_b32 v10, v10, 4, v11
	ds_add_u32 v10, v71
	s_or_b32 exec_lo, exec_lo, s8
	s_mov_b32 s8, exec_lo
	v_cmpx_lt_u32_e64 v32, v0
	s_cbranch_execnz .LBB1362_380
.LBB1362_373:                           ;   in Loop: Header=BB1362_355 Depth=2
	s_or_b32 exec_lo, exec_lo, s8
	s_delay_alu instid0(SALU_CYCLE_1)
	s_mov_b32 s8, exec_lo
	v_cmpx_lt_u32_e64 v33, v0
	s_cbranch_execz .LBB1362_381
.LBB1362_374:                           ;   in Loop: Header=BB1362_355 Depth=2
	v_cmp_gt_i32_e32 vcc_lo, 0, v4
	s_waitcnt vmcnt(5)
	v_lshlrev_b32_e32 v11, 2, v35
	v_cndmask_b32_e64 v10, 0x7fffffff, 0, vcc_lo
	s_delay_alu instid0(VALU_DEP_1) | instskip(NEXT) | instid1(VALU_DEP_1)
	v_xor_b32_e32 v10, v10, v4
	v_cmp_ne_u32_e32 vcc_lo, 0x80000000, v10
	v_cndmask_b32_e32 v10, 0x7fffffff, v10, vcc_lo
	s_delay_alu instid0(VALU_DEP_1) | instskip(NEXT) | instid1(VALU_DEP_1)
	v_lshrrev_b32_e32 v10, s57, v10
	v_and_b32_e32 v10, s30, v10
	s_delay_alu instid0(VALU_DEP_1) | instskip(SKIP_2) | instid1(SALU_CYCLE_1)
	v_lshl_or_b32 v10, v10, 4, v11
	ds_add_u32 v10, v71
	s_or_b32 exec_lo, exec_lo, s8
	s_mov_b32 s8, exec_lo
	v_cmpx_lt_u32_e64 v34, v0
	s_cbranch_execnz .LBB1362_382
.LBB1362_375:                           ;   in Loop: Header=BB1362_355 Depth=2
	s_or_b32 exec_lo, exec_lo, s8
	s_delay_alu instid0(SALU_CYCLE_1)
	s_mov_b32 s8, exec_lo
	v_cmpx_lt_u32_e64 v38, v0
	s_cbranch_execz .LBB1362_383
.LBB1362_376:                           ;   in Loop: Header=BB1362_355 Depth=2
	v_cmp_gt_i32_e32 vcc_lo, 0, v6
	s_waitcnt vmcnt(5)
	v_lshlrev_b32_e32 v11, 2, v35
	v_cndmask_b32_e64 v10, 0x7fffffff, 0, vcc_lo
	s_delay_alu instid0(VALU_DEP_1) | instskip(NEXT) | instid1(VALU_DEP_1)
	v_xor_b32_e32 v10, v10, v6
	v_cmp_ne_u32_e32 vcc_lo, 0x80000000, v10
	v_cndmask_b32_e32 v10, 0x7fffffff, v10, vcc_lo
	s_delay_alu instid0(VALU_DEP_1) | instskip(NEXT) | instid1(VALU_DEP_1)
	v_lshrrev_b32_e32 v10, s57, v10
	v_and_b32_e32 v10, s30, v10
	s_delay_alu instid0(VALU_DEP_1) | instskip(SKIP_2) | instid1(SALU_CYCLE_1)
	v_lshl_or_b32 v10, v10, 4, v11
	ds_add_u32 v10, v71
	s_or_b32 exec_lo, exec_lo, s8
	s_mov_b32 s8, exec_lo
	v_cmpx_lt_u32_e64 v39, v0
	s_cbranch_execnz .LBB1362_384
.LBB1362_377:                           ;   in Loop: Header=BB1362_355 Depth=2
	s_or_b32 exec_lo, exec_lo, s8
	s_delay_alu instid0(SALU_CYCLE_1)
	s_mov_b32 s8, exec_lo
	v_cmpx_lt_u32_e64 v40, v0
	s_cbranch_execz .LBB1362_385
.LBB1362_378:                           ;   in Loop: Header=BB1362_355 Depth=2
	v_cmp_gt_i32_e32 vcc_lo, 0, v8
	s_waitcnt vmcnt(5)
	v_lshlrev_b32_e32 v11, 2, v35
	v_cndmask_b32_e64 v10, 0x7fffffff, 0, vcc_lo
	s_delay_alu instid0(VALU_DEP_1) | instskip(NEXT) | instid1(VALU_DEP_1)
	v_xor_b32_e32 v10, v10, v8
	v_cmp_ne_u32_e32 vcc_lo, 0x80000000, v10
	v_cndmask_b32_e32 v10, 0x7fffffff, v10, vcc_lo
	s_delay_alu instid0(VALU_DEP_1) | instskip(NEXT) | instid1(VALU_DEP_1)
	v_lshrrev_b32_e32 v10, s57, v10
	v_and_b32_e32 v10, s30, v10
	s_delay_alu instid0(VALU_DEP_1) | instskip(SKIP_2) | instid1(SALU_CYCLE_1)
	v_lshl_or_b32 v10, v10, 4, v11
	ds_add_u32 v10, v71
	s_or_b32 exec_lo, exec_lo, s8
	s_mov_b32 s8, exec_lo
	v_cmpx_lt_u32_e64 v42, v0
	s_cbranch_execz .LBB1362_354
	s_branch .LBB1362_386
.LBB1362_379:                           ;   in Loop: Header=BB1362_355 Depth=2
	s_or_b32 exec_lo, exec_lo, s8
	s_delay_alu instid0(SALU_CYCLE_1)
	s_mov_b32 s8, exec_lo
	v_cmpx_lt_u32_e64 v32, v0
	s_cbranch_execz .LBB1362_373
.LBB1362_380:                           ;   in Loop: Header=BB1362_355 Depth=2
	v_cmp_gt_i32_e32 vcc_lo, 0, v3
	s_waitcnt vmcnt(5)
	v_lshlrev_b32_e32 v11, 2, v35
	v_cndmask_b32_e64 v10, 0x7fffffff, 0, vcc_lo
	s_delay_alu instid0(VALU_DEP_1) | instskip(NEXT) | instid1(VALU_DEP_1)
	v_xor_b32_e32 v10, v10, v3
	v_cmp_ne_u32_e32 vcc_lo, 0x80000000, v10
	v_cndmask_b32_e32 v10, 0x7fffffff, v10, vcc_lo
	s_delay_alu instid0(VALU_DEP_1) | instskip(NEXT) | instid1(VALU_DEP_1)
	v_lshrrev_b32_e32 v10, s57, v10
	v_and_b32_e32 v10, s30, v10
	s_delay_alu instid0(VALU_DEP_1) | instskip(SKIP_2) | instid1(SALU_CYCLE_1)
	v_lshl_or_b32 v10, v10, 4, v11
	ds_add_u32 v10, v71
	s_or_b32 exec_lo, exec_lo, s8
	s_mov_b32 s8, exec_lo
	v_cmpx_lt_u32_e64 v33, v0
	s_cbranch_execnz .LBB1362_374
.LBB1362_381:                           ;   in Loop: Header=BB1362_355 Depth=2
	s_or_b32 exec_lo, exec_lo, s8
	s_delay_alu instid0(SALU_CYCLE_1)
	s_mov_b32 s8, exec_lo
	v_cmpx_lt_u32_e64 v34, v0
	s_cbranch_execz .LBB1362_375
.LBB1362_382:                           ;   in Loop: Header=BB1362_355 Depth=2
	v_cmp_gt_i32_e32 vcc_lo, 0, v5
	s_waitcnt vmcnt(5)
	v_lshlrev_b32_e32 v11, 2, v35
	v_cndmask_b32_e64 v10, 0x7fffffff, 0, vcc_lo
	s_delay_alu instid0(VALU_DEP_1) | instskip(NEXT) | instid1(VALU_DEP_1)
	v_xor_b32_e32 v10, v10, v5
	v_cmp_ne_u32_e32 vcc_lo, 0x80000000, v10
	v_cndmask_b32_e32 v10, 0x7fffffff, v10, vcc_lo
	s_delay_alu instid0(VALU_DEP_1) | instskip(NEXT) | instid1(VALU_DEP_1)
	v_lshrrev_b32_e32 v10, s57, v10
	v_and_b32_e32 v10, s30, v10
	s_delay_alu instid0(VALU_DEP_1) | instskip(SKIP_2) | instid1(SALU_CYCLE_1)
	v_lshl_or_b32 v10, v10, 4, v11
	ds_add_u32 v10, v71
	s_or_b32 exec_lo, exec_lo, s8
	s_mov_b32 s8, exec_lo
	v_cmpx_lt_u32_e64 v38, v0
	s_cbranch_execnz .LBB1362_376
.LBB1362_383:                           ;   in Loop: Header=BB1362_355 Depth=2
	s_or_b32 exec_lo, exec_lo, s8
	s_delay_alu instid0(SALU_CYCLE_1)
	s_mov_b32 s8, exec_lo
	v_cmpx_lt_u32_e64 v39, v0
	s_cbranch_execz .LBB1362_377
.LBB1362_384:                           ;   in Loop: Header=BB1362_355 Depth=2
	v_cmp_gt_i32_e32 vcc_lo, 0, v7
	s_waitcnt vmcnt(5)
	v_lshlrev_b32_e32 v11, 2, v35
	v_cndmask_b32_e64 v10, 0x7fffffff, 0, vcc_lo
	s_delay_alu instid0(VALU_DEP_1) | instskip(NEXT) | instid1(VALU_DEP_1)
	v_xor_b32_e32 v10, v10, v7
	v_cmp_ne_u32_e32 vcc_lo, 0x80000000, v10
	v_cndmask_b32_e32 v10, 0x7fffffff, v10, vcc_lo
	s_delay_alu instid0(VALU_DEP_1) | instskip(NEXT) | instid1(VALU_DEP_1)
	v_lshrrev_b32_e32 v10, s57, v10
	v_and_b32_e32 v10, s30, v10
	s_delay_alu instid0(VALU_DEP_1) | instskip(SKIP_2) | instid1(SALU_CYCLE_1)
	v_lshl_or_b32 v10, v10, 4, v11
	ds_add_u32 v10, v71
	s_or_b32 exec_lo, exec_lo, s8
	s_mov_b32 s8, exec_lo
	v_cmpx_lt_u32_e64 v40, v0
	s_cbranch_execnz .LBB1362_378
.LBB1362_385:                           ;   in Loop: Header=BB1362_355 Depth=2
	s_or_b32 exec_lo, exec_lo, s8
	s_delay_alu instid0(SALU_CYCLE_1)
	s_mov_b32 s8, exec_lo
	v_cmpx_lt_u32_e64 v42, v0
	s_cbranch_execz .LBB1362_354
.LBB1362_386:                           ;   in Loop: Header=BB1362_355 Depth=2
	v_cmp_gt_i32_e32 vcc_lo, 0, v9
	s_waitcnt vmcnt(6)
	v_lshlrev_b32_e32 v10, 2, v35
	v_cndmask_b32_e64 v0, 0x7fffffff, 0, vcc_lo
	s_delay_alu instid0(VALU_DEP_1) | instskip(NEXT) | instid1(VALU_DEP_1)
	v_xor_b32_e32 v0, v0, v9
	v_cmp_ne_u32_e32 vcc_lo, 0x80000000, v0
	v_cndmask_b32_e32 v0, 0x7fffffff, v0, vcc_lo
	s_delay_alu instid0(VALU_DEP_1) | instskip(NEXT) | instid1(VALU_DEP_1)
	v_lshrrev_b32_e32 v0, s57, v0
	v_and_b32_e32 v0, s30, v0
	s_delay_alu instid0(VALU_DEP_1)
	v_lshl_or_b32 v0, v0, 4, v10
	ds_add_u32 v0, v71
	s_branch .LBB1362_354
.LBB1362_387:                           ;   in Loop: Header=BB1362_355 Depth=2
	s_or_b32 exec_lo, exec_lo, s11
	s_delay_alu instid0(SALU_CYCLE_1)
	s_mov_b32 s11, exec_lo
	v_cmpx_gt_u32_e64 s1, v32
	s_cbranch_execz .LBB1362_361
.LBB1362_388:                           ;   in Loop: Header=BB1362_355 Depth=2
	v_lshlrev_b32_e32 v0, 2, v18
	global_load_b32 v3, v0, s[8:9] offset:1024
	s_or_b32 exec_lo, exec_lo, s11
	s_delay_alu instid0(SALU_CYCLE_1)
	s_mov_b32 s11, exec_lo
	v_cmpx_gt_u32_e64 s1, v33
	s_cbranch_execnz .LBB1362_362
.LBB1362_389:                           ;   in Loop: Header=BB1362_355 Depth=2
	s_or_b32 exec_lo, exec_lo, s11
	s_delay_alu instid0(SALU_CYCLE_1)
	s_mov_b32 s11, exec_lo
	v_cmpx_gt_u32_e64 s1, v34
	s_cbranch_execz .LBB1362_363
.LBB1362_390:                           ;   in Loop: Header=BB1362_355 Depth=2
	v_lshlrev_b32_e32 v0, 2, v18
	global_load_b32 v5, v0, s[8:9] offset:3072
	s_or_b32 exec_lo, exec_lo, s11
	s_delay_alu instid0(SALU_CYCLE_1)
	s_mov_b32 s11, exec_lo
	v_cmpx_gt_u32_e64 s1, v38
	s_cbranch_execnz .LBB1362_364
.LBB1362_391:                           ;   in Loop: Header=BB1362_355 Depth=2
	s_or_b32 exec_lo, exec_lo, s11
	s_delay_alu instid0(SALU_CYCLE_1)
	s_mov_b32 s11, exec_lo
	v_cmpx_gt_u32_e64 s1, v39
	s_cbranch_execz .LBB1362_365
.LBB1362_392:                           ;   in Loop: Header=BB1362_355 Depth=2
	v_lshlrev_b32_e32 v0, 2, v39
	global_load_b32 v7, v0, s[8:9]
	s_or_b32 exec_lo, exec_lo, s11
	s_delay_alu instid0(SALU_CYCLE_1)
	s_mov_b32 s11, exec_lo
	v_cmpx_gt_u32_e64 s1, v40
	s_cbranch_execz .LBB1362_367
	s_branch .LBB1362_366
.LBB1362_393:                           ;   in Loop: Header=BB1362_17 Depth=1
	v_mov_b32_e32 v0, 0
	s_waitcnt vmcnt(0) lgkmcnt(0)
	s_barrier
	buffer_gl0_inv
	s_and_saveexec_b32 s1, s2
	s_cbranch_execz .LBB1362_395
; %bb.394:                              ;   in Loop: Header=BB1362_17 Depth=1
	ds_load_2addr_b64 v[2:5], v43 offset1:1
	s_waitcnt lgkmcnt(0)
	v_add_nc_u32_e32 v0, v3, v2
	s_delay_alu instid0(VALU_DEP_1)
	v_add3_u32 v0, v0, v4, v5
.LBB1362_395:                           ;   in Loop: Header=BB1362_17 Depth=1
	s_or_b32 exec_lo, exec_lo, s1
	v_and_b32_e32 v2, 15, v72
	s_delay_alu instid0(VALU_DEP_2) | instskip(SKIP_1) | instid1(VALU_DEP_3)
	v_mov_b32_dpp v3, v0 row_shr:1 row_mask:0xf bank_mask:0xf
	v_and_b32_e32 v4, 16, v72
	v_cmp_eq_u32_e64 s1, 0, v2
	v_cmp_lt_u32_e64 s7, 1, v2
	v_cmp_lt_u32_e64 s8, 3, v2
	;; [unrolled: 1-line block ×3, first 2 shown]
	v_cmp_eq_u32_e64 s10, 0, v4
	v_cndmask_b32_e64 v3, v3, 0, s1
	s_delay_alu instid0(VALU_DEP_1) | instskip(NEXT) | instid1(VALU_DEP_1)
	v_add_nc_u32_e32 v0, v3, v0
	v_mov_b32_dpp v3, v0 row_shr:2 row_mask:0xf bank_mask:0xf
	s_delay_alu instid0(VALU_DEP_1) | instskip(NEXT) | instid1(VALU_DEP_1)
	v_cndmask_b32_e64 v3, 0, v3, s7
	v_add_nc_u32_e32 v0, v0, v3
	s_delay_alu instid0(VALU_DEP_1) | instskip(NEXT) | instid1(VALU_DEP_1)
	v_mov_b32_dpp v3, v0 row_shr:4 row_mask:0xf bank_mask:0xf
	v_cndmask_b32_e64 v3, 0, v3, s8
	s_delay_alu instid0(VALU_DEP_1) | instskip(NEXT) | instid1(VALU_DEP_1)
	v_add_nc_u32_e32 v0, v0, v3
	v_mov_b32_dpp v3, v0 row_shr:8 row_mask:0xf bank_mask:0xf
	s_delay_alu instid0(VALU_DEP_1) | instskip(SKIP_1) | instid1(VALU_DEP_2)
	v_cndmask_b32_e64 v2, 0, v3, s9
	v_bfe_i32 v3, v72, 4, 1
	v_add_nc_u32_e32 v0, v0, v2
	ds_swizzle_b32 v2, v0 offset:swizzle(BROADCAST,32,15)
	s_waitcnt lgkmcnt(0)
	v_and_b32_e32 v2, v3, v2
	s_delay_alu instid0(VALU_DEP_1)
	v_add_nc_u32_e32 v2, v0, v2
	s_and_saveexec_b32 s11, s3
	s_cbranch_execz .LBB1362_397
; %bb.396:                              ;   in Loop: Header=BB1362_17 Depth=1
	ds_store_b32 v44, v2
.LBB1362_397:                           ;   in Loop: Header=BB1362_17 Depth=1
	s_or_b32 exec_lo, exec_lo, s11
	v_and_b32_e32 v0, 7, v72
	s_waitcnt lgkmcnt(0)
	s_barrier
	buffer_gl0_inv
	s_and_saveexec_b32 s11, s4
	s_cbranch_execz .LBB1362_399
; %bb.398:                              ;   in Loop: Header=BB1362_17 Depth=1
	ds_load_b32 v3, v45
	v_cmp_ne_u32_e32 vcc_lo, 0, v0
	s_waitcnt lgkmcnt(0)
	v_mov_b32_dpp v4, v3 row_shr:1 row_mask:0xf bank_mask:0xf
	s_delay_alu instid0(VALU_DEP_1) | instskip(SKIP_1) | instid1(VALU_DEP_2)
	v_cndmask_b32_e32 v4, 0, v4, vcc_lo
	v_cmp_lt_u32_e32 vcc_lo, 1, v0
	v_add_nc_u32_e32 v3, v4, v3
	s_delay_alu instid0(VALU_DEP_1) | instskip(NEXT) | instid1(VALU_DEP_1)
	v_mov_b32_dpp v4, v3 row_shr:2 row_mask:0xf bank_mask:0xf
	v_cndmask_b32_e32 v4, 0, v4, vcc_lo
	v_cmp_lt_u32_e32 vcc_lo, 3, v0
	s_delay_alu instid0(VALU_DEP_2) | instskip(NEXT) | instid1(VALU_DEP_1)
	v_add_nc_u32_e32 v3, v3, v4
	v_mov_b32_dpp v4, v3 row_shr:4 row_mask:0xf bank_mask:0xf
	s_delay_alu instid0(VALU_DEP_1) | instskip(NEXT) | instid1(VALU_DEP_1)
	v_cndmask_b32_e32 v4, 0, v4, vcc_lo
	v_add_nc_u32_e32 v3, v3, v4
	ds_store_b32 v45, v3
.LBB1362_399:                           ;   in Loop: Header=BB1362_17 Depth=1
	s_or_b32 exec_lo, exec_lo, s11
	v_mov_b32_e32 v3, 0
	s_waitcnt lgkmcnt(0)
	s_barrier
	buffer_gl0_inv
	s_and_saveexec_b32 s11, s5
	s_cbranch_execz .LBB1362_401
; %bb.400:                              ;   in Loop: Header=BB1362_17 Depth=1
	ds_load_b32 v3, v46
.LBB1362_401:                           ;   in Loop: Header=BB1362_17 Depth=1
	s_or_b32 exec_lo, exec_lo, s11
	v_add_nc_u32_e32 v4, -1, v72
	s_waitcnt lgkmcnt(0)
	v_add_nc_u32_e32 v2, v3, v2
	v_cmp_eq_u32_e64 s11, 0, v72
	s_barrier
	v_cmp_gt_i32_e32 vcc_lo, 0, v4
	buffer_gl0_inv
	v_cndmask_b32_e32 v4, v4, v72, vcc_lo
	s_delay_alu instid0(VALU_DEP_1)
	v_lshlrev_b32_e32 v73, 2, v4
	ds_bpermute_b32 v2, v73, v2
	s_and_saveexec_b32 s12, s2
	s_cbranch_execz .LBB1362_403
; %bb.402:                              ;   in Loop: Header=BB1362_17 Depth=1
	s_waitcnt lgkmcnt(0)
	v_cndmask_b32_e64 v2, v2, v3, s11
	s_delay_alu instid0(VALU_DEP_1)
	v_add_nc_u32_e32 v2, s33, v2
	ds_store_b32 v31, v2
.LBB1362_403:                           ;   in Loop: Header=BB1362_17 Depth=1
	s_or_b32 exec_lo, exec_lo, s12
	s_load_b64 s[12:13], s[28:29], 0x0
	v_lshlrev_b32_e32 v3, 3, v72
	v_or_b32_e32 v74, v72, v47
	s_mov_b32 s31, s59
	s_mov_b32 s26, s33
                                        ; implicit-def: $vgpr10_vgpr11
                                        ; implicit-def: $vgpr12_vgpr13
                                        ; implicit-def: $vgpr14_vgpr15
                                        ; implicit-def: $vgpr16_vgpr17
                                        ; implicit-def: $vgpr21_vgpr22
                                        ; implicit-def: $vgpr23_vgpr24
                                        ; implicit-def: $vgpr25_vgpr26
                                        ; implicit-def: $vgpr27_vgpr28
                                        ; implicit-def: $vgpr89
                                        ; implicit-def: $vgpr90
                                        ; implicit-def: $vgpr91
                                        ; implicit-def: $vgpr92
                                        ; implicit-def: $vgpr93
                                        ; implicit-def: $vgpr94
                                        ; implicit-def: $vgpr95
                                        ; implicit-def: $vgpr96
	s_delay_alu instid0(VALU_DEP_2)
	v_add_co_u32 v75, vcc_lo, v67, v3
	v_add_co_ci_u32_e32 v76, vcc_lo, 0, v68, vcc_lo
	v_or_b32_e32 v77, 32, v74
	v_or_b32_e32 v78, 64, v74
	;; [unrolled: 1-line block ×7, first 2 shown]
	s_waitcnt lgkmcnt(0)
	s_cmp_lt_u32 s15, s13
	s_cselect_b32 s13, 14, 20
	s_delay_alu instid0(SALU_CYCLE_1) | instskip(SKIP_4) | instid1(SALU_CYCLE_1)
	s_add_u32 s16, s28, s13
	s_addc_u32 s17, s29, 0
	s_cmp_lt_u32 s14, s12
	global_load_u16 v2, v20, s[16:17]
	s_cselect_b32 s12, 12, 18
	s_add_u32 s12, s28, s12
	s_addc_u32 s13, s29, 0
	global_load_u16 v4, v20, s[12:13]
	v_cmp_eq_u32_e64 s12, 0, v0
	v_cmp_lt_u32_e64 s13, 1, v0
	v_cmp_lt_u32_e64 s16, 3, v0
	v_lshlrev_b32_e32 v0, 2, v72
	s_delay_alu instid0(VALU_DEP_1) | instskip(SKIP_1) | instid1(VALU_DEP_2)
	v_add_co_u32 v84, vcc_lo, v69, v0
	v_add_co_ci_u32_e32 v85, vcc_lo, 0, v70, vcc_lo
	v_add_co_u32 v87, vcc_lo, 0x380, v84
	s_delay_alu instid0(VALU_DEP_2) | instskip(SKIP_3) | instid1(VALU_DEP_1)
	v_add_co_ci_u32_e32 v88, vcc_lo, 0, v85, vcc_lo
	s_waitcnt vmcnt(1)
	v_mad_u32_u24 v5, v48, v2, v50
	s_waitcnt vmcnt(0)
	v_mad_u64_u32 v[2:3], null, v5, v4, v[18:19]
	s_delay_alu instid0(VALU_DEP_1)
	v_lshrrev_b32_e32 v86, 5, v2
	s_branch .LBB1362_405
.LBB1362_404:                           ;   in Loop: Header=BB1362_405 Depth=2
	s_or_b32 exec_lo, exec_lo, s17
	s_addk_i32 s31, 0xf800
	s_cmp_lt_u32 s50, s34
	s_mov_b32 s26, s50
	s_cbranch_scc0 .LBB1362_517
.LBB1362_405:                           ;   Parent Loop BB1362_17 Depth=1
                                        ; =>  This Inner Loop Header: Depth=2
	s_add_i32 s50, s26, 0x800
	s_delay_alu instid0(SALU_CYCLE_1)
	s_cmp_gt_u32 s50, s34
	s_cbranch_scc1 .LBB1362_407
; %bb.406:                              ;   in Loop: Header=BB1362_405 Depth=2
	s_mov_b32 s19, 0
	s_mov_b32 s18, s26
	s_movk_i32 s17, 0x800
	s_lshl_b64 s[20:21], s[18:19], 2
	s_delay_alu instid0(SALU_CYCLE_1)
	v_add_co_u32 v8, vcc_lo, v84, s20
	v_add_co_ci_u32_e32 v9, vcc_lo, s21, v85, vcc_lo
	s_mov_b32 s20, -1
	s_clause 0x6
	global_load_b32 v2, v[8:9], off
	global_load_b32 v3, v[8:9], off offset:128
	global_load_b32 v4, v[8:9], off offset:256
	global_load_b32 v5, v[8:9], off offset:384
	global_load_b32 v6, v[8:9], off offset:512
	global_load_b32 v7, v[8:9], off offset:640
	global_load_b32 v8, v[8:9], off offset:768
	s_cbranch_execz .LBB1362_408
	s_branch .LBB1362_417
.LBB1362_407:                           ;   in Loop: Header=BB1362_405 Depth=2
	s_mov_b32 s19, -1
	s_mov_b32 s20, 0
                                        ; implicit-def: $sgpr17
                                        ; implicit-def: $vgpr2_vgpr3_vgpr4_vgpr5_vgpr6_vgpr7_vgpr8_vgpr9
.LBB1362_408:                           ;   in Loop: Header=BB1362_405 Depth=2
	s_lshl_b64 s[18:19], s[26:27], 2
	s_mov_b32 s37, s36
	v_add_co_u32 v29, vcc_lo, v84, s18
	s_mov_b32 s38, s36
	s_mov_b32 s39, s36
	;; [unrolled: 1-line block ×6, first 2 shown]
	s_waitcnt vmcnt(0)
	v_dual_mov_b32 v2, s36 :: v_dual_mov_b32 v3, s37
	v_add_co_ci_u32_e32 v30, vcc_lo, s19, v85, vcc_lo
	v_dual_mov_b32 v4, s38 :: v_dual_mov_b32 v5, s39
	v_dual_mov_b32 v6, s40 :: v_dual_mov_b32 v7, s41
	;; [unrolled: 1-line block ×3, first 2 shown]
	s_mov_b32 s17, exec_lo
	v_cmpx_gt_u32_e64 s31, v74
	s_cbranch_execz .LBB1362_511
; %bb.409:                              ;   in Loop: Header=BB1362_405 Depth=2
	global_load_b32 v0, v[29:30], off
	v_mov_b32_e32 v7, v1
	v_mov_b32_e32 v2, v1
	;; [unrolled: 1-line block ×6, first 2 shown]
	s_waitcnt vmcnt(0)
	v_mov_b32_e32 v9, v7
	s_delay_alu instid0(VALU_DEP_2)
	v_dual_mov_b32 v8, v6 :: v_dual_mov_b32 v7, v5
	v_mov_b32_e32 v6, v4
	v_mov_b32_e32 v5, v3
	;; [unrolled: 1-line block ×5, first 2 shown]
	s_or_b32 exec_lo, exec_lo, s17
	s_delay_alu instid0(SALU_CYCLE_1)
	s_mov_b32 s17, exec_lo
	v_cmpx_gt_u32_e64 s31, v77
	s_cbranch_execnz .LBB1362_512
.LBB1362_410:                           ;   in Loop: Header=BB1362_405 Depth=2
	s_or_b32 exec_lo, exec_lo, s17
	s_delay_alu instid0(SALU_CYCLE_1)
	s_mov_b32 s17, exec_lo
	v_cmpx_gt_u32_e64 s31, v78
	s_cbranch_execz .LBB1362_513
.LBB1362_411:                           ;   in Loop: Header=BB1362_405 Depth=2
	global_load_b32 v4, v[29:30], off offset:256
	s_or_b32 exec_lo, exec_lo, s17
	s_delay_alu instid0(SALU_CYCLE_1)
	s_mov_b32 s17, exec_lo
	v_cmpx_gt_u32_e64 s31, v79
	s_cbranch_execnz .LBB1362_514
.LBB1362_412:                           ;   in Loop: Header=BB1362_405 Depth=2
	s_or_b32 exec_lo, exec_lo, s17
	s_delay_alu instid0(SALU_CYCLE_1)
	s_mov_b32 s17, exec_lo
	v_cmpx_gt_u32_e64 s31, v80
	s_cbranch_execz .LBB1362_515
.LBB1362_413:                           ;   in Loop: Header=BB1362_405 Depth=2
	global_load_b32 v6, v[29:30], off offset:512
	s_or_b32 exec_lo, exec_lo, s17
	s_delay_alu instid0(SALU_CYCLE_1)
	s_mov_b32 s17, exec_lo
	v_cmpx_gt_u32_e64 s31, v81
	s_cbranch_execnz .LBB1362_516
.LBB1362_414:                           ;   in Loop: Header=BB1362_405 Depth=2
	s_or_b32 exec_lo, exec_lo, s17
	s_delay_alu instid0(SALU_CYCLE_1)
	s_mov_b32 s17, exec_lo
	v_cmpx_gt_u32_e64 s31, v82
	s_cbranch_execz .LBB1362_416
.LBB1362_415:                           ;   in Loop: Header=BB1362_405 Depth=2
	global_load_b32 v8, v[29:30], off offset:768
.LBB1362_416:                           ;   in Loop: Header=BB1362_405 Depth=2
	s_or_b32 exec_lo, exec_lo, s17
	v_cmp_gt_u32_e64 s20, s31, v83
	s_sub_i32 s17, s34, s26
	s_mov_b64 s[18:19], s[26:27]
.LBB1362_417:                           ;   in Loop: Header=BB1362_405 Depth=2
	v_mov_b32_e32 v0, s31
	s_delay_alu instid0(VALU_DEP_2)
	s_and_saveexec_b32 s21, s20
	s_cbranch_execz .LBB1362_419
; %bb.418:                              ;   in Loop: Header=BB1362_405 Depth=2
	s_lshl_b64 s[18:19], s[18:19], 2
	v_mov_b32_e32 v0, s17
	v_add_co_u32 v29, vcc_lo, v87, s18
	v_add_co_ci_u32_e32 v30, vcc_lo, s19, v88, vcc_lo
	global_load_b32 v9, v[29:30], off
.LBB1362_419:                           ;   in Loop: Header=BB1362_405 Depth=2
	s_or_b32 exec_lo, exec_lo, s21
	s_waitcnt vmcnt(6)
	v_cmp_gt_i32_e32 vcc_lo, 0, v2
	ds_store_b32 v49, v20 offset:1056
	ds_store_2addr_b32 v51, v20, v20 offset0:1 offset1:2
	ds_store_2addr_b32 v51, v20, v20 offset0:3 offset1:4
	;; [unrolled: 1-line block ×4, first 2 shown]
	s_waitcnt vmcnt(0) lgkmcnt(0)
	s_barrier
	v_cndmask_b32_e64 v19, 0x7fffffff, 0, vcc_lo
	buffer_gl0_inv
	; wave barrier
	v_xor_b32_e32 v19, v19, v2
	s_delay_alu instid0(VALU_DEP_1) | instskip(SKIP_1) | instid1(VALU_DEP_1)
	v_cmp_ne_u32_e32 vcc_lo, 0x80000000, v19
	v_cndmask_b32_e32 v2, 0x7fffffff, v19, vcc_lo
	v_lshrrev_b32_e32 v2, s57, v2
	s_delay_alu instid0(VALU_DEP_1) | instskip(NEXT) | instid1(VALU_DEP_1)
	v_and_b32_e32 v30, s30, v2
	v_lshlrev_b32_e32 v29, 30, v30
	v_and_b32_e32 v2, 1, v30
	v_lshlrev_b32_e32 v97, 29, v30
	v_lshlrev_b32_e32 v98, 28, v30
	;; [unrolled: 1-line block ×3, first 2 shown]
	v_not_b32_e32 v103, v29
	v_add_co_u32 v2, s17, v2, -1
	s_delay_alu instid0(VALU_DEP_1)
	v_cndmask_b32_e64 v99, 0, 1, s17
	v_cmp_gt_i32_e64 s17, 0, v29
	v_not_b32_e32 v29, v97
	v_ashrrev_i32_e32 v103, 31, v103
	v_lshlrev_b32_e32 v101, 26, v30
	v_cmp_ne_u32_e32 vcc_lo, 0, v99
	v_lshlrev_b32_e32 v102, 25, v30
	v_ashrrev_i32_e32 v29, 31, v29
	v_xor_b32_e32 v103, s17, v103
	v_cmp_gt_i32_e64 s17, 0, v98
	v_xor_b32_e32 v2, vcc_lo, v2
	v_cmp_gt_i32_e32 vcc_lo, 0, v97
	v_not_b32_e32 v97, v98
	v_not_b32_e32 v98, v100
	v_lshlrev_b32_e32 v99, 24, v30
	v_and_b32_e32 v2, exec_lo, v2
	v_xor_b32_e32 v29, vcc_lo, v29
	v_ashrrev_i32_e32 v97, 31, v97
	v_cmp_gt_i32_e32 vcc_lo, 0, v100
	v_not_b32_e32 v100, v101
	v_and_b32_e32 v2, v2, v103
	v_ashrrev_i32_e32 v98, 31, v98
	v_xor_b32_e32 v97, s17, v97
	v_cmp_gt_i32_e64 s17, 0, v101
	v_ashrrev_i32_e32 v100, 31, v100
	v_and_b32_e32 v2, v2, v29
	v_not_b32_e32 v29, v102
	v_xor_b32_e32 v98, vcc_lo, v98
	v_cmp_gt_i32_e32 vcc_lo, 0, v102
	v_xor_b32_e32 v100, s17, v100
	v_and_b32_e32 v2, v2, v97
	v_not_b32_e32 v97, v99
	v_ashrrev_i32_e32 v29, 31, v29
	v_cmp_gt_i32_e64 s17, 0, v99
	v_mad_u32_u24 v30, v30, 9, v86
	v_and_b32_e32 v2, v2, v98
	v_ashrrev_i32_e32 v97, 31, v97
	v_xor_b32_e32 v29, vcc_lo, v29
	s_delay_alu instid0(VALU_DEP_3) | instskip(NEXT) | instid1(VALU_DEP_3)
	v_and_b32_e32 v2, v2, v100
	v_xor_b32_e32 v97, s17, v97
	s_delay_alu instid0(VALU_DEP_2) | instskip(NEXT) | instid1(VALU_DEP_1)
	v_and_b32_e32 v2, v2, v29
	v_and_b32_e32 v2, v2, v97
	v_lshl_add_u32 v97, v30, 2, 0x420
	s_delay_alu instid0(VALU_DEP_2) | instskip(SKIP_1) | instid1(VALU_DEP_2)
	v_mbcnt_lo_u32_b32 v29, v2, 0
	v_cmp_ne_u32_e64 s17, 0, v2
	v_cmp_eq_u32_e32 vcc_lo, 0, v29
	s_delay_alu instid0(VALU_DEP_2) | instskip(NEXT) | instid1(SALU_CYCLE_1)
	s_and_b32 s18, s17, vcc_lo
	s_and_saveexec_b32 s17, s18
	s_cbranch_execz .LBB1362_421
; %bb.420:                              ;   in Loop: Header=BB1362_405 Depth=2
	v_bcnt_u32_b32 v2, v2, 0
	ds_store_b32 v97, v2
.LBB1362_421:                           ;   in Loop: Header=BB1362_405 Depth=2
	s_or_b32 exec_lo, exec_lo, s17
	v_cmp_gt_i32_e32 vcc_lo, 0, v3
	; wave barrier
	v_cndmask_b32_e64 v2, 0x7fffffff, 0, vcc_lo
	s_delay_alu instid0(VALU_DEP_1) | instskip(NEXT) | instid1(VALU_DEP_1)
	v_xor_b32_e32 v30, v2, v3
	v_cmp_ne_u32_e32 vcc_lo, 0x80000000, v30
	v_cndmask_b32_e32 v2, 0x7fffffff, v30, vcc_lo
	s_delay_alu instid0(VALU_DEP_1) | instskip(NEXT) | instid1(VALU_DEP_1)
	v_lshrrev_b32_e32 v2, s57, v2
	v_and_b32_e32 v2, s30, v2
	s_delay_alu instid0(VALU_DEP_1)
	v_and_b32_e32 v3, 1, v2
	v_lshlrev_b32_e32 v98, 30, v2
	v_lshlrev_b32_e32 v99, 29, v2
	;; [unrolled: 1-line block ×4, first 2 shown]
	v_add_co_u32 v3, s17, v3, -1
	s_delay_alu instid0(VALU_DEP_1)
	v_cndmask_b32_e64 v101, 0, 1, s17
	v_not_b32_e32 v105, v98
	v_cmp_gt_i32_e64 s17, 0, v98
	v_not_b32_e32 v98, v99
	v_lshlrev_b32_e32 v103, 26, v2
	v_cmp_ne_u32_e32 vcc_lo, 0, v101
	v_ashrrev_i32_e32 v105, 31, v105
	v_lshlrev_b32_e32 v104, 25, v2
	v_ashrrev_i32_e32 v98, 31, v98
	v_lshlrev_b32_e32 v101, 24, v2
	v_xor_b32_e32 v3, vcc_lo, v3
	v_cmp_gt_i32_e32 vcc_lo, 0, v99
	v_not_b32_e32 v99, v100
	v_xor_b32_e32 v105, s17, v105
	v_cmp_gt_i32_e64 s17, 0, v100
	v_and_b32_e32 v3, exec_lo, v3
	v_not_b32_e32 v100, v102
	v_ashrrev_i32_e32 v99, 31, v99
	v_xor_b32_e32 v98, vcc_lo, v98
	v_cmp_gt_i32_e32 vcc_lo, 0, v102
	v_and_b32_e32 v3, v3, v105
	v_not_b32_e32 v102, v103
	v_ashrrev_i32_e32 v100, 31, v100
	v_xor_b32_e32 v99, s17, v99
	v_cmp_gt_i32_e64 s17, 0, v103
	v_and_b32_e32 v3, v3, v98
	v_not_b32_e32 v98, v104
	v_ashrrev_i32_e32 v102, 31, v102
	v_xor_b32_e32 v100, vcc_lo, v100
	v_cmp_gt_i32_e32 vcc_lo, 0, v104
	v_and_b32_e32 v3, v3, v99
	v_not_b32_e32 v99, v101
	v_ashrrev_i32_e32 v98, 31, v98
	v_xor_b32_e32 v102, s17, v102
	v_mul_u32_u24_e32 v2, 9, v2
	v_and_b32_e32 v3, v3, v100
	v_cmp_gt_i32_e64 s17, 0, v101
	v_ashrrev_i32_e32 v99, 31, v99
	v_xor_b32_e32 v98, vcc_lo, v98
	v_add_lshl_u32 v100, v2, v86, 2
	v_and_b32_e32 v3, v3, v102
	s_delay_alu instid0(VALU_DEP_4) | instskip(NEXT) | instid1(VALU_DEP_3)
	v_xor_b32_e32 v2, s17, v99
	v_add_nc_u32_e32 v101, 0x420, v100
	s_delay_alu instid0(VALU_DEP_3) | instskip(SKIP_2) | instid1(VALU_DEP_1)
	v_and_b32_e32 v3, v3, v98
	ds_load_b32 v98, v100 offset:1056
	; wave barrier
	v_and_b32_e32 v2, v3, v2
	v_mbcnt_lo_u32_b32 v99, v2, 0
	v_cmp_ne_u32_e64 s17, 0, v2
	s_delay_alu instid0(VALU_DEP_2) | instskip(NEXT) | instid1(VALU_DEP_2)
	v_cmp_eq_u32_e32 vcc_lo, 0, v99
	s_and_b32 s18, s17, vcc_lo
	s_delay_alu instid0(SALU_CYCLE_1)
	s_and_saveexec_b32 s17, s18
	s_cbranch_execz .LBB1362_423
; %bb.422:                              ;   in Loop: Header=BB1362_405 Depth=2
	s_waitcnt lgkmcnt(0)
	v_bcnt_u32_b32 v2, v2, v98
	ds_store_b32 v101, v2
.LBB1362_423:                           ;   in Loop: Header=BB1362_405 Depth=2
	s_or_b32 exec_lo, exec_lo, s17
	v_cmp_gt_i32_e32 vcc_lo, 0, v4
	; wave barrier
	v_cndmask_b32_e64 v2, 0x7fffffff, 0, vcc_lo
	s_delay_alu instid0(VALU_DEP_1) | instskip(NEXT) | instid1(VALU_DEP_1)
	v_xor_b32_e32 v100, v2, v4
	v_cmp_ne_u32_e32 vcc_lo, 0x80000000, v100
	v_cndmask_b32_e32 v2, 0x7fffffff, v100, vcc_lo
	s_delay_alu instid0(VALU_DEP_1) | instskip(NEXT) | instid1(VALU_DEP_1)
	v_lshrrev_b32_e32 v2, s57, v2
	v_and_b32_e32 v2, s30, v2
	s_delay_alu instid0(VALU_DEP_1)
	v_and_b32_e32 v3, 1, v2
	v_lshlrev_b32_e32 v4, 30, v2
	v_lshlrev_b32_e32 v102, 29, v2
	;; [unrolled: 1-line block ×4, first 2 shown]
	v_add_co_u32 v3, s17, v3, -1
	s_delay_alu instid0(VALU_DEP_1)
	v_cndmask_b32_e64 v104, 0, 1, s17
	v_not_b32_e32 v108, v4
	v_cmp_gt_i32_e64 s17, 0, v4
	v_not_b32_e32 v4, v102
	v_lshlrev_b32_e32 v106, 26, v2
	v_cmp_ne_u32_e32 vcc_lo, 0, v104
	v_ashrrev_i32_e32 v108, 31, v108
	v_lshlrev_b32_e32 v107, 25, v2
	v_ashrrev_i32_e32 v4, 31, v4
	v_lshlrev_b32_e32 v104, 24, v2
	v_xor_b32_e32 v3, vcc_lo, v3
	v_cmp_gt_i32_e32 vcc_lo, 0, v102
	v_not_b32_e32 v102, v103
	v_xor_b32_e32 v108, s17, v108
	v_cmp_gt_i32_e64 s17, 0, v103
	v_and_b32_e32 v3, exec_lo, v3
	v_not_b32_e32 v103, v105
	v_ashrrev_i32_e32 v102, 31, v102
	v_xor_b32_e32 v4, vcc_lo, v4
	v_cmp_gt_i32_e32 vcc_lo, 0, v105
	v_and_b32_e32 v3, v3, v108
	v_not_b32_e32 v105, v106
	v_ashrrev_i32_e32 v103, 31, v103
	v_xor_b32_e32 v102, s17, v102
	v_cmp_gt_i32_e64 s17, 0, v106
	v_and_b32_e32 v3, v3, v4
	v_not_b32_e32 v4, v107
	v_ashrrev_i32_e32 v105, 31, v105
	v_xor_b32_e32 v103, vcc_lo, v103
	v_cmp_gt_i32_e32 vcc_lo, 0, v107
	v_and_b32_e32 v3, v3, v102
	v_not_b32_e32 v102, v104
	v_ashrrev_i32_e32 v4, 31, v4
	v_xor_b32_e32 v105, s17, v105
	v_mul_u32_u24_e32 v2, 9, v2
	v_and_b32_e32 v3, v3, v103
	v_cmp_gt_i32_e64 s17, 0, v104
	v_ashrrev_i32_e32 v102, 31, v102
	v_xor_b32_e32 v4, vcc_lo, v4
	v_add_lshl_u32 v103, v2, v86, 2
	v_and_b32_e32 v3, v3, v105
	s_delay_alu instid0(VALU_DEP_4) | instskip(SKIP_3) | instid1(VALU_DEP_2)
	v_xor_b32_e32 v2, s17, v102
	ds_load_b32 v102, v103 offset:1056
	v_and_b32_e32 v3, v3, v4
	v_add_nc_u32_e32 v105, 0x420, v103
	; wave barrier
	v_and_b32_e32 v2, v3, v2
	s_delay_alu instid0(VALU_DEP_1) | instskip(SKIP_1) | instid1(VALU_DEP_2)
	v_mbcnt_lo_u32_b32 v104, v2, 0
	v_cmp_ne_u32_e64 s17, 0, v2
	v_cmp_eq_u32_e32 vcc_lo, 0, v104
	s_delay_alu instid0(VALU_DEP_2) | instskip(NEXT) | instid1(SALU_CYCLE_1)
	s_and_b32 s18, s17, vcc_lo
	s_and_saveexec_b32 s17, s18
	s_cbranch_execz .LBB1362_425
; %bb.424:                              ;   in Loop: Header=BB1362_405 Depth=2
	s_waitcnt lgkmcnt(0)
	v_bcnt_u32_b32 v2, v2, v102
	ds_store_b32 v105, v2
.LBB1362_425:                           ;   in Loop: Header=BB1362_405 Depth=2
	s_or_b32 exec_lo, exec_lo, s17
	v_cmp_gt_i32_e32 vcc_lo, 0, v5
	; wave barrier
	v_cndmask_b32_e64 v2, 0x7fffffff, 0, vcc_lo
	s_delay_alu instid0(VALU_DEP_1) | instskip(NEXT) | instid1(VALU_DEP_1)
	v_xor_b32_e32 v103, v2, v5
	v_cmp_ne_u32_e32 vcc_lo, 0x80000000, v103
	v_cndmask_b32_e32 v2, 0x7fffffff, v103, vcc_lo
	s_delay_alu instid0(VALU_DEP_1) | instskip(NEXT) | instid1(VALU_DEP_1)
	v_lshrrev_b32_e32 v2, s57, v2
	v_and_b32_e32 v2, s30, v2
	s_delay_alu instid0(VALU_DEP_1)
	v_and_b32_e32 v3, 1, v2
	v_lshlrev_b32_e32 v4, 30, v2
	v_lshlrev_b32_e32 v5, 29, v2
	;; [unrolled: 1-line block ×4, first 2 shown]
	v_add_co_u32 v3, s17, v3, -1
	s_delay_alu instid0(VALU_DEP_1)
	v_cndmask_b32_e64 v107, 0, 1, s17
	v_not_b32_e32 v111, v4
	v_cmp_gt_i32_e64 s17, 0, v4
	v_not_b32_e32 v4, v5
	v_lshlrev_b32_e32 v109, 26, v2
	v_cmp_ne_u32_e32 vcc_lo, 0, v107
	v_ashrrev_i32_e32 v111, 31, v111
	v_lshlrev_b32_e32 v110, 25, v2
	v_ashrrev_i32_e32 v4, 31, v4
	v_lshlrev_b32_e32 v107, 24, v2
	v_xor_b32_e32 v3, vcc_lo, v3
	v_cmp_gt_i32_e32 vcc_lo, 0, v5
	v_not_b32_e32 v5, v106
	v_xor_b32_e32 v111, s17, v111
	v_cmp_gt_i32_e64 s17, 0, v106
	v_and_b32_e32 v3, exec_lo, v3
	v_not_b32_e32 v106, v108
	v_ashrrev_i32_e32 v5, 31, v5
	v_xor_b32_e32 v4, vcc_lo, v4
	v_cmp_gt_i32_e32 vcc_lo, 0, v108
	v_and_b32_e32 v3, v3, v111
	v_not_b32_e32 v108, v109
	v_ashrrev_i32_e32 v106, 31, v106
	v_xor_b32_e32 v5, s17, v5
	v_cmp_gt_i32_e64 s17, 0, v109
	v_and_b32_e32 v3, v3, v4
	v_not_b32_e32 v4, v110
	v_ashrrev_i32_e32 v108, 31, v108
	v_xor_b32_e32 v106, vcc_lo, v106
	v_cmp_gt_i32_e32 vcc_lo, 0, v110
	v_and_b32_e32 v3, v3, v5
	v_not_b32_e32 v5, v107
	v_ashrrev_i32_e32 v4, 31, v4
	v_xor_b32_e32 v108, s17, v108
	v_mul_u32_u24_e32 v2, 9, v2
	v_and_b32_e32 v3, v3, v106
	v_cmp_gt_i32_e64 s17, 0, v107
	v_ashrrev_i32_e32 v5, 31, v5
	v_xor_b32_e32 v4, vcc_lo, v4
	v_add_lshl_u32 v106, v2, v86, 2
	v_and_b32_e32 v3, v3, v108
	s_delay_alu instid0(VALU_DEP_4) | instskip(SKIP_3) | instid1(VALU_DEP_2)
	v_xor_b32_e32 v2, s17, v5
	ds_load_b32 v107, v106 offset:1056
	v_and_b32_e32 v3, v3, v4
	v_add_nc_u32_e32 v109, 0x420, v106
	; wave barrier
	v_and_b32_e32 v2, v3, v2
	s_delay_alu instid0(VALU_DEP_1) | instskip(SKIP_1) | instid1(VALU_DEP_2)
	v_mbcnt_lo_u32_b32 v108, v2, 0
	v_cmp_ne_u32_e64 s17, 0, v2
	v_cmp_eq_u32_e32 vcc_lo, 0, v108
	s_delay_alu instid0(VALU_DEP_2) | instskip(NEXT) | instid1(SALU_CYCLE_1)
	s_and_b32 s18, s17, vcc_lo
	s_and_saveexec_b32 s17, s18
	s_cbranch_execz .LBB1362_427
; %bb.426:                              ;   in Loop: Header=BB1362_405 Depth=2
	s_waitcnt lgkmcnt(0)
	v_bcnt_u32_b32 v2, v2, v107
	ds_store_b32 v109, v2
.LBB1362_427:                           ;   in Loop: Header=BB1362_405 Depth=2
	s_or_b32 exec_lo, exec_lo, s17
	v_cmp_gt_i32_e32 vcc_lo, 0, v6
	; wave barrier
	v_cndmask_b32_e64 v2, 0x7fffffff, 0, vcc_lo
	s_delay_alu instid0(VALU_DEP_1) | instskip(NEXT) | instid1(VALU_DEP_1)
	v_xor_b32_e32 v106, v2, v6
	v_cmp_ne_u32_e32 vcc_lo, 0x80000000, v106
	v_cndmask_b32_e32 v2, 0x7fffffff, v106, vcc_lo
	s_delay_alu instid0(VALU_DEP_1) | instskip(NEXT) | instid1(VALU_DEP_1)
	v_lshrrev_b32_e32 v2, s57, v2
	v_and_b32_e32 v2, s30, v2
	s_delay_alu instid0(VALU_DEP_1)
	v_and_b32_e32 v3, 1, v2
	v_lshlrev_b32_e32 v4, 30, v2
	v_lshlrev_b32_e32 v5, 29, v2
	;; [unrolled: 1-line block ×4, first 2 shown]
	v_add_co_u32 v3, s17, v3, -1
	s_delay_alu instid0(VALU_DEP_1)
	v_cndmask_b32_e64 v110, 0, 1, s17
	v_not_b32_e32 v114, v4
	v_cmp_gt_i32_e64 s17, 0, v4
	v_not_b32_e32 v4, v5
	v_lshlrev_b32_e32 v112, 26, v2
	v_cmp_ne_u32_e32 vcc_lo, 0, v110
	v_ashrrev_i32_e32 v114, 31, v114
	v_lshlrev_b32_e32 v113, 25, v2
	v_ashrrev_i32_e32 v4, 31, v4
	v_lshlrev_b32_e32 v110, 24, v2
	v_xor_b32_e32 v3, vcc_lo, v3
	v_cmp_gt_i32_e32 vcc_lo, 0, v5
	v_not_b32_e32 v5, v6
	v_xor_b32_e32 v114, s17, v114
	v_cmp_gt_i32_e64 s17, 0, v6
	v_and_b32_e32 v3, exec_lo, v3
	v_not_b32_e32 v6, v111
	v_ashrrev_i32_e32 v5, 31, v5
	v_xor_b32_e32 v4, vcc_lo, v4
	v_cmp_gt_i32_e32 vcc_lo, 0, v111
	v_and_b32_e32 v3, v3, v114
	v_not_b32_e32 v111, v112
	v_ashrrev_i32_e32 v6, 31, v6
	v_xor_b32_e32 v5, s17, v5
	v_cmp_gt_i32_e64 s17, 0, v112
	v_and_b32_e32 v3, v3, v4
	v_not_b32_e32 v4, v113
	v_ashrrev_i32_e32 v111, 31, v111
	v_xor_b32_e32 v6, vcc_lo, v6
	v_cmp_gt_i32_e32 vcc_lo, 0, v113
	v_and_b32_e32 v3, v3, v5
	v_not_b32_e32 v5, v110
	v_ashrrev_i32_e32 v4, 31, v4
	v_xor_b32_e32 v111, s17, v111
	v_mul_u32_u24_e32 v2, 9, v2
	v_and_b32_e32 v3, v3, v6
	v_cmp_gt_i32_e64 s17, 0, v110
	v_ashrrev_i32_e32 v5, 31, v5
	v_xor_b32_e32 v4, vcc_lo, v4
	v_add_lshl_u32 v6, v2, v86, 2
	v_and_b32_e32 v3, v3, v111
	s_delay_alu instid0(VALU_DEP_4) | instskip(SKIP_3) | instid1(VALU_DEP_2)
	v_xor_b32_e32 v2, s17, v5
	ds_load_b32 v111, v6 offset:1056
	v_and_b32_e32 v3, v3, v4
	v_add_nc_u32_e32 v113, 0x420, v6
	; wave barrier
	v_and_b32_e32 v2, v3, v2
	s_delay_alu instid0(VALU_DEP_1) | instskip(SKIP_1) | instid1(VALU_DEP_2)
	v_mbcnt_lo_u32_b32 v112, v2, 0
	v_cmp_ne_u32_e64 s17, 0, v2
	v_cmp_eq_u32_e32 vcc_lo, 0, v112
	s_delay_alu instid0(VALU_DEP_2) | instskip(NEXT) | instid1(SALU_CYCLE_1)
	s_and_b32 s18, s17, vcc_lo
	s_and_saveexec_b32 s17, s18
	s_cbranch_execz .LBB1362_429
; %bb.428:                              ;   in Loop: Header=BB1362_405 Depth=2
	s_waitcnt lgkmcnt(0)
	v_bcnt_u32_b32 v2, v2, v111
	ds_store_b32 v113, v2
.LBB1362_429:                           ;   in Loop: Header=BB1362_405 Depth=2
	s_or_b32 exec_lo, exec_lo, s17
	v_cmp_gt_i32_e32 vcc_lo, 0, v7
	; wave barrier
	v_cndmask_b32_e64 v2, 0x7fffffff, 0, vcc_lo
	s_delay_alu instid0(VALU_DEP_1) | instskip(NEXT) | instid1(VALU_DEP_1)
	v_xor_b32_e32 v110, v2, v7
	v_cmp_ne_u32_e32 vcc_lo, 0x80000000, v110
	v_cndmask_b32_e32 v2, 0x7fffffff, v110, vcc_lo
	s_delay_alu instid0(VALU_DEP_1) | instskip(NEXT) | instid1(VALU_DEP_1)
	v_lshrrev_b32_e32 v2, s57, v2
	v_and_b32_e32 v2, s30, v2
	s_delay_alu instid0(VALU_DEP_1)
	v_and_b32_e32 v3, 1, v2
	v_lshlrev_b32_e32 v4, 30, v2
	v_lshlrev_b32_e32 v5, 29, v2
	;; [unrolled: 1-line block ×4, first 2 shown]
	v_add_co_u32 v3, s17, v3, -1
	s_delay_alu instid0(VALU_DEP_1)
	v_cndmask_b32_e64 v7, 0, 1, s17
	v_not_b32_e32 v117, v4
	v_cmp_gt_i32_e64 s17, 0, v4
	v_not_b32_e32 v4, v5
	v_lshlrev_b32_e32 v115, 26, v2
	v_cmp_ne_u32_e32 vcc_lo, 0, v7
	v_ashrrev_i32_e32 v117, 31, v117
	v_lshlrev_b32_e32 v116, 25, v2
	v_ashrrev_i32_e32 v4, 31, v4
	v_lshlrev_b32_e32 v7, 24, v2
	v_xor_b32_e32 v3, vcc_lo, v3
	v_cmp_gt_i32_e32 vcc_lo, 0, v5
	v_not_b32_e32 v5, v6
	v_xor_b32_e32 v117, s17, v117
	v_cmp_gt_i32_e64 s17, 0, v6
	v_and_b32_e32 v3, exec_lo, v3
	v_not_b32_e32 v6, v114
	v_ashrrev_i32_e32 v5, 31, v5
	v_xor_b32_e32 v4, vcc_lo, v4
	v_cmp_gt_i32_e32 vcc_lo, 0, v114
	v_and_b32_e32 v3, v3, v117
	v_not_b32_e32 v114, v115
	v_ashrrev_i32_e32 v6, 31, v6
	v_xor_b32_e32 v5, s17, v5
	v_cmp_gt_i32_e64 s17, 0, v115
	v_and_b32_e32 v3, v3, v4
	v_not_b32_e32 v4, v116
	v_ashrrev_i32_e32 v114, 31, v114
	v_xor_b32_e32 v6, vcc_lo, v6
	v_cmp_gt_i32_e32 vcc_lo, 0, v116
	v_and_b32_e32 v3, v3, v5
	v_not_b32_e32 v5, v7
	v_ashrrev_i32_e32 v4, 31, v4
	v_xor_b32_e32 v114, s17, v114
	v_mul_u32_u24_e32 v2, 9, v2
	v_and_b32_e32 v3, v3, v6
	v_cmp_gt_i32_e64 s17, 0, v7
	v_ashrrev_i32_e32 v5, 31, v5
	v_xor_b32_e32 v4, vcc_lo, v4
	v_add_lshl_u32 v6, v2, v86, 2
	v_and_b32_e32 v3, v3, v114
	s_delay_alu instid0(VALU_DEP_4) | instskip(SKIP_3) | instid1(VALU_DEP_2)
	v_xor_b32_e32 v2, s17, v5
	ds_load_b32 v115, v6 offset:1056
	v_and_b32_e32 v3, v3, v4
	v_add_nc_u32_e32 v117, 0x420, v6
	; wave barrier
	v_and_b32_e32 v2, v3, v2
	s_delay_alu instid0(VALU_DEP_1) | instskip(SKIP_1) | instid1(VALU_DEP_2)
	v_mbcnt_lo_u32_b32 v116, v2, 0
	v_cmp_ne_u32_e64 s17, 0, v2
	v_cmp_eq_u32_e32 vcc_lo, 0, v116
	s_delay_alu instid0(VALU_DEP_2) | instskip(NEXT) | instid1(SALU_CYCLE_1)
	s_and_b32 s18, s17, vcc_lo
	s_and_saveexec_b32 s17, s18
	s_cbranch_execz .LBB1362_431
; %bb.430:                              ;   in Loop: Header=BB1362_405 Depth=2
	s_waitcnt lgkmcnt(0)
	v_bcnt_u32_b32 v2, v2, v115
	ds_store_b32 v117, v2
.LBB1362_431:                           ;   in Loop: Header=BB1362_405 Depth=2
	s_or_b32 exec_lo, exec_lo, s17
	v_cmp_gt_i32_e32 vcc_lo, 0, v8
	; wave barrier
	v_cndmask_b32_e64 v2, 0x7fffffff, 0, vcc_lo
	s_delay_alu instid0(VALU_DEP_1) | instskip(NEXT) | instid1(VALU_DEP_1)
	v_xor_b32_e32 v114, v2, v8
	v_cmp_ne_u32_e32 vcc_lo, 0x80000000, v114
	v_cndmask_b32_e32 v2, 0x7fffffff, v114, vcc_lo
	s_delay_alu instid0(VALU_DEP_1) | instskip(NEXT) | instid1(VALU_DEP_1)
	v_lshrrev_b32_e32 v2, s57, v2
	v_and_b32_e32 v2, s30, v2
	s_delay_alu instid0(VALU_DEP_1)
	v_and_b32_e32 v3, 1, v2
	v_lshlrev_b32_e32 v4, 30, v2
	v_lshlrev_b32_e32 v5, 29, v2
	;; [unrolled: 1-line block ×4, first 2 shown]
	v_add_co_u32 v3, s17, v3, -1
	s_delay_alu instid0(VALU_DEP_1)
	v_cndmask_b32_e64 v7, 0, 1, s17
	v_not_b32_e32 v120, v4
	v_cmp_gt_i32_e64 s17, 0, v4
	v_not_b32_e32 v4, v5
	v_lshlrev_b32_e32 v118, 26, v2
	v_cmp_ne_u32_e32 vcc_lo, 0, v7
	v_ashrrev_i32_e32 v120, 31, v120
	v_lshlrev_b32_e32 v119, 25, v2
	v_ashrrev_i32_e32 v4, 31, v4
	v_lshlrev_b32_e32 v7, 24, v2
	v_xor_b32_e32 v3, vcc_lo, v3
	v_cmp_gt_i32_e32 vcc_lo, 0, v5
	v_not_b32_e32 v5, v6
	v_xor_b32_e32 v120, s17, v120
	v_cmp_gt_i32_e64 s17, 0, v6
	v_and_b32_e32 v3, exec_lo, v3
	v_not_b32_e32 v6, v8
	v_ashrrev_i32_e32 v5, 31, v5
	v_xor_b32_e32 v4, vcc_lo, v4
	v_cmp_gt_i32_e32 vcc_lo, 0, v8
	v_and_b32_e32 v3, v3, v120
	v_not_b32_e32 v8, v118
	v_ashrrev_i32_e32 v6, 31, v6
	v_xor_b32_e32 v5, s17, v5
	v_cmp_gt_i32_e64 s17, 0, v118
	v_and_b32_e32 v3, v3, v4
	v_not_b32_e32 v4, v119
	v_ashrrev_i32_e32 v8, 31, v8
	v_xor_b32_e32 v6, vcc_lo, v6
	v_cmp_gt_i32_e32 vcc_lo, 0, v119
	v_and_b32_e32 v3, v3, v5
	v_not_b32_e32 v5, v7
	v_ashrrev_i32_e32 v4, 31, v4
	v_xor_b32_e32 v8, s17, v8
	v_mul_u32_u24_e32 v2, 9, v2
	v_and_b32_e32 v3, v3, v6
	v_cmp_gt_i32_e64 s17, 0, v7
	v_ashrrev_i32_e32 v5, 31, v5
	v_xor_b32_e32 v4, vcc_lo, v4
	v_add_lshl_u32 v6, v2, v86, 2
	v_and_b32_e32 v3, v3, v8
	s_delay_alu instid0(VALU_DEP_4) | instskip(SKIP_3) | instid1(VALU_DEP_2)
	v_xor_b32_e32 v2, s17, v5
	ds_load_b32 v119, v6 offset:1056
	v_and_b32_e32 v3, v3, v4
	v_add_nc_u32_e32 v121, 0x420, v6
	; wave barrier
	v_and_b32_e32 v2, v3, v2
	s_delay_alu instid0(VALU_DEP_1) | instskip(SKIP_1) | instid1(VALU_DEP_2)
	v_mbcnt_lo_u32_b32 v120, v2, 0
	v_cmp_ne_u32_e64 s17, 0, v2
	v_cmp_eq_u32_e32 vcc_lo, 0, v120
	s_delay_alu instid0(VALU_DEP_2) | instskip(NEXT) | instid1(SALU_CYCLE_1)
	s_and_b32 s18, s17, vcc_lo
	s_and_saveexec_b32 s17, s18
	s_cbranch_execz .LBB1362_433
; %bb.432:                              ;   in Loop: Header=BB1362_405 Depth=2
	s_waitcnt lgkmcnt(0)
	v_bcnt_u32_b32 v2, v2, v119
	ds_store_b32 v121, v2
.LBB1362_433:                           ;   in Loop: Header=BB1362_405 Depth=2
	s_or_b32 exec_lo, exec_lo, s17
	v_cmp_gt_i32_e32 vcc_lo, 0, v9
	; wave barrier
	v_cndmask_b32_e64 v2, 0x7fffffff, 0, vcc_lo
	s_delay_alu instid0(VALU_DEP_1) | instskip(NEXT) | instid1(VALU_DEP_1)
	v_xor_b32_e32 v118, v2, v9
	v_cmp_ne_u32_e32 vcc_lo, 0x80000000, v118
	v_cndmask_b32_e32 v2, 0x7fffffff, v118, vcc_lo
	s_delay_alu instid0(VALU_DEP_1) | instskip(NEXT) | instid1(VALU_DEP_1)
	v_lshrrev_b32_e32 v2, s57, v2
	v_and_b32_e32 v2, s30, v2
	s_delay_alu instid0(VALU_DEP_1)
	v_and_b32_e32 v3, 1, v2
	v_lshlrev_b32_e32 v4, 30, v2
	v_lshlrev_b32_e32 v5, 29, v2
	;; [unrolled: 1-line block ×4, first 2 shown]
	v_add_co_u32 v3, s17, v3, -1
	s_delay_alu instid0(VALU_DEP_1)
	v_cndmask_b32_e64 v7, 0, 1, s17
	v_not_b32_e32 v123, v4
	v_cmp_gt_i32_e64 s17, 0, v4
	v_not_b32_e32 v4, v5
	v_lshlrev_b32_e32 v9, 26, v2
	v_cmp_ne_u32_e32 vcc_lo, 0, v7
	v_ashrrev_i32_e32 v123, 31, v123
	v_lshlrev_b32_e32 v122, 25, v2
	v_ashrrev_i32_e32 v4, 31, v4
	v_lshlrev_b32_e32 v7, 24, v2
	v_xor_b32_e32 v3, vcc_lo, v3
	v_cmp_gt_i32_e32 vcc_lo, 0, v5
	v_not_b32_e32 v5, v6
	v_xor_b32_e32 v123, s17, v123
	v_cmp_gt_i32_e64 s17, 0, v6
	v_and_b32_e32 v3, exec_lo, v3
	v_not_b32_e32 v6, v8
	v_ashrrev_i32_e32 v5, 31, v5
	v_xor_b32_e32 v4, vcc_lo, v4
	v_cmp_gt_i32_e32 vcc_lo, 0, v8
	v_and_b32_e32 v3, v3, v123
	v_not_b32_e32 v8, v9
	v_ashrrev_i32_e32 v6, 31, v6
	v_xor_b32_e32 v5, s17, v5
	v_cmp_gt_i32_e64 s17, 0, v9
	v_and_b32_e32 v3, v3, v4
	v_not_b32_e32 v4, v122
	v_ashrrev_i32_e32 v8, 31, v8
	v_xor_b32_e32 v6, vcc_lo, v6
	v_cmp_gt_i32_e32 vcc_lo, 0, v122
	v_and_b32_e32 v3, v3, v5
	v_not_b32_e32 v5, v7
	v_ashrrev_i32_e32 v4, 31, v4
	v_xor_b32_e32 v8, s17, v8
	v_mul_u32_u24_e32 v2, 9, v2
	v_and_b32_e32 v3, v3, v6
	v_cmp_gt_i32_e64 s17, 0, v7
	v_ashrrev_i32_e32 v5, 31, v5
	v_xor_b32_e32 v4, vcc_lo, v4
	v_add_lshl_u32 v6, v2, v86, 2
	v_and_b32_e32 v3, v3, v8
	s_delay_alu instid0(VALU_DEP_4) | instskip(SKIP_3) | instid1(VALU_DEP_2)
	v_xor_b32_e32 v2, s17, v5
	ds_load_b32 v122, v6 offset:1056
	v_and_b32_e32 v3, v3, v4
	v_add_nc_u32_e32 v124, 0x420, v6
	; wave barrier
	v_and_b32_e32 v2, v3, v2
	s_delay_alu instid0(VALU_DEP_1) | instskip(SKIP_1) | instid1(VALU_DEP_2)
	v_mbcnt_lo_u32_b32 v123, v2, 0
	v_cmp_ne_u32_e64 s17, 0, v2
	v_cmp_eq_u32_e32 vcc_lo, 0, v123
	s_delay_alu instid0(VALU_DEP_2) | instskip(NEXT) | instid1(SALU_CYCLE_1)
	s_and_b32 s18, s17, vcc_lo
	s_and_saveexec_b32 s17, s18
	s_cbranch_execz .LBB1362_435
; %bb.434:                              ;   in Loop: Header=BB1362_405 Depth=2
	s_waitcnt lgkmcnt(0)
	v_bcnt_u32_b32 v2, v2, v122
	ds_store_b32 v124, v2
.LBB1362_435:                           ;   in Loop: Header=BB1362_405 Depth=2
	s_or_b32 exec_lo, exec_lo, s17
	; wave barrier
	s_waitcnt lgkmcnt(0)
	s_barrier
	buffer_gl0_inv
	ds_load_b32 v125, v49 offset:1056
	ds_load_2addr_b32 v[8:9], v51 offset0:1 offset1:2
	ds_load_2addr_b32 v[6:7], v51 offset0:3 offset1:4
	;; [unrolled: 1-line block ×4, first 2 shown]
	s_waitcnt lgkmcnt(3)
	v_add3_u32 v126, v8, v125, v9
	s_waitcnt lgkmcnt(2)
	s_delay_alu instid0(VALU_DEP_1) | instskip(SKIP_1) | instid1(VALU_DEP_1)
	v_add3_u32 v126, v126, v6, v7
	s_waitcnt lgkmcnt(1)
	v_add3_u32 v126, v126, v2, v3
	s_waitcnt lgkmcnt(0)
	s_delay_alu instid0(VALU_DEP_1) | instskip(NEXT) | instid1(VALU_DEP_1)
	v_add3_u32 v5, v126, v4, v5
	v_mov_b32_dpp v126, v5 row_shr:1 row_mask:0xf bank_mask:0xf
	s_delay_alu instid0(VALU_DEP_1) | instskip(NEXT) | instid1(VALU_DEP_1)
	v_cndmask_b32_e64 v126, v126, 0, s1
	v_add_nc_u32_e32 v5, v126, v5
	s_delay_alu instid0(VALU_DEP_1) | instskip(NEXT) | instid1(VALU_DEP_1)
	v_mov_b32_dpp v126, v5 row_shr:2 row_mask:0xf bank_mask:0xf
	v_cndmask_b32_e64 v126, 0, v126, s7
	s_delay_alu instid0(VALU_DEP_1) | instskip(NEXT) | instid1(VALU_DEP_1)
	v_add_nc_u32_e32 v5, v5, v126
	v_mov_b32_dpp v126, v5 row_shr:4 row_mask:0xf bank_mask:0xf
	s_delay_alu instid0(VALU_DEP_1) | instskip(NEXT) | instid1(VALU_DEP_1)
	v_cndmask_b32_e64 v126, 0, v126, s8
	v_add_nc_u32_e32 v5, v5, v126
	s_delay_alu instid0(VALU_DEP_1) | instskip(NEXT) | instid1(VALU_DEP_1)
	v_mov_b32_dpp v126, v5 row_shr:8 row_mask:0xf bank_mask:0xf
	v_cndmask_b32_e64 v126, 0, v126, s9
	s_delay_alu instid0(VALU_DEP_1) | instskip(SKIP_3) | instid1(VALU_DEP_1)
	v_add_nc_u32_e32 v5, v5, v126
	ds_swizzle_b32 v126, v5 offset:swizzle(BROADCAST,32,15)
	s_waitcnt lgkmcnt(0)
	v_cndmask_b32_e64 v126, v126, 0, s10
	v_add_nc_u32_e32 v5, v5, v126
	s_and_saveexec_b32 s17, s3
	s_cbranch_execz .LBB1362_437
; %bb.436:                              ;   in Loop: Header=BB1362_405 Depth=2
	ds_store_b32 v41, v5 offset:1024
.LBB1362_437:                           ;   in Loop: Header=BB1362_405 Depth=2
	s_or_b32 exec_lo, exec_lo, s17
	s_waitcnt lgkmcnt(0)
	s_barrier
	buffer_gl0_inv
	s_and_saveexec_b32 s17, s4
	s_cbranch_execz .LBB1362_439
; %bb.438:                              ;   in Loop: Header=BB1362_405 Depth=2
	ds_load_b32 v126, v52 offset:1024
	s_waitcnt lgkmcnt(0)
	v_mov_b32_dpp v127, v126 row_shr:1 row_mask:0xf bank_mask:0xf
	s_delay_alu instid0(VALU_DEP_1) | instskip(NEXT) | instid1(VALU_DEP_1)
	v_cndmask_b32_e64 v127, v127, 0, s12
	v_add_nc_u32_e32 v126, v127, v126
	s_delay_alu instid0(VALU_DEP_1) | instskip(NEXT) | instid1(VALU_DEP_1)
	v_mov_b32_dpp v127, v126 row_shr:2 row_mask:0xf bank_mask:0xf
	v_cndmask_b32_e64 v127, 0, v127, s13
	s_delay_alu instid0(VALU_DEP_1) | instskip(NEXT) | instid1(VALU_DEP_1)
	v_add_nc_u32_e32 v126, v126, v127
	v_mov_b32_dpp v127, v126 row_shr:4 row_mask:0xf bank_mask:0xf
	s_delay_alu instid0(VALU_DEP_1) | instskip(NEXT) | instid1(VALU_DEP_1)
	v_cndmask_b32_e64 v127, 0, v127, s16
	v_add_nc_u32_e32 v126, v126, v127
	ds_store_b32 v52, v126 offset:1024
.LBB1362_439:                           ;   in Loop: Header=BB1362_405 Depth=2
	s_or_b32 exec_lo, exec_lo, s17
	v_mov_b32_e32 v126, 0
	s_waitcnt lgkmcnt(0)
	s_barrier
	buffer_gl0_inv
	s_and_saveexec_b32 s17, s5
	s_cbranch_execz .LBB1362_441
; %bb.440:                              ;   in Loop: Header=BB1362_405 Depth=2
	ds_load_b32 v126, v41 offset:1020
.LBB1362_441:                           ;   in Loop: Header=BB1362_405 Depth=2
	s_or_b32 exec_lo, exec_lo, s17
	s_waitcnt lgkmcnt(0)
	v_add_nc_u32_e32 v5, v126, v5
	ds_bpermute_b32 v5, v73, v5
	s_waitcnt lgkmcnt(0)
	v_cndmask_b32_e64 v5, v5, v126, s11
	s_delay_alu instid0(VALU_DEP_1) | instskip(NEXT) | instid1(VALU_DEP_1)
	v_cndmask_b32_e64 v5, v5, 0, s0
	v_add_nc_u32_e32 v125, v5, v125
	s_delay_alu instid0(VALU_DEP_1) | instskip(NEXT) | instid1(VALU_DEP_1)
	v_add_nc_u32_e32 v8, v125, v8
	v_add_nc_u32_e32 v9, v8, v9
	s_delay_alu instid0(VALU_DEP_1) | instskip(NEXT) | instid1(VALU_DEP_1)
	v_add_nc_u32_e32 v6, v9, v6
	;; [unrolled: 3-line block ×3, first 2 shown]
	v_add_nc_u32_e32 v3, v2, v3
	s_delay_alu instid0(VALU_DEP_1)
	v_add_nc_u32_e32 v4, v3, v4
	ds_store_b32 v49, v5 offset:1056
	ds_store_2addr_b32 v51, v125, v8 offset0:1 offset1:2
	ds_store_2addr_b32 v51, v9, v6 offset0:3 offset1:4
	;; [unrolled: 1-line block ×4, first 2 shown]
	v_mov_b32_e32 v4, 0x800
	s_waitcnt lgkmcnt(0)
	s_barrier
	buffer_gl0_inv
	ds_load_b32 v5, v101
	ds_load_b32 v6, v105
	;; [unrolled: 1-line block ×8, first 2 shown]
	ds_load_b32 v101, v49 offset:1056
	s_and_saveexec_b32 s17, s6
	s_cbranch_execz .LBB1362_443
; %bb.442:                              ;   in Loop: Header=BB1362_405 Depth=2
	ds_load_b32 v4, v53 offset:1056
.LBB1362_443:                           ;   in Loop: Header=BB1362_405 Depth=2
	s_or_b32 exec_lo, exec_lo, s17
	s_waitcnt lgkmcnt(0)
	s_barrier
	buffer_gl0_inv
	s_and_saveexec_b32 s17, s2
	s_cbranch_execz .LBB1362_445
; %bb.444:                              ;   in Loop: Header=BB1362_405 Depth=2
	ds_load_b32 v105, v31
	s_waitcnt lgkmcnt(0)
	v_sub_nc_u32_e32 v101, v105, v101
	ds_store_b32 v31, v101
.LBB1362_445:                           ;   in Loop: Header=BB1362_405 Depth=2
	s_or_b32 exec_lo, exec_lo, s17
	v_add_nc_u32_e32 v101, v97, v29
	v_add3_u32 v29, v104, v102, v6
	v_add3_u32 v7, v108, v107, v7
	v_add3_u32 v97, v99, v98, v5
	v_add3_u32 v6, v112, v111, v8
	v_add3_u32 v5, v116, v115, v9
	v_lshlrev_b32_e32 v98, 2, v101
	v_add3_u32 v8, v120, v119, v3
	v_lshlrev_b32_e32 v3, 2, v29
	v_add3_u32 v9, v123, v122, v2
	v_lshlrev_b32_e32 v2, 2, v7
	v_lshlrev_b32_e32 v99, 2, v97
	ds_store_b32 v98, v19 offset:1024
	ds_store_b32 v99, v30 offset:1024
	;; [unrolled: 1-line block ×3, first 2 shown]
	v_lshlrev_b32_e32 v3, 2, v6
	ds_store_b32 v2, v103 offset:1024
	v_lshlrev_b32_e32 v2, 2, v9
	v_cmp_lt_u32_e32 vcc_lo, v18, v0
	v_lshlrev_b32_e32 v19, 2, v5
	v_lshlrev_b32_e32 v30, 2, v8
	ds_store_b32 v3, v106 offset:1024
	ds_store_b32 v19, v110 offset:1024
	;; [unrolled: 1-line block ×4, first 2 shown]
	s_waitcnt lgkmcnt(0)
	s_barrier
	buffer_gl0_inv
	s_and_saveexec_b32 s18, vcc_lo
	s_cbranch_execz .LBB1362_453
; %bb.446:                              ;   in Loop: Header=BB1362_405 Depth=2
	ds_load_b32 v30, v52 offset:1024
	s_waitcnt lgkmcnt(0)
	v_cmp_ne_u32_e64 s17, 0x80000000, v30
	s_delay_alu instid0(VALU_DEP_1) | instskip(SKIP_1) | instid1(VALU_DEP_2)
	v_cndmask_b32_e64 v2, 0x7fffffff, v30, s17
	v_cmp_gt_i32_e64 s17, 0, v30
	v_lshrrev_b32_e32 v2, s57, v2
	s_delay_alu instid0(VALU_DEP_2) | instskip(NEXT) | instid1(VALU_DEP_2)
	v_cndmask_b32_e64 v98, 0x7fffffff, 0, s17
	v_and_b32_e32 v2, s30, v2
	s_delay_alu instid0(VALU_DEP_1) | instskip(SKIP_3) | instid1(VALU_DEP_1)
	v_lshlrev_b32_e32 v2, 2, v2
	ds_load_b32 v2, v2
	s_waitcnt lgkmcnt(0)
	v_add_nc_u32_e32 v19, v2, v18
	v_lshlrev_b64 v[2:3], 2, v[19:20]
	v_xor_b32_e32 v19, v98, v30
	s_delay_alu instid0(VALU_DEP_2) | instskip(NEXT) | instid1(VALU_DEP_1)
	v_add_co_u32 v2, s17, s46, v2
	v_add_co_ci_u32_e64 v3, s17, s47, v3, s17
	global_store_b32 v[2:3], v19, off
	s_or_b32 exec_lo, exec_lo, s18
	v_cmp_lt_u32_e64 s17, v32, v0
	s_delay_alu instid0(VALU_DEP_1)
	s_and_saveexec_b32 s19, s17
	s_cbranch_execnz .LBB1362_454
.LBB1362_447:                           ;   in Loop: Header=BB1362_405 Depth=2
	s_or_b32 exec_lo, exec_lo, s19
	v_cmp_lt_u32_e64 s18, v33, v0
	s_delay_alu instid0(VALU_DEP_1)
	s_and_saveexec_b32 s20, s18
	s_cbranch_execz .LBB1362_455
.LBB1362_448:                           ;   in Loop: Header=BB1362_405 Depth=2
	ds_load_b32 v30, v58 offset:2048
	s_waitcnt lgkmcnt(0)
	v_cmp_ne_u32_e64 s19, 0x80000000, v30
	s_delay_alu instid0(VALU_DEP_1) | instskip(SKIP_1) | instid1(VALU_DEP_2)
	v_cndmask_b32_e64 v2, 0x7fffffff, v30, s19
	v_cmp_gt_i32_e64 s19, 0, v30
	v_lshrrev_b32_e32 v2, s57, v2
	s_delay_alu instid0(VALU_DEP_2) | instskip(NEXT) | instid1(VALU_DEP_2)
	v_cndmask_b32_e64 v98, 0x7fffffff, 0, s19
	v_and_b32_e32 v2, s30, v2
	s_delay_alu instid0(VALU_DEP_1) | instskip(SKIP_3) | instid1(VALU_DEP_1)
	v_lshlrev_b32_e32 v2, 2, v2
	ds_load_b32 v2, v2
	s_waitcnt lgkmcnt(0)
	v_add_nc_u32_e32 v19, v2, v33
	v_lshlrev_b64 v[2:3], 2, v[19:20]
	v_xor_b32_e32 v19, v98, v30
	s_delay_alu instid0(VALU_DEP_2) | instskip(NEXT) | instid1(VALU_DEP_1)
	v_add_co_u32 v2, s19, s46, v2
	v_add_co_ci_u32_e64 v3, s19, s47, v3, s19
	global_store_b32 v[2:3], v19, off
	s_or_b32 exec_lo, exec_lo, s20
	v_cmp_lt_u32_e64 s19, v34, v0
	s_delay_alu instid0(VALU_DEP_1)
	s_and_saveexec_b32 s21, s19
	s_cbranch_execnz .LBB1362_456
.LBB1362_449:                           ;   in Loop: Header=BB1362_405 Depth=2
	s_or_b32 exec_lo, exec_lo, s21
	v_cmp_lt_u32_e64 s20, v38, v0
	s_delay_alu instid0(VALU_DEP_1)
	s_and_saveexec_b32 s22, s20
	s_cbranch_execz .LBB1362_457
.LBB1362_450:                           ;   in Loop: Header=BB1362_405 Depth=2
	ds_load_b32 v30, v58 offset:4096
	s_waitcnt lgkmcnt(0)
	v_cmp_ne_u32_e64 s21, 0x80000000, v30
	s_delay_alu instid0(VALU_DEP_1) | instskip(SKIP_1) | instid1(VALU_DEP_2)
	v_cndmask_b32_e64 v2, 0x7fffffff, v30, s21
	v_cmp_gt_i32_e64 s21, 0, v30
	v_lshrrev_b32_e32 v2, s57, v2
	s_delay_alu instid0(VALU_DEP_2) | instskip(NEXT) | instid1(VALU_DEP_2)
	v_cndmask_b32_e64 v98, 0x7fffffff, 0, s21
	v_and_b32_e32 v2, s30, v2
	s_delay_alu instid0(VALU_DEP_1) | instskip(SKIP_3) | instid1(VALU_DEP_1)
	v_lshlrev_b32_e32 v2, 2, v2
	ds_load_b32 v2, v2
	s_waitcnt lgkmcnt(0)
	v_add_nc_u32_e32 v19, v2, v38
	v_lshlrev_b64 v[2:3], 2, v[19:20]
	v_xor_b32_e32 v19, v98, v30
	s_delay_alu instid0(VALU_DEP_2) | instskip(NEXT) | instid1(VALU_DEP_1)
	v_add_co_u32 v2, s21, s46, v2
	v_add_co_ci_u32_e64 v3, s21, s47, v3, s21
	global_store_b32 v[2:3], v19, off
	s_or_b32 exec_lo, exec_lo, s22
	v_cmp_lt_u32_e64 s21, v39, v0
	s_delay_alu instid0(VALU_DEP_1)
	s_and_saveexec_b32 s23, s21
	s_cbranch_execnz .LBB1362_458
.LBB1362_451:                           ;   in Loop: Header=BB1362_405 Depth=2
	s_or_b32 exec_lo, exec_lo, s23
	v_cmp_lt_u32_e64 s22, v40, v0
	s_delay_alu instid0(VALU_DEP_1)
	s_and_saveexec_b32 s24, s22
	s_cbranch_execz .LBB1362_459
.LBB1362_452:                           ;   in Loop: Header=BB1362_405 Depth=2
	ds_load_b32 v30, v58 offset:6144
	s_waitcnt lgkmcnt(0)
	v_cmp_ne_u32_e64 s23, 0x80000000, v30
	s_delay_alu instid0(VALU_DEP_1) | instskip(SKIP_1) | instid1(VALU_DEP_2)
	v_cndmask_b32_e64 v2, 0x7fffffff, v30, s23
	v_cmp_gt_i32_e64 s23, 0, v30
	v_lshrrev_b32_e32 v2, s57, v2
	s_delay_alu instid0(VALU_DEP_2) | instskip(NEXT) | instid1(VALU_DEP_2)
	v_cndmask_b32_e64 v98, 0x7fffffff, 0, s23
	v_and_b32_e32 v2, s30, v2
	s_delay_alu instid0(VALU_DEP_1) | instskip(SKIP_3) | instid1(VALU_DEP_1)
	v_lshlrev_b32_e32 v2, 2, v2
	ds_load_b32 v2, v2
	s_waitcnt lgkmcnt(0)
	v_add_nc_u32_e32 v19, v2, v40
	v_lshlrev_b64 v[2:3], 2, v[19:20]
	v_xor_b32_e32 v19, v98, v30
	s_delay_alu instid0(VALU_DEP_2) | instskip(NEXT) | instid1(VALU_DEP_1)
	v_add_co_u32 v2, s23, s46, v2
	v_add_co_ci_u32_e64 v3, s23, s47, v3, s23
	global_store_b32 v[2:3], v19, off
	s_or_b32 exec_lo, exec_lo, s24
	v_cmp_lt_u32_e64 s23, v42, v0
	s_delay_alu instid0(VALU_DEP_1)
	s_and_saveexec_b32 s37, s23
	s_cbranch_execnz .LBB1362_460
	s_branch .LBB1362_461
.LBB1362_453:                           ;   in Loop: Header=BB1362_405 Depth=2
	s_or_b32 exec_lo, exec_lo, s18
	v_cmp_lt_u32_e64 s17, v32, v0
	s_delay_alu instid0(VALU_DEP_1)
	s_and_saveexec_b32 s19, s17
	s_cbranch_execz .LBB1362_447
.LBB1362_454:                           ;   in Loop: Header=BB1362_405 Depth=2
	ds_load_b32 v30, v58 offset:1024
	s_waitcnt lgkmcnt(0)
	v_cmp_ne_u32_e64 s18, 0x80000000, v30
	s_delay_alu instid0(VALU_DEP_1) | instskip(SKIP_1) | instid1(VALU_DEP_2)
	v_cndmask_b32_e64 v2, 0x7fffffff, v30, s18
	v_cmp_gt_i32_e64 s18, 0, v30
	v_lshrrev_b32_e32 v2, s57, v2
	s_delay_alu instid0(VALU_DEP_2) | instskip(NEXT) | instid1(VALU_DEP_2)
	v_cndmask_b32_e64 v98, 0x7fffffff, 0, s18
	v_and_b32_e32 v2, s30, v2
	s_delay_alu instid0(VALU_DEP_1) | instskip(SKIP_3) | instid1(VALU_DEP_1)
	v_lshlrev_b32_e32 v2, 2, v2
	ds_load_b32 v2, v2
	s_waitcnt lgkmcnt(0)
	v_add_nc_u32_e32 v19, v2, v32
	v_lshlrev_b64 v[2:3], 2, v[19:20]
	v_xor_b32_e32 v19, v98, v30
	s_delay_alu instid0(VALU_DEP_2) | instskip(NEXT) | instid1(VALU_DEP_1)
	v_add_co_u32 v2, s18, s46, v2
	v_add_co_ci_u32_e64 v3, s18, s47, v3, s18
	global_store_b32 v[2:3], v19, off
	s_or_b32 exec_lo, exec_lo, s19
	v_cmp_lt_u32_e64 s18, v33, v0
	s_delay_alu instid0(VALU_DEP_1)
	s_and_saveexec_b32 s20, s18
	s_cbranch_execnz .LBB1362_448
.LBB1362_455:                           ;   in Loop: Header=BB1362_405 Depth=2
	s_or_b32 exec_lo, exec_lo, s20
	v_cmp_lt_u32_e64 s19, v34, v0
	s_delay_alu instid0(VALU_DEP_1)
	s_and_saveexec_b32 s21, s19
	s_cbranch_execz .LBB1362_449
.LBB1362_456:                           ;   in Loop: Header=BB1362_405 Depth=2
	ds_load_b32 v30, v58 offset:3072
	s_waitcnt lgkmcnt(0)
	v_cmp_ne_u32_e64 s20, 0x80000000, v30
	s_delay_alu instid0(VALU_DEP_1) | instskip(SKIP_1) | instid1(VALU_DEP_2)
	v_cndmask_b32_e64 v2, 0x7fffffff, v30, s20
	v_cmp_gt_i32_e64 s20, 0, v30
	v_lshrrev_b32_e32 v2, s57, v2
	s_delay_alu instid0(VALU_DEP_2) | instskip(NEXT) | instid1(VALU_DEP_2)
	v_cndmask_b32_e64 v98, 0x7fffffff, 0, s20
	v_and_b32_e32 v2, s30, v2
	s_delay_alu instid0(VALU_DEP_1) | instskip(SKIP_3) | instid1(VALU_DEP_1)
	v_lshlrev_b32_e32 v2, 2, v2
	ds_load_b32 v2, v2
	s_waitcnt lgkmcnt(0)
	v_add_nc_u32_e32 v19, v2, v34
	v_lshlrev_b64 v[2:3], 2, v[19:20]
	v_xor_b32_e32 v19, v98, v30
	s_delay_alu instid0(VALU_DEP_2) | instskip(NEXT) | instid1(VALU_DEP_1)
	v_add_co_u32 v2, s20, s46, v2
	v_add_co_ci_u32_e64 v3, s20, s47, v3, s20
	global_store_b32 v[2:3], v19, off
	s_or_b32 exec_lo, exec_lo, s21
	v_cmp_lt_u32_e64 s20, v38, v0
	s_delay_alu instid0(VALU_DEP_1)
	s_and_saveexec_b32 s22, s20
	s_cbranch_execnz .LBB1362_450
.LBB1362_457:                           ;   in Loop: Header=BB1362_405 Depth=2
	s_or_b32 exec_lo, exec_lo, s22
	v_cmp_lt_u32_e64 s21, v39, v0
	s_delay_alu instid0(VALU_DEP_1)
	s_and_saveexec_b32 s23, s21
	s_cbranch_execz .LBB1362_451
.LBB1362_458:                           ;   in Loop: Header=BB1362_405 Depth=2
	ds_load_b32 v30, v58 offset:5120
	s_waitcnt lgkmcnt(0)
	v_cmp_ne_u32_e64 s22, 0x80000000, v30
	s_delay_alu instid0(VALU_DEP_1) | instskip(SKIP_1) | instid1(VALU_DEP_2)
	v_cndmask_b32_e64 v2, 0x7fffffff, v30, s22
	v_cmp_gt_i32_e64 s22, 0, v30
	v_lshrrev_b32_e32 v2, s57, v2
	s_delay_alu instid0(VALU_DEP_2) | instskip(NEXT) | instid1(VALU_DEP_2)
	v_cndmask_b32_e64 v98, 0x7fffffff, 0, s22
	v_and_b32_e32 v2, s30, v2
	s_delay_alu instid0(VALU_DEP_1) | instskip(SKIP_3) | instid1(VALU_DEP_1)
	v_lshlrev_b32_e32 v2, 2, v2
	ds_load_b32 v2, v2
	s_waitcnt lgkmcnt(0)
	v_add_nc_u32_e32 v19, v2, v39
	v_lshlrev_b64 v[2:3], 2, v[19:20]
	v_xor_b32_e32 v19, v98, v30
	s_delay_alu instid0(VALU_DEP_2) | instskip(NEXT) | instid1(VALU_DEP_1)
	v_add_co_u32 v2, s22, s46, v2
	v_add_co_ci_u32_e64 v3, s22, s47, v3, s22
	global_store_b32 v[2:3], v19, off
	s_or_b32 exec_lo, exec_lo, s23
	v_cmp_lt_u32_e64 s22, v40, v0
	s_delay_alu instid0(VALU_DEP_1)
	s_and_saveexec_b32 s24, s22
	s_cbranch_execnz .LBB1362_452
.LBB1362_459:                           ;   in Loop: Header=BB1362_405 Depth=2
	s_or_b32 exec_lo, exec_lo, s24
	v_cmp_lt_u32_e64 s23, v42, v0
	s_delay_alu instid0(VALU_DEP_1)
	s_and_saveexec_b32 s37, s23
	s_cbranch_execz .LBB1362_461
.LBB1362_460:                           ;   in Loop: Header=BB1362_405 Depth=2
	ds_load_b32 v30, v58 offset:7168
	s_waitcnt lgkmcnt(0)
	v_cmp_ne_u32_e64 s24, 0x80000000, v30
	s_delay_alu instid0(VALU_DEP_1) | instskip(SKIP_1) | instid1(VALU_DEP_2)
	v_cndmask_b32_e64 v2, 0x7fffffff, v30, s24
	v_cmp_gt_i32_e64 s24, 0, v30
	v_lshrrev_b32_e32 v2, s57, v2
	s_delay_alu instid0(VALU_DEP_2) | instskip(NEXT) | instid1(VALU_DEP_2)
	v_cndmask_b32_e64 v98, 0x7fffffff, 0, s24
	v_and_b32_e32 v2, s30, v2
	s_delay_alu instid0(VALU_DEP_1) | instskip(SKIP_3) | instid1(VALU_DEP_1)
	v_lshlrev_b32_e32 v2, 2, v2
	ds_load_b32 v2, v2
	s_waitcnt lgkmcnt(0)
	v_add_nc_u32_e32 v19, v2, v42
	v_lshlrev_b64 v[2:3], 2, v[19:20]
	v_xor_b32_e32 v19, v98, v30
	s_delay_alu instid0(VALU_DEP_2) | instskip(NEXT) | instid1(VALU_DEP_1)
	v_add_co_u32 v2, s24, s46, v2
	v_add_co_ci_u32_e64 v3, s24, s47, v3, s24
	global_store_b32 v[2:3], v19, off
.LBB1362_461:                           ;   in Loop: Header=BB1362_405 Depth=2
	s_or_b32 exec_lo, exec_lo, s37
	s_lshl_b64 s[38:39], s[26:27], 3
	s_delay_alu instid0(SALU_CYCLE_1) | instskip(NEXT) | instid1(VALU_DEP_1)
	v_add_co_u32 v2, s24, v75, s38
	v_add_co_ci_u32_e64 v3, s24, s39, v76, s24
	v_cmp_lt_u32_e64 s24, v74, v0
	s_delay_alu instid0(VALU_DEP_1) | instskip(NEXT) | instid1(SALU_CYCLE_1)
	s_and_saveexec_b32 s26, s24
	s_xor_b32 s24, exec_lo, s26
	s_cbranch_execz .LBB1362_477
; %bb.462:                              ;   in Loop: Header=BB1362_405 Depth=2
	global_load_b64 v[27:28], v[2:3], off
	s_or_b32 exec_lo, exec_lo, s24
	s_delay_alu instid0(SALU_CYCLE_1)
	s_mov_b32 s26, exec_lo
	v_cmpx_lt_u32_e64 v77, v0
	s_cbranch_execnz .LBB1362_478
.LBB1362_463:                           ;   in Loop: Header=BB1362_405 Depth=2
	s_or_b32 exec_lo, exec_lo, s26
	s_delay_alu instid0(SALU_CYCLE_1)
	s_mov_b32 s26, exec_lo
	v_cmpx_lt_u32_e64 v78, v0
	s_cbranch_execz .LBB1362_479
.LBB1362_464:                           ;   in Loop: Header=BB1362_405 Depth=2
	global_load_b64 v[23:24], v[2:3], off offset:512
	s_or_b32 exec_lo, exec_lo, s26
	s_delay_alu instid0(SALU_CYCLE_1)
	s_mov_b32 s26, exec_lo
	v_cmpx_lt_u32_e64 v79, v0
	s_cbranch_execnz .LBB1362_480
.LBB1362_465:                           ;   in Loop: Header=BB1362_405 Depth=2
	s_or_b32 exec_lo, exec_lo, s26
	s_delay_alu instid0(SALU_CYCLE_1)
	s_mov_b32 s26, exec_lo
	v_cmpx_lt_u32_e64 v80, v0
	s_cbranch_execz .LBB1362_481
.LBB1362_466:                           ;   in Loop: Header=BB1362_405 Depth=2
	global_load_b64 v[16:17], v[2:3], off offset:1024
	s_or_b32 exec_lo, exec_lo, s26
	s_delay_alu instid0(SALU_CYCLE_1)
	s_mov_b32 s26, exec_lo
	v_cmpx_lt_u32_e64 v81, v0
	s_cbranch_execnz .LBB1362_482
.LBB1362_467:                           ;   in Loop: Header=BB1362_405 Depth=2
	s_or_b32 exec_lo, exec_lo, s26
	s_delay_alu instid0(SALU_CYCLE_1)
	s_mov_b32 s26, exec_lo
	v_cmpx_lt_u32_e64 v82, v0
	s_cbranch_execz .LBB1362_483
.LBB1362_468:                           ;   in Loop: Header=BB1362_405 Depth=2
	global_load_b64 v[12:13], v[2:3], off offset:1536
	s_or_b32 exec_lo, exec_lo, s26
	s_delay_alu instid0(SALU_CYCLE_1)
	s_mov_b32 s26, exec_lo
	v_cmpx_lt_u32_e64 v83, v0
	s_cbranch_execnz .LBB1362_484
.LBB1362_469:                           ;   in Loop: Header=BB1362_405 Depth=2
	s_or_b32 exec_lo, exec_lo, s26
	s_and_saveexec_b32 s26, vcc_lo
	s_cbranch_execz .LBB1362_485
.LBB1362_470:                           ;   in Loop: Header=BB1362_405 Depth=2
	ds_load_b32 v0, v52 offset:1024
	s_waitcnt lgkmcnt(0)
	v_cmp_ne_u32_e64 s24, 0x80000000, v0
	s_delay_alu instid0(VALU_DEP_1) | instskip(NEXT) | instid1(VALU_DEP_1)
	v_cndmask_b32_e64 v0, 0x7fffffff, v0, s24
	v_lshrrev_b32_e32 v0, s57, v0
	s_delay_alu instid0(VALU_DEP_1)
	v_and_b32_e32 v96, s30, v0
	s_or_b32 exec_lo, exec_lo, s26
	s_and_saveexec_b32 s26, s17
	s_cbranch_execnz .LBB1362_486
.LBB1362_471:                           ;   in Loop: Header=BB1362_405 Depth=2
	s_or_b32 exec_lo, exec_lo, s26
	s_and_saveexec_b32 s26, s18
	s_cbranch_execz .LBB1362_487
.LBB1362_472:                           ;   in Loop: Header=BB1362_405 Depth=2
	ds_load_b32 v0, v58 offset:2048
	s_waitcnt lgkmcnt(0)
	v_cmp_ne_u32_e64 s24, 0x80000000, v0
	s_delay_alu instid0(VALU_DEP_1) | instskip(NEXT) | instid1(VALU_DEP_1)
	v_cndmask_b32_e64 v0, 0x7fffffff, v0, s24
	v_lshrrev_b32_e32 v0, s57, v0
	s_delay_alu instid0(VALU_DEP_1)
	v_and_b32_e32 v94, s30, v0
	s_or_b32 exec_lo, exec_lo, s26
	s_and_saveexec_b32 s26, s19
	s_cbranch_execnz .LBB1362_488
.LBB1362_473:                           ;   in Loop: Header=BB1362_405 Depth=2
	s_or_b32 exec_lo, exec_lo, s26
	s_and_saveexec_b32 s26, s20
	s_cbranch_execz .LBB1362_489
.LBB1362_474:                           ;   in Loop: Header=BB1362_405 Depth=2
	ds_load_b32 v0, v58 offset:4096
	s_waitcnt lgkmcnt(0)
	v_cmp_ne_u32_e64 s24, 0x80000000, v0
	s_delay_alu instid0(VALU_DEP_1) | instskip(NEXT) | instid1(VALU_DEP_1)
	v_cndmask_b32_e64 v0, 0x7fffffff, v0, s24
	v_lshrrev_b32_e32 v0, s57, v0
	s_delay_alu instid0(VALU_DEP_1)
	v_and_b32_e32 v92, s30, v0
	s_or_b32 exec_lo, exec_lo, s26
	s_and_saveexec_b32 s26, s21
	s_cbranch_execnz .LBB1362_490
.LBB1362_475:                           ;   in Loop: Header=BB1362_405 Depth=2
	s_or_b32 exec_lo, exec_lo, s26
	s_and_saveexec_b32 s26, s22
	s_cbranch_execz .LBB1362_491
.LBB1362_476:                           ;   in Loop: Header=BB1362_405 Depth=2
	ds_load_b32 v0, v58 offset:6144
	s_waitcnt lgkmcnt(0)
	v_cmp_ne_u32_e64 s24, 0x80000000, v0
	s_delay_alu instid0(VALU_DEP_1) | instskip(NEXT) | instid1(VALU_DEP_1)
	v_cndmask_b32_e64 v0, 0x7fffffff, v0, s24
	v_lshrrev_b32_e32 v0, s57, v0
	s_delay_alu instid0(VALU_DEP_1)
	v_and_b32_e32 v90, s30, v0
	s_or_b32 exec_lo, exec_lo, s26
	s_and_saveexec_b32 s26, s23
	s_cbranch_execnz .LBB1362_492
	s_branch .LBB1362_493
.LBB1362_477:                           ;   in Loop: Header=BB1362_405 Depth=2
	s_or_b32 exec_lo, exec_lo, s24
	s_delay_alu instid0(SALU_CYCLE_1)
	s_mov_b32 s26, exec_lo
	v_cmpx_lt_u32_e64 v77, v0
	s_cbranch_execz .LBB1362_463
.LBB1362_478:                           ;   in Loop: Header=BB1362_405 Depth=2
	global_load_b64 v[25:26], v[2:3], off offset:256
	s_or_b32 exec_lo, exec_lo, s26
	s_delay_alu instid0(SALU_CYCLE_1)
	s_mov_b32 s26, exec_lo
	v_cmpx_lt_u32_e64 v78, v0
	s_cbranch_execnz .LBB1362_464
.LBB1362_479:                           ;   in Loop: Header=BB1362_405 Depth=2
	s_or_b32 exec_lo, exec_lo, s26
	s_delay_alu instid0(SALU_CYCLE_1)
	s_mov_b32 s26, exec_lo
	v_cmpx_lt_u32_e64 v79, v0
	s_cbranch_execz .LBB1362_465
.LBB1362_480:                           ;   in Loop: Header=BB1362_405 Depth=2
	global_load_b64 v[21:22], v[2:3], off offset:768
	s_or_b32 exec_lo, exec_lo, s26
	s_delay_alu instid0(SALU_CYCLE_1)
	s_mov_b32 s26, exec_lo
	v_cmpx_lt_u32_e64 v80, v0
	s_cbranch_execnz .LBB1362_466
.LBB1362_481:                           ;   in Loop: Header=BB1362_405 Depth=2
	s_or_b32 exec_lo, exec_lo, s26
	s_delay_alu instid0(SALU_CYCLE_1)
	s_mov_b32 s26, exec_lo
	v_cmpx_lt_u32_e64 v81, v0
	s_cbranch_execz .LBB1362_467
.LBB1362_482:                           ;   in Loop: Header=BB1362_405 Depth=2
	global_load_b64 v[14:15], v[2:3], off offset:1280
	s_or_b32 exec_lo, exec_lo, s26
	s_delay_alu instid0(SALU_CYCLE_1)
	s_mov_b32 s26, exec_lo
	v_cmpx_lt_u32_e64 v82, v0
	s_cbranch_execnz .LBB1362_468
.LBB1362_483:                           ;   in Loop: Header=BB1362_405 Depth=2
	s_or_b32 exec_lo, exec_lo, s26
	s_delay_alu instid0(SALU_CYCLE_1)
	s_mov_b32 s26, exec_lo
	v_cmpx_lt_u32_e64 v83, v0
	s_cbranch_execz .LBB1362_469
.LBB1362_484:                           ;   in Loop: Header=BB1362_405 Depth=2
	global_load_b64 v[10:11], v[2:3], off offset:1792
	s_or_b32 exec_lo, exec_lo, s26
	s_and_saveexec_b32 s26, vcc_lo
	s_cbranch_execnz .LBB1362_470
.LBB1362_485:                           ;   in Loop: Header=BB1362_405 Depth=2
	s_or_b32 exec_lo, exec_lo, s26
	s_and_saveexec_b32 s26, s17
	s_cbranch_execz .LBB1362_471
.LBB1362_486:                           ;   in Loop: Header=BB1362_405 Depth=2
	ds_load_b32 v0, v58 offset:1024
	s_waitcnt lgkmcnt(0)
	v_cmp_ne_u32_e64 s24, 0x80000000, v0
	s_delay_alu instid0(VALU_DEP_1) | instskip(NEXT) | instid1(VALU_DEP_1)
	v_cndmask_b32_e64 v0, 0x7fffffff, v0, s24
	v_lshrrev_b32_e32 v0, s57, v0
	s_delay_alu instid0(VALU_DEP_1)
	v_and_b32_e32 v95, s30, v0
	s_or_b32 exec_lo, exec_lo, s26
	s_and_saveexec_b32 s26, s18
	s_cbranch_execnz .LBB1362_472
.LBB1362_487:                           ;   in Loop: Header=BB1362_405 Depth=2
	s_or_b32 exec_lo, exec_lo, s26
	s_and_saveexec_b32 s26, s19
	s_cbranch_execz .LBB1362_473
.LBB1362_488:                           ;   in Loop: Header=BB1362_405 Depth=2
	ds_load_b32 v0, v58 offset:3072
	s_waitcnt lgkmcnt(0)
	v_cmp_ne_u32_e64 s24, 0x80000000, v0
	s_delay_alu instid0(VALU_DEP_1) | instskip(NEXT) | instid1(VALU_DEP_1)
	v_cndmask_b32_e64 v0, 0x7fffffff, v0, s24
	v_lshrrev_b32_e32 v0, s57, v0
	s_delay_alu instid0(VALU_DEP_1)
	v_and_b32_e32 v93, s30, v0
	s_or_b32 exec_lo, exec_lo, s26
	s_and_saveexec_b32 s26, s20
	s_cbranch_execnz .LBB1362_474
.LBB1362_489:                           ;   in Loop: Header=BB1362_405 Depth=2
	s_or_b32 exec_lo, exec_lo, s26
	s_and_saveexec_b32 s26, s21
	s_cbranch_execz .LBB1362_475
.LBB1362_490:                           ;   in Loop: Header=BB1362_405 Depth=2
	ds_load_b32 v0, v58 offset:5120
	s_waitcnt lgkmcnt(0)
	v_cmp_ne_u32_e64 s24, 0x80000000, v0
	s_delay_alu instid0(VALU_DEP_1) | instskip(NEXT) | instid1(VALU_DEP_1)
	v_cndmask_b32_e64 v0, 0x7fffffff, v0, s24
	v_lshrrev_b32_e32 v0, s57, v0
	s_delay_alu instid0(VALU_DEP_1)
	v_and_b32_e32 v91, s30, v0
	s_or_b32 exec_lo, exec_lo, s26
	s_and_saveexec_b32 s26, s22
	s_cbranch_execnz .LBB1362_476
.LBB1362_491:                           ;   in Loop: Header=BB1362_405 Depth=2
	s_or_b32 exec_lo, exec_lo, s26
	s_and_saveexec_b32 s26, s23
	s_cbranch_execz .LBB1362_493
.LBB1362_492:                           ;   in Loop: Header=BB1362_405 Depth=2
	ds_load_b32 v0, v58 offset:7168
	s_waitcnt lgkmcnt(0)
	v_cmp_ne_u32_e64 s24, 0x80000000, v0
	s_delay_alu instid0(VALU_DEP_1) | instskip(NEXT) | instid1(VALU_DEP_1)
	v_cndmask_b32_e64 v0, 0x7fffffff, v0, s24
	v_lshrrev_b32_e32 v0, s57, v0
	s_delay_alu instid0(VALU_DEP_1)
	v_and_b32_e32 v89, s30, v0
.LBB1362_493:                           ;   in Loop: Header=BB1362_405 Depth=2
	s_or_b32 exec_lo, exec_lo, s26
	v_lshlrev_b32_e32 v0, 3, v101
	v_lshlrev_b32_e32 v2, 3, v97
	;; [unrolled: 1-line block ×3, first 2 shown]
	s_waitcnt vmcnt(0)
	s_waitcnt_vscnt null, 0x0
	s_barrier
	buffer_gl0_inv
	ds_store_b64 v0, v[27:28] offset:1024
	ds_store_b64 v2, v[25:26] offset:1024
	;; [unrolled: 1-line block ×3, first 2 shown]
	v_lshlrev_b32_e32 v0, 3, v7
	v_lshlrev_b32_e32 v2, 3, v6
	v_lshlrev_b32_e32 v3, 3, v5
	v_lshlrev_b32_e32 v5, 3, v8
	v_lshlrev_b32_e32 v6, 3, v9
	ds_store_b64 v0, v[21:22] offset:1024
	ds_store_b64 v2, v[16:17] offset:1024
	;; [unrolled: 1-line block ×5, first 2 shown]
	s_waitcnt lgkmcnt(0)
	s_barrier
	buffer_gl0_inv
	s_and_saveexec_b32 s24, vcc_lo
	s_cbranch_execz .LBB1362_501
; %bb.494:                              ;   in Loop: Header=BB1362_405 Depth=2
	v_lshlrev_b32_e32 v0, 2, v96
	v_add_nc_u32_e32 v2, v52, v31
	ds_load_b32 v0, v0
	ds_load_b64 v[2:3], v2 offset:1024
	s_waitcnt lgkmcnt(1)
	v_add_nc_u32_e32 v19, v0, v18
	s_delay_alu instid0(VALU_DEP_1) | instskip(NEXT) | instid1(VALU_DEP_1)
	v_lshlrev_b64 v[5:6], 3, v[19:20]
	v_add_co_u32 v5, vcc_lo, s52, v5
	s_delay_alu instid0(VALU_DEP_2)
	v_add_co_ci_u32_e32 v6, vcc_lo, s53, v6, vcc_lo
	s_waitcnt lgkmcnt(0)
	global_store_b64 v[5:6], v[2:3], off
	s_or_b32 exec_lo, exec_lo, s24
	s_and_saveexec_b32 s24, s17
	s_cbranch_execnz .LBB1362_502
.LBB1362_495:                           ;   in Loop: Header=BB1362_405 Depth=2
	s_or_b32 exec_lo, exec_lo, s24
	s_and_saveexec_b32 s17, s18
	s_cbranch_execz .LBB1362_503
.LBB1362_496:                           ;   in Loop: Header=BB1362_405 Depth=2
	v_lshlrev_b32_e32 v0, 2, v94
	v_add_nc_u32_e32 v2, v58, v31
	ds_load_b32 v0, v0
	ds_load_b64 v[2:3], v2 offset:4096
	s_waitcnt lgkmcnt(1)
	v_add_nc_u32_e32 v19, v0, v33
	s_delay_alu instid0(VALU_DEP_1) | instskip(NEXT) | instid1(VALU_DEP_1)
	v_lshlrev_b64 v[5:6], 3, v[19:20]
	v_add_co_u32 v5, vcc_lo, s52, v5
	s_delay_alu instid0(VALU_DEP_2)
	v_add_co_ci_u32_e32 v6, vcc_lo, s53, v6, vcc_lo
	s_waitcnt lgkmcnt(0)
	global_store_b64 v[5:6], v[2:3], off
	s_or_b32 exec_lo, exec_lo, s17
	s_and_saveexec_b32 s17, s19
	s_cbranch_execnz .LBB1362_504
.LBB1362_497:                           ;   in Loop: Header=BB1362_405 Depth=2
	s_or_b32 exec_lo, exec_lo, s17
	s_and_saveexec_b32 s17, s20
	s_cbranch_execz .LBB1362_505
.LBB1362_498:                           ;   in Loop: Header=BB1362_405 Depth=2
	v_lshlrev_b32_e32 v0, 2, v92
	v_add_nc_u32_e32 v2, v58, v31
	ds_load_b32 v0, v0
	ds_load_b64 v[2:3], v2 offset:8192
	s_waitcnt lgkmcnt(1)
	v_add_nc_u32_e32 v19, v0, v38
	s_delay_alu instid0(VALU_DEP_1) | instskip(NEXT) | instid1(VALU_DEP_1)
	v_lshlrev_b64 v[5:6], 3, v[19:20]
	v_add_co_u32 v5, vcc_lo, s52, v5
	s_delay_alu instid0(VALU_DEP_2)
	v_add_co_ci_u32_e32 v6, vcc_lo, s53, v6, vcc_lo
	s_waitcnt lgkmcnt(0)
	global_store_b64 v[5:6], v[2:3], off
	s_or_b32 exec_lo, exec_lo, s17
	s_and_saveexec_b32 s17, s21
	s_cbranch_execnz .LBB1362_506
.LBB1362_499:                           ;   in Loop: Header=BB1362_405 Depth=2
	s_or_b32 exec_lo, exec_lo, s17
	s_and_saveexec_b32 s17, s22
	s_cbranch_execz .LBB1362_507
.LBB1362_500:                           ;   in Loop: Header=BB1362_405 Depth=2
	v_lshlrev_b32_e32 v0, 2, v90
	v_add_nc_u32_e32 v2, v58, v31
	ds_load_b32 v0, v0
	ds_load_b64 v[2:3], v2 offset:12288
	s_waitcnt lgkmcnt(1)
	v_add_nc_u32_e32 v19, v0, v40
	s_delay_alu instid0(VALU_DEP_1) | instskip(NEXT) | instid1(VALU_DEP_1)
	v_lshlrev_b64 v[5:6], 3, v[19:20]
	v_add_co_u32 v5, vcc_lo, s52, v5
	s_delay_alu instid0(VALU_DEP_2)
	v_add_co_ci_u32_e32 v6, vcc_lo, s53, v6, vcc_lo
	s_waitcnt lgkmcnt(0)
	global_store_b64 v[5:6], v[2:3], off
	s_or_b32 exec_lo, exec_lo, s17
	s_and_saveexec_b32 s17, s23
	s_cbranch_execnz .LBB1362_508
	s_branch .LBB1362_509
.LBB1362_501:                           ;   in Loop: Header=BB1362_405 Depth=2
	s_or_b32 exec_lo, exec_lo, s24
	s_and_saveexec_b32 s24, s17
	s_cbranch_execz .LBB1362_495
.LBB1362_502:                           ;   in Loop: Header=BB1362_405 Depth=2
	v_lshlrev_b32_e32 v0, 2, v95
	v_add_nc_u32_e32 v2, v58, v31
	ds_load_b32 v0, v0
	ds_load_b64 v[2:3], v2 offset:2048
	s_waitcnt lgkmcnt(1)
	v_add_nc_u32_e32 v19, v0, v32
	s_delay_alu instid0(VALU_DEP_1) | instskip(NEXT) | instid1(VALU_DEP_1)
	v_lshlrev_b64 v[5:6], 3, v[19:20]
	v_add_co_u32 v5, vcc_lo, s52, v5
	s_delay_alu instid0(VALU_DEP_2)
	v_add_co_ci_u32_e32 v6, vcc_lo, s53, v6, vcc_lo
	s_waitcnt lgkmcnt(0)
	global_store_b64 v[5:6], v[2:3], off
	s_or_b32 exec_lo, exec_lo, s24
	s_and_saveexec_b32 s17, s18
	s_cbranch_execnz .LBB1362_496
.LBB1362_503:                           ;   in Loop: Header=BB1362_405 Depth=2
	s_or_b32 exec_lo, exec_lo, s17
	s_and_saveexec_b32 s17, s19
	s_cbranch_execz .LBB1362_497
.LBB1362_504:                           ;   in Loop: Header=BB1362_405 Depth=2
	v_lshlrev_b32_e32 v0, 2, v93
	v_add_nc_u32_e32 v2, v58, v31
	ds_load_b32 v0, v0
	ds_load_b64 v[2:3], v2 offset:6144
	s_waitcnt lgkmcnt(1)
	v_add_nc_u32_e32 v19, v0, v34
	s_delay_alu instid0(VALU_DEP_1) | instskip(NEXT) | instid1(VALU_DEP_1)
	v_lshlrev_b64 v[5:6], 3, v[19:20]
	v_add_co_u32 v5, vcc_lo, s52, v5
	s_delay_alu instid0(VALU_DEP_2)
	v_add_co_ci_u32_e32 v6, vcc_lo, s53, v6, vcc_lo
	s_waitcnt lgkmcnt(0)
	global_store_b64 v[5:6], v[2:3], off
	s_or_b32 exec_lo, exec_lo, s17
	s_and_saveexec_b32 s17, s20
	s_cbranch_execnz .LBB1362_498
.LBB1362_505:                           ;   in Loop: Header=BB1362_405 Depth=2
	s_or_b32 exec_lo, exec_lo, s17
	s_and_saveexec_b32 s17, s21
	s_cbranch_execz .LBB1362_499
.LBB1362_506:                           ;   in Loop: Header=BB1362_405 Depth=2
	v_lshlrev_b32_e32 v0, 2, v91
	v_add_nc_u32_e32 v2, v58, v31
	ds_load_b32 v0, v0
	ds_load_b64 v[2:3], v2 offset:10240
	s_waitcnt lgkmcnt(1)
	v_add_nc_u32_e32 v19, v0, v39
	s_delay_alu instid0(VALU_DEP_1) | instskip(NEXT) | instid1(VALU_DEP_1)
	v_lshlrev_b64 v[5:6], 3, v[19:20]
	v_add_co_u32 v5, vcc_lo, s52, v5
	s_delay_alu instid0(VALU_DEP_2)
	v_add_co_ci_u32_e32 v6, vcc_lo, s53, v6, vcc_lo
	s_waitcnt lgkmcnt(0)
	global_store_b64 v[5:6], v[2:3], off
	s_or_b32 exec_lo, exec_lo, s17
	s_and_saveexec_b32 s17, s22
	s_cbranch_execnz .LBB1362_500
.LBB1362_507:                           ;   in Loop: Header=BB1362_405 Depth=2
	s_or_b32 exec_lo, exec_lo, s17
	s_and_saveexec_b32 s17, s23
	s_cbranch_execz .LBB1362_509
.LBB1362_508:                           ;   in Loop: Header=BB1362_405 Depth=2
	v_lshlrev_b32_e32 v0, 2, v89
	v_add_nc_u32_e32 v2, v58, v31
	ds_load_b32 v0, v0
	ds_load_b64 v[2:3], v2 offset:14336
	s_waitcnt lgkmcnt(1)
	v_add_nc_u32_e32 v19, v0, v42
	s_delay_alu instid0(VALU_DEP_1) | instskip(NEXT) | instid1(VALU_DEP_1)
	v_lshlrev_b64 v[5:6], 3, v[19:20]
	v_add_co_u32 v5, vcc_lo, s52, v5
	s_delay_alu instid0(VALU_DEP_2)
	v_add_co_ci_u32_e32 v6, vcc_lo, s53, v6, vcc_lo
	s_waitcnt lgkmcnt(0)
	global_store_b64 v[5:6], v[2:3], off
.LBB1362_509:                           ;   in Loop: Header=BB1362_405 Depth=2
	s_or_b32 exec_lo, exec_lo, s17
	s_waitcnt_vscnt null, 0x0
	s_barrier
	buffer_gl0_inv
	s_and_saveexec_b32 s17, s2
	s_cbranch_execz .LBB1362_404
; %bb.510:                              ;   in Loop: Header=BB1362_405 Depth=2
	ds_load_b32 v0, v31
	s_waitcnt lgkmcnt(0)
	v_add_nc_u32_e32 v0, v0, v4
	ds_store_b32 v31, v0
	s_branch .LBB1362_404
.LBB1362_511:                           ;   in Loop: Header=BB1362_405 Depth=2
	s_or_b32 exec_lo, exec_lo, s17
	s_delay_alu instid0(SALU_CYCLE_1)
	s_mov_b32 s17, exec_lo
	v_cmpx_gt_u32_e64 s31, v77
	s_cbranch_execz .LBB1362_410
.LBB1362_512:                           ;   in Loop: Header=BB1362_405 Depth=2
	global_load_b32 v3, v[29:30], off offset:128
	s_or_b32 exec_lo, exec_lo, s17
	s_delay_alu instid0(SALU_CYCLE_1)
	s_mov_b32 s17, exec_lo
	v_cmpx_gt_u32_e64 s31, v78
	s_cbranch_execnz .LBB1362_411
.LBB1362_513:                           ;   in Loop: Header=BB1362_405 Depth=2
	s_or_b32 exec_lo, exec_lo, s17
	s_delay_alu instid0(SALU_CYCLE_1)
	s_mov_b32 s17, exec_lo
	v_cmpx_gt_u32_e64 s31, v79
	s_cbranch_execz .LBB1362_412
.LBB1362_514:                           ;   in Loop: Header=BB1362_405 Depth=2
	global_load_b32 v5, v[29:30], off offset:384
	s_or_b32 exec_lo, exec_lo, s17
	s_delay_alu instid0(SALU_CYCLE_1)
	s_mov_b32 s17, exec_lo
	v_cmpx_gt_u32_e64 s31, v80
	s_cbranch_execnz .LBB1362_413
.LBB1362_515:                           ;   in Loop: Header=BB1362_405 Depth=2
	s_or_b32 exec_lo, exec_lo, s17
	s_delay_alu instid0(SALU_CYCLE_1)
	s_mov_b32 s17, exec_lo
	v_cmpx_gt_u32_e64 s31, v81
	s_cbranch_execz .LBB1362_414
.LBB1362_516:                           ;   in Loop: Header=BB1362_405 Depth=2
	global_load_b32 v7, v[29:30], off offset:640
	s_or_b32 exec_lo, exec_lo, s17
	s_delay_alu instid0(SALU_CYCLE_1)
	s_mov_b32 s17, exec_lo
	v_cmpx_gt_u32_e64 s31, v82
	s_cbranch_execnz .LBB1362_415
	s_branch .LBB1362_416
.LBB1362_517:                           ;   in Loop: Header=BB1362_17 Depth=1
	s_waitcnt lgkmcnt(0)
	s_mov_b32 s1, 0
	s_barrier
.LBB1362_518:                           ;   in Loop: Header=BB1362_17 Depth=1
	s_and_b32 vcc_lo, exec_lo, s1
	s_cbranch_vccz .LBB1362_16
; %bb.519:                              ;   in Loop: Header=BB1362_17 Depth=1
	s_mov_b32 s1, s59
	s_mov_b32 s26, s33
	s_barrier
	buffer_gl0_inv
                                        ; implicit-def: $vgpr2_vgpr3_vgpr4_vgpr5_vgpr6_vgpr7_vgpr8_vgpr9
	s_branch .LBB1362_521
.LBB1362_520:                           ;   in Loop: Header=BB1362_521 Depth=2
	s_or_b32 exec_lo, exec_lo, s8
	s_addk_i32 s1, 0xf800
	s_cmp_ge_u32 s7, s34
	s_mov_b32 s26, s7
	s_cbranch_scc1 .LBB1362_559
.LBB1362_521:                           ;   Parent Loop BB1362_17 Depth=1
                                        ; =>  This Inner Loop Header: Depth=2
	s_add_i32 s7, s26, 0x800
	s_delay_alu instid0(SALU_CYCLE_1)
	s_cmp_gt_u32 s7, s34
	s_cbranch_scc1 .LBB1362_524
; %bb.522:                              ;   in Loop: Header=BB1362_521 Depth=2
	s_mov_b32 s9, 0
	s_mov_b32 s8, s26
	s_delay_alu instid0(SALU_CYCLE_1) | instskip(NEXT) | instid1(SALU_CYCLE_1)
	s_lshl_b64 s[10:11], s[8:9], 2
	v_add_co_u32 v21, vcc_lo, v65, s10
	v_add_co_ci_u32_e32 v22, vcc_lo, s11, v66, vcc_lo
	s_mov_b32 s10, -1
	s_waitcnt vmcnt(0)
	s_delay_alu instid0(VALU_DEP_2) | instskip(NEXT) | instid1(VALU_DEP_2)
	v_add_co_u32 v16, vcc_lo, 0x1000, v21
	v_add_co_ci_u32_e32 v17, vcc_lo, 0, v22, vcc_lo
	s_clause 0x6
	global_load_b32 v10, v[21:22], off
	global_load_b32 v11, v[21:22], off offset:1024
	global_load_b32 v12, v[21:22], off offset:2048
	;; [unrolled: 1-line block ×3, first 2 shown]
	global_load_b32 v14, v[16:17], off
	global_load_b32 v15, v[16:17], off offset:1024
	global_load_b32 v16, v[16:17], off offset:2048
	v_add_co_u32 v21, vcc_lo, 0x1c00, v21
	v_add_co_ci_u32_e32 v22, vcc_lo, 0, v22, vcc_lo
	s_movk_i32 s11, 0x800
	s_cbranch_execz .LBB1362_525
; %bb.523:                              ;   in Loop: Header=BB1362_521 Depth=2
                                        ; implicit-def: $vgpr2_vgpr3_vgpr4_vgpr5_vgpr6_vgpr7_vgpr8_vgpr9
	v_mov_b32_e32 v0, s1
	s_and_saveexec_b32 s8, s10
	s_cbranch_execnz .LBB1362_536
	s_branch .LBB1362_537
.LBB1362_524:                           ;   in Loop: Header=BB1362_521 Depth=2
	s_mov_b32 s10, 0
                                        ; implicit-def: $sgpr11
                                        ; implicit-def: $vgpr10_vgpr11_vgpr12_vgpr13_vgpr14_vgpr15_vgpr16_vgpr17
                                        ; implicit-def: $vgpr21_vgpr22
.LBB1362_525:                           ;   in Loop: Header=BB1362_521 Depth=2
	s_lshl_b64 s[8:9], s[26:27], 2
	v_lshlrev_b32_e32 v0, 2, v18
	s_add_u32 s8, s44, s8
	s_addc_u32 s9, s45, s9
	s_mov_b32 s11, exec_lo
	v_cmpx_gt_u32_e64 s1, v18
	s_cbranch_execz .LBB1362_553
; %bb.526:                              ;   in Loop: Header=BB1362_521 Depth=2
	global_load_b32 v2, v0, s[8:9]
	s_or_b32 exec_lo, exec_lo, s11
	s_delay_alu instid0(SALU_CYCLE_1)
	s_mov_b32 s11, exec_lo
	v_cmpx_gt_u32_e64 s1, v32
	s_cbranch_execnz .LBB1362_554
.LBB1362_527:                           ;   in Loop: Header=BB1362_521 Depth=2
	s_or_b32 exec_lo, exec_lo, s11
	s_delay_alu instid0(SALU_CYCLE_1)
	s_mov_b32 s11, exec_lo
	v_cmpx_gt_u32_e64 s1, v33
	s_cbranch_execz .LBB1362_555
.LBB1362_528:                           ;   in Loop: Header=BB1362_521 Depth=2
	global_load_b32 v4, v0, s[8:9] offset:2048
	s_or_b32 exec_lo, exec_lo, s11
	s_delay_alu instid0(SALU_CYCLE_1)
	s_mov_b32 s11, exec_lo
	v_cmpx_gt_u32_e64 s1, v34
	s_cbranch_execnz .LBB1362_556
.LBB1362_529:                           ;   in Loop: Header=BB1362_521 Depth=2
	s_or_b32 exec_lo, exec_lo, s11
	s_delay_alu instid0(SALU_CYCLE_1)
	s_mov_b32 s11, exec_lo
	v_cmpx_gt_u32_e64 s1, v38
	s_cbranch_execz .LBB1362_557
.LBB1362_530:                           ;   in Loop: Header=BB1362_521 Depth=2
	v_lshlrev_b32_e32 v0, 2, v38
	global_load_b32 v6, v0, s[8:9]
	s_or_b32 exec_lo, exec_lo, s11
	s_delay_alu instid0(SALU_CYCLE_1)
	s_mov_b32 s11, exec_lo
	v_cmpx_gt_u32_e64 s1, v39
	s_cbranch_execnz .LBB1362_558
.LBB1362_531:                           ;   in Loop: Header=BB1362_521 Depth=2
	s_or_b32 exec_lo, exec_lo, s11
	s_delay_alu instid0(SALU_CYCLE_1)
	s_mov_b32 s11, exec_lo
	v_cmpx_gt_u32_e64 s1, v40
	s_cbranch_execz .LBB1362_533
.LBB1362_532:                           ;   in Loop: Header=BB1362_521 Depth=2
	v_lshlrev_b32_e32 v0, 2, v40
	global_load_b32 v8, v0, s[8:9]
.LBB1362_533:                           ;   in Loop: Header=BB1362_521 Depth=2
	s_or_b32 exec_lo, exec_lo, s11
	s_delay_alu instid0(SALU_CYCLE_1)
	s_mov_b32 s12, exec_lo
                                        ; implicit-def: $sgpr11
                                        ; implicit-def: $vgpr21_vgpr22
	v_cmpx_gt_u32_e64 s1, v42
; %bb.534:                              ;   in Loop: Header=BB1362_521 Depth=2
	v_lshlrev_b32_e32 v0, 2, v42
	s_sub_i32 s11, s34, s26
	s_or_b32 s10, s10, exec_lo
	s_delay_alu instid0(VALU_DEP_1) | instskip(NEXT) | instid1(VALU_DEP_1)
	v_add_co_u32 v21, s8, s8, v0
	v_add_co_ci_u32_e64 v22, null, s9, 0, s8
; %bb.535:                              ;   in Loop: Header=BB1362_521 Depth=2
	s_or_b32 exec_lo, exec_lo, s12
	s_waitcnt vmcnt(0)
	v_dual_mov_b32 v17, v9 :: v_dual_mov_b32 v16, v8
	v_dual_mov_b32 v15, v7 :: v_dual_mov_b32 v14, v6
	;; [unrolled: 1-line block ×4, first 2 shown]
	v_mov_b32_e32 v0, s1
	s_and_saveexec_b32 s8, s10
	s_cbranch_execz .LBB1362_537
.LBB1362_536:                           ;   in Loop: Header=BB1362_521 Depth=2
	global_load_b32 v17, v[21:22], off
	s_waitcnt vmcnt(0)
	v_dual_mov_b32 v2, v10 :: v_dual_mov_b32 v5, v13
	v_dual_mov_b32 v0, s11 :: v_dual_mov_b32 v3, v11
	;; [unrolled: 1-line block ×3, first 2 shown]
	v_mov_b32_e32 v6, v14
	v_dual_mov_b32 v8, v16 :: v_dual_mov_b32 v9, v17
.LBB1362_537:                           ;   in Loop: Header=BB1362_521 Depth=2
	s_or_b32 exec_lo, exec_lo, s8
	s_waitcnt vmcnt(6)
	v_lshlrev_b32_e32 v10, 2, v35
	s_mov_b32 s8, exec_lo
	v_cmpx_lt_u32_e64 v18, v0
	s_cbranch_execz .LBB1362_545
; %bb.538:                              ;   in Loop: Header=BB1362_521 Depth=2
	v_cmp_gt_i32_e32 vcc_lo, 0, v2
	s_waitcnt vmcnt(5)
	v_cndmask_b32_e64 v11, 0x7fffffff, 0, vcc_lo
	s_delay_alu instid0(VALU_DEP_1) | instskip(NEXT) | instid1(VALU_DEP_1)
	v_xor_b32_e32 v11, v11, v2
	v_cmp_ne_u32_e32 vcc_lo, 0x80000000, v11
	v_cndmask_b32_e32 v11, 0x7fffffff, v11, vcc_lo
	s_delay_alu instid0(VALU_DEP_1) | instskip(NEXT) | instid1(VALU_DEP_1)
	v_lshrrev_b32_e32 v11, s57, v11
	v_and_b32_e32 v11, s30, v11
	s_delay_alu instid0(VALU_DEP_1) | instskip(SKIP_2) | instid1(SALU_CYCLE_1)
	v_lshl_or_b32 v11, v11, 4, v10
	ds_add_u32 v11, v71
	s_or_b32 exec_lo, exec_lo, s8
	s_mov_b32 s8, exec_lo
	v_cmpx_lt_u32_e64 v32, v0
	s_cbranch_execnz .LBB1362_546
.LBB1362_539:                           ;   in Loop: Header=BB1362_521 Depth=2
	s_or_b32 exec_lo, exec_lo, s8
	s_delay_alu instid0(SALU_CYCLE_1)
	s_mov_b32 s8, exec_lo
	v_cmpx_lt_u32_e64 v33, v0
	s_cbranch_execz .LBB1362_547
.LBB1362_540:                           ;   in Loop: Header=BB1362_521 Depth=2
	v_cmp_gt_i32_e32 vcc_lo, 0, v4
	s_waitcnt vmcnt(5)
	v_cndmask_b32_e64 v11, 0x7fffffff, 0, vcc_lo
	s_delay_alu instid0(VALU_DEP_1) | instskip(NEXT) | instid1(VALU_DEP_1)
	v_xor_b32_e32 v11, v11, v4
	v_cmp_ne_u32_e32 vcc_lo, 0x80000000, v11
	v_cndmask_b32_e32 v11, 0x7fffffff, v11, vcc_lo
	s_delay_alu instid0(VALU_DEP_1) | instskip(NEXT) | instid1(VALU_DEP_1)
	v_lshrrev_b32_e32 v11, s57, v11
	v_and_b32_e32 v11, s30, v11
	s_delay_alu instid0(VALU_DEP_1) | instskip(SKIP_2) | instid1(SALU_CYCLE_1)
	v_lshl_or_b32 v11, v11, 4, v10
	ds_add_u32 v11, v71
	s_or_b32 exec_lo, exec_lo, s8
	s_mov_b32 s8, exec_lo
	v_cmpx_lt_u32_e64 v34, v0
	s_cbranch_execnz .LBB1362_548
.LBB1362_541:                           ;   in Loop: Header=BB1362_521 Depth=2
	s_or_b32 exec_lo, exec_lo, s8
	s_delay_alu instid0(SALU_CYCLE_1)
	s_mov_b32 s8, exec_lo
	v_cmpx_lt_u32_e64 v38, v0
	s_cbranch_execz .LBB1362_549
.LBB1362_542:                           ;   in Loop: Header=BB1362_521 Depth=2
	v_cmp_gt_i32_e32 vcc_lo, 0, v6
	s_waitcnt vmcnt(5)
	v_cndmask_b32_e64 v11, 0x7fffffff, 0, vcc_lo
	s_delay_alu instid0(VALU_DEP_1) | instskip(NEXT) | instid1(VALU_DEP_1)
	v_xor_b32_e32 v11, v11, v6
	v_cmp_ne_u32_e32 vcc_lo, 0x80000000, v11
	v_cndmask_b32_e32 v11, 0x7fffffff, v11, vcc_lo
	s_delay_alu instid0(VALU_DEP_1) | instskip(NEXT) | instid1(VALU_DEP_1)
	v_lshrrev_b32_e32 v11, s57, v11
	v_and_b32_e32 v11, s30, v11
	s_delay_alu instid0(VALU_DEP_1) | instskip(SKIP_2) | instid1(SALU_CYCLE_1)
	v_lshl_or_b32 v11, v11, 4, v10
	ds_add_u32 v11, v71
	s_or_b32 exec_lo, exec_lo, s8
	s_mov_b32 s8, exec_lo
	v_cmpx_lt_u32_e64 v39, v0
	s_cbranch_execnz .LBB1362_550
.LBB1362_543:                           ;   in Loop: Header=BB1362_521 Depth=2
	s_or_b32 exec_lo, exec_lo, s8
	s_delay_alu instid0(SALU_CYCLE_1)
	s_mov_b32 s8, exec_lo
	v_cmpx_lt_u32_e64 v40, v0
	s_cbranch_execz .LBB1362_551
.LBB1362_544:                           ;   in Loop: Header=BB1362_521 Depth=2
	v_cmp_gt_i32_e32 vcc_lo, 0, v8
	s_waitcnt vmcnt(5)
	v_cndmask_b32_e64 v11, 0x7fffffff, 0, vcc_lo
	s_delay_alu instid0(VALU_DEP_1) | instskip(NEXT) | instid1(VALU_DEP_1)
	v_xor_b32_e32 v11, v11, v8
	v_cmp_ne_u32_e32 vcc_lo, 0x80000000, v11
	v_cndmask_b32_e32 v11, 0x7fffffff, v11, vcc_lo
	s_delay_alu instid0(VALU_DEP_1) | instskip(NEXT) | instid1(VALU_DEP_1)
	v_lshrrev_b32_e32 v11, s57, v11
	v_and_b32_e32 v11, s30, v11
	s_delay_alu instid0(VALU_DEP_1) | instskip(SKIP_2) | instid1(SALU_CYCLE_1)
	v_lshl_or_b32 v11, v11, 4, v10
	ds_add_u32 v11, v71
	s_or_b32 exec_lo, exec_lo, s8
	s_mov_b32 s8, exec_lo
	v_cmpx_lt_u32_e64 v42, v0
	s_cbranch_execz .LBB1362_520
	s_branch .LBB1362_552
.LBB1362_545:                           ;   in Loop: Header=BB1362_521 Depth=2
	s_or_b32 exec_lo, exec_lo, s8
	s_delay_alu instid0(SALU_CYCLE_1)
	s_mov_b32 s8, exec_lo
	v_cmpx_lt_u32_e64 v32, v0
	s_cbranch_execz .LBB1362_539
.LBB1362_546:                           ;   in Loop: Header=BB1362_521 Depth=2
	v_cmp_gt_i32_e32 vcc_lo, 0, v3
	s_waitcnt vmcnt(5)
	v_cndmask_b32_e64 v11, 0x7fffffff, 0, vcc_lo
	s_delay_alu instid0(VALU_DEP_1) | instskip(NEXT) | instid1(VALU_DEP_1)
	v_xor_b32_e32 v11, v11, v3
	v_cmp_ne_u32_e32 vcc_lo, 0x80000000, v11
	v_cndmask_b32_e32 v11, 0x7fffffff, v11, vcc_lo
	s_delay_alu instid0(VALU_DEP_1) | instskip(NEXT) | instid1(VALU_DEP_1)
	v_lshrrev_b32_e32 v11, s57, v11
	v_and_b32_e32 v11, s30, v11
	s_delay_alu instid0(VALU_DEP_1) | instskip(SKIP_2) | instid1(SALU_CYCLE_1)
	v_lshl_or_b32 v11, v11, 4, v10
	ds_add_u32 v11, v71
	s_or_b32 exec_lo, exec_lo, s8
	s_mov_b32 s8, exec_lo
	v_cmpx_lt_u32_e64 v33, v0
	s_cbranch_execnz .LBB1362_540
.LBB1362_547:                           ;   in Loop: Header=BB1362_521 Depth=2
	s_or_b32 exec_lo, exec_lo, s8
	s_delay_alu instid0(SALU_CYCLE_1)
	s_mov_b32 s8, exec_lo
	v_cmpx_lt_u32_e64 v34, v0
	s_cbranch_execz .LBB1362_541
.LBB1362_548:                           ;   in Loop: Header=BB1362_521 Depth=2
	v_cmp_gt_i32_e32 vcc_lo, 0, v5
	s_waitcnt vmcnt(5)
	v_cndmask_b32_e64 v11, 0x7fffffff, 0, vcc_lo
	s_delay_alu instid0(VALU_DEP_1) | instskip(NEXT) | instid1(VALU_DEP_1)
	v_xor_b32_e32 v11, v11, v5
	v_cmp_ne_u32_e32 vcc_lo, 0x80000000, v11
	v_cndmask_b32_e32 v11, 0x7fffffff, v11, vcc_lo
	s_delay_alu instid0(VALU_DEP_1) | instskip(NEXT) | instid1(VALU_DEP_1)
	v_lshrrev_b32_e32 v11, s57, v11
	v_and_b32_e32 v11, s30, v11
	s_delay_alu instid0(VALU_DEP_1) | instskip(SKIP_2) | instid1(SALU_CYCLE_1)
	v_lshl_or_b32 v11, v11, 4, v10
	ds_add_u32 v11, v71
	s_or_b32 exec_lo, exec_lo, s8
	s_mov_b32 s8, exec_lo
	v_cmpx_lt_u32_e64 v38, v0
	s_cbranch_execnz .LBB1362_542
.LBB1362_549:                           ;   in Loop: Header=BB1362_521 Depth=2
	s_or_b32 exec_lo, exec_lo, s8
	s_delay_alu instid0(SALU_CYCLE_1)
	s_mov_b32 s8, exec_lo
	v_cmpx_lt_u32_e64 v39, v0
	s_cbranch_execz .LBB1362_543
.LBB1362_550:                           ;   in Loop: Header=BB1362_521 Depth=2
	v_cmp_gt_i32_e32 vcc_lo, 0, v7
	s_waitcnt vmcnt(5)
	v_cndmask_b32_e64 v11, 0x7fffffff, 0, vcc_lo
	s_delay_alu instid0(VALU_DEP_1) | instskip(NEXT) | instid1(VALU_DEP_1)
	v_xor_b32_e32 v11, v11, v7
	v_cmp_ne_u32_e32 vcc_lo, 0x80000000, v11
	v_cndmask_b32_e32 v11, 0x7fffffff, v11, vcc_lo
	s_delay_alu instid0(VALU_DEP_1) | instskip(NEXT) | instid1(VALU_DEP_1)
	v_lshrrev_b32_e32 v11, s57, v11
	v_and_b32_e32 v11, s30, v11
	s_delay_alu instid0(VALU_DEP_1) | instskip(SKIP_2) | instid1(SALU_CYCLE_1)
	v_lshl_or_b32 v11, v11, 4, v10
	ds_add_u32 v11, v71
	s_or_b32 exec_lo, exec_lo, s8
	s_mov_b32 s8, exec_lo
	v_cmpx_lt_u32_e64 v40, v0
	s_cbranch_execnz .LBB1362_544
.LBB1362_551:                           ;   in Loop: Header=BB1362_521 Depth=2
	s_or_b32 exec_lo, exec_lo, s8
	s_delay_alu instid0(SALU_CYCLE_1)
	s_mov_b32 s8, exec_lo
	v_cmpx_lt_u32_e64 v42, v0
	s_cbranch_execz .LBB1362_520
.LBB1362_552:                           ;   in Loop: Header=BB1362_521 Depth=2
	v_cmp_gt_i32_e32 vcc_lo, 0, v9
	v_cndmask_b32_e64 v0, 0x7fffffff, 0, vcc_lo
	s_delay_alu instid0(VALU_DEP_1) | instskip(NEXT) | instid1(VALU_DEP_1)
	v_xor_b32_e32 v0, v0, v9
	v_cmp_ne_u32_e32 vcc_lo, 0x80000000, v0
	v_cndmask_b32_e32 v0, 0x7fffffff, v0, vcc_lo
	s_delay_alu instid0(VALU_DEP_1) | instskip(NEXT) | instid1(VALU_DEP_1)
	v_lshrrev_b32_e32 v0, s57, v0
	v_and_b32_e32 v0, s30, v0
	s_delay_alu instid0(VALU_DEP_1)
	v_lshl_or_b32 v0, v0, 4, v10
	ds_add_u32 v0, v71
	s_branch .LBB1362_520
.LBB1362_553:                           ;   in Loop: Header=BB1362_521 Depth=2
	s_or_b32 exec_lo, exec_lo, s11
	s_delay_alu instid0(SALU_CYCLE_1)
	s_mov_b32 s11, exec_lo
	v_cmpx_gt_u32_e64 s1, v32
	s_cbranch_execz .LBB1362_527
.LBB1362_554:                           ;   in Loop: Header=BB1362_521 Depth=2
	global_load_b32 v3, v0, s[8:9] offset:1024
	s_or_b32 exec_lo, exec_lo, s11
	s_delay_alu instid0(SALU_CYCLE_1)
	s_mov_b32 s11, exec_lo
	v_cmpx_gt_u32_e64 s1, v33
	s_cbranch_execnz .LBB1362_528
.LBB1362_555:                           ;   in Loop: Header=BB1362_521 Depth=2
	s_or_b32 exec_lo, exec_lo, s11
	s_delay_alu instid0(SALU_CYCLE_1)
	s_mov_b32 s11, exec_lo
	v_cmpx_gt_u32_e64 s1, v34
	s_cbranch_execz .LBB1362_529
.LBB1362_556:                           ;   in Loop: Header=BB1362_521 Depth=2
	global_load_b32 v5, v0, s[8:9] offset:3072
	s_or_b32 exec_lo, exec_lo, s11
	s_delay_alu instid0(SALU_CYCLE_1)
	s_mov_b32 s11, exec_lo
	v_cmpx_gt_u32_e64 s1, v38
	s_cbranch_execnz .LBB1362_530
.LBB1362_557:                           ;   in Loop: Header=BB1362_521 Depth=2
	s_or_b32 exec_lo, exec_lo, s11
	s_delay_alu instid0(SALU_CYCLE_1)
	s_mov_b32 s11, exec_lo
	v_cmpx_gt_u32_e64 s1, v39
	s_cbranch_execz .LBB1362_531
.LBB1362_558:                           ;   in Loop: Header=BB1362_521 Depth=2
	v_lshlrev_b32_e32 v0, 2, v39
	global_load_b32 v7, v0, s[8:9]
	s_or_b32 exec_lo, exec_lo, s11
	s_delay_alu instid0(SALU_CYCLE_1)
	s_mov_b32 s11, exec_lo
	v_cmpx_gt_u32_e64 s1, v40
	s_cbranch_execz .LBB1362_533
	s_branch .LBB1362_532
.LBB1362_559:                           ;   in Loop: Header=BB1362_17 Depth=1
	v_mov_b32_e32 v0, 0
	s_waitcnt vmcnt(0) lgkmcnt(0)
	s_barrier
	buffer_gl0_inv
	s_and_saveexec_b32 s1, s2
	s_cbranch_execz .LBB1362_561
; %bb.560:                              ;   in Loop: Header=BB1362_17 Depth=1
	ds_load_2addr_b64 v[2:5], v43 offset1:1
	s_waitcnt lgkmcnt(0)
	v_add_nc_u32_e32 v0, v3, v2
	s_delay_alu instid0(VALU_DEP_1)
	v_add3_u32 v0, v0, v4, v5
.LBB1362_561:                           ;   in Loop: Header=BB1362_17 Depth=1
	s_or_b32 exec_lo, exec_lo, s1
	v_and_b32_e32 v2, 15, v72
	s_delay_alu instid0(VALU_DEP_2) | instskip(SKIP_1) | instid1(VALU_DEP_3)
	v_mov_b32_dpp v3, v0 row_shr:1 row_mask:0xf bank_mask:0xf
	v_and_b32_e32 v4, 16, v72
	v_cmp_eq_u32_e64 s1, 0, v2
	v_cmp_lt_u32_e64 s7, 1, v2
	v_cmp_lt_u32_e64 s8, 3, v2
	;; [unrolled: 1-line block ×3, first 2 shown]
	v_cmp_eq_u32_e64 s10, 0, v4
	v_cndmask_b32_e64 v3, v3, 0, s1
	s_delay_alu instid0(VALU_DEP_1) | instskip(NEXT) | instid1(VALU_DEP_1)
	v_add_nc_u32_e32 v0, v3, v0
	v_mov_b32_dpp v3, v0 row_shr:2 row_mask:0xf bank_mask:0xf
	s_delay_alu instid0(VALU_DEP_1) | instskip(NEXT) | instid1(VALU_DEP_1)
	v_cndmask_b32_e64 v3, 0, v3, s7
	v_add_nc_u32_e32 v0, v0, v3
	s_delay_alu instid0(VALU_DEP_1) | instskip(NEXT) | instid1(VALU_DEP_1)
	v_mov_b32_dpp v3, v0 row_shr:4 row_mask:0xf bank_mask:0xf
	v_cndmask_b32_e64 v3, 0, v3, s8
	s_delay_alu instid0(VALU_DEP_1) | instskip(NEXT) | instid1(VALU_DEP_1)
	v_add_nc_u32_e32 v0, v0, v3
	v_mov_b32_dpp v3, v0 row_shr:8 row_mask:0xf bank_mask:0xf
	s_delay_alu instid0(VALU_DEP_1) | instskip(SKIP_1) | instid1(VALU_DEP_2)
	v_cndmask_b32_e64 v2, 0, v3, s9
	v_bfe_i32 v3, v72, 4, 1
	v_add_nc_u32_e32 v0, v0, v2
	ds_swizzle_b32 v2, v0 offset:swizzle(BROADCAST,32,15)
	s_waitcnt lgkmcnt(0)
	v_and_b32_e32 v2, v3, v2
	s_delay_alu instid0(VALU_DEP_1)
	v_add_nc_u32_e32 v2, v0, v2
	s_and_saveexec_b32 s11, s3
	s_cbranch_execz .LBB1362_563
; %bb.562:                              ;   in Loop: Header=BB1362_17 Depth=1
	ds_store_b32 v44, v2
.LBB1362_563:                           ;   in Loop: Header=BB1362_17 Depth=1
	s_or_b32 exec_lo, exec_lo, s11
	v_and_b32_e32 v0, 7, v72
	s_waitcnt lgkmcnt(0)
	s_barrier
	buffer_gl0_inv
	s_and_saveexec_b32 s11, s4
	s_cbranch_execz .LBB1362_565
; %bb.564:                              ;   in Loop: Header=BB1362_17 Depth=1
	ds_load_b32 v3, v45
	v_cmp_ne_u32_e32 vcc_lo, 0, v0
	s_waitcnt lgkmcnt(0)
	v_mov_b32_dpp v4, v3 row_shr:1 row_mask:0xf bank_mask:0xf
	s_delay_alu instid0(VALU_DEP_1) | instskip(SKIP_1) | instid1(VALU_DEP_2)
	v_cndmask_b32_e32 v4, 0, v4, vcc_lo
	v_cmp_lt_u32_e32 vcc_lo, 1, v0
	v_add_nc_u32_e32 v3, v4, v3
	s_delay_alu instid0(VALU_DEP_1) | instskip(NEXT) | instid1(VALU_DEP_1)
	v_mov_b32_dpp v4, v3 row_shr:2 row_mask:0xf bank_mask:0xf
	v_cndmask_b32_e32 v4, 0, v4, vcc_lo
	v_cmp_lt_u32_e32 vcc_lo, 3, v0
	s_delay_alu instid0(VALU_DEP_2) | instskip(NEXT) | instid1(VALU_DEP_1)
	v_add_nc_u32_e32 v3, v3, v4
	v_mov_b32_dpp v4, v3 row_shr:4 row_mask:0xf bank_mask:0xf
	s_delay_alu instid0(VALU_DEP_1) | instskip(NEXT) | instid1(VALU_DEP_1)
	v_cndmask_b32_e32 v4, 0, v4, vcc_lo
	v_add_nc_u32_e32 v3, v3, v4
	ds_store_b32 v45, v3
.LBB1362_565:                           ;   in Loop: Header=BB1362_17 Depth=1
	s_or_b32 exec_lo, exec_lo, s11
	v_mov_b32_e32 v3, 0
	s_waitcnt lgkmcnt(0)
	s_barrier
	buffer_gl0_inv
	s_and_saveexec_b32 s11, s5
	s_cbranch_execz .LBB1362_567
; %bb.566:                              ;   in Loop: Header=BB1362_17 Depth=1
	ds_load_b32 v3, v46
.LBB1362_567:                           ;   in Loop: Header=BB1362_17 Depth=1
	s_or_b32 exec_lo, exec_lo, s11
	v_add_nc_u32_e32 v4, -1, v72
	s_waitcnt lgkmcnt(0)
	v_add_nc_u32_e32 v2, v3, v2
	v_cmp_eq_u32_e64 s11, 0, v72
	s_barrier
	v_cmp_gt_i32_e32 vcc_lo, 0, v4
	buffer_gl0_inv
	v_cndmask_b32_e32 v4, v4, v72, vcc_lo
	s_delay_alu instid0(VALU_DEP_1)
	v_lshlrev_b32_e32 v73, 2, v4
	ds_bpermute_b32 v2, v73, v2
	s_and_saveexec_b32 s12, s2
	s_cbranch_execz .LBB1362_569
; %bb.568:                              ;   in Loop: Header=BB1362_17 Depth=1
	s_waitcnt lgkmcnt(0)
	v_cndmask_b32_e64 v2, v2, v3, s11
	s_delay_alu instid0(VALU_DEP_1)
	v_add_nc_u32_e32 v2, s33, v2
	ds_store_b32 v31, v2
.LBB1362_569:                           ;   in Loop: Header=BB1362_17 Depth=1
	s_or_b32 exec_lo, exec_lo, s12
	s_load_b64 s[12:13], s[28:29], 0x0
	v_lshlrev_b32_e32 v3, 3, v72
	v_or_b32_e32 v74, v72, v47
	s_mov_b32 s31, s59
	s_mov_b32 s26, s33
                                        ; implicit-def: $vgpr10_vgpr11
                                        ; implicit-def: $vgpr12_vgpr13
                                        ; implicit-def: $vgpr14_vgpr15
                                        ; implicit-def: $vgpr16_vgpr17
                                        ; implicit-def: $vgpr21_vgpr22
                                        ; implicit-def: $vgpr23_vgpr24
                                        ; implicit-def: $vgpr25_vgpr26
                                        ; implicit-def: $vgpr27_vgpr28
                                        ; implicit-def: $vgpr89
                                        ; implicit-def: $vgpr90
                                        ; implicit-def: $vgpr91
                                        ; implicit-def: $vgpr92
                                        ; implicit-def: $vgpr93
                                        ; implicit-def: $vgpr94
                                        ; implicit-def: $vgpr95
                                        ; implicit-def: $vgpr96
	s_delay_alu instid0(VALU_DEP_2)
	v_add_co_u32 v75, vcc_lo, v67, v3
	v_add_co_ci_u32_e32 v76, vcc_lo, 0, v68, vcc_lo
	v_or_b32_e32 v77, 32, v74
	v_or_b32_e32 v78, 64, v74
	;; [unrolled: 1-line block ×7, first 2 shown]
	s_waitcnt lgkmcnt(0)
	s_cmp_lt_u32 s15, s13
	s_cselect_b32 s13, 14, 20
	s_delay_alu instid0(SALU_CYCLE_1) | instskip(SKIP_4) | instid1(SALU_CYCLE_1)
	s_add_u32 s16, s28, s13
	s_addc_u32 s17, s29, 0
	s_cmp_lt_u32 s14, s12
	global_load_u16 v2, v20, s[16:17]
	s_cselect_b32 s12, 12, 18
	s_add_u32 s12, s28, s12
	s_addc_u32 s13, s29, 0
	global_load_u16 v4, v20, s[12:13]
	v_cmp_eq_u32_e64 s12, 0, v0
	v_cmp_lt_u32_e64 s13, 1, v0
	v_cmp_lt_u32_e64 s16, 3, v0
	v_lshlrev_b32_e32 v0, 2, v72
	s_delay_alu instid0(VALU_DEP_1) | instskip(SKIP_1) | instid1(VALU_DEP_2)
	v_add_co_u32 v84, vcc_lo, v69, v0
	v_add_co_ci_u32_e32 v85, vcc_lo, 0, v70, vcc_lo
	v_add_co_u32 v87, vcc_lo, 0x380, v84
	s_delay_alu instid0(VALU_DEP_2) | instskip(SKIP_3) | instid1(VALU_DEP_1)
	v_add_co_ci_u32_e32 v88, vcc_lo, 0, v85, vcc_lo
	s_waitcnt vmcnt(1)
	v_mad_u32_u24 v5, v48, v2, v50
	s_waitcnt vmcnt(0)
	v_mad_u64_u32 v[2:3], null, v5, v4, v[18:19]
	s_delay_alu instid0(VALU_DEP_1)
	v_lshrrev_b32_e32 v86, 5, v2
	s_branch .LBB1362_571
.LBB1362_570:                           ;   in Loop: Header=BB1362_571 Depth=2
	s_or_b32 exec_lo, exec_lo, s17
	s_addk_i32 s31, 0xf800
	s_cmp_lt_u32 s50, s34
	s_mov_b32 s26, s50
	s_cbranch_scc0 .LBB1362_15
.LBB1362_571:                           ;   Parent Loop BB1362_17 Depth=1
                                        ; =>  This Inner Loop Header: Depth=2
	s_add_i32 s50, s26, 0x800
	s_delay_alu instid0(SALU_CYCLE_1)
	s_cmp_gt_u32 s50, s34
	s_cbranch_scc1 .LBB1362_573
; %bb.572:                              ;   in Loop: Header=BB1362_571 Depth=2
	s_mov_b32 s19, 0
	s_mov_b32 s18, s26
	s_movk_i32 s17, 0x800
	s_lshl_b64 s[20:21], s[18:19], 2
	s_delay_alu instid0(SALU_CYCLE_1)
	v_add_co_u32 v8, vcc_lo, v84, s20
	v_add_co_ci_u32_e32 v9, vcc_lo, s21, v85, vcc_lo
	s_mov_b32 s20, -1
	s_clause 0x6
	global_load_b32 v2, v[8:9], off
	global_load_b32 v3, v[8:9], off offset:128
	global_load_b32 v4, v[8:9], off offset:256
	;; [unrolled: 1-line block ×6, first 2 shown]
	s_cbranch_execz .LBB1362_574
	s_branch .LBB1362_583
.LBB1362_573:                           ;   in Loop: Header=BB1362_571 Depth=2
	s_mov_b32 s19, -1
	s_mov_b32 s20, 0
                                        ; implicit-def: $sgpr17
                                        ; implicit-def: $vgpr2_vgpr3_vgpr4_vgpr5_vgpr6_vgpr7_vgpr8_vgpr9
.LBB1362_574:                           ;   in Loop: Header=BB1362_571 Depth=2
	s_lshl_b64 s[18:19], s[26:27], 2
	s_mov_b32 s37, s36
	v_add_co_u32 v29, vcc_lo, v84, s18
	s_mov_b32 s38, s36
	s_mov_b32 s39, s36
	;; [unrolled: 1-line block ×6, first 2 shown]
	s_waitcnt vmcnt(0)
	v_dual_mov_b32 v2, s36 :: v_dual_mov_b32 v3, s37
	v_add_co_ci_u32_e32 v30, vcc_lo, s19, v85, vcc_lo
	v_dual_mov_b32 v4, s38 :: v_dual_mov_b32 v5, s39
	v_dual_mov_b32 v6, s40 :: v_dual_mov_b32 v7, s41
	;; [unrolled: 1-line block ×3, first 2 shown]
	s_mov_b32 s17, exec_lo
	v_cmpx_gt_u32_e64 s31, v74
	s_cbranch_execz .LBB1362_677
; %bb.575:                              ;   in Loop: Header=BB1362_571 Depth=2
	global_load_b32 v0, v[29:30], off
	v_mov_b32_e32 v7, v1
	v_mov_b32_e32 v2, v1
	;; [unrolled: 1-line block ×6, first 2 shown]
	s_waitcnt vmcnt(0)
	v_mov_b32_e32 v9, v7
	s_delay_alu instid0(VALU_DEP_2)
	v_dual_mov_b32 v8, v6 :: v_dual_mov_b32 v7, v5
	v_mov_b32_e32 v6, v4
	v_mov_b32_e32 v5, v3
	;; [unrolled: 1-line block ×5, first 2 shown]
	s_or_b32 exec_lo, exec_lo, s17
	s_delay_alu instid0(SALU_CYCLE_1)
	s_mov_b32 s17, exec_lo
	v_cmpx_gt_u32_e64 s31, v77
	s_cbranch_execnz .LBB1362_678
.LBB1362_576:                           ;   in Loop: Header=BB1362_571 Depth=2
	s_or_b32 exec_lo, exec_lo, s17
	s_delay_alu instid0(SALU_CYCLE_1)
	s_mov_b32 s17, exec_lo
	v_cmpx_gt_u32_e64 s31, v78
	s_cbranch_execz .LBB1362_679
.LBB1362_577:                           ;   in Loop: Header=BB1362_571 Depth=2
	global_load_b32 v4, v[29:30], off offset:256
	s_or_b32 exec_lo, exec_lo, s17
	s_delay_alu instid0(SALU_CYCLE_1)
	s_mov_b32 s17, exec_lo
	v_cmpx_gt_u32_e64 s31, v79
	s_cbranch_execnz .LBB1362_680
.LBB1362_578:                           ;   in Loop: Header=BB1362_571 Depth=2
	s_or_b32 exec_lo, exec_lo, s17
	s_delay_alu instid0(SALU_CYCLE_1)
	s_mov_b32 s17, exec_lo
	v_cmpx_gt_u32_e64 s31, v80
	s_cbranch_execz .LBB1362_681
.LBB1362_579:                           ;   in Loop: Header=BB1362_571 Depth=2
	global_load_b32 v6, v[29:30], off offset:512
	s_or_b32 exec_lo, exec_lo, s17
	s_delay_alu instid0(SALU_CYCLE_1)
	s_mov_b32 s17, exec_lo
	v_cmpx_gt_u32_e64 s31, v81
	s_cbranch_execnz .LBB1362_682
.LBB1362_580:                           ;   in Loop: Header=BB1362_571 Depth=2
	s_or_b32 exec_lo, exec_lo, s17
	s_delay_alu instid0(SALU_CYCLE_1)
	s_mov_b32 s17, exec_lo
	v_cmpx_gt_u32_e64 s31, v82
	s_cbranch_execz .LBB1362_582
.LBB1362_581:                           ;   in Loop: Header=BB1362_571 Depth=2
	global_load_b32 v8, v[29:30], off offset:768
.LBB1362_582:                           ;   in Loop: Header=BB1362_571 Depth=2
	s_or_b32 exec_lo, exec_lo, s17
	v_cmp_gt_u32_e64 s20, s31, v83
	s_sub_i32 s17, s34, s26
	s_mov_b64 s[18:19], s[26:27]
.LBB1362_583:                           ;   in Loop: Header=BB1362_571 Depth=2
	v_mov_b32_e32 v0, s31
	s_delay_alu instid0(VALU_DEP_2)
	s_and_saveexec_b32 s21, s20
	s_cbranch_execz .LBB1362_585
; %bb.584:                              ;   in Loop: Header=BB1362_571 Depth=2
	s_lshl_b64 s[18:19], s[18:19], 2
	v_mov_b32_e32 v0, s17
	v_add_co_u32 v29, vcc_lo, v87, s18
	v_add_co_ci_u32_e32 v30, vcc_lo, s19, v88, vcc_lo
	global_load_b32 v9, v[29:30], off
.LBB1362_585:                           ;   in Loop: Header=BB1362_571 Depth=2
	s_or_b32 exec_lo, exec_lo, s21
	s_waitcnt vmcnt(6)
	v_cmp_gt_i32_e32 vcc_lo, 0, v2
	ds_store_b32 v49, v20 offset:1056
	ds_store_2addr_b32 v51, v20, v20 offset0:1 offset1:2
	ds_store_2addr_b32 v51, v20, v20 offset0:3 offset1:4
	;; [unrolled: 1-line block ×4, first 2 shown]
	s_waitcnt vmcnt(0) lgkmcnt(0)
	s_barrier
	v_cndmask_b32_e64 v19, 0x7fffffff, 0, vcc_lo
	buffer_gl0_inv
	; wave barrier
	v_xor_b32_e32 v19, v19, v2
	s_delay_alu instid0(VALU_DEP_1) | instskip(SKIP_1) | instid1(VALU_DEP_1)
	v_cmp_ne_u32_e32 vcc_lo, 0x80000000, v19
	v_cndmask_b32_e32 v2, 0x7fffffff, v19, vcc_lo
	v_lshrrev_b32_e32 v2, s57, v2
	s_delay_alu instid0(VALU_DEP_1) | instskip(NEXT) | instid1(VALU_DEP_1)
	v_and_b32_e32 v30, s30, v2
	v_lshlrev_b32_e32 v29, 30, v30
	v_and_b32_e32 v2, 1, v30
	v_lshlrev_b32_e32 v97, 29, v30
	v_lshlrev_b32_e32 v98, 28, v30
	v_lshlrev_b32_e32 v100, 27, v30
	v_not_b32_e32 v103, v29
	v_add_co_u32 v2, s17, v2, -1
	s_delay_alu instid0(VALU_DEP_1)
	v_cndmask_b32_e64 v99, 0, 1, s17
	v_cmp_gt_i32_e64 s17, 0, v29
	v_not_b32_e32 v29, v97
	v_ashrrev_i32_e32 v103, 31, v103
	v_lshlrev_b32_e32 v101, 26, v30
	v_cmp_ne_u32_e32 vcc_lo, 0, v99
	v_lshlrev_b32_e32 v102, 25, v30
	v_ashrrev_i32_e32 v29, 31, v29
	v_xor_b32_e32 v103, s17, v103
	v_cmp_gt_i32_e64 s17, 0, v98
	v_xor_b32_e32 v2, vcc_lo, v2
	v_cmp_gt_i32_e32 vcc_lo, 0, v97
	v_not_b32_e32 v97, v98
	v_not_b32_e32 v98, v100
	v_lshlrev_b32_e32 v99, 24, v30
	v_and_b32_e32 v2, exec_lo, v2
	v_xor_b32_e32 v29, vcc_lo, v29
	v_ashrrev_i32_e32 v97, 31, v97
	v_cmp_gt_i32_e32 vcc_lo, 0, v100
	v_not_b32_e32 v100, v101
	v_and_b32_e32 v2, v2, v103
	v_ashrrev_i32_e32 v98, 31, v98
	v_xor_b32_e32 v97, s17, v97
	v_cmp_gt_i32_e64 s17, 0, v101
	v_ashrrev_i32_e32 v100, 31, v100
	v_and_b32_e32 v2, v2, v29
	v_not_b32_e32 v29, v102
	v_xor_b32_e32 v98, vcc_lo, v98
	v_cmp_gt_i32_e32 vcc_lo, 0, v102
	v_xor_b32_e32 v100, s17, v100
	v_and_b32_e32 v2, v2, v97
	v_not_b32_e32 v97, v99
	v_ashrrev_i32_e32 v29, 31, v29
	v_cmp_gt_i32_e64 s17, 0, v99
	v_mad_u32_u24 v30, v30, 9, v86
	v_and_b32_e32 v2, v2, v98
	v_ashrrev_i32_e32 v97, 31, v97
	v_xor_b32_e32 v29, vcc_lo, v29
	s_delay_alu instid0(VALU_DEP_3) | instskip(NEXT) | instid1(VALU_DEP_3)
	v_and_b32_e32 v2, v2, v100
	v_xor_b32_e32 v97, s17, v97
	s_delay_alu instid0(VALU_DEP_2) | instskip(NEXT) | instid1(VALU_DEP_1)
	v_and_b32_e32 v2, v2, v29
	v_and_b32_e32 v2, v2, v97
	v_lshl_add_u32 v97, v30, 2, 0x420
	s_delay_alu instid0(VALU_DEP_2) | instskip(SKIP_1) | instid1(VALU_DEP_2)
	v_mbcnt_lo_u32_b32 v29, v2, 0
	v_cmp_ne_u32_e64 s17, 0, v2
	v_cmp_eq_u32_e32 vcc_lo, 0, v29
	s_delay_alu instid0(VALU_DEP_2) | instskip(NEXT) | instid1(SALU_CYCLE_1)
	s_and_b32 s18, s17, vcc_lo
	s_and_saveexec_b32 s17, s18
	s_cbranch_execz .LBB1362_587
; %bb.586:                              ;   in Loop: Header=BB1362_571 Depth=2
	v_bcnt_u32_b32 v2, v2, 0
	ds_store_b32 v97, v2
.LBB1362_587:                           ;   in Loop: Header=BB1362_571 Depth=2
	s_or_b32 exec_lo, exec_lo, s17
	v_cmp_gt_i32_e32 vcc_lo, 0, v3
	; wave barrier
	v_cndmask_b32_e64 v2, 0x7fffffff, 0, vcc_lo
	s_delay_alu instid0(VALU_DEP_1) | instskip(NEXT) | instid1(VALU_DEP_1)
	v_xor_b32_e32 v30, v2, v3
	v_cmp_ne_u32_e32 vcc_lo, 0x80000000, v30
	v_cndmask_b32_e32 v2, 0x7fffffff, v30, vcc_lo
	s_delay_alu instid0(VALU_DEP_1) | instskip(NEXT) | instid1(VALU_DEP_1)
	v_lshrrev_b32_e32 v2, s57, v2
	v_and_b32_e32 v2, s30, v2
	s_delay_alu instid0(VALU_DEP_1)
	v_and_b32_e32 v3, 1, v2
	v_lshlrev_b32_e32 v98, 30, v2
	v_lshlrev_b32_e32 v99, 29, v2
	;; [unrolled: 1-line block ×4, first 2 shown]
	v_add_co_u32 v3, s17, v3, -1
	s_delay_alu instid0(VALU_DEP_1)
	v_cndmask_b32_e64 v101, 0, 1, s17
	v_not_b32_e32 v105, v98
	v_cmp_gt_i32_e64 s17, 0, v98
	v_not_b32_e32 v98, v99
	v_lshlrev_b32_e32 v103, 26, v2
	v_cmp_ne_u32_e32 vcc_lo, 0, v101
	v_ashrrev_i32_e32 v105, 31, v105
	v_lshlrev_b32_e32 v104, 25, v2
	v_ashrrev_i32_e32 v98, 31, v98
	v_lshlrev_b32_e32 v101, 24, v2
	v_xor_b32_e32 v3, vcc_lo, v3
	v_cmp_gt_i32_e32 vcc_lo, 0, v99
	v_not_b32_e32 v99, v100
	v_xor_b32_e32 v105, s17, v105
	v_cmp_gt_i32_e64 s17, 0, v100
	v_and_b32_e32 v3, exec_lo, v3
	v_not_b32_e32 v100, v102
	v_ashrrev_i32_e32 v99, 31, v99
	v_xor_b32_e32 v98, vcc_lo, v98
	v_cmp_gt_i32_e32 vcc_lo, 0, v102
	v_and_b32_e32 v3, v3, v105
	v_not_b32_e32 v102, v103
	v_ashrrev_i32_e32 v100, 31, v100
	v_xor_b32_e32 v99, s17, v99
	v_cmp_gt_i32_e64 s17, 0, v103
	v_and_b32_e32 v3, v3, v98
	v_not_b32_e32 v98, v104
	v_ashrrev_i32_e32 v102, 31, v102
	v_xor_b32_e32 v100, vcc_lo, v100
	v_cmp_gt_i32_e32 vcc_lo, 0, v104
	v_and_b32_e32 v3, v3, v99
	v_not_b32_e32 v99, v101
	v_ashrrev_i32_e32 v98, 31, v98
	v_xor_b32_e32 v102, s17, v102
	v_mul_u32_u24_e32 v2, 9, v2
	v_and_b32_e32 v3, v3, v100
	v_cmp_gt_i32_e64 s17, 0, v101
	v_ashrrev_i32_e32 v99, 31, v99
	v_xor_b32_e32 v98, vcc_lo, v98
	v_add_lshl_u32 v100, v2, v86, 2
	v_and_b32_e32 v3, v3, v102
	s_delay_alu instid0(VALU_DEP_4) | instskip(NEXT) | instid1(VALU_DEP_3)
	v_xor_b32_e32 v2, s17, v99
	v_add_nc_u32_e32 v101, 0x420, v100
	s_delay_alu instid0(VALU_DEP_3) | instskip(SKIP_2) | instid1(VALU_DEP_1)
	v_and_b32_e32 v3, v3, v98
	ds_load_b32 v98, v100 offset:1056
	; wave barrier
	v_and_b32_e32 v2, v3, v2
	v_mbcnt_lo_u32_b32 v99, v2, 0
	v_cmp_ne_u32_e64 s17, 0, v2
	s_delay_alu instid0(VALU_DEP_2) | instskip(NEXT) | instid1(VALU_DEP_2)
	v_cmp_eq_u32_e32 vcc_lo, 0, v99
	s_and_b32 s18, s17, vcc_lo
	s_delay_alu instid0(SALU_CYCLE_1)
	s_and_saveexec_b32 s17, s18
	s_cbranch_execz .LBB1362_589
; %bb.588:                              ;   in Loop: Header=BB1362_571 Depth=2
	s_waitcnt lgkmcnt(0)
	v_bcnt_u32_b32 v2, v2, v98
	ds_store_b32 v101, v2
.LBB1362_589:                           ;   in Loop: Header=BB1362_571 Depth=2
	s_or_b32 exec_lo, exec_lo, s17
	v_cmp_gt_i32_e32 vcc_lo, 0, v4
	; wave barrier
	v_cndmask_b32_e64 v2, 0x7fffffff, 0, vcc_lo
	s_delay_alu instid0(VALU_DEP_1) | instskip(NEXT) | instid1(VALU_DEP_1)
	v_xor_b32_e32 v100, v2, v4
	v_cmp_ne_u32_e32 vcc_lo, 0x80000000, v100
	v_cndmask_b32_e32 v2, 0x7fffffff, v100, vcc_lo
	s_delay_alu instid0(VALU_DEP_1) | instskip(NEXT) | instid1(VALU_DEP_1)
	v_lshrrev_b32_e32 v2, s57, v2
	v_and_b32_e32 v2, s30, v2
	s_delay_alu instid0(VALU_DEP_1)
	v_and_b32_e32 v3, 1, v2
	v_lshlrev_b32_e32 v4, 30, v2
	v_lshlrev_b32_e32 v102, 29, v2
	;; [unrolled: 1-line block ×4, first 2 shown]
	v_add_co_u32 v3, s17, v3, -1
	s_delay_alu instid0(VALU_DEP_1)
	v_cndmask_b32_e64 v104, 0, 1, s17
	v_not_b32_e32 v108, v4
	v_cmp_gt_i32_e64 s17, 0, v4
	v_not_b32_e32 v4, v102
	v_lshlrev_b32_e32 v106, 26, v2
	v_cmp_ne_u32_e32 vcc_lo, 0, v104
	v_ashrrev_i32_e32 v108, 31, v108
	v_lshlrev_b32_e32 v107, 25, v2
	v_ashrrev_i32_e32 v4, 31, v4
	v_lshlrev_b32_e32 v104, 24, v2
	v_xor_b32_e32 v3, vcc_lo, v3
	v_cmp_gt_i32_e32 vcc_lo, 0, v102
	v_not_b32_e32 v102, v103
	v_xor_b32_e32 v108, s17, v108
	v_cmp_gt_i32_e64 s17, 0, v103
	v_and_b32_e32 v3, exec_lo, v3
	v_not_b32_e32 v103, v105
	v_ashrrev_i32_e32 v102, 31, v102
	v_xor_b32_e32 v4, vcc_lo, v4
	v_cmp_gt_i32_e32 vcc_lo, 0, v105
	v_and_b32_e32 v3, v3, v108
	v_not_b32_e32 v105, v106
	v_ashrrev_i32_e32 v103, 31, v103
	v_xor_b32_e32 v102, s17, v102
	v_cmp_gt_i32_e64 s17, 0, v106
	v_and_b32_e32 v3, v3, v4
	v_not_b32_e32 v4, v107
	v_ashrrev_i32_e32 v105, 31, v105
	v_xor_b32_e32 v103, vcc_lo, v103
	v_cmp_gt_i32_e32 vcc_lo, 0, v107
	v_and_b32_e32 v3, v3, v102
	v_not_b32_e32 v102, v104
	v_ashrrev_i32_e32 v4, 31, v4
	v_xor_b32_e32 v105, s17, v105
	v_mul_u32_u24_e32 v2, 9, v2
	v_and_b32_e32 v3, v3, v103
	v_cmp_gt_i32_e64 s17, 0, v104
	v_ashrrev_i32_e32 v102, 31, v102
	v_xor_b32_e32 v4, vcc_lo, v4
	v_add_lshl_u32 v103, v2, v86, 2
	v_and_b32_e32 v3, v3, v105
	s_delay_alu instid0(VALU_DEP_4) | instskip(SKIP_3) | instid1(VALU_DEP_2)
	v_xor_b32_e32 v2, s17, v102
	ds_load_b32 v102, v103 offset:1056
	v_and_b32_e32 v3, v3, v4
	v_add_nc_u32_e32 v105, 0x420, v103
	; wave barrier
	v_and_b32_e32 v2, v3, v2
	s_delay_alu instid0(VALU_DEP_1) | instskip(SKIP_1) | instid1(VALU_DEP_2)
	v_mbcnt_lo_u32_b32 v104, v2, 0
	v_cmp_ne_u32_e64 s17, 0, v2
	v_cmp_eq_u32_e32 vcc_lo, 0, v104
	s_delay_alu instid0(VALU_DEP_2) | instskip(NEXT) | instid1(SALU_CYCLE_1)
	s_and_b32 s18, s17, vcc_lo
	s_and_saveexec_b32 s17, s18
	s_cbranch_execz .LBB1362_591
; %bb.590:                              ;   in Loop: Header=BB1362_571 Depth=2
	s_waitcnt lgkmcnt(0)
	v_bcnt_u32_b32 v2, v2, v102
	ds_store_b32 v105, v2
.LBB1362_591:                           ;   in Loop: Header=BB1362_571 Depth=2
	s_or_b32 exec_lo, exec_lo, s17
	v_cmp_gt_i32_e32 vcc_lo, 0, v5
	; wave barrier
	v_cndmask_b32_e64 v2, 0x7fffffff, 0, vcc_lo
	s_delay_alu instid0(VALU_DEP_1) | instskip(NEXT) | instid1(VALU_DEP_1)
	v_xor_b32_e32 v103, v2, v5
	v_cmp_ne_u32_e32 vcc_lo, 0x80000000, v103
	v_cndmask_b32_e32 v2, 0x7fffffff, v103, vcc_lo
	s_delay_alu instid0(VALU_DEP_1) | instskip(NEXT) | instid1(VALU_DEP_1)
	v_lshrrev_b32_e32 v2, s57, v2
	v_and_b32_e32 v2, s30, v2
	s_delay_alu instid0(VALU_DEP_1)
	v_and_b32_e32 v3, 1, v2
	v_lshlrev_b32_e32 v4, 30, v2
	v_lshlrev_b32_e32 v5, 29, v2
	;; [unrolled: 1-line block ×4, first 2 shown]
	v_add_co_u32 v3, s17, v3, -1
	s_delay_alu instid0(VALU_DEP_1)
	v_cndmask_b32_e64 v107, 0, 1, s17
	v_not_b32_e32 v111, v4
	v_cmp_gt_i32_e64 s17, 0, v4
	v_not_b32_e32 v4, v5
	v_lshlrev_b32_e32 v109, 26, v2
	v_cmp_ne_u32_e32 vcc_lo, 0, v107
	v_ashrrev_i32_e32 v111, 31, v111
	v_lshlrev_b32_e32 v110, 25, v2
	v_ashrrev_i32_e32 v4, 31, v4
	v_lshlrev_b32_e32 v107, 24, v2
	v_xor_b32_e32 v3, vcc_lo, v3
	v_cmp_gt_i32_e32 vcc_lo, 0, v5
	v_not_b32_e32 v5, v106
	v_xor_b32_e32 v111, s17, v111
	v_cmp_gt_i32_e64 s17, 0, v106
	v_and_b32_e32 v3, exec_lo, v3
	v_not_b32_e32 v106, v108
	v_ashrrev_i32_e32 v5, 31, v5
	v_xor_b32_e32 v4, vcc_lo, v4
	v_cmp_gt_i32_e32 vcc_lo, 0, v108
	v_and_b32_e32 v3, v3, v111
	v_not_b32_e32 v108, v109
	v_ashrrev_i32_e32 v106, 31, v106
	v_xor_b32_e32 v5, s17, v5
	v_cmp_gt_i32_e64 s17, 0, v109
	v_and_b32_e32 v3, v3, v4
	v_not_b32_e32 v4, v110
	v_ashrrev_i32_e32 v108, 31, v108
	v_xor_b32_e32 v106, vcc_lo, v106
	v_cmp_gt_i32_e32 vcc_lo, 0, v110
	v_and_b32_e32 v3, v3, v5
	v_not_b32_e32 v5, v107
	v_ashrrev_i32_e32 v4, 31, v4
	v_xor_b32_e32 v108, s17, v108
	v_mul_u32_u24_e32 v2, 9, v2
	v_and_b32_e32 v3, v3, v106
	v_cmp_gt_i32_e64 s17, 0, v107
	v_ashrrev_i32_e32 v5, 31, v5
	v_xor_b32_e32 v4, vcc_lo, v4
	v_add_lshl_u32 v106, v2, v86, 2
	v_and_b32_e32 v3, v3, v108
	s_delay_alu instid0(VALU_DEP_4) | instskip(SKIP_3) | instid1(VALU_DEP_2)
	v_xor_b32_e32 v2, s17, v5
	ds_load_b32 v107, v106 offset:1056
	v_and_b32_e32 v3, v3, v4
	v_add_nc_u32_e32 v109, 0x420, v106
	; wave barrier
	v_and_b32_e32 v2, v3, v2
	s_delay_alu instid0(VALU_DEP_1) | instskip(SKIP_1) | instid1(VALU_DEP_2)
	v_mbcnt_lo_u32_b32 v108, v2, 0
	v_cmp_ne_u32_e64 s17, 0, v2
	v_cmp_eq_u32_e32 vcc_lo, 0, v108
	s_delay_alu instid0(VALU_DEP_2) | instskip(NEXT) | instid1(SALU_CYCLE_1)
	s_and_b32 s18, s17, vcc_lo
	s_and_saveexec_b32 s17, s18
	s_cbranch_execz .LBB1362_593
; %bb.592:                              ;   in Loop: Header=BB1362_571 Depth=2
	s_waitcnt lgkmcnt(0)
	v_bcnt_u32_b32 v2, v2, v107
	ds_store_b32 v109, v2
.LBB1362_593:                           ;   in Loop: Header=BB1362_571 Depth=2
	s_or_b32 exec_lo, exec_lo, s17
	v_cmp_gt_i32_e32 vcc_lo, 0, v6
	; wave barrier
	v_cndmask_b32_e64 v2, 0x7fffffff, 0, vcc_lo
	s_delay_alu instid0(VALU_DEP_1) | instskip(NEXT) | instid1(VALU_DEP_1)
	v_xor_b32_e32 v106, v2, v6
	v_cmp_ne_u32_e32 vcc_lo, 0x80000000, v106
	v_cndmask_b32_e32 v2, 0x7fffffff, v106, vcc_lo
	s_delay_alu instid0(VALU_DEP_1) | instskip(NEXT) | instid1(VALU_DEP_1)
	v_lshrrev_b32_e32 v2, s57, v2
	v_and_b32_e32 v2, s30, v2
	s_delay_alu instid0(VALU_DEP_1)
	v_and_b32_e32 v3, 1, v2
	v_lshlrev_b32_e32 v4, 30, v2
	v_lshlrev_b32_e32 v5, 29, v2
	;; [unrolled: 1-line block ×4, first 2 shown]
	v_add_co_u32 v3, s17, v3, -1
	s_delay_alu instid0(VALU_DEP_1)
	v_cndmask_b32_e64 v110, 0, 1, s17
	v_not_b32_e32 v114, v4
	v_cmp_gt_i32_e64 s17, 0, v4
	v_not_b32_e32 v4, v5
	v_lshlrev_b32_e32 v112, 26, v2
	v_cmp_ne_u32_e32 vcc_lo, 0, v110
	v_ashrrev_i32_e32 v114, 31, v114
	v_lshlrev_b32_e32 v113, 25, v2
	v_ashrrev_i32_e32 v4, 31, v4
	v_lshlrev_b32_e32 v110, 24, v2
	v_xor_b32_e32 v3, vcc_lo, v3
	v_cmp_gt_i32_e32 vcc_lo, 0, v5
	v_not_b32_e32 v5, v6
	v_xor_b32_e32 v114, s17, v114
	v_cmp_gt_i32_e64 s17, 0, v6
	v_and_b32_e32 v3, exec_lo, v3
	v_not_b32_e32 v6, v111
	v_ashrrev_i32_e32 v5, 31, v5
	v_xor_b32_e32 v4, vcc_lo, v4
	v_cmp_gt_i32_e32 vcc_lo, 0, v111
	v_and_b32_e32 v3, v3, v114
	v_not_b32_e32 v111, v112
	v_ashrrev_i32_e32 v6, 31, v6
	v_xor_b32_e32 v5, s17, v5
	v_cmp_gt_i32_e64 s17, 0, v112
	v_and_b32_e32 v3, v3, v4
	v_not_b32_e32 v4, v113
	v_ashrrev_i32_e32 v111, 31, v111
	v_xor_b32_e32 v6, vcc_lo, v6
	v_cmp_gt_i32_e32 vcc_lo, 0, v113
	v_and_b32_e32 v3, v3, v5
	v_not_b32_e32 v5, v110
	v_ashrrev_i32_e32 v4, 31, v4
	v_xor_b32_e32 v111, s17, v111
	v_mul_u32_u24_e32 v2, 9, v2
	v_and_b32_e32 v3, v3, v6
	v_cmp_gt_i32_e64 s17, 0, v110
	v_ashrrev_i32_e32 v5, 31, v5
	v_xor_b32_e32 v4, vcc_lo, v4
	v_add_lshl_u32 v6, v2, v86, 2
	v_and_b32_e32 v3, v3, v111
	s_delay_alu instid0(VALU_DEP_4) | instskip(SKIP_3) | instid1(VALU_DEP_2)
	v_xor_b32_e32 v2, s17, v5
	ds_load_b32 v111, v6 offset:1056
	v_and_b32_e32 v3, v3, v4
	v_add_nc_u32_e32 v113, 0x420, v6
	; wave barrier
	v_and_b32_e32 v2, v3, v2
	s_delay_alu instid0(VALU_DEP_1) | instskip(SKIP_1) | instid1(VALU_DEP_2)
	v_mbcnt_lo_u32_b32 v112, v2, 0
	v_cmp_ne_u32_e64 s17, 0, v2
	v_cmp_eq_u32_e32 vcc_lo, 0, v112
	s_delay_alu instid0(VALU_DEP_2) | instskip(NEXT) | instid1(SALU_CYCLE_1)
	s_and_b32 s18, s17, vcc_lo
	s_and_saveexec_b32 s17, s18
	s_cbranch_execz .LBB1362_595
; %bb.594:                              ;   in Loop: Header=BB1362_571 Depth=2
	s_waitcnt lgkmcnt(0)
	v_bcnt_u32_b32 v2, v2, v111
	ds_store_b32 v113, v2
.LBB1362_595:                           ;   in Loop: Header=BB1362_571 Depth=2
	s_or_b32 exec_lo, exec_lo, s17
	v_cmp_gt_i32_e32 vcc_lo, 0, v7
	; wave barrier
	v_cndmask_b32_e64 v2, 0x7fffffff, 0, vcc_lo
	s_delay_alu instid0(VALU_DEP_1) | instskip(NEXT) | instid1(VALU_DEP_1)
	v_xor_b32_e32 v110, v2, v7
	v_cmp_ne_u32_e32 vcc_lo, 0x80000000, v110
	v_cndmask_b32_e32 v2, 0x7fffffff, v110, vcc_lo
	s_delay_alu instid0(VALU_DEP_1) | instskip(NEXT) | instid1(VALU_DEP_1)
	v_lshrrev_b32_e32 v2, s57, v2
	v_and_b32_e32 v2, s30, v2
	s_delay_alu instid0(VALU_DEP_1)
	v_and_b32_e32 v3, 1, v2
	v_lshlrev_b32_e32 v4, 30, v2
	v_lshlrev_b32_e32 v5, 29, v2
	;; [unrolled: 1-line block ×4, first 2 shown]
	v_add_co_u32 v3, s17, v3, -1
	s_delay_alu instid0(VALU_DEP_1)
	v_cndmask_b32_e64 v7, 0, 1, s17
	v_not_b32_e32 v117, v4
	v_cmp_gt_i32_e64 s17, 0, v4
	v_not_b32_e32 v4, v5
	v_lshlrev_b32_e32 v115, 26, v2
	v_cmp_ne_u32_e32 vcc_lo, 0, v7
	v_ashrrev_i32_e32 v117, 31, v117
	v_lshlrev_b32_e32 v116, 25, v2
	v_ashrrev_i32_e32 v4, 31, v4
	v_lshlrev_b32_e32 v7, 24, v2
	v_xor_b32_e32 v3, vcc_lo, v3
	v_cmp_gt_i32_e32 vcc_lo, 0, v5
	v_not_b32_e32 v5, v6
	v_xor_b32_e32 v117, s17, v117
	v_cmp_gt_i32_e64 s17, 0, v6
	v_and_b32_e32 v3, exec_lo, v3
	v_not_b32_e32 v6, v114
	v_ashrrev_i32_e32 v5, 31, v5
	v_xor_b32_e32 v4, vcc_lo, v4
	v_cmp_gt_i32_e32 vcc_lo, 0, v114
	v_and_b32_e32 v3, v3, v117
	v_not_b32_e32 v114, v115
	v_ashrrev_i32_e32 v6, 31, v6
	v_xor_b32_e32 v5, s17, v5
	v_cmp_gt_i32_e64 s17, 0, v115
	v_and_b32_e32 v3, v3, v4
	v_not_b32_e32 v4, v116
	v_ashrrev_i32_e32 v114, 31, v114
	v_xor_b32_e32 v6, vcc_lo, v6
	v_cmp_gt_i32_e32 vcc_lo, 0, v116
	v_and_b32_e32 v3, v3, v5
	v_not_b32_e32 v5, v7
	v_ashrrev_i32_e32 v4, 31, v4
	v_xor_b32_e32 v114, s17, v114
	v_mul_u32_u24_e32 v2, 9, v2
	v_and_b32_e32 v3, v3, v6
	v_cmp_gt_i32_e64 s17, 0, v7
	v_ashrrev_i32_e32 v5, 31, v5
	v_xor_b32_e32 v4, vcc_lo, v4
	v_add_lshl_u32 v6, v2, v86, 2
	v_and_b32_e32 v3, v3, v114
	s_delay_alu instid0(VALU_DEP_4) | instskip(SKIP_3) | instid1(VALU_DEP_2)
	v_xor_b32_e32 v2, s17, v5
	ds_load_b32 v115, v6 offset:1056
	v_and_b32_e32 v3, v3, v4
	v_add_nc_u32_e32 v117, 0x420, v6
	; wave barrier
	v_and_b32_e32 v2, v3, v2
	s_delay_alu instid0(VALU_DEP_1) | instskip(SKIP_1) | instid1(VALU_DEP_2)
	v_mbcnt_lo_u32_b32 v116, v2, 0
	v_cmp_ne_u32_e64 s17, 0, v2
	v_cmp_eq_u32_e32 vcc_lo, 0, v116
	s_delay_alu instid0(VALU_DEP_2) | instskip(NEXT) | instid1(SALU_CYCLE_1)
	s_and_b32 s18, s17, vcc_lo
	s_and_saveexec_b32 s17, s18
	s_cbranch_execz .LBB1362_597
; %bb.596:                              ;   in Loop: Header=BB1362_571 Depth=2
	s_waitcnt lgkmcnt(0)
	v_bcnt_u32_b32 v2, v2, v115
	ds_store_b32 v117, v2
.LBB1362_597:                           ;   in Loop: Header=BB1362_571 Depth=2
	s_or_b32 exec_lo, exec_lo, s17
	v_cmp_gt_i32_e32 vcc_lo, 0, v8
	; wave barrier
	v_cndmask_b32_e64 v2, 0x7fffffff, 0, vcc_lo
	s_delay_alu instid0(VALU_DEP_1) | instskip(NEXT) | instid1(VALU_DEP_1)
	v_xor_b32_e32 v114, v2, v8
	v_cmp_ne_u32_e32 vcc_lo, 0x80000000, v114
	v_cndmask_b32_e32 v2, 0x7fffffff, v114, vcc_lo
	s_delay_alu instid0(VALU_DEP_1) | instskip(NEXT) | instid1(VALU_DEP_1)
	v_lshrrev_b32_e32 v2, s57, v2
	v_and_b32_e32 v2, s30, v2
	s_delay_alu instid0(VALU_DEP_1)
	v_and_b32_e32 v3, 1, v2
	v_lshlrev_b32_e32 v4, 30, v2
	v_lshlrev_b32_e32 v5, 29, v2
	;; [unrolled: 1-line block ×4, first 2 shown]
	v_add_co_u32 v3, s17, v3, -1
	s_delay_alu instid0(VALU_DEP_1)
	v_cndmask_b32_e64 v7, 0, 1, s17
	v_not_b32_e32 v120, v4
	v_cmp_gt_i32_e64 s17, 0, v4
	v_not_b32_e32 v4, v5
	v_lshlrev_b32_e32 v118, 26, v2
	v_cmp_ne_u32_e32 vcc_lo, 0, v7
	v_ashrrev_i32_e32 v120, 31, v120
	v_lshlrev_b32_e32 v119, 25, v2
	v_ashrrev_i32_e32 v4, 31, v4
	v_lshlrev_b32_e32 v7, 24, v2
	v_xor_b32_e32 v3, vcc_lo, v3
	v_cmp_gt_i32_e32 vcc_lo, 0, v5
	v_not_b32_e32 v5, v6
	v_xor_b32_e32 v120, s17, v120
	v_cmp_gt_i32_e64 s17, 0, v6
	v_and_b32_e32 v3, exec_lo, v3
	v_not_b32_e32 v6, v8
	v_ashrrev_i32_e32 v5, 31, v5
	v_xor_b32_e32 v4, vcc_lo, v4
	v_cmp_gt_i32_e32 vcc_lo, 0, v8
	v_and_b32_e32 v3, v3, v120
	v_not_b32_e32 v8, v118
	v_ashrrev_i32_e32 v6, 31, v6
	v_xor_b32_e32 v5, s17, v5
	v_cmp_gt_i32_e64 s17, 0, v118
	v_and_b32_e32 v3, v3, v4
	v_not_b32_e32 v4, v119
	v_ashrrev_i32_e32 v8, 31, v8
	v_xor_b32_e32 v6, vcc_lo, v6
	v_cmp_gt_i32_e32 vcc_lo, 0, v119
	v_and_b32_e32 v3, v3, v5
	v_not_b32_e32 v5, v7
	v_ashrrev_i32_e32 v4, 31, v4
	v_xor_b32_e32 v8, s17, v8
	v_mul_u32_u24_e32 v2, 9, v2
	v_and_b32_e32 v3, v3, v6
	v_cmp_gt_i32_e64 s17, 0, v7
	v_ashrrev_i32_e32 v5, 31, v5
	v_xor_b32_e32 v4, vcc_lo, v4
	v_add_lshl_u32 v6, v2, v86, 2
	v_and_b32_e32 v3, v3, v8
	s_delay_alu instid0(VALU_DEP_4) | instskip(SKIP_3) | instid1(VALU_DEP_2)
	v_xor_b32_e32 v2, s17, v5
	ds_load_b32 v119, v6 offset:1056
	v_and_b32_e32 v3, v3, v4
	v_add_nc_u32_e32 v121, 0x420, v6
	; wave barrier
	v_and_b32_e32 v2, v3, v2
	s_delay_alu instid0(VALU_DEP_1) | instskip(SKIP_1) | instid1(VALU_DEP_2)
	v_mbcnt_lo_u32_b32 v120, v2, 0
	v_cmp_ne_u32_e64 s17, 0, v2
	v_cmp_eq_u32_e32 vcc_lo, 0, v120
	s_delay_alu instid0(VALU_DEP_2) | instskip(NEXT) | instid1(SALU_CYCLE_1)
	s_and_b32 s18, s17, vcc_lo
	s_and_saveexec_b32 s17, s18
	s_cbranch_execz .LBB1362_599
; %bb.598:                              ;   in Loop: Header=BB1362_571 Depth=2
	s_waitcnt lgkmcnt(0)
	v_bcnt_u32_b32 v2, v2, v119
	ds_store_b32 v121, v2
.LBB1362_599:                           ;   in Loop: Header=BB1362_571 Depth=2
	s_or_b32 exec_lo, exec_lo, s17
	v_cmp_gt_i32_e32 vcc_lo, 0, v9
	; wave barrier
	v_cndmask_b32_e64 v2, 0x7fffffff, 0, vcc_lo
	s_delay_alu instid0(VALU_DEP_1) | instskip(NEXT) | instid1(VALU_DEP_1)
	v_xor_b32_e32 v118, v2, v9
	v_cmp_ne_u32_e32 vcc_lo, 0x80000000, v118
	v_cndmask_b32_e32 v2, 0x7fffffff, v118, vcc_lo
	s_delay_alu instid0(VALU_DEP_1) | instskip(NEXT) | instid1(VALU_DEP_1)
	v_lshrrev_b32_e32 v2, s57, v2
	v_and_b32_e32 v2, s30, v2
	s_delay_alu instid0(VALU_DEP_1)
	v_and_b32_e32 v3, 1, v2
	v_lshlrev_b32_e32 v4, 30, v2
	v_lshlrev_b32_e32 v5, 29, v2
	;; [unrolled: 1-line block ×4, first 2 shown]
	v_add_co_u32 v3, s17, v3, -1
	s_delay_alu instid0(VALU_DEP_1)
	v_cndmask_b32_e64 v7, 0, 1, s17
	v_not_b32_e32 v123, v4
	v_cmp_gt_i32_e64 s17, 0, v4
	v_not_b32_e32 v4, v5
	v_lshlrev_b32_e32 v9, 26, v2
	v_cmp_ne_u32_e32 vcc_lo, 0, v7
	v_ashrrev_i32_e32 v123, 31, v123
	v_lshlrev_b32_e32 v122, 25, v2
	v_ashrrev_i32_e32 v4, 31, v4
	v_lshlrev_b32_e32 v7, 24, v2
	v_xor_b32_e32 v3, vcc_lo, v3
	v_cmp_gt_i32_e32 vcc_lo, 0, v5
	v_not_b32_e32 v5, v6
	v_xor_b32_e32 v123, s17, v123
	v_cmp_gt_i32_e64 s17, 0, v6
	v_and_b32_e32 v3, exec_lo, v3
	v_not_b32_e32 v6, v8
	v_ashrrev_i32_e32 v5, 31, v5
	v_xor_b32_e32 v4, vcc_lo, v4
	v_cmp_gt_i32_e32 vcc_lo, 0, v8
	v_and_b32_e32 v3, v3, v123
	v_not_b32_e32 v8, v9
	v_ashrrev_i32_e32 v6, 31, v6
	v_xor_b32_e32 v5, s17, v5
	v_cmp_gt_i32_e64 s17, 0, v9
	v_and_b32_e32 v3, v3, v4
	v_not_b32_e32 v4, v122
	v_ashrrev_i32_e32 v8, 31, v8
	v_xor_b32_e32 v6, vcc_lo, v6
	v_cmp_gt_i32_e32 vcc_lo, 0, v122
	v_and_b32_e32 v3, v3, v5
	v_not_b32_e32 v5, v7
	v_ashrrev_i32_e32 v4, 31, v4
	v_xor_b32_e32 v8, s17, v8
	v_mul_u32_u24_e32 v2, 9, v2
	v_and_b32_e32 v3, v3, v6
	v_cmp_gt_i32_e64 s17, 0, v7
	v_ashrrev_i32_e32 v5, 31, v5
	v_xor_b32_e32 v4, vcc_lo, v4
	v_add_lshl_u32 v6, v2, v86, 2
	v_and_b32_e32 v3, v3, v8
	s_delay_alu instid0(VALU_DEP_4) | instskip(SKIP_3) | instid1(VALU_DEP_2)
	v_xor_b32_e32 v2, s17, v5
	ds_load_b32 v122, v6 offset:1056
	v_and_b32_e32 v3, v3, v4
	v_add_nc_u32_e32 v124, 0x420, v6
	; wave barrier
	v_and_b32_e32 v2, v3, v2
	s_delay_alu instid0(VALU_DEP_1) | instskip(SKIP_1) | instid1(VALU_DEP_2)
	v_mbcnt_lo_u32_b32 v123, v2, 0
	v_cmp_ne_u32_e64 s17, 0, v2
	v_cmp_eq_u32_e32 vcc_lo, 0, v123
	s_delay_alu instid0(VALU_DEP_2) | instskip(NEXT) | instid1(SALU_CYCLE_1)
	s_and_b32 s18, s17, vcc_lo
	s_and_saveexec_b32 s17, s18
	s_cbranch_execz .LBB1362_601
; %bb.600:                              ;   in Loop: Header=BB1362_571 Depth=2
	s_waitcnt lgkmcnt(0)
	v_bcnt_u32_b32 v2, v2, v122
	ds_store_b32 v124, v2
.LBB1362_601:                           ;   in Loop: Header=BB1362_571 Depth=2
	s_or_b32 exec_lo, exec_lo, s17
	; wave barrier
	s_waitcnt lgkmcnt(0)
	s_barrier
	buffer_gl0_inv
	ds_load_b32 v125, v49 offset:1056
	ds_load_2addr_b32 v[8:9], v51 offset0:1 offset1:2
	ds_load_2addr_b32 v[6:7], v51 offset0:3 offset1:4
	;; [unrolled: 1-line block ×4, first 2 shown]
	s_waitcnt lgkmcnt(3)
	v_add3_u32 v126, v8, v125, v9
	s_waitcnt lgkmcnt(2)
	s_delay_alu instid0(VALU_DEP_1) | instskip(SKIP_1) | instid1(VALU_DEP_1)
	v_add3_u32 v126, v126, v6, v7
	s_waitcnt lgkmcnt(1)
	v_add3_u32 v126, v126, v2, v3
	s_waitcnt lgkmcnt(0)
	s_delay_alu instid0(VALU_DEP_1) | instskip(NEXT) | instid1(VALU_DEP_1)
	v_add3_u32 v5, v126, v4, v5
	v_mov_b32_dpp v126, v5 row_shr:1 row_mask:0xf bank_mask:0xf
	s_delay_alu instid0(VALU_DEP_1) | instskip(NEXT) | instid1(VALU_DEP_1)
	v_cndmask_b32_e64 v126, v126, 0, s1
	v_add_nc_u32_e32 v5, v126, v5
	s_delay_alu instid0(VALU_DEP_1) | instskip(NEXT) | instid1(VALU_DEP_1)
	v_mov_b32_dpp v126, v5 row_shr:2 row_mask:0xf bank_mask:0xf
	v_cndmask_b32_e64 v126, 0, v126, s7
	s_delay_alu instid0(VALU_DEP_1) | instskip(NEXT) | instid1(VALU_DEP_1)
	v_add_nc_u32_e32 v5, v5, v126
	v_mov_b32_dpp v126, v5 row_shr:4 row_mask:0xf bank_mask:0xf
	s_delay_alu instid0(VALU_DEP_1) | instskip(NEXT) | instid1(VALU_DEP_1)
	v_cndmask_b32_e64 v126, 0, v126, s8
	v_add_nc_u32_e32 v5, v5, v126
	s_delay_alu instid0(VALU_DEP_1) | instskip(NEXT) | instid1(VALU_DEP_1)
	v_mov_b32_dpp v126, v5 row_shr:8 row_mask:0xf bank_mask:0xf
	v_cndmask_b32_e64 v126, 0, v126, s9
	s_delay_alu instid0(VALU_DEP_1) | instskip(SKIP_3) | instid1(VALU_DEP_1)
	v_add_nc_u32_e32 v5, v5, v126
	ds_swizzle_b32 v126, v5 offset:swizzle(BROADCAST,32,15)
	s_waitcnt lgkmcnt(0)
	v_cndmask_b32_e64 v126, v126, 0, s10
	v_add_nc_u32_e32 v5, v5, v126
	s_and_saveexec_b32 s17, s3
	s_cbranch_execz .LBB1362_603
; %bb.602:                              ;   in Loop: Header=BB1362_571 Depth=2
	ds_store_b32 v41, v5 offset:1024
.LBB1362_603:                           ;   in Loop: Header=BB1362_571 Depth=2
	s_or_b32 exec_lo, exec_lo, s17
	s_waitcnt lgkmcnt(0)
	s_barrier
	buffer_gl0_inv
	s_and_saveexec_b32 s17, s4
	s_cbranch_execz .LBB1362_605
; %bb.604:                              ;   in Loop: Header=BB1362_571 Depth=2
	ds_load_b32 v126, v52 offset:1024
	s_waitcnt lgkmcnt(0)
	v_mov_b32_dpp v127, v126 row_shr:1 row_mask:0xf bank_mask:0xf
	s_delay_alu instid0(VALU_DEP_1) | instskip(NEXT) | instid1(VALU_DEP_1)
	v_cndmask_b32_e64 v127, v127, 0, s12
	v_add_nc_u32_e32 v126, v127, v126
	s_delay_alu instid0(VALU_DEP_1) | instskip(NEXT) | instid1(VALU_DEP_1)
	v_mov_b32_dpp v127, v126 row_shr:2 row_mask:0xf bank_mask:0xf
	v_cndmask_b32_e64 v127, 0, v127, s13
	s_delay_alu instid0(VALU_DEP_1) | instskip(NEXT) | instid1(VALU_DEP_1)
	v_add_nc_u32_e32 v126, v126, v127
	v_mov_b32_dpp v127, v126 row_shr:4 row_mask:0xf bank_mask:0xf
	s_delay_alu instid0(VALU_DEP_1) | instskip(NEXT) | instid1(VALU_DEP_1)
	v_cndmask_b32_e64 v127, 0, v127, s16
	v_add_nc_u32_e32 v126, v126, v127
	ds_store_b32 v52, v126 offset:1024
.LBB1362_605:                           ;   in Loop: Header=BB1362_571 Depth=2
	s_or_b32 exec_lo, exec_lo, s17
	v_mov_b32_e32 v126, 0
	s_waitcnt lgkmcnt(0)
	s_barrier
	buffer_gl0_inv
	s_and_saveexec_b32 s17, s5
	s_cbranch_execz .LBB1362_607
; %bb.606:                              ;   in Loop: Header=BB1362_571 Depth=2
	ds_load_b32 v126, v41 offset:1020
.LBB1362_607:                           ;   in Loop: Header=BB1362_571 Depth=2
	s_or_b32 exec_lo, exec_lo, s17
	s_waitcnt lgkmcnt(0)
	v_add_nc_u32_e32 v5, v126, v5
	ds_bpermute_b32 v5, v73, v5
	s_waitcnt lgkmcnt(0)
	v_cndmask_b32_e64 v5, v5, v126, s11
	s_delay_alu instid0(VALU_DEP_1) | instskip(NEXT) | instid1(VALU_DEP_1)
	v_cndmask_b32_e64 v5, v5, 0, s0
	v_add_nc_u32_e32 v125, v5, v125
	s_delay_alu instid0(VALU_DEP_1) | instskip(NEXT) | instid1(VALU_DEP_1)
	v_add_nc_u32_e32 v8, v125, v8
	v_add_nc_u32_e32 v9, v8, v9
	s_delay_alu instid0(VALU_DEP_1) | instskip(NEXT) | instid1(VALU_DEP_1)
	v_add_nc_u32_e32 v6, v9, v6
	;; [unrolled: 3-line block ×3, first 2 shown]
	v_add_nc_u32_e32 v3, v2, v3
	s_delay_alu instid0(VALU_DEP_1)
	v_add_nc_u32_e32 v4, v3, v4
	ds_store_b32 v49, v5 offset:1056
	ds_store_2addr_b32 v51, v125, v8 offset0:1 offset1:2
	ds_store_2addr_b32 v51, v9, v6 offset0:3 offset1:4
	;; [unrolled: 1-line block ×4, first 2 shown]
	v_mov_b32_e32 v4, 0x800
	s_waitcnt lgkmcnt(0)
	s_barrier
	buffer_gl0_inv
	ds_load_b32 v5, v101
	ds_load_b32 v6, v105
	;; [unrolled: 1-line block ×8, first 2 shown]
	ds_load_b32 v101, v49 offset:1056
	s_and_saveexec_b32 s17, s6
	s_cbranch_execz .LBB1362_609
; %bb.608:                              ;   in Loop: Header=BB1362_571 Depth=2
	ds_load_b32 v4, v53 offset:1056
.LBB1362_609:                           ;   in Loop: Header=BB1362_571 Depth=2
	s_or_b32 exec_lo, exec_lo, s17
	s_waitcnt lgkmcnt(0)
	s_barrier
	buffer_gl0_inv
	s_and_saveexec_b32 s17, s2
	s_cbranch_execz .LBB1362_611
; %bb.610:                              ;   in Loop: Header=BB1362_571 Depth=2
	ds_load_b32 v105, v31
	s_waitcnt lgkmcnt(0)
	v_sub_nc_u32_e32 v101, v105, v101
	ds_store_b32 v31, v101
.LBB1362_611:                           ;   in Loop: Header=BB1362_571 Depth=2
	s_or_b32 exec_lo, exec_lo, s17
	v_add_nc_u32_e32 v101, v97, v29
	v_add3_u32 v29, v104, v102, v6
	v_add3_u32 v7, v108, v107, v7
	;; [unrolled: 1-line block ×5, first 2 shown]
	v_lshlrev_b32_e32 v98, 2, v101
	v_add3_u32 v8, v120, v119, v3
	v_lshlrev_b32_e32 v3, 2, v29
	v_add3_u32 v9, v123, v122, v2
	v_lshlrev_b32_e32 v2, 2, v7
	v_lshlrev_b32_e32 v99, 2, v97
	ds_store_b32 v98, v19 offset:1024
	ds_store_b32 v99, v30 offset:1024
	ds_store_b32 v3, v100 offset:1024
	v_lshlrev_b32_e32 v3, 2, v6
	ds_store_b32 v2, v103 offset:1024
	v_lshlrev_b32_e32 v2, 2, v9
	v_cmp_lt_u32_e32 vcc_lo, v18, v0
	v_lshlrev_b32_e32 v19, 2, v5
	v_lshlrev_b32_e32 v30, 2, v8
	ds_store_b32 v3, v106 offset:1024
	ds_store_b32 v19, v110 offset:1024
	;; [unrolled: 1-line block ×4, first 2 shown]
	s_waitcnt lgkmcnt(0)
	s_barrier
	buffer_gl0_inv
	s_and_saveexec_b32 s18, vcc_lo
	s_cbranch_execz .LBB1362_619
; %bb.612:                              ;   in Loop: Header=BB1362_571 Depth=2
	ds_load_b32 v30, v52 offset:1024
	s_waitcnt lgkmcnt(0)
	v_cmp_ne_u32_e64 s17, 0x80000000, v30
	s_delay_alu instid0(VALU_DEP_1) | instskip(SKIP_1) | instid1(VALU_DEP_2)
	v_cndmask_b32_e64 v2, 0x7fffffff, v30, s17
	v_cmp_gt_i32_e64 s17, 0, v30
	v_lshrrev_b32_e32 v2, s57, v2
	s_delay_alu instid0(VALU_DEP_2) | instskip(NEXT) | instid1(VALU_DEP_2)
	v_cndmask_b32_e64 v98, 0x7fffffff, 0, s17
	v_and_b32_e32 v2, s30, v2
	s_delay_alu instid0(VALU_DEP_1) | instskip(SKIP_3) | instid1(VALU_DEP_1)
	v_lshlrev_b32_e32 v2, 2, v2
	ds_load_b32 v2, v2
	s_waitcnt lgkmcnt(0)
	v_add_nc_u32_e32 v19, v2, v18
	v_lshlrev_b64 v[2:3], 2, v[19:20]
	v_xor_b32_e32 v19, v98, v30
	s_delay_alu instid0(VALU_DEP_2) | instskip(NEXT) | instid1(VALU_DEP_1)
	v_add_co_u32 v2, s17, s48, v2
	v_add_co_ci_u32_e64 v3, s17, s49, v3, s17
	global_store_b32 v[2:3], v19, off
	s_or_b32 exec_lo, exec_lo, s18
	v_cmp_lt_u32_e64 s17, v32, v0
	s_delay_alu instid0(VALU_DEP_1)
	s_and_saveexec_b32 s19, s17
	s_cbranch_execnz .LBB1362_620
.LBB1362_613:                           ;   in Loop: Header=BB1362_571 Depth=2
	s_or_b32 exec_lo, exec_lo, s19
	v_cmp_lt_u32_e64 s18, v33, v0
	s_delay_alu instid0(VALU_DEP_1)
	s_and_saveexec_b32 s20, s18
	s_cbranch_execz .LBB1362_621
.LBB1362_614:                           ;   in Loop: Header=BB1362_571 Depth=2
	ds_load_b32 v30, v58 offset:2048
	s_waitcnt lgkmcnt(0)
	v_cmp_ne_u32_e64 s19, 0x80000000, v30
	s_delay_alu instid0(VALU_DEP_1) | instskip(SKIP_1) | instid1(VALU_DEP_2)
	v_cndmask_b32_e64 v2, 0x7fffffff, v30, s19
	v_cmp_gt_i32_e64 s19, 0, v30
	v_lshrrev_b32_e32 v2, s57, v2
	s_delay_alu instid0(VALU_DEP_2) | instskip(NEXT) | instid1(VALU_DEP_2)
	v_cndmask_b32_e64 v98, 0x7fffffff, 0, s19
	v_and_b32_e32 v2, s30, v2
	s_delay_alu instid0(VALU_DEP_1) | instskip(SKIP_3) | instid1(VALU_DEP_1)
	v_lshlrev_b32_e32 v2, 2, v2
	ds_load_b32 v2, v2
	s_waitcnt lgkmcnt(0)
	v_add_nc_u32_e32 v19, v2, v33
	v_lshlrev_b64 v[2:3], 2, v[19:20]
	v_xor_b32_e32 v19, v98, v30
	s_delay_alu instid0(VALU_DEP_2) | instskip(NEXT) | instid1(VALU_DEP_1)
	v_add_co_u32 v2, s19, s48, v2
	v_add_co_ci_u32_e64 v3, s19, s49, v3, s19
	global_store_b32 v[2:3], v19, off
	s_or_b32 exec_lo, exec_lo, s20
	v_cmp_lt_u32_e64 s19, v34, v0
	s_delay_alu instid0(VALU_DEP_1)
	s_and_saveexec_b32 s21, s19
	s_cbranch_execnz .LBB1362_622
.LBB1362_615:                           ;   in Loop: Header=BB1362_571 Depth=2
	s_or_b32 exec_lo, exec_lo, s21
	v_cmp_lt_u32_e64 s20, v38, v0
	s_delay_alu instid0(VALU_DEP_1)
	s_and_saveexec_b32 s22, s20
	s_cbranch_execz .LBB1362_623
.LBB1362_616:                           ;   in Loop: Header=BB1362_571 Depth=2
	ds_load_b32 v30, v58 offset:4096
	s_waitcnt lgkmcnt(0)
	v_cmp_ne_u32_e64 s21, 0x80000000, v30
	s_delay_alu instid0(VALU_DEP_1) | instskip(SKIP_1) | instid1(VALU_DEP_2)
	v_cndmask_b32_e64 v2, 0x7fffffff, v30, s21
	v_cmp_gt_i32_e64 s21, 0, v30
	v_lshrrev_b32_e32 v2, s57, v2
	s_delay_alu instid0(VALU_DEP_2) | instskip(NEXT) | instid1(VALU_DEP_2)
	v_cndmask_b32_e64 v98, 0x7fffffff, 0, s21
	v_and_b32_e32 v2, s30, v2
	s_delay_alu instid0(VALU_DEP_1) | instskip(SKIP_3) | instid1(VALU_DEP_1)
	v_lshlrev_b32_e32 v2, 2, v2
	ds_load_b32 v2, v2
	s_waitcnt lgkmcnt(0)
	v_add_nc_u32_e32 v19, v2, v38
	v_lshlrev_b64 v[2:3], 2, v[19:20]
	v_xor_b32_e32 v19, v98, v30
	s_delay_alu instid0(VALU_DEP_2) | instskip(NEXT) | instid1(VALU_DEP_1)
	v_add_co_u32 v2, s21, s48, v2
	v_add_co_ci_u32_e64 v3, s21, s49, v3, s21
	global_store_b32 v[2:3], v19, off
	s_or_b32 exec_lo, exec_lo, s22
	v_cmp_lt_u32_e64 s21, v39, v0
	s_delay_alu instid0(VALU_DEP_1)
	s_and_saveexec_b32 s23, s21
	s_cbranch_execnz .LBB1362_624
.LBB1362_617:                           ;   in Loop: Header=BB1362_571 Depth=2
	s_or_b32 exec_lo, exec_lo, s23
	v_cmp_lt_u32_e64 s22, v40, v0
	s_delay_alu instid0(VALU_DEP_1)
	s_and_saveexec_b32 s24, s22
	s_cbranch_execz .LBB1362_625
.LBB1362_618:                           ;   in Loop: Header=BB1362_571 Depth=2
	ds_load_b32 v30, v58 offset:6144
	s_waitcnt lgkmcnt(0)
	v_cmp_ne_u32_e64 s23, 0x80000000, v30
	s_delay_alu instid0(VALU_DEP_1) | instskip(SKIP_1) | instid1(VALU_DEP_2)
	v_cndmask_b32_e64 v2, 0x7fffffff, v30, s23
	v_cmp_gt_i32_e64 s23, 0, v30
	v_lshrrev_b32_e32 v2, s57, v2
	s_delay_alu instid0(VALU_DEP_2) | instskip(NEXT) | instid1(VALU_DEP_2)
	v_cndmask_b32_e64 v98, 0x7fffffff, 0, s23
	v_and_b32_e32 v2, s30, v2
	s_delay_alu instid0(VALU_DEP_1) | instskip(SKIP_3) | instid1(VALU_DEP_1)
	v_lshlrev_b32_e32 v2, 2, v2
	ds_load_b32 v2, v2
	s_waitcnt lgkmcnt(0)
	v_add_nc_u32_e32 v19, v2, v40
	v_lshlrev_b64 v[2:3], 2, v[19:20]
	v_xor_b32_e32 v19, v98, v30
	s_delay_alu instid0(VALU_DEP_2) | instskip(NEXT) | instid1(VALU_DEP_1)
	v_add_co_u32 v2, s23, s48, v2
	v_add_co_ci_u32_e64 v3, s23, s49, v3, s23
	global_store_b32 v[2:3], v19, off
	s_or_b32 exec_lo, exec_lo, s24
	v_cmp_lt_u32_e64 s23, v42, v0
	s_delay_alu instid0(VALU_DEP_1)
	s_and_saveexec_b32 s37, s23
	s_cbranch_execnz .LBB1362_626
	s_branch .LBB1362_627
.LBB1362_619:                           ;   in Loop: Header=BB1362_571 Depth=2
	s_or_b32 exec_lo, exec_lo, s18
	v_cmp_lt_u32_e64 s17, v32, v0
	s_delay_alu instid0(VALU_DEP_1)
	s_and_saveexec_b32 s19, s17
	s_cbranch_execz .LBB1362_613
.LBB1362_620:                           ;   in Loop: Header=BB1362_571 Depth=2
	ds_load_b32 v30, v58 offset:1024
	s_waitcnt lgkmcnt(0)
	v_cmp_ne_u32_e64 s18, 0x80000000, v30
	s_delay_alu instid0(VALU_DEP_1) | instskip(SKIP_1) | instid1(VALU_DEP_2)
	v_cndmask_b32_e64 v2, 0x7fffffff, v30, s18
	v_cmp_gt_i32_e64 s18, 0, v30
	v_lshrrev_b32_e32 v2, s57, v2
	s_delay_alu instid0(VALU_DEP_2) | instskip(NEXT) | instid1(VALU_DEP_2)
	v_cndmask_b32_e64 v98, 0x7fffffff, 0, s18
	v_and_b32_e32 v2, s30, v2
	s_delay_alu instid0(VALU_DEP_1) | instskip(SKIP_3) | instid1(VALU_DEP_1)
	v_lshlrev_b32_e32 v2, 2, v2
	ds_load_b32 v2, v2
	s_waitcnt lgkmcnt(0)
	v_add_nc_u32_e32 v19, v2, v32
	v_lshlrev_b64 v[2:3], 2, v[19:20]
	v_xor_b32_e32 v19, v98, v30
	s_delay_alu instid0(VALU_DEP_2) | instskip(NEXT) | instid1(VALU_DEP_1)
	v_add_co_u32 v2, s18, s48, v2
	v_add_co_ci_u32_e64 v3, s18, s49, v3, s18
	global_store_b32 v[2:3], v19, off
	s_or_b32 exec_lo, exec_lo, s19
	v_cmp_lt_u32_e64 s18, v33, v0
	s_delay_alu instid0(VALU_DEP_1)
	s_and_saveexec_b32 s20, s18
	s_cbranch_execnz .LBB1362_614
.LBB1362_621:                           ;   in Loop: Header=BB1362_571 Depth=2
	s_or_b32 exec_lo, exec_lo, s20
	v_cmp_lt_u32_e64 s19, v34, v0
	s_delay_alu instid0(VALU_DEP_1)
	s_and_saveexec_b32 s21, s19
	s_cbranch_execz .LBB1362_615
.LBB1362_622:                           ;   in Loop: Header=BB1362_571 Depth=2
	ds_load_b32 v30, v58 offset:3072
	s_waitcnt lgkmcnt(0)
	v_cmp_ne_u32_e64 s20, 0x80000000, v30
	s_delay_alu instid0(VALU_DEP_1) | instskip(SKIP_1) | instid1(VALU_DEP_2)
	v_cndmask_b32_e64 v2, 0x7fffffff, v30, s20
	v_cmp_gt_i32_e64 s20, 0, v30
	v_lshrrev_b32_e32 v2, s57, v2
	s_delay_alu instid0(VALU_DEP_2) | instskip(NEXT) | instid1(VALU_DEP_2)
	v_cndmask_b32_e64 v98, 0x7fffffff, 0, s20
	v_and_b32_e32 v2, s30, v2
	s_delay_alu instid0(VALU_DEP_1) | instskip(SKIP_3) | instid1(VALU_DEP_1)
	v_lshlrev_b32_e32 v2, 2, v2
	ds_load_b32 v2, v2
	s_waitcnt lgkmcnt(0)
	v_add_nc_u32_e32 v19, v2, v34
	v_lshlrev_b64 v[2:3], 2, v[19:20]
	v_xor_b32_e32 v19, v98, v30
	s_delay_alu instid0(VALU_DEP_2) | instskip(NEXT) | instid1(VALU_DEP_1)
	v_add_co_u32 v2, s20, s48, v2
	v_add_co_ci_u32_e64 v3, s20, s49, v3, s20
	global_store_b32 v[2:3], v19, off
	s_or_b32 exec_lo, exec_lo, s21
	v_cmp_lt_u32_e64 s20, v38, v0
	s_delay_alu instid0(VALU_DEP_1)
	s_and_saveexec_b32 s22, s20
	s_cbranch_execnz .LBB1362_616
.LBB1362_623:                           ;   in Loop: Header=BB1362_571 Depth=2
	s_or_b32 exec_lo, exec_lo, s22
	v_cmp_lt_u32_e64 s21, v39, v0
	s_delay_alu instid0(VALU_DEP_1)
	s_and_saveexec_b32 s23, s21
	s_cbranch_execz .LBB1362_617
.LBB1362_624:                           ;   in Loop: Header=BB1362_571 Depth=2
	ds_load_b32 v30, v58 offset:5120
	s_waitcnt lgkmcnt(0)
	v_cmp_ne_u32_e64 s22, 0x80000000, v30
	s_delay_alu instid0(VALU_DEP_1) | instskip(SKIP_1) | instid1(VALU_DEP_2)
	v_cndmask_b32_e64 v2, 0x7fffffff, v30, s22
	v_cmp_gt_i32_e64 s22, 0, v30
	v_lshrrev_b32_e32 v2, s57, v2
	s_delay_alu instid0(VALU_DEP_2) | instskip(NEXT) | instid1(VALU_DEP_2)
	v_cndmask_b32_e64 v98, 0x7fffffff, 0, s22
	v_and_b32_e32 v2, s30, v2
	s_delay_alu instid0(VALU_DEP_1) | instskip(SKIP_3) | instid1(VALU_DEP_1)
	v_lshlrev_b32_e32 v2, 2, v2
	ds_load_b32 v2, v2
	s_waitcnt lgkmcnt(0)
	v_add_nc_u32_e32 v19, v2, v39
	v_lshlrev_b64 v[2:3], 2, v[19:20]
	v_xor_b32_e32 v19, v98, v30
	s_delay_alu instid0(VALU_DEP_2) | instskip(NEXT) | instid1(VALU_DEP_1)
	v_add_co_u32 v2, s22, s48, v2
	v_add_co_ci_u32_e64 v3, s22, s49, v3, s22
	global_store_b32 v[2:3], v19, off
	s_or_b32 exec_lo, exec_lo, s23
	v_cmp_lt_u32_e64 s22, v40, v0
	s_delay_alu instid0(VALU_DEP_1)
	s_and_saveexec_b32 s24, s22
	s_cbranch_execnz .LBB1362_618
.LBB1362_625:                           ;   in Loop: Header=BB1362_571 Depth=2
	s_or_b32 exec_lo, exec_lo, s24
	v_cmp_lt_u32_e64 s23, v42, v0
	s_delay_alu instid0(VALU_DEP_1)
	s_and_saveexec_b32 s37, s23
	s_cbranch_execz .LBB1362_627
.LBB1362_626:                           ;   in Loop: Header=BB1362_571 Depth=2
	ds_load_b32 v30, v58 offset:7168
	s_waitcnt lgkmcnt(0)
	v_cmp_ne_u32_e64 s24, 0x80000000, v30
	s_delay_alu instid0(VALU_DEP_1) | instskip(SKIP_1) | instid1(VALU_DEP_2)
	v_cndmask_b32_e64 v2, 0x7fffffff, v30, s24
	v_cmp_gt_i32_e64 s24, 0, v30
	v_lshrrev_b32_e32 v2, s57, v2
	s_delay_alu instid0(VALU_DEP_2) | instskip(NEXT) | instid1(VALU_DEP_2)
	v_cndmask_b32_e64 v98, 0x7fffffff, 0, s24
	v_and_b32_e32 v2, s30, v2
	s_delay_alu instid0(VALU_DEP_1) | instskip(SKIP_3) | instid1(VALU_DEP_1)
	v_lshlrev_b32_e32 v2, 2, v2
	ds_load_b32 v2, v2
	s_waitcnt lgkmcnt(0)
	v_add_nc_u32_e32 v19, v2, v42
	v_lshlrev_b64 v[2:3], 2, v[19:20]
	v_xor_b32_e32 v19, v98, v30
	s_delay_alu instid0(VALU_DEP_2) | instskip(NEXT) | instid1(VALU_DEP_1)
	v_add_co_u32 v2, s24, s48, v2
	v_add_co_ci_u32_e64 v3, s24, s49, v3, s24
	global_store_b32 v[2:3], v19, off
.LBB1362_627:                           ;   in Loop: Header=BB1362_571 Depth=2
	s_or_b32 exec_lo, exec_lo, s37
	s_lshl_b64 s[38:39], s[26:27], 3
	s_delay_alu instid0(SALU_CYCLE_1) | instskip(NEXT) | instid1(VALU_DEP_1)
	v_add_co_u32 v2, s24, v75, s38
	v_add_co_ci_u32_e64 v3, s24, s39, v76, s24
	v_cmp_lt_u32_e64 s24, v74, v0
	s_delay_alu instid0(VALU_DEP_1) | instskip(NEXT) | instid1(SALU_CYCLE_1)
	s_and_saveexec_b32 s26, s24
	s_xor_b32 s24, exec_lo, s26
	s_cbranch_execz .LBB1362_643
; %bb.628:                              ;   in Loop: Header=BB1362_571 Depth=2
	global_load_b64 v[27:28], v[2:3], off
	s_or_b32 exec_lo, exec_lo, s24
	s_delay_alu instid0(SALU_CYCLE_1)
	s_mov_b32 s26, exec_lo
	v_cmpx_lt_u32_e64 v77, v0
	s_cbranch_execnz .LBB1362_644
.LBB1362_629:                           ;   in Loop: Header=BB1362_571 Depth=2
	s_or_b32 exec_lo, exec_lo, s26
	s_delay_alu instid0(SALU_CYCLE_1)
	s_mov_b32 s26, exec_lo
	v_cmpx_lt_u32_e64 v78, v0
	s_cbranch_execz .LBB1362_645
.LBB1362_630:                           ;   in Loop: Header=BB1362_571 Depth=2
	global_load_b64 v[23:24], v[2:3], off offset:512
	s_or_b32 exec_lo, exec_lo, s26
	s_delay_alu instid0(SALU_CYCLE_1)
	s_mov_b32 s26, exec_lo
	v_cmpx_lt_u32_e64 v79, v0
	s_cbranch_execnz .LBB1362_646
.LBB1362_631:                           ;   in Loop: Header=BB1362_571 Depth=2
	s_or_b32 exec_lo, exec_lo, s26
	s_delay_alu instid0(SALU_CYCLE_1)
	s_mov_b32 s26, exec_lo
	v_cmpx_lt_u32_e64 v80, v0
	s_cbranch_execz .LBB1362_647
.LBB1362_632:                           ;   in Loop: Header=BB1362_571 Depth=2
	global_load_b64 v[16:17], v[2:3], off offset:1024
	s_or_b32 exec_lo, exec_lo, s26
	s_delay_alu instid0(SALU_CYCLE_1)
	s_mov_b32 s26, exec_lo
	v_cmpx_lt_u32_e64 v81, v0
	s_cbranch_execnz .LBB1362_648
.LBB1362_633:                           ;   in Loop: Header=BB1362_571 Depth=2
	s_or_b32 exec_lo, exec_lo, s26
	s_delay_alu instid0(SALU_CYCLE_1)
	s_mov_b32 s26, exec_lo
	v_cmpx_lt_u32_e64 v82, v0
	s_cbranch_execz .LBB1362_649
.LBB1362_634:                           ;   in Loop: Header=BB1362_571 Depth=2
	global_load_b64 v[12:13], v[2:3], off offset:1536
	s_or_b32 exec_lo, exec_lo, s26
	s_delay_alu instid0(SALU_CYCLE_1)
	s_mov_b32 s26, exec_lo
	v_cmpx_lt_u32_e64 v83, v0
	s_cbranch_execnz .LBB1362_650
.LBB1362_635:                           ;   in Loop: Header=BB1362_571 Depth=2
	s_or_b32 exec_lo, exec_lo, s26
	s_and_saveexec_b32 s26, vcc_lo
	s_cbranch_execz .LBB1362_651
.LBB1362_636:                           ;   in Loop: Header=BB1362_571 Depth=2
	ds_load_b32 v0, v52 offset:1024
	s_waitcnt lgkmcnt(0)
	v_cmp_ne_u32_e64 s24, 0x80000000, v0
	s_delay_alu instid0(VALU_DEP_1) | instskip(NEXT) | instid1(VALU_DEP_1)
	v_cndmask_b32_e64 v0, 0x7fffffff, v0, s24
	v_lshrrev_b32_e32 v0, s57, v0
	s_delay_alu instid0(VALU_DEP_1)
	v_and_b32_e32 v96, s30, v0
	s_or_b32 exec_lo, exec_lo, s26
	s_and_saveexec_b32 s26, s17
	s_cbranch_execnz .LBB1362_652
.LBB1362_637:                           ;   in Loop: Header=BB1362_571 Depth=2
	s_or_b32 exec_lo, exec_lo, s26
	s_and_saveexec_b32 s26, s18
	s_cbranch_execz .LBB1362_653
.LBB1362_638:                           ;   in Loop: Header=BB1362_571 Depth=2
	ds_load_b32 v0, v58 offset:2048
	s_waitcnt lgkmcnt(0)
	v_cmp_ne_u32_e64 s24, 0x80000000, v0
	s_delay_alu instid0(VALU_DEP_1) | instskip(NEXT) | instid1(VALU_DEP_1)
	v_cndmask_b32_e64 v0, 0x7fffffff, v0, s24
	v_lshrrev_b32_e32 v0, s57, v0
	s_delay_alu instid0(VALU_DEP_1)
	v_and_b32_e32 v94, s30, v0
	s_or_b32 exec_lo, exec_lo, s26
	s_and_saveexec_b32 s26, s19
	s_cbranch_execnz .LBB1362_654
.LBB1362_639:                           ;   in Loop: Header=BB1362_571 Depth=2
	s_or_b32 exec_lo, exec_lo, s26
	s_and_saveexec_b32 s26, s20
	s_cbranch_execz .LBB1362_655
.LBB1362_640:                           ;   in Loop: Header=BB1362_571 Depth=2
	ds_load_b32 v0, v58 offset:4096
	s_waitcnt lgkmcnt(0)
	v_cmp_ne_u32_e64 s24, 0x80000000, v0
	s_delay_alu instid0(VALU_DEP_1) | instskip(NEXT) | instid1(VALU_DEP_1)
	v_cndmask_b32_e64 v0, 0x7fffffff, v0, s24
	v_lshrrev_b32_e32 v0, s57, v0
	s_delay_alu instid0(VALU_DEP_1)
	v_and_b32_e32 v92, s30, v0
	s_or_b32 exec_lo, exec_lo, s26
	s_and_saveexec_b32 s26, s21
	s_cbranch_execnz .LBB1362_656
.LBB1362_641:                           ;   in Loop: Header=BB1362_571 Depth=2
	s_or_b32 exec_lo, exec_lo, s26
	s_and_saveexec_b32 s26, s22
	s_cbranch_execz .LBB1362_657
.LBB1362_642:                           ;   in Loop: Header=BB1362_571 Depth=2
	ds_load_b32 v0, v58 offset:6144
	s_waitcnt lgkmcnt(0)
	v_cmp_ne_u32_e64 s24, 0x80000000, v0
	s_delay_alu instid0(VALU_DEP_1) | instskip(NEXT) | instid1(VALU_DEP_1)
	v_cndmask_b32_e64 v0, 0x7fffffff, v0, s24
	v_lshrrev_b32_e32 v0, s57, v0
	s_delay_alu instid0(VALU_DEP_1)
	v_and_b32_e32 v90, s30, v0
	s_or_b32 exec_lo, exec_lo, s26
	s_and_saveexec_b32 s26, s23
	s_cbranch_execnz .LBB1362_658
	s_branch .LBB1362_659
.LBB1362_643:                           ;   in Loop: Header=BB1362_571 Depth=2
	s_or_b32 exec_lo, exec_lo, s24
	s_delay_alu instid0(SALU_CYCLE_1)
	s_mov_b32 s26, exec_lo
	v_cmpx_lt_u32_e64 v77, v0
	s_cbranch_execz .LBB1362_629
.LBB1362_644:                           ;   in Loop: Header=BB1362_571 Depth=2
	global_load_b64 v[25:26], v[2:3], off offset:256
	s_or_b32 exec_lo, exec_lo, s26
	s_delay_alu instid0(SALU_CYCLE_1)
	s_mov_b32 s26, exec_lo
	v_cmpx_lt_u32_e64 v78, v0
	s_cbranch_execnz .LBB1362_630
.LBB1362_645:                           ;   in Loop: Header=BB1362_571 Depth=2
	s_or_b32 exec_lo, exec_lo, s26
	s_delay_alu instid0(SALU_CYCLE_1)
	s_mov_b32 s26, exec_lo
	v_cmpx_lt_u32_e64 v79, v0
	s_cbranch_execz .LBB1362_631
.LBB1362_646:                           ;   in Loop: Header=BB1362_571 Depth=2
	global_load_b64 v[21:22], v[2:3], off offset:768
	s_or_b32 exec_lo, exec_lo, s26
	s_delay_alu instid0(SALU_CYCLE_1)
	s_mov_b32 s26, exec_lo
	v_cmpx_lt_u32_e64 v80, v0
	s_cbranch_execnz .LBB1362_632
.LBB1362_647:                           ;   in Loop: Header=BB1362_571 Depth=2
	s_or_b32 exec_lo, exec_lo, s26
	s_delay_alu instid0(SALU_CYCLE_1)
	s_mov_b32 s26, exec_lo
	v_cmpx_lt_u32_e64 v81, v0
	s_cbranch_execz .LBB1362_633
.LBB1362_648:                           ;   in Loop: Header=BB1362_571 Depth=2
	global_load_b64 v[14:15], v[2:3], off offset:1280
	s_or_b32 exec_lo, exec_lo, s26
	s_delay_alu instid0(SALU_CYCLE_1)
	s_mov_b32 s26, exec_lo
	v_cmpx_lt_u32_e64 v82, v0
	s_cbranch_execnz .LBB1362_634
.LBB1362_649:                           ;   in Loop: Header=BB1362_571 Depth=2
	s_or_b32 exec_lo, exec_lo, s26
	s_delay_alu instid0(SALU_CYCLE_1)
	s_mov_b32 s26, exec_lo
	v_cmpx_lt_u32_e64 v83, v0
	s_cbranch_execz .LBB1362_635
.LBB1362_650:                           ;   in Loop: Header=BB1362_571 Depth=2
	global_load_b64 v[10:11], v[2:3], off offset:1792
	s_or_b32 exec_lo, exec_lo, s26
	s_and_saveexec_b32 s26, vcc_lo
	s_cbranch_execnz .LBB1362_636
.LBB1362_651:                           ;   in Loop: Header=BB1362_571 Depth=2
	s_or_b32 exec_lo, exec_lo, s26
	s_and_saveexec_b32 s26, s17
	s_cbranch_execz .LBB1362_637
.LBB1362_652:                           ;   in Loop: Header=BB1362_571 Depth=2
	ds_load_b32 v0, v58 offset:1024
	s_waitcnt lgkmcnt(0)
	v_cmp_ne_u32_e64 s24, 0x80000000, v0
	s_delay_alu instid0(VALU_DEP_1) | instskip(NEXT) | instid1(VALU_DEP_1)
	v_cndmask_b32_e64 v0, 0x7fffffff, v0, s24
	v_lshrrev_b32_e32 v0, s57, v0
	s_delay_alu instid0(VALU_DEP_1)
	v_and_b32_e32 v95, s30, v0
	s_or_b32 exec_lo, exec_lo, s26
	s_and_saveexec_b32 s26, s18
	s_cbranch_execnz .LBB1362_638
.LBB1362_653:                           ;   in Loop: Header=BB1362_571 Depth=2
	s_or_b32 exec_lo, exec_lo, s26
	s_and_saveexec_b32 s26, s19
	s_cbranch_execz .LBB1362_639
.LBB1362_654:                           ;   in Loop: Header=BB1362_571 Depth=2
	ds_load_b32 v0, v58 offset:3072
	s_waitcnt lgkmcnt(0)
	v_cmp_ne_u32_e64 s24, 0x80000000, v0
	s_delay_alu instid0(VALU_DEP_1) | instskip(NEXT) | instid1(VALU_DEP_1)
	v_cndmask_b32_e64 v0, 0x7fffffff, v0, s24
	v_lshrrev_b32_e32 v0, s57, v0
	s_delay_alu instid0(VALU_DEP_1)
	v_and_b32_e32 v93, s30, v0
	s_or_b32 exec_lo, exec_lo, s26
	s_and_saveexec_b32 s26, s20
	s_cbranch_execnz .LBB1362_640
.LBB1362_655:                           ;   in Loop: Header=BB1362_571 Depth=2
	s_or_b32 exec_lo, exec_lo, s26
	s_and_saveexec_b32 s26, s21
	s_cbranch_execz .LBB1362_641
.LBB1362_656:                           ;   in Loop: Header=BB1362_571 Depth=2
	ds_load_b32 v0, v58 offset:5120
	s_waitcnt lgkmcnt(0)
	v_cmp_ne_u32_e64 s24, 0x80000000, v0
	s_delay_alu instid0(VALU_DEP_1) | instskip(NEXT) | instid1(VALU_DEP_1)
	v_cndmask_b32_e64 v0, 0x7fffffff, v0, s24
	v_lshrrev_b32_e32 v0, s57, v0
	s_delay_alu instid0(VALU_DEP_1)
	v_and_b32_e32 v91, s30, v0
	s_or_b32 exec_lo, exec_lo, s26
	s_and_saveexec_b32 s26, s22
	s_cbranch_execnz .LBB1362_642
.LBB1362_657:                           ;   in Loop: Header=BB1362_571 Depth=2
	s_or_b32 exec_lo, exec_lo, s26
	s_and_saveexec_b32 s26, s23
	s_cbranch_execz .LBB1362_659
.LBB1362_658:                           ;   in Loop: Header=BB1362_571 Depth=2
	ds_load_b32 v0, v58 offset:7168
	s_waitcnt lgkmcnt(0)
	v_cmp_ne_u32_e64 s24, 0x80000000, v0
	s_delay_alu instid0(VALU_DEP_1) | instskip(NEXT) | instid1(VALU_DEP_1)
	v_cndmask_b32_e64 v0, 0x7fffffff, v0, s24
	v_lshrrev_b32_e32 v0, s57, v0
	s_delay_alu instid0(VALU_DEP_1)
	v_and_b32_e32 v89, s30, v0
.LBB1362_659:                           ;   in Loop: Header=BB1362_571 Depth=2
	s_or_b32 exec_lo, exec_lo, s26
	v_lshlrev_b32_e32 v0, 3, v101
	v_lshlrev_b32_e32 v2, 3, v97
	;; [unrolled: 1-line block ×3, first 2 shown]
	s_waitcnt vmcnt(0)
	s_waitcnt_vscnt null, 0x0
	s_barrier
	buffer_gl0_inv
	ds_store_b64 v0, v[27:28] offset:1024
	ds_store_b64 v2, v[25:26] offset:1024
	;; [unrolled: 1-line block ×3, first 2 shown]
	v_lshlrev_b32_e32 v0, 3, v7
	v_lshlrev_b32_e32 v2, 3, v6
	;; [unrolled: 1-line block ×5, first 2 shown]
	ds_store_b64 v0, v[21:22] offset:1024
	ds_store_b64 v2, v[16:17] offset:1024
	;; [unrolled: 1-line block ×5, first 2 shown]
	s_waitcnt lgkmcnt(0)
	s_barrier
	buffer_gl0_inv
	s_and_saveexec_b32 s24, vcc_lo
	s_cbranch_execz .LBB1362_667
; %bb.660:                              ;   in Loop: Header=BB1362_571 Depth=2
	v_lshlrev_b32_e32 v0, 2, v96
	v_add_nc_u32_e32 v2, v52, v31
	ds_load_b32 v0, v0
	ds_load_b64 v[2:3], v2 offset:1024
	s_waitcnt lgkmcnt(1)
	v_add_nc_u32_e32 v19, v0, v18
	s_delay_alu instid0(VALU_DEP_1) | instskip(NEXT) | instid1(VALU_DEP_1)
	v_lshlrev_b64 v[5:6], 3, v[19:20]
	v_add_co_u32 v5, vcc_lo, s54, v5
	s_delay_alu instid0(VALU_DEP_2)
	v_add_co_ci_u32_e32 v6, vcc_lo, s55, v6, vcc_lo
	s_waitcnt lgkmcnt(0)
	global_store_b64 v[5:6], v[2:3], off
	s_or_b32 exec_lo, exec_lo, s24
	v_add_nc_u32_e32 v0, v58, v31
	s_and_saveexec_b32 s24, s17
	s_cbranch_execnz .LBB1362_668
.LBB1362_661:                           ;   in Loop: Header=BB1362_571 Depth=2
	s_or_b32 exec_lo, exec_lo, s24
	s_and_saveexec_b32 s17, s18
	s_cbranch_execz .LBB1362_669
.LBB1362_662:                           ;   in Loop: Header=BB1362_571 Depth=2
	v_lshlrev_b32_e32 v2, 2, v94
	ds_load_b32 v5, v2
	ds_load_b64 v[2:3], v0 offset:4096
	s_waitcnt lgkmcnt(1)
	v_add_nc_u32_e32 v19, v5, v33
	s_delay_alu instid0(VALU_DEP_1) | instskip(NEXT) | instid1(VALU_DEP_1)
	v_lshlrev_b64 v[5:6], 3, v[19:20]
	v_add_co_u32 v5, vcc_lo, s54, v5
	s_delay_alu instid0(VALU_DEP_2)
	v_add_co_ci_u32_e32 v6, vcc_lo, s55, v6, vcc_lo
	s_waitcnt lgkmcnt(0)
	global_store_b64 v[5:6], v[2:3], off
	s_or_b32 exec_lo, exec_lo, s17
	s_and_saveexec_b32 s17, s19
	s_cbranch_execnz .LBB1362_670
.LBB1362_663:                           ;   in Loop: Header=BB1362_571 Depth=2
	s_or_b32 exec_lo, exec_lo, s17
	s_and_saveexec_b32 s17, s20
	s_cbranch_execz .LBB1362_671
.LBB1362_664:                           ;   in Loop: Header=BB1362_571 Depth=2
	v_lshlrev_b32_e32 v2, 2, v92
	ds_load_b32 v5, v2
	ds_load_b64 v[2:3], v0 offset:8192
	s_waitcnt lgkmcnt(1)
	v_add_nc_u32_e32 v19, v5, v38
	s_delay_alu instid0(VALU_DEP_1) | instskip(NEXT) | instid1(VALU_DEP_1)
	v_lshlrev_b64 v[5:6], 3, v[19:20]
	v_add_co_u32 v5, vcc_lo, s54, v5
	s_delay_alu instid0(VALU_DEP_2)
	v_add_co_ci_u32_e32 v6, vcc_lo, s55, v6, vcc_lo
	s_waitcnt lgkmcnt(0)
	global_store_b64 v[5:6], v[2:3], off
	s_or_b32 exec_lo, exec_lo, s17
	s_and_saveexec_b32 s17, s21
	s_cbranch_execnz .LBB1362_672
.LBB1362_665:                           ;   in Loop: Header=BB1362_571 Depth=2
	s_or_b32 exec_lo, exec_lo, s17
	s_and_saveexec_b32 s17, s22
	s_cbranch_execz .LBB1362_673
.LBB1362_666:                           ;   in Loop: Header=BB1362_571 Depth=2
	v_lshlrev_b32_e32 v2, 2, v90
	ds_load_b32 v5, v2
	ds_load_b64 v[2:3], v0 offset:12288
	s_waitcnt lgkmcnt(1)
	v_add_nc_u32_e32 v19, v5, v40
	s_delay_alu instid0(VALU_DEP_1) | instskip(NEXT) | instid1(VALU_DEP_1)
	v_lshlrev_b64 v[5:6], 3, v[19:20]
	v_add_co_u32 v5, vcc_lo, s54, v5
	s_delay_alu instid0(VALU_DEP_2)
	v_add_co_ci_u32_e32 v6, vcc_lo, s55, v6, vcc_lo
	s_waitcnt lgkmcnt(0)
	global_store_b64 v[5:6], v[2:3], off
	s_or_b32 exec_lo, exec_lo, s17
	s_and_saveexec_b32 s17, s23
	s_cbranch_execnz .LBB1362_674
	s_branch .LBB1362_675
.LBB1362_667:                           ;   in Loop: Header=BB1362_571 Depth=2
	s_or_b32 exec_lo, exec_lo, s24
	v_add_nc_u32_e32 v0, v58, v31
	s_and_saveexec_b32 s24, s17
	s_cbranch_execz .LBB1362_661
.LBB1362_668:                           ;   in Loop: Header=BB1362_571 Depth=2
	v_lshlrev_b32_e32 v2, 2, v95
	ds_load_b32 v5, v2
	ds_load_b64 v[2:3], v0 offset:2048
	s_waitcnt lgkmcnt(1)
	v_add_nc_u32_e32 v19, v5, v32
	s_delay_alu instid0(VALU_DEP_1) | instskip(NEXT) | instid1(VALU_DEP_1)
	v_lshlrev_b64 v[5:6], 3, v[19:20]
	v_add_co_u32 v5, vcc_lo, s54, v5
	s_delay_alu instid0(VALU_DEP_2)
	v_add_co_ci_u32_e32 v6, vcc_lo, s55, v6, vcc_lo
	s_waitcnt lgkmcnt(0)
	global_store_b64 v[5:6], v[2:3], off
	s_or_b32 exec_lo, exec_lo, s24
	s_and_saveexec_b32 s17, s18
	s_cbranch_execnz .LBB1362_662
.LBB1362_669:                           ;   in Loop: Header=BB1362_571 Depth=2
	s_or_b32 exec_lo, exec_lo, s17
	s_and_saveexec_b32 s17, s19
	s_cbranch_execz .LBB1362_663
.LBB1362_670:                           ;   in Loop: Header=BB1362_571 Depth=2
	v_lshlrev_b32_e32 v2, 2, v93
	ds_load_b32 v5, v2
	ds_load_b64 v[2:3], v0 offset:6144
	s_waitcnt lgkmcnt(1)
	v_add_nc_u32_e32 v19, v5, v34
	s_delay_alu instid0(VALU_DEP_1) | instskip(NEXT) | instid1(VALU_DEP_1)
	v_lshlrev_b64 v[5:6], 3, v[19:20]
	v_add_co_u32 v5, vcc_lo, s54, v5
	s_delay_alu instid0(VALU_DEP_2)
	v_add_co_ci_u32_e32 v6, vcc_lo, s55, v6, vcc_lo
	s_waitcnt lgkmcnt(0)
	global_store_b64 v[5:6], v[2:3], off
	s_or_b32 exec_lo, exec_lo, s17
	s_and_saveexec_b32 s17, s20
	s_cbranch_execnz .LBB1362_664
.LBB1362_671:                           ;   in Loop: Header=BB1362_571 Depth=2
	s_or_b32 exec_lo, exec_lo, s17
	s_and_saveexec_b32 s17, s21
	s_cbranch_execz .LBB1362_665
.LBB1362_672:                           ;   in Loop: Header=BB1362_571 Depth=2
	v_lshlrev_b32_e32 v2, 2, v91
	ds_load_b32 v5, v2
	ds_load_b64 v[2:3], v0 offset:10240
	s_waitcnt lgkmcnt(1)
	v_add_nc_u32_e32 v19, v5, v39
	s_delay_alu instid0(VALU_DEP_1) | instskip(NEXT) | instid1(VALU_DEP_1)
	v_lshlrev_b64 v[5:6], 3, v[19:20]
	v_add_co_u32 v5, vcc_lo, s54, v5
	s_delay_alu instid0(VALU_DEP_2)
	v_add_co_ci_u32_e32 v6, vcc_lo, s55, v6, vcc_lo
	s_waitcnt lgkmcnt(0)
	global_store_b64 v[5:6], v[2:3], off
	s_or_b32 exec_lo, exec_lo, s17
	s_and_saveexec_b32 s17, s22
	s_cbranch_execnz .LBB1362_666
.LBB1362_673:                           ;   in Loop: Header=BB1362_571 Depth=2
	s_or_b32 exec_lo, exec_lo, s17
	s_and_saveexec_b32 s17, s23
	s_cbranch_execz .LBB1362_675
.LBB1362_674:                           ;   in Loop: Header=BB1362_571 Depth=2
	v_lshlrev_b32_e32 v2, 2, v89
	ds_load_b32 v5, v2
	ds_load_b64 v[2:3], v0 offset:14336
	s_waitcnt lgkmcnt(1)
	v_add_nc_u32_e32 v19, v5, v42
	s_delay_alu instid0(VALU_DEP_1) | instskip(NEXT) | instid1(VALU_DEP_1)
	v_lshlrev_b64 v[5:6], 3, v[19:20]
	v_add_co_u32 v5, vcc_lo, s54, v5
	s_delay_alu instid0(VALU_DEP_2)
	v_add_co_ci_u32_e32 v6, vcc_lo, s55, v6, vcc_lo
	s_waitcnt lgkmcnt(0)
	global_store_b64 v[5:6], v[2:3], off
.LBB1362_675:                           ;   in Loop: Header=BB1362_571 Depth=2
	s_or_b32 exec_lo, exec_lo, s17
	s_waitcnt_vscnt null, 0x0
	s_barrier
	buffer_gl0_inv
	s_and_saveexec_b32 s17, s2
	s_cbranch_execz .LBB1362_570
; %bb.676:                              ;   in Loop: Header=BB1362_571 Depth=2
	ds_load_b32 v0, v31
	s_waitcnt lgkmcnt(0)
	v_add_nc_u32_e32 v0, v0, v4
	ds_store_b32 v31, v0
	s_branch .LBB1362_570
.LBB1362_677:                           ;   in Loop: Header=BB1362_571 Depth=2
	s_or_b32 exec_lo, exec_lo, s17
	s_delay_alu instid0(SALU_CYCLE_1)
	s_mov_b32 s17, exec_lo
	v_cmpx_gt_u32_e64 s31, v77
	s_cbranch_execz .LBB1362_576
.LBB1362_678:                           ;   in Loop: Header=BB1362_571 Depth=2
	global_load_b32 v3, v[29:30], off offset:128
	s_or_b32 exec_lo, exec_lo, s17
	s_delay_alu instid0(SALU_CYCLE_1)
	s_mov_b32 s17, exec_lo
	v_cmpx_gt_u32_e64 s31, v78
	s_cbranch_execnz .LBB1362_577
.LBB1362_679:                           ;   in Loop: Header=BB1362_571 Depth=2
	s_or_b32 exec_lo, exec_lo, s17
	s_delay_alu instid0(SALU_CYCLE_1)
	s_mov_b32 s17, exec_lo
	v_cmpx_gt_u32_e64 s31, v79
	s_cbranch_execz .LBB1362_578
.LBB1362_680:                           ;   in Loop: Header=BB1362_571 Depth=2
	global_load_b32 v5, v[29:30], off offset:384
	s_or_b32 exec_lo, exec_lo, s17
	s_delay_alu instid0(SALU_CYCLE_1)
	s_mov_b32 s17, exec_lo
	v_cmpx_gt_u32_e64 s31, v80
	s_cbranch_execnz .LBB1362_579
.LBB1362_681:                           ;   in Loop: Header=BB1362_571 Depth=2
	s_or_b32 exec_lo, exec_lo, s17
	s_delay_alu instid0(SALU_CYCLE_1)
	s_mov_b32 s17, exec_lo
	v_cmpx_gt_u32_e64 s31, v81
	s_cbranch_execz .LBB1362_580
.LBB1362_682:                           ;   in Loop: Header=BB1362_571 Depth=2
	global_load_b32 v7, v[29:30], off offset:640
	s_or_b32 exec_lo, exec_lo, s17
	s_delay_alu instid0(SALU_CYCLE_1)
	s_mov_b32 s17, exec_lo
	v_cmpx_gt_u32_e64 s31, v82
	s_cbranch_execnz .LBB1362_581
	s_branch .LBB1362_582
.LBB1362_683:
	s_endpgm
	.section	.rodata,"a",@progbits
	.p2align	6, 0x0
	.amdhsa_kernel _ZN7rocprim17ROCPRIM_400000_NS6detail17trampoline_kernelINS0_14default_configENS1_36segmented_radix_sort_config_selectorIflEEZNS1_25segmented_radix_sort_implIS3_Lb1EPKfPfPKlPlN2at6native12_GLOBAL__N_18offset_tEEE10hipError_tPvRmT1_PNSt15iterator_traitsISK_E10value_typeET2_T3_PNSL_ISQ_E10value_typeET4_jRbjT5_SW_jjP12ihipStream_tbEUlT_E2_NS1_11comp_targetILNS1_3genE9ELNS1_11target_archE1100ELNS1_3gpuE3ELNS1_3repE0EEENS1_30default_config_static_selectorELNS0_4arch9wavefront6targetE0EEEvSK_
		.amdhsa_group_segment_fixed_size 17440
		.amdhsa_private_segment_fixed_size 8
		.amdhsa_kernarg_size 336
		.amdhsa_user_sgpr_count 14
		.amdhsa_user_sgpr_dispatch_ptr 0
		.amdhsa_user_sgpr_queue_ptr 0
		.amdhsa_user_sgpr_kernarg_segment_ptr 1
		.amdhsa_user_sgpr_dispatch_id 0
		.amdhsa_user_sgpr_private_segment_size 0
		.amdhsa_wavefront_size32 1
		.amdhsa_uses_dynamic_stack 0
		.amdhsa_enable_private_segment 1
		.amdhsa_system_sgpr_workgroup_id_x 1
		.amdhsa_system_sgpr_workgroup_id_y 1
		.amdhsa_system_sgpr_workgroup_id_z 0
		.amdhsa_system_sgpr_workgroup_info 0
		.amdhsa_system_vgpr_workitem_id 2
		.amdhsa_next_free_vgpr 209
		.amdhsa_next_free_sgpr 60
		.amdhsa_reserve_vcc 1
		.amdhsa_float_round_mode_32 0
		.amdhsa_float_round_mode_16_64 0
		.amdhsa_float_denorm_mode_32 3
		.amdhsa_float_denorm_mode_16_64 3
		.amdhsa_dx10_clamp 1
		.amdhsa_ieee_mode 1
		.amdhsa_fp16_overflow 0
		.amdhsa_workgroup_processor_mode 1
		.amdhsa_memory_ordered 1
		.amdhsa_forward_progress 0
		.amdhsa_shared_vgpr_count 0
		.amdhsa_exception_fp_ieee_invalid_op 0
		.amdhsa_exception_fp_denorm_src 0
		.amdhsa_exception_fp_ieee_div_zero 0
		.amdhsa_exception_fp_ieee_overflow 0
		.amdhsa_exception_fp_ieee_underflow 0
		.amdhsa_exception_fp_ieee_inexact 0
		.amdhsa_exception_int_div_zero 0
	.end_amdhsa_kernel
	.section	.text._ZN7rocprim17ROCPRIM_400000_NS6detail17trampoline_kernelINS0_14default_configENS1_36segmented_radix_sort_config_selectorIflEEZNS1_25segmented_radix_sort_implIS3_Lb1EPKfPfPKlPlN2at6native12_GLOBAL__N_18offset_tEEE10hipError_tPvRmT1_PNSt15iterator_traitsISK_E10value_typeET2_T3_PNSL_ISQ_E10value_typeET4_jRbjT5_SW_jjP12ihipStream_tbEUlT_E2_NS1_11comp_targetILNS1_3genE9ELNS1_11target_archE1100ELNS1_3gpuE3ELNS1_3repE0EEENS1_30default_config_static_selectorELNS0_4arch9wavefront6targetE0EEEvSK_,"axG",@progbits,_ZN7rocprim17ROCPRIM_400000_NS6detail17trampoline_kernelINS0_14default_configENS1_36segmented_radix_sort_config_selectorIflEEZNS1_25segmented_radix_sort_implIS3_Lb1EPKfPfPKlPlN2at6native12_GLOBAL__N_18offset_tEEE10hipError_tPvRmT1_PNSt15iterator_traitsISK_E10value_typeET2_T3_PNSL_ISQ_E10value_typeET4_jRbjT5_SW_jjP12ihipStream_tbEUlT_E2_NS1_11comp_targetILNS1_3genE9ELNS1_11target_archE1100ELNS1_3gpuE3ELNS1_3repE0EEENS1_30default_config_static_selectorELNS0_4arch9wavefront6targetE0EEEvSK_,comdat
.Lfunc_end1362:
	.size	_ZN7rocprim17ROCPRIM_400000_NS6detail17trampoline_kernelINS0_14default_configENS1_36segmented_radix_sort_config_selectorIflEEZNS1_25segmented_radix_sort_implIS3_Lb1EPKfPfPKlPlN2at6native12_GLOBAL__N_18offset_tEEE10hipError_tPvRmT1_PNSt15iterator_traitsISK_E10value_typeET2_T3_PNSL_ISQ_E10value_typeET4_jRbjT5_SW_jjP12ihipStream_tbEUlT_E2_NS1_11comp_targetILNS1_3genE9ELNS1_11target_archE1100ELNS1_3gpuE3ELNS1_3repE0EEENS1_30default_config_static_selectorELNS0_4arch9wavefront6targetE0EEEvSK_, .Lfunc_end1362-_ZN7rocprim17ROCPRIM_400000_NS6detail17trampoline_kernelINS0_14default_configENS1_36segmented_radix_sort_config_selectorIflEEZNS1_25segmented_radix_sort_implIS3_Lb1EPKfPfPKlPlN2at6native12_GLOBAL__N_18offset_tEEE10hipError_tPvRmT1_PNSt15iterator_traitsISK_E10value_typeET2_T3_PNSL_ISQ_E10value_typeET4_jRbjT5_SW_jjP12ihipStream_tbEUlT_E2_NS1_11comp_targetILNS1_3genE9ELNS1_11target_archE1100ELNS1_3gpuE3ELNS1_3repE0EEENS1_30default_config_static_selectorELNS0_4arch9wavefront6targetE0EEEvSK_
                                        ; -- End function
	.section	.AMDGPU.csdata,"",@progbits
; Kernel info:
; codeLenInByte = 43844
; NumSgprs: 62
; NumVgprs: 209
; ScratchSize: 8
; MemoryBound: 0
; FloatMode: 240
; IeeeMode: 1
; LDSByteSize: 17440 bytes/workgroup (compile time only)
; SGPRBlocks: 7
; VGPRBlocks: 26
; NumSGPRsForWavesPerEU: 62
; NumVGPRsForWavesPerEU: 209
; Occupancy: 7
; WaveLimiterHint : 1
; COMPUTE_PGM_RSRC2:SCRATCH_EN: 1
; COMPUTE_PGM_RSRC2:USER_SGPR: 14
; COMPUTE_PGM_RSRC2:TRAP_HANDLER: 0
; COMPUTE_PGM_RSRC2:TGID_X_EN: 1
; COMPUTE_PGM_RSRC2:TGID_Y_EN: 1
; COMPUTE_PGM_RSRC2:TGID_Z_EN: 0
; COMPUTE_PGM_RSRC2:TIDIG_COMP_CNT: 2
	.section	.text._ZN7rocprim17ROCPRIM_400000_NS6detail17trampoline_kernelINS0_14default_configENS1_36segmented_radix_sort_config_selectorIflEEZNS1_25segmented_radix_sort_implIS3_Lb1EPKfPfPKlPlN2at6native12_GLOBAL__N_18offset_tEEE10hipError_tPvRmT1_PNSt15iterator_traitsISK_E10value_typeET2_T3_PNSL_ISQ_E10value_typeET4_jRbjT5_SW_jjP12ihipStream_tbEUlT_E2_NS1_11comp_targetILNS1_3genE8ELNS1_11target_archE1030ELNS1_3gpuE2ELNS1_3repE0EEENS1_30default_config_static_selectorELNS0_4arch9wavefront6targetE0EEEvSK_,"axG",@progbits,_ZN7rocprim17ROCPRIM_400000_NS6detail17trampoline_kernelINS0_14default_configENS1_36segmented_radix_sort_config_selectorIflEEZNS1_25segmented_radix_sort_implIS3_Lb1EPKfPfPKlPlN2at6native12_GLOBAL__N_18offset_tEEE10hipError_tPvRmT1_PNSt15iterator_traitsISK_E10value_typeET2_T3_PNSL_ISQ_E10value_typeET4_jRbjT5_SW_jjP12ihipStream_tbEUlT_E2_NS1_11comp_targetILNS1_3genE8ELNS1_11target_archE1030ELNS1_3gpuE2ELNS1_3repE0EEENS1_30default_config_static_selectorELNS0_4arch9wavefront6targetE0EEEvSK_,comdat
	.globl	_ZN7rocprim17ROCPRIM_400000_NS6detail17trampoline_kernelINS0_14default_configENS1_36segmented_radix_sort_config_selectorIflEEZNS1_25segmented_radix_sort_implIS3_Lb1EPKfPfPKlPlN2at6native12_GLOBAL__N_18offset_tEEE10hipError_tPvRmT1_PNSt15iterator_traitsISK_E10value_typeET2_T3_PNSL_ISQ_E10value_typeET4_jRbjT5_SW_jjP12ihipStream_tbEUlT_E2_NS1_11comp_targetILNS1_3genE8ELNS1_11target_archE1030ELNS1_3gpuE2ELNS1_3repE0EEENS1_30default_config_static_selectorELNS0_4arch9wavefront6targetE0EEEvSK_ ; -- Begin function _ZN7rocprim17ROCPRIM_400000_NS6detail17trampoline_kernelINS0_14default_configENS1_36segmented_radix_sort_config_selectorIflEEZNS1_25segmented_radix_sort_implIS3_Lb1EPKfPfPKlPlN2at6native12_GLOBAL__N_18offset_tEEE10hipError_tPvRmT1_PNSt15iterator_traitsISK_E10value_typeET2_T3_PNSL_ISQ_E10value_typeET4_jRbjT5_SW_jjP12ihipStream_tbEUlT_E2_NS1_11comp_targetILNS1_3genE8ELNS1_11target_archE1030ELNS1_3gpuE2ELNS1_3repE0EEENS1_30default_config_static_selectorELNS0_4arch9wavefront6targetE0EEEvSK_
	.p2align	8
	.type	_ZN7rocprim17ROCPRIM_400000_NS6detail17trampoline_kernelINS0_14default_configENS1_36segmented_radix_sort_config_selectorIflEEZNS1_25segmented_radix_sort_implIS3_Lb1EPKfPfPKlPlN2at6native12_GLOBAL__N_18offset_tEEE10hipError_tPvRmT1_PNSt15iterator_traitsISK_E10value_typeET2_T3_PNSL_ISQ_E10value_typeET4_jRbjT5_SW_jjP12ihipStream_tbEUlT_E2_NS1_11comp_targetILNS1_3genE8ELNS1_11target_archE1030ELNS1_3gpuE2ELNS1_3repE0EEENS1_30default_config_static_selectorELNS0_4arch9wavefront6targetE0EEEvSK_,@function
_ZN7rocprim17ROCPRIM_400000_NS6detail17trampoline_kernelINS0_14default_configENS1_36segmented_radix_sort_config_selectorIflEEZNS1_25segmented_radix_sort_implIS3_Lb1EPKfPfPKlPlN2at6native12_GLOBAL__N_18offset_tEEE10hipError_tPvRmT1_PNSt15iterator_traitsISK_E10value_typeET2_T3_PNSL_ISQ_E10value_typeET4_jRbjT5_SW_jjP12ihipStream_tbEUlT_E2_NS1_11comp_targetILNS1_3genE8ELNS1_11target_archE1030ELNS1_3gpuE2ELNS1_3repE0EEENS1_30default_config_static_selectorELNS0_4arch9wavefront6targetE0EEEvSK_: ; @_ZN7rocprim17ROCPRIM_400000_NS6detail17trampoline_kernelINS0_14default_configENS1_36segmented_radix_sort_config_selectorIflEEZNS1_25segmented_radix_sort_implIS3_Lb1EPKfPfPKlPlN2at6native12_GLOBAL__N_18offset_tEEE10hipError_tPvRmT1_PNSt15iterator_traitsISK_E10value_typeET2_T3_PNSL_ISQ_E10value_typeET4_jRbjT5_SW_jjP12ihipStream_tbEUlT_E2_NS1_11comp_targetILNS1_3genE8ELNS1_11target_archE1030ELNS1_3gpuE2ELNS1_3repE0EEENS1_30default_config_static_selectorELNS0_4arch9wavefront6targetE0EEEvSK_
; %bb.0:
	.section	.rodata,"a",@progbits
	.p2align	6, 0x0
	.amdhsa_kernel _ZN7rocprim17ROCPRIM_400000_NS6detail17trampoline_kernelINS0_14default_configENS1_36segmented_radix_sort_config_selectorIflEEZNS1_25segmented_radix_sort_implIS3_Lb1EPKfPfPKlPlN2at6native12_GLOBAL__N_18offset_tEEE10hipError_tPvRmT1_PNSt15iterator_traitsISK_E10value_typeET2_T3_PNSL_ISQ_E10value_typeET4_jRbjT5_SW_jjP12ihipStream_tbEUlT_E2_NS1_11comp_targetILNS1_3genE8ELNS1_11target_archE1030ELNS1_3gpuE2ELNS1_3repE0EEENS1_30default_config_static_selectorELNS0_4arch9wavefront6targetE0EEEvSK_
		.amdhsa_group_segment_fixed_size 0
		.amdhsa_private_segment_fixed_size 0
		.amdhsa_kernarg_size 80
		.amdhsa_user_sgpr_count 15
		.amdhsa_user_sgpr_dispatch_ptr 0
		.amdhsa_user_sgpr_queue_ptr 0
		.amdhsa_user_sgpr_kernarg_segment_ptr 1
		.amdhsa_user_sgpr_dispatch_id 0
		.amdhsa_user_sgpr_private_segment_size 0
		.amdhsa_wavefront_size32 1
		.amdhsa_uses_dynamic_stack 0
		.amdhsa_enable_private_segment 0
		.amdhsa_system_sgpr_workgroup_id_x 1
		.amdhsa_system_sgpr_workgroup_id_y 0
		.amdhsa_system_sgpr_workgroup_id_z 0
		.amdhsa_system_sgpr_workgroup_info 0
		.amdhsa_system_vgpr_workitem_id 0
		.amdhsa_next_free_vgpr 1
		.amdhsa_next_free_sgpr 1
		.amdhsa_reserve_vcc 0
		.amdhsa_float_round_mode_32 0
		.amdhsa_float_round_mode_16_64 0
		.amdhsa_float_denorm_mode_32 3
		.amdhsa_float_denorm_mode_16_64 3
		.amdhsa_dx10_clamp 1
		.amdhsa_ieee_mode 1
		.amdhsa_fp16_overflow 0
		.amdhsa_workgroup_processor_mode 1
		.amdhsa_memory_ordered 1
		.amdhsa_forward_progress 0
		.amdhsa_shared_vgpr_count 0
		.amdhsa_exception_fp_ieee_invalid_op 0
		.amdhsa_exception_fp_denorm_src 0
		.amdhsa_exception_fp_ieee_div_zero 0
		.amdhsa_exception_fp_ieee_overflow 0
		.amdhsa_exception_fp_ieee_underflow 0
		.amdhsa_exception_fp_ieee_inexact 0
		.amdhsa_exception_int_div_zero 0
	.end_amdhsa_kernel
	.section	.text._ZN7rocprim17ROCPRIM_400000_NS6detail17trampoline_kernelINS0_14default_configENS1_36segmented_radix_sort_config_selectorIflEEZNS1_25segmented_radix_sort_implIS3_Lb1EPKfPfPKlPlN2at6native12_GLOBAL__N_18offset_tEEE10hipError_tPvRmT1_PNSt15iterator_traitsISK_E10value_typeET2_T3_PNSL_ISQ_E10value_typeET4_jRbjT5_SW_jjP12ihipStream_tbEUlT_E2_NS1_11comp_targetILNS1_3genE8ELNS1_11target_archE1030ELNS1_3gpuE2ELNS1_3repE0EEENS1_30default_config_static_selectorELNS0_4arch9wavefront6targetE0EEEvSK_,"axG",@progbits,_ZN7rocprim17ROCPRIM_400000_NS6detail17trampoline_kernelINS0_14default_configENS1_36segmented_radix_sort_config_selectorIflEEZNS1_25segmented_radix_sort_implIS3_Lb1EPKfPfPKlPlN2at6native12_GLOBAL__N_18offset_tEEE10hipError_tPvRmT1_PNSt15iterator_traitsISK_E10value_typeET2_T3_PNSL_ISQ_E10value_typeET4_jRbjT5_SW_jjP12ihipStream_tbEUlT_E2_NS1_11comp_targetILNS1_3genE8ELNS1_11target_archE1030ELNS1_3gpuE2ELNS1_3repE0EEENS1_30default_config_static_selectorELNS0_4arch9wavefront6targetE0EEEvSK_,comdat
.Lfunc_end1363:
	.size	_ZN7rocprim17ROCPRIM_400000_NS6detail17trampoline_kernelINS0_14default_configENS1_36segmented_radix_sort_config_selectorIflEEZNS1_25segmented_radix_sort_implIS3_Lb1EPKfPfPKlPlN2at6native12_GLOBAL__N_18offset_tEEE10hipError_tPvRmT1_PNSt15iterator_traitsISK_E10value_typeET2_T3_PNSL_ISQ_E10value_typeET4_jRbjT5_SW_jjP12ihipStream_tbEUlT_E2_NS1_11comp_targetILNS1_3genE8ELNS1_11target_archE1030ELNS1_3gpuE2ELNS1_3repE0EEENS1_30default_config_static_selectorELNS0_4arch9wavefront6targetE0EEEvSK_, .Lfunc_end1363-_ZN7rocprim17ROCPRIM_400000_NS6detail17trampoline_kernelINS0_14default_configENS1_36segmented_radix_sort_config_selectorIflEEZNS1_25segmented_radix_sort_implIS3_Lb1EPKfPfPKlPlN2at6native12_GLOBAL__N_18offset_tEEE10hipError_tPvRmT1_PNSt15iterator_traitsISK_E10value_typeET2_T3_PNSL_ISQ_E10value_typeET4_jRbjT5_SW_jjP12ihipStream_tbEUlT_E2_NS1_11comp_targetILNS1_3genE8ELNS1_11target_archE1030ELNS1_3gpuE2ELNS1_3repE0EEENS1_30default_config_static_selectorELNS0_4arch9wavefront6targetE0EEEvSK_
                                        ; -- End function
	.section	.AMDGPU.csdata,"",@progbits
; Kernel info:
; codeLenInByte = 0
; NumSgprs: 0
; NumVgprs: 0
; ScratchSize: 0
; MemoryBound: 0
; FloatMode: 240
; IeeeMode: 1
; LDSByteSize: 0 bytes/workgroup (compile time only)
; SGPRBlocks: 0
; VGPRBlocks: 0
; NumSGPRsForWavesPerEU: 1
; NumVGPRsForWavesPerEU: 1
; Occupancy: 16
; WaveLimiterHint : 0
; COMPUTE_PGM_RSRC2:SCRATCH_EN: 0
; COMPUTE_PGM_RSRC2:USER_SGPR: 15
; COMPUTE_PGM_RSRC2:TRAP_HANDLER: 0
; COMPUTE_PGM_RSRC2:TGID_X_EN: 1
; COMPUTE_PGM_RSRC2:TGID_Y_EN: 0
; COMPUTE_PGM_RSRC2:TGID_Z_EN: 0
; COMPUTE_PGM_RSRC2:TIDIG_COMP_CNT: 0
	.section	.text._ZN7rocprim17ROCPRIM_400000_NS6detail17trampoline_kernelINS0_13select_configILj256ELj13ELNS0_17block_load_methodE3ELS4_3ELS4_3ELNS0_20block_scan_algorithmE0ELj4294967295EEENS1_25partition_config_selectorILNS1_17partition_subalgoE4EjNS0_10empty_typeEbEEZZNS1_14partition_implILS8_4ELb0ES6_15HIP_vector_typeIjLj2EENS0_17counting_iteratorIjlEEPS9_SG_NS0_5tupleIJPjSI_NS0_16reverse_iteratorISI_EEEEENSH_IJSG_SG_SG_EEES9_SI_JZNS1_25segmented_radix_sort_implINS0_14default_configELb0EPKfPfPKlPlN2at6native12_GLOBAL__N_18offset_tEEE10hipError_tPvRmT1_PNSt15iterator_traitsIS12_E10value_typeET2_T3_PNS13_IS18_E10value_typeET4_jRbjT5_S1E_jjP12ihipStream_tbEUljE_ZNSN_ISO_Lb0ESQ_SR_ST_SU_SY_EESZ_S10_S11_S12_S16_S17_S18_S1B_S1C_jS1D_jS1E_S1E_jjS1G_bEUljE0_EEESZ_S10_S11_S18_S1C_S1E_T6_T7_T9_mT8_S1G_bDpT10_ENKUlT_T0_E_clISt17integral_constantIbLb0EES1U_EEDaS1P_S1Q_EUlS1P_E_NS1_11comp_targetILNS1_3genE0ELNS1_11target_archE4294967295ELNS1_3gpuE0ELNS1_3repE0EEENS1_30default_config_static_selectorELNS0_4arch9wavefront6targetE0EEEvS12_,"axG",@progbits,_ZN7rocprim17ROCPRIM_400000_NS6detail17trampoline_kernelINS0_13select_configILj256ELj13ELNS0_17block_load_methodE3ELS4_3ELS4_3ELNS0_20block_scan_algorithmE0ELj4294967295EEENS1_25partition_config_selectorILNS1_17partition_subalgoE4EjNS0_10empty_typeEbEEZZNS1_14partition_implILS8_4ELb0ES6_15HIP_vector_typeIjLj2EENS0_17counting_iteratorIjlEEPS9_SG_NS0_5tupleIJPjSI_NS0_16reverse_iteratorISI_EEEEENSH_IJSG_SG_SG_EEES9_SI_JZNS1_25segmented_radix_sort_implINS0_14default_configELb0EPKfPfPKlPlN2at6native12_GLOBAL__N_18offset_tEEE10hipError_tPvRmT1_PNSt15iterator_traitsIS12_E10value_typeET2_T3_PNS13_IS18_E10value_typeET4_jRbjT5_S1E_jjP12ihipStream_tbEUljE_ZNSN_ISO_Lb0ESQ_SR_ST_SU_SY_EESZ_S10_S11_S12_S16_S17_S18_S1B_S1C_jS1D_jS1E_S1E_jjS1G_bEUljE0_EEESZ_S10_S11_S18_S1C_S1E_T6_T7_T9_mT8_S1G_bDpT10_ENKUlT_T0_E_clISt17integral_constantIbLb0EES1U_EEDaS1P_S1Q_EUlS1P_E_NS1_11comp_targetILNS1_3genE0ELNS1_11target_archE4294967295ELNS1_3gpuE0ELNS1_3repE0EEENS1_30default_config_static_selectorELNS0_4arch9wavefront6targetE0EEEvS12_,comdat
	.globl	_ZN7rocprim17ROCPRIM_400000_NS6detail17trampoline_kernelINS0_13select_configILj256ELj13ELNS0_17block_load_methodE3ELS4_3ELS4_3ELNS0_20block_scan_algorithmE0ELj4294967295EEENS1_25partition_config_selectorILNS1_17partition_subalgoE4EjNS0_10empty_typeEbEEZZNS1_14partition_implILS8_4ELb0ES6_15HIP_vector_typeIjLj2EENS0_17counting_iteratorIjlEEPS9_SG_NS0_5tupleIJPjSI_NS0_16reverse_iteratorISI_EEEEENSH_IJSG_SG_SG_EEES9_SI_JZNS1_25segmented_radix_sort_implINS0_14default_configELb0EPKfPfPKlPlN2at6native12_GLOBAL__N_18offset_tEEE10hipError_tPvRmT1_PNSt15iterator_traitsIS12_E10value_typeET2_T3_PNS13_IS18_E10value_typeET4_jRbjT5_S1E_jjP12ihipStream_tbEUljE_ZNSN_ISO_Lb0ESQ_SR_ST_SU_SY_EESZ_S10_S11_S12_S16_S17_S18_S1B_S1C_jS1D_jS1E_S1E_jjS1G_bEUljE0_EEESZ_S10_S11_S18_S1C_S1E_T6_T7_T9_mT8_S1G_bDpT10_ENKUlT_T0_E_clISt17integral_constantIbLb0EES1U_EEDaS1P_S1Q_EUlS1P_E_NS1_11comp_targetILNS1_3genE0ELNS1_11target_archE4294967295ELNS1_3gpuE0ELNS1_3repE0EEENS1_30default_config_static_selectorELNS0_4arch9wavefront6targetE0EEEvS12_ ; -- Begin function _ZN7rocprim17ROCPRIM_400000_NS6detail17trampoline_kernelINS0_13select_configILj256ELj13ELNS0_17block_load_methodE3ELS4_3ELS4_3ELNS0_20block_scan_algorithmE0ELj4294967295EEENS1_25partition_config_selectorILNS1_17partition_subalgoE4EjNS0_10empty_typeEbEEZZNS1_14partition_implILS8_4ELb0ES6_15HIP_vector_typeIjLj2EENS0_17counting_iteratorIjlEEPS9_SG_NS0_5tupleIJPjSI_NS0_16reverse_iteratorISI_EEEEENSH_IJSG_SG_SG_EEES9_SI_JZNS1_25segmented_radix_sort_implINS0_14default_configELb0EPKfPfPKlPlN2at6native12_GLOBAL__N_18offset_tEEE10hipError_tPvRmT1_PNSt15iterator_traitsIS12_E10value_typeET2_T3_PNS13_IS18_E10value_typeET4_jRbjT5_S1E_jjP12ihipStream_tbEUljE_ZNSN_ISO_Lb0ESQ_SR_ST_SU_SY_EESZ_S10_S11_S12_S16_S17_S18_S1B_S1C_jS1D_jS1E_S1E_jjS1G_bEUljE0_EEESZ_S10_S11_S18_S1C_S1E_T6_T7_T9_mT8_S1G_bDpT10_ENKUlT_T0_E_clISt17integral_constantIbLb0EES1U_EEDaS1P_S1Q_EUlS1P_E_NS1_11comp_targetILNS1_3genE0ELNS1_11target_archE4294967295ELNS1_3gpuE0ELNS1_3repE0EEENS1_30default_config_static_selectorELNS0_4arch9wavefront6targetE0EEEvS12_
	.p2align	8
	.type	_ZN7rocprim17ROCPRIM_400000_NS6detail17trampoline_kernelINS0_13select_configILj256ELj13ELNS0_17block_load_methodE3ELS4_3ELS4_3ELNS0_20block_scan_algorithmE0ELj4294967295EEENS1_25partition_config_selectorILNS1_17partition_subalgoE4EjNS0_10empty_typeEbEEZZNS1_14partition_implILS8_4ELb0ES6_15HIP_vector_typeIjLj2EENS0_17counting_iteratorIjlEEPS9_SG_NS0_5tupleIJPjSI_NS0_16reverse_iteratorISI_EEEEENSH_IJSG_SG_SG_EEES9_SI_JZNS1_25segmented_radix_sort_implINS0_14default_configELb0EPKfPfPKlPlN2at6native12_GLOBAL__N_18offset_tEEE10hipError_tPvRmT1_PNSt15iterator_traitsIS12_E10value_typeET2_T3_PNS13_IS18_E10value_typeET4_jRbjT5_S1E_jjP12ihipStream_tbEUljE_ZNSN_ISO_Lb0ESQ_SR_ST_SU_SY_EESZ_S10_S11_S12_S16_S17_S18_S1B_S1C_jS1D_jS1E_S1E_jjS1G_bEUljE0_EEESZ_S10_S11_S18_S1C_S1E_T6_T7_T9_mT8_S1G_bDpT10_ENKUlT_T0_E_clISt17integral_constantIbLb0EES1U_EEDaS1P_S1Q_EUlS1P_E_NS1_11comp_targetILNS1_3genE0ELNS1_11target_archE4294967295ELNS1_3gpuE0ELNS1_3repE0EEENS1_30default_config_static_selectorELNS0_4arch9wavefront6targetE0EEEvS12_,@function
_ZN7rocprim17ROCPRIM_400000_NS6detail17trampoline_kernelINS0_13select_configILj256ELj13ELNS0_17block_load_methodE3ELS4_3ELS4_3ELNS0_20block_scan_algorithmE0ELj4294967295EEENS1_25partition_config_selectorILNS1_17partition_subalgoE4EjNS0_10empty_typeEbEEZZNS1_14partition_implILS8_4ELb0ES6_15HIP_vector_typeIjLj2EENS0_17counting_iteratorIjlEEPS9_SG_NS0_5tupleIJPjSI_NS0_16reverse_iteratorISI_EEEEENSH_IJSG_SG_SG_EEES9_SI_JZNS1_25segmented_radix_sort_implINS0_14default_configELb0EPKfPfPKlPlN2at6native12_GLOBAL__N_18offset_tEEE10hipError_tPvRmT1_PNSt15iterator_traitsIS12_E10value_typeET2_T3_PNS13_IS18_E10value_typeET4_jRbjT5_S1E_jjP12ihipStream_tbEUljE_ZNSN_ISO_Lb0ESQ_SR_ST_SU_SY_EESZ_S10_S11_S12_S16_S17_S18_S1B_S1C_jS1D_jS1E_S1E_jjS1G_bEUljE0_EEESZ_S10_S11_S18_S1C_S1E_T6_T7_T9_mT8_S1G_bDpT10_ENKUlT_T0_E_clISt17integral_constantIbLb0EES1U_EEDaS1P_S1Q_EUlS1P_E_NS1_11comp_targetILNS1_3genE0ELNS1_11target_archE4294967295ELNS1_3gpuE0ELNS1_3repE0EEENS1_30default_config_static_selectorELNS0_4arch9wavefront6targetE0EEEvS12_: ; @_ZN7rocprim17ROCPRIM_400000_NS6detail17trampoline_kernelINS0_13select_configILj256ELj13ELNS0_17block_load_methodE3ELS4_3ELS4_3ELNS0_20block_scan_algorithmE0ELj4294967295EEENS1_25partition_config_selectorILNS1_17partition_subalgoE4EjNS0_10empty_typeEbEEZZNS1_14partition_implILS8_4ELb0ES6_15HIP_vector_typeIjLj2EENS0_17counting_iteratorIjlEEPS9_SG_NS0_5tupleIJPjSI_NS0_16reverse_iteratorISI_EEEEENSH_IJSG_SG_SG_EEES9_SI_JZNS1_25segmented_radix_sort_implINS0_14default_configELb0EPKfPfPKlPlN2at6native12_GLOBAL__N_18offset_tEEE10hipError_tPvRmT1_PNSt15iterator_traitsIS12_E10value_typeET2_T3_PNS13_IS18_E10value_typeET4_jRbjT5_S1E_jjP12ihipStream_tbEUljE_ZNSN_ISO_Lb0ESQ_SR_ST_SU_SY_EESZ_S10_S11_S12_S16_S17_S18_S1B_S1C_jS1D_jS1E_S1E_jjS1G_bEUljE0_EEESZ_S10_S11_S18_S1C_S1E_T6_T7_T9_mT8_S1G_bDpT10_ENKUlT_T0_E_clISt17integral_constantIbLb0EES1U_EEDaS1P_S1Q_EUlS1P_E_NS1_11comp_targetILNS1_3genE0ELNS1_11target_archE4294967295ELNS1_3gpuE0ELNS1_3repE0EEENS1_30default_config_static_selectorELNS0_4arch9wavefront6targetE0EEEvS12_
; %bb.0:
	.section	.rodata,"a",@progbits
	.p2align	6, 0x0
	.amdhsa_kernel _ZN7rocprim17ROCPRIM_400000_NS6detail17trampoline_kernelINS0_13select_configILj256ELj13ELNS0_17block_load_methodE3ELS4_3ELS4_3ELNS0_20block_scan_algorithmE0ELj4294967295EEENS1_25partition_config_selectorILNS1_17partition_subalgoE4EjNS0_10empty_typeEbEEZZNS1_14partition_implILS8_4ELb0ES6_15HIP_vector_typeIjLj2EENS0_17counting_iteratorIjlEEPS9_SG_NS0_5tupleIJPjSI_NS0_16reverse_iteratorISI_EEEEENSH_IJSG_SG_SG_EEES9_SI_JZNS1_25segmented_radix_sort_implINS0_14default_configELb0EPKfPfPKlPlN2at6native12_GLOBAL__N_18offset_tEEE10hipError_tPvRmT1_PNSt15iterator_traitsIS12_E10value_typeET2_T3_PNS13_IS18_E10value_typeET4_jRbjT5_S1E_jjP12ihipStream_tbEUljE_ZNSN_ISO_Lb0ESQ_SR_ST_SU_SY_EESZ_S10_S11_S12_S16_S17_S18_S1B_S1C_jS1D_jS1E_S1E_jjS1G_bEUljE0_EEESZ_S10_S11_S18_S1C_S1E_T6_T7_T9_mT8_S1G_bDpT10_ENKUlT_T0_E_clISt17integral_constantIbLb0EES1U_EEDaS1P_S1Q_EUlS1P_E_NS1_11comp_targetILNS1_3genE0ELNS1_11target_archE4294967295ELNS1_3gpuE0ELNS1_3repE0EEENS1_30default_config_static_selectorELNS0_4arch9wavefront6targetE0EEEvS12_
		.amdhsa_group_segment_fixed_size 0
		.amdhsa_private_segment_fixed_size 0
		.amdhsa_kernarg_size 176
		.amdhsa_user_sgpr_count 15
		.amdhsa_user_sgpr_dispatch_ptr 0
		.amdhsa_user_sgpr_queue_ptr 0
		.amdhsa_user_sgpr_kernarg_segment_ptr 1
		.amdhsa_user_sgpr_dispatch_id 0
		.amdhsa_user_sgpr_private_segment_size 0
		.amdhsa_wavefront_size32 1
		.amdhsa_uses_dynamic_stack 0
		.amdhsa_enable_private_segment 0
		.amdhsa_system_sgpr_workgroup_id_x 1
		.amdhsa_system_sgpr_workgroup_id_y 0
		.amdhsa_system_sgpr_workgroup_id_z 0
		.amdhsa_system_sgpr_workgroup_info 0
		.amdhsa_system_vgpr_workitem_id 0
		.amdhsa_next_free_vgpr 1
		.amdhsa_next_free_sgpr 1
		.amdhsa_reserve_vcc 0
		.amdhsa_float_round_mode_32 0
		.amdhsa_float_round_mode_16_64 0
		.amdhsa_float_denorm_mode_32 3
		.amdhsa_float_denorm_mode_16_64 3
		.amdhsa_dx10_clamp 1
		.amdhsa_ieee_mode 1
		.amdhsa_fp16_overflow 0
		.amdhsa_workgroup_processor_mode 1
		.amdhsa_memory_ordered 1
		.amdhsa_forward_progress 0
		.amdhsa_shared_vgpr_count 0
		.amdhsa_exception_fp_ieee_invalid_op 0
		.amdhsa_exception_fp_denorm_src 0
		.amdhsa_exception_fp_ieee_div_zero 0
		.amdhsa_exception_fp_ieee_overflow 0
		.amdhsa_exception_fp_ieee_underflow 0
		.amdhsa_exception_fp_ieee_inexact 0
		.amdhsa_exception_int_div_zero 0
	.end_amdhsa_kernel
	.section	.text._ZN7rocprim17ROCPRIM_400000_NS6detail17trampoline_kernelINS0_13select_configILj256ELj13ELNS0_17block_load_methodE3ELS4_3ELS4_3ELNS0_20block_scan_algorithmE0ELj4294967295EEENS1_25partition_config_selectorILNS1_17partition_subalgoE4EjNS0_10empty_typeEbEEZZNS1_14partition_implILS8_4ELb0ES6_15HIP_vector_typeIjLj2EENS0_17counting_iteratorIjlEEPS9_SG_NS0_5tupleIJPjSI_NS0_16reverse_iteratorISI_EEEEENSH_IJSG_SG_SG_EEES9_SI_JZNS1_25segmented_radix_sort_implINS0_14default_configELb0EPKfPfPKlPlN2at6native12_GLOBAL__N_18offset_tEEE10hipError_tPvRmT1_PNSt15iterator_traitsIS12_E10value_typeET2_T3_PNS13_IS18_E10value_typeET4_jRbjT5_S1E_jjP12ihipStream_tbEUljE_ZNSN_ISO_Lb0ESQ_SR_ST_SU_SY_EESZ_S10_S11_S12_S16_S17_S18_S1B_S1C_jS1D_jS1E_S1E_jjS1G_bEUljE0_EEESZ_S10_S11_S18_S1C_S1E_T6_T7_T9_mT8_S1G_bDpT10_ENKUlT_T0_E_clISt17integral_constantIbLb0EES1U_EEDaS1P_S1Q_EUlS1P_E_NS1_11comp_targetILNS1_3genE0ELNS1_11target_archE4294967295ELNS1_3gpuE0ELNS1_3repE0EEENS1_30default_config_static_selectorELNS0_4arch9wavefront6targetE0EEEvS12_,"axG",@progbits,_ZN7rocprim17ROCPRIM_400000_NS6detail17trampoline_kernelINS0_13select_configILj256ELj13ELNS0_17block_load_methodE3ELS4_3ELS4_3ELNS0_20block_scan_algorithmE0ELj4294967295EEENS1_25partition_config_selectorILNS1_17partition_subalgoE4EjNS0_10empty_typeEbEEZZNS1_14partition_implILS8_4ELb0ES6_15HIP_vector_typeIjLj2EENS0_17counting_iteratorIjlEEPS9_SG_NS0_5tupleIJPjSI_NS0_16reverse_iteratorISI_EEEEENSH_IJSG_SG_SG_EEES9_SI_JZNS1_25segmented_radix_sort_implINS0_14default_configELb0EPKfPfPKlPlN2at6native12_GLOBAL__N_18offset_tEEE10hipError_tPvRmT1_PNSt15iterator_traitsIS12_E10value_typeET2_T3_PNS13_IS18_E10value_typeET4_jRbjT5_S1E_jjP12ihipStream_tbEUljE_ZNSN_ISO_Lb0ESQ_SR_ST_SU_SY_EESZ_S10_S11_S12_S16_S17_S18_S1B_S1C_jS1D_jS1E_S1E_jjS1G_bEUljE0_EEESZ_S10_S11_S18_S1C_S1E_T6_T7_T9_mT8_S1G_bDpT10_ENKUlT_T0_E_clISt17integral_constantIbLb0EES1U_EEDaS1P_S1Q_EUlS1P_E_NS1_11comp_targetILNS1_3genE0ELNS1_11target_archE4294967295ELNS1_3gpuE0ELNS1_3repE0EEENS1_30default_config_static_selectorELNS0_4arch9wavefront6targetE0EEEvS12_,comdat
.Lfunc_end1364:
	.size	_ZN7rocprim17ROCPRIM_400000_NS6detail17trampoline_kernelINS0_13select_configILj256ELj13ELNS0_17block_load_methodE3ELS4_3ELS4_3ELNS0_20block_scan_algorithmE0ELj4294967295EEENS1_25partition_config_selectorILNS1_17partition_subalgoE4EjNS0_10empty_typeEbEEZZNS1_14partition_implILS8_4ELb0ES6_15HIP_vector_typeIjLj2EENS0_17counting_iteratorIjlEEPS9_SG_NS0_5tupleIJPjSI_NS0_16reverse_iteratorISI_EEEEENSH_IJSG_SG_SG_EEES9_SI_JZNS1_25segmented_radix_sort_implINS0_14default_configELb0EPKfPfPKlPlN2at6native12_GLOBAL__N_18offset_tEEE10hipError_tPvRmT1_PNSt15iterator_traitsIS12_E10value_typeET2_T3_PNS13_IS18_E10value_typeET4_jRbjT5_S1E_jjP12ihipStream_tbEUljE_ZNSN_ISO_Lb0ESQ_SR_ST_SU_SY_EESZ_S10_S11_S12_S16_S17_S18_S1B_S1C_jS1D_jS1E_S1E_jjS1G_bEUljE0_EEESZ_S10_S11_S18_S1C_S1E_T6_T7_T9_mT8_S1G_bDpT10_ENKUlT_T0_E_clISt17integral_constantIbLb0EES1U_EEDaS1P_S1Q_EUlS1P_E_NS1_11comp_targetILNS1_3genE0ELNS1_11target_archE4294967295ELNS1_3gpuE0ELNS1_3repE0EEENS1_30default_config_static_selectorELNS0_4arch9wavefront6targetE0EEEvS12_, .Lfunc_end1364-_ZN7rocprim17ROCPRIM_400000_NS6detail17trampoline_kernelINS0_13select_configILj256ELj13ELNS0_17block_load_methodE3ELS4_3ELS4_3ELNS0_20block_scan_algorithmE0ELj4294967295EEENS1_25partition_config_selectorILNS1_17partition_subalgoE4EjNS0_10empty_typeEbEEZZNS1_14partition_implILS8_4ELb0ES6_15HIP_vector_typeIjLj2EENS0_17counting_iteratorIjlEEPS9_SG_NS0_5tupleIJPjSI_NS0_16reverse_iteratorISI_EEEEENSH_IJSG_SG_SG_EEES9_SI_JZNS1_25segmented_radix_sort_implINS0_14default_configELb0EPKfPfPKlPlN2at6native12_GLOBAL__N_18offset_tEEE10hipError_tPvRmT1_PNSt15iterator_traitsIS12_E10value_typeET2_T3_PNS13_IS18_E10value_typeET4_jRbjT5_S1E_jjP12ihipStream_tbEUljE_ZNSN_ISO_Lb0ESQ_SR_ST_SU_SY_EESZ_S10_S11_S12_S16_S17_S18_S1B_S1C_jS1D_jS1E_S1E_jjS1G_bEUljE0_EEESZ_S10_S11_S18_S1C_S1E_T6_T7_T9_mT8_S1G_bDpT10_ENKUlT_T0_E_clISt17integral_constantIbLb0EES1U_EEDaS1P_S1Q_EUlS1P_E_NS1_11comp_targetILNS1_3genE0ELNS1_11target_archE4294967295ELNS1_3gpuE0ELNS1_3repE0EEENS1_30default_config_static_selectorELNS0_4arch9wavefront6targetE0EEEvS12_
                                        ; -- End function
	.section	.AMDGPU.csdata,"",@progbits
; Kernel info:
; codeLenInByte = 0
; NumSgprs: 0
; NumVgprs: 0
; ScratchSize: 0
; MemoryBound: 0
; FloatMode: 240
; IeeeMode: 1
; LDSByteSize: 0 bytes/workgroup (compile time only)
; SGPRBlocks: 0
; VGPRBlocks: 0
; NumSGPRsForWavesPerEU: 1
; NumVGPRsForWavesPerEU: 1
; Occupancy: 16
; WaveLimiterHint : 0
; COMPUTE_PGM_RSRC2:SCRATCH_EN: 0
; COMPUTE_PGM_RSRC2:USER_SGPR: 15
; COMPUTE_PGM_RSRC2:TRAP_HANDLER: 0
; COMPUTE_PGM_RSRC2:TGID_X_EN: 1
; COMPUTE_PGM_RSRC2:TGID_Y_EN: 0
; COMPUTE_PGM_RSRC2:TGID_Z_EN: 0
; COMPUTE_PGM_RSRC2:TIDIG_COMP_CNT: 0
	.section	.text._ZN7rocprim17ROCPRIM_400000_NS6detail17trampoline_kernelINS0_13select_configILj256ELj13ELNS0_17block_load_methodE3ELS4_3ELS4_3ELNS0_20block_scan_algorithmE0ELj4294967295EEENS1_25partition_config_selectorILNS1_17partition_subalgoE4EjNS0_10empty_typeEbEEZZNS1_14partition_implILS8_4ELb0ES6_15HIP_vector_typeIjLj2EENS0_17counting_iteratorIjlEEPS9_SG_NS0_5tupleIJPjSI_NS0_16reverse_iteratorISI_EEEEENSH_IJSG_SG_SG_EEES9_SI_JZNS1_25segmented_radix_sort_implINS0_14default_configELb0EPKfPfPKlPlN2at6native12_GLOBAL__N_18offset_tEEE10hipError_tPvRmT1_PNSt15iterator_traitsIS12_E10value_typeET2_T3_PNS13_IS18_E10value_typeET4_jRbjT5_S1E_jjP12ihipStream_tbEUljE_ZNSN_ISO_Lb0ESQ_SR_ST_SU_SY_EESZ_S10_S11_S12_S16_S17_S18_S1B_S1C_jS1D_jS1E_S1E_jjS1G_bEUljE0_EEESZ_S10_S11_S18_S1C_S1E_T6_T7_T9_mT8_S1G_bDpT10_ENKUlT_T0_E_clISt17integral_constantIbLb0EES1U_EEDaS1P_S1Q_EUlS1P_E_NS1_11comp_targetILNS1_3genE5ELNS1_11target_archE942ELNS1_3gpuE9ELNS1_3repE0EEENS1_30default_config_static_selectorELNS0_4arch9wavefront6targetE0EEEvS12_,"axG",@progbits,_ZN7rocprim17ROCPRIM_400000_NS6detail17trampoline_kernelINS0_13select_configILj256ELj13ELNS0_17block_load_methodE3ELS4_3ELS4_3ELNS0_20block_scan_algorithmE0ELj4294967295EEENS1_25partition_config_selectorILNS1_17partition_subalgoE4EjNS0_10empty_typeEbEEZZNS1_14partition_implILS8_4ELb0ES6_15HIP_vector_typeIjLj2EENS0_17counting_iteratorIjlEEPS9_SG_NS0_5tupleIJPjSI_NS0_16reverse_iteratorISI_EEEEENSH_IJSG_SG_SG_EEES9_SI_JZNS1_25segmented_radix_sort_implINS0_14default_configELb0EPKfPfPKlPlN2at6native12_GLOBAL__N_18offset_tEEE10hipError_tPvRmT1_PNSt15iterator_traitsIS12_E10value_typeET2_T3_PNS13_IS18_E10value_typeET4_jRbjT5_S1E_jjP12ihipStream_tbEUljE_ZNSN_ISO_Lb0ESQ_SR_ST_SU_SY_EESZ_S10_S11_S12_S16_S17_S18_S1B_S1C_jS1D_jS1E_S1E_jjS1G_bEUljE0_EEESZ_S10_S11_S18_S1C_S1E_T6_T7_T9_mT8_S1G_bDpT10_ENKUlT_T0_E_clISt17integral_constantIbLb0EES1U_EEDaS1P_S1Q_EUlS1P_E_NS1_11comp_targetILNS1_3genE5ELNS1_11target_archE942ELNS1_3gpuE9ELNS1_3repE0EEENS1_30default_config_static_selectorELNS0_4arch9wavefront6targetE0EEEvS12_,comdat
	.globl	_ZN7rocprim17ROCPRIM_400000_NS6detail17trampoline_kernelINS0_13select_configILj256ELj13ELNS0_17block_load_methodE3ELS4_3ELS4_3ELNS0_20block_scan_algorithmE0ELj4294967295EEENS1_25partition_config_selectorILNS1_17partition_subalgoE4EjNS0_10empty_typeEbEEZZNS1_14partition_implILS8_4ELb0ES6_15HIP_vector_typeIjLj2EENS0_17counting_iteratorIjlEEPS9_SG_NS0_5tupleIJPjSI_NS0_16reverse_iteratorISI_EEEEENSH_IJSG_SG_SG_EEES9_SI_JZNS1_25segmented_radix_sort_implINS0_14default_configELb0EPKfPfPKlPlN2at6native12_GLOBAL__N_18offset_tEEE10hipError_tPvRmT1_PNSt15iterator_traitsIS12_E10value_typeET2_T3_PNS13_IS18_E10value_typeET4_jRbjT5_S1E_jjP12ihipStream_tbEUljE_ZNSN_ISO_Lb0ESQ_SR_ST_SU_SY_EESZ_S10_S11_S12_S16_S17_S18_S1B_S1C_jS1D_jS1E_S1E_jjS1G_bEUljE0_EEESZ_S10_S11_S18_S1C_S1E_T6_T7_T9_mT8_S1G_bDpT10_ENKUlT_T0_E_clISt17integral_constantIbLb0EES1U_EEDaS1P_S1Q_EUlS1P_E_NS1_11comp_targetILNS1_3genE5ELNS1_11target_archE942ELNS1_3gpuE9ELNS1_3repE0EEENS1_30default_config_static_selectorELNS0_4arch9wavefront6targetE0EEEvS12_ ; -- Begin function _ZN7rocprim17ROCPRIM_400000_NS6detail17trampoline_kernelINS0_13select_configILj256ELj13ELNS0_17block_load_methodE3ELS4_3ELS4_3ELNS0_20block_scan_algorithmE0ELj4294967295EEENS1_25partition_config_selectorILNS1_17partition_subalgoE4EjNS0_10empty_typeEbEEZZNS1_14partition_implILS8_4ELb0ES6_15HIP_vector_typeIjLj2EENS0_17counting_iteratorIjlEEPS9_SG_NS0_5tupleIJPjSI_NS0_16reverse_iteratorISI_EEEEENSH_IJSG_SG_SG_EEES9_SI_JZNS1_25segmented_radix_sort_implINS0_14default_configELb0EPKfPfPKlPlN2at6native12_GLOBAL__N_18offset_tEEE10hipError_tPvRmT1_PNSt15iterator_traitsIS12_E10value_typeET2_T3_PNS13_IS18_E10value_typeET4_jRbjT5_S1E_jjP12ihipStream_tbEUljE_ZNSN_ISO_Lb0ESQ_SR_ST_SU_SY_EESZ_S10_S11_S12_S16_S17_S18_S1B_S1C_jS1D_jS1E_S1E_jjS1G_bEUljE0_EEESZ_S10_S11_S18_S1C_S1E_T6_T7_T9_mT8_S1G_bDpT10_ENKUlT_T0_E_clISt17integral_constantIbLb0EES1U_EEDaS1P_S1Q_EUlS1P_E_NS1_11comp_targetILNS1_3genE5ELNS1_11target_archE942ELNS1_3gpuE9ELNS1_3repE0EEENS1_30default_config_static_selectorELNS0_4arch9wavefront6targetE0EEEvS12_
	.p2align	8
	.type	_ZN7rocprim17ROCPRIM_400000_NS6detail17trampoline_kernelINS0_13select_configILj256ELj13ELNS0_17block_load_methodE3ELS4_3ELS4_3ELNS0_20block_scan_algorithmE0ELj4294967295EEENS1_25partition_config_selectorILNS1_17partition_subalgoE4EjNS0_10empty_typeEbEEZZNS1_14partition_implILS8_4ELb0ES6_15HIP_vector_typeIjLj2EENS0_17counting_iteratorIjlEEPS9_SG_NS0_5tupleIJPjSI_NS0_16reverse_iteratorISI_EEEEENSH_IJSG_SG_SG_EEES9_SI_JZNS1_25segmented_radix_sort_implINS0_14default_configELb0EPKfPfPKlPlN2at6native12_GLOBAL__N_18offset_tEEE10hipError_tPvRmT1_PNSt15iterator_traitsIS12_E10value_typeET2_T3_PNS13_IS18_E10value_typeET4_jRbjT5_S1E_jjP12ihipStream_tbEUljE_ZNSN_ISO_Lb0ESQ_SR_ST_SU_SY_EESZ_S10_S11_S12_S16_S17_S18_S1B_S1C_jS1D_jS1E_S1E_jjS1G_bEUljE0_EEESZ_S10_S11_S18_S1C_S1E_T6_T7_T9_mT8_S1G_bDpT10_ENKUlT_T0_E_clISt17integral_constantIbLb0EES1U_EEDaS1P_S1Q_EUlS1P_E_NS1_11comp_targetILNS1_3genE5ELNS1_11target_archE942ELNS1_3gpuE9ELNS1_3repE0EEENS1_30default_config_static_selectorELNS0_4arch9wavefront6targetE0EEEvS12_,@function
_ZN7rocprim17ROCPRIM_400000_NS6detail17trampoline_kernelINS0_13select_configILj256ELj13ELNS0_17block_load_methodE3ELS4_3ELS4_3ELNS0_20block_scan_algorithmE0ELj4294967295EEENS1_25partition_config_selectorILNS1_17partition_subalgoE4EjNS0_10empty_typeEbEEZZNS1_14partition_implILS8_4ELb0ES6_15HIP_vector_typeIjLj2EENS0_17counting_iteratorIjlEEPS9_SG_NS0_5tupleIJPjSI_NS0_16reverse_iteratorISI_EEEEENSH_IJSG_SG_SG_EEES9_SI_JZNS1_25segmented_radix_sort_implINS0_14default_configELb0EPKfPfPKlPlN2at6native12_GLOBAL__N_18offset_tEEE10hipError_tPvRmT1_PNSt15iterator_traitsIS12_E10value_typeET2_T3_PNS13_IS18_E10value_typeET4_jRbjT5_S1E_jjP12ihipStream_tbEUljE_ZNSN_ISO_Lb0ESQ_SR_ST_SU_SY_EESZ_S10_S11_S12_S16_S17_S18_S1B_S1C_jS1D_jS1E_S1E_jjS1G_bEUljE0_EEESZ_S10_S11_S18_S1C_S1E_T6_T7_T9_mT8_S1G_bDpT10_ENKUlT_T0_E_clISt17integral_constantIbLb0EES1U_EEDaS1P_S1Q_EUlS1P_E_NS1_11comp_targetILNS1_3genE5ELNS1_11target_archE942ELNS1_3gpuE9ELNS1_3repE0EEENS1_30default_config_static_selectorELNS0_4arch9wavefront6targetE0EEEvS12_: ; @_ZN7rocprim17ROCPRIM_400000_NS6detail17trampoline_kernelINS0_13select_configILj256ELj13ELNS0_17block_load_methodE3ELS4_3ELS4_3ELNS0_20block_scan_algorithmE0ELj4294967295EEENS1_25partition_config_selectorILNS1_17partition_subalgoE4EjNS0_10empty_typeEbEEZZNS1_14partition_implILS8_4ELb0ES6_15HIP_vector_typeIjLj2EENS0_17counting_iteratorIjlEEPS9_SG_NS0_5tupleIJPjSI_NS0_16reverse_iteratorISI_EEEEENSH_IJSG_SG_SG_EEES9_SI_JZNS1_25segmented_radix_sort_implINS0_14default_configELb0EPKfPfPKlPlN2at6native12_GLOBAL__N_18offset_tEEE10hipError_tPvRmT1_PNSt15iterator_traitsIS12_E10value_typeET2_T3_PNS13_IS18_E10value_typeET4_jRbjT5_S1E_jjP12ihipStream_tbEUljE_ZNSN_ISO_Lb0ESQ_SR_ST_SU_SY_EESZ_S10_S11_S12_S16_S17_S18_S1B_S1C_jS1D_jS1E_S1E_jjS1G_bEUljE0_EEESZ_S10_S11_S18_S1C_S1E_T6_T7_T9_mT8_S1G_bDpT10_ENKUlT_T0_E_clISt17integral_constantIbLb0EES1U_EEDaS1P_S1Q_EUlS1P_E_NS1_11comp_targetILNS1_3genE5ELNS1_11target_archE942ELNS1_3gpuE9ELNS1_3repE0EEENS1_30default_config_static_selectorELNS0_4arch9wavefront6targetE0EEEvS12_
; %bb.0:
	.section	.rodata,"a",@progbits
	.p2align	6, 0x0
	.amdhsa_kernel _ZN7rocprim17ROCPRIM_400000_NS6detail17trampoline_kernelINS0_13select_configILj256ELj13ELNS0_17block_load_methodE3ELS4_3ELS4_3ELNS0_20block_scan_algorithmE0ELj4294967295EEENS1_25partition_config_selectorILNS1_17partition_subalgoE4EjNS0_10empty_typeEbEEZZNS1_14partition_implILS8_4ELb0ES6_15HIP_vector_typeIjLj2EENS0_17counting_iteratorIjlEEPS9_SG_NS0_5tupleIJPjSI_NS0_16reverse_iteratorISI_EEEEENSH_IJSG_SG_SG_EEES9_SI_JZNS1_25segmented_radix_sort_implINS0_14default_configELb0EPKfPfPKlPlN2at6native12_GLOBAL__N_18offset_tEEE10hipError_tPvRmT1_PNSt15iterator_traitsIS12_E10value_typeET2_T3_PNS13_IS18_E10value_typeET4_jRbjT5_S1E_jjP12ihipStream_tbEUljE_ZNSN_ISO_Lb0ESQ_SR_ST_SU_SY_EESZ_S10_S11_S12_S16_S17_S18_S1B_S1C_jS1D_jS1E_S1E_jjS1G_bEUljE0_EEESZ_S10_S11_S18_S1C_S1E_T6_T7_T9_mT8_S1G_bDpT10_ENKUlT_T0_E_clISt17integral_constantIbLb0EES1U_EEDaS1P_S1Q_EUlS1P_E_NS1_11comp_targetILNS1_3genE5ELNS1_11target_archE942ELNS1_3gpuE9ELNS1_3repE0EEENS1_30default_config_static_selectorELNS0_4arch9wavefront6targetE0EEEvS12_
		.amdhsa_group_segment_fixed_size 0
		.amdhsa_private_segment_fixed_size 0
		.amdhsa_kernarg_size 176
		.amdhsa_user_sgpr_count 15
		.amdhsa_user_sgpr_dispatch_ptr 0
		.amdhsa_user_sgpr_queue_ptr 0
		.amdhsa_user_sgpr_kernarg_segment_ptr 1
		.amdhsa_user_sgpr_dispatch_id 0
		.amdhsa_user_sgpr_private_segment_size 0
		.amdhsa_wavefront_size32 1
		.amdhsa_uses_dynamic_stack 0
		.amdhsa_enable_private_segment 0
		.amdhsa_system_sgpr_workgroup_id_x 1
		.amdhsa_system_sgpr_workgroup_id_y 0
		.amdhsa_system_sgpr_workgroup_id_z 0
		.amdhsa_system_sgpr_workgroup_info 0
		.amdhsa_system_vgpr_workitem_id 0
		.amdhsa_next_free_vgpr 1
		.amdhsa_next_free_sgpr 1
		.amdhsa_reserve_vcc 0
		.amdhsa_float_round_mode_32 0
		.amdhsa_float_round_mode_16_64 0
		.amdhsa_float_denorm_mode_32 3
		.amdhsa_float_denorm_mode_16_64 3
		.amdhsa_dx10_clamp 1
		.amdhsa_ieee_mode 1
		.amdhsa_fp16_overflow 0
		.amdhsa_workgroup_processor_mode 1
		.amdhsa_memory_ordered 1
		.amdhsa_forward_progress 0
		.amdhsa_shared_vgpr_count 0
		.amdhsa_exception_fp_ieee_invalid_op 0
		.amdhsa_exception_fp_denorm_src 0
		.amdhsa_exception_fp_ieee_div_zero 0
		.amdhsa_exception_fp_ieee_overflow 0
		.amdhsa_exception_fp_ieee_underflow 0
		.amdhsa_exception_fp_ieee_inexact 0
		.amdhsa_exception_int_div_zero 0
	.end_amdhsa_kernel
	.section	.text._ZN7rocprim17ROCPRIM_400000_NS6detail17trampoline_kernelINS0_13select_configILj256ELj13ELNS0_17block_load_methodE3ELS4_3ELS4_3ELNS0_20block_scan_algorithmE0ELj4294967295EEENS1_25partition_config_selectorILNS1_17partition_subalgoE4EjNS0_10empty_typeEbEEZZNS1_14partition_implILS8_4ELb0ES6_15HIP_vector_typeIjLj2EENS0_17counting_iteratorIjlEEPS9_SG_NS0_5tupleIJPjSI_NS0_16reverse_iteratorISI_EEEEENSH_IJSG_SG_SG_EEES9_SI_JZNS1_25segmented_radix_sort_implINS0_14default_configELb0EPKfPfPKlPlN2at6native12_GLOBAL__N_18offset_tEEE10hipError_tPvRmT1_PNSt15iterator_traitsIS12_E10value_typeET2_T3_PNS13_IS18_E10value_typeET4_jRbjT5_S1E_jjP12ihipStream_tbEUljE_ZNSN_ISO_Lb0ESQ_SR_ST_SU_SY_EESZ_S10_S11_S12_S16_S17_S18_S1B_S1C_jS1D_jS1E_S1E_jjS1G_bEUljE0_EEESZ_S10_S11_S18_S1C_S1E_T6_T7_T9_mT8_S1G_bDpT10_ENKUlT_T0_E_clISt17integral_constantIbLb0EES1U_EEDaS1P_S1Q_EUlS1P_E_NS1_11comp_targetILNS1_3genE5ELNS1_11target_archE942ELNS1_3gpuE9ELNS1_3repE0EEENS1_30default_config_static_selectorELNS0_4arch9wavefront6targetE0EEEvS12_,"axG",@progbits,_ZN7rocprim17ROCPRIM_400000_NS6detail17trampoline_kernelINS0_13select_configILj256ELj13ELNS0_17block_load_methodE3ELS4_3ELS4_3ELNS0_20block_scan_algorithmE0ELj4294967295EEENS1_25partition_config_selectorILNS1_17partition_subalgoE4EjNS0_10empty_typeEbEEZZNS1_14partition_implILS8_4ELb0ES6_15HIP_vector_typeIjLj2EENS0_17counting_iteratorIjlEEPS9_SG_NS0_5tupleIJPjSI_NS0_16reverse_iteratorISI_EEEEENSH_IJSG_SG_SG_EEES9_SI_JZNS1_25segmented_radix_sort_implINS0_14default_configELb0EPKfPfPKlPlN2at6native12_GLOBAL__N_18offset_tEEE10hipError_tPvRmT1_PNSt15iterator_traitsIS12_E10value_typeET2_T3_PNS13_IS18_E10value_typeET4_jRbjT5_S1E_jjP12ihipStream_tbEUljE_ZNSN_ISO_Lb0ESQ_SR_ST_SU_SY_EESZ_S10_S11_S12_S16_S17_S18_S1B_S1C_jS1D_jS1E_S1E_jjS1G_bEUljE0_EEESZ_S10_S11_S18_S1C_S1E_T6_T7_T9_mT8_S1G_bDpT10_ENKUlT_T0_E_clISt17integral_constantIbLb0EES1U_EEDaS1P_S1Q_EUlS1P_E_NS1_11comp_targetILNS1_3genE5ELNS1_11target_archE942ELNS1_3gpuE9ELNS1_3repE0EEENS1_30default_config_static_selectorELNS0_4arch9wavefront6targetE0EEEvS12_,comdat
.Lfunc_end1365:
	.size	_ZN7rocprim17ROCPRIM_400000_NS6detail17trampoline_kernelINS0_13select_configILj256ELj13ELNS0_17block_load_methodE3ELS4_3ELS4_3ELNS0_20block_scan_algorithmE0ELj4294967295EEENS1_25partition_config_selectorILNS1_17partition_subalgoE4EjNS0_10empty_typeEbEEZZNS1_14partition_implILS8_4ELb0ES6_15HIP_vector_typeIjLj2EENS0_17counting_iteratorIjlEEPS9_SG_NS0_5tupleIJPjSI_NS0_16reverse_iteratorISI_EEEEENSH_IJSG_SG_SG_EEES9_SI_JZNS1_25segmented_radix_sort_implINS0_14default_configELb0EPKfPfPKlPlN2at6native12_GLOBAL__N_18offset_tEEE10hipError_tPvRmT1_PNSt15iterator_traitsIS12_E10value_typeET2_T3_PNS13_IS18_E10value_typeET4_jRbjT5_S1E_jjP12ihipStream_tbEUljE_ZNSN_ISO_Lb0ESQ_SR_ST_SU_SY_EESZ_S10_S11_S12_S16_S17_S18_S1B_S1C_jS1D_jS1E_S1E_jjS1G_bEUljE0_EEESZ_S10_S11_S18_S1C_S1E_T6_T7_T9_mT8_S1G_bDpT10_ENKUlT_T0_E_clISt17integral_constantIbLb0EES1U_EEDaS1P_S1Q_EUlS1P_E_NS1_11comp_targetILNS1_3genE5ELNS1_11target_archE942ELNS1_3gpuE9ELNS1_3repE0EEENS1_30default_config_static_selectorELNS0_4arch9wavefront6targetE0EEEvS12_, .Lfunc_end1365-_ZN7rocprim17ROCPRIM_400000_NS6detail17trampoline_kernelINS0_13select_configILj256ELj13ELNS0_17block_load_methodE3ELS4_3ELS4_3ELNS0_20block_scan_algorithmE0ELj4294967295EEENS1_25partition_config_selectorILNS1_17partition_subalgoE4EjNS0_10empty_typeEbEEZZNS1_14partition_implILS8_4ELb0ES6_15HIP_vector_typeIjLj2EENS0_17counting_iteratorIjlEEPS9_SG_NS0_5tupleIJPjSI_NS0_16reverse_iteratorISI_EEEEENSH_IJSG_SG_SG_EEES9_SI_JZNS1_25segmented_radix_sort_implINS0_14default_configELb0EPKfPfPKlPlN2at6native12_GLOBAL__N_18offset_tEEE10hipError_tPvRmT1_PNSt15iterator_traitsIS12_E10value_typeET2_T3_PNS13_IS18_E10value_typeET4_jRbjT5_S1E_jjP12ihipStream_tbEUljE_ZNSN_ISO_Lb0ESQ_SR_ST_SU_SY_EESZ_S10_S11_S12_S16_S17_S18_S1B_S1C_jS1D_jS1E_S1E_jjS1G_bEUljE0_EEESZ_S10_S11_S18_S1C_S1E_T6_T7_T9_mT8_S1G_bDpT10_ENKUlT_T0_E_clISt17integral_constantIbLb0EES1U_EEDaS1P_S1Q_EUlS1P_E_NS1_11comp_targetILNS1_3genE5ELNS1_11target_archE942ELNS1_3gpuE9ELNS1_3repE0EEENS1_30default_config_static_selectorELNS0_4arch9wavefront6targetE0EEEvS12_
                                        ; -- End function
	.section	.AMDGPU.csdata,"",@progbits
; Kernel info:
; codeLenInByte = 0
; NumSgprs: 0
; NumVgprs: 0
; ScratchSize: 0
; MemoryBound: 0
; FloatMode: 240
; IeeeMode: 1
; LDSByteSize: 0 bytes/workgroup (compile time only)
; SGPRBlocks: 0
; VGPRBlocks: 0
; NumSGPRsForWavesPerEU: 1
; NumVGPRsForWavesPerEU: 1
; Occupancy: 16
; WaveLimiterHint : 0
; COMPUTE_PGM_RSRC2:SCRATCH_EN: 0
; COMPUTE_PGM_RSRC2:USER_SGPR: 15
; COMPUTE_PGM_RSRC2:TRAP_HANDLER: 0
; COMPUTE_PGM_RSRC2:TGID_X_EN: 1
; COMPUTE_PGM_RSRC2:TGID_Y_EN: 0
; COMPUTE_PGM_RSRC2:TGID_Z_EN: 0
; COMPUTE_PGM_RSRC2:TIDIG_COMP_CNT: 0
	.section	.text._ZN7rocprim17ROCPRIM_400000_NS6detail17trampoline_kernelINS0_13select_configILj256ELj13ELNS0_17block_load_methodE3ELS4_3ELS4_3ELNS0_20block_scan_algorithmE0ELj4294967295EEENS1_25partition_config_selectorILNS1_17partition_subalgoE4EjNS0_10empty_typeEbEEZZNS1_14partition_implILS8_4ELb0ES6_15HIP_vector_typeIjLj2EENS0_17counting_iteratorIjlEEPS9_SG_NS0_5tupleIJPjSI_NS0_16reverse_iteratorISI_EEEEENSH_IJSG_SG_SG_EEES9_SI_JZNS1_25segmented_radix_sort_implINS0_14default_configELb0EPKfPfPKlPlN2at6native12_GLOBAL__N_18offset_tEEE10hipError_tPvRmT1_PNSt15iterator_traitsIS12_E10value_typeET2_T3_PNS13_IS18_E10value_typeET4_jRbjT5_S1E_jjP12ihipStream_tbEUljE_ZNSN_ISO_Lb0ESQ_SR_ST_SU_SY_EESZ_S10_S11_S12_S16_S17_S18_S1B_S1C_jS1D_jS1E_S1E_jjS1G_bEUljE0_EEESZ_S10_S11_S18_S1C_S1E_T6_T7_T9_mT8_S1G_bDpT10_ENKUlT_T0_E_clISt17integral_constantIbLb0EES1U_EEDaS1P_S1Q_EUlS1P_E_NS1_11comp_targetILNS1_3genE4ELNS1_11target_archE910ELNS1_3gpuE8ELNS1_3repE0EEENS1_30default_config_static_selectorELNS0_4arch9wavefront6targetE0EEEvS12_,"axG",@progbits,_ZN7rocprim17ROCPRIM_400000_NS6detail17trampoline_kernelINS0_13select_configILj256ELj13ELNS0_17block_load_methodE3ELS4_3ELS4_3ELNS0_20block_scan_algorithmE0ELj4294967295EEENS1_25partition_config_selectorILNS1_17partition_subalgoE4EjNS0_10empty_typeEbEEZZNS1_14partition_implILS8_4ELb0ES6_15HIP_vector_typeIjLj2EENS0_17counting_iteratorIjlEEPS9_SG_NS0_5tupleIJPjSI_NS0_16reverse_iteratorISI_EEEEENSH_IJSG_SG_SG_EEES9_SI_JZNS1_25segmented_radix_sort_implINS0_14default_configELb0EPKfPfPKlPlN2at6native12_GLOBAL__N_18offset_tEEE10hipError_tPvRmT1_PNSt15iterator_traitsIS12_E10value_typeET2_T3_PNS13_IS18_E10value_typeET4_jRbjT5_S1E_jjP12ihipStream_tbEUljE_ZNSN_ISO_Lb0ESQ_SR_ST_SU_SY_EESZ_S10_S11_S12_S16_S17_S18_S1B_S1C_jS1D_jS1E_S1E_jjS1G_bEUljE0_EEESZ_S10_S11_S18_S1C_S1E_T6_T7_T9_mT8_S1G_bDpT10_ENKUlT_T0_E_clISt17integral_constantIbLb0EES1U_EEDaS1P_S1Q_EUlS1P_E_NS1_11comp_targetILNS1_3genE4ELNS1_11target_archE910ELNS1_3gpuE8ELNS1_3repE0EEENS1_30default_config_static_selectorELNS0_4arch9wavefront6targetE0EEEvS12_,comdat
	.globl	_ZN7rocprim17ROCPRIM_400000_NS6detail17trampoline_kernelINS0_13select_configILj256ELj13ELNS0_17block_load_methodE3ELS4_3ELS4_3ELNS0_20block_scan_algorithmE0ELj4294967295EEENS1_25partition_config_selectorILNS1_17partition_subalgoE4EjNS0_10empty_typeEbEEZZNS1_14partition_implILS8_4ELb0ES6_15HIP_vector_typeIjLj2EENS0_17counting_iteratorIjlEEPS9_SG_NS0_5tupleIJPjSI_NS0_16reverse_iteratorISI_EEEEENSH_IJSG_SG_SG_EEES9_SI_JZNS1_25segmented_radix_sort_implINS0_14default_configELb0EPKfPfPKlPlN2at6native12_GLOBAL__N_18offset_tEEE10hipError_tPvRmT1_PNSt15iterator_traitsIS12_E10value_typeET2_T3_PNS13_IS18_E10value_typeET4_jRbjT5_S1E_jjP12ihipStream_tbEUljE_ZNSN_ISO_Lb0ESQ_SR_ST_SU_SY_EESZ_S10_S11_S12_S16_S17_S18_S1B_S1C_jS1D_jS1E_S1E_jjS1G_bEUljE0_EEESZ_S10_S11_S18_S1C_S1E_T6_T7_T9_mT8_S1G_bDpT10_ENKUlT_T0_E_clISt17integral_constantIbLb0EES1U_EEDaS1P_S1Q_EUlS1P_E_NS1_11comp_targetILNS1_3genE4ELNS1_11target_archE910ELNS1_3gpuE8ELNS1_3repE0EEENS1_30default_config_static_selectorELNS0_4arch9wavefront6targetE0EEEvS12_ ; -- Begin function _ZN7rocprim17ROCPRIM_400000_NS6detail17trampoline_kernelINS0_13select_configILj256ELj13ELNS0_17block_load_methodE3ELS4_3ELS4_3ELNS0_20block_scan_algorithmE0ELj4294967295EEENS1_25partition_config_selectorILNS1_17partition_subalgoE4EjNS0_10empty_typeEbEEZZNS1_14partition_implILS8_4ELb0ES6_15HIP_vector_typeIjLj2EENS0_17counting_iteratorIjlEEPS9_SG_NS0_5tupleIJPjSI_NS0_16reverse_iteratorISI_EEEEENSH_IJSG_SG_SG_EEES9_SI_JZNS1_25segmented_radix_sort_implINS0_14default_configELb0EPKfPfPKlPlN2at6native12_GLOBAL__N_18offset_tEEE10hipError_tPvRmT1_PNSt15iterator_traitsIS12_E10value_typeET2_T3_PNS13_IS18_E10value_typeET4_jRbjT5_S1E_jjP12ihipStream_tbEUljE_ZNSN_ISO_Lb0ESQ_SR_ST_SU_SY_EESZ_S10_S11_S12_S16_S17_S18_S1B_S1C_jS1D_jS1E_S1E_jjS1G_bEUljE0_EEESZ_S10_S11_S18_S1C_S1E_T6_T7_T9_mT8_S1G_bDpT10_ENKUlT_T0_E_clISt17integral_constantIbLb0EES1U_EEDaS1P_S1Q_EUlS1P_E_NS1_11comp_targetILNS1_3genE4ELNS1_11target_archE910ELNS1_3gpuE8ELNS1_3repE0EEENS1_30default_config_static_selectorELNS0_4arch9wavefront6targetE0EEEvS12_
	.p2align	8
	.type	_ZN7rocprim17ROCPRIM_400000_NS6detail17trampoline_kernelINS0_13select_configILj256ELj13ELNS0_17block_load_methodE3ELS4_3ELS4_3ELNS0_20block_scan_algorithmE0ELj4294967295EEENS1_25partition_config_selectorILNS1_17partition_subalgoE4EjNS0_10empty_typeEbEEZZNS1_14partition_implILS8_4ELb0ES6_15HIP_vector_typeIjLj2EENS0_17counting_iteratorIjlEEPS9_SG_NS0_5tupleIJPjSI_NS0_16reverse_iteratorISI_EEEEENSH_IJSG_SG_SG_EEES9_SI_JZNS1_25segmented_radix_sort_implINS0_14default_configELb0EPKfPfPKlPlN2at6native12_GLOBAL__N_18offset_tEEE10hipError_tPvRmT1_PNSt15iterator_traitsIS12_E10value_typeET2_T3_PNS13_IS18_E10value_typeET4_jRbjT5_S1E_jjP12ihipStream_tbEUljE_ZNSN_ISO_Lb0ESQ_SR_ST_SU_SY_EESZ_S10_S11_S12_S16_S17_S18_S1B_S1C_jS1D_jS1E_S1E_jjS1G_bEUljE0_EEESZ_S10_S11_S18_S1C_S1E_T6_T7_T9_mT8_S1G_bDpT10_ENKUlT_T0_E_clISt17integral_constantIbLb0EES1U_EEDaS1P_S1Q_EUlS1P_E_NS1_11comp_targetILNS1_3genE4ELNS1_11target_archE910ELNS1_3gpuE8ELNS1_3repE0EEENS1_30default_config_static_selectorELNS0_4arch9wavefront6targetE0EEEvS12_,@function
_ZN7rocprim17ROCPRIM_400000_NS6detail17trampoline_kernelINS0_13select_configILj256ELj13ELNS0_17block_load_methodE3ELS4_3ELS4_3ELNS0_20block_scan_algorithmE0ELj4294967295EEENS1_25partition_config_selectorILNS1_17partition_subalgoE4EjNS0_10empty_typeEbEEZZNS1_14partition_implILS8_4ELb0ES6_15HIP_vector_typeIjLj2EENS0_17counting_iteratorIjlEEPS9_SG_NS0_5tupleIJPjSI_NS0_16reverse_iteratorISI_EEEEENSH_IJSG_SG_SG_EEES9_SI_JZNS1_25segmented_radix_sort_implINS0_14default_configELb0EPKfPfPKlPlN2at6native12_GLOBAL__N_18offset_tEEE10hipError_tPvRmT1_PNSt15iterator_traitsIS12_E10value_typeET2_T3_PNS13_IS18_E10value_typeET4_jRbjT5_S1E_jjP12ihipStream_tbEUljE_ZNSN_ISO_Lb0ESQ_SR_ST_SU_SY_EESZ_S10_S11_S12_S16_S17_S18_S1B_S1C_jS1D_jS1E_S1E_jjS1G_bEUljE0_EEESZ_S10_S11_S18_S1C_S1E_T6_T7_T9_mT8_S1G_bDpT10_ENKUlT_T0_E_clISt17integral_constantIbLb0EES1U_EEDaS1P_S1Q_EUlS1P_E_NS1_11comp_targetILNS1_3genE4ELNS1_11target_archE910ELNS1_3gpuE8ELNS1_3repE0EEENS1_30default_config_static_selectorELNS0_4arch9wavefront6targetE0EEEvS12_: ; @_ZN7rocprim17ROCPRIM_400000_NS6detail17trampoline_kernelINS0_13select_configILj256ELj13ELNS0_17block_load_methodE3ELS4_3ELS4_3ELNS0_20block_scan_algorithmE0ELj4294967295EEENS1_25partition_config_selectorILNS1_17partition_subalgoE4EjNS0_10empty_typeEbEEZZNS1_14partition_implILS8_4ELb0ES6_15HIP_vector_typeIjLj2EENS0_17counting_iteratorIjlEEPS9_SG_NS0_5tupleIJPjSI_NS0_16reverse_iteratorISI_EEEEENSH_IJSG_SG_SG_EEES9_SI_JZNS1_25segmented_radix_sort_implINS0_14default_configELb0EPKfPfPKlPlN2at6native12_GLOBAL__N_18offset_tEEE10hipError_tPvRmT1_PNSt15iterator_traitsIS12_E10value_typeET2_T3_PNS13_IS18_E10value_typeET4_jRbjT5_S1E_jjP12ihipStream_tbEUljE_ZNSN_ISO_Lb0ESQ_SR_ST_SU_SY_EESZ_S10_S11_S12_S16_S17_S18_S1B_S1C_jS1D_jS1E_S1E_jjS1G_bEUljE0_EEESZ_S10_S11_S18_S1C_S1E_T6_T7_T9_mT8_S1G_bDpT10_ENKUlT_T0_E_clISt17integral_constantIbLb0EES1U_EEDaS1P_S1Q_EUlS1P_E_NS1_11comp_targetILNS1_3genE4ELNS1_11target_archE910ELNS1_3gpuE8ELNS1_3repE0EEENS1_30default_config_static_selectorELNS0_4arch9wavefront6targetE0EEEvS12_
; %bb.0:
	.section	.rodata,"a",@progbits
	.p2align	6, 0x0
	.amdhsa_kernel _ZN7rocprim17ROCPRIM_400000_NS6detail17trampoline_kernelINS0_13select_configILj256ELj13ELNS0_17block_load_methodE3ELS4_3ELS4_3ELNS0_20block_scan_algorithmE0ELj4294967295EEENS1_25partition_config_selectorILNS1_17partition_subalgoE4EjNS0_10empty_typeEbEEZZNS1_14partition_implILS8_4ELb0ES6_15HIP_vector_typeIjLj2EENS0_17counting_iteratorIjlEEPS9_SG_NS0_5tupleIJPjSI_NS0_16reverse_iteratorISI_EEEEENSH_IJSG_SG_SG_EEES9_SI_JZNS1_25segmented_radix_sort_implINS0_14default_configELb0EPKfPfPKlPlN2at6native12_GLOBAL__N_18offset_tEEE10hipError_tPvRmT1_PNSt15iterator_traitsIS12_E10value_typeET2_T3_PNS13_IS18_E10value_typeET4_jRbjT5_S1E_jjP12ihipStream_tbEUljE_ZNSN_ISO_Lb0ESQ_SR_ST_SU_SY_EESZ_S10_S11_S12_S16_S17_S18_S1B_S1C_jS1D_jS1E_S1E_jjS1G_bEUljE0_EEESZ_S10_S11_S18_S1C_S1E_T6_T7_T9_mT8_S1G_bDpT10_ENKUlT_T0_E_clISt17integral_constantIbLb0EES1U_EEDaS1P_S1Q_EUlS1P_E_NS1_11comp_targetILNS1_3genE4ELNS1_11target_archE910ELNS1_3gpuE8ELNS1_3repE0EEENS1_30default_config_static_selectorELNS0_4arch9wavefront6targetE0EEEvS12_
		.amdhsa_group_segment_fixed_size 0
		.amdhsa_private_segment_fixed_size 0
		.amdhsa_kernarg_size 176
		.amdhsa_user_sgpr_count 15
		.amdhsa_user_sgpr_dispatch_ptr 0
		.amdhsa_user_sgpr_queue_ptr 0
		.amdhsa_user_sgpr_kernarg_segment_ptr 1
		.amdhsa_user_sgpr_dispatch_id 0
		.amdhsa_user_sgpr_private_segment_size 0
		.amdhsa_wavefront_size32 1
		.amdhsa_uses_dynamic_stack 0
		.amdhsa_enable_private_segment 0
		.amdhsa_system_sgpr_workgroup_id_x 1
		.amdhsa_system_sgpr_workgroup_id_y 0
		.amdhsa_system_sgpr_workgroup_id_z 0
		.amdhsa_system_sgpr_workgroup_info 0
		.amdhsa_system_vgpr_workitem_id 0
		.amdhsa_next_free_vgpr 1
		.amdhsa_next_free_sgpr 1
		.amdhsa_reserve_vcc 0
		.amdhsa_float_round_mode_32 0
		.amdhsa_float_round_mode_16_64 0
		.amdhsa_float_denorm_mode_32 3
		.amdhsa_float_denorm_mode_16_64 3
		.amdhsa_dx10_clamp 1
		.amdhsa_ieee_mode 1
		.amdhsa_fp16_overflow 0
		.amdhsa_workgroup_processor_mode 1
		.amdhsa_memory_ordered 1
		.amdhsa_forward_progress 0
		.amdhsa_shared_vgpr_count 0
		.amdhsa_exception_fp_ieee_invalid_op 0
		.amdhsa_exception_fp_denorm_src 0
		.amdhsa_exception_fp_ieee_div_zero 0
		.amdhsa_exception_fp_ieee_overflow 0
		.amdhsa_exception_fp_ieee_underflow 0
		.amdhsa_exception_fp_ieee_inexact 0
		.amdhsa_exception_int_div_zero 0
	.end_amdhsa_kernel
	.section	.text._ZN7rocprim17ROCPRIM_400000_NS6detail17trampoline_kernelINS0_13select_configILj256ELj13ELNS0_17block_load_methodE3ELS4_3ELS4_3ELNS0_20block_scan_algorithmE0ELj4294967295EEENS1_25partition_config_selectorILNS1_17partition_subalgoE4EjNS0_10empty_typeEbEEZZNS1_14partition_implILS8_4ELb0ES6_15HIP_vector_typeIjLj2EENS0_17counting_iteratorIjlEEPS9_SG_NS0_5tupleIJPjSI_NS0_16reverse_iteratorISI_EEEEENSH_IJSG_SG_SG_EEES9_SI_JZNS1_25segmented_radix_sort_implINS0_14default_configELb0EPKfPfPKlPlN2at6native12_GLOBAL__N_18offset_tEEE10hipError_tPvRmT1_PNSt15iterator_traitsIS12_E10value_typeET2_T3_PNS13_IS18_E10value_typeET4_jRbjT5_S1E_jjP12ihipStream_tbEUljE_ZNSN_ISO_Lb0ESQ_SR_ST_SU_SY_EESZ_S10_S11_S12_S16_S17_S18_S1B_S1C_jS1D_jS1E_S1E_jjS1G_bEUljE0_EEESZ_S10_S11_S18_S1C_S1E_T6_T7_T9_mT8_S1G_bDpT10_ENKUlT_T0_E_clISt17integral_constantIbLb0EES1U_EEDaS1P_S1Q_EUlS1P_E_NS1_11comp_targetILNS1_3genE4ELNS1_11target_archE910ELNS1_3gpuE8ELNS1_3repE0EEENS1_30default_config_static_selectorELNS0_4arch9wavefront6targetE0EEEvS12_,"axG",@progbits,_ZN7rocprim17ROCPRIM_400000_NS6detail17trampoline_kernelINS0_13select_configILj256ELj13ELNS0_17block_load_methodE3ELS4_3ELS4_3ELNS0_20block_scan_algorithmE0ELj4294967295EEENS1_25partition_config_selectorILNS1_17partition_subalgoE4EjNS0_10empty_typeEbEEZZNS1_14partition_implILS8_4ELb0ES6_15HIP_vector_typeIjLj2EENS0_17counting_iteratorIjlEEPS9_SG_NS0_5tupleIJPjSI_NS0_16reverse_iteratorISI_EEEEENSH_IJSG_SG_SG_EEES9_SI_JZNS1_25segmented_radix_sort_implINS0_14default_configELb0EPKfPfPKlPlN2at6native12_GLOBAL__N_18offset_tEEE10hipError_tPvRmT1_PNSt15iterator_traitsIS12_E10value_typeET2_T3_PNS13_IS18_E10value_typeET4_jRbjT5_S1E_jjP12ihipStream_tbEUljE_ZNSN_ISO_Lb0ESQ_SR_ST_SU_SY_EESZ_S10_S11_S12_S16_S17_S18_S1B_S1C_jS1D_jS1E_S1E_jjS1G_bEUljE0_EEESZ_S10_S11_S18_S1C_S1E_T6_T7_T9_mT8_S1G_bDpT10_ENKUlT_T0_E_clISt17integral_constantIbLb0EES1U_EEDaS1P_S1Q_EUlS1P_E_NS1_11comp_targetILNS1_3genE4ELNS1_11target_archE910ELNS1_3gpuE8ELNS1_3repE0EEENS1_30default_config_static_selectorELNS0_4arch9wavefront6targetE0EEEvS12_,comdat
.Lfunc_end1366:
	.size	_ZN7rocprim17ROCPRIM_400000_NS6detail17trampoline_kernelINS0_13select_configILj256ELj13ELNS0_17block_load_methodE3ELS4_3ELS4_3ELNS0_20block_scan_algorithmE0ELj4294967295EEENS1_25partition_config_selectorILNS1_17partition_subalgoE4EjNS0_10empty_typeEbEEZZNS1_14partition_implILS8_4ELb0ES6_15HIP_vector_typeIjLj2EENS0_17counting_iteratorIjlEEPS9_SG_NS0_5tupleIJPjSI_NS0_16reverse_iteratorISI_EEEEENSH_IJSG_SG_SG_EEES9_SI_JZNS1_25segmented_radix_sort_implINS0_14default_configELb0EPKfPfPKlPlN2at6native12_GLOBAL__N_18offset_tEEE10hipError_tPvRmT1_PNSt15iterator_traitsIS12_E10value_typeET2_T3_PNS13_IS18_E10value_typeET4_jRbjT5_S1E_jjP12ihipStream_tbEUljE_ZNSN_ISO_Lb0ESQ_SR_ST_SU_SY_EESZ_S10_S11_S12_S16_S17_S18_S1B_S1C_jS1D_jS1E_S1E_jjS1G_bEUljE0_EEESZ_S10_S11_S18_S1C_S1E_T6_T7_T9_mT8_S1G_bDpT10_ENKUlT_T0_E_clISt17integral_constantIbLb0EES1U_EEDaS1P_S1Q_EUlS1P_E_NS1_11comp_targetILNS1_3genE4ELNS1_11target_archE910ELNS1_3gpuE8ELNS1_3repE0EEENS1_30default_config_static_selectorELNS0_4arch9wavefront6targetE0EEEvS12_, .Lfunc_end1366-_ZN7rocprim17ROCPRIM_400000_NS6detail17trampoline_kernelINS0_13select_configILj256ELj13ELNS0_17block_load_methodE3ELS4_3ELS4_3ELNS0_20block_scan_algorithmE0ELj4294967295EEENS1_25partition_config_selectorILNS1_17partition_subalgoE4EjNS0_10empty_typeEbEEZZNS1_14partition_implILS8_4ELb0ES6_15HIP_vector_typeIjLj2EENS0_17counting_iteratorIjlEEPS9_SG_NS0_5tupleIJPjSI_NS0_16reverse_iteratorISI_EEEEENSH_IJSG_SG_SG_EEES9_SI_JZNS1_25segmented_radix_sort_implINS0_14default_configELb0EPKfPfPKlPlN2at6native12_GLOBAL__N_18offset_tEEE10hipError_tPvRmT1_PNSt15iterator_traitsIS12_E10value_typeET2_T3_PNS13_IS18_E10value_typeET4_jRbjT5_S1E_jjP12ihipStream_tbEUljE_ZNSN_ISO_Lb0ESQ_SR_ST_SU_SY_EESZ_S10_S11_S12_S16_S17_S18_S1B_S1C_jS1D_jS1E_S1E_jjS1G_bEUljE0_EEESZ_S10_S11_S18_S1C_S1E_T6_T7_T9_mT8_S1G_bDpT10_ENKUlT_T0_E_clISt17integral_constantIbLb0EES1U_EEDaS1P_S1Q_EUlS1P_E_NS1_11comp_targetILNS1_3genE4ELNS1_11target_archE910ELNS1_3gpuE8ELNS1_3repE0EEENS1_30default_config_static_selectorELNS0_4arch9wavefront6targetE0EEEvS12_
                                        ; -- End function
	.section	.AMDGPU.csdata,"",@progbits
; Kernel info:
; codeLenInByte = 0
; NumSgprs: 0
; NumVgprs: 0
; ScratchSize: 0
; MemoryBound: 0
; FloatMode: 240
; IeeeMode: 1
; LDSByteSize: 0 bytes/workgroup (compile time only)
; SGPRBlocks: 0
; VGPRBlocks: 0
; NumSGPRsForWavesPerEU: 1
; NumVGPRsForWavesPerEU: 1
; Occupancy: 16
; WaveLimiterHint : 0
; COMPUTE_PGM_RSRC2:SCRATCH_EN: 0
; COMPUTE_PGM_RSRC2:USER_SGPR: 15
; COMPUTE_PGM_RSRC2:TRAP_HANDLER: 0
; COMPUTE_PGM_RSRC2:TGID_X_EN: 1
; COMPUTE_PGM_RSRC2:TGID_Y_EN: 0
; COMPUTE_PGM_RSRC2:TGID_Z_EN: 0
; COMPUTE_PGM_RSRC2:TIDIG_COMP_CNT: 0
	.section	.text._ZN7rocprim17ROCPRIM_400000_NS6detail17trampoline_kernelINS0_13select_configILj256ELj13ELNS0_17block_load_methodE3ELS4_3ELS4_3ELNS0_20block_scan_algorithmE0ELj4294967295EEENS1_25partition_config_selectorILNS1_17partition_subalgoE4EjNS0_10empty_typeEbEEZZNS1_14partition_implILS8_4ELb0ES6_15HIP_vector_typeIjLj2EENS0_17counting_iteratorIjlEEPS9_SG_NS0_5tupleIJPjSI_NS0_16reverse_iteratorISI_EEEEENSH_IJSG_SG_SG_EEES9_SI_JZNS1_25segmented_radix_sort_implINS0_14default_configELb0EPKfPfPKlPlN2at6native12_GLOBAL__N_18offset_tEEE10hipError_tPvRmT1_PNSt15iterator_traitsIS12_E10value_typeET2_T3_PNS13_IS18_E10value_typeET4_jRbjT5_S1E_jjP12ihipStream_tbEUljE_ZNSN_ISO_Lb0ESQ_SR_ST_SU_SY_EESZ_S10_S11_S12_S16_S17_S18_S1B_S1C_jS1D_jS1E_S1E_jjS1G_bEUljE0_EEESZ_S10_S11_S18_S1C_S1E_T6_T7_T9_mT8_S1G_bDpT10_ENKUlT_T0_E_clISt17integral_constantIbLb0EES1U_EEDaS1P_S1Q_EUlS1P_E_NS1_11comp_targetILNS1_3genE3ELNS1_11target_archE908ELNS1_3gpuE7ELNS1_3repE0EEENS1_30default_config_static_selectorELNS0_4arch9wavefront6targetE0EEEvS12_,"axG",@progbits,_ZN7rocprim17ROCPRIM_400000_NS6detail17trampoline_kernelINS0_13select_configILj256ELj13ELNS0_17block_load_methodE3ELS4_3ELS4_3ELNS0_20block_scan_algorithmE0ELj4294967295EEENS1_25partition_config_selectorILNS1_17partition_subalgoE4EjNS0_10empty_typeEbEEZZNS1_14partition_implILS8_4ELb0ES6_15HIP_vector_typeIjLj2EENS0_17counting_iteratorIjlEEPS9_SG_NS0_5tupleIJPjSI_NS0_16reverse_iteratorISI_EEEEENSH_IJSG_SG_SG_EEES9_SI_JZNS1_25segmented_radix_sort_implINS0_14default_configELb0EPKfPfPKlPlN2at6native12_GLOBAL__N_18offset_tEEE10hipError_tPvRmT1_PNSt15iterator_traitsIS12_E10value_typeET2_T3_PNS13_IS18_E10value_typeET4_jRbjT5_S1E_jjP12ihipStream_tbEUljE_ZNSN_ISO_Lb0ESQ_SR_ST_SU_SY_EESZ_S10_S11_S12_S16_S17_S18_S1B_S1C_jS1D_jS1E_S1E_jjS1G_bEUljE0_EEESZ_S10_S11_S18_S1C_S1E_T6_T7_T9_mT8_S1G_bDpT10_ENKUlT_T0_E_clISt17integral_constantIbLb0EES1U_EEDaS1P_S1Q_EUlS1P_E_NS1_11comp_targetILNS1_3genE3ELNS1_11target_archE908ELNS1_3gpuE7ELNS1_3repE0EEENS1_30default_config_static_selectorELNS0_4arch9wavefront6targetE0EEEvS12_,comdat
	.globl	_ZN7rocprim17ROCPRIM_400000_NS6detail17trampoline_kernelINS0_13select_configILj256ELj13ELNS0_17block_load_methodE3ELS4_3ELS4_3ELNS0_20block_scan_algorithmE0ELj4294967295EEENS1_25partition_config_selectorILNS1_17partition_subalgoE4EjNS0_10empty_typeEbEEZZNS1_14partition_implILS8_4ELb0ES6_15HIP_vector_typeIjLj2EENS0_17counting_iteratorIjlEEPS9_SG_NS0_5tupleIJPjSI_NS0_16reverse_iteratorISI_EEEEENSH_IJSG_SG_SG_EEES9_SI_JZNS1_25segmented_radix_sort_implINS0_14default_configELb0EPKfPfPKlPlN2at6native12_GLOBAL__N_18offset_tEEE10hipError_tPvRmT1_PNSt15iterator_traitsIS12_E10value_typeET2_T3_PNS13_IS18_E10value_typeET4_jRbjT5_S1E_jjP12ihipStream_tbEUljE_ZNSN_ISO_Lb0ESQ_SR_ST_SU_SY_EESZ_S10_S11_S12_S16_S17_S18_S1B_S1C_jS1D_jS1E_S1E_jjS1G_bEUljE0_EEESZ_S10_S11_S18_S1C_S1E_T6_T7_T9_mT8_S1G_bDpT10_ENKUlT_T0_E_clISt17integral_constantIbLb0EES1U_EEDaS1P_S1Q_EUlS1P_E_NS1_11comp_targetILNS1_3genE3ELNS1_11target_archE908ELNS1_3gpuE7ELNS1_3repE0EEENS1_30default_config_static_selectorELNS0_4arch9wavefront6targetE0EEEvS12_ ; -- Begin function _ZN7rocprim17ROCPRIM_400000_NS6detail17trampoline_kernelINS0_13select_configILj256ELj13ELNS0_17block_load_methodE3ELS4_3ELS4_3ELNS0_20block_scan_algorithmE0ELj4294967295EEENS1_25partition_config_selectorILNS1_17partition_subalgoE4EjNS0_10empty_typeEbEEZZNS1_14partition_implILS8_4ELb0ES6_15HIP_vector_typeIjLj2EENS0_17counting_iteratorIjlEEPS9_SG_NS0_5tupleIJPjSI_NS0_16reverse_iteratorISI_EEEEENSH_IJSG_SG_SG_EEES9_SI_JZNS1_25segmented_radix_sort_implINS0_14default_configELb0EPKfPfPKlPlN2at6native12_GLOBAL__N_18offset_tEEE10hipError_tPvRmT1_PNSt15iterator_traitsIS12_E10value_typeET2_T3_PNS13_IS18_E10value_typeET4_jRbjT5_S1E_jjP12ihipStream_tbEUljE_ZNSN_ISO_Lb0ESQ_SR_ST_SU_SY_EESZ_S10_S11_S12_S16_S17_S18_S1B_S1C_jS1D_jS1E_S1E_jjS1G_bEUljE0_EEESZ_S10_S11_S18_S1C_S1E_T6_T7_T9_mT8_S1G_bDpT10_ENKUlT_T0_E_clISt17integral_constantIbLb0EES1U_EEDaS1P_S1Q_EUlS1P_E_NS1_11comp_targetILNS1_3genE3ELNS1_11target_archE908ELNS1_3gpuE7ELNS1_3repE0EEENS1_30default_config_static_selectorELNS0_4arch9wavefront6targetE0EEEvS12_
	.p2align	8
	.type	_ZN7rocprim17ROCPRIM_400000_NS6detail17trampoline_kernelINS0_13select_configILj256ELj13ELNS0_17block_load_methodE3ELS4_3ELS4_3ELNS0_20block_scan_algorithmE0ELj4294967295EEENS1_25partition_config_selectorILNS1_17partition_subalgoE4EjNS0_10empty_typeEbEEZZNS1_14partition_implILS8_4ELb0ES6_15HIP_vector_typeIjLj2EENS0_17counting_iteratorIjlEEPS9_SG_NS0_5tupleIJPjSI_NS0_16reverse_iteratorISI_EEEEENSH_IJSG_SG_SG_EEES9_SI_JZNS1_25segmented_radix_sort_implINS0_14default_configELb0EPKfPfPKlPlN2at6native12_GLOBAL__N_18offset_tEEE10hipError_tPvRmT1_PNSt15iterator_traitsIS12_E10value_typeET2_T3_PNS13_IS18_E10value_typeET4_jRbjT5_S1E_jjP12ihipStream_tbEUljE_ZNSN_ISO_Lb0ESQ_SR_ST_SU_SY_EESZ_S10_S11_S12_S16_S17_S18_S1B_S1C_jS1D_jS1E_S1E_jjS1G_bEUljE0_EEESZ_S10_S11_S18_S1C_S1E_T6_T7_T9_mT8_S1G_bDpT10_ENKUlT_T0_E_clISt17integral_constantIbLb0EES1U_EEDaS1P_S1Q_EUlS1P_E_NS1_11comp_targetILNS1_3genE3ELNS1_11target_archE908ELNS1_3gpuE7ELNS1_3repE0EEENS1_30default_config_static_selectorELNS0_4arch9wavefront6targetE0EEEvS12_,@function
_ZN7rocprim17ROCPRIM_400000_NS6detail17trampoline_kernelINS0_13select_configILj256ELj13ELNS0_17block_load_methodE3ELS4_3ELS4_3ELNS0_20block_scan_algorithmE0ELj4294967295EEENS1_25partition_config_selectorILNS1_17partition_subalgoE4EjNS0_10empty_typeEbEEZZNS1_14partition_implILS8_4ELb0ES6_15HIP_vector_typeIjLj2EENS0_17counting_iteratorIjlEEPS9_SG_NS0_5tupleIJPjSI_NS0_16reverse_iteratorISI_EEEEENSH_IJSG_SG_SG_EEES9_SI_JZNS1_25segmented_radix_sort_implINS0_14default_configELb0EPKfPfPKlPlN2at6native12_GLOBAL__N_18offset_tEEE10hipError_tPvRmT1_PNSt15iterator_traitsIS12_E10value_typeET2_T3_PNS13_IS18_E10value_typeET4_jRbjT5_S1E_jjP12ihipStream_tbEUljE_ZNSN_ISO_Lb0ESQ_SR_ST_SU_SY_EESZ_S10_S11_S12_S16_S17_S18_S1B_S1C_jS1D_jS1E_S1E_jjS1G_bEUljE0_EEESZ_S10_S11_S18_S1C_S1E_T6_T7_T9_mT8_S1G_bDpT10_ENKUlT_T0_E_clISt17integral_constantIbLb0EES1U_EEDaS1P_S1Q_EUlS1P_E_NS1_11comp_targetILNS1_3genE3ELNS1_11target_archE908ELNS1_3gpuE7ELNS1_3repE0EEENS1_30default_config_static_selectorELNS0_4arch9wavefront6targetE0EEEvS12_: ; @_ZN7rocprim17ROCPRIM_400000_NS6detail17trampoline_kernelINS0_13select_configILj256ELj13ELNS0_17block_load_methodE3ELS4_3ELS4_3ELNS0_20block_scan_algorithmE0ELj4294967295EEENS1_25partition_config_selectorILNS1_17partition_subalgoE4EjNS0_10empty_typeEbEEZZNS1_14partition_implILS8_4ELb0ES6_15HIP_vector_typeIjLj2EENS0_17counting_iteratorIjlEEPS9_SG_NS0_5tupleIJPjSI_NS0_16reverse_iteratorISI_EEEEENSH_IJSG_SG_SG_EEES9_SI_JZNS1_25segmented_radix_sort_implINS0_14default_configELb0EPKfPfPKlPlN2at6native12_GLOBAL__N_18offset_tEEE10hipError_tPvRmT1_PNSt15iterator_traitsIS12_E10value_typeET2_T3_PNS13_IS18_E10value_typeET4_jRbjT5_S1E_jjP12ihipStream_tbEUljE_ZNSN_ISO_Lb0ESQ_SR_ST_SU_SY_EESZ_S10_S11_S12_S16_S17_S18_S1B_S1C_jS1D_jS1E_S1E_jjS1G_bEUljE0_EEESZ_S10_S11_S18_S1C_S1E_T6_T7_T9_mT8_S1G_bDpT10_ENKUlT_T0_E_clISt17integral_constantIbLb0EES1U_EEDaS1P_S1Q_EUlS1P_E_NS1_11comp_targetILNS1_3genE3ELNS1_11target_archE908ELNS1_3gpuE7ELNS1_3repE0EEENS1_30default_config_static_selectorELNS0_4arch9wavefront6targetE0EEEvS12_
; %bb.0:
	.section	.rodata,"a",@progbits
	.p2align	6, 0x0
	.amdhsa_kernel _ZN7rocprim17ROCPRIM_400000_NS6detail17trampoline_kernelINS0_13select_configILj256ELj13ELNS0_17block_load_methodE3ELS4_3ELS4_3ELNS0_20block_scan_algorithmE0ELj4294967295EEENS1_25partition_config_selectorILNS1_17partition_subalgoE4EjNS0_10empty_typeEbEEZZNS1_14partition_implILS8_4ELb0ES6_15HIP_vector_typeIjLj2EENS0_17counting_iteratorIjlEEPS9_SG_NS0_5tupleIJPjSI_NS0_16reverse_iteratorISI_EEEEENSH_IJSG_SG_SG_EEES9_SI_JZNS1_25segmented_radix_sort_implINS0_14default_configELb0EPKfPfPKlPlN2at6native12_GLOBAL__N_18offset_tEEE10hipError_tPvRmT1_PNSt15iterator_traitsIS12_E10value_typeET2_T3_PNS13_IS18_E10value_typeET4_jRbjT5_S1E_jjP12ihipStream_tbEUljE_ZNSN_ISO_Lb0ESQ_SR_ST_SU_SY_EESZ_S10_S11_S12_S16_S17_S18_S1B_S1C_jS1D_jS1E_S1E_jjS1G_bEUljE0_EEESZ_S10_S11_S18_S1C_S1E_T6_T7_T9_mT8_S1G_bDpT10_ENKUlT_T0_E_clISt17integral_constantIbLb0EES1U_EEDaS1P_S1Q_EUlS1P_E_NS1_11comp_targetILNS1_3genE3ELNS1_11target_archE908ELNS1_3gpuE7ELNS1_3repE0EEENS1_30default_config_static_selectorELNS0_4arch9wavefront6targetE0EEEvS12_
		.amdhsa_group_segment_fixed_size 0
		.amdhsa_private_segment_fixed_size 0
		.amdhsa_kernarg_size 176
		.amdhsa_user_sgpr_count 15
		.amdhsa_user_sgpr_dispatch_ptr 0
		.amdhsa_user_sgpr_queue_ptr 0
		.amdhsa_user_sgpr_kernarg_segment_ptr 1
		.amdhsa_user_sgpr_dispatch_id 0
		.amdhsa_user_sgpr_private_segment_size 0
		.amdhsa_wavefront_size32 1
		.amdhsa_uses_dynamic_stack 0
		.amdhsa_enable_private_segment 0
		.amdhsa_system_sgpr_workgroup_id_x 1
		.amdhsa_system_sgpr_workgroup_id_y 0
		.amdhsa_system_sgpr_workgroup_id_z 0
		.amdhsa_system_sgpr_workgroup_info 0
		.amdhsa_system_vgpr_workitem_id 0
		.amdhsa_next_free_vgpr 1
		.amdhsa_next_free_sgpr 1
		.amdhsa_reserve_vcc 0
		.amdhsa_float_round_mode_32 0
		.amdhsa_float_round_mode_16_64 0
		.amdhsa_float_denorm_mode_32 3
		.amdhsa_float_denorm_mode_16_64 3
		.amdhsa_dx10_clamp 1
		.amdhsa_ieee_mode 1
		.amdhsa_fp16_overflow 0
		.amdhsa_workgroup_processor_mode 1
		.amdhsa_memory_ordered 1
		.amdhsa_forward_progress 0
		.amdhsa_shared_vgpr_count 0
		.amdhsa_exception_fp_ieee_invalid_op 0
		.amdhsa_exception_fp_denorm_src 0
		.amdhsa_exception_fp_ieee_div_zero 0
		.amdhsa_exception_fp_ieee_overflow 0
		.amdhsa_exception_fp_ieee_underflow 0
		.amdhsa_exception_fp_ieee_inexact 0
		.amdhsa_exception_int_div_zero 0
	.end_amdhsa_kernel
	.section	.text._ZN7rocprim17ROCPRIM_400000_NS6detail17trampoline_kernelINS0_13select_configILj256ELj13ELNS0_17block_load_methodE3ELS4_3ELS4_3ELNS0_20block_scan_algorithmE0ELj4294967295EEENS1_25partition_config_selectorILNS1_17partition_subalgoE4EjNS0_10empty_typeEbEEZZNS1_14partition_implILS8_4ELb0ES6_15HIP_vector_typeIjLj2EENS0_17counting_iteratorIjlEEPS9_SG_NS0_5tupleIJPjSI_NS0_16reverse_iteratorISI_EEEEENSH_IJSG_SG_SG_EEES9_SI_JZNS1_25segmented_radix_sort_implINS0_14default_configELb0EPKfPfPKlPlN2at6native12_GLOBAL__N_18offset_tEEE10hipError_tPvRmT1_PNSt15iterator_traitsIS12_E10value_typeET2_T3_PNS13_IS18_E10value_typeET4_jRbjT5_S1E_jjP12ihipStream_tbEUljE_ZNSN_ISO_Lb0ESQ_SR_ST_SU_SY_EESZ_S10_S11_S12_S16_S17_S18_S1B_S1C_jS1D_jS1E_S1E_jjS1G_bEUljE0_EEESZ_S10_S11_S18_S1C_S1E_T6_T7_T9_mT8_S1G_bDpT10_ENKUlT_T0_E_clISt17integral_constantIbLb0EES1U_EEDaS1P_S1Q_EUlS1P_E_NS1_11comp_targetILNS1_3genE3ELNS1_11target_archE908ELNS1_3gpuE7ELNS1_3repE0EEENS1_30default_config_static_selectorELNS0_4arch9wavefront6targetE0EEEvS12_,"axG",@progbits,_ZN7rocprim17ROCPRIM_400000_NS6detail17trampoline_kernelINS0_13select_configILj256ELj13ELNS0_17block_load_methodE3ELS4_3ELS4_3ELNS0_20block_scan_algorithmE0ELj4294967295EEENS1_25partition_config_selectorILNS1_17partition_subalgoE4EjNS0_10empty_typeEbEEZZNS1_14partition_implILS8_4ELb0ES6_15HIP_vector_typeIjLj2EENS0_17counting_iteratorIjlEEPS9_SG_NS0_5tupleIJPjSI_NS0_16reverse_iteratorISI_EEEEENSH_IJSG_SG_SG_EEES9_SI_JZNS1_25segmented_radix_sort_implINS0_14default_configELb0EPKfPfPKlPlN2at6native12_GLOBAL__N_18offset_tEEE10hipError_tPvRmT1_PNSt15iterator_traitsIS12_E10value_typeET2_T3_PNS13_IS18_E10value_typeET4_jRbjT5_S1E_jjP12ihipStream_tbEUljE_ZNSN_ISO_Lb0ESQ_SR_ST_SU_SY_EESZ_S10_S11_S12_S16_S17_S18_S1B_S1C_jS1D_jS1E_S1E_jjS1G_bEUljE0_EEESZ_S10_S11_S18_S1C_S1E_T6_T7_T9_mT8_S1G_bDpT10_ENKUlT_T0_E_clISt17integral_constantIbLb0EES1U_EEDaS1P_S1Q_EUlS1P_E_NS1_11comp_targetILNS1_3genE3ELNS1_11target_archE908ELNS1_3gpuE7ELNS1_3repE0EEENS1_30default_config_static_selectorELNS0_4arch9wavefront6targetE0EEEvS12_,comdat
.Lfunc_end1367:
	.size	_ZN7rocprim17ROCPRIM_400000_NS6detail17trampoline_kernelINS0_13select_configILj256ELj13ELNS0_17block_load_methodE3ELS4_3ELS4_3ELNS0_20block_scan_algorithmE0ELj4294967295EEENS1_25partition_config_selectorILNS1_17partition_subalgoE4EjNS0_10empty_typeEbEEZZNS1_14partition_implILS8_4ELb0ES6_15HIP_vector_typeIjLj2EENS0_17counting_iteratorIjlEEPS9_SG_NS0_5tupleIJPjSI_NS0_16reverse_iteratorISI_EEEEENSH_IJSG_SG_SG_EEES9_SI_JZNS1_25segmented_radix_sort_implINS0_14default_configELb0EPKfPfPKlPlN2at6native12_GLOBAL__N_18offset_tEEE10hipError_tPvRmT1_PNSt15iterator_traitsIS12_E10value_typeET2_T3_PNS13_IS18_E10value_typeET4_jRbjT5_S1E_jjP12ihipStream_tbEUljE_ZNSN_ISO_Lb0ESQ_SR_ST_SU_SY_EESZ_S10_S11_S12_S16_S17_S18_S1B_S1C_jS1D_jS1E_S1E_jjS1G_bEUljE0_EEESZ_S10_S11_S18_S1C_S1E_T6_T7_T9_mT8_S1G_bDpT10_ENKUlT_T0_E_clISt17integral_constantIbLb0EES1U_EEDaS1P_S1Q_EUlS1P_E_NS1_11comp_targetILNS1_3genE3ELNS1_11target_archE908ELNS1_3gpuE7ELNS1_3repE0EEENS1_30default_config_static_selectorELNS0_4arch9wavefront6targetE0EEEvS12_, .Lfunc_end1367-_ZN7rocprim17ROCPRIM_400000_NS6detail17trampoline_kernelINS0_13select_configILj256ELj13ELNS0_17block_load_methodE3ELS4_3ELS4_3ELNS0_20block_scan_algorithmE0ELj4294967295EEENS1_25partition_config_selectorILNS1_17partition_subalgoE4EjNS0_10empty_typeEbEEZZNS1_14partition_implILS8_4ELb0ES6_15HIP_vector_typeIjLj2EENS0_17counting_iteratorIjlEEPS9_SG_NS0_5tupleIJPjSI_NS0_16reverse_iteratorISI_EEEEENSH_IJSG_SG_SG_EEES9_SI_JZNS1_25segmented_radix_sort_implINS0_14default_configELb0EPKfPfPKlPlN2at6native12_GLOBAL__N_18offset_tEEE10hipError_tPvRmT1_PNSt15iterator_traitsIS12_E10value_typeET2_T3_PNS13_IS18_E10value_typeET4_jRbjT5_S1E_jjP12ihipStream_tbEUljE_ZNSN_ISO_Lb0ESQ_SR_ST_SU_SY_EESZ_S10_S11_S12_S16_S17_S18_S1B_S1C_jS1D_jS1E_S1E_jjS1G_bEUljE0_EEESZ_S10_S11_S18_S1C_S1E_T6_T7_T9_mT8_S1G_bDpT10_ENKUlT_T0_E_clISt17integral_constantIbLb0EES1U_EEDaS1P_S1Q_EUlS1P_E_NS1_11comp_targetILNS1_3genE3ELNS1_11target_archE908ELNS1_3gpuE7ELNS1_3repE0EEENS1_30default_config_static_selectorELNS0_4arch9wavefront6targetE0EEEvS12_
                                        ; -- End function
	.section	.AMDGPU.csdata,"",@progbits
; Kernel info:
; codeLenInByte = 0
; NumSgprs: 0
; NumVgprs: 0
; ScratchSize: 0
; MemoryBound: 0
; FloatMode: 240
; IeeeMode: 1
; LDSByteSize: 0 bytes/workgroup (compile time only)
; SGPRBlocks: 0
; VGPRBlocks: 0
; NumSGPRsForWavesPerEU: 1
; NumVGPRsForWavesPerEU: 1
; Occupancy: 16
; WaveLimiterHint : 0
; COMPUTE_PGM_RSRC2:SCRATCH_EN: 0
; COMPUTE_PGM_RSRC2:USER_SGPR: 15
; COMPUTE_PGM_RSRC2:TRAP_HANDLER: 0
; COMPUTE_PGM_RSRC2:TGID_X_EN: 1
; COMPUTE_PGM_RSRC2:TGID_Y_EN: 0
; COMPUTE_PGM_RSRC2:TGID_Z_EN: 0
; COMPUTE_PGM_RSRC2:TIDIG_COMP_CNT: 0
	.section	.text._ZN7rocprim17ROCPRIM_400000_NS6detail17trampoline_kernelINS0_13select_configILj256ELj13ELNS0_17block_load_methodE3ELS4_3ELS4_3ELNS0_20block_scan_algorithmE0ELj4294967295EEENS1_25partition_config_selectorILNS1_17partition_subalgoE4EjNS0_10empty_typeEbEEZZNS1_14partition_implILS8_4ELb0ES6_15HIP_vector_typeIjLj2EENS0_17counting_iteratorIjlEEPS9_SG_NS0_5tupleIJPjSI_NS0_16reverse_iteratorISI_EEEEENSH_IJSG_SG_SG_EEES9_SI_JZNS1_25segmented_radix_sort_implINS0_14default_configELb0EPKfPfPKlPlN2at6native12_GLOBAL__N_18offset_tEEE10hipError_tPvRmT1_PNSt15iterator_traitsIS12_E10value_typeET2_T3_PNS13_IS18_E10value_typeET4_jRbjT5_S1E_jjP12ihipStream_tbEUljE_ZNSN_ISO_Lb0ESQ_SR_ST_SU_SY_EESZ_S10_S11_S12_S16_S17_S18_S1B_S1C_jS1D_jS1E_S1E_jjS1G_bEUljE0_EEESZ_S10_S11_S18_S1C_S1E_T6_T7_T9_mT8_S1G_bDpT10_ENKUlT_T0_E_clISt17integral_constantIbLb0EES1U_EEDaS1P_S1Q_EUlS1P_E_NS1_11comp_targetILNS1_3genE2ELNS1_11target_archE906ELNS1_3gpuE6ELNS1_3repE0EEENS1_30default_config_static_selectorELNS0_4arch9wavefront6targetE0EEEvS12_,"axG",@progbits,_ZN7rocprim17ROCPRIM_400000_NS6detail17trampoline_kernelINS0_13select_configILj256ELj13ELNS0_17block_load_methodE3ELS4_3ELS4_3ELNS0_20block_scan_algorithmE0ELj4294967295EEENS1_25partition_config_selectorILNS1_17partition_subalgoE4EjNS0_10empty_typeEbEEZZNS1_14partition_implILS8_4ELb0ES6_15HIP_vector_typeIjLj2EENS0_17counting_iteratorIjlEEPS9_SG_NS0_5tupleIJPjSI_NS0_16reverse_iteratorISI_EEEEENSH_IJSG_SG_SG_EEES9_SI_JZNS1_25segmented_radix_sort_implINS0_14default_configELb0EPKfPfPKlPlN2at6native12_GLOBAL__N_18offset_tEEE10hipError_tPvRmT1_PNSt15iterator_traitsIS12_E10value_typeET2_T3_PNS13_IS18_E10value_typeET4_jRbjT5_S1E_jjP12ihipStream_tbEUljE_ZNSN_ISO_Lb0ESQ_SR_ST_SU_SY_EESZ_S10_S11_S12_S16_S17_S18_S1B_S1C_jS1D_jS1E_S1E_jjS1G_bEUljE0_EEESZ_S10_S11_S18_S1C_S1E_T6_T7_T9_mT8_S1G_bDpT10_ENKUlT_T0_E_clISt17integral_constantIbLb0EES1U_EEDaS1P_S1Q_EUlS1P_E_NS1_11comp_targetILNS1_3genE2ELNS1_11target_archE906ELNS1_3gpuE6ELNS1_3repE0EEENS1_30default_config_static_selectorELNS0_4arch9wavefront6targetE0EEEvS12_,comdat
	.globl	_ZN7rocprim17ROCPRIM_400000_NS6detail17trampoline_kernelINS0_13select_configILj256ELj13ELNS0_17block_load_methodE3ELS4_3ELS4_3ELNS0_20block_scan_algorithmE0ELj4294967295EEENS1_25partition_config_selectorILNS1_17partition_subalgoE4EjNS0_10empty_typeEbEEZZNS1_14partition_implILS8_4ELb0ES6_15HIP_vector_typeIjLj2EENS0_17counting_iteratorIjlEEPS9_SG_NS0_5tupleIJPjSI_NS0_16reverse_iteratorISI_EEEEENSH_IJSG_SG_SG_EEES9_SI_JZNS1_25segmented_radix_sort_implINS0_14default_configELb0EPKfPfPKlPlN2at6native12_GLOBAL__N_18offset_tEEE10hipError_tPvRmT1_PNSt15iterator_traitsIS12_E10value_typeET2_T3_PNS13_IS18_E10value_typeET4_jRbjT5_S1E_jjP12ihipStream_tbEUljE_ZNSN_ISO_Lb0ESQ_SR_ST_SU_SY_EESZ_S10_S11_S12_S16_S17_S18_S1B_S1C_jS1D_jS1E_S1E_jjS1G_bEUljE0_EEESZ_S10_S11_S18_S1C_S1E_T6_T7_T9_mT8_S1G_bDpT10_ENKUlT_T0_E_clISt17integral_constantIbLb0EES1U_EEDaS1P_S1Q_EUlS1P_E_NS1_11comp_targetILNS1_3genE2ELNS1_11target_archE906ELNS1_3gpuE6ELNS1_3repE0EEENS1_30default_config_static_selectorELNS0_4arch9wavefront6targetE0EEEvS12_ ; -- Begin function _ZN7rocprim17ROCPRIM_400000_NS6detail17trampoline_kernelINS0_13select_configILj256ELj13ELNS0_17block_load_methodE3ELS4_3ELS4_3ELNS0_20block_scan_algorithmE0ELj4294967295EEENS1_25partition_config_selectorILNS1_17partition_subalgoE4EjNS0_10empty_typeEbEEZZNS1_14partition_implILS8_4ELb0ES6_15HIP_vector_typeIjLj2EENS0_17counting_iteratorIjlEEPS9_SG_NS0_5tupleIJPjSI_NS0_16reverse_iteratorISI_EEEEENSH_IJSG_SG_SG_EEES9_SI_JZNS1_25segmented_radix_sort_implINS0_14default_configELb0EPKfPfPKlPlN2at6native12_GLOBAL__N_18offset_tEEE10hipError_tPvRmT1_PNSt15iterator_traitsIS12_E10value_typeET2_T3_PNS13_IS18_E10value_typeET4_jRbjT5_S1E_jjP12ihipStream_tbEUljE_ZNSN_ISO_Lb0ESQ_SR_ST_SU_SY_EESZ_S10_S11_S12_S16_S17_S18_S1B_S1C_jS1D_jS1E_S1E_jjS1G_bEUljE0_EEESZ_S10_S11_S18_S1C_S1E_T6_T7_T9_mT8_S1G_bDpT10_ENKUlT_T0_E_clISt17integral_constantIbLb0EES1U_EEDaS1P_S1Q_EUlS1P_E_NS1_11comp_targetILNS1_3genE2ELNS1_11target_archE906ELNS1_3gpuE6ELNS1_3repE0EEENS1_30default_config_static_selectorELNS0_4arch9wavefront6targetE0EEEvS12_
	.p2align	8
	.type	_ZN7rocprim17ROCPRIM_400000_NS6detail17trampoline_kernelINS0_13select_configILj256ELj13ELNS0_17block_load_methodE3ELS4_3ELS4_3ELNS0_20block_scan_algorithmE0ELj4294967295EEENS1_25partition_config_selectorILNS1_17partition_subalgoE4EjNS0_10empty_typeEbEEZZNS1_14partition_implILS8_4ELb0ES6_15HIP_vector_typeIjLj2EENS0_17counting_iteratorIjlEEPS9_SG_NS0_5tupleIJPjSI_NS0_16reverse_iteratorISI_EEEEENSH_IJSG_SG_SG_EEES9_SI_JZNS1_25segmented_radix_sort_implINS0_14default_configELb0EPKfPfPKlPlN2at6native12_GLOBAL__N_18offset_tEEE10hipError_tPvRmT1_PNSt15iterator_traitsIS12_E10value_typeET2_T3_PNS13_IS18_E10value_typeET4_jRbjT5_S1E_jjP12ihipStream_tbEUljE_ZNSN_ISO_Lb0ESQ_SR_ST_SU_SY_EESZ_S10_S11_S12_S16_S17_S18_S1B_S1C_jS1D_jS1E_S1E_jjS1G_bEUljE0_EEESZ_S10_S11_S18_S1C_S1E_T6_T7_T9_mT8_S1G_bDpT10_ENKUlT_T0_E_clISt17integral_constantIbLb0EES1U_EEDaS1P_S1Q_EUlS1P_E_NS1_11comp_targetILNS1_3genE2ELNS1_11target_archE906ELNS1_3gpuE6ELNS1_3repE0EEENS1_30default_config_static_selectorELNS0_4arch9wavefront6targetE0EEEvS12_,@function
_ZN7rocprim17ROCPRIM_400000_NS6detail17trampoline_kernelINS0_13select_configILj256ELj13ELNS0_17block_load_methodE3ELS4_3ELS4_3ELNS0_20block_scan_algorithmE0ELj4294967295EEENS1_25partition_config_selectorILNS1_17partition_subalgoE4EjNS0_10empty_typeEbEEZZNS1_14partition_implILS8_4ELb0ES6_15HIP_vector_typeIjLj2EENS0_17counting_iteratorIjlEEPS9_SG_NS0_5tupleIJPjSI_NS0_16reverse_iteratorISI_EEEEENSH_IJSG_SG_SG_EEES9_SI_JZNS1_25segmented_radix_sort_implINS0_14default_configELb0EPKfPfPKlPlN2at6native12_GLOBAL__N_18offset_tEEE10hipError_tPvRmT1_PNSt15iterator_traitsIS12_E10value_typeET2_T3_PNS13_IS18_E10value_typeET4_jRbjT5_S1E_jjP12ihipStream_tbEUljE_ZNSN_ISO_Lb0ESQ_SR_ST_SU_SY_EESZ_S10_S11_S12_S16_S17_S18_S1B_S1C_jS1D_jS1E_S1E_jjS1G_bEUljE0_EEESZ_S10_S11_S18_S1C_S1E_T6_T7_T9_mT8_S1G_bDpT10_ENKUlT_T0_E_clISt17integral_constantIbLb0EES1U_EEDaS1P_S1Q_EUlS1P_E_NS1_11comp_targetILNS1_3genE2ELNS1_11target_archE906ELNS1_3gpuE6ELNS1_3repE0EEENS1_30default_config_static_selectorELNS0_4arch9wavefront6targetE0EEEvS12_: ; @_ZN7rocprim17ROCPRIM_400000_NS6detail17trampoline_kernelINS0_13select_configILj256ELj13ELNS0_17block_load_methodE3ELS4_3ELS4_3ELNS0_20block_scan_algorithmE0ELj4294967295EEENS1_25partition_config_selectorILNS1_17partition_subalgoE4EjNS0_10empty_typeEbEEZZNS1_14partition_implILS8_4ELb0ES6_15HIP_vector_typeIjLj2EENS0_17counting_iteratorIjlEEPS9_SG_NS0_5tupleIJPjSI_NS0_16reverse_iteratorISI_EEEEENSH_IJSG_SG_SG_EEES9_SI_JZNS1_25segmented_radix_sort_implINS0_14default_configELb0EPKfPfPKlPlN2at6native12_GLOBAL__N_18offset_tEEE10hipError_tPvRmT1_PNSt15iterator_traitsIS12_E10value_typeET2_T3_PNS13_IS18_E10value_typeET4_jRbjT5_S1E_jjP12ihipStream_tbEUljE_ZNSN_ISO_Lb0ESQ_SR_ST_SU_SY_EESZ_S10_S11_S12_S16_S17_S18_S1B_S1C_jS1D_jS1E_S1E_jjS1G_bEUljE0_EEESZ_S10_S11_S18_S1C_S1E_T6_T7_T9_mT8_S1G_bDpT10_ENKUlT_T0_E_clISt17integral_constantIbLb0EES1U_EEDaS1P_S1Q_EUlS1P_E_NS1_11comp_targetILNS1_3genE2ELNS1_11target_archE906ELNS1_3gpuE6ELNS1_3repE0EEENS1_30default_config_static_selectorELNS0_4arch9wavefront6targetE0EEEvS12_
; %bb.0:
	.section	.rodata,"a",@progbits
	.p2align	6, 0x0
	.amdhsa_kernel _ZN7rocprim17ROCPRIM_400000_NS6detail17trampoline_kernelINS0_13select_configILj256ELj13ELNS0_17block_load_methodE3ELS4_3ELS4_3ELNS0_20block_scan_algorithmE0ELj4294967295EEENS1_25partition_config_selectorILNS1_17partition_subalgoE4EjNS0_10empty_typeEbEEZZNS1_14partition_implILS8_4ELb0ES6_15HIP_vector_typeIjLj2EENS0_17counting_iteratorIjlEEPS9_SG_NS0_5tupleIJPjSI_NS0_16reverse_iteratorISI_EEEEENSH_IJSG_SG_SG_EEES9_SI_JZNS1_25segmented_radix_sort_implINS0_14default_configELb0EPKfPfPKlPlN2at6native12_GLOBAL__N_18offset_tEEE10hipError_tPvRmT1_PNSt15iterator_traitsIS12_E10value_typeET2_T3_PNS13_IS18_E10value_typeET4_jRbjT5_S1E_jjP12ihipStream_tbEUljE_ZNSN_ISO_Lb0ESQ_SR_ST_SU_SY_EESZ_S10_S11_S12_S16_S17_S18_S1B_S1C_jS1D_jS1E_S1E_jjS1G_bEUljE0_EEESZ_S10_S11_S18_S1C_S1E_T6_T7_T9_mT8_S1G_bDpT10_ENKUlT_T0_E_clISt17integral_constantIbLb0EES1U_EEDaS1P_S1Q_EUlS1P_E_NS1_11comp_targetILNS1_3genE2ELNS1_11target_archE906ELNS1_3gpuE6ELNS1_3repE0EEENS1_30default_config_static_selectorELNS0_4arch9wavefront6targetE0EEEvS12_
		.amdhsa_group_segment_fixed_size 0
		.amdhsa_private_segment_fixed_size 0
		.amdhsa_kernarg_size 176
		.amdhsa_user_sgpr_count 15
		.amdhsa_user_sgpr_dispatch_ptr 0
		.amdhsa_user_sgpr_queue_ptr 0
		.amdhsa_user_sgpr_kernarg_segment_ptr 1
		.amdhsa_user_sgpr_dispatch_id 0
		.amdhsa_user_sgpr_private_segment_size 0
		.amdhsa_wavefront_size32 1
		.amdhsa_uses_dynamic_stack 0
		.amdhsa_enable_private_segment 0
		.amdhsa_system_sgpr_workgroup_id_x 1
		.amdhsa_system_sgpr_workgroup_id_y 0
		.amdhsa_system_sgpr_workgroup_id_z 0
		.amdhsa_system_sgpr_workgroup_info 0
		.amdhsa_system_vgpr_workitem_id 0
		.amdhsa_next_free_vgpr 1
		.amdhsa_next_free_sgpr 1
		.amdhsa_reserve_vcc 0
		.amdhsa_float_round_mode_32 0
		.amdhsa_float_round_mode_16_64 0
		.amdhsa_float_denorm_mode_32 3
		.amdhsa_float_denorm_mode_16_64 3
		.amdhsa_dx10_clamp 1
		.amdhsa_ieee_mode 1
		.amdhsa_fp16_overflow 0
		.amdhsa_workgroup_processor_mode 1
		.amdhsa_memory_ordered 1
		.amdhsa_forward_progress 0
		.amdhsa_shared_vgpr_count 0
		.amdhsa_exception_fp_ieee_invalid_op 0
		.amdhsa_exception_fp_denorm_src 0
		.amdhsa_exception_fp_ieee_div_zero 0
		.amdhsa_exception_fp_ieee_overflow 0
		.amdhsa_exception_fp_ieee_underflow 0
		.amdhsa_exception_fp_ieee_inexact 0
		.amdhsa_exception_int_div_zero 0
	.end_amdhsa_kernel
	.section	.text._ZN7rocprim17ROCPRIM_400000_NS6detail17trampoline_kernelINS0_13select_configILj256ELj13ELNS0_17block_load_methodE3ELS4_3ELS4_3ELNS0_20block_scan_algorithmE0ELj4294967295EEENS1_25partition_config_selectorILNS1_17partition_subalgoE4EjNS0_10empty_typeEbEEZZNS1_14partition_implILS8_4ELb0ES6_15HIP_vector_typeIjLj2EENS0_17counting_iteratorIjlEEPS9_SG_NS0_5tupleIJPjSI_NS0_16reverse_iteratorISI_EEEEENSH_IJSG_SG_SG_EEES9_SI_JZNS1_25segmented_radix_sort_implINS0_14default_configELb0EPKfPfPKlPlN2at6native12_GLOBAL__N_18offset_tEEE10hipError_tPvRmT1_PNSt15iterator_traitsIS12_E10value_typeET2_T3_PNS13_IS18_E10value_typeET4_jRbjT5_S1E_jjP12ihipStream_tbEUljE_ZNSN_ISO_Lb0ESQ_SR_ST_SU_SY_EESZ_S10_S11_S12_S16_S17_S18_S1B_S1C_jS1D_jS1E_S1E_jjS1G_bEUljE0_EEESZ_S10_S11_S18_S1C_S1E_T6_T7_T9_mT8_S1G_bDpT10_ENKUlT_T0_E_clISt17integral_constantIbLb0EES1U_EEDaS1P_S1Q_EUlS1P_E_NS1_11comp_targetILNS1_3genE2ELNS1_11target_archE906ELNS1_3gpuE6ELNS1_3repE0EEENS1_30default_config_static_selectorELNS0_4arch9wavefront6targetE0EEEvS12_,"axG",@progbits,_ZN7rocprim17ROCPRIM_400000_NS6detail17trampoline_kernelINS0_13select_configILj256ELj13ELNS0_17block_load_methodE3ELS4_3ELS4_3ELNS0_20block_scan_algorithmE0ELj4294967295EEENS1_25partition_config_selectorILNS1_17partition_subalgoE4EjNS0_10empty_typeEbEEZZNS1_14partition_implILS8_4ELb0ES6_15HIP_vector_typeIjLj2EENS0_17counting_iteratorIjlEEPS9_SG_NS0_5tupleIJPjSI_NS0_16reverse_iteratorISI_EEEEENSH_IJSG_SG_SG_EEES9_SI_JZNS1_25segmented_radix_sort_implINS0_14default_configELb0EPKfPfPKlPlN2at6native12_GLOBAL__N_18offset_tEEE10hipError_tPvRmT1_PNSt15iterator_traitsIS12_E10value_typeET2_T3_PNS13_IS18_E10value_typeET4_jRbjT5_S1E_jjP12ihipStream_tbEUljE_ZNSN_ISO_Lb0ESQ_SR_ST_SU_SY_EESZ_S10_S11_S12_S16_S17_S18_S1B_S1C_jS1D_jS1E_S1E_jjS1G_bEUljE0_EEESZ_S10_S11_S18_S1C_S1E_T6_T7_T9_mT8_S1G_bDpT10_ENKUlT_T0_E_clISt17integral_constantIbLb0EES1U_EEDaS1P_S1Q_EUlS1P_E_NS1_11comp_targetILNS1_3genE2ELNS1_11target_archE906ELNS1_3gpuE6ELNS1_3repE0EEENS1_30default_config_static_selectorELNS0_4arch9wavefront6targetE0EEEvS12_,comdat
.Lfunc_end1368:
	.size	_ZN7rocprim17ROCPRIM_400000_NS6detail17trampoline_kernelINS0_13select_configILj256ELj13ELNS0_17block_load_methodE3ELS4_3ELS4_3ELNS0_20block_scan_algorithmE0ELj4294967295EEENS1_25partition_config_selectorILNS1_17partition_subalgoE4EjNS0_10empty_typeEbEEZZNS1_14partition_implILS8_4ELb0ES6_15HIP_vector_typeIjLj2EENS0_17counting_iteratorIjlEEPS9_SG_NS0_5tupleIJPjSI_NS0_16reverse_iteratorISI_EEEEENSH_IJSG_SG_SG_EEES9_SI_JZNS1_25segmented_radix_sort_implINS0_14default_configELb0EPKfPfPKlPlN2at6native12_GLOBAL__N_18offset_tEEE10hipError_tPvRmT1_PNSt15iterator_traitsIS12_E10value_typeET2_T3_PNS13_IS18_E10value_typeET4_jRbjT5_S1E_jjP12ihipStream_tbEUljE_ZNSN_ISO_Lb0ESQ_SR_ST_SU_SY_EESZ_S10_S11_S12_S16_S17_S18_S1B_S1C_jS1D_jS1E_S1E_jjS1G_bEUljE0_EEESZ_S10_S11_S18_S1C_S1E_T6_T7_T9_mT8_S1G_bDpT10_ENKUlT_T0_E_clISt17integral_constantIbLb0EES1U_EEDaS1P_S1Q_EUlS1P_E_NS1_11comp_targetILNS1_3genE2ELNS1_11target_archE906ELNS1_3gpuE6ELNS1_3repE0EEENS1_30default_config_static_selectorELNS0_4arch9wavefront6targetE0EEEvS12_, .Lfunc_end1368-_ZN7rocprim17ROCPRIM_400000_NS6detail17trampoline_kernelINS0_13select_configILj256ELj13ELNS0_17block_load_methodE3ELS4_3ELS4_3ELNS0_20block_scan_algorithmE0ELj4294967295EEENS1_25partition_config_selectorILNS1_17partition_subalgoE4EjNS0_10empty_typeEbEEZZNS1_14partition_implILS8_4ELb0ES6_15HIP_vector_typeIjLj2EENS0_17counting_iteratorIjlEEPS9_SG_NS0_5tupleIJPjSI_NS0_16reverse_iteratorISI_EEEEENSH_IJSG_SG_SG_EEES9_SI_JZNS1_25segmented_radix_sort_implINS0_14default_configELb0EPKfPfPKlPlN2at6native12_GLOBAL__N_18offset_tEEE10hipError_tPvRmT1_PNSt15iterator_traitsIS12_E10value_typeET2_T3_PNS13_IS18_E10value_typeET4_jRbjT5_S1E_jjP12ihipStream_tbEUljE_ZNSN_ISO_Lb0ESQ_SR_ST_SU_SY_EESZ_S10_S11_S12_S16_S17_S18_S1B_S1C_jS1D_jS1E_S1E_jjS1G_bEUljE0_EEESZ_S10_S11_S18_S1C_S1E_T6_T7_T9_mT8_S1G_bDpT10_ENKUlT_T0_E_clISt17integral_constantIbLb0EES1U_EEDaS1P_S1Q_EUlS1P_E_NS1_11comp_targetILNS1_3genE2ELNS1_11target_archE906ELNS1_3gpuE6ELNS1_3repE0EEENS1_30default_config_static_selectorELNS0_4arch9wavefront6targetE0EEEvS12_
                                        ; -- End function
	.section	.AMDGPU.csdata,"",@progbits
; Kernel info:
; codeLenInByte = 0
; NumSgprs: 0
; NumVgprs: 0
; ScratchSize: 0
; MemoryBound: 0
; FloatMode: 240
; IeeeMode: 1
; LDSByteSize: 0 bytes/workgroup (compile time only)
; SGPRBlocks: 0
; VGPRBlocks: 0
; NumSGPRsForWavesPerEU: 1
; NumVGPRsForWavesPerEU: 1
; Occupancy: 16
; WaveLimiterHint : 0
; COMPUTE_PGM_RSRC2:SCRATCH_EN: 0
; COMPUTE_PGM_RSRC2:USER_SGPR: 15
; COMPUTE_PGM_RSRC2:TRAP_HANDLER: 0
; COMPUTE_PGM_RSRC2:TGID_X_EN: 1
; COMPUTE_PGM_RSRC2:TGID_Y_EN: 0
; COMPUTE_PGM_RSRC2:TGID_Z_EN: 0
; COMPUTE_PGM_RSRC2:TIDIG_COMP_CNT: 0
	.section	.text._ZN7rocprim17ROCPRIM_400000_NS6detail17trampoline_kernelINS0_13select_configILj256ELj13ELNS0_17block_load_methodE3ELS4_3ELS4_3ELNS0_20block_scan_algorithmE0ELj4294967295EEENS1_25partition_config_selectorILNS1_17partition_subalgoE4EjNS0_10empty_typeEbEEZZNS1_14partition_implILS8_4ELb0ES6_15HIP_vector_typeIjLj2EENS0_17counting_iteratorIjlEEPS9_SG_NS0_5tupleIJPjSI_NS0_16reverse_iteratorISI_EEEEENSH_IJSG_SG_SG_EEES9_SI_JZNS1_25segmented_radix_sort_implINS0_14default_configELb0EPKfPfPKlPlN2at6native12_GLOBAL__N_18offset_tEEE10hipError_tPvRmT1_PNSt15iterator_traitsIS12_E10value_typeET2_T3_PNS13_IS18_E10value_typeET4_jRbjT5_S1E_jjP12ihipStream_tbEUljE_ZNSN_ISO_Lb0ESQ_SR_ST_SU_SY_EESZ_S10_S11_S12_S16_S17_S18_S1B_S1C_jS1D_jS1E_S1E_jjS1G_bEUljE0_EEESZ_S10_S11_S18_S1C_S1E_T6_T7_T9_mT8_S1G_bDpT10_ENKUlT_T0_E_clISt17integral_constantIbLb0EES1U_EEDaS1P_S1Q_EUlS1P_E_NS1_11comp_targetILNS1_3genE10ELNS1_11target_archE1200ELNS1_3gpuE4ELNS1_3repE0EEENS1_30default_config_static_selectorELNS0_4arch9wavefront6targetE0EEEvS12_,"axG",@progbits,_ZN7rocprim17ROCPRIM_400000_NS6detail17trampoline_kernelINS0_13select_configILj256ELj13ELNS0_17block_load_methodE3ELS4_3ELS4_3ELNS0_20block_scan_algorithmE0ELj4294967295EEENS1_25partition_config_selectorILNS1_17partition_subalgoE4EjNS0_10empty_typeEbEEZZNS1_14partition_implILS8_4ELb0ES6_15HIP_vector_typeIjLj2EENS0_17counting_iteratorIjlEEPS9_SG_NS0_5tupleIJPjSI_NS0_16reverse_iteratorISI_EEEEENSH_IJSG_SG_SG_EEES9_SI_JZNS1_25segmented_radix_sort_implINS0_14default_configELb0EPKfPfPKlPlN2at6native12_GLOBAL__N_18offset_tEEE10hipError_tPvRmT1_PNSt15iterator_traitsIS12_E10value_typeET2_T3_PNS13_IS18_E10value_typeET4_jRbjT5_S1E_jjP12ihipStream_tbEUljE_ZNSN_ISO_Lb0ESQ_SR_ST_SU_SY_EESZ_S10_S11_S12_S16_S17_S18_S1B_S1C_jS1D_jS1E_S1E_jjS1G_bEUljE0_EEESZ_S10_S11_S18_S1C_S1E_T6_T7_T9_mT8_S1G_bDpT10_ENKUlT_T0_E_clISt17integral_constantIbLb0EES1U_EEDaS1P_S1Q_EUlS1P_E_NS1_11comp_targetILNS1_3genE10ELNS1_11target_archE1200ELNS1_3gpuE4ELNS1_3repE0EEENS1_30default_config_static_selectorELNS0_4arch9wavefront6targetE0EEEvS12_,comdat
	.globl	_ZN7rocprim17ROCPRIM_400000_NS6detail17trampoline_kernelINS0_13select_configILj256ELj13ELNS0_17block_load_methodE3ELS4_3ELS4_3ELNS0_20block_scan_algorithmE0ELj4294967295EEENS1_25partition_config_selectorILNS1_17partition_subalgoE4EjNS0_10empty_typeEbEEZZNS1_14partition_implILS8_4ELb0ES6_15HIP_vector_typeIjLj2EENS0_17counting_iteratorIjlEEPS9_SG_NS0_5tupleIJPjSI_NS0_16reverse_iteratorISI_EEEEENSH_IJSG_SG_SG_EEES9_SI_JZNS1_25segmented_radix_sort_implINS0_14default_configELb0EPKfPfPKlPlN2at6native12_GLOBAL__N_18offset_tEEE10hipError_tPvRmT1_PNSt15iterator_traitsIS12_E10value_typeET2_T3_PNS13_IS18_E10value_typeET4_jRbjT5_S1E_jjP12ihipStream_tbEUljE_ZNSN_ISO_Lb0ESQ_SR_ST_SU_SY_EESZ_S10_S11_S12_S16_S17_S18_S1B_S1C_jS1D_jS1E_S1E_jjS1G_bEUljE0_EEESZ_S10_S11_S18_S1C_S1E_T6_T7_T9_mT8_S1G_bDpT10_ENKUlT_T0_E_clISt17integral_constantIbLb0EES1U_EEDaS1P_S1Q_EUlS1P_E_NS1_11comp_targetILNS1_3genE10ELNS1_11target_archE1200ELNS1_3gpuE4ELNS1_3repE0EEENS1_30default_config_static_selectorELNS0_4arch9wavefront6targetE0EEEvS12_ ; -- Begin function _ZN7rocprim17ROCPRIM_400000_NS6detail17trampoline_kernelINS0_13select_configILj256ELj13ELNS0_17block_load_methodE3ELS4_3ELS4_3ELNS0_20block_scan_algorithmE0ELj4294967295EEENS1_25partition_config_selectorILNS1_17partition_subalgoE4EjNS0_10empty_typeEbEEZZNS1_14partition_implILS8_4ELb0ES6_15HIP_vector_typeIjLj2EENS0_17counting_iteratorIjlEEPS9_SG_NS0_5tupleIJPjSI_NS0_16reverse_iteratorISI_EEEEENSH_IJSG_SG_SG_EEES9_SI_JZNS1_25segmented_radix_sort_implINS0_14default_configELb0EPKfPfPKlPlN2at6native12_GLOBAL__N_18offset_tEEE10hipError_tPvRmT1_PNSt15iterator_traitsIS12_E10value_typeET2_T3_PNS13_IS18_E10value_typeET4_jRbjT5_S1E_jjP12ihipStream_tbEUljE_ZNSN_ISO_Lb0ESQ_SR_ST_SU_SY_EESZ_S10_S11_S12_S16_S17_S18_S1B_S1C_jS1D_jS1E_S1E_jjS1G_bEUljE0_EEESZ_S10_S11_S18_S1C_S1E_T6_T7_T9_mT8_S1G_bDpT10_ENKUlT_T0_E_clISt17integral_constantIbLb0EES1U_EEDaS1P_S1Q_EUlS1P_E_NS1_11comp_targetILNS1_3genE10ELNS1_11target_archE1200ELNS1_3gpuE4ELNS1_3repE0EEENS1_30default_config_static_selectorELNS0_4arch9wavefront6targetE0EEEvS12_
	.p2align	8
	.type	_ZN7rocprim17ROCPRIM_400000_NS6detail17trampoline_kernelINS0_13select_configILj256ELj13ELNS0_17block_load_methodE3ELS4_3ELS4_3ELNS0_20block_scan_algorithmE0ELj4294967295EEENS1_25partition_config_selectorILNS1_17partition_subalgoE4EjNS0_10empty_typeEbEEZZNS1_14partition_implILS8_4ELb0ES6_15HIP_vector_typeIjLj2EENS0_17counting_iteratorIjlEEPS9_SG_NS0_5tupleIJPjSI_NS0_16reverse_iteratorISI_EEEEENSH_IJSG_SG_SG_EEES9_SI_JZNS1_25segmented_radix_sort_implINS0_14default_configELb0EPKfPfPKlPlN2at6native12_GLOBAL__N_18offset_tEEE10hipError_tPvRmT1_PNSt15iterator_traitsIS12_E10value_typeET2_T3_PNS13_IS18_E10value_typeET4_jRbjT5_S1E_jjP12ihipStream_tbEUljE_ZNSN_ISO_Lb0ESQ_SR_ST_SU_SY_EESZ_S10_S11_S12_S16_S17_S18_S1B_S1C_jS1D_jS1E_S1E_jjS1G_bEUljE0_EEESZ_S10_S11_S18_S1C_S1E_T6_T7_T9_mT8_S1G_bDpT10_ENKUlT_T0_E_clISt17integral_constantIbLb0EES1U_EEDaS1P_S1Q_EUlS1P_E_NS1_11comp_targetILNS1_3genE10ELNS1_11target_archE1200ELNS1_3gpuE4ELNS1_3repE0EEENS1_30default_config_static_selectorELNS0_4arch9wavefront6targetE0EEEvS12_,@function
_ZN7rocprim17ROCPRIM_400000_NS6detail17trampoline_kernelINS0_13select_configILj256ELj13ELNS0_17block_load_methodE3ELS4_3ELS4_3ELNS0_20block_scan_algorithmE0ELj4294967295EEENS1_25partition_config_selectorILNS1_17partition_subalgoE4EjNS0_10empty_typeEbEEZZNS1_14partition_implILS8_4ELb0ES6_15HIP_vector_typeIjLj2EENS0_17counting_iteratorIjlEEPS9_SG_NS0_5tupleIJPjSI_NS0_16reverse_iteratorISI_EEEEENSH_IJSG_SG_SG_EEES9_SI_JZNS1_25segmented_radix_sort_implINS0_14default_configELb0EPKfPfPKlPlN2at6native12_GLOBAL__N_18offset_tEEE10hipError_tPvRmT1_PNSt15iterator_traitsIS12_E10value_typeET2_T3_PNS13_IS18_E10value_typeET4_jRbjT5_S1E_jjP12ihipStream_tbEUljE_ZNSN_ISO_Lb0ESQ_SR_ST_SU_SY_EESZ_S10_S11_S12_S16_S17_S18_S1B_S1C_jS1D_jS1E_S1E_jjS1G_bEUljE0_EEESZ_S10_S11_S18_S1C_S1E_T6_T7_T9_mT8_S1G_bDpT10_ENKUlT_T0_E_clISt17integral_constantIbLb0EES1U_EEDaS1P_S1Q_EUlS1P_E_NS1_11comp_targetILNS1_3genE10ELNS1_11target_archE1200ELNS1_3gpuE4ELNS1_3repE0EEENS1_30default_config_static_selectorELNS0_4arch9wavefront6targetE0EEEvS12_: ; @_ZN7rocprim17ROCPRIM_400000_NS6detail17trampoline_kernelINS0_13select_configILj256ELj13ELNS0_17block_load_methodE3ELS4_3ELS4_3ELNS0_20block_scan_algorithmE0ELj4294967295EEENS1_25partition_config_selectorILNS1_17partition_subalgoE4EjNS0_10empty_typeEbEEZZNS1_14partition_implILS8_4ELb0ES6_15HIP_vector_typeIjLj2EENS0_17counting_iteratorIjlEEPS9_SG_NS0_5tupleIJPjSI_NS0_16reverse_iteratorISI_EEEEENSH_IJSG_SG_SG_EEES9_SI_JZNS1_25segmented_radix_sort_implINS0_14default_configELb0EPKfPfPKlPlN2at6native12_GLOBAL__N_18offset_tEEE10hipError_tPvRmT1_PNSt15iterator_traitsIS12_E10value_typeET2_T3_PNS13_IS18_E10value_typeET4_jRbjT5_S1E_jjP12ihipStream_tbEUljE_ZNSN_ISO_Lb0ESQ_SR_ST_SU_SY_EESZ_S10_S11_S12_S16_S17_S18_S1B_S1C_jS1D_jS1E_S1E_jjS1G_bEUljE0_EEESZ_S10_S11_S18_S1C_S1E_T6_T7_T9_mT8_S1G_bDpT10_ENKUlT_T0_E_clISt17integral_constantIbLb0EES1U_EEDaS1P_S1Q_EUlS1P_E_NS1_11comp_targetILNS1_3genE10ELNS1_11target_archE1200ELNS1_3gpuE4ELNS1_3repE0EEENS1_30default_config_static_selectorELNS0_4arch9wavefront6targetE0EEEvS12_
; %bb.0:
	.section	.rodata,"a",@progbits
	.p2align	6, 0x0
	.amdhsa_kernel _ZN7rocprim17ROCPRIM_400000_NS6detail17trampoline_kernelINS0_13select_configILj256ELj13ELNS0_17block_load_methodE3ELS4_3ELS4_3ELNS0_20block_scan_algorithmE0ELj4294967295EEENS1_25partition_config_selectorILNS1_17partition_subalgoE4EjNS0_10empty_typeEbEEZZNS1_14partition_implILS8_4ELb0ES6_15HIP_vector_typeIjLj2EENS0_17counting_iteratorIjlEEPS9_SG_NS0_5tupleIJPjSI_NS0_16reverse_iteratorISI_EEEEENSH_IJSG_SG_SG_EEES9_SI_JZNS1_25segmented_radix_sort_implINS0_14default_configELb0EPKfPfPKlPlN2at6native12_GLOBAL__N_18offset_tEEE10hipError_tPvRmT1_PNSt15iterator_traitsIS12_E10value_typeET2_T3_PNS13_IS18_E10value_typeET4_jRbjT5_S1E_jjP12ihipStream_tbEUljE_ZNSN_ISO_Lb0ESQ_SR_ST_SU_SY_EESZ_S10_S11_S12_S16_S17_S18_S1B_S1C_jS1D_jS1E_S1E_jjS1G_bEUljE0_EEESZ_S10_S11_S18_S1C_S1E_T6_T7_T9_mT8_S1G_bDpT10_ENKUlT_T0_E_clISt17integral_constantIbLb0EES1U_EEDaS1P_S1Q_EUlS1P_E_NS1_11comp_targetILNS1_3genE10ELNS1_11target_archE1200ELNS1_3gpuE4ELNS1_3repE0EEENS1_30default_config_static_selectorELNS0_4arch9wavefront6targetE0EEEvS12_
		.amdhsa_group_segment_fixed_size 0
		.amdhsa_private_segment_fixed_size 0
		.amdhsa_kernarg_size 176
		.amdhsa_user_sgpr_count 15
		.amdhsa_user_sgpr_dispatch_ptr 0
		.amdhsa_user_sgpr_queue_ptr 0
		.amdhsa_user_sgpr_kernarg_segment_ptr 1
		.amdhsa_user_sgpr_dispatch_id 0
		.amdhsa_user_sgpr_private_segment_size 0
		.amdhsa_wavefront_size32 1
		.amdhsa_uses_dynamic_stack 0
		.amdhsa_enable_private_segment 0
		.amdhsa_system_sgpr_workgroup_id_x 1
		.amdhsa_system_sgpr_workgroup_id_y 0
		.amdhsa_system_sgpr_workgroup_id_z 0
		.amdhsa_system_sgpr_workgroup_info 0
		.amdhsa_system_vgpr_workitem_id 0
		.amdhsa_next_free_vgpr 1
		.amdhsa_next_free_sgpr 1
		.amdhsa_reserve_vcc 0
		.amdhsa_float_round_mode_32 0
		.amdhsa_float_round_mode_16_64 0
		.amdhsa_float_denorm_mode_32 3
		.amdhsa_float_denorm_mode_16_64 3
		.amdhsa_dx10_clamp 1
		.amdhsa_ieee_mode 1
		.amdhsa_fp16_overflow 0
		.amdhsa_workgroup_processor_mode 1
		.amdhsa_memory_ordered 1
		.amdhsa_forward_progress 0
		.amdhsa_shared_vgpr_count 0
		.amdhsa_exception_fp_ieee_invalid_op 0
		.amdhsa_exception_fp_denorm_src 0
		.amdhsa_exception_fp_ieee_div_zero 0
		.amdhsa_exception_fp_ieee_overflow 0
		.amdhsa_exception_fp_ieee_underflow 0
		.amdhsa_exception_fp_ieee_inexact 0
		.amdhsa_exception_int_div_zero 0
	.end_amdhsa_kernel
	.section	.text._ZN7rocprim17ROCPRIM_400000_NS6detail17trampoline_kernelINS0_13select_configILj256ELj13ELNS0_17block_load_methodE3ELS4_3ELS4_3ELNS0_20block_scan_algorithmE0ELj4294967295EEENS1_25partition_config_selectorILNS1_17partition_subalgoE4EjNS0_10empty_typeEbEEZZNS1_14partition_implILS8_4ELb0ES6_15HIP_vector_typeIjLj2EENS0_17counting_iteratorIjlEEPS9_SG_NS0_5tupleIJPjSI_NS0_16reverse_iteratorISI_EEEEENSH_IJSG_SG_SG_EEES9_SI_JZNS1_25segmented_radix_sort_implINS0_14default_configELb0EPKfPfPKlPlN2at6native12_GLOBAL__N_18offset_tEEE10hipError_tPvRmT1_PNSt15iterator_traitsIS12_E10value_typeET2_T3_PNS13_IS18_E10value_typeET4_jRbjT5_S1E_jjP12ihipStream_tbEUljE_ZNSN_ISO_Lb0ESQ_SR_ST_SU_SY_EESZ_S10_S11_S12_S16_S17_S18_S1B_S1C_jS1D_jS1E_S1E_jjS1G_bEUljE0_EEESZ_S10_S11_S18_S1C_S1E_T6_T7_T9_mT8_S1G_bDpT10_ENKUlT_T0_E_clISt17integral_constantIbLb0EES1U_EEDaS1P_S1Q_EUlS1P_E_NS1_11comp_targetILNS1_3genE10ELNS1_11target_archE1200ELNS1_3gpuE4ELNS1_3repE0EEENS1_30default_config_static_selectorELNS0_4arch9wavefront6targetE0EEEvS12_,"axG",@progbits,_ZN7rocprim17ROCPRIM_400000_NS6detail17trampoline_kernelINS0_13select_configILj256ELj13ELNS0_17block_load_methodE3ELS4_3ELS4_3ELNS0_20block_scan_algorithmE0ELj4294967295EEENS1_25partition_config_selectorILNS1_17partition_subalgoE4EjNS0_10empty_typeEbEEZZNS1_14partition_implILS8_4ELb0ES6_15HIP_vector_typeIjLj2EENS0_17counting_iteratorIjlEEPS9_SG_NS0_5tupleIJPjSI_NS0_16reverse_iteratorISI_EEEEENSH_IJSG_SG_SG_EEES9_SI_JZNS1_25segmented_radix_sort_implINS0_14default_configELb0EPKfPfPKlPlN2at6native12_GLOBAL__N_18offset_tEEE10hipError_tPvRmT1_PNSt15iterator_traitsIS12_E10value_typeET2_T3_PNS13_IS18_E10value_typeET4_jRbjT5_S1E_jjP12ihipStream_tbEUljE_ZNSN_ISO_Lb0ESQ_SR_ST_SU_SY_EESZ_S10_S11_S12_S16_S17_S18_S1B_S1C_jS1D_jS1E_S1E_jjS1G_bEUljE0_EEESZ_S10_S11_S18_S1C_S1E_T6_T7_T9_mT8_S1G_bDpT10_ENKUlT_T0_E_clISt17integral_constantIbLb0EES1U_EEDaS1P_S1Q_EUlS1P_E_NS1_11comp_targetILNS1_3genE10ELNS1_11target_archE1200ELNS1_3gpuE4ELNS1_3repE0EEENS1_30default_config_static_selectorELNS0_4arch9wavefront6targetE0EEEvS12_,comdat
.Lfunc_end1369:
	.size	_ZN7rocprim17ROCPRIM_400000_NS6detail17trampoline_kernelINS0_13select_configILj256ELj13ELNS0_17block_load_methodE3ELS4_3ELS4_3ELNS0_20block_scan_algorithmE0ELj4294967295EEENS1_25partition_config_selectorILNS1_17partition_subalgoE4EjNS0_10empty_typeEbEEZZNS1_14partition_implILS8_4ELb0ES6_15HIP_vector_typeIjLj2EENS0_17counting_iteratorIjlEEPS9_SG_NS0_5tupleIJPjSI_NS0_16reverse_iteratorISI_EEEEENSH_IJSG_SG_SG_EEES9_SI_JZNS1_25segmented_radix_sort_implINS0_14default_configELb0EPKfPfPKlPlN2at6native12_GLOBAL__N_18offset_tEEE10hipError_tPvRmT1_PNSt15iterator_traitsIS12_E10value_typeET2_T3_PNS13_IS18_E10value_typeET4_jRbjT5_S1E_jjP12ihipStream_tbEUljE_ZNSN_ISO_Lb0ESQ_SR_ST_SU_SY_EESZ_S10_S11_S12_S16_S17_S18_S1B_S1C_jS1D_jS1E_S1E_jjS1G_bEUljE0_EEESZ_S10_S11_S18_S1C_S1E_T6_T7_T9_mT8_S1G_bDpT10_ENKUlT_T0_E_clISt17integral_constantIbLb0EES1U_EEDaS1P_S1Q_EUlS1P_E_NS1_11comp_targetILNS1_3genE10ELNS1_11target_archE1200ELNS1_3gpuE4ELNS1_3repE0EEENS1_30default_config_static_selectorELNS0_4arch9wavefront6targetE0EEEvS12_, .Lfunc_end1369-_ZN7rocprim17ROCPRIM_400000_NS6detail17trampoline_kernelINS0_13select_configILj256ELj13ELNS0_17block_load_methodE3ELS4_3ELS4_3ELNS0_20block_scan_algorithmE0ELj4294967295EEENS1_25partition_config_selectorILNS1_17partition_subalgoE4EjNS0_10empty_typeEbEEZZNS1_14partition_implILS8_4ELb0ES6_15HIP_vector_typeIjLj2EENS0_17counting_iteratorIjlEEPS9_SG_NS0_5tupleIJPjSI_NS0_16reverse_iteratorISI_EEEEENSH_IJSG_SG_SG_EEES9_SI_JZNS1_25segmented_radix_sort_implINS0_14default_configELb0EPKfPfPKlPlN2at6native12_GLOBAL__N_18offset_tEEE10hipError_tPvRmT1_PNSt15iterator_traitsIS12_E10value_typeET2_T3_PNS13_IS18_E10value_typeET4_jRbjT5_S1E_jjP12ihipStream_tbEUljE_ZNSN_ISO_Lb0ESQ_SR_ST_SU_SY_EESZ_S10_S11_S12_S16_S17_S18_S1B_S1C_jS1D_jS1E_S1E_jjS1G_bEUljE0_EEESZ_S10_S11_S18_S1C_S1E_T6_T7_T9_mT8_S1G_bDpT10_ENKUlT_T0_E_clISt17integral_constantIbLb0EES1U_EEDaS1P_S1Q_EUlS1P_E_NS1_11comp_targetILNS1_3genE10ELNS1_11target_archE1200ELNS1_3gpuE4ELNS1_3repE0EEENS1_30default_config_static_selectorELNS0_4arch9wavefront6targetE0EEEvS12_
                                        ; -- End function
	.section	.AMDGPU.csdata,"",@progbits
; Kernel info:
; codeLenInByte = 0
; NumSgprs: 0
; NumVgprs: 0
; ScratchSize: 0
; MemoryBound: 0
; FloatMode: 240
; IeeeMode: 1
; LDSByteSize: 0 bytes/workgroup (compile time only)
; SGPRBlocks: 0
; VGPRBlocks: 0
; NumSGPRsForWavesPerEU: 1
; NumVGPRsForWavesPerEU: 1
; Occupancy: 16
; WaveLimiterHint : 0
; COMPUTE_PGM_RSRC2:SCRATCH_EN: 0
; COMPUTE_PGM_RSRC2:USER_SGPR: 15
; COMPUTE_PGM_RSRC2:TRAP_HANDLER: 0
; COMPUTE_PGM_RSRC2:TGID_X_EN: 1
; COMPUTE_PGM_RSRC2:TGID_Y_EN: 0
; COMPUTE_PGM_RSRC2:TGID_Z_EN: 0
; COMPUTE_PGM_RSRC2:TIDIG_COMP_CNT: 0
	.section	.text._ZN7rocprim17ROCPRIM_400000_NS6detail17trampoline_kernelINS0_13select_configILj256ELj13ELNS0_17block_load_methodE3ELS4_3ELS4_3ELNS0_20block_scan_algorithmE0ELj4294967295EEENS1_25partition_config_selectorILNS1_17partition_subalgoE4EjNS0_10empty_typeEbEEZZNS1_14partition_implILS8_4ELb0ES6_15HIP_vector_typeIjLj2EENS0_17counting_iteratorIjlEEPS9_SG_NS0_5tupleIJPjSI_NS0_16reverse_iteratorISI_EEEEENSH_IJSG_SG_SG_EEES9_SI_JZNS1_25segmented_radix_sort_implINS0_14default_configELb0EPKfPfPKlPlN2at6native12_GLOBAL__N_18offset_tEEE10hipError_tPvRmT1_PNSt15iterator_traitsIS12_E10value_typeET2_T3_PNS13_IS18_E10value_typeET4_jRbjT5_S1E_jjP12ihipStream_tbEUljE_ZNSN_ISO_Lb0ESQ_SR_ST_SU_SY_EESZ_S10_S11_S12_S16_S17_S18_S1B_S1C_jS1D_jS1E_S1E_jjS1G_bEUljE0_EEESZ_S10_S11_S18_S1C_S1E_T6_T7_T9_mT8_S1G_bDpT10_ENKUlT_T0_E_clISt17integral_constantIbLb0EES1U_EEDaS1P_S1Q_EUlS1P_E_NS1_11comp_targetILNS1_3genE9ELNS1_11target_archE1100ELNS1_3gpuE3ELNS1_3repE0EEENS1_30default_config_static_selectorELNS0_4arch9wavefront6targetE0EEEvS12_,"axG",@progbits,_ZN7rocprim17ROCPRIM_400000_NS6detail17trampoline_kernelINS0_13select_configILj256ELj13ELNS0_17block_load_methodE3ELS4_3ELS4_3ELNS0_20block_scan_algorithmE0ELj4294967295EEENS1_25partition_config_selectorILNS1_17partition_subalgoE4EjNS0_10empty_typeEbEEZZNS1_14partition_implILS8_4ELb0ES6_15HIP_vector_typeIjLj2EENS0_17counting_iteratorIjlEEPS9_SG_NS0_5tupleIJPjSI_NS0_16reverse_iteratorISI_EEEEENSH_IJSG_SG_SG_EEES9_SI_JZNS1_25segmented_radix_sort_implINS0_14default_configELb0EPKfPfPKlPlN2at6native12_GLOBAL__N_18offset_tEEE10hipError_tPvRmT1_PNSt15iterator_traitsIS12_E10value_typeET2_T3_PNS13_IS18_E10value_typeET4_jRbjT5_S1E_jjP12ihipStream_tbEUljE_ZNSN_ISO_Lb0ESQ_SR_ST_SU_SY_EESZ_S10_S11_S12_S16_S17_S18_S1B_S1C_jS1D_jS1E_S1E_jjS1G_bEUljE0_EEESZ_S10_S11_S18_S1C_S1E_T6_T7_T9_mT8_S1G_bDpT10_ENKUlT_T0_E_clISt17integral_constantIbLb0EES1U_EEDaS1P_S1Q_EUlS1P_E_NS1_11comp_targetILNS1_3genE9ELNS1_11target_archE1100ELNS1_3gpuE3ELNS1_3repE0EEENS1_30default_config_static_selectorELNS0_4arch9wavefront6targetE0EEEvS12_,comdat
	.globl	_ZN7rocprim17ROCPRIM_400000_NS6detail17trampoline_kernelINS0_13select_configILj256ELj13ELNS0_17block_load_methodE3ELS4_3ELS4_3ELNS0_20block_scan_algorithmE0ELj4294967295EEENS1_25partition_config_selectorILNS1_17partition_subalgoE4EjNS0_10empty_typeEbEEZZNS1_14partition_implILS8_4ELb0ES6_15HIP_vector_typeIjLj2EENS0_17counting_iteratorIjlEEPS9_SG_NS0_5tupleIJPjSI_NS0_16reverse_iteratorISI_EEEEENSH_IJSG_SG_SG_EEES9_SI_JZNS1_25segmented_radix_sort_implINS0_14default_configELb0EPKfPfPKlPlN2at6native12_GLOBAL__N_18offset_tEEE10hipError_tPvRmT1_PNSt15iterator_traitsIS12_E10value_typeET2_T3_PNS13_IS18_E10value_typeET4_jRbjT5_S1E_jjP12ihipStream_tbEUljE_ZNSN_ISO_Lb0ESQ_SR_ST_SU_SY_EESZ_S10_S11_S12_S16_S17_S18_S1B_S1C_jS1D_jS1E_S1E_jjS1G_bEUljE0_EEESZ_S10_S11_S18_S1C_S1E_T6_T7_T9_mT8_S1G_bDpT10_ENKUlT_T0_E_clISt17integral_constantIbLb0EES1U_EEDaS1P_S1Q_EUlS1P_E_NS1_11comp_targetILNS1_3genE9ELNS1_11target_archE1100ELNS1_3gpuE3ELNS1_3repE0EEENS1_30default_config_static_selectorELNS0_4arch9wavefront6targetE0EEEvS12_ ; -- Begin function _ZN7rocprim17ROCPRIM_400000_NS6detail17trampoline_kernelINS0_13select_configILj256ELj13ELNS0_17block_load_methodE3ELS4_3ELS4_3ELNS0_20block_scan_algorithmE0ELj4294967295EEENS1_25partition_config_selectorILNS1_17partition_subalgoE4EjNS0_10empty_typeEbEEZZNS1_14partition_implILS8_4ELb0ES6_15HIP_vector_typeIjLj2EENS0_17counting_iteratorIjlEEPS9_SG_NS0_5tupleIJPjSI_NS0_16reverse_iteratorISI_EEEEENSH_IJSG_SG_SG_EEES9_SI_JZNS1_25segmented_radix_sort_implINS0_14default_configELb0EPKfPfPKlPlN2at6native12_GLOBAL__N_18offset_tEEE10hipError_tPvRmT1_PNSt15iterator_traitsIS12_E10value_typeET2_T3_PNS13_IS18_E10value_typeET4_jRbjT5_S1E_jjP12ihipStream_tbEUljE_ZNSN_ISO_Lb0ESQ_SR_ST_SU_SY_EESZ_S10_S11_S12_S16_S17_S18_S1B_S1C_jS1D_jS1E_S1E_jjS1G_bEUljE0_EEESZ_S10_S11_S18_S1C_S1E_T6_T7_T9_mT8_S1G_bDpT10_ENKUlT_T0_E_clISt17integral_constantIbLb0EES1U_EEDaS1P_S1Q_EUlS1P_E_NS1_11comp_targetILNS1_3genE9ELNS1_11target_archE1100ELNS1_3gpuE3ELNS1_3repE0EEENS1_30default_config_static_selectorELNS0_4arch9wavefront6targetE0EEEvS12_
	.p2align	8
	.type	_ZN7rocprim17ROCPRIM_400000_NS6detail17trampoline_kernelINS0_13select_configILj256ELj13ELNS0_17block_load_methodE3ELS4_3ELS4_3ELNS0_20block_scan_algorithmE0ELj4294967295EEENS1_25partition_config_selectorILNS1_17partition_subalgoE4EjNS0_10empty_typeEbEEZZNS1_14partition_implILS8_4ELb0ES6_15HIP_vector_typeIjLj2EENS0_17counting_iteratorIjlEEPS9_SG_NS0_5tupleIJPjSI_NS0_16reverse_iteratorISI_EEEEENSH_IJSG_SG_SG_EEES9_SI_JZNS1_25segmented_radix_sort_implINS0_14default_configELb0EPKfPfPKlPlN2at6native12_GLOBAL__N_18offset_tEEE10hipError_tPvRmT1_PNSt15iterator_traitsIS12_E10value_typeET2_T3_PNS13_IS18_E10value_typeET4_jRbjT5_S1E_jjP12ihipStream_tbEUljE_ZNSN_ISO_Lb0ESQ_SR_ST_SU_SY_EESZ_S10_S11_S12_S16_S17_S18_S1B_S1C_jS1D_jS1E_S1E_jjS1G_bEUljE0_EEESZ_S10_S11_S18_S1C_S1E_T6_T7_T9_mT8_S1G_bDpT10_ENKUlT_T0_E_clISt17integral_constantIbLb0EES1U_EEDaS1P_S1Q_EUlS1P_E_NS1_11comp_targetILNS1_3genE9ELNS1_11target_archE1100ELNS1_3gpuE3ELNS1_3repE0EEENS1_30default_config_static_selectorELNS0_4arch9wavefront6targetE0EEEvS12_,@function
_ZN7rocprim17ROCPRIM_400000_NS6detail17trampoline_kernelINS0_13select_configILj256ELj13ELNS0_17block_load_methodE3ELS4_3ELS4_3ELNS0_20block_scan_algorithmE0ELj4294967295EEENS1_25partition_config_selectorILNS1_17partition_subalgoE4EjNS0_10empty_typeEbEEZZNS1_14partition_implILS8_4ELb0ES6_15HIP_vector_typeIjLj2EENS0_17counting_iteratorIjlEEPS9_SG_NS0_5tupleIJPjSI_NS0_16reverse_iteratorISI_EEEEENSH_IJSG_SG_SG_EEES9_SI_JZNS1_25segmented_radix_sort_implINS0_14default_configELb0EPKfPfPKlPlN2at6native12_GLOBAL__N_18offset_tEEE10hipError_tPvRmT1_PNSt15iterator_traitsIS12_E10value_typeET2_T3_PNS13_IS18_E10value_typeET4_jRbjT5_S1E_jjP12ihipStream_tbEUljE_ZNSN_ISO_Lb0ESQ_SR_ST_SU_SY_EESZ_S10_S11_S12_S16_S17_S18_S1B_S1C_jS1D_jS1E_S1E_jjS1G_bEUljE0_EEESZ_S10_S11_S18_S1C_S1E_T6_T7_T9_mT8_S1G_bDpT10_ENKUlT_T0_E_clISt17integral_constantIbLb0EES1U_EEDaS1P_S1Q_EUlS1P_E_NS1_11comp_targetILNS1_3genE9ELNS1_11target_archE1100ELNS1_3gpuE3ELNS1_3repE0EEENS1_30default_config_static_selectorELNS0_4arch9wavefront6targetE0EEEvS12_: ; @_ZN7rocprim17ROCPRIM_400000_NS6detail17trampoline_kernelINS0_13select_configILj256ELj13ELNS0_17block_load_methodE3ELS4_3ELS4_3ELNS0_20block_scan_algorithmE0ELj4294967295EEENS1_25partition_config_selectorILNS1_17partition_subalgoE4EjNS0_10empty_typeEbEEZZNS1_14partition_implILS8_4ELb0ES6_15HIP_vector_typeIjLj2EENS0_17counting_iteratorIjlEEPS9_SG_NS0_5tupleIJPjSI_NS0_16reverse_iteratorISI_EEEEENSH_IJSG_SG_SG_EEES9_SI_JZNS1_25segmented_radix_sort_implINS0_14default_configELb0EPKfPfPKlPlN2at6native12_GLOBAL__N_18offset_tEEE10hipError_tPvRmT1_PNSt15iterator_traitsIS12_E10value_typeET2_T3_PNS13_IS18_E10value_typeET4_jRbjT5_S1E_jjP12ihipStream_tbEUljE_ZNSN_ISO_Lb0ESQ_SR_ST_SU_SY_EESZ_S10_S11_S12_S16_S17_S18_S1B_S1C_jS1D_jS1E_S1E_jjS1G_bEUljE0_EEESZ_S10_S11_S18_S1C_S1E_T6_T7_T9_mT8_S1G_bDpT10_ENKUlT_T0_E_clISt17integral_constantIbLb0EES1U_EEDaS1P_S1Q_EUlS1P_E_NS1_11comp_targetILNS1_3genE9ELNS1_11target_archE1100ELNS1_3gpuE3ELNS1_3repE0EEENS1_30default_config_static_selectorELNS0_4arch9wavefront6targetE0EEEvS12_
; %bb.0:
	s_clause 0x6
	s_load_b32 s5, s[0:1], 0x80
	s_load_b64 s[34:35], s[0:1], 0x10
	s_load_b64 s[2:3], s[0:1], 0x68
	s_load_b32 s8, s[0:1], 0x8
	s_load_b128 s[24:27], s[0:1], 0x58
	s_load_b64 s[40:41], s[0:1], 0xa8
	s_load_b256 s[16:23], s[0:1], 0x88
	s_mul_i32 s33, s15, 0xd00
	s_waitcnt lgkmcnt(0)
	s_mul_i32 s4, s5, 0xd00
	s_add_i32 s5, s5, -1
	s_add_u32 s6, s34, s4
	s_addc_u32 s7, s35, 0
	s_load_b128 s[28:31], s[26:27], 0x0
	s_cmp_eq_u32 s15, s5
	v_cmp_lt_u64_e64 s3, s[6:7], s[2:3]
	s_cselect_b32 s14, -1, 0
	s_cmp_lg_u32 s15, s5
	s_cselect_b32 s5, -1, 0
	s_add_i32 s6, s8, s33
	s_delay_alu instid0(VALU_DEP_1) | instskip(SKIP_4) | instid1(VALU_DEP_1)
	s_or_b32 s3, s5, s3
	s_add_i32 s6, s6, s34
	s_and_b32 vcc_lo, exec_lo, s3
	v_add_nc_u32_e32 v1, s6, v0
	s_mov_b32 s5, -1
	v_add_nc_u32_e32 v2, 0x100, v1
	v_add_nc_u32_e32 v3, 0x200, v1
	;; [unrolled: 1-line block ×12, first 2 shown]
	s_cbranch_vccz .LBB1370_2
; %bb.1:
	v_lshlrev_b32_e32 v14, 2, v0
	s_mov_b32 s5, 0
	ds_store_2addr_stride64_b32 v14, v1, v2 offset1:4
	ds_store_2addr_stride64_b32 v14, v3, v4 offset0:8 offset1:12
	ds_store_2addr_stride64_b32 v14, v5, v6 offset0:16 offset1:20
	;; [unrolled: 1-line block ×5, first 2 shown]
	ds_store_b32 v14, v13 offset:12288
	s_waitcnt lgkmcnt(0)
	s_barrier
.LBB1370_2:
	s_and_not1_b32 vcc_lo, exec_lo, s5
	s_add_i32 s4, s4, s34
	s_cbranch_vccnz .LBB1370_4
; %bb.3:
	v_lshlrev_b32_e32 v14, 2, v0
	ds_store_2addr_stride64_b32 v14, v1, v2 offset1:4
	ds_store_2addr_stride64_b32 v14, v3, v4 offset0:8 offset1:12
	ds_store_2addr_stride64_b32 v14, v5, v6 offset0:16 offset1:20
	;; [unrolled: 1-line block ×5, first 2 shown]
	ds_store_b32 v14, v13 offset:12288
	s_waitcnt lgkmcnt(0)
	s_barrier
.LBB1370_4:
	v_mul_u32_u24_e32 v28, 13, v0
	s_clause 0x1
	s_load_b128 s[36:39], s[0:1], 0x28
	s_load_b64 s[26:27], s[0:1], 0x38
	s_waitcnt lgkmcnt(0)
	buffer_gl0_inv
	v_cndmask_b32_e64 v26, 0, 1, s3
	s_sub_i32 s44, s2, s4
	v_lshlrev_b32_e32 v1, 2, v28
	s_and_not1_b32 vcc_lo, exec_lo, s3
	ds_load_2addr_b32 v[16:17], v1 offset1:1
	ds_load_2addr_b32 v[14:15], v1 offset0:2 offset1:3
	ds_load_2addr_b32 v[12:13], v1 offset0:4 offset1:5
	;; [unrolled: 1-line block ×5, first 2 shown]
	ds_load_b32 v27, v1 offset:48
	s_waitcnt lgkmcnt(0)
	s_barrier
	buffer_gl0_inv
	s_cbranch_vccnz .LBB1370_32
; %bb.5:
	v_add_nc_u32_e32 v1, s17, v16
	v_add_nc_u32_e32 v2, s19, v16
	s_mov_b32 s46, 0
	s_mov_b32 s45, 0
	s_mov_b32 s3, exec_lo
	v_mul_lo_u32 v1, v1, s16
	v_mul_lo_u32 v2, v2, s18
	s_delay_alu instid0(VALU_DEP_1) | instskip(NEXT) | instid1(VALU_DEP_1)
	v_sub_nc_u32_e32 v1, v1, v2
	v_cmp_lt_u32_e32 vcc_lo, s20, v1
	v_cmpx_ge_u32_e64 s20, v1
; %bb.6:
	v_add_nc_u32_e32 v1, s22, v16
	v_add_nc_u32_e32 v2, s40, v16
	s_delay_alu instid0(VALU_DEP_2) | instskip(NEXT) | instid1(VALU_DEP_2)
	v_mul_lo_u32 v1, v1, s21
	v_mul_lo_u32 v2, v2, s23
	s_delay_alu instid0(VALU_DEP_1) | instskip(NEXT) | instid1(VALU_DEP_1)
	v_sub_nc_u32_e32 v1, v1, v2
	v_cmp_lt_u32_e64 s2, s41, v1
	s_delay_alu instid0(VALU_DEP_1)
	s_and_b32 s45, s2, exec_lo
; %bb.7:
	s_or_b32 exec_lo, exec_lo, s3
	v_add_nc_u32_e32 v1, s17, v17
	v_add_nc_u32_e32 v2, s19, v17
	s_mov_b32 s4, exec_lo
	s_delay_alu instid0(VALU_DEP_2) | instskip(NEXT) | instid1(VALU_DEP_2)
	v_mul_lo_u32 v1, v1, s16
	v_mul_lo_u32 v2, v2, s18
	s_delay_alu instid0(VALU_DEP_1) | instskip(NEXT) | instid1(VALU_DEP_1)
	v_sub_nc_u32_e32 v1, v1, v2
	v_cmp_lt_u32_e64 s2, s20, v1
	v_cmpx_ge_u32_e64 s20, v1
; %bb.8:
	v_add_nc_u32_e32 v1, s22, v17
	v_add_nc_u32_e32 v2, s40, v17
	s_delay_alu instid0(VALU_DEP_2) | instskip(NEXT) | instid1(VALU_DEP_2)
	v_mul_lo_u32 v1, v1, s21
	v_mul_lo_u32 v2, v2, s23
	s_delay_alu instid0(VALU_DEP_1) | instskip(NEXT) | instid1(VALU_DEP_1)
	v_sub_nc_u32_e32 v1, v1, v2
	v_cmp_lt_u32_e64 s3, s41, v1
	s_delay_alu instid0(VALU_DEP_1)
	s_and_b32 s46, s3, exec_lo
; %bb.9:
	s_or_b32 exec_lo, exec_lo, s4
	v_add_nc_u32_e32 v1, s17, v14
	v_add_nc_u32_e32 v2, s19, v14
	s_mov_b32 s48, 0
	s_mov_b32 s47, 0
	s_mov_b32 s5, exec_lo
	v_mul_lo_u32 v1, v1, s16
	v_mul_lo_u32 v2, v2, s18
	s_delay_alu instid0(VALU_DEP_1) | instskip(NEXT) | instid1(VALU_DEP_1)
	v_sub_nc_u32_e32 v1, v1, v2
	v_cmp_lt_u32_e64 s3, s20, v1
	v_cmpx_ge_u32_e64 s20, v1
; %bb.10:
	v_add_nc_u32_e32 v1, s22, v14
	v_add_nc_u32_e32 v2, s40, v14
	s_delay_alu instid0(VALU_DEP_2) | instskip(NEXT) | instid1(VALU_DEP_2)
	v_mul_lo_u32 v1, v1, s21
	v_mul_lo_u32 v2, v2, s23
	s_delay_alu instid0(VALU_DEP_1) | instskip(NEXT) | instid1(VALU_DEP_1)
	v_sub_nc_u32_e32 v1, v1, v2
	v_cmp_lt_u32_e64 s4, s41, v1
	s_delay_alu instid0(VALU_DEP_1)
	s_and_b32 s47, s4, exec_lo
; %bb.11:
	s_or_b32 exec_lo, exec_lo, s5
	v_add_nc_u32_e32 v1, s17, v15
	v_add_nc_u32_e32 v2, s19, v15
	s_mov_b32 s6, exec_lo
	s_delay_alu instid0(VALU_DEP_2) | instskip(NEXT) | instid1(VALU_DEP_2)
	v_mul_lo_u32 v1, v1, s16
	v_mul_lo_u32 v2, v2, s18
	s_delay_alu instid0(VALU_DEP_1) | instskip(NEXT) | instid1(VALU_DEP_1)
	v_sub_nc_u32_e32 v1, v1, v2
	v_cmp_lt_u32_e64 s4, s20, v1
	v_cmpx_ge_u32_e64 s20, v1
; %bb.12:
	v_add_nc_u32_e32 v1, s22, v15
	v_add_nc_u32_e32 v2, s40, v15
	s_delay_alu instid0(VALU_DEP_2) | instskip(NEXT) | instid1(VALU_DEP_2)
	v_mul_lo_u32 v1, v1, s21
	v_mul_lo_u32 v2, v2, s23
	s_delay_alu instid0(VALU_DEP_1) | instskip(NEXT) | instid1(VALU_DEP_1)
	v_sub_nc_u32_e32 v1, v1, v2
	v_cmp_lt_u32_e64 s5, s41, v1
	s_delay_alu instid0(VALU_DEP_1)
	s_and_b32 s48, s5, exec_lo
; %bb.13:
	s_or_b32 exec_lo, exec_lo, s6
	v_add_nc_u32_e32 v1, s17, v12
	v_add_nc_u32_e32 v2, s19, v12
	s_mov_b32 s50, 0
	s_mov_b32 s49, 0
	s_mov_b32 s7, exec_lo
	v_mul_lo_u32 v1, v1, s16
	v_mul_lo_u32 v2, v2, s18
	s_delay_alu instid0(VALU_DEP_1) | instskip(NEXT) | instid1(VALU_DEP_1)
	v_sub_nc_u32_e32 v1, v1, v2
	v_cmp_lt_u32_e64 s5, s20, v1
	;; [unrolled: 47-line block ×5, first 2 shown]
	v_cmpx_ge_u32_e64 s20, v1
; %bb.26:
	v_add_nc_u32_e32 v1, s22, v6
	v_add_nc_u32_e32 v2, s40, v6
	s_delay_alu instid0(VALU_DEP_2) | instskip(NEXT) | instid1(VALU_DEP_2)
	v_mul_lo_u32 v1, v1, s21
	v_mul_lo_u32 v2, v2, s23
	s_delay_alu instid0(VALU_DEP_1) | instskip(NEXT) | instid1(VALU_DEP_1)
	v_sub_nc_u32_e32 v1, v1, v2
	v_cmp_lt_u32_e64 s12, s41, v1
	s_delay_alu instid0(VALU_DEP_1)
	s_and_b32 s57, s12, exec_lo
; %bb.27:
	s_or_b32 exec_lo, exec_lo, s13
	v_add_nc_u32_e32 v1, s17, v7
	v_add_nc_u32_e32 v2, s19, v7
	s_mov_b32 s42, exec_lo
	s_delay_alu instid0(VALU_DEP_2) | instskip(NEXT) | instid1(VALU_DEP_2)
	v_mul_lo_u32 v1, v1, s16
	v_mul_lo_u32 v2, v2, s18
	s_delay_alu instid0(VALU_DEP_1) | instskip(NEXT) | instid1(VALU_DEP_1)
	v_sub_nc_u32_e32 v1, v1, v2
	v_cmp_lt_u32_e64 s12, s20, v1
	v_cmpx_ge_u32_e64 s20, v1
; %bb.28:
	v_add_nc_u32_e32 v1, s22, v7
	v_add_nc_u32_e32 v2, s40, v7
	s_delay_alu instid0(VALU_DEP_2) | instskip(NEXT) | instid1(VALU_DEP_2)
	v_mul_lo_u32 v1, v1, s21
	v_mul_lo_u32 v2, v2, s23
	s_delay_alu instid0(VALU_DEP_1) | instskip(NEXT) | instid1(VALU_DEP_1)
	v_sub_nc_u32_e32 v1, v1, v2
	v_cmp_lt_u32_e64 s13, s41, v1
	s_delay_alu instid0(VALU_DEP_1)
	s_and_b32 s56, s13, exec_lo
; %bb.29:
	s_or_b32 exec_lo, exec_lo, s42
	v_add_nc_u32_e32 v1, s17, v27
	v_add_nc_u32_e32 v2, s19, v27
	s_mov_b32 s42, -1
	s_mov_b32 s53, 0
	s_mov_b32 s43, 0
	v_mul_lo_u32 v1, v1, s16
	v_mul_lo_u32 v2, v2, s18
	s_mov_b32 s58, exec_lo
	s_delay_alu instid0(VALU_DEP_1) | instskip(NEXT) | instid1(VALU_DEP_1)
	v_sub_nc_u32_e32 v1, v1, v2
	v_cmpx_ge_u32_e64 s20, v1
; %bb.30:
	v_add_nc_u32_e32 v1, s22, v27
	v_add_nc_u32_e32 v2, s40, v27
	s_xor_b32 s42, exec_lo, -1
	s_delay_alu instid0(VALU_DEP_2) | instskip(NEXT) | instid1(VALU_DEP_2)
	v_mul_lo_u32 v1, v1, s21
	v_mul_lo_u32 v2, v2, s23
	s_delay_alu instid0(VALU_DEP_1) | instskip(NEXT) | instid1(VALU_DEP_1)
	v_sub_nc_u32_e32 v1, v1, v2
	v_cmp_lt_u32_e64 s13, s41, v1
	s_delay_alu instid0(VALU_DEP_1)
	s_and_b32 s43, s13, exec_lo
; %bb.31:
	s_or_b32 exec_lo, exec_lo, s58
	v_cndmask_b32_e64 v48, 0, 1, s57
	v_cndmask_b32_e64 v51, 0, 1, s12
	;; [unrolled: 1-line block ×22, first 2 shown]
	v_cndmask_b32_e64 v29, 0, 1, vcc_lo
	v_cndmask_b32_e64 v52, 0, 1, s56
	s_load_b64 s[4:5], s[0:1], 0x78
	s_and_b32 vcc_lo, exec_lo, s53
	s_add_i32 s3, s44, 0xd00
	s_cbranch_vccnz .LBB1370_33
	s_branch .LBB1370_86
.LBB1370_32:
                                        ; implicit-def: $sgpr42
                                        ; implicit-def: $sgpr43
                                        ; implicit-def: $vgpr52
                                        ; implicit-def: $vgpr48
                                        ; implicit-def: $vgpr47
                                        ; implicit-def: $vgpr45
                                        ; implicit-def: $vgpr43
                                        ; implicit-def: $vgpr40
                                        ; implicit-def: $vgpr39
                                        ; implicit-def: $vgpr37
                                        ; implicit-def: $vgpr35
                                        ; implicit-def: $vgpr29
                                        ; implicit-def: $vgpr33
                                        ; implicit-def: $vgpr31
                                        ; implicit-def: $vgpr32
                                        ; implicit-def: $vgpr38
                                        ; implicit-def: $vgpr41
                                        ; implicit-def: $vgpr42
                                        ; implicit-def: $vgpr44
                                        ; implicit-def: $vgpr46
                                        ; implicit-def: $vgpr49
                                        ; implicit-def: $vgpr50
                                        ; implicit-def: $vgpr51
                                        ; implicit-def: $vgpr30
                                        ; implicit-def: $vgpr34
                                        ; implicit-def: $vgpr36
	s_load_b64 s[4:5], s[0:1], 0x78
	s_add_i32 s3, s44, 0xd00
	s_cbranch_execz .LBB1370_86
.LBB1370_33:
	v_dual_mov_b32 v30, 0 :: v_dual_mov_b32 v29, 0
	s_mov_b32 s2, 0
	s_mov_b32 s1, exec_lo
	v_cmpx_gt_u32_e64 s3, v28
	s_cbranch_execz .LBB1370_37
; %bb.34:
	v_add_nc_u32_e32 v1, s17, v16
	v_add_nc_u32_e32 v2, s19, v16
	s_mov_b32 s6, exec_lo
	s_delay_alu instid0(VALU_DEP_2) | instskip(NEXT) | instid1(VALU_DEP_2)
	v_mul_lo_u32 v1, v1, s16
	v_mul_lo_u32 v2, v2, s18
	s_delay_alu instid0(VALU_DEP_1) | instskip(NEXT) | instid1(VALU_DEP_1)
	v_sub_nc_u32_e32 v1, v1, v2
	v_cmp_lt_u32_e32 vcc_lo, s20, v1
	v_cmpx_ge_u32_e64 s20, v1
; %bb.35:
	v_add_nc_u32_e32 v1, s22, v16
	v_add_nc_u32_e32 v2, s40, v16
	s_delay_alu instid0(VALU_DEP_2) | instskip(NEXT) | instid1(VALU_DEP_2)
	v_mul_lo_u32 v1, v1, s21
	v_mul_lo_u32 v2, v2, s23
	s_delay_alu instid0(VALU_DEP_1) | instskip(NEXT) | instid1(VALU_DEP_1)
	v_sub_nc_u32_e32 v1, v1, v2
	v_cmp_lt_u32_e64 s0, s41, v1
	s_delay_alu instid0(VALU_DEP_1)
	s_and_b32 s2, s0, exec_lo
; %bb.36:
	s_or_b32 exec_lo, exec_lo, s6
	v_cndmask_b32_e64 v29, 0, 1, vcc_lo
	v_cndmask_b32_e64 v30, 0, 1, s2
.LBB1370_37:
	s_or_b32 exec_lo, exec_lo, s1
	v_dual_mov_b32 v34, 0 :: v_dual_add_nc_u32 v1, 1, v28
	v_mov_b32_e32 v33, 0
	s_mov_b32 s2, 0
	s_mov_b32 s1, exec_lo
	s_delay_alu instid0(VALU_DEP_2)
	v_cmpx_gt_u32_e64 s3, v1
	s_cbranch_execz .LBB1370_41
; %bb.38:
	v_add_nc_u32_e32 v1, s17, v17
	v_add_nc_u32_e32 v2, s19, v17
	s_mov_b32 s6, exec_lo
	s_delay_alu instid0(VALU_DEP_2) | instskip(NEXT) | instid1(VALU_DEP_2)
	v_mul_lo_u32 v1, v1, s16
	v_mul_lo_u32 v2, v2, s18
	s_delay_alu instid0(VALU_DEP_1) | instskip(NEXT) | instid1(VALU_DEP_1)
	v_sub_nc_u32_e32 v1, v1, v2
	v_cmp_lt_u32_e32 vcc_lo, s20, v1
	v_cmpx_ge_u32_e64 s20, v1
; %bb.39:
	v_add_nc_u32_e32 v1, s22, v17
	v_add_nc_u32_e32 v2, s40, v17
	s_delay_alu instid0(VALU_DEP_2) | instskip(NEXT) | instid1(VALU_DEP_2)
	v_mul_lo_u32 v1, v1, s21
	v_mul_lo_u32 v2, v2, s23
	s_delay_alu instid0(VALU_DEP_1) | instskip(NEXT) | instid1(VALU_DEP_1)
	v_sub_nc_u32_e32 v1, v1, v2
	v_cmp_lt_u32_e64 s0, s41, v1
	s_delay_alu instid0(VALU_DEP_1)
	s_and_b32 s2, s0, exec_lo
; %bb.40:
	s_or_b32 exec_lo, exec_lo, s6
	v_cndmask_b32_e64 v33, 0, 1, vcc_lo
	v_cndmask_b32_e64 v34, 0, 1, s2
.LBB1370_41:
	s_or_b32 exec_lo, exec_lo, s1
	v_dual_mov_b32 v36, 0 :: v_dual_add_nc_u32 v1, 2, v28
	v_mov_b32_e32 v31, 0
	s_mov_b32 s2, 0
	s_mov_b32 s1, exec_lo
	s_delay_alu instid0(VALU_DEP_2)
	v_cmpx_gt_u32_e64 s3, v1
	s_cbranch_execz .LBB1370_45
; %bb.42:
	v_add_nc_u32_e32 v1, s17, v14
	v_add_nc_u32_e32 v2, s19, v14
	s_mov_b32 s6, exec_lo
	s_delay_alu instid0(VALU_DEP_2) | instskip(NEXT) | instid1(VALU_DEP_2)
	v_mul_lo_u32 v1, v1, s16
	v_mul_lo_u32 v2, v2, s18
	s_delay_alu instid0(VALU_DEP_1) | instskip(NEXT) | instid1(VALU_DEP_1)
	v_sub_nc_u32_e32 v1, v1, v2
	v_cmp_lt_u32_e32 vcc_lo, s20, v1
	v_cmpx_ge_u32_e64 s20, v1
; %bb.43:
	v_add_nc_u32_e32 v1, s22, v14
	v_add_nc_u32_e32 v2, s40, v14
	s_delay_alu instid0(VALU_DEP_2) | instskip(NEXT) | instid1(VALU_DEP_2)
	v_mul_lo_u32 v1, v1, s21
	v_mul_lo_u32 v2, v2, s23
	s_delay_alu instid0(VALU_DEP_1) | instskip(NEXT) | instid1(VALU_DEP_1)
	v_sub_nc_u32_e32 v1, v1, v2
	v_cmp_lt_u32_e64 s0, s41, v1
	s_delay_alu instid0(VALU_DEP_1)
	s_and_b32 s2, s0, exec_lo
; %bb.44:
	s_or_b32 exec_lo, exec_lo, s6
	v_cndmask_b32_e64 v31, 0, 1, vcc_lo
	v_cndmask_b32_e64 v36, 0, 1, s2
.LBB1370_45:
	s_or_b32 exec_lo, exec_lo, s1
	v_dual_mov_b32 v32, 0 :: v_dual_add_nc_u32 v1, 3, v28
	v_mov_b32_e32 v35, 0
	s_mov_b32 s2, 0
	s_mov_b32 s1, exec_lo
	s_delay_alu instid0(VALU_DEP_2)
	v_cmpx_gt_u32_e64 s3, v1
	s_cbranch_execz .LBB1370_49
; %bb.46:
	v_add_nc_u32_e32 v1, s17, v15
	v_add_nc_u32_e32 v2, s19, v15
	s_mov_b32 s6, exec_lo
	s_delay_alu instid0(VALU_DEP_2) | instskip(NEXT) | instid1(VALU_DEP_2)
	v_mul_lo_u32 v1, v1, s16
	v_mul_lo_u32 v2, v2, s18
	s_delay_alu instid0(VALU_DEP_1) | instskip(NEXT) | instid1(VALU_DEP_1)
	v_sub_nc_u32_e32 v1, v1, v2
	v_cmp_lt_u32_e32 vcc_lo, s20, v1
	v_cmpx_ge_u32_e64 s20, v1
; %bb.47:
	v_add_nc_u32_e32 v1, s22, v15
	v_add_nc_u32_e32 v2, s40, v15
	s_delay_alu instid0(VALU_DEP_2) | instskip(NEXT) | instid1(VALU_DEP_2)
	v_mul_lo_u32 v1, v1, s21
	v_mul_lo_u32 v2, v2, s23
	s_delay_alu instid0(VALU_DEP_1) | instskip(NEXT) | instid1(VALU_DEP_1)
	v_sub_nc_u32_e32 v1, v1, v2
	v_cmp_lt_u32_e64 s0, s41, v1
	s_delay_alu instid0(VALU_DEP_1)
	s_and_b32 s2, s0, exec_lo
; %bb.48:
	s_or_b32 exec_lo, exec_lo, s6
	v_cndmask_b32_e64 v32, 0, 1, vcc_lo
	v_cndmask_b32_e64 v35, 0, 1, s2
.LBB1370_49:
	s_or_b32 exec_lo, exec_lo, s1
	v_dual_mov_b32 v38, 0 :: v_dual_add_nc_u32 v1, 4, v28
	v_mov_b32_e32 v37, 0
	s_mov_b32 s2, 0
	s_mov_b32 s1, exec_lo
	s_delay_alu instid0(VALU_DEP_2)
	v_cmpx_gt_u32_e64 s3, v1
	s_cbranch_execz .LBB1370_53
; %bb.50:
	v_add_nc_u32_e32 v1, s17, v12
	v_add_nc_u32_e32 v2, s19, v12
	s_mov_b32 s6, exec_lo
	s_delay_alu instid0(VALU_DEP_2) | instskip(NEXT) | instid1(VALU_DEP_2)
	v_mul_lo_u32 v1, v1, s16
	v_mul_lo_u32 v2, v2, s18
	s_delay_alu instid0(VALU_DEP_1) | instskip(NEXT) | instid1(VALU_DEP_1)
	v_sub_nc_u32_e32 v1, v1, v2
	v_cmp_lt_u32_e32 vcc_lo, s20, v1
	v_cmpx_ge_u32_e64 s20, v1
; %bb.51:
	v_add_nc_u32_e32 v1, s22, v12
	v_add_nc_u32_e32 v2, s40, v12
	s_delay_alu instid0(VALU_DEP_2) | instskip(NEXT) | instid1(VALU_DEP_2)
	v_mul_lo_u32 v1, v1, s21
	v_mul_lo_u32 v2, v2, s23
	s_delay_alu instid0(VALU_DEP_1) | instskip(NEXT) | instid1(VALU_DEP_1)
	v_sub_nc_u32_e32 v1, v1, v2
	v_cmp_lt_u32_e64 s0, s41, v1
	s_delay_alu instid0(VALU_DEP_1)
	s_and_b32 s2, s0, exec_lo
; %bb.52:
	s_or_b32 exec_lo, exec_lo, s6
	v_cndmask_b32_e64 v38, 0, 1, vcc_lo
	v_cndmask_b32_e64 v37, 0, 1, s2
.LBB1370_53:
	s_or_b32 exec_lo, exec_lo, s1
	v_add_nc_u32_e32 v1, 5, v28
	v_mov_b32_e32 v39, 0
	v_mov_b32_e32 v41, 0
	s_mov_b32 s2, 0
	s_mov_b32 s1, exec_lo
	v_cmpx_gt_u32_e64 s3, v1
	s_cbranch_execz .LBB1370_57
; %bb.54:
	v_add_nc_u32_e32 v1, s17, v13
	v_add_nc_u32_e32 v2, s19, v13
	s_mov_b32 s6, exec_lo
	s_delay_alu instid0(VALU_DEP_2) | instskip(NEXT) | instid1(VALU_DEP_2)
	v_mul_lo_u32 v1, v1, s16
	v_mul_lo_u32 v2, v2, s18
	s_delay_alu instid0(VALU_DEP_1) | instskip(NEXT) | instid1(VALU_DEP_1)
	v_sub_nc_u32_e32 v1, v1, v2
	v_cmp_lt_u32_e32 vcc_lo, s20, v1
	v_cmpx_ge_u32_e64 s20, v1
; %bb.55:
	v_add_nc_u32_e32 v1, s22, v13
	v_add_nc_u32_e32 v2, s40, v13
	s_delay_alu instid0(VALU_DEP_2) | instskip(NEXT) | instid1(VALU_DEP_2)
	v_mul_lo_u32 v1, v1, s21
	v_mul_lo_u32 v2, v2, s23
	s_delay_alu instid0(VALU_DEP_1) | instskip(NEXT) | instid1(VALU_DEP_1)
	v_sub_nc_u32_e32 v1, v1, v2
	v_cmp_lt_u32_e64 s0, s41, v1
	s_delay_alu instid0(VALU_DEP_1)
	s_and_b32 s2, s0, exec_lo
; %bb.56:
	s_or_b32 exec_lo, exec_lo, s6
	v_cndmask_b32_e64 v41, 0, 1, vcc_lo
	v_cndmask_b32_e64 v39, 0, 1, s2
.LBB1370_57:
	s_or_b32 exec_lo, exec_lo, s1
	v_dual_mov_b32 v40, 0 :: v_dual_add_nc_u32 v1, 6, v28
	v_mov_b32_e32 v42, 0
	s_mov_b32 s2, 0
	s_mov_b32 s1, exec_lo
	s_delay_alu instid0(VALU_DEP_2)
	v_cmpx_gt_u32_e64 s3, v1
	s_cbranch_execz .LBB1370_61
; %bb.58:
	v_add_nc_u32_e32 v1, s17, v10
	v_add_nc_u32_e32 v2, s19, v10
	s_mov_b32 s6, exec_lo
	s_delay_alu instid0(VALU_DEP_2) | instskip(NEXT) | instid1(VALU_DEP_2)
	v_mul_lo_u32 v1, v1, s16
	v_mul_lo_u32 v2, v2, s18
	s_delay_alu instid0(VALU_DEP_1) | instskip(NEXT) | instid1(VALU_DEP_1)
	v_sub_nc_u32_e32 v1, v1, v2
	v_cmp_lt_u32_e32 vcc_lo, s20, v1
	v_cmpx_ge_u32_e64 s20, v1
; %bb.59:
	v_add_nc_u32_e32 v1, s22, v10
	v_add_nc_u32_e32 v2, s40, v10
	s_delay_alu instid0(VALU_DEP_2) | instskip(NEXT) | instid1(VALU_DEP_2)
	v_mul_lo_u32 v1, v1, s21
	v_mul_lo_u32 v2, v2, s23
	s_delay_alu instid0(VALU_DEP_1) | instskip(NEXT) | instid1(VALU_DEP_1)
	v_sub_nc_u32_e32 v1, v1, v2
	v_cmp_lt_u32_e64 s0, s41, v1
	s_delay_alu instid0(VALU_DEP_1)
	s_and_b32 s2, s0, exec_lo
; %bb.60:
	s_or_b32 exec_lo, exec_lo, s6
	v_cndmask_b32_e64 v42, 0, 1, vcc_lo
	v_cndmask_b32_e64 v40, 0, 1, s2
.LBB1370_61:
	s_or_b32 exec_lo, exec_lo, s1
	v_dual_mov_b32 v44, 0 :: v_dual_add_nc_u32 v1, 7, v28
	v_mov_b32_e32 v43, 0
	s_mov_b32 s2, 0
	s_mov_b32 s1, exec_lo
	s_delay_alu instid0(VALU_DEP_2)
	v_cmpx_gt_u32_e64 s3, v1
	s_cbranch_execz .LBB1370_65
; %bb.62:
	v_add_nc_u32_e32 v1, s17, v11
	v_add_nc_u32_e32 v2, s19, v11
	s_mov_b32 s6, exec_lo
	s_delay_alu instid0(VALU_DEP_2) | instskip(NEXT) | instid1(VALU_DEP_2)
	v_mul_lo_u32 v1, v1, s16
	v_mul_lo_u32 v2, v2, s18
	s_delay_alu instid0(VALU_DEP_1) | instskip(NEXT) | instid1(VALU_DEP_1)
	v_sub_nc_u32_e32 v1, v1, v2
	v_cmp_lt_u32_e32 vcc_lo, s20, v1
	v_cmpx_ge_u32_e64 s20, v1
; %bb.63:
	v_add_nc_u32_e32 v1, s22, v11
	v_add_nc_u32_e32 v2, s40, v11
	s_delay_alu instid0(VALU_DEP_2) | instskip(NEXT) | instid1(VALU_DEP_2)
	v_mul_lo_u32 v1, v1, s21
	v_mul_lo_u32 v2, v2, s23
	s_delay_alu instid0(VALU_DEP_1) | instskip(NEXT) | instid1(VALU_DEP_1)
	v_sub_nc_u32_e32 v1, v1, v2
	v_cmp_lt_u32_e64 s0, s41, v1
	s_delay_alu instid0(VALU_DEP_1)
	s_and_b32 s2, s0, exec_lo
; %bb.64:
	s_or_b32 exec_lo, exec_lo, s6
	v_cndmask_b32_e64 v44, 0, 1, vcc_lo
	v_cndmask_b32_e64 v43, 0, 1, s2
.LBB1370_65:
	s_or_b32 exec_lo, exec_lo, s1
	v_dual_mov_b32 v46, 0 :: v_dual_add_nc_u32 v1, 8, v28
	v_mov_b32_e32 v45, 0
	s_mov_b32 s2, 0
	s_mov_b32 s1, exec_lo
	s_delay_alu instid0(VALU_DEP_2)
	v_cmpx_gt_u32_e64 s3, v1
	s_cbranch_execz .LBB1370_69
; %bb.66:
	v_add_nc_u32_e32 v1, s17, v8
	v_add_nc_u32_e32 v2, s19, v8
	s_mov_b32 s6, exec_lo
	s_delay_alu instid0(VALU_DEP_2) | instskip(NEXT) | instid1(VALU_DEP_2)
	v_mul_lo_u32 v1, v1, s16
	v_mul_lo_u32 v2, v2, s18
	s_delay_alu instid0(VALU_DEP_1) | instskip(NEXT) | instid1(VALU_DEP_1)
	v_sub_nc_u32_e32 v1, v1, v2
	v_cmp_lt_u32_e32 vcc_lo, s20, v1
	v_cmpx_ge_u32_e64 s20, v1
; %bb.67:
	v_add_nc_u32_e32 v1, s22, v8
	v_add_nc_u32_e32 v2, s40, v8
	s_delay_alu instid0(VALU_DEP_2) | instskip(NEXT) | instid1(VALU_DEP_2)
	v_mul_lo_u32 v1, v1, s21
	v_mul_lo_u32 v2, v2, s23
	s_delay_alu instid0(VALU_DEP_1) | instskip(NEXT) | instid1(VALU_DEP_1)
	v_sub_nc_u32_e32 v1, v1, v2
	v_cmp_lt_u32_e64 s0, s41, v1
	s_delay_alu instid0(VALU_DEP_1)
	s_and_b32 s2, s0, exec_lo
; %bb.68:
	s_or_b32 exec_lo, exec_lo, s6
	v_cndmask_b32_e64 v46, 0, 1, vcc_lo
	v_cndmask_b32_e64 v45, 0, 1, s2
.LBB1370_69:
	s_or_b32 exec_lo, exec_lo, s1
	v_add_nc_u32_e32 v1, 9, v28
	v_mov_b32_e32 v47, 0
	v_mov_b32_e32 v49, 0
	s_mov_b32 s2, 0
	s_mov_b32 s1, exec_lo
	v_cmpx_gt_u32_e64 s3, v1
	s_cbranch_execz .LBB1370_73
; %bb.70:
	v_add_nc_u32_e32 v1, s17, v9
	v_add_nc_u32_e32 v2, s19, v9
	s_mov_b32 s6, exec_lo
	s_delay_alu instid0(VALU_DEP_2) | instskip(NEXT) | instid1(VALU_DEP_2)
	v_mul_lo_u32 v1, v1, s16
	v_mul_lo_u32 v2, v2, s18
	s_delay_alu instid0(VALU_DEP_1) | instskip(NEXT) | instid1(VALU_DEP_1)
	v_sub_nc_u32_e32 v1, v1, v2
	v_cmp_lt_u32_e32 vcc_lo, s20, v1
	v_cmpx_ge_u32_e64 s20, v1
; %bb.71:
	v_add_nc_u32_e32 v1, s22, v9
	v_add_nc_u32_e32 v2, s40, v9
	s_delay_alu instid0(VALU_DEP_2) | instskip(NEXT) | instid1(VALU_DEP_2)
	v_mul_lo_u32 v1, v1, s21
	v_mul_lo_u32 v2, v2, s23
	s_delay_alu instid0(VALU_DEP_1) | instskip(NEXT) | instid1(VALU_DEP_1)
	v_sub_nc_u32_e32 v1, v1, v2
	v_cmp_lt_u32_e64 s0, s41, v1
	s_delay_alu instid0(VALU_DEP_1)
	s_and_b32 s2, s0, exec_lo
; %bb.72:
	s_or_b32 exec_lo, exec_lo, s6
	v_cndmask_b32_e64 v49, 0, 1, vcc_lo
	v_cndmask_b32_e64 v47, 0, 1, s2
.LBB1370_73:
	s_or_b32 exec_lo, exec_lo, s1
	v_dual_mov_b32 v48, 0 :: v_dual_add_nc_u32 v1, 10, v28
	v_mov_b32_e32 v50, 0
	s_mov_b32 s2, 0
	s_mov_b32 s1, exec_lo
	s_delay_alu instid0(VALU_DEP_2)
	v_cmpx_gt_u32_e64 s3, v1
	s_cbranch_execz .LBB1370_77
; %bb.74:
	v_add_nc_u32_e32 v1, s17, v6
	v_add_nc_u32_e32 v2, s19, v6
	s_mov_b32 s6, exec_lo
	s_delay_alu instid0(VALU_DEP_2) | instskip(NEXT) | instid1(VALU_DEP_2)
	v_mul_lo_u32 v1, v1, s16
	v_mul_lo_u32 v2, v2, s18
	s_delay_alu instid0(VALU_DEP_1) | instskip(NEXT) | instid1(VALU_DEP_1)
	v_sub_nc_u32_e32 v1, v1, v2
	v_cmp_lt_u32_e32 vcc_lo, s20, v1
	v_cmpx_ge_u32_e64 s20, v1
; %bb.75:
	v_add_nc_u32_e32 v1, s22, v6
	v_add_nc_u32_e32 v2, s40, v6
	s_delay_alu instid0(VALU_DEP_2) | instskip(NEXT) | instid1(VALU_DEP_2)
	v_mul_lo_u32 v1, v1, s21
	v_mul_lo_u32 v2, v2, s23
	s_delay_alu instid0(VALU_DEP_1) | instskip(NEXT) | instid1(VALU_DEP_1)
	v_sub_nc_u32_e32 v1, v1, v2
	v_cmp_lt_u32_e64 s0, s41, v1
	s_delay_alu instid0(VALU_DEP_1)
	s_and_b32 s2, s0, exec_lo
; %bb.76:
	s_or_b32 exec_lo, exec_lo, s6
	v_cndmask_b32_e64 v50, 0, 1, vcc_lo
	v_cndmask_b32_e64 v48, 0, 1, s2
.LBB1370_77:
	s_or_b32 exec_lo, exec_lo, s1
	v_dual_mov_b32 v52, 0 :: v_dual_add_nc_u32 v1, 11, v28
	v_mov_b32_e32 v51, 0
	s_mov_b32 s2, 0
	s_mov_b32 s1, exec_lo
	s_delay_alu instid0(VALU_DEP_2)
	v_cmpx_gt_u32_e64 s3, v1
	s_cbranch_execz .LBB1370_81
; %bb.78:
	v_add_nc_u32_e32 v1, s17, v7
	v_add_nc_u32_e32 v2, s19, v7
	s_mov_b32 s6, exec_lo
	s_delay_alu instid0(VALU_DEP_2) | instskip(NEXT) | instid1(VALU_DEP_2)
	v_mul_lo_u32 v1, v1, s16
	v_mul_lo_u32 v2, v2, s18
	s_delay_alu instid0(VALU_DEP_1) | instskip(NEXT) | instid1(VALU_DEP_1)
	v_sub_nc_u32_e32 v1, v1, v2
	v_cmp_lt_u32_e32 vcc_lo, s20, v1
	v_cmpx_ge_u32_e64 s20, v1
; %bb.79:
	v_add_nc_u32_e32 v1, s22, v7
	v_add_nc_u32_e32 v2, s40, v7
	s_delay_alu instid0(VALU_DEP_2) | instskip(NEXT) | instid1(VALU_DEP_2)
	v_mul_lo_u32 v1, v1, s21
	v_mul_lo_u32 v2, v2, s23
	s_delay_alu instid0(VALU_DEP_1) | instskip(NEXT) | instid1(VALU_DEP_1)
	v_sub_nc_u32_e32 v1, v1, v2
	v_cmp_lt_u32_e64 s0, s41, v1
	s_delay_alu instid0(VALU_DEP_1)
	s_and_b32 s2, s0, exec_lo
; %bb.80:
	s_or_b32 exec_lo, exec_lo, s6
	v_cndmask_b32_e64 v51, 0, 1, vcc_lo
	v_cndmask_b32_e64 v52, 0, 1, s2
.LBB1370_81:
	s_or_b32 exec_lo, exec_lo, s1
	v_add_nc_u32_e32 v1, 12, v28
	s_mov_b32 s42, 0
	s_mov_b32 s43, 0
	s_mov_b32 s0, exec_lo
	s_delay_alu instid0(VALU_DEP_1)
	v_cmpx_gt_u32_e64 s3, v1
	s_cbranch_execz .LBB1370_85
; %bb.82:
	v_add_nc_u32_e32 v1, s17, v27
	v_add_nc_u32_e32 v2, s19, v27
	s_mov_b32 s2, -1
	s_mov_b32 s6, 0
	s_mov_b32 s1, exec_lo
	v_mul_lo_u32 v1, v1, s16
	v_mul_lo_u32 v2, v2, s18
	s_delay_alu instid0(VALU_DEP_1) | instskip(NEXT) | instid1(VALU_DEP_1)
	v_sub_nc_u32_e32 v1, v1, v2
	v_cmpx_ge_u32_e64 s20, v1
; %bb.83:
	v_add_nc_u32_e32 v1, s22, v27
	v_add_nc_u32_e32 v2, s40, v27
	s_xor_b32 s2, exec_lo, -1
	s_delay_alu instid0(VALU_DEP_2) | instskip(NEXT) | instid1(VALU_DEP_2)
	v_mul_lo_u32 v1, v1, s21
	v_mul_lo_u32 v2, v2, s23
	s_delay_alu instid0(VALU_DEP_1) | instskip(NEXT) | instid1(VALU_DEP_1)
	v_sub_nc_u32_e32 v1, v1, v2
	v_cmp_lt_u32_e32 vcc_lo, s41, v1
	s_and_b32 s6, vcc_lo, exec_lo
; %bb.84:
	s_or_b32 exec_lo, exec_lo, s1
	s_delay_alu instid0(SALU_CYCLE_1)
	s_and_b32 s43, s6, exec_lo
	s_and_b32 s42, s2, exec_lo
.LBB1370_85:
	s_or_b32 exec_lo, exec_lo, s0
.LBB1370_86:
	v_and_b32_e32 v75, 0xff, v29
	v_and_b32_e32 v76, 0xff, v30
	;; [unrolled: 1-line block ×10, first 2 shown]
	v_add3_u32 v1, v71, v73, v75
	v_add3_u32 v2, v72, v74, v76
	v_and_b32_e32 v65, 0xff, v41
	v_and_b32_e32 v66, 0xff, v39
	v_and_b32_e32 v61, 0xff, v42
	v_and_b32_e32 v62, 0xff, v40
	v_add3_u32 v1, v1, v69, v67
	v_add3_u32 v2, v2, v70, v68
	v_and_b32_e32 v63, 0xff, v44
	v_and_b32_e32 v64, 0xff, v43
	v_and_b32_e32 v59, 0xff, v46
	v_and_b32_e32 v60, 0xff, v45
	;; [unrolled: 6-line block ×3, first 2 shown]
	v_add3_u32 v1, v1, v63, v59
	v_add3_u32 v2, v2, v64, v60
	v_mbcnt_lo_u32_b32 v77, -1, 0
	v_and_b32_e32 v53, 0xff, v51
	v_and_b32_e32 v54, 0xff, v52
	v_cndmask_b32_e64 v3, 0, 1, s43
	v_add3_u32 v1, v1, v57, v55
	v_cndmask_b32_e64 v4, 0, 1, s42
	v_add3_u32 v2, v2, v58, v56
	v_and_b32_e32 v81, 15, v77
	v_and_b32_e32 v80, 16, v77
	v_lshrrev_b32_e32 v78, 5, v0
	v_add3_u32 v82, v1, v53, v4
	v_add3_u32 v83, v2, v54, v3
	v_cmp_eq_u32_e64 s1, 0, v81
	v_cmp_lt_u32_e64 s0, 1, v81
	v_cmp_lt_u32_e64 s2, 3, v81
	v_cmp_lt_u32_e32 vcc_lo, 7, v81
	v_or_b32_e32 v79, 31, v0
	s_cmp_lg_u32 s15, 0
	s_mov_b32 s6, -1
	s_cbranch_scc0 .LBB1370_114
; %bb.87:
	v_mov_b32_dpp v1, v83 row_shr:1 row_mask:0xf bank_mask:0xf
	v_mov_b32_dpp v2, v82 row_shr:1 row_mask:0xf bank_mask:0xf
	s_delay_alu instid0(VALU_DEP_2) | instskip(NEXT) | instid1(VALU_DEP_1)
	v_add_nc_u32_e32 v1, v1, v83
	v_cndmask_b32_e64 v1, v1, v83, s1
	s_delay_alu instid0(VALU_DEP_1) | instskip(NEXT) | instid1(VALU_DEP_1)
	v_mov_b32_dpp v3, v1 row_shr:2 row_mask:0xf bank_mask:0xf
	v_add_nc_u32_e32 v3, v1, v3
	s_delay_alu instid0(VALU_DEP_1) | instskip(NEXT) | instid1(VALU_DEP_1)
	v_cndmask_b32_e64 v1, v1, v3, s0
	v_mov_b32_dpp v3, v1 row_shr:4 row_mask:0xf bank_mask:0xf
	s_delay_alu instid0(VALU_DEP_1) | instskip(NEXT) | instid1(VALU_DEP_1)
	v_add_nc_u32_e32 v3, v1, v3
	v_cndmask_b32_e64 v1, v1, v3, s2
	s_delay_alu instid0(VALU_DEP_1) | instskip(NEXT) | instid1(VALU_DEP_1)
	v_mov_b32_dpp v3, v1 row_shr:8 row_mask:0xf bank_mask:0xf
	v_add_nc_u32_e32 v3, v1, v3
	s_delay_alu instid0(VALU_DEP_1) | instskip(NEXT) | instid1(VALU_DEP_1)
	v_dual_cndmask_b32 v1, v1, v3 :: v_dual_add_nc_u32 v2, v2, v82
	v_cndmask_b32_e64 v2, v2, v82, s1
	s_delay_alu instid0(VALU_DEP_1) | instskip(NEXT) | instid1(VALU_DEP_1)
	v_mov_b32_dpp v4, v2 row_shr:2 row_mask:0xf bank_mask:0xf
	v_add_nc_u32_e32 v4, v2, v4
	s_delay_alu instid0(VALU_DEP_1) | instskip(NEXT) | instid1(VALU_DEP_1)
	v_cndmask_b32_e64 v2, v2, v4, s0
	v_mov_b32_dpp v4, v2 row_shr:4 row_mask:0xf bank_mask:0xf
	s_delay_alu instid0(VALU_DEP_1) | instskip(NEXT) | instid1(VALU_DEP_1)
	v_add_nc_u32_e32 v4, v2, v4
	v_cndmask_b32_e64 v2, v2, v4, s2
	s_mov_b32 s2, exec_lo
	s_delay_alu instid0(VALU_DEP_1) | instskip(NEXT) | instid1(VALU_DEP_1)
	v_mov_b32_dpp v4, v2 row_shr:8 row_mask:0xf bank_mask:0xf
	v_add_nc_u32_e32 v4, v2, v4
	s_delay_alu instid0(VALU_DEP_1)
	v_cndmask_b32_e32 v3, v2, v4, vcc_lo
	ds_swizzle_b32 v2, v1 offset:swizzle(BROADCAST,32,15)
	v_cmp_eq_u32_e32 vcc_lo, 0, v80
	s_waitcnt lgkmcnt(0)
	v_add_nc_u32_e32 v2, v1, v2
	ds_swizzle_b32 v4, v3 offset:swizzle(BROADCAST,32,15)
	v_cndmask_b32_e32 v2, v2, v1, vcc_lo
	s_waitcnt lgkmcnt(0)
	v_add_nc_u32_e32 v4, v3, v4
	s_delay_alu instid0(VALU_DEP_1)
	v_cndmask_b32_e32 v1, v4, v3, vcc_lo
	v_cmpx_eq_u32_e64 v79, v0
	s_cbranch_execz .LBB1370_89
; %bb.88:
	v_lshlrev_b32_e32 v3, 3, v78
	ds_store_b64 v3, v[1:2]
.LBB1370_89:
	s_or_b32 exec_lo, exec_lo, s2
	s_delay_alu instid0(SALU_CYCLE_1)
	s_mov_b32 s2, exec_lo
	s_waitcnt lgkmcnt(0)
	s_barrier
	buffer_gl0_inv
	v_cmpx_gt_u32_e32 8, v0
	s_cbranch_execz .LBB1370_91
; %bb.90:
	v_lshlrev_b32_e32 v5, 3, v0
	ds_load_b64 v[3:4], v5
	s_waitcnt lgkmcnt(0)
	v_mov_b32_dpp v18, v3 row_shr:1 row_mask:0xf bank_mask:0xf
	v_mov_b32_dpp v19, v4 row_shr:1 row_mask:0xf bank_mask:0xf
	s_delay_alu instid0(VALU_DEP_2) | instskip(SKIP_1) | instid1(VALU_DEP_3)
	v_add_nc_u32_e32 v18, v18, v3
	v_and_b32_e32 v20, 7, v77
	v_add_nc_u32_e32 v19, v19, v4
	s_delay_alu instid0(VALU_DEP_2) | instskip(NEXT) | instid1(VALU_DEP_2)
	v_cmp_eq_u32_e32 vcc_lo, 0, v20
	v_dual_cndmask_b32 v4, v19, v4 :: v_dual_cndmask_b32 v3, v18, v3
	v_cmp_lt_u32_e32 vcc_lo, 1, v20
	s_delay_alu instid0(VALU_DEP_2) | instskip(NEXT) | instid1(VALU_DEP_3)
	v_mov_b32_dpp v19, v4 row_shr:2 row_mask:0xf bank_mask:0xf
	v_mov_b32_dpp v18, v3 row_shr:2 row_mask:0xf bank_mask:0xf
	s_delay_alu instid0(VALU_DEP_2) | instskip(NEXT) | instid1(VALU_DEP_2)
	v_add_nc_u32_e32 v19, v4, v19
	v_add_nc_u32_e32 v18, v3, v18
	s_delay_alu instid0(VALU_DEP_1) | instskip(SKIP_1) | instid1(VALU_DEP_2)
	v_dual_cndmask_b32 v4, v4, v19 :: v_dual_cndmask_b32 v3, v3, v18
	v_cmp_lt_u32_e32 vcc_lo, 3, v20
	v_mov_b32_dpp v19, v4 row_shr:4 row_mask:0xf bank_mask:0xf
	s_delay_alu instid0(VALU_DEP_3) | instskip(NEXT) | instid1(VALU_DEP_1)
	v_mov_b32_dpp v18, v3 row_shr:4 row_mask:0xf bank_mask:0xf
	v_dual_cndmask_b32 v19, 0, v19 :: v_dual_cndmask_b32 v18, 0, v18
	s_delay_alu instid0(VALU_DEP_1) | instskip(NEXT) | instid1(VALU_DEP_2)
	v_add_nc_u32_e32 v4, v19, v4
	v_add_nc_u32_e32 v3, v18, v3
	ds_store_b64 v5, v[3:4]
.LBB1370_91:
	s_or_b32 exec_lo, exec_lo, s2
	v_cmp_gt_u32_e32 vcc_lo, 32, v0
	v_cmp_lt_u32_e64 s2, 31, v0
	s_waitcnt lgkmcnt(0)
	s_barrier
	buffer_gl0_inv
                                        ; implicit-def: $vgpr19
	s_and_saveexec_b32 s6, s2
	s_delay_alu instid0(SALU_CYCLE_1)
	s_xor_b32 s2, exec_lo, s6
	s_cbranch_execz .LBB1370_93
; %bb.92:
	v_lshl_add_u32 v3, v78, 3, -8
	ds_load_b64 v[18:19], v3
	s_waitcnt lgkmcnt(0)
	v_add_nc_u32_e32 v2, v19, v2
	v_add_nc_u32_e32 v1, v18, v1
.LBB1370_93:
	s_and_not1_saveexec_b32 s2, s2
; %bb.94:
                                        ; implicit-def: $vgpr18
; %bb.95:
	s_delay_alu instid0(SALU_CYCLE_1) | instskip(SKIP_1) | instid1(VALU_DEP_1)
	s_or_b32 exec_lo, exec_lo, s2
	v_add_nc_u32_e32 v3, -1, v77
	v_cmp_gt_i32_e64 s2, 0, v3
	s_delay_alu instid0(VALU_DEP_1) | instskip(SKIP_1) | instid1(VALU_DEP_2)
	v_cndmask_b32_e64 v3, v3, v77, s2
	v_cmp_eq_u32_e64 s2, 0, v77
	v_lshlrev_b32_e32 v3, 2, v3
	ds_bpermute_b32 v84, v3, v1
	ds_bpermute_b32 v85, v3, v2
	s_and_saveexec_b32 s6, vcc_lo
	s_cbranch_execz .LBB1370_113
; %bb.96:
	v_mov_b32_e32 v4, 0
	ds_load_b64 v[1:2], v4 offset:56
	s_waitcnt lgkmcnt(0)
	v_readfirstlane_b32 s7, v2
	s_and_saveexec_b32 s8, s2
	s_cbranch_execz .LBB1370_98
; %bb.97:
	s_add_i32 s10, s15, 32
	s_mov_b32 s11, 0
	v_mov_b32_e32 v3, 1
	s_lshl_b64 s[12:13], s[10:11], 4
	s_mov_b32 s16, s11
	s_add_u32 s12, s4, s12
	s_addc_u32 s13, s5, s13
	s_and_b32 s17, s7, 0xff000000
	s_and_b32 s19, s7, 0xff0000
	s_mov_b32 s18, s11
	v_dual_mov_b32 v21, s13 :: v_dual_mov_b32 v20, s12
	s_or_b64 s[16:17], s[18:19], s[16:17]
	s_and_b32 s19, s7, 0xff00
	s_delay_alu instid0(SALU_CYCLE_1) | instskip(SKIP_1) | instid1(SALU_CYCLE_1)
	s_or_b64 s[16:17], s[16:17], s[18:19]
	s_and_b32 s19, s7, 0xff
	s_or_b64 s[10:11], s[16:17], s[18:19]
	s_delay_alu instid0(SALU_CYCLE_1)
	v_mov_b32_e32 v2, s11
	;;#ASMSTART
	global_store_dwordx4 v[20:21], v[1:4] off	
s_waitcnt vmcnt(0)
	;;#ASMEND
.LBB1370_98:
	s_or_b32 exec_lo, exec_lo, s8
	v_xad_u32 v20, v77, -1, s15
	s_mov_b32 s9, 0
	s_mov_b32 s8, exec_lo
	s_delay_alu instid0(VALU_DEP_1) | instskip(NEXT) | instid1(VALU_DEP_1)
	v_add_nc_u32_e32 v3, 32, v20
	v_lshlrev_b64 v[2:3], 4, v[3:4]
	s_delay_alu instid0(VALU_DEP_1) | instskip(NEXT) | instid1(VALU_DEP_2)
	v_add_co_u32 v21, vcc_lo, s4, v2
	v_add_co_ci_u32_e32 v22, vcc_lo, s5, v3, vcc_lo
	;;#ASMSTART
	global_load_dwordx4 v[2:5], v[21:22] off glc	
s_waitcnt vmcnt(0)
	;;#ASMEND
	v_and_b32_e32 v5, 0xff, v3
	v_and_b32_e32 v23, 0xff00, v3
	v_or3_b32 v2, v2, 0, 0
	v_and_b32_e32 v24, 0xff000000, v3
	v_and_b32_e32 v3, 0xff0000, v3
	s_delay_alu instid0(VALU_DEP_4) | instskip(SKIP_2) | instid1(VALU_DEP_3)
	v_or3_b32 v5, 0, v5, v23
	v_and_b32_e32 v23, 0xff, v4
	v_or3_b32 v2, v2, 0, 0
	v_or3_b32 v3, v5, v3, v24
	s_delay_alu instid0(VALU_DEP_3)
	v_cmpx_eq_u16_e32 0, v23
	s_cbranch_execz .LBB1370_101
.LBB1370_99:                            ; =>This Inner Loop Header: Depth=1
	;;#ASMSTART
	global_load_dwordx4 v[2:5], v[21:22] off glc	
s_waitcnt vmcnt(0)
	;;#ASMEND
	v_and_b32_e32 v5, 0xff, v4
	s_delay_alu instid0(VALU_DEP_1) | instskip(SKIP_1) | instid1(SALU_CYCLE_1)
	v_cmp_ne_u16_e32 vcc_lo, 0, v5
	s_or_b32 s9, vcc_lo, s9
	s_and_not1_b32 exec_lo, exec_lo, s9
	s_cbranch_execnz .LBB1370_99
; %bb.100:
	s_or_b32 exec_lo, exec_lo, s9
.LBB1370_101:
	s_delay_alu instid0(SALU_CYCLE_1)
	s_or_b32 exec_lo, exec_lo, s8
	v_cmp_ne_u32_e32 vcc_lo, 31, v77
	v_lshlrev_b32_e64 v87, v77, -1
	v_add_nc_u32_e32 v91, 4, v77
	v_add_nc_u32_e32 v93, 8, v77
	;; [unrolled: 1-line block ×3, first 2 shown]
	v_add_co_ci_u32_e32 v5, vcc_lo, 0, v77, vcc_lo
	s_delay_alu instid0(VALU_DEP_1)
	v_lshlrev_b32_e32 v86, 2, v5
	ds_bpermute_b32 v21, v86, v3
	ds_bpermute_b32 v5, v86, v2
	s_waitcnt lgkmcnt(1)
	v_add_nc_u32_e32 v21, v21, v3
	v_and_b32_e32 v22, 0xff, v4
	s_waitcnt lgkmcnt(0)
	v_add_nc_u32_e32 v5, v5, v2
	s_delay_alu instid0(VALU_DEP_2) | instskip(SKIP_2) | instid1(VALU_DEP_2)
	v_cmp_eq_u16_e32 vcc_lo, 2, v22
	v_and_or_b32 v22, vcc_lo, v87, 0x80000000
	v_cmp_gt_u32_e32 vcc_lo, 30, v77
	v_ctz_i32_b32_e32 v22, v22
	v_cndmask_b32_e64 v23, 0, 1, vcc_lo
	s_delay_alu instid0(VALU_DEP_2) | instskip(NEXT) | instid1(VALU_DEP_2)
	v_cmp_lt_u32_e32 vcc_lo, v77, v22
	v_dual_cndmask_b32 v2, v2, v5 :: v_dual_lshlrev_b32 v23, 1, v23
	s_delay_alu instid0(VALU_DEP_1)
	v_add_lshl_u32 v88, v23, v77, 2
	v_cndmask_b32_e32 v3, v3, v21, vcc_lo
	v_cmp_gt_u32_e32 vcc_lo, 28, v77
	ds_bpermute_b32 v5, v88, v2
	ds_bpermute_b32 v21, v88, v3
	v_cndmask_b32_e64 v23, 0, 1, vcc_lo
	s_waitcnt lgkmcnt(1)
	v_add_nc_u32_e32 v5, v2, v5
	v_add_nc_u32_e32 v89, 2, v77
	s_waitcnt lgkmcnt(0)
	v_add_nc_u32_e32 v21, v3, v21
	s_delay_alu instid0(VALU_DEP_2) | instskip(SKIP_1) | instid1(VALU_DEP_3)
	v_cmp_gt_u32_e32 vcc_lo, v89, v22
	v_dual_cndmask_b32 v2, v5, v2 :: v_dual_lshlrev_b32 v23, 2, v23
	v_cndmask_b32_e32 v3, v21, v3, vcc_lo
	v_cmp_gt_u32_e32 vcc_lo, 24, v77
	s_delay_alu instid0(VALU_DEP_3)
	v_add_lshl_u32 v90, v23, v77, 2
	v_cndmask_b32_e64 v23, 0, 1, vcc_lo
	v_cmp_gt_u32_e32 vcc_lo, v91, v22
	ds_bpermute_b32 v5, v90, v2
	ds_bpermute_b32 v21, v90, v3
	v_lshlrev_b32_e32 v23, 3, v23
	s_delay_alu instid0(VALU_DEP_1) | instskip(SKIP_3) | instid1(VALU_DEP_1)
	v_add_lshl_u32 v92, v23, v77, 2
	s_waitcnt lgkmcnt(1)
	v_add_nc_u32_e32 v5, v2, v5
	s_waitcnt lgkmcnt(0)
	v_dual_cndmask_b32 v2, v5, v2 :: v_dual_add_nc_u32 v21, v3, v21
	s_delay_alu instid0(VALU_DEP_1)
	v_cndmask_b32_e32 v3, v21, v3, vcc_lo
	v_cmp_gt_u32_e32 vcc_lo, 16, v77
	ds_bpermute_b32 v5, v92, v2
	ds_bpermute_b32 v21, v92, v3
	v_cndmask_b32_e64 v23, 0, 1, vcc_lo
	v_cmp_gt_u32_e32 vcc_lo, v93, v22
	s_delay_alu instid0(VALU_DEP_2) | instskip(NEXT) | instid1(VALU_DEP_1)
	v_lshlrev_b32_e32 v23, 4, v23
	v_add_lshl_u32 v94, v23, v77, 2
	s_waitcnt lgkmcnt(1)
	v_add_nc_u32_e32 v5, v2, v5
	s_waitcnt lgkmcnt(0)
	s_delay_alu instid0(VALU_DEP_1) | instskip(NEXT) | instid1(VALU_DEP_1)
	v_dual_cndmask_b32 v2, v5, v2 :: v_dual_add_nc_u32 v21, v3, v21
	v_cndmask_b32_e32 v3, v21, v3, vcc_lo
	v_cmp_le_u32_e32 vcc_lo, v95, v22
	ds_bpermute_b32 v5, v94, v2
	ds_bpermute_b32 v21, v94, v3
	s_waitcnt lgkmcnt(1)
	v_cndmask_b32_e32 v5, 0, v5, vcc_lo
	s_waitcnt lgkmcnt(0)
	s_delay_alu instid0(VALU_DEP_1) | instskip(NEXT) | instid1(VALU_DEP_1)
	v_dual_cndmask_b32 v21, 0, v21 :: v_dual_add_nc_u32 v2, v5, v2
	v_add_nc_u32_e32 v3, v21, v3
	v_mov_b32_e32 v21, 0
	s_branch .LBB1370_103
.LBB1370_102:                           ;   in Loop: Header=BB1370_103 Depth=1
	s_or_b32 exec_lo, exec_lo, s8
	ds_bpermute_b32 v5, v86, v2
	ds_bpermute_b32 v24, v86, v3
	v_subrev_nc_u32_e32 v20, 32, v20
	s_waitcnt lgkmcnt(1)
	v_add_nc_u32_e32 v5, v5, v2
	v_and_b32_e32 v25, 0xff, v4
	s_waitcnt lgkmcnt(0)
	v_add_nc_u32_e32 v24, v24, v3
	s_delay_alu instid0(VALU_DEP_2) | instskip(SKIP_1) | instid1(VALU_DEP_1)
	v_cmp_eq_u16_e32 vcc_lo, 2, v25
	v_and_or_b32 v25, vcc_lo, v87, 0x80000000
	v_ctz_i32_b32_e32 v25, v25
	s_delay_alu instid0(VALU_DEP_1)
	v_cmp_lt_u32_e32 vcc_lo, v77, v25
	v_cndmask_b32_e32 v2, v2, v5, vcc_lo
	ds_bpermute_b32 v5, v88, v2
	s_waitcnt lgkmcnt(0)
	v_add_nc_u32_e32 v5, v2, v5
	v_cndmask_b32_e32 v3, v3, v24, vcc_lo
	v_cmp_gt_u32_e32 vcc_lo, v89, v25
	s_delay_alu instid0(VALU_DEP_3)
	v_cndmask_b32_e32 v2, v5, v2, vcc_lo
	ds_bpermute_b32 v24, v88, v3
	ds_bpermute_b32 v5, v90, v2
	s_waitcnt lgkmcnt(1)
	v_add_nc_u32_e32 v24, v3, v24
	s_waitcnt lgkmcnt(0)
	v_add_nc_u32_e32 v5, v2, v5
	s_delay_alu instid0(VALU_DEP_2) | instskip(SKIP_1) | instid1(VALU_DEP_3)
	v_cndmask_b32_e32 v3, v24, v3, vcc_lo
	v_cmp_gt_u32_e32 vcc_lo, v91, v25
	v_cndmask_b32_e32 v2, v5, v2, vcc_lo
	ds_bpermute_b32 v24, v90, v3
	ds_bpermute_b32 v5, v92, v2
	s_waitcnt lgkmcnt(1)
	v_add_nc_u32_e32 v24, v3, v24
	s_waitcnt lgkmcnt(0)
	v_add_nc_u32_e32 v5, v2, v5
	s_delay_alu instid0(VALU_DEP_2) | instskip(SKIP_1) | instid1(VALU_DEP_3)
	v_cndmask_b32_e32 v3, v24, v3, vcc_lo
	v_cmp_gt_u32_e32 vcc_lo, v93, v25
	v_cndmask_b32_e32 v2, v5, v2, vcc_lo
	ds_bpermute_b32 v24, v92, v3
	ds_bpermute_b32 v5, v94, v2
	s_waitcnt lgkmcnt(1)
	v_add_nc_u32_e32 v24, v3, v24
	s_delay_alu instid0(VALU_DEP_1) | instskip(SKIP_4) | instid1(VALU_DEP_1)
	v_cndmask_b32_e32 v3, v24, v3, vcc_lo
	v_cmp_le_u32_e32 vcc_lo, v95, v25
	ds_bpermute_b32 v24, v94, v3
	s_waitcnt lgkmcnt(1)
	v_cndmask_b32_e32 v5, 0, v5, vcc_lo
	v_add3_u32 v2, v2, v22, v5
	s_waitcnt lgkmcnt(0)
	v_cndmask_b32_e32 v24, 0, v24, vcc_lo
	s_delay_alu instid0(VALU_DEP_1)
	v_add3_u32 v3, v3, v23, v24
.LBB1370_103:                           ; =>This Loop Header: Depth=1
                                        ;     Child Loop BB1370_106 Depth 2
	s_delay_alu instid0(VALU_DEP_1) | instskip(SKIP_1) | instid1(VALU_DEP_2)
	v_dual_mov_b32 v23, v3 :: v_dual_and_b32 v4, 0xff, v4
	v_mov_b32_e32 v22, v2
	v_cmp_ne_u16_e32 vcc_lo, 2, v4
	v_cndmask_b32_e64 v4, 0, 1, vcc_lo
	;;#ASMSTART
	;;#ASMEND
	s_delay_alu instid0(VALU_DEP_1)
	v_cmp_ne_u32_e32 vcc_lo, 0, v4
	s_cmp_lg_u32 vcc_lo, exec_lo
	s_cbranch_scc1 .LBB1370_108
; %bb.104:                              ;   in Loop: Header=BB1370_103 Depth=1
	v_lshlrev_b64 v[2:3], 4, v[20:21]
	s_mov_b32 s8, exec_lo
	s_delay_alu instid0(VALU_DEP_1) | instskip(NEXT) | instid1(VALU_DEP_2)
	v_add_co_u32 v24, vcc_lo, s4, v2
	v_add_co_ci_u32_e32 v25, vcc_lo, s5, v3, vcc_lo
	;;#ASMSTART
	global_load_dwordx4 v[2:5], v[24:25] off glc	
s_waitcnt vmcnt(0)
	;;#ASMEND
	v_and_b32_e32 v5, 0xff, v3
	v_and_b32_e32 v96, 0xff00, v3
	v_or3_b32 v2, v2, 0, 0
	v_and_b32_e32 v97, 0xff000000, v3
	v_and_b32_e32 v3, 0xff0000, v3
	s_delay_alu instid0(VALU_DEP_4) | instskip(SKIP_2) | instid1(VALU_DEP_3)
	v_or3_b32 v5, 0, v5, v96
	v_and_b32_e32 v96, 0xff, v4
	v_or3_b32 v2, v2, 0, 0
	v_or3_b32 v3, v5, v3, v97
	s_delay_alu instid0(VALU_DEP_3)
	v_cmpx_eq_u16_e32 0, v96
	s_cbranch_execz .LBB1370_102
; %bb.105:                              ;   in Loop: Header=BB1370_103 Depth=1
	s_mov_b32 s9, 0
.LBB1370_106:                           ;   Parent Loop BB1370_103 Depth=1
                                        ; =>  This Inner Loop Header: Depth=2
	;;#ASMSTART
	global_load_dwordx4 v[2:5], v[24:25] off glc	
s_waitcnt vmcnt(0)
	;;#ASMEND
	v_and_b32_e32 v5, 0xff, v4
	s_delay_alu instid0(VALU_DEP_1) | instskip(SKIP_1) | instid1(SALU_CYCLE_1)
	v_cmp_ne_u16_e32 vcc_lo, 0, v5
	s_or_b32 s9, vcc_lo, s9
	s_and_not1_b32 exec_lo, exec_lo, s9
	s_cbranch_execnz .LBB1370_106
; %bb.107:                              ;   in Loop: Header=BB1370_103 Depth=1
	s_or_b32 exec_lo, exec_lo, s9
	s_branch .LBB1370_102
.LBB1370_108:                           ;   in Loop: Header=BB1370_103 Depth=1
                                        ; implicit-def: $vgpr4
                                        ; implicit-def: $vgpr2_vgpr3
	s_cbranch_execz .LBB1370_103
; %bb.109:
	s_and_saveexec_b32 s8, s2
	s_cbranch_execnz .LBB1370_352
; %bb.110:
	s_or_b32 exec_lo, exec_lo, s8
	s_and_saveexec_b32 s8, s2
	s_cbranch_execnz .LBB1370_353
.LBB1370_111:
	s_or_b32 exec_lo, exec_lo, s8
	v_cmp_eq_u32_e32 vcc_lo, 0, v0
	s_and_b32 exec_lo, exec_lo, vcc_lo
	s_cbranch_execz .LBB1370_113
.LBB1370_112:
	v_mov_b32_e32 v1, 0
	ds_store_b64 v1, v[22:23] offset:56
.LBB1370_113:
	s_or_b32 exec_lo, exec_lo, s6
	v_cmp_eq_u32_e32 vcc_lo, 0, v0
	v_mov_b32_e32 v1, 0
	s_waitcnt lgkmcnt(0)
	s_barrier
	buffer_gl0_inv
	v_add_nc_u32_e64 v3, 0x3400, 0
	ds_load_b64 v[20:21], v1 offset:56
	s_waitcnt lgkmcnt(0)
	s_barrier
	buffer_gl0_inv
	ds_load_2addr_b32 v[1:2], v3 offset1:2
	ds_load_2addr_b32 v[3:4], v3 offset0:4 offset1:6
	v_cndmask_b32_e64 v5, v84, v18, s2
	v_cndmask_b32_e64 v18, v85, v19, s2
	s_delay_alu instid0(VALU_DEP_2) | instskip(NEXT) | instid1(VALU_DEP_1)
	v_add_nc_u32_e32 v19, v20, v5
	v_dual_cndmask_b32 v20, v19, v20 :: v_dual_add_nc_u32 v5, v21, v18
	s_delay_alu instid0(VALU_DEP_1)
	v_cndmask_b32_e32 v5, v5, v21, vcc_lo
	s_branch .LBB1370_124
.LBB1370_114:
                                        ; implicit-def: $vgpr5
                                        ; implicit-def: $vgpr3
                                        ; implicit-def: $vgpr1
                                        ; implicit-def: $vgpr20_vgpr21
	s_and_b32 vcc_lo, exec_lo, s6
	s_cbranch_vccz .LBB1370_124
; %bb.115:
	s_waitcnt lgkmcnt(0)
	v_mov_b32_dpp v2, v83 row_shr:1 row_mask:0xf bank_mask:0xf
	v_cmp_lt_u32_e32 vcc_lo, 3, v81
	v_mov_b32_dpp v1, v82 row_shr:1 row_mask:0xf bank_mask:0xf
	s_delay_alu instid0(VALU_DEP_3) | instskip(NEXT) | instid1(VALU_DEP_1)
	v_add_nc_u32_e32 v2, v2, v83
	v_cndmask_b32_e64 v2, v2, v83, s1
	s_delay_alu instid0(VALU_DEP_1) | instskip(NEXT) | instid1(VALU_DEP_1)
	v_mov_b32_dpp v4, v2 row_shr:2 row_mask:0xf bank_mask:0xf
	v_add_nc_u32_e32 v4, v2, v4
	s_delay_alu instid0(VALU_DEP_1) | instskip(NEXT) | instid1(VALU_DEP_1)
	v_cndmask_b32_e64 v2, v2, v4, s0
	v_mov_b32_dpp v4, v2 row_shr:4 row_mask:0xf bank_mask:0xf
	s_delay_alu instid0(VALU_DEP_1) | instskip(NEXT) | instid1(VALU_DEP_1)
	v_add_nc_u32_e32 v4, v2, v4
	v_dual_cndmask_b32 v2, v2, v4 :: v_dual_add_nc_u32 v1, v1, v82
	s_delay_alu instid0(VALU_DEP_1) | instskip(NEXT) | instid1(VALU_DEP_2)
	v_cndmask_b32_e64 v1, v1, v82, s1
	v_mov_b32_dpp v4, v2 row_shr:8 row_mask:0xf bank_mask:0xf
	s_delay_alu instid0(VALU_DEP_2) | instskip(NEXT) | instid1(VALU_DEP_2)
	v_mov_b32_dpp v3, v1 row_shr:2 row_mask:0xf bank_mask:0xf
	v_add_nc_u32_e32 v4, v2, v4
	s_delay_alu instid0(VALU_DEP_2) | instskip(NEXT) | instid1(VALU_DEP_1)
	v_add_nc_u32_e32 v3, v1, v3
	v_cndmask_b32_e64 v1, v1, v3, s0
	s_mov_b32 s0, exec_lo
	s_delay_alu instid0(VALU_DEP_1) | instskip(NEXT) | instid1(VALU_DEP_1)
	v_mov_b32_dpp v3, v1 row_shr:4 row_mask:0xf bank_mask:0xf
	v_add_nc_u32_e32 v3, v1, v3
	s_delay_alu instid0(VALU_DEP_1) | instskip(SKIP_1) | instid1(VALU_DEP_2)
	v_cndmask_b32_e32 v1, v1, v3, vcc_lo
	v_cmp_lt_u32_e32 vcc_lo, 7, v81
	v_mov_b32_dpp v3, v1 row_shr:8 row_mask:0xf bank_mask:0xf
	s_delay_alu instid0(VALU_DEP_1) | instskip(NEXT) | instid1(VALU_DEP_1)
	v_dual_cndmask_b32 v2, v2, v4 :: v_dual_add_nc_u32 v3, v1, v3
	v_cndmask_b32_e32 v1, v1, v3, vcc_lo
	ds_swizzle_b32 v3, v2 offset:swizzle(BROADCAST,32,15)
	v_cmp_eq_u32_e32 vcc_lo, 0, v80
	ds_swizzle_b32 v4, v1 offset:swizzle(BROADCAST,32,15)
	s_waitcnt lgkmcnt(1)
	v_add_nc_u32_e32 v3, v2, v3
	s_waitcnt lgkmcnt(0)
	v_add_nc_u32_e32 v4, v1, v4
	s_delay_alu instid0(VALU_DEP_1)
	v_dual_cndmask_b32 v2, v3, v2 :: v_dual_cndmask_b32 v1, v4, v1
	v_cmpx_eq_u32_e64 v79, v0
	s_cbranch_execz .LBB1370_117
; %bb.116:
	v_lshlrev_b32_e32 v3, 3, v78
	ds_store_b64 v3, v[1:2]
.LBB1370_117:
	s_or_b32 exec_lo, exec_lo, s0
	s_delay_alu instid0(SALU_CYCLE_1)
	s_mov_b32 s0, exec_lo
	s_waitcnt lgkmcnt(0)
	s_barrier
	buffer_gl0_inv
	v_cmpx_gt_u32_e32 8, v0
	s_cbranch_execz .LBB1370_119
; %bb.118:
	v_lshlrev_b32_e32 v5, 3, v0
	ds_load_b64 v[3:4], v5
	s_waitcnt lgkmcnt(0)
	v_mov_b32_dpp v18, v3 row_shr:1 row_mask:0xf bank_mask:0xf
	v_mov_b32_dpp v19, v4 row_shr:1 row_mask:0xf bank_mask:0xf
	s_delay_alu instid0(VALU_DEP_2) | instskip(SKIP_1) | instid1(VALU_DEP_3)
	v_add_nc_u32_e32 v18, v18, v3
	v_and_b32_e32 v20, 7, v77
	v_add_nc_u32_e32 v19, v19, v4
	s_delay_alu instid0(VALU_DEP_2) | instskip(NEXT) | instid1(VALU_DEP_2)
	v_cmp_eq_u32_e32 vcc_lo, 0, v20
	v_dual_cndmask_b32 v4, v19, v4 :: v_dual_cndmask_b32 v3, v18, v3
	v_cmp_lt_u32_e32 vcc_lo, 1, v20
	s_delay_alu instid0(VALU_DEP_2) | instskip(NEXT) | instid1(VALU_DEP_3)
	v_mov_b32_dpp v19, v4 row_shr:2 row_mask:0xf bank_mask:0xf
	v_mov_b32_dpp v18, v3 row_shr:2 row_mask:0xf bank_mask:0xf
	s_delay_alu instid0(VALU_DEP_2) | instskip(NEXT) | instid1(VALU_DEP_2)
	v_add_nc_u32_e32 v19, v4, v19
	v_add_nc_u32_e32 v18, v3, v18
	s_delay_alu instid0(VALU_DEP_1) | instskip(SKIP_1) | instid1(VALU_DEP_2)
	v_dual_cndmask_b32 v4, v4, v19 :: v_dual_cndmask_b32 v3, v3, v18
	v_cmp_lt_u32_e32 vcc_lo, 3, v20
	v_mov_b32_dpp v19, v4 row_shr:4 row_mask:0xf bank_mask:0xf
	s_delay_alu instid0(VALU_DEP_3) | instskip(NEXT) | instid1(VALU_DEP_1)
	v_mov_b32_dpp v18, v3 row_shr:4 row_mask:0xf bank_mask:0xf
	v_dual_cndmask_b32 v19, 0, v19 :: v_dual_cndmask_b32 v18, 0, v18
	s_delay_alu instid0(VALU_DEP_1) | instskip(NEXT) | instid1(VALU_DEP_2)
	v_add_nc_u32_e32 v4, v19, v4
	v_add_nc_u32_e32 v3, v18, v3
	ds_store_b64 v5, v[3:4]
.LBB1370_119:
	s_or_b32 exec_lo, exec_lo, s0
	v_dual_mov_b32 v3, 0 :: v_dual_mov_b32 v18, 0
	v_mov_b32_e32 v19, 0
	s_mov_b32 s0, exec_lo
	s_waitcnt lgkmcnt(0)
	s_barrier
	buffer_gl0_inv
	v_cmpx_lt_u32_e32 31, v0
	s_cbranch_execz .LBB1370_121
; %bb.120:
	v_lshl_add_u32 v4, v78, 3, -8
	ds_load_b64 v[18:19], v4
.LBB1370_121:
	s_or_b32 exec_lo, exec_lo, s0
	v_add_nc_u32_e32 v4, -1, v77
	s_waitcnt lgkmcnt(0)
	v_add_nc_u32_e32 v20, v19, v2
	v_add_nc_u32_e32 v5, v18, v1
	ds_load_b64 v[1:2], v3 offset:56
	v_cmp_gt_i32_e32 vcc_lo, 0, v4
	v_cndmask_b32_e32 v4, v4, v77, vcc_lo
	v_cmp_eq_u32_e32 vcc_lo, 0, v0
	s_delay_alu instid0(VALU_DEP_2)
	v_lshlrev_b32_e32 v4, 2, v4
	ds_bpermute_b32 v5, v4, v5
	ds_bpermute_b32 v20, v4, v20
	s_waitcnt lgkmcnt(2)
	v_readfirstlane_b32 s1, v2
	s_and_saveexec_b32 s0, vcc_lo
	s_cbranch_execz .LBB1370_123
; %bb.122:
	s_mov_b32 s6, 0
	s_add_u32 s4, s4, 0x200
	s_addc_u32 s5, s5, 0
	s_and_b32 s7, s1, 0xff000000
	s_and_b32 s9, s1, 0xff0000
	s_mov_b32 s8, s6
	v_mov_b32_e32 v22, s5
	s_or_b64 s[8:9], s[8:9], s[6:7]
	s_and_b32 s7, s1, 0xff00
	v_dual_mov_b32 v4, 0 :: v_dual_mov_b32 v21, s4
	s_or_b64 s[8:9], s[8:9], s[6:7]
	s_and_b32 s7, s1, 0xff
	v_mov_b32_e32 v3, 2
	s_or_b64 s[6:7], s[8:9], s[6:7]
	s_delay_alu instid0(SALU_CYCLE_1)
	v_mov_b32_e32 v2, s7
	;;#ASMSTART
	global_store_dwordx4 v[21:22], v[1:4] off	
s_waitcnt vmcnt(0)
	;;#ASMEND
.LBB1370_123:
	s_or_b32 exec_lo, exec_lo, s0
	v_cmp_eq_u32_e64 s0, 0, v77
	v_dual_mov_b32 v3, 0 :: v_dual_mov_b32 v2, s1
	s_waitcnt lgkmcnt(0)
	s_barrier
	s_delay_alu instid0(VALU_DEP_2)
	v_cndmask_b32_e64 v4, v5, v18, s0
	v_cndmask_b32_e64 v5, v20, v19, s0
	buffer_gl0_inv
	v_cndmask_b32_e64 v20, v4, 0, vcc_lo
	v_cndmask_b32_e64 v5, v5, 0, vcc_lo
	v_mov_b32_e32 v4, 0
.LBB1370_124:
	v_and_b32_e32 v30, 1, v30
	v_and_b32_e32 v34, 1, v34
	;; [unrolled: 1-line block ×4, first 2 shown]
	s_waitcnt lgkmcnt(0)
	v_add_co_u32 v18, s0, s28, v3
	v_cmp_eq_u32_e32 vcc_lo, 1, v30
	v_add_nc_u32_e32 v22, v5, v76
	v_sub_nc_u32_e32 v5, v5, v4
	v_add_co_ci_u32_e64 v19, null, s29, 0, s0
	s_mov_b32 s2, -1
	s_delay_alu instid0(VALU_DEP_3) | instskip(SKIP_3) | instid1(VALU_DEP_3)
	v_add_nc_u32_e32 v24, v22, v72
	v_sub_nc_u32_e32 v22, v22, v4
	v_add_nc_u32_e32 v5, v5, v1
	v_sub_co_u32 v72, s0, s30, v1
	v_add_nc_u32_e32 v22, v22, v1
	v_add_nc_u32_e32 v21, v20, v75
	v_sub_nc_u32_e32 v20, v20, v3
	s_delay_alu instid0(VALU_DEP_2)
	v_add_nc_u32_e32 v23, v21, v71
	v_add_nc_u32_e32 v71, v24, v74
	v_lshlrev_b32_e32 v74, 1, v1
	v_sub_nc_u32_e32 v21, v21, v3
	v_add_nc_u32_e32 v75, v20, v5
	v_sub_nc_u32_e32 v24, v24, v4
	s_delay_alu instid0(VALU_DEP_4) | instskip(NEXT) | instid1(VALU_DEP_4)
	v_add3_u32 v28, v74, v2, v28
	v_add_nc_u32_e32 v76, v22, v21
	s_delay_alu instid0(VALU_DEP_3) | instskip(NEXT) | instid1(VALU_DEP_3)
	v_add_nc_u32_e32 v24, v24, v1
	v_sub_nc_u32_e32 v75, v28, v75
	s_delay_alu instid0(VALU_DEP_3) | instskip(NEXT) | instid1(VALU_DEP_1)
	v_sub_nc_u32_e32 v76, v28, v76
	v_dual_cndmask_b32 v5, v75, v5 :: v_dual_add_nc_u32 v30, 1, v76
	v_cmp_eq_u32_e32 vcc_lo, 1, v34
	s_delay_alu instid0(VALU_DEP_2) | instskip(SKIP_1) | instid1(VALU_DEP_4)
	v_cndmask_b32_e32 v22, v30, v22, vcc_lo
	v_cmp_eq_u32_e32 vcc_lo, 1, v29
	v_cndmask_b32_e32 v5, v5, v20, vcc_lo
	v_and_b32_e32 v20, 1, v36
	v_cmp_eq_u32_e32 vcc_lo, 1, v33
	s_delay_alu instid0(VALU_DEP_3) | instskip(SKIP_1) | instid1(VALU_DEP_4)
	v_lshlrev_b32_e32 v5, 2, v5
	v_cndmask_b32_e32 v21, v22, v21, vcc_lo
	v_cmp_eq_u32_e32 vcc_lo, 1, v20
	v_add_nc_u32_e32 v25, v23, v73
	v_sub_nc_u32_e32 v23, v23, v3
	v_and_b32_e32 v22, 1, v31
	v_sub_co_ci_u32_e64 v73, null, s31, 0, s0
	v_and_b32_e32 v31, 1, v32
	s_delay_alu instid0(VALU_DEP_4) | instskip(NEXT) | instid1(VALU_DEP_1)
	v_add_nc_u32_e32 v77, v24, v23
	v_sub_nc_u32_e32 v75, v28, v77
	s_delay_alu instid0(VALU_DEP_1) | instskip(NEXT) | instid1(VALU_DEP_1)
	v_add_nc_u32_e32 v29, 2, v75
	v_cndmask_b32_e32 v20, v29, v24, vcc_lo
	v_sub_nc_u32_e32 v24, v71, v4
	v_cmp_eq_u32_e32 vcc_lo, 1, v22
	v_add_nc_u32_e32 v69, v25, v69
	v_lshlrev_b32_e32 v29, 2, v21
	ds_store_b32 v5, v16
	ds_store_b32 v29, v17
	v_cndmask_b32_e32 v22, v20, v23, vcc_lo
	v_sub_nc_u32_e32 v23, v25, v3
	v_add_nc_u32_e32 v24, v24, v1
	v_add_co_u32 v20, vcc_lo, v72, v4
	s_delay_alu instid0(VALU_DEP_4) | instskip(SKIP_1) | instid1(VALU_DEP_4)
	v_lshlrev_b32_e32 v5, 2, v22
	v_and_b32_e32 v22, 1, v35
	v_add_nc_u32_e32 v25, v23, v24
	v_add_co_ci_u32_e32 v21, vcc_lo, 0, v73, vcc_lo
	ds_store_b32 v5, v14
	v_cmp_eq_u32_e32 vcc_lo, 1, v22
	v_sub_nc_u32_e32 v17, v28, v25
	v_sub_nc_u32_e32 v29, v69, v3
	v_add_nc_u32_e32 v67, v69, v67
	s_delay_alu instid0(VALU_DEP_3) | instskip(NEXT) | instid1(VALU_DEP_2)
	v_add_nc_u32_e32 v17, 3, v17
	v_sub_nc_u32_e32 v30, v67, v3
	s_delay_alu instid0(VALU_DEP_2) | instskip(SKIP_2) | instid1(VALU_DEP_3)
	v_cndmask_b32_e32 v17, v17, v24, vcc_lo
	v_cmp_eq_u32_e32 vcc_lo, 1, v31
	v_and_b32_e32 v24, 1, v39
	v_cndmask_b32_e32 v14, v17, v23, vcc_lo
	v_add_nc_u32_e32 v70, v71, v70
	v_and_b32_e32 v23, 1, v38
	s_delay_alu instid0(VALU_DEP_3) | instskip(NEXT) | instid1(VALU_DEP_3)
	v_lshlrev_b32_e32 v14, 2, v14
	v_add_nc_u32_e32 v68, v70, v68
	v_sub_nc_u32_e32 v16, v70, v4
	ds_store_b32 v14, v15
	v_sub_nc_u32_e32 v25, v68, v4
	v_add_nc_u32_e32 v16, v16, v1
	s_delay_alu instid0(VALU_DEP_2) | instskip(NEXT) | instid1(VALU_DEP_2)
	v_add_nc_u32_e32 v25, v25, v1
	v_add_nc_u32_e32 v32, v29, v16
	s_delay_alu instid0(VALU_DEP_2) | instskip(NEXT) | instid1(VALU_DEP_2)
	v_add_nc_u32_e32 v22, v30, v25
	v_sub_nc_u32_e32 v5, v28, v32
	s_delay_alu instid0(VALU_DEP_2) | instskip(SKIP_1) | instid1(VALU_DEP_3)
	v_sub_nc_u32_e32 v17, v28, v22
	v_and_b32_e32 v22, 1, v37
	v_add_nc_u32_e32 v5, 4, v5
	s_delay_alu instid0(VALU_DEP_3) | instskip(NEXT) | instid1(VALU_DEP_3)
	v_add_nc_u32_e32 v17, 5, v17
	v_cmp_eq_u32_e32 vcc_lo, 1, v22
	s_delay_alu instid0(VALU_DEP_3)
	v_cndmask_b32_e32 v5, v5, v16, vcc_lo
	v_cmp_eq_u32_e32 vcc_lo, 1, v24
	v_and_b32_e32 v16, 1, v41
	v_cndmask_b32_e32 v17, v17, v25, vcc_lo
	v_cmp_eq_u32_e32 vcc_lo, 1, v23
	v_cndmask_b32_e32 v5, v5, v29, vcc_lo
	s_delay_alu instid0(VALU_DEP_4) | instskip(SKIP_1) | instid1(VALU_DEP_3)
	v_cmp_eq_u32_e32 vcc_lo, 1, v16
	v_add_nc_u32_e32 v66, v68, v66
	v_dual_cndmask_b32 v16, v17, v30 :: v_dual_lshlrev_b32 v5, 2, v5
	s_delay_alu instid0(VALU_DEP_2) | instskip(SKIP_1) | instid1(VALU_DEP_3)
	v_sub_nc_u32_e32 v22, v66, v4
	v_add_nc_u32_e32 v62, v66, v62
	v_lshlrev_b32_e32 v16, 2, v16
	ds_store_b32 v5, v12
	ds_store_b32 v16, v13
	v_and_b32_e32 v12, 1, v40
	v_add_nc_u32_e32 v22, v22, v1
	v_add_nc_u32_e32 v64, v62, v64
	v_sub_nc_u32_e32 v17, v62, v4
	v_and_b32_e32 v16, 1, v43
	v_cmp_eq_u32_e32 vcc_lo, 1, v12
	v_add_nc_u32_e32 v65, v67, v65
	v_sub_nc_u32_e32 v15, v64, v4
	v_add_nc_u32_e32 v17, v17, v1
	s_delay_alu instid0(VALU_DEP_3) | instskip(NEXT) | instid1(VALU_DEP_3)
	v_sub_nc_u32_e32 v23, v65, v3
	v_add_nc_u32_e32 v15, v15, v1
	s_delay_alu instid0(VALU_DEP_2) | instskip(NEXT) | instid1(VALU_DEP_1)
	v_add_nc_u32_e32 v24, v23, v22
	v_sub_nc_u32_e32 v14, v28, v24
	v_and_b32_e32 v24, 1, v48
	s_delay_alu instid0(VALU_DEP_2) | instskip(SKIP_1) | instid1(VALU_DEP_2)
	v_add_nc_u32_e32 v13, 6, v14
	v_and_b32_e32 v14, 1, v42
	v_cndmask_b32_e32 v12, v13, v22, vcc_lo
	v_add_nc_u32_e32 v61, v65, v61
	s_delay_alu instid0(VALU_DEP_3) | instskip(SKIP_1) | instid1(VALU_DEP_3)
	v_cmp_eq_u32_e32 vcc_lo, 1, v14
	v_and_b32_e32 v22, 1, v44
	v_sub_nc_u32_e32 v25, v61, v3
	v_add_nc_u32_e32 v63, v61, v63
	v_cndmask_b32_e32 v12, v12, v23, vcc_lo
	v_cmp_eq_u32_e32 vcc_lo, 1, v16
	v_and_b32_e32 v23, 1, v46
	v_add_nc_u32_e32 v5, v25, v17
	v_sub_nc_u32_e32 v13, v63, v3
	v_lshlrev_b32_e32 v12, 2, v12
	v_add_nc_u32_e32 v59, v63, v59
	s_delay_alu instid0(VALU_DEP_4) | instskip(NEXT) | instid1(VALU_DEP_4)
	v_sub_nc_u32_e32 v5, v28, v5
	v_add_nc_u32_e32 v14, v13, v15
	s_delay_alu instid0(VALU_DEP_3) | instskip(NEXT) | instid1(VALU_DEP_3)
	v_add_nc_u32_e32 v57, v59, v57
	v_add_nc_u32_e32 v5, 7, v5
	s_delay_alu instid0(VALU_DEP_3) | instskip(NEXT) | instid1(VALU_DEP_3)
	v_sub_nc_u32_e32 v14, v28, v14
	v_add_nc_u32_e32 v55, v57, v55
	s_delay_alu instid0(VALU_DEP_3)
	v_cndmask_b32_e32 v5, v5, v17, vcc_lo
	v_cmp_eq_u32_e32 vcc_lo, 1, v22
	v_and_b32_e32 v17, 1, v45
	v_add_nc_u32_e32 v14, 8, v14
	v_sub_nc_u32_e32 v22, v59, v3
	v_add_nc_u32_e32 v53, v55, v53
	v_cndmask_b32_e32 v5, v5, v25, vcc_lo
	v_cmp_eq_u32_e32 vcc_lo, 1, v17
	v_sub_nc_u32_e32 v17, v55, v3
	v_and_b32_e32 v25, 1, v52
	s_delay_alu instid0(VALU_DEP_4)
	v_dual_cndmask_b32 v14, v14, v15 :: v_dual_lshlrev_b32 v5, 2, v5
	v_cmp_eq_u32_e32 vcc_lo, 1, v23
	v_add_nc_u32_e32 v60, v64, v60
	ds_store_b32 v12, v10
	ds_store_b32 v5, v11
	v_and_b32_e32 v11, 1, v49
	v_cndmask_b32_e32 v5, v14, v13, vcc_lo
	v_sub_nc_u32_e32 v16, v60, v4
	v_add_nc_u32_e32 v58, v60, v58
	v_and_b32_e32 v13, 1, v47
	s_delay_alu instid0(VALU_DEP_4) | instskip(NEXT) | instid1(VALU_DEP_4)
	v_lshlrev_b32_e32 v5, 2, v5
	v_add_nc_u32_e32 v16, v16, v1
	s_delay_alu instid0(VALU_DEP_4) | instskip(SKIP_2) | instid1(VALU_DEP_4)
	v_add_nc_u32_e32 v56, v58, v56
	v_sub_nc_u32_e32 v12, v58, v4
	v_cmp_eq_u32_e32 vcc_lo, 1, v13
	v_add_nc_u32_e32 v15, v22, v16
	s_delay_alu instid0(VALU_DEP_4) | instskip(NEXT) | instid1(VALU_DEP_4)
	v_sub_nc_u32_e32 v14, v56, v4
	v_add_nc_u32_e32 v12, v12, v1
	v_add_nc_u32_e32 v54, v56, v54
	s_delay_alu instid0(VALU_DEP_4) | instskip(SKIP_2) | instid1(VALU_DEP_4)
	v_sub_nc_u32_e32 v10, v28, v15
	v_sub_nc_u32_e32 v15, v57, v3
	v_add_nc_u32_e32 v14, v14, v1
	v_sub_nc_u32_e32 v23, v54, v4
	v_sub_nc_u32_e32 v3, v53, v3
	v_add_nc_u32_e32 v10, 9, v10
	v_add_nc_u32_e32 v13, v15, v12
	s_delay_alu instid0(VALU_DEP_2) | instskip(SKIP_2) | instid1(VALU_DEP_4)
	v_dual_cndmask_b32 v10, v10, v16 :: v_dual_add_nc_u32 v23, v23, v1
	v_add_nc_u32_e32 v16, v17, v14
	v_cmp_eq_u32_e32 vcc_lo, 1, v11
	v_sub_nc_u32_e32 v11, v28, v13
	v_and_b32_e32 v13, 1, v50
	s_delay_alu instid0(VALU_DEP_4) | instskip(NEXT) | instid1(VALU_DEP_3)
	v_sub_nc_u32_e32 v16, v28, v16
	v_dual_cndmask_b32 v10, v10, v22 :: v_dual_add_nc_u32 v11, 10, v11
	v_cmp_eq_u32_e32 vcc_lo, 1, v24
	v_add_nc_u32_e32 v22, v3, v23
	s_delay_alu instid0(VALU_DEP_4) | instskip(NEXT) | instid1(VALU_DEP_4)
	v_add_nc_u32_e32 v16, 11, v16
	v_dual_cndmask_b32 v11, v11, v12 :: v_dual_lshlrev_b32 v10, 2, v10
	v_cmp_eq_u32_e32 vcc_lo, 1, v25
	s_delay_alu instid0(VALU_DEP_4) | instskip(SKIP_3) | instid1(VALU_DEP_4)
	v_sub_nc_u32_e32 v22, v28, v22
	v_and_b32_e32 v12, 1, v51
	v_cndmask_b32_e32 v14, v16, v14, vcc_lo
	v_cmp_eq_u32_e32 vcc_lo, 1, v13
	v_dual_cndmask_b32 v11, v11, v15 :: v_dual_add_nc_u32 v16, 12, v22
	s_delay_alu instid0(VALU_DEP_4) | instskip(NEXT) | instid1(VALU_DEP_2)
	v_cmp_eq_u32_e32 vcc_lo, 1, v12
	v_cndmask_b32_e64 v13, v16, v23, s43
	s_delay_alu instid0(VALU_DEP_3) | instskip(NEXT) | instid1(VALU_DEP_2)
	v_dual_cndmask_b32 v12, v14, v17 :: v_dual_lshlrev_b32 v11, 2, v11
	v_cndmask_b32_e64 v3, v13, v3, s42
	s_delay_alu instid0(VALU_DEP_2)
	v_lshlrev_b32_e32 v12, 2, v12
	ds_store_b32 v5, v8
	ds_store_b32 v10, v9
	;; [unrolled: 1-line block ×4, first 2 shown]
	v_lshlrev_b32_e32 v3, 2, v3
	v_add_co_u32 v5, s0, v2, v74
	s_delay_alu instid0(VALU_DEP_1) | instskip(SKIP_4) | instid1(VALU_DEP_2)
	v_add_co_ci_u32_e64 v6, null, 0, 0, s0
	ds_store_b32 v3, v27
	v_add_co_u32 v3, vcc_lo, v5, v20
	v_add_co_ci_u32_e32 v5, vcc_lo, v6, v21, vcc_lo
	s_add_u32 s0, s34, s33
	v_add_co_u32 v3, vcc_lo, v3, v18
	s_delay_alu instid0(VALU_DEP_2) | instskip(SKIP_1) | instid1(VALU_DEP_2)
	v_add_co_ci_u32_e32 v5, vcc_lo, v5, v19, vcc_lo
	s_addc_u32 s1, s35, 0
	v_sub_co_u32 v3, vcc_lo, s0, v3
	s_delay_alu instid0(VALU_DEP_2)
	v_sub_co_ci_u32_e32 v9, vcc_lo, s1, v5, vcc_lo
	v_lshlrev_b64 v[5:6], 2, v[20:21]
	v_lshlrev_b64 v[7:8], 2, v[18:19]
	v_add_nc_u32_e32 v10, v1, v2
	s_add_u32 s1, s26, -4
	s_waitcnt lgkmcnt(0)
	s_barrier
	v_add_co_u32 v5, vcc_lo, s38, v5
	v_add_co_ci_u32_e32 v6, vcc_lo, s39, v6, vcc_lo
	v_cmp_ne_u32_e32 vcc_lo, 1, v26
	v_add_co_u32 v7, s0, s36, v7
	s_delay_alu instid0(VALU_DEP_1)
	v_add_co_ci_u32_e64 v8, s0, s37, v8, s0
	s_addc_u32 s0, s27, -1
	buffer_gl0_inv
	s_cbranch_vccz .LBB1370_128
; %bb.125:
	s_and_b32 vcc_lo, exec_lo, s2
	s_cbranch_vccnz .LBB1370_233
.LBB1370_126:
	v_cmp_eq_u32_e32 vcc_lo, 0, v0
	s_and_b32 s0, vcc_lo, s14
	s_delay_alu instid0(SALU_CYCLE_1)
	s_and_saveexec_b32 s1, s0
	s_cbranch_execnz .LBB1370_351
.LBB1370_127:
	s_nop 0
	s_sendmsg sendmsg(MSG_DEALLOC_VGPRS)
	s_endpgm
.LBB1370_128:
	s_mov_b32 s2, exec_lo
	v_cmpx_le_u32_e64 v1, v0
	s_xor_b32 s2, exec_lo, s2
	s_cbranch_execz .LBB1370_134
; %bb.129:
	s_mov_b32 s4, exec_lo
	v_cmpx_le_u32_e64 v10, v0
	s_xor_b32 s4, exec_lo, s4
	s_cbranch_execz .LBB1370_131
; %bb.130:
	v_lshlrev_b32_e32 v11, 2, v0
	ds_load_b32 v13, v11
	v_add_co_u32 v11, vcc_lo, v3, v0
	v_add_co_ci_u32_e32 v12, vcc_lo, 0, v9, vcc_lo
	s_delay_alu instid0(VALU_DEP_1) | instskip(NEXT) | instid1(VALU_DEP_1)
	v_lshlrev_b64 v[11:12], 2, v[11:12]
	v_sub_co_u32 v11, vcc_lo, s26, v11
	s_delay_alu instid0(VALU_DEP_2)
	v_sub_co_ci_u32_e32 v12, vcc_lo, s27, v12, vcc_lo
	s_waitcnt lgkmcnt(0)
	global_store_b32 v[11:12], v13, off offset:-4
.LBB1370_131:
	s_and_not1_saveexec_b32 s4, s4
	s_cbranch_execz .LBB1370_133
; %bb.132:
	v_lshlrev_b32_e32 v11, 2, v0
	v_readfirstlane_b32 s6, v5
	v_readfirstlane_b32 s7, v6
	ds_load_b32 v12, v11
	s_waitcnt lgkmcnt(0)
	global_store_b32 v11, v12, s[6:7]
.LBB1370_133:
	s_or_b32 exec_lo, exec_lo, s4
.LBB1370_134:
	s_and_not1_saveexec_b32 s2, s2
	s_cbranch_execz .LBB1370_136
; %bb.135:
	v_lshlrev_b32_e32 v11, 2, v0
	v_readfirstlane_b32 s4, v7
	v_readfirstlane_b32 s5, v8
	ds_load_b32 v12, v11
	s_waitcnt lgkmcnt(0)
	global_store_b32 v11, v12, s[4:5]
.LBB1370_136:
	s_or_b32 exec_lo, exec_lo, s2
	v_or_b32_e32 v11, 0x100, v0
	s_mov_b32 s2, exec_lo
	s_delay_alu instid0(VALU_DEP_1)
	v_cmpx_le_u32_e64 v1, v11
	s_xor_b32 s2, exec_lo, s2
	s_cbranch_execz .LBB1370_142
; %bb.137:
	s_mov_b32 s4, exec_lo
	v_cmpx_le_u32_e64 v10, v11
	s_xor_b32 s4, exec_lo, s4
	s_cbranch_execz .LBB1370_139
; %bb.138:
	v_lshlrev_b32_e32 v11, 2, v0
	ds_load_b32 v13, v11 offset:1024
	v_add_co_u32 v11, vcc_lo, v3, v0
	v_add_co_ci_u32_e32 v12, vcc_lo, 0, v9, vcc_lo
	s_delay_alu instid0(VALU_DEP_1) | instskip(NEXT) | instid1(VALU_DEP_1)
	v_lshlrev_b64 v[11:12], 2, v[11:12]
	v_sub_co_u32 v11, vcc_lo, s1, v11
	s_delay_alu instid0(VALU_DEP_2)
	v_sub_co_ci_u32_e32 v12, vcc_lo, s0, v12, vcc_lo
	s_waitcnt lgkmcnt(0)
	global_store_b32 v[11:12], v13, off offset:-1024
.LBB1370_139:
	s_and_not1_saveexec_b32 s4, s4
	s_cbranch_execz .LBB1370_141
; %bb.140:
	v_lshlrev_b32_e32 v11, 2, v0
	v_readfirstlane_b32 s6, v5
	v_readfirstlane_b32 s7, v6
	ds_load_b32 v12, v11 offset:1024
	s_waitcnt lgkmcnt(0)
	global_store_b32 v11, v12, s[6:7] offset:1024
.LBB1370_141:
	s_or_b32 exec_lo, exec_lo, s4
.LBB1370_142:
	s_and_not1_saveexec_b32 s2, s2
	s_cbranch_execz .LBB1370_144
; %bb.143:
	v_lshlrev_b32_e32 v11, 2, v0
	v_readfirstlane_b32 s4, v7
	v_readfirstlane_b32 s5, v8
	ds_load_b32 v12, v11 offset:1024
	s_waitcnt lgkmcnt(0)
	global_store_b32 v11, v12, s[4:5] offset:1024
.LBB1370_144:
	s_or_b32 exec_lo, exec_lo, s2
	v_or_b32_e32 v11, 0x200, v0
	s_mov_b32 s2, exec_lo
	s_delay_alu instid0(VALU_DEP_1)
	v_cmpx_le_u32_e64 v1, v11
	s_xor_b32 s2, exec_lo, s2
	s_cbranch_execz .LBB1370_150
; %bb.145:
	s_mov_b32 s4, exec_lo
	v_cmpx_le_u32_e64 v10, v11
	s_xor_b32 s4, exec_lo, s4
	s_cbranch_execz .LBB1370_147
; %bb.146:
	v_lshlrev_b32_e32 v11, 2, v0
	ds_load_b32 v13, v11 offset:2048
	v_add_co_u32 v11, vcc_lo, v3, v0
	v_add_co_ci_u32_e32 v12, vcc_lo, 0, v9, vcc_lo
	s_delay_alu instid0(VALU_DEP_1) | instskip(NEXT) | instid1(VALU_DEP_1)
	v_lshlrev_b64 v[11:12], 2, v[11:12]
	v_sub_co_u32 v11, vcc_lo, s1, v11
	s_delay_alu instid0(VALU_DEP_2)
	v_sub_co_ci_u32_e32 v12, vcc_lo, s0, v12, vcc_lo
	s_waitcnt lgkmcnt(0)
	global_store_b32 v[11:12], v13, off offset:-2048
.LBB1370_147:
	s_and_not1_saveexec_b32 s4, s4
	s_cbranch_execz .LBB1370_149
; %bb.148:
	v_lshlrev_b32_e32 v11, 2, v0
	v_readfirstlane_b32 s6, v5
	v_readfirstlane_b32 s7, v6
	ds_load_b32 v12, v11 offset:2048
	s_waitcnt lgkmcnt(0)
	global_store_b32 v11, v12, s[6:7] offset:2048
.LBB1370_149:
	s_or_b32 exec_lo, exec_lo, s4
.LBB1370_150:
	s_and_not1_saveexec_b32 s2, s2
	s_cbranch_execz .LBB1370_152
; %bb.151:
	v_lshlrev_b32_e32 v11, 2, v0
	v_readfirstlane_b32 s4, v7
	v_readfirstlane_b32 s5, v8
	ds_load_b32 v12, v11 offset:2048
	s_waitcnt lgkmcnt(0)
	global_store_b32 v11, v12, s[4:5] offset:2048
.LBB1370_152:
	;; [unrolled: 47-line block ×3, first 2 shown]
	s_or_b32 exec_lo, exec_lo, s2
	v_or_b32_e32 v11, 0x400, v0
	s_mov_b32 s2, exec_lo
	s_delay_alu instid0(VALU_DEP_1)
	v_cmpx_le_u32_e64 v1, v11
	s_xor_b32 s2, exec_lo, s2
	s_cbranch_execz .LBB1370_166
; %bb.161:
	s_mov_b32 s4, exec_lo
	v_cmpx_le_u32_e64 v10, v11
	s_xor_b32 s4, exec_lo, s4
	s_cbranch_execz .LBB1370_163
; %bb.162:
	v_lshlrev_b32_e32 v11, 2, v0
	ds_load_b32 v13, v11 offset:4096
	v_add_co_u32 v11, vcc_lo, v3, v0
	v_add_co_ci_u32_e32 v12, vcc_lo, 0, v9, vcc_lo
	s_delay_alu instid0(VALU_DEP_1) | instskip(NEXT) | instid1(VALU_DEP_1)
	v_lshlrev_b64 v[11:12], 2, v[11:12]
	v_sub_co_u32 v11, vcc_lo, s1, v11
	s_delay_alu instid0(VALU_DEP_2)
	v_sub_co_ci_u32_e32 v12, vcc_lo, s0, v12, vcc_lo
	s_waitcnt lgkmcnt(0)
	global_store_b32 v[11:12], v13, off offset:-4096
                                        ; implicit-def: $vgpr11
.LBB1370_163:
	s_and_not1_saveexec_b32 s4, s4
	s_cbranch_execz .LBB1370_165
; %bb.164:
	v_lshlrev_b32_e32 v12, 2, v0
	v_lshlrev_b32_e32 v11, 2, v11
	v_readfirstlane_b32 s6, v5
	v_readfirstlane_b32 s7, v6
	ds_load_b32 v12, v12 offset:4096
	s_waitcnt lgkmcnt(0)
	global_store_b32 v11, v12, s[6:7]
.LBB1370_165:
	s_or_b32 exec_lo, exec_lo, s4
                                        ; implicit-def: $vgpr11
.LBB1370_166:
	s_and_not1_saveexec_b32 s2, s2
	s_cbranch_execz .LBB1370_168
; %bb.167:
	v_lshlrev_b32_e32 v12, 2, v0
	v_lshlrev_b32_e32 v11, 2, v11
	v_readfirstlane_b32 s4, v7
	v_readfirstlane_b32 s5, v8
	ds_load_b32 v12, v12 offset:4096
	s_waitcnt lgkmcnt(0)
	global_store_b32 v11, v12, s[4:5]
.LBB1370_168:
	s_or_b32 exec_lo, exec_lo, s2
	v_or_b32_e32 v11, 0x500, v0
	s_mov_b32 s2, exec_lo
	s_delay_alu instid0(VALU_DEP_1)
	v_cmpx_le_u32_e64 v1, v11
	s_xor_b32 s2, exec_lo, s2
	s_cbranch_execz .LBB1370_174
; %bb.169:
	s_mov_b32 s4, exec_lo
	v_cmpx_le_u32_e64 v10, v11
	s_xor_b32 s4, exec_lo, s4
	s_cbranch_execz .LBB1370_171
; %bb.170:
	v_lshlrev_b32_e32 v12, 2, v0
	v_add_co_u32 v11, vcc_lo, v3, v11
	ds_load_b32 v13, v12 offset:5120
	v_add_co_ci_u32_e32 v12, vcc_lo, 0, v9, vcc_lo
	s_delay_alu instid0(VALU_DEP_1) | instskip(NEXT) | instid1(VALU_DEP_1)
	v_lshlrev_b64 v[11:12], 2, v[11:12]
	v_sub_co_u32 v11, vcc_lo, s1, v11
	s_delay_alu instid0(VALU_DEP_2)
	v_sub_co_ci_u32_e32 v12, vcc_lo, s0, v12, vcc_lo
	s_waitcnt lgkmcnt(0)
	global_store_b32 v[11:12], v13, off
                                        ; implicit-def: $vgpr11
.LBB1370_171:
	s_and_not1_saveexec_b32 s4, s4
	s_cbranch_execz .LBB1370_173
; %bb.172:
	v_lshlrev_b32_e32 v12, 2, v0
	v_lshlrev_b32_e32 v11, 2, v11
	v_readfirstlane_b32 s6, v5
	v_readfirstlane_b32 s7, v6
	ds_load_b32 v12, v12 offset:5120
	s_waitcnt lgkmcnt(0)
	global_store_b32 v11, v12, s[6:7]
.LBB1370_173:
	s_or_b32 exec_lo, exec_lo, s4
                                        ; implicit-def: $vgpr11
.LBB1370_174:
	s_and_not1_saveexec_b32 s2, s2
	s_cbranch_execz .LBB1370_176
; %bb.175:
	v_lshlrev_b32_e32 v12, 2, v0
	v_lshlrev_b32_e32 v11, 2, v11
	v_readfirstlane_b32 s4, v7
	v_readfirstlane_b32 s5, v8
	ds_load_b32 v12, v12 offset:5120
	s_waitcnt lgkmcnt(0)
	global_store_b32 v11, v12, s[4:5]
.LBB1370_176:
	s_or_b32 exec_lo, exec_lo, s2
	v_or_b32_e32 v11, 0x600, v0
	s_mov_b32 s2, exec_lo
	s_delay_alu instid0(VALU_DEP_1)
	v_cmpx_le_u32_e64 v1, v11
	s_xor_b32 s2, exec_lo, s2
	s_cbranch_execz .LBB1370_182
; %bb.177:
	s_mov_b32 s4, exec_lo
	v_cmpx_le_u32_e64 v10, v11
	s_xor_b32 s4, exec_lo, s4
	s_cbranch_execz .LBB1370_179
; %bb.178:
	v_lshlrev_b32_e32 v12, 2, v0
	v_add_co_u32 v11, vcc_lo, v3, v11
	ds_load_b32 v13, v12 offset:6144
	v_add_co_ci_u32_e32 v12, vcc_lo, 0, v9, vcc_lo
	s_delay_alu instid0(VALU_DEP_1) | instskip(NEXT) | instid1(VALU_DEP_1)
	v_lshlrev_b64 v[11:12], 2, v[11:12]
	v_sub_co_u32 v11, vcc_lo, s1, v11
	s_delay_alu instid0(VALU_DEP_2)
	v_sub_co_ci_u32_e32 v12, vcc_lo, s0, v12, vcc_lo
	s_waitcnt lgkmcnt(0)
	global_store_b32 v[11:12], v13, off
                                        ; implicit-def: $vgpr11
.LBB1370_179:
	s_and_not1_saveexec_b32 s4, s4
	s_cbranch_execz .LBB1370_181
; %bb.180:
	v_lshlrev_b32_e32 v12, 2, v0
	v_lshlrev_b32_e32 v11, 2, v11
	v_readfirstlane_b32 s6, v5
	v_readfirstlane_b32 s7, v6
	ds_load_b32 v12, v12 offset:6144
	s_waitcnt lgkmcnt(0)
	global_store_b32 v11, v12, s[6:7]
.LBB1370_181:
	s_or_b32 exec_lo, exec_lo, s4
                                        ; implicit-def: $vgpr11
.LBB1370_182:
	;; [unrolled: 51-line block ×8, first 2 shown]
	s_and_not1_saveexec_b32 s2, s2
	s_cbranch_execz .LBB1370_232
; %bb.231:
	v_lshlrev_b32_e32 v12, 2, v0
	v_lshlrev_b32_e32 v11, 2, v11
	v_readfirstlane_b32 s4, v7
	v_readfirstlane_b32 s5, v8
	ds_load_b32 v12, v12 offset:12288
	s_waitcnt lgkmcnt(0)
	global_store_b32 v11, v12, s[4:5]
.LBB1370_232:
	s_or_b32 exec_lo, exec_lo, s2
	s_branch .LBB1370_126
.LBB1370_233:
	s_mov_b32 s2, exec_lo
	v_cmpx_gt_u32_e64 s3, v0
	s_cbranch_execz .LBB1370_242
; %bb.234:
	s_mov_b32 s4, exec_lo
	v_cmpx_le_u32_e64 v1, v0
	s_xor_b32 s4, exec_lo, s4
	s_cbranch_execz .LBB1370_240
; %bb.235:
	s_mov_b32 s5, exec_lo
	v_cmpx_le_u32_e64 v10, v0
	s_xor_b32 s5, exec_lo, s5
	s_cbranch_execz .LBB1370_237
; %bb.236:
	v_lshlrev_b32_e32 v11, 2, v0
	ds_load_b32 v13, v11
	v_add_co_u32 v11, vcc_lo, v3, v0
	v_add_co_ci_u32_e32 v12, vcc_lo, 0, v9, vcc_lo
	s_delay_alu instid0(VALU_DEP_1) | instskip(NEXT) | instid1(VALU_DEP_1)
	v_lshlrev_b64 v[11:12], 2, v[11:12]
	v_sub_co_u32 v11, vcc_lo, s26, v11
	s_delay_alu instid0(VALU_DEP_2)
	v_sub_co_ci_u32_e32 v12, vcc_lo, s27, v12, vcc_lo
	s_waitcnt lgkmcnt(0)
	global_store_b32 v[11:12], v13, off offset:-4
.LBB1370_237:
	s_and_not1_saveexec_b32 s5, s5
	s_cbranch_execz .LBB1370_239
; %bb.238:
	v_lshlrev_b32_e32 v11, 2, v0
	v_readfirstlane_b32 s6, v5
	v_readfirstlane_b32 s7, v6
	ds_load_b32 v12, v11
	s_waitcnt lgkmcnt(0)
	global_store_b32 v11, v12, s[6:7]
.LBB1370_239:
	s_or_b32 exec_lo, exec_lo, s5
.LBB1370_240:
	s_and_not1_saveexec_b32 s4, s4
	s_cbranch_execz .LBB1370_242
; %bb.241:
	v_lshlrev_b32_e32 v11, 2, v0
	v_readfirstlane_b32 s4, v7
	v_readfirstlane_b32 s5, v8
	ds_load_b32 v12, v11
	s_waitcnt lgkmcnt(0)
	global_store_b32 v11, v12, s[4:5]
.LBB1370_242:
	s_or_b32 exec_lo, exec_lo, s2
	v_or_b32_e32 v11, 0x100, v0
	s_mov_b32 s2, exec_lo
	s_delay_alu instid0(VALU_DEP_1)
	v_cmpx_gt_u32_e64 s3, v11
	s_cbranch_execz .LBB1370_251
; %bb.243:
	s_mov_b32 s4, exec_lo
	v_cmpx_le_u32_e64 v1, v11
	s_xor_b32 s4, exec_lo, s4
	s_cbranch_execz .LBB1370_249
; %bb.244:
	s_mov_b32 s5, exec_lo
	v_cmpx_le_u32_e64 v10, v11
	s_xor_b32 s5, exec_lo, s5
	s_cbranch_execz .LBB1370_246
; %bb.245:
	v_lshlrev_b32_e32 v11, 2, v0
	ds_load_b32 v13, v11 offset:1024
	v_add_co_u32 v11, vcc_lo, v3, v0
	v_add_co_ci_u32_e32 v12, vcc_lo, 0, v9, vcc_lo
	s_delay_alu instid0(VALU_DEP_1) | instskip(NEXT) | instid1(VALU_DEP_1)
	v_lshlrev_b64 v[11:12], 2, v[11:12]
	v_sub_co_u32 v11, vcc_lo, s1, v11
	s_delay_alu instid0(VALU_DEP_2)
	v_sub_co_ci_u32_e32 v12, vcc_lo, s0, v12, vcc_lo
	s_waitcnt lgkmcnt(0)
	global_store_b32 v[11:12], v13, off offset:-1024
.LBB1370_246:
	s_and_not1_saveexec_b32 s5, s5
	s_cbranch_execz .LBB1370_248
; %bb.247:
	v_lshlrev_b32_e32 v11, 2, v0
	v_readfirstlane_b32 s6, v5
	v_readfirstlane_b32 s7, v6
	ds_load_b32 v12, v11 offset:1024
	s_waitcnt lgkmcnt(0)
	global_store_b32 v11, v12, s[6:7] offset:1024
.LBB1370_248:
	s_or_b32 exec_lo, exec_lo, s5
.LBB1370_249:
	s_and_not1_saveexec_b32 s4, s4
	s_cbranch_execz .LBB1370_251
; %bb.250:
	v_lshlrev_b32_e32 v11, 2, v0
	v_readfirstlane_b32 s4, v7
	v_readfirstlane_b32 s5, v8
	ds_load_b32 v12, v11 offset:1024
	s_waitcnt lgkmcnt(0)
	global_store_b32 v11, v12, s[4:5] offset:1024
.LBB1370_251:
	s_or_b32 exec_lo, exec_lo, s2
	v_or_b32_e32 v11, 0x200, v0
	s_mov_b32 s2, exec_lo
	s_delay_alu instid0(VALU_DEP_1)
	v_cmpx_gt_u32_e64 s3, v11
	s_cbranch_execz .LBB1370_260
; %bb.252:
	s_mov_b32 s4, exec_lo
	v_cmpx_le_u32_e64 v1, v11
	s_xor_b32 s4, exec_lo, s4
	s_cbranch_execz .LBB1370_258
; %bb.253:
	s_mov_b32 s5, exec_lo
	v_cmpx_le_u32_e64 v10, v11
	s_xor_b32 s5, exec_lo, s5
	s_cbranch_execz .LBB1370_255
; %bb.254:
	v_lshlrev_b32_e32 v11, 2, v0
	ds_load_b32 v13, v11 offset:2048
	v_add_co_u32 v11, vcc_lo, v3, v0
	v_add_co_ci_u32_e32 v12, vcc_lo, 0, v9, vcc_lo
	s_delay_alu instid0(VALU_DEP_1) | instskip(NEXT) | instid1(VALU_DEP_1)
	v_lshlrev_b64 v[11:12], 2, v[11:12]
	v_sub_co_u32 v11, vcc_lo, s1, v11
	s_delay_alu instid0(VALU_DEP_2)
	v_sub_co_ci_u32_e32 v12, vcc_lo, s0, v12, vcc_lo
	s_waitcnt lgkmcnt(0)
	global_store_b32 v[11:12], v13, off offset:-2048
.LBB1370_255:
	s_and_not1_saveexec_b32 s5, s5
	s_cbranch_execz .LBB1370_257
; %bb.256:
	v_lshlrev_b32_e32 v11, 2, v0
	v_readfirstlane_b32 s6, v5
	v_readfirstlane_b32 s7, v6
	ds_load_b32 v12, v11 offset:2048
	s_waitcnt lgkmcnt(0)
	global_store_b32 v11, v12, s[6:7] offset:2048
.LBB1370_257:
	s_or_b32 exec_lo, exec_lo, s5
.LBB1370_258:
	s_and_not1_saveexec_b32 s4, s4
	s_cbranch_execz .LBB1370_260
; %bb.259:
	v_lshlrev_b32_e32 v11, 2, v0
	v_readfirstlane_b32 s4, v7
	v_readfirstlane_b32 s5, v8
	ds_load_b32 v12, v11 offset:2048
	s_waitcnt lgkmcnt(0)
	global_store_b32 v11, v12, s[4:5] offset:2048
.LBB1370_260:
	;; [unrolled: 51-line block ×3, first 2 shown]
	s_or_b32 exec_lo, exec_lo, s2
	v_or_b32_e32 v11, 0x400, v0
	s_mov_b32 s2, exec_lo
	s_delay_alu instid0(VALU_DEP_1)
	v_cmpx_gt_u32_e64 s3, v11
	s_cbranch_execz .LBB1370_278
; %bb.270:
	s_mov_b32 s4, exec_lo
	v_cmpx_le_u32_e64 v1, v11
	s_xor_b32 s4, exec_lo, s4
	s_cbranch_execz .LBB1370_276
; %bb.271:
	s_mov_b32 s5, exec_lo
	v_cmpx_le_u32_e64 v10, v11
	s_xor_b32 s5, exec_lo, s5
	s_cbranch_execz .LBB1370_273
; %bb.272:
	v_lshlrev_b32_e32 v11, 2, v0
	ds_load_b32 v13, v11 offset:4096
	v_add_co_u32 v11, vcc_lo, v3, v0
	v_add_co_ci_u32_e32 v12, vcc_lo, 0, v9, vcc_lo
	s_delay_alu instid0(VALU_DEP_1) | instskip(NEXT) | instid1(VALU_DEP_1)
	v_lshlrev_b64 v[11:12], 2, v[11:12]
	v_sub_co_u32 v11, vcc_lo, s1, v11
	s_delay_alu instid0(VALU_DEP_2)
	v_sub_co_ci_u32_e32 v12, vcc_lo, s0, v12, vcc_lo
	s_waitcnt lgkmcnt(0)
	global_store_b32 v[11:12], v13, off offset:-4096
                                        ; implicit-def: $vgpr11
.LBB1370_273:
	s_and_not1_saveexec_b32 s5, s5
	s_cbranch_execz .LBB1370_275
; %bb.274:
	v_lshlrev_b32_e32 v12, 2, v0
	v_lshlrev_b32_e32 v11, 2, v11
	v_readfirstlane_b32 s6, v5
	v_readfirstlane_b32 s7, v6
	ds_load_b32 v12, v12 offset:4096
	s_waitcnt lgkmcnt(0)
	global_store_b32 v11, v12, s[6:7]
.LBB1370_275:
	s_or_b32 exec_lo, exec_lo, s5
                                        ; implicit-def: $vgpr11
.LBB1370_276:
	s_and_not1_saveexec_b32 s4, s4
	s_cbranch_execz .LBB1370_278
; %bb.277:
	v_lshlrev_b32_e32 v12, 2, v0
	v_lshlrev_b32_e32 v11, 2, v11
	v_readfirstlane_b32 s4, v7
	v_readfirstlane_b32 s5, v8
	ds_load_b32 v12, v12 offset:4096
	s_waitcnt lgkmcnt(0)
	global_store_b32 v11, v12, s[4:5]
.LBB1370_278:
	s_or_b32 exec_lo, exec_lo, s2
	v_or_b32_e32 v11, 0x500, v0
	s_mov_b32 s2, exec_lo
	s_delay_alu instid0(VALU_DEP_1)
	v_cmpx_gt_u32_e64 s3, v11
	s_cbranch_execz .LBB1370_287
; %bb.279:
	s_mov_b32 s4, exec_lo
	v_cmpx_le_u32_e64 v1, v11
	s_xor_b32 s4, exec_lo, s4
	s_cbranch_execz .LBB1370_285
; %bb.280:
	s_mov_b32 s5, exec_lo
	v_cmpx_le_u32_e64 v10, v11
	s_xor_b32 s5, exec_lo, s5
	s_cbranch_execz .LBB1370_282
; %bb.281:
	v_lshlrev_b32_e32 v12, 2, v0
	v_add_co_u32 v11, vcc_lo, v3, v11
	ds_load_b32 v13, v12 offset:5120
	v_add_co_ci_u32_e32 v12, vcc_lo, 0, v9, vcc_lo
	s_delay_alu instid0(VALU_DEP_1) | instskip(NEXT) | instid1(VALU_DEP_1)
	v_lshlrev_b64 v[11:12], 2, v[11:12]
	v_sub_co_u32 v11, vcc_lo, s1, v11
	s_delay_alu instid0(VALU_DEP_2)
	v_sub_co_ci_u32_e32 v12, vcc_lo, s0, v12, vcc_lo
	s_waitcnt lgkmcnt(0)
	global_store_b32 v[11:12], v13, off
                                        ; implicit-def: $vgpr11
.LBB1370_282:
	s_and_not1_saveexec_b32 s5, s5
	s_cbranch_execz .LBB1370_284
; %bb.283:
	v_lshlrev_b32_e32 v12, 2, v0
	v_lshlrev_b32_e32 v11, 2, v11
	v_readfirstlane_b32 s6, v5
	v_readfirstlane_b32 s7, v6
	ds_load_b32 v12, v12 offset:5120
	s_waitcnt lgkmcnt(0)
	global_store_b32 v11, v12, s[6:7]
.LBB1370_284:
	s_or_b32 exec_lo, exec_lo, s5
                                        ; implicit-def: $vgpr11
.LBB1370_285:
	s_and_not1_saveexec_b32 s4, s4
	s_cbranch_execz .LBB1370_287
; %bb.286:
	v_lshlrev_b32_e32 v12, 2, v0
	v_lshlrev_b32_e32 v11, 2, v11
	v_readfirstlane_b32 s4, v7
	v_readfirstlane_b32 s5, v8
	ds_load_b32 v12, v12 offset:5120
	s_waitcnt lgkmcnt(0)
	global_store_b32 v11, v12, s[4:5]
.LBB1370_287:
	s_or_b32 exec_lo, exec_lo, s2
	v_or_b32_e32 v11, 0x600, v0
	s_mov_b32 s2, exec_lo
	s_delay_alu instid0(VALU_DEP_1)
	v_cmpx_gt_u32_e64 s3, v11
	s_cbranch_execz .LBB1370_296
; %bb.288:
	s_mov_b32 s4, exec_lo
	v_cmpx_le_u32_e64 v1, v11
	s_xor_b32 s4, exec_lo, s4
	s_cbranch_execz .LBB1370_294
; %bb.289:
	s_mov_b32 s5, exec_lo
	v_cmpx_le_u32_e64 v10, v11
	s_xor_b32 s5, exec_lo, s5
	s_cbranch_execz .LBB1370_291
; %bb.290:
	v_lshlrev_b32_e32 v12, 2, v0
	v_add_co_u32 v11, vcc_lo, v3, v11
	ds_load_b32 v13, v12 offset:6144
	v_add_co_ci_u32_e32 v12, vcc_lo, 0, v9, vcc_lo
	s_delay_alu instid0(VALU_DEP_1) | instskip(NEXT) | instid1(VALU_DEP_1)
	v_lshlrev_b64 v[11:12], 2, v[11:12]
	v_sub_co_u32 v11, vcc_lo, s1, v11
	s_delay_alu instid0(VALU_DEP_2)
	v_sub_co_ci_u32_e32 v12, vcc_lo, s0, v12, vcc_lo
	s_waitcnt lgkmcnt(0)
	global_store_b32 v[11:12], v13, off
                                        ; implicit-def: $vgpr11
.LBB1370_291:
	s_and_not1_saveexec_b32 s5, s5
	s_cbranch_execz .LBB1370_293
; %bb.292:
	v_lshlrev_b32_e32 v12, 2, v0
	v_lshlrev_b32_e32 v11, 2, v11
	v_readfirstlane_b32 s6, v5
	v_readfirstlane_b32 s7, v6
	ds_load_b32 v12, v12 offset:6144
	s_waitcnt lgkmcnt(0)
	global_store_b32 v11, v12, s[6:7]
.LBB1370_293:
	s_or_b32 exec_lo, exec_lo, s5
                                        ; implicit-def: $vgpr11
.LBB1370_294:
	s_and_not1_saveexec_b32 s4, s4
	s_cbranch_execz .LBB1370_296
; %bb.295:
	v_lshlrev_b32_e32 v12, 2, v0
	v_lshlrev_b32_e32 v11, 2, v11
	v_readfirstlane_b32 s4, v7
	v_readfirstlane_b32 s5, v8
	ds_load_b32 v12, v12 offset:6144
	s_waitcnt lgkmcnt(0)
	global_store_b32 v11, v12, s[4:5]
.LBB1370_296:
	;; [unrolled: 55-line block ×7, first 2 shown]
	s_or_b32 exec_lo, exec_lo, s2
	v_or_b32_e32 v11, 0xc00, v0
	s_mov_b32 s2, exec_lo
	s_delay_alu instid0(VALU_DEP_1)
	v_cmpx_gt_u32_e64 s3, v11
	s_cbranch_execz .LBB1370_350
; %bb.342:
	s_mov_b32 s3, exec_lo
	v_cmpx_le_u32_e64 v1, v11
	s_xor_b32 s3, exec_lo, s3
	s_cbranch_execz .LBB1370_348
; %bb.343:
	s_mov_b32 s4, exec_lo
	v_cmpx_le_u32_e64 v10, v11
	s_xor_b32 s4, exec_lo, s4
	s_cbranch_execz .LBB1370_345
; %bb.344:
	v_lshlrev_b32_e32 v5, 2, v0
	ds_load_b32 v7, v5 offset:12288
	v_add_co_u32 v5, vcc_lo, v3, v11
	v_add_co_ci_u32_e32 v6, vcc_lo, 0, v9, vcc_lo
                                        ; implicit-def: $vgpr11
	s_delay_alu instid0(VALU_DEP_1) | instskip(NEXT) | instid1(VALU_DEP_1)
	v_lshlrev_b64 v[5:6], 2, v[5:6]
	v_sub_co_u32 v5, vcc_lo, s1, v5
	s_delay_alu instid0(VALU_DEP_2)
	v_sub_co_ci_u32_e32 v6, vcc_lo, s0, v6, vcc_lo
	s_waitcnt lgkmcnt(0)
	global_store_b32 v[5:6], v7, off
                                        ; implicit-def: $vgpr5_vgpr6
.LBB1370_345:
	s_and_not1_saveexec_b32 s0, s4
	s_cbranch_execz .LBB1370_347
; %bb.346:
	v_lshlrev_b32_e32 v3, 2, v0
	v_lshlrev_b32_e32 v7, 2, v11
	v_readfirstlane_b32 s4, v5
	v_readfirstlane_b32 s5, v6
	ds_load_b32 v3, v3 offset:12288
	s_waitcnt lgkmcnt(0)
	global_store_b32 v7, v3, s[4:5]
.LBB1370_347:
	s_or_b32 exec_lo, exec_lo, s0
                                        ; implicit-def: $vgpr11
                                        ; implicit-def: $vgpr7_vgpr8
.LBB1370_348:
	s_and_not1_saveexec_b32 s0, s3
	s_cbranch_execz .LBB1370_350
; %bb.349:
	v_lshlrev_b32_e32 v3, 2, v0
	v_lshlrev_b32_e32 v5, 2, v11
	v_readfirstlane_b32 s0, v7
	v_readfirstlane_b32 s1, v8
	ds_load_b32 v3, v3 offset:12288
	s_waitcnt lgkmcnt(0)
	global_store_b32 v5, v3, s[0:1]
.LBB1370_350:
	s_or_b32 exec_lo, exec_lo, s2
	v_cmp_eq_u32_e32 vcc_lo, 0, v0
	s_and_b32 s0, vcc_lo, s14
	s_delay_alu instid0(SALU_CYCLE_1)
	s_and_saveexec_b32 s1, s0
	s_cbranch_execz .LBB1370_127
.LBB1370_351:
	v_add_co_u32 v2, s0, s30, v2
	s_delay_alu instid0(VALU_DEP_1) | instskip(SKIP_2) | instid1(VALU_DEP_4)
	v_add_co_ci_u32_e64 v3, null, s31, 0, s0
	v_add_co_u32 v0, vcc_lo, v18, v1
	v_add_co_ci_u32_e32 v1, vcc_lo, 0, v19, vcc_lo
	v_add_co_u32 v2, vcc_lo, v2, v4
	v_mov_b32_e32 v5, 0
	v_add_co_ci_u32_e32 v3, vcc_lo, 0, v3, vcc_lo
	global_store_b128 v5, v[0:3], s[24:25]
	s_nop 0
	s_sendmsg sendmsg(MSG_DEALLOC_VGPRS)
	s_endpgm
.LBB1370_352:
	v_add_nc_u32_e32 v3, s7, v23
	s_add_i32 s10, s15, 32
	s_mov_b32 s11, 0
	v_dual_mov_b32 v5, 0 :: v_dual_add_nc_u32 v2, v22, v1
	s_lshl_b64 s[10:11], s[10:11], 4
	v_and_b32_e32 v20, 0xff0000, v3
	s_add_u32 s10, s4, s10
	s_addc_u32 s11, s5, s11
	v_and_b32_e32 v4, 0xff000000, v3
	s_delay_alu instid0(VALU_DEP_1) | instskip(SKIP_2) | instid1(VALU_DEP_1)
	v_or_b32_e32 v20, v20, v4
	v_dual_mov_b32 v4, 2 :: v_dual_and_b32 v21, 0xff00, v3
	v_and_b32_e32 v3, 0xff, v3
	v_or3_b32 v3, v20, v21, v3
	v_dual_mov_b32 v21, s11 :: v_dual_mov_b32 v20, s10
	;;#ASMSTART
	global_store_dwordx4 v[20:21], v[2:5] off	
s_waitcnt vmcnt(0)
	;;#ASMEND
	s_or_b32 exec_lo, exec_lo, s8
	s_and_saveexec_b32 s8, s2
	s_cbranch_execz .LBB1370_111
.LBB1370_353:
	v_mov_b32_e32 v2, s7
	v_add_nc_u32_e64 v3, 0x3400, 0
	ds_store_2addr_b32 v3, v1, v2 offset1:2
	ds_store_2addr_b32 v3, v22, v23 offset0:4 offset1:6
	s_or_b32 exec_lo, exec_lo, s8
	v_cmp_eq_u32_e32 vcc_lo, 0, v0
	s_and_b32 exec_lo, exec_lo, vcc_lo
	s_cbranch_execnz .LBB1370_112
	s_branch .LBB1370_113
	.section	.rodata,"a",@progbits
	.p2align	6, 0x0
	.amdhsa_kernel _ZN7rocprim17ROCPRIM_400000_NS6detail17trampoline_kernelINS0_13select_configILj256ELj13ELNS0_17block_load_methodE3ELS4_3ELS4_3ELNS0_20block_scan_algorithmE0ELj4294967295EEENS1_25partition_config_selectorILNS1_17partition_subalgoE4EjNS0_10empty_typeEbEEZZNS1_14partition_implILS8_4ELb0ES6_15HIP_vector_typeIjLj2EENS0_17counting_iteratorIjlEEPS9_SG_NS0_5tupleIJPjSI_NS0_16reverse_iteratorISI_EEEEENSH_IJSG_SG_SG_EEES9_SI_JZNS1_25segmented_radix_sort_implINS0_14default_configELb0EPKfPfPKlPlN2at6native12_GLOBAL__N_18offset_tEEE10hipError_tPvRmT1_PNSt15iterator_traitsIS12_E10value_typeET2_T3_PNS13_IS18_E10value_typeET4_jRbjT5_S1E_jjP12ihipStream_tbEUljE_ZNSN_ISO_Lb0ESQ_SR_ST_SU_SY_EESZ_S10_S11_S12_S16_S17_S18_S1B_S1C_jS1D_jS1E_S1E_jjS1G_bEUljE0_EEESZ_S10_S11_S18_S1C_S1E_T6_T7_T9_mT8_S1G_bDpT10_ENKUlT_T0_E_clISt17integral_constantIbLb0EES1U_EEDaS1P_S1Q_EUlS1P_E_NS1_11comp_targetILNS1_3genE9ELNS1_11target_archE1100ELNS1_3gpuE3ELNS1_3repE0EEENS1_30default_config_static_selectorELNS0_4arch9wavefront6targetE0EEEvS12_
		.amdhsa_group_segment_fixed_size 13340
		.amdhsa_private_segment_fixed_size 0
		.amdhsa_kernarg_size 176
		.amdhsa_user_sgpr_count 15
		.amdhsa_user_sgpr_dispatch_ptr 0
		.amdhsa_user_sgpr_queue_ptr 0
		.amdhsa_user_sgpr_kernarg_segment_ptr 1
		.amdhsa_user_sgpr_dispatch_id 0
		.amdhsa_user_sgpr_private_segment_size 0
		.amdhsa_wavefront_size32 1
		.amdhsa_uses_dynamic_stack 0
		.amdhsa_enable_private_segment 0
		.amdhsa_system_sgpr_workgroup_id_x 1
		.amdhsa_system_sgpr_workgroup_id_y 0
		.amdhsa_system_sgpr_workgroup_id_z 0
		.amdhsa_system_sgpr_workgroup_info 0
		.amdhsa_system_vgpr_workitem_id 0
		.amdhsa_next_free_vgpr 98
		.amdhsa_next_free_sgpr 59
		.amdhsa_reserve_vcc 1
		.amdhsa_float_round_mode_32 0
		.amdhsa_float_round_mode_16_64 0
		.amdhsa_float_denorm_mode_32 3
		.amdhsa_float_denorm_mode_16_64 3
		.amdhsa_dx10_clamp 1
		.amdhsa_ieee_mode 1
		.amdhsa_fp16_overflow 0
		.amdhsa_workgroup_processor_mode 1
		.amdhsa_memory_ordered 1
		.amdhsa_forward_progress 0
		.amdhsa_shared_vgpr_count 0
		.amdhsa_exception_fp_ieee_invalid_op 0
		.amdhsa_exception_fp_denorm_src 0
		.amdhsa_exception_fp_ieee_div_zero 0
		.amdhsa_exception_fp_ieee_overflow 0
		.amdhsa_exception_fp_ieee_underflow 0
		.amdhsa_exception_fp_ieee_inexact 0
		.amdhsa_exception_int_div_zero 0
	.end_amdhsa_kernel
	.section	.text._ZN7rocprim17ROCPRIM_400000_NS6detail17trampoline_kernelINS0_13select_configILj256ELj13ELNS0_17block_load_methodE3ELS4_3ELS4_3ELNS0_20block_scan_algorithmE0ELj4294967295EEENS1_25partition_config_selectorILNS1_17partition_subalgoE4EjNS0_10empty_typeEbEEZZNS1_14partition_implILS8_4ELb0ES6_15HIP_vector_typeIjLj2EENS0_17counting_iteratorIjlEEPS9_SG_NS0_5tupleIJPjSI_NS0_16reverse_iteratorISI_EEEEENSH_IJSG_SG_SG_EEES9_SI_JZNS1_25segmented_radix_sort_implINS0_14default_configELb0EPKfPfPKlPlN2at6native12_GLOBAL__N_18offset_tEEE10hipError_tPvRmT1_PNSt15iterator_traitsIS12_E10value_typeET2_T3_PNS13_IS18_E10value_typeET4_jRbjT5_S1E_jjP12ihipStream_tbEUljE_ZNSN_ISO_Lb0ESQ_SR_ST_SU_SY_EESZ_S10_S11_S12_S16_S17_S18_S1B_S1C_jS1D_jS1E_S1E_jjS1G_bEUljE0_EEESZ_S10_S11_S18_S1C_S1E_T6_T7_T9_mT8_S1G_bDpT10_ENKUlT_T0_E_clISt17integral_constantIbLb0EES1U_EEDaS1P_S1Q_EUlS1P_E_NS1_11comp_targetILNS1_3genE9ELNS1_11target_archE1100ELNS1_3gpuE3ELNS1_3repE0EEENS1_30default_config_static_selectorELNS0_4arch9wavefront6targetE0EEEvS12_,"axG",@progbits,_ZN7rocprim17ROCPRIM_400000_NS6detail17trampoline_kernelINS0_13select_configILj256ELj13ELNS0_17block_load_methodE3ELS4_3ELS4_3ELNS0_20block_scan_algorithmE0ELj4294967295EEENS1_25partition_config_selectorILNS1_17partition_subalgoE4EjNS0_10empty_typeEbEEZZNS1_14partition_implILS8_4ELb0ES6_15HIP_vector_typeIjLj2EENS0_17counting_iteratorIjlEEPS9_SG_NS0_5tupleIJPjSI_NS0_16reverse_iteratorISI_EEEEENSH_IJSG_SG_SG_EEES9_SI_JZNS1_25segmented_radix_sort_implINS0_14default_configELb0EPKfPfPKlPlN2at6native12_GLOBAL__N_18offset_tEEE10hipError_tPvRmT1_PNSt15iterator_traitsIS12_E10value_typeET2_T3_PNS13_IS18_E10value_typeET4_jRbjT5_S1E_jjP12ihipStream_tbEUljE_ZNSN_ISO_Lb0ESQ_SR_ST_SU_SY_EESZ_S10_S11_S12_S16_S17_S18_S1B_S1C_jS1D_jS1E_S1E_jjS1G_bEUljE0_EEESZ_S10_S11_S18_S1C_S1E_T6_T7_T9_mT8_S1G_bDpT10_ENKUlT_T0_E_clISt17integral_constantIbLb0EES1U_EEDaS1P_S1Q_EUlS1P_E_NS1_11comp_targetILNS1_3genE9ELNS1_11target_archE1100ELNS1_3gpuE3ELNS1_3repE0EEENS1_30default_config_static_selectorELNS0_4arch9wavefront6targetE0EEEvS12_,comdat
.Lfunc_end1370:
	.size	_ZN7rocprim17ROCPRIM_400000_NS6detail17trampoline_kernelINS0_13select_configILj256ELj13ELNS0_17block_load_methodE3ELS4_3ELS4_3ELNS0_20block_scan_algorithmE0ELj4294967295EEENS1_25partition_config_selectorILNS1_17partition_subalgoE4EjNS0_10empty_typeEbEEZZNS1_14partition_implILS8_4ELb0ES6_15HIP_vector_typeIjLj2EENS0_17counting_iteratorIjlEEPS9_SG_NS0_5tupleIJPjSI_NS0_16reverse_iteratorISI_EEEEENSH_IJSG_SG_SG_EEES9_SI_JZNS1_25segmented_radix_sort_implINS0_14default_configELb0EPKfPfPKlPlN2at6native12_GLOBAL__N_18offset_tEEE10hipError_tPvRmT1_PNSt15iterator_traitsIS12_E10value_typeET2_T3_PNS13_IS18_E10value_typeET4_jRbjT5_S1E_jjP12ihipStream_tbEUljE_ZNSN_ISO_Lb0ESQ_SR_ST_SU_SY_EESZ_S10_S11_S12_S16_S17_S18_S1B_S1C_jS1D_jS1E_S1E_jjS1G_bEUljE0_EEESZ_S10_S11_S18_S1C_S1E_T6_T7_T9_mT8_S1G_bDpT10_ENKUlT_T0_E_clISt17integral_constantIbLb0EES1U_EEDaS1P_S1Q_EUlS1P_E_NS1_11comp_targetILNS1_3genE9ELNS1_11target_archE1100ELNS1_3gpuE3ELNS1_3repE0EEENS1_30default_config_static_selectorELNS0_4arch9wavefront6targetE0EEEvS12_, .Lfunc_end1370-_ZN7rocprim17ROCPRIM_400000_NS6detail17trampoline_kernelINS0_13select_configILj256ELj13ELNS0_17block_load_methodE3ELS4_3ELS4_3ELNS0_20block_scan_algorithmE0ELj4294967295EEENS1_25partition_config_selectorILNS1_17partition_subalgoE4EjNS0_10empty_typeEbEEZZNS1_14partition_implILS8_4ELb0ES6_15HIP_vector_typeIjLj2EENS0_17counting_iteratorIjlEEPS9_SG_NS0_5tupleIJPjSI_NS0_16reverse_iteratorISI_EEEEENSH_IJSG_SG_SG_EEES9_SI_JZNS1_25segmented_radix_sort_implINS0_14default_configELb0EPKfPfPKlPlN2at6native12_GLOBAL__N_18offset_tEEE10hipError_tPvRmT1_PNSt15iterator_traitsIS12_E10value_typeET2_T3_PNS13_IS18_E10value_typeET4_jRbjT5_S1E_jjP12ihipStream_tbEUljE_ZNSN_ISO_Lb0ESQ_SR_ST_SU_SY_EESZ_S10_S11_S12_S16_S17_S18_S1B_S1C_jS1D_jS1E_S1E_jjS1G_bEUljE0_EEESZ_S10_S11_S18_S1C_S1E_T6_T7_T9_mT8_S1G_bDpT10_ENKUlT_T0_E_clISt17integral_constantIbLb0EES1U_EEDaS1P_S1Q_EUlS1P_E_NS1_11comp_targetILNS1_3genE9ELNS1_11target_archE1100ELNS1_3gpuE3ELNS1_3repE0EEENS1_30default_config_static_selectorELNS0_4arch9wavefront6targetE0EEEvS12_
                                        ; -- End function
	.section	.AMDGPU.csdata,"",@progbits
; Kernel info:
; codeLenInByte = 14984
; NumSgprs: 61
; NumVgprs: 98
; ScratchSize: 0
; MemoryBound: 0
; FloatMode: 240
; IeeeMode: 1
; LDSByteSize: 13340 bytes/workgroup (compile time only)
; SGPRBlocks: 7
; VGPRBlocks: 12
; NumSGPRsForWavesPerEU: 61
; NumVGPRsForWavesPerEU: 98
; Occupancy: 12
; WaveLimiterHint : 1
; COMPUTE_PGM_RSRC2:SCRATCH_EN: 0
; COMPUTE_PGM_RSRC2:USER_SGPR: 15
; COMPUTE_PGM_RSRC2:TRAP_HANDLER: 0
; COMPUTE_PGM_RSRC2:TGID_X_EN: 1
; COMPUTE_PGM_RSRC2:TGID_Y_EN: 0
; COMPUTE_PGM_RSRC2:TGID_Z_EN: 0
; COMPUTE_PGM_RSRC2:TIDIG_COMP_CNT: 0
	.section	.text._ZN7rocprim17ROCPRIM_400000_NS6detail17trampoline_kernelINS0_13select_configILj256ELj13ELNS0_17block_load_methodE3ELS4_3ELS4_3ELNS0_20block_scan_algorithmE0ELj4294967295EEENS1_25partition_config_selectorILNS1_17partition_subalgoE4EjNS0_10empty_typeEbEEZZNS1_14partition_implILS8_4ELb0ES6_15HIP_vector_typeIjLj2EENS0_17counting_iteratorIjlEEPS9_SG_NS0_5tupleIJPjSI_NS0_16reverse_iteratorISI_EEEEENSH_IJSG_SG_SG_EEES9_SI_JZNS1_25segmented_radix_sort_implINS0_14default_configELb0EPKfPfPKlPlN2at6native12_GLOBAL__N_18offset_tEEE10hipError_tPvRmT1_PNSt15iterator_traitsIS12_E10value_typeET2_T3_PNS13_IS18_E10value_typeET4_jRbjT5_S1E_jjP12ihipStream_tbEUljE_ZNSN_ISO_Lb0ESQ_SR_ST_SU_SY_EESZ_S10_S11_S12_S16_S17_S18_S1B_S1C_jS1D_jS1E_S1E_jjS1G_bEUljE0_EEESZ_S10_S11_S18_S1C_S1E_T6_T7_T9_mT8_S1G_bDpT10_ENKUlT_T0_E_clISt17integral_constantIbLb0EES1U_EEDaS1P_S1Q_EUlS1P_E_NS1_11comp_targetILNS1_3genE8ELNS1_11target_archE1030ELNS1_3gpuE2ELNS1_3repE0EEENS1_30default_config_static_selectorELNS0_4arch9wavefront6targetE0EEEvS12_,"axG",@progbits,_ZN7rocprim17ROCPRIM_400000_NS6detail17trampoline_kernelINS0_13select_configILj256ELj13ELNS0_17block_load_methodE3ELS4_3ELS4_3ELNS0_20block_scan_algorithmE0ELj4294967295EEENS1_25partition_config_selectorILNS1_17partition_subalgoE4EjNS0_10empty_typeEbEEZZNS1_14partition_implILS8_4ELb0ES6_15HIP_vector_typeIjLj2EENS0_17counting_iteratorIjlEEPS9_SG_NS0_5tupleIJPjSI_NS0_16reverse_iteratorISI_EEEEENSH_IJSG_SG_SG_EEES9_SI_JZNS1_25segmented_radix_sort_implINS0_14default_configELb0EPKfPfPKlPlN2at6native12_GLOBAL__N_18offset_tEEE10hipError_tPvRmT1_PNSt15iterator_traitsIS12_E10value_typeET2_T3_PNS13_IS18_E10value_typeET4_jRbjT5_S1E_jjP12ihipStream_tbEUljE_ZNSN_ISO_Lb0ESQ_SR_ST_SU_SY_EESZ_S10_S11_S12_S16_S17_S18_S1B_S1C_jS1D_jS1E_S1E_jjS1G_bEUljE0_EEESZ_S10_S11_S18_S1C_S1E_T6_T7_T9_mT8_S1G_bDpT10_ENKUlT_T0_E_clISt17integral_constantIbLb0EES1U_EEDaS1P_S1Q_EUlS1P_E_NS1_11comp_targetILNS1_3genE8ELNS1_11target_archE1030ELNS1_3gpuE2ELNS1_3repE0EEENS1_30default_config_static_selectorELNS0_4arch9wavefront6targetE0EEEvS12_,comdat
	.globl	_ZN7rocprim17ROCPRIM_400000_NS6detail17trampoline_kernelINS0_13select_configILj256ELj13ELNS0_17block_load_methodE3ELS4_3ELS4_3ELNS0_20block_scan_algorithmE0ELj4294967295EEENS1_25partition_config_selectorILNS1_17partition_subalgoE4EjNS0_10empty_typeEbEEZZNS1_14partition_implILS8_4ELb0ES6_15HIP_vector_typeIjLj2EENS0_17counting_iteratorIjlEEPS9_SG_NS0_5tupleIJPjSI_NS0_16reverse_iteratorISI_EEEEENSH_IJSG_SG_SG_EEES9_SI_JZNS1_25segmented_radix_sort_implINS0_14default_configELb0EPKfPfPKlPlN2at6native12_GLOBAL__N_18offset_tEEE10hipError_tPvRmT1_PNSt15iterator_traitsIS12_E10value_typeET2_T3_PNS13_IS18_E10value_typeET4_jRbjT5_S1E_jjP12ihipStream_tbEUljE_ZNSN_ISO_Lb0ESQ_SR_ST_SU_SY_EESZ_S10_S11_S12_S16_S17_S18_S1B_S1C_jS1D_jS1E_S1E_jjS1G_bEUljE0_EEESZ_S10_S11_S18_S1C_S1E_T6_T7_T9_mT8_S1G_bDpT10_ENKUlT_T0_E_clISt17integral_constantIbLb0EES1U_EEDaS1P_S1Q_EUlS1P_E_NS1_11comp_targetILNS1_3genE8ELNS1_11target_archE1030ELNS1_3gpuE2ELNS1_3repE0EEENS1_30default_config_static_selectorELNS0_4arch9wavefront6targetE0EEEvS12_ ; -- Begin function _ZN7rocprim17ROCPRIM_400000_NS6detail17trampoline_kernelINS0_13select_configILj256ELj13ELNS0_17block_load_methodE3ELS4_3ELS4_3ELNS0_20block_scan_algorithmE0ELj4294967295EEENS1_25partition_config_selectorILNS1_17partition_subalgoE4EjNS0_10empty_typeEbEEZZNS1_14partition_implILS8_4ELb0ES6_15HIP_vector_typeIjLj2EENS0_17counting_iteratorIjlEEPS9_SG_NS0_5tupleIJPjSI_NS0_16reverse_iteratorISI_EEEEENSH_IJSG_SG_SG_EEES9_SI_JZNS1_25segmented_radix_sort_implINS0_14default_configELb0EPKfPfPKlPlN2at6native12_GLOBAL__N_18offset_tEEE10hipError_tPvRmT1_PNSt15iterator_traitsIS12_E10value_typeET2_T3_PNS13_IS18_E10value_typeET4_jRbjT5_S1E_jjP12ihipStream_tbEUljE_ZNSN_ISO_Lb0ESQ_SR_ST_SU_SY_EESZ_S10_S11_S12_S16_S17_S18_S1B_S1C_jS1D_jS1E_S1E_jjS1G_bEUljE0_EEESZ_S10_S11_S18_S1C_S1E_T6_T7_T9_mT8_S1G_bDpT10_ENKUlT_T0_E_clISt17integral_constantIbLb0EES1U_EEDaS1P_S1Q_EUlS1P_E_NS1_11comp_targetILNS1_3genE8ELNS1_11target_archE1030ELNS1_3gpuE2ELNS1_3repE0EEENS1_30default_config_static_selectorELNS0_4arch9wavefront6targetE0EEEvS12_
	.p2align	8
	.type	_ZN7rocprim17ROCPRIM_400000_NS6detail17trampoline_kernelINS0_13select_configILj256ELj13ELNS0_17block_load_methodE3ELS4_3ELS4_3ELNS0_20block_scan_algorithmE0ELj4294967295EEENS1_25partition_config_selectorILNS1_17partition_subalgoE4EjNS0_10empty_typeEbEEZZNS1_14partition_implILS8_4ELb0ES6_15HIP_vector_typeIjLj2EENS0_17counting_iteratorIjlEEPS9_SG_NS0_5tupleIJPjSI_NS0_16reverse_iteratorISI_EEEEENSH_IJSG_SG_SG_EEES9_SI_JZNS1_25segmented_radix_sort_implINS0_14default_configELb0EPKfPfPKlPlN2at6native12_GLOBAL__N_18offset_tEEE10hipError_tPvRmT1_PNSt15iterator_traitsIS12_E10value_typeET2_T3_PNS13_IS18_E10value_typeET4_jRbjT5_S1E_jjP12ihipStream_tbEUljE_ZNSN_ISO_Lb0ESQ_SR_ST_SU_SY_EESZ_S10_S11_S12_S16_S17_S18_S1B_S1C_jS1D_jS1E_S1E_jjS1G_bEUljE0_EEESZ_S10_S11_S18_S1C_S1E_T6_T7_T9_mT8_S1G_bDpT10_ENKUlT_T0_E_clISt17integral_constantIbLb0EES1U_EEDaS1P_S1Q_EUlS1P_E_NS1_11comp_targetILNS1_3genE8ELNS1_11target_archE1030ELNS1_3gpuE2ELNS1_3repE0EEENS1_30default_config_static_selectorELNS0_4arch9wavefront6targetE0EEEvS12_,@function
_ZN7rocprim17ROCPRIM_400000_NS6detail17trampoline_kernelINS0_13select_configILj256ELj13ELNS0_17block_load_methodE3ELS4_3ELS4_3ELNS0_20block_scan_algorithmE0ELj4294967295EEENS1_25partition_config_selectorILNS1_17partition_subalgoE4EjNS0_10empty_typeEbEEZZNS1_14partition_implILS8_4ELb0ES6_15HIP_vector_typeIjLj2EENS0_17counting_iteratorIjlEEPS9_SG_NS0_5tupleIJPjSI_NS0_16reverse_iteratorISI_EEEEENSH_IJSG_SG_SG_EEES9_SI_JZNS1_25segmented_radix_sort_implINS0_14default_configELb0EPKfPfPKlPlN2at6native12_GLOBAL__N_18offset_tEEE10hipError_tPvRmT1_PNSt15iterator_traitsIS12_E10value_typeET2_T3_PNS13_IS18_E10value_typeET4_jRbjT5_S1E_jjP12ihipStream_tbEUljE_ZNSN_ISO_Lb0ESQ_SR_ST_SU_SY_EESZ_S10_S11_S12_S16_S17_S18_S1B_S1C_jS1D_jS1E_S1E_jjS1G_bEUljE0_EEESZ_S10_S11_S18_S1C_S1E_T6_T7_T9_mT8_S1G_bDpT10_ENKUlT_T0_E_clISt17integral_constantIbLb0EES1U_EEDaS1P_S1Q_EUlS1P_E_NS1_11comp_targetILNS1_3genE8ELNS1_11target_archE1030ELNS1_3gpuE2ELNS1_3repE0EEENS1_30default_config_static_selectorELNS0_4arch9wavefront6targetE0EEEvS12_: ; @_ZN7rocprim17ROCPRIM_400000_NS6detail17trampoline_kernelINS0_13select_configILj256ELj13ELNS0_17block_load_methodE3ELS4_3ELS4_3ELNS0_20block_scan_algorithmE0ELj4294967295EEENS1_25partition_config_selectorILNS1_17partition_subalgoE4EjNS0_10empty_typeEbEEZZNS1_14partition_implILS8_4ELb0ES6_15HIP_vector_typeIjLj2EENS0_17counting_iteratorIjlEEPS9_SG_NS0_5tupleIJPjSI_NS0_16reverse_iteratorISI_EEEEENSH_IJSG_SG_SG_EEES9_SI_JZNS1_25segmented_radix_sort_implINS0_14default_configELb0EPKfPfPKlPlN2at6native12_GLOBAL__N_18offset_tEEE10hipError_tPvRmT1_PNSt15iterator_traitsIS12_E10value_typeET2_T3_PNS13_IS18_E10value_typeET4_jRbjT5_S1E_jjP12ihipStream_tbEUljE_ZNSN_ISO_Lb0ESQ_SR_ST_SU_SY_EESZ_S10_S11_S12_S16_S17_S18_S1B_S1C_jS1D_jS1E_S1E_jjS1G_bEUljE0_EEESZ_S10_S11_S18_S1C_S1E_T6_T7_T9_mT8_S1G_bDpT10_ENKUlT_T0_E_clISt17integral_constantIbLb0EES1U_EEDaS1P_S1Q_EUlS1P_E_NS1_11comp_targetILNS1_3genE8ELNS1_11target_archE1030ELNS1_3gpuE2ELNS1_3repE0EEENS1_30default_config_static_selectorELNS0_4arch9wavefront6targetE0EEEvS12_
; %bb.0:
	.section	.rodata,"a",@progbits
	.p2align	6, 0x0
	.amdhsa_kernel _ZN7rocprim17ROCPRIM_400000_NS6detail17trampoline_kernelINS0_13select_configILj256ELj13ELNS0_17block_load_methodE3ELS4_3ELS4_3ELNS0_20block_scan_algorithmE0ELj4294967295EEENS1_25partition_config_selectorILNS1_17partition_subalgoE4EjNS0_10empty_typeEbEEZZNS1_14partition_implILS8_4ELb0ES6_15HIP_vector_typeIjLj2EENS0_17counting_iteratorIjlEEPS9_SG_NS0_5tupleIJPjSI_NS0_16reverse_iteratorISI_EEEEENSH_IJSG_SG_SG_EEES9_SI_JZNS1_25segmented_radix_sort_implINS0_14default_configELb0EPKfPfPKlPlN2at6native12_GLOBAL__N_18offset_tEEE10hipError_tPvRmT1_PNSt15iterator_traitsIS12_E10value_typeET2_T3_PNS13_IS18_E10value_typeET4_jRbjT5_S1E_jjP12ihipStream_tbEUljE_ZNSN_ISO_Lb0ESQ_SR_ST_SU_SY_EESZ_S10_S11_S12_S16_S17_S18_S1B_S1C_jS1D_jS1E_S1E_jjS1G_bEUljE0_EEESZ_S10_S11_S18_S1C_S1E_T6_T7_T9_mT8_S1G_bDpT10_ENKUlT_T0_E_clISt17integral_constantIbLb0EES1U_EEDaS1P_S1Q_EUlS1P_E_NS1_11comp_targetILNS1_3genE8ELNS1_11target_archE1030ELNS1_3gpuE2ELNS1_3repE0EEENS1_30default_config_static_selectorELNS0_4arch9wavefront6targetE0EEEvS12_
		.amdhsa_group_segment_fixed_size 0
		.amdhsa_private_segment_fixed_size 0
		.amdhsa_kernarg_size 176
		.amdhsa_user_sgpr_count 15
		.amdhsa_user_sgpr_dispatch_ptr 0
		.amdhsa_user_sgpr_queue_ptr 0
		.amdhsa_user_sgpr_kernarg_segment_ptr 1
		.amdhsa_user_sgpr_dispatch_id 0
		.amdhsa_user_sgpr_private_segment_size 0
		.amdhsa_wavefront_size32 1
		.amdhsa_uses_dynamic_stack 0
		.amdhsa_enable_private_segment 0
		.amdhsa_system_sgpr_workgroup_id_x 1
		.amdhsa_system_sgpr_workgroup_id_y 0
		.amdhsa_system_sgpr_workgroup_id_z 0
		.amdhsa_system_sgpr_workgroup_info 0
		.amdhsa_system_vgpr_workitem_id 0
		.amdhsa_next_free_vgpr 1
		.amdhsa_next_free_sgpr 1
		.amdhsa_reserve_vcc 0
		.amdhsa_float_round_mode_32 0
		.amdhsa_float_round_mode_16_64 0
		.amdhsa_float_denorm_mode_32 3
		.amdhsa_float_denorm_mode_16_64 3
		.amdhsa_dx10_clamp 1
		.amdhsa_ieee_mode 1
		.amdhsa_fp16_overflow 0
		.amdhsa_workgroup_processor_mode 1
		.amdhsa_memory_ordered 1
		.amdhsa_forward_progress 0
		.amdhsa_shared_vgpr_count 0
		.amdhsa_exception_fp_ieee_invalid_op 0
		.amdhsa_exception_fp_denorm_src 0
		.amdhsa_exception_fp_ieee_div_zero 0
		.amdhsa_exception_fp_ieee_overflow 0
		.amdhsa_exception_fp_ieee_underflow 0
		.amdhsa_exception_fp_ieee_inexact 0
		.amdhsa_exception_int_div_zero 0
	.end_amdhsa_kernel
	.section	.text._ZN7rocprim17ROCPRIM_400000_NS6detail17trampoline_kernelINS0_13select_configILj256ELj13ELNS0_17block_load_methodE3ELS4_3ELS4_3ELNS0_20block_scan_algorithmE0ELj4294967295EEENS1_25partition_config_selectorILNS1_17partition_subalgoE4EjNS0_10empty_typeEbEEZZNS1_14partition_implILS8_4ELb0ES6_15HIP_vector_typeIjLj2EENS0_17counting_iteratorIjlEEPS9_SG_NS0_5tupleIJPjSI_NS0_16reverse_iteratorISI_EEEEENSH_IJSG_SG_SG_EEES9_SI_JZNS1_25segmented_radix_sort_implINS0_14default_configELb0EPKfPfPKlPlN2at6native12_GLOBAL__N_18offset_tEEE10hipError_tPvRmT1_PNSt15iterator_traitsIS12_E10value_typeET2_T3_PNS13_IS18_E10value_typeET4_jRbjT5_S1E_jjP12ihipStream_tbEUljE_ZNSN_ISO_Lb0ESQ_SR_ST_SU_SY_EESZ_S10_S11_S12_S16_S17_S18_S1B_S1C_jS1D_jS1E_S1E_jjS1G_bEUljE0_EEESZ_S10_S11_S18_S1C_S1E_T6_T7_T9_mT8_S1G_bDpT10_ENKUlT_T0_E_clISt17integral_constantIbLb0EES1U_EEDaS1P_S1Q_EUlS1P_E_NS1_11comp_targetILNS1_3genE8ELNS1_11target_archE1030ELNS1_3gpuE2ELNS1_3repE0EEENS1_30default_config_static_selectorELNS0_4arch9wavefront6targetE0EEEvS12_,"axG",@progbits,_ZN7rocprim17ROCPRIM_400000_NS6detail17trampoline_kernelINS0_13select_configILj256ELj13ELNS0_17block_load_methodE3ELS4_3ELS4_3ELNS0_20block_scan_algorithmE0ELj4294967295EEENS1_25partition_config_selectorILNS1_17partition_subalgoE4EjNS0_10empty_typeEbEEZZNS1_14partition_implILS8_4ELb0ES6_15HIP_vector_typeIjLj2EENS0_17counting_iteratorIjlEEPS9_SG_NS0_5tupleIJPjSI_NS0_16reverse_iteratorISI_EEEEENSH_IJSG_SG_SG_EEES9_SI_JZNS1_25segmented_radix_sort_implINS0_14default_configELb0EPKfPfPKlPlN2at6native12_GLOBAL__N_18offset_tEEE10hipError_tPvRmT1_PNSt15iterator_traitsIS12_E10value_typeET2_T3_PNS13_IS18_E10value_typeET4_jRbjT5_S1E_jjP12ihipStream_tbEUljE_ZNSN_ISO_Lb0ESQ_SR_ST_SU_SY_EESZ_S10_S11_S12_S16_S17_S18_S1B_S1C_jS1D_jS1E_S1E_jjS1G_bEUljE0_EEESZ_S10_S11_S18_S1C_S1E_T6_T7_T9_mT8_S1G_bDpT10_ENKUlT_T0_E_clISt17integral_constantIbLb0EES1U_EEDaS1P_S1Q_EUlS1P_E_NS1_11comp_targetILNS1_3genE8ELNS1_11target_archE1030ELNS1_3gpuE2ELNS1_3repE0EEENS1_30default_config_static_selectorELNS0_4arch9wavefront6targetE0EEEvS12_,comdat
.Lfunc_end1371:
	.size	_ZN7rocprim17ROCPRIM_400000_NS6detail17trampoline_kernelINS0_13select_configILj256ELj13ELNS0_17block_load_methodE3ELS4_3ELS4_3ELNS0_20block_scan_algorithmE0ELj4294967295EEENS1_25partition_config_selectorILNS1_17partition_subalgoE4EjNS0_10empty_typeEbEEZZNS1_14partition_implILS8_4ELb0ES6_15HIP_vector_typeIjLj2EENS0_17counting_iteratorIjlEEPS9_SG_NS0_5tupleIJPjSI_NS0_16reverse_iteratorISI_EEEEENSH_IJSG_SG_SG_EEES9_SI_JZNS1_25segmented_radix_sort_implINS0_14default_configELb0EPKfPfPKlPlN2at6native12_GLOBAL__N_18offset_tEEE10hipError_tPvRmT1_PNSt15iterator_traitsIS12_E10value_typeET2_T3_PNS13_IS18_E10value_typeET4_jRbjT5_S1E_jjP12ihipStream_tbEUljE_ZNSN_ISO_Lb0ESQ_SR_ST_SU_SY_EESZ_S10_S11_S12_S16_S17_S18_S1B_S1C_jS1D_jS1E_S1E_jjS1G_bEUljE0_EEESZ_S10_S11_S18_S1C_S1E_T6_T7_T9_mT8_S1G_bDpT10_ENKUlT_T0_E_clISt17integral_constantIbLb0EES1U_EEDaS1P_S1Q_EUlS1P_E_NS1_11comp_targetILNS1_3genE8ELNS1_11target_archE1030ELNS1_3gpuE2ELNS1_3repE0EEENS1_30default_config_static_selectorELNS0_4arch9wavefront6targetE0EEEvS12_, .Lfunc_end1371-_ZN7rocprim17ROCPRIM_400000_NS6detail17trampoline_kernelINS0_13select_configILj256ELj13ELNS0_17block_load_methodE3ELS4_3ELS4_3ELNS0_20block_scan_algorithmE0ELj4294967295EEENS1_25partition_config_selectorILNS1_17partition_subalgoE4EjNS0_10empty_typeEbEEZZNS1_14partition_implILS8_4ELb0ES6_15HIP_vector_typeIjLj2EENS0_17counting_iteratorIjlEEPS9_SG_NS0_5tupleIJPjSI_NS0_16reverse_iteratorISI_EEEEENSH_IJSG_SG_SG_EEES9_SI_JZNS1_25segmented_radix_sort_implINS0_14default_configELb0EPKfPfPKlPlN2at6native12_GLOBAL__N_18offset_tEEE10hipError_tPvRmT1_PNSt15iterator_traitsIS12_E10value_typeET2_T3_PNS13_IS18_E10value_typeET4_jRbjT5_S1E_jjP12ihipStream_tbEUljE_ZNSN_ISO_Lb0ESQ_SR_ST_SU_SY_EESZ_S10_S11_S12_S16_S17_S18_S1B_S1C_jS1D_jS1E_S1E_jjS1G_bEUljE0_EEESZ_S10_S11_S18_S1C_S1E_T6_T7_T9_mT8_S1G_bDpT10_ENKUlT_T0_E_clISt17integral_constantIbLb0EES1U_EEDaS1P_S1Q_EUlS1P_E_NS1_11comp_targetILNS1_3genE8ELNS1_11target_archE1030ELNS1_3gpuE2ELNS1_3repE0EEENS1_30default_config_static_selectorELNS0_4arch9wavefront6targetE0EEEvS12_
                                        ; -- End function
	.section	.AMDGPU.csdata,"",@progbits
; Kernel info:
; codeLenInByte = 0
; NumSgprs: 0
; NumVgprs: 0
; ScratchSize: 0
; MemoryBound: 0
; FloatMode: 240
; IeeeMode: 1
; LDSByteSize: 0 bytes/workgroup (compile time only)
; SGPRBlocks: 0
; VGPRBlocks: 0
; NumSGPRsForWavesPerEU: 1
; NumVGPRsForWavesPerEU: 1
; Occupancy: 16
; WaveLimiterHint : 0
; COMPUTE_PGM_RSRC2:SCRATCH_EN: 0
; COMPUTE_PGM_RSRC2:USER_SGPR: 15
; COMPUTE_PGM_RSRC2:TRAP_HANDLER: 0
; COMPUTE_PGM_RSRC2:TGID_X_EN: 1
; COMPUTE_PGM_RSRC2:TGID_Y_EN: 0
; COMPUTE_PGM_RSRC2:TGID_Z_EN: 0
; COMPUTE_PGM_RSRC2:TIDIG_COMP_CNT: 0
	.section	.text._ZN7rocprim17ROCPRIM_400000_NS6detail17trampoline_kernelINS0_13select_configILj256ELj13ELNS0_17block_load_methodE3ELS4_3ELS4_3ELNS0_20block_scan_algorithmE0ELj4294967295EEENS1_25partition_config_selectorILNS1_17partition_subalgoE4EjNS0_10empty_typeEbEEZZNS1_14partition_implILS8_4ELb0ES6_15HIP_vector_typeIjLj2EENS0_17counting_iteratorIjlEEPS9_SG_NS0_5tupleIJPjSI_NS0_16reverse_iteratorISI_EEEEENSH_IJSG_SG_SG_EEES9_SI_JZNS1_25segmented_radix_sort_implINS0_14default_configELb0EPKfPfPKlPlN2at6native12_GLOBAL__N_18offset_tEEE10hipError_tPvRmT1_PNSt15iterator_traitsIS12_E10value_typeET2_T3_PNS13_IS18_E10value_typeET4_jRbjT5_S1E_jjP12ihipStream_tbEUljE_ZNSN_ISO_Lb0ESQ_SR_ST_SU_SY_EESZ_S10_S11_S12_S16_S17_S18_S1B_S1C_jS1D_jS1E_S1E_jjS1G_bEUljE0_EEESZ_S10_S11_S18_S1C_S1E_T6_T7_T9_mT8_S1G_bDpT10_ENKUlT_T0_E_clISt17integral_constantIbLb1EES1U_EEDaS1P_S1Q_EUlS1P_E_NS1_11comp_targetILNS1_3genE0ELNS1_11target_archE4294967295ELNS1_3gpuE0ELNS1_3repE0EEENS1_30default_config_static_selectorELNS0_4arch9wavefront6targetE0EEEvS12_,"axG",@progbits,_ZN7rocprim17ROCPRIM_400000_NS6detail17trampoline_kernelINS0_13select_configILj256ELj13ELNS0_17block_load_methodE3ELS4_3ELS4_3ELNS0_20block_scan_algorithmE0ELj4294967295EEENS1_25partition_config_selectorILNS1_17partition_subalgoE4EjNS0_10empty_typeEbEEZZNS1_14partition_implILS8_4ELb0ES6_15HIP_vector_typeIjLj2EENS0_17counting_iteratorIjlEEPS9_SG_NS0_5tupleIJPjSI_NS0_16reverse_iteratorISI_EEEEENSH_IJSG_SG_SG_EEES9_SI_JZNS1_25segmented_radix_sort_implINS0_14default_configELb0EPKfPfPKlPlN2at6native12_GLOBAL__N_18offset_tEEE10hipError_tPvRmT1_PNSt15iterator_traitsIS12_E10value_typeET2_T3_PNS13_IS18_E10value_typeET4_jRbjT5_S1E_jjP12ihipStream_tbEUljE_ZNSN_ISO_Lb0ESQ_SR_ST_SU_SY_EESZ_S10_S11_S12_S16_S17_S18_S1B_S1C_jS1D_jS1E_S1E_jjS1G_bEUljE0_EEESZ_S10_S11_S18_S1C_S1E_T6_T7_T9_mT8_S1G_bDpT10_ENKUlT_T0_E_clISt17integral_constantIbLb1EES1U_EEDaS1P_S1Q_EUlS1P_E_NS1_11comp_targetILNS1_3genE0ELNS1_11target_archE4294967295ELNS1_3gpuE0ELNS1_3repE0EEENS1_30default_config_static_selectorELNS0_4arch9wavefront6targetE0EEEvS12_,comdat
	.globl	_ZN7rocprim17ROCPRIM_400000_NS6detail17trampoline_kernelINS0_13select_configILj256ELj13ELNS0_17block_load_methodE3ELS4_3ELS4_3ELNS0_20block_scan_algorithmE0ELj4294967295EEENS1_25partition_config_selectorILNS1_17partition_subalgoE4EjNS0_10empty_typeEbEEZZNS1_14partition_implILS8_4ELb0ES6_15HIP_vector_typeIjLj2EENS0_17counting_iteratorIjlEEPS9_SG_NS0_5tupleIJPjSI_NS0_16reverse_iteratorISI_EEEEENSH_IJSG_SG_SG_EEES9_SI_JZNS1_25segmented_radix_sort_implINS0_14default_configELb0EPKfPfPKlPlN2at6native12_GLOBAL__N_18offset_tEEE10hipError_tPvRmT1_PNSt15iterator_traitsIS12_E10value_typeET2_T3_PNS13_IS18_E10value_typeET4_jRbjT5_S1E_jjP12ihipStream_tbEUljE_ZNSN_ISO_Lb0ESQ_SR_ST_SU_SY_EESZ_S10_S11_S12_S16_S17_S18_S1B_S1C_jS1D_jS1E_S1E_jjS1G_bEUljE0_EEESZ_S10_S11_S18_S1C_S1E_T6_T7_T9_mT8_S1G_bDpT10_ENKUlT_T0_E_clISt17integral_constantIbLb1EES1U_EEDaS1P_S1Q_EUlS1P_E_NS1_11comp_targetILNS1_3genE0ELNS1_11target_archE4294967295ELNS1_3gpuE0ELNS1_3repE0EEENS1_30default_config_static_selectorELNS0_4arch9wavefront6targetE0EEEvS12_ ; -- Begin function _ZN7rocprim17ROCPRIM_400000_NS6detail17trampoline_kernelINS0_13select_configILj256ELj13ELNS0_17block_load_methodE3ELS4_3ELS4_3ELNS0_20block_scan_algorithmE0ELj4294967295EEENS1_25partition_config_selectorILNS1_17partition_subalgoE4EjNS0_10empty_typeEbEEZZNS1_14partition_implILS8_4ELb0ES6_15HIP_vector_typeIjLj2EENS0_17counting_iteratorIjlEEPS9_SG_NS0_5tupleIJPjSI_NS0_16reverse_iteratorISI_EEEEENSH_IJSG_SG_SG_EEES9_SI_JZNS1_25segmented_radix_sort_implINS0_14default_configELb0EPKfPfPKlPlN2at6native12_GLOBAL__N_18offset_tEEE10hipError_tPvRmT1_PNSt15iterator_traitsIS12_E10value_typeET2_T3_PNS13_IS18_E10value_typeET4_jRbjT5_S1E_jjP12ihipStream_tbEUljE_ZNSN_ISO_Lb0ESQ_SR_ST_SU_SY_EESZ_S10_S11_S12_S16_S17_S18_S1B_S1C_jS1D_jS1E_S1E_jjS1G_bEUljE0_EEESZ_S10_S11_S18_S1C_S1E_T6_T7_T9_mT8_S1G_bDpT10_ENKUlT_T0_E_clISt17integral_constantIbLb1EES1U_EEDaS1P_S1Q_EUlS1P_E_NS1_11comp_targetILNS1_3genE0ELNS1_11target_archE4294967295ELNS1_3gpuE0ELNS1_3repE0EEENS1_30default_config_static_selectorELNS0_4arch9wavefront6targetE0EEEvS12_
	.p2align	8
	.type	_ZN7rocprim17ROCPRIM_400000_NS6detail17trampoline_kernelINS0_13select_configILj256ELj13ELNS0_17block_load_methodE3ELS4_3ELS4_3ELNS0_20block_scan_algorithmE0ELj4294967295EEENS1_25partition_config_selectorILNS1_17partition_subalgoE4EjNS0_10empty_typeEbEEZZNS1_14partition_implILS8_4ELb0ES6_15HIP_vector_typeIjLj2EENS0_17counting_iteratorIjlEEPS9_SG_NS0_5tupleIJPjSI_NS0_16reverse_iteratorISI_EEEEENSH_IJSG_SG_SG_EEES9_SI_JZNS1_25segmented_radix_sort_implINS0_14default_configELb0EPKfPfPKlPlN2at6native12_GLOBAL__N_18offset_tEEE10hipError_tPvRmT1_PNSt15iterator_traitsIS12_E10value_typeET2_T3_PNS13_IS18_E10value_typeET4_jRbjT5_S1E_jjP12ihipStream_tbEUljE_ZNSN_ISO_Lb0ESQ_SR_ST_SU_SY_EESZ_S10_S11_S12_S16_S17_S18_S1B_S1C_jS1D_jS1E_S1E_jjS1G_bEUljE0_EEESZ_S10_S11_S18_S1C_S1E_T6_T7_T9_mT8_S1G_bDpT10_ENKUlT_T0_E_clISt17integral_constantIbLb1EES1U_EEDaS1P_S1Q_EUlS1P_E_NS1_11comp_targetILNS1_3genE0ELNS1_11target_archE4294967295ELNS1_3gpuE0ELNS1_3repE0EEENS1_30default_config_static_selectorELNS0_4arch9wavefront6targetE0EEEvS12_,@function
_ZN7rocprim17ROCPRIM_400000_NS6detail17trampoline_kernelINS0_13select_configILj256ELj13ELNS0_17block_load_methodE3ELS4_3ELS4_3ELNS0_20block_scan_algorithmE0ELj4294967295EEENS1_25partition_config_selectorILNS1_17partition_subalgoE4EjNS0_10empty_typeEbEEZZNS1_14partition_implILS8_4ELb0ES6_15HIP_vector_typeIjLj2EENS0_17counting_iteratorIjlEEPS9_SG_NS0_5tupleIJPjSI_NS0_16reverse_iteratorISI_EEEEENSH_IJSG_SG_SG_EEES9_SI_JZNS1_25segmented_radix_sort_implINS0_14default_configELb0EPKfPfPKlPlN2at6native12_GLOBAL__N_18offset_tEEE10hipError_tPvRmT1_PNSt15iterator_traitsIS12_E10value_typeET2_T3_PNS13_IS18_E10value_typeET4_jRbjT5_S1E_jjP12ihipStream_tbEUljE_ZNSN_ISO_Lb0ESQ_SR_ST_SU_SY_EESZ_S10_S11_S12_S16_S17_S18_S1B_S1C_jS1D_jS1E_S1E_jjS1G_bEUljE0_EEESZ_S10_S11_S18_S1C_S1E_T6_T7_T9_mT8_S1G_bDpT10_ENKUlT_T0_E_clISt17integral_constantIbLb1EES1U_EEDaS1P_S1Q_EUlS1P_E_NS1_11comp_targetILNS1_3genE0ELNS1_11target_archE4294967295ELNS1_3gpuE0ELNS1_3repE0EEENS1_30default_config_static_selectorELNS0_4arch9wavefront6targetE0EEEvS12_: ; @_ZN7rocprim17ROCPRIM_400000_NS6detail17trampoline_kernelINS0_13select_configILj256ELj13ELNS0_17block_load_methodE3ELS4_3ELS4_3ELNS0_20block_scan_algorithmE0ELj4294967295EEENS1_25partition_config_selectorILNS1_17partition_subalgoE4EjNS0_10empty_typeEbEEZZNS1_14partition_implILS8_4ELb0ES6_15HIP_vector_typeIjLj2EENS0_17counting_iteratorIjlEEPS9_SG_NS0_5tupleIJPjSI_NS0_16reverse_iteratorISI_EEEEENSH_IJSG_SG_SG_EEES9_SI_JZNS1_25segmented_radix_sort_implINS0_14default_configELb0EPKfPfPKlPlN2at6native12_GLOBAL__N_18offset_tEEE10hipError_tPvRmT1_PNSt15iterator_traitsIS12_E10value_typeET2_T3_PNS13_IS18_E10value_typeET4_jRbjT5_S1E_jjP12ihipStream_tbEUljE_ZNSN_ISO_Lb0ESQ_SR_ST_SU_SY_EESZ_S10_S11_S12_S16_S17_S18_S1B_S1C_jS1D_jS1E_S1E_jjS1G_bEUljE0_EEESZ_S10_S11_S18_S1C_S1E_T6_T7_T9_mT8_S1G_bDpT10_ENKUlT_T0_E_clISt17integral_constantIbLb1EES1U_EEDaS1P_S1Q_EUlS1P_E_NS1_11comp_targetILNS1_3genE0ELNS1_11target_archE4294967295ELNS1_3gpuE0ELNS1_3repE0EEENS1_30default_config_static_selectorELNS0_4arch9wavefront6targetE0EEEvS12_
; %bb.0:
	.section	.rodata,"a",@progbits
	.p2align	6, 0x0
	.amdhsa_kernel _ZN7rocprim17ROCPRIM_400000_NS6detail17trampoline_kernelINS0_13select_configILj256ELj13ELNS0_17block_load_methodE3ELS4_3ELS4_3ELNS0_20block_scan_algorithmE0ELj4294967295EEENS1_25partition_config_selectorILNS1_17partition_subalgoE4EjNS0_10empty_typeEbEEZZNS1_14partition_implILS8_4ELb0ES6_15HIP_vector_typeIjLj2EENS0_17counting_iteratorIjlEEPS9_SG_NS0_5tupleIJPjSI_NS0_16reverse_iteratorISI_EEEEENSH_IJSG_SG_SG_EEES9_SI_JZNS1_25segmented_radix_sort_implINS0_14default_configELb0EPKfPfPKlPlN2at6native12_GLOBAL__N_18offset_tEEE10hipError_tPvRmT1_PNSt15iterator_traitsIS12_E10value_typeET2_T3_PNS13_IS18_E10value_typeET4_jRbjT5_S1E_jjP12ihipStream_tbEUljE_ZNSN_ISO_Lb0ESQ_SR_ST_SU_SY_EESZ_S10_S11_S12_S16_S17_S18_S1B_S1C_jS1D_jS1E_S1E_jjS1G_bEUljE0_EEESZ_S10_S11_S18_S1C_S1E_T6_T7_T9_mT8_S1G_bDpT10_ENKUlT_T0_E_clISt17integral_constantIbLb1EES1U_EEDaS1P_S1Q_EUlS1P_E_NS1_11comp_targetILNS1_3genE0ELNS1_11target_archE4294967295ELNS1_3gpuE0ELNS1_3repE0EEENS1_30default_config_static_selectorELNS0_4arch9wavefront6targetE0EEEvS12_
		.amdhsa_group_segment_fixed_size 0
		.amdhsa_private_segment_fixed_size 0
		.amdhsa_kernarg_size 184
		.amdhsa_user_sgpr_count 15
		.amdhsa_user_sgpr_dispatch_ptr 0
		.amdhsa_user_sgpr_queue_ptr 0
		.amdhsa_user_sgpr_kernarg_segment_ptr 1
		.amdhsa_user_sgpr_dispatch_id 0
		.amdhsa_user_sgpr_private_segment_size 0
		.amdhsa_wavefront_size32 1
		.amdhsa_uses_dynamic_stack 0
		.amdhsa_enable_private_segment 0
		.amdhsa_system_sgpr_workgroup_id_x 1
		.amdhsa_system_sgpr_workgroup_id_y 0
		.amdhsa_system_sgpr_workgroup_id_z 0
		.amdhsa_system_sgpr_workgroup_info 0
		.amdhsa_system_vgpr_workitem_id 0
		.amdhsa_next_free_vgpr 1
		.amdhsa_next_free_sgpr 1
		.amdhsa_reserve_vcc 0
		.amdhsa_float_round_mode_32 0
		.amdhsa_float_round_mode_16_64 0
		.amdhsa_float_denorm_mode_32 3
		.amdhsa_float_denorm_mode_16_64 3
		.amdhsa_dx10_clamp 1
		.amdhsa_ieee_mode 1
		.amdhsa_fp16_overflow 0
		.amdhsa_workgroup_processor_mode 1
		.amdhsa_memory_ordered 1
		.amdhsa_forward_progress 0
		.amdhsa_shared_vgpr_count 0
		.amdhsa_exception_fp_ieee_invalid_op 0
		.amdhsa_exception_fp_denorm_src 0
		.amdhsa_exception_fp_ieee_div_zero 0
		.amdhsa_exception_fp_ieee_overflow 0
		.amdhsa_exception_fp_ieee_underflow 0
		.amdhsa_exception_fp_ieee_inexact 0
		.amdhsa_exception_int_div_zero 0
	.end_amdhsa_kernel
	.section	.text._ZN7rocprim17ROCPRIM_400000_NS6detail17trampoline_kernelINS0_13select_configILj256ELj13ELNS0_17block_load_methodE3ELS4_3ELS4_3ELNS0_20block_scan_algorithmE0ELj4294967295EEENS1_25partition_config_selectorILNS1_17partition_subalgoE4EjNS0_10empty_typeEbEEZZNS1_14partition_implILS8_4ELb0ES6_15HIP_vector_typeIjLj2EENS0_17counting_iteratorIjlEEPS9_SG_NS0_5tupleIJPjSI_NS0_16reverse_iteratorISI_EEEEENSH_IJSG_SG_SG_EEES9_SI_JZNS1_25segmented_radix_sort_implINS0_14default_configELb0EPKfPfPKlPlN2at6native12_GLOBAL__N_18offset_tEEE10hipError_tPvRmT1_PNSt15iterator_traitsIS12_E10value_typeET2_T3_PNS13_IS18_E10value_typeET4_jRbjT5_S1E_jjP12ihipStream_tbEUljE_ZNSN_ISO_Lb0ESQ_SR_ST_SU_SY_EESZ_S10_S11_S12_S16_S17_S18_S1B_S1C_jS1D_jS1E_S1E_jjS1G_bEUljE0_EEESZ_S10_S11_S18_S1C_S1E_T6_T7_T9_mT8_S1G_bDpT10_ENKUlT_T0_E_clISt17integral_constantIbLb1EES1U_EEDaS1P_S1Q_EUlS1P_E_NS1_11comp_targetILNS1_3genE0ELNS1_11target_archE4294967295ELNS1_3gpuE0ELNS1_3repE0EEENS1_30default_config_static_selectorELNS0_4arch9wavefront6targetE0EEEvS12_,"axG",@progbits,_ZN7rocprim17ROCPRIM_400000_NS6detail17trampoline_kernelINS0_13select_configILj256ELj13ELNS0_17block_load_methodE3ELS4_3ELS4_3ELNS0_20block_scan_algorithmE0ELj4294967295EEENS1_25partition_config_selectorILNS1_17partition_subalgoE4EjNS0_10empty_typeEbEEZZNS1_14partition_implILS8_4ELb0ES6_15HIP_vector_typeIjLj2EENS0_17counting_iteratorIjlEEPS9_SG_NS0_5tupleIJPjSI_NS0_16reverse_iteratorISI_EEEEENSH_IJSG_SG_SG_EEES9_SI_JZNS1_25segmented_radix_sort_implINS0_14default_configELb0EPKfPfPKlPlN2at6native12_GLOBAL__N_18offset_tEEE10hipError_tPvRmT1_PNSt15iterator_traitsIS12_E10value_typeET2_T3_PNS13_IS18_E10value_typeET4_jRbjT5_S1E_jjP12ihipStream_tbEUljE_ZNSN_ISO_Lb0ESQ_SR_ST_SU_SY_EESZ_S10_S11_S12_S16_S17_S18_S1B_S1C_jS1D_jS1E_S1E_jjS1G_bEUljE0_EEESZ_S10_S11_S18_S1C_S1E_T6_T7_T9_mT8_S1G_bDpT10_ENKUlT_T0_E_clISt17integral_constantIbLb1EES1U_EEDaS1P_S1Q_EUlS1P_E_NS1_11comp_targetILNS1_3genE0ELNS1_11target_archE4294967295ELNS1_3gpuE0ELNS1_3repE0EEENS1_30default_config_static_selectorELNS0_4arch9wavefront6targetE0EEEvS12_,comdat
.Lfunc_end1372:
	.size	_ZN7rocprim17ROCPRIM_400000_NS6detail17trampoline_kernelINS0_13select_configILj256ELj13ELNS0_17block_load_methodE3ELS4_3ELS4_3ELNS0_20block_scan_algorithmE0ELj4294967295EEENS1_25partition_config_selectorILNS1_17partition_subalgoE4EjNS0_10empty_typeEbEEZZNS1_14partition_implILS8_4ELb0ES6_15HIP_vector_typeIjLj2EENS0_17counting_iteratorIjlEEPS9_SG_NS0_5tupleIJPjSI_NS0_16reverse_iteratorISI_EEEEENSH_IJSG_SG_SG_EEES9_SI_JZNS1_25segmented_radix_sort_implINS0_14default_configELb0EPKfPfPKlPlN2at6native12_GLOBAL__N_18offset_tEEE10hipError_tPvRmT1_PNSt15iterator_traitsIS12_E10value_typeET2_T3_PNS13_IS18_E10value_typeET4_jRbjT5_S1E_jjP12ihipStream_tbEUljE_ZNSN_ISO_Lb0ESQ_SR_ST_SU_SY_EESZ_S10_S11_S12_S16_S17_S18_S1B_S1C_jS1D_jS1E_S1E_jjS1G_bEUljE0_EEESZ_S10_S11_S18_S1C_S1E_T6_T7_T9_mT8_S1G_bDpT10_ENKUlT_T0_E_clISt17integral_constantIbLb1EES1U_EEDaS1P_S1Q_EUlS1P_E_NS1_11comp_targetILNS1_3genE0ELNS1_11target_archE4294967295ELNS1_3gpuE0ELNS1_3repE0EEENS1_30default_config_static_selectorELNS0_4arch9wavefront6targetE0EEEvS12_, .Lfunc_end1372-_ZN7rocprim17ROCPRIM_400000_NS6detail17trampoline_kernelINS0_13select_configILj256ELj13ELNS0_17block_load_methodE3ELS4_3ELS4_3ELNS0_20block_scan_algorithmE0ELj4294967295EEENS1_25partition_config_selectorILNS1_17partition_subalgoE4EjNS0_10empty_typeEbEEZZNS1_14partition_implILS8_4ELb0ES6_15HIP_vector_typeIjLj2EENS0_17counting_iteratorIjlEEPS9_SG_NS0_5tupleIJPjSI_NS0_16reverse_iteratorISI_EEEEENSH_IJSG_SG_SG_EEES9_SI_JZNS1_25segmented_radix_sort_implINS0_14default_configELb0EPKfPfPKlPlN2at6native12_GLOBAL__N_18offset_tEEE10hipError_tPvRmT1_PNSt15iterator_traitsIS12_E10value_typeET2_T3_PNS13_IS18_E10value_typeET4_jRbjT5_S1E_jjP12ihipStream_tbEUljE_ZNSN_ISO_Lb0ESQ_SR_ST_SU_SY_EESZ_S10_S11_S12_S16_S17_S18_S1B_S1C_jS1D_jS1E_S1E_jjS1G_bEUljE0_EEESZ_S10_S11_S18_S1C_S1E_T6_T7_T9_mT8_S1G_bDpT10_ENKUlT_T0_E_clISt17integral_constantIbLb1EES1U_EEDaS1P_S1Q_EUlS1P_E_NS1_11comp_targetILNS1_3genE0ELNS1_11target_archE4294967295ELNS1_3gpuE0ELNS1_3repE0EEENS1_30default_config_static_selectorELNS0_4arch9wavefront6targetE0EEEvS12_
                                        ; -- End function
	.section	.AMDGPU.csdata,"",@progbits
; Kernel info:
; codeLenInByte = 0
; NumSgprs: 0
; NumVgprs: 0
; ScratchSize: 0
; MemoryBound: 0
; FloatMode: 240
; IeeeMode: 1
; LDSByteSize: 0 bytes/workgroup (compile time only)
; SGPRBlocks: 0
; VGPRBlocks: 0
; NumSGPRsForWavesPerEU: 1
; NumVGPRsForWavesPerEU: 1
; Occupancy: 16
; WaveLimiterHint : 0
; COMPUTE_PGM_RSRC2:SCRATCH_EN: 0
; COMPUTE_PGM_RSRC2:USER_SGPR: 15
; COMPUTE_PGM_RSRC2:TRAP_HANDLER: 0
; COMPUTE_PGM_RSRC2:TGID_X_EN: 1
; COMPUTE_PGM_RSRC2:TGID_Y_EN: 0
; COMPUTE_PGM_RSRC2:TGID_Z_EN: 0
; COMPUTE_PGM_RSRC2:TIDIG_COMP_CNT: 0
	.section	.text._ZN7rocprim17ROCPRIM_400000_NS6detail17trampoline_kernelINS0_13select_configILj256ELj13ELNS0_17block_load_methodE3ELS4_3ELS4_3ELNS0_20block_scan_algorithmE0ELj4294967295EEENS1_25partition_config_selectorILNS1_17partition_subalgoE4EjNS0_10empty_typeEbEEZZNS1_14partition_implILS8_4ELb0ES6_15HIP_vector_typeIjLj2EENS0_17counting_iteratorIjlEEPS9_SG_NS0_5tupleIJPjSI_NS0_16reverse_iteratorISI_EEEEENSH_IJSG_SG_SG_EEES9_SI_JZNS1_25segmented_radix_sort_implINS0_14default_configELb0EPKfPfPKlPlN2at6native12_GLOBAL__N_18offset_tEEE10hipError_tPvRmT1_PNSt15iterator_traitsIS12_E10value_typeET2_T3_PNS13_IS18_E10value_typeET4_jRbjT5_S1E_jjP12ihipStream_tbEUljE_ZNSN_ISO_Lb0ESQ_SR_ST_SU_SY_EESZ_S10_S11_S12_S16_S17_S18_S1B_S1C_jS1D_jS1E_S1E_jjS1G_bEUljE0_EEESZ_S10_S11_S18_S1C_S1E_T6_T7_T9_mT8_S1G_bDpT10_ENKUlT_T0_E_clISt17integral_constantIbLb1EES1U_EEDaS1P_S1Q_EUlS1P_E_NS1_11comp_targetILNS1_3genE5ELNS1_11target_archE942ELNS1_3gpuE9ELNS1_3repE0EEENS1_30default_config_static_selectorELNS0_4arch9wavefront6targetE0EEEvS12_,"axG",@progbits,_ZN7rocprim17ROCPRIM_400000_NS6detail17trampoline_kernelINS0_13select_configILj256ELj13ELNS0_17block_load_methodE3ELS4_3ELS4_3ELNS0_20block_scan_algorithmE0ELj4294967295EEENS1_25partition_config_selectorILNS1_17partition_subalgoE4EjNS0_10empty_typeEbEEZZNS1_14partition_implILS8_4ELb0ES6_15HIP_vector_typeIjLj2EENS0_17counting_iteratorIjlEEPS9_SG_NS0_5tupleIJPjSI_NS0_16reverse_iteratorISI_EEEEENSH_IJSG_SG_SG_EEES9_SI_JZNS1_25segmented_radix_sort_implINS0_14default_configELb0EPKfPfPKlPlN2at6native12_GLOBAL__N_18offset_tEEE10hipError_tPvRmT1_PNSt15iterator_traitsIS12_E10value_typeET2_T3_PNS13_IS18_E10value_typeET4_jRbjT5_S1E_jjP12ihipStream_tbEUljE_ZNSN_ISO_Lb0ESQ_SR_ST_SU_SY_EESZ_S10_S11_S12_S16_S17_S18_S1B_S1C_jS1D_jS1E_S1E_jjS1G_bEUljE0_EEESZ_S10_S11_S18_S1C_S1E_T6_T7_T9_mT8_S1G_bDpT10_ENKUlT_T0_E_clISt17integral_constantIbLb1EES1U_EEDaS1P_S1Q_EUlS1P_E_NS1_11comp_targetILNS1_3genE5ELNS1_11target_archE942ELNS1_3gpuE9ELNS1_3repE0EEENS1_30default_config_static_selectorELNS0_4arch9wavefront6targetE0EEEvS12_,comdat
	.globl	_ZN7rocprim17ROCPRIM_400000_NS6detail17trampoline_kernelINS0_13select_configILj256ELj13ELNS0_17block_load_methodE3ELS4_3ELS4_3ELNS0_20block_scan_algorithmE0ELj4294967295EEENS1_25partition_config_selectorILNS1_17partition_subalgoE4EjNS0_10empty_typeEbEEZZNS1_14partition_implILS8_4ELb0ES6_15HIP_vector_typeIjLj2EENS0_17counting_iteratorIjlEEPS9_SG_NS0_5tupleIJPjSI_NS0_16reverse_iteratorISI_EEEEENSH_IJSG_SG_SG_EEES9_SI_JZNS1_25segmented_radix_sort_implINS0_14default_configELb0EPKfPfPKlPlN2at6native12_GLOBAL__N_18offset_tEEE10hipError_tPvRmT1_PNSt15iterator_traitsIS12_E10value_typeET2_T3_PNS13_IS18_E10value_typeET4_jRbjT5_S1E_jjP12ihipStream_tbEUljE_ZNSN_ISO_Lb0ESQ_SR_ST_SU_SY_EESZ_S10_S11_S12_S16_S17_S18_S1B_S1C_jS1D_jS1E_S1E_jjS1G_bEUljE0_EEESZ_S10_S11_S18_S1C_S1E_T6_T7_T9_mT8_S1G_bDpT10_ENKUlT_T0_E_clISt17integral_constantIbLb1EES1U_EEDaS1P_S1Q_EUlS1P_E_NS1_11comp_targetILNS1_3genE5ELNS1_11target_archE942ELNS1_3gpuE9ELNS1_3repE0EEENS1_30default_config_static_selectorELNS0_4arch9wavefront6targetE0EEEvS12_ ; -- Begin function _ZN7rocprim17ROCPRIM_400000_NS6detail17trampoline_kernelINS0_13select_configILj256ELj13ELNS0_17block_load_methodE3ELS4_3ELS4_3ELNS0_20block_scan_algorithmE0ELj4294967295EEENS1_25partition_config_selectorILNS1_17partition_subalgoE4EjNS0_10empty_typeEbEEZZNS1_14partition_implILS8_4ELb0ES6_15HIP_vector_typeIjLj2EENS0_17counting_iteratorIjlEEPS9_SG_NS0_5tupleIJPjSI_NS0_16reverse_iteratorISI_EEEEENSH_IJSG_SG_SG_EEES9_SI_JZNS1_25segmented_radix_sort_implINS0_14default_configELb0EPKfPfPKlPlN2at6native12_GLOBAL__N_18offset_tEEE10hipError_tPvRmT1_PNSt15iterator_traitsIS12_E10value_typeET2_T3_PNS13_IS18_E10value_typeET4_jRbjT5_S1E_jjP12ihipStream_tbEUljE_ZNSN_ISO_Lb0ESQ_SR_ST_SU_SY_EESZ_S10_S11_S12_S16_S17_S18_S1B_S1C_jS1D_jS1E_S1E_jjS1G_bEUljE0_EEESZ_S10_S11_S18_S1C_S1E_T6_T7_T9_mT8_S1G_bDpT10_ENKUlT_T0_E_clISt17integral_constantIbLb1EES1U_EEDaS1P_S1Q_EUlS1P_E_NS1_11comp_targetILNS1_3genE5ELNS1_11target_archE942ELNS1_3gpuE9ELNS1_3repE0EEENS1_30default_config_static_selectorELNS0_4arch9wavefront6targetE0EEEvS12_
	.p2align	8
	.type	_ZN7rocprim17ROCPRIM_400000_NS6detail17trampoline_kernelINS0_13select_configILj256ELj13ELNS0_17block_load_methodE3ELS4_3ELS4_3ELNS0_20block_scan_algorithmE0ELj4294967295EEENS1_25partition_config_selectorILNS1_17partition_subalgoE4EjNS0_10empty_typeEbEEZZNS1_14partition_implILS8_4ELb0ES6_15HIP_vector_typeIjLj2EENS0_17counting_iteratorIjlEEPS9_SG_NS0_5tupleIJPjSI_NS0_16reverse_iteratorISI_EEEEENSH_IJSG_SG_SG_EEES9_SI_JZNS1_25segmented_radix_sort_implINS0_14default_configELb0EPKfPfPKlPlN2at6native12_GLOBAL__N_18offset_tEEE10hipError_tPvRmT1_PNSt15iterator_traitsIS12_E10value_typeET2_T3_PNS13_IS18_E10value_typeET4_jRbjT5_S1E_jjP12ihipStream_tbEUljE_ZNSN_ISO_Lb0ESQ_SR_ST_SU_SY_EESZ_S10_S11_S12_S16_S17_S18_S1B_S1C_jS1D_jS1E_S1E_jjS1G_bEUljE0_EEESZ_S10_S11_S18_S1C_S1E_T6_T7_T9_mT8_S1G_bDpT10_ENKUlT_T0_E_clISt17integral_constantIbLb1EES1U_EEDaS1P_S1Q_EUlS1P_E_NS1_11comp_targetILNS1_3genE5ELNS1_11target_archE942ELNS1_3gpuE9ELNS1_3repE0EEENS1_30default_config_static_selectorELNS0_4arch9wavefront6targetE0EEEvS12_,@function
_ZN7rocprim17ROCPRIM_400000_NS6detail17trampoline_kernelINS0_13select_configILj256ELj13ELNS0_17block_load_methodE3ELS4_3ELS4_3ELNS0_20block_scan_algorithmE0ELj4294967295EEENS1_25partition_config_selectorILNS1_17partition_subalgoE4EjNS0_10empty_typeEbEEZZNS1_14partition_implILS8_4ELb0ES6_15HIP_vector_typeIjLj2EENS0_17counting_iteratorIjlEEPS9_SG_NS0_5tupleIJPjSI_NS0_16reverse_iteratorISI_EEEEENSH_IJSG_SG_SG_EEES9_SI_JZNS1_25segmented_radix_sort_implINS0_14default_configELb0EPKfPfPKlPlN2at6native12_GLOBAL__N_18offset_tEEE10hipError_tPvRmT1_PNSt15iterator_traitsIS12_E10value_typeET2_T3_PNS13_IS18_E10value_typeET4_jRbjT5_S1E_jjP12ihipStream_tbEUljE_ZNSN_ISO_Lb0ESQ_SR_ST_SU_SY_EESZ_S10_S11_S12_S16_S17_S18_S1B_S1C_jS1D_jS1E_S1E_jjS1G_bEUljE0_EEESZ_S10_S11_S18_S1C_S1E_T6_T7_T9_mT8_S1G_bDpT10_ENKUlT_T0_E_clISt17integral_constantIbLb1EES1U_EEDaS1P_S1Q_EUlS1P_E_NS1_11comp_targetILNS1_3genE5ELNS1_11target_archE942ELNS1_3gpuE9ELNS1_3repE0EEENS1_30default_config_static_selectorELNS0_4arch9wavefront6targetE0EEEvS12_: ; @_ZN7rocprim17ROCPRIM_400000_NS6detail17trampoline_kernelINS0_13select_configILj256ELj13ELNS0_17block_load_methodE3ELS4_3ELS4_3ELNS0_20block_scan_algorithmE0ELj4294967295EEENS1_25partition_config_selectorILNS1_17partition_subalgoE4EjNS0_10empty_typeEbEEZZNS1_14partition_implILS8_4ELb0ES6_15HIP_vector_typeIjLj2EENS0_17counting_iteratorIjlEEPS9_SG_NS0_5tupleIJPjSI_NS0_16reverse_iteratorISI_EEEEENSH_IJSG_SG_SG_EEES9_SI_JZNS1_25segmented_radix_sort_implINS0_14default_configELb0EPKfPfPKlPlN2at6native12_GLOBAL__N_18offset_tEEE10hipError_tPvRmT1_PNSt15iterator_traitsIS12_E10value_typeET2_T3_PNS13_IS18_E10value_typeET4_jRbjT5_S1E_jjP12ihipStream_tbEUljE_ZNSN_ISO_Lb0ESQ_SR_ST_SU_SY_EESZ_S10_S11_S12_S16_S17_S18_S1B_S1C_jS1D_jS1E_S1E_jjS1G_bEUljE0_EEESZ_S10_S11_S18_S1C_S1E_T6_T7_T9_mT8_S1G_bDpT10_ENKUlT_T0_E_clISt17integral_constantIbLb1EES1U_EEDaS1P_S1Q_EUlS1P_E_NS1_11comp_targetILNS1_3genE5ELNS1_11target_archE942ELNS1_3gpuE9ELNS1_3repE0EEENS1_30default_config_static_selectorELNS0_4arch9wavefront6targetE0EEEvS12_
; %bb.0:
	.section	.rodata,"a",@progbits
	.p2align	6, 0x0
	.amdhsa_kernel _ZN7rocprim17ROCPRIM_400000_NS6detail17trampoline_kernelINS0_13select_configILj256ELj13ELNS0_17block_load_methodE3ELS4_3ELS4_3ELNS0_20block_scan_algorithmE0ELj4294967295EEENS1_25partition_config_selectorILNS1_17partition_subalgoE4EjNS0_10empty_typeEbEEZZNS1_14partition_implILS8_4ELb0ES6_15HIP_vector_typeIjLj2EENS0_17counting_iteratorIjlEEPS9_SG_NS0_5tupleIJPjSI_NS0_16reverse_iteratorISI_EEEEENSH_IJSG_SG_SG_EEES9_SI_JZNS1_25segmented_radix_sort_implINS0_14default_configELb0EPKfPfPKlPlN2at6native12_GLOBAL__N_18offset_tEEE10hipError_tPvRmT1_PNSt15iterator_traitsIS12_E10value_typeET2_T3_PNS13_IS18_E10value_typeET4_jRbjT5_S1E_jjP12ihipStream_tbEUljE_ZNSN_ISO_Lb0ESQ_SR_ST_SU_SY_EESZ_S10_S11_S12_S16_S17_S18_S1B_S1C_jS1D_jS1E_S1E_jjS1G_bEUljE0_EEESZ_S10_S11_S18_S1C_S1E_T6_T7_T9_mT8_S1G_bDpT10_ENKUlT_T0_E_clISt17integral_constantIbLb1EES1U_EEDaS1P_S1Q_EUlS1P_E_NS1_11comp_targetILNS1_3genE5ELNS1_11target_archE942ELNS1_3gpuE9ELNS1_3repE0EEENS1_30default_config_static_selectorELNS0_4arch9wavefront6targetE0EEEvS12_
		.amdhsa_group_segment_fixed_size 0
		.amdhsa_private_segment_fixed_size 0
		.amdhsa_kernarg_size 184
		.amdhsa_user_sgpr_count 15
		.amdhsa_user_sgpr_dispatch_ptr 0
		.amdhsa_user_sgpr_queue_ptr 0
		.amdhsa_user_sgpr_kernarg_segment_ptr 1
		.amdhsa_user_sgpr_dispatch_id 0
		.amdhsa_user_sgpr_private_segment_size 0
		.amdhsa_wavefront_size32 1
		.amdhsa_uses_dynamic_stack 0
		.amdhsa_enable_private_segment 0
		.amdhsa_system_sgpr_workgroup_id_x 1
		.amdhsa_system_sgpr_workgroup_id_y 0
		.amdhsa_system_sgpr_workgroup_id_z 0
		.amdhsa_system_sgpr_workgroup_info 0
		.amdhsa_system_vgpr_workitem_id 0
		.amdhsa_next_free_vgpr 1
		.amdhsa_next_free_sgpr 1
		.amdhsa_reserve_vcc 0
		.amdhsa_float_round_mode_32 0
		.amdhsa_float_round_mode_16_64 0
		.amdhsa_float_denorm_mode_32 3
		.amdhsa_float_denorm_mode_16_64 3
		.amdhsa_dx10_clamp 1
		.amdhsa_ieee_mode 1
		.amdhsa_fp16_overflow 0
		.amdhsa_workgroup_processor_mode 1
		.amdhsa_memory_ordered 1
		.amdhsa_forward_progress 0
		.amdhsa_shared_vgpr_count 0
		.amdhsa_exception_fp_ieee_invalid_op 0
		.amdhsa_exception_fp_denorm_src 0
		.amdhsa_exception_fp_ieee_div_zero 0
		.amdhsa_exception_fp_ieee_overflow 0
		.amdhsa_exception_fp_ieee_underflow 0
		.amdhsa_exception_fp_ieee_inexact 0
		.amdhsa_exception_int_div_zero 0
	.end_amdhsa_kernel
	.section	.text._ZN7rocprim17ROCPRIM_400000_NS6detail17trampoline_kernelINS0_13select_configILj256ELj13ELNS0_17block_load_methodE3ELS4_3ELS4_3ELNS0_20block_scan_algorithmE0ELj4294967295EEENS1_25partition_config_selectorILNS1_17partition_subalgoE4EjNS0_10empty_typeEbEEZZNS1_14partition_implILS8_4ELb0ES6_15HIP_vector_typeIjLj2EENS0_17counting_iteratorIjlEEPS9_SG_NS0_5tupleIJPjSI_NS0_16reverse_iteratorISI_EEEEENSH_IJSG_SG_SG_EEES9_SI_JZNS1_25segmented_radix_sort_implINS0_14default_configELb0EPKfPfPKlPlN2at6native12_GLOBAL__N_18offset_tEEE10hipError_tPvRmT1_PNSt15iterator_traitsIS12_E10value_typeET2_T3_PNS13_IS18_E10value_typeET4_jRbjT5_S1E_jjP12ihipStream_tbEUljE_ZNSN_ISO_Lb0ESQ_SR_ST_SU_SY_EESZ_S10_S11_S12_S16_S17_S18_S1B_S1C_jS1D_jS1E_S1E_jjS1G_bEUljE0_EEESZ_S10_S11_S18_S1C_S1E_T6_T7_T9_mT8_S1G_bDpT10_ENKUlT_T0_E_clISt17integral_constantIbLb1EES1U_EEDaS1P_S1Q_EUlS1P_E_NS1_11comp_targetILNS1_3genE5ELNS1_11target_archE942ELNS1_3gpuE9ELNS1_3repE0EEENS1_30default_config_static_selectorELNS0_4arch9wavefront6targetE0EEEvS12_,"axG",@progbits,_ZN7rocprim17ROCPRIM_400000_NS6detail17trampoline_kernelINS0_13select_configILj256ELj13ELNS0_17block_load_methodE3ELS4_3ELS4_3ELNS0_20block_scan_algorithmE0ELj4294967295EEENS1_25partition_config_selectorILNS1_17partition_subalgoE4EjNS0_10empty_typeEbEEZZNS1_14partition_implILS8_4ELb0ES6_15HIP_vector_typeIjLj2EENS0_17counting_iteratorIjlEEPS9_SG_NS0_5tupleIJPjSI_NS0_16reverse_iteratorISI_EEEEENSH_IJSG_SG_SG_EEES9_SI_JZNS1_25segmented_radix_sort_implINS0_14default_configELb0EPKfPfPKlPlN2at6native12_GLOBAL__N_18offset_tEEE10hipError_tPvRmT1_PNSt15iterator_traitsIS12_E10value_typeET2_T3_PNS13_IS18_E10value_typeET4_jRbjT5_S1E_jjP12ihipStream_tbEUljE_ZNSN_ISO_Lb0ESQ_SR_ST_SU_SY_EESZ_S10_S11_S12_S16_S17_S18_S1B_S1C_jS1D_jS1E_S1E_jjS1G_bEUljE0_EEESZ_S10_S11_S18_S1C_S1E_T6_T7_T9_mT8_S1G_bDpT10_ENKUlT_T0_E_clISt17integral_constantIbLb1EES1U_EEDaS1P_S1Q_EUlS1P_E_NS1_11comp_targetILNS1_3genE5ELNS1_11target_archE942ELNS1_3gpuE9ELNS1_3repE0EEENS1_30default_config_static_selectorELNS0_4arch9wavefront6targetE0EEEvS12_,comdat
.Lfunc_end1373:
	.size	_ZN7rocprim17ROCPRIM_400000_NS6detail17trampoline_kernelINS0_13select_configILj256ELj13ELNS0_17block_load_methodE3ELS4_3ELS4_3ELNS0_20block_scan_algorithmE0ELj4294967295EEENS1_25partition_config_selectorILNS1_17partition_subalgoE4EjNS0_10empty_typeEbEEZZNS1_14partition_implILS8_4ELb0ES6_15HIP_vector_typeIjLj2EENS0_17counting_iteratorIjlEEPS9_SG_NS0_5tupleIJPjSI_NS0_16reverse_iteratorISI_EEEEENSH_IJSG_SG_SG_EEES9_SI_JZNS1_25segmented_radix_sort_implINS0_14default_configELb0EPKfPfPKlPlN2at6native12_GLOBAL__N_18offset_tEEE10hipError_tPvRmT1_PNSt15iterator_traitsIS12_E10value_typeET2_T3_PNS13_IS18_E10value_typeET4_jRbjT5_S1E_jjP12ihipStream_tbEUljE_ZNSN_ISO_Lb0ESQ_SR_ST_SU_SY_EESZ_S10_S11_S12_S16_S17_S18_S1B_S1C_jS1D_jS1E_S1E_jjS1G_bEUljE0_EEESZ_S10_S11_S18_S1C_S1E_T6_T7_T9_mT8_S1G_bDpT10_ENKUlT_T0_E_clISt17integral_constantIbLb1EES1U_EEDaS1P_S1Q_EUlS1P_E_NS1_11comp_targetILNS1_3genE5ELNS1_11target_archE942ELNS1_3gpuE9ELNS1_3repE0EEENS1_30default_config_static_selectorELNS0_4arch9wavefront6targetE0EEEvS12_, .Lfunc_end1373-_ZN7rocprim17ROCPRIM_400000_NS6detail17trampoline_kernelINS0_13select_configILj256ELj13ELNS0_17block_load_methodE3ELS4_3ELS4_3ELNS0_20block_scan_algorithmE0ELj4294967295EEENS1_25partition_config_selectorILNS1_17partition_subalgoE4EjNS0_10empty_typeEbEEZZNS1_14partition_implILS8_4ELb0ES6_15HIP_vector_typeIjLj2EENS0_17counting_iteratorIjlEEPS9_SG_NS0_5tupleIJPjSI_NS0_16reverse_iteratorISI_EEEEENSH_IJSG_SG_SG_EEES9_SI_JZNS1_25segmented_radix_sort_implINS0_14default_configELb0EPKfPfPKlPlN2at6native12_GLOBAL__N_18offset_tEEE10hipError_tPvRmT1_PNSt15iterator_traitsIS12_E10value_typeET2_T3_PNS13_IS18_E10value_typeET4_jRbjT5_S1E_jjP12ihipStream_tbEUljE_ZNSN_ISO_Lb0ESQ_SR_ST_SU_SY_EESZ_S10_S11_S12_S16_S17_S18_S1B_S1C_jS1D_jS1E_S1E_jjS1G_bEUljE0_EEESZ_S10_S11_S18_S1C_S1E_T6_T7_T9_mT8_S1G_bDpT10_ENKUlT_T0_E_clISt17integral_constantIbLb1EES1U_EEDaS1P_S1Q_EUlS1P_E_NS1_11comp_targetILNS1_3genE5ELNS1_11target_archE942ELNS1_3gpuE9ELNS1_3repE0EEENS1_30default_config_static_selectorELNS0_4arch9wavefront6targetE0EEEvS12_
                                        ; -- End function
	.section	.AMDGPU.csdata,"",@progbits
; Kernel info:
; codeLenInByte = 0
; NumSgprs: 0
; NumVgprs: 0
; ScratchSize: 0
; MemoryBound: 0
; FloatMode: 240
; IeeeMode: 1
; LDSByteSize: 0 bytes/workgroup (compile time only)
; SGPRBlocks: 0
; VGPRBlocks: 0
; NumSGPRsForWavesPerEU: 1
; NumVGPRsForWavesPerEU: 1
; Occupancy: 16
; WaveLimiterHint : 0
; COMPUTE_PGM_RSRC2:SCRATCH_EN: 0
; COMPUTE_PGM_RSRC2:USER_SGPR: 15
; COMPUTE_PGM_RSRC2:TRAP_HANDLER: 0
; COMPUTE_PGM_RSRC2:TGID_X_EN: 1
; COMPUTE_PGM_RSRC2:TGID_Y_EN: 0
; COMPUTE_PGM_RSRC2:TGID_Z_EN: 0
; COMPUTE_PGM_RSRC2:TIDIG_COMP_CNT: 0
	.section	.text._ZN7rocprim17ROCPRIM_400000_NS6detail17trampoline_kernelINS0_13select_configILj256ELj13ELNS0_17block_load_methodE3ELS4_3ELS4_3ELNS0_20block_scan_algorithmE0ELj4294967295EEENS1_25partition_config_selectorILNS1_17partition_subalgoE4EjNS0_10empty_typeEbEEZZNS1_14partition_implILS8_4ELb0ES6_15HIP_vector_typeIjLj2EENS0_17counting_iteratorIjlEEPS9_SG_NS0_5tupleIJPjSI_NS0_16reverse_iteratorISI_EEEEENSH_IJSG_SG_SG_EEES9_SI_JZNS1_25segmented_radix_sort_implINS0_14default_configELb0EPKfPfPKlPlN2at6native12_GLOBAL__N_18offset_tEEE10hipError_tPvRmT1_PNSt15iterator_traitsIS12_E10value_typeET2_T3_PNS13_IS18_E10value_typeET4_jRbjT5_S1E_jjP12ihipStream_tbEUljE_ZNSN_ISO_Lb0ESQ_SR_ST_SU_SY_EESZ_S10_S11_S12_S16_S17_S18_S1B_S1C_jS1D_jS1E_S1E_jjS1G_bEUljE0_EEESZ_S10_S11_S18_S1C_S1E_T6_T7_T9_mT8_S1G_bDpT10_ENKUlT_T0_E_clISt17integral_constantIbLb1EES1U_EEDaS1P_S1Q_EUlS1P_E_NS1_11comp_targetILNS1_3genE4ELNS1_11target_archE910ELNS1_3gpuE8ELNS1_3repE0EEENS1_30default_config_static_selectorELNS0_4arch9wavefront6targetE0EEEvS12_,"axG",@progbits,_ZN7rocprim17ROCPRIM_400000_NS6detail17trampoline_kernelINS0_13select_configILj256ELj13ELNS0_17block_load_methodE3ELS4_3ELS4_3ELNS0_20block_scan_algorithmE0ELj4294967295EEENS1_25partition_config_selectorILNS1_17partition_subalgoE4EjNS0_10empty_typeEbEEZZNS1_14partition_implILS8_4ELb0ES6_15HIP_vector_typeIjLj2EENS0_17counting_iteratorIjlEEPS9_SG_NS0_5tupleIJPjSI_NS0_16reverse_iteratorISI_EEEEENSH_IJSG_SG_SG_EEES9_SI_JZNS1_25segmented_radix_sort_implINS0_14default_configELb0EPKfPfPKlPlN2at6native12_GLOBAL__N_18offset_tEEE10hipError_tPvRmT1_PNSt15iterator_traitsIS12_E10value_typeET2_T3_PNS13_IS18_E10value_typeET4_jRbjT5_S1E_jjP12ihipStream_tbEUljE_ZNSN_ISO_Lb0ESQ_SR_ST_SU_SY_EESZ_S10_S11_S12_S16_S17_S18_S1B_S1C_jS1D_jS1E_S1E_jjS1G_bEUljE0_EEESZ_S10_S11_S18_S1C_S1E_T6_T7_T9_mT8_S1G_bDpT10_ENKUlT_T0_E_clISt17integral_constantIbLb1EES1U_EEDaS1P_S1Q_EUlS1P_E_NS1_11comp_targetILNS1_3genE4ELNS1_11target_archE910ELNS1_3gpuE8ELNS1_3repE0EEENS1_30default_config_static_selectorELNS0_4arch9wavefront6targetE0EEEvS12_,comdat
	.globl	_ZN7rocprim17ROCPRIM_400000_NS6detail17trampoline_kernelINS0_13select_configILj256ELj13ELNS0_17block_load_methodE3ELS4_3ELS4_3ELNS0_20block_scan_algorithmE0ELj4294967295EEENS1_25partition_config_selectorILNS1_17partition_subalgoE4EjNS0_10empty_typeEbEEZZNS1_14partition_implILS8_4ELb0ES6_15HIP_vector_typeIjLj2EENS0_17counting_iteratorIjlEEPS9_SG_NS0_5tupleIJPjSI_NS0_16reverse_iteratorISI_EEEEENSH_IJSG_SG_SG_EEES9_SI_JZNS1_25segmented_radix_sort_implINS0_14default_configELb0EPKfPfPKlPlN2at6native12_GLOBAL__N_18offset_tEEE10hipError_tPvRmT1_PNSt15iterator_traitsIS12_E10value_typeET2_T3_PNS13_IS18_E10value_typeET4_jRbjT5_S1E_jjP12ihipStream_tbEUljE_ZNSN_ISO_Lb0ESQ_SR_ST_SU_SY_EESZ_S10_S11_S12_S16_S17_S18_S1B_S1C_jS1D_jS1E_S1E_jjS1G_bEUljE0_EEESZ_S10_S11_S18_S1C_S1E_T6_T7_T9_mT8_S1G_bDpT10_ENKUlT_T0_E_clISt17integral_constantIbLb1EES1U_EEDaS1P_S1Q_EUlS1P_E_NS1_11comp_targetILNS1_3genE4ELNS1_11target_archE910ELNS1_3gpuE8ELNS1_3repE0EEENS1_30default_config_static_selectorELNS0_4arch9wavefront6targetE0EEEvS12_ ; -- Begin function _ZN7rocprim17ROCPRIM_400000_NS6detail17trampoline_kernelINS0_13select_configILj256ELj13ELNS0_17block_load_methodE3ELS4_3ELS4_3ELNS0_20block_scan_algorithmE0ELj4294967295EEENS1_25partition_config_selectorILNS1_17partition_subalgoE4EjNS0_10empty_typeEbEEZZNS1_14partition_implILS8_4ELb0ES6_15HIP_vector_typeIjLj2EENS0_17counting_iteratorIjlEEPS9_SG_NS0_5tupleIJPjSI_NS0_16reverse_iteratorISI_EEEEENSH_IJSG_SG_SG_EEES9_SI_JZNS1_25segmented_radix_sort_implINS0_14default_configELb0EPKfPfPKlPlN2at6native12_GLOBAL__N_18offset_tEEE10hipError_tPvRmT1_PNSt15iterator_traitsIS12_E10value_typeET2_T3_PNS13_IS18_E10value_typeET4_jRbjT5_S1E_jjP12ihipStream_tbEUljE_ZNSN_ISO_Lb0ESQ_SR_ST_SU_SY_EESZ_S10_S11_S12_S16_S17_S18_S1B_S1C_jS1D_jS1E_S1E_jjS1G_bEUljE0_EEESZ_S10_S11_S18_S1C_S1E_T6_T7_T9_mT8_S1G_bDpT10_ENKUlT_T0_E_clISt17integral_constantIbLb1EES1U_EEDaS1P_S1Q_EUlS1P_E_NS1_11comp_targetILNS1_3genE4ELNS1_11target_archE910ELNS1_3gpuE8ELNS1_3repE0EEENS1_30default_config_static_selectorELNS0_4arch9wavefront6targetE0EEEvS12_
	.p2align	8
	.type	_ZN7rocprim17ROCPRIM_400000_NS6detail17trampoline_kernelINS0_13select_configILj256ELj13ELNS0_17block_load_methodE3ELS4_3ELS4_3ELNS0_20block_scan_algorithmE0ELj4294967295EEENS1_25partition_config_selectorILNS1_17partition_subalgoE4EjNS0_10empty_typeEbEEZZNS1_14partition_implILS8_4ELb0ES6_15HIP_vector_typeIjLj2EENS0_17counting_iteratorIjlEEPS9_SG_NS0_5tupleIJPjSI_NS0_16reverse_iteratorISI_EEEEENSH_IJSG_SG_SG_EEES9_SI_JZNS1_25segmented_radix_sort_implINS0_14default_configELb0EPKfPfPKlPlN2at6native12_GLOBAL__N_18offset_tEEE10hipError_tPvRmT1_PNSt15iterator_traitsIS12_E10value_typeET2_T3_PNS13_IS18_E10value_typeET4_jRbjT5_S1E_jjP12ihipStream_tbEUljE_ZNSN_ISO_Lb0ESQ_SR_ST_SU_SY_EESZ_S10_S11_S12_S16_S17_S18_S1B_S1C_jS1D_jS1E_S1E_jjS1G_bEUljE0_EEESZ_S10_S11_S18_S1C_S1E_T6_T7_T9_mT8_S1G_bDpT10_ENKUlT_T0_E_clISt17integral_constantIbLb1EES1U_EEDaS1P_S1Q_EUlS1P_E_NS1_11comp_targetILNS1_3genE4ELNS1_11target_archE910ELNS1_3gpuE8ELNS1_3repE0EEENS1_30default_config_static_selectorELNS0_4arch9wavefront6targetE0EEEvS12_,@function
_ZN7rocprim17ROCPRIM_400000_NS6detail17trampoline_kernelINS0_13select_configILj256ELj13ELNS0_17block_load_methodE3ELS4_3ELS4_3ELNS0_20block_scan_algorithmE0ELj4294967295EEENS1_25partition_config_selectorILNS1_17partition_subalgoE4EjNS0_10empty_typeEbEEZZNS1_14partition_implILS8_4ELb0ES6_15HIP_vector_typeIjLj2EENS0_17counting_iteratorIjlEEPS9_SG_NS0_5tupleIJPjSI_NS0_16reverse_iteratorISI_EEEEENSH_IJSG_SG_SG_EEES9_SI_JZNS1_25segmented_radix_sort_implINS0_14default_configELb0EPKfPfPKlPlN2at6native12_GLOBAL__N_18offset_tEEE10hipError_tPvRmT1_PNSt15iterator_traitsIS12_E10value_typeET2_T3_PNS13_IS18_E10value_typeET4_jRbjT5_S1E_jjP12ihipStream_tbEUljE_ZNSN_ISO_Lb0ESQ_SR_ST_SU_SY_EESZ_S10_S11_S12_S16_S17_S18_S1B_S1C_jS1D_jS1E_S1E_jjS1G_bEUljE0_EEESZ_S10_S11_S18_S1C_S1E_T6_T7_T9_mT8_S1G_bDpT10_ENKUlT_T0_E_clISt17integral_constantIbLb1EES1U_EEDaS1P_S1Q_EUlS1P_E_NS1_11comp_targetILNS1_3genE4ELNS1_11target_archE910ELNS1_3gpuE8ELNS1_3repE0EEENS1_30default_config_static_selectorELNS0_4arch9wavefront6targetE0EEEvS12_: ; @_ZN7rocprim17ROCPRIM_400000_NS6detail17trampoline_kernelINS0_13select_configILj256ELj13ELNS0_17block_load_methodE3ELS4_3ELS4_3ELNS0_20block_scan_algorithmE0ELj4294967295EEENS1_25partition_config_selectorILNS1_17partition_subalgoE4EjNS0_10empty_typeEbEEZZNS1_14partition_implILS8_4ELb0ES6_15HIP_vector_typeIjLj2EENS0_17counting_iteratorIjlEEPS9_SG_NS0_5tupleIJPjSI_NS0_16reverse_iteratorISI_EEEEENSH_IJSG_SG_SG_EEES9_SI_JZNS1_25segmented_radix_sort_implINS0_14default_configELb0EPKfPfPKlPlN2at6native12_GLOBAL__N_18offset_tEEE10hipError_tPvRmT1_PNSt15iterator_traitsIS12_E10value_typeET2_T3_PNS13_IS18_E10value_typeET4_jRbjT5_S1E_jjP12ihipStream_tbEUljE_ZNSN_ISO_Lb0ESQ_SR_ST_SU_SY_EESZ_S10_S11_S12_S16_S17_S18_S1B_S1C_jS1D_jS1E_S1E_jjS1G_bEUljE0_EEESZ_S10_S11_S18_S1C_S1E_T6_T7_T9_mT8_S1G_bDpT10_ENKUlT_T0_E_clISt17integral_constantIbLb1EES1U_EEDaS1P_S1Q_EUlS1P_E_NS1_11comp_targetILNS1_3genE4ELNS1_11target_archE910ELNS1_3gpuE8ELNS1_3repE0EEENS1_30default_config_static_selectorELNS0_4arch9wavefront6targetE0EEEvS12_
; %bb.0:
	.section	.rodata,"a",@progbits
	.p2align	6, 0x0
	.amdhsa_kernel _ZN7rocprim17ROCPRIM_400000_NS6detail17trampoline_kernelINS0_13select_configILj256ELj13ELNS0_17block_load_methodE3ELS4_3ELS4_3ELNS0_20block_scan_algorithmE0ELj4294967295EEENS1_25partition_config_selectorILNS1_17partition_subalgoE4EjNS0_10empty_typeEbEEZZNS1_14partition_implILS8_4ELb0ES6_15HIP_vector_typeIjLj2EENS0_17counting_iteratorIjlEEPS9_SG_NS0_5tupleIJPjSI_NS0_16reverse_iteratorISI_EEEEENSH_IJSG_SG_SG_EEES9_SI_JZNS1_25segmented_radix_sort_implINS0_14default_configELb0EPKfPfPKlPlN2at6native12_GLOBAL__N_18offset_tEEE10hipError_tPvRmT1_PNSt15iterator_traitsIS12_E10value_typeET2_T3_PNS13_IS18_E10value_typeET4_jRbjT5_S1E_jjP12ihipStream_tbEUljE_ZNSN_ISO_Lb0ESQ_SR_ST_SU_SY_EESZ_S10_S11_S12_S16_S17_S18_S1B_S1C_jS1D_jS1E_S1E_jjS1G_bEUljE0_EEESZ_S10_S11_S18_S1C_S1E_T6_T7_T9_mT8_S1G_bDpT10_ENKUlT_T0_E_clISt17integral_constantIbLb1EES1U_EEDaS1P_S1Q_EUlS1P_E_NS1_11comp_targetILNS1_3genE4ELNS1_11target_archE910ELNS1_3gpuE8ELNS1_3repE0EEENS1_30default_config_static_selectorELNS0_4arch9wavefront6targetE0EEEvS12_
		.amdhsa_group_segment_fixed_size 0
		.amdhsa_private_segment_fixed_size 0
		.amdhsa_kernarg_size 184
		.amdhsa_user_sgpr_count 15
		.amdhsa_user_sgpr_dispatch_ptr 0
		.amdhsa_user_sgpr_queue_ptr 0
		.amdhsa_user_sgpr_kernarg_segment_ptr 1
		.amdhsa_user_sgpr_dispatch_id 0
		.amdhsa_user_sgpr_private_segment_size 0
		.amdhsa_wavefront_size32 1
		.amdhsa_uses_dynamic_stack 0
		.amdhsa_enable_private_segment 0
		.amdhsa_system_sgpr_workgroup_id_x 1
		.amdhsa_system_sgpr_workgroup_id_y 0
		.amdhsa_system_sgpr_workgroup_id_z 0
		.amdhsa_system_sgpr_workgroup_info 0
		.amdhsa_system_vgpr_workitem_id 0
		.amdhsa_next_free_vgpr 1
		.amdhsa_next_free_sgpr 1
		.amdhsa_reserve_vcc 0
		.amdhsa_float_round_mode_32 0
		.amdhsa_float_round_mode_16_64 0
		.amdhsa_float_denorm_mode_32 3
		.amdhsa_float_denorm_mode_16_64 3
		.amdhsa_dx10_clamp 1
		.amdhsa_ieee_mode 1
		.amdhsa_fp16_overflow 0
		.amdhsa_workgroup_processor_mode 1
		.amdhsa_memory_ordered 1
		.amdhsa_forward_progress 0
		.amdhsa_shared_vgpr_count 0
		.amdhsa_exception_fp_ieee_invalid_op 0
		.amdhsa_exception_fp_denorm_src 0
		.amdhsa_exception_fp_ieee_div_zero 0
		.amdhsa_exception_fp_ieee_overflow 0
		.amdhsa_exception_fp_ieee_underflow 0
		.amdhsa_exception_fp_ieee_inexact 0
		.amdhsa_exception_int_div_zero 0
	.end_amdhsa_kernel
	.section	.text._ZN7rocprim17ROCPRIM_400000_NS6detail17trampoline_kernelINS0_13select_configILj256ELj13ELNS0_17block_load_methodE3ELS4_3ELS4_3ELNS0_20block_scan_algorithmE0ELj4294967295EEENS1_25partition_config_selectorILNS1_17partition_subalgoE4EjNS0_10empty_typeEbEEZZNS1_14partition_implILS8_4ELb0ES6_15HIP_vector_typeIjLj2EENS0_17counting_iteratorIjlEEPS9_SG_NS0_5tupleIJPjSI_NS0_16reverse_iteratorISI_EEEEENSH_IJSG_SG_SG_EEES9_SI_JZNS1_25segmented_radix_sort_implINS0_14default_configELb0EPKfPfPKlPlN2at6native12_GLOBAL__N_18offset_tEEE10hipError_tPvRmT1_PNSt15iterator_traitsIS12_E10value_typeET2_T3_PNS13_IS18_E10value_typeET4_jRbjT5_S1E_jjP12ihipStream_tbEUljE_ZNSN_ISO_Lb0ESQ_SR_ST_SU_SY_EESZ_S10_S11_S12_S16_S17_S18_S1B_S1C_jS1D_jS1E_S1E_jjS1G_bEUljE0_EEESZ_S10_S11_S18_S1C_S1E_T6_T7_T9_mT8_S1G_bDpT10_ENKUlT_T0_E_clISt17integral_constantIbLb1EES1U_EEDaS1P_S1Q_EUlS1P_E_NS1_11comp_targetILNS1_3genE4ELNS1_11target_archE910ELNS1_3gpuE8ELNS1_3repE0EEENS1_30default_config_static_selectorELNS0_4arch9wavefront6targetE0EEEvS12_,"axG",@progbits,_ZN7rocprim17ROCPRIM_400000_NS6detail17trampoline_kernelINS0_13select_configILj256ELj13ELNS0_17block_load_methodE3ELS4_3ELS4_3ELNS0_20block_scan_algorithmE0ELj4294967295EEENS1_25partition_config_selectorILNS1_17partition_subalgoE4EjNS0_10empty_typeEbEEZZNS1_14partition_implILS8_4ELb0ES6_15HIP_vector_typeIjLj2EENS0_17counting_iteratorIjlEEPS9_SG_NS0_5tupleIJPjSI_NS0_16reverse_iteratorISI_EEEEENSH_IJSG_SG_SG_EEES9_SI_JZNS1_25segmented_radix_sort_implINS0_14default_configELb0EPKfPfPKlPlN2at6native12_GLOBAL__N_18offset_tEEE10hipError_tPvRmT1_PNSt15iterator_traitsIS12_E10value_typeET2_T3_PNS13_IS18_E10value_typeET4_jRbjT5_S1E_jjP12ihipStream_tbEUljE_ZNSN_ISO_Lb0ESQ_SR_ST_SU_SY_EESZ_S10_S11_S12_S16_S17_S18_S1B_S1C_jS1D_jS1E_S1E_jjS1G_bEUljE0_EEESZ_S10_S11_S18_S1C_S1E_T6_T7_T9_mT8_S1G_bDpT10_ENKUlT_T0_E_clISt17integral_constantIbLb1EES1U_EEDaS1P_S1Q_EUlS1P_E_NS1_11comp_targetILNS1_3genE4ELNS1_11target_archE910ELNS1_3gpuE8ELNS1_3repE0EEENS1_30default_config_static_selectorELNS0_4arch9wavefront6targetE0EEEvS12_,comdat
.Lfunc_end1374:
	.size	_ZN7rocprim17ROCPRIM_400000_NS6detail17trampoline_kernelINS0_13select_configILj256ELj13ELNS0_17block_load_methodE3ELS4_3ELS4_3ELNS0_20block_scan_algorithmE0ELj4294967295EEENS1_25partition_config_selectorILNS1_17partition_subalgoE4EjNS0_10empty_typeEbEEZZNS1_14partition_implILS8_4ELb0ES6_15HIP_vector_typeIjLj2EENS0_17counting_iteratorIjlEEPS9_SG_NS0_5tupleIJPjSI_NS0_16reverse_iteratorISI_EEEEENSH_IJSG_SG_SG_EEES9_SI_JZNS1_25segmented_radix_sort_implINS0_14default_configELb0EPKfPfPKlPlN2at6native12_GLOBAL__N_18offset_tEEE10hipError_tPvRmT1_PNSt15iterator_traitsIS12_E10value_typeET2_T3_PNS13_IS18_E10value_typeET4_jRbjT5_S1E_jjP12ihipStream_tbEUljE_ZNSN_ISO_Lb0ESQ_SR_ST_SU_SY_EESZ_S10_S11_S12_S16_S17_S18_S1B_S1C_jS1D_jS1E_S1E_jjS1G_bEUljE0_EEESZ_S10_S11_S18_S1C_S1E_T6_T7_T9_mT8_S1G_bDpT10_ENKUlT_T0_E_clISt17integral_constantIbLb1EES1U_EEDaS1P_S1Q_EUlS1P_E_NS1_11comp_targetILNS1_3genE4ELNS1_11target_archE910ELNS1_3gpuE8ELNS1_3repE0EEENS1_30default_config_static_selectorELNS0_4arch9wavefront6targetE0EEEvS12_, .Lfunc_end1374-_ZN7rocprim17ROCPRIM_400000_NS6detail17trampoline_kernelINS0_13select_configILj256ELj13ELNS0_17block_load_methodE3ELS4_3ELS4_3ELNS0_20block_scan_algorithmE0ELj4294967295EEENS1_25partition_config_selectorILNS1_17partition_subalgoE4EjNS0_10empty_typeEbEEZZNS1_14partition_implILS8_4ELb0ES6_15HIP_vector_typeIjLj2EENS0_17counting_iteratorIjlEEPS9_SG_NS0_5tupleIJPjSI_NS0_16reverse_iteratorISI_EEEEENSH_IJSG_SG_SG_EEES9_SI_JZNS1_25segmented_radix_sort_implINS0_14default_configELb0EPKfPfPKlPlN2at6native12_GLOBAL__N_18offset_tEEE10hipError_tPvRmT1_PNSt15iterator_traitsIS12_E10value_typeET2_T3_PNS13_IS18_E10value_typeET4_jRbjT5_S1E_jjP12ihipStream_tbEUljE_ZNSN_ISO_Lb0ESQ_SR_ST_SU_SY_EESZ_S10_S11_S12_S16_S17_S18_S1B_S1C_jS1D_jS1E_S1E_jjS1G_bEUljE0_EEESZ_S10_S11_S18_S1C_S1E_T6_T7_T9_mT8_S1G_bDpT10_ENKUlT_T0_E_clISt17integral_constantIbLb1EES1U_EEDaS1P_S1Q_EUlS1P_E_NS1_11comp_targetILNS1_3genE4ELNS1_11target_archE910ELNS1_3gpuE8ELNS1_3repE0EEENS1_30default_config_static_selectorELNS0_4arch9wavefront6targetE0EEEvS12_
                                        ; -- End function
	.section	.AMDGPU.csdata,"",@progbits
; Kernel info:
; codeLenInByte = 0
; NumSgprs: 0
; NumVgprs: 0
; ScratchSize: 0
; MemoryBound: 0
; FloatMode: 240
; IeeeMode: 1
; LDSByteSize: 0 bytes/workgroup (compile time only)
; SGPRBlocks: 0
; VGPRBlocks: 0
; NumSGPRsForWavesPerEU: 1
; NumVGPRsForWavesPerEU: 1
; Occupancy: 16
; WaveLimiterHint : 0
; COMPUTE_PGM_RSRC2:SCRATCH_EN: 0
; COMPUTE_PGM_RSRC2:USER_SGPR: 15
; COMPUTE_PGM_RSRC2:TRAP_HANDLER: 0
; COMPUTE_PGM_RSRC2:TGID_X_EN: 1
; COMPUTE_PGM_RSRC2:TGID_Y_EN: 0
; COMPUTE_PGM_RSRC2:TGID_Z_EN: 0
; COMPUTE_PGM_RSRC2:TIDIG_COMP_CNT: 0
	.section	.text._ZN7rocprim17ROCPRIM_400000_NS6detail17trampoline_kernelINS0_13select_configILj256ELj13ELNS0_17block_load_methodE3ELS4_3ELS4_3ELNS0_20block_scan_algorithmE0ELj4294967295EEENS1_25partition_config_selectorILNS1_17partition_subalgoE4EjNS0_10empty_typeEbEEZZNS1_14partition_implILS8_4ELb0ES6_15HIP_vector_typeIjLj2EENS0_17counting_iteratorIjlEEPS9_SG_NS0_5tupleIJPjSI_NS0_16reverse_iteratorISI_EEEEENSH_IJSG_SG_SG_EEES9_SI_JZNS1_25segmented_radix_sort_implINS0_14default_configELb0EPKfPfPKlPlN2at6native12_GLOBAL__N_18offset_tEEE10hipError_tPvRmT1_PNSt15iterator_traitsIS12_E10value_typeET2_T3_PNS13_IS18_E10value_typeET4_jRbjT5_S1E_jjP12ihipStream_tbEUljE_ZNSN_ISO_Lb0ESQ_SR_ST_SU_SY_EESZ_S10_S11_S12_S16_S17_S18_S1B_S1C_jS1D_jS1E_S1E_jjS1G_bEUljE0_EEESZ_S10_S11_S18_S1C_S1E_T6_T7_T9_mT8_S1G_bDpT10_ENKUlT_T0_E_clISt17integral_constantIbLb1EES1U_EEDaS1P_S1Q_EUlS1P_E_NS1_11comp_targetILNS1_3genE3ELNS1_11target_archE908ELNS1_3gpuE7ELNS1_3repE0EEENS1_30default_config_static_selectorELNS0_4arch9wavefront6targetE0EEEvS12_,"axG",@progbits,_ZN7rocprim17ROCPRIM_400000_NS6detail17trampoline_kernelINS0_13select_configILj256ELj13ELNS0_17block_load_methodE3ELS4_3ELS4_3ELNS0_20block_scan_algorithmE0ELj4294967295EEENS1_25partition_config_selectorILNS1_17partition_subalgoE4EjNS0_10empty_typeEbEEZZNS1_14partition_implILS8_4ELb0ES6_15HIP_vector_typeIjLj2EENS0_17counting_iteratorIjlEEPS9_SG_NS0_5tupleIJPjSI_NS0_16reverse_iteratorISI_EEEEENSH_IJSG_SG_SG_EEES9_SI_JZNS1_25segmented_radix_sort_implINS0_14default_configELb0EPKfPfPKlPlN2at6native12_GLOBAL__N_18offset_tEEE10hipError_tPvRmT1_PNSt15iterator_traitsIS12_E10value_typeET2_T3_PNS13_IS18_E10value_typeET4_jRbjT5_S1E_jjP12ihipStream_tbEUljE_ZNSN_ISO_Lb0ESQ_SR_ST_SU_SY_EESZ_S10_S11_S12_S16_S17_S18_S1B_S1C_jS1D_jS1E_S1E_jjS1G_bEUljE0_EEESZ_S10_S11_S18_S1C_S1E_T6_T7_T9_mT8_S1G_bDpT10_ENKUlT_T0_E_clISt17integral_constantIbLb1EES1U_EEDaS1P_S1Q_EUlS1P_E_NS1_11comp_targetILNS1_3genE3ELNS1_11target_archE908ELNS1_3gpuE7ELNS1_3repE0EEENS1_30default_config_static_selectorELNS0_4arch9wavefront6targetE0EEEvS12_,comdat
	.globl	_ZN7rocprim17ROCPRIM_400000_NS6detail17trampoline_kernelINS0_13select_configILj256ELj13ELNS0_17block_load_methodE3ELS4_3ELS4_3ELNS0_20block_scan_algorithmE0ELj4294967295EEENS1_25partition_config_selectorILNS1_17partition_subalgoE4EjNS0_10empty_typeEbEEZZNS1_14partition_implILS8_4ELb0ES6_15HIP_vector_typeIjLj2EENS0_17counting_iteratorIjlEEPS9_SG_NS0_5tupleIJPjSI_NS0_16reverse_iteratorISI_EEEEENSH_IJSG_SG_SG_EEES9_SI_JZNS1_25segmented_radix_sort_implINS0_14default_configELb0EPKfPfPKlPlN2at6native12_GLOBAL__N_18offset_tEEE10hipError_tPvRmT1_PNSt15iterator_traitsIS12_E10value_typeET2_T3_PNS13_IS18_E10value_typeET4_jRbjT5_S1E_jjP12ihipStream_tbEUljE_ZNSN_ISO_Lb0ESQ_SR_ST_SU_SY_EESZ_S10_S11_S12_S16_S17_S18_S1B_S1C_jS1D_jS1E_S1E_jjS1G_bEUljE0_EEESZ_S10_S11_S18_S1C_S1E_T6_T7_T9_mT8_S1G_bDpT10_ENKUlT_T0_E_clISt17integral_constantIbLb1EES1U_EEDaS1P_S1Q_EUlS1P_E_NS1_11comp_targetILNS1_3genE3ELNS1_11target_archE908ELNS1_3gpuE7ELNS1_3repE0EEENS1_30default_config_static_selectorELNS0_4arch9wavefront6targetE0EEEvS12_ ; -- Begin function _ZN7rocprim17ROCPRIM_400000_NS6detail17trampoline_kernelINS0_13select_configILj256ELj13ELNS0_17block_load_methodE3ELS4_3ELS4_3ELNS0_20block_scan_algorithmE0ELj4294967295EEENS1_25partition_config_selectorILNS1_17partition_subalgoE4EjNS0_10empty_typeEbEEZZNS1_14partition_implILS8_4ELb0ES6_15HIP_vector_typeIjLj2EENS0_17counting_iteratorIjlEEPS9_SG_NS0_5tupleIJPjSI_NS0_16reverse_iteratorISI_EEEEENSH_IJSG_SG_SG_EEES9_SI_JZNS1_25segmented_radix_sort_implINS0_14default_configELb0EPKfPfPKlPlN2at6native12_GLOBAL__N_18offset_tEEE10hipError_tPvRmT1_PNSt15iterator_traitsIS12_E10value_typeET2_T3_PNS13_IS18_E10value_typeET4_jRbjT5_S1E_jjP12ihipStream_tbEUljE_ZNSN_ISO_Lb0ESQ_SR_ST_SU_SY_EESZ_S10_S11_S12_S16_S17_S18_S1B_S1C_jS1D_jS1E_S1E_jjS1G_bEUljE0_EEESZ_S10_S11_S18_S1C_S1E_T6_T7_T9_mT8_S1G_bDpT10_ENKUlT_T0_E_clISt17integral_constantIbLb1EES1U_EEDaS1P_S1Q_EUlS1P_E_NS1_11comp_targetILNS1_3genE3ELNS1_11target_archE908ELNS1_3gpuE7ELNS1_3repE0EEENS1_30default_config_static_selectorELNS0_4arch9wavefront6targetE0EEEvS12_
	.p2align	8
	.type	_ZN7rocprim17ROCPRIM_400000_NS6detail17trampoline_kernelINS0_13select_configILj256ELj13ELNS0_17block_load_methodE3ELS4_3ELS4_3ELNS0_20block_scan_algorithmE0ELj4294967295EEENS1_25partition_config_selectorILNS1_17partition_subalgoE4EjNS0_10empty_typeEbEEZZNS1_14partition_implILS8_4ELb0ES6_15HIP_vector_typeIjLj2EENS0_17counting_iteratorIjlEEPS9_SG_NS0_5tupleIJPjSI_NS0_16reverse_iteratorISI_EEEEENSH_IJSG_SG_SG_EEES9_SI_JZNS1_25segmented_radix_sort_implINS0_14default_configELb0EPKfPfPKlPlN2at6native12_GLOBAL__N_18offset_tEEE10hipError_tPvRmT1_PNSt15iterator_traitsIS12_E10value_typeET2_T3_PNS13_IS18_E10value_typeET4_jRbjT5_S1E_jjP12ihipStream_tbEUljE_ZNSN_ISO_Lb0ESQ_SR_ST_SU_SY_EESZ_S10_S11_S12_S16_S17_S18_S1B_S1C_jS1D_jS1E_S1E_jjS1G_bEUljE0_EEESZ_S10_S11_S18_S1C_S1E_T6_T7_T9_mT8_S1G_bDpT10_ENKUlT_T0_E_clISt17integral_constantIbLb1EES1U_EEDaS1P_S1Q_EUlS1P_E_NS1_11comp_targetILNS1_3genE3ELNS1_11target_archE908ELNS1_3gpuE7ELNS1_3repE0EEENS1_30default_config_static_selectorELNS0_4arch9wavefront6targetE0EEEvS12_,@function
_ZN7rocprim17ROCPRIM_400000_NS6detail17trampoline_kernelINS0_13select_configILj256ELj13ELNS0_17block_load_methodE3ELS4_3ELS4_3ELNS0_20block_scan_algorithmE0ELj4294967295EEENS1_25partition_config_selectorILNS1_17partition_subalgoE4EjNS0_10empty_typeEbEEZZNS1_14partition_implILS8_4ELb0ES6_15HIP_vector_typeIjLj2EENS0_17counting_iteratorIjlEEPS9_SG_NS0_5tupleIJPjSI_NS0_16reverse_iteratorISI_EEEEENSH_IJSG_SG_SG_EEES9_SI_JZNS1_25segmented_radix_sort_implINS0_14default_configELb0EPKfPfPKlPlN2at6native12_GLOBAL__N_18offset_tEEE10hipError_tPvRmT1_PNSt15iterator_traitsIS12_E10value_typeET2_T3_PNS13_IS18_E10value_typeET4_jRbjT5_S1E_jjP12ihipStream_tbEUljE_ZNSN_ISO_Lb0ESQ_SR_ST_SU_SY_EESZ_S10_S11_S12_S16_S17_S18_S1B_S1C_jS1D_jS1E_S1E_jjS1G_bEUljE0_EEESZ_S10_S11_S18_S1C_S1E_T6_T7_T9_mT8_S1G_bDpT10_ENKUlT_T0_E_clISt17integral_constantIbLb1EES1U_EEDaS1P_S1Q_EUlS1P_E_NS1_11comp_targetILNS1_3genE3ELNS1_11target_archE908ELNS1_3gpuE7ELNS1_3repE0EEENS1_30default_config_static_selectorELNS0_4arch9wavefront6targetE0EEEvS12_: ; @_ZN7rocprim17ROCPRIM_400000_NS6detail17trampoline_kernelINS0_13select_configILj256ELj13ELNS0_17block_load_methodE3ELS4_3ELS4_3ELNS0_20block_scan_algorithmE0ELj4294967295EEENS1_25partition_config_selectorILNS1_17partition_subalgoE4EjNS0_10empty_typeEbEEZZNS1_14partition_implILS8_4ELb0ES6_15HIP_vector_typeIjLj2EENS0_17counting_iteratorIjlEEPS9_SG_NS0_5tupleIJPjSI_NS0_16reverse_iteratorISI_EEEEENSH_IJSG_SG_SG_EEES9_SI_JZNS1_25segmented_radix_sort_implINS0_14default_configELb0EPKfPfPKlPlN2at6native12_GLOBAL__N_18offset_tEEE10hipError_tPvRmT1_PNSt15iterator_traitsIS12_E10value_typeET2_T3_PNS13_IS18_E10value_typeET4_jRbjT5_S1E_jjP12ihipStream_tbEUljE_ZNSN_ISO_Lb0ESQ_SR_ST_SU_SY_EESZ_S10_S11_S12_S16_S17_S18_S1B_S1C_jS1D_jS1E_S1E_jjS1G_bEUljE0_EEESZ_S10_S11_S18_S1C_S1E_T6_T7_T9_mT8_S1G_bDpT10_ENKUlT_T0_E_clISt17integral_constantIbLb1EES1U_EEDaS1P_S1Q_EUlS1P_E_NS1_11comp_targetILNS1_3genE3ELNS1_11target_archE908ELNS1_3gpuE7ELNS1_3repE0EEENS1_30default_config_static_selectorELNS0_4arch9wavefront6targetE0EEEvS12_
; %bb.0:
	.section	.rodata,"a",@progbits
	.p2align	6, 0x0
	.amdhsa_kernel _ZN7rocprim17ROCPRIM_400000_NS6detail17trampoline_kernelINS0_13select_configILj256ELj13ELNS0_17block_load_methodE3ELS4_3ELS4_3ELNS0_20block_scan_algorithmE0ELj4294967295EEENS1_25partition_config_selectorILNS1_17partition_subalgoE4EjNS0_10empty_typeEbEEZZNS1_14partition_implILS8_4ELb0ES6_15HIP_vector_typeIjLj2EENS0_17counting_iteratorIjlEEPS9_SG_NS0_5tupleIJPjSI_NS0_16reverse_iteratorISI_EEEEENSH_IJSG_SG_SG_EEES9_SI_JZNS1_25segmented_radix_sort_implINS0_14default_configELb0EPKfPfPKlPlN2at6native12_GLOBAL__N_18offset_tEEE10hipError_tPvRmT1_PNSt15iterator_traitsIS12_E10value_typeET2_T3_PNS13_IS18_E10value_typeET4_jRbjT5_S1E_jjP12ihipStream_tbEUljE_ZNSN_ISO_Lb0ESQ_SR_ST_SU_SY_EESZ_S10_S11_S12_S16_S17_S18_S1B_S1C_jS1D_jS1E_S1E_jjS1G_bEUljE0_EEESZ_S10_S11_S18_S1C_S1E_T6_T7_T9_mT8_S1G_bDpT10_ENKUlT_T0_E_clISt17integral_constantIbLb1EES1U_EEDaS1P_S1Q_EUlS1P_E_NS1_11comp_targetILNS1_3genE3ELNS1_11target_archE908ELNS1_3gpuE7ELNS1_3repE0EEENS1_30default_config_static_selectorELNS0_4arch9wavefront6targetE0EEEvS12_
		.amdhsa_group_segment_fixed_size 0
		.amdhsa_private_segment_fixed_size 0
		.amdhsa_kernarg_size 184
		.amdhsa_user_sgpr_count 15
		.amdhsa_user_sgpr_dispatch_ptr 0
		.amdhsa_user_sgpr_queue_ptr 0
		.amdhsa_user_sgpr_kernarg_segment_ptr 1
		.amdhsa_user_sgpr_dispatch_id 0
		.amdhsa_user_sgpr_private_segment_size 0
		.amdhsa_wavefront_size32 1
		.amdhsa_uses_dynamic_stack 0
		.amdhsa_enable_private_segment 0
		.amdhsa_system_sgpr_workgroup_id_x 1
		.amdhsa_system_sgpr_workgroup_id_y 0
		.amdhsa_system_sgpr_workgroup_id_z 0
		.amdhsa_system_sgpr_workgroup_info 0
		.amdhsa_system_vgpr_workitem_id 0
		.amdhsa_next_free_vgpr 1
		.amdhsa_next_free_sgpr 1
		.amdhsa_reserve_vcc 0
		.amdhsa_float_round_mode_32 0
		.amdhsa_float_round_mode_16_64 0
		.amdhsa_float_denorm_mode_32 3
		.amdhsa_float_denorm_mode_16_64 3
		.amdhsa_dx10_clamp 1
		.amdhsa_ieee_mode 1
		.amdhsa_fp16_overflow 0
		.amdhsa_workgroup_processor_mode 1
		.amdhsa_memory_ordered 1
		.amdhsa_forward_progress 0
		.amdhsa_shared_vgpr_count 0
		.amdhsa_exception_fp_ieee_invalid_op 0
		.amdhsa_exception_fp_denorm_src 0
		.amdhsa_exception_fp_ieee_div_zero 0
		.amdhsa_exception_fp_ieee_overflow 0
		.amdhsa_exception_fp_ieee_underflow 0
		.amdhsa_exception_fp_ieee_inexact 0
		.amdhsa_exception_int_div_zero 0
	.end_amdhsa_kernel
	.section	.text._ZN7rocprim17ROCPRIM_400000_NS6detail17trampoline_kernelINS0_13select_configILj256ELj13ELNS0_17block_load_methodE3ELS4_3ELS4_3ELNS0_20block_scan_algorithmE0ELj4294967295EEENS1_25partition_config_selectorILNS1_17partition_subalgoE4EjNS0_10empty_typeEbEEZZNS1_14partition_implILS8_4ELb0ES6_15HIP_vector_typeIjLj2EENS0_17counting_iteratorIjlEEPS9_SG_NS0_5tupleIJPjSI_NS0_16reverse_iteratorISI_EEEEENSH_IJSG_SG_SG_EEES9_SI_JZNS1_25segmented_radix_sort_implINS0_14default_configELb0EPKfPfPKlPlN2at6native12_GLOBAL__N_18offset_tEEE10hipError_tPvRmT1_PNSt15iterator_traitsIS12_E10value_typeET2_T3_PNS13_IS18_E10value_typeET4_jRbjT5_S1E_jjP12ihipStream_tbEUljE_ZNSN_ISO_Lb0ESQ_SR_ST_SU_SY_EESZ_S10_S11_S12_S16_S17_S18_S1B_S1C_jS1D_jS1E_S1E_jjS1G_bEUljE0_EEESZ_S10_S11_S18_S1C_S1E_T6_T7_T9_mT8_S1G_bDpT10_ENKUlT_T0_E_clISt17integral_constantIbLb1EES1U_EEDaS1P_S1Q_EUlS1P_E_NS1_11comp_targetILNS1_3genE3ELNS1_11target_archE908ELNS1_3gpuE7ELNS1_3repE0EEENS1_30default_config_static_selectorELNS0_4arch9wavefront6targetE0EEEvS12_,"axG",@progbits,_ZN7rocprim17ROCPRIM_400000_NS6detail17trampoline_kernelINS0_13select_configILj256ELj13ELNS0_17block_load_methodE3ELS4_3ELS4_3ELNS0_20block_scan_algorithmE0ELj4294967295EEENS1_25partition_config_selectorILNS1_17partition_subalgoE4EjNS0_10empty_typeEbEEZZNS1_14partition_implILS8_4ELb0ES6_15HIP_vector_typeIjLj2EENS0_17counting_iteratorIjlEEPS9_SG_NS0_5tupleIJPjSI_NS0_16reverse_iteratorISI_EEEEENSH_IJSG_SG_SG_EEES9_SI_JZNS1_25segmented_radix_sort_implINS0_14default_configELb0EPKfPfPKlPlN2at6native12_GLOBAL__N_18offset_tEEE10hipError_tPvRmT1_PNSt15iterator_traitsIS12_E10value_typeET2_T3_PNS13_IS18_E10value_typeET4_jRbjT5_S1E_jjP12ihipStream_tbEUljE_ZNSN_ISO_Lb0ESQ_SR_ST_SU_SY_EESZ_S10_S11_S12_S16_S17_S18_S1B_S1C_jS1D_jS1E_S1E_jjS1G_bEUljE0_EEESZ_S10_S11_S18_S1C_S1E_T6_T7_T9_mT8_S1G_bDpT10_ENKUlT_T0_E_clISt17integral_constantIbLb1EES1U_EEDaS1P_S1Q_EUlS1P_E_NS1_11comp_targetILNS1_3genE3ELNS1_11target_archE908ELNS1_3gpuE7ELNS1_3repE0EEENS1_30default_config_static_selectorELNS0_4arch9wavefront6targetE0EEEvS12_,comdat
.Lfunc_end1375:
	.size	_ZN7rocprim17ROCPRIM_400000_NS6detail17trampoline_kernelINS0_13select_configILj256ELj13ELNS0_17block_load_methodE3ELS4_3ELS4_3ELNS0_20block_scan_algorithmE0ELj4294967295EEENS1_25partition_config_selectorILNS1_17partition_subalgoE4EjNS0_10empty_typeEbEEZZNS1_14partition_implILS8_4ELb0ES6_15HIP_vector_typeIjLj2EENS0_17counting_iteratorIjlEEPS9_SG_NS0_5tupleIJPjSI_NS0_16reverse_iteratorISI_EEEEENSH_IJSG_SG_SG_EEES9_SI_JZNS1_25segmented_radix_sort_implINS0_14default_configELb0EPKfPfPKlPlN2at6native12_GLOBAL__N_18offset_tEEE10hipError_tPvRmT1_PNSt15iterator_traitsIS12_E10value_typeET2_T3_PNS13_IS18_E10value_typeET4_jRbjT5_S1E_jjP12ihipStream_tbEUljE_ZNSN_ISO_Lb0ESQ_SR_ST_SU_SY_EESZ_S10_S11_S12_S16_S17_S18_S1B_S1C_jS1D_jS1E_S1E_jjS1G_bEUljE0_EEESZ_S10_S11_S18_S1C_S1E_T6_T7_T9_mT8_S1G_bDpT10_ENKUlT_T0_E_clISt17integral_constantIbLb1EES1U_EEDaS1P_S1Q_EUlS1P_E_NS1_11comp_targetILNS1_3genE3ELNS1_11target_archE908ELNS1_3gpuE7ELNS1_3repE0EEENS1_30default_config_static_selectorELNS0_4arch9wavefront6targetE0EEEvS12_, .Lfunc_end1375-_ZN7rocprim17ROCPRIM_400000_NS6detail17trampoline_kernelINS0_13select_configILj256ELj13ELNS0_17block_load_methodE3ELS4_3ELS4_3ELNS0_20block_scan_algorithmE0ELj4294967295EEENS1_25partition_config_selectorILNS1_17partition_subalgoE4EjNS0_10empty_typeEbEEZZNS1_14partition_implILS8_4ELb0ES6_15HIP_vector_typeIjLj2EENS0_17counting_iteratorIjlEEPS9_SG_NS0_5tupleIJPjSI_NS0_16reverse_iteratorISI_EEEEENSH_IJSG_SG_SG_EEES9_SI_JZNS1_25segmented_radix_sort_implINS0_14default_configELb0EPKfPfPKlPlN2at6native12_GLOBAL__N_18offset_tEEE10hipError_tPvRmT1_PNSt15iterator_traitsIS12_E10value_typeET2_T3_PNS13_IS18_E10value_typeET4_jRbjT5_S1E_jjP12ihipStream_tbEUljE_ZNSN_ISO_Lb0ESQ_SR_ST_SU_SY_EESZ_S10_S11_S12_S16_S17_S18_S1B_S1C_jS1D_jS1E_S1E_jjS1G_bEUljE0_EEESZ_S10_S11_S18_S1C_S1E_T6_T7_T9_mT8_S1G_bDpT10_ENKUlT_T0_E_clISt17integral_constantIbLb1EES1U_EEDaS1P_S1Q_EUlS1P_E_NS1_11comp_targetILNS1_3genE3ELNS1_11target_archE908ELNS1_3gpuE7ELNS1_3repE0EEENS1_30default_config_static_selectorELNS0_4arch9wavefront6targetE0EEEvS12_
                                        ; -- End function
	.section	.AMDGPU.csdata,"",@progbits
; Kernel info:
; codeLenInByte = 0
; NumSgprs: 0
; NumVgprs: 0
; ScratchSize: 0
; MemoryBound: 0
; FloatMode: 240
; IeeeMode: 1
; LDSByteSize: 0 bytes/workgroup (compile time only)
; SGPRBlocks: 0
; VGPRBlocks: 0
; NumSGPRsForWavesPerEU: 1
; NumVGPRsForWavesPerEU: 1
; Occupancy: 16
; WaveLimiterHint : 0
; COMPUTE_PGM_RSRC2:SCRATCH_EN: 0
; COMPUTE_PGM_RSRC2:USER_SGPR: 15
; COMPUTE_PGM_RSRC2:TRAP_HANDLER: 0
; COMPUTE_PGM_RSRC2:TGID_X_EN: 1
; COMPUTE_PGM_RSRC2:TGID_Y_EN: 0
; COMPUTE_PGM_RSRC2:TGID_Z_EN: 0
; COMPUTE_PGM_RSRC2:TIDIG_COMP_CNT: 0
	.section	.text._ZN7rocprim17ROCPRIM_400000_NS6detail17trampoline_kernelINS0_13select_configILj256ELj13ELNS0_17block_load_methodE3ELS4_3ELS4_3ELNS0_20block_scan_algorithmE0ELj4294967295EEENS1_25partition_config_selectorILNS1_17partition_subalgoE4EjNS0_10empty_typeEbEEZZNS1_14partition_implILS8_4ELb0ES6_15HIP_vector_typeIjLj2EENS0_17counting_iteratorIjlEEPS9_SG_NS0_5tupleIJPjSI_NS0_16reverse_iteratorISI_EEEEENSH_IJSG_SG_SG_EEES9_SI_JZNS1_25segmented_radix_sort_implINS0_14default_configELb0EPKfPfPKlPlN2at6native12_GLOBAL__N_18offset_tEEE10hipError_tPvRmT1_PNSt15iterator_traitsIS12_E10value_typeET2_T3_PNS13_IS18_E10value_typeET4_jRbjT5_S1E_jjP12ihipStream_tbEUljE_ZNSN_ISO_Lb0ESQ_SR_ST_SU_SY_EESZ_S10_S11_S12_S16_S17_S18_S1B_S1C_jS1D_jS1E_S1E_jjS1G_bEUljE0_EEESZ_S10_S11_S18_S1C_S1E_T6_T7_T9_mT8_S1G_bDpT10_ENKUlT_T0_E_clISt17integral_constantIbLb1EES1U_EEDaS1P_S1Q_EUlS1P_E_NS1_11comp_targetILNS1_3genE2ELNS1_11target_archE906ELNS1_3gpuE6ELNS1_3repE0EEENS1_30default_config_static_selectorELNS0_4arch9wavefront6targetE0EEEvS12_,"axG",@progbits,_ZN7rocprim17ROCPRIM_400000_NS6detail17trampoline_kernelINS0_13select_configILj256ELj13ELNS0_17block_load_methodE3ELS4_3ELS4_3ELNS0_20block_scan_algorithmE0ELj4294967295EEENS1_25partition_config_selectorILNS1_17partition_subalgoE4EjNS0_10empty_typeEbEEZZNS1_14partition_implILS8_4ELb0ES6_15HIP_vector_typeIjLj2EENS0_17counting_iteratorIjlEEPS9_SG_NS0_5tupleIJPjSI_NS0_16reverse_iteratorISI_EEEEENSH_IJSG_SG_SG_EEES9_SI_JZNS1_25segmented_radix_sort_implINS0_14default_configELb0EPKfPfPKlPlN2at6native12_GLOBAL__N_18offset_tEEE10hipError_tPvRmT1_PNSt15iterator_traitsIS12_E10value_typeET2_T3_PNS13_IS18_E10value_typeET4_jRbjT5_S1E_jjP12ihipStream_tbEUljE_ZNSN_ISO_Lb0ESQ_SR_ST_SU_SY_EESZ_S10_S11_S12_S16_S17_S18_S1B_S1C_jS1D_jS1E_S1E_jjS1G_bEUljE0_EEESZ_S10_S11_S18_S1C_S1E_T6_T7_T9_mT8_S1G_bDpT10_ENKUlT_T0_E_clISt17integral_constantIbLb1EES1U_EEDaS1P_S1Q_EUlS1P_E_NS1_11comp_targetILNS1_3genE2ELNS1_11target_archE906ELNS1_3gpuE6ELNS1_3repE0EEENS1_30default_config_static_selectorELNS0_4arch9wavefront6targetE0EEEvS12_,comdat
	.globl	_ZN7rocprim17ROCPRIM_400000_NS6detail17trampoline_kernelINS0_13select_configILj256ELj13ELNS0_17block_load_methodE3ELS4_3ELS4_3ELNS0_20block_scan_algorithmE0ELj4294967295EEENS1_25partition_config_selectorILNS1_17partition_subalgoE4EjNS0_10empty_typeEbEEZZNS1_14partition_implILS8_4ELb0ES6_15HIP_vector_typeIjLj2EENS0_17counting_iteratorIjlEEPS9_SG_NS0_5tupleIJPjSI_NS0_16reverse_iteratorISI_EEEEENSH_IJSG_SG_SG_EEES9_SI_JZNS1_25segmented_radix_sort_implINS0_14default_configELb0EPKfPfPKlPlN2at6native12_GLOBAL__N_18offset_tEEE10hipError_tPvRmT1_PNSt15iterator_traitsIS12_E10value_typeET2_T3_PNS13_IS18_E10value_typeET4_jRbjT5_S1E_jjP12ihipStream_tbEUljE_ZNSN_ISO_Lb0ESQ_SR_ST_SU_SY_EESZ_S10_S11_S12_S16_S17_S18_S1B_S1C_jS1D_jS1E_S1E_jjS1G_bEUljE0_EEESZ_S10_S11_S18_S1C_S1E_T6_T7_T9_mT8_S1G_bDpT10_ENKUlT_T0_E_clISt17integral_constantIbLb1EES1U_EEDaS1P_S1Q_EUlS1P_E_NS1_11comp_targetILNS1_3genE2ELNS1_11target_archE906ELNS1_3gpuE6ELNS1_3repE0EEENS1_30default_config_static_selectorELNS0_4arch9wavefront6targetE0EEEvS12_ ; -- Begin function _ZN7rocprim17ROCPRIM_400000_NS6detail17trampoline_kernelINS0_13select_configILj256ELj13ELNS0_17block_load_methodE3ELS4_3ELS4_3ELNS0_20block_scan_algorithmE0ELj4294967295EEENS1_25partition_config_selectorILNS1_17partition_subalgoE4EjNS0_10empty_typeEbEEZZNS1_14partition_implILS8_4ELb0ES6_15HIP_vector_typeIjLj2EENS0_17counting_iteratorIjlEEPS9_SG_NS0_5tupleIJPjSI_NS0_16reverse_iteratorISI_EEEEENSH_IJSG_SG_SG_EEES9_SI_JZNS1_25segmented_radix_sort_implINS0_14default_configELb0EPKfPfPKlPlN2at6native12_GLOBAL__N_18offset_tEEE10hipError_tPvRmT1_PNSt15iterator_traitsIS12_E10value_typeET2_T3_PNS13_IS18_E10value_typeET4_jRbjT5_S1E_jjP12ihipStream_tbEUljE_ZNSN_ISO_Lb0ESQ_SR_ST_SU_SY_EESZ_S10_S11_S12_S16_S17_S18_S1B_S1C_jS1D_jS1E_S1E_jjS1G_bEUljE0_EEESZ_S10_S11_S18_S1C_S1E_T6_T7_T9_mT8_S1G_bDpT10_ENKUlT_T0_E_clISt17integral_constantIbLb1EES1U_EEDaS1P_S1Q_EUlS1P_E_NS1_11comp_targetILNS1_3genE2ELNS1_11target_archE906ELNS1_3gpuE6ELNS1_3repE0EEENS1_30default_config_static_selectorELNS0_4arch9wavefront6targetE0EEEvS12_
	.p2align	8
	.type	_ZN7rocprim17ROCPRIM_400000_NS6detail17trampoline_kernelINS0_13select_configILj256ELj13ELNS0_17block_load_methodE3ELS4_3ELS4_3ELNS0_20block_scan_algorithmE0ELj4294967295EEENS1_25partition_config_selectorILNS1_17partition_subalgoE4EjNS0_10empty_typeEbEEZZNS1_14partition_implILS8_4ELb0ES6_15HIP_vector_typeIjLj2EENS0_17counting_iteratorIjlEEPS9_SG_NS0_5tupleIJPjSI_NS0_16reverse_iteratorISI_EEEEENSH_IJSG_SG_SG_EEES9_SI_JZNS1_25segmented_radix_sort_implINS0_14default_configELb0EPKfPfPKlPlN2at6native12_GLOBAL__N_18offset_tEEE10hipError_tPvRmT1_PNSt15iterator_traitsIS12_E10value_typeET2_T3_PNS13_IS18_E10value_typeET4_jRbjT5_S1E_jjP12ihipStream_tbEUljE_ZNSN_ISO_Lb0ESQ_SR_ST_SU_SY_EESZ_S10_S11_S12_S16_S17_S18_S1B_S1C_jS1D_jS1E_S1E_jjS1G_bEUljE0_EEESZ_S10_S11_S18_S1C_S1E_T6_T7_T9_mT8_S1G_bDpT10_ENKUlT_T0_E_clISt17integral_constantIbLb1EES1U_EEDaS1P_S1Q_EUlS1P_E_NS1_11comp_targetILNS1_3genE2ELNS1_11target_archE906ELNS1_3gpuE6ELNS1_3repE0EEENS1_30default_config_static_selectorELNS0_4arch9wavefront6targetE0EEEvS12_,@function
_ZN7rocprim17ROCPRIM_400000_NS6detail17trampoline_kernelINS0_13select_configILj256ELj13ELNS0_17block_load_methodE3ELS4_3ELS4_3ELNS0_20block_scan_algorithmE0ELj4294967295EEENS1_25partition_config_selectorILNS1_17partition_subalgoE4EjNS0_10empty_typeEbEEZZNS1_14partition_implILS8_4ELb0ES6_15HIP_vector_typeIjLj2EENS0_17counting_iteratorIjlEEPS9_SG_NS0_5tupleIJPjSI_NS0_16reverse_iteratorISI_EEEEENSH_IJSG_SG_SG_EEES9_SI_JZNS1_25segmented_radix_sort_implINS0_14default_configELb0EPKfPfPKlPlN2at6native12_GLOBAL__N_18offset_tEEE10hipError_tPvRmT1_PNSt15iterator_traitsIS12_E10value_typeET2_T3_PNS13_IS18_E10value_typeET4_jRbjT5_S1E_jjP12ihipStream_tbEUljE_ZNSN_ISO_Lb0ESQ_SR_ST_SU_SY_EESZ_S10_S11_S12_S16_S17_S18_S1B_S1C_jS1D_jS1E_S1E_jjS1G_bEUljE0_EEESZ_S10_S11_S18_S1C_S1E_T6_T7_T9_mT8_S1G_bDpT10_ENKUlT_T0_E_clISt17integral_constantIbLb1EES1U_EEDaS1P_S1Q_EUlS1P_E_NS1_11comp_targetILNS1_3genE2ELNS1_11target_archE906ELNS1_3gpuE6ELNS1_3repE0EEENS1_30default_config_static_selectorELNS0_4arch9wavefront6targetE0EEEvS12_: ; @_ZN7rocprim17ROCPRIM_400000_NS6detail17trampoline_kernelINS0_13select_configILj256ELj13ELNS0_17block_load_methodE3ELS4_3ELS4_3ELNS0_20block_scan_algorithmE0ELj4294967295EEENS1_25partition_config_selectorILNS1_17partition_subalgoE4EjNS0_10empty_typeEbEEZZNS1_14partition_implILS8_4ELb0ES6_15HIP_vector_typeIjLj2EENS0_17counting_iteratorIjlEEPS9_SG_NS0_5tupleIJPjSI_NS0_16reverse_iteratorISI_EEEEENSH_IJSG_SG_SG_EEES9_SI_JZNS1_25segmented_radix_sort_implINS0_14default_configELb0EPKfPfPKlPlN2at6native12_GLOBAL__N_18offset_tEEE10hipError_tPvRmT1_PNSt15iterator_traitsIS12_E10value_typeET2_T3_PNS13_IS18_E10value_typeET4_jRbjT5_S1E_jjP12ihipStream_tbEUljE_ZNSN_ISO_Lb0ESQ_SR_ST_SU_SY_EESZ_S10_S11_S12_S16_S17_S18_S1B_S1C_jS1D_jS1E_S1E_jjS1G_bEUljE0_EEESZ_S10_S11_S18_S1C_S1E_T6_T7_T9_mT8_S1G_bDpT10_ENKUlT_T0_E_clISt17integral_constantIbLb1EES1U_EEDaS1P_S1Q_EUlS1P_E_NS1_11comp_targetILNS1_3genE2ELNS1_11target_archE906ELNS1_3gpuE6ELNS1_3repE0EEENS1_30default_config_static_selectorELNS0_4arch9wavefront6targetE0EEEvS12_
; %bb.0:
	.section	.rodata,"a",@progbits
	.p2align	6, 0x0
	.amdhsa_kernel _ZN7rocprim17ROCPRIM_400000_NS6detail17trampoline_kernelINS0_13select_configILj256ELj13ELNS0_17block_load_methodE3ELS4_3ELS4_3ELNS0_20block_scan_algorithmE0ELj4294967295EEENS1_25partition_config_selectorILNS1_17partition_subalgoE4EjNS0_10empty_typeEbEEZZNS1_14partition_implILS8_4ELb0ES6_15HIP_vector_typeIjLj2EENS0_17counting_iteratorIjlEEPS9_SG_NS0_5tupleIJPjSI_NS0_16reverse_iteratorISI_EEEEENSH_IJSG_SG_SG_EEES9_SI_JZNS1_25segmented_radix_sort_implINS0_14default_configELb0EPKfPfPKlPlN2at6native12_GLOBAL__N_18offset_tEEE10hipError_tPvRmT1_PNSt15iterator_traitsIS12_E10value_typeET2_T3_PNS13_IS18_E10value_typeET4_jRbjT5_S1E_jjP12ihipStream_tbEUljE_ZNSN_ISO_Lb0ESQ_SR_ST_SU_SY_EESZ_S10_S11_S12_S16_S17_S18_S1B_S1C_jS1D_jS1E_S1E_jjS1G_bEUljE0_EEESZ_S10_S11_S18_S1C_S1E_T6_T7_T9_mT8_S1G_bDpT10_ENKUlT_T0_E_clISt17integral_constantIbLb1EES1U_EEDaS1P_S1Q_EUlS1P_E_NS1_11comp_targetILNS1_3genE2ELNS1_11target_archE906ELNS1_3gpuE6ELNS1_3repE0EEENS1_30default_config_static_selectorELNS0_4arch9wavefront6targetE0EEEvS12_
		.amdhsa_group_segment_fixed_size 0
		.amdhsa_private_segment_fixed_size 0
		.amdhsa_kernarg_size 184
		.amdhsa_user_sgpr_count 15
		.amdhsa_user_sgpr_dispatch_ptr 0
		.amdhsa_user_sgpr_queue_ptr 0
		.amdhsa_user_sgpr_kernarg_segment_ptr 1
		.amdhsa_user_sgpr_dispatch_id 0
		.amdhsa_user_sgpr_private_segment_size 0
		.amdhsa_wavefront_size32 1
		.amdhsa_uses_dynamic_stack 0
		.amdhsa_enable_private_segment 0
		.amdhsa_system_sgpr_workgroup_id_x 1
		.amdhsa_system_sgpr_workgroup_id_y 0
		.amdhsa_system_sgpr_workgroup_id_z 0
		.amdhsa_system_sgpr_workgroup_info 0
		.amdhsa_system_vgpr_workitem_id 0
		.amdhsa_next_free_vgpr 1
		.amdhsa_next_free_sgpr 1
		.amdhsa_reserve_vcc 0
		.amdhsa_float_round_mode_32 0
		.amdhsa_float_round_mode_16_64 0
		.amdhsa_float_denorm_mode_32 3
		.amdhsa_float_denorm_mode_16_64 3
		.amdhsa_dx10_clamp 1
		.amdhsa_ieee_mode 1
		.amdhsa_fp16_overflow 0
		.amdhsa_workgroup_processor_mode 1
		.amdhsa_memory_ordered 1
		.amdhsa_forward_progress 0
		.amdhsa_shared_vgpr_count 0
		.amdhsa_exception_fp_ieee_invalid_op 0
		.amdhsa_exception_fp_denorm_src 0
		.amdhsa_exception_fp_ieee_div_zero 0
		.amdhsa_exception_fp_ieee_overflow 0
		.amdhsa_exception_fp_ieee_underflow 0
		.amdhsa_exception_fp_ieee_inexact 0
		.amdhsa_exception_int_div_zero 0
	.end_amdhsa_kernel
	.section	.text._ZN7rocprim17ROCPRIM_400000_NS6detail17trampoline_kernelINS0_13select_configILj256ELj13ELNS0_17block_load_methodE3ELS4_3ELS4_3ELNS0_20block_scan_algorithmE0ELj4294967295EEENS1_25partition_config_selectorILNS1_17partition_subalgoE4EjNS0_10empty_typeEbEEZZNS1_14partition_implILS8_4ELb0ES6_15HIP_vector_typeIjLj2EENS0_17counting_iteratorIjlEEPS9_SG_NS0_5tupleIJPjSI_NS0_16reverse_iteratorISI_EEEEENSH_IJSG_SG_SG_EEES9_SI_JZNS1_25segmented_radix_sort_implINS0_14default_configELb0EPKfPfPKlPlN2at6native12_GLOBAL__N_18offset_tEEE10hipError_tPvRmT1_PNSt15iterator_traitsIS12_E10value_typeET2_T3_PNS13_IS18_E10value_typeET4_jRbjT5_S1E_jjP12ihipStream_tbEUljE_ZNSN_ISO_Lb0ESQ_SR_ST_SU_SY_EESZ_S10_S11_S12_S16_S17_S18_S1B_S1C_jS1D_jS1E_S1E_jjS1G_bEUljE0_EEESZ_S10_S11_S18_S1C_S1E_T6_T7_T9_mT8_S1G_bDpT10_ENKUlT_T0_E_clISt17integral_constantIbLb1EES1U_EEDaS1P_S1Q_EUlS1P_E_NS1_11comp_targetILNS1_3genE2ELNS1_11target_archE906ELNS1_3gpuE6ELNS1_3repE0EEENS1_30default_config_static_selectorELNS0_4arch9wavefront6targetE0EEEvS12_,"axG",@progbits,_ZN7rocprim17ROCPRIM_400000_NS6detail17trampoline_kernelINS0_13select_configILj256ELj13ELNS0_17block_load_methodE3ELS4_3ELS4_3ELNS0_20block_scan_algorithmE0ELj4294967295EEENS1_25partition_config_selectorILNS1_17partition_subalgoE4EjNS0_10empty_typeEbEEZZNS1_14partition_implILS8_4ELb0ES6_15HIP_vector_typeIjLj2EENS0_17counting_iteratorIjlEEPS9_SG_NS0_5tupleIJPjSI_NS0_16reverse_iteratorISI_EEEEENSH_IJSG_SG_SG_EEES9_SI_JZNS1_25segmented_radix_sort_implINS0_14default_configELb0EPKfPfPKlPlN2at6native12_GLOBAL__N_18offset_tEEE10hipError_tPvRmT1_PNSt15iterator_traitsIS12_E10value_typeET2_T3_PNS13_IS18_E10value_typeET4_jRbjT5_S1E_jjP12ihipStream_tbEUljE_ZNSN_ISO_Lb0ESQ_SR_ST_SU_SY_EESZ_S10_S11_S12_S16_S17_S18_S1B_S1C_jS1D_jS1E_S1E_jjS1G_bEUljE0_EEESZ_S10_S11_S18_S1C_S1E_T6_T7_T9_mT8_S1G_bDpT10_ENKUlT_T0_E_clISt17integral_constantIbLb1EES1U_EEDaS1P_S1Q_EUlS1P_E_NS1_11comp_targetILNS1_3genE2ELNS1_11target_archE906ELNS1_3gpuE6ELNS1_3repE0EEENS1_30default_config_static_selectorELNS0_4arch9wavefront6targetE0EEEvS12_,comdat
.Lfunc_end1376:
	.size	_ZN7rocprim17ROCPRIM_400000_NS6detail17trampoline_kernelINS0_13select_configILj256ELj13ELNS0_17block_load_methodE3ELS4_3ELS4_3ELNS0_20block_scan_algorithmE0ELj4294967295EEENS1_25partition_config_selectorILNS1_17partition_subalgoE4EjNS0_10empty_typeEbEEZZNS1_14partition_implILS8_4ELb0ES6_15HIP_vector_typeIjLj2EENS0_17counting_iteratorIjlEEPS9_SG_NS0_5tupleIJPjSI_NS0_16reverse_iteratorISI_EEEEENSH_IJSG_SG_SG_EEES9_SI_JZNS1_25segmented_radix_sort_implINS0_14default_configELb0EPKfPfPKlPlN2at6native12_GLOBAL__N_18offset_tEEE10hipError_tPvRmT1_PNSt15iterator_traitsIS12_E10value_typeET2_T3_PNS13_IS18_E10value_typeET4_jRbjT5_S1E_jjP12ihipStream_tbEUljE_ZNSN_ISO_Lb0ESQ_SR_ST_SU_SY_EESZ_S10_S11_S12_S16_S17_S18_S1B_S1C_jS1D_jS1E_S1E_jjS1G_bEUljE0_EEESZ_S10_S11_S18_S1C_S1E_T6_T7_T9_mT8_S1G_bDpT10_ENKUlT_T0_E_clISt17integral_constantIbLb1EES1U_EEDaS1P_S1Q_EUlS1P_E_NS1_11comp_targetILNS1_3genE2ELNS1_11target_archE906ELNS1_3gpuE6ELNS1_3repE0EEENS1_30default_config_static_selectorELNS0_4arch9wavefront6targetE0EEEvS12_, .Lfunc_end1376-_ZN7rocprim17ROCPRIM_400000_NS6detail17trampoline_kernelINS0_13select_configILj256ELj13ELNS0_17block_load_methodE3ELS4_3ELS4_3ELNS0_20block_scan_algorithmE0ELj4294967295EEENS1_25partition_config_selectorILNS1_17partition_subalgoE4EjNS0_10empty_typeEbEEZZNS1_14partition_implILS8_4ELb0ES6_15HIP_vector_typeIjLj2EENS0_17counting_iteratorIjlEEPS9_SG_NS0_5tupleIJPjSI_NS0_16reverse_iteratorISI_EEEEENSH_IJSG_SG_SG_EEES9_SI_JZNS1_25segmented_radix_sort_implINS0_14default_configELb0EPKfPfPKlPlN2at6native12_GLOBAL__N_18offset_tEEE10hipError_tPvRmT1_PNSt15iterator_traitsIS12_E10value_typeET2_T3_PNS13_IS18_E10value_typeET4_jRbjT5_S1E_jjP12ihipStream_tbEUljE_ZNSN_ISO_Lb0ESQ_SR_ST_SU_SY_EESZ_S10_S11_S12_S16_S17_S18_S1B_S1C_jS1D_jS1E_S1E_jjS1G_bEUljE0_EEESZ_S10_S11_S18_S1C_S1E_T6_T7_T9_mT8_S1G_bDpT10_ENKUlT_T0_E_clISt17integral_constantIbLb1EES1U_EEDaS1P_S1Q_EUlS1P_E_NS1_11comp_targetILNS1_3genE2ELNS1_11target_archE906ELNS1_3gpuE6ELNS1_3repE0EEENS1_30default_config_static_selectorELNS0_4arch9wavefront6targetE0EEEvS12_
                                        ; -- End function
	.section	.AMDGPU.csdata,"",@progbits
; Kernel info:
; codeLenInByte = 0
; NumSgprs: 0
; NumVgprs: 0
; ScratchSize: 0
; MemoryBound: 0
; FloatMode: 240
; IeeeMode: 1
; LDSByteSize: 0 bytes/workgroup (compile time only)
; SGPRBlocks: 0
; VGPRBlocks: 0
; NumSGPRsForWavesPerEU: 1
; NumVGPRsForWavesPerEU: 1
; Occupancy: 16
; WaveLimiterHint : 0
; COMPUTE_PGM_RSRC2:SCRATCH_EN: 0
; COMPUTE_PGM_RSRC2:USER_SGPR: 15
; COMPUTE_PGM_RSRC2:TRAP_HANDLER: 0
; COMPUTE_PGM_RSRC2:TGID_X_EN: 1
; COMPUTE_PGM_RSRC2:TGID_Y_EN: 0
; COMPUTE_PGM_RSRC2:TGID_Z_EN: 0
; COMPUTE_PGM_RSRC2:TIDIG_COMP_CNT: 0
	.section	.text._ZN7rocprim17ROCPRIM_400000_NS6detail17trampoline_kernelINS0_13select_configILj256ELj13ELNS0_17block_load_methodE3ELS4_3ELS4_3ELNS0_20block_scan_algorithmE0ELj4294967295EEENS1_25partition_config_selectorILNS1_17partition_subalgoE4EjNS0_10empty_typeEbEEZZNS1_14partition_implILS8_4ELb0ES6_15HIP_vector_typeIjLj2EENS0_17counting_iteratorIjlEEPS9_SG_NS0_5tupleIJPjSI_NS0_16reverse_iteratorISI_EEEEENSH_IJSG_SG_SG_EEES9_SI_JZNS1_25segmented_radix_sort_implINS0_14default_configELb0EPKfPfPKlPlN2at6native12_GLOBAL__N_18offset_tEEE10hipError_tPvRmT1_PNSt15iterator_traitsIS12_E10value_typeET2_T3_PNS13_IS18_E10value_typeET4_jRbjT5_S1E_jjP12ihipStream_tbEUljE_ZNSN_ISO_Lb0ESQ_SR_ST_SU_SY_EESZ_S10_S11_S12_S16_S17_S18_S1B_S1C_jS1D_jS1E_S1E_jjS1G_bEUljE0_EEESZ_S10_S11_S18_S1C_S1E_T6_T7_T9_mT8_S1G_bDpT10_ENKUlT_T0_E_clISt17integral_constantIbLb1EES1U_EEDaS1P_S1Q_EUlS1P_E_NS1_11comp_targetILNS1_3genE10ELNS1_11target_archE1200ELNS1_3gpuE4ELNS1_3repE0EEENS1_30default_config_static_selectorELNS0_4arch9wavefront6targetE0EEEvS12_,"axG",@progbits,_ZN7rocprim17ROCPRIM_400000_NS6detail17trampoline_kernelINS0_13select_configILj256ELj13ELNS0_17block_load_methodE3ELS4_3ELS4_3ELNS0_20block_scan_algorithmE0ELj4294967295EEENS1_25partition_config_selectorILNS1_17partition_subalgoE4EjNS0_10empty_typeEbEEZZNS1_14partition_implILS8_4ELb0ES6_15HIP_vector_typeIjLj2EENS0_17counting_iteratorIjlEEPS9_SG_NS0_5tupleIJPjSI_NS0_16reverse_iteratorISI_EEEEENSH_IJSG_SG_SG_EEES9_SI_JZNS1_25segmented_radix_sort_implINS0_14default_configELb0EPKfPfPKlPlN2at6native12_GLOBAL__N_18offset_tEEE10hipError_tPvRmT1_PNSt15iterator_traitsIS12_E10value_typeET2_T3_PNS13_IS18_E10value_typeET4_jRbjT5_S1E_jjP12ihipStream_tbEUljE_ZNSN_ISO_Lb0ESQ_SR_ST_SU_SY_EESZ_S10_S11_S12_S16_S17_S18_S1B_S1C_jS1D_jS1E_S1E_jjS1G_bEUljE0_EEESZ_S10_S11_S18_S1C_S1E_T6_T7_T9_mT8_S1G_bDpT10_ENKUlT_T0_E_clISt17integral_constantIbLb1EES1U_EEDaS1P_S1Q_EUlS1P_E_NS1_11comp_targetILNS1_3genE10ELNS1_11target_archE1200ELNS1_3gpuE4ELNS1_3repE0EEENS1_30default_config_static_selectorELNS0_4arch9wavefront6targetE0EEEvS12_,comdat
	.globl	_ZN7rocprim17ROCPRIM_400000_NS6detail17trampoline_kernelINS0_13select_configILj256ELj13ELNS0_17block_load_methodE3ELS4_3ELS4_3ELNS0_20block_scan_algorithmE0ELj4294967295EEENS1_25partition_config_selectorILNS1_17partition_subalgoE4EjNS0_10empty_typeEbEEZZNS1_14partition_implILS8_4ELb0ES6_15HIP_vector_typeIjLj2EENS0_17counting_iteratorIjlEEPS9_SG_NS0_5tupleIJPjSI_NS0_16reverse_iteratorISI_EEEEENSH_IJSG_SG_SG_EEES9_SI_JZNS1_25segmented_radix_sort_implINS0_14default_configELb0EPKfPfPKlPlN2at6native12_GLOBAL__N_18offset_tEEE10hipError_tPvRmT1_PNSt15iterator_traitsIS12_E10value_typeET2_T3_PNS13_IS18_E10value_typeET4_jRbjT5_S1E_jjP12ihipStream_tbEUljE_ZNSN_ISO_Lb0ESQ_SR_ST_SU_SY_EESZ_S10_S11_S12_S16_S17_S18_S1B_S1C_jS1D_jS1E_S1E_jjS1G_bEUljE0_EEESZ_S10_S11_S18_S1C_S1E_T6_T7_T9_mT8_S1G_bDpT10_ENKUlT_T0_E_clISt17integral_constantIbLb1EES1U_EEDaS1P_S1Q_EUlS1P_E_NS1_11comp_targetILNS1_3genE10ELNS1_11target_archE1200ELNS1_3gpuE4ELNS1_3repE0EEENS1_30default_config_static_selectorELNS0_4arch9wavefront6targetE0EEEvS12_ ; -- Begin function _ZN7rocprim17ROCPRIM_400000_NS6detail17trampoline_kernelINS0_13select_configILj256ELj13ELNS0_17block_load_methodE3ELS4_3ELS4_3ELNS0_20block_scan_algorithmE0ELj4294967295EEENS1_25partition_config_selectorILNS1_17partition_subalgoE4EjNS0_10empty_typeEbEEZZNS1_14partition_implILS8_4ELb0ES6_15HIP_vector_typeIjLj2EENS0_17counting_iteratorIjlEEPS9_SG_NS0_5tupleIJPjSI_NS0_16reverse_iteratorISI_EEEEENSH_IJSG_SG_SG_EEES9_SI_JZNS1_25segmented_radix_sort_implINS0_14default_configELb0EPKfPfPKlPlN2at6native12_GLOBAL__N_18offset_tEEE10hipError_tPvRmT1_PNSt15iterator_traitsIS12_E10value_typeET2_T3_PNS13_IS18_E10value_typeET4_jRbjT5_S1E_jjP12ihipStream_tbEUljE_ZNSN_ISO_Lb0ESQ_SR_ST_SU_SY_EESZ_S10_S11_S12_S16_S17_S18_S1B_S1C_jS1D_jS1E_S1E_jjS1G_bEUljE0_EEESZ_S10_S11_S18_S1C_S1E_T6_T7_T9_mT8_S1G_bDpT10_ENKUlT_T0_E_clISt17integral_constantIbLb1EES1U_EEDaS1P_S1Q_EUlS1P_E_NS1_11comp_targetILNS1_3genE10ELNS1_11target_archE1200ELNS1_3gpuE4ELNS1_3repE0EEENS1_30default_config_static_selectorELNS0_4arch9wavefront6targetE0EEEvS12_
	.p2align	8
	.type	_ZN7rocprim17ROCPRIM_400000_NS6detail17trampoline_kernelINS0_13select_configILj256ELj13ELNS0_17block_load_methodE3ELS4_3ELS4_3ELNS0_20block_scan_algorithmE0ELj4294967295EEENS1_25partition_config_selectorILNS1_17partition_subalgoE4EjNS0_10empty_typeEbEEZZNS1_14partition_implILS8_4ELb0ES6_15HIP_vector_typeIjLj2EENS0_17counting_iteratorIjlEEPS9_SG_NS0_5tupleIJPjSI_NS0_16reverse_iteratorISI_EEEEENSH_IJSG_SG_SG_EEES9_SI_JZNS1_25segmented_radix_sort_implINS0_14default_configELb0EPKfPfPKlPlN2at6native12_GLOBAL__N_18offset_tEEE10hipError_tPvRmT1_PNSt15iterator_traitsIS12_E10value_typeET2_T3_PNS13_IS18_E10value_typeET4_jRbjT5_S1E_jjP12ihipStream_tbEUljE_ZNSN_ISO_Lb0ESQ_SR_ST_SU_SY_EESZ_S10_S11_S12_S16_S17_S18_S1B_S1C_jS1D_jS1E_S1E_jjS1G_bEUljE0_EEESZ_S10_S11_S18_S1C_S1E_T6_T7_T9_mT8_S1G_bDpT10_ENKUlT_T0_E_clISt17integral_constantIbLb1EES1U_EEDaS1P_S1Q_EUlS1P_E_NS1_11comp_targetILNS1_3genE10ELNS1_11target_archE1200ELNS1_3gpuE4ELNS1_3repE0EEENS1_30default_config_static_selectorELNS0_4arch9wavefront6targetE0EEEvS12_,@function
_ZN7rocprim17ROCPRIM_400000_NS6detail17trampoline_kernelINS0_13select_configILj256ELj13ELNS0_17block_load_methodE3ELS4_3ELS4_3ELNS0_20block_scan_algorithmE0ELj4294967295EEENS1_25partition_config_selectorILNS1_17partition_subalgoE4EjNS0_10empty_typeEbEEZZNS1_14partition_implILS8_4ELb0ES6_15HIP_vector_typeIjLj2EENS0_17counting_iteratorIjlEEPS9_SG_NS0_5tupleIJPjSI_NS0_16reverse_iteratorISI_EEEEENSH_IJSG_SG_SG_EEES9_SI_JZNS1_25segmented_radix_sort_implINS0_14default_configELb0EPKfPfPKlPlN2at6native12_GLOBAL__N_18offset_tEEE10hipError_tPvRmT1_PNSt15iterator_traitsIS12_E10value_typeET2_T3_PNS13_IS18_E10value_typeET4_jRbjT5_S1E_jjP12ihipStream_tbEUljE_ZNSN_ISO_Lb0ESQ_SR_ST_SU_SY_EESZ_S10_S11_S12_S16_S17_S18_S1B_S1C_jS1D_jS1E_S1E_jjS1G_bEUljE0_EEESZ_S10_S11_S18_S1C_S1E_T6_T7_T9_mT8_S1G_bDpT10_ENKUlT_T0_E_clISt17integral_constantIbLb1EES1U_EEDaS1P_S1Q_EUlS1P_E_NS1_11comp_targetILNS1_3genE10ELNS1_11target_archE1200ELNS1_3gpuE4ELNS1_3repE0EEENS1_30default_config_static_selectorELNS0_4arch9wavefront6targetE0EEEvS12_: ; @_ZN7rocprim17ROCPRIM_400000_NS6detail17trampoline_kernelINS0_13select_configILj256ELj13ELNS0_17block_load_methodE3ELS4_3ELS4_3ELNS0_20block_scan_algorithmE0ELj4294967295EEENS1_25partition_config_selectorILNS1_17partition_subalgoE4EjNS0_10empty_typeEbEEZZNS1_14partition_implILS8_4ELb0ES6_15HIP_vector_typeIjLj2EENS0_17counting_iteratorIjlEEPS9_SG_NS0_5tupleIJPjSI_NS0_16reverse_iteratorISI_EEEEENSH_IJSG_SG_SG_EEES9_SI_JZNS1_25segmented_radix_sort_implINS0_14default_configELb0EPKfPfPKlPlN2at6native12_GLOBAL__N_18offset_tEEE10hipError_tPvRmT1_PNSt15iterator_traitsIS12_E10value_typeET2_T3_PNS13_IS18_E10value_typeET4_jRbjT5_S1E_jjP12ihipStream_tbEUljE_ZNSN_ISO_Lb0ESQ_SR_ST_SU_SY_EESZ_S10_S11_S12_S16_S17_S18_S1B_S1C_jS1D_jS1E_S1E_jjS1G_bEUljE0_EEESZ_S10_S11_S18_S1C_S1E_T6_T7_T9_mT8_S1G_bDpT10_ENKUlT_T0_E_clISt17integral_constantIbLb1EES1U_EEDaS1P_S1Q_EUlS1P_E_NS1_11comp_targetILNS1_3genE10ELNS1_11target_archE1200ELNS1_3gpuE4ELNS1_3repE0EEENS1_30default_config_static_selectorELNS0_4arch9wavefront6targetE0EEEvS12_
; %bb.0:
	.section	.rodata,"a",@progbits
	.p2align	6, 0x0
	.amdhsa_kernel _ZN7rocprim17ROCPRIM_400000_NS6detail17trampoline_kernelINS0_13select_configILj256ELj13ELNS0_17block_load_methodE3ELS4_3ELS4_3ELNS0_20block_scan_algorithmE0ELj4294967295EEENS1_25partition_config_selectorILNS1_17partition_subalgoE4EjNS0_10empty_typeEbEEZZNS1_14partition_implILS8_4ELb0ES6_15HIP_vector_typeIjLj2EENS0_17counting_iteratorIjlEEPS9_SG_NS0_5tupleIJPjSI_NS0_16reverse_iteratorISI_EEEEENSH_IJSG_SG_SG_EEES9_SI_JZNS1_25segmented_radix_sort_implINS0_14default_configELb0EPKfPfPKlPlN2at6native12_GLOBAL__N_18offset_tEEE10hipError_tPvRmT1_PNSt15iterator_traitsIS12_E10value_typeET2_T3_PNS13_IS18_E10value_typeET4_jRbjT5_S1E_jjP12ihipStream_tbEUljE_ZNSN_ISO_Lb0ESQ_SR_ST_SU_SY_EESZ_S10_S11_S12_S16_S17_S18_S1B_S1C_jS1D_jS1E_S1E_jjS1G_bEUljE0_EEESZ_S10_S11_S18_S1C_S1E_T6_T7_T9_mT8_S1G_bDpT10_ENKUlT_T0_E_clISt17integral_constantIbLb1EES1U_EEDaS1P_S1Q_EUlS1P_E_NS1_11comp_targetILNS1_3genE10ELNS1_11target_archE1200ELNS1_3gpuE4ELNS1_3repE0EEENS1_30default_config_static_selectorELNS0_4arch9wavefront6targetE0EEEvS12_
		.amdhsa_group_segment_fixed_size 0
		.amdhsa_private_segment_fixed_size 0
		.amdhsa_kernarg_size 184
		.amdhsa_user_sgpr_count 15
		.amdhsa_user_sgpr_dispatch_ptr 0
		.amdhsa_user_sgpr_queue_ptr 0
		.amdhsa_user_sgpr_kernarg_segment_ptr 1
		.amdhsa_user_sgpr_dispatch_id 0
		.amdhsa_user_sgpr_private_segment_size 0
		.amdhsa_wavefront_size32 1
		.amdhsa_uses_dynamic_stack 0
		.amdhsa_enable_private_segment 0
		.amdhsa_system_sgpr_workgroup_id_x 1
		.amdhsa_system_sgpr_workgroup_id_y 0
		.amdhsa_system_sgpr_workgroup_id_z 0
		.amdhsa_system_sgpr_workgroup_info 0
		.amdhsa_system_vgpr_workitem_id 0
		.amdhsa_next_free_vgpr 1
		.amdhsa_next_free_sgpr 1
		.amdhsa_reserve_vcc 0
		.amdhsa_float_round_mode_32 0
		.amdhsa_float_round_mode_16_64 0
		.amdhsa_float_denorm_mode_32 3
		.amdhsa_float_denorm_mode_16_64 3
		.amdhsa_dx10_clamp 1
		.amdhsa_ieee_mode 1
		.amdhsa_fp16_overflow 0
		.amdhsa_workgroup_processor_mode 1
		.amdhsa_memory_ordered 1
		.amdhsa_forward_progress 0
		.amdhsa_shared_vgpr_count 0
		.amdhsa_exception_fp_ieee_invalid_op 0
		.amdhsa_exception_fp_denorm_src 0
		.amdhsa_exception_fp_ieee_div_zero 0
		.amdhsa_exception_fp_ieee_overflow 0
		.amdhsa_exception_fp_ieee_underflow 0
		.amdhsa_exception_fp_ieee_inexact 0
		.amdhsa_exception_int_div_zero 0
	.end_amdhsa_kernel
	.section	.text._ZN7rocprim17ROCPRIM_400000_NS6detail17trampoline_kernelINS0_13select_configILj256ELj13ELNS0_17block_load_methodE3ELS4_3ELS4_3ELNS0_20block_scan_algorithmE0ELj4294967295EEENS1_25partition_config_selectorILNS1_17partition_subalgoE4EjNS0_10empty_typeEbEEZZNS1_14partition_implILS8_4ELb0ES6_15HIP_vector_typeIjLj2EENS0_17counting_iteratorIjlEEPS9_SG_NS0_5tupleIJPjSI_NS0_16reverse_iteratorISI_EEEEENSH_IJSG_SG_SG_EEES9_SI_JZNS1_25segmented_radix_sort_implINS0_14default_configELb0EPKfPfPKlPlN2at6native12_GLOBAL__N_18offset_tEEE10hipError_tPvRmT1_PNSt15iterator_traitsIS12_E10value_typeET2_T3_PNS13_IS18_E10value_typeET4_jRbjT5_S1E_jjP12ihipStream_tbEUljE_ZNSN_ISO_Lb0ESQ_SR_ST_SU_SY_EESZ_S10_S11_S12_S16_S17_S18_S1B_S1C_jS1D_jS1E_S1E_jjS1G_bEUljE0_EEESZ_S10_S11_S18_S1C_S1E_T6_T7_T9_mT8_S1G_bDpT10_ENKUlT_T0_E_clISt17integral_constantIbLb1EES1U_EEDaS1P_S1Q_EUlS1P_E_NS1_11comp_targetILNS1_3genE10ELNS1_11target_archE1200ELNS1_3gpuE4ELNS1_3repE0EEENS1_30default_config_static_selectorELNS0_4arch9wavefront6targetE0EEEvS12_,"axG",@progbits,_ZN7rocprim17ROCPRIM_400000_NS6detail17trampoline_kernelINS0_13select_configILj256ELj13ELNS0_17block_load_methodE3ELS4_3ELS4_3ELNS0_20block_scan_algorithmE0ELj4294967295EEENS1_25partition_config_selectorILNS1_17partition_subalgoE4EjNS0_10empty_typeEbEEZZNS1_14partition_implILS8_4ELb0ES6_15HIP_vector_typeIjLj2EENS0_17counting_iteratorIjlEEPS9_SG_NS0_5tupleIJPjSI_NS0_16reverse_iteratorISI_EEEEENSH_IJSG_SG_SG_EEES9_SI_JZNS1_25segmented_radix_sort_implINS0_14default_configELb0EPKfPfPKlPlN2at6native12_GLOBAL__N_18offset_tEEE10hipError_tPvRmT1_PNSt15iterator_traitsIS12_E10value_typeET2_T3_PNS13_IS18_E10value_typeET4_jRbjT5_S1E_jjP12ihipStream_tbEUljE_ZNSN_ISO_Lb0ESQ_SR_ST_SU_SY_EESZ_S10_S11_S12_S16_S17_S18_S1B_S1C_jS1D_jS1E_S1E_jjS1G_bEUljE0_EEESZ_S10_S11_S18_S1C_S1E_T6_T7_T9_mT8_S1G_bDpT10_ENKUlT_T0_E_clISt17integral_constantIbLb1EES1U_EEDaS1P_S1Q_EUlS1P_E_NS1_11comp_targetILNS1_3genE10ELNS1_11target_archE1200ELNS1_3gpuE4ELNS1_3repE0EEENS1_30default_config_static_selectorELNS0_4arch9wavefront6targetE0EEEvS12_,comdat
.Lfunc_end1377:
	.size	_ZN7rocprim17ROCPRIM_400000_NS6detail17trampoline_kernelINS0_13select_configILj256ELj13ELNS0_17block_load_methodE3ELS4_3ELS4_3ELNS0_20block_scan_algorithmE0ELj4294967295EEENS1_25partition_config_selectorILNS1_17partition_subalgoE4EjNS0_10empty_typeEbEEZZNS1_14partition_implILS8_4ELb0ES6_15HIP_vector_typeIjLj2EENS0_17counting_iteratorIjlEEPS9_SG_NS0_5tupleIJPjSI_NS0_16reverse_iteratorISI_EEEEENSH_IJSG_SG_SG_EEES9_SI_JZNS1_25segmented_radix_sort_implINS0_14default_configELb0EPKfPfPKlPlN2at6native12_GLOBAL__N_18offset_tEEE10hipError_tPvRmT1_PNSt15iterator_traitsIS12_E10value_typeET2_T3_PNS13_IS18_E10value_typeET4_jRbjT5_S1E_jjP12ihipStream_tbEUljE_ZNSN_ISO_Lb0ESQ_SR_ST_SU_SY_EESZ_S10_S11_S12_S16_S17_S18_S1B_S1C_jS1D_jS1E_S1E_jjS1G_bEUljE0_EEESZ_S10_S11_S18_S1C_S1E_T6_T7_T9_mT8_S1G_bDpT10_ENKUlT_T0_E_clISt17integral_constantIbLb1EES1U_EEDaS1P_S1Q_EUlS1P_E_NS1_11comp_targetILNS1_3genE10ELNS1_11target_archE1200ELNS1_3gpuE4ELNS1_3repE0EEENS1_30default_config_static_selectorELNS0_4arch9wavefront6targetE0EEEvS12_, .Lfunc_end1377-_ZN7rocprim17ROCPRIM_400000_NS6detail17trampoline_kernelINS0_13select_configILj256ELj13ELNS0_17block_load_methodE3ELS4_3ELS4_3ELNS0_20block_scan_algorithmE0ELj4294967295EEENS1_25partition_config_selectorILNS1_17partition_subalgoE4EjNS0_10empty_typeEbEEZZNS1_14partition_implILS8_4ELb0ES6_15HIP_vector_typeIjLj2EENS0_17counting_iteratorIjlEEPS9_SG_NS0_5tupleIJPjSI_NS0_16reverse_iteratorISI_EEEEENSH_IJSG_SG_SG_EEES9_SI_JZNS1_25segmented_radix_sort_implINS0_14default_configELb0EPKfPfPKlPlN2at6native12_GLOBAL__N_18offset_tEEE10hipError_tPvRmT1_PNSt15iterator_traitsIS12_E10value_typeET2_T3_PNS13_IS18_E10value_typeET4_jRbjT5_S1E_jjP12ihipStream_tbEUljE_ZNSN_ISO_Lb0ESQ_SR_ST_SU_SY_EESZ_S10_S11_S12_S16_S17_S18_S1B_S1C_jS1D_jS1E_S1E_jjS1G_bEUljE0_EEESZ_S10_S11_S18_S1C_S1E_T6_T7_T9_mT8_S1G_bDpT10_ENKUlT_T0_E_clISt17integral_constantIbLb1EES1U_EEDaS1P_S1Q_EUlS1P_E_NS1_11comp_targetILNS1_3genE10ELNS1_11target_archE1200ELNS1_3gpuE4ELNS1_3repE0EEENS1_30default_config_static_selectorELNS0_4arch9wavefront6targetE0EEEvS12_
                                        ; -- End function
	.section	.AMDGPU.csdata,"",@progbits
; Kernel info:
; codeLenInByte = 0
; NumSgprs: 0
; NumVgprs: 0
; ScratchSize: 0
; MemoryBound: 0
; FloatMode: 240
; IeeeMode: 1
; LDSByteSize: 0 bytes/workgroup (compile time only)
; SGPRBlocks: 0
; VGPRBlocks: 0
; NumSGPRsForWavesPerEU: 1
; NumVGPRsForWavesPerEU: 1
; Occupancy: 16
; WaveLimiterHint : 0
; COMPUTE_PGM_RSRC2:SCRATCH_EN: 0
; COMPUTE_PGM_RSRC2:USER_SGPR: 15
; COMPUTE_PGM_RSRC2:TRAP_HANDLER: 0
; COMPUTE_PGM_RSRC2:TGID_X_EN: 1
; COMPUTE_PGM_RSRC2:TGID_Y_EN: 0
; COMPUTE_PGM_RSRC2:TGID_Z_EN: 0
; COMPUTE_PGM_RSRC2:TIDIG_COMP_CNT: 0
	.section	.text._ZN7rocprim17ROCPRIM_400000_NS6detail17trampoline_kernelINS0_13select_configILj256ELj13ELNS0_17block_load_methodE3ELS4_3ELS4_3ELNS0_20block_scan_algorithmE0ELj4294967295EEENS1_25partition_config_selectorILNS1_17partition_subalgoE4EjNS0_10empty_typeEbEEZZNS1_14partition_implILS8_4ELb0ES6_15HIP_vector_typeIjLj2EENS0_17counting_iteratorIjlEEPS9_SG_NS0_5tupleIJPjSI_NS0_16reverse_iteratorISI_EEEEENSH_IJSG_SG_SG_EEES9_SI_JZNS1_25segmented_radix_sort_implINS0_14default_configELb0EPKfPfPKlPlN2at6native12_GLOBAL__N_18offset_tEEE10hipError_tPvRmT1_PNSt15iterator_traitsIS12_E10value_typeET2_T3_PNS13_IS18_E10value_typeET4_jRbjT5_S1E_jjP12ihipStream_tbEUljE_ZNSN_ISO_Lb0ESQ_SR_ST_SU_SY_EESZ_S10_S11_S12_S16_S17_S18_S1B_S1C_jS1D_jS1E_S1E_jjS1G_bEUljE0_EEESZ_S10_S11_S18_S1C_S1E_T6_T7_T9_mT8_S1G_bDpT10_ENKUlT_T0_E_clISt17integral_constantIbLb1EES1U_EEDaS1P_S1Q_EUlS1P_E_NS1_11comp_targetILNS1_3genE9ELNS1_11target_archE1100ELNS1_3gpuE3ELNS1_3repE0EEENS1_30default_config_static_selectorELNS0_4arch9wavefront6targetE0EEEvS12_,"axG",@progbits,_ZN7rocprim17ROCPRIM_400000_NS6detail17trampoline_kernelINS0_13select_configILj256ELj13ELNS0_17block_load_methodE3ELS4_3ELS4_3ELNS0_20block_scan_algorithmE0ELj4294967295EEENS1_25partition_config_selectorILNS1_17partition_subalgoE4EjNS0_10empty_typeEbEEZZNS1_14partition_implILS8_4ELb0ES6_15HIP_vector_typeIjLj2EENS0_17counting_iteratorIjlEEPS9_SG_NS0_5tupleIJPjSI_NS0_16reverse_iteratorISI_EEEEENSH_IJSG_SG_SG_EEES9_SI_JZNS1_25segmented_radix_sort_implINS0_14default_configELb0EPKfPfPKlPlN2at6native12_GLOBAL__N_18offset_tEEE10hipError_tPvRmT1_PNSt15iterator_traitsIS12_E10value_typeET2_T3_PNS13_IS18_E10value_typeET4_jRbjT5_S1E_jjP12ihipStream_tbEUljE_ZNSN_ISO_Lb0ESQ_SR_ST_SU_SY_EESZ_S10_S11_S12_S16_S17_S18_S1B_S1C_jS1D_jS1E_S1E_jjS1G_bEUljE0_EEESZ_S10_S11_S18_S1C_S1E_T6_T7_T9_mT8_S1G_bDpT10_ENKUlT_T0_E_clISt17integral_constantIbLb1EES1U_EEDaS1P_S1Q_EUlS1P_E_NS1_11comp_targetILNS1_3genE9ELNS1_11target_archE1100ELNS1_3gpuE3ELNS1_3repE0EEENS1_30default_config_static_selectorELNS0_4arch9wavefront6targetE0EEEvS12_,comdat
	.globl	_ZN7rocprim17ROCPRIM_400000_NS6detail17trampoline_kernelINS0_13select_configILj256ELj13ELNS0_17block_load_methodE3ELS4_3ELS4_3ELNS0_20block_scan_algorithmE0ELj4294967295EEENS1_25partition_config_selectorILNS1_17partition_subalgoE4EjNS0_10empty_typeEbEEZZNS1_14partition_implILS8_4ELb0ES6_15HIP_vector_typeIjLj2EENS0_17counting_iteratorIjlEEPS9_SG_NS0_5tupleIJPjSI_NS0_16reverse_iteratorISI_EEEEENSH_IJSG_SG_SG_EEES9_SI_JZNS1_25segmented_radix_sort_implINS0_14default_configELb0EPKfPfPKlPlN2at6native12_GLOBAL__N_18offset_tEEE10hipError_tPvRmT1_PNSt15iterator_traitsIS12_E10value_typeET2_T3_PNS13_IS18_E10value_typeET4_jRbjT5_S1E_jjP12ihipStream_tbEUljE_ZNSN_ISO_Lb0ESQ_SR_ST_SU_SY_EESZ_S10_S11_S12_S16_S17_S18_S1B_S1C_jS1D_jS1E_S1E_jjS1G_bEUljE0_EEESZ_S10_S11_S18_S1C_S1E_T6_T7_T9_mT8_S1G_bDpT10_ENKUlT_T0_E_clISt17integral_constantIbLb1EES1U_EEDaS1P_S1Q_EUlS1P_E_NS1_11comp_targetILNS1_3genE9ELNS1_11target_archE1100ELNS1_3gpuE3ELNS1_3repE0EEENS1_30default_config_static_selectorELNS0_4arch9wavefront6targetE0EEEvS12_ ; -- Begin function _ZN7rocprim17ROCPRIM_400000_NS6detail17trampoline_kernelINS0_13select_configILj256ELj13ELNS0_17block_load_methodE3ELS4_3ELS4_3ELNS0_20block_scan_algorithmE0ELj4294967295EEENS1_25partition_config_selectorILNS1_17partition_subalgoE4EjNS0_10empty_typeEbEEZZNS1_14partition_implILS8_4ELb0ES6_15HIP_vector_typeIjLj2EENS0_17counting_iteratorIjlEEPS9_SG_NS0_5tupleIJPjSI_NS0_16reverse_iteratorISI_EEEEENSH_IJSG_SG_SG_EEES9_SI_JZNS1_25segmented_radix_sort_implINS0_14default_configELb0EPKfPfPKlPlN2at6native12_GLOBAL__N_18offset_tEEE10hipError_tPvRmT1_PNSt15iterator_traitsIS12_E10value_typeET2_T3_PNS13_IS18_E10value_typeET4_jRbjT5_S1E_jjP12ihipStream_tbEUljE_ZNSN_ISO_Lb0ESQ_SR_ST_SU_SY_EESZ_S10_S11_S12_S16_S17_S18_S1B_S1C_jS1D_jS1E_S1E_jjS1G_bEUljE0_EEESZ_S10_S11_S18_S1C_S1E_T6_T7_T9_mT8_S1G_bDpT10_ENKUlT_T0_E_clISt17integral_constantIbLb1EES1U_EEDaS1P_S1Q_EUlS1P_E_NS1_11comp_targetILNS1_3genE9ELNS1_11target_archE1100ELNS1_3gpuE3ELNS1_3repE0EEENS1_30default_config_static_selectorELNS0_4arch9wavefront6targetE0EEEvS12_
	.p2align	8
	.type	_ZN7rocprim17ROCPRIM_400000_NS6detail17trampoline_kernelINS0_13select_configILj256ELj13ELNS0_17block_load_methodE3ELS4_3ELS4_3ELNS0_20block_scan_algorithmE0ELj4294967295EEENS1_25partition_config_selectorILNS1_17partition_subalgoE4EjNS0_10empty_typeEbEEZZNS1_14partition_implILS8_4ELb0ES6_15HIP_vector_typeIjLj2EENS0_17counting_iteratorIjlEEPS9_SG_NS0_5tupleIJPjSI_NS0_16reverse_iteratorISI_EEEEENSH_IJSG_SG_SG_EEES9_SI_JZNS1_25segmented_radix_sort_implINS0_14default_configELb0EPKfPfPKlPlN2at6native12_GLOBAL__N_18offset_tEEE10hipError_tPvRmT1_PNSt15iterator_traitsIS12_E10value_typeET2_T3_PNS13_IS18_E10value_typeET4_jRbjT5_S1E_jjP12ihipStream_tbEUljE_ZNSN_ISO_Lb0ESQ_SR_ST_SU_SY_EESZ_S10_S11_S12_S16_S17_S18_S1B_S1C_jS1D_jS1E_S1E_jjS1G_bEUljE0_EEESZ_S10_S11_S18_S1C_S1E_T6_T7_T9_mT8_S1G_bDpT10_ENKUlT_T0_E_clISt17integral_constantIbLb1EES1U_EEDaS1P_S1Q_EUlS1P_E_NS1_11comp_targetILNS1_3genE9ELNS1_11target_archE1100ELNS1_3gpuE3ELNS1_3repE0EEENS1_30default_config_static_selectorELNS0_4arch9wavefront6targetE0EEEvS12_,@function
_ZN7rocprim17ROCPRIM_400000_NS6detail17trampoline_kernelINS0_13select_configILj256ELj13ELNS0_17block_load_methodE3ELS4_3ELS4_3ELNS0_20block_scan_algorithmE0ELj4294967295EEENS1_25partition_config_selectorILNS1_17partition_subalgoE4EjNS0_10empty_typeEbEEZZNS1_14partition_implILS8_4ELb0ES6_15HIP_vector_typeIjLj2EENS0_17counting_iteratorIjlEEPS9_SG_NS0_5tupleIJPjSI_NS0_16reverse_iteratorISI_EEEEENSH_IJSG_SG_SG_EEES9_SI_JZNS1_25segmented_radix_sort_implINS0_14default_configELb0EPKfPfPKlPlN2at6native12_GLOBAL__N_18offset_tEEE10hipError_tPvRmT1_PNSt15iterator_traitsIS12_E10value_typeET2_T3_PNS13_IS18_E10value_typeET4_jRbjT5_S1E_jjP12ihipStream_tbEUljE_ZNSN_ISO_Lb0ESQ_SR_ST_SU_SY_EESZ_S10_S11_S12_S16_S17_S18_S1B_S1C_jS1D_jS1E_S1E_jjS1G_bEUljE0_EEESZ_S10_S11_S18_S1C_S1E_T6_T7_T9_mT8_S1G_bDpT10_ENKUlT_T0_E_clISt17integral_constantIbLb1EES1U_EEDaS1P_S1Q_EUlS1P_E_NS1_11comp_targetILNS1_3genE9ELNS1_11target_archE1100ELNS1_3gpuE3ELNS1_3repE0EEENS1_30default_config_static_selectorELNS0_4arch9wavefront6targetE0EEEvS12_: ; @_ZN7rocprim17ROCPRIM_400000_NS6detail17trampoline_kernelINS0_13select_configILj256ELj13ELNS0_17block_load_methodE3ELS4_3ELS4_3ELNS0_20block_scan_algorithmE0ELj4294967295EEENS1_25partition_config_selectorILNS1_17partition_subalgoE4EjNS0_10empty_typeEbEEZZNS1_14partition_implILS8_4ELb0ES6_15HIP_vector_typeIjLj2EENS0_17counting_iteratorIjlEEPS9_SG_NS0_5tupleIJPjSI_NS0_16reverse_iteratorISI_EEEEENSH_IJSG_SG_SG_EEES9_SI_JZNS1_25segmented_radix_sort_implINS0_14default_configELb0EPKfPfPKlPlN2at6native12_GLOBAL__N_18offset_tEEE10hipError_tPvRmT1_PNSt15iterator_traitsIS12_E10value_typeET2_T3_PNS13_IS18_E10value_typeET4_jRbjT5_S1E_jjP12ihipStream_tbEUljE_ZNSN_ISO_Lb0ESQ_SR_ST_SU_SY_EESZ_S10_S11_S12_S16_S17_S18_S1B_S1C_jS1D_jS1E_S1E_jjS1G_bEUljE0_EEESZ_S10_S11_S18_S1C_S1E_T6_T7_T9_mT8_S1G_bDpT10_ENKUlT_T0_E_clISt17integral_constantIbLb1EES1U_EEDaS1P_S1Q_EUlS1P_E_NS1_11comp_targetILNS1_3genE9ELNS1_11target_archE1100ELNS1_3gpuE3ELNS1_3repE0EEENS1_30default_config_static_selectorELNS0_4arch9wavefront6targetE0EEEvS12_
; %bb.0:
	s_clause 0x7
	s_load_b64 s[34:35], s[0:1], 0x10
	s_load_b128 s[28:31], s[0:1], 0x28
	s_load_b64 s[14:15], s[0:1], 0x38
	s_load_b128 s[24:27], s[0:1], 0x58
	s_load_b64 s[4:5], s[0:1], 0x68
	s_load_b64 s[36:37], s[0:1], 0x78
	s_load_b64 s[38:39], s[0:1], 0xb0
	s_load_b256 s[16:23], s[0:1], 0x90
	v_cmp_eq_u32_e64 s2, 0, v0
	s_delay_alu instid0(VALU_DEP_1)
	s_and_saveexec_b32 s3, s2
	s_cbranch_execz .LBB1378_4
; %bb.1:
	s_mov_b32 s7, exec_lo
	s_mov_b32 s6, exec_lo
	v_mbcnt_lo_u32_b32 v1, s7, 0
                                        ; implicit-def: $vgpr2
	s_delay_alu instid0(VALU_DEP_1)
	v_cmpx_eq_u32_e32 0, v1
	s_cbranch_execz .LBB1378_3
; %bb.2:
	s_load_b64 s[8:9], s[0:1], 0x88
	s_bcnt1_i32_b32 s7, s7
	s_delay_alu instid0(SALU_CYCLE_1)
	v_dual_mov_b32 v2, 0 :: v_dual_mov_b32 v3, s7
	s_waitcnt lgkmcnt(0)
	global_atomic_add_u32 v2, v2, v3, s[8:9] glc
.LBB1378_3:
	s_or_b32 exec_lo, exec_lo, s6
	s_waitcnt vmcnt(0)
	v_readfirstlane_b32 s6, v2
	s_delay_alu instid0(VALU_DEP_1)
	v_dual_mov_b32 v2, 0 :: v_dual_add_nc_u32 v1, s6, v1
	ds_store_b32 v2, v1
.LBB1378_4:
	s_or_b32 exec_lo, exec_lo, s3
	v_mov_b32_e32 v1, 0
	s_clause 0x1
	s_load_b32 s3, s[0:1], 0x8
	s_load_b32 s0, s[0:1], 0x80
	s_waitcnt lgkmcnt(0)
	s_barrier
	buffer_gl0_inv
	ds_load_b32 v5, v1
	s_waitcnt lgkmcnt(0)
	s_barrier
	buffer_gl0_inv
	global_load_b128 v[1:4], v1, s[26:27]
	s_add_i32 s3, s3, s34
	s_mul_i32 s1, s0, 0xd00
	s_add_i32 s0, s0, -1
	s_add_u32 s6, s34, s1
	s_addc_u32 s7, s35, 0
	v_mul_lo_u32 v30, 0xd00, v5
	v_readfirstlane_b32 s26, v5
	v_cmp_lt_u64_e64 s5, s[6:7], s[4:5]
	v_cmp_ne_u32_e32 vcc_lo, s0, v5
	s_delay_alu instid0(VALU_DEP_3) | instskip(SKIP_1) | instid1(VALU_DEP_4)
	s_cmp_eq_u32 s26, s0
	s_cselect_b32 s13, -1, 0
	v_add3_u32 v5, v30, s3, v0
	s_delay_alu instid0(VALU_DEP_3) | instskip(SKIP_2) | instid1(VALU_DEP_1)
	s_or_b32 s0, s5, vcc_lo
	s_mov_b32 s3, -1
	s_and_b32 vcc_lo, exec_lo, s0
	v_add_nc_u32_e32 v6, 0x100, v5
	v_add_nc_u32_e32 v7, 0x200, v5
	;; [unrolled: 1-line block ×12, first 2 shown]
	s_cbranch_vccz .LBB1378_6
; %bb.5:
	v_lshlrev_b32_e32 v18, 2, v0
	s_mov_b32 s3, 0
	ds_store_2addr_stride64_b32 v18, v5, v6 offset1:4
	ds_store_2addr_stride64_b32 v18, v7, v8 offset0:8 offset1:12
	ds_store_2addr_stride64_b32 v18, v9, v10 offset0:16 offset1:20
	ds_store_2addr_stride64_b32 v18, v11, v12 offset0:24 offset1:28
	ds_store_2addr_stride64_b32 v18, v13, v14 offset0:32 offset1:36
	ds_store_2addr_stride64_b32 v18, v15, v16 offset0:40 offset1:44
	ds_store_b32 v18, v17 offset:12288
	s_waitcnt vmcnt(0) lgkmcnt(0)
	s_barrier
.LBB1378_6:
	s_and_not1_b32 vcc_lo, exec_lo, s3
	s_add_i32 s1, s1, s34
	s_cbranch_vccnz .LBB1378_8
; %bb.7:
	v_lshlrev_b32_e32 v18, 2, v0
	ds_store_2addr_stride64_b32 v18, v5, v6 offset1:4
	ds_store_2addr_stride64_b32 v18, v7, v8 offset0:8 offset1:12
	ds_store_2addr_stride64_b32 v18, v9, v10 offset0:16 offset1:20
	;; [unrolled: 1-line block ×5, first 2 shown]
	ds_store_b32 v18, v17 offset:12288
	s_waitcnt vmcnt(0) lgkmcnt(0)
	s_barrier
.LBB1378_8:
	v_mul_u32_u24_e32 v33, 13, v0
	s_waitcnt vmcnt(0)
	buffer_gl0_inv
	v_cndmask_b32_e64 v31, 0, 1, s0
	s_sub_i32 s40, s4, s1
	s_and_not1_b32 vcc_lo, exec_lo, s0
	v_lshlrev_b32_e32 v5, 2, v33
	ds_load_2addr_b32 v[20:21], v5 offset1:1
	ds_load_2addr_b32 v[18:19], v5 offset0:2 offset1:3
	ds_load_2addr_b32 v[16:17], v5 offset0:4 offset1:5
	ds_load_2addr_b32 v[14:15], v5 offset0:6 offset1:7
	ds_load_2addr_b32 v[12:13], v5 offset0:8 offset1:9
	ds_load_2addr_b32 v[10:11], v5 offset0:10 offset1:11
	ds_load_b32 v32, v5 offset:48
	s_waitcnt lgkmcnt(0)
	s_barrier
	buffer_gl0_inv
	s_cbranch_vccnz .LBB1378_36
; %bb.9:
	v_add_nc_u32_e32 v5, s17, v20
	v_add_nc_u32_e32 v6, s19, v20
	s_mov_b32 s42, 0
	s_mov_b32 s41, 0
	s_mov_b32 s1, exec_lo
	v_mul_lo_u32 v5, v5, s16
	v_mul_lo_u32 v6, v6, s18
	s_delay_alu instid0(VALU_DEP_1) | instskip(NEXT) | instid1(VALU_DEP_1)
	v_sub_nc_u32_e32 v5, v5, v6
	v_cmp_lt_u32_e32 vcc_lo, s20, v5
	v_cmpx_ge_u32_e64 s20, v5
; %bb.10:
	v_add_nc_u32_e32 v5, s22, v20
	v_add_nc_u32_e32 v6, s38, v20
	s_delay_alu instid0(VALU_DEP_2) | instskip(NEXT) | instid1(VALU_DEP_2)
	v_mul_lo_u32 v5, v5, s21
	v_mul_lo_u32 v6, v6, s23
	s_delay_alu instid0(VALU_DEP_1) | instskip(NEXT) | instid1(VALU_DEP_1)
	v_sub_nc_u32_e32 v5, v5, v6
	v_cmp_lt_u32_e64 s0, s39, v5
	s_delay_alu instid0(VALU_DEP_1)
	s_and_b32 s41, s0, exec_lo
; %bb.11:
	s_or_b32 exec_lo, exec_lo, s1
	v_add_nc_u32_e32 v5, s17, v21
	v_add_nc_u32_e32 v6, s19, v21
	s_mov_b32 s3, exec_lo
	s_delay_alu instid0(VALU_DEP_2) | instskip(NEXT) | instid1(VALU_DEP_2)
	v_mul_lo_u32 v5, v5, s16
	v_mul_lo_u32 v6, v6, s18
	s_delay_alu instid0(VALU_DEP_1) | instskip(NEXT) | instid1(VALU_DEP_1)
	v_sub_nc_u32_e32 v5, v5, v6
	v_cmp_lt_u32_e64 s0, s20, v5
	v_cmpx_ge_u32_e64 s20, v5
; %bb.12:
	v_add_nc_u32_e32 v5, s22, v21
	v_add_nc_u32_e32 v6, s38, v21
	s_delay_alu instid0(VALU_DEP_2) | instskip(NEXT) | instid1(VALU_DEP_2)
	v_mul_lo_u32 v5, v5, s21
	v_mul_lo_u32 v6, v6, s23
	s_delay_alu instid0(VALU_DEP_1) | instskip(NEXT) | instid1(VALU_DEP_1)
	v_sub_nc_u32_e32 v5, v5, v6
	v_cmp_lt_u32_e64 s1, s39, v5
	s_delay_alu instid0(VALU_DEP_1)
	s_and_b32 s42, s1, exec_lo
; %bb.13:
	s_or_b32 exec_lo, exec_lo, s3
	v_add_nc_u32_e32 v5, s17, v18
	v_add_nc_u32_e32 v6, s19, v18
	s_mov_b32 s44, 0
	s_mov_b32 s43, 0
	s_mov_b32 s4, exec_lo
	v_mul_lo_u32 v5, v5, s16
	v_mul_lo_u32 v6, v6, s18
	s_delay_alu instid0(VALU_DEP_1) | instskip(NEXT) | instid1(VALU_DEP_1)
	v_sub_nc_u32_e32 v5, v5, v6
	v_cmp_lt_u32_e64 s1, s20, v5
	v_cmpx_ge_u32_e64 s20, v5
; %bb.14:
	v_add_nc_u32_e32 v5, s22, v18
	v_add_nc_u32_e32 v6, s38, v18
	s_delay_alu instid0(VALU_DEP_2) | instskip(NEXT) | instid1(VALU_DEP_2)
	v_mul_lo_u32 v5, v5, s21
	v_mul_lo_u32 v6, v6, s23
	s_delay_alu instid0(VALU_DEP_1) | instskip(NEXT) | instid1(VALU_DEP_1)
	v_sub_nc_u32_e32 v5, v5, v6
	v_cmp_lt_u32_e64 s3, s39, v5
	s_delay_alu instid0(VALU_DEP_1)
	s_and_b32 s43, s3, exec_lo
; %bb.15:
	s_or_b32 exec_lo, exec_lo, s4
	v_add_nc_u32_e32 v5, s17, v19
	v_add_nc_u32_e32 v6, s19, v19
	s_mov_b32 s5, exec_lo
	s_delay_alu instid0(VALU_DEP_2) | instskip(NEXT) | instid1(VALU_DEP_2)
	v_mul_lo_u32 v5, v5, s16
	v_mul_lo_u32 v6, v6, s18
	s_delay_alu instid0(VALU_DEP_1) | instskip(NEXT) | instid1(VALU_DEP_1)
	v_sub_nc_u32_e32 v5, v5, v6
	v_cmp_lt_u32_e64 s3, s20, v5
	v_cmpx_ge_u32_e64 s20, v5
; %bb.16:
	v_add_nc_u32_e32 v5, s22, v19
	v_add_nc_u32_e32 v6, s38, v19
	s_delay_alu instid0(VALU_DEP_2) | instskip(NEXT) | instid1(VALU_DEP_2)
	v_mul_lo_u32 v5, v5, s21
	v_mul_lo_u32 v6, v6, s23
	s_delay_alu instid0(VALU_DEP_1) | instskip(NEXT) | instid1(VALU_DEP_1)
	v_sub_nc_u32_e32 v5, v5, v6
	v_cmp_lt_u32_e64 s4, s39, v5
	s_delay_alu instid0(VALU_DEP_1)
	s_and_b32 s44, s4, exec_lo
; %bb.17:
	s_or_b32 exec_lo, exec_lo, s5
	v_add_nc_u32_e32 v5, s17, v16
	v_add_nc_u32_e32 v6, s19, v16
	s_mov_b32 s46, 0
	s_mov_b32 s45, 0
	s_mov_b32 s6, exec_lo
	v_mul_lo_u32 v5, v5, s16
	v_mul_lo_u32 v6, v6, s18
	s_delay_alu instid0(VALU_DEP_1) | instskip(NEXT) | instid1(VALU_DEP_1)
	v_sub_nc_u32_e32 v5, v5, v6
	v_cmp_lt_u32_e64 s4, s20, v5
	v_cmpx_ge_u32_e64 s20, v5
; %bb.18:
	v_add_nc_u32_e32 v5, s22, v16
	v_add_nc_u32_e32 v6, s38, v16
	s_delay_alu instid0(VALU_DEP_2) | instskip(NEXT) | instid1(VALU_DEP_2)
	v_mul_lo_u32 v5, v5, s21
	v_mul_lo_u32 v6, v6, s23
	s_delay_alu instid0(VALU_DEP_1) | instskip(NEXT) | instid1(VALU_DEP_1)
	v_sub_nc_u32_e32 v5, v5, v6
	v_cmp_lt_u32_e64 s5, s39, v5
	s_delay_alu instid0(VALU_DEP_1)
	s_and_b32 s45, s5, exec_lo
; %bb.19:
	s_or_b32 exec_lo, exec_lo, s6
	v_add_nc_u32_e32 v5, s17, v17
	v_add_nc_u32_e32 v6, s19, v17
	s_mov_b32 s7, exec_lo
	s_delay_alu instid0(VALU_DEP_2) | instskip(NEXT) | instid1(VALU_DEP_2)
	v_mul_lo_u32 v5, v5, s16
	v_mul_lo_u32 v6, v6, s18
	s_delay_alu instid0(VALU_DEP_1) | instskip(NEXT) | instid1(VALU_DEP_1)
	v_sub_nc_u32_e32 v5, v5, v6
	v_cmp_lt_u32_e64 s5, s20, v5
	v_cmpx_ge_u32_e64 s20, v5
; %bb.20:
	v_add_nc_u32_e32 v5, s22, v17
	v_add_nc_u32_e32 v6, s38, v17
	s_delay_alu instid0(VALU_DEP_2) | instskip(NEXT) | instid1(VALU_DEP_2)
	v_mul_lo_u32 v5, v5, s21
	v_mul_lo_u32 v6, v6, s23
	s_delay_alu instid0(VALU_DEP_1) | instskip(NEXT) | instid1(VALU_DEP_1)
	v_sub_nc_u32_e32 v5, v5, v6
	v_cmp_lt_u32_e64 s6, s39, v5
	s_delay_alu instid0(VALU_DEP_1)
	s_and_b32 s46, s6, exec_lo
; %bb.21:
	s_or_b32 exec_lo, exec_lo, s7
	v_add_nc_u32_e32 v5, s17, v14
	v_add_nc_u32_e32 v6, s19, v14
	s_mov_b32 s48, 0
	s_mov_b32 s47, 0
	s_mov_b32 s8, exec_lo
	v_mul_lo_u32 v5, v5, s16
	v_mul_lo_u32 v6, v6, s18
	s_delay_alu instid0(VALU_DEP_1) | instskip(NEXT) | instid1(VALU_DEP_1)
	v_sub_nc_u32_e32 v5, v5, v6
	v_cmp_lt_u32_e64 s6, s20, v5
	v_cmpx_ge_u32_e64 s20, v5
; %bb.22:
	v_add_nc_u32_e32 v5, s22, v14
	v_add_nc_u32_e32 v6, s38, v14
	s_delay_alu instid0(VALU_DEP_2) | instskip(NEXT) | instid1(VALU_DEP_2)
	v_mul_lo_u32 v5, v5, s21
	v_mul_lo_u32 v6, v6, s23
	s_delay_alu instid0(VALU_DEP_1) | instskip(NEXT) | instid1(VALU_DEP_1)
	v_sub_nc_u32_e32 v5, v5, v6
	v_cmp_lt_u32_e64 s7, s39, v5
	s_delay_alu instid0(VALU_DEP_1)
	s_and_b32 s47, s7, exec_lo
; %bb.23:
	s_or_b32 exec_lo, exec_lo, s8
	v_add_nc_u32_e32 v5, s17, v15
	v_add_nc_u32_e32 v6, s19, v15
	s_mov_b32 s9, exec_lo
	s_delay_alu instid0(VALU_DEP_2) | instskip(NEXT) | instid1(VALU_DEP_2)
	v_mul_lo_u32 v5, v5, s16
	v_mul_lo_u32 v6, v6, s18
	s_delay_alu instid0(VALU_DEP_1) | instskip(NEXT) | instid1(VALU_DEP_1)
	v_sub_nc_u32_e32 v5, v5, v6
	v_cmp_lt_u32_e64 s7, s20, v5
	v_cmpx_ge_u32_e64 s20, v5
; %bb.24:
	v_add_nc_u32_e32 v5, s22, v15
	v_add_nc_u32_e32 v6, s38, v15
	s_delay_alu instid0(VALU_DEP_2) | instskip(NEXT) | instid1(VALU_DEP_2)
	v_mul_lo_u32 v5, v5, s21
	v_mul_lo_u32 v6, v6, s23
	s_delay_alu instid0(VALU_DEP_1) | instskip(NEXT) | instid1(VALU_DEP_1)
	v_sub_nc_u32_e32 v5, v5, v6
	v_cmp_lt_u32_e64 s8, s39, v5
	s_delay_alu instid0(VALU_DEP_1)
	s_and_b32 s48, s8, exec_lo
; %bb.25:
	s_or_b32 exec_lo, exec_lo, s9
	v_add_nc_u32_e32 v5, s17, v12
	v_add_nc_u32_e32 v6, s19, v12
	s_mov_b32 s51, 0
	s_mov_b32 s50, 0
	s_mov_b32 s10, exec_lo
	v_mul_lo_u32 v5, v5, s16
	v_mul_lo_u32 v6, v6, s18
	s_delay_alu instid0(VALU_DEP_1) | instskip(NEXT) | instid1(VALU_DEP_1)
	v_sub_nc_u32_e32 v5, v5, v6
	v_cmp_lt_u32_e64 s8, s20, v5
	v_cmpx_ge_u32_e64 s20, v5
; %bb.26:
	v_add_nc_u32_e32 v5, s22, v12
	v_add_nc_u32_e32 v6, s38, v12
	s_delay_alu instid0(VALU_DEP_2) | instskip(NEXT) | instid1(VALU_DEP_2)
	v_mul_lo_u32 v5, v5, s21
	v_mul_lo_u32 v6, v6, s23
	s_delay_alu instid0(VALU_DEP_1) | instskip(NEXT) | instid1(VALU_DEP_1)
	v_sub_nc_u32_e32 v5, v5, v6
	v_cmp_lt_u32_e64 s9, s39, v5
	s_delay_alu instid0(VALU_DEP_1)
	s_and_b32 s50, s9, exec_lo
; %bb.27:
	s_or_b32 exec_lo, exec_lo, s10
	v_add_nc_u32_e32 v5, s17, v13
	v_add_nc_u32_e32 v6, s19, v13
	s_mov_b32 s11, exec_lo
	s_delay_alu instid0(VALU_DEP_2) | instskip(NEXT) | instid1(VALU_DEP_2)
	v_mul_lo_u32 v5, v5, s16
	v_mul_lo_u32 v6, v6, s18
	s_delay_alu instid0(VALU_DEP_1) | instskip(NEXT) | instid1(VALU_DEP_1)
	v_sub_nc_u32_e32 v5, v5, v6
	v_cmp_lt_u32_e64 s9, s20, v5
	v_cmpx_ge_u32_e64 s20, v5
; %bb.28:
	v_add_nc_u32_e32 v5, s22, v13
	v_add_nc_u32_e32 v6, s38, v13
	s_delay_alu instid0(VALU_DEP_2) | instskip(NEXT) | instid1(VALU_DEP_2)
	v_mul_lo_u32 v5, v5, s21
	v_mul_lo_u32 v6, v6, s23
	s_delay_alu instid0(VALU_DEP_1) | instskip(NEXT) | instid1(VALU_DEP_1)
	v_sub_nc_u32_e32 v5, v5, v6
	v_cmp_lt_u32_e64 s10, s39, v5
	s_delay_alu instid0(VALU_DEP_1)
	s_and_b32 s51, s10, exec_lo
; %bb.29:
	s_or_b32 exec_lo, exec_lo, s11
	v_add_nc_u32_e32 v5, s17, v10
	v_add_nc_u32_e32 v6, s19, v10
	s_mov_b32 s52, 0
	s_mov_b32 s53, 0
	s_mov_b32 s12, exec_lo
	v_mul_lo_u32 v5, v5, s16
	v_mul_lo_u32 v6, v6, s18
	s_delay_alu instid0(VALU_DEP_1) | instskip(NEXT) | instid1(VALU_DEP_1)
	v_sub_nc_u32_e32 v5, v5, v6
	v_cmp_lt_u32_e64 s10, s20, v5
	v_cmpx_ge_u32_e64 s20, v5
; %bb.30:
	v_add_nc_u32_e32 v5, s22, v10
	v_add_nc_u32_e32 v6, s38, v10
	s_delay_alu instid0(VALU_DEP_2) | instskip(NEXT) | instid1(VALU_DEP_2)
	v_mul_lo_u32 v5, v5, s21
	v_mul_lo_u32 v6, v6, s23
	s_delay_alu instid0(VALU_DEP_1) | instskip(NEXT) | instid1(VALU_DEP_1)
	v_sub_nc_u32_e32 v5, v5, v6
	v_cmp_lt_u32_e64 s11, s39, v5
	s_delay_alu instid0(VALU_DEP_1)
	s_and_b32 s53, s11, exec_lo
; %bb.31:
	s_or_b32 exec_lo, exec_lo, s12
	v_add_nc_u32_e32 v5, s17, v11
	v_add_nc_u32_e32 v6, s19, v11
	s_mov_b32 s27, exec_lo
	s_delay_alu instid0(VALU_DEP_2) | instskip(NEXT) | instid1(VALU_DEP_2)
	v_mul_lo_u32 v5, v5, s16
	v_mul_lo_u32 v6, v6, s18
	s_delay_alu instid0(VALU_DEP_1) | instskip(NEXT) | instid1(VALU_DEP_1)
	v_sub_nc_u32_e32 v5, v5, v6
	v_cmp_lt_u32_e64 s11, s20, v5
	v_cmpx_ge_u32_e64 s20, v5
; %bb.32:
	v_add_nc_u32_e32 v5, s22, v11
	v_add_nc_u32_e32 v6, s38, v11
	s_delay_alu instid0(VALU_DEP_2) | instskip(NEXT) | instid1(VALU_DEP_2)
	v_mul_lo_u32 v5, v5, s21
	v_mul_lo_u32 v6, v6, s23
	s_delay_alu instid0(VALU_DEP_1) | instskip(NEXT) | instid1(VALU_DEP_1)
	v_sub_nc_u32_e32 v5, v5, v6
	v_cmp_lt_u32_e64 s12, s39, v5
	s_delay_alu instid0(VALU_DEP_1)
	s_and_b32 s52, s12, exec_lo
; %bb.33:
	s_or_b32 exec_lo, exec_lo, s27
	v_add_nc_u32_e32 v5, s17, v32
	v_add_nc_u32_e32 v6, s19, v32
	s_mov_b32 s27, -1
	s_mov_b32 s49, 0
	s_mov_b32 s33, 0
	v_mul_lo_u32 v5, v5, s16
	v_mul_lo_u32 v6, v6, s18
	s_mov_b32 s54, exec_lo
	s_delay_alu instid0(VALU_DEP_1) | instskip(NEXT) | instid1(VALU_DEP_1)
	v_sub_nc_u32_e32 v5, v5, v6
	v_cmpx_ge_u32_e64 s20, v5
; %bb.34:
	v_add_nc_u32_e32 v5, s22, v32
	v_add_nc_u32_e32 v6, s38, v32
	s_xor_b32 s27, exec_lo, -1
	s_delay_alu instid0(VALU_DEP_2) | instskip(NEXT) | instid1(VALU_DEP_2)
	v_mul_lo_u32 v5, v5, s21
	v_mul_lo_u32 v6, v6, s23
	s_delay_alu instid0(VALU_DEP_1) | instskip(NEXT) | instid1(VALU_DEP_1)
	v_sub_nc_u32_e32 v5, v5, v6
	v_cmp_lt_u32_e64 s12, s39, v5
	s_delay_alu instid0(VALU_DEP_1)
	s_and_b32 s33, s12, exec_lo
; %bb.35:
	s_or_b32 exec_lo, exec_lo, s54
	v_cndmask_b32_e64 v53, 0, 1, s53
	v_cndmask_b32_e64 v56, 0, 1, s11
	;; [unrolled: 1-line block ×22, first 2 shown]
	v_cndmask_b32_e64 v34, 0, 1, vcc_lo
	v_cndmask_b32_e64 v57, 0, 1, s52
	s_and_b32 vcc_lo, exec_lo, s49
	s_add_i32 s4, s40, 0xd00
	s_cbranch_vccnz .LBB1378_37
	s_branch .LBB1378_90
.LBB1378_36:
                                        ; implicit-def: $sgpr27
                                        ; implicit-def: $sgpr33
                                        ; implicit-def: $vgpr57
                                        ; implicit-def: $vgpr53
                                        ; implicit-def: $vgpr52
                                        ; implicit-def: $vgpr50
                                        ; implicit-def: $vgpr48
                                        ; implicit-def: $vgpr46
                                        ; implicit-def: $vgpr44
                                        ; implicit-def: $vgpr42
                                        ; implicit-def: $vgpr39
                                        ; implicit-def: $vgpr34
                                        ; implicit-def: $vgpr37
                                        ; implicit-def: $vgpr36
                                        ; implicit-def: $vgpr41
                                        ; implicit-def: $vgpr43
                                        ; implicit-def: $vgpr45
                                        ; implicit-def: $vgpr47
                                        ; implicit-def: $vgpr49
                                        ; implicit-def: $vgpr51
                                        ; implicit-def: $vgpr54
                                        ; implicit-def: $vgpr55
                                        ; implicit-def: $vgpr56
                                        ; implicit-def: $vgpr35
                                        ; implicit-def: $vgpr40
                                        ; implicit-def: $vgpr38
	s_add_i32 s4, s40, 0xd00
	s_cbranch_execz .LBB1378_90
.LBB1378_37:
	v_dual_mov_b32 v35, 0 :: v_dual_mov_b32 v34, 0
	s_mov_b32 s3, 0
	s_mov_b32 s1, exec_lo
	v_cmpx_gt_u32_e64 s4, v33
	s_cbranch_execz .LBB1378_41
; %bb.38:
	v_add_nc_u32_e32 v5, s17, v20
	v_add_nc_u32_e32 v6, s19, v20
	s_mov_b32 s5, exec_lo
	s_delay_alu instid0(VALU_DEP_2) | instskip(NEXT) | instid1(VALU_DEP_2)
	v_mul_lo_u32 v5, v5, s16
	v_mul_lo_u32 v6, v6, s18
	s_delay_alu instid0(VALU_DEP_1) | instskip(NEXT) | instid1(VALU_DEP_1)
	v_sub_nc_u32_e32 v5, v5, v6
	v_cmp_lt_u32_e32 vcc_lo, s20, v5
	v_cmpx_ge_u32_e64 s20, v5
; %bb.39:
	v_add_nc_u32_e32 v5, s22, v20
	v_add_nc_u32_e32 v6, s38, v20
	s_delay_alu instid0(VALU_DEP_2) | instskip(NEXT) | instid1(VALU_DEP_2)
	v_mul_lo_u32 v5, v5, s21
	v_mul_lo_u32 v6, v6, s23
	s_delay_alu instid0(VALU_DEP_1) | instskip(NEXT) | instid1(VALU_DEP_1)
	v_sub_nc_u32_e32 v5, v5, v6
	v_cmp_lt_u32_e64 s0, s39, v5
	s_delay_alu instid0(VALU_DEP_1)
	s_and_b32 s3, s0, exec_lo
; %bb.40:
	s_or_b32 exec_lo, exec_lo, s5
	v_cndmask_b32_e64 v34, 0, 1, vcc_lo
	v_cndmask_b32_e64 v35, 0, 1, s3
.LBB1378_41:
	s_or_b32 exec_lo, exec_lo, s1
	v_dual_mov_b32 v40, 0 :: v_dual_add_nc_u32 v5, 1, v33
	v_mov_b32_e32 v37, 0
	s_mov_b32 s3, 0
	s_mov_b32 s1, exec_lo
	s_delay_alu instid0(VALU_DEP_2)
	v_cmpx_gt_u32_e64 s4, v5
	s_cbranch_execz .LBB1378_45
; %bb.42:
	v_add_nc_u32_e32 v5, s17, v21
	v_add_nc_u32_e32 v6, s19, v21
	s_mov_b32 s5, exec_lo
	s_delay_alu instid0(VALU_DEP_2) | instskip(NEXT) | instid1(VALU_DEP_2)
	v_mul_lo_u32 v5, v5, s16
	v_mul_lo_u32 v6, v6, s18
	s_delay_alu instid0(VALU_DEP_1) | instskip(NEXT) | instid1(VALU_DEP_1)
	v_sub_nc_u32_e32 v5, v5, v6
	v_cmp_lt_u32_e32 vcc_lo, s20, v5
	v_cmpx_ge_u32_e64 s20, v5
; %bb.43:
	v_add_nc_u32_e32 v5, s22, v21
	v_add_nc_u32_e32 v6, s38, v21
	s_delay_alu instid0(VALU_DEP_2) | instskip(NEXT) | instid1(VALU_DEP_2)
	v_mul_lo_u32 v5, v5, s21
	v_mul_lo_u32 v6, v6, s23
	s_delay_alu instid0(VALU_DEP_1) | instskip(NEXT) | instid1(VALU_DEP_1)
	v_sub_nc_u32_e32 v5, v5, v6
	v_cmp_lt_u32_e64 s0, s39, v5
	s_delay_alu instid0(VALU_DEP_1)
	s_and_b32 s3, s0, exec_lo
; %bb.44:
	s_or_b32 exec_lo, exec_lo, s5
	v_cndmask_b32_e64 v37, 0, 1, vcc_lo
	v_cndmask_b32_e64 v40, 0, 1, s3
.LBB1378_45:
	s_or_b32 exec_lo, exec_lo, s1
	v_dual_mov_b32 v36, 0 :: v_dual_add_nc_u32 v5, 2, v33
	v_mov_b32_e32 v38, 0
	s_mov_b32 s3, 0
	s_mov_b32 s1, exec_lo
	s_delay_alu instid0(VALU_DEP_2)
	v_cmpx_gt_u32_e64 s4, v5
	s_cbranch_execz .LBB1378_49
; %bb.46:
	v_add_nc_u32_e32 v5, s17, v18
	v_add_nc_u32_e32 v6, s19, v18
	s_mov_b32 s5, exec_lo
	s_delay_alu instid0(VALU_DEP_2) | instskip(NEXT) | instid1(VALU_DEP_2)
	v_mul_lo_u32 v5, v5, s16
	v_mul_lo_u32 v6, v6, s18
	s_delay_alu instid0(VALU_DEP_1) | instskip(NEXT) | instid1(VALU_DEP_1)
	v_sub_nc_u32_e32 v5, v5, v6
	v_cmp_lt_u32_e32 vcc_lo, s20, v5
	v_cmpx_ge_u32_e64 s20, v5
; %bb.47:
	v_add_nc_u32_e32 v5, s22, v18
	v_add_nc_u32_e32 v6, s38, v18
	s_delay_alu instid0(VALU_DEP_2) | instskip(NEXT) | instid1(VALU_DEP_2)
	v_mul_lo_u32 v5, v5, s21
	v_mul_lo_u32 v6, v6, s23
	s_delay_alu instid0(VALU_DEP_1) | instskip(NEXT) | instid1(VALU_DEP_1)
	v_sub_nc_u32_e32 v5, v5, v6
	v_cmp_lt_u32_e64 s0, s39, v5
	s_delay_alu instid0(VALU_DEP_1)
	s_and_b32 s3, s0, exec_lo
; %bb.48:
	s_or_b32 exec_lo, exec_lo, s5
	v_cndmask_b32_e64 v36, 0, 1, vcc_lo
	v_cndmask_b32_e64 v38, 0, 1, s3
.LBB1378_49:
	s_or_b32 exec_lo, exec_lo, s1
	v_add_nc_u32_e32 v5, 3, v33
	v_mov_b32_e32 v39, 0
	v_mov_b32_e32 v41, 0
	s_mov_b32 s3, 0
	s_mov_b32 s1, exec_lo
	v_cmpx_gt_u32_e64 s4, v5
	s_cbranch_execz .LBB1378_53
; %bb.50:
	v_add_nc_u32_e32 v5, s17, v19
	v_add_nc_u32_e32 v6, s19, v19
	s_mov_b32 s5, exec_lo
	s_delay_alu instid0(VALU_DEP_2) | instskip(NEXT) | instid1(VALU_DEP_2)
	v_mul_lo_u32 v5, v5, s16
	v_mul_lo_u32 v6, v6, s18
	s_delay_alu instid0(VALU_DEP_1) | instskip(NEXT) | instid1(VALU_DEP_1)
	v_sub_nc_u32_e32 v5, v5, v6
	v_cmp_lt_u32_e32 vcc_lo, s20, v5
	v_cmpx_ge_u32_e64 s20, v5
; %bb.51:
	v_add_nc_u32_e32 v5, s22, v19
	v_add_nc_u32_e32 v6, s38, v19
	s_delay_alu instid0(VALU_DEP_2) | instskip(NEXT) | instid1(VALU_DEP_2)
	v_mul_lo_u32 v5, v5, s21
	v_mul_lo_u32 v6, v6, s23
	s_delay_alu instid0(VALU_DEP_1) | instskip(NEXT) | instid1(VALU_DEP_1)
	v_sub_nc_u32_e32 v5, v5, v6
	v_cmp_lt_u32_e64 s0, s39, v5
	s_delay_alu instid0(VALU_DEP_1)
	s_and_b32 s3, s0, exec_lo
; %bb.52:
	s_or_b32 exec_lo, exec_lo, s5
	v_cndmask_b32_e64 v41, 0, 1, vcc_lo
	v_cndmask_b32_e64 v39, 0, 1, s3
.LBB1378_53:
	s_or_b32 exec_lo, exec_lo, s1
	v_dual_mov_b32 v42, 0 :: v_dual_add_nc_u32 v5, 4, v33
	v_mov_b32_e32 v43, 0
	s_mov_b32 s3, 0
	s_mov_b32 s1, exec_lo
	s_delay_alu instid0(VALU_DEP_2)
	v_cmpx_gt_u32_e64 s4, v5
	s_cbranch_execz .LBB1378_57
; %bb.54:
	v_add_nc_u32_e32 v5, s17, v16
	v_add_nc_u32_e32 v6, s19, v16
	s_mov_b32 s5, exec_lo
	s_delay_alu instid0(VALU_DEP_2) | instskip(NEXT) | instid1(VALU_DEP_2)
	v_mul_lo_u32 v5, v5, s16
	v_mul_lo_u32 v6, v6, s18
	s_delay_alu instid0(VALU_DEP_1) | instskip(NEXT) | instid1(VALU_DEP_1)
	v_sub_nc_u32_e32 v5, v5, v6
	v_cmp_lt_u32_e32 vcc_lo, s20, v5
	v_cmpx_ge_u32_e64 s20, v5
; %bb.55:
	v_add_nc_u32_e32 v5, s22, v16
	v_add_nc_u32_e32 v6, s38, v16
	s_delay_alu instid0(VALU_DEP_2) | instskip(NEXT) | instid1(VALU_DEP_2)
	v_mul_lo_u32 v5, v5, s21
	v_mul_lo_u32 v6, v6, s23
	s_delay_alu instid0(VALU_DEP_1) | instskip(NEXT) | instid1(VALU_DEP_1)
	v_sub_nc_u32_e32 v5, v5, v6
	v_cmp_lt_u32_e64 s0, s39, v5
	s_delay_alu instid0(VALU_DEP_1)
	s_and_b32 s3, s0, exec_lo
; %bb.56:
	s_or_b32 exec_lo, exec_lo, s5
	v_cndmask_b32_e64 v43, 0, 1, vcc_lo
	v_cndmask_b32_e64 v42, 0, 1, s3
.LBB1378_57:
	s_or_b32 exec_lo, exec_lo, s1
	v_dual_mov_b32 v44, 0 :: v_dual_add_nc_u32 v5, 5, v33
	v_mov_b32_e32 v45, 0
	s_mov_b32 s3, 0
	s_mov_b32 s1, exec_lo
	s_delay_alu instid0(VALU_DEP_2)
	;; [unrolled: 35-line block ×6, first 2 shown]
	v_cmpx_gt_u32_e64 s4, v5
	s_cbranch_execz .LBB1378_77
; %bb.74:
	v_add_nc_u32_e32 v5, s17, v13
	v_add_nc_u32_e32 v6, s19, v13
	s_mov_b32 s5, exec_lo
	s_delay_alu instid0(VALU_DEP_2) | instskip(NEXT) | instid1(VALU_DEP_2)
	v_mul_lo_u32 v5, v5, s16
	v_mul_lo_u32 v6, v6, s18
	s_delay_alu instid0(VALU_DEP_1) | instskip(NEXT) | instid1(VALU_DEP_1)
	v_sub_nc_u32_e32 v5, v5, v6
	v_cmp_lt_u32_e32 vcc_lo, s20, v5
	v_cmpx_ge_u32_e64 s20, v5
; %bb.75:
	v_add_nc_u32_e32 v5, s22, v13
	v_add_nc_u32_e32 v6, s38, v13
	s_delay_alu instid0(VALU_DEP_2) | instskip(NEXT) | instid1(VALU_DEP_2)
	v_mul_lo_u32 v5, v5, s21
	v_mul_lo_u32 v6, v6, s23
	s_delay_alu instid0(VALU_DEP_1) | instskip(NEXT) | instid1(VALU_DEP_1)
	v_sub_nc_u32_e32 v5, v5, v6
	v_cmp_lt_u32_e64 s0, s39, v5
	s_delay_alu instid0(VALU_DEP_1)
	s_and_b32 s3, s0, exec_lo
; %bb.76:
	s_or_b32 exec_lo, exec_lo, s5
	v_cndmask_b32_e64 v54, 0, 1, vcc_lo
	v_cndmask_b32_e64 v52, 0, 1, s3
.LBB1378_77:
	s_or_b32 exec_lo, exec_lo, s1
	v_add_nc_u32_e32 v5, 10, v33
	v_mov_b32_e32 v53, 0
	v_mov_b32_e32 v55, 0
	s_mov_b32 s3, 0
	s_mov_b32 s1, exec_lo
	v_cmpx_gt_u32_e64 s4, v5
	s_cbranch_execz .LBB1378_81
; %bb.78:
	v_add_nc_u32_e32 v5, s17, v10
	v_add_nc_u32_e32 v6, s19, v10
	s_mov_b32 s5, exec_lo
	s_delay_alu instid0(VALU_DEP_2) | instskip(NEXT) | instid1(VALU_DEP_2)
	v_mul_lo_u32 v5, v5, s16
	v_mul_lo_u32 v6, v6, s18
	s_delay_alu instid0(VALU_DEP_1) | instskip(NEXT) | instid1(VALU_DEP_1)
	v_sub_nc_u32_e32 v5, v5, v6
	v_cmp_lt_u32_e32 vcc_lo, s20, v5
	v_cmpx_ge_u32_e64 s20, v5
; %bb.79:
	v_add_nc_u32_e32 v5, s22, v10
	v_add_nc_u32_e32 v6, s38, v10
	s_delay_alu instid0(VALU_DEP_2) | instskip(NEXT) | instid1(VALU_DEP_2)
	v_mul_lo_u32 v5, v5, s21
	v_mul_lo_u32 v6, v6, s23
	s_delay_alu instid0(VALU_DEP_1) | instskip(NEXT) | instid1(VALU_DEP_1)
	v_sub_nc_u32_e32 v5, v5, v6
	v_cmp_lt_u32_e64 s0, s39, v5
	s_delay_alu instid0(VALU_DEP_1)
	s_and_b32 s3, s0, exec_lo
; %bb.80:
	s_or_b32 exec_lo, exec_lo, s5
	v_cndmask_b32_e64 v55, 0, 1, vcc_lo
	v_cndmask_b32_e64 v53, 0, 1, s3
.LBB1378_81:
	s_or_b32 exec_lo, exec_lo, s1
	v_dual_mov_b32 v56, 0 :: v_dual_add_nc_u32 v5, 11, v33
	v_mov_b32_e32 v57, 0
	s_mov_b32 s3, 0
	s_mov_b32 s1, exec_lo
	s_delay_alu instid0(VALU_DEP_2)
	v_cmpx_gt_u32_e64 s4, v5
	s_cbranch_execz .LBB1378_85
; %bb.82:
	v_add_nc_u32_e32 v5, s17, v11
	v_add_nc_u32_e32 v6, s19, v11
	s_mov_b32 s5, exec_lo
	s_delay_alu instid0(VALU_DEP_2) | instskip(NEXT) | instid1(VALU_DEP_2)
	v_mul_lo_u32 v5, v5, s16
	v_mul_lo_u32 v6, v6, s18
	s_delay_alu instid0(VALU_DEP_1) | instskip(NEXT) | instid1(VALU_DEP_1)
	v_sub_nc_u32_e32 v5, v5, v6
	v_cmp_lt_u32_e32 vcc_lo, s20, v5
	v_cmpx_ge_u32_e64 s20, v5
; %bb.83:
	v_add_nc_u32_e32 v5, s22, v11
	v_add_nc_u32_e32 v6, s38, v11
	s_delay_alu instid0(VALU_DEP_2) | instskip(NEXT) | instid1(VALU_DEP_2)
	v_mul_lo_u32 v5, v5, s21
	v_mul_lo_u32 v6, v6, s23
	s_delay_alu instid0(VALU_DEP_1) | instskip(NEXT) | instid1(VALU_DEP_1)
	v_sub_nc_u32_e32 v5, v5, v6
	v_cmp_lt_u32_e64 s0, s39, v5
	s_delay_alu instid0(VALU_DEP_1)
	s_and_b32 s3, s0, exec_lo
; %bb.84:
	s_or_b32 exec_lo, exec_lo, s5
	v_cndmask_b32_e64 v56, 0, 1, vcc_lo
	v_cndmask_b32_e64 v57, 0, 1, s3
.LBB1378_85:
	s_or_b32 exec_lo, exec_lo, s1
	v_add_nc_u32_e32 v5, 12, v33
	s_mov_b32 s27, 0
	s_mov_b32 s33, 0
	s_mov_b32 s0, exec_lo
	s_delay_alu instid0(VALU_DEP_1)
	v_cmpx_gt_u32_e64 s4, v5
	s_cbranch_execz .LBB1378_89
; %bb.86:
	v_add_nc_u32_e32 v5, s17, v32
	v_add_nc_u32_e32 v6, s19, v32
	s_mov_b32 s3, -1
	s_mov_b32 s5, 0
	s_mov_b32 s1, exec_lo
	v_mul_lo_u32 v5, v5, s16
	v_mul_lo_u32 v6, v6, s18
	s_delay_alu instid0(VALU_DEP_1) | instskip(NEXT) | instid1(VALU_DEP_1)
	v_sub_nc_u32_e32 v5, v5, v6
	v_cmpx_ge_u32_e64 s20, v5
; %bb.87:
	v_add_nc_u32_e32 v5, s22, v32
	v_add_nc_u32_e32 v6, s38, v32
	s_xor_b32 s3, exec_lo, -1
	s_delay_alu instid0(VALU_DEP_2) | instskip(NEXT) | instid1(VALU_DEP_2)
	v_mul_lo_u32 v5, v5, s21
	v_mul_lo_u32 v6, v6, s23
	s_delay_alu instid0(VALU_DEP_1) | instskip(NEXT) | instid1(VALU_DEP_1)
	v_sub_nc_u32_e32 v5, v5, v6
	v_cmp_lt_u32_e32 vcc_lo, s39, v5
	s_and_b32 s5, vcc_lo, exec_lo
; %bb.88:
	s_or_b32 exec_lo, exec_lo, s1
	s_delay_alu instid0(SALU_CYCLE_1)
	s_and_b32 s33, s5, exec_lo
	s_and_b32 s27, s3, exec_lo
.LBB1378_89:
	s_or_b32 exec_lo, exec_lo, s0
.LBB1378_90:
	v_and_b32_e32 v80, 0xff, v34
	v_and_b32_e32 v81, 0xff, v35
	;; [unrolled: 1-line block ×10, first 2 shown]
	v_add3_u32 v5, v76, v78, v80
	v_add3_u32 v6, v77, v79, v81
	v_and_b32_e32 v70, 0xff, v45
	v_and_b32_e32 v71, 0xff, v44
	v_and_b32_e32 v64, 0xff, v47
	v_and_b32_e32 v65, 0xff, v46
	v_add3_u32 v5, v5, v74, v72
	v_add3_u32 v6, v6, v75, v73
	v_and_b32_e32 v68, 0xff, v49
	v_and_b32_e32 v69, 0xff, v48
	v_and_b32_e32 v66, 0xff, v51
	v_and_b32_e32 v67, 0xff, v50
	v_add3_u32 v5, v5, v70, v64
	v_add3_u32 v6, v6, v71, v65
	v_and_b32_e32 v61, 0xff, v54
	v_and_b32_e32 v62, 0xff, v52
	v_and_b32_e32 v60, 0xff, v55
	v_and_b32_e32 v63, 0xff, v53
	v_add3_u32 v5, v5, v68, v66
	v_add3_u32 v6, v6, v69, v67
	v_mbcnt_lo_u32_b32 v82, -1, 0
	v_and_b32_e32 v58, 0xff, v56
	v_and_b32_e32 v59, 0xff, v57
	v_cndmask_b32_e64 v7, 0, 1, s33
	v_add3_u32 v5, v5, v61, v60
	v_cndmask_b32_e64 v8, 0, 1, s27
	v_add3_u32 v6, v6, v62, v63
	v_and_b32_e32 v86, 15, v82
	v_and_b32_e32 v85, 16, v82
	v_lshrrev_b32_e32 v83, 5, v0
	v_add3_u32 v87, v5, v58, v8
	v_add3_u32 v88, v6, v59, v7
	v_cmp_eq_u32_e64 s1, 0, v86
	v_cmp_lt_u32_e64 s0, 1, v86
	v_cmp_lt_u32_e64 s3, 3, v86
	v_cmp_lt_u32_e32 vcc_lo, 7, v86
	v_or_b32_e32 v84, 31, v0
	s_cmp_lg_u32 s26, 0
	s_mov_b32 s5, -1
	s_cbranch_scc0 .LBB1378_123
; %bb.91:
	v_mov_b32_dpp v5, v88 row_shr:1 row_mask:0xf bank_mask:0xf
	v_mov_b32_dpp v6, v87 row_shr:1 row_mask:0xf bank_mask:0xf
	s_delay_alu instid0(VALU_DEP_2) | instskip(NEXT) | instid1(VALU_DEP_2)
	v_add_nc_u32_e32 v5, v5, v88
	v_add_nc_u32_e32 v6, v6, v87
	s_delay_alu instid0(VALU_DEP_2) | instskip(NEXT) | instid1(VALU_DEP_2)
	v_cndmask_b32_e64 v5, v5, v88, s1
	v_cndmask_b32_e64 v6, v6, v87, s1
	s_delay_alu instid0(VALU_DEP_2) | instskip(NEXT) | instid1(VALU_DEP_2)
	v_mov_b32_dpp v7, v5 row_shr:2 row_mask:0xf bank_mask:0xf
	v_mov_b32_dpp v8, v6 row_shr:2 row_mask:0xf bank_mask:0xf
	s_delay_alu instid0(VALU_DEP_2) | instskip(NEXT) | instid1(VALU_DEP_1)
	v_add_nc_u32_e32 v7, v5, v7
	v_cndmask_b32_e64 v5, v5, v7, s0
	s_delay_alu instid0(VALU_DEP_1) | instskip(NEXT) | instid1(VALU_DEP_1)
	v_mov_b32_dpp v7, v5 row_shr:4 row_mask:0xf bank_mask:0xf
	v_add_nc_u32_e32 v7, v5, v7
	s_delay_alu instid0(VALU_DEP_1) | instskip(NEXT) | instid1(VALU_DEP_1)
	v_cndmask_b32_e64 v5, v5, v7, s3
	v_mov_b32_dpp v7, v5 row_shr:8 row_mask:0xf bank_mask:0xf
	s_delay_alu instid0(VALU_DEP_1) | instskip(NEXT) | instid1(VALU_DEP_1)
	v_add_nc_u32_e32 v7, v5, v7
	v_dual_cndmask_b32 v5, v5, v7 :: v_dual_add_nc_u32 v8, v6, v8
	s_delay_alu instid0(VALU_DEP_1) | instskip(NEXT) | instid1(VALU_DEP_1)
	v_cndmask_b32_e64 v6, v6, v8, s0
	v_mov_b32_dpp v8, v6 row_shr:4 row_mask:0xf bank_mask:0xf
	s_delay_alu instid0(VALU_DEP_1) | instskip(NEXT) | instid1(VALU_DEP_1)
	v_add_nc_u32_e32 v8, v6, v8
	v_cndmask_b32_e64 v6, v6, v8, s3
	s_mov_b32 s3, exec_lo
	s_delay_alu instid0(VALU_DEP_1) | instskip(NEXT) | instid1(VALU_DEP_1)
	v_mov_b32_dpp v8, v6 row_shr:8 row_mask:0xf bank_mask:0xf
	v_add_nc_u32_e32 v8, v6, v8
	s_delay_alu instid0(VALU_DEP_1)
	v_cndmask_b32_e32 v7, v6, v8, vcc_lo
	ds_swizzle_b32 v6, v5 offset:swizzle(BROADCAST,32,15)
	v_cmp_eq_u32_e32 vcc_lo, 0, v85
	s_waitcnt lgkmcnt(0)
	v_add_nc_u32_e32 v6, v5, v6
	ds_swizzle_b32 v8, v7 offset:swizzle(BROADCAST,32,15)
	v_cndmask_b32_e32 v6, v6, v5, vcc_lo
	s_waitcnt lgkmcnt(0)
	v_add_nc_u32_e32 v8, v7, v8
	s_delay_alu instid0(VALU_DEP_1)
	v_cndmask_b32_e32 v5, v8, v7, vcc_lo
	v_cmpx_eq_u32_e64 v84, v0
	s_cbranch_execz .LBB1378_93
; %bb.92:
	v_lshlrev_b32_e32 v7, 3, v83
	ds_store_b64 v7, v[5:6]
.LBB1378_93:
	s_or_b32 exec_lo, exec_lo, s3
	s_delay_alu instid0(SALU_CYCLE_1)
	s_mov_b32 s3, exec_lo
	s_waitcnt lgkmcnt(0)
	s_barrier
	buffer_gl0_inv
	v_cmpx_gt_u32_e32 8, v0
	s_cbranch_execz .LBB1378_95
; %bb.94:
	v_lshlrev_b32_e32 v9, 3, v0
	ds_load_b64 v[7:8], v9
	s_waitcnt lgkmcnt(0)
	v_mov_b32_dpp v22, v7 row_shr:1 row_mask:0xf bank_mask:0xf
	v_mov_b32_dpp v23, v8 row_shr:1 row_mask:0xf bank_mask:0xf
	s_delay_alu instid0(VALU_DEP_2) | instskip(SKIP_1) | instid1(VALU_DEP_3)
	v_add_nc_u32_e32 v22, v22, v7
	v_and_b32_e32 v24, 7, v82
	v_add_nc_u32_e32 v23, v23, v8
	s_delay_alu instid0(VALU_DEP_2) | instskip(NEXT) | instid1(VALU_DEP_2)
	v_cmp_eq_u32_e32 vcc_lo, 0, v24
	v_dual_cndmask_b32 v8, v23, v8 :: v_dual_cndmask_b32 v7, v22, v7
	v_cmp_lt_u32_e32 vcc_lo, 1, v24
	s_delay_alu instid0(VALU_DEP_2) | instskip(NEXT) | instid1(VALU_DEP_3)
	v_mov_b32_dpp v23, v8 row_shr:2 row_mask:0xf bank_mask:0xf
	v_mov_b32_dpp v22, v7 row_shr:2 row_mask:0xf bank_mask:0xf
	s_delay_alu instid0(VALU_DEP_2) | instskip(NEXT) | instid1(VALU_DEP_2)
	v_add_nc_u32_e32 v23, v8, v23
	v_add_nc_u32_e32 v22, v7, v22
	s_delay_alu instid0(VALU_DEP_1) | instskip(SKIP_1) | instid1(VALU_DEP_2)
	v_dual_cndmask_b32 v8, v8, v23 :: v_dual_cndmask_b32 v7, v7, v22
	v_cmp_lt_u32_e32 vcc_lo, 3, v24
	v_mov_b32_dpp v23, v8 row_shr:4 row_mask:0xf bank_mask:0xf
	s_delay_alu instid0(VALU_DEP_3) | instskip(NEXT) | instid1(VALU_DEP_1)
	v_mov_b32_dpp v22, v7 row_shr:4 row_mask:0xf bank_mask:0xf
	v_dual_cndmask_b32 v23, 0, v23 :: v_dual_cndmask_b32 v22, 0, v22
	s_delay_alu instid0(VALU_DEP_1) | instskip(NEXT) | instid1(VALU_DEP_2)
	v_add_nc_u32_e32 v8, v23, v8
	v_add_nc_u32_e32 v7, v22, v7
	ds_store_b64 v9, v[7:8]
.LBB1378_95:
	s_or_b32 exec_lo, exec_lo, s3
	v_cmp_gt_u32_e32 vcc_lo, 32, v0
	v_cmp_lt_u32_e64 s3, 31, v0
	s_waitcnt lgkmcnt(0)
	s_barrier
	buffer_gl0_inv
                                        ; implicit-def: $vgpr23
	s_and_saveexec_b32 s5, s3
	s_delay_alu instid0(SALU_CYCLE_1)
	s_xor_b32 s3, exec_lo, s5
	s_cbranch_execz .LBB1378_97
; %bb.96:
	v_lshl_add_u32 v7, v83, 3, -8
	ds_load_b64 v[22:23], v7
	s_waitcnt lgkmcnt(0)
	v_add_nc_u32_e32 v6, v23, v6
	v_add_nc_u32_e32 v5, v22, v5
.LBB1378_97:
	s_and_not1_saveexec_b32 s3, s3
; %bb.98:
                                        ; implicit-def: $vgpr22
; %bb.99:
	s_delay_alu instid0(SALU_CYCLE_1) | instskip(SKIP_1) | instid1(VALU_DEP_1)
	s_or_b32 exec_lo, exec_lo, s3
	v_add_nc_u32_e32 v7, -1, v82
	v_cmp_gt_i32_e64 s3, 0, v7
	s_delay_alu instid0(VALU_DEP_1) | instskip(SKIP_1) | instid1(VALU_DEP_2)
	v_cndmask_b32_e64 v7, v7, v82, s3
	v_cmp_eq_u32_e64 s3, 0, v82
	v_lshlrev_b32_e32 v7, 2, v7
	ds_bpermute_b32 v89, v7, v5
	ds_bpermute_b32 v90, v7, v6
	s_and_saveexec_b32 s5, vcc_lo
	s_cbranch_execz .LBB1378_122
; %bb.100:
	v_mov_b32_e32 v8, 0
	ds_load_b64 v[5:6], v8 offset:56
	s_waitcnt lgkmcnt(0)
	v_readfirstlane_b32 s6, v6
	s_and_saveexec_b32 s7, s3
	s_cbranch_execz .LBB1378_102
; %bb.101:
	s_add_i32 s8, s26, 32
	s_mov_b32 s9, 0
	v_mov_b32_e32 v7, 1
	s_lshl_b64 s[10:11], s[8:9], 4
	s_mov_b32 s16, s9
	s_add_u32 s10, s36, s10
	s_addc_u32 s11, s37, s11
	s_and_b32 s17, s6, 0xff000000
	s_and_b32 s19, s6, 0xff0000
	s_mov_b32 s18, s9
	v_dual_mov_b32 v25, s11 :: v_dual_mov_b32 v24, s10
	s_or_b64 s[16:17], s[18:19], s[16:17]
	s_and_b32 s19, s6, 0xff00
	s_delay_alu instid0(SALU_CYCLE_1) | instskip(SKIP_1) | instid1(SALU_CYCLE_1)
	s_or_b64 s[16:17], s[16:17], s[18:19]
	s_and_b32 s19, s6, 0xff
	s_or_b64 s[8:9], s[16:17], s[18:19]
	s_delay_alu instid0(SALU_CYCLE_1)
	v_mov_b32_e32 v6, s9
	;;#ASMSTART
	global_store_dwordx4 v[24:25], v[5:8] off	
s_waitcnt vmcnt(0)
	;;#ASMEND
.LBB1378_102:
	s_or_b32 exec_lo, exec_lo, s7
	v_xad_u32 v24, v82, -1, s26
	s_mov_b32 s8, 0
	s_mov_b32 s7, exec_lo
	s_delay_alu instid0(VALU_DEP_1) | instskip(NEXT) | instid1(VALU_DEP_1)
	v_add_nc_u32_e32 v7, 32, v24
	v_lshlrev_b64 v[6:7], 4, v[7:8]
	s_delay_alu instid0(VALU_DEP_1) | instskip(NEXT) | instid1(VALU_DEP_2)
	v_add_co_u32 v25, vcc_lo, s36, v6
	v_add_co_ci_u32_e32 v26, vcc_lo, s37, v7, vcc_lo
	;;#ASMSTART
	global_load_dwordx4 v[6:9], v[25:26] off glc	
s_waitcnt vmcnt(0)
	;;#ASMEND
	v_and_b32_e32 v9, 0xff, v7
	v_and_b32_e32 v27, 0xff00, v7
	v_or3_b32 v6, v6, 0, 0
	v_and_b32_e32 v28, 0xff000000, v7
	v_and_b32_e32 v7, 0xff0000, v7
	s_delay_alu instid0(VALU_DEP_4) | instskip(SKIP_2) | instid1(VALU_DEP_3)
	v_or3_b32 v9, 0, v9, v27
	v_and_b32_e32 v27, 0xff, v8
	v_or3_b32 v6, v6, 0, 0
	v_or3_b32 v7, v9, v7, v28
	s_delay_alu instid0(VALU_DEP_3)
	v_cmpx_eq_u16_e32 0, v27
	s_cbranch_execz .LBB1378_108
; %bb.103:
	s_mov_b32 s9, 1
	.p2align	6
.LBB1378_104:                           ; =>This Loop Header: Depth=1
                                        ;     Child Loop BB1378_105 Depth 2
	s_delay_alu instid0(SALU_CYCLE_1)
	s_max_u32 s10, s9, 1
.LBB1378_105:                           ;   Parent Loop BB1378_104 Depth=1
                                        ; =>  This Inner Loop Header: Depth=2
	s_delay_alu instid0(SALU_CYCLE_1)
	s_add_i32 s10, s10, -1
	s_sleep 1
	s_cmp_eq_u32 s10, 0
	s_cbranch_scc0 .LBB1378_105
; %bb.106:                              ;   in Loop: Header=BB1378_104 Depth=1
	;;#ASMSTART
	global_load_dwordx4 v[6:9], v[25:26] off glc	
s_waitcnt vmcnt(0)
	;;#ASMEND
	v_and_b32_e32 v9, 0xff, v8
	s_cmp_lt_u32 s9, 32
	s_cselect_b32 s10, -1, 0
	s_delay_alu instid0(SALU_CYCLE_1) | instskip(NEXT) | instid1(VALU_DEP_1)
	s_cmp_lg_u32 s10, 0
	v_cmp_ne_u16_e32 vcc_lo, 0, v9
	s_addc_u32 s9, s9, 0
	s_or_b32 s8, vcc_lo, s8
	s_delay_alu instid0(SALU_CYCLE_1)
	s_and_not1_b32 exec_lo, exec_lo, s8
	s_cbranch_execnz .LBB1378_104
; %bb.107:
	s_or_b32 exec_lo, exec_lo, s8
.LBB1378_108:
	s_delay_alu instid0(SALU_CYCLE_1) | instskip(SKIP_3) | instid1(VALU_DEP_1)
	s_or_b32 exec_lo, exec_lo, s7
	v_cmp_ne_u32_e32 vcc_lo, 31, v82
	v_lshlrev_b32_e64 v92, v82, -1
	v_add_co_ci_u32_e32 v9, vcc_lo, 0, v82, vcc_lo
	v_lshlrev_b32_e32 v91, 2, v9
	ds_bpermute_b32 v25, v91, v7
	ds_bpermute_b32 v9, v91, v6
	s_waitcnt lgkmcnt(1)
	v_add_nc_u32_e32 v25, v25, v7
	v_and_b32_e32 v26, 0xff, v8
	s_waitcnt lgkmcnt(0)
	v_add_nc_u32_e32 v9, v9, v6
	s_delay_alu instid0(VALU_DEP_2) | instskip(SKIP_2) | instid1(VALU_DEP_2)
	v_cmp_eq_u16_e32 vcc_lo, 2, v26
	v_and_or_b32 v26, vcc_lo, v92, 0x80000000
	v_cmp_gt_u32_e32 vcc_lo, 30, v82
	v_ctz_i32_b32_e32 v26, v26
	v_cndmask_b32_e64 v27, 0, 1, vcc_lo
	s_delay_alu instid0(VALU_DEP_2) | instskip(NEXT) | instid1(VALU_DEP_2)
	v_cmp_lt_u32_e32 vcc_lo, v82, v26
	v_dual_cndmask_b32 v6, v6, v9 :: v_dual_lshlrev_b32 v27, 1, v27
	s_delay_alu instid0(VALU_DEP_1)
	v_add_lshl_u32 v93, v27, v82, 2
	v_cndmask_b32_e32 v7, v7, v25, vcc_lo
	v_cmp_gt_u32_e32 vcc_lo, 28, v82
	ds_bpermute_b32 v9, v93, v6
	ds_bpermute_b32 v25, v93, v7
	v_cndmask_b32_e64 v27, 0, 1, vcc_lo
	s_waitcnt lgkmcnt(1)
	v_add_nc_u32_e32 v9, v6, v9
	s_waitcnt lgkmcnt(0)
	v_add_nc_u32_e32 v25, v7, v25
	v_add_nc_u32_e32 v94, 2, v82
	s_delay_alu instid0(VALU_DEP_1) | instskip(NEXT) | instid1(VALU_DEP_3)
	v_cmp_gt_u32_e32 vcc_lo, v94, v26
	v_cndmask_b32_e32 v7, v25, v7, vcc_lo
	v_dual_cndmask_b32 v6, v9, v6 :: v_dual_lshlrev_b32 v27, 2, v27
	v_cmp_gt_u32_e32 vcc_lo, 24, v82
	s_delay_alu instid0(VALU_DEP_2) | instskip(SKIP_4) | instid1(VALU_DEP_1)
	v_add_lshl_u32 v95, v27, v82, 2
	v_cndmask_b32_e64 v27, 0, 1, vcc_lo
	ds_bpermute_b32 v25, v95, v7
	ds_bpermute_b32 v9, v95, v6
	v_lshlrev_b32_e32 v27, 3, v27
	v_add_lshl_u32 v97, v27, v82, 2
	s_waitcnt lgkmcnt(1)
	v_add_nc_u32_e32 v25, v7, v25
	v_add_nc_u32_e32 v96, 4, v82
	s_waitcnt lgkmcnt(0)
	v_add_nc_u32_e32 v9, v6, v9
	s_delay_alu instid0(VALU_DEP_2) | instskip(SKIP_1) | instid1(VALU_DEP_3)
	v_cmp_gt_u32_e32 vcc_lo, v96, v26
	v_cndmask_b32_e32 v7, v25, v7, vcc_lo
	v_cndmask_b32_e32 v6, v9, v6, vcc_lo
	v_cmp_gt_u32_e32 vcc_lo, 16, v82
	ds_bpermute_b32 v25, v97, v7
	ds_bpermute_b32 v9, v97, v6
	v_cndmask_b32_e64 v27, 0, 1, vcc_lo
	s_delay_alu instid0(VALU_DEP_1) | instskip(NEXT) | instid1(VALU_DEP_1)
	v_lshlrev_b32_e32 v27, 4, v27
	v_add_lshl_u32 v99, v27, v82, 2
	s_waitcnt lgkmcnt(1)
	v_add_nc_u32_e32 v25, v7, v25
	v_add_nc_u32_e32 v98, 8, v82
	s_waitcnt lgkmcnt(0)
	v_add_nc_u32_e32 v9, v6, v9
	s_delay_alu instid0(VALU_DEP_2) | instskip(SKIP_1) | instid1(VALU_DEP_3)
	v_cmp_gt_u32_e32 vcc_lo, v98, v26
	v_cndmask_b32_e32 v7, v25, v7, vcc_lo
	v_cndmask_b32_e32 v6, v9, v6, vcc_lo
	ds_bpermute_b32 v25, v99, v7
	ds_bpermute_b32 v9, v99, v6
	v_add_nc_u32_e32 v100, 16, v82
	s_delay_alu instid0(VALU_DEP_1) | instskip(SKIP_2) | instid1(VALU_DEP_1)
	v_cmp_le_u32_e32 vcc_lo, v100, v26
	s_waitcnt lgkmcnt(0)
	v_cndmask_b32_e32 v9, 0, v9, vcc_lo
	v_dual_cndmask_b32 v25, 0, v25 :: v_dual_add_nc_u32 v6, v9, v6
	s_delay_alu instid0(VALU_DEP_1)
	v_add_nc_u32_e32 v7, v25, v7
	v_mov_b32_e32 v25, 0
	s_branch .LBB1378_110
.LBB1378_109:                           ;   in Loop: Header=BB1378_110 Depth=1
	s_or_b32 exec_lo, exec_lo, s7
	ds_bpermute_b32 v9, v91, v6
	ds_bpermute_b32 v28, v91, v7
	v_subrev_nc_u32_e32 v24, 32, v24
	s_waitcnt lgkmcnt(1)
	v_add_nc_u32_e32 v9, v9, v6
	v_and_b32_e32 v29, 0xff, v8
	s_waitcnt lgkmcnt(0)
	v_add_nc_u32_e32 v28, v28, v7
	s_delay_alu instid0(VALU_DEP_2) | instskip(SKIP_1) | instid1(VALU_DEP_1)
	v_cmp_eq_u16_e32 vcc_lo, 2, v29
	v_and_or_b32 v29, vcc_lo, v92, 0x80000000
	v_ctz_i32_b32_e32 v29, v29
	s_delay_alu instid0(VALU_DEP_1)
	v_cmp_lt_u32_e32 vcc_lo, v82, v29
	v_cndmask_b32_e32 v6, v6, v9, vcc_lo
	ds_bpermute_b32 v9, v93, v6
	s_waitcnt lgkmcnt(0)
	v_add_nc_u32_e32 v9, v6, v9
	v_cndmask_b32_e32 v7, v7, v28, vcc_lo
	v_cmp_gt_u32_e32 vcc_lo, v94, v29
	s_delay_alu instid0(VALU_DEP_3)
	v_cndmask_b32_e32 v6, v9, v6, vcc_lo
	ds_bpermute_b32 v28, v93, v7
	ds_bpermute_b32 v9, v95, v6
	s_waitcnt lgkmcnt(1)
	v_add_nc_u32_e32 v28, v7, v28
	s_waitcnt lgkmcnt(0)
	v_add_nc_u32_e32 v9, v6, v9
	s_delay_alu instid0(VALU_DEP_2) | instskip(SKIP_1) | instid1(VALU_DEP_3)
	v_cndmask_b32_e32 v7, v28, v7, vcc_lo
	v_cmp_gt_u32_e32 vcc_lo, v96, v29
	v_cndmask_b32_e32 v6, v9, v6, vcc_lo
	ds_bpermute_b32 v28, v95, v7
	ds_bpermute_b32 v9, v97, v6
	s_waitcnt lgkmcnt(1)
	v_add_nc_u32_e32 v28, v7, v28
	s_waitcnt lgkmcnt(0)
	v_add_nc_u32_e32 v9, v6, v9
	s_delay_alu instid0(VALU_DEP_2) | instskip(SKIP_1) | instid1(VALU_DEP_3)
	v_cndmask_b32_e32 v7, v28, v7, vcc_lo
	v_cmp_gt_u32_e32 vcc_lo, v98, v29
	v_cndmask_b32_e32 v6, v9, v6, vcc_lo
	ds_bpermute_b32 v28, v97, v7
	ds_bpermute_b32 v9, v99, v6
	s_waitcnt lgkmcnt(1)
	v_add_nc_u32_e32 v28, v7, v28
	s_delay_alu instid0(VALU_DEP_1) | instskip(SKIP_4) | instid1(VALU_DEP_1)
	v_cndmask_b32_e32 v7, v28, v7, vcc_lo
	v_cmp_le_u32_e32 vcc_lo, v100, v29
	ds_bpermute_b32 v28, v99, v7
	s_waitcnt lgkmcnt(1)
	v_cndmask_b32_e32 v9, 0, v9, vcc_lo
	v_add3_u32 v6, v6, v26, v9
	s_waitcnt lgkmcnt(0)
	v_cndmask_b32_e32 v28, 0, v28, vcc_lo
	s_delay_alu instid0(VALU_DEP_1)
	v_add3_u32 v7, v7, v27, v28
.LBB1378_110:                           ; =>This Loop Header: Depth=1
                                        ;     Child Loop BB1378_113 Depth 2
                                        ;       Child Loop BB1378_114 Depth 3
	s_delay_alu instid0(VALU_DEP_1) | instskip(SKIP_1) | instid1(VALU_DEP_2)
	v_dual_mov_b32 v27, v7 :: v_dual_and_b32 v8, 0xff, v8
	v_mov_b32_e32 v26, v6
	v_cmp_ne_u16_e32 vcc_lo, 2, v8
	v_cndmask_b32_e64 v8, 0, 1, vcc_lo
	;;#ASMSTART
	;;#ASMEND
	s_delay_alu instid0(VALU_DEP_1)
	v_cmp_ne_u32_e32 vcc_lo, 0, v8
	s_cmp_lg_u32 vcc_lo, exec_lo
	s_cbranch_scc1 .LBB1378_117
; %bb.111:                              ;   in Loop: Header=BB1378_110 Depth=1
	v_lshlrev_b64 v[6:7], 4, v[24:25]
	s_mov_b32 s7, exec_lo
	s_delay_alu instid0(VALU_DEP_1) | instskip(NEXT) | instid1(VALU_DEP_2)
	v_add_co_u32 v28, vcc_lo, s36, v6
	v_add_co_ci_u32_e32 v29, vcc_lo, s37, v7, vcc_lo
	;;#ASMSTART
	global_load_dwordx4 v[6:9], v[28:29] off glc	
s_waitcnt vmcnt(0)
	;;#ASMEND
	v_and_b32_e32 v9, 0xff, v7
	v_and_b32_e32 v101, 0xff00, v7
	v_or3_b32 v6, v6, 0, 0
	v_and_b32_e32 v102, 0xff000000, v7
	v_and_b32_e32 v7, 0xff0000, v7
	s_delay_alu instid0(VALU_DEP_4) | instskip(SKIP_2) | instid1(VALU_DEP_3)
	v_or3_b32 v9, 0, v9, v101
	v_and_b32_e32 v101, 0xff, v8
	v_or3_b32 v6, v6, 0, 0
	v_or3_b32 v7, v9, v7, v102
	s_delay_alu instid0(VALU_DEP_3)
	v_cmpx_eq_u16_e32 0, v101
	s_cbranch_execz .LBB1378_109
; %bb.112:                              ;   in Loop: Header=BB1378_110 Depth=1
	s_mov_b32 s9, 1
	s_mov_b32 s8, 0
	.p2align	6
.LBB1378_113:                           ;   Parent Loop BB1378_110 Depth=1
                                        ; =>  This Loop Header: Depth=2
                                        ;       Child Loop BB1378_114 Depth 3
	s_max_u32 s10, s9, 1
.LBB1378_114:                           ;   Parent Loop BB1378_110 Depth=1
                                        ;     Parent Loop BB1378_113 Depth=2
                                        ; =>    This Inner Loop Header: Depth=3
	s_delay_alu instid0(SALU_CYCLE_1)
	s_add_i32 s10, s10, -1
	s_sleep 1
	s_cmp_eq_u32 s10, 0
	s_cbranch_scc0 .LBB1378_114
; %bb.115:                              ;   in Loop: Header=BB1378_113 Depth=2
	;;#ASMSTART
	global_load_dwordx4 v[6:9], v[28:29] off glc	
s_waitcnt vmcnt(0)
	;;#ASMEND
	v_and_b32_e32 v9, 0xff, v8
	s_cmp_lt_u32 s9, 32
	s_cselect_b32 s10, -1, 0
	s_delay_alu instid0(SALU_CYCLE_1) | instskip(NEXT) | instid1(VALU_DEP_1)
	s_cmp_lg_u32 s10, 0
	v_cmp_ne_u16_e32 vcc_lo, 0, v9
	s_addc_u32 s9, s9, 0
	s_or_b32 s8, vcc_lo, s8
	s_delay_alu instid0(SALU_CYCLE_1)
	s_and_not1_b32 exec_lo, exec_lo, s8
	s_cbranch_execnz .LBB1378_113
; %bb.116:                              ;   in Loop: Header=BB1378_110 Depth=1
	s_or_b32 exec_lo, exec_lo, s8
	s_branch .LBB1378_109
.LBB1378_117:                           ;   in Loop: Header=BB1378_110 Depth=1
                                        ; implicit-def: $vgpr8
                                        ; implicit-def: $vgpr6_vgpr7
	s_cbranch_execz .LBB1378_110
; %bb.118:
	s_and_saveexec_b32 s7, s3
	s_cbranch_execnz .LBB1378_361
; %bb.119:
	s_or_b32 exec_lo, exec_lo, s7
	s_and_saveexec_b32 s7, s3
	s_cbranch_execnz .LBB1378_362
.LBB1378_120:
	s_or_b32 exec_lo, exec_lo, s7
	s_delay_alu instid0(SALU_CYCLE_1)
	s_and_b32 exec_lo, exec_lo, s2
	s_cbranch_execz .LBB1378_122
.LBB1378_121:
	v_mov_b32_e32 v5, 0
	ds_store_b64 v5, v[26:27] offset:56
.LBB1378_122:
	s_or_b32 exec_lo, exec_lo, s5
	s_waitcnt lgkmcnt(1)
	v_cndmask_b32_e64 v22, v89, v22, s3
	v_mov_b32_e32 v5, 0
	s_waitcnt lgkmcnt(0)
	s_barrier
	buffer_gl0_inv
	v_add_nc_u32_e64 v7, 0x3400, 0
	ds_load_b64 v[24:25], v5 offset:56
	s_waitcnt lgkmcnt(0)
	s_barrier
	buffer_gl0_inv
	ds_load_2addr_b32 v[5:6], v7 offset1:2
	ds_load_2addr_b32 v[7:8], v7 offset0:4 offset1:6
	v_cndmask_b32_e64 v9, v90, v23, s3
	v_add_nc_u32_e32 v22, v24, v22
	s_delay_alu instid0(VALU_DEP_2) | instskip(NEXT) | instid1(VALU_DEP_2)
	v_add_nc_u32_e32 v9, v25, v9
	v_cndmask_b32_e64 v22, v22, v24, s2
	s_delay_alu instid0(VALU_DEP_2)
	v_cndmask_b32_e64 v9, v9, v25, s2
	s_branch .LBB1378_133
.LBB1378_123:
                                        ; implicit-def: $vgpr9
                                        ; implicit-def: $vgpr7
                                        ; implicit-def: $vgpr5
                                        ; implicit-def: $vgpr22_vgpr23
	s_and_b32 vcc_lo, exec_lo, s5
	s_cbranch_vccz .LBB1378_133
; %bb.124:
	s_waitcnt lgkmcnt(1)
	v_mov_b32_dpp v6, v88 row_shr:1 row_mask:0xf bank_mask:0xf
	v_cmp_lt_u32_e32 vcc_lo, 3, v86
	v_mov_b32_dpp v5, v87 row_shr:1 row_mask:0xf bank_mask:0xf
	s_delay_alu instid0(VALU_DEP_3) | instskip(NEXT) | instid1(VALU_DEP_1)
	v_add_nc_u32_e32 v6, v6, v88
	v_cndmask_b32_e64 v6, v6, v88, s1
	s_waitcnt lgkmcnt(0)
	s_delay_alu instid0(VALU_DEP_1) | instskip(NEXT) | instid1(VALU_DEP_1)
	v_mov_b32_dpp v8, v6 row_shr:2 row_mask:0xf bank_mask:0xf
	v_add_nc_u32_e32 v8, v6, v8
	s_delay_alu instid0(VALU_DEP_1) | instskip(NEXT) | instid1(VALU_DEP_1)
	v_cndmask_b32_e64 v6, v6, v8, s0
	v_mov_b32_dpp v8, v6 row_shr:4 row_mask:0xf bank_mask:0xf
	s_delay_alu instid0(VALU_DEP_1) | instskip(NEXT) | instid1(VALU_DEP_1)
	v_add_nc_u32_e32 v8, v6, v8
	v_dual_cndmask_b32 v6, v6, v8 :: v_dual_add_nc_u32 v5, v5, v87
	s_delay_alu instid0(VALU_DEP_1) | instskip(NEXT) | instid1(VALU_DEP_2)
	v_cndmask_b32_e64 v5, v5, v87, s1
	v_mov_b32_dpp v8, v6 row_shr:8 row_mask:0xf bank_mask:0xf
	s_delay_alu instid0(VALU_DEP_2) | instskip(NEXT) | instid1(VALU_DEP_2)
	v_mov_b32_dpp v7, v5 row_shr:2 row_mask:0xf bank_mask:0xf
	v_add_nc_u32_e32 v8, v6, v8
	s_delay_alu instid0(VALU_DEP_2) | instskip(NEXT) | instid1(VALU_DEP_1)
	v_add_nc_u32_e32 v7, v5, v7
	v_cndmask_b32_e64 v5, v5, v7, s0
	s_mov_b32 s0, exec_lo
	s_delay_alu instid0(VALU_DEP_1) | instskip(NEXT) | instid1(VALU_DEP_1)
	v_mov_b32_dpp v7, v5 row_shr:4 row_mask:0xf bank_mask:0xf
	v_add_nc_u32_e32 v7, v5, v7
	s_delay_alu instid0(VALU_DEP_1) | instskip(SKIP_1) | instid1(VALU_DEP_2)
	v_cndmask_b32_e32 v5, v5, v7, vcc_lo
	v_cmp_lt_u32_e32 vcc_lo, 7, v86
	v_mov_b32_dpp v7, v5 row_shr:8 row_mask:0xf bank_mask:0xf
	s_delay_alu instid0(VALU_DEP_1) | instskip(NEXT) | instid1(VALU_DEP_1)
	v_dual_cndmask_b32 v6, v6, v8 :: v_dual_add_nc_u32 v7, v5, v7
	v_cndmask_b32_e32 v5, v5, v7, vcc_lo
	ds_swizzle_b32 v7, v6 offset:swizzle(BROADCAST,32,15)
	v_cmp_eq_u32_e32 vcc_lo, 0, v85
	ds_swizzle_b32 v8, v5 offset:swizzle(BROADCAST,32,15)
	s_waitcnt lgkmcnt(1)
	v_add_nc_u32_e32 v7, v6, v7
	s_waitcnt lgkmcnt(0)
	v_add_nc_u32_e32 v8, v5, v8
	s_delay_alu instid0(VALU_DEP_1)
	v_dual_cndmask_b32 v6, v7, v6 :: v_dual_cndmask_b32 v5, v8, v5
	v_cmpx_eq_u32_e64 v84, v0
	s_cbranch_execz .LBB1378_126
; %bb.125:
	v_lshlrev_b32_e32 v7, 3, v83
	ds_store_b64 v7, v[5:6]
.LBB1378_126:
	s_or_b32 exec_lo, exec_lo, s0
	s_delay_alu instid0(SALU_CYCLE_1)
	s_mov_b32 s0, exec_lo
	s_waitcnt lgkmcnt(0)
	s_barrier
	buffer_gl0_inv
	v_cmpx_gt_u32_e32 8, v0
	s_cbranch_execz .LBB1378_128
; %bb.127:
	v_lshlrev_b32_e32 v9, 3, v0
	ds_load_b64 v[7:8], v9
	s_waitcnt lgkmcnt(0)
	v_mov_b32_dpp v22, v7 row_shr:1 row_mask:0xf bank_mask:0xf
	v_mov_b32_dpp v23, v8 row_shr:1 row_mask:0xf bank_mask:0xf
	s_delay_alu instid0(VALU_DEP_2) | instskip(SKIP_1) | instid1(VALU_DEP_3)
	v_add_nc_u32_e32 v22, v22, v7
	v_and_b32_e32 v24, 7, v82
	v_add_nc_u32_e32 v23, v23, v8
	s_delay_alu instid0(VALU_DEP_2) | instskip(NEXT) | instid1(VALU_DEP_2)
	v_cmp_eq_u32_e32 vcc_lo, 0, v24
	v_dual_cndmask_b32 v8, v23, v8 :: v_dual_cndmask_b32 v7, v22, v7
	v_cmp_lt_u32_e32 vcc_lo, 1, v24
	s_delay_alu instid0(VALU_DEP_2) | instskip(NEXT) | instid1(VALU_DEP_3)
	v_mov_b32_dpp v23, v8 row_shr:2 row_mask:0xf bank_mask:0xf
	v_mov_b32_dpp v22, v7 row_shr:2 row_mask:0xf bank_mask:0xf
	s_delay_alu instid0(VALU_DEP_2) | instskip(NEXT) | instid1(VALU_DEP_2)
	v_add_nc_u32_e32 v23, v8, v23
	v_add_nc_u32_e32 v22, v7, v22
	s_delay_alu instid0(VALU_DEP_1) | instskip(SKIP_1) | instid1(VALU_DEP_2)
	v_dual_cndmask_b32 v8, v8, v23 :: v_dual_cndmask_b32 v7, v7, v22
	v_cmp_lt_u32_e32 vcc_lo, 3, v24
	v_mov_b32_dpp v23, v8 row_shr:4 row_mask:0xf bank_mask:0xf
	s_delay_alu instid0(VALU_DEP_3) | instskip(NEXT) | instid1(VALU_DEP_1)
	v_mov_b32_dpp v22, v7 row_shr:4 row_mask:0xf bank_mask:0xf
	v_dual_cndmask_b32 v23, 0, v23 :: v_dual_cndmask_b32 v22, 0, v22
	s_delay_alu instid0(VALU_DEP_1) | instskip(NEXT) | instid1(VALU_DEP_2)
	v_add_nc_u32_e32 v8, v23, v8
	v_add_nc_u32_e32 v7, v22, v7
	ds_store_b64 v9, v[7:8]
.LBB1378_128:
	s_or_b32 exec_lo, exec_lo, s0
	v_dual_mov_b32 v7, 0 :: v_dual_mov_b32 v22, 0
	v_mov_b32_e32 v23, 0
	s_mov_b32 s0, exec_lo
	s_waitcnt lgkmcnt(0)
	s_barrier
	buffer_gl0_inv
	v_cmpx_lt_u32_e32 31, v0
	s_cbranch_execz .LBB1378_130
; %bb.129:
	v_lshl_add_u32 v8, v83, 3, -8
	ds_load_b64 v[22:23], v8
.LBB1378_130:
	s_or_b32 exec_lo, exec_lo, s0
	v_add_nc_u32_e32 v8, -1, v82
	s_waitcnt lgkmcnt(0)
	v_add_nc_u32_e32 v24, v23, v6
	v_add_nc_u32_e32 v9, v22, v5
	ds_load_b64 v[5:6], v7 offset:56
	v_cmp_gt_i32_e32 vcc_lo, 0, v8
	v_cndmask_b32_e32 v8, v8, v82, vcc_lo
	s_delay_alu instid0(VALU_DEP_1)
	v_lshlrev_b32_e32 v8, 2, v8
	ds_bpermute_b32 v9, v8, v9
	ds_bpermute_b32 v24, v8, v24
	s_waitcnt lgkmcnt(2)
	v_readfirstlane_b32 s0, v6
	s_and_saveexec_b32 s1, s2
	s_cbranch_execz .LBB1378_132
; %bb.131:
	s_mov_b32 s8, 0
	s_add_u32 s6, s36, 0x200
	s_addc_u32 s7, s37, 0
	s_and_b32 s9, s0, 0xff000000
	s_and_b32 s11, s0, 0xff0000
	s_mov_b32 s10, s8
	v_mov_b32_e32 v26, s7
	s_or_b64 s[10:11], s[10:11], s[8:9]
	s_and_b32 s9, s0, 0xff00
	v_dual_mov_b32 v8, 0 :: v_dual_mov_b32 v25, s6
	s_or_b64 s[10:11], s[10:11], s[8:9]
	s_and_b32 s9, s0, 0xff
	v_mov_b32_e32 v7, 2
	s_or_b64 s[8:9], s[10:11], s[8:9]
	s_delay_alu instid0(SALU_CYCLE_1)
	v_mov_b32_e32 v6, s9
	;;#ASMSTART
	global_store_dwordx4 v[25:26], v[5:8] off	
s_waitcnt vmcnt(0)
	;;#ASMEND
.LBB1378_132:
	s_or_b32 exec_lo, exec_lo, s1
	v_cmp_eq_u32_e32 vcc_lo, 0, v82
	v_dual_mov_b32 v7, 0 :: v_dual_mov_b32 v6, s0
	s_waitcnt lgkmcnt(0)
	s_barrier
	v_dual_cndmask_b32 v8, v9, v22 :: v_dual_cndmask_b32 v9, v24, v23
	buffer_gl0_inv
	v_cndmask_b32_e64 v22, v8, 0, s2
	v_cndmask_b32_e64 v9, v9, 0, s2
	v_mov_b32_e32 v8, 0
.LBB1378_133:
	s_delay_alu instid0(VALU_DEP_1) | instskip(SKIP_1) | instid1(VALU_DEP_2)
	v_add_nc_u32_e32 v24, v9, v81
	s_waitcnt lgkmcnt(0)
	v_sub_nc_u32_e32 v9, v9, v8
	v_add_co_u32 v1, vcc_lo, v1, v7
	v_and_b32_e32 v35, 1, v35
	v_add_nc_u32_e32 v26, v24, v77
	v_sub_nc_u32_e32 v24, v24, v8
	v_lshlrev_b32_e32 v77, 1, v5
	v_add_nc_u32_e32 v9, v9, v5
	v_add_co_ci_u32_e32 v2, vcc_lo, 0, v2, vcc_lo
	v_add_nc_u32_e32 v28, v26, v79
	s_delay_alu instid0(VALU_DEP_4)
	v_add3_u32 v33, v77, v6, v33
	v_and_b32_e32 v40, 1, v40
	v_and_b32_e32 v37, 1, v37
	;; [unrolled: 1-line block ×3, first 2 shown]
	v_add_nc_u32_e32 v29, v28, v75
	v_sub_nc_u32_e32 v28, v28, v8
	v_sub_co_u32 v75, vcc_lo, v3, v5
	s_add_u32 s1, s14, -4
	s_delay_alu instid0(VALU_DEP_3) | instskip(SKIP_4) | instid1(VALU_DEP_3)
	v_add_nc_u32_e32 v73, v29, v73
	v_sub_nc_u32_e32 v29, v29, v8
	v_add_nc_u32_e32 v28, v28, v5
	v_add_nc_u32_e32 v24, v24, v5
	s_mov_b32 s3, -1
	v_add_nc_u32_e32 v29, v29, v5
	v_add_nc_u32_e32 v23, v22, v80
	v_sub_nc_u32_e32 v22, v22, v7
	s_delay_alu instid0(VALU_DEP_2) | instskip(SKIP_3) | instid1(VALU_DEP_3)
	v_add_nc_u32_e32 v25, v23, v76
	v_sub_nc_u32_e32 v23, v23, v7
	v_subrev_co_ci_u32_e32 v76, vcc_lo, 0, v4, vcc_lo
	v_cmp_eq_u32_e32 vcc_lo, 1, v35
	v_add_nc_u32_e32 v79, v24, v23
	s_delay_alu instid0(VALU_DEP_1) | instskip(NEXT) | instid1(VALU_DEP_1)
	v_sub_nc_u32_e32 v79, v33, v79
	v_add_nc_u32_e32 v79, 1, v79
	v_add_nc_u32_e32 v27, v25, v78
	;; [unrolled: 1-line block ×3, first 2 shown]
	s_delay_alu instid0(VALU_DEP_1) | instskip(NEXT) | instid1(VALU_DEP_1)
	v_sub_nc_u32_e32 v78, v33, v78
	v_dual_cndmask_b32 v9, v78, v9 :: v_dual_and_b32 v34, 1, v34
	v_cmp_eq_u32_e32 vcc_lo, 1, v40
	v_cndmask_b32_e32 v24, v79, v24, vcc_lo
	s_delay_alu instid0(VALU_DEP_3) | instskip(NEXT) | instid1(VALU_DEP_4)
	v_cmp_eq_u32_e32 vcc_lo, 1, v34
	v_cndmask_b32_e32 v9, v9, v22, vcc_lo
	v_sub_nc_u32_e32 v26, v26, v8
	v_cmp_eq_u32_e32 vcc_lo, 1, v37
	v_and_b32_e32 v37, 1, v38
	s_delay_alu instid0(VALU_DEP_4) | instskip(NEXT) | instid1(VALU_DEP_4)
	v_lshlrev_b32_e32 v9, 2, v9
	v_add_nc_u32_e32 v26, v26, v5
	v_cndmask_b32_e32 v24, v24, v23, vcc_lo
	v_sub_nc_u32_e32 v25, v25, v7
	v_add_co_u32 v22, vcc_lo, v75, v8
	v_add_co_ci_u32_e32 v23, vcc_lo, 0, v76, vcc_lo
	s_delay_alu instid0(VALU_DEP_3)
	v_add_nc_u32_e32 v34, v26, v25
	v_cmp_eq_u32_e32 vcc_lo, 1, v37
	v_lshlrev_b32_e32 v24, 2, v24
	ds_store_b32 v9, v20
	v_sub_nc_u32_e32 v34, v33, v34
	ds_store_b32 v24, v21
	v_and_b32_e32 v24, 1, v39
	v_add_nc_u32_e32 v34, 2, v34
	s_delay_alu instid0(VALU_DEP_1) | instskip(SKIP_3) | instid1(VALU_DEP_4)
	v_cndmask_b32_e32 v26, v34, v26, vcc_lo
	v_cmp_eq_u32_e32 vcc_lo, 1, v36
	v_add_nc_u32_e32 v74, v27, v74
	v_sub_nc_u32_e32 v27, v27, v7
	v_cndmask_b32_e32 v25, v26, v25, vcc_lo
	s_delay_alu instid0(VALU_DEP_3) | instskip(NEXT) | instid1(VALU_DEP_3)
	v_sub_nc_u32_e32 v37, v74, v7
	v_add_nc_u32_e32 v34, v27, v28
	v_cmp_eq_u32_e32 vcc_lo, 1, v24
	v_sub_nc_u32_e32 v26, v73, v8
	v_lshlrev_b32_e32 v21, 2, v25
	v_and_b32_e32 v25, 1, v41
	v_sub_nc_u32_e32 v9, v33, v34
	v_add_nc_u32_e32 v20, v37, v29
	v_and_b32_e32 v24, 1, v42
	v_add_nc_u32_e32 v26, v26, v5
	ds_store_b32 v21, v18
	v_add_nc_u32_e32 v9, 3, v9
	v_sub_nc_u32_e32 v20, v33, v20
	s_delay_alu instid0(VALU_DEP_2) | instskip(SKIP_2) | instid1(VALU_DEP_4)
	v_cndmask_b32_e32 v9, v9, v28, vcc_lo
	v_cmp_eq_u32_e32 vcc_lo, 1, v25
	v_add_nc_u32_e32 v72, v74, v72
	v_add_nc_u32_e32 v20, 4, v20
	v_and_b32_e32 v25, 1, v43
	v_cndmask_b32_e32 v9, v9, v27, vcc_lo
	s_delay_alu instid0(VALU_DEP_4)
	v_sub_nc_u32_e32 v28, v72, v7
	v_cmp_eq_u32_e32 vcc_lo, 1, v24
	v_and_b32_e32 v24, 1, v44
	v_add_nc_u32_e32 v70, v72, v70
	v_lshlrev_b32_e32 v9, 2, v9
	v_add_nc_u32_e32 v27, v28, v26
	v_cndmask_b32_e32 v20, v20, v29, vcc_lo
	v_cmp_eq_u32_e32 vcc_lo, 1, v25
	v_and_b32_e32 v25, 1, v45
	v_add_nc_u32_e32 v64, v70, v64
	v_sub_nc_u32_e32 v18, v33, v27
	v_sub_nc_u32_e32 v27, v70, v7
	v_cndmask_b32_e32 v20, v20, v37, vcc_lo
	v_cmp_eq_u32_e32 vcc_lo, 1, v24
	ds_store_b32 v9, v19
	v_add_nc_u32_e32 v18, 5, v18
	v_and_b32_e32 v19, 1, v46
	v_lshlrev_b32_e32 v20, 2, v20
	v_add_nc_u32_e32 v68, v64, v68
	s_delay_alu instid0(VALU_DEP_4)
	v_cndmask_b32_e32 v18, v18, v26, vcc_lo
	v_cmp_eq_u32_e32 vcc_lo, 1, v25
	v_sub_nc_u32_e32 v25, v64, v7
	ds_store_b32 v20, v16
	v_and_b32_e32 v20, 1, v49
	v_add_nc_u32_e32 v66, v68, v66
	v_dual_cndmask_b32 v18, v18, v28 :: v_dual_add_nc_u32 v71, v73, v71
	v_cmp_eq_u32_e32 vcc_lo, 1, v19
	v_and_b32_e32 v19, 1, v48
	s_delay_alu instid0(VALU_DEP_4) | instskip(NEXT) | instid1(VALU_DEP_4)
	v_add_nc_u32_e32 v61, v66, v61
	v_lshlrev_b32_e32 v18, 2, v18
	v_add_nc_u32_e32 v65, v71, v65
	v_sub_nc_u32_e32 v21, v71, v8
	s_delay_alu instid0(VALU_DEP_4)
	v_add_nc_u32_e32 v60, v61, v60
	ds_store_b32 v18, v17
	v_sub_nc_u32_e32 v24, v65, v8
	v_add_nc_u32_e32 v21, v21, v5
	v_add_nc_u32_e32 v69, v65, v69
	v_and_b32_e32 v17, 1, v47
	s_delay_alu instid0(VALU_DEP_4) | instskip(NEXT) | instid1(VALU_DEP_4)
	v_add_nc_u32_e32 v24, v24, v5
	v_add_nc_u32_e32 v26, v27, v21
	s_delay_alu instid0(VALU_DEP_4) | instskip(NEXT) | instid1(VALU_DEP_3)
	v_sub_nc_u32_e32 v18, v69, v8
	v_add_nc_u32_e32 v16, v25, v24
	s_delay_alu instid0(VALU_DEP_3) | instskip(NEXT) | instid1(VALU_DEP_3)
	v_sub_nc_u32_e32 v9, v33, v26
	v_add_nc_u32_e32 v18, v18, v5
	v_sub_nc_u32_e32 v26, v60, v7
	s_delay_alu instid0(VALU_DEP_4) | instskip(NEXT) | instid1(VALU_DEP_4)
	v_sub_nc_u32_e32 v16, v33, v16
	v_add_nc_u32_e32 v9, 6, v9
	s_delay_alu instid0(VALU_DEP_1) | instskip(SKIP_2) | instid1(VALU_DEP_3)
	v_dual_cndmask_b32 v9, v9, v21 :: v_dual_add_nc_u32 v16, 7, v16
	v_cmp_eq_u32_e32 vcc_lo, 1, v19
	v_sub_nc_u32_e32 v21, v68, v7
	v_cndmask_b32_e32 v16, v16, v24, vcc_lo
	v_cmp_eq_u32_e32 vcc_lo, 1, v17
	s_delay_alu instid0(VALU_DEP_3) | instskip(SKIP_3) | instid1(VALU_DEP_4)
	v_add_nc_u32_e32 v17, v21, v18
	v_cndmask_b32_e32 v9, v9, v27, vcc_lo
	v_cmp_eq_u32_e32 vcc_lo, 1, v20
	v_add_nc_u32_e32 v67, v69, v67
	v_sub_nc_u32_e32 v17, v33, v17
	v_sub_nc_u32_e32 v20, v66, v7
	v_lshlrev_b32_e32 v9, 2, v9
	v_cndmask_b32_e32 v16, v16, v25, vcc_lo
	v_sub_nc_u32_e32 v19, v67, v8
	v_add_nc_u32_e32 v62, v67, v62
	v_sub_nc_u32_e32 v25, v61, v7
	ds_store_b32 v9, v14
	v_and_b32_e32 v9, 1, v50
	v_add_nc_u32_e32 v19, v19, v5
	v_add_nc_u32_e32 v14, 8, v17
	v_lshlrev_b32_e32 v16, 2, v16
	v_add_nc_u32_e32 v63, v62, v63
	v_cmp_eq_u32_e32 vcc_lo, 1, v9
	v_add_nc_u32_e32 v17, v20, v19
	ds_store_b32 v16, v15
	v_and_b32_e32 v15, 1, v51
	v_cndmask_b32_e32 v9, v14, v18, vcc_lo
	v_sub_nc_u32_e32 v14, v33, v17
	v_and_b32_e32 v18, 1, v52
	v_sub_nc_u32_e32 v17, v62, v8
	v_and_b32_e32 v16, 1, v54
	v_sub_nc_u32_e32 v24, v63, v8
	v_add_nc_u32_e32 v14, 9, v14
	v_cmp_eq_u32_e32 vcc_lo, 1, v18
	v_add_nc_u32_e32 v17, v17, v5
	v_add_nc_u32_e32 v35, v63, v59
	;; [unrolled: 1-line block ×3, first 2 shown]
	v_cndmask_b32_e32 v14, v14, v19, vcc_lo
	v_cmp_eq_u32_e32 vcc_lo, 1, v15
	v_add_nc_u32_e32 v15, v25, v17
	s_delay_alu instid0(VALU_DEP_4)
	v_add_nc_u32_e32 v18, v26, v24
	v_and_b32_e32 v19, 1, v55
	v_cndmask_b32_e32 v9, v9, v21, vcc_lo
	v_cmp_eq_u32_e32 vcc_lo, 1, v16
	v_sub_nc_u32_e32 v15, v33, v15
	v_sub_nc_u32_e32 v18, v33, v18
	v_and_b32_e32 v21, 1, v57
	v_sub_nc_u32_e32 v16, v35, v8
	v_cndmask_b32_e32 v14, v14, v20, vcc_lo
	v_and_b32_e32 v20, 1, v53
	v_add_nc_u32_e32 v15, 10, v15
	v_add_nc_u32_e32 v18, 11, v18
	;; [unrolled: 1-line block ×3, first 2 shown]
	v_lshlrev_b32_e32 v9, 2, v9
	v_cmp_eq_u32_e32 vcc_lo, 1, v20
	v_dual_cndmask_b32 v15, v15, v17 :: v_dual_lshlrev_b32 v14, 2, v14
	v_cmp_eq_u32_e32 vcc_lo, 1, v21
	v_and_b32_e32 v17, 1, v56
	v_cndmask_b32_e32 v18, v18, v24, vcc_lo
	v_cmp_eq_u32_e32 vcc_lo, 1, v19
	v_cndmask_b32_e32 v15, v15, v25, vcc_lo
	s_delay_alu instid0(VALU_DEP_4) | instskip(NEXT) | instid1(VALU_DEP_2)
	v_cmp_eq_u32_e32 vcc_lo, 1, v17
	v_lshlrev_b32_e32 v15, 2, v15
	v_cndmask_b32_e32 v17, v18, v26, vcc_lo
	v_add_nc_u32_e32 v40, v60, v58
	s_delay_alu instid0(VALU_DEP_2) | instskip(NEXT) | instid1(VALU_DEP_2)
	v_lshlrev_b32_e32 v17, 2, v17
	v_sub_nc_u32_e32 v7, v40, v7
	ds_store_b32 v9, v12
	ds_store_b32 v14, v13
	;; [unrolled: 1-line block ×4, first 2 shown]
	v_add_co_u32 v9, s0, v6, v77
	s_delay_alu instid0(VALU_DEP_1) | instskip(SKIP_1) | instid1(VALU_DEP_3)
	v_add_co_ci_u32_e64 v10, null, 0, 0, s0
	v_add_nc_u32_e32 v27, v7, v16
	v_add_co_u32 v9, vcc_lo, v9, v22
	s_delay_alu instid0(VALU_DEP_3) | instskip(NEXT) | instid1(VALU_DEP_3)
	v_add_co_ci_u32_e32 v10, vcc_lo, v10, v23, vcc_lo
	v_sub_nc_u32_e32 v20, v33, v27
	v_add_co_u32 v11, s0, s34, v30
	s_delay_alu instid0(VALU_DEP_4) | instskip(NEXT) | instid1(VALU_DEP_3)
	v_add_co_u32 v9, vcc_lo, v9, v1
	v_add_nc_u32_e32 v18, 12, v20
	v_add_co_ci_u32_e64 v12, null, s35, 0, s0
	v_add_co_ci_u32_e32 v10, vcc_lo, v10, v2, vcc_lo
	s_delay_alu instid0(VALU_DEP_3) | instskip(SKIP_1) | instid1(VALU_DEP_2)
	v_cndmask_b32_e64 v16, v18, v16, s33
	v_add_nc_u32_e32 v14, v5, v6
	v_cndmask_b32_e64 v7, v16, v7, s27
	s_delay_alu instid0(VALU_DEP_1)
	v_lshlrev_b32_e32 v7, 2, v7
	ds_store_b32 v7, v32
	v_sub_co_u32 v7, vcc_lo, v11, v9
	v_sub_co_ci_u32_e32 v13, vcc_lo, v12, v10, vcc_lo
	v_lshlrev_b64 v[9:10], 2, v[22:23]
	v_lshlrev_b64 v[11:12], 2, v[1:2]
	s_waitcnt lgkmcnt(0)
	s_barrier
	buffer_gl0_inv
	v_add_co_u32 v9, vcc_lo, s30, v9
	v_add_co_ci_u32_e32 v10, vcc_lo, s31, v10, vcc_lo
	v_cmp_ne_u32_e32 vcc_lo, 1, v31
	v_add_co_u32 v11, s0, s28, v11
	s_delay_alu instid0(VALU_DEP_1)
	v_add_co_ci_u32_e64 v12, s0, s29, v12, s0
	s_addc_u32 s0, s15, -1
	s_cbranch_vccz .LBB1378_137
; %bb.134:
	s_and_b32 vcc_lo, exec_lo, s3
	s_cbranch_vccnz .LBB1378_242
.LBB1378_135:
	s_and_b32 s0, s2, s13
	s_delay_alu instid0(SALU_CYCLE_1)
	s_and_saveexec_b32 s1, s0
	s_cbranch_execnz .LBB1378_360
.LBB1378_136:
	s_nop 0
	s_sendmsg sendmsg(MSG_DEALLOC_VGPRS)
	s_endpgm
.LBB1378_137:
	s_mov_b32 s3, exec_lo
	v_cmpx_le_u32_e64 v5, v0
	s_xor_b32 s3, exec_lo, s3
	s_cbranch_execz .LBB1378_143
; %bb.138:
	s_mov_b32 s5, exec_lo
	v_cmpx_le_u32_e64 v14, v0
	s_xor_b32 s5, exec_lo, s5
	s_cbranch_execz .LBB1378_140
; %bb.139:
	v_lshlrev_b32_e32 v15, 2, v0
	ds_load_b32 v17, v15
	v_add_co_u32 v15, vcc_lo, v7, v0
	v_add_co_ci_u32_e32 v16, vcc_lo, 0, v13, vcc_lo
	s_delay_alu instid0(VALU_DEP_1) | instskip(NEXT) | instid1(VALU_DEP_1)
	v_lshlrev_b64 v[15:16], 2, v[15:16]
	v_sub_co_u32 v15, vcc_lo, s14, v15
	s_delay_alu instid0(VALU_DEP_2)
	v_sub_co_ci_u32_e32 v16, vcc_lo, s15, v16, vcc_lo
	s_waitcnt lgkmcnt(0)
	global_store_b32 v[15:16], v17, off offset:-4
.LBB1378_140:
	s_and_not1_saveexec_b32 s5, s5
	s_cbranch_execz .LBB1378_142
; %bb.141:
	v_lshlrev_b32_e32 v15, 2, v0
	v_readfirstlane_b32 s6, v9
	v_readfirstlane_b32 s7, v10
	ds_load_b32 v16, v15
	s_waitcnt lgkmcnt(0)
	global_store_b32 v15, v16, s[6:7]
.LBB1378_142:
	s_or_b32 exec_lo, exec_lo, s5
.LBB1378_143:
	s_and_not1_saveexec_b32 s3, s3
	s_cbranch_execz .LBB1378_145
; %bb.144:
	v_lshlrev_b32_e32 v15, 2, v0
	v_readfirstlane_b32 s6, v11
	v_readfirstlane_b32 s7, v12
	ds_load_b32 v16, v15
	s_waitcnt lgkmcnt(0)
	global_store_b32 v15, v16, s[6:7]
.LBB1378_145:
	s_or_b32 exec_lo, exec_lo, s3
	v_or_b32_e32 v15, 0x100, v0
	s_mov_b32 s3, exec_lo
	s_delay_alu instid0(VALU_DEP_1)
	v_cmpx_le_u32_e64 v5, v15
	s_xor_b32 s3, exec_lo, s3
	s_cbranch_execz .LBB1378_151
; %bb.146:
	s_mov_b32 s5, exec_lo
	v_cmpx_le_u32_e64 v14, v15
	s_xor_b32 s5, exec_lo, s5
	s_cbranch_execz .LBB1378_148
; %bb.147:
	v_lshlrev_b32_e32 v15, 2, v0
	ds_load_b32 v17, v15 offset:1024
	v_add_co_u32 v15, vcc_lo, v7, v0
	v_add_co_ci_u32_e32 v16, vcc_lo, 0, v13, vcc_lo
	s_delay_alu instid0(VALU_DEP_1) | instskip(NEXT) | instid1(VALU_DEP_1)
	v_lshlrev_b64 v[15:16], 2, v[15:16]
	v_sub_co_u32 v15, vcc_lo, s1, v15
	s_delay_alu instid0(VALU_DEP_2)
	v_sub_co_ci_u32_e32 v16, vcc_lo, s0, v16, vcc_lo
	s_waitcnt lgkmcnt(0)
	global_store_b32 v[15:16], v17, off offset:-1024
.LBB1378_148:
	s_and_not1_saveexec_b32 s5, s5
	s_cbranch_execz .LBB1378_150
; %bb.149:
	v_lshlrev_b32_e32 v15, 2, v0
	v_readfirstlane_b32 s6, v9
	v_readfirstlane_b32 s7, v10
	ds_load_b32 v16, v15 offset:1024
	s_waitcnt lgkmcnt(0)
	global_store_b32 v15, v16, s[6:7] offset:1024
.LBB1378_150:
	s_or_b32 exec_lo, exec_lo, s5
.LBB1378_151:
	s_and_not1_saveexec_b32 s3, s3
	s_cbranch_execz .LBB1378_153
; %bb.152:
	v_lshlrev_b32_e32 v15, 2, v0
	v_readfirstlane_b32 s6, v11
	v_readfirstlane_b32 s7, v12
	ds_load_b32 v16, v15 offset:1024
	s_waitcnt lgkmcnt(0)
	global_store_b32 v15, v16, s[6:7] offset:1024
.LBB1378_153:
	s_or_b32 exec_lo, exec_lo, s3
	v_or_b32_e32 v15, 0x200, v0
	s_mov_b32 s3, exec_lo
	s_delay_alu instid0(VALU_DEP_1)
	v_cmpx_le_u32_e64 v5, v15
	s_xor_b32 s3, exec_lo, s3
	s_cbranch_execz .LBB1378_159
; %bb.154:
	s_mov_b32 s5, exec_lo
	v_cmpx_le_u32_e64 v14, v15
	s_xor_b32 s5, exec_lo, s5
	s_cbranch_execz .LBB1378_156
; %bb.155:
	v_lshlrev_b32_e32 v15, 2, v0
	ds_load_b32 v17, v15 offset:2048
	v_add_co_u32 v15, vcc_lo, v7, v0
	v_add_co_ci_u32_e32 v16, vcc_lo, 0, v13, vcc_lo
	s_delay_alu instid0(VALU_DEP_1) | instskip(NEXT) | instid1(VALU_DEP_1)
	v_lshlrev_b64 v[15:16], 2, v[15:16]
	v_sub_co_u32 v15, vcc_lo, s1, v15
	s_delay_alu instid0(VALU_DEP_2)
	v_sub_co_ci_u32_e32 v16, vcc_lo, s0, v16, vcc_lo
	s_waitcnt lgkmcnt(0)
	global_store_b32 v[15:16], v17, off offset:-2048
.LBB1378_156:
	s_and_not1_saveexec_b32 s5, s5
	s_cbranch_execz .LBB1378_158
; %bb.157:
	v_lshlrev_b32_e32 v15, 2, v0
	v_readfirstlane_b32 s6, v9
	v_readfirstlane_b32 s7, v10
	ds_load_b32 v16, v15 offset:2048
	s_waitcnt lgkmcnt(0)
	global_store_b32 v15, v16, s[6:7] offset:2048
.LBB1378_158:
	s_or_b32 exec_lo, exec_lo, s5
.LBB1378_159:
	s_and_not1_saveexec_b32 s3, s3
	s_cbranch_execz .LBB1378_161
; %bb.160:
	v_lshlrev_b32_e32 v15, 2, v0
	v_readfirstlane_b32 s6, v11
	v_readfirstlane_b32 s7, v12
	ds_load_b32 v16, v15 offset:2048
	s_waitcnt lgkmcnt(0)
	global_store_b32 v15, v16, s[6:7] offset:2048
.LBB1378_161:
	;; [unrolled: 47-line block ×3, first 2 shown]
	s_or_b32 exec_lo, exec_lo, s3
	v_or_b32_e32 v15, 0x400, v0
	s_mov_b32 s3, exec_lo
	s_delay_alu instid0(VALU_DEP_1)
	v_cmpx_le_u32_e64 v5, v15
	s_xor_b32 s3, exec_lo, s3
	s_cbranch_execz .LBB1378_175
; %bb.170:
	s_mov_b32 s5, exec_lo
	v_cmpx_le_u32_e64 v14, v15
	s_xor_b32 s5, exec_lo, s5
	s_cbranch_execz .LBB1378_172
; %bb.171:
	v_lshlrev_b32_e32 v15, 2, v0
	ds_load_b32 v17, v15 offset:4096
	v_add_co_u32 v15, vcc_lo, v7, v0
	v_add_co_ci_u32_e32 v16, vcc_lo, 0, v13, vcc_lo
	s_delay_alu instid0(VALU_DEP_1) | instskip(NEXT) | instid1(VALU_DEP_1)
	v_lshlrev_b64 v[15:16], 2, v[15:16]
	v_sub_co_u32 v15, vcc_lo, s1, v15
	s_delay_alu instid0(VALU_DEP_2)
	v_sub_co_ci_u32_e32 v16, vcc_lo, s0, v16, vcc_lo
	s_waitcnt lgkmcnt(0)
	global_store_b32 v[15:16], v17, off offset:-4096
                                        ; implicit-def: $vgpr15
.LBB1378_172:
	s_and_not1_saveexec_b32 s5, s5
	s_cbranch_execz .LBB1378_174
; %bb.173:
	v_lshlrev_b32_e32 v16, 2, v0
	v_lshlrev_b32_e32 v15, 2, v15
	v_readfirstlane_b32 s6, v9
	v_readfirstlane_b32 s7, v10
	ds_load_b32 v16, v16 offset:4096
	s_waitcnt lgkmcnt(0)
	global_store_b32 v15, v16, s[6:7]
.LBB1378_174:
	s_or_b32 exec_lo, exec_lo, s5
                                        ; implicit-def: $vgpr15
.LBB1378_175:
	s_and_not1_saveexec_b32 s3, s3
	s_cbranch_execz .LBB1378_177
; %bb.176:
	v_lshlrev_b32_e32 v16, 2, v0
	v_lshlrev_b32_e32 v15, 2, v15
	v_readfirstlane_b32 s6, v11
	v_readfirstlane_b32 s7, v12
	ds_load_b32 v16, v16 offset:4096
	s_waitcnt lgkmcnt(0)
	global_store_b32 v15, v16, s[6:7]
.LBB1378_177:
	s_or_b32 exec_lo, exec_lo, s3
	v_or_b32_e32 v15, 0x500, v0
	s_mov_b32 s3, exec_lo
	s_delay_alu instid0(VALU_DEP_1)
	v_cmpx_le_u32_e64 v5, v15
	s_xor_b32 s3, exec_lo, s3
	s_cbranch_execz .LBB1378_183
; %bb.178:
	s_mov_b32 s5, exec_lo
	v_cmpx_le_u32_e64 v14, v15
	s_xor_b32 s5, exec_lo, s5
	s_cbranch_execz .LBB1378_180
; %bb.179:
	v_lshlrev_b32_e32 v16, 2, v0
	v_add_co_u32 v15, vcc_lo, v7, v15
	ds_load_b32 v17, v16 offset:5120
	v_add_co_ci_u32_e32 v16, vcc_lo, 0, v13, vcc_lo
	s_delay_alu instid0(VALU_DEP_1) | instskip(NEXT) | instid1(VALU_DEP_1)
	v_lshlrev_b64 v[15:16], 2, v[15:16]
	v_sub_co_u32 v15, vcc_lo, s1, v15
	s_delay_alu instid0(VALU_DEP_2)
	v_sub_co_ci_u32_e32 v16, vcc_lo, s0, v16, vcc_lo
	s_waitcnt lgkmcnt(0)
	global_store_b32 v[15:16], v17, off
                                        ; implicit-def: $vgpr15
.LBB1378_180:
	s_and_not1_saveexec_b32 s5, s5
	s_cbranch_execz .LBB1378_182
; %bb.181:
	v_lshlrev_b32_e32 v16, 2, v0
	v_lshlrev_b32_e32 v15, 2, v15
	v_readfirstlane_b32 s6, v9
	v_readfirstlane_b32 s7, v10
	ds_load_b32 v16, v16 offset:5120
	s_waitcnt lgkmcnt(0)
	global_store_b32 v15, v16, s[6:7]
.LBB1378_182:
	s_or_b32 exec_lo, exec_lo, s5
                                        ; implicit-def: $vgpr15
.LBB1378_183:
	s_and_not1_saveexec_b32 s3, s3
	s_cbranch_execz .LBB1378_185
; %bb.184:
	v_lshlrev_b32_e32 v16, 2, v0
	v_lshlrev_b32_e32 v15, 2, v15
	v_readfirstlane_b32 s6, v11
	v_readfirstlane_b32 s7, v12
	ds_load_b32 v16, v16 offset:5120
	s_waitcnt lgkmcnt(0)
	global_store_b32 v15, v16, s[6:7]
.LBB1378_185:
	s_or_b32 exec_lo, exec_lo, s3
	v_or_b32_e32 v15, 0x600, v0
	s_mov_b32 s3, exec_lo
	s_delay_alu instid0(VALU_DEP_1)
	v_cmpx_le_u32_e64 v5, v15
	s_xor_b32 s3, exec_lo, s3
	s_cbranch_execz .LBB1378_191
; %bb.186:
	s_mov_b32 s5, exec_lo
	v_cmpx_le_u32_e64 v14, v15
	s_xor_b32 s5, exec_lo, s5
	s_cbranch_execz .LBB1378_188
; %bb.187:
	v_lshlrev_b32_e32 v16, 2, v0
	v_add_co_u32 v15, vcc_lo, v7, v15
	ds_load_b32 v17, v16 offset:6144
	v_add_co_ci_u32_e32 v16, vcc_lo, 0, v13, vcc_lo
	s_delay_alu instid0(VALU_DEP_1) | instskip(NEXT) | instid1(VALU_DEP_1)
	v_lshlrev_b64 v[15:16], 2, v[15:16]
	v_sub_co_u32 v15, vcc_lo, s1, v15
	s_delay_alu instid0(VALU_DEP_2)
	v_sub_co_ci_u32_e32 v16, vcc_lo, s0, v16, vcc_lo
	s_waitcnt lgkmcnt(0)
	global_store_b32 v[15:16], v17, off
                                        ; implicit-def: $vgpr15
.LBB1378_188:
	s_and_not1_saveexec_b32 s5, s5
	s_cbranch_execz .LBB1378_190
; %bb.189:
	v_lshlrev_b32_e32 v16, 2, v0
	v_lshlrev_b32_e32 v15, 2, v15
	v_readfirstlane_b32 s6, v9
	v_readfirstlane_b32 s7, v10
	ds_load_b32 v16, v16 offset:6144
	s_waitcnt lgkmcnt(0)
	global_store_b32 v15, v16, s[6:7]
.LBB1378_190:
	s_or_b32 exec_lo, exec_lo, s5
                                        ; implicit-def: $vgpr15
.LBB1378_191:
	s_and_not1_saveexec_b32 s3, s3
	s_cbranch_execz .LBB1378_193
; %bb.192:
	v_lshlrev_b32_e32 v16, 2, v0
	v_lshlrev_b32_e32 v15, 2, v15
	v_readfirstlane_b32 s6, v11
	v_readfirstlane_b32 s7, v12
	ds_load_b32 v16, v16 offset:6144
	s_waitcnt lgkmcnt(0)
	global_store_b32 v15, v16, s[6:7]
.LBB1378_193:
	s_or_b32 exec_lo, exec_lo, s3
	v_or_b32_e32 v15, 0x700, v0
	s_mov_b32 s3, exec_lo
	s_delay_alu instid0(VALU_DEP_1)
	v_cmpx_le_u32_e64 v5, v15
	s_xor_b32 s3, exec_lo, s3
	s_cbranch_execz .LBB1378_199
; %bb.194:
	s_mov_b32 s5, exec_lo
	v_cmpx_le_u32_e64 v14, v15
	s_xor_b32 s5, exec_lo, s5
	s_cbranch_execz .LBB1378_196
; %bb.195:
	v_lshlrev_b32_e32 v16, 2, v0
	v_add_co_u32 v15, vcc_lo, v7, v15
	ds_load_b32 v17, v16 offset:7168
	v_add_co_ci_u32_e32 v16, vcc_lo, 0, v13, vcc_lo
	s_delay_alu instid0(VALU_DEP_1) | instskip(NEXT) | instid1(VALU_DEP_1)
	v_lshlrev_b64 v[15:16], 2, v[15:16]
	v_sub_co_u32 v15, vcc_lo, s1, v15
	s_delay_alu instid0(VALU_DEP_2)
	v_sub_co_ci_u32_e32 v16, vcc_lo, s0, v16, vcc_lo
	s_waitcnt lgkmcnt(0)
	global_store_b32 v[15:16], v17, off
                                        ; implicit-def: $vgpr15
.LBB1378_196:
	s_and_not1_saveexec_b32 s5, s5
	s_cbranch_execz .LBB1378_198
; %bb.197:
	v_lshlrev_b32_e32 v16, 2, v0
	v_lshlrev_b32_e32 v15, 2, v15
	v_readfirstlane_b32 s6, v9
	v_readfirstlane_b32 s7, v10
	ds_load_b32 v16, v16 offset:7168
	s_waitcnt lgkmcnt(0)
	global_store_b32 v15, v16, s[6:7]
.LBB1378_198:
	s_or_b32 exec_lo, exec_lo, s5
                                        ; implicit-def: $vgpr15
.LBB1378_199:
	s_and_not1_saveexec_b32 s3, s3
	s_cbranch_execz .LBB1378_201
; %bb.200:
	v_lshlrev_b32_e32 v16, 2, v0
	v_lshlrev_b32_e32 v15, 2, v15
	v_readfirstlane_b32 s6, v11
	v_readfirstlane_b32 s7, v12
	ds_load_b32 v16, v16 offset:7168
	s_waitcnt lgkmcnt(0)
	global_store_b32 v15, v16, s[6:7]
.LBB1378_201:
	s_or_b32 exec_lo, exec_lo, s3
	v_or_b32_e32 v15, 0x800, v0
	s_mov_b32 s3, exec_lo
	s_delay_alu instid0(VALU_DEP_1)
	v_cmpx_le_u32_e64 v5, v15
	s_xor_b32 s3, exec_lo, s3
	s_cbranch_execz .LBB1378_207
; %bb.202:
	s_mov_b32 s5, exec_lo
	v_cmpx_le_u32_e64 v14, v15
	s_xor_b32 s5, exec_lo, s5
	s_cbranch_execz .LBB1378_204
; %bb.203:
	v_lshlrev_b32_e32 v16, 2, v0
	v_add_co_u32 v15, vcc_lo, v7, v15
	ds_load_b32 v17, v16 offset:8192
	v_add_co_ci_u32_e32 v16, vcc_lo, 0, v13, vcc_lo
	s_delay_alu instid0(VALU_DEP_1) | instskip(NEXT) | instid1(VALU_DEP_1)
	v_lshlrev_b64 v[15:16], 2, v[15:16]
	v_sub_co_u32 v15, vcc_lo, s1, v15
	s_delay_alu instid0(VALU_DEP_2)
	v_sub_co_ci_u32_e32 v16, vcc_lo, s0, v16, vcc_lo
	s_waitcnt lgkmcnt(0)
	global_store_b32 v[15:16], v17, off
                                        ; implicit-def: $vgpr15
.LBB1378_204:
	s_and_not1_saveexec_b32 s5, s5
	s_cbranch_execz .LBB1378_206
; %bb.205:
	v_lshlrev_b32_e32 v16, 2, v0
	v_lshlrev_b32_e32 v15, 2, v15
	v_readfirstlane_b32 s6, v9
	v_readfirstlane_b32 s7, v10
	ds_load_b32 v16, v16 offset:8192
	s_waitcnt lgkmcnt(0)
	global_store_b32 v15, v16, s[6:7]
.LBB1378_206:
	s_or_b32 exec_lo, exec_lo, s5
                                        ; implicit-def: $vgpr15
.LBB1378_207:
	s_and_not1_saveexec_b32 s3, s3
	s_cbranch_execz .LBB1378_209
; %bb.208:
	v_lshlrev_b32_e32 v16, 2, v0
	v_lshlrev_b32_e32 v15, 2, v15
	v_readfirstlane_b32 s6, v11
	v_readfirstlane_b32 s7, v12
	ds_load_b32 v16, v16 offset:8192
	s_waitcnt lgkmcnt(0)
	global_store_b32 v15, v16, s[6:7]
.LBB1378_209:
	s_or_b32 exec_lo, exec_lo, s3
	v_or_b32_e32 v15, 0x900, v0
	s_mov_b32 s3, exec_lo
	s_delay_alu instid0(VALU_DEP_1)
	v_cmpx_le_u32_e64 v5, v15
	s_xor_b32 s3, exec_lo, s3
	s_cbranch_execz .LBB1378_215
; %bb.210:
	s_mov_b32 s5, exec_lo
	v_cmpx_le_u32_e64 v14, v15
	s_xor_b32 s5, exec_lo, s5
	s_cbranch_execz .LBB1378_212
; %bb.211:
	v_lshlrev_b32_e32 v16, 2, v0
	v_add_co_u32 v15, vcc_lo, v7, v15
	ds_load_b32 v17, v16 offset:9216
	v_add_co_ci_u32_e32 v16, vcc_lo, 0, v13, vcc_lo
	s_delay_alu instid0(VALU_DEP_1) | instskip(NEXT) | instid1(VALU_DEP_1)
	v_lshlrev_b64 v[15:16], 2, v[15:16]
	v_sub_co_u32 v15, vcc_lo, s1, v15
	s_delay_alu instid0(VALU_DEP_2)
	v_sub_co_ci_u32_e32 v16, vcc_lo, s0, v16, vcc_lo
	s_waitcnt lgkmcnt(0)
	global_store_b32 v[15:16], v17, off
                                        ; implicit-def: $vgpr15
.LBB1378_212:
	s_and_not1_saveexec_b32 s5, s5
	s_cbranch_execz .LBB1378_214
; %bb.213:
	v_lshlrev_b32_e32 v16, 2, v0
	v_lshlrev_b32_e32 v15, 2, v15
	v_readfirstlane_b32 s6, v9
	v_readfirstlane_b32 s7, v10
	ds_load_b32 v16, v16 offset:9216
	s_waitcnt lgkmcnt(0)
	global_store_b32 v15, v16, s[6:7]
.LBB1378_214:
	s_or_b32 exec_lo, exec_lo, s5
                                        ; implicit-def: $vgpr15
.LBB1378_215:
	s_and_not1_saveexec_b32 s3, s3
	s_cbranch_execz .LBB1378_217
; %bb.216:
	v_lshlrev_b32_e32 v16, 2, v0
	v_lshlrev_b32_e32 v15, 2, v15
	v_readfirstlane_b32 s6, v11
	v_readfirstlane_b32 s7, v12
	ds_load_b32 v16, v16 offset:9216
	s_waitcnt lgkmcnt(0)
	global_store_b32 v15, v16, s[6:7]
.LBB1378_217:
	s_or_b32 exec_lo, exec_lo, s3
	v_or_b32_e32 v15, 0xa00, v0
	s_mov_b32 s3, exec_lo
	s_delay_alu instid0(VALU_DEP_1)
	v_cmpx_le_u32_e64 v5, v15
	s_xor_b32 s3, exec_lo, s3
	s_cbranch_execz .LBB1378_223
; %bb.218:
	s_mov_b32 s5, exec_lo
	v_cmpx_le_u32_e64 v14, v15
	s_xor_b32 s5, exec_lo, s5
	s_cbranch_execz .LBB1378_220
; %bb.219:
	v_lshlrev_b32_e32 v16, 2, v0
	v_add_co_u32 v15, vcc_lo, v7, v15
	ds_load_b32 v17, v16 offset:10240
	v_add_co_ci_u32_e32 v16, vcc_lo, 0, v13, vcc_lo
	s_delay_alu instid0(VALU_DEP_1) | instskip(NEXT) | instid1(VALU_DEP_1)
	v_lshlrev_b64 v[15:16], 2, v[15:16]
	v_sub_co_u32 v15, vcc_lo, s1, v15
	s_delay_alu instid0(VALU_DEP_2)
	v_sub_co_ci_u32_e32 v16, vcc_lo, s0, v16, vcc_lo
	s_waitcnt lgkmcnt(0)
	global_store_b32 v[15:16], v17, off
                                        ; implicit-def: $vgpr15
.LBB1378_220:
	s_and_not1_saveexec_b32 s5, s5
	s_cbranch_execz .LBB1378_222
; %bb.221:
	v_lshlrev_b32_e32 v16, 2, v0
	v_lshlrev_b32_e32 v15, 2, v15
	v_readfirstlane_b32 s6, v9
	v_readfirstlane_b32 s7, v10
	ds_load_b32 v16, v16 offset:10240
	s_waitcnt lgkmcnt(0)
	global_store_b32 v15, v16, s[6:7]
.LBB1378_222:
	s_or_b32 exec_lo, exec_lo, s5
                                        ; implicit-def: $vgpr15
.LBB1378_223:
	s_and_not1_saveexec_b32 s3, s3
	s_cbranch_execz .LBB1378_225
; %bb.224:
	v_lshlrev_b32_e32 v16, 2, v0
	v_lshlrev_b32_e32 v15, 2, v15
	v_readfirstlane_b32 s6, v11
	v_readfirstlane_b32 s7, v12
	ds_load_b32 v16, v16 offset:10240
	s_waitcnt lgkmcnt(0)
	global_store_b32 v15, v16, s[6:7]
.LBB1378_225:
	s_or_b32 exec_lo, exec_lo, s3
	v_or_b32_e32 v15, 0xb00, v0
	s_mov_b32 s3, exec_lo
	s_delay_alu instid0(VALU_DEP_1)
	v_cmpx_le_u32_e64 v5, v15
	s_xor_b32 s3, exec_lo, s3
	s_cbranch_execz .LBB1378_231
; %bb.226:
	s_mov_b32 s5, exec_lo
	v_cmpx_le_u32_e64 v14, v15
	s_xor_b32 s5, exec_lo, s5
	s_cbranch_execz .LBB1378_228
; %bb.227:
	v_lshlrev_b32_e32 v16, 2, v0
	v_add_co_u32 v15, vcc_lo, v7, v15
	ds_load_b32 v17, v16 offset:11264
	v_add_co_ci_u32_e32 v16, vcc_lo, 0, v13, vcc_lo
	s_delay_alu instid0(VALU_DEP_1) | instskip(NEXT) | instid1(VALU_DEP_1)
	v_lshlrev_b64 v[15:16], 2, v[15:16]
	v_sub_co_u32 v15, vcc_lo, s1, v15
	s_delay_alu instid0(VALU_DEP_2)
	v_sub_co_ci_u32_e32 v16, vcc_lo, s0, v16, vcc_lo
	s_waitcnt lgkmcnt(0)
	global_store_b32 v[15:16], v17, off
                                        ; implicit-def: $vgpr15
.LBB1378_228:
	s_and_not1_saveexec_b32 s5, s5
	s_cbranch_execz .LBB1378_230
; %bb.229:
	v_lshlrev_b32_e32 v16, 2, v0
	v_lshlrev_b32_e32 v15, 2, v15
	v_readfirstlane_b32 s6, v9
	v_readfirstlane_b32 s7, v10
	ds_load_b32 v16, v16 offset:11264
	s_waitcnt lgkmcnt(0)
	global_store_b32 v15, v16, s[6:7]
.LBB1378_230:
	s_or_b32 exec_lo, exec_lo, s5
                                        ; implicit-def: $vgpr15
.LBB1378_231:
	s_and_not1_saveexec_b32 s3, s3
	s_cbranch_execz .LBB1378_233
; %bb.232:
	v_lshlrev_b32_e32 v16, 2, v0
	v_lshlrev_b32_e32 v15, 2, v15
	v_readfirstlane_b32 s6, v11
	v_readfirstlane_b32 s7, v12
	ds_load_b32 v16, v16 offset:11264
	s_waitcnt lgkmcnt(0)
	global_store_b32 v15, v16, s[6:7]
.LBB1378_233:
	s_or_b32 exec_lo, exec_lo, s3
	v_or_b32_e32 v15, 0xc00, v0
	s_mov_b32 s3, exec_lo
	s_delay_alu instid0(VALU_DEP_1)
	v_cmpx_le_u32_e64 v5, v15
	s_xor_b32 s3, exec_lo, s3
	s_cbranch_execz .LBB1378_239
; %bb.234:
	s_mov_b32 s5, exec_lo
	v_cmpx_le_u32_e64 v14, v15
	s_xor_b32 s5, exec_lo, s5
	s_cbranch_execz .LBB1378_236
; %bb.235:
	v_lshlrev_b32_e32 v16, 2, v0
	v_add_co_u32 v15, vcc_lo, v7, v15
	ds_load_b32 v17, v16 offset:12288
	v_add_co_ci_u32_e32 v16, vcc_lo, 0, v13, vcc_lo
	s_delay_alu instid0(VALU_DEP_1) | instskip(NEXT) | instid1(VALU_DEP_1)
	v_lshlrev_b64 v[15:16], 2, v[15:16]
	v_sub_co_u32 v15, vcc_lo, s1, v15
	s_delay_alu instid0(VALU_DEP_2)
	v_sub_co_ci_u32_e32 v16, vcc_lo, s0, v16, vcc_lo
	s_waitcnt lgkmcnt(0)
	global_store_b32 v[15:16], v17, off
                                        ; implicit-def: $vgpr15
.LBB1378_236:
	s_and_not1_saveexec_b32 s5, s5
	s_cbranch_execz .LBB1378_238
; %bb.237:
	v_lshlrev_b32_e32 v16, 2, v0
	v_lshlrev_b32_e32 v15, 2, v15
	v_readfirstlane_b32 s6, v9
	v_readfirstlane_b32 s7, v10
	ds_load_b32 v16, v16 offset:12288
	s_waitcnt lgkmcnt(0)
	global_store_b32 v15, v16, s[6:7]
.LBB1378_238:
	s_or_b32 exec_lo, exec_lo, s5
                                        ; implicit-def: $vgpr15
.LBB1378_239:
	s_and_not1_saveexec_b32 s3, s3
	s_cbranch_execz .LBB1378_241
; %bb.240:
	v_lshlrev_b32_e32 v16, 2, v0
	v_lshlrev_b32_e32 v15, 2, v15
	v_readfirstlane_b32 s6, v11
	v_readfirstlane_b32 s7, v12
	ds_load_b32 v16, v16 offset:12288
	s_waitcnt lgkmcnt(0)
	global_store_b32 v15, v16, s[6:7]
.LBB1378_241:
	s_or_b32 exec_lo, exec_lo, s3
	s_branch .LBB1378_135
.LBB1378_242:
	s_mov_b32 s3, exec_lo
	v_cmpx_gt_u32_e64 s4, v0
	s_cbranch_execz .LBB1378_251
; %bb.243:
	s_mov_b32 s5, exec_lo
	v_cmpx_le_u32_e64 v5, v0
	s_xor_b32 s5, exec_lo, s5
	s_cbranch_execz .LBB1378_249
; %bb.244:
	s_mov_b32 s6, exec_lo
	v_cmpx_le_u32_e64 v14, v0
	s_xor_b32 s6, exec_lo, s6
	s_cbranch_execz .LBB1378_246
; %bb.245:
	v_lshlrev_b32_e32 v15, 2, v0
	ds_load_b32 v17, v15
	v_add_co_u32 v15, vcc_lo, v7, v0
	v_add_co_ci_u32_e32 v16, vcc_lo, 0, v13, vcc_lo
	s_delay_alu instid0(VALU_DEP_1) | instskip(NEXT) | instid1(VALU_DEP_1)
	v_lshlrev_b64 v[15:16], 2, v[15:16]
	v_sub_co_u32 v15, vcc_lo, s14, v15
	s_delay_alu instid0(VALU_DEP_2)
	v_sub_co_ci_u32_e32 v16, vcc_lo, s15, v16, vcc_lo
	s_waitcnt lgkmcnt(0)
	global_store_b32 v[15:16], v17, off offset:-4
.LBB1378_246:
	s_and_not1_saveexec_b32 s6, s6
	s_cbranch_execz .LBB1378_248
; %bb.247:
	v_lshlrev_b32_e32 v15, 2, v0
	v_readfirstlane_b32 s8, v9
	v_readfirstlane_b32 s9, v10
	ds_load_b32 v16, v15
	s_waitcnt lgkmcnt(0)
	global_store_b32 v15, v16, s[8:9]
.LBB1378_248:
	s_or_b32 exec_lo, exec_lo, s6
.LBB1378_249:
	s_and_not1_saveexec_b32 s5, s5
	s_cbranch_execz .LBB1378_251
; %bb.250:
	v_lshlrev_b32_e32 v15, 2, v0
	v_readfirstlane_b32 s6, v11
	v_readfirstlane_b32 s7, v12
	ds_load_b32 v16, v15
	s_waitcnt lgkmcnt(0)
	global_store_b32 v15, v16, s[6:7]
.LBB1378_251:
	s_or_b32 exec_lo, exec_lo, s3
	v_or_b32_e32 v15, 0x100, v0
	s_mov_b32 s3, exec_lo
	s_delay_alu instid0(VALU_DEP_1)
	v_cmpx_gt_u32_e64 s4, v15
	s_cbranch_execz .LBB1378_260
; %bb.252:
	s_mov_b32 s5, exec_lo
	v_cmpx_le_u32_e64 v5, v15
	s_xor_b32 s5, exec_lo, s5
	s_cbranch_execz .LBB1378_258
; %bb.253:
	s_mov_b32 s6, exec_lo
	v_cmpx_le_u32_e64 v14, v15
	s_xor_b32 s6, exec_lo, s6
	s_cbranch_execz .LBB1378_255
; %bb.254:
	v_lshlrev_b32_e32 v15, 2, v0
	ds_load_b32 v17, v15 offset:1024
	v_add_co_u32 v15, vcc_lo, v7, v0
	v_add_co_ci_u32_e32 v16, vcc_lo, 0, v13, vcc_lo
	s_delay_alu instid0(VALU_DEP_1) | instskip(NEXT) | instid1(VALU_DEP_1)
	v_lshlrev_b64 v[15:16], 2, v[15:16]
	v_sub_co_u32 v15, vcc_lo, s1, v15
	s_delay_alu instid0(VALU_DEP_2)
	v_sub_co_ci_u32_e32 v16, vcc_lo, s0, v16, vcc_lo
	s_waitcnt lgkmcnt(0)
	global_store_b32 v[15:16], v17, off offset:-1024
.LBB1378_255:
	s_and_not1_saveexec_b32 s6, s6
	s_cbranch_execz .LBB1378_257
; %bb.256:
	v_lshlrev_b32_e32 v15, 2, v0
	v_readfirstlane_b32 s8, v9
	v_readfirstlane_b32 s9, v10
	ds_load_b32 v16, v15 offset:1024
	s_waitcnt lgkmcnt(0)
	global_store_b32 v15, v16, s[8:9] offset:1024
.LBB1378_257:
	s_or_b32 exec_lo, exec_lo, s6
.LBB1378_258:
	s_and_not1_saveexec_b32 s5, s5
	s_cbranch_execz .LBB1378_260
; %bb.259:
	v_lshlrev_b32_e32 v15, 2, v0
	v_readfirstlane_b32 s6, v11
	v_readfirstlane_b32 s7, v12
	ds_load_b32 v16, v15 offset:1024
	s_waitcnt lgkmcnt(0)
	global_store_b32 v15, v16, s[6:7] offset:1024
.LBB1378_260:
	s_or_b32 exec_lo, exec_lo, s3
	v_or_b32_e32 v15, 0x200, v0
	s_mov_b32 s3, exec_lo
	s_delay_alu instid0(VALU_DEP_1)
	v_cmpx_gt_u32_e64 s4, v15
	s_cbranch_execz .LBB1378_269
; %bb.261:
	s_mov_b32 s5, exec_lo
	v_cmpx_le_u32_e64 v5, v15
	s_xor_b32 s5, exec_lo, s5
	s_cbranch_execz .LBB1378_267
; %bb.262:
	s_mov_b32 s6, exec_lo
	v_cmpx_le_u32_e64 v14, v15
	s_xor_b32 s6, exec_lo, s6
	s_cbranch_execz .LBB1378_264
; %bb.263:
	v_lshlrev_b32_e32 v15, 2, v0
	ds_load_b32 v17, v15 offset:2048
	v_add_co_u32 v15, vcc_lo, v7, v0
	v_add_co_ci_u32_e32 v16, vcc_lo, 0, v13, vcc_lo
	s_delay_alu instid0(VALU_DEP_1) | instskip(NEXT) | instid1(VALU_DEP_1)
	v_lshlrev_b64 v[15:16], 2, v[15:16]
	v_sub_co_u32 v15, vcc_lo, s1, v15
	s_delay_alu instid0(VALU_DEP_2)
	v_sub_co_ci_u32_e32 v16, vcc_lo, s0, v16, vcc_lo
	s_waitcnt lgkmcnt(0)
	global_store_b32 v[15:16], v17, off offset:-2048
.LBB1378_264:
	s_and_not1_saveexec_b32 s6, s6
	s_cbranch_execz .LBB1378_266
; %bb.265:
	v_lshlrev_b32_e32 v15, 2, v0
	v_readfirstlane_b32 s8, v9
	v_readfirstlane_b32 s9, v10
	ds_load_b32 v16, v15 offset:2048
	s_waitcnt lgkmcnt(0)
	global_store_b32 v15, v16, s[8:9] offset:2048
.LBB1378_266:
	s_or_b32 exec_lo, exec_lo, s6
.LBB1378_267:
	s_and_not1_saveexec_b32 s5, s5
	s_cbranch_execz .LBB1378_269
; %bb.268:
	v_lshlrev_b32_e32 v15, 2, v0
	v_readfirstlane_b32 s6, v11
	v_readfirstlane_b32 s7, v12
	ds_load_b32 v16, v15 offset:2048
	s_waitcnt lgkmcnt(0)
	global_store_b32 v15, v16, s[6:7] offset:2048
.LBB1378_269:
	;; [unrolled: 51-line block ×3, first 2 shown]
	s_or_b32 exec_lo, exec_lo, s3
	v_or_b32_e32 v15, 0x400, v0
	s_mov_b32 s3, exec_lo
	s_delay_alu instid0(VALU_DEP_1)
	v_cmpx_gt_u32_e64 s4, v15
	s_cbranch_execz .LBB1378_287
; %bb.279:
	s_mov_b32 s5, exec_lo
	v_cmpx_le_u32_e64 v5, v15
	s_xor_b32 s5, exec_lo, s5
	s_cbranch_execz .LBB1378_285
; %bb.280:
	s_mov_b32 s6, exec_lo
	v_cmpx_le_u32_e64 v14, v15
	s_xor_b32 s6, exec_lo, s6
	s_cbranch_execz .LBB1378_282
; %bb.281:
	v_lshlrev_b32_e32 v15, 2, v0
	ds_load_b32 v17, v15 offset:4096
	v_add_co_u32 v15, vcc_lo, v7, v0
	v_add_co_ci_u32_e32 v16, vcc_lo, 0, v13, vcc_lo
	s_delay_alu instid0(VALU_DEP_1) | instskip(NEXT) | instid1(VALU_DEP_1)
	v_lshlrev_b64 v[15:16], 2, v[15:16]
	v_sub_co_u32 v15, vcc_lo, s1, v15
	s_delay_alu instid0(VALU_DEP_2)
	v_sub_co_ci_u32_e32 v16, vcc_lo, s0, v16, vcc_lo
	s_waitcnt lgkmcnt(0)
	global_store_b32 v[15:16], v17, off offset:-4096
                                        ; implicit-def: $vgpr15
.LBB1378_282:
	s_and_not1_saveexec_b32 s6, s6
	s_cbranch_execz .LBB1378_284
; %bb.283:
	v_lshlrev_b32_e32 v16, 2, v0
	v_lshlrev_b32_e32 v15, 2, v15
	v_readfirstlane_b32 s8, v9
	v_readfirstlane_b32 s9, v10
	ds_load_b32 v16, v16 offset:4096
	s_waitcnt lgkmcnt(0)
	global_store_b32 v15, v16, s[8:9]
.LBB1378_284:
	s_or_b32 exec_lo, exec_lo, s6
                                        ; implicit-def: $vgpr15
.LBB1378_285:
	s_and_not1_saveexec_b32 s5, s5
	s_cbranch_execz .LBB1378_287
; %bb.286:
	v_lshlrev_b32_e32 v16, 2, v0
	v_lshlrev_b32_e32 v15, 2, v15
	v_readfirstlane_b32 s6, v11
	v_readfirstlane_b32 s7, v12
	ds_load_b32 v16, v16 offset:4096
	s_waitcnt lgkmcnt(0)
	global_store_b32 v15, v16, s[6:7]
.LBB1378_287:
	s_or_b32 exec_lo, exec_lo, s3
	v_or_b32_e32 v15, 0x500, v0
	s_mov_b32 s3, exec_lo
	s_delay_alu instid0(VALU_DEP_1)
	v_cmpx_gt_u32_e64 s4, v15
	s_cbranch_execz .LBB1378_296
; %bb.288:
	s_mov_b32 s5, exec_lo
	v_cmpx_le_u32_e64 v5, v15
	s_xor_b32 s5, exec_lo, s5
	s_cbranch_execz .LBB1378_294
; %bb.289:
	s_mov_b32 s6, exec_lo
	v_cmpx_le_u32_e64 v14, v15
	s_xor_b32 s6, exec_lo, s6
	s_cbranch_execz .LBB1378_291
; %bb.290:
	v_lshlrev_b32_e32 v16, 2, v0
	v_add_co_u32 v15, vcc_lo, v7, v15
	ds_load_b32 v17, v16 offset:5120
	v_add_co_ci_u32_e32 v16, vcc_lo, 0, v13, vcc_lo
	s_delay_alu instid0(VALU_DEP_1) | instskip(NEXT) | instid1(VALU_DEP_1)
	v_lshlrev_b64 v[15:16], 2, v[15:16]
	v_sub_co_u32 v15, vcc_lo, s1, v15
	s_delay_alu instid0(VALU_DEP_2)
	v_sub_co_ci_u32_e32 v16, vcc_lo, s0, v16, vcc_lo
	s_waitcnt lgkmcnt(0)
	global_store_b32 v[15:16], v17, off
                                        ; implicit-def: $vgpr15
.LBB1378_291:
	s_and_not1_saveexec_b32 s6, s6
	s_cbranch_execz .LBB1378_293
; %bb.292:
	v_lshlrev_b32_e32 v16, 2, v0
	v_lshlrev_b32_e32 v15, 2, v15
	v_readfirstlane_b32 s8, v9
	v_readfirstlane_b32 s9, v10
	ds_load_b32 v16, v16 offset:5120
	s_waitcnt lgkmcnt(0)
	global_store_b32 v15, v16, s[8:9]
.LBB1378_293:
	s_or_b32 exec_lo, exec_lo, s6
                                        ; implicit-def: $vgpr15
.LBB1378_294:
	s_and_not1_saveexec_b32 s5, s5
	s_cbranch_execz .LBB1378_296
; %bb.295:
	v_lshlrev_b32_e32 v16, 2, v0
	v_lshlrev_b32_e32 v15, 2, v15
	v_readfirstlane_b32 s6, v11
	v_readfirstlane_b32 s7, v12
	ds_load_b32 v16, v16 offset:5120
	s_waitcnt lgkmcnt(0)
	global_store_b32 v15, v16, s[6:7]
.LBB1378_296:
	s_or_b32 exec_lo, exec_lo, s3
	v_or_b32_e32 v15, 0x600, v0
	s_mov_b32 s3, exec_lo
	s_delay_alu instid0(VALU_DEP_1)
	v_cmpx_gt_u32_e64 s4, v15
	s_cbranch_execz .LBB1378_305
; %bb.297:
	s_mov_b32 s5, exec_lo
	v_cmpx_le_u32_e64 v5, v15
	s_xor_b32 s5, exec_lo, s5
	s_cbranch_execz .LBB1378_303
; %bb.298:
	s_mov_b32 s6, exec_lo
	v_cmpx_le_u32_e64 v14, v15
	s_xor_b32 s6, exec_lo, s6
	s_cbranch_execz .LBB1378_300
; %bb.299:
	v_lshlrev_b32_e32 v16, 2, v0
	v_add_co_u32 v15, vcc_lo, v7, v15
	ds_load_b32 v17, v16 offset:6144
	v_add_co_ci_u32_e32 v16, vcc_lo, 0, v13, vcc_lo
	s_delay_alu instid0(VALU_DEP_1) | instskip(NEXT) | instid1(VALU_DEP_1)
	v_lshlrev_b64 v[15:16], 2, v[15:16]
	v_sub_co_u32 v15, vcc_lo, s1, v15
	s_delay_alu instid0(VALU_DEP_2)
	v_sub_co_ci_u32_e32 v16, vcc_lo, s0, v16, vcc_lo
	s_waitcnt lgkmcnt(0)
	global_store_b32 v[15:16], v17, off
                                        ; implicit-def: $vgpr15
.LBB1378_300:
	s_and_not1_saveexec_b32 s6, s6
	s_cbranch_execz .LBB1378_302
; %bb.301:
	v_lshlrev_b32_e32 v16, 2, v0
	v_lshlrev_b32_e32 v15, 2, v15
	v_readfirstlane_b32 s8, v9
	v_readfirstlane_b32 s9, v10
	ds_load_b32 v16, v16 offset:6144
	s_waitcnt lgkmcnt(0)
	global_store_b32 v15, v16, s[8:9]
.LBB1378_302:
	s_or_b32 exec_lo, exec_lo, s6
                                        ; implicit-def: $vgpr15
.LBB1378_303:
	s_and_not1_saveexec_b32 s5, s5
	s_cbranch_execz .LBB1378_305
; %bb.304:
	v_lshlrev_b32_e32 v16, 2, v0
	v_lshlrev_b32_e32 v15, 2, v15
	v_readfirstlane_b32 s6, v11
	v_readfirstlane_b32 s7, v12
	ds_load_b32 v16, v16 offset:6144
	s_waitcnt lgkmcnt(0)
	global_store_b32 v15, v16, s[6:7]
.LBB1378_305:
	;; [unrolled: 55-line block ×7, first 2 shown]
	s_or_b32 exec_lo, exec_lo, s3
	v_or_b32_e32 v15, 0xc00, v0
	s_mov_b32 s3, exec_lo
	s_delay_alu instid0(VALU_DEP_1)
	v_cmpx_gt_u32_e64 s4, v15
	s_cbranch_execz .LBB1378_359
; %bb.351:
	s_mov_b32 s4, exec_lo
	v_cmpx_le_u32_e64 v5, v15
	s_xor_b32 s4, exec_lo, s4
	s_cbranch_execz .LBB1378_357
; %bb.352:
	s_mov_b32 s5, exec_lo
	v_cmpx_le_u32_e64 v14, v15
	s_xor_b32 s5, exec_lo, s5
	s_cbranch_execz .LBB1378_354
; %bb.353:
	v_lshlrev_b32_e32 v0, 2, v0
	v_add_co_u32 v9, vcc_lo, v7, v15
	v_add_co_ci_u32_e32 v10, vcc_lo, 0, v13, vcc_lo
	ds_load_b32 v0, v0 offset:12288
                                        ; implicit-def: $vgpr15
	v_lshlrev_b64 v[9:10], 2, v[9:10]
	s_delay_alu instid0(VALU_DEP_1) | instskip(NEXT) | instid1(VALU_DEP_2)
	v_sub_co_u32 v9, vcc_lo, s1, v9
	v_sub_co_ci_u32_e32 v10, vcc_lo, s0, v10, vcc_lo
	s_waitcnt lgkmcnt(0)
	global_store_b32 v[9:10], v0, off
                                        ; implicit-def: $vgpr0
                                        ; implicit-def: $vgpr9_vgpr10
.LBB1378_354:
	s_and_not1_saveexec_b32 s0, s5
	s_cbranch_execz .LBB1378_356
; %bb.355:
	v_lshlrev_b32_e32 v0, 2, v0
	v_lshlrev_b32_e32 v7, 2, v15
	v_readfirstlane_b32 s6, v9
	v_readfirstlane_b32 s7, v10
	ds_load_b32 v0, v0 offset:12288
	s_waitcnt lgkmcnt(0)
	global_store_b32 v7, v0, s[6:7]
.LBB1378_356:
	s_or_b32 exec_lo, exec_lo, s0
                                        ; implicit-def: $vgpr0
                                        ; implicit-def: $vgpr15
                                        ; implicit-def: $vgpr11_vgpr12
.LBB1378_357:
	s_and_not1_saveexec_b32 s0, s4
	s_cbranch_execz .LBB1378_359
; %bb.358:
	v_lshlrev_b32_e32 v0, 2, v0
	v_lshlrev_b32_e32 v7, 2, v15
	v_readfirstlane_b32 s0, v11
	v_readfirstlane_b32 s1, v12
	ds_load_b32 v0, v0 offset:12288
	s_waitcnt lgkmcnt(0)
	global_store_b32 v7, v0, s[0:1]
.LBB1378_359:
	s_or_b32 exec_lo, exec_lo, s3
	s_and_b32 s0, s2, s13
	s_delay_alu instid0(SALU_CYCLE_1)
	s_and_saveexec_b32 s1, s0
	s_cbranch_execz .LBB1378_136
.LBB1378_360:
	v_add_co_u32 v3, vcc_lo, v3, v6
	v_add_co_ci_u32_e32 v4, vcc_lo, 0, v4, vcc_lo
	v_add_co_u32 v0, vcc_lo, v1, v5
	v_add_co_ci_u32_e32 v1, vcc_lo, 0, v2, vcc_lo
	s_delay_alu instid0(VALU_DEP_4)
	v_add_co_u32 v2, vcc_lo, v3, v8
	v_mov_b32_e32 v7, 0
	v_add_co_ci_u32_e32 v3, vcc_lo, 0, v4, vcc_lo
	global_store_b128 v7, v[0:3], s[24:25]
	s_nop 0
	s_sendmsg sendmsg(MSG_DEALLOC_VGPRS)
	s_endpgm
.LBB1378_361:
	v_add_nc_u32_e32 v7, s6, v27
	s_add_i32 s8, s26, 32
	s_mov_b32 s9, 0
	v_dual_mov_b32 v9, 0 :: v_dual_add_nc_u32 v6, v26, v5
	s_lshl_b64 s[8:9], s[8:9], 4
	v_and_b32_e32 v24, 0xff0000, v7
	s_add_u32 s8, s36, s8
	s_addc_u32 s9, s37, s9
	v_and_b32_e32 v8, 0xff000000, v7
	s_delay_alu instid0(VALU_DEP_1) | instskip(SKIP_2) | instid1(VALU_DEP_1)
	v_or_b32_e32 v24, v24, v8
	v_dual_mov_b32 v8, 2 :: v_dual_and_b32 v25, 0xff00, v7
	v_and_b32_e32 v7, 0xff, v7
	v_or3_b32 v7, v24, v25, v7
	v_dual_mov_b32 v25, s9 :: v_dual_mov_b32 v24, s8
	;;#ASMSTART
	global_store_dwordx4 v[24:25], v[6:9] off	
s_waitcnt vmcnt(0)
	;;#ASMEND
	s_or_b32 exec_lo, exec_lo, s7
	s_and_saveexec_b32 s7, s3
	s_cbranch_execz .LBB1378_120
.LBB1378_362:
	v_mov_b32_e32 v6, s6
	v_add_nc_u32_e64 v7, 0x3400, 0
	ds_store_2addr_b32 v7, v5, v6 offset1:2
	ds_store_2addr_b32 v7, v26, v27 offset0:4 offset1:6
	s_or_b32 exec_lo, exec_lo, s7
	s_delay_alu instid0(SALU_CYCLE_1)
	s_and_b32 exec_lo, exec_lo, s2
	s_cbranch_execnz .LBB1378_121
	s_branch .LBB1378_122
	.section	.rodata,"a",@progbits
	.p2align	6, 0x0
	.amdhsa_kernel _ZN7rocprim17ROCPRIM_400000_NS6detail17trampoline_kernelINS0_13select_configILj256ELj13ELNS0_17block_load_methodE3ELS4_3ELS4_3ELNS0_20block_scan_algorithmE0ELj4294967295EEENS1_25partition_config_selectorILNS1_17partition_subalgoE4EjNS0_10empty_typeEbEEZZNS1_14partition_implILS8_4ELb0ES6_15HIP_vector_typeIjLj2EENS0_17counting_iteratorIjlEEPS9_SG_NS0_5tupleIJPjSI_NS0_16reverse_iteratorISI_EEEEENSH_IJSG_SG_SG_EEES9_SI_JZNS1_25segmented_radix_sort_implINS0_14default_configELb0EPKfPfPKlPlN2at6native12_GLOBAL__N_18offset_tEEE10hipError_tPvRmT1_PNSt15iterator_traitsIS12_E10value_typeET2_T3_PNS13_IS18_E10value_typeET4_jRbjT5_S1E_jjP12ihipStream_tbEUljE_ZNSN_ISO_Lb0ESQ_SR_ST_SU_SY_EESZ_S10_S11_S12_S16_S17_S18_S1B_S1C_jS1D_jS1E_S1E_jjS1G_bEUljE0_EEESZ_S10_S11_S18_S1C_S1E_T6_T7_T9_mT8_S1G_bDpT10_ENKUlT_T0_E_clISt17integral_constantIbLb1EES1U_EEDaS1P_S1Q_EUlS1P_E_NS1_11comp_targetILNS1_3genE9ELNS1_11target_archE1100ELNS1_3gpuE3ELNS1_3repE0EEENS1_30default_config_static_selectorELNS0_4arch9wavefront6targetE0EEEvS12_
		.amdhsa_group_segment_fixed_size 13340
		.amdhsa_private_segment_fixed_size 0
		.amdhsa_kernarg_size 184
		.amdhsa_user_sgpr_count 15
		.amdhsa_user_sgpr_dispatch_ptr 0
		.amdhsa_user_sgpr_queue_ptr 0
		.amdhsa_user_sgpr_kernarg_segment_ptr 1
		.amdhsa_user_sgpr_dispatch_id 0
		.amdhsa_user_sgpr_private_segment_size 0
		.amdhsa_wavefront_size32 1
		.amdhsa_uses_dynamic_stack 0
		.amdhsa_enable_private_segment 0
		.amdhsa_system_sgpr_workgroup_id_x 1
		.amdhsa_system_sgpr_workgroup_id_y 0
		.amdhsa_system_sgpr_workgroup_id_z 0
		.amdhsa_system_sgpr_workgroup_info 0
		.amdhsa_system_vgpr_workitem_id 0
		.amdhsa_next_free_vgpr 103
		.amdhsa_next_free_sgpr 55
		.amdhsa_reserve_vcc 1
		.amdhsa_float_round_mode_32 0
		.amdhsa_float_round_mode_16_64 0
		.amdhsa_float_denorm_mode_32 3
		.amdhsa_float_denorm_mode_16_64 3
		.amdhsa_dx10_clamp 1
		.amdhsa_ieee_mode 1
		.amdhsa_fp16_overflow 0
		.amdhsa_workgroup_processor_mode 1
		.amdhsa_memory_ordered 1
		.amdhsa_forward_progress 0
		.amdhsa_shared_vgpr_count 0
		.amdhsa_exception_fp_ieee_invalid_op 0
		.amdhsa_exception_fp_denorm_src 0
		.amdhsa_exception_fp_ieee_div_zero 0
		.amdhsa_exception_fp_ieee_overflow 0
		.amdhsa_exception_fp_ieee_underflow 0
		.amdhsa_exception_fp_ieee_inexact 0
		.amdhsa_exception_int_div_zero 0
	.end_amdhsa_kernel
	.section	.text._ZN7rocprim17ROCPRIM_400000_NS6detail17trampoline_kernelINS0_13select_configILj256ELj13ELNS0_17block_load_methodE3ELS4_3ELS4_3ELNS0_20block_scan_algorithmE0ELj4294967295EEENS1_25partition_config_selectorILNS1_17partition_subalgoE4EjNS0_10empty_typeEbEEZZNS1_14partition_implILS8_4ELb0ES6_15HIP_vector_typeIjLj2EENS0_17counting_iteratorIjlEEPS9_SG_NS0_5tupleIJPjSI_NS0_16reverse_iteratorISI_EEEEENSH_IJSG_SG_SG_EEES9_SI_JZNS1_25segmented_radix_sort_implINS0_14default_configELb0EPKfPfPKlPlN2at6native12_GLOBAL__N_18offset_tEEE10hipError_tPvRmT1_PNSt15iterator_traitsIS12_E10value_typeET2_T3_PNS13_IS18_E10value_typeET4_jRbjT5_S1E_jjP12ihipStream_tbEUljE_ZNSN_ISO_Lb0ESQ_SR_ST_SU_SY_EESZ_S10_S11_S12_S16_S17_S18_S1B_S1C_jS1D_jS1E_S1E_jjS1G_bEUljE0_EEESZ_S10_S11_S18_S1C_S1E_T6_T7_T9_mT8_S1G_bDpT10_ENKUlT_T0_E_clISt17integral_constantIbLb1EES1U_EEDaS1P_S1Q_EUlS1P_E_NS1_11comp_targetILNS1_3genE9ELNS1_11target_archE1100ELNS1_3gpuE3ELNS1_3repE0EEENS1_30default_config_static_selectorELNS0_4arch9wavefront6targetE0EEEvS12_,"axG",@progbits,_ZN7rocprim17ROCPRIM_400000_NS6detail17trampoline_kernelINS0_13select_configILj256ELj13ELNS0_17block_load_methodE3ELS4_3ELS4_3ELNS0_20block_scan_algorithmE0ELj4294967295EEENS1_25partition_config_selectorILNS1_17partition_subalgoE4EjNS0_10empty_typeEbEEZZNS1_14partition_implILS8_4ELb0ES6_15HIP_vector_typeIjLj2EENS0_17counting_iteratorIjlEEPS9_SG_NS0_5tupleIJPjSI_NS0_16reverse_iteratorISI_EEEEENSH_IJSG_SG_SG_EEES9_SI_JZNS1_25segmented_radix_sort_implINS0_14default_configELb0EPKfPfPKlPlN2at6native12_GLOBAL__N_18offset_tEEE10hipError_tPvRmT1_PNSt15iterator_traitsIS12_E10value_typeET2_T3_PNS13_IS18_E10value_typeET4_jRbjT5_S1E_jjP12ihipStream_tbEUljE_ZNSN_ISO_Lb0ESQ_SR_ST_SU_SY_EESZ_S10_S11_S12_S16_S17_S18_S1B_S1C_jS1D_jS1E_S1E_jjS1G_bEUljE0_EEESZ_S10_S11_S18_S1C_S1E_T6_T7_T9_mT8_S1G_bDpT10_ENKUlT_T0_E_clISt17integral_constantIbLb1EES1U_EEDaS1P_S1Q_EUlS1P_E_NS1_11comp_targetILNS1_3genE9ELNS1_11target_archE1100ELNS1_3gpuE3ELNS1_3repE0EEENS1_30default_config_static_selectorELNS0_4arch9wavefront6targetE0EEEvS12_,comdat
.Lfunc_end1378:
	.size	_ZN7rocprim17ROCPRIM_400000_NS6detail17trampoline_kernelINS0_13select_configILj256ELj13ELNS0_17block_load_methodE3ELS4_3ELS4_3ELNS0_20block_scan_algorithmE0ELj4294967295EEENS1_25partition_config_selectorILNS1_17partition_subalgoE4EjNS0_10empty_typeEbEEZZNS1_14partition_implILS8_4ELb0ES6_15HIP_vector_typeIjLj2EENS0_17counting_iteratorIjlEEPS9_SG_NS0_5tupleIJPjSI_NS0_16reverse_iteratorISI_EEEEENSH_IJSG_SG_SG_EEES9_SI_JZNS1_25segmented_radix_sort_implINS0_14default_configELb0EPKfPfPKlPlN2at6native12_GLOBAL__N_18offset_tEEE10hipError_tPvRmT1_PNSt15iterator_traitsIS12_E10value_typeET2_T3_PNS13_IS18_E10value_typeET4_jRbjT5_S1E_jjP12ihipStream_tbEUljE_ZNSN_ISO_Lb0ESQ_SR_ST_SU_SY_EESZ_S10_S11_S12_S16_S17_S18_S1B_S1C_jS1D_jS1E_S1E_jjS1G_bEUljE0_EEESZ_S10_S11_S18_S1C_S1E_T6_T7_T9_mT8_S1G_bDpT10_ENKUlT_T0_E_clISt17integral_constantIbLb1EES1U_EEDaS1P_S1Q_EUlS1P_E_NS1_11comp_targetILNS1_3genE9ELNS1_11target_archE1100ELNS1_3gpuE3ELNS1_3repE0EEENS1_30default_config_static_selectorELNS0_4arch9wavefront6targetE0EEEvS12_, .Lfunc_end1378-_ZN7rocprim17ROCPRIM_400000_NS6detail17trampoline_kernelINS0_13select_configILj256ELj13ELNS0_17block_load_methodE3ELS4_3ELS4_3ELNS0_20block_scan_algorithmE0ELj4294967295EEENS1_25partition_config_selectorILNS1_17partition_subalgoE4EjNS0_10empty_typeEbEEZZNS1_14partition_implILS8_4ELb0ES6_15HIP_vector_typeIjLj2EENS0_17counting_iteratorIjlEEPS9_SG_NS0_5tupleIJPjSI_NS0_16reverse_iteratorISI_EEEEENSH_IJSG_SG_SG_EEES9_SI_JZNS1_25segmented_radix_sort_implINS0_14default_configELb0EPKfPfPKlPlN2at6native12_GLOBAL__N_18offset_tEEE10hipError_tPvRmT1_PNSt15iterator_traitsIS12_E10value_typeET2_T3_PNS13_IS18_E10value_typeET4_jRbjT5_S1E_jjP12ihipStream_tbEUljE_ZNSN_ISO_Lb0ESQ_SR_ST_SU_SY_EESZ_S10_S11_S12_S16_S17_S18_S1B_S1C_jS1D_jS1E_S1E_jjS1G_bEUljE0_EEESZ_S10_S11_S18_S1C_S1E_T6_T7_T9_mT8_S1G_bDpT10_ENKUlT_T0_E_clISt17integral_constantIbLb1EES1U_EEDaS1P_S1Q_EUlS1P_E_NS1_11comp_targetILNS1_3genE9ELNS1_11target_archE1100ELNS1_3gpuE3ELNS1_3repE0EEENS1_30default_config_static_selectorELNS0_4arch9wavefront6targetE0EEEvS12_
                                        ; -- End function
	.section	.AMDGPU.csdata,"",@progbits
; Kernel info:
; codeLenInByte = 15160
; NumSgprs: 57
; NumVgprs: 103
; ScratchSize: 0
; MemoryBound: 0
; FloatMode: 240
; IeeeMode: 1
; LDSByteSize: 13340 bytes/workgroup (compile time only)
; SGPRBlocks: 7
; VGPRBlocks: 12
; NumSGPRsForWavesPerEU: 57
; NumVGPRsForWavesPerEU: 103
; Occupancy: 12
; WaveLimiterHint : 1
; COMPUTE_PGM_RSRC2:SCRATCH_EN: 0
; COMPUTE_PGM_RSRC2:USER_SGPR: 15
; COMPUTE_PGM_RSRC2:TRAP_HANDLER: 0
; COMPUTE_PGM_RSRC2:TGID_X_EN: 1
; COMPUTE_PGM_RSRC2:TGID_Y_EN: 0
; COMPUTE_PGM_RSRC2:TGID_Z_EN: 0
; COMPUTE_PGM_RSRC2:TIDIG_COMP_CNT: 0
	.section	.text._ZN7rocprim17ROCPRIM_400000_NS6detail17trampoline_kernelINS0_13select_configILj256ELj13ELNS0_17block_load_methodE3ELS4_3ELS4_3ELNS0_20block_scan_algorithmE0ELj4294967295EEENS1_25partition_config_selectorILNS1_17partition_subalgoE4EjNS0_10empty_typeEbEEZZNS1_14partition_implILS8_4ELb0ES6_15HIP_vector_typeIjLj2EENS0_17counting_iteratorIjlEEPS9_SG_NS0_5tupleIJPjSI_NS0_16reverse_iteratorISI_EEEEENSH_IJSG_SG_SG_EEES9_SI_JZNS1_25segmented_radix_sort_implINS0_14default_configELb0EPKfPfPKlPlN2at6native12_GLOBAL__N_18offset_tEEE10hipError_tPvRmT1_PNSt15iterator_traitsIS12_E10value_typeET2_T3_PNS13_IS18_E10value_typeET4_jRbjT5_S1E_jjP12ihipStream_tbEUljE_ZNSN_ISO_Lb0ESQ_SR_ST_SU_SY_EESZ_S10_S11_S12_S16_S17_S18_S1B_S1C_jS1D_jS1E_S1E_jjS1G_bEUljE0_EEESZ_S10_S11_S18_S1C_S1E_T6_T7_T9_mT8_S1G_bDpT10_ENKUlT_T0_E_clISt17integral_constantIbLb1EES1U_EEDaS1P_S1Q_EUlS1P_E_NS1_11comp_targetILNS1_3genE8ELNS1_11target_archE1030ELNS1_3gpuE2ELNS1_3repE0EEENS1_30default_config_static_selectorELNS0_4arch9wavefront6targetE0EEEvS12_,"axG",@progbits,_ZN7rocprim17ROCPRIM_400000_NS6detail17trampoline_kernelINS0_13select_configILj256ELj13ELNS0_17block_load_methodE3ELS4_3ELS4_3ELNS0_20block_scan_algorithmE0ELj4294967295EEENS1_25partition_config_selectorILNS1_17partition_subalgoE4EjNS0_10empty_typeEbEEZZNS1_14partition_implILS8_4ELb0ES6_15HIP_vector_typeIjLj2EENS0_17counting_iteratorIjlEEPS9_SG_NS0_5tupleIJPjSI_NS0_16reverse_iteratorISI_EEEEENSH_IJSG_SG_SG_EEES9_SI_JZNS1_25segmented_radix_sort_implINS0_14default_configELb0EPKfPfPKlPlN2at6native12_GLOBAL__N_18offset_tEEE10hipError_tPvRmT1_PNSt15iterator_traitsIS12_E10value_typeET2_T3_PNS13_IS18_E10value_typeET4_jRbjT5_S1E_jjP12ihipStream_tbEUljE_ZNSN_ISO_Lb0ESQ_SR_ST_SU_SY_EESZ_S10_S11_S12_S16_S17_S18_S1B_S1C_jS1D_jS1E_S1E_jjS1G_bEUljE0_EEESZ_S10_S11_S18_S1C_S1E_T6_T7_T9_mT8_S1G_bDpT10_ENKUlT_T0_E_clISt17integral_constantIbLb1EES1U_EEDaS1P_S1Q_EUlS1P_E_NS1_11comp_targetILNS1_3genE8ELNS1_11target_archE1030ELNS1_3gpuE2ELNS1_3repE0EEENS1_30default_config_static_selectorELNS0_4arch9wavefront6targetE0EEEvS12_,comdat
	.globl	_ZN7rocprim17ROCPRIM_400000_NS6detail17trampoline_kernelINS0_13select_configILj256ELj13ELNS0_17block_load_methodE3ELS4_3ELS4_3ELNS0_20block_scan_algorithmE0ELj4294967295EEENS1_25partition_config_selectorILNS1_17partition_subalgoE4EjNS0_10empty_typeEbEEZZNS1_14partition_implILS8_4ELb0ES6_15HIP_vector_typeIjLj2EENS0_17counting_iteratorIjlEEPS9_SG_NS0_5tupleIJPjSI_NS0_16reverse_iteratorISI_EEEEENSH_IJSG_SG_SG_EEES9_SI_JZNS1_25segmented_radix_sort_implINS0_14default_configELb0EPKfPfPKlPlN2at6native12_GLOBAL__N_18offset_tEEE10hipError_tPvRmT1_PNSt15iterator_traitsIS12_E10value_typeET2_T3_PNS13_IS18_E10value_typeET4_jRbjT5_S1E_jjP12ihipStream_tbEUljE_ZNSN_ISO_Lb0ESQ_SR_ST_SU_SY_EESZ_S10_S11_S12_S16_S17_S18_S1B_S1C_jS1D_jS1E_S1E_jjS1G_bEUljE0_EEESZ_S10_S11_S18_S1C_S1E_T6_T7_T9_mT8_S1G_bDpT10_ENKUlT_T0_E_clISt17integral_constantIbLb1EES1U_EEDaS1P_S1Q_EUlS1P_E_NS1_11comp_targetILNS1_3genE8ELNS1_11target_archE1030ELNS1_3gpuE2ELNS1_3repE0EEENS1_30default_config_static_selectorELNS0_4arch9wavefront6targetE0EEEvS12_ ; -- Begin function _ZN7rocprim17ROCPRIM_400000_NS6detail17trampoline_kernelINS0_13select_configILj256ELj13ELNS0_17block_load_methodE3ELS4_3ELS4_3ELNS0_20block_scan_algorithmE0ELj4294967295EEENS1_25partition_config_selectorILNS1_17partition_subalgoE4EjNS0_10empty_typeEbEEZZNS1_14partition_implILS8_4ELb0ES6_15HIP_vector_typeIjLj2EENS0_17counting_iteratorIjlEEPS9_SG_NS0_5tupleIJPjSI_NS0_16reverse_iteratorISI_EEEEENSH_IJSG_SG_SG_EEES9_SI_JZNS1_25segmented_radix_sort_implINS0_14default_configELb0EPKfPfPKlPlN2at6native12_GLOBAL__N_18offset_tEEE10hipError_tPvRmT1_PNSt15iterator_traitsIS12_E10value_typeET2_T3_PNS13_IS18_E10value_typeET4_jRbjT5_S1E_jjP12ihipStream_tbEUljE_ZNSN_ISO_Lb0ESQ_SR_ST_SU_SY_EESZ_S10_S11_S12_S16_S17_S18_S1B_S1C_jS1D_jS1E_S1E_jjS1G_bEUljE0_EEESZ_S10_S11_S18_S1C_S1E_T6_T7_T9_mT8_S1G_bDpT10_ENKUlT_T0_E_clISt17integral_constantIbLb1EES1U_EEDaS1P_S1Q_EUlS1P_E_NS1_11comp_targetILNS1_3genE8ELNS1_11target_archE1030ELNS1_3gpuE2ELNS1_3repE0EEENS1_30default_config_static_selectorELNS0_4arch9wavefront6targetE0EEEvS12_
	.p2align	8
	.type	_ZN7rocprim17ROCPRIM_400000_NS6detail17trampoline_kernelINS0_13select_configILj256ELj13ELNS0_17block_load_methodE3ELS4_3ELS4_3ELNS0_20block_scan_algorithmE0ELj4294967295EEENS1_25partition_config_selectorILNS1_17partition_subalgoE4EjNS0_10empty_typeEbEEZZNS1_14partition_implILS8_4ELb0ES6_15HIP_vector_typeIjLj2EENS0_17counting_iteratorIjlEEPS9_SG_NS0_5tupleIJPjSI_NS0_16reverse_iteratorISI_EEEEENSH_IJSG_SG_SG_EEES9_SI_JZNS1_25segmented_radix_sort_implINS0_14default_configELb0EPKfPfPKlPlN2at6native12_GLOBAL__N_18offset_tEEE10hipError_tPvRmT1_PNSt15iterator_traitsIS12_E10value_typeET2_T3_PNS13_IS18_E10value_typeET4_jRbjT5_S1E_jjP12ihipStream_tbEUljE_ZNSN_ISO_Lb0ESQ_SR_ST_SU_SY_EESZ_S10_S11_S12_S16_S17_S18_S1B_S1C_jS1D_jS1E_S1E_jjS1G_bEUljE0_EEESZ_S10_S11_S18_S1C_S1E_T6_T7_T9_mT8_S1G_bDpT10_ENKUlT_T0_E_clISt17integral_constantIbLb1EES1U_EEDaS1P_S1Q_EUlS1P_E_NS1_11comp_targetILNS1_3genE8ELNS1_11target_archE1030ELNS1_3gpuE2ELNS1_3repE0EEENS1_30default_config_static_selectorELNS0_4arch9wavefront6targetE0EEEvS12_,@function
_ZN7rocprim17ROCPRIM_400000_NS6detail17trampoline_kernelINS0_13select_configILj256ELj13ELNS0_17block_load_methodE3ELS4_3ELS4_3ELNS0_20block_scan_algorithmE0ELj4294967295EEENS1_25partition_config_selectorILNS1_17partition_subalgoE4EjNS0_10empty_typeEbEEZZNS1_14partition_implILS8_4ELb0ES6_15HIP_vector_typeIjLj2EENS0_17counting_iteratorIjlEEPS9_SG_NS0_5tupleIJPjSI_NS0_16reverse_iteratorISI_EEEEENSH_IJSG_SG_SG_EEES9_SI_JZNS1_25segmented_radix_sort_implINS0_14default_configELb0EPKfPfPKlPlN2at6native12_GLOBAL__N_18offset_tEEE10hipError_tPvRmT1_PNSt15iterator_traitsIS12_E10value_typeET2_T3_PNS13_IS18_E10value_typeET4_jRbjT5_S1E_jjP12ihipStream_tbEUljE_ZNSN_ISO_Lb0ESQ_SR_ST_SU_SY_EESZ_S10_S11_S12_S16_S17_S18_S1B_S1C_jS1D_jS1E_S1E_jjS1G_bEUljE0_EEESZ_S10_S11_S18_S1C_S1E_T6_T7_T9_mT8_S1G_bDpT10_ENKUlT_T0_E_clISt17integral_constantIbLb1EES1U_EEDaS1P_S1Q_EUlS1P_E_NS1_11comp_targetILNS1_3genE8ELNS1_11target_archE1030ELNS1_3gpuE2ELNS1_3repE0EEENS1_30default_config_static_selectorELNS0_4arch9wavefront6targetE0EEEvS12_: ; @_ZN7rocprim17ROCPRIM_400000_NS6detail17trampoline_kernelINS0_13select_configILj256ELj13ELNS0_17block_load_methodE3ELS4_3ELS4_3ELNS0_20block_scan_algorithmE0ELj4294967295EEENS1_25partition_config_selectorILNS1_17partition_subalgoE4EjNS0_10empty_typeEbEEZZNS1_14partition_implILS8_4ELb0ES6_15HIP_vector_typeIjLj2EENS0_17counting_iteratorIjlEEPS9_SG_NS0_5tupleIJPjSI_NS0_16reverse_iteratorISI_EEEEENSH_IJSG_SG_SG_EEES9_SI_JZNS1_25segmented_radix_sort_implINS0_14default_configELb0EPKfPfPKlPlN2at6native12_GLOBAL__N_18offset_tEEE10hipError_tPvRmT1_PNSt15iterator_traitsIS12_E10value_typeET2_T3_PNS13_IS18_E10value_typeET4_jRbjT5_S1E_jjP12ihipStream_tbEUljE_ZNSN_ISO_Lb0ESQ_SR_ST_SU_SY_EESZ_S10_S11_S12_S16_S17_S18_S1B_S1C_jS1D_jS1E_S1E_jjS1G_bEUljE0_EEESZ_S10_S11_S18_S1C_S1E_T6_T7_T9_mT8_S1G_bDpT10_ENKUlT_T0_E_clISt17integral_constantIbLb1EES1U_EEDaS1P_S1Q_EUlS1P_E_NS1_11comp_targetILNS1_3genE8ELNS1_11target_archE1030ELNS1_3gpuE2ELNS1_3repE0EEENS1_30default_config_static_selectorELNS0_4arch9wavefront6targetE0EEEvS12_
; %bb.0:
	.section	.rodata,"a",@progbits
	.p2align	6, 0x0
	.amdhsa_kernel _ZN7rocprim17ROCPRIM_400000_NS6detail17trampoline_kernelINS0_13select_configILj256ELj13ELNS0_17block_load_methodE3ELS4_3ELS4_3ELNS0_20block_scan_algorithmE0ELj4294967295EEENS1_25partition_config_selectorILNS1_17partition_subalgoE4EjNS0_10empty_typeEbEEZZNS1_14partition_implILS8_4ELb0ES6_15HIP_vector_typeIjLj2EENS0_17counting_iteratorIjlEEPS9_SG_NS0_5tupleIJPjSI_NS0_16reverse_iteratorISI_EEEEENSH_IJSG_SG_SG_EEES9_SI_JZNS1_25segmented_radix_sort_implINS0_14default_configELb0EPKfPfPKlPlN2at6native12_GLOBAL__N_18offset_tEEE10hipError_tPvRmT1_PNSt15iterator_traitsIS12_E10value_typeET2_T3_PNS13_IS18_E10value_typeET4_jRbjT5_S1E_jjP12ihipStream_tbEUljE_ZNSN_ISO_Lb0ESQ_SR_ST_SU_SY_EESZ_S10_S11_S12_S16_S17_S18_S1B_S1C_jS1D_jS1E_S1E_jjS1G_bEUljE0_EEESZ_S10_S11_S18_S1C_S1E_T6_T7_T9_mT8_S1G_bDpT10_ENKUlT_T0_E_clISt17integral_constantIbLb1EES1U_EEDaS1P_S1Q_EUlS1P_E_NS1_11comp_targetILNS1_3genE8ELNS1_11target_archE1030ELNS1_3gpuE2ELNS1_3repE0EEENS1_30default_config_static_selectorELNS0_4arch9wavefront6targetE0EEEvS12_
		.amdhsa_group_segment_fixed_size 0
		.amdhsa_private_segment_fixed_size 0
		.amdhsa_kernarg_size 184
		.amdhsa_user_sgpr_count 15
		.amdhsa_user_sgpr_dispatch_ptr 0
		.amdhsa_user_sgpr_queue_ptr 0
		.amdhsa_user_sgpr_kernarg_segment_ptr 1
		.amdhsa_user_sgpr_dispatch_id 0
		.amdhsa_user_sgpr_private_segment_size 0
		.amdhsa_wavefront_size32 1
		.amdhsa_uses_dynamic_stack 0
		.amdhsa_enable_private_segment 0
		.amdhsa_system_sgpr_workgroup_id_x 1
		.amdhsa_system_sgpr_workgroup_id_y 0
		.amdhsa_system_sgpr_workgroup_id_z 0
		.amdhsa_system_sgpr_workgroup_info 0
		.amdhsa_system_vgpr_workitem_id 0
		.amdhsa_next_free_vgpr 1
		.amdhsa_next_free_sgpr 1
		.amdhsa_reserve_vcc 0
		.amdhsa_float_round_mode_32 0
		.amdhsa_float_round_mode_16_64 0
		.amdhsa_float_denorm_mode_32 3
		.amdhsa_float_denorm_mode_16_64 3
		.amdhsa_dx10_clamp 1
		.amdhsa_ieee_mode 1
		.amdhsa_fp16_overflow 0
		.amdhsa_workgroup_processor_mode 1
		.amdhsa_memory_ordered 1
		.amdhsa_forward_progress 0
		.amdhsa_shared_vgpr_count 0
		.amdhsa_exception_fp_ieee_invalid_op 0
		.amdhsa_exception_fp_denorm_src 0
		.amdhsa_exception_fp_ieee_div_zero 0
		.amdhsa_exception_fp_ieee_overflow 0
		.amdhsa_exception_fp_ieee_underflow 0
		.amdhsa_exception_fp_ieee_inexact 0
		.amdhsa_exception_int_div_zero 0
	.end_amdhsa_kernel
	.section	.text._ZN7rocprim17ROCPRIM_400000_NS6detail17trampoline_kernelINS0_13select_configILj256ELj13ELNS0_17block_load_methodE3ELS4_3ELS4_3ELNS0_20block_scan_algorithmE0ELj4294967295EEENS1_25partition_config_selectorILNS1_17partition_subalgoE4EjNS0_10empty_typeEbEEZZNS1_14partition_implILS8_4ELb0ES6_15HIP_vector_typeIjLj2EENS0_17counting_iteratorIjlEEPS9_SG_NS0_5tupleIJPjSI_NS0_16reverse_iteratorISI_EEEEENSH_IJSG_SG_SG_EEES9_SI_JZNS1_25segmented_radix_sort_implINS0_14default_configELb0EPKfPfPKlPlN2at6native12_GLOBAL__N_18offset_tEEE10hipError_tPvRmT1_PNSt15iterator_traitsIS12_E10value_typeET2_T3_PNS13_IS18_E10value_typeET4_jRbjT5_S1E_jjP12ihipStream_tbEUljE_ZNSN_ISO_Lb0ESQ_SR_ST_SU_SY_EESZ_S10_S11_S12_S16_S17_S18_S1B_S1C_jS1D_jS1E_S1E_jjS1G_bEUljE0_EEESZ_S10_S11_S18_S1C_S1E_T6_T7_T9_mT8_S1G_bDpT10_ENKUlT_T0_E_clISt17integral_constantIbLb1EES1U_EEDaS1P_S1Q_EUlS1P_E_NS1_11comp_targetILNS1_3genE8ELNS1_11target_archE1030ELNS1_3gpuE2ELNS1_3repE0EEENS1_30default_config_static_selectorELNS0_4arch9wavefront6targetE0EEEvS12_,"axG",@progbits,_ZN7rocprim17ROCPRIM_400000_NS6detail17trampoline_kernelINS0_13select_configILj256ELj13ELNS0_17block_load_methodE3ELS4_3ELS4_3ELNS0_20block_scan_algorithmE0ELj4294967295EEENS1_25partition_config_selectorILNS1_17partition_subalgoE4EjNS0_10empty_typeEbEEZZNS1_14partition_implILS8_4ELb0ES6_15HIP_vector_typeIjLj2EENS0_17counting_iteratorIjlEEPS9_SG_NS0_5tupleIJPjSI_NS0_16reverse_iteratorISI_EEEEENSH_IJSG_SG_SG_EEES9_SI_JZNS1_25segmented_radix_sort_implINS0_14default_configELb0EPKfPfPKlPlN2at6native12_GLOBAL__N_18offset_tEEE10hipError_tPvRmT1_PNSt15iterator_traitsIS12_E10value_typeET2_T3_PNS13_IS18_E10value_typeET4_jRbjT5_S1E_jjP12ihipStream_tbEUljE_ZNSN_ISO_Lb0ESQ_SR_ST_SU_SY_EESZ_S10_S11_S12_S16_S17_S18_S1B_S1C_jS1D_jS1E_S1E_jjS1G_bEUljE0_EEESZ_S10_S11_S18_S1C_S1E_T6_T7_T9_mT8_S1G_bDpT10_ENKUlT_T0_E_clISt17integral_constantIbLb1EES1U_EEDaS1P_S1Q_EUlS1P_E_NS1_11comp_targetILNS1_3genE8ELNS1_11target_archE1030ELNS1_3gpuE2ELNS1_3repE0EEENS1_30default_config_static_selectorELNS0_4arch9wavefront6targetE0EEEvS12_,comdat
.Lfunc_end1379:
	.size	_ZN7rocprim17ROCPRIM_400000_NS6detail17trampoline_kernelINS0_13select_configILj256ELj13ELNS0_17block_load_methodE3ELS4_3ELS4_3ELNS0_20block_scan_algorithmE0ELj4294967295EEENS1_25partition_config_selectorILNS1_17partition_subalgoE4EjNS0_10empty_typeEbEEZZNS1_14partition_implILS8_4ELb0ES6_15HIP_vector_typeIjLj2EENS0_17counting_iteratorIjlEEPS9_SG_NS0_5tupleIJPjSI_NS0_16reverse_iteratorISI_EEEEENSH_IJSG_SG_SG_EEES9_SI_JZNS1_25segmented_radix_sort_implINS0_14default_configELb0EPKfPfPKlPlN2at6native12_GLOBAL__N_18offset_tEEE10hipError_tPvRmT1_PNSt15iterator_traitsIS12_E10value_typeET2_T3_PNS13_IS18_E10value_typeET4_jRbjT5_S1E_jjP12ihipStream_tbEUljE_ZNSN_ISO_Lb0ESQ_SR_ST_SU_SY_EESZ_S10_S11_S12_S16_S17_S18_S1B_S1C_jS1D_jS1E_S1E_jjS1G_bEUljE0_EEESZ_S10_S11_S18_S1C_S1E_T6_T7_T9_mT8_S1G_bDpT10_ENKUlT_T0_E_clISt17integral_constantIbLb1EES1U_EEDaS1P_S1Q_EUlS1P_E_NS1_11comp_targetILNS1_3genE8ELNS1_11target_archE1030ELNS1_3gpuE2ELNS1_3repE0EEENS1_30default_config_static_selectorELNS0_4arch9wavefront6targetE0EEEvS12_, .Lfunc_end1379-_ZN7rocprim17ROCPRIM_400000_NS6detail17trampoline_kernelINS0_13select_configILj256ELj13ELNS0_17block_load_methodE3ELS4_3ELS4_3ELNS0_20block_scan_algorithmE0ELj4294967295EEENS1_25partition_config_selectorILNS1_17partition_subalgoE4EjNS0_10empty_typeEbEEZZNS1_14partition_implILS8_4ELb0ES6_15HIP_vector_typeIjLj2EENS0_17counting_iteratorIjlEEPS9_SG_NS0_5tupleIJPjSI_NS0_16reverse_iteratorISI_EEEEENSH_IJSG_SG_SG_EEES9_SI_JZNS1_25segmented_radix_sort_implINS0_14default_configELb0EPKfPfPKlPlN2at6native12_GLOBAL__N_18offset_tEEE10hipError_tPvRmT1_PNSt15iterator_traitsIS12_E10value_typeET2_T3_PNS13_IS18_E10value_typeET4_jRbjT5_S1E_jjP12ihipStream_tbEUljE_ZNSN_ISO_Lb0ESQ_SR_ST_SU_SY_EESZ_S10_S11_S12_S16_S17_S18_S1B_S1C_jS1D_jS1E_S1E_jjS1G_bEUljE0_EEESZ_S10_S11_S18_S1C_S1E_T6_T7_T9_mT8_S1G_bDpT10_ENKUlT_T0_E_clISt17integral_constantIbLb1EES1U_EEDaS1P_S1Q_EUlS1P_E_NS1_11comp_targetILNS1_3genE8ELNS1_11target_archE1030ELNS1_3gpuE2ELNS1_3repE0EEENS1_30default_config_static_selectorELNS0_4arch9wavefront6targetE0EEEvS12_
                                        ; -- End function
	.section	.AMDGPU.csdata,"",@progbits
; Kernel info:
; codeLenInByte = 0
; NumSgprs: 0
; NumVgprs: 0
; ScratchSize: 0
; MemoryBound: 0
; FloatMode: 240
; IeeeMode: 1
; LDSByteSize: 0 bytes/workgroup (compile time only)
; SGPRBlocks: 0
; VGPRBlocks: 0
; NumSGPRsForWavesPerEU: 1
; NumVGPRsForWavesPerEU: 1
; Occupancy: 16
; WaveLimiterHint : 0
; COMPUTE_PGM_RSRC2:SCRATCH_EN: 0
; COMPUTE_PGM_RSRC2:USER_SGPR: 15
; COMPUTE_PGM_RSRC2:TRAP_HANDLER: 0
; COMPUTE_PGM_RSRC2:TGID_X_EN: 1
; COMPUTE_PGM_RSRC2:TGID_Y_EN: 0
; COMPUTE_PGM_RSRC2:TGID_Z_EN: 0
; COMPUTE_PGM_RSRC2:TIDIG_COMP_CNT: 0
	.section	.text._ZN7rocprim17ROCPRIM_400000_NS6detail17trampoline_kernelINS0_13select_configILj256ELj13ELNS0_17block_load_methodE3ELS4_3ELS4_3ELNS0_20block_scan_algorithmE0ELj4294967295EEENS1_25partition_config_selectorILNS1_17partition_subalgoE4EjNS0_10empty_typeEbEEZZNS1_14partition_implILS8_4ELb0ES6_15HIP_vector_typeIjLj2EENS0_17counting_iteratorIjlEEPS9_SG_NS0_5tupleIJPjSI_NS0_16reverse_iteratorISI_EEEEENSH_IJSG_SG_SG_EEES9_SI_JZNS1_25segmented_radix_sort_implINS0_14default_configELb0EPKfPfPKlPlN2at6native12_GLOBAL__N_18offset_tEEE10hipError_tPvRmT1_PNSt15iterator_traitsIS12_E10value_typeET2_T3_PNS13_IS18_E10value_typeET4_jRbjT5_S1E_jjP12ihipStream_tbEUljE_ZNSN_ISO_Lb0ESQ_SR_ST_SU_SY_EESZ_S10_S11_S12_S16_S17_S18_S1B_S1C_jS1D_jS1E_S1E_jjS1G_bEUljE0_EEESZ_S10_S11_S18_S1C_S1E_T6_T7_T9_mT8_S1G_bDpT10_ENKUlT_T0_E_clISt17integral_constantIbLb1EES1T_IbLb0EEEEDaS1P_S1Q_EUlS1P_E_NS1_11comp_targetILNS1_3genE0ELNS1_11target_archE4294967295ELNS1_3gpuE0ELNS1_3repE0EEENS1_30default_config_static_selectorELNS0_4arch9wavefront6targetE0EEEvS12_,"axG",@progbits,_ZN7rocprim17ROCPRIM_400000_NS6detail17trampoline_kernelINS0_13select_configILj256ELj13ELNS0_17block_load_methodE3ELS4_3ELS4_3ELNS0_20block_scan_algorithmE0ELj4294967295EEENS1_25partition_config_selectorILNS1_17partition_subalgoE4EjNS0_10empty_typeEbEEZZNS1_14partition_implILS8_4ELb0ES6_15HIP_vector_typeIjLj2EENS0_17counting_iteratorIjlEEPS9_SG_NS0_5tupleIJPjSI_NS0_16reverse_iteratorISI_EEEEENSH_IJSG_SG_SG_EEES9_SI_JZNS1_25segmented_radix_sort_implINS0_14default_configELb0EPKfPfPKlPlN2at6native12_GLOBAL__N_18offset_tEEE10hipError_tPvRmT1_PNSt15iterator_traitsIS12_E10value_typeET2_T3_PNS13_IS18_E10value_typeET4_jRbjT5_S1E_jjP12ihipStream_tbEUljE_ZNSN_ISO_Lb0ESQ_SR_ST_SU_SY_EESZ_S10_S11_S12_S16_S17_S18_S1B_S1C_jS1D_jS1E_S1E_jjS1G_bEUljE0_EEESZ_S10_S11_S18_S1C_S1E_T6_T7_T9_mT8_S1G_bDpT10_ENKUlT_T0_E_clISt17integral_constantIbLb1EES1T_IbLb0EEEEDaS1P_S1Q_EUlS1P_E_NS1_11comp_targetILNS1_3genE0ELNS1_11target_archE4294967295ELNS1_3gpuE0ELNS1_3repE0EEENS1_30default_config_static_selectorELNS0_4arch9wavefront6targetE0EEEvS12_,comdat
	.globl	_ZN7rocprim17ROCPRIM_400000_NS6detail17trampoline_kernelINS0_13select_configILj256ELj13ELNS0_17block_load_methodE3ELS4_3ELS4_3ELNS0_20block_scan_algorithmE0ELj4294967295EEENS1_25partition_config_selectorILNS1_17partition_subalgoE4EjNS0_10empty_typeEbEEZZNS1_14partition_implILS8_4ELb0ES6_15HIP_vector_typeIjLj2EENS0_17counting_iteratorIjlEEPS9_SG_NS0_5tupleIJPjSI_NS0_16reverse_iteratorISI_EEEEENSH_IJSG_SG_SG_EEES9_SI_JZNS1_25segmented_radix_sort_implINS0_14default_configELb0EPKfPfPKlPlN2at6native12_GLOBAL__N_18offset_tEEE10hipError_tPvRmT1_PNSt15iterator_traitsIS12_E10value_typeET2_T3_PNS13_IS18_E10value_typeET4_jRbjT5_S1E_jjP12ihipStream_tbEUljE_ZNSN_ISO_Lb0ESQ_SR_ST_SU_SY_EESZ_S10_S11_S12_S16_S17_S18_S1B_S1C_jS1D_jS1E_S1E_jjS1G_bEUljE0_EEESZ_S10_S11_S18_S1C_S1E_T6_T7_T9_mT8_S1G_bDpT10_ENKUlT_T0_E_clISt17integral_constantIbLb1EES1T_IbLb0EEEEDaS1P_S1Q_EUlS1P_E_NS1_11comp_targetILNS1_3genE0ELNS1_11target_archE4294967295ELNS1_3gpuE0ELNS1_3repE0EEENS1_30default_config_static_selectorELNS0_4arch9wavefront6targetE0EEEvS12_ ; -- Begin function _ZN7rocprim17ROCPRIM_400000_NS6detail17trampoline_kernelINS0_13select_configILj256ELj13ELNS0_17block_load_methodE3ELS4_3ELS4_3ELNS0_20block_scan_algorithmE0ELj4294967295EEENS1_25partition_config_selectorILNS1_17partition_subalgoE4EjNS0_10empty_typeEbEEZZNS1_14partition_implILS8_4ELb0ES6_15HIP_vector_typeIjLj2EENS0_17counting_iteratorIjlEEPS9_SG_NS0_5tupleIJPjSI_NS0_16reverse_iteratorISI_EEEEENSH_IJSG_SG_SG_EEES9_SI_JZNS1_25segmented_radix_sort_implINS0_14default_configELb0EPKfPfPKlPlN2at6native12_GLOBAL__N_18offset_tEEE10hipError_tPvRmT1_PNSt15iterator_traitsIS12_E10value_typeET2_T3_PNS13_IS18_E10value_typeET4_jRbjT5_S1E_jjP12ihipStream_tbEUljE_ZNSN_ISO_Lb0ESQ_SR_ST_SU_SY_EESZ_S10_S11_S12_S16_S17_S18_S1B_S1C_jS1D_jS1E_S1E_jjS1G_bEUljE0_EEESZ_S10_S11_S18_S1C_S1E_T6_T7_T9_mT8_S1G_bDpT10_ENKUlT_T0_E_clISt17integral_constantIbLb1EES1T_IbLb0EEEEDaS1P_S1Q_EUlS1P_E_NS1_11comp_targetILNS1_3genE0ELNS1_11target_archE4294967295ELNS1_3gpuE0ELNS1_3repE0EEENS1_30default_config_static_selectorELNS0_4arch9wavefront6targetE0EEEvS12_
	.p2align	8
	.type	_ZN7rocprim17ROCPRIM_400000_NS6detail17trampoline_kernelINS0_13select_configILj256ELj13ELNS0_17block_load_methodE3ELS4_3ELS4_3ELNS0_20block_scan_algorithmE0ELj4294967295EEENS1_25partition_config_selectorILNS1_17partition_subalgoE4EjNS0_10empty_typeEbEEZZNS1_14partition_implILS8_4ELb0ES6_15HIP_vector_typeIjLj2EENS0_17counting_iteratorIjlEEPS9_SG_NS0_5tupleIJPjSI_NS0_16reverse_iteratorISI_EEEEENSH_IJSG_SG_SG_EEES9_SI_JZNS1_25segmented_radix_sort_implINS0_14default_configELb0EPKfPfPKlPlN2at6native12_GLOBAL__N_18offset_tEEE10hipError_tPvRmT1_PNSt15iterator_traitsIS12_E10value_typeET2_T3_PNS13_IS18_E10value_typeET4_jRbjT5_S1E_jjP12ihipStream_tbEUljE_ZNSN_ISO_Lb0ESQ_SR_ST_SU_SY_EESZ_S10_S11_S12_S16_S17_S18_S1B_S1C_jS1D_jS1E_S1E_jjS1G_bEUljE0_EEESZ_S10_S11_S18_S1C_S1E_T6_T7_T9_mT8_S1G_bDpT10_ENKUlT_T0_E_clISt17integral_constantIbLb1EES1T_IbLb0EEEEDaS1P_S1Q_EUlS1P_E_NS1_11comp_targetILNS1_3genE0ELNS1_11target_archE4294967295ELNS1_3gpuE0ELNS1_3repE0EEENS1_30default_config_static_selectorELNS0_4arch9wavefront6targetE0EEEvS12_,@function
_ZN7rocprim17ROCPRIM_400000_NS6detail17trampoline_kernelINS0_13select_configILj256ELj13ELNS0_17block_load_methodE3ELS4_3ELS4_3ELNS0_20block_scan_algorithmE0ELj4294967295EEENS1_25partition_config_selectorILNS1_17partition_subalgoE4EjNS0_10empty_typeEbEEZZNS1_14partition_implILS8_4ELb0ES6_15HIP_vector_typeIjLj2EENS0_17counting_iteratorIjlEEPS9_SG_NS0_5tupleIJPjSI_NS0_16reverse_iteratorISI_EEEEENSH_IJSG_SG_SG_EEES9_SI_JZNS1_25segmented_radix_sort_implINS0_14default_configELb0EPKfPfPKlPlN2at6native12_GLOBAL__N_18offset_tEEE10hipError_tPvRmT1_PNSt15iterator_traitsIS12_E10value_typeET2_T3_PNS13_IS18_E10value_typeET4_jRbjT5_S1E_jjP12ihipStream_tbEUljE_ZNSN_ISO_Lb0ESQ_SR_ST_SU_SY_EESZ_S10_S11_S12_S16_S17_S18_S1B_S1C_jS1D_jS1E_S1E_jjS1G_bEUljE0_EEESZ_S10_S11_S18_S1C_S1E_T6_T7_T9_mT8_S1G_bDpT10_ENKUlT_T0_E_clISt17integral_constantIbLb1EES1T_IbLb0EEEEDaS1P_S1Q_EUlS1P_E_NS1_11comp_targetILNS1_3genE0ELNS1_11target_archE4294967295ELNS1_3gpuE0ELNS1_3repE0EEENS1_30default_config_static_selectorELNS0_4arch9wavefront6targetE0EEEvS12_: ; @_ZN7rocprim17ROCPRIM_400000_NS6detail17trampoline_kernelINS0_13select_configILj256ELj13ELNS0_17block_load_methodE3ELS4_3ELS4_3ELNS0_20block_scan_algorithmE0ELj4294967295EEENS1_25partition_config_selectorILNS1_17partition_subalgoE4EjNS0_10empty_typeEbEEZZNS1_14partition_implILS8_4ELb0ES6_15HIP_vector_typeIjLj2EENS0_17counting_iteratorIjlEEPS9_SG_NS0_5tupleIJPjSI_NS0_16reverse_iteratorISI_EEEEENSH_IJSG_SG_SG_EEES9_SI_JZNS1_25segmented_radix_sort_implINS0_14default_configELb0EPKfPfPKlPlN2at6native12_GLOBAL__N_18offset_tEEE10hipError_tPvRmT1_PNSt15iterator_traitsIS12_E10value_typeET2_T3_PNS13_IS18_E10value_typeET4_jRbjT5_S1E_jjP12ihipStream_tbEUljE_ZNSN_ISO_Lb0ESQ_SR_ST_SU_SY_EESZ_S10_S11_S12_S16_S17_S18_S1B_S1C_jS1D_jS1E_S1E_jjS1G_bEUljE0_EEESZ_S10_S11_S18_S1C_S1E_T6_T7_T9_mT8_S1G_bDpT10_ENKUlT_T0_E_clISt17integral_constantIbLb1EES1T_IbLb0EEEEDaS1P_S1Q_EUlS1P_E_NS1_11comp_targetILNS1_3genE0ELNS1_11target_archE4294967295ELNS1_3gpuE0ELNS1_3repE0EEENS1_30default_config_static_selectorELNS0_4arch9wavefront6targetE0EEEvS12_
; %bb.0:
	.section	.rodata,"a",@progbits
	.p2align	6, 0x0
	.amdhsa_kernel _ZN7rocprim17ROCPRIM_400000_NS6detail17trampoline_kernelINS0_13select_configILj256ELj13ELNS0_17block_load_methodE3ELS4_3ELS4_3ELNS0_20block_scan_algorithmE0ELj4294967295EEENS1_25partition_config_selectorILNS1_17partition_subalgoE4EjNS0_10empty_typeEbEEZZNS1_14partition_implILS8_4ELb0ES6_15HIP_vector_typeIjLj2EENS0_17counting_iteratorIjlEEPS9_SG_NS0_5tupleIJPjSI_NS0_16reverse_iteratorISI_EEEEENSH_IJSG_SG_SG_EEES9_SI_JZNS1_25segmented_radix_sort_implINS0_14default_configELb0EPKfPfPKlPlN2at6native12_GLOBAL__N_18offset_tEEE10hipError_tPvRmT1_PNSt15iterator_traitsIS12_E10value_typeET2_T3_PNS13_IS18_E10value_typeET4_jRbjT5_S1E_jjP12ihipStream_tbEUljE_ZNSN_ISO_Lb0ESQ_SR_ST_SU_SY_EESZ_S10_S11_S12_S16_S17_S18_S1B_S1C_jS1D_jS1E_S1E_jjS1G_bEUljE0_EEESZ_S10_S11_S18_S1C_S1E_T6_T7_T9_mT8_S1G_bDpT10_ENKUlT_T0_E_clISt17integral_constantIbLb1EES1T_IbLb0EEEEDaS1P_S1Q_EUlS1P_E_NS1_11comp_targetILNS1_3genE0ELNS1_11target_archE4294967295ELNS1_3gpuE0ELNS1_3repE0EEENS1_30default_config_static_selectorELNS0_4arch9wavefront6targetE0EEEvS12_
		.amdhsa_group_segment_fixed_size 0
		.amdhsa_private_segment_fixed_size 0
		.amdhsa_kernarg_size 176
		.amdhsa_user_sgpr_count 15
		.amdhsa_user_sgpr_dispatch_ptr 0
		.amdhsa_user_sgpr_queue_ptr 0
		.amdhsa_user_sgpr_kernarg_segment_ptr 1
		.amdhsa_user_sgpr_dispatch_id 0
		.amdhsa_user_sgpr_private_segment_size 0
		.amdhsa_wavefront_size32 1
		.amdhsa_uses_dynamic_stack 0
		.amdhsa_enable_private_segment 0
		.amdhsa_system_sgpr_workgroup_id_x 1
		.amdhsa_system_sgpr_workgroup_id_y 0
		.amdhsa_system_sgpr_workgroup_id_z 0
		.amdhsa_system_sgpr_workgroup_info 0
		.amdhsa_system_vgpr_workitem_id 0
		.amdhsa_next_free_vgpr 1
		.amdhsa_next_free_sgpr 1
		.amdhsa_reserve_vcc 0
		.amdhsa_float_round_mode_32 0
		.amdhsa_float_round_mode_16_64 0
		.amdhsa_float_denorm_mode_32 3
		.amdhsa_float_denorm_mode_16_64 3
		.amdhsa_dx10_clamp 1
		.amdhsa_ieee_mode 1
		.amdhsa_fp16_overflow 0
		.amdhsa_workgroup_processor_mode 1
		.amdhsa_memory_ordered 1
		.amdhsa_forward_progress 0
		.amdhsa_shared_vgpr_count 0
		.amdhsa_exception_fp_ieee_invalid_op 0
		.amdhsa_exception_fp_denorm_src 0
		.amdhsa_exception_fp_ieee_div_zero 0
		.amdhsa_exception_fp_ieee_overflow 0
		.amdhsa_exception_fp_ieee_underflow 0
		.amdhsa_exception_fp_ieee_inexact 0
		.amdhsa_exception_int_div_zero 0
	.end_amdhsa_kernel
	.section	.text._ZN7rocprim17ROCPRIM_400000_NS6detail17trampoline_kernelINS0_13select_configILj256ELj13ELNS0_17block_load_methodE3ELS4_3ELS4_3ELNS0_20block_scan_algorithmE0ELj4294967295EEENS1_25partition_config_selectorILNS1_17partition_subalgoE4EjNS0_10empty_typeEbEEZZNS1_14partition_implILS8_4ELb0ES6_15HIP_vector_typeIjLj2EENS0_17counting_iteratorIjlEEPS9_SG_NS0_5tupleIJPjSI_NS0_16reverse_iteratorISI_EEEEENSH_IJSG_SG_SG_EEES9_SI_JZNS1_25segmented_radix_sort_implINS0_14default_configELb0EPKfPfPKlPlN2at6native12_GLOBAL__N_18offset_tEEE10hipError_tPvRmT1_PNSt15iterator_traitsIS12_E10value_typeET2_T3_PNS13_IS18_E10value_typeET4_jRbjT5_S1E_jjP12ihipStream_tbEUljE_ZNSN_ISO_Lb0ESQ_SR_ST_SU_SY_EESZ_S10_S11_S12_S16_S17_S18_S1B_S1C_jS1D_jS1E_S1E_jjS1G_bEUljE0_EEESZ_S10_S11_S18_S1C_S1E_T6_T7_T9_mT8_S1G_bDpT10_ENKUlT_T0_E_clISt17integral_constantIbLb1EES1T_IbLb0EEEEDaS1P_S1Q_EUlS1P_E_NS1_11comp_targetILNS1_3genE0ELNS1_11target_archE4294967295ELNS1_3gpuE0ELNS1_3repE0EEENS1_30default_config_static_selectorELNS0_4arch9wavefront6targetE0EEEvS12_,"axG",@progbits,_ZN7rocprim17ROCPRIM_400000_NS6detail17trampoline_kernelINS0_13select_configILj256ELj13ELNS0_17block_load_methodE3ELS4_3ELS4_3ELNS0_20block_scan_algorithmE0ELj4294967295EEENS1_25partition_config_selectorILNS1_17partition_subalgoE4EjNS0_10empty_typeEbEEZZNS1_14partition_implILS8_4ELb0ES6_15HIP_vector_typeIjLj2EENS0_17counting_iteratorIjlEEPS9_SG_NS0_5tupleIJPjSI_NS0_16reverse_iteratorISI_EEEEENSH_IJSG_SG_SG_EEES9_SI_JZNS1_25segmented_radix_sort_implINS0_14default_configELb0EPKfPfPKlPlN2at6native12_GLOBAL__N_18offset_tEEE10hipError_tPvRmT1_PNSt15iterator_traitsIS12_E10value_typeET2_T3_PNS13_IS18_E10value_typeET4_jRbjT5_S1E_jjP12ihipStream_tbEUljE_ZNSN_ISO_Lb0ESQ_SR_ST_SU_SY_EESZ_S10_S11_S12_S16_S17_S18_S1B_S1C_jS1D_jS1E_S1E_jjS1G_bEUljE0_EEESZ_S10_S11_S18_S1C_S1E_T6_T7_T9_mT8_S1G_bDpT10_ENKUlT_T0_E_clISt17integral_constantIbLb1EES1T_IbLb0EEEEDaS1P_S1Q_EUlS1P_E_NS1_11comp_targetILNS1_3genE0ELNS1_11target_archE4294967295ELNS1_3gpuE0ELNS1_3repE0EEENS1_30default_config_static_selectorELNS0_4arch9wavefront6targetE0EEEvS12_,comdat
.Lfunc_end1380:
	.size	_ZN7rocprim17ROCPRIM_400000_NS6detail17trampoline_kernelINS0_13select_configILj256ELj13ELNS0_17block_load_methodE3ELS4_3ELS4_3ELNS0_20block_scan_algorithmE0ELj4294967295EEENS1_25partition_config_selectorILNS1_17partition_subalgoE4EjNS0_10empty_typeEbEEZZNS1_14partition_implILS8_4ELb0ES6_15HIP_vector_typeIjLj2EENS0_17counting_iteratorIjlEEPS9_SG_NS0_5tupleIJPjSI_NS0_16reverse_iteratorISI_EEEEENSH_IJSG_SG_SG_EEES9_SI_JZNS1_25segmented_radix_sort_implINS0_14default_configELb0EPKfPfPKlPlN2at6native12_GLOBAL__N_18offset_tEEE10hipError_tPvRmT1_PNSt15iterator_traitsIS12_E10value_typeET2_T3_PNS13_IS18_E10value_typeET4_jRbjT5_S1E_jjP12ihipStream_tbEUljE_ZNSN_ISO_Lb0ESQ_SR_ST_SU_SY_EESZ_S10_S11_S12_S16_S17_S18_S1B_S1C_jS1D_jS1E_S1E_jjS1G_bEUljE0_EEESZ_S10_S11_S18_S1C_S1E_T6_T7_T9_mT8_S1G_bDpT10_ENKUlT_T0_E_clISt17integral_constantIbLb1EES1T_IbLb0EEEEDaS1P_S1Q_EUlS1P_E_NS1_11comp_targetILNS1_3genE0ELNS1_11target_archE4294967295ELNS1_3gpuE0ELNS1_3repE0EEENS1_30default_config_static_selectorELNS0_4arch9wavefront6targetE0EEEvS12_, .Lfunc_end1380-_ZN7rocprim17ROCPRIM_400000_NS6detail17trampoline_kernelINS0_13select_configILj256ELj13ELNS0_17block_load_methodE3ELS4_3ELS4_3ELNS0_20block_scan_algorithmE0ELj4294967295EEENS1_25partition_config_selectorILNS1_17partition_subalgoE4EjNS0_10empty_typeEbEEZZNS1_14partition_implILS8_4ELb0ES6_15HIP_vector_typeIjLj2EENS0_17counting_iteratorIjlEEPS9_SG_NS0_5tupleIJPjSI_NS0_16reverse_iteratorISI_EEEEENSH_IJSG_SG_SG_EEES9_SI_JZNS1_25segmented_radix_sort_implINS0_14default_configELb0EPKfPfPKlPlN2at6native12_GLOBAL__N_18offset_tEEE10hipError_tPvRmT1_PNSt15iterator_traitsIS12_E10value_typeET2_T3_PNS13_IS18_E10value_typeET4_jRbjT5_S1E_jjP12ihipStream_tbEUljE_ZNSN_ISO_Lb0ESQ_SR_ST_SU_SY_EESZ_S10_S11_S12_S16_S17_S18_S1B_S1C_jS1D_jS1E_S1E_jjS1G_bEUljE0_EEESZ_S10_S11_S18_S1C_S1E_T6_T7_T9_mT8_S1G_bDpT10_ENKUlT_T0_E_clISt17integral_constantIbLb1EES1T_IbLb0EEEEDaS1P_S1Q_EUlS1P_E_NS1_11comp_targetILNS1_3genE0ELNS1_11target_archE4294967295ELNS1_3gpuE0ELNS1_3repE0EEENS1_30default_config_static_selectorELNS0_4arch9wavefront6targetE0EEEvS12_
                                        ; -- End function
	.section	.AMDGPU.csdata,"",@progbits
; Kernel info:
; codeLenInByte = 0
; NumSgprs: 0
; NumVgprs: 0
; ScratchSize: 0
; MemoryBound: 0
; FloatMode: 240
; IeeeMode: 1
; LDSByteSize: 0 bytes/workgroup (compile time only)
; SGPRBlocks: 0
; VGPRBlocks: 0
; NumSGPRsForWavesPerEU: 1
; NumVGPRsForWavesPerEU: 1
; Occupancy: 16
; WaveLimiterHint : 0
; COMPUTE_PGM_RSRC2:SCRATCH_EN: 0
; COMPUTE_PGM_RSRC2:USER_SGPR: 15
; COMPUTE_PGM_RSRC2:TRAP_HANDLER: 0
; COMPUTE_PGM_RSRC2:TGID_X_EN: 1
; COMPUTE_PGM_RSRC2:TGID_Y_EN: 0
; COMPUTE_PGM_RSRC2:TGID_Z_EN: 0
; COMPUTE_PGM_RSRC2:TIDIG_COMP_CNT: 0
	.section	.text._ZN7rocprim17ROCPRIM_400000_NS6detail17trampoline_kernelINS0_13select_configILj256ELj13ELNS0_17block_load_methodE3ELS4_3ELS4_3ELNS0_20block_scan_algorithmE0ELj4294967295EEENS1_25partition_config_selectorILNS1_17partition_subalgoE4EjNS0_10empty_typeEbEEZZNS1_14partition_implILS8_4ELb0ES6_15HIP_vector_typeIjLj2EENS0_17counting_iteratorIjlEEPS9_SG_NS0_5tupleIJPjSI_NS0_16reverse_iteratorISI_EEEEENSH_IJSG_SG_SG_EEES9_SI_JZNS1_25segmented_radix_sort_implINS0_14default_configELb0EPKfPfPKlPlN2at6native12_GLOBAL__N_18offset_tEEE10hipError_tPvRmT1_PNSt15iterator_traitsIS12_E10value_typeET2_T3_PNS13_IS18_E10value_typeET4_jRbjT5_S1E_jjP12ihipStream_tbEUljE_ZNSN_ISO_Lb0ESQ_SR_ST_SU_SY_EESZ_S10_S11_S12_S16_S17_S18_S1B_S1C_jS1D_jS1E_S1E_jjS1G_bEUljE0_EEESZ_S10_S11_S18_S1C_S1E_T6_T7_T9_mT8_S1G_bDpT10_ENKUlT_T0_E_clISt17integral_constantIbLb1EES1T_IbLb0EEEEDaS1P_S1Q_EUlS1P_E_NS1_11comp_targetILNS1_3genE5ELNS1_11target_archE942ELNS1_3gpuE9ELNS1_3repE0EEENS1_30default_config_static_selectorELNS0_4arch9wavefront6targetE0EEEvS12_,"axG",@progbits,_ZN7rocprim17ROCPRIM_400000_NS6detail17trampoline_kernelINS0_13select_configILj256ELj13ELNS0_17block_load_methodE3ELS4_3ELS4_3ELNS0_20block_scan_algorithmE0ELj4294967295EEENS1_25partition_config_selectorILNS1_17partition_subalgoE4EjNS0_10empty_typeEbEEZZNS1_14partition_implILS8_4ELb0ES6_15HIP_vector_typeIjLj2EENS0_17counting_iteratorIjlEEPS9_SG_NS0_5tupleIJPjSI_NS0_16reverse_iteratorISI_EEEEENSH_IJSG_SG_SG_EEES9_SI_JZNS1_25segmented_radix_sort_implINS0_14default_configELb0EPKfPfPKlPlN2at6native12_GLOBAL__N_18offset_tEEE10hipError_tPvRmT1_PNSt15iterator_traitsIS12_E10value_typeET2_T3_PNS13_IS18_E10value_typeET4_jRbjT5_S1E_jjP12ihipStream_tbEUljE_ZNSN_ISO_Lb0ESQ_SR_ST_SU_SY_EESZ_S10_S11_S12_S16_S17_S18_S1B_S1C_jS1D_jS1E_S1E_jjS1G_bEUljE0_EEESZ_S10_S11_S18_S1C_S1E_T6_T7_T9_mT8_S1G_bDpT10_ENKUlT_T0_E_clISt17integral_constantIbLb1EES1T_IbLb0EEEEDaS1P_S1Q_EUlS1P_E_NS1_11comp_targetILNS1_3genE5ELNS1_11target_archE942ELNS1_3gpuE9ELNS1_3repE0EEENS1_30default_config_static_selectorELNS0_4arch9wavefront6targetE0EEEvS12_,comdat
	.globl	_ZN7rocprim17ROCPRIM_400000_NS6detail17trampoline_kernelINS0_13select_configILj256ELj13ELNS0_17block_load_methodE3ELS4_3ELS4_3ELNS0_20block_scan_algorithmE0ELj4294967295EEENS1_25partition_config_selectorILNS1_17partition_subalgoE4EjNS0_10empty_typeEbEEZZNS1_14partition_implILS8_4ELb0ES6_15HIP_vector_typeIjLj2EENS0_17counting_iteratorIjlEEPS9_SG_NS0_5tupleIJPjSI_NS0_16reverse_iteratorISI_EEEEENSH_IJSG_SG_SG_EEES9_SI_JZNS1_25segmented_radix_sort_implINS0_14default_configELb0EPKfPfPKlPlN2at6native12_GLOBAL__N_18offset_tEEE10hipError_tPvRmT1_PNSt15iterator_traitsIS12_E10value_typeET2_T3_PNS13_IS18_E10value_typeET4_jRbjT5_S1E_jjP12ihipStream_tbEUljE_ZNSN_ISO_Lb0ESQ_SR_ST_SU_SY_EESZ_S10_S11_S12_S16_S17_S18_S1B_S1C_jS1D_jS1E_S1E_jjS1G_bEUljE0_EEESZ_S10_S11_S18_S1C_S1E_T6_T7_T9_mT8_S1G_bDpT10_ENKUlT_T0_E_clISt17integral_constantIbLb1EES1T_IbLb0EEEEDaS1P_S1Q_EUlS1P_E_NS1_11comp_targetILNS1_3genE5ELNS1_11target_archE942ELNS1_3gpuE9ELNS1_3repE0EEENS1_30default_config_static_selectorELNS0_4arch9wavefront6targetE0EEEvS12_ ; -- Begin function _ZN7rocprim17ROCPRIM_400000_NS6detail17trampoline_kernelINS0_13select_configILj256ELj13ELNS0_17block_load_methodE3ELS4_3ELS4_3ELNS0_20block_scan_algorithmE0ELj4294967295EEENS1_25partition_config_selectorILNS1_17partition_subalgoE4EjNS0_10empty_typeEbEEZZNS1_14partition_implILS8_4ELb0ES6_15HIP_vector_typeIjLj2EENS0_17counting_iteratorIjlEEPS9_SG_NS0_5tupleIJPjSI_NS0_16reverse_iteratorISI_EEEEENSH_IJSG_SG_SG_EEES9_SI_JZNS1_25segmented_radix_sort_implINS0_14default_configELb0EPKfPfPKlPlN2at6native12_GLOBAL__N_18offset_tEEE10hipError_tPvRmT1_PNSt15iterator_traitsIS12_E10value_typeET2_T3_PNS13_IS18_E10value_typeET4_jRbjT5_S1E_jjP12ihipStream_tbEUljE_ZNSN_ISO_Lb0ESQ_SR_ST_SU_SY_EESZ_S10_S11_S12_S16_S17_S18_S1B_S1C_jS1D_jS1E_S1E_jjS1G_bEUljE0_EEESZ_S10_S11_S18_S1C_S1E_T6_T7_T9_mT8_S1G_bDpT10_ENKUlT_T0_E_clISt17integral_constantIbLb1EES1T_IbLb0EEEEDaS1P_S1Q_EUlS1P_E_NS1_11comp_targetILNS1_3genE5ELNS1_11target_archE942ELNS1_3gpuE9ELNS1_3repE0EEENS1_30default_config_static_selectorELNS0_4arch9wavefront6targetE0EEEvS12_
	.p2align	8
	.type	_ZN7rocprim17ROCPRIM_400000_NS6detail17trampoline_kernelINS0_13select_configILj256ELj13ELNS0_17block_load_methodE3ELS4_3ELS4_3ELNS0_20block_scan_algorithmE0ELj4294967295EEENS1_25partition_config_selectorILNS1_17partition_subalgoE4EjNS0_10empty_typeEbEEZZNS1_14partition_implILS8_4ELb0ES6_15HIP_vector_typeIjLj2EENS0_17counting_iteratorIjlEEPS9_SG_NS0_5tupleIJPjSI_NS0_16reverse_iteratorISI_EEEEENSH_IJSG_SG_SG_EEES9_SI_JZNS1_25segmented_radix_sort_implINS0_14default_configELb0EPKfPfPKlPlN2at6native12_GLOBAL__N_18offset_tEEE10hipError_tPvRmT1_PNSt15iterator_traitsIS12_E10value_typeET2_T3_PNS13_IS18_E10value_typeET4_jRbjT5_S1E_jjP12ihipStream_tbEUljE_ZNSN_ISO_Lb0ESQ_SR_ST_SU_SY_EESZ_S10_S11_S12_S16_S17_S18_S1B_S1C_jS1D_jS1E_S1E_jjS1G_bEUljE0_EEESZ_S10_S11_S18_S1C_S1E_T6_T7_T9_mT8_S1G_bDpT10_ENKUlT_T0_E_clISt17integral_constantIbLb1EES1T_IbLb0EEEEDaS1P_S1Q_EUlS1P_E_NS1_11comp_targetILNS1_3genE5ELNS1_11target_archE942ELNS1_3gpuE9ELNS1_3repE0EEENS1_30default_config_static_selectorELNS0_4arch9wavefront6targetE0EEEvS12_,@function
_ZN7rocprim17ROCPRIM_400000_NS6detail17trampoline_kernelINS0_13select_configILj256ELj13ELNS0_17block_load_methodE3ELS4_3ELS4_3ELNS0_20block_scan_algorithmE0ELj4294967295EEENS1_25partition_config_selectorILNS1_17partition_subalgoE4EjNS0_10empty_typeEbEEZZNS1_14partition_implILS8_4ELb0ES6_15HIP_vector_typeIjLj2EENS0_17counting_iteratorIjlEEPS9_SG_NS0_5tupleIJPjSI_NS0_16reverse_iteratorISI_EEEEENSH_IJSG_SG_SG_EEES9_SI_JZNS1_25segmented_radix_sort_implINS0_14default_configELb0EPKfPfPKlPlN2at6native12_GLOBAL__N_18offset_tEEE10hipError_tPvRmT1_PNSt15iterator_traitsIS12_E10value_typeET2_T3_PNS13_IS18_E10value_typeET4_jRbjT5_S1E_jjP12ihipStream_tbEUljE_ZNSN_ISO_Lb0ESQ_SR_ST_SU_SY_EESZ_S10_S11_S12_S16_S17_S18_S1B_S1C_jS1D_jS1E_S1E_jjS1G_bEUljE0_EEESZ_S10_S11_S18_S1C_S1E_T6_T7_T9_mT8_S1G_bDpT10_ENKUlT_T0_E_clISt17integral_constantIbLb1EES1T_IbLb0EEEEDaS1P_S1Q_EUlS1P_E_NS1_11comp_targetILNS1_3genE5ELNS1_11target_archE942ELNS1_3gpuE9ELNS1_3repE0EEENS1_30default_config_static_selectorELNS0_4arch9wavefront6targetE0EEEvS12_: ; @_ZN7rocprim17ROCPRIM_400000_NS6detail17trampoline_kernelINS0_13select_configILj256ELj13ELNS0_17block_load_methodE3ELS4_3ELS4_3ELNS0_20block_scan_algorithmE0ELj4294967295EEENS1_25partition_config_selectorILNS1_17partition_subalgoE4EjNS0_10empty_typeEbEEZZNS1_14partition_implILS8_4ELb0ES6_15HIP_vector_typeIjLj2EENS0_17counting_iteratorIjlEEPS9_SG_NS0_5tupleIJPjSI_NS0_16reverse_iteratorISI_EEEEENSH_IJSG_SG_SG_EEES9_SI_JZNS1_25segmented_radix_sort_implINS0_14default_configELb0EPKfPfPKlPlN2at6native12_GLOBAL__N_18offset_tEEE10hipError_tPvRmT1_PNSt15iterator_traitsIS12_E10value_typeET2_T3_PNS13_IS18_E10value_typeET4_jRbjT5_S1E_jjP12ihipStream_tbEUljE_ZNSN_ISO_Lb0ESQ_SR_ST_SU_SY_EESZ_S10_S11_S12_S16_S17_S18_S1B_S1C_jS1D_jS1E_S1E_jjS1G_bEUljE0_EEESZ_S10_S11_S18_S1C_S1E_T6_T7_T9_mT8_S1G_bDpT10_ENKUlT_T0_E_clISt17integral_constantIbLb1EES1T_IbLb0EEEEDaS1P_S1Q_EUlS1P_E_NS1_11comp_targetILNS1_3genE5ELNS1_11target_archE942ELNS1_3gpuE9ELNS1_3repE0EEENS1_30default_config_static_selectorELNS0_4arch9wavefront6targetE0EEEvS12_
; %bb.0:
	.section	.rodata,"a",@progbits
	.p2align	6, 0x0
	.amdhsa_kernel _ZN7rocprim17ROCPRIM_400000_NS6detail17trampoline_kernelINS0_13select_configILj256ELj13ELNS0_17block_load_methodE3ELS4_3ELS4_3ELNS0_20block_scan_algorithmE0ELj4294967295EEENS1_25partition_config_selectorILNS1_17partition_subalgoE4EjNS0_10empty_typeEbEEZZNS1_14partition_implILS8_4ELb0ES6_15HIP_vector_typeIjLj2EENS0_17counting_iteratorIjlEEPS9_SG_NS0_5tupleIJPjSI_NS0_16reverse_iteratorISI_EEEEENSH_IJSG_SG_SG_EEES9_SI_JZNS1_25segmented_radix_sort_implINS0_14default_configELb0EPKfPfPKlPlN2at6native12_GLOBAL__N_18offset_tEEE10hipError_tPvRmT1_PNSt15iterator_traitsIS12_E10value_typeET2_T3_PNS13_IS18_E10value_typeET4_jRbjT5_S1E_jjP12ihipStream_tbEUljE_ZNSN_ISO_Lb0ESQ_SR_ST_SU_SY_EESZ_S10_S11_S12_S16_S17_S18_S1B_S1C_jS1D_jS1E_S1E_jjS1G_bEUljE0_EEESZ_S10_S11_S18_S1C_S1E_T6_T7_T9_mT8_S1G_bDpT10_ENKUlT_T0_E_clISt17integral_constantIbLb1EES1T_IbLb0EEEEDaS1P_S1Q_EUlS1P_E_NS1_11comp_targetILNS1_3genE5ELNS1_11target_archE942ELNS1_3gpuE9ELNS1_3repE0EEENS1_30default_config_static_selectorELNS0_4arch9wavefront6targetE0EEEvS12_
		.amdhsa_group_segment_fixed_size 0
		.amdhsa_private_segment_fixed_size 0
		.amdhsa_kernarg_size 176
		.amdhsa_user_sgpr_count 15
		.amdhsa_user_sgpr_dispatch_ptr 0
		.amdhsa_user_sgpr_queue_ptr 0
		.amdhsa_user_sgpr_kernarg_segment_ptr 1
		.amdhsa_user_sgpr_dispatch_id 0
		.amdhsa_user_sgpr_private_segment_size 0
		.amdhsa_wavefront_size32 1
		.amdhsa_uses_dynamic_stack 0
		.amdhsa_enable_private_segment 0
		.amdhsa_system_sgpr_workgroup_id_x 1
		.amdhsa_system_sgpr_workgroup_id_y 0
		.amdhsa_system_sgpr_workgroup_id_z 0
		.amdhsa_system_sgpr_workgroup_info 0
		.amdhsa_system_vgpr_workitem_id 0
		.amdhsa_next_free_vgpr 1
		.amdhsa_next_free_sgpr 1
		.amdhsa_reserve_vcc 0
		.amdhsa_float_round_mode_32 0
		.amdhsa_float_round_mode_16_64 0
		.amdhsa_float_denorm_mode_32 3
		.amdhsa_float_denorm_mode_16_64 3
		.amdhsa_dx10_clamp 1
		.amdhsa_ieee_mode 1
		.amdhsa_fp16_overflow 0
		.amdhsa_workgroup_processor_mode 1
		.amdhsa_memory_ordered 1
		.amdhsa_forward_progress 0
		.amdhsa_shared_vgpr_count 0
		.amdhsa_exception_fp_ieee_invalid_op 0
		.amdhsa_exception_fp_denorm_src 0
		.amdhsa_exception_fp_ieee_div_zero 0
		.amdhsa_exception_fp_ieee_overflow 0
		.amdhsa_exception_fp_ieee_underflow 0
		.amdhsa_exception_fp_ieee_inexact 0
		.amdhsa_exception_int_div_zero 0
	.end_amdhsa_kernel
	.section	.text._ZN7rocprim17ROCPRIM_400000_NS6detail17trampoline_kernelINS0_13select_configILj256ELj13ELNS0_17block_load_methodE3ELS4_3ELS4_3ELNS0_20block_scan_algorithmE0ELj4294967295EEENS1_25partition_config_selectorILNS1_17partition_subalgoE4EjNS0_10empty_typeEbEEZZNS1_14partition_implILS8_4ELb0ES6_15HIP_vector_typeIjLj2EENS0_17counting_iteratorIjlEEPS9_SG_NS0_5tupleIJPjSI_NS0_16reverse_iteratorISI_EEEEENSH_IJSG_SG_SG_EEES9_SI_JZNS1_25segmented_radix_sort_implINS0_14default_configELb0EPKfPfPKlPlN2at6native12_GLOBAL__N_18offset_tEEE10hipError_tPvRmT1_PNSt15iterator_traitsIS12_E10value_typeET2_T3_PNS13_IS18_E10value_typeET4_jRbjT5_S1E_jjP12ihipStream_tbEUljE_ZNSN_ISO_Lb0ESQ_SR_ST_SU_SY_EESZ_S10_S11_S12_S16_S17_S18_S1B_S1C_jS1D_jS1E_S1E_jjS1G_bEUljE0_EEESZ_S10_S11_S18_S1C_S1E_T6_T7_T9_mT8_S1G_bDpT10_ENKUlT_T0_E_clISt17integral_constantIbLb1EES1T_IbLb0EEEEDaS1P_S1Q_EUlS1P_E_NS1_11comp_targetILNS1_3genE5ELNS1_11target_archE942ELNS1_3gpuE9ELNS1_3repE0EEENS1_30default_config_static_selectorELNS0_4arch9wavefront6targetE0EEEvS12_,"axG",@progbits,_ZN7rocprim17ROCPRIM_400000_NS6detail17trampoline_kernelINS0_13select_configILj256ELj13ELNS0_17block_load_methodE3ELS4_3ELS4_3ELNS0_20block_scan_algorithmE0ELj4294967295EEENS1_25partition_config_selectorILNS1_17partition_subalgoE4EjNS0_10empty_typeEbEEZZNS1_14partition_implILS8_4ELb0ES6_15HIP_vector_typeIjLj2EENS0_17counting_iteratorIjlEEPS9_SG_NS0_5tupleIJPjSI_NS0_16reverse_iteratorISI_EEEEENSH_IJSG_SG_SG_EEES9_SI_JZNS1_25segmented_radix_sort_implINS0_14default_configELb0EPKfPfPKlPlN2at6native12_GLOBAL__N_18offset_tEEE10hipError_tPvRmT1_PNSt15iterator_traitsIS12_E10value_typeET2_T3_PNS13_IS18_E10value_typeET4_jRbjT5_S1E_jjP12ihipStream_tbEUljE_ZNSN_ISO_Lb0ESQ_SR_ST_SU_SY_EESZ_S10_S11_S12_S16_S17_S18_S1B_S1C_jS1D_jS1E_S1E_jjS1G_bEUljE0_EEESZ_S10_S11_S18_S1C_S1E_T6_T7_T9_mT8_S1G_bDpT10_ENKUlT_T0_E_clISt17integral_constantIbLb1EES1T_IbLb0EEEEDaS1P_S1Q_EUlS1P_E_NS1_11comp_targetILNS1_3genE5ELNS1_11target_archE942ELNS1_3gpuE9ELNS1_3repE0EEENS1_30default_config_static_selectorELNS0_4arch9wavefront6targetE0EEEvS12_,comdat
.Lfunc_end1381:
	.size	_ZN7rocprim17ROCPRIM_400000_NS6detail17trampoline_kernelINS0_13select_configILj256ELj13ELNS0_17block_load_methodE3ELS4_3ELS4_3ELNS0_20block_scan_algorithmE0ELj4294967295EEENS1_25partition_config_selectorILNS1_17partition_subalgoE4EjNS0_10empty_typeEbEEZZNS1_14partition_implILS8_4ELb0ES6_15HIP_vector_typeIjLj2EENS0_17counting_iteratorIjlEEPS9_SG_NS0_5tupleIJPjSI_NS0_16reverse_iteratorISI_EEEEENSH_IJSG_SG_SG_EEES9_SI_JZNS1_25segmented_radix_sort_implINS0_14default_configELb0EPKfPfPKlPlN2at6native12_GLOBAL__N_18offset_tEEE10hipError_tPvRmT1_PNSt15iterator_traitsIS12_E10value_typeET2_T3_PNS13_IS18_E10value_typeET4_jRbjT5_S1E_jjP12ihipStream_tbEUljE_ZNSN_ISO_Lb0ESQ_SR_ST_SU_SY_EESZ_S10_S11_S12_S16_S17_S18_S1B_S1C_jS1D_jS1E_S1E_jjS1G_bEUljE0_EEESZ_S10_S11_S18_S1C_S1E_T6_T7_T9_mT8_S1G_bDpT10_ENKUlT_T0_E_clISt17integral_constantIbLb1EES1T_IbLb0EEEEDaS1P_S1Q_EUlS1P_E_NS1_11comp_targetILNS1_3genE5ELNS1_11target_archE942ELNS1_3gpuE9ELNS1_3repE0EEENS1_30default_config_static_selectorELNS0_4arch9wavefront6targetE0EEEvS12_, .Lfunc_end1381-_ZN7rocprim17ROCPRIM_400000_NS6detail17trampoline_kernelINS0_13select_configILj256ELj13ELNS0_17block_load_methodE3ELS4_3ELS4_3ELNS0_20block_scan_algorithmE0ELj4294967295EEENS1_25partition_config_selectorILNS1_17partition_subalgoE4EjNS0_10empty_typeEbEEZZNS1_14partition_implILS8_4ELb0ES6_15HIP_vector_typeIjLj2EENS0_17counting_iteratorIjlEEPS9_SG_NS0_5tupleIJPjSI_NS0_16reverse_iteratorISI_EEEEENSH_IJSG_SG_SG_EEES9_SI_JZNS1_25segmented_radix_sort_implINS0_14default_configELb0EPKfPfPKlPlN2at6native12_GLOBAL__N_18offset_tEEE10hipError_tPvRmT1_PNSt15iterator_traitsIS12_E10value_typeET2_T3_PNS13_IS18_E10value_typeET4_jRbjT5_S1E_jjP12ihipStream_tbEUljE_ZNSN_ISO_Lb0ESQ_SR_ST_SU_SY_EESZ_S10_S11_S12_S16_S17_S18_S1B_S1C_jS1D_jS1E_S1E_jjS1G_bEUljE0_EEESZ_S10_S11_S18_S1C_S1E_T6_T7_T9_mT8_S1G_bDpT10_ENKUlT_T0_E_clISt17integral_constantIbLb1EES1T_IbLb0EEEEDaS1P_S1Q_EUlS1P_E_NS1_11comp_targetILNS1_3genE5ELNS1_11target_archE942ELNS1_3gpuE9ELNS1_3repE0EEENS1_30default_config_static_selectorELNS0_4arch9wavefront6targetE0EEEvS12_
                                        ; -- End function
	.section	.AMDGPU.csdata,"",@progbits
; Kernel info:
; codeLenInByte = 0
; NumSgprs: 0
; NumVgprs: 0
; ScratchSize: 0
; MemoryBound: 0
; FloatMode: 240
; IeeeMode: 1
; LDSByteSize: 0 bytes/workgroup (compile time only)
; SGPRBlocks: 0
; VGPRBlocks: 0
; NumSGPRsForWavesPerEU: 1
; NumVGPRsForWavesPerEU: 1
; Occupancy: 16
; WaveLimiterHint : 0
; COMPUTE_PGM_RSRC2:SCRATCH_EN: 0
; COMPUTE_PGM_RSRC2:USER_SGPR: 15
; COMPUTE_PGM_RSRC2:TRAP_HANDLER: 0
; COMPUTE_PGM_RSRC2:TGID_X_EN: 1
; COMPUTE_PGM_RSRC2:TGID_Y_EN: 0
; COMPUTE_PGM_RSRC2:TGID_Z_EN: 0
; COMPUTE_PGM_RSRC2:TIDIG_COMP_CNT: 0
	.section	.text._ZN7rocprim17ROCPRIM_400000_NS6detail17trampoline_kernelINS0_13select_configILj256ELj13ELNS0_17block_load_methodE3ELS4_3ELS4_3ELNS0_20block_scan_algorithmE0ELj4294967295EEENS1_25partition_config_selectorILNS1_17partition_subalgoE4EjNS0_10empty_typeEbEEZZNS1_14partition_implILS8_4ELb0ES6_15HIP_vector_typeIjLj2EENS0_17counting_iteratorIjlEEPS9_SG_NS0_5tupleIJPjSI_NS0_16reverse_iteratorISI_EEEEENSH_IJSG_SG_SG_EEES9_SI_JZNS1_25segmented_radix_sort_implINS0_14default_configELb0EPKfPfPKlPlN2at6native12_GLOBAL__N_18offset_tEEE10hipError_tPvRmT1_PNSt15iterator_traitsIS12_E10value_typeET2_T3_PNS13_IS18_E10value_typeET4_jRbjT5_S1E_jjP12ihipStream_tbEUljE_ZNSN_ISO_Lb0ESQ_SR_ST_SU_SY_EESZ_S10_S11_S12_S16_S17_S18_S1B_S1C_jS1D_jS1E_S1E_jjS1G_bEUljE0_EEESZ_S10_S11_S18_S1C_S1E_T6_T7_T9_mT8_S1G_bDpT10_ENKUlT_T0_E_clISt17integral_constantIbLb1EES1T_IbLb0EEEEDaS1P_S1Q_EUlS1P_E_NS1_11comp_targetILNS1_3genE4ELNS1_11target_archE910ELNS1_3gpuE8ELNS1_3repE0EEENS1_30default_config_static_selectorELNS0_4arch9wavefront6targetE0EEEvS12_,"axG",@progbits,_ZN7rocprim17ROCPRIM_400000_NS6detail17trampoline_kernelINS0_13select_configILj256ELj13ELNS0_17block_load_methodE3ELS4_3ELS4_3ELNS0_20block_scan_algorithmE0ELj4294967295EEENS1_25partition_config_selectorILNS1_17partition_subalgoE4EjNS0_10empty_typeEbEEZZNS1_14partition_implILS8_4ELb0ES6_15HIP_vector_typeIjLj2EENS0_17counting_iteratorIjlEEPS9_SG_NS0_5tupleIJPjSI_NS0_16reverse_iteratorISI_EEEEENSH_IJSG_SG_SG_EEES9_SI_JZNS1_25segmented_radix_sort_implINS0_14default_configELb0EPKfPfPKlPlN2at6native12_GLOBAL__N_18offset_tEEE10hipError_tPvRmT1_PNSt15iterator_traitsIS12_E10value_typeET2_T3_PNS13_IS18_E10value_typeET4_jRbjT5_S1E_jjP12ihipStream_tbEUljE_ZNSN_ISO_Lb0ESQ_SR_ST_SU_SY_EESZ_S10_S11_S12_S16_S17_S18_S1B_S1C_jS1D_jS1E_S1E_jjS1G_bEUljE0_EEESZ_S10_S11_S18_S1C_S1E_T6_T7_T9_mT8_S1G_bDpT10_ENKUlT_T0_E_clISt17integral_constantIbLb1EES1T_IbLb0EEEEDaS1P_S1Q_EUlS1P_E_NS1_11comp_targetILNS1_3genE4ELNS1_11target_archE910ELNS1_3gpuE8ELNS1_3repE0EEENS1_30default_config_static_selectorELNS0_4arch9wavefront6targetE0EEEvS12_,comdat
	.globl	_ZN7rocprim17ROCPRIM_400000_NS6detail17trampoline_kernelINS0_13select_configILj256ELj13ELNS0_17block_load_methodE3ELS4_3ELS4_3ELNS0_20block_scan_algorithmE0ELj4294967295EEENS1_25partition_config_selectorILNS1_17partition_subalgoE4EjNS0_10empty_typeEbEEZZNS1_14partition_implILS8_4ELb0ES6_15HIP_vector_typeIjLj2EENS0_17counting_iteratorIjlEEPS9_SG_NS0_5tupleIJPjSI_NS0_16reverse_iteratorISI_EEEEENSH_IJSG_SG_SG_EEES9_SI_JZNS1_25segmented_radix_sort_implINS0_14default_configELb0EPKfPfPKlPlN2at6native12_GLOBAL__N_18offset_tEEE10hipError_tPvRmT1_PNSt15iterator_traitsIS12_E10value_typeET2_T3_PNS13_IS18_E10value_typeET4_jRbjT5_S1E_jjP12ihipStream_tbEUljE_ZNSN_ISO_Lb0ESQ_SR_ST_SU_SY_EESZ_S10_S11_S12_S16_S17_S18_S1B_S1C_jS1D_jS1E_S1E_jjS1G_bEUljE0_EEESZ_S10_S11_S18_S1C_S1E_T6_T7_T9_mT8_S1G_bDpT10_ENKUlT_T0_E_clISt17integral_constantIbLb1EES1T_IbLb0EEEEDaS1P_S1Q_EUlS1P_E_NS1_11comp_targetILNS1_3genE4ELNS1_11target_archE910ELNS1_3gpuE8ELNS1_3repE0EEENS1_30default_config_static_selectorELNS0_4arch9wavefront6targetE0EEEvS12_ ; -- Begin function _ZN7rocprim17ROCPRIM_400000_NS6detail17trampoline_kernelINS0_13select_configILj256ELj13ELNS0_17block_load_methodE3ELS4_3ELS4_3ELNS0_20block_scan_algorithmE0ELj4294967295EEENS1_25partition_config_selectorILNS1_17partition_subalgoE4EjNS0_10empty_typeEbEEZZNS1_14partition_implILS8_4ELb0ES6_15HIP_vector_typeIjLj2EENS0_17counting_iteratorIjlEEPS9_SG_NS0_5tupleIJPjSI_NS0_16reverse_iteratorISI_EEEEENSH_IJSG_SG_SG_EEES9_SI_JZNS1_25segmented_radix_sort_implINS0_14default_configELb0EPKfPfPKlPlN2at6native12_GLOBAL__N_18offset_tEEE10hipError_tPvRmT1_PNSt15iterator_traitsIS12_E10value_typeET2_T3_PNS13_IS18_E10value_typeET4_jRbjT5_S1E_jjP12ihipStream_tbEUljE_ZNSN_ISO_Lb0ESQ_SR_ST_SU_SY_EESZ_S10_S11_S12_S16_S17_S18_S1B_S1C_jS1D_jS1E_S1E_jjS1G_bEUljE0_EEESZ_S10_S11_S18_S1C_S1E_T6_T7_T9_mT8_S1G_bDpT10_ENKUlT_T0_E_clISt17integral_constantIbLb1EES1T_IbLb0EEEEDaS1P_S1Q_EUlS1P_E_NS1_11comp_targetILNS1_3genE4ELNS1_11target_archE910ELNS1_3gpuE8ELNS1_3repE0EEENS1_30default_config_static_selectorELNS0_4arch9wavefront6targetE0EEEvS12_
	.p2align	8
	.type	_ZN7rocprim17ROCPRIM_400000_NS6detail17trampoline_kernelINS0_13select_configILj256ELj13ELNS0_17block_load_methodE3ELS4_3ELS4_3ELNS0_20block_scan_algorithmE0ELj4294967295EEENS1_25partition_config_selectorILNS1_17partition_subalgoE4EjNS0_10empty_typeEbEEZZNS1_14partition_implILS8_4ELb0ES6_15HIP_vector_typeIjLj2EENS0_17counting_iteratorIjlEEPS9_SG_NS0_5tupleIJPjSI_NS0_16reverse_iteratorISI_EEEEENSH_IJSG_SG_SG_EEES9_SI_JZNS1_25segmented_radix_sort_implINS0_14default_configELb0EPKfPfPKlPlN2at6native12_GLOBAL__N_18offset_tEEE10hipError_tPvRmT1_PNSt15iterator_traitsIS12_E10value_typeET2_T3_PNS13_IS18_E10value_typeET4_jRbjT5_S1E_jjP12ihipStream_tbEUljE_ZNSN_ISO_Lb0ESQ_SR_ST_SU_SY_EESZ_S10_S11_S12_S16_S17_S18_S1B_S1C_jS1D_jS1E_S1E_jjS1G_bEUljE0_EEESZ_S10_S11_S18_S1C_S1E_T6_T7_T9_mT8_S1G_bDpT10_ENKUlT_T0_E_clISt17integral_constantIbLb1EES1T_IbLb0EEEEDaS1P_S1Q_EUlS1P_E_NS1_11comp_targetILNS1_3genE4ELNS1_11target_archE910ELNS1_3gpuE8ELNS1_3repE0EEENS1_30default_config_static_selectorELNS0_4arch9wavefront6targetE0EEEvS12_,@function
_ZN7rocprim17ROCPRIM_400000_NS6detail17trampoline_kernelINS0_13select_configILj256ELj13ELNS0_17block_load_methodE3ELS4_3ELS4_3ELNS0_20block_scan_algorithmE0ELj4294967295EEENS1_25partition_config_selectorILNS1_17partition_subalgoE4EjNS0_10empty_typeEbEEZZNS1_14partition_implILS8_4ELb0ES6_15HIP_vector_typeIjLj2EENS0_17counting_iteratorIjlEEPS9_SG_NS0_5tupleIJPjSI_NS0_16reverse_iteratorISI_EEEEENSH_IJSG_SG_SG_EEES9_SI_JZNS1_25segmented_radix_sort_implINS0_14default_configELb0EPKfPfPKlPlN2at6native12_GLOBAL__N_18offset_tEEE10hipError_tPvRmT1_PNSt15iterator_traitsIS12_E10value_typeET2_T3_PNS13_IS18_E10value_typeET4_jRbjT5_S1E_jjP12ihipStream_tbEUljE_ZNSN_ISO_Lb0ESQ_SR_ST_SU_SY_EESZ_S10_S11_S12_S16_S17_S18_S1B_S1C_jS1D_jS1E_S1E_jjS1G_bEUljE0_EEESZ_S10_S11_S18_S1C_S1E_T6_T7_T9_mT8_S1G_bDpT10_ENKUlT_T0_E_clISt17integral_constantIbLb1EES1T_IbLb0EEEEDaS1P_S1Q_EUlS1P_E_NS1_11comp_targetILNS1_3genE4ELNS1_11target_archE910ELNS1_3gpuE8ELNS1_3repE0EEENS1_30default_config_static_selectorELNS0_4arch9wavefront6targetE0EEEvS12_: ; @_ZN7rocprim17ROCPRIM_400000_NS6detail17trampoline_kernelINS0_13select_configILj256ELj13ELNS0_17block_load_methodE3ELS4_3ELS4_3ELNS0_20block_scan_algorithmE0ELj4294967295EEENS1_25partition_config_selectorILNS1_17partition_subalgoE4EjNS0_10empty_typeEbEEZZNS1_14partition_implILS8_4ELb0ES6_15HIP_vector_typeIjLj2EENS0_17counting_iteratorIjlEEPS9_SG_NS0_5tupleIJPjSI_NS0_16reverse_iteratorISI_EEEEENSH_IJSG_SG_SG_EEES9_SI_JZNS1_25segmented_radix_sort_implINS0_14default_configELb0EPKfPfPKlPlN2at6native12_GLOBAL__N_18offset_tEEE10hipError_tPvRmT1_PNSt15iterator_traitsIS12_E10value_typeET2_T3_PNS13_IS18_E10value_typeET4_jRbjT5_S1E_jjP12ihipStream_tbEUljE_ZNSN_ISO_Lb0ESQ_SR_ST_SU_SY_EESZ_S10_S11_S12_S16_S17_S18_S1B_S1C_jS1D_jS1E_S1E_jjS1G_bEUljE0_EEESZ_S10_S11_S18_S1C_S1E_T6_T7_T9_mT8_S1G_bDpT10_ENKUlT_T0_E_clISt17integral_constantIbLb1EES1T_IbLb0EEEEDaS1P_S1Q_EUlS1P_E_NS1_11comp_targetILNS1_3genE4ELNS1_11target_archE910ELNS1_3gpuE8ELNS1_3repE0EEENS1_30default_config_static_selectorELNS0_4arch9wavefront6targetE0EEEvS12_
; %bb.0:
	.section	.rodata,"a",@progbits
	.p2align	6, 0x0
	.amdhsa_kernel _ZN7rocprim17ROCPRIM_400000_NS6detail17trampoline_kernelINS0_13select_configILj256ELj13ELNS0_17block_load_methodE3ELS4_3ELS4_3ELNS0_20block_scan_algorithmE0ELj4294967295EEENS1_25partition_config_selectorILNS1_17partition_subalgoE4EjNS0_10empty_typeEbEEZZNS1_14partition_implILS8_4ELb0ES6_15HIP_vector_typeIjLj2EENS0_17counting_iteratorIjlEEPS9_SG_NS0_5tupleIJPjSI_NS0_16reverse_iteratorISI_EEEEENSH_IJSG_SG_SG_EEES9_SI_JZNS1_25segmented_radix_sort_implINS0_14default_configELb0EPKfPfPKlPlN2at6native12_GLOBAL__N_18offset_tEEE10hipError_tPvRmT1_PNSt15iterator_traitsIS12_E10value_typeET2_T3_PNS13_IS18_E10value_typeET4_jRbjT5_S1E_jjP12ihipStream_tbEUljE_ZNSN_ISO_Lb0ESQ_SR_ST_SU_SY_EESZ_S10_S11_S12_S16_S17_S18_S1B_S1C_jS1D_jS1E_S1E_jjS1G_bEUljE0_EEESZ_S10_S11_S18_S1C_S1E_T6_T7_T9_mT8_S1G_bDpT10_ENKUlT_T0_E_clISt17integral_constantIbLb1EES1T_IbLb0EEEEDaS1P_S1Q_EUlS1P_E_NS1_11comp_targetILNS1_3genE4ELNS1_11target_archE910ELNS1_3gpuE8ELNS1_3repE0EEENS1_30default_config_static_selectorELNS0_4arch9wavefront6targetE0EEEvS12_
		.amdhsa_group_segment_fixed_size 0
		.amdhsa_private_segment_fixed_size 0
		.amdhsa_kernarg_size 176
		.amdhsa_user_sgpr_count 15
		.amdhsa_user_sgpr_dispatch_ptr 0
		.amdhsa_user_sgpr_queue_ptr 0
		.amdhsa_user_sgpr_kernarg_segment_ptr 1
		.amdhsa_user_sgpr_dispatch_id 0
		.amdhsa_user_sgpr_private_segment_size 0
		.amdhsa_wavefront_size32 1
		.amdhsa_uses_dynamic_stack 0
		.amdhsa_enable_private_segment 0
		.amdhsa_system_sgpr_workgroup_id_x 1
		.amdhsa_system_sgpr_workgroup_id_y 0
		.amdhsa_system_sgpr_workgroup_id_z 0
		.amdhsa_system_sgpr_workgroup_info 0
		.amdhsa_system_vgpr_workitem_id 0
		.amdhsa_next_free_vgpr 1
		.amdhsa_next_free_sgpr 1
		.amdhsa_reserve_vcc 0
		.amdhsa_float_round_mode_32 0
		.amdhsa_float_round_mode_16_64 0
		.amdhsa_float_denorm_mode_32 3
		.amdhsa_float_denorm_mode_16_64 3
		.amdhsa_dx10_clamp 1
		.amdhsa_ieee_mode 1
		.amdhsa_fp16_overflow 0
		.amdhsa_workgroup_processor_mode 1
		.amdhsa_memory_ordered 1
		.amdhsa_forward_progress 0
		.amdhsa_shared_vgpr_count 0
		.amdhsa_exception_fp_ieee_invalid_op 0
		.amdhsa_exception_fp_denorm_src 0
		.amdhsa_exception_fp_ieee_div_zero 0
		.amdhsa_exception_fp_ieee_overflow 0
		.amdhsa_exception_fp_ieee_underflow 0
		.amdhsa_exception_fp_ieee_inexact 0
		.amdhsa_exception_int_div_zero 0
	.end_amdhsa_kernel
	.section	.text._ZN7rocprim17ROCPRIM_400000_NS6detail17trampoline_kernelINS0_13select_configILj256ELj13ELNS0_17block_load_methodE3ELS4_3ELS4_3ELNS0_20block_scan_algorithmE0ELj4294967295EEENS1_25partition_config_selectorILNS1_17partition_subalgoE4EjNS0_10empty_typeEbEEZZNS1_14partition_implILS8_4ELb0ES6_15HIP_vector_typeIjLj2EENS0_17counting_iteratorIjlEEPS9_SG_NS0_5tupleIJPjSI_NS0_16reverse_iteratorISI_EEEEENSH_IJSG_SG_SG_EEES9_SI_JZNS1_25segmented_radix_sort_implINS0_14default_configELb0EPKfPfPKlPlN2at6native12_GLOBAL__N_18offset_tEEE10hipError_tPvRmT1_PNSt15iterator_traitsIS12_E10value_typeET2_T3_PNS13_IS18_E10value_typeET4_jRbjT5_S1E_jjP12ihipStream_tbEUljE_ZNSN_ISO_Lb0ESQ_SR_ST_SU_SY_EESZ_S10_S11_S12_S16_S17_S18_S1B_S1C_jS1D_jS1E_S1E_jjS1G_bEUljE0_EEESZ_S10_S11_S18_S1C_S1E_T6_T7_T9_mT8_S1G_bDpT10_ENKUlT_T0_E_clISt17integral_constantIbLb1EES1T_IbLb0EEEEDaS1P_S1Q_EUlS1P_E_NS1_11comp_targetILNS1_3genE4ELNS1_11target_archE910ELNS1_3gpuE8ELNS1_3repE0EEENS1_30default_config_static_selectorELNS0_4arch9wavefront6targetE0EEEvS12_,"axG",@progbits,_ZN7rocprim17ROCPRIM_400000_NS6detail17trampoline_kernelINS0_13select_configILj256ELj13ELNS0_17block_load_methodE3ELS4_3ELS4_3ELNS0_20block_scan_algorithmE0ELj4294967295EEENS1_25partition_config_selectorILNS1_17partition_subalgoE4EjNS0_10empty_typeEbEEZZNS1_14partition_implILS8_4ELb0ES6_15HIP_vector_typeIjLj2EENS0_17counting_iteratorIjlEEPS9_SG_NS0_5tupleIJPjSI_NS0_16reverse_iteratorISI_EEEEENSH_IJSG_SG_SG_EEES9_SI_JZNS1_25segmented_radix_sort_implINS0_14default_configELb0EPKfPfPKlPlN2at6native12_GLOBAL__N_18offset_tEEE10hipError_tPvRmT1_PNSt15iterator_traitsIS12_E10value_typeET2_T3_PNS13_IS18_E10value_typeET4_jRbjT5_S1E_jjP12ihipStream_tbEUljE_ZNSN_ISO_Lb0ESQ_SR_ST_SU_SY_EESZ_S10_S11_S12_S16_S17_S18_S1B_S1C_jS1D_jS1E_S1E_jjS1G_bEUljE0_EEESZ_S10_S11_S18_S1C_S1E_T6_T7_T9_mT8_S1G_bDpT10_ENKUlT_T0_E_clISt17integral_constantIbLb1EES1T_IbLb0EEEEDaS1P_S1Q_EUlS1P_E_NS1_11comp_targetILNS1_3genE4ELNS1_11target_archE910ELNS1_3gpuE8ELNS1_3repE0EEENS1_30default_config_static_selectorELNS0_4arch9wavefront6targetE0EEEvS12_,comdat
.Lfunc_end1382:
	.size	_ZN7rocprim17ROCPRIM_400000_NS6detail17trampoline_kernelINS0_13select_configILj256ELj13ELNS0_17block_load_methodE3ELS4_3ELS4_3ELNS0_20block_scan_algorithmE0ELj4294967295EEENS1_25partition_config_selectorILNS1_17partition_subalgoE4EjNS0_10empty_typeEbEEZZNS1_14partition_implILS8_4ELb0ES6_15HIP_vector_typeIjLj2EENS0_17counting_iteratorIjlEEPS9_SG_NS0_5tupleIJPjSI_NS0_16reverse_iteratorISI_EEEEENSH_IJSG_SG_SG_EEES9_SI_JZNS1_25segmented_radix_sort_implINS0_14default_configELb0EPKfPfPKlPlN2at6native12_GLOBAL__N_18offset_tEEE10hipError_tPvRmT1_PNSt15iterator_traitsIS12_E10value_typeET2_T3_PNS13_IS18_E10value_typeET4_jRbjT5_S1E_jjP12ihipStream_tbEUljE_ZNSN_ISO_Lb0ESQ_SR_ST_SU_SY_EESZ_S10_S11_S12_S16_S17_S18_S1B_S1C_jS1D_jS1E_S1E_jjS1G_bEUljE0_EEESZ_S10_S11_S18_S1C_S1E_T6_T7_T9_mT8_S1G_bDpT10_ENKUlT_T0_E_clISt17integral_constantIbLb1EES1T_IbLb0EEEEDaS1P_S1Q_EUlS1P_E_NS1_11comp_targetILNS1_3genE4ELNS1_11target_archE910ELNS1_3gpuE8ELNS1_3repE0EEENS1_30default_config_static_selectorELNS0_4arch9wavefront6targetE0EEEvS12_, .Lfunc_end1382-_ZN7rocprim17ROCPRIM_400000_NS6detail17trampoline_kernelINS0_13select_configILj256ELj13ELNS0_17block_load_methodE3ELS4_3ELS4_3ELNS0_20block_scan_algorithmE0ELj4294967295EEENS1_25partition_config_selectorILNS1_17partition_subalgoE4EjNS0_10empty_typeEbEEZZNS1_14partition_implILS8_4ELb0ES6_15HIP_vector_typeIjLj2EENS0_17counting_iteratorIjlEEPS9_SG_NS0_5tupleIJPjSI_NS0_16reverse_iteratorISI_EEEEENSH_IJSG_SG_SG_EEES9_SI_JZNS1_25segmented_radix_sort_implINS0_14default_configELb0EPKfPfPKlPlN2at6native12_GLOBAL__N_18offset_tEEE10hipError_tPvRmT1_PNSt15iterator_traitsIS12_E10value_typeET2_T3_PNS13_IS18_E10value_typeET4_jRbjT5_S1E_jjP12ihipStream_tbEUljE_ZNSN_ISO_Lb0ESQ_SR_ST_SU_SY_EESZ_S10_S11_S12_S16_S17_S18_S1B_S1C_jS1D_jS1E_S1E_jjS1G_bEUljE0_EEESZ_S10_S11_S18_S1C_S1E_T6_T7_T9_mT8_S1G_bDpT10_ENKUlT_T0_E_clISt17integral_constantIbLb1EES1T_IbLb0EEEEDaS1P_S1Q_EUlS1P_E_NS1_11comp_targetILNS1_3genE4ELNS1_11target_archE910ELNS1_3gpuE8ELNS1_3repE0EEENS1_30default_config_static_selectorELNS0_4arch9wavefront6targetE0EEEvS12_
                                        ; -- End function
	.section	.AMDGPU.csdata,"",@progbits
; Kernel info:
; codeLenInByte = 0
; NumSgprs: 0
; NumVgprs: 0
; ScratchSize: 0
; MemoryBound: 0
; FloatMode: 240
; IeeeMode: 1
; LDSByteSize: 0 bytes/workgroup (compile time only)
; SGPRBlocks: 0
; VGPRBlocks: 0
; NumSGPRsForWavesPerEU: 1
; NumVGPRsForWavesPerEU: 1
; Occupancy: 16
; WaveLimiterHint : 0
; COMPUTE_PGM_RSRC2:SCRATCH_EN: 0
; COMPUTE_PGM_RSRC2:USER_SGPR: 15
; COMPUTE_PGM_RSRC2:TRAP_HANDLER: 0
; COMPUTE_PGM_RSRC2:TGID_X_EN: 1
; COMPUTE_PGM_RSRC2:TGID_Y_EN: 0
; COMPUTE_PGM_RSRC2:TGID_Z_EN: 0
; COMPUTE_PGM_RSRC2:TIDIG_COMP_CNT: 0
	.section	.text._ZN7rocprim17ROCPRIM_400000_NS6detail17trampoline_kernelINS0_13select_configILj256ELj13ELNS0_17block_load_methodE3ELS4_3ELS4_3ELNS0_20block_scan_algorithmE0ELj4294967295EEENS1_25partition_config_selectorILNS1_17partition_subalgoE4EjNS0_10empty_typeEbEEZZNS1_14partition_implILS8_4ELb0ES6_15HIP_vector_typeIjLj2EENS0_17counting_iteratorIjlEEPS9_SG_NS0_5tupleIJPjSI_NS0_16reverse_iteratorISI_EEEEENSH_IJSG_SG_SG_EEES9_SI_JZNS1_25segmented_radix_sort_implINS0_14default_configELb0EPKfPfPKlPlN2at6native12_GLOBAL__N_18offset_tEEE10hipError_tPvRmT1_PNSt15iterator_traitsIS12_E10value_typeET2_T3_PNS13_IS18_E10value_typeET4_jRbjT5_S1E_jjP12ihipStream_tbEUljE_ZNSN_ISO_Lb0ESQ_SR_ST_SU_SY_EESZ_S10_S11_S12_S16_S17_S18_S1B_S1C_jS1D_jS1E_S1E_jjS1G_bEUljE0_EEESZ_S10_S11_S18_S1C_S1E_T6_T7_T9_mT8_S1G_bDpT10_ENKUlT_T0_E_clISt17integral_constantIbLb1EES1T_IbLb0EEEEDaS1P_S1Q_EUlS1P_E_NS1_11comp_targetILNS1_3genE3ELNS1_11target_archE908ELNS1_3gpuE7ELNS1_3repE0EEENS1_30default_config_static_selectorELNS0_4arch9wavefront6targetE0EEEvS12_,"axG",@progbits,_ZN7rocprim17ROCPRIM_400000_NS6detail17trampoline_kernelINS0_13select_configILj256ELj13ELNS0_17block_load_methodE3ELS4_3ELS4_3ELNS0_20block_scan_algorithmE0ELj4294967295EEENS1_25partition_config_selectorILNS1_17partition_subalgoE4EjNS0_10empty_typeEbEEZZNS1_14partition_implILS8_4ELb0ES6_15HIP_vector_typeIjLj2EENS0_17counting_iteratorIjlEEPS9_SG_NS0_5tupleIJPjSI_NS0_16reverse_iteratorISI_EEEEENSH_IJSG_SG_SG_EEES9_SI_JZNS1_25segmented_radix_sort_implINS0_14default_configELb0EPKfPfPKlPlN2at6native12_GLOBAL__N_18offset_tEEE10hipError_tPvRmT1_PNSt15iterator_traitsIS12_E10value_typeET2_T3_PNS13_IS18_E10value_typeET4_jRbjT5_S1E_jjP12ihipStream_tbEUljE_ZNSN_ISO_Lb0ESQ_SR_ST_SU_SY_EESZ_S10_S11_S12_S16_S17_S18_S1B_S1C_jS1D_jS1E_S1E_jjS1G_bEUljE0_EEESZ_S10_S11_S18_S1C_S1E_T6_T7_T9_mT8_S1G_bDpT10_ENKUlT_T0_E_clISt17integral_constantIbLb1EES1T_IbLb0EEEEDaS1P_S1Q_EUlS1P_E_NS1_11comp_targetILNS1_3genE3ELNS1_11target_archE908ELNS1_3gpuE7ELNS1_3repE0EEENS1_30default_config_static_selectorELNS0_4arch9wavefront6targetE0EEEvS12_,comdat
	.globl	_ZN7rocprim17ROCPRIM_400000_NS6detail17trampoline_kernelINS0_13select_configILj256ELj13ELNS0_17block_load_methodE3ELS4_3ELS4_3ELNS0_20block_scan_algorithmE0ELj4294967295EEENS1_25partition_config_selectorILNS1_17partition_subalgoE4EjNS0_10empty_typeEbEEZZNS1_14partition_implILS8_4ELb0ES6_15HIP_vector_typeIjLj2EENS0_17counting_iteratorIjlEEPS9_SG_NS0_5tupleIJPjSI_NS0_16reverse_iteratorISI_EEEEENSH_IJSG_SG_SG_EEES9_SI_JZNS1_25segmented_radix_sort_implINS0_14default_configELb0EPKfPfPKlPlN2at6native12_GLOBAL__N_18offset_tEEE10hipError_tPvRmT1_PNSt15iterator_traitsIS12_E10value_typeET2_T3_PNS13_IS18_E10value_typeET4_jRbjT5_S1E_jjP12ihipStream_tbEUljE_ZNSN_ISO_Lb0ESQ_SR_ST_SU_SY_EESZ_S10_S11_S12_S16_S17_S18_S1B_S1C_jS1D_jS1E_S1E_jjS1G_bEUljE0_EEESZ_S10_S11_S18_S1C_S1E_T6_T7_T9_mT8_S1G_bDpT10_ENKUlT_T0_E_clISt17integral_constantIbLb1EES1T_IbLb0EEEEDaS1P_S1Q_EUlS1P_E_NS1_11comp_targetILNS1_3genE3ELNS1_11target_archE908ELNS1_3gpuE7ELNS1_3repE0EEENS1_30default_config_static_selectorELNS0_4arch9wavefront6targetE0EEEvS12_ ; -- Begin function _ZN7rocprim17ROCPRIM_400000_NS6detail17trampoline_kernelINS0_13select_configILj256ELj13ELNS0_17block_load_methodE3ELS4_3ELS4_3ELNS0_20block_scan_algorithmE0ELj4294967295EEENS1_25partition_config_selectorILNS1_17partition_subalgoE4EjNS0_10empty_typeEbEEZZNS1_14partition_implILS8_4ELb0ES6_15HIP_vector_typeIjLj2EENS0_17counting_iteratorIjlEEPS9_SG_NS0_5tupleIJPjSI_NS0_16reverse_iteratorISI_EEEEENSH_IJSG_SG_SG_EEES9_SI_JZNS1_25segmented_radix_sort_implINS0_14default_configELb0EPKfPfPKlPlN2at6native12_GLOBAL__N_18offset_tEEE10hipError_tPvRmT1_PNSt15iterator_traitsIS12_E10value_typeET2_T3_PNS13_IS18_E10value_typeET4_jRbjT5_S1E_jjP12ihipStream_tbEUljE_ZNSN_ISO_Lb0ESQ_SR_ST_SU_SY_EESZ_S10_S11_S12_S16_S17_S18_S1B_S1C_jS1D_jS1E_S1E_jjS1G_bEUljE0_EEESZ_S10_S11_S18_S1C_S1E_T6_T7_T9_mT8_S1G_bDpT10_ENKUlT_T0_E_clISt17integral_constantIbLb1EES1T_IbLb0EEEEDaS1P_S1Q_EUlS1P_E_NS1_11comp_targetILNS1_3genE3ELNS1_11target_archE908ELNS1_3gpuE7ELNS1_3repE0EEENS1_30default_config_static_selectorELNS0_4arch9wavefront6targetE0EEEvS12_
	.p2align	8
	.type	_ZN7rocprim17ROCPRIM_400000_NS6detail17trampoline_kernelINS0_13select_configILj256ELj13ELNS0_17block_load_methodE3ELS4_3ELS4_3ELNS0_20block_scan_algorithmE0ELj4294967295EEENS1_25partition_config_selectorILNS1_17partition_subalgoE4EjNS0_10empty_typeEbEEZZNS1_14partition_implILS8_4ELb0ES6_15HIP_vector_typeIjLj2EENS0_17counting_iteratorIjlEEPS9_SG_NS0_5tupleIJPjSI_NS0_16reverse_iteratorISI_EEEEENSH_IJSG_SG_SG_EEES9_SI_JZNS1_25segmented_radix_sort_implINS0_14default_configELb0EPKfPfPKlPlN2at6native12_GLOBAL__N_18offset_tEEE10hipError_tPvRmT1_PNSt15iterator_traitsIS12_E10value_typeET2_T3_PNS13_IS18_E10value_typeET4_jRbjT5_S1E_jjP12ihipStream_tbEUljE_ZNSN_ISO_Lb0ESQ_SR_ST_SU_SY_EESZ_S10_S11_S12_S16_S17_S18_S1B_S1C_jS1D_jS1E_S1E_jjS1G_bEUljE0_EEESZ_S10_S11_S18_S1C_S1E_T6_T7_T9_mT8_S1G_bDpT10_ENKUlT_T0_E_clISt17integral_constantIbLb1EES1T_IbLb0EEEEDaS1P_S1Q_EUlS1P_E_NS1_11comp_targetILNS1_3genE3ELNS1_11target_archE908ELNS1_3gpuE7ELNS1_3repE0EEENS1_30default_config_static_selectorELNS0_4arch9wavefront6targetE0EEEvS12_,@function
_ZN7rocprim17ROCPRIM_400000_NS6detail17trampoline_kernelINS0_13select_configILj256ELj13ELNS0_17block_load_methodE3ELS4_3ELS4_3ELNS0_20block_scan_algorithmE0ELj4294967295EEENS1_25partition_config_selectorILNS1_17partition_subalgoE4EjNS0_10empty_typeEbEEZZNS1_14partition_implILS8_4ELb0ES6_15HIP_vector_typeIjLj2EENS0_17counting_iteratorIjlEEPS9_SG_NS0_5tupleIJPjSI_NS0_16reverse_iteratorISI_EEEEENSH_IJSG_SG_SG_EEES9_SI_JZNS1_25segmented_radix_sort_implINS0_14default_configELb0EPKfPfPKlPlN2at6native12_GLOBAL__N_18offset_tEEE10hipError_tPvRmT1_PNSt15iterator_traitsIS12_E10value_typeET2_T3_PNS13_IS18_E10value_typeET4_jRbjT5_S1E_jjP12ihipStream_tbEUljE_ZNSN_ISO_Lb0ESQ_SR_ST_SU_SY_EESZ_S10_S11_S12_S16_S17_S18_S1B_S1C_jS1D_jS1E_S1E_jjS1G_bEUljE0_EEESZ_S10_S11_S18_S1C_S1E_T6_T7_T9_mT8_S1G_bDpT10_ENKUlT_T0_E_clISt17integral_constantIbLb1EES1T_IbLb0EEEEDaS1P_S1Q_EUlS1P_E_NS1_11comp_targetILNS1_3genE3ELNS1_11target_archE908ELNS1_3gpuE7ELNS1_3repE0EEENS1_30default_config_static_selectorELNS0_4arch9wavefront6targetE0EEEvS12_: ; @_ZN7rocprim17ROCPRIM_400000_NS6detail17trampoline_kernelINS0_13select_configILj256ELj13ELNS0_17block_load_methodE3ELS4_3ELS4_3ELNS0_20block_scan_algorithmE0ELj4294967295EEENS1_25partition_config_selectorILNS1_17partition_subalgoE4EjNS0_10empty_typeEbEEZZNS1_14partition_implILS8_4ELb0ES6_15HIP_vector_typeIjLj2EENS0_17counting_iteratorIjlEEPS9_SG_NS0_5tupleIJPjSI_NS0_16reverse_iteratorISI_EEEEENSH_IJSG_SG_SG_EEES9_SI_JZNS1_25segmented_radix_sort_implINS0_14default_configELb0EPKfPfPKlPlN2at6native12_GLOBAL__N_18offset_tEEE10hipError_tPvRmT1_PNSt15iterator_traitsIS12_E10value_typeET2_T3_PNS13_IS18_E10value_typeET4_jRbjT5_S1E_jjP12ihipStream_tbEUljE_ZNSN_ISO_Lb0ESQ_SR_ST_SU_SY_EESZ_S10_S11_S12_S16_S17_S18_S1B_S1C_jS1D_jS1E_S1E_jjS1G_bEUljE0_EEESZ_S10_S11_S18_S1C_S1E_T6_T7_T9_mT8_S1G_bDpT10_ENKUlT_T0_E_clISt17integral_constantIbLb1EES1T_IbLb0EEEEDaS1P_S1Q_EUlS1P_E_NS1_11comp_targetILNS1_3genE3ELNS1_11target_archE908ELNS1_3gpuE7ELNS1_3repE0EEENS1_30default_config_static_selectorELNS0_4arch9wavefront6targetE0EEEvS12_
; %bb.0:
	.section	.rodata,"a",@progbits
	.p2align	6, 0x0
	.amdhsa_kernel _ZN7rocprim17ROCPRIM_400000_NS6detail17trampoline_kernelINS0_13select_configILj256ELj13ELNS0_17block_load_methodE3ELS4_3ELS4_3ELNS0_20block_scan_algorithmE0ELj4294967295EEENS1_25partition_config_selectorILNS1_17partition_subalgoE4EjNS0_10empty_typeEbEEZZNS1_14partition_implILS8_4ELb0ES6_15HIP_vector_typeIjLj2EENS0_17counting_iteratorIjlEEPS9_SG_NS0_5tupleIJPjSI_NS0_16reverse_iteratorISI_EEEEENSH_IJSG_SG_SG_EEES9_SI_JZNS1_25segmented_radix_sort_implINS0_14default_configELb0EPKfPfPKlPlN2at6native12_GLOBAL__N_18offset_tEEE10hipError_tPvRmT1_PNSt15iterator_traitsIS12_E10value_typeET2_T3_PNS13_IS18_E10value_typeET4_jRbjT5_S1E_jjP12ihipStream_tbEUljE_ZNSN_ISO_Lb0ESQ_SR_ST_SU_SY_EESZ_S10_S11_S12_S16_S17_S18_S1B_S1C_jS1D_jS1E_S1E_jjS1G_bEUljE0_EEESZ_S10_S11_S18_S1C_S1E_T6_T7_T9_mT8_S1G_bDpT10_ENKUlT_T0_E_clISt17integral_constantIbLb1EES1T_IbLb0EEEEDaS1P_S1Q_EUlS1P_E_NS1_11comp_targetILNS1_3genE3ELNS1_11target_archE908ELNS1_3gpuE7ELNS1_3repE0EEENS1_30default_config_static_selectorELNS0_4arch9wavefront6targetE0EEEvS12_
		.amdhsa_group_segment_fixed_size 0
		.amdhsa_private_segment_fixed_size 0
		.amdhsa_kernarg_size 176
		.amdhsa_user_sgpr_count 15
		.amdhsa_user_sgpr_dispatch_ptr 0
		.amdhsa_user_sgpr_queue_ptr 0
		.amdhsa_user_sgpr_kernarg_segment_ptr 1
		.amdhsa_user_sgpr_dispatch_id 0
		.amdhsa_user_sgpr_private_segment_size 0
		.amdhsa_wavefront_size32 1
		.amdhsa_uses_dynamic_stack 0
		.amdhsa_enable_private_segment 0
		.amdhsa_system_sgpr_workgroup_id_x 1
		.amdhsa_system_sgpr_workgroup_id_y 0
		.amdhsa_system_sgpr_workgroup_id_z 0
		.amdhsa_system_sgpr_workgroup_info 0
		.amdhsa_system_vgpr_workitem_id 0
		.amdhsa_next_free_vgpr 1
		.amdhsa_next_free_sgpr 1
		.amdhsa_reserve_vcc 0
		.amdhsa_float_round_mode_32 0
		.amdhsa_float_round_mode_16_64 0
		.amdhsa_float_denorm_mode_32 3
		.amdhsa_float_denorm_mode_16_64 3
		.amdhsa_dx10_clamp 1
		.amdhsa_ieee_mode 1
		.amdhsa_fp16_overflow 0
		.amdhsa_workgroup_processor_mode 1
		.amdhsa_memory_ordered 1
		.amdhsa_forward_progress 0
		.amdhsa_shared_vgpr_count 0
		.amdhsa_exception_fp_ieee_invalid_op 0
		.amdhsa_exception_fp_denorm_src 0
		.amdhsa_exception_fp_ieee_div_zero 0
		.amdhsa_exception_fp_ieee_overflow 0
		.amdhsa_exception_fp_ieee_underflow 0
		.amdhsa_exception_fp_ieee_inexact 0
		.amdhsa_exception_int_div_zero 0
	.end_amdhsa_kernel
	.section	.text._ZN7rocprim17ROCPRIM_400000_NS6detail17trampoline_kernelINS0_13select_configILj256ELj13ELNS0_17block_load_methodE3ELS4_3ELS4_3ELNS0_20block_scan_algorithmE0ELj4294967295EEENS1_25partition_config_selectorILNS1_17partition_subalgoE4EjNS0_10empty_typeEbEEZZNS1_14partition_implILS8_4ELb0ES6_15HIP_vector_typeIjLj2EENS0_17counting_iteratorIjlEEPS9_SG_NS0_5tupleIJPjSI_NS0_16reverse_iteratorISI_EEEEENSH_IJSG_SG_SG_EEES9_SI_JZNS1_25segmented_radix_sort_implINS0_14default_configELb0EPKfPfPKlPlN2at6native12_GLOBAL__N_18offset_tEEE10hipError_tPvRmT1_PNSt15iterator_traitsIS12_E10value_typeET2_T3_PNS13_IS18_E10value_typeET4_jRbjT5_S1E_jjP12ihipStream_tbEUljE_ZNSN_ISO_Lb0ESQ_SR_ST_SU_SY_EESZ_S10_S11_S12_S16_S17_S18_S1B_S1C_jS1D_jS1E_S1E_jjS1G_bEUljE0_EEESZ_S10_S11_S18_S1C_S1E_T6_T7_T9_mT8_S1G_bDpT10_ENKUlT_T0_E_clISt17integral_constantIbLb1EES1T_IbLb0EEEEDaS1P_S1Q_EUlS1P_E_NS1_11comp_targetILNS1_3genE3ELNS1_11target_archE908ELNS1_3gpuE7ELNS1_3repE0EEENS1_30default_config_static_selectorELNS0_4arch9wavefront6targetE0EEEvS12_,"axG",@progbits,_ZN7rocprim17ROCPRIM_400000_NS6detail17trampoline_kernelINS0_13select_configILj256ELj13ELNS0_17block_load_methodE3ELS4_3ELS4_3ELNS0_20block_scan_algorithmE0ELj4294967295EEENS1_25partition_config_selectorILNS1_17partition_subalgoE4EjNS0_10empty_typeEbEEZZNS1_14partition_implILS8_4ELb0ES6_15HIP_vector_typeIjLj2EENS0_17counting_iteratorIjlEEPS9_SG_NS0_5tupleIJPjSI_NS0_16reverse_iteratorISI_EEEEENSH_IJSG_SG_SG_EEES9_SI_JZNS1_25segmented_radix_sort_implINS0_14default_configELb0EPKfPfPKlPlN2at6native12_GLOBAL__N_18offset_tEEE10hipError_tPvRmT1_PNSt15iterator_traitsIS12_E10value_typeET2_T3_PNS13_IS18_E10value_typeET4_jRbjT5_S1E_jjP12ihipStream_tbEUljE_ZNSN_ISO_Lb0ESQ_SR_ST_SU_SY_EESZ_S10_S11_S12_S16_S17_S18_S1B_S1C_jS1D_jS1E_S1E_jjS1G_bEUljE0_EEESZ_S10_S11_S18_S1C_S1E_T6_T7_T9_mT8_S1G_bDpT10_ENKUlT_T0_E_clISt17integral_constantIbLb1EES1T_IbLb0EEEEDaS1P_S1Q_EUlS1P_E_NS1_11comp_targetILNS1_3genE3ELNS1_11target_archE908ELNS1_3gpuE7ELNS1_3repE0EEENS1_30default_config_static_selectorELNS0_4arch9wavefront6targetE0EEEvS12_,comdat
.Lfunc_end1383:
	.size	_ZN7rocprim17ROCPRIM_400000_NS6detail17trampoline_kernelINS0_13select_configILj256ELj13ELNS0_17block_load_methodE3ELS4_3ELS4_3ELNS0_20block_scan_algorithmE0ELj4294967295EEENS1_25partition_config_selectorILNS1_17partition_subalgoE4EjNS0_10empty_typeEbEEZZNS1_14partition_implILS8_4ELb0ES6_15HIP_vector_typeIjLj2EENS0_17counting_iteratorIjlEEPS9_SG_NS0_5tupleIJPjSI_NS0_16reverse_iteratorISI_EEEEENSH_IJSG_SG_SG_EEES9_SI_JZNS1_25segmented_radix_sort_implINS0_14default_configELb0EPKfPfPKlPlN2at6native12_GLOBAL__N_18offset_tEEE10hipError_tPvRmT1_PNSt15iterator_traitsIS12_E10value_typeET2_T3_PNS13_IS18_E10value_typeET4_jRbjT5_S1E_jjP12ihipStream_tbEUljE_ZNSN_ISO_Lb0ESQ_SR_ST_SU_SY_EESZ_S10_S11_S12_S16_S17_S18_S1B_S1C_jS1D_jS1E_S1E_jjS1G_bEUljE0_EEESZ_S10_S11_S18_S1C_S1E_T6_T7_T9_mT8_S1G_bDpT10_ENKUlT_T0_E_clISt17integral_constantIbLb1EES1T_IbLb0EEEEDaS1P_S1Q_EUlS1P_E_NS1_11comp_targetILNS1_3genE3ELNS1_11target_archE908ELNS1_3gpuE7ELNS1_3repE0EEENS1_30default_config_static_selectorELNS0_4arch9wavefront6targetE0EEEvS12_, .Lfunc_end1383-_ZN7rocprim17ROCPRIM_400000_NS6detail17trampoline_kernelINS0_13select_configILj256ELj13ELNS0_17block_load_methodE3ELS4_3ELS4_3ELNS0_20block_scan_algorithmE0ELj4294967295EEENS1_25partition_config_selectorILNS1_17partition_subalgoE4EjNS0_10empty_typeEbEEZZNS1_14partition_implILS8_4ELb0ES6_15HIP_vector_typeIjLj2EENS0_17counting_iteratorIjlEEPS9_SG_NS0_5tupleIJPjSI_NS0_16reverse_iteratorISI_EEEEENSH_IJSG_SG_SG_EEES9_SI_JZNS1_25segmented_radix_sort_implINS0_14default_configELb0EPKfPfPKlPlN2at6native12_GLOBAL__N_18offset_tEEE10hipError_tPvRmT1_PNSt15iterator_traitsIS12_E10value_typeET2_T3_PNS13_IS18_E10value_typeET4_jRbjT5_S1E_jjP12ihipStream_tbEUljE_ZNSN_ISO_Lb0ESQ_SR_ST_SU_SY_EESZ_S10_S11_S12_S16_S17_S18_S1B_S1C_jS1D_jS1E_S1E_jjS1G_bEUljE0_EEESZ_S10_S11_S18_S1C_S1E_T6_T7_T9_mT8_S1G_bDpT10_ENKUlT_T0_E_clISt17integral_constantIbLb1EES1T_IbLb0EEEEDaS1P_S1Q_EUlS1P_E_NS1_11comp_targetILNS1_3genE3ELNS1_11target_archE908ELNS1_3gpuE7ELNS1_3repE0EEENS1_30default_config_static_selectorELNS0_4arch9wavefront6targetE0EEEvS12_
                                        ; -- End function
	.section	.AMDGPU.csdata,"",@progbits
; Kernel info:
; codeLenInByte = 0
; NumSgprs: 0
; NumVgprs: 0
; ScratchSize: 0
; MemoryBound: 0
; FloatMode: 240
; IeeeMode: 1
; LDSByteSize: 0 bytes/workgroup (compile time only)
; SGPRBlocks: 0
; VGPRBlocks: 0
; NumSGPRsForWavesPerEU: 1
; NumVGPRsForWavesPerEU: 1
; Occupancy: 16
; WaveLimiterHint : 0
; COMPUTE_PGM_RSRC2:SCRATCH_EN: 0
; COMPUTE_PGM_RSRC2:USER_SGPR: 15
; COMPUTE_PGM_RSRC2:TRAP_HANDLER: 0
; COMPUTE_PGM_RSRC2:TGID_X_EN: 1
; COMPUTE_PGM_RSRC2:TGID_Y_EN: 0
; COMPUTE_PGM_RSRC2:TGID_Z_EN: 0
; COMPUTE_PGM_RSRC2:TIDIG_COMP_CNT: 0
	.section	.text._ZN7rocprim17ROCPRIM_400000_NS6detail17trampoline_kernelINS0_13select_configILj256ELj13ELNS0_17block_load_methodE3ELS4_3ELS4_3ELNS0_20block_scan_algorithmE0ELj4294967295EEENS1_25partition_config_selectorILNS1_17partition_subalgoE4EjNS0_10empty_typeEbEEZZNS1_14partition_implILS8_4ELb0ES6_15HIP_vector_typeIjLj2EENS0_17counting_iteratorIjlEEPS9_SG_NS0_5tupleIJPjSI_NS0_16reverse_iteratorISI_EEEEENSH_IJSG_SG_SG_EEES9_SI_JZNS1_25segmented_radix_sort_implINS0_14default_configELb0EPKfPfPKlPlN2at6native12_GLOBAL__N_18offset_tEEE10hipError_tPvRmT1_PNSt15iterator_traitsIS12_E10value_typeET2_T3_PNS13_IS18_E10value_typeET4_jRbjT5_S1E_jjP12ihipStream_tbEUljE_ZNSN_ISO_Lb0ESQ_SR_ST_SU_SY_EESZ_S10_S11_S12_S16_S17_S18_S1B_S1C_jS1D_jS1E_S1E_jjS1G_bEUljE0_EEESZ_S10_S11_S18_S1C_S1E_T6_T7_T9_mT8_S1G_bDpT10_ENKUlT_T0_E_clISt17integral_constantIbLb1EES1T_IbLb0EEEEDaS1P_S1Q_EUlS1P_E_NS1_11comp_targetILNS1_3genE2ELNS1_11target_archE906ELNS1_3gpuE6ELNS1_3repE0EEENS1_30default_config_static_selectorELNS0_4arch9wavefront6targetE0EEEvS12_,"axG",@progbits,_ZN7rocprim17ROCPRIM_400000_NS6detail17trampoline_kernelINS0_13select_configILj256ELj13ELNS0_17block_load_methodE3ELS4_3ELS4_3ELNS0_20block_scan_algorithmE0ELj4294967295EEENS1_25partition_config_selectorILNS1_17partition_subalgoE4EjNS0_10empty_typeEbEEZZNS1_14partition_implILS8_4ELb0ES6_15HIP_vector_typeIjLj2EENS0_17counting_iteratorIjlEEPS9_SG_NS0_5tupleIJPjSI_NS0_16reverse_iteratorISI_EEEEENSH_IJSG_SG_SG_EEES9_SI_JZNS1_25segmented_radix_sort_implINS0_14default_configELb0EPKfPfPKlPlN2at6native12_GLOBAL__N_18offset_tEEE10hipError_tPvRmT1_PNSt15iterator_traitsIS12_E10value_typeET2_T3_PNS13_IS18_E10value_typeET4_jRbjT5_S1E_jjP12ihipStream_tbEUljE_ZNSN_ISO_Lb0ESQ_SR_ST_SU_SY_EESZ_S10_S11_S12_S16_S17_S18_S1B_S1C_jS1D_jS1E_S1E_jjS1G_bEUljE0_EEESZ_S10_S11_S18_S1C_S1E_T6_T7_T9_mT8_S1G_bDpT10_ENKUlT_T0_E_clISt17integral_constantIbLb1EES1T_IbLb0EEEEDaS1P_S1Q_EUlS1P_E_NS1_11comp_targetILNS1_3genE2ELNS1_11target_archE906ELNS1_3gpuE6ELNS1_3repE0EEENS1_30default_config_static_selectorELNS0_4arch9wavefront6targetE0EEEvS12_,comdat
	.globl	_ZN7rocprim17ROCPRIM_400000_NS6detail17trampoline_kernelINS0_13select_configILj256ELj13ELNS0_17block_load_methodE3ELS4_3ELS4_3ELNS0_20block_scan_algorithmE0ELj4294967295EEENS1_25partition_config_selectorILNS1_17partition_subalgoE4EjNS0_10empty_typeEbEEZZNS1_14partition_implILS8_4ELb0ES6_15HIP_vector_typeIjLj2EENS0_17counting_iteratorIjlEEPS9_SG_NS0_5tupleIJPjSI_NS0_16reverse_iteratorISI_EEEEENSH_IJSG_SG_SG_EEES9_SI_JZNS1_25segmented_radix_sort_implINS0_14default_configELb0EPKfPfPKlPlN2at6native12_GLOBAL__N_18offset_tEEE10hipError_tPvRmT1_PNSt15iterator_traitsIS12_E10value_typeET2_T3_PNS13_IS18_E10value_typeET4_jRbjT5_S1E_jjP12ihipStream_tbEUljE_ZNSN_ISO_Lb0ESQ_SR_ST_SU_SY_EESZ_S10_S11_S12_S16_S17_S18_S1B_S1C_jS1D_jS1E_S1E_jjS1G_bEUljE0_EEESZ_S10_S11_S18_S1C_S1E_T6_T7_T9_mT8_S1G_bDpT10_ENKUlT_T0_E_clISt17integral_constantIbLb1EES1T_IbLb0EEEEDaS1P_S1Q_EUlS1P_E_NS1_11comp_targetILNS1_3genE2ELNS1_11target_archE906ELNS1_3gpuE6ELNS1_3repE0EEENS1_30default_config_static_selectorELNS0_4arch9wavefront6targetE0EEEvS12_ ; -- Begin function _ZN7rocprim17ROCPRIM_400000_NS6detail17trampoline_kernelINS0_13select_configILj256ELj13ELNS0_17block_load_methodE3ELS4_3ELS4_3ELNS0_20block_scan_algorithmE0ELj4294967295EEENS1_25partition_config_selectorILNS1_17partition_subalgoE4EjNS0_10empty_typeEbEEZZNS1_14partition_implILS8_4ELb0ES6_15HIP_vector_typeIjLj2EENS0_17counting_iteratorIjlEEPS9_SG_NS0_5tupleIJPjSI_NS0_16reverse_iteratorISI_EEEEENSH_IJSG_SG_SG_EEES9_SI_JZNS1_25segmented_radix_sort_implINS0_14default_configELb0EPKfPfPKlPlN2at6native12_GLOBAL__N_18offset_tEEE10hipError_tPvRmT1_PNSt15iterator_traitsIS12_E10value_typeET2_T3_PNS13_IS18_E10value_typeET4_jRbjT5_S1E_jjP12ihipStream_tbEUljE_ZNSN_ISO_Lb0ESQ_SR_ST_SU_SY_EESZ_S10_S11_S12_S16_S17_S18_S1B_S1C_jS1D_jS1E_S1E_jjS1G_bEUljE0_EEESZ_S10_S11_S18_S1C_S1E_T6_T7_T9_mT8_S1G_bDpT10_ENKUlT_T0_E_clISt17integral_constantIbLb1EES1T_IbLb0EEEEDaS1P_S1Q_EUlS1P_E_NS1_11comp_targetILNS1_3genE2ELNS1_11target_archE906ELNS1_3gpuE6ELNS1_3repE0EEENS1_30default_config_static_selectorELNS0_4arch9wavefront6targetE0EEEvS12_
	.p2align	8
	.type	_ZN7rocprim17ROCPRIM_400000_NS6detail17trampoline_kernelINS0_13select_configILj256ELj13ELNS0_17block_load_methodE3ELS4_3ELS4_3ELNS0_20block_scan_algorithmE0ELj4294967295EEENS1_25partition_config_selectorILNS1_17partition_subalgoE4EjNS0_10empty_typeEbEEZZNS1_14partition_implILS8_4ELb0ES6_15HIP_vector_typeIjLj2EENS0_17counting_iteratorIjlEEPS9_SG_NS0_5tupleIJPjSI_NS0_16reverse_iteratorISI_EEEEENSH_IJSG_SG_SG_EEES9_SI_JZNS1_25segmented_radix_sort_implINS0_14default_configELb0EPKfPfPKlPlN2at6native12_GLOBAL__N_18offset_tEEE10hipError_tPvRmT1_PNSt15iterator_traitsIS12_E10value_typeET2_T3_PNS13_IS18_E10value_typeET4_jRbjT5_S1E_jjP12ihipStream_tbEUljE_ZNSN_ISO_Lb0ESQ_SR_ST_SU_SY_EESZ_S10_S11_S12_S16_S17_S18_S1B_S1C_jS1D_jS1E_S1E_jjS1G_bEUljE0_EEESZ_S10_S11_S18_S1C_S1E_T6_T7_T9_mT8_S1G_bDpT10_ENKUlT_T0_E_clISt17integral_constantIbLb1EES1T_IbLb0EEEEDaS1P_S1Q_EUlS1P_E_NS1_11comp_targetILNS1_3genE2ELNS1_11target_archE906ELNS1_3gpuE6ELNS1_3repE0EEENS1_30default_config_static_selectorELNS0_4arch9wavefront6targetE0EEEvS12_,@function
_ZN7rocprim17ROCPRIM_400000_NS6detail17trampoline_kernelINS0_13select_configILj256ELj13ELNS0_17block_load_methodE3ELS4_3ELS4_3ELNS0_20block_scan_algorithmE0ELj4294967295EEENS1_25partition_config_selectorILNS1_17partition_subalgoE4EjNS0_10empty_typeEbEEZZNS1_14partition_implILS8_4ELb0ES6_15HIP_vector_typeIjLj2EENS0_17counting_iteratorIjlEEPS9_SG_NS0_5tupleIJPjSI_NS0_16reverse_iteratorISI_EEEEENSH_IJSG_SG_SG_EEES9_SI_JZNS1_25segmented_radix_sort_implINS0_14default_configELb0EPKfPfPKlPlN2at6native12_GLOBAL__N_18offset_tEEE10hipError_tPvRmT1_PNSt15iterator_traitsIS12_E10value_typeET2_T3_PNS13_IS18_E10value_typeET4_jRbjT5_S1E_jjP12ihipStream_tbEUljE_ZNSN_ISO_Lb0ESQ_SR_ST_SU_SY_EESZ_S10_S11_S12_S16_S17_S18_S1B_S1C_jS1D_jS1E_S1E_jjS1G_bEUljE0_EEESZ_S10_S11_S18_S1C_S1E_T6_T7_T9_mT8_S1G_bDpT10_ENKUlT_T0_E_clISt17integral_constantIbLb1EES1T_IbLb0EEEEDaS1P_S1Q_EUlS1P_E_NS1_11comp_targetILNS1_3genE2ELNS1_11target_archE906ELNS1_3gpuE6ELNS1_3repE0EEENS1_30default_config_static_selectorELNS0_4arch9wavefront6targetE0EEEvS12_: ; @_ZN7rocprim17ROCPRIM_400000_NS6detail17trampoline_kernelINS0_13select_configILj256ELj13ELNS0_17block_load_methodE3ELS4_3ELS4_3ELNS0_20block_scan_algorithmE0ELj4294967295EEENS1_25partition_config_selectorILNS1_17partition_subalgoE4EjNS0_10empty_typeEbEEZZNS1_14partition_implILS8_4ELb0ES6_15HIP_vector_typeIjLj2EENS0_17counting_iteratorIjlEEPS9_SG_NS0_5tupleIJPjSI_NS0_16reverse_iteratorISI_EEEEENSH_IJSG_SG_SG_EEES9_SI_JZNS1_25segmented_radix_sort_implINS0_14default_configELb0EPKfPfPKlPlN2at6native12_GLOBAL__N_18offset_tEEE10hipError_tPvRmT1_PNSt15iterator_traitsIS12_E10value_typeET2_T3_PNS13_IS18_E10value_typeET4_jRbjT5_S1E_jjP12ihipStream_tbEUljE_ZNSN_ISO_Lb0ESQ_SR_ST_SU_SY_EESZ_S10_S11_S12_S16_S17_S18_S1B_S1C_jS1D_jS1E_S1E_jjS1G_bEUljE0_EEESZ_S10_S11_S18_S1C_S1E_T6_T7_T9_mT8_S1G_bDpT10_ENKUlT_T0_E_clISt17integral_constantIbLb1EES1T_IbLb0EEEEDaS1P_S1Q_EUlS1P_E_NS1_11comp_targetILNS1_3genE2ELNS1_11target_archE906ELNS1_3gpuE6ELNS1_3repE0EEENS1_30default_config_static_selectorELNS0_4arch9wavefront6targetE0EEEvS12_
; %bb.0:
	.section	.rodata,"a",@progbits
	.p2align	6, 0x0
	.amdhsa_kernel _ZN7rocprim17ROCPRIM_400000_NS6detail17trampoline_kernelINS0_13select_configILj256ELj13ELNS0_17block_load_methodE3ELS4_3ELS4_3ELNS0_20block_scan_algorithmE0ELj4294967295EEENS1_25partition_config_selectorILNS1_17partition_subalgoE4EjNS0_10empty_typeEbEEZZNS1_14partition_implILS8_4ELb0ES6_15HIP_vector_typeIjLj2EENS0_17counting_iteratorIjlEEPS9_SG_NS0_5tupleIJPjSI_NS0_16reverse_iteratorISI_EEEEENSH_IJSG_SG_SG_EEES9_SI_JZNS1_25segmented_radix_sort_implINS0_14default_configELb0EPKfPfPKlPlN2at6native12_GLOBAL__N_18offset_tEEE10hipError_tPvRmT1_PNSt15iterator_traitsIS12_E10value_typeET2_T3_PNS13_IS18_E10value_typeET4_jRbjT5_S1E_jjP12ihipStream_tbEUljE_ZNSN_ISO_Lb0ESQ_SR_ST_SU_SY_EESZ_S10_S11_S12_S16_S17_S18_S1B_S1C_jS1D_jS1E_S1E_jjS1G_bEUljE0_EEESZ_S10_S11_S18_S1C_S1E_T6_T7_T9_mT8_S1G_bDpT10_ENKUlT_T0_E_clISt17integral_constantIbLb1EES1T_IbLb0EEEEDaS1P_S1Q_EUlS1P_E_NS1_11comp_targetILNS1_3genE2ELNS1_11target_archE906ELNS1_3gpuE6ELNS1_3repE0EEENS1_30default_config_static_selectorELNS0_4arch9wavefront6targetE0EEEvS12_
		.amdhsa_group_segment_fixed_size 0
		.amdhsa_private_segment_fixed_size 0
		.amdhsa_kernarg_size 176
		.amdhsa_user_sgpr_count 15
		.amdhsa_user_sgpr_dispatch_ptr 0
		.amdhsa_user_sgpr_queue_ptr 0
		.amdhsa_user_sgpr_kernarg_segment_ptr 1
		.amdhsa_user_sgpr_dispatch_id 0
		.amdhsa_user_sgpr_private_segment_size 0
		.amdhsa_wavefront_size32 1
		.amdhsa_uses_dynamic_stack 0
		.amdhsa_enable_private_segment 0
		.amdhsa_system_sgpr_workgroup_id_x 1
		.amdhsa_system_sgpr_workgroup_id_y 0
		.amdhsa_system_sgpr_workgroup_id_z 0
		.amdhsa_system_sgpr_workgroup_info 0
		.amdhsa_system_vgpr_workitem_id 0
		.amdhsa_next_free_vgpr 1
		.amdhsa_next_free_sgpr 1
		.amdhsa_reserve_vcc 0
		.amdhsa_float_round_mode_32 0
		.amdhsa_float_round_mode_16_64 0
		.amdhsa_float_denorm_mode_32 3
		.amdhsa_float_denorm_mode_16_64 3
		.amdhsa_dx10_clamp 1
		.amdhsa_ieee_mode 1
		.amdhsa_fp16_overflow 0
		.amdhsa_workgroup_processor_mode 1
		.amdhsa_memory_ordered 1
		.amdhsa_forward_progress 0
		.amdhsa_shared_vgpr_count 0
		.amdhsa_exception_fp_ieee_invalid_op 0
		.amdhsa_exception_fp_denorm_src 0
		.amdhsa_exception_fp_ieee_div_zero 0
		.amdhsa_exception_fp_ieee_overflow 0
		.amdhsa_exception_fp_ieee_underflow 0
		.amdhsa_exception_fp_ieee_inexact 0
		.amdhsa_exception_int_div_zero 0
	.end_amdhsa_kernel
	.section	.text._ZN7rocprim17ROCPRIM_400000_NS6detail17trampoline_kernelINS0_13select_configILj256ELj13ELNS0_17block_load_methodE3ELS4_3ELS4_3ELNS0_20block_scan_algorithmE0ELj4294967295EEENS1_25partition_config_selectorILNS1_17partition_subalgoE4EjNS0_10empty_typeEbEEZZNS1_14partition_implILS8_4ELb0ES6_15HIP_vector_typeIjLj2EENS0_17counting_iteratorIjlEEPS9_SG_NS0_5tupleIJPjSI_NS0_16reverse_iteratorISI_EEEEENSH_IJSG_SG_SG_EEES9_SI_JZNS1_25segmented_radix_sort_implINS0_14default_configELb0EPKfPfPKlPlN2at6native12_GLOBAL__N_18offset_tEEE10hipError_tPvRmT1_PNSt15iterator_traitsIS12_E10value_typeET2_T3_PNS13_IS18_E10value_typeET4_jRbjT5_S1E_jjP12ihipStream_tbEUljE_ZNSN_ISO_Lb0ESQ_SR_ST_SU_SY_EESZ_S10_S11_S12_S16_S17_S18_S1B_S1C_jS1D_jS1E_S1E_jjS1G_bEUljE0_EEESZ_S10_S11_S18_S1C_S1E_T6_T7_T9_mT8_S1G_bDpT10_ENKUlT_T0_E_clISt17integral_constantIbLb1EES1T_IbLb0EEEEDaS1P_S1Q_EUlS1P_E_NS1_11comp_targetILNS1_3genE2ELNS1_11target_archE906ELNS1_3gpuE6ELNS1_3repE0EEENS1_30default_config_static_selectorELNS0_4arch9wavefront6targetE0EEEvS12_,"axG",@progbits,_ZN7rocprim17ROCPRIM_400000_NS6detail17trampoline_kernelINS0_13select_configILj256ELj13ELNS0_17block_load_methodE3ELS4_3ELS4_3ELNS0_20block_scan_algorithmE0ELj4294967295EEENS1_25partition_config_selectorILNS1_17partition_subalgoE4EjNS0_10empty_typeEbEEZZNS1_14partition_implILS8_4ELb0ES6_15HIP_vector_typeIjLj2EENS0_17counting_iteratorIjlEEPS9_SG_NS0_5tupleIJPjSI_NS0_16reverse_iteratorISI_EEEEENSH_IJSG_SG_SG_EEES9_SI_JZNS1_25segmented_radix_sort_implINS0_14default_configELb0EPKfPfPKlPlN2at6native12_GLOBAL__N_18offset_tEEE10hipError_tPvRmT1_PNSt15iterator_traitsIS12_E10value_typeET2_T3_PNS13_IS18_E10value_typeET4_jRbjT5_S1E_jjP12ihipStream_tbEUljE_ZNSN_ISO_Lb0ESQ_SR_ST_SU_SY_EESZ_S10_S11_S12_S16_S17_S18_S1B_S1C_jS1D_jS1E_S1E_jjS1G_bEUljE0_EEESZ_S10_S11_S18_S1C_S1E_T6_T7_T9_mT8_S1G_bDpT10_ENKUlT_T0_E_clISt17integral_constantIbLb1EES1T_IbLb0EEEEDaS1P_S1Q_EUlS1P_E_NS1_11comp_targetILNS1_3genE2ELNS1_11target_archE906ELNS1_3gpuE6ELNS1_3repE0EEENS1_30default_config_static_selectorELNS0_4arch9wavefront6targetE0EEEvS12_,comdat
.Lfunc_end1384:
	.size	_ZN7rocprim17ROCPRIM_400000_NS6detail17trampoline_kernelINS0_13select_configILj256ELj13ELNS0_17block_load_methodE3ELS4_3ELS4_3ELNS0_20block_scan_algorithmE0ELj4294967295EEENS1_25partition_config_selectorILNS1_17partition_subalgoE4EjNS0_10empty_typeEbEEZZNS1_14partition_implILS8_4ELb0ES6_15HIP_vector_typeIjLj2EENS0_17counting_iteratorIjlEEPS9_SG_NS0_5tupleIJPjSI_NS0_16reverse_iteratorISI_EEEEENSH_IJSG_SG_SG_EEES9_SI_JZNS1_25segmented_radix_sort_implINS0_14default_configELb0EPKfPfPKlPlN2at6native12_GLOBAL__N_18offset_tEEE10hipError_tPvRmT1_PNSt15iterator_traitsIS12_E10value_typeET2_T3_PNS13_IS18_E10value_typeET4_jRbjT5_S1E_jjP12ihipStream_tbEUljE_ZNSN_ISO_Lb0ESQ_SR_ST_SU_SY_EESZ_S10_S11_S12_S16_S17_S18_S1B_S1C_jS1D_jS1E_S1E_jjS1G_bEUljE0_EEESZ_S10_S11_S18_S1C_S1E_T6_T7_T9_mT8_S1G_bDpT10_ENKUlT_T0_E_clISt17integral_constantIbLb1EES1T_IbLb0EEEEDaS1P_S1Q_EUlS1P_E_NS1_11comp_targetILNS1_3genE2ELNS1_11target_archE906ELNS1_3gpuE6ELNS1_3repE0EEENS1_30default_config_static_selectorELNS0_4arch9wavefront6targetE0EEEvS12_, .Lfunc_end1384-_ZN7rocprim17ROCPRIM_400000_NS6detail17trampoline_kernelINS0_13select_configILj256ELj13ELNS0_17block_load_methodE3ELS4_3ELS4_3ELNS0_20block_scan_algorithmE0ELj4294967295EEENS1_25partition_config_selectorILNS1_17partition_subalgoE4EjNS0_10empty_typeEbEEZZNS1_14partition_implILS8_4ELb0ES6_15HIP_vector_typeIjLj2EENS0_17counting_iteratorIjlEEPS9_SG_NS0_5tupleIJPjSI_NS0_16reverse_iteratorISI_EEEEENSH_IJSG_SG_SG_EEES9_SI_JZNS1_25segmented_radix_sort_implINS0_14default_configELb0EPKfPfPKlPlN2at6native12_GLOBAL__N_18offset_tEEE10hipError_tPvRmT1_PNSt15iterator_traitsIS12_E10value_typeET2_T3_PNS13_IS18_E10value_typeET4_jRbjT5_S1E_jjP12ihipStream_tbEUljE_ZNSN_ISO_Lb0ESQ_SR_ST_SU_SY_EESZ_S10_S11_S12_S16_S17_S18_S1B_S1C_jS1D_jS1E_S1E_jjS1G_bEUljE0_EEESZ_S10_S11_S18_S1C_S1E_T6_T7_T9_mT8_S1G_bDpT10_ENKUlT_T0_E_clISt17integral_constantIbLb1EES1T_IbLb0EEEEDaS1P_S1Q_EUlS1P_E_NS1_11comp_targetILNS1_3genE2ELNS1_11target_archE906ELNS1_3gpuE6ELNS1_3repE0EEENS1_30default_config_static_selectorELNS0_4arch9wavefront6targetE0EEEvS12_
                                        ; -- End function
	.section	.AMDGPU.csdata,"",@progbits
; Kernel info:
; codeLenInByte = 0
; NumSgprs: 0
; NumVgprs: 0
; ScratchSize: 0
; MemoryBound: 0
; FloatMode: 240
; IeeeMode: 1
; LDSByteSize: 0 bytes/workgroup (compile time only)
; SGPRBlocks: 0
; VGPRBlocks: 0
; NumSGPRsForWavesPerEU: 1
; NumVGPRsForWavesPerEU: 1
; Occupancy: 16
; WaveLimiterHint : 0
; COMPUTE_PGM_RSRC2:SCRATCH_EN: 0
; COMPUTE_PGM_RSRC2:USER_SGPR: 15
; COMPUTE_PGM_RSRC2:TRAP_HANDLER: 0
; COMPUTE_PGM_RSRC2:TGID_X_EN: 1
; COMPUTE_PGM_RSRC2:TGID_Y_EN: 0
; COMPUTE_PGM_RSRC2:TGID_Z_EN: 0
; COMPUTE_PGM_RSRC2:TIDIG_COMP_CNT: 0
	.section	.text._ZN7rocprim17ROCPRIM_400000_NS6detail17trampoline_kernelINS0_13select_configILj256ELj13ELNS0_17block_load_methodE3ELS4_3ELS4_3ELNS0_20block_scan_algorithmE0ELj4294967295EEENS1_25partition_config_selectorILNS1_17partition_subalgoE4EjNS0_10empty_typeEbEEZZNS1_14partition_implILS8_4ELb0ES6_15HIP_vector_typeIjLj2EENS0_17counting_iteratorIjlEEPS9_SG_NS0_5tupleIJPjSI_NS0_16reverse_iteratorISI_EEEEENSH_IJSG_SG_SG_EEES9_SI_JZNS1_25segmented_radix_sort_implINS0_14default_configELb0EPKfPfPKlPlN2at6native12_GLOBAL__N_18offset_tEEE10hipError_tPvRmT1_PNSt15iterator_traitsIS12_E10value_typeET2_T3_PNS13_IS18_E10value_typeET4_jRbjT5_S1E_jjP12ihipStream_tbEUljE_ZNSN_ISO_Lb0ESQ_SR_ST_SU_SY_EESZ_S10_S11_S12_S16_S17_S18_S1B_S1C_jS1D_jS1E_S1E_jjS1G_bEUljE0_EEESZ_S10_S11_S18_S1C_S1E_T6_T7_T9_mT8_S1G_bDpT10_ENKUlT_T0_E_clISt17integral_constantIbLb1EES1T_IbLb0EEEEDaS1P_S1Q_EUlS1P_E_NS1_11comp_targetILNS1_3genE10ELNS1_11target_archE1200ELNS1_3gpuE4ELNS1_3repE0EEENS1_30default_config_static_selectorELNS0_4arch9wavefront6targetE0EEEvS12_,"axG",@progbits,_ZN7rocprim17ROCPRIM_400000_NS6detail17trampoline_kernelINS0_13select_configILj256ELj13ELNS0_17block_load_methodE3ELS4_3ELS4_3ELNS0_20block_scan_algorithmE0ELj4294967295EEENS1_25partition_config_selectorILNS1_17partition_subalgoE4EjNS0_10empty_typeEbEEZZNS1_14partition_implILS8_4ELb0ES6_15HIP_vector_typeIjLj2EENS0_17counting_iteratorIjlEEPS9_SG_NS0_5tupleIJPjSI_NS0_16reverse_iteratorISI_EEEEENSH_IJSG_SG_SG_EEES9_SI_JZNS1_25segmented_radix_sort_implINS0_14default_configELb0EPKfPfPKlPlN2at6native12_GLOBAL__N_18offset_tEEE10hipError_tPvRmT1_PNSt15iterator_traitsIS12_E10value_typeET2_T3_PNS13_IS18_E10value_typeET4_jRbjT5_S1E_jjP12ihipStream_tbEUljE_ZNSN_ISO_Lb0ESQ_SR_ST_SU_SY_EESZ_S10_S11_S12_S16_S17_S18_S1B_S1C_jS1D_jS1E_S1E_jjS1G_bEUljE0_EEESZ_S10_S11_S18_S1C_S1E_T6_T7_T9_mT8_S1G_bDpT10_ENKUlT_T0_E_clISt17integral_constantIbLb1EES1T_IbLb0EEEEDaS1P_S1Q_EUlS1P_E_NS1_11comp_targetILNS1_3genE10ELNS1_11target_archE1200ELNS1_3gpuE4ELNS1_3repE0EEENS1_30default_config_static_selectorELNS0_4arch9wavefront6targetE0EEEvS12_,comdat
	.globl	_ZN7rocprim17ROCPRIM_400000_NS6detail17trampoline_kernelINS0_13select_configILj256ELj13ELNS0_17block_load_methodE3ELS4_3ELS4_3ELNS0_20block_scan_algorithmE0ELj4294967295EEENS1_25partition_config_selectorILNS1_17partition_subalgoE4EjNS0_10empty_typeEbEEZZNS1_14partition_implILS8_4ELb0ES6_15HIP_vector_typeIjLj2EENS0_17counting_iteratorIjlEEPS9_SG_NS0_5tupleIJPjSI_NS0_16reverse_iteratorISI_EEEEENSH_IJSG_SG_SG_EEES9_SI_JZNS1_25segmented_radix_sort_implINS0_14default_configELb0EPKfPfPKlPlN2at6native12_GLOBAL__N_18offset_tEEE10hipError_tPvRmT1_PNSt15iterator_traitsIS12_E10value_typeET2_T3_PNS13_IS18_E10value_typeET4_jRbjT5_S1E_jjP12ihipStream_tbEUljE_ZNSN_ISO_Lb0ESQ_SR_ST_SU_SY_EESZ_S10_S11_S12_S16_S17_S18_S1B_S1C_jS1D_jS1E_S1E_jjS1G_bEUljE0_EEESZ_S10_S11_S18_S1C_S1E_T6_T7_T9_mT8_S1G_bDpT10_ENKUlT_T0_E_clISt17integral_constantIbLb1EES1T_IbLb0EEEEDaS1P_S1Q_EUlS1P_E_NS1_11comp_targetILNS1_3genE10ELNS1_11target_archE1200ELNS1_3gpuE4ELNS1_3repE0EEENS1_30default_config_static_selectorELNS0_4arch9wavefront6targetE0EEEvS12_ ; -- Begin function _ZN7rocprim17ROCPRIM_400000_NS6detail17trampoline_kernelINS0_13select_configILj256ELj13ELNS0_17block_load_methodE3ELS4_3ELS4_3ELNS0_20block_scan_algorithmE0ELj4294967295EEENS1_25partition_config_selectorILNS1_17partition_subalgoE4EjNS0_10empty_typeEbEEZZNS1_14partition_implILS8_4ELb0ES6_15HIP_vector_typeIjLj2EENS0_17counting_iteratorIjlEEPS9_SG_NS0_5tupleIJPjSI_NS0_16reverse_iteratorISI_EEEEENSH_IJSG_SG_SG_EEES9_SI_JZNS1_25segmented_radix_sort_implINS0_14default_configELb0EPKfPfPKlPlN2at6native12_GLOBAL__N_18offset_tEEE10hipError_tPvRmT1_PNSt15iterator_traitsIS12_E10value_typeET2_T3_PNS13_IS18_E10value_typeET4_jRbjT5_S1E_jjP12ihipStream_tbEUljE_ZNSN_ISO_Lb0ESQ_SR_ST_SU_SY_EESZ_S10_S11_S12_S16_S17_S18_S1B_S1C_jS1D_jS1E_S1E_jjS1G_bEUljE0_EEESZ_S10_S11_S18_S1C_S1E_T6_T7_T9_mT8_S1G_bDpT10_ENKUlT_T0_E_clISt17integral_constantIbLb1EES1T_IbLb0EEEEDaS1P_S1Q_EUlS1P_E_NS1_11comp_targetILNS1_3genE10ELNS1_11target_archE1200ELNS1_3gpuE4ELNS1_3repE0EEENS1_30default_config_static_selectorELNS0_4arch9wavefront6targetE0EEEvS12_
	.p2align	8
	.type	_ZN7rocprim17ROCPRIM_400000_NS6detail17trampoline_kernelINS0_13select_configILj256ELj13ELNS0_17block_load_methodE3ELS4_3ELS4_3ELNS0_20block_scan_algorithmE0ELj4294967295EEENS1_25partition_config_selectorILNS1_17partition_subalgoE4EjNS0_10empty_typeEbEEZZNS1_14partition_implILS8_4ELb0ES6_15HIP_vector_typeIjLj2EENS0_17counting_iteratorIjlEEPS9_SG_NS0_5tupleIJPjSI_NS0_16reverse_iteratorISI_EEEEENSH_IJSG_SG_SG_EEES9_SI_JZNS1_25segmented_radix_sort_implINS0_14default_configELb0EPKfPfPKlPlN2at6native12_GLOBAL__N_18offset_tEEE10hipError_tPvRmT1_PNSt15iterator_traitsIS12_E10value_typeET2_T3_PNS13_IS18_E10value_typeET4_jRbjT5_S1E_jjP12ihipStream_tbEUljE_ZNSN_ISO_Lb0ESQ_SR_ST_SU_SY_EESZ_S10_S11_S12_S16_S17_S18_S1B_S1C_jS1D_jS1E_S1E_jjS1G_bEUljE0_EEESZ_S10_S11_S18_S1C_S1E_T6_T7_T9_mT8_S1G_bDpT10_ENKUlT_T0_E_clISt17integral_constantIbLb1EES1T_IbLb0EEEEDaS1P_S1Q_EUlS1P_E_NS1_11comp_targetILNS1_3genE10ELNS1_11target_archE1200ELNS1_3gpuE4ELNS1_3repE0EEENS1_30default_config_static_selectorELNS0_4arch9wavefront6targetE0EEEvS12_,@function
_ZN7rocprim17ROCPRIM_400000_NS6detail17trampoline_kernelINS0_13select_configILj256ELj13ELNS0_17block_load_methodE3ELS4_3ELS4_3ELNS0_20block_scan_algorithmE0ELj4294967295EEENS1_25partition_config_selectorILNS1_17partition_subalgoE4EjNS0_10empty_typeEbEEZZNS1_14partition_implILS8_4ELb0ES6_15HIP_vector_typeIjLj2EENS0_17counting_iteratorIjlEEPS9_SG_NS0_5tupleIJPjSI_NS0_16reverse_iteratorISI_EEEEENSH_IJSG_SG_SG_EEES9_SI_JZNS1_25segmented_radix_sort_implINS0_14default_configELb0EPKfPfPKlPlN2at6native12_GLOBAL__N_18offset_tEEE10hipError_tPvRmT1_PNSt15iterator_traitsIS12_E10value_typeET2_T3_PNS13_IS18_E10value_typeET4_jRbjT5_S1E_jjP12ihipStream_tbEUljE_ZNSN_ISO_Lb0ESQ_SR_ST_SU_SY_EESZ_S10_S11_S12_S16_S17_S18_S1B_S1C_jS1D_jS1E_S1E_jjS1G_bEUljE0_EEESZ_S10_S11_S18_S1C_S1E_T6_T7_T9_mT8_S1G_bDpT10_ENKUlT_T0_E_clISt17integral_constantIbLb1EES1T_IbLb0EEEEDaS1P_S1Q_EUlS1P_E_NS1_11comp_targetILNS1_3genE10ELNS1_11target_archE1200ELNS1_3gpuE4ELNS1_3repE0EEENS1_30default_config_static_selectorELNS0_4arch9wavefront6targetE0EEEvS12_: ; @_ZN7rocprim17ROCPRIM_400000_NS6detail17trampoline_kernelINS0_13select_configILj256ELj13ELNS0_17block_load_methodE3ELS4_3ELS4_3ELNS0_20block_scan_algorithmE0ELj4294967295EEENS1_25partition_config_selectorILNS1_17partition_subalgoE4EjNS0_10empty_typeEbEEZZNS1_14partition_implILS8_4ELb0ES6_15HIP_vector_typeIjLj2EENS0_17counting_iteratorIjlEEPS9_SG_NS0_5tupleIJPjSI_NS0_16reverse_iteratorISI_EEEEENSH_IJSG_SG_SG_EEES9_SI_JZNS1_25segmented_radix_sort_implINS0_14default_configELb0EPKfPfPKlPlN2at6native12_GLOBAL__N_18offset_tEEE10hipError_tPvRmT1_PNSt15iterator_traitsIS12_E10value_typeET2_T3_PNS13_IS18_E10value_typeET4_jRbjT5_S1E_jjP12ihipStream_tbEUljE_ZNSN_ISO_Lb0ESQ_SR_ST_SU_SY_EESZ_S10_S11_S12_S16_S17_S18_S1B_S1C_jS1D_jS1E_S1E_jjS1G_bEUljE0_EEESZ_S10_S11_S18_S1C_S1E_T6_T7_T9_mT8_S1G_bDpT10_ENKUlT_T0_E_clISt17integral_constantIbLb1EES1T_IbLb0EEEEDaS1P_S1Q_EUlS1P_E_NS1_11comp_targetILNS1_3genE10ELNS1_11target_archE1200ELNS1_3gpuE4ELNS1_3repE0EEENS1_30default_config_static_selectorELNS0_4arch9wavefront6targetE0EEEvS12_
; %bb.0:
	.section	.rodata,"a",@progbits
	.p2align	6, 0x0
	.amdhsa_kernel _ZN7rocprim17ROCPRIM_400000_NS6detail17trampoline_kernelINS0_13select_configILj256ELj13ELNS0_17block_load_methodE3ELS4_3ELS4_3ELNS0_20block_scan_algorithmE0ELj4294967295EEENS1_25partition_config_selectorILNS1_17partition_subalgoE4EjNS0_10empty_typeEbEEZZNS1_14partition_implILS8_4ELb0ES6_15HIP_vector_typeIjLj2EENS0_17counting_iteratorIjlEEPS9_SG_NS0_5tupleIJPjSI_NS0_16reverse_iteratorISI_EEEEENSH_IJSG_SG_SG_EEES9_SI_JZNS1_25segmented_radix_sort_implINS0_14default_configELb0EPKfPfPKlPlN2at6native12_GLOBAL__N_18offset_tEEE10hipError_tPvRmT1_PNSt15iterator_traitsIS12_E10value_typeET2_T3_PNS13_IS18_E10value_typeET4_jRbjT5_S1E_jjP12ihipStream_tbEUljE_ZNSN_ISO_Lb0ESQ_SR_ST_SU_SY_EESZ_S10_S11_S12_S16_S17_S18_S1B_S1C_jS1D_jS1E_S1E_jjS1G_bEUljE0_EEESZ_S10_S11_S18_S1C_S1E_T6_T7_T9_mT8_S1G_bDpT10_ENKUlT_T0_E_clISt17integral_constantIbLb1EES1T_IbLb0EEEEDaS1P_S1Q_EUlS1P_E_NS1_11comp_targetILNS1_3genE10ELNS1_11target_archE1200ELNS1_3gpuE4ELNS1_3repE0EEENS1_30default_config_static_selectorELNS0_4arch9wavefront6targetE0EEEvS12_
		.amdhsa_group_segment_fixed_size 0
		.amdhsa_private_segment_fixed_size 0
		.amdhsa_kernarg_size 176
		.amdhsa_user_sgpr_count 15
		.amdhsa_user_sgpr_dispatch_ptr 0
		.amdhsa_user_sgpr_queue_ptr 0
		.amdhsa_user_sgpr_kernarg_segment_ptr 1
		.amdhsa_user_sgpr_dispatch_id 0
		.amdhsa_user_sgpr_private_segment_size 0
		.amdhsa_wavefront_size32 1
		.amdhsa_uses_dynamic_stack 0
		.amdhsa_enable_private_segment 0
		.amdhsa_system_sgpr_workgroup_id_x 1
		.amdhsa_system_sgpr_workgroup_id_y 0
		.amdhsa_system_sgpr_workgroup_id_z 0
		.amdhsa_system_sgpr_workgroup_info 0
		.amdhsa_system_vgpr_workitem_id 0
		.amdhsa_next_free_vgpr 1
		.amdhsa_next_free_sgpr 1
		.amdhsa_reserve_vcc 0
		.amdhsa_float_round_mode_32 0
		.amdhsa_float_round_mode_16_64 0
		.amdhsa_float_denorm_mode_32 3
		.amdhsa_float_denorm_mode_16_64 3
		.amdhsa_dx10_clamp 1
		.amdhsa_ieee_mode 1
		.amdhsa_fp16_overflow 0
		.amdhsa_workgroup_processor_mode 1
		.amdhsa_memory_ordered 1
		.amdhsa_forward_progress 0
		.amdhsa_shared_vgpr_count 0
		.amdhsa_exception_fp_ieee_invalid_op 0
		.amdhsa_exception_fp_denorm_src 0
		.amdhsa_exception_fp_ieee_div_zero 0
		.amdhsa_exception_fp_ieee_overflow 0
		.amdhsa_exception_fp_ieee_underflow 0
		.amdhsa_exception_fp_ieee_inexact 0
		.amdhsa_exception_int_div_zero 0
	.end_amdhsa_kernel
	.section	.text._ZN7rocprim17ROCPRIM_400000_NS6detail17trampoline_kernelINS0_13select_configILj256ELj13ELNS0_17block_load_methodE3ELS4_3ELS4_3ELNS0_20block_scan_algorithmE0ELj4294967295EEENS1_25partition_config_selectorILNS1_17partition_subalgoE4EjNS0_10empty_typeEbEEZZNS1_14partition_implILS8_4ELb0ES6_15HIP_vector_typeIjLj2EENS0_17counting_iteratorIjlEEPS9_SG_NS0_5tupleIJPjSI_NS0_16reverse_iteratorISI_EEEEENSH_IJSG_SG_SG_EEES9_SI_JZNS1_25segmented_radix_sort_implINS0_14default_configELb0EPKfPfPKlPlN2at6native12_GLOBAL__N_18offset_tEEE10hipError_tPvRmT1_PNSt15iterator_traitsIS12_E10value_typeET2_T3_PNS13_IS18_E10value_typeET4_jRbjT5_S1E_jjP12ihipStream_tbEUljE_ZNSN_ISO_Lb0ESQ_SR_ST_SU_SY_EESZ_S10_S11_S12_S16_S17_S18_S1B_S1C_jS1D_jS1E_S1E_jjS1G_bEUljE0_EEESZ_S10_S11_S18_S1C_S1E_T6_T7_T9_mT8_S1G_bDpT10_ENKUlT_T0_E_clISt17integral_constantIbLb1EES1T_IbLb0EEEEDaS1P_S1Q_EUlS1P_E_NS1_11comp_targetILNS1_3genE10ELNS1_11target_archE1200ELNS1_3gpuE4ELNS1_3repE0EEENS1_30default_config_static_selectorELNS0_4arch9wavefront6targetE0EEEvS12_,"axG",@progbits,_ZN7rocprim17ROCPRIM_400000_NS6detail17trampoline_kernelINS0_13select_configILj256ELj13ELNS0_17block_load_methodE3ELS4_3ELS4_3ELNS0_20block_scan_algorithmE0ELj4294967295EEENS1_25partition_config_selectorILNS1_17partition_subalgoE4EjNS0_10empty_typeEbEEZZNS1_14partition_implILS8_4ELb0ES6_15HIP_vector_typeIjLj2EENS0_17counting_iteratorIjlEEPS9_SG_NS0_5tupleIJPjSI_NS0_16reverse_iteratorISI_EEEEENSH_IJSG_SG_SG_EEES9_SI_JZNS1_25segmented_radix_sort_implINS0_14default_configELb0EPKfPfPKlPlN2at6native12_GLOBAL__N_18offset_tEEE10hipError_tPvRmT1_PNSt15iterator_traitsIS12_E10value_typeET2_T3_PNS13_IS18_E10value_typeET4_jRbjT5_S1E_jjP12ihipStream_tbEUljE_ZNSN_ISO_Lb0ESQ_SR_ST_SU_SY_EESZ_S10_S11_S12_S16_S17_S18_S1B_S1C_jS1D_jS1E_S1E_jjS1G_bEUljE0_EEESZ_S10_S11_S18_S1C_S1E_T6_T7_T9_mT8_S1G_bDpT10_ENKUlT_T0_E_clISt17integral_constantIbLb1EES1T_IbLb0EEEEDaS1P_S1Q_EUlS1P_E_NS1_11comp_targetILNS1_3genE10ELNS1_11target_archE1200ELNS1_3gpuE4ELNS1_3repE0EEENS1_30default_config_static_selectorELNS0_4arch9wavefront6targetE0EEEvS12_,comdat
.Lfunc_end1385:
	.size	_ZN7rocprim17ROCPRIM_400000_NS6detail17trampoline_kernelINS0_13select_configILj256ELj13ELNS0_17block_load_methodE3ELS4_3ELS4_3ELNS0_20block_scan_algorithmE0ELj4294967295EEENS1_25partition_config_selectorILNS1_17partition_subalgoE4EjNS0_10empty_typeEbEEZZNS1_14partition_implILS8_4ELb0ES6_15HIP_vector_typeIjLj2EENS0_17counting_iteratorIjlEEPS9_SG_NS0_5tupleIJPjSI_NS0_16reverse_iteratorISI_EEEEENSH_IJSG_SG_SG_EEES9_SI_JZNS1_25segmented_radix_sort_implINS0_14default_configELb0EPKfPfPKlPlN2at6native12_GLOBAL__N_18offset_tEEE10hipError_tPvRmT1_PNSt15iterator_traitsIS12_E10value_typeET2_T3_PNS13_IS18_E10value_typeET4_jRbjT5_S1E_jjP12ihipStream_tbEUljE_ZNSN_ISO_Lb0ESQ_SR_ST_SU_SY_EESZ_S10_S11_S12_S16_S17_S18_S1B_S1C_jS1D_jS1E_S1E_jjS1G_bEUljE0_EEESZ_S10_S11_S18_S1C_S1E_T6_T7_T9_mT8_S1G_bDpT10_ENKUlT_T0_E_clISt17integral_constantIbLb1EES1T_IbLb0EEEEDaS1P_S1Q_EUlS1P_E_NS1_11comp_targetILNS1_3genE10ELNS1_11target_archE1200ELNS1_3gpuE4ELNS1_3repE0EEENS1_30default_config_static_selectorELNS0_4arch9wavefront6targetE0EEEvS12_, .Lfunc_end1385-_ZN7rocprim17ROCPRIM_400000_NS6detail17trampoline_kernelINS0_13select_configILj256ELj13ELNS0_17block_load_methodE3ELS4_3ELS4_3ELNS0_20block_scan_algorithmE0ELj4294967295EEENS1_25partition_config_selectorILNS1_17partition_subalgoE4EjNS0_10empty_typeEbEEZZNS1_14partition_implILS8_4ELb0ES6_15HIP_vector_typeIjLj2EENS0_17counting_iteratorIjlEEPS9_SG_NS0_5tupleIJPjSI_NS0_16reverse_iteratorISI_EEEEENSH_IJSG_SG_SG_EEES9_SI_JZNS1_25segmented_radix_sort_implINS0_14default_configELb0EPKfPfPKlPlN2at6native12_GLOBAL__N_18offset_tEEE10hipError_tPvRmT1_PNSt15iterator_traitsIS12_E10value_typeET2_T3_PNS13_IS18_E10value_typeET4_jRbjT5_S1E_jjP12ihipStream_tbEUljE_ZNSN_ISO_Lb0ESQ_SR_ST_SU_SY_EESZ_S10_S11_S12_S16_S17_S18_S1B_S1C_jS1D_jS1E_S1E_jjS1G_bEUljE0_EEESZ_S10_S11_S18_S1C_S1E_T6_T7_T9_mT8_S1G_bDpT10_ENKUlT_T0_E_clISt17integral_constantIbLb1EES1T_IbLb0EEEEDaS1P_S1Q_EUlS1P_E_NS1_11comp_targetILNS1_3genE10ELNS1_11target_archE1200ELNS1_3gpuE4ELNS1_3repE0EEENS1_30default_config_static_selectorELNS0_4arch9wavefront6targetE0EEEvS12_
                                        ; -- End function
	.section	.AMDGPU.csdata,"",@progbits
; Kernel info:
; codeLenInByte = 0
; NumSgprs: 0
; NumVgprs: 0
; ScratchSize: 0
; MemoryBound: 0
; FloatMode: 240
; IeeeMode: 1
; LDSByteSize: 0 bytes/workgroup (compile time only)
; SGPRBlocks: 0
; VGPRBlocks: 0
; NumSGPRsForWavesPerEU: 1
; NumVGPRsForWavesPerEU: 1
; Occupancy: 16
; WaveLimiterHint : 0
; COMPUTE_PGM_RSRC2:SCRATCH_EN: 0
; COMPUTE_PGM_RSRC2:USER_SGPR: 15
; COMPUTE_PGM_RSRC2:TRAP_HANDLER: 0
; COMPUTE_PGM_RSRC2:TGID_X_EN: 1
; COMPUTE_PGM_RSRC2:TGID_Y_EN: 0
; COMPUTE_PGM_RSRC2:TGID_Z_EN: 0
; COMPUTE_PGM_RSRC2:TIDIG_COMP_CNT: 0
	.section	.text._ZN7rocprim17ROCPRIM_400000_NS6detail17trampoline_kernelINS0_13select_configILj256ELj13ELNS0_17block_load_methodE3ELS4_3ELS4_3ELNS0_20block_scan_algorithmE0ELj4294967295EEENS1_25partition_config_selectorILNS1_17partition_subalgoE4EjNS0_10empty_typeEbEEZZNS1_14partition_implILS8_4ELb0ES6_15HIP_vector_typeIjLj2EENS0_17counting_iteratorIjlEEPS9_SG_NS0_5tupleIJPjSI_NS0_16reverse_iteratorISI_EEEEENSH_IJSG_SG_SG_EEES9_SI_JZNS1_25segmented_radix_sort_implINS0_14default_configELb0EPKfPfPKlPlN2at6native12_GLOBAL__N_18offset_tEEE10hipError_tPvRmT1_PNSt15iterator_traitsIS12_E10value_typeET2_T3_PNS13_IS18_E10value_typeET4_jRbjT5_S1E_jjP12ihipStream_tbEUljE_ZNSN_ISO_Lb0ESQ_SR_ST_SU_SY_EESZ_S10_S11_S12_S16_S17_S18_S1B_S1C_jS1D_jS1E_S1E_jjS1G_bEUljE0_EEESZ_S10_S11_S18_S1C_S1E_T6_T7_T9_mT8_S1G_bDpT10_ENKUlT_T0_E_clISt17integral_constantIbLb1EES1T_IbLb0EEEEDaS1P_S1Q_EUlS1P_E_NS1_11comp_targetILNS1_3genE9ELNS1_11target_archE1100ELNS1_3gpuE3ELNS1_3repE0EEENS1_30default_config_static_selectorELNS0_4arch9wavefront6targetE0EEEvS12_,"axG",@progbits,_ZN7rocprim17ROCPRIM_400000_NS6detail17trampoline_kernelINS0_13select_configILj256ELj13ELNS0_17block_load_methodE3ELS4_3ELS4_3ELNS0_20block_scan_algorithmE0ELj4294967295EEENS1_25partition_config_selectorILNS1_17partition_subalgoE4EjNS0_10empty_typeEbEEZZNS1_14partition_implILS8_4ELb0ES6_15HIP_vector_typeIjLj2EENS0_17counting_iteratorIjlEEPS9_SG_NS0_5tupleIJPjSI_NS0_16reverse_iteratorISI_EEEEENSH_IJSG_SG_SG_EEES9_SI_JZNS1_25segmented_radix_sort_implINS0_14default_configELb0EPKfPfPKlPlN2at6native12_GLOBAL__N_18offset_tEEE10hipError_tPvRmT1_PNSt15iterator_traitsIS12_E10value_typeET2_T3_PNS13_IS18_E10value_typeET4_jRbjT5_S1E_jjP12ihipStream_tbEUljE_ZNSN_ISO_Lb0ESQ_SR_ST_SU_SY_EESZ_S10_S11_S12_S16_S17_S18_S1B_S1C_jS1D_jS1E_S1E_jjS1G_bEUljE0_EEESZ_S10_S11_S18_S1C_S1E_T6_T7_T9_mT8_S1G_bDpT10_ENKUlT_T0_E_clISt17integral_constantIbLb1EES1T_IbLb0EEEEDaS1P_S1Q_EUlS1P_E_NS1_11comp_targetILNS1_3genE9ELNS1_11target_archE1100ELNS1_3gpuE3ELNS1_3repE0EEENS1_30default_config_static_selectorELNS0_4arch9wavefront6targetE0EEEvS12_,comdat
	.globl	_ZN7rocprim17ROCPRIM_400000_NS6detail17trampoline_kernelINS0_13select_configILj256ELj13ELNS0_17block_load_methodE3ELS4_3ELS4_3ELNS0_20block_scan_algorithmE0ELj4294967295EEENS1_25partition_config_selectorILNS1_17partition_subalgoE4EjNS0_10empty_typeEbEEZZNS1_14partition_implILS8_4ELb0ES6_15HIP_vector_typeIjLj2EENS0_17counting_iteratorIjlEEPS9_SG_NS0_5tupleIJPjSI_NS0_16reverse_iteratorISI_EEEEENSH_IJSG_SG_SG_EEES9_SI_JZNS1_25segmented_radix_sort_implINS0_14default_configELb0EPKfPfPKlPlN2at6native12_GLOBAL__N_18offset_tEEE10hipError_tPvRmT1_PNSt15iterator_traitsIS12_E10value_typeET2_T3_PNS13_IS18_E10value_typeET4_jRbjT5_S1E_jjP12ihipStream_tbEUljE_ZNSN_ISO_Lb0ESQ_SR_ST_SU_SY_EESZ_S10_S11_S12_S16_S17_S18_S1B_S1C_jS1D_jS1E_S1E_jjS1G_bEUljE0_EEESZ_S10_S11_S18_S1C_S1E_T6_T7_T9_mT8_S1G_bDpT10_ENKUlT_T0_E_clISt17integral_constantIbLb1EES1T_IbLb0EEEEDaS1P_S1Q_EUlS1P_E_NS1_11comp_targetILNS1_3genE9ELNS1_11target_archE1100ELNS1_3gpuE3ELNS1_3repE0EEENS1_30default_config_static_selectorELNS0_4arch9wavefront6targetE0EEEvS12_ ; -- Begin function _ZN7rocprim17ROCPRIM_400000_NS6detail17trampoline_kernelINS0_13select_configILj256ELj13ELNS0_17block_load_methodE3ELS4_3ELS4_3ELNS0_20block_scan_algorithmE0ELj4294967295EEENS1_25partition_config_selectorILNS1_17partition_subalgoE4EjNS0_10empty_typeEbEEZZNS1_14partition_implILS8_4ELb0ES6_15HIP_vector_typeIjLj2EENS0_17counting_iteratorIjlEEPS9_SG_NS0_5tupleIJPjSI_NS0_16reverse_iteratorISI_EEEEENSH_IJSG_SG_SG_EEES9_SI_JZNS1_25segmented_radix_sort_implINS0_14default_configELb0EPKfPfPKlPlN2at6native12_GLOBAL__N_18offset_tEEE10hipError_tPvRmT1_PNSt15iterator_traitsIS12_E10value_typeET2_T3_PNS13_IS18_E10value_typeET4_jRbjT5_S1E_jjP12ihipStream_tbEUljE_ZNSN_ISO_Lb0ESQ_SR_ST_SU_SY_EESZ_S10_S11_S12_S16_S17_S18_S1B_S1C_jS1D_jS1E_S1E_jjS1G_bEUljE0_EEESZ_S10_S11_S18_S1C_S1E_T6_T7_T9_mT8_S1G_bDpT10_ENKUlT_T0_E_clISt17integral_constantIbLb1EES1T_IbLb0EEEEDaS1P_S1Q_EUlS1P_E_NS1_11comp_targetILNS1_3genE9ELNS1_11target_archE1100ELNS1_3gpuE3ELNS1_3repE0EEENS1_30default_config_static_selectorELNS0_4arch9wavefront6targetE0EEEvS12_
	.p2align	8
	.type	_ZN7rocprim17ROCPRIM_400000_NS6detail17trampoline_kernelINS0_13select_configILj256ELj13ELNS0_17block_load_methodE3ELS4_3ELS4_3ELNS0_20block_scan_algorithmE0ELj4294967295EEENS1_25partition_config_selectorILNS1_17partition_subalgoE4EjNS0_10empty_typeEbEEZZNS1_14partition_implILS8_4ELb0ES6_15HIP_vector_typeIjLj2EENS0_17counting_iteratorIjlEEPS9_SG_NS0_5tupleIJPjSI_NS0_16reverse_iteratorISI_EEEEENSH_IJSG_SG_SG_EEES9_SI_JZNS1_25segmented_radix_sort_implINS0_14default_configELb0EPKfPfPKlPlN2at6native12_GLOBAL__N_18offset_tEEE10hipError_tPvRmT1_PNSt15iterator_traitsIS12_E10value_typeET2_T3_PNS13_IS18_E10value_typeET4_jRbjT5_S1E_jjP12ihipStream_tbEUljE_ZNSN_ISO_Lb0ESQ_SR_ST_SU_SY_EESZ_S10_S11_S12_S16_S17_S18_S1B_S1C_jS1D_jS1E_S1E_jjS1G_bEUljE0_EEESZ_S10_S11_S18_S1C_S1E_T6_T7_T9_mT8_S1G_bDpT10_ENKUlT_T0_E_clISt17integral_constantIbLb1EES1T_IbLb0EEEEDaS1P_S1Q_EUlS1P_E_NS1_11comp_targetILNS1_3genE9ELNS1_11target_archE1100ELNS1_3gpuE3ELNS1_3repE0EEENS1_30default_config_static_selectorELNS0_4arch9wavefront6targetE0EEEvS12_,@function
_ZN7rocprim17ROCPRIM_400000_NS6detail17trampoline_kernelINS0_13select_configILj256ELj13ELNS0_17block_load_methodE3ELS4_3ELS4_3ELNS0_20block_scan_algorithmE0ELj4294967295EEENS1_25partition_config_selectorILNS1_17partition_subalgoE4EjNS0_10empty_typeEbEEZZNS1_14partition_implILS8_4ELb0ES6_15HIP_vector_typeIjLj2EENS0_17counting_iteratorIjlEEPS9_SG_NS0_5tupleIJPjSI_NS0_16reverse_iteratorISI_EEEEENSH_IJSG_SG_SG_EEES9_SI_JZNS1_25segmented_radix_sort_implINS0_14default_configELb0EPKfPfPKlPlN2at6native12_GLOBAL__N_18offset_tEEE10hipError_tPvRmT1_PNSt15iterator_traitsIS12_E10value_typeET2_T3_PNS13_IS18_E10value_typeET4_jRbjT5_S1E_jjP12ihipStream_tbEUljE_ZNSN_ISO_Lb0ESQ_SR_ST_SU_SY_EESZ_S10_S11_S12_S16_S17_S18_S1B_S1C_jS1D_jS1E_S1E_jjS1G_bEUljE0_EEESZ_S10_S11_S18_S1C_S1E_T6_T7_T9_mT8_S1G_bDpT10_ENKUlT_T0_E_clISt17integral_constantIbLb1EES1T_IbLb0EEEEDaS1P_S1Q_EUlS1P_E_NS1_11comp_targetILNS1_3genE9ELNS1_11target_archE1100ELNS1_3gpuE3ELNS1_3repE0EEENS1_30default_config_static_selectorELNS0_4arch9wavefront6targetE0EEEvS12_: ; @_ZN7rocprim17ROCPRIM_400000_NS6detail17trampoline_kernelINS0_13select_configILj256ELj13ELNS0_17block_load_methodE3ELS4_3ELS4_3ELNS0_20block_scan_algorithmE0ELj4294967295EEENS1_25partition_config_selectorILNS1_17partition_subalgoE4EjNS0_10empty_typeEbEEZZNS1_14partition_implILS8_4ELb0ES6_15HIP_vector_typeIjLj2EENS0_17counting_iteratorIjlEEPS9_SG_NS0_5tupleIJPjSI_NS0_16reverse_iteratorISI_EEEEENSH_IJSG_SG_SG_EEES9_SI_JZNS1_25segmented_radix_sort_implINS0_14default_configELb0EPKfPfPKlPlN2at6native12_GLOBAL__N_18offset_tEEE10hipError_tPvRmT1_PNSt15iterator_traitsIS12_E10value_typeET2_T3_PNS13_IS18_E10value_typeET4_jRbjT5_S1E_jjP12ihipStream_tbEUljE_ZNSN_ISO_Lb0ESQ_SR_ST_SU_SY_EESZ_S10_S11_S12_S16_S17_S18_S1B_S1C_jS1D_jS1E_S1E_jjS1G_bEUljE0_EEESZ_S10_S11_S18_S1C_S1E_T6_T7_T9_mT8_S1G_bDpT10_ENKUlT_T0_E_clISt17integral_constantIbLb1EES1T_IbLb0EEEEDaS1P_S1Q_EUlS1P_E_NS1_11comp_targetILNS1_3genE9ELNS1_11target_archE1100ELNS1_3gpuE3ELNS1_3repE0EEENS1_30default_config_static_selectorELNS0_4arch9wavefront6targetE0EEEvS12_
; %bb.0:
	s_clause 0x6
	s_load_b32 s5, s[0:1], 0x80
	s_load_b64 s[34:35], s[0:1], 0x10
	s_load_b64 s[2:3], s[0:1], 0x68
	s_load_b32 s8, s[0:1], 0x8
	s_load_b128 s[24:27], s[0:1], 0x58
	s_load_b64 s[40:41], s[0:1], 0xa8
	s_load_b256 s[16:23], s[0:1], 0x88
	s_mul_i32 s33, s15, 0xd00
	s_waitcnt lgkmcnt(0)
	s_mul_i32 s4, s5, 0xd00
	s_add_i32 s5, s5, -1
	s_add_u32 s6, s34, s4
	s_addc_u32 s7, s35, 0
	s_load_b128 s[28:31], s[26:27], 0x0
	s_cmp_eq_u32 s15, s5
	v_cmp_lt_u64_e64 s3, s[6:7], s[2:3]
	s_cselect_b32 s14, -1, 0
	s_cmp_lg_u32 s15, s5
	s_cselect_b32 s5, -1, 0
	s_add_i32 s6, s8, s33
	s_delay_alu instid0(VALU_DEP_1) | instskip(SKIP_4) | instid1(VALU_DEP_1)
	s_or_b32 s3, s5, s3
	s_add_i32 s6, s6, s34
	s_and_b32 vcc_lo, exec_lo, s3
	v_add_nc_u32_e32 v1, s6, v0
	s_mov_b32 s5, -1
	v_add_nc_u32_e32 v2, 0x100, v1
	v_add_nc_u32_e32 v3, 0x200, v1
	;; [unrolled: 1-line block ×12, first 2 shown]
	s_cbranch_vccz .LBB1386_2
; %bb.1:
	v_lshlrev_b32_e32 v14, 2, v0
	s_mov_b32 s5, 0
	ds_store_2addr_stride64_b32 v14, v1, v2 offset1:4
	ds_store_2addr_stride64_b32 v14, v3, v4 offset0:8 offset1:12
	ds_store_2addr_stride64_b32 v14, v5, v6 offset0:16 offset1:20
	;; [unrolled: 1-line block ×5, first 2 shown]
	ds_store_b32 v14, v13 offset:12288
	s_waitcnt lgkmcnt(0)
	s_barrier
.LBB1386_2:
	s_and_not1_b32 vcc_lo, exec_lo, s5
	s_add_i32 s4, s4, s34
	s_cbranch_vccnz .LBB1386_4
; %bb.3:
	v_lshlrev_b32_e32 v14, 2, v0
	ds_store_2addr_stride64_b32 v14, v1, v2 offset1:4
	ds_store_2addr_stride64_b32 v14, v3, v4 offset0:8 offset1:12
	ds_store_2addr_stride64_b32 v14, v5, v6 offset0:16 offset1:20
	;; [unrolled: 1-line block ×5, first 2 shown]
	ds_store_b32 v14, v13 offset:12288
	s_waitcnt lgkmcnt(0)
	s_barrier
.LBB1386_4:
	v_mul_u32_u24_e32 v28, 13, v0
	s_clause 0x1
	s_load_b128 s[36:39], s[0:1], 0x28
	s_load_b64 s[26:27], s[0:1], 0x38
	s_waitcnt lgkmcnt(0)
	buffer_gl0_inv
	v_cndmask_b32_e64 v26, 0, 1, s3
	s_sub_i32 s44, s2, s4
	v_lshlrev_b32_e32 v1, 2, v28
	s_and_not1_b32 vcc_lo, exec_lo, s3
	ds_load_2addr_b32 v[16:17], v1 offset1:1
	ds_load_2addr_b32 v[14:15], v1 offset0:2 offset1:3
	ds_load_2addr_b32 v[12:13], v1 offset0:4 offset1:5
	;; [unrolled: 1-line block ×5, first 2 shown]
	ds_load_b32 v27, v1 offset:48
	s_waitcnt lgkmcnt(0)
	s_barrier
	buffer_gl0_inv
	s_cbranch_vccnz .LBB1386_32
; %bb.5:
	v_add_nc_u32_e32 v1, s17, v16
	v_add_nc_u32_e32 v2, s19, v16
	s_mov_b32 s46, 0
	s_mov_b32 s45, 0
	s_mov_b32 s3, exec_lo
	v_mul_lo_u32 v1, v1, s16
	v_mul_lo_u32 v2, v2, s18
	s_delay_alu instid0(VALU_DEP_1) | instskip(NEXT) | instid1(VALU_DEP_1)
	v_sub_nc_u32_e32 v1, v1, v2
	v_cmp_lt_u32_e32 vcc_lo, s20, v1
	v_cmpx_ge_u32_e64 s20, v1
; %bb.6:
	v_add_nc_u32_e32 v1, s22, v16
	v_add_nc_u32_e32 v2, s40, v16
	s_delay_alu instid0(VALU_DEP_2) | instskip(NEXT) | instid1(VALU_DEP_2)
	v_mul_lo_u32 v1, v1, s21
	v_mul_lo_u32 v2, v2, s23
	s_delay_alu instid0(VALU_DEP_1) | instskip(NEXT) | instid1(VALU_DEP_1)
	v_sub_nc_u32_e32 v1, v1, v2
	v_cmp_lt_u32_e64 s2, s41, v1
	s_delay_alu instid0(VALU_DEP_1)
	s_and_b32 s45, s2, exec_lo
; %bb.7:
	s_or_b32 exec_lo, exec_lo, s3
	v_add_nc_u32_e32 v1, s17, v17
	v_add_nc_u32_e32 v2, s19, v17
	s_mov_b32 s4, exec_lo
	s_delay_alu instid0(VALU_DEP_2) | instskip(NEXT) | instid1(VALU_DEP_2)
	v_mul_lo_u32 v1, v1, s16
	v_mul_lo_u32 v2, v2, s18
	s_delay_alu instid0(VALU_DEP_1) | instskip(NEXT) | instid1(VALU_DEP_1)
	v_sub_nc_u32_e32 v1, v1, v2
	v_cmp_lt_u32_e64 s2, s20, v1
	v_cmpx_ge_u32_e64 s20, v1
; %bb.8:
	v_add_nc_u32_e32 v1, s22, v17
	v_add_nc_u32_e32 v2, s40, v17
	s_delay_alu instid0(VALU_DEP_2) | instskip(NEXT) | instid1(VALU_DEP_2)
	v_mul_lo_u32 v1, v1, s21
	v_mul_lo_u32 v2, v2, s23
	s_delay_alu instid0(VALU_DEP_1) | instskip(NEXT) | instid1(VALU_DEP_1)
	v_sub_nc_u32_e32 v1, v1, v2
	v_cmp_lt_u32_e64 s3, s41, v1
	s_delay_alu instid0(VALU_DEP_1)
	s_and_b32 s46, s3, exec_lo
; %bb.9:
	s_or_b32 exec_lo, exec_lo, s4
	v_add_nc_u32_e32 v1, s17, v14
	v_add_nc_u32_e32 v2, s19, v14
	s_mov_b32 s48, 0
	s_mov_b32 s47, 0
	s_mov_b32 s5, exec_lo
	v_mul_lo_u32 v1, v1, s16
	v_mul_lo_u32 v2, v2, s18
	s_delay_alu instid0(VALU_DEP_1) | instskip(NEXT) | instid1(VALU_DEP_1)
	v_sub_nc_u32_e32 v1, v1, v2
	v_cmp_lt_u32_e64 s3, s20, v1
	v_cmpx_ge_u32_e64 s20, v1
; %bb.10:
	v_add_nc_u32_e32 v1, s22, v14
	v_add_nc_u32_e32 v2, s40, v14
	s_delay_alu instid0(VALU_DEP_2) | instskip(NEXT) | instid1(VALU_DEP_2)
	v_mul_lo_u32 v1, v1, s21
	v_mul_lo_u32 v2, v2, s23
	s_delay_alu instid0(VALU_DEP_1) | instskip(NEXT) | instid1(VALU_DEP_1)
	v_sub_nc_u32_e32 v1, v1, v2
	v_cmp_lt_u32_e64 s4, s41, v1
	s_delay_alu instid0(VALU_DEP_1)
	s_and_b32 s47, s4, exec_lo
; %bb.11:
	s_or_b32 exec_lo, exec_lo, s5
	v_add_nc_u32_e32 v1, s17, v15
	v_add_nc_u32_e32 v2, s19, v15
	s_mov_b32 s6, exec_lo
	s_delay_alu instid0(VALU_DEP_2) | instskip(NEXT) | instid1(VALU_DEP_2)
	v_mul_lo_u32 v1, v1, s16
	v_mul_lo_u32 v2, v2, s18
	s_delay_alu instid0(VALU_DEP_1) | instskip(NEXT) | instid1(VALU_DEP_1)
	v_sub_nc_u32_e32 v1, v1, v2
	v_cmp_lt_u32_e64 s4, s20, v1
	v_cmpx_ge_u32_e64 s20, v1
; %bb.12:
	v_add_nc_u32_e32 v1, s22, v15
	v_add_nc_u32_e32 v2, s40, v15
	s_delay_alu instid0(VALU_DEP_2) | instskip(NEXT) | instid1(VALU_DEP_2)
	v_mul_lo_u32 v1, v1, s21
	v_mul_lo_u32 v2, v2, s23
	s_delay_alu instid0(VALU_DEP_1) | instskip(NEXT) | instid1(VALU_DEP_1)
	v_sub_nc_u32_e32 v1, v1, v2
	v_cmp_lt_u32_e64 s5, s41, v1
	s_delay_alu instid0(VALU_DEP_1)
	s_and_b32 s48, s5, exec_lo
; %bb.13:
	s_or_b32 exec_lo, exec_lo, s6
	v_add_nc_u32_e32 v1, s17, v12
	v_add_nc_u32_e32 v2, s19, v12
	s_mov_b32 s50, 0
	s_mov_b32 s49, 0
	s_mov_b32 s7, exec_lo
	v_mul_lo_u32 v1, v1, s16
	v_mul_lo_u32 v2, v2, s18
	s_delay_alu instid0(VALU_DEP_1) | instskip(NEXT) | instid1(VALU_DEP_1)
	v_sub_nc_u32_e32 v1, v1, v2
	v_cmp_lt_u32_e64 s5, s20, v1
	;; [unrolled: 47-line block ×5, first 2 shown]
	v_cmpx_ge_u32_e64 s20, v1
; %bb.26:
	v_add_nc_u32_e32 v1, s22, v6
	v_add_nc_u32_e32 v2, s40, v6
	s_delay_alu instid0(VALU_DEP_2) | instskip(NEXT) | instid1(VALU_DEP_2)
	v_mul_lo_u32 v1, v1, s21
	v_mul_lo_u32 v2, v2, s23
	s_delay_alu instid0(VALU_DEP_1) | instskip(NEXT) | instid1(VALU_DEP_1)
	v_sub_nc_u32_e32 v1, v1, v2
	v_cmp_lt_u32_e64 s12, s41, v1
	s_delay_alu instid0(VALU_DEP_1)
	s_and_b32 s57, s12, exec_lo
; %bb.27:
	s_or_b32 exec_lo, exec_lo, s13
	v_add_nc_u32_e32 v1, s17, v7
	v_add_nc_u32_e32 v2, s19, v7
	s_mov_b32 s42, exec_lo
	s_delay_alu instid0(VALU_DEP_2) | instskip(NEXT) | instid1(VALU_DEP_2)
	v_mul_lo_u32 v1, v1, s16
	v_mul_lo_u32 v2, v2, s18
	s_delay_alu instid0(VALU_DEP_1) | instskip(NEXT) | instid1(VALU_DEP_1)
	v_sub_nc_u32_e32 v1, v1, v2
	v_cmp_lt_u32_e64 s12, s20, v1
	v_cmpx_ge_u32_e64 s20, v1
; %bb.28:
	v_add_nc_u32_e32 v1, s22, v7
	v_add_nc_u32_e32 v2, s40, v7
	s_delay_alu instid0(VALU_DEP_2) | instskip(NEXT) | instid1(VALU_DEP_2)
	v_mul_lo_u32 v1, v1, s21
	v_mul_lo_u32 v2, v2, s23
	s_delay_alu instid0(VALU_DEP_1) | instskip(NEXT) | instid1(VALU_DEP_1)
	v_sub_nc_u32_e32 v1, v1, v2
	v_cmp_lt_u32_e64 s13, s41, v1
	s_delay_alu instid0(VALU_DEP_1)
	s_and_b32 s56, s13, exec_lo
; %bb.29:
	s_or_b32 exec_lo, exec_lo, s42
	v_add_nc_u32_e32 v1, s17, v27
	v_add_nc_u32_e32 v2, s19, v27
	s_mov_b32 s42, -1
	s_mov_b32 s53, 0
	s_mov_b32 s43, 0
	v_mul_lo_u32 v1, v1, s16
	v_mul_lo_u32 v2, v2, s18
	s_mov_b32 s58, exec_lo
	s_delay_alu instid0(VALU_DEP_1) | instskip(NEXT) | instid1(VALU_DEP_1)
	v_sub_nc_u32_e32 v1, v1, v2
	v_cmpx_ge_u32_e64 s20, v1
; %bb.30:
	v_add_nc_u32_e32 v1, s22, v27
	v_add_nc_u32_e32 v2, s40, v27
	s_xor_b32 s42, exec_lo, -1
	s_delay_alu instid0(VALU_DEP_2) | instskip(NEXT) | instid1(VALU_DEP_2)
	v_mul_lo_u32 v1, v1, s21
	v_mul_lo_u32 v2, v2, s23
	s_delay_alu instid0(VALU_DEP_1) | instskip(NEXT) | instid1(VALU_DEP_1)
	v_sub_nc_u32_e32 v1, v1, v2
	v_cmp_lt_u32_e64 s13, s41, v1
	s_delay_alu instid0(VALU_DEP_1)
	s_and_b32 s43, s13, exec_lo
; %bb.31:
	s_or_b32 exec_lo, exec_lo, s58
	v_cndmask_b32_e64 v48, 0, 1, s57
	v_cndmask_b32_e64 v51, 0, 1, s12
	;; [unrolled: 1-line block ×22, first 2 shown]
	v_cndmask_b32_e64 v29, 0, 1, vcc_lo
	v_cndmask_b32_e64 v52, 0, 1, s56
	s_load_b64 s[4:5], s[0:1], 0x78
	s_and_b32 vcc_lo, exec_lo, s53
	s_add_i32 s3, s44, 0xd00
	s_cbranch_vccnz .LBB1386_33
	s_branch .LBB1386_86
.LBB1386_32:
                                        ; implicit-def: $sgpr42
                                        ; implicit-def: $sgpr43
                                        ; implicit-def: $vgpr52
                                        ; implicit-def: $vgpr48
                                        ; implicit-def: $vgpr47
                                        ; implicit-def: $vgpr45
                                        ; implicit-def: $vgpr43
                                        ; implicit-def: $vgpr40
                                        ; implicit-def: $vgpr39
                                        ; implicit-def: $vgpr37
                                        ; implicit-def: $vgpr35
                                        ; implicit-def: $vgpr29
                                        ; implicit-def: $vgpr33
                                        ; implicit-def: $vgpr31
                                        ; implicit-def: $vgpr32
                                        ; implicit-def: $vgpr38
                                        ; implicit-def: $vgpr41
                                        ; implicit-def: $vgpr42
                                        ; implicit-def: $vgpr44
                                        ; implicit-def: $vgpr46
                                        ; implicit-def: $vgpr49
                                        ; implicit-def: $vgpr50
                                        ; implicit-def: $vgpr51
                                        ; implicit-def: $vgpr30
                                        ; implicit-def: $vgpr34
                                        ; implicit-def: $vgpr36
	s_load_b64 s[4:5], s[0:1], 0x78
	s_add_i32 s3, s44, 0xd00
	s_cbranch_execz .LBB1386_86
.LBB1386_33:
	v_dual_mov_b32 v30, 0 :: v_dual_mov_b32 v29, 0
	s_mov_b32 s2, 0
	s_mov_b32 s1, exec_lo
	v_cmpx_gt_u32_e64 s3, v28
	s_cbranch_execz .LBB1386_37
; %bb.34:
	v_add_nc_u32_e32 v1, s17, v16
	v_add_nc_u32_e32 v2, s19, v16
	s_mov_b32 s6, exec_lo
	s_delay_alu instid0(VALU_DEP_2) | instskip(NEXT) | instid1(VALU_DEP_2)
	v_mul_lo_u32 v1, v1, s16
	v_mul_lo_u32 v2, v2, s18
	s_delay_alu instid0(VALU_DEP_1) | instskip(NEXT) | instid1(VALU_DEP_1)
	v_sub_nc_u32_e32 v1, v1, v2
	v_cmp_lt_u32_e32 vcc_lo, s20, v1
	v_cmpx_ge_u32_e64 s20, v1
; %bb.35:
	v_add_nc_u32_e32 v1, s22, v16
	v_add_nc_u32_e32 v2, s40, v16
	s_delay_alu instid0(VALU_DEP_2) | instskip(NEXT) | instid1(VALU_DEP_2)
	v_mul_lo_u32 v1, v1, s21
	v_mul_lo_u32 v2, v2, s23
	s_delay_alu instid0(VALU_DEP_1) | instskip(NEXT) | instid1(VALU_DEP_1)
	v_sub_nc_u32_e32 v1, v1, v2
	v_cmp_lt_u32_e64 s0, s41, v1
	s_delay_alu instid0(VALU_DEP_1)
	s_and_b32 s2, s0, exec_lo
; %bb.36:
	s_or_b32 exec_lo, exec_lo, s6
	v_cndmask_b32_e64 v29, 0, 1, vcc_lo
	v_cndmask_b32_e64 v30, 0, 1, s2
.LBB1386_37:
	s_or_b32 exec_lo, exec_lo, s1
	v_dual_mov_b32 v34, 0 :: v_dual_add_nc_u32 v1, 1, v28
	v_mov_b32_e32 v33, 0
	s_mov_b32 s2, 0
	s_mov_b32 s1, exec_lo
	s_delay_alu instid0(VALU_DEP_2)
	v_cmpx_gt_u32_e64 s3, v1
	s_cbranch_execz .LBB1386_41
; %bb.38:
	v_add_nc_u32_e32 v1, s17, v17
	v_add_nc_u32_e32 v2, s19, v17
	s_mov_b32 s6, exec_lo
	s_delay_alu instid0(VALU_DEP_2) | instskip(NEXT) | instid1(VALU_DEP_2)
	v_mul_lo_u32 v1, v1, s16
	v_mul_lo_u32 v2, v2, s18
	s_delay_alu instid0(VALU_DEP_1) | instskip(NEXT) | instid1(VALU_DEP_1)
	v_sub_nc_u32_e32 v1, v1, v2
	v_cmp_lt_u32_e32 vcc_lo, s20, v1
	v_cmpx_ge_u32_e64 s20, v1
; %bb.39:
	v_add_nc_u32_e32 v1, s22, v17
	v_add_nc_u32_e32 v2, s40, v17
	s_delay_alu instid0(VALU_DEP_2) | instskip(NEXT) | instid1(VALU_DEP_2)
	v_mul_lo_u32 v1, v1, s21
	v_mul_lo_u32 v2, v2, s23
	s_delay_alu instid0(VALU_DEP_1) | instskip(NEXT) | instid1(VALU_DEP_1)
	v_sub_nc_u32_e32 v1, v1, v2
	v_cmp_lt_u32_e64 s0, s41, v1
	s_delay_alu instid0(VALU_DEP_1)
	s_and_b32 s2, s0, exec_lo
; %bb.40:
	s_or_b32 exec_lo, exec_lo, s6
	v_cndmask_b32_e64 v33, 0, 1, vcc_lo
	v_cndmask_b32_e64 v34, 0, 1, s2
.LBB1386_41:
	s_or_b32 exec_lo, exec_lo, s1
	v_dual_mov_b32 v36, 0 :: v_dual_add_nc_u32 v1, 2, v28
	v_mov_b32_e32 v31, 0
	s_mov_b32 s2, 0
	s_mov_b32 s1, exec_lo
	s_delay_alu instid0(VALU_DEP_2)
	;; [unrolled: 35-line block ×4, first 2 shown]
	v_cmpx_gt_u32_e64 s3, v1
	s_cbranch_execz .LBB1386_53
; %bb.50:
	v_add_nc_u32_e32 v1, s17, v12
	v_add_nc_u32_e32 v2, s19, v12
	s_mov_b32 s6, exec_lo
	s_delay_alu instid0(VALU_DEP_2) | instskip(NEXT) | instid1(VALU_DEP_2)
	v_mul_lo_u32 v1, v1, s16
	v_mul_lo_u32 v2, v2, s18
	s_delay_alu instid0(VALU_DEP_1) | instskip(NEXT) | instid1(VALU_DEP_1)
	v_sub_nc_u32_e32 v1, v1, v2
	v_cmp_lt_u32_e32 vcc_lo, s20, v1
	v_cmpx_ge_u32_e64 s20, v1
; %bb.51:
	v_add_nc_u32_e32 v1, s22, v12
	v_add_nc_u32_e32 v2, s40, v12
	s_delay_alu instid0(VALU_DEP_2) | instskip(NEXT) | instid1(VALU_DEP_2)
	v_mul_lo_u32 v1, v1, s21
	v_mul_lo_u32 v2, v2, s23
	s_delay_alu instid0(VALU_DEP_1) | instskip(NEXT) | instid1(VALU_DEP_1)
	v_sub_nc_u32_e32 v1, v1, v2
	v_cmp_lt_u32_e64 s0, s41, v1
	s_delay_alu instid0(VALU_DEP_1)
	s_and_b32 s2, s0, exec_lo
; %bb.52:
	s_or_b32 exec_lo, exec_lo, s6
	v_cndmask_b32_e64 v38, 0, 1, vcc_lo
	v_cndmask_b32_e64 v37, 0, 1, s2
.LBB1386_53:
	s_or_b32 exec_lo, exec_lo, s1
	v_add_nc_u32_e32 v1, 5, v28
	v_mov_b32_e32 v39, 0
	v_mov_b32_e32 v41, 0
	s_mov_b32 s2, 0
	s_mov_b32 s1, exec_lo
	v_cmpx_gt_u32_e64 s3, v1
	s_cbranch_execz .LBB1386_57
; %bb.54:
	v_add_nc_u32_e32 v1, s17, v13
	v_add_nc_u32_e32 v2, s19, v13
	s_mov_b32 s6, exec_lo
	s_delay_alu instid0(VALU_DEP_2) | instskip(NEXT) | instid1(VALU_DEP_2)
	v_mul_lo_u32 v1, v1, s16
	v_mul_lo_u32 v2, v2, s18
	s_delay_alu instid0(VALU_DEP_1) | instskip(NEXT) | instid1(VALU_DEP_1)
	v_sub_nc_u32_e32 v1, v1, v2
	v_cmp_lt_u32_e32 vcc_lo, s20, v1
	v_cmpx_ge_u32_e64 s20, v1
; %bb.55:
	v_add_nc_u32_e32 v1, s22, v13
	v_add_nc_u32_e32 v2, s40, v13
	s_delay_alu instid0(VALU_DEP_2) | instskip(NEXT) | instid1(VALU_DEP_2)
	v_mul_lo_u32 v1, v1, s21
	v_mul_lo_u32 v2, v2, s23
	s_delay_alu instid0(VALU_DEP_1) | instskip(NEXT) | instid1(VALU_DEP_1)
	v_sub_nc_u32_e32 v1, v1, v2
	v_cmp_lt_u32_e64 s0, s41, v1
	s_delay_alu instid0(VALU_DEP_1)
	s_and_b32 s2, s0, exec_lo
; %bb.56:
	s_or_b32 exec_lo, exec_lo, s6
	v_cndmask_b32_e64 v41, 0, 1, vcc_lo
	v_cndmask_b32_e64 v39, 0, 1, s2
.LBB1386_57:
	s_or_b32 exec_lo, exec_lo, s1
	v_dual_mov_b32 v40, 0 :: v_dual_add_nc_u32 v1, 6, v28
	v_mov_b32_e32 v42, 0
	s_mov_b32 s2, 0
	s_mov_b32 s1, exec_lo
	s_delay_alu instid0(VALU_DEP_2)
	v_cmpx_gt_u32_e64 s3, v1
	s_cbranch_execz .LBB1386_61
; %bb.58:
	v_add_nc_u32_e32 v1, s17, v10
	v_add_nc_u32_e32 v2, s19, v10
	s_mov_b32 s6, exec_lo
	s_delay_alu instid0(VALU_DEP_2) | instskip(NEXT) | instid1(VALU_DEP_2)
	v_mul_lo_u32 v1, v1, s16
	v_mul_lo_u32 v2, v2, s18
	s_delay_alu instid0(VALU_DEP_1) | instskip(NEXT) | instid1(VALU_DEP_1)
	v_sub_nc_u32_e32 v1, v1, v2
	v_cmp_lt_u32_e32 vcc_lo, s20, v1
	v_cmpx_ge_u32_e64 s20, v1
; %bb.59:
	v_add_nc_u32_e32 v1, s22, v10
	v_add_nc_u32_e32 v2, s40, v10
	s_delay_alu instid0(VALU_DEP_2) | instskip(NEXT) | instid1(VALU_DEP_2)
	v_mul_lo_u32 v1, v1, s21
	v_mul_lo_u32 v2, v2, s23
	s_delay_alu instid0(VALU_DEP_1) | instskip(NEXT) | instid1(VALU_DEP_1)
	v_sub_nc_u32_e32 v1, v1, v2
	v_cmp_lt_u32_e64 s0, s41, v1
	s_delay_alu instid0(VALU_DEP_1)
	s_and_b32 s2, s0, exec_lo
; %bb.60:
	s_or_b32 exec_lo, exec_lo, s6
	v_cndmask_b32_e64 v42, 0, 1, vcc_lo
	v_cndmask_b32_e64 v40, 0, 1, s2
.LBB1386_61:
	s_or_b32 exec_lo, exec_lo, s1
	v_dual_mov_b32 v44, 0 :: v_dual_add_nc_u32 v1, 7, v28
	v_mov_b32_e32 v43, 0
	s_mov_b32 s2, 0
	s_mov_b32 s1, exec_lo
	s_delay_alu instid0(VALU_DEP_2)
	;; [unrolled: 35-line block ×3, first 2 shown]
	v_cmpx_gt_u32_e64 s3, v1
	s_cbranch_execz .LBB1386_69
; %bb.66:
	v_add_nc_u32_e32 v1, s17, v8
	v_add_nc_u32_e32 v2, s19, v8
	s_mov_b32 s6, exec_lo
	s_delay_alu instid0(VALU_DEP_2) | instskip(NEXT) | instid1(VALU_DEP_2)
	v_mul_lo_u32 v1, v1, s16
	v_mul_lo_u32 v2, v2, s18
	s_delay_alu instid0(VALU_DEP_1) | instskip(NEXT) | instid1(VALU_DEP_1)
	v_sub_nc_u32_e32 v1, v1, v2
	v_cmp_lt_u32_e32 vcc_lo, s20, v1
	v_cmpx_ge_u32_e64 s20, v1
; %bb.67:
	v_add_nc_u32_e32 v1, s22, v8
	v_add_nc_u32_e32 v2, s40, v8
	s_delay_alu instid0(VALU_DEP_2) | instskip(NEXT) | instid1(VALU_DEP_2)
	v_mul_lo_u32 v1, v1, s21
	v_mul_lo_u32 v2, v2, s23
	s_delay_alu instid0(VALU_DEP_1) | instskip(NEXT) | instid1(VALU_DEP_1)
	v_sub_nc_u32_e32 v1, v1, v2
	v_cmp_lt_u32_e64 s0, s41, v1
	s_delay_alu instid0(VALU_DEP_1)
	s_and_b32 s2, s0, exec_lo
; %bb.68:
	s_or_b32 exec_lo, exec_lo, s6
	v_cndmask_b32_e64 v46, 0, 1, vcc_lo
	v_cndmask_b32_e64 v45, 0, 1, s2
.LBB1386_69:
	s_or_b32 exec_lo, exec_lo, s1
	v_add_nc_u32_e32 v1, 9, v28
	v_mov_b32_e32 v47, 0
	v_mov_b32_e32 v49, 0
	s_mov_b32 s2, 0
	s_mov_b32 s1, exec_lo
	v_cmpx_gt_u32_e64 s3, v1
	s_cbranch_execz .LBB1386_73
; %bb.70:
	v_add_nc_u32_e32 v1, s17, v9
	v_add_nc_u32_e32 v2, s19, v9
	s_mov_b32 s6, exec_lo
	s_delay_alu instid0(VALU_DEP_2) | instskip(NEXT) | instid1(VALU_DEP_2)
	v_mul_lo_u32 v1, v1, s16
	v_mul_lo_u32 v2, v2, s18
	s_delay_alu instid0(VALU_DEP_1) | instskip(NEXT) | instid1(VALU_DEP_1)
	v_sub_nc_u32_e32 v1, v1, v2
	v_cmp_lt_u32_e32 vcc_lo, s20, v1
	v_cmpx_ge_u32_e64 s20, v1
; %bb.71:
	v_add_nc_u32_e32 v1, s22, v9
	v_add_nc_u32_e32 v2, s40, v9
	s_delay_alu instid0(VALU_DEP_2) | instskip(NEXT) | instid1(VALU_DEP_2)
	v_mul_lo_u32 v1, v1, s21
	v_mul_lo_u32 v2, v2, s23
	s_delay_alu instid0(VALU_DEP_1) | instskip(NEXT) | instid1(VALU_DEP_1)
	v_sub_nc_u32_e32 v1, v1, v2
	v_cmp_lt_u32_e64 s0, s41, v1
	s_delay_alu instid0(VALU_DEP_1)
	s_and_b32 s2, s0, exec_lo
; %bb.72:
	s_or_b32 exec_lo, exec_lo, s6
	v_cndmask_b32_e64 v49, 0, 1, vcc_lo
	v_cndmask_b32_e64 v47, 0, 1, s2
.LBB1386_73:
	s_or_b32 exec_lo, exec_lo, s1
	v_dual_mov_b32 v48, 0 :: v_dual_add_nc_u32 v1, 10, v28
	v_mov_b32_e32 v50, 0
	s_mov_b32 s2, 0
	s_mov_b32 s1, exec_lo
	s_delay_alu instid0(VALU_DEP_2)
	v_cmpx_gt_u32_e64 s3, v1
	s_cbranch_execz .LBB1386_77
; %bb.74:
	v_add_nc_u32_e32 v1, s17, v6
	v_add_nc_u32_e32 v2, s19, v6
	s_mov_b32 s6, exec_lo
	s_delay_alu instid0(VALU_DEP_2) | instskip(NEXT) | instid1(VALU_DEP_2)
	v_mul_lo_u32 v1, v1, s16
	v_mul_lo_u32 v2, v2, s18
	s_delay_alu instid0(VALU_DEP_1) | instskip(NEXT) | instid1(VALU_DEP_1)
	v_sub_nc_u32_e32 v1, v1, v2
	v_cmp_lt_u32_e32 vcc_lo, s20, v1
	v_cmpx_ge_u32_e64 s20, v1
; %bb.75:
	v_add_nc_u32_e32 v1, s22, v6
	v_add_nc_u32_e32 v2, s40, v6
	s_delay_alu instid0(VALU_DEP_2) | instskip(NEXT) | instid1(VALU_DEP_2)
	v_mul_lo_u32 v1, v1, s21
	v_mul_lo_u32 v2, v2, s23
	s_delay_alu instid0(VALU_DEP_1) | instskip(NEXT) | instid1(VALU_DEP_1)
	v_sub_nc_u32_e32 v1, v1, v2
	v_cmp_lt_u32_e64 s0, s41, v1
	s_delay_alu instid0(VALU_DEP_1)
	s_and_b32 s2, s0, exec_lo
; %bb.76:
	s_or_b32 exec_lo, exec_lo, s6
	v_cndmask_b32_e64 v50, 0, 1, vcc_lo
	v_cndmask_b32_e64 v48, 0, 1, s2
.LBB1386_77:
	s_or_b32 exec_lo, exec_lo, s1
	v_dual_mov_b32 v52, 0 :: v_dual_add_nc_u32 v1, 11, v28
	v_mov_b32_e32 v51, 0
	s_mov_b32 s2, 0
	s_mov_b32 s1, exec_lo
	s_delay_alu instid0(VALU_DEP_2)
	v_cmpx_gt_u32_e64 s3, v1
	s_cbranch_execz .LBB1386_81
; %bb.78:
	v_add_nc_u32_e32 v1, s17, v7
	v_add_nc_u32_e32 v2, s19, v7
	s_mov_b32 s6, exec_lo
	s_delay_alu instid0(VALU_DEP_2) | instskip(NEXT) | instid1(VALU_DEP_2)
	v_mul_lo_u32 v1, v1, s16
	v_mul_lo_u32 v2, v2, s18
	s_delay_alu instid0(VALU_DEP_1) | instskip(NEXT) | instid1(VALU_DEP_1)
	v_sub_nc_u32_e32 v1, v1, v2
	v_cmp_lt_u32_e32 vcc_lo, s20, v1
	v_cmpx_ge_u32_e64 s20, v1
; %bb.79:
	v_add_nc_u32_e32 v1, s22, v7
	v_add_nc_u32_e32 v2, s40, v7
	s_delay_alu instid0(VALU_DEP_2) | instskip(NEXT) | instid1(VALU_DEP_2)
	v_mul_lo_u32 v1, v1, s21
	v_mul_lo_u32 v2, v2, s23
	s_delay_alu instid0(VALU_DEP_1) | instskip(NEXT) | instid1(VALU_DEP_1)
	v_sub_nc_u32_e32 v1, v1, v2
	v_cmp_lt_u32_e64 s0, s41, v1
	s_delay_alu instid0(VALU_DEP_1)
	s_and_b32 s2, s0, exec_lo
; %bb.80:
	s_or_b32 exec_lo, exec_lo, s6
	v_cndmask_b32_e64 v51, 0, 1, vcc_lo
	v_cndmask_b32_e64 v52, 0, 1, s2
.LBB1386_81:
	s_or_b32 exec_lo, exec_lo, s1
	v_add_nc_u32_e32 v1, 12, v28
	s_mov_b32 s42, 0
	s_mov_b32 s43, 0
	s_mov_b32 s0, exec_lo
	s_delay_alu instid0(VALU_DEP_1)
	v_cmpx_gt_u32_e64 s3, v1
	s_cbranch_execz .LBB1386_85
; %bb.82:
	v_add_nc_u32_e32 v1, s17, v27
	v_add_nc_u32_e32 v2, s19, v27
	s_mov_b32 s2, -1
	s_mov_b32 s6, 0
	s_mov_b32 s1, exec_lo
	v_mul_lo_u32 v1, v1, s16
	v_mul_lo_u32 v2, v2, s18
	s_delay_alu instid0(VALU_DEP_1) | instskip(NEXT) | instid1(VALU_DEP_1)
	v_sub_nc_u32_e32 v1, v1, v2
	v_cmpx_ge_u32_e64 s20, v1
; %bb.83:
	v_add_nc_u32_e32 v1, s22, v27
	v_add_nc_u32_e32 v2, s40, v27
	s_xor_b32 s2, exec_lo, -1
	s_delay_alu instid0(VALU_DEP_2) | instskip(NEXT) | instid1(VALU_DEP_2)
	v_mul_lo_u32 v1, v1, s21
	v_mul_lo_u32 v2, v2, s23
	s_delay_alu instid0(VALU_DEP_1) | instskip(NEXT) | instid1(VALU_DEP_1)
	v_sub_nc_u32_e32 v1, v1, v2
	v_cmp_lt_u32_e32 vcc_lo, s41, v1
	s_and_b32 s6, vcc_lo, exec_lo
; %bb.84:
	s_or_b32 exec_lo, exec_lo, s1
	s_delay_alu instid0(SALU_CYCLE_1)
	s_and_b32 s43, s6, exec_lo
	s_and_b32 s42, s2, exec_lo
.LBB1386_85:
	s_or_b32 exec_lo, exec_lo, s0
.LBB1386_86:
	v_and_b32_e32 v75, 0xff, v29
	v_and_b32_e32 v76, 0xff, v30
	;; [unrolled: 1-line block ×10, first 2 shown]
	v_add3_u32 v1, v71, v73, v75
	v_add3_u32 v2, v72, v74, v76
	v_and_b32_e32 v65, 0xff, v41
	v_and_b32_e32 v66, 0xff, v39
	v_and_b32_e32 v61, 0xff, v42
	v_and_b32_e32 v62, 0xff, v40
	v_add3_u32 v1, v1, v69, v67
	v_add3_u32 v2, v2, v70, v68
	v_and_b32_e32 v63, 0xff, v44
	v_and_b32_e32 v64, 0xff, v43
	v_and_b32_e32 v59, 0xff, v46
	v_and_b32_e32 v60, 0xff, v45
	;; [unrolled: 6-line block ×3, first 2 shown]
	v_add3_u32 v1, v1, v63, v59
	v_add3_u32 v2, v2, v64, v60
	v_mbcnt_lo_u32_b32 v77, -1, 0
	v_and_b32_e32 v53, 0xff, v51
	v_and_b32_e32 v54, 0xff, v52
	v_cndmask_b32_e64 v3, 0, 1, s43
	v_add3_u32 v1, v1, v57, v55
	v_cndmask_b32_e64 v4, 0, 1, s42
	v_add3_u32 v2, v2, v58, v56
	v_and_b32_e32 v81, 15, v77
	v_and_b32_e32 v80, 16, v77
	v_lshrrev_b32_e32 v78, 5, v0
	v_add3_u32 v82, v1, v53, v4
	v_add3_u32 v83, v2, v54, v3
	v_cmp_eq_u32_e64 s1, 0, v81
	v_cmp_lt_u32_e64 s0, 1, v81
	v_cmp_lt_u32_e64 s2, 3, v81
	v_cmp_lt_u32_e32 vcc_lo, 7, v81
	v_or_b32_e32 v79, 31, v0
	s_cmp_lg_u32 s15, 0
	s_mov_b32 s6, -1
	s_cbranch_scc0 .LBB1386_119
; %bb.87:
	v_mov_b32_dpp v1, v83 row_shr:1 row_mask:0xf bank_mask:0xf
	v_mov_b32_dpp v2, v82 row_shr:1 row_mask:0xf bank_mask:0xf
	s_delay_alu instid0(VALU_DEP_2) | instskip(NEXT) | instid1(VALU_DEP_1)
	v_add_nc_u32_e32 v1, v1, v83
	v_cndmask_b32_e64 v1, v1, v83, s1
	s_delay_alu instid0(VALU_DEP_1) | instskip(NEXT) | instid1(VALU_DEP_1)
	v_mov_b32_dpp v3, v1 row_shr:2 row_mask:0xf bank_mask:0xf
	v_add_nc_u32_e32 v3, v1, v3
	s_delay_alu instid0(VALU_DEP_1) | instskip(NEXT) | instid1(VALU_DEP_1)
	v_cndmask_b32_e64 v1, v1, v3, s0
	v_mov_b32_dpp v3, v1 row_shr:4 row_mask:0xf bank_mask:0xf
	s_delay_alu instid0(VALU_DEP_1) | instskip(NEXT) | instid1(VALU_DEP_1)
	v_add_nc_u32_e32 v3, v1, v3
	v_cndmask_b32_e64 v1, v1, v3, s2
	s_delay_alu instid0(VALU_DEP_1) | instskip(NEXT) | instid1(VALU_DEP_1)
	v_mov_b32_dpp v3, v1 row_shr:8 row_mask:0xf bank_mask:0xf
	v_add_nc_u32_e32 v3, v1, v3
	s_delay_alu instid0(VALU_DEP_1) | instskip(NEXT) | instid1(VALU_DEP_1)
	v_dual_cndmask_b32 v1, v1, v3 :: v_dual_add_nc_u32 v2, v2, v82
	v_cndmask_b32_e64 v2, v2, v82, s1
	s_delay_alu instid0(VALU_DEP_1) | instskip(NEXT) | instid1(VALU_DEP_1)
	v_mov_b32_dpp v4, v2 row_shr:2 row_mask:0xf bank_mask:0xf
	v_add_nc_u32_e32 v4, v2, v4
	s_delay_alu instid0(VALU_DEP_1) | instskip(NEXT) | instid1(VALU_DEP_1)
	v_cndmask_b32_e64 v2, v2, v4, s0
	v_mov_b32_dpp v4, v2 row_shr:4 row_mask:0xf bank_mask:0xf
	s_delay_alu instid0(VALU_DEP_1) | instskip(NEXT) | instid1(VALU_DEP_1)
	v_add_nc_u32_e32 v4, v2, v4
	v_cndmask_b32_e64 v2, v2, v4, s2
	s_mov_b32 s2, exec_lo
	s_delay_alu instid0(VALU_DEP_1) | instskip(NEXT) | instid1(VALU_DEP_1)
	v_mov_b32_dpp v4, v2 row_shr:8 row_mask:0xf bank_mask:0xf
	v_add_nc_u32_e32 v4, v2, v4
	s_delay_alu instid0(VALU_DEP_1)
	v_cndmask_b32_e32 v3, v2, v4, vcc_lo
	ds_swizzle_b32 v2, v1 offset:swizzle(BROADCAST,32,15)
	v_cmp_eq_u32_e32 vcc_lo, 0, v80
	s_waitcnt lgkmcnt(0)
	v_add_nc_u32_e32 v2, v1, v2
	ds_swizzle_b32 v4, v3 offset:swizzle(BROADCAST,32,15)
	v_cndmask_b32_e32 v2, v2, v1, vcc_lo
	s_waitcnt lgkmcnt(0)
	v_add_nc_u32_e32 v4, v3, v4
	s_delay_alu instid0(VALU_DEP_1)
	v_cndmask_b32_e32 v1, v4, v3, vcc_lo
	v_cmpx_eq_u32_e64 v79, v0
	s_cbranch_execz .LBB1386_89
; %bb.88:
	v_lshlrev_b32_e32 v3, 3, v78
	ds_store_b64 v3, v[1:2]
.LBB1386_89:
	s_or_b32 exec_lo, exec_lo, s2
	s_delay_alu instid0(SALU_CYCLE_1)
	s_mov_b32 s2, exec_lo
	s_waitcnt lgkmcnt(0)
	s_barrier
	buffer_gl0_inv
	v_cmpx_gt_u32_e32 8, v0
	s_cbranch_execz .LBB1386_91
; %bb.90:
	v_lshlrev_b32_e32 v5, 3, v0
	ds_load_b64 v[3:4], v5
	s_waitcnt lgkmcnt(0)
	v_mov_b32_dpp v18, v3 row_shr:1 row_mask:0xf bank_mask:0xf
	v_mov_b32_dpp v19, v4 row_shr:1 row_mask:0xf bank_mask:0xf
	s_delay_alu instid0(VALU_DEP_2) | instskip(SKIP_1) | instid1(VALU_DEP_3)
	v_add_nc_u32_e32 v18, v18, v3
	v_and_b32_e32 v20, 7, v77
	v_add_nc_u32_e32 v19, v19, v4
	s_delay_alu instid0(VALU_DEP_2) | instskip(NEXT) | instid1(VALU_DEP_2)
	v_cmp_eq_u32_e32 vcc_lo, 0, v20
	v_dual_cndmask_b32 v4, v19, v4 :: v_dual_cndmask_b32 v3, v18, v3
	v_cmp_lt_u32_e32 vcc_lo, 1, v20
	s_delay_alu instid0(VALU_DEP_2) | instskip(NEXT) | instid1(VALU_DEP_3)
	v_mov_b32_dpp v19, v4 row_shr:2 row_mask:0xf bank_mask:0xf
	v_mov_b32_dpp v18, v3 row_shr:2 row_mask:0xf bank_mask:0xf
	s_delay_alu instid0(VALU_DEP_2) | instskip(NEXT) | instid1(VALU_DEP_2)
	v_add_nc_u32_e32 v19, v4, v19
	v_add_nc_u32_e32 v18, v3, v18
	s_delay_alu instid0(VALU_DEP_1) | instskip(SKIP_1) | instid1(VALU_DEP_2)
	v_dual_cndmask_b32 v4, v4, v19 :: v_dual_cndmask_b32 v3, v3, v18
	v_cmp_lt_u32_e32 vcc_lo, 3, v20
	v_mov_b32_dpp v19, v4 row_shr:4 row_mask:0xf bank_mask:0xf
	s_delay_alu instid0(VALU_DEP_3) | instskip(NEXT) | instid1(VALU_DEP_1)
	v_mov_b32_dpp v18, v3 row_shr:4 row_mask:0xf bank_mask:0xf
	v_dual_cndmask_b32 v19, 0, v19 :: v_dual_cndmask_b32 v18, 0, v18
	s_delay_alu instid0(VALU_DEP_1) | instskip(NEXT) | instid1(VALU_DEP_2)
	v_add_nc_u32_e32 v4, v19, v4
	v_add_nc_u32_e32 v3, v18, v3
	ds_store_b64 v5, v[3:4]
.LBB1386_91:
	s_or_b32 exec_lo, exec_lo, s2
	v_cmp_gt_u32_e32 vcc_lo, 32, v0
	v_cmp_lt_u32_e64 s2, 31, v0
	s_waitcnt lgkmcnt(0)
	s_barrier
	buffer_gl0_inv
                                        ; implicit-def: $vgpr19
	s_and_saveexec_b32 s6, s2
	s_delay_alu instid0(SALU_CYCLE_1)
	s_xor_b32 s2, exec_lo, s6
	s_cbranch_execz .LBB1386_93
; %bb.92:
	v_lshl_add_u32 v3, v78, 3, -8
	ds_load_b64 v[18:19], v3
	s_waitcnt lgkmcnt(0)
	v_add_nc_u32_e32 v2, v19, v2
	v_add_nc_u32_e32 v1, v18, v1
.LBB1386_93:
	s_and_not1_saveexec_b32 s2, s2
; %bb.94:
                                        ; implicit-def: $vgpr18
; %bb.95:
	s_delay_alu instid0(SALU_CYCLE_1) | instskip(SKIP_1) | instid1(VALU_DEP_1)
	s_or_b32 exec_lo, exec_lo, s2
	v_add_nc_u32_e32 v3, -1, v77
	v_cmp_gt_i32_e64 s2, 0, v3
	s_delay_alu instid0(VALU_DEP_1) | instskip(SKIP_1) | instid1(VALU_DEP_2)
	v_cndmask_b32_e64 v3, v3, v77, s2
	v_cmp_eq_u32_e64 s2, 0, v77
	v_lshlrev_b32_e32 v3, 2, v3
	ds_bpermute_b32 v84, v3, v1
	ds_bpermute_b32 v85, v3, v2
	s_and_saveexec_b32 s6, vcc_lo
	s_cbranch_execz .LBB1386_118
; %bb.96:
	v_mov_b32_e32 v4, 0
	ds_load_b64 v[1:2], v4 offset:56
	s_waitcnt lgkmcnt(0)
	v_readfirstlane_b32 s7, v2
	s_and_saveexec_b32 s8, s2
	s_cbranch_execz .LBB1386_98
; %bb.97:
	s_add_i32 s10, s15, 32
	s_mov_b32 s11, 0
	v_mov_b32_e32 v3, 1
	s_lshl_b64 s[12:13], s[10:11], 4
	s_mov_b32 s16, s11
	s_add_u32 s12, s4, s12
	s_addc_u32 s13, s5, s13
	s_and_b32 s17, s7, 0xff000000
	s_and_b32 s19, s7, 0xff0000
	s_mov_b32 s18, s11
	v_dual_mov_b32 v21, s13 :: v_dual_mov_b32 v20, s12
	s_or_b64 s[16:17], s[18:19], s[16:17]
	s_and_b32 s19, s7, 0xff00
	s_delay_alu instid0(SALU_CYCLE_1) | instskip(SKIP_1) | instid1(SALU_CYCLE_1)
	s_or_b64 s[16:17], s[16:17], s[18:19]
	s_and_b32 s19, s7, 0xff
	s_or_b64 s[10:11], s[16:17], s[18:19]
	s_delay_alu instid0(SALU_CYCLE_1)
	v_mov_b32_e32 v2, s11
	;;#ASMSTART
	global_store_dwordx4 v[20:21], v[1:4] off	
s_waitcnt vmcnt(0)
	;;#ASMEND
.LBB1386_98:
	s_or_b32 exec_lo, exec_lo, s8
	v_xad_u32 v20, v77, -1, s15
	s_mov_b32 s9, 0
	s_mov_b32 s8, exec_lo
	s_delay_alu instid0(VALU_DEP_1) | instskip(NEXT) | instid1(VALU_DEP_1)
	v_add_nc_u32_e32 v3, 32, v20
	v_lshlrev_b64 v[2:3], 4, v[3:4]
	s_delay_alu instid0(VALU_DEP_1) | instskip(NEXT) | instid1(VALU_DEP_2)
	v_add_co_u32 v21, vcc_lo, s4, v2
	v_add_co_ci_u32_e32 v22, vcc_lo, s5, v3, vcc_lo
	;;#ASMSTART
	global_load_dwordx4 v[2:5], v[21:22] off glc	
s_waitcnt vmcnt(0)
	;;#ASMEND
	v_and_b32_e32 v5, 0xff, v3
	v_and_b32_e32 v23, 0xff00, v3
	v_or3_b32 v2, v2, 0, 0
	v_and_b32_e32 v24, 0xff000000, v3
	v_and_b32_e32 v3, 0xff0000, v3
	s_delay_alu instid0(VALU_DEP_4) | instskip(SKIP_2) | instid1(VALU_DEP_3)
	v_or3_b32 v5, 0, v5, v23
	v_and_b32_e32 v23, 0xff, v4
	v_or3_b32 v2, v2, 0, 0
	v_or3_b32 v3, v5, v3, v24
	s_delay_alu instid0(VALU_DEP_3)
	v_cmpx_eq_u16_e32 0, v23
	s_cbranch_execz .LBB1386_104
; %bb.99:
	s_mov_b32 s10, 1
	.p2align	6
.LBB1386_100:                           ; =>This Loop Header: Depth=1
                                        ;     Child Loop BB1386_101 Depth 2
	s_delay_alu instid0(SALU_CYCLE_1)
	s_max_u32 s11, s10, 1
.LBB1386_101:                           ;   Parent Loop BB1386_100 Depth=1
                                        ; =>  This Inner Loop Header: Depth=2
	s_delay_alu instid0(SALU_CYCLE_1)
	s_add_i32 s11, s11, -1
	s_sleep 1
	s_cmp_eq_u32 s11, 0
	s_cbranch_scc0 .LBB1386_101
; %bb.102:                              ;   in Loop: Header=BB1386_100 Depth=1
	;;#ASMSTART
	global_load_dwordx4 v[2:5], v[21:22] off glc	
s_waitcnt vmcnt(0)
	;;#ASMEND
	v_and_b32_e32 v5, 0xff, v4
	s_cmp_lt_u32 s10, 32
	s_cselect_b32 s11, -1, 0
	s_delay_alu instid0(SALU_CYCLE_1) | instskip(NEXT) | instid1(VALU_DEP_1)
	s_cmp_lg_u32 s11, 0
	v_cmp_ne_u16_e32 vcc_lo, 0, v5
	s_addc_u32 s10, s10, 0
	s_or_b32 s9, vcc_lo, s9
	s_delay_alu instid0(SALU_CYCLE_1)
	s_and_not1_b32 exec_lo, exec_lo, s9
	s_cbranch_execnz .LBB1386_100
; %bb.103:
	s_or_b32 exec_lo, exec_lo, s9
.LBB1386_104:
	s_delay_alu instid0(SALU_CYCLE_1)
	s_or_b32 exec_lo, exec_lo, s8
	v_cmp_ne_u32_e32 vcc_lo, 31, v77
	v_lshlrev_b32_e64 v87, v77, -1
	v_add_nc_u32_e32 v91, 4, v77
	v_add_nc_u32_e32 v93, 8, v77
	;; [unrolled: 1-line block ×3, first 2 shown]
	v_add_co_ci_u32_e32 v5, vcc_lo, 0, v77, vcc_lo
	s_delay_alu instid0(VALU_DEP_1)
	v_lshlrev_b32_e32 v86, 2, v5
	ds_bpermute_b32 v21, v86, v3
	ds_bpermute_b32 v5, v86, v2
	s_waitcnt lgkmcnt(1)
	v_add_nc_u32_e32 v21, v21, v3
	v_and_b32_e32 v22, 0xff, v4
	s_waitcnt lgkmcnt(0)
	v_add_nc_u32_e32 v5, v5, v2
	s_delay_alu instid0(VALU_DEP_2) | instskip(SKIP_2) | instid1(VALU_DEP_2)
	v_cmp_eq_u16_e32 vcc_lo, 2, v22
	v_and_or_b32 v22, vcc_lo, v87, 0x80000000
	v_cmp_gt_u32_e32 vcc_lo, 30, v77
	v_ctz_i32_b32_e32 v22, v22
	v_cndmask_b32_e64 v23, 0, 1, vcc_lo
	s_delay_alu instid0(VALU_DEP_2) | instskip(NEXT) | instid1(VALU_DEP_2)
	v_cmp_lt_u32_e32 vcc_lo, v77, v22
	v_dual_cndmask_b32 v2, v2, v5 :: v_dual_lshlrev_b32 v23, 1, v23
	s_delay_alu instid0(VALU_DEP_1)
	v_add_lshl_u32 v88, v23, v77, 2
	v_cndmask_b32_e32 v3, v3, v21, vcc_lo
	v_cmp_gt_u32_e32 vcc_lo, 28, v77
	ds_bpermute_b32 v5, v88, v2
	ds_bpermute_b32 v21, v88, v3
	v_cndmask_b32_e64 v23, 0, 1, vcc_lo
	s_waitcnt lgkmcnt(1)
	v_add_nc_u32_e32 v5, v2, v5
	v_add_nc_u32_e32 v89, 2, v77
	s_waitcnt lgkmcnt(0)
	v_add_nc_u32_e32 v21, v3, v21
	s_delay_alu instid0(VALU_DEP_2) | instskip(SKIP_1) | instid1(VALU_DEP_3)
	v_cmp_gt_u32_e32 vcc_lo, v89, v22
	v_dual_cndmask_b32 v2, v5, v2 :: v_dual_lshlrev_b32 v23, 2, v23
	v_cndmask_b32_e32 v3, v21, v3, vcc_lo
	v_cmp_gt_u32_e32 vcc_lo, 24, v77
	s_delay_alu instid0(VALU_DEP_3)
	v_add_lshl_u32 v90, v23, v77, 2
	v_cndmask_b32_e64 v23, 0, 1, vcc_lo
	v_cmp_gt_u32_e32 vcc_lo, v91, v22
	ds_bpermute_b32 v5, v90, v2
	ds_bpermute_b32 v21, v90, v3
	v_lshlrev_b32_e32 v23, 3, v23
	s_delay_alu instid0(VALU_DEP_1) | instskip(SKIP_3) | instid1(VALU_DEP_1)
	v_add_lshl_u32 v92, v23, v77, 2
	s_waitcnt lgkmcnt(1)
	v_add_nc_u32_e32 v5, v2, v5
	s_waitcnt lgkmcnt(0)
	v_dual_cndmask_b32 v2, v5, v2 :: v_dual_add_nc_u32 v21, v3, v21
	s_delay_alu instid0(VALU_DEP_1)
	v_cndmask_b32_e32 v3, v21, v3, vcc_lo
	v_cmp_gt_u32_e32 vcc_lo, 16, v77
	ds_bpermute_b32 v5, v92, v2
	ds_bpermute_b32 v21, v92, v3
	v_cndmask_b32_e64 v23, 0, 1, vcc_lo
	v_cmp_gt_u32_e32 vcc_lo, v93, v22
	s_delay_alu instid0(VALU_DEP_2) | instskip(NEXT) | instid1(VALU_DEP_1)
	v_lshlrev_b32_e32 v23, 4, v23
	v_add_lshl_u32 v94, v23, v77, 2
	s_waitcnt lgkmcnt(1)
	v_add_nc_u32_e32 v5, v2, v5
	s_waitcnt lgkmcnt(0)
	s_delay_alu instid0(VALU_DEP_1) | instskip(NEXT) | instid1(VALU_DEP_1)
	v_dual_cndmask_b32 v2, v5, v2 :: v_dual_add_nc_u32 v21, v3, v21
	v_cndmask_b32_e32 v3, v21, v3, vcc_lo
	v_cmp_le_u32_e32 vcc_lo, v95, v22
	ds_bpermute_b32 v5, v94, v2
	ds_bpermute_b32 v21, v94, v3
	s_waitcnt lgkmcnt(1)
	v_cndmask_b32_e32 v5, 0, v5, vcc_lo
	s_waitcnt lgkmcnt(0)
	s_delay_alu instid0(VALU_DEP_1) | instskip(NEXT) | instid1(VALU_DEP_1)
	v_dual_cndmask_b32 v21, 0, v21 :: v_dual_add_nc_u32 v2, v5, v2
	v_add_nc_u32_e32 v3, v21, v3
	v_mov_b32_e32 v21, 0
	s_branch .LBB1386_106
.LBB1386_105:                           ;   in Loop: Header=BB1386_106 Depth=1
	s_or_b32 exec_lo, exec_lo, s8
	ds_bpermute_b32 v5, v86, v2
	ds_bpermute_b32 v24, v86, v3
	v_subrev_nc_u32_e32 v20, 32, v20
	s_waitcnt lgkmcnt(1)
	v_add_nc_u32_e32 v5, v5, v2
	v_and_b32_e32 v25, 0xff, v4
	s_waitcnt lgkmcnt(0)
	v_add_nc_u32_e32 v24, v24, v3
	s_delay_alu instid0(VALU_DEP_2) | instskip(SKIP_1) | instid1(VALU_DEP_1)
	v_cmp_eq_u16_e32 vcc_lo, 2, v25
	v_and_or_b32 v25, vcc_lo, v87, 0x80000000
	v_ctz_i32_b32_e32 v25, v25
	s_delay_alu instid0(VALU_DEP_1)
	v_cmp_lt_u32_e32 vcc_lo, v77, v25
	v_cndmask_b32_e32 v2, v2, v5, vcc_lo
	ds_bpermute_b32 v5, v88, v2
	s_waitcnt lgkmcnt(0)
	v_add_nc_u32_e32 v5, v2, v5
	v_cndmask_b32_e32 v3, v3, v24, vcc_lo
	v_cmp_gt_u32_e32 vcc_lo, v89, v25
	s_delay_alu instid0(VALU_DEP_3)
	v_cndmask_b32_e32 v2, v5, v2, vcc_lo
	ds_bpermute_b32 v24, v88, v3
	ds_bpermute_b32 v5, v90, v2
	s_waitcnt lgkmcnt(1)
	v_add_nc_u32_e32 v24, v3, v24
	s_waitcnt lgkmcnt(0)
	v_add_nc_u32_e32 v5, v2, v5
	s_delay_alu instid0(VALU_DEP_2) | instskip(SKIP_1) | instid1(VALU_DEP_3)
	v_cndmask_b32_e32 v3, v24, v3, vcc_lo
	v_cmp_gt_u32_e32 vcc_lo, v91, v25
	v_cndmask_b32_e32 v2, v5, v2, vcc_lo
	ds_bpermute_b32 v24, v90, v3
	ds_bpermute_b32 v5, v92, v2
	s_waitcnt lgkmcnt(1)
	v_add_nc_u32_e32 v24, v3, v24
	s_waitcnt lgkmcnt(0)
	v_add_nc_u32_e32 v5, v2, v5
	s_delay_alu instid0(VALU_DEP_2) | instskip(SKIP_1) | instid1(VALU_DEP_3)
	v_cndmask_b32_e32 v3, v24, v3, vcc_lo
	v_cmp_gt_u32_e32 vcc_lo, v93, v25
	v_cndmask_b32_e32 v2, v5, v2, vcc_lo
	ds_bpermute_b32 v24, v92, v3
	ds_bpermute_b32 v5, v94, v2
	s_waitcnt lgkmcnt(1)
	v_add_nc_u32_e32 v24, v3, v24
	s_delay_alu instid0(VALU_DEP_1) | instskip(SKIP_4) | instid1(VALU_DEP_1)
	v_cndmask_b32_e32 v3, v24, v3, vcc_lo
	v_cmp_le_u32_e32 vcc_lo, v95, v25
	ds_bpermute_b32 v24, v94, v3
	s_waitcnt lgkmcnt(1)
	v_cndmask_b32_e32 v5, 0, v5, vcc_lo
	v_add3_u32 v2, v2, v22, v5
	s_waitcnt lgkmcnt(0)
	v_cndmask_b32_e32 v24, 0, v24, vcc_lo
	s_delay_alu instid0(VALU_DEP_1)
	v_add3_u32 v3, v3, v23, v24
.LBB1386_106:                           ; =>This Loop Header: Depth=1
                                        ;     Child Loop BB1386_109 Depth 2
                                        ;       Child Loop BB1386_110 Depth 3
	s_delay_alu instid0(VALU_DEP_1) | instskip(SKIP_1) | instid1(VALU_DEP_2)
	v_dual_mov_b32 v23, v3 :: v_dual_and_b32 v4, 0xff, v4
	v_mov_b32_e32 v22, v2
	v_cmp_ne_u16_e32 vcc_lo, 2, v4
	v_cndmask_b32_e64 v4, 0, 1, vcc_lo
	;;#ASMSTART
	;;#ASMEND
	s_delay_alu instid0(VALU_DEP_1)
	v_cmp_ne_u32_e32 vcc_lo, 0, v4
	s_cmp_lg_u32 vcc_lo, exec_lo
	s_cbranch_scc1 .LBB1386_113
; %bb.107:                              ;   in Loop: Header=BB1386_106 Depth=1
	v_lshlrev_b64 v[2:3], 4, v[20:21]
	s_mov_b32 s8, exec_lo
	s_delay_alu instid0(VALU_DEP_1) | instskip(NEXT) | instid1(VALU_DEP_2)
	v_add_co_u32 v24, vcc_lo, s4, v2
	v_add_co_ci_u32_e32 v25, vcc_lo, s5, v3, vcc_lo
	;;#ASMSTART
	global_load_dwordx4 v[2:5], v[24:25] off glc	
s_waitcnt vmcnt(0)
	;;#ASMEND
	v_and_b32_e32 v5, 0xff, v3
	v_and_b32_e32 v96, 0xff00, v3
	v_or3_b32 v2, v2, 0, 0
	v_and_b32_e32 v97, 0xff000000, v3
	v_and_b32_e32 v3, 0xff0000, v3
	s_delay_alu instid0(VALU_DEP_4) | instskip(SKIP_2) | instid1(VALU_DEP_3)
	v_or3_b32 v5, 0, v5, v96
	v_and_b32_e32 v96, 0xff, v4
	v_or3_b32 v2, v2, 0, 0
	v_or3_b32 v3, v5, v3, v97
	s_delay_alu instid0(VALU_DEP_3)
	v_cmpx_eq_u16_e32 0, v96
	s_cbranch_execz .LBB1386_105
; %bb.108:                              ;   in Loop: Header=BB1386_106 Depth=1
	s_mov_b32 s10, 1
	s_mov_b32 s9, 0
	.p2align	6
.LBB1386_109:                           ;   Parent Loop BB1386_106 Depth=1
                                        ; =>  This Loop Header: Depth=2
                                        ;       Child Loop BB1386_110 Depth 3
	s_max_u32 s11, s10, 1
.LBB1386_110:                           ;   Parent Loop BB1386_106 Depth=1
                                        ;     Parent Loop BB1386_109 Depth=2
                                        ; =>    This Inner Loop Header: Depth=3
	s_delay_alu instid0(SALU_CYCLE_1)
	s_add_i32 s11, s11, -1
	s_sleep 1
	s_cmp_eq_u32 s11, 0
	s_cbranch_scc0 .LBB1386_110
; %bb.111:                              ;   in Loop: Header=BB1386_109 Depth=2
	;;#ASMSTART
	global_load_dwordx4 v[2:5], v[24:25] off glc	
s_waitcnt vmcnt(0)
	;;#ASMEND
	v_and_b32_e32 v5, 0xff, v4
	s_cmp_lt_u32 s10, 32
	s_cselect_b32 s11, -1, 0
	s_delay_alu instid0(SALU_CYCLE_1) | instskip(NEXT) | instid1(VALU_DEP_1)
	s_cmp_lg_u32 s11, 0
	v_cmp_ne_u16_e32 vcc_lo, 0, v5
	s_addc_u32 s10, s10, 0
	s_or_b32 s9, vcc_lo, s9
	s_delay_alu instid0(SALU_CYCLE_1)
	s_and_not1_b32 exec_lo, exec_lo, s9
	s_cbranch_execnz .LBB1386_109
; %bb.112:                              ;   in Loop: Header=BB1386_106 Depth=1
	s_or_b32 exec_lo, exec_lo, s9
	s_branch .LBB1386_105
.LBB1386_113:                           ;   in Loop: Header=BB1386_106 Depth=1
                                        ; implicit-def: $vgpr4
                                        ; implicit-def: $vgpr2_vgpr3
	s_cbranch_execz .LBB1386_106
; %bb.114:
	s_and_saveexec_b32 s8, s2
	s_cbranch_execnz .LBB1386_357
; %bb.115:
	s_or_b32 exec_lo, exec_lo, s8
	s_and_saveexec_b32 s8, s2
	s_cbranch_execnz .LBB1386_358
.LBB1386_116:
	s_or_b32 exec_lo, exec_lo, s8
	v_cmp_eq_u32_e32 vcc_lo, 0, v0
	s_and_b32 exec_lo, exec_lo, vcc_lo
	s_cbranch_execz .LBB1386_118
.LBB1386_117:
	v_mov_b32_e32 v1, 0
	ds_store_b64 v1, v[22:23] offset:56
.LBB1386_118:
	s_or_b32 exec_lo, exec_lo, s6
	v_cmp_eq_u32_e32 vcc_lo, 0, v0
	v_mov_b32_e32 v1, 0
	s_waitcnt lgkmcnt(0)
	s_barrier
	buffer_gl0_inv
	v_add_nc_u32_e64 v3, 0x3400, 0
	ds_load_b64 v[20:21], v1 offset:56
	s_waitcnt lgkmcnt(0)
	s_barrier
	buffer_gl0_inv
	ds_load_2addr_b32 v[1:2], v3 offset1:2
	ds_load_2addr_b32 v[3:4], v3 offset0:4 offset1:6
	v_cndmask_b32_e64 v5, v84, v18, s2
	v_cndmask_b32_e64 v18, v85, v19, s2
	s_delay_alu instid0(VALU_DEP_2) | instskip(NEXT) | instid1(VALU_DEP_1)
	v_add_nc_u32_e32 v19, v20, v5
	v_dual_cndmask_b32 v20, v19, v20 :: v_dual_add_nc_u32 v5, v21, v18
	s_delay_alu instid0(VALU_DEP_1)
	v_cndmask_b32_e32 v5, v5, v21, vcc_lo
	s_branch .LBB1386_129
.LBB1386_119:
                                        ; implicit-def: $vgpr5
                                        ; implicit-def: $vgpr3
                                        ; implicit-def: $vgpr1
                                        ; implicit-def: $vgpr20_vgpr21
	s_and_b32 vcc_lo, exec_lo, s6
	s_cbranch_vccz .LBB1386_129
; %bb.120:
	s_waitcnt lgkmcnt(0)
	v_mov_b32_dpp v2, v83 row_shr:1 row_mask:0xf bank_mask:0xf
	v_cmp_lt_u32_e32 vcc_lo, 3, v81
	v_mov_b32_dpp v1, v82 row_shr:1 row_mask:0xf bank_mask:0xf
	s_delay_alu instid0(VALU_DEP_3) | instskip(NEXT) | instid1(VALU_DEP_1)
	v_add_nc_u32_e32 v2, v2, v83
	v_cndmask_b32_e64 v2, v2, v83, s1
	s_delay_alu instid0(VALU_DEP_1) | instskip(NEXT) | instid1(VALU_DEP_1)
	v_mov_b32_dpp v4, v2 row_shr:2 row_mask:0xf bank_mask:0xf
	v_add_nc_u32_e32 v4, v2, v4
	s_delay_alu instid0(VALU_DEP_1) | instskip(NEXT) | instid1(VALU_DEP_1)
	v_cndmask_b32_e64 v2, v2, v4, s0
	v_mov_b32_dpp v4, v2 row_shr:4 row_mask:0xf bank_mask:0xf
	s_delay_alu instid0(VALU_DEP_1) | instskip(NEXT) | instid1(VALU_DEP_1)
	v_add_nc_u32_e32 v4, v2, v4
	v_dual_cndmask_b32 v2, v2, v4 :: v_dual_add_nc_u32 v1, v1, v82
	s_delay_alu instid0(VALU_DEP_1) | instskip(NEXT) | instid1(VALU_DEP_2)
	v_cndmask_b32_e64 v1, v1, v82, s1
	v_mov_b32_dpp v4, v2 row_shr:8 row_mask:0xf bank_mask:0xf
	s_delay_alu instid0(VALU_DEP_2) | instskip(NEXT) | instid1(VALU_DEP_2)
	v_mov_b32_dpp v3, v1 row_shr:2 row_mask:0xf bank_mask:0xf
	v_add_nc_u32_e32 v4, v2, v4
	s_delay_alu instid0(VALU_DEP_2) | instskip(NEXT) | instid1(VALU_DEP_1)
	v_add_nc_u32_e32 v3, v1, v3
	v_cndmask_b32_e64 v1, v1, v3, s0
	s_mov_b32 s0, exec_lo
	s_delay_alu instid0(VALU_DEP_1) | instskip(NEXT) | instid1(VALU_DEP_1)
	v_mov_b32_dpp v3, v1 row_shr:4 row_mask:0xf bank_mask:0xf
	v_add_nc_u32_e32 v3, v1, v3
	s_delay_alu instid0(VALU_DEP_1) | instskip(SKIP_1) | instid1(VALU_DEP_2)
	v_cndmask_b32_e32 v1, v1, v3, vcc_lo
	v_cmp_lt_u32_e32 vcc_lo, 7, v81
	v_mov_b32_dpp v3, v1 row_shr:8 row_mask:0xf bank_mask:0xf
	s_delay_alu instid0(VALU_DEP_1) | instskip(NEXT) | instid1(VALU_DEP_1)
	v_dual_cndmask_b32 v2, v2, v4 :: v_dual_add_nc_u32 v3, v1, v3
	v_cndmask_b32_e32 v1, v1, v3, vcc_lo
	ds_swizzle_b32 v3, v2 offset:swizzle(BROADCAST,32,15)
	v_cmp_eq_u32_e32 vcc_lo, 0, v80
	ds_swizzle_b32 v4, v1 offset:swizzle(BROADCAST,32,15)
	s_waitcnt lgkmcnt(1)
	v_add_nc_u32_e32 v3, v2, v3
	s_waitcnt lgkmcnt(0)
	v_add_nc_u32_e32 v4, v1, v4
	s_delay_alu instid0(VALU_DEP_1)
	v_dual_cndmask_b32 v2, v3, v2 :: v_dual_cndmask_b32 v1, v4, v1
	v_cmpx_eq_u32_e64 v79, v0
	s_cbranch_execz .LBB1386_122
; %bb.121:
	v_lshlrev_b32_e32 v3, 3, v78
	ds_store_b64 v3, v[1:2]
.LBB1386_122:
	s_or_b32 exec_lo, exec_lo, s0
	s_delay_alu instid0(SALU_CYCLE_1)
	s_mov_b32 s0, exec_lo
	s_waitcnt lgkmcnt(0)
	s_barrier
	buffer_gl0_inv
	v_cmpx_gt_u32_e32 8, v0
	s_cbranch_execz .LBB1386_124
; %bb.123:
	v_lshlrev_b32_e32 v5, 3, v0
	ds_load_b64 v[3:4], v5
	s_waitcnt lgkmcnt(0)
	v_mov_b32_dpp v18, v3 row_shr:1 row_mask:0xf bank_mask:0xf
	v_mov_b32_dpp v19, v4 row_shr:1 row_mask:0xf bank_mask:0xf
	s_delay_alu instid0(VALU_DEP_2) | instskip(SKIP_1) | instid1(VALU_DEP_3)
	v_add_nc_u32_e32 v18, v18, v3
	v_and_b32_e32 v20, 7, v77
	v_add_nc_u32_e32 v19, v19, v4
	s_delay_alu instid0(VALU_DEP_2) | instskip(NEXT) | instid1(VALU_DEP_2)
	v_cmp_eq_u32_e32 vcc_lo, 0, v20
	v_dual_cndmask_b32 v4, v19, v4 :: v_dual_cndmask_b32 v3, v18, v3
	v_cmp_lt_u32_e32 vcc_lo, 1, v20
	s_delay_alu instid0(VALU_DEP_2) | instskip(NEXT) | instid1(VALU_DEP_3)
	v_mov_b32_dpp v19, v4 row_shr:2 row_mask:0xf bank_mask:0xf
	v_mov_b32_dpp v18, v3 row_shr:2 row_mask:0xf bank_mask:0xf
	s_delay_alu instid0(VALU_DEP_2) | instskip(NEXT) | instid1(VALU_DEP_2)
	v_add_nc_u32_e32 v19, v4, v19
	v_add_nc_u32_e32 v18, v3, v18
	s_delay_alu instid0(VALU_DEP_1) | instskip(SKIP_1) | instid1(VALU_DEP_2)
	v_dual_cndmask_b32 v4, v4, v19 :: v_dual_cndmask_b32 v3, v3, v18
	v_cmp_lt_u32_e32 vcc_lo, 3, v20
	v_mov_b32_dpp v19, v4 row_shr:4 row_mask:0xf bank_mask:0xf
	s_delay_alu instid0(VALU_DEP_3) | instskip(NEXT) | instid1(VALU_DEP_1)
	v_mov_b32_dpp v18, v3 row_shr:4 row_mask:0xf bank_mask:0xf
	v_dual_cndmask_b32 v19, 0, v19 :: v_dual_cndmask_b32 v18, 0, v18
	s_delay_alu instid0(VALU_DEP_1) | instskip(NEXT) | instid1(VALU_DEP_2)
	v_add_nc_u32_e32 v4, v19, v4
	v_add_nc_u32_e32 v3, v18, v3
	ds_store_b64 v5, v[3:4]
.LBB1386_124:
	s_or_b32 exec_lo, exec_lo, s0
	v_dual_mov_b32 v3, 0 :: v_dual_mov_b32 v18, 0
	v_mov_b32_e32 v19, 0
	s_mov_b32 s0, exec_lo
	s_waitcnt lgkmcnt(0)
	s_barrier
	buffer_gl0_inv
	v_cmpx_lt_u32_e32 31, v0
	s_cbranch_execz .LBB1386_126
; %bb.125:
	v_lshl_add_u32 v4, v78, 3, -8
	ds_load_b64 v[18:19], v4
.LBB1386_126:
	s_or_b32 exec_lo, exec_lo, s0
	v_add_nc_u32_e32 v4, -1, v77
	s_waitcnt lgkmcnt(0)
	v_add_nc_u32_e32 v20, v19, v2
	v_add_nc_u32_e32 v5, v18, v1
	ds_load_b64 v[1:2], v3 offset:56
	v_cmp_gt_i32_e32 vcc_lo, 0, v4
	v_cndmask_b32_e32 v4, v4, v77, vcc_lo
	v_cmp_eq_u32_e32 vcc_lo, 0, v0
	s_delay_alu instid0(VALU_DEP_2)
	v_lshlrev_b32_e32 v4, 2, v4
	ds_bpermute_b32 v5, v4, v5
	ds_bpermute_b32 v20, v4, v20
	s_waitcnt lgkmcnt(2)
	v_readfirstlane_b32 s1, v2
	s_and_saveexec_b32 s0, vcc_lo
	s_cbranch_execz .LBB1386_128
; %bb.127:
	s_mov_b32 s6, 0
	s_add_u32 s4, s4, 0x200
	s_addc_u32 s5, s5, 0
	s_and_b32 s7, s1, 0xff000000
	s_and_b32 s9, s1, 0xff0000
	s_mov_b32 s8, s6
	v_mov_b32_e32 v22, s5
	s_or_b64 s[8:9], s[8:9], s[6:7]
	s_and_b32 s7, s1, 0xff00
	v_dual_mov_b32 v4, 0 :: v_dual_mov_b32 v21, s4
	s_or_b64 s[8:9], s[8:9], s[6:7]
	s_and_b32 s7, s1, 0xff
	v_mov_b32_e32 v3, 2
	s_or_b64 s[6:7], s[8:9], s[6:7]
	s_delay_alu instid0(SALU_CYCLE_1)
	v_mov_b32_e32 v2, s7
	;;#ASMSTART
	global_store_dwordx4 v[21:22], v[1:4] off	
s_waitcnt vmcnt(0)
	;;#ASMEND
.LBB1386_128:
	s_or_b32 exec_lo, exec_lo, s0
	v_cmp_eq_u32_e64 s0, 0, v77
	v_dual_mov_b32 v3, 0 :: v_dual_mov_b32 v2, s1
	s_waitcnt lgkmcnt(0)
	s_barrier
	s_delay_alu instid0(VALU_DEP_2)
	v_cndmask_b32_e64 v4, v5, v18, s0
	v_cndmask_b32_e64 v5, v20, v19, s0
	buffer_gl0_inv
	v_cndmask_b32_e64 v20, v4, 0, vcc_lo
	v_cndmask_b32_e64 v5, v5, 0, vcc_lo
	v_mov_b32_e32 v4, 0
.LBB1386_129:
	v_and_b32_e32 v30, 1, v30
	v_and_b32_e32 v34, 1, v34
	;; [unrolled: 1-line block ×4, first 2 shown]
	s_waitcnt lgkmcnt(0)
	v_add_co_u32 v18, s0, s28, v3
	v_cmp_eq_u32_e32 vcc_lo, 1, v30
	v_add_nc_u32_e32 v22, v5, v76
	v_sub_nc_u32_e32 v5, v5, v4
	v_add_co_ci_u32_e64 v19, null, s29, 0, s0
	s_mov_b32 s2, -1
	s_delay_alu instid0(VALU_DEP_3) | instskip(SKIP_3) | instid1(VALU_DEP_3)
	v_add_nc_u32_e32 v24, v22, v72
	v_sub_nc_u32_e32 v22, v22, v4
	v_add_nc_u32_e32 v5, v5, v1
	v_sub_co_u32 v72, s0, s30, v1
	v_add_nc_u32_e32 v22, v22, v1
	v_add_nc_u32_e32 v21, v20, v75
	v_sub_nc_u32_e32 v20, v20, v3
	s_delay_alu instid0(VALU_DEP_2)
	v_add_nc_u32_e32 v23, v21, v71
	v_add_nc_u32_e32 v71, v24, v74
	v_lshlrev_b32_e32 v74, 1, v1
	v_sub_nc_u32_e32 v21, v21, v3
	v_add_nc_u32_e32 v75, v20, v5
	v_sub_nc_u32_e32 v24, v24, v4
	s_delay_alu instid0(VALU_DEP_4) | instskip(NEXT) | instid1(VALU_DEP_4)
	v_add3_u32 v28, v74, v2, v28
	v_add_nc_u32_e32 v76, v22, v21
	s_delay_alu instid0(VALU_DEP_3) | instskip(NEXT) | instid1(VALU_DEP_3)
	v_add_nc_u32_e32 v24, v24, v1
	v_sub_nc_u32_e32 v75, v28, v75
	s_delay_alu instid0(VALU_DEP_3) | instskip(NEXT) | instid1(VALU_DEP_1)
	v_sub_nc_u32_e32 v76, v28, v76
	v_dual_cndmask_b32 v5, v75, v5 :: v_dual_add_nc_u32 v30, 1, v76
	v_cmp_eq_u32_e32 vcc_lo, 1, v34
	s_delay_alu instid0(VALU_DEP_2) | instskip(SKIP_1) | instid1(VALU_DEP_4)
	v_cndmask_b32_e32 v22, v30, v22, vcc_lo
	v_cmp_eq_u32_e32 vcc_lo, 1, v29
	v_cndmask_b32_e32 v5, v5, v20, vcc_lo
	v_and_b32_e32 v20, 1, v36
	v_cmp_eq_u32_e32 vcc_lo, 1, v33
	s_delay_alu instid0(VALU_DEP_3) | instskip(SKIP_1) | instid1(VALU_DEP_4)
	v_lshlrev_b32_e32 v5, 2, v5
	v_cndmask_b32_e32 v21, v22, v21, vcc_lo
	v_cmp_eq_u32_e32 vcc_lo, 1, v20
	v_add_nc_u32_e32 v25, v23, v73
	v_sub_nc_u32_e32 v23, v23, v3
	v_and_b32_e32 v22, 1, v31
	v_sub_co_ci_u32_e64 v73, null, s31, 0, s0
	v_and_b32_e32 v31, 1, v32
	s_delay_alu instid0(VALU_DEP_4) | instskip(NEXT) | instid1(VALU_DEP_1)
	v_add_nc_u32_e32 v77, v24, v23
	v_sub_nc_u32_e32 v75, v28, v77
	s_delay_alu instid0(VALU_DEP_1) | instskip(NEXT) | instid1(VALU_DEP_1)
	v_add_nc_u32_e32 v29, 2, v75
	v_cndmask_b32_e32 v20, v29, v24, vcc_lo
	v_sub_nc_u32_e32 v24, v71, v4
	v_cmp_eq_u32_e32 vcc_lo, 1, v22
	v_add_nc_u32_e32 v69, v25, v69
	v_lshlrev_b32_e32 v29, 2, v21
	ds_store_b32 v5, v16
	ds_store_b32 v29, v17
	v_cndmask_b32_e32 v22, v20, v23, vcc_lo
	v_sub_nc_u32_e32 v23, v25, v3
	v_add_nc_u32_e32 v24, v24, v1
	v_add_co_u32 v20, vcc_lo, v72, v4
	s_delay_alu instid0(VALU_DEP_4) | instskip(SKIP_1) | instid1(VALU_DEP_4)
	v_lshlrev_b32_e32 v5, 2, v22
	v_and_b32_e32 v22, 1, v35
	v_add_nc_u32_e32 v25, v23, v24
	v_add_co_ci_u32_e32 v21, vcc_lo, 0, v73, vcc_lo
	ds_store_b32 v5, v14
	v_cmp_eq_u32_e32 vcc_lo, 1, v22
	v_sub_nc_u32_e32 v17, v28, v25
	v_sub_nc_u32_e32 v29, v69, v3
	v_add_nc_u32_e32 v67, v69, v67
	s_delay_alu instid0(VALU_DEP_3) | instskip(NEXT) | instid1(VALU_DEP_2)
	v_add_nc_u32_e32 v17, 3, v17
	v_sub_nc_u32_e32 v30, v67, v3
	s_delay_alu instid0(VALU_DEP_2) | instskip(SKIP_2) | instid1(VALU_DEP_3)
	v_cndmask_b32_e32 v17, v17, v24, vcc_lo
	v_cmp_eq_u32_e32 vcc_lo, 1, v31
	v_and_b32_e32 v24, 1, v39
	v_cndmask_b32_e32 v14, v17, v23, vcc_lo
	v_add_nc_u32_e32 v70, v71, v70
	v_and_b32_e32 v23, 1, v38
	s_delay_alu instid0(VALU_DEP_3) | instskip(NEXT) | instid1(VALU_DEP_3)
	v_lshlrev_b32_e32 v14, 2, v14
	v_add_nc_u32_e32 v68, v70, v68
	v_sub_nc_u32_e32 v16, v70, v4
	ds_store_b32 v14, v15
	v_sub_nc_u32_e32 v25, v68, v4
	v_add_nc_u32_e32 v16, v16, v1
	s_delay_alu instid0(VALU_DEP_2) | instskip(NEXT) | instid1(VALU_DEP_2)
	v_add_nc_u32_e32 v25, v25, v1
	v_add_nc_u32_e32 v32, v29, v16
	s_delay_alu instid0(VALU_DEP_2) | instskip(NEXT) | instid1(VALU_DEP_2)
	v_add_nc_u32_e32 v22, v30, v25
	v_sub_nc_u32_e32 v5, v28, v32
	s_delay_alu instid0(VALU_DEP_2) | instskip(SKIP_1) | instid1(VALU_DEP_3)
	v_sub_nc_u32_e32 v17, v28, v22
	v_and_b32_e32 v22, 1, v37
	v_add_nc_u32_e32 v5, 4, v5
	s_delay_alu instid0(VALU_DEP_3) | instskip(NEXT) | instid1(VALU_DEP_3)
	v_add_nc_u32_e32 v17, 5, v17
	v_cmp_eq_u32_e32 vcc_lo, 1, v22
	s_delay_alu instid0(VALU_DEP_3)
	v_cndmask_b32_e32 v5, v5, v16, vcc_lo
	v_cmp_eq_u32_e32 vcc_lo, 1, v24
	v_and_b32_e32 v16, 1, v41
	v_cndmask_b32_e32 v17, v17, v25, vcc_lo
	v_cmp_eq_u32_e32 vcc_lo, 1, v23
	v_cndmask_b32_e32 v5, v5, v29, vcc_lo
	s_delay_alu instid0(VALU_DEP_4) | instskip(SKIP_1) | instid1(VALU_DEP_3)
	v_cmp_eq_u32_e32 vcc_lo, 1, v16
	v_add_nc_u32_e32 v66, v68, v66
	v_dual_cndmask_b32 v16, v17, v30 :: v_dual_lshlrev_b32 v5, 2, v5
	s_delay_alu instid0(VALU_DEP_2) | instskip(SKIP_1) | instid1(VALU_DEP_3)
	v_sub_nc_u32_e32 v22, v66, v4
	v_add_nc_u32_e32 v62, v66, v62
	v_lshlrev_b32_e32 v16, 2, v16
	ds_store_b32 v5, v12
	ds_store_b32 v16, v13
	v_and_b32_e32 v12, 1, v40
	v_add_nc_u32_e32 v22, v22, v1
	v_add_nc_u32_e32 v64, v62, v64
	v_sub_nc_u32_e32 v17, v62, v4
	v_and_b32_e32 v16, 1, v43
	v_cmp_eq_u32_e32 vcc_lo, 1, v12
	v_add_nc_u32_e32 v65, v67, v65
	v_sub_nc_u32_e32 v15, v64, v4
	v_add_nc_u32_e32 v17, v17, v1
	s_delay_alu instid0(VALU_DEP_3) | instskip(NEXT) | instid1(VALU_DEP_3)
	v_sub_nc_u32_e32 v23, v65, v3
	v_add_nc_u32_e32 v15, v15, v1
	s_delay_alu instid0(VALU_DEP_2) | instskip(NEXT) | instid1(VALU_DEP_1)
	v_add_nc_u32_e32 v24, v23, v22
	v_sub_nc_u32_e32 v14, v28, v24
	v_and_b32_e32 v24, 1, v48
	s_delay_alu instid0(VALU_DEP_2) | instskip(SKIP_1) | instid1(VALU_DEP_2)
	v_add_nc_u32_e32 v13, 6, v14
	v_and_b32_e32 v14, 1, v42
	v_cndmask_b32_e32 v12, v13, v22, vcc_lo
	v_add_nc_u32_e32 v61, v65, v61
	s_delay_alu instid0(VALU_DEP_3) | instskip(SKIP_1) | instid1(VALU_DEP_3)
	v_cmp_eq_u32_e32 vcc_lo, 1, v14
	v_and_b32_e32 v22, 1, v44
	v_sub_nc_u32_e32 v25, v61, v3
	v_add_nc_u32_e32 v63, v61, v63
	v_cndmask_b32_e32 v12, v12, v23, vcc_lo
	v_cmp_eq_u32_e32 vcc_lo, 1, v16
	v_and_b32_e32 v23, 1, v46
	v_add_nc_u32_e32 v5, v25, v17
	v_sub_nc_u32_e32 v13, v63, v3
	v_lshlrev_b32_e32 v12, 2, v12
	v_add_nc_u32_e32 v59, v63, v59
	s_delay_alu instid0(VALU_DEP_4) | instskip(NEXT) | instid1(VALU_DEP_4)
	v_sub_nc_u32_e32 v5, v28, v5
	v_add_nc_u32_e32 v14, v13, v15
	s_delay_alu instid0(VALU_DEP_3) | instskip(NEXT) | instid1(VALU_DEP_3)
	v_add_nc_u32_e32 v57, v59, v57
	v_add_nc_u32_e32 v5, 7, v5
	s_delay_alu instid0(VALU_DEP_3) | instskip(NEXT) | instid1(VALU_DEP_3)
	v_sub_nc_u32_e32 v14, v28, v14
	v_add_nc_u32_e32 v55, v57, v55
	s_delay_alu instid0(VALU_DEP_3)
	v_cndmask_b32_e32 v5, v5, v17, vcc_lo
	v_cmp_eq_u32_e32 vcc_lo, 1, v22
	v_and_b32_e32 v17, 1, v45
	v_add_nc_u32_e32 v14, 8, v14
	v_sub_nc_u32_e32 v22, v59, v3
	v_add_nc_u32_e32 v53, v55, v53
	v_cndmask_b32_e32 v5, v5, v25, vcc_lo
	v_cmp_eq_u32_e32 vcc_lo, 1, v17
	v_sub_nc_u32_e32 v17, v55, v3
	v_and_b32_e32 v25, 1, v52
	s_delay_alu instid0(VALU_DEP_4)
	v_dual_cndmask_b32 v14, v14, v15 :: v_dual_lshlrev_b32 v5, 2, v5
	v_cmp_eq_u32_e32 vcc_lo, 1, v23
	v_add_nc_u32_e32 v60, v64, v60
	ds_store_b32 v12, v10
	ds_store_b32 v5, v11
	v_and_b32_e32 v11, 1, v49
	v_cndmask_b32_e32 v5, v14, v13, vcc_lo
	v_sub_nc_u32_e32 v16, v60, v4
	v_add_nc_u32_e32 v58, v60, v58
	v_and_b32_e32 v13, 1, v47
	s_delay_alu instid0(VALU_DEP_4) | instskip(NEXT) | instid1(VALU_DEP_4)
	v_lshlrev_b32_e32 v5, 2, v5
	v_add_nc_u32_e32 v16, v16, v1
	s_delay_alu instid0(VALU_DEP_4) | instskip(SKIP_2) | instid1(VALU_DEP_4)
	v_add_nc_u32_e32 v56, v58, v56
	v_sub_nc_u32_e32 v12, v58, v4
	v_cmp_eq_u32_e32 vcc_lo, 1, v13
	v_add_nc_u32_e32 v15, v22, v16
	s_delay_alu instid0(VALU_DEP_4) | instskip(NEXT) | instid1(VALU_DEP_4)
	v_sub_nc_u32_e32 v14, v56, v4
	v_add_nc_u32_e32 v12, v12, v1
	v_add_nc_u32_e32 v54, v56, v54
	s_delay_alu instid0(VALU_DEP_4) | instskip(SKIP_2) | instid1(VALU_DEP_4)
	v_sub_nc_u32_e32 v10, v28, v15
	v_sub_nc_u32_e32 v15, v57, v3
	v_add_nc_u32_e32 v14, v14, v1
	v_sub_nc_u32_e32 v23, v54, v4
	v_sub_nc_u32_e32 v3, v53, v3
	v_add_nc_u32_e32 v10, 9, v10
	v_add_nc_u32_e32 v13, v15, v12
	s_delay_alu instid0(VALU_DEP_2) | instskip(SKIP_2) | instid1(VALU_DEP_4)
	v_dual_cndmask_b32 v10, v10, v16 :: v_dual_add_nc_u32 v23, v23, v1
	v_add_nc_u32_e32 v16, v17, v14
	v_cmp_eq_u32_e32 vcc_lo, 1, v11
	v_sub_nc_u32_e32 v11, v28, v13
	v_and_b32_e32 v13, 1, v50
	s_delay_alu instid0(VALU_DEP_4) | instskip(NEXT) | instid1(VALU_DEP_3)
	v_sub_nc_u32_e32 v16, v28, v16
	v_dual_cndmask_b32 v10, v10, v22 :: v_dual_add_nc_u32 v11, 10, v11
	v_cmp_eq_u32_e32 vcc_lo, 1, v24
	v_add_nc_u32_e32 v22, v3, v23
	s_delay_alu instid0(VALU_DEP_4) | instskip(NEXT) | instid1(VALU_DEP_4)
	v_add_nc_u32_e32 v16, 11, v16
	v_dual_cndmask_b32 v11, v11, v12 :: v_dual_lshlrev_b32 v10, 2, v10
	v_cmp_eq_u32_e32 vcc_lo, 1, v25
	s_delay_alu instid0(VALU_DEP_4) | instskip(SKIP_3) | instid1(VALU_DEP_4)
	v_sub_nc_u32_e32 v22, v28, v22
	v_and_b32_e32 v12, 1, v51
	v_cndmask_b32_e32 v14, v16, v14, vcc_lo
	v_cmp_eq_u32_e32 vcc_lo, 1, v13
	v_dual_cndmask_b32 v11, v11, v15 :: v_dual_add_nc_u32 v16, 12, v22
	s_delay_alu instid0(VALU_DEP_4) | instskip(NEXT) | instid1(VALU_DEP_2)
	v_cmp_eq_u32_e32 vcc_lo, 1, v12
	v_cndmask_b32_e64 v13, v16, v23, s43
	s_delay_alu instid0(VALU_DEP_3) | instskip(NEXT) | instid1(VALU_DEP_2)
	v_dual_cndmask_b32 v12, v14, v17 :: v_dual_lshlrev_b32 v11, 2, v11
	v_cndmask_b32_e64 v3, v13, v3, s42
	s_delay_alu instid0(VALU_DEP_2)
	v_lshlrev_b32_e32 v12, 2, v12
	ds_store_b32 v5, v8
	ds_store_b32 v10, v9
	;; [unrolled: 1-line block ×4, first 2 shown]
	v_lshlrev_b32_e32 v3, 2, v3
	v_add_co_u32 v5, s0, v2, v74
	s_delay_alu instid0(VALU_DEP_1) | instskip(SKIP_4) | instid1(VALU_DEP_2)
	v_add_co_ci_u32_e64 v6, null, 0, 0, s0
	ds_store_b32 v3, v27
	v_add_co_u32 v3, vcc_lo, v5, v20
	v_add_co_ci_u32_e32 v5, vcc_lo, v6, v21, vcc_lo
	s_add_u32 s0, s34, s33
	v_add_co_u32 v3, vcc_lo, v3, v18
	s_delay_alu instid0(VALU_DEP_2) | instskip(SKIP_1) | instid1(VALU_DEP_2)
	v_add_co_ci_u32_e32 v5, vcc_lo, v5, v19, vcc_lo
	s_addc_u32 s1, s35, 0
	v_sub_co_u32 v3, vcc_lo, s0, v3
	s_delay_alu instid0(VALU_DEP_2)
	v_sub_co_ci_u32_e32 v9, vcc_lo, s1, v5, vcc_lo
	v_lshlrev_b64 v[5:6], 2, v[20:21]
	v_lshlrev_b64 v[7:8], 2, v[18:19]
	v_add_nc_u32_e32 v10, v1, v2
	s_add_u32 s1, s26, -4
	s_waitcnt lgkmcnt(0)
	s_barrier
	v_add_co_u32 v5, vcc_lo, s38, v5
	v_add_co_ci_u32_e32 v6, vcc_lo, s39, v6, vcc_lo
	v_cmp_ne_u32_e32 vcc_lo, 1, v26
	v_add_co_u32 v7, s0, s36, v7
	s_delay_alu instid0(VALU_DEP_1)
	v_add_co_ci_u32_e64 v8, s0, s37, v8, s0
	s_addc_u32 s0, s27, -1
	buffer_gl0_inv
	s_cbranch_vccz .LBB1386_133
; %bb.130:
	s_and_b32 vcc_lo, exec_lo, s2
	s_cbranch_vccnz .LBB1386_238
.LBB1386_131:
	v_cmp_eq_u32_e32 vcc_lo, 0, v0
	s_and_b32 s0, vcc_lo, s14
	s_delay_alu instid0(SALU_CYCLE_1)
	s_and_saveexec_b32 s1, s0
	s_cbranch_execnz .LBB1386_356
.LBB1386_132:
	s_nop 0
	s_sendmsg sendmsg(MSG_DEALLOC_VGPRS)
	s_endpgm
.LBB1386_133:
	s_mov_b32 s2, exec_lo
	v_cmpx_le_u32_e64 v1, v0
	s_xor_b32 s2, exec_lo, s2
	s_cbranch_execz .LBB1386_139
; %bb.134:
	s_mov_b32 s4, exec_lo
	v_cmpx_le_u32_e64 v10, v0
	s_xor_b32 s4, exec_lo, s4
	s_cbranch_execz .LBB1386_136
; %bb.135:
	v_lshlrev_b32_e32 v11, 2, v0
	ds_load_b32 v13, v11
	v_add_co_u32 v11, vcc_lo, v3, v0
	v_add_co_ci_u32_e32 v12, vcc_lo, 0, v9, vcc_lo
	s_delay_alu instid0(VALU_DEP_1) | instskip(NEXT) | instid1(VALU_DEP_1)
	v_lshlrev_b64 v[11:12], 2, v[11:12]
	v_sub_co_u32 v11, vcc_lo, s26, v11
	s_delay_alu instid0(VALU_DEP_2)
	v_sub_co_ci_u32_e32 v12, vcc_lo, s27, v12, vcc_lo
	s_waitcnt lgkmcnt(0)
	global_store_b32 v[11:12], v13, off offset:-4
.LBB1386_136:
	s_and_not1_saveexec_b32 s4, s4
	s_cbranch_execz .LBB1386_138
; %bb.137:
	v_lshlrev_b32_e32 v11, 2, v0
	v_readfirstlane_b32 s6, v5
	v_readfirstlane_b32 s7, v6
	ds_load_b32 v12, v11
	s_waitcnt lgkmcnt(0)
	global_store_b32 v11, v12, s[6:7]
.LBB1386_138:
	s_or_b32 exec_lo, exec_lo, s4
.LBB1386_139:
	s_and_not1_saveexec_b32 s2, s2
	s_cbranch_execz .LBB1386_141
; %bb.140:
	v_lshlrev_b32_e32 v11, 2, v0
	v_readfirstlane_b32 s4, v7
	v_readfirstlane_b32 s5, v8
	ds_load_b32 v12, v11
	s_waitcnt lgkmcnt(0)
	global_store_b32 v11, v12, s[4:5]
.LBB1386_141:
	s_or_b32 exec_lo, exec_lo, s2
	v_or_b32_e32 v11, 0x100, v0
	s_mov_b32 s2, exec_lo
	s_delay_alu instid0(VALU_DEP_1)
	v_cmpx_le_u32_e64 v1, v11
	s_xor_b32 s2, exec_lo, s2
	s_cbranch_execz .LBB1386_147
; %bb.142:
	s_mov_b32 s4, exec_lo
	v_cmpx_le_u32_e64 v10, v11
	s_xor_b32 s4, exec_lo, s4
	s_cbranch_execz .LBB1386_144
; %bb.143:
	v_lshlrev_b32_e32 v11, 2, v0
	ds_load_b32 v13, v11 offset:1024
	v_add_co_u32 v11, vcc_lo, v3, v0
	v_add_co_ci_u32_e32 v12, vcc_lo, 0, v9, vcc_lo
	s_delay_alu instid0(VALU_DEP_1) | instskip(NEXT) | instid1(VALU_DEP_1)
	v_lshlrev_b64 v[11:12], 2, v[11:12]
	v_sub_co_u32 v11, vcc_lo, s1, v11
	s_delay_alu instid0(VALU_DEP_2)
	v_sub_co_ci_u32_e32 v12, vcc_lo, s0, v12, vcc_lo
	s_waitcnt lgkmcnt(0)
	global_store_b32 v[11:12], v13, off offset:-1024
.LBB1386_144:
	s_and_not1_saveexec_b32 s4, s4
	s_cbranch_execz .LBB1386_146
; %bb.145:
	v_lshlrev_b32_e32 v11, 2, v0
	v_readfirstlane_b32 s6, v5
	v_readfirstlane_b32 s7, v6
	ds_load_b32 v12, v11 offset:1024
	s_waitcnt lgkmcnt(0)
	global_store_b32 v11, v12, s[6:7] offset:1024
.LBB1386_146:
	s_or_b32 exec_lo, exec_lo, s4
.LBB1386_147:
	s_and_not1_saveexec_b32 s2, s2
	s_cbranch_execz .LBB1386_149
; %bb.148:
	v_lshlrev_b32_e32 v11, 2, v0
	v_readfirstlane_b32 s4, v7
	v_readfirstlane_b32 s5, v8
	ds_load_b32 v12, v11 offset:1024
	s_waitcnt lgkmcnt(0)
	global_store_b32 v11, v12, s[4:5] offset:1024
.LBB1386_149:
	s_or_b32 exec_lo, exec_lo, s2
	v_or_b32_e32 v11, 0x200, v0
	s_mov_b32 s2, exec_lo
	s_delay_alu instid0(VALU_DEP_1)
	v_cmpx_le_u32_e64 v1, v11
	s_xor_b32 s2, exec_lo, s2
	s_cbranch_execz .LBB1386_155
; %bb.150:
	s_mov_b32 s4, exec_lo
	v_cmpx_le_u32_e64 v10, v11
	s_xor_b32 s4, exec_lo, s4
	s_cbranch_execz .LBB1386_152
; %bb.151:
	v_lshlrev_b32_e32 v11, 2, v0
	ds_load_b32 v13, v11 offset:2048
	v_add_co_u32 v11, vcc_lo, v3, v0
	v_add_co_ci_u32_e32 v12, vcc_lo, 0, v9, vcc_lo
	s_delay_alu instid0(VALU_DEP_1) | instskip(NEXT) | instid1(VALU_DEP_1)
	v_lshlrev_b64 v[11:12], 2, v[11:12]
	v_sub_co_u32 v11, vcc_lo, s1, v11
	s_delay_alu instid0(VALU_DEP_2)
	v_sub_co_ci_u32_e32 v12, vcc_lo, s0, v12, vcc_lo
	s_waitcnt lgkmcnt(0)
	global_store_b32 v[11:12], v13, off offset:-2048
.LBB1386_152:
	s_and_not1_saveexec_b32 s4, s4
	s_cbranch_execz .LBB1386_154
; %bb.153:
	v_lshlrev_b32_e32 v11, 2, v0
	v_readfirstlane_b32 s6, v5
	v_readfirstlane_b32 s7, v6
	ds_load_b32 v12, v11 offset:2048
	s_waitcnt lgkmcnt(0)
	global_store_b32 v11, v12, s[6:7] offset:2048
.LBB1386_154:
	s_or_b32 exec_lo, exec_lo, s4
.LBB1386_155:
	s_and_not1_saveexec_b32 s2, s2
	s_cbranch_execz .LBB1386_157
; %bb.156:
	v_lshlrev_b32_e32 v11, 2, v0
	v_readfirstlane_b32 s4, v7
	v_readfirstlane_b32 s5, v8
	ds_load_b32 v12, v11 offset:2048
	s_waitcnt lgkmcnt(0)
	global_store_b32 v11, v12, s[4:5] offset:2048
.LBB1386_157:
	;; [unrolled: 47-line block ×3, first 2 shown]
	s_or_b32 exec_lo, exec_lo, s2
	v_or_b32_e32 v11, 0x400, v0
	s_mov_b32 s2, exec_lo
	s_delay_alu instid0(VALU_DEP_1)
	v_cmpx_le_u32_e64 v1, v11
	s_xor_b32 s2, exec_lo, s2
	s_cbranch_execz .LBB1386_171
; %bb.166:
	s_mov_b32 s4, exec_lo
	v_cmpx_le_u32_e64 v10, v11
	s_xor_b32 s4, exec_lo, s4
	s_cbranch_execz .LBB1386_168
; %bb.167:
	v_lshlrev_b32_e32 v11, 2, v0
	ds_load_b32 v13, v11 offset:4096
	v_add_co_u32 v11, vcc_lo, v3, v0
	v_add_co_ci_u32_e32 v12, vcc_lo, 0, v9, vcc_lo
	s_delay_alu instid0(VALU_DEP_1) | instskip(NEXT) | instid1(VALU_DEP_1)
	v_lshlrev_b64 v[11:12], 2, v[11:12]
	v_sub_co_u32 v11, vcc_lo, s1, v11
	s_delay_alu instid0(VALU_DEP_2)
	v_sub_co_ci_u32_e32 v12, vcc_lo, s0, v12, vcc_lo
	s_waitcnt lgkmcnt(0)
	global_store_b32 v[11:12], v13, off offset:-4096
                                        ; implicit-def: $vgpr11
.LBB1386_168:
	s_and_not1_saveexec_b32 s4, s4
	s_cbranch_execz .LBB1386_170
; %bb.169:
	v_lshlrev_b32_e32 v12, 2, v0
	v_lshlrev_b32_e32 v11, 2, v11
	v_readfirstlane_b32 s6, v5
	v_readfirstlane_b32 s7, v6
	ds_load_b32 v12, v12 offset:4096
	s_waitcnt lgkmcnt(0)
	global_store_b32 v11, v12, s[6:7]
.LBB1386_170:
	s_or_b32 exec_lo, exec_lo, s4
                                        ; implicit-def: $vgpr11
.LBB1386_171:
	s_and_not1_saveexec_b32 s2, s2
	s_cbranch_execz .LBB1386_173
; %bb.172:
	v_lshlrev_b32_e32 v12, 2, v0
	v_lshlrev_b32_e32 v11, 2, v11
	v_readfirstlane_b32 s4, v7
	v_readfirstlane_b32 s5, v8
	ds_load_b32 v12, v12 offset:4096
	s_waitcnt lgkmcnt(0)
	global_store_b32 v11, v12, s[4:5]
.LBB1386_173:
	s_or_b32 exec_lo, exec_lo, s2
	v_or_b32_e32 v11, 0x500, v0
	s_mov_b32 s2, exec_lo
	s_delay_alu instid0(VALU_DEP_1)
	v_cmpx_le_u32_e64 v1, v11
	s_xor_b32 s2, exec_lo, s2
	s_cbranch_execz .LBB1386_179
; %bb.174:
	s_mov_b32 s4, exec_lo
	v_cmpx_le_u32_e64 v10, v11
	s_xor_b32 s4, exec_lo, s4
	s_cbranch_execz .LBB1386_176
; %bb.175:
	v_lshlrev_b32_e32 v12, 2, v0
	v_add_co_u32 v11, vcc_lo, v3, v11
	ds_load_b32 v13, v12 offset:5120
	v_add_co_ci_u32_e32 v12, vcc_lo, 0, v9, vcc_lo
	s_delay_alu instid0(VALU_DEP_1) | instskip(NEXT) | instid1(VALU_DEP_1)
	v_lshlrev_b64 v[11:12], 2, v[11:12]
	v_sub_co_u32 v11, vcc_lo, s1, v11
	s_delay_alu instid0(VALU_DEP_2)
	v_sub_co_ci_u32_e32 v12, vcc_lo, s0, v12, vcc_lo
	s_waitcnt lgkmcnt(0)
	global_store_b32 v[11:12], v13, off
                                        ; implicit-def: $vgpr11
.LBB1386_176:
	s_and_not1_saveexec_b32 s4, s4
	s_cbranch_execz .LBB1386_178
; %bb.177:
	v_lshlrev_b32_e32 v12, 2, v0
	v_lshlrev_b32_e32 v11, 2, v11
	v_readfirstlane_b32 s6, v5
	v_readfirstlane_b32 s7, v6
	ds_load_b32 v12, v12 offset:5120
	s_waitcnt lgkmcnt(0)
	global_store_b32 v11, v12, s[6:7]
.LBB1386_178:
	s_or_b32 exec_lo, exec_lo, s4
                                        ; implicit-def: $vgpr11
.LBB1386_179:
	s_and_not1_saveexec_b32 s2, s2
	s_cbranch_execz .LBB1386_181
; %bb.180:
	v_lshlrev_b32_e32 v12, 2, v0
	v_lshlrev_b32_e32 v11, 2, v11
	v_readfirstlane_b32 s4, v7
	v_readfirstlane_b32 s5, v8
	ds_load_b32 v12, v12 offset:5120
	s_waitcnt lgkmcnt(0)
	global_store_b32 v11, v12, s[4:5]
.LBB1386_181:
	s_or_b32 exec_lo, exec_lo, s2
	v_or_b32_e32 v11, 0x600, v0
	s_mov_b32 s2, exec_lo
	s_delay_alu instid0(VALU_DEP_1)
	v_cmpx_le_u32_e64 v1, v11
	s_xor_b32 s2, exec_lo, s2
	s_cbranch_execz .LBB1386_187
; %bb.182:
	s_mov_b32 s4, exec_lo
	v_cmpx_le_u32_e64 v10, v11
	s_xor_b32 s4, exec_lo, s4
	s_cbranch_execz .LBB1386_184
; %bb.183:
	v_lshlrev_b32_e32 v12, 2, v0
	v_add_co_u32 v11, vcc_lo, v3, v11
	ds_load_b32 v13, v12 offset:6144
	v_add_co_ci_u32_e32 v12, vcc_lo, 0, v9, vcc_lo
	s_delay_alu instid0(VALU_DEP_1) | instskip(NEXT) | instid1(VALU_DEP_1)
	v_lshlrev_b64 v[11:12], 2, v[11:12]
	v_sub_co_u32 v11, vcc_lo, s1, v11
	s_delay_alu instid0(VALU_DEP_2)
	v_sub_co_ci_u32_e32 v12, vcc_lo, s0, v12, vcc_lo
	s_waitcnt lgkmcnt(0)
	global_store_b32 v[11:12], v13, off
                                        ; implicit-def: $vgpr11
.LBB1386_184:
	s_and_not1_saveexec_b32 s4, s4
	s_cbranch_execz .LBB1386_186
; %bb.185:
	v_lshlrev_b32_e32 v12, 2, v0
	v_lshlrev_b32_e32 v11, 2, v11
	v_readfirstlane_b32 s6, v5
	v_readfirstlane_b32 s7, v6
	ds_load_b32 v12, v12 offset:6144
	s_waitcnt lgkmcnt(0)
	global_store_b32 v11, v12, s[6:7]
.LBB1386_186:
	s_or_b32 exec_lo, exec_lo, s4
                                        ; implicit-def: $vgpr11
.LBB1386_187:
	;; [unrolled: 51-line block ×8, first 2 shown]
	s_and_not1_saveexec_b32 s2, s2
	s_cbranch_execz .LBB1386_237
; %bb.236:
	v_lshlrev_b32_e32 v12, 2, v0
	v_lshlrev_b32_e32 v11, 2, v11
	v_readfirstlane_b32 s4, v7
	v_readfirstlane_b32 s5, v8
	ds_load_b32 v12, v12 offset:12288
	s_waitcnt lgkmcnt(0)
	global_store_b32 v11, v12, s[4:5]
.LBB1386_237:
	s_or_b32 exec_lo, exec_lo, s2
	s_branch .LBB1386_131
.LBB1386_238:
	s_mov_b32 s2, exec_lo
	v_cmpx_gt_u32_e64 s3, v0
	s_cbranch_execz .LBB1386_247
; %bb.239:
	s_mov_b32 s4, exec_lo
	v_cmpx_le_u32_e64 v1, v0
	s_xor_b32 s4, exec_lo, s4
	s_cbranch_execz .LBB1386_245
; %bb.240:
	s_mov_b32 s5, exec_lo
	v_cmpx_le_u32_e64 v10, v0
	s_xor_b32 s5, exec_lo, s5
	s_cbranch_execz .LBB1386_242
; %bb.241:
	v_lshlrev_b32_e32 v11, 2, v0
	ds_load_b32 v13, v11
	v_add_co_u32 v11, vcc_lo, v3, v0
	v_add_co_ci_u32_e32 v12, vcc_lo, 0, v9, vcc_lo
	s_delay_alu instid0(VALU_DEP_1) | instskip(NEXT) | instid1(VALU_DEP_1)
	v_lshlrev_b64 v[11:12], 2, v[11:12]
	v_sub_co_u32 v11, vcc_lo, s26, v11
	s_delay_alu instid0(VALU_DEP_2)
	v_sub_co_ci_u32_e32 v12, vcc_lo, s27, v12, vcc_lo
	s_waitcnt lgkmcnt(0)
	global_store_b32 v[11:12], v13, off offset:-4
.LBB1386_242:
	s_and_not1_saveexec_b32 s5, s5
	s_cbranch_execz .LBB1386_244
; %bb.243:
	v_lshlrev_b32_e32 v11, 2, v0
	v_readfirstlane_b32 s6, v5
	v_readfirstlane_b32 s7, v6
	ds_load_b32 v12, v11
	s_waitcnt lgkmcnt(0)
	global_store_b32 v11, v12, s[6:7]
.LBB1386_244:
	s_or_b32 exec_lo, exec_lo, s5
.LBB1386_245:
	s_and_not1_saveexec_b32 s4, s4
	s_cbranch_execz .LBB1386_247
; %bb.246:
	v_lshlrev_b32_e32 v11, 2, v0
	v_readfirstlane_b32 s4, v7
	v_readfirstlane_b32 s5, v8
	ds_load_b32 v12, v11
	s_waitcnt lgkmcnt(0)
	global_store_b32 v11, v12, s[4:5]
.LBB1386_247:
	s_or_b32 exec_lo, exec_lo, s2
	v_or_b32_e32 v11, 0x100, v0
	s_mov_b32 s2, exec_lo
	s_delay_alu instid0(VALU_DEP_1)
	v_cmpx_gt_u32_e64 s3, v11
	s_cbranch_execz .LBB1386_256
; %bb.248:
	s_mov_b32 s4, exec_lo
	v_cmpx_le_u32_e64 v1, v11
	s_xor_b32 s4, exec_lo, s4
	s_cbranch_execz .LBB1386_254
; %bb.249:
	s_mov_b32 s5, exec_lo
	v_cmpx_le_u32_e64 v10, v11
	s_xor_b32 s5, exec_lo, s5
	s_cbranch_execz .LBB1386_251
; %bb.250:
	v_lshlrev_b32_e32 v11, 2, v0
	ds_load_b32 v13, v11 offset:1024
	v_add_co_u32 v11, vcc_lo, v3, v0
	v_add_co_ci_u32_e32 v12, vcc_lo, 0, v9, vcc_lo
	s_delay_alu instid0(VALU_DEP_1) | instskip(NEXT) | instid1(VALU_DEP_1)
	v_lshlrev_b64 v[11:12], 2, v[11:12]
	v_sub_co_u32 v11, vcc_lo, s1, v11
	s_delay_alu instid0(VALU_DEP_2)
	v_sub_co_ci_u32_e32 v12, vcc_lo, s0, v12, vcc_lo
	s_waitcnt lgkmcnt(0)
	global_store_b32 v[11:12], v13, off offset:-1024
.LBB1386_251:
	s_and_not1_saveexec_b32 s5, s5
	s_cbranch_execz .LBB1386_253
; %bb.252:
	v_lshlrev_b32_e32 v11, 2, v0
	v_readfirstlane_b32 s6, v5
	v_readfirstlane_b32 s7, v6
	ds_load_b32 v12, v11 offset:1024
	s_waitcnt lgkmcnt(0)
	global_store_b32 v11, v12, s[6:7] offset:1024
.LBB1386_253:
	s_or_b32 exec_lo, exec_lo, s5
.LBB1386_254:
	s_and_not1_saveexec_b32 s4, s4
	s_cbranch_execz .LBB1386_256
; %bb.255:
	v_lshlrev_b32_e32 v11, 2, v0
	v_readfirstlane_b32 s4, v7
	v_readfirstlane_b32 s5, v8
	ds_load_b32 v12, v11 offset:1024
	s_waitcnt lgkmcnt(0)
	global_store_b32 v11, v12, s[4:5] offset:1024
.LBB1386_256:
	s_or_b32 exec_lo, exec_lo, s2
	v_or_b32_e32 v11, 0x200, v0
	s_mov_b32 s2, exec_lo
	s_delay_alu instid0(VALU_DEP_1)
	v_cmpx_gt_u32_e64 s3, v11
	s_cbranch_execz .LBB1386_265
; %bb.257:
	s_mov_b32 s4, exec_lo
	v_cmpx_le_u32_e64 v1, v11
	s_xor_b32 s4, exec_lo, s4
	s_cbranch_execz .LBB1386_263
; %bb.258:
	s_mov_b32 s5, exec_lo
	v_cmpx_le_u32_e64 v10, v11
	s_xor_b32 s5, exec_lo, s5
	s_cbranch_execz .LBB1386_260
; %bb.259:
	v_lshlrev_b32_e32 v11, 2, v0
	ds_load_b32 v13, v11 offset:2048
	v_add_co_u32 v11, vcc_lo, v3, v0
	v_add_co_ci_u32_e32 v12, vcc_lo, 0, v9, vcc_lo
	s_delay_alu instid0(VALU_DEP_1) | instskip(NEXT) | instid1(VALU_DEP_1)
	v_lshlrev_b64 v[11:12], 2, v[11:12]
	v_sub_co_u32 v11, vcc_lo, s1, v11
	s_delay_alu instid0(VALU_DEP_2)
	v_sub_co_ci_u32_e32 v12, vcc_lo, s0, v12, vcc_lo
	s_waitcnt lgkmcnt(0)
	global_store_b32 v[11:12], v13, off offset:-2048
.LBB1386_260:
	s_and_not1_saveexec_b32 s5, s5
	s_cbranch_execz .LBB1386_262
; %bb.261:
	v_lshlrev_b32_e32 v11, 2, v0
	v_readfirstlane_b32 s6, v5
	v_readfirstlane_b32 s7, v6
	ds_load_b32 v12, v11 offset:2048
	s_waitcnt lgkmcnt(0)
	global_store_b32 v11, v12, s[6:7] offset:2048
.LBB1386_262:
	s_or_b32 exec_lo, exec_lo, s5
.LBB1386_263:
	s_and_not1_saveexec_b32 s4, s4
	s_cbranch_execz .LBB1386_265
; %bb.264:
	v_lshlrev_b32_e32 v11, 2, v0
	v_readfirstlane_b32 s4, v7
	v_readfirstlane_b32 s5, v8
	ds_load_b32 v12, v11 offset:2048
	s_waitcnt lgkmcnt(0)
	global_store_b32 v11, v12, s[4:5] offset:2048
.LBB1386_265:
	;; [unrolled: 51-line block ×3, first 2 shown]
	s_or_b32 exec_lo, exec_lo, s2
	v_or_b32_e32 v11, 0x400, v0
	s_mov_b32 s2, exec_lo
	s_delay_alu instid0(VALU_DEP_1)
	v_cmpx_gt_u32_e64 s3, v11
	s_cbranch_execz .LBB1386_283
; %bb.275:
	s_mov_b32 s4, exec_lo
	v_cmpx_le_u32_e64 v1, v11
	s_xor_b32 s4, exec_lo, s4
	s_cbranch_execz .LBB1386_281
; %bb.276:
	s_mov_b32 s5, exec_lo
	v_cmpx_le_u32_e64 v10, v11
	s_xor_b32 s5, exec_lo, s5
	s_cbranch_execz .LBB1386_278
; %bb.277:
	v_lshlrev_b32_e32 v11, 2, v0
	ds_load_b32 v13, v11 offset:4096
	v_add_co_u32 v11, vcc_lo, v3, v0
	v_add_co_ci_u32_e32 v12, vcc_lo, 0, v9, vcc_lo
	s_delay_alu instid0(VALU_DEP_1) | instskip(NEXT) | instid1(VALU_DEP_1)
	v_lshlrev_b64 v[11:12], 2, v[11:12]
	v_sub_co_u32 v11, vcc_lo, s1, v11
	s_delay_alu instid0(VALU_DEP_2)
	v_sub_co_ci_u32_e32 v12, vcc_lo, s0, v12, vcc_lo
	s_waitcnt lgkmcnt(0)
	global_store_b32 v[11:12], v13, off offset:-4096
                                        ; implicit-def: $vgpr11
.LBB1386_278:
	s_and_not1_saveexec_b32 s5, s5
	s_cbranch_execz .LBB1386_280
; %bb.279:
	v_lshlrev_b32_e32 v12, 2, v0
	v_lshlrev_b32_e32 v11, 2, v11
	v_readfirstlane_b32 s6, v5
	v_readfirstlane_b32 s7, v6
	ds_load_b32 v12, v12 offset:4096
	s_waitcnt lgkmcnt(0)
	global_store_b32 v11, v12, s[6:7]
.LBB1386_280:
	s_or_b32 exec_lo, exec_lo, s5
                                        ; implicit-def: $vgpr11
.LBB1386_281:
	s_and_not1_saveexec_b32 s4, s4
	s_cbranch_execz .LBB1386_283
; %bb.282:
	v_lshlrev_b32_e32 v12, 2, v0
	v_lshlrev_b32_e32 v11, 2, v11
	v_readfirstlane_b32 s4, v7
	v_readfirstlane_b32 s5, v8
	ds_load_b32 v12, v12 offset:4096
	s_waitcnt lgkmcnt(0)
	global_store_b32 v11, v12, s[4:5]
.LBB1386_283:
	s_or_b32 exec_lo, exec_lo, s2
	v_or_b32_e32 v11, 0x500, v0
	s_mov_b32 s2, exec_lo
	s_delay_alu instid0(VALU_DEP_1)
	v_cmpx_gt_u32_e64 s3, v11
	s_cbranch_execz .LBB1386_292
; %bb.284:
	s_mov_b32 s4, exec_lo
	v_cmpx_le_u32_e64 v1, v11
	s_xor_b32 s4, exec_lo, s4
	s_cbranch_execz .LBB1386_290
; %bb.285:
	s_mov_b32 s5, exec_lo
	v_cmpx_le_u32_e64 v10, v11
	s_xor_b32 s5, exec_lo, s5
	s_cbranch_execz .LBB1386_287
; %bb.286:
	v_lshlrev_b32_e32 v12, 2, v0
	v_add_co_u32 v11, vcc_lo, v3, v11
	ds_load_b32 v13, v12 offset:5120
	v_add_co_ci_u32_e32 v12, vcc_lo, 0, v9, vcc_lo
	s_delay_alu instid0(VALU_DEP_1) | instskip(NEXT) | instid1(VALU_DEP_1)
	v_lshlrev_b64 v[11:12], 2, v[11:12]
	v_sub_co_u32 v11, vcc_lo, s1, v11
	s_delay_alu instid0(VALU_DEP_2)
	v_sub_co_ci_u32_e32 v12, vcc_lo, s0, v12, vcc_lo
	s_waitcnt lgkmcnt(0)
	global_store_b32 v[11:12], v13, off
                                        ; implicit-def: $vgpr11
.LBB1386_287:
	s_and_not1_saveexec_b32 s5, s5
	s_cbranch_execz .LBB1386_289
; %bb.288:
	v_lshlrev_b32_e32 v12, 2, v0
	v_lshlrev_b32_e32 v11, 2, v11
	v_readfirstlane_b32 s6, v5
	v_readfirstlane_b32 s7, v6
	ds_load_b32 v12, v12 offset:5120
	s_waitcnt lgkmcnt(0)
	global_store_b32 v11, v12, s[6:7]
.LBB1386_289:
	s_or_b32 exec_lo, exec_lo, s5
                                        ; implicit-def: $vgpr11
.LBB1386_290:
	s_and_not1_saveexec_b32 s4, s4
	s_cbranch_execz .LBB1386_292
; %bb.291:
	v_lshlrev_b32_e32 v12, 2, v0
	v_lshlrev_b32_e32 v11, 2, v11
	v_readfirstlane_b32 s4, v7
	v_readfirstlane_b32 s5, v8
	ds_load_b32 v12, v12 offset:5120
	s_waitcnt lgkmcnt(0)
	global_store_b32 v11, v12, s[4:5]
.LBB1386_292:
	s_or_b32 exec_lo, exec_lo, s2
	v_or_b32_e32 v11, 0x600, v0
	s_mov_b32 s2, exec_lo
	s_delay_alu instid0(VALU_DEP_1)
	v_cmpx_gt_u32_e64 s3, v11
	s_cbranch_execz .LBB1386_301
; %bb.293:
	s_mov_b32 s4, exec_lo
	v_cmpx_le_u32_e64 v1, v11
	s_xor_b32 s4, exec_lo, s4
	s_cbranch_execz .LBB1386_299
; %bb.294:
	s_mov_b32 s5, exec_lo
	v_cmpx_le_u32_e64 v10, v11
	s_xor_b32 s5, exec_lo, s5
	s_cbranch_execz .LBB1386_296
; %bb.295:
	v_lshlrev_b32_e32 v12, 2, v0
	v_add_co_u32 v11, vcc_lo, v3, v11
	ds_load_b32 v13, v12 offset:6144
	v_add_co_ci_u32_e32 v12, vcc_lo, 0, v9, vcc_lo
	s_delay_alu instid0(VALU_DEP_1) | instskip(NEXT) | instid1(VALU_DEP_1)
	v_lshlrev_b64 v[11:12], 2, v[11:12]
	v_sub_co_u32 v11, vcc_lo, s1, v11
	s_delay_alu instid0(VALU_DEP_2)
	v_sub_co_ci_u32_e32 v12, vcc_lo, s0, v12, vcc_lo
	s_waitcnt lgkmcnt(0)
	global_store_b32 v[11:12], v13, off
                                        ; implicit-def: $vgpr11
.LBB1386_296:
	s_and_not1_saveexec_b32 s5, s5
	s_cbranch_execz .LBB1386_298
; %bb.297:
	v_lshlrev_b32_e32 v12, 2, v0
	v_lshlrev_b32_e32 v11, 2, v11
	v_readfirstlane_b32 s6, v5
	v_readfirstlane_b32 s7, v6
	ds_load_b32 v12, v12 offset:6144
	s_waitcnt lgkmcnt(0)
	global_store_b32 v11, v12, s[6:7]
.LBB1386_298:
	s_or_b32 exec_lo, exec_lo, s5
                                        ; implicit-def: $vgpr11
.LBB1386_299:
	s_and_not1_saveexec_b32 s4, s4
	s_cbranch_execz .LBB1386_301
; %bb.300:
	v_lshlrev_b32_e32 v12, 2, v0
	v_lshlrev_b32_e32 v11, 2, v11
	v_readfirstlane_b32 s4, v7
	v_readfirstlane_b32 s5, v8
	ds_load_b32 v12, v12 offset:6144
	s_waitcnt lgkmcnt(0)
	global_store_b32 v11, v12, s[4:5]
.LBB1386_301:
	;; [unrolled: 55-line block ×7, first 2 shown]
	s_or_b32 exec_lo, exec_lo, s2
	v_or_b32_e32 v11, 0xc00, v0
	s_mov_b32 s2, exec_lo
	s_delay_alu instid0(VALU_DEP_1)
	v_cmpx_gt_u32_e64 s3, v11
	s_cbranch_execz .LBB1386_355
; %bb.347:
	s_mov_b32 s3, exec_lo
	v_cmpx_le_u32_e64 v1, v11
	s_xor_b32 s3, exec_lo, s3
	s_cbranch_execz .LBB1386_353
; %bb.348:
	s_mov_b32 s4, exec_lo
	v_cmpx_le_u32_e64 v10, v11
	s_xor_b32 s4, exec_lo, s4
	s_cbranch_execz .LBB1386_350
; %bb.349:
	v_lshlrev_b32_e32 v5, 2, v0
	ds_load_b32 v7, v5 offset:12288
	v_add_co_u32 v5, vcc_lo, v3, v11
	v_add_co_ci_u32_e32 v6, vcc_lo, 0, v9, vcc_lo
                                        ; implicit-def: $vgpr11
	s_delay_alu instid0(VALU_DEP_1) | instskip(NEXT) | instid1(VALU_DEP_1)
	v_lshlrev_b64 v[5:6], 2, v[5:6]
	v_sub_co_u32 v5, vcc_lo, s1, v5
	s_delay_alu instid0(VALU_DEP_2)
	v_sub_co_ci_u32_e32 v6, vcc_lo, s0, v6, vcc_lo
	s_waitcnt lgkmcnt(0)
	global_store_b32 v[5:6], v7, off
                                        ; implicit-def: $vgpr5_vgpr6
.LBB1386_350:
	s_and_not1_saveexec_b32 s0, s4
	s_cbranch_execz .LBB1386_352
; %bb.351:
	v_lshlrev_b32_e32 v3, 2, v0
	v_lshlrev_b32_e32 v7, 2, v11
	v_readfirstlane_b32 s4, v5
	v_readfirstlane_b32 s5, v6
	ds_load_b32 v3, v3 offset:12288
	s_waitcnt lgkmcnt(0)
	global_store_b32 v7, v3, s[4:5]
.LBB1386_352:
	s_or_b32 exec_lo, exec_lo, s0
                                        ; implicit-def: $vgpr11
                                        ; implicit-def: $vgpr7_vgpr8
.LBB1386_353:
	s_and_not1_saveexec_b32 s0, s3
	s_cbranch_execz .LBB1386_355
; %bb.354:
	v_lshlrev_b32_e32 v3, 2, v0
	v_lshlrev_b32_e32 v5, 2, v11
	v_readfirstlane_b32 s0, v7
	v_readfirstlane_b32 s1, v8
	ds_load_b32 v3, v3 offset:12288
	s_waitcnt lgkmcnt(0)
	global_store_b32 v5, v3, s[0:1]
.LBB1386_355:
	s_or_b32 exec_lo, exec_lo, s2
	v_cmp_eq_u32_e32 vcc_lo, 0, v0
	s_and_b32 s0, vcc_lo, s14
	s_delay_alu instid0(SALU_CYCLE_1)
	s_and_saveexec_b32 s1, s0
	s_cbranch_execz .LBB1386_132
.LBB1386_356:
	v_add_co_u32 v2, s0, s30, v2
	s_delay_alu instid0(VALU_DEP_1) | instskip(SKIP_2) | instid1(VALU_DEP_4)
	v_add_co_ci_u32_e64 v3, null, s31, 0, s0
	v_add_co_u32 v0, vcc_lo, v18, v1
	v_add_co_ci_u32_e32 v1, vcc_lo, 0, v19, vcc_lo
	v_add_co_u32 v2, vcc_lo, v2, v4
	v_mov_b32_e32 v5, 0
	v_add_co_ci_u32_e32 v3, vcc_lo, 0, v3, vcc_lo
	global_store_b128 v5, v[0:3], s[24:25]
	s_nop 0
	s_sendmsg sendmsg(MSG_DEALLOC_VGPRS)
	s_endpgm
.LBB1386_357:
	v_add_nc_u32_e32 v3, s7, v23
	s_add_i32 s10, s15, 32
	s_mov_b32 s11, 0
	v_dual_mov_b32 v5, 0 :: v_dual_add_nc_u32 v2, v22, v1
	s_lshl_b64 s[10:11], s[10:11], 4
	v_and_b32_e32 v20, 0xff0000, v3
	s_add_u32 s10, s4, s10
	s_addc_u32 s11, s5, s11
	v_and_b32_e32 v4, 0xff000000, v3
	s_delay_alu instid0(VALU_DEP_1) | instskip(SKIP_2) | instid1(VALU_DEP_1)
	v_or_b32_e32 v20, v20, v4
	v_dual_mov_b32 v4, 2 :: v_dual_and_b32 v21, 0xff00, v3
	v_and_b32_e32 v3, 0xff, v3
	v_or3_b32 v3, v20, v21, v3
	v_dual_mov_b32 v21, s11 :: v_dual_mov_b32 v20, s10
	;;#ASMSTART
	global_store_dwordx4 v[20:21], v[2:5] off	
s_waitcnt vmcnt(0)
	;;#ASMEND
	s_or_b32 exec_lo, exec_lo, s8
	s_and_saveexec_b32 s8, s2
	s_cbranch_execz .LBB1386_116
.LBB1386_358:
	v_mov_b32_e32 v2, s7
	v_add_nc_u32_e64 v3, 0x3400, 0
	ds_store_2addr_b32 v3, v1, v2 offset1:2
	ds_store_2addr_b32 v3, v22, v23 offset0:4 offset1:6
	s_or_b32 exec_lo, exec_lo, s8
	v_cmp_eq_u32_e32 vcc_lo, 0, v0
	s_and_b32 exec_lo, exec_lo, vcc_lo
	s_cbranch_execnz .LBB1386_117
	s_branch .LBB1386_118
	.section	.rodata,"a",@progbits
	.p2align	6, 0x0
	.amdhsa_kernel _ZN7rocprim17ROCPRIM_400000_NS6detail17trampoline_kernelINS0_13select_configILj256ELj13ELNS0_17block_load_methodE3ELS4_3ELS4_3ELNS0_20block_scan_algorithmE0ELj4294967295EEENS1_25partition_config_selectorILNS1_17partition_subalgoE4EjNS0_10empty_typeEbEEZZNS1_14partition_implILS8_4ELb0ES6_15HIP_vector_typeIjLj2EENS0_17counting_iteratorIjlEEPS9_SG_NS0_5tupleIJPjSI_NS0_16reverse_iteratorISI_EEEEENSH_IJSG_SG_SG_EEES9_SI_JZNS1_25segmented_radix_sort_implINS0_14default_configELb0EPKfPfPKlPlN2at6native12_GLOBAL__N_18offset_tEEE10hipError_tPvRmT1_PNSt15iterator_traitsIS12_E10value_typeET2_T3_PNS13_IS18_E10value_typeET4_jRbjT5_S1E_jjP12ihipStream_tbEUljE_ZNSN_ISO_Lb0ESQ_SR_ST_SU_SY_EESZ_S10_S11_S12_S16_S17_S18_S1B_S1C_jS1D_jS1E_S1E_jjS1G_bEUljE0_EEESZ_S10_S11_S18_S1C_S1E_T6_T7_T9_mT8_S1G_bDpT10_ENKUlT_T0_E_clISt17integral_constantIbLb1EES1T_IbLb0EEEEDaS1P_S1Q_EUlS1P_E_NS1_11comp_targetILNS1_3genE9ELNS1_11target_archE1100ELNS1_3gpuE3ELNS1_3repE0EEENS1_30default_config_static_selectorELNS0_4arch9wavefront6targetE0EEEvS12_
		.amdhsa_group_segment_fixed_size 13340
		.amdhsa_private_segment_fixed_size 0
		.amdhsa_kernarg_size 176
		.amdhsa_user_sgpr_count 15
		.amdhsa_user_sgpr_dispatch_ptr 0
		.amdhsa_user_sgpr_queue_ptr 0
		.amdhsa_user_sgpr_kernarg_segment_ptr 1
		.amdhsa_user_sgpr_dispatch_id 0
		.amdhsa_user_sgpr_private_segment_size 0
		.amdhsa_wavefront_size32 1
		.amdhsa_uses_dynamic_stack 0
		.amdhsa_enable_private_segment 0
		.amdhsa_system_sgpr_workgroup_id_x 1
		.amdhsa_system_sgpr_workgroup_id_y 0
		.amdhsa_system_sgpr_workgroup_id_z 0
		.amdhsa_system_sgpr_workgroup_info 0
		.amdhsa_system_vgpr_workitem_id 0
		.amdhsa_next_free_vgpr 98
		.amdhsa_next_free_sgpr 59
		.amdhsa_reserve_vcc 1
		.amdhsa_float_round_mode_32 0
		.amdhsa_float_round_mode_16_64 0
		.amdhsa_float_denorm_mode_32 3
		.amdhsa_float_denorm_mode_16_64 3
		.amdhsa_dx10_clamp 1
		.amdhsa_ieee_mode 1
		.amdhsa_fp16_overflow 0
		.amdhsa_workgroup_processor_mode 1
		.amdhsa_memory_ordered 1
		.amdhsa_forward_progress 0
		.amdhsa_shared_vgpr_count 0
		.amdhsa_exception_fp_ieee_invalid_op 0
		.amdhsa_exception_fp_denorm_src 0
		.amdhsa_exception_fp_ieee_div_zero 0
		.amdhsa_exception_fp_ieee_overflow 0
		.amdhsa_exception_fp_ieee_underflow 0
		.amdhsa_exception_fp_ieee_inexact 0
		.amdhsa_exception_int_div_zero 0
	.end_amdhsa_kernel
	.section	.text._ZN7rocprim17ROCPRIM_400000_NS6detail17trampoline_kernelINS0_13select_configILj256ELj13ELNS0_17block_load_methodE3ELS4_3ELS4_3ELNS0_20block_scan_algorithmE0ELj4294967295EEENS1_25partition_config_selectorILNS1_17partition_subalgoE4EjNS0_10empty_typeEbEEZZNS1_14partition_implILS8_4ELb0ES6_15HIP_vector_typeIjLj2EENS0_17counting_iteratorIjlEEPS9_SG_NS0_5tupleIJPjSI_NS0_16reverse_iteratorISI_EEEEENSH_IJSG_SG_SG_EEES9_SI_JZNS1_25segmented_radix_sort_implINS0_14default_configELb0EPKfPfPKlPlN2at6native12_GLOBAL__N_18offset_tEEE10hipError_tPvRmT1_PNSt15iterator_traitsIS12_E10value_typeET2_T3_PNS13_IS18_E10value_typeET4_jRbjT5_S1E_jjP12ihipStream_tbEUljE_ZNSN_ISO_Lb0ESQ_SR_ST_SU_SY_EESZ_S10_S11_S12_S16_S17_S18_S1B_S1C_jS1D_jS1E_S1E_jjS1G_bEUljE0_EEESZ_S10_S11_S18_S1C_S1E_T6_T7_T9_mT8_S1G_bDpT10_ENKUlT_T0_E_clISt17integral_constantIbLb1EES1T_IbLb0EEEEDaS1P_S1Q_EUlS1P_E_NS1_11comp_targetILNS1_3genE9ELNS1_11target_archE1100ELNS1_3gpuE3ELNS1_3repE0EEENS1_30default_config_static_selectorELNS0_4arch9wavefront6targetE0EEEvS12_,"axG",@progbits,_ZN7rocprim17ROCPRIM_400000_NS6detail17trampoline_kernelINS0_13select_configILj256ELj13ELNS0_17block_load_methodE3ELS4_3ELS4_3ELNS0_20block_scan_algorithmE0ELj4294967295EEENS1_25partition_config_selectorILNS1_17partition_subalgoE4EjNS0_10empty_typeEbEEZZNS1_14partition_implILS8_4ELb0ES6_15HIP_vector_typeIjLj2EENS0_17counting_iteratorIjlEEPS9_SG_NS0_5tupleIJPjSI_NS0_16reverse_iteratorISI_EEEEENSH_IJSG_SG_SG_EEES9_SI_JZNS1_25segmented_radix_sort_implINS0_14default_configELb0EPKfPfPKlPlN2at6native12_GLOBAL__N_18offset_tEEE10hipError_tPvRmT1_PNSt15iterator_traitsIS12_E10value_typeET2_T3_PNS13_IS18_E10value_typeET4_jRbjT5_S1E_jjP12ihipStream_tbEUljE_ZNSN_ISO_Lb0ESQ_SR_ST_SU_SY_EESZ_S10_S11_S12_S16_S17_S18_S1B_S1C_jS1D_jS1E_S1E_jjS1G_bEUljE0_EEESZ_S10_S11_S18_S1C_S1E_T6_T7_T9_mT8_S1G_bDpT10_ENKUlT_T0_E_clISt17integral_constantIbLb1EES1T_IbLb0EEEEDaS1P_S1Q_EUlS1P_E_NS1_11comp_targetILNS1_3genE9ELNS1_11target_archE1100ELNS1_3gpuE3ELNS1_3repE0EEENS1_30default_config_static_selectorELNS0_4arch9wavefront6targetE0EEEvS12_,comdat
.Lfunc_end1386:
	.size	_ZN7rocprim17ROCPRIM_400000_NS6detail17trampoline_kernelINS0_13select_configILj256ELj13ELNS0_17block_load_methodE3ELS4_3ELS4_3ELNS0_20block_scan_algorithmE0ELj4294967295EEENS1_25partition_config_selectorILNS1_17partition_subalgoE4EjNS0_10empty_typeEbEEZZNS1_14partition_implILS8_4ELb0ES6_15HIP_vector_typeIjLj2EENS0_17counting_iteratorIjlEEPS9_SG_NS0_5tupleIJPjSI_NS0_16reverse_iteratorISI_EEEEENSH_IJSG_SG_SG_EEES9_SI_JZNS1_25segmented_radix_sort_implINS0_14default_configELb0EPKfPfPKlPlN2at6native12_GLOBAL__N_18offset_tEEE10hipError_tPvRmT1_PNSt15iterator_traitsIS12_E10value_typeET2_T3_PNS13_IS18_E10value_typeET4_jRbjT5_S1E_jjP12ihipStream_tbEUljE_ZNSN_ISO_Lb0ESQ_SR_ST_SU_SY_EESZ_S10_S11_S12_S16_S17_S18_S1B_S1C_jS1D_jS1E_S1E_jjS1G_bEUljE0_EEESZ_S10_S11_S18_S1C_S1E_T6_T7_T9_mT8_S1G_bDpT10_ENKUlT_T0_E_clISt17integral_constantIbLb1EES1T_IbLb0EEEEDaS1P_S1Q_EUlS1P_E_NS1_11comp_targetILNS1_3genE9ELNS1_11target_archE1100ELNS1_3gpuE3ELNS1_3repE0EEENS1_30default_config_static_selectorELNS0_4arch9wavefront6targetE0EEEvS12_, .Lfunc_end1386-_ZN7rocprim17ROCPRIM_400000_NS6detail17trampoline_kernelINS0_13select_configILj256ELj13ELNS0_17block_load_methodE3ELS4_3ELS4_3ELNS0_20block_scan_algorithmE0ELj4294967295EEENS1_25partition_config_selectorILNS1_17partition_subalgoE4EjNS0_10empty_typeEbEEZZNS1_14partition_implILS8_4ELb0ES6_15HIP_vector_typeIjLj2EENS0_17counting_iteratorIjlEEPS9_SG_NS0_5tupleIJPjSI_NS0_16reverse_iteratorISI_EEEEENSH_IJSG_SG_SG_EEES9_SI_JZNS1_25segmented_radix_sort_implINS0_14default_configELb0EPKfPfPKlPlN2at6native12_GLOBAL__N_18offset_tEEE10hipError_tPvRmT1_PNSt15iterator_traitsIS12_E10value_typeET2_T3_PNS13_IS18_E10value_typeET4_jRbjT5_S1E_jjP12ihipStream_tbEUljE_ZNSN_ISO_Lb0ESQ_SR_ST_SU_SY_EESZ_S10_S11_S12_S16_S17_S18_S1B_S1C_jS1D_jS1E_S1E_jjS1G_bEUljE0_EEESZ_S10_S11_S18_S1C_S1E_T6_T7_T9_mT8_S1G_bDpT10_ENKUlT_T0_E_clISt17integral_constantIbLb1EES1T_IbLb0EEEEDaS1P_S1Q_EUlS1P_E_NS1_11comp_targetILNS1_3genE9ELNS1_11target_archE1100ELNS1_3gpuE3ELNS1_3repE0EEENS1_30default_config_static_selectorELNS0_4arch9wavefront6targetE0EEEvS12_
                                        ; -- End function
	.section	.AMDGPU.csdata,"",@progbits
; Kernel info:
; codeLenInByte = 15084
; NumSgprs: 61
; NumVgprs: 98
; ScratchSize: 0
; MemoryBound: 0
; FloatMode: 240
; IeeeMode: 1
; LDSByteSize: 13340 bytes/workgroup (compile time only)
; SGPRBlocks: 7
; VGPRBlocks: 12
; NumSGPRsForWavesPerEU: 61
; NumVGPRsForWavesPerEU: 98
; Occupancy: 12
; WaveLimiterHint : 1
; COMPUTE_PGM_RSRC2:SCRATCH_EN: 0
; COMPUTE_PGM_RSRC2:USER_SGPR: 15
; COMPUTE_PGM_RSRC2:TRAP_HANDLER: 0
; COMPUTE_PGM_RSRC2:TGID_X_EN: 1
; COMPUTE_PGM_RSRC2:TGID_Y_EN: 0
; COMPUTE_PGM_RSRC2:TGID_Z_EN: 0
; COMPUTE_PGM_RSRC2:TIDIG_COMP_CNT: 0
	.section	.text._ZN7rocprim17ROCPRIM_400000_NS6detail17trampoline_kernelINS0_13select_configILj256ELj13ELNS0_17block_load_methodE3ELS4_3ELS4_3ELNS0_20block_scan_algorithmE0ELj4294967295EEENS1_25partition_config_selectorILNS1_17partition_subalgoE4EjNS0_10empty_typeEbEEZZNS1_14partition_implILS8_4ELb0ES6_15HIP_vector_typeIjLj2EENS0_17counting_iteratorIjlEEPS9_SG_NS0_5tupleIJPjSI_NS0_16reverse_iteratorISI_EEEEENSH_IJSG_SG_SG_EEES9_SI_JZNS1_25segmented_radix_sort_implINS0_14default_configELb0EPKfPfPKlPlN2at6native12_GLOBAL__N_18offset_tEEE10hipError_tPvRmT1_PNSt15iterator_traitsIS12_E10value_typeET2_T3_PNS13_IS18_E10value_typeET4_jRbjT5_S1E_jjP12ihipStream_tbEUljE_ZNSN_ISO_Lb0ESQ_SR_ST_SU_SY_EESZ_S10_S11_S12_S16_S17_S18_S1B_S1C_jS1D_jS1E_S1E_jjS1G_bEUljE0_EEESZ_S10_S11_S18_S1C_S1E_T6_T7_T9_mT8_S1G_bDpT10_ENKUlT_T0_E_clISt17integral_constantIbLb1EES1T_IbLb0EEEEDaS1P_S1Q_EUlS1P_E_NS1_11comp_targetILNS1_3genE8ELNS1_11target_archE1030ELNS1_3gpuE2ELNS1_3repE0EEENS1_30default_config_static_selectorELNS0_4arch9wavefront6targetE0EEEvS12_,"axG",@progbits,_ZN7rocprim17ROCPRIM_400000_NS6detail17trampoline_kernelINS0_13select_configILj256ELj13ELNS0_17block_load_methodE3ELS4_3ELS4_3ELNS0_20block_scan_algorithmE0ELj4294967295EEENS1_25partition_config_selectorILNS1_17partition_subalgoE4EjNS0_10empty_typeEbEEZZNS1_14partition_implILS8_4ELb0ES6_15HIP_vector_typeIjLj2EENS0_17counting_iteratorIjlEEPS9_SG_NS0_5tupleIJPjSI_NS0_16reverse_iteratorISI_EEEEENSH_IJSG_SG_SG_EEES9_SI_JZNS1_25segmented_radix_sort_implINS0_14default_configELb0EPKfPfPKlPlN2at6native12_GLOBAL__N_18offset_tEEE10hipError_tPvRmT1_PNSt15iterator_traitsIS12_E10value_typeET2_T3_PNS13_IS18_E10value_typeET4_jRbjT5_S1E_jjP12ihipStream_tbEUljE_ZNSN_ISO_Lb0ESQ_SR_ST_SU_SY_EESZ_S10_S11_S12_S16_S17_S18_S1B_S1C_jS1D_jS1E_S1E_jjS1G_bEUljE0_EEESZ_S10_S11_S18_S1C_S1E_T6_T7_T9_mT8_S1G_bDpT10_ENKUlT_T0_E_clISt17integral_constantIbLb1EES1T_IbLb0EEEEDaS1P_S1Q_EUlS1P_E_NS1_11comp_targetILNS1_3genE8ELNS1_11target_archE1030ELNS1_3gpuE2ELNS1_3repE0EEENS1_30default_config_static_selectorELNS0_4arch9wavefront6targetE0EEEvS12_,comdat
	.globl	_ZN7rocprim17ROCPRIM_400000_NS6detail17trampoline_kernelINS0_13select_configILj256ELj13ELNS0_17block_load_methodE3ELS4_3ELS4_3ELNS0_20block_scan_algorithmE0ELj4294967295EEENS1_25partition_config_selectorILNS1_17partition_subalgoE4EjNS0_10empty_typeEbEEZZNS1_14partition_implILS8_4ELb0ES6_15HIP_vector_typeIjLj2EENS0_17counting_iteratorIjlEEPS9_SG_NS0_5tupleIJPjSI_NS0_16reverse_iteratorISI_EEEEENSH_IJSG_SG_SG_EEES9_SI_JZNS1_25segmented_radix_sort_implINS0_14default_configELb0EPKfPfPKlPlN2at6native12_GLOBAL__N_18offset_tEEE10hipError_tPvRmT1_PNSt15iterator_traitsIS12_E10value_typeET2_T3_PNS13_IS18_E10value_typeET4_jRbjT5_S1E_jjP12ihipStream_tbEUljE_ZNSN_ISO_Lb0ESQ_SR_ST_SU_SY_EESZ_S10_S11_S12_S16_S17_S18_S1B_S1C_jS1D_jS1E_S1E_jjS1G_bEUljE0_EEESZ_S10_S11_S18_S1C_S1E_T6_T7_T9_mT8_S1G_bDpT10_ENKUlT_T0_E_clISt17integral_constantIbLb1EES1T_IbLb0EEEEDaS1P_S1Q_EUlS1P_E_NS1_11comp_targetILNS1_3genE8ELNS1_11target_archE1030ELNS1_3gpuE2ELNS1_3repE0EEENS1_30default_config_static_selectorELNS0_4arch9wavefront6targetE0EEEvS12_ ; -- Begin function _ZN7rocprim17ROCPRIM_400000_NS6detail17trampoline_kernelINS0_13select_configILj256ELj13ELNS0_17block_load_methodE3ELS4_3ELS4_3ELNS0_20block_scan_algorithmE0ELj4294967295EEENS1_25partition_config_selectorILNS1_17partition_subalgoE4EjNS0_10empty_typeEbEEZZNS1_14partition_implILS8_4ELb0ES6_15HIP_vector_typeIjLj2EENS0_17counting_iteratorIjlEEPS9_SG_NS0_5tupleIJPjSI_NS0_16reverse_iteratorISI_EEEEENSH_IJSG_SG_SG_EEES9_SI_JZNS1_25segmented_radix_sort_implINS0_14default_configELb0EPKfPfPKlPlN2at6native12_GLOBAL__N_18offset_tEEE10hipError_tPvRmT1_PNSt15iterator_traitsIS12_E10value_typeET2_T3_PNS13_IS18_E10value_typeET4_jRbjT5_S1E_jjP12ihipStream_tbEUljE_ZNSN_ISO_Lb0ESQ_SR_ST_SU_SY_EESZ_S10_S11_S12_S16_S17_S18_S1B_S1C_jS1D_jS1E_S1E_jjS1G_bEUljE0_EEESZ_S10_S11_S18_S1C_S1E_T6_T7_T9_mT8_S1G_bDpT10_ENKUlT_T0_E_clISt17integral_constantIbLb1EES1T_IbLb0EEEEDaS1P_S1Q_EUlS1P_E_NS1_11comp_targetILNS1_3genE8ELNS1_11target_archE1030ELNS1_3gpuE2ELNS1_3repE0EEENS1_30default_config_static_selectorELNS0_4arch9wavefront6targetE0EEEvS12_
	.p2align	8
	.type	_ZN7rocprim17ROCPRIM_400000_NS6detail17trampoline_kernelINS0_13select_configILj256ELj13ELNS0_17block_load_methodE3ELS4_3ELS4_3ELNS0_20block_scan_algorithmE0ELj4294967295EEENS1_25partition_config_selectorILNS1_17partition_subalgoE4EjNS0_10empty_typeEbEEZZNS1_14partition_implILS8_4ELb0ES6_15HIP_vector_typeIjLj2EENS0_17counting_iteratorIjlEEPS9_SG_NS0_5tupleIJPjSI_NS0_16reverse_iteratorISI_EEEEENSH_IJSG_SG_SG_EEES9_SI_JZNS1_25segmented_radix_sort_implINS0_14default_configELb0EPKfPfPKlPlN2at6native12_GLOBAL__N_18offset_tEEE10hipError_tPvRmT1_PNSt15iterator_traitsIS12_E10value_typeET2_T3_PNS13_IS18_E10value_typeET4_jRbjT5_S1E_jjP12ihipStream_tbEUljE_ZNSN_ISO_Lb0ESQ_SR_ST_SU_SY_EESZ_S10_S11_S12_S16_S17_S18_S1B_S1C_jS1D_jS1E_S1E_jjS1G_bEUljE0_EEESZ_S10_S11_S18_S1C_S1E_T6_T7_T9_mT8_S1G_bDpT10_ENKUlT_T0_E_clISt17integral_constantIbLb1EES1T_IbLb0EEEEDaS1P_S1Q_EUlS1P_E_NS1_11comp_targetILNS1_3genE8ELNS1_11target_archE1030ELNS1_3gpuE2ELNS1_3repE0EEENS1_30default_config_static_selectorELNS0_4arch9wavefront6targetE0EEEvS12_,@function
_ZN7rocprim17ROCPRIM_400000_NS6detail17trampoline_kernelINS0_13select_configILj256ELj13ELNS0_17block_load_methodE3ELS4_3ELS4_3ELNS0_20block_scan_algorithmE0ELj4294967295EEENS1_25partition_config_selectorILNS1_17partition_subalgoE4EjNS0_10empty_typeEbEEZZNS1_14partition_implILS8_4ELb0ES6_15HIP_vector_typeIjLj2EENS0_17counting_iteratorIjlEEPS9_SG_NS0_5tupleIJPjSI_NS0_16reverse_iteratorISI_EEEEENSH_IJSG_SG_SG_EEES9_SI_JZNS1_25segmented_radix_sort_implINS0_14default_configELb0EPKfPfPKlPlN2at6native12_GLOBAL__N_18offset_tEEE10hipError_tPvRmT1_PNSt15iterator_traitsIS12_E10value_typeET2_T3_PNS13_IS18_E10value_typeET4_jRbjT5_S1E_jjP12ihipStream_tbEUljE_ZNSN_ISO_Lb0ESQ_SR_ST_SU_SY_EESZ_S10_S11_S12_S16_S17_S18_S1B_S1C_jS1D_jS1E_S1E_jjS1G_bEUljE0_EEESZ_S10_S11_S18_S1C_S1E_T6_T7_T9_mT8_S1G_bDpT10_ENKUlT_T0_E_clISt17integral_constantIbLb1EES1T_IbLb0EEEEDaS1P_S1Q_EUlS1P_E_NS1_11comp_targetILNS1_3genE8ELNS1_11target_archE1030ELNS1_3gpuE2ELNS1_3repE0EEENS1_30default_config_static_selectorELNS0_4arch9wavefront6targetE0EEEvS12_: ; @_ZN7rocprim17ROCPRIM_400000_NS6detail17trampoline_kernelINS0_13select_configILj256ELj13ELNS0_17block_load_methodE3ELS4_3ELS4_3ELNS0_20block_scan_algorithmE0ELj4294967295EEENS1_25partition_config_selectorILNS1_17partition_subalgoE4EjNS0_10empty_typeEbEEZZNS1_14partition_implILS8_4ELb0ES6_15HIP_vector_typeIjLj2EENS0_17counting_iteratorIjlEEPS9_SG_NS0_5tupleIJPjSI_NS0_16reverse_iteratorISI_EEEEENSH_IJSG_SG_SG_EEES9_SI_JZNS1_25segmented_radix_sort_implINS0_14default_configELb0EPKfPfPKlPlN2at6native12_GLOBAL__N_18offset_tEEE10hipError_tPvRmT1_PNSt15iterator_traitsIS12_E10value_typeET2_T3_PNS13_IS18_E10value_typeET4_jRbjT5_S1E_jjP12ihipStream_tbEUljE_ZNSN_ISO_Lb0ESQ_SR_ST_SU_SY_EESZ_S10_S11_S12_S16_S17_S18_S1B_S1C_jS1D_jS1E_S1E_jjS1G_bEUljE0_EEESZ_S10_S11_S18_S1C_S1E_T6_T7_T9_mT8_S1G_bDpT10_ENKUlT_T0_E_clISt17integral_constantIbLb1EES1T_IbLb0EEEEDaS1P_S1Q_EUlS1P_E_NS1_11comp_targetILNS1_3genE8ELNS1_11target_archE1030ELNS1_3gpuE2ELNS1_3repE0EEENS1_30default_config_static_selectorELNS0_4arch9wavefront6targetE0EEEvS12_
; %bb.0:
	.section	.rodata,"a",@progbits
	.p2align	6, 0x0
	.amdhsa_kernel _ZN7rocprim17ROCPRIM_400000_NS6detail17trampoline_kernelINS0_13select_configILj256ELj13ELNS0_17block_load_methodE3ELS4_3ELS4_3ELNS0_20block_scan_algorithmE0ELj4294967295EEENS1_25partition_config_selectorILNS1_17partition_subalgoE4EjNS0_10empty_typeEbEEZZNS1_14partition_implILS8_4ELb0ES6_15HIP_vector_typeIjLj2EENS0_17counting_iteratorIjlEEPS9_SG_NS0_5tupleIJPjSI_NS0_16reverse_iteratorISI_EEEEENSH_IJSG_SG_SG_EEES9_SI_JZNS1_25segmented_radix_sort_implINS0_14default_configELb0EPKfPfPKlPlN2at6native12_GLOBAL__N_18offset_tEEE10hipError_tPvRmT1_PNSt15iterator_traitsIS12_E10value_typeET2_T3_PNS13_IS18_E10value_typeET4_jRbjT5_S1E_jjP12ihipStream_tbEUljE_ZNSN_ISO_Lb0ESQ_SR_ST_SU_SY_EESZ_S10_S11_S12_S16_S17_S18_S1B_S1C_jS1D_jS1E_S1E_jjS1G_bEUljE0_EEESZ_S10_S11_S18_S1C_S1E_T6_T7_T9_mT8_S1G_bDpT10_ENKUlT_T0_E_clISt17integral_constantIbLb1EES1T_IbLb0EEEEDaS1P_S1Q_EUlS1P_E_NS1_11comp_targetILNS1_3genE8ELNS1_11target_archE1030ELNS1_3gpuE2ELNS1_3repE0EEENS1_30default_config_static_selectorELNS0_4arch9wavefront6targetE0EEEvS12_
		.amdhsa_group_segment_fixed_size 0
		.amdhsa_private_segment_fixed_size 0
		.amdhsa_kernarg_size 176
		.amdhsa_user_sgpr_count 15
		.amdhsa_user_sgpr_dispatch_ptr 0
		.amdhsa_user_sgpr_queue_ptr 0
		.amdhsa_user_sgpr_kernarg_segment_ptr 1
		.amdhsa_user_sgpr_dispatch_id 0
		.amdhsa_user_sgpr_private_segment_size 0
		.amdhsa_wavefront_size32 1
		.amdhsa_uses_dynamic_stack 0
		.amdhsa_enable_private_segment 0
		.amdhsa_system_sgpr_workgroup_id_x 1
		.amdhsa_system_sgpr_workgroup_id_y 0
		.amdhsa_system_sgpr_workgroup_id_z 0
		.amdhsa_system_sgpr_workgroup_info 0
		.amdhsa_system_vgpr_workitem_id 0
		.amdhsa_next_free_vgpr 1
		.amdhsa_next_free_sgpr 1
		.amdhsa_reserve_vcc 0
		.amdhsa_float_round_mode_32 0
		.amdhsa_float_round_mode_16_64 0
		.amdhsa_float_denorm_mode_32 3
		.amdhsa_float_denorm_mode_16_64 3
		.amdhsa_dx10_clamp 1
		.amdhsa_ieee_mode 1
		.amdhsa_fp16_overflow 0
		.amdhsa_workgroup_processor_mode 1
		.amdhsa_memory_ordered 1
		.amdhsa_forward_progress 0
		.amdhsa_shared_vgpr_count 0
		.amdhsa_exception_fp_ieee_invalid_op 0
		.amdhsa_exception_fp_denorm_src 0
		.amdhsa_exception_fp_ieee_div_zero 0
		.amdhsa_exception_fp_ieee_overflow 0
		.amdhsa_exception_fp_ieee_underflow 0
		.amdhsa_exception_fp_ieee_inexact 0
		.amdhsa_exception_int_div_zero 0
	.end_amdhsa_kernel
	.section	.text._ZN7rocprim17ROCPRIM_400000_NS6detail17trampoline_kernelINS0_13select_configILj256ELj13ELNS0_17block_load_methodE3ELS4_3ELS4_3ELNS0_20block_scan_algorithmE0ELj4294967295EEENS1_25partition_config_selectorILNS1_17partition_subalgoE4EjNS0_10empty_typeEbEEZZNS1_14partition_implILS8_4ELb0ES6_15HIP_vector_typeIjLj2EENS0_17counting_iteratorIjlEEPS9_SG_NS0_5tupleIJPjSI_NS0_16reverse_iteratorISI_EEEEENSH_IJSG_SG_SG_EEES9_SI_JZNS1_25segmented_radix_sort_implINS0_14default_configELb0EPKfPfPKlPlN2at6native12_GLOBAL__N_18offset_tEEE10hipError_tPvRmT1_PNSt15iterator_traitsIS12_E10value_typeET2_T3_PNS13_IS18_E10value_typeET4_jRbjT5_S1E_jjP12ihipStream_tbEUljE_ZNSN_ISO_Lb0ESQ_SR_ST_SU_SY_EESZ_S10_S11_S12_S16_S17_S18_S1B_S1C_jS1D_jS1E_S1E_jjS1G_bEUljE0_EEESZ_S10_S11_S18_S1C_S1E_T6_T7_T9_mT8_S1G_bDpT10_ENKUlT_T0_E_clISt17integral_constantIbLb1EES1T_IbLb0EEEEDaS1P_S1Q_EUlS1P_E_NS1_11comp_targetILNS1_3genE8ELNS1_11target_archE1030ELNS1_3gpuE2ELNS1_3repE0EEENS1_30default_config_static_selectorELNS0_4arch9wavefront6targetE0EEEvS12_,"axG",@progbits,_ZN7rocprim17ROCPRIM_400000_NS6detail17trampoline_kernelINS0_13select_configILj256ELj13ELNS0_17block_load_methodE3ELS4_3ELS4_3ELNS0_20block_scan_algorithmE0ELj4294967295EEENS1_25partition_config_selectorILNS1_17partition_subalgoE4EjNS0_10empty_typeEbEEZZNS1_14partition_implILS8_4ELb0ES6_15HIP_vector_typeIjLj2EENS0_17counting_iteratorIjlEEPS9_SG_NS0_5tupleIJPjSI_NS0_16reverse_iteratorISI_EEEEENSH_IJSG_SG_SG_EEES9_SI_JZNS1_25segmented_radix_sort_implINS0_14default_configELb0EPKfPfPKlPlN2at6native12_GLOBAL__N_18offset_tEEE10hipError_tPvRmT1_PNSt15iterator_traitsIS12_E10value_typeET2_T3_PNS13_IS18_E10value_typeET4_jRbjT5_S1E_jjP12ihipStream_tbEUljE_ZNSN_ISO_Lb0ESQ_SR_ST_SU_SY_EESZ_S10_S11_S12_S16_S17_S18_S1B_S1C_jS1D_jS1E_S1E_jjS1G_bEUljE0_EEESZ_S10_S11_S18_S1C_S1E_T6_T7_T9_mT8_S1G_bDpT10_ENKUlT_T0_E_clISt17integral_constantIbLb1EES1T_IbLb0EEEEDaS1P_S1Q_EUlS1P_E_NS1_11comp_targetILNS1_3genE8ELNS1_11target_archE1030ELNS1_3gpuE2ELNS1_3repE0EEENS1_30default_config_static_selectorELNS0_4arch9wavefront6targetE0EEEvS12_,comdat
.Lfunc_end1387:
	.size	_ZN7rocprim17ROCPRIM_400000_NS6detail17trampoline_kernelINS0_13select_configILj256ELj13ELNS0_17block_load_methodE3ELS4_3ELS4_3ELNS0_20block_scan_algorithmE0ELj4294967295EEENS1_25partition_config_selectorILNS1_17partition_subalgoE4EjNS0_10empty_typeEbEEZZNS1_14partition_implILS8_4ELb0ES6_15HIP_vector_typeIjLj2EENS0_17counting_iteratorIjlEEPS9_SG_NS0_5tupleIJPjSI_NS0_16reverse_iteratorISI_EEEEENSH_IJSG_SG_SG_EEES9_SI_JZNS1_25segmented_radix_sort_implINS0_14default_configELb0EPKfPfPKlPlN2at6native12_GLOBAL__N_18offset_tEEE10hipError_tPvRmT1_PNSt15iterator_traitsIS12_E10value_typeET2_T3_PNS13_IS18_E10value_typeET4_jRbjT5_S1E_jjP12ihipStream_tbEUljE_ZNSN_ISO_Lb0ESQ_SR_ST_SU_SY_EESZ_S10_S11_S12_S16_S17_S18_S1B_S1C_jS1D_jS1E_S1E_jjS1G_bEUljE0_EEESZ_S10_S11_S18_S1C_S1E_T6_T7_T9_mT8_S1G_bDpT10_ENKUlT_T0_E_clISt17integral_constantIbLb1EES1T_IbLb0EEEEDaS1P_S1Q_EUlS1P_E_NS1_11comp_targetILNS1_3genE8ELNS1_11target_archE1030ELNS1_3gpuE2ELNS1_3repE0EEENS1_30default_config_static_selectorELNS0_4arch9wavefront6targetE0EEEvS12_, .Lfunc_end1387-_ZN7rocprim17ROCPRIM_400000_NS6detail17trampoline_kernelINS0_13select_configILj256ELj13ELNS0_17block_load_methodE3ELS4_3ELS4_3ELNS0_20block_scan_algorithmE0ELj4294967295EEENS1_25partition_config_selectorILNS1_17partition_subalgoE4EjNS0_10empty_typeEbEEZZNS1_14partition_implILS8_4ELb0ES6_15HIP_vector_typeIjLj2EENS0_17counting_iteratorIjlEEPS9_SG_NS0_5tupleIJPjSI_NS0_16reverse_iteratorISI_EEEEENSH_IJSG_SG_SG_EEES9_SI_JZNS1_25segmented_radix_sort_implINS0_14default_configELb0EPKfPfPKlPlN2at6native12_GLOBAL__N_18offset_tEEE10hipError_tPvRmT1_PNSt15iterator_traitsIS12_E10value_typeET2_T3_PNS13_IS18_E10value_typeET4_jRbjT5_S1E_jjP12ihipStream_tbEUljE_ZNSN_ISO_Lb0ESQ_SR_ST_SU_SY_EESZ_S10_S11_S12_S16_S17_S18_S1B_S1C_jS1D_jS1E_S1E_jjS1G_bEUljE0_EEESZ_S10_S11_S18_S1C_S1E_T6_T7_T9_mT8_S1G_bDpT10_ENKUlT_T0_E_clISt17integral_constantIbLb1EES1T_IbLb0EEEEDaS1P_S1Q_EUlS1P_E_NS1_11comp_targetILNS1_3genE8ELNS1_11target_archE1030ELNS1_3gpuE2ELNS1_3repE0EEENS1_30default_config_static_selectorELNS0_4arch9wavefront6targetE0EEEvS12_
                                        ; -- End function
	.section	.AMDGPU.csdata,"",@progbits
; Kernel info:
; codeLenInByte = 0
; NumSgprs: 0
; NumVgprs: 0
; ScratchSize: 0
; MemoryBound: 0
; FloatMode: 240
; IeeeMode: 1
; LDSByteSize: 0 bytes/workgroup (compile time only)
; SGPRBlocks: 0
; VGPRBlocks: 0
; NumSGPRsForWavesPerEU: 1
; NumVGPRsForWavesPerEU: 1
; Occupancy: 16
; WaveLimiterHint : 0
; COMPUTE_PGM_RSRC2:SCRATCH_EN: 0
; COMPUTE_PGM_RSRC2:USER_SGPR: 15
; COMPUTE_PGM_RSRC2:TRAP_HANDLER: 0
; COMPUTE_PGM_RSRC2:TGID_X_EN: 1
; COMPUTE_PGM_RSRC2:TGID_Y_EN: 0
; COMPUTE_PGM_RSRC2:TGID_Z_EN: 0
; COMPUTE_PGM_RSRC2:TIDIG_COMP_CNT: 0
	.section	.text._ZN7rocprim17ROCPRIM_400000_NS6detail17trampoline_kernelINS0_13select_configILj256ELj13ELNS0_17block_load_methodE3ELS4_3ELS4_3ELNS0_20block_scan_algorithmE0ELj4294967295EEENS1_25partition_config_selectorILNS1_17partition_subalgoE4EjNS0_10empty_typeEbEEZZNS1_14partition_implILS8_4ELb0ES6_15HIP_vector_typeIjLj2EENS0_17counting_iteratorIjlEEPS9_SG_NS0_5tupleIJPjSI_NS0_16reverse_iteratorISI_EEEEENSH_IJSG_SG_SG_EEES9_SI_JZNS1_25segmented_radix_sort_implINS0_14default_configELb0EPKfPfPKlPlN2at6native12_GLOBAL__N_18offset_tEEE10hipError_tPvRmT1_PNSt15iterator_traitsIS12_E10value_typeET2_T3_PNS13_IS18_E10value_typeET4_jRbjT5_S1E_jjP12ihipStream_tbEUljE_ZNSN_ISO_Lb0ESQ_SR_ST_SU_SY_EESZ_S10_S11_S12_S16_S17_S18_S1B_S1C_jS1D_jS1E_S1E_jjS1G_bEUljE0_EEESZ_S10_S11_S18_S1C_S1E_T6_T7_T9_mT8_S1G_bDpT10_ENKUlT_T0_E_clISt17integral_constantIbLb0EES1T_IbLb1EEEEDaS1P_S1Q_EUlS1P_E_NS1_11comp_targetILNS1_3genE0ELNS1_11target_archE4294967295ELNS1_3gpuE0ELNS1_3repE0EEENS1_30default_config_static_selectorELNS0_4arch9wavefront6targetE0EEEvS12_,"axG",@progbits,_ZN7rocprim17ROCPRIM_400000_NS6detail17trampoline_kernelINS0_13select_configILj256ELj13ELNS0_17block_load_methodE3ELS4_3ELS4_3ELNS0_20block_scan_algorithmE0ELj4294967295EEENS1_25partition_config_selectorILNS1_17partition_subalgoE4EjNS0_10empty_typeEbEEZZNS1_14partition_implILS8_4ELb0ES6_15HIP_vector_typeIjLj2EENS0_17counting_iteratorIjlEEPS9_SG_NS0_5tupleIJPjSI_NS0_16reverse_iteratorISI_EEEEENSH_IJSG_SG_SG_EEES9_SI_JZNS1_25segmented_radix_sort_implINS0_14default_configELb0EPKfPfPKlPlN2at6native12_GLOBAL__N_18offset_tEEE10hipError_tPvRmT1_PNSt15iterator_traitsIS12_E10value_typeET2_T3_PNS13_IS18_E10value_typeET4_jRbjT5_S1E_jjP12ihipStream_tbEUljE_ZNSN_ISO_Lb0ESQ_SR_ST_SU_SY_EESZ_S10_S11_S12_S16_S17_S18_S1B_S1C_jS1D_jS1E_S1E_jjS1G_bEUljE0_EEESZ_S10_S11_S18_S1C_S1E_T6_T7_T9_mT8_S1G_bDpT10_ENKUlT_T0_E_clISt17integral_constantIbLb0EES1T_IbLb1EEEEDaS1P_S1Q_EUlS1P_E_NS1_11comp_targetILNS1_3genE0ELNS1_11target_archE4294967295ELNS1_3gpuE0ELNS1_3repE0EEENS1_30default_config_static_selectorELNS0_4arch9wavefront6targetE0EEEvS12_,comdat
	.globl	_ZN7rocprim17ROCPRIM_400000_NS6detail17trampoline_kernelINS0_13select_configILj256ELj13ELNS0_17block_load_methodE3ELS4_3ELS4_3ELNS0_20block_scan_algorithmE0ELj4294967295EEENS1_25partition_config_selectorILNS1_17partition_subalgoE4EjNS0_10empty_typeEbEEZZNS1_14partition_implILS8_4ELb0ES6_15HIP_vector_typeIjLj2EENS0_17counting_iteratorIjlEEPS9_SG_NS0_5tupleIJPjSI_NS0_16reverse_iteratorISI_EEEEENSH_IJSG_SG_SG_EEES9_SI_JZNS1_25segmented_radix_sort_implINS0_14default_configELb0EPKfPfPKlPlN2at6native12_GLOBAL__N_18offset_tEEE10hipError_tPvRmT1_PNSt15iterator_traitsIS12_E10value_typeET2_T3_PNS13_IS18_E10value_typeET4_jRbjT5_S1E_jjP12ihipStream_tbEUljE_ZNSN_ISO_Lb0ESQ_SR_ST_SU_SY_EESZ_S10_S11_S12_S16_S17_S18_S1B_S1C_jS1D_jS1E_S1E_jjS1G_bEUljE0_EEESZ_S10_S11_S18_S1C_S1E_T6_T7_T9_mT8_S1G_bDpT10_ENKUlT_T0_E_clISt17integral_constantIbLb0EES1T_IbLb1EEEEDaS1P_S1Q_EUlS1P_E_NS1_11comp_targetILNS1_3genE0ELNS1_11target_archE4294967295ELNS1_3gpuE0ELNS1_3repE0EEENS1_30default_config_static_selectorELNS0_4arch9wavefront6targetE0EEEvS12_ ; -- Begin function _ZN7rocprim17ROCPRIM_400000_NS6detail17trampoline_kernelINS0_13select_configILj256ELj13ELNS0_17block_load_methodE3ELS4_3ELS4_3ELNS0_20block_scan_algorithmE0ELj4294967295EEENS1_25partition_config_selectorILNS1_17partition_subalgoE4EjNS0_10empty_typeEbEEZZNS1_14partition_implILS8_4ELb0ES6_15HIP_vector_typeIjLj2EENS0_17counting_iteratorIjlEEPS9_SG_NS0_5tupleIJPjSI_NS0_16reverse_iteratorISI_EEEEENSH_IJSG_SG_SG_EEES9_SI_JZNS1_25segmented_radix_sort_implINS0_14default_configELb0EPKfPfPKlPlN2at6native12_GLOBAL__N_18offset_tEEE10hipError_tPvRmT1_PNSt15iterator_traitsIS12_E10value_typeET2_T3_PNS13_IS18_E10value_typeET4_jRbjT5_S1E_jjP12ihipStream_tbEUljE_ZNSN_ISO_Lb0ESQ_SR_ST_SU_SY_EESZ_S10_S11_S12_S16_S17_S18_S1B_S1C_jS1D_jS1E_S1E_jjS1G_bEUljE0_EEESZ_S10_S11_S18_S1C_S1E_T6_T7_T9_mT8_S1G_bDpT10_ENKUlT_T0_E_clISt17integral_constantIbLb0EES1T_IbLb1EEEEDaS1P_S1Q_EUlS1P_E_NS1_11comp_targetILNS1_3genE0ELNS1_11target_archE4294967295ELNS1_3gpuE0ELNS1_3repE0EEENS1_30default_config_static_selectorELNS0_4arch9wavefront6targetE0EEEvS12_
	.p2align	8
	.type	_ZN7rocprim17ROCPRIM_400000_NS6detail17trampoline_kernelINS0_13select_configILj256ELj13ELNS0_17block_load_methodE3ELS4_3ELS4_3ELNS0_20block_scan_algorithmE0ELj4294967295EEENS1_25partition_config_selectorILNS1_17partition_subalgoE4EjNS0_10empty_typeEbEEZZNS1_14partition_implILS8_4ELb0ES6_15HIP_vector_typeIjLj2EENS0_17counting_iteratorIjlEEPS9_SG_NS0_5tupleIJPjSI_NS0_16reverse_iteratorISI_EEEEENSH_IJSG_SG_SG_EEES9_SI_JZNS1_25segmented_radix_sort_implINS0_14default_configELb0EPKfPfPKlPlN2at6native12_GLOBAL__N_18offset_tEEE10hipError_tPvRmT1_PNSt15iterator_traitsIS12_E10value_typeET2_T3_PNS13_IS18_E10value_typeET4_jRbjT5_S1E_jjP12ihipStream_tbEUljE_ZNSN_ISO_Lb0ESQ_SR_ST_SU_SY_EESZ_S10_S11_S12_S16_S17_S18_S1B_S1C_jS1D_jS1E_S1E_jjS1G_bEUljE0_EEESZ_S10_S11_S18_S1C_S1E_T6_T7_T9_mT8_S1G_bDpT10_ENKUlT_T0_E_clISt17integral_constantIbLb0EES1T_IbLb1EEEEDaS1P_S1Q_EUlS1P_E_NS1_11comp_targetILNS1_3genE0ELNS1_11target_archE4294967295ELNS1_3gpuE0ELNS1_3repE0EEENS1_30default_config_static_selectorELNS0_4arch9wavefront6targetE0EEEvS12_,@function
_ZN7rocprim17ROCPRIM_400000_NS6detail17trampoline_kernelINS0_13select_configILj256ELj13ELNS0_17block_load_methodE3ELS4_3ELS4_3ELNS0_20block_scan_algorithmE0ELj4294967295EEENS1_25partition_config_selectorILNS1_17partition_subalgoE4EjNS0_10empty_typeEbEEZZNS1_14partition_implILS8_4ELb0ES6_15HIP_vector_typeIjLj2EENS0_17counting_iteratorIjlEEPS9_SG_NS0_5tupleIJPjSI_NS0_16reverse_iteratorISI_EEEEENSH_IJSG_SG_SG_EEES9_SI_JZNS1_25segmented_radix_sort_implINS0_14default_configELb0EPKfPfPKlPlN2at6native12_GLOBAL__N_18offset_tEEE10hipError_tPvRmT1_PNSt15iterator_traitsIS12_E10value_typeET2_T3_PNS13_IS18_E10value_typeET4_jRbjT5_S1E_jjP12ihipStream_tbEUljE_ZNSN_ISO_Lb0ESQ_SR_ST_SU_SY_EESZ_S10_S11_S12_S16_S17_S18_S1B_S1C_jS1D_jS1E_S1E_jjS1G_bEUljE0_EEESZ_S10_S11_S18_S1C_S1E_T6_T7_T9_mT8_S1G_bDpT10_ENKUlT_T0_E_clISt17integral_constantIbLb0EES1T_IbLb1EEEEDaS1P_S1Q_EUlS1P_E_NS1_11comp_targetILNS1_3genE0ELNS1_11target_archE4294967295ELNS1_3gpuE0ELNS1_3repE0EEENS1_30default_config_static_selectorELNS0_4arch9wavefront6targetE0EEEvS12_: ; @_ZN7rocprim17ROCPRIM_400000_NS6detail17trampoline_kernelINS0_13select_configILj256ELj13ELNS0_17block_load_methodE3ELS4_3ELS4_3ELNS0_20block_scan_algorithmE0ELj4294967295EEENS1_25partition_config_selectorILNS1_17partition_subalgoE4EjNS0_10empty_typeEbEEZZNS1_14partition_implILS8_4ELb0ES6_15HIP_vector_typeIjLj2EENS0_17counting_iteratorIjlEEPS9_SG_NS0_5tupleIJPjSI_NS0_16reverse_iteratorISI_EEEEENSH_IJSG_SG_SG_EEES9_SI_JZNS1_25segmented_radix_sort_implINS0_14default_configELb0EPKfPfPKlPlN2at6native12_GLOBAL__N_18offset_tEEE10hipError_tPvRmT1_PNSt15iterator_traitsIS12_E10value_typeET2_T3_PNS13_IS18_E10value_typeET4_jRbjT5_S1E_jjP12ihipStream_tbEUljE_ZNSN_ISO_Lb0ESQ_SR_ST_SU_SY_EESZ_S10_S11_S12_S16_S17_S18_S1B_S1C_jS1D_jS1E_S1E_jjS1G_bEUljE0_EEESZ_S10_S11_S18_S1C_S1E_T6_T7_T9_mT8_S1G_bDpT10_ENKUlT_T0_E_clISt17integral_constantIbLb0EES1T_IbLb1EEEEDaS1P_S1Q_EUlS1P_E_NS1_11comp_targetILNS1_3genE0ELNS1_11target_archE4294967295ELNS1_3gpuE0ELNS1_3repE0EEENS1_30default_config_static_selectorELNS0_4arch9wavefront6targetE0EEEvS12_
; %bb.0:
	.section	.rodata,"a",@progbits
	.p2align	6, 0x0
	.amdhsa_kernel _ZN7rocprim17ROCPRIM_400000_NS6detail17trampoline_kernelINS0_13select_configILj256ELj13ELNS0_17block_load_methodE3ELS4_3ELS4_3ELNS0_20block_scan_algorithmE0ELj4294967295EEENS1_25partition_config_selectorILNS1_17partition_subalgoE4EjNS0_10empty_typeEbEEZZNS1_14partition_implILS8_4ELb0ES6_15HIP_vector_typeIjLj2EENS0_17counting_iteratorIjlEEPS9_SG_NS0_5tupleIJPjSI_NS0_16reverse_iteratorISI_EEEEENSH_IJSG_SG_SG_EEES9_SI_JZNS1_25segmented_radix_sort_implINS0_14default_configELb0EPKfPfPKlPlN2at6native12_GLOBAL__N_18offset_tEEE10hipError_tPvRmT1_PNSt15iterator_traitsIS12_E10value_typeET2_T3_PNS13_IS18_E10value_typeET4_jRbjT5_S1E_jjP12ihipStream_tbEUljE_ZNSN_ISO_Lb0ESQ_SR_ST_SU_SY_EESZ_S10_S11_S12_S16_S17_S18_S1B_S1C_jS1D_jS1E_S1E_jjS1G_bEUljE0_EEESZ_S10_S11_S18_S1C_S1E_T6_T7_T9_mT8_S1G_bDpT10_ENKUlT_T0_E_clISt17integral_constantIbLb0EES1T_IbLb1EEEEDaS1P_S1Q_EUlS1P_E_NS1_11comp_targetILNS1_3genE0ELNS1_11target_archE4294967295ELNS1_3gpuE0ELNS1_3repE0EEENS1_30default_config_static_selectorELNS0_4arch9wavefront6targetE0EEEvS12_
		.amdhsa_group_segment_fixed_size 0
		.amdhsa_private_segment_fixed_size 0
		.amdhsa_kernarg_size 184
		.amdhsa_user_sgpr_count 15
		.amdhsa_user_sgpr_dispatch_ptr 0
		.amdhsa_user_sgpr_queue_ptr 0
		.amdhsa_user_sgpr_kernarg_segment_ptr 1
		.amdhsa_user_sgpr_dispatch_id 0
		.amdhsa_user_sgpr_private_segment_size 0
		.amdhsa_wavefront_size32 1
		.amdhsa_uses_dynamic_stack 0
		.amdhsa_enable_private_segment 0
		.amdhsa_system_sgpr_workgroup_id_x 1
		.amdhsa_system_sgpr_workgroup_id_y 0
		.amdhsa_system_sgpr_workgroup_id_z 0
		.amdhsa_system_sgpr_workgroup_info 0
		.amdhsa_system_vgpr_workitem_id 0
		.amdhsa_next_free_vgpr 1
		.amdhsa_next_free_sgpr 1
		.amdhsa_reserve_vcc 0
		.amdhsa_float_round_mode_32 0
		.amdhsa_float_round_mode_16_64 0
		.amdhsa_float_denorm_mode_32 3
		.amdhsa_float_denorm_mode_16_64 3
		.amdhsa_dx10_clamp 1
		.amdhsa_ieee_mode 1
		.amdhsa_fp16_overflow 0
		.amdhsa_workgroup_processor_mode 1
		.amdhsa_memory_ordered 1
		.amdhsa_forward_progress 0
		.amdhsa_shared_vgpr_count 0
		.amdhsa_exception_fp_ieee_invalid_op 0
		.amdhsa_exception_fp_denorm_src 0
		.amdhsa_exception_fp_ieee_div_zero 0
		.amdhsa_exception_fp_ieee_overflow 0
		.amdhsa_exception_fp_ieee_underflow 0
		.amdhsa_exception_fp_ieee_inexact 0
		.amdhsa_exception_int_div_zero 0
	.end_amdhsa_kernel
	.section	.text._ZN7rocprim17ROCPRIM_400000_NS6detail17trampoline_kernelINS0_13select_configILj256ELj13ELNS0_17block_load_methodE3ELS4_3ELS4_3ELNS0_20block_scan_algorithmE0ELj4294967295EEENS1_25partition_config_selectorILNS1_17partition_subalgoE4EjNS0_10empty_typeEbEEZZNS1_14partition_implILS8_4ELb0ES6_15HIP_vector_typeIjLj2EENS0_17counting_iteratorIjlEEPS9_SG_NS0_5tupleIJPjSI_NS0_16reverse_iteratorISI_EEEEENSH_IJSG_SG_SG_EEES9_SI_JZNS1_25segmented_radix_sort_implINS0_14default_configELb0EPKfPfPKlPlN2at6native12_GLOBAL__N_18offset_tEEE10hipError_tPvRmT1_PNSt15iterator_traitsIS12_E10value_typeET2_T3_PNS13_IS18_E10value_typeET4_jRbjT5_S1E_jjP12ihipStream_tbEUljE_ZNSN_ISO_Lb0ESQ_SR_ST_SU_SY_EESZ_S10_S11_S12_S16_S17_S18_S1B_S1C_jS1D_jS1E_S1E_jjS1G_bEUljE0_EEESZ_S10_S11_S18_S1C_S1E_T6_T7_T9_mT8_S1G_bDpT10_ENKUlT_T0_E_clISt17integral_constantIbLb0EES1T_IbLb1EEEEDaS1P_S1Q_EUlS1P_E_NS1_11comp_targetILNS1_3genE0ELNS1_11target_archE4294967295ELNS1_3gpuE0ELNS1_3repE0EEENS1_30default_config_static_selectorELNS0_4arch9wavefront6targetE0EEEvS12_,"axG",@progbits,_ZN7rocprim17ROCPRIM_400000_NS6detail17trampoline_kernelINS0_13select_configILj256ELj13ELNS0_17block_load_methodE3ELS4_3ELS4_3ELNS0_20block_scan_algorithmE0ELj4294967295EEENS1_25partition_config_selectorILNS1_17partition_subalgoE4EjNS0_10empty_typeEbEEZZNS1_14partition_implILS8_4ELb0ES6_15HIP_vector_typeIjLj2EENS0_17counting_iteratorIjlEEPS9_SG_NS0_5tupleIJPjSI_NS0_16reverse_iteratorISI_EEEEENSH_IJSG_SG_SG_EEES9_SI_JZNS1_25segmented_radix_sort_implINS0_14default_configELb0EPKfPfPKlPlN2at6native12_GLOBAL__N_18offset_tEEE10hipError_tPvRmT1_PNSt15iterator_traitsIS12_E10value_typeET2_T3_PNS13_IS18_E10value_typeET4_jRbjT5_S1E_jjP12ihipStream_tbEUljE_ZNSN_ISO_Lb0ESQ_SR_ST_SU_SY_EESZ_S10_S11_S12_S16_S17_S18_S1B_S1C_jS1D_jS1E_S1E_jjS1G_bEUljE0_EEESZ_S10_S11_S18_S1C_S1E_T6_T7_T9_mT8_S1G_bDpT10_ENKUlT_T0_E_clISt17integral_constantIbLb0EES1T_IbLb1EEEEDaS1P_S1Q_EUlS1P_E_NS1_11comp_targetILNS1_3genE0ELNS1_11target_archE4294967295ELNS1_3gpuE0ELNS1_3repE0EEENS1_30default_config_static_selectorELNS0_4arch9wavefront6targetE0EEEvS12_,comdat
.Lfunc_end1388:
	.size	_ZN7rocprim17ROCPRIM_400000_NS6detail17trampoline_kernelINS0_13select_configILj256ELj13ELNS0_17block_load_methodE3ELS4_3ELS4_3ELNS0_20block_scan_algorithmE0ELj4294967295EEENS1_25partition_config_selectorILNS1_17partition_subalgoE4EjNS0_10empty_typeEbEEZZNS1_14partition_implILS8_4ELb0ES6_15HIP_vector_typeIjLj2EENS0_17counting_iteratorIjlEEPS9_SG_NS0_5tupleIJPjSI_NS0_16reverse_iteratorISI_EEEEENSH_IJSG_SG_SG_EEES9_SI_JZNS1_25segmented_radix_sort_implINS0_14default_configELb0EPKfPfPKlPlN2at6native12_GLOBAL__N_18offset_tEEE10hipError_tPvRmT1_PNSt15iterator_traitsIS12_E10value_typeET2_T3_PNS13_IS18_E10value_typeET4_jRbjT5_S1E_jjP12ihipStream_tbEUljE_ZNSN_ISO_Lb0ESQ_SR_ST_SU_SY_EESZ_S10_S11_S12_S16_S17_S18_S1B_S1C_jS1D_jS1E_S1E_jjS1G_bEUljE0_EEESZ_S10_S11_S18_S1C_S1E_T6_T7_T9_mT8_S1G_bDpT10_ENKUlT_T0_E_clISt17integral_constantIbLb0EES1T_IbLb1EEEEDaS1P_S1Q_EUlS1P_E_NS1_11comp_targetILNS1_3genE0ELNS1_11target_archE4294967295ELNS1_3gpuE0ELNS1_3repE0EEENS1_30default_config_static_selectorELNS0_4arch9wavefront6targetE0EEEvS12_, .Lfunc_end1388-_ZN7rocprim17ROCPRIM_400000_NS6detail17trampoline_kernelINS0_13select_configILj256ELj13ELNS0_17block_load_methodE3ELS4_3ELS4_3ELNS0_20block_scan_algorithmE0ELj4294967295EEENS1_25partition_config_selectorILNS1_17partition_subalgoE4EjNS0_10empty_typeEbEEZZNS1_14partition_implILS8_4ELb0ES6_15HIP_vector_typeIjLj2EENS0_17counting_iteratorIjlEEPS9_SG_NS0_5tupleIJPjSI_NS0_16reverse_iteratorISI_EEEEENSH_IJSG_SG_SG_EEES9_SI_JZNS1_25segmented_radix_sort_implINS0_14default_configELb0EPKfPfPKlPlN2at6native12_GLOBAL__N_18offset_tEEE10hipError_tPvRmT1_PNSt15iterator_traitsIS12_E10value_typeET2_T3_PNS13_IS18_E10value_typeET4_jRbjT5_S1E_jjP12ihipStream_tbEUljE_ZNSN_ISO_Lb0ESQ_SR_ST_SU_SY_EESZ_S10_S11_S12_S16_S17_S18_S1B_S1C_jS1D_jS1E_S1E_jjS1G_bEUljE0_EEESZ_S10_S11_S18_S1C_S1E_T6_T7_T9_mT8_S1G_bDpT10_ENKUlT_T0_E_clISt17integral_constantIbLb0EES1T_IbLb1EEEEDaS1P_S1Q_EUlS1P_E_NS1_11comp_targetILNS1_3genE0ELNS1_11target_archE4294967295ELNS1_3gpuE0ELNS1_3repE0EEENS1_30default_config_static_selectorELNS0_4arch9wavefront6targetE0EEEvS12_
                                        ; -- End function
	.section	.AMDGPU.csdata,"",@progbits
; Kernel info:
; codeLenInByte = 0
; NumSgprs: 0
; NumVgprs: 0
; ScratchSize: 0
; MemoryBound: 0
; FloatMode: 240
; IeeeMode: 1
; LDSByteSize: 0 bytes/workgroup (compile time only)
; SGPRBlocks: 0
; VGPRBlocks: 0
; NumSGPRsForWavesPerEU: 1
; NumVGPRsForWavesPerEU: 1
; Occupancy: 16
; WaveLimiterHint : 0
; COMPUTE_PGM_RSRC2:SCRATCH_EN: 0
; COMPUTE_PGM_RSRC2:USER_SGPR: 15
; COMPUTE_PGM_RSRC2:TRAP_HANDLER: 0
; COMPUTE_PGM_RSRC2:TGID_X_EN: 1
; COMPUTE_PGM_RSRC2:TGID_Y_EN: 0
; COMPUTE_PGM_RSRC2:TGID_Z_EN: 0
; COMPUTE_PGM_RSRC2:TIDIG_COMP_CNT: 0
	.section	.text._ZN7rocprim17ROCPRIM_400000_NS6detail17trampoline_kernelINS0_13select_configILj256ELj13ELNS0_17block_load_methodE3ELS4_3ELS4_3ELNS0_20block_scan_algorithmE0ELj4294967295EEENS1_25partition_config_selectorILNS1_17partition_subalgoE4EjNS0_10empty_typeEbEEZZNS1_14partition_implILS8_4ELb0ES6_15HIP_vector_typeIjLj2EENS0_17counting_iteratorIjlEEPS9_SG_NS0_5tupleIJPjSI_NS0_16reverse_iteratorISI_EEEEENSH_IJSG_SG_SG_EEES9_SI_JZNS1_25segmented_radix_sort_implINS0_14default_configELb0EPKfPfPKlPlN2at6native12_GLOBAL__N_18offset_tEEE10hipError_tPvRmT1_PNSt15iterator_traitsIS12_E10value_typeET2_T3_PNS13_IS18_E10value_typeET4_jRbjT5_S1E_jjP12ihipStream_tbEUljE_ZNSN_ISO_Lb0ESQ_SR_ST_SU_SY_EESZ_S10_S11_S12_S16_S17_S18_S1B_S1C_jS1D_jS1E_S1E_jjS1G_bEUljE0_EEESZ_S10_S11_S18_S1C_S1E_T6_T7_T9_mT8_S1G_bDpT10_ENKUlT_T0_E_clISt17integral_constantIbLb0EES1T_IbLb1EEEEDaS1P_S1Q_EUlS1P_E_NS1_11comp_targetILNS1_3genE5ELNS1_11target_archE942ELNS1_3gpuE9ELNS1_3repE0EEENS1_30default_config_static_selectorELNS0_4arch9wavefront6targetE0EEEvS12_,"axG",@progbits,_ZN7rocprim17ROCPRIM_400000_NS6detail17trampoline_kernelINS0_13select_configILj256ELj13ELNS0_17block_load_methodE3ELS4_3ELS4_3ELNS0_20block_scan_algorithmE0ELj4294967295EEENS1_25partition_config_selectorILNS1_17partition_subalgoE4EjNS0_10empty_typeEbEEZZNS1_14partition_implILS8_4ELb0ES6_15HIP_vector_typeIjLj2EENS0_17counting_iteratorIjlEEPS9_SG_NS0_5tupleIJPjSI_NS0_16reverse_iteratorISI_EEEEENSH_IJSG_SG_SG_EEES9_SI_JZNS1_25segmented_radix_sort_implINS0_14default_configELb0EPKfPfPKlPlN2at6native12_GLOBAL__N_18offset_tEEE10hipError_tPvRmT1_PNSt15iterator_traitsIS12_E10value_typeET2_T3_PNS13_IS18_E10value_typeET4_jRbjT5_S1E_jjP12ihipStream_tbEUljE_ZNSN_ISO_Lb0ESQ_SR_ST_SU_SY_EESZ_S10_S11_S12_S16_S17_S18_S1B_S1C_jS1D_jS1E_S1E_jjS1G_bEUljE0_EEESZ_S10_S11_S18_S1C_S1E_T6_T7_T9_mT8_S1G_bDpT10_ENKUlT_T0_E_clISt17integral_constantIbLb0EES1T_IbLb1EEEEDaS1P_S1Q_EUlS1P_E_NS1_11comp_targetILNS1_3genE5ELNS1_11target_archE942ELNS1_3gpuE9ELNS1_3repE0EEENS1_30default_config_static_selectorELNS0_4arch9wavefront6targetE0EEEvS12_,comdat
	.globl	_ZN7rocprim17ROCPRIM_400000_NS6detail17trampoline_kernelINS0_13select_configILj256ELj13ELNS0_17block_load_methodE3ELS4_3ELS4_3ELNS0_20block_scan_algorithmE0ELj4294967295EEENS1_25partition_config_selectorILNS1_17partition_subalgoE4EjNS0_10empty_typeEbEEZZNS1_14partition_implILS8_4ELb0ES6_15HIP_vector_typeIjLj2EENS0_17counting_iteratorIjlEEPS9_SG_NS0_5tupleIJPjSI_NS0_16reverse_iteratorISI_EEEEENSH_IJSG_SG_SG_EEES9_SI_JZNS1_25segmented_radix_sort_implINS0_14default_configELb0EPKfPfPKlPlN2at6native12_GLOBAL__N_18offset_tEEE10hipError_tPvRmT1_PNSt15iterator_traitsIS12_E10value_typeET2_T3_PNS13_IS18_E10value_typeET4_jRbjT5_S1E_jjP12ihipStream_tbEUljE_ZNSN_ISO_Lb0ESQ_SR_ST_SU_SY_EESZ_S10_S11_S12_S16_S17_S18_S1B_S1C_jS1D_jS1E_S1E_jjS1G_bEUljE0_EEESZ_S10_S11_S18_S1C_S1E_T6_T7_T9_mT8_S1G_bDpT10_ENKUlT_T0_E_clISt17integral_constantIbLb0EES1T_IbLb1EEEEDaS1P_S1Q_EUlS1P_E_NS1_11comp_targetILNS1_3genE5ELNS1_11target_archE942ELNS1_3gpuE9ELNS1_3repE0EEENS1_30default_config_static_selectorELNS0_4arch9wavefront6targetE0EEEvS12_ ; -- Begin function _ZN7rocprim17ROCPRIM_400000_NS6detail17trampoline_kernelINS0_13select_configILj256ELj13ELNS0_17block_load_methodE3ELS4_3ELS4_3ELNS0_20block_scan_algorithmE0ELj4294967295EEENS1_25partition_config_selectorILNS1_17partition_subalgoE4EjNS0_10empty_typeEbEEZZNS1_14partition_implILS8_4ELb0ES6_15HIP_vector_typeIjLj2EENS0_17counting_iteratorIjlEEPS9_SG_NS0_5tupleIJPjSI_NS0_16reverse_iteratorISI_EEEEENSH_IJSG_SG_SG_EEES9_SI_JZNS1_25segmented_radix_sort_implINS0_14default_configELb0EPKfPfPKlPlN2at6native12_GLOBAL__N_18offset_tEEE10hipError_tPvRmT1_PNSt15iterator_traitsIS12_E10value_typeET2_T3_PNS13_IS18_E10value_typeET4_jRbjT5_S1E_jjP12ihipStream_tbEUljE_ZNSN_ISO_Lb0ESQ_SR_ST_SU_SY_EESZ_S10_S11_S12_S16_S17_S18_S1B_S1C_jS1D_jS1E_S1E_jjS1G_bEUljE0_EEESZ_S10_S11_S18_S1C_S1E_T6_T7_T9_mT8_S1G_bDpT10_ENKUlT_T0_E_clISt17integral_constantIbLb0EES1T_IbLb1EEEEDaS1P_S1Q_EUlS1P_E_NS1_11comp_targetILNS1_3genE5ELNS1_11target_archE942ELNS1_3gpuE9ELNS1_3repE0EEENS1_30default_config_static_selectorELNS0_4arch9wavefront6targetE0EEEvS12_
	.p2align	8
	.type	_ZN7rocprim17ROCPRIM_400000_NS6detail17trampoline_kernelINS0_13select_configILj256ELj13ELNS0_17block_load_methodE3ELS4_3ELS4_3ELNS0_20block_scan_algorithmE0ELj4294967295EEENS1_25partition_config_selectorILNS1_17partition_subalgoE4EjNS0_10empty_typeEbEEZZNS1_14partition_implILS8_4ELb0ES6_15HIP_vector_typeIjLj2EENS0_17counting_iteratorIjlEEPS9_SG_NS0_5tupleIJPjSI_NS0_16reverse_iteratorISI_EEEEENSH_IJSG_SG_SG_EEES9_SI_JZNS1_25segmented_radix_sort_implINS0_14default_configELb0EPKfPfPKlPlN2at6native12_GLOBAL__N_18offset_tEEE10hipError_tPvRmT1_PNSt15iterator_traitsIS12_E10value_typeET2_T3_PNS13_IS18_E10value_typeET4_jRbjT5_S1E_jjP12ihipStream_tbEUljE_ZNSN_ISO_Lb0ESQ_SR_ST_SU_SY_EESZ_S10_S11_S12_S16_S17_S18_S1B_S1C_jS1D_jS1E_S1E_jjS1G_bEUljE0_EEESZ_S10_S11_S18_S1C_S1E_T6_T7_T9_mT8_S1G_bDpT10_ENKUlT_T0_E_clISt17integral_constantIbLb0EES1T_IbLb1EEEEDaS1P_S1Q_EUlS1P_E_NS1_11comp_targetILNS1_3genE5ELNS1_11target_archE942ELNS1_3gpuE9ELNS1_3repE0EEENS1_30default_config_static_selectorELNS0_4arch9wavefront6targetE0EEEvS12_,@function
_ZN7rocprim17ROCPRIM_400000_NS6detail17trampoline_kernelINS0_13select_configILj256ELj13ELNS0_17block_load_methodE3ELS4_3ELS4_3ELNS0_20block_scan_algorithmE0ELj4294967295EEENS1_25partition_config_selectorILNS1_17partition_subalgoE4EjNS0_10empty_typeEbEEZZNS1_14partition_implILS8_4ELb0ES6_15HIP_vector_typeIjLj2EENS0_17counting_iteratorIjlEEPS9_SG_NS0_5tupleIJPjSI_NS0_16reverse_iteratorISI_EEEEENSH_IJSG_SG_SG_EEES9_SI_JZNS1_25segmented_radix_sort_implINS0_14default_configELb0EPKfPfPKlPlN2at6native12_GLOBAL__N_18offset_tEEE10hipError_tPvRmT1_PNSt15iterator_traitsIS12_E10value_typeET2_T3_PNS13_IS18_E10value_typeET4_jRbjT5_S1E_jjP12ihipStream_tbEUljE_ZNSN_ISO_Lb0ESQ_SR_ST_SU_SY_EESZ_S10_S11_S12_S16_S17_S18_S1B_S1C_jS1D_jS1E_S1E_jjS1G_bEUljE0_EEESZ_S10_S11_S18_S1C_S1E_T6_T7_T9_mT8_S1G_bDpT10_ENKUlT_T0_E_clISt17integral_constantIbLb0EES1T_IbLb1EEEEDaS1P_S1Q_EUlS1P_E_NS1_11comp_targetILNS1_3genE5ELNS1_11target_archE942ELNS1_3gpuE9ELNS1_3repE0EEENS1_30default_config_static_selectorELNS0_4arch9wavefront6targetE0EEEvS12_: ; @_ZN7rocprim17ROCPRIM_400000_NS6detail17trampoline_kernelINS0_13select_configILj256ELj13ELNS0_17block_load_methodE3ELS4_3ELS4_3ELNS0_20block_scan_algorithmE0ELj4294967295EEENS1_25partition_config_selectorILNS1_17partition_subalgoE4EjNS0_10empty_typeEbEEZZNS1_14partition_implILS8_4ELb0ES6_15HIP_vector_typeIjLj2EENS0_17counting_iteratorIjlEEPS9_SG_NS0_5tupleIJPjSI_NS0_16reverse_iteratorISI_EEEEENSH_IJSG_SG_SG_EEES9_SI_JZNS1_25segmented_radix_sort_implINS0_14default_configELb0EPKfPfPKlPlN2at6native12_GLOBAL__N_18offset_tEEE10hipError_tPvRmT1_PNSt15iterator_traitsIS12_E10value_typeET2_T3_PNS13_IS18_E10value_typeET4_jRbjT5_S1E_jjP12ihipStream_tbEUljE_ZNSN_ISO_Lb0ESQ_SR_ST_SU_SY_EESZ_S10_S11_S12_S16_S17_S18_S1B_S1C_jS1D_jS1E_S1E_jjS1G_bEUljE0_EEESZ_S10_S11_S18_S1C_S1E_T6_T7_T9_mT8_S1G_bDpT10_ENKUlT_T0_E_clISt17integral_constantIbLb0EES1T_IbLb1EEEEDaS1P_S1Q_EUlS1P_E_NS1_11comp_targetILNS1_3genE5ELNS1_11target_archE942ELNS1_3gpuE9ELNS1_3repE0EEENS1_30default_config_static_selectorELNS0_4arch9wavefront6targetE0EEEvS12_
; %bb.0:
	.section	.rodata,"a",@progbits
	.p2align	6, 0x0
	.amdhsa_kernel _ZN7rocprim17ROCPRIM_400000_NS6detail17trampoline_kernelINS0_13select_configILj256ELj13ELNS0_17block_load_methodE3ELS4_3ELS4_3ELNS0_20block_scan_algorithmE0ELj4294967295EEENS1_25partition_config_selectorILNS1_17partition_subalgoE4EjNS0_10empty_typeEbEEZZNS1_14partition_implILS8_4ELb0ES6_15HIP_vector_typeIjLj2EENS0_17counting_iteratorIjlEEPS9_SG_NS0_5tupleIJPjSI_NS0_16reverse_iteratorISI_EEEEENSH_IJSG_SG_SG_EEES9_SI_JZNS1_25segmented_radix_sort_implINS0_14default_configELb0EPKfPfPKlPlN2at6native12_GLOBAL__N_18offset_tEEE10hipError_tPvRmT1_PNSt15iterator_traitsIS12_E10value_typeET2_T3_PNS13_IS18_E10value_typeET4_jRbjT5_S1E_jjP12ihipStream_tbEUljE_ZNSN_ISO_Lb0ESQ_SR_ST_SU_SY_EESZ_S10_S11_S12_S16_S17_S18_S1B_S1C_jS1D_jS1E_S1E_jjS1G_bEUljE0_EEESZ_S10_S11_S18_S1C_S1E_T6_T7_T9_mT8_S1G_bDpT10_ENKUlT_T0_E_clISt17integral_constantIbLb0EES1T_IbLb1EEEEDaS1P_S1Q_EUlS1P_E_NS1_11comp_targetILNS1_3genE5ELNS1_11target_archE942ELNS1_3gpuE9ELNS1_3repE0EEENS1_30default_config_static_selectorELNS0_4arch9wavefront6targetE0EEEvS12_
		.amdhsa_group_segment_fixed_size 0
		.amdhsa_private_segment_fixed_size 0
		.amdhsa_kernarg_size 184
		.amdhsa_user_sgpr_count 15
		.amdhsa_user_sgpr_dispatch_ptr 0
		.amdhsa_user_sgpr_queue_ptr 0
		.amdhsa_user_sgpr_kernarg_segment_ptr 1
		.amdhsa_user_sgpr_dispatch_id 0
		.amdhsa_user_sgpr_private_segment_size 0
		.amdhsa_wavefront_size32 1
		.amdhsa_uses_dynamic_stack 0
		.amdhsa_enable_private_segment 0
		.amdhsa_system_sgpr_workgroup_id_x 1
		.amdhsa_system_sgpr_workgroup_id_y 0
		.amdhsa_system_sgpr_workgroup_id_z 0
		.amdhsa_system_sgpr_workgroup_info 0
		.amdhsa_system_vgpr_workitem_id 0
		.amdhsa_next_free_vgpr 1
		.amdhsa_next_free_sgpr 1
		.amdhsa_reserve_vcc 0
		.amdhsa_float_round_mode_32 0
		.amdhsa_float_round_mode_16_64 0
		.amdhsa_float_denorm_mode_32 3
		.amdhsa_float_denorm_mode_16_64 3
		.amdhsa_dx10_clamp 1
		.amdhsa_ieee_mode 1
		.amdhsa_fp16_overflow 0
		.amdhsa_workgroup_processor_mode 1
		.amdhsa_memory_ordered 1
		.amdhsa_forward_progress 0
		.amdhsa_shared_vgpr_count 0
		.amdhsa_exception_fp_ieee_invalid_op 0
		.amdhsa_exception_fp_denorm_src 0
		.amdhsa_exception_fp_ieee_div_zero 0
		.amdhsa_exception_fp_ieee_overflow 0
		.amdhsa_exception_fp_ieee_underflow 0
		.amdhsa_exception_fp_ieee_inexact 0
		.amdhsa_exception_int_div_zero 0
	.end_amdhsa_kernel
	.section	.text._ZN7rocprim17ROCPRIM_400000_NS6detail17trampoline_kernelINS0_13select_configILj256ELj13ELNS0_17block_load_methodE3ELS4_3ELS4_3ELNS0_20block_scan_algorithmE0ELj4294967295EEENS1_25partition_config_selectorILNS1_17partition_subalgoE4EjNS0_10empty_typeEbEEZZNS1_14partition_implILS8_4ELb0ES6_15HIP_vector_typeIjLj2EENS0_17counting_iteratorIjlEEPS9_SG_NS0_5tupleIJPjSI_NS0_16reverse_iteratorISI_EEEEENSH_IJSG_SG_SG_EEES9_SI_JZNS1_25segmented_radix_sort_implINS0_14default_configELb0EPKfPfPKlPlN2at6native12_GLOBAL__N_18offset_tEEE10hipError_tPvRmT1_PNSt15iterator_traitsIS12_E10value_typeET2_T3_PNS13_IS18_E10value_typeET4_jRbjT5_S1E_jjP12ihipStream_tbEUljE_ZNSN_ISO_Lb0ESQ_SR_ST_SU_SY_EESZ_S10_S11_S12_S16_S17_S18_S1B_S1C_jS1D_jS1E_S1E_jjS1G_bEUljE0_EEESZ_S10_S11_S18_S1C_S1E_T6_T7_T9_mT8_S1G_bDpT10_ENKUlT_T0_E_clISt17integral_constantIbLb0EES1T_IbLb1EEEEDaS1P_S1Q_EUlS1P_E_NS1_11comp_targetILNS1_3genE5ELNS1_11target_archE942ELNS1_3gpuE9ELNS1_3repE0EEENS1_30default_config_static_selectorELNS0_4arch9wavefront6targetE0EEEvS12_,"axG",@progbits,_ZN7rocprim17ROCPRIM_400000_NS6detail17trampoline_kernelINS0_13select_configILj256ELj13ELNS0_17block_load_methodE3ELS4_3ELS4_3ELNS0_20block_scan_algorithmE0ELj4294967295EEENS1_25partition_config_selectorILNS1_17partition_subalgoE4EjNS0_10empty_typeEbEEZZNS1_14partition_implILS8_4ELb0ES6_15HIP_vector_typeIjLj2EENS0_17counting_iteratorIjlEEPS9_SG_NS0_5tupleIJPjSI_NS0_16reverse_iteratorISI_EEEEENSH_IJSG_SG_SG_EEES9_SI_JZNS1_25segmented_radix_sort_implINS0_14default_configELb0EPKfPfPKlPlN2at6native12_GLOBAL__N_18offset_tEEE10hipError_tPvRmT1_PNSt15iterator_traitsIS12_E10value_typeET2_T3_PNS13_IS18_E10value_typeET4_jRbjT5_S1E_jjP12ihipStream_tbEUljE_ZNSN_ISO_Lb0ESQ_SR_ST_SU_SY_EESZ_S10_S11_S12_S16_S17_S18_S1B_S1C_jS1D_jS1E_S1E_jjS1G_bEUljE0_EEESZ_S10_S11_S18_S1C_S1E_T6_T7_T9_mT8_S1G_bDpT10_ENKUlT_T0_E_clISt17integral_constantIbLb0EES1T_IbLb1EEEEDaS1P_S1Q_EUlS1P_E_NS1_11comp_targetILNS1_3genE5ELNS1_11target_archE942ELNS1_3gpuE9ELNS1_3repE0EEENS1_30default_config_static_selectorELNS0_4arch9wavefront6targetE0EEEvS12_,comdat
.Lfunc_end1389:
	.size	_ZN7rocprim17ROCPRIM_400000_NS6detail17trampoline_kernelINS0_13select_configILj256ELj13ELNS0_17block_load_methodE3ELS4_3ELS4_3ELNS0_20block_scan_algorithmE0ELj4294967295EEENS1_25partition_config_selectorILNS1_17partition_subalgoE4EjNS0_10empty_typeEbEEZZNS1_14partition_implILS8_4ELb0ES6_15HIP_vector_typeIjLj2EENS0_17counting_iteratorIjlEEPS9_SG_NS0_5tupleIJPjSI_NS0_16reverse_iteratorISI_EEEEENSH_IJSG_SG_SG_EEES9_SI_JZNS1_25segmented_radix_sort_implINS0_14default_configELb0EPKfPfPKlPlN2at6native12_GLOBAL__N_18offset_tEEE10hipError_tPvRmT1_PNSt15iterator_traitsIS12_E10value_typeET2_T3_PNS13_IS18_E10value_typeET4_jRbjT5_S1E_jjP12ihipStream_tbEUljE_ZNSN_ISO_Lb0ESQ_SR_ST_SU_SY_EESZ_S10_S11_S12_S16_S17_S18_S1B_S1C_jS1D_jS1E_S1E_jjS1G_bEUljE0_EEESZ_S10_S11_S18_S1C_S1E_T6_T7_T9_mT8_S1G_bDpT10_ENKUlT_T0_E_clISt17integral_constantIbLb0EES1T_IbLb1EEEEDaS1P_S1Q_EUlS1P_E_NS1_11comp_targetILNS1_3genE5ELNS1_11target_archE942ELNS1_3gpuE9ELNS1_3repE0EEENS1_30default_config_static_selectorELNS0_4arch9wavefront6targetE0EEEvS12_, .Lfunc_end1389-_ZN7rocprim17ROCPRIM_400000_NS6detail17trampoline_kernelINS0_13select_configILj256ELj13ELNS0_17block_load_methodE3ELS4_3ELS4_3ELNS0_20block_scan_algorithmE0ELj4294967295EEENS1_25partition_config_selectorILNS1_17partition_subalgoE4EjNS0_10empty_typeEbEEZZNS1_14partition_implILS8_4ELb0ES6_15HIP_vector_typeIjLj2EENS0_17counting_iteratorIjlEEPS9_SG_NS0_5tupleIJPjSI_NS0_16reverse_iteratorISI_EEEEENSH_IJSG_SG_SG_EEES9_SI_JZNS1_25segmented_radix_sort_implINS0_14default_configELb0EPKfPfPKlPlN2at6native12_GLOBAL__N_18offset_tEEE10hipError_tPvRmT1_PNSt15iterator_traitsIS12_E10value_typeET2_T3_PNS13_IS18_E10value_typeET4_jRbjT5_S1E_jjP12ihipStream_tbEUljE_ZNSN_ISO_Lb0ESQ_SR_ST_SU_SY_EESZ_S10_S11_S12_S16_S17_S18_S1B_S1C_jS1D_jS1E_S1E_jjS1G_bEUljE0_EEESZ_S10_S11_S18_S1C_S1E_T6_T7_T9_mT8_S1G_bDpT10_ENKUlT_T0_E_clISt17integral_constantIbLb0EES1T_IbLb1EEEEDaS1P_S1Q_EUlS1P_E_NS1_11comp_targetILNS1_3genE5ELNS1_11target_archE942ELNS1_3gpuE9ELNS1_3repE0EEENS1_30default_config_static_selectorELNS0_4arch9wavefront6targetE0EEEvS12_
                                        ; -- End function
	.section	.AMDGPU.csdata,"",@progbits
; Kernel info:
; codeLenInByte = 0
; NumSgprs: 0
; NumVgprs: 0
; ScratchSize: 0
; MemoryBound: 0
; FloatMode: 240
; IeeeMode: 1
; LDSByteSize: 0 bytes/workgroup (compile time only)
; SGPRBlocks: 0
; VGPRBlocks: 0
; NumSGPRsForWavesPerEU: 1
; NumVGPRsForWavesPerEU: 1
; Occupancy: 16
; WaveLimiterHint : 0
; COMPUTE_PGM_RSRC2:SCRATCH_EN: 0
; COMPUTE_PGM_RSRC2:USER_SGPR: 15
; COMPUTE_PGM_RSRC2:TRAP_HANDLER: 0
; COMPUTE_PGM_RSRC2:TGID_X_EN: 1
; COMPUTE_PGM_RSRC2:TGID_Y_EN: 0
; COMPUTE_PGM_RSRC2:TGID_Z_EN: 0
; COMPUTE_PGM_RSRC2:TIDIG_COMP_CNT: 0
	.section	.text._ZN7rocprim17ROCPRIM_400000_NS6detail17trampoline_kernelINS0_13select_configILj256ELj13ELNS0_17block_load_methodE3ELS4_3ELS4_3ELNS0_20block_scan_algorithmE0ELj4294967295EEENS1_25partition_config_selectorILNS1_17partition_subalgoE4EjNS0_10empty_typeEbEEZZNS1_14partition_implILS8_4ELb0ES6_15HIP_vector_typeIjLj2EENS0_17counting_iteratorIjlEEPS9_SG_NS0_5tupleIJPjSI_NS0_16reverse_iteratorISI_EEEEENSH_IJSG_SG_SG_EEES9_SI_JZNS1_25segmented_radix_sort_implINS0_14default_configELb0EPKfPfPKlPlN2at6native12_GLOBAL__N_18offset_tEEE10hipError_tPvRmT1_PNSt15iterator_traitsIS12_E10value_typeET2_T3_PNS13_IS18_E10value_typeET4_jRbjT5_S1E_jjP12ihipStream_tbEUljE_ZNSN_ISO_Lb0ESQ_SR_ST_SU_SY_EESZ_S10_S11_S12_S16_S17_S18_S1B_S1C_jS1D_jS1E_S1E_jjS1G_bEUljE0_EEESZ_S10_S11_S18_S1C_S1E_T6_T7_T9_mT8_S1G_bDpT10_ENKUlT_T0_E_clISt17integral_constantIbLb0EES1T_IbLb1EEEEDaS1P_S1Q_EUlS1P_E_NS1_11comp_targetILNS1_3genE4ELNS1_11target_archE910ELNS1_3gpuE8ELNS1_3repE0EEENS1_30default_config_static_selectorELNS0_4arch9wavefront6targetE0EEEvS12_,"axG",@progbits,_ZN7rocprim17ROCPRIM_400000_NS6detail17trampoline_kernelINS0_13select_configILj256ELj13ELNS0_17block_load_methodE3ELS4_3ELS4_3ELNS0_20block_scan_algorithmE0ELj4294967295EEENS1_25partition_config_selectorILNS1_17partition_subalgoE4EjNS0_10empty_typeEbEEZZNS1_14partition_implILS8_4ELb0ES6_15HIP_vector_typeIjLj2EENS0_17counting_iteratorIjlEEPS9_SG_NS0_5tupleIJPjSI_NS0_16reverse_iteratorISI_EEEEENSH_IJSG_SG_SG_EEES9_SI_JZNS1_25segmented_radix_sort_implINS0_14default_configELb0EPKfPfPKlPlN2at6native12_GLOBAL__N_18offset_tEEE10hipError_tPvRmT1_PNSt15iterator_traitsIS12_E10value_typeET2_T3_PNS13_IS18_E10value_typeET4_jRbjT5_S1E_jjP12ihipStream_tbEUljE_ZNSN_ISO_Lb0ESQ_SR_ST_SU_SY_EESZ_S10_S11_S12_S16_S17_S18_S1B_S1C_jS1D_jS1E_S1E_jjS1G_bEUljE0_EEESZ_S10_S11_S18_S1C_S1E_T6_T7_T9_mT8_S1G_bDpT10_ENKUlT_T0_E_clISt17integral_constantIbLb0EES1T_IbLb1EEEEDaS1P_S1Q_EUlS1P_E_NS1_11comp_targetILNS1_3genE4ELNS1_11target_archE910ELNS1_3gpuE8ELNS1_3repE0EEENS1_30default_config_static_selectorELNS0_4arch9wavefront6targetE0EEEvS12_,comdat
	.globl	_ZN7rocprim17ROCPRIM_400000_NS6detail17trampoline_kernelINS0_13select_configILj256ELj13ELNS0_17block_load_methodE3ELS4_3ELS4_3ELNS0_20block_scan_algorithmE0ELj4294967295EEENS1_25partition_config_selectorILNS1_17partition_subalgoE4EjNS0_10empty_typeEbEEZZNS1_14partition_implILS8_4ELb0ES6_15HIP_vector_typeIjLj2EENS0_17counting_iteratorIjlEEPS9_SG_NS0_5tupleIJPjSI_NS0_16reverse_iteratorISI_EEEEENSH_IJSG_SG_SG_EEES9_SI_JZNS1_25segmented_radix_sort_implINS0_14default_configELb0EPKfPfPKlPlN2at6native12_GLOBAL__N_18offset_tEEE10hipError_tPvRmT1_PNSt15iterator_traitsIS12_E10value_typeET2_T3_PNS13_IS18_E10value_typeET4_jRbjT5_S1E_jjP12ihipStream_tbEUljE_ZNSN_ISO_Lb0ESQ_SR_ST_SU_SY_EESZ_S10_S11_S12_S16_S17_S18_S1B_S1C_jS1D_jS1E_S1E_jjS1G_bEUljE0_EEESZ_S10_S11_S18_S1C_S1E_T6_T7_T9_mT8_S1G_bDpT10_ENKUlT_T0_E_clISt17integral_constantIbLb0EES1T_IbLb1EEEEDaS1P_S1Q_EUlS1P_E_NS1_11comp_targetILNS1_3genE4ELNS1_11target_archE910ELNS1_3gpuE8ELNS1_3repE0EEENS1_30default_config_static_selectorELNS0_4arch9wavefront6targetE0EEEvS12_ ; -- Begin function _ZN7rocprim17ROCPRIM_400000_NS6detail17trampoline_kernelINS0_13select_configILj256ELj13ELNS0_17block_load_methodE3ELS4_3ELS4_3ELNS0_20block_scan_algorithmE0ELj4294967295EEENS1_25partition_config_selectorILNS1_17partition_subalgoE4EjNS0_10empty_typeEbEEZZNS1_14partition_implILS8_4ELb0ES6_15HIP_vector_typeIjLj2EENS0_17counting_iteratorIjlEEPS9_SG_NS0_5tupleIJPjSI_NS0_16reverse_iteratorISI_EEEEENSH_IJSG_SG_SG_EEES9_SI_JZNS1_25segmented_radix_sort_implINS0_14default_configELb0EPKfPfPKlPlN2at6native12_GLOBAL__N_18offset_tEEE10hipError_tPvRmT1_PNSt15iterator_traitsIS12_E10value_typeET2_T3_PNS13_IS18_E10value_typeET4_jRbjT5_S1E_jjP12ihipStream_tbEUljE_ZNSN_ISO_Lb0ESQ_SR_ST_SU_SY_EESZ_S10_S11_S12_S16_S17_S18_S1B_S1C_jS1D_jS1E_S1E_jjS1G_bEUljE0_EEESZ_S10_S11_S18_S1C_S1E_T6_T7_T9_mT8_S1G_bDpT10_ENKUlT_T0_E_clISt17integral_constantIbLb0EES1T_IbLb1EEEEDaS1P_S1Q_EUlS1P_E_NS1_11comp_targetILNS1_3genE4ELNS1_11target_archE910ELNS1_3gpuE8ELNS1_3repE0EEENS1_30default_config_static_selectorELNS0_4arch9wavefront6targetE0EEEvS12_
	.p2align	8
	.type	_ZN7rocprim17ROCPRIM_400000_NS6detail17trampoline_kernelINS0_13select_configILj256ELj13ELNS0_17block_load_methodE3ELS4_3ELS4_3ELNS0_20block_scan_algorithmE0ELj4294967295EEENS1_25partition_config_selectorILNS1_17partition_subalgoE4EjNS0_10empty_typeEbEEZZNS1_14partition_implILS8_4ELb0ES6_15HIP_vector_typeIjLj2EENS0_17counting_iteratorIjlEEPS9_SG_NS0_5tupleIJPjSI_NS0_16reverse_iteratorISI_EEEEENSH_IJSG_SG_SG_EEES9_SI_JZNS1_25segmented_radix_sort_implINS0_14default_configELb0EPKfPfPKlPlN2at6native12_GLOBAL__N_18offset_tEEE10hipError_tPvRmT1_PNSt15iterator_traitsIS12_E10value_typeET2_T3_PNS13_IS18_E10value_typeET4_jRbjT5_S1E_jjP12ihipStream_tbEUljE_ZNSN_ISO_Lb0ESQ_SR_ST_SU_SY_EESZ_S10_S11_S12_S16_S17_S18_S1B_S1C_jS1D_jS1E_S1E_jjS1G_bEUljE0_EEESZ_S10_S11_S18_S1C_S1E_T6_T7_T9_mT8_S1G_bDpT10_ENKUlT_T0_E_clISt17integral_constantIbLb0EES1T_IbLb1EEEEDaS1P_S1Q_EUlS1P_E_NS1_11comp_targetILNS1_3genE4ELNS1_11target_archE910ELNS1_3gpuE8ELNS1_3repE0EEENS1_30default_config_static_selectorELNS0_4arch9wavefront6targetE0EEEvS12_,@function
_ZN7rocprim17ROCPRIM_400000_NS6detail17trampoline_kernelINS0_13select_configILj256ELj13ELNS0_17block_load_methodE3ELS4_3ELS4_3ELNS0_20block_scan_algorithmE0ELj4294967295EEENS1_25partition_config_selectorILNS1_17partition_subalgoE4EjNS0_10empty_typeEbEEZZNS1_14partition_implILS8_4ELb0ES6_15HIP_vector_typeIjLj2EENS0_17counting_iteratorIjlEEPS9_SG_NS0_5tupleIJPjSI_NS0_16reverse_iteratorISI_EEEEENSH_IJSG_SG_SG_EEES9_SI_JZNS1_25segmented_radix_sort_implINS0_14default_configELb0EPKfPfPKlPlN2at6native12_GLOBAL__N_18offset_tEEE10hipError_tPvRmT1_PNSt15iterator_traitsIS12_E10value_typeET2_T3_PNS13_IS18_E10value_typeET4_jRbjT5_S1E_jjP12ihipStream_tbEUljE_ZNSN_ISO_Lb0ESQ_SR_ST_SU_SY_EESZ_S10_S11_S12_S16_S17_S18_S1B_S1C_jS1D_jS1E_S1E_jjS1G_bEUljE0_EEESZ_S10_S11_S18_S1C_S1E_T6_T7_T9_mT8_S1G_bDpT10_ENKUlT_T0_E_clISt17integral_constantIbLb0EES1T_IbLb1EEEEDaS1P_S1Q_EUlS1P_E_NS1_11comp_targetILNS1_3genE4ELNS1_11target_archE910ELNS1_3gpuE8ELNS1_3repE0EEENS1_30default_config_static_selectorELNS0_4arch9wavefront6targetE0EEEvS12_: ; @_ZN7rocprim17ROCPRIM_400000_NS6detail17trampoline_kernelINS0_13select_configILj256ELj13ELNS0_17block_load_methodE3ELS4_3ELS4_3ELNS0_20block_scan_algorithmE0ELj4294967295EEENS1_25partition_config_selectorILNS1_17partition_subalgoE4EjNS0_10empty_typeEbEEZZNS1_14partition_implILS8_4ELb0ES6_15HIP_vector_typeIjLj2EENS0_17counting_iteratorIjlEEPS9_SG_NS0_5tupleIJPjSI_NS0_16reverse_iteratorISI_EEEEENSH_IJSG_SG_SG_EEES9_SI_JZNS1_25segmented_radix_sort_implINS0_14default_configELb0EPKfPfPKlPlN2at6native12_GLOBAL__N_18offset_tEEE10hipError_tPvRmT1_PNSt15iterator_traitsIS12_E10value_typeET2_T3_PNS13_IS18_E10value_typeET4_jRbjT5_S1E_jjP12ihipStream_tbEUljE_ZNSN_ISO_Lb0ESQ_SR_ST_SU_SY_EESZ_S10_S11_S12_S16_S17_S18_S1B_S1C_jS1D_jS1E_S1E_jjS1G_bEUljE0_EEESZ_S10_S11_S18_S1C_S1E_T6_T7_T9_mT8_S1G_bDpT10_ENKUlT_T0_E_clISt17integral_constantIbLb0EES1T_IbLb1EEEEDaS1P_S1Q_EUlS1P_E_NS1_11comp_targetILNS1_3genE4ELNS1_11target_archE910ELNS1_3gpuE8ELNS1_3repE0EEENS1_30default_config_static_selectorELNS0_4arch9wavefront6targetE0EEEvS12_
; %bb.0:
	.section	.rodata,"a",@progbits
	.p2align	6, 0x0
	.amdhsa_kernel _ZN7rocprim17ROCPRIM_400000_NS6detail17trampoline_kernelINS0_13select_configILj256ELj13ELNS0_17block_load_methodE3ELS4_3ELS4_3ELNS0_20block_scan_algorithmE0ELj4294967295EEENS1_25partition_config_selectorILNS1_17partition_subalgoE4EjNS0_10empty_typeEbEEZZNS1_14partition_implILS8_4ELb0ES6_15HIP_vector_typeIjLj2EENS0_17counting_iteratorIjlEEPS9_SG_NS0_5tupleIJPjSI_NS0_16reverse_iteratorISI_EEEEENSH_IJSG_SG_SG_EEES9_SI_JZNS1_25segmented_radix_sort_implINS0_14default_configELb0EPKfPfPKlPlN2at6native12_GLOBAL__N_18offset_tEEE10hipError_tPvRmT1_PNSt15iterator_traitsIS12_E10value_typeET2_T3_PNS13_IS18_E10value_typeET4_jRbjT5_S1E_jjP12ihipStream_tbEUljE_ZNSN_ISO_Lb0ESQ_SR_ST_SU_SY_EESZ_S10_S11_S12_S16_S17_S18_S1B_S1C_jS1D_jS1E_S1E_jjS1G_bEUljE0_EEESZ_S10_S11_S18_S1C_S1E_T6_T7_T9_mT8_S1G_bDpT10_ENKUlT_T0_E_clISt17integral_constantIbLb0EES1T_IbLb1EEEEDaS1P_S1Q_EUlS1P_E_NS1_11comp_targetILNS1_3genE4ELNS1_11target_archE910ELNS1_3gpuE8ELNS1_3repE0EEENS1_30default_config_static_selectorELNS0_4arch9wavefront6targetE0EEEvS12_
		.amdhsa_group_segment_fixed_size 0
		.amdhsa_private_segment_fixed_size 0
		.amdhsa_kernarg_size 184
		.amdhsa_user_sgpr_count 15
		.amdhsa_user_sgpr_dispatch_ptr 0
		.amdhsa_user_sgpr_queue_ptr 0
		.amdhsa_user_sgpr_kernarg_segment_ptr 1
		.amdhsa_user_sgpr_dispatch_id 0
		.amdhsa_user_sgpr_private_segment_size 0
		.amdhsa_wavefront_size32 1
		.amdhsa_uses_dynamic_stack 0
		.amdhsa_enable_private_segment 0
		.amdhsa_system_sgpr_workgroup_id_x 1
		.amdhsa_system_sgpr_workgroup_id_y 0
		.amdhsa_system_sgpr_workgroup_id_z 0
		.amdhsa_system_sgpr_workgroup_info 0
		.amdhsa_system_vgpr_workitem_id 0
		.amdhsa_next_free_vgpr 1
		.amdhsa_next_free_sgpr 1
		.amdhsa_reserve_vcc 0
		.amdhsa_float_round_mode_32 0
		.amdhsa_float_round_mode_16_64 0
		.amdhsa_float_denorm_mode_32 3
		.amdhsa_float_denorm_mode_16_64 3
		.amdhsa_dx10_clamp 1
		.amdhsa_ieee_mode 1
		.amdhsa_fp16_overflow 0
		.amdhsa_workgroup_processor_mode 1
		.amdhsa_memory_ordered 1
		.amdhsa_forward_progress 0
		.amdhsa_shared_vgpr_count 0
		.amdhsa_exception_fp_ieee_invalid_op 0
		.amdhsa_exception_fp_denorm_src 0
		.amdhsa_exception_fp_ieee_div_zero 0
		.amdhsa_exception_fp_ieee_overflow 0
		.amdhsa_exception_fp_ieee_underflow 0
		.amdhsa_exception_fp_ieee_inexact 0
		.amdhsa_exception_int_div_zero 0
	.end_amdhsa_kernel
	.section	.text._ZN7rocprim17ROCPRIM_400000_NS6detail17trampoline_kernelINS0_13select_configILj256ELj13ELNS0_17block_load_methodE3ELS4_3ELS4_3ELNS0_20block_scan_algorithmE0ELj4294967295EEENS1_25partition_config_selectorILNS1_17partition_subalgoE4EjNS0_10empty_typeEbEEZZNS1_14partition_implILS8_4ELb0ES6_15HIP_vector_typeIjLj2EENS0_17counting_iteratorIjlEEPS9_SG_NS0_5tupleIJPjSI_NS0_16reverse_iteratorISI_EEEEENSH_IJSG_SG_SG_EEES9_SI_JZNS1_25segmented_radix_sort_implINS0_14default_configELb0EPKfPfPKlPlN2at6native12_GLOBAL__N_18offset_tEEE10hipError_tPvRmT1_PNSt15iterator_traitsIS12_E10value_typeET2_T3_PNS13_IS18_E10value_typeET4_jRbjT5_S1E_jjP12ihipStream_tbEUljE_ZNSN_ISO_Lb0ESQ_SR_ST_SU_SY_EESZ_S10_S11_S12_S16_S17_S18_S1B_S1C_jS1D_jS1E_S1E_jjS1G_bEUljE0_EEESZ_S10_S11_S18_S1C_S1E_T6_T7_T9_mT8_S1G_bDpT10_ENKUlT_T0_E_clISt17integral_constantIbLb0EES1T_IbLb1EEEEDaS1P_S1Q_EUlS1P_E_NS1_11comp_targetILNS1_3genE4ELNS1_11target_archE910ELNS1_3gpuE8ELNS1_3repE0EEENS1_30default_config_static_selectorELNS0_4arch9wavefront6targetE0EEEvS12_,"axG",@progbits,_ZN7rocprim17ROCPRIM_400000_NS6detail17trampoline_kernelINS0_13select_configILj256ELj13ELNS0_17block_load_methodE3ELS4_3ELS4_3ELNS0_20block_scan_algorithmE0ELj4294967295EEENS1_25partition_config_selectorILNS1_17partition_subalgoE4EjNS0_10empty_typeEbEEZZNS1_14partition_implILS8_4ELb0ES6_15HIP_vector_typeIjLj2EENS0_17counting_iteratorIjlEEPS9_SG_NS0_5tupleIJPjSI_NS0_16reverse_iteratorISI_EEEEENSH_IJSG_SG_SG_EEES9_SI_JZNS1_25segmented_radix_sort_implINS0_14default_configELb0EPKfPfPKlPlN2at6native12_GLOBAL__N_18offset_tEEE10hipError_tPvRmT1_PNSt15iterator_traitsIS12_E10value_typeET2_T3_PNS13_IS18_E10value_typeET4_jRbjT5_S1E_jjP12ihipStream_tbEUljE_ZNSN_ISO_Lb0ESQ_SR_ST_SU_SY_EESZ_S10_S11_S12_S16_S17_S18_S1B_S1C_jS1D_jS1E_S1E_jjS1G_bEUljE0_EEESZ_S10_S11_S18_S1C_S1E_T6_T7_T9_mT8_S1G_bDpT10_ENKUlT_T0_E_clISt17integral_constantIbLb0EES1T_IbLb1EEEEDaS1P_S1Q_EUlS1P_E_NS1_11comp_targetILNS1_3genE4ELNS1_11target_archE910ELNS1_3gpuE8ELNS1_3repE0EEENS1_30default_config_static_selectorELNS0_4arch9wavefront6targetE0EEEvS12_,comdat
.Lfunc_end1390:
	.size	_ZN7rocprim17ROCPRIM_400000_NS6detail17trampoline_kernelINS0_13select_configILj256ELj13ELNS0_17block_load_methodE3ELS4_3ELS4_3ELNS0_20block_scan_algorithmE0ELj4294967295EEENS1_25partition_config_selectorILNS1_17partition_subalgoE4EjNS0_10empty_typeEbEEZZNS1_14partition_implILS8_4ELb0ES6_15HIP_vector_typeIjLj2EENS0_17counting_iteratorIjlEEPS9_SG_NS0_5tupleIJPjSI_NS0_16reverse_iteratorISI_EEEEENSH_IJSG_SG_SG_EEES9_SI_JZNS1_25segmented_radix_sort_implINS0_14default_configELb0EPKfPfPKlPlN2at6native12_GLOBAL__N_18offset_tEEE10hipError_tPvRmT1_PNSt15iterator_traitsIS12_E10value_typeET2_T3_PNS13_IS18_E10value_typeET4_jRbjT5_S1E_jjP12ihipStream_tbEUljE_ZNSN_ISO_Lb0ESQ_SR_ST_SU_SY_EESZ_S10_S11_S12_S16_S17_S18_S1B_S1C_jS1D_jS1E_S1E_jjS1G_bEUljE0_EEESZ_S10_S11_S18_S1C_S1E_T6_T7_T9_mT8_S1G_bDpT10_ENKUlT_T0_E_clISt17integral_constantIbLb0EES1T_IbLb1EEEEDaS1P_S1Q_EUlS1P_E_NS1_11comp_targetILNS1_3genE4ELNS1_11target_archE910ELNS1_3gpuE8ELNS1_3repE0EEENS1_30default_config_static_selectorELNS0_4arch9wavefront6targetE0EEEvS12_, .Lfunc_end1390-_ZN7rocprim17ROCPRIM_400000_NS6detail17trampoline_kernelINS0_13select_configILj256ELj13ELNS0_17block_load_methodE3ELS4_3ELS4_3ELNS0_20block_scan_algorithmE0ELj4294967295EEENS1_25partition_config_selectorILNS1_17partition_subalgoE4EjNS0_10empty_typeEbEEZZNS1_14partition_implILS8_4ELb0ES6_15HIP_vector_typeIjLj2EENS0_17counting_iteratorIjlEEPS9_SG_NS0_5tupleIJPjSI_NS0_16reverse_iteratorISI_EEEEENSH_IJSG_SG_SG_EEES9_SI_JZNS1_25segmented_radix_sort_implINS0_14default_configELb0EPKfPfPKlPlN2at6native12_GLOBAL__N_18offset_tEEE10hipError_tPvRmT1_PNSt15iterator_traitsIS12_E10value_typeET2_T3_PNS13_IS18_E10value_typeET4_jRbjT5_S1E_jjP12ihipStream_tbEUljE_ZNSN_ISO_Lb0ESQ_SR_ST_SU_SY_EESZ_S10_S11_S12_S16_S17_S18_S1B_S1C_jS1D_jS1E_S1E_jjS1G_bEUljE0_EEESZ_S10_S11_S18_S1C_S1E_T6_T7_T9_mT8_S1G_bDpT10_ENKUlT_T0_E_clISt17integral_constantIbLb0EES1T_IbLb1EEEEDaS1P_S1Q_EUlS1P_E_NS1_11comp_targetILNS1_3genE4ELNS1_11target_archE910ELNS1_3gpuE8ELNS1_3repE0EEENS1_30default_config_static_selectorELNS0_4arch9wavefront6targetE0EEEvS12_
                                        ; -- End function
	.section	.AMDGPU.csdata,"",@progbits
; Kernel info:
; codeLenInByte = 0
; NumSgprs: 0
; NumVgprs: 0
; ScratchSize: 0
; MemoryBound: 0
; FloatMode: 240
; IeeeMode: 1
; LDSByteSize: 0 bytes/workgroup (compile time only)
; SGPRBlocks: 0
; VGPRBlocks: 0
; NumSGPRsForWavesPerEU: 1
; NumVGPRsForWavesPerEU: 1
; Occupancy: 16
; WaveLimiterHint : 0
; COMPUTE_PGM_RSRC2:SCRATCH_EN: 0
; COMPUTE_PGM_RSRC2:USER_SGPR: 15
; COMPUTE_PGM_RSRC2:TRAP_HANDLER: 0
; COMPUTE_PGM_RSRC2:TGID_X_EN: 1
; COMPUTE_PGM_RSRC2:TGID_Y_EN: 0
; COMPUTE_PGM_RSRC2:TGID_Z_EN: 0
; COMPUTE_PGM_RSRC2:TIDIG_COMP_CNT: 0
	.section	.text._ZN7rocprim17ROCPRIM_400000_NS6detail17trampoline_kernelINS0_13select_configILj256ELj13ELNS0_17block_load_methodE3ELS4_3ELS4_3ELNS0_20block_scan_algorithmE0ELj4294967295EEENS1_25partition_config_selectorILNS1_17partition_subalgoE4EjNS0_10empty_typeEbEEZZNS1_14partition_implILS8_4ELb0ES6_15HIP_vector_typeIjLj2EENS0_17counting_iteratorIjlEEPS9_SG_NS0_5tupleIJPjSI_NS0_16reverse_iteratorISI_EEEEENSH_IJSG_SG_SG_EEES9_SI_JZNS1_25segmented_radix_sort_implINS0_14default_configELb0EPKfPfPKlPlN2at6native12_GLOBAL__N_18offset_tEEE10hipError_tPvRmT1_PNSt15iterator_traitsIS12_E10value_typeET2_T3_PNS13_IS18_E10value_typeET4_jRbjT5_S1E_jjP12ihipStream_tbEUljE_ZNSN_ISO_Lb0ESQ_SR_ST_SU_SY_EESZ_S10_S11_S12_S16_S17_S18_S1B_S1C_jS1D_jS1E_S1E_jjS1G_bEUljE0_EEESZ_S10_S11_S18_S1C_S1E_T6_T7_T9_mT8_S1G_bDpT10_ENKUlT_T0_E_clISt17integral_constantIbLb0EES1T_IbLb1EEEEDaS1P_S1Q_EUlS1P_E_NS1_11comp_targetILNS1_3genE3ELNS1_11target_archE908ELNS1_3gpuE7ELNS1_3repE0EEENS1_30default_config_static_selectorELNS0_4arch9wavefront6targetE0EEEvS12_,"axG",@progbits,_ZN7rocprim17ROCPRIM_400000_NS6detail17trampoline_kernelINS0_13select_configILj256ELj13ELNS0_17block_load_methodE3ELS4_3ELS4_3ELNS0_20block_scan_algorithmE0ELj4294967295EEENS1_25partition_config_selectorILNS1_17partition_subalgoE4EjNS0_10empty_typeEbEEZZNS1_14partition_implILS8_4ELb0ES6_15HIP_vector_typeIjLj2EENS0_17counting_iteratorIjlEEPS9_SG_NS0_5tupleIJPjSI_NS0_16reverse_iteratorISI_EEEEENSH_IJSG_SG_SG_EEES9_SI_JZNS1_25segmented_radix_sort_implINS0_14default_configELb0EPKfPfPKlPlN2at6native12_GLOBAL__N_18offset_tEEE10hipError_tPvRmT1_PNSt15iterator_traitsIS12_E10value_typeET2_T3_PNS13_IS18_E10value_typeET4_jRbjT5_S1E_jjP12ihipStream_tbEUljE_ZNSN_ISO_Lb0ESQ_SR_ST_SU_SY_EESZ_S10_S11_S12_S16_S17_S18_S1B_S1C_jS1D_jS1E_S1E_jjS1G_bEUljE0_EEESZ_S10_S11_S18_S1C_S1E_T6_T7_T9_mT8_S1G_bDpT10_ENKUlT_T0_E_clISt17integral_constantIbLb0EES1T_IbLb1EEEEDaS1P_S1Q_EUlS1P_E_NS1_11comp_targetILNS1_3genE3ELNS1_11target_archE908ELNS1_3gpuE7ELNS1_3repE0EEENS1_30default_config_static_selectorELNS0_4arch9wavefront6targetE0EEEvS12_,comdat
	.globl	_ZN7rocprim17ROCPRIM_400000_NS6detail17trampoline_kernelINS0_13select_configILj256ELj13ELNS0_17block_load_methodE3ELS4_3ELS4_3ELNS0_20block_scan_algorithmE0ELj4294967295EEENS1_25partition_config_selectorILNS1_17partition_subalgoE4EjNS0_10empty_typeEbEEZZNS1_14partition_implILS8_4ELb0ES6_15HIP_vector_typeIjLj2EENS0_17counting_iteratorIjlEEPS9_SG_NS0_5tupleIJPjSI_NS0_16reverse_iteratorISI_EEEEENSH_IJSG_SG_SG_EEES9_SI_JZNS1_25segmented_radix_sort_implINS0_14default_configELb0EPKfPfPKlPlN2at6native12_GLOBAL__N_18offset_tEEE10hipError_tPvRmT1_PNSt15iterator_traitsIS12_E10value_typeET2_T3_PNS13_IS18_E10value_typeET4_jRbjT5_S1E_jjP12ihipStream_tbEUljE_ZNSN_ISO_Lb0ESQ_SR_ST_SU_SY_EESZ_S10_S11_S12_S16_S17_S18_S1B_S1C_jS1D_jS1E_S1E_jjS1G_bEUljE0_EEESZ_S10_S11_S18_S1C_S1E_T6_T7_T9_mT8_S1G_bDpT10_ENKUlT_T0_E_clISt17integral_constantIbLb0EES1T_IbLb1EEEEDaS1P_S1Q_EUlS1P_E_NS1_11comp_targetILNS1_3genE3ELNS1_11target_archE908ELNS1_3gpuE7ELNS1_3repE0EEENS1_30default_config_static_selectorELNS0_4arch9wavefront6targetE0EEEvS12_ ; -- Begin function _ZN7rocprim17ROCPRIM_400000_NS6detail17trampoline_kernelINS0_13select_configILj256ELj13ELNS0_17block_load_methodE3ELS4_3ELS4_3ELNS0_20block_scan_algorithmE0ELj4294967295EEENS1_25partition_config_selectorILNS1_17partition_subalgoE4EjNS0_10empty_typeEbEEZZNS1_14partition_implILS8_4ELb0ES6_15HIP_vector_typeIjLj2EENS0_17counting_iteratorIjlEEPS9_SG_NS0_5tupleIJPjSI_NS0_16reverse_iteratorISI_EEEEENSH_IJSG_SG_SG_EEES9_SI_JZNS1_25segmented_radix_sort_implINS0_14default_configELb0EPKfPfPKlPlN2at6native12_GLOBAL__N_18offset_tEEE10hipError_tPvRmT1_PNSt15iterator_traitsIS12_E10value_typeET2_T3_PNS13_IS18_E10value_typeET4_jRbjT5_S1E_jjP12ihipStream_tbEUljE_ZNSN_ISO_Lb0ESQ_SR_ST_SU_SY_EESZ_S10_S11_S12_S16_S17_S18_S1B_S1C_jS1D_jS1E_S1E_jjS1G_bEUljE0_EEESZ_S10_S11_S18_S1C_S1E_T6_T7_T9_mT8_S1G_bDpT10_ENKUlT_T0_E_clISt17integral_constantIbLb0EES1T_IbLb1EEEEDaS1P_S1Q_EUlS1P_E_NS1_11comp_targetILNS1_3genE3ELNS1_11target_archE908ELNS1_3gpuE7ELNS1_3repE0EEENS1_30default_config_static_selectorELNS0_4arch9wavefront6targetE0EEEvS12_
	.p2align	8
	.type	_ZN7rocprim17ROCPRIM_400000_NS6detail17trampoline_kernelINS0_13select_configILj256ELj13ELNS0_17block_load_methodE3ELS4_3ELS4_3ELNS0_20block_scan_algorithmE0ELj4294967295EEENS1_25partition_config_selectorILNS1_17partition_subalgoE4EjNS0_10empty_typeEbEEZZNS1_14partition_implILS8_4ELb0ES6_15HIP_vector_typeIjLj2EENS0_17counting_iteratorIjlEEPS9_SG_NS0_5tupleIJPjSI_NS0_16reverse_iteratorISI_EEEEENSH_IJSG_SG_SG_EEES9_SI_JZNS1_25segmented_radix_sort_implINS0_14default_configELb0EPKfPfPKlPlN2at6native12_GLOBAL__N_18offset_tEEE10hipError_tPvRmT1_PNSt15iterator_traitsIS12_E10value_typeET2_T3_PNS13_IS18_E10value_typeET4_jRbjT5_S1E_jjP12ihipStream_tbEUljE_ZNSN_ISO_Lb0ESQ_SR_ST_SU_SY_EESZ_S10_S11_S12_S16_S17_S18_S1B_S1C_jS1D_jS1E_S1E_jjS1G_bEUljE0_EEESZ_S10_S11_S18_S1C_S1E_T6_T7_T9_mT8_S1G_bDpT10_ENKUlT_T0_E_clISt17integral_constantIbLb0EES1T_IbLb1EEEEDaS1P_S1Q_EUlS1P_E_NS1_11comp_targetILNS1_3genE3ELNS1_11target_archE908ELNS1_3gpuE7ELNS1_3repE0EEENS1_30default_config_static_selectorELNS0_4arch9wavefront6targetE0EEEvS12_,@function
_ZN7rocprim17ROCPRIM_400000_NS6detail17trampoline_kernelINS0_13select_configILj256ELj13ELNS0_17block_load_methodE3ELS4_3ELS4_3ELNS0_20block_scan_algorithmE0ELj4294967295EEENS1_25partition_config_selectorILNS1_17partition_subalgoE4EjNS0_10empty_typeEbEEZZNS1_14partition_implILS8_4ELb0ES6_15HIP_vector_typeIjLj2EENS0_17counting_iteratorIjlEEPS9_SG_NS0_5tupleIJPjSI_NS0_16reverse_iteratorISI_EEEEENSH_IJSG_SG_SG_EEES9_SI_JZNS1_25segmented_radix_sort_implINS0_14default_configELb0EPKfPfPKlPlN2at6native12_GLOBAL__N_18offset_tEEE10hipError_tPvRmT1_PNSt15iterator_traitsIS12_E10value_typeET2_T3_PNS13_IS18_E10value_typeET4_jRbjT5_S1E_jjP12ihipStream_tbEUljE_ZNSN_ISO_Lb0ESQ_SR_ST_SU_SY_EESZ_S10_S11_S12_S16_S17_S18_S1B_S1C_jS1D_jS1E_S1E_jjS1G_bEUljE0_EEESZ_S10_S11_S18_S1C_S1E_T6_T7_T9_mT8_S1G_bDpT10_ENKUlT_T0_E_clISt17integral_constantIbLb0EES1T_IbLb1EEEEDaS1P_S1Q_EUlS1P_E_NS1_11comp_targetILNS1_3genE3ELNS1_11target_archE908ELNS1_3gpuE7ELNS1_3repE0EEENS1_30default_config_static_selectorELNS0_4arch9wavefront6targetE0EEEvS12_: ; @_ZN7rocprim17ROCPRIM_400000_NS6detail17trampoline_kernelINS0_13select_configILj256ELj13ELNS0_17block_load_methodE3ELS4_3ELS4_3ELNS0_20block_scan_algorithmE0ELj4294967295EEENS1_25partition_config_selectorILNS1_17partition_subalgoE4EjNS0_10empty_typeEbEEZZNS1_14partition_implILS8_4ELb0ES6_15HIP_vector_typeIjLj2EENS0_17counting_iteratorIjlEEPS9_SG_NS0_5tupleIJPjSI_NS0_16reverse_iteratorISI_EEEEENSH_IJSG_SG_SG_EEES9_SI_JZNS1_25segmented_radix_sort_implINS0_14default_configELb0EPKfPfPKlPlN2at6native12_GLOBAL__N_18offset_tEEE10hipError_tPvRmT1_PNSt15iterator_traitsIS12_E10value_typeET2_T3_PNS13_IS18_E10value_typeET4_jRbjT5_S1E_jjP12ihipStream_tbEUljE_ZNSN_ISO_Lb0ESQ_SR_ST_SU_SY_EESZ_S10_S11_S12_S16_S17_S18_S1B_S1C_jS1D_jS1E_S1E_jjS1G_bEUljE0_EEESZ_S10_S11_S18_S1C_S1E_T6_T7_T9_mT8_S1G_bDpT10_ENKUlT_T0_E_clISt17integral_constantIbLb0EES1T_IbLb1EEEEDaS1P_S1Q_EUlS1P_E_NS1_11comp_targetILNS1_3genE3ELNS1_11target_archE908ELNS1_3gpuE7ELNS1_3repE0EEENS1_30default_config_static_selectorELNS0_4arch9wavefront6targetE0EEEvS12_
; %bb.0:
	.section	.rodata,"a",@progbits
	.p2align	6, 0x0
	.amdhsa_kernel _ZN7rocprim17ROCPRIM_400000_NS6detail17trampoline_kernelINS0_13select_configILj256ELj13ELNS0_17block_load_methodE3ELS4_3ELS4_3ELNS0_20block_scan_algorithmE0ELj4294967295EEENS1_25partition_config_selectorILNS1_17partition_subalgoE4EjNS0_10empty_typeEbEEZZNS1_14partition_implILS8_4ELb0ES6_15HIP_vector_typeIjLj2EENS0_17counting_iteratorIjlEEPS9_SG_NS0_5tupleIJPjSI_NS0_16reverse_iteratorISI_EEEEENSH_IJSG_SG_SG_EEES9_SI_JZNS1_25segmented_radix_sort_implINS0_14default_configELb0EPKfPfPKlPlN2at6native12_GLOBAL__N_18offset_tEEE10hipError_tPvRmT1_PNSt15iterator_traitsIS12_E10value_typeET2_T3_PNS13_IS18_E10value_typeET4_jRbjT5_S1E_jjP12ihipStream_tbEUljE_ZNSN_ISO_Lb0ESQ_SR_ST_SU_SY_EESZ_S10_S11_S12_S16_S17_S18_S1B_S1C_jS1D_jS1E_S1E_jjS1G_bEUljE0_EEESZ_S10_S11_S18_S1C_S1E_T6_T7_T9_mT8_S1G_bDpT10_ENKUlT_T0_E_clISt17integral_constantIbLb0EES1T_IbLb1EEEEDaS1P_S1Q_EUlS1P_E_NS1_11comp_targetILNS1_3genE3ELNS1_11target_archE908ELNS1_3gpuE7ELNS1_3repE0EEENS1_30default_config_static_selectorELNS0_4arch9wavefront6targetE0EEEvS12_
		.amdhsa_group_segment_fixed_size 0
		.amdhsa_private_segment_fixed_size 0
		.amdhsa_kernarg_size 184
		.amdhsa_user_sgpr_count 15
		.amdhsa_user_sgpr_dispatch_ptr 0
		.amdhsa_user_sgpr_queue_ptr 0
		.amdhsa_user_sgpr_kernarg_segment_ptr 1
		.amdhsa_user_sgpr_dispatch_id 0
		.amdhsa_user_sgpr_private_segment_size 0
		.amdhsa_wavefront_size32 1
		.amdhsa_uses_dynamic_stack 0
		.amdhsa_enable_private_segment 0
		.amdhsa_system_sgpr_workgroup_id_x 1
		.amdhsa_system_sgpr_workgroup_id_y 0
		.amdhsa_system_sgpr_workgroup_id_z 0
		.amdhsa_system_sgpr_workgroup_info 0
		.amdhsa_system_vgpr_workitem_id 0
		.amdhsa_next_free_vgpr 1
		.amdhsa_next_free_sgpr 1
		.amdhsa_reserve_vcc 0
		.amdhsa_float_round_mode_32 0
		.amdhsa_float_round_mode_16_64 0
		.amdhsa_float_denorm_mode_32 3
		.amdhsa_float_denorm_mode_16_64 3
		.amdhsa_dx10_clamp 1
		.amdhsa_ieee_mode 1
		.amdhsa_fp16_overflow 0
		.amdhsa_workgroup_processor_mode 1
		.amdhsa_memory_ordered 1
		.amdhsa_forward_progress 0
		.amdhsa_shared_vgpr_count 0
		.amdhsa_exception_fp_ieee_invalid_op 0
		.amdhsa_exception_fp_denorm_src 0
		.amdhsa_exception_fp_ieee_div_zero 0
		.amdhsa_exception_fp_ieee_overflow 0
		.amdhsa_exception_fp_ieee_underflow 0
		.amdhsa_exception_fp_ieee_inexact 0
		.amdhsa_exception_int_div_zero 0
	.end_amdhsa_kernel
	.section	.text._ZN7rocprim17ROCPRIM_400000_NS6detail17trampoline_kernelINS0_13select_configILj256ELj13ELNS0_17block_load_methodE3ELS4_3ELS4_3ELNS0_20block_scan_algorithmE0ELj4294967295EEENS1_25partition_config_selectorILNS1_17partition_subalgoE4EjNS0_10empty_typeEbEEZZNS1_14partition_implILS8_4ELb0ES6_15HIP_vector_typeIjLj2EENS0_17counting_iteratorIjlEEPS9_SG_NS0_5tupleIJPjSI_NS0_16reverse_iteratorISI_EEEEENSH_IJSG_SG_SG_EEES9_SI_JZNS1_25segmented_radix_sort_implINS0_14default_configELb0EPKfPfPKlPlN2at6native12_GLOBAL__N_18offset_tEEE10hipError_tPvRmT1_PNSt15iterator_traitsIS12_E10value_typeET2_T3_PNS13_IS18_E10value_typeET4_jRbjT5_S1E_jjP12ihipStream_tbEUljE_ZNSN_ISO_Lb0ESQ_SR_ST_SU_SY_EESZ_S10_S11_S12_S16_S17_S18_S1B_S1C_jS1D_jS1E_S1E_jjS1G_bEUljE0_EEESZ_S10_S11_S18_S1C_S1E_T6_T7_T9_mT8_S1G_bDpT10_ENKUlT_T0_E_clISt17integral_constantIbLb0EES1T_IbLb1EEEEDaS1P_S1Q_EUlS1P_E_NS1_11comp_targetILNS1_3genE3ELNS1_11target_archE908ELNS1_3gpuE7ELNS1_3repE0EEENS1_30default_config_static_selectorELNS0_4arch9wavefront6targetE0EEEvS12_,"axG",@progbits,_ZN7rocprim17ROCPRIM_400000_NS6detail17trampoline_kernelINS0_13select_configILj256ELj13ELNS0_17block_load_methodE3ELS4_3ELS4_3ELNS0_20block_scan_algorithmE0ELj4294967295EEENS1_25partition_config_selectorILNS1_17partition_subalgoE4EjNS0_10empty_typeEbEEZZNS1_14partition_implILS8_4ELb0ES6_15HIP_vector_typeIjLj2EENS0_17counting_iteratorIjlEEPS9_SG_NS0_5tupleIJPjSI_NS0_16reverse_iteratorISI_EEEEENSH_IJSG_SG_SG_EEES9_SI_JZNS1_25segmented_radix_sort_implINS0_14default_configELb0EPKfPfPKlPlN2at6native12_GLOBAL__N_18offset_tEEE10hipError_tPvRmT1_PNSt15iterator_traitsIS12_E10value_typeET2_T3_PNS13_IS18_E10value_typeET4_jRbjT5_S1E_jjP12ihipStream_tbEUljE_ZNSN_ISO_Lb0ESQ_SR_ST_SU_SY_EESZ_S10_S11_S12_S16_S17_S18_S1B_S1C_jS1D_jS1E_S1E_jjS1G_bEUljE0_EEESZ_S10_S11_S18_S1C_S1E_T6_T7_T9_mT8_S1G_bDpT10_ENKUlT_T0_E_clISt17integral_constantIbLb0EES1T_IbLb1EEEEDaS1P_S1Q_EUlS1P_E_NS1_11comp_targetILNS1_3genE3ELNS1_11target_archE908ELNS1_3gpuE7ELNS1_3repE0EEENS1_30default_config_static_selectorELNS0_4arch9wavefront6targetE0EEEvS12_,comdat
.Lfunc_end1391:
	.size	_ZN7rocprim17ROCPRIM_400000_NS6detail17trampoline_kernelINS0_13select_configILj256ELj13ELNS0_17block_load_methodE3ELS4_3ELS4_3ELNS0_20block_scan_algorithmE0ELj4294967295EEENS1_25partition_config_selectorILNS1_17partition_subalgoE4EjNS0_10empty_typeEbEEZZNS1_14partition_implILS8_4ELb0ES6_15HIP_vector_typeIjLj2EENS0_17counting_iteratorIjlEEPS9_SG_NS0_5tupleIJPjSI_NS0_16reverse_iteratorISI_EEEEENSH_IJSG_SG_SG_EEES9_SI_JZNS1_25segmented_radix_sort_implINS0_14default_configELb0EPKfPfPKlPlN2at6native12_GLOBAL__N_18offset_tEEE10hipError_tPvRmT1_PNSt15iterator_traitsIS12_E10value_typeET2_T3_PNS13_IS18_E10value_typeET4_jRbjT5_S1E_jjP12ihipStream_tbEUljE_ZNSN_ISO_Lb0ESQ_SR_ST_SU_SY_EESZ_S10_S11_S12_S16_S17_S18_S1B_S1C_jS1D_jS1E_S1E_jjS1G_bEUljE0_EEESZ_S10_S11_S18_S1C_S1E_T6_T7_T9_mT8_S1G_bDpT10_ENKUlT_T0_E_clISt17integral_constantIbLb0EES1T_IbLb1EEEEDaS1P_S1Q_EUlS1P_E_NS1_11comp_targetILNS1_3genE3ELNS1_11target_archE908ELNS1_3gpuE7ELNS1_3repE0EEENS1_30default_config_static_selectorELNS0_4arch9wavefront6targetE0EEEvS12_, .Lfunc_end1391-_ZN7rocprim17ROCPRIM_400000_NS6detail17trampoline_kernelINS0_13select_configILj256ELj13ELNS0_17block_load_methodE3ELS4_3ELS4_3ELNS0_20block_scan_algorithmE0ELj4294967295EEENS1_25partition_config_selectorILNS1_17partition_subalgoE4EjNS0_10empty_typeEbEEZZNS1_14partition_implILS8_4ELb0ES6_15HIP_vector_typeIjLj2EENS0_17counting_iteratorIjlEEPS9_SG_NS0_5tupleIJPjSI_NS0_16reverse_iteratorISI_EEEEENSH_IJSG_SG_SG_EEES9_SI_JZNS1_25segmented_radix_sort_implINS0_14default_configELb0EPKfPfPKlPlN2at6native12_GLOBAL__N_18offset_tEEE10hipError_tPvRmT1_PNSt15iterator_traitsIS12_E10value_typeET2_T3_PNS13_IS18_E10value_typeET4_jRbjT5_S1E_jjP12ihipStream_tbEUljE_ZNSN_ISO_Lb0ESQ_SR_ST_SU_SY_EESZ_S10_S11_S12_S16_S17_S18_S1B_S1C_jS1D_jS1E_S1E_jjS1G_bEUljE0_EEESZ_S10_S11_S18_S1C_S1E_T6_T7_T9_mT8_S1G_bDpT10_ENKUlT_T0_E_clISt17integral_constantIbLb0EES1T_IbLb1EEEEDaS1P_S1Q_EUlS1P_E_NS1_11comp_targetILNS1_3genE3ELNS1_11target_archE908ELNS1_3gpuE7ELNS1_3repE0EEENS1_30default_config_static_selectorELNS0_4arch9wavefront6targetE0EEEvS12_
                                        ; -- End function
	.section	.AMDGPU.csdata,"",@progbits
; Kernel info:
; codeLenInByte = 0
; NumSgprs: 0
; NumVgprs: 0
; ScratchSize: 0
; MemoryBound: 0
; FloatMode: 240
; IeeeMode: 1
; LDSByteSize: 0 bytes/workgroup (compile time only)
; SGPRBlocks: 0
; VGPRBlocks: 0
; NumSGPRsForWavesPerEU: 1
; NumVGPRsForWavesPerEU: 1
; Occupancy: 16
; WaveLimiterHint : 0
; COMPUTE_PGM_RSRC2:SCRATCH_EN: 0
; COMPUTE_PGM_RSRC2:USER_SGPR: 15
; COMPUTE_PGM_RSRC2:TRAP_HANDLER: 0
; COMPUTE_PGM_RSRC2:TGID_X_EN: 1
; COMPUTE_PGM_RSRC2:TGID_Y_EN: 0
; COMPUTE_PGM_RSRC2:TGID_Z_EN: 0
; COMPUTE_PGM_RSRC2:TIDIG_COMP_CNT: 0
	.section	.text._ZN7rocprim17ROCPRIM_400000_NS6detail17trampoline_kernelINS0_13select_configILj256ELj13ELNS0_17block_load_methodE3ELS4_3ELS4_3ELNS0_20block_scan_algorithmE0ELj4294967295EEENS1_25partition_config_selectorILNS1_17partition_subalgoE4EjNS0_10empty_typeEbEEZZNS1_14partition_implILS8_4ELb0ES6_15HIP_vector_typeIjLj2EENS0_17counting_iteratorIjlEEPS9_SG_NS0_5tupleIJPjSI_NS0_16reverse_iteratorISI_EEEEENSH_IJSG_SG_SG_EEES9_SI_JZNS1_25segmented_radix_sort_implINS0_14default_configELb0EPKfPfPKlPlN2at6native12_GLOBAL__N_18offset_tEEE10hipError_tPvRmT1_PNSt15iterator_traitsIS12_E10value_typeET2_T3_PNS13_IS18_E10value_typeET4_jRbjT5_S1E_jjP12ihipStream_tbEUljE_ZNSN_ISO_Lb0ESQ_SR_ST_SU_SY_EESZ_S10_S11_S12_S16_S17_S18_S1B_S1C_jS1D_jS1E_S1E_jjS1G_bEUljE0_EEESZ_S10_S11_S18_S1C_S1E_T6_T7_T9_mT8_S1G_bDpT10_ENKUlT_T0_E_clISt17integral_constantIbLb0EES1T_IbLb1EEEEDaS1P_S1Q_EUlS1P_E_NS1_11comp_targetILNS1_3genE2ELNS1_11target_archE906ELNS1_3gpuE6ELNS1_3repE0EEENS1_30default_config_static_selectorELNS0_4arch9wavefront6targetE0EEEvS12_,"axG",@progbits,_ZN7rocprim17ROCPRIM_400000_NS6detail17trampoline_kernelINS0_13select_configILj256ELj13ELNS0_17block_load_methodE3ELS4_3ELS4_3ELNS0_20block_scan_algorithmE0ELj4294967295EEENS1_25partition_config_selectorILNS1_17partition_subalgoE4EjNS0_10empty_typeEbEEZZNS1_14partition_implILS8_4ELb0ES6_15HIP_vector_typeIjLj2EENS0_17counting_iteratorIjlEEPS9_SG_NS0_5tupleIJPjSI_NS0_16reverse_iteratorISI_EEEEENSH_IJSG_SG_SG_EEES9_SI_JZNS1_25segmented_radix_sort_implINS0_14default_configELb0EPKfPfPKlPlN2at6native12_GLOBAL__N_18offset_tEEE10hipError_tPvRmT1_PNSt15iterator_traitsIS12_E10value_typeET2_T3_PNS13_IS18_E10value_typeET4_jRbjT5_S1E_jjP12ihipStream_tbEUljE_ZNSN_ISO_Lb0ESQ_SR_ST_SU_SY_EESZ_S10_S11_S12_S16_S17_S18_S1B_S1C_jS1D_jS1E_S1E_jjS1G_bEUljE0_EEESZ_S10_S11_S18_S1C_S1E_T6_T7_T9_mT8_S1G_bDpT10_ENKUlT_T0_E_clISt17integral_constantIbLb0EES1T_IbLb1EEEEDaS1P_S1Q_EUlS1P_E_NS1_11comp_targetILNS1_3genE2ELNS1_11target_archE906ELNS1_3gpuE6ELNS1_3repE0EEENS1_30default_config_static_selectorELNS0_4arch9wavefront6targetE0EEEvS12_,comdat
	.globl	_ZN7rocprim17ROCPRIM_400000_NS6detail17trampoline_kernelINS0_13select_configILj256ELj13ELNS0_17block_load_methodE3ELS4_3ELS4_3ELNS0_20block_scan_algorithmE0ELj4294967295EEENS1_25partition_config_selectorILNS1_17partition_subalgoE4EjNS0_10empty_typeEbEEZZNS1_14partition_implILS8_4ELb0ES6_15HIP_vector_typeIjLj2EENS0_17counting_iteratorIjlEEPS9_SG_NS0_5tupleIJPjSI_NS0_16reverse_iteratorISI_EEEEENSH_IJSG_SG_SG_EEES9_SI_JZNS1_25segmented_radix_sort_implINS0_14default_configELb0EPKfPfPKlPlN2at6native12_GLOBAL__N_18offset_tEEE10hipError_tPvRmT1_PNSt15iterator_traitsIS12_E10value_typeET2_T3_PNS13_IS18_E10value_typeET4_jRbjT5_S1E_jjP12ihipStream_tbEUljE_ZNSN_ISO_Lb0ESQ_SR_ST_SU_SY_EESZ_S10_S11_S12_S16_S17_S18_S1B_S1C_jS1D_jS1E_S1E_jjS1G_bEUljE0_EEESZ_S10_S11_S18_S1C_S1E_T6_T7_T9_mT8_S1G_bDpT10_ENKUlT_T0_E_clISt17integral_constantIbLb0EES1T_IbLb1EEEEDaS1P_S1Q_EUlS1P_E_NS1_11comp_targetILNS1_3genE2ELNS1_11target_archE906ELNS1_3gpuE6ELNS1_3repE0EEENS1_30default_config_static_selectorELNS0_4arch9wavefront6targetE0EEEvS12_ ; -- Begin function _ZN7rocprim17ROCPRIM_400000_NS6detail17trampoline_kernelINS0_13select_configILj256ELj13ELNS0_17block_load_methodE3ELS4_3ELS4_3ELNS0_20block_scan_algorithmE0ELj4294967295EEENS1_25partition_config_selectorILNS1_17partition_subalgoE4EjNS0_10empty_typeEbEEZZNS1_14partition_implILS8_4ELb0ES6_15HIP_vector_typeIjLj2EENS0_17counting_iteratorIjlEEPS9_SG_NS0_5tupleIJPjSI_NS0_16reverse_iteratorISI_EEEEENSH_IJSG_SG_SG_EEES9_SI_JZNS1_25segmented_radix_sort_implINS0_14default_configELb0EPKfPfPKlPlN2at6native12_GLOBAL__N_18offset_tEEE10hipError_tPvRmT1_PNSt15iterator_traitsIS12_E10value_typeET2_T3_PNS13_IS18_E10value_typeET4_jRbjT5_S1E_jjP12ihipStream_tbEUljE_ZNSN_ISO_Lb0ESQ_SR_ST_SU_SY_EESZ_S10_S11_S12_S16_S17_S18_S1B_S1C_jS1D_jS1E_S1E_jjS1G_bEUljE0_EEESZ_S10_S11_S18_S1C_S1E_T6_T7_T9_mT8_S1G_bDpT10_ENKUlT_T0_E_clISt17integral_constantIbLb0EES1T_IbLb1EEEEDaS1P_S1Q_EUlS1P_E_NS1_11comp_targetILNS1_3genE2ELNS1_11target_archE906ELNS1_3gpuE6ELNS1_3repE0EEENS1_30default_config_static_selectorELNS0_4arch9wavefront6targetE0EEEvS12_
	.p2align	8
	.type	_ZN7rocprim17ROCPRIM_400000_NS6detail17trampoline_kernelINS0_13select_configILj256ELj13ELNS0_17block_load_methodE3ELS4_3ELS4_3ELNS0_20block_scan_algorithmE0ELj4294967295EEENS1_25partition_config_selectorILNS1_17partition_subalgoE4EjNS0_10empty_typeEbEEZZNS1_14partition_implILS8_4ELb0ES6_15HIP_vector_typeIjLj2EENS0_17counting_iteratorIjlEEPS9_SG_NS0_5tupleIJPjSI_NS0_16reverse_iteratorISI_EEEEENSH_IJSG_SG_SG_EEES9_SI_JZNS1_25segmented_radix_sort_implINS0_14default_configELb0EPKfPfPKlPlN2at6native12_GLOBAL__N_18offset_tEEE10hipError_tPvRmT1_PNSt15iterator_traitsIS12_E10value_typeET2_T3_PNS13_IS18_E10value_typeET4_jRbjT5_S1E_jjP12ihipStream_tbEUljE_ZNSN_ISO_Lb0ESQ_SR_ST_SU_SY_EESZ_S10_S11_S12_S16_S17_S18_S1B_S1C_jS1D_jS1E_S1E_jjS1G_bEUljE0_EEESZ_S10_S11_S18_S1C_S1E_T6_T7_T9_mT8_S1G_bDpT10_ENKUlT_T0_E_clISt17integral_constantIbLb0EES1T_IbLb1EEEEDaS1P_S1Q_EUlS1P_E_NS1_11comp_targetILNS1_3genE2ELNS1_11target_archE906ELNS1_3gpuE6ELNS1_3repE0EEENS1_30default_config_static_selectorELNS0_4arch9wavefront6targetE0EEEvS12_,@function
_ZN7rocprim17ROCPRIM_400000_NS6detail17trampoline_kernelINS0_13select_configILj256ELj13ELNS0_17block_load_methodE3ELS4_3ELS4_3ELNS0_20block_scan_algorithmE0ELj4294967295EEENS1_25partition_config_selectorILNS1_17partition_subalgoE4EjNS0_10empty_typeEbEEZZNS1_14partition_implILS8_4ELb0ES6_15HIP_vector_typeIjLj2EENS0_17counting_iteratorIjlEEPS9_SG_NS0_5tupleIJPjSI_NS0_16reverse_iteratorISI_EEEEENSH_IJSG_SG_SG_EEES9_SI_JZNS1_25segmented_radix_sort_implINS0_14default_configELb0EPKfPfPKlPlN2at6native12_GLOBAL__N_18offset_tEEE10hipError_tPvRmT1_PNSt15iterator_traitsIS12_E10value_typeET2_T3_PNS13_IS18_E10value_typeET4_jRbjT5_S1E_jjP12ihipStream_tbEUljE_ZNSN_ISO_Lb0ESQ_SR_ST_SU_SY_EESZ_S10_S11_S12_S16_S17_S18_S1B_S1C_jS1D_jS1E_S1E_jjS1G_bEUljE0_EEESZ_S10_S11_S18_S1C_S1E_T6_T7_T9_mT8_S1G_bDpT10_ENKUlT_T0_E_clISt17integral_constantIbLb0EES1T_IbLb1EEEEDaS1P_S1Q_EUlS1P_E_NS1_11comp_targetILNS1_3genE2ELNS1_11target_archE906ELNS1_3gpuE6ELNS1_3repE0EEENS1_30default_config_static_selectorELNS0_4arch9wavefront6targetE0EEEvS12_: ; @_ZN7rocprim17ROCPRIM_400000_NS6detail17trampoline_kernelINS0_13select_configILj256ELj13ELNS0_17block_load_methodE3ELS4_3ELS4_3ELNS0_20block_scan_algorithmE0ELj4294967295EEENS1_25partition_config_selectorILNS1_17partition_subalgoE4EjNS0_10empty_typeEbEEZZNS1_14partition_implILS8_4ELb0ES6_15HIP_vector_typeIjLj2EENS0_17counting_iteratorIjlEEPS9_SG_NS0_5tupleIJPjSI_NS0_16reverse_iteratorISI_EEEEENSH_IJSG_SG_SG_EEES9_SI_JZNS1_25segmented_radix_sort_implINS0_14default_configELb0EPKfPfPKlPlN2at6native12_GLOBAL__N_18offset_tEEE10hipError_tPvRmT1_PNSt15iterator_traitsIS12_E10value_typeET2_T3_PNS13_IS18_E10value_typeET4_jRbjT5_S1E_jjP12ihipStream_tbEUljE_ZNSN_ISO_Lb0ESQ_SR_ST_SU_SY_EESZ_S10_S11_S12_S16_S17_S18_S1B_S1C_jS1D_jS1E_S1E_jjS1G_bEUljE0_EEESZ_S10_S11_S18_S1C_S1E_T6_T7_T9_mT8_S1G_bDpT10_ENKUlT_T0_E_clISt17integral_constantIbLb0EES1T_IbLb1EEEEDaS1P_S1Q_EUlS1P_E_NS1_11comp_targetILNS1_3genE2ELNS1_11target_archE906ELNS1_3gpuE6ELNS1_3repE0EEENS1_30default_config_static_selectorELNS0_4arch9wavefront6targetE0EEEvS12_
; %bb.0:
	.section	.rodata,"a",@progbits
	.p2align	6, 0x0
	.amdhsa_kernel _ZN7rocprim17ROCPRIM_400000_NS6detail17trampoline_kernelINS0_13select_configILj256ELj13ELNS0_17block_load_methodE3ELS4_3ELS4_3ELNS0_20block_scan_algorithmE0ELj4294967295EEENS1_25partition_config_selectorILNS1_17partition_subalgoE4EjNS0_10empty_typeEbEEZZNS1_14partition_implILS8_4ELb0ES6_15HIP_vector_typeIjLj2EENS0_17counting_iteratorIjlEEPS9_SG_NS0_5tupleIJPjSI_NS0_16reverse_iteratorISI_EEEEENSH_IJSG_SG_SG_EEES9_SI_JZNS1_25segmented_radix_sort_implINS0_14default_configELb0EPKfPfPKlPlN2at6native12_GLOBAL__N_18offset_tEEE10hipError_tPvRmT1_PNSt15iterator_traitsIS12_E10value_typeET2_T3_PNS13_IS18_E10value_typeET4_jRbjT5_S1E_jjP12ihipStream_tbEUljE_ZNSN_ISO_Lb0ESQ_SR_ST_SU_SY_EESZ_S10_S11_S12_S16_S17_S18_S1B_S1C_jS1D_jS1E_S1E_jjS1G_bEUljE0_EEESZ_S10_S11_S18_S1C_S1E_T6_T7_T9_mT8_S1G_bDpT10_ENKUlT_T0_E_clISt17integral_constantIbLb0EES1T_IbLb1EEEEDaS1P_S1Q_EUlS1P_E_NS1_11comp_targetILNS1_3genE2ELNS1_11target_archE906ELNS1_3gpuE6ELNS1_3repE0EEENS1_30default_config_static_selectorELNS0_4arch9wavefront6targetE0EEEvS12_
		.amdhsa_group_segment_fixed_size 0
		.amdhsa_private_segment_fixed_size 0
		.amdhsa_kernarg_size 184
		.amdhsa_user_sgpr_count 15
		.amdhsa_user_sgpr_dispatch_ptr 0
		.amdhsa_user_sgpr_queue_ptr 0
		.amdhsa_user_sgpr_kernarg_segment_ptr 1
		.amdhsa_user_sgpr_dispatch_id 0
		.amdhsa_user_sgpr_private_segment_size 0
		.amdhsa_wavefront_size32 1
		.amdhsa_uses_dynamic_stack 0
		.amdhsa_enable_private_segment 0
		.amdhsa_system_sgpr_workgroup_id_x 1
		.amdhsa_system_sgpr_workgroup_id_y 0
		.amdhsa_system_sgpr_workgroup_id_z 0
		.amdhsa_system_sgpr_workgroup_info 0
		.amdhsa_system_vgpr_workitem_id 0
		.amdhsa_next_free_vgpr 1
		.amdhsa_next_free_sgpr 1
		.amdhsa_reserve_vcc 0
		.amdhsa_float_round_mode_32 0
		.amdhsa_float_round_mode_16_64 0
		.amdhsa_float_denorm_mode_32 3
		.amdhsa_float_denorm_mode_16_64 3
		.amdhsa_dx10_clamp 1
		.amdhsa_ieee_mode 1
		.amdhsa_fp16_overflow 0
		.amdhsa_workgroup_processor_mode 1
		.amdhsa_memory_ordered 1
		.amdhsa_forward_progress 0
		.amdhsa_shared_vgpr_count 0
		.amdhsa_exception_fp_ieee_invalid_op 0
		.amdhsa_exception_fp_denorm_src 0
		.amdhsa_exception_fp_ieee_div_zero 0
		.amdhsa_exception_fp_ieee_overflow 0
		.amdhsa_exception_fp_ieee_underflow 0
		.amdhsa_exception_fp_ieee_inexact 0
		.amdhsa_exception_int_div_zero 0
	.end_amdhsa_kernel
	.section	.text._ZN7rocprim17ROCPRIM_400000_NS6detail17trampoline_kernelINS0_13select_configILj256ELj13ELNS0_17block_load_methodE3ELS4_3ELS4_3ELNS0_20block_scan_algorithmE0ELj4294967295EEENS1_25partition_config_selectorILNS1_17partition_subalgoE4EjNS0_10empty_typeEbEEZZNS1_14partition_implILS8_4ELb0ES6_15HIP_vector_typeIjLj2EENS0_17counting_iteratorIjlEEPS9_SG_NS0_5tupleIJPjSI_NS0_16reverse_iteratorISI_EEEEENSH_IJSG_SG_SG_EEES9_SI_JZNS1_25segmented_radix_sort_implINS0_14default_configELb0EPKfPfPKlPlN2at6native12_GLOBAL__N_18offset_tEEE10hipError_tPvRmT1_PNSt15iterator_traitsIS12_E10value_typeET2_T3_PNS13_IS18_E10value_typeET4_jRbjT5_S1E_jjP12ihipStream_tbEUljE_ZNSN_ISO_Lb0ESQ_SR_ST_SU_SY_EESZ_S10_S11_S12_S16_S17_S18_S1B_S1C_jS1D_jS1E_S1E_jjS1G_bEUljE0_EEESZ_S10_S11_S18_S1C_S1E_T6_T7_T9_mT8_S1G_bDpT10_ENKUlT_T0_E_clISt17integral_constantIbLb0EES1T_IbLb1EEEEDaS1P_S1Q_EUlS1P_E_NS1_11comp_targetILNS1_3genE2ELNS1_11target_archE906ELNS1_3gpuE6ELNS1_3repE0EEENS1_30default_config_static_selectorELNS0_4arch9wavefront6targetE0EEEvS12_,"axG",@progbits,_ZN7rocprim17ROCPRIM_400000_NS6detail17trampoline_kernelINS0_13select_configILj256ELj13ELNS0_17block_load_methodE3ELS4_3ELS4_3ELNS0_20block_scan_algorithmE0ELj4294967295EEENS1_25partition_config_selectorILNS1_17partition_subalgoE4EjNS0_10empty_typeEbEEZZNS1_14partition_implILS8_4ELb0ES6_15HIP_vector_typeIjLj2EENS0_17counting_iteratorIjlEEPS9_SG_NS0_5tupleIJPjSI_NS0_16reverse_iteratorISI_EEEEENSH_IJSG_SG_SG_EEES9_SI_JZNS1_25segmented_radix_sort_implINS0_14default_configELb0EPKfPfPKlPlN2at6native12_GLOBAL__N_18offset_tEEE10hipError_tPvRmT1_PNSt15iterator_traitsIS12_E10value_typeET2_T3_PNS13_IS18_E10value_typeET4_jRbjT5_S1E_jjP12ihipStream_tbEUljE_ZNSN_ISO_Lb0ESQ_SR_ST_SU_SY_EESZ_S10_S11_S12_S16_S17_S18_S1B_S1C_jS1D_jS1E_S1E_jjS1G_bEUljE0_EEESZ_S10_S11_S18_S1C_S1E_T6_T7_T9_mT8_S1G_bDpT10_ENKUlT_T0_E_clISt17integral_constantIbLb0EES1T_IbLb1EEEEDaS1P_S1Q_EUlS1P_E_NS1_11comp_targetILNS1_3genE2ELNS1_11target_archE906ELNS1_3gpuE6ELNS1_3repE0EEENS1_30default_config_static_selectorELNS0_4arch9wavefront6targetE0EEEvS12_,comdat
.Lfunc_end1392:
	.size	_ZN7rocprim17ROCPRIM_400000_NS6detail17trampoline_kernelINS0_13select_configILj256ELj13ELNS0_17block_load_methodE3ELS4_3ELS4_3ELNS0_20block_scan_algorithmE0ELj4294967295EEENS1_25partition_config_selectorILNS1_17partition_subalgoE4EjNS0_10empty_typeEbEEZZNS1_14partition_implILS8_4ELb0ES6_15HIP_vector_typeIjLj2EENS0_17counting_iteratorIjlEEPS9_SG_NS0_5tupleIJPjSI_NS0_16reverse_iteratorISI_EEEEENSH_IJSG_SG_SG_EEES9_SI_JZNS1_25segmented_radix_sort_implINS0_14default_configELb0EPKfPfPKlPlN2at6native12_GLOBAL__N_18offset_tEEE10hipError_tPvRmT1_PNSt15iterator_traitsIS12_E10value_typeET2_T3_PNS13_IS18_E10value_typeET4_jRbjT5_S1E_jjP12ihipStream_tbEUljE_ZNSN_ISO_Lb0ESQ_SR_ST_SU_SY_EESZ_S10_S11_S12_S16_S17_S18_S1B_S1C_jS1D_jS1E_S1E_jjS1G_bEUljE0_EEESZ_S10_S11_S18_S1C_S1E_T6_T7_T9_mT8_S1G_bDpT10_ENKUlT_T0_E_clISt17integral_constantIbLb0EES1T_IbLb1EEEEDaS1P_S1Q_EUlS1P_E_NS1_11comp_targetILNS1_3genE2ELNS1_11target_archE906ELNS1_3gpuE6ELNS1_3repE0EEENS1_30default_config_static_selectorELNS0_4arch9wavefront6targetE0EEEvS12_, .Lfunc_end1392-_ZN7rocprim17ROCPRIM_400000_NS6detail17trampoline_kernelINS0_13select_configILj256ELj13ELNS0_17block_load_methodE3ELS4_3ELS4_3ELNS0_20block_scan_algorithmE0ELj4294967295EEENS1_25partition_config_selectorILNS1_17partition_subalgoE4EjNS0_10empty_typeEbEEZZNS1_14partition_implILS8_4ELb0ES6_15HIP_vector_typeIjLj2EENS0_17counting_iteratorIjlEEPS9_SG_NS0_5tupleIJPjSI_NS0_16reverse_iteratorISI_EEEEENSH_IJSG_SG_SG_EEES9_SI_JZNS1_25segmented_radix_sort_implINS0_14default_configELb0EPKfPfPKlPlN2at6native12_GLOBAL__N_18offset_tEEE10hipError_tPvRmT1_PNSt15iterator_traitsIS12_E10value_typeET2_T3_PNS13_IS18_E10value_typeET4_jRbjT5_S1E_jjP12ihipStream_tbEUljE_ZNSN_ISO_Lb0ESQ_SR_ST_SU_SY_EESZ_S10_S11_S12_S16_S17_S18_S1B_S1C_jS1D_jS1E_S1E_jjS1G_bEUljE0_EEESZ_S10_S11_S18_S1C_S1E_T6_T7_T9_mT8_S1G_bDpT10_ENKUlT_T0_E_clISt17integral_constantIbLb0EES1T_IbLb1EEEEDaS1P_S1Q_EUlS1P_E_NS1_11comp_targetILNS1_3genE2ELNS1_11target_archE906ELNS1_3gpuE6ELNS1_3repE0EEENS1_30default_config_static_selectorELNS0_4arch9wavefront6targetE0EEEvS12_
                                        ; -- End function
	.section	.AMDGPU.csdata,"",@progbits
; Kernel info:
; codeLenInByte = 0
; NumSgprs: 0
; NumVgprs: 0
; ScratchSize: 0
; MemoryBound: 0
; FloatMode: 240
; IeeeMode: 1
; LDSByteSize: 0 bytes/workgroup (compile time only)
; SGPRBlocks: 0
; VGPRBlocks: 0
; NumSGPRsForWavesPerEU: 1
; NumVGPRsForWavesPerEU: 1
; Occupancy: 16
; WaveLimiterHint : 0
; COMPUTE_PGM_RSRC2:SCRATCH_EN: 0
; COMPUTE_PGM_RSRC2:USER_SGPR: 15
; COMPUTE_PGM_RSRC2:TRAP_HANDLER: 0
; COMPUTE_PGM_RSRC2:TGID_X_EN: 1
; COMPUTE_PGM_RSRC2:TGID_Y_EN: 0
; COMPUTE_PGM_RSRC2:TGID_Z_EN: 0
; COMPUTE_PGM_RSRC2:TIDIG_COMP_CNT: 0
	.section	.text._ZN7rocprim17ROCPRIM_400000_NS6detail17trampoline_kernelINS0_13select_configILj256ELj13ELNS0_17block_load_methodE3ELS4_3ELS4_3ELNS0_20block_scan_algorithmE0ELj4294967295EEENS1_25partition_config_selectorILNS1_17partition_subalgoE4EjNS0_10empty_typeEbEEZZNS1_14partition_implILS8_4ELb0ES6_15HIP_vector_typeIjLj2EENS0_17counting_iteratorIjlEEPS9_SG_NS0_5tupleIJPjSI_NS0_16reverse_iteratorISI_EEEEENSH_IJSG_SG_SG_EEES9_SI_JZNS1_25segmented_radix_sort_implINS0_14default_configELb0EPKfPfPKlPlN2at6native12_GLOBAL__N_18offset_tEEE10hipError_tPvRmT1_PNSt15iterator_traitsIS12_E10value_typeET2_T3_PNS13_IS18_E10value_typeET4_jRbjT5_S1E_jjP12ihipStream_tbEUljE_ZNSN_ISO_Lb0ESQ_SR_ST_SU_SY_EESZ_S10_S11_S12_S16_S17_S18_S1B_S1C_jS1D_jS1E_S1E_jjS1G_bEUljE0_EEESZ_S10_S11_S18_S1C_S1E_T6_T7_T9_mT8_S1G_bDpT10_ENKUlT_T0_E_clISt17integral_constantIbLb0EES1T_IbLb1EEEEDaS1P_S1Q_EUlS1P_E_NS1_11comp_targetILNS1_3genE10ELNS1_11target_archE1200ELNS1_3gpuE4ELNS1_3repE0EEENS1_30default_config_static_selectorELNS0_4arch9wavefront6targetE0EEEvS12_,"axG",@progbits,_ZN7rocprim17ROCPRIM_400000_NS6detail17trampoline_kernelINS0_13select_configILj256ELj13ELNS0_17block_load_methodE3ELS4_3ELS4_3ELNS0_20block_scan_algorithmE0ELj4294967295EEENS1_25partition_config_selectorILNS1_17partition_subalgoE4EjNS0_10empty_typeEbEEZZNS1_14partition_implILS8_4ELb0ES6_15HIP_vector_typeIjLj2EENS0_17counting_iteratorIjlEEPS9_SG_NS0_5tupleIJPjSI_NS0_16reverse_iteratorISI_EEEEENSH_IJSG_SG_SG_EEES9_SI_JZNS1_25segmented_radix_sort_implINS0_14default_configELb0EPKfPfPKlPlN2at6native12_GLOBAL__N_18offset_tEEE10hipError_tPvRmT1_PNSt15iterator_traitsIS12_E10value_typeET2_T3_PNS13_IS18_E10value_typeET4_jRbjT5_S1E_jjP12ihipStream_tbEUljE_ZNSN_ISO_Lb0ESQ_SR_ST_SU_SY_EESZ_S10_S11_S12_S16_S17_S18_S1B_S1C_jS1D_jS1E_S1E_jjS1G_bEUljE0_EEESZ_S10_S11_S18_S1C_S1E_T6_T7_T9_mT8_S1G_bDpT10_ENKUlT_T0_E_clISt17integral_constantIbLb0EES1T_IbLb1EEEEDaS1P_S1Q_EUlS1P_E_NS1_11comp_targetILNS1_3genE10ELNS1_11target_archE1200ELNS1_3gpuE4ELNS1_3repE0EEENS1_30default_config_static_selectorELNS0_4arch9wavefront6targetE0EEEvS12_,comdat
	.globl	_ZN7rocprim17ROCPRIM_400000_NS6detail17trampoline_kernelINS0_13select_configILj256ELj13ELNS0_17block_load_methodE3ELS4_3ELS4_3ELNS0_20block_scan_algorithmE0ELj4294967295EEENS1_25partition_config_selectorILNS1_17partition_subalgoE4EjNS0_10empty_typeEbEEZZNS1_14partition_implILS8_4ELb0ES6_15HIP_vector_typeIjLj2EENS0_17counting_iteratorIjlEEPS9_SG_NS0_5tupleIJPjSI_NS0_16reverse_iteratorISI_EEEEENSH_IJSG_SG_SG_EEES9_SI_JZNS1_25segmented_radix_sort_implINS0_14default_configELb0EPKfPfPKlPlN2at6native12_GLOBAL__N_18offset_tEEE10hipError_tPvRmT1_PNSt15iterator_traitsIS12_E10value_typeET2_T3_PNS13_IS18_E10value_typeET4_jRbjT5_S1E_jjP12ihipStream_tbEUljE_ZNSN_ISO_Lb0ESQ_SR_ST_SU_SY_EESZ_S10_S11_S12_S16_S17_S18_S1B_S1C_jS1D_jS1E_S1E_jjS1G_bEUljE0_EEESZ_S10_S11_S18_S1C_S1E_T6_T7_T9_mT8_S1G_bDpT10_ENKUlT_T0_E_clISt17integral_constantIbLb0EES1T_IbLb1EEEEDaS1P_S1Q_EUlS1P_E_NS1_11comp_targetILNS1_3genE10ELNS1_11target_archE1200ELNS1_3gpuE4ELNS1_3repE0EEENS1_30default_config_static_selectorELNS0_4arch9wavefront6targetE0EEEvS12_ ; -- Begin function _ZN7rocprim17ROCPRIM_400000_NS6detail17trampoline_kernelINS0_13select_configILj256ELj13ELNS0_17block_load_methodE3ELS4_3ELS4_3ELNS0_20block_scan_algorithmE0ELj4294967295EEENS1_25partition_config_selectorILNS1_17partition_subalgoE4EjNS0_10empty_typeEbEEZZNS1_14partition_implILS8_4ELb0ES6_15HIP_vector_typeIjLj2EENS0_17counting_iteratorIjlEEPS9_SG_NS0_5tupleIJPjSI_NS0_16reverse_iteratorISI_EEEEENSH_IJSG_SG_SG_EEES9_SI_JZNS1_25segmented_radix_sort_implINS0_14default_configELb0EPKfPfPKlPlN2at6native12_GLOBAL__N_18offset_tEEE10hipError_tPvRmT1_PNSt15iterator_traitsIS12_E10value_typeET2_T3_PNS13_IS18_E10value_typeET4_jRbjT5_S1E_jjP12ihipStream_tbEUljE_ZNSN_ISO_Lb0ESQ_SR_ST_SU_SY_EESZ_S10_S11_S12_S16_S17_S18_S1B_S1C_jS1D_jS1E_S1E_jjS1G_bEUljE0_EEESZ_S10_S11_S18_S1C_S1E_T6_T7_T9_mT8_S1G_bDpT10_ENKUlT_T0_E_clISt17integral_constantIbLb0EES1T_IbLb1EEEEDaS1P_S1Q_EUlS1P_E_NS1_11comp_targetILNS1_3genE10ELNS1_11target_archE1200ELNS1_3gpuE4ELNS1_3repE0EEENS1_30default_config_static_selectorELNS0_4arch9wavefront6targetE0EEEvS12_
	.p2align	8
	.type	_ZN7rocprim17ROCPRIM_400000_NS6detail17trampoline_kernelINS0_13select_configILj256ELj13ELNS0_17block_load_methodE3ELS4_3ELS4_3ELNS0_20block_scan_algorithmE0ELj4294967295EEENS1_25partition_config_selectorILNS1_17partition_subalgoE4EjNS0_10empty_typeEbEEZZNS1_14partition_implILS8_4ELb0ES6_15HIP_vector_typeIjLj2EENS0_17counting_iteratorIjlEEPS9_SG_NS0_5tupleIJPjSI_NS0_16reverse_iteratorISI_EEEEENSH_IJSG_SG_SG_EEES9_SI_JZNS1_25segmented_radix_sort_implINS0_14default_configELb0EPKfPfPKlPlN2at6native12_GLOBAL__N_18offset_tEEE10hipError_tPvRmT1_PNSt15iterator_traitsIS12_E10value_typeET2_T3_PNS13_IS18_E10value_typeET4_jRbjT5_S1E_jjP12ihipStream_tbEUljE_ZNSN_ISO_Lb0ESQ_SR_ST_SU_SY_EESZ_S10_S11_S12_S16_S17_S18_S1B_S1C_jS1D_jS1E_S1E_jjS1G_bEUljE0_EEESZ_S10_S11_S18_S1C_S1E_T6_T7_T9_mT8_S1G_bDpT10_ENKUlT_T0_E_clISt17integral_constantIbLb0EES1T_IbLb1EEEEDaS1P_S1Q_EUlS1P_E_NS1_11comp_targetILNS1_3genE10ELNS1_11target_archE1200ELNS1_3gpuE4ELNS1_3repE0EEENS1_30default_config_static_selectorELNS0_4arch9wavefront6targetE0EEEvS12_,@function
_ZN7rocprim17ROCPRIM_400000_NS6detail17trampoline_kernelINS0_13select_configILj256ELj13ELNS0_17block_load_methodE3ELS4_3ELS4_3ELNS0_20block_scan_algorithmE0ELj4294967295EEENS1_25partition_config_selectorILNS1_17partition_subalgoE4EjNS0_10empty_typeEbEEZZNS1_14partition_implILS8_4ELb0ES6_15HIP_vector_typeIjLj2EENS0_17counting_iteratorIjlEEPS9_SG_NS0_5tupleIJPjSI_NS0_16reverse_iteratorISI_EEEEENSH_IJSG_SG_SG_EEES9_SI_JZNS1_25segmented_radix_sort_implINS0_14default_configELb0EPKfPfPKlPlN2at6native12_GLOBAL__N_18offset_tEEE10hipError_tPvRmT1_PNSt15iterator_traitsIS12_E10value_typeET2_T3_PNS13_IS18_E10value_typeET4_jRbjT5_S1E_jjP12ihipStream_tbEUljE_ZNSN_ISO_Lb0ESQ_SR_ST_SU_SY_EESZ_S10_S11_S12_S16_S17_S18_S1B_S1C_jS1D_jS1E_S1E_jjS1G_bEUljE0_EEESZ_S10_S11_S18_S1C_S1E_T6_T7_T9_mT8_S1G_bDpT10_ENKUlT_T0_E_clISt17integral_constantIbLb0EES1T_IbLb1EEEEDaS1P_S1Q_EUlS1P_E_NS1_11comp_targetILNS1_3genE10ELNS1_11target_archE1200ELNS1_3gpuE4ELNS1_3repE0EEENS1_30default_config_static_selectorELNS0_4arch9wavefront6targetE0EEEvS12_: ; @_ZN7rocprim17ROCPRIM_400000_NS6detail17trampoline_kernelINS0_13select_configILj256ELj13ELNS0_17block_load_methodE3ELS4_3ELS4_3ELNS0_20block_scan_algorithmE0ELj4294967295EEENS1_25partition_config_selectorILNS1_17partition_subalgoE4EjNS0_10empty_typeEbEEZZNS1_14partition_implILS8_4ELb0ES6_15HIP_vector_typeIjLj2EENS0_17counting_iteratorIjlEEPS9_SG_NS0_5tupleIJPjSI_NS0_16reverse_iteratorISI_EEEEENSH_IJSG_SG_SG_EEES9_SI_JZNS1_25segmented_radix_sort_implINS0_14default_configELb0EPKfPfPKlPlN2at6native12_GLOBAL__N_18offset_tEEE10hipError_tPvRmT1_PNSt15iterator_traitsIS12_E10value_typeET2_T3_PNS13_IS18_E10value_typeET4_jRbjT5_S1E_jjP12ihipStream_tbEUljE_ZNSN_ISO_Lb0ESQ_SR_ST_SU_SY_EESZ_S10_S11_S12_S16_S17_S18_S1B_S1C_jS1D_jS1E_S1E_jjS1G_bEUljE0_EEESZ_S10_S11_S18_S1C_S1E_T6_T7_T9_mT8_S1G_bDpT10_ENKUlT_T0_E_clISt17integral_constantIbLb0EES1T_IbLb1EEEEDaS1P_S1Q_EUlS1P_E_NS1_11comp_targetILNS1_3genE10ELNS1_11target_archE1200ELNS1_3gpuE4ELNS1_3repE0EEENS1_30default_config_static_selectorELNS0_4arch9wavefront6targetE0EEEvS12_
; %bb.0:
	.section	.rodata,"a",@progbits
	.p2align	6, 0x0
	.amdhsa_kernel _ZN7rocprim17ROCPRIM_400000_NS6detail17trampoline_kernelINS0_13select_configILj256ELj13ELNS0_17block_load_methodE3ELS4_3ELS4_3ELNS0_20block_scan_algorithmE0ELj4294967295EEENS1_25partition_config_selectorILNS1_17partition_subalgoE4EjNS0_10empty_typeEbEEZZNS1_14partition_implILS8_4ELb0ES6_15HIP_vector_typeIjLj2EENS0_17counting_iteratorIjlEEPS9_SG_NS0_5tupleIJPjSI_NS0_16reverse_iteratorISI_EEEEENSH_IJSG_SG_SG_EEES9_SI_JZNS1_25segmented_radix_sort_implINS0_14default_configELb0EPKfPfPKlPlN2at6native12_GLOBAL__N_18offset_tEEE10hipError_tPvRmT1_PNSt15iterator_traitsIS12_E10value_typeET2_T3_PNS13_IS18_E10value_typeET4_jRbjT5_S1E_jjP12ihipStream_tbEUljE_ZNSN_ISO_Lb0ESQ_SR_ST_SU_SY_EESZ_S10_S11_S12_S16_S17_S18_S1B_S1C_jS1D_jS1E_S1E_jjS1G_bEUljE0_EEESZ_S10_S11_S18_S1C_S1E_T6_T7_T9_mT8_S1G_bDpT10_ENKUlT_T0_E_clISt17integral_constantIbLb0EES1T_IbLb1EEEEDaS1P_S1Q_EUlS1P_E_NS1_11comp_targetILNS1_3genE10ELNS1_11target_archE1200ELNS1_3gpuE4ELNS1_3repE0EEENS1_30default_config_static_selectorELNS0_4arch9wavefront6targetE0EEEvS12_
		.amdhsa_group_segment_fixed_size 0
		.amdhsa_private_segment_fixed_size 0
		.amdhsa_kernarg_size 184
		.amdhsa_user_sgpr_count 15
		.amdhsa_user_sgpr_dispatch_ptr 0
		.amdhsa_user_sgpr_queue_ptr 0
		.amdhsa_user_sgpr_kernarg_segment_ptr 1
		.amdhsa_user_sgpr_dispatch_id 0
		.amdhsa_user_sgpr_private_segment_size 0
		.amdhsa_wavefront_size32 1
		.amdhsa_uses_dynamic_stack 0
		.amdhsa_enable_private_segment 0
		.amdhsa_system_sgpr_workgroup_id_x 1
		.amdhsa_system_sgpr_workgroup_id_y 0
		.amdhsa_system_sgpr_workgroup_id_z 0
		.amdhsa_system_sgpr_workgroup_info 0
		.amdhsa_system_vgpr_workitem_id 0
		.amdhsa_next_free_vgpr 1
		.amdhsa_next_free_sgpr 1
		.amdhsa_reserve_vcc 0
		.amdhsa_float_round_mode_32 0
		.amdhsa_float_round_mode_16_64 0
		.amdhsa_float_denorm_mode_32 3
		.amdhsa_float_denorm_mode_16_64 3
		.amdhsa_dx10_clamp 1
		.amdhsa_ieee_mode 1
		.amdhsa_fp16_overflow 0
		.amdhsa_workgroup_processor_mode 1
		.amdhsa_memory_ordered 1
		.amdhsa_forward_progress 0
		.amdhsa_shared_vgpr_count 0
		.amdhsa_exception_fp_ieee_invalid_op 0
		.amdhsa_exception_fp_denorm_src 0
		.amdhsa_exception_fp_ieee_div_zero 0
		.amdhsa_exception_fp_ieee_overflow 0
		.amdhsa_exception_fp_ieee_underflow 0
		.amdhsa_exception_fp_ieee_inexact 0
		.amdhsa_exception_int_div_zero 0
	.end_amdhsa_kernel
	.section	.text._ZN7rocprim17ROCPRIM_400000_NS6detail17trampoline_kernelINS0_13select_configILj256ELj13ELNS0_17block_load_methodE3ELS4_3ELS4_3ELNS0_20block_scan_algorithmE0ELj4294967295EEENS1_25partition_config_selectorILNS1_17partition_subalgoE4EjNS0_10empty_typeEbEEZZNS1_14partition_implILS8_4ELb0ES6_15HIP_vector_typeIjLj2EENS0_17counting_iteratorIjlEEPS9_SG_NS0_5tupleIJPjSI_NS0_16reverse_iteratorISI_EEEEENSH_IJSG_SG_SG_EEES9_SI_JZNS1_25segmented_radix_sort_implINS0_14default_configELb0EPKfPfPKlPlN2at6native12_GLOBAL__N_18offset_tEEE10hipError_tPvRmT1_PNSt15iterator_traitsIS12_E10value_typeET2_T3_PNS13_IS18_E10value_typeET4_jRbjT5_S1E_jjP12ihipStream_tbEUljE_ZNSN_ISO_Lb0ESQ_SR_ST_SU_SY_EESZ_S10_S11_S12_S16_S17_S18_S1B_S1C_jS1D_jS1E_S1E_jjS1G_bEUljE0_EEESZ_S10_S11_S18_S1C_S1E_T6_T7_T9_mT8_S1G_bDpT10_ENKUlT_T0_E_clISt17integral_constantIbLb0EES1T_IbLb1EEEEDaS1P_S1Q_EUlS1P_E_NS1_11comp_targetILNS1_3genE10ELNS1_11target_archE1200ELNS1_3gpuE4ELNS1_3repE0EEENS1_30default_config_static_selectorELNS0_4arch9wavefront6targetE0EEEvS12_,"axG",@progbits,_ZN7rocprim17ROCPRIM_400000_NS6detail17trampoline_kernelINS0_13select_configILj256ELj13ELNS0_17block_load_methodE3ELS4_3ELS4_3ELNS0_20block_scan_algorithmE0ELj4294967295EEENS1_25partition_config_selectorILNS1_17partition_subalgoE4EjNS0_10empty_typeEbEEZZNS1_14partition_implILS8_4ELb0ES6_15HIP_vector_typeIjLj2EENS0_17counting_iteratorIjlEEPS9_SG_NS0_5tupleIJPjSI_NS0_16reverse_iteratorISI_EEEEENSH_IJSG_SG_SG_EEES9_SI_JZNS1_25segmented_radix_sort_implINS0_14default_configELb0EPKfPfPKlPlN2at6native12_GLOBAL__N_18offset_tEEE10hipError_tPvRmT1_PNSt15iterator_traitsIS12_E10value_typeET2_T3_PNS13_IS18_E10value_typeET4_jRbjT5_S1E_jjP12ihipStream_tbEUljE_ZNSN_ISO_Lb0ESQ_SR_ST_SU_SY_EESZ_S10_S11_S12_S16_S17_S18_S1B_S1C_jS1D_jS1E_S1E_jjS1G_bEUljE0_EEESZ_S10_S11_S18_S1C_S1E_T6_T7_T9_mT8_S1G_bDpT10_ENKUlT_T0_E_clISt17integral_constantIbLb0EES1T_IbLb1EEEEDaS1P_S1Q_EUlS1P_E_NS1_11comp_targetILNS1_3genE10ELNS1_11target_archE1200ELNS1_3gpuE4ELNS1_3repE0EEENS1_30default_config_static_selectorELNS0_4arch9wavefront6targetE0EEEvS12_,comdat
.Lfunc_end1393:
	.size	_ZN7rocprim17ROCPRIM_400000_NS6detail17trampoline_kernelINS0_13select_configILj256ELj13ELNS0_17block_load_methodE3ELS4_3ELS4_3ELNS0_20block_scan_algorithmE0ELj4294967295EEENS1_25partition_config_selectorILNS1_17partition_subalgoE4EjNS0_10empty_typeEbEEZZNS1_14partition_implILS8_4ELb0ES6_15HIP_vector_typeIjLj2EENS0_17counting_iteratorIjlEEPS9_SG_NS0_5tupleIJPjSI_NS0_16reverse_iteratorISI_EEEEENSH_IJSG_SG_SG_EEES9_SI_JZNS1_25segmented_radix_sort_implINS0_14default_configELb0EPKfPfPKlPlN2at6native12_GLOBAL__N_18offset_tEEE10hipError_tPvRmT1_PNSt15iterator_traitsIS12_E10value_typeET2_T3_PNS13_IS18_E10value_typeET4_jRbjT5_S1E_jjP12ihipStream_tbEUljE_ZNSN_ISO_Lb0ESQ_SR_ST_SU_SY_EESZ_S10_S11_S12_S16_S17_S18_S1B_S1C_jS1D_jS1E_S1E_jjS1G_bEUljE0_EEESZ_S10_S11_S18_S1C_S1E_T6_T7_T9_mT8_S1G_bDpT10_ENKUlT_T0_E_clISt17integral_constantIbLb0EES1T_IbLb1EEEEDaS1P_S1Q_EUlS1P_E_NS1_11comp_targetILNS1_3genE10ELNS1_11target_archE1200ELNS1_3gpuE4ELNS1_3repE0EEENS1_30default_config_static_selectorELNS0_4arch9wavefront6targetE0EEEvS12_, .Lfunc_end1393-_ZN7rocprim17ROCPRIM_400000_NS6detail17trampoline_kernelINS0_13select_configILj256ELj13ELNS0_17block_load_methodE3ELS4_3ELS4_3ELNS0_20block_scan_algorithmE0ELj4294967295EEENS1_25partition_config_selectorILNS1_17partition_subalgoE4EjNS0_10empty_typeEbEEZZNS1_14partition_implILS8_4ELb0ES6_15HIP_vector_typeIjLj2EENS0_17counting_iteratorIjlEEPS9_SG_NS0_5tupleIJPjSI_NS0_16reverse_iteratorISI_EEEEENSH_IJSG_SG_SG_EEES9_SI_JZNS1_25segmented_radix_sort_implINS0_14default_configELb0EPKfPfPKlPlN2at6native12_GLOBAL__N_18offset_tEEE10hipError_tPvRmT1_PNSt15iterator_traitsIS12_E10value_typeET2_T3_PNS13_IS18_E10value_typeET4_jRbjT5_S1E_jjP12ihipStream_tbEUljE_ZNSN_ISO_Lb0ESQ_SR_ST_SU_SY_EESZ_S10_S11_S12_S16_S17_S18_S1B_S1C_jS1D_jS1E_S1E_jjS1G_bEUljE0_EEESZ_S10_S11_S18_S1C_S1E_T6_T7_T9_mT8_S1G_bDpT10_ENKUlT_T0_E_clISt17integral_constantIbLb0EES1T_IbLb1EEEEDaS1P_S1Q_EUlS1P_E_NS1_11comp_targetILNS1_3genE10ELNS1_11target_archE1200ELNS1_3gpuE4ELNS1_3repE0EEENS1_30default_config_static_selectorELNS0_4arch9wavefront6targetE0EEEvS12_
                                        ; -- End function
	.section	.AMDGPU.csdata,"",@progbits
; Kernel info:
; codeLenInByte = 0
; NumSgprs: 0
; NumVgprs: 0
; ScratchSize: 0
; MemoryBound: 0
; FloatMode: 240
; IeeeMode: 1
; LDSByteSize: 0 bytes/workgroup (compile time only)
; SGPRBlocks: 0
; VGPRBlocks: 0
; NumSGPRsForWavesPerEU: 1
; NumVGPRsForWavesPerEU: 1
; Occupancy: 16
; WaveLimiterHint : 0
; COMPUTE_PGM_RSRC2:SCRATCH_EN: 0
; COMPUTE_PGM_RSRC2:USER_SGPR: 15
; COMPUTE_PGM_RSRC2:TRAP_HANDLER: 0
; COMPUTE_PGM_RSRC2:TGID_X_EN: 1
; COMPUTE_PGM_RSRC2:TGID_Y_EN: 0
; COMPUTE_PGM_RSRC2:TGID_Z_EN: 0
; COMPUTE_PGM_RSRC2:TIDIG_COMP_CNT: 0
	.section	.text._ZN7rocprim17ROCPRIM_400000_NS6detail17trampoline_kernelINS0_13select_configILj256ELj13ELNS0_17block_load_methodE3ELS4_3ELS4_3ELNS0_20block_scan_algorithmE0ELj4294967295EEENS1_25partition_config_selectorILNS1_17partition_subalgoE4EjNS0_10empty_typeEbEEZZNS1_14partition_implILS8_4ELb0ES6_15HIP_vector_typeIjLj2EENS0_17counting_iteratorIjlEEPS9_SG_NS0_5tupleIJPjSI_NS0_16reverse_iteratorISI_EEEEENSH_IJSG_SG_SG_EEES9_SI_JZNS1_25segmented_radix_sort_implINS0_14default_configELb0EPKfPfPKlPlN2at6native12_GLOBAL__N_18offset_tEEE10hipError_tPvRmT1_PNSt15iterator_traitsIS12_E10value_typeET2_T3_PNS13_IS18_E10value_typeET4_jRbjT5_S1E_jjP12ihipStream_tbEUljE_ZNSN_ISO_Lb0ESQ_SR_ST_SU_SY_EESZ_S10_S11_S12_S16_S17_S18_S1B_S1C_jS1D_jS1E_S1E_jjS1G_bEUljE0_EEESZ_S10_S11_S18_S1C_S1E_T6_T7_T9_mT8_S1G_bDpT10_ENKUlT_T0_E_clISt17integral_constantIbLb0EES1T_IbLb1EEEEDaS1P_S1Q_EUlS1P_E_NS1_11comp_targetILNS1_3genE9ELNS1_11target_archE1100ELNS1_3gpuE3ELNS1_3repE0EEENS1_30default_config_static_selectorELNS0_4arch9wavefront6targetE0EEEvS12_,"axG",@progbits,_ZN7rocprim17ROCPRIM_400000_NS6detail17trampoline_kernelINS0_13select_configILj256ELj13ELNS0_17block_load_methodE3ELS4_3ELS4_3ELNS0_20block_scan_algorithmE0ELj4294967295EEENS1_25partition_config_selectorILNS1_17partition_subalgoE4EjNS0_10empty_typeEbEEZZNS1_14partition_implILS8_4ELb0ES6_15HIP_vector_typeIjLj2EENS0_17counting_iteratorIjlEEPS9_SG_NS0_5tupleIJPjSI_NS0_16reverse_iteratorISI_EEEEENSH_IJSG_SG_SG_EEES9_SI_JZNS1_25segmented_radix_sort_implINS0_14default_configELb0EPKfPfPKlPlN2at6native12_GLOBAL__N_18offset_tEEE10hipError_tPvRmT1_PNSt15iterator_traitsIS12_E10value_typeET2_T3_PNS13_IS18_E10value_typeET4_jRbjT5_S1E_jjP12ihipStream_tbEUljE_ZNSN_ISO_Lb0ESQ_SR_ST_SU_SY_EESZ_S10_S11_S12_S16_S17_S18_S1B_S1C_jS1D_jS1E_S1E_jjS1G_bEUljE0_EEESZ_S10_S11_S18_S1C_S1E_T6_T7_T9_mT8_S1G_bDpT10_ENKUlT_T0_E_clISt17integral_constantIbLb0EES1T_IbLb1EEEEDaS1P_S1Q_EUlS1P_E_NS1_11comp_targetILNS1_3genE9ELNS1_11target_archE1100ELNS1_3gpuE3ELNS1_3repE0EEENS1_30default_config_static_selectorELNS0_4arch9wavefront6targetE0EEEvS12_,comdat
	.globl	_ZN7rocprim17ROCPRIM_400000_NS6detail17trampoline_kernelINS0_13select_configILj256ELj13ELNS0_17block_load_methodE3ELS4_3ELS4_3ELNS0_20block_scan_algorithmE0ELj4294967295EEENS1_25partition_config_selectorILNS1_17partition_subalgoE4EjNS0_10empty_typeEbEEZZNS1_14partition_implILS8_4ELb0ES6_15HIP_vector_typeIjLj2EENS0_17counting_iteratorIjlEEPS9_SG_NS0_5tupleIJPjSI_NS0_16reverse_iteratorISI_EEEEENSH_IJSG_SG_SG_EEES9_SI_JZNS1_25segmented_radix_sort_implINS0_14default_configELb0EPKfPfPKlPlN2at6native12_GLOBAL__N_18offset_tEEE10hipError_tPvRmT1_PNSt15iterator_traitsIS12_E10value_typeET2_T3_PNS13_IS18_E10value_typeET4_jRbjT5_S1E_jjP12ihipStream_tbEUljE_ZNSN_ISO_Lb0ESQ_SR_ST_SU_SY_EESZ_S10_S11_S12_S16_S17_S18_S1B_S1C_jS1D_jS1E_S1E_jjS1G_bEUljE0_EEESZ_S10_S11_S18_S1C_S1E_T6_T7_T9_mT8_S1G_bDpT10_ENKUlT_T0_E_clISt17integral_constantIbLb0EES1T_IbLb1EEEEDaS1P_S1Q_EUlS1P_E_NS1_11comp_targetILNS1_3genE9ELNS1_11target_archE1100ELNS1_3gpuE3ELNS1_3repE0EEENS1_30default_config_static_selectorELNS0_4arch9wavefront6targetE0EEEvS12_ ; -- Begin function _ZN7rocprim17ROCPRIM_400000_NS6detail17trampoline_kernelINS0_13select_configILj256ELj13ELNS0_17block_load_methodE3ELS4_3ELS4_3ELNS0_20block_scan_algorithmE0ELj4294967295EEENS1_25partition_config_selectorILNS1_17partition_subalgoE4EjNS0_10empty_typeEbEEZZNS1_14partition_implILS8_4ELb0ES6_15HIP_vector_typeIjLj2EENS0_17counting_iteratorIjlEEPS9_SG_NS0_5tupleIJPjSI_NS0_16reverse_iteratorISI_EEEEENSH_IJSG_SG_SG_EEES9_SI_JZNS1_25segmented_radix_sort_implINS0_14default_configELb0EPKfPfPKlPlN2at6native12_GLOBAL__N_18offset_tEEE10hipError_tPvRmT1_PNSt15iterator_traitsIS12_E10value_typeET2_T3_PNS13_IS18_E10value_typeET4_jRbjT5_S1E_jjP12ihipStream_tbEUljE_ZNSN_ISO_Lb0ESQ_SR_ST_SU_SY_EESZ_S10_S11_S12_S16_S17_S18_S1B_S1C_jS1D_jS1E_S1E_jjS1G_bEUljE0_EEESZ_S10_S11_S18_S1C_S1E_T6_T7_T9_mT8_S1G_bDpT10_ENKUlT_T0_E_clISt17integral_constantIbLb0EES1T_IbLb1EEEEDaS1P_S1Q_EUlS1P_E_NS1_11comp_targetILNS1_3genE9ELNS1_11target_archE1100ELNS1_3gpuE3ELNS1_3repE0EEENS1_30default_config_static_selectorELNS0_4arch9wavefront6targetE0EEEvS12_
	.p2align	8
	.type	_ZN7rocprim17ROCPRIM_400000_NS6detail17trampoline_kernelINS0_13select_configILj256ELj13ELNS0_17block_load_methodE3ELS4_3ELS4_3ELNS0_20block_scan_algorithmE0ELj4294967295EEENS1_25partition_config_selectorILNS1_17partition_subalgoE4EjNS0_10empty_typeEbEEZZNS1_14partition_implILS8_4ELb0ES6_15HIP_vector_typeIjLj2EENS0_17counting_iteratorIjlEEPS9_SG_NS0_5tupleIJPjSI_NS0_16reverse_iteratorISI_EEEEENSH_IJSG_SG_SG_EEES9_SI_JZNS1_25segmented_radix_sort_implINS0_14default_configELb0EPKfPfPKlPlN2at6native12_GLOBAL__N_18offset_tEEE10hipError_tPvRmT1_PNSt15iterator_traitsIS12_E10value_typeET2_T3_PNS13_IS18_E10value_typeET4_jRbjT5_S1E_jjP12ihipStream_tbEUljE_ZNSN_ISO_Lb0ESQ_SR_ST_SU_SY_EESZ_S10_S11_S12_S16_S17_S18_S1B_S1C_jS1D_jS1E_S1E_jjS1G_bEUljE0_EEESZ_S10_S11_S18_S1C_S1E_T6_T7_T9_mT8_S1G_bDpT10_ENKUlT_T0_E_clISt17integral_constantIbLb0EES1T_IbLb1EEEEDaS1P_S1Q_EUlS1P_E_NS1_11comp_targetILNS1_3genE9ELNS1_11target_archE1100ELNS1_3gpuE3ELNS1_3repE0EEENS1_30default_config_static_selectorELNS0_4arch9wavefront6targetE0EEEvS12_,@function
_ZN7rocprim17ROCPRIM_400000_NS6detail17trampoline_kernelINS0_13select_configILj256ELj13ELNS0_17block_load_methodE3ELS4_3ELS4_3ELNS0_20block_scan_algorithmE0ELj4294967295EEENS1_25partition_config_selectorILNS1_17partition_subalgoE4EjNS0_10empty_typeEbEEZZNS1_14partition_implILS8_4ELb0ES6_15HIP_vector_typeIjLj2EENS0_17counting_iteratorIjlEEPS9_SG_NS0_5tupleIJPjSI_NS0_16reverse_iteratorISI_EEEEENSH_IJSG_SG_SG_EEES9_SI_JZNS1_25segmented_radix_sort_implINS0_14default_configELb0EPKfPfPKlPlN2at6native12_GLOBAL__N_18offset_tEEE10hipError_tPvRmT1_PNSt15iterator_traitsIS12_E10value_typeET2_T3_PNS13_IS18_E10value_typeET4_jRbjT5_S1E_jjP12ihipStream_tbEUljE_ZNSN_ISO_Lb0ESQ_SR_ST_SU_SY_EESZ_S10_S11_S12_S16_S17_S18_S1B_S1C_jS1D_jS1E_S1E_jjS1G_bEUljE0_EEESZ_S10_S11_S18_S1C_S1E_T6_T7_T9_mT8_S1G_bDpT10_ENKUlT_T0_E_clISt17integral_constantIbLb0EES1T_IbLb1EEEEDaS1P_S1Q_EUlS1P_E_NS1_11comp_targetILNS1_3genE9ELNS1_11target_archE1100ELNS1_3gpuE3ELNS1_3repE0EEENS1_30default_config_static_selectorELNS0_4arch9wavefront6targetE0EEEvS12_: ; @_ZN7rocprim17ROCPRIM_400000_NS6detail17trampoline_kernelINS0_13select_configILj256ELj13ELNS0_17block_load_methodE3ELS4_3ELS4_3ELNS0_20block_scan_algorithmE0ELj4294967295EEENS1_25partition_config_selectorILNS1_17partition_subalgoE4EjNS0_10empty_typeEbEEZZNS1_14partition_implILS8_4ELb0ES6_15HIP_vector_typeIjLj2EENS0_17counting_iteratorIjlEEPS9_SG_NS0_5tupleIJPjSI_NS0_16reverse_iteratorISI_EEEEENSH_IJSG_SG_SG_EEES9_SI_JZNS1_25segmented_radix_sort_implINS0_14default_configELb0EPKfPfPKlPlN2at6native12_GLOBAL__N_18offset_tEEE10hipError_tPvRmT1_PNSt15iterator_traitsIS12_E10value_typeET2_T3_PNS13_IS18_E10value_typeET4_jRbjT5_S1E_jjP12ihipStream_tbEUljE_ZNSN_ISO_Lb0ESQ_SR_ST_SU_SY_EESZ_S10_S11_S12_S16_S17_S18_S1B_S1C_jS1D_jS1E_S1E_jjS1G_bEUljE0_EEESZ_S10_S11_S18_S1C_S1E_T6_T7_T9_mT8_S1G_bDpT10_ENKUlT_T0_E_clISt17integral_constantIbLb0EES1T_IbLb1EEEEDaS1P_S1Q_EUlS1P_E_NS1_11comp_targetILNS1_3genE9ELNS1_11target_archE1100ELNS1_3gpuE3ELNS1_3repE0EEENS1_30default_config_static_selectorELNS0_4arch9wavefront6targetE0EEEvS12_
; %bb.0:
	s_clause 0x7
	s_load_b64 s[34:35], s[0:1], 0x10
	s_load_b128 s[28:31], s[0:1], 0x28
	s_load_b64 s[14:15], s[0:1], 0x38
	s_load_b128 s[24:27], s[0:1], 0x58
	s_load_b64 s[4:5], s[0:1], 0x68
	s_load_b64 s[36:37], s[0:1], 0x78
	;; [unrolled: 1-line block ×3, first 2 shown]
	s_load_b256 s[16:23], s[0:1], 0x90
	v_cmp_eq_u32_e64 s2, 0, v0
	s_delay_alu instid0(VALU_DEP_1)
	s_and_saveexec_b32 s3, s2
	s_cbranch_execz .LBB1394_4
; %bb.1:
	s_mov_b32 s7, exec_lo
	s_mov_b32 s6, exec_lo
	v_mbcnt_lo_u32_b32 v1, s7, 0
                                        ; implicit-def: $vgpr2
	s_delay_alu instid0(VALU_DEP_1)
	v_cmpx_eq_u32_e32 0, v1
	s_cbranch_execz .LBB1394_3
; %bb.2:
	s_load_b64 s[8:9], s[0:1], 0x88
	s_bcnt1_i32_b32 s7, s7
	s_delay_alu instid0(SALU_CYCLE_1)
	v_dual_mov_b32 v2, 0 :: v_dual_mov_b32 v3, s7
	s_waitcnt lgkmcnt(0)
	global_atomic_add_u32 v2, v2, v3, s[8:9] glc
.LBB1394_3:
	s_or_b32 exec_lo, exec_lo, s6
	s_waitcnt vmcnt(0)
	v_readfirstlane_b32 s6, v2
	s_delay_alu instid0(VALU_DEP_1)
	v_dual_mov_b32 v2, 0 :: v_dual_add_nc_u32 v1, s6, v1
	ds_store_b32 v2, v1
.LBB1394_4:
	s_or_b32 exec_lo, exec_lo, s3
	v_mov_b32_e32 v1, 0
	s_clause 0x1
	s_load_b32 s3, s[0:1], 0x8
	s_load_b32 s0, s[0:1], 0x80
	s_waitcnt lgkmcnt(0)
	s_barrier
	buffer_gl0_inv
	ds_load_b32 v5, v1
	s_waitcnt lgkmcnt(0)
	s_barrier
	buffer_gl0_inv
	global_load_b128 v[1:4], v1, s[26:27]
	s_add_i32 s3, s3, s34
	s_mul_i32 s1, s0, 0xd00
	s_add_i32 s0, s0, -1
	s_add_u32 s6, s34, s1
	s_addc_u32 s7, s35, 0
	v_mul_lo_u32 v30, 0xd00, v5
	v_readfirstlane_b32 s26, v5
	v_cmp_lt_u64_e64 s5, s[6:7], s[4:5]
	v_cmp_ne_u32_e32 vcc_lo, s0, v5
	s_delay_alu instid0(VALU_DEP_3) | instskip(SKIP_1) | instid1(VALU_DEP_4)
	s_cmp_eq_u32 s26, s0
	s_cselect_b32 s13, -1, 0
	v_add3_u32 v5, v30, s3, v0
	s_delay_alu instid0(VALU_DEP_3) | instskip(SKIP_2) | instid1(VALU_DEP_1)
	s_or_b32 s0, s5, vcc_lo
	s_mov_b32 s3, -1
	s_and_b32 vcc_lo, exec_lo, s0
	v_add_nc_u32_e32 v6, 0x100, v5
	v_add_nc_u32_e32 v7, 0x200, v5
	;; [unrolled: 1-line block ×12, first 2 shown]
	s_cbranch_vccz .LBB1394_6
; %bb.5:
	v_lshlrev_b32_e32 v18, 2, v0
	s_mov_b32 s3, 0
	ds_store_2addr_stride64_b32 v18, v5, v6 offset1:4
	ds_store_2addr_stride64_b32 v18, v7, v8 offset0:8 offset1:12
	ds_store_2addr_stride64_b32 v18, v9, v10 offset0:16 offset1:20
	;; [unrolled: 1-line block ×5, first 2 shown]
	ds_store_b32 v18, v17 offset:12288
	s_waitcnt vmcnt(0) lgkmcnt(0)
	s_barrier
.LBB1394_6:
	s_and_not1_b32 vcc_lo, exec_lo, s3
	s_add_i32 s1, s1, s34
	s_cbranch_vccnz .LBB1394_8
; %bb.7:
	v_lshlrev_b32_e32 v18, 2, v0
	ds_store_2addr_stride64_b32 v18, v5, v6 offset1:4
	ds_store_2addr_stride64_b32 v18, v7, v8 offset0:8 offset1:12
	ds_store_2addr_stride64_b32 v18, v9, v10 offset0:16 offset1:20
	;; [unrolled: 1-line block ×5, first 2 shown]
	ds_store_b32 v18, v17 offset:12288
	s_waitcnt vmcnt(0) lgkmcnt(0)
	s_barrier
.LBB1394_8:
	v_mul_u32_u24_e32 v33, 13, v0
	s_waitcnt vmcnt(0)
	buffer_gl0_inv
	v_cndmask_b32_e64 v31, 0, 1, s0
	s_sub_i32 s40, s4, s1
	s_and_not1_b32 vcc_lo, exec_lo, s0
	v_lshlrev_b32_e32 v5, 2, v33
	ds_load_2addr_b32 v[20:21], v5 offset1:1
	ds_load_2addr_b32 v[18:19], v5 offset0:2 offset1:3
	ds_load_2addr_b32 v[16:17], v5 offset0:4 offset1:5
	;; [unrolled: 1-line block ×5, first 2 shown]
	ds_load_b32 v32, v5 offset:48
	s_waitcnt lgkmcnt(0)
	s_barrier
	buffer_gl0_inv
	s_cbranch_vccnz .LBB1394_36
; %bb.9:
	v_add_nc_u32_e32 v5, s17, v20
	v_add_nc_u32_e32 v6, s19, v20
	s_mov_b32 s42, 0
	s_mov_b32 s41, 0
	s_mov_b32 s1, exec_lo
	v_mul_lo_u32 v5, v5, s16
	v_mul_lo_u32 v6, v6, s18
	s_delay_alu instid0(VALU_DEP_1) | instskip(NEXT) | instid1(VALU_DEP_1)
	v_sub_nc_u32_e32 v5, v5, v6
	v_cmp_lt_u32_e32 vcc_lo, s20, v5
	v_cmpx_ge_u32_e64 s20, v5
; %bb.10:
	v_add_nc_u32_e32 v5, s22, v20
	v_add_nc_u32_e32 v6, s38, v20
	s_delay_alu instid0(VALU_DEP_2) | instskip(NEXT) | instid1(VALU_DEP_2)
	v_mul_lo_u32 v5, v5, s21
	v_mul_lo_u32 v6, v6, s23
	s_delay_alu instid0(VALU_DEP_1) | instskip(NEXT) | instid1(VALU_DEP_1)
	v_sub_nc_u32_e32 v5, v5, v6
	v_cmp_lt_u32_e64 s0, s39, v5
	s_delay_alu instid0(VALU_DEP_1)
	s_and_b32 s41, s0, exec_lo
; %bb.11:
	s_or_b32 exec_lo, exec_lo, s1
	v_add_nc_u32_e32 v5, s17, v21
	v_add_nc_u32_e32 v6, s19, v21
	s_mov_b32 s3, exec_lo
	s_delay_alu instid0(VALU_DEP_2) | instskip(NEXT) | instid1(VALU_DEP_2)
	v_mul_lo_u32 v5, v5, s16
	v_mul_lo_u32 v6, v6, s18
	s_delay_alu instid0(VALU_DEP_1) | instskip(NEXT) | instid1(VALU_DEP_1)
	v_sub_nc_u32_e32 v5, v5, v6
	v_cmp_lt_u32_e64 s0, s20, v5
	v_cmpx_ge_u32_e64 s20, v5
; %bb.12:
	v_add_nc_u32_e32 v5, s22, v21
	v_add_nc_u32_e32 v6, s38, v21
	s_delay_alu instid0(VALU_DEP_2) | instskip(NEXT) | instid1(VALU_DEP_2)
	v_mul_lo_u32 v5, v5, s21
	v_mul_lo_u32 v6, v6, s23
	s_delay_alu instid0(VALU_DEP_1) | instskip(NEXT) | instid1(VALU_DEP_1)
	v_sub_nc_u32_e32 v5, v5, v6
	v_cmp_lt_u32_e64 s1, s39, v5
	s_delay_alu instid0(VALU_DEP_1)
	s_and_b32 s42, s1, exec_lo
; %bb.13:
	s_or_b32 exec_lo, exec_lo, s3
	v_add_nc_u32_e32 v5, s17, v18
	v_add_nc_u32_e32 v6, s19, v18
	s_mov_b32 s44, 0
	s_mov_b32 s43, 0
	s_mov_b32 s4, exec_lo
	v_mul_lo_u32 v5, v5, s16
	v_mul_lo_u32 v6, v6, s18
	s_delay_alu instid0(VALU_DEP_1) | instskip(NEXT) | instid1(VALU_DEP_1)
	v_sub_nc_u32_e32 v5, v5, v6
	v_cmp_lt_u32_e64 s1, s20, v5
	v_cmpx_ge_u32_e64 s20, v5
; %bb.14:
	v_add_nc_u32_e32 v5, s22, v18
	v_add_nc_u32_e32 v6, s38, v18
	s_delay_alu instid0(VALU_DEP_2) | instskip(NEXT) | instid1(VALU_DEP_2)
	v_mul_lo_u32 v5, v5, s21
	v_mul_lo_u32 v6, v6, s23
	s_delay_alu instid0(VALU_DEP_1) | instskip(NEXT) | instid1(VALU_DEP_1)
	v_sub_nc_u32_e32 v5, v5, v6
	v_cmp_lt_u32_e64 s3, s39, v5
	s_delay_alu instid0(VALU_DEP_1)
	s_and_b32 s43, s3, exec_lo
; %bb.15:
	s_or_b32 exec_lo, exec_lo, s4
	v_add_nc_u32_e32 v5, s17, v19
	v_add_nc_u32_e32 v6, s19, v19
	s_mov_b32 s5, exec_lo
	s_delay_alu instid0(VALU_DEP_2) | instskip(NEXT) | instid1(VALU_DEP_2)
	v_mul_lo_u32 v5, v5, s16
	v_mul_lo_u32 v6, v6, s18
	s_delay_alu instid0(VALU_DEP_1) | instskip(NEXT) | instid1(VALU_DEP_1)
	v_sub_nc_u32_e32 v5, v5, v6
	v_cmp_lt_u32_e64 s3, s20, v5
	v_cmpx_ge_u32_e64 s20, v5
; %bb.16:
	v_add_nc_u32_e32 v5, s22, v19
	v_add_nc_u32_e32 v6, s38, v19
	s_delay_alu instid0(VALU_DEP_2) | instskip(NEXT) | instid1(VALU_DEP_2)
	v_mul_lo_u32 v5, v5, s21
	v_mul_lo_u32 v6, v6, s23
	s_delay_alu instid0(VALU_DEP_1) | instskip(NEXT) | instid1(VALU_DEP_1)
	v_sub_nc_u32_e32 v5, v5, v6
	v_cmp_lt_u32_e64 s4, s39, v5
	s_delay_alu instid0(VALU_DEP_1)
	s_and_b32 s44, s4, exec_lo
; %bb.17:
	s_or_b32 exec_lo, exec_lo, s5
	v_add_nc_u32_e32 v5, s17, v16
	v_add_nc_u32_e32 v6, s19, v16
	s_mov_b32 s46, 0
	s_mov_b32 s45, 0
	s_mov_b32 s6, exec_lo
	v_mul_lo_u32 v5, v5, s16
	v_mul_lo_u32 v6, v6, s18
	s_delay_alu instid0(VALU_DEP_1) | instskip(NEXT) | instid1(VALU_DEP_1)
	v_sub_nc_u32_e32 v5, v5, v6
	v_cmp_lt_u32_e64 s4, s20, v5
	;; [unrolled: 47-line block ×5, first 2 shown]
	v_cmpx_ge_u32_e64 s20, v5
; %bb.30:
	v_add_nc_u32_e32 v5, s22, v10
	v_add_nc_u32_e32 v6, s38, v10
	s_delay_alu instid0(VALU_DEP_2) | instskip(NEXT) | instid1(VALU_DEP_2)
	v_mul_lo_u32 v5, v5, s21
	v_mul_lo_u32 v6, v6, s23
	s_delay_alu instid0(VALU_DEP_1) | instskip(NEXT) | instid1(VALU_DEP_1)
	v_sub_nc_u32_e32 v5, v5, v6
	v_cmp_lt_u32_e64 s11, s39, v5
	s_delay_alu instid0(VALU_DEP_1)
	s_and_b32 s53, s11, exec_lo
; %bb.31:
	s_or_b32 exec_lo, exec_lo, s12
	v_add_nc_u32_e32 v5, s17, v11
	v_add_nc_u32_e32 v6, s19, v11
	s_mov_b32 s27, exec_lo
	s_delay_alu instid0(VALU_DEP_2) | instskip(NEXT) | instid1(VALU_DEP_2)
	v_mul_lo_u32 v5, v5, s16
	v_mul_lo_u32 v6, v6, s18
	s_delay_alu instid0(VALU_DEP_1) | instskip(NEXT) | instid1(VALU_DEP_1)
	v_sub_nc_u32_e32 v5, v5, v6
	v_cmp_lt_u32_e64 s11, s20, v5
	v_cmpx_ge_u32_e64 s20, v5
; %bb.32:
	v_add_nc_u32_e32 v5, s22, v11
	v_add_nc_u32_e32 v6, s38, v11
	s_delay_alu instid0(VALU_DEP_2) | instskip(NEXT) | instid1(VALU_DEP_2)
	v_mul_lo_u32 v5, v5, s21
	v_mul_lo_u32 v6, v6, s23
	s_delay_alu instid0(VALU_DEP_1) | instskip(NEXT) | instid1(VALU_DEP_1)
	v_sub_nc_u32_e32 v5, v5, v6
	v_cmp_lt_u32_e64 s12, s39, v5
	s_delay_alu instid0(VALU_DEP_1)
	s_and_b32 s52, s12, exec_lo
; %bb.33:
	s_or_b32 exec_lo, exec_lo, s27
	v_add_nc_u32_e32 v5, s17, v32
	v_add_nc_u32_e32 v6, s19, v32
	s_mov_b32 s27, -1
	s_mov_b32 s49, 0
	s_mov_b32 s33, 0
	v_mul_lo_u32 v5, v5, s16
	v_mul_lo_u32 v6, v6, s18
	s_mov_b32 s54, exec_lo
	s_delay_alu instid0(VALU_DEP_1) | instskip(NEXT) | instid1(VALU_DEP_1)
	v_sub_nc_u32_e32 v5, v5, v6
	v_cmpx_ge_u32_e64 s20, v5
; %bb.34:
	v_add_nc_u32_e32 v5, s22, v32
	v_add_nc_u32_e32 v6, s38, v32
	s_xor_b32 s27, exec_lo, -1
	s_delay_alu instid0(VALU_DEP_2) | instskip(NEXT) | instid1(VALU_DEP_2)
	v_mul_lo_u32 v5, v5, s21
	v_mul_lo_u32 v6, v6, s23
	s_delay_alu instid0(VALU_DEP_1) | instskip(NEXT) | instid1(VALU_DEP_1)
	v_sub_nc_u32_e32 v5, v5, v6
	v_cmp_lt_u32_e64 s12, s39, v5
	s_delay_alu instid0(VALU_DEP_1)
	s_and_b32 s33, s12, exec_lo
; %bb.35:
	s_or_b32 exec_lo, exec_lo, s54
	v_cndmask_b32_e64 v53, 0, 1, s53
	v_cndmask_b32_e64 v56, 0, 1, s11
	;; [unrolled: 1-line block ×22, first 2 shown]
	v_cndmask_b32_e64 v34, 0, 1, vcc_lo
	v_cndmask_b32_e64 v57, 0, 1, s52
	s_and_b32 vcc_lo, exec_lo, s49
	s_add_i32 s4, s40, 0xd00
	s_cbranch_vccnz .LBB1394_37
	s_branch .LBB1394_90
.LBB1394_36:
                                        ; implicit-def: $sgpr27
                                        ; implicit-def: $sgpr33
                                        ; implicit-def: $vgpr57
                                        ; implicit-def: $vgpr53
                                        ; implicit-def: $vgpr52
                                        ; implicit-def: $vgpr50
                                        ; implicit-def: $vgpr48
                                        ; implicit-def: $vgpr46
                                        ; implicit-def: $vgpr44
                                        ; implicit-def: $vgpr42
                                        ; implicit-def: $vgpr39
                                        ; implicit-def: $vgpr34
                                        ; implicit-def: $vgpr37
                                        ; implicit-def: $vgpr36
                                        ; implicit-def: $vgpr41
                                        ; implicit-def: $vgpr43
                                        ; implicit-def: $vgpr45
                                        ; implicit-def: $vgpr47
                                        ; implicit-def: $vgpr49
                                        ; implicit-def: $vgpr51
                                        ; implicit-def: $vgpr54
                                        ; implicit-def: $vgpr55
                                        ; implicit-def: $vgpr56
                                        ; implicit-def: $vgpr35
                                        ; implicit-def: $vgpr40
                                        ; implicit-def: $vgpr38
	s_add_i32 s4, s40, 0xd00
	s_cbranch_execz .LBB1394_90
.LBB1394_37:
	v_dual_mov_b32 v35, 0 :: v_dual_mov_b32 v34, 0
	s_mov_b32 s3, 0
	s_mov_b32 s1, exec_lo
	v_cmpx_gt_u32_e64 s4, v33
	s_cbranch_execz .LBB1394_41
; %bb.38:
	v_add_nc_u32_e32 v5, s17, v20
	v_add_nc_u32_e32 v6, s19, v20
	s_mov_b32 s5, exec_lo
	s_delay_alu instid0(VALU_DEP_2) | instskip(NEXT) | instid1(VALU_DEP_2)
	v_mul_lo_u32 v5, v5, s16
	v_mul_lo_u32 v6, v6, s18
	s_delay_alu instid0(VALU_DEP_1) | instskip(NEXT) | instid1(VALU_DEP_1)
	v_sub_nc_u32_e32 v5, v5, v6
	v_cmp_lt_u32_e32 vcc_lo, s20, v5
	v_cmpx_ge_u32_e64 s20, v5
; %bb.39:
	v_add_nc_u32_e32 v5, s22, v20
	v_add_nc_u32_e32 v6, s38, v20
	s_delay_alu instid0(VALU_DEP_2) | instskip(NEXT) | instid1(VALU_DEP_2)
	v_mul_lo_u32 v5, v5, s21
	v_mul_lo_u32 v6, v6, s23
	s_delay_alu instid0(VALU_DEP_1) | instskip(NEXT) | instid1(VALU_DEP_1)
	v_sub_nc_u32_e32 v5, v5, v6
	v_cmp_lt_u32_e64 s0, s39, v5
	s_delay_alu instid0(VALU_DEP_1)
	s_and_b32 s3, s0, exec_lo
; %bb.40:
	s_or_b32 exec_lo, exec_lo, s5
	v_cndmask_b32_e64 v34, 0, 1, vcc_lo
	v_cndmask_b32_e64 v35, 0, 1, s3
.LBB1394_41:
	s_or_b32 exec_lo, exec_lo, s1
	v_dual_mov_b32 v40, 0 :: v_dual_add_nc_u32 v5, 1, v33
	v_mov_b32_e32 v37, 0
	s_mov_b32 s3, 0
	s_mov_b32 s1, exec_lo
	s_delay_alu instid0(VALU_DEP_2)
	v_cmpx_gt_u32_e64 s4, v5
	s_cbranch_execz .LBB1394_45
; %bb.42:
	v_add_nc_u32_e32 v5, s17, v21
	v_add_nc_u32_e32 v6, s19, v21
	s_mov_b32 s5, exec_lo
	s_delay_alu instid0(VALU_DEP_2) | instskip(NEXT) | instid1(VALU_DEP_2)
	v_mul_lo_u32 v5, v5, s16
	v_mul_lo_u32 v6, v6, s18
	s_delay_alu instid0(VALU_DEP_1) | instskip(NEXT) | instid1(VALU_DEP_1)
	v_sub_nc_u32_e32 v5, v5, v6
	v_cmp_lt_u32_e32 vcc_lo, s20, v5
	v_cmpx_ge_u32_e64 s20, v5
; %bb.43:
	v_add_nc_u32_e32 v5, s22, v21
	v_add_nc_u32_e32 v6, s38, v21
	s_delay_alu instid0(VALU_DEP_2) | instskip(NEXT) | instid1(VALU_DEP_2)
	v_mul_lo_u32 v5, v5, s21
	v_mul_lo_u32 v6, v6, s23
	s_delay_alu instid0(VALU_DEP_1) | instskip(NEXT) | instid1(VALU_DEP_1)
	v_sub_nc_u32_e32 v5, v5, v6
	v_cmp_lt_u32_e64 s0, s39, v5
	s_delay_alu instid0(VALU_DEP_1)
	s_and_b32 s3, s0, exec_lo
; %bb.44:
	s_or_b32 exec_lo, exec_lo, s5
	v_cndmask_b32_e64 v37, 0, 1, vcc_lo
	v_cndmask_b32_e64 v40, 0, 1, s3
.LBB1394_45:
	s_or_b32 exec_lo, exec_lo, s1
	v_dual_mov_b32 v36, 0 :: v_dual_add_nc_u32 v5, 2, v33
	v_mov_b32_e32 v38, 0
	s_mov_b32 s3, 0
	s_mov_b32 s1, exec_lo
	s_delay_alu instid0(VALU_DEP_2)
	v_cmpx_gt_u32_e64 s4, v5
	s_cbranch_execz .LBB1394_49
; %bb.46:
	v_add_nc_u32_e32 v5, s17, v18
	v_add_nc_u32_e32 v6, s19, v18
	s_mov_b32 s5, exec_lo
	s_delay_alu instid0(VALU_DEP_2) | instskip(NEXT) | instid1(VALU_DEP_2)
	v_mul_lo_u32 v5, v5, s16
	v_mul_lo_u32 v6, v6, s18
	s_delay_alu instid0(VALU_DEP_1) | instskip(NEXT) | instid1(VALU_DEP_1)
	v_sub_nc_u32_e32 v5, v5, v6
	v_cmp_lt_u32_e32 vcc_lo, s20, v5
	v_cmpx_ge_u32_e64 s20, v5
; %bb.47:
	v_add_nc_u32_e32 v5, s22, v18
	v_add_nc_u32_e32 v6, s38, v18
	s_delay_alu instid0(VALU_DEP_2) | instskip(NEXT) | instid1(VALU_DEP_2)
	v_mul_lo_u32 v5, v5, s21
	v_mul_lo_u32 v6, v6, s23
	s_delay_alu instid0(VALU_DEP_1) | instskip(NEXT) | instid1(VALU_DEP_1)
	v_sub_nc_u32_e32 v5, v5, v6
	v_cmp_lt_u32_e64 s0, s39, v5
	s_delay_alu instid0(VALU_DEP_1)
	s_and_b32 s3, s0, exec_lo
; %bb.48:
	s_or_b32 exec_lo, exec_lo, s5
	v_cndmask_b32_e64 v36, 0, 1, vcc_lo
	v_cndmask_b32_e64 v38, 0, 1, s3
.LBB1394_49:
	s_or_b32 exec_lo, exec_lo, s1
	v_add_nc_u32_e32 v5, 3, v33
	v_mov_b32_e32 v39, 0
	v_mov_b32_e32 v41, 0
	s_mov_b32 s3, 0
	s_mov_b32 s1, exec_lo
	v_cmpx_gt_u32_e64 s4, v5
	s_cbranch_execz .LBB1394_53
; %bb.50:
	v_add_nc_u32_e32 v5, s17, v19
	v_add_nc_u32_e32 v6, s19, v19
	s_mov_b32 s5, exec_lo
	s_delay_alu instid0(VALU_DEP_2) | instskip(NEXT) | instid1(VALU_DEP_2)
	v_mul_lo_u32 v5, v5, s16
	v_mul_lo_u32 v6, v6, s18
	s_delay_alu instid0(VALU_DEP_1) | instskip(NEXT) | instid1(VALU_DEP_1)
	v_sub_nc_u32_e32 v5, v5, v6
	v_cmp_lt_u32_e32 vcc_lo, s20, v5
	v_cmpx_ge_u32_e64 s20, v5
; %bb.51:
	v_add_nc_u32_e32 v5, s22, v19
	v_add_nc_u32_e32 v6, s38, v19
	s_delay_alu instid0(VALU_DEP_2) | instskip(NEXT) | instid1(VALU_DEP_2)
	v_mul_lo_u32 v5, v5, s21
	v_mul_lo_u32 v6, v6, s23
	s_delay_alu instid0(VALU_DEP_1) | instskip(NEXT) | instid1(VALU_DEP_1)
	v_sub_nc_u32_e32 v5, v5, v6
	v_cmp_lt_u32_e64 s0, s39, v5
	s_delay_alu instid0(VALU_DEP_1)
	s_and_b32 s3, s0, exec_lo
; %bb.52:
	s_or_b32 exec_lo, exec_lo, s5
	v_cndmask_b32_e64 v41, 0, 1, vcc_lo
	v_cndmask_b32_e64 v39, 0, 1, s3
.LBB1394_53:
	s_or_b32 exec_lo, exec_lo, s1
	v_dual_mov_b32 v42, 0 :: v_dual_add_nc_u32 v5, 4, v33
	v_mov_b32_e32 v43, 0
	s_mov_b32 s3, 0
	s_mov_b32 s1, exec_lo
	s_delay_alu instid0(VALU_DEP_2)
	v_cmpx_gt_u32_e64 s4, v5
	s_cbranch_execz .LBB1394_57
; %bb.54:
	v_add_nc_u32_e32 v5, s17, v16
	v_add_nc_u32_e32 v6, s19, v16
	s_mov_b32 s5, exec_lo
	s_delay_alu instid0(VALU_DEP_2) | instskip(NEXT) | instid1(VALU_DEP_2)
	v_mul_lo_u32 v5, v5, s16
	v_mul_lo_u32 v6, v6, s18
	s_delay_alu instid0(VALU_DEP_1) | instskip(NEXT) | instid1(VALU_DEP_1)
	v_sub_nc_u32_e32 v5, v5, v6
	v_cmp_lt_u32_e32 vcc_lo, s20, v5
	v_cmpx_ge_u32_e64 s20, v5
; %bb.55:
	v_add_nc_u32_e32 v5, s22, v16
	v_add_nc_u32_e32 v6, s38, v16
	s_delay_alu instid0(VALU_DEP_2) | instskip(NEXT) | instid1(VALU_DEP_2)
	v_mul_lo_u32 v5, v5, s21
	v_mul_lo_u32 v6, v6, s23
	s_delay_alu instid0(VALU_DEP_1) | instskip(NEXT) | instid1(VALU_DEP_1)
	v_sub_nc_u32_e32 v5, v5, v6
	v_cmp_lt_u32_e64 s0, s39, v5
	s_delay_alu instid0(VALU_DEP_1)
	s_and_b32 s3, s0, exec_lo
; %bb.56:
	s_or_b32 exec_lo, exec_lo, s5
	v_cndmask_b32_e64 v43, 0, 1, vcc_lo
	v_cndmask_b32_e64 v42, 0, 1, s3
.LBB1394_57:
	s_or_b32 exec_lo, exec_lo, s1
	v_dual_mov_b32 v44, 0 :: v_dual_add_nc_u32 v5, 5, v33
	v_mov_b32_e32 v45, 0
	s_mov_b32 s3, 0
	s_mov_b32 s1, exec_lo
	s_delay_alu instid0(VALU_DEP_2)
	v_cmpx_gt_u32_e64 s4, v5
	s_cbranch_execz .LBB1394_61
; %bb.58:
	v_add_nc_u32_e32 v5, s17, v17
	v_add_nc_u32_e32 v6, s19, v17
	s_mov_b32 s5, exec_lo
	s_delay_alu instid0(VALU_DEP_2) | instskip(NEXT) | instid1(VALU_DEP_2)
	v_mul_lo_u32 v5, v5, s16
	v_mul_lo_u32 v6, v6, s18
	s_delay_alu instid0(VALU_DEP_1) | instskip(NEXT) | instid1(VALU_DEP_1)
	v_sub_nc_u32_e32 v5, v5, v6
	v_cmp_lt_u32_e32 vcc_lo, s20, v5
	v_cmpx_ge_u32_e64 s20, v5
; %bb.59:
	v_add_nc_u32_e32 v5, s22, v17
	v_add_nc_u32_e32 v6, s38, v17
	s_delay_alu instid0(VALU_DEP_2) | instskip(NEXT) | instid1(VALU_DEP_2)
	v_mul_lo_u32 v5, v5, s21
	v_mul_lo_u32 v6, v6, s23
	s_delay_alu instid0(VALU_DEP_1) | instskip(NEXT) | instid1(VALU_DEP_1)
	v_sub_nc_u32_e32 v5, v5, v6
	v_cmp_lt_u32_e64 s0, s39, v5
	s_delay_alu instid0(VALU_DEP_1)
	s_and_b32 s3, s0, exec_lo
; %bb.60:
	s_or_b32 exec_lo, exec_lo, s5
	v_cndmask_b32_e64 v45, 0, 1, vcc_lo
	v_cndmask_b32_e64 v44, 0, 1, s3
.LBB1394_61:
	s_or_b32 exec_lo, exec_lo, s1
	v_dual_mov_b32 v46, 0 :: v_dual_add_nc_u32 v5, 6, v33
	v_mov_b32_e32 v47, 0
	s_mov_b32 s3, 0
	s_mov_b32 s1, exec_lo
	s_delay_alu instid0(VALU_DEP_2)
	v_cmpx_gt_u32_e64 s4, v5
	s_cbranch_execz .LBB1394_65
; %bb.62:
	v_add_nc_u32_e32 v5, s17, v14
	v_add_nc_u32_e32 v6, s19, v14
	s_mov_b32 s5, exec_lo
	s_delay_alu instid0(VALU_DEP_2) | instskip(NEXT) | instid1(VALU_DEP_2)
	v_mul_lo_u32 v5, v5, s16
	v_mul_lo_u32 v6, v6, s18
	s_delay_alu instid0(VALU_DEP_1) | instskip(NEXT) | instid1(VALU_DEP_1)
	v_sub_nc_u32_e32 v5, v5, v6
	v_cmp_lt_u32_e32 vcc_lo, s20, v5
	v_cmpx_ge_u32_e64 s20, v5
; %bb.63:
	v_add_nc_u32_e32 v5, s22, v14
	v_add_nc_u32_e32 v6, s38, v14
	s_delay_alu instid0(VALU_DEP_2) | instskip(NEXT) | instid1(VALU_DEP_2)
	v_mul_lo_u32 v5, v5, s21
	v_mul_lo_u32 v6, v6, s23
	s_delay_alu instid0(VALU_DEP_1) | instskip(NEXT) | instid1(VALU_DEP_1)
	v_sub_nc_u32_e32 v5, v5, v6
	v_cmp_lt_u32_e64 s0, s39, v5
	s_delay_alu instid0(VALU_DEP_1)
	s_and_b32 s3, s0, exec_lo
; %bb.64:
	s_or_b32 exec_lo, exec_lo, s5
	v_cndmask_b32_e64 v47, 0, 1, vcc_lo
	v_cndmask_b32_e64 v46, 0, 1, s3
.LBB1394_65:
	s_or_b32 exec_lo, exec_lo, s1
	v_dual_mov_b32 v48, 0 :: v_dual_add_nc_u32 v5, 7, v33
	v_mov_b32_e32 v49, 0
	s_mov_b32 s3, 0
	s_mov_b32 s1, exec_lo
	s_delay_alu instid0(VALU_DEP_2)
	v_cmpx_gt_u32_e64 s4, v5
	s_cbranch_execz .LBB1394_69
; %bb.66:
	v_add_nc_u32_e32 v5, s17, v15
	v_add_nc_u32_e32 v6, s19, v15
	s_mov_b32 s5, exec_lo
	s_delay_alu instid0(VALU_DEP_2) | instskip(NEXT) | instid1(VALU_DEP_2)
	v_mul_lo_u32 v5, v5, s16
	v_mul_lo_u32 v6, v6, s18
	s_delay_alu instid0(VALU_DEP_1) | instskip(NEXT) | instid1(VALU_DEP_1)
	v_sub_nc_u32_e32 v5, v5, v6
	v_cmp_lt_u32_e32 vcc_lo, s20, v5
	v_cmpx_ge_u32_e64 s20, v5
; %bb.67:
	v_add_nc_u32_e32 v5, s22, v15
	v_add_nc_u32_e32 v6, s38, v15
	s_delay_alu instid0(VALU_DEP_2) | instskip(NEXT) | instid1(VALU_DEP_2)
	v_mul_lo_u32 v5, v5, s21
	v_mul_lo_u32 v6, v6, s23
	s_delay_alu instid0(VALU_DEP_1) | instskip(NEXT) | instid1(VALU_DEP_1)
	v_sub_nc_u32_e32 v5, v5, v6
	v_cmp_lt_u32_e64 s0, s39, v5
	s_delay_alu instid0(VALU_DEP_1)
	s_and_b32 s3, s0, exec_lo
; %bb.68:
	s_or_b32 exec_lo, exec_lo, s5
	v_cndmask_b32_e64 v49, 0, 1, vcc_lo
	v_cndmask_b32_e64 v48, 0, 1, s3
.LBB1394_69:
	s_or_b32 exec_lo, exec_lo, s1
	v_dual_mov_b32 v50, 0 :: v_dual_add_nc_u32 v5, 8, v33
	v_mov_b32_e32 v51, 0
	s_mov_b32 s3, 0
	s_mov_b32 s1, exec_lo
	s_delay_alu instid0(VALU_DEP_2)
	v_cmpx_gt_u32_e64 s4, v5
	s_cbranch_execz .LBB1394_73
; %bb.70:
	v_add_nc_u32_e32 v5, s17, v12
	v_add_nc_u32_e32 v6, s19, v12
	s_mov_b32 s5, exec_lo
	s_delay_alu instid0(VALU_DEP_2) | instskip(NEXT) | instid1(VALU_DEP_2)
	v_mul_lo_u32 v5, v5, s16
	v_mul_lo_u32 v6, v6, s18
	s_delay_alu instid0(VALU_DEP_1) | instskip(NEXT) | instid1(VALU_DEP_1)
	v_sub_nc_u32_e32 v5, v5, v6
	v_cmp_lt_u32_e32 vcc_lo, s20, v5
	v_cmpx_ge_u32_e64 s20, v5
; %bb.71:
	v_add_nc_u32_e32 v5, s22, v12
	v_add_nc_u32_e32 v6, s38, v12
	s_delay_alu instid0(VALU_DEP_2) | instskip(NEXT) | instid1(VALU_DEP_2)
	v_mul_lo_u32 v5, v5, s21
	v_mul_lo_u32 v6, v6, s23
	s_delay_alu instid0(VALU_DEP_1) | instskip(NEXT) | instid1(VALU_DEP_1)
	v_sub_nc_u32_e32 v5, v5, v6
	v_cmp_lt_u32_e64 s0, s39, v5
	s_delay_alu instid0(VALU_DEP_1)
	s_and_b32 s3, s0, exec_lo
; %bb.72:
	s_or_b32 exec_lo, exec_lo, s5
	v_cndmask_b32_e64 v51, 0, 1, vcc_lo
	v_cndmask_b32_e64 v50, 0, 1, s3
.LBB1394_73:
	s_or_b32 exec_lo, exec_lo, s1
	v_dual_mov_b32 v52, 0 :: v_dual_add_nc_u32 v5, 9, v33
	v_mov_b32_e32 v54, 0
	s_mov_b32 s3, 0
	s_mov_b32 s1, exec_lo
	s_delay_alu instid0(VALU_DEP_2)
	v_cmpx_gt_u32_e64 s4, v5
	s_cbranch_execz .LBB1394_77
; %bb.74:
	v_add_nc_u32_e32 v5, s17, v13
	v_add_nc_u32_e32 v6, s19, v13
	s_mov_b32 s5, exec_lo
	s_delay_alu instid0(VALU_DEP_2) | instskip(NEXT) | instid1(VALU_DEP_2)
	v_mul_lo_u32 v5, v5, s16
	v_mul_lo_u32 v6, v6, s18
	s_delay_alu instid0(VALU_DEP_1) | instskip(NEXT) | instid1(VALU_DEP_1)
	v_sub_nc_u32_e32 v5, v5, v6
	v_cmp_lt_u32_e32 vcc_lo, s20, v5
	v_cmpx_ge_u32_e64 s20, v5
; %bb.75:
	v_add_nc_u32_e32 v5, s22, v13
	v_add_nc_u32_e32 v6, s38, v13
	s_delay_alu instid0(VALU_DEP_2) | instskip(NEXT) | instid1(VALU_DEP_2)
	v_mul_lo_u32 v5, v5, s21
	v_mul_lo_u32 v6, v6, s23
	s_delay_alu instid0(VALU_DEP_1) | instskip(NEXT) | instid1(VALU_DEP_1)
	v_sub_nc_u32_e32 v5, v5, v6
	v_cmp_lt_u32_e64 s0, s39, v5
	s_delay_alu instid0(VALU_DEP_1)
	s_and_b32 s3, s0, exec_lo
; %bb.76:
	s_or_b32 exec_lo, exec_lo, s5
	v_cndmask_b32_e64 v54, 0, 1, vcc_lo
	v_cndmask_b32_e64 v52, 0, 1, s3
.LBB1394_77:
	s_or_b32 exec_lo, exec_lo, s1
	v_add_nc_u32_e32 v5, 10, v33
	v_mov_b32_e32 v53, 0
	v_mov_b32_e32 v55, 0
	s_mov_b32 s3, 0
	s_mov_b32 s1, exec_lo
	v_cmpx_gt_u32_e64 s4, v5
	s_cbranch_execz .LBB1394_81
; %bb.78:
	v_add_nc_u32_e32 v5, s17, v10
	v_add_nc_u32_e32 v6, s19, v10
	s_mov_b32 s5, exec_lo
	s_delay_alu instid0(VALU_DEP_2) | instskip(NEXT) | instid1(VALU_DEP_2)
	v_mul_lo_u32 v5, v5, s16
	v_mul_lo_u32 v6, v6, s18
	s_delay_alu instid0(VALU_DEP_1) | instskip(NEXT) | instid1(VALU_DEP_1)
	v_sub_nc_u32_e32 v5, v5, v6
	v_cmp_lt_u32_e32 vcc_lo, s20, v5
	v_cmpx_ge_u32_e64 s20, v5
; %bb.79:
	v_add_nc_u32_e32 v5, s22, v10
	v_add_nc_u32_e32 v6, s38, v10
	s_delay_alu instid0(VALU_DEP_2) | instskip(NEXT) | instid1(VALU_DEP_2)
	v_mul_lo_u32 v5, v5, s21
	v_mul_lo_u32 v6, v6, s23
	s_delay_alu instid0(VALU_DEP_1) | instskip(NEXT) | instid1(VALU_DEP_1)
	v_sub_nc_u32_e32 v5, v5, v6
	v_cmp_lt_u32_e64 s0, s39, v5
	s_delay_alu instid0(VALU_DEP_1)
	s_and_b32 s3, s0, exec_lo
; %bb.80:
	s_or_b32 exec_lo, exec_lo, s5
	v_cndmask_b32_e64 v55, 0, 1, vcc_lo
	v_cndmask_b32_e64 v53, 0, 1, s3
.LBB1394_81:
	s_or_b32 exec_lo, exec_lo, s1
	v_dual_mov_b32 v56, 0 :: v_dual_add_nc_u32 v5, 11, v33
	v_mov_b32_e32 v57, 0
	s_mov_b32 s3, 0
	s_mov_b32 s1, exec_lo
	s_delay_alu instid0(VALU_DEP_2)
	v_cmpx_gt_u32_e64 s4, v5
	s_cbranch_execz .LBB1394_85
; %bb.82:
	v_add_nc_u32_e32 v5, s17, v11
	v_add_nc_u32_e32 v6, s19, v11
	s_mov_b32 s5, exec_lo
	s_delay_alu instid0(VALU_DEP_2) | instskip(NEXT) | instid1(VALU_DEP_2)
	v_mul_lo_u32 v5, v5, s16
	v_mul_lo_u32 v6, v6, s18
	s_delay_alu instid0(VALU_DEP_1) | instskip(NEXT) | instid1(VALU_DEP_1)
	v_sub_nc_u32_e32 v5, v5, v6
	v_cmp_lt_u32_e32 vcc_lo, s20, v5
	v_cmpx_ge_u32_e64 s20, v5
; %bb.83:
	v_add_nc_u32_e32 v5, s22, v11
	v_add_nc_u32_e32 v6, s38, v11
	s_delay_alu instid0(VALU_DEP_2) | instskip(NEXT) | instid1(VALU_DEP_2)
	v_mul_lo_u32 v5, v5, s21
	v_mul_lo_u32 v6, v6, s23
	s_delay_alu instid0(VALU_DEP_1) | instskip(NEXT) | instid1(VALU_DEP_1)
	v_sub_nc_u32_e32 v5, v5, v6
	v_cmp_lt_u32_e64 s0, s39, v5
	s_delay_alu instid0(VALU_DEP_1)
	s_and_b32 s3, s0, exec_lo
; %bb.84:
	s_or_b32 exec_lo, exec_lo, s5
	v_cndmask_b32_e64 v56, 0, 1, vcc_lo
	v_cndmask_b32_e64 v57, 0, 1, s3
.LBB1394_85:
	s_or_b32 exec_lo, exec_lo, s1
	v_add_nc_u32_e32 v5, 12, v33
	s_mov_b32 s27, 0
	s_mov_b32 s33, 0
	s_mov_b32 s0, exec_lo
	s_delay_alu instid0(VALU_DEP_1)
	v_cmpx_gt_u32_e64 s4, v5
	s_cbranch_execz .LBB1394_89
; %bb.86:
	v_add_nc_u32_e32 v5, s17, v32
	v_add_nc_u32_e32 v6, s19, v32
	s_mov_b32 s3, -1
	s_mov_b32 s5, 0
	s_mov_b32 s1, exec_lo
	v_mul_lo_u32 v5, v5, s16
	v_mul_lo_u32 v6, v6, s18
	s_delay_alu instid0(VALU_DEP_1) | instskip(NEXT) | instid1(VALU_DEP_1)
	v_sub_nc_u32_e32 v5, v5, v6
	v_cmpx_ge_u32_e64 s20, v5
; %bb.87:
	v_add_nc_u32_e32 v5, s22, v32
	v_add_nc_u32_e32 v6, s38, v32
	s_xor_b32 s3, exec_lo, -1
	s_delay_alu instid0(VALU_DEP_2) | instskip(NEXT) | instid1(VALU_DEP_2)
	v_mul_lo_u32 v5, v5, s21
	v_mul_lo_u32 v6, v6, s23
	s_delay_alu instid0(VALU_DEP_1) | instskip(NEXT) | instid1(VALU_DEP_1)
	v_sub_nc_u32_e32 v5, v5, v6
	v_cmp_lt_u32_e32 vcc_lo, s39, v5
	s_and_b32 s5, vcc_lo, exec_lo
; %bb.88:
	s_or_b32 exec_lo, exec_lo, s1
	s_delay_alu instid0(SALU_CYCLE_1)
	s_and_b32 s33, s5, exec_lo
	s_and_b32 s27, s3, exec_lo
.LBB1394_89:
	s_or_b32 exec_lo, exec_lo, s0
.LBB1394_90:
	v_and_b32_e32 v80, 0xff, v34
	v_and_b32_e32 v81, 0xff, v35
	;; [unrolled: 1-line block ×10, first 2 shown]
	v_add3_u32 v5, v76, v78, v80
	v_add3_u32 v6, v77, v79, v81
	v_and_b32_e32 v70, 0xff, v45
	v_and_b32_e32 v71, 0xff, v44
	v_and_b32_e32 v64, 0xff, v47
	v_and_b32_e32 v65, 0xff, v46
	v_add3_u32 v5, v5, v74, v72
	v_add3_u32 v6, v6, v75, v73
	v_and_b32_e32 v68, 0xff, v49
	v_and_b32_e32 v69, 0xff, v48
	v_and_b32_e32 v66, 0xff, v51
	v_and_b32_e32 v67, 0xff, v50
	;; [unrolled: 6-line block ×3, first 2 shown]
	v_add3_u32 v5, v5, v68, v66
	v_add3_u32 v6, v6, v69, v67
	v_mbcnt_lo_u32_b32 v82, -1, 0
	v_and_b32_e32 v58, 0xff, v56
	v_and_b32_e32 v59, 0xff, v57
	v_cndmask_b32_e64 v7, 0, 1, s33
	v_add3_u32 v5, v5, v61, v60
	v_cndmask_b32_e64 v8, 0, 1, s27
	v_add3_u32 v6, v6, v62, v63
	v_and_b32_e32 v86, 15, v82
	v_and_b32_e32 v85, 16, v82
	v_lshrrev_b32_e32 v83, 5, v0
	v_add3_u32 v87, v5, v58, v8
	v_add3_u32 v88, v6, v59, v7
	v_cmp_eq_u32_e64 s1, 0, v86
	v_cmp_lt_u32_e64 s0, 1, v86
	v_cmp_lt_u32_e64 s3, 3, v86
	v_cmp_lt_u32_e32 vcc_lo, 7, v86
	v_or_b32_e32 v84, 31, v0
	s_cmp_lg_u32 s26, 0
	s_mov_b32 s5, -1
	s_cbranch_scc0 .LBB1394_118
; %bb.91:
	v_mov_b32_dpp v5, v88 row_shr:1 row_mask:0xf bank_mask:0xf
	v_mov_b32_dpp v6, v87 row_shr:1 row_mask:0xf bank_mask:0xf
	s_delay_alu instid0(VALU_DEP_2) | instskip(NEXT) | instid1(VALU_DEP_2)
	v_add_nc_u32_e32 v5, v5, v88
	v_add_nc_u32_e32 v6, v6, v87
	s_delay_alu instid0(VALU_DEP_2) | instskip(NEXT) | instid1(VALU_DEP_2)
	v_cndmask_b32_e64 v5, v5, v88, s1
	v_cndmask_b32_e64 v6, v6, v87, s1
	s_delay_alu instid0(VALU_DEP_2) | instskip(NEXT) | instid1(VALU_DEP_2)
	v_mov_b32_dpp v7, v5 row_shr:2 row_mask:0xf bank_mask:0xf
	v_mov_b32_dpp v8, v6 row_shr:2 row_mask:0xf bank_mask:0xf
	s_delay_alu instid0(VALU_DEP_2) | instskip(NEXT) | instid1(VALU_DEP_1)
	v_add_nc_u32_e32 v7, v5, v7
	v_cndmask_b32_e64 v5, v5, v7, s0
	s_delay_alu instid0(VALU_DEP_1) | instskip(NEXT) | instid1(VALU_DEP_1)
	v_mov_b32_dpp v7, v5 row_shr:4 row_mask:0xf bank_mask:0xf
	v_add_nc_u32_e32 v7, v5, v7
	s_delay_alu instid0(VALU_DEP_1) | instskip(NEXT) | instid1(VALU_DEP_1)
	v_cndmask_b32_e64 v5, v5, v7, s3
	v_mov_b32_dpp v7, v5 row_shr:8 row_mask:0xf bank_mask:0xf
	s_delay_alu instid0(VALU_DEP_1) | instskip(NEXT) | instid1(VALU_DEP_1)
	v_add_nc_u32_e32 v7, v5, v7
	v_dual_cndmask_b32 v5, v5, v7 :: v_dual_add_nc_u32 v8, v6, v8
	s_delay_alu instid0(VALU_DEP_1) | instskip(NEXT) | instid1(VALU_DEP_1)
	v_cndmask_b32_e64 v6, v6, v8, s0
	v_mov_b32_dpp v8, v6 row_shr:4 row_mask:0xf bank_mask:0xf
	s_delay_alu instid0(VALU_DEP_1) | instskip(NEXT) | instid1(VALU_DEP_1)
	v_add_nc_u32_e32 v8, v6, v8
	v_cndmask_b32_e64 v6, v6, v8, s3
	s_mov_b32 s3, exec_lo
	s_delay_alu instid0(VALU_DEP_1) | instskip(NEXT) | instid1(VALU_DEP_1)
	v_mov_b32_dpp v8, v6 row_shr:8 row_mask:0xf bank_mask:0xf
	v_add_nc_u32_e32 v8, v6, v8
	s_delay_alu instid0(VALU_DEP_1)
	v_cndmask_b32_e32 v7, v6, v8, vcc_lo
	ds_swizzle_b32 v6, v5 offset:swizzle(BROADCAST,32,15)
	v_cmp_eq_u32_e32 vcc_lo, 0, v85
	s_waitcnt lgkmcnt(0)
	v_add_nc_u32_e32 v6, v5, v6
	ds_swizzle_b32 v8, v7 offset:swizzle(BROADCAST,32,15)
	v_cndmask_b32_e32 v6, v6, v5, vcc_lo
	s_waitcnt lgkmcnt(0)
	v_add_nc_u32_e32 v8, v7, v8
	s_delay_alu instid0(VALU_DEP_1)
	v_cndmask_b32_e32 v5, v8, v7, vcc_lo
	v_cmpx_eq_u32_e64 v84, v0
	s_cbranch_execz .LBB1394_93
; %bb.92:
	v_lshlrev_b32_e32 v7, 3, v83
	ds_store_b64 v7, v[5:6]
.LBB1394_93:
	s_or_b32 exec_lo, exec_lo, s3
	s_delay_alu instid0(SALU_CYCLE_1)
	s_mov_b32 s3, exec_lo
	s_waitcnt lgkmcnt(0)
	s_barrier
	buffer_gl0_inv
	v_cmpx_gt_u32_e32 8, v0
	s_cbranch_execz .LBB1394_95
; %bb.94:
	v_lshlrev_b32_e32 v9, 3, v0
	ds_load_b64 v[7:8], v9
	s_waitcnt lgkmcnt(0)
	v_mov_b32_dpp v22, v7 row_shr:1 row_mask:0xf bank_mask:0xf
	v_mov_b32_dpp v23, v8 row_shr:1 row_mask:0xf bank_mask:0xf
	s_delay_alu instid0(VALU_DEP_2) | instskip(SKIP_1) | instid1(VALU_DEP_3)
	v_add_nc_u32_e32 v22, v22, v7
	v_and_b32_e32 v24, 7, v82
	v_add_nc_u32_e32 v23, v23, v8
	s_delay_alu instid0(VALU_DEP_2) | instskip(NEXT) | instid1(VALU_DEP_2)
	v_cmp_eq_u32_e32 vcc_lo, 0, v24
	v_dual_cndmask_b32 v8, v23, v8 :: v_dual_cndmask_b32 v7, v22, v7
	v_cmp_lt_u32_e32 vcc_lo, 1, v24
	s_delay_alu instid0(VALU_DEP_2) | instskip(NEXT) | instid1(VALU_DEP_3)
	v_mov_b32_dpp v23, v8 row_shr:2 row_mask:0xf bank_mask:0xf
	v_mov_b32_dpp v22, v7 row_shr:2 row_mask:0xf bank_mask:0xf
	s_delay_alu instid0(VALU_DEP_2) | instskip(NEXT) | instid1(VALU_DEP_2)
	v_add_nc_u32_e32 v23, v8, v23
	v_add_nc_u32_e32 v22, v7, v22
	s_delay_alu instid0(VALU_DEP_1) | instskip(SKIP_1) | instid1(VALU_DEP_2)
	v_dual_cndmask_b32 v8, v8, v23 :: v_dual_cndmask_b32 v7, v7, v22
	v_cmp_lt_u32_e32 vcc_lo, 3, v24
	v_mov_b32_dpp v23, v8 row_shr:4 row_mask:0xf bank_mask:0xf
	s_delay_alu instid0(VALU_DEP_3) | instskip(NEXT) | instid1(VALU_DEP_1)
	v_mov_b32_dpp v22, v7 row_shr:4 row_mask:0xf bank_mask:0xf
	v_dual_cndmask_b32 v23, 0, v23 :: v_dual_cndmask_b32 v22, 0, v22
	s_delay_alu instid0(VALU_DEP_1) | instskip(NEXT) | instid1(VALU_DEP_2)
	v_add_nc_u32_e32 v8, v23, v8
	v_add_nc_u32_e32 v7, v22, v7
	ds_store_b64 v9, v[7:8]
.LBB1394_95:
	s_or_b32 exec_lo, exec_lo, s3
	v_cmp_gt_u32_e32 vcc_lo, 32, v0
	v_cmp_lt_u32_e64 s3, 31, v0
	s_waitcnt lgkmcnt(0)
	s_barrier
	buffer_gl0_inv
                                        ; implicit-def: $vgpr23
	s_and_saveexec_b32 s5, s3
	s_delay_alu instid0(SALU_CYCLE_1)
	s_xor_b32 s3, exec_lo, s5
	s_cbranch_execz .LBB1394_97
; %bb.96:
	v_lshl_add_u32 v7, v83, 3, -8
	ds_load_b64 v[22:23], v7
	s_waitcnt lgkmcnt(0)
	v_add_nc_u32_e32 v6, v23, v6
	v_add_nc_u32_e32 v5, v22, v5
.LBB1394_97:
	s_and_not1_saveexec_b32 s3, s3
; %bb.98:
                                        ; implicit-def: $vgpr22
; %bb.99:
	s_delay_alu instid0(SALU_CYCLE_1) | instskip(SKIP_1) | instid1(VALU_DEP_1)
	s_or_b32 exec_lo, exec_lo, s3
	v_add_nc_u32_e32 v7, -1, v82
	v_cmp_gt_i32_e64 s3, 0, v7
	s_delay_alu instid0(VALU_DEP_1) | instskip(SKIP_1) | instid1(VALU_DEP_2)
	v_cndmask_b32_e64 v7, v7, v82, s3
	v_cmp_eq_u32_e64 s3, 0, v82
	v_lshlrev_b32_e32 v7, 2, v7
	ds_bpermute_b32 v89, v7, v5
	ds_bpermute_b32 v90, v7, v6
	s_and_saveexec_b32 s5, vcc_lo
	s_cbranch_execz .LBB1394_117
; %bb.100:
	v_mov_b32_e32 v8, 0
	ds_load_b64 v[5:6], v8 offset:56
	s_waitcnt lgkmcnt(0)
	v_readfirstlane_b32 s6, v6
	s_and_saveexec_b32 s7, s3
	s_cbranch_execz .LBB1394_102
; %bb.101:
	s_add_i32 s8, s26, 32
	s_mov_b32 s9, 0
	v_mov_b32_e32 v7, 1
	s_lshl_b64 s[10:11], s[8:9], 4
	s_mov_b32 s16, s9
	s_add_u32 s10, s36, s10
	s_addc_u32 s11, s37, s11
	s_and_b32 s17, s6, 0xff000000
	s_and_b32 s19, s6, 0xff0000
	s_mov_b32 s18, s9
	v_dual_mov_b32 v25, s11 :: v_dual_mov_b32 v24, s10
	s_or_b64 s[16:17], s[18:19], s[16:17]
	s_and_b32 s19, s6, 0xff00
	s_delay_alu instid0(SALU_CYCLE_1) | instskip(SKIP_1) | instid1(SALU_CYCLE_1)
	s_or_b64 s[16:17], s[16:17], s[18:19]
	s_and_b32 s19, s6, 0xff
	s_or_b64 s[8:9], s[16:17], s[18:19]
	s_delay_alu instid0(SALU_CYCLE_1)
	v_mov_b32_e32 v6, s9
	;;#ASMSTART
	global_store_dwordx4 v[24:25], v[5:8] off	
s_waitcnt vmcnt(0)
	;;#ASMEND
.LBB1394_102:
	s_or_b32 exec_lo, exec_lo, s7
	v_xad_u32 v24, v82, -1, s26
	s_mov_b32 s8, 0
	s_mov_b32 s7, exec_lo
	s_delay_alu instid0(VALU_DEP_1) | instskip(NEXT) | instid1(VALU_DEP_1)
	v_add_nc_u32_e32 v7, 32, v24
	v_lshlrev_b64 v[6:7], 4, v[7:8]
	s_delay_alu instid0(VALU_DEP_1) | instskip(NEXT) | instid1(VALU_DEP_2)
	v_add_co_u32 v25, vcc_lo, s36, v6
	v_add_co_ci_u32_e32 v26, vcc_lo, s37, v7, vcc_lo
	;;#ASMSTART
	global_load_dwordx4 v[6:9], v[25:26] off glc	
s_waitcnt vmcnt(0)
	;;#ASMEND
	v_and_b32_e32 v9, 0xff, v7
	v_and_b32_e32 v27, 0xff00, v7
	v_or3_b32 v6, v6, 0, 0
	v_and_b32_e32 v28, 0xff000000, v7
	v_and_b32_e32 v7, 0xff0000, v7
	s_delay_alu instid0(VALU_DEP_4) | instskip(SKIP_2) | instid1(VALU_DEP_3)
	v_or3_b32 v9, 0, v9, v27
	v_and_b32_e32 v27, 0xff, v8
	v_or3_b32 v6, v6, 0, 0
	v_or3_b32 v7, v9, v7, v28
	s_delay_alu instid0(VALU_DEP_3)
	v_cmpx_eq_u16_e32 0, v27
	s_cbranch_execz .LBB1394_105
.LBB1394_103:                           ; =>This Inner Loop Header: Depth=1
	;;#ASMSTART
	global_load_dwordx4 v[6:9], v[25:26] off glc	
s_waitcnt vmcnt(0)
	;;#ASMEND
	v_and_b32_e32 v9, 0xff, v8
	s_delay_alu instid0(VALU_DEP_1) | instskip(SKIP_1) | instid1(SALU_CYCLE_1)
	v_cmp_ne_u16_e32 vcc_lo, 0, v9
	s_or_b32 s8, vcc_lo, s8
	s_and_not1_b32 exec_lo, exec_lo, s8
	s_cbranch_execnz .LBB1394_103
; %bb.104:
	s_or_b32 exec_lo, exec_lo, s8
.LBB1394_105:
	s_delay_alu instid0(SALU_CYCLE_1) | instskip(SKIP_3) | instid1(VALU_DEP_1)
	s_or_b32 exec_lo, exec_lo, s7
	v_cmp_ne_u32_e32 vcc_lo, 31, v82
	v_lshlrev_b32_e64 v92, v82, -1
	v_add_co_ci_u32_e32 v9, vcc_lo, 0, v82, vcc_lo
	v_lshlrev_b32_e32 v91, 2, v9
	ds_bpermute_b32 v25, v91, v7
	ds_bpermute_b32 v9, v91, v6
	s_waitcnt lgkmcnt(1)
	v_add_nc_u32_e32 v25, v25, v7
	v_and_b32_e32 v26, 0xff, v8
	s_waitcnt lgkmcnt(0)
	v_add_nc_u32_e32 v9, v9, v6
	s_delay_alu instid0(VALU_DEP_2) | instskip(SKIP_2) | instid1(VALU_DEP_2)
	v_cmp_eq_u16_e32 vcc_lo, 2, v26
	v_and_or_b32 v26, vcc_lo, v92, 0x80000000
	v_cmp_gt_u32_e32 vcc_lo, 30, v82
	v_ctz_i32_b32_e32 v26, v26
	v_cndmask_b32_e64 v27, 0, 1, vcc_lo
	s_delay_alu instid0(VALU_DEP_2) | instskip(NEXT) | instid1(VALU_DEP_2)
	v_cmp_lt_u32_e32 vcc_lo, v82, v26
	v_dual_cndmask_b32 v6, v6, v9 :: v_dual_lshlrev_b32 v27, 1, v27
	s_delay_alu instid0(VALU_DEP_1)
	v_add_lshl_u32 v93, v27, v82, 2
	v_cndmask_b32_e32 v7, v7, v25, vcc_lo
	v_cmp_gt_u32_e32 vcc_lo, 28, v82
	ds_bpermute_b32 v9, v93, v6
	ds_bpermute_b32 v25, v93, v7
	v_cndmask_b32_e64 v27, 0, 1, vcc_lo
	s_waitcnt lgkmcnt(1)
	v_add_nc_u32_e32 v9, v6, v9
	s_waitcnt lgkmcnt(0)
	v_add_nc_u32_e32 v25, v7, v25
	v_add_nc_u32_e32 v94, 2, v82
	s_delay_alu instid0(VALU_DEP_1) | instskip(NEXT) | instid1(VALU_DEP_3)
	v_cmp_gt_u32_e32 vcc_lo, v94, v26
	v_cndmask_b32_e32 v7, v25, v7, vcc_lo
	v_dual_cndmask_b32 v6, v9, v6 :: v_dual_lshlrev_b32 v27, 2, v27
	v_cmp_gt_u32_e32 vcc_lo, 24, v82
	s_delay_alu instid0(VALU_DEP_2) | instskip(SKIP_4) | instid1(VALU_DEP_1)
	v_add_lshl_u32 v95, v27, v82, 2
	v_cndmask_b32_e64 v27, 0, 1, vcc_lo
	ds_bpermute_b32 v25, v95, v7
	ds_bpermute_b32 v9, v95, v6
	v_lshlrev_b32_e32 v27, 3, v27
	v_add_lshl_u32 v97, v27, v82, 2
	s_waitcnt lgkmcnt(1)
	v_add_nc_u32_e32 v25, v7, v25
	v_add_nc_u32_e32 v96, 4, v82
	s_waitcnt lgkmcnt(0)
	v_add_nc_u32_e32 v9, v6, v9
	s_delay_alu instid0(VALU_DEP_2) | instskip(SKIP_1) | instid1(VALU_DEP_3)
	v_cmp_gt_u32_e32 vcc_lo, v96, v26
	v_cndmask_b32_e32 v7, v25, v7, vcc_lo
	v_cndmask_b32_e32 v6, v9, v6, vcc_lo
	v_cmp_gt_u32_e32 vcc_lo, 16, v82
	ds_bpermute_b32 v25, v97, v7
	ds_bpermute_b32 v9, v97, v6
	v_cndmask_b32_e64 v27, 0, 1, vcc_lo
	s_delay_alu instid0(VALU_DEP_1) | instskip(NEXT) | instid1(VALU_DEP_1)
	v_lshlrev_b32_e32 v27, 4, v27
	v_add_lshl_u32 v99, v27, v82, 2
	s_waitcnt lgkmcnt(1)
	v_add_nc_u32_e32 v25, v7, v25
	v_add_nc_u32_e32 v98, 8, v82
	s_waitcnt lgkmcnt(0)
	v_add_nc_u32_e32 v9, v6, v9
	s_delay_alu instid0(VALU_DEP_2) | instskip(SKIP_1) | instid1(VALU_DEP_3)
	v_cmp_gt_u32_e32 vcc_lo, v98, v26
	v_cndmask_b32_e32 v7, v25, v7, vcc_lo
	v_cndmask_b32_e32 v6, v9, v6, vcc_lo
	ds_bpermute_b32 v25, v99, v7
	ds_bpermute_b32 v9, v99, v6
	v_add_nc_u32_e32 v100, 16, v82
	s_delay_alu instid0(VALU_DEP_1) | instskip(SKIP_2) | instid1(VALU_DEP_1)
	v_cmp_le_u32_e32 vcc_lo, v100, v26
	s_waitcnt lgkmcnt(0)
	v_cndmask_b32_e32 v9, 0, v9, vcc_lo
	v_dual_cndmask_b32 v25, 0, v25 :: v_dual_add_nc_u32 v6, v9, v6
	s_delay_alu instid0(VALU_DEP_1)
	v_add_nc_u32_e32 v7, v25, v7
	v_mov_b32_e32 v25, 0
	s_branch .LBB1394_107
.LBB1394_106:                           ;   in Loop: Header=BB1394_107 Depth=1
	s_or_b32 exec_lo, exec_lo, s7
	ds_bpermute_b32 v9, v91, v6
	ds_bpermute_b32 v28, v91, v7
	v_subrev_nc_u32_e32 v24, 32, v24
	s_waitcnt lgkmcnt(1)
	v_add_nc_u32_e32 v9, v9, v6
	v_and_b32_e32 v29, 0xff, v8
	s_waitcnt lgkmcnt(0)
	v_add_nc_u32_e32 v28, v28, v7
	s_delay_alu instid0(VALU_DEP_2) | instskip(SKIP_1) | instid1(VALU_DEP_1)
	v_cmp_eq_u16_e32 vcc_lo, 2, v29
	v_and_or_b32 v29, vcc_lo, v92, 0x80000000
	v_ctz_i32_b32_e32 v29, v29
	s_delay_alu instid0(VALU_DEP_1)
	v_cmp_lt_u32_e32 vcc_lo, v82, v29
	v_cndmask_b32_e32 v6, v6, v9, vcc_lo
	ds_bpermute_b32 v9, v93, v6
	s_waitcnt lgkmcnt(0)
	v_add_nc_u32_e32 v9, v6, v9
	v_cndmask_b32_e32 v7, v7, v28, vcc_lo
	v_cmp_gt_u32_e32 vcc_lo, v94, v29
	s_delay_alu instid0(VALU_DEP_3)
	v_cndmask_b32_e32 v6, v9, v6, vcc_lo
	ds_bpermute_b32 v28, v93, v7
	ds_bpermute_b32 v9, v95, v6
	s_waitcnt lgkmcnt(1)
	v_add_nc_u32_e32 v28, v7, v28
	s_waitcnt lgkmcnt(0)
	v_add_nc_u32_e32 v9, v6, v9
	s_delay_alu instid0(VALU_DEP_2) | instskip(SKIP_1) | instid1(VALU_DEP_3)
	v_cndmask_b32_e32 v7, v28, v7, vcc_lo
	v_cmp_gt_u32_e32 vcc_lo, v96, v29
	v_cndmask_b32_e32 v6, v9, v6, vcc_lo
	ds_bpermute_b32 v28, v95, v7
	ds_bpermute_b32 v9, v97, v6
	s_waitcnt lgkmcnt(1)
	v_add_nc_u32_e32 v28, v7, v28
	s_waitcnt lgkmcnt(0)
	v_add_nc_u32_e32 v9, v6, v9
	s_delay_alu instid0(VALU_DEP_2) | instskip(SKIP_1) | instid1(VALU_DEP_3)
	v_cndmask_b32_e32 v7, v28, v7, vcc_lo
	v_cmp_gt_u32_e32 vcc_lo, v98, v29
	v_cndmask_b32_e32 v6, v9, v6, vcc_lo
	ds_bpermute_b32 v28, v97, v7
	ds_bpermute_b32 v9, v99, v6
	s_waitcnt lgkmcnt(1)
	v_add_nc_u32_e32 v28, v7, v28
	s_delay_alu instid0(VALU_DEP_1) | instskip(SKIP_4) | instid1(VALU_DEP_1)
	v_cndmask_b32_e32 v7, v28, v7, vcc_lo
	v_cmp_le_u32_e32 vcc_lo, v100, v29
	ds_bpermute_b32 v28, v99, v7
	s_waitcnt lgkmcnt(1)
	v_cndmask_b32_e32 v9, 0, v9, vcc_lo
	v_add3_u32 v6, v6, v26, v9
	s_waitcnt lgkmcnt(0)
	v_cndmask_b32_e32 v28, 0, v28, vcc_lo
	s_delay_alu instid0(VALU_DEP_1)
	v_add3_u32 v7, v7, v27, v28
.LBB1394_107:                           ; =>This Loop Header: Depth=1
                                        ;     Child Loop BB1394_110 Depth 2
	s_delay_alu instid0(VALU_DEP_1) | instskip(SKIP_1) | instid1(VALU_DEP_2)
	v_dual_mov_b32 v27, v7 :: v_dual_and_b32 v8, 0xff, v8
	v_mov_b32_e32 v26, v6
	v_cmp_ne_u16_e32 vcc_lo, 2, v8
	v_cndmask_b32_e64 v8, 0, 1, vcc_lo
	;;#ASMSTART
	;;#ASMEND
	s_delay_alu instid0(VALU_DEP_1)
	v_cmp_ne_u32_e32 vcc_lo, 0, v8
	s_cmp_lg_u32 vcc_lo, exec_lo
	s_cbranch_scc1 .LBB1394_112
; %bb.108:                              ;   in Loop: Header=BB1394_107 Depth=1
	v_lshlrev_b64 v[6:7], 4, v[24:25]
	s_mov_b32 s7, exec_lo
	s_delay_alu instid0(VALU_DEP_1) | instskip(NEXT) | instid1(VALU_DEP_2)
	v_add_co_u32 v28, vcc_lo, s36, v6
	v_add_co_ci_u32_e32 v29, vcc_lo, s37, v7, vcc_lo
	;;#ASMSTART
	global_load_dwordx4 v[6:9], v[28:29] off glc	
s_waitcnt vmcnt(0)
	;;#ASMEND
	v_and_b32_e32 v9, 0xff, v7
	v_and_b32_e32 v101, 0xff00, v7
	v_or3_b32 v6, v6, 0, 0
	v_and_b32_e32 v102, 0xff000000, v7
	v_and_b32_e32 v7, 0xff0000, v7
	s_delay_alu instid0(VALU_DEP_4) | instskip(SKIP_2) | instid1(VALU_DEP_3)
	v_or3_b32 v9, 0, v9, v101
	v_and_b32_e32 v101, 0xff, v8
	v_or3_b32 v6, v6, 0, 0
	v_or3_b32 v7, v9, v7, v102
	s_delay_alu instid0(VALU_DEP_3)
	v_cmpx_eq_u16_e32 0, v101
	s_cbranch_execz .LBB1394_106
; %bb.109:                              ;   in Loop: Header=BB1394_107 Depth=1
	s_mov_b32 s8, 0
.LBB1394_110:                           ;   Parent Loop BB1394_107 Depth=1
                                        ; =>  This Inner Loop Header: Depth=2
	;;#ASMSTART
	global_load_dwordx4 v[6:9], v[28:29] off glc	
s_waitcnt vmcnt(0)
	;;#ASMEND
	v_and_b32_e32 v9, 0xff, v8
	s_delay_alu instid0(VALU_DEP_1) | instskip(SKIP_1) | instid1(SALU_CYCLE_1)
	v_cmp_ne_u16_e32 vcc_lo, 0, v9
	s_or_b32 s8, vcc_lo, s8
	s_and_not1_b32 exec_lo, exec_lo, s8
	s_cbranch_execnz .LBB1394_110
; %bb.111:                              ;   in Loop: Header=BB1394_107 Depth=1
	s_or_b32 exec_lo, exec_lo, s8
	s_branch .LBB1394_106
.LBB1394_112:                           ;   in Loop: Header=BB1394_107 Depth=1
                                        ; implicit-def: $vgpr8
                                        ; implicit-def: $vgpr6_vgpr7
	s_cbranch_execz .LBB1394_107
; %bb.113:
	s_and_saveexec_b32 s7, s3
	s_cbranch_execnz .LBB1394_356
; %bb.114:
	s_or_b32 exec_lo, exec_lo, s7
	s_and_saveexec_b32 s7, s3
	s_cbranch_execnz .LBB1394_357
.LBB1394_115:
	s_or_b32 exec_lo, exec_lo, s7
	s_delay_alu instid0(SALU_CYCLE_1)
	s_and_b32 exec_lo, exec_lo, s2
	s_cbranch_execz .LBB1394_117
.LBB1394_116:
	v_mov_b32_e32 v5, 0
	ds_store_b64 v5, v[26:27] offset:56
.LBB1394_117:
	s_or_b32 exec_lo, exec_lo, s5
	s_waitcnt lgkmcnt(1)
	v_cndmask_b32_e64 v22, v89, v22, s3
	v_mov_b32_e32 v5, 0
	s_waitcnt lgkmcnt(0)
	s_barrier
	buffer_gl0_inv
	v_add_nc_u32_e64 v7, 0x3400, 0
	ds_load_b64 v[24:25], v5 offset:56
	s_waitcnt lgkmcnt(0)
	s_barrier
	buffer_gl0_inv
	ds_load_2addr_b32 v[5:6], v7 offset1:2
	ds_load_2addr_b32 v[7:8], v7 offset0:4 offset1:6
	v_cndmask_b32_e64 v9, v90, v23, s3
	v_add_nc_u32_e32 v22, v24, v22
	s_delay_alu instid0(VALU_DEP_2) | instskip(NEXT) | instid1(VALU_DEP_2)
	v_add_nc_u32_e32 v9, v25, v9
	v_cndmask_b32_e64 v22, v22, v24, s2
	s_delay_alu instid0(VALU_DEP_2)
	v_cndmask_b32_e64 v9, v9, v25, s2
	s_branch .LBB1394_128
.LBB1394_118:
                                        ; implicit-def: $vgpr9
                                        ; implicit-def: $vgpr7
                                        ; implicit-def: $vgpr5
                                        ; implicit-def: $vgpr22_vgpr23
	s_and_b32 vcc_lo, exec_lo, s5
	s_cbranch_vccz .LBB1394_128
; %bb.119:
	s_waitcnt lgkmcnt(1)
	v_mov_b32_dpp v6, v88 row_shr:1 row_mask:0xf bank_mask:0xf
	v_cmp_lt_u32_e32 vcc_lo, 3, v86
	v_mov_b32_dpp v5, v87 row_shr:1 row_mask:0xf bank_mask:0xf
	s_delay_alu instid0(VALU_DEP_3) | instskip(NEXT) | instid1(VALU_DEP_1)
	v_add_nc_u32_e32 v6, v6, v88
	v_cndmask_b32_e64 v6, v6, v88, s1
	s_waitcnt lgkmcnt(0)
	s_delay_alu instid0(VALU_DEP_1) | instskip(NEXT) | instid1(VALU_DEP_1)
	v_mov_b32_dpp v8, v6 row_shr:2 row_mask:0xf bank_mask:0xf
	v_add_nc_u32_e32 v8, v6, v8
	s_delay_alu instid0(VALU_DEP_1) | instskip(NEXT) | instid1(VALU_DEP_1)
	v_cndmask_b32_e64 v6, v6, v8, s0
	v_mov_b32_dpp v8, v6 row_shr:4 row_mask:0xf bank_mask:0xf
	s_delay_alu instid0(VALU_DEP_1) | instskip(NEXT) | instid1(VALU_DEP_1)
	v_add_nc_u32_e32 v8, v6, v8
	v_dual_cndmask_b32 v6, v6, v8 :: v_dual_add_nc_u32 v5, v5, v87
	s_delay_alu instid0(VALU_DEP_1) | instskip(NEXT) | instid1(VALU_DEP_2)
	v_cndmask_b32_e64 v5, v5, v87, s1
	v_mov_b32_dpp v8, v6 row_shr:8 row_mask:0xf bank_mask:0xf
	s_delay_alu instid0(VALU_DEP_2) | instskip(NEXT) | instid1(VALU_DEP_2)
	v_mov_b32_dpp v7, v5 row_shr:2 row_mask:0xf bank_mask:0xf
	v_add_nc_u32_e32 v8, v6, v8
	s_delay_alu instid0(VALU_DEP_2) | instskip(NEXT) | instid1(VALU_DEP_1)
	v_add_nc_u32_e32 v7, v5, v7
	v_cndmask_b32_e64 v5, v5, v7, s0
	s_mov_b32 s0, exec_lo
	s_delay_alu instid0(VALU_DEP_1) | instskip(NEXT) | instid1(VALU_DEP_1)
	v_mov_b32_dpp v7, v5 row_shr:4 row_mask:0xf bank_mask:0xf
	v_add_nc_u32_e32 v7, v5, v7
	s_delay_alu instid0(VALU_DEP_1) | instskip(SKIP_1) | instid1(VALU_DEP_2)
	v_cndmask_b32_e32 v5, v5, v7, vcc_lo
	v_cmp_lt_u32_e32 vcc_lo, 7, v86
	v_mov_b32_dpp v7, v5 row_shr:8 row_mask:0xf bank_mask:0xf
	s_delay_alu instid0(VALU_DEP_1) | instskip(NEXT) | instid1(VALU_DEP_1)
	v_dual_cndmask_b32 v6, v6, v8 :: v_dual_add_nc_u32 v7, v5, v7
	v_cndmask_b32_e32 v5, v5, v7, vcc_lo
	ds_swizzle_b32 v7, v6 offset:swizzle(BROADCAST,32,15)
	v_cmp_eq_u32_e32 vcc_lo, 0, v85
	ds_swizzle_b32 v8, v5 offset:swizzle(BROADCAST,32,15)
	s_waitcnt lgkmcnt(1)
	v_add_nc_u32_e32 v7, v6, v7
	s_waitcnt lgkmcnt(0)
	v_add_nc_u32_e32 v8, v5, v8
	s_delay_alu instid0(VALU_DEP_1)
	v_dual_cndmask_b32 v6, v7, v6 :: v_dual_cndmask_b32 v5, v8, v5
	v_cmpx_eq_u32_e64 v84, v0
	s_cbranch_execz .LBB1394_121
; %bb.120:
	v_lshlrev_b32_e32 v7, 3, v83
	ds_store_b64 v7, v[5:6]
.LBB1394_121:
	s_or_b32 exec_lo, exec_lo, s0
	s_delay_alu instid0(SALU_CYCLE_1)
	s_mov_b32 s0, exec_lo
	s_waitcnt lgkmcnt(0)
	s_barrier
	buffer_gl0_inv
	v_cmpx_gt_u32_e32 8, v0
	s_cbranch_execz .LBB1394_123
; %bb.122:
	v_lshlrev_b32_e32 v9, 3, v0
	ds_load_b64 v[7:8], v9
	s_waitcnt lgkmcnt(0)
	v_mov_b32_dpp v22, v7 row_shr:1 row_mask:0xf bank_mask:0xf
	v_mov_b32_dpp v23, v8 row_shr:1 row_mask:0xf bank_mask:0xf
	s_delay_alu instid0(VALU_DEP_2) | instskip(SKIP_1) | instid1(VALU_DEP_3)
	v_add_nc_u32_e32 v22, v22, v7
	v_and_b32_e32 v24, 7, v82
	v_add_nc_u32_e32 v23, v23, v8
	s_delay_alu instid0(VALU_DEP_2) | instskip(NEXT) | instid1(VALU_DEP_2)
	v_cmp_eq_u32_e32 vcc_lo, 0, v24
	v_dual_cndmask_b32 v8, v23, v8 :: v_dual_cndmask_b32 v7, v22, v7
	v_cmp_lt_u32_e32 vcc_lo, 1, v24
	s_delay_alu instid0(VALU_DEP_2) | instskip(NEXT) | instid1(VALU_DEP_3)
	v_mov_b32_dpp v23, v8 row_shr:2 row_mask:0xf bank_mask:0xf
	v_mov_b32_dpp v22, v7 row_shr:2 row_mask:0xf bank_mask:0xf
	s_delay_alu instid0(VALU_DEP_2) | instskip(NEXT) | instid1(VALU_DEP_2)
	v_add_nc_u32_e32 v23, v8, v23
	v_add_nc_u32_e32 v22, v7, v22
	s_delay_alu instid0(VALU_DEP_1) | instskip(SKIP_1) | instid1(VALU_DEP_2)
	v_dual_cndmask_b32 v8, v8, v23 :: v_dual_cndmask_b32 v7, v7, v22
	v_cmp_lt_u32_e32 vcc_lo, 3, v24
	v_mov_b32_dpp v23, v8 row_shr:4 row_mask:0xf bank_mask:0xf
	s_delay_alu instid0(VALU_DEP_3) | instskip(NEXT) | instid1(VALU_DEP_1)
	v_mov_b32_dpp v22, v7 row_shr:4 row_mask:0xf bank_mask:0xf
	v_dual_cndmask_b32 v23, 0, v23 :: v_dual_cndmask_b32 v22, 0, v22
	s_delay_alu instid0(VALU_DEP_1) | instskip(NEXT) | instid1(VALU_DEP_2)
	v_add_nc_u32_e32 v8, v23, v8
	v_add_nc_u32_e32 v7, v22, v7
	ds_store_b64 v9, v[7:8]
.LBB1394_123:
	s_or_b32 exec_lo, exec_lo, s0
	v_dual_mov_b32 v7, 0 :: v_dual_mov_b32 v22, 0
	v_mov_b32_e32 v23, 0
	s_mov_b32 s0, exec_lo
	s_waitcnt lgkmcnt(0)
	s_barrier
	buffer_gl0_inv
	v_cmpx_lt_u32_e32 31, v0
	s_cbranch_execz .LBB1394_125
; %bb.124:
	v_lshl_add_u32 v8, v83, 3, -8
	ds_load_b64 v[22:23], v8
.LBB1394_125:
	s_or_b32 exec_lo, exec_lo, s0
	v_add_nc_u32_e32 v8, -1, v82
	s_waitcnt lgkmcnt(0)
	v_add_nc_u32_e32 v24, v23, v6
	v_add_nc_u32_e32 v9, v22, v5
	ds_load_b64 v[5:6], v7 offset:56
	v_cmp_gt_i32_e32 vcc_lo, 0, v8
	v_cndmask_b32_e32 v8, v8, v82, vcc_lo
	s_delay_alu instid0(VALU_DEP_1)
	v_lshlrev_b32_e32 v8, 2, v8
	ds_bpermute_b32 v9, v8, v9
	ds_bpermute_b32 v24, v8, v24
	s_waitcnt lgkmcnt(2)
	v_readfirstlane_b32 s0, v6
	s_and_saveexec_b32 s1, s2
	s_cbranch_execz .LBB1394_127
; %bb.126:
	s_mov_b32 s8, 0
	s_add_u32 s6, s36, 0x200
	s_addc_u32 s7, s37, 0
	s_and_b32 s9, s0, 0xff000000
	s_and_b32 s11, s0, 0xff0000
	s_mov_b32 s10, s8
	v_mov_b32_e32 v26, s7
	s_or_b64 s[10:11], s[10:11], s[8:9]
	s_and_b32 s9, s0, 0xff00
	v_dual_mov_b32 v8, 0 :: v_dual_mov_b32 v25, s6
	s_or_b64 s[10:11], s[10:11], s[8:9]
	s_and_b32 s9, s0, 0xff
	v_mov_b32_e32 v7, 2
	s_or_b64 s[8:9], s[10:11], s[8:9]
	s_delay_alu instid0(SALU_CYCLE_1)
	v_mov_b32_e32 v6, s9
	;;#ASMSTART
	global_store_dwordx4 v[25:26], v[5:8] off	
s_waitcnt vmcnt(0)
	;;#ASMEND
.LBB1394_127:
	s_or_b32 exec_lo, exec_lo, s1
	v_cmp_eq_u32_e32 vcc_lo, 0, v82
	v_dual_mov_b32 v7, 0 :: v_dual_mov_b32 v6, s0
	s_waitcnt lgkmcnt(0)
	s_barrier
	v_dual_cndmask_b32 v8, v9, v22 :: v_dual_cndmask_b32 v9, v24, v23
	buffer_gl0_inv
	v_cndmask_b32_e64 v22, v8, 0, s2
	v_cndmask_b32_e64 v9, v9, 0, s2
	v_mov_b32_e32 v8, 0
.LBB1394_128:
	s_delay_alu instid0(VALU_DEP_1) | instskip(SKIP_1) | instid1(VALU_DEP_2)
	v_add_nc_u32_e32 v24, v9, v81
	s_waitcnt lgkmcnt(0)
	v_sub_nc_u32_e32 v9, v9, v8
	v_add_co_u32 v1, vcc_lo, v1, v7
	v_and_b32_e32 v35, 1, v35
	v_add_nc_u32_e32 v26, v24, v77
	v_sub_nc_u32_e32 v24, v24, v8
	v_lshlrev_b32_e32 v77, 1, v5
	v_add_nc_u32_e32 v9, v9, v5
	v_add_co_ci_u32_e32 v2, vcc_lo, 0, v2, vcc_lo
	v_add_nc_u32_e32 v28, v26, v79
	s_delay_alu instid0(VALU_DEP_4)
	v_add3_u32 v33, v77, v6, v33
	v_and_b32_e32 v40, 1, v40
	v_and_b32_e32 v37, 1, v37
	;; [unrolled: 1-line block ×3, first 2 shown]
	v_add_nc_u32_e32 v29, v28, v75
	v_sub_nc_u32_e32 v28, v28, v8
	v_sub_co_u32 v75, vcc_lo, v3, v5
	s_add_u32 s1, s14, -4
	s_delay_alu instid0(VALU_DEP_3) | instskip(SKIP_4) | instid1(VALU_DEP_3)
	v_add_nc_u32_e32 v73, v29, v73
	v_sub_nc_u32_e32 v29, v29, v8
	v_add_nc_u32_e32 v28, v28, v5
	v_add_nc_u32_e32 v24, v24, v5
	s_mov_b32 s3, -1
	v_add_nc_u32_e32 v29, v29, v5
	v_add_nc_u32_e32 v23, v22, v80
	v_sub_nc_u32_e32 v22, v22, v7
	s_delay_alu instid0(VALU_DEP_2) | instskip(SKIP_3) | instid1(VALU_DEP_3)
	v_add_nc_u32_e32 v25, v23, v76
	v_sub_nc_u32_e32 v23, v23, v7
	v_subrev_co_ci_u32_e32 v76, vcc_lo, 0, v4, vcc_lo
	v_cmp_eq_u32_e32 vcc_lo, 1, v35
	v_add_nc_u32_e32 v79, v24, v23
	s_delay_alu instid0(VALU_DEP_1) | instskip(NEXT) | instid1(VALU_DEP_1)
	v_sub_nc_u32_e32 v79, v33, v79
	v_add_nc_u32_e32 v79, 1, v79
	v_add_nc_u32_e32 v27, v25, v78
	;; [unrolled: 1-line block ×3, first 2 shown]
	s_delay_alu instid0(VALU_DEP_1) | instskip(NEXT) | instid1(VALU_DEP_1)
	v_sub_nc_u32_e32 v78, v33, v78
	v_dual_cndmask_b32 v9, v78, v9 :: v_dual_and_b32 v34, 1, v34
	v_cmp_eq_u32_e32 vcc_lo, 1, v40
	v_cndmask_b32_e32 v24, v79, v24, vcc_lo
	s_delay_alu instid0(VALU_DEP_3) | instskip(NEXT) | instid1(VALU_DEP_4)
	v_cmp_eq_u32_e32 vcc_lo, 1, v34
	v_cndmask_b32_e32 v9, v9, v22, vcc_lo
	v_sub_nc_u32_e32 v26, v26, v8
	v_cmp_eq_u32_e32 vcc_lo, 1, v37
	v_and_b32_e32 v37, 1, v38
	s_delay_alu instid0(VALU_DEP_4) | instskip(NEXT) | instid1(VALU_DEP_4)
	v_lshlrev_b32_e32 v9, 2, v9
	v_add_nc_u32_e32 v26, v26, v5
	v_cndmask_b32_e32 v24, v24, v23, vcc_lo
	v_sub_nc_u32_e32 v25, v25, v7
	v_add_co_u32 v22, vcc_lo, v75, v8
	v_add_co_ci_u32_e32 v23, vcc_lo, 0, v76, vcc_lo
	s_delay_alu instid0(VALU_DEP_3)
	v_add_nc_u32_e32 v34, v26, v25
	v_cmp_eq_u32_e32 vcc_lo, 1, v37
	v_lshlrev_b32_e32 v24, 2, v24
	ds_store_b32 v9, v20
	v_sub_nc_u32_e32 v34, v33, v34
	ds_store_b32 v24, v21
	v_and_b32_e32 v24, 1, v39
	v_add_nc_u32_e32 v34, 2, v34
	s_delay_alu instid0(VALU_DEP_1) | instskip(SKIP_3) | instid1(VALU_DEP_4)
	v_cndmask_b32_e32 v26, v34, v26, vcc_lo
	v_cmp_eq_u32_e32 vcc_lo, 1, v36
	v_add_nc_u32_e32 v74, v27, v74
	v_sub_nc_u32_e32 v27, v27, v7
	v_cndmask_b32_e32 v25, v26, v25, vcc_lo
	s_delay_alu instid0(VALU_DEP_3) | instskip(NEXT) | instid1(VALU_DEP_3)
	v_sub_nc_u32_e32 v37, v74, v7
	v_add_nc_u32_e32 v34, v27, v28
	v_cmp_eq_u32_e32 vcc_lo, 1, v24
	v_sub_nc_u32_e32 v26, v73, v8
	v_lshlrev_b32_e32 v21, 2, v25
	v_and_b32_e32 v25, 1, v41
	v_sub_nc_u32_e32 v9, v33, v34
	v_add_nc_u32_e32 v20, v37, v29
	v_and_b32_e32 v24, 1, v42
	v_add_nc_u32_e32 v26, v26, v5
	ds_store_b32 v21, v18
	v_add_nc_u32_e32 v9, 3, v9
	v_sub_nc_u32_e32 v20, v33, v20
	s_delay_alu instid0(VALU_DEP_2) | instskip(SKIP_2) | instid1(VALU_DEP_4)
	v_cndmask_b32_e32 v9, v9, v28, vcc_lo
	v_cmp_eq_u32_e32 vcc_lo, 1, v25
	v_add_nc_u32_e32 v72, v74, v72
	v_add_nc_u32_e32 v20, 4, v20
	v_and_b32_e32 v25, 1, v43
	v_cndmask_b32_e32 v9, v9, v27, vcc_lo
	s_delay_alu instid0(VALU_DEP_4)
	v_sub_nc_u32_e32 v28, v72, v7
	v_cmp_eq_u32_e32 vcc_lo, 1, v24
	v_and_b32_e32 v24, 1, v44
	v_add_nc_u32_e32 v70, v72, v70
	v_lshlrev_b32_e32 v9, 2, v9
	v_add_nc_u32_e32 v27, v28, v26
	v_cndmask_b32_e32 v20, v20, v29, vcc_lo
	v_cmp_eq_u32_e32 vcc_lo, 1, v25
	v_and_b32_e32 v25, 1, v45
	v_add_nc_u32_e32 v64, v70, v64
	v_sub_nc_u32_e32 v18, v33, v27
	v_sub_nc_u32_e32 v27, v70, v7
	v_cndmask_b32_e32 v20, v20, v37, vcc_lo
	v_cmp_eq_u32_e32 vcc_lo, 1, v24
	ds_store_b32 v9, v19
	v_add_nc_u32_e32 v18, 5, v18
	v_and_b32_e32 v19, 1, v46
	v_lshlrev_b32_e32 v20, 2, v20
	v_add_nc_u32_e32 v68, v64, v68
	s_delay_alu instid0(VALU_DEP_4)
	v_cndmask_b32_e32 v18, v18, v26, vcc_lo
	v_cmp_eq_u32_e32 vcc_lo, 1, v25
	v_sub_nc_u32_e32 v25, v64, v7
	ds_store_b32 v20, v16
	v_and_b32_e32 v20, 1, v49
	v_add_nc_u32_e32 v66, v68, v66
	v_dual_cndmask_b32 v18, v18, v28 :: v_dual_add_nc_u32 v71, v73, v71
	v_cmp_eq_u32_e32 vcc_lo, 1, v19
	v_and_b32_e32 v19, 1, v48
	s_delay_alu instid0(VALU_DEP_4) | instskip(NEXT) | instid1(VALU_DEP_4)
	v_add_nc_u32_e32 v61, v66, v61
	v_lshlrev_b32_e32 v18, 2, v18
	v_add_nc_u32_e32 v65, v71, v65
	v_sub_nc_u32_e32 v21, v71, v8
	s_delay_alu instid0(VALU_DEP_4)
	v_add_nc_u32_e32 v60, v61, v60
	ds_store_b32 v18, v17
	v_sub_nc_u32_e32 v24, v65, v8
	v_add_nc_u32_e32 v21, v21, v5
	v_add_nc_u32_e32 v69, v65, v69
	v_and_b32_e32 v17, 1, v47
	s_delay_alu instid0(VALU_DEP_4) | instskip(NEXT) | instid1(VALU_DEP_4)
	v_add_nc_u32_e32 v24, v24, v5
	v_add_nc_u32_e32 v26, v27, v21
	s_delay_alu instid0(VALU_DEP_4) | instskip(NEXT) | instid1(VALU_DEP_3)
	v_sub_nc_u32_e32 v18, v69, v8
	v_add_nc_u32_e32 v16, v25, v24
	s_delay_alu instid0(VALU_DEP_3) | instskip(NEXT) | instid1(VALU_DEP_3)
	v_sub_nc_u32_e32 v9, v33, v26
	v_add_nc_u32_e32 v18, v18, v5
	v_sub_nc_u32_e32 v26, v60, v7
	s_delay_alu instid0(VALU_DEP_4) | instskip(NEXT) | instid1(VALU_DEP_4)
	v_sub_nc_u32_e32 v16, v33, v16
	v_add_nc_u32_e32 v9, 6, v9
	s_delay_alu instid0(VALU_DEP_1) | instskip(SKIP_2) | instid1(VALU_DEP_3)
	v_dual_cndmask_b32 v9, v9, v21 :: v_dual_add_nc_u32 v16, 7, v16
	v_cmp_eq_u32_e32 vcc_lo, 1, v19
	v_sub_nc_u32_e32 v21, v68, v7
	v_cndmask_b32_e32 v16, v16, v24, vcc_lo
	v_cmp_eq_u32_e32 vcc_lo, 1, v17
	s_delay_alu instid0(VALU_DEP_3) | instskip(SKIP_3) | instid1(VALU_DEP_4)
	v_add_nc_u32_e32 v17, v21, v18
	v_cndmask_b32_e32 v9, v9, v27, vcc_lo
	v_cmp_eq_u32_e32 vcc_lo, 1, v20
	v_add_nc_u32_e32 v67, v69, v67
	v_sub_nc_u32_e32 v17, v33, v17
	v_sub_nc_u32_e32 v20, v66, v7
	v_lshlrev_b32_e32 v9, 2, v9
	v_cndmask_b32_e32 v16, v16, v25, vcc_lo
	v_sub_nc_u32_e32 v19, v67, v8
	v_add_nc_u32_e32 v62, v67, v62
	v_sub_nc_u32_e32 v25, v61, v7
	ds_store_b32 v9, v14
	v_and_b32_e32 v9, 1, v50
	v_add_nc_u32_e32 v19, v19, v5
	v_add_nc_u32_e32 v14, 8, v17
	v_lshlrev_b32_e32 v16, 2, v16
	v_add_nc_u32_e32 v63, v62, v63
	v_cmp_eq_u32_e32 vcc_lo, 1, v9
	v_add_nc_u32_e32 v17, v20, v19
	ds_store_b32 v16, v15
	v_and_b32_e32 v15, 1, v51
	v_cndmask_b32_e32 v9, v14, v18, vcc_lo
	v_sub_nc_u32_e32 v14, v33, v17
	v_and_b32_e32 v18, 1, v52
	v_sub_nc_u32_e32 v17, v62, v8
	v_and_b32_e32 v16, 1, v54
	v_sub_nc_u32_e32 v24, v63, v8
	v_add_nc_u32_e32 v14, 9, v14
	v_cmp_eq_u32_e32 vcc_lo, 1, v18
	v_add_nc_u32_e32 v17, v17, v5
	v_add_nc_u32_e32 v35, v63, v59
	;; [unrolled: 1-line block ×3, first 2 shown]
	v_cndmask_b32_e32 v14, v14, v19, vcc_lo
	v_cmp_eq_u32_e32 vcc_lo, 1, v15
	v_add_nc_u32_e32 v15, v25, v17
	s_delay_alu instid0(VALU_DEP_4)
	v_add_nc_u32_e32 v18, v26, v24
	v_and_b32_e32 v19, 1, v55
	v_cndmask_b32_e32 v9, v9, v21, vcc_lo
	v_cmp_eq_u32_e32 vcc_lo, 1, v16
	v_sub_nc_u32_e32 v15, v33, v15
	v_sub_nc_u32_e32 v18, v33, v18
	v_and_b32_e32 v21, 1, v57
	v_sub_nc_u32_e32 v16, v35, v8
	v_cndmask_b32_e32 v14, v14, v20, vcc_lo
	v_and_b32_e32 v20, 1, v53
	v_add_nc_u32_e32 v15, 10, v15
	v_add_nc_u32_e32 v18, 11, v18
	;; [unrolled: 1-line block ×3, first 2 shown]
	v_lshlrev_b32_e32 v9, 2, v9
	v_cmp_eq_u32_e32 vcc_lo, 1, v20
	v_dual_cndmask_b32 v15, v15, v17 :: v_dual_lshlrev_b32 v14, 2, v14
	v_cmp_eq_u32_e32 vcc_lo, 1, v21
	v_and_b32_e32 v17, 1, v56
	v_cndmask_b32_e32 v18, v18, v24, vcc_lo
	v_cmp_eq_u32_e32 vcc_lo, 1, v19
	v_cndmask_b32_e32 v15, v15, v25, vcc_lo
	s_delay_alu instid0(VALU_DEP_4) | instskip(NEXT) | instid1(VALU_DEP_2)
	v_cmp_eq_u32_e32 vcc_lo, 1, v17
	v_lshlrev_b32_e32 v15, 2, v15
	v_cndmask_b32_e32 v17, v18, v26, vcc_lo
	v_add_nc_u32_e32 v40, v60, v58
	s_delay_alu instid0(VALU_DEP_2) | instskip(NEXT) | instid1(VALU_DEP_2)
	v_lshlrev_b32_e32 v17, 2, v17
	v_sub_nc_u32_e32 v7, v40, v7
	ds_store_b32 v9, v12
	ds_store_b32 v14, v13
	;; [unrolled: 1-line block ×4, first 2 shown]
	v_add_co_u32 v9, s0, v6, v77
	s_delay_alu instid0(VALU_DEP_1) | instskip(SKIP_1) | instid1(VALU_DEP_3)
	v_add_co_ci_u32_e64 v10, null, 0, 0, s0
	v_add_nc_u32_e32 v27, v7, v16
	v_add_co_u32 v9, vcc_lo, v9, v22
	s_delay_alu instid0(VALU_DEP_3) | instskip(NEXT) | instid1(VALU_DEP_3)
	v_add_co_ci_u32_e32 v10, vcc_lo, v10, v23, vcc_lo
	v_sub_nc_u32_e32 v20, v33, v27
	v_add_co_u32 v11, s0, s34, v30
	s_delay_alu instid0(VALU_DEP_4) | instskip(NEXT) | instid1(VALU_DEP_3)
	v_add_co_u32 v9, vcc_lo, v9, v1
	v_add_nc_u32_e32 v18, 12, v20
	v_add_co_ci_u32_e64 v12, null, s35, 0, s0
	v_add_co_ci_u32_e32 v10, vcc_lo, v10, v2, vcc_lo
	s_delay_alu instid0(VALU_DEP_3) | instskip(SKIP_1) | instid1(VALU_DEP_2)
	v_cndmask_b32_e64 v16, v18, v16, s33
	v_add_nc_u32_e32 v14, v5, v6
	v_cndmask_b32_e64 v7, v16, v7, s27
	s_delay_alu instid0(VALU_DEP_1)
	v_lshlrev_b32_e32 v7, 2, v7
	ds_store_b32 v7, v32
	v_sub_co_u32 v7, vcc_lo, v11, v9
	v_sub_co_ci_u32_e32 v13, vcc_lo, v12, v10, vcc_lo
	v_lshlrev_b64 v[9:10], 2, v[22:23]
	v_lshlrev_b64 v[11:12], 2, v[1:2]
	s_waitcnt lgkmcnt(0)
	s_barrier
	buffer_gl0_inv
	v_add_co_u32 v9, vcc_lo, s30, v9
	v_add_co_ci_u32_e32 v10, vcc_lo, s31, v10, vcc_lo
	v_cmp_ne_u32_e32 vcc_lo, 1, v31
	v_add_co_u32 v11, s0, s28, v11
	s_delay_alu instid0(VALU_DEP_1)
	v_add_co_ci_u32_e64 v12, s0, s29, v12, s0
	s_addc_u32 s0, s15, -1
	s_cbranch_vccz .LBB1394_132
; %bb.129:
	s_and_b32 vcc_lo, exec_lo, s3
	s_cbranch_vccnz .LBB1394_237
.LBB1394_130:
	s_and_b32 s0, s2, s13
	s_delay_alu instid0(SALU_CYCLE_1)
	s_and_saveexec_b32 s1, s0
	s_cbranch_execnz .LBB1394_355
.LBB1394_131:
	s_nop 0
	s_sendmsg sendmsg(MSG_DEALLOC_VGPRS)
	s_endpgm
.LBB1394_132:
	s_mov_b32 s3, exec_lo
	v_cmpx_le_u32_e64 v5, v0
	s_xor_b32 s3, exec_lo, s3
	s_cbranch_execz .LBB1394_138
; %bb.133:
	s_mov_b32 s5, exec_lo
	v_cmpx_le_u32_e64 v14, v0
	s_xor_b32 s5, exec_lo, s5
	s_cbranch_execz .LBB1394_135
; %bb.134:
	v_lshlrev_b32_e32 v15, 2, v0
	ds_load_b32 v17, v15
	v_add_co_u32 v15, vcc_lo, v7, v0
	v_add_co_ci_u32_e32 v16, vcc_lo, 0, v13, vcc_lo
	s_delay_alu instid0(VALU_DEP_1) | instskip(NEXT) | instid1(VALU_DEP_1)
	v_lshlrev_b64 v[15:16], 2, v[15:16]
	v_sub_co_u32 v15, vcc_lo, s14, v15
	s_delay_alu instid0(VALU_DEP_2)
	v_sub_co_ci_u32_e32 v16, vcc_lo, s15, v16, vcc_lo
	s_waitcnt lgkmcnt(0)
	global_store_b32 v[15:16], v17, off offset:-4
.LBB1394_135:
	s_and_not1_saveexec_b32 s5, s5
	s_cbranch_execz .LBB1394_137
; %bb.136:
	v_lshlrev_b32_e32 v15, 2, v0
	v_readfirstlane_b32 s6, v9
	v_readfirstlane_b32 s7, v10
	ds_load_b32 v16, v15
	s_waitcnt lgkmcnt(0)
	global_store_b32 v15, v16, s[6:7]
.LBB1394_137:
	s_or_b32 exec_lo, exec_lo, s5
.LBB1394_138:
	s_and_not1_saveexec_b32 s3, s3
	s_cbranch_execz .LBB1394_140
; %bb.139:
	v_lshlrev_b32_e32 v15, 2, v0
	v_readfirstlane_b32 s6, v11
	v_readfirstlane_b32 s7, v12
	ds_load_b32 v16, v15
	s_waitcnt lgkmcnt(0)
	global_store_b32 v15, v16, s[6:7]
.LBB1394_140:
	s_or_b32 exec_lo, exec_lo, s3
	v_or_b32_e32 v15, 0x100, v0
	s_mov_b32 s3, exec_lo
	s_delay_alu instid0(VALU_DEP_1)
	v_cmpx_le_u32_e64 v5, v15
	s_xor_b32 s3, exec_lo, s3
	s_cbranch_execz .LBB1394_146
; %bb.141:
	s_mov_b32 s5, exec_lo
	v_cmpx_le_u32_e64 v14, v15
	s_xor_b32 s5, exec_lo, s5
	s_cbranch_execz .LBB1394_143
; %bb.142:
	v_lshlrev_b32_e32 v15, 2, v0
	ds_load_b32 v17, v15 offset:1024
	v_add_co_u32 v15, vcc_lo, v7, v0
	v_add_co_ci_u32_e32 v16, vcc_lo, 0, v13, vcc_lo
	s_delay_alu instid0(VALU_DEP_1) | instskip(NEXT) | instid1(VALU_DEP_1)
	v_lshlrev_b64 v[15:16], 2, v[15:16]
	v_sub_co_u32 v15, vcc_lo, s1, v15
	s_delay_alu instid0(VALU_DEP_2)
	v_sub_co_ci_u32_e32 v16, vcc_lo, s0, v16, vcc_lo
	s_waitcnt lgkmcnt(0)
	global_store_b32 v[15:16], v17, off offset:-1024
.LBB1394_143:
	s_and_not1_saveexec_b32 s5, s5
	s_cbranch_execz .LBB1394_145
; %bb.144:
	v_lshlrev_b32_e32 v15, 2, v0
	v_readfirstlane_b32 s6, v9
	v_readfirstlane_b32 s7, v10
	ds_load_b32 v16, v15 offset:1024
	s_waitcnt lgkmcnt(0)
	global_store_b32 v15, v16, s[6:7] offset:1024
.LBB1394_145:
	s_or_b32 exec_lo, exec_lo, s5
.LBB1394_146:
	s_and_not1_saveexec_b32 s3, s3
	s_cbranch_execz .LBB1394_148
; %bb.147:
	v_lshlrev_b32_e32 v15, 2, v0
	v_readfirstlane_b32 s6, v11
	v_readfirstlane_b32 s7, v12
	ds_load_b32 v16, v15 offset:1024
	s_waitcnt lgkmcnt(0)
	global_store_b32 v15, v16, s[6:7] offset:1024
.LBB1394_148:
	s_or_b32 exec_lo, exec_lo, s3
	v_or_b32_e32 v15, 0x200, v0
	s_mov_b32 s3, exec_lo
	s_delay_alu instid0(VALU_DEP_1)
	v_cmpx_le_u32_e64 v5, v15
	s_xor_b32 s3, exec_lo, s3
	s_cbranch_execz .LBB1394_154
; %bb.149:
	s_mov_b32 s5, exec_lo
	v_cmpx_le_u32_e64 v14, v15
	s_xor_b32 s5, exec_lo, s5
	s_cbranch_execz .LBB1394_151
; %bb.150:
	v_lshlrev_b32_e32 v15, 2, v0
	ds_load_b32 v17, v15 offset:2048
	v_add_co_u32 v15, vcc_lo, v7, v0
	v_add_co_ci_u32_e32 v16, vcc_lo, 0, v13, vcc_lo
	s_delay_alu instid0(VALU_DEP_1) | instskip(NEXT) | instid1(VALU_DEP_1)
	v_lshlrev_b64 v[15:16], 2, v[15:16]
	v_sub_co_u32 v15, vcc_lo, s1, v15
	s_delay_alu instid0(VALU_DEP_2)
	v_sub_co_ci_u32_e32 v16, vcc_lo, s0, v16, vcc_lo
	s_waitcnt lgkmcnt(0)
	global_store_b32 v[15:16], v17, off offset:-2048
.LBB1394_151:
	s_and_not1_saveexec_b32 s5, s5
	s_cbranch_execz .LBB1394_153
; %bb.152:
	v_lshlrev_b32_e32 v15, 2, v0
	v_readfirstlane_b32 s6, v9
	v_readfirstlane_b32 s7, v10
	ds_load_b32 v16, v15 offset:2048
	s_waitcnt lgkmcnt(0)
	global_store_b32 v15, v16, s[6:7] offset:2048
.LBB1394_153:
	s_or_b32 exec_lo, exec_lo, s5
.LBB1394_154:
	s_and_not1_saveexec_b32 s3, s3
	s_cbranch_execz .LBB1394_156
; %bb.155:
	v_lshlrev_b32_e32 v15, 2, v0
	v_readfirstlane_b32 s6, v11
	v_readfirstlane_b32 s7, v12
	ds_load_b32 v16, v15 offset:2048
	s_waitcnt lgkmcnt(0)
	global_store_b32 v15, v16, s[6:7] offset:2048
.LBB1394_156:
	;; [unrolled: 47-line block ×3, first 2 shown]
	s_or_b32 exec_lo, exec_lo, s3
	v_or_b32_e32 v15, 0x400, v0
	s_mov_b32 s3, exec_lo
	s_delay_alu instid0(VALU_DEP_1)
	v_cmpx_le_u32_e64 v5, v15
	s_xor_b32 s3, exec_lo, s3
	s_cbranch_execz .LBB1394_170
; %bb.165:
	s_mov_b32 s5, exec_lo
	v_cmpx_le_u32_e64 v14, v15
	s_xor_b32 s5, exec_lo, s5
	s_cbranch_execz .LBB1394_167
; %bb.166:
	v_lshlrev_b32_e32 v15, 2, v0
	ds_load_b32 v17, v15 offset:4096
	v_add_co_u32 v15, vcc_lo, v7, v0
	v_add_co_ci_u32_e32 v16, vcc_lo, 0, v13, vcc_lo
	s_delay_alu instid0(VALU_DEP_1) | instskip(NEXT) | instid1(VALU_DEP_1)
	v_lshlrev_b64 v[15:16], 2, v[15:16]
	v_sub_co_u32 v15, vcc_lo, s1, v15
	s_delay_alu instid0(VALU_DEP_2)
	v_sub_co_ci_u32_e32 v16, vcc_lo, s0, v16, vcc_lo
	s_waitcnt lgkmcnt(0)
	global_store_b32 v[15:16], v17, off offset:-4096
                                        ; implicit-def: $vgpr15
.LBB1394_167:
	s_and_not1_saveexec_b32 s5, s5
	s_cbranch_execz .LBB1394_169
; %bb.168:
	v_lshlrev_b32_e32 v16, 2, v0
	v_lshlrev_b32_e32 v15, 2, v15
	v_readfirstlane_b32 s6, v9
	v_readfirstlane_b32 s7, v10
	ds_load_b32 v16, v16 offset:4096
	s_waitcnt lgkmcnt(0)
	global_store_b32 v15, v16, s[6:7]
.LBB1394_169:
	s_or_b32 exec_lo, exec_lo, s5
                                        ; implicit-def: $vgpr15
.LBB1394_170:
	s_and_not1_saveexec_b32 s3, s3
	s_cbranch_execz .LBB1394_172
; %bb.171:
	v_lshlrev_b32_e32 v16, 2, v0
	v_lshlrev_b32_e32 v15, 2, v15
	v_readfirstlane_b32 s6, v11
	v_readfirstlane_b32 s7, v12
	ds_load_b32 v16, v16 offset:4096
	s_waitcnt lgkmcnt(0)
	global_store_b32 v15, v16, s[6:7]
.LBB1394_172:
	s_or_b32 exec_lo, exec_lo, s3
	v_or_b32_e32 v15, 0x500, v0
	s_mov_b32 s3, exec_lo
	s_delay_alu instid0(VALU_DEP_1)
	v_cmpx_le_u32_e64 v5, v15
	s_xor_b32 s3, exec_lo, s3
	s_cbranch_execz .LBB1394_178
; %bb.173:
	s_mov_b32 s5, exec_lo
	v_cmpx_le_u32_e64 v14, v15
	s_xor_b32 s5, exec_lo, s5
	s_cbranch_execz .LBB1394_175
; %bb.174:
	v_lshlrev_b32_e32 v16, 2, v0
	v_add_co_u32 v15, vcc_lo, v7, v15
	ds_load_b32 v17, v16 offset:5120
	v_add_co_ci_u32_e32 v16, vcc_lo, 0, v13, vcc_lo
	s_delay_alu instid0(VALU_DEP_1) | instskip(NEXT) | instid1(VALU_DEP_1)
	v_lshlrev_b64 v[15:16], 2, v[15:16]
	v_sub_co_u32 v15, vcc_lo, s1, v15
	s_delay_alu instid0(VALU_DEP_2)
	v_sub_co_ci_u32_e32 v16, vcc_lo, s0, v16, vcc_lo
	s_waitcnt lgkmcnt(0)
	global_store_b32 v[15:16], v17, off
                                        ; implicit-def: $vgpr15
.LBB1394_175:
	s_and_not1_saveexec_b32 s5, s5
	s_cbranch_execz .LBB1394_177
; %bb.176:
	v_lshlrev_b32_e32 v16, 2, v0
	v_lshlrev_b32_e32 v15, 2, v15
	v_readfirstlane_b32 s6, v9
	v_readfirstlane_b32 s7, v10
	ds_load_b32 v16, v16 offset:5120
	s_waitcnt lgkmcnt(0)
	global_store_b32 v15, v16, s[6:7]
.LBB1394_177:
	s_or_b32 exec_lo, exec_lo, s5
                                        ; implicit-def: $vgpr15
.LBB1394_178:
	s_and_not1_saveexec_b32 s3, s3
	s_cbranch_execz .LBB1394_180
; %bb.179:
	v_lshlrev_b32_e32 v16, 2, v0
	v_lshlrev_b32_e32 v15, 2, v15
	v_readfirstlane_b32 s6, v11
	v_readfirstlane_b32 s7, v12
	ds_load_b32 v16, v16 offset:5120
	s_waitcnt lgkmcnt(0)
	global_store_b32 v15, v16, s[6:7]
.LBB1394_180:
	s_or_b32 exec_lo, exec_lo, s3
	v_or_b32_e32 v15, 0x600, v0
	s_mov_b32 s3, exec_lo
	s_delay_alu instid0(VALU_DEP_1)
	v_cmpx_le_u32_e64 v5, v15
	s_xor_b32 s3, exec_lo, s3
	s_cbranch_execz .LBB1394_186
; %bb.181:
	s_mov_b32 s5, exec_lo
	v_cmpx_le_u32_e64 v14, v15
	s_xor_b32 s5, exec_lo, s5
	s_cbranch_execz .LBB1394_183
; %bb.182:
	v_lshlrev_b32_e32 v16, 2, v0
	v_add_co_u32 v15, vcc_lo, v7, v15
	ds_load_b32 v17, v16 offset:6144
	v_add_co_ci_u32_e32 v16, vcc_lo, 0, v13, vcc_lo
	s_delay_alu instid0(VALU_DEP_1) | instskip(NEXT) | instid1(VALU_DEP_1)
	v_lshlrev_b64 v[15:16], 2, v[15:16]
	v_sub_co_u32 v15, vcc_lo, s1, v15
	s_delay_alu instid0(VALU_DEP_2)
	v_sub_co_ci_u32_e32 v16, vcc_lo, s0, v16, vcc_lo
	s_waitcnt lgkmcnt(0)
	global_store_b32 v[15:16], v17, off
                                        ; implicit-def: $vgpr15
.LBB1394_183:
	s_and_not1_saveexec_b32 s5, s5
	s_cbranch_execz .LBB1394_185
; %bb.184:
	v_lshlrev_b32_e32 v16, 2, v0
	v_lshlrev_b32_e32 v15, 2, v15
	v_readfirstlane_b32 s6, v9
	v_readfirstlane_b32 s7, v10
	ds_load_b32 v16, v16 offset:6144
	s_waitcnt lgkmcnt(0)
	global_store_b32 v15, v16, s[6:7]
.LBB1394_185:
	s_or_b32 exec_lo, exec_lo, s5
                                        ; implicit-def: $vgpr15
.LBB1394_186:
	;; [unrolled: 51-line block ×8, first 2 shown]
	s_and_not1_saveexec_b32 s3, s3
	s_cbranch_execz .LBB1394_236
; %bb.235:
	v_lshlrev_b32_e32 v16, 2, v0
	v_lshlrev_b32_e32 v15, 2, v15
	v_readfirstlane_b32 s6, v11
	v_readfirstlane_b32 s7, v12
	ds_load_b32 v16, v16 offset:12288
	s_waitcnt lgkmcnt(0)
	global_store_b32 v15, v16, s[6:7]
.LBB1394_236:
	s_or_b32 exec_lo, exec_lo, s3
	s_branch .LBB1394_130
.LBB1394_237:
	s_mov_b32 s3, exec_lo
	v_cmpx_gt_u32_e64 s4, v0
	s_cbranch_execz .LBB1394_246
; %bb.238:
	s_mov_b32 s5, exec_lo
	v_cmpx_le_u32_e64 v5, v0
	s_xor_b32 s5, exec_lo, s5
	s_cbranch_execz .LBB1394_244
; %bb.239:
	s_mov_b32 s6, exec_lo
	v_cmpx_le_u32_e64 v14, v0
	s_xor_b32 s6, exec_lo, s6
	s_cbranch_execz .LBB1394_241
; %bb.240:
	v_lshlrev_b32_e32 v15, 2, v0
	ds_load_b32 v17, v15
	v_add_co_u32 v15, vcc_lo, v7, v0
	v_add_co_ci_u32_e32 v16, vcc_lo, 0, v13, vcc_lo
	s_delay_alu instid0(VALU_DEP_1) | instskip(NEXT) | instid1(VALU_DEP_1)
	v_lshlrev_b64 v[15:16], 2, v[15:16]
	v_sub_co_u32 v15, vcc_lo, s14, v15
	s_delay_alu instid0(VALU_DEP_2)
	v_sub_co_ci_u32_e32 v16, vcc_lo, s15, v16, vcc_lo
	s_waitcnt lgkmcnt(0)
	global_store_b32 v[15:16], v17, off offset:-4
.LBB1394_241:
	s_and_not1_saveexec_b32 s6, s6
	s_cbranch_execz .LBB1394_243
; %bb.242:
	v_lshlrev_b32_e32 v15, 2, v0
	v_readfirstlane_b32 s8, v9
	v_readfirstlane_b32 s9, v10
	ds_load_b32 v16, v15
	s_waitcnt lgkmcnt(0)
	global_store_b32 v15, v16, s[8:9]
.LBB1394_243:
	s_or_b32 exec_lo, exec_lo, s6
.LBB1394_244:
	s_and_not1_saveexec_b32 s5, s5
	s_cbranch_execz .LBB1394_246
; %bb.245:
	v_lshlrev_b32_e32 v15, 2, v0
	v_readfirstlane_b32 s6, v11
	v_readfirstlane_b32 s7, v12
	ds_load_b32 v16, v15
	s_waitcnt lgkmcnt(0)
	global_store_b32 v15, v16, s[6:7]
.LBB1394_246:
	s_or_b32 exec_lo, exec_lo, s3
	v_or_b32_e32 v15, 0x100, v0
	s_mov_b32 s3, exec_lo
	s_delay_alu instid0(VALU_DEP_1)
	v_cmpx_gt_u32_e64 s4, v15
	s_cbranch_execz .LBB1394_255
; %bb.247:
	s_mov_b32 s5, exec_lo
	v_cmpx_le_u32_e64 v5, v15
	s_xor_b32 s5, exec_lo, s5
	s_cbranch_execz .LBB1394_253
; %bb.248:
	s_mov_b32 s6, exec_lo
	v_cmpx_le_u32_e64 v14, v15
	s_xor_b32 s6, exec_lo, s6
	s_cbranch_execz .LBB1394_250
; %bb.249:
	v_lshlrev_b32_e32 v15, 2, v0
	ds_load_b32 v17, v15 offset:1024
	v_add_co_u32 v15, vcc_lo, v7, v0
	v_add_co_ci_u32_e32 v16, vcc_lo, 0, v13, vcc_lo
	s_delay_alu instid0(VALU_DEP_1) | instskip(NEXT) | instid1(VALU_DEP_1)
	v_lshlrev_b64 v[15:16], 2, v[15:16]
	v_sub_co_u32 v15, vcc_lo, s1, v15
	s_delay_alu instid0(VALU_DEP_2)
	v_sub_co_ci_u32_e32 v16, vcc_lo, s0, v16, vcc_lo
	s_waitcnt lgkmcnt(0)
	global_store_b32 v[15:16], v17, off offset:-1024
.LBB1394_250:
	s_and_not1_saveexec_b32 s6, s6
	s_cbranch_execz .LBB1394_252
; %bb.251:
	v_lshlrev_b32_e32 v15, 2, v0
	v_readfirstlane_b32 s8, v9
	v_readfirstlane_b32 s9, v10
	ds_load_b32 v16, v15 offset:1024
	s_waitcnt lgkmcnt(0)
	global_store_b32 v15, v16, s[8:9] offset:1024
.LBB1394_252:
	s_or_b32 exec_lo, exec_lo, s6
.LBB1394_253:
	s_and_not1_saveexec_b32 s5, s5
	s_cbranch_execz .LBB1394_255
; %bb.254:
	v_lshlrev_b32_e32 v15, 2, v0
	v_readfirstlane_b32 s6, v11
	v_readfirstlane_b32 s7, v12
	ds_load_b32 v16, v15 offset:1024
	s_waitcnt lgkmcnt(0)
	global_store_b32 v15, v16, s[6:7] offset:1024
.LBB1394_255:
	s_or_b32 exec_lo, exec_lo, s3
	v_or_b32_e32 v15, 0x200, v0
	s_mov_b32 s3, exec_lo
	s_delay_alu instid0(VALU_DEP_1)
	v_cmpx_gt_u32_e64 s4, v15
	s_cbranch_execz .LBB1394_264
; %bb.256:
	s_mov_b32 s5, exec_lo
	v_cmpx_le_u32_e64 v5, v15
	s_xor_b32 s5, exec_lo, s5
	s_cbranch_execz .LBB1394_262
; %bb.257:
	s_mov_b32 s6, exec_lo
	v_cmpx_le_u32_e64 v14, v15
	s_xor_b32 s6, exec_lo, s6
	s_cbranch_execz .LBB1394_259
; %bb.258:
	v_lshlrev_b32_e32 v15, 2, v0
	ds_load_b32 v17, v15 offset:2048
	v_add_co_u32 v15, vcc_lo, v7, v0
	v_add_co_ci_u32_e32 v16, vcc_lo, 0, v13, vcc_lo
	s_delay_alu instid0(VALU_DEP_1) | instskip(NEXT) | instid1(VALU_DEP_1)
	v_lshlrev_b64 v[15:16], 2, v[15:16]
	v_sub_co_u32 v15, vcc_lo, s1, v15
	s_delay_alu instid0(VALU_DEP_2)
	v_sub_co_ci_u32_e32 v16, vcc_lo, s0, v16, vcc_lo
	s_waitcnt lgkmcnt(0)
	global_store_b32 v[15:16], v17, off offset:-2048
.LBB1394_259:
	s_and_not1_saveexec_b32 s6, s6
	s_cbranch_execz .LBB1394_261
; %bb.260:
	v_lshlrev_b32_e32 v15, 2, v0
	v_readfirstlane_b32 s8, v9
	v_readfirstlane_b32 s9, v10
	ds_load_b32 v16, v15 offset:2048
	s_waitcnt lgkmcnt(0)
	global_store_b32 v15, v16, s[8:9] offset:2048
.LBB1394_261:
	s_or_b32 exec_lo, exec_lo, s6
.LBB1394_262:
	s_and_not1_saveexec_b32 s5, s5
	s_cbranch_execz .LBB1394_264
; %bb.263:
	v_lshlrev_b32_e32 v15, 2, v0
	v_readfirstlane_b32 s6, v11
	v_readfirstlane_b32 s7, v12
	ds_load_b32 v16, v15 offset:2048
	s_waitcnt lgkmcnt(0)
	global_store_b32 v15, v16, s[6:7] offset:2048
.LBB1394_264:
	;; [unrolled: 51-line block ×3, first 2 shown]
	s_or_b32 exec_lo, exec_lo, s3
	v_or_b32_e32 v15, 0x400, v0
	s_mov_b32 s3, exec_lo
	s_delay_alu instid0(VALU_DEP_1)
	v_cmpx_gt_u32_e64 s4, v15
	s_cbranch_execz .LBB1394_282
; %bb.274:
	s_mov_b32 s5, exec_lo
	v_cmpx_le_u32_e64 v5, v15
	s_xor_b32 s5, exec_lo, s5
	s_cbranch_execz .LBB1394_280
; %bb.275:
	s_mov_b32 s6, exec_lo
	v_cmpx_le_u32_e64 v14, v15
	s_xor_b32 s6, exec_lo, s6
	s_cbranch_execz .LBB1394_277
; %bb.276:
	v_lshlrev_b32_e32 v15, 2, v0
	ds_load_b32 v17, v15 offset:4096
	v_add_co_u32 v15, vcc_lo, v7, v0
	v_add_co_ci_u32_e32 v16, vcc_lo, 0, v13, vcc_lo
	s_delay_alu instid0(VALU_DEP_1) | instskip(NEXT) | instid1(VALU_DEP_1)
	v_lshlrev_b64 v[15:16], 2, v[15:16]
	v_sub_co_u32 v15, vcc_lo, s1, v15
	s_delay_alu instid0(VALU_DEP_2)
	v_sub_co_ci_u32_e32 v16, vcc_lo, s0, v16, vcc_lo
	s_waitcnt lgkmcnt(0)
	global_store_b32 v[15:16], v17, off offset:-4096
                                        ; implicit-def: $vgpr15
.LBB1394_277:
	s_and_not1_saveexec_b32 s6, s6
	s_cbranch_execz .LBB1394_279
; %bb.278:
	v_lshlrev_b32_e32 v16, 2, v0
	v_lshlrev_b32_e32 v15, 2, v15
	v_readfirstlane_b32 s8, v9
	v_readfirstlane_b32 s9, v10
	ds_load_b32 v16, v16 offset:4096
	s_waitcnt lgkmcnt(0)
	global_store_b32 v15, v16, s[8:9]
.LBB1394_279:
	s_or_b32 exec_lo, exec_lo, s6
                                        ; implicit-def: $vgpr15
.LBB1394_280:
	s_and_not1_saveexec_b32 s5, s5
	s_cbranch_execz .LBB1394_282
; %bb.281:
	v_lshlrev_b32_e32 v16, 2, v0
	v_lshlrev_b32_e32 v15, 2, v15
	v_readfirstlane_b32 s6, v11
	v_readfirstlane_b32 s7, v12
	ds_load_b32 v16, v16 offset:4096
	s_waitcnt lgkmcnt(0)
	global_store_b32 v15, v16, s[6:7]
.LBB1394_282:
	s_or_b32 exec_lo, exec_lo, s3
	v_or_b32_e32 v15, 0x500, v0
	s_mov_b32 s3, exec_lo
	s_delay_alu instid0(VALU_DEP_1)
	v_cmpx_gt_u32_e64 s4, v15
	s_cbranch_execz .LBB1394_291
; %bb.283:
	s_mov_b32 s5, exec_lo
	v_cmpx_le_u32_e64 v5, v15
	s_xor_b32 s5, exec_lo, s5
	s_cbranch_execz .LBB1394_289
; %bb.284:
	s_mov_b32 s6, exec_lo
	v_cmpx_le_u32_e64 v14, v15
	s_xor_b32 s6, exec_lo, s6
	s_cbranch_execz .LBB1394_286
; %bb.285:
	v_lshlrev_b32_e32 v16, 2, v0
	v_add_co_u32 v15, vcc_lo, v7, v15
	ds_load_b32 v17, v16 offset:5120
	v_add_co_ci_u32_e32 v16, vcc_lo, 0, v13, vcc_lo
	s_delay_alu instid0(VALU_DEP_1) | instskip(NEXT) | instid1(VALU_DEP_1)
	v_lshlrev_b64 v[15:16], 2, v[15:16]
	v_sub_co_u32 v15, vcc_lo, s1, v15
	s_delay_alu instid0(VALU_DEP_2)
	v_sub_co_ci_u32_e32 v16, vcc_lo, s0, v16, vcc_lo
	s_waitcnt lgkmcnt(0)
	global_store_b32 v[15:16], v17, off
                                        ; implicit-def: $vgpr15
.LBB1394_286:
	s_and_not1_saveexec_b32 s6, s6
	s_cbranch_execz .LBB1394_288
; %bb.287:
	v_lshlrev_b32_e32 v16, 2, v0
	v_lshlrev_b32_e32 v15, 2, v15
	v_readfirstlane_b32 s8, v9
	v_readfirstlane_b32 s9, v10
	ds_load_b32 v16, v16 offset:5120
	s_waitcnt lgkmcnt(0)
	global_store_b32 v15, v16, s[8:9]
.LBB1394_288:
	s_or_b32 exec_lo, exec_lo, s6
                                        ; implicit-def: $vgpr15
.LBB1394_289:
	s_and_not1_saveexec_b32 s5, s5
	s_cbranch_execz .LBB1394_291
; %bb.290:
	v_lshlrev_b32_e32 v16, 2, v0
	v_lshlrev_b32_e32 v15, 2, v15
	v_readfirstlane_b32 s6, v11
	v_readfirstlane_b32 s7, v12
	ds_load_b32 v16, v16 offset:5120
	s_waitcnt lgkmcnt(0)
	global_store_b32 v15, v16, s[6:7]
.LBB1394_291:
	s_or_b32 exec_lo, exec_lo, s3
	v_or_b32_e32 v15, 0x600, v0
	s_mov_b32 s3, exec_lo
	s_delay_alu instid0(VALU_DEP_1)
	v_cmpx_gt_u32_e64 s4, v15
	s_cbranch_execz .LBB1394_300
; %bb.292:
	s_mov_b32 s5, exec_lo
	v_cmpx_le_u32_e64 v5, v15
	s_xor_b32 s5, exec_lo, s5
	s_cbranch_execz .LBB1394_298
; %bb.293:
	s_mov_b32 s6, exec_lo
	v_cmpx_le_u32_e64 v14, v15
	s_xor_b32 s6, exec_lo, s6
	s_cbranch_execz .LBB1394_295
; %bb.294:
	v_lshlrev_b32_e32 v16, 2, v0
	v_add_co_u32 v15, vcc_lo, v7, v15
	ds_load_b32 v17, v16 offset:6144
	v_add_co_ci_u32_e32 v16, vcc_lo, 0, v13, vcc_lo
	s_delay_alu instid0(VALU_DEP_1) | instskip(NEXT) | instid1(VALU_DEP_1)
	v_lshlrev_b64 v[15:16], 2, v[15:16]
	v_sub_co_u32 v15, vcc_lo, s1, v15
	s_delay_alu instid0(VALU_DEP_2)
	v_sub_co_ci_u32_e32 v16, vcc_lo, s0, v16, vcc_lo
	s_waitcnt lgkmcnt(0)
	global_store_b32 v[15:16], v17, off
                                        ; implicit-def: $vgpr15
.LBB1394_295:
	s_and_not1_saveexec_b32 s6, s6
	s_cbranch_execz .LBB1394_297
; %bb.296:
	v_lshlrev_b32_e32 v16, 2, v0
	v_lshlrev_b32_e32 v15, 2, v15
	v_readfirstlane_b32 s8, v9
	v_readfirstlane_b32 s9, v10
	ds_load_b32 v16, v16 offset:6144
	s_waitcnt lgkmcnt(0)
	global_store_b32 v15, v16, s[8:9]
.LBB1394_297:
	s_or_b32 exec_lo, exec_lo, s6
                                        ; implicit-def: $vgpr15
.LBB1394_298:
	s_and_not1_saveexec_b32 s5, s5
	s_cbranch_execz .LBB1394_300
; %bb.299:
	v_lshlrev_b32_e32 v16, 2, v0
	v_lshlrev_b32_e32 v15, 2, v15
	v_readfirstlane_b32 s6, v11
	v_readfirstlane_b32 s7, v12
	ds_load_b32 v16, v16 offset:6144
	s_waitcnt lgkmcnt(0)
	global_store_b32 v15, v16, s[6:7]
.LBB1394_300:
	;; [unrolled: 55-line block ×7, first 2 shown]
	s_or_b32 exec_lo, exec_lo, s3
	v_or_b32_e32 v15, 0xc00, v0
	s_mov_b32 s3, exec_lo
	s_delay_alu instid0(VALU_DEP_1)
	v_cmpx_gt_u32_e64 s4, v15
	s_cbranch_execz .LBB1394_354
; %bb.346:
	s_mov_b32 s4, exec_lo
	v_cmpx_le_u32_e64 v5, v15
	s_xor_b32 s4, exec_lo, s4
	s_cbranch_execz .LBB1394_352
; %bb.347:
	s_mov_b32 s5, exec_lo
	v_cmpx_le_u32_e64 v14, v15
	s_xor_b32 s5, exec_lo, s5
	s_cbranch_execz .LBB1394_349
; %bb.348:
	v_lshlrev_b32_e32 v0, 2, v0
	v_add_co_u32 v9, vcc_lo, v7, v15
	v_add_co_ci_u32_e32 v10, vcc_lo, 0, v13, vcc_lo
	ds_load_b32 v0, v0 offset:12288
                                        ; implicit-def: $vgpr15
	v_lshlrev_b64 v[9:10], 2, v[9:10]
	s_delay_alu instid0(VALU_DEP_1) | instskip(NEXT) | instid1(VALU_DEP_2)
	v_sub_co_u32 v9, vcc_lo, s1, v9
	v_sub_co_ci_u32_e32 v10, vcc_lo, s0, v10, vcc_lo
	s_waitcnt lgkmcnt(0)
	global_store_b32 v[9:10], v0, off
                                        ; implicit-def: $vgpr0
                                        ; implicit-def: $vgpr9_vgpr10
.LBB1394_349:
	s_and_not1_saveexec_b32 s0, s5
	s_cbranch_execz .LBB1394_351
; %bb.350:
	v_lshlrev_b32_e32 v0, 2, v0
	v_lshlrev_b32_e32 v7, 2, v15
	v_readfirstlane_b32 s6, v9
	v_readfirstlane_b32 s7, v10
	ds_load_b32 v0, v0 offset:12288
	s_waitcnt lgkmcnt(0)
	global_store_b32 v7, v0, s[6:7]
.LBB1394_351:
	s_or_b32 exec_lo, exec_lo, s0
                                        ; implicit-def: $vgpr0
                                        ; implicit-def: $vgpr15
                                        ; implicit-def: $vgpr11_vgpr12
.LBB1394_352:
	s_and_not1_saveexec_b32 s0, s4
	s_cbranch_execz .LBB1394_354
; %bb.353:
	v_lshlrev_b32_e32 v0, 2, v0
	v_lshlrev_b32_e32 v7, 2, v15
	v_readfirstlane_b32 s0, v11
	v_readfirstlane_b32 s1, v12
	ds_load_b32 v0, v0 offset:12288
	s_waitcnt lgkmcnt(0)
	global_store_b32 v7, v0, s[0:1]
.LBB1394_354:
	s_or_b32 exec_lo, exec_lo, s3
	s_and_b32 s0, s2, s13
	s_delay_alu instid0(SALU_CYCLE_1)
	s_and_saveexec_b32 s1, s0
	s_cbranch_execz .LBB1394_131
.LBB1394_355:
	v_add_co_u32 v3, vcc_lo, v3, v6
	v_add_co_ci_u32_e32 v4, vcc_lo, 0, v4, vcc_lo
	v_add_co_u32 v0, vcc_lo, v1, v5
	v_add_co_ci_u32_e32 v1, vcc_lo, 0, v2, vcc_lo
	s_delay_alu instid0(VALU_DEP_4)
	v_add_co_u32 v2, vcc_lo, v3, v8
	v_mov_b32_e32 v7, 0
	v_add_co_ci_u32_e32 v3, vcc_lo, 0, v4, vcc_lo
	global_store_b128 v7, v[0:3], s[24:25]
	s_nop 0
	s_sendmsg sendmsg(MSG_DEALLOC_VGPRS)
	s_endpgm
.LBB1394_356:
	v_add_nc_u32_e32 v7, s6, v27
	s_add_i32 s8, s26, 32
	s_mov_b32 s9, 0
	v_dual_mov_b32 v9, 0 :: v_dual_add_nc_u32 v6, v26, v5
	s_lshl_b64 s[8:9], s[8:9], 4
	v_and_b32_e32 v24, 0xff0000, v7
	s_add_u32 s8, s36, s8
	s_addc_u32 s9, s37, s9
	v_and_b32_e32 v8, 0xff000000, v7
	s_delay_alu instid0(VALU_DEP_1) | instskip(SKIP_2) | instid1(VALU_DEP_1)
	v_or_b32_e32 v24, v24, v8
	v_dual_mov_b32 v8, 2 :: v_dual_and_b32 v25, 0xff00, v7
	v_and_b32_e32 v7, 0xff, v7
	v_or3_b32 v7, v24, v25, v7
	v_dual_mov_b32 v25, s9 :: v_dual_mov_b32 v24, s8
	;;#ASMSTART
	global_store_dwordx4 v[24:25], v[6:9] off	
s_waitcnt vmcnt(0)
	;;#ASMEND
	s_or_b32 exec_lo, exec_lo, s7
	s_and_saveexec_b32 s7, s3
	s_cbranch_execz .LBB1394_115
.LBB1394_357:
	v_mov_b32_e32 v6, s6
	v_add_nc_u32_e64 v7, 0x3400, 0
	ds_store_2addr_b32 v7, v5, v6 offset1:2
	ds_store_2addr_b32 v7, v26, v27 offset0:4 offset1:6
	s_or_b32 exec_lo, exec_lo, s7
	s_delay_alu instid0(SALU_CYCLE_1)
	s_and_b32 exec_lo, exec_lo, s2
	s_cbranch_execnz .LBB1394_116
	s_branch .LBB1394_117
	.section	.rodata,"a",@progbits
	.p2align	6, 0x0
	.amdhsa_kernel _ZN7rocprim17ROCPRIM_400000_NS6detail17trampoline_kernelINS0_13select_configILj256ELj13ELNS0_17block_load_methodE3ELS4_3ELS4_3ELNS0_20block_scan_algorithmE0ELj4294967295EEENS1_25partition_config_selectorILNS1_17partition_subalgoE4EjNS0_10empty_typeEbEEZZNS1_14partition_implILS8_4ELb0ES6_15HIP_vector_typeIjLj2EENS0_17counting_iteratorIjlEEPS9_SG_NS0_5tupleIJPjSI_NS0_16reverse_iteratorISI_EEEEENSH_IJSG_SG_SG_EEES9_SI_JZNS1_25segmented_radix_sort_implINS0_14default_configELb0EPKfPfPKlPlN2at6native12_GLOBAL__N_18offset_tEEE10hipError_tPvRmT1_PNSt15iterator_traitsIS12_E10value_typeET2_T3_PNS13_IS18_E10value_typeET4_jRbjT5_S1E_jjP12ihipStream_tbEUljE_ZNSN_ISO_Lb0ESQ_SR_ST_SU_SY_EESZ_S10_S11_S12_S16_S17_S18_S1B_S1C_jS1D_jS1E_S1E_jjS1G_bEUljE0_EEESZ_S10_S11_S18_S1C_S1E_T6_T7_T9_mT8_S1G_bDpT10_ENKUlT_T0_E_clISt17integral_constantIbLb0EES1T_IbLb1EEEEDaS1P_S1Q_EUlS1P_E_NS1_11comp_targetILNS1_3genE9ELNS1_11target_archE1100ELNS1_3gpuE3ELNS1_3repE0EEENS1_30default_config_static_selectorELNS0_4arch9wavefront6targetE0EEEvS12_
		.amdhsa_group_segment_fixed_size 13340
		.amdhsa_private_segment_fixed_size 0
		.amdhsa_kernarg_size 184
		.amdhsa_user_sgpr_count 15
		.amdhsa_user_sgpr_dispatch_ptr 0
		.amdhsa_user_sgpr_queue_ptr 0
		.amdhsa_user_sgpr_kernarg_segment_ptr 1
		.amdhsa_user_sgpr_dispatch_id 0
		.amdhsa_user_sgpr_private_segment_size 0
		.amdhsa_wavefront_size32 1
		.amdhsa_uses_dynamic_stack 0
		.amdhsa_enable_private_segment 0
		.amdhsa_system_sgpr_workgroup_id_x 1
		.amdhsa_system_sgpr_workgroup_id_y 0
		.amdhsa_system_sgpr_workgroup_id_z 0
		.amdhsa_system_sgpr_workgroup_info 0
		.amdhsa_system_vgpr_workitem_id 0
		.amdhsa_next_free_vgpr 103
		.amdhsa_next_free_sgpr 55
		.amdhsa_reserve_vcc 1
		.amdhsa_float_round_mode_32 0
		.amdhsa_float_round_mode_16_64 0
		.amdhsa_float_denorm_mode_32 3
		.amdhsa_float_denorm_mode_16_64 3
		.amdhsa_dx10_clamp 1
		.amdhsa_ieee_mode 1
		.amdhsa_fp16_overflow 0
		.amdhsa_workgroup_processor_mode 1
		.amdhsa_memory_ordered 1
		.amdhsa_forward_progress 0
		.amdhsa_shared_vgpr_count 0
		.amdhsa_exception_fp_ieee_invalid_op 0
		.amdhsa_exception_fp_denorm_src 0
		.amdhsa_exception_fp_ieee_div_zero 0
		.amdhsa_exception_fp_ieee_overflow 0
		.amdhsa_exception_fp_ieee_underflow 0
		.amdhsa_exception_fp_ieee_inexact 0
		.amdhsa_exception_int_div_zero 0
	.end_amdhsa_kernel
	.section	.text._ZN7rocprim17ROCPRIM_400000_NS6detail17trampoline_kernelINS0_13select_configILj256ELj13ELNS0_17block_load_methodE3ELS4_3ELS4_3ELNS0_20block_scan_algorithmE0ELj4294967295EEENS1_25partition_config_selectorILNS1_17partition_subalgoE4EjNS0_10empty_typeEbEEZZNS1_14partition_implILS8_4ELb0ES6_15HIP_vector_typeIjLj2EENS0_17counting_iteratorIjlEEPS9_SG_NS0_5tupleIJPjSI_NS0_16reverse_iteratorISI_EEEEENSH_IJSG_SG_SG_EEES9_SI_JZNS1_25segmented_radix_sort_implINS0_14default_configELb0EPKfPfPKlPlN2at6native12_GLOBAL__N_18offset_tEEE10hipError_tPvRmT1_PNSt15iterator_traitsIS12_E10value_typeET2_T3_PNS13_IS18_E10value_typeET4_jRbjT5_S1E_jjP12ihipStream_tbEUljE_ZNSN_ISO_Lb0ESQ_SR_ST_SU_SY_EESZ_S10_S11_S12_S16_S17_S18_S1B_S1C_jS1D_jS1E_S1E_jjS1G_bEUljE0_EEESZ_S10_S11_S18_S1C_S1E_T6_T7_T9_mT8_S1G_bDpT10_ENKUlT_T0_E_clISt17integral_constantIbLb0EES1T_IbLb1EEEEDaS1P_S1Q_EUlS1P_E_NS1_11comp_targetILNS1_3genE9ELNS1_11target_archE1100ELNS1_3gpuE3ELNS1_3repE0EEENS1_30default_config_static_selectorELNS0_4arch9wavefront6targetE0EEEvS12_,"axG",@progbits,_ZN7rocprim17ROCPRIM_400000_NS6detail17trampoline_kernelINS0_13select_configILj256ELj13ELNS0_17block_load_methodE3ELS4_3ELS4_3ELNS0_20block_scan_algorithmE0ELj4294967295EEENS1_25partition_config_selectorILNS1_17partition_subalgoE4EjNS0_10empty_typeEbEEZZNS1_14partition_implILS8_4ELb0ES6_15HIP_vector_typeIjLj2EENS0_17counting_iteratorIjlEEPS9_SG_NS0_5tupleIJPjSI_NS0_16reverse_iteratorISI_EEEEENSH_IJSG_SG_SG_EEES9_SI_JZNS1_25segmented_radix_sort_implINS0_14default_configELb0EPKfPfPKlPlN2at6native12_GLOBAL__N_18offset_tEEE10hipError_tPvRmT1_PNSt15iterator_traitsIS12_E10value_typeET2_T3_PNS13_IS18_E10value_typeET4_jRbjT5_S1E_jjP12ihipStream_tbEUljE_ZNSN_ISO_Lb0ESQ_SR_ST_SU_SY_EESZ_S10_S11_S12_S16_S17_S18_S1B_S1C_jS1D_jS1E_S1E_jjS1G_bEUljE0_EEESZ_S10_S11_S18_S1C_S1E_T6_T7_T9_mT8_S1G_bDpT10_ENKUlT_T0_E_clISt17integral_constantIbLb0EES1T_IbLb1EEEEDaS1P_S1Q_EUlS1P_E_NS1_11comp_targetILNS1_3genE9ELNS1_11target_archE1100ELNS1_3gpuE3ELNS1_3repE0EEENS1_30default_config_static_selectorELNS0_4arch9wavefront6targetE0EEEvS12_,comdat
.Lfunc_end1394:
	.size	_ZN7rocprim17ROCPRIM_400000_NS6detail17trampoline_kernelINS0_13select_configILj256ELj13ELNS0_17block_load_methodE3ELS4_3ELS4_3ELNS0_20block_scan_algorithmE0ELj4294967295EEENS1_25partition_config_selectorILNS1_17partition_subalgoE4EjNS0_10empty_typeEbEEZZNS1_14partition_implILS8_4ELb0ES6_15HIP_vector_typeIjLj2EENS0_17counting_iteratorIjlEEPS9_SG_NS0_5tupleIJPjSI_NS0_16reverse_iteratorISI_EEEEENSH_IJSG_SG_SG_EEES9_SI_JZNS1_25segmented_radix_sort_implINS0_14default_configELb0EPKfPfPKlPlN2at6native12_GLOBAL__N_18offset_tEEE10hipError_tPvRmT1_PNSt15iterator_traitsIS12_E10value_typeET2_T3_PNS13_IS18_E10value_typeET4_jRbjT5_S1E_jjP12ihipStream_tbEUljE_ZNSN_ISO_Lb0ESQ_SR_ST_SU_SY_EESZ_S10_S11_S12_S16_S17_S18_S1B_S1C_jS1D_jS1E_S1E_jjS1G_bEUljE0_EEESZ_S10_S11_S18_S1C_S1E_T6_T7_T9_mT8_S1G_bDpT10_ENKUlT_T0_E_clISt17integral_constantIbLb0EES1T_IbLb1EEEEDaS1P_S1Q_EUlS1P_E_NS1_11comp_targetILNS1_3genE9ELNS1_11target_archE1100ELNS1_3gpuE3ELNS1_3repE0EEENS1_30default_config_static_selectorELNS0_4arch9wavefront6targetE0EEEvS12_, .Lfunc_end1394-_ZN7rocprim17ROCPRIM_400000_NS6detail17trampoline_kernelINS0_13select_configILj256ELj13ELNS0_17block_load_methodE3ELS4_3ELS4_3ELNS0_20block_scan_algorithmE0ELj4294967295EEENS1_25partition_config_selectorILNS1_17partition_subalgoE4EjNS0_10empty_typeEbEEZZNS1_14partition_implILS8_4ELb0ES6_15HIP_vector_typeIjLj2EENS0_17counting_iteratorIjlEEPS9_SG_NS0_5tupleIJPjSI_NS0_16reverse_iteratorISI_EEEEENSH_IJSG_SG_SG_EEES9_SI_JZNS1_25segmented_radix_sort_implINS0_14default_configELb0EPKfPfPKlPlN2at6native12_GLOBAL__N_18offset_tEEE10hipError_tPvRmT1_PNSt15iterator_traitsIS12_E10value_typeET2_T3_PNS13_IS18_E10value_typeET4_jRbjT5_S1E_jjP12ihipStream_tbEUljE_ZNSN_ISO_Lb0ESQ_SR_ST_SU_SY_EESZ_S10_S11_S12_S16_S17_S18_S1B_S1C_jS1D_jS1E_S1E_jjS1G_bEUljE0_EEESZ_S10_S11_S18_S1C_S1E_T6_T7_T9_mT8_S1G_bDpT10_ENKUlT_T0_E_clISt17integral_constantIbLb0EES1T_IbLb1EEEEDaS1P_S1Q_EUlS1P_E_NS1_11comp_targetILNS1_3genE9ELNS1_11target_archE1100ELNS1_3gpuE3ELNS1_3repE0EEENS1_30default_config_static_selectorELNS0_4arch9wavefront6targetE0EEEvS12_
                                        ; -- End function
	.section	.AMDGPU.csdata,"",@progbits
; Kernel info:
; codeLenInByte = 15060
; NumSgprs: 57
; NumVgprs: 103
; ScratchSize: 0
; MemoryBound: 0
; FloatMode: 240
; IeeeMode: 1
; LDSByteSize: 13340 bytes/workgroup (compile time only)
; SGPRBlocks: 7
; VGPRBlocks: 12
; NumSGPRsForWavesPerEU: 57
; NumVGPRsForWavesPerEU: 103
; Occupancy: 12
; WaveLimiterHint : 1
; COMPUTE_PGM_RSRC2:SCRATCH_EN: 0
; COMPUTE_PGM_RSRC2:USER_SGPR: 15
; COMPUTE_PGM_RSRC2:TRAP_HANDLER: 0
; COMPUTE_PGM_RSRC2:TGID_X_EN: 1
; COMPUTE_PGM_RSRC2:TGID_Y_EN: 0
; COMPUTE_PGM_RSRC2:TGID_Z_EN: 0
; COMPUTE_PGM_RSRC2:TIDIG_COMP_CNT: 0
	.section	.text._ZN7rocprim17ROCPRIM_400000_NS6detail17trampoline_kernelINS0_13select_configILj256ELj13ELNS0_17block_load_methodE3ELS4_3ELS4_3ELNS0_20block_scan_algorithmE0ELj4294967295EEENS1_25partition_config_selectorILNS1_17partition_subalgoE4EjNS0_10empty_typeEbEEZZNS1_14partition_implILS8_4ELb0ES6_15HIP_vector_typeIjLj2EENS0_17counting_iteratorIjlEEPS9_SG_NS0_5tupleIJPjSI_NS0_16reverse_iteratorISI_EEEEENSH_IJSG_SG_SG_EEES9_SI_JZNS1_25segmented_radix_sort_implINS0_14default_configELb0EPKfPfPKlPlN2at6native12_GLOBAL__N_18offset_tEEE10hipError_tPvRmT1_PNSt15iterator_traitsIS12_E10value_typeET2_T3_PNS13_IS18_E10value_typeET4_jRbjT5_S1E_jjP12ihipStream_tbEUljE_ZNSN_ISO_Lb0ESQ_SR_ST_SU_SY_EESZ_S10_S11_S12_S16_S17_S18_S1B_S1C_jS1D_jS1E_S1E_jjS1G_bEUljE0_EEESZ_S10_S11_S18_S1C_S1E_T6_T7_T9_mT8_S1G_bDpT10_ENKUlT_T0_E_clISt17integral_constantIbLb0EES1T_IbLb1EEEEDaS1P_S1Q_EUlS1P_E_NS1_11comp_targetILNS1_3genE8ELNS1_11target_archE1030ELNS1_3gpuE2ELNS1_3repE0EEENS1_30default_config_static_selectorELNS0_4arch9wavefront6targetE0EEEvS12_,"axG",@progbits,_ZN7rocprim17ROCPRIM_400000_NS6detail17trampoline_kernelINS0_13select_configILj256ELj13ELNS0_17block_load_methodE3ELS4_3ELS4_3ELNS0_20block_scan_algorithmE0ELj4294967295EEENS1_25partition_config_selectorILNS1_17partition_subalgoE4EjNS0_10empty_typeEbEEZZNS1_14partition_implILS8_4ELb0ES6_15HIP_vector_typeIjLj2EENS0_17counting_iteratorIjlEEPS9_SG_NS0_5tupleIJPjSI_NS0_16reverse_iteratorISI_EEEEENSH_IJSG_SG_SG_EEES9_SI_JZNS1_25segmented_radix_sort_implINS0_14default_configELb0EPKfPfPKlPlN2at6native12_GLOBAL__N_18offset_tEEE10hipError_tPvRmT1_PNSt15iterator_traitsIS12_E10value_typeET2_T3_PNS13_IS18_E10value_typeET4_jRbjT5_S1E_jjP12ihipStream_tbEUljE_ZNSN_ISO_Lb0ESQ_SR_ST_SU_SY_EESZ_S10_S11_S12_S16_S17_S18_S1B_S1C_jS1D_jS1E_S1E_jjS1G_bEUljE0_EEESZ_S10_S11_S18_S1C_S1E_T6_T7_T9_mT8_S1G_bDpT10_ENKUlT_T0_E_clISt17integral_constantIbLb0EES1T_IbLb1EEEEDaS1P_S1Q_EUlS1P_E_NS1_11comp_targetILNS1_3genE8ELNS1_11target_archE1030ELNS1_3gpuE2ELNS1_3repE0EEENS1_30default_config_static_selectorELNS0_4arch9wavefront6targetE0EEEvS12_,comdat
	.globl	_ZN7rocprim17ROCPRIM_400000_NS6detail17trampoline_kernelINS0_13select_configILj256ELj13ELNS0_17block_load_methodE3ELS4_3ELS4_3ELNS0_20block_scan_algorithmE0ELj4294967295EEENS1_25partition_config_selectorILNS1_17partition_subalgoE4EjNS0_10empty_typeEbEEZZNS1_14partition_implILS8_4ELb0ES6_15HIP_vector_typeIjLj2EENS0_17counting_iteratorIjlEEPS9_SG_NS0_5tupleIJPjSI_NS0_16reverse_iteratorISI_EEEEENSH_IJSG_SG_SG_EEES9_SI_JZNS1_25segmented_radix_sort_implINS0_14default_configELb0EPKfPfPKlPlN2at6native12_GLOBAL__N_18offset_tEEE10hipError_tPvRmT1_PNSt15iterator_traitsIS12_E10value_typeET2_T3_PNS13_IS18_E10value_typeET4_jRbjT5_S1E_jjP12ihipStream_tbEUljE_ZNSN_ISO_Lb0ESQ_SR_ST_SU_SY_EESZ_S10_S11_S12_S16_S17_S18_S1B_S1C_jS1D_jS1E_S1E_jjS1G_bEUljE0_EEESZ_S10_S11_S18_S1C_S1E_T6_T7_T9_mT8_S1G_bDpT10_ENKUlT_T0_E_clISt17integral_constantIbLb0EES1T_IbLb1EEEEDaS1P_S1Q_EUlS1P_E_NS1_11comp_targetILNS1_3genE8ELNS1_11target_archE1030ELNS1_3gpuE2ELNS1_3repE0EEENS1_30default_config_static_selectorELNS0_4arch9wavefront6targetE0EEEvS12_ ; -- Begin function _ZN7rocprim17ROCPRIM_400000_NS6detail17trampoline_kernelINS0_13select_configILj256ELj13ELNS0_17block_load_methodE3ELS4_3ELS4_3ELNS0_20block_scan_algorithmE0ELj4294967295EEENS1_25partition_config_selectorILNS1_17partition_subalgoE4EjNS0_10empty_typeEbEEZZNS1_14partition_implILS8_4ELb0ES6_15HIP_vector_typeIjLj2EENS0_17counting_iteratorIjlEEPS9_SG_NS0_5tupleIJPjSI_NS0_16reverse_iteratorISI_EEEEENSH_IJSG_SG_SG_EEES9_SI_JZNS1_25segmented_radix_sort_implINS0_14default_configELb0EPKfPfPKlPlN2at6native12_GLOBAL__N_18offset_tEEE10hipError_tPvRmT1_PNSt15iterator_traitsIS12_E10value_typeET2_T3_PNS13_IS18_E10value_typeET4_jRbjT5_S1E_jjP12ihipStream_tbEUljE_ZNSN_ISO_Lb0ESQ_SR_ST_SU_SY_EESZ_S10_S11_S12_S16_S17_S18_S1B_S1C_jS1D_jS1E_S1E_jjS1G_bEUljE0_EEESZ_S10_S11_S18_S1C_S1E_T6_T7_T9_mT8_S1G_bDpT10_ENKUlT_T0_E_clISt17integral_constantIbLb0EES1T_IbLb1EEEEDaS1P_S1Q_EUlS1P_E_NS1_11comp_targetILNS1_3genE8ELNS1_11target_archE1030ELNS1_3gpuE2ELNS1_3repE0EEENS1_30default_config_static_selectorELNS0_4arch9wavefront6targetE0EEEvS12_
	.p2align	8
	.type	_ZN7rocprim17ROCPRIM_400000_NS6detail17trampoline_kernelINS0_13select_configILj256ELj13ELNS0_17block_load_methodE3ELS4_3ELS4_3ELNS0_20block_scan_algorithmE0ELj4294967295EEENS1_25partition_config_selectorILNS1_17partition_subalgoE4EjNS0_10empty_typeEbEEZZNS1_14partition_implILS8_4ELb0ES6_15HIP_vector_typeIjLj2EENS0_17counting_iteratorIjlEEPS9_SG_NS0_5tupleIJPjSI_NS0_16reverse_iteratorISI_EEEEENSH_IJSG_SG_SG_EEES9_SI_JZNS1_25segmented_radix_sort_implINS0_14default_configELb0EPKfPfPKlPlN2at6native12_GLOBAL__N_18offset_tEEE10hipError_tPvRmT1_PNSt15iterator_traitsIS12_E10value_typeET2_T3_PNS13_IS18_E10value_typeET4_jRbjT5_S1E_jjP12ihipStream_tbEUljE_ZNSN_ISO_Lb0ESQ_SR_ST_SU_SY_EESZ_S10_S11_S12_S16_S17_S18_S1B_S1C_jS1D_jS1E_S1E_jjS1G_bEUljE0_EEESZ_S10_S11_S18_S1C_S1E_T6_T7_T9_mT8_S1G_bDpT10_ENKUlT_T0_E_clISt17integral_constantIbLb0EES1T_IbLb1EEEEDaS1P_S1Q_EUlS1P_E_NS1_11comp_targetILNS1_3genE8ELNS1_11target_archE1030ELNS1_3gpuE2ELNS1_3repE0EEENS1_30default_config_static_selectorELNS0_4arch9wavefront6targetE0EEEvS12_,@function
_ZN7rocprim17ROCPRIM_400000_NS6detail17trampoline_kernelINS0_13select_configILj256ELj13ELNS0_17block_load_methodE3ELS4_3ELS4_3ELNS0_20block_scan_algorithmE0ELj4294967295EEENS1_25partition_config_selectorILNS1_17partition_subalgoE4EjNS0_10empty_typeEbEEZZNS1_14partition_implILS8_4ELb0ES6_15HIP_vector_typeIjLj2EENS0_17counting_iteratorIjlEEPS9_SG_NS0_5tupleIJPjSI_NS0_16reverse_iteratorISI_EEEEENSH_IJSG_SG_SG_EEES9_SI_JZNS1_25segmented_radix_sort_implINS0_14default_configELb0EPKfPfPKlPlN2at6native12_GLOBAL__N_18offset_tEEE10hipError_tPvRmT1_PNSt15iterator_traitsIS12_E10value_typeET2_T3_PNS13_IS18_E10value_typeET4_jRbjT5_S1E_jjP12ihipStream_tbEUljE_ZNSN_ISO_Lb0ESQ_SR_ST_SU_SY_EESZ_S10_S11_S12_S16_S17_S18_S1B_S1C_jS1D_jS1E_S1E_jjS1G_bEUljE0_EEESZ_S10_S11_S18_S1C_S1E_T6_T7_T9_mT8_S1G_bDpT10_ENKUlT_T0_E_clISt17integral_constantIbLb0EES1T_IbLb1EEEEDaS1P_S1Q_EUlS1P_E_NS1_11comp_targetILNS1_3genE8ELNS1_11target_archE1030ELNS1_3gpuE2ELNS1_3repE0EEENS1_30default_config_static_selectorELNS0_4arch9wavefront6targetE0EEEvS12_: ; @_ZN7rocprim17ROCPRIM_400000_NS6detail17trampoline_kernelINS0_13select_configILj256ELj13ELNS0_17block_load_methodE3ELS4_3ELS4_3ELNS0_20block_scan_algorithmE0ELj4294967295EEENS1_25partition_config_selectorILNS1_17partition_subalgoE4EjNS0_10empty_typeEbEEZZNS1_14partition_implILS8_4ELb0ES6_15HIP_vector_typeIjLj2EENS0_17counting_iteratorIjlEEPS9_SG_NS0_5tupleIJPjSI_NS0_16reverse_iteratorISI_EEEEENSH_IJSG_SG_SG_EEES9_SI_JZNS1_25segmented_radix_sort_implINS0_14default_configELb0EPKfPfPKlPlN2at6native12_GLOBAL__N_18offset_tEEE10hipError_tPvRmT1_PNSt15iterator_traitsIS12_E10value_typeET2_T3_PNS13_IS18_E10value_typeET4_jRbjT5_S1E_jjP12ihipStream_tbEUljE_ZNSN_ISO_Lb0ESQ_SR_ST_SU_SY_EESZ_S10_S11_S12_S16_S17_S18_S1B_S1C_jS1D_jS1E_S1E_jjS1G_bEUljE0_EEESZ_S10_S11_S18_S1C_S1E_T6_T7_T9_mT8_S1G_bDpT10_ENKUlT_T0_E_clISt17integral_constantIbLb0EES1T_IbLb1EEEEDaS1P_S1Q_EUlS1P_E_NS1_11comp_targetILNS1_3genE8ELNS1_11target_archE1030ELNS1_3gpuE2ELNS1_3repE0EEENS1_30default_config_static_selectorELNS0_4arch9wavefront6targetE0EEEvS12_
; %bb.0:
	.section	.rodata,"a",@progbits
	.p2align	6, 0x0
	.amdhsa_kernel _ZN7rocprim17ROCPRIM_400000_NS6detail17trampoline_kernelINS0_13select_configILj256ELj13ELNS0_17block_load_methodE3ELS4_3ELS4_3ELNS0_20block_scan_algorithmE0ELj4294967295EEENS1_25partition_config_selectorILNS1_17partition_subalgoE4EjNS0_10empty_typeEbEEZZNS1_14partition_implILS8_4ELb0ES6_15HIP_vector_typeIjLj2EENS0_17counting_iteratorIjlEEPS9_SG_NS0_5tupleIJPjSI_NS0_16reverse_iteratorISI_EEEEENSH_IJSG_SG_SG_EEES9_SI_JZNS1_25segmented_radix_sort_implINS0_14default_configELb0EPKfPfPKlPlN2at6native12_GLOBAL__N_18offset_tEEE10hipError_tPvRmT1_PNSt15iterator_traitsIS12_E10value_typeET2_T3_PNS13_IS18_E10value_typeET4_jRbjT5_S1E_jjP12ihipStream_tbEUljE_ZNSN_ISO_Lb0ESQ_SR_ST_SU_SY_EESZ_S10_S11_S12_S16_S17_S18_S1B_S1C_jS1D_jS1E_S1E_jjS1G_bEUljE0_EEESZ_S10_S11_S18_S1C_S1E_T6_T7_T9_mT8_S1G_bDpT10_ENKUlT_T0_E_clISt17integral_constantIbLb0EES1T_IbLb1EEEEDaS1P_S1Q_EUlS1P_E_NS1_11comp_targetILNS1_3genE8ELNS1_11target_archE1030ELNS1_3gpuE2ELNS1_3repE0EEENS1_30default_config_static_selectorELNS0_4arch9wavefront6targetE0EEEvS12_
		.amdhsa_group_segment_fixed_size 0
		.amdhsa_private_segment_fixed_size 0
		.amdhsa_kernarg_size 184
		.amdhsa_user_sgpr_count 15
		.amdhsa_user_sgpr_dispatch_ptr 0
		.amdhsa_user_sgpr_queue_ptr 0
		.amdhsa_user_sgpr_kernarg_segment_ptr 1
		.amdhsa_user_sgpr_dispatch_id 0
		.amdhsa_user_sgpr_private_segment_size 0
		.amdhsa_wavefront_size32 1
		.amdhsa_uses_dynamic_stack 0
		.amdhsa_enable_private_segment 0
		.amdhsa_system_sgpr_workgroup_id_x 1
		.amdhsa_system_sgpr_workgroup_id_y 0
		.amdhsa_system_sgpr_workgroup_id_z 0
		.amdhsa_system_sgpr_workgroup_info 0
		.amdhsa_system_vgpr_workitem_id 0
		.amdhsa_next_free_vgpr 1
		.amdhsa_next_free_sgpr 1
		.amdhsa_reserve_vcc 0
		.amdhsa_float_round_mode_32 0
		.amdhsa_float_round_mode_16_64 0
		.amdhsa_float_denorm_mode_32 3
		.amdhsa_float_denorm_mode_16_64 3
		.amdhsa_dx10_clamp 1
		.amdhsa_ieee_mode 1
		.amdhsa_fp16_overflow 0
		.amdhsa_workgroup_processor_mode 1
		.amdhsa_memory_ordered 1
		.amdhsa_forward_progress 0
		.amdhsa_shared_vgpr_count 0
		.amdhsa_exception_fp_ieee_invalid_op 0
		.amdhsa_exception_fp_denorm_src 0
		.amdhsa_exception_fp_ieee_div_zero 0
		.amdhsa_exception_fp_ieee_overflow 0
		.amdhsa_exception_fp_ieee_underflow 0
		.amdhsa_exception_fp_ieee_inexact 0
		.amdhsa_exception_int_div_zero 0
	.end_amdhsa_kernel
	.section	.text._ZN7rocprim17ROCPRIM_400000_NS6detail17trampoline_kernelINS0_13select_configILj256ELj13ELNS0_17block_load_methodE3ELS4_3ELS4_3ELNS0_20block_scan_algorithmE0ELj4294967295EEENS1_25partition_config_selectorILNS1_17partition_subalgoE4EjNS0_10empty_typeEbEEZZNS1_14partition_implILS8_4ELb0ES6_15HIP_vector_typeIjLj2EENS0_17counting_iteratorIjlEEPS9_SG_NS0_5tupleIJPjSI_NS0_16reverse_iteratorISI_EEEEENSH_IJSG_SG_SG_EEES9_SI_JZNS1_25segmented_radix_sort_implINS0_14default_configELb0EPKfPfPKlPlN2at6native12_GLOBAL__N_18offset_tEEE10hipError_tPvRmT1_PNSt15iterator_traitsIS12_E10value_typeET2_T3_PNS13_IS18_E10value_typeET4_jRbjT5_S1E_jjP12ihipStream_tbEUljE_ZNSN_ISO_Lb0ESQ_SR_ST_SU_SY_EESZ_S10_S11_S12_S16_S17_S18_S1B_S1C_jS1D_jS1E_S1E_jjS1G_bEUljE0_EEESZ_S10_S11_S18_S1C_S1E_T6_T7_T9_mT8_S1G_bDpT10_ENKUlT_T0_E_clISt17integral_constantIbLb0EES1T_IbLb1EEEEDaS1P_S1Q_EUlS1P_E_NS1_11comp_targetILNS1_3genE8ELNS1_11target_archE1030ELNS1_3gpuE2ELNS1_3repE0EEENS1_30default_config_static_selectorELNS0_4arch9wavefront6targetE0EEEvS12_,"axG",@progbits,_ZN7rocprim17ROCPRIM_400000_NS6detail17trampoline_kernelINS0_13select_configILj256ELj13ELNS0_17block_load_methodE3ELS4_3ELS4_3ELNS0_20block_scan_algorithmE0ELj4294967295EEENS1_25partition_config_selectorILNS1_17partition_subalgoE4EjNS0_10empty_typeEbEEZZNS1_14partition_implILS8_4ELb0ES6_15HIP_vector_typeIjLj2EENS0_17counting_iteratorIjlEEPS9_SG_NS0_5tupleIJPjSI_NS0_16reverse_iteratorISI_EEEEENSH_IJSG_SG_SG_EEES9_SI_JZNS1_25segmented_radix_sort_implINS0_14default_configELb0EPKfPfPKlPlN2at6native12_GLOBAL__N_18offset_tEEE10hipError_tPvRmT1_PNSt15iterator_traitsIS12_E10value_typeET2_T3_PNS13_IS18_E10value_typeET4_jRbjT5_S1E_jjP12ihipStream_tbEUljE_ZNSN_ISO_Lb0ESQ_SR_ST_SU_SY_EESZ_S10_S11_S12_S16_S17_S18_S1B_S1C_jS1D_jS1E_S1E_jjS1G_bEUljE0_EEESZ_S10_S11_S18_S1C_S1E_T6_T7_T9_mT8_S1G_bDpT10_ENKUlT_T0_E_clISt17integral_constantIbLb0EES1T_IbLb1EEEEDaS1P_S1Q_EUlS1P_E_NS1_11comp_targetILNS1_3genE8ELNS1_11target_archE1030ELNS1_3gpuE2ELNS1_3repE0EEENS1_30default_config_static_selectorELNS0_4arch9wavefront6targetE0EEEvS12_,comdat
.Lfunc_end1395:
	.size	_ZN7rocprim17ROCPRIM_400000_NS6detail17trampoline_kernelINS0_13select_configILj256ELj13ELNS0_17block_load_methodE3ELS4_3ELS4_3ELNS0_20block_scan_algorithmE0ELj4294967295EEENS1_25partition_config_selectorILNS1_17partition_subalgoE4EjNS0_10empty_typeEbEEZZNS1_14partition_implILS8_4ELb0ES6_15HIP_vector_typeIjLj2EENS0_17counting_iteratorIjlEEPS9_SG_NS0_5tupleIJPjSI_NS0_16reverse_iteratorISI_EEEEENSH_IJSG_SG_SG_EEES9_SI_JZNS1_25segmented_radix_sort_implINS0_14default_configELb0EPKfPfPKlPlN2at6native12_GLOBAL__N_18offset_tEEE10hipError_tPvRmT1_PNSt15iterator_traitsIS12_E10value_typeET2_T3_PNS13_IS18_E10value_typeET4_jRbjT5_S1E_jjP12ihipStream_tbEUljE_ZNSN_ISO_Lb0ESQ_SR_ST_SU_SY_EESZ_S10_S11_S12_S16_S17_S18_S1B_S1C_jS1D_jS1E_S1E_jjS1G_bEUljE0_EEESZ_S10_S11_S18_S1C_S1E_T6_T7_T9_mT8_S1G_bDpT10_ENKUlT_T0_E_clISt17integral_constantIbLb0EES1T_IbLb1EEEEDaS1P_S1Q_EUlS1P_E_NS1_11comp_targetILNS1_3genE8ELNS1_11target_archE1030ELNS1_3gpuE2ELNS1_3repE0EEENS1_30default_config_static_selectorELNS0_4arch9wavefront6targetE0EEEvS12_, .Lfunc_end1395-_ZN7rocprim17ROCPRIM_400000_NS6detail17trampoline_kernelINS0_13select_configILj256ELj13ELNS0_17block_load_methodE3ELS4_3ELS4_3ELNS0_20block_scan_algorithmE0ELj4294967295EEENS1_25partition_config_selectorILNS1_17partition_subalgoE4EjNS0_10empty_typeEbEEZZNS1_14partition_implILS8_4ELb0ES6_15HIP_vector_typeIjLj2EENS0_17counting_iteratorIjlEEPS9_SG_NS0_5tupleIJPjSI_NS0_16reverse_iteratorISI_EEEEENSH_IJSG_SG_SG_EEES9_SI_JZNS1_25segmented_radix_sort_implINS0_14default_configELb0EPKfPfPKlPlN2at6native12_GLOBAL__N_18offset_tEEE10hipError_tPvRmT1_PNSt15iterator_traitsIS12_E10value_typeET2_T3_PNS13_IS18_E10value_typeET4_jRbjT5_S1E_jjP12ihipStream_tbEUljE_ZNSN_ISO_Lb0ESQ_SR_ST_SU_SY_EESZ_S10_S11_S12_S16_S17_S18_S1B_S1C_jS1D_jS1E_S1E_jjS1G_bEUljE0_EEESZ_S10_S11_S18_S1C_S1E_T6_T7_T9_mT8_S1G_bDpT10_ENKUlT_T0_E_clISt17integral_constantIbLb0EES1T_IbLb1EEEEDaS1P_S1Q_EUlS1P_E_NS1_11comp_targetILNS1_3genE8ELNS1_11target_archE1030ELNS1_3gpuE2ELNS1_3repE0EEENS1_30default_config_static_selectorELNS0_4arch9wavefront6targetE0EEEvS12_
                                        ; -- End function
	.section	.AMDGPU.csdata,"",@progbits
; Kernel info:
; codeLenInByte = 0
; NumSgprs: 0
; NumVgprs: 0
; ScratchSize: 0
; MemoryBound: 0
; FloatMode: 240
; IeeeMode: 1
; LDSByteSize: 0 bytes/workgroup (compile time only)
; SGPRBlocks: 0
; VGPRBlocks: 0
; NumSGPRsForWavesPerEU: 1
; NumVGPRsForWavesPerEU: 1
; Occupancy: 16
; WaveLimiterHint : 0
; COMPUTE_PGM_RSRC2:SCRATCH_EN: 0
; COMPUTE_PGM_RSRC2:USER_SGPR: 15
; COMPUTE_PGM_RSRC2:TRAP_HANDLER: 0
; COMPUTE_PGM_RSRC2:TGID_X_EN: 1
; COMPUTE_PGM_RSRC2:TGID_Y_EN: 0
; COMPUTE_PGM_RSRC2:TGID_Z_EN: 0
; COMPUTE_PGM_RSRC2:TIDIG_COMP_CNT: 0
	.section	.text._ZN7rocprim17ROCPRIM_400000_NS6detail17trampoline_kernelINS0_13select_configILj256ELj13ELNS0_17block_load_methodE3ELS4_3ELS4_3ELNS0_20block_scan_algorithmE0ELj4294967295EEENS1_25partition_config_selectorILNS1_17partition_subalgoE3EjNS0_10empty_typeEbEEZZNS1_14partition_implILS8_3ELb0ES6_jNS0_17counting_iteratorIjlEEPS9_SE_NS0_5tupleIJPjSE_EEENSF_IJSE_SE_EEES9_SG_JZNS1_25segmented_radix_sort_implINS0_14default_configELb0EPKfPfPKlPlN2at6native12_GLOBAL__N_18offset_tEEE10hipError_tPvRmT1_PNSt15iterator_traitsISY_E10value_typeET2_T3_PNSZ_IS14_E10value_typeET4_jRbjT5_S1A_jjP12ihipStream_tbEUljE_EEESV_SW_SX_S14_S18_S1A_T6_T7_T9_mT8_S1C_bDpT10_ENKUlT_T0_E_clISt17integral_constantIbLb0EES1P_EEDaS1K_S1L_EUlS1K_E_NS1_11comp_targetILNS1_3genE0ELNS1_11target_archE4294967295ELNS1_3gpuE0ELNS1_3repE0EEENS1_30default_config_static_selectorELNS0_4arch9wavefront6targetE0EEEvSY_,"axG",@progbits,_ZN7rocprim17ROCPRIM_400000_NS6detail17trampoline_kernelINS0_13select_configILj256ELj13ELNS0_17block_load_methodE3ELS4_3ELS4_3ELNS0_20block_scan_algorithmE0ELj4294967295EEENS1_25partition_config_selectorILNS1_17partition_subalgoE3EjNS0_10empty_typeEbEEZZNS1_14partition_implILS8_3ELb0ES6_jNS0_17counting_iteratorIjlEEPS9_SE_NS0_5tupleIJPjSE_EEENSF_IJSE_SE_EEES9_SG_JZNS1_25segmented_radix_sort_implINS0_14default_configELb0EPKfPfPKlPlN2at6native12_GLOBAL__N_18offset_tEEE10hipError_tPvRmT1_PNSt15iterator_traitsISY_E10value_typeET2_T3_PNSZ_IS14_E10value_typeET4_jRbjT5_S1A_jjP12ihipStream_tbEUljE_EEESV_SW_SX_S14_S18_S1A_T6_T7_T9_mT8_S1C_bDpT10_ENKUlT_T0_E_clISt17integral_constantIbLb0EES1P_EEDaS1K_S1L_EUlS1K_E_NS1_11comp_targetILNS1_3genE0ELNS1_11target_archE4294967295ELNS1_3gpuE0ELNS1_3repE0EEENS1_30default_config_static_selectorELNS0_4arch9wavefront6targetE0EEEvSY_,comdat
	.globl	_ZN7rocprim17ROCPRIM_400000_NS6detail17trampoline_kernelINS0_13select_configILj256ELj13ELNS0_17block_load_methodE3ELS4_3ELS4_3ELNS0_20block_scan_algorithmE0ELj4294967295EEENS1_25partition_config_selectorILNS1_17partition_subalgoE3EjNS0_10empty_typeEbEEZZNS1_14partition_implILS8_3ELb0ES6_jNS0_17counting_iteratorIjlEEPS9_SE_NS0_5tupleIJPjSE_EEENSF_IJSE_SE_EEES9_SG_JZNS1_25segmented_radix_sort_implINS0_14default_configELb0EPKfPfPKlPlN2at6native12_GLOBAL__N_18offset_tEEE10hipError_tPvRmT1_PNSt15iterator_traitsISY_E10value_typeET2_T3_PNSZ_IS14_E10value_typeET4_jRbjT5_S1A_jjP12ihipStream_tbEUljE_EEESV_SW_SX_S14_S18_S1A_T6_T7_T9_mT8_S1C_bDpT10_ENKUlT_T0_E_clISt17integral_constantIbLb0EES1P_EEDaS1K_S1L_EUlS1K_E_NS1_11comp_targetILNS1_3genE0ELNS1_11target_archE4294967295ELNS1_3gpuE0ELNS1_3repE0EEENS1_30default_config_static_selectorELNS0_4arch9wavefront6targetE0EEEvSY_ ; -- Begin function _ZN7rocprim17ROCPRIM_400000_NS6detail17trampoline_kernelINS0_13select_configILj256ELj13ELNS0_17block_load_methodE3ELS4_3ELS4_3ELNS0_20block_scan_algorithmE0ELj4294967295EEENS1_25partition_config_selectorILNS1_17partition_subalgoE3EjNS0_10empty_typeEbEEZZNS1_14partition_implILS8_3ELb0ES6_jNS0_17counting_iteratorIjlEEPS9_SE_NS0_5tupleIJPjSE_EEENSF_IJSE_SE_EEES9_SG_JZNS1_25segmented_radix_sort_implINS0_14default_configELb0EPKfPfPKlPlN2at6native12_GLOBAL__N_18offset_tEEE10hipError_tPvRmT1_PNSt15iterator_traitsISY_E10value_typeET2_T3_PNSZ_IS14_E10value_typeET4_jRbjT5_S1A_jjP12ihipStream_tbEUljE_EEESV_SW_SX_S14_S18_S1A_T6_T7_T9_mT8_S1C_bDpT10_ENKUlT_T0_E_clISt17integral_constantIbLb0EES1P_EEDaS1K_S1L_EUlS1K_E_NS1_11comp_targetILNS1_3genE0ELNS1_11target_archE4294967295ELNS1_3gpuE0ELNS1_3repE0EEENS1_30default_config_static_selectorELNS0_4arch9wavefront6targetE0EEEvSY_
	.p2align	8
	.type	_ZN7rocprim17ROCPRIM_400000_NS6detail17trampoline_kernelINS0_13select_configILj256ELj13ELNS0_17block_load_methodE3ELS4_3ELS4_3ELNS0_20block_scan_algorithmE0ELj4294967295EEENS1_25partition_config_selectorILNS1_17partition_subalgoE3EjNS0_10empty_typeEbEEZZNS1_14partition_implILS8_3ELb0ES6_jNS0_17counting_iteratorIjlEEPS9_SE_NS0_5tupleIJPjSE_EEENSF_IJSE_SE_EEES9_SG_JZNS1_25segmented_radix_sort_implINS0_14default_configELb0EPKfPfPKlPlN2at6native12_GLOBAL__N_18offset_tEEE10hipError_tPvRmT1_PNSt15iterator_traitsISY_E10value_typeET2_T3_PNSZ_IS14_E10value_typeET4_jRbjT5_S1A_jjP12ihipStream_tbEUljE_EEESV_SW_SX_S14_S18_S1A_T6_T7_T9_mT8_S1C_bDpT10_ENKUlT_T0_E_clISt17integral_constantIbLb0EES1P_EEDaS1K_S1L_EUlS1K_E_NS1_11comp_targetILNS1_3genE0ELNS1_11target_archE4294967295ELNS1_3gpuE0ELNS1_3repE0EEENS1_30default_config_static_selectorELNS0_4arch9wavefront6targetE0EEEvSY_,@function
_ZN7rocprim17ROCPRIM_400000_NS6detail17trampoline_kernelINS0_13select_configILj256ELj13ELNS0_17block_load_methodE3ELS4_3ELS4_3ELNS0_20block_scan_algorithmE0ELj4294967295EEENS1_25partition_config_selectorILNS1_17partition_subalgoE3EjNS0_10empty_typeEbEEZZNS1_14partition_implILS8_3ELb0ES6_jNS0_17counting_iteratorIjlEEPS9_SE_NS0_5tupleIJPjSE_EEENSF_IJSE_SE_EEES9_SG_JZNS1_25segmented_radix_sort_implINS0_14default_configELb0EPKfPfPKlPlN2at6native12_GLOBAL__N_18offset_tEEE10hipError_tPvRmT1_PNSt15iterator_traitsISY_E10value_typeET2_T3_PNSZ_IS14_E10value_typeET4_jRbjT5_S1A_jjP12ihipStream_tbEUljE_EEESV_SW_SX_S14_S18_S1A_T6_T7_T9_mT8_S1C_bDpT10_ENKUlT_T0_E_clISt17integral_constantIbLb0EES1P_EEDaS1K_S1L_EUlS1K_E_NS1_11comp_targetILNS1_3genE0ELNS1_11target_archE4294967295ELNS1_3gpuE0ELNS1_3repE0EEENS1_30default_config_static_selectorELNS0_4arch9wavefront6targetE0EEEvSY_: ; @_ZN7rocprim17ROCPRIM_400000_NS6detail17trampoline_kernelINS0_13select_configILj256ELj13ELNS0_17block_load_methodE3ELS4_3ELS4_3ELNS0_20block_scan_algorithmE0ELj4294967295EEENS1_25partition_config_selectorILNS1_17partition_subalgoE3EjNS0_10empty_typeEbEEZZNS1_14partition_implILS8_3ELb0ES6_jNS0_17counting_iteratorIjlEEPS9_SE_NS0_5tupleIJPjSE_EEENSF_IJSE_SE_EEES9_SG_JZNS1_25segmented_radix_sort_implINS0_14default_configELb0EPKfPfPKlPlN2at6native12_GLOBAL__N_18offset_tEEE10hipError_tPvRmT1_PNSt15iterator_traitsISY_E10value_typeET2_T3_PNSZ_IS14_E10value_typeET4_jRbjT5_S1A_jjP12ihipStream_tbEUljE_EEESV_SW_SX_S14_S18_S1A_T6_T7_T9_mT8_S1C_bDpT10_ENKUlT_T0_E_clISt17integral_constantIbLb0EES1P_EEDaS1K_S1L_EUlS1K_E_NS1_11comp_targetILNS1_3genE0ELNS1_11target_archE4294967295ELNS1_3gpuE0ELNS1_3repE0EEENS1_30default_config_static_selectorELNS0_4arch9wavefront6targetE0EEEvSY_
; %bb.0:
	.section	.rodata,"a",@progbits
	.p2align	6, 0x0
	.amdhsa_kernel _ZN7rocprim17ROCPRIM_400000_NS6detail17trampoline_kernelINS0_13select_configILj256ELj13ELNS0_17block_load_methodE3ELS4_3ELS4_3ELNS0_20block_scan_algorithmE0ELj4294967295EEENS1_25partition_config_selectorILNS1_17partition_subalgoE3EjNS0_10empty_typeEbEEZZNS1_14partition_implILS8_3ELb0ES6_jNS0_17counting_iteratorIjlEEPS9_SE_NS0_5tupleIJPjSE_EEENSF_IJSE_SE_EEES9_SG_JZNS1_25segmented_radix_sort_implINS0_14default_configELb0EPKfPfPKlPlN2at6native12_GLOBAL__N_18offset_tEEE10hipError_tPvRmT1_PNSt15iterator_traitsISY_E10value_typeET2_T3_PNSZ_IS14_E10value_typeET4_jRbjT5_S1A_jjP12ihipStream_tbEUljE_EEESV_SW_SX_S14_S18_S1A_T6_T7_T9_mT8_S1C_bDpT10_ENKUlT_T0_E_clISt17integral_constantIbLb0EES1P_EEDaS1K_S1L_EUlS1K_E_NS1_11comp_targetILNS1_3genE0ELNS1_11target_archE4294967295ELNS1_3gpuE0ELNS1_3repE0EEENS1_30default_config_static_selectorELNS0_4arch9wavefront6targetE0EEEvSY_
		.amdhsa_group_segment_fixed_size 0
		.amdhsa_private_segment_fixed_size 0
		.amdhsa_kernarg_size 144
		.amdhsa_user_sgpr_count 15
		.amdhsa_user_sgpr_dispatch_ptr 0
		.amdhsa_user_sgpr_queue_ptr 0
		.amdhsa_user_sgpr_kernarg_segment_ptr 1
		.amdhsa_user_sgpr_dispatch_id 0
		.amdhsa_user_sgpr_private_segment_size 0
		.amdhsa_wavefront_size32 1
		.amdhsa_uses_dynamic_stack 0
		.amdhsa_enable_private_segment 0
		.amdhsa_system_sgpr_workgroup_id_x 1
		.amdhsa_system_sgpr_workgroup_id_y 0
		.amdhsa_system_sgpr_workgroup_id_z 0
		.amdhsa_system_sgpr_workgroup_info 0
		.amdhsa_system_vgpr_workitem_id 0
		.amdhsa_next_free_vgpr 1
		.amdhsa_next_free_sgpr 1
		.amdhsa_reserve_vcc 0
		.amdhsa_float_round_mode_32 0
		.amdhsa_float_round_mode_16_64 0
		.amdhsa_float_denorm_mode_32 3
		.amdhsa_float_denorm_mode_16_64 3
		.amdhsa_dx10_clamp 1
		.amdhsa_ieee_mode 1
		.amdhsa_fp16_overflow 0
		.amdhsa_workgroup_processor_mode 1
		.amdhsa_memory_ordered 1
		.amdhsa_forward_progress 0
		.amdhsa_shared_vgpr_count 0
		.amdhsa_exception_fp_ieee_invalid_op 0
		.amdhsa_exception_fp_denorm_src 0
		.amdhsa_exception_fp_ieee_div_zero 0
		.amdhsa_exception_fp_ieee_overflow 0
		.amdhsa_exception_fp_ieee_underflow 0
		.amdhsa_exception_fp_ieee_inexact 0
		.amdhsa_exception_int_div_zero 0
	.end_amdhsa_kernel
	.section	.text._ZN7rocprim17ROCPRIM_400000_NS6detail17trampoline_kernelINS0_13select_configILj256ELj13ELNS0_17block_load_methodE3ELS4_3ELS4_3ELNS0_20block_scan_algorithmE0ELj4294967295EEENS1_25partition_config_selectorILNS1_17partition_subalgoE3EjNS0_10empty_typeEbEEZZNS1_14partition_implILS8_3ELb0ES6_jNS0_17counting_iteratorIjlEEPS9_SE_NS0_5tupleIJPjSE_EEENSF_IJSE_SE_EEES9_SG_JZNS1_25segmented_radix_sort_implINS0_14default_configELb0EPKfPfPKlPlN2at6native12_GLOBAL__N_18offset_tEEE10hipError_tPvRmT1_PNSt15iterator_traitsISY_E10value_typeET2_T3_PNSZ_IS14_E10value_typeET4_jRbjT5_S1A_jjP12ihipStream_tbEUljE_EEESV_SW_SX_S14_S18_S1A_T6_T7_T9_mT8_S1C_bDpT10_ENKUlT_T0_E_clISt17integral_constantIbLb0EES1P_EEDaS1K_S1L_EUlS1K_E_NS1_11comp_targetILNS1_3genE0ELNS1_11target_archE4294967295ELNS1_3gpuE0ELNS1_3repE0EEENS1_30default_config_static_selectorELNS0_4arch9wavefront6targetE0EEEvSY_,"axG",@progbits,_ZN7rocprim17ROCPRIM_400000_NS6detail17trampoline_kernelINS0_13select_configILj256ELj13ELNS0_17block_load_methodE3ELS4_3ELS4_3ELNS0_20block_scan_algorithmE0ELj4294967295EEENS1_25partition_config_selectorILNS1_17partition_subalgoE3EjNS0_10empty_typeEbEEZZNS1_14partition_implILS8_3ELb0ES6_jNS0_17counting_iteratorIjlEEPS9_SE_NS0_5tupleIJPjSE_EEENSF_IJSE_SE_EEES9_SG_JZNS1_25segmented_radix_sort_implINS0_14default_configELb0EPKfPfPKlPlN2at6native12_GLOBAL__N_18offset_tEEE10hipError_tPvRmT1_PNSt15iterator_traitsISY_E10value_typeET2_T3_PNSZ_IS14_E10value_typeET4_jRbjT5_S1A_jjP12ihipStream_tbEUljE_EEESV_SW_SX_S14_S18_S1A_T6_T7_T9_mT8_S1C_bDpT10_ENKUlT_T0_E_clISt17integral_constantIbLb0EES1P_EEDaS1K_S1L_EUlS1K_E_NS1_11comp_targetILNS1_3genE0ELNS1_11target_archE4294967295ELNS1_3gpuE0ELNS1_3repE0EEENS1_30default_config_static_selectorELNS0_4arch9wavefront6targetE0EEEvSY_,comdat
.Lfunc_end1396:
	.size	_ZN7rocprim17ROCPRIM_400000_NS6detail17trampoline_kernelINS0_13select_configILj256ELj13ELNS0_17block_load_methodE3ELS4_3ELS4_3ELNS0_20block_scan_algorithmE0ELj4294967295EEENS1_25partition_config_selectorILNS1_17partition_subalgoE3EjNS0_10empty_typeEbEEZZNS1_14partition_implILS8_3ELb0ES6_jNS0_17counting_iteratorIjlEEPS9_SE_NS0_5tupleIJPjSE_EEENSF_IJSE_SE_EEES9_SG_JZNS1_25segmented_radix_sort_implINS0_14default_configELb0EPKfPfPKlPlN2at6native12_GLOBAL__N_18offset_tEEE10hipError_tPvRmT1_PNSt15iterator_traitsISY_E10value_typeET2_T3_PNSZ_IS14_E10value_typeET4_jRbjT5_S1A_jjP12ihipStream_tbEUljE_EEESV_SW_SX_S14_S18_S1A_T6_T7_T9_mT8_S1C_bDpT10_ENKUlT_T0_E_clISt17integral_constantIbLb0EES1P_EEDaS1K_S1L_EUlS1K_E_NS1_11comp_targetILNS1_3genE0ELNS1_11target_archE4294967295ELNS1_3gpuE0ELNS1_3repE0EEENS1_30default_config_static_selectorELNS0_4arch9wavefront6targetE0EEEvSY_, .Lfunc_end1396-_ZN7rocprim17ROCPRIM_400000_NS6detail17trampoline_kernelINS0_13select_configILj256ELj13ELNS0_17block_load_methodE3ELS4_3ELS4_3ELNS0_20block_scan_algorithmE0ELj4294967295EEENS1_25partition_config_selectorILNS1_17partition_subalgoE3EjNS0_10empty_typeEbEEZZNS1_14partition_implILS8_3ELb0ES6_jNS0_17counting_iteratorIjlEEPS9_SE_NS0_5tupleIJPjSE_EEENSF_IJSE_SE_EEES9_SG_JZNS1_25segmented_radix_sort_implINS0_14default_configELb0EPKfPfPKlPlN2at6native12_GLOBAL__N_18offset_tEEE10hipError_tPvRmT1_PNSt15iterator_traitsISY_E10value_typeET2_T3_PNSZ_IS14_E10value_typeET4_jRbjT5_S1A_jjP12ihipStream_tbEUljE_EEESV_SW_SX_S14_S18_S1A_T6_T7_T9_mT8_S1C_bDpT10_ENKUlT_T0_E_clISt17integral_constantIbLb0EES1P_EEDaS1K_S1L_EUlS1K_E_NS1_11comp_targetILNS1_3genE0ELNS1_11target_archE4294967295ELNS1_3gpuE0ELNS1_3repE0EEENS1_30default_config_static_selectorELNS0_4arch9wavefront6targetE0EEEvSY_
                                        ; -- End function
	.section	.AMDGPU.csdata,"",@progbits
; Kernel info:
; codeLenInByte = 0
; NumSgprs: 0
; NumVgprs: 0
; ScratchSize: 0
; MemoryBound: 0
; FloatMode: 240
; IeeeMode: 1
; LDSByteSize: 0 bytes/workgroup (compile time only)
; SGPRBlocks: 0
; VGPRBlocks: 0
; NumSGPRsForWavesPerEU: 1
; NumVGPRsForWavesPerEU: 1
; Occupancy: 16
; WaveLimiterHint : 0
; COMPUTE_PGM_RSRC2:SCRATCH_EN: 0
; COMPUTE_PGM_RSRC2:USER_SGPR: 15
; COMPUTE_PGM_RSRC2:TRAP_HANDLER: 0
; COMPUTE_PGM_RSRC2:TGID_X_EN: 1
; COMPUTE_PGM_RSRC2:TGID_Y_EN: 0
; COMPUTE_PGM_RSRC2:TGID_Z_EN: 0
; COMPUTE_PGM_RSRC2:TIDIG_COMP_CNT: 0
	.section	.text._ZN7rocprim17ROCPRIM_400000_NS6detail17trampoline_kernelINS0_13select_configILj256ELj13ELNS0_17block_load_methodE3ELS4_3ELS4_3ELNS0_20block_scan_algorithmE0ELj4294967295EEENS1_25partition_config_selectorILNS1_17partition_subalgoE3EjNS0_10empty_typeEbEEZZNS1_14partition_implILS8_3ELb0ES6_jNS0_17counting_iteratorIjlEEPS9_SE_NS0_5tupleIJPjSE_EEENSF_IJSE_SE_EEES9_SG_JZNS1_25segmented_radix_sort_implINS0_14default_configELb0EPKfPfPKlPlN2at6native12_GLOBAL__N_18offset_tEEE10hipError_tPvRmT1_PNSt15iterator_traitsISY_E10value_typeET2_T3_PNSZ_IS14_E10value_typeET4_jRbjT5_S1A_jjP12ihipStream_tbEUljE_EEESV_SW_SX_S14_S18_S1A_T6_T7_T9_mT8_S1C_bDpT10_ENKUlT_T0_E_clISt17integral_constantIbLb0EES1P_EEDaS1K_S1L_EUlS1K_E_NS1_11comp_targetILNS1_3genE5ELNS1_11target_archE942ELNS1_3gpuE9ELNS1_3repE0EEENS1_30default_config_static_selectorELNS0_4arch9wavefront6targetE0EEEvSY_,"axG",@progbits,_ZN7rocprim17ROCPRIM_400000_NS6detail17trampoline_kernelINS0_13select_configILj256ELj13ELNS0_17block_load_methodE3ELS4_3ELS4_3ELNS0_20block_scan_algorithmE0ELj4294967295EEENS1_25partition_config_selectorILNS1_17partition_subalgoE3EjNS0_10empty_typeEbEEZZNS1_14partition_implILS8_3ELb0ES6_jNS0_17counting_iteratorIjlEEPS9_SE_NS0_5tupleIJPjSE_EEENSF_IJSE_SE_EEES9_SG_JZNS1_25segmented_radix_sort_implINS0_14default_configELb0EPKfPfPKlPlN2at6native12_GLOBAL__N_18offset_tEEE10hipError_tPvRmT1_PNSt15iterator_traitsISY_E10value_typeET2_T3_PNSZ_IS14_E10value_typeET4_jRbjT5_S1A_jjP12ihipStream_tbEUljE_EEESV_SW_SX_S14_S18_S1A_T6_T7_T9_mT8_S1C_bDpT10_ENKUlT_T0_E_clISt17integral_constantIbLb0EES1P_EEDaS1K_S1L_EUlS1K_E_NS1_11comp_targetILNS1_3genE5ELNS1_11target_archE942ELNS1_3gpuE9ELNS1_3repE0EEENS1_30default_config_static_selectorELNS0_4arch9wavefront6targetE0EEEvSY_,comdat
	.globl	_ZN7rocprim17ROCPRIM_400000_NS6detail17trampoline_kernelINS0_13select_configILj256ELj13ELNS0_17block_load_methodE3ELS4_3ELS4_3ELNS0_20block_scan_algorithmE0ELj4294967295EEENS1_25partition_config_selectorILNS1_17partition_subalgoE3EjNS0_10empty_typeEbEEZZNS1_14partition_implILS8_3ELb0ES6_jNS0_17counting_iteratorIjlEEPS9_SE_NS0_5tupleIJPjSE_EEENSF_IJSE_SE_EEES9_SG_JZNS1_25segmented_radix_sort_implINS0_14default_configELb0EPKfPfPKlPlN2at6native12_GLOBAL__N_18offset_tEEE10hipError_tPvRmT1_PNSt15iterator_traitsISY_E10value_typeET2_T3_PNSZ_IS14_E10value_typeET4_jRbjT5_S1A_jjP12ihipStream_tbEUljE_EEESV_SW_SX_S14_S18_S1A_T6_T7_T9_mT8_S1C_bDpT10_ENKUlT_T0_E_clISt17integral_constantIbLb0EES1P_EEDaS1K_S1L_EUlS1K_E_NS1_11comp_targetILNS1_3genE5ELNS1_11target_archE942ELNS1_3gpuE9ELNS1_3repE0EEENS1_30default_config_static_selectorELNS0_4arch9wavefront6targetE0EEEvSY_ ; -- Begin function _ZN7rocprim17ROCPRIM_400000_NS6detail17trampoline_kernelINS0_13select_configILj256ELj13ELNS0_17block_load_methodE3ELS4_3ELS4_3ELNS0_20block_scan_algorithmE0ELj4294967295EEENS1_25partition_config_selectorILNS1_17partition_subalgoE3EjNS0_10empty_typeEbEEZZNS1_14partition_implILS8_3ELb0ES6_jNS0_17counting_iteratorIjlEEPS9_SE_NS0_5tupleIJPjSE_EEENSF_IJSE_SE_EEES9_SG_JZNS1_25segmented_radix_sort_implINS0_14default_configELb0EPKfPfPKlPlN2at6native12_GLOBAL__N_18offset_tEEE10hipError_tPvRmT1_PNSt15iterator_traitsISY_E10value_typeET2_T3_PNSZ_IS14_E10value_typeET4_jRbjT5_S1A_jjP12ihipStream_tbEUljE_EEESV_SW_SX_S14_S18_S1A_T6_T7_T9_mT8_S1C_bDpT10_ENKUlT_T0_E_clISt17integral_constantIbLb0EES1P_EEDaS1K_S1L_EUlS1K_E_NS1_11comp_targetILNS1_3genE5ELNS1_11target_archE942ELNS1_3gpuE9ELNS1_3repE0EEENS1_30default_config_static_selectorELNS0_4arch9wavefront6targetE0EEEvSY_
	.p2align	8
	.type	_ZN7rocprim17ROCPRIM_400000_NS6detail17trampoline_kernelINS0_13select_configILj256ELj13ELNS0_17block_load_methodE3ELS4_3ELS4_3ELNS0_20block_scan_algorithmE0ELj4294967295EEENS1_25partition_config_selectorILNS1_17partition_subalgoE3EjNS0_10empty_typeEbEEZZNS1_14partition_implILS8_3ELb0ES6_jNS0_17counting_iteratorIjlEEPS9_SE_NS0_5tupleIJPjSE_EEENSF_IJSE_SE_EEES9_SG_JZNS1_25segmented_radix_sort_implINS0_14default_configELb0EPKfPfPKlPlN2at6native12_GLOBAL__N_18offset_tEEE10hipError_tPvRmT1_PNSt15iterator_traitsISY_E10value_typeET2_T3_PNSZ_IS14_E10value_typeET4_jRbjT5_S1A_jjP12ihipStream_tbEUljE_EEESV_SW_SX_S14_S18_S1A_T6_T7_T9_mT8_S1C_bDpT10_ENKUlT_T0_E_clISt17integral_constantIbLb0EES1P_EEDaS1K_S1L_EUlS1K_E_NS1_11comp_targetILNS1_3genE5ELNS1_11target_archE942ELNS1_3gpuE9ELNS1_3repE0EEENS1_30default_config_static_selectorELNS0_4arch9wavefront6targetE0EEEvSY_,@function
_ZN7rocprim17ROCPRIM_400000_NS6detail17trampoline_kernelINS0_13select_configILj256ELj13ELNS0_17block_load_methodE3ELS4_3ELS4_3ELNS0_20block_scan_algorithmE0ELj4294967295EEENS1_25partition_config_selectorILNS1_17partition_subalgoE3EjNS0_10empty_typeEbEEZZNS1_14partition_implILS8_3ELb0ES6_jNS0_17counting_iteratorIjlEEPS9_SE_NS0_5tupleIJPjSE_EEENSF_IJSE_SE_EEES9_SG_JZNS1_25segmented_radix_sort_implINS0_14default_configELb0EPKfPfPKlPlN2at6native12_GLOBAL__N_18offset_tEEE10hipError_tPvRmT1_PNSt15iterator_traitsISY_E10value_typeET2_T3_PNSZ_IS14_E10value_typeET4_jRbjT5_S1A_jjP12ihipStream_tbEUljE_EEESV_SW_SX_S14_S18_S1A_T6_T7_T9_mT8_S1C_bDpT10_ENKUlT_T0_E_clISt17integral_constantIbLb0EES1P_EEDaS1K_S1L_EUlS1K_E_NS1_11comp_targetILNS1_3genE5ELNS1_11target_archE942ELNS1_3gpuE9ELNS1_3repE0EEENS1_30default_config_static_selectorELNS0_4arch9wavefront6targetE0EEEvSY_: ; @_ZN7rocprim17ROCPRIM_400000_NS6detail17trampoline_kernelINS0_13select_configILj256ELj13ELNS0_17block_load_methodE3ELS4_3ELS4_3ELNS0_20block_scan_algorithmE0ELj4294967295EEENS1_25partition_config_selectorILNS1_17partition_subalgoE3EjNS0_10empty_typeEbEEZZNS1_14partition_implILS8_3ELb0ES6_jNS0_17counting_iteratorIjlEEPS9_SE_NS0_5tupleIJPjSE_EEENSF_IJSE_SE_EEES9_SG_JZNS1_25segmented_radix_sort_implINS0_14default_configELb0EPKfPfPKlPlN2at6native12_GLOBAL__N_18offset_tEEE10hipError_tPvRmT1_PNSt15iterator_traitsISY_E10value_typeET2_T3_PNSZ_IS14_E10value_typeET4_jRbjT5_S1A_jjP12ihipStream_tbEUljE_EEESV_SW_SX_S14_S18_S1A_T6_T7_T9_mT8_S1C_bDpT10_ENKUlT_T0_E_clISt17integral_constantIbLb0EES1P_EEDaS1K_S1L_EUlS1K_E_NS1_11comp_targetILNS1_3genE5ELNS1_11target_archE942ELNS1_3gpuE9ELNS1_3repE0EEENS1_30default_config_static_selectorELNS0_4arch9wavefront6targetE0EEEvSY_
; %bb.0:
	.section	.rodata,"a",@progbits
	.p2align	6, 0x0
	.amdhsa_kernel _ZN7rocprim17ROCPRIM_400000_NS6detail17trampoline_kernelINS0_13select_configILj256ELj13ELNS0_17block_load_methodE3ELS4_3ELS4_3ELNS0_20block_scan_algorithmE0ELj4294967295EEENS1_25partition_config_selectorILNS1_17partition_subalgoE3EjNS0_10empty_typeEbEEZZNS1_14partition_implILS8_3ELb0ES6_jNS0_17counting_iteratorIjlEEPS9_SE_NS0_5tupleIJPjSE_EEENSF_IJSE_SE_EEES9_SG_JZNS1_25segmented_radix_sort_implINS0_14default_configELb0EPKfPfPKlPlN2at6native12_GLOBAL__N_18offset_tEEE10hipError_tPvRmT1_PNSt15iterator_traitsISY_E10value_typeET2_T3_PNSZ_IS14_E10value_typeET4_jRbjT5_S1A_jjP12ihipStream_tbEUljE_EEESV_SW_SX_S14_S18_S1A_T6_T7_T9_mT8_S1C_bDpT10_ENKUlT_T0_E_clISt17integral_constantIbLb0EES1P_EEDaS1K_S1L_EUlS1K_E_NS1_11comp_targetILNS1_3genE5ELNS1_11target_archE942ELNS1_3gpuE9ELNS1_3repE0EEENS1_30default_config_static_selectorELNS0_4arch9wavefront6targetE0EEEvSY_
		.amdhsa_group_segment_fixed_size 0
		.amdhsa_private_segment_fixed_size 0
		.amdhsa_kernarg_size 144
		.amdhsa_user_sgpr_count 15
		.amdhsa_user_sgpr_dispatch_ptr 0
		.amdhsa_user_sgpr_queue_ptr 0
		.amdhsa_user_sgpr_kernarg_segment_ptr 1
		.amdhsa_user_sgpr_dispatch_id 0
		.amdhsa_user_sgpr_private_segment_size 0
		.amdhsa_wavefront_size32 1
		.amdhsa_uses_dynamic_stack 0
		.amdhsa_enable_private_segment 0
		.amdhsa_system_sgpr_workgroup_id_x 1
		.amdhsa_system_sgpr_workgroup_id_y 0
		.amdhsa_system_sgpr_workgroup_id_z 0
		.amdhsa_system_sgpr_workgroup_info 0
		.amdhsa_system_vgpr_workitem_id 0
		.amdhsa_next_free_vgpr 1
		.amdhsa_next_free_sgpr 1
		.amdhsa_reserve_vcc 0
		.amdhsa_float_round_mode_32 0
		.amdhsa_float_round_mode_16_64 0
		.amdhsa_float_denorm_mode_32 3
		.amdhsa_float_denorm_mode_16_64 3
		.amdhsa_dx10_clamp 1
		.amdhsa_ieee_mode 1
		.amdhsa_fp16_overflow 0
		.amdhsa_workgroup_processor_mode 1
		.amdhsa_memory_ordered 1
		.amdhsa_forward_progress 0
		.amdhsa_shared_vgpr_count 0
		.amdhsa_exception_fp_ieee_invalid_op 0
		.amdhsa_exception_fp_denorm_src 0
		.amdhsa_exception_fp_ieee_div_zero 0
		.amdhsa_exception_fp_ieee_overflow 0
		.amdhsa_exception_fp_ieee_underflow 0
		.amdhsa_exception_fp_ieee_inexact 0
		.amdhsa_exception_int_div_zero 0
	.end_amdhsa_kernel
	.section	.text._ZN7rocprim17ROCPRIM_400000_NS6detail17trampoline_kernelINS0_13select_configILj256ELj13ELNS0_17block_load_methodE3ELS4_3ELS4_3ELNS0_20block_scan_algorithmE0ELj4294967295EEENS1_25partition_config_selectorILNS1_17partition_subalgoE3EjNS0_10empty_typeEbEEZZNS1_14partition_implILS8_3ELb0ES6_jNS0_17counting_iteratorIjlEEPS9_SE_NS0_5tupleIJPjSE_EEENSF_IJSE_SE_EEES9_SG_JZNS1_25segmented_radix_sort_implINS0_14default_configELb0EPKfPfPKlPlN2at6native12_GLOBAL__N_18offset_tEEE10hipError_tPvRmT1_PNSt15iterator_traitsISY_E10value_typeET2_T3_PNSZ_IS14_E10value_typeET4_jRbjT5_S1A_jjP12ihipStream_tbEUljE_EEESV_SW_SX_S14_S18_S1A_T6_T7_T9_mT8_S1C_bDpT10_ENKUlT_T0_E_clISt17integral_constantIbLb0EES1P_EEDaS1K_S1L_EUlS1K_E_NS1_11comp_targetILNS1_3genE5ELNS1_11target_archE942ELNS1_3gpuE9ELNS1_3repE0EEENS1_30default_config_static_selectorELNS0_4arch9wavefront6targetE0EEEvSY_,"axG",@progbits,_ZN7rocprim17ROCPRIM_400000_NS6detail17trampoline_kernelINS0_13select_configILj256ELj13ELNS0_17block_load_methodE3ELS4_3ELS4_3ELNS0_20block_scan_algorithmE0ELj4294967295EEENS1_25partition_config_selectorILNS1_17partition_subalgoE3EjNS0_10empty_typeEbEEZZNS1_14partition_implILS8_3ELb0ES6_jNS0_17counting_iteratorIjlEEPS9_SE_NS0_5tupleIJPjSE_EEENSF_IJSE_SE_EEES9_SG_JZNS1_25segmented_radix_sort_implINS0_14default_configELb0EPKfPfPKlPlN2at6native12_GLOBAL__N_18offset_tEEE10hipError_tPvRmT1_PNSt15iterator_traitsISY_E10value_typeET2_T3_PNSZ_IS14_E10value_typeET4_jRbjT5_S1A_jjP12ihipStream_tbEUljE_EEESV_SW_SX_S14_S18_S1A_T6_T7_T9_mT8_S1C_bDpT10_ENKUlT_T0_E_clISt17integral_constantIbLb0EES1P_EEDaS1K_S1L_EUlS1K_E_NS1_11comp_targetILNS1_3genE5ELNS1_11target_archE942ELNS1_3gpuE9ELNS1_3repE0EEENS1_30default_config_static_selectorELNS0_4arch9wavefront6targetE0EEEvSY_,comdat
.Lfunc_end1397:
	.size	_ZN7rocprim17ROCPRIM_400000_NS6detail17trampoline_kernelINS0_13select_configILj256ELj13ELNS0_17block_load_methodE3ELS4_3ELS4_3ELNS0_20block_scan_algorithmE0ELj4294967295EEENS1_25partition_config_selectorILNS1_17partition_subalgoE3EjNS0_10empty_typeEbEEZZNS1_14partition_implILS8_3ELb0ES6_jNS0_17counting_iteratorIjlEEPS9_SE_NS0_5tupleIJPjSE_EEENSF_IJSE_SE_EEES9_SG_JZNS1_25segmented_radix_sort_implINS0_14default_configELb0EPKfPfPKlPlN2at6native12_GLOBAL__N_18offset_tEEE10hipError_tPvRmT1_PNSt15iterator_traitsISY_E10value_typeET2_T3_PNSZ_IS14_E10value_typeET4_jRbjT5_S1A_jjP12ihipStream_tbEUljE_EEESV_SW_SX_S14_S18_S1A_T6_T7_T9_mT8_S1C_bDpT10_ENKUlT_T0_E_clISt17integral_constantIbLb0EES1P_EEDaS1K_S1L_EUlS1K_E_NS1_11comp_targetILNS1_3genE5ELNS1_11target_archE942ELNS1_3gpuE9ELNS1_3repE0EEENS1_30default_config_static_selectorELNS0_4arch9wavefront6targetE0EEEvSY_, .Lfunc_end1397-_ZN7rocprim17ROCPRIM_400000_NS6detail17trampoline_kernelINS0_13select_configILj256ELj13ELNS0_17block_load_methodE3ELS4_3ELS4_3ELNS0_20block_scan_algorithmE0ELj4294967295EEENS1_25partition_config_selectorILNS1_17partition_subalgoE3EjNS0_10empty_typeEbEEZZNS1_14partition_implILS8_3ELb0ES6_jNS0_17counting_iteratorIjlEEPS9_SE_NS0_5tupleIJPjSE_EEENSF_IJSE_SE_EEES9_SG_JZNS1_25segmented_radix_sort_implINS0_14default_configELb0EPKfPfPKlPlN2at6native12_GLOBAL__N_18offset_tEEE10hipError_tPvRmT1_PNSt15iterator_traitsISY_E10value_typeET2_T3_PNSZ_IS14_E10value_typeET4_jRbjT5_S1A_jjP12ihipStream_tbEUljE_EEESV_SW_SX_S14_S18_S1A_T6_T7_T9_mT8_S1C_bDpT10_ENKUlT_T0_E_clISt17integral_constantIbLb0EES1P_EEDaS1K_S1L_EUlS1K_E_NS1_11comp_targetILNS1_3genE5ELNS1_11target_archE942ELNS1_3gpuE9ELNS1_3repE0EEENS1_30default_config_static_selectorELNS0_4arch9wavefront6targetE0EEEvSY_
                                        ; -- End function
	.section	.AMDGPU.csdata,"",@progbits
; Kernel info:
; codeLenInByte = 0
; NumSgprs: 0
; NumVgprs: 0
; ScratchSize: 0
; MemoryBound: 0
; FloatMode: 240
; IeeeMode: 1
; LDSByteSize: 0 bytes/workgroup (compile time only)
; SGPRBlocks: 0
; VGPRBlocks: 0
; NumSGPRsForWavesPerEU: 1
; NumVGPRsForWavesPerEU: 1
; Occupancy: 16
; WaveLimiterHint : 0
; COMPUTE_PGM_RSRC2:SCRATCH_EN: 0
; COMPUTE_PGM_RSRC2:USER_SGPR: 15
; COMPUTE_PGM_RSRC2:TRAP_HANDLER: 0
; COMPUTE_PGM_RSRC2:TGID_X_EN: 1
; COMPUTE_PGM_RSRC2:TGID_Y_EN: 0
; COMPUTE_PGM_RSRC2:TGID_Z_EN: 0
; COMPUTE_PGM_RSRC2:TIDIG_COMP_CNT: 0
	.section	.text._ZN7rocprim17ROCPRIM_400000_NS6detail17trampoline_kernelINS0_13select_configILj256ELj13ELNS0_17block_load_methodE3ELS4_3ELS4_3ELNS0_20block_scan_algorithmE0ELj4294967295EEENS1_25partition_config_selectorILNS1_17partition_subalgoE3EjNS0_10empty_typeEbEEZZNS1_14partition_implILS8_3ELb0ES6_jNS0_17counting_iteratorIjlEEPS9_SE_NS0_5tupleIJPjSE_EEENSF_IJSE_SE_EEES9_SG_JZNS1_25segmented_radix_sort_implINS0_14default_configELb0EPKfPfPKlPlN2at6native12_GLOBAL__N_18offset_tEEE10hipError_tPvRmT1_PNSt15iterator_traitsISY_E10value_typeET2_T3_PNSZ_IS14_E10value_typeET4_jRbjT5_S1A_jjP12ihipStream_tbEUljE_EEESV_SW_SX_S14_S18_S1A_T6_T7_T9_mT8_S1C_bDpT10_ENKUlT_T0_E_clISt17integral_constantIbLb0EES1P_EEDaS1K_S1L_EUlS1K_E_NS1_11comp_targetILNS1_3genE4ELNS1_11target_archE910ELNS1_3gpuE8ELNS1_3repE0EEENS1_30default_config_static_selectorELNS0_4arch9wavefront6targetE0EEEvSY_,"axG",@progbits,_ZN7rocprim17ROCPRIM_400000_NS6detail17trampoline_kernelINS0_13select_configILj256ELj13ELNS0_17block_load_methodE3ELS4_3ELS4_3ELNS0_20block_scan_algorithmE0ELj4294967295EEENS1_25partition_config_selectorILNS1_17partition_subalgoE3EjNS0_10empty_typeEbEEZZNS1_14partition_implILS8_3ELb0ES6_jNS0_17counting_iteratorIjlEEPS9_SE_NS0_5tupleIJPjSE_EEENSF_IJSE_SE_EEES9_SG_JZNS1_25segmented_radix_sort_implINS0_14default_configELb0EPKfPfPKlPlN2at6native12_GLOBAL__N_18offset_tEEE10hipError_tPvRmT1_PNSt15iterator_traitsISY_E10value_typeET2_T3_PNSZ_IS14_E10value_typeET4_jRbjT5_S1A_jjP12ihipStream_tbEUljE_EEESV_SW_SX_S14_S18_S1A_T6_T7_T9_mT8_S1C_bDpT10_ENKUlT_T0_E_clISt17integral_constantIbLb0EES1P_EEDaS1K_S1L_EUlS1K_E_NS1_11comp_targetILNS1_3genE4ELNS1_11target_archE910ELNS1_3gpuE8ELNS1_3repE0EEENS1_30default_config_static_selectorELNS0_4arch9wavefront6targetE0EEEvSY_,comdat
	.globl	_ZN7rocprim17ROCPRIM_400000_NS6detail17trampoline_kernelINS0_13select_configILj256ELj13ELNS0_17block_load_methodE3ELS4_3ELS4_3ELNS0_20block_scan_algorithmE0ELj4294967295EEENS1_25partition_config_selectorILNS1_17partition_subalgoE3EjNS0_10empty_typeEbEEZZNS1_14partition_implILS8_3ELb0ES6_jNS0_17counting_iteratorIjlEEPS9_SE_NS0_5tupleIJPjSE_EEENSF_IJSE_SE_EEES9_SG_JZNS1_25segmented_radix_sort_implINS0_14default_configELb0EPKfPfPKlPlN2at6native12_GLOBAL__N_18offset_tEEE10hipError_tPvRmT1_PNSt15iterator_traitsISY_E10value_typeET2_T3_PNSZ_IS14_E10value_typeET4_jRbjT5_S1A_jjP12ihipStream_tbEUljE_EEESV_SW_SX_S14_S18_S1A_T6_T7_T9_mT8_S1C_bDpT10_ENKUlT_T0_E_clISt17integral_constantIbLb0EES1P_EEDaS1K_S1L_EUlS1K_E_NS1_11comp_targetILNS1_3genE4ELNS1_11target_archE910ELNS1_3gpuE8ELNS1_3repE0EEENS1_30default_config_static_selectorELNS0_4arch9wavefront6targetE0EEEvSY_ ; -- Begin function _ZN7rocprim17ROCPRIM_400000_NS6detail17trampoline_kernelINS0_13select_configILj256ELj13ELNS0_17block_load_methodE3ELS4_3ELS4_3ELNS0_20block_scan_algorithmE0ELj4294967295EEENS1_25partition_config_selectorILNS1_17partition_subalgoE3EjNS0_10empty_typeEbEEZZNS1_14partition_implILS8_3ELb0ES6_jNS0_17counting_iteratorIjlEEPS9_SE_NS0_5tupleIJPjSE_EEENSF_IJSE_SE_EEES9_SG_JZNS1_25segmented_radix_sort_implINS0_14default_configELb0EPKfPfPKlPlN2at6native12_GLOBAL__N_18offset_tEEE10hipError_tPvRmT1_PNSt15iterator_traitsISY_E10value_typeET2_T3_PNSZ_IS14_E10value_typeET4_jRbjT5_S1A_jjP12ihipStream_tbEUljE_EEESV_SW_SX_S14_S18_S1A_T6_T7_T9_mT8_S1C_bDpT10_ENKUlT_T0_E_clISt17integral_constantIbLb0EES1P_EEDaS1K_S1L_EUlS1K_E_NS1_11comp_targetILNS1_3genE4ELNS1_11target_archE910ELNS1_3gpuE8ELNS1_3repE0EEENS1_30default_config_static_selectorELNS0_4arch9wavefront6targetE0EEEvSY_
	.p2align	8
	.type	_ZN7rocprim17ROCPRIM_400000_NS6detail17trampoline_kernelINS0_13select_configILj256ELj13ELNS0_17block_load_methodE3ELS4_3ELS4_3ELNS0_20block_scan_algorithmE0ELj4294967295EEENS1_25partition_config_selectorILNS1_17partition_subalgoE3EjNS0_10empty_typeEbEEZZNS1_14partition_implILS8_3ELb0ES6_jNS0_17counting_iteratorIjlEEPS9_SE_NS0_5tupleIJPjSE_EEENSF_IJSE_SE_EEES9_SG_JZNS1_25segmented_radix_sort_implINS0_14default_configELb0EPKfPfPKlPlN2at6native12_GLOBAL__N_18offset_tEEE10hipError_tPvRmT1_PNSt15iterator_traitsISY_E10value_typeET2_T3_PNSZ_IS14_E10value_typeET4_jRbjT5_S1A_jjP12ihipStream_tbEUljE_EEESV_SW_SX_S14_S18_S1A_T6_T7_T9_mT8_S1C_bDpT10_ENKUlT_T0_E_clISt17integral_constantIbLb0EES1P_EEDaS1K_S1L_EUlS1K_E_NS1_11comp_targetILNS1_3genE4ELNS1_11target_archE910ELNS1_3gpuE8ELNS1_3repE0EEENS1_30default_config_static_selectorELNS0_4arch9wavefront6targetE0EEEvSY_,@function
_ZN7rocprim17ROCPRIM_400000_NS6detail17trampoline_kernelINS0_13select_configILj256ELj13ELNS0_17block_load_methodE3ELS4_3ELS4_3ELNS0_20block_scan_algorithmE0ELj4294967295EEENS1_25partition_config_selectorILNS1_17partition_subalgoE3EjNS0_10empty_typeEbEEZZNS1_14partition_implILS8_3ELb0ES6_jNS0_17counting_iteratorIjlEEPS9_SE_NS0_5tupleIJPjSE_EEENSF_IJSE_SE_EEES9_SG_JZNS1_25segmented_radix_sort_implINS0_14default_configELb0EPKfPfPKlPlN2at6native12_GLOBAL__N_18offset_tEEE10hipError_tPvRmT1_PNSt15iterator_traitsISY_E10value_typeET2_T3_PNSZ_IS14_E10value_typeET4_jRbjT5_S1A_jjP12ihipStream_tbEUljE_EEESV_SW_SX_S14_S18_S1A_T6_T7_T9_mT8_S1C_bDpT10_ENKUlT_T0_E_clISt17integral_constantIbLb0EES1P_EEDaS1K_S1L_EUlS1K_E_NS1_11comp_targetILNS1_3genE4ELNS1_11target_archE910ELNS1_3gpuE8ELNS1_3repE0EEENS1_30default_config_static_selectorELNS0_4arch9wavefront6targetE0EEEvSY_: ; @_ZN7rocprim17ROCPRIM_400000_NS6detail17trampoline_kernelINS0_13select_configILj256ELj13ELNS0_17block_load_methodE3ELS4_3ELS4_3ELNS0_20block_scan_algorithmE0ELj4294967295EEENS1_25partition_config_selectorILNS1_17partition_subalgoE3EjNS0_10empty_typeEbEEZZNS1_14partition_implILS8_3ELb0ES6_jNS0_17counting_iteratorIjlEEPS9_SE_NS0_5tupleIJPjSE_EEENSF_IJSE_SE_EEES9_SG_JZNS1_25segmented_radix_sort_implINS0_14default_configELb0EPKfPfPKlPlN2at6native12_GLOBAL__N_18offset_tEEE10hipError_tPvRmT1_PNSt15iterator_traitsISY_E10value_typeET2_T3_PNSZ_IS14_E10value_typeET4_jRbjT5_S1A_jjP12ihipStream_tbEUljE_EEESV_SW_SX_S14_S18_S1A_T6_T7_T9_mT8_S1C_bDpT10_ENKUlT_T0_E_clISt17integral_constantIbLb0EES1P_EEDaS1K_S1L_EUlS1K_E_NS1_11comp_targetILNS1_3genE4ELNS1_11target_archE910ELNS1_3gpuE8ELNS1_3repE0EEENS1_30default_config_static_selectorELNS0_4arch9wavefront6targetE0EEEvSY_
; %bb.0:
	.section	.rodata,"a",@progbits
	.p2align	6, 0x0
	.amdhsa_kernel _ZN7rocprim17ROCPRIM_400000_NS6detail17trampoline_kernelINS0_13select_configILj256ELj13ELNS0_17block_load_methodE3ELS4_3ELS4_3ELNS0_20block_scan_algorithmE0ELj4294967295EEENS1_25partition_config_selectorILNS1_17partition_subalgoE3EjNS0_10empty_typeEbEEZZNS1_14partition_implILS8_3ELb0ES6_jNS0_17counting_iteratorIjlEEPS9_SE_NS0_5tupleIJPjSE_EEENSF_IJSE_SE_EEES9_SG_JZNS1_25segmented_radix_sort_implINS0_14default_configELb0EPKfPfPKlPlN2at6native12_GLOBAL__N_18offset_tEEE10hipError_tPvRmT1_PNSt15iterator_traitsISY_E10value_typeET2_T3_PNSZ_IS14_E10value_typeET4_jRbjT5_S1A_jjP12ihipStream_tbEUljE_EEESV_SW_SX_S14_S18_S1A_T6_T7_T9_mT8_S1C_bDpT10_ENKUlT_T0_E_clISt17integral_constantIbLb0EES1P_EEDaS1K_S1L_EUlS1K_E_NS1_11comp_targetILNS1_3genE4ELNS1_11target_archE910ELNS1_3gpuE8ELNS1_3repE0EEENS1_30default_config_static_selectorELNS0_4arch9wavefront6targetE0EEEvSY_
		.amdhsa_group_segment_fixed_size 0
		.amdhsa_private_segment_fixed_size 0
		.amdhsa_kernarg_size 144
		.amdhsa_user_sgpr_count 15
		.amdhsa_user_sgpr_dispatch_ptr 0
		.amdhsa_user_sgpr_queue_ptr 0
		.amdhsa_user_sgpr_kernarg_segment_ptr 1
		.amdhsa_user_sgpr_dispatch_id 0
		.amdhsa_user_sgpr_private_segment_size 0
		.amdhsa_wavefront_size32 1
		.amdhsa_uses_dynamic_stack 0
		.amdhsa_enable_private_segment 0
		.amdhsa_system_sgpr_workgroup_id_x 1
		.amdhsa_system_sgpr_workgroup_id_y 0
		.amdhsa_system_sgpr_workgroup_id_z 0
		.amdhsa_system_sgpr_workgroup_info 0
		.amdhsa_system_vgpr_workitem_id 0
		.amdhsa_next_free_vgpr 1
		.amdhsa_next_free_sgpr 1
		.amdhsa_reserve_vcc 0
		.amdhsa_float_round_mode_32 0
		.amdhsa_float_round_mode_16_64 0
		.amdhsa_float_denorm_mode_32 3
		.amdhsa_float_denorm_mode_16_64 3
		.amdhsa_dx10_clamp 1
		.amdhsa_ieee_mode 1
		.amdhsa_fp16_overflow 0
		.amdhsa_workgroup_processor_mode 1
		.amdhsa_memory_ordered 1
		.amdhsa_forward_progress 0
		.amdhsa_shared_vgpr_count 0
		.amdhsa_exception_fp_ieee_invalid_op 0
		.amdhsa_exception_fp_denorm_src 0
		.amdhsa_exception_fp_ieee_div_zero 0
		.amdhsa_exception_fp_ieee_overflow 0
		.amdhsa_exception_fp_ieee_underflow 0
		.amdhsa_exception_fp_ieee_inexact 0
		.amdhsa_exception_int_div_zero 0
	.end_amdhsa_kernel
	.section	.text._ZN7rocprim17ROCPRIM_400000_NS6detail17trampoline_kernelINS0_13select_configILj256ELj13ELNS0_17block_load_methodE3ELS4_3ELS4_3ELNS0_20block_scan_algorithmE0ELj4294967295EEENS1_25partition_config_selectorILNS1_17partition_subalgoE3EjNS0_10empty_typeEbEEZZNS1_14partition_implILS8_3ELb0ES6_jNS0_17counting_iteratorIjlEEPS9_SE_NS0_5tupleIJPjSE_EEENSF_IJSE_SE_EEES9_SG_JZNS1_25segmented_radix_sort_implINS0_14default_configELb0EPKfPfPKlPlN2at6native12_GLOBAL__N_18offset_tEEE10hipError_tPvRmT1_PNSt15iterator_traitsISY_E10value_typeET2_T3_PNSZ_IS14_E10value_typeET4_jRbjT5_S1A_jjP12ihipStream_tbEUljE_EEESV_SW_SX_S14_S18_S1A_T6_T7_T9_mT8_S1C_bDpT10_ENKUlT_T0_E_clISt17integral_constantIbLb0EES1P_EEDaS1K_S1L_EUlS1K_E_NS1_11comp_targetILNS1_3genE4ELNS1_11target_archE910ELNS1_3gpuE8ELNS1_3repE0EEENS1_30default_config_static_selectorELNS0_4arch9wavefront6targetE0EEEvSY_,"axG",@progbits,_ZN7rocprim17ROCPRIM_400000_NS6detail17trampoline_kernelINS0_13select_configILj256ELj13ELNS0_17block_load_methodE3ELS4_3ELS4_3ELNS0_20block_scan_algorithmE0ELj4294967295EEENS1_25partition_config_selectorILNS1_17partition_subalgoE3EjNS0_10empty_typeEbEEZZNS1_14partition_implILS8_3ELb0ES6_jNS0_17counting_iteratorIjlEEPS9_SE_NS0_5tupleIJPjSE_EEENSF_IJSE_SE_EEES9_SG_JZNS1_25segmented_radix_sort_implINS0_14default_configELb0EPKfPfPKlPlN2at6native12_GLOBAL__N_18offset_tEEE10hipError_tPvRmT1_PNSt15iterator_traitsISY_E10value_typeET2_T3_PNSZ_IS14_E10value_typeET4_jRbjT5_S1A_jjP12ihipStream_tbEUljE_EEESV_SW_SX_S14_S18_S1A_T6_T7_T9_mT8_S1C_bDpT10_ENKUlT_T0_E_clISt17integral_constantIbLb0EES1P_EEDaS1K_S1L_EUlS1K_E_NS1_11comp_targetILNS1_3genE4ELNS1_11target_archE910ELNS1_3gpuE8ELNS1_3repE0EEENS1_30default_config_static_selectorELNS0_4arch9wavefront6targetE0EEEvSY_,comdat
.Lfunc_end1398:
	.size	_ZN7rocprim17ROCPRIM_400000_NS6detail17trampoline_kernelINS0_13select_configILj256ELj13ELNS0_17block_load_methodE3ELS4_3ELS4_3ELNS0_20block_scan_algorithmE0ELj4294967295EEENS1_25partition_config_selectorILNS1_17partition_subalgoE3EjNS0_10empty_typeEbEEZZNS1_14partition_implILS8_3ELb0ES6_jNS0_17counting_iteratorIjlEEPS9_SE_NS0_5tupleIJPjSE_EEENSF_IJSE_SE_EEES9_SG_JZNS1_25segmented_radix_sort_implINS0_14default_configELb0EPKfPfPKlPlN2at6native12_GLOBAL__N_18offset_tEEE10hipError_tPvRmT1_PNSt15iterator_traitsISY_E10value_typeET2_T3_PNSZ_IS14_E10value_typeET4_jRbjT5_S1A_jjP12ihipStream_tbEUljE_EEESV_SW_SX_S14_S18_S1A_T6_T7_T9_mT8_S1C_bDpT10_ENKUlT_T0_E_clISt17integral_constantIbLb0EES1P_EEDaS1K_S1L_EUlS1K_E_NS1_11comp_targetILNS1_3genE4ELNS1_11target_archE910ELNS1_3gpuE8ELNS1_3repE0EEENS1_30default_config_static_selectorELNS0_4arch9wavefront6targetE0EEEvSY_, .Lfunc_end1398-_ZN7rocprim17ROCPRIM_400000_NS6detail17trampoline_kernelINS0_13select_configILj256ELj13ELNS0_17block_load_methodE3ELS4_3ELS4_3ELNS0_20block_scan_algorithmE0ELj4294967295EEENS1_25partition_config_selectorILNS1_17partition_subalgoE3EjNS0_10empty_typeEbEEZZNS1_14partition_implILS8_3ELb0ES6_jNS0_17counting_iteratorIjlEEPS9_SE_NS0_5tupleIJPjSE_EEENSF_IJSE_SE_EEES9_SG_JZNS1_25segmented_radix_sort_implINS0_14default_configELb0EPKfPfPKlPlN2at6native12_GLOBAL__N_18offset_tEEE10hipError_tPvRmT1_PNSt15iterator_traitsISY_E10value_typeET2_T3_PNSZ_IS14_E10value_typeET4_jRbjT5_S1A_jjP12ihipStream_tbEUljE_EEESV_SW_SX_S14_S18_S1A_T6_T7_T9_mT8_S1C_bDpT10_ENKUlT_T0_E_clISt17integral_constantIbLb0EES1P_EEDaS1K_S1L_EUlS1K_E_NS1_11comp_targetILNS1_3genE4ELNS1_11target_archE910ELNS1_3gpuE8ELNS1_3repE0EEENS1_30default_config_static_selectorELNS0_4arch9wavefront6targetE0EEEvSY_
                                        ; -- End function
	.section	.AMDGPU.csdata,"",@progbits
; Kernel info:
; codeLenInByte = 0
; NumSgprs: 0
; NumVgprs: 0
; ScratchSize: 0
; MemoryBound: 0
; FloatMode: 240
; IeeeMode: 1
; LDSByteSize: 0 bytes/workgroup (compile time only)
; SGPRBlocks: 0
; VGPRBlocks: 0
; NumSGPRsForWavesPerEU: 1
; NumVGPRsForWavesPerEU: 1
; Occupancy: 16
; WaveLimiterHint : 0
; COMPUTE_PGM_RSRC2:SCRATCH_EN: 0
; COMPUTE_PGM_RSRC2:USER_SGPR: 15
; COMPUTE_PGM_RSRC2:TRAP_HANDLER: 0
; COMPUTE_PGM_RSRC2:TGID_X_EN: 1
; COMPUTE_PGM_RSRC2:TGID_Y_EN: 0
; COMPUTE_PGM_RSRC2:TGID_Z_EN: 0
; COMPUTE_PGM_RSRC2:TIDIG_COMP_CNT: 0
	.section	.text._ZN7rocprim17ROCPRIM_400000_NS6detail17trampoline_kernelINS0_13select_configILj256ELj13ELNS0_17block_load_methodE3ELS4_3ELS4_3ELNS0_20block_scan_algorithmE0ELj4294967295EEENS1_25partition_config_selectorILNS1_17partition_subalgoE3EjNS0_10empty_typeEbEEZZNS1_14partition_implILS8_3ELb0ES6_jNS0_17counting_iteratorIjlEEPS9_SE_NS0_5tupleIJPjSE_EEENSF_IJSE_SE_EEES9_SG_JZNS1_25segmented_radix_sort_implINS0_14default_configELb0EPKfPfPKlPlN2at6native12_GLOBAL__N_18offset_tEEE10hipError_tPvRmT1_PNSt15iterator_traitsISY_E10value_typeET2_T3_PNSZ_IS14_E10value_typeET4_jRbjT5_S1A_jjP12ihipStream_tbEUljE_EEESV_SW_SX_S14_S18_S1A_T6_T7_T9_mT8_S1C_bDpT10_ENKUlT_T0_E_clISt17integral_constantIbLb0EES1P_EEDaS1K_S1L_EUlS1K_E_NS1_11comp_targetILNS1_3genE3ELNS1_11target_archE908ELNS1_3gpuE7ELNS1_3repE0EEENS1_30default_config_static_selectorELNS0_4arch9wavefront6targetE0EEEvSY_,"axG",@progbits,_ZN7rocprim17ROCPRIM_400000_NS6detail17trampoline_kernelINS0_13select_configILj256ELj13ELNS0_17block_load_methodE3ELS4_3ELS4_3ELNS0_20block_scan_algorithmE0ELj4294967295EEENS1_25partition_config_selectorILNS1_17partition_subalgoE3EjNS0_10empty_typeEbEEZZNS1_14partition_implILS8_3ELb0ES6_jNS0_17counting_iteratorIjlEEPS9_SE_NS0_5tupleIJPjSE_EEENSF_IJSE_SE_EEES9_SG_JZNS1_25segmented_radix_sort_implINS0_14default_configELb0EPKfPfPKlPlN2at6native12_GLOBAL__N_18offset_tEEE10hipError_tPvRmT1_PNSt15iterator_traitsISY_E10value_typeET2_T3_PNSZ_IS14_E10value_typeET4_jRbjT5_S1A_jjP12ihipStream_tbEUljE_EEESV_SW_SX_S14_S18_S1A_T6_T7_T9_mT8_S1C_bDpT10_ENKUlT_T0_E_clISt17integral_constantIbLb0EES1P_EEDaS1K_S1L_EUlS1K_E_NS1_11comp_targetILNS1_3genE3ELNS1_11target_archE908ELNS1_3gpuE7ELNS1_3repE0EEENS1_30default_config_static_selectorELNS0_4arch9wavefront6targetE0EEEvSY_,comdat
	.globl	_ZN7rocprim17ROCPRIM_400000_NS6detail17trampoline_kernelINS0_13select_configILj256ELj13ELNS0_17block_load_methodE3ELS4_3ELS4_3ELNS0_20block_scan_algorithmE0ELj4294967295EEENS1_25partition_config_selectorILNS1_17partition_subalgoE3EjNS0_10empty_typeEbEEZZNS1_14partition_implILS8_3ELb0ES6_jNS0_17counting_iteratorIjlEEPS9_SE_NS0_5tupleIJPjSE_EEENSF_IJSE_SE_EEES9_SG_JZNS1_25segmented_radix_sort_implINS0_14default_configELb0EPKfPfPKlPlN2at6native12_GLOBAL__N_18offset_tEEE10hipError_tPvRmT1_PNSt15iterator_traitsISY_E10value_typeET2_T3_PNSZ_IS14_E10value_typeET4_jRbjT5_S1A_jjP12ihipStream_tbEUljE_EEESV_SW_SX_S14_S18_S1A_T6_T7_T9_mT8_S1C_bDpT10_ENKUlT_T0_E_clISt17integral_constantIbLb0EES1P_EEDaS1K_S1L_EUlS1K_E_NS1_11comp_targetILNS1_3genE3ELNS1_11target_archE908ELNS1_3gpuE7ELNS1_3repE0EEENS1_30default_config_static_selectorELNS0_4arch9wavefront6targetE0EEEvSY_ ; -- Begin function _ZN7rocprim17ROCPRIM_400000_NS6detail17trampoline_kernelINS0_13select_configILj256ELj13ELNS0_17block_load_methodE3ELS4_3ELS4_3ELNS0_20block_scan_algorithmE0ELj4294967295EEENS1_25partition_config_selectorILNS1_17partition_subalgoE3EjNS0_10empty_typeEbEEZZNS1_14partition_implILS8_3ELb0ES6_jNS0_17counting_iteratorIjlEEPS9_SE_NS0_5tupleIJPjSE_EEENSF_IJSE_SE_EEES9_SG_JZNS1_25segmented_radix_sort_implINS0_14default_configELb0EPKfPfPKlPlN2at6native12_GLOBAL__N_18offset_tEEE10hipError_tPvRmT1_PNSt15iterator_traitsISY_E10value_typeET2_T3_PNSZ_IS14_E10value_typeET4_jRbjT5_S1A_jjP12ihipStream_tbEUljE_EEESV_SW_SX_S14_S18_S1A_T6_T7_T9_mT8_S1C_bDpT10_ENKUlT_T0_E_clISt17integral_constantIbLb0EES1P_EEDaS1K_S1L_EUlS1K_E_NS1_11comp_targetILNS1_3genE3ELNS1_11target_archE908ELNS1_3gpuE7ELNS1_3repE0EEENS1_30default_config_static_selectorELNS0_4arch9wavefront6targetE0EEEvSY_
	.p2align	8
	.type	_ZN7rocprim17ROCPRIM_400000_NS6detail17trampoline_kernelINS0_13select_configILj256ELj13ELNS0_17block_load_methodE3ELS4_3ELS4_3ELNS0_20block_scan_algorithmE0ELj4294967295EEENS1_25partition_config_selectorILNS1_17partition_subalgoE3EjNS0_10empty_typeEbEEZZNS1_14partition_implILS8_3ELb0ES6_jNS0_17counting_iteratorIjlEEPS9_SE_NS0_5tupleIJPjSE_EEENSF_IJSE_SE_EEES9_SG_JZNS1_25segmented_radix_sort_implINS0_14default_configELb0EPKfPfPKlPlN2at6native12_GLOBAL__N_18offset_tEEE10hipError_tPvRmT1_PNSt15iterator_traitsISY_E10value_typeET2_T3_PNSZ_IS14_E10value_typeET4_jRbjT5_S1A_jjP12ihipStream_tbEUljE_EEESV_SW_SX_S14_S18_S1A_T6_T7_T9_mT8_S1C_bDpT10_ENKUlT_T0_E_clISt17integral_constantIbLb0EES1P_EEDaS1K_S1L_EUlS1K_E_NS1_11comp_targetILNS1_3genE3ELNS1_11target_archE908ELNS1_3gpuE7ELNS1_3repE0EEENS1_30default_config_static_selectorELNS0_4arch9wavefront6targetE0EEEvSY_,@function
_ZN7rocprim17ROCPRIM_400000_NS6detail17trampoline_kernelINS0_13select_configILj256ELj13ELNS0_17block_load_methodE3ELS4_3ELS4_3ELNS0_20block_scan_algorithmE0ELj4294967295EEENS1_25partition_config_selectorILNS1_17partition_subalgoE3EjNS0_10empty_typeEbEEZZNS1_14partition_implILS8_3ELb0ES6_jNS0_17counting_iteratorIjlEEPS9_SE_NS0_5tupleIJPjSE_EEENSF_IJSE_SE_EEES9_SG_JZNS1_25segmented_radix_sort_implINS0_14default_configELb0EPKfPfPKlPlN2at6native12_GLOBAL__N_18offset_tEEE10hipError_tPvRmT1_PNSt15iterator_traitsISY_E10value_typeET2_T3_PNSZ_IS14_E10value_typeET4_jRbjT5_S1A_jjP12ihipStream_tbEUljE_EEESV_SW_SX_S14_S18_S1A_T6_T7_T9_mT8_S1C_bDpT10_ENKUlT_T0_E_clISt17integral_constantIbLb0EES1P_EEDaS1K_S1L_EUlS1K_E_NS1_11comp_targetILNS1_3genE3ELNS1_11target_archE908ELNS1_3gpuE7ELNS1_3repE0EEENS1_30default_config_static_selectorELNS0_4arch9wavefront6targetE0EEEvSY_: ; @_ZN7rocprim17ROCPRIM_400000_NS6detail17trampoline_kernelINS0_13select_configILj256ELj13ELNS0_17block_load_methodE3ELS4_3ELS4_3ELNS0_20block_scan_algorithmE0ELj4294967295EEENS1_25partition_config_selectorILNS1_17partition_subalgoE3EjNS0_10empty_typeEbEEZZNS1_14partition_implILS8_3ELb0ES6_jNS0_17counting_iteratorIjlEEPS9_SE_NS0_5tupleIJPjSE_EEENSF_IJSE_SE_EEES9_SG_JZNS1_25segmented_radix_sort_implINS0_14default_configELb0EPKfPfPKlPlN2at6native12_GLOBAL__N_18offset_tEEE10hipError_tPvRmT1_PNSt15iterator_traitsISY_E10value_typeET2_T3_PNSZ_IS14_E10value_typeET4_jRbjT5_S1A_jjP12ihipStream_tbEUljE_EEESV_SW_SX_S14_S18_S1A_T6_T7_T9_mT8_S1C_bDpT10_ENKUlT_T0_E_clISt17integral_constantIbLb0EES1P_EEDaS1K_S1L_EUlS1K_E_NS1_11comp_targetILNS1_3genE3ELNS1_11target_archE908ELNS1_3gpuE7ELNS1_3repE0EEENS1_30default_config_static_selectorELNS0_4arch9wavefront6targetE0EEEvSY_
; %bb.0:
	.section	.rodata,"a",@progbits
	.p2align	6, 0x0
	.amdhsa_kernel _ZN7rocprim17ROCPRIM_400000_NS6detail17trampoline_kernelINS0_13select_configILj256ELj13ELNS0_17block_load_methodE3ELS4_3ELS4_3ELNS0_20block_scan_algorithmE0ELj4294967295EEENS1_25partition_config_selectorILNS1_17partition_subalgoE3EjNS0_10empty_typeEbEEZZNS1_14partition_implILS8_3ELb0ES6_jNS0_17counting_iteratorIjlEEPS9_SE_NS0_5tupleIJPjSE_EEENSF_IJSE_SE_EEES9_SG_JZNS1_25segmented_radix_sort_implINS0_14default_configELb0EPKfPfPKlPlN2at6native12_GLOBAL__N_18offset_tEEE10hipError_tPvRmT1_PNSt15iterator_traitsISY_E10value_typeET2_T3_PNSZ_IS14_E10value_typeET4_jRbjT5_S1A_jjP12ihipStream_tbEUljE_EEESV_SW_SX_S14_S18_S1A_T6_T7_T9_mT8_S1C_bDpT10_ENKUlT_T0_E_clISt17integral_constantIbLb0EES1P_EEDaS1K_S1L_EUlS1K_E_NS1_11comp_targetILNS1_3genE3ELNS1_11target_archE908ELNS1_3gpuE7ELNS1_3repE0EEENS1_30default_config_static_selectorELNS0_4arch9wavefront6targetE0EEEvSY_
		.amdhsa_group_segment_fixed_size 0
		.amdhsa_private_segment_fixed_size 0
		.amdhsa_kernarg_size 144
		.amdhsa_user_sgpr_count 15
		.amdhsa_user_sgpr_dispatch_ptr 0
		.amdhsa_user_sgpr_queue_ptr 0
		.amdhsa_user_sgpr_kernarg_segment_ptr 1
		.amdhsa_user_sgpr_dispatch_id 0
		.amdhsa_user_sgpr_private_segment_size 0
		.amdhsa_wavefront_size32 1
		.amdhsa_uses_dynamic_stack 0
		.amdhsa_enable_private_segment 0
		.amdhsa_system_sgpr_workgroup_id_x 1
		.amdhsa_system_sgpr_workgroup_id_y 0
		.amdhsa_system_sgpr_workgroup_id_z 0
		.amdhsa_system_sgpr_workgroup_info 0
		.amdhsa_system_vgpr_workitem_id 0
		.amdhsa_next_free_vgpr 1
		.amdhsa_next_free_sgpr 1
		.amdhsa_reserve_vcc 0
		.amdhsa_float_round_mode_32 0
		.amdhsa_float_round_mode_16_64 0
		.amdhsa_float_denorm_mode_32 3
		.amdhsa_float_denorm_mode_16_64 3
		.amdhsa_dx10_clamp 1
		.amdhsa_ieee_mode 1
		.amdhsa_fp16_overflow 0
		.amdhsa_workgroup_processor_mode 1
		.amdhsa_memory_ordered 1
		.amdhsa_forward_progress 0
		.amdhsa_shared_vgpr_count 0
		.amdhsa_exception_fp_ieee_invalid_op 0
		.amdhsa_exception_fp_denorm_src 0
		.amdhsa_exception_fp_ieee_div_zero 0
		.amdhsa_exception_fp_ieee_overflow 0
		.amdhsa_exception_fp_ieee_underflow 0
		.amdhsa_exception_fp_ieee_inexact 0
		.amdhsa_exception_int_div_zero 0
	.end_amdhsa_kernel
	.section	.text._ZN7rocprim17ROCPRIM_400000_NS6detail17trampoline_kernelINS0_13select_configILj256ELj13ELNS0_17block_load_methodE3ELS4_3ELS4_3ELNS0_20block_scan_algorithmE0ELj4294967295EEENS1_25partition_config_selectorILNS1_17partition_subalgoE3EjNS0_10empty_typeEbEEZZNS1_14partition_implILS8_3ELb0ES6_jNS0_17counting_iteratorIjlEEPS9_SE_NS0_5tupleIJPjSE_EEENSF_IJSE_SE_EEES9_SG_JZNS1_25segmented_radix_sort_implINS0_14default_configELb0EPKfPfPKlPlN2at6native12_GLOBAL__N_18offset_tEEE10hipError_tPvRmT1_PNSt15iterator_traitsISY_E10value_typeET2_T3_PNSZ_IS14_E10value_typeET4_jRbjT5_S1A_jjP12ihipStream_tbEUljE_EEESV_SW_SX_S14_S18_S1A_T6_T7_T9_mT8_S1C_bDpT10_ENKUlT_T0_E_clISt17integral_constantIbLb0EES1P_EEDaS1K_S1L_EUlS1K_E_NS1_11comp_targetILNS1_3genE3ELNS1_11target_archE908ELNS1_3gpuE7ELNS1_3repE0EEENS1_30default_config_static_selectorELNS0_4arch9wavefront6targetE0EEEvSY_,"axG",@progbits,_ZN7rocprim17ROCPRIM_400000_NS6detail17trampoline_kernelINS0_13select_configILj256ELj13ELNS0_17block_load_methodE3ELS4_3ELS4_3ELNS0_20block_scan_algorithmE0ELj4294967295EEENS1_25partition_config_selectorILNS1_17partition_subalgoE3EjNS0_10empty_typeEbEEZZNS1_14partition_implILS8_3ELb0ES6_jNS0_17counting_iteratorIjlEEPS9_SE_NS0_5tupleIJPjSE_EEENSF_IJSE_SE_EEES9_SG_JZNS1_25segmented_radix_sort_implINS0_14default_configELb0EPKfPfPKlPlN2at6native12_GLOBAL__N_18offset_tEEE10hipError_tPvRmT1_PNSt15iterator_traitsISY_E10value_typeET2_T3_PNSZ_IS14_E10value_typeET4_jRbjT5_S1A_jjP12ihipStream_tbEUljE_EEESV_SW_SX_S14_S18_S1A_T6_T7_T9_mT8_S1C_bDpT10_ENKUlT_T0_E_clISt17integral_constantIbLb0EES1P_EEDaS1K_S1L_EUlS1K_E_NS1_11comp_targetILNS1_3genE3ELNS1_11target_archE908ELNS1_3gpuE7ELNS1_3repE0EEENS1_30default_config_static_selectorELNS0_4arch9wavefront6targetE0EEEvSY_,comdat
.Lfunc_end1399:
	.size	_ZN7rocprim17ROCPRIM_400000_NS6detail17trampoline_kernelINS0_13select_configILj256ELj13ELNS0_17block_load_methodE3ELS4_3ELS4_3ELNS0_20block_scan_algorithmE0ELj4294967295EEENS1_25partition_config_selectorILNS1_17partition_subalgoE3EjNS0_10empty_typeEbEEZZNS1_14partition_implILS8_3ELb0ES6_jNS0_17counting_iteratorIjlEEPS9_SE_NS0_5tupleIJPjSE_EEENSF_IJSE_SE_EEES9_SG_JZNS1_25segmented_radix_sort_implINS0_14default_configELb0EPKfPfPKlPlN2at6native12_GLOBAL__N_18offset_tEEE10hipError_tPvRmT1_PNSt15iterator_traitsISY_E10value_typeET2_T3_PNSZ_IS14_E10value_typeET4_jRbjT5_S1A_jjP12ihipStream_tbEUljE_EEESV_SW_SX_S14_S18_S1A_T6_T7_T9_mT8_S1C_bDpT10_ENKUlT_T0_E_clISt17integral_constantIbLb0EES1P_EEDaS1K_S1L_EUlS1K_E_NS1_11comp_targetILNS1_3genE3ELNS1_11target_archE908ELNS1_3gpuE7ELNS1_3repE0EEENS1_30default_config_static_selectorELNS0_4arch9wavefront6targetE0EEEvSY_, .Lfunc_end1399-_ZN7rocprim17ROCPRIM_400000_NS6detail17trampoline_kernelINS0_13select_configILj256ELj13ELNS0_17block_load_methodE3ELS4_3ELS4_3ELNS0_20block_scan_algorithmE0ELj4294967295EEENS1_25partition_config_selectorILNS1_17partition_subalgoE3EjNS0_10empty_typeEbEEZZNS1_14partition_implILS8_3ELb0ES6_jNS0_17counting_iteratorIjlEEPS9_SE_NS0_5tupleIJPjSE_EEENSF_IJSE_SE_EEES9_SG_JZNS1_25segmented_radix_sort_implINS0_14default_configELb0EPKfPfPKlPlN2at6native12_GLOBAL__N_18offset_tEEE10hipError_tPvRmT1_PNSt15iterator_traitsISY_E10value_typeET2_T3_PNSZ_IS14_E10value_typeET4_jRbjT5_S1A_jjP12ihipStream_tbEUljE_EEESV_SW_SX_S14_S18_S1A_T6_T7_T9_mT8_S1C_bDpT10_ENKUlT_T0_E_clISt17integral_constantIbLb0EES1P_EEDaS1K_S1L_EUlS1K_E_NS1_11comp_targetILNS1_3genE3ELNS1_11target_archE908ELNS1_3gpuE7ELNS1_3repE0EEENS1_30default_config_static_selectorELNS0_4arch9wavefront6targetE0EEEvSY_
                                        ; -- End function
	.section	.AMDGPU.csdata,"",@progbits
; Kernel info:
; codeLenInByte = 0
; NumSgprs: 0
; NumVgprs: 0
; ScratchSize: 0
; MemoryBound: 0
; FloatMode: 240
; IeeeMode: 1
; LDSByteSize: 0 bytes/workgroup (compile time only)
; SGPRBlocks: 0
; VGPRBlocks: 0
; NumSGPRsForWavesPerEU: 1
; NumVGPRsForWavesPerEU: 1
; Occupancy: 16
; WaveLimiterHint : 0
; COMPUTE_PGM_RSRC2:SCRATCH_EN: 0
; COMPUTE_PGM_RSRC2:USER_SGPR: 15
; COMPUTE_PGM_RSRC2:TRAP_HANDLER: 0
; COMPUTE_PGM_RSRC2:TGID_X_EN: 1
; COMPUTE_PGM_RSRC2:TGID_Y_EN: 0
; COMPUTE_PGM_RSRC2:TGID_Z_EN: 0
; COMPUTE_PGM_RSRC2:TIDIG_COMP_CNT: 0
	.section	.text._ZN7rocprim17ROCPRIM_400000_NS6detail17trampoline_kernelINS0_13select_configILj256ELj13ELNS0_17block_load_methodE3ELS4_3ELS4_3ELNS0_20block_scan_algorithmE0ELj4294967295EEENS1_25partition_config_selectorILNS1_17partition_subalgoE3EjNS0_10empty_typeEbEEZZNS1_14partition_implILS8_3ELb0ES6_jNS0_17counting_iteratorIjlEEPS9_SE_NS0_5tupleIJPjSE_EEENSF_IJSE_SE_EEES9_SG_JZNS1_25segmented_radix_sort_implINS0_14default_configELb0EPKfPfPKlPlN2at6native12_GLOBAL__N_18offset_tEEE10hipError_tPvRmT1_PNSt15iterator_traitsISY_E10value_typeET2_T3_PNSZ_IS14_E10value_typeET4_jRbjT5_S1A_jjP12ihipStream_tbEUljE_EEESV_SW_SX_S14_S18_S1A_T6_T7_T9_mT8_S1C_bDpT10_ENKUlT_T0_E_clISt17integral_constantIbLb0EES1P_EEDaS1K_S1L_EUlS1K_E_NS1_11comp_targetILNS1_3genE2ELNS1_11target_archE906ELNS1_3gpuE6ELNS1_3repE0EEENS1_30default_config_static_selectorELNS0_4arch9wavefront6targetE0EEEvSY_,"axG",@progbits,_ZN7rocprim17ROCPRIM_400000_NS6detail17trampoline_kernelINS0_13select_configILj256ELj13ELNS0_17block_load_methodE3ELS4_3ELS4_3ELNS0_20block_scan_algorithmE0ELj4294967295EEENS1_25partition_config_selectorILNS1_17partition_subalgoE3EjNS0_10empty_typeEbEEZZNS1_14partition_implILS8_3ELb0ES6_jNS0_17counting_iteratorIjlEEPS9_SE_NS0_5tupleIJPjSE_EEENSF_IJSE_SE_EEES9_SG_JZNS1_25segmented_radix_sort_implINS0_14default_configELb0EPKfPfPKlPlN2at6native12_GLOBAL__N_18offset_tEEE10hipError_tPvRmT1_PNSt15iterator_traitsISY_E10value_typeET2_T3_PNSZ_IS14_E10value_typeET4_jRbjT5_S1A_jjP12ihipStream_tbEUljE_EEESV_SW_SX_S14_S18_S1A_T6_T7_T9_mT8_S1C_bDpT10_ENKUlT_T0_E_clISt17integral_constantIbLb0EES1P_EEDaS1K_S1L_EUlS1K_E_NS1_11comp_targetILNS1_3genE2ELNS1_11target_archE906ELNS1_3gpuE6ELNS1_3repE0EEENS1_30default_config_static_selectorELNS0_4arch9wavefront6targetE0EEEvSY_,comdat
	.globl	_ZN7rocprim17ROCPRIM_400000_NS6detail17trampoline_kernelINS0_13select_configILj256ELj13ELNS0_17block_load_methodE3ELS4_3ELS4_3ELNS0_20block_scan_algorithmE0ELj4294967295EEENS1_25partition_config_selectorILNS1_17partition_subalgoE3EjNS0_10empty_typeEbEEZZNS1_14partition_implILS8_3ELb0ES6_jNS0_17counting_iteratorIjlEEPS9_SE_NS0_5tupleIJPjSE_EEENSF_IJSE_SE_EEES9_SG_JZNS1_25segmented_radix_sort_implINS0_14default_configELb0EPKfPfPKlPlN2at6native12_GLOBAL__N_18offset_tEEE10hipError_tPvRmT1_PNSt15iterator_traitsISY_E10value_typeET2_T3_PNSZ_IS14_E10value_typeET4_jRbjT5_S1A_jjP12ihipStream_tbEUljE_EEESV_SW_SX_S14_S18_S1A_T6_T7_T9_mT8_S1C_bDpT10_ENKUlT_T0_E_clISt17integral_constantIbLb0EES1P_EEDaS1K_S1L_EUlS1K_E_NS1_11comp_targetILNS1_3genE2ELNS1_11target_archE906ELNS1_3gpuE6ELNS1_3repE0EEENS1_30default_config_static_selectorELNS0_4arch9wavefront6targetE0EEEvSY_ ; -- Begin function _ZN7rocprim17ROCPRIM_400000_NS6detail17trampoline_kernelINS0_13select_configILj256ELj13ELNS0_17block_load_methodE3ELS4_3ELS4_3ELNS0_20block_scan_algorithmE0ELj4294967295EEENS1_25partition_config_selectorILNS1_17partition_subalgoE3EjNS0_10empty_typeEbEEZZNS1_14partition_implILS8_3ELb0ES6_jNS0_17counting_iteratorIjlEEPS9_SE_NS0_5tupleIJPjSE_EEENSF_IJSE_SE_EEES9_SG_JZNS1_25segmented_radix_sort_implINS0_14default_configELb0EPKfPfPKlPlN2at6native12_GLOBAL__N_18offset_tEEE10hipError_tPvRmT1_PNSt15iterator_traitsISY_E10value_typeET2_T3_PNSZ_IS14_E10value_typeET4_jRbjT5_S1A_jjP12ihipStream_tbEUljE_EEESV_SW_SX_S14_S18_S1A_T6_T7_T9_mT8_S1C_bDpT10_ENKUlT_T0_E_clISt17integral_constantIbLb0EES1P_EEDaS1K_S1L_EUlS1K_E_NS1_11comp_targetILNS1_3genE2ELNS1_11target_archE906ELNS1_3gpuE6ELNS1_3repE0EEENS1_30default_config_static_selectorELNS0_4arch9wavefront6targetE0EEEvSY_
	.p2align	8
	.type	_ZN7rocprim17ROCPRIM_400000_NS6detail17trampoline_kernelINS0_13select_configILj256ELj13ELNS0_17block_load_methodE3ELS4_3ELS4_3ELNS0_20block_scan_algorithmE0ELj4294967295EEENS1_25partition_config_selectorILNS1_17partition_subalgoE3EjNS0_10empty_typeEbEEZZNS1_14partition_implILS8_3ELb0ES6_jNS0_17counting_iteratorIjlEEPS9_SE_NS0_5tupleIJPjSE_EEENSF_IJSE_SE_EEES9_SG_JZNS1_25segmented_radix_sort_implINS0_14default_configELb0EPKfPfPKlPlN2at6native12_GLOBAL__N_18offset_tEEE10hipError_tPvRmT1_PNSt15iterator_traitsISY_E10value_typeET2_T3_PNSZ_IS14_E10value_typeET4_jRbjT5_S1A_jjP12ihipStream_tbEUljE_EEESV_SW_SX_S14_S18_S1A_T6_T7_T9_mT8_S1C_bDpT10_ENKUlT_T0_E_clISt17integral_constantIbLb0EES1P_EEDaS1K_S1L_EUlS1K_E_NS1_11comp_targetILNS1_3genE2ELNS1_11target_archE906ELNS1_3gpuE6ELNS1_3repE0EEENS1_30default_config_static_selectorELNS0_4arch9wavefront6targetE0EEEvSY_,@function
_ZN7rocprim17ROCPRIM_400000_NS6detail17trampoline_kernelINS0_13select_configILj256ELj13ELNS0_17block_load_methodE3ELS4_3ELS4_3ELNS0_20block_scan_algorithmE0ELj4294967295EEENS1_25partition_config_selectorILNS1_17partition_subalgoE3EjNS0_10empty_typeEbEEZZNS1_14partition_implILS8_3ELb0ES6_jNS0_17counting_iteratorIjlEEPS9_SE_NS0_5tupleIJPjSE_EEENSF_IJSE_SE_EEES9_SG_JZNS1_25segmented_radix_sort_implINS0_14default_configELb0EPKfPfPKlPlN2at6native12_GLOBAL__N_18offset_tEEE10hipError_tPvRmT1_PNSt15iterator_traitsISY_E10value_typeET2_T3_PNSZ_IS14_E10value_typeET4_jRbjT5_S1A_jjP12ihipStream_tbEUljE_EEESV_SW_SX_S14_S18_S1A_T6_T7_T9_mT8_S1C_bDpT10_ENKUlT_T0_E_clISt17integral_constantIbLb0EES1P_EEDaS1K_S1L_EUlS1K_E_NS1_11comp_targetILNS1_3genE2ELNS1_11target_archE906ELNS1_3gpuE6ELNS1_3repE0EEENS1_30default_config_static_selectorELNS0_4arch9wavefront6targetE0EEEvSY_: ; @_ZN7rocprim17ROCPRIM_400000_NS6detail17trampoline_kernelINS0_13select_configILj256ELj13ELNS0_17block_load_methodE3ELS4_3ELS4_3ELNS0_20block_scan_algorithmE0ELj4294967295EEENS1_25partition_config_selectorILNS1_17partition_subalgoE3EjNS0_10empty_typeEbEEZZNS1_14partition_implILS8_3ELb0ES6_jNS0_17counting_iteratorIjlEEPS9_SE_NS0_5tupleIJPjSE_EEENSF_IJSE_SE_EEES9_SG_JZNS1_25segmented_radix_sort_implINS0_14default_configELb0EPKfPfPKlPlN2at6native12_GLOBAL__N_18offset_tEEE10hipError_tPvRmT1_PNSt15iterator_traitsISY_E10value_typeET2_T3_PNSZ_IS14_E10value_typeET4_jRbjT5_S1A_jjP12ihipStream_tbEUljE_EEESV_SW_SX_S14_S18_S1A_T6_T7_T9_mT8_S1C_bDpT10_ENKUlT_T0_E_clISt17integral_constantIbLb0EES1P_EEDaS1K_S1L_EUlS1K_E_NS1_11comp_targetILNS1_3genE2ELNS1_11target_archE906ELNS1_3gpuE6ELNS1_3repE0EEENS1_30default_config_static_selectorELNS0_4arch9wavefront6targetE0EEEvSY_
; %bb.0:
	.section	.rodata,"a",@progbits
	.p2align	6, 0x0
	.amdhsa_kernel _ZN7rocprim17ROCPRIM_400000_NS6detail17trampoline_kernelINS0_13select_configILj256ELj13ELNS0_17block_load_methodE3ELS4_3ELS4_3ELNS0_20block_scan_algorithmE0ELj4294967295EEENS1_25partition_config_selectorILNS1_17partition_subalgoE3EjNS0_10empty_typeEbEEZZNS1_14partition_implILS8_3ELb0ES6_jNS0_17counting_iteratorIjlEEPS9_SE_NS0_5tupleIJPjSE_EEENSF_IJSE_SE_EEES9_SG_JZNS1_25segmented_radix_sort_implINS0_14default_configELb0EPKfPfPKlPlN2at6native12_GLOBAL__N_18offset_tEEE10hipError_tPvRmT1_PNSt15iterator_traitsISY_E10value_typeET2_T3_PNSZ_IS14_E10value_typeET4_jRbjT5_S1A_jjP12ihipStream_tbEUljE_EEESV_SW_SX_S14_S18_S1A_T6_T7_T9_mT8_S1C_bDpT10_ENKUlT_T0_E_clISt17integral_constantIbLb0EES1P_EEDaS1K_S1L_EUlS1K_E_NS1_11comp_targetILNS1_3genE2ELNS1_11target_archE906ELNS1_3gpuE6ELNS1_3repE0EEENS1_30default_config_static_selectorELNS0_4arch9wavefront6targetE0EEEvSY_
		.amdhsa_group_segment_fixed_size 0
		.amdhsa_private_segment_fixed_size 0
		.amdhsa_kernarg_size 144
		.amdhsa_user_sgpr_count 15
		.amdhsa_user_sgpr_dispatch_ptr 0
		.amdhsa_user_sgpr_queue_ptr 0
		.amdhsa_user_sgpr_kernarg_segment_ptr 1
		.amdhsa_user_sgpr_dispatch_id 0
		.amdhsa_user_sgpr_private_segment_size 0
		.amdhsa_wavefront_size32 1
		.amdhsa_uses_dynamic_stack 0
		.amdhsa_enable_private_segment 0
		.amdhsa_system_sgpr_workgroup_id_x 1
		.amdhsa_system_sgpr_workgroup_id_y 0
		.amdhsa_system_sgpr_workgroup_id_z 0
		.amdhsa_system_sgpr_workgroup_info 0
		.amdhsa_system_vgpr_workitem_id 0
		.amdhsa_next_free_vgpr 1
		.amdhsa_next_free_sgpr 1
		.amdhsa_reserve_vcc 0
		.amdhsa_float_round_mode_32 0
		.amdhsa_float_round_mode_16_64 0
		.amdhsa_float_denorm_mode_32 3
		.amdhsa_float_denorm_mode_16_64 3
		.amdhsa_dx10_clamp 1
		.amdhsa_ieee_mode 1
		.amdhsa_fp16_overflow 0
		.amdhsa_workgroup_processor_mode 1
		.amdhsa_memory_ordered 1
		.amdhsa_forward_progress 0
		.amdhsa_shared_vgpr_count 0
		.amdhsa_exception_fp_ieee_invalid_op 0
		.amdhsa_exception_fp_denorm_src 0
		.amdhsa_exception_fp_ieee_div_zero 0
		.amdhsa_exception_fp_ieee_overflow 0
		.amdhsa_exception_fp_ieee_underflow 0
		.amdhsa_exception_fp_ieee_inexact 0
		.amdhsa_exception_int_div_zero 0
	.end_amdhsa_kernel
	.section	.text._ZN7rocprim17ROCPRIM_400000_NS6detail17trampoline_kernelINS0_13select_configILj256ELj13ELNS0_17block_load_methodE3ELS4_3ELS4_3ELNS0_20block_scan_algorithmE0ELj4294967295EEENS1_25partition_config_selectorILNS1_17partition_subalgoE3EjNS0_10empty_typeEbEEZZNS1_14partition_implILS8_3ELb0ES6_jNS0_17counting_iteratorIjlEEPS9_SE_NS0_5tupleIJPjSE_EEENSF_IJSE_SE_EEES9_SG_JZNS1_25segmented_radix_sort_implINS0_14default_configELb0EPKfPfPKlPlN2at6native12_GLOBAL__N_18offset_tEEE10hipError_tPvRmT1_PNSt15iterator_traitsISY_E10value_typeET2_T3_PNSZ_IS14_E10value_typeET4_jRbjT5_S1A_jjP12ihipStream_tbEUljE_EEESV_SW_SX_S14_S18_S1A_T6_T7_T9_mT8_S1C_bDpT10_ENKUlT_T0_E_clISt17integral_constantIbLb0EES1P_EEDaS1K_S1L_EUlS1K_E_NS1_11comp_targetILNS1_3genE2ELNS1_11target_archE906ELNS1_3gpuE6ELNS1_3repE0EEENS1_30default_config_static_selectorELNS0_4arch9wavefront6targetE0EEEvSY_,"axG",@progbits,_ZN7rocprim17ROCPRIM_400000_NS6detail17trampoline_kernelINS0_13select_configILj256ELj13ELNS0_17block_load_methodE3ELS4_3ELS4_3ELNS0_20block_scan_algorithmE0ELj4294967295EEENS1_25partition_config_selectorILNS1_17partition_subalgoE3EjNS0_10empty_typeEbEEZZNS1_14partition_implILS8_3ELb0ES6_jNS0_17counting_iteratorIjlEEPS9_SE_NS0_5tupleIJPjSE_EEENSF_IJSE_SE_EEES9_SG_JZNS1_25segmented_radix_sort_implINS0_14default_configELb0EPKfPfPKlPlN2at6native12_GLOBAL__N_18offset_tEEE10hipError_tPvRmT1_PNSt15iterator_traitsISY_E10value_typeET2_T3_PNSZ_IS14_E10value_typeET4_jRbjT5_S1A_jjP12ihipStream_tbEUljE_EEESV_SW_SX_S14_S18_S1A_T6_T7_T9_mT8_S1C_bDpT10_ENKUlT_T0_E_clISt17integral_constantIbLb0EES1P_EEDaS1K_S1L_EUlS1K_E_NS1_11comp_targetILNS1_3genE2ELNS1_11target_archE906ELNS1_3gpuE6ELNS1_3repE0EEENS1_30default_config_static_selectorELNS0_4arch9wavefront6targetE0EEEvSY_,comdat
.Lfunc_end1400:
	.size	_ZN7rocprim17ROCPRIM_400000_NS6detail17trampoline_kernelINS0_13select_configILj256ELj13ELNS0_17block_load_methodE3ELS4_3ELS4_3ELNS0_20block_scan_algorithmE0ELj4294967295EEENS1_25partition_config_selectorILNS1_17partition_subalgoE3EjNS0_10empty_typeEbEEZZNS1_14partition_implILS8_3ELb0ES6_jNS0_17counting_iteratorIjlEEPS9_SE_NS0_5tupleIJPjSE_EEENSF_IJSE_SE_EEES9_SG_JZNS1_25segmented_radix_sort_implINS0_14default_configELb0EPKfPfPKlPlN2at6native12_GLOBAL__N_18offset_tEEE10hipError_tPvRmT1_PNSt15iterator_traitsISY_E10value_typeET2_T3_PNSZ_IS14_E10value_typeET4_jRbjT5_S1A_jjP12ihipStream_tbEUljE_EEESV_SW_SX_S14_S18_S1A_T6_T7_T9_mT8_S1C_bDpT10_ENKUlT_T0_E_clISt17integral_constantIbLb0EES1P_EEDaS1K_S1L_EUlS1K_E_NS1_11comp_targetILNS1_3genE2ELNS1_11target_archE906ELNS1_3gpuE6ELNS1_3repE0EEENS1_30default_config_static_selectorELNS0_4arch9wavefront6targetE0EEEvSY_, .Lfunc_end1400-_ZN7rocprim17ROCPRIM_400000_NS6detail17trampoline_kernelINS0_13select_configILj256ELj13ELNS0_17block_load_methodE3ELS4_3ELS4_3ELNS0_20block_scan_algorithmE0ELj4294967295EEENS1_25partition_config_selectorILNS1_17partition_subalgoE3EjNS0_10empty_typeEbEEZZNS1_14partition_implILS8_3ELb0ES6_jNS0_17counting_iteratorIjlEEPS9_SE_NS0_5tupleIJPjSE_EEENSF_IJSE_SE_EEES9_SG_JZNS1_25segmented_radix_sort_implINS0_14default_configELb0EPKfPfPKlPlN2at6native12_GLOBAL__N_18offset_tEEE10hipError_tPvRmT1_PNSt15iterator_traitsISY_E10value_typeET2_T3_PNSZ_IS14_E10value_typeET4_jRbjT5_S1A_jjP12ihipStream_tbEUljE_EEESV_SW_SX_S14_S18_S1A_T6_T7_T9_mT8_S1C_bDpT10_ENKUlT_T0_E_clISt17integral_constantIbLb0EES1P_EEDaS1K_S1L_EUlS1K_E_NS1_11comp_targetILNS1_3genE2ELNS1_11target_archE906ELNS1_3gpuE6ELNS1_3repE0EEENS1_30default_config_static_selectorELNS0_4arch9wavefront6targetE0EEEvSY_
                                        ; -- End function
	.section	.AMDGPU.csdata,"",@progbits
; Kernel info:
; codeLenInByte = 0
; NumSgprs: 0
; NumVgprs: 0
; ScratchSize: 0
; MemoryBound: 0
; FloatMode: 240
; IeeeMode: 1
; LDSByteSize: 0 bytes/workgroup (compile time only)
; SGPRBlocks: 0
; VGPRBlocks: 0
; NumSGPRsForWavesPerEU: 1
; NumVGPRsForWavesPerEU: 1
; Occupancy: 16
; WaveLimiterHint : 0
; COMPUTE_PGM_RSRC2:SCRATCH_EN: 0
; COMPUTE_PGM_RSRC2:USER_SGPR: 15
; COMPUTE_PGM_RSRC2:TRAP_HANDLER: 0
; COMPUTE_PGM_RSRC2:TGID_X_EN: 1
; COMPUTE_PGM_RSRC2:TGID_Y_EN: 0
; COMPUTE_PGM_RSRC2:TGID_Z_EN: 0
; COMPUTE_PGM_RSRC2:TIDIG_COMP_CNT: 0
	.section	.text._ZN7rocprim17ROCPRIM_400000_NS6detail17trampoline_kernelINS0_13select_configILj256ELj13ELNS0_17block_load_methodE3ELS4_3ELS4_3ELNS0_20block_scan_algorithmE0ELj4294967295EEENS1_25partition_config_selectorILNS1_17partition_subalgoE3EjNS0_10empty_typeEbEEZZNS1_14partition_implILS8_3ELb0ES6_jNS0_17counting_iteratorIjlEEPS9_SE_NS0_5tupleIJPjSE_EEENSF_IJSE_SE_EEES9_SG_JZNS1_25segmented_radix_sort_implINS0_14default_configELb0EPKfPfPKlPlN2at6native12_GLOBAL__N_18offset_tEEE10hipError_tPvRmT1_PNSt15iterator_traitsISY_E10value_typeET2_T3_PNSZ_IS14_E10value_typeET4_jRbjT5_S1A_jjP12ihipStream_tbEUljE_EEESV_SW_SX_S14_S18_S1A_T6_T7_T9_mT8_S1C_bDpT10_ENKUlT_T0_E_clISt17integral_constantIbLb0EES1P_EEDaS1K_S1L_EUlS1K_E_NS1_11comp_targetILNS1_3genE10ELNS1_11target_archE1200ELNS1_3gpuE4ELNS1_3repE0EEENS1_30default_config_static_selectorELNS0_4arch9wavefront6targetE0EEEvSY_,"axG",@progbits,_ZN7rocprim17ROCPRIM_400000_NS6detail17trampoline_kernelINS0_13select_configILj256ELj13ELNS0_17block_load_methodE3ELS4_3ELS4_3ELNS0_20block_scan_algorithmE0ELj4294967295EEENS1_25partition_config_selectorILNS1_17partition_subalgoE3EjNS0_10empty_typeEbEEZZNS1_14partition_implILS8_3ELb0ES6_jNS0_17counting_iteratorIjlEEPS9_SE_NS0_5tupleIJPjSE_EEENSF_IJSE_SE_EEES9_SG_JZNS1_25segmented_radix_sort_implINS0_14default_configELb0EPKfPfPKlPlN2at6native12_GLOBAL__N_18offset_tEEE10hipError_tPvRmT1_PNSt15iterator_traitsISY_E10value_typeET2_T3_PNSZ_IS14_E10value_typeET4_jRbjT5_S1A_jjP12ihipStream_tbEUljE_EEESV_SW_SX_S14_S18_S1A_T6_T7_T9_mT8_S1C_bDpT10_ENKUlT_T0_E_clISt17integral_constantIbLb0EES1P_EEDaS1K_S1L_EUlS1K_E_NS1_11comp_targetILNS1_3genE10ELNS1_11target_archE1200ELNS1_3gpuE4ELNS1_3repE0EEENS1_30default_config_static_selectorELNS0_4arch9wavefront6targetE0EEEvSY_,comdat
	.globl	_ZN7rocprim17ROCPRIM_400000_NS6detail17trampoline_kernelINS0_13select_configILj256ELj13ELNS0_17block_load_methodE3ELS4_3ELS4_3ELNS0_20block_scan_algorithmE0ELj4294967295EEENS1_25partition_config_selectorILNS1_17partition_subalgoE3EjNS0_10empty_typeEbEEZZNS1_14partition_implILS8_3ELb0ES6_jNS0_17counting_iteratorIjlEEPS9_SE_NS0_5tupleIJPjSE_EEENSF_IJSE_SE_EEES9_SG_JZNS1_25segmented_radix_sort_implINS0_14default_configELb0EPKfPfPKlPlN2at6native12_GLOBAL__N_18offset_tEEE10hipError_tPvRmT1_PNSt15iterator_traitsISY_E10value_typeET2_T3_PNSZ_IS14_E10value_typeET4_jRbjT5_S1A_jjP12ihipStream_tbEUljE_EEESV_SW_SX_S14_S18_S1A_T6_T7_T9_mT8_S1C_bDpT10_ENKUlT_T0_E_clISt17integral_constantIbLb0EES1P_EEDaS1K_S1L_EUlS1K_E_NS1_11comp_targetILNS1_3genE10ELNS1_11target_archE1200ELNS1_3gpuE4ELNS1_3repE0EEENS1_30default_config_static_selectorELNS0_4arch9wavefront6targetE0EEEvSY_ ; -- Begin function _ZN7rocprim17ROCPRIM_400000_NS6detail17trampoline_kernelINS0_13select_configILj256ELj13ELNS0_17block_load_methodE3ELS4_3ELS4_3ELNS0_20block_scan_algorithmE0ELj4294967295EEENS1_25partition_config_selectorILNS1_17partition_subalgoE3EjNS0_10empty_typeEbEEZZNS1_14partition_implILS8_3ELb0ES6_jNS0_17counting_iteratorIjlEEPS9_SE_NS0_5tupleIJPjSE_EEENSF_IJSE_SE_EEES9_SG_JZNS1_25segmented_radix_sort_implINS0_14default_configELb0EPKfPfPKlPlN2at6native12_GLOBAL__N_18offset_tEEE10hipError_tPvRmT1_PNSt15iterator_traitsISY_E10value_typeET2_T3_PNSZ_IS14_E10value_typeET4_jRbjT5_S1A_jjP12ihipStream_tbEUljE_EEESV_SW_SX_S14_S18_S1A_T6_T7_T9_mT8_S1C_bDpT10_ENKUlT_T0_E_clISt17integral_constantIbLb0EES1P_EEDaS1K_S1L_EUlS1K_E_NS1_11comp_targetILNS1_3genE10ELNS1_11target_archE1200ELNS1_3gpuE4ELNS1_3repE0EEENS1_30default_config_static_selectorELNS0_4arch9wavefront6targetE0EEEvSY_
	.p2align	8
	.type	_ZN7rocprim17ROCPRIM_400000_NS6detail17trampoline_kernelINS0_13select_configILj256ELj13ELNS0_17block_load_methodE3ELS4_3ELS4_3ELNS0_20block_scan_algorithmE0ELj4294967295EEENS1_25partition_config_selectorILNS1_17partition_subalgoE3EjNS0_10empty_typeEbEEZZNS1_14partition_implILS8_3ELb0ES6_jNS0_17counting_iteratorIjlEEPS9_SE_NS0_5tupleIJPjSE_EEENSF_IJSE_SE_EEES9_SG_JZNS1_25segmented_radix_sort_implINS0_14default_configELb0EPKfPfPKlPlN2at6native12_GLOBAL__N_18offset_tEEE10hipError_tPvRmT1_PNSt15iterator_traitsISY_E10value_typeET2_T3_PNSZ_IS14_E10value_typeET4_jRbjT5_S1A_jjP12ihipStream_tbEUljE_EEESV_SW_SX_S14_S18_S1A_T6_T7_T9_mT8_S1C_bDpT10_ENKUlT_T0_E_clISt17integral_constantIbLb0EES1P_EEDaS1K_S1L_EUlS1K_E_NS1_11comp_targetILNS1_3genE10ELNS1_11target_archE1200ELNS1_3gpuE4ELNS1_3repE0EEENS1_30default_config_static_selectorELNS0_4arch9wavefront6targetE0EEEvSY_,@function
_ZN7rocprim17ROCPRIM_400000_NS6detail17trampoline_kernelINS0_13select_configILj256ELj13ELNS0_17block_load_methodE3ELS4_3ELS4_3ELNS0_20block_scan_algorithmE0ELj4294967295EEENS1_25partition_config_selectorILNS1_17partition_subalgoE3EjNS0_10empty_typeEbEEZZNS1_14partition_implILS8_3ELb0ES6_jNS0_17counting_iteratorIjlEEPS9_SE_NS0_5tupleIJPjSE_EEENSF_IJSE_SE_EEES9_SG_JZNS1_25segmented_radix_sort_implINS0_14default_configELb0EPKfPfPKlPlN2at6native12_GLOBAL__N_18offset_tEEE10hipError_tPvRmT1_PNSt15iterator_traitsISY_E10value_typeET2_T3_PNSZ_IS14_E10value_typeET4_jRbjT5_S1A_jjP12ihipStream_tbEUljE_EEESV_SW_SX_S14_S18_S1A_T6_T7_T9_mT8_S1C_bDpT10_ENKUlT_T0_E_clISt17integral_constantIbLb0EES1P_EEDaS1K_S1L_EUlS1K_E_NS1_11comp_targetILNS1_3genE10ELNS1_11target_archE1200ELNS1_3gpuE4ELNS1_3repE0EEENS1_30default_config_static_selectorELNS0_4arch9wavefront6targetE0EEEvSY_: ; @_ZN7rocprim17ROCPRIM_400000_NS6detail17trampoline_kernelINS0_13select_configILj256ELj13ELNS0_17block_load_methodE3ELS4_3ELS4_3ELNS0_20block_scan_algorithmE0ELj4294967295EEENS1_25partition_config_selectorILNS1_17partition_subalgoE3EjNS0_10empty_typeEbEEZZNS1_14partition_implILS8_3ELb0ES6_jNS0_17counting_iteratorIjlEEPS9_SE_NS0_5tupleIJPjSE_EEENSF_IJSE_SE_EEES9_SG_JZNS1_25segmented_radix_sort_implINS0_14default_configELb0EPKfPfPKlPlN2at6native12_GLOBAL__N_18offset_tEEE10hipError_tPvRmT1_PNSt15iterator_traitsISY_E10value_typeET2_T3_PNSZ_IS14_E10value_typeET4_jRbjT5_S1A_jjP12ihipStream_tbEUljE_EEESV_SW_SX_S14_S18_S1A_T6_T7_T9_mT8_S1C_bDpT10_ENKUlT_T0_E_clISt17integral_constantIbLb0EES1P_EEDaS1K_S1L_EUlS1K_E_NS1_11comp_targetILNS1_3genE10ELNS1_11target_archE1200ELNS1_3gpuE4ELNS1_3repE0EEENS1_30default_config_static_selectorELNS0_4arch9wavefront6targetE0EEEvSY_
; %bb.0:
	.section	.rodata,"a",@progbits
	.p2align	6, 0x0
	.amdhsa_kernel _ZN7rocprim17ROCPRIM_400000_NS6detail17trampoline_kernelINS0_13select_configILj256ELj13ELNS0_17block_load_methodE3ELS4_3ELS4_3ELNS0_20block_scan_algorithmE0ELj4294967295EEENS1_25partition_config_selectorILNS1_17partition_subalgoE3EjNS0_10empty_typeEbEEZZNS1_14partition_implILS8_3ELb0ES6_jNS0_17counting_iteratorIjlEEPS9_SE_NS0_5tupleIJPjSE_EEENSF_IJSE_SE_EEES9_SG_JZNS1_25segmented_radix_sort_implINS0_14default_configELb0EPKfPfPKlPlN2at6native12_GLOBAL__N_18offset_tEEE10hipError_tPvRmT1_PNSt15iterator_traitsISY_E10value_typeET2_T3_PNSZ_IS14_E10value_typeET4_jRbjT5_S1A_jjP12ihipStream_tbEUljE_EEESV_SW_SX_S14_S18_S1A_T6_T7_T9_mT8_S1C_bDpT10_ENKUlT_T0_E_clISt17integral_constantIbLb0EES1P_EEDaS1K_S1L_EUlS1K_E_NS1_11comp_targetILNS1_3genE10ELNS1_11target_archE1200ELNS1_3gpuE4ELNS1_3repE0EEENS1_30default_config_static_selectorELNS0_4arch9wavefront6targetE0EEEvSY_
		.amdhsa_group_segment_fixed_size 0
		.amdhsa_private_segment_fixed_size 0
		.amdhsa_kernarg_size 144
		.amdhsa_user_sgpr_count 15
		.amdhsa_user_sgpr_dispatch_ptr 0
		.amdhsa_user_sgpr_queue_ptr 0
		.amdhsa_user_sgpr_kernarg_segment_ptr 1
		.amdhsa_user_sgpr_dispatch_id 0
		.amdhsa_user_sgpr_private_segment_size 0
		.amdhsa_wavefront_size32 1
		.amdhsa_uses_dynamic_stack 0
		.amdhsa_enable_private_segment 0
		.amdhsa_system_sgpr_workgroup_id_x 1
		.amdhsa_system_sgpr_workgroup_id_y 0
		.amdhsa_system_sgpr_workgroup_id_z 0
		.amdhsa_system_sgpr_workgroup_info 0
		.amdhsa_system_vgpr_workitem_id 0
		.amdhsa_next_free_vgpr 1
		.amdhsa_next_free_sgpr 1
		.amdhsa_reserve_vcc 0
		.amdhsa_float_round_mode_32 0
		.amdhsa_float_round_mode_16_64 0
		.amdhsa_float_denorm_mode_32 3
		.amdhsa_float_denorm_mode_16_64 3
		.amdhsa_dx10_clamp 1
		.amdhsa_ieee_mode 1
		.amdhsa_fp16_overflow 0
		.amdhsa_workgroup_processor_mode 1
		.amdhsa_memory_ordered 1
		.amdhsa_forward_progress 0
		.amdhsa_shared_vgpr_count 0
		.amdhsa_exception_fp_ieee_invalid_op 0
		.amdhsa_exception_fp_denorm_src 0
		.amdhsa_exception_fp_ieee_div_zero 0
		.amdhsa_exception_fp_ieee_overflow 0
		.amdhsa_exception_fp_ieee_underflow 0
		.amdhsa_exception_fp_ieee_inexact 0
		.amdhsa_exception_int_div_zero 0
	.end_amdhsa_kernel
	.section	.text._ZN7rocprim17ROCPRIM_400000_NS6detail17trampoline_kernelINS0_13select_configILj256ELj13ELNS0_17block_load_methodE3ELS4_3ELS4_3ELNS0_20block_scan_algorithmE0ELj4294967295EEENS1_25partition_config_selectorILNS1_17partition_subalgoE3EjNS0_10empty_typeEbEEZZNS1_14partition_implILS8_3ELb0ES6_jNS0_17counting_iteratorIjlEEPS9_SE_NS0_5tupleIJPjSE_EEENSF_IJSE_SE_EEES9_SG_JZNS1_25segmented_radix_sort_implINS0_14default_configELb0EPKfPfPKlPlN2at6native12_GLOBAL__N_18offset_tEEE10hipError_tPvRmT1_PNSt15iterator_traitsISY_E10value_typeET2_T3_PNSZ_IS14_E10value_typeET4_jRbjT5_S1A_jjP12ihipStream_tbEUljE_EEESV_SW_SX_S14_S18_S1A_T6_T7_T9_mT8_S1C_bDpT10_ENKUlT_T0_E_clISt17integral_constantIbLb0EES1P_EEDaS1K_S1L_EUlS1K_E_NS1_11comp_targetILNS1_3genE10ELNS1_11target_archE1200ELNS1_3gpuE4ELNS1_3repE0EEENS1_30default_config_static_selectorELNS0_4arch9wavefront6targetE0EEEvSY_,"axG",@progbits,_ZN7rocprim17ROCPRIM_400000_NS6detail17trampoline_kernelINS0_13select_configILj256ELj13ELNS0_17block_load_methodE3ELS4_3ELS4_3ELNS0_20block_scan_algorithmE0ELj4294967295EEENS1_25partition_config_selectorILNS1_17partition_subalgoE3EjNS0_10empty_typeEbEEZZNS1_14partition_implILS8_3ELb0ES6_jNS0_17counting_iteratorIjlEEPS9_SE_NS0_5tupleIJPjSE_EEENSF_IJSE_SE_EEES9_SG_JZNS1_25segmented_radix_sort_implINS0_14default_configELb0EPKfPfPKlPlN2at6native12_GLOBAL__N_18offset_tEEE10hipError_tPvRmT1_PNSt15iterator_traitsISY_E10value_typeET2_T3_PNSZ_IS14_E10value_typeET4_jRbjT5_S1A_jjP12ihipStream_tbEUljE_EEESV_SW_SX_S14_S18_S1A_T6_T7_T9_mT8_S1C_bDpT10_ENKUlT_T0_E_clISt17integral_constantIbLb0EES1P_EEDaS1K_S1L_EUlS1K_E_NS1_11comp_targetILNS1_3genE10ELNS1_11target_archE1200ELNS1_3gpuE4ELNS1_3repE0EEENS1_30default_config_static_selectorELNS0_4arch9wavefront6targetE0EEEvSY_,comdat
.Lfunc_end1401:
	.size	_ZN7rocprim17ROCPRIM_400000_NS6detail17trampoline_kernelINS0_13select_configILj256ELj13ELNS0_17block_load_methodE3ELS4_3ELS4_3ELNS0_20block_scan_algorithmE0ELj4294967295EEENS1_25partition_config_selectorILNS1_17partition_subalgoE3EjNS0_10empty_typeEbEEZZNS1_14partition_implILS8_3ELb0ES6_jNS0_17counting_iteratorIjlEEPS9_SE_NS0_5tupleIJPjSE_EEENSF_IJSE_SE_EEES9_SG_JZNS1_25segmented_radix_sort_implINS0_14default_configELb0EPKfPfPKlPlN2at6native12_GLOBAL__N_18offset_tEEE10hipError_tPvRmT1_PNSt15iterator_traitsISY_E10value_typeET2_T3_PNSZ_IS14_E10value_typeET4_jRbjT5_S1A_jjP12ihipStream_tbEUljE_EEESV_SW_SX_S14_S18_S1A_T6_T7_T9_mT8_S1C_bDpT10_ENKUlT_T0_E_clISt17integral_constantIbLb0EES1P_EEDaS1K_S1L_EUlS1K_E_NS1_11comp_targetILNS1_3genE10ELNS1_11target_archE1200ELNS1_3gpuE4ELNS1_3repE0EEENS1_30default_config_static_selectorELNS0_4arch9wavefront6targetE0EEEvSY_, .Lfunc_end1401-_ZN7rocprim17ROCPRIM_400000_NS6detail17trampoline_kernelINS0_13select_configILj256ELj13ELNS0_17block_load_methodE3ELS4_3ELS4_3ELNS0_20block_scan_algorithmE0ELj4294967295EEENS1_25partition_config_selectorILNS1_17partition_subalgoE3EjNS0_10empty_typeEbEEZZNS1_14partition_implILS8_3ELb0ES6_jNS0_17counting_iteratorIjlEEPS9_SE_NS0_5tupleIJPjSE_EEENSF_IJSE_SE_EEES9_SG_JZNS1_25segmented_radix_sort_implINS0_14default_configELb0EPKfPfPKlPlN2at6native12_GLOBAL__N_18offset_tEEE10hipError_tPvRmT1_PNSt15iterator_traitsISY_E10value_typeET2_T3_PNSZ_IS14_E10value_typeET4_jRbjT5_S1A_jjP12ihipStream_tbEUljE_EEESV_SW_SX_S14_S18_S1A_T6_T7_T9_mT8_S1C_bDpT10_ENKUlT_T0_E_clISt17integral_constantIbLb0EES1P_EEDaS1K_S1L_EUlS1K_E_NS1_11comp_targetILNS1_3genE10ELNS1_11target_archE1200ELNS1_3gpuE4ELNS1_3repE0EEENS1_30default_config_static_selectorELNS0_4arch9wavefront6targetE0EEEvSY_
                                        ; -- End function
	.section	.AMDGPU.csdata,"",@progbits
; Kernel info:
; codeLenInByte = 0
; NumSgprs: 0
; NumVgprs: 0
; ScratchSize: 0
; MemoryBound: 0
; FloatMode: 240
; IeeeMode: 1
; LDSByteSize: 0 bytes/workgroup (compile time only)
; SGPRBlocks: 0
; VGPRBlocks: 0
; NumSGPRsForWavesPerEU: 1
; NumVGPRsForWavesPerEU: 1
; Occupancy: 16
; WaveLimiterHint : 0
; COMPUTE_PGM_RSRC2:SCRATCH_EN: 0
; COMPUTE_PGM_RSRC2:USER_SGPR: 15
; COMPUTE_PGM_RSRC2:TRAP_HANDLER: 0
; COMPUTE_PGM_RSRC2:TGID_X_EN: 1
; COMPUTE_PGM_RSRC2:TGID_Y_EN: 0
; COMPUTE_PGM_RSRC2:TGID_Z_EN: 0
; COMPUTE_PGM_RSRC2:TIDIG_COMP_CNT: 0
	.section	.text._ZN7rocprim17ROCPRIM_400000_NS6detail17trampoline_kernelINS0_13select_configILj256ELj13ELNS0_17block_load_methodE3ELS4_3ELS4_3ELNS0_20block_scan_algorithmE0ELj4294967295EEENS1_25partition_config_selectorILNS1_17partition_subalgoE3EjNS0_10empty_typeEbEEZZNS1_14partition_implILS8_3ELb0ES6_jNS0_17counting_iteratorIjlEEPS9_SE_NS0_5tupleIJPjSE_EEENSF_IJSE_SE_EEES9_SG_JZNS1_25segmented_radix_sort_implINS0_14default_configELb0EPKfPfPKlPlN2at6native12_GLOBAL__N_18offset_tEEE10hipError_tPvRmT1_PNSt15iterator_traitsISY_E10value_typeET2_T3_PNSZ_IS14_E10value_typeET4_jRbjT5_S1A_jjP12ihipStream_tbEUljE_EEESV_SW_SX_S14_S18_S1A_T6_T7_T9_mT8_S1C_bDpT10_ENKUlT_T0_E_clISt17integral_constantIbLb0EES1P_EEDaS1K_S1L_EUlS1K_E_NS1_11comp_targetILNS1_3genE9ELNS1_11target_archE1100ELNS1_3gpuE3ELNS1_3repE0EEENS1_30default_config_static_selectorELNS0_4arch9wavefront6targetE0EEEvSY_,"axG",@progbits,_ZN7rocprim17ROCPRIM_400000_NS6detail17trampoline_kernelINS0_13select_configILj256ELj13ELNS0_17block_load_methodE3ELS4_3ELS4_3ELNS0_20block_scan_algorithmE0ELj4294967295EEENS1_25partition_config_selectorILNS1_17partition_subalgoE3EjNS0_10empty_typeEbEEZZNS1_14partition_implILS8_3ELb0ES6_jNS0_17counting_iteratorIjlEEPS9_SE_NS0_5tupleIJPjSE_EEENSF_IJSE_SE_EEES9_SG_JZNS1_25segmented_radix_sort_implINS0_14default_configELb0EPKfPfPKlPlN2at6native12_GLOBAL__N_18offset_tEEE10hipError_tPvRmT1_PNSt15iterator_traitsISY_E10value_typeET2_T3_PNSZ_IS14_E10value_typeET4_jRbjT5_S1A_jjP12ihipStream_tbEUljE_EEESV_SW_SX_S14_S18_S1A_T6_T7_T9_mT8_S1C_bDpT10_ENKUlT_T0_E_clISt17integral_constantIbLb0EES1P_EEDaS1K_S1L_EUlS1K_E_NS1_11comp_targetILNS1_3genE9ELNS1_11target_archE1100ELNS1_3gpuE3ELNS1_3repE0EEENS1_30default_config_static_selectorELNS0_4arch9wavefront6targetE0EEEvSY_,comdat
	.globl	_ZN7rocprim17ROCPRIM_400000_NS6detail17trampoline_kernelINS0_13select_configILj256ELj13ELNS0_17block_load_methodE3ELS4_3ELS4_3ELNS0_20block_scan_algorithmE0ELj4294967295EEENS1_25partition_config_selectorILNS1_17partition_subalgoE3EjNS0_10empty_typeEbEEZZNS1_14partition_implILS8_3ELb0ES6_jNS0_17counting_iteratorIjlEEPS9_SE_NS0_5tupleIJPjSE_EEENSF_IJSE_SE_EEES9_SG_JZNS1_25segmented_radix_sort_implINS0_14default_configELb0EPKfPfPKlPlN2at6native12_GLOBAL__N_18offset_tEEE10hipError_tPvRmT1_PNSt15iterator_traitsISY_E10value_typeET2_T3_PNSZ_IS14_E10value_typeET4_jRbjT5_S1A_jjP12ihipStream_tbEUljE_EEESV_SW_SX_S14_S18_S1A_T6_T7_T9_mT8_S1C_bDpT10_ENKUlT_T0_E_clISt17integral_constantIbLb0EES1P_EEDaS1K_S1L_EUlS1K_E_NS1_11comp_targetILNS1_3genE9ELNS1_11target_archE1100ELNS1_3gpuE3ELNS1_3repE0EEENS1_30default_config_static_selectorELNS0_4arch9wavefront6targetE0EEEvSY_ ; -- Begin function _ZN7rocprim17ROCPRIM_400000_NS6detail17trampoline_kernelINS0_13select_configILj256ELj13ELNS0_17block_load_methodE3ELS4_3ELS4_3ELNS0_20block_scan_algorithmE0ELj4294967295EEENS1_25partition_config_selectorILNS1_17partition_subalgoE3EjNS0_10empty_typeEbEEZZNS1_14partition_implILS8_3ELb0ES6_jNS0_17counting_iteratorIjlEEPS9_SE_NS0_5tupleIJPjSE_EEENSF_IJSE_SE_EEES9_SG_JZNS1_25segmented_radix_sort_implINS0_14default_configELb0EPKfPfPKlPlN2at6native12_GLOBAL__N_18offset_tEEE10hipError_tPvRmT1_PNSt15iterator_traitsISY_E10value_typeET2_T3_PNSZ_IS14_E10value_typeET4_jRbjT5_S1A_jjP12ihipStream_tbEUljE_EEESV_SW_SX_S14_S18_S1A_T6_T7_T9_mT8_S1C_bDpT10_ENKUlT_T0_E_clISt17integral_constantIbLb0EES1P_EEDaS1K_S1L_EUlS1K_E_NS1_11comp_targetILNS1_3genE9ELNS1_11target_archE1100ELNS1_3gpuE3ELNS1_3repE0EEENS1_30default_config_static_selectorELNS0_4arch9wavefront6targetE0EEEvSY_
	.p2align	8
	.type	_ZN7rocprim17ROCPRIM_400000_NS6detail17trampoline_kernelINS0_13select_configILj256ELj13ELNS0_17block_load_methodE3ELS4_3ELS4_3ELNS0_20block_scan_algorithmE0ELj4294967295EEENS1_25partition_config_selectorILNS1_17partition_subalgoE3EjNS0_10empty_typeEbEEZZNS1_14partition_implILS8_3ELb0ES6_jNS0_17counting_iteratorIjlEEPS9_SE_NS0_5tupleIJPjSE_EEENSF_IJSE_SE_EEES9_SG_JZNS1_25segmented_radix_sort_implINS0_14default_configELb0EPKfPfPKlPlN2at6native12_GLOBAL__N_18offset_tEEE10hipError_tPvRmT1_PNSt15iterator_traitsISY_E10value_typeET2_T3_PNSZ_IS14_E10value_typeET4_jRbjT5_S1A_jjP12ihipStream_tbEUljE_EEESV_SW_SX_S14_S18_S1A_T6_T7_T9_mT8_S1C_bDpT10_ENKUlT_T0_E_clISt17integral_constantIbLb0EES1P_EEDaS1K_S1L_EUlS1K_E_NS1_11comp_targetILNS1_3genE9ELNS1_11target_archE1100ELNS1_3gpuE3ELNS1_3repE0EEENS1_30default_config_static_selectorELNS0_4arch9wavefront6targetE0EEEvSY_,@function
_ZN7rocprim17ROCPRIM_400000_NS6detail17trampoline_kernelINS0_13select_configILj256ELj13ELNS0_17block_load_methodE3ELS4_3ELS4_3ELNS0_20block_scan_algorithmE0ELj4294967295EEENS1_25partition_config_selectorILNS1_17partition_subalgoE3EjNS0_10empty_typeEbEEZZNS1_14partition_implILS8_3ELb0ES6_jNS0_17counting_iteratorIjlEEPS9_SE_NS0_5tupleIJPjSE_EEENSF_IJSE_SE_EEES9_SG_JZNS1_25segmented_radix_sort_implINS0_14default_configELb0EPKfPfPKlPlN2at6native12_GLOBAL__N_18offset_tEEE10hipError_tPvRmT1_PNSt15iterator_traitsISY_E10value_typeET2_T3_PNSZ_IS14_E10value_typeET4_jRbjT5_S1A_jjP12ihipStream_tbEUljE_EEESV_SW_SX_S14_S18_S1A_T6_T7_T9_mT8_S1C_bDpT10_ENKUlT_T0_E_clISt17integral_constantIbLb0EES1P_EEDaS1K_S1L_EUlS1K_E_NS1_11comp_targetILNS1_3genE9ELNS1_11target_archE1100ELNS1_3gpuE3ELNS1_3repE0EEENS1_30default_config_static_selectorELNS0_4arch9wavefront6targetE0EEEvSY_: ; @_ZN7rocprim17ROCPRIM_400000_NS6detail17trampoline_kernelINS0_13select_configILj256ELj13ELNS0_17block_load_methodE3ELS4_3ELS4_3ELNS0_20block_scan_algorithmE0ELj4294967295EEENS1_25partition_config_selectorILNS1_17partition_subalgoE3EjNS0_10empty_typeEbEEZZNS1_14partition_implILS8_3ELb0ES6_jNS0_17counting_iteratorIjlEEPS9_SE_NS0_5tupleIJPjSE_EEENSF_IJSE_SE_EEES9_SG_JZNS1_25segmented_radix_sort_implINS0_14default_configELb0EPKfPfPKlPlN2at6native12_GLOBAL__N_18offset_tEEE10hipError_tPvRmT1_PNSt15iterator_traitsISY_E10value_typeET2_T3_PNSZ_IS14_E10value_typeET4_jRbjT5_S1A_jjP12ihipStream_tbEUljE_EEESV_SW_SX_S14_S18_S1A_T6_T7_T9_mT8_S1C_bDpT10_ENKUlT_T0_E_clISt17integral_constantIbLb0EES1P_EEDaS1K_S1L_EUlS1K_E_NS1_11comp_targetILNS1_3genE9ELNS1_11target_archE1100ELNS1_3gpuE3ELNS1_3repE0EEENS1_30default_config_static_selectorELNS0_4arch9wavefront6targetE0EEEvSY_
; %bb.0:
	s_clause 0x5
	s_load_b32 s2, s[0:1], 0x70
	s_load_b64 s[16:17], s[0:1], 0x10
	s_load_b64 s[12:13], s[0:1], 0x58
	s_load_b32 s18, s[0:1], 0x8
	s_load_b128 s[8:11], s[0:1], 0x48
	s_load_b128 s[4:7], s[0:1], 0x78
	s_mul_i32 s23, s15, 0xd00
	v_lshlrev_b32_e32 v30, 2, v0
	s_waitcnt lgkmcnt(0)
	s_mul_i32 s20, s2, 0xd00
	s_add_i32 s19, s2, -1
	s_add_u32 s2, s16, s20
	s_addc_u32 s3, s17, 0
	s_cmp_eq_u32 s15, s19
	v_cmp_lt_u64_e64 s3, s[2:3], s[12:13]
	s_cselect_b32 s14, -1, 0
	s_cmp_lg_u32 s15, s19
	s_cselect_b32 s21, -1, 0
	s_add_i32 s2, s18, s23
	s_delay_alu instid0(VALU_DEP_1)
	s_or_b32 s3, s21, s3
	s_add_i32 s18, s2, s16
	s_load_b32 s2, s[0:1], 0x88
	v_add_nc_u32_e32 v1, s18, v0
	s_load_b64 s[18:19], s[10:11], 0x0
	s_and_b32 vcc_lo, exec_lo, s3
	s_mov_b32 s10, -1
	s_delay_alu instid0(VALU_DEP_1)
	v_add_nc_u32_e32 v2, 0x100, v1
	v_add_nc_u32_e32 v3, 0x200, v1
	;; [unrolled: 1-line block ×12, first 2 shown]
	s_cbranch_vccz .LBB1402_2
; %bb.1:
	ds_store_2addr_stride64_b32 v30, v1, v2 offset1:4
	ds_store_2addr_stride64_b32 v30, v3, v4 offset0:8 offset1:12
	ds_store_2addr_stride64_b32 v30, v5, v6 offset0:16 offset1:20
	;; [unrolled: 1-line block ×5, first 2 shown]
	ds_store_b32 v30, v13 offset:12288
	s_waitcnt lgkmcnt(0)
	s_mov_b32 s10, 0
	s_barrier
.LBB1402_2:
	s_and_not1_b32 vcc_lo, exec_lo, s10
	s_add_i32 s20, s20, s16
	s_cbranch_vccnz .LBB1402_4
; %bb.3:
	ds_store_2addr_stride64_b32 v30, v1, v2 offset1:4
	ds_store_2addr_stride64_b32 v30, v3, v4 offset0:8 offset1:12
	ds_store_2addr_stride64_b32 v30, v5, v6 offset0:16 offset1:20
	ds_store_2addr_stride64_b32 v30, v7, v8 offset0:24 offset1:28
	ds_store_2addr_stride64_b32 v30, v9, v10 offset0:32 offset1:36
	ds_store_2addr_stride64_b32 v30, v11, v12 offset0:40 offset1:44
	ds_store_b32 v30, v13 offset:12288
	s_waitcnt lgkmcnt(0)
	s_barrier
.LBB1402_4:
	v_mul_u32_u24_e32 v33, 13, v0
	s_waitcnt lgkmcnt(0)
	buffer_gl0_inv
	v_cndmask_b32_e64 v31, 0, 1, s3
	s_sub_i32 s22, s12, s20
	s_and_not1_b32 vcc_lo, exec_lo, s3
	v_lshlrev_b32_e32 v1, 2, v33
	ds_load_2addr_b32 v[28:29], v1 offset1:1
	ds_load_2addr_b32 v[26:27], v1 offset0:2 offset1:3
	ds_load_2addr_b32 v[24:25], v1 offset0:4 offset1:5
	;; [unrolled: 1-line block ×5, first 2 shown]
	ds_load_b32 v32, v1 offset:48
	s_waitcnt lgkmcnt(0)
	s_barrier
	buffer_gl0_inv
	s_cbranch_vccnz .LBB1402_6
; %bb.5:
	v_add_nc_u32_e32 v1, s5, v28
	v_add_nc_u32_e32 v2, s7, v28
	;; [unrolled: 1-line block ×5, first 2 shown]
	v_mul_lo_u32 v1, v1, s4
	v_mul_lo_u32 v2, v2, s6
	v_mul_lo_u32 v3, v3, s4
	v_mul_lo_u32 v4, v4, s6
	v_add_nc_u32_e32 v6, s7, v26
	v_add_nc_u32_e32 v7, s5, v27
	;; [unrolled: 1-line block ×3, first 2 shown]
	v_mul_lo_u32 v5, v5, s4
	v_add_nc_u32_e32 v9, s5, v22
	v_sub_nc_u32_e32 v1, v1, v2
	v_mul_lo_u32 v2, v6, s6
	v_sub_nc_u32_e32 v3, v3, v4
	v_mul_lo_u32 v4, v7, s4
	v_mul_lo_u32 v6, v8, s6
	v_add_nc_u32_e32 v7, s5, v24
	v_cmp_lt_u32_e32 vcc_lo, s2, v1
	v_add_nc_u32_e32 v8, s5, v25
	v_add_nc_u32_e32 v10, s7, v22
	v_sub_nc_u32_e32 v2, v5, v2
	v_add_nc_u32_e32 v5, s7, v24
	v_cndmask_b32_e64 v1, 0, 1, vcc_lo
	v_sub_nc_u32_e32 v4, v4, v6
	v_mul_lo_u32 v6, v7, s4
	v_add_nc_u32_e32 v7, s7, v25
	v_cmp_lt_u32_e32 vcc_lo, s2, v3
	v_mul_lo_u32 v5, v5, s6
	v_mul_lo_u32 v8, v8, s4
	;; [unrolled: 1-line block ×4, first 2 shown]
	v_cndmask_b32_e64 v3, 0, 1, vcc_lo
	v_cmp_lt_u32_e32 vcc_lo, s2, v2
	v_mul_lo_u32 v10, v10, s6
	v_add_nc_u32_e32 v11, s5, v20
	v_sub_nc_u32_e32 v5, v6, v5
	v_add_nc_u32_e32 v12, s7, v20
	v_cndmask_b32_e64 v2, 0, 1, vcc_lo
	v_sub_nc_u32_e32 v6, v8, v7
	v_add_nc_u32_e32 v7, s5, v23
	v_add_nc_u32_e32 v8, s7, v23
	v_cmp_lt_u32_e32 vcc_lo, s2, v4
	v_sub_nc_u32_e32 v9, v9, v10
	v_mul_lo_u32 v10, v11, s4
	v_mul_lo_u32 v7, v7, s4
	;; [unrolled: 1-line block ×4, first 2 shown]
	v_cndmask_b32_e64 v4, 0, 1, vcc_lo
	v_cmp_lt_u32_e32 vcc_lo, s2, v5
	v_add_nc_u32_e32 v12, s5, v21
	v_add_nc_u32_e32 v13, s7, v18
	;; [unrolled: 1-line block ×4, first 2 shown]
	v_cndmask_b32_e64 v5, 0, 1, vcc_lo
	v_cmp_lt_u32_e32 vcc_lo, s2, v6
	v_sub_nc_u32_e32 v7, v7, v8
	v_sub_nc_u32_e32 v8, v10, v11
	v_add_nc_u32_e32 v11, s7, v21
	v_mul_lo_u32 v10, v12, s4
	v_cndmask_b32_e64 v6, 0, 1, vcc_lo
	v_cmp_lt_u32_e32 vcc_lo, s2, v9
	v_add_nc_u32_e32 v12, s5, v18
	v_mul_lo_u32 v11, v11, s6
	v_mul_lo_u32 v13, v13, s6
	v_mul_lo_u32 v14, v14, s4
	v_cndmask_b32_e64 v9, 0, 1, vcc_lo
	v_cmp_lt_u32_e32 vcc_lo, s2, v7
	v_mul_lo_u32 v12, v12, s4
	v_mul_lo_u32 v15, v15, s6
	v_lshlrev_b16 v3, 8, v3
	v_sub_nc_u32_e32 v10, v10, v11
	v_cndmask_b32_e64 v7, 0, 1, vcc_lo
	v_cmp_lt_u32_e32 vcc_lo, s2, v8
	v_add_nc_u32_e32 v11, s5, v32
	v_or_b32_e32 v1, v1, v3
	v_sub_nc_u32_e32 v12, v12, v13
	v_sub_nc_u32_e32 v13, v14, v15
	v_cndmask_b32_e64 v8, 0, 1, vcc_lo
	v_cmp_lt_u32_e32 vcc_lo, s2, v10
	v_add_nc_u32_e32 v16, s7, v32
	v_mul_lo_u32 v11, v11, s4
	v_lshlrev_b16 v4, 8, v4
	v_lshlrev_b16 v6, 8, v6
	v_cndmask_b32_e64 v10, 0, 1, vcc_lo
	v_cmp_lt_u32_e32 vcc_lo, s2, v12
	v_mul_lo_u32 v14, v16, s6
	v_lshlrev_b16 v7, 8, v7
	v_or_b32_e32 v2, v2, v4
	v_lshlrev_b16 v10, 8, v10
	v_cndmask_b32_e64 v3, 0, 1, vcc_lo
	v_cmp_lt_u32_e32 vcc_lo, s2, v13
	v_or_b32_e32 v4, v5, v6
	v_or_b32_e32 v5, v9, v7
	v_sub_nc_u32_e32 v11, v11, v14
	v_or_b32_e32 v6, v8, v10
	v_cndmask_b32_e64 v12, 0, 1, vcc_lo
	v_and_b32_e32 v1, 0xffff, v1
	v_lshlrev_b32_e32 v2, 16, v2
	v_and_b32_e32 v4, 0xffff, v4
	v_lshlrev_b32_e32 v5, 16, v5
	v_lshlrev_b16 v12, 8, v12
	v_and_b32_e32 v6, 0xffff, v6
	v_cmp_lt_u32_e32 vcc_lo, s2, v11
	v_or_b32_e32 v39, v1, v2
	v_or_b32_e32 v37, v4, v5
	;; [unrolled: 1-line block ×3, first 2 shown]
	s_mov_b32 s3, 0
	v_cndmask_b32_e64 v34, 0, 1, vcc_lo
	s_delay_alu instid0(VALU_DEP_2) | instskip(NEXT) | instid1(VALU_DEP_1)
	v_lshlrev_b32_e32 v3, 16, v3
	v_or_b32_e32 v35, v6, v3
	s_branch .LBB1402_7
.LBB1402_6:
	s_mov_b32 s3, -1
                                        ; implicit-def: $vgpr34
                                        ; implicit-def: $vgpr35
                                        ; implicit-def: $vgpr37
                                        ; implicit-def: $vgpr39
.LBB1402_7:
	s_clause 0x1
	s_load_b64 s[10:11], s[0:1], 0x28
	s_load_b64 s[20:21], s[0:1], 0x68
	s_and_not1_b32 vcc_lo, exec_lo, s3
	s_addk_i32 s22, 0xd00
	s_cbranch_vccnz .LBB1402_35
; %bb.8:
	v_dual_mov_b32 v2, 0 :: v_dual_mov_b32 v1, 0
	s_mov_b32 s0, exec_lo
	v_cmpx_gt_u32_e64 s22, v33
; %bb.9:
	v_add_nc_u32_e32 v1, s5, v28
	v_add_nc_u32_e32 v3, s7, v28
	s_delay_alu instid0(VALU_DEP_2) | instskip(NEXT) | instid1(VALU_DEP_2)
	v_mul_lo_u32 v1, v1, s4
	v_mul_lo_u32 v3, v3, s6
	s_delay_alu instid0(VALU_DEP_1) | instskip(NEXT) | instid1(VALU_DEP_1)
	v_sub_nc_u32_e32 v1, v1, v3
	v_cmp_lt_u32_e32 vcc_lo, s2, v1
	v_cndmask_b32_e64 v1, 0, 1, vcc_lo
; %bb.10:
	s_or_b32 exec_lo, exec_lo, s0
	v_add_nc_u32_e32 v3, 1, v33
	s_mov_b32 s0, exec_lo
	s_delay_alu instid0(VALU_DEP_1)
	v_cmpx_gt_u32_e64 s22, v3
; %bb.11:
	v_add_nc_u32_e32 v2, s5, v29
	v_add_nc_u32_e32 v3, s7, v29
	s_delay_alu instid0(VALU_DEP_2) | instskip(NEXT) | instid1(VALU_DEP_2)
	v_mul_lo_u32 v2, v2, s4
	v_mul_lo_u32 v3, v3, s6
	s_delay_alu instid0(VALU_DEP_1) | instskip(NEXT) | instid1(VALU_DEP_1)
	v_sub_nc_u32_e32 v2, v2, v3
	v_cmp_lt_u32_e32 vcc_lo, s2, v2
	v_cndmask_b32_e64 v2, 0, 1, vcc_lo
; %bb.12:
	s_or_b32 exec_lo, exec_lo, s0
	v_dual_mov_b32 v4, 0 :: v_dual_add_nc_u32 v3, 2, v33
	s_delay_alu instid0(VALU_DEP_1)
	v_cmp_gt_u32_e32 vcc_lo, s22, v3
	v_mov_b32_e32 v3, 0
	s_and_saveexec_b32 s0, vcc_lo
; %bb.13:
	v_add_nc_u32_e32 v3, s5, v26
	v_add_nc_u32_e32 v5, s7, v26
	s_delay_alu instid0(VALU_DEP_2) | instskip(NEXT) | instid1(VALU_DEP_2)
	v_mul_lo_u32 v3, v3, s4
	v_mul_lo_u32 v5, v5, s6
	s_delay_alu instid0(VALU_DEP_1) | instskip(NEXT) | instid1(VALU_DEP_1)
	v_sub_nc_u32_e32 v3, v3, v5
	v_cmp_lt_u32_e32 vcc_lo, s2, v3
	v_cndmask_b32_e64 v3, 0, 1, vcc_lo
; %bb.14:
	s_or_b32 exec_lo, exec_lo, s0
	v_add_nc_u32_e32 v5, 3, v33
	s_mov_b32 s0, exec_lo
	s_delay_alu instid0(VALU_DEP_1)
	v_cmpx_gt_u32_e64 s22, v5
; %bb.15:
	v_add_nc_u32_e32 v4, s5, v27
	v_add_nc_u32_e32 v5, s7, v27
	s_delay_alu instid0(VALU_DEP_2) | instskip(NEXT) | instid1(VALU_DEP_2)
	v_mul_lo_u32 v4, v4, s4
	v_mul_lo_u32 v5, v5, s6
	s_delay_alu instid0(VALU_DEP_1) | instskip(NEXT) | instid1(VALU_DEP_1)
	v_sub_nc_u32_e32 v4, v4, v5
	v_cmp_lt_u32_e32 vcc_lo, s2, v4
	v_cndmask_b32_e64 v4, 0, 1, vcc_lo
; %bb.16:
	s_or_b32 exec_lo, exec_lo, s0
	v_dual_mov_b32 v6, 0 :: v_dual_add_nc_u32 v5, 4, v33
	s_delay_alu instid0(VALU_DEP_1)
	v_cmp_gt_u32_e32 vcc_lo, s22, v5
	v_mov_b32_e32 v5, 0
	s_and_saveexec_b32 s0, vcc_lo
	;; [unrolled: 33-line block ×5, first 2 shown]
; %bb.29:
	v_add_nc_u32_e32 v11, s5, v18
	v_add_nc_u32_e32 v13, s7, v18
	s_delay_alu instid0(VALU_DEP_2) | instskip(NEXT) | instid1(VALU_DEP_2)
	v_mul_lo_u32 v11, v11, s4
	v_mul_lo_u32 v13, v13, s6
	s_delay_alu instid0(VALU_DEP_1) | instskip(NEXT) | instid1(VALU_DEP_1)
	v_sub_nc_u32_e32 v11, v11, v13
	v_cmp_lt_u32_e32 vcc_lo, s2, v11
	v_cndmask_b32_e64 v11, 0, 1, vcc_lo
; %bb.30:
	s_or_b32 exec_lo, exec_lo, s0
	v_add_nc_u32_e32 v13, 11, v33
	s_mov_b32 s0, exec_lo
	s_delay_alu instid0(VALU_DEP_1)
	v_cmpx_gt_u32_e64 s22, v13
; %bb.31:
	v_add_nc_u32_e32 v12, s5, v19
	v_add_nc_u32_e32 v13, s7, v19
	s_delay_alu instid0(VALU_DEP_2) | instskip(NEXT) | instid1(VALU_DEP_2)
	v_mul_lo_u32 v12, v12, s4
	v_mul_lo_u32 v13, v13, s6
	s_delay_alu instid0(VALU_DEP_1) | instskip(NEXT) | instid1(VALU_DEP_1)
	v_sub_nc_u32_e32 v12, v12, v13
	v_cmp_lt_u32_e32 vcc_lo, s2, v12
	v_cndmask_b32_e64 v12, 0, 1, vcc_lo
; %bb.32:
	s_or_b32 exec_lo, exec_lo, s0
	v_dual_mov_b32 v34, 0 :: v_dual_add_nc_u32 v13, 12, v33
	s_mov_b32 s0, exec_lo
	s_delay_alu instid0(VALU_DEP_1)
	v_cmpx_gt_u32_e64 s22, v13
; %bb.33:
	v_add_nc_u32_e32 v13, s5, v32
	v_add_nc_u32_e32 v14, s7, v32
	s_delay_alu instid0(VALU_DEP_2) | instskip(NEXT) | instid1(VALU_DEP_2)
	v_mul_lo_u32 v13, v13, s4
	v_mul_lo_u32 v14, v14, s6
	s_delay_alu instid0(VALU_DEP_1) | instskip(NEXT) | instid1(VALU_DEP_1)
	v_sub_nc_u32_e32 v13, v13, v14
	v_cmp_lt_u32_e32 vcc_lo, s2, v13
	v_cndmask_b32_e64 v34, 0, 1, vcc_lo
; %bb.34:
	s_or_b32 exec_lo, exec_lo, s0
	v_lshlrev_b16 v2, 8, v2
	v_lshlrev_b16 v4, 8, v4
	;; [unrolled: 1-line block ×5, first 2 shown]
	v_or_b32_e32 v1, v1, v2
	v_lshlrev_b16 v2, 8, v12
	v_or_b32_e32 v3, v3, v4
	v_or_b32_e32 v4, v5, v6
	;; [unrolled: 1-line block ×5, first 2 shown]
	v_and_b32_e32 v1, 0xffff, v1
	v_lshlrev_b32_e32 v3, 16, v3
	v_and_b32_e32 v4, 0xffff, v4
	v_lshlrev_b32_e32 v5, 16, v5
	;; [unrolled: 2-line block ×3, first 2 shown]
	v_or_b32_e32 v39, v1, v3
	s_delay_alu instid0(VALU_DEP_4) | instskip(NEXT) | instid1(VALU_DEP_3)
	v_or_b32_e32 v37, v4, v5
	v_or_b32_e32 v35, v6, v2
.LBB1402_35:
	s_delay_alu instid0(VALU_DEP_3)
	v_and_b32_e32 v41, 0xff, v39
	v_bfe_u32 v42, v39, 8, 8
	v_bfe_u32 v43, v39, 16, 8
	v_lshrrev_b32_e32 v40, 24, v39
	v_and_b32_e32 v44, 0xff, v37
	v_bfe_u32 v45, v37, 8, 8
	v_bfe_u32 v46, v37, 16, 8
	v_add3_u32 v1, v42, v41, v43
	v_lshrrev_b32_e32 v38, 24, v37
	v_and_b32_e32 v47, 0xff, v35
	v_bfe_u32 v48, v35, 8, 8
	v_mbcnt_lo_u32_b32 v50, -1, 0
	v_add3_u32 v1, v1, v40, v44
	v_bfe_u32 v49, v35, 16, 8
	v_lshrrev_b32_e32 v36, 24, v35
	v_and_b32_e32 v2, 0xff, v34
	v_and_b32_e32 v3, 15, v50
	v_add3_u32 v1, v1, v45, v46
	v_or_b32_e32 v4, 31, v0
	v_and_b32_e32 v5, 16, v50
	v_lshrrev_b32_e32 v51, 5, v0
	v_cmp_eq_u32_e64 s5, 0, v3
	v_add3_u32 v1, v1, v38, v47
	v_cmp_lt_u32_e64 s4, 1, v3
	v_cmp_lt_u32_e64 s3, 3, v3
	;; [unrolled: 1-line block ×3, first 2 shown]
	v_cmp_eq_u32_e64 s1, 0, v5
	v_add3_u32 v1, v1, v48, v49
	v_cmp_eq_u32_e64 s0, v4, v0
	s_cmp_lg_u32 s15, 0
	s_mov_b32 s6, -1
	s_delay_alu instid0(VALU_DEP_2)
	v_add3_u32 v52, v1, v36, v2
	s_cbranch_scc0 .LBB1402_61
; %bb.36:
	s_delay_alu instid0(VALU_DEP_1) | instskip(NEXT) | instid1(VALU_DEP_1)
	v_mov_b32_dpp v1, v52 row_shr:1 row_mask:0xf bank_mask:0xf
	v_cndmask_b32_e64 v1, v1, 0, s5
	s_delay_alu instid0(VALU_DEP_1) | instskip(NEXT) | instid1(VALU_DEP_1)
	v_add_nc_u32_e32 v1, v1, v52
	v_mov_b32_dpp v2, v1 row_shr:2 row_mask:0xf bank_mask:0xf
	s_delay_alu instid0(VALU_DEP_1) | instskip(NEXT) | instid1(VALU_DEP_1)
	v_cndmask_b32_e64 v2, 0, v2, s4
	v_add_nc_u32_e32 v1, v1, v2
	s_delay_alu instid0(VALU_DEP_1) | instskip(NEXT) | instid1(VALU_DEP_1)
	v_mov_b32_dpp v2, v1 row_shr:4 row_mask:0xf bank_mask:0xf
	v_cndmask_b32_e64 v2, 0, v2, s3
	s_delay_alu instid0(VALU_DEP_1) | instskip(NEXT) | instid1(VALU_DEP_1)
	v_add_nc_u32_e32 v1, v1, v2
	v_mov_b32_dpp v2, v1 row_shr:8 row_mask:0xf bank_mask:0xf
	s_delay_alu instid0(VALU_DEP_1) | instskip(NEXT) | instid1(VALU_DEP_1)
	v_cndmask_b32_e64 v2, 0, v2, s2
	v_add_nc_u32_e32 v1, v1, v2
	ds_swizzle_b32 v2, v1 offset:swizzle(BROADCAST,32,15)
	s_waitcnt lgkmcnt(0)
	v_cndmask_b32_e64 v2, v2, 0, s1
	s_delay_alu instid0(VALU_DEP_1)
	v_add_nc_u32_e32 v1, v1, v2
	s_and_saveexec_b32 s6, s0
	s_cbranch_execz .LBB1402_38
; %bb.37:
	v_lshlrev_b32_e32 v2, 2, v51
	ds_store_b32 v2, v1
.LBB1402_38:
	s_or_b32 exec_lo, exec_lo, s6
	s_delay_alu instid0(SALU_CYCLE_1)
	s_mov_b32 s6, exec_lo
	s_waitcnt lgkmcnt(0)
	s_barrier
	buffer_gl0_inv
	v_cmpx_gt_u32_e32 8, v0
	s_cbranch_execz .LBB1402_40
; %bb.39:
	ds_load_b32 v2, v30
	s_waitcnt lgkmcnt(0)
	v_mov_b32_dpp v4, v2 row_shr:1 row_mask:0xf bank_mask:0xf
	v_and_b32_e32 v3, 7, v50
	s_delay_alu instid0(VALU_DEP_1) | instskip(NEXT) | instid1(VALU_DEP_3)
	v_cmp_ne_u32_e32 vcc_lo, 0, v3
	v_cndmask_b32_e32 v4, 0, v4, vcc_lo
	v_cmp_lt_u32_e32 vcc_lo, 1, v3
	s_delay_alu instid0(VALU_DEP_2) | instskip(NEXT) | instid1(VALU_DEP_1)
	v_add_nc_u32_e32 v2, v4, v2
	v_mov_b32_dpp v4, v2 row_shr:2 row_mask:0xf bank_mask:0xf
	s_delay_alu instid0(VALU_DEP_1) | instskip(SKIP_1) | instid1(VALU_DEP_2)
	v_cndmask_b32_e32 v4, 0, v4, vcc_lo
	v_cmp_lt_u32_e32 vcc_lo, 3, v3
	v_add_nc_u32_e32 v2, v2, v4
	s_delay_alu instid0(VALU_DEP_1) | instskip(NEXT) | instid1(VALU_DEP_1)
	v_mov_b32_dpp v4, v2 row_shr:4 row_mask:0xf bank_mask:0xf
	v_cndmask_b32_e32 v3, 0, v4, vcc_lo
	s_delay_alu instid0(VALU_DEP_1)
	v_add_nc_u32_e32 v2, v2, v3
	ds_store_b32 v30, v2
.LBB1402_40:
	s_or_b32 exec_lo, exec_lo, s6
	v_cmp_gt_u32_e32 vcc_lo, 32, v0
	s_mov_b32 s7, exec_lo
	s_waitcnt lgkmcnt(0)
	s_barrier
	buffer_gl0_inv
                                        ; implicit-def: $vgpr8
	v_cmpx_lt_u32_e32 31, v0
	s_cbranch_execz .LBB1402_42
; %bb.41:
	v_lshl_add_u32 v2, v51, 2, -4
	ds_load_b32 v8, v2
	s_waitcnt lgkmcnt(0)
	v_add_nc_u32_e32 v1, v8, v1
.LBB1402_42:
	s_or_b32 exec_lo, exec_lo, s7
	v_add_nc_u32_e32 v2, -1, v50
	s_delay_alu instid0(VALU_DEP_1) | instskip(NEXT) | instid1(VALU_DEP_1)
	v_cmp_gt_i32_e64 s6, 0, v2
	v_cndmask_b32_e64 v2, v2, v50, s6
	v_cmp_eq_u32_e64 s6, 0, v50
	s_delay_alu instid0(VALU_DEP_2)
	v_lshlrev_b32_e32 v2, 2, v2
	ds_bpermute_b32 v9, v2, v1
	s_and_saveexec_b32 s7, vcc_lo
	s_cbranch_execz .LBB1402_60
; %bb.43:
	v_mov_b32_e32 v4, 0
	ds_load_b32 v1, v4 offset:28
	s_and_saveexec_b32 s24, s6
	s_cbranch_execz .LBB1402_45
; %bb.44:
	s_add_i32 s26, s15, 32
	s_mov_b32 s27, 0
	v_mov_b32_e32 v2, 1
	s_lshl_b64 s[26:27], s[26:27], 3
	s_delay_alu instid0(SALU_CYCLE_1)
	s_add_u32 s26, s20, s26
	s_addc_u32 s27, s21, s27
	s_waitcnt lgkmcnt(0)
	global_store_b64 v4, v[1:2], s[26:27]
.LBB1402_45:
	s_or_b32 exec_lo, exec_lo, s24
	v_xad_u32 v2, v50, -1, s15
	s_mov_b32 s25, 0
	s_mov_b32 s24, exec_lo
	s_delay_alu instid0(VALU_DEP_1) | instskip(NEXT) | instid1(VALU_DEP_1)
	v_add_nc_u32_e32 v3, 32, v2
	v_lshlrev_b64 v[3:4], 3, v[3:4]
	s_delay_alu instid0(VALU_DEP_1) | instskip(NEXT) | instid1(VALU_DEP_2)
	v_add_co_u32 v6, vcc_lo, s20, v3
	v_add_co_ci_u32_e32 v7, vcc_lo, s21, v4, vcc_lo
	global_load_b64 v[4:5], v[6:7], off glc
	s_waitcnt vmcnt(0)
	v_and_b32_e32 v3, 0xff, v5
	s_delay_alu instid0(VALU_DEP_1)
	v_cmpx_eq_u16_e32 0, v3
	s_cbranch_execz .LBB1402_48
.LBB1402_46:                            ; =>This Inner Loop Header: Depth=1
	global_load_b64 v[4:5], v[6:7], off glc
	s_waitcnt vmcnt(0)
	v_and_b32_e32 v3, 0xff, v5
	s_delay_alu instid0(VALU_DEP_1) | instskip(SKIP_1) | instid1(SALU_CYCLE_1)
	v_cmp_ne_u16_e32 vcc_lo, 0, v3
	s_or_b32 s25, vcc_lo, s25
	s_and_not1_b32 exec_lo, exec_lo, s25
	s_cbranch_execnz .LBB1402_46
; %bb.47:
	s_or_b32 exec_lo, exec_lo, s25
.LBB1402_48:
	s_delay_alu instid0(SALU_CYCLE_1)
	s_or_b32 exec_lo, exec_lo, s24
	v_cmp_ne_u32_e32 vcc_lo, 31, v50
	v_lshlrev_b32_e64 v11, v50, -1
	v_add_nc_u32_e32 v13, 2, v50
	v_add_nc_u32_e32 v16, 4, v50
	;; [unrolled: 1-line block ×3, first 2 shown]
	v_add_co_ci_u32_e32 v3, vcc_lo, 0, v50, vcc_lo
	v_add_nc_u32_e32 v55, 16, v50
	s_delay_alu instid0(VALU_DEP_2) | instskip(SKIP_2) | instid1(VALU_DEP_1)
	v_lshlrev_b32_e32 v10, 2, v3
	ds_bpermute_b32 v6, v10, v4
	v_and_b32_e32 v3, 0xff, v5
	v_cmp_eq_u16_e32 vcc_lo, 2, v3
	v_and_or_b32 v3, vcc_lo, v11, 0x80000000
	v_cmp_gt_u32_e32 vcc_lo, 30, v50
	s_delay_alu instid0(VALU_DEP_2) | instskip(SKIP_1) | instid1(VALU_DEP_2)
	v_ctz_i32_b32_e32 v3, v3
	v_cndmask_b32_e64 v7, 0, 1, vcc_lo
	v_cmp_lt_u32_e32 vcc_lo, v50, v3
	s_waitcnt lgkmcnt(0)
	s_delay_alu instid0(VALU_DEP_2) | instskip(NEXT) | instid1(VALU_DEP_1)
	v_dual_cndmask_b32 v6, 0, v6 :: v_dual_lshlrev_b32 v7, 1, v7
	v_add_lshl_u32 v12, v7, v50, 2
	v_cmp_gt_u32_e32 vcc_lo, 28, v50
	s_delay_alu instid0(VALU_DEP_3) | instskip(SKIP_4) | instid1(VALU_DEP_1)
	v_add_nc_u32_e32 v4, v6, v4
	v_cndmask_b32_e64 v7, 0, 1, vcc_lo
	v_cmp_le_u32_e32 vcc_lo, v13, v3
	ds_bpermute_b32 v6, v12, v4
	v_lshlrev_b32_e32 v7, 2, v7
	v_add_lshl_u32 v14, v7, v50, 2
	s_waitcnt lgkmcnt(0)
	v_cndmask_b32_e32 v6, 0, v6, vcc_lo
	v_cmp_gt_u32_e32 vcc_lo, 24, v50
	s_delay_alu instid0(VALU_DEP_2) | instskip(SKIP_4) | instid1(VALU_DEP_1)
	v_add_nc_u32_e32 v4, v4, v6
	v_cndmask_b32_e64 v7, 0, 1, vcc_lo
	v_cmp_le_u32_e32 vcc_lo, v16, v3
	ds_bpermute_b32 v6, v14, v4
	v_lshlrev_b32_e32 v7, 3, v7
	v_add_lshl_u32 v17, v7, v50, 2
	s_waitcnt lgkmcnt(0)
	v_cndmask_b32_e32 v6, 0, v6, vcc_lo
	v_cmp_gt_u32_e32 vcc_lo, 16, v50
	s_delay_alu instid0(VALU_DEP_2) | instskip(SKIP_4) | instid1(VALU_DEP_1)
	v_add_nc_u32_e32 v4, v4, v6
	v_cndmask_b32_e64 v7, 0, 1, vcc_lo
	v_cmp_le_u32_e32 vcc_lo, v53, v3
	ds_bpermute_b32 v6, v17, v4
	v_lshlrev_b32_e32 v7, 4, v7
	v_add_lshl_u32 v54, v7, v50, 2
	s_waitcnt lgkmcnt(0)
	v_cndmask_b32_e32 v6, 0, v6, vcc_lo
	v_cmp_le_u32_e32 vcc_lo, v55, v3
	s_delay_alu instid0(VALU_DEP_2) | instskip(SKIP_3) | instid1(VALU_DEP_1)
	v_add_nc_u32_e32 v4, v4, v6
	ds_bpermute_b32 v6, v54, v4
	s_waitcnt lgkmcnt(0)
	v_cndmask_b32_e32 v3, 0, v6, vcc_lo
	v_dual_mov_b32 v3, 0 :: v_dual_add_nc_u32 v4, v4, v3
	s_branch .LBB1402_50
.LBB1402_49:                            ;   in Loop: Header=BB1402_50 Depth=1
	s_or_b32 exec_lo, exec_lo, s24
	ds_bpermute_b32 v7, v10, v4
	v_and_b32_e32 v6, 0xff, v5
	v_subrev_nc_u32_e32 v2, 32, v2
	s_delay_alu instid0(VALU_DEP_2) | instskip(SKIP_1) | instid1(VALU_DEP_1)
	v_cmp_eq_u16_e32 vcc_lo, 2, v6
	v_and_or_b32 v6, vcc_lo, v11, 0x80000000
	v_ctz_i32_b32_e32 v6, v6
	s_delay_alu instid0(VALU_DEP_1) | instskip(SKIP_3) | instid1(VALU_DEP_2)
	v_cmp_lt_u32_e32 vcc_lo, v50, v6
	s_waitcnt lgkmcnt(0)
	v_cndmask_b32_e32 v7, 0, v7, vcc_lo
	v_cmp_le_u32_e32 vcc_lo, v13, v6
	v_add_nc_u32_e32 v4, v7, v4
	ds_bpermute_b32 v7, v12, v4
	s_waitcnt lgkmcnt(0)
	v_cndmask_b32_e32 v7, 0, v7, vcc_lo
	v_cmp_le_u32_e32 vcc_lo, v16, v6
	s_delay_alu instid0(VALU_DEP_2) | instskip(SKIP_4) | instid1(VALU_DEP_2)
	v_add_nc_u32_e32 v4, v4, v7
	ds_bpermute_b32 v7, v14, v4
	s_waitcnt lgkmcnt(0)
	v_cndmask_b32_e32 v7, 0, v7, vcc_lo
	v_cmp_le_u32_e32 vcc_lo, v53, v6
	v_add_nc_u32_e32 v4, v4, v7
	ds_bpermute_b32 v7, v17, v4
	s_waitcnt lgkmcnt(0)
	v_cndmask_b32_e32 v7, 0, v7, vcc_lo
	v_cmp_le_u32_e32 vcc_lo, v55, v6
	s_delay_alu instid0(VALU_DEP_2) | instskip(SKIP_3) | instid1(VALU_DEP_1)
	v_add_nc_u32_e32 v4, v4, v7
	ds_bpermute_b32 v7, v54, v4
	s_waitcnt lgkmcnt(0)
	v_cndmask_b32_e32 v6, 0, v7, vcc_lo
	v_add3_u32 v4, v6, v15, v4
.LBB1402_50:                            ; =>This Loop Header: Depth=1
                                        ;     Child Loop BB1402_53 Depth 2
	v_and_b32_e32 v5, 0xff, v5
	s_delay_alu instid0(VALU_DEP_2) | instskip(NEXT) | instid1(VALU_DEP_2)
	v_mov_b32_e32 v15, v4
	v_cmp_ne_u16_e32 vcc_lo, 2, v5
	v_cndmask_b32_e64 v5, 0, 1, vcc_lo
	;;#ASMSTART
	;;#ASMEND
	s_delay_alu instid0(VALU_DEP_1)
	v_cmp_ne_u32_e32 vcc_lo, 0, v5
	s_cmp_lg_u32 vcc_lo, exec_lo
	s_cbranch_scc1 .LBB1402_55
; %bb.51:                               ;   in Loop: Header=BB1402_50 Depth=1
	v_lshlrev_b64 v[4:5], 3, v[2:3]
	s_mov_b32 s24, exec_lo
	s_delay_alu instid0(VALU_DEP_1) | instskip(NEXT) | instid1(VALU_DEP_2)
	v_add_co_u32 v6, vcc_lo, s20, v4
	v_add_co_ci_u32_e32 v7, vcc_lo, s21, v5, vcc_lo
	global_load_b64 v[4:5], v[6:7], off glc
	s_waitcnt vmcnt(0)
	v_and_b32_e32 v56, 0xff, v5
	s_delay_alu instid0(VALU_DEP_1)
	v_cmpx_eq_u16_e32 0, v56
	s_cbranch_execz .LBB1402_49
; %bb.52:                               ;   in Loop: Header=BB1402_50 Depth=1
	s_mov_b32 s25, 0
.LBB1402_53:                            ;   Parent Loop BB1402_50 Depth=1
                                        ; =>  This Inner Loop Header: Depth=2
	global_load_b64 v[4:5], v[6:7], off glc
	s_waitcnt vmcnt(0)
	v_and_b32_e32 v56, 0xff, v5
	s_delay_alu instid0(VALU_DEP_1) | instskip(SKIP_1) | instid1(SALU_CYCLE_1)
	v_cmp_ne_u16_e32 vcc_lo, 0, v56
	s_or_b32 s25, vcc_lo, s25
	s_and_not1_b32 exec_lo, exec_lo, s25
	s_cbranch_execnz .LBB1402_53
; %bb.54:                               ;   in Loop: Header=BB1402_50 Depth=1
	s_or_b32 exec_lo, exec_lo, s25
	s_branch .LBB1402_49
.LBB1402_55:                            ;   in Loop: Header=BB1402_50 Depth=1
                                        ; implicit-def: $vgpr4
                                        ; implicit-def: $vgpr5
	s_cbranch_execz .LBB1402_50
; %bb.56:
	s_and_saveexec_b32 s24, s6
	s_cbranch_execz .LBB1402_58
; %bb.57:
	s_add_i32 s26, s15, 32
	s_mov_b32 s27, 0
	v_dual_mov_b32 v3, 2 :: v_dual_add_nc_u32 v2, v15, v1
	s_lshl_b64 s[26:27], s[26:27], 3
	v_mov_b32_e32 v4, 0
	v_add_nc_u32_e64 v5, 0x3400, 0
	s_add_u32 s26, s20, s26
	s_addc_u32 s27, s21, s27
	global_store_b64 v4, v[2:3], s[26:27]
	ds_store_2addr_b32 v5, v1, v15 offset1:2
.LBB1402_58:
	s_or_b32 exec_lo, exec_lo, s24
	v_cmp_eq_u32_e32 vcc_lo, 0, v0
	s_and_b32 exec_lo, exec_lo, vcc_lo
	s_cbranch_execz .LBB1402_60
; %bb.59:
	v_mov_b32_e32 v1, 0
	ds_store_b32 v1, v15 offset:28
.LBB1402_60:
	s_or_b32 exec_lo, exec_lo, s7
	s_waitcnt lgkmcnt(0)
	v_cndmask_b32_e64 v2, v9, v8, s6
	v_cmp_ne_u32_e32 vcc_lo, 0, v0
	v_mov_b32_e32 v1, 0
	s_waitcnt_vscnt null, 0x0
	s_barrier
	buffer_gl0_inv
	v_cndmask_b32_e32 v2, 0, v2, vcc_lo
	ds_load_b32 v1, v1 offset:28
	v_add_nc_u32_e64 v11, 0x3400, 0
	s_waitcnt lgkmcnt(0)
	s_barrier
	buffer_gl0_inv
	ds_load_2addr_b32 v[16:17], v11 offset1:2
	v_add_nc_u32_e32 v1, v1, v2
	s_delay_alu instid0(VALU_DEP_1) | instskip(NEXT) | instid1(VALU_DEP_1)
	v_add_nc_u32_e32 v2, v1, v41
	v_add_nc_u32_e32 v3, v2, v42
	s_delay_alu instid0(VALU_DEP_1) | instskip(NEXT) | instid1(VALU_DEP_1)
	v_add_nc_u32_e32 v4, v3, v43
	;; [unrolled: 3-line block ×6, first 2 shown]
	v_add_nc_u32_e32 v13, v12, v36
	s_branch .LBB1402_71
.LBB1402_61:
                                        ; implicit-def: $vgpr17
                                        ; implicit-def: $vgpr1_vgpr2_vgpr3_vgpr4_vgpr5_vgpr6_vgpr7_vgpr8_vgpr9_vgpr10_vgpr11_vgpr12_vgpr13_vgpr14_vgpr15_vgpr16
	s_and_b32 vcc_lo, exec_lo, s6
	s_cbranch_vccz .LBB1402_71
; %bb.62:
	s_delay_alu instid0(VALU_DEP_1) | instskip(NEXT) | instid1(VALU_DEP_1)
	v_mov_b32_dpp v1, v52 row_shr:1 row_mask:0xf bank_mask:0xf
	v_cndmask_b32_e64 v1, v1, 0, s5
	s_delay_alu instid0(VALU_DEP_1) | instskip(NEXT) | instid1(VALU_DEP_1)
	v_add_nc_u32_e32 v1, v1, v52
	v_mov_b32_dpp v2, v1 row_shr:2 row_mask:0xf bank_mask:0xf
	s_delay_alu instid0(VALU_DEP_1) | instskip(NEXT) | instid1(VALU_DEP_1)
	v_cndmask_b32_e64 v2, 0, v2, s4
	v_add_nc_u32_e32 v1, v1, v2
	s_delay_alu instid0(VALU_DEP_1) | instskip(NEXT) | instid1(VALU_DEP_1)
	v_mov_b32_dpp v2, v1 row_shr:4 row_mask:0xf bank_mask:0xf
	v_cndmask_b32_e64 v2, 0, v2, s3
	s_delay_alu instid0(VALU_DEP_1) | instskip(NEXT) | instid1(VALU_DEP_1)
	v_add_nc_u32_e32 v1, v1, v2
	v_mov_b32_dpp v2, v1 row_shr:8 row_mask:0xf bank_mask:0xf
	s_delay_alu instid0(VALU_DEP_1) | instskip(NEXT) | instid1(VALU_DEP_1)
	v_cndmask_b32_e64 v2, 0, v2, s2
	v_add_nc_u32_e32 v1, v1, v2
	ds_swizzle_b32 v2, v1 offset:swizzle(BROADCAST,32,15)
	s_waitcnt lgkmcnt(0)
	v_cndmask_b32_e64 v2, v2, 0, s1
	s_delay_alu instid0(VALU_DEP_1)
	v_add_nc_u32_e32 v1, v1, v2
	s_and_saveexec_b32 s1, s0
	s_cbranch_execz .LBB1402_64
; %bb.63:
	v_lshlrev_b32_e32 v2, 2, v51
	ds_store_b32 v2, v1
.LBB1402_64:
	s_or_b32 exec_lo, exec_lo, s1
	s_delay_alu instid0(SALU_CYCLE_1)
	s_mov_b32 s0, exec_lo
	s_waitcnt lgkmcnt(0)
	s_barrier
	buffer_gl0_inv
	v_cmpx_gt_u32_e32 8, v0
	s_cbranch_execz .LBB1402_66
; %bb.65:
	ds_load_b32 v2, v30
	s_waitcnt lgkmcnt(0)
	v_mov_b32_dpp v4, v2 row_shr:1 row_mask:0xf bank_mask:0xf
	v_and_b32_e32 v3, 7, v50
	s_delay_alu instid0(VALU_DEP_1) | instskip(NEXT) | instid1(VALU_DEP_3)
	v_cmp_ne_u32_e32 vcc_lo, 0, v3
	v_cndmask_b32_e32 v4, 0, v4, vcc_lo
	v_cmp_lt_u32_e32 vcc_lo, 1, v3
	s_delay_alu instid0(VALU_DEP_2) | instskip(NEXT) | instid1(VALU_DEP_1)
	v_add_nc_u32_e32 v2, v4, v2
	v_mov_b32_dpp v4, v2 row_shr:2 row_mask:0xf bank_mask:0xf
	s_delay_alu instid0(VALU_DEP_1) | instskip(SKIP_1) | instid1(VALU_DEP_2)
	v_cndmask_b32_e32 v4, 0, v4, vcc_lo
	v_cmp_lt_u32_e32 vcc_lo, 3, v3
	v_add_nc_u32_e32 v2, v2, v4
	s_delay_alu instid0(VALU_DEP_1) | instskip(NEXT) | instid1(VALU_DEP_1)
	v_mov_b32_dpp v4, v2 row_shr:4 row_mask:0xf bank_mask:0xf
	v_cndmask_b32_e32 v3, 0, v4, vcc_lo
	s_delay_alu instid0(VALU_DEP_1)
	v_add_nc_u32_e32 v2, v2, v3
	ds_store_b32 v30, v2
.LBB1402_66:
	s_or_b32 exec_lo, exec_lo, s0
	v_dual_mov_b32 v3, 0 :: v_dual_mov_b32 v2, 0
	s_mov_b32 s0, exec_lo
	s_waitcnt lgkmcnt(0)
	s_barrier
	buffer_gl0_inv
	v_cmpx_lt_u32_e32 31, v0
	s_cbranch_execz .LBB1402_68
; %bb.67:
	v_lshl_add_u32 v2, v51, 2, -4
	ds_load_b32 v2, v2
.LBB1402_68:
	s_or_b32 exec_lo, exec_lo, s0
	v_add_nc_u32_e32 v4, -1, v50
	ds_load_b32 v16, v3 offset:28
	s_waitcnt lgkmcnt(1)
	v_add_nc_u32_e32 v1, v2, v1
	v_cmp_gt_i32_e32 vcc_lo, 0, v4
	v_cndmask_b32_e32 v4, v4, v50, vcc_lo
	v_cmp_eq_u32_e32 vcc_lo, 0, v0
	s_delay_alu instid0(VALU_DEP_2)
	v_lshlrev_b32_e32 v4, 2, v4
	ds_bpermute_b32 v1, v4, v1
	s_and_saveexec_b32 s0, vcc_lo
	s_cbranch_execz .LBB1402_70
; %bb.69:
	v_mov_b32_e32 v3, 0
	v_mov_b32_e32 v17, 2
	s_waitcnt lgkmcnt(1)
	global_store_b64 v3, v[16:17], s[20:21] offset:256
.LBB1402_70:
	s_or_b32 exec_lo, exec_lo, s0
	v_cmp_eq_u32_e64 s0, 0, v50
	s_waitcnt lgkmcnt(0)
	s_waitcnt_vscnt null, 0x0
	s_barrier
	buffer_gl0_inv
	v_mov_b32_e32 v17, 0
	v_cndmask_b32_e64 v1, v1, v2, s0
	s_delay_alu instid0(VALU_DEP_1) | instskip(NEXT) | instid1(VALU_DEP_1)
	v_cndmask_b32_e64 v1, v1, 0, vcc_lo
	v_add_nc_u32_e32 v2, v1, v41
	s_delay_alu instid0(VALU_DEP_1) | instskip(NEXT) | instid1(VALU_DEP_1)
	v_add_nc_u32_e32 v3, v2, v42
	v_add_nc_u32_e32 v4, v3, v43
	s_delay_alu instid0(VALU_DEP_1) | instskip(NEXT) | instid1(VALU_DEP_1)
	v_add_nc_u32_e32 v5, v4, v40
	;; [unrolled: 3-line block ×5, first 2 shown]
	v_add_nc_u32_e32 v12, v11, v49
	s_delay_alu instid0(VALU_DEP_1)
	v_add_nc_u32_e32 v13, v12, v36
.LBB1402_71:
	v_lshrrev_b32_e32 v44, 8, v39
	v_lshrrev_b32_e32 v43, 16, v39
	s_waitcnt lgkmcnt(0)
	v_sub_nc_u32_e32 v1, v1, v17
	v_and_b32_e32 v39, 1, v39
	v_sub_nc_u32_e32 v3, v3, v17
	v_add_nc_u32_e32 v33, v16, v33
	v_sub_nc_u32_e32 v2, v2, v17
	v_sub_nc_u32_e32 v4, v4, v17
	v_cmp_eq_u32_e32 vcc_lo, 1, v39
	v_and_b32_e32 v39, 1, v43
	v_sub_nc_u32_e32 v45, v33, v1
	v_and_b32_e32 v44, 1, v44
	v_sub_nc_u32_e32 v43, v33, v2
	v_lshrrev_b32_e32 v42, 8, v37
	v_lshrrev_b32_e32 v41, 16, v37
	v_cndmask_b32_e32 v1, v45, v1, vcc_lo
	v_sub_nc_u32_e32 v45, v33, v3
	v_add_nc_u32_e32 v43, 1, v43
	v_cmp_eq_u32_e32 vcc_lo, 1, v44
	v_and_b32_e32 v40, 1, v40
	v_lshlrev_b32_e32 v1, 2, v1
	v_add_nc_u32_e32 v45, 2, v45
	v_lshrrev_b32_e32 v15, 8, v35
	v_lshrrev_b32_e32 v14, 16, v35
	ds_store_b32 v1, v28
	v_cndmask_b32_e32 v1, v43, v2, vcc_lo
	v_cmp_eq_u32_e32 vcc_lo, 1, v39
	v_or_b32_e32 v28, 0x500, v0
	s_delay_alu instid0(VALU_DEP_3)
	v_dual_cndmask_b32 v2, v45, v3 :: v_dual_lshlrev_b32 v1, 2, v1
	v_sub_nc_u32_e32 v46, v33, v4
	v_cmp_eq_u32_e32 vcc_lo, 1, v40
	ds_store_b32 v1, v29
	v_lshlrev_b32_e32 v2, 2, v2
	v_add_nc_u32_e32 v46, 3, v46
	v_or_b32_e32 v29, 0x400, v0
	s_delay_alu instid0(VALU_DEP_2) | instskip(SKIP_2) | instid1(VALU_DEP_3)
	v_cndmask_b32_e32 v3, v46, v4, vcc_lo
	v_sub_nc_u32_e32 v4, v5, v17
	v_sub_nc_u32_e32 v5, v6, v17
	v_lshlrev_b32_e32 v3, 2, v3
	s_delay_alu instid0(VALU_DEP_3) | instskip(NEXT) | instid1(VALU_DEP_3)
	v_sub_nc_u32_e32 v1, v33, v4
	v_sub_nc_u32_e32 v6, v33, v5
	ds_store_b32 v2, v26
	ds_store_b32 v3, v27
	v_and_b32_e32 v2, 1, v37
	v_add_nc_u32_e32 v1, 4, v1
	v_add_nc_u32_e32 v3, 5, v6
	v_sub_nc_u32_e32 v6, v7, v17
	v_and_b32_e32 v7, 1, v42
	v_cmp_eq_u32_e32 vcc_lo, 1, v2
	v_sub_nc_u32_e32 v2, v8, v17
	v_and_b32_e32 v8, 1, v38
	v_or_b32_e32 v27, 0x600, v0
	v_or_b32_e32 v26, 0x700, v0
	v_cndmask_b32_e32 v1, v1, v4, vcc_lo
	v_sub_nc_u32_e32 v4, v33, v6
	v_cmp_eq_u32_e32 vcc_lo, 1, v7
	v_and_b32_e32 v7, 1, v41
	s_delay_alu instid0(VALU_DEP_4) | instskip(NEXT) | instid1(VALU_DEP_4)
	v_lshlrev_b32_e32 v1, 2, v1
	v_dual_cndmask_b32 v3, v3, v5 :: v_dual_add_nc_u32 v4, 6, v4
	v_sub_nc_u32_e32 v5, v33, v2
	s_delay_alu instid0(VALU_DEP_4) | instskip(SKIP_1) | instid1(VALU_DEP_4)
	v_cmp_eq_u32_e32 vcc_lo, 1, v7
	v_sub_nc_u32_e32 v7, v13, v17
	v_lshlrev_b32_e32 v3, 2, v3
	s_delay_alu instid0(VALU_DEP_4)
	v_dual_cndmask_b32 v4, v4, v6 :: v_dual_add_nc_u32 v5, 7, v5
	v_cmp_eq_u32_e32 vcc_lo, 1, v8
	v_sub_nc_u32_e32 v6, v9, v17
	ds_store_b32 v1, v24
	ds_store_b32 v3, v25
	v_or_b32_e32 v25, 0x800, v0
	v_dual_cndmask_b32 v2, v5, v2 :: v_dual_lshlrev_b32 v3, 2, v4
	v_and_b32_e32 v5, 1, v35
	v_sub_nc_u32_e32 v1, v33, v6
	v_sub_nc_u32_e32 v4, v10, v17
	v_and_b32_e32 v10, 1, v36
	v_or_b32_e32 v24, 0x900, v0
	v_cmp_eq_u32_e32 vcc_lo, 1, v5
	v_sub_nc_u32_e32 v5, v12, v17
	v_add_nc_u32_e32 v1, 8, v1
	s_delay_alu instid0(VALU_DEP_2) | instskip(NEXT) | instid1(VALU_DEP_2)
	v_sub_nc_u32_e32 v9, v33, v5
	v_dual_cndmask_b32 v1, v1, v6 :: v_dual_and_b32 v6, 1, v15
	v_add_co_u32 v15, s0, s18, v17
	s_delay_alu instid0(VALU_DEP_3)
	v_add_nc_u32_e32 v9, 11, v9
	v_lshlrev_b32_e32 v2, 2, v2
	ds_store_b32 v3, v22
	ds_store_b32 v2, v23
	v_sub_nc_u32_e32 v3, v11, v17
	v_sub_nc_u32_e32 v2, v33, v4
	v_cmp_eq_u32_e32 vcc_lo, 1, v6
	v_and_b32_e32 v11, 1, v34
	v_lshlrev_b32_e32 v1, 2, v1
	v_sub_nc_u32_e32 v8, v33, v3
	v_add_nc_u32_e32 v2, 9, v2
	v_add_co_ci_u32_e64 v17, null, s19, 0, s0
	s_add_u32 s0, s16, s23
	s_delay_alu instid0(VALU_DEP_3)
	v_add_nc_u32_e32 v6, 10, v8
	v_and_b32_e32 v8, 1, v14
	v_cndmask_b32_e32 v2, v2, v4, vcc_lo
	v_sub_nc_u32_e32 v4, v33, v7
	s_addc_u32 s1, s17, 0
	s_sub_u32 s0, s12, s0
	v_cmp_eq_u32_e32 vcc_lo, 1, v8
	v_lshlrev_b32_e32 v2, 2, v2
	v_add_nc_u32_e32 v4, 12, v4
	s_subb_u32 s1, s13, s1
	v_add_co_u32 v13, s0, s0, v16
	v_cndmask_b32_e32 v3, v6, v3, vcc_lo
	v_cmp_eq_u32_e32 vcc_lo, 1, v10
	v_add_co_ci_u32_e64 v14, null, s1, 0, s0
	v_or_b32_e32 v34, 0x100, v0
	s_delay_alu instid0(VALU_DEP_4)
	v_lshlrev_b32_e32 v3, 2, v3
	v_cndmask_b32_e32 v5, v9, v5, vcc_lo
	v_cmp_eq_u32_e32 vcc_lo, 1, v11
	v_or_b32_e32 v33, 0x200, v0
	v_or_b32_e32 v23, 0xa00, v0
	v_or_b32_e32 v22, 0xb00, v0
	v_dual_cndmask_b32 v4, v4, v7 :: v_dual_lshlrev_b32 v5, 2, v5
	v_cmp_ne_u32_e32 vcc_lo, 1, v31
	s_delay_alu instid0(VALU_DEP_2)
	v_lshlrev_b32_e32 v4, 2, v4
	ds_store_b32 v1, v20
	ds_store_b32 v2, v21
	;; [unrolled: 1-line block ×5, first 2 shown]
	s_waitcnt lgkmcnt(0)
	s_barrier
	buffer_gl0_inv
	ds_load_2addr_stride64_b32 v[11:12], v30 offset1:4
	ds_load_2addr_stride64_b32 v[9:10], v30 offset0:8 offset1:12
	ds_load_2addr_stride64_b32 v[7:8], v30 offset0:16 offset1:20
	;; [unrolled: 1-line block ×5, first 2 shown]
	ds_load_b32 v18, v30 offset:12288
	v_add_co_u32 v20, s0, v13, v15
	v_or_b32_e32 v32, 0x300, v0
	v_or_b32_e32 v19, 0xc00, v0
	v_add_co_ci_u32_e64 v21, s0, v14, v17, s0
	s_mov_b32 s0, 0
	s_cbranch_vccnz .LBB1402_125
; %bb.72:
	s_mov_b32 s0, exec_lo
                                        ; implicit-def: $vgpr13_vgpr14
	v_cmpx_ge_u32_e64 v0, v16
	s_xor_b32 s0, exec_lo, s0
; %bb.73:
	v_not_b32_e32 v13, v0
	s_delay_alu instid0(VALU_DEP_1) | instskip(SKIP_1) | instid1(VALU_DEP_2)
	v_ashrrev_i32_e32 v14, 31, v13
	v_add_co_u32 v13, vcc_lo, v20, v13
	v_add_co_ci_u32_e32 v14, vcc_lo, v21, v14, vcc_lo
; %bb.74:
	s_and_not1_saveexec_b32 s0, s0
; %bb.75:
	v_add_co_u32 v13, vcc_lo, v15, v0
	v_add_co_ci_u32_e32 v14, vcc_lo, 0, v17, vcc_lo
; %bb.76:
	s_or_b32 exec_lo, exec_lo, s0
	s_delay_alu instid0(VALU_DEP_1) | instskip(SKIP_1) | instid1(VALU_DEP_1)
	v_lshlrev_b64 v[13:14], 2, v[13:14]
	s_mov_b32 s0, exec_lo
	v_add_co_u32 v13, vcc_lo, s10, v13
	s_delay_alu instid0(VALU_DEP_2)
	v_add_co_ci_u32_e32 v14, vcc_lo, s11, v14, vcc_lo
	s_waitcnt lgkmcnt(6)
	global_store_b32 v[13:14], v11, off
                                        ; implicit-def: $vgpr13_vgpr14
	v_cmpx_ge_u32_e64 v34, v16
	s_xor_b32 s0, exec_lo, s0
; %bb.77:
	v_xor_b32_e32 v13, 0xfffffeff, v0
	s_delay_alu instid0(VALU_DEP_1) | instskip(SKIP_1) | instid1(VALU_DEP_2)
	v_ashrrev_i32_e32 v14, 31, v13
	v_add_co_u32 v13, vcc_lo, v20, v13
	v_add_co_ci_u32_e32 v14, vcc_lo, v21, v14, vcc_lo
; %bb.78:
	s_and_not1_saveexec_b32 s0, s0
; %bb.79:
	v_add_co_u32 v13, vcc_lo, v15, v34
	v_add_co_ci_u32_e32 v14, vcc_lo, 0, v17, vcc_lo
; %bb.80:
	s_or_b32 exec_lo, exec_lo, s0
	s_delay_alu instid0(VALU_DEP_1) | instskip(SKIP_1) | instid1(VALU_DEP_1)
	v_lshlrev_b64 v[13:14], 2, v[13:14]
	s_mov_b32 s0, exec_lo
	v_add_co_u32 v13, vcc_lo, s10, v13
	s_delay_alu instid0(VALU_DEP_2)
	v_add_co_ci_u32_e32 v14, vcc_lo, s11, v14, vcc_lo
	global_store_b32 v[13:14], v12, off
                                        ; implicit-def: $vgpr13_vgpr14
	v_cmpx_ge_u32_e64 v33, v16
	s_xor_b32 s0, exec_lo, s0
; %bb.81:
	v_xor_b32_e32 v13, 0xfffffdff, v0
	s_delay_alu instid0(VALU_DEP_1) | instskip(SKIP_1) | instid1(VALU_DEP_2)
	v_ashrrev_i32_e32 v14, 31, v13
	v_add_co_u32 v13, vcc_lo, v20, v13
	v_add_co_ci_u32_e32 v14, vcc_lo, v21, v14, vcc_lo
; %bb.82:
	s_and_not1_saveexec_b32 s0, s0
; %bb.83:
	v_add_co_u32 v13, vcc_lo, v15, v33
	v_add_co_ci_u32_e32 v14, vcc_lo, 0, v17, vcc_lo
; %bb.84:
	s_or_b32 exec_lo, exec_lo, s0
	s_delay_alu instid0(VALU_DEP_1) | instskip(SKIP_1) | instid1(VALU_DEP_1)
	v_lshlrev_b64 v[13:14], 2, v[13:14]
	s_mov_b32 s0, exec_lo
	v_add_co_u32 v13, vcc_lo, s10, v13
	s_delay_alu instid0(VALU_DEP_2)
	v_add_co_ci_u32_e32 v14, vcc_lo, s11, v14, vcc_lo
	s_waitcnt lgkmcnt(5)
	global_store_b32 v[13:14], v9, off
                                        ; implicit-def: $vgpr13_vgpr14
	v_cmpx_ge_u32_e64 v32, v16
	s_xor_b32 s0, exec_lo, s0
; %bb.85:
	v_xor_b32_e32 v13, 0xfffffcff, v0
	s_delay_alu instid0(VALU_DEP_1) | instskip(SKIP_1) | instid1(VALU_DEP_2)
	v_ashrrev_i32_e32 v14, 31, v13
	v_add_co_u32 v13, vcc_lo, v20, v13
	v_add_co_ci_u32_e32 v14, vcc_lo, v21, v14, vcc_lo
; %bb.86:
	s_and_not1_saveexec_b32 s0, s0
; %bb.87:
	v_add_co_u32 v13, vcc_lo, v15, v32
	v_add_co_ci_u32_e32 v14, vcc_lo, 0, v17, vcc_lo
; %bb.88:
	s_or_b32 exec_lo, exec_lo, s0
	s_delay_alu instid0(VALU_DEP_1) | instskip(SKIP_1) | instid1(VALU_DEP_1)
	v_lshlrev_b64 v[13:14], 2, v[13:14]
	s_mov_b32 s0, exec_lo
	v_add_co_u32 v13, vcc_lo, s10, v13
	s_delay_alu instid0(VALU_DEP_2)
	v_add_co_ci_u32_e32 v14, vcc_lo, s11, v14, vcc_lo
	global_store_b32 v[13:14], v10, off
                                        ; implicit-def: $vgpr13_vgpr14
	v_cmpx_ge_u32_e64 v29, v16
	s_xor_b32 s0, exec_lo, s0
; %bb.89:
	v_xor_b32_e32 v13, 0xfffffbff, v0
	;; [unrolled: 47-line block ×6, first 2 shown]
	s_delay_alu instid0(VALU_DEP_1) | instskip(SKIP_1) | instid1(VALU_DEP_2)
	v_ashrrev_i32_e32 v14, 31, v13
	v_add_co_u32 v13, vcc_lo, v20, v13
	v_add_co_ci_u32_e32 v14, vcc_lo, v21, v14, vcc_lo
; %bb.122:
	s_and_not1_saveexec_b32 s0, s0
; %bb.123:
	v_add_co_u32 v13, vcc_lo, v15, v19
	v_add_co_ci_u32_e32 v14, vcc_lo, 0, v17, vcc_lo
; %bb.124:
	s_or_b32 exec_lo, exec_lo, s0
	s_mov_b32 s0, -1
	s_branch .LBB1402_205
.LBB1402_125:
                                        ; implicit-def: $vgpr13_vgpr14
	s_cbranch_execz .LBB1402_205
; %bb.126:
	s_mov_b32 s1, exec_lo
	v_cmpx_gt_u32_e64 s22, v0
	s_cbranch_execz .LBB1402_162
; %bb.127:
	s_mov_b32 s2, exec_lo
                                        ; implicit-def: $vgpr13_vgpr14
	v_cmpx_ge_u32_e64 v0, v16
	s_xor_b32 s2, exec_lo, s2
; %bb.128:
	v_not_b32_e32 v13, v0
	s_delay_alu instid0(VALU_DEP_1) | instskip(SKIP_1) | instid1(VALU_DEP_2)
	v_ashrrev_i32_e32 v14, 31, v13
	v_add_co_u32 v13, vcc_lo, v20, v13
	v_add_co_ci_u32_e32 v14, vcc_lo, v21, v14, vcc_lo
; %bb.129:
	s_and_not1_saveexec_b32 s2, s2
; %bb.130:
	v_add_co_u32 v13, vcc_lo, v15, v0
	v_add_co_ci_u32_e32 v14, vcc_lo, 0, v17, vcc_lo
; %bb.131:
	s_or_b32 exec_lo, exec_lo, s2
	s_delay_alu instid0(VALU_DEP_1) | instskip(NEXT) | instid1(VALU_DEP_1)
	v_lshlrev_b64 v[13:14], 2, v[13:14]
	v_add_co_u32 v13, vcc_lo, s10, v13
	s_delay_alu instid0(VALU_DEP_2) | instskip(SKIP_3) | instid1(SALU_CYCLE_1)
	v_add_co_ci_u32_e32 v14, vcc_lo, s11, v14, vcc_lo
	s_waitcnt lgkmcnt(6)
	global_store_b32 v[13:14], v11, off
	s_or_b32 exec_lo, exec_lo, s1
	s_mov_b32 s1, exec_lo
	v_cmpx_gt_u32_e64 s22, v34
	s_cbranch_execnz .LBB1402_163
.LBB1402_132:
	s_or_b32 exec_lo, exec_lo, s1
	s_delay_alu instid0(SALU_CYCLE_1)
	s_mov_b32 s1, exec_lo
	v_cmpx_gt_u32_e64 s22, v33
	s_cbranch_execz .LBB1402_168
.LBB1402_133:
	s_mov_b32 s2, exec_lo
                                        ; implicit-def: $vgpr11_vgpr12
	v_cmpx_ge_u32_e64 v33, v16
	s_xor_b32 s2, exec_lo, s2
	s_cbranch_execz .LBB1402_135
; %bb.134:
	s_waitcnt lgkmcnt(6)
	v_xor_b32_e32 v11, 0xfffffdff, v0
                                        ; implicit-def: $vgpr33
	s_delay_alu instid0(VALU_DEP_1) | instskip(SKIP_1) | instid1(VALU_DEP_2)
	v_ashrrev_i32_e32 v12, 31, v11
	v_add_co_u32 v11, vcc_lo, v20, v11
	v_add_co_ci_u32_e32 v12, vcc_lo, v21, v12, vcc_lo
.LBB1402_135:
	s_and_not1_saveexec_b32 s2, s2
	s_cbranch_execz .LBB1402_137
; %bb.136:
	s_waitcnt lgkmcnt(6)
	v_add_co_u32 v11, vcc_lo, v15, v33
	v_add_co_ci_u32_e32 v12, vcc_lo, 0, v17, vcc_lo
.LBB1402_137:
	s_or_b32 exec_lo, exec_lo, s2
	s_waitcnt lgkmcnt(6)
	s_delay_alu instid0(VALU_DEP_1) | instskip(NEXT) | instid1(VALU_DEP_1)
	v_lshlrev_b64 v[11:12], 2, v[11:12]
	v_add_co_u32 v11, vcc_lo, s10, v11
	s_delay_alu instid0(VALU_DEP_2) | instskip(SKIP_3) | instid1(SALU_CYCLE_1)
	v_add_co_ci_u32_e32 v12, vcc_lo, s11, v12, vcc_lo
	s_waitcnt lgkmcnt(5)
	global_store_b32 v[11:12], v9, off
	s_or_b32 exec_lo, exec_lo, s1
	s_mov_b32 s1, exec_lo
	v_cmpx_gt_u32_e64 s22, v32
	s_cbranch_execnz .LBB1402_169
.LBB1402_138:
	s_or_b32 exec_lo, exec_lo, s1
	s_delay_alu instid0(SALU_CYCLE_1)
	s_mov_b32 s1, exec_lo
	v_cmpx_gt_u32_e64 s22, v29
	s_cbranch_execz .LBB1402_174
.LBB1402_139:
	s_mov_b32 s2, exec_lo
                                        ; implicit-def: $vgpr9_vgpr10
	v_cmpx_ge_u32_e64 v29, v16
	s_xor_b32 s2, exec_lo, s2
	s_cbranch_execz .LBB1402_141
; %bb.140:
	s_waitcnt lgkmcnt(5)
	v_xor_b32_e32 v9, 0xfffffbff, v0
                                        ; implicit-def: $vgpr29
	s_delay_alu instid0(VALU_DEP_1) | instskip(SKIP_1) | instid1(VALU_DEP_2)
	v_ashrrev_i32_e32 v10, 31, v9
	v_add_co_u32 v9, vcc_lo, v20, v9
	v_add_co_ci_u32_e32 v10, vcc_lo, v21, v10, vcc_lo
.LBB1402_141:
	s_and_not1_saveexec_b32 s2, s2
	s_cbranch_execz .LBB1402_143
; %bb.142:
	s_waitcnt lgkmcnt(5)
	v_add_co_u32 v9, vcc_lo, v15, v29
	v_add_co_ci_u32_e32 v10, vcc_lo, 0, v17, vcc_lo
.LBB1402_143:
	s_or_b32 exec_lo, exec_lo, s2
	s_waitcnt lgkmcnt(5)
	s_delay_alu instid0(VALU_DEP_1) | instskip(NEXT) | instid1(VALU_DEP_1)
	v_lshlrev_b64 v[9:10], 2, v[9:10]
	v_add_co_u32 v9, vcc_lo, s10, v9
	s_delay_alu instid0(VALU_DEP_2) | instskip(SKIP_3) | instid1(SALU_CYCLE_1)
	v_add_co_ci_u32_e32 v10, vcc_lo, s11, v10, vcc_lo
	s_waitcnt lgkmcnt(4)
	global_store_b32 v[9:10], v7, off
	s_or_b32 exec_lo, exec_lo, s1
	s_mov_b32 s1, exec_lo
	v_cmpx_gt_u32_e64 s22, v28
	s_cbranch_execnz .LBB1402_175
.LBB1402_144:
	s_or_b32 exec_lo, exec_lo, s1
	s_delay_alu instid0(SALU_CYCLE_1)
	s_mov_b32 s1, exec_lo
	v_cmpx_gt_u32_e64 s22, v27
	s_cbranch_execz .LBB1402_180
.LBB1402_145:
	s_mov_b32 s2, exec_lo
                                        ; implicit-def: $vgpr7_vgpr8
	v_cmpx_ge_u32_e64 v27, v16
	s_xor_b32 s2, exec_lo, s2
	s_cbranch_execz .LBB1402_147
; %bb.146:
	s_waitcnt lgkmcnt(4)
	v_xor_b32_e32 v7, 0xfffff9ff, v0
                                        ; implicit-def: $vgpr27
	s_delay_alu instid0(VALU_DEP_1) | instskip(SKIP_1) | instid1(VALU_DEP_2)
	v_ashrrev_i32_e32 v8, 31, v7
	v_add_co_u32 v7, vcc_lo, v20, v7
	v_add_co_ci_u32_e32 v8, vcc_lo, v21, v8, vcc_lo
.LBB1402_147:
	s_and_not1_saveexec_b32 s2, s2
	s_cbranch_execz .LBB1402_149
; %bb.148:
	s_waitcnt lgkmcnt(4)
	v_add_co_u32 v7, vcc_lo, v15, v27
	v_add_co_ci_u32_e32 v8, vcc_lo, 0, v17, vcc_lo
.LBB1402_149:
	s_or_b32 exec_lo, exec_lo, s2
	s_waitcnt lgkmcnt(4)
	s_delay_alu instid0(VALU_DEP_1) | instskip(NEXT) | instid1(VALU_DEP_1)
	v_lshlrev_b64 v[7:8], 2, v[7:8]
	v_add_co_u32 v7, vcc_lo, s10, v7
	s_delay_alu instid0(VALU_DEP_2) | instskip(SKIP_3) | instid1(SALU_CYCLE_1)
	v_add_co_ci_u32_e32 v8, vcc_lo, s11, v8, vcc_lo
	s_waitcnt lgkmcnt(3)
	global_store_b32 v[7:8], v5, off
	s_or_b32 exec_lo, exec_lo, s1
	s_mov_b32 s1, exec_lo
	v_cmpx_gt_u32_e64 s22, v26
	s_cbranch_execnz .LBB1402_181
.LBB1402_150:
	s_or_b32 exec_lo, exec_lo, s1
	s_delay_alu instid0(SALU_CYCLE_1)
	s_mov_b32 s1, exec_lo
	v_cmpx_gt_u32_e64 s22, v25
	s_cbranch_execz .LBB1402_186
.LBB1402_151:
	s_mov_b32 s2, exec_lo
                                        ; implicit-def: $vgpr5_vgpr6
	v_cmpx_ge_u32_e64 v25, v16
	s_xor_b32 s2, exec_lo, s2
	s_cbranch_execz .LBB1402_153
; %bb.152:
	s_waitcnt lgkmcnt(3)
	v_xor_b32_e32 v5, 0xfffff7ff, v0
                                        ; implicit-def: $vgpr25
	s_delay_alu instid0(VALU_DEP_1) | instskip(SKIP_1) | instid1(VALU_DEP_2)
	v_ashrrev_i32_e32 v6, 31, v5
	v_add_co_u32 v5, vcc_lo, v20, v5
	v_add_co_ci_u32_e32 v6, vcc_lo, v21, v6, vcc_lo
.LBB1402_153:
	s_and_not1_saveexec_b32 s2, s2
	s_cbranch_execz .LBB1402_155
; %bb.154:
	s_waitcnt lgkmcnt(3)
	v_add_co_u32 v5, vcc_lo, v15, v25
	v_add_co_ci_u32_e32 v6, vcc_lo, 0, v17, vcc_lo
.LBB1402_155:
	s_or_b32 exec_lo, exec_lo, s2
	s_waitcnt lgkmcnt(3)
	s_delay_alu instid0(VALU_DEP_1) | instskip(NEXT) | instid1(VALU_DEP_1)
	v_lshlrev_b64 v[5:6], 2, v[5:6]
	v_add_co_u32 v5, vcc_lo, s10, v5
	s_delay_alu instid0(VALU_DEP_2) | instskip(SKIP_3) | instid1(SALU_CYCLE_1)
	v_add_co_ci_u32_e32 v6, vcc_lo, s11, v6, vcc_lo
	s_waitcnt lgkmcnt(2)
	global_store_b32 v[5:6], v3, off
	s_or_b32 exec_lo, exec_lo, s1
	s_mov_b32 s1, exec_lo
	v_cmpx_gt_u32_e64 s22, v24
	s_cbranch_execnz .LBB1402_187
.LBB1402_156:
	s_or_b32 exec_lo, exec_lo, s1
	s_delay_alu instid0(SALU_CYCLE_1)
	s_mov_b32 s1, exec_lo
	v_cmpx_gt_u32_e64 s22, v23
	s_cbranch_execz .LBB1402_192
.LBB1402_157:
	s_mov_b32 s2, exec_lo
                                        ; implicit-def: $vgpr3_vgpr4
	v_cmpx_ge_u32_e64 v23, v16
	s_xor_b32 s2, exec_lo, s2
	s_cbranch_execz .LBB1402_159
; %bb.158:
	s_waitcnt lgkmcnt(2)
	v_xor_b32_e32 v3, 0xfffff5ff, v0
                                        ; implicit-def: $vgpr23
	s_delay_alu instid0(VALU_DEP_1) | instskip(SKIP_1) | instid1(VALU_DEP_2)
	v_ashrrev_i32_e32 v4, 31, v3
	v_add_co_u32 v3, vcc_lo, v20, v3
	v_add_co_ci_u32_e32 v4, vcc_lo, v21, v4, vcc_lo
.LBB1402_159:
	s_and_not1_saveexec_b32 s2, s2
	s_cbranch_execz .LBB1402_161
; %bb.160:
	s_waitcnt lgkmcnt(2)
	v_add_co_u32 v3, vcc_lo, v15, v23
	v_add_co_ci_u32_e32 v4, vcc_lo, 0, v17, vcc_lo
.LBB1402_161:
	s_or_b32 exec_lo, exec_lo, s2
	s_waitcnt lgkmcnt(2)
	s_delay_alu instid0(VALU_DEP_1) | instskip(NEXT) | instid1(VALU_DEP_1)
	v_lshlrev_b64 v[3:4], 2, v[3:4]
	v_add_co_u32 v3, vcc_lo, s10, v3
	s_delay_alu instid0(VALU_DEP_2) | instskip(SKIP_3) | instid1(SALU_CYCLE_1)
	v_add_co_ci_u32_e32 v4, vcc_lo, s11, v4, vcc_lo
	s_waitcnt lgkmcnt(1)
	global_store_b32 v[3:4], v1, off
	s_or_b32 exec_lo, exec_lo, s1
	s_mov_b32 s1, exec_lo
	v_cmpx_gt_u32_e64 s22, v22
	s_cbranch_execz .LBB1402_198
	s_branch .LBB1402_193
.LBB1402_162:
	s_or_b32 exec_lo, exec_lo, s1
	s_delay_alu instid0(SALU_CYCLE_1)
	s_mov_b32 s1, exec_lo
	v_cmpx_gt_u32_e64 s22, v34
	s_cbranch_execz .LBB1402_132
.LBB1402_163:
	s_mov_b32 s2, exec_lo
                                        ; implicit-def: $vgpr13_vgpr14
	v_cmpx_ge_u32_e64 v34, v16
	s_xor_b32 s2, exec_lo, s2
	s_cbranch_execz .LBB1402_165
; %bb.164:
	s_waitcnt lgkmcnt(6)
	v_xor_b32_e32 v11, 0xfffffeff, v0
                                        ; implicit-def: $vgpr34
	s_delay_alu instid0(VALU_DEP_1) | instskip(SKIP_1) | instid1(VALU_DEP_2)
	v_ashrrev_i32_e32 v14, 31, v11
	v_add_co_u32 v13, vcc_lo, v20, v11
	v_add_co_ci_u32_e32 v14, vcc_lo, v21, v14, vcc_lo
.LBB1402_165:
	s_and_not1_saveexec_b32 s2, s2
; %bb.166:
	v_add_co_u32 v13, vcc_lo, v15, v34
	v_add_co_ci_u32_e32 v14, vcc_lo, 0, v17, vcc_lo
; %bb.167:
	s_or_b32 exec_lo, exec_lo, s2
	s_delay_alu instid0(VALU_DEP_1) | instskip(NEXT) | instid1(VALU_DEP_1)
	v_lshlrev_b64 v[13:14], 2, v[13:14]
	v_add_co_u32 v13, vcc_lo, s10, v13
	s_delay_alu instid0(VALU_DEP_2) | instskip(SKIP_3) | instid1(SALU_CYCLE_1)
	v_add_co_ci_u32_e32 v14, vcc_lo, s11, v14, vcc_lo
	s_waitcnt lgkmcnt(6)
	global_store_b32 v[13:14], v12, off
	s_or_b32 exec_lo, exec_lo, s1
	s_mov_b32 s1, exec_lo
	v_cmpx_gt_u32_e64 s22, v33
	s_cbranch_execnz .LBB1402_133
.LBB1402_168:
	s_or_b32 exec_lo, exec_lo, s1
	s_delay_alu instid0(SALU_CYCLE_1)
	s_mov_b32 s1, exec_lo
	v_cmpx_gt_u32_e64 s22, v32
	s_cbranch_execz .LBB1402_138
.LBB1402_169:
	s_mov_b32 s2, exec_lo
                                        ; implicit-def: $vgpr11_vgpr12
	v_cmpx_ge_u32_e64 v32, v16
	s_xor_b32 s2, exec_lo, s2
	s_cbranch_execz .LBB1402_171
; %bb.170:
	s_waitcnt lgkmcnt(5)
	v_xor_b32_e32 v9, 0xfffffcff, v0
                                        ; implicit-def: $vgpr32
	s_delay_alu instid0(VALU_DEP_1) | instskip(SKIP_1) | instid1(VALU_DEP_2)
	v_ashrrev_i32_e32 v12, 31, v9
	v_add_co_u32 v11, vcc_lo, v20, v9
	v_add_co_ci_u32_e32 v12, vcc_lo, v21, v12, vcc_lo
.LBB1402_171:
	s_and_not1_saveexec_b32 s2, s2
	s_cbranch_execz .LBB1402_173
; %bb.172:
	s_waitcnt lgkmcnt(6)
	v_add_co_u32 v11, vcc_lo, v15, v32
	v_add_co_ci_u32_e32 v12, vcc_lo, 0, v17, vcc_lo
.LBB1402_173:
	s_or_b32 exec_lo, exec_lo, s2
	s_waitcnt lgkmcnt(6)
	s_delay_alu instid0(VALU_DEP_1) | instskip(NEXT) | instid1(VALU_DEP_1)
	v_lshlrev_b64 v[11:12], 2, v[11:12]
	v_add_co_u32 v11, vcc_lo, s10, v11
	s_delay_alu instid0(VALU_DEP_2) | instskip(SKIP_3) | instid1(SALU_CYCLE_1)
	v_add_co_ci_u32_e32 v12, vcc_lo, s11, v12, vcc_lo
	s_waitcnt lgkmcnt(5)
	global_store_b32 v[11:12], v10, off
	s_or_b32 exec_lo, exec_lo, s1
	s_mov_b32 s1, exec_lo
	v_cmpx_gt_u32_e64 s22, v29
	s_cbranch_execnz .LBB1402_139
.LBB1402_174:
	s_or_b32 exec_lo, exec_lo, s1
	s_delay_alu instid0(SALU_CYCLE_1)
	s_mov_b32 s1, exec_lo
	v_cmpx_gt_u32_e64 s22, v28
	s_cbranch_execz .LBB1402_144
.LBB1402_175:
	s_mov_b32 s2, exec_lo
                                        ; implicit-def: $vgpr9_vgpr10
	v_cmpx_ge_u32_e64 v28, v16
	s_xor_b32 s2, exec_lo, s2
	s_cbranch_execz .LBB1402_177
; %bb.176:
	s_waitcnt lgkmcnt(4)
	v_xor_b32_e32 v7, 0xfffffaff, v0
                                        ; implicit-def: $vgpr28
	s_delay_alu instid0(VALU_DEP_1) | instskip(SKIP_1) | instid1(VALU_DEP_2)
	v_ashrrev_i32_e32 v10, 31, v7
	v_add_co_u32 v9, vcc_lo, v20, v7
	v_add_co_ci_u32_e32 v10, vcc_lo, v21, v10, vcc_lo
.LBB1402_177:
	s_and_not1_saveexec_b32 s2, s2
	s_cbranch_execz .LBB1402_179
; %bb.178:
	s_waitcnt lgkmcnt(5)
	v_add_co_u32 v9, vcc_lo, v15, v28
	v_add_co_ci_u32_e32 v10, vcc_lo, 0, v17, vcc_lo
.LBB1402_179:
	s_or_b32 exec_lo, exec_lo, s2
	s_waitcnt lgkmcnt(5)
	s_delay_alu instid0(VALU_DEP_1) | instskip(NEXT) | instid1(VALU_DEP_1)
	v_lshlrev_b64 v[9:10], 2, v[9:10]
	v_add_co_u32 v9, vcc_lo, s10, v9
	s_delay_alu instid0(VALU_DEP_2) | instskip(SKIP_3) | instid1(SALU_CYCLE_1)
	v_add_co_ci_u32_e32 v10, vcc_lo, s11, v10, vcc_lo
	s_waitcnt lgkmcnt(4)
	global_store_b32 v[9:10], v8, off
	s_or_b32 exec_lo, exec_lo, s1
	s_mov_b32 s1, exec_lo
	v_cmpx_gt_u32_e64 s22, v27
	s_cbranch_execnz .LBB1402_145
.LBB1402_180:
	s_or_b32 exec_lo, exec_lo, s1
	s_delay_alu instid0(SALU_CYCLE_1)
	s_mov_b32 s1, exec_lo
	v_cmpx_gt_u32_e64 s22, v26
	s_cbranch_execz .LBB1402_150
.LBB1402_181:
	s_mov_b32 s2, exec_lo
                                        ; implicit-def: $vgpr7_vgpr8
	v_cmpx_ge_u32_e64 v26, v16
	s_xor_b32 s2, exec_lo, s2
	s_cbranch_execz .LBB1402_183
; %bb.182:
	s_waitcnt lgkmcnt(3)
	v_xor_b32_e32 v5, 0xfffff8ff, v0
                                        ; implicit-def: $vgpr26
	s_delay_alu instid0(VALU_DEP_1) | instskip(SKIP_1) | instid1(VALU_DEP_2)
	v_ashrrev_i32_e32 v8, 31, v5
	v_add_co_u32 v7, vcc_lo, v20, v5
	v_add_co_ci_u32_e32 v8, vcc_lo, v21, v8, vcc_lo
.LBB1402_183:
	s_and_not1_saveexec_b32 s2, s2
	s_cbranch_execz .LBB1402_185
; %bb.184:
	s_waitcnt lgkmcnt(4)
	v_add_co_u32 v7, vcc_lo, v15, v26
	v_add_co_ci_u32_e32 v8, vcc_lo, 0, v17, vcc_lo
.LBB1402_185:
	s_or_b32 exec_lo, exec_lo, s2
	s_waitcnt lgkmcnt(4)
	s_delay_alu instid0(VALU_DEP_1) | instskip(NEXT) | instid1(VALU_DEP_1)
	v_lshlrev_b64 v[7:8], 2, v[7:8]
	v_add_co_u32 v7, vcc_lo, s10, v7
	s_delay_alu instid0(VALU_DEP_2) | instskip(SKIP_3) | instid1(SALU_CYCLE_1)
	v_add_co_ci_u32_e32 v8, vcc_lo, s11, v8, vcc_lo
	s_waitcnt lgkmcnt(3)
	global_store_b32 v[7:8], v6, off
	s_or_b32 exec_lo, exec_lo, s1
	s_mov_b32 s1, exec_lo
	v_cmpx_gt_u32_e64 s22, v25
	s_cbranch_execnz .LBB1402_151
.LBB1402_186:
	s_or_b32 exec_lo, exec_lo, s1
	s_delay_alu instid0(SALU_CYCLE_1)
	s_mov_b32 s1, exec_lo
	v_cmpx_gt_u32_e64 s22, v24
	s_cbranch_execz .LBB1402_156
.LBB1402_187:
	s_mov_b32 s2, exec_lo
                                        ; implicit-def: $vgpr5_vgpr6
	v_cmpx_ge_u32_e64 v24, v16
	s_xor_b32 s2, exec_lo, s2
	s_cbranch_execz .LBB1402_189
; %bb.188:
	s_waitcnt lgkmcnt(2)
	v_xor_b32_e32 v3, 0xfffff6ff, v0
                                        ; implicit-def: $vgpr24
	s_delay_alu instid0(VALU_DEP_1) | instskip(SKIP_1) | instid1(VALU_DEP_2)
	v_ashrrev_i32_e32 v6, 31, v3
	v_add_co_u32 v5, vcc_lo, v20, v3
	v_add_co_ci_u32_e32 v6, vcc_lo, v21, v6, vcc_lo
.LBB1402_189:
	s_and_not1_saveexec_b32 s2, s2
	s_cbranch_execz .LBB1402_191
; %bb.190:
	s_waitcnt lgkmcnt(3)
	v_add_co_u32 v5, vcc_lo, v15, v24
	v_add_co_ci_u32_e32 v6, vcc_lo, 0, v17, vcc_lo
.LBB1402_191:
	s_or_b32 exec_lo, exec_lo, s2
	s_waitcnt lgkmcnt(3)
	s_delay_alu instid0(VALU_DEP_1) | instskip(NEXT) | instid1(VALU_DEP_1)
	v_lshlrev_b64 v[5:6], 2, v[5:6]
	v_add_co_u32 v5, vcc_lo, s10, v5
	s_delay_alu instid0(VALU_DEP_2) | instskip(SKIP_3) | instid1(SALU_CYCLE_1)
	v_add_co_ci_u32_e32 v6, vcc_lo, s11, v6, vcc_lo
	s_waitcnt lgkmcnt(2)
	global_store_b32 v[5:6], v4, off
	s_or_b32 exec_lo, exec_lo, s1
	s_mov_b32 s1, exec_lo
	v_cmpx_gt_u32_e64 s22, v23
	s_cbranch_execnz .LBB1402_157
.LBB1402_192:
	s_or_b32 exec_lo, exec_lo, s1
	s_delay_alu instid0(SALU_CYCLE_1)
	s_mov_b32 s1, exec_lo
	v_cmpx_gt_u32_e64 s22, v22
	s_cbranch_execz .LBB1402_198
.LBB1402_193:
	s_mov_b32 s2, exec_lo
                                        ; implicit-def: $vgpr3_vgpr4
	v_cmpx_ge_u32_e64 v22, v16
	s_xor_b32 s2, exec_lo, s2
	s_cbranch_execz .LBB1402_195
; %bb.194:
	s_waitcnt lgkmcnt(1)
	v_xor_b32_e32 v1, 0xfffff4ff, v0
                                        ; implicit-def: $vgpr22
	s_delay_alu instid0(VALU_DEP_1) | instskip(SKIP_1) | instid1(VALU_DEP_2)
	v_ashrrev_i32_e32 v4, 31, v1
	v_add_co_u32 v3, vcc_lo, v20, v1
	v_add_co_ci_u32_e32 v4, vcc_lo, v21, v4, vcc_lo
.LBB1402_195:
	s_and_not1_saveexec_b32 s2, s2
	s_cbranch_execz .LBB1402_197
; %bb.196:
	s_waitcnt lgkmcnt(2)
	v_add_co_u32 v3, vcc_lo, v15, v22
	v_add_co_ci_u32_e32 v4, vcc_lo, 0, v17, vcc_lo
.LBB1402_197:
	s_or_b32 exec_lo, exec_lo, s2
	s_waitcnt lgkmcnt(2)
	s_delay_alu instid0(VALU_DEP_1) | instskip(NEXT) | instid1(VALU_DEP_1)
	v_lshlrev_b64 v[3:4], 2, v[3:4]
	v_add_co_u32 v3, vcc_lo, s10, v3
	s_delay_alu instid0(VALU_DEP_2)
	v_add_co_ci_u32_e32 v4, vcc_lo, s11, v4, vcc_lo
	s_waitcnt lgkmcnt(1)
	global_store_b32 v[3:4], v2, off
.LBB1402_198:
	s_or_b32 exec_lo, exec_lo, s1
	s_delay_alu instid0(SALU_CYCLE_1)
	s_mov_b32 s1, exec_lo
                                        ; implicit-def: $vgpr13_vgpr14
	v_cmpx_gt_u32_e64 s22, v19
	s_cbranch_execz .LBB1402_204
; %bb.199:
	s_mov_b32 s2, exec_lo
                                        ; implicit-def: $vgpr13_vgpr14
	v_cmpx_ge_u32_e64 v19, v16
	s_xor_b32 s2, exec_lo, s2
	s_cbranch_execz .LBB1402_201
; %bb.200:
	s_waitcnt lgkmcnt(1)
	v_xor_b32_e32 v1, 0xfffff3ff, v0
                                        ; implicit-def: $vgpr19
	s_delay_alu instid0(VALU_DEP_1) | instskip(SKIP_1) | instid1(VALU_DEP_2)
	v_ashrrev_i32_e32 v2, 31, v1
	v_add_co_u32 v13, vcc_lo, v20, v1
	v_add_co_ci_u32_e32 v14, vcc_lo, v21, v2, vcc_lo
.LBB1402_201:
	s_and_not1_saveexec_b32 s2, s2
; %bb.202:
	v_add_co_u32 v13, vcc_lo, v15, v19
	v_add_co_ci_u32_e32 v14, vcc_lo, 0, v17, vcc_lo
; %bb.203:
	s_or_b32 exec_lo, exec_lo, s2
	s_delay_alu instid0(SALU_CYCLE_1)
	s_or_b32 s0, s0, exec_lo
.LBB1402_204:
	s_or_b32 exec_lo, exec_lo, s1
.LBB1402_205:
	s_and_saveexec_b32 s1, s0
	s_cbranch_execz .LBB1402_207
; %bb.206:
	s_waitcnt lgkmcnt(1)
	v_lshlrev_b64 v[1:2], 2, v[13:14]
	s_delay_alu instid0(VALU_DEP_1) | instskip(NEXT) | instid1(VALU_DEP_2)
	v_add_co_u32 v1, vcc_lo, s10, v1
	v_add_co_ci_u32_e32 v2, vcc_lo, s11, v2, vcc_lo
	s_waitcnt lgkmcnt(0)
	global_store_b32 v[1:2], v18, off
.LBB1402_207:
	s_or_b32 exec_lo, exec_lo, s1
	v_cmp_eq_u32_e32 vcc_lo, 0, v0
	s_and_b32 s0, vcc_lo, s14
	s_delay_alu instid0(SALU_CYCLE_1)
	s_and_saveexec_b32 s1, s0
	s_cbranch_execz .LBB1402_209
; %bb.208:
	v_add_co_u32 v0, vcc_lo, v15, v16
	s_waitcnt lgkmcnt(1)
	v_mov_b32_e32 v2, 0
	v_add_co_ci_u32_e32 v1, vcc_lo, 0, v17, vcc_lo
	global_store_b64 v2, v[0:1], s[8:9]
.LBB1402_209:
	s_nop 0
	s_sendmsg sendmsg(MSG_DEALLOC_VGPRS)
	s_endpgm
	.section	.rodata,"a",@progbits
	.p2align	6, 0x0
	.amdhsa_kernel _ZN7rocprim17ROCPRIM_400000_NS6detail17trampoline_kernelINS0_13select_configILj256ELj13ELNS0_17block_load_methodE3ELS4_3ELS4_3ELNS0_20block_scan_algorithmE0ELj4294967295EEENS1_25partition_config_selectorILNS1_17partition_subalgoE3EjNS0_10empty_typeEbEEZZNS1_14partition_implILS8_3ELb0ES6_jNS0_17counting_iteratorIjlEEPS9_SE_NS0_5tupleIJPjSE_EEENSF_IJSE_SE_EEES9_SG_JZNS1_25segmented_radix_sort_implINS0_14default_configELb0EPKfPfPKlPlN2at6native12_GLOBAL__N_18offset_tEEE10hipError_tPvRmT1_PNSt15iterator_traitsISY_E10value_typeET2_T3_PNSZ_IS14_E10value_typeET4_jRbjT5_S1A_jjP12ihipStream_tbEUljE_EEESV_SW_SX_S14_S18_S1A_T6_T7_T9_mT8_S1C_bDpT10_ENKUlT_T0_E_clISt17integral_constantIbLb0EES1P_EEDaS1K_S1L_EUlS1K_E_NS1_11comp_targetILNS1_3genE9ELNS1_11target_archE1100ELNS1_3gpuE3ELNS1_3repE0EEENS1_30default_config_static_selectorELNS0_4arch9wavefront6targetE0EEEvSY_
		.amdhsa_group_segment_fixed_size 13324
		.amdhsa_private_segment_fixed_size 0
		.amdhsa_kernarg_size 144
		.amdhsa_user_sgpr_count 15
		.amdhsa_user_sgpr_dispatch_ptr 0
		.amdhsa_user_sgpr_queue_ptr 0
		.amdhsa_user_sgpr_kernarg_segment_ptr 1
		.amdhsa_user_sgpr_dispatch_id 0
		.amdhsa_user_sgpr_private_segment_size 0
		.amdhsa_wavefront_size32 1
		.amdhsa_uses_dynamic_stack 0
		.amdhsa_enable_private_segment 0
		.amdhsa_system_sgpr_workgroup_id_x 1
		.amdhsa_system_sgpr_workgroup_id_y 0
		.amdhsa_system_sgpr_workgroup_id_z 0
		.amdhsa_system_sgpr_workgroup_info 0
		.amdhsa_system_vgpr_workitem_id 0
		.amdhsa_next_free_vgpr 57
		.amdhsa_next_free_sgpr 28
		.amdhsa_reserve_vcc 1
		.amdhsa_float_round_mode_32 0
		.amdhsa_float_round_mode_16_64 0
		.amdhsa_float_denorm_mode_32 3
		.amdhsa_float_denorm_mode_16_64 3
		.amdhsa_dx10_clamp 1
		.amdhsa_ieee_mode 1
		.amdhsa_fp16_overflow 0
		.amdhsa_workgroup_processor_mode 1
		.amdhsa_memory_ordered 1
		.amdhsa_forward_progress 0
		.amdhsa_shared_vgpr_count 0
		.amdhsa_exception_fp_ieee_invalid_op 0
		.amdhsa_exception_fp_denorm_src 0
		.amdhsa_exception_fp_ieee_div_zero 0
		.amdhsa_exception_fp_ieee_overflow 0
		.amdhsa_exception_fp_ieee_underflow 0
		.amdhsa_exception_fp_ieee_inexact 0
		.amdhsa_exception_int_div_zero 0
	.end_amdhsa_kernel
	.section	.text._ZN7rocprim17ROCPRIM_400000_NS6detail17trampoline_kernelINS0_13select_configILj256ELj13ELNS0_17block_load_methodE3ELS4_3ELS4_3ELNS0_20block_scan_algorithmE0ELj4294967295EEENS1_25partition_config_selectorILNS1_17partition_subalgoE3EjNS0_10empty_typeEbEEZZNS1_14partition_implILS8_3ELb0ES6_jNS0_17counting_iteratorIjlEEPS9_SE_NS0_5tupleIJPjSE_EEENSF_IJSE_SE_EEES9_SG_JZNS1_25segmented_radix_sort_implINS0_14default_configELb0EPKfPfPKlPlN2at6native12_GLOBAL__N_18offset_tEEE10hipError_tPvRmT1_PNSt15iterator_traitsISY_E10value_typeET2_T3_PNSZ_IS14_E10value_typeET4_jRbjT5_S1A_jjP12ihipStream_tbEUljE_EEESV_SW_SX_S14_S18_S1A_T6_T7_T9_mT8_S1C_bDpT10_ENKUlT_T0_E_clISt17integral_constantIbLb0EES1P_EEDaS1K_S1L_EUlS1K_E_NS1_11comp_targetILNS1_3genE9ELNS1_11target_archE1100ELNS1_3gpuE3ELNS1_3repE0EEENS1_30default_config_static_selectorELNS0_4arch9wavefront6targetE0EEEvSY_,"axG",@progbits,_ZN7rocprim17ROCPRIM_400000_NS6detail17trampoline_kernelINS0_13select_configILj256ELj13ELNS0_17block_load_methodE3ELS4_3ELS4_3ELNS0_20block_scan_algorithmE0ELj4294967295EEENS1_25partition_config_selectorILNS1_17partition_subalgoE3EjNS0_10empty_typeEbEEZZNS1_14partition_implILS8_3ELb0ES6_jNS0_17counting_iteratorIjlEEPS9_SE_NS0_5tupleIJPjSE_EEENSF_IJSE_SE_EEES9_SG_JZNS1_25segmented_radix_sort_implINS0_14default_configELb0EPKfPfPKlPlN2at6native12_GLOBAL__N_18offset_tEEE10hipError_tPvRmT1_PNSt15iterator_traitsISY_E10value_typeET2_T3_PNSZ_IS14_E10value_typeET4_jRbjT5_S1A_jjP12ihipStream_tbEUljE_EEESV_SW_SX_S14_S18_S1A_T6_T7_T9_mT8_S1C_bDpT10_ENKUlT_T0_E_clISt17integral_constantIbLb0EES1P_EEDaS1K_S1L_EUlS1K_E_NS1_11comp_targetILNS1_3genE9ELNS1_11target_archE1100ELNS1_3gpuE3ELNS1_3repE0EEENS1_30default_config_static_selectorELNS0_4arch9wavefront6targetE0EEEvSY_,comdat
.Lfunc_end1402:
	.size	_ZN7rocprim17ROCPRIM_400000_NS6detail17trampoline_kernelINS0_13select_configILj256ELj13ELNS0_17block_load_methodE3ELS4_3ELS4_3ELNS0_20block_scan_algorithmE0ELj4294967295EEENS1_25partition_config_selectorILNS1_17partition_subalgoE3EjNS0_10empty_typeEbEEZZNS1_14partition_implILS8_3ELb0ES6_jNS0_17counting_iteratorIjlEEPS9_SE_NS0_5tupleIJPjSE_EEENSF_IJSE_SE_EEES9_SG_JZNS1_25segmented_radix_sort_implINS0_14default_configELb0EPKfPfPKlPlN2at6native12_GLOBAL__N_18offset_tEEE10hipError_tPvRmT1_PNSt15iterator_traitsISY_E10value_typeET2_T3_PNSZ_IS14_E10value_typeET4_jRbjT5_S1A_jjP12ihipStream_tbEUljE_EEESV_SW_SX_S14_S18_S1A_T6_T7_T9_mT8_S1C_bDpT10_ENKUlT_T0_E_clISt17integral_constantIbLb0EES1P_EEDaS1K_S1L_EUlS1K_E_NS1_11comp_targetILNS1_3genE9ELNS1_11target_archE1100ELNS1_3gpuE3ELNS1_3repE0EEENS1_30default_config_static_selectorELNS0_4arch9wavefront6targetE0EEEvSY_, .Lfunc_end1402-_ZN7rocprim17ROCPRIM_400000_NS6detail17trampoline_kernelINS0_13select_configILj256ELj13ELNS0_17block_load_methodE3ELS4_3ELS4_3ELNS0_20block_scan_algorithmE0ELj4294967295EEENS1_25partition_config_selectorILNS1_17partition_subalgoE3EjNS0_10empty_typeEbEEZZNS1_14partition_implILS8_3ELb0ES6_jNS0_17counting_iteratorIjlEEPS9_SE_NS0_5tupleIJPjSE_EEENSF_IJSE_SE_EEES9_SG_JZNS1_25segmented_radix_sort_implINS0_14default_configELb0EPKfPfPKlPlN2at6native12_GLOBAL__N_18offset_tEEE10hipError_tPvRmT1_PNSt15iterator_traitsISY_E10value_typeET2_T3_PNSZ_IS14_E10value_typeET4_jRbjT5_S1A_jjP12ihipStream_tbEUljE_EEESV_SW_SX_S14_S18_S1A_T6_T7_T9_mT8_S1C_bDpT10_ENKUlT_T0_E_clISt17integral_constantIbLb0EES1P_EEDaS1K_S1L_EUlS1K_E_NS1_11comp_targetILNS1_3genE9ELNS1_11target_archE1100ELNS1_3gpuE3ELNS1_3repE0EEENS1_30default_config_static_selectorELNS0_4arch9wavefront6targetE0EEEvSY_
                                        ; -- End function
	.section	.AMDGPU.csdata,"",@progbits
; Kernel info:
; codeLenInByte = 8864
; NumSgprs: 30
; NumVgprs: 57
; ScratchSize: 0
; MemoryBound: 0
; FloatMode: 240
; IeeeMode: 1
; LDSByteSize: 13324 bytes/workgroup (compile time only)
; SGPRBlocks: 3
; VGPRBlocks: 7
; NumSGPRsForWavesPerEU: 30
; NumVGPRsForWavesPerEU: 57
; Occupancy: 16
; WaveLimiterHint : 0
; COMPUTE_PGM_RSRC2:SCRATCH_EN: 0
; COMPUTE_PGM_RSRC2:USER_SGPR: 15
; COMPUTE_PGM_RSRC2:TRAP_HANDLER: 0
; COMPUTE_PGM_RSRC2:TGID_X_EN: 1
; COMPUTE_PGM_RSRC2:TGID_Y_EN: 0
; COMPUTE_PGM_RSRC2:TGID_Z_EN: 0
; COMPUTE_PGM_RSRC2:TIDIG_COMP_CNT: 0
	.section	.text._ZN7rocprim17ROCPRIM_400000_NS6detail17trampoline_kernelINS0_13select_configILj256ELj13ELNS0_17block_load_methodE3ELS4_3ELS4_3ELNS0_20block_scan_algorithmE0ELj4294967295EEENS1_25partition_config_selectorILNS1_17partition_subalgoE3EjNS0_10empty_typeEbEEZZNS1_14partition_implILS8_3ELb0ES6_jNS0_17counting_iteratorIjlEEPS9_SE_NS0_5tupleIJPjSE_EEENSF_IJSE_SE_EEES9_SG_JZNS1_25segmented_radix_sort_implINS0_14default_configELb0EPKfPfPKlPlN2at6native12_GLOBAL__N_18offset_tEEE10hipError_tPvRmT1_PNSt15iterator_traitsISY_E10value_typeET2_T3_PNSZ_IS14_E10value_typeET4_jRbjT5_S1A_jjP12ihipStream_tbEUljE_EEESV_SW_SX_S14_S18_S1A_T6_T7_T9_mT8_S1C_bDpT10_ENKUlT_T0_E_clISt17integral_constantIbLb0EES1P_EEDaS1K_S1L_EUlS1K_E_NS1_11comp_targetILNS1_3genE8ELNS1_11target_archE1030ELNS1_3gpuE2ELNS1_3repE0EEENS1_30default_config_static_selectorELNS0_4arch9wavefront6targetE0EEEvSY_,"axG",@progbits,_ZN7rocprim17ROCPRIM_400000_NS6detail17trampoline_kernelINS0_13select_configILj256ELj13ELNS0_17block_load_methodE3ELS4_3ELS4_3ELNS0_20block_scan_algorithmE0ELj4294967295EEENS1_25partition_config_selectorILNS1_17partition_subalgoE3EjNS0_10empty_typeEbEEZZNS1_14partition_implILS8_3ELb0ES6_jNS0_17counting_iteratorIjlEEPS9_SE_NS0_5tupleIJPjSE_EEENSF_IJSE_SE_EEES9_SG_JZNS1_25segmented_radix_sort_implINS0_14default_configELb0EPKfPfPKlPlN2at6native12_GLOBAL__N_18offset_tEEE10hipError_tPvRmT1_PNSt15iterator_traitsISY_E10value_typeET2_T3_PNSZ_IS14_E10value_typeET4_jRbjT5_S1A_jjP12ihipStream_tbEUljE_EEESV_SW_SX_S14_S18_S1A_T6_T7_T9_mT8_S1C_bDpT10_ENKUlT_T0_E_clISt17integral_constantIbLb0EES1P_EEDaS1K_S1L_EUlS1K_E_NS1_11comp_targetILNS1_3genE8ELNS1_11target_archE1030ELNS1_3gpuE2ELNS1_3repE0EEENS1_30default_config_static_selectorELNS0_4arch9wavefront6targetE0EEEvSY_,comdat
	.globl	_ZN7rocprim17ROCPRIM_400000_NS6detail17trampoline_kernelINS0_13select_configILj256ELj13ELNS0_17block_load_methodE3ELS4_3ELS4_3ELNS0_20block_scan_algorithmE0ELj4294967295EEENS1_25partition_config_selectorILNS1_17partition_subalgoE3EjNS0_10empty_typeEbEEZZNS1_14partition_implILS8_3ELb0ES6_jNS0_17counting_iteratorIjlEEPS9_SE_NS0_5tupleIJPjSE_EEENSF_IJSE_SE_EEES9_SG_JZNS1_25segmented_radix_sort_implINS0_14default_configELb0EPKfPfPKlPlN2at6native12_GLOBAL__N_18offset_tEEE10hipError_tPvRmT1_PNSt15iterator_traitsISY_E10value_typeET2_T3_PNSZ_IS14_E10value_typeET4_jRbjT5_S1A_jjP12ihipStream_tbEUljE_EEESV_SW_SX_S14_S18_S1A_T6_T7_T9_mT8_S1C_bDpT10_ENKUlT_T0_E_clISt17integral_constantIbLb0EES1P_EEDaS1K_S1L_EUlS1K_E_NS1_11comp_targetILNS1_3genE8ELNS1_11target_archE1030ELNS1_3gpuE2ELNS1_3repE0EEENS1_30default_config_static_selectorELNS0_4arch9wavefront6targetE0EEEvSY_ ; -- Begin function _ZN7rocprim17ROCPRIM_400000_NS6detail17trampoline_kernelINS0_13select_configILj256ELj13ELNS0_17block_load_methodE3ELS4_3ELS4_3ELNS0_20block_scan_algorithmE0ELj4294967295EEENS1_25partition_config_selectorILNS1_17partition_subalgoE3EjNS0_10empty_typeEbEEZZNS1_14partition_implILS8_3ELb0ES6_jNS0_17counting_iteratorIjlEEPS9_SE_NS0_5tupleIJPjSE_EEENSF_IJSE_SE_EEES9_SG_JZNS1_25segmented_radix_sort_implINS0_14default_configELb0EPKfPfPKlPlN2at6native12_GLOBAL__N_18offset_tEEE10hipError_tPvRmT1_PNSt15iterator_traitsISY_E10value_typeET2_T3_PNSZ_IS14_E10value_typeET4_jRbjT5_S1A_jjP12ihipStream_tbEUljE_EEESV_SW_SX_S14_S18_S1A_T6_T7_T9_mT8_S1C_bDpT10_ENKUlT_T0_E_clISt17integral_constantIbLb0EES1P_EEDaS1K_S1L_EUlS1K_E_NS1_11comp_targetILNS1_3genE8ELNS1_11target_archE1030ELNS1_3gpuE2ELNS1_3repE0EEENS1_30default_config_static_selectorELNS0_4arch9wavefront6targetE0EEEvSY_
	.p2align	8
	.type	_ZN7rocprim17ROCPRIM_400000_NS6detail17trampoline_kernelINS0_13select_configILj256ELj13ELNS0_17block_load_methodE3ELS4_3ELS4_3ELNS0_20block_scan_algorithmE0ELj4294967295EEENS1_25partition_config_selectorILNS1_17partition_subalgoE3EjNS0_10empty_typeEbEEZZNS1_14partition_implILS8_3ELb0ES6_jNS0_17counting_iteratorIjlEEPS9_SE_NS0_5tupleIJPjSE_EEENSF_IJSE_SE_EEES9_SG_JZNS1_25segmented_radix_sort_implINS0_14default_configELb0EPKfPfPKlPlN2at6native12_GLOBAL__N_18offset_tEEE10hipError_tPvRmT1_PNSt15iterator_traitsISY_E10value_typeET2_T3_PNSZ_IS14_E10value_typeET4_jRbjT5_S1A_jjP12ihipStream_tbEUljE_EEESV_SW_SX_S14_S18_S1A_T6_T7_T9_mT8_S1C_bDpT10_ENKUlT_T0_E_clISt17integral_constantIbLb0EES1P_EEDaS1K_S1L_EUlS1K_E_NS1_11comp_targetILNS1_3genE8ELNS1_11target_archE1030ELNS1_3gpuE2ELNS1_3repE0EEENS1_30default_config_static_selectorELNS0_4arch9wavefront6targetE0EEEvSY_,@function
_ZN7rocprim17ROCPRIM_400000_NS6detail17trampoline_kernelINS0_13select_configILj256ELj13ELNS0_17block_load_methodE3ELS4_3ELS4_3ELNS0_20block_scan_algorithmE0ELj4294967295EEENS1_25partition_config_selectorILNS1_17partition_subalgoE3EjNS0_10empty_typeEbEEZZNS1_14partition_implILS8_3ELb0ES6_jNS0_17counting_iteratorIjlEEPS9_SE_NS0_5tupleIJPjSE_EEENSF_IJSE_SE_EEES9_SG_JZNS1_25segmented_radix_sort_implINS0_14default_configELb0EPKfPfPKlPlN2at6native12_GLOBAL__N_18offset_tEEE10hipError_tPvRmT1_PNSt15iterator_traitsISY_E10value_typeET2_T3_PNSZ_IS14_E10value_typeET4_jRbjT5_S1A_jjP12ihipStream_tbEUljE_EEESV_SW_SX_S14_S18_S1A_T6_T7_T9_mT8_S1C_bDpT10_ENKUlT_T0_E_clISt17integral_constantIbLb0EES1P_EEDaS1K_S1L_EUlS1K_E_NS1_11comp_targetILNS1_3genE8ELNS1_11target_archE1030ELNS1_3gpuE2ELNS1_3repE0EEENS1_30default_config_static_selectorELNS0_4arch9wavefront6targetE0EEEvSY_: ; @_ZN7rocprim17ROCPRIM_400000_NS6detail17trampoline_kernelINS0_13select_configILj256ELj13ELNS0_17block_load_methodE3ELS4_3ELS4_3ELNS0_20block_scan_algorithmE0ELj4294967295EEENS1_25partition_config_selectorILNS1_17partition_subalgoE3EjNS0_10empty_typeEbEEZZNS1_14partition_implILS8_3ELb0ES6_jNS0_17counting_iteratorIjlEEPS9_SE_NS0_5tupleIJPjSE_EEENSF_IJSE_SE_EEES9_SG_JZNS1_25segmented_radix_sort_implINS0_14default_configELb0EPKfPfPKlPlN2at6native12_GLOBAL__N_18offset_tEEE10hipError_tPvRmT1_PNSt15iterator_traitsISY_E10value_typeET2_T3_PNSZ_IS14_E10value_typeET4_jRbjT5_S1A_jjP12ihipStream_tbEUljE_EEESV_SW_SX_S14_S18_S1A_T6_T7_T9_mT8_S1C_bDpT10_ENKUlT_T0_E_clISt17integral_constantIbLb0EES1P_EEDaS1K_S1L_EUlS1K_E_NS1_11comp_targetILNS1_3genE8ELNS1_11target_archE1030ELNS1_3gpuE2ELNS1_3repE0EEENS1_30default_config_static_selectorELNS0_4arch9wavefront6targetE0EEEvSY_
; %bb.0:
	.section	.rodata,"a",@progbits
	.p2align	6, 0x0
	.amdhsa_kernel _ZN7rocprim17ROCPRIM_400000_NS6detail17trampoline_kernelINS0_13select_configILj256ELj13ELNS0_17block_load_methodE3ELS4_3ELS4_3ELNS0_20block_scan_algorithmE0ELj4294967295EEENS1_25partition_config_selectorILNS1_17partition_subalgoE3EjNS0_10empty_typeEbEEZZNS1_14partition_implILS8_3ELb0ES6_jNS0_17counting_iteratorIjlEEPS9_SE_NS0_5tupleIJPjSE_EEENSF_IJSE_SE_EEES9_SG_JZNS1_25segmented_radix_sort_implINS0_14default_configELb0EPKfPfPKlPlN2at6native12_GLOBAL__N_18offset_tEEE10hipError_tPvRmT1_PNSt15iterator_traitsISY_E10value_typeET2_T3_PNSZ_IS14_E10value_typeET4_jRbjT5_S1A_jjP12ihipStream_tbEUljE_EEESV_SW_SX_S14_S18_S1A_T6_T7_T9_mT8_S1C_bDpT10_ENKUlT_T0_E_clISt17integral_constantIbLb0EES1P_EEDaS1K_S1L_EUlS1K_E_NS1_11comp_targetILNS1_3genE8ELNS1_11target_archE1030ELNS1_3gpuE2ELNS1_3repE0EEENS1_30default_config_static_selectorELNS0_4arch9wavefront6targetE0EEEvSY_
		.amdhsa_group_segment_fixed_size 0
		.amdhsa_private_segment_fixed_size 0
		.amdhsa_kernarg_size 144
		.amdhsa_user_sgpr_count 15
		.amdhsa_user_sgpr_dispatch_ptr 0
		.amdhsa_user_sgpr_queue_ptr 0
		.amdhsa_user_sgpr_kernarg_segment_ptr 1
		.amdhsa_user_sgpr_dispatch_id 0
		.amdhsa_user_sgpr_private_segment_size 0
		.amdhsa_wavefront_size32 1
		.amdhsa_uses_dynamic_stack 0
		.amdhsa_enable_private_segment 0
		.amdhsa_system_sgpr_workgroup_id_x 1
		.amdhsa_system_sgpr_workgroup_id_y 0
		.amdhsa_system_sgpr_workgroup_id_z 0
		.amdhsa_system_sgpr_workgroup_info 0
		.amdhsa_system_vgpr_workitem_id 0
		.amdhsa_next_free_vgpr 1
		.amdhsa_next_free_sgpr 1
		.amdhsa_reserve_vcc 0
		.amdhsa_float_round_mode_32 0
		.amdhsa_float_round_mode_16_64 0
		.amdhsa_float_denorm_mode_32 3
		.amdhsa_float_denorm_mode_16_64 3
		.amdhsa_dx10_clamp 1
		.amdhsa_ieee_mode 1
		.amdhsa_fp16_overflow 0
		.amdhsa_workgroup_processor_mode 1
		.amdhsa_memory_ordered 1
		.amdhsa_forward_progress 0
		.amdhsa_shared_vgpr_count 0
		.amdhsa_exception_fp_ieee_invalid_op 0
		.amdhsa_exception_fp_denorm_src 0
		.amdhsa_exception_fp_ieee_div_zero 0
		.amdhsa_exception_fp_ieee_overflow 0
		.amdhsa_exception_fp_ieee_underflow 0
		.amdhsa_exception_fp_ieee_inexact 0
		.amdhsa_exception_int_div_zero 0
	.end_amdhsa_kernel
	.section	.text._ZN7rocprim17ROCPRIM_400000_NS6detail17trampoline_kernelINS0_13select_configILj256ELj13ELNS0_17block_load_methodE3ELS4_3ELS4_3ELNS0_20block_scan_algorithmE0ELj4294967295EEENS1_25partition_config_selectorILNS1_17partition_subalgoE3EjNS0_10empty_typeEbEEZZNS1_14partition_implILS8_3ELb0ES6_jNS0_17counting_iteratorIjlEEPS9_SE_NS0_5tupleIJPjSE_EEENSF_IJSE_SE_EEES9_SG_JZNS1_25segmented_radix_sort_implINS0_14default_configELb0EPKfPfPKlPlN2at6native12_GLOBAL__N_18offset_tEEE10hipError_tPvRmT1_PNSt15iterator_traitsISY_E10value_typeET2_T3_PNSZ_IS14_E10value_typeET4_jRbjT5_S1A_jjP12ihipStream_tbEUljE_EEESV_SW_SX_S14_S18_S1A_T6_T7_T9_mT8_S1C_bDpT10_ENKUlT_T0_E_clISt17integral_constantIbLb0EES1P_EEDaS1K_S1L_EUlS1K_E_NS1_11comp_targetILNS1_3genE8ELNS1_11target_archE1030ELNS1_3gpuE2ELNS1_3repE0EEENS1_30default_config_static_selectorELNS0_4arch9wavefront6targetE0EEEvSY_,"axG",@progbits,_ZN7rocprim17ROCPRIM_400000_NS6detail17trampoline_kernelINS0_13select_configILj256ELj13ELNS0_17block_load_methodE3ELS4_3ELS4_3ELNS0_20block_scan_algorithmE0ELj4294967295EEENS1_25partition_config_selectorILNS1_17partition_subalgoE3EjNS0_10empty_typeEbEEZZNS1_14partition_implILS8_3ELb0ES6_jNS0_17counting_iteratorIjlEEPS9_SE_NS0_5tupleIJPjSE_EEENSF_IJSE_SE_EEES9_SG_JZNS1_25segmented_radix_sort_implINS0_14default_configELb0EPKfPfPKlPlN2at6native12_GLOBAL__N_18offset_tEEE10hipError_tPvRmT1_PNSt15iterator_traitsISY_E10value_typeET2_T3_PNSZ_IS14_E10value_typeET4_jRbjT5_S1A_jjP12ihipStream_tbEUljE_EEESV_SW_SX_S14_S18_S1A_T6_T7_T9_mT8_S1C_bDpT10_ENKUlT_T0_E_clISt17integral_constantIbLb0EES1P_EEDaS1K_S1L_EUlS1K_E_NS1_11comp_targetILNS1_3genE8ELNS1_11target_archE1030ELNS1_3gpuE2ELNS1_3repE0EEENS1_30default_config_static_selectorELNS0_4arch9wavefront6targetE0EEEvSY_,comdat
.Lfunc_end1403:
	.size	_ZN7rocprim17ROCPRIM_400000_NS6detail17trampoline_kernelINS0_13select_configILj256ELj13ELNS0_17block_load_methodE3ELS4_3ELS4_3ELNS0_20block_scan_algorithmE0ELj4294967295EEENS1_25partition_config_selectorILNS1_17partition_subalgoE3EjNS0_10empty_typeEbEEZZNS1_14partition_implILS8_3ELb0ES6_jNS0_17counting_iteratorIjlEEPS9_SE_NS0_5tupleIJPjSE_EEENSF_IJSE_SE_EEES9_SG_JZNS1_25segmented_radix_sort_implINS0_14default_configELb0EPKfPfPKlPlN2at6native12_GLOBAL__N_18offset_tEEE10hipError_tPvRmT1_PNSt15iterator_traitsISY_E10value_typeET2_T3_PNSZ_IS14_E10value_typeET4_jRbjT5_S1A_jjP12ihipStream_tbEUljE_EEESV_SW_SX_S14_S18_S1A_T6_T7_T9_mT8_S1C_bDpT10_ENKUlT_T0_E_clISt17integral_constantIbLb0EES1P_EEDaS1K_S1L_EUlS1K_E_NS1_11comp_targetILNS1_3genE8ELNS1_11target_archE1030ELNS1_3gpuE2ELNS1_3repE0EEENS1_30default_config_static_selectorELNS0_4arch9wavefront6targetE0EEEvSY_, .Lfunc_end1403-_ZN7rocprim17ROCPRIM_400000_NS6detail17trampoline_kernelINS0_13select_configILj256ELj13ELNS0_17block_load_methodE3ELS4_3ELS4_3ELNS0_20block_scan_algorithmE0ELj4294967295EEENS1_25partition_config_selectorILNS1_17partition_subalgoE3EjNS0_10empty_typeEbEEZZNS1_14partition_implILS8_3ELb0ES6_jNS0_17counting_iteratorIjlEEPS9_SE_NS0_5tupleIJPjSE_EEENSF_IJSE_SE_EEES9_SG_JZNS1_25segmented_radix_sort_implINS0_14default_configELb0EPKfPfPKlPlN2at6native12_GLOBAL__N_18offset_tEEE10hipError_tPvRmT1_PNSt15iterator_traitsISY_E10value_typeET2_T3_PNSZ_IS14_E10value_typeET4_jRbjT5_S1A_jjP12ihipStream_tbEUljE_EEESV_SW_SX_S14_S18_S1A_T6_T7_T9_mT8_S1C_bDpT10_ENKUlT_T0_E_clISt17integral_constantIbLb0EES1P_EEDaS1K_S1L_EUlS1K_E_NS1_11comp_targetILNS1_3genE8ELNS1_11target_archE1030ELNS1_3gpuE2ELNS1_3repE0EEENS1_30default_config_static_selectorELNS0_4arch9wavefront6targetE0EEEvSY_
                                        ; -- End function
	.section	.AMDGPU.csdata,"",@progbits
; Kernel info:
; codeLenInByte = 0
; NumSgprs: 0
; NumVgprs: 0
; ScratchSize: 0
; MemoryBound: 0
; FloatMode: 240
; IeeeMode: 1
; LDSByteSize: 0 bytes/workgroup (compile time only)
; SGPRBlocks: 0
; VGPRBlocks: 0
; NumSGPRsForWavesPerEU: 1
; NumVGPRsForWavesPerEU: 1
; Occupancy: 16
; WaveLimiterHint : 0
; COMPUTE_PGM_RSRC2:SCRATCH_EN: 0
; COMPUTE_PGM_RSRC2:USER_SGPR: 15
; COMPUTE_PGM_RSRC2:TRAP_HANDLER: 0
; COMPUTE_PGM_RSRC2:TGID_X_EN: 1
; COMPUTE_PGM_RSRC2:TGID_Y_EN: 0
; COMPUTE_PGM_RSRC2:TGID_Z_EN: 0
; COMPUTE_PGM_RSRC2:TIDIG_COMP_CNT: 0
	.section	.text._ZN7rocprim17ROCPRIM_400000_NS6detail17trampoline_kernelINS0_13select_configILj256ELj13ELNS0_17block_load_methodE3ELS4_3ELS4_3ELNS0_20block_scan_algorithmE0ELj4294967295EEENS1_25partition_config_selectorILNS1_17partition_subalgoE3EjNS0_10empty_typeEbEEZZNS1_14partition_implILS8_3ELb0ES6_jNS0_17counting_iteratorIjlEEPS9_SE_NS0_5tupleIJPjSE_EEENSF_IJSE_SE_EEES9_SG_JZNS1_25segmented_radix_sort_implINS0_14default_configELb0EPKfPfPKlPlN2at6native12_GLOBAL__N_18offset_tEEE10hipError_tPvRmT1_PNSt15iterator_traitsISY_E10value_typeET2_T3_PNSZ_IS14_E10value_typeET4_jRbjT5_S1A_jjP12ihipStream_tbEUljE_EEESV_SW_SX_S14_S18_S1A_T6_T7_T9_mT8_S1C_bDpT10_ENKUlT_T0_E_clISt17integral_constantIbLb1EES1P_EEDaS1K_S1L_EUlS1K_E_NS1_11comp_targetILNS1_3genE0ELNS1_11target_archE4294967295ELNS1_3gpuE0ELNS1_3repE0EEENS1_30default_config_static_selectorELNS0_4arch9wavefront6targetE0EEEvSY_,"axG",@progbits,_ZN7rocprim17ROCPRIM_400000_NS6detail17trampoline_kernelINS0_13select_configILj256ELj13ELNS0_17block_load_methodE3ELS4_3ELS4_3ELNS0_20block_scan_algorithmE0ELj4294967295EEENS1_25partition_config_selectorILNS1_17partition_subalgoE3EjNS0_10empty_typeEbEEZZNS1_14partition_implILS8_3ELb0ES6_jNS0_17counting_iteratorIjlEEPS9_SE_NS0_5tupleIJPjSE_EEENSF_IJSE_SE_EEES9_SG_JZNS1_25segmented_radix_sort_implINS0_14default_configELb0EPKfPfPKlPlN2at6native12_GLOBAL__N_18offset_tEEE10hipError_tPvRmT1_PNSt15iterator_traitsISY_E10value_typeET2_T3_PNSZ_IS14_E10value_typeET4_jRbjT5_S1A_jjP12ihipStream_tbEUljE_EEESV_SW_SX_S14_S18_S1A_T6_T7_T9_mT8_S1C_bDpT10_ENKUlT_T0_E_clISt17integral_constantIbLb1EES1P_EEDaS1K_S1L_EUlS1K_E_NS1_11comp_targetILNS1_3genE0ELNS1_11target_archE4294967295ELNS1_3gpuE0ELNS1_3repE0EEENS1_30default_config_static_selectorELNS0_4arch9wavefront6targetE0EEEvSY_,comdat
	.globl	_ZN7rocprim17ROCPRIM_400000_NS6detail17trampoline_kernelINS0_13select_configILj256ELj13ELNS0_17block_load_methodE3ELS4_3ELS4_3ELNS0_20block_scan_algorithmE0ELj4294967295EEENS1_25partition_config_selectorILNS1_17partition_subalgoE3EjNS0_10empty_typeEbEEZZNS1_14partition_implILS8_3ELb0ES6_jNS0_17counting_iteratorIjlEEPS9_SE_NS0_5tupleIJPjSE_EEENSF_IJSE_SE_EEES9_SG_JZNS1_25segmented_radix_sort_implINS0_14default_configELb0EPKfPfPKlPlN2at6native12_GLOBAL__N_18offset_tEEE10hipError_tPvRmT1_PNSt15iterator_traitsISY_E10value_typeET2_T3_PNSZ_IS14_E10value_typeET4_jRbjT5_S1A_jjP12ihipStream_tbEUljE_EEESV_SW_SX_S14_S18_S1A_T6_T7_T9_mT8_S1C_bDpT10_ENKUlT_T0_E_clISt17integral_constantIbLb1EES1P_EEDaS1K_S1L_EUlS1K_E_NS1_11comp_targetILNS1_3genE0ELNS1_11target_archE4294967295ELNS1_3gpuE0ELNS1_3repE0EEENS1_30default_config_static_selectorELNS0_4arch9wavefront6targetE0EEEvSY_ ; -- Begin function _ZN7rocprim17ROCPRIM_400000_NS6detail17trampoline_kernelINS0_13select_configILj256ELj13ELNS0_17block_load_methodE3ELS4_3ELS4_3ELNS0_20block_scan_algorithmE0ELj4294967295EEENS1_25partition_config_selectorILNS1_17partition_subalgoE3EjNS0_10empty_typeEbEEZZNS1_14partition_implILS8_3ELb0ES6_jNS0_17counting_iteratorIjlEEPS9_SE_NS0_5tupleIJPjSE_EEENSF_IJSE_SE_EEES9_SG_JZNS1_25segmented_radix_sort_implINS0_14default_configELb0EPKfPfPKlPlN2at6native12_GLOBAL__N_18offset_tEEE10hipError_tPvRmT1_PNSt15iterator_traitsISY_E10value_typeET2_T3_PNSZ_IS14_E10value_typeET4_jRbjT5_S1A_jjP12ihipStream_tbEUljE_EEESV_SW_SX_S14_S18_S1A_T6_T7_T9_mT8_S1C_bDpT10_ENKUlT_T0_E_clISt17integral_constantIbLb1EES1P_EEDaS1K_S1L_EUlS1K_E_NS1_11comp_targetILNS1_3genE0ELNS1_11target_archE4294967295ELNS1_3gpuE0ELNS1_3repE0EEENS1_30default_config_static_selectorELNS0_4arch9wavefront6targetE0EEEvSY_
	.p2align	8
	.type	_ZN7rocprim17ROCPRIM_400000_NS6detail17trampoline_kernelINS0_13select_configILj256ELj13ELNS0_17block_load_methodE3ELS4_3ELS4_3ELNS0_20block_scan_algorithmE0ELj4294967295EEENS1_25partition_config_selectorILNS1_17partition_subalgoE3EjNS0_10empty_typeEbEEZZNS1_14partition_implILS8_3ELb0ES6_jNS0_17counting_iteratorIjlEEPS9_SE_NS0_5tupleIJPjSE_EEENSF_IJSE_SE_EEES9_SG_JZNS1_25segmented_radix_sort_implINS0_14default_configELb0EPKfPfPKlPlN2at6native12_GLOBAL__N_18offset_tEEE10hipError_tPvRmT1_PNSt15iterator_traitsISY_E10value_typeET2_T3_PNSZ_IS14_E10value_typeET4_jRbjT5_S1A_jjP12ihipStream_tbEUljE_EEESV_SW_SX_S14_S18_S1A_T6_T7_T9_mT8_S1C_bDpT10_ENKUlT_T0_E_clISt17integral_constantIbLb1EES1P_EEDaS1K_S1L_EUlS1K_E_NS1_11comp_targetILNS1_3genE0ELNS1_11target_archE4294967295ELNS1_3gpuE0ELNS1_3repE0EEENS1_30default_config_static_selectorELNS0_4arch9wavefront6targetE0EEEvSY_,@function
_ZN7rocprim17ROCPRIM_400000_NS6detail17trampoline_kernelINS0_13select_configILj256ELj13ELNS0_17block_load_methodE3ELS4_3ELS4_3ELNS0_20block_scan_algorithmE0ELj4294967295EEENS1_25partition_config_selectorILNS1_17partition_subalgoE3EjNS0_10empty_typeEbEEZZNS1_14partition_implILS8_3ELb0ES6_jNS0_17counting_iteratorIjlEEPS9_SE_NS0_5tupleIJPjSE_EEENSF_IJSE_SE_EEES9_SG_JZNS1_25segmented_radix_sort_implINS0_14default_configELb0EPKfPfPKlPlN2at6native12_GLOBAL__N_18offset_tEEE10hipError_tPvRmT1_PNSt15iterator_traitsISY_E10value_typeET2_T3_PNSZ_IS14_E10value_typeET4_jRbjT5_S1A_jjP12ihipStream_tbEUljE_EEESV_SW_SX_S14_S18_S1A_T6_T7_T9_mT8_S1C_bDpT10_ENKUlT_T0_E_clISt17integral_constantIbLb1EES1P_EEDaS1K_S1L_EUlS1K_E_NS1_11comp_targetILNS1_3genE0ELNS1_11target_archE4294967295ELNS1_3gpuE0ELNS1_3repE0EEENS1_30default_config_static_selectorELNS0_4arch9wavefront6targetE0EEEvSY_: ; @_ZN7rocprim17ROCPRIM_400000_NS6detail17trampoline_kernelINS0_13select_configILj256ELj13ELNS0_17block_load_methodE3ELS4_3ELS4_3ELNS0_20block_scan_algorithmE0ELj4294967295EEENS1_25partition_config_selectorILNS1_17partition_subalgoE3EjNS0_10empty_typeEbEEZZNS1_14partition_implILS8_3ELb0ES6_jNS0_17counting_iteratorIjlEEPS9_SE_NS0_5tupleIJPjSE_EEENSF_IJSE_SE_EEES9_SG_JZNS1_25segmented_radix_sort_implINS0_14default_configELb0EPKfPfPKlPlN2at6native12_GLOBAL__N_18offset_tEEE10hipError_tPvRmT1_PNSt15iterator_traitsISY_E10value_typeET2_T3_PNSZ_IS14_E10value_typeET4_jRbjT5_S1A_jjP12ihipStream_tbEUljE_EEESV_SW_SX_S14_S18_S1A_T6_T7_T9_mT8_S1C_bDpT10_ENKUlT_T0_E_clISt17integral_constantIbLb1EES1P_EEDaS1K_S1L_EUlS1K_E_NS1_11comp_targetILNS1_3genE0ELNS1_11target_archE4294967295ELNS1_3gpuE0ELNS1_3repE0EEENS1_30default_config_static_selectorELNS0_4arch9wavefront6targetE0EEEvSY_
; %bb.0:
	.section	.rodata,"a",@progbits
	.p2align	6, 0x0
	.amdhsa_kernel _ZN7rocprim17ROCPRIM_400000_NS6detail17trampoline_kernelINS0_13select_configILj256ELj13ELNS0_17block_load_methodE3ELS4_3ELS4_3ELNS0_20block_scan_algorithmE0ELj4294967295EEENS1_25partition_config_selectorILNS1_17partition_subalgoE3EjNS0_10empty_typeEbEEZZNS1_14partition_implILS8_3ELb0ES6_jNS0_17counting_iteratorIjlEEPS9_SE_NS0_5tupleIJPjSE_EEENSF_IJSE_SE_EEES9_SG_JZNS1_25segmented_radix_sort_implINS0_14default_configELb0EPKfPfPKlPlN2at6native12_GLOBAL__N_18offset_tEEE10hipError_tPvRmT1_PNSt15iterator_traitsISY_E10value_typeET2_T3_PNSZ_IS14_E10value_typeET4_jRbjT5_S1A_jjP12ihipStream_tbEUljE_EEESV_SW_SX_S14_S18_S1A_T6_T7_T9_mT8_S1C_bDpT10_ENKUlT_T0_E_clISt17integral_constantIbLb1EES1P_EEDaS1K_S1L_EUlS1K_E_NS1_11comp_targetILNS1_3genE0ELNS1_11target_archE4294967295ELNS1_3gpuE0ELNS1_3repE0EEENS1_30default_config_static_selectorELNS0_4arch9wavefront6targetE0EEEvSY_
		.amdhsa_group_segment_fixed_size 0
		.amdhsa_private_segment_fixed_size 0
		.amdhsa_kernarg_size 152
		.amdhsa_user_sgpr_count 15
		.amdhsa_user_sgpr_dispatch_ptr 0
		.amdhsa_user_sgpr_queue_ptr 0
		.amdhsa_user_sgpr_kernarg_segment_ptr 1
		.amdhsa_user_sgpr_dispatch_id 0
		.amdhsa_user_sgpr_private_segment_size 0
		.amdhsa_wavefront_size32 1
		.amdhsa_uses_dynamic_stack 0
		.amdhsa_enable_private_segment 0
		.amdhsa_system_sgpr_workgroup_id_x 1
		.amdhsa_system_sgpr_workgroup_id_y 0
		.amdhsa_system_sgpr_workgroup_id_z 0
		.amdhsa_system_sgpr_workgroup_info 0
		.amdhsa_system_vgpr_workitem_id 0
		.amdhsa_next_free_vgpr 1
		.amdhsa_next_free_sgpr 1
		.amdhsa_reserve_vcc 0
		.amdhsa_float_round_mode_32 0
		.amdhsa_float_round_mode_16_64 0
		.amdhsa_float_denorm_mode_32 3
		.amdhsa_float_denorm_mode_16_64 3
		.amdhsa_dx10_clamp 1
		.amdhsa_ieee_mode 1
		.amdhsa_fp16_overflow 0
		.amdhsa_workgroup_processor_mode 1
		.amdhsa_memory_ordered 1
		.amdhsa_forward_progress 0
		.amdhsa_shared_vgpr_count 0
		.amdhsa_exception_fp_ieee_invalid_op 0
		.amdhsa_exception_fp_denorm_src 0
		.amdhsa_exception_fp_ieee_div_zero 0
		.amdhsa_exception_fp_ieee_overflow 0
		.amdhsa_exception_fp_ieee_underflow 0
		.amdhsa_exception_fp_ieee_inexact 0
		.amdhsa_exception_int_div_zero 0
	.end_amdhsa_kernel
	.section	.text._ZN7rocprim17ROCPRIM_400000_NS6detail17trampoline_kernelINS0_13select_configILj256ELj13ELNS0_17block_load_methodE3ELS4_3ELS4_3ELNS0_20block_scan_algorithmE0ELj4294967295EEENS1_25partition_config_selectorILNS1_17partition_subalgoE3EjNS0_10empty_typeEbEEZZNS1_14partition_implILS8_3ELb0ES6_jNS0_17counting_iteratorIjlEEPS9_SE_NS0_5tupleIJPjSE_EEENSF_IJSE_SE_EEES9_SG_JZNS1_25segmented_radix_sort_implINS0_14default_configELb0EPKfPfPKlPlN2at6native12_GLOBAL__N_18offset_tEEE10hipError_tPvRmT1_PNSt15iterator_traitsISY_E10value_typeET2_T3_PNSZ_IS14_E10value_typeET4_jRbjT5_S1A_jjP12ihipStream_tbEUljE_EEESV_SW_SX_S14_S18_S1A_T6_T7_T9_mT8_S1C_bDpT10_ENKUlT_T0_E_clISt17integral_constantIbLb1EES1P_EEDaS1K_S1L_EUlS1K_E_NS1_11comp_targetILNS1_3genE0ELNS1_11target_archE4294967295ELNS1_3gpuE0ELNS1_3repE0EEENS1_30default_config_static_selectorELNS0_4arch9wavefront6targetE0EEEvSY_,"axG",@progbits,_ZN7rocprim17ROCPRIM_400000_NS6detail17trampoline_kernelINS0_13select_configILj256ELj13ELNS0_17block_load_methodE3ELS4_3ELS4_3ELNS0_20block_scan_algorithmE0ELj4294967295EEENS1_25partition_config_selectorILNS1_17partition_subalgoE3EjNS0_10empty_typeEbEEZZNS1_14partition_implILS8_3ELb0ES6_jNS0_17counting_iteratorIjlEEPS9_SE_NS0_5tupleIJPjSE_EEENSF_IJSE_SE_EEES9_SG_JZNS1_25segmented_radix_sort_implINS0_14default_configELb0EPKfPfPKlPlN2at6native12_GLOBAL__N_18offset_tEEE10hipError_tPvRmT1_PNSt15iterator_traitsISY_E10value_typeET2_T3_PNSZ_IS14_E10value_typeET4_jRbjT5_S1A_jjP12ihipStream_tbEUljE_EEESV_SW_SX_S14_S18_S1A_T6_T7_T9_mT8_S1C_bDpT10_ENKUlT_T0_E_clISt17integral_constantIbLb1EES1P_EEDaS1K_S1L_EUlS1K_E_NS1_11comp_targetILNS1_3genE0ELNS1_11target_archE4294967295ELNS1_3gpuE0ELNS1_3repE0EEENS1_30default_config_static_selectorELNS0_4arch9wavefront6targetE0EEEvSY_,comdat
.Lfunc_end1404:
	.size	_ZN7rocprim17ROCPRIM_400000_NS6detail17trampoline_kernelINS0_13select_configILj256ELj13ELNS0_17block_load_methodE3ELS4_3ELS4_3ELNS0_20block_scan_algorithmE0ELj4294967295EEENS1_25partition_config_selectorILNS1_17partition_subalgoE3EjNS0_10empty_typeEbEEZZNS1_14partition_implILS8_3ELb0ES6_jNS0_17counting_iteratorIjlEEPS9_SE_NS0_5tupleIJPjSE_EEENSF_IJSE_SE_EEES9_SG_JZNS1_25segmented_radix_sort_implINS0_14default_configELb0EPKfPfPKlPlN2at6native12_GLOBAL__N_18offset_tEEE10hipError_tPvRmT1_PNSt15iterator_traitsISY_E10value_typeET2_T3_PNSZ_IS14_E10value_typeET4_jRbjT5_S1A_jjP12ihipStream_tbEUljE_EEESV_SW_SX_S14_S18_S1A_T6_T7_T9_mT8_S1C_bDpT10_ENKUlT_T0_E_clISt17integral_constantIbLb1EES1P_EEDaS1K_S1L_EUlS1K_E_NS1_11comp_targetILNS1_3genE0ELNS1_11target_archE4294967295ELNS1_3gpuE0ELNS1_3repE0EEENS1_30default_config_static_selectorELNS0_4arch9wavefront6targetE0EEEvSY_, .Lfunc_end1404-_ZN7rocprim17ROCPRIM_400000_NS6detail17trampoline_kernelINS0_13select_configILj256ELj13ELNS0_17block_load_methodE3ELS4_3ELS4_3ELNS0_20block_scan_algorithmE0ELj4294967295EEENS1_25partition_config_selectorILNS1_17partition_subalgoE3EjNS0_10empty_typeEbEEZZNS1_14partition_implILS8_3ELb0ES6_jNS0_17counting_iteratorIjlEEPS9_SE_NS0_5tupleIJPjSE_EEENSF_IJSE_SE_EEES9_SG_JZNS1_25segmented_radix_sort_implINS0_14default_configELb0EPKfPfPKlPlN2at6native12_GLOBAL__N_18offset_tEEE10hipError_tPvRmT1_PNSt15iterator_traitsISY_E10value_typeET2_T3_PNSZ_IS14_E10value_typeET4_jRbjT5_S1A_jjP12ihipStream_tbEUljE_EEESV_SW_SX_S14_S18_S1A_T6_T7_T9_mT8_S1C_bDpT10_ENKUlT_T0_E_clISt17integral_constantIbLb1EES1P_EEDaS1K_S1L_EUlS1K_E_NS1_11comp_targetILNS1_3genE0ELNS1_11target_archE4294967295ELNS1_3gpuE0ELNS1_3repE0EEENS1_30default_config_static_selectorELNS0_4arch9wavefront6targetE0EEEvSY_
                                        ; -- End function
	.section	.AMDGPU.csdata,"",@progbits
; Kernel info:
; codeLenInByte = 0
; NumSgprs: 0
; NumVgprs: 0
; ScratchSize: 0
; MemoryBound: 0
; FloatMode: 240
; IeeeMode: 1
; LDSByteSize: 0 bytes/workgroup (compile time only)
; SGPRBlocks: 0
; VGPRBlocks: 0
; NumSGPRsForWavesPerEU: 1
; NumVGPRsForWavesPerEU: 1
; Occupancy: 16
; WaveLimiterHint : 0
; COMPUTE_PGM_RSRC2:SCRATCH_EN: 0
; COMPUTE_PGM_RSRC2:USER_SGPR: 15
; COMPUTE_PGM_RSRC2:TRAP_HANDLER: 0
; COMPUTE_PGM_RSRC2:TGID_X_EN: 1
; COMPUTE_PGM_RSRC2:TGID_Y_EN: 0
; COMPUTE_PGM_RSRC2:TGID_Z_EN: 0
; COMPUTE_PGM_RSRC2:TIDIG_COMP_CNT: 0
	.section	.text._ZN7rocprim17ROCPRIM_400000_NS6detail17trampoline_kernelINS0_13select_configILj256ELj13ELNS0_17block_load_methodE3ELS4_3ELS4_3ELNS0_20block_scan_algorithmE0ELj4294967295EEENS1_25partition_config_selectorILNS1_17partition_subalgoE3EjNS0_10empty_typeEbEEZZNS1_14partition_implILS8_3ELb0ES6_jNS0_17counting_iteratorIjlEEPS9_SE_NS0_5tupleIJPjSE_EEENSF_IJSE_SE_EEES9_SG_JZNS1_25segmented_radix_sort_implINS0_14default_configELb0EPKfPfPKlPlN2at6native12_GLOBAL__N_18offset_tEEE10hipError_tPvRmT1_PNSt15iterator_traitsISY_E10value_typeET2_T3_PNSZ_IS14_E10value_typeET4_jRbjT5_S1A_jjP12ihipStream_tbEUljE_EEESV_SW_SX_S14_S18_S1A_T6_T7_T9_mT8_S1C_bDpT10_ENKUlT_T0_E_clISt17integral_constantIbLb1EES1P_EEDaS1K_S1L_EUlS1K_E_NS1_11comp_targetILNS1_3genE5ELNS1_11target_archE942ELNS1_3gpuE9ELNS1_3repE0EEENS1_30default_config_static_selectorELNS0_4arch9wavefront6targetE0EEEvSY_,"axG",@progbits,_ZN7rocprim17ROCPRIM_400000_NS6detail17trampoline_kernelINS0_13select_configILj256ELj13ELNS0_17block_load_methodE3ELS4_3ELS4_3ELNS0_20block_scan_algorithmE0ELj4294967295EEENS1_25partition_config_selectorILNS1_17partition_subalgoE3EjNS0_10empty_typeEbEEZZNS1_14partition_implILS8_3ELb0ES6_jNS0_17counting_iteratorIjlEEPS9_SE_NS0_5tupleIJPjSE_EEENSF_IJSE_SE_EEES9_SG_JZNS1_25segmented_radix_sort_implINS0_14default_configELb0EPKfPfPKlPlN2at6native12_GLOBAL__N_18offset_tEEE10hipError_tPvRmT1_PNSt15iterator_traitsISY_E10value_typeET2_T3_PNSZ_IS14_E10value_typeET4_jRbjT5_S1A_jjP12ihipStream_tbEUljE_EEESV_SW_SX_S14_S18_S1A_T6_T7_T9_mT8_S1C_bDpT10_ENKUlT_T0_E_clISt17integral_constantIbLb1EES1P_EEDaS1K_S1L_EUlS1K_E_NS1_11comp_targetILNS1_3genE5ELNS1_11target_archE942ELNS1_3gpuE9ELNS1_3repE0EEENS1_30default_config_static_selectorELNS0_4arch9wavefront6targetE0EEEvSY_,comdat
	.globl	_ZN7rocprim17ROCPRIM_400000_NS6detail17trampoline_kernelINS0_13select_configILj256ELj13ELNS0_17block_load_methodE3ELS4_3ELS4_3ELNS0_20block_scan_algorithmE0ELj4294967295EEENS1_25partition_config_selectorILNS1_17partition_subalgoE3EjNS0_10empty_typeEbEEZZNS1_14partition_implILS8_3ELb0ES6_jNS0_17counting_iteratorIjlEEPS9_SE_NS0_5tupleIJPjSE_EEENSF_IJSE_SE_EEES9_SG_JZNS1_25segmented_radix_sort_implINS0_14default_configELb0EPKfPfPKlPlN2at6native12_GLOBAL__N_18offset_tEEE10hipError_tPvRmT1_PNSt15iterator_traitsISY_E10value_typeET2_T3_PNSZ_IS14_E10value_typeET4_jRbjT5_S1A_jjP12ihipStream_tbEUljE_EEESV_SW_SX_S14_S18_S1A_T6_T7_T9_mT8_S1C_bDpT10_ENKUlT_T0_E_clISt17integral_constantIbLb1EES1P_EEDaS1K_S1L_EUlS1K_E_NS1_11comp_targetILNS1_3genE5ELNS1_11target_archE942ELNS1_3gpuE9ELNS1_3repE0EEENS1_30default_config_static_selectorELNS0_4arch9wavefront6targetE0EEEvSY_ ; -- Begin function _ZN7rocprim17ROCPRIM_400000_NS6detail17trampoline_kernelINS0_13select_configILj256ELj13ELNS0_17block_load_methodE3ELS4_3ELS4_3ELNS0_20block_scan_algorithmE0ELj4294967295EEENS1_25partition_config_selectorILNS1_17partition_subalgoE3EjNS0_10empty_typeEbEEZZNS1_14partition_implILS8_3ELb0ES6_jNS0_17counting_iteratorIjlEEPS9_SE_NS0_5tupleIJPjSE_EEENSF_IJSE_SE_EEES9_SG_JZNS1_25segmented_radix_sort_implINS0_14default_configELb0EPKfPfPKlPlN2at6native12_GLOBAL__N_18offset_tEEE10hipError_tPvRmT1_PNSt15iterator_traitsISY_E10value_typeET2_T3_PNSZ_IS14_E10value_typeET4_jRbjT5_S1A_jjP12ihipStream_tbEUljE_EEESV_SW_SX_S14_S18_S1A_T6_T7_T9_mT8_S1C_bDpT10_ENKUlT_T0_E_clISt17integral_constantIbLb1EES1P_EEDaS1K_S1L_EUlS1K_E_NS1_11comp_targetILNS1_3genE5ELNS1_11target_archE942ELNS1_3gpuE9ELNS1_3repE0EEENS1_30default_config_static_selectorELNS0_4arch9wavefront6targetE0EEEvSY_
	.p2align	8
	.type	_ZN7rocprim17ROCPRIM_400000_NS6detail17trampoline_kernelINS0_13select_configILj256ELj13ELNS0_17block_load_methodE3ELS4_3ELS4_3ELNS0_20block_scan_algorithmE0ELj4294967295EEENS1_25partition_config_selectorILNS1_17partition_subalgoE3EjNS0_10empty_typeEbEEZZNS1_14partition_implILS8_3ELb0ES6_jNS0_17counting_iteratorIjlEEPS9_SE_NS0_5tupleIJPjSE_EEENSF_IJSE_SE_EEES9_SG_JZNS1_25segmented_radix_sort_implINS0_14default_configELb0EPKfPfPKlPlN2at6native12_GLOBAL__N_18offset_tEEE10hipError_tPvRmT1_PNSt15iterator_traitsISY_E10value_typeET2_T3_PNSZ_IS14_E10value_typeET4_jRbjT5_S1A_jjP12ihipStream_tbEUljE_EEESV_SW_SX_S14_S18_S1A_T6_T7_T9_mT8_S1C_bDpT10_ENKUlT_T0_E_clISt17integral_constantIbLb1EES1P_EEDaS1K_S1L_EUlS1K_E_NS1_11comp_targetILNS1_3genE5ELNS1_11target_archE942ELNS1_3gpuE9ELNS1_3repE0EEENS1_30default_config_static_selectorELNS0_4arch9wavefront6targetE0EEEvSY_,@function
_ZN7rocprim17ROCPRIM_400000_NS6detail17trampoline_kernelINS0_13select_configILj256ELj13ELNS0_17block_load_methodE3ELS4_3ELS4_3ELNS0_20block_scan_algorithmE0ELj4294967295EEENS1_25partition_config_selectorILNS1_17partition_subalgoE3EjNS0_10empty_typeEbEEZZNS1_14partition_implILS8_3ELb0ES6_jNS0_17counting_iteratorIjlEEPS9_SE_NS0_5tupleIJPjSE_EEENSF_IJSE_SE_EEES9_SG_JZNS1_25segmented_radix_sort_implINS0_14default_configELb0EPKfPfPKlPlN2at6native12_GLOBAL__N_18offset_tEEE10hipError_tPvRmT1_PNSt15iterator_traitsISY_E10value_typeET2_T3_PNSZ_IS14_E10value_typeET4_jRbjT5_S1A_jjP12ihipStream_tbEUljE_EEESV_SW_SX_S14_S18_S1A_T6_T7_T9_mT8_S1C_bDpT10_ENKUlT_T0_E_clISt17integral_constantIbLb1EES1P_EEDaS1K_S1L_EUlS1K_E_NS1_11comp_targetILNS1_3genE5ELNS1_11target_archE942ELNS1_3gpuE9ELNS1_3repE0EEENS1_30default_config_static_selectorELNS0_4arch9wavefront6targetE0EEEvSY_: ; @_ZN7rocprim17ROCPRIM_400000_NS6detail17trampoline_kernelINS0_13select_configILj256ELj13ELNS0_17block_load_methodE3ELS4_3ELS4_3ELNS0_20block_scan_algorithmE0ELj4294967295EEENS1_25partition_config_selectorILNS1_17partition_subalgoE3EjNS0_10empty_typeEbEEZZNS1_14partition_implILS8_3ELb0ES6_jNS0_17counting_iteratorIjlEEPS9_SE_NS0_5tupleIJPjSE_EEENSF_IJSE_SE_EEES9_SG_JZNS1_25segmented_radix_sort_implINS0_14default_configELb0EPKfPfPKlPlN2at6native12_GLOBAL__N_18offset_tEEE10hipError_tPvRmT1_PNSt15iterator_traitsISY_E10value_typeET2_T3_PNSZ_IS14_E10value_typeET4_jRbjT5_S1A_jjP12ihipStream_tbEUljE_EEESV_SW_SX_S14_S18_S1A_T6_T7_T9_mT8_S1C_bDpT10_ENKUlT_T0_E_clISt17integral_constantIbLb1EES1P_EEDaS1K_S1L_EUlS1K_E_NS1_11comp_targetILNS1_3genE5ELNS1_11target_archE942ELNS1_3gpuE9ELNS1_3repE0EEENS1_30default_config_static_selectorELNS0_4arch9wavefront6targetE0EEEvSY_
; %bb.0:
	.section	.rodata,"a",@progbits
	.p2align	6, 0x0
	.amdhsa_kernel _ZN7rocprim17ROCPRIM_400000_NS6detail17trampoline_kernelINS0_13select_configILj256ELj13ELNS0_17block_load_methodE3ELS4_3ELS4_3ELNS0_20block_scan_algorithmE0ELj4294967295EEENS1_25partition_config_selectorILNS1_17partition_subalgoE3EjNS0_10empty_typeEbEEZZNS1_14partition_implILS8_3ELb0ES6_jNS0_17counting_iteratorIjlEEPS9_SE_NS0_5tupleIJPjSE_EEENSF_IJSE_SE_EEES9_SG_JZNS1_25segmented_radix_sort_implINS0_14default_configELb0EPKfPfPKlPlN2at6native12_GLOBAL__N_18offset_tEEE10hipError_tPvRmT1_PNSt15iterator_traitsISY_E10value_typeET2_T3_PNSZ_IS14_E10value_typeET4_jRbjT5_S1A_jjP12ihipStream_tbEUljE_EEESV_SW_SX_S14_S18_S1A_T6_T7_T9_mT8_S1C_bDpT10_ENKUlT_T0_E_clISt17integral_constantIbLb1EES1P_EEDaS1K_S1L_EUlS1K_E_NS1_11comp_targetILNS1_3genE5ELNS1_11target_archE942ELNS1_3gpuE9ELNS1_3repE0EEENS1_30default_config_static_selectorELNS0_4arch9wavefront6targetE0EEEvSY_
		.amdhsa_group_segment_fixed_size 0
		.amdhsa_private_segment_fixed_size 0
		.amdhsa_kernarg_size 152
		.amdhsa_user_sgpr_count 15
		.amdhsa_user_sgpr_dispatch_ptr 0
		.amdhsa_user_sgpr_queue_ptr 0
		.amdhsa_user_sgpr_kernarg_segment_ptr 1
		.amdhsa_user_sgpr_dispatch_id 0
		.amdhsa_user_sgpr_private_segment_size 0
		.amdhsa_wavefront_size32 1
		.amdhsa_uses_dynamic_stack 0
		.amdhsa_enable_private_segment 0
		.amdhsa_system_sgpr_workgroup_id_x 1
		.amdhsa_system_sgpr_workgroup_id_y 0
		.amdhsa_system_sgpr_workgroup_id_z 0
		.amdhsa_system_sgpr_workgroup_info 0
		.amdhsa_system_vgpr_workitem_id 0
		.amdhsa_next_free_vgpr 1
		.amdhsa_next_free_sgpr 1
		.amdhsa_reserve_vcc 0
		.amdhsa_float_round_mode_32 0
		.amdhsa_float_round_mode_16_64 0
		.amdhsa_float_denorm_mode_32 3
		.amdhsa_float_denorm_mode_16_64 3
		.amdhsa_dx10_clamp 1
		.amdhsa_ieee_mode 1
		.amdhsa_fp16_overflow 0
		.amdhsa_workgroup_processor_mode 1
		.amdhsa_memory_ordered 1
		.amdhsa_forward_progress 0
		.amdhsa_shared_vgpr_count 0
		.amdhsa_exception_fp_ieee_invalid_op 0
		.amdhsa_exception_fp_denorm_src 0
		.amdhsa_exception_fp_ieee_div_zero 0
		.amdhsa_exception_fp_ieee_overflow 0
		.amdhsa_exception_fp_ieee_underflow 0
		.amdhsa_exception_fp_ieee_inexact 0
		.amdhsa_exception_int_div_zero 0
	.end_amdhsa_kernel
	.section	.text._ZN7rocprim17ROCPRIM_400000_NS6detail17trampoline_kernelINS0_13select_configILj256ELj13ELNS0_17block_load_methodE3ELS4_3ELS4_3ELNS0_20block_scan_algorithmE0ELj4294967295EEENS1_25partition_config_selectorILNS1_17partition_subalgoE3EjNS0_10empty_typeEbEEZZNS1_14partition_implILS8_3ELb0ES6_jNS0_17counting_iteratorIjlEEPS9_SE_NS0_5tupleIJPjSE_EEENSF_IJSE_SE_EEES9_SG_JZNS1_25segmented_radix_sort_implINS0_14default_configELb0EPKfPfPKlPlN2at6native12_GLOBAL__N_18offset_tEEE10hipError_tPvRmT1_PNSt15iterator_traitsISY_E10value_typeET2_T3_PNSZ_IS14_E10value_typeET4_jRbjT5_S1A_jjP12ihipStream_tbEUljE_EEESV_SW_SX_S14_S18_S1A_T6_T7_T9_mT8_S1C_bDpT10_ENKUlT_T0_E_clISt17integral_constantIbLb1EES1P_EEDaS1K_S1L_EUlS1K_E_NS1_11comp_targetILNS1_3genE5ELNS1_11target_archE942ELNS1_3gpuE9ELNS1_3repE0EEENS1_30default_config_static_selectorELNS0_4arch9wavefront6targetE0EEEvSY_,"axG",@progbits,_ZN7rocprim17ROCPRIM_400000_NS6detail17trampoline_kernelINS0_13select_configILj256ELj13ELNS0_17block_load_methodE3ELS4_3ELS4_3ELNS0_20block_scan_algorithmE0ELj4294967295EEENS1_25partition_config_selectorILNS1_17partition_subalgoE3EjNS0_10empty_typeEbEEZZNS1_14partition_implILS8_3ELb0ES6_jNS0_17counting_iteratorIjlEEPS9_SE_NS0_5tupleIJPjSE_EEENSF_IJSE_SE_EEES9_SG_JZNS1_25segmented_radix_sort_implINS0_14default_configELb0EPKfPfPKlPlN2at6native12_GLOBAL__N_18offset_tEEE10hipError_tPvRmT1_PNSt15iterator_traitsISY_E10value_typeET2_T3_PNSZ_IS14_E10value_typeET4_jRbjT5_S1A_jjP12ihipStream_tbEUljE_EEESV_SW_SX_S14_S18_S1A_T6_T7_T9_mT8_S1C_bDpT10_ENKUlT_T0_E_clISt17integral_constantIbLb1EES1P_EEDaS1K_S1L_EUlS1K_E_NS1_11comp_targetILNS1_3genE5ELNS1_11target_archE942ELNS1_3gpuE9ELNS1_3repE0EEENS1_30default_config_static_selectorELNS0_4arch9wavefront6targetE0EEEvSY_,comdat
.Lfunc_end1405:
	.size	_ZN7rocprim17ROCPRIM_400000_NS6detail17trampoline_kernelINS0_13select_configILj256ELj13ELNS0_17block_load_methodE3ELS4_3ELS4_3ELNS0_20block_scan_algorithmE0ELj4294967295EEENS1_25partition_config_selectorILNS1_17partition_subalgoE3EjNS0_10empty_typeEbEEZZNS1_14partition_implILS8_3ELb0ES6_jNS0_17counting_iteratorIjlEEPS9_SE_NS0_5tupleIJPjSE_EEENSF_IJSE_SE_EEES9_SG_JZNS1_25segmented_radix_sort_implINS0_14default_configELb0EPKfPfPKlPlN2at6native12_GLOBAL__N_18offset_tEEE10hipError_tPvRmT1_PNSt15iterator_traitsISY_E10value_typeET2_T3_PNSZ_IS14_E10value_typeET4_jRbjT5_S1A_jjP12ihipStream_tbEUljE_EEESV_SW_SX_S14_S18_S1A_T6_T7_T9_mT8_S1C_bDpT10_ENKUlT_T0_E_clISt17integral_constantIbLb1EES1P_EEDaS1K_S1L_EUlS1K_E_NS1_11comp_targetILNS1_3genE5ELNS1_11target_archE942ELNS1_3gpuE9ELNS1_3repE0EEENS1_30default_config_static_selectorELNS0_4arch9wavefront6targetE0EEEvSY_, .Lfunc_end1405-_ZN7rocprim17ROCPRIM_400000_NS6detail17trampoline_kernelINS0_13select_configILj256ELj13ELNS0_17block_load_methodE3ELS4_3ELS4_3ELNS0_20block_scan_algorithmE0ELj4294967295EEENS1_25partition_config_selectorILNS1_17partition_subalgoE3EjNS0_10empty_typeEbEEZZNS1_14partition_implILS8_3ELb0ES6_jNS0_17counting_iteratorIjlEEPS9_SE_NS0_5tupleIJPjSE_EEENSF_IJSE_SE_EEES9_SG_JZNS1_25segmented_radix_sort_implINS0_14default_configELb0EPKfPfPKlPlN2at6native12_GLOBAL__N_18offset_tEEE10hipError_tPvRmT1_PNSt15iterator_traitsISY_E10value_typeET2_T3_PNSZ_IS14_E10value_typeET4_jRbjT5_S1A_jjP12ihipStream_tbEUljE_EEESV_SW_SX_S14_S18_S1A_T6_T7_T9_mT8_S1C_bDpT10_ENKUlT_T0_E_clISt17integral_constantIbLb1EES1P_EEDaS1K_S1L_EUlS1K_E_NS1_11comp_targetILNS1_3genE5ELNS1_11target_archE942ELNS1_3gpuE9ELNS1_3repE0EEENS1_30default_config_static_selectorELNS0_4arch9wavefront6targetE0EEEvSY_
                                        ; -- End function
	.section	.AMDGPU.csdata,"",@progbits
; Kernel info:
; codeLenInByte = 0
; NumSgprs: 0
; NumVgprs: 0
; ScratchSize: 0
; MemoryBound: 0
; FloatMode: 240
; IeeeMode: 1
; LDSByteSize: 0 bytes/workgroup (compile time only)
; SGPRBlocks: 0
; VGPRBlocks: 0
; NumSGPRsForWavesPerEU: 1
; NumVGPRsForWavesPerEU: 1
; Occupancy: 16
; WaveLimiterHint : 0
; COMPUTE_PGM_RSRC2:SCRATCH_EN: 0
; COMPUTE_PGM_RSRC2:USER_SGPR: 15
; COMPUTE_PGM_RSRC2:TRAP_HANDLER: 0
; COMPUTE_PGM_RSRC2:TGID_X_EN: 1
; COMPUTE_PGM_RSRC2:TGID_Y_EN: 0
; COMPUTE_PGM_RSRC2:TGID_Z_EN: 0
; COMPUTE_PGM_RSRC2:TIDIG_COMP_CNT: 0
	.section	.text._ZN7rocprim17ROCPRIM_400000_NS6detail17trampoline_kernelINS0_13select_configILj256ELj13ELNS0_17block_load_methodE3ELS4_3ELS4_3ELNS0_20block_scan_algorithmE0ELj4294967295EEENS1_25partition_config_selectorILNS1_17partition_subalgoE3EjNS0_10empty_typeEbEEZZNS1_14partition_implILS8_3ELb0ES6_jNS0_17counting_iteratorIjlEEPS9_SE_NS0_5tupleIJPjSE_EEENSF_IJSE_SE_EEES9_SG_JZNS1_25segmented_radix_sort_implINS0_14default_configELb0EPKfPfPKlPlN2at6native12_GLOBAL__N_18offset_tEEE10hipError_tPvRmT1_PNSt15iterator_traitsISY_E10value_typeET2_T3_PNSZ_IS14_E10value_typeET4_jRbjT5_S1A_jjP12ihipStream_tbEUljE_EEESV_SW_SX_S14_S18_S1A_T6_T7_T9_mT8_S1C_bDpT10_ENKUlT_T0_E_clISt17integral_constantIbLb1EES1P_EEDaS1K_S1L_EUlS1K_E_NS1_11comp_targetILNS1_3genE4ELNS1_11target_archE910ELNS1_3gpuE8ELNS1_3repE0EEENS1_30default_config_static_selectorELNS0_4arch9wavefront6targetE0EEEvSY_,"axG",@progbits,_ZN7rocprim17ROCPRIM_400000_NS6detail17trampoline_kernelINS0_13select_configILj256ELj13ELNS0_17block_load_methodE3ELS4_3ELS4_3ELNS0_20block_scan_algorithmE0ELj4294967295EEENS1_25partition_config_selectorILNS1_17partition_subalgoE3EjNS0_10empty_typeEbEEZZNS1_14partition_implILS8_3ELb0ES6_jNS0_17counting_iteratorIjlEEPS9_SE_NS0_5tupleIJPjSE_EEENSF_IJSE_SE_EEES9_SG_JZNS1_25segmented_radix_sort_implINS0_14default_configELb0EPKfPfPKlPlN2at6native12_GLOBAL__N_18offset_tEEE10hipError_tPvRmT1_PNSt15iterator_traitsISY_E10value_typeET2_T3_PNSZ_IS14_E10value_typeET4_jRbjT5_S1A_jjP12ihipStream_tbEUljE_EEESV_SW_SX_S14_S18_S1A_T6_T7_T9_mT8_S1C_bDpT10_ENKUlT_T0_E_clISt17integral_constantIbLb1EES1P_EEDaS1K_S1L_EUlS1K_E_NS1_11comp_targetILNS1_3genE4ELNS1_11target_archE910ELNS1_3gpuE8ELNS1_3repE0EEENS1_30default_config_static_selectorELNS0_4arch9wavefront6targetE0EEEvSY_,comdat
	.globl	_ZN7rocprim17ROCPRIM_400000_NS6detail17trampoline_kernelINS0_13select_configILj256ELj13ELNS0_17block_load_methodE3ELS4_3ELS4_3ELNS0_20block_scan_algorithmE0ELj4294967295EEENS1_25partition_config_selectorILNS1_17partition_subalgoE3EjNS0_10empty_typeEbEEZZNS1_14partition_implILS8_3ELb0ES6_jNS0_17counting_iteratorIjlEEPS9_SE_NS0_5tupleIJPjSE_EEENSF_IJSE_SE_EEES9_SG_JZNS1_25segmented_radix_sort_implINS0_14default_configELb0EPKfPfPKlPlN2at6native12_GLOBAL__N_18offset_tEEE10hipError_tPvRmT1_PNSt15iterator_traitsISY_E10value_typeET2_T3_PNSZ_IS14_E10value_typeET4_jRbjT5_S1A_jjP12ihipStream_tbEUljE_EEESV_SW_SX_S14_S18_S1A_T6_T7_T9_mT8_S1C_bDpT10_ENKUlT_T0_E_clISt17integral_constantIbLb1EES1P_EEDaS1K_S1L_EUlS1K_E_NS1_11comp_targetILNS1_3genE4ELNS1_11target_archE910ELNS1_3gpuE8ELNS1_3repE0EEENS1_30default_config_static_selectorELNS0_4arch9wavefront6targetE0EEEvSY_ ; -- Begin function _ZN7rocprim17ROCPRIM_400000_NS6detail17trampoline_kernelINS0_13select_configILj256ELj13ELNS0_17block_load_methodE3ELS4_3ELS4_3ELNS0_20block_scan_algorithmE0ELj4294967295EEENS1_25partition_config_selectorILNS1_17partition_subalgoE3EjNS0_10empty_typeEbEEZZNS1_14partition_implILS8_3ELb0ES6_jNS0_17counting_iteratorIjlEEPS9_SE_NS0_5tupleIJPjSE_EEENSF_IJSE_SE_EEES9_SG_JZNS1_25segmented_radix_sort_implINS0_14default_configELb0EPKfPfPKlPlN2at6native12_GLOBAL__N_18offset_tEEE10hipError_tPvRmT1_PNSt15iterator_traitsISY_E10value_typeET2_T3_PNSZ_IS14_E10value_typeET4_jRbjT5_S1A_jjP12ihipStream_tbEUljE_EEESV_SW_SX_S14_S18_S1A_T6_T7_T9_mT8_S1C_bDpT10_ENKUlT_T0_E_clISt17integral_constantIbLb1EES1P_EEDaS1K_S1L_EUlS1K_E_NS1_11comp_targetILNS1_3genE4ELNS1_11target_archE910ELNS1_3gpuE8ELNS1_3repE0EEENS1_30default_config_static_selectorELNS0_4arch9wavefront6targetE0EEEvSY_
	.p2align	8
	.type	_ZN7rocprim17ROCPRIM_400000_NS6detail17trampoline_kernelINS0_13select_configILj256ELj13ELNS0_17block_load_methodE3ELS4_3ELS4_3ELNS0_20block_scan_algorithmE0ELj4294967295EEENS1_25partition_config_selectorILNS1_17partition_subalgoE3EjNS0_10empty_typeEbEEZZNS1_14partition_implILS8_3ELb0ES6_jNS0_17counting_iteratorIjlEEPS9_SE_NS0_5tupleIJPjSE_EEENSF_IJSE_SE_EEES9_SG_JZNS1_25segmented_radix_sort_implINS0_14default_configELb0EPKfPfPKlPlN2at6native12_GLOBAL__N_18offset_tEEE10hipError_tPvRmT1_PNSt15iterator_traitsISY_E10value_typeET2_T3_PNSZ_IS14_E10value_typeET4_jRbjT5_S1A_jjP12ihipStream_tbEUljE_EEESV_SW_SX_S14_S18_S1A_T6_T7_T9_mT8_S1C_bDpT10_ENKUlT_T0_E_clISt17integral_constantIbLb1EES1P_EEDaS1K_S1L_EUlS1K_E_NS1_11comp_targetILNS1_3genE4ELNS1_11target_archE910ELNS1_3gpuE8ELNS1_3repE0EEENS1_30default_config_static_selectorELNS0_4arch9wavefront6targetE0EEEvSY_,@function
_ZN7rocprim17ROCPRIM_400000_NS6detail17trampoline_kernelINS0_13select_configILj256ELj13ELNS0_17block_load_methodE3ELS4_3ELS4_3ELNS0_20block_scan_algorithmE0ELj4294967295EEENS1_25partition_config_selectorILNS1_17partition_subalgoE3EjNS0_10empty_typeEbEEZZNS1_14partition_implILS8_3ELb0ES6_jNS0_17counting_iteratorIjlEEPS9_SE_NS0_5tupleIJPjSE_EEENSF_IJSE_SE_EEES9_SG_JZNS1_25segmented_radix_sort_implINS0_14default_configELb0EPKfPfPKlPlN2at6native12_GLOBAL__N_18offset_tEEE10hipError_tPvRmT1_PNSt15iterator_traitsISY_E10value_typeET2_T3_PNSZ_IS14_E10value_typeET4_jRbjT5_S1A_jjP12ihipStream_tbEUljE_EEESV_SW_SX_S14_S18_S1A_T6_T7_T9_mT8_S1C_bDpT10_ENKUlT_T0_E_clISt17integral_constantIbLb1EES1P_EEDaS1K_S1L_EUlS1K_E_NS1_11comp_targetILNS1_3genE4ELNS1_11target_archE910ELNS1_3gpuE8ELNS1_3repE0EEENS1_30default_config_static_selectorELNS0_4arch9wavefront6targetE0EEEvSY_: ; @_ZN7rocprim17ROCPRIM_400000_NS6detail17trampoline_kernelINS0_13select_configILj256ELj13ELNS0_17block_load_methodE3ELS4_3ELS4_3ELNS0_20block_scan_algorithmE0ELj4294967295EEENS1_25partition_config_selectorILNS1_17partition_subalgoE3EjNS0_10empty_typeEbEEZZNS1_14partition_implILS8_3ELb0ES6_jNS0_17counting_iteratorIjlEEPS9_SE_NS0_5tupleIJPjSE_EEENSF_IJSE_SE_EEES9_SG_JZNS1_25segmented_radix_sort_implINS0_14default_configELb0EPKfPfPKlPlN2at6native12_GLOBAL__N_18offset_tEEE10hipError_tPvRmT1_PNSt15iterator_traitsISY_E10value_typeET2_T3_PNSZ_IS14_E10value_typeET4_jRbjT5_S1A_jjP12ihipStream_tbEUljE_EEESV_SW_SX_S14_S18_S1A_T6_T7_T9_mT8_S1C_bDpT10_ENKUlT_T0_E_clISt17integral_constantIbLb1EES1P_EEDaS1K_S1L_EUlS1K_E_NS1_11comp_targetILNS1_3genE4ELNS1_11target_archE910ELNS1_3gpuE8ELNS1_3repE0EEENS1_30default_config_static_selectorELNS0_4arch9wavefront6targetE0EEEvSY_
; %bb.0:
	.section	.rodata,"a",@progbits
	.p2align	6, 0x0
	.amdhsa_kernel _ZN7rocprim17ROCPRIM_400000_NS6detail17trampoline_kernelINS0_13select_configILj256ELj13ELNS0_17block_load_methodE3ELS4_3ELS4_3ELNS0_20block_scan_algorithmE0ELj4294967295EEENS1_25partition_config_selectorILNS1_17partition_subalgoE3EjNS0_10empty_typeEbEEZZNS1_14partition_implILS8_3ELb0ES6_jNS0_17counting_iteratorIjlEEPS9_SE_NS0_5tupleIJPjSE_EEENSF_IJSE_SE_EEES9_SG_JZNS1_25segmented_radix_sort_implINS0_14default_configELb0EPKfPfPKlPlN2at6native12_GLOBAL__N_18offset_tEEE10hipError_tPvRmT1_PNSt15iterator_traitsISY_E10value_typeET2_T3_PNSZ_IS14_E10value_typeET4_jRbjT5_S1A_jjP12ihipStream_tbEUljE_EEESV_SW_SX_S14_S18_S1A_T6_T7_T9_mT8_S1C_bDpT10_ENKUlT_T0_E_clISt17integral_constantIbLb1EES1P_EEDaS1K_S1L_EUlS1K_E_NS1_11comp_targetILNS1_3genE4ELNS1_11target_archE910ELNS1_3gpuE8ELNS1_3repE0EEENS1_30default_config_static_selectorELNS0_4arch9wavefront6targetE0EEEvSY_
		.amdhsa_group_segment_fixed_size 0
		.amdhsa_private_segment_fixed_size 0
		.amdhsa_kernarg_size 152
		.amdhsa_user_sgpr_count 15
		.amdhsa_user_sgpr_dispatch_ptr 0
		.amdhsa_user_sgpr_queue_ptr 0
		.amdhsa_user_sgpr_kernarg_segment_ptr 1
		.amdhsa_user_sgpr_dispatch_id 0
		.amdhsa_user_sgpr_private_segment_size 0
		.amdhsa_wavefront_size32 1
		.amdhsa_uses_dynamic_stack 0
		.amdhsa_enable_private_segment 0
		.amdhsa_system_sgpr_workgroup_id_x 1
		.amdhsa_system_sgpr_workgroup_id_y 0
		.amdhsa_system_sgpr_workgroup_id_z 0
		.amdhsa_system_sgpr_workgroup_info 0
		.amdhsa_system_vgpr_workitem_id 0
		.amdhsa_next_free_vgpr 1
		.amdhsa_next_free_sgpr 1
		.amdhsa_reserve_vcc 0
		.amdhsa_float_round_mode_32 0
		.amdhsa_float_round_mode_16_64 0
		.amdhsa_float_denorm_mode_32 3
		.amdhsa_float_denorm_mode_16_64 3
		.amdhsa_dx10_clamp 1
		.amdhsa_ieee_mode 1
		.amdhsa_fp16_overflow 0
		.amdhsa_workgroup_processor_mode 1
		.amdhsa_memory_ordered 1
		.amdhsa_forward_progress 0
		.amdhsa_shared_vgpr_count 0
		.amdhsa_exception_fp_ieee_invalid_op 0
		.amdhsa_exception_fp_denorm_src 0
		.amdhsa_exception_fp_ieee_div_zero 0
		.amdhsa_exception_fp_ieee_overflow 0
		.amdhsa_exception_fp_ieee_underflow 0
		.amdhsa_exception_fp_ieee_inexact 0
		.amdhsa_exception_int_div_zero 0
	.end_amdhsa_kernel
	.section	.text._ZN7rocprim17ROCPRIM_400000_NS6detail17trampoline_kernelINS0_13select_configILj256ELj13ELNS0_17block_load_methodE3ELS4_3ELS4_3ELNS0_20block_scan_algorithmE0ELj4294967295EEENS1_25partition_config_selectorILNS1_17partition_subalgoE3EjNS0_10empty_typeEbEEZZNS1_14partition_implILS8_3ELb0ES6_jNS0_17counting_iteratorIjlEEPS9_SE_NS0_5tupleIJPjSE_EEENSF_IJSE_SE_EEES9_SG_JZNS1_25segmented_radix_sort_implINS0_14default_configELb0EPKfPfPKlPlN2at6native12_GLOBAL__N_18offset_tEEE10hipError_tPvRmT1_PNSt15iterator_traitsISY_E10value_typeET2_T3_PNSZ_IS14_E10value_typeET4_jRbjT5_S1A_jjP12ihipStream_tbEUljE_EEESV_SW_SX_S14_S18_S1A_T6_T7_T9_mT8_S1C_bDpT10_ENKUlT_T0_E_clISt17integral_constantIbLb1EES1P_EEDaS1K_S1L_EUlS1K_E_NS1_11comp_targetILNS1_3genE4ELNS1_11target_archE910ELNS1_3gpuE8ELNS1_3repE0EEENS1_30default_config_static_selectorELNS0_4arch9wavefront6targetE0EEEvSY_,"axG",@progbits,_ZN7rocprim17ROCPRIM_400000_NS6detail17trampoline_kernelINS0_13select_configILj256ELj13ELNS0_17block_load_methodE3ELS4_3ELS4_3ELNS0_20block_scan_algorithmE0ELj4294967295EEENS1_25partition_config_selectorILNS1_17partition_subalgoE3EjNS0_10empty_typeEbEEZZNS1_14partition_implILS8_3ELb0ES6_jNS0_17counting_iteratorIjlEEPS9_SE_NS0_5tupleIJPjSE_EEENSF_IJSE_SE_EEES9_SG_JZNS1_25segmented_radix_sort_implINS0_14default_configELb0EPKfPfPKlPlN2at6native12_GLOBAL__N_18offset_tEEE10hipError_tPvRmT1_PNSt15iterator_traitsISY_E10value_typeET2_T3_PNSZ_IS14_E10value_typeET4_jRbjT5_S1A_jjP12ihipStream_tbEUljE_EEESV_SW_SX_S14_S18_S1A_T6_T7_T9_mT8_S1C_bDpT10_ENKUlT_T0_E_clISt17integral_constantIbLb1EES1P_EEDaS1K_S1L_EUlS1K_E_NS1_11comp_targetILNS1_3genE4ELNS1_11target_archE910ELNS1_3gpuE8ELNS1_3repE0EEENS1_30default_config_static_selectorELNS0_4arch9wavefront6targetE0EEEvSY_,comdat
.Lfunc_end1406:
	.size	_ZN7rocprim17ROCPRIM_400000_NS6detail17trampoline_kernelINS0_13select_configILj256ELj13ELNS0_17block_load_methodE3ELS4_3ELS4_3ELNS0_20block_scan_algorithmE0ELj4294967295EEENS1_25partition_config_selectorILNS1_17partition_subalgoE3EjNS0_10empty_typeEbEEZZNS1_14partition_implILS8_3ELb0ES6_jNS0_17counting_iteratorIjlEEPS9_SE_NS0_5tupleIJPjSE_EEENSF_IJSE_SE_EEES9_SG_JZNS1_25segmented_radix_sort_implINS0_14default_configELb0EPKfPfPKlPlN2at6native12_GLOBAL__N_18offset_tEEE10hipError_tPvRmT1_PNSt15iterator_traitsISY_E10value_typeET2_T3_PNSZ_IS14_E10value_typeET4_jRbjT5_S1A_jjP12ihipStream_tbEUljE_EEESV_SW_SX_S14_S18_S1A_T6_T7_T9_mT8_S1C_bDpT10_ENKUlT_T0_E_clISt17integral_constantIbLb1EES1P_EEDaS1K_S1L_EUlS1K_E_NS1_11comp_targetILNS1_3genE4ELNS1_11target_archE910ELNS1_3gpuE8ELNS1_3repE0EEENS1_30default_config_static_selectorELNS0_4arch9wavefront6targetE0EEEvSY_, .Lfunc_end1406-_ZN7rocprim17ROCPRIM_400000_NS6detail17trampoline_kernelINS0_13select_configILj256ELj13ELNS0_17block_load_methodE3ELS4_3ELS4_3ELNS0_20block_scan_algorithmE0ELj4294967295EEENS1_25partition_config_selectorILNS1_17partition_subalgoE3EjNS0_10empty_typeEbEEZZNS1_14partition_implILS8_3ELb0ES6_jNS0_17counting_iteratorIjlEEPS9_SE_NS0_5tupleIJPjSE_EEENSF_IJSE_SE_EEES9_SG_JZNS1_25segmented_radix_sort_implINS0_14default_configELb0EPKfPfPKlPlN2at6native12_GLOBAL__N_18offset_tEEE10hipError_tPvRmT1_PNSt15iterator_traitsISY_E10value_typeET2_T3_PNSZ_IS14_E10value_typeET4_jRbjT5_S1A_jjP12ihipStream_tbEUljE_EEESV_SW_SX_S14_S18_S1A_T6_T7_T9_mT8_S1C_bDpT10_ENKUlT_T0_E_clISt17integral_constantIbLb1EES1P_EEDaS1K_S1L_EUlS1K_E_NS1_11comp_targetILNS1_3genE4ELNS1_11target_archE910ELNS1_3gpuE8ELNS1_3repE0EEENS1_30default_config_static_selectorELNS0_4arch9wavefront6targetE0EEEvSY_
                                        ; -- End function
	.section	.AMDGPU.csdata,"",@progbits
; Kernel info:
; codeLenInByte = 0
; NumSgprs: 0
; NumVgprs: 0
; ScratchSize: 0
; MemoryBound: 0
; FloatMode: 240
; IeeeMode: 1
; LDSByteSize: 0 bytes/workgroup (compile time only)
; SGPRBlocks: 0
; VGPRBlocks: 0
; NumSGPRsForWavesPerEU: 1
; NumVGPRsForWavesPerEU: 1
; Occupancy: 16
; WaveLimiterHint : 0
; COMPUTE_PGM_RSRC2:SCRATCH_EN: 0
; COMPUTE_PGM_RSRC2:USER_SGPR: 15
; COMPUTE_PGM_RSRC2:TRAP_HANDLER: 0
; COMPUTE_PGM_RSRC2:TGID_X_EN: 1
; COMPUTE_PGM_RSRC2:TGID_Y_EN: 0
; COMPUTE_PGM_RSRC2:TGID_Z_EN: 0
; COMPUTE_PGM_RSRC2:TIDIG_COMP_CNT: 0
	.section	.text._ZN7rocprim17ROCPRIM_400000_NS6detail17trampoline_kernelINS0_13select_configILj256ELj13ELNS0_17block_load_methodE3ELS4_3ELS4_3ELNS0_20block_scan_algorithmE0ELj4294967295EEENS1_25partition_config_selectorILNS1_17partition_subalgoE3EjNS0_10empty_typeEbEEZZNS1_14partition_implILS8_3ELb0ES6_jNS0_17counting_iteratorIjlEEPS9_SE_NS0_5tupleIJPjSE_EEENSF_IJSE_SE_EEES9_SG_JZNS1_25segmented_radix_sort_implINS0_14default_configELb0EPKfPfPKlPlN2at6native12_GLOBAL__N_18offset_tEEE10hipError_tPvRmT1_PNSt15iterator_traitsISY_E10value_typeET2_T3_PNSZ_IS14_E10value_typeET4_jRbjT5_S1A_jjP12ihipStream_tbEUljE_EEESV_SW_SX_S14_S18_S1A_T6_T7_T9_mT8_S1C_bDpT10_ENKUlT_T0_E_clISt17integral_constantIbLb1EES1P_EEDaS1K_S1L_EUlS1K_E_NS1_11comp_targetILNS1_3genE3ELNS1_11target_archE908ELNS1_3gpuE7ELNS1_3repE0EEENS1_30default_config_static_selectorELNS0_4arch9wavefront6targetE0EEEvSY_,"axG",@progbits,_ZN7rocprim17ROCPRIM_400000_NS6detail17trampoline_kernelINS0_13select_configILj256ELj13ELNS0_17block_load_methodE3ELS4_3ELS4_3ELNS0_20block_scan_algorithmE0ELj4294967295EEENS1_25partition_config_selectorILNS1_17partition_subalgoE3EjNS0_10empty_typeEbEEZZNS1_14partition_implILS8_3ELb0ES6_jNS0_17counting_iteratorIjlEEPS9_SE_NS0_5tupleIJPjSE_EEENSF_IJSE_SE_EEES9_SG_JZNS1_25segmented_radix_sort_implINS0_14default_configELb0EPKfPfPKlPlN2at6native12_GLOBAL__N_18offset_tEEE10hipError_tPvRmT1_PNSt15iterator_traitsISY_E10value_typeET2_T3_PNSZ_IS14_E10value_typeET4_jRbjT5_S1A_jjP12ihipStream_tbEUljE_EEESV_SW_SX_S14_S18_S1A_T6_T7_T9_mT8_S1C_bDpT10_ENKUlT_T0_E_clISt17integral_constantIbLb1EES1P_EEDaS1K_S1L_EUlS1K_E_NS1_11comp_targetILNS1_3genE3ELNS1_11target_archE908ELNS1_3gpuE7ELNS1_3repE0EEENS1_30default_config_static_selectorELNS0_4arch9wavefront6targetE0EEEvSY_,comdat
	.globl	_ZN7rocprim17ROCPRIM_400000_NS6detail17trampoline_kernelINS0_13select_configILj256ELj13ELNS0_17block_load_methodE3ELS4_3ELS4_3ELNS0_20block_scan_algorithmE0ELj4294967295EEENS1_25partition_config_selectorILNS1_17partition_subalgoE3EjNS0_10empty_typeEbEEZZNS1_14partition_implILS8_3ELb0ES6_jNS0_17counting_iteratorIjlEEPS9_SE_NS0_5tupleIJPjSE_EEENSF_IJSE_SE_EEES9_SG_JZNS1_25segmented_radix_sort_implINS0_14default_configELb0EPKfPfPKlPlN2at6native12_GLOBAL__N_18offset_tEEE10hipError_tPvRmT1_PNSt15iterator_traitsISY_E10value_typeET2_T3_PNSZ_IS14_E10value_typeET4_jRbjT5_S1A_jjP12ihipStream_tbEUljE_EEESV_SW_SX_S14_S18_S1A_T6_T7_T9_mT8_S1C_bDpT10_ENKUlT_T0_E_clISt17integral_constantIbLb1EES1P_EEDaS1K_S1L_EUlS1K_E_NS1_11comp_targetILNS1_3genE3ELNS1_11target_archE908ELNS1_3gpuE7ELNS1_3repE0EEENS1_30default_config_static_selectorELNS0_4arch9wavefront6targetE0EEEvSY_ ; -- Begin function _ZN7rocprim17ROCPRIM_400000_NS6detail17trampoline_kernelINS0_13select_configILj256ELj13ELNS0_17block_load_methodE3ELS4_3ELS4_3ELNS0_20block_scan_algorithmE0ELj4294967295EEENS1_25partition_config_selectorILNS1_17partition_subalgoE3EjNS0_10empty_typeEbEEZZNS1_14partition_implILS8_3ELb0ES6_jNS0_17counting_iteratorIjlEEPS9_SE_NS0_5tupleIJPjSE_EEENSF_IJSE_SE_EEES9_SG_JZNS1_25segmented_radix_sort_implINS0_14default_configELb0EPKfPfPKlPlN2at6native12_GLOBAL__N_18offset_tEEE10hipError_tPvRmT1_PNSt15iterator_traitsISY_E10value_typeET2_T3_PNSZ_IS14_E10value_typeET4_jRbjT5_S1A_jjP12ihipStream_tbEUljE_EEESV_SW_SX_S14_S18_S1A_T6_T7_T9_mT8_S1C_bDpT10_ENKUlT_T0_E_clISt17integral_constantIbLb1EES1P_EEDaS1K_S1L_EUlS1K_E_NS1_11comp_targetILNS1_3genE3ELNS1_11target_archE908ELNS1_3gpuE7ELNS1_3repE0EEENS1_30default_config_static_selectorELNS0_4arch9wavefront6targetE0EEEvSY_
	.p2align	8
	.type	_ZN7rocprim17ROCPRIM_400000_NS6detail17trampoline_kernelINS0_13select_configILj256ELj13ELNS0_17block_load_methodE3ELS4_3ELS4_3ELNS0_20block_scan_algorithmE0ELj4294967295EEENS1_25partition_config_selectorILNS1_17partition_subalgoE3EjNS0_10empty_typeEbEEZZNS1_14partition_implILS8_3ELb0ES6_jNS0_17counting_iteratorIjlEEPS9_SE_NS0_5tupleIJPjSE_EEENSF_IJSE_SE_EEES9_SG_JZNS1_25segmented_radix_sort_implINS0_14default_configELb0EPKfPfPKlPlN2at6native12_GLOBAL__N_18offset_tEEE10hipError_tPvRmT1_PNSt15iterator_traitsISY_E10value_typeET2_T3_PNSZ_IS14_E10value_typeET4_jRbjT5_S1A_jjP12ihipStream_tbEUljE_EEESV_SW_SX_S14_S18_S1A_T6_T7_T9_mT8_S1C_bDpT10_ENKUlT_T0_E_clISt17integral_constantIbLb1EES1P_EEDaS1K_S1L_EUlS1K_E_NS1_11comp_targetILNS1_3genE3ELNS1_11target_archE908ELNS1_3gpuE7ELNS1_3repE0EEENS1_30default_config_static_selectorELNS0_4arch9wavefront6targetE0EEEvSY_,@function
_ZN7rocprim17ROCPRIM_400000_NS6detail17trampoline_kernelINS0_13select_configILj256ELj13ELNS0_17block_load_methodE3ELS4_3ELS4_3ELNS0_20block_scan_algorithmE0ELj4294967295EEENS1_25partition_config_selectorILNS1_17partition_subalgoE3EjNS0_10empty_typeEbEEZZNS1_14partition_implILS8_3ELb0ES6_jNS0_17counting_iteratorIjlEEPS9_SE_NS0_5tupleIJPjSE_EEENSF_IJSE_SE_EEES9_SG_JZNS1_25segmented_radix_sort_implINS0_14default_configELb0EPKfPfPKlPlN2at6native12_GLOBAL__N_18offset_tEEE10hipError_tPvRmT1_PNSt15iterator_traitsISY_E10value_typeET2_T3_PNSZ_IS14_E10value_typeET4_jRbjT5_S1A_jjP12ihipStream_tbEUljE_EEESV_SW_SX_S14_S18_S1A_T6_T7_T9_mT8_S1C_bDpT10_ENKUlT_T0_E_clISt17integral_constantIbLb1EES1P_EEDaS1K_S1L_EUlS1K_E_NS1_11comp_targetILNS1_3genE3ELNS1_11target_archE908ELNS1_3gpuE7ELNS1_3repE0EEENS1_30default_config_static_selectorELNS0_4arch9wavefront6targetE0EEEvSY_: ; @_ZN7rocprim17ROCPRIM_400000_NS6detail17trampoline_kernelINS0_13select_configILj256ELj13ELNS0_17block_load_methodE3ELS4_3ELS4_3ELNS0_20block_scan_algorithmE0ELj4294967295EEENS1_25partition_config_selectorILNS1_17partition_subalgoE3EjNS0_10empty_typeEbEEZZNS1_14partition_implILS8_3ELb0ES6_jNS0_17counting_iteratorIjlEEPS9_SE_NS0_5tupleIJPjSE_EEENSF_IJSE_SE_EEES9_SG_JZNS1_25segmented_radix_sort_implINS0_14default_configELb0EPKfPfPKlPlN2at6native12_GLOBAL__N_18offset_tEEE10hipError_tPvRmT1_PNSt15iterator_traitsISY_E10value_typeET2_T3_PNSZ_IS14_E10value_typeET4_jRbjT5_S1A_jjP12ihipStream_tbEUljE_EEESV_SW_SX_S14_S18_S1A_T6_T7_T9_mT8_S1C_bDpT10_ENKUlT_T0_E_clISt17integral_constantIbLb1EES1P_EEDaS1K_S1L_EUlS1K_E_NS1_11comp_targetILNS1_3genE3ELNS1_11target_archE908ELNS1_3gpuE7ELNS1_3repE0EEENS1_30default_config_static_selectorELNS0_4arch9wavefront6targetE0EEEvSY_
; %bb.0:
	.section	.rodata,"a",@progbits
	.p2align	6, 0x0
	.amdhsa_kernel _ZN7rocprim17ROCPRIM_400000_NS6detail17trampoline_kernelINS0_13select_configILj256ELj13ELNS0_17block_load_methodE3ELS4_3ELS4_3ELNS0_20block_scan_algorithmE0ELj4294967295EEENS1_25partition_config_selectorILNS1_17partition_subalgoE3EjNS0_10empty_typeEbEEZZNS1_14partition_implILS8_3ELb0ES6_jNS0_17counting_iteratorIjlEEPS9_SE_NS0_5tupleIJPjSE_EEENSF_IJSE_SE_EEES9_SG_JZNS1_25segmented_radix_sort_implINS0_14default_configELb0EPKfPfPKlPlN2at6native12_GLOBAL__N_18offset_tEEE10hipError_tPvRmT1_PNSt15iterator_traitsISY_E10value_typeET2_T3_PNSZ_IS14_E10value_typeET4_jRbjT5_S1A_jjP12ihipStream_tbEUljE_EEESV_SW_SX_S14_S18_S1A_T6_T7_T9_mT8_S1C_bDpT10_ENKUlT_T0_E_clISt17integral_constantIbLb1EES1P_EEDaS1K_S1L_EUlS1K_E_NS1_11comp_targetILNS1_3genE3ELNS1_11target_archE908ELNS1_3gpuE7ELNS1_3repE0EEENS1_30default_config_static_selectorELNS0_4arch9wavefront6targetE0EEEvSY_
		.amdhsa_group_segment_fixed_size 0
		.amdhsa_private_segment_fixed_size 0
		.amdhsa_kernarg_size 152
		.amdhsa_user_sgpr_count 15
		.amdhsa_user_sgpr_dispatch_ptr 0
		.amdhsa_user_sgpr_queue_ptr 0
		.amdhsa_user_sgpr_kernarg_segment_ptr 1
		.amdhsa_user_sgpr_dispatch_id 0
		.amdhsa_user_sgpr_private_segment_size 0
		.amdhsa_wavefront_size32 1
		.amdhsa_uses_dynamic_stack 0
		.amdhsa_enable_private_segment 0
		.amdhsa_system_sgpr_workgroup_id_x 1
		.amdhsa_system_sgpr_workgroup_id_y 0
		.amdhsa_system_sgpr_workgroup_id_z 0
		.amdhsa_system_sgpr_workgroup_info 0
		.amdhsa_system_vgpr_workitem_id 0
		.amdhsa_next_free_vgpr 1
		.amdhsa_next_free_sgpr 1
		.amdhsa_reserve_vcc 0
		.amdhsa_float_round_mode_32 0
		.amdhsa_float_round_mode_16_64 0
		.amdhsa_float_denorm_mode_32 3
		.amdhsa_float_denorm_mode_16_64 3
		.amdhsa_dx10_clamp 1
		.amdhsa_ieee_mode 1
		.amdhsa_fp16_overflow 0
		.amdhsa_workgroup_processor_mode 1
		.amdhsa_memory_ordered 1
		.amdhsa_forward_progress 0
		.amdhsa_shared_vgpr_count 0
		.amdhsa_exception_fp_ieee_invalid_op 0
		.amdhsa_exception_fp_denorm_src 0
		.amdhsa_exception_fp_ieee_div_zero 0
		.amdhsa_exception_fp_ieee_overflow 0
		.amdhsa_exception_fp_ieee_underflow 0
		.amdhsa_exception_fp_ieee_inexact 0
		.amdhsa_exception_int_div_zero 0
	.end_amdhsa_kernel
	.section	.text._ZN7rocprim17ROCPRIM_400000_NS6detail17trampoline_kernelINS0_13select_configILj256ELj13ELNS0_17block_load_methodE3ELS4_3ELS4_3ELNS0_20block_scan_algorithmE0ELj4294967295EEENS1_25partition_config_selectorILNS1_17partition_subalgoE3EjNS0_10empty_typeEbEEZZNS1_14partition_implILS8_3ELb0ES6_jNS0_17counting_iteratorIjlEEPS9_SE_NS0_5tupleIJPjSE_EEENSF_IJSE_SE_EEES9_SG_JZNS1_25segmented_radix_sort_implINS0_14default_configELb0EPKfPfPKlPlN2at6native12_GLOBAL__N_18offset_tEEE10hipError_tPvRmT1_PNSt15iterator_traitsISY_E10value_typeET2_T3_PNSZ_IS14_E10value_typeET4_jRbjT5_S1A_jjP12ihipStream_tbEUljE_EEESV_SW_SX_S14_S18_S1A_T6_T7_T9_mT8_S1C_bDpT10_ENKUlT_T0_E_clISt17integral_constantIbLb1EES1P_EEDaS1K_S1L_EUlS1K_E_NS1_11comp_targetILNS1_3genE3ELNS1_11target_archE908ELNS1_3gpuE7ELNS1_3repE0EEENS1_30default_config_static_selectorELNS0_4arch9wavefront6targetE0EEEvSY_,"axG",@progbits,_ZN7rocprim17ROCPRIM_400000_NS6detail17trampoline_kernelINS0_13select_configILj256ELj13ELNS0_17block_load_methodE3ELS4_3ELS4_3ELNS0_20block_scan_algorithmE0ELj4294967295EEENS1_25partition_config_selectorILNS1_17partition_subalgoE3EjNS0_10empty_typeEbEEZZNS1_14partition_implILS8_3ELb0ES6_jNS0_17counting_iteratorIjlEEPS9_SE_NS0_5tupleIJPjSE_EEENSF_IJSE_SE_EEES9_SG_JZNS1_25segmented_radix_sort_implINS0_14default_configELb0EPKfPfPKlPlN2at6native12_GLOBAL__N_18offset_tEEE10hipError_tPvRmT1_PNSt15iterator_traitsISY_E10value_typeET2_T3_PNSZ_IS14_E10value_typeET4_jRbjT5_S1A_jjP12ihipStream_tbEUljE_EEESV_SW_SX_S14_S18_S1A_T6_T7_T9_mT8_S1C_bDpT10_ENKUlT_T0_E_clISt17integral_constantIbLb1EES1P_EEDaS1K_S1L_EUlS1K_E_NS1_11comp_targetILNS1_3genE3ELNS1_11target_archE908ELNS1_3gpuE7ELNS1_3repE0EEENS1_30default_config_static_selectorELNS0_4arch9wavefront6targetE0EEEvSY_,comdat
.Lfunc_end1407:
	.size	_ZN7rocprim17ROCPRIM_400000_NS6detail17trampoline_kernelINS0_13select_configILj256ELj13ELNS0_17block_load_methodE3ELS4_3ELS4_3ELNS0_20block_scan_algorithmE0ELj4294967295EEENS1_25partition_config_selectorILNS1_17partition_subalgoE3EjNS0_10empty_typeEbEEZZNS1_14partition_implILS8_3ELb0ES6_jNS0_17counting_iteratorIjlEEPS9_SE_NS0_5tupleIJPjSE_EEENSF_IJSE_SE_EEES9_SG_JZNS1_25segmented_radix_sort_implINS0_14default_configELb0EPKfPfPKlPlN2at6native12_GLOBAL__N_18offset_tEEE10hipError_tPvRmT1_PNSt15iterator_traitsISY_E10value_typeET2_T3_PNSZ_IS14_E10value_typeET4_jRbjT5_S1A_jjP12ihipStream_tbEUljE_EEESV_SW_SX_S14_S18_S1A_T6_T7_T9_mT8_S1C_bDpT10_ENKUlT_T0_E_clISt17integral_constantIbLb1EES1P_EEDaS1K_S1L_EUlS1K_E_NS1_11comp_targetILNS1_3genE3ELNS1_11target_archE908ELNS1_3gpuE7ELNS1_3repE0EEENS1_30default_config_static_selectorELNS0_4arch9wavefront6targetE0EEEvSY_, .Lfunc_end1407-_ZN7rocprim17ROCPRIM_400000_NS6detail17trampoline_kernelINS0_13select_configILj256ELj13ELNS0_17block_load_methodE3ELS4_3ELS4_3ELNS0_20block_scan_algorithmE0ELj4294967295EEENS1_25partition_config_selectorILNS1_17partition_subalgoE3EjNS0_10empty_typeEbEEZZNS1_14partition_implILS8_3ELb0ES6_jNS0_17counting_iteratorIjlEEPS9_SE_NS0_5tupleIJPjSE_EEENSF_IJSE_SE_EEES9_SG_JZNS1_25segmented_radix_sort_implINS0_14default_configELb0EPKfPfPKlPlN2at6native12_GLOBAL__N_18offset_tEEE10hipError_tPvRmT1_PNSt15iterator_traitsISY_E10value_typeET2_T3_PNSZ_IS14_E10value_typeET4_jRbjT5_S1A_jjP12ihipStream_tbEUljE_EEESV_SW_SX_S14_S18_S1A_T6_T7_T9_mT8_S1C_bDpT10_ENKUlT_T0_E_clISt17integral_constantIbLb1EES1P_EEDaS1K_S1L_EUlS1K_E_NS1_11comp_targetILNS1_3genE3ELNS1_11target_archE908ELNS1_3gpuE7ELNS1_3repE0EEENS1_30default_config_static_selectorELNS0_4arch9wavefront6targetE0EEEvSY_
                                        ; -- End function
	.section	.AMDGPU.csdata,"",@progbits
; Kernel info:
; codeLenInByte = 0
; NumSgprs: 0
; NumVgprs: 0
; ScratchSize: 0
; MemoryBound: 0
; FloatMode: 240
; IeeeMode: 1
; LDSByteSize: 0 bytes/workgroup (compile time only)
; SGPRBlocks: 0
; VGPRBlocks: 0
; NumSGPRsForWavesPerEU: 1
; NumVGPRsForWavesPerEU: 1
; Occupancy: 16
; WaveLimiterHint : 0
; COMPUTE_PGM_RSRC2:SCRATCH_EN: 0
; COMPUTE_PGM_RSRC2:USER_SGPR: 15
; COMPUTE_PGM_RSRC2:TRAP_HANDLER: 0
; COMPUTE_PGM_RSRC2:TGID_X_EN: 1
; COMPUTE_PGM_RSRC2:TGID_Y_EN: 0
; COMPUTE_PGM_RSRC2:TGID_Z_EN: 0
; COMPUTE_PGM_RSRC2:TIDIG_COMP_CNT: 0
	.section	.text._ZN7rocprim17ROCPRIM_400000_NS6detail17trampoline_kernelINS0_13select_configILj256ELj13ELNS0_17block_load_methodE3ELS4_3ELS4_3ELNS0_20block_scan_algorithmE0ELj4294967295EEENS1_25partition_config_selectorILNS1_17partition_subalgoE3EjNS0_10empty_typeEbEEZZNS1_14partition_implILS8_3ELb0ES6_jNS0_17counting_iteratorIjlEEPS9_SE_NS0_5tupleIJPjSE_EEENSF_IJSE_SE_EEES9_SG_JZNS1_25segmented_radix_sort_implINS0_14default_configELb0EPKfPfPKlPlN2at6native12_GLOBAL__N_18offset_tEEE10hipError_tPvRmT1_PNSt15iterator_traitsISY_E10value_typeET2_T3_PNSZ_IS14_E10value_typeET4_jRbjT5_S1A_jjP12ihipStream_tbEUljE_EEESV_SW_SX_S14_S18_S1A_T6_T7_T9_mT8_S1C_bDpT10_ENKUlT_T0_E_clISt17integral_constantIbLb1EES1P_EEDaS1K_S1L_EUlS1K_E_NS1_11comp_targetILNS1_3genE2ELNS1_11target_archE906ELNS1_3gpuE6ELNS1_3repE0EEENS1_30default_config_static_selectorELNS0_4arch9wavefront6targetE0EEEvSY_,"axG",@progbits,_ZN7rocprim17ROCPRIM_400000_NS6detail17trampoline_kernelINS0_13select_configILj256ELj13ELNS0_17block_load_methodE3ELS4_3ELS4_3ELNS0_20block_scan_algorithmE0ELj4294967295EEENS1_25partition_config_selectorILNS1_17partition_subalgoE3EjNS0_10empty_typeEbEEZZNS1_14partition_implILS8_3ELb0ES6_jNS0_17counting_iteratorIjlEEPS9_SE_NS0_5tupleIJPjSE_EEENSF_IJSE_SE_EEES9_SG_JZNS1_25segmented_radix_sort_implINS0_14default_configELb0EPKfPfPKlPlN2at6native12_GLOBAL__N_18offset_tEEE10hipError_tPvRmT1_PNSt15iterator_traitsISY_E10value_typeET2_T3_PNSZ_IS14_E10value_typeET4_jRbjT5_S1A_jjP12ihipStream_tbEUljE_EEESV_SW_SX_S14_S18_S1A_T6_T7_T9_mT8_S1C_bDpT10_ENKUlT_T0_E_clISt17integral_constantIbLb1EES1P_EEDaS1K_S1L_EUlS1K_E_NS1_11comp_targetILNS1_3genE2ELNS1_11target_archE906ELNS1_3gpuE6ELNS1_3repE0EEENS1_30default_config_static_selectorELNS0_4arch9wavefront6targetE0EEEvSY_,comdat
	.globl	_ZN7rocprim17ROCPRIM_400000_NS6detail17trampoline_kernelINS0_13select_configILj256ELj13ELNS0_17block_load_methodE3ELS4_3ELS4_3ELNS0_20block_scan_algorithmE0ELj4294967295EEENS1_25partition_config_selectorILNS1_17partition_subalgoE3EjNS0_10empty_typeEbEEZZNS1_14partition_implILS8_3ELb0ES6_jNS0_17counting_iteratorIjlEEPS9_SE_NS0_5tupleIJPjSE_EEENSF_IJSE_SE_EEES9_SG_JZNS1_25segmented_radix_sort_implINS0_14default_configELb0EPKfPfPKlPlN2at6native12_GLOBAL__N_18offset_tEEE10hipError_tPvRmT1_PNSt15iterator_traitsISY_E10value_typeET2_T3_PNSZ_IS14_E10value_typeET4_jRbjT5_S1A_jjP12ihipStream_tbEUljE_EEESV_SW_SX_S14_S18_S1A_T6_T7_T9_mT8_S1C_bDpT10_ENKUlT_T0_E_clISt17integral_constantIbLb1EES1P_EEDaS1K_S1L_EUlS1K_E_NS1_11comp_targetILNS1_3genE2ELNS1_11target_archE906ELNS1_3gpuE6ELNS1_3repE0EEENS1_30default_config_static_selectorELNS0_4arch9wavefront6targetE0EEEvSY_ ; -- Begin function _ZN7rocprim17ROCPRIM_400000_NS6detail17trampoline_kernelINS0_13select_configILj256ELj13ELNS0_17block_load_methodE3ELS4_3ELS4_3ELNS0_20block_scan_algorithmE0ELj4294967295EEENS1_25partition_config_selectorILNS1_17partition_subalgoE3EjNS0_10empty_typeEbEEZZNS1_14partition_implILS8_3ELb0ES6_jNS0_17counting_iteratorIjlEEPS9_SE_NS0_5tupleIJPjSE_EEENSF_IJSE_SE_EEES9_SG_JZNS1_25segmented_radix_sort_implINS0_14default_configELb0EPKfPfPKlPlN2at6native12_GLOBAL__N_18offset_tEEE10hipError_tPvRmT1_PNSt15iterator_traitsISY_E10value_typeET2_T3_PNSZ_IS14_E10value_typeET4_jRbjT5_S1A_jjP12ihipStream_tbEUljE_EEESV_SW_SX_S14_S18_S1A_T6_T7_T9_mT8_S1C_bDpT10_ENKUlT_T0_E_clISt17integral_constantIbLb1EES1P_EEDaS1K_S1L_EUlS1K_E_NS1_11comp_targetILNS1_3genE2ELNS1_11target_archE906ELNS1_3gpuE6ELNS1_3repE0EEENS1_30default_config_static_selectorELNS0_4arch9wavefront6targetE0EEEvSY_
	.p2align	8
	.type	_ZN7rocprim17ROCPRIM_400000_NS6detail17trampoline_kernelINS0_13select_configILj256ELj13ELNS0_17block_load_methodE3ELS4_3ELS4_3ELNS0_20block_scan_algorithmE0ELj4294967295EEENS1_25partition_config_selectorILNS1_17partition_subalgoE3EjNS0_10empty_typeEbEEZZNS1_14partition_implILS8_3ELb0ES6_jNS0_17counting_iteratorIjlEEPS9_SE_NS0_5tupleIJPjSE_EEENSF_IJSE_SE_EEES9_SG_JZNS1_25segmented_radix_sort_implINS0_14default_configELb0EPKfPfPKlPlN2at6native12_GLOBAL__N_18offset_tEEE10hipError_tPvRmT1_PNSt15iterator_traitsISY_E10value_typeET2_T3_PNSZ_IS14_E10value_typeET4_jRbjT5_S1A_jjP12ihipStream_tbEUljE_EEESV_SW_SX_S14_S18_S1A_T6_T7_T9_mT8_S1C_bDpT10_ENKUlT_T0_E_clISt17integral_constantIbLb1EES1P_EEDaS1K_S1L_EUlS1K_E_NS1_11comp_targetILNS1_3genE2ELNS1_11target_archE906ELNS1_3gpuE6ELNS1_3repE0EEENS1_30default_config_static_selectorELNS0_4arch9wavefront6targetE0EEEvSY_,@function
_ZN7rocprim17ROCPRIM_400000_NS6detail17trampoline_kernelINS0_13select_configILj256ELj13ELNS0_17block_load_methodE3ELS4_3ELS4_3ELNS0_20block_scan_algorithmE0ELj4294967295EEENS1_25partition_config_selectorILNS1_17partition_subalgoE3EjNS0_10empty_typeEbEEZZNS1_14partition_implILS8_3ELb0ES6_jNS0_17counting_iteratorIjlEEPS9_SE_NS0_5tupleIJPjSE_EEENSF_IJSE_SE_EEES9_SG_JZNS1_25segmented_radix_sort_implINS0_14default_configELb0EPKfPfPKlPlN2at6native12_GLOBAL__N_18offset_tEEE10hipError_tPvRmT1_PNSt15iterator_traitsISY_E10value_typeET2_T3_PNSZ_IS14_E10value_typeET4_jRbjT5_S1A_jjP12ihipStream_tbEUljE_EEESV_SW_SX_S14_S18_S1A_T6_T7_T9_mT8_S1C_bDpT10_ENKUlT_T0_E_clISt17integral_constantIbLb1EES1P_EEDaS1K_S1L_EUlS1K_E_NS1_11comp_targetILNS1_3genE2ELNS1_11target_archE906ELNS1_3gpuE6ELNS1_3repE0EEENS1_30default_config_static_selectorELNS0_4arch9wavefront6targetE0EEEvSY_: ; @_ZN7rocprim17ROCPRIM_400000_NS6detail17trampoline_kernelINS0_13select_configILj256ELj13ELNS0_17block_load_methodE3ELS4_3ELS4_3ELNS0_20block_scan_algorithmE0ELj4294967295EEENS1_25partition_config_selectorILNS1_17partition_subalgoE3EjNS0_10empty_typeEbEEZZNS1_14partition_implILS8_3ELb0ES6_jNS0_17counting_iteratorIjlEEPS9_SE_NS0_5tupleIJPjSE_EEENSF_IJSE_SE_EEES9_SG_JZNS1_25segmented_radix_sort_implINS0_14default_configELb0EPKfPfPKlPlN2at6native12_GLOBAL__N_18offset_tEEE10hipError_tPvRmT1_PNSt15iterator_traitsISY_E10value_typeET2_T3_PNSZ_IS14_E10value_typeET4_jRbjT5_S1A_jjP12ihipStream_tbEUljE_EEESV_SW_SX_S14_S18_S1A_T6_T7_T9_mT8_S1C_bDpT10_ENKUlT_T0_E_clISt17integral_constantIbLb1EES1P_EEDaS1K_S1L_EUlS1K_E_NS1_11comp_targetILNS1_3genE2ELNS1_11target_archE906ELNS1_3gpuE6ELNS1_3repE0EEENS1_30default_config_static_selectorELNS0_4arch9wavefront6targetE0EEEvSY_
; %bb.0:
	.section	.rodata,"a",@progbits
	.p2align	6, 0x0
	.amdhsa_kernel _ZN7rocprim17ROCPRIM_400000_NS6detail17trampoline_kernelINS0_13select_configILj256ELj13ELNS0_17block_load_methodE3ELS4_3ELS4_3ELNS0_20block_scan_algorithmE0ELj4294967295EEENS1_25partition_config_selectorILNS1_17partition_subalgoE3EjNS0_10empty_typeEbEEZZNS1_14partition_implILS8_3ELb0ES6_jNS0_17counting_iteratorIjlEEPS9_SE_NS0_5tupleIJPjSE_EEENSF_IJSE_SE_EEES9_SG_JZNS1_25segmented_radix_sort_implINS0_14default_configELb0EPKfPfPKlPlN2at6native12_GLOBAL__N_18offset_tEEE10hipError_tPvRmT1_PNSt15iterator_traitsISY_E10value_typeET2_T3_PNSZ_IS14_E10value_typeET4_jRbjT5_S1A_jjP12ihipStream_tbEUljE_EEESV_SW_SX_S14_S18_S1A_T6_T7_T9_mT8_S1C_bDpT10_ENKUlT_T0_E_clISt17integral_constantIbLb1EES1P_EEDaS1K_S1L_EUlS1K_E_NS1_11comp_targetILNS1_3genE2ELNS1_11target_archE906ELNS1_3gpuE6ELNS1_3repE0EEENS1_30default_config_static_selectorELNS0_4arch9wavefront6targetE0EEEvSY_
		.amdhsa_group_segment_fixed_size 0
		.amdhsa_private_segment_fixed_size 0
		.amdhsa_kernarg_size 152
		.amdhsa_user_sgpr_count 15
		.amdhsa_user_sgpr_dispatch_ptr 0
		.amdhsa_user_sgpr_queue_ptr 0
		.amdhsa_user_sgpr_kernarg_segment_ptr 1
		.amdhsa_user_sgpr_dispatch_id 0
		.amdhsa_user_sgpr_private_segment_size 0
		.amdhsa_wavefront_size32 1
		.amdhsa_uses_dynamic_stack 0
		.amdhsa_enable_private_segment 0
		.amdhsa_system_sgpr_workgroup_id_x 1
		.amdhsa_system_sgpr_workgroup_id_y 0
		.amdhsa_system_sgpr_workgroup_id_z 0
		.amdhsa_system_sgpr_workgroup_info 0
		.amdhsa_system_vgpr_workitem_id 0
		.amdhsa_next_free_vgpr 1
		.amdhsa_next_free_sgpr 1
		.amdhsa_reserve_vcc 0
		.amdhsa_float_round_mode_32 0
		.amdhsa_float_round_mode_16_64 0
		.amdhsa_float_denorm_mode_32 3
		.amdhsa_float_denorm_mode_16_64 3
		.amdhsa_dx10_clamp 1
		.amdhsa_ieee_mode 1
		.amdhsa_fp16_overflow 0
		.amdhsa_workgroup_processor_mode 1
		.amdhsa_memory_ordered 1
		.amdhsa_forward_progress 0
		.amdhsa_shared_vgpr_count 0
		.amdhsa_exception_fp_ieee_invalid_op 0
		.amdhsa_exception_fp_denorm_src 0
		.amdhsa_exception_fp_ieee_div_zero 0
		.amdhsa_exception_fp_ieee_overflow 0
		.amdhsa_exception_fp_ieee_underflow 0
		.amdhsa_exception_fp_ieee_inexact 0
		.amdhsa_exception_int_div_zero 0
	.end_amdhsa_kernel
	.section	.text._ZN7rocprim17ROCPRIM_400000_NS6detail17trampoline_kernelINS0_13select_configILj256ELj13ELNS0_17block_load_methodE3ELS4_3ELS4_3ELNS0_20block_scan_algorithmE0ELj4294967295EEENS1_25partition_config_selectorILNS1_17partition_subalgoE3EjNS0_10empty_typeEbEEZZNS1_14partition_implILS8_3ELb0ES6_jNS0_17counting_iteratorIjlEEPS9_SE_NS0_5tupleIJPjSE_EEENSF_IJSE_SE_EEES9_SG_JZNS1_25segmented_radix_sort_implINS0_14default_configELb0EPKfPfPKlPlN2at6native12_GLOBAL__N_18offset_tEEE10hipError_tPvRmT1_PNSt15iterator_traitsISY_E10value_typeET2_T3_PNSZ_IS14_E10value_typeET4_jRbjT5_S1A_jjP12ihipStream_tbEUljE_EEESV_SW_SX_S14_S18_S1A_T6_T7_T9_mT8_S1C_bDpT10_ENKUlT_T0_E_clISt17integral_constantIbLb1EES1P_EEDaS1K_S1L_EUlS1K_E_NS1_11comp_targetILNS1_3genE2ELNS1_11target_archE906ELNS1_3gpuE6ELNS1_3repE0EEENS1_30default_config_static_selectorELNS0_4arch9wavefront6targetE0EEEvSY_,"axG",@progbits,_ZN7rocprim17ROCPRIM_400000_NS6detail17trampoline_kernelINS0_13select_configILj256ELj13ELNS0_17block_load_methodE3ELS4_3ELS4_3ELNS0_20block_scan_algorithmE0ELj4294967295EEENS1_25partition_config_selectorILNS1_17partition_subalgoE3EjNS0_10empty_typeEbEEZZNS1_14partition_implILS8_3ELb0ES6_jNS0_17counting_iteratorIjlEEPS9_SE_NS0_5tupleIJPjSE_EEENSF_IJSE_SE_EEES9_SG_JZNS1_25segmented_radix_sort_implINS0_14default_configELb0EPKfPfPKlPlN2at6native12_GLOBAL__N_18offset_tEEE10hipError_tPvRmT1_PNSt15iterator_traitsISY_E10value_typeET2_T3_PNSZ_IS14_E10value_typeET4_jRbjT5_S1A_jjP12ihipStream_tbEUljE_EEESV_SW_SX_S14_S18_S1A_T6_T7_T9_mT8_S1C_bDpT10_ENKUlT_T0_E_clISt17integral_constantIbLb1EES1P_EEDaS1K_S1L_EUlS1K_E_NS1_11comp_targetILNS1_3genE2ELNS1_11target_archE906ELNS1_3gpuE6ELNS1_3repE0EEENS1_30default_config_static_selectorELNS0_4arch9wavefront6targetE0EEEvSY_,comdat
.Lfunc_end1408:
	.size	_ZN7rocprim17ROCPRIM_400000_NS6detail17trampoline_kernelINS0_13select_configILj256ELj13ELNS0_17block_load_methodE3ELS4_3ELS4_3ELNS0_20block_scan_algorithmE0ELj4294967295EEENS1_25partition_config_selectorILNS1_17partition_subalgoE3EjNS0_10empty_typeEbEEZZNS1_14partition_implILS8_3ELb0ES6_jNS0_17counting_iteratorIjlEEPS9_SE_NS0_5tupleIJPjSE_EEENSF_IJSE_SE_EEES9_SG_JZNS1_25segmented_radix_sort_implINS0_14default_configELb0EPKfPfPKlPlN2at6native12_GLOBAL__N_18offset_tEEE10hipError_tPvRmT1_PNSt15iterator_traitsISY_E10value_typeET2_T3_PNSZ_IS14_E10value_typeET4_jRbjT5_S1A_jjP12ihipStream_tbEUljE_EEESV_SW_SX_S14_S18_S1A_T6_T7_T9_mT8_S1C_bDpT10_ENKUlT_T0_E_clISt17integral_constantIbLb1EES1P_EEDaS1K_S1L_EUlS1K_E_NS1_11comp_targetILNS1_3genE2ELNS1_11target_archE906ELNS1_3gpuE6ELNS1_3repE0EEENS1_30default_config_static_selectorELNS0_4arch9wavefront6targetE0EEEvSY_, .Lfunc_end1408-_ZN7rocprim17ROCPRIM_400000_NS6detail17trampoline_kernelINS0_13select_configILj256ELj13ELNS0_17block_load_methodE3ELS4_3ELS4_3ELNS0_20block_scan_algorithmE0ELj4294967295EEENS1_25partition_config_selectorILNS1_17partition_subalgoE3EjNS0_10empty_typeEbEEZZNS1_14partition_implILS8_3ELb0ES6_jNS0_17counting_iteratorIjlEEPS9_SE_NS0_5tupleIJPjSE_EEENSF_IJSE_SE_EEES9_SG_JZNS1_25segmented_radix_sort_implINS0_14default_configELb0EPKfPfPKlPlN2at6native12_GLOBAL__N_18offset_tEEE10hipError_tPvRmT1_PNSt15iterator_traitsISY_E10value_typeET2_T3_PNSZ_IS14_E10value_typeET4_jRbjT5_S1A_jjP12ihipStream_tbEUljE_EEESV_SW_SX_S14_S18_S1A_T6_T7_T9_mT8_S1C_bDpT10_ENKUlT_T0_E_clISt17integral_constantIbLb1EES1P_EEDaS1K_S1L_EUlS1K_E_NS1_11comp_targetILNS1_3genE2ELNS1_11target_archE906ELNS1_3gpuE6ELNS1_3repE0EEENS1_30default_config_static_selectorELNS0_4arch9wavefront6targetE0EEEvSY_
                                        ; -- End function
	.section	.AMDGPU.csdata,"",@progbits
; Kernel info:
; codeLenInByte = 0
; NumSgprs: 0
; NumVgprs: 0
; ScratchSize: 0
; MemoryBound: 0
; FloatMode: 240
; IeeeMode: 1
; LDSByteSize: 0 bytes/workgroup (compile time only)
; SGPRBlocks: 0
; VGPRBlocks: 0
; NumSGPRsForWavesPerEU: 1
; NumVGPRsForWavesPerEU: 1
; Occupancy: 16
; WaveLimiterHint : 0
; COMPUTE_PGM_RSRC2:SCRATCH_EN: 0
; COMPUTE_PGM_RSRC2:USER_SGPR: 15
; COMPUTE_PGM_RSRC2:TRAP_HANDLER: 0
; COMPUTE_PGM_RSRC2:TGID_X_EN: 1
; COMPUTE_PGM_RSRC2:TGID_Y_EN: 0
; COMPUTE_PGM_RSRC2:TGID_Z_EN: 0
; COMPUTE_PGM_RSRC2:TIDIG_COMP_CNT: 0
	.section	.text._ZN7rocprim17ROCPRIM_400000_NS6detail17trampoline_kernelINS0_13select_configILj256ELj13ELNS0_17block_load_methodE3ELS4_3ELS4_3ELNS0_20block_scan_algorithmE0ELj4294967295EEENS1_25partition_config_selectorILNS1_17partition_subalgoE3EjNS0_10empty_typeEbEEZZNS1_14partition_implILS8_3ELb0ES6_jNS0_17counting_iteratorIjlEEPS9_SE_NS0_5tupleIJPjSE_EEENSF_IJSE_SE_EEES9_SG_JZNS1_25segmented_radix_sort_implINS0_14default_configELb0EPKfPfPKlPlN2at6native12_GLOBAL__N_18offset_tEEE10hipError_tPvRmT1_PNSt15iterator_traitsISY_E10value_typeET2_T3_PNSZ_IS14_E10value_typeET4_jRbjT5_S1A_jjP12ihipStream_tbEUljE_EEESV_SW_SX_S14_S18_S1A_T6_T7_T9_mT8_S1C_bDpT10_ENKUlT_T0_E_clISt17integral_constantIbLb1EES1P_EEDaS1K_S1L_EUlS1K_E_NS1_11comp_targetILNS1_3genE10ELNS1_11target_archE1200ELNS1_3gpuE4ELNS1_3repE0EEENS1_30default_config_static_selectorELNS0_4arch9wavefront6targetE0EEEvSY_,"axG",@progbits,_ZN7rocprim17ROCPRIM_400000_NS6detail17trampoline_kernelINS0_13select_configILj256ELj13ELNS0_17block_load_methodE3ELS4_3ELS4_3ELNS0_20block_scan_algorithmE0ELj4294967295EEENS1_25partition_config_selectorILNS1_17partition_subalgoE3EjNS0_10empty_typeEbEEZZNS1_14partition_implILS8_3ELb0ES6_jNS0_17counting_iteratorIjlEEPS9_SE_NS0_5tupleIJPjSE_EEENSF_IJSE_SE_EEES9_SG_JZNS1_25segmented_radix_sort_implINS0_14default_configELb0EPKfPfPKlPlN2at6native12_GLOBAL__N_18offset_tEEE10hipError_tPvRmT1_PNSt15iterator_traitsISY_E10value_typeET2_T3_PNSZ_IS14_E10value_typeET4_jRbjT5_S1A_jjP12ihipStream_tbEUljE_EEESV_SW_SX_S14_S18_S1A_T6_T7_T9_mT8_S1C_bDpT10_ENKUlT_T0_E_clISt17integral_constantIbLb1EES1P_EEDaS1K_S1L_EUlS1K_E_NS1_11comp_targetILNS1_3genE10ELNS1_11target_archE1200ELNS1_3gpuE4ELNS1_3repE0EEENS1_30default_config_static_selectorELNS0_4arch9wavefront6targetE0EEEvSY_,comdat
	.globl	_ZN7rocprim17ROCPRIM_400000_NS6detail17trampoline_kernelINS0_13select_configILj256ELj13ELNS0_17block_load_methodE3ELS4_3ELS4_3ELNS0_20block_scan_algorithmE0ELj4294967295EEENS1_25partition_config_selectorILNS1_17partition_subalgoE3EjNS0_10empty_typeEbEEZZNS1_14partition_implILS8_3ELb0ES6_jNS0_17counting_iteratorIjlEEPS9_SE_NS0_5tupleIJPjSE_EEENSF_IJSE_SE_EEES9_SG_JZNS1_25segmented_radix_sort_implINS0_14default_configELb0EPKfPfPKlPlN2at6native12_GLOBAL__N_18offset_tEEE10hipError_tPvRmT1_PNSt15iterator_traitsISY_E10value_typeET2_T3_PNSZ_IS14_E10value_typeET4_jRbjT5_S1A_jjP12ihipStream_tbEUljE_EEESV_SW_SX_S14_S18_S1A_T6_T7_T9_mT8_S1C_bDpT10_ENKUlT_T0_E_clISt17integral_constantIbLb1EES1P_EEDaS1K_S1L_EUlS1K_E_NS1_11comp_targetILNS1_3genE10ELNS1_11target_archE1200ELNS1_3gpuE4ELNS1_3repE0EEENS1_30default_config_static_selectorELNS0_4arch9wavefront6targetE0EEEvSY_ ; -- Begin function _ZN7rocprim17ROCPRIM_400000_NS6detail17trampoline_kernelINS0_13select_configILj256ELj13ELNS0_17block_load_methodE3ELS4_3ELS4_3ELNS0_20block_scan_algorithmE0ELj4294967295EEENS1_25partition_config_selectorILNS1_17partition_subalgoE3EjNS0_10empty_typeEbEEZZNS1_14partition_implILS8_3ELb0ES6_jNS0_17counting_iteratorIjlEEPS9_SE_NS0_5tupleIJPjSE_EEENSF_IJSE_SE_EEES9_SG_JZNS1_25segmented_radix_sort_implINS0_14default_configELb0EPKfPfPKlPlN2at6native12_GLOBAL__N_18offset_tEEE10hipError_tPvRmT1_PNSt15iterator_traitsISY_E10value_typeET2_T3_PNSZ_IS14_E10value_typeET4_jRbjT5_S1A_jjP12ihipStream_tbEUljE_EEESV_SW_SX_S14_S18_S1A_T6_T7_T9_mT8_S1C_bDpT10_ENKUlT_T0_E_clISt17integral_constantIbLb1EES1P_EEDaS1K_S1L_EUlS1K_E_NS1_11comp_targetILNS1_3genE10ELNS1_11target_archE1200ELNS1_3gpuE4ELNS1_3repE0EEENS1_30default_config_static_selectorELNS0_4arch9wavefront6targetE0EEEvSY_
	.p2align	8
	.type	_ZN7rocprim17ROCPRIM_400000_NS6detail17trampoline_kernelINS0_13select_configILj256ELj13ELNS0_17block_load_methodE3ELS4_3ELS4_3ELNS0_20block_scan_algorithmE0ELj4294967295EEENS1_25partition_config_selectorILNS1_17partition_subalgoE3EjNS0_10empty_typeEbEEZZNS1_14partition_implILS8_3ELb0ES6_jNS0_17counting_iteratorIjlEEPS9_SE_NS0_5tupleIJPjSE_EEENSF_IJSE_SE_EEES9_SG_JZNS1_25segmented_radix_sort_implINS0_14default_configELb0EPKfPfPKlPlN2at6native12_GLOBAL__N_18offset_tEEE10hipError_tPvRmT1_PNSt15iterator_traitsISY_E10value_typeET2_T3_PNSZ_IS14_E10value_typeET4_jRbjT5_S1A_jjP12ihipStream_tbEUljE_EEESV_SW_SX_S14_S18_S1A_T6_T7_T9_mT8_S1C_bDpT10_ENKUlT_T0_E_clISt17integral_constantIbLb1EES1P_EEDaS1K_S1L_EUlS1K_E_NS1_11comp_targetILNS1_3genE10ELNS1_11target_archE1200ELNS1_3gpuE4ELNS1_3repE0EEENS1_30default_config_static_selectorELNS0_4arch9wavefront6targetE0EEEvSY_,@function
_ZN7rocprim17ROCPRIM_400000_NS6detail17trampoline_kernelINS0_13select_configILj256ELj13ELNS0_17block_load_methodE3ELS4_3ELS4_3ELNS0_20block_scan_algorithmE0ELj4294967295EEENS1_25partition_config_selectorILNS1_17partition_subalgoE3EjNS0_10empty_typeEbEEZZNS1_14partition_implILS8_3ELb0ES6_jNS0_17counting_iteratorIjlEEPS9_SE_NS0_5tupleIJPjSE_EEENSF_IJSE_SE_EEES9_SG_JZNS1_25segmented_radix_sort_implINS0_14default_configELb0EPKfPfPKlPlN2at6native12_GLOBAL__N_18offset_tEEE10hipError_tPvRmT1_PNSt15iterator_traitsISY_E10value_typeET2_T3_PNSZ_IS14_E10value_typeET4_jRbjT5_S1A_jjP12ihipStream_tbEUljE_EEESV_SW_SX_S14_S18_S1A_T6_T7_T9_mT8_S1C_bDpT10_ENKUlT_T0_E_clISt17integral_constantIbLb1EES1P_EEDaS1K_S1L_EUlS1K_E_NS1_11comp_targetILNS1_3genE10ELNS1_11target_archE1200ELNS1_3gpuE4ELNS1_3repE0EEENS1_30default_config_static_selectorELNS0_4arch9wavefront6targetE0EEEvSY_: ; @_ZN7rocprim17ROCPRIM_400000_NS6detail17trampoline_kernelINS0_13select_configILj256ELj13ELNS0_17block_load_methodE3ELS4_3ELS4_3ELNS0_20block_scan_algorithmE0ELj4294967295EEENS1_25partition_config_selectorILNS1_17partition_subalgoE3EjNS0_10empty_typeEbEEZZNS1_14partition_implILS8_3ELb0ES6_jNS0_17counting_iteratorIjlEEPS9_SE_NS0_5tupleIJPjSE_EEENSF_IJSE_SE_EEES9_SG_JZNS1_25segmented_radix_sort_implINS0_14default_configELb0EPKfPfPKlPlN2at6native12_GLOBAL__N_18offset_tEEE10hipError_tPvRmT1_PNSt15iterator_traitsISY_E10value_typeET2_T3_PNSZ_IS14_E10value_typeET4_jRbjT5_S1A_jjP12ihipStream_tbEUljE_EEESV_SW_SX_S14_S18_S1A_T6_T7_T9_mT8_S1C_bDpT10_ENKUlT_T0_E_clISt17integral_constantIbLb1EES1P_EEDaS1K_S1L_EUlS1K_E_NS1_11comp_targetILNS1_3genE10ELNS1_11target_archE1200ELNS1_3gpuE4ELNS1_3repE0EEENS1_30default_config_static_selectorELNS0_4arch9wavefront6targetE0EEEvSY_
; %bb.0:
	.section	.rodata,"a",@progbits
	.p2align	6, 0x0
	.amdhsa_kernel _ZN7rocprim17ROCPRIM_400000_NS6detail17trampoline_kernelINS0_13select_configILj256ELj13ELNS0_17block_load_methodE3ELS4_3ELS4_3ELNS0_20block_scan_algorithmE0ELj4294967295EEENS1_25partition_config_selectorILNS1_17partition_subalgoE3EjNS0_10empty_typeEbEEZZNS1_14partition_implILS8_3ELb0ES6_jNS0_17counting_iteratorIjlEEPS9_SE_NS0_5tupleIJPjSE_EEENSF_IJSE_SE_EEES9_SG_JZNS1_25segmented_radix_sort_implINS0_14default_configELb0EPKfPfPKlPlN2at6native12_GLOBAL__N_18offset_tEEE10hipError_tPvRmT1_PNSt15iterator_traitsISY_E10value_typeET2_T3_PNSZ_IS14_E10value_typeET4_jRbjT5_S1A_jjP12ihipStream_tbEUljE_EEESV_SW_SX_S14_S18_S1A_T6_T7_T9_mT8_S1C_bDpT10_ENKUlT_T0_E_clISt17integral_constantIbLb1EES1P_EEDaS1K_S1L_EUlS1K_E_NS1_11comp_targetILNS1_3genE10ELNS1_11target_archE1200ELNS1_3gpuE4ELNS1_3repE0EEENS1_30default_config_static_selectorELNS0_4arch9wavefront6targetE0EEEvSY_
		.amdhsa_group_segment_fixed_size 0
		.amdhsa_private_segment_fixed_size 0
		.amdhsa_kernarg_size 152
		.amdhsa_user_sgpr_count 15
		.amdhsa_user_sgpr_dispatch_ptr 0
		.amdhsa_user_sgpr_queue_ptr 0
		.amdhsa_user_sgpr_kernarg_segment_ptr 1
		.amdhsa_user_sgpr_dispatch_id 0
		.amdhsa_user_sgpr_private_segment_size 0
		.amdhsa_wavefront_size32 1
		.amdhsa_uses_dynamic_stack 0
		.amdhsa_enable_private_segment 0
		.amdhsa_system_sgpr_workgroup_id_x 1
		.amdhsa_system_sgpr_workgroup_id_y 0
		.amdhsa_system_sgpr_workgroup_id_z 0
		.amdhsa_system_sgpr_workgroup_info 0
		.amdhsa_system_vgpr_workitem_id 0
		.amdhsa_next_free_vgpr 1
		.amdhsa_next_free_sgpr 1
		.amdhsa_reserve_vcc 0
		.amdhsa_float_round_mode_32 0
		.amdhsa_float_round_mode_16_64 0
		.amdhsa_float_denorm_mode_32 3
		.amdhsa_float_denorm_mode_16_64 3
		.amdhsa_dx10_clamp 1
		.amdhsa_ieee_mode 1
		.amdhsa_fp16_overflow 0
		.amdhsa_workgroup_processor_mode 1
		.amdhsa_memory_ordered 1
		.amdhsa_forward_progress 0
		.amdhsa_shared_vgpr_count 0
		.amdhsa_exception_fp_ieee_invalid_op 0
		.amdhsa_exception_fp_denorm_src 0
		.amdhsa_exception_fp_ieee_div_zero 0
		.amdhsa_exception_fp_ieee_overflow 0
		.amdhsa_exception_fp_ieee_underflow 0
		.amdhsa_exception_fp_ieee_inexact 0
		.amdhsa_exception_int_div_zero 0
	.end_amdhsa_kernel
	.section	.text._ZN7rocprim17ROCPRIM_400000_NS6detail17trampoline_kernelINS0_13select_configILj256ELj13ELNS0_17block_load_methodE3ELS4_3ELS4_3ELNS0_20block_scan_algorithmE0ELj4294967295EEENS1_25partition_config_selectorILNS1_17partition_subalgoE3EjNS0_10empty_typeEbEEZZNS1_14partition_implILS8_3ELb0ES6_jNS0_17counting_iteratorIjlEEPS9_SE_NS0_5tupleIJPjSE_EEENSF_IJSE_SE_EEES9_SG_JZNS1_25segmented_radix_sort_implINS0_14default_configELb0EPKfPfPKlPlN2at6native12_GLOBAL__N_18offset_tEEE10hipError_tPvRmT1_PNSt15iterator_traitsISY_E10value_typeET2_T3_PNSZ_IS14_E10value_typeET4_jRbjT5_S1A_jjP12ihipStream_tbEUljE_EEESV_SW_SX_S14_S18_S1A_T6_T7_T9_mT8_S1C_bDpT10_ENKUlT_T0_E_clISt17integral_constantIbLb1EES1P_EEDaS1K_S1L_EUlS1K_E_NS1_11comp_targetILNS1_3genE10ELNS1_11target_archE1200ELNS1_3gpuE4ELNS1_3repE0EEENS1_30default_config_static_selectorELNS0_4arch9wavefront6targetE0EEEvSY_,"axG",@progbits,_ZN7rocprim17ROCPRIM_400000_NS6detail17trampoline_kernelINS0_13select_configILj256ELj13ELNS0_17block_load_methodE3ELS4_3ELS4_3ELNS0_20block_scan_algorithmE0ELj4294967295EEENS1_25partition_config_selectorILNS1_17partition_subalgoE3EjNS0_10empty_typeEbEEZZNS1_14partition_implILS8_3ELb0ES6_jNS0_17counting_iteratorIjlEEPS9_SE_NS0_5tupleIJPjSE_EEENSF_IJSE_SE_EEES9_SG_JZNS1_25segmented_radix_sort_implINS0_14default_configELb0EPKfPfPKlPlN2at6native12_GLOBAL__N_18offset_tEEE10hipError_tPvRmT1_PNSt15iterator_traitsISY_E10value_typeET2_T3_PNSZ_IS14_E10value_typeET4_jRbjT5_S1A_jjP12ihipStream_tbEUljE_EEESV_SW_SX_S14_S18_S1A_T6_T7_T9_mT8_S1C_bDpT10_ENKUlT_T0_E_clISt17integral_constantIbLb1EES1P_EEDaS1K_S1L_EUlS1K_E_NS1_11comp_targetILNS1_3genE10ELNS1_11target_archE1200ELNS1_3gpuE4ELNS1_3repE0EEENS1_30default_config_static_selectorELNS0_4arch9wavefront6targetE0EEEvSY_,comdat
.Lfunc_end1409:
	.size	_ZN7rocprim17ROCPRIM_400000_NS6detail17trampoline_kernelINS0_13select_configILj256ELj13ELNS0_17block_load_methodE3ELS4_3ELS4_3ELNS0_20block_scan_algorithmE0ELj4294967295EEENS1_25partition_config_selectorILNS1_17partition_subalgoE3EjNS0_10empty_typeEbEEZZNS1_14partition_implILS8_3ELb0ES6_jNS0_17counting_iteratorIjlEEPS9_SE_NS0_5tupleIJPjSE_EEENSF_IJSE_SE_EEES9_SG_JZNS1_25segmented_radix_sort_implINS0_14default_configELb0EPKfPfPKlPlN2at6native12_GLOBAL__N_18offset_tEEE10hipError_tPvRmT1_PNSt15iterator_traitsISY_E10value_typeET2_T3_PNSZ_IS14_E10value_typeET4_jRbjT5_S1A_jjP12ihipStream_tbEUljE_EEESV_SW_SX_S14_S18_S1A_T6_T7_T9_mT8_S1C_bDpT10_ENKUlT_T0_E_clISt17integral_constantIbLb1EES1P_EEDaS1K_S1L_EUlS1K_E_NS1_11comp_targetILNS1_3genE10ELNS1_11target_archE1200ELNS1_3gpuE4ELNS1_3repE0EEENS1_30default_config_static_selectorELNS0_4arch9wavefront6targetE0EEEvSY_, .Lfunc_end1409-_ZN7rocprim17ROCPRIM_400000_NS6detail17trampoline_kernelINS0_13select_configILj256ELj13ELNS0_17block_load_methodE3ELS4_3ELS4_3ELNS0_20block_scan_algorithmE0ELj4294967295EEENS1_25partition_config_selectorILNS1_17partition_subalgoE3EjNS0_10empty_typeEbEEZZNS1_14partition_implILS8_3ELb0ES6_jNS0_17counting_iteratorIjlEEPS9_SE_NS0_5tupleIJPjSE_EEENSF_IJSE_SE_EEES9_SG_JZNS1_25segmented_radix_sort_implINS0_14default_configELb0EPKfPfPKlPlN2at6native12_GLOBAL__N_18offset_tEEE10hipError_tPvRmT1_PNSt15iterator_traitsISY_E10value_typeET2_T3_PNSZ_IS14_E10value_typeET4_jRbjT5_S1A_jjP12ihipStream_tbEUljE_EEESV_SW_SX_S14_S18_S1A_T6_T7_T9_mT8_S1C_bDpT10_ENKUlT_T0_E_clISt17integral_constantIbLb1EES1P_EEDaS1K_S1L_EUlS1K_E_NS1_11comp_targetILNS1_3genE10ELNS1_11target_archE1200ELNS1_3gpuE4ELNS1_3repE0EEENS1_30default_config_static_selectorELNS0_4arch9wavefront6targetE0EEEvSY_
                                        ; -- End function
	.section	.AMDGPU.csdata,"",@progbits
; Kernel info:
; codeLenInByte = 0
; NumSgprs: 0
; NumVgprs: 0
; ScratchSize: 0
; MemoryBound: 0
; FloatMode: 240
; IeeeMode: 1
; LDSByteSize: 0 bytes/workgroup (compile time only)
; SGPRBlocks: 0
; VGPRBlocks: 0
; NumSGPRsForWavesPerEU: 1
; NumVGPRsForWavesPerEU: 1
; Occupancy: 16
; WaveLimiterHint : 0
; COMPUTE_PGM_RSRC2:SCRATCH_EN: 0
; COMPUTE_PGM_RSRC2:USER_SGPR: 15
; COMPUTE_PGM_RSRC2:TRAP_HANDLER: 0
; COMPUTE_PGM_RSRC2:TGID_X_EN: 1
; COMPUTE_PGM_RSRC2:TGID_Y_EN: 0
; COMPUTE_PGM_RSRC2:TGID_Z_EN: 0
; COMPUTE_PGM_RSRC2:TIDIG_COMP_CNT: 0
	.section	.text._ZN7rocprim17ROCPRIM_400000_NS6detail17trampoline_kernelINS0_13select_configILj256ELj13ELNS0_17block_load_methodE3ELS4_3ELS4_3ELNS0_20block_scan_algorithmE0ELj4294967295EEENS1_25partition_config_selectorILNS1_17partition_subalgoE3EjNS0_10empty_typeEbEEZZNS1_14partition_implILS8_3ELb0ES6_jNS0_17counting_iteratorIjlEEPS9_SE_NS0_5tupleIJPjSE_EEENSF_IJSE_SE_EEES9_SG_JZNS1_25segmented_radix_sort_implINS0_14default_configELb0EPKfPfPKlPlN2at6native12_GLOBAL__N_18offset_tEEE10hipError_tPvRmT1_PNSt15iterator_traitsISY_E10value_typeET2_T3_PNSZ_IS14_E10value_typeET4_jRbjT5_S1A_jjP12ihipStream_tbEUljE_EEESV_SW_SX_S14_S18_S1A_T6_T7_T9_mT8_S1C_bDpT10_ENKUlT_T0_E_clISt17integral_constantIbLb1EES1P_EEDaS1K_S1L_EUlS1K_E_NS1_11comp_targetILNS1_3genE9ELNS1_11target_archE1100ELNS1_3gpuE3ELNS1_3repE0EEENS1_30default_config_static_selectorELNS0_4arch9wavefront6targetE0EEEvSY_,"axG",@progbits,_ZN7rocprim17ROCPRIM_400000_NS6detail17trampoline_kernelINS0_13select_configILj256ELj13ELNS0_17block_load_methodE3ELS4_3ELS4_3ELNS0_20block_scan_algorithmE0ELj4294967295EEENS1_25partition_config_selectorILNS1_17partition_subalgoE3EjNS0_10empty_typeEbEEZZNS1_14partition_implILS8_3ELb0ES6_jNS0_17counting_iteratorIjlEEPS9_SE_NS0_5tupleIJPjSE_EEENSF_IJSE_SE_EEES9_SG_JZNS1_25segmented_radix_sort_implINS0_14default_configELb0EPKfPfPKlPlN2at6native12_GLOBAL__N_18offset_tEEE10hipError_tPvRmT1_PNSt15iterator_traitsISY_E10value_typeET2_T3_PNSZ_IS14_E10value_typeET4_jRbjT5_S1A_jjP12ihipStream_tbEUljE_EEESV_SW_SX_S14_S18_S1A_T6_T7_T9_mT8_S1C_bDpT10_ENKUlT_T0_E_clISt17integral_constantIbLb1EES1P_EEDaS1K_S1L_EUlS1K_E_NS1_11comp_targetILNS1_3genE9ELNS1_11target_archE1100ELNS1_3gpuE3ELNS1_3repE0EEENS1_30default_config_static_selectorELNS0_4arch9wavefront6targetE0EEEvSY_,comdat
	.globl	_ZN7rocprim17ROCPRIM_400000_NS6detail17trampoline_kernelINS0_13select_configILj256ELj13ELNS0_17block_load_methodE3ELS4_3ELS4_3ELNS0_20block_scan_algorithmE0ELj4294967295EEENS1_25partition_config_selectorILNS1_17partition_subalgoE3EjNS0_10empty_typeEbEEZZNS1_14partition_implILS8_3ELb0ES6_jNS0_17counting_iteratorIjlEEPS9_SE_NS0_5tupleIJPjSE_EEENSF_IJSE_SE_EEES9_SG_JZNS1_25segmented_radix_sort_implINS0_14default_configELb0EPKfPfPKlPlN2at6native12_GLOBAL__N_18offset_tEEE10hipError_tPvRmT1_PNSt15iterator_traitsISY_E10value_typeET2_T3_PNSZ_IS14_E10value_typeET4_jRbjT5_S1A_jjP12ihipStream_tbEUljE_EEESV_SW_SX_S14_S18_S1A_T6_T7_T9_mT8_S1C_bDpT10_ENKUlT_T0_E_clISt17integral_constantIbLb1EES1P_EEDaS1K_S1L_EUlS1K_E_NS1_11comp_targetILNS1_3genE9ELNS1_11target_archE1100ELNS1_3gpuE3ELNS1_3repE0EEENS1_30default_config_static_selectorELNS0_4arch9wavefront6targetE0EEEvSY_ ; -- Begin function _ZN7rocprim17ROCPRIM_400000_NS6detail17trampoline_kernelINS0_13select_configILj256ELj13ELNS0_17block_load_methodE3ELS4_3ELS4_3ELNS0_20block_scan_algorithmE0ELj4294967295EEENS1_25partition_config_selectorILNS1_17partition_subalgoE3EjNS0_10empty_typeEbEEZZNS1_14partition_implILS8_3ELb0ES6_jNS0_17counting_iteratorIjlEEPS9_SE_NS0_5tupleIJPjSE_EEENSF_IJSE_SE_EEES9_SG_JZNS1_25segmented_radix_sort_implINS0_14default_configELb0EPKfPfPKlPlN2at6native12_GLOBAL__N_18offset_tEEE10hipError_tPvRmT1_PNSt15iterator_traitsISY_E10value_typeET2_T3_PNSZ_IS14_E10value_typeET4_jRbjT5_S1A_jjP12ihipStream_tbEUljE_EEESV_SW_SX_S14_S18_S1A_T6_T7_T9_mT8_S1C_bDpT10_ENKUlT_T0_E_clISt17integral_constantIbLb1EES1P_EEDaS1K_S1L_EUlS1K_E_NS1_11comp_targetILNS1_3genE9ELNS1_11target_archE1100ELNS1_3gpuE3ELNS1_3repE0EEENS1_30default_config_static_selectorELNS0_4arch9wavefront6targetE0EEEvSY_
	.p2align	8
	.type	_ZN7rocprim17ROCPRIM_400000_NS6detail17trampoline_kernelINS0_13select_configILj256ELj13ELNS0_17block_load_methodE3ELS4_3ELS4_3ELNS0_20block_scan_algorithmE0ELj4294967295EEENS1_25partition_config_selectorILNS1_17partition_subalgoE3EjNS0_10empty_typeEbEEZZNS1_14partition_implILS8_3ELb0ES6_jNS0_17counting_iteratorIjlEEPS9_SE_NS0_5tupleIJPjSE_EEENSF_IJSE_SE_EEES9_SG_JZNS1_25segmented_radix_sort_implINS0_14default_configELb0EPKfPfPKlPlN2at6native12_GLOBAL__N_18offset_tEEE10hipError_tPvRmT1_PNSt15iterator_traitsISY_E10value_typeET2_T3_PNSZ_IS14_E10value_typeET4_jRbjT5_S1A_jjP12ihipStream_tbEUljE_EEESV_SW_SX_S14_S18_S1A_T6_T7_T9_mT8_S1C_bDpT10_ENKUlT_T0_E_clISt17integral_constantIbLb1EES1P_EEDaS1K_S1L_EUlS1K_E_NS1_11comp_targetILNS1_3genE9ELNS1_11target_archE1100ELNS1_3gpuE3ELNS1_3repE0EEENS1_30default_config_static_selectorELNS0_4arch9wavefront6targetE0EEEvSY_,@function
_ZN7rocprim17ROCPRIM_400000_NS6detail17trampoline_kernelINS0_13select_configILj256ELj13ELNS0_17block_load_methodE3ELS4_3ELS4_3ELNS0_20block_scan_algorithmE0ELj4294967295EEENS1_25partition_config_selectorILNS1_17partition_subalgoE3EjNS0_10empty_typeEbEEZZNS1_14partition_implILS8_3ELb0ES6_jNS0_17counting_iteratorIjlEEPS9_SE_NS0_5tupleIJPjSE_EEENSF_IJSE_SE_EEES9_SG_JZNS1_25segmented_radix_sort_implINS0_14default_configELb0EPKfPfPKlPlN2at6native12_GLOBAL__N_18offset_tEEE10hipError_tPvRmT1_PNSt15iterator_traitsISY_E10value_typeET2_T3_PNSZ_IS14_E10value_typeET4_jRbjT5_S1A_jjP12ihipStream_tbEUljE_EEESV_SW_SX_S14_S18_S1A_T6_T7_T9_mT8_S1C_bDpT10_ENKUlT_T0_E_clISt17integral_constantIbLb1EES1P_EEDaS1K_S1L_EUlS1K_E_NS1_11comp_targetILNS1_3genE9ELNS1_11target_archE1100ELNS1_3gpuE3ELNS1_3repE0EEENS1_30default_config_static_selectorELNS0_4arch9wavefront6targetE0EEEvSY_: ; @_ZN7rocprim17ROCPRIM_400000_NS6detail17trampoline_kernelINS0_13select_configILj256ELj13ELNS0_17block_load_methodE3ELS4_3ELS4_3ELNS0_20block_scan_algorithmE0ELj4294967295EEENS1_25partition_config_selectorILNS1_17partition_subalgoE3EjNS0_10empty_typeEbEEZZNS1_14partition_implILS8_3ELb0ES6_jNS0_17counting_iteratorIjlEEPS9_SE_NS0_5tupleIJPjSE_EEENSF_IJSE_SE_EEES9_SG_JZNS1_25segmented_radix_sort_implINS0_14default_configELb0EPKfPfPKlPlN2at6native12_GLOBAL__N_18offset_tEEE10hipError_tPvRmT1_PNSt15iterator_traitsISY_E10value_typeET2_T3_PNSZ_IS14_E10value_typeET4_jRbjT5_S1A_jjP12ihipStream_tbEUljE_EEESV_SW_SX_S14_S18_S1A_T6_T7_T9_mT8_S1C_bDpT10_ENKUlT_T0_E_clISt17integral_constantIbLb1EES1P_EEDaS1K_S1L_EUlS1K_E_NS1_11comp_targetILNS1_3genE9ELNS1_11target_archE1100ELNS1_3gpuE3ELNS1_3repE0EEENS1_30default_config_static_selectorELNS0_4arch9wavefront6targetE0EEEvSY_
; %bb.0:
	s_clause 0x6
	s_load_b64 s[16:17], s[0:1], 0x10
	s_load_b64 s[12:13], s[0:1], 0x28
	;; [unrolled: 1-line block ×3, first 2 shown]
	s_load_b128 s[8:11], s[0:1], 0x48
	s_load_b32 s3, s[0:1], 0x90
	s_load_b64 s[18:19], s[0:1], 0x68
	s_load_b128 s[4:7], s[0:1], 0x80
	v_cmp_eq_u32_e64 s2, 0, v0
	s_delay_alu instid0(VALU_DEP_1)
	s_and_saveexec_b32 s20, s2
	s_cbranch_execz .LBB1410_4
; %bb.1:
	s_mov_b32 s22, exec_lo
	s_mov_b32 s21, exec_lo
	v_mbcnt_lo_u32_b32 v1, s22, 0
                                        ; implicit-def: $vgpr2
	s_delay_alu instid0(VALU_DEP_1)
	v_cmpx_eq_u32_e32 0, v1
	s_cbranch_execz .LBB1410_3
; %bb.2:
	s_load_b64 s[24:25], s[0:1], 0x78
	s_bcnt1_i32_b32 s22, s22
	s_delay_alu instid0(SALU_CYCLE_1)
	v_dual_mov_b32 v2, 0 :: v_dual_mov_b32 v3, s22
	s_waitcnt lgkmcnt(0)
	global_atomic_add_u32 v2, v2, v3, s[24:25] glc
.LBB1410_3:
	s_or_b32 exec_lo, exec_lo, s21
	s_waitcnt vmcnt(0)
	v_readfirstlane_b32 s21, v2
	s_delay_alu instid0(VALU_DEP_1)
	v_dual_mov_b32 v2, 0 :: v_dual_add_nc_u32 v1, s21, v1
	ds_store_b32 v2, v1
.LBB1410_4:
	s_or_b32 exec_lo, exec_lo, s20
	v_mov_b32_e32 v1, 0
	s_clause 0x1
	s_load_b32 s20, s[0:1], 0x8
	s_load_b32 s0, s[0:1], 0x70
	s_waitcnt lgkmcnt(0)
	s_barrier
	buffer_gl0_inv
	ds_load_b32 v2, v1
	s_waitcnt lgkmcnt(0)
	s_barrier
	buffer_gl0_inv
	global_load_b64 v[18:19], v1, s[10:11]
	v_lshlrev_b32_e32 v33, 2, v0
	s_add_i32 s21, s20, s16
	s_mul_i32 s1, s0, 0xd00
	s_add_i32 s0, s0, -1
	s_add_u32 s10, s16, s1
	s_addc_u32 s11, s17, 0
	v_mul_lo_u32 v32, 0xd00, v2
	v_readfirstlane_b32 s20, v2
	v_cmp_lt_u64_e64 s11, s[10:11], s[14:15]
	v_cmp_ne_u32_e32 vcc_lo, s0, v2
	s_delay_alu instid0(VALU_DEP_3) | instskip(SKIP_1) | instid1(VALU_DEP_4)
	s_cmp_eq_u32 s20, s0
	s_cselect_b32 s10, -1, 0
	v_add3_u32 v1, v32, s21, v0
	s_delay_alu instid0(VALU_DEP_3) | instskip(SKIP_2) | instid1(VALU_DEP_1)
	s_or_b32 s0, s11, vcc_lo
	s_mov_b32 s11, -1
	s_and_b32 vcc_lo, exec_lo, s0
	v_add_nc_u32_e32 v2, 0x100, v1
	v_add_nc_u32_e32 v3, 0x200, v1
	;; [unrolled: 1-line block ×12, first 2 shown]
	s_cbranch_vccz .LBB1410_6
; %bb.5:
	ds_store_2addr_stride64_b32 v33, v1, v2 offset1:4
	ds_store_2addr_stride64_b32 v33, v3, v4 offset0:8 offset1:12
	ds_store_2addr_stride64_b32 v33, v5, v6 offset0:16 offset1:20
	;; [unrolled: 1-line block ×5, first 2 shown]
	ds_store_b32 v33, v13 offset:12288
	s_waitcnt vmcnt(0) lgkmcnt(0)
	s_mov_b32 s11, 0
	s_barrier
.LBB1410_6:
	s_and_not1_b32 vcc_lo, exec_lo, s11
	s_add_i32 s1, s1, s16
	s_cbranch_vccnz .LBB1410_8
; %bb.7:
	ds_store_2addr_stride64_b32 v33, v1, v2 offset1:4
	ds_store_2addr_stride64_b32 v33, v3, v4 offset0:8 offset1:12
	ds_store_2addr_stride64_b32 v33, v5, v6 offset0:16 offset1:20
	;; [unrolled: 1-line block ×5, first 2 shown]
	ds_store_b32 v33, v13 offset:12288
	s_waitcnt vmcnt(0) lgkmcnt(0)
	s_barrier
.LBB1410_8:
	v_mul_u32_u24_e32 v36, 13, v0
	s_waitcnt vmcnt(0)
	buffer_gl0_inv
	v_cndmask_b32_e64 v34, 0, 1, s0
	s_sub_i32 s11, s14, s1
	s_and_not1_b32 vcc_lo, exec_lo, s0
	v_lshlrev_b32_e32 v1, 2, v36
	ds_load_2addr_b32 v[30:31], v1 offset1:1
	ds_load_2addr_b32 v[28:29], v1 offset0:2 offset1:3
	ds_load_2addr_b32 v[26:27], v1 offset0:4 offset1:5
	ds_load_2addr_b32 v[24:25], v1 offset0:6 offset1:7
	ds_load_2addr_b32 v[22:23], v1 offset0:8 offset1:9
	ds_load_2addr_b32 v[20:21], v1 offset0:10 offset1:11
	ds_load_b32 v35, v1 offset:48
	s_waitcnt lgkmcnt(0)
	s_barrier
	buffer_gl0_inv
	s_cbranch_vccnz .LBB1410_10
; %bb.9:
	v_add_nc_u32_e32 v1, s5, v30
	v_add_nc_u32_e32 v2, s7, v30
	;; [unrolled: 1-line block ×5, first 2 shown]
	v_mul_lo_u32 v1, v1, s4
	v_mul_lo_u32 v2, v2, s6
	;; [unrolled: 1-line block ×4, first 2 shown]
	v_add_nc_u32_e32 v6, s7, v28
	v_add_nc_u32_e32 v7, s5, v29
	;; [unrolled: 1-line block ×3, first 2 shown]
	v_mul_lo_u32 v5, v5, s4
	v_add_nc_u32_e32 v9, s5, v24
	v_sub_nc_u32_e32 v1, v1, v2
	v_mul_lo_u32 v2, v6, s6
	v_sub_nc_u32_e32 v3, v3, v4
	v_mul_lo_u32 v4, v7, s4
	v_mul_lo_u32 v6, v8, s6
	v_add_nc_u32_e32 v7, s5, v26
	v_cmp_lt_u32_e32 vcc_lo, s3, v1
	v_add_nc_u32_e32 v8, s5, v27
	v_add_nc_u32_e32 v10, s7, v24
	v_sub_nc_u32_e32 v2, v5, v2
	v_add_nc_u32_e32 v5, s7, v26
	v_cndmask_b32_e64 v1, 0, 1, vcc_lo
	v_sub_nc_u32_e32 v4, v4, v6
	v_mul_lo_u32 v6, v7, s4
	v_add_nc_u32_e32 v7, s7, v27
	v_cmp_lt_u32_e32 vcc_lo, s3, v3
	v_mul_lo_u32 v5, v5, s6
	v_mul_lo_u32 v8, v8, s4
	;; [unrolled: 1-line block ×4, first 2 shown]
	v_cndmask_b32_e64 v3, 0, 1, vcc_lo
	v_cmp_lt_u32_e32 vcc_lo, s3, v2
	v_mul_lo_u32 v10, v10, s6
	v_add_nc_u32_e32 v11, s5, v22
	v_sub_nc_u32_e32 v5, v6, v5
	v_add_nc_u32_e32 v12, s7, v22
	v_cndmask_b32_e64 v2, 0, 1, vcc_lo
	v_sub_nc_u32_e32 v6, v8, v7
	v_add_nc_u32_e32 v7, s5, v25
	v_add_nc_u32_e32 v8, s7, v25
	v_cmp_lt_u32_e32 vcc_lo, s3, v4
	v_sub_nc_u32_e32 v9, v9, v10
	v_mul_lo_u32 v10, v11, s4
	v_mul_lo_u32 v7, v7, s4
	;; [unrolled: 1-line block ×4, first 2 shown]
	v_cndmask_b32_e64 v4, 0, 1, vcc_lo
	v_cmp_lt_u32_e32 vcc_lo, s3, v5
	v_add_nc_u32_e32 v12, s5, v23
	v_add_nc_u32_e32 v13, s7, v20
	;; [unrolled: 1-line block ×4, first 2 shown]
	v_cndmask_b32_e64 v5, 0, 1, vcc_lo
	v_cmp_lt_u32_e32 vcc_lo, s3, v6
	v_sub_nc_u32_e32 v7, v7, v8
	v_sub_nc_u32_e32 v8, v10, v11
	v_add_nc_u32_e32 v11, s7, v23
	v_mul_lo_u32 v10, v12, s4
	v_cndmask_b32_e64 v6, 0, 1, vcc_lo
	v_cmp_lt_u32_e32 vcc_lo, s3, v9
	v_add_nc_u32_e32 v12, s5, v20
	v_mul_lo_u32 v11, v11, s6
	v_mul_lo_u32 v13, v13, s6
	;; [unrolled: 1-line block ×3, first 2 shown]
	v_cndmask_b32_e64 v9, 0, 1, vcc_lo
	v_cmp_lt_u32_e32 vcc_lo, s3, v7
	v_mul_lo_u32 v12, v12, s4
	v_mul_lo_u32 v15, v15, s6
	v_lshlrev_b16 v3, 8, v3
	v_sub_nc_u32_e32 v10, v10, v11
	v_cndmask_b32_e64 v7, 0, 1, vcc_lo
	v_cmp_lt_u32_e32 vcc_lo, s3, v8
	v_add_nc_u32_e32 v11, s5, v35
	v_or_b32_e32 v1, v1, v3
	v_sub_nc_u32_e32 v12, v12, v13
	v_sub_nc_u32_e32 v13, v14, v15
	v_cndmask_b32_e64 v8, 0, 1, vcc_lo
	v_cmp_lt_u32_e32 vcc_lo, s3, v10
	v_add_nc_u32_e32 v16, s7, v35
	v_mul_lo_u32 v11, v11, s4
	v_lshlrev_b16 v4, 8, v4
	v_lshlrev_b16 v6, 8, v6
	v_cndmask_b32_e64 v10, 0, 1, vcc_lo
	v_cmp_lt_u32_e32 vcc_lo, s3, v12
	v_mul_lo_u32 v14, v16, s6
	v_lshlrev_b16 v7, 8, v7
	v_or_b32_e32 v2, v2, v4
	v_lshlrev_b16 v10, 8, v10
	v_cndmask_b32_e64 v3, 0, 1, vcc_lo
	v_cmp_lt_u32_e32 vcc_lo, s3, v13
	v_or_b32_e32 v4, v5, v6
	v_or_b32_e32 v5, v9, v7
	v_sub_nc_u32_e32 v11, v11, v14
	v_or_b32_e32 v6, v8, v10
	v_cndmask_b32_e64 v12, 0, 1, vcc_lo
	v_and_b32_e32 v1, 0xffff, v1
	v_lshlrev_b32_e32 v2, 16, v2
	v_and_b32_e32 v4, 0xffff, v4
	v_lshlrev_b32_e32 v5, 16, v5
	v_lshlrev_b16 v12, 8, v12
	v_and_b32_e32 v6, 0xffff, v6
	v_cmp_lt_u32_e32 vcc_lo, s3, v11
	v_or_b32_e32 v42, v1, v2
	v_or_b32_e32 v40, v4, v5
	;; [unrolled: 1-line block ×3, first 2 shown]
	v_cndmask_b32_e64 v37, 0, 1, vcc_lo
	s_delay_alu instid0(VALU_DEP_2) | instskip(NEXT) | instid1(VALU_DEP_1)
	v_lshlrev_b32_e32 v3, 16, v3
	v_or_b32_e32 v38, v6, v3
	s_addk_i32 s11, 0xd00
	s_cbranch_execz .LBB1410_11
	s_branch .LBB1410_38
.LBB1410_10:
                                        ; implicit-def: $vgpr37
                                        ; implicit-def: $vgpr38
                                        ; implicit-def: $vgpr40
                                        ; implicit-def: $vgpr42
	s_addk_i32 s11, 0xd00
.LBB1410_11:
	v_dual_mov_b32 v2, 0 :: v_dual_mov_b32 v1, 0
	s_mov_b32 s0, exec_lo
	v_cmpx_gt_u32_e64 s11, v36
; %bb.12:
	v_add_nc_u32_e32 v1, s5, v30
	v_add_nc_u32_e32 v3, s7, v30
	s_delay_alu instid0(VALU_DEP_2) | instskip(NEXT) | instid1(VALU_DEP_2)
	v_mul_lo_u32 v1, v1, s4
	v_mul_lo_u32 v3, v3, s6
	s_delay_alu instid0(VALU_DEP_1) | instskip(NEXT) | instid1(VALU_DEP_1)
	v_sub_nc_u32_e32 v1, v1, v3
	v_cmp_lt_u32_e32 vcc_lo, s3, v1
	v_cndmask_b32_e64 v1, 0, 1, vcc_lo
; %bb.13:
	s_or_b32 exec_lo, exec_lo, s0
	v_add_nc_u32_e32 v3, 1, v36
	s_mov_b32 s0, exec_lo
	s_delay_alu instid0(VALU_DEP_1)
	v_cmpx_gt_u32_e64 s11, v3
; %bb.14:
	v_add_nc_u32_e32 v2, s5, v31
	v_add_nc_u32_e32 v3, s7, v31
	s_delay_alu instid0(VALU_DEP_2) | instskip(NEXT) | instid1(VALU_DEP_2)
	v_mul_lo_u32 v2, v2, s4
	v_mul_lo_u32 v3, v3, s6
	s_delay_alu instid0(VALU_DEP_1) | instskip(NEXT) | instid1(VALU_DEP_1)
	v_sub_nc_u32_e32 v2, v2, v3
	v_cmp_lt_u32_e32 vcc_lo, s3, v2
	v_cndmask_b32_e64 v2, 0, 1, vcc_lo
; %bb.15:
	s_or_b32 exec_lo, exec_lo, s0
	v_dual_mov_b32 v4, 0 :: v_dual_add_nc_u32 v3, 2, v36
	s_delay_alu instid0(VALU_DEP_1)
	v_cmp_gt_u32_e32 vcc_lo, s11, v3
	v_mov_b32_e32 v3, 0
	s_and_saveexec_b32 s0, vcc_lo
; %bb.16:
	v_add_nc_u32_e32 v3, s5, v28
	v_add_nc_u32_e32 v5, s7, v28
	s_delay_alu instid0(VALU_DEP_2) | instskip(NEXT) | instid1(VALU_DEP_2)
	v_mul_lo_u32 v3, v3, s4
	v_mul_lo_u32 v5, v5, s6
	s_delay_alu instid0(VALU_DEP_1) | instskip(NEXT) | instid1(VALU_DEP_1)
	v_sub_nc_u32_e32 v3, v3, v5
	v_cmp_lt_u32_e32 vcc_lo, s3, v3
	v_cndmask_b32_e64 v3, 0, 1, vcc_lo
; %bb.17:
	s_or_b32 exec_lo, exec_lo, s0
	v_add_nc_u32_e32 v5, 3, v36
	s_mov_b32 s0, exec_lo
	s_delay_alu instid0(VALU_DEP_1)
	v_cmpx_gt_u32_e64 s11, v5
; %bb.18:
	v_add_nc_u32_e32 v4, s5, v29
	v_add_nc_u32_e32 v5, s7, v29
	s_delay_alu instid0(VALU_DEP_2) | instskip(NEXT) | instid1(VALU_DEP_2)
	v_mul_lo_u32 v4, v4, s4
	v_mul_lo_u32 v5, v5, s6
	s_delay_alu instid0(VALU_DEP_1) | instskip(NEXT) | instid1(VALU_DEP_1)
	v_sub_nc_u32_e32 v4, v4, v5
	v_cmp_lt_u32_e32 vcc_lo, s3, v4
	v_cndmask_b32_e64 v4, 0, 1, vcc_lo
; %bb.19:
	s_or_b32 exec_lo, exec_lo, s0
	v_dual_mov_b32 v6, 0 :: v_dual_add_nc_u32 v5, 4, v36
	s_delay_alu instid0(VALU_DEP_1)
	v_cmp_gt_u32_e32 vcc_lo, s11, v5
	v_mov_b32_e32 v5, 0
	s_and_saveexec_b32 s0, vcc_lo
	;; [unrolled: 33-line block ×5, first 2 shown]
; %bb.32:
	v_add_nc_u32_e32 v11, s5, v20
	v_add_nc_u32_e32 v13, s7, v20
	s_delay_alu instid0(VALU_DEP_2) | instskip(NEXT) | instid1(VALU_DEP_2)
	v_mul_lo_u32 v11, v11, s4
	v_mul_lo_u32 v13, v13, s6
	s_delay_alu instid0(VALU_DEP_1) | instskip(NEXT) | instid1(VALU_DEP_1)
	v_sub_nc_u32_e32 v11, v11, v13
	v_cmp_lt_u32_e32 vcc_lo, s3, v11
	v_cndmask_b32_e64 v11, 0, 1, vcc_lo
; %bb.33:
	s_or_b32 exec_lo, exec_lo, s0
	v_add_nc_u32_e32 v13, 11, v36
	s_mov_b32 s0, exec_lo
	s_delay_alu instid0(VALU_DEP_1)
	v_cmpx_gt_u32_e64 s11, v13
; %bb.34:
	v_add_nc_u32_e32 v12, s5, v21
	v_add_nc_u32_e32 v13, s7, v21
	s_delay_alu instid0(VALU_DEP_2) | instskip(NEXT) | instid1(VALU_DEP_2)
	v_mul_lo_u32 v12, v12, s4
	v_mul_lo_u32 v13, v13, s6
	s_delay_alu instid0(VALU_DEP_1) | instskip(NEXT) | instid1(VALU_DEP_1)
	v_sub_nc_u32_e32 v12, v12, v13
	v_cmp_lt_u32_e32 vcc_lo, s3, v12
	v_cndmask_b32_e64 v12, 0, 1, vcc_lo
; %bb.35:
	s_or_b32 exec_lo, exec_lo, s0
	v_add_nc_u32_e32 v13, 12, v36
	v_mov_b32_e32 v37, 0
	s_mov_b32 s0, exec_lo
	s_delay_alu instid0(VALU_DEP_2)
	v_cmpx_gt_u32_e64 s11, v13
; %bb.36:
	v_add_nc_u32_e32 v13, s5, v35
	v_add_nc_u32_e32 v14, s7, v35
	s_delay_alu instid0(VALU_DEP_2) | instskip(NEXT) | instid1(VALU_DEP_2)
	v_mul_lo_u32 v13, v13, s4
	v_mul_lo_u32 v14, v14, s6
	s_delay_alu instid0(VALU_DEP_1) | instskip(NEXT) | instid1(VALU_DEP_1)
	v_sub_nc_u32_e32 v13, v13, v14
	v_cmp_lt_u32_e32 vcc_lo, s3, v13
	v_cndmask_b32_e64 v37, 0, 1, vcc_lo
; %bb.37:
	s_or_b32 exec_lo, exec_lo, s0
	v_lshlrev_b16 v2, 8, v2
	v_lshlrev_b16 v4, 8, v4
	v_lshlrev_b16 v6, 8, v6
	v_lshlrev_b16 v8, 8, v8
	v_lshlrev_b16 v10, 8, v10
	v_or_b32_e32 v1, v1, v2
	v_lshlrev_b16 v2, 8, v12
	v_or_b32_e32 v3, v3, v4
	v_or_b32_e32 v4, v5, v6
	;; [unrolled: 1-line block ×5, first 2 shown]
	v_and_b32_e32 v1, 0xffff, v1
	v_lshlrev_b32_e32 v3, 16, v3
	v_and_b32_e32 v4, 0xffff, v4
	v_lshlrev_b32_e32 v5, 16, v5
	;; [unrolled: 2-line block ×3, first 2 shown]
	v_or_b32_e32 v42, v1, v3
	s_delay_alu instid0(VALU_DEP_4) | instskip(NEXT) | instid1(VALU_DEP_3)
	v_or_b32_e32 v40, v4, v5
	v_or_b32_e32 v38, v6, v2
.LBB1410_38:
	s_delay_alu instid0(VALU_DEP_3)
	v_and_b32_e32 v44, 0xff, v42
	v_bfe_u32 v45, v42, 8, 8
	v_bfe_u32 v46, v42, 16, 8
	v_lshrrev_b32_e32 v43, 24, v42
	v_and_b32_e32 v47, 0xff, v40
	v_bfe_u32 v48, v40, 8, 8
	v_bfe_u32 v49, v40, 16, 8
	v_add3_u32 v1, v45, v44, v46
	v_lshrrev_b32_e32 v41, 24, v40
	v_and_b32_e32 v50, 0xff, v38
	v_bfe_u32 v51, v38, 8, 8
	v_mbcnt_lo_u32_b32 v53, -1, 0
	v_add3_u32 v1, v1, v43, v47
	v_bfe_u32 v52, v38, 16, 8
	v_lshrrev_b32_e32 v39, 24, v38
	v_and_b32_e32 v2, 0xff, v37
	v_and_b32_e32 v3, 15, v53
	v_add3_u32 v1, v1, v48, v49
	v_or_b32_e32 v4, 31, v0
	v_and_b32_e32 v5, 16, v53
	v_lshrrev_b32_e32 v54, 5, v0
	v_cmp_eq_u32_e64 s6, 0, v3
	v_add3_u32 v1, v1, v41, v50
	v_cmp_lt_u32_e64 s5, 1, v3
	v_cmp_lt_u32_e64 s4, 3, v3
	;; [unrolled: 1-line block ×3, first 2 shown]
	v_cmp_eq_u32_e64 s1, 0, v5
	v_add3_u32 v1, v1, v51, v52
	v_cmp_eq_u32_e64 s0, v4, v0
	s_cmp_lg_u32 s20, 0
	s_mov_b32 s7, -1
	s_delay_alu instid0(VALU_DEP_2)
	v_add3_u32 v55, v1, v39, v2
	s_cbranch_scc0 .LBB1410_69
; %bb.39:
	s_delay_alu instid0(VALU_DEP_1) | instskip(NEXT) | instid1(VALU_DEP_1)
	v_mov_b32_dpp v1, v55 row_shr:1 row_mask:0xf bank_mask:0xf
	v_cndmask_b32_e64 v1, v1, 0, s6
	s_delay_alu instid0(VALU_DEP_1) | instskip(NEXT) | instid1(VALU_DEP_1)
	v_add_nc_u32_e32 v1, v1, v55
	v_mov_b32_dpp v2, v1 row_shr:2 row_mask:0xf bank_mask:0xf
	s_delay_alu instid0(VALU_DEP_1) | instskip(NEXT) | instid1(VALU_DEP_1)
	v_cndmask_b32_e64 v2, 0, v2, s5
	v_add_nc_u32_e32 v1, v1, v2
	s_delay_alu instid0(VALU_DEP_1) | instskip(NEXT) | instid1(VALU_DEP_1)
	v_mov_b32_dpp v2, v1 row_shr:4 row_mask:0xf bank_mask:0xf
	v_cndmask_b32_e64 v2, 0, v2, s4
	s_delay_alu instid0(VALU_DEP_1) | instskip(NEXT) | instid1(VALU_DEP_1)
	v_add_nc_u32_e32 v1, v1, v2
	v_mov_b32_dpp v2, v1 row_shr:8 row_mask:0xf bank_mask:0xf
	s_delay_alu instid0(VALU_DEP_1) | instskip(NEXT) | instid1(VALU_DEP_1)
	v_cndmask_b32_e64 v2, 0, v2, s3
	v_add_nc_u32_e32 v1, v1, v2
	ds_swizzle_b32 v2, v1 offset:swizzle(BROADCAST,32,15)
	s_waitcnt lgkmcnt(0)
	v_cndmask_b32_e64 v2, v2, 0, s1
	s_delay_alu instid0(VALU_DEP_1)
	v_add_nc_u32_e32 v1, v1, v2
	s_and_saveexec_b32 s7, s0
	s_cbranch_execz .LBB1410_41
; %bb.40:
	v_lshlrev_b32_e32 v2, 2, v54
	ds_store_b32 v2, v1
.LBB1410_41:
	s_or_b32 exec_lo, exec_lo, s7
	s_delay_alu instid0(SALU_CYCLE_1)
	s_mov_b32 s7, exec_lo
	s_waitcnt lgkmcnt(0)
	s_barrier
	buffer_gl0_inv
	v_cmpx_gt_u32_e32 8, v0
	s_cbranch_execz .LBB1410_43
; %bb.42:
	ds_load_b32 v2, v33
	s_waitcnt lgkmcnt(0)
	v_mov_b32_dpp v4, v2 row_shr:1 row_mask:0xf bank_mask:0xf
	v_and_b32_e32 v3, 7, v53
	s_delay_alu instid0(VALU_DEP_1) | instskip(NEXT) | instid1(VALU_DEP_3)
	v_cmp_ne_u32_e32 vcc_lo, 0, v3
	v_cndmask_b32_e32 v4, 0, v4, vcc_lo
	v_cmp_lt_u32_e32 vcc_lo, 1, v3
	s_delay_alu instid0(VALU_DEP_2) | instskip(NEXT) | instid1(VALU_DEP_1)
	v_add_nc_u32_e32 v2, v4, v2
	v_mov_b32_dpp v4, v2 row_shr:2 row_mask:0xf bank_mask:0xf
	s_delay_alu instid0(VALU_DEP_1) | instskip(SKIP_1) | instid1(VALU_DEP_2)
	v_cndmask_b32_e32 v4, 0, v4, vcc_lo
	v_cmp_lt_u32_e32 vcc_lo, 3, v3
	v_add_nc_u32_e32 v2, v2, v4
	s_delay_alu instid0(VALU_DEP_1) | instskip(NEXT) | instid1(VALU_DEP_1)
	v_mov_b32_dpp v4, v2 row_shr:4 row_mask:0xf bank_mask:0xf
	v_cndmask_b32_e32 v3, 0, v4, vcc_lo
	s_delay_alu instid0(VALU_DEP_1)
	v_add_nc_u32_e32 v2, v2, v3
	ds_store_b32 v33, v2
.LBB1410_43:
	s_or_b32 exec_lo, exec_lo, s7
	v_cmp_gt_u32_e32 vcc_lo, 32, v0
	s_mov_b32 s21, exec_lo
	s_waitcnt lgkmcnt(0)
	s_barrier
	buffer_gl0_inv
                                        ; implicit-def: $vgpr8
	v_cmpx_lt_u32_e32 31, v0
	s_cbranch_execz .LBB1410_45
; %bb.44:
	v_lshl_add_u32 v2, v54, 2, -4
	ds_load_b32 v8, v2
	s_waitcnt lgkmcnt(0)
	v_add_nc_u32_e32 v1, v8, v1
.LBB1410_45:
	s_or_b32 exec_lo, exec_lo, s21
	v_add_nc_u32_e32 v2, -1, v53
	s_delay_alu instid0(VALU_DEP_1) | instskip(NEXT) | instid1(VALU_DEP_1)
	v_cmp_gt_i32_e64 s7, 0, v2
	v_cndmask_b32_e64 v2, v2, v53, s7
	v_cmp_eq_u32_e64 s7, 0, v53
	s_delay_alu instid0(VALU_DEP_2)
	v_lshlrev_b32_e32 v2, 2, v2
	ds_bpermute_b32 v9, v2, v1
	s_and_saveexec_b32 s21, vcc_lo
	s_cbranch_execz .LBB1410_68
; %bb.46:
	v_mov_b32_e32 v4, 0
	ds_load_b32 v1, v4 offset:28
	s_and_saveexec_b32 s22, s7
	s_cbranch_execz .LBB1410_48
; %bb.47:
	s_add_i32 s24, s20, 32
	s_mov_b32 s25, 0
	v_mov_b32_e32 v2, 1
	s_lshl_b64 s[24:25], s[24:25], 3
	s_delay_alu instid0(SALU_CYCLE_1)
	s_add_u32 s24, s18, s24
	s_addc_u32 s25, s19, s25
	s_waitcnt lgkmcnt(0)
	global_store_b64 v4, v[1:2], s[24:25]
.LBB1410_48:
	s_or_b32 exec_lo, exec_lo, s22
	v_xad_u32 v2, v53, -1, s20
	s_mov_b32 s23, 0
	s_mov_b32 s22, exec_lo
	s_delay_alu instid0(VALU_DEP_1) | instskip(NEXT) | instid1(VALU_DEP_1)
	v_add_nc_u32_e32 v3, 32, v2
	v_lshlrev_b64 v[3:4], 3, v[3:4]
	s_delay_alu instid0(VALU_DEP_1) | instskip(NEXT) | instid1(VALU_DEP_2)
	v_add_co_u32 v6, vcc_lo, s18, v3
	v_add_co_ci_u32_e32 v7, vcc_lo, s19, v4, vcc_lo
	global_load_b64 v[4:5], v[6:7], off glc
	s_waitcnt vmcnt(0)
	v_and_b32_e32 v3, 0xff, v5
	s_delay_alu instid0(VALU_DEP_1)
	v_cmpx_eq_u16_e32 0, v3
	s_cbranch_execz .LBB1410_54
; %bb.49:
	s_mov_b32 s24, 1
	.p2align	6
.LBB1410_50:                            ; =>This Loop Header: Depth=1
                                        ;     Child Loop BB1410_51 Depth 2
	s_delay_alu instid0(SALU_CYCLE_1)
	s_max_u32 s25, s24, 1
.LBB1410_51:                            ;   Parent Loop BB1410_50 Depth=1
                                        ; =>  This Inner Loop Header: Depth=2
	s_delay_alu instid0(SALU_CYCLE_1)
	s_add_i32 s25, s25, -1
	s_sleep 1
	s_cmp_eq_u32 s25, 0
	s_cbranch_scc0 .LBB1410_51
; %bb.52:                               ;   in Loop: Header=BB1410_50 Depth=1
	global_load_b64 v[4:5], v[6:7], off glc
	s_cmp_lt_u32 s24, 32
	s_cselect_b32 s25, -1, 0
	s_delay_alu instid0(SALU_CYCLE_1) | instskip(SKIP_3) | instid1(VALU_DEP_1)
	s_cmp_lg_u32 s25, 0
	s_addc_u32 s24, s24, 0
	s_waitcnt vmcnt(0)
	v_and_b32_e32 v3, 0xff, v5
	v_cmp_ne_u16_e32 vcc_lo, 0, v3
	s_or_b32 s23, vcc_lo, s23
	s_delay_alu instid0(SALU_CYCLE_1)
	s_and_not1_b32 exec_lo, exec_lo, s23
	s_cbranch_execnz .LBB1410_50
; %bb.53:
	s_or_b32 exec_lo, exec_lo, s23
.LBB1410_54:
	s_delay_alu instid0(SALU_CYCLE_1)
	s_or_b32 exec_lo, exec_lo, s22
	v_cmp_ne_u32_e32 vcc_lo, 31, v53
	v_lshlrev_b32_e64 v11, v53, -1
	v_add_nc_u32_e32 v13, 2, v53
	v_add_nc_u32_e32 v15, 4, v53
	;; [unrolled: 1-line block ×3, first 2 shown]
	v_add_co_ci_u32_e32 v3, vcc_lo, 0, v53, vcc_lo
	v_add_nc_u32_e32 v58, 16, v53
	s_delay_alu instid0(VALU_DEP_2) | instskip(SKIP_2) | instid1(VALU_DEP_1)
	v_lshlrev_b32_e32 v10, 2, v3
	ds_bpermute_b32 v6, v10, v4
	v_and_b32_e32 v3, 0xff, v5
	v_cmp_eq_u16_e32 vcc_lo, 2, v3
	v_and_or_b32 v3, vcc_lo, v11, 0x80000000
	v_cmp_gt_u32_e32 vcc_lo, 30, v53
	s_delay_alu instid0(VALU_DEP_2) | instskip(SKIP_1) | instid1(VALU_DEP_2)
	v_ctz_i32_b32_e32 v3, v3
	v_cndmask_b32_e64 v7, 0, 1, vcc_lo
	v_cmp_lt_u32_e32 vcc_lo, v53, v3
	s_waitcnt lgkmcnt(0)
	s_delay_alu instid0(VALU_DEP_2) | instskip(NEXT) | instid1(VALU_DEP_1)
	v_dual_cndmask_b32 v6, 0, v6 :: v_dual_lshlrev_b32 v7, 1, v7
	v_add_lshl_u32 v12, v7, v53, 2
	v_cmp_gt_u32_e32 vcc_lo, 28, v53
	s_delay_alu instid0(VALU_DEP_3) | instskip(SKIP_4) | instid1(VALU_DEP_1)
	v_add_nc_u32_e32 v4, v6, v4
	v_cndmask_b32_e64 v7, 0, 1, vcc_lo
	v_cmp_le_u32_e32 vcc_lo, v13, v3
	ds_bpermute_b32 v6, v12, v4
	v_lshlrev_b32_e32 v7, 2, v7
	v_add_lshl_u32 v14, v7, v53, 2
	s_waitcnt lgkmcnt(0)
	v_cndmask_b32_e32 v6, 0, v6, vcc_lo
	v_cmp_gt_u32_e32 vcc_lo, 24, v53
	s_delay_alu instid0(VALU_DEP_2) | instskip(SKIP_4) | instid1(VALU_DEP_1)
	v_add_nc_u32_e32 v4, v4, v6
	v_cndmask_b32_e64 v7, 0, 1, vcc_lo
	v_cmp_le_u32_e32 vcc_lo, v15, v3
	ds_bpermute_b32 v6, v14, v4
	v_lshlrev_b32_e32 v7, 3, v7
	v_add_lshl_u32 v17, v7, v53, 2
	s_waitcnt lgkmcnt(0)
	v_cndmask_b32_e32 v6, 0, v6, vcc_lo
	v_cmp_gt_u32_e32 vcc_lo, 16, v53
	s_delay_alu instid0(VALU_DEP_2) | instskip(SKIP_4) | instid1(VALU_DEP_1)
	v_add_nc_u32_e32 v4, v4, v6
	v_cndmask_b32_e64 v7, 0, 1, vcc_lo
	v_cmp_le_u32_e32 vcc_lo, v56, v3
	ds_bpermute_b32 v6, v17, v4
	v_lshlrev_b32_e32 v7, 4, v7
	v_add_lshl_u32 v57, v7, v53, 2
	s_waitcnt lgkmcnt(0)
	v_cndmask_b32_e32 v6, 0, v6, vcc_lo
	v_cmp_le_u32_e32 vcc_lo, v58, v3
	s_delay_alu instid0(VALU_DEP_2) | instskip(SKIP_3) | instid1(VALU_DEP_1)
	v_add_nc_u32_e32 v4, v4, v6
	ds_bpermute_b32 v6, v57, v4
	s_waitcnt lgkmcnt(0)
	v_cndmask_b32_e32 v3, 0, v6, vcc_lo
	v_dual_mov_b32 v3, 0 :: v_dual_add_nc_u32 v4, v4, v3
	s_branch .LBB1410_56
.LBB1410_55:                            ;   in Loop: Header=BB1410_56 Depth=1
	s_or_b32 exec_lo, exec_lo, s22
	ds_bpermute_b32 v7, v10, v4
	v_and_b32_e32 v6, 0xff, v5
	v_subrev_nc_u32_e32 v2, 32, v2
	s_delay_alu instid0(VALU_DEP_2) | instskip(SKIP_1) | instid1(VALU_DEP_1)
	v_cmp_eq_u16_e32 vcc_lo, 2, v6
	v_and_or_b32 v6, vcc_lo, v11, 0x80000000
	v_ctz_i32_b32_e32 v6, v6
	s_delay_alu instid0(VALU_DEP_1) | instskip(SKIP_3) | instid1(VALU_DEP_2)
	v_cmp_lt_u32_e32 vcc_lo, v53, v6
	s_waitcnt lgkmcnt(0)
	v_cndmask_b32_e32 v7, 0, v7, vcc_lo
	v_cmp_le_u32_e32 vcc_lo, v13, v6
	v_add_nc_u32_e32 v4, v7, v4
	ds_bpermute_b32 v7, v12, v4
	s_waitcnt lgkmcnt(0)
	v_cndmask_b32_e32 v7, 0, v7, vcc_lo
	v_cmp_le_u32_e32 vcc_lo, v15, v6
	s_delay_alu instid0(VALU_DEP_2) | instskip(SKIP_4) | instid1(VALU_DEP_2)
	v_add_nc_u32_e32 v4, v4, v7
	ds_bpermute_b32 v7, v14, v4
	s_waitcnt lgkmcnt(0)
	v_cndmask_b32_e32 v7, 0, v7, vcc_lo
	v_cmp_le_u32_e32 vcc_lo, v56, v6
	v_add_nc_u32_e32 v4, v4, v7
	ds_bpermute_b32 v7, v17, v4
	s_waitcnt lgkmcnt(0)
	v_cndmask_b32_e32 v7, 0, v7, vcc_lo
	v_cmp_le_u32_e32 vcc_lo, v58, v6
	s_delay_alu instid0(VALU_DEP_2) | instskip(SKIP_3) | instid1(VALU_DEP_1)
	v_add_nc_u32_e32 v4, v4, v7
	ds_bpermute_b32 v7, v57, v4
	s_waitcnt lgkmcnt(0)
	v_cndmask_b32_e32 v6, 0, v7, vcc_lo
	v_add3_u32 v4, v6, v16, v4
.LBB1410_56:                            ; =>This Loop Header: Depth=1
                                        ;     Child Loop BB1410_59 Depth 2
                                        ;       Child Loop BB1410_60 Depth 3
	s_delay_alu instid0(VALU_DEP_1) | instskip(NEXT) | instid1(VALU_DEP_1)
	v_dual_mov_b32 v16, v4 :: v_dual_and_b32 v5, 0xff, v5
	v_cmp_ne_u16_e32 vcc_lo, 2, v5
	v_cndmask_b32_e64 v5, 0, 1, vcc_lo
	;;#ASMSTART
	;;#ASMEND
	s_delay_alu instid0(VALU_DEP_1)
	v_cmp_ne_u32_e32 vcc_lo, 0, v5
	s_cmp_lg_u32 vcc_lo, exec_lo
	s_cbranch_scc1 .LBB1410_63
; %bb.57:                               ;   in Loop: Header=BB1410_56 Depth=1
	v_lshlrev_b64 v[4:5], 3, v[2:3]
	s_mov_b32 s22, exec_lo
	s_delay_alu instid0(VALU_DEP_1) | instskip(NEXT) | instid1(VALU_DEP_2)
	v_add_co_u32 v6, vcc_lo, s18, v4
	v_add_co_ci_u32_e32 v7, vcc_lo, s19, v5, vcc_lo
	global_load_b64 v[4:5], v[6:7], off glc
	s_waitcnt vmcnt(0)
	v_and_b32_e32 v59, 0xff, v5
	s_delay_alu instid0(VALU_DEP_1)
	v_cmpx_eq_u16_e32 0, v59
	s_cbranch_execz .LBB1410_55
; %bb.58:                               ;   in Loop: Header=BB1410_56 Depth=1
	s_mov_b32 s24, 1
	s_mov_b32 s23, 0
	.p2align	6
.LBB1410_59:                            ;   Parent Loop BB1410_56 Depth=1
                                        ; =>  This Loop Header: Depth=2
                                        ;       Child Loop BB1410_60 Depth 3
	s_max_u32 s25, s24, 1
.LBB1410_60:                            ;   Parent Loop BB1410_56 Depth=1
                                        ;     Parent Loop BB1410_59 Depth=2
                                        ; =>    This Inner Loop Header: Depth=3
	s_delay_alu instid0(SALU_CYCLE_1)
	s_add_i32 s25, s25, -1
	s_sleep 1
	s_cmp_eq_u32 s25, 0
	s_cbranch_scc0 .LBB1410_60
; %bb.61:                               ;   in Loop: Header=BB1410_59 Depth=2
	global_load_b64 v[4:5], v[6:7], off glc
	s_cmp_lt_u32 s24, 32
	s_cselect_b32 s25, -1, 0
	s_delay_alu instid0(SALU_CYCLE_1) | instskip(SKIP_3) | instid1(VALU_DEP_1)
	s_cmp_lg_u32 s25, 0
	s_addc_u32 s24, s24, 0
	s_waitcnt vmcnt(0)
	v_and_b32_e32 v59, 0xff, v5
	v_cmp_ne_u16_e32 vcc_lo, 0, v59
	s_or_b32 s23, vcc_lo, s23
	s_delay_alu instid0(SALU_CYCLE_1)
	s_and_not1_b32 exec_lo, exec_lo, s23
	s_cbranch_execnz .LBB1410_59
; %bb.62:                               ;   in Loop: Header=BB1410_56 Depth=1
	s_or_b32 exec_lo, exec_lo, s23
	s_branch .LBB1410_55
.LBB1410_63:                            ;   in Loop: Header=BB1410_56 Depth=1
                                        ; implicit-def: $vgpr4
                                        ; implicit-def: $vgpr5
	s_cbranch_execz .LBB1410_56
; %bb.64:
	s_and_saveexec_b32 s22, s7
	s_cbranch_execz .LBB1410_66
; %bb.65:
	s_add_i32 s24, s20, 32
	s_mov_b32 s25, 0
	v_dual_mov_b32 v3, 2 :: v_dual_add_nc_u32 v2, v16, v1
	s_lshl_b64 s[24:25], s[24:25], 3
	v_mov_b32_e32 v4, 0
	v_add_nc_u32_e64 v5, 0x3400, 0
	s_add_u32 s24, s18, s24
	s_addc_u32 s25, s19, s25
	global_store_b64 v4, v[2:3], s[24:25]
	ds_store_2addr_b32 v5, v1, v16 offset1:2
.LBB1410_66:
	s_or_b32 exec_lo, exec_lo, s22
	s_delay_alu instid0(SALU_CYCLE_1)
	s_and_b32 exec_lo, exec_lo, s2
	s_cbranch_execz .LBB1410_68
; %bb.67:
	v_mov_b32_e32 v1, 0
	ds_store_b32 v1, v16 offset:28
.LBB1410_68:
	s_or_b32 exec_lo, exec_lo, s21
	v_mov_b32_e32 v1, 0
	s_waitcnt lgkmcnt(0)
	s_waitcnt_vscnt null, 0x0
	s_barrier
	buffer_gl0_inv
	v_cndmask_b32_e64 v2, v9, v8, s7
	ds_load_b32 v1, v1 offset:28
	v_add_nc_u32_e64 v11, 0x3400, 0
	s_waitcnt lgkmcnt(0)
	s_barrier
	v_cndmask_b32_e64 v2, v2, 0, s2
	buffer_gl0_inv
	ds_load_2addr_b32 v[16:17], v11 offset1:2
	v_add_nc_u32_e32 v1, v1, v2
	s_delay_alu instid0(VALU_DEP_1) | instskip(NEXT) | instid1(VALU_DEP_1)
	v_add_nc_u32_e32 v2, v1, v44
	v_add_nc_u32_e32 v3, v2, v45
	s_delay_alu instid0(VALU_DEP_1) | instskip(NEXT) | instid1(VALU_DEP_1)
	v_add_nc_u32_e32 v4, v3, v46
	;; [unrolled: 3-line block ×6, first 2 shown]
	v_add_nc_u32_e32 v13, v12, v39
	s_branch .LBB1410_79
.LBB1410_69:
                                        ; implicit-def: $vgpr17
                                        ; implicit-def: $vgpr1_vgpr2_vgpr3_vgpr4_vgpr5_vgpr6_vgpr7_vgpr8_vgpr9_vgpr10_vgpr11_vgpr12_vgpr13_vgpr14_vgpr15_vgpr16
	s_and_b32 vcc_lo, exec_lo, s7
	s_cbranch_vccz .LBB1410_79
; %bb.70:
	s_delay_alu instid0(VALU_DEP_1) | instskip(NEXT) | instid1(VALU_DEP_1)
	v_mov_b32_dpp v1, v55 row_shr:1 row_mask:0xf bank_mask:0xf
	v_cndmask_b32_e64 v1, v1, 0, s6
	s_delay_alu instid0(VALU_DEP_1) | instskip(NEXT) | instid1(VALU_DEP_1)
	v_add_nc_u32_e32 v1, v1, v55
	v_mov_b32_dpp v2, v1 row_shr:2 row_mask:0xf bank_mask:0xf
	s_delay_alu instid0(VALU_DEP_1) | instskip(NEXT) | instid1(VALU_DEP_1)
	v_cndmask_b32_e64 v2, 0, v2, s5
	v_add_nc_u32_e32 v1, v1, v2
	s_delay_alu instid0(VALU_DEP_1) | instskip(NEXT) | instid1(VALU_DEP_1)
	v_mov_b32_dpp v2, v1 row_shr:4 row_mask:0xf bank_mask:0xf
	v_cndmask_b32_e64 v2, 0, v2, s4
	s_delay_alu instid0(VALU_DEP_1) | instskip(NEXT) | instid1(VALU_DEP_1)
	v_add_nc_u32_e32 v1, v1, v2
	v_mov_b32_dpp v2, v1 row_shr:8 row_mask:0xf bank_mask:0xf
	s_delay_alu instid0(VALU_DEP_1) | instskip(NEXT) | instid1(VALU_DEP_1)
	v_cndmask_b32_e64 v2, 0, v2, s3
	v_add_nc_u32_e32 v1, v1, v2
	ds_swizzle_b32 v2, v1 offset:swizzle(BROADCAST,32,15)
	s_waitcnt lgkmcnt(0)
	v_cndmask_b32_e64 v2, v2, 0, s1
	s_delay_alu instid0(VALU_DEP_1)
	v_add_nc_u32_e32 v1, v1, v2
	s_and_saveexec_b32 s1, s0
	s_cbranch_execz .LBB1410_72
; %bb.71:
	v_lshlrev_b32_e32 v2, 2, v54
	ds_store_b32 v2, v1
.LBB1410_72:
	s_or_b32 exec_lo, exec_lo, s1
	s_delay_alu instid0(SALU_CYCLE_1)
	s_mov_b32 s0, exec_lo
	s_waitcnt lgkmcnt(0)
	s_barrier
	buffer_gl0_inv
	v_cmpx_gt_u32_e32 8, v0
	s_cbranch_execz .LBB1410_74
; %bb.73:
	ds_load_b32 v2, v33
	s_waitcnt lgkmcnt(0)
	v_mov_b32_dpp v4, v2 row_shr:1 row_mask:0xf bank_mask:0xf
	v_and_b32_e32 v3, 7, v53
	s_delay_alu instid0(VALU_DEP_1) | instskip(NEXT) | instid1(VALU_DEP_3)
	v_cmp_ne_u32_e32 vcc_lo, 0, v3
	v_cndmask_b32_e32 v4, 0, v4, vcc_lo
	v_cmp_lt_u32_e32 vcc_lo, 1, v3
	s_delay_alu instid0(VALU_DEP_2) | instskip(NEXT) | instid1(VALU_DEP_1)
	v_add_nc_u32_e32 v2, v4, v2
	v_mov_b32_dpp v4, v2 row_shr:2 row_mask:0xf bank_mask:0xf
	s_delay_alu instid0(VALU_DEP_1) | instskip(SKIP_1) | instid1(VALU_DEP_2)
	v_cndmask_b32_e32 v4, 0, v4, vcc_lo
	v_cmp_lt_u32_e32 vcc_lo, 3, v3
	v_add_nc_u32_e32 v2, v2, v4
	s_delay_alu instid0(VALU_DEP_1) | instskip(NEXT) | instid1(VALU_DEP_1)
	v_mov_b32_dpp v4, v2 row_shr:4 row_mask:0xf bank_mask:0xf
	v_cndmask_b32_e32 v3, 0, v4, vcc_lo
	s_delay_alu instid0(VALU_DEP_1)
	v_add_nc_u32_e32 v2, v2, v3
	ds_store_b32 v33, v2
.LBB1410_74:
	s_or_b32 exec_lo, exec_lo, s0
	v_dual_mov_b32 v3, 0 :: v_dual_mov_b32 v2, 0
	s_mov_b32 s0, exec_lo
	s_waitcnt lgkmcnt(0)
	s_barrier
	buffer_gl0_inv
	v_cmpx_lt_u32_e32 31, v0
	s_cbranch_execz .LBB1410_76
; %bb.75:
	v_lshl_add_u32 v2, v54, 2, -4
	ds_load_b32 v2, v2
.LBB1410_76:
	s_or_b32 exec_lo, exec_lo, s0
	v_add_nc_u32_e32 v4, -1, v53
	s_waitcnt lgkmcnt(0)
	v_add_nc_u32_e32 v1, v2, v1
	ds_load_b32 v16, v3 offset:28
	v_cmp_gt_i32_e32 vcc_lo, 0, v4
	v_cndmask_b32_e32 v4, v4, v53, vcc_lo
	s_delay_alu instid0(VALU_DEP_1)
	v_lshlrev_b32_e32 v4, 2, v4
	ds_bpermute_b32 v1, v4, v1
	s_and_saveexec_b32 s0, s2
	s_cbranch_execz .LBB1410_78
; %bb.77:
	v_mov_b32_e32 v3, 0
	v_mov_b32_e32 v17, 2
	s_waitcnt lgkmcnt(1)
	global_store_b64 v3, v[16:17], s[18:19] offset:256
.LBB1410_78:
	s_or_b32 exec_lo, exec_lo, s0
	v_cmp_eq_u32_e32 vcc_lo, 0, v53
	s_waitcnt lgkmcnt(0)
	s_waitcnt_vscnt null, 0x0
	s_barrier
	buffer_gl0_inv
	v_mov_b32_e32 v17, 0
	v_cndmask_b32_e32 v1, v1, v2, vcc_lo
	s_delay_alu instid0(VALU_DEP_1) | instskip(NEXT) | instid1(VALU_DEP_1)
	v_cndmask_b32_e64 v1, v1, 0, s2
	v_add_nc_u32_e32 v2, v1, v44
	s_delay_alu instid0(VALU_DEP_1) | instskip(NEXT) | instid1(VALU_DEP_1)
	v_add_nc_u32_e32 v3, v2, v45
	v_add_nc_u32_e32 v4, v3, v46
	s_delay_alu instid0(VALU_DEP_1) | instskip(NEXT) | instid1(VALU_DEP_1)
	v_add_nc_u32_e32 v5, v4, v43
	;; [unrolled: 3-line block ×5, first 2 shown]
	v_add_nc_u32_e32 v12, v11, v52
	s_delay_alu instid0(VALU_DEP_1)
	v_add_nc_u32_e32 v13, v12, v39
.LBB1410_79:
	s_waitcnt lgkmcnt(0)
	v_sub_nc_u32_e32 v1, v1, v17
	v_sub_nc_u32_e32 v2, v2, v17
	v_add_nc_u32_e32 v36, v16, v36
	v_lshrrev_b32_e32 v47, 8, v42
	v_lshrrev_b32_e32 v46, 16, v42
	v_sub_nc_u32_e32 v4, v4, v17
	v_sub_nc_u32_e32 v3, v3, v17
	;; [unrolled: 1-line block ×3, first 2 shown]
	v_and_b32_e32 v42, 1, v42
	v_and_b32_e32 v47, 1, v47
	;; [unrolled: 1-line block ×3, first 2 shown]
	v_lshrrev_b32_e32 v45, 8, v40
	v_lshrrev_b32_e32 v44, 16, v40
	v_cmp_eq_u32_e32 vcc_lo, 1, v42
	v_and_b32_e32 v42, 1, v46
	v_sub_nc_u32_e32 v46, v36, v2
	v_lshrrev_b32_e32 v15, 8, v38
	v_lshrrev_b32_e32 v14, 16, v38
	v_cndmask_b32_e32 v1, v48, v1, vcc_lo
	v_cmp_eq_u32_e32 vcc_lo, 1, v47
	v_add_nc_u32_e32 v46, 1, v46
	s_delay_alu instid0(VALU_DEP_3)
	v_lshlrev_b32_e32 v1, 2, v1
	ds_store_b32 v1, v30
	v_cndmask_b32_e32 v1, v46, v2, vcc_lo
	v_sub_nc_u32_e32 v48, v36, v3
	v_sub_nc_u32_e32 v49, v36, v4
	v_cmp_eq_u32_e32 vcc_lo, 1, v42
	v_or_b32_e32 v30, 0x300, v0
	v_lshlrev_b32_e32 v1, 2, v1
	v_add_nc_u32_e32 v48, 2, v48
	v_add_nc_u32_e32 v49, 3, v49
	ds_store_b32 v1, v31
	v_cndmask_b32_e32 v2, v48, v3, vcc_lo
	v_cmp_eq_u32_e32 vcc_lo, 1, v43
	v_or_b32_e32 v31, 0x200, v0
	s_delay_alu instid0(VALU_DEP_3) | instskip(SKIP_2) | instid1(VALU_DEP_3)
	v_dual_cndmask_b32 v3, v49, v4 :: v_dual_lshlrev_b32 v2, 2, v2
	v_sub_nc_u32_e32 v4, v5, v17
	v_sub_nc_u32_e32 v5, v6, v17
	v_lshlrev_b32_e32 v3, 2, v3
	s_delay_alu instid0(VALU_DEP_3) | instskip(NEXT) | instid1(VALU_DEP_3)
	v_sub_nc_u32_e32 v1, v36, v4
	v_sub_nc_u32_e32 v6, v36, v5
	ds_store_b32 v2, v28
	ds_store_b32 v3, v29
	v_and_b32_e32 v2, 1, v40
	v_add_nc_u32_e32 v1, 4, v1
	v_add_nc_u32_e32 v3, 5, v6
	v_sub_nc_u32_e32 v6, v7, v17
	v_and_b32_e32 v7, 1, v45
	v_cmp_eq_u32_e32 vcc_lo, 1, v2
	v_sub_nc_u32_e32 v2, v8, v17
	v_and_b32_e32 v8, 1, v41
	v_or_b32_e32 v29, 0x400, v0
	v_or_b32_e32 v28, 0x500, v0
	v_cndmask_b32_e32 v1, v1, v4, vcc_lo
	v_sub_nc_u32_e32 v4, v36, v6
	v_cmp_eq_u32_e32 vcc_lo, 1, v7
	v_and_b32_e32 v7, 1, v44
	s_delay_alu instid0(VALU_DEP_4) | instskip(NEXT) | instid1(VALU_DEP_4)
	v_lshlrev_b32_e32 v1, 2, v1
	v_dual_cndmask_b32 v3, v3, v5 :: v_dual_add_nc_u32 v4, 6, v4
	v_sub_nc_u32_e32 v5, v36, v2
	s_delay_alu instid0(VALU_DEP_4) | instskip(SKIP_2) | instid1(VALU_DEP_4)
	v_cmp_eq_u32_e32 vcc_lo, 1, v7
	v_sub_nc_u32_e32 v7, v13, v17
	v_add_co_u32 v13, s0, s16, v32
	v_dual_cndmask_b32 v4, v4, v6 :: v_dual_add_nc_u32 v5, 7, v5
	v_cmp_eq_u32_e32 vcc_lo, 1, v8
	v_sub_nc_u32_e32 v6, v9, v17
	v_lshlrev_b32_e32 v3, 2, v3
	ds_store_b32 v1, v26
	ds_store_b32 v3, v27
	v_cndmask_b32_e32 v2, v5, v2, vcc_lo
	v_sub_nc_u32_e32 v1, v36, v6
	v_lshlrev_b32_e32 v3, 2, v4
	v_and_b32_e32 v5, 1, v38
	v_sub_nc_u32_e32 v4, v10, v17
	v_lshlrev_b32_e32 v2, 2, v2
	v_add_nc_u32_e32 v1, 8, v1
	ds_store_b32 v3, v24
	ds_store_b32 v2, v25
	v_cmp_eq_u32_e32 vcc_lo, 1, v5
	v_sub_nc_u32_e32 v3, v11, v17
	v_sub_nc_u32_e32 v2, v36, v4
	;; [unrolled: 1-line block ×3, first 2 shown]
	v_dual_cndmask_b32 v1, v1, v6 :: v_dual_and_b32 v10, 1, v39
	v_and_b32_e32 v6, 1, v15
	v_sub_nc_u32_e32 v8, v36, v3
	v_add_nc_u32_e32 v2, 9, v2
	v_sub_nc_u32_e32 v9, v36, v5
	v_and_b32_e32 v11, 1, v37
	v_cmp_eq_u32_e32 vcc_lo, 1, v6
	v_add_nc_u32_e32 v6, 10, v8
	v_and_b32_e32 v8, 1, v14
	v_add_nc_u32_e32 v9, 11, v9
	v_dual_cndmask_b32 v2, v2, v4 :: v_dual_lshlrev_b32 v1, 2, v1
	v_sub_nc_u32_e32 v4, v36, v7
	s_delay_alu instid0(VALU_DEP_4) | instskip(SKIP_1) | instid1(VALU_DEP_4)
	v_cmp_eq_u32_e32 vcc_lo, 1, v8
	v_add_co_ci_u32_e64 v14, null, s17, 0, s0
	v_lshlrev_b32_e32 v2, 2, v2
	s_delay_alu instid0(VALU_DEP_4)
	v_dual_cndmask_b32 v3, v6, v3 :: v_dual_add_nc_u32 v4, 12, v4
	v_cmp_eq_u32_e32 vcc_lo, 1, v10
	v_or_b32_e32 v27, 0x600, v0
	v_or_b32_e32 v26, 0x700, v0
	;; [unrolled: 1-line block ×3, first 2 shown]
	v_lshlrev_b32_e32 v3, 2, v3
	v_cndmask_b32_e32 v5, v9, v5, vcc_lo
	v_cmp_eq_u32_e32 vcc_lo, 1, v11
	v_or_b32_e32 v24, 0x900, v0
	s_delay_alu instid0(VALU_DEP_3) | instskip(SKIP_2) | instid1(VALU_DEP_3)
	v_dual_cndmask_b32 v4, v4, v7 :: v_dual_lshlrev_b32 v5, 2, v5
	v_sub_co_u32 v13, vcc_lo, s14, v13
	v_sub_co_ci_u32_e32 v14, vcc_lo, s15, v14, vcc_lo
	v_lshlrev_b32_e32 v4, 2, v4
	ds_store_b32 v1, v22
	ds_store_b32 v2, v23
	;; [unrolled: 1-line block ×5, first 2 shown]
	s_waitcnt lgkmcnt(0)
	s_barrier
	buffer_gl0_inv
	ds_load_2addr_stride64_b32 v[11:12], v33 offset1:4
	ds_load_2addr_stride64_b32 v[9:10], v33 offset0:8 offset1:12
	ds_load_2addr_stride64_b32 v[7:8], v33 offset0:16 offset1:20
	;; [unrolled: 1-line block ×5, first 2 shown]
	ds_load_b32 v20, v33 offset:12288
	v_add_co_u32 v15, vcc_lo, v18, v17
	v_add_co_ci_u32_e32 v17, vcc_lo, 0, v19, vcc_lo
	v_add_co_u32 v13, vcc_lo, v13, v16
	v_add_co_ci_u32_e32 v14, vcc_lo, 0, v14, vcc_lo
	v_cmp_ne_u32_e32 vcc_lo, 1, v34
	s_delay_alu instid0(VALU_DEP_3)
	v_add_co_u32 v18, s0, v13, v15
	v_or_b32_e32 v35, 0x100, v0
	v_or_b32_e32 v23, 0xa00, v0
	;; [unrolled: 1-line block ×4, first 2 shown]
	v_add_co_ci_u32_e64 v19, s0, v14, v17, s0
	s_mov_b32 s0, 0
	s_cbranch_vccnz .LBB1410_136
; %bb.80:
	s_mov_b32 s0, exec_lo
                                        ; implicit-def: $vgpr13_vgpr14
	v_cmpx_ge_u32_e64 v0, v16
	s_xor_b32 s0, exec_lo, s0
; %bb.81:
	v_not_b32_e32 v13, v0
	s_delay_alu instid0(VALU_DEP_1) | instskip(SKIP_1) | instid1(VALU_DEP_2)
	v_ashrrev_i32_e32 v14, 31, v13
	v_add_co_u32 v13, vcc_lo, v18, v13
	v_add_co_ci_u32_e32 v14, vcc_lo, v19, v14, vcc_lo
; %bb.82:
	s_and_not1_saveexec_b32 s0, s0
; %bb.83:
	v_add_co_u32 v13, vcc_lo, v15, v0
	v_add_co_ci_u32_e32 v14, vcc_lo, 0, v17, vcc_lo
; %bb.84:
	s_or_b32 exec_lo, exec_lo, s0
	s_delay_alu instid0(VALU_DEP_1) | instskip(SKIP_1) | instid1(VALU_DEP_1)
	v_lshlrev_b64 v[13:14], 2, v[13:14]
	s_mov_b32 s0, exec_lo
	v_add_co_u32 v13, vcc_lo, s12, v13
	s_delay_alu instid0(VALU_DEP_2)
	v_add_co_ci_u32_e32 v14, vcc_lo, s13, v14, vcc_lo
	s_waitcnt lgkmcnt(6)
	global_store_b32 v[13:14], v11, off
                                        ; implicit-def: $vgpr13_vgpr14
	v_cmpx_ge_u32_e64 v35, v16
	s_xor_b32 s0, exec_lo, s0
; %bb.85:
	v_xor_b32_e32 v13, 0xfffffeff, v0
	s_delay_alu instid0(VALU_DEP_1) | instskip(SKIP_1) | instid1(VALU_DEP_2)
	v_ashrrev_i32_e32 v14, 31, v13
	v_add_co_u32 v13, vcc_lo, v18, v13
	v_add_co_ci_u32_e32 v14, vcc_lo, v19, v14, vcc_lo
; %bb.86:
	s_and_not1_saveexec_b32 s0, s0
; %bb.87:
	v_add_co_u32 v13, vcc_lo, v15, v35
	v_add_co_ci_u32_e32 v14, vcc_lo, 0, v17, vcc_lo
; %bb.88:
	s_or_b32 exec_lo, exec_lo, s0
	s_delay_alu instid0(VALU_DEP_1) | instskip(SKIP_1) | instid1(VALU_DEP_1)
	v_lshlrev_b64 v[13:14], 2, v[13:14]
	s_mov_b32 s0, exec_lo
	v_add_co_u32 v13, vcc_lo, s12, v13
	s_delay_alu instid0(VALU_DEP_2)
	v_add_co_ci_u32_e32 v14, vcc_lo, s13, v14, vcc_lo
	global_store_b32 v[13:14], v12, off
                                        ; implicit-def: $vgpr13_vgpr14
	v_cmpx_ge_u32_e64 v31, v16
	s_xor_b32 s0, exec_lo, s0
; %bb.89:
	v_xor_b32_e32 v13, 0xfffffdff, v0
	s_delay_alu instid0(VALU_DEP_1) | instskip(SKIP_1) | instid1(VALU_DEP_2)
	v_ashrrev_i32_e32 v14, 31, v13
	v_add_co_u32 v13, vcc_lo, v18, v13
	v_add_co_ci_u32_e32 v14, vcc_lo, v19, v14, vcc_lo
; %bb.90:
	s_and_not1_saveexec_b32 s0, s0
; %bb.91:
	v_add_co_u32 v13, vcc_lo, v15, v31
	v_add_co_ci_u32_e32 v14, vcc_lo, 0, v17, vcc_lo
; %bb.92:
	s_or_b32 exec_lo, exec_lo, s0
	s_delay_alu instid0(VALU_DEP_1) | instskip(SKIP_1) | instid1(VALU_DEP_1)
	v_lshlrev_b64 v[13:14], 2, v[13:14]
	s_mov_b32 s0, exec_lo
	v_add_co_u32 v13, vcc_lo, s12, v13
	s_delay_alu instid0(VALU_DEP_2)
	v_add_co_ci_u32_e32 v14, vcc_lo, s13, v14, vcc_lo
	s_waitcnt lgkmcnt(5)
	global_store_b32 v[13:14], v9, off
                                        ; implicit-def: $vgpr13_vgpr14
	v_cmpx_ge_u32_e64 v30, v16
	s_xor_b32 s0, exec_lo, s0
; %bb.93:
	v_xor_b32_e32 v13, 0xfffffcff, v0
	s_delay_alu instid0(VALU_DEP_1) | instskip(SKIP_1) | instid1(VALU_DEP_2)
	v_ashrrev_i32_e32 v14, 31, v13
	v_add_co_u32 v13, vcc_lo, v18, v13
	v_add_co_ci_u32_e32 v14, vcc_lo, v19, v14, vcc_lo
; %bb.94:
	s_and_not1_saveexec_b32 s0, s0
; %bb.95:
	v_add_co_u32 v13, vcc_lo, v15, v30
	v_add_co_ci_u32_e32 v14, vcc_lo, 0, v17, vcc_lo
; %bb.96:
	s_or_b32 exec_lo, exec_lo, s0
	s_delay_alu instid0(VALU_DEP_1) | instskip(SKIP_1) | instid1(VALU_DEP_1)
	v_lshlrev_b64 v[13:14], 2, v[13:14]
	s_mov_b32 s0, exec_lo
	v_add_co_u32 v13, vcc_lo, s12, v13
	s_delay_alu instid0(VALU_DEP_2)
	v_add_co_ci_u32_e32 v14, vcc_lo, s13, v14, vcc_lo
	global_store_b32 v[13:14], v10, off
                                        ; implicit-def: $vgpr13_vgpr14
	v_cmpx_ge_u32_e64 v29, v16
	s_xor_b32 s0, exec_lo, s0
; %bb.97:
	v_xor_b32_e32 v13, 0xfffffbff, v0
	s_delay_alu instid0(VALU_DEP_1) | instskip(SKIP_1) | instid1(VALU_DEP_2)
	v_ashrrev_i32_e32 v14, 31, v13
	v_add_co_u32 v13, vcc_lo, v18, v13
	v_add_co_ci_u32_e32 v14, vcc_lo, v19, v14, vcc_lo
; %bb.98:
	s_and_not1_saveexec_b32 s0, s0
; %bb.99:
	v_add_co_u32 v13, vcc_lo, v15, v29
	v_add_co_ci_u32_e32 v14, vcc_lo, 0, v17, vcc_lo
; %bb.100:
	s_or_b32 exec_lo, exec_lo, s0
	s_delay_alu instid0(VALU_DEP_1) | instskip(SKIP_1) | instid1(VALU_DEP_1)
	v_lshlrev_b64 v[13:14], 2, v[13:14]
	s_mov_b32 s0, exec_lo
	v_add_co_u32 v13, vcc_lo, s12, v13
	s_delay_alu instid0(VALU_DEP_2)
	v_add_co_ci_u32_e32 v14, vcc_lo, s13, v14, vcc_lo
	s_waitcnt lgkmcnt(4)
	global_store_b32 v[13:14], v7, off
                                        ; implicit-def: $vgpr13_vgpr14
	v_cmpx_ge_u32_e64 v28, v16
	s_xor_b32 s0, exec_lo, s0
; %bb.101:
	v_xor_b32_e32 v13, 0xfffffaff, v0
	s_delay_alu instid0(VALU_DEP_1) | instskip(SKIP_1) | instid1(VALU_DEP_2)
	v_ashrrev_i32_e32 v14, 31, v13
	v_add_co_u32 v13, vcc_lo, v18, v13
	v_add_co_ci_u32_e32 v14, vcc_lo, v19, v14, vcc_lo
; %bb.102:
	s_and_not1_saveexec_b32 s0, s0
; %bb.103:
	v_add_co_u32 v13, vcc_lo, v15, v28
	v_add_co_ci_u32_e32 v14, vcc_lo, 0, v17, vcc_lo
; %bb.104:
	s_or_b32 exec_lo, exec_lo, s0
	s_delay_alu instid0(VALU_DEP_1) | instskip(SKIP_1) | instid1(VALU_DEP_1)
	v_lshlrev_b64 v[13:14], 2, v[13:14]
	s_mov_b32 s0, exec_lo
	v_add_co_u32 v13, vcc_lo, s12, v13
	s_delay_alu instid0(VALU_DEP_2)
	v_add_co_ci_u32_e32 v14, vcc_lo, s13, v14, vcc_lo
	global_store_b32 v[13:14], v8, off
                                        ; implicit-def: $vgpr13_vgpr14
	v_cmpx_ge_u32_e64 v27, v16
	s_xor_b32 s0, exec_lo, s0
; %bb.105:
	v_xor_b32_e32 v13, 0xfffff9ff, v0
	s_delay_alu instid0(VALU_DEP_1) | instskip(SKIP_1) | instid1(VALU_DEP_2)
	v_ashrrev_i32_e32 v14, 31, v13
	v_add_co_u32 v13, vcc_lo, v18, v13
	v_add_co_ci_u32_e32 v14, vcc_lo, v19, v14, vcc_lo
; %bb.106:
	s_and_not1_saveexec_b32 s0, s0
; %bb.107:
	v_add_co_u32 v13, vcc_lo, v15, v27
	v_add_co_ci_u32_e32 v14, vcc_lo, 0, v17, vcc_lo
; %bb.108:
	s_or_b32 exec_lo, exec_lo, s0
	s_delay_alu instid0(VALU_DEP_1) | instskip(SKIP_1) | instid1(VALU_DEP_1)
	v_lshlrev_b64 v[13:14], 2, v[13:14]
	s_mov_b32 s0, exec_lo
	v_add_co_u32 v13, vcc_lo, s12, v13
	s_delay_alu instid0(VALU_DEP_2)
	v_add_co_ci_u32_e32 v14, vcc_lo, s13, v14, vcc_lo
	s_waitcnt lgkmcnt(3)
	global_store_b32 v[13:14], v5, off
                                        ; implicit-def: $vgpr13_vgpr14
	v_cmpx_ge_u32_e64 v26, v16
	s_xor_b32 s0, exec_lo, s0
; %bb.109:
	v_xor_b32_e32 v13, 0xfffff8ff, v0
	s_delay_alu instid0(VALU_DEP_1) | instskip(SKIP_1) | instid1(VALU_DEP_2)
	v_ashrrev_i32_e32 v14, 31, v13
	v_add_co_u32 v13, vcc_lo, v18, v13
	v_add_co_ci_u32_e32 v14, vcc_lo, v19, v14, vcc_lo
; %bb.110:
	s_and_not1_saveexec_b32 s0, s0
; %bb.111:
	v_add_co_u32 v13, vcc_lo, v15, v26
	v_add_co_ci_u32_e32 v14, vcc_lo, 0, v17, vcc_lo
; %bb.112:
	s_or_b32 exec_lo, exec_lo, s0
	s_delay_alu instid0(VALU_DEP_1) | instskip(SKIP_1) | instid1(VALU_DEP_1)
	v_lshlrev_b64 v[13:14], 2, v[13:14]
	s_mov_b32 s0, exec_lo
	v_add_co_u32 v13, vcc_lo, s12, v13
	s_delay_alu instid0(VALU_DEP_2)
	v_add_co_ci_u32_e32 v14, vcc_lo, s13, v14, vcc_lo
	global_store_b32 v[13:14], v6, off
                                        ; implicit-def: $vgpr13_vgpr14
	v_cmpx_ge_u32_e64 v25, v16
	s_xor_b32 s0, exec_lo, s0
; %bb.113:
	v_xor_b32_e32 v13, 0xfffff7ff, v0
	s_delay_alu instid0(VALU_DEP_1) | instskip(SKIP_1) | instid1(VALU_DEP_2)
	v_ashrrev_i32_e32 v14, 31, v13
	v_add_co_u32 v13, vcc_lo, v18, v13
	v_add_co_ci_u32_e32 v14, vcc_lo, v19, v14, vcc_lo
; %bb.114:
	s_and_not1_saveexec_b32 s0, s0
; %bb.115:
	v_add_co_u32 v13, vcc_lo, v15, v25
	v_add_co_ci_u32_e32 v14, vcc_lo, 0, v17, vcc_lo
; %bb.116:
	s_or_b32 exec_lo, exec_lo, s0
	s_delay_alu instid0(VALU_DEP_1) | instskip(SKIP_1) | instid1(VALU_DEP_1)
	v_lshlrev_b64 v[13:14], 2, v[13:14]
	s_mov_b32 s0, exec_lo
	v_add_co_u32 v13, vcc_lo, s12, v13
	s_delay_alu instid0(VALU_DEP_2)
	v_add_co_ci_u32_e32 v14, vcc_lo, s13, v14, vcc_lo
	s_waitcnt lgkmcnt(2)
	global_store_b32 v[13:14], v3, off
                                        ; implicit-def: $vgpr13_vgpr14
	v_cmpx_ge_u32_e64 v24, v16
	s_xor_b32 s0, exec_lo, s0
; %bb.117:
	v_xor_b32_e32 v13, 0xfffff6ff, v0
	s_delay_alu instid0(VALU_DEP_1) | instskip(SKIP_1) | instid1(VALU_DEP_2)
	v_ashrrev_i32_e32 v14, 31, v13
	v_add_co_u32 v13, vcc_lo, v18, v13
	v_add_co_ci_u32_e32 v14, vcc_lo, v19, v14, vcc_lo
; %bb.118:
	s_and_not1_saveexec_b32 s0, s0
; %bb.119:
	v_add_co_u32 v13, vcc_lo, v15, v24
	v_add_co_ci_u32_e32 v14, vcc_lo, 0, v17, vcc_lo
; %bb.120:
	s_or_b32 exec_lo, exec_lo, s0
	s_delay_alu instid0(VALU_DEP_1) | instskip(SKIP_1) | instid1(VALU_DEP_1)
	v_lshlrev_b64 v[13:14], 2, v[13:14]
	s_mov_b32 s0, exec_lo
	v_add_co_u32 v13, vcc_lo, s12, v13
	s_delay_alu instid0(VALU_DEP_2)
	v_add_co_ci_u32_e32 v14, vcc_lo, s13, v14, vcc_lo
	global_store_b32 v[13:14], v4, off
                                        ; implicit-def: $vgpr13_vgpr14
	v_cmpx_ge_u32_e64 v23, v16
	s_xor_b32 s0, exec_lo, s0
; %bb.121:
	v_xor_b32_e32 v13, 0xfffff5ff, v0
	s_delay_alu instid0(VALU_DEP_1) | instskip(SKIP_1) | instid1(VALU_DEP_2)
	v_ashrrev_i32_e32 v14, 31, v13
	v_add_co_u32 v13, vcc_lo, v18, v13
	v_add_co_ci_u32_e32 v14, vcc_lo, v19, v14, vcc_lo
; %bb.122:
	s_and_not1_saveexec_b32 s0, s0
; %bb.123:
	v_add_co_u32 v13, vcc_lo, v15, v23
	v_add_co_ci_u32_e32 v14, vcc_lo, 0, v17, vcc_lo
; %bb.124:
	s_or_b32 exec_lo, exec_lo, s0
	s_delay_alu instid0(VALU_DEP_1) | instskip(SKIP_1) | instid1(VALU_DEP_1)
	v_lshlrev_b64 v[13:14], 2, v[13:14]
	s_mov_b32 s0, exec_lo
	v_add_co_u32 v13, vcc_lo, s12, v13
	s_delay_alu instid0(VALU_DEP_2)
	v_add_co_ci_u32_e32 v14, vcc_lo, s13, v14, vcc_lo
	s_waitcnt lgkmcnt(1)
	global_store_b32 v[13:14], v1, off
                                        ; implicit-def: $vgpr13_vgpr14
	v_cmpx_ge_u32_e64 v22, v16
	s_xor_b32 s0, exec_lo, s0
; %bb.125:
	v_xor_b32_e32 v13, 0xfffff4ff, v0
	s_delay_alu instid0(VALU_DEP_1) | instskip(SKIP_1) | instid1(VALU_DEP_2)
	v_ashrrev_i32_e32 v14, 31, v13
	v_add_co_u32 v13, vcc_lo, v18, v13
	v_add_co_ci_u32_e32 v14, vcc_lo, v19, v14, vcc_lo
; %bb.126:
	s_and_not1_saveexec_b32 s0, s0
; %bb.127:
	v_add_co_u32 v13, vcc_lo, v15, v22
	v_add_co_ci_u32_e32 v14, vcc_lo, 0, v17, vcc_lo
; %bb.128:
	s_or_b32 exec_lo, exec_lo, s0
	s_delay_alu instid0(VALU_DEP_1) | instskip(SKIP_1) | instid1(VALU_DEP_1)
	v_lshlrev_b64 v[13:14], 2, v[13:14]
	s_mov_b32 s0, exec_lo
	v_add_co_u32 v13, vcc_lo, s12, v13
	s_delay_alu instid0(VALU_DEP_2)
	v_add_co_ci_u32_e32 v14, vcc_lo, s13, v14, vcc_lo
	global_store_b32 v[13:14], v2, off
                                        ; implicit-def: $vgpr13_vgpr14
	v_cmpx_ge_u32_e64 v21, v16
	s_xor_b32 s0, exec_lo, s0
; %bb.129:
	v_xor_b32_e32 v13, 0xfffff3ff, v0
	s_delay_alu instid0(VALU_DEP_1) | instskip(SKIP_1) | instid1(VALU_DEP_2)
	v_ashrrev_i32_e32 v14, 31, v13
	v_add_co_u32 v13, vcc_lo, v18, v13
	v_add_co_ci_u32_e32 v14, vcc_lo, v19, v14, vcc_lo
; %bb.130:
	s_and_not1_saveexec_b32 s0, s0
; %bb.131:
	v_add_co_u32 v13, vcc_lo, v15, v21
	v_add_co_ci_u32_e32 v14, vcc_lo, 0, v17, vcc_lo
; %bb.132:
	s_or_b32 exec_lo, exec_lo, s0
	s_mov_b32 s0, -1
.LBB1410_133:
	s_delay_alu instid0(SALU_CYCLE_1)
	s_and_saveexec_b32 s1, s0
	s_cbranch_execz .LBB1410_216
.LBB1410_134:
	s_waitcnt lgkmcnt(1)
	v_lshlrev_b64 v[0:1], 2, v[13:14]
	s_delay_alu instid0(VALU_DEP_1) | instskip(NEXT) | instid1(VALU_DEP_2)
	v_add_co_u32 v0, vcc_lo, s12, v0
	v_add_co_ci_u32_e32 v1, vcc_lo, s13, v1, vcc_lo
	s_waitcnt lgkmcnt(0)
	global_store_b32 v[0:1], v20, off
	s_or_b32 exec_lo, exec_lo, s1
	s_and_b32 s0, s2, s10
	s_delay_alu instid0(SALU_CYCLE_1)
	s_and_saveexec_b32 s1, s0
	s_cbranch_execnz .LBB1410_217
.LBB1410_135:
	s_nop 0
	s_sendmsg sendmsg(MSG_DEALLOC_VGPRS)
	s_endpgm
.LBB1410_136:
                                        ; implicit-def: $vgpr13_vgpr14
	s_cbranch_execz .LBB1410_133
; %bb.137:
	s_mov_b32 s1, exec_lo
	v_cmpx_gt_u32_e64 s11, v0
	s_cbranch_execz .LBB1410_173
; %bb.138:
	s_mov_b32 s3, exec_lo
                                        ; implicit-def: $vgpr13_vgpr14
	v_cmpx_ge_u32_e64 v0, v16
	s_xor_b32 s3, exec_lo, s3
; %bb.139:
	v_not_b32_e32 v13, v0
	s_delay_alu instid0(VALU_DEP_1) | instskip(SKIP_1) | instid1(VALU_DEP_2)
	v_ashrrev_i32_e32 v14, 31, v13
	v_add_co_u32 v13, vcc_lo, v18, v13
	v_add_co_ci_u32_e32 v14, vcc_lo, v19, v14, vcc_lo
; %bb.140:
	s_and_not1_saveexec_b32 s3, s3
; %bb.141:
	v_add_co_u32 v13, vcc_lo, v15, v0
	v_add_co_ci_u32_e32 v14, vcc_lo, 0, v17, vcc_lo
; %bb.142:
	s_or_b32 exec_lo, exec_lo, s3
	s_delay_alu instid0(VALU_DEP_1) | instskip(NEXT) | instid1(VALU_DEP_1)
	v_lshlrev_b64 v[13:14], 2, v[13:14]
	v_add_co_u32 v13, vcc_lo, s12, v13
	s_delay_alu instid0(VALU_DEP_2) | instskip(SKIP_3) | instid1(SALU_CYCLE_1)
	v_add_co_ci_u32_e32 v14, vcc_lo, s13, v14, vcc_lo
	s_waitcnt lgkmcnt(6)
	global_store_b32 v[13:14], v11, off
	s_or_b32 exec_lo, exec_lo, s1
	s_mov_b32 s1, exec_lo
	v_cmpx_gt_u32_e64 s11, v35
	s_cbranch_execnz .LBB1410_174
.LBB1410_143:
	s_or_b32 exec_lo, exec_lo, s1
	s_delay_alu instid0(SALU_CYCLE_1)
	s_mov_b32 s1, exec_lo
	v_cmpx_gt_u32_e64 s11, v31
	s_cbranch_execz .LBB1410_179
.LBB1410_144:
	s_mov_b32 s3, exec_lo
                                        ; implicit-def: $vgpr11_vgpr12
	v_cmpx_ge_u32_e64 v31, v16
	s_xor_b32 s3, exec_lo, s3
	s_cbranch_execz .LBB1410_146
; %bb.145:
	s_waitcnt lgkmcnt(6)
	v_xor_b32_e32 v11, 0xfffffdff, v0
                                        ; implicit-def: $vgpr31
	s_delay_alu instid0(VALU_DEP_1) | instskip(SKIP_1) | instid1(VALU_DEP_2)
	v_ashrrev_i32_e32 v12, 31, v11
	v_add_co_u32 v11, vcc_lo, v18, v11
	v_add_co_ci_u32_e32 v12, vcc_lo, v19, v12, vcc_lo
.LBB1410_146:
	s_and_not1_saveexec_b32 s3, s3
	s_cbranch_execz .LBB1410_148
; %bb.147:
	s_waitcnt lgkmcnt(6)
	v_add_co_u32 v11, vcc_lo, v15, v31
	v_add_co_ci_u32_e32 v12, vcc_lo, 0, v17, vcc_lo
.LBB1410_148:
	s_or_b32 exec_lo, exec_lo, s3
	s_waitcnt lgkmcnt(6)
	s_delay_alu instid0(VALU_DEP_1) | instskip(NEXT) | instid1(VALU_DEP_1)
	v_lshlrev_b64 v[11:12], 2, v[11:12]
	v_add_co_u32 v11, vcc_lo, s12, v11
	s_delay_alu instid0(VALU_DEP_2) | instskip(SKIP_3) | instid1(SALU_CYCLE_1)
	v_add_co_ci_u32_e32 v12, vcc_lo, s13, v12, vcc_lo
	s_waitcnt lgkmcnt(5)
	global_store_b32 v[11:12], v9, off
	s_or_b32 exec_lo, exec_lo, s1
	s_mov_b32 s1, exec_lo
	v_cmpx_gt_u32_e64 s11, v30
	s_cbranch_execnz .LBB1410_180
.LBB1410_149:
	s_or_b32 exec_lo, exec_lo, s1
	s_delay_alu instid0(SALU_CYCLE_1)
	s_mov_b32 s1, exec_lo
	v_cmpx_gt_u32_e64 s11, v29
	s_cbranch_execz .LBB1410_185
.LBB1410_150:
	s_mov_b32 s3, exec_lo
                                        ; implicit-def: $vgpr9_vgpr10
	v_cmpx_ge_u32_e64 v29, v16
	s_xor_b32 s3, exec_lo, s3
	s_cbranch_execz .LBB1410_152
; %bb.151:
	s_waitcnt lgkmcnt(5)
	v_xor_b32_e32 v9, 0xfffffbff, v0
                                        ; implicit-def: $vgpr29
	s_delay_alu instid0(VALU_DEP_1) | instskip(SKIP_1) | instid1(VALU_DEP_2)
	v_ashrrev_i32_e32 v10, 31, v9
	v_add_co_u32 v9, vcc_lo, v18, v9
	v_add_co_ci_u32_e32 v10, vcc_lo, v19, v10, vcc_lo
.LBB1410_152:
	s_and_not1_saveexec_b32 s3, s3
	s_cbranch_execz .LBB1410_154
; %bb.153:
	s_waitcnt lgkmcnt(5)
	v_add_co_u32 v9, vcc_lo, v15, v29
	v_add_co_ci_u32_e32 v10, vcc_lo, 0, v17, vcc_lo
.LBB1410_154:
	s_or_b32 exec_lo, exec_lo, s3
	s_waitcnt lgkmcnt(5)
	s_delay_alu instid0(VALU_DEP_1) | instskip(NEXT) | instid1(VALU_DEP_1)
	v_lshlrev_b64 v[9:10], 2, v[9:10]
	v_add_co_u32 v9, vcc_lo, s12, v9
	s_delay_alu instid0(VALU_DEP_2) | instskip(SKIP_3) | instid1(SALU_CYCLE_1)
	v_add_co_ci_u32_e32 v10, vcc_lo, s13, v10, vcc_lo
	s_waitcnt lgkmcnt(4)
	global_store_b32 v[9:10], v7, off
	s_or_b32 exec_lo, exec_lo, s1
	s_mov_b32 s1, exec_lo
	v_cmpx_gt_u32_e64 s11, v28
	s_cbranch_execnz .LBB1410_186
.LBB1410_155:
	s_or_b32 exec_lo, exec_lo, s1
	s_delay_alu instid0(SALU_CYCLE_1)
	s_mov_b32 s1, exec_lo
	v_cmpx_gt_u32_e64 s11, v27
	s_cbranch_execz .LBB1410_191
.LBB1410_156:
	s_mov_b32 s3, exec_lo
                                        ; implicit-def: $vgpr7_vgpr8
	v_cmpx_ge_u32_e64 v27, v16
	s_xor_b32 s3, exec_lo, s3
	s_cbranch_execz .LBB1410_158
; %bb.157:
	s_waitcnt lgkmcnt(4)
	v_xor_b32_e32 v7, 0xfffff9ff, v0
                                        ; implicit-def: $vgpr27
	s_delay_alu instid0(VALU_DEP_1) | instskip(SKIP_1) | instid1(VALU_DEP_2)
	v_ashrrev_i32_e32 v8, 31, v7
	v_add_co_u32 v7, vcc_lo, v18, v7
	v_add_co_ci_u32_e32 v8, vcc_lo, v19, v8, vcc_lo
.LBB1410_158:
	s_and_not1_saveexec_b32 s3, s3
	s_cbranch_execz .LBB1410_160
; %bb.159:
	s_waitcnt lgkmcnt(4)
	v_add_co_u32 v7, vcc_lo, v15, v27
	v_add_co_ci_u32_e32 v8, vcc_lo, 0, v17, vcc_lo
.LBB1410_160:
	s_or_b32 exec_lo, exec_lo, s3
	s_waitcnt lgkmcnt(4)
	s_delay_alu instid0(VALU_DEP_1) | instskip(NEXT) | instid1(VALU_DEP_1)
	v_lshlrev_b64 v[7:8], 2, v[7:8]
	v_add_co_u32 v7, vcc_lo, s12, v7
	s_delay_alu instid0(VALU_DEP_2) | instskip(SKIP_3) | instid1(SALU_CYCLE_1)
	v_add_co_ci_u32_e32 v8, vcc_lo, s13, v8, vcc_lo
	s_waitcnt lgkmcnt(3)
	global_store_b32 v[7:8], v5, off
	s_or_b32 exec_lo, exec_lo, s1
	s_mov_b32 s1, exec_lo
	v_cmpx_gt_u32_e64 s11, v26
	s_cbranch_execnz .LBB1410_192
.LBB1410_161:
	s_or_b32 exec_lo, exec_lo, s1
	s_delay_alu instid0(SALU_CYCLE_1)
	s_mov_b32 s1, exec_lo
	v_cmpx_gt_u32_e64 s11, v25
	s_cbranch_execz .LBB1410_197
.LBB1410_162:
	s_mov_b32 s3, exec_lo
                                        ; implicit-def: $vgpr5_vgpr6
	v_cmpx_ge_u32_e64 v25, v16
	s_xor_b32 s3, exec_lo, s3
	s_cbranch_execz .LBB1410_164
; %bb.163:
	s_waitcnt lgkmcnt(3)
	v_xor_b32_e32 v5, 0xfffff7ff, v0
                                        ; implicit-def: $vgpr25
	s_delay_alu instid0(VALU_DEP_1) | instskip(SKIP_1) | instid1(VALU_DEP_2)
	v_ashrrev_i32_e32 v6, 31, v5
	v_add_co_u32 v5, vcc_lo, v18, v5
	v_add_co_ci_u32_e32 v6, vcc_lo, v19, v6, vcc_lo
.LBB1410_164:
	s_and_not1_saveexec_b32 s3, s3
	s_cbranch_execz .LBB1410_166
; %bb.165:
	s_waitcnt lgkmcnt(3)
	v_add_co_u32 v5, vcc_lo, v15, v25
	v_add_co_ci_u32_e32 v6, vcc_lo, 0, v17, vcc_lo
.LBB1410_166:
	s_or_b32 exec_lo, exec_lo, s3
	s_waitcnt lgkmcnt(3)
	s_delay_alu instid0(VALU_DEP_1) | instskip(NEXT) | instid1(VALU_DEP_1)
	v_lshlrev_b64 v[5:6], 2, v[5:6]
	v_add_co_u32 v5, vcc_lo, s12, v5
	s_delay_alu instid0(VALU_DEP_2) | instskip(SKIP_3) | instid1(SALU_CYCLE_1)
	v_add_co_ci_u32_e32 v6, vcc_lo, s13, v6, vcc_lo
	s_waitcnt lgkmcnt(2)
	global_store_b32 v[5:6], v3, off
	s_or_b32 exec_lo, exec_lo, s1
	s_mov_b32 s1, exec_lo
	v_cmpx_gt_u32_e64 s11, v24
	s_cbranch_execnz .LBB1410_198
.LBB1410_167:
	s_or_b32 exec_lo, exec_lo, s1
	s_delay_alu instid0(SALU_CYCLE_1)
	s_mov_b32 s1, exec_lo
	v_cmpx_gt_u32_e64 s11, v23
	s_cbranch_execz .LBB1410_203
.LBB1410_168:
	s_mov_b32 s3, exec_lo
                                        ; implicit-def: $vgpr3_vgpr4
	v_cmpx_ge_u32_e64 v23, v16
	s_xor_b32 s3, exec_lo, s3
	s_cbranch_execz .LBB1410_170
; %bb.169:
	s_waitcnt lgkmcnt(2)
	v_xor_b32_e32 v3, 0xfffff5ff, v0
                                        ; implicit-def: $vgpr23
	s_delay_alu instid0(VALU_DEP_1) | instskip(SKIP_1) | instid1(VALU_DEP_2)
	v_ashrrev_i32_e32 v4, 31, v3
	v_add_co_u32 v3, vcc_lo, v18, v3
	v_add_co_ci_u32_e32 v4, vcc_lo, v19, v4, vcc_lo
.LBB1410_170:
	s_and_not1_saveexec_b32 s3, s3
	s_cbranch_execz .LBB1410_172
; %bb.171:
	s_waitcnt lgkmcnt(2)
	v_add_co_u32 v3, vcc_lo, v15, v23
	v_add_co_ci_u32_e32 v4, vcc_lo, 0, v17, vcc_lo
.LBB1410_172:
	s_or_b32 exec_lo, exec_lo, s3
	s_waitcnt lgkmcnt(2)
	s_delay_alu instid0(VALU_DEP_1) | instskip(NEXT) | instid1(VALU_DEP_1)
	v_lshlrev_b64 v[3:4], 2, v[3:4]
	v_add_co_u32 v3, vcc_lo, s12, v3
	s_delay_alu instid0(VALU_DEP_2) | instskip(SKIP_3) | instid1(SALU_CYCLE_1)
	v_add_co_ci_u32_e32 v4, vcc_lo, s13, v4, vcc_lo
	s_waitcnt lgkmcnt(1)
	global_store_b32 v[3:4], v1, off
	s_or_b32 exec_lo, exec_lo, s1
	s_mov_b32 s1, exec_lo
	v_cmpx_gt_u32_e64 s11, v22
	s_cbranch_execz .LBB1410_209
	s_branch .LBB1410_204
.LBB1410_173:
	s_or_b32 exec_lo, exec_lo, s1
	s_delay_alu instid0(SALU_CYCLE_1)
	s_mov_b32 s1, exec_lo
	v_cmpx_gt_u32_e64 s11, v35
	s_cbranch_execz .LBB1410_143
.LBB1410_174:
	s_mov_b32 s3, exec_lo
                                        ; implicit-def: $vgpr13_vgpr14
	v_cmpx_ge_u32_e64 v35, v16
	s_xor_b32 s3, exec_lo, s3
	s_cbranch_execz .LBB1410_176
; %bb.175:
	s_waitcnt lgkmcnt(6)
	v_xor_b32_e32 v11, 0xfffffeff, v0
                                        ; implicit-def: $vgpr35
	s_delay_alu instid0(VALU_DEP_1) | instskip(SKIP_1) | instid1(VALU_DEP_2)
	v_ashrrev_i32_e32 v14, 31, v11
	v_add_co_u32 v13, vcc_lo, v18, v11
	v_add_co_ci_u32_e32 v14, vcc_lo, v19, v14, vcc_lo
.LBB1410_176:
	s_and_not1_saveexec_b32 s3, s3
; %bb.177:
	v_add_co_u32 v13, vcc_lo, v15, v35
	v_add_co_ci_u32_e32 v14, vcc_lo, 0, v17, vcc_lo
; %bb.178:
	s_or_b32 exec_lo, exec_lo, s3
	s_delay_alu instid0(VALU_DEP_1) | instskip(NEXT) | instid1(VALU_DEP_1)
	v_lshlrev_b64 v[13:14], 2, v[13:14]
	v_add_co_u32 v13, vcc_lo, s12, v13
	s_delay_alu instid0(VALU_DEP_2) | instskip(SKIP_3) | instid1(SALU_CYCLE_1)
	v_add_co_ci_u32_e32 v14, vcc_lo, s13, v14, vcc_lo
	s_waitcnt lgkmcnt(6)
	global_store_b32 v[13:14], v12, off
	s_or_b32 exec_lo, exec_lo, s1
	s_mov_b32 s1, exec_lo
	v_cmpx_gt_u32_e64 s11, v31
	s_cbranch_execnz .LBB1410_144
.LBB1410_179:
	s_or_b32 exec_lo, exec_lo, s1
	s_delay_alu instid0(SALU_CYCLE_1)
	s_mov_b32 s1, exec_lo
	v_cmpx_gt_u32_e64 s11, v30
	s_cbranch_execz .LBB1410_149
.LBB1410_180:
	s_mov_b32 s3, exec_lo
                                        ; implicit-def: $vgpr11_vgpr12
	v_cmpx_ge_u32_e64 v30, v16
	s_xor_b32 s3, exec_lo, s3
	s_cbranch_execz .LBB1410_182
; %bb.181:
	s_waitcnt lgkmcnt(5)
	v_xor_b32_e32 v9, 0xfffffcff, v0
                                        ; implicit-def: $vgpr30
	s_delay_alu instid0(VALU_DEP_1) | instskip(SKIP_1) | instid1(VALU_DEP_2)
	v_ashrrev_i32_e32 v12, 31, v9
	v_add_co_u32 v11, vcc_lo, v18, v9
	v_add_co_ci_u32_e32 v12, vcc_lo, v19, v12, vcc_lo
.LBB1410_182:
	s_and_not1_saveexec_b32 s3, s3
	s_cbranch_execz .LBB1410_184
; %bb.183:
	s_waitcnt lgkmcnt(6)
	v_add_co_u32 v11, vcc_lo, v15, v30
	v_add_co_ci_u32_e32 v12, vcc_lo, 0, v17, vcc_lo
.LBB1410_184:
	s_or_b32 exec_lo, exec_lo, s3
	s_waitcnt lgkmcnt(6)
	s_delay_alu instid0(VALU_DEP_1) | instskip(NEXT) | instid1(VALU_DEP_1)
	v_lshlrev_b64 v[11:12], 2, v[11:12]
	v_add_co_u32 v11, vcc_lo, s12, v11
	s_delay_alu instid0(VALU_DEP_2) | instskip(SKIP_3) | instid1(SALU_CYCLE_1)
	v_add_co_ci_u32_e32 v12, vcc_lo, s13, v12, vcc_lo
	s_waitcnt lgkmcnt(5)
	global_store_b32 v[11:12], v10, off
	s_or_b32 exec_lo, exec_lo, s1
	s_mov_b32 s1, exec_lo
	v_cmpx_gt_u32_e64 s11, v29
	s_cbranch_execnz .LBB1410_150
.LBB1410_185:
	s_or_b32 exec_lo, exec_lo, s1
	s_delay_alu instid0(SALU_CYCLE_1)
	s_mov_b32 s1, exec_lo
	v_cmpx_gt_u32_e64 s11, v28
	s_cbranch_execz .LBB1410_155
.LBB1410_186:
	s_mov_b32 s3, exec_lo
                                        ; implicit-def: $vgpr9_vgpr10
	v_cmpx_ge_u32_e64 v28, v16
	s_xor_b32 s3, exec_lo, s3
	s_cbranch_execz .LBB1410_188
; %bb.187:
	s_waitcnt lgkmcnt(4)
	v_xor_b32_e32 v7, 0xfffffaff, v0
                                        ; implicit-def: $vgpr28
	s_delay_alu instid0(VALU_DEP_1) | instskip(SKIP_1) | instid1(VALU_DEP_2)
	v_ashrrev_i32_e32 v10, 31, v7
	v_add_co_u32 v9, vcc_lo, v18, v7
	v_add_co_ci_u32_e32 v10, vcc_lo, v19, v10, vcc_lo
.LBB1410_188:
	s_and_not1_saveexec_b32 s3, s3
	s_cbranch_execz .LBB1410_190
; %bb.189:
	s_waitcnt lgkmcnt(5)
	v_add_co_u32 v9, vcc_lo, v15, v28
	v_add_co_ci_u32_e32 v10, vcc_lo, 0, v17, vcc_lo
.LBB1410_190:
	s_or_b32 exec_lo, exec_lo, s3
	s_waitcnt lgkmcnt(5)
	s_delay_alu instid0(VALU_DEP_1) | instskip(NEXT) | instid1(VALU_DEP_1)
	v_lshlrev_b64 v[9:10], 2, v[9:10]
	v_add_co_u32 v9, vcc_lo, s12, v9
	s_delay_alu instid0(VALU_DEP_2) | instskip(SKIP_3) | instid1(SALU_CYCLE_1)
	v_add_co_ci_u32_e32 v10, vcc_lo, s13, v10, vcc_lo
	s_waitcnt lgkmcnt(4)
	global_store_b32 v[9:10], v8, off
	s_or_b32 exec_lo, exec_lo, s1
	s_mov_b32 s1, exec_lo
	v_cmpx_gt_u32_e64 s11, v27
	s_cbranch_execnz .LBB1410_156
.LBB1410_191:
	s_or_b32 exec_lo, exec_lo, s1
	s_delay_alu instid0(SALU_CYCLE_1)
	s_mov_b32 s1, exec_lo
	v_cmpx_gt_u32_e64 s11, v26
	s_cbranch_execz .LBB1410_161
.LBB1410_192:
	s_mov_b32 s3, exec_lo
                                        ; implicit-def: $vgpr7_vgpr8
	v_cmpx_ge_u32_e64 v26, v16
	s_xor_b32 s3, exec_lo, s3
	s_cbranch_execz .LBB1410_194
; %bb.193:
	s_waitcnt lgkmcnt(3)
	v_xor_b32_e32 v5, 0xfffff8ff, v0
                                        ; implicit-def: $vgpr26
	s_delay_alu instid0(VALU_DEP_1) | instskip(SKIP_1) | instid1(VALU_DEP_2)
	v_ashrrev_i32_e32 v8, 31, v5
	v_add_co_u32 v7, vcc_lo, v18, v5
	v_add_co_ci_u32_e32 v8, vcc_lo, v19, v8, vcc_lo
.LBB1410_194:
	s_and_not1_saveexec_b32 s3, s3
	s_cbranch_execz .LBB1410_196
; %bb.195:
	s_waitcnt lgkmcnt(4)
	v_add_co_u32 v7, vcc_lo, v15, v26
	v_add_co_ci_u32_e32 v8, vcc_lo, 0, v17, vcc_lo
.LBB1410_196:
	s_or_b32 exec_lo, exec_lo, s3
	s_waitcnt lgkmcnt(4)
	s_delay_alu instid0(VALU_DEP_1) | instskip(NEXT) | instid1(VALU_DEP_1)
	v_lshlrev_b64 v[7:8], 2, v[7:8]
	v_add_co_u32 v7, vcc_lo, s12, v7
	s_delay_alu instid0(VALU_DEP_2) | instskip(SKIP_3) | instid1(SALU_CYCLE_1)
	v_add_co_ci_u32_e32 v8, vcc_lo, s13, v8, vcc_lo
	s_waitcnt lgkmcnt(3)
	global_store_b32 v[7:8], v6, off
	s_or_b32 exec_lo, exec_lo, s1
	s_mov_b32 s1, exec_lo
	v_cmpx_gt_u32_e64 s11, v25
	s_cbranch_execnz .LBB1410_162
.LBB1410_197:
	s_or_b32 exec_lo, exec_lo, s1
	s_delay_alu instid0(SALU_CYCLE_1)
	s_mov_b32 s1, exec_lo
	v_cmpx_gt_u32_e64 s11, v24
	s_cbranch_execz .LBB1410_167
.LBB1410_198:
	s_mov_b32 s3, exec_lo
                                        ; implicit-def: $vgpr5_vgpr6
	v_cmpx_ge_u32_e64 v24, v16
	s_xor_b32 s3, exec_lo, s3
	s_cbranch_execz .LBB1410_200
; %bb.199:
	s_waitcnt lgkmcnt(2)
	v_xor_b32_e32 v3, 0xfffff6ff, v0
                                        ; implicit-def: $vgpr24
	s_delay_alu instid0(VALU_DEP_1) | instskip(SKIP_1) | instid1(VALU_DEP_2)
	v_ashrrev_i32_e32 v6, 31, v3
	v_add_co_u32 v5, vcc_lo, v18, v3
	v_add_co_ci_u32_e32 v6, vcc_lo, v19, v6, vcc_lo
.LBB1410_200:
	s_and_not1_saveexec_b32 s3, s3
	s_cbranch_execz .LBB1410_202
; %bb.201:
	s_waitcnt lgkmcnt(3)
	v_add_co_u32 v5, vcc_lo, v15, v24
	v_add_co_ci_u32_e32 v6, vcc_lo, 0, v17, vcc_lo
.LBB1410_202:
	s_or_b32 exec_lo, exec_lo, s3
	s_waitcnt lgkmcnt(3)
	s_delay_alu instid0(VALU_DEP_1) | instskip(NEXT) | instid1(VALU_DEP_1)
	v_lshlrev_b64 v[5:6], 2, v[5:6]
	v_add_co_u32 v5, vcc_lo, s12, v5
	s_delay_alu instid0(VALU_DEP_2) | instskip(SKIP_3) | instid1(SALU_CYCLE_1)
	v_add_co_ci_u32_e32 v6, vcc_lo, s13, v6, vcc_lo
	s_waitcnt lgkmcnt(2)
	global_store_b32 v[5:6], v4, off
	s_or_b32 exec_lo, exec_lo, s1
	s_mov_b32 s1, exec_lo
	v_cmpx_gt_u32_e64 s11, v23
	s_cbranch_execnz .LBB1410_168
.LBB1410_203:
	s_or_b32 exec_lo, exec_lo, s1
	s_delay_alu instid0(SALU_CYCLE_1)
	s_mov_b32 s1, exec_lo
	v_cmpx_gt_u32_e64 s11, v22
	s_cbranch_execz .LBB1410_209
.LBB1410_204:
	s_mov_b32 s3, exec_lo
                                        ; implicit-def: $vgpr3_vgpr4
	v_cmpx_ge_u32_e64 v22, v16
	s_xor_b32 s3, exec_lo, s3
	s_cbranch_execz .LBB1410_206
; %bb.205:
	s_waitcnt lgkmcnt(1)
	v_xor_b32_e32 v1, 0xfffff4ff, v0
                                        ; implicit-def: $vgpr22
	s_delay_alu instid0(VALU_DEP_1) | instskip(SKIP_1) | instid1(VALU_DEP_2)
	v_ashrrev_i32_e32 v4, 31, v1
	v_add_co_u32 v3, vcc_lo, v18, v1
	v_add_co_ci_u32_e32 v4, vcc_lo, v19, v4, vcc_lo
.LBB1410_206:
	s_and_not1_saveexec_b32 s3, s3
	s_cbranch_execz .LBB1410_208
; %bb.207:
	s_waitcnt lgkmcnt(2)
	v_add_co_u32 v3, vcc_lo, v15, v22
	v_add_co_ci_u32_e32 v4, vcc_lo, 0, v17, vcc_lo
.LBB1410_208:
	s_or_b32 exec_lo, exec_lo, s3
	s_waitcnt lgkmcnt(2)
	s_delay_alu instid0(VALU_DEP_1) | instskip(NEXT) | instid1(VALU_DEP_1)
	v_lshlrev_b64 v[3:4], 2, v[3:4]
	v_add_co_u32 v3, vcc_lo, s12, v3
	s_delay_alu instid0(VALU_DEP_2)
	v_add_co_ci_u32_e32 v4, vcc_lo, s13, v4, vcc_lo
	s_waitcnt lgkmcnt(1)
	global_store_b32 v[3:4], v2, off
.LBB1410_209:
	s_or_b32 exec_lo, exec_lo, s1
	s_delay_alu instid0(SALU_CYCLE_1)
	s_mov_b32 s1, exec_lo
                                        ; implicit-def: $vgpr13_vgpr14
	v_cmpx_gt_u32_e64 s11, v21
	s_cbranch_execz .LBB1410_215
; %bb.210:
	s_mov_b32 s3, exec_lo
                                        ; implicit-def: $vgpr13_vgpr14
	v_cmpx_ge_u32_e64 v21, v16
	s_xor_b32 s3, exec_lo, s3
	s_cbranch_execz .LBB1410_212
; %bb.211:
	v_xor_b32_e32 v0, 0xfffff3ff, v0
                                        ; implicit-def: $vgpr21
	s_waitcnt lgkmcnt(1)
	s_delay_alu instid0(VALU_DEP_1) | instskip(SKIP_1) | instid1(VALU_DEP_2)
	v_ashrrev_i32_e32 v1, 31, v0
	v_add_co_u32 v13, vcc_lo, v18, v0
	v_add_co_ci_u32_e32 v14, vcc_lo, v19, v1, vcc_lo
.LBB1410_212:
	s_and_not1_saveexec_b32 s3, s3
; %bb.213:
	v_add_co_u32 v13, vcc_lo, v15, v21
	v_add_co_ci_u32_e32 v14, vcc_lo, 0, v17, vcc_lo
; %bb.214:
	s_or_b32 exec_lo, exec_lo, s3
	s_delay_alu instid0(SALU_CYCLE_1)
	s_or_b32 s0, s0, exec_lo
.LBB1410_215:
	s_or_b32 exec_lo, exec_lo, s1
	s_and_saveexec_b32 s1, s0
	s_cbranch_execnz .LBB1410_134
.LBB1410_216:
	s_or_b32 exec_lo, exec_lo, s1
	s_and_b32 s0, s2, s10
	s_delay_alu instid0(SALU_CYCLE_1)
	s_and_saveexec_b32 s1, s0
	s_cbranch_execz .LBB1410_135
.LBB1410_217:
	v_add_co_u32 v0, vcc_lo, v15, v16
	s_waitcnt lgkmcnt(1)
	v_mov_b32_e32 v2, 0
	v_add_co_ci_u32_e32 v1, vcc_lo, 0, v17, vcc_lo
	global_store_b64 v2, v[0:1], s[8:9]
	s_nop 0
	s_sendmsg sendmsg(MSG_DEALLOC_VGPRS)
	s_endpgm
	.section	.rodata,"a",@progbits
	.p2align	6, 0x0
	.amdhsa_kernel _ZN7rocprim17ROCPRIM_400000_NS6detail17trampoline_kernelINS0_13select_configILj256ELj13ELNS0_17block_load_methodE3ELS4_3ELS4_3ELNS0_20block_scan_algorithmE0ELj4294967295EEENS1_25partition_config_selectorILNS1_17partition_subalgoE3EjNS0_10empty_typeEbEEZZNS1_14partition_implILS8_3ELb0ES6_jNS0_17counting_iteratorIjlEEPS9_SE_NS0_5tupleIJPjSE_EEENSF_IJSE_SE_EEES9_SG_JZNS1_25segmented_radix_sort_implINS0_14default_configELb0EPKfPfPKlPlN2at6native12_GLOBAL__N_18offset_tEEE10hipError_tPvRmT1_PNSt15iterator_traitsISY_E10value_typeET2_T3_PNSZ_IS14_E10value_typeET4_jRbjT5_S1A_jjP12ihipStream_tbEUljE_EEESV_SW_SX_S14_S18_S1A_T6_T7_T9_mT8_S1C_bDpT10_ENKUlT_T0_E_clISt17integral_constantIbLb1EES1P_EEDaS1K_S1L_EUlS1K_E_NS1_11comp_targetILNS1_3genE9ELNS1_11target_archE1100ELNS1_3gpuE3ELNS1_3repE0EEENS1_30default_config_static_selectorELNS0_4arch9wavefront6targetE0EEEvSY_
		.amdhsa_group_segment_fixed_size 13324
		.amdhsa_private_segment_fixed_size 0
		.amdhsa_kernarg_size 152
		.amdhsa_user_sgpr_count 15
		.amdhsa_user_sgpr_dispatch_ptr 0
		.amdhsa_user_sgpr_queue_ptr 0
		.amdhsa_user_sgpr_kernarg_segment_ptr 1
		.amdhsa_user_sgpr_dispatch_id 0
		.amdhsa_user_sgpr_private_segment_size 0
		.amdhsa_wavefront_size32 1
		.amdhsa_uses_dynamic_stack 0
		.amdhsa_enable_private_segment 0
		.amdhsa_system_sgpr_workgroup_id_x 1
		.amdhsa_system_sgpr_workgroup_id_y 0
		.amdhsa_system_sgpr_workgroup_id_z 0
		.amdhsa_system_sgpr_workgroup_info 0
		.amdhsa_system_vgpr_workitem_id 0
		.amdhsa_next_free_vgpr 60
		.amdhsa_next_free_sgpr 26
		.amdhsa_reserve_vcc 1
		.amdhsa_float_round_mode_32 0
		.amdhsa_float_round_mode_16_64 0
		.amdhsa_float_denorm_mode_32 3
		.amdhsa_float_denorm_mode_16_64 3
		.amdhsa_dx10_clamp 1
		.amdhsa_ieee_mode 1
		.amdhsa_fp16_overflow 0
		.amdhsa_workgroup_processor_mode 1
		.amdhsa_memory_ordered 1
		.amdhsa_forward_progress 0
		.amdhsa_shared_vgpr_count 0
		.amdhsa_exception_fp_ieee_invalid_op 0
		.amdhsa_exception_fp_denorm_src 0
		.amdhsa_exception_fp_ieee_div_zero 0
		.amdhsa_exception_fp_ieee_overflow 0
		.amdhsa_exception_fp_ieee_underflow 0
		.amdhsa_exception_fp_ieee_inexact 0
		.amdhsa_exception_int_div_zero 0
	.end_amdhsa_kernel
	.section	.text._ZN7rocprim17ROCPRIM_400000_NS6detail17trampoline_kernelINS0_13select_configILj256ELj13ELNS0_17block_load_methodE3ELS4_3ELS4_3ELNS0_20block_scan_algorithmE0ELj4294967295EEENS1_25partition_config_selectorILNS1_17partition_subalgoE3EjNS0_10empty_typeEbEEZZNS1_14partition_implILS8_3ELb0ES6_jNS0_17counting_iteratorIjlEEPS9_SE_NS0_5tupleIJPjSE_EEENSF_IJSE_SE_EEES9_SG_JZNS1_25segmented_radix_sort_implINS0_14default_configELb0EPKfPfPKlPlN2at6native12_GLOBAL__N_18offset_tEEE10hipError_tPvRmT1_PNSt15iterator_traitsISY_E10value_typeET2_T3_PNSZ_IS14_E10value_typeET4_jRbjT5_S1A_jjP12ihipStream_tbEUljE_EEESV_SW_SX_S14_S18_S1A_T6_T7_T9_mT8_S1C_bDpT10_ENKUlT_T0_E_clISt17integral_constantIbLb1EES1P_EEDaS1K_S1L_EUlS1K_E_NS1_11comp_targetILNS1_3genE9ELNS1_11target_archE1100ELNS1_3gpuE3ELNS1_3repE0EEENS1_30default_config_static_selectorELNS0_4arch9wavefront6targetE0EEEvSY_,"axG",@progbits,_ZN7rocprim17ROCPRIM_400000_NS6detail17trampoline_kernelINS0_13select_configILj256ELj13ELNS0_17block_load_methodE3ELS4_3ELS4_3ELNS0_20block_scan_algorithmE0ELj4294967295EEENS1_25partition_config_selectorILNS1_17partition_subalgoE3EjNS0_10empty_typeEbEEZZNS1_14partition_implILS8_3ELb0ES6_jNS0_17counting_iteratorIjlEEPS9_SE_NS0_5tupleIJPjSE_EEENSF_IJSE_SE_EEES9_SG_JZNS1_25segmented_radix_sort_implINS0_14default_configELb0EPKfPfPKlPlN2at6native12_GLOBAL__N_18offset_tEEE10hipError_tPvRmT1_PNSt15iterator_traitsISY_E10value_typeET2_T3_PNSZ_IS14_E10value_typeET4_jRbjT5_S1A_jjP12ihipStream_tbEUljE_EEESV_SW_SX_S14_S18_S1A_T6_T7_T9_mT8_S1C_bDpT10_ENKUlT_T0_E_clISt17integral_constantIbLb1EES1P_EEDaS1K_S1L_EUlS1K_E_NS1_11comp_targetILNS1_3genE9ELNS1_11target_archE1100ELNS1_3gpuE3ELNS1_3repE0EEENS1_30default_config_static_selectorELNS0_4arch9wavefront6targetE0EEEvSY_,comdat
.Lfunc_end1410:
	.size	_ZN7rocprim17ROCPRIM_400000_NS6detail17trampoline_kernelINS0_13select_configILj256ELj13ELNS0_17block_load_methodE3ELS4_3ELS4_3ELNS0_20block_scan_algorithmE0ELj4294967295EEENS1_25partition_config_selectorILNS1_17partition_subalgoE3EjNS0_10empty_typeEbEEZZNS1_14partition_implILS8_3ELb0ES6_jNS0_17counting_iteratorIjlEEPS9_SE_NS0_5tupleIJPjSE_EEENSF_IJSE_SE_EEES9_SG_JZNS1_25segmented_radix_sort_implINS0_14default_configELb0EPKfPfPKlPlN2at6native12_GLOBAL__N_18offset_tEEE10hipError_tPvRmT1_PNSt15iterator_traitsISY_E10value_typeET2_T3_PNSZ_IS14_E10value_typeET4_jRbjT5_S1A_jjP12ihipStream_tbEUljE_EEESV_SW_SX_S14_S18_S1A_T6_T7_T9_mT8_S1C_bDpT10_ENKUlT_T0_E_clISt17integral_constantIbLb1EES1P_EEDaS1K_S1L_EUlS1K_E_NS1_11comp_targetILNS1_3genE9ELNS1_11target_archE1100ELNS1_3gpuE3ELNS1_3repE0EEENS1_30default_config_static_selectorELNS0_4arch9wavefront6targetE0EEEvSY_, .Lfunc_end1410-_ZN7rocprim17ROCPRIM_400000_NS6detail17trampoline_kernelINS0_13select_configILj256ELj13ELNS0_17block_load_methodE3ELS4_3ELS4_3ELNS0_20block_scan_algorithmE0ELj4294967295EEENS1_25partition_config_selectorILNS1_17partition_subalgoE3EjNS0_10empty_typeEbEEZZNS1_14partition_implILS8_3ELb0ES6_jNS0_17counting_iteratorIjlEEPS9_SE_NS0_5tupleIJPjSE_EEENSF_IJSE_SE_EEES9_SG_JZNS1_25segmented_radix_sort_implINS0_14default_configELb0EPKfPfPKlPlN2at6native12_GLOBAL__N_18offset_tEEE10hipError_tPvRmT1_PNSt15iterator_traitsISY_E10value_typeET2_T3_PNSZ_IS14_E10value_typeET4_jRbjT5_S1A_jjP12ihipStream_tbEUljE_EEESV_SW_SX_S14_S18_S1A_T6_T7_T9_mT8_S1C_bDpT10_ENKUlT_T0_E_clISt17integral_constantIbLb1EES1P_EEDaS1K_S1L_EUlS1K_E_NS1_11comp_targetILNS1_3genE9ELNS1_11target_archE1100ELNS1_3gpuE3ELNS1_3repE0EEENS1_30default_config_static_selectorELNS0_4arch9wavefront6targetE0EEEvSY_
                                        ; -- End function
	.section	.AMDGPU.csdata,"",@progbits
; Kernel info:
; codeLenInByte = 9140
; NumSgprs: 28
; NumVgprs: 60
; ScratchSize: 0
; MemoryBound: 0
; FloatMode: 240
; IeeeMode: 1
; LDSByteSize: 13324 bytes/workgroup (compile time only)
; SGPRBlocks: 3
; VGPRBlocks: 7
; NumSGPRsForWavesPerEU: 28
; NumVGPRsForWavesPerEU: 60
; Occupancy: 16
; WaveLimiterHint : 0
; COMPUTE_PGM_RSRC2:SCRATCH_EN: 0
; COMPUTE_PGM_RSRC2:USER_SGPR: 15
; COMPUTE_PGM_RSRC2:TRAP_HANDLER: 0
; COMPUTE_PGM_RSRC2:TGID_X_EN: 1
; COMPUTE_PGM_RSRC2:TGID_Y_EN: 0
; COMPUTE_PGM_RSRC2:TGID_Z_EN: 0
; COMPUTE_PGM_RSRC2:TIDIG_COMP_CNT: 0
	.section	.text._ZN7rocprim17ROCPRIM_400000_NS6detail17trampoline_kernelINS0_13select_configILj256ELj13ELNS0_17block_load_methodE3ELS4_3ELS4_3ELNS0_20block_scan_algorithmE0ELj4294967295EEENS1_25partition_config_selectorILNS1_17partition_subalgoE3EjNS0_10empty_typeEbEEZZNS1_14partition_implILS8_3ELb0ES6_jNS0_17counting_iteratorIjlEEPS9_SE_NS0_5tupleIJPjSE_EEENSF_IJSE_SE_EEES9_SG_JZNS1_25segmented_radix_sort_implINS0_14default_configELb0EPKfPfPKlPlN2at6native12_GLOBAL__N_18offset_tEEE10hipError_tPvRmT1_PNSt15iterator_traitsISY_E10value_typeET2_T3_PNSZ_IS14_E10value_typeET4_jRbjT5_S1A_jjP12ihipStream_tbEUljE_EEESV_SW_SX_S14_S18_S1A_T6_T7_T9_mT8_S1C_bDpT10_ENKUlT_T0_E_clISt17integral_constantIbLb1EES1P_EEDaS1K_S1L_EUlS1K_E_NS1_11comp_targetILNS1_3genE8ELNS1_11target_archE1030ELNS1_3gpuE2ELNS1_3repE0EEENS1_30default_config_static_selectorELNS0_4arch9wavefront6targetE0EEEvSY_,"axG",@progbits,_ZN7rocprim17ROCPRIM_400000_NS6detail17trampoline_kernelINS0_13select_configILj256ELj13ELNS0_17block_load_methodE3ELS4_3ELS4_3ELNS0_20block_scan_algorithmE0ELj4294967295EEENS1_25partition_config_selectorILNS1_17partition_subalgoE3EjNS0_10empty_typeEbEEZZNS1_14partition_implILS8_3ELb0ES6_jNS0_17counting_iteratorIjlEEPS9_SE_NS0_5tupleIJPjSE_EEENSF_IJSE_SE_EEES9_SG_JZNS1_25segmented_radix_sort_implINS0_14default_configELb0EPKfPfPKlPlN2at6native12_GLOBAL__N_18offset_tEEE10hipError_tPvRmT1_PNSt15iterator_traitsISY_E10value_typeET2_T3_PNSZ_IS14_E10value_typeET4_jRbjT5_S1A_jjP12ihipStream_tbEUljE_EEESV_SW_SX_S14_S18_S1A_T6_T7_T9_mT8_S1C_bDpT10_ENKUlT_T0_E_clISt17integral_constantIbLb1EES1P_EEDaS1K_S1L_EUlS1K_E_NS1_11comp_targetILNS1_3genE8ELNS1_11target_archE1030ELNS1_3gpuE2ELNS1_3repE0EEENS1_30default_config_static_selectorELNS0_4arch9wavefront6targetE0EEEvSY_,comdat
	.globl	_ZN7rocprim17ROCPRIM_400000_NS6detail17trampoline_kernelINS0_13select_configILj256ELj13ELNS0_17block_load_methodE3ELS4_3ELS4_3ELNS0_20block_scan_algorithmE0ELj4294967295EEENS1_25partition_config_selectorILNS1_17partition_subalgoE3EjNS0_10empty_typeEbEEZZNS1_14partition_implILS8_3ELb0ES6_jNS0_17counting_iteratorIjlEEPS9_SE_NS0_5tupleIJPjSE_EEENSF_IJSE_SE_EEES9_SG_JZNS1_25segmented_radix_sort_implINS0_14default_configELb0EPKfPfPKlPlN2at6native12_GLOBAL__N_18offset_tEEE10hipError_tPvRmT1_PNSt15iterator_traitsISY_E10value_typeET2_T3_PNSZ_IS14_E10value_typeET4_jRbjT5_S1A_jjP12ihipStream_tbEUljE_EEESV_SW_SX_S14_S18_S1A_T6_T7_T9_mT8_S1C_bDpT10_ENKUlT_T0_E_clISt17integral_constantIbLb1EES1P_EEDaS1K_S1L_EUlS1K_E_NS1_11comp_targetILNS1_3genE8ELNS1_11target_archE1030ELNS1_3gpuE2ELNS1_3repE0EEENS1_30default_config_static_selectorELNS0_4arch9wavefront6targetE0EEEvSY_ ; -- Begin function _ZN7rocprim17ROCPRIM_400000_NS6detail17trampoline_kernelINS0_13select_configILj256ELj13ELNS0_17block_load_methodE3ELS4_3ELS4_3ELNS0_20block_scan_algorithmE0ELj4294967295EEENS1_25partition_config_selectorILNS1_17partition_subalgoE3EjNS0_10empty_typeEbEEZZNS1_14partition_implILS8_3ELb0ES6_jNS0_17counting_iteratorIjlEEPS9_SE_NS0_5tupleIJPjSE_EEENSF_IJSE_SE_EEES9_SG_JZNS1_25segmented_radix_sort_implINS0_14default_configELb0EPKfPfPKlPlN2at6native12_GLOBAL__N_18offset_tEEE10hipError_tPvRmT1_PNSt15iterator_traitsISY_E10value_typeET2_T3_PNSZ_IS14_E10value_typeET4_jRbjT5_S1A_jjP12ihipStream_tbEUljE_EEESV_SW_SX_S14_S18_S1A_T6_T7_T9_mT8_S1C_bDpT10_ENKUlT_T0_E_clISt17integral_constantIbLb1EES1P_EEDaS1K_S1L_EUlS1K_E_NS1_11comp_targetILNS1_3genE8ELNS1_11target_archE1030ELNS1_3gpuE2ELNS1_3repE0EEENS1_30default_config_static_selectorELNS0_4arch9wavefront6targetE0EEEvSY_
	.p2align	8
	.type	_ZN7rocprim17ROCPRIM_400000_NS6detail17trampoline_kernelINS0_13select_configILj256ELj13ELNS0_17block_load_methodE3ELS4_3ELS4_3ELNS0_20block_scan_algorithmE0ELj4294967295EEENS1_25partition_config_selectorILNS1_17partition_subalgoE3EjNS0_10empty_typeEbEEZZNS1_14partition_implILS8_3ELb0ES6_jNS0_17counting_iteratorIjlEEPS9_SE_NS0_5tupleIJPjSE_EEENSF_IJSE_SE_EEES9_SG_JZNS1_25segmented_radix_sort_implINS0_14default_configELb0EPKfPfPKlPlN2at6native12_GLOBAL__N_18offset_tEEE10hipError_tPvRmT1_PNSt15iterator_traitsISY_E10value_typeET2_T3_PNSZ_IS14_E10value_typeET4_jRbjT5_S1A_jjP12ihipStream_tbEUljE_EEESV_SW_SX_S14_S18_S1A_T6_T7_T9_mT8_S1C_bDpT10_ENKUlT_T0_E_clISt17integral_constantIbLb1EES1P_EEDaS1K_S1L_EUlS1K_E_NS1_11comp_targetILNS1_3genE8ELNS1_11target_archE1030ELNS1_3gpuE2ELNS1_3repE0EEENS1_30default_config_static_selectorELNS0_4arch9wavefront6targetE0EEEvSY_,@function
_ZN7rocprim17ROCPRIM_400000_NS6detail17trampoline_kernelINS0_13select_configILj256ELj13ELNS0_17block_load_methodE3ELS4_3ELS4_3ELNS0_20block_scan_algorithmE0ELj4294967295EEENS1_25partition_config_selectorILNS1_17partition_subalgoE3EjNS0_10empty_typeEbEEZZNS1_14partition_implILS8_3ELb0ES6_jNS0_17counting_iteratorIjlEEPS9_SE_NS0_5tupleIJPjSE_EEENSF_IJSE_SE_EEES9_SG_JZNS1_25segmented_radix_sort_implINS0_14default_configELb0EPKfPfPKlPlN2at6native12_GLOBAL__N_18offset_tEEE10hipError_tPvRmT1_PNSt15iterator_traitsISY_E10value_typeET2_T3_PNSZ_IS14_E10value_typeET4_jRbjT5_S1A_jjP12ihipStream_tbEUljE_EEESV_SW_SX_S14_S18_S1A_T6_T7_T9_mT8_S1C_bDpT10_ENKUlT_T0_E_clISt17integral_constantIbLb1EES1P_EEDaS1K_S1L_EUlS1K_E_NS1_11comp_targetILNS1_3genE8ELNS1_11target_archE1030ELNS1_3gpuE2ELNS1_3repE0EEENS1_30default_config_static_selectorELNS0_4arch9wavefront6targetE0EEEvSY_: ; @_ZN7rocprim17ROCPRIM_400000_NS6detail17trampoline_kernelINS0_13select_configILj256ELj13ELNS0_17block_load_methodE3ELS4_3ELS4_3ELNS0_20block_scan_algorithmE0ELj4294967295EEENS1_25partition_config_selectorILNS1_17partition_subalgoE3EjNS0_10empty_typeEbEEZZNS1_14partition_implILS8_3ELb0ES6_jNS0_17counting_iteratorIjlEEPS9_SE_NS0_5tupleIJPjSE_EEENSF_IJSE_SE_EEES9_SG_JZNS1_25segmented_radix_sort_implINS0_14default_configELb0EPKfPfPKlPlN2at6native12_GLOBAL__N_18offset_tEEE10hipError_tPvRmT1_PNSt15iterator_traitsISY_E10value_typeET2_T3_PNSZ_IS14_E10value_typeET4_jRbjT5_S1A_jjP12ihipStream_tbEUljE_EEESV_SW_SX_S14_S18_S1A_T6_T7_T9_mT8_S1C_bDpT10_ENKUlT_T0_E_clISt17integral_constantIbLb1EES1P_EEDaS1K_S1L_EUlS1K_E_NS1_11comp_targetILNS1_3genE8ELNS1_11target_archE1030ELNS1_3gpuE2ELNS1_3repE0EEENS1_30default_config_static_selectorELNS0_4arch9wavefront6targetE0EEEvSY_
; %bb.0:
	.section	.rodata,"a",@progbits
	.p2align	6, 0x0
	.amdhsa_kernel _ZN7rocprim17ROCPRIM_400000_NS6detail17trampoline_kernelINS0_13select_configILj256ELj13ELNS0_17block_load_methodE3ELS4_3ELS4_3ELNS0_20block_scan_algorithmE0ELj4294967295EEENS1_25partition_config_selectorILNS1_17partition_subalgoE3EjNS0_10empty_typeEbEEZZNS1_14partition_implILS8_3ELb0ES6_jNS0_17counting_iteratorIjlEEPS9_SE_NS0_5tupleIJPjSE_EEENSF_IJSE_SE_EEES9_SG_JZNS1_25segmented_radix_sort_implINS0_14default_configELb0EPKfPfPKlPlN2at6native12_GLOBAL__N_18offset_tEEE10hipError_tPvRmT1_PNSt15iterator_traitsISY_E10value_typeET2_T3_PNSZ_IS14_E10value_typeET4_jRbjT5_S1A_jjP12ihipStream_tbEUljE_EEESV_SW_SX_S14_S18_S1A_T6_T7_T9_mT8_S1C_bDpT10_ENKUlT_T0_E_clISt17integral_constantIbLb1EES1P_EEDaS1K_S1L_EUlS1K_E_NS1_11comp_targetILNS1_3genE8ELNS1_11target_archE1030ELNS1_3gpuE2ELNS1_3repE0EEENS1_30default_config_static_selectorELNS0_4arch9wavefront6targetE0EEEvSY_
		.amdhsa_group_segment_fixed_size 0
		.amdhsa_private_segment_fixed_size 0
		.amdhsa_kernarg_size 152
		.amdhsa_user_sgpr_count 15
		.amdhsa_user_sgpr_dispatch_ptr 0
		.amdhsa_user_sgpr_queue_ptr 0
		.amdhsa_user_sgpr_kernarg_segment_ptr 1
		.amdhsa_user_sgpr_dispatch_id 0
		.amdhsa_user_sgpr_private_segment_size 0
		.amdhsa_wavefront_size32 1
		.amdhsa_uses_dynamic_stack 0
		.amdhsa_enable_private_segment 0
		.amdhsa_system_sgpr_workgroup_id_x 1
		.amdhsa_system_sgpr_workgroup_id_y 0
		.amdhsa_system_sgpr_workgroup_id_z 0
		.amdhsa_system_sgpr_workgroup_info 0
		.amdhsa_system_vgpr_workitem_id 0
		.amdhsa_next_free_vgpr 1
		.amdhsa_next_free_sgpr 1
		.amdhsa_reserve_vcc 0
		.amdhsa_float_round_mode_32 0
		.amdhsa_float_round_mode_16_64 0
		.amdhsa_float_denorm_mode_32 3
		.amdhsa_float_denorm_mode_16_64 3
		.amdhsa_dx10_clamp 1
		.amdhsa_ieee_mode 1
		.amdhsa_fp16_overflow 0
		.amdhsa_workgroup_processor_mode 1
		.amdhsa_memory_ordered 1
		.amdhsa_forward_progress 0
		.amdhsa_shared_vgpr_count 0
		.amdhsa_exception_fp_ieee_invalid_op 0
		.amdhsa_exception_fp_denorm_src 0
		.amdhsa_exception_fp_ieee_div_zero 0
		.amdhsa_exception_fp_ieee_overflow 0
		.amdhsa_exception_fp_ieee_underflow 0
		.amdhsa_exception_fp_ieee_inexact 0
		.amdhsa_exception_int_div_zero 0
	.end_amdhsa_kernel
	.section	.text._ZN7rocprim17ROCPRIM_400000_NS6detail17trampoline_kernelINS0_13select_configILj256ELj13ELNS0_17block_load_methodE3ELS4_3ELS4_3ELNS0_20block_scan_algorithmE0ELj4294967295EEENS1_25partition_config_selectorILNS1_17partition_subalgoE3EjNS0_10empty_typeEbEEZZNS1_14partition_implILS8_3ELb0ES6_jNS0_17counting_iteratorIjlEEPS9_SE_NS0_5tupleIJPjSE_EEENSF_IJSE_SE_EEES9_SG_JZNS1_25segmented_radix_sort_implINS0_14default_configELb0EPKfPfPKlPlN2at6native12_GLOBAL__N_18offset_tEEE10hipError_tPvRmT1_PNSt15iterator_traitsISY_E10value_typeET2_T3_PNSZ_IS14_E10value_typeET4_jRbjT5_S1A_jjP12ihipStream_tbEUljE_EEESV_SW_SX_S14_S18_S1A_T6_T7_T9_mT8_S1C_bDpT10_ENKUlT_T0_E_clISt17integral_constantIbLb1EES1P_EEDaS1K_S1L_EUlS1K_E_NS1_11comp_targetILNS1_3genE8ELNS1_11target_archE1030ELNS1_3gpuE2ELNS1_3repE0EEENS1_30default_config_static_selectorELNS0_4arch9wavefront6targetE0EEEvSY_,"axG",@progbits,_ZN7rocprim17ROCPRIM_400000_NS6detail17trampoline_kernelINS0_13select_configILj256ELj13ELNS0_17block_load_methodE3ELS4_3ELS4_3ELNS0_20block_scan_algorithmE0ELj4294967295EEENS1_25partition_config_selectorILNS1_17partition_subalgoE3EjNS0_10empty_typeEbEEZZNS1_14partition_implILS8_3ELb0ES6_jNS0_17counting_iteratorIjlEEPS9_SE_NS0_5tupleIJPjSE_EEENSF_IJSE_SE_EEES9_SG_JZNS1_25segmented_radix_sort_implINS0_14default_configELb0EPKfPfPKlPlN2at6native12_GLOBAL__N_18offset_tEEE10hipError_tPvRmT1_PNSt15iterator_traitsISY_E10value_typeET2_T3_PNSZ_IS14_E10value_typeET4_jRbjT5_S1A_jjP12ihipStream_tbEUljE_EEESV_SW_SX_S14_S18_S1A_T6_T7_T9_mT8_S1C_bDpT10_ENKUlT_T0_E_clISt17integral_constantIbLb1EES1P_EEDaS1K_S1L_EUlS1K_E_NS1_11comp_targetILNS1_3genE8ELNS1_11target_archE1030ELNS1_3gpuE2ELNS1_3repE0EEENS1_30default_config_static_selectorELNS0_4arch9wavefront6targetE0EEEvSY_,comdat
.Lfunc_end1411:
	.size	_ZN7rocprim17ROCPRIM_400000_NS6detail17trampoline_kernelINS0_13select_configILj256ELj13ELNS0_17block_load_methodE3ELS4_3ELS4_3ELNS0_20block_scan_algorithmE0ELj4294967295EEENS1_25partition_config_selectorILNS1_17partition_subalgoE3EjNS0_10empty_typeEbEEZZNS1_14partition_implILS8_3ELb0ES6_jNS0_17counting_iteratorIjlEEPS9_SE_NS0_5tupleIJPjSE_EEENSF_IJSE_SE_EEES9_SG_JZNS1_25segmented_radix_sort_implINS0_14default_configELb0EPKfPfPKlPlN2at6native12_GLOBAL__N_18offset_tEEE10hipError_tPvRmT1_PNSt15iterator_traitsISY_E10value_typeET2_T3_PNSZ_IS14_E10value_typeET4_jRbjT5_S1A_jjP12ihipStream_tbEUljE_EEESV_SW_SX_S14_S18_S1A_T6_T7_T9_mT8_S1C_bDpT10_ENKUlT_T0_E_clISt17integral_constantIbLb1EES1P_EEDaS1K_S1L_EUlS1K_E_NS1_11comp_targetILNS1_3genE8ELNS1_11target_archE1030ELNS1_3gpuE2ELNS1_3repE0EEENS1_30default_config_static_selectorELNS0_4arch9wavefront6targetE0EEEvSY_, .Lfunc_end1411-_ZN7rocprim17ROCPRIM_400000_NS6detail17trampoline_kernelINS0_13select_configILj256ELj13ELNS0_17block_load_methodE3ELS4_3ELS4_3ELNS0_20block_scan_algorithmE0ELj4294967295EEENS1_25partition_config_selectorILNS1_17partition_subalgoE3EjNS0_10empty_typeEbEEZZNS1_14partition_implILS8_3ELb0ES6_jNS0_17counting_iteratorIjlEEPS9_SE_NS0_5tupleIJPjSE_EEENSF_IJSE_SE_EEES9_SG_JZNS1_25segmented_radix_sort_implINS0_14default_configELb0EPKfPfPKlPlN2at6native12_GLOBAL__N_18offset_tEEE10hipError_tPvRmT1_PNSt15iterator_traitsISY_E10value_typeET2_T3_PNSZ_IS14_E10value_typeET4_jRbjT5_S1A_jjP12ihipStream_tbEUljE_EEESV_SW_SX_S14_S18_S1A_T6_T7_T9_mT8_S1C_bDpT10_ENKUlT_T0_E_clISt17integral_constantIbLb1EES1P_EEDaS1K_S1L_EUlS1K_E_NS1_11comp_targetILNS1_3genE8ELNS1_11target_archE1030ELNS1_3gpuE2ELNS1_3repE0EEENS1_30default_config_static_selectorELNS0_4arch9wavefront6targetE0EEEvSY_
                                        ; -- End function
	.section	.AMDGPU.csdata,"",@progbits
; Kernel info:
; codeLenInByte = 0
; NumSgprs: 0
; NumVgprs: 0
; ScratchSize: 0
; MemoryBound: 0
; FloatMode: 240
; IeeeMode: 1
; LDSByteSize: 0 bytes/workgroup (compile time only)
; SGPRBlocks: 0
; VGPRBlocks: 0
; NumSGPRsForWavesPerEU: 1
; NumVGPRsForWavesPerEU: 1
; Occupancy: 16
; WaveLimiterHint : 0
; COMPUTE_PGM_RSRC2:SCRATCH_EN: 0
; COMPUTE_PGM_RSRC2:USER_SGPR: 15
; COMPUTE_PGM_RSRC2:TRAP_HANDLER: 0
; COMPUTE_PGM_RSRC2:TGID_X_EN: 1
; COMPUTE_PGM_RSRC2:TGID_Y_EN: 0
; COMPUTE_PGM_RSRC2:TGID_Z_EN: 0
; COMPUTE_PGM_RSRC2:TIDIG_COMP_CNT: 0
	.section	.text._ZN7rocprim17ROCPRIM_400000_NS6detail17trampoline_kernelINS0_13select_configILj256ELj13ELNS0_17block_load_methodE3ELS4_3ELS4_3ELNS0_20block_scan_algorithmE0ELj4294967295EEENS1_25partition_config_selectorILNS1_17partition_subalgoE3EjNS0_10empty_typeEbEEZZNS1_14partition_implILS8_3ELb0ES6_jNS0_17counting_iteratorIjlEEPS9_SE_NS0_5tupleIJPjSE_EEENSF_IJSE_SE_EEES9_SG_JZNS1_25segmented_radix_sort_implINS0_14default_configELb0EPKfPfPKlPlN2at6native12_GLOBAL__N_18offset_tEEE10hipError_tPvRmT1_PNSt15iterator_traitsISY_E10value_typeET2_T3_PNSZ_IS14_E10value_typeET4_jRbjT5_S1A_jjP12ihipStream_tbEUljE_EEESV_SW_SX_S14_S18_S1A_T6_T7_T9_mT8_S1C_bDpT10_ENKUlT_T0_E_clISt17integral_constantIbLb1EES1O_IbLb0EEEEDaS1K_S1L_EUlS1K_E_NS1_11comp_targetILNS1_3genE0ELNS1_11target_archE4294967295ELNS1_3gpuE0ELNS1_3repE0EEENS1_30default_config_static_selectorELNS0_4arch9wavefront6targetE0EEEvSY_,"axG",@progbits,_ZN7rocprim17ROCPRIM_400000_NS6detail17trampoline_kernelINS0_13select_configILj256ELj13ELNS0_17block_load_methodE3ELS4_3ELS4_3ELNS0_20block_scan_algorithmE0ELj4294967295EEENS1_25partition_config_selectorILNS1_17partition_subalgoE3EjNS0_10empty_typeEbEEZZNS1_14partition_implILS8_3ELb0ES6_jNS0_17counting_iteratorIjlEEPS9_SE_NS0_5tupleIJPjSE_EEENSF_IJSE_SE_EEES9_SG_JZNS1_25segmented_radix_sort_implINS0_14default_configELb0EPKfPfPKlPlN2at6native12_GLOBAL__N_18offset_tEEE10hipError_tPvRmT1_PNSt15iterator_traitsISY_E10value_typeET2_T3_PNSZ_IS14_E10value_typeET4_jRbjT5_S1A_jjP12ihipStream_tbEUljE_EEESV_SW_SX_S14_S18_S1A_T6_T7_T9_mT8_S1C_bDpT10_ENKUlT_T0_E_clISt17integral_constantIbLb1EES1O_IbLb0EEEEDaS1K_S1L_EUlS1K_E_NS1_11comp_targetILNS1_3genE0ELNS1_11target_archE4294967295ELNS1_3gpuE0ELNS1_3repE0EEENS1_30default_config_static_selectorELNS0_4arch9wavefront6targetE0EEEvSY_,comdat
	.globl	_ZN7rocprim17ROCPRIM_400000_NS6detail17trampoline_kernelINS0_13select_configILj256ELj13ELNS0_17block_load_methodE3ELS4_3ELS4_3ELNS0_20block_scan_algorithmE0ELj4294967295EEENS1_25partition_config_selectorILNS1_17partition_subalgoE3EjNS0_10empty_typeEbEEZZNS1_14partition_implILS8_3ELb0ES6_jNS0_17counting_iteratorIjlEEPS9_SE_NS0_5tupleIJPjSE_EEENSF_IJSE_SE_EEES9_SG_JZNS1_25segmented_radix_sort_implINS0_14default_configELb0EPKfPfPKlPlN2at6native12_GLOBAL__N_18offset_tEEE10hipError_tPvRmT1_PNSt15iterator_traitsISY_E10value_typeET2_T3_PNSZ_IS14_E10value_typeET4_jRbjT5_S1A_jjP12ihipStream_tbEUljE_EEESV_SW_SX_S14_S18_S1A_T6_T7_T9_mT8_S1C_bDpT10_ENKUlT_T0_E_clISt17integral_constantIbLb1EES1O_IbLb0EEEEDaS1K_S1L_EUlS1K_E_NS1_11comp_targetILNS1_3genE0ELNS1_11target_archE4294967295ELNS1_3gpuE0ELNS1_3repE0EEENS1_30default_config_static_selectorELNS0_4arch9wavefront6targetE0EEEvSY_ ; -- Begin function _ZN7rocprim17ROCPRIM_400000_NS6detail17trampoline_kernelINS0_13select_configILj256ELj13ELNS0_17block_load_methodE3ELS4_3ELS4_3ELNS0_20block_scan_algorithmE0ELj4294967295EEENS1_25partition_config_selectorILNS1_17partition_subalgoE3EjNS0_10empty_typeEbEEZZNS1_14partition_implILS8_3ELb0ES6_jNS0_17counting_iteratorIjlEEPS9_SE_NS0_5tupleIJPjSE_EEENSF_IJSE_SE_EEES9_SG_JZNS1_25segmented_radix_sort_implINS0_14default_configELb0EPKfPfPKlPlN2at6native12_GLOBAL__N_18offset_tEEE10hipError_tPvRmT1_PNSt15iterator_traitsISY_E10value_typeET2_T3_PNSZ_IS14_E10value_typeET4_jRbjT5_S1A_jjP12ihipStream_tbEUljE_EEESV_SW_SX_S14_S18_S1A_T6_T7_T9_mT8_S1C_bDpT10_ENKUlT_T0_E_clISt17integral_constantIbLb1EES1O_IbLb0EEEEDaS1K_S1L_EUlS1K_E_NS1_11comp_targetILNS1_3genE0ELNS1_11target_archE4294967295ELNS1_3gpuE0ELNS1_3repE0EEENS1_30default_config_static_selectorELNS0_4arch9wavefront6targetE0EEEvSY_
	.p2align	8
	.type	_ZN7rocprim17ROCPRIM_400000_NS6detail17trampoline_kernelINS0_13select_configILj256ELj13ELNS0_17block_load_methodE3ELS4_3ELS4_3ELNS0_20block_scan_algorithmE0ELj4294967295EEENS1_25partition_config_selectorILNS1_17partition_subalgoE3EjNS0_10empty_typeEbEEZZNS1_14partition_implILS8_3ELb0ES6_jNS0_17counting_iteratorIjlEEPS9_SE_NS0_5tupleIJPjSE_EEENSF_IJSE_SE_EEES9_SG_JZNS1_25segmented_radix_sort_implINS0_14default_configELb0EPKfPfPKlPlN2at6native12_GLOBAL__N_18offset_tEEE10hipError_tPvRmT1_PNSt15iterator_traitsISY_E10value_typeET2_T3_PNSZ_IS14_E10value_typeET4_jRbjT5_S1A_jjP12ihipStream_tbEUljE_EEESV_SW_SX_S14_S18_S1A_T6_T7_T9_mT8_S1C_bDpT10_ENKUlT_T0_E_clISt17integral_constantIbLb1EES1O_IbLb0EEEEDaS1K_S1L_EUlS1K_E_NS1_11comp_targetILNS1_3genE0ELNS1_11target_archE4294967295ELNS1_3gpuE0ELNS1_3repE0EEENS1_30default_config_static_selectorELNS0_4arch9wavefront6targetE0EEEvSY_,@function
_ZN7rocprim17ROCPRIM_400000_NS6detail17trampoline_kernelINS0_13select_configILj256ELj13ELNS0_17block_load_methodE3ELS4_3ELS4_3ELNS0_20block_scan_algorithmE0ELj4294967295EEENS1_25partition_config_selectorILNS1_17partition_subalgoE3EjNS0_10empty_typeEbEEZZNS1_14partition_implILS8_3ELb0ES6_jNS0_17counting_iteratorIjlEEPS9_SE_NS0_5tupleIJPjSE_EEENSF_IJSE_SE_EEES9_SG_JZNS1_25segmented_radix_sort_implINS0_14default_configELb0EPKfPfPKlPlN2at6native12_GLOBAL__N_18offset_tEEE10hipError_tPvRmT1_PNSt15iterator_traitsISY_E10value_typeET2_T3_PNSZ_IS14_E10value_typeET4_jRbjT5_S1A_jjP12ihipStream_tbEUljE_EEESV_SW_SX_S14_S18_S1A_T6_T7_T9_mT8_S1C_bDpT10_ENKUlT_T0_E_clISt17integral_constantIbLb1EES1O_IbLb0EEEEDaS1K_S1L_EUlS1K_E_NS1_11comp_targetILNS1_3genE0ELNS1_11target_archE4294967295ELNS1_3gpuE0ELNS1_3repE0EEENS1_30default_config_static_selectorELNS0_4arch9wavefront6targetE0EEEvSY_: ; @_ZN7rocprim17ROCPRIM_400000_NS6detail17trampoline_kernelINS0_13select_configILj256ELj13ELNS0_17block_load_methodE3ELS4_3ELS4_3ELNS0_20block_scan_algorithmE0ELj4294967295EEENS1_25partition_config_selectorILNS1_17partition_subalgoE3EjNS0_10empty_typeEbEEZZNS1_14partition_implILS8_3ELb0ES6_jNS0_17counting_iteratorIjlEEPS9_SE_NS0_5tupleIJPjSE_EEENSF_IJSE_SE_EEES9_SG_JZNS1_25segmented_radix_sort_implINS0_14default_configELb0EPKfPfPKlPlN2at6native12_GLOBAL__N_18offset_tEEE10hipError_tPvRmT1_PNSt15iterator_traitsISY_E10value_typeET2_T3_PNSZ_IS14_E10value_typeET4_jRbjT5_S1A_jjP12ihipStream_tbEUljE_EEESV_SW_SX_S14_S18_S1A_T6_T7_T9_mT8_S1C_bDpT10_ENKUlT_T0_E_clISt17integral_constantIbLb1EES1O_IbLb0EEEEDaS1K_S1L_EUlS1K_E_NS1_11comp_targetILNS1_3genE0ELNS1_11target_archE4294967295ELNS1_3gpuE0ELNS1_3repE0EEENS1_30default_config_static_selectorELNS0_4arch9wavefront6targetE0EEEvSY_
; %bb.0:
	.section	.rodata,"a",@progbits
	.p2align	6, 0x0
	.amdhsa_kernel _ZN7rocprim17ROCPRIM_400000_NS6detail17trampoline_kernelINS0_13select_configILj256ELj13ELNS0_17block_load_methodE3ELS4_3ELS4_3ELNS0_20block_scan_algorithmE0ELj4294967295EEENS1_25partition_config_selectorILNS1_17partition_subalgoE3EjNS0_10empty_typeEbEEZZNS1_14partition_implILS8_3ELb0ES6_jNS0_17counting_iteratorIjlEEPS9_SE_NS0_5tupleIJPjSE_EEENSF_IJSE_SE_EEES9_SG_JZNS1_25segmented_radix_sort_implINS0_14default_configELb0EPKfPfPKlPlN2at6native12_GLOBAL__N_18offset_tEEE10hipError_tPvRmT1_PNSt15iterator_traitsISY_E10value_typeET2_T3_PNSZ_IS14_E10value_typeET4_jRbjT5_S1A_jjP12ihipStream_tbEUljE_EEESV_SW_SX_S14_S18_S1A_T6_T7_T9_mT8_S1C_bDpT10_ENKUlT_T0_E_clISt17integral_constantIbLb1EES1O_IbLb0EEEEDaS1K_S1L_EUlS1K_E_NS1_11comp_targetILNS1_3genE0ELNS1_11target_archE4294967295ELNS1_3gpuE0ELNS1_3repE0EEENS1_30default_config_static_selectorELNS0_4arch9wavefront6targetE0EEEvSY_
		.amdhsa_group_segment_fixed_size 0
		.amdhsa_private_segment_fixed_size 0
		.amdhsa_kernarg_size 144
		.amdhsa_user_sgpr_count 15
		.amdhsa_user_sgpr_dispatch_ptr 0
		.amdhsa_user_sgpr_queue_ptr 0
		.amdhsa_user_sgpr_kernarg_segment_ptr 1
		.amdhsa_user_sgpr_dispatch_id 0
		.amdhsa_user_sgpr_private_segment_size 0
		.amdhsa_wavefront_size32 1
		.amdhsa_uses_dynamic_stack 0
		.amdhsa_enable_private_segment 0
		.amdhsa_system_sgpr_workgroup_id_x 1
		.amdhsa_system_sgpr_workgroup_id_y 0
		.amdhsa_system_sgpr_workgroup_id_z 0
		.amdhsa_system_sgpr_workgroup_info 0
		.amdhsa_system_vgpr_workitem_id 0
		.amdhsa_next_free_vgpr 1
		.amdhsa_next_free_sgpr 1
		.amdhsa_reserve_vcc 0
		.amdhsa_float_round_mode_32 0
		.amdhsa_float_round_mode_16_64 0
		.amdhsa_float_denorm_mode_32 3
		.amdhsa_float_denorm_mode_16_64 3
		.amdhsa_dx10_clamp 1
		.amdhsa_ieee_mode 1
		.amdhsa_fp16_overflow 0
		.amdhsa_workgroup_processor_mode 1
		.amdhsa_memory_ordered 1
		.amdhsa_forward_progress 0
		.amdhsa_shared_vgpr_count 0
		.amdhsa_exception_fp_ieee_invalid_op 0
		.amdhsa_exception_fp_denorm_src 0
		.amdhsa_exception_fp_ieee_div_zero 0
		.amdhsa_exception_fp_ieee_overflow 0
		.amdhsa_exception_fp_ieee_underflow 0
		.amdhsa_exception_fp_ieee_inexact 0
		.amdhsa_exception_int_div_zero 0
	.end_amdhsa_kernel
	.section	.text._ZN7rocprim17ROCPRIM_400000_NS6detail17trampoline_kernelINS0_13select_configILj256ELj13ELNS0_17block_load_methodE3ELS4_3ELS4_3ELNS0_20block_scan_algorithmE0ELj4294967295EEENS1_25partition_config_selectorILNS1_17partition_subalgoE3EjNS0_10empty_typeEbEEZZNS1_14partition_implILS8_3ELb0ES6_jNS0_17counting_iteratorIjlEEPS9_SE_NS0_5tupleIJPjSE_EEENSF_IJSE_SE_EEES9_SG_JZNS1_25segmented_radix_sort_implINS0_14default_configELb0EPKfPfPKlPlN2at6native12_GLOBAL__N_18offset_tEEE10hipError_tPvRmT1_PNSt15iterator_traitsISY_E10value_typeET2_T3_PNSZ_IS14_E10value_typeET4_jRbjT5_S1A_jjP12ihipStream_tbEUljE_EEESV_SW_SX_S14_S18_S1A_T6_T7_T9_mT8_S1C_bDpT10_ENKUlT_T0_E_clISt17integral_constantIbLb1EES1O_IbLb0EEEEDaS1K_S1L_EUlS1K_E_NS1_11comp_targetILNS1_3genE0ELNS1_11target_archE4294967295ELNS1_3gpuE0ELNS1_3repE0EEENS1_30default_config_static_selectorELNS0_4arch9wavefront6targetE0EEEvSY_,"axG",@progbits,_ZN7rocprim17ROCPRIM_400000_NS6detail17trampoline_kernelINS0_13select_configILj256ELj13ELNS0_17block_load_methodE3ELS4_3ELS4_3ELNS0_20block_scan_algorithmE0ELj4294967295EEENS1_25partition_config_selectorILNS1_17partition_subalgoE3EjNS0_10empty_typeEbEEZZNS1_14partition_implILS8_3ELb0ES6_jNS0_17counting_iteratorIjlEEPS9_SE_NS0_5tupleIJPjSE_EEENSF_IJSE_SE_EEES9_SG_JZNS1_25segmented_radix_sort_implINS0_14default_configELb0EPKfPfPKlPlN2at6native12_GLOBAL__N_18offset_tEEE10hipError_tPvRmT1_PNSt15iterator_traitsISY_E10value_typeET2_T3_PNSZ_IS14_E10value_typeET4_jRbjT5_S1A_jjP12ihipStream_tbEUljE_EEESV_SW_SX_S14_S18_S1A_T6_T7_T9_mT8_S1C_bDpT10_ENKUlT_T0_E_clISt17integral_constantIbLb1EES1O_IbLb0EEEEDaS1K_S1L_EUlS1K_E_NS1_11comp_targetILNS1_3genE0ELNS1_11target_archE4294967295ELNS1_3gpuE0ELNS1_3repE0EEENS1_30default_config_static_selectorELNS0_4arch9wavefront6targetE0EEEvSY_,comdat
.Lfunc_end1412:
	.size	_ZN7rocprim17ROCPRIM_400000_NS6detail17trampoline_kernelINS0_13select_configILj256ELj13ELNS0_17block_load_methodE3ELS4_3ELS4_3ELNS0_20block_scan_algorithmE0ELj4294967295EEENS1_25partition_config_selectorILNS1_17partition_subalgoE3EjNS0_10empty_typeEbEEZZNS1_14partition_implILS8_3ELb0ES6_jNS0_17counting_iteratorIjlEEPS9_SE_NS0_5tupleIJPjSE_EEENSF_IJSE_SE_EEES9_SG_JZNS1_25segmented_radix_sort_implINS0_14default_configELb0EPKfPfPKlPlN2at6native12_GLOBAL__N_18offset_tEEE10hipError_tPvRmT1_PNSt15iterator_traitsISY_E10value_typeET2_T3_PNSZ_IS14_E10value_typeET4_jRbjT5_S1A_jjP12ihipStream_tbEUljE_EEESV_SW_SX_S14_S18_S1A_T6_T7_T9_mT8_S1C_bDpT10_ENKUlT_T0_E_clISt17integral_constantIbLb1EES1O_IbLb0EEEEDaS1K_S1L_EUlS1K_E_NS1_11comp_targetILNS1_3genE0ELNS1_11target_archE4294967295ELNS1_3gpuE0ELNS1_3repE0EEENS1_30default_config_static_selectorELNS0_4arch9wavefront6targetE0EEEvSY_, .Lfunc_end1412-_ZN7rocprim17ROCPRIM_400000_NS6detail17trampoline_kernelINS0_13select_configILj256ELj13ELNS0_17block_load_methodE3ELS4_3ELS4_3ELNS0_20block_scan_algorithmE0ELj4294967295EEENS1_25partition_config_selectorILNS1_17partition_subalgoE3EjNS0_10empty_typeEbEEZZNS1_14partition_implILS8_3ELb0ES6_jNS0_17counting_iteratorIjlEEPS9_SE_NS0_5tupleIJPjSE_EEENSF_IJSE_SE_EEES9_SG_JZNS1_25segmented_radix_sort_implINS0_14default_configELb0EPKfPfPKlPlN2at6native12_GLOBAL__N_18offset_tEEE10hipError_tPvRmT1_PNSt15iterator_traitsISY_E10value_typeET2_T3_PNSZ_IS14_E10value_typeET4_jRbjT5_S1A_jjP12ihipStream_tbEUljE_EEESV_SW_SX_S14_S18_S1A_T6_T7_T9_mT8_S1C_bDpT10_ENKUlT_T0_E_clISt17integral_constantIbLb1EES1O_IbLb0EEEEDaS1K_S1L_EUlS1K_E_NS1_11comp_targetILNS1_3genE0ELNS1_11target_archE4294967295ELNS1_3gpuE0ELNS1_3repE0EEENS1_30default_config_static_selectorELNS0_4arch9wavefront6targetE0EEEvSY_
                                        ; -- End function
	.section	.AMDGPU.csdata,"",@progbits
; Kernel info:
; codeLenInByte = 0
; NumSgprs: 0
; NumVgprs: 0
; ScratchSize: 0
; MemoryBound: 0
; FloatMode: 240
; IeeeMode: 1
; LDSByteSize: 0 bytes/workgroup (compile time only)
; SGPRBlocks: 0
; VGPRBlocks: 0
; NumSGPRsForWavesPerEU: 1
; NumVGPRsForWavesPerEU: 1
; Occupancy: 16
; WaveLimiterHint : 0
; COMPUTE_PGM_RSRC2:SCRATCH_EN: 0
; COMPUTE_PGM_RSRC2:USER_SGPR: 15
; COMPUTE_PGM_RSRC2:TRAP_HANDLER: 0
; COMPUTE_PGM_RSRC2:TGID_X_EN: 1
; COMPUTE_PGM_RSRC2:TGID_Y_EN: 0
; COMPUTE_PGM_RSRC2:TGID_Z_EN: 0
; COMPUTE_PGM_RSRC2:TIDIG_COMP_CNT: 0
	.section	.text._ZN7rocprim17ROCPRIM_400000_NS6detail17trampoline_kernelINS0_13select_configILj256ELj13ELNS0_17block_load_methodE3ELS4_3ELS4_3ELNS0_20block_scan_algorithmE0ELj4294967295EEENS1_25partition_config_selectorILNS1_17partition_subalgoE3EjNS0_10empty_typeEbEEZZNS1_14partition_implILS8_3ELb0ES6_jNS0_17counting_iteratorIjlEEPS9_SE_NS0_5tupleIJPjSE_EEENSF_IJSE_SE_EEES9_SG_JZNS1_25segmented_radix_sort_implINS0_14default_configELb0EPKfPfPKlPlN2at6native12_GLOBAL__N_18offset_tEEE10hipError_tPvRmT1_PNSt15iterator_traitsISY_E10value_typeET2_T3_PNSZ_IS14_E10value_typeET4_jRbjT5_S1A_jjP12ihipStream_tbEUljE_EEESV_SW_SX_S14_S18_S1A_T6_T7_T9_mT8_S1C_bDpT10_ENKUlT_T0_E_clISt17integral_constantIbLb1EES1O_IbLb0EEEEDaS1K_S1L_EUlS1K_E_NS1_11comp_targetILNS1_3genE5ELNS1_11target_archE942ELNS1_3gpuE9ELNS1_3repE0EEENS1_30default_config_static_selectorELNS0_4arch9wavefront6targetE0EEEvSY_,"axG",@progbits,_ZN7rocprim17ROCPRIM_400000_NS6detail17trampoline_kernelINS0_13select_configILj256ELj13ELNS0_17block_load_methodE3ELS4_3ELS4_3ELNS0_20block_scan_algorithmE0ELj4294967295EEENS1_25partition_config_selectorILNS1_17partition_subalgoE3EjNS0_10empty_typeEbEEZZNS1_14partition_implILS8_3ELb0ES6_jNS0_17counting_iteratorIjlEEPS9_SE_NS0_5tupleIJPjSE_EEENSF_IJSE_SE_EEES9_SG_JZNS1_25segmented_radix_sort_implINS0_14default_configELb0EPKfPfPKlPlN2at6native12_GLOBAL__N_18offset_tEEE10hipError_tPvRmT1_PNSt15iterator_traitsISY_E10value_typeET2_T3_PNSZ_IS14_E10value_typeET4_jRbjT5_S1A_jjP12ihipStream_tbEUljE_EEESV_SW_SX_S14_S18_S1A_T6_T7_T9_mT8_S1C_bDpT10_ENKUlT_T0_E_clISt17integral_constantIbLb1EES1O_IbLb0EEEEDaS1K_S1L_EUlS1K_E_NS1_11comp_targetILNS1_3genE5ELNS1_11target_archE942ELNS1_3gpuE9ELNS1_3repE0EEENS1_30default_config_static_selectorELNS0_4arch9wavefront6targetE0EEEvSY_,comdat
	.globl	_ZN7rocprim17ROCPRIM_400000_NS6detail17trampoline_kernelINS0_13select_configILj256ELj13ELNS0_17block_load_methodE3ELS4_3ELS4_3ELNS0_20block_scan_algorithmE0ELj4294967295EEENS1_25partition_config_selectorILNS1_17partition_subalgoE3EjNS0_10empty_typeEbEEZZNS1_14partition_implILS8_3ELb0ES6_jNS0_17counting_iteratorIjlEEPS9_SE_NS0_5tupleIJPjSE_EEENSF_IJSE_SE_EEES9_SG_JZNS1_25segmented_radix_sort_implINS0_14default_configELb0EPKfPfPKlPlN2at6native12_GLOBAL__N_18offset_tEEE10hipError_tPvRmT1_PNSt15iterator_traitsISY_E10value_typeET2_T3_PNSZ_IS14_E10value_typeET4_jRbjT5_S1A_jjP12ihipStream_tbEUljE_EEESV_SW_SX_S14_S18_S1A_T6_T7_T9_mT8_S1C_bDpT10_ENKUlT_T0_E_clISt17integral_constantIbLb1EES1O_IbLb0EEEEDaS1K_S1L_EUlS1K_E_NS1_11comp_targetILNS1_3genE5ELNS1_11target_archE942ELNS1_3gpuE9ELNS1_3repE0EEENS1_30default_config_static_selectorELNS0_4arch9wavefront6targetE0EEEvSY_ ; -- Begin function _ZN7rocprim17ROCPRIM_400000_NS6detail17trampoline_kernelINS0_13select_configILj256ELj13ELNS0_17block_load_methodE3ELS4_3ELS4_3ELNS0_20block_scan_algorithmE0ELj4294967295EEENS1_25partition_config_selectorILNS1_17partition_subalgoE3EjNS0_10empty_typeEbEEZZNS1_14partition_implILS8_3ELb0ES6_jNS0_17counting_iteratorIjlEEPS9_SE_NS0_5tupleIJPjSE_EEENSF_IJSE_SE_EEES9_SG_JZNS1_25segmented_radix_sort_implINS0_14default_configELb0EPKfPfPKlPlN2at6native12_GLOBAL__N_18offset_tEEE10hipError_tPvRmT1_PNSt15iterator_traitsISY_E10value_typeET2_T3_PNSZ_IS14_E10value_typeET4_jRbjT5_S1A_jjP12ihipStream_tbEUljE_EEESV_SW_SX_S14_S18_S1A_T6_T7_T9_mT8_S1C_bDpT10_ENKUlT_T0_E_clISt17integral_constantIbLb1EES1O_IbLb0EEEEDaS1K_S1L_EUlS1K_E_NS1_11comp_targetILNS1_3genE5ELNS1_11target_archE942ELNS1_3gpuE9ELNS1_3repE0EEENS1_30default_config_static_selectorELNS0_4arch9wavefront6targetE0EEEvSY_
	.p2align	8
	.type	_ZN7rocprim17ROCPRIM_400000_NS6detail17trampoline_kernelINS0_13select_configILj256ELj13ELNS0_17block_load_methodE3ELS4_3ELS4_3ELNS0_20block_scan_algorithmE0ELj4294967295EEENS1_25partition_config_selectorILNS1_17partition_subalgoE3EjNS0_10empty_typeEbEEZZNS1_14partition_implILS8_3ELb0ES6_jNS0_17counting_iteratorIjlEEPS9_SE_NS0_5tupleIJPjSE_EEENSF_IJSE_SE_EEES9_SG_JZNS1_25segmented_radix_sort_implINS0_14default_configELb0EPKfPfPKlPlN2at6native12_GLOBAL__N_18offset_tEEE10hipError_tPvRmT1_PNSt15iterator_traitsISY_E10value_typeET2_T3_PNSZ_IS14_E10value_typeET4_jRbjT5_S1A_jjP12ihipStream_tbEUljE_EEESV_SW_SX_S14_S18_S1A_T6_T7_T9_mT8_S1C_bDpT10_ENKUlT_T0_E_clISt17integral_constantIbLb1EES1O_IbLb0EEEEDaS1K_S1L_EUlS1K_E_NS1_11comp_targetILNS1_3genE5ELNS1_11target_archE942ELNS1_3gpuE9ELNS1_3repE0EEENS1_30default_config_static_selectorELNS0_4arch9wavefront6targetE0EEEvSY_,@function
_ZN7rocprim17ROCPRIM_400000_NS6detail17trampoline_kernelINS0_13select_configILj256ELj13ELNS0_17block_load_methodE3ELS4_3ELS4_3ELNS0_20block_scan_algorithmE0ELj4294967295EEENS1_25partition_config_selectorILNS1_17partition_subalgoE3EjNS0_10empty_typeEbEEZZNS1_14partition_implILS8_3ELb0ES6_jNS0_17counting_iteratorIjlEEPS9_SE_NS0_5tupleIJPjSE_EEENSF_IJSE_SE_EEES9_SG_JZNS1_25segmented_radix_sort_implINS0_14default_configELb0EPKfPfPKlPlN2at6native12_GLOBAL__N_18offset_tEEE10hipError_tPvRmT1_PNSt15iterator_traitsISY_E10value_typeET2_T3_PNSZ_IS14_E10value_typeET4_jRbjT5_S1A_jjP12ihipStream_tbEUljE_EEESV_SW_SX_S14_S18_S1A_T6_T7_T9_mT8_S1C_bDpT10_ENKUlT_T0_E_clISt17integral_constantIbLb1EES1O_IbLb0EEEEDaS1K_S1L_EUlS1K_E_NS1_11comp_targetILNS1_3genE5ELNS1_11target_archE942ELNS1_3gpuE9ELNS1_3repE0EEENS1_30default_config_static_selectorELNS0_4arch9wavefront6targetE0EEEvSY_: ; @_ZN7rocprim17ROCPRIM_400000_NS6detail17trampoline_kernelINS0_13select_configILj256ELj13ELNS0_17block_load_methodE3ELS4_3ELS4_3ELNS0_20block_scan_algorithmE0ELj4294967295EEENS1_25partition_config_selectorILNS1_17partition_subalgoE3EjNS0_10empty_typeEbEEZZNS1_14partition_implILS8_3ELb0ES6_jNS0_17counting_iteratorIjlEEPS9_SE_NS0_5tupleIJPjSE_EEENSF_IJSE_SE_EEES9_SG_JZNS1_25segmented_radix_sort_implINS0_14default_configELb0EPKfPfPKlPlN2at6native12_GLOBAL__N_18offset_tEEE10hipError_tPvRmT1_PNSt15iterator_traitsISY_E10value_typeET2_T3_PNSZ_IS14_E10value_typeET4_jRbjT5_S1A_jjP12ihipStream_tbEUljE_EEESV_SW_SX_S14_S18_S1A_T6_T7_T9_mT8_S1C_bDpT10_ENKUlT_T0_E_clISt17integral_constantIbLb1EES1O_IbLb0EEEEDaS1K_S1L_EUlS1K_E_NS1_11comp_targetILNS1_3genE5ELNS1_11target_archE942ELNS1_3gpuE9ELNS1_3repE0EEENS1_30default_config_static_selectorELNS0_4arch9wavefront6targetE0EEEvSY_
; %bb.0:
	.section	.rodata,"a",@progbits
	.p2align	6, 0x0
	.amdhsa_kernel _ZN7rocprim17ROCPRIM_400000_NS6detail17trampoline_kernelINS0_13select_configILj256ELj13ELNS0_17block_load_methodE3ELS4_3ELS4_3ELNS0_20block_scan_algorithmE0ELj4294967295EEENS1_25partition_config_selectorILNS1_17partition_subalgoE3EjNS0_10empty_typeEbEEZZNS1_14partition_implILS8_3ELb0ES6_jNS0_17counting_iteratorIjlEEPS9_SE_NS0_5tupleIJPjSE_EEENSF_IJSE_SE_EEES9_SG_JZNS1_25segmented_radix_sort_implINS0_14default_configELb0EPKfPfPKlPlN2at6native12_GLOBAL__N_18offset_tEEE10hipError_tPvRmT1_PNSt15iterator_traitsISY_E10value_typeET2_T3_PNSZ_IS14_E10value_typeET4_jRbjT5_S1A_jjP12ihipStream_tbEUljE_EEESV_SW_SX_S14_S18_S1A_T6_T7_T9_mT8_S1C_bDpT10_ENKUlT_T0_E_clISt17integral_constantIbLb1EES1O_IbLb0EEEEDaS1K_S1L_EUlS1K_E_NS1_11comp_targetILNS1_3genE5ELNS1_11target_archE942ELNS1_3gpuE9ELNS1_3repE0EEENS1_30default_config_static_selectorELNS0_4arch9wavefront6targetE0EEEvSY_
		.amdhsa_group_segment_fixed_size 0
		.amdhsa_private_segment_fixed_size 0
		.amdhsa_kernarg_size 144
		.amdhsa_user_sgpr_count 15
		.amdhsa_user_sgpr_dispatch_ptr 0
		.amdhsa_user_sgpr_queue_ptr 0
		.amdhsa_user_sgpr_kernarg_segment_ptr 1
		.amdhsa_user_sgpr_dispatch_id 0
		.amdhsa_user_sgpr_private_segment_size 0
		.amdhsa_wavefront_size32 1
		.amdhsa_uses_dynamic_stack 0
		.amdhsa_enable_private_segment 0
		.amdhsa_system_sgpr_workgroup_id_x 1
		.amdhsa_system_sgpr_workgroup_id_y 0
		.amdhsa_system_sgpr_workgroup_id_z 0
		.amdhsa_system_sgpr_workgroup_info 0
		.amdhsa_system_vgpr_workitem_id 0
		.amdhsa_next_free_vgpr 1
		.amdhsa_next_free_sgpr 1
		.amdhsa_reserve_vcc 0
		.amdhsa_float_round_mode_32 0
		.amdhsa_float_round_mode_16_64 0
		.amdhsa_float_denorm_mode_32 3
		.amdhsa_float_denorm_mode_16_64 3
		.amdhsa_dx10_clamp 1
		.amdhsa_ieee_mode 1
		.amdhsa_fp16_overflow 0
		.amdhsa_workgroup_processor_mode 1
		.amdhsa_memory_ordered 1
		.amdhsa_forward_progress 0
		.amdhsa_shared_vgpr_count 0
		.amdhsa_exception_fp_ieee_invalid_op 0
		.amdhsa_exception_fp_denorm_src 0
		.amdhsa_exception_fp_ieee_div_zero 0
		.amdhsa_exception_fp_ieee_overflow 0
		.amdhsa_exception_fp_ieee_underflow 0
		.amdhsa_exception_fp_ieee_inexact 0
		.amdhsa_exception_int_div_zero 0
	.end_amdhsa_kernel
	.section	.text._ZN7rocprim17ROCPRIM_400000_NS6detail17trampoline_kernelINS0_13select_configILj256ELj13ELNS0_17block_load_methodE3ELS4_3ELS4_3ELNS0_20block_scan_algorithmE0ELj4294967295EEENS1_25partition_config_selectorILNS1_17partition_subalgoE3EjNS0_10empty_typeEbEEZZNS1_14partition_implILS8_3ELb0ES6_jNS0_17counting_iteratorIjlEEPS9_SE_NS0_5tupleIJPjSE_EEENSF_IJSE_SE_EEES9_SG_JZNS1_25segmented_radix_sort_implINS0_14default_configELb0EPKfPfPKlPlN2at6native12_GLOBAL__N_18offset_tEEE10hipError_tPvRmT1_PNSt15iterator_traitsISY_E10value_typeET2_T3_PNSZ_IS14_E10value_typeET4_jRbjT5_S1A_jjP12ihipStream_tbEUljE_EEESV_SW_SX_S14_S18_S1A_T6_T7_T9_mT8_S1C_bDpT10_ENKUlT_T0_E_clISt17integral_constantIbLb1EES1O_IbLb0EEEEDaS1K_S1L_EUlS1K_E_NS1_11comp_targetILNS1_3genE5ELNS1_11target_archE942ELNS1_3gpuE9ELNS1_3repE0EEENS1_30default_config_static_selectorELNS0_4arch9wavefront6targetE0EEEvSY_,"axG",@progbits,_ZN7rocprim17ROCPRIM_400000_NS6detail17trampoline_kernelINS0_13select_configILj256ELj13ELNS0_17block_load_methodE3ELS4_3ELS4_3ELNS0_20block_scan_algorithmE0ELj4294967295EEENS1_25partition_config_selectorILNS1_17partition_subalgoE3EjNS0_10empty_typeEbEEZZNS1_14partition_implILS8_3ELb0ES6_jNS0_17counting_iteratorIjlEEPS9_SE_NS0_5tupleIJPjSE_EEENSF_IJSE_SE_EEES9_SG_JZNS1_25segmented_radix_sort_implINS0_14default_configELb0EPKfPfPKlPlN2at6native12_GLOBAL__N_18offset_tEEE10hipError_tPvRmT1_PNSt15iterator_traitsISY_E10value_typeET2_T3_PNSZ_IS14_E10value_typeET4_jRbjT5_S1A_jjP12ihipStream_tbEUljE_EEESV_SW_SX_S14_S18_S1A_T6_T7_T9_mT8_S1C_bDpT10_ENKUlT_T0_E_clISt17integral_constantIbLb1EES1O_IbLb0EEEEDaS1K_S1L_EUlS1K_E_NS1_11comp_targetILNS1_3genE5ELNS1_11target_archE942ELNS1_3gpuE9ELNS1_3repE0EEENS1_30default_config_static_selectorELNS0_4arch9wavefront6targetE0EEEvSY_,comdat
.Lfunc_end1413:
	.size	_ZN7rocprim17ROCPRIM_400000_NS6detail17trampoline_kernelINS0_13select_configILj256ELj13ELNS0_17block_load_methodE3ELS4_3ELS4_3ELNS0_20block_scan_algorithmE0ELj4294967295EEENS1_25partition_config_selectorILNS1_17partition_subalgoE3EjNS0_10empty_typeEbEEZZNS1_14partition_implILS8_3ELb0ES6_jNS0_17counting_iteratorIjlEEPS9_SE_NS0_5tupleIJPjSE_EEENSF_IJSE_SE_EEES9_SG_JZNS1_25segmented_radix_sort_implINS0_14default_configELb0EPKfPfPKlPlN2at6native12_GLOBAL__N_18offset_tEEE10hipError_tPvRmT1_PNSt15iterator_traitsISY_E10value_typeET2_T3_PNSZ_IS14_E10value_typeET4_jRbjT5_S1A_jjP12ihipStream_tbEUljE_EEESV_SW_SX_S14_S18_S1A_T6_T7_T9_mT8_S1C_bDpT10_ENKUlT_T0_E_clISt17integral_constantIbLb1EES1O_IbLb0EEEEDaS1K_S1L_EUlS1K_E_NS1_11comp_targetILNS1_3genE5ELNS1_11target_archE942ELNS1_3gpuE9ELNS1_3repE0EEENS1_30default_config_static_selectorELNS0_4arch9wavefront6targetE0EEEvSY_, .Lfunc_end1413-_ZN7rocprim17ROCPRIM_400000_NS6detail17trampoline_kernelINS0_13select_configILj256ELj13ELNS0_17block_load_methodE3ELS4_3ELS4_3ELNS0_20block_scan_algorithmE0ELj4294967295EEENS1_25partition_config_selectorILNS1_17partition_subalgoE3EjNS0_10empty_typeEbEEZZNS1_14partition_implILS8_3ELb0ES6_jNS0_17counting_iteratorIjlEEPS9_SE_NS0_5tupleIJPjSE_EEENSF_IJSE_SE_EEES9_SG_JZNS1_25segmented_radix_sort_implINS0_14default_configELb0EPKfPfPKlPlN2at6native12_GLOBAL__N_18offset_tEEE10hipError_tPvRmT1_PNSt15iterator_traitsISY_E10value_typeET2_T3_PNSZ_IS14_E10value_typeET4_jRbjT5_S1A_jjP12ihipStream_tbEUljE_EEESV_SW_SX_S14_S18_S1A_T6_T7_T9_mT8_S1C_bDpT10_ENKUlT_T0_E_clISt17integral_constantIbLb1EES1O_IbLb0EEEEDaS1K_S1L_EUlS1K_E_NS1_11comp_targetILNS1_3genE5ELNS1_11target_archE942ELNS1_3gpuE9ELNS1_3repE0EEENS1_30default_config_static_selectorELNS0_4arch9wavefront6targetE0EEEvSY_
                                        ; -- End function
	.section	.AMDGPU.csdata,"",@progbits
; Kernel info:
; codeLenInByte = 0
; NumSgprs: 0
; NumVgprs: 0
; ScratchSize: 0
; MemoryBound: 0
; FloatMode: 240
; IeeeMode: 1
; LDSByteSize: 0 bytes/workgroup (compile time only)
; SGPRBlocks: 0
; VGPRBlocks: 0
; NumSGPRsForWavesPerEU: 1
; NumVGPRsForWavesPerEU: 1
; Occupancy: 16
; WaveLimiterHint : 0
; COMPUTE_PGM_RSRC2:SCRATCH_EN: 0
; COMPUTE_PGM_RSRC2:USER_SGPR: 15
; COMPUTE_PGM_RSRC2:TRAP_HANDLER: 0
; COMPUTE_PGM_RSRC2:TGID_X_EN: 1
; COMPUTE_PGM_RSRC2:TGID_Y_EN: 0
; COMPUTE_PGM_RSRC2:TGID_Z_EN: 0
; COMPUTE_PGM_RSRC2:TIDIG_COMP_CNT: 0
	.section	.text._ZN7rocprim17ROCPRIM_400000_NS6detail17trampoline_kernelINS0_13select_configILj256ELj13ELNS0_17block_load_methodE3ELS4_3ELS4_3ELNS0_20block_scan_algorithmE0ELj4294967295EEENS1_25partition_config_selectorILNS1_17partition_subalgoE3EjNS0_10empty_typeEbEEZZNS1_14partition_implILS8_3ELb0ES6_jNS0_17counting_iteratorIjlEEPS9_SE_NS0_5tupleIJPjSE_EEENSF_IJSE_SE_EEES9_SG_JZNS1_25segmented_radix_sort_implINS0_14default_configELb0EPKfPfPKlPlN2at6native12_GLOBAL__N_18offset_tEEE10hipError_tPvRmT1_PNSt15iterator_traitsISY_E10value_typeET2_T3_PNSZ_IS14_E10value_typeET4_jRbjT5_S1A_jjP12ihipStream_tbEUljE_EEESV_SW_SX_S14_S18_S1A_T6_T7_T9_mT8_S1C_bDpT10_ENKUlT_T0_E_clISt17integral_constantIbLb1EES1O_IbLb0EEEEDaS1K_S1L_EUlS1K_E_NS1_11comp_targetILNS1_3genE4ELNS1_11target_archE910ELNS1_3gpuE8ELNS1_3repE0EEENS1_30default_config_static_selectorELNS0_4arch9wavefront6targetE0EEEvSY_,"axG",@progbits,_ZN7rocprim17ROCPRIM_400000_NS6detail17trampoline_kernelINS0_13select_configILj256ELj13ELNS0_17block_load_methodE3ELS4_3ELS4_3ELNS0_20block_scan_algorithmE0ELj4294967295EEENS1_25partition_config_selectorILNS1_17partition_subalgoE3EjNS0_10empty_typeEbEEZZNS1_14partition_implILS8_3ELb0ES6_jNS0_17counting_iteratorIjlEEPS9_SE_NS0_5tupleIJPjSE_EEENSF_IJSE_SE_EEES9_SG_JZNS1_25segmented_radix_sort_implINS0_14default_configELb0EPKfPfPKlPlN2at6native12_GLOBAL__N_18offset_tEEE10hipError_tPvRmT1_PNSt15iterator_traitsISY_E10value_typeET2_T3_PNSZ_IS14_E10value_typeET4_jRbjT5_S1A_jjP12ihipStream_tbEUljE_EEESV_SW_SX_S14_S18_S1A_T6_T7_T9_mT8_S1C_bDpT10_ENKUlT_T0_E_clISt17integral_constantIbLb1EES1O_IbLb0EEEEDaS1K_S1L_EUlS1K_E_NS1_11comp_targetILNS1_3genE4ELNS1_11target_archE910ELNS1_3gpuE8ELNS1_3repE0EEENS1_30default_config_static_selectorELNS0_4arch9wavefront6targetE0EEEvSY_,comdat
	.globl	_ZN7rocprim17ROCPRIM_400000_NS6detail17trampoline_kernelINS0_13select_configILj256ELj13ELNS0_17block_load_methodE3ELS4_3ELS4_3ELNS0_20block_scan_algorithmE0ELj4294967295EEENS1_25partition_config_selectorILNS1_17partition_subalgoE3EjNS0_10empty_typeEbEEZZNS1_14partition_implILS8_3ELb0ES6_jNS0_17counting_iteratorIjlEEPS9_SE_NS0_5tupleIJPjSE_EEENSF_IJSE_SE_EEES9_SG_JZNS1_25segmented_radix_sort_implINS0_14default_configELb0EPKfPfPKlPlN2at6native12_GLOBAL__N_18offset_tEEE10hipError_tPvRmT1_PNSt15iterator_traitsISY_E10value_typeET2_T3_PNSZ_IS14_E10value_typeET4_jRbjT5_S1A_jjP12ihipStream_tbEUljE_EEESV_SW_SX_S14_S18_S1A_T6_T7_T9_mT8_S1C_bDpT10_ENKUlT_T0_E_clISt17integral_constantIbLb1EES1O_IbLb0EEEEDaS1K_S1L_EUlS1K_E_NS1_11comp_targetILNS1_3genE4ELNS1_11target_archE910ELNS1_3gpuE8ELNS1_3repE0EEENS1_30default_config_static_selectorELNS0_4arch9wavefront6targetE0EEEvSY_ ; -- Begin function _ZN7rocprim17ROCPRIM_400000_NS6detail17trampoline_kernelINS0_13select_configILj256ELj13ELNS0_17block_load_methodE3ELS4_3ELS4_3ELNS0_20block_scan_algorithmE0ELj4294967295EEENS1_25partition_config_selectorILNS1_17partition_subalgoE3EjNS0_10empty_typeEbEEZZNS1_14partition_implILS8_3ELb0ES6_jNS0_17counting_iteratorIjlEEPS9_SE_NS0_5tupleIJPjSE_EEENSF_IJSE_SE_EEES9_SG_JZNS1_25segmented_radix_sort_implINS0_14default_configELb0EPKfPfPKlPlN2at6native12_GLOBAL__N_18offset_tEEE10hipError_tPvRmT1_PNSt15iterator_traitsISY_E10value_typeET2_T3_PNSZ_IS14_E10value_typeET4_jRbjT5_S1A_jjP12ihipStream_tbEUljE_EEESV_SW_SX_S14_S18_S1A_T6_T7_T9_mT8_S1C_bDpT10_ENKUlT_T0_E_clISt17integral_constantIbLb1EES1O_IbLb0EEEEDaS1K_S1L_EUlS1K_E_NS1_11comp_targetILNS1_3genE4ELNS1_11target_archE910ELNS1_3gpuE8ELNS1_3repE0EEENS1_30default_config_static_selectorELNS0_4arch9wavefront6targetE0EEEvSY_
	.p2align	8
	.type	_ZN7rocprim17ROCPRIM_400000_NS6detail17trampoline_kernelINS0_13select_configILj256ELj13ELNS0_17block_load_methodE3ELS4_3ELS4_3ELNS0_20block_scan_algorithmE0ELj4294967295EEENS1_25partition_config_selectorILNS1_17partition_subalgoE3EjNS0_10empty_typeEbEEZZNS1_14partition_implILS8_3ELb0ES6_jNS0_17counting_iteratorIjlEEPS9_SE_NS0_5tupleIJPjSE_EEENSF_IJSE_SE_EEES9_SG_JZNS1_25segmented_radix_sort_implINS0_14default_configELb0EPKfPfPKlPlN2at6native12_GLOBAL__N_18offset_tEEE10hipError_tPvRmT1_PNSt15iterator_traitsISY_E10value_typeET2_T3_PNSZ_IS14_E10value_typeET4_jRbjT5_S1A_jjP12ihipStream_tbEUljE_EEESV_SW_SX_S14_S18_S1A_T6_T7_T9_mT8_S1C_bDpT10_ENKUlT_T0_E_clISt17integral_constantIbLb1EES1O_IbLb0EEEEDaS1K_S1L_EUlS1K_E_NS1_11comp_targetILNS1_3genE4ELNS1_11target_archE910ELNS1_3gpuE8ELNS1_3repE0EEENS1_30default_config_static_selectorELNS0_4arch9wavefront6targetE0EEEvSY_,@function
_ZN7rocprim17ROCPRIM_400000_NS6detail17trampoline_kernelINS0_13select_configILj256ELj13ELNS0_17block_load_methodE3ELS4_3ELS4_3ELNS0_20block_scan_algorithmE0ELj4294967295EEENS1_25partition_config_selectorILNS1_17partition_subalgoE3EjNS0_10empty_typeEbEEZZNS1_14partition_implILS8_3ELb0ES6_jNS0_17counting_iteratorIjlEEPS9_SE_NS0_5tupleIJPjSE_EEENSF_IJSE_SE_EEES9_SG_JZNS1_25segmented_radix_sort_implINS0_14default_configELb0EPKfPfPKlPlN2at6native12_GLOBAL__N_18offset_tEEE10hipError_tPvRmT1_PNSt15iterator_traitsISY_E10value_typeET2_T3_PNSZ_IS14_E10value_typeET4_jRbjT5_S1A_jjP12ihipStream_tbEUljE_EEESV_SW_SX_S14_S18_S1A_T6_T7_T9_mT8_S1C_bDpT10_ENKUlT_T0_E_clISt17integral_constantIbLb1EES1O_IbLb0EEEEDaS1K_S1L_EUlS1K_E_NS1_11comp_targetILNS1_3genE4ELNS1_11target_archE910ELNS1_3gpuE8ELNS1_3repE0EEENS1_30default_config_static_selectorELNS0_4arch9wavefront6targetE0EEEvSY_: ; @_ZN7rocprim17ROCPRIM_400000_NS6detail17trampoline_kernelINS0_13select_configILj256ELj13ELNS0_17block_load_methodE3ELS4_3ELS4_3ELNS0_20block_scan_algorithmE0ELj4294967295EEENS1_25partition_config_selectorILNS1_17partition_subalgoE3EjNS0_10empty_typeEbEEZZNS1_14partition_implILS8_3ELb0ES6_jNS0_17counting_iteratorIjlEEPS9_SE_NS0_5tupleIJPjSE_EEENSF_IJSE_SE_EEES9_SG_JZNS1_25segmented_radix_sort_implINS0_14default_configELb0EPKfPfPKlPlN2at6native12_GLOBAL__N_18offset_tEEE10hipError_tPvRmT1_PNSt15iterator_traitsISY_E10value_typeET2_T3_PNSZ_IS14_E10value_typeET4_jRbjT5_S1A_jjP12ihipStream_tbEUljE_EEESV_SW_SX_S14_S18_S1A_T6_T7_T9_mT8_S1C_bDpT10_ENKUlT_T0_E_clISt17integral_constantIbLb1EES1O_IbLb0EEEEDaS1K_S1L_EUlS1K_E_NS1_11comp_targetILNS1_3genE4ELNS1_11target_archE910ELNS1_3gpuE8ELNS1_3repE0EEENS1_30default_config_static_selectorELNS0_4arch9wavefront6targetE0EEEvSY_
; %bb.0:
	.section	.rodata,"a",@progbits
	.p2align	6, 0x0
	.amdhsa_kernel _ZN7rocprim17ROCPRIM_400000_NS6detail17trampoline_kernelINS0_13select_configILj256ELj13ELNS0_17block_load_methodE3ELS4_3ELS4_3ELNS0_20block_scan_algorithmE0ELj4294967295EEENS1_25partition_config_selectorILNS1_17partition_subalgoE3EjNS0_10empty_typeEbEEZZNS1_14partition_implILS8_3ELb0ES6_jNS0_17counting_iteratorIjlEEPS9_SE_NS0_5tupleIJPjSE_EEENSF_IJSE_SE_EEES9_SG_JZNS1_25segmented_radix_sort_implINS0_14default_configELb0EPKfPfPKlPlN2at6native12_GLOBAL__N_18offset_tEEE10hipError_tPvRmT1_PNSt15iterator_traitsISY_E10value_typeET2_T3_PNSZ_IS14_E10value_typeET4_jRbjT5_S1A_jjP12ihipStream_tbEUljE_EEESV_SW_SX_S14_S18_S1A_T6_T7_T9_mT8_S1C_bDpT10_ENKUlT_T0_E_clISt17integral_constantIbLb1EES1O_IbLb0EEEEDaS1K_S1L_EUlS1K_E_NS1_11comp_targetILNS1_3genE4ELNS1_11target_archE910ELNS1_3gpuE8ELNS1_3repE0EEENS1_30default_config_static_selectorELNS0_4arch9wavefront6targetE0EEEvSY_
		.amdhsa_group_segment_fixed_size 0
		.amdhsa_private_segment_fixed_size 0
		.amdhsa_kernarg_size 144
		.amdhsa_user_sgpr_count 15
		.amdhsa_user_sgpr_dispatch_ptr 0
		.amdhsa_user_sgpr_queue_ptr 0
		.amdhsa_user_sgpr_kernarg_segment_ptr 1
		.amdhsa_user_sgpr_dispatch_id 0
		.amdhsa_user_sgpr_private_segment_size 0
		.amdhsa_wavefront_size32 1
		.amdhsa_uses_dynamic_stack 0
		.amdhsa_enable_private_segment 0
		.amdhsa_system_sgpr_workgroup_id_x 1
		.amdhsa_system_sgpr_workgroup_id_y 0
		.amdhsa_system_sgpr_workgroup_id_z 0
		.amdhsa_system_sgpr_workgroup_info 0
		.amdhsa_system_vgpr_workitem_id 0
		.amdhsa_next_free_vgpr 1
		.amdhsa_next_free_sgpr 1
		.amdhsa_reserve_vcc 0
		.amdhsa_float_round_mode_32 0
		.amdhsa_float_round_mode_16_64 0
		.amdhsa_float_denorm_mode_32 3
		.amdhsa_float_denorm_mode_16_64 3
		.amdhsa_dx10_clamp 1
		.amdhsa_ieee_mode 1
		.amdhsa_fp16_overflow 0
		.amdhsa_workgroup_processor_mode 1
		.amdhsa_memory_ordered 1
		.amdhsa_forward_progress 0
		.amdhsa_shared_vgpr_count 0
		.amdhsa_exception_fp_ieee_invalid_op 0
		.amdhsa_exception_fp_denorm_src 0
		.amdhsa_exception_fp_ieee_div_zero 0
		.amdhsa_exception_fp_ieee_overflow 0
		.amdhsa_exception_fp_ieee_underflow 0
		.amdhsa_exception_fp_ieee_inexact 0
		.amdhsa_exception_int_div_zero 0
	.end_amdhsa_kernel
	.section	.text._ZN7rocprim17ROCPRIM_400000_NS6detail17trampoline_kernelINS0_13select_configILj256ELj13ELNS0_17block_load_methodE3ELS4_3ELS4_3ELNS0_20block_scan_algorithmE0ELj4294967295EEENS1_25partition_config_selectorILNS1_17partition_subalgoE3EjNS0_10empty_typeEbEEZZNS1_14partition_implILS8_3ELb0ES6_jNS0_17counting_iteratorIjlEEPS9_SE_NS0_5tupleIJPjSE_EEENSF_IJSE_SE_EEES9_SG_JZNS1_25segmented_radix_sort_implINS0_14default_configELb0EPKfPfPKlPlN2at6native12_GLOBAL__N_18offset_tEEE10hipError_tPvRmT1_PNSt15iterator_traitsISY_E10value_typeET2_T3_PNSZ_IS14_E10value_typeET4_jRbjT5_S1A_jjP12ihipStream_tbEUljE_EEESV_SW_SX_S14_S18_S1A_T6_T7_T9_mT8_S1C_bDpT10_ENKUlT_T0_E_clISt17integral_constantIbLb1EES1O_IbLb0EEEEDaS1K_S1L_EUlS1K_E_NS1_11comp_targetILNS1_3genE4ELNS1_11target_archE910ELNS1_3gpuE8ELNS1_3repE0EEENS1_30default_config_static_selectorELNS0_4arch9wavefront6targetE0EEEvSY_,"axG",@progbits,_ZN7rocprim17ROCPRIM_400000_NS6detail17trampoline_kernelINS0_13select_configILj256ELj13ELNS0_17block_load_methodE3ELS4_3ELS4_3ELNS0_20block_scan_algorithmE0ELj4294967295EEENS1_25partition_config_selectorILNS1_17partition_subalgoE3EjNS0_10empty_typeEbEEZZNS1_14partition_implILS8_3ELb0ES6_jNS0_17counting_iteratorIjlEEPS9_SE_NS0_5tupleIJPjSE_EEENSF_IJSE_SE_EEES9_SG_JZNS1_25segmented_radix_sort_implINS0_14default_configELb0EPKfPfPKlPlN2at6native12_GLOBAL__N_18offset_tEEE10hipError_tPvRmT1_PNSt15iterator_traitsISY_E10value_typeET2_T3_PNSZ_IS14_E10value_typeET4_jRbjT5_S1A_jjP12ihipStream_tbEUljE_EEESV_SW_SX_S14_S18_S1A_T6_T7_T9_mT8_S1C_bDpT10_ENKUlT_T0_E_clISt17integral_constantIbLb1EES1O_IbLb0EEEEDaS1K_S1L_EUlS1K_E_NS1_11comp_targetILNS1_3genE4ELNS1_11target_archE910ELNS1_3gpuE8ELNS1_3repE0EEENS1_30default_config_static_selectorELNS0_4arch9wavefront6targetE0EEEvSY_,comdat
.Lfunc_end1414:
	.size	_ZN7rocprim17ROCPRIM_400000_NS6detail17trampoline_kernelINS0_13select_configILj256ELj13ELNS0_17block_load_methodE3ELS4_3ELS4_3ELNS0_20block_scan_algorithmE0ELj4294967295EEENS1_25partition_config_selectorILNS1_17partition_subalgoE3EjNS0_10empty_typeEbEEZZNS1_14partition_implILS8_3ELb0ES6_jNS0_17counting_iteratorIjlEEPS9_SE_NS0_5tupleIJPjSE_EEENSF_IJSE_SE_EEES9_SG_JZNS1_25segmented_radix_sort_implINS0_14default_configELb0EPKfPfPKlPlN2at6native12_GLOBAL__N_18offset_tEEE10hipError_tPvRmT1_PNSt15iterator_traitsISY_E10value_typeET2_T3_PNSZ_IS14_E10value_typeET4_jRbjT5_S1A_jjP12ihipStream_tbEUljE_EEESV_SW_SX_S14_S18_S1A_T6_T7_T9_mT8_S1C_bDpT10_ENKUlT_T0_E_clISt17integral_constantIbLb1EES1O_IbLb0EEEEDaS1K_S1L_EUlS1K_E_NS1_11comp_targetILNS1_3genE4ELNS1_11target_archE910ELNS1_3gpuE8ELNS1_3repE0EEENS1_30default_config_static_selectorELNS0_4arch9wavefront6targetE0EEEvSY_, .Lfunc_end1414-_ZN7rocprim17ROCPRIM_400000_NS6detail17trampoline_kernelINS0_13select_configILj256ELj13ELNS0_17block_load_methodE3ELS4_3ELS4_3ELNS0_20block_scan_algorithmE0ELj4294967295EEENS1_25partition_config_selectorILNS1_17partition_subalgoE3EjNS0_10empty_typeEbEEZZNS1_14partition_implILS8_3ELb0ES6_jNS0_17counting_iteratorIjlEEPS9_SE_NS0_5tupleIJPjSE_EEENSF_IJSE_SE_EEES9_SG_JZNS1_25segmented_radix_sort_implINS0_14default_configELb0EPKfPfPKlPlN2at6native12_GLOBAL__N_18offset_tEEE10hipError_tPvRmT1_PNSt15iterator_traitsISY_E10value_typeET2_T3_PNSZ_IS14_E10value_typeET4_jRbjT5_S1A_jjP12ihipStream_tbEUljE_EEESV_SW_SX_S14_S18_S1A_T6_T7_T9_mT8_S1C_bDpT10_ENKUlT_T0_E_clISt17integral_constantIbLb1EES1O_IbLb0EEEEDaS1K_S1L_EUlS1K_E_NS1_11comp_targetILNS1_3genE4ELNS1_11target_archE910ELNS1_3gpuE8ELNS1_3repE0EEENS1_30default_config_static_selectorELNS0_4arch9wavefront6targetE0EEEvSY_
                                        ; -- End function
	.section	.AMDGPU.csdata,"",@progbits
; Kernel info:
; codeLenInByte = 0
; NumSgprs: 0
; NumVgprs: 0
; ScratchSize: 0
; MemoryBound: 0
; FloatMode: 240
; IeeeMode: 1
; LDSByteSize: 0 bytes/workgroup (compile time only)
; SGPRBlocks: 0
; VGPRBlocks: 0
; NumSGPRsForWavesPerEU: 1
; NumVGPRsForWavesPerEU: 1
; Occupancy: 16
; WaveLimiterHint : 0
; COMPUTE_PGM_RSRC2:SCRATCH_EN: 0
; COMPUTE_PGM_RSRC2:USER_SGPR: 15
; COMPUTE_PGM_RSRC2:TRAP_HANDLER: 0
; COMPUTE_PGM_RSRC2:TGID_X_EN: 1
; COMPUTE_PGM_RSRC2:TGID_Y_EN: 0
; COMPUTE_PGM_RSRC2:TGID_Z_EN: 0
; COMPUTE_PGM_RSRC2:TIDIG_COMP_CNT: 0
	.section	.text._ZN7rocprim17ROCPRIM_400000_NS6detail17trampoline_kernelINS0_13select_configILj256ELj13ELNS0_17block_load_methodE3ELS4_3ELS4_3ELNS0_20block_scan_algorithmE0ELj4294967295EEENS1_25partition_config_selectorILNS1_17partition_subalgoE3EjNS0_10empty_typeEbEEZZNS1_14partition_implILS8_3ELb0ES6_jNS0_17counting_iteratorIjlEEPS9_SE_NS0_5tupleIJPjSE_EEENSF_IJSE_SE_EEES9_SG_JZNS1_25segmented_radix_sort_implINS0_14default_configELb0EPKfPfPKlPlN2at6native12_GLOBAL__N_18offset_tEEE10hipError_tPvRmT1_PNSt15iterator_traitsISY_E10value_typeET2_T3_PNSZ_IS14_E10value_typeET4_jRbjT5_S1A_jjP12ihipStream_tbEUljE_EEESV_SW_SX_S14_S18_S1A_T6_T7_T9_mT8_S1C_bDpT10_ENKUlT_T0_E_clISt17integral_constantIbLb1EES1O_IbLb0EEEEDaS1K_S1L_EUlS1K_E_NS1_11comp_targetILNS1_3genE3ELNS1_11target_archE908ELNS1_3gpuE7ELNS1_3repE0EEENS1_30default_config_static_selectorELNS0_4arch9wavefront6targetE0EEEvSY_,"axG",@progbits,_ZN7rocprim17ROCPRIM_400000_NS6detail17trampoline_kernelINS0_13select_configILj256ELj13ELNS0_17block_load_methodE3ELS4_3ELS4_3ELNS0_20block_scan_algorithmE0ELj4294967295EEENS1_25partition_config_selectorILNS1_17partition_subalgoE3EjNS0_10empty_typeEbEEZZNS1_14partition_implILS8_3ELb0ES6_jNS0_17counting_iteratorIjlEEPS9_SE_NS0_5tupleIJPjSE_EEENSF_IJSE_SE_EEES9_SG_JZNS1_25segmented_radix_sort_implINS0_14default_configELb0EPKfPfPKlPlN2at6native12_GLOBAL__N_18offset_tEEE10hipError_tPvRmT1_PNSt15iterator_traitsISY_E10value_typeET2_T3_PNSZ_IS14_E10value_typeET4_jRbjT5_S1A_jjP12ihipStream_tbEUljE_EEESV_SW_SX_S14_S18_S1A_T6_T7_T9_mT8_S1C_bDpT10_ENKUlT_T0_E_clISt17integral_constantIbLb1EES1O_IbLb0EEEEDaS1K_S1L_EUlS1K_E_NS1_11comp_targetILNS1_3genE3ELNS1_11target_archE908ELNS1_3gpuE7ELNS1_3repE0EEENS1_30default_config_static_selectorELNS0_4arch9wavefront6targetE0EEEvSY_,comdat
	.globl	_ZN7rocprim17ROCPRIM_400000_NS6detail17trampoline_kernelINS0_13select_configILj256ELj13ELNS0_17block_load_methodE3ELS4_3ELS4_3ELNS0_20block_scan_algorithmE0ELj4294967295EEENS1_25partition_config_selectorILNS1_17partition_subalgoE3EjNS0_10empty_typeEbEEZZNS1_14partition_implILS8_3ELb0ES6_jNS0_17counting_iteratorIjlEEPS9_SE_NS0_5tupleIJPjSE_EEENSF_IJSE_SE_EEES9_SG_JZNS1_25segmented_radix_sort_implINS0_14default_configELb0EPKfPfPKlPlN2at6native12_GLOBAL__N_18offset_tEEE10hipError_tPvRmT1_PNSt15iterator_traitsISY_E10value_typeET2_T3_PNSZ_IS14_E10value_typeET4_jRbjT5_S1A_jjP12ihipStream_tbEUljE_EEESV_SW_SX_S14_S18_S1A_T6_T7_T9_mT8_S1C_bDpT10_ENKUlT_T0_E_clISt17integral_constantIbLb1EES1O_IbLb0EEEEDaS1K_S1L_EUlS1K_E_NS1_11comp_targetILNS1_3genE3ELNS1_11target_archE908ELNS1_3gpuE7ELNS1_3repE0EEENS1_30default_config_static_selectorELNS0_4arch9wavefront6targetE0EEEvSY_ ; -- Begin function _ZN7rocprim17ROCPRIM_400000_NS6detail17trampoline_kernelINS0_13select_configILj256ELj13ELNS0_17block_load_methodE3ELS4_3ELS4_3ELNS0_20block_scan_algorithmE0ELj4294967295EEENS1_25partition_config_selectorILNS1_17partition_subalgoE3EjNS0_10empty_typeEbEEZZNS1_14partition_implILS8_3ELb0ES6_jNS0_17counting_iteratorIjlEEPS9_SE_NS0_5tupleIJPjSE_EEENSF_IJSE_SE_EEES9_SG_JZNS1_25segmented_radix_sort_implINS0_14default_configELb0EPKfPfPKlPlN2at6native12_GLOBAL__N_18offset_tEEE10hipError_tPvRmT1_PNSt15iterator_traitsISY_E10value_typeET2_T3_PNSZ_IS14_E10value_typeET4_jRbjT5_S1A_jjP12ihipStream_tbEUljE_EEESV_SW_SX_S14_S18_S1A_T6_T7_T9_mT8_S1C_bDpT10_ENKUlT_T0_E_clISt17integral_constantIbLb1EES1O_IbLb0EEEEDaS1K_S1L_EUlS1K_E_NS1_11comp_targetILNS1_3genE3ELNS1_11target_archE908ELNS1_3gpuE7ELNS1_3repE0EEENS1_30default_config_static_selectorELNS0_4arch9wavefront6targetE0EEEvSY_
	.p2align	8
	.type	_ZN7rocprim17ROCPRIM_400000_NS6detail17trampoline_kernelINS0_13select_configILj256ELj13ELNS0_17block_load_methodE3ELS4_3ELS4_3ELNS0_20block_scan_algorithmE0ELj4294967295EEENS1_25partition_config_selectorILNS1_17partition_subalgoE3EjNS0_10empty_typeEbEEZZNS1_14partition_implILS8_3ELb0ES6_jNS0_17counting_iteratorIjlEEPS9_SE_NS0_5tupleIJPjSE_EEENSF_IJSE_SE_EEES9_SG_JZNS1_25segmented_radix_sort_implINS0_14default_configELb0EPKfPfPKlPlN2at6native12_GLOBAL__N_18offset_tEEE10hipError_tPvRmT1_PNSt15iterator_traitsISY_E10value_typeET2_T3_PNSZ_IS14_E10value_typeET4_jRbjT5_S1A_jjP12ihipStream_tbEUljE_EEESV_SW_SX_S14_S18_S1A_T6_T7_T9_mT8_S1C_bDpT10_ENKUlT_T0_E_clISt17integral_constantIbLb1EES1O_IbLb0EEEEDaS1K_S1L_EUlS1K_E_NS1_11comp_targetILNS1_3genE3ELNS1_11target_archE908ELNS1_3gpuE7ELNS1_3repE0EEENS1_30default_config_static_selectorELNS0_4arch9wavefront6targetE0EEEvSY_,@function
_ZN7rocprim17ROCPRIM_400000_NS6detail17trampoline_kernelINS0_13select_configILj256ELj13ELNS0_17block_load_methodE3ELS4_3ELS4_3ELNS0_20block_scan_algorithmE0ELj4294967295EEENS1_25partition_config_selectorILNS1_17partition_subalgoE3EjNS0_10empty_typeEbEEZZNS1_14partition_implILS8_3ELb0ES6_jNS0_17counting_iteratorIjlEEPS9_SE_NS0_5tupleIJPjSE_EEENSF_IJSE_SE_EEES9_SG_JZNS1_25segmented_radix_sort_implINS0_14default_configELb0EPKfPfPKlPlN2at6native12_GLOBAL__N_18offset_tEEE10hipError_tPvRmT1_PNSt15iterator_traitsISY_E10value_typeET2_T3_PNSZ_IS14_E10value_typeET4_jRbjT5_S1A_jjP12ihipStream_tbEUljE_EEESV_SW_SX_S14_S18_S1A_T6_T7_T9_mT8_S1C_bDpT10_ENKUlT_T0_E_clISt17integral_constantIbLb1EES1O_IbLb0EEEEDaS1K_S1L_EUlS1K_E_NS1_11comp_targetILNS1_3genE3ELNS1_11target_archE908ELNS1_3gpuE7ELNS1_3repE0EEENS1_30default_config_static_selectorELNS0_4arch9wavefront6targetE0EEEvSY_: ; @_ZN7rocprim17ROCPRIM_400000_NS6detail17trampoline_kernelINS0_13select_configILj256ELj13ELNS0_17block_load_methodE3ELS4_3ELS4_3ELNS0_20block_scan_algorithmE0ELj4294967295EEENS1_25partition_config_selectorILNS1_17partition_subalgoE3EjNS0_10empty_typeEbEEZZNS1_14partition_implILS8_3ELb0ES6_jNS0_17counting_iteratorIjlEEPS9_SE_NS0_5tupleIJPjSE_EEENSF_IJSE_SE_EEES9_SG_JZNS1_25segmented_radix_sort_implINS0_14default_configELb0EPKfPfPKlPlN2at6native12_GLOBAL__N_18offset_tEEE10hipError_tPvRmT1_PNSt15iterator_traitsISY_E10value_typeET2_T3_PNSZ_IS14_E10value_typeET4_jRbjT5_S1A_jjP12ihipStream_tbEUljE_EEESV_SW_SX_S14_S18_S1A_T6_T7_T9_mT8_S1C_bDpT10_ENKUlT_T0_E_clISt17integral_constantIbLb1EES1O_IbLb0EEEEDaS1K_S1L_EUlS1K_E_NS1_11comp_targetILNS1_3genE3ELNS1_11target_archE908ELNS1_3gpuE7ELNS1_3repE0EEENS1_30default_config_static_selectorELNS0_4arch9wavefront6targetE0EEEvSY_
; %bb.0:
	.section	.rodata,"a",@progbits
	.p2align	6, 0x0
	.amdhsa_kernel _ZN7rocprim17ROCPRIM_400000_NS6detail17trampoline_kernelINS0_13select_configILj256ELj13ELNS0_17block_load_methodE3ELS4_3ELS4_3ELNS0_20block_scan_algorithmE0ELj4294967295EEENS1_25partition_config_selectorILNS1_17partition_subalgoE3EjNS0_10empty_typeEbEEZZNS1_14partition_implILS8_3ELb0ES6_jNS0_17counting_iteratorIjlEEPS9_SE_NS0_5tupleIJPjSE_EEENSF_IJSE_SE_EEES9_SG_JZNS1_25segmented_radix_sort_implINS0_14default_configELb0EPKfPfPKlPlN2at6native12_GLOBAL__N_18offset_tEEE10hipError_tPvRmT1_PNSt15iterator_traitsISY_E10value_typeET2_T3_PNSZ_IS14_E10value_typeET4_jRbjT5_S1A_jjP12ihipStream_tbEUljE_EEESV_SW_SX_S14_S18_S1A_T6_T7_T9_mT8_S1C_bDpT10_ENKUlT_T0_E_clISt17integral_constantIbLb1EES1O_IbLb0EEEEDaS1K_S1L_EUlS1K_E_NS1_11comp_targetILNS1_3genE3ELNS1_11target_archE908ELNS1_3gpuE7ELNS1_3repE0EEENS1_30default_config_static_selectorELNS0_4arch9wavefront6targetE0EEEvSY_
		.amdhsa_group_segment_fixed_size 0
		.amdhsa_private_segment_fixed_size 0
		.amdhsa_kernarg_size 144
		.amdhsa_user_sgpr_count 15
		.amdhsa_user_sgpr_dispatch_ptr 0
		.amdhsa_user_sgpr_queue_ptr 0
		.amdhsa_user_sgpr_kernarg_segment_ptr 1
		.amdhsa_user_sgpr_dispatch_id 0
		.amdhsa_user_sgpr_private_segment_size 0
		.amdhsa_wavefront_size32 1
		.amdhsa_uses_dynamic_stack 0
		.amdhsa_enable_private_segment 0
		.amdhsa_system_sgpr_workgroup_id_x 1
		.amdhsa_system_sgpr_workgroup_id_y 0
		.amdhsa_system_sgpr_workgroup_id_z 0
		.amdhsa_system_sgpr_workgroup_info 0
		.amdhsa_system_vgpr_workitem_id 0
		.amdhsa_next_free_vgpr 1
		.amdhsa_next_free_sgpr 1
		.amdhsa_reserve_vcc 0
		.amdhsa_float_round_mode_32 0
		.amdhsa_float_round_mode_16_64 0
		.amdhsa_float_denorm_mode_32 3
		.amdhsa_float_denorm_mode_16_64 3
		.amdhsa_dx10_clamp 1
		.amdhsa_ieee_mode 1
		.amdhsa_fp16_overflow 0
		.amdhsa_workgroup_processor_mode 1
		.amdhsa_memory_ordered 1
		.amdhsa_forward_progress 0
		.amdhsa_shared_vgpr_count 0
		.amdhsa_exception_fp_ieee_invalid_op 0
		.amdhsa_exception_fp_denorm_src 0
		.amdhsa_exception_fp_ieee_div_zero 0
		.amdhsa_exception_fp_ieee_overflow 0
		.amdhsa_exception_fp_ieee_underflow 0
		.amdhsa_exception_fp_ieee_inexact 0
		.amdhsa_exception_int_div_zero 0
	.end_amdhsa_kernel
	.section	.text._ZN7rocprim17ROCPRIM_400000_NS6detail17trampoline_kernelINS0_13select_configILj256ELj13ELNS0_17block_load_methodE3ELS4_3ELS4_3ELNS0_20block_scan_algorithmE0ELj4294967295EEENS1_25partition_config_selectorILNS1_17partition_subalgoE3EjNS0_10empty_typeEbEEZZNS1_14partition_implILS8_3ELb0ES6_jNS0_17counting_iteratorIjlEEPS9_SE_NS0_5tupleIJPjSE_EEENSF_IJSE_SE_EEES9_SG_JZNS1_25segmented_radix_sort_implINS0_14default_configELb0EPKfPfPKlPlN2at6native12_GLOBAL__N_18offset_tEEE10hipError_tPvRmT1_PNSt15iterator_traitsISY_E10value_typeET2_T3_PNSZ_IS14_E10value_typeET4_jRbjT5_S1A_jjP12ihipStream_tbEUljE_EEESV_SW_SX_S14_S18_S1A_T6_T7_T9_mT8_S1C_bDpT10_ENKUlT_T0_E_clISt17integral_constantIbLb1EES1O_IbLb0EEEEDaS1K_S1L_EUlS1K_E_NS1_11comp_targetILNS1_3genE3ELNS1_11target_archE908ELNS1_3gpuE7ELNS1_3repE0EEENS1_30default_config_static_selectorELNS0_4arch9wavefront6targetE0EEEvSY_,"axG",@progbits,_ZN7rocprim17ROCPRIM_400000_NS6detail17trampoline_kernelINS0_13select_configILj256ELj13ELNS0_17block_load_methodE3ELS4_3ELS4_3ELNS0_20block_scan_algorithmE0ELj4294967295EEENS1_25partition_config_selectorILNS1_17partition_subalgoE3EjNS0_10empty_typeEbEEZZNS1_14partition_implILS8_3ELb0ES6_jNS0_17counting_iteratorIjlEEPS9_SE_NS0_5tupleIJPjSE_EEENSF_IJSE_SE_EEES9_SG_JZNS1_25segmented_radix_sort_implINS0_14default_configELb0EPKfPfPKlPlN2at6native12_GLOBAL__N_18offset_tEEE10hipError_tPvRmT1_PNSt15iterator_traitsISY_E10value_typeET2_T3_PNSZ_IS14_E10value_typeET4_jRbjT5_S1A_jjP12ihipStream_tbEUljE_EEESV_SW_SX_S14_S18_S1A_T6_T7_T9_mT8_S1C_bDpT10_ENKUlT_T0_E_clISt17integral_constantIbLb1EES1O_IbLb0EEEEDaS1K_S1L_EUlS1K_E_NS1_11comp_targetILNS1_3genE3ELNS1_11target_archE908ELNS1_3gpuE7ELNS1_3repE0EEENS1_30default_config_static_selectorELNS0_4arch9wavefront6targetE0EEEvSY_,comdat
.Lfunc_end1415:
	.size	_ZN7rocprim17ROCPRIM_400000_NS6detail17trampoline_kernelINS0_13select_configILj256ELj13ELNS0_17block_load_methodE3ELS4_3ELS4_3ELNS0_20block_scan_algorithmE0ELj4294967295EEENS1_25partition_config_selectorILNS1_17partition_subalgoE3EjNS0_10empty_typeEbEEZZNS1_14partition_implILS8_3ELb0ES6_jNS0_17counting_iteratorIjlEEPS9_SE_NS0_5tupleIJPjSE_EEENSF_IJSE_SE_EEES9_SG_JZNS1_25segmented_radix_sort_implINS0_14default_configELb0EPKfPfPKlPlN2at6native12_GLOBAL__N_18offset_tEEE10hipError_tPvRmT1_PNSt15iterator_traitsISY_E10value_typeET2_T3_PNSZ_IS14_E10value_typeET4_jRbjT5_S1A_jjP12ihipStream_tbEUljE_EEESV_SW_SX_S14_S18_S1A_T6_T7_T9_mT8_S1C_bDpT10_ENKUlT_T0_E_clISt17integral_constantIbLb1EES1O_IbLb0EEEEDaS1K_S1L_EUlS1K_E_NS1_11comp_targetILNS1_3genE3ELNS1_11target_archE908ELNS1_3gpuE7ELNS1_3repE0EEENS1_30default_config_static_selectorELNS0_4arch9wavefront6targetE0EEEvSY_, .Lfunc_end1415-_ZN7rocprim17ROCPRIM_400000_NS6detail17trampoline_kernelINS0_13select_configILj256ELj13ELNS0_17block_load_methodE3ELS4_3ELS4_3ELNS0_20block_scan_algorithmE0ELj4294967295EEENS1_25partition_config_selectorILNS1_17partition_subalgoE3EjNS0_10empty_typeEbEEZZNS1_14partition_implILS8_3ELb0ES6_jNS0_17counting_iteratorIjlEEPS9_SE_NS0_5tupleIJPjSE_EEENSF_IJSE_SE_EEES9_SG_JZNS1_25segmented_radix_sort_implINS0_14default_configELb0EPKfPfPKlPlN2at6native12_GLOBAL__N_18offset_tEEE10hipError_tPvRmT1_PNSt15iterator_traitsISY_E10value_typeET2_T3_PNSZ_IS14_E10value_typeET4_jRbjT5_S1A_jjP12ihipStream_tbEUljE_EEESV_SW_SX_S14_S18_S1A_T6_T7_T9_mT8_S1C_bDpT10_ENKUlT_T0_E_clISt17integral_constantIbLb1EES1O_IbLb0EEEEDaS1K_S1L_EUlS1K_E_NS1_11comp_targetILNS1_3genE3ELNS1_11target_archE908ELNS1_3gpuE7ELNS1_3repE0EEENS1_30default_config_static_selectorELNS0_4arch9wavefront6targetE0EEEvSY_
                                        ; -- End function
	.section	.AMDGPU.csdata,"",@progbits
; Kernel info:
; codeLenInByte = 0
; NumSgprs: 0
; NumVgprs: 0
; ScratchSize: 0
; MemoryBound: 0
; FloatMode: 240
; IeeeMode: 1
; LDSByteSize: 0 bytes/workgroup (compile time only)
; SGPRBlocks: 0
; VGPRBlocks: 0
; NumSGPRsForWavesPerEU: 1
; NumVGPRsForWavesPerEU: 1
; Occupancy: 16
; WaveLimiterHint : 0
; COMPUTE_PGM_RSRC2:SCRATCH_EN: 0
; COMPUTE_PGM_RSRC2:USER_SGPR: 15
; COMPUTE_PGM_RSRC2:TRAP_HANDLER: 0
; COMPUTE_PGM_RSRC2:TGID_X_EN: 1
; COMPUTE_PGM_RSRC2:TGID_Y_EN: 0
; COMPUTE_PGM_RSRC2:TGID_Z_EN: 0
; COMPUTE_PGM_RSRC2:TIDIG_COMP_CNT: 0
	.section	.text._ZN7rocprim17ROCPRIM_400000_NS6detail17trampoline_kernelINS0_13select_configILj256ELj13ELNS0_17block_load_methodE3ELS4_3ELS4_3ELNS0_20block_scan_algorithmE0ELj4294967295EEENS1_25partition_config_selectorILNS1_17partition_subalgoE3EjNS0_10empty_typeEbEEZZNS1_14partition_implILS8_3ELb0ES6_jNS0_17counting_iteratorIjlEEPS9_SE_NS0_5tupleIJPjSE_EEENSF_IJSE_SE_EEES9_SG_JZNS1_25segmented_radix_sort_implINS0_14default_configELb0EPKfPfPKlPlN2at6native12_GLOBAL__N_18offset_tEEE10hipError_tPvRmT1_PNSt15iterator_traitsISY_E10value_typeET2_T3_PNSZ_IS14_E10value_typeET4_jRbjT5_S1A_jjP12ihipStream_tbEUljE_EEESV_SW_SX_S14_S18_S1A_T6_T7_T9_mT8_S1C_bDpT10_ENKUlT_T0_E_clISt17integral_constantIbLb1EES1O_IbLb0EEEEDaS1K_S1L_EUlS1K_E_NS1_11comp_targetILNS1_3genE2ELNS1_11target_archE906ELNS1_3gpuE6ELNS1_3repE0EEENS1_30default_config_static_selectorELNS0_4arch9wavefront6targetE0EEEvSY_,"axG",@progbits,_ZN7rocprim17ROCPRIM_400000_NS6detail17trampoline_kernelINS0_13select_configILj256ELj13ELNS0_17block_load_methodE3ELS4_3ELS4_3ELNS0_20block_scan_algorithmE0ELj4294967295EEENS1_25partition_config_selectorILNS1_17partition_subalgoE3EjNS0_10empty_typeEbEEZZNS1_14partition_implILS8_3ELb0ES6_jNS0_17counting_iteratorIjlEEPS9_SE_NS0_5tupleIJPjSE_EEENSF_IJSE_SE_EEES9_SG_JZNS1_25segmented_radix_sort_implINS0_14default_configELb0EPKfPfPKlPlN2at6native12_GLOBAL__N_18offset_tEEE10hipError_tPvRmT1_PNSt15iterator_traitsISY_E10value_typeET2_T3_PNSZ_IS14_E10value_typeET4_jRbjT5_S1A_jjP12ihipStream_tbEUljE_EEESV_SW_SX_S14_S18_S1A_T6_T7_T9_mT8_S1C_bDpT10_ENKUlT_T0_E_clISt17integral_constantIbLb1EES1O_IbLb0EEEEDaS1K_S1L_EUlS1K_E_NS1_11comp_targetILNS1_3genE2ELNS1_11target_archE906ELNS1_3gpuE6ELNS1_3repE0EEENS1_30default_config_static_selectorELNS0_4arch9wavefront6targetE0EEEvSY_,comdat
	.globl	_ZN7rocprim17ROCPRIM_400000_NS6detail17trampoline_kernelINS0_13select_configILj256ELj13ELNS0_17block_load_methodE3ELS4_3ELS4_3ELNS0_20block_scan_algorithmE0ELj4294967295EEENS1_25partition_config_selectorILNS1_17partition_subalgoE3EjNS0_10empty_typeEbEEZZNS1_14partition_implILS8_3ELb0ES6_jNS0_17counting_iteratorIjlEEPS9_SE_NS0_5tupleIJPjSE_EEENSF_IJSE_SE_EEES9_SG_JZNS1_25segmented_radix_sort_implINS0_14default_configELb0EPKfPfPKlPlN2at6native12_GLOBAL__N_18offset_tEEE10hipError_tPvRmT1_PNSt15iterator_traitsISY_E10value_typeET2_T3_PNSZ_IS14_E10value_typeET4_jRbjT5_S1A_jjP12ihipStream_tbEUljE_EEESV_SW_SX_S14_S18_S1A_T6_T7_T9_mT8_S1C_bDpT10_ENKUlT_T0_E_clISt17integral_constantIbLb1EES1O_IbLb0EEEEDaS1K_S1L_EUlS1K_E_NS1_11comp_targetILNS1_3genE2ELNS1_11target_archE906ELNS1_3gpuE6ELNS1_3repE0EEENS1_30default_config_static_selectorELNS0_4arch9wavefront6targetE0EEEvSY_ ; -- Begin function _ZN7rocprim17ROCPRIM_400000_NS6detail17trampoline_kernelINS0_13select_configILj256ELj13ELNS0_17block_load_methodE3ELS4_3ELS4_3ELNS0_20block_scan_algorithmE0ELj4294967295EEENS1_25partition_config_selectorILNS1_17partition_subalgoE3EjNS0_10empty_typeEbEEZZNS1_14partition_implILS8_3ELb0ES6_jNS0_17counting_iteratorIjlEEPS9_SE_NS0_5tupleIJPjSE_EEENSF_IJSE_SE_EEES9_SG_JZNS1_25segmented_radix_sort_implINS0_14default_configELb0EPKfPfPKlPlN2at6native12_GLOBAL__N_18offset_tEEE10hipError_tPvRmT1_PNSt15iterator_traitsISY_E10value_typeET2_T3_PNSZ_IS14_E10value_typeET4_jRbjT5_S1A_jjP12ihipStream_tbEUljE_EEESV_SW_SX_S14_S18_S1A_T6_T7_T9_mT8_S1C_bDpT10_ENKUlT_T0_E_clISt17integral_constantIbLb1EES1O_IbLb0EEEEDaS1K_S1L_EUlS1K_E_NS1_11comp_targetILNS1_3genE2ELNS1_11target_archE906ELNS1_3gpuE6ELNS1_3repE0EEENS1_30default_config_static_selectorELNS0_4arch9wavefront6targetE0EEEvSY_
	.p2align	8
	.type	_ZN7rocprim17ROCPRIM_400000_NS6detail17trampoline_kernelINS0_13select_configILj256ELj13ELNS0_17block_load_methodE3ELS4_3ELS4_3ELNS0_20block_scan_algorithmE0ELj4294967295EEENS1_25partition_config_selectorILNS1_17partition_subalgoE3EjNS0_10empty_typeEbEEZZNS1_14partition_implILS8_3ELb0ES6_jNS0_17counting_iteratorIjlEEPS9_SE_NS0_5tupleIJPjSE_EEENSF_IJSE_SE_EEES9_SG_JZNS1_25segmented_radix_sort_implINS0_14default_configELb0EPKfPfPKlPlN2at6native12_GLOBAL__N_18offset_tEEE10hipError_tPvRmT1_PNSt15iterator_traitsISY_E10value_typeET2_T3_PNSZ_IS14_E10value_typeET4_jRbjT5_S1A_jjP12ihipStream_tbEUljE_EEESV_SW_SX_S14_S18_S1A_T6_T7_T9_mT8_S1C_bDpT10_ENKUlT_T0_E_clISt17integral_constantIbLb1EES1O_IbLb0EEEEDaS1K_S1L_EUlS1K_E_NS1_11comp_targetILNS1_3genE2ELNS1_11target_archE906ELNS1_3gpuE6ELNS1_3repE0EEENS1_30default_config_static_selectorELNS0_4arch9wavefront6targetE0EEEvSY_,@function
_ZN7rocprim17ROCPRIM_400000_NS6detail17trampoline_kernelINS0_13select_configILj256ELj13ELNS0_17block_load_methodE3ELS4_3ELS4_3ELNS0_20block_scan_algorithmE0ELj4294967295EEENS1_25partition_config_selectorILNS1_17partition_subalgoE3EjNS0_10empty_typeEbEEZZNS1_14partition_implILS8_3ELb0ES6_jNS0_17counting_iteratorIjlEEPS9_SE_NS0_5tupleIJPjSE_EEENSF_IJSE_SE_EEES9_SG_JZNS1_25segmented_radix_sort_implINS0_14default_configELb0EPKfPfPKlPlN2at6native12_GLOBAL__N_18offset_tEEE10hipError_tPvRmT1_PNSt15iterator_traitsISY_E10value_typeET2_T3_PNSZ_IS14_E10value_typeET4_jRbjT5_S1A_jjP12ihipStream_tbEUljE_EEESV_SW_SX_S14_S18_S1A_T6_T7_T9_mT8_S1C_bDpT10_ENKUlT_T0_E_clISt17integral_constantIbLb1EES1O_IbLb0EEEEDaS1K_S1L_EUlS1K_E_NS1_11comp_targetILNS1_3genE2ELNS1_11target_archE906ELNS1_3gpuE6ELNS1_3repE0EEENS1_30default_config_static_selectorELNS0_4arch9wavefront6targetE0EEEvSY_: ; @_ZN7rocprim17ROCPRIM_400000_NS6detail17trampoline_kernelINS0_13select_configILj256ELj13ELNS0_17block_load_methodE3ELS4_3ELS4_3ELNS0_20block_scan_algorithmE0ELj4294967295EEENS1_25partition_config_selectorILNS1_17partition_subalgoE3EjNS0_10empty_typeEbEEZZNS1_14partition_implILS8_3ELb0ES6_jNS0_17counting_iteratorIjlEEPS9_SE_NS0_5tupleIJPjSE_EEENSF_IJSE_SE_EEES9_SG_JZNS1_25segmented_radix_sort_implINS0_14default_configELb0EPKfPfPKlPlN2at6native12_GLOBAL__N_18offset_tEEE10hipError_tPvRmT1_PNSt15iterator_traitsISY_E10value_typeET2_T3_PNSZ_IS14_E10value_typeET4_jRbjT5_S1A_jjP12ihipStream_tbEUljE_EEESV_SW_SX_S14_S18_S1A_T6_T7_T9_mT8_S1C_bDpT10_ENKUlT_T0_E_clISt17integral_constantIbLb1EES1O_IbLb0EEEEDaS1K_S1L_EUlS1K_E_NS1_11comp_targetILNS1_3genE2ELNS1_11target_archE906ELNS1_3gpuE6ELNS1_3repE0EEENS1_30default_config_static_selectorELNS0_4arch9wavefront6targetE0EEEvSY_
; %bb.0:
	.section	.rodata,"a",@progbits
	.p2align	6, 0x0
	.amdhsa_kernel _ZN7rocprim17ROCPRIM_400000_NS6detail17trampoline_kernelINS0_13select_configILj256ELj13ELNS0_17block_load_methodE3ELS4_3ELS4_3ELNS0_20block_scan_algorithmE0ELj4294967295EEENS1_25partition_config_selectorILNS1_17partition_subalgoE3EjNS0_10empty_typeEbEEZZNS1_14partition_implILS8_3ELb0ES6_jNS0_17counting_iteratorIjlEEPS9_SE_NS0_5tupleIJPjSE_EEENSF_IJSE_SE_EEES9_SG_JZNS1_25segmented_radix_sort_implINS0_14default_configELb0EPKfPfPKlPlN2at6native12_GLOBAL__N_18offset_tEEE10hipError_tPvRmT1_PNSt15iterator_traitsISY_E10value_typeET2_T3_PNSZ_IS14_E10value_typeET4_jRbjT5_S1A_jjP12ihipStream_tbEUljE_EEESV_SW_SX_S14_S18_S1A_T6_T7_T9_mT8_S1C_bDpT10_ENKUlT_T0_E_clISt17integral_constantIbLb1EES1O_IbLb0EEEEDaS1K_S1L_EUlS1K_E_NS1_11comp_targetILNS1_3genE2ELNS1_11target_archE906ELNS1_3gpuE6ELNS1_3repE0EEENS1_30default_config_static_selectorELNS0_4arch9wavefront6targetE0EEEvSY_
		.amdhsa_group_segment_fixed_size 0
		.amdhsa_private_segment_fixed_size 0
		.amdhsa_kernarg_size 144
		.amdhsa_user_sgpr_count 15
		.amdhsa_user_sgpr_dispatch_ptr 0
		.amdhsa_user_sgpr_queue_ptr 0
		.amdhsa_user_sgpr_kernarg_segment_ptr 1
		.amdhsa_user_sgpr_dispatch_id 0
		.amdhsa_user_sgpr_private_segment_size 0
		.amdhsa_wavefront_size32 1
		.amdhsa_uses_dynamic_stack 0
		.amdhsa_enable_private_segment 0
		.amdhsa_system_sgpr_workgroup_id_x 1
		.amdhsa_system_sgpr_workgroup_id_y 0
		.amdhsa_system_sgpr_workgroup_id_z 0
		.amdhsa_system_sgpr_workgroup_info 0
		.amdhsa_system_vgpr_workitem_id 0
		.amdhsa_next_free_vgpr 1
		.amdhsa_next_free_sgpr 1
		.amdhsa_reserve_vcc 0
		.amdhsa_float_round_mode_32 0
		.amdhsa_float_round_mode_16_64 0
		.amdhsa_float_denorm_mode_32 3
		.amdhsa_float_denorm_mode_16_64 3
		.amdhsa_dx10_clamp 1
		.amdhsa_ieee_mode 1
		.amdhsa_fp16_overflow 0
		.amdhsa_workgroup_processor_mode 1
		.amdhsa_memory_ordered 1
		.amdhsa_forward_progress 0
		.amdhsa_shared_vgpr_count 0
		.amdhsa_exception_fp_ieee_invalid_op 0
		.amdhsa_exception_fp_denorm_src 0
		.amdhsa_exception_fp_ieee_div_zero 0
		.amdhsa_exception_fp_ieee_overflow 0
		.amdhsa_exception_fp_ieee_underflow 0
		.amdhsa_exception_fp_ieee_inexact 0
		.amdhsa_exception_int_div_zero 0
	.end_amdhsa_kernel
	.section	.text._ZN7rocprim17ROCPRIM_400000_NS6detail17trampoline_kernelINS0_13select_configILj256ELj13ELNS0_17block_load_methodE3ELS4_3ELS4_3ELNS0_20block_scan_algorithmE0ELj4294967295EEENS1_25partition_config_selectorILNS1_17partition_subalgoE3EjNS0_10empty_typeEbEEZZNS1_14partition_implILS8_3ELb0ES6_jNS0_17counting_iteratorIjlEEPS9_SE_NS0_5tupleIJPjSE_EEENSF_IJSE_SE_EEES9_SG_JZNS1_25segmented_radix_sort_implINS0_14default_configELb0EPKfPfPKlPlN2at6native12_GLOBAL__N_18offset_tEEE10hipError_tPvRmT1_PNSt15iterator_traitsISY_E10value_typeET2_T3_PNSZ_IS14_E10value_typeET4_jRbjT5_S1A_jjP12ihipStream_tbEUljE_EEESV_SW_SX_S14_S18_S1A_T6_T7_T9_mT8_S1C_bDpT10_ENKUlT_T0_E_clISt17integral_constantIbLb1EES1O_IbLb0EEEEDaS1K_S1L_EUlS1K_E_NS1_11comp_targetILNS1_3genE2ELNS1_11target_archE906ELNS1_3gpuE6ELNS1_3repE0EEENS1_30default_config_static_selectorELNS0_4arch9wavefront6targetE0EEEvSY_,"axG",@progbits,_ZN7rocprim17ROCPRIM_400000_NS6detail17trampoline_kernelINS0_13select_configILj256ELj13ELNS0_17block_load_methodE3ELS4_3ELS4_3ELNS0_20block_scan_algorithmE0ELj4294967295EEENS1_25partition_config_selectorILNS1_17partition_subalgoE3EjNS0_10empty_typeEbEEZZNS1_14partition_implILS8_3ELb0ES6_jNS0_17counting_iteratorIjlEEPS9_SE_NS0_5tupleIJPjSE_EEENSF_IJSE_SE_EEES9_SG_JZNS1_25segmented_radix_sort_implINS0_14default_configELb0EPKfPfPKlPlN2at6native12_GLOBAL__N_18offset_tEEE10hipError_tPvRmT1_PNSt15iterator_traitsISY_E10value_typeET2_T3_PNSZ_IS14_E10value_typeET4_jRbjT5_S1A_jjP12ihipStream_tbEUljE_EEESV_SW_SX_S14_S18_S1A_T6_T7_T9_mT8_S1C_bDpT10_ENKUlT_T0_E_clISt17integral_constantIbLb1EES1O_IbLb0EEEEDaS1K_S1L_EUlS1K_E_NS1_11comp_targetILNS1_3genE2ELNS1_11target_archE906ELNS1_3gpuE6ELNS1_3repE0EEENS1_30default_config_static_selectorELNS0_4arch9wavefront6targetE0EEEvSY_,comdat
.Lfunc_end1416:
	.size	_ZN7rocprim17ROCPRIM_400000_NS6detail17trampoline_kernelINS0_13select_configILj256ELj13ELNS0_17block_load_methodE3ELS4_3ELS4_3ELNS0_20block_scan_algorithmE0ELj4294967295EEENS1_25partition_config_selectorILNS1_17partition_subalgoE3EjNS0_10empty_typeEbEEZZNS1_14partition_implILS8_3ELb0ES6_jNS0_17counting_iteratorIjlEEPS9_SE_NS0_5tupleIJPjSE_EEENSF_IJSE_SE_EEES9_SG_JZNS1_25segmented_radix_sort_implINS0_14default_configELb0EPKfPfPKlPlN2at6native12_GLOBAL__N_18offset_tEEE10hipError_tPvRmT1_PNSt15iterator_traitsISY_E10value_typeET2_T3_PNSZ_IS14_E10value_typeET4_jRbjT5_S1A_jjP12ihipStream_tbEUljE_EEESV_SW_SX_S14_S18_S1A_T6_T7_T9_mT8_S1C_bDpT10_ENKUlT_T0_E_clISt17integral_constantIbLb1EES1O_IbLb0EEEEDaS1K_S1L_EUlS1K_E_NS1_11comp_targetILNS1_3genE2ELNS1_11target_archE906ELNS1_3gpuE6ELNS1_3repE0EEENS1_30default_config_static_selectorELNS0_4arch9wavefront6targetE0EEEvSY_, .Lfunc_end1416-_ZN7rocprim17ROCPRIM_400000_NS6detail17trampoline_kernelINS0_13select_configILj256ELj13ELNS0_17block_load_methodE3ELS4_3ELS4_3ELNS0_20block_scan_algorithmE0ELj4294967295EEENS1_25partition_config_selectorILNS1_17partition_subalgoE3EjNS0_10empty_typeEbEEZZNS1_14partition_implILS8_3ELb0ES6_jNS0_17counting_iteratorIjlEEPS9_SE_NS0_5tupleIJPjSE_EEENSF_IJSE_SE_EEES9_SG_JZNS1_25segmented_radix_sort_implINS0_14default_configELb0EPKfPfPKlPlN2at6native12_GLOBAL__N_18offset_tEEE10hipError_tPvRmT1_PNSt15iterator_traitsISY_E10value_typeET2_T3_PNSZ_IS14_E10value_typeET4_jRbjT5_S1A_jjP12ihipStream_tbEUljE_EEESV_SW_SX_S14_S18_S1A_T6_T7_T9_mT8_S1C_bDpT10_ENKUlT_T0_E_clISt17integral_constantIbLb1EES1O_IbLb0EEEEDaS1K_S1L_EUlS1K_E_NS1_11comp_targetILNS1_3genE2ELNS1_11target_archE906ELNS1_3gpuE6ELNS1_3repE0EEENS1_30default_config_static_selectorELNS0_4arch9wavefront6targetE0EEEvSY_
                                        ; -- End function
	.section	.AMDGPU.csdata,"",@progbits
; Kernel info:
; codeLenInByte = 0
; NumSgprs: 0
; NumVgprs: 0
; ScratchSize: 0
; MemoryBound: 0
; FloatMode: 240
; IeeeMode: 1
; LDSByteSize: 0 bytes/workgroup (compile time only)
; SGPRBlocks: 0
; VGPRBlocks: 0
; NumSGPRsForWavesPerEU: 1
; NumVGPRsForWavesPerEU: 1
; Occupancy: 16
; WaveLimiterHint : 0
; COMPUTE_PGM_RSRC2:SCRATCH_EN: 0
; COMPUTE_PGM_RSRC2:USER_SGPR: 15
; COMPUTE_PGM_RSRC2:TRAP_HANDLER: 0
; COMPUTE_PGM_RSRC2:TGID_X_EN: 1
; COMPUTE_PGM_RSRC2:TGID_Y_EN: 0
; COMPUTE_PGM_RSRC2:TGID_Z_EN: 0
; COMPUTE_PGM_RSRC2:TIDIG_COMP_CNT: 0
	.section	.text._ZN7rocprim17ROCPRIM_400000_NS6detail17trampoline_kernelINS0_13select_configILj256ELj13ELNS0_17block_load_methodE3ELS4_3ELS4_3ELNS0_20block_scan_algorithmE0ELj4294967295EEENS1_25partition_config_selectorILNS1_17partition_subalgoE3EjNS0_10empty_typeEbEEZZNS1_14partition_implILS8_3ELb0ES6_jNS0_17counting_iteratorIjlEEPS9_SE_NS0_5tupleIJPjSE_EEENSF_IJSE_SE_EEES9_SG_JZNS1_25segmented_radix_sort_implINS0_14default_configELb0EPKfPfPKlPlN2at6native12_GLOBAL__N_18offset_tEEE10hipError_tPvRmT1_PNSt15iterator_traitsISY_E10value_typeET2_T3_PNSZ_IS14_E10value_typeET4_jRbjT5_S1A_jjP12ihipStream_tbEUljE_EEESV_SW_SX_S14_S18_S1A_T6_T7_T9_mT8_S1C_bDpT10_ENKUlT_T0_E_clISt17integral_constantIbLb1EES1O_IbLb0EEEEDaS1K_S1L_EUlS1K_E_NS1_11comp_targetILNS1_3genE10ELNS1_11target_archE1200ELNS1_3gpuE4ELNS1_3repE0EEENS1_30default_config_static_selectorELNS0_4arch9wavefront6targetE0EEEvSY_,"axG",@progbits,_ZN7rocprim17ROCPRIM_400000_NS6detail17trampoline_kernelINS0_13select_configILj256ELj13ELNS0_17block_load_methodE3ELS4_3ELS4_3ELNS0_20block_scan_algorithmE0ELj4294967295EEENS1_25partition_config_selectorILNS1_17partition_subalgoE3EjNS0_10empty_typeEbEEZZNS1_14partition_implILS8_3ELb0ES6_jNS0_17counting_iteratorIjlEEPS9_SE_NS0_5tupleIJPjSE_EEENSF_IJSE_SE_EEES9_SG_JZNS1_25segmented_radix_sort_implINS0_14default_configELb0EPKfPfPKlPlN2at6native12_GLOBAL__N_18offset_tEEE10hipError_tPvRmT1_PNSt15iterator_traitsISY_E10value_typeET2_T3_PNSZ_IS14_E10value_typeET4_jRbjT5_S1A_jjP12ihipStream_tbEUljE_EEESV_SW_SX_S14_S18_S1A_T6_T7_T9_mT8_S1C_bDpT10_ENKUlT_T0_E_clISt17integral_constantIbLb1EES1O_IbLb0EEEEDaS1K_S1L_EUlS1K_E_NS1_11comp_targetILNS1_3genE10ELNS1_11target_archE1200ELNS1_3gpuE4ELNS1_3repE0EEENS1_30default_config_static_selectorELNS0_4arch9wavefront6targetE0EEEvSY_,comdat
	.globl	_ZN7rocprim17ROCPRIM_400000_NS6detail17trampoline_kernelINS0_13select_configILj256ELj13ELNS0_17block_load_methodE3ELS4_3ELS4_3ELNS0_20block_scan_algorithmE0ELj4294967295EEENS1_25partition_config_selectorILNS1_17partition_subalgoE3EjNS0_10empty_typeEbEEZZNS1_14partition_implILS8_3ELb0ES6_jNS0_17counting_iteratorIjlEEPS9_SE_NS0_5tupleIJPjSE_EEENSF_IJSE_SE_EEES9_SG_JZNS1_25segmented_radix_sort_implINS0_14default_configELb0EPKfPfPKlPlN2at6native12_GLOBAL__N_18offset_tEEE10hipError_tPvRmT1_PNSt15iterator_traitsISY_E10value_typeET2_T3_PNSZ_IS14_E10value_typeET4_jRbjT5_S1A_jjP12ihipStream_tbEUljE_EEESV_SW_SX_S14_S18_S1A_T6_T7_T9_mT8_S1C_bDpT10_ENKUlT_T0_E_clISt17integral_constantIbLb1EES1O_IbLb0EEEEDaS1K_S1L_EUlS1K_E_NS1_11comp_targetILNS1_3genE10ELNS1_11target_archE1200ELNS1_3gpuE4ELNS1_3repE0EEENS1_30default_config_static_selectorELNS0_4arch9wavefront6targetE0EEEvSY_ ; -- Begin function _ZN7rocprim17ROCPRIM_400000_NS6detail17trampoline_kernelINS0_13select_configILj256ELj13ELNS0_17block_load_methodE3ELS4_3ELS4_3ELNS0_20block_scan_algorithmE0ELj4294967295EEENS1_25partition_config_selectorILNS1_17partition_subalgoE3EjNS0_10empty_typeEbEEZZNS1_14partition_implILS8_3ELb0ES6_jNS0_17counting_iteratorIjlEEPS9_SE_NS0_5tupleIJPjSE_EEENSF_IJSE_SE_EEES9_SG_JZNS1_25segmented_radix_sort_implINS0_14default_configELb0EPKfPfPKlPlN2at6native12_GLOBAL__N_18offset_tEEE10hipError_tPvRmT1_PNSt15iterator_traitsISY_E10value_typeET2_T3_PNSZ_IS14_E10value_typeET4_jRbjT5_S1A_jjP12ihipStream_tbEUljE_EEESV_SW_SX_S14_S18_S1A_T6_T7_T9_mT8_S1C_bDpT10_ENKUlT_T0_E_clISt17integral_constantIbLb1EES1O_IbLb0EEEEDaS1K_S1L_EUlS1K_E_NS1_11comp_targetILNS1_3genE10ELNS1_11target_archE1200ELNS1_3gpuE4ELNS1_3repE0EEENS1_30default_config_static_selectorELNS0_4arch9wavefront6targetE0EEEvSY_
	.p2align	8
	.type	_ZN7rocprim17ROCPRIM_400000_NS6detail17trampoline_kernelINS0_13select_configILj256ELj13ELNS0_17block_load_methodE3ELS4_3ELS4_3ELNS0_20block_scan_algorithmE0ELj4294967295EEENS1_25partition_config_selectorILNS1_17partition_subalgoE3EjNS0_10empty_typeEbEEZZNS1_14partition_implILS8_3ELb0ES6_jNS0_17counting_iteratorIjlEEPS9_SE_NS0_5tupleIJPjSE_EEENSF_IJSE_SE_EEES9_SG_JZNS1_25segmented_radix_sort_implINS0_14default_configELb0EPKfPfPKlPlN2at6native12_GLOBAL__N_18offset_tEEE10hipError_tPvRmT1_PNSt15iterator_traitsISY_E10value_typeET2_T3_PNSZ_IS14_E10value_typeET4_jRbjT5_S1A_jjP12ihipStream_tbEUljE_EEESV_SW_SX_S14_S18_S1A_T6_T7_T9_mT8_S1C_bDpT10_ENKUlT_T0_E_clISt17integral_constantIbLb1EES1O_IbLb0EEEEDaS1K_S1L_EUlS1K_E_NS1_11comp_targetILNS1_3genE10ELNS1_11target_archE1200ELNS1_3gpuE4ELNS1_3repE0EEENS1_30default_config_static_selectorELNS0_4arch9wavefront6targetE0EEEvSY_,@function
_ZN7rocprim17ROCPRIM_400000_NS6detail17trampoline_kernelINS0_13select_configILj256ELj13ELNS0_17block_load_methodE3ELS4_3ELS4_3ELNS0_20block_scan_algorithmE0ELj4294967295EEENS1_25partition_config_selectorILNS1_17partition_subalgoE3EjNS0_10empty_typeEbEEZZNS1_14partition_implILS8_3ELb0ES6_jNS0_17counting_iteratorIjlEEPS9_SE_NS0_5tupleIJPjSE_EEENSF_IJSE_SE_EEES9_SG_JZNS1_25segmented_radix_sort_implINS0_14default_configELb0EPKfPfPKlPlN2at6native12_GLOBAL__N_18offset_tEEE10hipError_tPvRmT1_PNSt15iterator_traitsISY_E10value_typeET2_T3_PNSZ_IS14_E10value_typeET4_jRbjT5_S1A_jjP12ihipStream_tbEUljE_EEESV_SW_SX_S14_S18_S1A_T6_T7_T9_mT8_S1C_bDpT10_ENKUlT_T0_E_clISt17integral_constantIbLb1EES1O_IbLb0EEEEDaS1K_S1L_EUlS1K_E_NS1_11comp_targetILNS1_3genE10ELNS1_11target_archE1200ELNS1_3gpuE4ELNS1_3repE0EEENS1_30default_config_static_selectorELNS0_4arch9wavefront6targetE0EEEvSY_: ; @_ZN7rocprim17ROCPRIM_400000_NS6detail17trampoline_kernelINS0_13select_configILj256ELj13ELNS0_17block_load_methodE3ELS4_3ELS4_3ELNS0_20block_scan_algorithmE0ELj4294967295EEENS1_25partition_config_selectorILNS1_17partition_subalgoE3EjNS0_10empty_typeEbEEZZNS1_14partition_implILS8_3ELb0ES6_jNS0_17counting_iteratorIjlEEPS9_SE_NS0_5tupleIJPjSE_EEENSF_IJSE_SE_EEES9_SG_JZNS1_25segmented_radix_sort_implINS0_14default_configELb0EPKfPfPKlPlN2at6native12_GLOBAL__N_18offset_tEEE10hipError_tPvRmT1_PNSt15iterator_traitsISY_E10value_typeET2_T3_PNSZ_IS14_E10value_typeET4_jRbjT5_S1A_jjP12ihipStream_tbEUljE_EEESV_SW_SX_S14_S18_S1A_T6_T7_T9_mT8_S1C_bDpT10_ENKUlT_T0_E_clISt17integral_constantIbLb1EES1O_IbLb0EEEEDaS1K_S1L_EUlS1K_E_NS1_11comp_targetILNS1_3genE10ELNS1_11target_archE1200ELNS1_3gpuE4ELNS1_3repE0EEENS1_30default_config_static_selectorELNS0_4arch9wavefront6targetE0EEEvSY_
; %bb.0:
	.section	.rodata,"a",@progbits
	.p2align	6, 0x0
	.amdhsa_kernel _ZN7rocprim17ROCPRIM_400000_NS6detail17trampoline_kernelINS0_13select_configILj256ELj13ELNS0_17block_load_methodE3ELS4_3ELS4_3ELNS0_20block_scan_algorithmE0ELj4294967295EEENS1_25partition_config_selectorILNS1_17partition_subalgoE3EjNS0_10empty_typeEbEEZZNS1_14partition_implILS8_3ELb0ES6_jNS0_17counting_iteratorIjlEEPS9_SE_NS0_5tupleIJPjSE_EEENSF_IJSE_SE_EEES9_SG_JZNS1_25segmented_radix_sort_implINS0_14default_configELb0EPKfPfPKlPlN2at6native12_GLOBAL__N_18offset_tEEE10hipError_tPvRmT1_PNSt15iterator_traitsISY_E10value_typeET2_T3_PNSZ_IS14_E10value_typeET4_jRbjT5_S1A_jjP12ihipStream_tbEUljE_EEESV_SW_SX_S14_S18_S1A_T6_T7_T9_mT8_S1C_bDpT10_ENKUlT_T0_E_clISt17integral_constantIbLb1EES1O_IbLb0EEEEDaS1K_S1L_EUlS1K_E_NS1_11comp_targetILNS1_3genE10ELNS1_11target_archE1200ELNS1_3gpuE4ELNS1_3repE0EEENS1_30default_config_static_selectorELNS0_4arch9wavefront6targetE0EEEvSY_
		.amdhsa_group_segment_fixed_size 0
		.amdhsa_private_segment_fixed_size 0
		.amdhsa_kernarg_size 144
		.amdhsa_user_sgpr_count 15
		.amdhsa_user_sgpr_dispatch_ptr 0
		.amdhsa_user_sgpr_queue_ptr 0
		.amdhsa_user_sgpr_kernarg_segment_ptr 1
		.amdhsa_user_sgpr_dispatch_id 0
		.amdhsa_user_sgpr_private_segment_size 0
		.amdhsa_wavefront_size32 1
		.amdhsa_uses_dynamic_stack 0
		.amdhsa_enable_private_segment 0
		.amdhsa_system_sgpr_workgroup_id_x 1
		.amdhsa_system_sgpr_workgroup_id_y 0
		.amdhsa_system_sgpr_workgroup_id_z 0
		.amdhsa_system_sgpr_workgroup_info 0
		.amdhsa_system_vgpr_workitem_id 0
		.amdhsa_next_free_vgpr 1
		.amdhsa_next_free_sgpr 1
		.amdhsa_reserve_vcc 0
		.amdhsa_float_round_mode_32 0
		.amdhsa_float_round_mode_16_64 0
		.amdhsa_float_denorm_mode_32 3
		.amdhsa_float_denorm_mode_16_64 3
		.amdhsa_dx10_clamp 1
		.amdhsa_ieee_mode 1
		.amdhsa_fp16_overflow 0
		.amdhsa_workgroup_processor_mode 1
		.amdhsa_memory_ordered 1
		.amdhsa_forward_progress 0
		.amdhsa_shared_vgpr_count 0
		.amdhsa_exception_fp_ieee_invalid_op 0
		.amdhsa_exception_fp_denorm_src 0
		.amdhsa_exception_fp_ieee_div_zero 0
		.amdhsa_exception_fp_ieee_overflow 0
		.amdhsa_exception_fp_ieee_underflow 0
		.amdhsa_exception_fp_ieee_inexact 0
		.amdhsa_exception_int_div_zero 0
	.end_amdhsa_kernel
	.section	.text._ZN7rocprim17ROCPRIM_400000_NS6detail17trampoline_kernelINS0_13select_configILj256ELj13ELNS0_17block_load_methodE3ELS4_3ELS4_3ELNS0_20block_scan_algorithmE0ELj4294967295EEENS1_25partition_config_selectorILNS1_17partition_subalgoE3EjNS0_10empty_typeEbEEZZNS1_14partition_implILS8_3ELb0ES6_jNS0_17counting_iteratorIjlEEPS9_SE_NS0_5tupleIJPjSE_EEENSF_IJSE_SE_EEES9_SG_JZNS1_25segmented_radix_sort_implINS0_14default_configELb0EPKfPfPKlPlN2at6native12_GLOBAL__N_18offset_tEEE10hipError_tPvRmT1_PNSt15iterator_traitsISY_E10value_typeET2_T3_PNSZ_IS14_E10value_typeET4_jRbjT5_S1A_jjP12ihipStream_tbEUljE_EEESV_SW_SX_S14_S18_S1A_T6_T7_T9_mT8_S1C_bDpT10_ENKUlT_T0_E_clISt17integral_constantIbLb1EES1O_IbLb0EEEEDaS1K_S1L_EUlS1K_E_NS1_11comp_targetILNS1_3genE10ELNS1_11target_archE1200ELNS1_3gpuE4ELNS1_3repE0EEENS1_30default_config_static_selectorELNS0_4arch9wavefront6targetE0EEEvSY_,"axG",@progbits,_ZN7rocprim17ROCPRIM_400000_NS6detail17trampoline_kernelINS0_13select_configILj256ELj13ELNS0_17block_load_methodE3ELS4_3ELS4_3ELNS0_20block_scan_algorithmE0ELj4294967295EEENS1_25partition_config_selectorILNS1_17partition_subalgoE3EjNS0_10empty_typeEbEEZZNS1_14partition_implILS8_3ELb0ES6_jNS0_17counting_iteratorIjlEEPS9_SE_NS0_5tupleIJPjSE_EEENSF_IJSE_SE_EEES9_SG_JZNS1_25segmented_radix_sort_implINS0_14default_configELb0EPKfPfPKlPlN2at6native12_GLOBAL__N_18offset_tEEE10hipError_tPvRmT1_PNSt15iterator_traitsISY_E10value_typeET2_T3_PNSZ_IS14_E10value_typeET4_jRbjT5_S1A_jjP12ihipStream_tbEUljE_EEESV_SW_SX_S14_S18_S1A_T6_T7_T9_mT8_S1C_bDpT10_ENKUlT_T0_E_clISt17integral_constantIbLb1EES1O_IbLb0EEEEDaS1K_S1L_EUlS1K_E_NS1_11comp_targetILNS1_3genE10ELNS1_11target_archE1200ELNS1_3gpuE4ELNS1_3repE0EEENS1_30default_config_static_selectorELNS0_4arch9wavefront6targetE0EEEvSY_,comdat
.Lfunc_end1417:
	.size	_ZN7rocprim17ROCPRIM_400000_NS6detail17trampoline_kernelINS0_13select_configILj256ELj13ELNS0_17block_load_methodE3ELS4_3ELS4_3ELNS0_20block_scan_algorithmE0ELj4294967295EEENS1_25partition_config_selectorILNS1_17partition_subalgoE3EjNS0_10empty_typeEbEEZZNS1_14partition_implILS8_3ELb0ES6_jNS0_17counting_iteratorIjlEEPS9_SE_NS0_5tupleIJPjSE_EEENSF_IJSE_SE_EEES9_SG_JZNS1_25segmented_radix_sort_implINS0_14default_configELb0EPKfPfPKlPlN2at6native12_GLOBAL__N_18offset_tEEE10hipError_tPvRmT1_PNSt15iterator_traitsISY_E10value_typeET2_T3_PNSZ_IS14_E10value_typeET4_jRbjT5_S1A_jjP12ihipStream_tbEUljE_EEESV_SW_SX_S14_S18_S1A_T6_T7_T9_mT8_S1C_bDpT10_ENKUlT_T0_E_clISt17integral_constantIbLb1EES1O_IbLb0EEEEDaS1K_S1L_EUlS1K_E_NS1_11comp_targetILNS1_3genE10ELNS1_11target_archE1200ELNS1_3gpuE4ELNS1_3repE0EEENS1_30default_config_static_selectorELNS0_4arch9wavefront6targetE0EEEvSY_, .Lfunc_end1417-_ZN7rocprim17ROCPRIM_400000_NS6detail17trampoline_kernelINS0_13select_configILj256ELj13ELNS0_17block_load_methodE3ELS4_3ELS4_3ELNS0_20block_scan_algorithmE0ELj4294967295EEENS1_25partition_config_selectorILNS1_17partition_subalgoE3EjNS0_10empty_typeEbEEZZNS1_14partition_implILS8_3ELb0ES6_jNS0_17counting_iteratorIjlEEPS9_SE_NS0_5tupleIJPjSE_EEENSF_IJSE_SE_EEES9_SG_JZNS1_25segmented_radix_sort_implINS0_14default_configELb0EPKfPfPKlPlN2at6native12_GLOBAL__N_18offset_tEEE10hipError_tPvRmT1_PNSt15iterator_traitsISY_E10value_typeET2_T3_PNSZ_IS14_E10value_typeET4_jRbjT5_S1A_jjP12ihipStream_tbEUljE_EEESV_SW_SX_S14_S18_S1A_T6_T7_T9_mT8_S1C_bDpT10_ENKUlT_T0_E_clISt17integral_constantIbLb1EES1O_IbLb0EEEEDaS1K_S1L_EUlS1K_E_NS1_11comp_targetILNS1_3genE10ELNS1_11target_archE1200ELNS1_3gpuE4ELNS1_3repE0EEENS1_30default_config_static_selectorELNS0_4arch9wavefront6targetE0EEEvSY_
                                        ; -- End function
	.section	.AMDGPU.csdata,"",@progbits
; Kernel info:
; codeLenInByte = 0
; NumSgprs: 0
; NumVgprs: 0
; ScratchSize: 0
; MemoryBound: 0
; FloatMode: 240
; IeeeMode: 1
; LDSByteSize: 0 bytes/workgroup (compile time only)
; SGPRBlocks: 0
; VGPRBlocks: 0
; NumSGPRsForWavesPerEU: 1
; NumVGPRsForWavesPerEU: 1
; Occupancy: 16
; WaveLimiterHint : 0
; COMPUTE_PGM_RSRC2:SCRATCH_EN: 0
; COMPUTE_PGM_RSRC2:USER_SGPR: 15
; COMPUTE_PGM_RSRC2:TRAP_HANDLER: 0
; COMPUTE_PGM_RSRC2:TGID_X_EN: 1
; COMPUTE_PGM_RSRC2:TGID_Y_EN: 0
; COMPUTE_PGM_RSRC2:TGID_Z_EN: 0
; COMPUTE_PGM_RSRC2:TIDIG_COMP_CNT: 0
	.section	.text._ZN7rocprim17ROCPRIM_400000_NS6detail17trampoline_kernelINS0_13select_configILj256ELj13ELNS0_17block_load_methodE3ELS4_3ELS4_3ELNS0_20block_scan_algorithmE0ELj4294967295EEENS1_25partition_config_selectorILNS1_17partition_subalgoE3EjNS0_10empty_typeEbEEZZNS1_14partition_implILS8_3ELb0ES6_jNS0_17counting_iteratorIjlEEPS9_SE_NS0_5tupleIJPjSE_EEENSF_IJSE_SE_EEES9_SG_JZNS1_25segmented_radix_sort_implINS0_14default_configELb0EPKfPfPKlPlN2at6native12_GLOBAL__N_18offset_tEEE10hipError_tPvRmT1_PNSt15iterator_traitsISY_E10value_typeET2_T3_PNSZ_IS14_E10value_typeET4_jRbjT5_S1A_jjP12ihipStream_tbEUljE_EEESV_SW_SX_S14_S18_S1A_T6_T7_T9_mT8_S1C_bDpT10_ENKUlT_T0_E_clISt17integral_constantIbLb1EES1O_IbLb0EEEEDaS1K_S1L_EUlS1K_E_NS1_11comp_targetILNS1_3genE9ELNS1_11target_archE1100ELNS1_3gpuE3ELNS1_3repE0EEENS1_30default_config_static_selectorELNS0_4arch9wavefront6targetE0EEEvSY_,"axG",@progbits,_ZN7rocprim17ROCPRIM_400000_NS6detail17trampoline_kernelINS0_13select_configILj256ELj13ELNS0_17block_load_methodE3ELS4_3ELS4_3ELNS0_20block_scan_algorithmE0ELj4294967295EEENS1_25partition_config_selectorILNS1_17partition_subalgoE3EjNS0_10empty_typeEbEEZZNS1_14partition_implILS8_3ELb0ES6_jNS0_17counting_iteratorIjlEEPS9_SE_NS0_5tupleIJPjSE_EEENSF_IJSE_SE_EEES9_SG_JZNS1_25segmented_radix_sort_implINS0_14default_configELb0EPKfPfPKlPlN2at6native12_GLOBAL__N_18offset_tEEE10hipError_tPvRmT1_PNSt15iterator_traitsISY_E10value_typeET2_T3_PNSZ_IS14_E10value_typeET4_jRbjT5_S1A_jjP12ihipStream_tbEUljE_EEESV_SW_SX_S14_S18_S1A_T6_T7_T9_mT8_S1C_bDpT10_ENKUlT_T0_E_clISt17integral_constantIbLb1EES1O_IbLb0EEEEDaS1K_S1L_EUlS1K_E_NS1_11comp_targetILNS1_3genE9ELNS1_11target_archE1100ELNS1_3gpuE3ELNS1_3repE0EEENS1_30default_config_static_selectorELNS0_4arch9wavefront6targetE0EEEvSY_,comdat
	.globl	_ZN7rocprim17ROCPRIM_400000_NS6detail17trampoline_kernelINS0_13select_configILj256ELj13ELNS0_17block_load_methodE3ELS4_3ELS4_3ELNS0_20block_scan_algorithmE0ELj4294967295EEENS1_25partition_config_selectorILNS1_17partition_subalgoE3EjNS0_10empty_typeEbEEZZNS1_14partition_implILS8_3ELb0ES6_jNS0_17counting_iteratorIjlEEPS9_SE_NS0_5tupleIJPjSE_EEENSF_IJSE_SE_EEES9_SG_JZNS1_25segmented_radix_sort_implINS0_14default_configELb0EPKfPfPKlPlN2at6native12_GLOBAL__N_18offset_tEEE10hipError_tPvRmT1_PNSt15iterator_traitsISY_E10value_typeET2_T3_PNSZ_IS14_E10value_typeET4_jRbjT5_S1A_jjP12ihipStream_tbEUljE_EEESV_SW_SX_S14_S18_S1A_T6_T7_T9_mT8_S1C_bDpT10_ENKUlT_T0_E_clISt17integral_constantIbLb1EES1O_IbLb0EEEEDaS1K_S1L_EUlS1K_E_NS1_11comp_targetILNS1_3genE9ELNS1_11target_archE1100ELNS1_3gpuE3ELNS1_3repE0EEENS1_30default_config_static_selectorELNS0_4arch9wavefront6targetE0EEEvSY_ ; -- Begin function _ZN7rocprim17ROCPRIM_400000_NS6detail17trampoline_kernelINS0_13select_configILj256ELj13ELNS0_17block_load_methodE3ELS4_3ELS4_3ELNS0_20block_scan_algorithmE0ELj4294967295EEENS1_25partition_config_selectorILNS1_17partition_subalgoE3EjNS0_10empty_typeEbEEZZNS1_14partition_implILS8_3ELb0ES6_jNS0_17counting_iteratorIjlEEPS9_SE_NS0_5tupleIJPjSE_EEENSF_IJSE_SE_EEES9_SG_JZNS1_25segmented_radix_sort_implINS0_14default_configELb0EPKfPfPKlPlN2at6native12_GLOBAL__N_18offset_tEEE10hipError_tPvRmT1_PNSt15iterator_traitsISY_E10value_typeET2_T3_PNSZ_IS14_E10value_typeET4_jRbjT5_S1A_jjP12ihipStream_tbEUljE_EEESV_SW_SX_S14_S18_S1A_T6_T7_T9_mT8_S1C_bDpT10_ENKUlT_T0_E_clISt17integral_constantIbLb1EES1O_IbLb0EEEEDaS1K_S1L_EUlS1K_E_NS1_11comp_targetILNS1_3genE9ELNS1_11target_archE1100ELNS1_3gpuE3ELNS1_3repE0EEENS1_30default_config_static_selectorELNS0_4arch9wavefront6targetE0EEEvSY_
	.p2align	8
	.type	_ZN7rocprim17ROCPRIM_400000_NS6detail17trampoline_kernelINS0_13select_configILj256ELj13ELNS0_17block_load_methodE3ELS4_3ELS4_3ELNS0_20block_scan_algorithmE0ELj4294967295EEENS1_25partition_config_selectorILNS1_17partition_subalgoE3EjNS0_10empty_typeEbEEZZNS1_14partition_implILS8_3ELb0ES6_jNS0_17counting_iteratorIjlEEPS9_SE_NS0_5tupleIJPjSE_EEENSF_IJSE_SE_EEES9_SG_JZNS1_25segmented_radix_sort_implINS0_14default_configELb0EPKfPfPKlPlN2at6native12_GLOBAL__N_18offset_tEEE10hipError_tPvRmT1_PNSt15iterator_traitsISY_E10value_typeET2_T3_PNSZ_IS14_E10value_typeET4_jRbjT5_S1A_jjP12ihipStream_tbEUljE_EEESV_SW_SX_S14_S18_S1A_T6_T7_T9_mT8_S1C_bDpT10_ENKUlT_T0_E_clISt17integral_constantIbLb1EES1O_IbLb0EEEEDaS1K_S1L_EUlS1K_E_NS1_11comp_targetILNS1_3genE9ELNS1_11target_archE1100ELNS1_3gpuE3ELNS1_3repE0EEENS1_30default_config_static_selectorELNS0_4arch9wavefront6targetE0EEEvSY_,@function
_ZN7rocprim17ROCPRIM_400000_NS6detail17trampoline_kernelINS0_13select_configILj256ELj13ELNS0_17block_load_methodE3ELS4_3ELS4_3ELNS0_20block_scan_algorithmE0ELj4294967295EEENS1_25partition_config_selectorILNS1_17partition_subalgoE3EjNS0_10empty_typeEbEEZZNS1_14partition_implILS8_3ELb0ES6_jNS0_17counting_iteratorIjlEEPS9_SE_NS0_5tupleIJPjSE_EEENSF_IJSE_SE_EEES9_SG_JZNS1_25segmented_radix_sort_implINS0_14default_configELb0EPKfPfPKlPlN2at6native12_GLOBAL__N_18offset_tEEE10hipError_tPvRmT1_PNSt15iterator_traitsISY_E10value_typeET2_T3_PNSZ_IS14_E10value_typeET4_jRbjT5_S1A_jjP12ihipStream_tbEUljE_EEESV_SW_SX_S14_S18_S1A_T6_T7_T9_mT8_S1C_bDpT10_ENKUlT_T0_E_clISt17integral_constantIbLb1EES1O_IbLb0EEEEDaS1K_S1L_EUlS1K_E_NS1_11comp_targetILNS1_3genE9ELNS1_11target_archE1100ELNS1_3gpuE3ELNS1_3repE0EEENS1_30default_config_static_selectorELNS0_4arch9wavefront6targetE0EEEvSY_: ; @_ZN7rocprim17ROCPRIM_400000_NS6detail17trampoline_kernelINS0_13select_configILj256ELj13ELNS0_17block_load_methodE3ELS4_3ELS4_3ELNS0_20block_scan_algorithmE0ELj4294967295EEENS1_25partition_config_selectorILNS1_17partition_subalgoE3EjNS0_10empty_typeEbEEZZNS1_14partition_implILS8_3ELb0ES6_jNS0_17counting_iteratorIjlEEPS9_SE_NS0_5tupleIJPjSE_EEENSF_IJSE_SE_EEES9_SG_JZNS1_25segmented_radix_sort_implINS0_14default_configELb0EPKfPfPKlPlN2at6native12_GLOBAL__N_18offset_tEEE10hipError_tPvRmT1_PNSt15iterator_traitsISY_E10value_typeET2_T3_PNSZ_IS14_E10value_typeET4_jRbjT5_S1A_jjP12ihipStream_tbEUljE_EEESV_SW_SX_S14_S18_S1A_T6_T7_T9_mT8_S1C_bDpT10_ENKUlT_T0_E_clISt17integral_constantIbLb1EES1O_IbLb0EEEEDaS1K_S1L_EUlS1K_E_NS1_11comp_targetILNS1_3genE9ELNS1_11target_archE1100ELNS1_3gpuE3ELNS1_3repE0EEENS1_30default_config_static_selectorELNS0_4arch9wavefront6targetE0EEEvSY_
; %bb.0:
	s_clause 0x5
	s_load_b32 s2, s[0:1], 0x70
	s_load_b64 s[16:17], s[0:1], 0x10
	s_load_b64 s[12:13], s[0:1], 0x58
	s_load_b32 s18, s[0:1], 0x8
	s_load_b128 s[8:11], s[0:1], 0x48
	s_load_b128 s[4:7], s[0:1], 0x78
	s_mul_i32 s23, s15, 0xd00
	v_lshlrev_b32_e32 v30, 2, v0
	s_waitcnt lgkmcnt(0)
	s_mul_i32 s20, s2, 0xd00
	s_add_i32 s19, s2, -1
	s_add_u32 s2, s16, s20
	s_addc_u32 s3, s17, 0
	s_cmp_eq_u32 s15, s19
	v_cmp_lt_u64_e64 s3, s[2:3], s[12:13]
	s_cselect_b32 s14, -1, 0
	s_cmp_lg_u32 s15, s19
	s_cselect_b32 s21, -1, 0
	s_add_i32 s2, s18, s23
	s_delay_alu instid0(VALU_DEP_1)
	s_or_b32 s3, s21, s3
	s_add_i32 s18, s2, s16
	s_load_b32 s2, s[0:1], 0x88
	v_add_nc_u32_e32 v1, s18, v0
	s_load_b64 s[18:19], s[10:11], 0x0
	s_and_b32 vcc_lo, exec_lo, s3
	s_mov_b32 s10, -1
	s_delay_alu instid0(VALU_DEP_1)
	v_add_nc_u32_e32 v2, 0x100, v1
	v_add_nc_u32_e32 v3, 0x200, v1
	;; [unrolled: 1-line block ×12, first 2 shown]
	s_cbranch_vccz .LBB1418_2
; %bb.1:
	ds_store_2addr_stride64_b32 v30, v1, v2 offset1:4
	ds_store_2addr_stride64_b32 v30, v3, v4 offset0:8 offset1:12
	ds_store_2addr_stride64_b32 v30, v5, v6 offset0:16 offset1:20
	;; [unrolled: 1-line block ×5, first 2 shown]
	ds_store_b32 v30, v13 offset:12288
	s_waitcnt lgkmcnt(0)
	s_mov_b32 s10, 0
	s_barrier
.LBB1418_2:
	s_and_not1_b32 vcc_lo, exec_lo, s10
	s_add_i32 s20, s20, s16
	s_cbranch_vccnz .LBB1418_4
; %bb.3:
	ds_store_2addr_stride64_b32 v30, v1, v2 offset1:4
	ds_store_2addr_stride64_b32 v30, v3, v4 offset0:8 offset1:12
	ds_store_2addr_stride64_b32 v30, v5, v6 offset0:16 offset1:20
	;; [unrolled: 1-line block ×5, first 2 shown]
	ds_store_b32 v30, v13 offset:12288
	s_waitcnt lgkmcnt(0)
	s_barrier
.LBB1418_4:
	v_mul_u32_u24_e32 v33, 13, v0
	s_waitcnt lgkmcnt(0)
	buffer_gl0_inv
	v_cndmask_b32_e64 v31, 0, 1, s3
	s_sub_i32 s22, s12, s20
	s_and_not1_b32 vcc_lo, exec_lo, s3
	v_lshlrev_b32_e32 v1, 2, v33
	ds_load_2addr_b32 v[28:29], v1 offset1:1
	ds_load_2addr_b32 v[26:27], v1 offset0:2 offset1:3
	ds_load_2addr_b32 v[24:25], v1 offset0:4 offset1:5
	ds_load_2addr_b32 v[22:23], v1 offset0:6 offset1:7
	ds_load_2addr_b32 v[20:21], v1 offset0:8 offset1:9
	ds_load_2addr_b32 v[18:19], v1 offset0:10 offset1:11
	ds_load_b32 v32, v1 offset:48
	s_waitcnt lgkmcnt(0)
	s_barrier
	buffer_gl0_inv
	s_cbranch_vccnz .LBB1418_6
; %bb.5:
	v_add_nc_u32_e32 v1, s5, v28
	v_add_nc_u32_e32 v2, s7, v28
	;; [unrolled: 1-line block ×5, first 2 shown]
	v_mul_lo_u32 v1, v1, s4
	v_mul_lo_u32 v2, v2, s6
	;; [unrolled: 1-line block ×4, first 2 shown]
	v_add_nc_u32_e32 v6, s7, v26
	v_add_nc_u32_e32 v7, s5, v27
	;; [unrolled: 1-line block ×3, first 2 shown]
	v_mul_lo_u32 v5, v5, s4
	v_add_nc_u32_e32 v9, s5, v22
	v_sub_nc_u32_e32 v1, v1, v2
	v_mul_lo_u32 v2, v6, s6
	v_sub_nc_u32_e32 v3, v3, v4
	v_mul_lo_u32 v4, v7, s4
	v_mul_lo_u32 v6, v8, s6
	v_add_nc_u32_e32 v7, s5, v24
	v_cmp_lt_u32_e32 vcc_lo, s2, v1
	v_add_nc_u32_e32 v8, s5, v25
	v_add_nc_u32_e32 v10, s7, v22
	v_sub_nc_u32_e32 v2, v5, v2
	v_add_nc_u32_e32 v5, s7, v24
	v_cndmask_b32_e64 v1, 0, 1, vcc_lo
	v_sub_nc_u32_e32 v4, v4, v6
	v_mul_lo_u32 v6, v7, s4
	v_add_nc_u32_e32 v7, s7, v25
	v_cmp_lt_u32_e32 vcc_lo, s2, v3
	v_mul_lo_u32 v5, v5, s6
	v_mul_lo_u32 v8, v8, s4
	v_mul_lo_u32 v9, v9, s4
	v_mul_lo_u32 v7, v7, s6
	v_cndmask_b32_e64 v3, 0, 1, vcc_lo
	v_cmp_lt_u32_e32 vcc_lo, s2, v2
	v_mul_lo_u32 v10, v10, s6
	v_add_nc_u32_e32 v11, s5, v20
	v_sub_nc_u32_e32 v5, v6, v5
	v_add_nc_u32_e32 v12, s7, v20
	v_cndmask_b32_e64 v2, 0, 1, vcc_lo
	v_sub_nc_u32_e32 v6, v8, v7
	v_add_nc_u32_e32 v7, s5, v23
	v_add_nc_u32_e32 v8, s7, v23
	v_cmp_lt_u32_e32 vcc_lo, s2, v4
	v_sub_nc_u32_e32 v9, v9, v10
	v_mul_lo_u32 v10, v11, s4
	v_mul_lo_u32 v7, v7, s4
	;; [unrolled: 1-line block ×4, first 2 shown]
	v_cndmask_b32_e64 v4, 0, 1, vcc_lo
	v_cmp_lt_u32_e32 vcc_lo, s2, v5
	v_add_nc_u32_e32 v12, s5, v21
	v_add_nc_u32_e32 v13, s7, v18
	;; [unrolled: 1-line block ×4, first 2 shown]
	v_cndmask_b32_e64 v5, 0, 1, vcc_lo
	v_cmp_lt_u32_e32 vcc_lo, s2, v6
	v_sub_nc_u32_e32 v7, v7, v8
	v_sub_nc_u32_e32 v8, v10, v11
	v_add_nc_u32_e32 v11, s7, v21
	v_mul_lo_u32 v10, v12, s4
	v_cndmask_b32_e64 v6, 0, 1, vcc_lo
	v_cmp_lt_u32_e32 vcc_lo, s2, v9
	v_add_nc_u32_e32 v12, s5, v18
	v_mul_lo_u32 v11, v11, s6
	v_mul_lo_u32 v13, v13, s6
	;; [unrolled: 1-line block ×3, first 2 shown]
	v_cndmask_b32_e64 v9, 0, 1, vcc_lo
	v_cmp_lt_u32_e32 vcc_lo, s2, v7
	v_mul_lo_u32 v12, v12, s4
	v_mul_lo_u32 v15, v15, s6
	v_lshlrev_b16 v3, 8, v3
	v_sub_nc_u32_e32 v10, v10, v11
	v_cndmask_b32_e64 v7, 0, 1, vcc_lo
	v_cmp_lt_u32_e32 vcc_lo, s2, v8
	v_add_nc_u32_e32 v11, s5, v32
	v_or_b32_e32 v1, v1, v3
	v_sub_nc_u32_e32 v12, v12, v13
	v_sub_nc_u32_e32 v13, v14, v15
	v_cndmask_b32_e64 v8, 0, 1, vcc_lo
	v_cmp_lt_u32_e32 vcc_lo, s2, v10
	v_add_nc_u32_e32 v16, s7, v32
	v_mul_lo_u32 v11, v11, s4
	v_lshlrev_b16 v4, 8, v4
	v_lshlrev_b16 v6, 8, v6
	v_cndmask_b32_e64 v10, 0, 1, vcc_lo
	v_cmp_lt_u32_e32 vcc_lo, s2, v12
	v_mul_lo_u32 v14, v16, s6
	v_lshlrev_b16 v7, 8, v7
	v_or_b32_e32 v2, v2, v4
	v_lshlrev_b16 v10, 8, v10
	v_cndmask_b32_e64 v3, 0, 1, vcc_lo
	v_cmp_lt_u32_e32 vcc_lo, s2, v13
	v_or_b32_e32 v4, v5, v6
	v_or_b32_e32 v5, v9, v7
	v_sub_nc_u32_e32 v11, v11, v14
	v_or_b32_e32 v6, v8, v10
	v_cndmask_b32_e64 v12, 0, 1, vcc_lo
	v_and_b32_e32 v1, 0xffff, v1
	v_lshlrev_b32_e32 v2, 16, v2
	v_and_b32_e32 v4, 0xffff, v4
	v_lshlrev_b32_e32 v5, 16, v5
	v_lshlrev_b16 v12, 8, v12
	v_and_b32_e32 v6, 0xffff, v6
	v_cmp_lt_u32_e32 vcc_lo, s2, v11
	v_or_b32_e32 v39, v1, v2
	v_or_b32_e32 v37, v4, v5
	;; [unrolled: 1-line block ×3, first 2 shown]
	s_mov_b32 s3, 0
	v_cndmask_b32_e64 v34, 0, 1, vcc_lo
	s_delay_alu instid0(VALU_DEP_2) | instskip(NEXT) | instid1(VALU_DEP_1)
	v_lshlrev_b32_e32 v3, 16, v3
	v_or_b32_e32 v35, v6, v3
	s_branch .LBB1418_7
.LBB1418_6:
	s_mov_b32 s3, -1
                                        ; implicit-def: $vgpr34
                                        ; implicit-def: $vgpr35
                                        ; implicit-def: $vgpr37
                                        ; implicit-def: $vgpr39
.LBB1418_7:
	s_clause 0x1
	s_load_b64 s[10:11], s[0:1], 0x28
	s_load_b64 s[20:21], s[0:1], 0x68
	s_and_not1_b32 vcc_lo, exec_lo, s3
	s_addk_i32 s22, 0xd00
	s_cbranch_vccnz .LBB1418_35
; %bb.8:
	v_dual_mov_b32 v2, 0 :: v_dual_mov_b32 v1, 0
	s_mov_b32 s0, exec_lo
	v_cmpx_gt_u32_e64 s22, v33
; %bb.9:
	v_add_nc_u32_e32 v1, s5, v28
	v_add_nc_u32_e32 v3, s7, v28
	s_delay_alu instid0(VALU_DEP_2) | instskip(NEXT) | instid1(VALU_DEP_2)
	v_mul_lo_u32 v1, v1, s4
	v_mul_lo_u32 v3, v3, s6
	s_delay_alu instid0(VALU_DEP_1) | instskip(NEXT) | instid1(VALU_DEP_1)
	v_sub_nc_u32_e32 v1, v1, v3
	v_cmp_lt_u32_e32 vcc_lo, s2, v1
	v_cndmask_b32_e64 v1, 0, 1, vcc_lo
; %bb.10:
	s_or_b32 exec_lo, exec_lo, s0
	v_add_nc_u32_e32 v3, 1, v33
	s_mov_b32 s0, exec_lo
	s_delay_alu instid0(VALU_DEP_1)
	v_cmpx_gt_u32_e64 s22, v3
; %bb.11:
	v_add_nc_u32_e32 v2, s5, v29
	v_add_nc_u32_e32 v3, s7, v29
	s_delay_alu instid0(VALU_DEP_2) | instskip(NEXT) | instid1(VALU_DEP_2)
	v_mul_lo_u32 v2, v2, s4
	v_mul_lo_u32 v3, v3, s6
	s_delay_alu instid0(VALU_DEP_1) | instskip(NEXT) | instid1(VALU_DEP_1)
	v_sub_nc_u32_e32 v2, v2, v3
	v_cmp_lt_u32_e32 vcc_lo, s2, v2
	v_cndmask_b32_e64 v2, 0, 1, vcc_lo
; %bb.12:
	s_or_b32 exec_lo, exec_lo, s0
	v_dual_mov_b32 v4, 0 :: v_dual_add_nc_u32 v3, 2, v33
	s_delay_alu instid0(VALU_DEP_1)
	v_cmp_gt_u32_e32 vcc_lo, s22, v3
	v_mov_b32_e32 v3, 0
	s_and_saveexec_b32 s0, vcc_lo
; %bb.13:
	v_add_nc_u32_e32 v3, s5, v26
	v_add_nc_u32_e32 v5, s7, v26
	s_delay_alu instid0(VALU_DEP_2) | instskip(NEXT) | instid1(VALU_DEP_2)
	v_mul_lo_u32 v3, v3, s4
	v_mul_lo_u32 v5, v5, s6
	s_delay_alu instid0(VALU_DEP_1) | instskip(NEXT) | instid1(VALU_DEP_1)
	v_sub_nc_u32_e32 v3, v3, v5
	v_cmp_lt_u32_e32 vcc_lo, s2, v3
	v_cndmask_b32_e64 v3, 0, 1, vcc_lo
; %bb.14:
	s_or_b32 exec_lo, exec_lo, s0
	v_add_nc_u32_e32 v5, 3, v33
	s_mov_b32 s0, exec_lo
	s_delay_alu instid0(VALU_DEP_1)
	v_cmpx_gt_u32_e64 s22, v5
; %bb.15:
	v_add_nc_u32_e32 v4, s5, v27
	v_add_nc_u32_e32 v5, s7, v27
	s_delay_alu instid0(VALU_DEP_2) | instskip(NEXT) | instid1(VALU_DEP_2)
	v_mul_lo_u32 v4, v4, s4
	v_mul_lo_u32 v5, v5, s6
	s_delay_alu instid0(VALU_DEP_1) | instskip(NEXT) | instid1(VALU_DEP_1)
	v_sub_nc_u32_e32 v4, v4, v5
	v_cmp_lt_u32_e32 vcc_lo, s2, v4
	v_cndmask_b32_e64 v4, 0, 1, vcc_lo
; %bb.16:
	s_or_b32 exec_lo, exec_lo, s0
	v_dual_mov_b32 v6, 0 :: v_dual_add_nc_u32 v5, 4, v33
	s_delay_alu instid0(VALU_DEP_1)
	v_cmp_gt_u32_e32 vcc_lo, s22, v5
	v_mov_b32_e32 v5, 0
	s_and_saveexec_b32 s0, vcc_lo
	;; [unrolled: 33-line block ×5, first 2 shown]
; %bb.29:
	v_add_nc_u32_e32 v11, s5, v18
	v_add_nc_u32_e32 v13, s7, v18
	s_delay_alu instid0(VALU_DEP_2) | instskip(NEXT) | instid1(VALU_DEP_2)
	v_mul_lo_u32 v11, v11, s4
	v_mul_lo_u32 v13, v13, s6
	s_delay_alu instid0(VALU_DEP_1) | instskip(NEXT) | instid1(VALU_DEP_1)
	v_sub_nc_u32_e32 v11, v11, v13
	v_cmp_lt_u32_e32 vcc_lo, s2, v11
	v_cndmask_b32_e64 v11, 0, 1, vcc_lo
; %bb.30:
	s_or_b32 exec_lo, exec_lo, s0
	v_add_nc_u32_e32 v13, 11, v33
	s_mov_b32 s0, exec_lo
	s_delay_alu instid0(VALU_DEP_1)
	v_cmpx_gt_u32_e64 s22, v13
; %bb.31:
	v_add_nc_u32_e32 v12, s5, v19
	v_add_nc_u32_e32 v13, s7, v19
	s_delay_alu instid0(VALU_DEP_2) | instskip(NEXT) | instid1(VALU_DEP_2)
	v_mul_lo_u32 v12, v12, s4
	v_mul_lo_u32 v13, v13, s6
	s_delay_alu instid0(VALU_DEP_1) | instskip(NEXT) | instid1(VALU_DEP_1)
	v_sub_nc_u32_e32 v12, v12, v13
	v_cmp_lt_u32_e32 vcc_lo, s2, v12
	v_cndmask_b32_e64 v12, 0, 1, vcc_lo
; %bb.32:
	s_or_b32 exec_lo, exec_lo, s0
	v_dual_mov_b32 v34, 0 :: v_dual_add_nc_u32 v13, 12, v33
	s_mov_b32 s0, exec_lo
	s_delay_alu instid0(VALU_DEP_1)
	v_cmpx_gt_u32_e64 s22, v13
; %bb.33:
	v_add_nc_u32_e32 v13, s5, v32
	v_add_nc_u32_e32 v14, s7, v32
	s_delay_alu instid0(VALU_DEP_2) | instskip(NEXT) | instid1(VALU_DEP_2)
	v_mul_lo_u32 v13, v13, s4
	v_mul_lo_u32 v14, v14, s6
	s_delay_alu instid0(VALU_DEP_1) | instskip(NEXT) | instid1(VALU_DEP_1)
	v_sub_nc_u32_e32 v13, v13, v14
	v_cmp_lt_u32_e32 vcc_lo, s2, v13
	v_cndmask_b32_e64 v34, 0, 1, vcc_lo
; %bb.34:
	s_or_b32 exec_lo, exec_lo, s0
	v_lshlrev_b16 v2, 8, v2
	v_lshlrev_b16 v4, 8, v4
	;; [unrolled: 1-line block ×5, first 2 shown]
	v_or_b32_e32 v1, v1, v2
	v_lshlrev_b16 v2, 8, v12
	v_or_b32_e32 v3, v3, v4
	v_or_b32_e32 v4, v5, v6
	;; [unrolled: 1-line block ×5, first 2 shown]
	v_and_b32_e32 v1, 0xffff, v1
	v_lshlrev_b32_e32 v3, 16, v3
	v_and_b32_e32 v4, 0xffff, v4
	v_lshlrev_b32_e32 v5, 16, v5
	;; [unrolled: 2-line block ×3, first 2 shown]
	v_or_b32_e32 v39, v1, v3
	s_delay_alu instid0(VALU_DEP_4) | instskip(NEXT) | instid1(VALU_DEP_3)
	v_or_b32_e32 v37, v4, v5
	v_or_b32_e32 v35, v6, v2
.LBB1418_35:
	s_delay_alu instid0(VALU_DEP_3)
	v_and_b32_e32 v41, 0xff, v39
	v_bfe_u32 v42, v39, 8, 8
	v_bfe_u32 v43, v39, 16, 8
	v_lshrrev_b32_e32 v40, 24, v39
	v_and_b32_e32 v44, 0xff, v37
	v_bfe_u32 v45, v37, 8, 8
	v_bfe_u32 v46, v37, 16, 8
	v_add3_u32 v1, v42, v41, v43
	v_lshrrev_b32_e32 v38, 24, v37
	v_and_b32_e32 v47, 0xff, v35
	v_bfe_u32 v48, v35, 8, 8
	v_mbcnt_lo_u32_b32 v50, -1, 0
	v_add3_u32 v1, v1, v40, v44
	v_bfe_u32 v49, v35, 16, 8
	v_lshrrev_b32_e32 v36, 24, v35
	v_and_b32_e32 v2, 0xff, v34
	v_and_b32_e32 v3, 15, v50
	v_add3_u32 v1, v1, v45, v46
	v_or_b32_e32 v4, 31, v0
	v_and_b32_e32 v5, 16, v50
	v_lshrrev_b32_e32 v51, 5, v0
	v_cmp_eq_u32_e64 s5, 0, v3
	v_add3_u32 v1, v1, v38, v47
	v_cmp_lt_u32_e64 s4, 1, v3
	v_cmp_lt_u32_e64 s3, 3, v3
	;; [unrolled: 1-line block ×3, first 2 shown]
	v_cmp_eq_u32_e64 s1, 0, v5
	v_add3_u32 v1, v1, v48, v49
	v_cmp_eq_u32_e64 s0, v4, v0
	s_cmp_lg_u32 s15, 0
	s_mov_b32 s6, -1
	s_delay_alu instid0(VALU_DEP_2)
	v_add3_u32 v52, v1, v36, v2
	s_cbranch_scc0 .LBB1418_66
; %bb.36:
	s_delay_alu instid0(VALU_DEP_1) | instskip(NEXT) | instid1(VALU_DEP_1)
	v_mov_b32_dpp v1, v52 row_shr:1 row_mask:0xf bank_mask:0xf
	v_cndmask_b32_e64 v1, v1, 0, s5
	s_delay_alu instid0(VALU_DEP_1) | instskip(NEXT) | instid1(VALU_DEP_1)
	v_add_nc_u32_e32 v1, v1, v52
	v_mov_b32_dpp v2, v1 row_shr:2 row_mask:0xf bank_mask:0xf
	s_delay_alu instid0(VALU_DEP_1) | instskip(NEXT) | instid1(VALU_DEP_1)
	v_cndmask_b32_e64 v2, 0, v2, s4
	v_add_nc_u32_e32 v1, v1, v2
	s_delay_alu instid0(VALU_DEP_1) | instskip(NEXT) | instid1(VALU_DEP_1)
	v_mov_b32_dpp v2, v1 row_shr:4 row_mask:0xf bank_mask:0xf
	v_cndmask_b32_e64 v2, 0, v2, s3
	s_delay_alu instid0(VALU_DEP_1) | instskip(NEXT) | instid1(VALU_DEP_1)
	v_add_nc_u32_e32 v1, v1, v2
	v_mov_b32_dpp v2, v1 row_shr:8 row_mask:0xf bank_mask:0xf
	s_delay_alu instid0(VALU_DEP_1) | instskip(NEXT) | instid1(VALU_DEP_1)
	v_cndmask_b32_e64 v2, 0, v2, s2
	v_add_nc_u32_e32 v1, v1, v2
	ds_swizzle_b32 v2, v1 offset:swizzle(BROADCAST,32,15)
	s_waitcnt lgkmcnt(0)
	v_cndmask_b32_e64 v2, v2, 0, s1
	s_delay_alu instid0(VALU_DEP_1)
	v_add_nc_u32_e32 v1, v1, v2
	s_and_saveexec_b32 s6, s0
	s_cbranch_execz .LBB1418_38
; %bb.37:
	v_lshlrev_b32_e32 v2, 2, v51
	ds_store_b32 v2, v1
.LBB1418_38:
	s_or_b32 exec_lo, exec_lo, s6
	s_delay_alu instid0(SALU_CYCLE_1)
	s_mov_b32 s6, exec_lo
	s_waitcnt lgkmcnt(0)
	s_barrier
	buffer_gl0_inv
	v_cmpx_gt_u32_e32 8, v0
	s_cbranch_execz .LBB1418_40
; %bb.39:
	ds_load_b32 v2, v30
	s_waitcnt lgkmcnt(0)
	v_mov_b32_dpp v4, v2 row_shr:1 row_mask:0xf bank_mask:0xf
	v_and_b32_e32 v3, 7, v50
	s_delay_alu instid0(VALU_DEP_1) | instskip(NEXT) | instid1(VALU_DEP_3)
	v_cmp_ne_u32_e32 vcc_lo, 0, v3
	v_cndmask_b32_e32 v4, 0, v4, vcc_lo
	v_cmp_lt_u32_e32 vcc_lo, 1, v3
	s_delay_alu instid0(VALU_DEP_2) | instskip(NEXT) | instid1(VALU_DEP_1)
	v_add_nc_u32_e32 v2, v4, v2
	v_mov_b32_dpp v4, v2 row_shr:2 row_mask:0xf bank_mask:0xf
	s_delay_alu instid0(VALU_DEP_1) | instskip(SKIP_1) | instid1(VALU_DEP_2)
	v_cndmask_b32_e32 v4, 0, v4, vcc_lo
	v_cmp_lt_u32_e32 vcc_lo, 3, v3
	v_add_nc_u32_e32 v2, v2, v4
	s_delay_alu instid0(VALU_DEP_1) | instskip(NEXT) | instid1(VALU_DEP_1)
	v_mov_b32_dpp v4, v2 row_shr:4 row_mask:0xf bank_mask:0xf
	v_cndmask_b32_e32 v3, 0, v4, vcc_lo
	s_delay_alu instid0(VALU_DEP_1)
	v_add_nc_u32_e32 v2, v2, v3
	ds_store_b32 v30, v2
.LBB1418_40:
	s_or_b32 exec_lo, exec_lo, s6
	v_cmp_gt_u32_e32 vcc_lo, 32, v0
	s_mov_b32 s7, exec_lo
	s_waitcnt lgkmcnt(0)
	s_barrier
	buffer_gl0_inv
                                        ; implicit-def: $vgpr8
	v_cmpx_lt_u32_e32 31, v0
	s_cbranch_execz .LBB1418_42
; %bb.41:
	v_lshl_add_u32 v2, v51, 2, -4
	ds_load_b32 v8, v2
	s_waitcnt lgkmcnt(0)
	v_add_nc_u32_e32 v1, v8, v1
.LBB1418_42:
	s_or_b32 exec_lo, exec_lo, s7
	v_add_nc_u32_e32 v2, -1, v50
	s_delay_alu instid0(VALU_DEP_1) | instskip(NEXT) | instid1(VALU_DEP_1)
	v_cmp_gt_i32_e64 s6, 0, v2
	v_cndmask_b32_e64 v2, v2, v50, s6
	v_cmp_eq_u32_e64 s6, 0, v50
	s_delay_alu instid0(VALU_DEP_2)
	v_lshlrev_b32_e32 v2, 2, v2
	ds_bpermute_b32 v9, v2, v1
	s_and_saveexec_b32 s7, vcc_lo
	s_cbranch_execz .LBB1418_65
; %bb.43:
	v_mov_b32_e32 v4, 0
	ds_load_b32 v1, v4 offset:28
	s_and_saveexec_b32 s24, s6
	s_cbranch_execz .LBB1418_45
; %bb.44:
	s_add_i32 s26, s15, 32
	s_mov_b32 s27, 0
	v_mov_b32_e32 v2, 1
	s_lshl_b64 s[26:27], s[26:27], 3
	s_delay_alu instid0(SALU_CYCLE_1)
	s_add_u32 s26, s20, s26
	s_addc_u32 s27, s21, s27
	s_waitcnt lgkmcnt(0)
	global_store_b64 v4, v[1:2], s[26:27]
.LBB1418_45:
	s_or_b32 exec_lo, exec_lo, s24
	v_xad_u32 v2, v50, -1, s15
	s_mov_b32 s25, 0
	s_mov_b32 s24, exec_lo
	s_delay_alu instid0(VALU_DEP_1) | instskip(NEXT) | instid1(VALU_DEP_1)
	v_add_nc_u32_e32 v3, 32, v2
	v_lshlrev_b64 v[3:4], 3, v[3:4]
	s_delay_alu instid0(VALU_DEP_1) | instskip(NEXT) | instid1(VALU_DEP_2)
	v_add_co_u32 v6, vcc_lo, s20, v3
	v_add_co_ci_u32_e32 v7, vcc_lo, s21, v4, vcc_lo
	global_load_b64 v[4:5], v[6:7], off glc
	s_waitcnt vmcnt(0)
	v_and_b32_e32 v3, 0xff, v5
	s_delay_alu instid0(VALU_DEP_1)
	v_cmpx_eq_u16_e32 0, v3
	s_cbranch_execz .LBB1418_51
; %bb.46:
	s_mov_b32 s26, 1
	.p2align	6
.LBB1418_47:                            ; =>This Loop Header: Depth=1
                                        ;     Child Loop BB1418_48 Depth 2
	s_delay_alu instid0(SALU_CYCLE_1)
	s_max_u32 s27, s26, 1
.LBB1418_48:                            ;   Parent Loop BB1418_47 Depth=1
                                        ; =>  This Inner Loop Header: Depth=2
	s_delay_alu instid0(SALU_CYCLE_1)
	s_add_i32 s27, s27, -1
	s_sleep 1
	s_cmp_eq_u32 s27, 0
	s_cbranch_scc0 .LBB1418_48
; %bb.49:                               ;   in Loop: Header=BB1418_47 Depth=1
	global_load_b64 v[4:5], v[6:7], off glc
	s_cmp_lt_u32 s26, 32
	s_cselect_b32 s27, -1, 0
	s_delay_alu instid0(SALU_CYCLE_1) | instskip(SKIP_3) | instid1(VALU_DEP_1)
	s_cmp_lg_u32 s27, 0
	s_addc_u32 s26, s26, 0
	s_waitcnt vmcnt(0)
	v_and_b32_e32 v3, 0xff, v5
	v_cmp_ne_u16_e32 vcc_lo, 0, v3
	s_or_b32 s25, vcc_lo, s25
	s_delay_alu instid0(SALU_CYCLE_1)
	s_and_not1_b32 exec_lo, exec_lo, s25
	s_cbranch_execnz .LBB1418_47
; %bb.50:
	s_or_b32 exec_lo, exec_lo, s25
.LBB1418_51:
	s_delay_alu instid0(SALU_CYCLE_1)
	s_or_b32 exec_lo, exec_lo, s24
	v_cmp_ne_u32_e32 vcc_lo, 31, v50
	v_lshlrev_b32_e64 v11, v50, -1
	v_add_nc_u32_e32 v13, 2, v50
	v_add_nc_u32_e32 v16, 4, v50
	;; [unrolled: 1-line block ×3, first 2 shown]
	v_add_co_ci_u32_e32 v3, vcc_lo, 0, v50, vcc_lo
	v_add_nc_u32_e32 v55, 16, v50
	s_delay_alu instid0(VALU_DEP_2) | instskip(SKIP_2) | instid1(VALU_DEP_1)
	v_lshlrev_b32_e32 v10, 2, v3
	ds_bpermute_b32 v6, v10, v4
	v_and_b32_e32 v3, 0xff, v5
	v_cmp_eq_u16_e32 vcc_lo, 2, v3
	v_and_or_b32 v3, vcc_lo, v11, 0x80000000
	v_cmp_gt_u32_e32 vcc_lo, 30, v50
	s_delay_alu instid0(VALU_DEP_2) | instskip(SKIP_1) | instid1(VALU_DEP_2)
	v_ctz_i32_b32_e32 v3, v3
	v_cndmask_b32_e64 v7, 0, 1, vcc_lo
	v_cmp_lt_u32_e32 vcc_lo, v50, v3
	s_waitcnt lgkmcnt(0)
	s_delay_alu instid0(VALU_DEP_2) | instskip(NEXT) | instid1(VALU_DEP_1)
	v_dual_cndmask_b32 v6, 0, v6 :: v_dual_lshlrev_b32 v7, 1, v7
	v_add_lshl_u32 v12, v7, v50, 2
	v_cmp_gt_u32_e32 vcc_lo, 28, v50
	s_delay_alu instid0(VALU_DEP_3) | instskip(SKIP_4) | instid1(VALU_DEP_1)
	v_add_nc_u32_e32 v4, v6, v4
	v_cndmask_b32_e64 v7, 0, 1, vcc_lo
	v_cmp_le_u32_e32 vcc_lo, v13, v3
	ds_bpermute_b32 v6, v12, v4
	v_lshlrev_b32_e32 v7, 2, v7
	v_add_lshl_u32 v14, v7, v50, 2
	s_waitcnt lgkmcnt(0)
	v_cndmask_b32_e32 v6, 0, v6, vcc_lo
	v_cmp_gt_u32_e32 vcc_lo, 24, v50
	s_delay_alu instid0(VALU_DEP_2) | instskip(SKIP_4) | instid1(VALU_DEP_1)
	v_add_nc_u32_e32 v4, v4, v6
	v_cndmask_b32_e64 v7, 0, 1, vcc_lo
	v_cmp_le_u32_e32 vcc_lo, v16, v3
	ds_bpermute_b32 v6, v14, v4
	v_lshlrev_b32_e32 v7, 3, v7
	v_add_lshl_u32 v17, v7, v50, 2
	s_waitcnt lgkmcnt(0)
	v_cndmask_b32_e32 v6, 0, v6, vcc_lo
	v_cmp_gt_u32_e32 vcc_lo, 16, v50
	s_delay_alu instid0(VALU_DEP_2) | instskip(SKIP_4) | instid1(VALU_DEP_1)
	v_add_nc_u32_e32 v4, v4, v6
	v_cndmask_b32_e64 v7, 0, 1, vcc_lo
	v_cmp_le_u32_e32 vcc_lo, v53, v3
	ds_bpermute_b32 v6, v17, v4
	v_lshlrev_b32_e32 v7, 4, v7
	v_add_lshl_u32 v54, v7, v50, 2
	s_waitcnt lgkmcnt(0)
	v_cndmask_b32_e32 v6, 0, v6, vcc_lo
	v_cmp_le_u32_e32 vcc_lo, v55, v3
	s_delay_alu instid0(VALU_DEP_2) | instskip(SKIP_3) | instid1(VALU_DEP_1)
	v_add_nc_u32_e32 v4, v4, v6
	ds_bpermute_b32 v6, v54, v4
	s_waitcnt lgkmcnt(0)
	v_cndmask_b32_e32 v3, 0, v6, vcc_lo
	v_dual_mov_b32 v3, 0 :: v_dual_add_nc_u32 v4, v4, v3
	s_branch .LBB1418_53
.LBB1418_52:                            ;   in Loop: Header=BB1418_53 Depth=1
	s_or_b32 exec_lo, exec_lo, s24
	ds_bpermute_b32 v7, v10, v4
	v_and_b32_e32 v6, 0xff, v5
	v_subrev_nc_u32_e32 v2, 32, v2
	s_delay_alu instid0(VALU_DEP_2) | instskip(SKIP_1) | instid1(VALU_DEP_1)
	v_cmp_eq_u16_e32 vcc_lo, 2, v6
	v_and_or_b32 v6, vcc_lo, v11, 0x80000000
	v_ctz_i32_b32_e32 v6, v6
	s_delay_alu instid0(VALU_DEP_1) | instskip(SKIP_3) | instid1(VALU_DEP_2)
	v_cmp_lt_u32_e32 vcc_lo, v50, v6
	s_waitcnt lgkmcnt(0)
	v_cndmask_b32_e32 v7, 0, v7, vcc_lo
	v_cmp_le_u32_e32 vcc_lo, v13, v6
	v_add_nc_u32_e32 v4, v7, v4
	ds_bpermute_b32 v7, v12, v4
	s_waitcnt lgkmcnt(0)
	v_cndmask_b32_e32 v7, 0, v7, vcc_lo
	v_cmp_le_u32_e32 vcc_lo, v16, v6
	s_delay_alu instid0(VALU_DEP_2) | instskip(SKIP_4) | instid1(VALU_DEP_2)
	v_add_nc_u32_e32 v4, v4, v7
	ds_bpermute_b32 v7, v14, v4
	s_waitcnt lgkmcnt(0)
	v_cndmask_b32_e32 v7, 0, v7, vcc_lo
	v_cmp_le_u32_e32 vcc_lo, v53, v6
	v_add_nc_u32_e32 v4, v4, v7
	ds_bpermute_b32 v7, v17, v4
	s_waitcnt lgkmcnt(0)
	v_cndmask_b32_e32 v7, 0, v7, vcc_lo
	v_cmp_le_u32_e32 vcc_lo, v55, v6
	s_delay_alu instid0(VALU_DEP_2) | instskip(SKIP_3) | instid1(VALU_DEP_1)
	v_add_nc_u32_e32 v4, v4, v7
	ds_bpermute_b32 v7, v54, v4
	s_waitcnt lgkmcnt(0)
	v_cndmask_b32_e32 v6, 0, v7, vcc_lo
	v_add3_u32 v4, v6, v15, v4
.LBB1418_53:                            ; =>This Loop Header: Depth=1
                                        ;     Child Loop BB1418_56 Depth 2
                                        ;       Child Loop BB1418_57 Depth 3
	v_and_b32_e32 v5, 0xff, v5
	s_delay_alu instid0(VALU_DEP_2) | instskip(NEXT) | instid1(VALU_DEP_2)
	v_mov_b32_e32 v15, v4
	v_cmp_ne_u16_e32 vcc_lo, 2, v5
	v_cndmask_b32_e64 v5, 0, 1, vcc_lo
	;;#ASMSTART
	;;#ASMEND
	s_delay_alu instid0(VALU_DEP_1)
	v_cmp_ne_u32_e32 vcc_lo, 0, v5
	s_cmp_lg_u32 vcc_lo, exec_lo
	s_cbranch_scc1 .LBB1418_60
; %bb.54:                               ;   in Loop: Header=BB1418_53 Depth=1
	v_lshlrev_b64 v[4:5], 3, v[2:3]
	s_mov_b32 s24, exec_lo
	s_delay_alu instid0(VALU_DEP_1) | instskip(NEXT) | instid1(VALU_DEP_2)
	v_add_co_u32 v6, vcc_lo, s20, v4
	v_add_co_ci_u32_e32 v7, vcc_lo, s21, v5, vcc_lo
	global_load_b64 v[4:5], v[6:7], off glc
	s_waitcnt vmcnt(0)
	v_and_b32_e32 v56, 0xff, v5
	s_delay_alu instid0(VALU_DEP_1)
	v_cmpx_eq_u16_e32 0, v56
	s_cbranch_execz .LBB1418_52
; %bb.55:                               ;   in Loop: Header=BB1418_53 Depth=1
	s_mov_b32 s26, 1
	s_mov_b32 s25, 0
	.p2align	6
.LBB1418_56:                            ;   Parent Loop BB1418_53 Depth=1
                                        ; =>  This Loop Header: Depth=2
                                        ;       Child Loop BB1418_57 Depth 3
	s_max_u32 s27, s26, 1
.LBB1418_57:                            ;   Parent Loop BB1418_53 Depth=1
                                        ;     Parent Loop BB1418_56 Depth=2
                                        ; =>    This Inner Loop Header: Depth=3
	s_delay_alu instid0(SALU_CYCLE_1)
	s_add_i32 s27, s27, -1
	s_sleep 1
	s_cmp_eq_u32 s27, 0
	s_cbranch_scc0 .LBB1418_57
; %bb.58:                               ;   in Loop: Header=BB1418_56 Depth=2
	global_load_b64 v[4:5], v[6:7], off glc
	s_cmp_lt_u32 s26, 32
	s_cselect_b32 s27, -1, 0
	s_delay_alu instid0(SALU_CYCLE_1) | instskip(SKIP_3) | instid1(VALU_DEP_1)
	s_cmp_lg_u32 s27, 0
	s_addc_u32 s26, s26, 0
	s_waitcnt vmcnt(0)
	v_and_b32_e32 v56, 0xff, v5
	v_cmp_ne_u16_e32 vcc_lo, 0, v56
	s_or_b32 s25, vcc_lo, s25
	s_delay_alu instid0(SALU_CYCLE_1)
	s_and_not1_b32 exec_lo, exec_lo, s25
	s_cbranch_execnz .LBB1418_56
; %bb.59:                               ;   in Loop: Header=BB1418_53 Depth=1
	s_or_b32 exec_lo, exec_lo, s25
	s_branch .LBB1418_52
.LBB1418_60:                            ;   in Loop: Header=BB1418_53 Depth=1
                                        ; implicit-def: $vgpr4
                                        ; implicit-def: $vgpr5
	s_cbranch_execz .LBB1418_53
; %bb.61:
	s_and_saveexec_b32 s24, s6
	s_cbranch_execz .LBB1418_63
; %bb.62:
	s_add_i32 s26, s15, 32
	s_mov_b32 s27, 0
	v_dual_mov_b32 v3, 2 :: v_dual_add_nc_u32 v2, v15, v1
	s_lshl_b64 s[26:27], s[26:27], 3
	v_mov_b32_e32 v4, 0
	v_add_nc_u32_e64 v5, 0x3400, 0
	s_add_u32 s26, s20, s26
	s_addc_u32 s27, s21, s27
	global_store_b64 v4, v[2:3], s[26:27]
	ds_store_2addr_b32 v5, v1, v15 offset1:2
.LBB1418_63:
	s_or_b32 exec_lo, exec_lo, s24
	v_cmp_eq_u32_e32 vcc_lo, 0, v0
	s_and_b32 exec_lo, exec_lo, vcc_lo
	s_cbranch_execz .LBB1418_65
; %bb.64:
	v_mov_b32_e32 v1, 0
	ds_store_b32 v1, v15 offset:28
.LBB1418_65:
	s_or_b32 exec_lo, exec_lo, s7
	s_waitcnt lgkmcnt(0)
	v_cndmask_b32_e64 v2, v9, v8, s6
	v_cmp_ne_u32_e32 vcc_lo, 0, v0
	v_mov_b32_e32 v1, 0
	s_waitcnt_vscnt null, 0x0
	s_barrier
	buffer_gl0_inv
	v_cndmask_b32_e32 v2, 0, v2, vcc_lo
	ds_load_b32 v1, v1 offset:28
	v_add_nc_u32_e64 v11, 0x3400, 0
	s_waitcnt lgkmcnt(0)
	s_barrier
	buffer_gl0_inv
	ds_load_2addr_b32 v[16:17], v11 offset1:2
	v_add_nc_u32_e32 v1, v1, v2
	s_delay_alu instid0(VALU_DEP_1) | instskip(NEXT) | instid1(VALU_DEP_1)
	v_add_nc_u32_e32 v2, v1, v41
	v_add_nc_u32_e32 v3, v2, v42
	s_delay_alu instid0(VALU_DEP_1) | instskip(NEXT) | instid1(VALU_DEP_1)
	v_add_nc_u32_e32 v4, v3, v43
	;; [unrolled: 3-line block ×6, first 2 shown]
	v_add_nc_u32_e32 v13, v12, v36
	s_branch .LBB1418_76
.LBB1418_66:
                                        ; implicit-def: $vgpr17
                                        ; implicit-def: $vgpr1_vgpr2_vgpr3_vgpr4_vgpr5_vgpr6_vgpr7_vgpr8_vgpr9_vgpr10_vgpr11_vgpr12_vgpr13_vgpr14_vgpr15_vgpr16
	s_and_b32 vcc_lo, exec_lo, s6
	s_cbranch_vccz .LBB1418_76
; %bb.67:
	s_delay_alu instid0(VALU_DEP_1) | instskip(NEXT) | instid1(VALU_DEP_1)
	v_mov_b32_dpp v1, v52 row_shr:1 row_mask:0xf bank_mask:0xf
	v_cndmask_b32_e64 v1, v1, 0, s5
	s_delay_alu instid0(VALU_DEP_1) | instskip(NEXT) | instid1(VALU_DEP_1)
	v_add_nc_u32_e32 v1, v1, v52
	v_mov_b32_dpp v2, v1 row_shr:2 row_mask:0xf bank_mask:0xf
	s_delay_alu instid0(VALU_DEP_1) | instskip(NEXT) | instid1(VALU_DEP_1)
	v_cndmask_b32_e64 v2, 0, v2, s4
	v_add_nc_u32_e32 v1, v1, v2
	s_delay_alu instid0(VALU_DEP_1) | instskip(NEXT) | instid1(VALU_DEP_1)
	v_mov_b32_dpp v2, v1 row_shr:4 row_mask:0xf bank_mask:0xf
	v_cndmask_b32_e64 v2, 0, v2, s3
	s_delay_alu instid0(VALU_DEP_1) | instskip(NEXT) | instid1(VALU_DEP_1)
	v_add_nc_u32_e32 v1, v1, v2
	v_mov_b32_dpp v2, v1 row_shr:8 row_mask:0xf bank_mask:0xf
	s_delay_alu instid0(VALU_DEP_1) | instskip(NEXT) | instid1(VALU_DEP_1)
	v_cndmask_b32_e64 v2, 0, v2, s2
	v_add_nc_u32_e32 v1, v1, v2
	ds_swizzle_b32 v2, v1 offset:swizzle(BROADCAST,32,15)
	s_waitcnt lgkmcnt(0)
	v_cndmask_b32_e64 v2, v2, 0, s1
	s_delay_alu instid0(VALU_DEP_1)
	v_add_nc_u32_e32 v1, v1, v2
	s_and_saveexec_b32 s1, s0
	s_cbranch_execz .LBB1418_69
; %bb.68:
	v_lshlrev_b32_e32 v2, 2, v51
	ds_store_b32 v2, v1
.LBB1418_69:
	s_or_b32 exec_lo, exec_lo, s1
	s_delay_alu instid0(SALU_CYCLE_1)
	s_mov_b32 s0, exec_lo
	s_waitcnt lgkmcnt(0)
	s_barrier
	buffer_gl0_inv
	v_cmpx_gt_u32_e32 8, v0
	s_cbranch_execz .LBB1418_71
; %bb.70:
	ds_load_b32 v2, v30
	s_waitcnt lgkmcnt(0)
	v_mov_b32_dpp v4, v2 row_shr:1 row_mask:0xf bank_mask:0xf
	v_and_b32_e32 v3, 7, v50
	s_delay_alu instid0(VALU_DEP_1) | instskip(NEXT) | instid1(VALU_DEP_3)
	v_cmp_ne_u32_e32 vcc_lo, 0, v3
	v_cndmask_b32_e32 v4, 0, v4, vcc_lo
	v_cmp_lt_u32_e32 vcc_lo, 1, v3
	s_delay_alu instid0(VALU_DEP_2) | instskip(NEXT) | instid1(VALU_DEP_1)
	v_add_nc_u32_e32 v2, v4, v2
	v_mov_b32_dpp v4, v2 row_shr:2 row_mask:0xf bank_mask:0xf
	s_delay_alu instid0(VALU_DEP_1) | instskip(SKIP_1) | instid1(VALU_DEP_2)
	v_cndmask_b32_e32 v4, 0, v4, vcc_lo
	v_cmp_lt_u32_e32 vcc_lo, 3, v3
	v_add_nc_u32_e32 v2, v2, v4
	s_delay_alu instid0(VALU_DEP_1) | instskip(NEXT) | instid1(VALU_DEP_1)
	v_mov_b32_dpp v4, v2 row_shr:4 row_mask:0xf bank_mask:0xf
	v_cndmask_b32_e32 v3, 0, v4, vcc_lo
	s_delay_alu instid0(VALU_DEP_1)
	v_add_nc_u32_e32 v2, v2, v3
	ds_store_b32 v30, v2
.LBB1418_71:
	s_or_b32 exec_lo, exec_lo, s0
	v_dual_mov_b32 v3, 0 :: v_dual_mov_b32 v2, 0
	s_mov_b32 s0, exec_lo
	s_waitcnt lgkmcnt(0)
	s_barrier
	buffer_gl0_inv
	v_cmpx_lt_u32_e32 31, v0
	s_cbranch_execz .LBB1418_73
; %bb.72:
	v_lshl_add_u32 v2, v51, 2, -4
	ds_load_b32 v2, v2
.LBB1418_73:
	s_or_b32 exec_lo, exec_lo, s0
	v_add_nc_u32_e32 v4, -1, v50
	ds_load_b32 v16, v3 offset:28
	s_waitcnt lgkmcnt(1)
	v_add_nc_u32_e32 v1, v2, v1
	v_cmp_gt_i32_e32 vcc_lo, 0, v4
	v_cndmask_b32_e32 v4, v4, v50, vcc_lo
	v_cmp_eq_u32_e32 vcc_lo, 0, v0
	s_delay_alu instid0(VALU_DEP_2)
	v_lshlrev_b32_e32 v4, 2, v4
	ds_bpermute_b32 v1, v4, v1
	s_and_saveexec_b32 s0, vcc_lo
	s_cbranch_execz .LBB1418_75
; %bb.74:
	v_mov_b32_e32 v3, 0
	v_mov_b32_e32 v17, 2
	s_waitcnt lgkmcnt(1)
	global_store_b64 v3, v[16:17], s[20:21] offset:256
.LBB1418_75:
	s_or_b32 exec_lo, exec_lo, s0
	v_cmp_eq_u32_e64 s0, 0, v50
	s_waitcnt lgkmcnt(0)
	s_waitcnt_vscnt null, 0x0
	s_barrier
	buffer_gl0_inv
	v_mov_b32_e32 v17, 0
	v_cndmask_b32_e64 v1, v1, v2, s0
	s_delay_alu instid0(VALU_DEP_1) | instskip(NEXT) | instid1(VALU_DEP_1)
	v_cndmask_b32_e64 v1, v1, 0, vcc_lo
	v_add_nc_u32_e32 v2, v1, v41
	s_delay_alu instid0(VALU_DEP_1) | instskip(NEXT) | instid1(VALU_DEP_1)
	v_add_nc_u32_e32 v3, v2, v42
	v_add_nc_u32_e32 v4, v3, v43
	s_delay_alu instid0(VALU_DEP_1) | instskip(NEXT) | instid1(VALU_DEP_1)
	v_add_nc_u32_e32 v5, v4, v40
	;; [unrolled: 3-line block ×5, first 2 shown]
	v_add_nc_u32_e32 v12, v11, v49
	s_delay_alu instid0(VALU_DEP_1)
	v_add_nc_u32_e32 v13, v12, v36
.LBB1418_76:
	v_lshrrev_b32_e32 v44, 8, v39
	v_lshrrev_b32_e32 v43, 16, v39
	s_waitcnt lgkmcnt(0)
	v_sub_nc_u32_e32 v1, v1, v17
	v_and_b32_e32 v39, 1, v39
	v_sub_nc_u32_e32 v3, v3, v17
	v_add_nc_u32_e32 v33, v16, v33
	v_sub_nc_u32_e32 v2, v2, v17
	v_sub_nc_u32_e32 v4, v4, v17
	v_cmp_eq_u32_e32 vcc_lo, 1, v39
	v_and_b32_e32 v39, 1, v43
	v_sub_nc_u32_e32 v45, v33, v1
	v_and_b32_e32 v44, 1, v44
	v_sub_nc_u32_e32 v43, v33, v2
	v_lshrrev_b32_e32 v42, 8, v37
	v_lshrrev_b32_e32 v41, 16, v37
	v_cndmask_b32_e32 v1, v45, v1, vcc_lo
	v_sub_nc_u32_e32 v45, v33, v3
	v_add_nc_u32_e32 v43, 1, v43
	v_cmp_eq_u32_e32 vcc_lo, 1, v44
	v_and_b32_e32 v40, 1, v40
	v_lshlrev_b32_e32 v1, 2, v1
	v_add_nc_u32_e32 v45, 2, v45
	v_lshrrev_b32_e32 v15, 8, v35
	v_lshrrev_b32_e32 v14, 16, v35
	ds_store_b32 v1, v28
	v_cndmask_b32_e32 v1, v43, v2, vcc_lo
	v_cmp_eq_u32_e32 vcc_lo, 1, v39
	v_or_b32_e32 v28, 0x500, v0
	s_delay_alu instid0(VALU_DEP_3)
	v_dual_cndmask_b32 v2, v45, v3 :: v_dual_lshlrev_b32 v1, 2, v1
	v_sub_nc_u32_e32 v46, v33, v4
	v_cmp_eq_u32_e32 vcc_lo, 1, v40
	ds_store_b32 v1, v29
	v_lshlrev_b32_e32 v2, 2, v2
	v_add_nc_u32_e32 v46, 3, v46
	v_or_b32_e32 v29, 0x400, v0
	s_delay_alu instid0(VALU_DEP_2) | instskip(SKIP_2) | instid1(VALU_DEP_3)
	v_cndmask_b32_e32 v3, v46, v4, vcc_lo
	v_sub_nc_u32_e32 v4, v5, v17
	v_sub_nc_u32_e32 v5, v6, v17
	v_lshlrev_b32_e32 v3, 2, v3
	s_delay_alu instid0(VALU_DEP_3) | instskip(NEXT) | instid1(VALU_DEP_3)
	v_sub_nc_u32_e32 v1, v33, v4
	v_sub_nc_u32_e32 v6, v33, v5
	ds_store_b32 v2, v26
	ds_store_b32 v3, v27
	v_and_b32_e32 v2, 1, v37
	v_add_nc_u32_e32 v1, 4, v1
	v_add_nc_u32_e32 v3, 5, v6
	v_sub_nc_u32_e32 v6, v7, v17
	v_and_b32_e32 v7, 1, v42
	v_cmp_eq_u32_e32 vcc_lo, 1, v2
	v_sub_nc_u32_e32 v2, v8, v17
	v_and_b32_e32 v8, 1, v38
	v_or_b32_e32 v27, 0x600, v0
	v_or_b32_e32 v26, 0x700, v0
	v_cndmask_b32_e32 v1, v1, v4, vcc_lo
	v_sub_nc_u32_e32 v4, v33, v6
	v_cmp_eq_u32_e32 vcc_lo, 1, v7
	v_and_b32_e32 v7, 1, v41
	s_delay_alu instid0(VALU_DEP_4) | instskip(NEXT) | instid1(VALU_DEP_4)
	v_lshlrev_b32_e32 v1, 2, v1
	v_dual_cndmask_b32 v3, v3, v5 :: v_dual_add_nc_u32 v4, 6, v4
	v_sub_nc_u32_e32 v5, v33, v2
	s_delay_alu instid0(VALU_DEP_4) | instskip(SKIP_1) | instid1(VALU_DEP_4)
	v_cmp_eq_u32_e32 vcc_lo, 1, v7
	v_sub_nc_u32_e32 v7, v13, v17
	v_lshlrev_b32_e32 v3, 2, v3
	s_delay_alu instid0(VALU_DEP_4)
	v_dual_cndmask_b32 v4, v4, v6 :: v_dual_add_nc_u32 v5, 7, v5
	v_cmp_eq_u32_e32 vcc_lo, 1, v8
	v_sub_nc_u32_e32 v6, v9, v17
	ds_store_b32 v1, v24
	ds_store_b32 v3, v25
	v_or_b32_e32 v25, 0x800, v0
	v_dual_cndmask_b32 v2, v5, v2 :: v_dual_lshlrev_b32 v3, 2, v4
	v_and_b32_e32 v5, 1, v35
	v_sub_nc_u32_e32 v1, v33, v6
	v_sub_nc_u32_e32 v4, v10, v17
	v_and_b32_e32 v10, 1, v36
	v_or_b32_e32 v24, 0x900, v0
	v_cmp_eq_u32_e32 vcc_lo, 1, v5
	v_sub_nc_u32_e32 v5, v12, v17
	v_add_nc_u32_e32 v1, 8, v1
	s_delay_alu instid0(VALU_DEP_2) | instskip(NEXT) | instid1(VALU_DEP_2)
	v_sub_nc_u32_e32 v9, v33, v5
	v_dual_cndmask_b32 v1, v1, v6 :: v_dual_and_b32 v6, 1, v15
	v_add_co_u32 v15, s0, s18, v17
	s_delay_alu instid0(VALU_DEP_3)
	v_add_nc_u32_e32 v9, 11, v9
	v_lshlrev_b32_e32 v2, 2, v2
	ds_store_b32 v3, v22
	ds_store_b32 v2, v23
	v_sub_nc_u32_e32 v3, v11, v17
	v_sub_nc_u32_e32 v2, v33, v4
	v_cmp_eq_u32_e32 vcc_lo, 1, v6
	v_and_b32_e32 v11, 1, v34
	v_lshlrev_b32_e32 v1, 2, v1
	v_sub_nc_u32_e32 v8, v33, v3
	v_add_nc_u32_e32 v2, 9, v2
	v_add_co_ci_u32_e64 v17, null, s19, 0, s0
	s_add_u32 s0, s16, s23
	s_delay_alu instid0(VALU_DEP_3)
	v_add_nc_u32_e32 v6, 10, v8
	v_and_b32_e32 v8, 1, v14
	v_cndmask_b32_e32 v2, v2, v4, vcc_lo
	v_sub_nc_u32_e32 v4, v33, v7
	s_addc_u32 s1, s17, 0
	s_sub_u32 s0, s12, s0
	v_cmp_eq_u32_e32 vcc_lo, 1, v8
	v_lshlrev_b32_e32 v2, 2, v2
	v_add_nc_u32_e32 v4, 12, v4
	s_subb_u32 s1, s13, s1
	v_add_co_u32 v13, s0, s0, v16
	v_cndmask_b32_e32 v3, v6, v3, vcc_lo
	v_cmp_eq_u32_e32 vcc_lo, 1, v10
	v_add_co_ci_u32_e64 v14, null, s1, 0, s0
	v_or_b32_e32 v34, 0x100, v0
	s_delay_alu instid0(VALU_DEP_4)
	v_lshlrev_b32_e32 v3, 2, v3
	v_cndmask_b32_e32 v5, v9, v5, vcc_lo
	v_cmp_eq_u32_e32 vcc_lo, 1, v11
	v_or_b32_e32 v33, 0x200, v0
	v_or_b32_e32 v23, 0xa00, v0
	v_or_b32_e32 v22, 0xb00, v0
	v_dual_cndmask_b32 v4, v4, v7 :: v_dual_lshlrev_b32 v5, 2, v5
	v_cmp_ne_u32_e32 vcc_lo, 1, v31
	s_delay_alu instid0(VALU_DEP_2)
	v_lshlrev_b32_e32 v4, 2, v4
	ds_store_b32 v1, v20
	ds_store_b32 v2, v21
	;; [unrolled: 1-line block ×5, first 2 shown]
	s_waitcnt lgkmcnt(0)
	s_barrier
	buffer_gl0_inv
	ds_load_2addr_stride64_b32 v[11:12], v30 offset1:4
	ds_load_2addr_stride64_b32 v[9:10], v30 offset0:8 offset1:12
	ds_load_2addr_stride64_b32 v[7:8], v30 offset0:16 offset1:20
	;; [unrolled: 1-line block ×5, first 2 shown]
	ds_load_b32 v18, v30 offset:12288
	v_add_co_u32 v20, s0, v13, v15
	v_or_b32_e32 v32, 0x300, v0
	v_or_b32_e32 v19, 0xc00, v0
	v_add_co_ci_u32_e64 v21, s0, v14, v17, s0
	s_mov_b32 s0, 0
	s_cbranch_vccnz .LBB1418_130
; %bb.77:
	s_mov_b32 s0, exec_lo
                                        ; implicit-def: $vgpr13_vgpr14
	v_cmpx_ge_u32_e64 v0, v16
	s_xor_b32 s0, exec_lo, s0
; %bb.78:
	v_not_b32_e32 v13, v0
	s_delay_alu instid0(VALU_DEP_1) | instskip(SKIP_1) | instid1(VALU_DEP_2)
	v_ashrrev_i32_e32 v14, 31, v13
	v_add_co_u32 v13, vcc_lo, v20, v13
	v_add_co_ci_u32_e32 v14, vcc_lo, v21, v14, vcc_lo
; %bb.79:
	s_and_not1_saveexec_b32 s0, s0
; %bb.80:
	v_add_co_u32 v13, vcc_lo, v15, v0
	v_add_co_ci_u32_e32 v14, vcc_lo, 0, v17, vcc_lo
; %bb.81:
	s_or_b32 exec_lo, exec_lo, s0
	s_delay_alu instid0(VALU_DEP_1) | instskip(SKIP_1) | instid1(VALU_DEP_1)
	v_lshlrev_b64 v[13:14], 2, v[13:14]
	s_mov_b32 s0, exec_lo
	v_add_co_u32 v13, vcc_lo, s10, v13
	s_delay_alu instid0(VALU_DEP_2)
	v_add_co_ci_u32_e32 v14, vcc_lo, s11, v14, vcc_lo
	s_waitcnt lgkmcnt(6)
	global_store_b32 v[13:14], v11, off
                                        ; implicit-def: $vgpr13_vgpr14
	v_cmpx_ge_u32_e64 v34, v16
	s_xor_b32 s0, exec_lo, s0
; %bb.82:
	v_xor_b32_e32 v13, 0xfffffeff, v0
	s_delay_alu instid0(VALU_DEP_1) | instskip(SKIP_1) | instid1(VALU_DEP_2)
	v_ashrrev_i32_e32 v14, 31, v13
	v_add_co_u32 v13, vcc_lo, v20, v13
	v_add_co_ci_u32_e32 v14, vcc_lo, v21, v14, vcc_lo
; %bb.83:
	s_and_not1_saveexec_b32 s0, s0
; %bb.84:
	v_add_co_u32 v13, vcc_lo, v15, v34
	v_add_co_ci_u32_e32 v14, vcc_lo, 0, v17, vcc_lo
; %bb.85:
	s_or_b32 exec_lo, exec_lo, s0
	s_delay_alu instid0(VALU_DEP_1) | instskip(SKIP_1) | instid1(VALU_DEP_1)
	v_lshlrev_b64 v[13:14], 2, v[13:14]
	s_mov_b32 s0, exec_lo
	v_add_co_u32 v13, vcc_lo, s10, v13
	s_delay_alu instid0(VALU_DEP_2)
	v_add_co_ci_u32_e32 v14, vcc_lo, s11, v14, vcc_lo
	global_store_b32 v[13:14], v12, off
                                        ; implicit-def: $vgpr13_vgpr14
	v_cmpx_ge_u32_e64 v33, v16
	s_xor_b32 s0, exec_lo, s0
; %bb.86:
	v_xor_b32_e32 v13, 0xfffffdff, v0
	s_delay_alu instid0(VALU_DEP_1) | instskip(SKIP_1) | instid1(VALU_DEP_2)
	v_ashrrev_i32_e32 v14, 31, v13
	v_add_co_u32 v13, vcc_lo, v20, v13
	v_add_co_ci_u32_e32 v14, vcc_lo, v21, v14, vcc_lo
; %bb.87:
	s_and_not1_saveexec_b32 s0, s0
; %bb.88:
	v_add_co_u32 v13, vcc_lo, v15, v33
	v_add_co_ci_u32_e32 v14, vcc_lo, 0, v17, vcc_lo
; %bb.89:
	s_or_b32 exec_lo, exec_lo, s0
	s_delay_alu instid0(VALU_DEP_1) | instskip(SKIP_1) | instid1(VALU_DEP_1)
	v_lshlrev_b64 v[13:14], 2, v[13:14]
	s_mov_b32 s0, exec_lo
	v_add_co_u32 v13, vcc_lo, s10, v13
	s_delay_alu instid0(VALU_DEP_2)
	v_add_co_ci_u32_e32 v14, vcc_lo, s11, v14, vcc_lo
	s_waitcnt lgkmcnt(5)
	global_store_b32 v[13:14], v9, off
                                        ; implicit-def: $vgpr13_vgpr14
	v_cmpx_ge_u32_e64 v32, v16
	s_xor_b32 s0, exec_lo, s0
; %bb.90:
	v_xor_b32_e32 v13, 0xfffffcff, v0
	s_delay_alu instid0(VALU_DEP_1) | instskip(SKIP_1) | instid1(VALU_DEP_2)
	v_ashrrev_i32_e32 v14, 31, v13
	v_add_co_u32 v13, vcc_lo, v20, v13
	v_add_co_ci_u32_e32 v14, vcc_lo, v21, v14, vcc_lo
; %bb.91:
	s_and_not1_saveexec_b32 s0, s0
; %bb.92:
	v_add_co_u32 v13, vcc_lo, v15, v32
	v_add_co_ci_u32_e32 v14, vcc_lo, 0, v17, vcc_lo
; %bb.93:
	s_or_b32 exec_lo, exec_lo, s0
	s_delay_alu instid0(VALU_DEP_1) | instskip(SKIP_1) | instid1(VALU_DEP_1)
	v_lshlrev_b64 v[13:14], 2, v[13:14]
	s_mov_b32 s0, exec_lo
	v_add_co_u32 v13, vcc_lo, s10, v13
	s_delay_alu instid0(VALU_DEP_2)
	v_add_co_ci_u32_e32 v14, vcc_lo, s11, v14, vcc_lo
	global_store_b32 v[13:14], v10, off
                                        ; implicit-def: $vgpr13_vgpr14
	v_cmpx_ge_u32_e64 v29, v16
	s_xor_b32 s0, exec_lo, s0
; %bb.94:
	v_xor_b32_e32 v13, 0xfffffbff, v0
	;; [unrolled: 47-line block ×6, first 2 shown]
	s_delay_alu instid0(VALU_DEP_1) | instskip(SKIP_1) | instid1(VALU_DEP_2)
	v_ashrrev_i32_e32 v14, 31, v13
	v_add_co_u32 v13, vcc_lo, v20, v13
	v_add_co_ci_u32_e32 v14, vcc_lo, v21, v14, vcc_lo
; %bb.127:
	s_and_not1_saveexec_b32 s0, s0
; %bb.128:
	v_add_co_u32 v13, vcc_lo, v15, v19
	v_add_co_ci_u32_e32 v14, vcc_lo, 0, v17, vcc_lo
; %bb.129:
	s_or_b32 exec_lo, exec_lo, s0
	s_mov_b32 s0, -1
	s_branch .LBB1418_210
.LBB1418_130:
                                        ; implicit-def: $vgpr13_vgpr14
	s_cbranch_execz .LBB1418_210
; %bb.131:
	s_mov_b32 s1, exec_lo
	v_cmpx_gt_u32_e64 s22, v0
	s_cbranch_execz .LBB1418_167
; %bb.132:
	s_mov_b32 s2, exec_lo
                                        ; implicit-def: $vgpr13_vgpr14
	v_cmpx_ge_u32_e64 v0, v16
	s_xor_b32 s2, exec_lo, s2
; %bb.133:
	v_not_b32_e32 v13, v0
	s_delay_alu instid0(VALU_DEP_1) | instskip(SKIP_1) | instid1(VALU_DEP_2)
	v_ashrrev_i32_e32 v14, 31, v13
	v_add_co_u32 v13, vcc_lo, v20, v13
	v_add_co_ci_u32_e32 v14, vcc_lo, v21, v14, vcc_lo
; %bb.134:
	s_and_not1_saveexec_b32 s2, s2
; %bb.135:
	v_add_co_u32 v13, vcc_lo, v15, v0
	v_add_co_ci_u32_e32 v14, vcc_lo, 0, v17, vcc_lo
; %bb.136:
	s_or_b32 exec_lo, exec_lo, s2
	s_delay_alu instid0(VALU_DEP_1) | instskip(NEXT) | instid1(VALU_DEP_1)
	v_lshlrev_b64 v[13:14], 2, v[13:14]
	v_add_co_u32 v13, vcc_lo, s10, v13
	s_delay_alu instid0(VALU_DEP_2) | instskip(SKIP_3) | instid1(SALU_CYCLE_1)
	v_add_co_ci_u32_e32 v14, vcc_lo, s11, v14, vcc_lo
	s_waitcnt lgkmcnt(6)
	global_store_b32 v[13:14], v11, off
	s_or_b32 exec_lo, exec_lo, s1
	s_mov_b32 s1, exec_lo
	v_cmpx_gt_u32_e64 s22, v34
	s_cbranch_execnz .LBB1418_168
.LBB1418_137:
	s_or_b32 exec_lo, exec_lo, s1
	s_delay_alu instid0(SALU_CYCLE_1)
	s_mov_b32 s1, exec_lo
	v_cmpx_gt_u32_e64 s22, v33
	s_cbranch_execz .LBB1418_173
.LBB1418_138:
	s_mov_b32 s2, exec_lo
                                        ; implicit-def: $vgpr11_vgpr12
	v_cmpx_ge_u32_e64 v33, v16
	s_xor_b32 s2, exec_lo, s2
	s_cbranch_execz .LBB1418_140
; %bb.139:
	s_waitcnt lgkmcnt(6)
	v_xor_b32_e32 v11, 0xfffffdff, v0
                                        ; implicit-def: $vgpr33
	s_delay_alu instid0(VALU_DEP_1) | instskip(SKIP_1) | instid1(VALU_DEP_2)
	v_ashrrev_i32_e32 v12, 31, v11
	v_add_co_u32 v11, vcc_lo, v20, v11
	v_add_co_ci_u32_e32 v12, vcc_lo, v21, v12, vcc_lo
.LBB1418_140:
	s_and_not1_saveexec_b32 s2, s2
	s_cbranch_execz .LBB1418_142
; %bb.141:
	s_waitcnt lgkmcnt(6)
	v_add_co_u32 v11, vcc_lo, v15, v33
	v_add_co_ci_u32_e32 v12, vcc_lo, 0, v17, vcc_lo
.LBB1418_142:
	s_or_b32 exec_lo, exec_lo, s2
	s_waitcnt lgkmcnt(6)
	s_delay_alu instid0(VALU_DEP_1) | instskip(NEXT) | instid1(VALU_DEP_1)
	v_lshlrev_b64 v[11:12], 2, v[11:12]
	v_add_co_u32 v11, vcc_lo, s10, v11
	s_delay_alu instid0(VALU_DEP_2) | instskip(SKIP_3) | instid1(SALU_CYCLE_1)
	v_add_co_ci_u32_e32 v12, vcc_lo, s11, v12, vcc_lo
	s_waitcnt lgkmcnt(5)
	global_store_b32 v[11:12], v9, off
	s_or_b32 exec_lo, exec_lo, s1
	s_mov_b32 s1, exec_lo
	v_cmpx_gt_u32_e64 s22, v32
	s_cbranch_execnz .LBB1418_174
.LBB1418_143:
	s_or_b32 exec_lo, exec_lo, s1
	s_delay_alu instid0(SALU_CYCLE_1)
	s_mov_b32 s1, exec_lo
	v_cmpx_gt_u32_e64 s22, v29
	s_cbranch_execz .LBB1418_179
.LBB1418_144:
	s_mov_b32 s2, exec_lo
                                        ; implicit-def: $vgpr9_vgpr10
	v_cmpx_ge_u32_e64 v29, v16
	s_xor_b32 s2, exec_lo, s2
	s_cbranch_execz .LBB1418_146
; %bb.145:
	s_waitcnt lgkmcnt(5)
	v_xor_b32_e32 v9, 0xfffffbff, v0
                                        ; implicit-def: $vgpr29
	s_delay_alu instid0(VALU_DEP_1) | instskip(SKIP_1) | instid1(VALU_DEP_2)
	v_ashrrev_i32_e32 v10, 31, v9
	v_add_co_u32 v9, vcc_lo, v20, v9
	v_add_co_ci_u32_e32 v10, vcc_lo, v21, v10, vcc_lo
.LBB1418_146:
	s_and_not1_saveexec_b32 s2, s2
	s_cbranch_execz .LBB1418_148
; %bb.147:
	s_waitcnt lgkmcnt(5)
	v_add_co_u32 v9, vcc_lo, v15, v29
	v_add_co_ci_u32_e32 v10, vcc_lo, 0, v17, vcc_lo
.LBB1418_148:
	s_or_b32 exec_lo, exec_lo, s2
	s_waitcnt lgkmcnt(5)
	s_delay_alu instid0(VALU_DEP_1) | instskip(NEXT) | instid1(VALU_DEP_1)
	v_lshlrev_b64 v[9:10], 2, v[9:10]
	v_add_co_u32 v9, vcc_lo, s10, v9
	s_delay_alu instid0(VALU_DEP_2) | instskip(SKIP_3) | instid1(SALU_CYCLE_1)
	v_add_co_ci_u32_e32 v10, vcc_lo, s11, v10, vcc_lo
	s_waitcnt lgkmcnt(4)
	global_store_b32 v[9:10], v7, off
	s_or_b32 exec_lo, exec_lo, s1
	s_mov_b32 s1, exec_lo
	v_cmpx_gt_u32_e64 s22, v28
	s_cbranch_execnz .LBB1418_180
.LBB1418_149:
	s_or_b32 exec_lo, exec_lo, s1
	s_delay_alu instid0(SALU_CYCLE_1)
	s_mov_b32 s1, exec_lo
	v_cmpx_gt_u32_e64 s22, v27
	s_cbranch_execz .LBB1418_185
.LBB1418_150:
	s_mov_b32 s2, exec_lo
                                        ; implicit-def: $vgpr7_vgpr8
	v_cmpx_ge_u32_e64 v27, v16
	s_xor_b32 s2, exec_lo, s2
	s_cbranch_execz .LBB1418_152
; %bb.151:
	s_waitcnt lgkmcnt(4)
	v_xor_b32_e32 v7, 0xfffff9ff, v0
                                        ; implicit-def: $vgpr27
	s_delay_alu instid0(VALU_DEP_1) | instskip(SKIP_1) | instid1(VALU_DEP_2)
	v_ashrrev_i32_e32 v8, 31, v7
	v_add_co_u32 v7, vcc_lo, v20, v7
	v_add_co_ci_u32_e32 v8, vcc_lo, v21, v8, vcc_lo
.LBB1418_152:
	s_and_not1_saveexec_b32 s2, s2
	s_cbranch_execz .LBB1418_154
; %bb.153:
	s_waitcnt lgkmcnt(4)
	v_add_co_u32 v7, vcc_lo, v15, v27
	v_add_co_ci_u32_e32 v8, vcc_lo, 0, v17, vcc_lo
.LBB1418_154:
	s_or_b32 exec_lo, exec_lo, s2
	s_waitcnt lgkmcnt(4)
	s_delay_alu instid0(VALU_DEP_1) | instskip(NEXT) | instid1(VALU_DEP_1)
	v_lshlrev_b64 v[7:8], 2, v[7:8]
	v_add_co_u32 v7, vcc_lo, s10, v7
	s_delay_alu instid0(VALU_DEP_2) | instskip(SKIP_3) | instid1(SALU_CYCLE_1)
	v_add_co_ci_u32_e32 v8, vcc_lo, s11, v8, vcc_lo
	s_waitcnt lgkmcnt(3)
	global_store_b32 v[7:8], v5, off
	s_or_b32 exec_lo, exec_lo, s1
	s_mov_b32 s1, exec_lo
	v_cmpx_gt_u32_e64 s22, v26
	s_cbranch_execnz .LBB1418_186
.LBB1418_155:
	s_or_b32 exec_lo, exec_lo, s1
	s_delay_alu instid0(SALU_CYCLE_1)
	s_mov_b32 s1, exec_lo
	v_cmpx_gt_u32_e64 s22, v25
	s_cbranch_execz .LBB1418_191
.LBB1418_156:
	s_mov_b32 s2, exec_lo
                                        ; implicit-def: $vgpr5_vgpr6
	v_cmpx_ge_u32_e64 v25, v16
	s_xor_b32 s2, exec_lo, s2
	s_cbranch_execz .LBB1418_158
; %bb.157:
	s_waitcnt lgkmcnt(3)
	v_xor_b32_e32 v5, 0xfffff7ff, v0
                                        ; implicit-def: $vgpr25
	s_delay_alu instid0(VALU_DEP_1) | instskip(SKIP_1) | instid1(VALU_DEP_2)
	v_ashrrev_i32_e32 v6, 31, v5
	v_add_co_u32 v5, vcc_lo, v20, v5
	v_add_co_ci_u32_e32 v6, vcc_lo, v21, v6, vcc_lo
.LBB1418_158:
	s_and_not1_saveexec_b32 s2, s2
	s_cbranch_execz .LBB1418_160
; %bb.159:
	s_waitcnt lgkmcnt(3)
	v_add_co_u32 v5, vcc_lo, v15, v25
	v_add_co_ci_u32_e32 v6, vcc_lo, 0, v17, vcc_lo
.LBB1418_160:
	s_or_b32 exec_lo, exec_lo, s2
	s_waitcnt lgkmcnt(3)
	s_delay_alu instid0(VALU_DEP_1) | instskip(NEXT) | instid1(VALU_DEP_1)
	v_lshlrev_b64 v[5:6], 2, v[5:6]
	v_add_co_u32 v5, vcc_lo, s10, v5
	s_delay_alu instid0(VALU_DEP_2) | instskip(SKIP_3) | instid1(SALU_CYCLE_1)
	v_add_co_ci_u32_e32 v6, vcc_lo, s11, v6, vcc_lo
	s_waitcnt lgkmcnt(2)
	global_store_b32 v[5:6], v3, off
	s_or_b32 exec_lo, exec_lo, s1
	s_mov_b32 s1, exec_lo
	v_cmpx_gt_u32_e64 s22, v24
	s_cbranch_execnz .LBB1418_192
.LBB1418_161:
	s_or_b32 exec_lo, exec_lo, s1
	s_delay_alu instid0(SALU_CYCLE_1)
	s_mov_b32 s1, exec_lo
	v_cmpx_gt_u32_e64 s22, v23
	s_cbranch_execz .LBB1418_197
.LBB1418_162:
	s_mov_b32 s2, exec_lo
                                        ; implicit-def: $vgpr3_vgpr4
	v_cmpx_ge_u32_e64 v23, v16
	s_xor_b32 s2, exec_lo, s2
	s_cbranch_execz .LBB1418_164
; %bb.163:
	s_waitcnt lgkmcnt(2)
	v_xor_b32_e32 v3, 0xfffff5ff, v0
                                        ; implicit-def: $vgpr23
	s_delay_alu instid0(VALU_DEP_1) | instskip(SKIP_1) | instid1(VALU_DEP_2)
	v_ashrrev_i32_e32 v4, 31, v3
	v_add_co_u32 v3, vcc_lo, v20, v3
	v_add_co_ci_u32_e32 v4, vcc_lo, v21, v4, vcc_lo
.LBB1418_164:
	s_and_not1_saveexec_b32 s2, s2
	s_cbranch_execz .LBB1418_166
; %bb.165:
	s_waitcnt lgkmcnt(2)
	v_add_co_u32 v3, vcc_lo, v15, v23
	v_add_co_ci_u32_e32 v4, vcc_lo, 0, v17, vcc_lo
.LBB1418_166:
	s_or_b32 exec_lo, exec_lo, s2
	s_waitcnt lgkmcnt(2)
	s_delay_alu instid0(VALU_DEP_1) | instskip(NEXT) | instid1(VALU_DEP_1)
	v_lshlrev_b64 v[3:4], 2, v[3:4]
	v_add_co_u32 v3, vcc_lo, s10, v3
	s_delay_alu instid0(VALU_DEP_2) | instskip(SKIP_3) | instid1(SALU_CYCLE_1)
	v_add_co_ci_u32_e32 v4, vcc_lo, s11, v4, vcc_lo
	s_waitcnt lgkmcnt(1)
	global_store_b32 v[3:4], v1, off
	s_or_b32 exec_lo, exec_lo, s1
	s_mov_b32 s1, exec_lo
	v_cmpx_gt_u32_e64 s22, v22
	s_cbranch_execz .LBB1418_203
	s_branch .LBB1418_198
.LBB1418_167:
	s_or_b32 exec_lo, exec_lo, s1
	s_delay_alu instid0(SALU_CYCLE_1)
	s_mov_b32 s1, exec_lo
	v_cmpx_gt_u32_e64 s22, v34
	s_cbranch_execz .LBB1418_137
.LBB1418_168:
	s_mov_b32 s2, exec_lo
                                        ; implicit-def: $vgpr13_vgpr14
	v_cmpx_ge_u32_e64 v34, v16
	s_xor_b32 s2, exec_lo, s2
	s_cbranch_execz .LBB1418_170
; %bb.169:
	s_waitcnt lgkmcnt(6)
	v_xor_b32_e32 v11, 0xfffffeff, v0
                                        ; implicit-def: $vgpr34
	s_delay_alu instid0(VALU_DEP_1) | instskip(SKIP_1) | instid1(VALU_DEP_2)
	v_ashrrev_i32_e32 v14, 31, v11
	v_add_co_u32 v13, vcc_lo, v20, v11
	v_add_co_ci_u32_e32 v14, vcc_lo, v21, v14, vcc_lo
.LBB1418_170:
	s_and_not1_saveexec_b32 s2, s2
; %bb.171:
	v_add_co_u32 v13, vcc_lo, v15, v34
	v_add_co_ci_u32_e32 v14, vcc_lo, 0, v17, vcc_lo
; %bb.172:
	s_or_b32 exec_lo, exec_lo, s2
	s_delay_alu instid0(VALU_DEP_1) | instskip(NEXT) | instid1(VALU_DEP_1)
	v_lshlrev_b64 v[13:14], 2, v[13:14]
	v_add_co_u32 v13, vcc_lo, s10, v13
	s_delay_alu instid0(VALU_DEP_2) | instskip(SKIP_3) | instid1(SALU_CYCLE_1)
	v_add_co_ci_u32_e32 v14, vcc_lo, s11, v14, vcc_lo
	s_waitcnt lgkmcnt(6)
	global_store_b32 v[13:14], v12, off
	s_or_b32 exec_lo, exec_lo, s1
	s_mov_b32 s1, exec_lo
	v_cmpx_gt_u32_e64 s22, v33
	s_cbranch_execnz .LBB1418_138
.LBB1418_173:
	s_or_b32 exec_lo, exec_lo, s1
	s_delay_alu instid0(SALU_CYCLE_1)
	s_mov_b32 s1, exec_lo
	v_cmpx_gt_u32_e64 s22, v32
	s_cbranch_execz .LBB1418_143
.LBB1418_174:
	s_mov_b32 s2, exec_lo
                                        ; implicit-def: $vgpr11_vgpr12
	v_cmpx_ge_u32_e64 v32, v16
	s_xor_b32 s2, exec_lo, s2
	s_cbranch_execz .LBB1418_176
; %bb.175:
	s_waitcnt lgkmcnt(5)
	v_xor_b32_e32 v9, 0xfffffcff, v0
                                        ; implicit-def: $vgpr32
	s_delay_alu instid0(VALU_DEP_1) | instskip(SKIP_1) | instid1(VALU_DEP_2)
	v_ashrrev_i32_e32 v12, 31, v9
	v_add_co_u32 v11, vcc_lo, v20, v9
	v_add_co_ci_u32_e32 v12, vcc_lo, v21, v12, vcc_lo
.LBB1418_176:
	s_and_not1_saveexec_b32 s2, s2
	s_cbranch_execz .LBB1418_178
; %bb.177:
	s_waitcnt lgkmcnt(6)
	v_add_co_u32 v11, vcc_lo, v15, v32
	v_add_co_ci_u32_e32 v12, vcc_lo, 0, v17, vcc_lo
.LBB1418_178:
	s_or_b32 exec_lo, exec_lo, s2
	s_waitcnt lgkmcnt(6)
	s_delay_alu instid0(VALU_DEP_1) | instskip(NEXT) | instid1(VALU_DEP_1)
	v_lshlrev_b64 v[11:12], 2, v[11:12]
	v_add_co_u32 v11, vcc_lo, s10, v11
	s_delay_alu instid0(VALU_DEP_2) | instskip(SKIP_3) | instid1(SALU_CYCLE_1)
	v_add_co_ci_u32_e32 v12, vcc_lo, s11, v12, vcc_lo
	s_waitcnt lgkmcnt(5)
	global_store_b32 v[11:12], v10, off
	s_or_b32 exec_lo, exec_lo, s1
	s_mov_b32 s1, exec_lo
	v_cmpx_gt_u32_e64 s22, v29
	s_cbranch_execnz .LBB1418_144
.LBB1418_179:
	s_or_b32 exec_lo, exec_lo, s1
	s_delay_alu instid0(SALU_CYCLE_1)
	s_mov_b32 s1, exec_lo
	v_cmpx_gt_u32_e64 s22, v28
	s_cbranch_execz .LBB1418_149
.LBB1418_180:
	s_mov_b32 s2, exec_lo
                                        ; implicit-def: $vgpr9_vgpr10
	v_cmpx_ge_u32_e64 v28, v16
	s_xor_b32 s2, exec_lo, s2
	s_cbranch_execz .LBB1418_182
; %bb.181:
	s_waitcnt lgkmcnt(4)
	v_xor_b32_e32 v7, 0xfffffaff, v0
                                        ; implicit-def: $vgpr28
	s_delay_alu instid0(VALU_DEP_1) | instskip(SKIP_1) | instid1(VALU_DEP_2)
	v_ashrrev_i32_e32 v10, 31, v7
	v_add_co_u32 v9, vcc_lo, v20, v7
	v_add_co_ci_u32_e32 v10, vcc_lo, v21, v10, vcc_lo
.LBB1418_182:
	s_and_not1_saveexec_b32 s2, s2
	s_cbranch_execz .LBB1418_184
; %bb.183:
	s_waitcnt lgkmcnt(5)
	v_add_co_u32 v9, vcc_lo, v15, v28
	v_add_co_ci_u32_e32 v10, vcc_lo, 0, v17, vcc_lo
.LBB1418_184:
	s_or_b32 exec_lo, exec_lo, s2
	s_waitcnt lgkmcnt(5)
	s_delay_alu instid0(VALU_DEP_1) | instskip(NEXT) | instid1(VALU_DEP_1)
	v_lshlrev_b64 v[9:10], 2, v[9:10]
	v_add_co_u32 v9, vcc_lo, s10, v9
	s_delay_alu instid0(VALU_DEP_2) | instskip(SKIP_3) | instid1(SALU_CYCLE_1)
	v_add_co_ci_u32_e32 v10, vcc_lo, s11, v10, vcc_lo
	s_waitcnt lgkmcnt(4)
	global_store_b32 v[9:10], v8, off
	s_or_b32 exec_lo, exec_lo, s1
	s_mov_b32 s1, exec_lo
	v_cmpx_gt_u32_e64 s22, v27
	s_cbranch_execnz .LBB1418_150
.LBB1418_185:
	s_or_b32 exec_lo, exec_lo, s1
	s_delay_alu instid0(SALU_CYCLE_1)
	s_mov_b32 s1, exec_lo
	v_cmpx_gt_u32_e64 s22, v26
	s_cbranch_execz .LBB1418_155
.LBB1418_186:
	s_mov_b32 s2, exec_lo
                                        ; implicit-def: $vgpr7_vgpr8
	v_cmpx_ge_u32_e64 v26, v16
	s_xor_b32 s2, exec_lo, s2
	s_cbranch_execz .LBB1418_188
; %bb.187:
	s_waitcnt lgkmcnt(3)
	v_xor_b32_e32 v5, 0xfffff8ff, v0
                                        ; implicit-def: $vgpr26
	s_delay_alu instid0(VALU_DEP_1) | instskip(SKIP_1) | instid1(VALU_DEP_2)
	v_ashrrev_i32_e32 v8, 31, v5
	v_add_co_u32 v7, vcc_lo, v20, v5
	v_add_co_ci_u32_e32 v8, vcc_lo, v21, v8, vcc_lo
.LBB1418_188:
	s_and_not1_saveexec_b32 s2, s2
	s_cbranch_execz .LBB1418_190
; %bb.189:
	s_waitcnt lgkmcnt(4)
	v_add_co_u32 v7, vcc_lo, v15, v26
	v_add_co_ci_u32_e32 v8, vcc_lo, 0, v17, vcc_lo
.LBB1418_190:
	s_or_b32 exec_lo, exec_lo, s2
	s_waitcnt lgkmcnt(4)
	s_delay_alu instid0(VALU_DEP_1) | instskip(NEXT) | instid1(VALU_DEP_1)
	v_lshlrev_b64 v[7:8], 2, v[7:8]
	v_add_co_u32 v7, vcc_lo, s10, v7
	s_delay_alu instid0(VALU_DEP_2) | instskip(SKIP_3) | instid1(SALU_CYCLE_1)
	v_add_co_ci_u32_e32 v8, vcc_lo, s11, v8, vcc_lo
	s_waitcnt lgkmcnt(3)
	global_store_b32 v[7:8], v6, off
	s_or_b32 exec_lo, exec_lo, s1
	s_mov_b32 s1, exec_lo
	v_cmpx_gt_u32_e64 s22, v25
	s_cbranch_execnz .LBB1418_156
.LBB1418_191:
	s_or_b32 exec_lo, exec_lo, s1
	s_delay_alu instid0(SALU_CYCLE_1)
	s_mov_b32 s1, exec_lo
	v_cmpx_gt_u32_e64 s22, v24
	s_cbranch_execz .LBB1418_161
.LBB1418_192:
	s_mov_b32 s2, exec_lo
                                        ; implicit-def: $vgpr5_vgpr6
	v_cmpx_ge_u32_e64 v24, v16
	s_xor_b32 s2, exec_lo, s2
	s_cbranch_execz .LBB1418_194
; %bb.193:
	s_waitcnt lgkmcnt(2)
	v_xor_b32_e32 v3, 0xfffff6ff, v0
                                        ; implicit-def: $vgpr24
	s_delay_alu instid0(VALU_DEP_1) | instskip(SKIP_1) | instid1(VALU_DEP_2)
	v_ashrrev_i32_e32 v6, 31, v3
	v_add_co_u32 v5, vcc_lo, v20, v3
	v_add_co_ci_u32_e32 v6, vcc_lo, v21, v6, vcc_lo
.LBB1418_194:
	s_and_not1_saveexec_b32 s2, s2
	s_cbranch_execz .LBB1418_196
; %bb.195:
	s_waitcnt lgkmcnt(3)
	v_add_co_u32 v5, vcc_lo, v15, v24
	v_add_co_ci_u32_e32 v6, vcc_lo, 0, v17, vcc_lo
.LBB1418_196:
	s_or_b32 exec_lo, exec_lo, s2
	s_waitcnt lgkmcnt(3)
	s_delay_alu instid0(VALU_DEP_1) | instskip(NEXT) | instid1(VALU_DEP_1)
	v_lshlrev_b64 v[5:6], 2, v[5:6]
	v_add_co_u32 v5, vcc_lo, s10, v5
	s_delay_alu instid0(VALU_DEP_2) | instskip(SKIP_3) | instid1(SALU_CYCLE_1)
	v_add_co_ci_u32_e32 v6, vcc_lo, s11, v6, vcc_lo
	s_waitcnt lgkmcnt(2)
	global_store_b32 v[5:6], v4, off
	s_or_b32 exec_lo, exec_lo, s1
	s_mov_b32 s1, exec_lo
	v_cmpx_gt_u32_e64 s22, v23
	s_cbranch_execnz .LBB1418_162
.LBB1418_197:
	s_or_b32 exec_lo, exec_lo, s1
	s_delay_alu instid0(SALU_CYCLE_1)
	s_mov_b32 s1, exec_lo
	v_cmpx_gt_u32_e64 s22, v22
	s_cbranch_execz .LBB1418_203
.LBB1418_198:
	s_mov_b32 s2, exec_lo
                                        ; implicit-def: $vgpr3_vgpr4
	v_cmpx_ge_u32_e64 v22, v16
	s_xor_b32 s2, exec_lo, s2
	s_cbranch_execz .LBB1418_200
; %bb.199:
	s_waitcnt lgkmcnt(1)
	v_xor_b32_e32 v1, 0xfffff4ff, v0
                                        ; implicit-def: $vgpr22
	s_delay_alu instid0(VALU_DEP_1) | instskip(SKIP_1) | instid1(VALU_DEP_2)
	v_ashrrev_i32_e32 v4, 31, v1
	v_add_co_u32 v3, vcc_lo, v20, v1
	v_add_co_ci_u32_e32 v4, vcc_lo, v21, v4, vcc_lo
.LBB1418_200:
	s_and_not1_saveexec_b32 s2, s2
	s_cbranch_execz .LBB1418_202
; %bb.201:
	s_waitcnt lgkmcnt(2)
	v_add_co_u32 v3, vcc_lo, v15, v22
	v_add_co_ci_u32_e32 v4, vcc_lo, 0, v17, vcc_lo
.LBB1418_202:
	s_or_b32 exec_lo, exec_lo, s2
	s_waitcnt lgkmcnt(2)
	s_delay_alu instid0(VALU_DEP_1) | instskip(NEXT) | instid1(VALU_DEP_1)
	v_lshlrev_b64 v[3:4], 2, v[3:4]
	v_add_co_u32 v3, vcc_lo, s10, v3
	s_delay_alu instid0(VALU_DEP_2)
	v_add_co_ci_u32_e32 v4, vcc_lo, s11, v4, vcc_lo
	s_waitcnt lgkmcnt(1)
	global_store_b32 v[3:4], v2, off
.LBB1418_203:
	s_or_b32 exec_lo, exec_lo, s1
	s_delay_alu instid0(SALU_CYCLE_1)
	s_mov_b32 s1, exec_lo
                                        ; implicit-def: $vgpr13_vgpr14
	v_cmpx_gt_u32_e64 s22, v19
	s_cbranch_execz .LBB1418_209
; %bb.204:
	s_mov_b32 s2, exec_lo
                                        ; implicit-def: $vgpr13_vgpr14
	v_cmpx_ge_u32_e64 v19, v16
	s_xor_b32 s2, exec_lo, s2
	s_cbranch_execz .LBB1418_206
; %bb.205:
	s_waitcnt lgkmcnt(1)
	v_xor_b32_e32 v1, 0xfffff3ff, v0
                                        ; implicit-def: $vgpr19
	s_delay_alu instid0(VALU_DEP_1) | instskip(SKIP_1) | instid1(VALU_DEP_2)
	v_ashrrev_i32_e32 v2, 31, v1
	v_add_co_u32 v13, vcc_lo, v20, v1
	v_add_co_ci_u32_e32 v14, vcc_lo, v21, v2, vcc_lo
.LBB1418_206:
	s_and_not1_saveexec_b32 s2, s2
; %bb.207:
	v_add_co_u32 v13, vcc_lo, v15, v19
	v_add_co_ci_u32_e32 v14, vcc_lo, 0, v17, vcc_lo
; %bb.208:
	s_or_b32 exec_lo, exec_lo, s2
	s_delay_alu instid0(SALU_CYCLE_1)
	s_or_b32 s0, s0, exec_lo
.LBB1418_209:
	s_or_b32 exec_lo, exec_lo, s1
.LBB1418_210:
	s_and_saveexec_b32 s1, s0
	s_cbranch_execz .LBB1418_212
; %bb.211:
	s_waitcnt lgkmcnt(1)
	v_lshlrev_b64 v[1:2], 2, v[13:14]
	s_delay_alu instid0(VALU_DEP_1) | instskip(NEXT) | instid1(VALU_DEP_2)
	v_add_co_u32 v1, vcc_lo, s10, v1
	v_add_co_ci_u32_e32 v2, vcc_lo, s11, v2, vcc_lo
	s_waitcnt lgkmcnt(0)
	global_store_b32 v[1:2], v18, off
.LBB1418_212:
	s_or_b32 exec_lo, exec_lo, s1
	v_cmp_eq_u32_e32 vcc_lo, 0, v0
	s_and_b32 s0, vcc_lo, s14
	s_delay_alu instid0(SALU_CYCLE_1)
	s_and_saveexec_b32 s1, s0
	s_cbranch_execz .LBB1418_214
; %bb.213:
	v_add_co_u32 v0, vcc_lo, v15, v16
	s_waitcnt lgkmcnt(1)
	v_mov_b32_e32 v2, 0
	v_add_co_ci_u32_e32 v1, vcc_lo, 0, v17, vcc_lo
	global_store_b64 v2, v[0:1], s[8:9]
.LBB1418_214:
	s_nop 0
	s_sendmsg sendmsg(MSG_DEALLOC_VGPRS)
	s_endpgm
	.section	.rodata,"a",@progbits
	.p2align	6, 0x0
	.amdhsa_kernel _ZN7rocprim17ROCPRIM_400000_NS6detail17trampoline_kernelINS0_13select_configILj256ELj13ELNS0_17block_load_methodE3ELS4_3ELS4_3ELNS0_20block_scan_algorithmE0ELj4294967295EEENS1_25partition_config_selectorILNS1_17partition_subalgoE3EjNS0_10empty_typeEbEEZZNS1_14partition_implILS8_3ELb0ES6_jNS0_17counting_iteratorIjlEEPS9_SE_NS0_5tupleIJPjSE_EEENSF_IJSE_SE_EEES9_SG_JZNS1_25segmented_radix_sort_implINS0_14default_configELb0EPKfPfPKlPlN2at6native12_GLOBAL__N_18offset_tEEE10hipError_tPvRmT1_PNSt15iterator_traitsISY_E10value_typeET2_T3_PNSZ_IS14_E10value_typeET4_jRbjT5_S1A_jjP12ihipStream_tbEUljE_EEESV_SW_SX_S14_S18_S1A_T6_T7_T9_mT8_S1C_bDpT10_ENKUlT_T0_E_clISt17integral_constantIbLb1EES1O_IbLb0EEEEDaS1K_S1L_EUlS1K_E_NS1_11comp_targetILNS1_3genE9ELNS1_11target_archE1100ELNS1_3gpuE3ELNS1_3repE0EEENS1_30default_config_static_selectorELNS0_4arch9wavefront6targetE0EEEvSY_
		.amdhsa_group_segment_fixed_size 13324
		.amdhsa_private_segment_fixed_size 0
		.amdhsa_kernarg_size 144
		.amdhsa_user_sgpr_count 15
		.amdhsa_user_sgpr_dispatch_ptr 0
		.amdhsa_user_sgpr_queue_ptr 0
		.amdhsa_user_sgpr_kernarg_segment_ptr 1
		.amdhsa_user_sgpr_dispatch_id 0
		.amdhsa_user_sgpr_private_segment_size 0
		.amdhsa_wavefront_size32 1
		.amdhsa_uses_dynamic_stack 0
		.amdhsa_enable_private_segment 0
		.amdhsa_system_sgpr_workgroup_id_x 1
		.amdhsa_system_sgpr_workgroup_id_y 0
		.amdhsa_system_sgpr_workgroup_id_z 0
		.amdhsa_system_sgpr_workgroup_info 0
		.amdhsa_system_vgpr_workitem_id 0
		.amdhsa_next_free_vgpr 57
		.amdhsa_next_free_sgpr 28
		.amdhsa_reserve_vcc 1
		.amdhsa_float_round_mode_32 0
		.amdhsa_float_round_mode_16_64 0
		.amdhsa_float_denorm_mode_32 3
		.amdhsa_float_denorm_mode_16_64 3
		.amdhsa_dx10_clamp 1
		.amdhsa_ieee_mode 1
		.amdhsa_fp16_overflow 0
		.amdhsa_workgroup_processor_mode 1
		.amdhsa_memory_ordered 1
		.amdhsa_forward_progress 0
		.amdhsa_shared_vgpr_count 0
		.amdhsa_exception_fp_ieee_invalid_op 0
		.amdhsa_exception_fp_denorm_src 0
		.amdhsa_exception_fp_ieee_div_zero 0
		.amdhsa_exception_fp_ieee_overflow 0
		.amdhsa_exception_fp_ieee_underflow 0
		.amdhsa_exception_fp_ieee_inexact 0
		.amdhsa_exception_int_div_zero 0
	.end_amdhsa_kernel
	.section	.text._ZN7rocprim17ROCPRIM_400000_NS6detail17trampoline_kernelINS0_13select_configILj256ELj13ELNS0_17block_load_methodE3ELS4_3ELS4_3ELNS0_20block_scan_algorithmE0ELj4294967295EEENS1_25partition_config_selectorILNS1_17partition_subalgoE3EjNS0_10empty_typeEbEEZZNS1_14partition_implILS8_3ELb0ES6_jNS0_17counting_iteratorIjlEEPS9_SE_NS0_5tupleIJPjSE_EEENSF_IJSE_SE_EEES9_SG_JZNS1_25segmented_radix_sort_implINS0_14default_configELb0EPKfPfPKlPlN2at6native12_GLOBAL__N_18offset_tEEE10hipError_tPvRmT1_PNSt15iterator_traitsISY_E10value_typeET2_T3_PNSZ_IS14_E10value_typeET4_jRbjT5_S1A_jjP12ihipStream_tbEUljE_EEESV_SW_SX_S14_S18_S1A_T6_T7_T9_mT8_S1C_bDpT10_ENKUlT_T0_E_clISt17integral_constantIbLb1EES1O_IbLb0EEEEDaS1K_S1L_EUlS1K_E_NS1_11comp_targetILNS1_3genE9ELNS1_11target_archE1100ELNS1_3gpuE3ELNS1_3repE0EEENS1_30default_config_static_selectorELNS0_4arch9wavefront6targetE0EEEvSY_,"axG",@progbits,_ZN7rocprim17ROCPRIM_400000_NS6detail17trampoline_kernelINS0_13select_configILj256ELj13ELNS0_17block_load_methodE3ELS4_3ELS4_3ELNS0_20block_scan_algorithmE0ELj4294967295EEENS1_25partition_config_selectorILNS1_17partition_subalgoE3EjNS0_10empty_typeEbEEZZNS1_14partition_implILS8_3ELb0ES6_jNS0_17counting_iteratorIjlEEPS9_SE_NS0_5tupleIJPjSE_EEENSF_IJSE_SE_EEES9_SG_JZNS1_25segmented_radix_sort_implINS0_14default_configELb0EPKfPfPKlPlN2at6native12_GLOBAL__N_18offset_tEEE10hipError_tPvRmT1_PNSt15iterator_traitsISY_E10value_typeET2_T3_PNSZ_IS14_E10value_typeET4_jRbjT5_S1A_jjP12ihipStream_tbEUljE_EEESV_SW_SX_S14_S18_S1A_T6_T7_T9_mT8_S1C_bDpT10_ENKUlT_T0_E_clISt17integral_constantIbLb1EES1O_IbLb0EEEEDaS1K_S1L_EUlS1K_E_NS1_11comp_targetILNS1_3genE9ELNS1_11target_archE1100ELNS1_3gpuE3ELNS1_3repE0EEENS1_30default_config_static_selectorELNS0_4arch9wavefront6targetE0EEEvSY_,comdat
.Lfunc_end1418:
	.size	_ZN7rocprim17ROCPRIM_400000_NS6detail17trampoline_kernelINS0_13select_configILj256ELj13ELNS0_17block_load_methodE3ELS4_3ELS4_3ELNS0_20block_scan_algorithmE0ELj4294967295EEENS1_25partition_config_selectorILNS1_17partition_subalgoE3EjNS0_10empty_typeEbEEZZNS1_14partition_implILS8_3ELb0ES6_jNS0_17counting_iteratorIjlEEPS9_SE_NS0_5tupleIJPjSE_EEENSF_IJSE_SE_EEES9_SG_JZNS1_25segmented_radix_sort_implINS0_14default_configELb0EPKfPfPKlPlN2at6native12_GLOBAL__N_18offset_tEEE10hipError_tPvRmT1_PNSt15iterator_traitsISY_E10value_typeET2_T3_PNSZ_IS14_E10value_typeET4_jRbjT5_S1A_jjP12ihipStream_tbEUljE_EEESV_SW_SX_S14_S18_S1A_T6_T7_T9_mT8_S1C_bDpT10_ENKUlT_T0_E_clISt17integral_constantIbLb1EES1O_IbLb0EEEEDaS1K_S1L_EUlS1K_E_NS1_11comp_targetILNS1_3genE9ELNS1_11target_archE1100ELNS1_3gpuE3ELNS1_3repE0EEENS1_30default_config_static_selectorELNS0_4arch9wavefront6targetE0EEEvSY_, .Lfunc_end1418-_ZN7rocprim17ROCPRIM_400000_NS6detail17trampoline_kernelINS0_13select_configILj256ELj13ELNS0_17block_load_methodE3ELS4_3ELS4_3ELNS0_20block_scan_algorithmE0ELj4294967295EEENS1_25partition_config_selectorILNS1_17partition_subalgoE3EjNS0_10empty_typeEbEEZZNS1_14partition_implILS8_3ELb0ES6_jNS0_17counting_iteratorIjlEEPS9_SE_NS0_5tupleIJPjSE_EEENSF_IJSE_SE_EEES9_SG_JZNS1_25segmented_radix_sort_implINS0_14default_configELb0EPKfPfPKlPlN2at6native12_GLOBAL__N_18offset_tEEE10hipError_tPvRmT1_PNSt15iterator_traitsISY_E10value_typeET2_T3_PNSZ_IS14_E10value_typeET4_jRbjT5_S1A_jjP12ihipStream_tbEUljE_EEESV_SW_SX_S14_S18_S1A_T6_T7_T9_mT8_S1C_bDpT10_ENKUlT_T0_E_clISt17integral_constantIbLb1EES1O_IbLb0EEEEDaS1K_S1L_EUlS1K_E_NS1_11comp_targetILNS1_3genE9ELNS1_11target_archE1100ELNS1_3gpuE3ELNS1_3repE0EEENS1_30default_config_static_selectorELNS0_4arch9wavefront6targetE0EEEvSY_
                                        ; -- End function
	.section	.AMDGPU.csdata,"",@progbits
; Kernel info:
; codeLenInByte = 8964
; NumSgprs: 30
; NumVgprs: 57
; ScratchSize: 0
; MemoryBound: 0
; FloatMode: 240
; IeeeMode: 1
; LDSByteSize: 13324 bytes/workgroup (compile time only)
; SGPRBlocks: 3
; VGPRBlocks: 7
; NumSGPRsForWavesPerEU: 30
; NumVGPRsForWavesPerEU: 57
; Occupancy: 16
; WaveLimiterHint : 0
; COMPUTE_PGM_RSRC2:SCRATCH_EN: 0
; COMPUTE_PGM_RSRC2:USER_SGPR: 15
; COMPUTE_PGM_RSRC2:TRAP_HANDLER: 0
; COMPUTE_PGM_RSRC2:TGID_X_EN: 1
; COMPUTE_PGM_RSRC2:TGID_Y_EN: 0
; COMPUTE_PGM_RSRC2:TGID_Z_EN: 0
; COMPUTE_PGM_RSRC2:TIDIG_COMP_CNT: 0
	.section	.text._ZN7rocprim17ROCPRIM_400000_NS6detail17trampoline_kernelINS0_13select_configILj256ELj13ELNS0_17block_load_methodE3ELS4_3ELS4_3ELNS0_20block_scan_algorithmE0ELj4294967295EEENS1_25partition_config_selectorILNS1_17partition_subalgoE3EjNS0_10empty_typeEbEEZZNS1_14partition_implILS8_3ELb0ES6_jNS0_17counting_iteratorIjlEEPS9_SE_NS0_5tupleIJPjSE_EEENSF_IJSE_SE_EEES9_SG_JZNS1_25segmented_radix_sort_implINS0_14default_configELb0EPKfPfPKlPlN2at6native12_GLOBAL__N_18offset_tEEE10hipError_tPvRmT1_PNSt15iterator_traitsISY_E10value_typeET2_T3_PNSZ_IS14_E10value_typeET4_jRbjT5_S1A_jjP12ihipStream_tbEUljE_EEESV_SW_SX_S14_S18_S1A_T6_T7_T9_mT8_S1C_bDpT10_ENKUlT_T0_E_clISt17integral_constantIbLb1EES1O_IbLb0EEEEDaS1K_S1L_EUlS1K_E_NS1_11comp_targetILNS1_3genE8ELNS1_11target_archE1030ELNS1_3gpuE2ELNS1_3repE0EEENS1_30default_config_static_selectorELNS0_4arch9wavefront6targetE0EEEvSY_,"axG",@progbits,_ZN7rocprim17ROCPRIM_400000_NS6detail17trampoline_kernelINS0_13select_configILj256ELj13ELNS0_17block_load_methodE3ELS4_3ELS4_3ELNS0_20block_scan_algorithmE0ELj4294967295EEENS1_25partition_config_selectorILNS1_17partition_subalgoE3EjNS0_10empty_typeEbEEZZNS1_14partition_implILS8_3ELb0ES6_jNS0_17counting_iteratorIjlEEPS9_SE_NS0_5tupleIJPjSE_EEENSF_IJSE_SE_EEES9_SG_JZNS1_25segmented_radix_sort_implINS0_14default_configELb0EPKfPfPKlPlN2at6native12_GLOBAL__N_18offset_tEEE10hipError_tPvRmT1_PNSt15iterator_traitsISY_E10value_typeET2_T3_PNSZ_IS14_E10value_typeET4_jRbjT5_S1A_jjP12ihipStream_tbEUljE_EEESV_SW_SX_S14_S18_S1A_T6_T7_T9_mT8_S1C_bDpT10_ENKUlT_T0_E_clISt17integral_constantIbLb1EES1O_IbLb0EEEEDaS1K_S1L_EUlS1K_E_NS1_11comp_targetILNS1_3genE8ELNS1_11target_archE1030ELNS1_3gpuE2ELNS1_3repE0EEENS1_30default_config_static_selectorELNS0_4arch9wavefront6targetE0EEEvSY_,comdat
	.globl	_ZN7rocprim17ROCPRIM_400000_NS6detail17trampoline_kernelINS0_13select_configILj256ELj13ELNS0_17block_load_methodE3ELS4_3ELS4_3ELNS0_20block_scan_algorithmE0ELj4294967295EEENS1_25partition_config_selectorILNS1_17partition_subalgoE3EjNS0_10empty_typeEbEEZZNS1_14partition_implILS8_3ELb0ES6_jNS0_17counting_iteratorIjlEEPS9_SE_NS0_5tupleIJPjSE_EEENSF_IJSE_SE_EEES9_SG_JZNS1_25segmented_radix_sort_implINS0_14default_configELb0EPKfPfPKlPlN2at6native12_GLOBAL__N_18offset_tEEE10hipError_tPvRmT1_PNSt15iterator_traitsISY_E10value_typeET2_T3_PNSZ_IS14_E10value_typeET4_jRbjT5_S1A_jjP12ihipStream_tbEUljE_EEESV_SW_SX_S14_S18_S1A_T6_T7_T9_mT8_S1C_bDpT10_ENKUlT_T0_E_clISt17integral_constantIbLb1EES1O_IbLb0EEEEDaS1K_S1L_EUlS1K_E_NS1_11comp_targetILNS1_3genE8ELNS1_11target_archE1030ELNS1_3gpuE2ELNS1_3repE0EEENS1_30default_config_static_selectorELNS0_4arch9wavefront6targetE0EEEvSY_ ; -- Begin function _ZN7rocprim17ROCPRIM_400000_NS6detail17trampoline_kernelINS0_13select_configILj256ELj13ELNS0_17block_load_methodE3ELS4_3ELS4_3ELNS0_20block_scan_algorithmE0ELj4294967295EEENS1_25partition_config_selectorILNS1_17partition_subalgoE3EjNS0_10empty_typeEbEEZZNS1_14partition_implILS8_3ELb0ES6_jNS0_17counting_iteratorIjlEEPS9_SE_NS0_5tupleIJPjSE_EEENSF_IJSE_SE_EEES9_SG_JZNS1_25segmented_radix_sort_implINS0_14default_configELb0EPKfPfPKlPlN2at6native12_GLOBAL__N_18offset_tEEE10hipError_tPvRmT1_PNSt15iterator_traitsISY_E10value_typeET2_T3_PNSZ_IS14_E10value_typeET4_jRbjT5_S1A_jjP12ihipStream_tbEUljE_EEESV_SW_SX_S14_S18_S1A_T6_T7_T9_mT8_S1C_bDpT10_ENKUlT_T0_E_clISt17integral_constantIbLb1EES1O_IbLb0EEEEDaS1K_S1L_EUlS1K_E_NS1_11comp_targetILNS1_3genE8ELNS1_11target_archE1030ELNS1_3gpuE2ELNS1_3repE0EEENS1_30default_config_static_selectorELNS0_4arch9wavefront6targetE0EEEvSY_
	.p2align	8
	.type	_ZN7rocprim17ROCPRIM_400000_NS6detail17trampoline_kernelINS0_13select_configILj256ELj13ELNS0_17block_load_methodE3ELS4_3ELS4_3ELNS0_20block_scan_algorithmE0ELj4294967295EEENS1_25partition_config_selectorILNS1_17partition_subalgoE3EjNS0_10empty_typeEbEEZZNS1_14partition_implILS8_3ELb0ES6_jNS0_17counting_iteratorIjlEEPS9_SE_NS0_5tupleIJPjSE_EEENSF_IJSE_SE_EEES9_SG_JZNS1_25segmented_radix_sort_implINS0_14default_configELb0EPKfPfPKlPlN2at6native12_GLOBAL__N_18offset_tEEE10hipError_tPvRmT1_PNSt15iterator_traitsISY_E10value_typeET2_T3_PNSZ_IS14_E10value_typeET4_jRbjT5_S1A_jjP12ihipStream_tbEUljE_EEESV_SW_SX_S14_S18_S1A_T6_T7_T9_mT8_S1C_bDpT10_ENKUlT_T0_E_clISt17integral_constantIbLb1EES1O_IbLb0EEEEDaS1K_S1L_EUlS1K_E_NS1_11comp_targetILNS1_3genE8ELNS1_11target_archE1030ELNS1_3gpuE2ELNS1_3repE0EEENS1_30default_config_static_selectorELNS0_4arch9wavefront6targetE0EEEvSY_,@function
_ZN7rocprim17ROCPRIM_400000_NS6detail17trampoline_kernelINS0_13select_configILj256ELj13ELNS0_17block_load_methodE3ELS4_3ELS4_3ELNS0_20block_scan_algorithmE0ELj4294967295EEENS1_25partition_config_selectorILNS1_17partition_subalgoE3EjNS0_10empty_typeEbEEZZNS1_14partition_implILS8_3ELb0ES6_jNS0_17counting_iteratorIjlEEPS9_SE_NS0_5tupleIJPjSE_EEENSF_IJSE_SE_EEES9_SG_JZNS1_25segmented_radix_sort_implINS0_14default_configELb0EPKfPfPKlPlN2at6native12_GLOBAL__N_18offset_tEEE10hipError_tPvRmT1_PNSt15iterator_traitsISY_E10value_typeET2_T3_PNSZ_IS14_E10value_typeET4_jRbjT5_S1A_jjP12ihipStream_tbEUljE_EEESV_SW_SX_S14_S18_S1A_T6_T7_T9_mT8_S1C_bDpT10_ENKUlT_T0_E_clISt17integral_constantIbLb1EES1O_IbLb0EEEEDaS1K_S1L_EUlS1K_E_NS1_11comp_targetILNS1_3genE8ELNS1_11target_archE1030ELNS1_3gpuE2ELNS1_3repE0EEENS1_30default_config_static_selectorELNS0_4arch9wavefront6targetE0EEEvSY_: ; @_ZN7rocprim17ROCPRIM_400000_NS6detail17trampoline_kernelINS0_13select_configILj256ELj13ELNS0_17block_load_methodE3ELS4_3ELS4_3ELNS0_20block_scan_algorithmE0ELj4294967295EEENS1_25partition_config_selectorILNS1_17partition_subalgoE3EjNS0_10empty_typeEbEEZZNS1_14partition_implILS8_3ELb0ES6_jNS0_17counting_iteratorIjlEEPS9_SE_NS0_5tupleIJPjSE_EEENSF_IJSE_SE_EEES9_SG_JZNS1_25segmented_radix_sort_implINS0_14default_configELb0EPKfPfPKlPlN2at6native12_GLOBAL__N_18offset_tEEE10hipError_tPvRmT1_PNSt15iterator_traitsISY_E10value_typeET2_T3_PNSZ_IS14_E10value_typeET4_jRbjT5_S1A_jjP12ihipStream_tbEUljE_EEESV_SW_SX_S14_S18_S1A_T6_T7_T9_mT8_S1C_bDpT10_ENKUlT_T0_E_clISt17integral_constantIbLb1EES1O_IbLb0EEEEDaS1K_S1L_EUlS1K_E_NS1_11comp_targetILNS1_3genE8ELNS1_11target_archE1030ELNS1_3gpuE2ELNS1_3repE0EEENS1_30default_config_static_selectorELNS0_4arch9wavefront6targetE0EEEvSY_
; %bb.0:
	.section	.rodata,"a",@progbits
	.p2align	6, 0x0
	.amdhsa_kernel _ZN7rocprim17ROCPRIM_400000_NS6detail17trampoline_kernelINS0_13select_configILj256ELj13ELNS0_17block_load_methodE3ELS4_3ELS4_3ELNS0_20block_scan_algorithmE0ELj4294967295EEENS1_25partition_config_selectorILNS1_17partition_subalgoE3EjNS0_10empty_typeEbEEZZNS1_14partition_implILS8_3ELb0ES6_jNS0_17counting_iteratorIjlEEPS9_SE_NS0_5tupleIJPjSE_EEENSF_IJSE_SE_EEES9_SG_JZNS1_25segmented_radix_sort_implINS0_14default_configELb0EPKfPfPKlPlN2at6native12_GLOBAL__N_18offset_tEEE10hipError_tPvRmT1_PNSt15iterator_traitsISY_E10value_typeET2_T3_PNSZ_IS14_E10value_typeET4_jRbjT5_S1A_jjP12ihipStream_tbEUljE_EEESV_SW_SX_S14_S18_S1A_T6_T7_T9_mT8_S1C_bDpT10_ENKUlT_T0_E_clISt17integral_constantIbLb1EES1O_IbLb0EEEEDaS1K_S1L_EUlS1K_E_NS1_11comp_targetILNS1_3genE8ELNS1_11target_archE1030ELNS1_3gpuE2ELNS1_3repE0EEENS1_30default_config_static_selectorELNS0_4arch9wavefront6targetE0EEEvSY_
		.amdhsa_group_segment_fixed_size 0
		.amdhsa_private_segment_fixed_size 0
		.amdhsa_kernarg_size 144
		.amdhsa_user_sgpr_count 15
		.amdhsa_user_sgpr_dispatch_ptr 0
		.amdhsa_user_sgpr_queue_ptr 0
		.amdhsa_user_sgpr_kernarg_segment_ptr 1
		.amdhsa_user_sgpr_dispatch_id 0
		.amdhsa_user_sgpr_private_segment_size 0
		.amdhsa_wavefront_size32 1
		.amdhsa_uses_dynamic_stack 0
		.amdhsa_enable_private_segment 0
		.amdhsa_system_sgpr_workgroup_id_x 1
		.amdhsa_system_sgpr_workgroup_id_y 0
		.amdhsa_system_sgpr_workgroup_id_z 0
		.amdhsa_system_sgpr_workgroup_info 0
		.amdhsa_system_vgpr_workitem_id 0
		.amdhsa_next_free_vgpr 1
		.amdhsa_next_free_sgpr 1
		.amdhsa_reserve_vcc 0
		.amdhsa_float_round_mode_32 0
		.amdhsa_float_round_mode_16_64 0
		.amdhsa_float_denorm_mode_32 3
		.amdhsa_float_denorm_mode_16_64 3
		.amdhsa_dx10_clamp 1
		.amdhsa_ieee_mode 1
		.amdhsa_fp16_overflow 0
		.amdhsa_workgroup_processor_mode 1
		.amdhsa_memory_ordered 1
		.amdhsa_forward_progress 0
		.amdhsa_shared_vgpr_count 0
		.amdhsa_exception_fp_ieee_invalid_op 0
		.amdhsa_exception_fp_denorm_src 0
		.amdhsa_exception_fp_ieee_div_zero 0
		.amdhsa_exception_fp_ieee_overflow 0
		.amdhsa_exception_fp_ieee_underflow 0
		.amdhsa_exception_fp_ieee_inexact 0
		.amdhsa_exception_int_div_zero 0
	.end_amdhsa_kernel
	.section	.text._ZN7rocprim17ROCPRIM_400000_NS6detail17trampoline_kernelINS0_13select_configILj256ELj13ELNS0_17block_load_methodE3ELS4_3ELS4_3ELNS0_20block_scan_algorithmE0ELj4294967295EEENS1_25partition_config_selectorILNS1_17partition_subalgoE3EjNS0_10empty_typeEbEEZZNS1_14partition_implILS8_3ELb0ES6_jNS0_17counting_iteratorIjlEEPS9_SE_NS0_5tupleIJPjSE_EEENSF_IJSE_SE_EEES9_SG_JZNS1_25segmented_radix_sort_implINS0_14default_configELb0EPKfPfPKlPlN2at6native12_GLOBAL__N_18offset_tEEE10hipError_tPvRmT1_PNSt15iterator_traitsISY_E10value_typeET2_T3_PNSZ_IS14_E10value_typeET4_jRbjT5_S1A_jjP12ihipStream_tbEUljE_EEESV_SW_SX_S14_S18_S1A_T6_T7_T9_mT8_S1C_bDpT10_ENKUlT_T0_E_clISt17integral_constantIbLb1EES1O_IbLb0EEEEDaS1K_S1L_EUlS1K_E_NS1_11comp_targetILNS1_3genE8ELNS1_11target_archE1030ELNS1_3gpuE2ELNS1_3repE0EEENS1_30default_config_static_selectorELNS0_4arch9wavefront6targetE0EEEvSY_,"axG",@progbits,_ZN7rocprim17ROCPRIM_400000_NS6detail17trampoline_kernelINS0_13select_configILj256ELj13ELNS0_17block_load_methodE3ELS4_3ELS4_3ELNS0_20block_scan_algorithmE0ELj4294967295EEENS1_25partition_config_selectorILNS1_17partition_subalgoE3EjNS0_10empty_typeEbEEZZNS1_14partition_implILS8_3ELb0ES6_jNS0_17counting_iteratorIjlEEPS9_SE_NS0_5tupleIJPjSE_EEENSF_IJSE_SE_EEES9_SG_JZNS1_25segmented_radix_sort_implINS0_14default_configELb0EPKfPfPKlPlN2at6native12_GLOBAL__N_18offset_tEEE10hipError_tPvRmT1_PNSt15iterator_traitsISY_E10value_typeET2_T3_PNSZ_IS14_E10value_typeET4_jRbjT5_S1A_jjP12ihipStream_tbEUljE_EEESV_SW_SX_S14_S18_S1A_T6_T7_T9_mT8_S1C_bDpT10_ENKUlT_T0_E_clISt17integral_constantIbLb1EES1O_IbLb0EEEEDaS1K_S1L_EUlS1K_E_NS1_11comp_targetILNS1_3genE8ELNS1_11target_archE1030ELNS1_3gpuE2ELNS1_3repE0EEENS1_30default_config_static_selectorELNS0_4arch9wavefront6targetE0EEEvSY_,comdat
.Lfunc_end1419:
	.size	_ZN7rocprim17ROCPRIM_400000_NS6detail17trampoline_kernelINS0_13select_configILj256ELj13ELNS0_17block_load_methodE3ELS4_3ELS4_3ELNS0_20block_scan_algorithmE0ELj4294967295EEENS1_25partition_config_selectorILNS1_17partition_subalgoE3EjNS0_10empty_typeEbEEZZNS1_14partition_implILS8_3ELb0ES6_jNS0_17counting_iteratorIjlEEPS9_SE_NS0_5tupleIJPjSE_EEENSF_IJSE_SE_EEES9_SG_JZNS1_25segmented_radix_sort_implINS0_14default_configELb0EPKfPfPKlPlN2at6native12_GLOBAL__N_18offset_tEEE10hipError_tPvRmT1_PNSt15iterator_traitsISY_E10value_typeET2_T3_PNSZ_IS14_E10value_typeET4_jRbjT5_S1A_jjP12ihipStream_tbEUljE_EEESV_SW_SX_S14_S18_S1A_T6_T7_T9_mT8_S1C_bDpT10_ENKUlT_T0_E_clISt17integral_constantIbLb1EES1O_IbLb0EEEEDaS1K_S1L_EUlS1K_E_NS1_11comp_targetILNS1_3genE8ELNS1_11target_archE1030ELNS1_3gpuE2ELNS1_3repE0EEENS1_30default_config_static_selectorELNS0_4arch9wavefront6targetE0EEEvSY_, .Lfunc_end1419-_ZN7rocprim17ROCPRIM_400000_NS6detail17trampoline_kernelINS0_13select_configILj256ELj13ELNS0_17block_load_methodE3ELS4_3ELS4_3ELNS0_20block_scan_algorithmE0ELj4294967295EEENS1_25partition_config_selectorILNS1_17partition_subalgoE3EjNS0_10empty_typeEbEEZZNS1_14partition_implILS8_3ELb0ES6_jNS0_17counting_iteratorIjlEEPS9_SE_NS0_5tupleIJPjSE_EEENSF_IJSE_SE_EEES9_SG_JZNS1_25segmented_radix_sort_implINS0_14default_configELb0EPKfPfPKlPlN2at6native12_GLOBAL__N_18offset_tEEE10hipError_tPvRmT1_PNSt15iterator_traitsISY_E10value_typeET2_T3_PNSZ_IS14_E10value_typeET4_jRbjT5_S1A_jjP12ihipStream_tbEUljE_EEESV_SW_SX_S14_S18_S1A_T6_T7_T9_mT8_S1C_bDpT10_ENKUlT_T0_E_clISt17integral_constantIbLb1EES1O_IbLb0EEEEDaS1K_S1L_EUlS1K_E_NS1_11comp_targetILNS1_3genE8ELNS1_11target_archE1030ELNS1_3gpuE2ELNS1_3repE0EEENS1_30default_config_static_selectorELNS0_4arch9wavefront6targetE0EEEvSY_
                                        ; -- End function
	.section	.AMDGPU.csdata,"",@progbits
; Kernel info:
; codeLenInByte = 0
; NumSgprs: 0
; NumVgprs: 0
; ScratchSize: 0
; MemoryBound: 0
; FloatMode: 240
; IeeeMode: 1
; LDSByteSize: 0 bytes/workgroup (compile time only)
; SGPRBlocks: 0
; VGPRBlocks: 0
; NumSGPRsForWavesPerEU: 1
; NumVGPRsForWavesPerEU: 1
; Occupancy: 16
; WaveLimiterHint : 0
; COMPUTE_PGM_RSRC2:SCRATCH_EN: 0
; COMPUTE_PGM_RSRC2:USER_SGPR: 15
; COMPUTE_PGM_RSRC2:TRAP_HANDLER: 0
; COMPUTE_PGM_RSRC2:TGID_X_EN: 1
; COMPUTE_PGM_RSRC2:TGID_Y_EN: 0
; COMPUTE_PGM_RSRC2:TGID_Z_EN: 0
; COMPUTE_PGM_RSRC2:TIDIG_COMP_CNT: 0
	.section	.text._ZN7rocprim17ROCPRIM_400000_NS6detail17trampoline_kernelINS0_13select_configILj256ELj13ELNS0_17block_load_methodE3ELS4_3ELS4_3ELNS0_20block_scan_algorithmE0ELj4294967295EEENS1_25partition_config_selectorILNS1_17partition_subalgoE3EjNS0_10empty_typeEbEEZZNS1_14partition_implILS8_3ELb0ES6_jNS0_17counting_iteratorIjlEEPS9_SE_NS0_5tupleIJPjSE_EEENSF_IJSE_SE_EEES9_SG_JZNS1_25segmented_radix_sort_implINS0_14default_configELb0EPKfPfPKlPlN2at6native12_GLOBAL__N_18offset_tEEE10hipError_tPvRmT1_PNSt15iterator_traitsISY_E10value_typeET2_T3_PNSZ_IS14_E10value_typeET4_jRbjT5_S1A_jjP12ihipStream_tbEUljE_EEESV_SW_SX_S14_S18_S1A_T6_T7_T9_mT8_S1C_bDpT10_ENKUlT_T0_E_clISt17integral_constantIbLb0EES1O_IbLb1EEEEDaS1K_S1L_EUlS1K_E_NS1_11comp_targetILNS1_3genE0ELNS1_11target_archE4294967295ELNS1_3gpuE0ELNS1_3repE0EEENS1_30default_config_static_selectorELNS0_4arch9wavefront6targetE0EEEvSY_,"axG",@progbits,_ZN7rocprim17ROCPRIM_400000_NS6detail17trampoline_kernelINS0_13select_configILj256ELj13ELNS0_17block_load_methodE3ELS4_3ELS4_3ELNS0_20block_scan_algorithmE0ELj4294967295EEENS1_25partition_config_selectorILNS1_17partition_subalgoE3EjNS0_10empty_typeEbEEZZNS1_14partition_implILS8_3ELb0ES6_jNS0_17counting_iteratorIjlEEPS9_SE_NS0_5tupleIJPjSE_EEENSF_IJSE_SE_EEES9_SG_JZNS1_25segmented_radix_sort_implINS0_14default_configELb0EPKfPfPKlPlN2at6native12_GLOBAL__N_18offset_tEEE10hipError_tPvRmT1_PNSt15iterator_traitsISY_E10value_typeET2_T3_PNSZ_IS14_E10value_typeET4_jRbjT5_S1A_jjP12ihipStream_tbEUljE_EEESV_SW_SX_S14_S18_S1A_T6_T7_T9_mT8_S1C_bDpT10_ENKUlT_T0_E_clISt17integral_constantIbLb0EES1O_IbLb1EEEEDaS1K_S1L_EUlS1K_E_NS1_11comp_targetILNS1_3genE0ELNS1_11target_archE4294967295ELNS1_3gpuE0ELNS1_3repE0EEENS1_30default_config_static_selectorELNS0_4arch9wavefront6targetE0EEEvSY_,comdat
	.globl	_ZN7rocprim17ROCPRIM_400000_NS6detail17trampoline_kernelINS0_13select_configILj256ELj13ELNS0_17block_load_methodE3ELS4_3ELS4_3ELNS0_20block_scan_algorithmE0ELj4294967295EEENS1_25partition_config_selectorILNS1_17partition_subalgoE3EjNS0_10empty_typeEbEEZZNS1_14partition_implILS8_3ELb0ES6_jNS0_17counting_iteratorIjlEEPS9_SE_NS0_5tupleIJPjSE_EEENSF_IJSE_SE_EEES9_SG_JZNS1_25segmented_radix_sort_implINS0_14default_configELb0EPKfPfPKlPlN2at6native12_GLOBAL__N_18offset_tEEE10hipError_tPvRmT1_PNSt15iterator_traitsISY_E10value_typeET2_T3_PNSZ_IS14_E10value_typeET4_jRbjT5_S1A_jjP12ihipStream_tbEUljE_EEESV_SW_SX_S14_S18_S1A_T6_T7_T9_mT8_S1C_bDpT10_ENKUlT_T0_E_clISt17integral_constantIbLb0EES1O_IbLb1EEEEDaS1K_S1L_EUlS1K_E_NS1_11comp_targetILNS1_3genE0ELNS1_11target_archE4294967295ELNS1_3gpuE0ELNS1_3repE0EEENS1_30default_config_static_selectorELNS0_4arch9wavefront6targetE0EEEvSY_ ; -- Begin function _ZN7rocprim17ROCPRIM_400000_NS6detail17trampoline_kernelINS0_13select_configILj256ELj13ELNS0_17block_load_methodE3ELS4_3ELS4_3ELNS0_20block_scan_algorithmE0ELj4294967295EEENS1_25partition_config_selectorILNS1_17partition_subalgoE3EjNS0_10empty_typeEbEEZZNS1_14partition_implILS8_3ELb0ES6_jNS0_17counting_iteratorIjlEEPS9_SE_NS0_5tupleIJPjSE_EEENSF_IJSE_SE_EEES9_SG_JZNS1_25segmented_radix_sort_implINS0_14default_configELb0EPKfPfPKlPlN2at6native12_GLOBAL__N_18offset_tEEE10hipError_tPvRmT1_PNSt15iterator_traitsISY_E10value_typeET2_T3_PNSZ_IS14_E10value_typeET4_jRbjT5_S1A_jjP12ihipStream_tbEUljE_EEESV_SW_SX_S14_S18_S1A_T6_T7_T9_mT8_S1C_bDpT10_ENKUlT_T0_E_clISt17integral_constantIbLb0EES1O_IbLb1EEEEDaS1K_S1L_EUlS1K_E_NS1_11comp_targetILNS1_3genE0ELNS1_11target_archE4294967295ELNS1_3gpuE0ELNS1_3repE0EEENS1_30default_config_static_selectorELNS0_4arch9wavefront6targetE0EEEvSY_
	.p2align	8
	.type	_ZN7rocprim17ROCPRIM_400000_NS6detail17trampoline_kernelINS0_13select_configILj256ELj13ELNS0_17block_load_methodE3ELS4_3ELS4_3ELNS0_20block_scan_algorithmE0ELj4294967295EEENS1_25partition_config_selectorILNS1_17partition_subalgoE3EjNS0_10empty_typeEbEEZZNS1_14partition_implILS8_3ELb0ES6_jNS0_17counting_iteratorIjlEEPS9_SE_NS0_5tupleIJPjSE_EEENSF_IJSE_SE_EEES9_SG_JZNS1_25segmented_radix_sort_implINS0_14default_configELb0EPKfPfPKlPlN2at6native12_GLOBAL__N_18offset_tEEE10hipError_tPvRmT1_PNSt15iterator_traitsISY_E10value_typeET2_T3_PNSZ_IS14_E10value_typeET4_jRbjT5_S1A_jjP12ihipStream_tbEUljE_EEESV_SW_SX_S14_S18_S1A_T6_T7_T9_mT8_S1C_bDpT10_ENKUlT_T0_E_clISt17integral_constantIbLb0EES1O_IbLb1EEEEDaS1K_S1L_EUlS1K_E_NS1_11comp_targetILNS1_3genE0ELNS1_11target_archE4294967295ELNS1_3gpuE0ELNS1_3repE0EEENS1_30default_config_static_selectorELNS0_4arch9wavefront6targetE0EEEvSY_,@function
_ZN7rocprim17ROCPRIM_400000_NS6detail17trampoline_kernelINS0_13select_configILj256ELj13ELNS0_17block_load_methodE3ELS4_3ELS4_3ELNS0_20block_scan_algorithmE0ELj4294967295EEENS1_25partition_config_selectorILNS1_17partition_subalgoE3EjNS0_10empty_typeEbEEZZNS1_14partition_implILS8_3ELb0ES6_jNS0_17counting_iteratorIjlEEPS9_SE_NS0_5tupleIJPjSE_EEENSF_IJSE_SE_EEES9_SG_JZNS1_25segmented_radix_sort_implINS0_14default_configELb0EPKfPfPKlPlN2at6native12_GLOBAL__N_18offset_tEEE10hipError_tPvRmT1_PNSt15iterator_traitsISY_E10value_typeET2_T3_PNSZ_IS14_E10value_typeET4_jRbjT5_S1A_jjP12ihipStream_tbEUljE_EEESV_SW_SX_S14_S18_S1A_T6_T7_T9_mT8_S1C_bDpT10_ENKUlT_T0_E_clISt17integral_constantIbLb0EES1O_IbLb1EEEEDaS1K_S1L_EUlS1K_E_NS1_11comp_targetILNS1_3genE0ELNS1_11target_archE4294967295ELNS1_3gpuE0ELNS1_3repE0EEENS1_30default_config_static_selectorELNS0_4arch9wavefront6targetE0EEEvSY_: ; @_ZN7rocprim17ROCPRIM_400000_NS6detail17trampoline_kernelINS0_13select_configILj256ELj13ELNS0_17block_load_methodE3ELS4_3ELS4_3ELNS0_20block_scan_algorithmE0ELj4294967295EEENS1_25partition_config_selectorILNS1_17partition_subalgoE3EjNS0_10empty_typeEbEEZZNS1_14partition_implILS8_3ELb0ES6_jNS0_17counting_iteratorIjlEEPS9_SE_NS0_5tupleIJPjSE_EEENSF_IJSE_SE_EEES9_SG_JZNS1_25segmented_radix_sort_implINS0_14default_configELb0EPKfPfPKlPlN2at6native12_GLOBAL__N_18offset_tEEE10hipError_tPvRmT1_PNSt15iterator_traitsISY_E10value_typeET2_T3_PNSZ_IS14_E10value_typeET4_jRbjT5_S1A_jjP12ihipStream_tbEUljE_EEESV_SW_SX_S14_S18_S1A_T6_T7_T9_mT8_S1C_bDpT10_ENKUlT_T0_E_clISt17integral_constantIbLb0EES1O_IbLb1EEEEDaS1K_S1L_EUlS1K_E_NS1_11comp_targetILNS1_3genE0ELNS1_11target_archE4294967295ELNS1_3gpuE0ELNS1_3repE0EEENS1_30default_config_static_selectorELNS0_4arch9wavefront6targetE0EEEvSY_
; %bb.0:
	.section	.rodata,"a",@progbits
	.p2align	6, 0x0
	.amdhsa_kernel _ZN7rocprim17ROCPRIM_400000_NS6detail17trampoline_kernelINS0_13select_configILj256ELj13ELNS0_17block_load_methodE3ELS4_3ELS4_3ELNS0_20block_scan_algorithmE0ELj4294967295EEENS1_25partition_config_selectorILNS1_17partition_subalgoE3EjNS0_10empty_typeEbEEZZNS1_14partition_implILS8_3ELb0ES6_jNS0_17counting_iteratorIjlEEPS9_SE_NS0_5tupleIJPjSE_EEENSF_IJSE_SE_EEES9_SG_JZNS1_25segmented_radix_sort_implINS0_14default_configELb0EPKfPfPKlPlN2at6native12_GLOBAL__N_18offset_tEEE10hipError_tPvRmT1_PNSt15iterator_traitsISY_E10value_typeET2_T3_PNSZ_IS14_E10value_typeET4_jRbjT5_S1A_jjP12ihipStream_tbEUljE_EEESV_SW_SX_S14_S18_S1A_T6_T7_T9_mT8_S1C_bDpT10_ENKUlT_T0_E_clISt17integral_constantIbLb0EES1O_IbLb1EEEEDaS1K_S1L_EUlS1K_E_NS1_11comp_targetILNS1_3genE0ELNS1_11target_archE4294967295ELNS1_3gpuE0ELNS1_3repE0EEENS1_30default_config_static_selectorELNS0_4arch9wavefront6targetE0EEEvSY_
		.amdhsa_group_segment_fixed_size 0
		.amdhsa_private_segment_fixed_size 0
		.amdhsa_kernarg_size 152
		.amdhsa_user_sgpr_count 15
		.amdhsa_user_sgpr_dispatch_ptr 0
		.amdhsa_user_sgpr_queue_ptr 0
		.amdhsa_user_sgpr_kernarg_segment_ptr 1
		.amdhsa_user_sgpr_dispatch_id 0
		.amdhsa_user_sgpr_private_segment_size 0
		.amdhsa_wavefront_size32 1
		.amdhsa_uses_dynamic_stack 0
		.amdhsa_enable_private_segment 0
		.amdhsa_system_sgpr_workgroup_id_x 1
		.amdhsa_system_sgpr_workgroup_id_y 0
		.amdhsa_system_sgpr_workgroup_id_z 0
		.amdhsa_system_sgpr_workgroup_info 0
		.amdhsa_system_vgpr_workitem_id 0
		.amdhsa_next_free_vgpr 1
		.amdhsa_next_free_sgpr 1
		.amdhsa_reserve_vcc 0
		.amdhsa_float_round_mode_32 0
		.amdhsa_float_round_mode_16_64 0
		.amdhsa_float_denorm_mode_32 3
		.amdhsa_float_denorm_mode_16_64 3
		.amdhsa_dx10_clamp 1
		.amdhsa_ieee_mode 1
		.amdhsa_fp16_overflow 0
		.amdhsa_workgroup_processor_mode 1
		.amdhsa_memory_ordered 1
		.amdhsa_forward_progress 0
		.amdhsa_shared_vgpr_count 0
		.amdhsa_exception_fp_ieee_invalid_op 0
		.amdhsa_exception_fp_denorm_src 0
		.amdhsa_exception_fp_ieee_div_zero 0
		.amdhsa_exception_fp_ieee_overflow 0
		.amdhsa_exception_fp_ieee_underflow 0
		.amdhsa_exception_fp_ieee_inexact 0
		.amdhsa_exception_int_div_zero 0
	.end_amdhsa_kernel
	.section	.text._ZN7rocprim17ROCPRIM_400000_NS6detail17trampoline_kernelINS0_13select_configILj256ELj13ELNS0_17block_load_methodE3ELS4_3ELS4_3ELNS0_20block_scan_algorithmE0ELj4294967295EEENS1_25partition_config_selectorILNS1_17partition_subalgoE3EjNS0_10empty_typeEbEEZZNS1_14partition_implILS8_3ELb0ES6_jNS0_17counting_iteratorIjlEEPS9_SE_NS0_5tupleIJPjSE_EEENSF_IJSE_SE_EEES9_SG_JZNS1_25segmented_radix_sort_implINS0_14default_configELb0EPKfPfPKlPlN2at6native12_GLOBAL__N_18offset_tEEE10hipError_tPvRmT1_PNSt15iterator_traitsISY_E10value_typeET2_T3_PNSZ_IS14_E10value_typeET4_jRbjT5_S1A_jjP12ihipStream_tbEUljE_EEESV_SW_SX_S14_S18_S1A_T6_T7_T9_mT8_S1C_bDpT10_ENKUlT_T0_E_clISt17integral_constantIbLb0EES1O_IbLb1EEEEDaS1K_S1L_EUlS1K_E_NS1_11comp_targetILNS1_3genE0ELNS1_11target_archE4294967295ELNS1_3gpuE0ELNS1_3repE0EEENS1_30default_config_static_selectorELNS0_4arch9wavefront6targetE0EEEvSY_,"axG",@progbits,_ZN7rocprim17ROCPRIM_400000_NS6detail17trampoline_kernelINS0_13select_configILj256ELj13ELNS0_17block_load_methodE3ELS4_3ELS4_3ELNS0_20block_scan_algorithmE0ELj4294967295EEENS1_25partition_config_selectorILNS1_17partition_subalgoE3EjNS0_10empty_typeEbEEZZNS1_14partition_implILS8_3ELb0ES6_jNS0_17counting_iteratorIjlEEPS9_SE_NS0_5tupleIJPjSE_EEENSF_IJSE_SE_EEES9_SG_JZNS1_25segmented_radix_sort_implINS0_14default_configELb0EPKfPfPKlPlN2at6native12_GLOBAL__N_18offset_tEEE10hipError_tPvRmT1_PNSt15iterator_traitsISY_E10value_typeET2_T3_PNSZ_IS14_E10value_typeET4_jRbjT5_S1A_jjP12ihipStream_tbEUljE_EEESV_SW_SX_S14_S18_S1A_T6_T7_T9_mT8_S1C_bDpT10_ENKUlT_T0_E_clISt17integral_constantIbLb0EES1O_IbLb1EEEEDaS1K_S1L_EUlS1K_E_NS1_11comp_targetILNS1_3genE0ELNS1_11target_archE4294967295ELNS1_3gpuE0ELNS1_3repE0EEENS1_30default_config_static_selectorELNS0_4arch9wavefront6targetE0EEEvSY_,comdat
.Lfunc_end1420:
	.size	_ZN7rocprim17ROCPRIM_400000_NS6detail17trampoline_kernelINS0_13select_configILj256ELj13ELNS0_17block_load_methodE3ELS4_3ELS4_3ELNS0_20block_scan_algorithmE0ELj4294967295EEENS1_25partition_config_selectorILNS1_17partition_subalgoE3EjNS0_10empty_typeEbEEZZNS1_14partition_implILS8_3ELb0ES6_jNS0_17counting_iteratorIjlEEPS9_SE_NS0_5tupleIJPjSE_EEENSF_IJSE_SE_EEES9_SG_JZNS1_25segmented_radix_sort_implINS0_14default_configELb0EPKfPfPKlPlN2at6native12_GLOBAL__N_18offset_tEEE10hipError_tPvRmT1_PNSt15iterator_traitsISY_E10value_typeET2_T3_PNSZ_IS14_E10value_typeET4_jRbjT5_S1A_jjP12ihipStream_tbEUljE_EEESV_SW_SX_S14_S18_S1A_T6_T7_T9_mT8_S1C_bDpT10_ENKUlT_T0_E_clISt17integral_constantIbLb0EES1O_IbLb1EEEEDaS1K_S1L_EUlS1K_E_NS1_11comp_targetILNS1_3genE0ELNS1_11target_archE4294967295ELNS1_3gpuE0ELNS1_3repE0EEENS1_30default_config_static_selectorELNS0_4arch9wavefront6targetE0EEEvSY_, .Lfunc_end1420-_ZN7rocprim17ROCPRIM_400000_NS6detail17trampoline_kernelINS0_13select_configILj256ELj13ELNS0_17block_load_methodE3ELS4_3ELS4_3ELNS0_20block_scan_algorithmE0ELj4294967295EEENS1_25partition_config_selectorILNS1_17partition_subalgoE3EjNS0_10empty_typeEbEEZZNS1_14partition_implILS8_3ELb0ES6_jNS0_17counting_iteratorIjlEEPS9_SE_NS0_5tupleIJPjSE_EEENSF_IJSE_SE_EEES9_SG_JZNS1_25segmented_radix_sort_implINS0_14default_configELb0EPKfPfPKlPlN2at6native12_GLOBAL__N_18offset_tEEE10hipError_tPvRmT1_PNSt15iterator_traitsISY_E10value_typeET2_T3_PNSZ_IS14_E10value_typeET4_jRbjT5_S1A_jjP12ihipStream_tbEUljE_EEESV_SW_SX_S14_S18_S1A_T6_T7_T9_mT8_S1C_bDpT10_ENKUlT_T0_E_clISt17integral_constantIbLb0EES1O_IbLb1EEEEDaS1K_S1L_EUlS1K_E_NS1_11comp_targetILNS1_3genE0ELNS1_11target_archE4294967295ELNS1_3gpuE0ELNS1_3repE0EEENS1_30default_config_static_selectorELNS0_4arch9wavefront6targetE0EEEvSY_
                                        ; -- End function
	.section	.AMDGPU.csdata,"",@progbits
; Kernel info:
; codeLenInByte = 0
; NumSgprs: 0
; NumVgprs: 0
; ScratchSize: 0
; MemoryBound: 0
; FloatMode: 240
; IeeeMode: 1
; LDSByteSize: 0 bytes/workgroup (compile time only)
; SGPRBlocks: 0
; VGPRBlocks: 0
; NumSGPRsForWavesPerEU: 1
; NumVGPRsForWavesPerEU: 1
; Occupancy: 16
; WaveLimiterHint : 0
; COMPUTE_PGM_RSRC2:SCRATCH_EN: 0
; COMPUTE_PGM_RSRC2:USER_SGPR: 15
; COMPUTE_PGM_RSRC2:TRAP_HANDLER: 0
; COMPUTE_PGM_RSRC2:TGID_X_EN: 1
; COMPUTE_PGM_RSRC2:TGID_Y_EN: 0
; COMPUTE_PGM_RSRC2:TGID_Z_EN: 0
; COMPUTE_PGM_RSRC2:TIDIG_COMP_CNT: 0
	.section	.text._ZN7rocprim17ROCPRIM_400000_NS6detail17trampoline_kernelINS0_13select_configILj256ELj13ELNS0_17block_load_methodE3ELS4_3ELS4_3ELNS0_20block_scan_algorithmE0ELj4294967295EEENS1_25partition_config_selectorILNS1_17partition_subalgoE3EjNS0_10empty_typeEbEEZZNS1_14partition_implILS8_3ELb0ES6_jNS0_17counting_iteratorIjlEEPS9_SE_NS0_5tupleIJPjSE_EEENSF_IJSE_SE_EEES9_SG_JZNS1_25segmented_radix_sort_implINS0_14default_configELb0EPKfPfPKlPlN2at6native12_GLOBAL__N_18offset_tEEE10hipError_tPvRmT1_PNSt15iterator_traitsISY_E10value_typeET2_T3_PNSZ_IS14_E10value_typeET4_jRbjT5_S1A_jjP12ihipStream_tbEUljE_EEESV_SW_SX_S14_S18_S1A_T6_T7_T9_mT8_S1C_bDpT10_ENKUlT_T0_E_clISt17integral_constantIbLb0EES1O_IbLb1EEEEDaS1K_S1L_EUlS1K_E_NS1_11comp_targetILNS1_3genE5ELNS1_11target_archE942ELNS1_3gpuE9ELNS1_3repE0EEENS1_30default_config_static_selectorELNS0_4arch9wavefront6targetE0EEEvSY_,"axG",@progbits,_ZN7rocprim17ROCPRIM_400000_NS6detail17trampoline_kernelINS0_13select_configILj256ELj13ELNS0_17block_load_methodE3ELS4_3ELS4_3ELNS0_20block_scan_algorithmE0ELj4294967295EEENS1_25partition_config_selectorILNS1_17partition_subalgoE3EjNS0_10empty_typeEbEEZZNS1_14partition_implILS8_3ELb0ES6_jNS0_17counting_iteratorIjlEEPS9_SE_NS0_5tupleIJPjSE_EEENSF_IJSE_SE_EEES9_SG_JZNS1_25segmented_radix_sort_implINS0_14default_configELb0EPKfPfPKlPlN2at6native12_GLOBAL__N_18offset_tEEE10hipError_tPvRmT1_PNSt15iterator_traitsISY_E10value_typeET2_T3_PNSZ_IS14_E10value_typeET4_jRbjT5_S1A_jjP12ihipStream_tbEUljE_EEESV_SW_SX_S14_S18_S1A_T6_T7_T9_mT8_S1C_bDpT10_ENKUlT_T0_E_clISt17integral_constantIbLb0EES1O_IbLb1EEEEDaS1K_S1L_EUlS1K_E_NS1_11comp_targetILNS1_3genE5ELNS1_11target_archE942ELNS1_3gpuE9ELNS1_3repE0EEENS1_30default_config_static_selectorELNS0_4arch9wavefront6targetE0EEEvSY_,comdat
	.globl	_ZN7rocprim17ROCPRIM_400000_NS6detail17trampoline_kernelINS0_13select_configILj256ELj13ELNS0_17block_load_methodE3ELS4_3ELS4_3ELNS0_20block_scan_algorithmE0ELj4294967295EEENS1_25partition_config_selectorILNS1_17partition_subalgoE3EjNS0_10empty_typeEbEEZZNS1_14partition_implILS8_3ELb0ES6_jNS0_17counting_iteratorIjlEEPS9_SE_NS0_5tupleIJPjSE_EEENSF_IJSE_SE_EEES9_SG_JZNS1_25segmented_radix_sort_implINS0_14default_configELb0EPKfPfPKlPlN2at6native12_GLOBAL__N_18offset_tEEE10hipError_tPvRmT1_PNSt15iterator_traitsISY_E10value_typeET2_T3_PNSZ_IS14_E10value_typeET4_jRbjT5_S1A_jjP12ihipStream_tbEUljE_EEESV_SW_SX_S14_S18_S1A_T6_T7_T9_mT8_S1C_bDpT10_ENKUlT_T0_E_clISt17integral_constantIbLb0EES1O_IbLb1EEEEDaS1K_S1L_EUlS1K_E_NS1_11comp_targetILNS1_3genE5ELNS1_11target_archE942ELNS1_3gpuE9ELNS1_3repE0EEENS1_30default_config_static_selectorELNS0_4arch9wavefront6targetE0EEEvSY_ ; -- Begin function _ZN7rocprim17ROCPRIM_400000_NS6detail17trampoline_kernelINS0_13select_configILj256ELj13ELNS0_17block_load_methodE3ELS4_3ELS4_3ELNS0_20block_scan_algorithmE0ELj4294967295EEENS1_25partition_config_selectorILNS1_17partition_subalgoE3EjNS0_10empty_typeEbEEZZNS1_14partition_implILS8_3ELb0ES6_jNS0_17counting_iteratorIjlEEPS9_SE_NS0_5tupleIJPjSE_EEENSF_IJSE_SE_EEES9_SG_JZNS1_25segmented_radix_sort_implINS0_14default_configELb0EPKfPfPKlPlN2at6native12_GLOBAL__N_18offset_tEEE10hipError_tPvRmT1_PNSt15iterator_traitsISY_E10value_typeET2_T3_PNSZ_IS14_E10value_typeET4_jRbjT5_S1A_jjP12ihipStream_tbEUljE_EEESV_SW_SX_S14_S18_S1A_T6_T7_T9_mT8_S1C_bDpT10_ENKUlT_T0_E_clISt17integral_constantIbLb0EES1O_IbLb1EEEEDaS1K_S1L_EUlS1K_E_NS1_11comp_targetILNS1_3genE5ELNS1_11target_archE942ELNS1_3gpuE9ELNS1_3repE0EEENS1_30default_config_static_selectorELNS0_4arch9wavefront6targetE0EEEvSY_
	.p2align	8
	.type	_ZN7rocprim17ROCPRIM_400000_NS6detail17trampoline_kernelINS0_13select_configILj256ELj13ELNS0_17block_load_methodE3ELS4_3ELS4_3ELNS0_20block_scan_algorithmE0ELj4294967295EEENS1_25partition_config_selectorILNS1_17partition_subalgoE3EjNS0_10empty_typeEbEEZZNS1_14partition_implILS8_3ELb0ES6_jNS0_17counting_iteratorIjlEEPS9_SE_NS0_5tupleIJPjSE_EEENSF_IJSE_SE_EEES9_SG_JZNS1_25segmented_radix_sort_implINS0_14default_configELb0EPKfPfPKlPlN2at6native12_GLOBAL__N_18offset_tEEE10hipError_tPvRmT1_PNSt15iterator_traitsISY_E10value_typeET2_T3_PNSZ_IS14_E10value_typeET4_jRbjT5_S1A_jjP12ihipStream_tbEUljE_EEESV_SW_SX_S14_S18_S1A_T6_T7_T9_mT8_S1C_bDpT10_ENKUlT_T0_E_clISt17integral_constantIbLb0EES1O_IbLb1EEEEDaS1K_S1L_EUlS1K_E_NS1_11comp_targetILNS1_3genE5ELNS1_11target_archE942ELNS1_3gpuE9ELNS1_3repE0EEENS1_30default_config_static_selectorELNS0_4arch9wavefront6targetE0EEEvSY_,@function
_ZN7rocprim17ROCPRIM_400000_NS6detail17trampoline_kernelINS0_13select_configILj256ELj13ELNS0_17block_load_methodE3ELS4_3ELS4_3ELNS0_20block_scan_algorithmE0ELj4294967295EEENS1_25partition_config_selectorILNS1_17partition_subalgoE3EjNS0_10empty_typeEbEEZZNS1_14partition_implILS8_3ELb0ES6_jNS0_17counting_iteratorIjlEEPS9_SE_NS0_5tupleIJPjSE_EEENSF_IJSE_SE_EEES9_SG_JZNS1_25segmented_radix_sort_implINS0_14default_configELb0EPKfPfPKlPlN2at6native12_GLOBAL__N_18offset_tEEE10hipError_tPvRmT1_PNSt15iterator_traitsISY_E10value_typeET2_T3_PNSZ_IS14_E10value_typeET4_jRbjT5_S1A_jjP12ihipStream_tbEUljE_EEESV_SW_SX_S14_S18_S1A_T6_T7_T9_mT8_S1C_bDpT10_ENKUlT_T0_E_clISt17integral_constantIbLb0EES1O_IbLb1EEEEDaS1K_S1L_EUlS1K_E_NS1_11comp_targetILNS1_3genE5ELNS1_11target_archE942ELNS1_3gpuE9ELNS1_3repE0EEENS1_30default_config_static_selectorELNS0_4arch9wavefront6targetE0EEEvSY_: ; @_ZN7rocprim17ROCPRIM_400000_NS6detail17trampoline_kernelINS0_13select_configILj256ELj13ELNS0_17block_load_methodE3ELS4_3ELS4_3ELNS0_20block_scan_algorithmE0ELj4294967295EEENS1_25partition_config_selectorILNS1_17partition_subalgoE3EjNS0_10empty_typeEbEEZZNS1_14partition_implILS8_3ELb0ES6_jNS0_17counting_iteratorIjlEEPS9_SE_NS0_5tupleIJPjSE_EEENSF_IJSE_SE_EEES9_SG_JZNS1_25segmented_radix_sort_implINS0_14default_configELb0EPKfPfPKlPlN2at6native12_GLOBAL__N_18offset_tEEE10hipError_tPvRmT1_PNSt15iterator_traitsISY_E10value_typeET2_T3_PNSZ_IS14_E10value_typeET4_jRbjT5_S1A_jjP12ihipStream_tbEUljE_EEESV_SW_SX_S14_S18_S1A_T6_T7_T9_mT8_S1C_bDpT10_ENKUlT_T0_E_clISt17integral_constantIbLb0EES1O_IbLb1EEEEDaS1K_S1L_EUlS1K_E_NS1_11comp_targetILNS1_3genE5ELNS1_11target_archE942ELNS1_3gpuE9ELNS1_3repE0EEENS1_30default_config_static_selectorELNS0_4arch9wavefront6targetE0EEEvSY_
; %bb.0:
	.section	.rodata,"a",@progbits
	.p2align	6, 0x0
	.amdhsa_kernel _ZN7rocprim17ROCPRIM_400000_NS6detail17trampoline_kernelINS0_13select_configILj256ELj13ELNS0_17block_load_methodE3ELS4_3ELS4_3ELNS0_20block_scan_algorithmE0ELj4294967295EEENS1_25partition_config_selectorILNS1_17partition_subalgoE3EjNS0_10empty_typeEbEEZZNS1_14partition_implILS8_3ELb0ES6_jNS0_17counting_iteratorIjlEEPS9_SE_NS0_5tupleIJPjSE_EEENSF_IJSE_SE_EEES9_SG_JZNS1_25segmented_radix_sort_implINS0_14default_configELb0EPKfPfPKlPlN2at6native12_GLOBAL__N_18offset_tEEE10hipError_tPvRmT1_PNSt15iterator_traitsISY_E10value_typeET2_T3_PNSZ_IS14_E10value_typeET4_jRbjT5_S1A_jjP12ihipStream_tbEUljE_EEESV_SW_SX_S14_S18_S1A_T6_T7_T9_mT8_S1C_bDpT10_ENKUlT_T0_E_clISt17integral_constantIbLb0EES1O_IbLb1EEEEDaS1K_S1L_EUlS1K_E_NS1_11comp_targetILNS1_3genE5ELNS1_11target_archE942ELNS1_3gpuE9ELNS1_3repE0EEENS1_30default_config_static_selectorELNS0_4arch9wavefront6targetE0EEEvSY_
		.amdhsa_group_segment_fixed_size 0
		.amdhsa_private_segment_fixed_size 0
		.amdhsa_kernarg_size 152
		.amdhsa_user_sgpr_count 15
		.amdhsa_user_sgpr_dispatch_ptr 0
		.amdhsa_user_sgpr_queue_ptr 0
		.amdhsa_user_sgpr_kernarg_segment_ptr 1
		.amdhsa_user_sgpr_dispatch_id 0
		.amdhsa_user_sgpr_private_segment_size 0
		.amdhsa_wavefront_size32 1
		.amdhsa_uses_dynamic_stack 0
		.amdhsa_enable_private_segment 0
		.amdhsa_system_sgpr_workgroup_id_x 1
		.amdhsa_system_sgpr_workgroup_id_y 0
		.amdhsa_system_sgpr_workgroup_id_z 0
		.amdhsa_system_sgpr_workgroup_info 0
		.amdhsa_system_vgpr_workitem_id 0
		.amdhsa_next_free_vgpr 1
		.amdhsa_next_free_sgpr 1
		.amdhsa_reserve_vcc 0
		.amdhsa_float_round_mode_32 0
		.amdhsa_float_round_mode_16_64 0
		.amdhsa_float_denorm_mode_32 3
		.amdhsa_float_denorm_mode_16_64 3
		.amdhsa_dx10_clamp 1
		.amdhsa_ieee_mode 1
		.amdhsa_fp16_overflow 0
		.amdhsa_workgroup_processor_mode 1
		.amdhsa_memory_ordered 1
		.amdhsa_forward_progress 0
		.amdhsa_shared_vgpr_count 0
		.amdhsa_exception_fp_ieee_invalid_op 0
		.amdhsa_exception_fp_denorm_src 0
		.amdhsa_exception_fp_ieee_div_zero 0
		.amdhsa_exception_fp_ieee_overflow 0
		.amdhsa_exception_fp_ieee_underflow 0
		.amdhsa_exception_fp_ieee_inexact 0
		.amdhsa_exception_int_div_zero 0
	.end_amdhsa_kernel
	.section	.text._ZN7rocprim17ROCPRIM_400000_NS6detail17trampoline_kernelINS0_13select_configILj256ELj13ELNS0_17block_load_methodE3ELS4_3ELS4_3ELNS0_20block_scan_algorithmE0ELj4294967295EEENS1_25partition_config_selectorILNS1_17partition_subalgoE3EjNS0_10empty_typeEbEEZZNS1_14partition_implILS8_3ELb0ES6_jNS0_17counting_iteratorIjlEEPS9_SE_NS0_5tupleIJPjSE_EEENSF_IJSE_SE_EEES9_SG_JZNS1_25segmented_radix_sort_implINS0_14default_configELb0EPKfPfPKlPlN2at6native12_GLOBAL__N_18offset_tEEE10hipError_tPvRmT1_PNSt15iterator_traitsISY_E10value_typeET2_T3_PNSZ_IS14_E10value_typeET4_jRbjT5_S1A_jjP12ihipStream_tbEUljE_EEESV_SW_SX_S14_S18_S1A_T6_T7_T9_mT8_S1C_bDpT10_ENKUlT_T0_E_clISt17integral_constantIbLb0EES1O_IbLb1EEEEDaS1K_S1L_EUlS1K_E_NS1_11comp_targetILNS1_3genE5ELNS1_11target_archE942ELNS1_3gpuE9ELNS1_3repE0EEENS1_30default_config_static_selectorELNS0_4arch9wavefront6targetE0EEEvSY_,"axG",@progbits,_ZN7rocprim17ROCPRIM_400000_NS6detail17trampoline_kernelINS0_13select_configILj256ELj13ELNS0_17block_load_methodE3ELS4_3ELS4_3ELNS0_20block_scan_algorithmE0ELj4294967295EEENS1_25partition_config_selectorILNS1_17partition_subalgoE3EjNS0_10empty_typeEbEEZZNS1_14partition_implILS8_3ELb0ES6_jNS0_17counting_iteratorIjlEEPS9_SE_NS0_5tupleIJPjSE_EEENSF_IJSE_SE_EEES9_SG_JZNS1_25segmented_radix_sort_implINS0_14default_configELb0EPKfPfPKlPlN2at6native12_GLOBAL__N_18offset_tEEE10hipError_tPvRmT1_PNSt15iterator_traitsISY_E10value_typeET2_T3_PNSZ_IS14_E10value_typeET4_jRbjT5_S1A_jjP12ihipStream_tbEUljE_EEESV_SW_SX_S14_S18_S1A_T6_T7_T9_mT8_S1C_bDpT10_ENKUlT_T0_E_clISt17integral_constantIbLb0EES1O_IbLb1EEEEDaS1K_S1L_EUlS1K_E_NS1_11comp_targetILNS1_3genE5ELNS1_11target_archE942ELNS1_3gpuE9ELNS1_3repE0EEENS1_30default_config_static_selectorELNS0_4arch9wavefront6targetE0EEEvSY_,comdat
.Lfunc_end1421:
	.size	_ZN7rocprim17ROCPRIM_400000_NS6detail17trampoline_kernelINS0_13select_configILj256ELj13ELNS0_17block_load_methodE3ELS4_3ELS4_3ELNS0_20block_scan_algorithmE0ELj4294967295EEENS1_25partition_config_selectorILNS1_17partition_subalgoE3EjNS0_10empty_typeEbEEZZNS1_14partition_implILS8_3ELb0ES6_jNS0_17counting_iteratorIjlEEPS9_SE_NS0_5tupleIJPjSE_EEENSF_IJSE_SE_EEES9_SG_JZNS1_25segmented_radix_sort_implINS0_14default_configELb0EPKfPfPKlPlN2at6native12_GLOBAL__N_18offset_tEEE10hipError_tPvRmT1_PNSt15iterator_traitsISY_E10value_typeET2_T3_PNSZ_IS14_E10value_typeET4_jRbjT5_S1A_jjP12ihipStream_tbEUljE_EEESV_SW_SX_S14_S18_S1A_T6_T7_T9_mT8_S1C_bDpT10_ENKUlT_T0_E_clISt17integral_constantIbLb0EES1O_IbLb1EEEEDaS1K_S1L_EUlS1K_E_NS1_11comp_targetILNS1_3genE5ELNS1_11target_archE942ELNS1_3gpuE9ELNS1_3repE0EEENS1_30default_config_static_selectorELNS0_4arch9wavefront6targetE0EEEvSY_, .Lfunc_end1421-_ZN7rocprim17ROCPRIM_400000_NS6detail17trampoline_kernelINS0_13select_configILj256ELj13ELNS0_17block_load_methodE3ELS4_3ELS4_3ELNS0_20block_scan_algorithmE0ELj4294967295EEENS1_25partition_config_selectorILNS1_17partition_subalgoE3EjNS0_10empty_typeEbEEZZNS1_14partition_implILS8_3ELb0ES6_jNS0_17counting_iteratorIjlEEPS9_SE_NS0_5tupleIJPjSE_EEENSF_IJSE_SE_EEES9_SG_JZNS1_25segmented_radix_sort_implINS0_14default_configELb0EPKfPfPKlPlN2at6native12_GLOBAL__N_18offset_tEEE10hipError_tPvRmT1_PNSt15iterator_traitsISY_E10value_typeET2_T3_PNSZ_IS14_E10value_typeET4_jRbjT5_S1A_jjP12ihipStream_tbEUljE_EEESV_SW_SX_S14_S18_S1A_T6_T7_T9_mT8_S1C_bDpT10_ENKUlT_T0_E_clISt17integral_constantIbLb0EES1O_IbLb1EEEEDaS1K_S1L_EUlS1K_E_NS1_11comp_targetILNS1_3genE5ELNS1_11target_archE942ELNS1_3gpuE9ELNS1_3repE0EEENS1_30default_config_static_selectorELNS0_4arch9wavefront6targetE0EEEvSY_
                                        ; -- End function
	.section	.AMDGPU.csdata,"",@progbits
; Kernel info:
; codeLenInByte = 0
; NumSgprs: 0
; NumVgprs: 0
; ScratchSize: 0
; MemoryBound: 0
; FloatMode: 240
; IeeeMode: 1
; LDSByteSize: 0 bytes/workgroup (compile time only)
; SGPRBlocks: 0
; VGPRBlocks: 0
; NumSGPRsForWavesPerEU: 1
; NumVGPRsForWavesPerEU: 1
; Occupancy: 16
; WaveLimiterHint : 0
; COMPUTE_PGM_RSRC2:SCRATCH_EN: 0
; COMPUTE_PGM_RSRC2:USER_SGPR: 15
; COMPUTE_PGM_RSRC2:TRAP_HANDLER: 0
; COMPUTE_PGM_RSRC2:TGID_X_EN: 1
; COMPUTE_PGM_RSRC2:TGID_Y_EN: 0
; COMPUTE_PGM_RSRC2:TGID_Z_EN: 0
; COMPUTE_PGM_RSRC2:TIDIG_COMP_CNT: 0
	.section	.text._ZN7rocprim17ROCPRIM_400000_NS6detail17trampoline_kernelINS0_13select_configILj256ELj13ELNS0_17block_load_methodE3ELS4_3ELS4_3ELNS0_20block_scan_algorithmE0ELj4294967295EEENS1_25partition_config_selectorILNS1_17partition_subalgoE3EjNS0_10empty_typeEbEEZZNS1_14partition_implILS8_3ELb0ES6_jNS0_17counting_iteratorIjlEEPS9_SE_NS0_5tupleIJPjSE_EEENSF_IJSE_SE_EEES9_SG_JZNS1_25segmented_radix_sort_implINS0_14default_configELb0EPKfPfPKlPlN2at6native12_GLOBAL__N_18offset_tEEE10hipError_tPvRmT1_PNSt15iterator_traitsISY_E10value_typeET2_T3_PNSZ_IS14_E10value_typeET4_jRbjT5_S1A_jjP12ihipStream_tbEUljE_EEESV_SW_SX_S14_S18_S1A_T6_T7_T9_mT8_S1C_bDpT10_ENKUlT_T0_E_clISt17integral_constantIbLb0EES1O_IbLb1EEEEDaS1K_S1L_EUlS1K_E_NS1_11comp_targetILNS1_3genE4ELNS1_11target_archE910ELNS1_3gpuE8ELNS1_3repE0EEENS1_30default_config_static_selectorELNS0_4arch9wavefront6targetE0EEEvSY_,"axG",@progbits,_ZN7rocprim17ROCPRIM_400000_NS6detail17trampoline_kernelINS0_13select_configILj256ELj13ELNS0_17block_load_methodE3ELS4_3ELS4_3ELNS0_20block_scan_algorithmE0ELj4294967295EEENS1_25partition_config_selectorILNS1_17partition_subalgoE3EjNS0_10empty_typeEbEEZZNS1_14partition_implILS8_3ELb0ES6_jNS0_17counting_iteratorIjlEEPS9_SE_NS0_5tupleIJPjSE_EEENSF_IJSE_SE_EEES9_SG_JZNS1_25segmented_radix_sort_implINS0_14default_configELb0EPKfPfPKlPlN2at6native12_GLOBAL__N_18offset_tEEE10hipError_tPvRmT1_PNSt15iterator_traitsISY_E10value_typeET2_T3_PNSZ_IS14_E10value_typeET4_jRbjT5_S1A_jjP12ihipStream_tbEUljE_EEESV_SW_SX_S14_S18_S1A_T6_T7_T9_mT8_S1C_bDpT10_ENKUlT_T0_E_clISt17integral_constantIbLb0EES1O_IbLb1EEEEDaS1K_S1L_EUlS1K_E_NS1_11comp_targetILNS1_3genE4ELNS1_11target_archE910ELNS1_3gpuE8ELNS1_3repE0EEENS1_30default_config_static_selectorELNS0_4arch9wavefront6targetE0EEEvSY_,comdat
	.globl	_ZN7rocprim17ROCPRIM_400000_NS6detail17trampoline_kernelINS0_13select_configILj256ELj13ELNS0_17block_load_methodE3ELS4_3ELS4_3ELNS0_20block_scan_algorithmE0ELj4294967295EEENS1_25partition_config_selectorILNS1_17partition_subalgoE3EjNS0_10empty_typeEbEEZZNS1_14partition_implILS8_3ELb0ES6_jNS0_17counting_iteratorIjlEEPS9_SE_NS0_5tupleIJPjSE_EEENSF_IJSE_SE_EEES9_SG_JZNS1_25segmented_radix_sort_implINS0_14default_configELb0EPKfPfPKlPlN2at6native12_GLOBAL__N_18offset_tEEE10hipError_tPvRmT1_PNSt15iterator_traitsISY_E10value_typeET2_T3_PNSZ_IS14_E10value_typeET4_jRbjT5_S1A_jjP12ihipStream_tbEUljE_EEESV_SW_SX_S14_S18_S1A_T6_T7_T9_mT8_S1C_bDpT10_ENKUlT_T0_E_clISt17integral_constantIbLb0EES1O_IbLb1EEEEDaS1K_S1L_EUlS1K_E_NS1_11comp_targetILNS1_3genE4ELNS1_11target_archE910ELNS1_3gpuE8ELNS1_3repE0EEENS1_30default_config_static_selectorELNS0_4arch9wavefront6targetE0EEEvSY_ ; -- Begin function _ZN7rocprim17ROCPRIM_400000_NS6detail17trampoline_kernelINS0_13select_configILj256ELj13ELNS0_17block_load_methodE3ELS4_3ELS4_3ELNS0_20block_scan_algorithmE0ELj4294967295EEENS1_25partition_config_selectorILNS1_17partition_subalgoE3EjNS0_10empty_typeEbEEZZNS1_14partition_implILS8_3ELb0ES6_jNS0_17counting_iteratorIjlEEPS9_SE_NS0_5tupleIJPjSE_EEENSF_IJSE_SE_EEES9_SG_JZNS1_25segmented_radix_sort_implINS0_14default_configELb0EPKfPfPKlPlN2at6native12_GLOBAL__N_18offset_tEEE10hipError_tPvRmT1_PNSt15iterator_traitsISY_E10value_typeET2_T3_PNSZ_IS14_E10value_typeET4_jRbjT5_S1A_jjP12ihipStream_tbEUljE_EEESV_SW_SX_S14_S18_S1A_T6_T7_T9_mT8_S1C_bDpT10_ENKUlT_T0_E_clISt17integral_constantIbLb0EES1O_IbLb1EEEEDaS1K_S1L_EUlS1K_E_NS1_11comp_targetILNS1_3genE4ELNS1_11target_archE910ELNS1_3gpuE8ELNS1_3repE0EEENS1_30default_config_static_selectorELNS0_4arch9wavefront6targetE0EEEvSY_
	.p2align	8
	.type	_ZN7rocprim17ROCPRIM_400000_NS6detail17trampoline_kernelINS0_13select_configILj256ELj13ELNS0_17block_load_methodE3ELS4_3ELS4_3ELNS0_20block_scan_algorithmE0ELj4294967295EEENS1_25partition_config_selectorILNS1_17partition_subalgoE3EjNS0_10empty_typeEbEEZZNS1_14partition_implILS8_3ELb0ES6_jNS0_17counting_iteratorIjlEEPS9_SE_NS0_5tupleIJPjSE_EEENSF_IJSE_SE_EEES9_SG_JZNS1_25segmented_radix_sort_implINS0_14default_configELb0EPKfPfPKlPlN2at6native12_GLOBAL__N_18offset_tEEE10hipError_tPvRmT1_PNSt15iterator_traitsISY_E10value_typeET2_T3_PNSZ_IS14_E10value_typeET4_jRbjT5_S1A_jjP12ihipStream_tbEUljE_EEESV_SW_SX_S14_S18_S1A_T6_T7_T9_mT8_S1C_bDpT10_ENKUlT_T0_E_clISt17integral_constantIbLb0EES1O_IbLb1EEEEDaS1K_S1L_EUlS1K_E_NS1_11comp_targetILNS1_3genE4ELNS1_11target_archE910ELNS1_3gpuE8ELNS1_3repE0EEENS1_30default_config_static_selectorELNS0_4arch9wavefront6targetE0EEEvSY_,@function
_ZN7rocprim17ROCPRIM_400000_NS6detail17trampoline_kernelINS0_13select_configILj256ELj13ELNS0_17block_load_methodE3ELS4_3ELS4_3ELNS0_20block_scan_algorithmE0ELj4294967295EEENS1_25partition_config_selectorILNS1_17partition_subalgoE3EjNS0_10empty_typeEbEEZZNS1_14partition_implILS8_3ELb0ES6_jNS0_17counting_iteratorIjlEEPS9_SE_NS0_5tupleIJPjSE_EEENSF_IJSE_SE_EEES9_SG_JZNS1_25segmented_radix_sort_implINS0_14default_configELb0EPKfPfPKlPlN2at6native12_GLOBAL__N_18offset_tEEE10hipError_tPvRmT1_PNSt15iterator_traitsISY_E10value_typeET2_T3_PNSZ_IS14_E10value_typeET4_jRbjT5_S1A_jjP12ihipStream_tbEUljE_EEESV_SW_SX_S14_S18_S1A_T6_T7_T9_mT8_S1C_bDpT10_ENKUlT_T0_E_clISt17integral_constantIbLb0EES1O_IbLb1EEEEDaS1K_S1L_EUlS1K_E_NS1_11comp_targetILNS1_3genE4ELNS1_11target_archE910ELNS1_3gpuE8ELNS1_3repE0EEENS1_30default_config_static_selectorELNS0_4arch9wavefront6targetE0EEEvSY_: ; @_ZN7rocprim17ROCPRIM_400000_NS6detail17trampoline_kernelINS0_13select_configILj256ELj13ELNS0_17block_load_methodE3ELS4_3ELS4_3ELNS0_20block_scan_algorithmE0ELj4294967295EEENS1_25partition_config_selectorILNS1_17partition_subalgoE3EjNS0_10empty_typeEbEEZZNS1_14partition_implILS8_3ELb0ES6_jNS0_17counting_iteratorIjlEEPS9_SE_NS0_5tupleIJPjSE_EEENSF_IJSE_SE_EEES9_SG_JZNS1_25segmented_radix_sort_implINS0_14default_configELb0EPKfPfPKlPlN2at6native12_GLOBAL__N_18offset_tEEE10hipError_tPvRmT1_PNSt15iterator_traitsISY_E10value_typeET2_T3_PNSZ_IS14_E10value_typeET4_jRbjT5_S1A_jjP12ihipStream_tbEUljE_EEESV_SW_SX_S14_S18_S1A_T6_T7_T9_mT8_S1C_bDpT10_ENKUlT_T0_E_clISt17integral_constantIbLb0EES1O_IbLb1EEEEDaS1K_S1L_EUlS1K_E_NS1_11comp_targetILNS1_3genE4ELNS1_11target_archE910ELNS1_3gpuE8ELNS1_3repE0EEENS1_30default_config_static_selectorELNS0_4arch9wavefront6targetE0EEEvSY_
; %bb.0:
	.section	.rodata,"a",@progbits
	.p2align	6, 0x0
	.amdhsa_kernel _ZN7rocprim17ROCPRIM_400000_NS6detail17trampoline_kernelINS0_13select_configILj256ELj13ELNS0_17block_load_methodE3ELS4_3ELS4_3ELNS0_20block_scan_algorithmE0ELj4294967295EEENS1_25partition_config_selectorILNS1_17partition_subalgoE3EjNS0_10empty_typeEbEEZZNS1_14partition_implILS8_3ELb0ES6_jNS0_17counting_iteratorIjlEEPS9_SE_NS0_5tupleIJPjSE_EEENSF_IJSE_SE_EEES9_SG_JZNS1_25segmented_radix_sort_implINS0_14default_configELb0EPKfPfPKlPlN2at6native12_GLOBAL__N_18offset_tEEE10hipError_tPvRmT1_PNSt15iterator_traitsISY_E10value_typeET2_T3_PNSZ_IS14_E10value_typeET4_jRbjT5_S1A_jjP12ihipStream_tbEUljE_EEESV_SW_SX_S14_S18_S1A_T6_T7_T9_mT8_S1C_bDpT10_ENKUlT_T0_E_clISt17integral_constantIbLb0EES1O_IbLb1EEEEDaS1K_S1L_EUlS1K_E_NS1_11comp_targetILNS1_3genE4ELNS1_11target_archE910ELNS1_3gpuE8ELNS1_3repE0EEENS1_30default_config_static_selectorELNS0_4arch9wavefront6targetE0EEEvSY_
		.amdhsa_group_segment_fixed_size 0
		.amdhsa_private_segment_fixed_size 0
		.amdhsa_kernarg_size 152
		.amdhsa_user_sgpr_count 15
		.amdhsa_user_sgpr_dispatch_ptr 0
		.amdhsa_user_sgpr_queue_ptr 0
		.amdhsa_user_sgpr_kernarg_segment_ptr 1
		.amdhsa_user_sgpr_dispatch_id 0
		.amdhsa_user_sgpr_private_segment_size 0
		.amdhsa_wavefront_size32 1
		.amdhsa_uses_dynamic_stack 0
		.amdhsa_enable_private_segment 0
		.amdhsa_system_sgpr_workgroup_id_x 1
		.amdhsa_system_sgpr_workgroup_id_y 0
		.amdhsa_system_sgpr_workgroup_id_z 0
		.amdhsa_system_sgpr_workgroup_info 0
		.amdhsa_system_vgpr_workitem_id 0
		.amdhsa_next_free_vgpr 1
		.amdhsa_next_free_sgpr 1
		.amdhsa_reserve_vcc 0
		.amdhsa_float_round_mode_32 0
		.amdhsa_float_round_mode_16_64 0
		.amdhsa_float_denorm_mode_32 3
		.amdhsa_float_denorm_mode_16_64 3
		.amdhsa_dx10_clamp 1
		.amdhsa_ieee_mode 1
		.amdhsa_fp16_overflow 0
		.amdhsa_workgroup_processor_mode 1
		.amdhsa_memory_ordered 1
		.amdhsa_forward_progress 0
		.amdhsa_shared_vgpr_count 0
		.amdhsa_exception_fp_ieee_invalid_op 0
		.amdhsa_exception_fp_denorm_src 0
		.amdhsa_exception_fp_ieee_div_zero 0
		.amdhsa_exception_fp_ieee_overflow 0
		.amdhsa_exception_fp_ieee_underflow 0
		.amdhsa_exception_fp_ieee_inexact 0
		.amdhsa_exception_int_div_zero 0
	.end_amdhsa_kernel
	.section	.text._ZN7rocprim17ROCPRIM_400000_NS6detail17trampoline_kernelINS0_13select_configILj256ELj13ELNS0_17block_load_methodE3ELS4_3ELS4_3ELNS0_20block_scan_algorithmE0ELj4294967295EEENS1_25partition_config_selectorILNS1_17partition_subalgoE3EjNS0_10empty_typeEbEEZZNS1_14partition_implILS8_3ELb0ES6_jNS0_17counting_iteratorIjlEEPS9_SE_NS0_5tupleIJPjSE_EEENSF_IJSE_SE_EEES9_SG_JZNS1_25segmented_radix_sort_implINS0_14default_configELb0EPKfPfPKlPlN2at6native12_GLOBAL__N_18offset_tEEE10hipError_tPvRmT1_PNSt15iterator_traitsISY_E10value_typeET2_T3_PNSZ_IS14_E10value_typeET4_jRbjT5_S1A_jjP12ihipStream_tbEUljE_EEESV_SW_SX_S14_S18_S1A_T6_T7_T9_mT8_S1C_bDpT10_ENKUlT_T0_E_clISt17integral_constantIbLb0EES1O_IbLb1EEEEDaS1K_S1L_EUlS1K_E_NS1_11comp_targetILNS1_3genE4ELNS1_11target_archE910ELNS1_3gpuE8ELNS1_3repE0EEENS1_30default_config_static_selectorELNS0_4arch9wavefront6targetE0EEEvSY_,"axG",@progbits,_ZN7rocprim17ROCPRIM_400000_NS6detail17trampoline_kernelINS0_13select_configILj256ELj13ELNS0_17block_load_methodE3ELS4_3ELS4_3ELNS0_20block_scan_algorithmE0ELj4294967295EEENS1_25partition_config_selectorILNS1_17partition_subalgoE3EjNS0_10empty_typeEbEEZZNS1_14partition_implILS8_3ELb0ES6_jNS0_17counting_iteratorIjlEEPS9_SE_NS0_5tupleIJPjSE_EEENSF_IJSE_SE_EEES9_SG_JZNS1_25segmented_radix_sort_implINS0_14default_configELb0EPKfPfPKlPlN2at6native12_GLOBAL__N_18offset_tEEE10hipError_tPvRmT1_PNSt15iterator_traitsISY_E10value_typeET2_T3_PNSZ_IS14_E10value_typeET4_jRbjT5_S1A_jjP12ihipStream_tbEUljE_EEESV_SW_SX_S14_S18_S1A_T6_T7_T9_mT8_S1C_bDpT10_ENKUlT_T0_E_clISt17integral_constantIbLb0EES1O_IbLb1EEEEDaS1K_S1L_EUlS1K_E_NS1_11comp_targetILNS1_3genE4ELNS1_11target_archE910ELNS1_3gpuE8ELNS1_3repE0EEENS1_30default_config_static_selectorELNS0_4arch9wavefront6targetE0EEEvSY_,comdat
.Lfunc_end1422:
	.size	_ZN7rocprim17ROCPRIM_400000_NS6detail17trampoline_kernelINS0_13select_configILj256ELj13ELNS0_17block_load_methodE3ELS4_3ELS4_3ELNS0_20block_scan_algorithmE0ELj4294967295EEENS1_25partition_config_selectorILNS1_17partition_subalgoE3EjNS0_10empty_typeEbEEZZNS1_14partition_implILS8_3ELb0ES6_jNS0_17counting_iteratorIjlEEPS9_SE_NS0_5tupleIJPjSE_EEENSF_IJSE_SE_EEES9_SG_JZNS1_25segmented_radix_sort_implINS0_14default_configELb0EPKfPfPKlPlN2at6native12_GLOBAL__N_18offset_tEEE10hipError_tPvRmT1_PNSt15iterator_traitsISY_E10value_typeET2_T3_PNSZ_IS14_E10value_typeET4_jRbjT5_S1A_jjP12ihipStream_tbEUljE_EEESV_SW_SX_S14_S18_S1A_T6_T7_T9_mT8_S1C_bDpT10_ENKUlT_T0_E_clISt17integral_constantIbLb0EES1O_IbLb1EEEEDaS1K_S1L_EUlS1K_E_NS1_11comp_targetILNS1_3genE4ELNS1_11target_archE910ELNS1_3gpuE8ELNS1_3repE0EEENS1_30default_config_static_selectorELNS0_4arch9wavefront6targetE0EEEvSY_, .Lfunc_end1422-_ZN7rocprim17ROCPRIM_400000_NS6detail17trampoline_kernelINS0_13select_configILj256ELj13ELNS0_17block_load_methodE3ELS4_3ELS4_3ELNS0_20block_scan_algorithmE0ELj4294967295EEENS1_25partition_config_selectorILNS1_17partition_subalgoE3EjNS0_10empty_typeEbEEZZNS1_14partition_implILS8_3ELb0ES6_jNS0_17counting_iteratorIjlEEPS9_SE_NS0_5tupleIJPjSE_EEENSF_IJSE_SE_EEES9_SG_JZNS1_25segmented_radix_sort_implINS0_14default_configELb0EPKfPfPKlPlN2at6native12_GLOBAL__N_18offset_tEEE10hipError_tPvRmT1_PNSt15iterator_traitsISY_E10value_typeET2_T3_PNSZ_IS14_E10value_typeET4_jRbjT5_S1A_jjP12ihipStream_tbEUljE_EEESV_SW_SX_S14_S18_S1A_T6_T7_T9_mT8_S1C_bDpT10_ENKUlT_T0_E_clISt17integral_constantIbLb0EES1O_IbLb1EEEEDaS1K_S1L_EUlS1K_E_NS1_11comp_targetILNS1_3genE4ELNS1_11target_archE910ELNS1_3gpuE8ELNS1_3repE0EEENS1_30default_config_static_selectorELNS0_4arch9wavefront6targetE0EEEvSY_
                                        ; -- End function
	.section	.AMDGPU.csdata,"",@progbits
; Kernel info:
; codeLenInByte = 0
; NumSgprs: 0
; NumVgprs: 0
; ScratchSize: 0
; MemoryBound: 0
; FloatMode: 240
; IeeeMode: 1
; LDSByteSize: 0 bytes/workgroup (compile time only)
; SGPRBlocks: 0
; VGPRBlocks: 0
; NumSGPRsForWavesPerEU: 1
; NumVGPRsForWavesPerEU: 1
; Occupancy: 16
; WaveLimiterHint : 0
; COMPUTE_PGM_RSRC2:SCRATCH_EN: 0
; COMPUTE_PGM_RSRC2:USER_SGPR: 15
; COMPUTE_PGM_RSRC2:TRAP_HANDLER: 0
; COMPUTE_PGM_RSRC2:TGID_X_EN: 1
; COMPUTE_PGM_RSRC2:TGID_Y_EN: 0
; COMPUTE_PGM_RSRC2:TGID_Z_EN: 0
; COMPUTE_PGM_RSRC2:TIDIG_COMP_CNT: 0
	.section	.text._ZN7rocprim17ROCPRIM_400000_NS6detail17trampoline_kernelINS0_13select_configILj256ELj13ELNS0_17block_load_methodE3ELS4_3ELS4_3ELNS0_20block_scan_algorithmE0ELj4294967295EEENS1_25partition_config_selectorILNS1_17partition_subalgoE3EjNS0_10empty_typeEbEEZZNS1_14partition_implILS8_3ELb0ES6_jNS0_17counting_iteratorIjlEEPS9_SE_NS0_5tupleIJPjSE_EEENSF_IJSE_SE_EEES9_SG_JZNS1_25segmented_radix_sort_implINS0_14default_configELb0EPKfPfPKlPlN2at6native12_GLOBAL__N_18offset_tEEE10hipError_tPvRmT1_PNSt15iterator_traitsISY_E10value_typeET2_T3_PNSZ_IS14_E10value_typeET4_jRbjT5_S1A_jjP12ihipStream_tbEUljE_EEESV_SW_SX_S14_S18_S1A_T6_T7_T9_mT8_S1C_bDpT10_ENKUlT_T0_E_clISt17integral_constantIbLb0EES1O_IbLb1EEEEDaS1K_S1L_EUlS1K_E_NS1_11comp_targetILNS1_3genE3ELNS1_11target_archE908ELNS1_3gpuE7ELNS1_3repE0EEENS1_30default_config_static_selectorELNS0_4arch9wavefront6targetE0EEEvSY_,"axG",@progbits,_ZN7rocprim17ROCPRIM_400000_NS6detail17trampoline_kernelINS0_13select_configILj256ELj13ELNS0_17block_load_methodE3ELS4_3ELS4_3ELNS0_20block_scan_algorithmE0ELj4294967295EEENS1_25partition_config_selectorILNS1_17partition_subalgoE3EjNS0_10empty_typeEbEEZZNS1_14partition_implILS8_3ELb0ES6_jNS0_17counting_iteratorIjlEEPS9_SE_NS0_5tupleIJPjSE_EEENSF_IJSE_SE_EEES9_SG_JZNS1_25segmented_radix_sort_implINS0_14default_configELb0EPKfPfPKlPlN2at6native12_GLOBAL__N_18offset_tEEE10hipError_tPvRmT1_PNSt15iterator_traitsISY_E10value_typeET2_T3_PNSZ_IS14_E10value_typeET4_jRbjT5_S1A_jjP12ihipStream_tbEUljE_EEESV_SW_SX_S14_S18_S1A_T6_T7_T9_mT8_S1C_bDpT10_ENKUlT_T0_E_clISt17integral_constantIbLb0EES1O_IbLb1EEEEDaS1K_S1L_EUlS1K_E_NS1_11comp_targetILNS1_3genE3ELNS1_11target_archE908ELNS1_3gpuE7ELNS1_3repE0EEENS1_30default_config_static_selectorELNS0_4arch9wavefront6targetE0EEEvSY_,comdat
	.globl	_ZN7rocprim17ROCPRIM_400000_NS6detail17trampoline_kernelINS0_13select_configILj256ELj13ELNS0_17block_load_methodE3ELS4_3ELS4_3ELNS0_20block_scan_algorithmE0ELj4294967295EEENS1_25partition_config_selectorILNS1_17partition_subalgoE3EjNS0_10empty_typeEbEEZZNS1_14partition_implILS8_3ELb0ES6_jNS0_17counting_iteratorIjlEEPS9_SE_NS0_5tupleIJPjSE_EEENSF_IJSE_SE_EEES9_SG_JZNS1_25segmented_radix_sort_implINS0_14default_configELb0EPKfPfPKlPlN2at6native12_GLOBAL__N_18offset_tEEE10hipError_tPvRmT1_PNSt15iterator_traitsISY_E10value_typeET2_T3_PNSZ_IS14_E10value_typeET4_jRbjT5_S1A_jjP12ihipStream_tbEUljE_EEESV_SW_SX_S14_S18_S1A_T6_T7_T9_mT8_S1C_bDpT10_ENKUlT_T0_E_clISt17integral_constantIbLb0EES1O_IbLb1EEEEDaS1K_S1L_EUlS1K_E_NS1_11comp_targetILNS1_3genE3ELNS1_11target_archE908ELNS1_3gpuE7ELNS1_3repE0EEENS1_30default_config_static_selectorELNS0_4arch9wavefront6targetE0EEEvSY_ ; -- Begin function _ZN7rocprim17ROCPRIM_400000_NS6detail17trampoline_kernelINS0_13select_configILj256ELj13ELNS0_17block_load_methodE3ELS4_3ELS4_3ELNS0_20block_scan_algorithmE0ELj4294967295EEENS1_25partition_config_selectorILNS1_17partition_subalgoE3EjNS0_10empty_typeEbEEZZNS1_14partition_implILS8_3ELb0ES6_jNS0_17counting_iteratorIjlEEPS9_SE_NS0_5tupleIJPjSE_EEENSF_IJSE_SE_EEES9_SG_JZNS1_25segmented_radix_sort_implINS0_14default_configELb0EPKfPfPKlPlN2at6native12_GLOBAL__N_18offset_tEEE10hipError_tPvRmT1_PNSt15iterator_traitsISY_E10value_typeET2_T3_PNSZ_IS14_E10value_typeET4_jRbjT5_S1A_jjP12ihipStream_tbEUljE_EEESV_SW_SX_S14_S18_S1A_T6_T7_T9_mT8_S1C_bDpT10_ENKUlT_T0_E_clISt17integral_constantIbLb0EES1O_IbLb1EEEEDaS1K_S1L_EUlS1K_E_NS1_11comp_targetILNS1_3genE3ELNS1_11target_archE908ELNS1_3gpuE7ELNS1_3repE0EEENS1_30default_config_static_selectorELNS0_4arch9wavefront6targetE0EEEvSY_
	.p2align	8
	.type	_ZN7rocprim17ROCPRIM_400000_NS6detail17trampoline_kernelINS0_13select_configILj256ELj13ELNS0_17block_load_methodE3ELS4_3ELS4_3ELNS0_20block_scan_algorithmE0ELj4294967295EEENS1_25partition_config_selectorILNS1_17partition_subalgoE3EjNS0_10empty_typeEbEEZZNS1_14partition_implILS8_3ELb0ES6_jNS0_17counting_iteratorIjlEEPS9_SE_NS0_5tupleIJPjSE_EEENSF_IJSE_SE_EEES9_SG_JZNS1_25segmented_radix_sort_implINS0_14default_configELb0EPKfPfPKlPlN2at6native12_GLOBAL__N_18offset_tEEE10hipError_tPvRmT1_PNSt15iterator_traitsISY_E10value_typeET2_T3_PNSZ_IS14_E10value_typeET4_jRbjT5_S1A_jjP12ihipStream_tbEUljE_EEESV_SW_SX_S14_S18_S1A_T6_T7_T9_mT8_S1C_bDpT10_ENKUlT_T0_E_clISt17integral_constantIbLb0EES1O_IbLb1EEEEDaS1K_S1L_EUlS1K_E_NS1_11comp_targetILNS1_3genE3ELNS1_11target_archE908ELNS1_3gpuE7ELNS1_3repE0EEENS1_30default_config_static_selectorELNS0_4arch9wavefront6targetE0EEEvSY_,@function
_ZN7rocprim17ROCPRIM_400000_NS6detail17trampoline_kernelINS0_13select_configILj256ELj13ELNS0_17block_load_methodE3ELS4_3ELS4_3ELNS0_20block_scan_algorithmE0ELj4294967295EEENS1_25partition_config_selectorILNS1_17partition_subalgoE3EjNS0_10empty_typeEbEEZZNS1_14partition_implILS8_3ELb0ES6_jNS0_17counting_iteratorIjlEEPS9_SE_NS0_5tupleIJPjSE_EEENSF_IJSE_SE_EEES9_SG_JZNS1_25segmented_radix_sort_implINS0_14default_configELb0EPKfPfPKlPlN2at6native12_GLOBAL__N_18offset_tEEE10hipError_tPvRmT1_PNSt15iterator_traitsISY_E10value_typeET2_T3_PNSZ_IS14_E10value_typeET4_jRbjT5_S1A_jjP12ihipStream_tbEUljE_EEESV_SW_SX_S14_S18_S1A_T6_T7_T9_mT8_S1C_bDpT10_ENKUlT_T0_E_clISt17integral_constantIbLb0EES1O_IbLb1EEEEDaS1K_S1L_EUlS1K_E_NS1_11comp_targetILNS1_3genE3ELNS1_11target_archE908ELNS1_3gpuE7ELNS1_3repE0EEENS1_30default_config_static_selectorELNS0_4arch9wavefront6targetE0EEEvSY_: ; @_ZN7rocprim17ROCPRIM_400000_NS6detail17trampoline_kernelINS0_13select_configILj256ELj13ELNS0_17block_load_methodE3ELS4_3ELS4_3ELNS0_20block_scan_algorithmE0ELj4294967295EEENS1_25partition_config_selectorILNS1_17partition_subalgoE3EjNS0_10empty_typeEbEEZZNS1_14partition_implILS8_3ELb0ES6_jNS0_17counting_iteratorIjlEEPS9_SE_NS0_5tupleIJPjSE_EEENSF_IJSE_SE_EEES9_SG_JZNS1_25segmented_radix_sort_implINS0_14default_configELb0EPKfPfPKlPlN2at6native12_GLOBAL__N_18offset_tEEE10hipError_tPvRmT1_PNSt15iterator_traitsISY_E10value_typeET2_T3_PNSZ_IS14_E10value_typeET4_jRbjT5_S1A_jjP12ihipStream_tbEUljE_EEESV_SW_SX_S14_S18_S1A_T6_T7_T9_mT8_S1C_bDpT10_ENKUlT_T0_E_clISt17integral_constantIbLb0EES1O_IbLb1EEEEDaS1K_S1L_EUlS1K_E_NS1_11comp_targetILNS1_3genE3ELNS1_11target_archE908ELNS1_3gpuE7ELNS1_3repE0EEENS1_30default_config_static_selectorELNS0_4arch9wavefront6targetE0EEEvSY_
; %bb.0:
	.section	.rodata,"a",@progbits
	.p2align	6, 0x0
	.amdhsa_kernel _ZN7rocprim17ROCPRIM_400000_NS6detail17trampoline_kernelINS0_13select_configILj256ELj13ELNS0_17block_load_methodE3ELS4_3ELS4_3ELNS0_20block_scan_algorithmE0ELj4294967295EEENS1_25partition_config_selectorILNS1_17partition_subalgoE3EjNS0_10empty_typeEbEEZZNS1_14partition_implILS8_3ELb0ES6_jNS0_17counting_iteratorIjlEEPS9_SE_NS0_5tupleIJPjSE_EEENSF_IJSE_SE_EEES9_SG_JZNS1_25segmented_radix_sort_implINS0_14default_configELb0EPKfPfPKlPlN2at6native12_GLOBAL__N_18offset_tEEE10hipError_tPvRmT1_PNSt15iterator_traitsISY_E10value_typeET2_T3_PNSZ_IS14_E10value_typeET4_jRbjT5_S1A_jjP12ihipStream_tbEUljE_EEESV_SW_SX_S14_S18_S1A_T6_T7_T9_mT8_S1C_bDpT10_ENKUlT_T0_E_clISt17integral_constantIbLb0EES1O_IbLb1EEEEDaS1K_S1L_EUlS1K_E_NS1_11comp_targetILNS1_3genE3ELNS1_11target_archE908ELNS1_3gpuE7ELNS1_3repE0EEENS1_30default_config_static_selectorELNS0_4arch9wavefront6targetE0EEEvSY_
		.amdhsa_group_segment_fixed_size 0
		.amdhsa_private_segment_fixed_size 0
		.amdhsa_kernarg_size 152
		.amdhsa_user_sgpr_count 15
		.amdhsa_user_sgpr_dispatch_ptr 0
		.amdhsa_user_sgpr_queue_ptr 0
		.amdhsa_user_sgpr_kernarg_segment_ptr 1
		.amdhsa_user_sgpr_dispatch_id 0
		.amdhsa_user_sgpr_private_segment_size 0
		.amdhsa_wavefront_size32 1
		.amdhsa_uses_dynamic_stack 0
		.amdhsa_enable_private_segment 0
		.amdhsa_system_sgpr_workgroup_id_x 1
		.amdhsa_system_sgpr_workgroup_id_y 0
		.amdhsa_system_sgpr_workgroup_id_z 0
		.amdhsa_system_sgpr_workgroup_info 0
		.amdhsa_system_vgpr_workitem_id 0
		.amdhsa_next_free_vgpr 1
		.amdhsa_next_free_sgpr 1
		.amdhsa_reserve_vcc 0
		.amdhsa_float_round_mode_32 0
		.amdhsa_float_round_mode_16_64 0
		.amdhsa_float_denorm_mode_32 3
		.amdhsa_float_denorm_mode_16_64 3
		.amdhsa_dx10_clamp 1
		.amdhsa_ieee_mode 1
		.amdhsa_fp16_overflow 0
		.amdhsa_workgroup_processor_mode 1
		.amdhsa_memory_ordered 1
		.amdhsa_forward_progress 0
		.amdhsa_shared_vgpr_count 0
		.amdhsa_exception_fp_ieee_invalid_op 0
		.amdhsa_exception_fp_denorm_src 0
		.amdhsa_exception_fp_ieee_div_zero 0
		.amdhsa_exception_fp_ieee_overflow 0
		.amdhsa_exception_fp_ieee_underflow 0
		.amdhsa_exception_fp_ieee_inexact 0
		.amdhsa_exception_int_div_zero 0
	.end_amdhsa_kernel
	.section	.text._ZN7rocprim17ROCPRIM_400000_NS6detail17trampoline_kernelINS0_13select_configILj256ELj13ELNS0_17block_load_methodE3ELS4_3ELS4_3ELNS0_20block_scan_algorithmE0ELj4294967295EEENS1_25partition_config_selectorILNS1_17partition_subalgoE3EjNS0_10empty_typeEbEEZZNS1_14partition_implILS8_3ELb0ES6_jNS0_17counting_iteratorIjlEEPS9_SE_NS0_5tupleIJPjSE_EEENSF_IJSE_SE_EEES9_SG_JZNS1_25segmented_radix_sort_implINS0_14default_configELb0EPKfPfPKlPlN2at6native12_GLOBAL__N_18offset_tEEE10hipError_tPvRmT1_PNSt15iterator_traitsISY_E10value_typeET2_T3_PNSZ_IS14_E10value_typeET4_jRbjT5_S1A_jjP12ihipStream_tbEUljE_EEESV_SW_SX_S14_S18_S1A_T6_T7_T9_mT8_S1C_bDpT10_ENKUlT_T0_E_clISt17integral_constantIbLb0EES1O_IbLb1EEEEDaS1K_S1L_EUlS1K_E_NS1_11comp_targetILNS1_3genE3ELNS1_11target_archE908ELNS1_3gpuE7ELNS1_3repE0EEENS1_30default_config_static_selectorELNS0_4arch9wavefront6targetE0EEEvSY_,"axG",@progbits,_ZN7rocprim17ROCPRIM_400000_NS6detail17trampoline_kernelINS0_13select_configILj256ELj13ELNS0_17block_load_methodE3ELS4_3ELS4_3ELNS0_20block_scan_algorithmE0ELj4294967295EEENS1_25partition_config_selectorILNS1_17partition_subalgoE3EjNS0_10empty_typeEbEEZZNS1_14partition_implILS8_3ELb0ES6_jNS0_17counting_iteratorIjlEEPS9_SE_NS0_5tupleIJPjSE_EEENSF_IJSE_SE_EEES9_SG_JZNS1_25segmented_radix_sort_implINS0_14default_configELb0EPKfPfPKlPlN2at6native12_GLOBAL__N_18offset_tEEE10hipError_tPvRmT1_PNSt15iterator_traitsISY_E10value_typeET2_T3_PNSZ_IS14_E10value_typeET4_jRbjT5_S1A_jjP12ihipStream_tbEUljE_EEESV_SW_SX_S14_S18_S1A_T6_T7_T9_mT8_S1C_bDpT10_ENKUlT_T0_E_clISt17integral_constantIbLb0EES1O_IbLb1EEEEDaS1K_S1L_EUlS1K_E_NS1_11comp_targetILNS1_3genE3ELNS1_11target_archE908ELNS1_3gpuE7ELNS1_3repE0EEENS1_30default_config_static_selectorELNS0_4arch9wavefront6targetE0EEEvSY_,comdat
.Lfunc_end1423:
	.size	_ZN7rocprim17ROCPRIM_400000_NS6detail17trampoline_kernelINS0_13select_configILj256ELj13ELNS0_17block_load_methodE3ELS4_3ELS4_3ELNS0_20block_scan_algorithmE0ELj4294967295EEENS1_25partition_config_selectorILNS1_17partition_subalgoE3EjNS0_10empty_typeEbEEZZNS1_14partition_implILS8_3ELb0ES6_jNS0_17counting_iteratorIjlEEPS9_SE_NS0_5tupleIJPjSE_EEENSF_IJSE_SE_EEES9_SG_JZNS1_25segmented_radix_sort_implINS0_14default_configELb0EPKfPfPKlPlN2at6native12_GLOBAL__N_18offset_tEEE10hipError_tPvRmT1_PNSt15iterator_traitsISY_E10value_typeET2_T3_PNSZ_IS14_E10value_typeET4_jRbjT5_S1A_jjP12ihipStream_tbEUljE_EEESV_SW_SX_S14_S18_S1A_T6_T7_T9_mT8_S1C_bDpT10_ENKUlT_T0_E_clISt17integral_constantIbLb0EES1O_IbLb1EEEEDaS1K_S1L_EUlS1K_E_NS1_11comp_targetILNS1_3genE3ELNS1_11target_archE908ELNS1_3gpuE7ELNS1_3repE0EEENS1_30default_config_static_selectorELNS0_4arch9wavefront6targetE0EEEvSY_, .Lfunc_end1423-_ZN7rocprim17ROCPRIM_400000_NS6detail17trampoline_kernelINS0_13select_configILj256ELj13ELNS0_17block_load_methodE3ELS4_3ELS4_3ELNS0_20block_scan_algorithmE0ELj4294967295EEENS1_25partition_config_selectorILNS1_17partition_subalgoE3EjNS0_10empty_typeEbEEZZNS1_14partition_implILS8_3ELb0ES6_jNS0_17counting_iteratorIjlEEPS9_SE_NS0_5tupleIJPjSE_EEENSF_IJSE_SE_EEES9_SG_JZNS1_25segmented_radix_sort_implINS0_14default_configELb0EPKfPfPKlPlN2at6native12_GLOBAL__N_18offset_tEEE10hipError_tPvRmT1_PNSt15iterator_traitsISY_E10value_typeET2_T3_PNSZ_IS14_E10value_typeET4_jRbjT5_S1A_jjP12ihipStream_tbEUljE_EEESV_SW_SX_S14_S18_S1A_T6_T7_T9_mT8_S1C_bDpT10_ENKUlT_T0_E_clISt17integral_constantIbLb0EES1O_IbLb1EEEEDaS1K_S1L_EUlS1K_E_NS1_11comp_targetILNS1_3genE3ELNS1_11target_archE908ELNS1_3gpuE7ELNS1_3repE0EEENS1_30default_config_static_selectorELNS0_4arch9wavefront6targetE0EEEvSY_
                                        ; -- End function
	.section	.AMDGPU.csdata,"",@progbits
; Kernel info:
; codeLenInByte = 0
; NumSgprs: 0
; NumVgprs: 0
; ScratchSize: 0
; MemoryBound: 0
; FloatMode: 240
; IeeeMode: 1
; LDSByteSize: 0 bytes/workgroup (compile time only)
; SGPRBlocks: 0
; VGPRBlocks: 0
; NumSGPRsForWavesPerEU: 1
; NumVGPRsForWavesPerEU: 1
; Occupancy: 16
; WaveLimiterHint : 0
; COMPUTE_PGM_RSRC2:SCRATCH_EN: 0
; COMPUTE_PGM_RSRC2:USER_SGPR: 15
; COMPUTE_PGM_RSRC2:TRAP_HANDLER: 0
; COMPUTE_PGM_RSRC2:TGID_X_EN: 1
; COMPUTE_PGM_RSRC2:TGID_Y_EN: 0
; COMPUTE_PGM_RSRC2:TGID_Z_EN: 0
; COMPUTE_PGM_RSRC2:TIDIG_COMP_CNT: 0
	.section	.text._ZN7rocprim17ROCPRIM_400000_NS6detail17trampoline_kernelINS0_13select_configILj256ELj13ELNS0_17block_load_methodE3ELS4_3ELS4_3ELNS0_20block_scan_algorithmE0ELj4294967295EEENS1_25partition_config_selectorILNS1_17partition_subalgoE3EjNS0_10empty_typeEbEEZZNS1_14partition_implILS8_3ELb0ES6_jNS0_17counting_iteratorIjlEEPS9_SE_NS0_5tupleIJPjSE_EEENSF_IJSE_SE_EEES9_SG_JZNS1_25segmented_radix_sort_implINS0_14default_configELb0EPKfPfPKlPlN2at6native12_GLOBAL__N_18offset_tEEE10hipError_tPvRmT1_PNSt15iterator_traitsISY_E10value_typeET2_T3_PNSZ_IS14_E10value_typeET4_jRbjT5_S1A_jjP12ihipStream_tbEUljE_EEESV_SW_SX_S14_S18_S1A_T6_T7_T9_mT8_S1C_bDpT10_ENKUlT_T0_E_clISt17integral_constantIbLb0EES1O_IbLb1EEEEDaS1K_S1L_EUlS1K_E_NS1_11comp_targetILNS1_3genE2ELNS1_11target_archE906ELNS1_3gpuE6ELNS1_3repE0EEENS1_30default_config_static_selectorELNS0_4arch9wavefront6targetE0EEEvSY_,"axG",@progbits,_ZN7rocprim17ROCPRIM_400000_NS6detail17trampoline_kernelINS0_13select_configILj256ELj13ELNS0_17block_load_methodE3ELS4_3ELS4_3ELNS0_20block_scan_algorithmE0ELj4294967295EEENS1_25partition_config_selectorILNS1_17partition_subalgoE3EjNS0_10empty_typeEbEEZZNS1_14partition_implILS8_3ELb0ES6_jNS0_17counting_iteratorIjlEEPS9_SE_NS0_5tupleIJPjSE_EEENSF_IJSE_SE_EEES9_SG_JZNS1_25segmented_radix_sort_implINS0_14default_configELb0EPKfPfPKlPlN2at6native12_GLOBAL__N_18offset_tEEE10hipError_tPvRmT1_PNSt15iterator_traitsISY_E10value_typeET2_T3_PNSZ_IS14_E10value_typeET4_jRbjT5_S1A_jjP12ihipStream_tbEUljE_EEESV_SW_SX_S14_S18_S1A_T6_T7_T9_mT8_S1C_bDpT10_ENKUlT_T0_E_clISt17integral_constantIbLb0EES1O_IbLb1EEEEDaS1K_S1L_EUlS1K_E_NS1_11comp_targetILNS1_3genE2ELNS1_11target_archE906ELNS1_3gpuE6ELNS1_3repE0EEENS1_30default_config_static_selectorELNS0_4arch9wavefront6targetE0EEEvSY_,comdat
	.globl	_ZN7rocprim17ROCPRIM_400000_NS6detail17trampoline_kernelINS0_13select_configILj256ELj13ELNS0_17block_load_methodE3ELS4_3ELS4_3ELNS0_20block_scan_algorithmE0ELj4294967295EEENS1_25partition_config_selectorILNS1_17partition_subalgoE3EjNS0_10empty_typeEbEEZZNS1_14partition_implILS8_3ELb0ES6_jNS0_17counting_iteratorIjlEEPS9_SE_NS0_5tupleIJPjSE_EEENSF_IJSE_SE_EEES9_SG_JZNS1_25segmented_radix_sort_implINS0_14default_configELb0EPKfPfPKlPlN2at6native12_GLOBAL__N_18offset_tEEE10hipError_tPvRmT1_PNSt15iterator_traitsISY_E10value_typeET2_T3_PNSZ_IS14_E10value_typeET4_jRbjT5_S1A_jjP12ihipStream_tbEUljE_EEESV_SW_SX_S14_S18_S1A_T6_T7_T9_mT8_S1C_bDpT10_ENKUlT_T0_E_clISt17integral_constantIbLb0EES1O_IbLb1EEEEDaS1K_S1L_EUlS1K_E_NS1_11comp_targetILNS1_3genE2ELNS1_11target_archE906ELNS1_3gpuE6ELNS1_3repE0EEENS1_30default_config_static_selectorELNS0_4arch9wavefront6targetE0EEEvSY_ ; -- Begin function _ZN7rocprim17ROCPRIM_400000_NS6detail17trampoline_kernelINS0_13select_configILj256ELj13ELNS0_17block_load_methodE3ELS4_3ELS4_3ELNS0_20block_scan_algorithmE0ELj4294967295EEENS1_25partition_config_selectorILNS1_17partition_subalgoE3EjNS0_10empty_typeEbEEZZNS1_14partition_implILS8_3ELb0ES6_jNS0_17counting_iteratorIjlEEPS9_SE_NS0_5tupleIJPjSE_EEENSF_IJSE_SE_EEES9_SG_JZNS1_25segmented_radix_sort_implINS0_14default_configELb0EPKfPfPKlPlN2at6native12_GLOBAL__N_18offset_tEEE10hipError_tPvRmT1_PNSt15iterator_traitsISY_E10value_typeET2_T3_PNSZ_IS14_E10value_typeET4_jRbjT5_S1A_jjP12ihipStream_tbEUljE_EEESV_SW_SX_S14_S18_S1A_T6_T7_T9_mT8_S1C_bDpT10_ENKUlT_T0_E_clISt17integral_constantIbLb0EES1O_IbLb1EEEEDaS1K_S1L_EUlS1K_E_NS1_11comp_targetILNS1_3genE2ELNS1_11target_archE906ELNS1_3gpuE6ELNS1_3repE0EEENS1_30default_config_static_selectorELNS0_4arch9wavefront6targetE0EEEvSY_
	.p2align	8
	.type	_ZN7rocprim17ROCPRIM_400000_NS6detail17trampoline_kernelINS0_13select_configILj256ELj13ELNS0_17block_load_methodE3ELS4_3ELS4_3ELNS0_20block_scan_algorithmE0ELj4294967295EEENS1_25partition_config_selectorILNS1_17partition_subalgoE3EjNS0_10empty_typeEbEEZZNS1_14partition_implILS8_3ELb0ES6_jNS0_17counting_iteratorIjlEEPS9_SE_NS0_5tupleIJPjSE_EEENSF_IJSE_SE_EEES9_SG_JZNS1_25segmented_radix_sort_implINS0_14default_configELb0EPKfPfPKlPlN2at6native12_GLOBAL__N_18offset_tEEE10hipError_tPvRmT1_PNSt15iterator_traitsISY_E10value_typeET2_T3_PNSZ_IS14_E10value_typeET4_jRbjT5_S1A_jjP12ihipStream_tbEUljE_EEESV_SW_SX_S14_S18_S1A_T6_T7_T9_mT8_S1C_bDpT10_ENKUlT_T0_E_clISt17integral_constantIbLb0EES1O_IbLb1EEEEDaS1K_S1L_EUlS1K_E_NS1_11comp_targetILNS1_3genE2ELNS1_11target_archE906ELNS1_3gpuE6ELNS1_3repE0EEENS1_30default_config_static_selectorELNS0_4arch9wavefront6targetE0EEEvSY_,@function
_ZN7rocprim17ROCPRIM_400000_NS6detail17trampoline_kernelINS0_13select_configILj256ELj13ELNS0_17block_load_methodE3ELS4_3ELS4_3ELNS0_20block_scan_algorithmE0ELj4294967295EEENS1_25partition_config_selectorILNS1_17partition_subalgoE3EjNS0_10empty_typeEbEEZZNS1_14partition_implILS8_3ELb0ES6_jNS0_17counting_iteratorIjlEEPS9_SE_NS0_5tupleIJPjSE_EEENSF_IJSE_SE_EEES9_SG_JZNS1_25segmented_radix_sort_implINS0_14default_configELb0EPKfPfPKlPlN2at6native12_GLOBAL__N_18offset_tEEE10hipError_tPvRmT1_PNSt15iterator_traitsISY_E10value_typeET2_T3_PNSZ_IS14_E10value_typeET4_jRbjT5_S1A_jjP12ihipStream_tbEUljE_EEESV_SW_SX_S14_S18_S1A_T6_T7_T9_mT8_S1C_bDpT10_ENKUlT_T0_E_clISt17integral_constantIbLb0EES1O_IbLb1EEEEDaS1K_S1L_EUlS1K_E_NS1_11comp_targetILNS1_3genE2ELNS1_11target_archE906ELNS1_3gpuE6ELNS1_3repE0EEENS1_30default_config_static_selectorELNS0_4arch9wavefront6targetE0EEEvSY_: ; @_ZN7rocprim17ROCPRIM_400000_NS6detail17trampoline_kernelINS0_13select_configILj256ELj13ELNS0_17block_load_methodE3ELS4_3ELS4_3ELNS0_20block_scan_algorithmE0ELj4294967295EEENS1_25partition_config_selectorILNS1_17partition_subalgoE3EjNS0_10empty_typeEbEEZZNS1_14partition_implILS8_3ELb0ES6_jNS0_17counting_iteratorIjlEEPS9_SE_NS0_5tupleIJPjSE_EEENSF_IJSE_SE_EEES9_SG_JZNS1_25segmented_radix_sort_implINS0_14default_configELb0EPKfPfPKlPlN2at6native12_GLOBAL__N_18offset_tEEE10hipError_tPvRmT1_PNSt15iterator_traitsISY_E10value_typeET2_T3_PNSZ_IS14_E10value_typeET4_jRbjT5_S1A_jjP12ihipStream_tbEUljE_EEESV_SW_SX_S14_S18_S1A_T6_T7_T9_mT8_S1C_bDpT10_ENKUlT_T0_E_clISt17integral_constantIbLb0EES1O_IbLb1EEEEDaS1K_S1L_EUlS1K_E_NS1_11comp_targetILNS1_3genE2ELNS1_11target_archE906ELNS1_3gpuE6ELNS1_3repE0EEENS1_30default_config_static_selectorELNS0_4arch9wavefront6targetE0EEEvSY_
; %bb.0:
	.section	.rodata,"a",@progbits
	.p2align	6, 0x0
	.amdhsa_kernel _ZN7rocprim17ROCPRIM_400000_NS6detail17trampoline_kernelINS0_13select_configILj256ELj13ELNS0_17block_load_methodE3ELS4_3ELS4_3ELNS0_20block_scan_algorithmE0ELj4294967295EEENS1_25partition_config_selectorILNS1_17partition_subalgoE3EjNS0_10empty_typeEbEEZZNS1_14partition_implILS8_3ELb0ES6_jNS0_17counting_iteratorIjlEEPS9_SE_NS0_5tupleIJPjSE_EEENSF_IJSE_SE_EEES9_SG_JZNS1_25segmented_radix_sort_implINS0_14default_configELb0EPKfPfPKlPlN2at6native12_GLOBAL__N_18offset_tEEE10hipError_tPvRmT1_PNSt15iterator_traitsISY_E10value_typeET2_T3_PNSZ_IS14_E10value_typeET4_jRbjT5_S1A_jjP12ihipStream_tbEUljE_EEESV_SW_SX_S14_S18_S1A_T6_T7_T9_mT8_S1C_bDpT10_ENKUlT_T0_E_clISt17integral_constantIbLb0EES1O_IbLb1EEEEDaS1K_S1L_EUlS1K_E_NS1_11comp_targetILNS1_3genE2ELNS1_11target_archE906ELNS1_3gpuE6ELNS1_3repE0EEENS1_30default_config_static_selectorELNS0_4arch9wavefront6targetE0EEEvSY_
		.amdhsa_group_segment_fixed_size 0
		.amdhsa_private_segment_fixed_size 0
		.amdhsa_kernarg_size 152
		.amdhsa_user_sgpr_count 15
		.amdhsa_user_sgpr_dispatch_ptr 0
		.amdhsa_user_sgpr_queue_ptr 0
		.amdhsa_user_sgpr_kernarg_segment_ptr 1
		.amdhsa_user_sgpr_dispatch_id 0
		.amdhsa_user_sgpr_private_segment_size 0
		.amdhsa_wavefront_size32 1
		.amdhsa_uses_dynamic_stack 0
		.amdhsa_enable_private_segment 0
		.amdhsa_system_sgpr_workgroup_id_x 1
		.amdhsa_system_sgpr_workgroup_id_y 0
		.amdhsa_system_sgpr_workgroup_id_z 0
		.amdhsa_system_sgpr_workgroup_info 0
		.amdhsa_system_vgpr_workitem_id 0
		.amdhsa_next_free_vgpr 1
		.amdhsa_next_free_sgpr 1
		.amdhsa_reserve_vcc 0
		.amdhsa_float_round_mode_32 0
		.amdhsa_float_round_mode_16_64 0
		.amdhsa_float_denorm_mode_32 3
		.amdhsa_float_denorm_mode_16_64 3
		.amdhsa_dx10_clamp 1
		.amdhsa_ieee_mode 1
		.amdhsa_fp16_overflow 0
		.amdhsa_workgroup_processor_mode 1
		.amdhsa_memory_ordered 1
		.amdhsa_forward_progress 0
		.amdhsa_shared_vgpr_count 0
		.amdhsa_exception_fp_ieee_invalid_op 0
		.amdhsa_exception_fp_denorm_src 0
		.amdhsa_exception_fp_ieee_div_zero 0
		.amdhsa_exception_fp_ieee_overflow 0
		.amdhsa_exception_fp_ieee_underflow 0
		.amdhsa_exception_fp_ieee_inexact 0
		.amdhsa_exception_int_div_zero 0
	.end_amdhsa_kernel
	.section	.text._ZN7rocprim17ROCPRIM_400000_NS6detail17trampoline_kernelINS0_13select_configILj256ELj13ELNS0_17block_load_methodE3ELS4_3ELS4_3ELNS0_20block_scan_algorithmE0ELj4294967295EEENS1_25partition_config_selectorILNS1_17partition_subalgoE3EjNS0_10empty_typeEbEEZZNS1_14partition_implILS8_3ELb0ES6_jNS0_17counting_iteratorIjlEEPS9_SE_NS0_5tupleIJPjSE_EEENSF_IJSE_SE_EEES9_SG_JZNS1_25segmented_radix_sort_implINS0_14default_configELb0EPKfPfPKlPlN2at6native12_GLOBAL__N_18offset_tEEE10hipError_tPvRmT1_PNSt15iterator_traitsISY_E10value_typeET2_T3_PNSZ_IS14_E10value_typeET4_jRbjT5_S1A_jjP12ihipStream_tbEUljE_EEESV_SW_SX_S14_S18_S1A_T6_T7_T9_mT8_S1C_bDpT10_ENKUlT_T0_E_clISt17integral_constantIbLb0EES1O_IbLb1EEEEDaS1K_S1L_EUlS1K_E_NS1_11comp_targetILNS1_3genE2ELNS1_11target_archE906ELNS1_3gpuE6ELNS1_3repE0EEENS1_30default_config_static_selectorELNS0_4arch9wavefront6targetE0EEEvSY_,"axG",@progbits,_ZN7rocprim17ROCPRIM_400000_NS6detail17trampoline_kernelINS0_13select_configILj256ELj13ELNS0_17block_load_methodE3ELS4_3ELS4_3ELNS0_20block_scan_algorithmE0ELj4294967295EEENS1_25partition_config_selectorILNS1_17partition_subalgoE3EjNS0_10empty_typeEbEEZZNS1_14partition_implILS8_3ELb0ES6_jNS0_17counting_iteratorIjlEEPS9_SE_NS0_5tupleIJPjSE_EEENSF_IJSE_SE_EEES9_SG_JZNS1_25segmented_radix_sort_implINS0_14default_configELb0EPKfPfPKlPlN2at6native12_GLOBAL__N_18offset_tEEE10hipError_tPvRmT1_PNSt15iterator_traitsISY_E10value_typeET2_T3_PNSZ_IS14_E10value_typeET4_jRbjT5_S1A_jjP12ihipStream_tbEUljE_EEESV_SW_SX_S14_S18_S1A_T6_T7_T9_mT8_S1C_bDpT10_ENKUlT_T0_E_clISt17integral_constantIbLb0EES1O_IbLb1EEEEDaS1K_S1L_EUlS1K_E_NS1_11comp_targetILNS1_3genE2ELNS1_11target_archE906ELNS1_3gpuE6ELNS1_3repE0EEENS1_30default_config_static_selectorELNS0_4arch9wavefront6targetE0EEEvSY_,comdat
.Lfunc_end1424:
	.size	_ZN7rocprim17ROCPRIM_400000_NS6detail17trampoline_kernelINS0_13select_configILj256ELj13ELNS0_17block_load_methodE3ELS4_3ELS4_3ELNS0_20block_scan_algorithmE0ELj4294967295EEENS1_25partition_config_selectorILNS1_17partition_subalgoE3EjNS0_10empty_typeEbEEZZNS1_14partition_implILS8_3ELb0ES6_jNS0_17counting_iteratorIjlEEPS9_SE_NS0_5tupleIJPjSE_EEENSF_IJSE_SE_EEES9_SG_JZNS1_25segmented_radix_sort_implINS0_14default_configELb0EPKfPfPKlPlN2at6native12_GLOBAL__N_18offset_tEEE10hipError_tPvRmT1_PNSt15iterator_traitsISY_E10value_typeET2_T3_PNSZ_IS14_E10value_typeET4_jRbjT5_S1A_jjP12ihipStream_tbEUljE_EEESV_SW_SX_S14_S18_S1A_T6_T7_T9_mT8_S1C_bDpT10_ENKUlT_T0_E_clISt17integral_constantIbLb0EES1O_IbLb1EEEEDaS1K_S1L_EUlS1K_E_NS1_11comp_targetILNS1_3genE2ELNS1_11target_archE906ELNS1_3gpuE6ELNS1_3repE0EEENS1_30default_config_static_selectorELNS0_4arch9wavefront6targetE0EEEvSY_, .Lfunc_end1424-_ZN7rocprim17ROCPRIM_400000_NS6detail17trampoline_kernelINS0_13select_configILj256ELj13ELNS0_17block_load_methodE3ELS4_3ELS4_3ELNS0_20block_scan_algorithmE0ELj4294967295EEENS1_25partition_config_selectorILNS1_17partition_subalgoE3EjNS0_10empty_typeEbEEZZNS1_14partition_implILS8_3ELb0ES6_jNS0_17counting_iteratorIjlEEPS9_SE_NS0_5tupleIJPjSE_EEENSF_IJSE_SE_EEES9_SG_JZNS1_25segmented_radix_sort_implINS0_14default_configELb0EPKfPfPKlPlN2at6native12_GLOBAL__N_18offset_tEEE10hipError_tPvRmT1_PNSt15iterator_traitsISY_E10value_typeET2_T3_PNSZ_IS14_E10value_typeET4_jRbjT5_S1A_jjP12ihipStream_tbEUljE_EEESV_SW_SX_S14_S18_S1A_T6_T7_T9_mT8_S1C_bDpT10_ENKUlT_T0_E_clISt17integral_constantIbLb0EES1O_IbLb1EEEEDaS1K_S1L_EUlS1K_E_NS1_11comp_targetILNS1_3genE2ELNS1_11target_archE906ELNS1_3gpuE6ELNS1_3repE0EEENS1_30default_config_static_selectorELNS0_4arch9wavefront6targetE0EEEvSY_
                                        ; -- End function
	.section	.AMDGPU.csdata,"",@progbits
; Kernel info:
; codeLenInByte = 0
; NumSgprs: 0
; NumVgprs: 0
; ScratchSize: 0
; MemoryBound: 0
; FloatMode: 240
; IeeeMode: 1
; LDSByteSize: 0 bytes/workgroup (compile time only)
; SGPRBlocks: 0
; VGPRBlocks: 0
; NumSGPRsForWavesPerEU: 1
; NumVGPRsForWavesPerEU: 1
; Occupancy: 16
; WaveLimiterHint : 0
; COMPUTE_PGM_RSRC2:SCRATCH_EN: 0
; COMPUTE_PGM_RSRC2:USER_SGPR: 15
; COMPUTE_PGM_RSRC2:TRAP_HANDLER: 0
; COMPUTE_PGM_RSRC2:TGID_X_EN: 1
; COMPUTE_PGM_RSRC2:TGID_Y_EN: 0
; COMPUTE_PGM_RSRC2:TGID_Z_EN: 0
; COMPUTE_PGM_RSRC2:TIDIG_COMP_CNT: 0
	.section	.text._ZN7rocprim17ROCPRIM_400000_NS6detail17trampoline_kernelINS0_13select_configILj256ELj13ELNS0_17block_load_methodE3ELS4_3ELS4_3ELNS0_20block_scan_algorithmE0ELj4294967295EEENS1_25partition_config_selectorILNS1_17partition_subalgoE3EjNS0_10empty_typeEbEEZZNS1_14partition_implILS8_3ELb0ES6_jNS0_17counting_iteratorIjlEEPS9_SE_NS0_5tupleIJPjSE_EEENSF_IJSE_SE_EEES9_SG_JZNS1_25segmented_radix_sort_implINS0_14default_configELb0EPKfPfPKlPlN2at6native12_GLOBAL__N_18offset_tEEE10hipError_tPvRmT1_PNSt15iterator_traitsISY_E10value_typeET2_T3_PNSZ_IS14_E10value_typeET4_jRbjT5_S1A_jjP12ihipStream_tbEUljE_EEESV_SW_SX_S14_S18_S1A_T6_T7_T9_mT8_S1C_bDpT10_ENKUlT_T0_E_clISt17integral_constantIbLb0EES1O_IbLb1EEEEDaS1K_S1L_EUlS1K_E_NS1_11comp_targetILNS1_3genE10ELNS1_11target_archE1200ELNS1_3gpuE4ELNS1_3repE0EEENS1_30default_config_static_selectorELNS0_4arch9wavefront6targetE0EEEvSY_,"axG",@progbits,_ZN7rocprim17ROCPRIM_400000_NS6detail17trampoline_kernelINS0_13select_configILj256ELj13ELNS0_17block_load_methodE3ELS4_3ELS4_3ELNS0_20block_scan_algorithmE0ELj4294967295EEENS1_25partition_config_selectorILNS1_17partition_subalgoE3EjNS0_10empty_typeEbEEZZNS1_14partition_implILS8_3ELb0ES6_jNS0_17counting_iteratorIjlEEPS9_SE_NS0_5tupleIJPjSE_EEENSF_IJSE_SE_EEES9_SG_JZNS1_25segmented_radix_sort_implINS0_14default_configELb0EPKfPfPKlPlN2at6native12_GLOBAL__N_18offset_tEEE10hipError_tPvRmT1_PNSt15iterator_traitsISY_E10value_typeET2_T3_PNSZ_IS14_E10value_typeET4_jRbjT5_S1A_jjP12ihipStream_tbEUljE_EEESV_SW_SX_S14_S18_S1A_T6_T7_T9_mT8_S1C_bDpT10_ENKUlT_T0_E_clISt17integral_constantIbLb0EES1O_IbLb1EEEEDaS1K_S1L_EUlS1K_E_NS1_11comp_targetILNS1_3genE10ELNS1_11target_archE1200ELNS1_3gpuE4ELNS1_3repE0EEENS1_30default_config_static_selectorELNS0_4arch9wavefront6targetE0EEEvSY_,comdat
	.globl	_ZN7rocprim17ROCPRIM_400000_NS6detail17trampoline_kernelINS0_13select_configILj256ELj13ELNS0_17block_load_methodE3ELS4_3ELS4_3ELNS0_20block_scan_algorithmE0ELj4294967295EEENS1_25partition_config_selectorILNS1_17partition_subalgoE3EjNS0_10empty_typeEbEEZZNS1_14partition_implILS8_3ELb0ES6_jNS0_17counting_iteratorIjlEEPS9_SE_NS0_5tupleIJPjSE_EEENSF_IJSE_SE_EEES9_SG_JZNS1_25segmented_radix_sort_implINS0_14default_configELb0EPKfPfPKlPlN2at6native12_GLOBAL__N_18offset_tEEE10hipError_tPvRmT1_PNSt15iterator_traitsISY_E10value_typeET2_T3_PNSZ_IS14_E10value_typeET4_jRbjT5_S1A_jjP12ihipStream_tbEUljE_EEESV_SW_SX_S14_S18_S1A_T6_T7_T9_mT8_S1C_bDpT10_ENKUlT_T0_E_clISt17integral_constantIbLb0EES1O_IbLb1EEEEDaS1K_S1L_EUlS1K_E_NS1_11comp_targetILNS1_3genE10ELNS1_11target_archE1200ELNS1_3gpuE4ELNS1_3repE0EEENS1_30default_config_static_selectorELNS0_4arch9wavefront6targetE0EEEvSY_ ; -- Begin function _ZN7rocprim17ROCPRIM_400000_NS6detail17trampoline_kernelINS0_13select_configILj256ELj13ELNS0_17block_load_methodE3ELS4_3ELS4_3ELNS0_20block_scan_algorithmE0ELj4294967295EEENS1_25partition_config_selectorILNS1_17partition_subalgoE3EjNS0_10empty_typeEbEEZZNS1_14partition_implILS8_3ELb0ES6_jNS0_17counting_iteratorIjlEEPS9_SE_NS0_5tupleIJPjSE_EEENSF_IJSE_SE_EEES9_SG_JZNS1_25segmented_radix_sort_implINS0_14default_configELb0EPKfPfPKlPlN2at6native12_GLOBAL__N_18offset_tEEE10hipError_tPvRmT1_PNSt15iterator_traitsISY_E10value_typeET2_T3_PNSZ_IS14_E10value_typeET4_jRbjT5_S1A_jjP12ihipStream_tbEUljE_EEESV_SW_SX_S14_S18_S1A_T6_T7_T9_mT8_S1C_bDpT10_ENKUlT_T0_E_clISt17integral_constantIbLb0EES1O_IbLb1EEEEDaS1K_S1L_EUlS1K_E_NS1_11comp_targetILNS1_3genE10ELNS1_11target_archE1200ELNS1_3gpuE4ELNS1_3repE0EEENS1_30default_config_static_selectorELNS0_4arch9wavefront6targetE0EEEvSY_
	.p2align	8
	.type	_ZN7rocprim17ROCPRIM_400000_NS6detail17trampoline_kernelINS0_13select_configILj256ELj13ELNS0_17block_load_methodE3ELS4_3ELS4_3ELNS0_20block_scan_algorithmE0ELj4294967295EEENS1_25partition_config_selectorILNS1_17partition_subalgoE3EjNS0_10empty_typeEbEEZZNS1_14partition_implILS8_3ELb0ES6_jNS0_17counting_iteratorIjlEEPS9_SE_NS0_5tupleIJPjSE_EEENSF_IJSE_SE_EEES9_SG_JZNS1_25segmented_radix_sort_implINS0_14default_configELb0EPKfPfPKlPlN2at6native12_GLOBAL__N_18offset_tEEE10hipError_tPvRmT1_PNSt15iterator_traitsISY_E10value_typeET2_T3_PNSZ_IS14_E10value_typeET4_jRbjT5_S1A_jjP12ihipStream_tbEUljE_EEESV_SW_SX_S14_S18_S1A_T6_T7_T9_mT8_S1C_bDpT10_ENKUlT_T0_E_clISt17integral_constantIbLb0EES1O_IbLb1EEEEDaS1K_S1L_EUlS1K_E_NS1_11comp_targetILNS1_3genE10ELNS1_11target_archE1200ELNS1_3gpuE4ELNS1_3repE0EEENS1_30default_config_static_selectorELNS0_4arch9wavefront6targetE0EEEvSY_,@function
_ZN7rocprim17ROCPRIM_400000_NS6detail17trampoline_kernelINS0_13select_configILj256ELj13ELNS0_17block_load_methodE3ELS4_3ELS4_3ELNS0_20block_scan_algorithmE0ELj4294967295EEENS1_25partition_config_selectorILNS1_17partition_subalgoE3EjNS0_10empty_typeEbEEZZNS1_14partition_implILS8_3ELb0ES6_jNS0_17counting_iteratorIjlEEPS9_SE_NS0_5tupleIJPjSE_EEENSF_IJSE_SE_EEES9_SG_JZNS1_25segmented_radix_sort_implINS0_14default_configELb0EPKfPfPKlPlN2at6native12_GLOBAL__N_18offset_tEEE10hipError_tPvRmT1_PNSt15iterator_traitsISY_E10value_typeET2_T3_PNSZ_IS14_E10value_typeET4_jRbjT5_S1A_jjP12ihipStream_tbEUljE_EEESV_SW_SX_S14_S18_S1A_T6_T7_T9_mT8_S1C_bDpT10_ENKUlT_T0_E_clISt17integral_constantIbLb0EES1O_IbLb1EEEEDaS1K_S1L_EUlS1K_E_NS1_11comp_targetILNS1_3genE10ELNS1_11target_archE1200ELNS1_3gpuE4ELNS1_3repE0EEENS1_30default_config_static_selectorELNS0_4arch9wavefront6targetE0EEEvSY_: ; @_ZN7rocprim17ROCPRIM_400000_NS6detail17trampoline_kernelINS0_13select_configILj256ELj13ELNS0_17block_load_methodE3ELS4_3ELS4_3ELNS0_20block_scan_algorithmE0ELj4294967295EEENS1_25partition_config_selectorILNS1_17partition_subalgoE3EjNS0_10empty_typeEbEEZZNS1_14partition_implILS8_3ELb0ES6_jNS0_17counting_iteratorIjlEEPS9_SE_NS0_5tupleIJPjSE_EEENSF_IJSE_SE_EEES9_SG_JZNS1_25segmented_radix_sort_implINS0_14default_configELb0EPKfPfPKlPlN2at6native12_GLOBAL__N_18offset_tEEE10hipError_tPvRmT1_PNSt15iterator_traitsISY_E10value_typeET2_T3_PNSZ_IS14_E10value_typeET4_jRbjT5_S1A_jjP12ihipStream_tbEUljE_EEESV_SW_SX_S14_S18_S1A_T6_T7_T9_mT8_S1C_bDpT10_ENKUlT_T0_E_clISt17integral_constantIbLb0EES1O_IbLb1EEEEDaS1K_S1L_EUlS1K_E_NS1_11comp_targetILNS1_3genE10ELNS1_11target_archE1200ELNS1_3gpuE4ELNS1_3repE0EEENS1_30default_config_static_selectorELNS0_4arch9wavefront6targetE0EEEvSY_
; %bb.0:
	.section	.rodata,"a",@progbits
	.p2align	6, 0x0
	.amdhsa_kernel _ZN7rocprim17ROCPRIM_400000_NS6detail17trampoline_kernelINS0_13select_configILj256ELj13ELNS0_17block_load_methodE3ELS4_3ELS4_3ELNS0_20block_scan_algorithmE0ELj4294967295EEENS1_25partition_config_selectorILNS1_17partition_subalgoE3EjNS0_10empty_typeEbEEZZNS1_14partition_implILS8_3ELb0ES6_jNS0_17counting_iteratorIjlEEPS9_SE_NS0_5tupleIJPjSE_EEENSF_IJSE_SE_EEES9_SG_JZNS1_25segmented_radix_sort_implINS0_14default_configELb0EPKfPfPKlPlN2at6native12_GLOBAL__N_18offset_tEEE10hipError_tPvRmT1_PNSt15iterator_traitsISY_E10value_typeET2_T3_PNSZ_IS14_E10value_typeET4_jRbjT5_S1A_jjP12ihipStream_tbEUljE_EEESV_SW_SX_S14_S18_S1A_T6_T7_T9_mT8_S1C_bDpT10_ENKUlT_T0_E_clISt17integral_constantIbLb0EES1O_IbLb1EEEEDaS1K_S1L_EUlS1K_E_NS1_11comp_targetILNS1_3genE10ELNS1_11target_archE1200ELNS1_3gpuE4ELNS1_3repE0EEENS1_30default_config_static_selectorELNS0_4arch9wavefront6targetE0EEEvSY_
		.amdhsa_group_segment_fixed_size 0
		.amdhsa_private_segment_fixed_size 0
		.amdhsa_kernarg_size 152
		.amdhsa_user_sgpr_count 15
		.amdhsa_user_sgpr_dispatch_ptr 0
		.amdhsa_user_sgpr_queue_ptr 0
		.amdhsa_user_sgpr_kernarg_segment_ptr 1
		.amdhsa_user_sgpr_dispatch_id 0
		.amdhsa_user_sgpr_private_segment_size 0
		.amdhsa_wavefront_size32 1
		.amdhsa_uses_dynamic_stack 0
		.amdhsa_enable_private_segment 0
		.amdhsa_system_sgpr_workgroup_id_x 1
		.amdhsa_system_sgpr_workgroup_id_y 0
		.amdhsa_system_sgpr_workgroup_id_z 0
		.amdhsa_system_sgpr_workgroup_info 0
		.amdhsa_system_vgpr_workitem_id 0
		.amdhsa_next_free_vgpr 1
		.amdhsa_next_free_sgpr 1
		.amdhsa_reserve_vcc 0
		.amdhsa_float_round_mode_32 0
		.amdhsa_float_round_mode_16_64 0
		.amdhsa_float_denorm_mode_32 3
		.amdhsa_float_denorm_mode_16_64 3
		.amdhsa_dx10_clamp 1
		.amdhsa_ieee_mode 1
		.amdhsa_fp16_overflow 0
		.amdhsa_workgroup_processor_mode 1
		.amdhsa_memory_ordered 1
		.amdhsa_forward_progress 0
		.amdhsa_shared_vgpr_count 0
		.amdhsa_exception_fp_ieee_invalid_op 0
		.amdhsa_exception_fp_denorm_src 0
		.amdhsa_exception_fp_ieee_div_zero 0
		.amdhsa_exception_fp_ieee_overflow 0
		.amdhsa_exception_fp_ieee_underflow 0
		.amdhsa_exception_fp_ieee_inexact 0
		.amdhsa_exception_int_div_zero 0
	.end_amdhsa_kernel
	.section	.text._ZN7rocprim17ROCPRIM_400000_NS6detail17trampoline_kernelINS0_13select_configILj256ELj13ELNS0_17block_load_methodE3ELS4_3ELS4_3ELNS0_20block_scan_algorithmE0ELj4294967295EEENS1_25partition_config_selectorILNS1_17partition_subalgoE3EjNS0_10empty_typeEbEEZZNS1_14partition_implILS8_3ELb0ES6_jNS0_17counting_iteratorIjlEEPS9_SE_NS0_5tupleIJPjSE_EEENSF_IJSE_SE_EEES9_SG_JZNS1_25segmented_radix_sort_implINS0_14default_configELb0EPKfPfPKlPlN2at6native12_GLOBAL__N_18offset_tEEE10hipError_tPvRmT1_PNSt15iterator_traitsISY_E10value_typeET2_T3_PNSZ_IS14_E10value_typeET4_jRbjT5_S1A_jjP12ihipStream_tbEUljE_EEESV_SW_SX_S14_S18_S1A_T6_T7_T9_mT8_S1C_bDpT10_ENKUlT_T0_E_clISt17integral_constantIbLb0EES1O_IbLb1EEEEDaS1K_S1L_EUlS1K_E_NS1_11comp_targetILNS1_3genE10ELNS1_11target_archE1200ELNS1_3gpuE4ELNS1_3repE0EEENS1_30default_config_static_selectorELNS0_4arch9wavefront6targetE0EEEvSY_,"axG",@progbits,_ZN7rocprim17ROCPRIM_400000_NS6detail17trampoline_kernelINS0_13select_configILj256ELj13ELNS0_17block_load_methodE3ELS4_3ELS4_3ELNS0_20block_scan_algorithmE0ELj4294967295EEENS1_25partition_config_selectorILNS1_17partition_subalgoE3EjNS0_10empty_typeEbEEZZNS1_14partition_implILS8_3ELb0ES6_jNS0_17counting_iteratorIjlEEPS9_SE_NS0_5tupleIJPjSE_EEENSF_IJSE_SE_EEES9_SG_JZNS1_25segmented_radix_sort_implINS0_14default_configELb0EPKfPfPKlPlN2at6native12_GLOBAL__N_18offset_tEEE10hipError_tPvRmT1_PNSt15iterator_traitsISY_E10value_typeET2_T3_PNSZ_IS14_E10value_typeET4_jRbjT5_S1A_jjP12ihipStream_tbEUljE_EEESV_SW_SX_S14_S18_S1A_T6_T7_T9_mT8_S1C_bDpT10_ENKUlT_T0_E_clISt17integral_constantIbLb0EES1O_IbLb1EEEEDaS1K_S1L_EUlS1K_E_NS1_11comp_targetILNS1_3genE10ELNS1_11target_archE1200ELNS1_3gpuE4ELNS1_3repE0EEENS1_30default_config_static_selectorELNS0_4arch9wavefront6targetE0EEEvSY_,comdat
.Lfunc_end1425:
	.size	_ZN7rocprim17ROCPRIM_400000_NS6detail17trampoline_kernelINS0_13select_configILj256ELj13ELNS0_17block_load_methodE3ELS4_3ELS4_3ELNS0_20block_scan_algorithmE0ELj4294967295EEENS1_25partition_config_selectorILNS1_17partition_subalgoE3EjNS0_10empty_typeEbEEZZNS1_14partition_implILS8_3ELb0ES6_jNS0_17counting_iteratorIjlEEPS9_SE_NS0_5tupleIJPjSE_EEENSF_IJSE_SE_EEES9_SG_JZNS1_25segmented_radix_sort_implINS0_14default_configELb0EPKfPfPKlPlN2at6native12_GLOBAL__N_18offset_tEEE10hipError_tPvRmT1_PNSt15iterator_traitsISY_E10value_typeET2_T3_PNSZ_IS14_E10value_typeET4_jRbjT5_S1A_jjP12ihipStream_tbEUljE_EEESV_SW_SX_S14_S18_S1A_T6_T7_T9_mT8_S1C_bDpT10_ENKUlT_T0_E_clISt17integral_constantIbLb0EES1O_IbLb1EEEEDaS1K_S1L_EUlS1K_E_NS1_11comp_targetILNS1_3genE10ELNS1_11target_archE1200ELNS1_3gpuE4ELNS1_3repE0EEENS1_30default_config_static_selectorELNS0_4arch9wavefront6targetE0EEEvSY_, .Lfunc_end1425-_ZN7rocprim17ROCPRIM_400000_NS6detail17trampoline_kernelINS0_13select_configILj256ELj13ELNS0_17block_load_methodE3ELS4_3ELS4_3ELNS0_20block_scan_algorithmE0ELj4294967295EEENS1_25partition_config_selectorILNS1_17partition_subalgoE3EjNS0_10empty_typeEbEEZZNS1_14partition_implILS8_3ELb0ES6_jNS0_17counting_iteratorIjlEEPS9_SE_NS0_5tupleIJPjSE_EEENSF_IJSE_SE_EEES9_SG_JZNS1_25segmented_radix_sort_implINS0_14default_configELb0EPKfPfPKlPlN2at6native12_GLOBAL__N_18offset_tEEE10hipError_tPvRmT1_PNSt15iterator_traitsISY_E10value_typeET2_T3_PNSZ_IS14_E10value_typeET4_jRbjT5_S1A_jjP12ihipStream_tbEUljE_EEESV_SW_SX_S14_S18_S1A_T6_T7_T9_mT8_S1C_bDpT10_ENKUlT_T0_E_clISt17integral_constantIbLb0EES1O_IbLb1EEEEDaS1K_S1L_EUlS1K_E_NS1_11comp_targetILNS1_3genE10ELNS1_11target_archE1200ELNS1_3gpuE4ELNS1_3repE0EEENS1_30default_config_static_selectorELNS0_4arch9wavefront6targetE0EEEvSY_
                                        ; -- End function
	.section	.AMDGPU.csdata,"",@progbits
; Kernel info:
; codeLenInByte = 0
; NumSgprs: 0
; NumVgprs: 0
; ScratchSize: 0
; MemoryBound: 0
; FloatMode: 240
; IeeeMode: 1
; LDSByteSize: 0 bytes/workgroup (compile time only)
; SGPRBlocks: 0
; VGPRBlocks: 0
; NumSGPRsForWavesPerEU: 1
; NumVGPRsForWavesPerEU: 1
; Occupancy: 16
; WaveLimiterHint : 0
; COMPUTE_PGM_RSRC2:SCRATCH_EN: 0
; COMPUTE_PGM_RSRC2:USER_SGPR: 15
; COMPUTE_PGM_RSRC2:TRAP_HANDLER: 0
; COMPUTE_PGM_RSRC2:TGID_X_EN: 1
; COMPUTE_PGM_RSRC2:TGID_Y_EN: 0
; COMPUTE_PGM_RSRC2:TGID_Z_EN: 0
; COMPUTE_PGM_RSRC2:TIDIG_COMP_CNT: 0
	.section	.text._ZN7rocprim17ROCPRIM_400000_NS6detail17trampoline_kernelINS0_13select_configILj256ELj13ELNS0_17block_load_methodE3ELS4_3ELS4_3ELNS0_20block_scan_algorithmE0ELj4294967295EEENS1_25partition_config_selectorILNS1_17partition_subalgoE3EjNS0_10empty_typeEbEEZZNS1_14partition_implILS8_3ELb0ES6_jNS0_17counting_iteratorIjlEEPS9_SE_NS0_5tupleIJPjSE_EEENSF_IJSE_SE_EEES9_SG_JZNS1_25segmented_radix_sort_implINS0_14default_configELb0EPKfPfPKlPlN2at6native12_GLOBAL__N_18offset_tEEE10hipError_tPvRmT1_PNSt15iterator_traitsISY_E10value_typeET2_T3_PNSZ_IS14_E10value_typeET4_jRbjT5_S1A_jjP12ihipStream_tbEUljE_EEESV_SW_SX_S14_S18_S1A_T6_T7_T9_mT8_S1C_bDpT10_ENKUlT_T0_E_clISt17integral_constantIbLb0EES1O_IbLb1EEEEDaS1K_S1L_EUlS1K_E_NS1_11comp_targetILNS1_3genE9ELNS1_11target_archE1100ELNS1_3gpuE3ELNS1_3repE0EEENS1_30default_config_static_selectorELNS0_4arch9wavefront6targetE0EEEvSY_,"axG",@progbits,_ZN7rocprim17ROCPRIM_400000_NS6detail17trampoline_kernelINS0_13select_configILj256ELj13ELNS0_17block_load_methodE3ELS4_3ELS4_3ELNS0_20block_scan_algorithmE0ELj4294967295EEENS1_25partition_config_selectorILNS1_17partition_subalgoE3EjNS0_10empty_typeEbEEZZNS1_14partition_implILS8_3ELb0ES6_jNS0_17counting_iteratorIjlEEPS9_SE_NS0_5tupleIJPjSE_EEENSF_IJSE_SE_EEES9_SG_JZNS1_25segmented_radix_sort_implINS0_14default_configELb0EPKfPfPKlPlN2at6native12_GLOBAL__N_18offset_tEEE10hipError_tPvRmT1_PNSt15iterator_traitsISY_E10value_typeET2_T3_PNSZ_IS14_E10value_typeET4_jRbjT5_S1A_jjP12ihipStream_tbEUljE_EEESV_SW_SX_S14_S18_S1A_T6_T7_T9_mT8_S1C_bDpT10_ENKUlT_T0_E_clISt17integral_constantIbLb0EES1O_IbLb1EEEEDaS1K_S1L_EUlS1K_E_NS1_11comp_targetILNS1_3genE9ELNS1_11target_archE1100ELNS1_3gpuE3ELNS1_3repE0EEENS1_30default_config_static_selectorELNS0_4arch9wavefront6targetE0EEEvSY_,comdat
	.globl	_ZN7rocprim17ROCPRIM_400000_NS6detail17trampoline_kernelINS0_13select_configILj256ELj13ELNS0_17block_load_methodE3ELS4_3ELS4_3ELNS0_20block_scan_algorithmE0ELj4294967295EEENS1_25partition_config_selectorILNS1_17partition_subalgoE3EjNS0_10empty_typeEbEEZZNS1_14partition_implILS8_3ELb0ES6_jNS0_17counting_iteratorIjlEEPS9_SE_NS0_5tupleIJPjSE_EEENSF_IJSE_SE_EEES9_SG_JZNS1_25segmented_radix_sort_implINS0_14default_configELb0EPKfPfPKlPlN2at6native12_GLOBAL__N_18offset_tEEE10hipError_tPvRmT1_PNSt15iterator_traitsISY_E10value_typeET2_T3_PNSZ_IS14_E10value_typeET4_jRbjT5_S1A_jjP12ihipStream_tbEUljE_EEESV_SW_SX_S14_S18_S1A_T6_T7_T9_mT8_S1C_bDpT10_ENKUlT_T0_E_clISt17integral_constantIbLb0EES1O_IbLb1EEEEDaS1K_S1L_EUlS1K_E_NS1_11comp_targetILNS1_3genE9ELNS1_11target_archE1100ELNS1_3gpuE3ELNS1_3repE0EEENS1_30default_config_static_selectorELNS0_4arch9wavefront6targetE0EEEvSY_ ; -- Begin function _ZN7rocprim17ROCPRIM_400000_NS6detail17trampoline_kernelINS0_13select_configILj256ELj13ELNS0_17block_load_methodE3ELS4_3ELS4_3ELNS0_20block_scan_algorithmE0ELj4294967295EEENS1_25partition_config_selectorILNS1_17partition_subalgoE3EjNS0_10empty_typeEbEEZZNS1_14partition_implILS8_3ELb0ES6_jNS0_17counting_iteratorIjlEEPS9_SE_NS0_5tupleIJPjSE_EEENSF_IJSE_SE_EEES9_SG_JZNS1_25segmented_radix_sort_implINS0_14default_configELb0EPKfPfPKlPlN2at6native12_GLOBAL__N_18offset_tEEE10hipError_tPvRmT1_PNSt15iterator_traitsISY_E10value_typeET2_T3_PNSZ_IS14_E10value_typeET4_jRbjT5_S1A_jjP12ihipStream_tbEUljE_EEESV_SW_SX_S14_S18_S1A_T6_T7_T9_mT8_S1C_bDpT10_ENKUlT_T0_E_clISt17integral_constantIbLb0EES1O_IbLb1EEEEDaS1K_S1L_EUlS1K_E_NS1_11comp_targetILNS1_3genE9ELNS1_11target_archE1100ELNS1_3gpuE3ELNS1_3repE0EEENS1_30default_config_static_selectorELNS0_4arch9wavefront6targetE0EEEvSY_
	.p2align	8
	.type	_ZN7rocprim17ROCPRIM_400000_NS6detail17trampoline_kernelINS0_13select_configILj256ELj13ELNS0_17block_load_methodE3ELS4_3ELS4_3ELNS0_20block_scan_algorithmE0ELj4294967295EEENS1_25partition_config_selectorILNS1_17partition_subalgoE3EjNS0_10empty_typeEbEEZZNS1_14partition_implILS8_3ELb0ES6_jNS0_17counting_iteratorIjlEEPS9_SE_NS0_5tupleIJPjSE_EEENSF_IJSE_SE_EEES9_SG_JZNS1_25segmented_radix_sort_implINS0_14default_configELb0EPKfPfPKlPlN2at6native12_GLOBAL__N_18offset_tEEE10hipError_tPvRmT1_PNSt15iterator_traitsISY_E10value_typeET2_T3_PNSZ_IS14_E10value_typeET4_jRbjT5_S1A_jjP12ihipStream_tbEUljE_EEESV_SW_SX_S14_S18_S1A_T6_T7_T9_mT8_S1C_bDpT10_ENKUlT_T0_E_clISt17integral_constantIbLb0EES1O_IbLb1EEEEDaS1K_S1L_EUlS1K_E_NS1_11comp_targetILNS1_3genE9ELNS1_11target_archE1100ELNS1_3gpuE3ELNS1_3repE0EEENS1_30default_config_static_selectorELNS0_4arch9wavefront6targetE0EEEvSY_,@function
_ZN7rocprim17ROCPRIM_400000_NS6detail17trampoline_kernelINS0_13select_configILj256ELj13ELNS0_17block_load_methodE3ELS4_3ELS4_3ELNS0_20block_scan_algorithmE0ELj4294967295EEENS1_25partition_config_selectorILNS1_17partition_subalgoE3EjNS0_10empty_typeEbEEZZNS1_14partition_implILS8_3ELb0ES6_jNS0_17counting_iteratorIjlEEPS9_SE_NS0_5tupleIJPjSE_EEENSF_IJSE_SE_EEES9_SG_JZNS1_25segmented_radix_sort_implINS0_14default_configELb0EPKfPfPKlPlN2at6native12_GLOBAL__N_18offset_tEEE10hipError_tPvRmT1_PNSt15iterator_traitsISY_E10value_typeET2_T3_PNSZ_IS14_E10value_typeET4_jRbjT5_S1A_jjP12ihipStream_tbEUljE_EEESV_SW_SX_S14_S18_S1A_T6_T7_T9_mT8_S1C_bDpT10_ENKUlT_T0_E_clISt17integral_constantIbLb0EES1O_IbLb1EEEEDaS1K_S1L_EUlS1K_E_NS1_11comp_targetILNS1_3genE9ELNS1_11target_archE1100ELNS1_3gpuE3ELNS1_3repE0EEENS1_30default_config_static_selectorELNS0_4arch9wavefront6targetE0EEEvSY_: ; @_ZN7rocprim17ROCPRIM_400000_NS6detail17trampoline_kernelINS0_13select_configILj256ELj13ELNS0_17block_load_methodE3ELS4_3ELS4_3ELNS0_20block_scan_algorithmE0ELj4294967295EEENS1_25partition_config_selectorILNS1_17partition_subalgoE3EjNS0_10empty_typeEbEEZZNS1_14partition_implILS8_3ELb0ES6_jNS0_17counting_iteratorIjlEEPS9_SE_NS0_5tupleIJPjSE_EEENSF_IJSE_SE_EEES9_SG_JZNS1_25segmented_radix_sort_implINS0_14default_configELb0EPKfPfPKlPlN2at6native12_GLOBAL__N_18offset_tEEE10hipError_tPvRmT1_PNSt15iterator_traitsISY_E10value_typeET2_T3_PNSZ_IS14_E10value_typeET4_jRbjT5_S1A_jjP12ihipStream_tbEUljE_EEESV_SW_SX_S14_S18_S1A_T6_T7_T9_mT8_S1C_bDpT10_ENKUlT_T0_E_clISt17integral_constantIbLb0EES1O_IbLb1EEEEDaS1K_S1L_EUlS1K_E_NS1_11comp_targetILNS1_3genE9ELNS1_11target_archE1100ELNS1_3gpuE3ELNS1_3repE0EEENS1_30default_config_static_selectorELNS0_4arch9wavefront6targetE0EEEvSY_
; %bb.0:
	s_clause 0x6
	s_load_b64 s[16:17], s[0:1], 0x10
	s_load_b64 s[12:13], s[0:1], 0x28
	;; [unrolled: 1-line block ×3, first 2 shown]
	s_load_b128 s[8:11], s[0:1], 0x48
	s_load_b32 s3, s[0:1], 0x90
	s_load_b64 s[18:19], s[0:1], 0x68
	s_load_b128 s[4:7], s[0:1], 0x80
	v_cmp_eq_u32_e64 s2, 0, v0
	s_delay_alu instid0(VALU_DEP_1)
	s_and_saveexec_b32 s20, s2
	s_cbranch_execz .LBB1426_4
; %bb.1:
	s_mov_b32 s22, exec_lo
	s_mov_b32 s21, exec_lo
	v_mbcnt_lo_u32_b32 v1, s22, 0
                                        ; implicit-def: $vgpr2
	s_delay_alu instid0(VALU_DEP_1)
	v_cmpx_eq_u32_e32 0, v1
	s_cbranch_execz .LBB1426_3
; %bb.2:
	s_load_b64 s[24:25], s[0:1], 0x78
	s_bcnt1_i32_b32 s22, s22
	s_delay_alu instid0(SALU_CYCLE_1)
	v_dual_mov_b32 v2, 0 :: v_dual_mov_b32 v3, s22
	s_waitcnt lgkmcnt(0)
	global_atomic_add_u32 v2, v2, v3, s[24:25] glc
.LBB1426_3:
	s_or_b32 exec_lo, exec_lo, s21
	s_waitcnt vmcnt(0)
	v_readfirstlane_b32 s21, v2
	s_delay_alu instid0(VALU_DEP_1)
	v_dual_mov_b32 v2, 0 :: v_dual_add_nc_u32 v1, s21, v1
	ds_store_b32 v2, v1
.LBB1426_4:
	s_or_b32 exec_lo, exec_lo, s20
	v_mov_b32_e32 v1, 0
	s_clause 0x1
	s_load_b32 s20, s[0:1], 0x8
	s_load_b32 s0, s[0:1], 0x70
	s_waitcnt lgkmcnt(0)
	s_barrier
	buffer_gl0_inv
	ds_load_b32 v2, v1
	s_waitcnt lgkmcnt(0)
	s_barrier
	buffer_gl0_inv
	global_load_b64 v[18:19], v1, s[10:11]
	v_lshlrev_b32_e32 v33, 2, v0
	s_add_i32 s21, s20, s16
	s_mul_i32 s1, s0, 0xd00
	s_add_i32 s0, s0, -1
	s_add_u32 s10, s16, s1
	s_addc_u32 s11, s17, 0
	v_mul_lo_u32 v32, 0xd00, v2
	v_readfirstlane_b32 s20, v2
	v_cmp_lt_u64_e64 s11, s[10:11], s[14:15]
	v_cmp_ne_u32_e32 vcc_lo, s0, v2
	s_delay_alu instid0(VALU_DEP_3) | instskip(SKIP_1) | instid1(VALU_DEP_4)
	s_cmp_eq_u32 s20, s0
	s_cselect_b32 s10, -1, 0
	v_add3_u32 v1, v32, s21, v0
	s_delay_alu instid0(VALU_DEP_3) | instskip(SKIP_2) | instid1(VALU_DEP_1)
	s_or_b32 s0, s11, vcc_lo
	s_mov_b32 s11, -1
	s_and_b32 vcc_lo, exec_lo, s0
	v_add_nc_u32_e32 v2, 0x100, v1
	v_add_nc_u32_e32 v3, 0x200, v1
	;; [unrolled: 1-line block ×12, first 2 shown]
	s_cbranch_vccz .LBB1426_6
; %bb.5:
	ds_store_2addr_stride64_b32 v33, v1, v2 offset1:4
	ds_store_2addr_stride64_b32 v33, v3, v4 offset0:8 offset1:12
	ds_store_2addr_stride64_b32 v33, v5, v6 offset0:16 offset1:20
	;; [unrolled: 1-line block ×5, first 2 shown]
	ds_store_b32 v33, v13 offset:12288
	s_waitcnt vmcnt(0) lgkmcnt(0)
	s_mov_b32 s11, 0
	s_barrier
.LBB1426_6:
	s_and_not1_b32 vcc_lo, exec_lo, s11
	s_add_i32 s1, s1, s16
	s_cbranch_vccnz .LBB1426_8
; %bb.7:
	ds_store_2addr_stride64_b32 v33, v1, v2 offset1:4
	ds_store_2addr_stride64_b32 v33, v3, v4 offset0:8 offset1:12
	ds_store_2addr_stride64_b32 v33, v5, v6 offset0:16 offset1:20
	;; [unrolled: 1-line block ×5, first 2 shown]
	ds_store_b32 v33, v13 offset:12288
	s_waitcnt vmcnt(0) lgkmcnt(0)
	s_barrier
.LBB1426_8:
	v_mul_u32_u24_e32 v36, 13, v0
	s_waitcnt vmcnt(0)
	buffer_gl0_inv
	v_cndmask_b32_e64 v34, 0, 1, s0
	s_sub_i32 s11, s14, s1
	s_and_not1_b32 vcc_lo, exec_lo, s0
	v_lshlrev_b32_e32 v1, 2, v36
	ds_load_2addr_b32 v[30:31], v1 offset1:1
	ds_load_2addr_b32 v[28:29], v1 offset0:2 offset1:3
	ds_load_2addr_b32 v[26:27], v1 offset0:4 offset1:5
	;; [unrolled: 1-line block ×5, first 2 shown]
	ds_load_b32 v35, v1 offset:48
	s_waitcnt lgkmcnt(0)
	s_barrier
	buffer_gl0_inv
	s_cbranch_vccnz .LBB1426_10
; %bb.9:
	v_add_nc_u32_e32 v1, s5, v30
	v_add_nc_u32_e32 v2, s7, v30
	;; [unrolled: 1-line block ×5, first 2 shown]
	v_mul_lo_u32 v1, v1, s4
	v_mul_lo_u32 v2, v2, s6
	v_mul_lo_u32 v3, v3, s4
	v_mul_lo_u32 v4, v4, s6
	v_add_nc_u32_e32 v6, s7, v28
	v_add_nc_u32_e32 v7, s5, v29
	;; [unrolled: 1-line block ×3, first 2 shown]
	v_mul_lo_u32 v5, v5, s4
	v_add_nc_u32_e32 v9, s5, v24
	v_sub_nc_u32_e32 v1, v1, v2
	v_mul_lo_u32 v2, v6, s6
	v_sub_nc_u32_e32 v3, v3, v4
	v_mul_lo_u32 v4, v7, s4
	v_mul_lo_u32 v6, v8, s6
	v_add_nc_u32_e32 v7, s5, v26
	v_cmp_lt_u32_e32 vcc_lo, s3, v1
	v_add_nc_u32_e32 v8, s5, v27
	v_add_nc_u32_e32 v10, s7, v24
	v_sub_nc_u32_e32 v2, v5, v2
	v_add_nc_u32_e32 v5, s7, v26
	v_cndmask_b32_e64 v1, 0, 1, vcc_lo
	v_sub_nc_u32_e32 v4, v4, v6
	v_mul_lo_u32 v6, v7, s4
	v_add_nc_u32_e32 v7, s7, v27
	v_cmp_lt_u32_e32 vcc_lo, s3, v3
	v_mul_lo_u32 v5, v5, s6
	v_mul_lo_u32 v8, v8, s4
	;; [unrolled: 1-line block ×4, first 2 shown]
	v_cndmask_b32_e64 v3, 0, 1, vcc_lo
	v_cmp_lt_u32_e32 vcc_lo, s3, v2
	v_mul_lo_u32 v10, v10, s6
	v_add_nc_u32_e32 v11, s5, v22
	v_sub_nc_u32_e32 v5, v6, v5
	v_add_nc_u32_e32 v12, s7, v22
	v_cndmask_b32_e64 v2, 0, 1, vcc_lo
	v_sub_nc_u32_e32 v6, v8, v7
	v_add_nc_u32_e32 v7, s5, v25
	v_add_nc_u32_e32 v8, s7, v25
	v_cmp_lt_u32_e32 vcc_lo, s3, v4
	v_sub_nc_u32_e32 v9, v9, v10
	v_mul_lo_u32 v10, v11, s4
	v_mul_lo_u32 v7, v7, s4
	;; [unrolled: 1-line block ×4, first 2 shown]
	v_cndmask_b32_e64 v4, 0, 1, vcc_lo
	v_cmp_lt_u32_e32 vcc_lo, s3, v5
	v_add_nc_u32_e32 v12, s5, v23
	v_add_nc_u32_e32 v13, s7, v20
	;; [unrolled: 1-line block ×4, first 2 shown]
	v_cndmask_b32_e64 v5, 0, 1, vcc_lo
	v_cmp_lt_u32_e32 vcc_lo, s3, v6
	v_sub_nc_u32_e32 v7, v7, v8
	v_sub_nc_u32_e32 v8, v10, v11
	v_add_nc_u32_e32 v11, s7, v23
	v_mul_lo_u32 v10, v12, s4
	v_cndmask_b32_e64 v6, 0, 1, vcc_lo
	v_cmp_lt_u32_e32 vcc_lo, s3, v9
	v_add_nc_u32_e32 v12, s5, v20
	v_mul_lo_u32 v11, v11, s6
	v_mul_lo_u32 v13, v13, s6
	;; [unrolled: 1-line block ×3, first 2 shown]
	v_cndmask_b32_e64 v9, 0, 1, vcc_lo
	v_cmp_lt_u32_e32 vcc_lo, s3, v7
	v_mul_lo_u32 v12, v12, s4
	v_mul_lo_u32 v15, v15, s6
	v_lshlrev_b16 v3, 8, v3
	v_sub_nc_u32_e32 v10, v10, v11
	v_cndmask_b32_e64 v7, 0, 1, vcc_lo
	v_cmp_lt_u32_e32 vcc_lo, s3, v8
	v_add_nc_u32_e32 v11, s5, v35
	v_or_b32_e32 v1, v1, v3
	v_sub_nc_u32_e32 v12, v12, v13
	v_sub_nc_u32_e32 v13, v14, v15
	v_cndmask_b32_e64 v8, 0, 1, vcc_lo
	v_cmp_lt_u32_e32 vcc_lo, s3, v10
	v_add_nc_u32_e32 v16, s7, v35
	v_mul_lo_u32 v11, v11, s4
	v_lshlrev_b16 v4, 8, v4
	v_lshlrev_b16 v6, 8, v6
	v_cndmask_b32_e64 v10, 0, 1, vcc_lo
	v_cmp_lt_u32_e32 vcc_lo, s3, v12
	v_mul_lo_u32 v14, v16, s6
	v_lshlrev_b16 v7, 8, v7
	v_or_b32_e32 v2, v2, v4
	v_lshlrev_b16 v10, 8, v10
	v_cndmask_b32_e64 v3, 0, 1, vcc_lo
	v_cmp_lt_u32_e32 vcc_lo, s3, v13
	v_or_b32_e32 v4, v5, v6
	v_or_b32_e32 v5, v9, v7
	v_sub_nc_u32_e32 v11, v11, v14
	v_or_b32_e32 v6, v8, v10
	v_cndmask_b32_e64 v12, 0, 1, vcc_lo
	v_and_b32_e32 v1, 0xffff, v1
	v_lshlrev_b32_e32 v2, 16, v2
	v_and_b32_e32 v4, 0xffff, v4
	v_lshlrev_b32_e32 v5, 16, v5
	v_lshlrev_b16 v12, 8, v12
	v_and_b32_e32 v6, 0xffff, v6
	v_cmp_lt_u32_e32 vcc_lo, s3, v11
	v_or_b32_e32 v42, v1, v2
	v_or_b32_e32 v40, v4, v5
	;; [unrolled: 1-line block ×3, first 2 shown]
	v_cndmask_b32_e64 v37, 0, 1, vcc_lo
	s_delay_alu instid0(VALU_DEP_2) | instskip(NEXT) | instid1(VALU_DEP_1)
	v_lshlrev_b32_e32 v3, 16, v3
	v_or_b32_e32 v38, v6, v3
	s_addk_i32 s11, 0xd00
	s_cbranch_execz .LBB1426_11
	s_branch .LBB1426_38
.LBB1426_10:
                                        ; implicit-def: $vgpr37
                                        ; implicit-def: $vgpr38
                                        ; implicit-def: $vgpr40
                                        ; implicit-def: $vgpr42
	s_addk_i32 s11, 0xd00
.LBB1426_11:
	v_dual_mov_b32 v2, 0 :: v_dual_mov_b32 v1, 0
	s_mov_b32 s0, exec_lo
	v_cmpx_gt_u32_e64 s11, v36
; %bb.12:
	v_add_nc_u32_e32 v1, s5, v30
	v_add_nc_u32_e32 v3, s7, v30
	s_delay_alu instid0(VALU_DEP_2) | instskip(NEXT) | instid1(VALU_DEP_2)
	v_mul_lo_u32 v1, v1, s4
	v_mul_lo_u32 v3, v3, s6
	s_delay_alu instid0(VALU_DEP_1) | instskip(NEXT) | instid1(VALU_DEP_1)
	v_sub_nc_u32_e32 v1, v1, v3
	v_cmp_lt_u32_e32 vcc_lo, s3, v1
	v_cndmask_b32_e64 v1, 0, 1, vcc_lo
; %bb.13:
	s_or_b32 exec_lo, exec_lo, s0
	v_add_nc_u32_e32 v3, 1, v36
	s_mov_b32 s0, exec_lo
	s_delay_alu instid0(VALU_DEP_1)
	v_cmpx_gt_u32_e64 s11, v3
; %bb.14:
	v_add_nc_u32_e32 v2, s5, v31
	v_add_nc_u32_e32 v3, s7, v31
	s_delay_alu instid0(VALU_DEP_2) | instskip(NEXT) | instid1(VALU_DEP_2)
	v_mul_lo_u32 v2, v2, s4
	v_mul_lo_u32 v3, v3, s6
	s_delay_alu instid0(VALU_DEP_1) | instskip(NEXT) | instid1(VALU_DEP_1)
	v_sub_nc_u32_e32 v2, v2, v3
	v_cmp_lt_u32_e32 vcc_lo, s3, v2
	v_cndmask_b32_e64 v2, 0, 1, vcc_lo
; %bb.15:
	s_or_b32 exec_lo, exec_lo, s0
	v_dual_mov_b32 v4, 0 :: v_dual_add_nc_u32 v3, 2, v36
	s_delay_alu instid0(VALU_DEP_1)
	v_cmp_gt_u32_e32 vcc_lo, s11, v3
	v_mov_b32_e32 v3, 0
	s_and_saveexec_b32 s0, vcc_lo
; %bb.16:
	v_add_nc_u32_e32 v3, s5, v28
	v_add_nc_u32_e32 v5, s7, v28
	s_delay_alu instid0(VALU_DEP_2) | instskip(NEXT) | instid1(VALU_DEP_2)
	v_mul_lo_u32 v3, v3, s4
	v_mul_lo_u32 v5, v5, s6
	s_delay_alu instid0(VALU_DEP_1) | instskip(NEXT) | instid1(VALU_DEP_1)
	v_sub_nc_u32_e32 v3, v3, v5
	v_cmp_lt_u32_e32 vcc_lo, s3, v3
	v_cndmask_b32_e64 v3, 0, 1, vcc_lo
; %bb.17:
	s_or_b32 exec_lo, exec_lo, s0
	v_add_nc_u32_e32 v5, 3, v36
	s_mov_b32 s0, exec_lo
	s_delay_alu instid0(VALU_DEP_1)
	v_cmpx_gt_u32_e64 s11, v5
; %bb.18:
	v_add_nc_u32_e32 v4, s5, v29
	v_add_nc_u32_e32 v5, s7, v29
	s_delay_alu instid0(VALU_DEP_2) | instskip(NEXT) | instid1(VALU_DEP_2)
	v_mul_lo_u32 v4, v4, s4
	v_mul_lo_u32 v5, v5, s6
	s_delay_alu instid0(VALU_DEP_1) | instskip(NEXT) | instid1(VALU_DEP_1)
	v_sub_nc_u32_e32 v4, v4, v5
	v_cmp_lt_u32_e32 vcc_lo, s3, v4
	v_cndmask_b32_e64 v4, 0, 1, vcc_lo
; %bb.19:
	s_or_b32 exec_lo, exec_lo, s0
	v_dual_mov_b32 v6, 0 :: v_dual_add_nc_u32 v5, 4, v36
	s_delay_alu instid0(VALU_DEP_1)
	v_cmp_gt_u32_e32 vcc_lo, s11, v5
	v_mov_b32_e32 v5, 0
	s_and_saveexec_b32 s0, vcc_lo
; %bb.20:
	v_add_nc_u32_e32 v5, s5, v26
	v_add_nc_u32_e32 v7, s7, v26
	s_delay_alu instid0(VALU_DEP_2) | instskip(NEXT) | instid1(VALU_DEP_2)
	v_mul_lo_u32 v5, v5, s4
	v_mul_lo_u32 v7, v7, s6
	s_delay_alu instid0(VALU_DEP_1) | instskip(NEXT) | instid1(VALU_DEP_1)
	v_sub_nc_u32_e32 v5, v5, v7
	v_cmp_lt_u32_e32 vcc_lo, s3, v5
	v_cndmask_b32_e64 v5, 0, 1, vcc_lo
; %bb.21:
	s_or_b32 exec_lo, exec_lo, s0
	v_add_nc_u32_e32 v7, 5, v36
	s_mov_b32 s0, exec_lo
	s_delay_alu instid0(VALU_DEP_1)
	v_cmpx_gt_u32_e64 s11, v7
; %bb.22:
	v_add_nc_u32_e32 v6, s5, v27
	v_add_nc_u32_e32 v7, s7, v27
	s_delay_alu instid0(VALU_DEP_2) | instskip(NEXT) | instid1(VALU_DEP_2)
	v_mul_lo_u32 v6, v6, s4
	v_mul_lo_u32 v7, v7, s6
	s_delay_alu instid0(VALU_DEP_1) | instskip(NEXT) | instid1(VALU_DEP_1)
	v_sub_nc_u32_e32 v6, v6, v7
	v_cmp_lt_u32_e32 vcc_lo, s3, v6
	v_cndmask_b32_e64 v6, 0, 1, vcc_lo
; %bb.23:
	s_or_b32 exec_lo, exec_lo, s0
	v_dual_mov_b32 v8, 0 :: v_dual_add_nc_u32 v7, 6, v36
	s_delay_alu instid0(VALU_DEP_1)
	v_cmp_gt_u32_e32 vcc_lo, s11, v7
	v_mov_b32_e32 v7, 0
	s_and_saveexec_b32 s0, vcc_lo
; %bb.24:
	v_add_nc_u32_e32 v7, s5, v24
	v_add_nc_u32_e32 v9, s7, v24
	s_delay_alu instid0(VALU_DEP_2) | instskip(NEXT) | instid1(VALU_DEP_2)
	v_mul_lo_u32 v7, v7, s4
	v_mul_lo_u32 v9, v9, s6
	s_delay_alu instid0(VALU_DEP_1) | instskip(NEXT) | instid1(VALU_DEP_1)
	v_sub_nc_u32_e32 v7, v7, v9
	v_cmp_lt_u32_e32 vcc_lo, s3, v7
	v_cndmask_b32_e64 v7, 0, 1, vcc_lo
; %bb.25:
	s_or_b32 exec_lo, exec_lo, s0
	v_add_nc_u32_e32 v9, 7, v36
	s_mov_b32 s0, exec_lo
	s_delay_alu instid0(VALU_DEP_1)
	v_cmpx_gt_u32_e64 s11, v9
; %bb.26:
	v_add_nc_u32_e32 v8, s5, v25
	v_add_nc_u32_e32 v9, s7, v25
	s_delay_alu instid0(VALU_DEP_2) | instskip(NEXT) | instid1(VALU_DEP_2)
	v_mul_lo_u32 v8, v8, s4
	v_mul_lo_u32 v9, v9, s6
	s_delay_alu instid0(VALU_DEP_1) | instskip(NEXT) | instid1(VALU_DEP_1)
	v_sub_nc_u32_e32 v8, v8, v9
	v_cmp_lt_u32_e32 vcc_lo, s3, v8
	v_cndmask_b32_e64 v8, 0, 1, vcc_lo
; %bb.27:
	s_or_b32 exec_lo, exec_lo, s0
	v_dual_mov_b32 v10, 0 :: v_dual_add_nc_u32 v9, 8, v36
	s_delay_alu instid0(VALU_DEP_1)
	v_cmp_gt_u32_e32 vcc_lo, s11, v9
	v_mov_b32_e32 v9, 0
	s_and_saveexec_b32 s0, vcc_lo
; %bb.28:
	v_add_nc_u32_e32 v9, s5, v22
	v_add_nc_u32_e32 v11, s7, v22
	s_delay_alu instid0(VALU_DEP_2) | instskip(NEXT) | instid1(VALU_DEP_2)
	v_mul_lo_u32 v9, v9, s4
	v_mul_lo_u32 v11, v11, s6
	s_delay_alu instid0(VALU_DEP_1) | instskip(NEXT) | instid1(VALU_DEP_1)
	v_sub_nc_u32_e32 v9, v9, v11
	v_cmp_lt_u32_e32 vcc_lo, s3, v9
	v_cndmask_b32_e64 v9, 0, 1, vcc_lo
; %bb.29:
	s_or_b32 exec_lo, exec_lo, s0
	v_add_nc_u32_e32 v11, 9, v36
	s_mov_b32 s0, exec_lo
	s_delay_alu instid0(VALU_DEP_1)
	v_cmpx_gt_u32_e64 s11, v11
; %bb.30:
	v_add_nc_u32_e32 v10, s5, v23
	v_add_nc_u32_e32 v11, s7, v23
	s_delay_alu instid0(VALU_DEP_2) | instskip(NEXT) | instid1(VALU_DEP_2)
	v_mul_lo_u32 v10, v10, s4
	v_mul_lo_u32 v11, v11, s6
	s_delay_alu instid0(VALU_DEP_1) | instskip(NEXT) | instid1(VALU_DEP_1)
	v_sub_nc_u32_e32 v10, v10, v11
	v_cmp_lt_u32_e32 vcc_lo, s3, v10
	v_cndmask_b32_e64 v10, 0, 1, vcc_lo
; %bb.31:
	s_or_b32 exec_lo, exec_lo, s0
	v_dual_mov_b32 v12, 0 :: v_dual_add_nc_u32 v11, 10, v36
	s_delay_alu instid0(VALU_DEP_1)
	v_cmp_gt_u32_e32 vcc_lo, s11, v11
	v_mov_b32_e32 v11, 0
	s_and_saveexec_b32 s0, vcc_lo
; %bb.32:
	v_add_nc_u32_e32 v11, s5, v20
	v_add_nc_u32_e32 v13, s7, v20
	s_delay_alu instid0(VALU_DEP_2) | instskip(NEXT) | instid1(VALU_DEP_2)
	v_mul_lo_u32 v11, v11, s4
	v_mul_lo_u32 v13, v13, s6
	s_delay_alu instid0(VALU_DEP_1) | instskip(NEXT) | instid1(VALU_DEP_1)
	v_sub_nc_u32_e32 v11, v11, v13
	v_cmp_lt_u32_e32 vcc_lo, s3, v11
	v_cndmask_b32_e64 v11, 0, 1, vcc_lo
; %bb.33:
	s_or_b32 exec_lo, exec_lo, s0
	v_add_nc_u32_e32 v13, 11, v36
	s_mov_b32 s0, exec_lo
	s_delay_alu instid0(VALU_DEP_1)
	v_cmpx_gt_u32_e64 s11, v13
; %bb.34:
	v_add_nc_u32_e32 v12, s5, v21
	v_add_nc_u32_e32 v13, s7, v21
	s_delay_alu instid0(VALU_DEP_2) | instskip(NEXT) | instid1(VALU_DEP_2)
	v_mul_lo_u32 v12, v12, s4
	v_mul_lo_u32 v13, v13, s6
	s_delay_alu instid0(VALU_DEP_1) | instskip(NEXT) | instid1(VALU_DEP_1)
	v_sub_nc_u32_e32 v12, v12, v13
	v_cmp_lt_u32_e32 vcc_lo, s3, v12
	v_cndmask_b32_e64 v12, 0, 1, vcc_lo
; %bb.35:
	s_or_b32 exec_lo, exec_lo, s0
	v_add_nc_u32_e32 v13, 12, v36
	v_mov_b32_e32 v37, 0
	s_mov_b32 s0, exec_lo
	s_delay_alu instid0(VALU_DEP_2)
	v_cmpx_gt_u32_e64 s11, v13
; %bb.36:
	v_add_nc_u32_e32 v13, s5, v35
	v_add_nc_u32_e32 v14, s7, v35
	s_delay_alu instid0(VALU_DEP_2) | instskip(NEXT) | instid1(VALU_DEP_2)
	v_mul_lo_u32 v13, v13, s4
	v_mul_lo_u32 v14, v14, s6
	s_delay_alu instid0(VALU_DEP_1) | instskip(NEXT) | instid1(VALU_DEP_1)
	v_sub_nc_u32_e32 v13, v13, v14
	v_cmp_lt_u32_e32 vcc_lo, s3, v13
	v_cndmask_b32_e64 v37, 0, 1, vcc_lo
; %bb.37:
	s_or_b32 exec_lo, exec_lo, s0
	v_lshlrev_b16 v2, 8, v2
	v_lshlrev_b16 v4, 8, v4
	;; [unrolled: 1-line block ×5, first 2 shown]
	v_or_b32_e32 v1, v1, v2
	v_lshlrev_b16 v2, 8, v12
	v_or_b32_e32 v3, v3, v4
	v_or_b32_e32 v4, v5, v6
	;; [unrolled: 1-line block ×5, first 2 shown]
	v_and_b32_e32 v1, 0xffff, v1
	v_lshlrev_b32_e32 v3, 16, v3
	v_and_b32_e32 v4, 0xffff, v4
	v_lshlrev_b32_e32 v5, 16, v5
	;; [unrolled: 2-line block ×3, first 2 shown]
	v_or_b32_e32 v42, v1, v3
	s_delay_alu instid0(VALU_DEP_4) | instskip(NEXT) | instid1(VALU_DEP_3)
	v_or_b32_e32 v40, v4, v5
	v_or_b32_e32 v38, v6, v2
.LBB1426_38:
	s_delay_alu instid0(VALU_DEP_3)
	v_and_b32_e32 v44, 0xff, v42
	v_bfe_u32 v45, v42, 8, 8
	v_bfe_u32 v46, v42, 16, 8
	v_lshrrev_b32_e32 v43, 24, v42
	v_and_b32_e32 v47, 0xff, v40
	v_bfe_u32 v48, v40, 8, 8
	v_bfe_u32 v49, v40, 16, 8
	v_add3_u32 v1, v45, v44, v46
	v_lshrrev_b32_e32 v41, 24, v40
	v_and_b32_e32 v50, 0xff, v38
	v_bfe_u32 v51, v38, 8, 8
	v_mbcnt_lo_u32_b32 v53, -1, 0
	v_add3_u32 v1, v1, v43, v47
	v_bfe_u32 v52, v38, 16, 8
	v_lshrrev_b32_e32 v39, 24, v38
	v_and_b32_e32 v2, 0xff, v37
	v_and_b32_e32 v3, 15, v53
	v_add3_u32 v1, v1, v48, v49
	v_or_b32_e32 v4, 31, v0
	v_and_b32_e32 v5, 16, v53
	v_lshrrev_b32_e32 v54, 5, v0
	v_cmp_eq_u32_e64 s6, 0, v3
	v_add3_u32 v1, v1, v41, v50
	v_cmp_lt_u32_e64 s5, 1, v3
	v_cmp_lt_u32_e64 s4, 3, v3
	;; [unrolled: 1-line block ×3, first 2 shown]
	v_cmp_eq_u32_e64 s1, 0, v5
	v_add3_u32 v1, v1, v51, v52
	v_cmp_eq_u32_e64 s0, v4, v0
	s_cmp_lg_u32 s20, 0
	s_mov_b32 s7, -1
	s_delay_alu instid0(VALU_DEP_2)
	v_add3_u32 v55, v1, v39, v2
	s_cbranch_scc0 .LBB1426_64
; %bb.39:
	s_delay_alu instid0(VALU_DEP_1) | instskip(NEXT) | instid1(VALU_DEP_1)
	v_mov_b32_dpp v1, v55 row_shr:1 row_mask:0xf bank_mask:0xf
	v_cndmask_b32_e64 v1, v1, 0, s6
	s_delay_alu instid0(VALU_DEP_1) | instskip(NEXT) | instid1(VALU_DEP_1)
	v_add_nc_u32_e32 v1, v1, v55
	v_mov_b32_dpp v2, v1 row_shr:2 row_mask:0xf bank_mask:0xf
	s_delay_alu instid0(VALU_DEP_1) | instskip(NEXT) | instid1(VALU_DEP_1)
	v_cndmask_b32_e64 v2, 0, v2, s5
	v_add_nc_u32_e32 v1, v1, v2
	s_delay_alu instid0(VALU_DEP_1) | instskip(NEXT) | instid1(VALU_DEP_1)
	v_mov_b32_dpp v2, v1 row_shr:4 row_mask:0xf bank_mask:0xf
	v_cndmask_b32_e64 v2, 0, v2, s4
	s_delay_alu instid0(VALU_DEP_1) | instskip(NEXT) | instid1(VALU_DEP_1)
	v_add_nc_u32_e32 v1, v1, v2
	v_mov_b32_dpp v2, v1 row_shr:8 row_mask:0xf bank_mask:0xf
	s_delay_alu instid0(VALU_DEP_1) | instskip(NEXT) | instid1(VALU_DEP_1)
	v_cndmask_b32_e64 v2, 0, v2, s3
	v_add_nc_u32_e32 v1, v1, v2
	ds_swizzle_b32 v2, v1 offset:swizzle(BROADCAST,32,15)
	s_waitcnt lgkmcnt(0)
	v_cndmask_b32_e64 v2, v2, 0, s1
	s_delay_alu instid0(VALU_DEP_1)
	v_add_nc_u32_e32 v1, v1, v2
	s_and_saveexec_b32 s7, s0
	s_cbranch_execz .LBB1426_41
; %bb.40:
	v_lshlrev_b32_e32 v2, 2, v54
	ds_store_b32 v2, v1
.LBB1426_41:
	s_or_b32 exec_lo, exec_lo, s7
	s_delay_alu instid0(SALU_CYCLE_1)
	s_mov_b32 s7, exec_lo
	s_waitcnt lgkmcnt(0)
	s_barrier
	buffer_gl0_inv
	v_cmpx_gt_u32_e32 8, v0
	s_cbranch_execz .LBB1426_43
; %bb.42:
	ds_load_b32 v2, v33
	s_waitcnt lgkmcnt(0)
	v_mov_b32_dpp v4, v2 row_shr:1 row_mask:0xf bank_mask:0xf
	v_and_b32_e32 v3, 7, v53
	s_delay_alu instid0(VALU_DEP_1) | instskip(NEXT) | instid1(VALU_DEP_3)
	v_cmp_ne_u32_e32 vcc_lo, 0, v3
	v_cndmask_b32_e32 v4, 0, v4, vcc_lo
	v_cmp_lt_u32_e32 vcc_lo, 1, v3
	s_delay_alu instid0(VALU_DEP_2) | instskip(NEXT) | instid1(VALU_DEP_1)
	v_add_nc_u32_e32 v2, v4, v2
	v_mov_b32_dpp v4, v2 row_shr:2 row_mask:0xf bank_mask:0xf
	s_delay_alu instid0(VALU_DEP_1) | instskip(SKIP_1) | instid1(VALU_DEP_2)
	v_cndmask_b32_e32 v4, 0, v4, vcc_lo
	v_cmp_lt_u32_e32 vcc_lo, 3, v3
	v_add_nc_u32_e32 v2, v2, v4
	s_delay_alu instid0(VALU_DEP_1) | instskip(NEXT) | instid1(VALU_DEP_1)
	v_mov_b32_dpp v4, v2 row_shr:4 row_mask:0xf bank_mask:0xf
	v_cndmask_b32_e32 v3, 0, v4, vcc_lo
	s_delay_alu instid0(VALU_DEP_1)
	v_add_nc_u32_e32 v2, v2, v3
	ds_store_b32 v33, v2
.LBB1426_43:
	s_or_b32 exec_lo, exec_lo, s7
	v_cmp_gt_u32_e32 vcc_lo, 32, v0
	s_mov_b32 s21, exec_lo
	s_waitcnt lgkmcnt(0)
	s_barrier
	buffer_gl0_inv
                                        ; implicit-def: $vgpr8
	v_cmpx_lt_u32_e32 31, v0
	s_cbranch_execz .LBB1426_45
; %bb.44:
	v_lshl_add_u32 v2, v54, 2, -4
	ds_load_b32 v8, v2
	s_waitcnt lgkmcnt(0)
	v_add_nc_u32_e32 v1, v8, v1
.LBB1426_45:
	s_or_b32 exec_lo, exec_lo, s21
	v_add_nc_u32_e32 v2, -1, v53
	s_delay_alu instid0(VALU_DEP_1) | instskip(NEXT) | instid1(VALU_DEP_1)
	v_cmp_gt_i32_e64 s7, 0, v2
	v_cndmask_b32_e64 v2, v2, v53, s7
	v_cmp_eq_u32_e64 s7, 0, v53
	s_delay_alu instid0(VALU_DEP_2)
	v_lshlrev_b32_e32 v2, 2, v2
	ds_bpermute_b32 v9, v2, v1
	s_and_saveexec_b32 s21, vcc_lo
	s_cbranch_execz .LBB1426_63
; %bb.46:
	v_mov_b32_e32 v4, 0
	ds_load_b32 v1, v4 offset:28
	s_and_saveexec_b32 s22, s7
	s_cbranch_execz .LBB1426_48
; %bb.47:
	s_add_i32 s24, s20, 32
	s_mov_b32 s25, 0
	v_mov_b32_e32 v2, 1
	s_lshl_b64 s[24:25], s[24:25], 3
	s_delay_alu instid0(SALU_CYCLE_1)
	s_add_u32 s24, s18, s24
	s_addc_u32 s25, s19, s25
	s_waitcnt lgkmcnt(0)
	global_store_b64 v4, v[1:2], s[24:25]
.LBB1426_48:
	s_or_b32 exec_lo, exec_lo, s22
	v_xad_u32 v2, v53, -1, s20
	s_mov_b32 s23, 0
	s_mov_b32 s22, exec_lo
	s_delay_alu instid0(VALU_DEP_1) | instskip(NEXT) | instid1(VALU_DEP_1)
	v_add_nc_u32_e32 v3, 32, v2
	v_lshlrev_b64 v[3:4], 3, v[3:4]
	s_delay_alu instid0(VALU_DEP_1) | instskip(NEXT) | instid1(VALU_DEP_2)
	v_add_co_u32 v6, vcc_lo, s18, v3
	v_add_co_ci_u32_e32 v7, vcc_lo, s19, v4, vcc_lo
	global_load_b64 v[4:5], v[6:7], off glc
	s_waitcnt vmcnt(0)
	v_and_b32_e32 v3, 0xff, v5
	s_delay_alu instid0(VALU_DEP_1)
	v_cmpx_eq_u16_e32 0, v3
	s_cbranch_execz .LBB1426_51
.LBB1426_49:                            ; =>This Inner Loop Header: Depth=1
	global_load_b64 v[4:5], v[6:7], off glc
	s_waitcnt vmcnt(0)
	v_and_b32_e32 v3, 0xff, v5
	s_delay_alu instid0(VALU_DEP_1) | instskip(SKIP_1) | instid1(SALU_CYCLE_1)
	v_cmp_ne_u16_e32 vcc_lo, 0, v3
	s_or_b32 s23, vcc_lo, s23
	s_and_not1_b32 exec_lo, exec_lo, s23
	s_cbranch_execnz .LBB1426_49
; %bb.50:
	s_or_b32 exec_lo, exec_lo, s23
.LBB1426_51:
	s_delay_alu instid0(SALU_CYCLE_1)
	s_or_b32 exec_lo, exec_lo, s22
	v_cmp_ne_u32_e32 vcc_lo, 31, v53
	v_lshlrev_b32_e64 v11, v53, -1
	v_add_nc_u32_e32 v13, 2, v53
	v_add_nc_u32_e32 v15, 4, v53
	;; [unrolled: 1-line block ×3, first 2 shown]
	v_add_co_ci_u32_e32 v3, vcc_lo, 0, v53, vcc_lo
	v_add_nc_u32_e32 v58, 16, v53
	s_delay_alu instid0(VALU_DEP_2) | instskip(SKIP_2) | instid1(VALU_DEP_1)
	v_lshlrev_b32_e32 v10, 2, v3
	ds_bpermute_b32 v6, v10, v4
	v_and_b32_e32 v3, 0xff, v5
	v_cmp_eq_u16_e32 vcc_lo, 2, v3
	v_and_or_b32 v3, vcc_lo, v11, 0x80000000
	v_cmp_gt_u32_e32 vcc_lo, 30, v53
	s_delay_alu instid0(VALU_DEP_2) | instskip(SKIP_1) | instid1(VALU_DEP_2)
	v_ctz_i32_b32_e32 v3, v3
	v_cndmask_b32_e64 v7, 0, 1, vcc_lo
	v_cmp_lt_u32_e32 vcc_lo, v53, v3
	s_waitcnt lgkmcnt(0)
	s_delay_alu instid0(VALU_DEP_2) | instskip(NEXT) | instid1(VALU_DEP_1)
	v_dual_cndmask_b32 v6, 0, v6 :: v_dual_lshlrev_b32 v7, 1, v7
	v_add_lshl_u32 v12, v7, v53, 2
	v_cmp_gt_u32_e32 vcc_lo, 28, v53
	s_delay_alu instid0(VALU_DEP_3) | instskip(SKIP_4) | instid1(VALU_DEP_1)
	v_add_nc_u32_e32 v4, v6, v4
	v_cndmask_b32_e64 v7, 0, 1, vcc_lo
	v_cmp_le_u32_e32 vcc_lo, v13, v3
	ds_bpermute_b32 v6, v12, v4
	v_lshlrev_b32_e32 v7, 2, v7
	v_add_lshl_u32 v14, v7, v53, 2
	s_waitcnt lgkmcnt(0)
	v_cndmask_b32_e32 v6, 0, v6, vcc_lo
	v_cmp_gt_u32_e32 vcc_lo, 24, v53
	s_delay_alu instid0(VALU_DEP_2) | instskip(SKIP_4) | instid1(VALU_DEP_1)
	v_add_nc_u32_e32 v4, v4, v6
	v_cndmask_b32_e64 v7, 0, 1, vcc_lo
	v_cmp_le_u32_e32 vcc_lo, v15, v3
	ds_bpermute_b32 v6, v14, v4
	v_lshlrev_b32_e32 v7, 3, v7
	v_add_lshl_u32 v17, v7, v53, 2
	s_waitcnt lgkmcnt(0)
	v_cndmask_b32_e32 v6, 0, v6, vcc_lo
	v_cmp_gt_u32_e32 vcc_lo, 16, v53
	s_delay_alu instid0(VALU_DEP_2) | instskip(SKIP_4) | instid1(VALU_DEP_1)
	v_add_nc_u32_e32 v4, v4, v6
	v_cndmask_b32_e64 v7, 0, 1, vcc_lo
	v_cmp_le_u32_e32 vcc_lo, v56, v3
	ds_bpermute_b32 v6, v17, v4
	v_lshlrev_b32_e32 v7, 4, v7
	v_add_lshl_u32 v57, v7, v53, 2
	s_waitcnt lgkmcnt(0)
	v_cndmask_b32_e32 v6, 0, v6, vcc_lo
	v_cmp_le_u32_e32 vcc_lo, v58, v3
	s_delay_alu instid0(VALU_DEP_2) | instskip(SKIP_3) | instid1(VALU_DEP_1)
	v_add_nc_u32_e32 v4, v4, v6
	ds_bpermute_b32 v6, v57, v4
	s_waitcnt lgkmcnt(0)
	v_cndmask_b32_e32 v3, 0, v6, vcc_lo
	v_dual_mov_b32 v3, 0 :: v_dual_add_nc_u32 v4, v4, v3
	s_branch .LBB1426_53
.LBB1426_52:                            ;   in Loop: Header=BB1426_53 Depth=1
	s_or_b32 exec_lo, exec_lo, s22
	ds_bpermute_b32 v7, v10, v4
	v_and_b32_e32 v6, 0xff, v5
	v_subrev_nc_u32_e32 v2, 32, v2
	s_delay_alu instid0(VALU_DEP_2) | instskip(SKIP_1) | instid1(VALU_DEP_1)
	v_cmp_eq_u16_e32 vcc_lo, 2, v6
	v_and_or_b32 v6, vcc_lo, v11, 0x80000000
	v_ctz_i32_b32_e32 v6, v6
	s_delay_alu instid0(VALU_DEP_1) | instskip(SKIP_3) | instid1(VALU_DEP_2)
	v_cmp_lt_u32_e32 vcc_lo, v53, v6
	s_waitcnt lgkmcnt(0)
	v_cndmask_b32_e32 v7, 0, v7, vcc_lo
	v_cmp_le_u32_e32 vcc_lo, v13, v6
	v_add_nc_u32_e32 v4, v7, v4
	ds_bpermute_b32 v7, v12, v4
	s_waitcnt lgkmcnt(0)
	v_cndmask_b32_e32 v7, 0, v7, vcc_lo
	v_cmp_le_u32_e32 vcc_lo, v15, v6
	s_delay_alu instid0(VALU_DEP_2) | instskip(SKIP_4) | instid1(VALU_DEP_2)
	v_add_nc_u32_e32 v4, v4, v7
	ds_bpermute_b32 v7, v14, v4
	s_waitcnt lgkmcnt(0)
	v_cndmask_b32_e32 v7, 0, v7, vcc_lo
	v_cmp_le_u32_e32 vcc_lo, v56, v6
	v_add_nc_u32_e32 v4, v4, v7
	ds_bpermute_b32 v7, v17, v4
	s_waitcnt lgkmcnt(0)
	v_cndmask_b32_e32 v7, 0, v7, vcc_lo
	v_cmp_le_u32_e32 vcc_lo, v58, v6
	s_delay_alu instid0(VALU_DEP_2) | instskip(SKIP_3) | instid1(VALU_DEP_1)
	v_add_nc_u32_e32 v4, v4, v7
	ds_bpermute_b32 v7, v57, v4
	s_waitcnt lgkmcnt(0)
	v_cndmask_b32_e32 v6, 0, v7, vcc_lo
	v_add3_u32 v4, v6, v16, v4
.LBB1426_53:                            ; =>This Loop Header: Depth=1
                                        ;     Child Loop BB1426_56 Depth 2
	s_delay_alu instid0(VALU_DEP_1) | instskip(NEXT) | instid1(VALU_DEP_1)
	v_dual_mov_b32 v16, v4 :: v_dual_and_b32 v5, 0xff, v5
	v_cmp_ne_u16_e32 vcc_lo, 2, v5
	v_cndmask_b32_e64 v5, 0, 1, vcc_lo
	;;#ASMSTART
	;;#ASMEND
	s_delay_alu instid0(VALU_DEP_1)
	v_cmp_ne_u32_e32 vcc_lo, 0, v5
	s_cmp_lg_u32 vcc_lo, exec_lo
	s_cbranch_scc1 .LBB1426_58
; %bb.54:                               ;   in Loop: Header=BB1426_53 Depth=1
	v_lshlrev_b64 v[4:5], 3, v[2:3]
	s_mov_b32 s22, exec_lo
	s_delay_alu instid0(VALU_DEP_1) | instskip(NEXT) | instid1(VALU_DEP_2)
	v_add_co_u32 v6, vcc_lo, s18, v4
	v_add_co_ci_u32_e32 v7, vcc_lo, s19, v5, vcc_lo
	global_load_b64 v[4:5], v[6:7], off glc
	s_waitcnt vmcnt(0)
	v_and_b32_e32 v59, 0xff, v5
	s_delay_alu instid0(VALU_DEP_1)
	v_cmpx_eq_u16_e32 0, v59
	s_cbranch_execz .LBB1426_52
; %bb.55:                               ;   in Loop: Header=BB1426_53 Depth=1
	s_mov_b32 s23, 0
.LBB1426_56:                            ;   Parent Loop BB1426_53 Depth=1
                                        ; =>  This Inner Loop Header: Depth=2
	global_load_b64 v[4:5], v[6:7], off glc
	s_waitcnt vmcnt(0)
	v_and_b32_e32 v59, 0xff, v5
	s_delay_alu instid0(VALU_DEP_1) | instskip(SKIP_1) | instid1(SALU_CYCLE_1)
	v_cmp_ne_u16_e32 vcc_lo, 0, v59
	s_or_b32 s23, vcc_lo, s23
	s_and_not1_b32 exec_lo, exec_lo, s23
	s_cbranch_execnz .LBB1426_56
; %bb.57:                               ;   in Loop: Header=BB1426_53 Depth=1
	s_or_b32 exec_lo, exec_lo, s23
	s_branch .LBB1426_52
.LBB1426_58:                            ;   in Loop: Header=BB1426_53 Depth=1
                                        ; implicit-def: $vgpr4
                                        ; implicit-def: $vgpr5
	s_cbranch_execz .LBB1426_53
; %bb.59:
	s_and_saveexec_b32 s22, s7
	s_cbranch_execz .LBB1426_61
; %bb.60:
	s_add_i32 s24, s20, 32
	s_mov_b32 s25, 0
	v_dual_mov_b32 v3, 2 :: v_dual_add_nc_u32 v2, v16, v1
	s_lshl_b64 s[24:25], s[24:25], 3
	v_mov_b32_e32 v4, 0
	v_add_nc_u32_e64 v5, 0x3400, 0
	s_add_u32 s24, s18, s24
	s_addc_u32 s25, s19, s25
	global_store_b64 v4, v[2:3], s[24:25]
	ds_store_2addr_b32 v5, v1, v16 offset1:2
.LBB1426_61:
	s_or_b32 exec_lo, exec_lo, s22
	s_delay_alu instid0(SALU_CYCLE_1)
	s_and_b32 exec_lo, exec_lo, s2
	s_cbranch_execz .LBB1426_63
; %bb.62:
	v_mov_b32_e32 v1, 0
	ds_store_b32 v1, v16 offset:28
.LBB1426_63:
	s_or_b32 exec_lo, exec_lo, s21
	v_mov_b32_e32 v1, 0
	s_waitcnt lgkmcnt(0)
	s_waitcnt_vscnt null, 0x0
	s_barrier
	buffer_gl0_inv
	v_cndmask_b32_e64 v2, v9, v8, s7
	ds_load_b32 v1, v1 offset:28
	v_add_nc_u32_e64 v11, 0x3400, 0
	s_waitcnt lgkmcnt(0)
	s_barrier
	v_cndmask_b32_e64 v2, v2, 0, s2
	buffer_gl0_inv
	ds_load_2addr_b32 v[16:17], v11 offset1:2
	v_add_nc_u32_e32 v1, v1, v2
	s_delay_alu instid0(VALU_DEP_1) | instskip(NEXT) | instid1(VALU_DEP_1)
	v_add_nc_u32_e32 v2, v1, v44
	v_add_nc_u32_e32 v3, v2, v45
	s_delay_alu instid0(VALU_DEP_1) | instskip(NEXT) | instid1(VALU_DEP_1)
	v_add_nc_u32_e32 v4, v3, v46
	;; [unrolled: 3-line block ×6, first 2 shown]
	v_add_nc_u32_e32 v13, v12, v39
	s_branch .LBB1426_74
.LBB1426_64:
                                        ; implicit-def: $vgpr17
                                        ; implicit-def: $vgpr1_vgpr2_vgpr3_vgpr4_vgpr5_vgpr6_vgpr7_vgpr8_vgpr9_vgpr10_vgpr11_vgpr12_vgpr13_vgpr14_vgpr15_vgpr16
	s_and_b32 vcc_lo, exec_lo, s7
	s_cbranch_vccz .LBB1426_74
; %bb.65:
	s_delay_alu instid0(VALU_DEP_1) | instskip(NEXT) | instid1(VALU_DEP_1)
	v_mov_b32_dpp v1, v55 row_shr:1 row_mask:0xf bank_mask:0xf
	v_cndmask_b32_e64 v1, v1, 0, s6
	s_delay_alu instid0(VALU_DEP_1) | instskip(NEXT) | instid1(VALU_DEP_1)
	v_add_nc_u32_e32 v1, v1, v55
	v_mov_b32_dpp v2, v1 row_shr:2 row_mask:0xf bank_mask:0xf
	s_delay_alu instid0(VALU_DEP_1) | instskip(NEXT) | instid1(VALU_DEP_1)
	v_cndmask_b32_e64 v2, 0, v2, s5
	v_add_nc_u32_e32 v1, v1, v2
	s_delay_alu instid0(VALU_DEP_1) | instskip(NEXT) | instid1(VALU_DEP_1)
	v_mov_b32_dpp v2, v1 row_shr:4 row_mask:0xf bank_mask:0xf
	v_cndmask_b32_e64 v2, 0, v2, s4
	s_delay_alu instid0(VALU_DEP_1) | instskip(NEXT) | instid1(VALU_DEP_1)
	v_add_nc_u32_e32 v1, v1, v2
	v_mov_b32_dpp v2, v1 row_shr:8 row_mask:0xf bank_mask:0xf
	s_delay_alu instid0(VALU_DEP_1) | instskip(NEXT) | instid1(VALU_DEP_1)
	v_cndmask_b32_e64 v2, 0, v2, s3
	v_add_nc_u32_e32 v1, v1, v2
	ds_swizzle_b32 v2, v1 offset:swizzle(BROADCAST,32,15)
	s_waitcnt lgkmcnt(0)
	v_cndmask_b32_e64 v2, v2, 0, s1
	s_delay_alu instid0(VALU_DEP_1)
	v_add_nc_u32_e32 v1, v1, v2
	s_and_saveexec_b32 s1, s0
	s_cbranch_execz .LBB1426_67
; %bb.66:
	v_lshlrev_b32_e32 v2, 2, v54
	ds_store_b32 v2, v1
.LBB1426_67:
	s_or_b32 exec_lo, exec_lo, s1
	s_delay_alu instid0(SALU_CYCLE_1)
	s_mov_b32 s0, exec_lo
	s_waitcnt lgkmcnt(0)
	s_barrier
	buffer_gl0_inv
	v_cmpx_gt_u32_e32 8, v0
	s_cbranch_execz .LBB1426_69
; %bb.68:
	ds_load_b32 v2, v33
	s_waitcnt lgkmcnt(0)
	v_mov_b32_dpp v4, v2 row_shr:1 row_mask:0xf bank_mask:0xf
	v_and_b32_e32 v3, 7, v53
	s_delay_alu instid0(VALU_DEP_1) | instskip(NEXT) | instid1(VALU_DEP_3)
	v_cmp_ne_u32_e32 vcc_lo, 0, v3
	v_cndmask_b32_e32 v4, 0, v4, vcc_lo
	v_cmp_lt_u32_e32 vcc_lo, 1, v3
	s_delay_alu instid0(VALU_DEP_2) | instskip(NEXT) | instid1(VALU_DEP_1)
	v_add_nc_u32_e32 v2, v4, v2
	v_mov_b32_dpp v4, v2 row_shr:2 row_mask:0xf bank_mask:0xf
	s_delay_alu instid0(VALU_DEP_1) | instskip(SKIP_1) | instid1(VALU_DEP_2)
	v_cndmask_b32_e32 v4, 0, v4, vcc_lo
	v_cmp_lt_u32_e32 vcc_lo, 3, v3
	v_add_nc_u32_e32 v2, v2, v4
	s_delay_alu instid0(VALU_DEP_1) | instskip(NEXT) | instid1(VALU_DEP_1)
	v_mov_b32_dpp v4, v2 row_shr:4 row_mask:0xf bank_mask:0xf
	v_cndmask_b32_e32 v3, 0, v4, vcc_lo
	s_delay_alu instid0(VALU_DEP_1)
	v_add_nc_u32_e32 v2, v2, v3
	ds_store_b32 v33, v2
.LBB1426_69:
	s_or_b32 exec_lo, exec_lo, s0
	v_dual_mov_b32 v3, 0 :: v_dual_mov_b32 v2, 0
	s_mov_b32 s0, exec_lo
	s_waitcnt lgkmcnt(0)
	s_barrier
	buffer_gl0_inv
	v_cmpx_lt_u32_e32 31, v0
	s_cbranch_execz .LBB1426_71
; %bb.70:
	v_lshl_add_u32 v2, v54, 2, -4
	ds_load_b32 v2, v2
.LBB1426_71:
	s_or_b32 exec_lo, exec_lo, s0
	v_add_nc_u32_e32 v4, -1, v53
	s_waitcnt lgkmcnt(0)
	v_add_nc_u32_e32 v1, v2, v1
	ds_load_b32 v16, v3 offset:28
	v_cmp_gt_i32_e32 vcc_lo, 0, v4
	v_cndmask_b32_e32 v4, v4, v53, vcc_lo
	s_delay_alu instid0(VALU_DEP_1)
	v_lshlrev_b32_e32 v4, 2, v4
	ds_bpermute_b32 v1, v4, v1
	s_and_saveexec_b32 s0, s2
	s_cbranch_execz .LBB1426_73
; %bb.72:
	v_mov_b32_e32 v3, 0
	v_mov_b32_e32 v17, 2
	s_waitcnt lgkmcnt(1)
	global_store_b64 v3, v[16:17], s[18:19] offset:256
.LBB1426_73:
	s_or_b32 exec_lo, exec_lo, s0
	v_cmp_eq_u32_e32 vcc_lo, 0, v53
	s_waitcnt lgkmcnt(0)
	s_waitcnt_vscnt null, 0x0
	s_barrier
	buffer_gl0_inv
	v_mov_b32_e32 v17, 0
	v_cndmask_b32_e32 v1, v1, v2, vcc_lo
	s_delay_alu instid0(VALU_DEP_1) | instskip(NEXT) | instid1(VALU_DEP_1)
	v_cndmask_b32_e64 v1, v1, 0, s2
	v_add_nc_u32_e32 v2, v1, v44
	s_delay_alu instid0(VALU_DEP_1) | instskip(NEXT) | instid1(VALU_DEP_1)
	v_add_nc_u32_e32 v3, v2, v45
	v_add_nc_u32_e32 v4, v3, v46
	s_delay_alu instid0(VALU_DEP_1) | instskip(NEXT) | instid1(VALU_DEP_1)
	v_add_nc_u32_e32 v5, v4, v43
	;; [unrolled: 3-line block ×5, first 2 shown]
	v_add_nc_u32_e32 v12, v11, v52
	s_delay_alu instid0(VALU_DEP_1)
	v_add_nc_u32_e32 v13, v12, v39
.LBB1426_74:
	s_waitcnt lgkmcnt(0)
	v_sub_nc_u32_e32 v1, v1, v17
	v_sub_nc_u32_e32 v2, v2, v17
	v_add_nc_u32_e32 v36, v16, v36
	v_lshrrev_b32_e32 v47, 8, v42
	v_lshrrev_b32_e32 v46, 16, v42
	v_sub_nc_u32_e32 v4, v4, v17
	v_sub_nc_u32_e32 v3, v3, v17
	;; [unrolled: 1-line block ×3, first 2 shown]
	v_and_b32_e32 v42, 1, v42
	v_and_b32_e32 v47, 1, v47
	;; [unrolled: 1-line block ×3, first 2 shown]
	v_lshrrev_b32_e32 v45, 8, v40
	v_lshrrev_b32_e32 v44, 16, v40
	v_cmp_eq_u32_e32 vcc_lo, 1, v42
	v_and_b32_e32 v42, 1, v46
	v_sub_nc_u32_e32 v46, v36, v2
	v_lshrrev_b32_e32 v15, 8, v38
	v_lshrrev_b32_e32 v14, 16, v38
	v_cndmask_b32_e32 v1, v48, v1, vcc_lo
	v_cmp_eq_u32_e32 vcc_lo, 1, v47
	v_add_nc_u32_e32 v46, 1, v46
	s_delay_alu instid0(VALU_DEP_3)
	v_lshlrev_b32_e32 v1, 2, v1
	ds_store_b32 v1, v30
	v_cndmask_b32_e32 v1, v46, v2, vcc_lo
	v_sub_nc_u32_e32 v48, v36, v3
	v_sub_nc_u32_e32 v49, v36, v4
	v_cmp_eq_u32_e32 vcc_lo, 1, v42
	v_or_b32_e32 v30, 0x300, v0
	v_lshlrev_b32_e32 v1, 2, v1
	v_add_nc_u32_e32 v48, 2, v48
	v_add_nc_u32_e32 v49, 3, v49
	ds_store_b32 v1, v31
	v_cndmask_b32_e32 v2, v48, v3, vcc_lo
	v_cmp_eq_u32_e32 vcc_lo, 1, v43
	v_or_b32_e32 v31, 0x200, v0
	s_delay_alu instid0(VALU_DEP_3) | instskip(SKIP_2) | instid1(VALU_DEP_3)
	v_dual_cndmask_b32 v3, v49, v4 :: v_dual_lshlrev_b32 v2, 2, v2
	v_sub_nc_u32_e32 v4, v5, v17
	v_sub_nc_u32_e32 v5, v6, v17
	v_lshlrev_b32_e32 v3, 2, v3
	s_delay_alu instid0(VALU_DEP_3) | instskip(NEXT) | instid1(VALU_DEP_3)
	v_sub_nc_u32_e32 v1, v36, v4
	v_sub_nc_u32_e32 v6, v36, v5
	ds_store_b32 v2, v28
	ds_store_b32 v3, v29
	v_and_b32_e32 v2, 1, v40
	v_add_nc_u32_e32 v1, 4, v1
	v_add_nc_u32_e32 v3, 5, v6
	v_sub_nc_u32_e32 v6, v7, v17
	v_and_b32_e32 v7, 1, v45
	v_cmp_eq_u32_e32 vcc_lo, 1, v2
	v_sub_nc_u32_e32 v2, v8, v17
	v_and_b32_e32 v8, 1, v41
	v_or_b32_e32 v29, 0x400, v0
	v_or_b32_e32 v28, 0x500, v0
	v_cndmask_b32_e32 v1, v1, v4, vcc_lo
	v_sub_nc_u32_e32 v4, v36, v6
	v_cmp_eq_u32_e32 vcc_lo, 1, v7
	v_and_b32_e32 v7, 1, v44
	s_delay_alu instid0(VALU_DEP_4) | instskip(NEXT) | instid1(VALU_DEP_4)
	v_lshlrev_b32_e32 v1, 2, v1
	v_dual_cndmask_b32 v3, v3, v5 :: v_dual_add_nc_u32 v4, 6, v4
	v_sub_nc_u32_e32 v5, v36, v2
	s_delay_alu instid0(VALU_DEP_4) | instskip(SKIP_2) | instid1(VALU_DEP_4)
	v_cmp_eq_u32_e32 vcc_lo, 1, v7
	v_sub_nc_u32_e32 v7, v13, v17
	v_add_co_u32 v13, s0, s16, v32
	v_dual_cndmask_b32 v4, v4, v6 :: v_dual_add_nc_u32 v5, 7, v5
	v_cmp_eq_u32_e32 vcc_lo, 1, v8
	v_sub_nc_u32_e32 v6, v9, v17
	v_lshlrev_b32_e32 v3, 2, v3
	ds_store_b32 v1, v26
	ds_store_b32 v3, v27
	v_cndmask_b32_e32 v2, v5, v2, vcc_lo
	v_sub_nc_u32_e32 v1, v36, v6
	v_lshlrev_b32_e32 v3, 2, v4
	v_and_b32_e32 v5, 1, v38
	v_sub_nc_u32_e32 v4, v10, v17
	v_lshlrev_b32_e32 v2, 2, v2
	v_add_nc_u32_e32 v1, 8, v1
	ds_store_b32 v3, v24
	ds_store_b32 v2, v25
	v_cmp_eq_u32_e32 vcc_lo, 1, v5
	v_sub_nc_u32_e32 v3, v11, v17
	v_sub_nc_u32_e32 v2, v36, v4
	;; [unrolled: 1-line block ×3, first 2 shown]
	v_dual_cndmask_b32 v1, v1, v6 :: v_dual_and_b32 v10, 1, v39
	v_and_b32_e32 v6, 1, v15
	v_sub_nc_u32_e32 v8, v36, v3
	v_add_nc_u32_e32 v2, 9, v2
	v_sub_nc_u32_e32 v9, v36, v5
	v_and_b32_e32 v11, 1, v37
	v_cmp_eq_u32_e32 vcc_lo, 1, v6
	v_add_nc_u32_e32 v6, 10, v8
	v_and_b32_e32 v8, 1, v14
	v_add_nc_u32_e32 v9, 11, v9
	v_dual_cndmask_b32 v2, v2, v4 :: v_dual_lshlrev_b32 v1, 2, v1
	v_sub_nc_u32_e32 v4, v36, v7
	s_delay_alu instid0(VALU_DEP_4) | instskip(SKIP_1) | instid1(VALU_DEP_4)
	v_cmp_eq_u32_e32 vcc_lo, 1, v8
	v_add_co_ci_u32_e64 v14, null, s17, 0, s0
	v_lshlrev_b32_e32 v2, 2, v2
	s_delay_alu instid0(VALU_DEP_4)
	v_dual_cndmask_b32 v3, v6, v3 :: v_dual_add_nc_u32 v4, 12, v4
	v_cmp_eq_u32_e32 vcc_lo, 1, v10
	v_or_b32_e32 v27, 0x600, v0
	v_or_b32_e32 v26, 0x700, v0
	;; [unrolled: 1-line block ×3, first 2 shown]
	v_lshlrev_b32_e32 v3, 2, v3
	v_cndmask_b32_e32 v5, v9, v5, vcc_lo
	v_cmp_eq_u32_e32 vcc_lo, 1, v11
	v_or_b32_e32 v24, 0x900, v0
	s_delay_alu instid0(VALU_DEP_3) | instskip(SKIP_2) | instid1(VALU_DEP_3)
	v_dual_cndmask_b32 v4, v4, v7 :: v_dual_lshlrev_b32 v5, 2, v5
	v_sub_co_u32 v13, vcc_lo, s14, v13
	v_sub_co_ci_u32_e32 v14, vcc_lo, s15, v14, vcc_lo
	v_lshlrev_b32_e32 v4, 2, v4
	ds_store_b32 v1, v22
	ds_store_b32 v2, v23
	;; [unrolled: 1-line block ×5, first 2 shown]
	s_waitcnt lgkmcnt(0)
	s_barrier
	buffer_gl0_inv
	ds_load_2addr_stride64_b32 v[11:12], v33 offset1:4
	ds_load_2addr_stride64_b32 v[9:10], v33 offset0:8 offset1:12
	ds_load_2addr_stride64_b32 v[7:8], v33 offset0:16 offset1:20
	;; [unrolled: 1-line block ×5, first 2 shown]
	ds_load_b32 v20, v33 offset:12288
	v_add_co_u32 v15, vcc_lo, v18, v17
	v_add_co_ci_u32_e32 v17, vcc_lo, 0, v19, vcc_lo
	v_add_co_u32 v13, vcc_lo, v13, v16
	v_add_co_ci_u32_e32 v14, vcc_lo, 0, v14, vcc_lo
	v_cmp_ne_u32_e32 vcc_lo, 1, v34
	s_delay_alu instid0(VALU_DEP_3)
	v_add_co_u32 v18, s0, v13, v15
	v_or_b32_e32 v35, 0x100, v0
	v_or_b32_e32 v23, 0xa00, v0
	;; [unrolled: 1-line block ×4, first 2 shown]
	v_add_co_ci_u32_e64 v19, s0, v14, v17, s0
	s_mov_b32 s0, 0
	s_cbranch_vccnz .LBB1426_131
; %bb.75:
	s_mov_b32 s0, exec_lo
                                        ; implicit-def: $vgpr13_vgpr14
	v_cmpx_ge_u32_e64 v0, v16
	s_xor_b32 s0, exec_lo, s0
; %bb.76:
	v_not_b32_e32 v13, v0
	s_delay_alu instid0(VALU_DEP_1) | instskip(SKIP_1) | instid1(VALU_DEP_2)
	v_ashrrev_i32_e32 v14, 31, v13
	v_add_co_u32 v13, vcc_lo, v18, v13
	v_add_co_ci_u32_e32 v14, vcc_lo, v19, v14, vcc_lo
; %bb.77:
	s_and_not1_saveexec_b32 s0, s0
; %bb.78:
	v_add_co_u32 v13, vcc_lo, v15, v0
	v_add_co_ci_u32_e32 v14, vcc_lo, 0, v17, vcc_lo
; %bb.79:
	s_or_b32 exec_lo, exec_lo, s0
	s_delay_alu instid0(VALU_DEP_1) | instskip(SKIP_1) | instid1(VALU_DEP_1)
	v_lshlrev_b64 v[13:14], 2, v[13:14]
	s_mov_b32 s0, exec_lo
	v_add_co_u32 v13, vcc_lo, s12, v13
	s_delay_alu instid0(VALU_DEP_2)
	v_add_co_ci_u32_e32 v14, vcc_lo, s13, v14, vcc_lo
	s_waitcnt lgkmcnt(6)
	global_store_b32 v[13:14], v11, off
                                        ; implicit-def: $vgpr13_vgpr14
	v_cmpx_ge_u32_e64 v35, v16
	s_xor_b32 s0, exec_lo, s0
; %bb.80:
	v_xor_b32_e32 v13, 0xfffffeff, v0
	s_delay_alu instid0(VALU_DEP_1) | instskip(SKIP_1) | instid1(VALU_DEP_2)
	v_ashrrev_i32_e32 v14, 31, v13
	v_add_co_u32 v13, vcc_lo, v18, v13
	v_add_co_ci_u32_e32 v14, vcc_lo, v19, v14, vcc_lo
; %bb.81:
	s_and_not1_saveexec_b32 s0, s0
; %bb.82:
	v_add_co_u32 v13, vcc_lo, v15, v35
	v_add_co_ci_u32_e32 v14, vcc_lo, 0, v17, vcc_lo
; %bb.83:
	s_or_b32 exec_lo, exec_lo, s0
	s_delay_alu instid0(VALU_DEP_1) | instskip(SKIP_1) | instid1(VALU_DEP_1)
	v_lshlrev_b64 v[13:14], 2, v[13:14]
	s_mov_b32 s0, exec_lo
	v_add_co_u32 v13, vcc_lo, s12, v13
	s_delay_alu instid0(VALU_DEP_2)
	v_add_co_ci_u32_e32 v14, vcc_lo, s13, v14, vcc_lo
	global_store_b32 v[13:14], v12, off
                                        ; implicit-def: $vgpr13_vgpr14
	v_cmpx_ge_u32_e64 v31, v16
	s_xor_b32 s0, exec_lo, s0
; %bb.84:
	v_xor_b32_e32 v13, 0xfffffdff, v0
	s_delay_alu instid0(VALU_DEP_1) | instskip(SKIP_1) | instid1(VALU_DEP_2)
	v_ashrrev_i32_e32 v14, 31, v13
	v_add_co_u32 v13, vcc_lo, v18, v13
	v_add_co_ci_u32_e32 v14, vcc_lo, v19, v14, vcc_lo
; %bb.85:
	s_and_not1_saveexec_b32 s0, s0
; %bb.86:
	v_add_co_u32 v13, vcc_lo, v15, v31
	v_add_co_ci_u32_e32 v14, vcc_lo, 0, v17, vcc_lo
; %bb.87:
	s_or_b32 exec_lo, exec_lo, s0
	s_delay_alu instid0(VALU_DEP_1) | instskip(SKIP_1) | instid1(VALU_DEP_1)
	v_lshlrev_b64 v[13:14], 2, v[13:14]
	s_mov_b32 s0, exec_lo
	v_add_co_u32 v13, vcc_lo, s12, v13
	s_delay_alu instid0(VALU_DEP_2)
	v_add_co_ci_u32_e32 v14, vcc_lo, s13, v14, vcc_lo
	s_waitcnt lgkmcnt(5)
	global_store_b32 v[13:14], v9, off
                                        ; implicit-def: $vgpr13_vgpr14
	v_cmpx_ge_u32_e64 v30, v16
	s_xor_b32 s0, exec_lo, s0
; %bb.88:
	v_xor_b32_e32 v13, 0xfffffcff, v0
	s_delay_alu instid0(VALU_DEP_1) | instskip(SKIP_1) | instid1(VALU_DEP_2)
	v_ashrrev_i32_e32 v14, 31, v13
	v_add_co_u32 v13, vcc_lo, v18, v13
	v_add_co_ci_u32_e32 v14, vcc_lo, v19, v14, vcc_lo
; %bb.89:
	s_and_not1_saveexec_b32 s0, s0
; %bb.90:
	v_add_co_u32 v13, vcc_lo, v15, v30
	v_add_co_ci_u32_e32 v14, vcc_lo, 0, v17, vcc_lo
; %bb.91:
	s_or_b32 exec_lo, exec_lo, s0
	s_delay_alu instid0(VALU_DEP_1) | instskip(SKIP_1) | instid1(VALU_DEP_1)
	v_lshlrev_b64 v[13:14], 2, v[13:14]
	s_mov_b32 s0, exec_lo
	v_add_co_u32 v13, vcc_lo, s12, v13
	s_delay_alu instid0(VALU_DEP_2)
	v_add_co_ci_u32_e32 v14, vcc_lo, s13, v14, vcc_lo
	global_store_b32 v[13:14], v10, off
                                        ; implicit-def: $vgpr13_vgpr14
	v_cmpx_ge_u32_e64 v29, v16
	s_xor_b32 s0, exec_lo, s0
; %bb.92:
	v_xor_b32_e32 v13, 0xfffffbff, v0
	s_delay_alu instid0(VALU_DEP_1) | instskip(SKIP_1) | instid1(VALU_DEP_2)
	v_ashrrev_i32_e32 v14, 31, v13
	v_add_co_u32 v13, vcc_lo, v18, v13
	v_add_co_ci_u32_e32 v14, vcc_lo, v19, v14, vcc_lo
; %bb.93:
	s_and_not1_saveexec_b32 s0, s0
; %bb.94:
	v_add_co_u32 v13, vcc_lo, v15, v29
	v_add_co_ci_u32_e32 v14, vcc_lo, 0, v17, vcc_lo
; %bb.95:
	s_or_b32 exec_lo, exec_lo, s0
	s_delay_alu instid0(VALU_DEP_1) | instskip(SKIP_1) | instid1(VALU_DEP_1)
	v_lshlrev_b64 v[13:14], 2, v[13:14]
	s_mov_b32 s0, exec_lo
	v_add_co_u32 v13, vcc_lo, s12, v13
	s_delay_alu instid0(VALU_DEP_2)
	v_add_co_ci_u32_e32 v14, vcc_lo, s13, v14, vcc_lo
	s_waitcnt lgkmcnt(4)
	global_store_b32 v[13:14], v7, off
                                        ; implicit-def: $vgpr13_vgpr14
	v_cmpx_ge_u32_e64 v28, v16
	s_xor_b32 s0, exec_lo, s0
; %bb.96:
	v_xor_b32_e32 v13, 0xfffffaff, v0
	s_delay_alu instid0(VALU_DEP_1) | instskip(SKIP_1) | instid1(VALU_DEP_2)
	v_ashrrev_i32_e32 v14, 31, v13
	v_add_co_u32 v13, vcc_lo, v18, v13
	v_add_co_ci_u32_e32 v14, vcc_lo, v19, v14, vcc_lo
; %bb.97:
	s_and_not1_saveexec_b32 s0, s0
; %bb.98:
	v_add_co_u32 v13, vcc_lo, v15, v28
	v_add_co_ci_u32_e32 v14, vcc_lo, 0, v17, vcc_lo
; %bb.99:
	s_or_b32 exec_lo, exec_lo, s0
	s_delay_alu instid0(VALU_DEP_1) | instskip(SKIP_1) | instid1(VALU_DEP_1)
	v_lshlrev_b64 v[13:14], 2, v[13:14]
	s_mov_b32 s0, exec_lo
	v_add_co_u32 v13, vcc_lo, s12, v13
	s_delay_alu instid0(VALU_DEP_2)
	v_add_co_ci_u32_e32 v14, vcc_lo, s13, v14, vcc_lo
	global_store_b32 v[13:14], v8, off
                                        ; implicit-def: $vgpr13_vgpr14
	v_cmpx_ge_u32_e64 v27, v16
	s_xor_b32 s0, exec_lo, s0
; %bb.100:
	v_xor_b32_e32 v13, 0xfffff9ff, v0
	s_delay_alu instid0(VALU_DEP_1) | instskip(SKIP_1) | instid1(VALU_DEP_2)
	v_ashrrev_i32_e32 v14, 31, v13
	v_add_co_u32 v13, vcc_lo, v18, v13
	v_add_co_ci_u32_e32 v14, vcc_lo, v19, v14, vcc_lo
; %bb.101:
	s_and_not1_saveexec_b32 s0, s0
; %bb.102:
	v_add_co_u32 v13, vcc_lo, v15, v27
	v_add_co_ci_u32_e32 v14, vcc_lo, 0, v17, vcc_lo
; %bb.103:
	s_or_b32 exec_lo, exec_lo, s0
	s_delay_alu instid0(VALU_DEP_1) | instskip(SKIP_1) | instid1(VALU_DEP_1)
	v_lshlrev_b64 v[13:14], 2, v[13:14]
	s_mov_b32 s0, exec_lo
	v_add_co_u32 v13, vcc_lo, s12, v13
	s_delay_alu instid0(VALU_DEP_2)
	v_add_co_ci_u32_e32 v14, vcc_lo, s13, v14, vcc_lo
	s_waitcnt lgkmcnt(3)
	global_store_b32 v[13:14], v5, off
                                        ; implicit-def: $vgpr13_vgpr14
	v_cmpx_ge_u32_e64 v26, v16
	s_xor_b32 s0, exec_lo, s0
; %bb.104:
	v_xor_b32_e32 v13, 0xfffff8ff, v0
	s_delay_alu instid0(VALU_DEP_1) | instskip(SKIP_1) | instid1(VALU_DEP_2)
	v_ashrrev_i32_e32 v14, 31, v13
	v_add_co_u32 v13, vcc_lo, v18, v13
	v_add_co_ci_u32_e32 v14, vcc_lo, v19, v14, vcc_lo
; %bb.105:
	s_and_not1_saveexec_b32 s0, s0
; %bb.106:
	v_add_co_u32 v13, vcc_lo, v15, v26
	v_add_co_ci_u32_e32 v14, vcc_lo, 0, v17, vcc_lo
; %bb.107:
	s_or_b32 exec_lo, exec_lo, s0
	s_delay_alu instid0(VALU_DEP_1) | instskip(SKIP_1) | instid1(VALU_DEP_1)
	v_lshlrev_b64 v[13:14], 2, v[13:14]
	s_mov_b32 s0, exec_lo
	v_add_co_u32 v13, vcc_lo, s12, v13
	s_delay_alu instid0(VALU_DEP_2)
	v_add_co_ci_u32_e32 v14, vcc_lo, s13, v14, vcc_lo
	global_store_b32 v[13:14], v6, off
                                        ; implicit-def: $vgpr13_vgpr14
	v_cmpx_ge_u32_e64 v25, v16
	s_xor_b32 s0, exec_lo, s0
; %bb.108:
	v_xor_b32_e32 v13, 0xfffff7ff, v0
	s_delay_alu instid0(VALU_DEP_1) | instskip(SKIP_1) | instid1(VALU_DEP_2)
	v_ashrrev_i32_e32 v14, 31, v13
	v_add_co_u32 v13, vcc_lo, v18, v13
	v_add_co_ci_u32_e32 v14, vcc_lo, v19, v14, vcc_lo
; %bb.109:
	s_and_not1_saveexec_b32 s0, s0
; %bb.110:
	v_add_co_u32 v13, vcc_lo, v15, v25
	v_add_co_ci_u32_e32 v14, vcc_lo, 0, v17, vcc_lo
; %bb.111:
	s_or_b32 exec_lo, exec_lo, s0
	s_delay_alu instid0(VALU_DEP_1) | instskip(SKIP_1) | instid1(VALU_DEP_1)
	v_lshlrev_b64 v[13:14], 2, v[13:14]
	s_mov_b32 s0, exec_lo
	v_add_co_u32 v13, vcc_lo, s12, v13
	s_delay_alu instid0(VALU_DEP_2)
	v_add_co_ci_u32_e32 v14, vcc_lo, s13, v14, vcc_lo
	s_waitcnt lgkmcnt(2)
	global_store_b32 v[13:14], v3, off
                                        ; implicit-def: $vgpr13_vgpr14
	v_cmpx_ge_u32_e64 v24, v16
	s_xor_b32 s0, exec_lo, s0
; %bb.112:
	v_xor_b32_e32 v13, 0xfffff6ff, v0
	s_delay_alu instid0(VALU_DEP_1) | instskip(SKIP_1) | instid1(VALU_DEP_2)
	v_ashrrev_i32_e32 v14, 31, v13
	v_add_co_u32 v13, vcc_lo, v18, v13
	v_add_co_ci_u32_e32 v14, vcc_lo, v19, v14, vcc_lo
; %bb.113:
	s_and_not1_saveexec_b32 s0, s0
; %bb.114:
	v_add_co_u32 v13, vcc_lo, v15, v24
	v_add_co_ci_u32_e32 v14, vcc_lo, 0, v17, vcc_lo
; %bb.115:
	s_or_b32 exec_lo, exec_lo, s0
	s_delay_alu instid0(VALU_DEP_1) | instskip(SKIP_1) | instid1(VALU_DEP_1)
	v_lshlrev_b64 v[13:14], 2, v[13:14]
	s_mov_b32 s0, exec_lo
	v_add_co_u32 v13, vcc_lo, s12, v13
	s_delay_alu instid0(VALU_DEP_2)
	v_add_co_ci_u32_e32 v14, vcc_lo, s13, v14, vcc_lo
	global_store_b32 v[13:14], v4, off
                                        ; implicit-def: $vgpr13_vgpr14
	v_cmpx_ge_u32_e64 v23, v16
	s_xor_b32 s0, exec_lo, s0
; %bb.116:
	v_xor_b32_e32 v13, 0xfffff5ff, v0
	s_delay_alu instid0(VALU_DEP_1) | instskip(SKIP_1) | instid1(VALU_DEP_2)
	v_ashrrev_i32_e32 v14, 31, v13
	v_add_co_u32 v13, vcc_lo, v18, v13
	v_add_co_ci_u32_e32 v14, vcc_lo, v19, v14, vcc_lo
; %bb.117:
	s_and_not1_saveexec_b32 s0, s0
; %bb.118:
	v_add_co_u32 v13, vcc_lo, v15, v23
	v_add_co_ci_u32_e32 v14, vcc_lo, 0, v17, vcc_lo
; %bb.119:
	s_or_b32 exec_lo, exec_lo, s0
	s_delay_alu instid0(VALU_DEP_1) | instskip(SKIP_1) | instid1(VALU_DEP_1)
	v_lshlrev_b64 v[13:14], 2, v[13:14]
	s_mov_b32 s0, exec_lo
	v_add_co_u32 v13, vcc_lo, s12, v13
	s_delay_alu instid0(VALU_DEP_2)
	v_add_co_ci_u32_e32 v14, vcc_lo, s13, v14, vcc_lo
	s_waitcnt lgkmcnt(1)
	global_store_b32 v[13:14], v1, off
                                        ; implicit-def: $vgpr13_vgpr14
	v_cmpx_ge_u32_e64 v22, v16
	s_xor_b32 s0, exec_lo, s0
; %bb.120:
	v_xor_b32_e32 v13, 0xfffff4ff, v0
	s_delay_alu instid0(VALU_DEP_1) | instskip(SKIP_1) | instid1(VALU_DEP_2)
	v_ashrrev_i32_e32 v14, 31, v13
	v_add_co_u32 v13, vcc_lo, v18, v13
	v_add_co_ci_u32_e32 v14, vcc_lo, v19, v14, vcc_lo
; %bb.121:
	s_and_not1_saveexec_b32 s0, s0
; %bb.122:
	v_add_co_u32 v13, vcc_lo, v15, v22
	v_add_co_ci_u32_e32 v14, vcc_lo, 0, v17, vcc_lo
; %bb.123:
	s_or_b32 exec_lo, exec_lo, s0
	s_delay_alu instid0(VALU_DEP_1) | instskip(SKIP_1) | instid1(VALU_DEP_1)
	v_lshlrev_b64 v[13:14], 2, v[13:14]
	s_mov_b32 s0, exec_lo
	v_add_co_u32 v13, vcc_lo, s12, v13
	s_delay_alu instid0(VALU_DEP_2)
	v_add_co_ci_u32_e32 v14, vcc_lo, s13, v14, vcc_lo
	global_store_b32 v[13:14], v2, off
                                        ; implicit-def: $vgpr13_vgpr14
	v_cmpx_ge_u32_e64 v21, v16
	s_xor_b32 s0, exec_lo, s0
; %bb.124:
	v_xor_b32_e32 v13, 0xfffff3ff, v0
	s_delay_alu instid0(VALU_DEP_1) | instskip(SKIP_1) | instid1(VALU_DEP_2)
	v_ashrrev_i32_e32 v14, 31, v13
	v_add_co_u32 v13, vcc_lo, v18, v13
	v_add_co_ci_u32_e32 v14, vcc_lo, v19, v14, vcc_lo
; %bb.125:
	s_and_not1_saveexec_b32 s0, s0
; %bb.126:
	v_add_co_u32 v13, vcc_lo, v15, v21
	v_add_co_ci_u32_e32 v14, vcc_lo, 0, v17, vcc_lo
; %bb.127:
	s_or_b32 exec_lo, exec_lo, s0
	s_mov_b32 s0, -1
.LBB1426_128:
	s_delay_alu instid0(SALU_CYCLE_1)
	s_and_saveexec_b32 s1, s0
	s_cbranch_execz .LBB1426_211
.LBB1426_129:
	s_waitcnt lgkmcnt(1)
	v_lshlrev_b64 v[0:1], 2, v[13:14]
	s_delay_alu instid0(VALU_DEP_1) | instskip(NEXT) | instid1(VALU_DEP_2)
	v_add_co_u32 v0, vcc_lo, s12, v0
	v_add_co_ci_u32_e32 v1, vcc_lo, s13, v1, vcc_lo
	s_waitcnt lgkmcnt(0)
	global_store_b32 v[0:1], v20, off
	s_or_b32 exec_lo, exec_lo, s1
	s_and_b32 s0, s2, s10
	s_delay_alu instid0(SALU_CYCLE_1)
	s_and_saveexec_b32 s1, s0
	s_cbranch_execnz .LBB1426_212
.LBB1426_130:
	s_nop 0
	s_sendmsg sendmsg(MSG_DEALLOC_VGPRS)
	s_endpgm
.LBB1426_131:
                                        ; implicit-def: $vgpr13_vgpr14
	s_cbranch_execz .LBB1426_128
; %bb.132:
	s_mov_b32 s1, exec_lo
	v_cmpx_gt_u32_e64 s11, v0
	s_cbranch_execz .LBB1426_168
; %bb.133:
	s_mov_b32 s3, exec_lo
                                        ; implicit-def: $vgpr13_vgpr14
	v_cmpx_ge_u32_e64 v0, v16
	s_xor_b32 s3, exec_lo, s3
; %bb.134:
	v_not_b32_e32 v13, v0
	s_delay_alu instid0(VALU_DEP_1) | instskip(SKIP_1) | instid1(VALU_DEP_2)
	v_ashrrev_i32_e32 v14, 31, v13
	v_add_co_u32 v13, vcc_lo, v18, v13
	v_add_co_ci_u32_e32 v14, vcc_lo, v19, v14, vcc_lo
; %bb.135:
	s_and_not1_saveexec_b32 s3, s3
; %bb.136:
	v_add_co_u32 v13, vcc_lo, v15, v0
	v_add_co_ci_u32_e32 v14, vcc_lo, 0, v17, vcc_lo
; %bb.137:
	s_or_b32 exec_lo, exec_lo, s3
	s_delay_alu instid0(VALU_DEP_1) | instskip(NEXT) | instid1(VALU_DEP_1)
	v_lshlrev_b64 v[13:14], 2, v[13:14]
	v_add_co_u32 v13, vcc_lo, s12, v13
	s_delay_alu instid0(VALU_DEP_2) | instskip(SKIP_3) | instid1(SALU_CYCLE_1)
	v_add_co_ci_u32_e32 v14, vcc_lo, s13, v14, vcc_lo
	s_waitcnt lgkmcnt(6)
	global_store_b32 v[13:14], v11, off
	s_or_b32 exec_lo, exec_lo, s1
	s_mov_b32 s1, exec_lo
	v_cmpx_gt_u32_e64 s11, v35
	s_cbranch_execnz .LBB1426_169
.LBB1426_138:
	s_or_b32 exec_lo, exec_lo, s1
	s_delay_alu instid0(SALU_CYCLE_1)
	s_mov_b32 s1, exec_lo
	v_cmpx_gt_u32_e64 s11, v31
	s_cbranch_execz .LBB1426_174
.LBB1426_139:
	s_mov_b32 s3, exec_lo
                                        ; implicit-def: $vgpr11_vgpr12
	v_cmpx_ge_u32_e64 v31, v16
	s_xor_b32 s3, exec_lo, s3
	s_cbranch_execz .LBB1426_141
; %bb.140:
	s_waitcnt lgkmcnt(6)
	v_xor_b32_e32 v11, 0xfffffdff, v0
                                        ; implicit-def: $vgpr31
	s_delay_alu instid0(VALU_DEP_1) | instskip(SKIP_1) | instid1(VALU_DEP_2)
	v_ashrrev_i32_e32 v12, 31, v11
	v_add_co_u32 v11, vcc_lo, v18, v11
	v_add_co_ci_u32_e32 v12, vcc_lo, v19, v12, vcc_lo
.LBB1426_141:
	s_and_not1_saveexec_b32 s3, s3
	s_cbranch_execz .LBB1426_143
; %bb.142:
	s_waitcnt lgkmcnt(6)
	v_add_co_u32 v11, vcc_lo, v15, v31
	v_add_co_ci_u32_e32 v12, vcc_lo, 0, v17, vcc_lo
.LBB1426_143:
	s_or_b32 exec_lo, exec_lo, s3
	s_waitcnt lgkmcnt(6)
	s_delay_alu instid0(VALU_DEP_1) | instskip(NEXT) | instid1(VALU_DEP_1)
	v_lshlrev_b64 v[11:12], 2, v[11:12]
	v_add_co_u32 v11, vcc_lo, s12, v11
	s_delay_alu instid0(VALU_DEP_2) | instskip(SKIP_3) | instid1(SALU_CYCLE_1)
	v_add_co_ci_u32_e32 v12, vcc_lo, s13, v12, vcc_lo
	s_waitcnt lgkmcnt(5)
	global_store_b32 v[11:12], v9, off
	s_or_b32 exec_lo, exec_lo, s1
	s_mov_b32 s1, exec_lo
	v_cmpx_gt_u32_e64 s11, v30
	s_cbranch_execnz .LBB1426_175
.LBB1426_144:
	s_or_b32 exec_lo, exec_lo, s1
	s_delay_alu instid0(SALU_CYCLE_1)
	s_mov_b32 s1, exec_lo
	v_cmpx_gt_u32_e64 s11, v29
	s_cbranch_execz .LBB1426_180
.LBB1426_145:
	s_mov_b32 s3, exec_lo
                                        ; implicit-def: $vgpr9_vgpr10
	v_cmpx_ge_u32_e64 v29, v16
	s_xor_b32 s3, exec_lo, s3
	s_cbranch_execz .LBB1426_147
; %bb.146:
	s_waitcnt lgkmcnt(5)
	v_xor_b32_e32 v9, 0xfffffbff, v0
                                        ; implicit-def: $vgpr29
	s_delay_alu instid0(VALU_DEP_1) | instskip(SKIP_1) | instid1(VALU_DEP_2)
	v_ashrrev_i32_e32 v10, 31, v9
	v_add_co_u32 v9, vcc_lo, v18, v9
	v_add_co_ci_u32_e32 v10, vcc_lo, v19, v10, vcc_lo
.LBB1426_147:
	s_and_not1_saveexec_b32 s3, s3
	s_cbranch_execz .LBB1426_149
; %bb.148:
	s_waitcnt lgkmcnt(5)
	v_add_co_u32 v9, vcc_lo, v15, v29
	v_add_co_ci_u32_e32 v10, vcc_lo, 0, v17, vcc_lo
.LBB1426_149:
	s_or_b32 exec_lo, exec_lo, s3
	s_waitcnt lgkmcnt(5)
	s_delay_alu instid0(VALU_DEP_1) | instskip(NEXT) | instid1(VALU_DEP_1)
	v_lshlrev_b64 v[9:10], 2, v[9:10]
	v_add_co_u32 v9, vcc_lo, s12, v9
	s_delay_alu instid0(VALU_DEP_2) | instskip(SKIP_3) | instid1(SALU_CYCLE_1)
	v_add_co_ci_u32_e32 v10, vcc_lo, s13, v10, vcc_lo
	s_waitcnt lgkmcnt(4)
	global_store_b32 v[9:10], v7, off
	s_or_b32 exec_lo, exec_lo, s1
	s_mov_b32 s1, exec_lo
	v_cmpx_gt_u32_e64 s11, v28
	s_cbranch_execnz .LBB1426_181
.LBB1426_150:
	s_or_b32 exec_lo, exec_lo, s1
	s_delay_alu instid0(SALU_CYCLE_1)
	s_mov_b32 s1, exec_lo
	v_cmpx_gt_u32_e64 s11, v27
	s_cbranch_execz .LBB1426_186
.LBB1426_151:
	s_mov_b32 s3, exec_lo
                                        ; implicit-def: $vgpr7_vgpr8
	v_cmpx_ge_u32_e64 v27, v16
	s_xor_b32 s3, exec_lo, s3
	s_cbranch_execz .LBB1426_153
; %bb.152:
	s_waitcnt lgkmcnt(4)
	v_xor_b32_e32 v7, 0xfffff9ff, v0
                                        ; implicit-def: $vgpr27
	s_delay_alu instid0(VALU_DEP_1) | instskip(SKIP_1) | instid1(VALU_DEP_2)
	v_ashrrev_i32_e32 v8, 31, v7
	v_add_co_u32 v7, vcc_lo, v18, v7
	v_add_co_ci_u32_e32 v8, vcc_lo, v19, v8, vcc_lo
.LBB1426_153:
	s_and_not1_saveexec_b32 s3, s3
	s_cbranch_execz .LBB1426_155
; %bb.154:
	s_waitcnt lgkmcnt(4)
	v_add_co_u32 v7, vcc_lo, v15, v27
	v_add_co_ci_u32_e32 v8, vcc_lo, 0, v17, vcc_lo
.LBB1426_155:
	s_or_b32 exec_lo, exec_lo, s3
	s_waitcnt lgkmcnt(4)
	s_delay_alu instid0(VALU_DEP_1) | instskip(NEXT) | instid1(VALU_DEP_1)
	v_lshlrev_b64 v[7:8], 2, v[7:8]
	v_add_co_u32 v7, vcc_lo, s12, v7
	s_delay_alu instid0(VALU_DEP_2) | instskip(SKIP_3) | instid1(SALU_CYCLE_1)
	v_add_co_ci_u32_e32 v8, vcc_lo, s13, v8, vcc_lo
	s_waitcnt lgkmcnt(3)
	global_store_b32 v[7:8], v5, off
	s_or_b32 exec_lo, exec_lo, s1
	s_mov_b32 s1, exec_lo
	v_cmpx_gt_u32_e64 s11, v26
	s_cbranch_execnz .LBB1426_187
.LBB1426_156:
	s_or_b32 exec_lo, exec_lo, s1
	s_delay_alu instid0(SALU_CYCLE_1)
	s_mov_b32 s1, exec_lo
	v_cmpx_gt_u32_e64 s11, v25
	s_cbranch_execz .LBB1426_192
.LBB1426_157:
	s_mov_b32 s3, exec_lo
                                        ; implicit-def: $vgpr5_vgpr6
	v_cmpx_ge_u32_e64 v25, v16
	s_xor_b32 s3, exec_lo, s3
	s_cbranch_execz .LBB1426_159
; %bb.158:
	s_waitcnt lgkmcnt(3)
	v_xor_b32_e32 v5, 0xfffff7ff, v0
                                        ; implicit-def: $vgpr25
	s_delay_alu instid0(VALU_DEP_1) | instskip(SKIP_1) | instid1(VALU_DEP_2)
	v_ashrrev_i32_e32 v6, 31, v5
	v_add_co_u32 v5, vcc_lo, v18, v5
	v_add_co_ci_u32_e32 v6, vcc_lo, v19, v6, vcc_lo
.LBB1426_159:
	s_and_not1_saveexec_b32 s3, s3
	s_cbranch_execz .LBB1426_161
; %bb.160:
	s_waitcnt lgkmcnt(3)
	v_add_co_u32 v5, vcc_lo, v15, v25
	v_add_co_ci_u32_e32 v6, vcc_lo, 0, v17, vcc_lo
.LBB1426_161:
	s_or_b32 exec_lo, exec_lo, s3
	s_waitcnt lgkmcnt(3)
	s_delay_alu instid0(VALU_DEP_1) | instskip(NEXT) | instid1(VALU_DEP_1)
	v_lshlrev_b64 v[5:6], 2, v[5:6]
	v_add_co_u32 v5, vcc_lo, s12, v5
	s_delay_alu instid0(VALU_DEP_2) | instskip(SKIP_3) | instid1(SALU_CYCLE_1)
	v_add_co_ci_u32_e32 v6, vcc_lo, s13, v6, vcc_lo
	s_waitcnt lgkmcnt(2)
	global_store_b32 v[5:6], v3, off
	s_or_b32 exec_lo, exec_lo, s1
	s_mov_b32 s1, exec_lo
	v_cmpx_gt_u32_e64 s11, v24
	s_cbranch_execnz .LBB1426_193
.LBB1426_162:
	s_or_b32 exec_lo, exec_lo, s1
	s_delay_alu instid0(SALU_CYCLE_1)
	s_mov_b32 s1, exec_lo
	v_cmpx_gt_u32_e64 s11, v23
	s_cbranch_execz .LBB1426_198
.LBB1426_163:
	s_mov_b32 s3, exec_lo
                                        ; implicit-def: $vgpr3_vgpr4
	v_cmpx_ge_u32_e64 v23, v16
	s_xor_b32 s3, exec_lo, s3
	s_cbranch_execz .LBB1426_165
; %bb.164:
	s_waitcnt lgkmcnt(2)
	v_xor_b32_e32 v3, 0xfffff5ff, v0
                                        ; implicit-def: $vgpr23
	s_delay_alu instid0(VALU_DEP_1) | instskip(SKIP_1) | instid1(VALU_DEP_2)
	v_ashrrev_i32_e32 v4, 31, v3
	v_add_co_u32 v3, vcc_lo, v18, v3
	v_add_co_ci_u32_e32 v4, vcc_lo, v19, v4, vcc_lo
.LBB1426_165:
	s_and_not1_saveexec_b32 s3, s3
	s_cbranch_execz .LBB1426_167
; %bb.166:
	s_waitcnt lgkmcnt(2)
	v_add_co_u32 v3, vcc_lo, v15, v23
	v_add_co_ci_u32_e32 v4, vcc_lo, 0, v17, vcc_lo
.LBB1426_167:
	s_or_b32 exec_lo, exec_lo, s3
	s_waitcnt lgkmcnt(2)
	s_delay_alu instid0(VALU_DEP_1) | instskip(NEXT) | instid1(VALU_DEP_1)
	v_lshlrev_b64 v[3:4], 2, v[3:4]
	v_add_co_u32 v3, vcc_lo, s12, v3
	s_delay_alu instid0(VALU_DEP_2) | instskip(SKIP_3) | instid1(SALU_CYCLE_1)
	v_add_co_ci_u32_e32 v4, vcc_lo, s13, v4, vcc_lo
	s_waitcnt lgkmcnt(1)
	global_store_b32 v[3:4], v1, off
	s_or_b32 exec_lo, exec_lo, s1
	s_mov_b32 s1, exec_lo
	v_cmpx_gt_u32_e64 s11, v22
	s_cbranch_execz .LBB1426_204
	s_branch .LBB1426_199
.LBB1426_168:
	s_or_b32 exec_lo, exec_lo, s1
	s_delay_alu instid0(SALU_CYCLE_1)
	s_mov_b32 s1, exec_lo
	v_cmpx_gt_u32_e64 s11, v35
	s_cbranch_execz .LBB1426_138
.LBB1426_169:
	s_mov_b32 s3, exec_lo
                                        ; implicit-def: $vgpr13_vgpr14
	v_cmpx_ge_u32_e64 v35, v16
	s_xor_b32 s3, exec_lo, s3
	s_cbranch_execz .LBB1426_171
; %bb.170:
	s_waitcnt lgkmcnt(6)
	v_xor_b32_e32 v11, 0xfffffeff, v0
                                        ; implicit-def: $vgpr35
	s_delay_alu instid0(VALU_DEP_1) | instskip(SKIP_1) | instid1(VALU_DEP_2)
	v_ashrrev_i32_e32 v14, 31, v11
	v_add_co_u32 v13, vcc_lo, v18, v11
	v_add_co_ci_u32_e32 v14, vcc_lo, v19, v14, vcc_lo
.LBB1426_171:
	s_and_not1_saveexec_b32 s3, s3
; %bb.172:
	v_add_co_u32 v13, vcc_lo, v15, v35
	v_add_co_ci_u32_e32 v14, vcc_lo, 0, v17, vcc_lo
; %bb.173:
	s_or_b32 exec_lo, exec_lo, s3
	s_delay_alu instid0(VALU_DEP_1) | instskip(NEXT) | instid1(VALU_DEP_1)
	v_lshlrev_b64 v[13:14], 2, v[13:14]
	v_add_co_u32 v13, vcc_lo, s12, v13
	s_delay_alu instid0(VALU_DEP_2) | instskip(SKIP_3) | instid1(SALU_CYCLE_1)
	v_add_co_ci_u32_e32 v14, vcc_lo, s13, v14, vcc_lo
	s_waitcnt lgkmcnt(6)
	global_store_b32 v[13:14], v12, off
	s_or_b32 exec_lo, exec_lo, s1
	s_mov_b32 s1, exec_lo
	v_cmpx_gt_u32_e64 s11, v31
	s_cbranch_execnz .LBB1426_139
.LBB1426_174:
	s_or_b32 exec_lo, exec_lo, s1
	s_delay_alu instid0(SALU_CYCLE_1)
	s_mov_b32 s1, exec_lo
	v_cmpx_gt_u32_e64 s11, v30
	s_cbranch_execz .LBB1426_144
.LBB1426_175:
	s_mov_b32 s3, exec_lo
                                        ; implicit-def: $vgpr11_vgpr12
	v_cmpx_ge_u32_e64 v30, v16
	s_xor_b32 s3, exec_lo, s3
	s_cbranch_execz .LBB1426_177
; %bb.176:
	s_waitcnt lgkmcnt(5)
	v_xor_b32_e32 v9, 0xfffffcff, v0
                                        ; implicit-def: $vgpr30
	s_delay_alu instid0(VALU_DEP_1) | instskip(SKIP_1) | instid1(VALU_DEP_2)
	v_ashrrev_i32_e32 v12, 31, v9
	v_add_co_u32 v11, vcc_lo, v18, v9
	v_add_co_ci_u32_e32 v12, vcc_lo, v19, v12, vcc_lo
.LBB1426_177:
	s_and_not1_saveexec_b32 s3, s3
	s_cbranch_execz .LBB1426_179
; %bb.178:
	s_waitcnt lgkmcnt(6)
	v_add_co_u32 v11, vcc_lo, v15, v30
	v_add_co_ci_u32_e32 v12, vcc_lo, 0, v17, vcc_lo
.LBB1426_179:
	s_or_b32 exec_lo, exec_lo, s3
	s_waitcnt lgkmcnt(6)
	s_delay_alu instid0(VALU_DEP_1) | instskip(NEXT) | instid1(VALU_DEP_1)
	v_lshlrev_b64 v[11:12], 2, v[11:12]
	v_add_co_u32 v11, vcc_lo, s12, v11
	s_delay_alu instid0(VALU_DEP_2) | instskip(SKIP_3) | instid1(SALU_CYCLE_1)
	v_add_co_ci_u32_e32 v12, vcc_lo, s13, v12, vcc_lo
	s_waitcnt lgkmcnt(5)
	global_store_b32 v[11:12], v10, off
	s_or_b32 exec_lo, exec_lo, s1
	s_mov_b32 s1, exec_lo
	v_cmpx_gt_u32_e64 s11, v29
	s_cbranch_execnz .LBB1426_145
.LBB1426_180:
	s_or_b32 exec_lo, exec_lo, s1
	s_delay_alu instid0(SALU_CYCLE_1)
	s_mov_b32 s1, exec_lo
	v_cmpx_gt_u32_e64 s11, v28
	s_cbranch_execz .LBB1426_150
.LBB1426_181:
	s_mov_b32 s3, exec_lo
                                        ; implicit-def: $vgpr9_vgpr10
	v_cmpx_ge_u32_e64 v28, v16
	s_xor_b32 s3, exec_lo, s3
	s_cbranch_execz .LBB1426_183
; %bb.182:
	s_waitcnt lgkmcnt(4)
	v_xor_b32_e32 v7, 0xfffffaff, v0
                                        ; implicit-def: $vgpr28
	s_delay_alu instid0(VALU_DEP_1) | instskip(SKIP_1) | instid1(VALU_DEP_2)
	v_ashrrev_i32_e32 v10, 31, v7
	v_add_co_u32 v9, vcc_lo, v18, v7
	v_add_co_ci_u32_e32 v10, vcc_lo, v19, v10, vcc_lo
.LBB1426_183:
	s_and_not1_saveexec_b32 s3, s3
	s_cbranch_execz .LBB1426_185
; %bb.184:
	s_waitcnt lgkmcnt(5)
	v_add_co_u32 v9, vcc_lo, v15, v28
	v_add_co_ci_u32_e32 v10, vcc_lo, 0, v17, vcc_lo
.LBB1426_185:
	s_or_b32 exec_lo, exec_lo, s3
	s_waitcnt lgkmcnt(5)
	s_delay_alu instid0(VALU_DEP_1) | instskip(NEXT) | instid1(VALU_DEP_1)
	v_lshlrev_b64 v[9:10], 2, v[9:10]
	v_add_co_u32 v9, vcc_lo, s12, v9
	s_delay_alu instid0(VALU_DEP_2) | instskip(SKIP_3) | instid1(SALU_CYCLE_1)
	v_add_co_ci_u32_e32 v10, vcc_lo, s13, v10, vcc_lo
	s_waitcnt lgkmcnt(4)
	global_store_b32 v[9:10], v8, off
	s_or_b32 exec_lo, exec_lo, s1
	s_mov_b32 s1, exec_lo
	v_cmpx_gt_u32_e64 s11, v27
	s_cbranch_execnz .LBB1426_151
.LBB1426_186:
	s_or_b32 exec_lo, exec_lo, s1
	s_delay_alu instid0(SALU_CYCLE_1)
	s_mov_b32 s1, exec_lo
	v_cmpx_gt_u32_e64 s11, v26
	s_cbranch_execz .LBB1426_156
.LBB1426_187:
	s_mov_b32 s3, exec_lo
                                        ; implicit-def: $vgpr7_vgpr8
	v_cmpx_ge_u32_e64 v26, v16
	s_xor_b32 s3, exec_lo, s3
	s_cbranch_execz .LBB1426_189
; %bb.188:
	s_waitcnt lgkmcnt(3)
	v_xor_b32_e32 v5, 0xfffff8ff, v0
                                        ; implicit-def: $vgpr26
	s_delay_alu instid0(VALU_DEP_1) | instskip(SKIP_1) | instid1(VALU_DEP_2)
	v_ashrrev_i32_e32 v8, 31, v5
	v_add_co_u32 v7, vcc_lo, v18, v5
	v_add_co_ci_u32_e32 v8, vcc_lo, v19, v8, vcc_lo
.LBB1426_189:
	s_and_not1_saveexec_b32 s3, s3
	s_cbranch_execz .LBB1426_191
; %bb.190:
	s_waitcnt lgkmcnt(4)
	v_add_co_u32 v7, vcc_lo, v15, v26
	v_add_co_ci_u32_e32 v8, vcc_lo, 0, v17, vcc_lo
.LBB1426_191:
	s_or_b32 exec_lo, exec_lo, s3
	s_waitcnt lgkmcnt(4)
	s_delay_alu instid0(VALU_DEP_1) | instskip(NEXT) | instid1(VALU_DEP_1)
	v_lshlrev_b64 v[7:8], 2, v[7:8]
	v_add_co_u32 v7, vcc_lo, s12, v7
	s_delay_alu instid0(VALU_DEP_2) | instskip(SKIP_3) | instid1(SALU_CYCLE_1)
	v_add_co_ci_u32_e32 v8, vcc_lo, s13, v8, vcc_lo
	s_waitcnt lgkmcnt(3)
	global_store_b32 v[7:8], v6, off
	s_or_b32 exec_lo, exec_lo, s1
	s_mov_b32 s1, exec_lo
	v_cmpx_gt_u32_e64 s11, v25
	s_cbranch_execnz .LBB1426_157
.LBB1426_192:
	s_or_b32 exec_lo, exec_lo, s1
	s_delay_alu instid0(SALU_CYCLE_1)
	s_mov_b32 s1, exec_lo
	v_cmpx_gt_u32_e64 s11, v24
	s_cbranch_execz .LBB1426_162
.LBB1426_193:
	s_mov_b32 s3, exec_lo
                                        ; implicit-def: $vgpr5_vgpr6
	v_cmpx_ge_u32_e64 v24, v16
	s_xor_b32 s3, exec_lo, s3
	s_cbranch_execz .LBB1426_195
; %bb.194:
	s_waitcnt lgkmcnt(2)
	v_xor_b32_e32 v3, 0xfffff6ff, v0
                                        ; implicit-def: $vgpr24
	s_delay_alu instid0(VALU_DEP_1) | instskip(SKIP_1) | instid1(VALU_DEP_2)
	v_ashrrev_i32_e32 v6, 31, v3
	v_add_co_u32 v5, vcc_lo, v18, v3
	v_add_co_ci_u32_e32 v6, vcc_lo, v19, v6, vcc_lo
.LBB1426_195:
	s_and_not1_saveexec_b32 s3, s3
	s_cbranch_execz .LBB1426_197
; %bb.196:
	s_waitcnt lgkmcnt(3)
	v_add_co_u32 v5, vcc_lo, v15, v24
	v_add_co_ci_u32_e32 v6, vcc_lo, 0, v17, vcc_lo
.LBB1426_197:
	s_or_b32 exec_lo, exec_lo, s3
	s_waitcnt lgkmcnt(3)
	s_delay_alu instid0(VALU_DEP_1) | instskip(NEXT) | instid1(VALU_DEP_1)
	v_lshlrev_b64 v[5:6], 2, v[5:6]
	v_add_co_u32 v5, vcc_lo, s12, v5
	s_delay_alu instid0(VALU_DEP_2) | instskip(SKIP_3) | instid1(SALU_CYCLE_1)
	v_add_co_ci_u32_e32 v6, vcc_lo, s13, v6, vcc_lo
	s_waitcnt lgkmcnt(2)
	global_store_b32 v[5:6], v4, off
	s_or_b32 exec_lo, exec_lo, s1
	s_mov_b32 s1, exec_lo
	v_cmpx_gt_u32_e64 s11, v23
	s_cbranch_execnz .LBB1426_163
.LBB1426_198:
	s_or_b32 exec_lo, exec_lo, s1
	s_delay_alu instid0(SALU_CYCLE_1)
	s_mov_b32 s1, exec_lo
	v_cmpx_gt_u32_e64 s11, v22
	s_cbranch_execz .LBB1426_204
.LBB1426_199:
	s_mov_b32 s3, exec_lo
                                        ; implicit-def: $vgpr3_vgpr4
	v_cmpx_ge_u32_e64 v22, v16
	s_xor_b32 s3, exec_lo, s3
	s_cbranch_execz .LBB1426_201
; %bb.200:
	s_waitcnt lgkmcnt(1)
	v_xor_b32_e32 v1, 0xfffff4ff, v0
                                        ; implicit-def: $vgpr22
	s_delay_alu instid0(VALU_DEP_1) | instskip(SKIP_1) | instid1(VALU_DEP_2)
	v_ashrrev_i32_e32 v4, 31, v1
	v_add_co_u32 v3, vcc_lo, v18, v1
	v_add_co_ci_u32_e32 v4, vcc_lo, v19, v4, vcc_lo
.LBB1426_201:
	s_and_not1_saveexec_b32 s3, s3
	s_cbranch_execz .LBB1426_203
; %bb.202:
	s_waitcnt lgkmcnt(2)
	v_add_co_u32 v3, vcc_lo, v15, v22
	v_add_co_ci_u32_e32 v4, vcc_lo, 0, v17, vcc_lo
.LBB1426_203:
	s_or_b32 exec_lo, exec_lo, s3
	s_waitcnt lgkmcnt(2)
	s_delay_alu instid0(VALU_DEP_1) | instskip(NEXT) | instid1(VALU_DEP_1)
	v_lshlrev_b64 v[3:4], 2, v[3:4]
	v_add_co_u32 v3, vcc_lo, s12, v3
	s_delay_alu instid0(VALU_DEP_2)
	v_add_co_ci_u32_e32 v4, vcc_lo, s13, v4, vcc_lo
	s_waitcnt lgkmcnt(1)
	global_store_b32 v[3:4], v2, off
.LBB1426_204:
	s_or_b32 exec_lo, exec_lo, s1
	s_delay_alu instid0(SALU_CYCLE_1)
	s_mov_b32 s1, exec_lo
                                        ; implicit-def: $vgpr13_vgpr14
	v_cmpx_gt_u32_e64 s11, v21
	s_cbranch_execz .LBB1426_210
; %bb.205:
	s_mov_b32 s3, exec_lo
                                        ; implicit-def: $vgpr13_vgpr14
	v_cmpx_ge_u32_e64 v21, v16
	s_xor_b32 s3, exec_lo, s3
	s_cbranch_execz .LBB1426_207
; %bb.206:
	v_xor_b32_e32 v0, 0xfffff3ff, v0
                                        ; implicit-def: $vgpr21
	s_waitcnt lgkmcnt(1)
	s_delay_alu instid0(VALU_DEP_1) | instskip(SKIP_1) | instid1(VALU_DEP_2)
	v_ashrrev_i32_e32 v1, 31, v0
	v_add_co_u32 v13, vcc_lo, v18, v0
	v_add_co_ci_u32_e32 v14, vcc_lo, v19, v1, vcc_lo
.LBB1426_207:
	s_and_not1_saveexec_b32 s3, s3
; %bb.208:
	v_add_co_u32 v13, vcc_lo, v15, v21
	v_add_co_ci_u32_e32 v14, vcc_lo, 0, v17, vcc_lo
; %bb.209:
	s_or_b32 exec_lo, exec_lo, s3
	s_delay_alu instid0(SALU_CYCLE_1)
	s_or_b32 s0, s0, exec_lo
.LBB1426_210:
	s_or_b32 exec_lo, exec_lo, s1
	s_and_saveexec_b32 s1, s0
	s_cbranch_execnz .LBB1426_129
.LBB1426_211:
	s_or_b32 exec_lo, exec_lo, s1
	s_and_b32 s0, s2, s10
	s_delay_alu instid0(SALU_CYCLE_1)
	s_and_saveexec_b32 s1, s0
	s_cbranch_execz .LBB1426_130
.LBB1426_212:
	v_add_co_u32 v0, vcc_lo, v15, v16
	s_waitcnt lgkmcnt(1)
	v_mov_b32_e32 v2, 0
	v_add_co_ci_u32_e32 v1, vcc_lo, 0, v17, vcc_lo
	global_store_b64 v2, v[0:1], s[8:9]
	s_nop 0
	s_sendmsg sendmsg(MSG_DEALLOC_VGPRS)
	s_endpgm
	.section	.rodata,"a",@progbits
	.p2align	6, 0x0
	.amdhsa_kernel _ZN7rocprim17ROCPRIM_400000_NS6detail17trampoline_kernelINS0_13select_configILj256ELj13ELNS0_17block_load_methodE3ELS4_3ELS4_3ELNS0_20block_scan_algorithmE0ELj4294967295EEENS1_25partition_config_selectorILNS1_17partition_subalgoE3EjNS0_10empty_typeEbEEZZNS1_14partition_implILS8_3ELb0ES6_jNS0_17counting_iteratorIjlEEPS9_SE_NS0_5tupleIJPjSE_EEENSF_IJSE_SE_EEES9_SG_JZNS1_25segmented_radix_sort_implINS0_14default_configELb0EPKfPfPKlPlN2at6native12_GLOBAL__N_18offset_tEEE10hipError_tPvRmT1_PNSt15iterator_traitsISY_E10value_typeET2_T3_PNSZ_IS14_E10value_typeET4_jRbjT5_S1A_jjP12ihipStream_tbEUljE_EEESV_SW_SX_S14_S18_S1A_T6_T7_T9_mT8_S1C_bDpT10_ENKUlT_T0_E_clISt17integral_constantIbLb0EES1O_IbLb1EEEEDaS1K_S1L_EUlS1K_E_NS1_11comp_targetILNS1_3genE9ELNS1_11target_archE1100ELNS1_3gpuE3ELNS1_3repE0EEENS1_30default_config_static_selectorELNS0_4arch9wavefront6targetE0EEEvSY_
		.amdhsa_group_segment_fixed_size 13324
		.amdhsa_private_segment_fixed_size 0
		.amdhsa_kernarg_size 152
		.amdhsa_user_sgpr_count 15
		.amdhsa_user_sgpr_dispatch_ptr 0
		.amdhsa_user_sgpr_queue_ptr 0
		.amdhsa_user_sgpr_kernarg_segment_ptr 1
		.amdhsa_user_sgpr_dispatch_id 0
		.amdhsa_user_sgpr_private_segment_size 0
		.amdhsa_wavefront_size32 1
		.amdhsa_uses_dynamic_stack 0
		.amdhsa_enable_private_segment 0
		.amdhsa_system_sgpr_workgroup_id_x 1
		.amdhsa_system_sgpr_workgroup_id_y 0
		.amdhsa_system_sgpr_workgroup_id_z 0
		.amdhsa_system_sgpr_workgroup_info 0
		.amdhsa_system_vgpr_workitem_id 0
		.amdhsa_next_free_vgpr 60
		.amdhsa_next_free_sgpr 26
		.amdhsa_reserve_vcc 1
		.amdhsa_float_round_mode_32 0
		.amdhsa_float_round_mode_16_64 0
		.amdhsa_float_denorm_mode_32 3
		.amdhsa_float_denorm_mode_16_64 3
		.amdhsa_dx10_clamp 1
		.amdhsa_ieee_mode 1
		.amdhsa_fp16_overflow 0
		.amdhsa_workgroup_processor_mode 1
		.amdhsa_memory_ordered 1
		.amdhsa_forward_progress 0
		.amdhsa_shared_vgpr_count 0
		.amdhsa_exception_fp_ieee_invalid_op 0
		.amdhsa_exception_fp_denorm_src 0
		.amdhsa_exception_fp_ieee_div_zero 0
		.amdhsa_exception_fp_ieee_overflow 0
		.amdhsa_exception_fp_ieee_underflow 0
		.amdhsa_exception_fp_ieee_inexact 0
		.amdhsa_exception_int_div_zero 0
	.end_amdhsa_kernel
	.section	.text._ZN7rocprim17ROCPRIM_400000_NS6detail17trampoline_kernelINS0_13select_configILj256ELj13ELNS0_17block_load_methodE3ELS4_3ELS4_3ELNS0_20block_scan_algorithmE0ELj4294967295EEENS1_25partition_config_selectorILNS1_17partition_subalgoE3EjNS0_10empty_typeEbEEZZNS1_14partition_implILS8_3ELb0ES6_jNS0_17counting_iteratorIjlEEPS9_SE_NS0_5tupleIJPjSE_EEENSF_IJSE_SE_EEES9_SG_JZNS1_25segmented_radix_sort_implINS0_14default_configELb0EPKfPfPKlPlN2at6native12_GLOBAL__N_18offset_tEEE10hipError_tPvRmT1_PNSt15iterator_traitsISY_E10value_typeET2_T3_PNSZ_IS14_E10value_typeET4_jRbjT5_S1A_jjP12ihipStream_tbEUljE_EEESV_SW_SX_S14_S18_S1A_T6_T7_T9_mT8_S1C_bDpT10_ENKUlT_T0_E_clISt17integral_constantIbLb0EES1O_IbLb1EEEEDaS1K_S1L_EUlS1K_E_NS1_11comp_targetILNS1_3genE9ELNS1_11target_archE1100ELNS1_3gpuE3ELNS1_3repE0EEENS1_30default_config_static_selectorELNS0_4arch9wavefront6targetE0EEEvSY_,"axG",@progbits,_ZN7rocprim17ROCPRIM_400000_NS6detail17trampoline_kernelINS0_13select_configILj256ELj13ELNS0_17block_load_methodE3ELS4_3ELS4_3ELNS0_20block_scan_algorithmE0ELj4294967295EEENS1_25partition_config_selectorILNS1_17partition_subalgoE3EjNS0_10empty_typeEbEEZZNS1_14partition_implILS8_3ELb0ES6_jNS0_17counting_iteratorIjlEEPS9_SE_NS0_5tupleIJPjSE_EEENSF_IJSE_SE_EEES9_SG_JZNS1_25segmented_radix_sort_implINS0_14default_configELb0EPKfPfPKlPlN2at6native12_GLOBAL__N_18offset_tEEE10hipError_tPvRmT1_PNSt15iterator_traitsISY_E10value_typeET2_T3_PNSZ_IS14_E10value_typeET4_jRbjT5_S1A_jjP12ihipStream_tbEUljE_EEESV_SW_SX_S14_S18_S1A_T6_T7_T9_mT8_S1C_bDpT10_ENKUlT_T0_E_clISt17integral_constantIbLb0EES1O_IbLb1EEEEDaS1K_S1L_EUlS1K_E_NS1_11comp_targetILNS1_3genE9ELNS1_11target_archE1100ELNS1_3gpuE3ELNS1_3repE0EEENS1_30default_config_static_selectorELNS0_4arch9wavefront6targetE0EEEvSY_,comdat
.Lfunc_end1426:
	.size	_ZN7rocprim17ROCPRIM_400000_NS6detail17trampoline_kernelINS0_13select_configILj256ELj13ELNS0_17block_load_methodE3ELS4_3ELS4_3ELNS0_20block_scan_algorithmE0ELj4294967295EEENS1_25partition_config_selectorILNS1_17partition_subalgoE3EjNS0_10empty_typeEbEEZZNS1_14partition_implILS8_3ELb0ES6_jNS0_17counting_iteratorIjlEEPS9_SE_NS0_5tupleIJPjSE_EEENSF_IJSE_SE_EEES9_SG_JZNS1_25segmented_radix_sort_implINS0_14default_configELb0EPKfPfPKlPlN2at6native12_GLOBAL__N_18offset_tEEE10hipError_tPvRmT1_PNSt15iterator_traitsISY_E10value_typeET2_T3_PNSZ_IS14_E10value_typeET4_jRbjT5_S1A_jjP12ihipStream_tbEUljE_EEESV_SW_SX_S14_S18_S1A_T6_T7_T9_mT8_S1C_bDpT10_ENKUlT_T0_E_clISt17integral_constantIbLb0EES1O_IbLb1EEEEDaS1K_S1L_EUlS1K_E_NS1_11comp_targetILNS1_3genE9ELNS1_11target_archE1100ELNS1_3gpuE3ELNS1_3repE0EEENS1_30default_config_static_selectorELNS0_4arch9wavefront6targetE0EEEvSY_, .Lfunc_end1426-_ZN7rocprim17ROCPRIM_400000_NS6detail17trampoline_kernelINS0_13select_configILj256ELj13ELNS0_17block_load_methodE3ELS4_3ELS4_3ELNS0_20block_scan_algorithmE0ELj4294967295EEENS1_25partition_config_selectorILNS1_17partition_subalgoE3EjNS0_10empty_typeEbEEZZNS1_14partition_implILS8_3ELb0ES6_jNS0_17counting_iteratorIjlEEPS9_SE_NS0_5tupleIJPjSE_EEENSF_IJSE_SE_EEES9_SG_JZNS1_25segmented_radix_sort_implINS0_14default_configELb0EPKfPfPKlPlN2at6native12_GLOBAL__N_18offset_tEEE10hipError_tPvRmT1_PNSt15iterator_traitsISY_E10value_typeET2_T3_PNSZ_IS14_E10value_typeET4_jRbjT5_S1A_jjP12ihipStream_tbEUljE_EEESV_SW_SX_S14_S18_S1A_T6_T7_T9_mT8_S1C_bDpT10_ENKUlT_T0_E_clISt17integral_constantIbLb0EES1O_IbLb1EEEEDaS1K_S1L_EUlS1K_E_NS1_11comp_targetILNS1_3genE9ELNS1_11target_archE1100ELNS1_3gpuE3ELNS1_3repE0EEENS1_30default_config_static_selectorELNS0_4arch9wavefront6targetE0EEEvSY_
                                        ; -- End function
	.section	.AMDGPU.csdata,"",@progbits
; Kernel info:
; codeLenInByte = 9040
; NumSgprs: 28
; NumVgprs: 60
; ScratchSize: 0
; MemoryBound: 0
; FloatMode: 240
; IeeeMode: 1
; LDSByteSize: 13324 bytes/workgroup (compile time only)
; SGPRBlocks: 3
; VGPRBlocks: 7
; NumSGPRsForWavesPerEU: 28
; NumVGPRsForWavesPerEU: 60
; Occupancy: 16
; WaveLimiterHint : 0
; COMPUTE_PGM_RSRC2:SCRATCH_EN: 0
; COMPUTE_PGM_RSRC2:USER_SGPR: 15
; COMPUTE_PGM_RSRC2:TRAP_HANDLER: 0
; COMPUTE_PGM_RSRC2:TGID_X_EN: 1
; COMPUTE_PGM_RSRC2:TGID_Y_EN: 0
; COMPUTE_PGM_RSRC2:TGID_Z_EN: 0
; COMPUTE_PGM_RSRC2:TIDIG_COMP_CNT: 0
	.section	.text._ZN7rocprim17ROCPRIM_400000_NS6detail17trampoline_kernelINS0_13select_configILj256ELj13ELNS0_17block_load_methodE3ELS4_3ELS4_3ELNS0_20block_scan_algorithmE0ELj4294967295EEENS1_25partition_config_selectorILNS1_17partition_subalgoE3EjNS0_10empty_typeEbEEZZNS1_14partition_implILS8_3ELb0ES6_jNS0_17counting_iteratorIjlEEPS9_SE_NS0_5tupleIJPjSE_EEENSF_IJSE_SE_EEES9_SG_JZNS1_25segmented_radix_sort_implINS0_14default_configELb0EPKfPfPKlPlN2at6native12_GLOBAL__N_18offset_tEEE10hipError_tPvRmT1_PNSt15iterator_traitsISY_E10value_typeET2_T3_PNSZ_IS14_E10value_typeET4_jRbjT5_S1A_jjP12ihipStream_tbEUljE_EEESV_SW_SX_S14_S18_S1A_T6_T7_T9_mT8_S1C_bDpT10_ENKUlT_T0_E_clISt17integral_constantIbLb0EES1O_IbLb1EEEEDaS1K_S1L_EUlS1K_E_NS1_11comp_targetILNS1_3genE8ELNS1_11target_archE1030ELNS1_3gpuE2ELNS1_3repE0EEENS1_30default_config_static_selectorELNS0_4arch9wavefront6targetE0EEEvSY_,"axG",@progbits,_ZN7rocprim17ROCPRIM_400000_NS6detail17trampoline_kernelINS0_13select_configILj256ELj13ELNS0_17block_load_methodE3ELS4_3ELS4_3ELNS0_20block_scan_algorithmE0ELj4294967295EEENS1_25partition_config_selectorILNS1_17partition_subalgoE3EjNS0_10empty_typeEbEEZZNS1_14partition_implILS8_3ELb0ES6_jNS0_17counting_iteratorIjlEEPS9_SE_NS0_5tupleIJPjSE_EEENSF_IJSE_SE_EEES9_SG_JZNS1_25segmented_radix_sort_implINS0_14default_configELb0EPKfPfPKlPlN2at6native12_GLOBAL__N_18offset_tEEE10hipError_tPvRmT1_PNSt15iterator_traitsISY_E10value_typeET2_T3_PNSZ_IS14_E10value_typeET4_jRbjT5_S1A_jjP12ihipStream_tbEUljE_EEESV_SW_SX_S14_S18_S1A_T6_T7_T9_mT8_S1C_bDpT10_ENKUlT_T0_E_clISt17integral_constantIbLb0EES1O_IbLb1EEEEDaS1K_S1L_EUlS1K_E_NS1_11comp_targetILNS1_3genE8ELNS1_11target_archE1030ELNS1_3gpuE2ELNS1_3repE0EEENS1_30default_config_static_selectorELNS0_4arch9wavefront6targetE0EEEvSY_,comdat
	.globl	_ZN7rocprim17ROCPRIM_400000_NS6detail17trampoline_kernelINS0_13select_configILj256ELj13ELNS0_17block_load_methodE3ELS4_3ELS4_3ELNS0_20block_scan_algorithmE0ELj4294967295EEENS1_25partition_config_selectorILNS1_17partition_subalgoE3EjNS0_10empty_typeEbEEZZNS1_14partition_implILS8_3ELb0ES6_jNS0_17counting_iteratorIjlEEPS9_SE_NS0_5tupleIJPjSE_EEENSF_IJSE_SE_EEES9_SG_JZNS1_25segmented_radix_sort_implINS0_14default_configELb0EPKfPfPKlPlN2at6native12_GLOBAL__N_18offset_tEEE10hipError_tPvRmT1_PNSt15iterator_traitsISY_E10value_typeET2_T3_PNSZ_IS14_E10value_typeET4_jRbjT5_S1A_jjP12ihipStream_tbEUljE_EEESV_SW_SX_S14_S18_S1A_T6_T7_T9_mT8_S1C_bDpT10_ENKUlT_T0_E_clISt17integral_constantIbLb0EES1O_IbLb1EEEEDaS1K_S1L_EUlS1K_E_NS1_11comp_targetILNS1_3genE8ELNS1_11target_archE1030ELNS1_3gpuE2ELNS1_3repE0EEENS1_30default_config_static_selectorELNS0_4arch9wavefront6targetE0EEEvSY_ ; -- Begin function _ZN7rocprim17ROCPRIM_400000_NS6detail17trampoline_kernelINS0_13select_configILj256ELj13ELNS0_17block_load_methodE3ELS4_3ELS4_3ELNS0_20block_scan_algorithmE0ELj4294967295EEENS1_25partition_config_selectorILNS1_17partition_subalgoE3EjNS0_10empty_typeEbEEZZNS1_14partition_implILS8_3ELb0ES6_jNS0_17counting_iteratorIjlEEPS9_SE_NS0_5tupleIJPjSE_EEENSF_IJSE_SE_EEES9_SG_JZNS1_25segmented_radix_sort_implINS0_14default_configELb0EPKfPfPKlPlN2at6native12_GLOBAL__N_18offset_tEEE10hipError_tPvRmT1_PNSt15iterator_traitsISY_E10value_typeET2_T3_PNSZ_IS14_E10value_typeET4_jRbjT5_S1A_jjP12ihipStream_tbEUljE_EEESV_SW_SX_S14_S18_S1A_T6_T7_T9_mT8_S1C_bDpT10_ENKUlT_T0_E_clISt17integral_constantIbLb0EES1O_IbLb1EEEEDaS1K_S1L_EUlS1K_E_NS1_11comp_targetILNS1_3genE8ELNS1_11target_archE1030ELNS1_3gpuE2ELNS1_3repE0EEENS1_30default_config_static_selectorELNS0_4arch9wavefront6targetE0EEEvSY_
	.p2align	8
	.type	_ZN7rocprim17ROCPRIM_400000_NS6detail17trampoline_kernelINS0_13select_configILj256ELj13ELNS0_17block_load_methodE3ELS4_3ELS4_3ELNS0_20block_scan_algorithmE0ELj4294967295EEENS1_25partition_config_selectorILNS1_17partition_subalgoE3EjNS0_10empty_typeEbEEZZNS1_14partition_implILS8_3ELb0ES6_jNS0_17counting_iteratorIjlEEPS9_SE_NS0_5tupleIJPjSE_EEENSF_IJSE_SE_EEES9_SG_JZNS1_25segmented_radix_sort_implINS0_14default_configELb0EPKfPfPKlPlN2at6native12_GLOBAL__N_18offset_tEEE10hipError_tPvRmT1_PNSt15iterator_traitsISY_E10value_typeET2_T3_PNSZ_IS14_E10value_typeET4_jRbjT5_S1A_jjP12ihipStream_tbEUljE_EEESV_SW_SX_S14_S18_S1A_T6_T7_T9_mT8_S1C_bDpT10_ENKUlT_T0_E_clISt17integral_constantIbLb0EES1O_IbLb1EEEEDaS1K_S1L_EUlS1K_E_NS1_11comp_targetILNS1_3genE8ELNS1_11target_archE1030ELNS1_3gpuE2ELNS1_3repE0EEENS1_30default_config_static_selectorELNS0_4arch9wavefront6targetE0EEEvSY_,@function
_ZN7rocprim17ROCPRIM_400000_NS6detail17trampoline_kernelINS0_13select_configILj256ELj13ELNS0_17block_load_methodE3ELS4_3ELS4_3ELNS0_20block_scan_algorithmE0ELj4294967295EEENS1_25partition_config_selectorILNS1_17partition_subalgoE3EjNS0_10empty_typeEbEEZZNS1_14partition_implILS8_3ELb0ES6_jNS0_17counting_iteratorIjlEEPS9_SE_NS0_5tupleIJPjSE_EEENSF_IJSE_SE_EEES9_SG_JZNS1_25segmented_radix_sort_implINS0_14default_configELb0EPKfPfPKlPlN2at6native12_GLOBAL__N_18offset_tEEE10hipError_tPvRmT1_PNSt15iterator_traitsISY_E10value_typeET2_T3_PNSZ_IS14_E10value_typeET4_jRbjT5_S1A_jjP12ihipStream_tbEUljE_EEESV_SW_SX_S14_S18_S1A_T6_T7_T9_mT8_S1C_bDpT10_ENKUlT_T0_E_clISt17integral_constantIbLb0EES1O_IbLb1EEEEDaS1K_S1L_EUlS1K_E_NS1_11comp_targetILNS1_3genE8ELNS1_11target_archE1030ELNS1_3gpuE2ELNS1_3repE0EEENS1_30default_config_static_selectorELNS0_4arch9wavefront6targetE0EEEvSY_: ; @_ZN7rocprim17ROCPRIM_400000_NS6detail17trampoline_kernelINS0_13select_configILj256ELj13ELNS0_17block_load_methodE3ELS4_3ELS4_3ELNS0_20block_scan_algorithmE0ELj4294967295EEENS1_25partition_config_selectorILNS1_17partition_subalgoE3EjNS0_10empty_typeEbEEZZNS1_14partition_implILS8_3ELb0ES6_jNS0_17counting_iteratorIjlEEPS9_SE_NS0_5tupleIJPjSE_EEENSF_IJSE_SE_EEES9_SG_JZNS1_25segmented_radix_sort_implINS0_14default_configELb0EPKfPfPKlPlN2at6native12_GLOBAL__N_18offset_tEEE10hipError_tPvRmT1_PNSt15iterator_traitsISY_E10value_typeET2_T3_PNSZ_IS14_E10value_typeET4_jRbjT5_S1A_jjP12ihipStream_tbEUljE_EEESV_SW_SX_S14_S18_S1A_T6_T7_T9_mT8_S1C_bDpT10_ENKUlT_T0_E_clISt17integral_constantIbLb0EES1O_IbLb1EEEEDaS1K_S1L_EUlS1K_E_NS1_11comp_targetILNS1_3genE8ELNS1_11target_archE1030ELNS1_3gpuE2ELNS1_3repE0EEENS1_30default_config_static_selectorELNS0_4arch9wavefront6targetE0EEEvSY_
; %bb.0:
	.section	.rodata,"a",@progbits
	.p2align	6, 0x0
	.amdhsa_kernel _ZN7rocprim17ROCPRIM_400000_NS6detail17trampoline_kernelINS0_13select_configILj256ELj13ELNS0_17block_load_methodE3ELS4_3ELS4_3ELNS0_20block_scan_algorithmE0ELj4294967295EEENS1_25partition_config_selectorILNS1_17partition_subalgoE3EjNS0_10empty_typeEbEEZZNS1_14partition_implILS8_3ELb0ES6_jNS0_17counting_iteratorIjlEEPS9_SE_NS0_5tupleIJPjSE_EEENSF_IJSE_SE_EEES9_SG_JZNS1_25segmented_radix_sort_implINS0_14default_configELb0EPKfPfPKlPlN2at6native12_GLOBAL__N_18offset_tEEE10hipError_tPvRmT1_PNSt15iterator_traitsISY_E10value_typeET2_T3_PNSZ_IS14_E10value_typeET4_jRbjT5_S1A_jjP12ihipStream_tbEUljE_EEESV_SW_SX_S14_S18_S1A_T6_T7_T9_mT8_S1C_bDpT10_ENKUlT_T0_E_clISt17integral_constantIbLb0EES1O_IbLb1EEEEDaS1K_S1L_EUlS1K_E_NS1_11comp_targetILNS1_3genE8ELNS1_11target_archE1030ELNS1_3gpuE2ELNS1_3repE0EEENS1_30default_config_static_selectorELNS0_4arch9wavefront6targetE0EEEvSY_
		.amdhsa_group_segment_fixed_size 0
		.amdhsa_private_segment_fixed_size 0
		.amdhsa_kernarg_size 152
		.amdhsa_user_sgpr_count 15
		.amdhsa_user_sgpr_dispatch_ptr 0
		.amdhsa_user_sgpr_queue_ptr 0
		.amdhsa_user_sgpr_kernarg_segment_ptr 1
		.amdhsa_user_sgpr_dispatch_id 0
		.amdhsa_user_sgpr_private_segment_size 0
		.amdhsa_wavefront_size32 1
		.amdhsa_uses_dynamic_stack 0
		.amdhsa_enable_private_segment 0
		.amdhsa_system_sgpr_workgroup_id_x 1
		.amdhsa_system_sgpr_workgroup_id_y 0
		.amdhsa_system_sgpr_workgroup_id_z 0
		.amdhsa_system_sgpr_workgroup_info 0
		.amdhsa_system_vgpr_workitem_id 0
		.amdhsa_next_free_vgpr 1
		.amdhsa_next_free_sgpr 1
		.amdhsa_reserve_vcc 0
		.amdhsa_float_round_mode_32 0
		.amdhsa_float_round_mode_16_64 0
		.amdhsa_float_denorm_mode_32 3
		.amdhsa_float_denorm_mode_16_64 3
		.amdhsa_dx10_clamp 1
		.amdhsa_ieee_mode 1
		.amdhsa_fp16_overflow 0
		.amdhsa_workgroup_processor_mode 1
		.amdhsa_memory_ordered 1
		.amdhsa_forward_progress 0
		.amdhsa_shared_vgpr_count 0
		.amdhsa_exception_fp_ieee_invalid_op 0
		.amdhsa_exception_fp_denorm_src 0
		.amdhsa_exception_fp_ieee_div_zero 0
		.amdhsa_exception_fp_ieee_overflow 0
		.amdhsa_exception_fp_ieee_underflow 0
		.amdhsa_exception_fp_ieee_inexact 0
		.amdhsa_exception_int_div_zero 0
	.end_amdhsa_kernel
	.section	.text._ZN7rocprim17ROCPRIM_400000_NS6detail17trampoline_kernelINS0_13select_configILj256ELj13ELNS0_17block_load_methodE3ELS4_3ELS4_3ELNS0_20block_scan_algorithmE0ELj4294967295EEENS1_25partition_config_selectorILNS1_17partition_subalgoE3EjNS0_10empty_typeEbEEZZNS1_14partition_implILS8_3ELb0ES6_jNS0_17counting_iteratorIjlEEPS9_SE_NS0_5tupleIJPjSE_EEENSF_IJSE_SE_EEES9_SG_JZNS1_25segmented_radix_sort_implINS0_14default_configELb0EPKfPfPKlPlN2at6native12_GLOBAL__N_18offset_tEEE10hipError_tPvRmT1_PNSt15iterator_traitsISY_E10value_typeET2_T3_PNSZ_IS14_E10value_typeET4_jRbjT5_S1A_jjP12ihipStream_tbEUljE_EEESV_SW_SX_S14_S18_S1A_T6_T7_T9_mT8_S1C_bDpT10_ENKUlT_T0_E_clISt17integral_constantIbLb0EES1O_IbLb1EEEEDaS1K_S1L_EUlS1K_E_NS1_11comp_targetILNS1_3genE8ELNS1_11target_archE1030ELNS1_3gpuE2ELNS1_3repE0EEENS1_30default_config_static_selectorELNS0_4arch9wavefront6targetE0EEEvSY_,"axG",@progbits,_ZN7rocprim17ROCPRIM_400000_NS6detail17trampoline_kernelINS0_13select_configILj256ELj13ELNS0_17block_load_methodE3ELS4_3ELS4_3ELNS0_20block_scan_algorithmE0ELj4294967295EEENS1_25partition_config_selectorILNS1_17partition_subalgoE3EjNS0_10empty_typeEbEEZZNS1_14partition_implILS8_3ELb0ES6_jNS0_17counting_iteratorIjlEEPS9_SE_NS0_5tupleIJPjSE_EEENSF_IJSE_SE_EEES9_SG_JZNS1_25segmented_radix_sort_implINS0_14default_configELb0EPKfPfPKlPlN2at6native12_GLOBAL__N_18offset_tEEE10hipError_tPvRmT1_PNSt15iterator_traitsISY_E10value_typeET2_T3_PNSZ_IS14_E10value_typeET4_jRbjT5_S1A_jjP12ihipStream_tbEUljE_EEESV_SW_SX_S14_S18_S1A_T6_T7_T9_mT8_S1C_bDpT10_ENKUlT_T0_E_clISt17integral_constantIbLb0EES1O_IbLb1EEEEDaS1K_S1L_EUlS1K_E_NS1_11comp_targetILNS1_3genE8ELNS1_11target_archE1030ELNS1_3gpuE2ELNS1_3repE0EEENS1_30default_config_static_selectorELNS0_4arch9wavefront6targetE0EEEvSY_,comdat
.Lfunc_end1427:
	.size	_ZN7rocprim17ROCPRIM_400000_NS6detail17trampoline_kernelINS0_13select_configILj256ELj13ELNS0_17block_load_methodE3ELS4_3ELS4_3ELNS0_20block_scan_algorithmE0ELj4294967295EEENS1_25partition_config_selectorILNS1_17partition_subalgoE3EjNS0_10empty_typeEbEEZZNS1_14partition_implILS8_3ELb0ES6_jNS0_17counting_iteratorIjlEEPS9_SE_NS0_5tupleIJPjSE_EEENSF_IJSE_SE_EEES9_SG_JZNS1_25segmented_radix_sort_implINS0_14default_configELb0EPKfPfPKlPlN2at6native12_GLOBAL__N_18offset_tEEE10hipError_tPvRmT1_PNSt15iterator_traitsISY_E10value_typeET2_T3_PNSZ_IS14_E10value_typeET4_jRbjT5_S1A_jjP12ihipStream_tbEUljE_EEESV_SW_SX_S14_S18_S1A_T6_T7_T9_mT8_S1C_bDpT10_ENKUlT_T0_E_clISt17integral_constantIbLb0EES1O_IbLb1EEEEDaS1K_S1L_EUlS1K_E_NS1_11comp_targetILNS1_3genE8ELNS1_11target_archE1030ELNS1_3gpuE2ELNS1_3repE0EEENS1_30default_config_static_selectorELNS0_4arch9wavefront6targetE0EEEvSY_, .Lfunc_end1427-_ZN7rocprim17ROCPRIM_400000_NS6detail17trampoline_kernelINS0_13select_configILj256ELj13ELNS0_17block_load_methodE3ELS4_3ELS4_3ELNS0_20block_scan_algorithmE0ELj4294967295EEENS1_25partition_config_selectorILNS1_17partition_subalgoE3EjNS0_10empty_typeEbEEZZNS1_14partition_implILS8_3ELb0ES6_jNS0_17counting_iteratorIjlEEPS9_SE_NS0_5tupleIJPjSE_EEENSF_IJSE_SE_EEES9_SG_JZNS1_25segmented_radix_sort_implINS0_14default_configELb0EPKfPfPKlPlN2at6native12_GLOBAL__N_18offset_tEEE10hipError_tPvRmT1_PNSt15iterator_traitsISY_E10value_typeET2_T3_PNSZ_IS14_E10value_typeET4_jRbjT5_S1A_jjP12ihipStream_tbEUljE_EEESV_SW_SX_S14_S18_S1A_T6_T7_T9_mT8_S1C_bDpT10_ENKUlT_T0_E_clISt17integral_constantIbLb0EES1O_IbLb1EEEEDaS1K_S1L_EUlS1K_E_NS1_11comp_targetILNS1_3genE8ELNS1_11target_archE1030ELNS1_3gpuE2ELNS1_3repE0EEENS1_30default_config_static_selectorELNS0_4arch9wavefront6targetE0EEEvSY_
                                        ; -- End function
	.section	.AMDGPU.csdata,"",@progbits
; Kernel info:
; codeLenInByte = 0
; NumSgprs: 0
; NumVgprs: 0
; ScratchSize: 0
; MemoryBound: 0
; FloatMode: 240
; IeeeMode: 1
; LDSByteSize: 0 bytes/workgroup (compile time only)
; SGPRBlocks: 0
; VGPRBlocks: 0
; NumSGPRsForWavesPerEU: 1
; NumVGPRsForWavesPerEU: 1
; Occupancy: 16
; WaveLimiterHint : 0
; COMPUTE_PGM_RSRC2:SCRATCH_EN: 0
; COMPUTE_PGM_RSRC2:USER_SGPR: 15
; COMPUTE_PGM_RSRC2:TRAP_HANDLER: 0
; COMPUTE_PGM_RSRC2:TGID_X_EN: 1
; COMPUTE_PGM_RSRC2:TGID_Y_EN: 0
; COMPUTE_PGM_RSRC2:TGID_Z_EN: 0
; COMPUTE_PGM_RSRC2:TIDIG_COMP_CNT: 0
	.section	.text._ZN7rocprim17ROCPRIM_400000_NS6detail17trampoline_kernelINS0_14default_configENS1_36segmented_radix_sort_config_selectorIflEEZNS1_25segmented_radix_sort_implIS3_Lb0EPKfPfPKlPlN2at6native12_GLOBAL__N_18offset_tEEE10hipError_tPvRmT1_PNSt15iterator_traitsISK_E10value_typeET2_T3_PNSL_ISQ_E10value_typeET4_jRbjT5_SW_jjP12ihipStream_tbEUlT_E_NS1_11comp_targetILNS1_3genE0ELNS1_11target_archE4294967295ELNS1_3gpuE0ELNS1_3repE0EEENS1_30default_config_static_selectorELNS0_4arch9wavefront6targetE0EEEvSK_,"axG",@progbits,_ZN7rocprim17ROCPRIM_400000_NS6detail17trampoline_kernelINS0_14default_configENS1_36segmented_radix_sort_config_selectorIflEEZNS1_25segmented_radix_sort_implIS3_Lb0EPKfPfPKlPlN2at6native12_GLOBAL__N_18offset_tEEE10hipError_tPvRmT1_PNSt15iterator_traitsISK_E10value_typeET2_T3_PNSL_ISQ_E10value_typeET4_jRbjT5_SW_jjP12ihipStream_tbEUlT_E_NS1_11comp_targetILNS1_3genE0ELNS1_11target_archE4294967295ELNS1_3gpuE0ELNS1_3repE0EEENS1_30default_config_static_selectorELNS0_4arch9wavefront6targetE0EEEvSK_,comdat
	.globl	_ZN7rocprim17ROCPRIM_400000_NS6detail17trampoline_kernelINS0_14default_configENS1_36segmented_radix_sort_config_selectorIflEEZNS1_25segmented_radix_sort_implIS3_Lb0EPKfPfPKlPlN2at6native12_GLOBAL__N_18offset_tEEE10hipError_tPvRmT1_PNSt15iterator_traitsISK_E10value_typeET2_T3_PNSL_ISQ_E10value_typeET4_jRbjT5_SW_jjP12ihipStream_tbEUlT_E_NS1_11comp_targetILNS1_3genE0ELNS1_11target_archE4294967295ELNS1_3gpuE0ELNS1_3repE0EEENS1_30default_config_static_selectorELNS0_4arch9wavefront6targetE0EEEvSK_ ; -- Begin function _ZN7rocprim17ROCPRIM_400000_NS6detail17trampoline_kernelINS0_14default_configENS1_36segmented_radix_sort_config_selectorIflEEZNS1_25segmented_radix_sort_implIS3_Lb0EPKfPfPKlPlN2at6native12_GLOBAL__N_18offset_tEEE10hipError_tPvRmT1_PNSt15iterator_traitsISK_E10value_typeET2_T3_PNSL_ISQ_E10value_typeET4_jRbjT5_SW_jjP12ihipStream_tbEUlT_E_NS1_11comp_targetILNS1_3genE0ELNS1_11target_archE4294967295ELNS1_3gpuE0ELNS1_3repE0EEENS1_30default_config_static_selectorELNS0_4arch9wavefront6targetE0EEEvSK_
	.p2align	8
	.type	_ZN7rocprim17ROCPRIM_400000_NS6detail17trampoline_kernelINS0_14default_configENS1_36segmented_radix_sort_config_selectorIflEEZNS1_25segmented_radix_sort_implIS3_Lb0EPKfPfPKlPlN2at6native12_GLOBAL__N_18offset_tEEE10hipError_tPvRmT1_PNSt15iterator_traitsISK_E10value_typeET2_T3_PNSL_ISQ_E10value_typeET4_jRbjT5_SW_jjP12ihipStream_tbEUlT_E_NS1_11comp_targetILNS1_3genE0ELNS1_11target_archE4294967295ELNS1_3gpuE0ELNS1_3repE0EEENS1_30default_config_static_selectorELNS0_4arch9wavefront6targetE0EEEvSK_,@function
_ZN7rocprim17ROCPRIM_400000_NS6detail17trampoline_kernelINS0_14default_configENS1_36segmented_radix_sort_config_selectorIflEEZNS1_25segmented_radix_sort_implIS3_Lb0EPKfPfPKlPlN2at6native12_GLOBAL__N_18offset_tEEE10hipError_tPvRmT1_PNSt15iterator_traitsISK_E10value_typeET2_T3_PNSL_ISQ_E10value_typeET4_jRbjT5_SW_jjP12ihipStream_tbEUlT_E_NS1_11comp_targetILNS1_3genE0ELNS1_11target_archE4294967295ELNS1_3gpuE0ELNS1_3repE0EEENS1_30default_config_static_selectorELNS0_4arch9wavefront6targetE0EEEvSK_: ; @_ZN7rocprim17ROCPRIM_400000_NS6detail17trampoline_kernelINS0_14default_configENS1_36segmented_radix_sort_config_selectorIflEEZNS1_25segmented_radix_sort_implIS3_Lb0EPKfPfPKlPlN2at6native12_GLOBAL__N_18offset_tEEE10hipError_tPvRmT1_PNSt15iterator_traitsISK_E10value_typeET2_T3_PNSL_ISQ_E10value_typeET4_jRbjT5_SW_jjP12ihipStream_tbEUlT_E_NS1_11comp_targetILNS1_3genE0ELNS1_11target_archE4294967295ELNS1_3gpuE0ELNS1_3repE0EEENS1_30default_config_static_selectorELNS0_4arch9wavefront6targetE0EEEvSK_
; %bb.0:
	.section	.rodata,"a",@progbits
	.p2align	6, 0x0
	.amdhsa_kernel _ZN7rocprim17ROCPRIM_400000_NS6detail17trampoline_kernelINS0_14default_configENS1_36segmented_radix_sort_config_selectorIflEEZNS1_25segmented_radix_sort_implIS3_Lb0EPKfPfPKlPlN2at6native12_GLOBAL__N_18offset_tEEE10hipError_tPvRmT1_PNSt15iterator_traitsISK_E10value_typeET2_T3_PNSL_ISQ_E10value_typeET4_jRbjT5_SW_jjP12ihipStream_tbEUlT_E_NS1_11comp_targetILNS1_3genE0ELNS1_11target_archE4294967295ELNS1_3gpuE0ELNS1_3repE0EEENS1_30default_config_static_selectorELNS0_4arch9wavefront6targetE0EEEvSK_
		.amdhsa_group_segment_fixed_size 0
		.amdhsa_private_segment_fixed_size 0
		.amdhsa_kernarg_size 96
		.amdhsa_user_sgpr_count 15
		.amdhsa_user_sgpr_dispatch_ptr 0
		.amdhsa_user_sgpr_queue_ptr 0
		.amdhsa_user_sgpr_kernarg_segment_ptr 1
		.amdhsa_user_sgpr_dispatch_id 0
		.amdhsa_user_sgpr_private_segment_size 0
		.amdhsa_wavefront_size32 1
		.amdhsa_uses_dynamic_stack 0
		.amdhsa_enable_private_segment 0
		.amdhsa_system_sgpr_workgroup_id_x 1
		.amdhsa_system_sgpr_workgroup_id_y 0
		.amdhsa_system_sgpr_workgroup_id_z 0
		.amdhsa_system_sgpr_workgroup_info 0
		.amdhsa_system_vgpr_workitem_id 0
		.amdhsa_next_free_vgpr 1
		.amdhsa_next_free_sgpr 1
		.amdhsa_reserve_vcc 0
		.amdhsa_float_round_mode_32 0
		.amdhsa_float_round_mode_16_64 0
		.amdhsa_float_denorm_mode_32 3
		.amdhsa_float_denorm_mode_16_64 3
		.amdhsa_dx10_clamp 1
		.amdhsa_ieee_mode 1
		.amdhsa_fp16_overflow 0
		.amdhsa_workgroup_processor_mode 1
		.amdhsa_memory_ordered 1
		.amdhsa_forward_progress 0
		.amdhsa_shared_vgpr_count 0
		.amdhsa_exception_fp_ieee_invalid_op 0
		.amdhsa_exception_fp_denorm_src 0
		.amdhsa_exception_fp_ieee_div_zero 0
		.amdhsa_exception_fp_ieee_overflow 0
		.amdhsa_exception_fp_ieee_underflow 0
		.amdhsa_exception_fp_ieee_inexact 0
		.amdhsa_exception_int_div_zero 0
	.end_amdhsa_kernel
	.section	.text._ZN7rocprim17ROCPRIM_400000_NS6detail17trampoline_kernelINS0_14default_configENS1_36segmented_radix_sort_config_selectorIflEEZNS1_25segmented_radix_sort_implIS3_Lb0EPKfPfPKlPlN2at6native12_GLOBAL__N_18offset_tEEE10hipError_tPvRmT1_PNSt15iterator_traitsISK_E10value_typeET2_T3_PNSL_ISQ_E10value_typeET4_jRbjT5_SW_jjP12ihipStream_tbEUlT_E_NS1_11comp_targetILNS1_3genE0ELNS1_11target_archE4294967295ELNS1_3gpuE0ELNS1_3repE0EEENS1_30default_config_static_selectorELNS0_4arch9wavefront6targetE0EEEvSK_,"axG",@progbits,_ZN7rocprim17ROCPRIM_400000_NS6detail17trampoline_kernelINS0_14default_configENS1_36segmented_radix_sort_config_selectorIflEEZNS1_25segmented_radix_sort_implIS3_Lb0EPKfPfPKlPlN2at6native12_GLOBAL__N_18offset_tEEE10hipError_tPvRmT1_PNSt15iterator_traitsISK_E10value_typeET2_T3_PNSL_ISQ_E10value_typeET4_jRbjT5_SW_jjP12ihipStream_tbEUlT_E_NS1_11comp_targetILNS1_3genE0ELNS1_11target_archE4294967295ELNS1_3gpuE0ELNS1_3repE0EEENS1_30default_config_static_selectorELNS0_4arch9wavefront6targetE0EEEvSK_,comdat
.Lfunc_end1428:
	.size	_ZN7rocprim17ROCPRIM_400000_NS6detail17trampoline_kernelINS0_14default_configENS1_36segmented_radix_sort_config_selectorIflEEZNS1_25segmented_radix_sort_implIS3_Lb0EPKfPfPKlPlN2at6native12_GLOBAL__N_18offset_tEEE10hipError_tPvRmT1_PNSt15iterator_traitsISK_E10value_typeET2_T3_PNSL_ISQ_E10value_typeET4_jRbjT5_SW_jjP12ihipStream_tbEUlT_E_NS1_11comp_targetILNS1_3genE0ELNS1_11target_archE4294967295ELNS1_3gpuE0ELNS1_3repE0EEENS1_30default_config_static_selectorELNS0_4arch9wavefront6targetE0EEEvSK_, .Lfunc_end1428-_ZN7rocprim17ROCPRIM_400000_NS6detail17trampoline_kernelINS0_14default_configENS1_36segmented_radix_sort_config_selectorIflEEZNS1_25segmented_radix_sort_implIS3_Lb0EPKfPfPKlPlN2at6native12_GLOBAL__N_18offset_tEEE10hipError_tPvRmT1_PNSt15iterator_traitsISK_E10value_typeET2_T3_PNSL_ISQ_E10value_typeET4_jRbjT5_SW_jjP12ihipStream_tbEUlT_E_NS1_11comp_targetILNS1_3genE0ELNS1_11target_archE4294967295ELNS1_3gpuE0ELNS1_3repE0EEENS1_30default_config_static_selectorELNS0_4arch9wavefront6targetE0EEEvSK_
                                        ; -- End function
	.section	.AMDGPU.csdata,"",@progbits
; Kernel info:
; codeLenInByte = 0
; NumSgprs: 0
; NumVgprs: 0
; ScratchSize: 0
; MemoryBound: 0
; FloatMode: 240
; IeeeMode: 1
; LDSByteSize: 0 bytes/workgroup (compile time only)
; SGPRBlocks: 0
; VGPRBlocks: 0
; NumSGPRsForWavesPerEU: 1
; NumVGPRsForWavesPerEU: 1
; Occupancy: 16
; WaveLimiterHint : 0
; COMPUTE_PGM_RSRC2:SCRATCH_EN: 0
; COMPUTE_PGM_RSRC2:USER_SGPR: 15
; COMPUTE_PGM_RSRC2:TRAP_HANDLER: 0
; COMPUTE_PGM_RSRC2:TGID_X_EN: 1
; COMPUTE_PGM_RSRC2:TGID_Y_EN: 0
; COMPUTE_PGM_RSRC2:TGID_Z_EN: 0
; COMPUTE_PGM_RSRC2:TIDIG_COMP_CNT: 0
	.section	.text._ZN7rocprim17ROCPRIM_400000_NS6detail17trampoline_kernelINS0_14default_configENS1_36segmented_radix_sort_config_selectorIflEEZNS1_25segmented_radix_sort_implIS3_Lb0EPKfPfPKlPlN2at6native12_GLOBAL__N_18offset_tEEE10hipError_tPvRmT1_PNSt15iterator_traitsISK_E10value_typeET2_T3_PNSL_ISQ_E10value_typeET4_jRbjT5_SW_jjP12ihipStream_tbEUlT_E_NS1_11comp_targetILNS1_3genE5ELNS1_11target_archE942ELNS1_3gpuE9ELNS1_3repE0EEENS1_30default_config_static_selectorELNS0_4arch9wavefront6targetE0EEEvSK_,"axG",@progbits,_ZN7rocprim17ROCPRIM_400000_NS6detail17trampoline_kernelINS0_14default_configENS1_36segmented_radix_sort_config_selectorIflEEZNS1_25segmented_radix_sort_implIS3_Lb0EPKfPfPKlPlN2at6native12_GLOBAL__N_18offset_tEEE10hipError_tPvRmT1_PNSt15iterator_traitsISK_E10value_typeET2_T3_PNSL_ISQ_E10value_typeET4_jRbjT5_SW_jjP12ihipStream_tbEUlT_E_NS1_11comp_targetILNS1_3genE5ELNS1_11target_archE942ELNS1_3gpuE9ELNS1_3repE0EEENS1_30default_config_static_selectorELNS0_4arch9wavefront6targetE0EEEvSK_,comdat
	.globl	_ZN7rocprim17ROCPRIM_400000_NS6detail17trampoline_kernelINS0_14default_configENS1_36segmented_radix_sort_config_selectorIflEEZNS1_25segmented_radix_sort_implIS3_Lb0EPKfPfPKlPlN2at6native12_GLOBAL__N_18offset_tEEE10hipError_tPvRmT1_PNSt15iterator_traitsISK_E10value_typeET2_T3_PNSL_ISQ_E10value_typeET4_jRbjT5_SW_jjP12ihipStream_tbEUlT_E_NS1_11comp_targetILNS1_3genE5ELNS1_11target_archE942ELNS1_3gpuE9ELNS1_3repE0EEENS1_30default_config_static_selectorELNS0_4arch9wavefront6targetE0EEEvSK_ ; -- Begin function _ZN7rocprim17ROCPRIM_400000_NS6detail17trampoline_kernelINS0_14default_configENS1_36segmented_radix_sort_config_selectorIflEEZNS1_25segmented_radix_sort_implIS3_Lb0EPKfPfPKlPlN2at6native12_GLOBAL__N_18offset_tEEE10hipError_tPvRmT1_PNSt15iterator_traitsISK_E10value_typeET2_T3_PNSL_ISQ_E10value_typeET4_jRbjT5_SW_jjP12ihipStream_tbEUlT_E_NS1_11comp_targetILNS1_3genE5ELNS1_11target_archE942ELNS1_3gpuE9ELNS1_3repE0EEENS1_30default_config_static_selectorELNS0_4arch9wavefront6targetE0EEEvSK_
	.p2align	8
	.type	_ZN7rocprim17ROCPRIM_400000_NS6detail17trampoline_kernelINS0_14default_configENS1_36segmented_radix_sort_config_selectorIflEEZNS1_25segmented_radix_sort_implIS3_Lb0EPKfPfPKlPlN2at6native12_GLOBAL__N_18offset_tEEE10hipError_tPvRmT1_PNSt15iterator_traitsISK_E10value_typeET2_T3_PNSL_ISQ_E10value_typeET4_jRbjT5_SW_jjP12ihipStream_tbEUlT_E_NS1_11comp_targetILNS1_3genE5ELNS1_11target_archE942ELNS1_3gpuE9ELNS1_3repE0EEENS1_30default_config_static_selectorELNS0_4arch9wavefront6targetE0EEEvSK_,@function
_ZN7rocprim17ROCPRIM_400000_NS6detail17trampoline_kernelINS0_14default_configENS1_36segmented_radix_sort_config_selectorIflEEZNS1_25segmented_radix_sort_implIS3_Lb0EPKfPfPKlPlN2at6native12_GLOBAL__N_18offset_tEEE10hipError_tPvRmT1_PNSt15iterator_traitsISK_E10value_typeET2_T3_PNSL_ISQ_E10value_typeET4_jRbjT5_SW_jjP12ihipStream_tbEUlT_E_NS1_11comp_targetILNS1_3genE5ELNS1_11target_archE942ELNS1_3gpuE9ELNS1_3repE0EEENS1_30default_config_static_selectorELNS0_4arch9wavefront6targetE0EEEvSK_: ; @_ZN7rocprim17ROCPRIM_400000_NS6detail17trampoline_kernelINS0_14default_configENS1_36segmented_radix_sort_config_selectorIflEEZNS1_25segmented_radix_sort_implIS3_Lb0EPKfPfPKlPlN2at6native12_GLOBAL__N_18offset_tEEE10hipError_tPvRmT1_PNSt15iterator_traitsISK_E10value_typeET2_T3_PNSL_ISQ_E10value_typeET4_jRbjT5_SW_jjP12ihipStream_tbEUlT_E_NS1_11comp_targetILNS1_3genE5ELNS1_11target_archE942ELNS1_3gpuE9ELNS1_3repE0EEENS1_30default_config_static_selectorELNS0_4arch9wavefront6targetE0EEEvSK_
; %bb.0:
	.section	.rodata,"a",@progbits
	.p2align	6, 0x0
	.amdhsa_kernel _ZN7rocprim17ROCPRIM_400000_NS6detail17trampoline_kernelINS0_14default_configENS1_36segmented_radix_sort_config_selectorIflEEZNS1_25segmented_radix_sort_implIS3_Lb0EPKfPfPKlPlN2at6native12_GLOBAL__N_18offset_tEEE10hipError_tPvRmT1_PNSt15iterator_traitsISK_E10value_typeET2_T3_PNSL_ISQ_E10value_typeET4_jRbjT5_SW_jjP12ihipStream_tbEUlT_E_NS1_11comp_targetILNS1_3genE5ELNS1_11target_archE942ELNS1_3gpuE9ELNS1_3repE0EEENS1_30default_config_static_selectorELNS0_4arch9wavefront6targetE0EEEvSK_
		.amdhsa_group_segment_fixed_size 0
		.amdhsa_private_segment_fixed_size 0
		.amdhsa_kernarg_size 96
		.amdhsa_user_sgpr_count 15
		.amdhsa_user_sgpr_dispatch_ptr 0
		.amdhsa_user_sgpr_queue_ptr 0
		.amdhsa_user_sgpr_kernarg_segment_ptr 1
		.amdhsa_user_sgpr_dispatch_id 0
		.amdhsa_user_sgpr_private_segment_size 0
		.amdhsa_wavefront_size32 1
		.amdhsa_uses_dynamic_stack 0
		.amdhsa_enable_private_segment 0
		.amdhsa_system_sgpr_workgroup_id_x 1
		.amdhsa_system_sgpr_workgroup_id_y 0
		.amdhsa_system_sgpr_workgroup_id_z 0
		.amdhsa_system_sgpr_workgroup_info 0
		.amdhsa_system_vgpr_workitem_id 0
		.amdhsa_next_free_vgpr 1
		.amdhsa_next_free_sgpr 1
		.amdhsa_reserve_vcc 0
		.amdhsa_float_round_mode_32 0
		.amdhsa_float_round_mode_16_64 0
		.amdhsa_float_denorm_mode_32 3
		.amdhsa_float_denorm_mode_16_64 3
		.amdhsa_dx10_clamp 1
		.amdhsa_ieee_mode 1
		.amdhsa_fp16_overflow 0
		.amdhsa_workgroup_processor_mode 1
		.amdhsa_memory_ordered 1
		.amdhsa_forward_progress 0
		.amdhsa_shared_vgpr_count 0
		.amdhsa_exception_fp_ieee_invalid_op 0
		.amdhsa_exception_fp_denorm_src 0
		.amdhsa_exception_fp_ieee_div_zero 0
		.amdhsa_exception_fp_ieee_overflow 0
		.amdhsa_exception_fp_ieee_underflow 0
		.amdhsa_exception_fp_ieee_inexact 0
		.amdhsa_exception_int_div_zero 0
	.end_amdhsa_kernel
	.section	.text._ZN7rocprim17ROCPRIM_400000_NS6detail17trampoline_kernelINS0_14default_configENS1_36segmented_radix_sort_config_selectorIflEEZNS1_25segmented_radix_sort_implIS3_Lb0EPKfPfPKlPlN2at6native12_GLOBAL__N_18offset_tEEE10hipError_tPvRmT1_PNSt15iterator_traitsISK_E10value_typeET2_T3_PNSL_ISQ_E10value_typeET4_jRbjT5_SW_jjP12ihipStream_tbEUlT_E_NS1_11comp_targetILNS1_3genE5ELNS1_11target_archE942ELNS1_3gpuE9ELNS1_3repE0EEENS1_30default_config_static_selectorELNS0_4arch9wavefront6targetE0EEEvSK_,"axG",@progbits,_ZN7rocprim17ROCPRIM_400000_NS6detail17trampoline_kernelINS0_14default_configENS1_36segmented_radix_sort_config_selectorIflEEZNS1_25segmented_radix_sort_implIS3_Lb0EPKfPfPKlPlN2at6native12_GLOBAL__N_18offset_tEEE10hipError_tPvRmT1_PNSt15iterator_traitsISK_E10value_typeET2_T3_PNSL_ISQ_E10value_typeET4_jRbjT5_SW_jjP12ihipStream_tbEUlT_E_NS1_11comp_targetILNS1_3genE5ELNS1_11target_archE942ELNS1_3gpuE9ELNS1_3repE0EEENS1_30default_config_static_selectorELNS0_4arch9wavefront6targetE0EEEvSK_,comdat
.Lfunc_end1429:
	.size	_ZN7rocprim17ROCPRIM_400000_NS6detail17trampoline_kernelINS0_14default_configENS1_36segmented_radix_sort_config_selectorIflEEZNS1_25segmented_radix_sort_implIS3_Lb0EPKfPfPKlPlN2at6native12_GLOBAL__N_18offset_tEEE10hipError_tPvRmT1_PNSt15iterator_traitsISK_E10value_typeET2_T3_PNSL_ISQ_E10value_typeET4_jRbjT5_SW_jjP12ihipStream_tbEUlT_E_NS1_11comp_targetILNS1_3genE5ELNS1_11target_archE942ELNS1_3gpuE9ELNS1_3repE0EEENS1_30default_config_static_selectorELNS0_4arch9wavefront6targetE0EEEvSK_, .Lfunc_end1429-_ZN7rocprim17ROCPRIM_400000_NS6detail17trampoline_kernelINS0_14default_configENS1_36segmented_radix_sort_config_selectorIflEEZNS1_25segmented_radix_sort_implIS3_Lb0EPKfPfPKlPlN2at6native12_GLOBAL__N_18offset_tEEE10hipError_tPvRmT1_PNSt15iterator_traitsISK_E10value_typeET2_T3_PNSL_ISQ_E10value_typeET4_jRbjT5_SW_jjP12ihipStream_tbEUlT_E_NS1_11comp_targetILNS1_3genE5ELNS1_11target_archE942ELNS1_3gpuE9ELNS1_3repE0EEENS1_30default_config_static_selectorELNS0_4arch9wavefront6targetE0EEEvSK_
                                        ; -- End function
	.section	.AMDGPU.csdata,"",@progbits
; Kernel info:
; codeLenInByte = 0
; NumSgprs: 0
; NumVgprs: 0
; ScratchSize: 0
; MemoryBound: 0
; FloatMode: 240
; IeeeMode: 1
; LDSByteSize: 0 bytes/workgroup (compile time only)
; SGPRBlocks: 0
; VGPRBlocks: 0
; NumSGPRsForWavesPerEU: 1
; NumVGPRsForWavesPerEU: 1
; Occupancy: 16
; WaveLimiterHint : 0
; COMPUTE_PGM_RSRC2:SCRATCH_EN: 0
; COMPUTE_PGM_RSRC2:USER_SGPR: 15
; COMPUTE_PGM_RSRC2:TRAP_HANDLER: 0
; COMPUTE_PGM_RSRC2:TGID_X_EN: 1
; COMPUTE_PGM_RSRC2:TGID_Y_EN: 0
; COMPUTE_PGM_RSRC2:TGID_Z_EN: 0
; COMPUTE_PGM_RSRC2:TIDIG_COMP_CNT: 0
	.section	.text._ZN7rocprim17ROCPRIM_400000_NS6detail17trampoline_kernelINS0_14default_configENS1_36segmented_radix_sort_config_selectorIflEEZNS1_25segmented_radix_sort_implIS3_Lb0EPKfPfPKlPlN2at6native12_GLOBAL__N_18offset_tEEE10hipError_tPvRmT1_PNSt15iterator_traitsISK_E10value_typeET2_T3_PNSL_ISQ_E10value_typeET4_jRbjT5_SW_jjP12ihipStream_tbEUlT_E_NS1_11comp_targetILNS1_3genE4ELNS1_11target_archE910ELNS1_3gpuE8ELNS1_3repE0EEENS1_30default_config_static_selectorELNS0_4arch9wavefront6targetE0EEEvSK_,"axG",@progbits,_ZN7rocprim17ROCPRIM_400000_NS6detail17trampoline_kernelINS0_14default_configENS1_36segmented_radix_sort_config_selectorIflEEZNS1_25segmented_radix_sort_implIS3_Lb0EPKfPfPKlPlN2at6native12_GLOBAL__N_18offset_tEEE10hipError_tPvRmT1_PNSt15iterator_traitsISK_E10value_typeET2_T3_PNSL_ISQ_E10value_typeET4_jRbjT5_SW_jjP12ihipStream_tbEUlT_E_NS1_11comp_targetILNS1_3genE4ELNS1_11target_archE910ELNS1_3gpuE8ELNS1_3repE0EEENS1_30default_config_static_selectorELNS0_4arch9wavefront6targetE0EEEvSK_,comdat
	.globl	_ZN7rocprim17ROCPRIM_400000_NS6detail17trampoline_kernelINS0_14default_configENS1_36segmented_radix_sort_config_selectorIflEEZNS1_25segmented_radix_sort_implIS3_Lb0EPKfPfPKlPlN2at6native12_GLOBAL__N_18offset_tEEE10hipError_tPvRmT1_PNSt15iterator_traitsISK_E10value_typeET2_T3_PNSL_ISQ_E10value_typeET4_jRbjT5_SW_jjP12ihipStream_tbEUlT_E_NS1_11comp_targetILNS1_3genE4ELNS1_11target_archE910ELNS1_3gpuE8ELNS1_3repE0EEENS1_30default_config_static_selectorELNS0_4arch9wavefront6targetE0EEEvSK_ ; -- Begin function _ZN7rocprim17ROCPRIM_400000_NS6detail17trampoline_kernelINS0_14default_configENS1_36segmented_radix_sort_config_selectorIflEEZNS1_25segmented_radix_sort_implIS3_Lb0EPKfPfPKlPlN2at6native12_GLOBAL__N_18offset_tEEE10hipError_tPvRmT1_PNSt15iterator_traitsISK_E10value_typeET2_T3_PNSL_ISQ_E10value_typeET4_jRbjT5_SW_jjP12ihipStream_tbEUlT_E_NS1_11comp_targetILNS1_3genE4ELNS1_11target_archE910ELNS1_3gpuE8ELNS1_3repE0EEENS1_30default_config_static_selectorELNS0_4arch9wavefront6targetE0EEEvSK_
	.p2align	8
	.type	_ZN7rocprim17ROCPRIM_400000_NS6detail17trampoline_kernelINS0_14default_configENS1_36segmented_radix_sort_config_selectorIflEEZNS1_25segmented_radix_sort_implIS3_Lb0EPKfPfPKlPlN2at6native12_GLOBAL__N_18offset_tEEE10hipError_tPvRmT1_PNSt15iterator_traitsISK_E10value_typeET2_T3_PNSL_ISQ_E10value_typeET4_jRbjT5_SW_jjP12ihipStream_tbEUlT_E_NS1_11comp_targetILNS1_3genE4ELNS1_11target_archE910ELNS1_3gpuE8ELNS1_3repE0EEENS1_30default_config_static_selectorELNS0_4arch9wavefront6targetE0EEEvSK_,@function
_ZN7rocprim17ROCPRIM_400000_NS6detail17trampoline_kernelINS0_14default_configENS1_36segmented_radix_sort_config_selectorIflEEZNS1_25segmented_radix_sort_implIS3_Lb0EPKfPfPKlPlN2at6native12_GLOBAL__N_18offset_tEEE10hipError_tPvRmT1_PNSt15iterator_traitsISK_E10value_typeET2_T3_PNSL_ISQ_E10value_typeET4_jRbjT5_SW_jjP12ihipStream_tbEUlT_E_NS1_11comp_targetILNS1_3genE4ELNS1_11target_archE910ELNS1_3gpuE8ELNS1_3repE0EEENS1_30default_config_static_selectorELNS0_4arch9wavefront6targetE0EEEvSK_: ; @_ZN7rocprim17ROCPRIM_400000_NS6detail17trampoline_kernelINS0_14default_configENS1_36segmented_radix_sort_config_selectorIflEEZNS1_25segmented_radix_sort_implIS3_Lb0EPKfPfPKlPlN2at6native12_GLOBAL__N_18offset_tEEE10hipError_tPvRmT1_PNSt15iterator_traitsISK_E10value_typeET2_T3_PNSL_ISQ_E10value_typeET4_jRbjT5_SW_jjP12ihipStream_tbEUlT_E_NS1_11comp_targetILNS1_3genE4ELNS1_11target_archE910ELNS1_3gpuE8ELNS1_3repE0EEENS1_30default_config_static_selectorELNS0_4arch9wavefront6targetE0EEEvSK_
; %bb.0:
	.section	.rodata,"a",@progbits
	.p2align	6, 0x0
	.amdhsa_kernel _ZN7rocprim17ROCPRIM_400000_NS6detail17trampoline_kernelINS0_14default_configENS1_36segmented_radix_sort_config_selectorIflEEZNS1_25segmented_radix_sort_implIS3_Lb0EPKfPfPKlPlN2at6native12_GLOBAL__N_18offset_tEEE10hipError_tPvRmT1_PNSt15iterator_traitsISK_E10value_typeET2_T3_PNSL_ISQ_E10value_typeET4_jRbjT5_SW_jjP12ihipStream_tbEUlT_E_NS1_11comp_targetILNS1_3genE4ELNS1_11target_archE910ELNS1_3gpuE8ELNS1_3repE0EEENS1_30default_config_static_selectorELNS0_4arch9wavefront6targetE0EEEvSK_
		.amdhsa_group_segment_fixed_size 0
		.amdhsa_private_segment_fixed_size 0
		.amdhsa_kernarg_size 96
		.amdhsa_user_sgpr_count 15
		.amdhsa_user_sgpr_dispatch_ptr 0
		.amdhsa_user_sgpr_queue_ptr 0
		.amdhsa_user_sgpr_kernarg_segment_ptr 1
		.amdhsa_user_sgpr_dispatch_id 0
		.amdhsa_user_sgpr_private_segment_size 0
		.amdhsa_wavefront_size32 1
		.amdhsa_uses_dynamic_stack 0
		.amdhsa_enable_private_segment 0
		.amdhsa_system_sgpr_workgroup_id_x 1
		.amdhsa_system_sgpr_workgroup_id_y 0
		.amdhsa_system_sgpr_workgroup_id_z 0
		.amdhsa_system_sgpr_workgroup_info 0
		.amdhsa_system_vgpr_workitem_id 0
		.amdhsa_next_free_vgpr 1
		.amdhsa_next_free_sgpr 1
		.amdhsa_reserve_vcc 0
		.amdhsa_float_round_mode_32 0
		.amdhsa_float_round_mode_16_64 0
		.amdhsa_float_denorm_mode_32 3
		.amdhsa_float_denorm_mode_16_64 3
		.amdhsa_dx10_clamp 1
		.amdhsa_ieee_mode 1
		.amdhsa_fp16_overflow 0
		.amdhsa_workgroup_processor_mode 1
		.amdhsa_memory_ordered 1
		.amdhsa_forward_progress 0
		.amdhsa_shared_vgpr_count 0
		.amdhsa_exception_fp_ieee_invalid_op 0
		.amdhsa_exception_fp_denorm_src 0
		.amdhsa_exception_fp_ieee_div_zero 0
		.amdhsa_exception_fp_ieee_overflow 0
		.amdhsa_exception_fp_ieee_underflow 0
		.amdhsa_exception_fp_ieee_inexact 0
		.amdhsa_exception_int_div_zero 0
	.end_amdhsa_kernel
	.section	.text._ZN7rocprim17ROCPRIM_400000_NS6detail17trampoline_kernelINS0_14default_configENS1_36segmented_radix_sort_config_selectorIflEEZNS1_25segmented_radix_sort_implIS3_Lb0EPKfPfPKlPlN2at6native12_GLOBAL__N_18offset_tEEE10hipError_tPvRmT1_PNSt15iterator_traitsISK_E10value_typeET2_T3_PNSL_ISQ_E10value_typeET4_jRbjT5_SW_jjP12ihipStream_tbEUlT_E_NS1_11comp_targetILNS1_3genE4ELNS1_11target_archE910ELNS1_3gpuE8ELNS1_3repE0EEENS1_30default_config_static_selectorELNS0_4arch9wavefront6targetE0EEEvSK_,"axG",@progbits,_ZN7rocprim17ROCPRIM_400000_NS6detail17trampoline_kernelINS0_14default_configENS1_36segmented_radix_sort_config_selectorIflEEZNS1_25segmented_radix_sort_implIS3_Lb0EPKfPfPKlPlN2at6native12_GLOBAL__N_18offset_tEEE10hipError_tPvRmT1_PNSt15iterator_traitsISK_E10value_typeET2_T3_PNSL_ISQ_E10value_typeET4_jRbjT5_SW_jjP12ihipStream_tbEUlT_E_NS1_11comp_targetILNS1_3genE4ELNS1_11target_archE910ELNS1_3gpuE8ELNS1_3repE0EEENS1_30default_config_static_selectorELNS0_4arch9wavefront6targetE0EEEvSK_,comdat
.Lfunc_end1430:
	.size	_ZN7rocprim17ROCPRIM_400000_NS6detail17trampoline_kernelINS0_14default_configENS1_36segmented_radix_sort_config_selectorIflEEZNS1_25segmented_radix_sort_implIS3_Lb0EPKfPfPKlPlN2at6native12_GLOBAL__N_18offset_tEEE10hipError_tPvRmT1_PNSt15iterator_traitsISK_E10value_typeET2_T3_PNSL_ISQ_E10value_typeET4_jRbjT5_SW_jjP12ihipStream_tbEUlT_E_NS1_11comp_targetILNS1_3genE4ELNS1_11target_archE910ELNS1_3gpuE8ELNS1_3repE0EEENS1_30default_config_static_selectorELNS0_4arch9wavefront6targetE0EEEvSK_, .Lfunc_end1430-_ZN7rocprim17ROCPRIM_400000_NS6detail17trampoline_kernelINS0_14default_configENS1_36segmented_radix_sort_config_selectorIflEEZNS1_25segmented_radix_sort_implIS3_Lb0EPKfPfPKlPlN2at6native12_GLOBAL__N_18offset_tEEE10hipError_tPvRmT1_PNSt15iterator_traitsISK_E10value_typeET2_T3_PNSL_ISQ_E10value_typeET4_jRbjT5_SW_jjP12ihipStream_tbEUlT_E_NS1_11comp_targetILNS1_3genE4ELNS1_11target_archE910ELNS1_3gpuE8ELNS1_3repE0EEENS1_30default_config_static_selectorELNS0_4arch9wavefront6targetE0EEEvSK_
                                        ; -- End function
	.section	.AMDGPU.csdata,"",@progbits
; Kernel info:
; codeLenInByte = 0
; NumSgprs: 0
; NumVgprs: 0
; ScratchSize: 0
; MemoryBound: 0
; FloatMode: 240
; IeeeMode: 1
; LDSByteSize: 0 bytes/workgroup (compile time only)
; SGPRBlocks: 0
; VGPRBlocks: 0
; NumSGPRsForWavesPerEU: 1
; NumVGPRsForWavesPerEU: 1
; Occupancy: 16
; WaveLimiterHint : 0
; COMPUTE_PGM_RSRC2:SCRATCH_EN: 0
; COMPUTE_PGM_RSRC2:USER_SGPR: 15
; COMPUTE_PGM_RSRC2:TRAP_HANDLER: 0
; COMPUTE_PGM_RSRC2:TGID_X_EN: 1
; COMPUTE_PGM_RSRC2:TGID_Y_EN: 0
; COMPUTE_PGM_RSRC2:TGID_Z_EN: 0
; COMPUTE_PGM_RSRC2:TIDIG_COMP_CNT: 0
	.section	.text._ZN7rocprim17ROCPRIM_400000_NS6detail17trampoline_kernelINS0_14default_configENS1_36segmented_radix_sort_config_selectorIflEEZNS1_25segmented_radix_sort_implIS3_Lb0EPKfPfPKlPlN2at6native12_GLOBAL__N_18offset_tEEE10hipError_tPvRmT1_PNSt15iterator_traitsISK_E10value_typeET2_T3_PNSL_ISQ_E10value_typeET4_jRbjT5_SW_jjP12ihipStream_tbEUlT_E_NS1_11comp_targetILNS1_3genE3ELNS1_11target_archE908ELNS1_3gpuE7ELNS1_3repE0EEENS1_30default_config_static_selectorELNS0_4arch9wavefront6targetE0EEEvSK_,"axG",@progbits,_ZN7rocprim17ROCPRIM_400000_NS6detail17trampoline_kernelINS0_14default_configENS1_36segmented_radix_sort_config_selectorIflEEZNS1_25segmented_radix_sort_implIS3_Lb0EPKfPfPKlPlN2at6native12_GLOBAL__N_18offset_tEEE10hipError_tPvRmT1_PNSt15iterator_traitsISK_E10value_typeET2_T3_PNSL_ISQ_E10value_typeET4_jRbjT5_SW_jjP12ihipStream_tbEUlT_E_NS1_11comp_targetILNS1_3genE3ELNS1_11target_archE908ELNS1_3gpuE7ELNS1_3repE0EEENS1_30default_config_static_selectorELNS0_4arch9wavefront6targetE0EEEvSK_,comdat
	.globl	_ZN7rocprim17ROCPRIM_400000_NS6detail17trampoline_kernelINS0_14default_configENS1_36segmented_radix_sort_config_selectorIflEEZNS1_25segmented_radix_sort_implIS3_Lb0EPKfPfPKlPlN2at6native12_GLOBAL__N_18offset_tEEE10hipError_tPvRmT1_PNSt15iterator_traitsISK_E10value_typeET2_T3_PNSL_ISQ_E10value_typeET4_jRbjT5_SW_jjP12ihipStream_tbEUlT_E_NS1_11comp_targetILNS1_3genE3ELNS1_11target_archE908ELNS1_3gpuE7ELNS1_3repE0EEENS1_30default_config_static_selectorELNS0_4arch9wavefront6targetE0EEEvSK_ ; -- Begin function _ZN7rocprim17ROCPRIM_400000_NS6detail17trampoline_kernelINS0_14default_configENS1_36segmented_radix_sort_config_selectorIflEEZNS1_25segmented_radix_sort_implIS3_Lb0EPKfPfPKlPlN2at6native12_GLOBAL__N_18offset_tEEE10hipError_tPvRmT1_PNSt15iterator_traitsISK_E10value_typeET2_T3_PNSL_ISQ_E10value_typeET4_jRbjT5_SW_jjP12ihipStream_tbEUlT_E_NS1_11comp_targetILNS1_3genE3ELNS1_11target_archE908ELNS1_3gpuE7ELNS1_3repE0EEENS1_30default_config_static_selectorELNS0_4arch9wavefront6targetE0EEEvSK_
	.p2align	8
	.type	_ZN7rocprim17ROCPRIM_400000_NS6detail17trampoline_kernelINS0_14default_configENS1_36segmented_radix_sort_config_selectorIflEEZNS1_25segmented_radix_sort_implIS3_Lb0EPKfPfPKlPlN2at6native12_GLOBAL__N_18offset_tEEE10hipError_tPvRmT1_PNSt15iterator_traitsISK_E10value_typeET2_T3_PNSL_ISQ_E10value_typeET4_jRbjT5_SW_jjP12ihipStream_tbEUlT_E_NS1_11comp_targetILNS1_3genE3ELNS1_11target_archE908ELNS1_3gpuE7ELNS1_3repE0EEENS1_30default_config_static_selectorELNS0_4arch9wavefront6targetE0EEEvSK_,@function
_ZN7rocprim17ROCPRIM_400000_NS6detail17trampoline_kernelINS0_14default_configENS1_36segmented_radix_sort_config_selectorIflEEZNS1_25segmented_radix_sort_implIS3_Lb0EPKfPfPKlPlN2at6native12_GLOBAL__N_18offset_tEEE10hipError_tPvRmT1_PNSt15iterator_traitsISK_E10value_typeET2_T3_PNSL_ISQ_E10value_typeET4_jRbjT5_SW_jjP12ihipStream_tbEUlT_E_NS1_11comp_targetILNS1_3genE3ELNS1_11target_archE908ELNS1_3gpuE7ELNS1_3repE0EEENS1_30default_config_static_selectorELNS0_4arch9wavefront6targetE0EEEvSK_: ; @_ZN7rocprim17ROCPRIM_400000_NS6detail17trampoline_kernelINS0_14default_configENS1_36segmented_radix_sort_config_selectorIflEEZNS1_25segmented_radix_sort_implIS3_Lb0EPKfPfPKlPlN2at6native12_GLOBAL__N_18offset_tEEE10hipError_tPvRmT1_PNSt15iterator_traitsISK_E10value_typeET2_T3_PNSL_ISQ_E10value_typeET4_jRbjT5_SW_jjP12ihipStream_tbEUlT_E_NS1_11comp_targetILNS1_3genE3ELNS1_11target_archE908ELNS1_3gpuE7ELNS1_3repE0EEENS1_30default_config_static_selectorELNS0_4arch9wavefront6targetE0EEEvSK_
; %bb.0:
	.section	.rodata,"a",@progbits
	.p2align	6, 0x0
	.amdhsa_kernel _ZN7rocprim17ROCPRIM_400000_NS6detail17trampoline_kernelINS0_14default_configENS1_36segmented_radix_sort_config_selectorIflEEZNS1_25segmented_radix_sort_implIS3_Lb0EPKfPfPKlPlN2at6native12_GLOBAL__N_18offset_tEEE10hipError_tPvRmT1_PNSt15iterator_traitsISK_E10value_typeET2_T3_PNSL_ISQ_E10value_typeET4_jRbjT5_SW_jjP12ihipStream_tbEUlT_E_NS1_11comp_targetILNS1_3genE3ELNS1_11target_archE908ELNS1_3gpuE7ELNS1_3repE0EEENS1_30default_config_static_selectorELNS0_4arch9wavefront6targetE0EEEvSK_
		.amdhsa_group_segment_fixed_size 0
		.amdhsa_private_segment_fixed_size 0
		.amdhsa_kernarg_size 96
		.amdhsa_user_sgpr_count 15
		.amdhsa_user_sgpr_dispatch_ptr 0
		.amdhsa_user_sgpr_queue_ptr 0
		.amdhsa_user_sgpr_kernarg_segment_ptr 1
		.amdhsa_user_sgpr_dispatch_id 0
		.amdhsa_user_sgpr_private_segment_size 0
		.amdhsa_wavefront_size32 1
		.amdhsa_uses_dynamic_stack 0
		.amdhsa_enable_private_segment 0
		.amdhsa_system_sgpr_workgroup_id_x 1
		.amdhsa_system_sgpr_workgroup_id_y 0
		.amdhsa_system_sgpr_workgroup_id_z 0
		.amdhsa_system_sgpr_workgroup_info 0
		.amdhsa_system_vgpr_workitem_id 0
		.amdhsa_next_free_vgpr 1
		.amdhsa_next_free_sgpr 1
		.amdhsa_reserve_vcc 0
		.amdhsa_float_round_mode_32 0
		.amdhsa_float_round_mode_16_64 0
		.amdhsa_float_denorm_mode_32 3
		.amdhsa_float_denorm_mode_16_64 3
		.amdhsa_dx10_clamp 1
		.amdhsa_ieee_mode 1
		.amdhsa_fp16_overflow 0
		.amdhsa_workgroup_processor_mode 1
		.amdhsa_memory_ordered 1
		.amdhsa_forward_progress 0
		.amdhsa_shared_vgpr_count 0
		.amdhsa_exception_fp_ieee_invalid_op 0
		.amdhsa_exception_fp_denorm_src 0
		.amdhsa_exception_fp_ieee_div_zero 0
		.amdhsa_exception_fp_ieee_overflow 0
		.amdhsa_exception_fp_ieee_underflow 0
		.amdhsa_exception_fp_ieee_inexact 0
		.amdhsa_exception_int_div_zero 0
	.end_amdhsa_kernel
	.section	.text._ZN7rocprim17ROCPRIM_400000_NS6detail17trampoline_kernelINS0_14default_configENS1_36segmented_radix_sort_config_selectorIflEEZNS1_25segmented_radix_sort_implIS3_Lb0EPKfPfPKlPlN2at6native12_GLOBAL__N_18offset_tEEE10hipError_tPvRmT1_PNSt15iterator_traitsISK_E10value_typeET2_T3_PNSL_ISQ_E10value_typeET4_jRbjT5_SW_jjP12ihipStream_tbEUlT_E_NS1_11comp_targetILNS1_3genE3ELNS1_11target_archE908ELNS1_3gpuE7ELNS1_3repE0EEENS1_30default_config_static_selectorELNS0_4arch9wavefront6targetE0EEEvSK_,"axG",@progbits,_ZN7rocprim17ROCPRIM_400000_NS6detail17trampoline_kernelINS0_14default_configENS1_36segmented_radix_sort_config_selectorIflEEZNS1_25segmented_radix_sort_implIS3_Lb0EPKfPfPKlPlN2at6native12_GLOBAL__N_18offset_tEEE10hipError_tPvRmT1_PNSt15iterator_traitsISK_E10value_typeET2_T3_PNSL_ISQ_E10value_typeET4_jRbjT5_SW_jjP12ihipStream_tbEUlT_E_NS1_11comp_targetILNS1_3genE3ELNS1_11target_archE908ELNS1_3gpuE7ELNS1_3repE0EEENS1_30default_config_static_selectorELNS0_4arch9wavefront6targetE0EEEvSK_,comdat
.Lfunc_end1431:
	.size	_ZN7rocprim17ROCPRIM_400000_NS6detail17trampoline_kernelINS0_14default_configENS1_36segmented_radix_sort_config_selectorIflEEZNS1_25segmented_radix_sort_implIS3_Lb0EPKfPfPKlPlN2at6native12_GLOBAL__N_18offset_tEEE10hipError_tPvRmT1_PNSt15iterator_traitsISK_E10value_typeET2_T3_PNSL_ISQ_E10value_typeET4_jRbjT5_SW_jjP12ihipStream_tbEUlT_E_NS1_11comp_targetILNS1_3genE3ELNS1_11target_archE908ELNS1_3gpuE7ELNS1_3repE0EEENS1_30default_config_static_selectorELNS0_4arch9wavefront6targetE0EEEvSK_, .Lfunc_end1431-_ZN7rocprim17ROCPRIM_400000_NS6detail17trampoline_kernelINS0_14default_configENS1_36segmented_radix_sort_config_selectorIflEEZNS1_25segmented_radix_sort_implIS3_Lb0EPKfPfPKlPlN2at6native12_GLOBAL__N_18offset_tEEE10hipError_tPvRmT1_PNSt15iterator_traitsISK_E10value_typeET2_T3_PNSL_ISQ_E10value_typeET4_jRbjT5_SW_jjP12ihipStream_tbEUlT_E_NS1_11comp_targetILNS1_3genE3ELNS1_11target_archE908ELNS1_3gpuE7ELNS1_3repE0EEENS1_30default_config_static_selectorELNS0_4arch9wavefront6targetE0EEEvSK_
                                        ; -- End function
	.section	.AMDGPU.csdata,"",@progbits
; Kernel info:
; codeLenInByte = 0
; NumSgprs: 0
; NumVgprs: 0
; ScratchSize: 0
; MemoryBound: 0
; FloatMode: 240
; IeeeMode: 1
; LDSByteSize: 0 bytes/workgroup (compile time only)
; SGPRBlocks: 0
; VGPRBlocks: 0
; NumSGPRsForWavesPerEU: 1
; NumVGPRsForWavesPerEU: 1
; Occupancy: 16
; WaveLimiterHint : 0
; COMPUTE_PGM_RSRC2:SCRATCH_EN: 0
; COMPUTE_PGM_RSRC2:USER_SGPR: 15
; COMPUTE_PGM_RSRC2:TRAP_HANDLER: 0
; COMPUTE_PGM_RSRC2:TGID_X_EN: 1
; COMPUTE_PGM_RSRC2:TGID_Y_EN: 0
; COMPUTE_PGM_RSRC2:TGID_Z_EN: 0
; COMPUTE_PGM_RSRC2:TIDIG_COMP_CNT: 0
	.section	.text._ZN7rocprim17ROCPRIM_400000_NS6detail17trampoline_kernelINS0_14default_configENS1_36segmented_radix_sort_config_selectorIflEEZNS1_25segmented_radix_sort_implIS3_Lb0EPKfPfPKlPlN2at6native12_GLOBAL__N_18offset_tEEE10hipError_tPvRmT1_PNSt15iterator_traitsISK_E10value_typeET2_T3_PNSL_ISQ_E10value_typeET4_jRbjT5_SW_jjP12ihipStream_tbEUlT_E_NS1_11comp_targetILNS1_3genE2ELNS1_11target_archE906ELNS1_3gpuE6ELNS1_3repE0EEENS1_30default_config_static_selectorELNS0_4arch9wavefront6targetE0EEEvSK_,"axG",@progbits,_ZN7rocprim17ROCPRIM_400000_NS6detail17trampoline_kernelINS0_14default_configENS1_36segmented_radix_sort_config_selectorIflEEZNS1_25segmented_radix_sort_implIS3_Lb0EPKfPfPKlPlN2at6native12_GLOBAL__N_18offset_tEEE10hipError_tPvRmT1_PNSt15iterator_traitsISK_E10value_typeET2_T3_PNSL_ISQ_E10value_typeET4_jRbjT5_SW_jjP12ihipStream_tbEUlT_E_NS1_11comp_targetILNS1_3genE2ELNS1_11target_archE906ELNS1_3gpuE6ELNS1_3repE0EEENS1_30default_config_static_selectorELNS0_4arch9wavefront6targetE0EEEvSK_,comdat
	.globl	_ZN7rocprim17ROCPRIM_400000_NS6detail17trampoline_kernelINS0_14default_configENS1_36segmented_radix_sort_config_selectorIflEEZNS1_25segmented_radix_sort_implIS3_Lb0EPKfPfPKlPlN2at6native12_GLOBAL__N_18offset_tEEE10hipError_tPvRmT1_PNSt15iterator_traitsISK_E10value_typeET2_T3_PNSL_ISQ_E10value_typeET4_jRbjT5_SW_jjP12ihipStream_tbEUlT_E_NS1_11comp_targetILNS1_3genE2ELNS1_11target_archE906ELNS1_3gpuE6ELNS1_3repE0EEENS1_30default_config_static_selectorELNS0_4arch9wavefront6targetE0EEEvSK_ ; -- Begin function _ZN7rocprim17ROCPRIM_400000_NS6detail17trampoline_kernelINS0_14default_configENS1_36segmented_radix_sort_config_selectorIflEEZNS1_25segmented_radix_sort_implIS3_Lb0EPKfPfPKlPlN2at6native12_GLOBAL__N_18offset_tEEE10hipError_tPvRmT1_PNSt15iterator_traitsISK_E10value_typeET2_T3_PNSL_ISQ_E10value_typeET4_jRbjT5_SW_jjP12ihipStream_tbEUlT_E_NS1_11comp_targetILNS1_3genE2ELNS1_11target_archE906ELNS1_3gpuE6ELNS1_3repE0EEENS1_30default_config_static_selectorELNS0_4arch9wavefront6targetE0EEEvSK_
	.p2align	8
	.type	_ZN7rocprim17ROCPRIM_400000_NS6detail17trampoline_kernelINS0_14default_configENS1_36segmented_radix_sort_config_selectorIflEEZNS1_25segmented_radix_sort_implIS3_Lb0EPKfPfPKlPlN2at6native12_GLOBAL__N_18offset_tEEE10hipError_tPvRmT1_PNSt15iterator_traitsISK_E10value_typeET2_T3_PNSL_ISQ_E10value_typeET4_jRbjT5_SW_jjP12ihipStream_tbEUlT_E_NS1_11comp_targetILNS1_3genE2ELNS1_11target_archE906ELNS1_3gpuE6ELNS1_3repE0EEENS1_30default_config_static_selectorELNS0_4arch9wavefront6targetE0EEEvSK_,@function
_ZN7rocprim17ROCPRIM_400000_NS6detail17trampoline_kernelINS0_14default_configENS1_36segmented_radix_sort_config_selectorIflEEZNS1_25segmented_radix_sort_implIS3_Lb0EPKfPfPKlPlN2at6native12_GLOBAL__N_18offset_tEEE10hipError_tPvRmT1_PNSt15iterator_traitsISK_E10value_typeET2_T3_PNSL_ISQ_E10value_typeET4_jRbjT5_SW_jjP12ihipStream_tbEUlT_E_NS1_11comp_targetILNS1_3genE2ELNS1_11target_archE906ELNS1_3gpuE6ELNS1_3repE0EEENS1_30default_config_static_selectorELNS0_4arch9wavefront6targetE0EEEvSK_: ; @_ZN7rocprim17ROCPRIM_400000_NS6detail17trampoline_kernelINS0_14default_configENS1_36segmented_radix_sort_config_selectorIflEEZNS1_25segmented_radix_sort_implIS3_Lb0EPKfPfPKlPlN2at6native12_GLOBAL__N_18offset_tEEE10hipError_tPvRmT1_PNSt15iterator_traitsISK_E10value_typeET2_T3_PNSL_ISQ_E10value_typeET4_jRbjT5_SW_jjP12ihipStream_tbEUlT_E_NS1_11comp_targetILNS1_3genE2ELNS1_11target_archE906ELNS1_3gpuE6ELNS1_3repE0EEENS1_30default_config_static_selectorELNS0_4arch9wavefront6targetE0EEEvSK_
; %bb.0:
	.section	.rodata,"a",@progbits
	.p2align	6, 0x0
	.amdhsa_kernel _ZN7rocprim17ROCPRIM_400000_NS6detail17trampoline_kernelINS0_14default_configENS1_36segmented_radix_sort_config_selectorIflEEZNS1_25segmented_radix_sort_implIS3_Lb0EPKfPfPKlPlN2at6native12_GLOBAL__N_18offset_tEEE10hipError_tPvRmT1_PNSt15iterator_traitsISK_E10value_typeET2_T3_PNSL_ISQ_E10value_typeET4_jRbjT5_SW_jjP12ihipStream_tbEUlT_E_NS1_11comp_targetILNS1_3genE2ELNS1_11target_archE906ELNS1_3gpuE6ELNS1_3repE0EEENS1_30default_config_static_selectorELNS0_4arch9wavefront6targetE0EEEvSK_
		.amdhsa_group_segment_fixed_size 0
		.amdhsa_private_segment_fixed_size 0
		.amdhsa_kernarg_size 96
		.amdhsa_user_sgpr_count 15
		.amdhsa_user_sgpr_dispatch_ptr 0
		.amdhsa_user_sgpr_queue_ptr 0
		.amdhsa_user_sgpr_kernarg_segment_ptr 1
		.amdhsa_user_sgpr_dispatch_id 0
		.amdhsa_user_sgpr_private_segment_size 0
		.amdhsa_wavefront_size32 1
		.amdhsa_uses_dynamic_stack 0
		.amdhsa_enable_private_segment 0
		.amdhsa_system_sgpr_workgroup_id_x 1
		.amdhsa_system_sgpr_workgroup_id_y 0
		.amdhsa_system_sgpr_workgroup_id_z 0
		.amdhsa_system_sgpr_workgroup_info 0
		.amdhsa_system_vgpr_workitem_id 0
		.amdhsa_next_free_vgpr 1
		.amdhsa_next_free_sgpr 1
		.amdhsa_reserve_vcc 0
		.amdhsa_float_round_mode_32 0
		.amdhsa_float_round_mode_16_64 0
		.amdhsa_float_denorm_mode_32 3
		.amdhsa_float_denorm_mode_16_64 3
		.amdhsa_dx10_clamp 1
		.amdhsa_ieee_mode 1
		.amdhsa_fp16_overflow 0
		.amdhsa_workgroup_processor_mode 1
		.amdhsa_memory_ordered 1
		.amdhsa_forward_progress 0
		.amdhsa_shared_vgpr_count 0
		.amdhsa_exception_fp_ieee_invalid_op 0
		.amdhsa_exception_fp_denorm_src 0
		.amdhsa_exception_fp_ieee_div_zero 0
		.amdhsa_exception_fp_ieee_overflow 0
		.amdhsa_exception_fp_ieee_underflow 0
		.amdhsa_exception_fp_ieee_inexact 0
		.amdhsa_exception_int_div_zero 0
	.end_amdhsa_kernel
	.section	.text._ZN7rocprim17ROCPRIM_400000_NS6detail17trampoline_kernelINS0_14default_configENS1_36segmented_radix_sort_config_selectorIflEEZNS1_25segmented_radix_sort_implIS3_Lb0EPKfPfPKlPlN2at6native12_GLOBAL__N_18offset_tEEE10hipError_tPvRmT1_PNSt15iterator_traitsISK_E10value_typeET2_T3_PNSL_ISQ_E10value_typeET4_jRbjT5_SW_jjP12ihipStream_tbEUlT_E_NS1_11comp_targetILNS1_3genE2ELNS1_11target_archE906ELNS1_3gpuE6ELNS1_3repE0EEENS1_30default_config_static_selectorELNS0_4arch9wavefront6targetE0EEEvSK_,"axG",@progbits,_ZN7rocprim17ROCPRIM_400000_NS6detail17trampoline_kernelINS0_14default_configENS1_36segmented_radix_sort_config_selectorIflEEZNS1_25segmented_radix_sort_implIS3_Lb0EPKfPfPKlPlN2at6native12_GLOBAL__N_18offset_tEEE10hipError_tPvRmT1_PNSt15iterator_traitsISK_E10value_typeET2_T3_PNSL_ISQ_E10value_typeET4_jRbjT5_SW_jjP12ihipStream_tbEUlT_E_NS1_11comp_targetILNS1_3genE2ELNS1_11target_archE906ELNS1_3gpuE6ELNS1_3repE0EEENS1_30default_config_static_selectorELNS0_4arch9wavefront6targetE0EEEvSK_,comdat
.Lfunc_end1432:
	.size	_ZN7rocprim17ROCPRIM_400000_NS6detail17trampoline_kernelINS0_14default_configENS1_36segmented_radix_sort_config_selectorIflEEZNS1_25segmented_radix_sort_implIS3_Lb0EPKfPfPKlPlN2at6native12_GLOBAL__N_18offset_tEEE10hipError_tPvRmT1_PNSt15iterator_traitsISK_E10value_typeET2_T3_PNSL_ISQ_E10value_typeET4_jRbjT5_SW_jjP12ihipStream_tbEUlT_E_NS1_11comp_targetILNS1_3genE2ELNS1_11target_archE906ELNS1_3gpuE6ELNS1_3repE0EEENS1_30default_config_static_selectorELNS0_4arch9wavefront6targetE0EEEvSK_, .Lfunc_end1432-_ZN7rocprim17ROCPRIM_400000_NS6detail17trampoline_kernelINS0_14default_configENS1_36segmented_radix_sort_config_selectorIflEEZNS1_25segmented_radix_sort_implIS3_Lb0EPKfPfPKlPlN2at6native12_GLOBAL__N_18offset_tEEE10hipError_tPvRmT1_PNSt15iterator_traitsISK_E10value_typeET2_T3_PNSL_ISQ_E10value_typeET4_jRbjT5_SW_jjP12ihipStream_tbEUlT_E_NS1_11comp_targetILNS1_3genE2ELNS1_11target_archE906ELNS1_3gpuE6ELNS1_3repE0EEENS1_30default_config_static_selectorELNS0_4arch9wavefront6targetE0EEEvSK_
                                        ; -- End function
	.section	.AMDGPU.csdata,"",@progbits
; Kernel info:
; codeLenInByte = 0
; NumSgprs: 0
; NumVgprs: 0
; ScratchSize: 0
; MemoryBound: 0
; FloatMode: 240
; IeeeMode: 1
; LDSByteSize: 0 bytes/workgroup (compile time only)
; SGPRBlocks: 0
; VGPRBlocks: 0
; NumSGPRsForWavesPerEU: 1
; NumVGPRsForWavesPerEU: 1
; Occupancy: 16
; WaveLimiterHint : 0
; COMPUTE_PGM_RSRC2:SCRATCH_EN: 0
; COMPUTE_PGM_RSRC2:USER_SGPR: 15
; COMPUTE_PGM_RSRC2:TRAP_HANDLER: 0
; COMPUTE_PGM_RSRC2:TGID_X_EN: 1
; COMPUTE_PGM_RSRC2:TGID_Y_EN: 0
; COMPUTE_PGM_RSRC2:TGID_Z_EN: 0
; COMPUTE_PGM_RSRC2:TIDIG_COMP_CNT: 0
	.section	.text._ZN7rocprim17ROCPRIM_400000_NS6detail17trampoline_kernelINS0_14default_configENS1_36segmented_radix_sort_config_selectorIflEEZNS1_25segmented_radix_sort_implIS3_Lb0EPKfPfPKlPlN2at6native12_GLOBAL__N_18offset_tEEE10hipError_tPvRmT1_PNSt15iterator_traitsISK_E10value_typeET2_T3_PNSL_ISQ_E10value_typeET4_jRbjT5_SW_jjP12ihipStream_tbEUlT_E_NS1_11comp_targetILNS1_3genE10ELNS1_11target_archE1201ELNS1_3gpuE5ELNS1_3repE0EEENS1_30default_config_static_selectorELNS0_4arch9wavefront6targetE0EEEvSK_,"axG",@progbits,_ZN7rocprim17ROCPRIM_400000_NS6detail17trampoline_kernelINS0_14default_configENS1_36segmented_radix_sort_config_selectorIflEEZNS1_25segmented_radix_sort_implIS3_Lb0EPKfPfPKlPlN2at6native12_GLOBAL__N_18offset_tEEE10hipError_tPvRmT1_PNSt15iterator_traitsISK_E10value_typeET2_T3_PNSL_ISQ_E10value_typeET4_jRbjT5_SW_jjP12ihipStream_tbEUlT_E_NS1_11comp_targetILNS1_3genE10ELNS1_11target_archE1201ELNS1_3gpuE5ELNS1_3repE0EEENS1_30default_config_static_selectorELNS0_4arch9wavefront6targetE0EEEvSK_,comdat
	.globl	_ZN7rocprim17ROCPRIM_400000_NS6detail17trampoline_kernelINS0_14default_configENS1_36segmented_radix_sort_config_selectorIflEEZNS1_25segmented_radix_sort_implIS3_Lb0EPKfPfPKlPlN2at6native12_GLOBAL__N_18offset_tEEE10hipError_tPvRmT1_PNSt15iterator_traitsISK_E10value_typeET2_T3_PNSL_ISQ_E10value_typeET4_jRbjT5_SW_jjP12ihipStream_tbEUlT_E_NS1_11comp_targetILNS1_3genE10ELNS1_11target_archE1201ELNS1_3gpuE5ELNS1_3repE0EEENS1_30default_config_static_selectorELNS0_4arch9wavefront6targetE0EEEvSK_ ; -- Begin function _ZN7rocprim17ROCPRIM_400000_NS6detail17trampoline_kernelINS0_14default_configENS1_36segmented_radix_sort_config_selectorIflEEZNS1_25segmented_radix_sort_implIS3_Lb0EPKfPfPKlPlN2at6native12_GLOBAL__N_18offset_tEEE10hipError_tPvRmT1_PNSt15iterator_traitsISK_E10value_typeET2_T3_PNSL_ISQ_E10value_typeET4_jRbjT5_SW_jjP12ihipStream_tbEUlT_E_NS1_11comp_targetILNS1_3genE10ELNS1_11target_archE1201ELNS1_3gpuE5ELNS1_3repE0EEENS1_30default_config_static_selectorELNS0_4arch9wavefront6targetE0EEEvSK_
	.p2align	8
	.type	_ZN7rocprim17ROCPRIM_400000_NS6detail17trampoline_kernelINS0_14default_configENS1_36segmented_radix_sort_config_selectorIflEEZNS1_25segmented_radix_sort_implIS3_Lb0EPKfPfPKlPlN2at6native12_GLOBAL__N_18offset_tEEE10hipError_tPvRmT1_PNSt15iterator_traitsISK_E10value_typeET2_T3_PNSL_ISQ_E10value_typeET4_jRbjT5_SW_jjP12ihipStream_tbEUlT_E_NS1_11comp_targetILNS1_3genE10ELNS1_11target_archE1201ELNS1_3gpuE5ELNS1_3repE0EEENS1_30default_config_static_selectorELNS0_4arch9wavefront6targetE0EEEvSK_,@function
_ZN7rocprim17ROCPRIM_400000_NS6detail17trampoline_kernelINS0_14default_configENS1_36segmented_radix_sort_config_selectorIflEEZNS1_25segmented_radix_sort_implIS3_Lb0EPKfPfPKlPlN2at6native12_GLOBAL__N_18offset_tEEE10hipError_tPvRmT1_PNSt15iterator_traitsISK_E10value_typeET2_T3_PNSL_ISQ_E10value_typeET4_jRbjT5_SW_jjP12ihipStream_tbEUlT_E_NS1_11comp_targetILNS1_3genE10ELNS1_11target_archE1201ELNS1_3gpuE5ELNS1_3repE0EEENS1_30default_config_static_selectorELNS0_4arch9wavefront6targetE0EEEvSK_: ; @_ZN7rocprim17ROCPRIM_400000_NS6detail17trampoline_kernelINS0_14default_configENS1_36segmented_radix_sort_config_selectorIflEEZNS1_25segmented_radix_sort_implIS3_Lb0EPKfPfPKlPlN2at6native12_GLOBAL__N_18offset_tEEE10hipError_tPvRmT1_PNSt15iterator_traitsISK_E10value_typeET2_T3_PNSL_ISQ_E10value_typeET4_jRbjT5_SW_jjP12ihipStream_tbEUlT_E_NS1_11comp_targetILNS1_3genE10ELNS1_11target_archE1201ELNS1_3gpuE5ELNS1_3repE0EEENS1_30default_config_static_selectorELNS0_4arch9wavefront6targetE0EEEvSK_
; %bb.0:
	.section	.rodata,"a",@progbits
	.p2align	6, 0x0
	.amdhsa_kernel _ZN7rocprim17ROCPRIM_400000_NS6detail17trampoline_kernelINS0_14default_configENS1_36segmented_radix_sort_config_selectorIflEEZNS1_25segmented_radix_sort_implIS3_Lb0EPKfPfPKlPlN2at6native12_GLOBAL__N_18offset_tEEE10hipError_tPvRmT1_PNSt15iterator_traitsISK_E10value_typeET2_T3_PNSL_ISQ_E10value_typeET4_jRbjT5_SW_jjP12ihipStream_tbEUlT_E_NS1_11comp_targetILNS1_3genE10ELNS1_11target_archE1201ELNS1_3gpuE5ELNS1_3repE0EEENS1_30default_config_static_selectorELNS0_4arch9wavefront6targetE0EEEvSK_
		.amdhsa_group_segment_fixed_size 0
		.amdhsa_private_segment_fixed_size 0
		.amdhsa_kernarg_size 96
		.amdhsa_user_sgpr_count 15
		.amdhsa_user_sgpr_dispatch_ptr 0
		.amdhsa_user_sgpr_queue_ptr 0
		.amdhsa_user_sgpr_kernarg_segment_ptr 1
		.amdhsa_user_sgpr_dispatch_id 0
		.amdhsa_user_sgpr_private_segment_size 0
		.amdhsa_wavefront_size32 1
		.amdhsa_uses_dynamic_stack 0
		.amdhsa_enable_private_segment 0
		.amdhsa_system_sgpr_workgroup_id_x 1
		.amdhsa_system_sgpr_workgroup_id_y 0
		.amdhsa_system_sgpr_workgroup_id_z 0
		.amdhsa_system_sgpr_workgroup_info 0
		.amdhsa_system_vgpr_workitem_id 0
		.amdhsa_next_free_vgpr 1
		.amdhsa_next_free_sgpr 1
		.amdhsa_reserve_vcc 0
		.amdhsa_float_round_mode_32 0
		.amdhsa_float_round_mode_16_64 0
		.amdhsa_float_denorm_mode_32 3
		.amdhsa_float_denorm_mode_16_64 3
		.amdhsa_dx10_clamp 1
		.amdhsa_ieee_mode 1
		.amdhsa_fp16_overflow 0
		.amdhsa_workgroup_processor_mode 1
		.amdhsa_memory_ordered 1
		.amdhsa_forward_progress 0
		.amdhsa_shared_vgpr_count 0
		.amdhsa_exception_fp_ieee_invalid_op 0
		.amdhsa_exception_fp_denorm_src 0
		.amdhsa_exception_fp_ieee_div_zero 0
		.amdhsa_exception_fp_ieee_overflow 0
		.amdhsa_exception_fp_ieee_underflow 0
		.amdhsa_exception_fp_ieee_inexact 0
		.amdhsa_exception_int_div_zero 0
	.end_amdhsa_kernel
	.section	.text._ZN7rocprim17ROCPRIM_400000_NS6detail17trampoline_kernelINS0_14default_configENS1_36segmented_radix_sort_config_selectorIflEEZNS1_25segmented_radix_sort_implIS3_Lb0EPKfPfPKlPlN2at6native12_GLOBAL__N_18offset_tEEE10hipError_tPvRmT1_PNSt15iterator_traitsISK_E10value_typeET2_T3_PNSL_ISQ_E10value_typeET4_jRbjT5_SW_jjP12ihipStream_tbEUlT_E_NS1_11comp_targetILNS1_3genE10ELNS1_11target_archE1201ELNS1_3gpuE5ELNS1_3repE0EEENS1_30default_config_static_selectorELNS0_4arch9wavefront6targetE0EEEvSK_,"axG",@progbits,_ZN7rocprim17ROCPRIM_400000_NS6detail17trampoline_kernelINS0_14default_configENS1_36segmented_radix_sort_config_selectorIflEEZNS1_25segmented_radix_sort_implIS3_Lb0EPKfPfPKlPlN2at6native12_GLOBAL__N_18offset_tEEE10hipError_tPvRmT1_PNSt15iterator_traitsISK_E10value_typeET2_T3_PNSL_ISQ_E10value_typeET4_jRbjT5_SW_jjP12ihipStream_tbEUlT_E_NS1_11comp_targetILNS1_3genE10ELNS1_11target_archE1201ELNS1_3gpuE5ELNS1_3repE0EEENS1_30default_config_static_selectorELNS0_4arch9wavefront6targetE0EEEvSK_,comdat
.Lfunc_end1433:
	.size	_ZN7rocprim17ROCPRIM_400000_NS6detail17trampoline_kernelINS0_14default_configENS1_36segmented_radix_sort_config_selectorIflEEZNS1_25segmented_radix_sort_implIS3_Lb0EPKfPfPKlPlN2at6native12_GLOBAL__N_18offset_tEEE10hipError_tPvRmT1_PNSt15iterator_traitsISK_E10value_typeET2_T3_PNSL_ISQ_E10value_typeET4_jRbjT5_SW_jjP12ihipStream_tbEUlT_E_NS1_11comp_targetILNS1_3genE10ELNS1_11target_archE1201ELNS1_3gpuE5ELNS1_3repE0EEENS1_30default_config_static_selectorELNS0_4arch9wavefront6targetE0EEEvSK_, .Lfunc_end1433-_ZN7rocprim17ROCPRIM_400000_NS6detail17trampoline_kernelINS0_14default_configENS1_36segmented_radix_sort_config_selectorIflEEZNS1_25segmented_radix_sort_implIS3_Lb0EPKfPfPKlPlN2at6native12_GLOBAL__N_18offset_tEEE10hipError_tPvRmT1_PNSt15iterator_traitsISK_E10value_typeET2_T3_PNSL_ISQ_E10value_typeET4_jRbjT5_SW_jjP12ihipStream_tbEUlT_E_NS1_11comp_targetILNS1_3genE10ELNS1_11target_archE1201ELNS1_3gpuE5ELNS1_3repE0EEENS1_30default_config_static_selectorELNS0_4arch9wavefront6targetE0EEEvSK_
                                        ; -- End function
	.section	.AMDGPU.csdata,"",@progbits
; Kernel info:
; codeLenInByte = 0
; NumSgprs: 0
; NumVgprs: 0
; ScratchSize: 0
; MemoryBound: 0
; FloatMode: 240
; IeeeMode: 1
; LDSByteSize: 0 bytes/workgroup (compile time only)
; SGPRBlocks: 0
; VGPRBlocks: 0
; NumSGPRsForWavesPerEU: 1
; NumVGPRsForWavesPerEU: 1
; Occupancy: 16
; WaveLimiterHint : 0
; COMPUTE_PGM_RSRC2:SCRATCH_EN: 0
; COMPUTE_PGM_RSRC2:USER_SGPR: 15
; COMPUTE_PGM_RSRC2:TRAP_HANDLER: 0
; COMPUTE_PGM_RSRC2:TGID_X_EN: 1
; COMPUTE_PGM_RSRC2:TGID_Y_EN: 0
; COMPUTE_PGM_RSRC2:TGID_Z_EN: 0
; COMPUTE_PGM_RSRC2:TIDIG_COMP_CNT: 0
	.section	.text._ZN7rocprim17ROCPRIM_400000_NS6detail17trampoline_kernelINS0_14default_configENS1_36segmented_radix_sort_config_selectorIflEEZNS1_25segmented_radix_sort_implIS3_Lb0EPKfPfPKlPlN2at6native12_GLOBAL__N_18offset_tEEE10hipError_tPvRmT1_PNSt15iterator_traitsISK_E10value_typeET2_T3_PNSL_ISQ_E10value_typeET4_jRbjT5_SW_jjP12ihipStream_tbEUlT_E_NS1_11comp_targetILNS1_3genE10ELNS1_11target_archE1200ELNS1_3gpuE4ELNS1_3repE0EEENS1_30default_config_static_selectorELNS0_4arch9wavefront6targetE0EEEvSK_,"axG",@progbits,_ZN7rocprim17ROCPRIM_400000_NS6detail17trampoline_kernelINS0_14default_configENS1_36segmented_radix_sort_config_selectorIflEEZNS1_25segmented_radix_sort_implIS3_Lb0EPKfPfPKlPlN2at6native12_GLOBAL__N_18offset_tEEE10hipError_tPvRmT1_PNSt15iterator_traitsISK_E10value_typeET2_T3_PNSL_ISQ_E10value_typeET4_jRbjT5_SW_jjP12ihipStream_tbEUlT_E_NS1_11comp_targetILNS1_3genE10ELNS1_11target_archE1200ELNS1_3gpuE4ELNS1_3repE0EEENS1_30default_config_static_selectorELNS0_4arch9wavefront6targetE0EEEvSK_,comdat
	.globl	_ZN7rocprim17ROCPRIM_400000_NS6detail17trampoline_kernelINS0_14default_configENS1_36segmented_radix_sort_config_selectorIflEEZNS1_25segmented_radix_sort_implIS3_Lb0EPKfPfPKlPlN2at6native12_GLOBAL__N_18offset_tEEE10hipError_tPvRmT1_PNSt15iterator_traitsISK_E10value_typeET2_T3_PNSL_ISQ_E10value_typeET4_jRbjT5_SW_jjP12ihipStream_tbEUlT_E_NS1_11comp_targetILNS1_3genE10ELNS1_11target_archE1200ELNS1_3gpuE4ELNS1_3repE0EEENS1_30default_config_static_selectorELNS0_4arch9wavefront6targetE0EEEvSK_ ; -- Begin function _ZN7rocprim17ROCPRIM_400000_NS6detail17trampoline_kernelINS0_14default_configENS1_36segmented_radix_sort_config_selectorIflEEZNS1_25segmented_radix_sort_implIS3_Lb0EPKfPfPKlPlN2at6native12_GLOBAL__N_18offset_tEEE10hipError_tPvRmT1_PNSt15iterator_traitsISK_E10value_typeET2_T3_PNSL_ISQ_E10value_typeET4_jRbjT5_SW_jjP12ihipStream_tbEUlT_E_NS1_11comp_targetILNS1_3genE10ELNS1_11target_archE1200ELNS1_3gpuE4ELNS1_3repE0EEENS1_30default_config_static_selectorELNS0_4arch9wavefront6targetE0EEEvSK_
	.p2align	8
	.type	_ZN7rocprim17ROCPRIM_400000_NS6detail17trampoline_kernelINS0_14default_configENS1_36segmented_radix_sort_config_selectorIflEEZNS1_25segmented_radix_sort_implIS3_Lb0EPKfPfPKlPlN2at6native12_GLOBAL__N_18offset_tEEE10hipError_tPvRmT1_PNSt15iterator_traitsISK_E10value_typeET2_T3_PNSL_ISQ_E10value_typeET4_jRbjT5_SW_jjP12ihipStream_tbEUlT_E_NS1_11comp_targetILNS1_3genE10ELNS1_11target_archE1200ELNS1_3gpuE4ELNS1_3repE0EEENS1_30default_config_static_selectorELNS0_4arch9wavefront6targetE0EEEvSK_,@function
_ZN7rocprim17ROCPRIM_400000_NS6detail17trampoline_kernelINS0_14default_configENS1_36segmented_radix_sort_config_selectorIflEEZNS1_25segmented_radix_sort_implIS3_Lb0EPKfPfPKlPlN2at6native12_GLOBAL__N_18offset_tEEE10hipError_tPvRmT1_PNSt15iterator_traitsISK_E10value_typeET2_T3_PNSL_ISQ_E10value_typeET4_jRbjT5_SW_jjP12ihipStream_tbEUlT_E_NS1_11comp_targetILNS1_3genE10ELNS1_11target_archE1200ELNS1_3gpuE4ELNS1_3repE0EEENS1_30default_config_static_selectorELNS0_4arch9wavefront6targetE0EEEvSK_: ; @_ZN7rocprim17ROCPRIM_400000_NS6detail17trampoline_kernelINS0_14default_configENS1_36segmented_radix_sort_config_selectorIflEEZNS1_25segmented_radix_sort_implIS3_Lb0EPKfPfPKlPlN2at6native12_GLOBAL__N_18offset_tEEE10hipError_tPvRmT1_PNSt15iterator_traitsISK_E10value_typeET2_T3_PNSL_ISQ_E10value_typeET4_jRbjT5_SW_jjP12ihipStream_tbEUlT_E_NS1_11comp_targetILNS1_3genE10ELNS1_11target_archE1200ELNS1_3gpuE4ELNS1_3repE0EEENS1_30default_config_static_selectorELNS0_4arch9wavefront6targetE0EEEvSK_
; %bb.0:
	.section	.rodata,"a",@progbits
	.p2align	6, 0x0
	.amdhsa_kernel _ZN7rocprim17ROCPRIM_400000_NS6detail17trampoline_kernelINS0_14default_configENS1_36segmented_radix_sort_config_selectorIflEEZNS1_25segmented_radix_sort_implIS3_Lb0EPKfPfPKlPlN2at6native12_GLOBAL__N_18offset_tEEE10hipError_tPvRmT1_PNSt15iterator_traitsISK_E10value_typeET2_T3_PNSL_ISQ_E10value_typeET4_jRbjT5_SW_jjP12ihipStream_tbEUlT_E_NS1_11comp_targetILNS1_3genE10ELNS1_11target_archE1200ELNS1_3gpuE4ELNS1_3repE0EEENS1_30default_config_static_selectorELNS0_4arch9wavefront6targetE0EEEvSK_
		.amdhsa_group_segment_fixed_size 0
		.amdhsa_private_segment_fixed_size 0
		.amdhsa_kernarg_size 96
		.amdhsa_user_sgpr_count 15
		.amdhsa_user_sgpr_dispatch_ptr 0
		.amdhsa_user_sgpr_queue_ptr 0
		.amdhsa_user_sgpr_kernarg_segment_ptr 1
		.amdhsa_user_sgpr_dispatch_id 0
		.amdhsa_user_sgpr_private_segment_size 0
		.amdhsa_wavefront_size32 1
		.amdhsa_uses_dynamic_stack 0
		.amdhsa_enable_private_segment 0
		.amdhsa_system_sgpr_workgroup_id_x 1
		.amdhsa_system_sgpr_workgroup_id_y 0
		.amdhsa_system_sgpr_workgroup_id_z 0
		.amdhsa_system_sgpr_workgroup_info 0
		.amdhsa_system_vgpr_workitem_id 0
		.amdhsa_next_free_vgpr 1
		.amdhsa_next_free_sgpr 1
		.amdhsa_reserve_vcc 0
		.amdhsa_float_round_mode_32 0
		.amdhsa_float_round_mode_16_64 0
		.amdhsa_float_denorm_mode_32 3
		.amdhsa_float_denorm_mode_16_64 3
		.amdhsa_dx10_clamp 1
		.amdhsa_ieee_mode 1
		.amdhsa_fp16_overflow 0
		.amdhsa_workgroup_processor_mode 1
		.amdhsa_memory_ordered 1
		.amdhsa_forward_progress 0
		.amdhsa_shared_vgpr_count 0
		.amdhsa_exception_fp_ieee_invalid_op 0
		.amdhsa_exception_fp_denorm_src 0
		.amdhsa_exception_fp_ieee_div_zero 0
		.amdhsa_exception_fp_ieee_overflow 0
		.amdhsa_exception_fp_ieee_underflow 0
		.amdhsa_exception_fp_ieee_inexact 0
		.amdhsa_exception_int_div_zero 0
	.end_amdhsa_kernel
	.section	.text._ZN7rocprim17ROCPRIM_400000_NS6detail17trampoline_kernelINS0_14default_configENS1_36segmented_radix_sort_config_selectorIflEEZNS1_25segmented_radix_sort_implIS3_Lb0EPKfPfPKlPlN2at6native12_GLOBAL__N_18offset_tEEE10hipError_tPvRmT1_PNSt15iterator_traitsISK_E10value_typeET2_T3_PNSL_ISQ_E10value_typeET4_jRbjT5_SW_jjP12ihipStream_tbEUlT_E_NS1_11comp_targetILNS1_3genE10ELNS1_11target_archE1200ELNS1_3gpuE4ELNS1_3repE0EEENS1_30default_config_static_selectorELNS0_4arch9wavefront6targetE0EEEvSK_,"axG",@progbits,_ZN7rocprim17ROCPRIM_400000_NS6detail17trampoline_kernelINS0_14default_configENS1_36segmented_radix_sort_config_selectorIflEEZNS1_25segmented_radix_sort_implIS3_Lb0EPKfPfPKlPlN2at6native12_GLOBAL__N_18offset_tEEE10hipError_tPvRmT1_PNSt15iterator_traitsISK_E10value_typeET2_T3_PNSL_ISQ_E10value_typeET4_jRbjT5_SW_jjP12ihipStream_tbEUlT_E_NS1_11comp_targetILNS1_3genE10ELNS1_11target_archE1200ELNS1_3gpuE4ELNS1_3repE0EEENS1_30default_config_static_selectorELNS0_4arch9wavefront6targetE0EEEvSK_,comdat
.Lfunc_end1434:
	.size	_ZN7rocprim17ROCPRIM_400000_NS6detail17trampoline_kernelINS0_14default_configENS1_36segmented_radix_sort_config_selectorIflEEZNS1_25segmented_radix_sort_implIS3_Lb0EPKfPfPKlPlN2at6native12_GLOBAL__N_18offset_tEEE10hipError_tPvRmT1_PNSt15iterator_traitsISK_E10value_typeET2_T3_PNSL_ISQ_E10value_typeET4_jRbjT5_SW_jjP12ihipStream_tbEUlT_E_NS1_11comp_targetILNS1_3genE10ELNS1_11target_archE1200ELNS1_3gpuE4ELNS1_3repE0EEENS1_30default_config_static_selectorELNS0_4arch9wavefront6targetE0EEEvSK_, .Lfunc_end1434-_ZN7rocprim17ROCPRIM_400000_NS6detail17trampoline_kernelINS0_14default_configENS1_36segmented_radix_sort_config_selectorIflEEZNS1_25segmented_radix_sort_implIS3_Lb0EPKfPfPKlPlN2at6native12_GLOBAL__N_18offset_tEEE10hipError_tPvRmT1_PNSt15iterator_traitsISK_E10value_typeET2_T3_PNSL_ISQ_E10value_typeET4_jRbjT5_SW_jjP12ihipStream_tbEUlT_E_NS1_11comp_targetILNS1_3genE10ELNS1_11target_archE1200ELNS1_3gpuE4ELNS1_3repE0EEENS1_30default_config_static_selectorELNS0_4arch9wavefront6targetE0EEEvSK_
                                        ; -- End function
	.section	.AMDGPU.csdata,"",@progbits
; Kernel info:
; codeLenInByte = 0
; NumSgprs: 0
; NumVgprs: 0
; ScratchSize: 0
; MemoryBound: 0
; FloatMode: 240
; IeeeMode: 1
; LDSByteSize: 0 bytes/workgroup (compile time only)
; SGPRBlocks: 0
; VGPRBlocks: 0
; NumSGPRsForWavesPerEU: 1
; NumVGPRsForWavesPerEU: 1
; Occupancy: 16
; WaveLimiterHint : 0
; COMPUTE_PGM_RSRC2:SCRATCH_EN: 0
; COMPUTE_PGM_RSRC2:USER_SGPR: 15
; COMPUTE_PGM_RSRC2:TRAP_HANDLER: 0
; COMPUTE_PGM_RSRC2:TGID_X_EN: 1
; COMPUTE_PGM_RSRC2:TGID_Y_EN: 0
; COMPUTE_PGM_RSRC2:TGID_Z_EN: 0
; COMPUTE_PGM_RSRC2:TIDIG_COMP_CNT: 0
	.text
	.p2align	2                               ; -- Begin function _ZN7rocprim17ROCPRIM_400000_NS6detail40segmented_radix_sort_single_block_helperIflLj256ELj8ELb0EE4sortIPKfPfPKlPlEEbT_T0_T1_T2_jjjjRNS3_12storage_typeE
	.type	_ZN7rocprim17ROCPRIM_400000_NS6detail40segmented_radix_sort_single_block_helperIflLj256ELj8ELb0EE4sortIPKfPfPKlPlEEbT_T0_T1_T2_jjjjRNS3_12storage_typeE,@function
_ZN7rocprim17ROCPRIM_400000_NS6detail40segmented_radix_sort_single_block_helperIflLj256ELj8ELb0EE4sortIPKfPfPKlPlEEbT_T0_T1_T2_jjjjRNS3_12storage_typeE: ; @_ZN7rocprim17ROCPRIM_400000_NS6detail40segmented_radix_sort_single_block_helperIflLj256ELj8ELb0EE4sortIPKfPfPKlPlEEbT_T0_T1_T2_jjjjRNS3_12storage_typeE
; %bb.0:
	s_waitcnt vmcnt(0) expcnt(0) lgkmcnt(0)
	s_or_saveexec_b32 s0, -1
	scratch_store_b32 off, v40, s32         ; 4-byte Folded Spill
	s_mov_b32 exec_lo, s0
	v_writelane_b32 v40, s36, 0
	v_writelane_b32 v40, s37, 1
	;; [unrolled: 1-line block ×8, first 2 shown]
	v_sub_nc_u32_e32 v39, v9, v8
	s_mov_b32 s24, exec_lo
	s_delay_alu instid0(VALU_DEP_1)
	v_cmpx_gt_u32_e32 0x801, v39
	s_cbranch_execz .LBB1435_199
; %bb.1:
	v_bfe_u32 v14, v31, 10, 10
	v_bfe_u32 v15, v31, 20, 10
	v_and_b32_e32 v26, 0x3ff, v31
	v_mbcnt_lo_u32_b32 v37, -1, 0
	s_mov_b32 s0, exec_lo
	v_cmpx_lt_u32_e32 0x400, v39
	s_xor_b32 s19, exec_lo, s0
	s_cbranch_execz .LBB1435_79
; %bb.2:
	s_load_b64 s[0:1], s[8:9], 0x0
	v_mov_b32_e32 v9, 0
	s_brev_b32 s36, -2
	s_delay_alu instid0(SALU_CYCLE_1)
	s_mov_b32 s37, s36
	s_mov_b32 s38, s36
	;; [unrolled: 1-line block ×7, first 2 shown]
	s_waitcnt lgkmcnt(0)
	s_cmp_lt_u32 s13, s1
	s_cselect_b32 s1, 14, 20
	s_delay_alu instid0(SALU_CYCLE_1) | instskip(SKIP_4) | instid1(SALU_CYCLE_1)
	s_add_u32 s2, s8, s1
	s_addc_u32 s3, s9, 0
	s_cmp_lt_u32 s12, s0
	global_load_u16 v16, v9, s[2:3]
	s_cselect_b32 s0, 12, 18
	s_add_u32 s0, s8, s0
	s_addc_u32 s1, s9, 0
	global_load_u16 v17, v9, s[0:1]
	s_waitcnt vmcnt(1)
	v_mad_u32_u24 v14, v15, v16, v14
	s_waitcnt vmcnt(0)
	s_delay_alu instid0(VALU_DEP_1) | instskip(SKIP_2) | instid1(VALU_DEP_3)
	v_mad_u64_u32 v[27:28], null, v14, v17, v[26:27]
	v_lshlrev_b32_e32 v14, 2, v37
	v_lshlrev_b64 v[29:30], 2, v[8:9]
	v_lshlrev_b32_e32 v15, 3, v27
	s_delay_alu instid0(VALU_DEP_1) | instskip(NEXT) | instid1(VALU_DEP_3)
	v_dual_mov_b32 v23, v9 :: v_dual_and_b32 v22, 0xffffff00, v15
	v_add_co_u32 v15, vcc_lo, v0, v29
	s_delay_alu instid0(VALU_DEP_4) | instskip(NEXT) | instid1(VALU_DEP_3)
	v_add_co_ci_u32_e32 v16, vcc_lo, v1, v30, vcc_lo
	v_lshlrev_b64 v[0:1], 2, v[22:23]
	s_delay_alu instid0(VALU_DEP_3) | instskip(NEXT) | instid1(VALU_DEP_3)
	v_add_co_u32 v14, vcc_lo, v15, v14
	v_add_co_ci_u32_e32 v15, vcc_lo, 0, v16, vcc_lo
	v_or_b32_e32 v24, v22, v37
	s_delay_alu instid0(VALU_DEP_3) | instskip(NEXT) | instid1(VALU_DEP_1)
	v_add_co_u32 v0, s0, v14, v0
	v_add_co_ci_u32_e64 v1, s0, v15, v1, s0
	v_dual_mov_b32 v14, s36 :: v_dual_mov_b32 v15, s37
	s_delay_alu instid0(VALU_DEP_4)
	v_cmp_lt_u32_e32 vcc_lo, v24, v39
	v_dual_mov_b32 v16, s38 :: v_dual_mov_b32 v17, s39
	v_dual_mov_b32 v18, s40 :: v_dual_mov_b32 v19, s41
	;; [unrolled: 1-line block ×3, first 2 shown]
	s_and_saveexec_b32 s0, vcc_lo
	s_cbranch_execz .LBB1435_4
; %bb.3:
	flat_load_b32 v14, v[0:1]
	v_bfrev_b32_e32 v15, -2
	s_delay_alu instid0(VALU_DEP_1)
	v_mov_b32_e32 v16, v15
	v_mov_b32_e32 v17, v15
	;; [unrolled: 1-line block ×6, first 2 shown]
.LBB1435_4:
	s_or_b32 exec_lo, exec_lo, s0
	v_or_b32_e32 v25, 32, v24
	s_delay_alu instid0(VALU_DEP_1) | instskip(NEXT) | instid1(VALU_DEP_1)
	v_cmp_lt_u32_e64 s0, v25, v39
	s_and_saveexec_b32 s1, s0
	s_cbranch_execz .LBB1435_6
; %bb.5:
	flat_load_b32 v15, v[0:1] offset:128
.LBB1435_6:
	s_or_b32 exec_lo, exec_lo, s1
	v_or_b32_e32 v25, 64, v24
	s_delay_alu instid0(VALU_DEP_1) | instskip(NEXT) | instid1(VALU_DEP_1)
	v_cmp_lt_u32_e64 s1, v25, v39
	s_and_saveexec_b32 s2, s1
	s_cbranch_execz .LBB1435_8
; %bb.7:
	flat_load_b32 v16, v[0:1] offset:256
.LBB1435_8:
	;; [unrolled: 9-line block ×7, first 2 shown]
	s_or_b32 exec_lo, exec_lo, s7
	v_lshlrev_b64 v[0:1], 3, v[8:9]
	v_lshlrev_b32_e32 v8, 3, v37
	s_delay_alu instid0(VALU_DEP_2) | instskip(NEXT) | instid1(VALU_DEP_1)
	v_add_co_u32 v9, s7, v4, v0
	v_add_co_ci_u32_e64 v24, s7, v5, v1, s7
	v_lshlrev_b64 v[4:5], 3, v[22:23]
	s_delay_alu instid0(VALU_DEP_3) | instskip(NEXT) | instid1(VALU_DEP_1)
	v_add_co_u32 v8, s7, v9, v8
	v_add_co_ci_u32_e64 v9, s7, 0, v24, s7
                                        ; implicit-def: $vgpr22_vgpr23
	s_delay_alu instid0(VALU_DEP_2) | instskip(NEXT) | instid1(VALU_DEP_1)
	v_add_co_u32 v4, s7, v8, v4
	v_add_co_ci_u32_e64 v5, s7, v9, v5, s7
	s_and_saveexec_b32 s7, vcc_lo
	s_cbranch_execnz .LBB1435_112
; %bb.19:
	s_or_b32 exec_lo, exec_lo, s7
                                        ; implicit-def: $vgpr24_vgpr25
	s_and_saveexec_b32 s7, s0
	s_cbranch_execnz .LBB1435_113
.LBB1435_20:
	s_or_b32 exec_lo, exec_lo, s7
                                        ; implicit-def: $vgpr84_vgpr85
	s_and_saveexec_b32 s0, s1
	s_cbranch_execnz .LBB1435_114
.LBB1435_21:
	s_or_b32 exec_lo, exec_lo, s0
                                        ; implicit-def: $vgpr86_vgpr87
	s_and_saveexec_b32 s0, s2
	s_cbranch_execnz .LBB1435_115
.LBB1435_22:
	s_or_b32 exec_lo, exec_lo, s0
                                        ; implicit-def: $vgpr96_vgpr97
	s_and_saveexec_b32 s0, s3
	s_cbranch_execnz .LBB1435_116
.LBB1435_23:
	s_or_b32 exec_lo, exec_lo, s0
                                        ; implicit-def: $vgpr98_vgpr99
	s_and_saveexec_b32 s0, s4
	s_cbranch_execnz .LBB1435_117
.LBB1435_24:
	s_or_b32 exec_lo, exec_lo, s0
                                        ; implicit-def: $vgpr100_vgpr101
	s_and_saveexec_b32 s0, s5
	s_cbranch_execnz .LBB1435_118
.LBB1435_25:
	s_or_b32 exec_lo, exec_lo, s0
                                        ; implicit-def: $vgpr102_vgpr103
	s_and_saveexec_b32 s0, s6
	s_cbranch_execz .LBB1435_27
.LBB1435_26:
	flat_load_b64 v[102:103], v[4:5] offset:1792
.LBB1435_27:
	s_or_b32 exec_lo, exec_lo, s0
	s_waitcnt vmcnt(0) lgkmcnt(0)
	v_cmp_lt_i32_e32 vcc_lo, -1, v14
	s_mov_b32 s20, 0
	s_getpc_b64 s[0:1]
	s_add_u32 s0, s0, _ZN7rocprim17ROCPRIM_400000_NS16block_radix_sortIfLj256ELj8ElLj1ELj1ELj8ELNS0_26block_radix_rank_algorithmE2ELNS0_18block_padding_hintE2ELNS0_4arch9wavefront6targetE0EE19radix_bits_per_passE@rel32@lo+4
	s_addc_u32 s1, s1, _ZN7rocprim17ROCPRIM_400000_NS16block_radix_sortIfLj256ELj8ElLj1ELj1ELj8ELNS0_26block_radix_rank_algorithmE2ELNS0_18block_padding_hintE2ELNS0_4arch9wavefront6targetE0EE19radix_bits_per_passE@rel32@hi+12
	s_mov_b32 s21, s20
	s_mov_b32 s22, s20
	v_cndmask_b32_e64 v4, -1, 0x80000000, vcc_lo
	v_cmp_lt_i32_e32 vcc_lo, -1, v15
	s_mov_b32 s23, s20
	s_load_b32 s25, s[0:1], 0x0
	v_lshlrev_b32_e32 v28, 2, v26
	v_xor_b32_e32 v196, v4, v14
	v_cndmask_b32_e64 v5, -1, 0x80000000, vcc_lo
	v_cmp_lt_i32_e32 vcc_lo, -1, v16
	v_lshlrev_b32_e32 v14, 3, v26
	v_cmp_eq_u32_e64 s7, 0, v37
	v_lshrrev_b32_e32 v166, 5, v27
	v_xor_b32_e32 v193, v5, v15
	v_cndmask_b32_e64 v8, -1, 0x80000000, vcc_lo
	v_cmp_lt_i32_e32 vcc_lo, -1, v17
	v_and_b32_e32 v15, 15, v37
	v_and_or_b32 v14, 0x1f00, v14, v37
	v_cmp_gt_u32_e64 s5, 8, v26
	v_xor_b32_e32 v194, v8, v16
	v_cndmask_b32_e64 v9, -1, 0x80000000, vcc_lo
	v_cmp_lt_i32_e32 vcc_lo, -1, v18
	v_and_b32_e32 v16, 0x3e0, v26
	v_cmp_lt_u32_e64 s0, 1, v15
	v_cmp_lt_u32_e64 s1, 3, v15
	v_xor_b32_e32 v195, v9, v17
	v_cndmask_b32_e64 v4, -1, 0x80000000, vcc_lo
	v_cmp_lt_i32_e32 vcc_lo, -1, v19
	v_add_nc_u32_e32 v17, -1, v37
	v_cmp_lt_u32_e64 s2, 7, v15
	v_cmp_lt_u32_e64 s6, 31, v26
	v_xor_b32_e32 v197, v4, v18
	v_cndmask_b32_e64 v5, -1, 0x80000000, vcc_lo
	v_cmp_lt_i32_e32 vcc_lo, -1, v20
	v_lshlrev_b32_e32 v4, 5, v26
	v_cmp_gt_i32_e64 s4, 0, v17
	v_cmp_eq_u32_e64 s10, 0, v26
	v_xor_b32_e32 v198, v5, v19
	v_mov_b32_e32 v5, 0
	v_cndmask_b32_e64 v8, -1, 0x80000000, vcc_lo
	v_cmp_lt_i32_e32 vcc_lo, -1, v21
	v_sub_nc_u32_e32 v176, v11, v10
	s_waitcnt lgkmcnt(0)
	s_waitcnt_vscnt null, 0x0
	s_barrier
	v_xor_b32_e32 v199, v8, v20
	v_cndmask_b32_e64 v9, -1, 0x80000000, vcc_lo
	v_add_co_u32 v164, vcc_lo, v12, 32
	v_add_co_ci_u32_e32 v165, vcc_lo, 0, v13, vcc_lo
	v_add_co_u32 v8, vcc_lo, v12, v4
	s_delay_alu instid0(VALU_DEP_4)
	v_xor_b32_e32 v208, v9, v21
	v_add_co_ci_u32_e32 v9, vcc_lo, 0, v13, vcc_lo
	v_add_co_u32 v31, vcc_lo, v164, v4
	v_min_u32_e32 v4, 0xe0, v16
	v_and_b32_e32 v16, 16, v37
	v_add_co_ci_u32_e32 v32, vcc_lo, 0, v165, vcc_lo
	v_cmp_eq_u32_e32 vcc_lo, 0, v15
	s_delay_alu instid0(VALU_DEP_4) | instskip(NEXT) | instid1(VALU_DEP_4)
	v_or_b32_e32 v4, 31, v4
	v_cmp_eq_u32_e64 s3, 0, v16
	v_lshrrev_b32_e32 v16, 5, v26
	v_cndmask_b32_e64 v15, v17, v37, s4
	buffer_gl0_inv
	v_cmp_eq_u32_e64 s4, v4, v26
	v_lshlrev_b32_e32 v4, 2, v16
	v_lshlrev_b32_e32 v167, 2, v15
	v_and_b32_e32 v15, 7, v37
	s_delay_alu instid0(VALU_DEP_3)
	v_add_co_u32 v35, s11, v12, v4
	v_add_nc_u32_e32 v4, -1, v16
	v_add_co_ci_u32_e64 v36, s11, 0, v13, s11
	v_add_co_u32 v33, s11, v12, v28
	v_lshlrev_b32_e32 v16, 2, v14
	v_add_co_ci_u32_e64 v34, s11, 0, v13, s11
	v_cmp_eq_u32_e64 s11, 0, v15
	v_cmp_lt_u32_e64 s14, 1, v15
	v_cmp_lt_u32_e64 s15, 3, v15
	v_lshlrev_b64 v[14:15], 2, v[4:5]
	v_add_co_u32 v37, s16, v12, v16
	s_delay_alu instid0(VALU_DEP_1) | instskip(NEXT) | instid1(VALU_DEP_3)
	v_add_co_ci_u32_e64 v38, s16, 0, v13, s16
	v_add_co_u32 v48, s16, v12, v14
	s_delay_alu instid0(VALU_DEP_1) | instskip(NEXT) | instid1(VALU_DEP_4)
	v_add_co_ci_u32_e64 v49, s16, v13, v15, s16
	v_add_co_u32 v50, s16, v37, v16
	v_mov_b32_e32 v14, s20
	v_add_co_ci_u32_e64 v51, s16, 0, v38, s16
	v_dual_mov_b32 v15, s21 :: v_dual_mov_b32 v16, s22
	v_mov_b32_e32 v17, s23
	s_branch .LBB1435_29
.LBB1435_28:                            ;   in Loop: Header=BB1435_29 Depth=1
	s_or_b32 exec_lo, exec_lo, s17
	s_delay_alu instid0(SALU_CYCLE_1) | instskip(NEXT) | instid1(SALU_CYCLE_1)
	s_and_b32 s16, exec_lo, s18
	s_or_b32 s20, s16, s20
	s_delay_alu instid0(SALU_CYCLE_1)
	s_and_not1_b32 exec_lo, exec_lo, s20
	s_cbranch_execz .LBB1435_53
.LBB1435_29:                            ; =>This Inner Loop Header: Depth=1
	v_dual_mov_b32 v177, v196 :: v_dual_mov_b32 v180, v198
	v_min_u32_e32 v4, s25, v176
	v_dual_mov_b32 v178, v208 :: v_dual_mov_b32 v179, v199
	s_delay_alu instid0(VALU_DEP_3) | instskip(SKIP_1) | instid1(VALU_DEP_4)
	v_cmp_ne_u32_e64 s16, 0x7fffffff, v177
	v_dual_mov_b32 v182, v195 :: v_dual_mov_b32 v183, v194
	v_lshlrev_b32_e64 v4, v4, -1
	s_clause 0x1
	flat_store_b128 v[8:9], v[14:17] offset:32
	flat_store_b128 v[31:32], v[14:17] offset:16
	v_cndmask_b32_e64 v19, 0x80000000, v177, s16
	s_waitcnt lgkmcnt(0)
	s_waitcnt_vscnt null, 0x0
	s_barrier
	v_not_b32_e32 v18, v4
	buffer_gl0_inv
	v_lshrrev_b32_e32 v4, v10, v19
	; wave barrier
	v_mov_b32_e32 v181, v197
	v_mov_b32_e32 v192, v193
	s_delay_alu instid0(VALU_DEP_3) | instskip(SKIP_1) | instid1(VALU_DEP_2)
	v_dual_mov_b32 v83, v23 :: v_dual_and_b32 v4, v4, v18
	v_dual_mov_b32 v81, v25 :: v_dual_mov_b32 v82, v22
	v_dual_mov_b32 v80, v24 :: v_dual_and_b32 v19, 1, v4
	v_lshlrev_b32_e32 v20, 30, v4
	v_lshlrev_b32_e32 v21, 29, v4
	;; [unrolled: 1-line block ×4, first 2 shown]
	v_add_co_u32 v19, s16, v19, -1
	s_delay_alu instid0(VALU_DEP_1)
	v_cndmask_b32_e64 v53, 0, 1, s16
	v_not_b32_e32 v65, v20
	v_cmp_gt_i32_e64 s17, 0, v20
	v_not_b32_e32 v20, v21
	v_lshlrev_b32_e32 v55, 26, v4
	v_cmp_ne_u32_e64 s16, 0, v53
	v_ashrrev_i32_e32 v65, 31, v65
	v_dual_mov_b32 v70, v84 :: v_dual_lshlrev_b32 v53, 24, v4
	v_ashrrev_i32_e32 v20, 31, v20
	s_delay_alu instid0(VALU_DEP_4)
	v_xor_b32_e32 v19, s16, v19
	v_cmp_gt_i32_e64 s16, 0, v21
	v_not_b32_e32 v21, v52
	v_xor_b32_e32 v65, s17, v65
	v_cmp_gt_i32_e64 s17, 0, v52
	v_dual_mov_b32 v68, v86 :: v_dual_and_b32 v19, exec_lo, v19
	s_delay_alu instid0(VALU_DEP_4)
	v_ashrrev_i32_e32 v21, 31, v21
	v_xor_b32_e32 v20, s16, v20
	v_mov_b32_e32 v71, v85
	v_not_b32_e32 v52, v54
	v_dual_mov_b32 v66, v96 :: v_dual_and_b32 v19, v19, v65
	v_dual_mov_b32 v69, v87 :: v_dual_lshlrev_b32 v64, 25, v4
	v_cmp_gt_i32_e64 s16, 0, v54
	v_not_b32_e32 v54, v55
	v_ashrrev_i32_e32 v52, 31, v52
	v_xor_b32_e32 v21, s17, v21
	v_and_b32_e32 v19, v19, v20
	v_cmp_gt_i32_e64 s17, 0, v55
	v_not_b32_e32 v20, v64
	v_ashrrev_i32_e32 v54, 31, v54
	v_xor_b32_e32 v52, s16, v52
	v_cmp_gt_i32_e64 s16, 0, v64
	v_dual_mov_b32 v64, v98 :: v_dual_and_b32 v19, v19, v21
	v_not_b32_e32 v21, v53
	v_ashrrev_i32_e32 v20, 31, v20
	v_xor_b32_e32 v54, s17, v54
	v_cmp_gt_i32_e64 s17, 0, v53
	v_dual_mov_b32 v52, v102 :: v_dual_and_b32 v19, v19, v52
	v_ashrrev_i32_e32 v21, 31, v21
	v_xor_b32_e32 v20, s16, v20
	v_lshl_add_u32 v4, v4, 3, v166
	s_delay_alu instid0(VALU_DEP_4) | instskip(NEXT) | instid1(VALU_DEP_4)
	v_dual_mov_b32 v54, v100 :: v_dual_and_b32 v19, v19, v54
	v_xor_b32_e32 v21, s17, v21
	v_mov_b32_e32 v67, v97
	v_mov_b32_e32 v65, v99
	s_delay_alu instid0(VALU_DEP_4) | instskip(SKIP_2) | instid1(VALU_DEP_3)
	v_and_b32_e32 v19, v19, v20
	v_mov_b32_e32 v55, v101
	v_mov_b32_e32 v53, v103
	v_and_b32_e32 v19, v19, v21
	v_lshlrev_b64 v[20:21], 2, v[4:5]
	s_delay_alu instid0(VALU_DEP_2) | instskip(SKIP_1) | instid1(VALU_DEP_3)
	v_mbcnt_lo_u32_b32 v116, v19, 0
	v_cmp_ne_u32_e64 s16, 0, v19
	v_add_co_u32 v84, s18, v164, v20
	s_delay_alu instid0(VALU_DEP_1) | instskip(NEXT) | instid1(VALU_DEP_4)
	v_add_co_ci_u32_e64 v85, s18, v165, v21, s18
	v_cmp_eq_u32_e64 s17, 0, v116
	s_delay_alu instid0(VALU_DEP_1) | instskip(NEXT) | instid1(SALU_CYCLE_1)
	s_and_b32 s17, s16, s17
	s_and_saveexec_b32 s16, s17
	s_cbranch_execz .LBB1435_31
; %bb.30:                               ;   in Loop: Header=BB1435_29 Depth=1
	v_bcnt_u32_b32 v4, v19, 0
	flat_store_b32 v[84:85], v4
.LBB1435_31:                            ;   in Loop: Header=BB1435_29 Depth=1
	s_or_b32 exec_lo, exec_lo, s16
	v_cmp_ne_u32_e64 s16, 0x7fffffff, v192
	; wave barrier
	s_delay_alu instid0(VALU_DEP_1) | instskip(NEXT) | instid1(VALU_DEP_1)
	v_cndmask_b32_e64 v4, 0x80000000, v192, s16
	v_lshrrev_b32_e32 v4, v10, v4
	s_delay_alu instid0(VALU_DEP_1) | instskip(NEXT) | instid1(VALU_DEP_1)
	v_and_b32_e32 v21, v4, v18
	v_lshl_add_u32 v4, v21, 3, v166
	v_lshlrev_b32_e32 v22, 29, v21
	v_lshlrev_b32_e32 v23, 28, v21
	s_delay_alu instid0(VALU_DEP_3) | instskip(SKIP_1) | instid1(VALU_DEP_2)
	v_lshlrev_b64 v[19:20], 2, v[4:5]
	v_and_b32_e32 v4, 1, v21
	v_add_co_u32 v86, s16, v164, v19
	s_delay_alu instid0(VALU_DEP_1) | instskip(NEXT) | instid1(VALU_DEP_3)
	v_add_co_ci_u32_e64 v87, s16, v165, v20, s16
	v_add_co_u32 v4, s16, v4, -1
	s_delay_alu instid0(VALU_DEP_1) | instskip(SKIP_3) | instid1(VALU_DEP_2)
	v_cndmask_b32_e64 v19, 0, 1, s16
	flat_load_b32 v117, v[86:87]
	v_lshlrev_b32_e32 v20, 30, v21
	; wave barrier
	v_cmp_ne_u32_e64 s16, 0, v19
	v_not_b32_e32 v19, v20
	s_delay_alu instid0(VALU_DEP_2) | instskip(SKIP_1) | instid1(VALU_DEP_3)
	v_xor_b32_e32 v4, s16, v4
	v_cmp_gt_i32_e64 s16, 0, v20
	v_ashrrev_i32_e32 v19, 31, v19
	v_not_b32_e32 v20, v22
	s_delay_alu instid0(VALU_DEP_4) | instskip(NEXT) | instid1(VALU_DEP_3)
	v_and_b32_e32 v4, exec_lo, v4
	v_xor_b32_e32 v19, s16, v19
	v_cmp_gt_i32_e64 s16, 0, v22
	s_delay_alu instid0(VALU_DEP_4) | instskip(SKIP_1) | instid1(VALU_DEP_4)
	v_ashrrev_i32_e32 v20, 31, v20
	v_not_b32_e32 v22, v23
	v_and_b32_e32 v4, v4, v19
	v_lshlrev_b32_e32 v19, 27, v21
	s_delay_alu instid0(VALU_DEP_4) | instskip(SKIP_2) | instid1(VALU_DEP_4)
	v_xor_b32_e32 v20, s16, v20
	v_cmp_gt_i32_e64 s16, 0, v23
	v_ashrrev_i32_e32 v22, 31, v22
	v_not_b32_e32 v23, v19
	s_delay_alu instid0(VALU_DEP_4) | instskip(SKIP_1) | instid1(VALU_DEP_4)
	v_and_b32_e32 v4, v4, v20
	v_lshlrev_b32_e32 v20, 26, v21
	v_xor_b32_e32 v22, s16, v22
	v_cmp_gt_i32_e64 s16, 0, v19
	v_ashrrev_i32_e32 v19, 31, v23
	s_delay_alu instid0(VALU_DEP_4) | instskip(NEXT) | instid1(VALU_DEP_4)
	v_not_b32_e32 v23, v20
	v_and_b32_e32 v4, v4, v22
	v_lshlrev_b32_e32 v22, 25, v21
	s_delay_alu instid0(VALU_DEP_4) | instskip(SKIP_2) | instid1(VALU_DEP_4)
	v_xor_b32_e32 v19, s16, v19
	v_cmp_gt_i32_e64 s16, 0, v20
	v_ashrrev_i32_e32 v20, 31, v23
	v_not_b32_e32 v23, v22
	s_delay_alu instid0(VALU_DEP_4) | instskip(SKIP_1) | instid1(VALU_DEP_4)
	v_and_b32_e32 v4, v4, v19
	v_lshlrev_b32_e32 v19, 24, v21
	v_xor_b32_e32 v20, s16, v20
	v_cmp_gt_i32_e64 s16, 0, v22
	v_ashrrev_i32_e32 v21, 31, v23
	s_delay_alu instid0(VALU_DEP_4) | instskip(NEXT) | instid1(VALU_DEP_4)
	v_not_b32_e32 v22, v19
	v_and_b32_e32 v4, v4, v20
	s_delay_alu instid0(VALU_DEP_3) | instskip(SKIP_1) | instid1(VALU_DEP_4)
	v_xor_b32_e32 v20, s16, v21
	v_cmp_gt_i32_e64 s16, 0, v19
	v_ashrrev_i32_e32 v19, 31, v22
	s_delay_alu instid0(VALU_DEP_3) | instskip(NEXT) | instid1(VALU_DEP_2)
	v_and_b32_e32 v4, v4, v20
	v_xor_b32_e32 v19, s16, v19
	s_delay_alu instid0(VALU_DEP_1) | instskip(NEXT) | instid1(VALU_DEP_1)
	v_and_b32_e32 v4, v4, v19
	v_mbcnt_lo_u32_b32 v118, v4, 0
	v_cmp_ne_u32_e64 s17, 0, v4
	s_delay_alu instid0(VALU_DEP_2) | instskip(NEXT) | instid1(VALU_DEP_1)
	v_cmp_eq_u32_e64 s16, 0, v118
	s_and_b32 s17, s17, s16
	s_delay_alu instid0(SALU_CYCLE_1)
	s_and_saveexec_b32 s16, s17
	s_cbranch_execz .LBB1435_33
; %bb.32:                               ;   in Loop: Header=BB1435_29 Depth=1
	s_waitcnt vmcnt(0) lgkmcnt(0)
	v_bcnt_u32_b32 v4, v4, v117
	flat_store_b32 v[86:87], v4
.LBB1435_33:                            ;   in Loop: Header=BB1435_29 Depth=1
	s_or_b32 exec_lo, exec_lo, s16
	v_cmp_ne_u32_e64 s16, 0x7fffffff, v183
	; wave barrier
	s_delay_alu instid0(VALU_DEP_1) | instskip(NEXT) | instid1(VALU_DEP_1)
	v_cndmask_b32_e64 v4, 0x80000000, v183, s16
	v_lshrrev_b32_e32 v4, v10, v4
	s_delay_alu instid0(VALU_DEP_1) | instskip(NEXT) | instid1(VALU_DEP_1)
	v_and_b32_e32 v21, v4, v18
	v_lshl_add_u32 v4, v21, 3, v166
	v_lshlrev_b32_e32 v22, 29, v21
	v_lshlrev_b32_e32 v23, 28, v21
	s_delay_alu instid0(VALU_DEP_3) | instskip(SKIP_1) | instid1(VALU_DEP_2)
	v_lshlrev_b64 v[19:20], 2, v[4:5]
	v_and_b32_e32 v4, 1, v21
	v_add_co_u32 v96, s16, v164, v19
	s_delay_alu instid0(VALU_DEP_1) | instskip(NEXT) | instid1(VALU_DEP_3)
	v_add_co_ci_u32_e64 v97, s16, v165, v20, s16
	v_add_co_u32 v4, s16, v4, -1
	s_delay_alu instid0(VALU_DEP_1) | instskip(SKIP_3) | instid1(VALU_DEP_2)
	v_cndmask_b32_e64 v19, 0, 1, s16
	flat_load_b32 v119, v[96:97]
	v_lshlrev_b32_e32 v20, 30, v21
	; wave barrier
	v_cmp_ne_u32_e64 s16, 0, v19
	v_not_b32_e32 v19, v20
	s_delay_alu instid0(VALU_DEP_2) | instskip(SKIP_1) | instid1(VALU_DEP_3)
	v_xor_b32_e32 v4, s16, v4
	v_cmp_gt_i32_e64 s16, 0, v20
	v_ashrrev_i32_e32 v19, 31, v19
	v_not_b32_e32 v20, v22
	s_delay_alu instid0(VALU_DEP_4) | instskip(NEXT) | instid1(VALU_DEP_3)
	v_and_b32_e32 v4, exec_lo, v4
	v_xor_b32_e32 v19, s16, v19
	v_cmp_gt_i32_e64 s16, 0, v22
	s_delay_alu instid0(VALU_DEP_4) | instskip(SKIP_1) | instid1(VALU_DEP_4)
	v_ashrrev_i32_e32 v20, 31, v20
	v_not_b32_e32 v22, v23
	v_and_b32_e32 v4, v4, v19
	v_lshlrev_b32_e32 v19, 27, v21
	s_delay_alu instid0(VALU_DEP_4) | instskip(SKIP_2) | instid1(VALU_DEP_4)
	v_xor_b32_e32 v20, s16, v20
	v_cmp_gt_i32_e64 s16, 0, v23
	v_ashrrev_i32_e32 v22, 31, v22
	v_not_b32_e32 v23, v19
	s_delay_alu instid0(VALU_DEP_4) | instskip(SKIP_1) | instid1(VALU_DEP_4)
	v_and_b32_e32 v4, v4, v20
	v_lshlrev_b32_e32 v20, 26, v21
	v_xor_b32_e32 v22, s16, v22
	v_cmp_gt_i32_e64 s16, 0, v19
	v_ashrrev_i32_e32 v19, 31, v23
	s_delay_alu instid0(VALU_DEP_4) | instskip(NEXT) | instid1(VALU_DEP_4)
	v_not_b32_e32 v23, v20
	v_and_b32_e32 v4, v4, v22
	v_lshlrev_b32_e32 v22, 25, v21
	s_delay_alu instid0(VALU_DEP_4) | instskip(SKIP_2) | instid1(VALU_DEP_4)
	v_xor_b32_e32 v19, s16, v19
	v_cmp_gt_i32_e64 s16, 0, v20
	v_ashrrev_i32_e32 v20, 31, v23
	v_not_b32_e32 v23, v22
	s_delay_alu instid0(VALU_DEP_4) | instskip(SKIP_1) | instid1(VALU_DEP_4)
	v_and_b32_e32 v4, v4, v19
	v_lshlrev_b32_e32 v19, 24, v21
	v_xor_b32_e32 v20, s16, v20
	v_cmp_gt_i32_e64 s16, 0, v22
	v_ashrrev_i32_e32 v21, 31, v23
	s_delay_alu instid0(VALU_DEP_4) | instskip(NEXT) | instid1(VALU_DEP_4)
	v_not_b32_e32 v22, v19
	v_and_b32_e32 v4, v4, v20
	s_delay_alu instid0(VALU_DEP_3) | instskip(SKIP_1) | instid1(VALU_DEP_4)
	v_xor_b32_e32 v20, s16, v21
	v_cmp_gt_i32_e64 s16, 0, v19
	v_ashrrev_i32_e32 v19, 31, v22
	s_delay_alu instid0(VALU_DEP_3) | instskip(NEXT) | instid1(VALU_DEP_2)
	v_and_b32_e32 v4, v4, v20
	v_xor_b32_e32 v19, s16, v19
	s_delay_alu instid0(VALU_DEP_1) | instskip(NEXT) | instid1(VALU_DEP_1)
	v_and_b32_e32 v4, v4, v19
	v_mbcnt_lo_u32_b32 v128, v4, 0
	v_cmp_ne_u32_e64 s17, 0, v4
	s_delay_alu instid0(VALU_DEP_2) | instskip(NEXT) | instid1(VALU_DEP_1)
	v_cmp_eq_u32_e64 s16, 0, v128
	s_and_b32 s17, s17, s16
	s_delay_alu instid0(SALU_CYCLE_1)
	s_and_saveexec_b32 s16, s17
	s_cbranch_execz .LBB1435_35
; %bb.34:                               ;   in Loop: Header=BB1435_29 Depth=1
	s_waitcnt vmcnt(0) lgkmcnt(0)
	v_bcnt_u32_b32 v4, v4, v119
	flat_store_b32 v[96:97], v4
.LBB1435_35:                            ;   in Loop: Header=BB1435_29 Depth=1
	s_or_b32 exec_lo, exec_lo, s16
	v_cmp_ne_u32_e64 s16, 0x7fffffff, v182
	; wave barrier
	s_delay_alu instid0(VALU_DEP_1) | instskip(NEXT) | instid1(VALU_DEP_1)
	v_cndmask_b32_e64 v4, 0x80000000, v182, s16
	v_lshrrev_b32_e32 v4, v10, v4
	s_delay_alu instid0(VALU_DEP_1) | instskip(NEXT) | instid1(VALU_DEP_1)
	v_and_b32_e32 v21, v4, v18
	v_lshl_add_u32 v4, v21, 3, v166
	v_lshlrev_b32_e32 v22, 29, v21
	v_lshlrev_b32_e32 v23, 28, v21
	s_delay_alu instid0(VALU_DEP_3) | instskip(SKIP_1) | instid1(VALU_DEP_2)
	v_lshlrev_b64 v[19:20], 2, v[4:5]
	v_and_b32_e32 v4, 1, v21
	v_add_co_u32 v98, s16, v164, v19
	s_delay_alu instid0(VALU_DEP_1) | instskip(NEXT) | instid1(VALU_DEP_3)
	v_add_co_ci_u32_e64 v99, s16, v165, v20, s16
	v_add_co_u32 v4, s16, v4, -1
	s_delay_alu instid0(VALU_DEP_1) | instskip(SKIP_3) | instid1(VALU_DEP_2)
	v_cndmask_b32_e64 v19, 0, 1, s16
	flat_load_b32 v129, v[98:99]
	v_lshlrev_b32_e32 v20, 30, v21
	; wave barrier
	v_cmp_ne_u32_e64 s16, 0, v19
	v_not_b32_e32 v19, v20
	s_delay_alu instid0(VALU_DEP_2) | instskip(SKIP_1) | instid1(VALU_DEP_3)
	v_xor_b32_e32 v4, s16, v4
	v_cmp_gt_i32_e64 s16, 0, v20
	v_ashrrev_i32_e32 v19, 31, v19
	v_not_b32_e32 v20, v22
	s_delay_alu instid0(VALU_DEP_4) | instskip(NEXT) | instid1(VALU_DEP_3)
	v_and_b32_e32 v4, exec_lo, v4
	v_xor_b32_e32 v19, s16, v19
	v_cmp_gt_i32_e64 s16, 0, v22
	s_delay_alu instid0(VALU_DEP_4) | instskip(SKIP_1) | instid1(VALU_DEP_4)
	v_ashrrev_i32_e32 v20, 31, v20
	v_not_b32_e32 v22, v23
	v_and_b32_e32 v4, v4, v19
	v_lshlrev_b32_e32 v19, 27, v21
	s_delay_alu instid0(VALU_DEP_4) | instskip(SKIP_2) | instid1(VALU_DEP_4)
	v_xor_b32_e32 v20, s16, v20
	v_cmp_gt_i32_e64 s16, 0, v23
	v_ashrrev_i32_e32 v22, 31, v22
	v_not_b32_e32 v23, v19
	s_delay_alu instid0(VALU_DEP_4) | instskip(SKIP_1) | instid1(VALU_DEP_4)
	v_and_b32_e32 v4, v4, v20
	v_lshlrev_b32_e32 v20, 26, v21
	v_xor_b32_e32 v22, s16, v22
	v_cmp_gt_i32_e64 s16, 0, v19
	v_ashrrev_i32_e32 v19, 31, v23
	s_delay_alu instid0(VALU_DEP_4) | instskip(NEXT) | instid1(VALU_DEP_4)
	v_not_b32_e32 v23, v20
	v_and_b32_e32 v4, v4, v22
	v_lshlrev_b32_e32 v22, 25, v21
	s_delay_alu instid0(VALU_DEP_4) | instskip(SKIP_2) | instid1(VALU_DEP_4)
	v_xor_b32_e32 v19, s16, v19
	v_cmp_gt_i32_e64 s16, 0, v20
	v_ashrrev_i32_e32 v20, 31, v23
	v_not_b32_e32 v23, v22
	s_delay_alu instid0(VALU_DEP_4) | instskip(SKIP_1) | instid1(VALU_DEP_4)
	v_and_b32_e32 v4, v4, v19
	v_lshlrev_b32_e32 v19, 24, v21
	v_xor_b32_e32 v20, s16, v20
	v_cmp_gt_i32_e64 s16, 0, v22
	v_ashrrev_i32_e32 v21, 31, v23
	s_delay_alu instid0(VALU_DEP_4) | instskip(NEXT) | instid1(VALU_DEP_4)
	v_not_b32_e32 v22, v19
	v_and_b32_e32 v4, v4, v20
	s_delay_alu instid0(VALU_DEP_3) | instskip(SKIP_1) | instid1(VALU_DEP_4)
	v_xor_b32_e32 v20, s16, v21
	v_cmp_gt_i32_e64 s16, 0, v19
	v_ashrrev_i32_e32 v19, 31, v22
	s_delay_alu instid0(VALU_DEP_3) | instskip(NEXT) | instid1(VALU_DEP_2)
	v_and_b32_e32 v4, v4, v20
	v_xor_b32_e32 v19, s16, v19
	s_delay_alu instid0(VALU_DEP_1) | instskip(NEXT) | instid1(VALU_DEP_1)
	v_and_b32_e32 v4, v4, v19
	v_mbcnt_lo_u32_b32 v130, v4, 0
	v_cmp_ne_u32_e64 s17, 0, v4
	s_delay_alu instid0(VALU_DEP_2) | instskip(NEXT) | instid1(VALU_DEP_1)
	v_cmp_eq_u32_e64 s16, 0, v130
	s_and_b32 s17, s17, s16
	s_delay_alu instid0(SALU_CYCLE_1)
	s_and_saveexec_b32 s16, s17
	s_cbranch_execz .LBB1435_37
; %bb.36:                               ;   in Loop: Header=BB1435_29 Depth=1
	s_waitcnt vmcnt(0) lgkmcnt(0)
	v_bcnt_u32_b32 v4, v4, v129
	flat_store_b32 v[98:99], v4
.LBB1435_37:                            ;   in Loop: Header=BB1435_29 Depth=1
	s_or_b32 exec_lo, exec_lo, s16
	v_cmp_ne_u32_e64 s16, 0x7fffffff, v181
	; wave barrier
	s_delay_alu instid0(VALU_DEP_1) | instskip(NEXT) | instid1(VALU_DEP_1)
	v_cndmask_b32_e64 v4, 0x80000000, v181, s16
	v_lshrrev_b32_e32 v4, v10, v4
	s_delay_alu instid0(VALU_DEP_1) | instskip(NEXT) | instid1(VALU_DEP_1)
	v_and_b32_e32 v21, v4, v18
	v_lshl_add_u32 v4, v21, 3, v166
	v_lshlrev_b32_e32 v22, 29, v21
	v_lshlrev_b32_e32 v23, 28, v21
	s_delay_alu instid0(VALU_DEP_3) | instskip(SKIP_1) | instid1(VALU_DEP_2)
	v_lshlrev_b64 v[19:20], 2, v[4:5]
	v_and_b32_e32 v4, 1, v21
	v_add_co_u32 v100, s16, v164, v19
	s_delay_alu instid0(VALU_DEP_1) | instskip(NEXT) | instid1(VALU_DEP_3)
	v_add_co_ci_u32_e64 v101, s16, v165, v20, s16
	v_add_co_u32 v4, s16, v4, -1
	s_delay_alu instid0(VALU_DEP_1) | instskip(SKIP_3) | instid1(VALU_DEP_2)
	v_cndmask_b32_e64 v19, 0, 1, s16
	flat_load_b32 v131, v[100:101]
	v_lshlrev_b32_e32 v20, 30, v21
	; wave barrier
	v_cmp_ne_u32_e64 s16, 0, v19
	v_not_b32_e32 v19, v20
	s_delay_alu instid0(VALU_DEP_2) | instskip(SKIP_1) | instid1(VALU_DEP_3)
	v_xor_b32_e32 v4, s16, v4
	v_cmp_gt_i32_e64 s16, 0, v20
	v_ashrrev_i32_e32 v19, 31, v19
	v_not_b32_e32 v20, v22
	s_delay_alu instid0(VALU_DEP_4) | instskip(NEXT) | instid1(VALU_DEP_3)
	v_and_b32_e32 v4, exec_lo, v4
	v_xor_b32_e32 v19, s16, v19
	v_cmp_gt_i32_e64 s16, 0, v22
	s_delay_alu instid0(VALU_DEP_4) | instskip(SKIP_1) | instid1(VALU_DEP_4)
	v_ashrrev_i32_e32 v20, 31, v20
	v_not_b32_e32 v22, v23
	v_and_b32_e32 v4, v4, v19
	v_lshlrev_b32_e32 v19, 27, v21
	s_delay_alu instid0(VALU_DEP_4) | instskip(SKIP_2) | instid1(VALU_DEP_4)
	v_xor_b32_e32 v20, s16, v20
	v_cmp_gt_i32_e64 s16, 0, v23
	v_ashrrev_i32_e32 v22, 31, v22
	v_not_b32_e32 v23, v19
	s_delay_alu instid0(VALU_DEP_4) | instskip(SKIP_1) | instid1(VALU_DEP_4)
	v_and_b32_e32 v4, v4, v20
	v_lshlrev_b32_e32 v20, 26, v21
	v_xor_b32_e32 v22, s16, v22
	v_cmp_gt_i32_e64 s16, 0, v19
	v_ashrrev_i32_e32 v19, 31, v23
	s_delay_alu instid0(VALU_DEP_4) | instskip(NEXT) | instid1(VALU_DEP_4)
	v_not_b32_e32 v23, v20
	v_and_b32_e32 v4, v4, v22
	v_lshlrev_b32_e32 v22, 25, v21
	s_delay_alu instid0(VALU_DEP_4) | instskip(SKIP_2) | instid1(VALU_DEP_4)
	v_xor_b32_e32 v19, s16, v19
	v_cmp_gt_i32_e64 s16, 0, v20
	v_ashrrev_i32_e32 v20, 31, v23
	v_not_b32_e32 v23, v22
	s_delay_alu instid0(VALU_DEP_4) | instskip(SKIP_1) | instid1(VALU_DEP_4)
	v_and_b32_e32 v4, v4, v19
	v_lshlrev_b32_e32 v19, 24, v21
	v_xor_b32_e32 v20, s16, v20
	v_cmp_gt_i32_e64 s16, 0, v22
	v_ashrrev_i32_e32 v21, 31, v23
	s_delay_alu instid0(VALU_DEP_4) | instskip(NEXT) | instid1(VALU_DEP_4)
	v_not_b32_e32 v22, v19
	v_and_b32_e32 v4, v4, v20
	s_delay_alu instid0(VALU_DEP_3) | instskip(SKIP_1) | instid1(VALU_DEP_4)
	v_xor_b32_e32 v20, s16, v21
	v_cmp_gt_i32_e64 s16, 0, v19
	v_ashrrev_i32_e32 v19, 31, v22
	s_delay_alu instid0(VALU_DEP_3) | instskip(NEXT) | instid1(VALU_DEP_2)
	v_and_b32_e32 v4, v4, v20
	v_xor_b32_e32 v19, s16, v19
	s_delay_alu instid0(VALU_DEP_1) | instskip(NEXT) | instid1(VALU_DEP_1)
	v_and_b32_e32 v4, v4, v19
	v_mbcnt_lo_u32_b32 v132, v4, 0
	v_cmp_ne_u32_e64 s17, 0, v4
	s_delay_alu instid0(VALU_DEP_2) | instskip(NEXT) | instid1(VALU_DEP_1)
	v_cmp_eq_u32_e64 s16, 0, v132
	s_and_b32 s17, s17, s16
	s_delay_alu instid0(SALU_CYCLE_1)
	s_and_saveexec_b32 s16, s17
	s_cbranch_execz .LBB1435_39
; %bb.38:                               ;   in Loop: Header=BB1435_29 Depth=1
	s_waitcnt vmcnt(0) lgkmcnt(0)
	v_bcnt_u32_b32 v4, v4, v131
	flat_store_b32 v[100:101], v4
.LBB1435_39:                            ;   in Loop: Header=BB1435_29 Depth=1
	s_or_b32 exec_lo, exec_lo, s16
	v_cmp_ne_u32_e64 s16, 0x7fffffff, v180
	; wave barrier
	s_delay_alu instid0(VALU_DEP_1) | instskip(NEXT) | instid1(VALU_DEP_1)
	v_cndmask_b32_e64 v4, 0x80000000, v180, s16
	v_lshrrev_b32_e32 v4, v10, v4
	s_delay_alu instid0(VALU_DEP_1) | instskip(NEXT) | instid1(VALU_DEP_1)
	v_and_b32_e32 v21, v4, v18
	v_lshl_add_u32 v4, v21, 3, v166
	v_lshlrev_b32_e32 v22, 29, v21
	v_lshlrev_b32_e32 v23, 28, v21
	s_delay_alu instid0(VALU_DEP_3) | instskip(SKIP_1) | instid1(VALU_DEP_2)
	v_lshlrev_b64 v[19:20], 2, v[4:5]
	v_and_b32_e32 v4, 1, v21
	v_add_co_u32 v102, s16, v164, v19
	s_delay_alu instid0(VALU_DEP_1) | instskip(NEXT) | instid1(VALU_DEP_3)
	v_add_co_ci_u32_e64 v103, s16, v165, v20, s16
	v_add_co_u32 v4, s16, v4, -1
	s_delay_alu instid0(VALU_DEP_1) | instskip(SKIP_3) | instid1(VALU_DEP_2)
	v_cndmask_b32_e64 v19, 0, 1, s16
	flat_load_b32 v133, v[102:103]
	v_lshlrev_b32_e32 v20, 30, v21
	; wave barrier
	v_cmp_ne_u32_e64 s16, 0, v19
	v_not_b32_e32 v19, v20
	s_delay_alu instid0(VALU_DEP_2) | instskip(SKIP_1) | instid1(VALU_DEP_3)
	v_xor_b32_e32 v4, s16, v4
	v_cmp_gt_i32_e64 s16, 0, v20
	v_ashrrev_i32_e32 v19, 31, v19
	v_not_b32_e32 v20, v22
	s_delay_alu instid0(VALU_DEP_4) | instskip(NEXT) | instid1(VALU_DEP_3)
	v_and_b32_e32 v4, exec_lo, v4
	v_xor_b32_e32 v19, s16, v19
	v_cmp_gt_i32_e64 s16, 0, v22
	s_delay_alu instid0(VALU_DEP_4) | instskip(SKIP_1) | instid1(VALU_DEP_4)
	v_ashrrev_i32_e32 v20, 31, v20
	v_not_b32_e32 v22, v23
	v_and_b32_e32 v4, v4, v19
	v_lshlrev_b32_e32 v19, 27, v21
	s_delay_alu instid0(VALU_DEP_4) | instskip(SKIP_2) | instid1(VALU_DEP_4)
	v_xor_b32_e32 v20, s16, v20
	v_cmp_gt_i32_e64 s16, 0, v23
	v_ashrrev_i32_e32 v22, 31, v22
	v_not_b32_e32 v23, v19
	s_delay_alu instid0(VALU_DEP_4) | instskip(SKIP_1) | instid1(VALU_DEP_4)
	v_and_b32_e32 v4, v4, v20
	v_lshlrev_b32_e32 v20, 26, v21
	v_xor_b32_e32 v22, s16, v22
	v_cmp_gt_i32_e64 s16, 0, v19
	v_ashrrev_i32_e32 v19, 31, v23
	s_delay_alu instid0(VALU_DEP_4) | instskip(NEXT) | instid1(VALU_DEP_4)
	v_not_b32_e32 v23, v20
	v_and_b32_e32 v4, v4, v22
	v_lshlrev_b32_e32 v22, 25, v21
	s_delay_alu instid0(VALU_DEP_4) | instskip(SKIP_2) | instid1(VALU_DEP_4)
	v_xor_b32_e32 v19, s16, v19
	v_cmp_gt_i32_e64 s16, 0, v20
	v_ashrrev_i32_e32 v20, 31, v23
	v_not_b32_e32 v23, v22
	s_delay_alu instid0(VALU_DEP_4) | instskip(SKIP_1) | instid1(VALU_DEP_4)
	v_and_b32_e32 v4, v4, v19
	v_lshlrev_b32_e32 v19, 24, v21
	v_xor_b32_e32 v20, s16, v20
	v_cmp_gt_i32_e64 s16, 0, v22
	v_ashrrev_i32_e32 v21, 31, v23
	s_delay_alu instid0(VALU_DEP_4) | instskip(NEXT) | instid1(VALU_DEP_4)
	v_not_b32_e32 v22, v19
	v_and_b32_e32 v4, v4, v20
	s_delay_alu instid0(VALU_DEP_3) | instskip(SKIP_1) | instid1(VALU_DEP_4)
	v_xor_b32_e32 v20, s16, v21
	v_cmp_gt_i32_e64 s16, 0, v19
	v_ashrrev_i32_e32 v19, 31, v22
	s_delay_alu instid0(VALU_DEP_3) | instskip(NEXT) | instid1(VALU_DEP_2)
	v_and_b32_e32 v4, v4, v20
	v_xor_b32_e32 v19, s16, v19
	s_delay_alu instid0(VALU_DEP_1) | instskip(NEXT) | instid1(VALU_DEP_1)
	v_and_b32_e32 v4, v4, v19
	v_mbcnt_lo_u32_b32 v134, v4, 0
	v_cmp_ne_u32_e64 s17, 0, v4
	s_delay_alu instid0(VALU_DEP_2) | instskip(NEXT) | instid1(VALU_DEP_1)
	v_cmp_eq_u32_e64 s16, 0, v134
	s_and_b32 s17, s17, s16
	s_delay_alu instid0(SALU_CYCLE_1)
	s_and_saveexec_b32 s16, s17
	s_cbranch_execz .LBB1435_41
; %bb.40:                               ;   in Loop: Header=BB1435_29 Depth=1
	s_waitcnt vmcnt(0) lgkmcnt(0)
	v_bcnt_u32_b32 v4, v4, v133
	flat_store_b32 v[102:103], v4
.LBB1435_41:                            ;   in Loop: Header=BB1435_29 Depth=1
	s_or_b32 exec_lo, exec_lo, s16
	v_cmp_ne_u32_e64 s16, 0x7fffffff, v179
	; wave barrier
	s_delay_alu instid0(VALU_DEP_1) | instskip(NEXT) | instid1(VALU_DEP_1)
	v_cndmask_b32_e64 v4, 0x80000000, v179, s16
	v_lshrrev_b32_e32 v4, v10, v4
	s_delay_alu instid0(VALU_DEP_1) | instskip(NEXT) | instid1(VALU_DEP_1)
	v_and_b32_e32 v21, v4, v18
	v_lshl_add_u32 v4, v21, 3, v166
	v_lshlrev_b32_e32 v22, 29, v21
	v_lshlrev_b32_e32 v23, 28, v21
	s_delay_alu instid0(VALU_DEP_3) | instskip(SKIP_1) | instid1(VALU_DEP_2)
	v_lshlrev_b64 v[19:20], 2, v[4:5]
	v_and_b32_e32 v4, 1, v21
	v_add_co_u32 v112, s16, v164, v19
	s_delay_alu instid0(VALU_DEP_1) | instskip(NEXT) | instid1(VALU_DEP_3)
	v_add_co_ci_u32_e64 v113, s16, v165, v20, s16
	v_add_co_u32 v4, s16, v4, -1
	s_delay_alu instid0(VALU_DEP_1) | instskip(SKIP_3) | instid1(VALU_DEP_2)
	v_cndmask_b32_e64 v19, 0, 1, s16
	flat_load_b32 v135, v[112:113]
	v_lshlrev_b32_e32 v20, 30, v21
	; wave barrier
	v_cmp_ne_u32_e64 s16, 0, v19
	v_not_b32_e32 v19, v20
	s_delay_alu instid0(VALU_DEP_2) | instskip(SKIP_1) | instid1(VALU_DEP_3)
	v_xor_b32_e32 v4, s16, v4
	v_cmp_gt_i32_e64 s16, 0, v20
	v_ashrrev_i32_e32 v19, 31, v19
	v_not_b32_e32 v20, v22
	s_delay_alu instid0(VALU_DEP_4) | instskip(NEXT) | instid1(VALU_DEP_3)
	v_and_b32_e32 v4, exec_lo, v4
	v_xor_b32_e32 v19, s16, v19
	v_cmp_gt_i32_e64 s16, 0, v22
	s_delay_alu instid0(VALU_DEP_4) | instskip(SKIP_1) | instid1(VALU_DEP_4)
	v_ashrrev_i32_e32 v20, 31, v20
	v_not_b32_e32 v22, v23
	v_and_b32_e32 v4, v4, v19
	v_lshlrev_b32_e32 v19, 27, v21
	s_delay_alu instid0(VALU_DEP_4) | instskip(SKIP_2) | instid1(VALU_DEP_4)
	v_xor_b32_e32 v20, s16, v20
	v_cmp_gt_i32_e64 s16, 0, v23
	v_ashrrev_i32_e32 v22, 31, v22
	v_not_b32_e32 v23, v19
	s_delay_alu instid0(VALU_DEP_4) | instskip(SKIP_1) | instid1(VALU_DEP_4)
	v_and_b32_e32 v4, v4, v20
	v_lshlrev_b32_e32 v20, 26, v21
	v_xor_b32_e32 v22, s16, v22
	v_cmp_gt_i32_e64 s16, 0, v19
	v_ashrrev_i32_e32 v19, 31, v23
	s_delay_alu instid0(VALU_DEP_4) | instskip(NEXT) | instid1(VALU_DEP_4)
	v_not_b32_e32 v23, v20
	v_and_b32_e32 v4, v4, v22
	v_lshlrev_b32_e32 v22, 25, v21
	s_delay_alu instid0(VALU_DEP_4) | instskip(SKIP_2) | instid1(VALU_DEP_4)
	v_xor_b32_e32 v19, s16, v19
	v_cmp_gt_i32_e64 s16, 0, v20
	v_ashrrev_i32_e32 v20, 31, v23
	v_not_b32_e32 v23, v22
	s_delay_alu instid0(VALU_DEP_4) | instskip(SKIP_1) | instid1(VALU_DEP_4)
	v_and_b32_e32 v4, v4, v19
	v_lshlrev_b32_e32 v19, 24, v21
	v_xor_b32_e32 v20, s16, v20
	v_cmp_gt_i32_e64 s16, 0, v22
	v_ashrrev_i32_e32 v21, 31, v23
	s_delay_alu instid0(VALU_DEP_4) | instskip(NEXT) | instid1(VALU_DEP_4)
	v_not_b32_e32 v22, v19
	v_and_b32_e32 v4, v4, v20
	s_delay_alu instid0(VALU_DEP_3) | instskip(SKIP_1) | instid1(VALU_DEP_4)
	v_xor_b32_e32 v20, s16, v21
	v_cmp_gt_i32_e64 s16, 0, v19
	v_ashrrev_i32_e32 v19, 31, v22
	s_delay_alu instid0(VALU_DEP_3) | instskip(NEXT) | instid1(VALU_DEP_2)
	v_and_b32_e32 v4, v4, v20
	v_xor_b32_e32 v19, s16, v19
	s_delay_alu instid0(VALU_DEP_1) | instskip(NEXT) | instid1(VALU_DEP_1)
	v_and_b32_e32 v4, v4, v19
	v_mbcnt_lo_u32_b32 v144, v4, 0
	v_cmp_ne_u32_e64 s17, 0, v4
	s_delay_alu instid0(VALU_DEP_2) | instskip(NEXT) | instid1(VALU_DEP_1)
	v_cmp_eq_u32_e64 s16, 0, v144
	s_and_b32 s17, s17, s16
	s_delay_alu instid0(SALU_CYCLE_1)
	s_and_saveexec_b32 s16, s17
	s_cbranch_execz .LBB1435_43
; %bb.42:                               ;   in Loop: Header=BB1435_29 Depth=1
	s_waitcnt vmcnt(0) lgkmcnt(0)
	v_bcnt_u32_b32 v4, v4, v135
	flat_store_b32 v[112:113], v4
.LBB1435_43:                            ;   in Loop: Header=BB1435_29 Depth=1
	s_or_b32 exec_lo, exec_lo, s16
	v_cmp_ne_u32_e64 s16, 0x7fffffff, v178
	; wave barrier
	s_delay_alu instid0(VALU_DEP_1) | instskip(NEXT) | instid1(VALU_DEP_1)
	v_cndmask_b32_e64 v4, 0x80000000, v178, s16
	v_lshrrev_b32_e32 v4, v10, v4
	s_delay_alu instid0(VALU_DEP_1) | instskip(NEXT) | instid1(VALU_DEP_1)
	v_and_b32_e32 v20, v4, v18
	v_lshl_add_u32 v4, v20, 3, v166
	v_lshlrev_b32_e32 v21, 29, v20
	v_lshlrev_b32_e32 v22, 28, v20
	s_delay_alu instid0(VALU_DEP_3) | instskip(SKIP_1) | instid1(VALU_DEP_2)
	v_lshlrev_b64 v[18:19], 2, v[4:5]
	v_and_b32_e32 v4, 1, v20
	v_add_co_u32 v114, s16, v164, v18
	s_delay_alu instid0(VALU_DEP_1) | instskip(NEXT) | instid1(VALU_DEP_3)
	v_add_co_ci_u32_e64 v115, s16, v165, v19, s16
	v_add_co_u32 v4, s16, v4, -1
	s_delay_alu instid0(VALU_DEP_1) | instskip(SKIP_3) | instid1(VALU_DEP_2)
	v_cndmask_b32_e64 v18, 0, 1, s16
	flat_load_b32 v145, v[114:115]
	v_lshlrev_b32_e32 v19, 30, v20
	; wave barrier
	v_cmp_ne_u32_e64 s16, 0, v18
	v_not_b32_e32 v18, v19
	s_delay_alu instid0(VALU_DEP_2) | instskip(SKIP_1) | instid1(VALU_DEP_3)
	v_xor_b32_e32 v4, s16, v4
	v_cmp_gt_i32_e64 s16, 0, v19
	v_ashrrev_i32_e32 v18, 31, v18
	v_not_b32_e32 v19, v21
	s_delay_alu instid0(VALU_DEP_4) | instskip(NEXT) | instid1(VALU_DEP_3)
	v_and_b32_e32 v4, exec_lo, v4
	v_xor_b32_e32 v18, s16, v18
	v_cmp_gt_i32_e64 s16, 0, v21
	s_delay_alu instid0(VALU_DEP_4) | instskip(SKIP_1) | instid1(VALU_DEP_4)
	v_ashrrev_i32_e32 v19, 31, v19
	v_not_b32_e32 v21, v22
	v_and_b32_e32 v4, v4, v18
	v_lshlrev_b32_e32 v18, 27, v20
	s_delay_alu instid0(VALU_DEP_4) | instskip(SKIP_2) | instid1(VALU_DEP_4)
	v_xor_b32_e32 v19, s16, v19
	v_cmp_gt_i32_e64 s16, 0, v22
	v_ashrrev_i32_e32 v21, 31, v21
	v_not_b32_e32 v22, v18
	s_delay_alu instid0(VALU_DEP_4) | instskip(SKIP_1) | instid1(VALU_DEP_4)
	v_and_b32_e32 v4, v4, v19
	v_lshlrev_b32_e32 v19, 26, v20
	v_xor_b32_e32 v21, s16, v21
	v_cmp_gt_i32_e64 s16, 0, v18
	v_ashrrev_i32_e32 v18, 31, v22
	s_delay_alu instid0(VALU_DEP_4) | instskip(NEXT) | instid1(VALU_DEP_4)
	v_not_b32_e32 v22, v19
	v_and_b32_e32 v4, v4, v21
	v_lshlrev_b32_e32 v21, 25, v20
	s_delay_alu instid0(VALU_DEP_4) | instskip(SKIP_2) | instid1(VALU_DEP_4)
	v_xor_b32_e32 v18, s16, v18
	v_cmp_gt_i32_e64 s16, 0, v19
	v_ashrrev_i32_e32 v19, 31, v22
	v_not_b32_e32 v22, v21
	s_delay_alu instid0(VALU_DEP_4) | instskip(SKIP_1) | instid1(VALU_DEP_4)
	v_and_b32_e32 v4, v4, v18
	v_lshlrev_b32_e32 v18, 24, v20
	v_xor_b32_e32 v19, s16, v19
	v_cmp_gt_i32_e64 s16, 0, v21
	v_ashrrev_i32_e32 v20, 31, v22
	s_delay_alu instid0(VALU_DEP_4) | instskip(NEXT) | instid1(VALU_DEP_4)
	v_not_b32_e32 v21, v18
	v_and_b32_e32 v4, v4, v19
	s_delay_alu instid0(VALU_DEP_3) | instskip(SKIP_1) | instid1(VALU_DEP_4)
	v_xor_b32_e32 v19, s16, v20
	v_cmp_gt_i32_e64 s16, 0, v18
	v_ashrrev_i32_e32 v18, 31, v21
	s_delay_alu instid0(VALU_DEP_3) | instskip(NEXT) | instid1(VALU_DEP_2)
	v_and_b32_e32 v4, v4, v19
	v_xor_b32_e32 v18, s16, v18
	s_delay_alu instid0(VALU_DEP_1) | instskip(NEXT) | instid1(VALU_DEP_1)
	v_and_b32_e32 v4, v4, v18
	v_mbcnt_lo_u32_b32 v146, v4, 0
	v_cmp_ne_u32_e64 s17, 0, v4
	s_delay_alu instid0(VALU_DEP_2) | instskip(NEXT) | instid1(VALU_DEP_1)
	v_cmp_eq_u32_e64 s16, 0, v146
	s_and_b32 s17, s17, s16
	s_delay_alu instid0(SALU_CYCLE_1)
	s_and_saveexec_b32 s16, s17
	s_cbranch_execz .LBB1435_45
; %bb.44:                               ;   in Loop: Header=BB1435_29 Depth=1
	s_waitcnt vmcnt(0) lgkmcnt(0)
	v_bcnt_u32_b32 v4, v4, v145
	flat_store_b32 v[114:115], v4
.LBB1435_45:                            ;   in Loop: Header=BB1435_29 Depth=1
	s_or_b32 exec_lo, exec_lo, s16
	; wave barrier
	s_waitcnt vmcnt(0) lgkmcnt(0)
	s_waitcnt_vscnt null, 0x0
	s_barrier
	buffer_gl0_inv
	s_clause 0x1
	flat_load_b128 v[22:25], v[8:9] offset:32
	flat_load_b128 v[18:21], v[31:32] offset:16
	s_waitcnt vmcnt(1) lgkmcnt(1)
	v_add_nc_u32_e32 v4, v23, v22
	s_delay_alu instid0(VALU_DEP_1) | instskip(SKIP_1) | instid1(VALU_DEP_1)
	v_add3_u32 v4, v4, v24, v25
	s_waitcnt vmcnt(0) lgkmcnt(0)
	v_add3_u32 v4, v4, v18, v19
	s_delay_alu instid0(VALU_DEP_1) | instskip(NEXT) | instid1(VALU_DEP_1)
	v_add3_u32 v4, v4, v20, v21
	v_mov_b32_dpp v21, v4 row_shr:1 row_mask:0xf bank_mask:0xf
	s_delay_alu instid0(VALU_DEP_1) | instskip(NEXT) | instid1(VALU_DEP_1)
	v_cndmask_b32_e64 v21, v21, 0, vcc_lo
	v_add_nc_u32_e32 v4, v21, v4
	s_delay_alu instid0(VALU_DEP_1) | instskip(NEXT) | instid1(VALU_DEP_1)
	v_mov_b32_dpp v21, v4 row_shr:2 row_mask:0xf bank_mask:0xf
	v_cndmask_b32_e64 v21, 0, v21, s0
	s_delay_alu instid0(VALU_DEP_1) | instskip(NEXT) | instid1(VALU_DEP_1)
	v_add_nc_u32_e32 v4, v4, v21
	v_mov_b32_dpp v21, v4 row_shr:4 row_mask:0xf bank_mask:0xf
	s_delay_alu instid0(VALU_DEP_1) | instskip(NEXT) | instid1(VALU_DEP_1)
	v_cndmask_b32_e64 v21, 0, v21, s1
	v_add_nc_u32_e32 v4, v4, v21
	s_delay_alu instid0(VALU_DEP_1) | instskip(NEXT) | instid1(VALU_DEP_1)
	v_mov_b32_dpp v21, v4 row_shr:8 row_mask:0xf bank_mask:0xf
	v_cndmask_b32_e64 v21, 0, v21, s2
	s_delay_alu instid0(VALU_DEP_1) | instskip(SKIP_3) | instid1(VALU_DEP_1)
	v_add_nc_u32_e32 v4, v4, v21
	ds_swizzle_b32 v21, v4 offset:swizzle(BROADCAST,32,15)
	s_waitcnt lgkmcnt(0)
	v_cndmask_b32_e64 v21, v21, 0, s3
	v_add_nc_u32_e32 v4, v4, v21
	s_and_saveexec_b32 s16, s4
	s_cbranch_execz .LBB1435_47
; %bb.46:                               ;   in Loop: Header=BB1435_29 Depth=1
	flat_store_b32 v[35:36], v4
.LBB1435_47:                            ;   in Loop: Header=BB1435_29 Depth=1
	s_or_b32 exec_lo, exec_lo, s16
	s_waitcnt lgkmcnt(0)
	s_waitcnt_vscnt null, 0x0
	s_barrier
	buffer_gl0_inv
	s_and_saveexec_b32 s16, s5
	s_cbranch_execz .LBB1435_49
; %bb.48:                               ;   in Loop: Header=BB1435_29 Depth=1
	flat_load_b32 v21, v[33:34]
	s_waitcnt vmcnt(0) lgkmcnt(0)
	v_mov_b32_dpp v147, v21 row_shr:1 row_mask:0xf bank_mask:0xf
	s_delay_alu instid0(VALU_DEP_1) | instskip(NEXT) | instid1(VALU_DEP_1)
	v_cndmask_b32_e64 v147, v147, 0, s11
	v_add_nc_u32_e32 v21, v147, v21
	s_delay_alu instid0(VALU_DEP_1) | instskip(NEXT) | instid1(VALU_DEP_1)
	v_mov_b32_dpp v147, v21 row_shr:2 row_mask:0xf bank_mask:0xf
	v_cndmask_b32_e64 v147, 0, v147, s14
	s_delay_alu instid0(VALU_DEP_1) | instskip(NEXT) | instid1(VALU_DEP_1)
	v_add_nc_u32_e32 v21, v21, v147
	v_mov_b32_dpp v147, v21 row_shr:4 row_mask:0xf bank_mask:0xf
	s_delay_alu instid0(VALU_DEP_1) | instskip(NEXT) | instid1(VALU_DEP_1)
	v_cndmask_b32_e64 v147, 0, v147, s15
	v_add_nc_u32_e32 v21, v21, v147
	flat_store_b32 v[33:34], v21
.LBB1435_49:                            ;   in Loop: Header=BB1435_29 Depth=1
	s_or_b32 exec_lo, exec_lo, s16
	v_mov_b32_e32 v21, 0
	s_waitcnt lgkmcnt(0)
	s_waitcnt_vscnt null, 0x0
	s_barrier
	buffer_gl0_inv
	s_and_saveexec_b32 s16, s6
	s_cbranch_execz .LBB1435_51
; %bb.50:                               ;   in Loop: Header=BB1435_29 Depth=1
	flat_load_b32 v21, v[48:49]
.LBB1435_51:                            ;   in Loop: Header=BB1435_29 Depth=1
	s_or_b32 exec_lo, exec_lo, s16
	s_waitcnt vmcnt(0) lgkmcnt(0)
	v_add_nc_u32_e32 v4, v21, v4
	v_add_nc_u32_e32 v10, 8, v10
	s_mov_b32 s18, -1
                                        ; implicit-def: $vgpr208
                                        ; implicit-def: $vgpr199
                                        ; implicit-def: $vgpr198
                                        ; implicit-def: $vgpr197
                                        ; implicit-def: $vgpr195
                                        ; implicit-def: $vgpr194
                                        ; implicit-def: $vgpr193
                                        ; implicit-def: $vgpr196
	ds_bpermute_b32 v4, v167, v4
	s_waitcnt lgkmcnt(0)
	v_cndmask_b32_e64 v4, v4, v21, s7
	s_delay_alu instid0(VALU_DEP_1) | instskip(NEXT) | instid1(VALU_DEP_1)
	v_cndmask_b32_e64 v21, v4, 0, s10
	v_add_nc_u32_e32 v22, v21, v22
	s_delay_alu instid0(VALU_DEP_1) | instskip(NEXT) | instid1(VALU_DEP_1)
	v_add_nc_u32_e32 v23, v22, v23
	v_add_nc_u32_e32 v24, v23, v24
	s_delay_alu instid0(VALU_DEP_1) | instskip(NEXT) | instid1(VALU_DEP_1)
	v_add_nc_u32_e32 v147, v24, v25
	v_add_nc_u32_e32 v148, v147, v18
	s_delay_alu instid0(VALU_DEP_1) | instskip(SKIP_1) | instid1(VALU_DEP_2)
	v_add_nc_u32_e32 v149, v148, v19
	v_mov_b32_e32 v19, v5
	v_add_nc_u32_e32 v150, v149, v20
	s_clause 0x1
	flat_store_b128 v[8:9], v[21:24] offset:32
	flat_store_b128 v[31:32], v[147:150] offset:16
	v_mov_b32_e32 v21, v5
	s_waitcnt lgkmcnt(0)
	s_waitcnt_vscnt null, 0x0
	s_barrier
	buffer_gl0_inv
	s_clause 0x7
	flat_load_b32 v4, v[84:85]
	flat_load_b32 v18, v[86:87]
	;; [unrolled: 1-line block ×8, first 2 shown]
	v_mov_b32_e32 v25, v5
	v_mov_b32_e32 v23, v5
	;; [unrolled: 1-line block ×5, first 2 shown]
	v_cmp_lt_u32_e64 s16, v10, v11
	s_waitcnt vmcnt(0) lgkmcnt(0)
	s_waitcnt_vscnt null, 0x0
                                        ; implicit-def: $vgpr98_vgpr99
                                        ; implicit-def: $vgpr100_vgpr101
                                        ; implicit-def: $vgpr102_vgpr103
	s_waitcnt vmcnt(7) lgkmcnt(7)
	v_add_nc_u32_e32 v4, v4, v116
	s_waitcnt vmcnt(6) lgkmcnt(6)
	v_add3_u32 v18, v118, v117, v18
	s_waitcnt vmcnt(5) lgkmcnt(5)
	v_add3_u32 v20, v128, v119, v20
	;; [unrolled: 2-line block ×4, first 2 shown]
	v_lshlrev_b64 v[148:149], 2, v[4:5]
	s_waitcnt vmcnt(1) lgkmcnt(1)
	v_add3_u32 v86, v144, v135, v86
	s_waitcnt vmcnt(0) lgkmcnt(0)
	v_add3_u32 v96, v146, v145, v96
	v_lshlrev_b64 v[144:145], 2, v[18:19]
	v_add3_u32 v84, v134, v133, v84
	v_lshlrev_b64 v[134:135], 2, v[20:21]
	v_add_co_u32 v162, s17, v12, v148
	s_delay_alu instid0(VALU_DEP_1) | instskip(SKIP_2) | instid1(VALU_DEP_1)
	v_add_co_ci_u32_e64 v163, s17, v13, v149, s17
	v_lshlrev_b64 v[128:129], 2, v[22:23]
	v_add_co_u32 v160, s17, v12, v144
	v_add_co_ci_u32_e64 v161, s17, v13, v145, s17
	v_lshlrev_b64 v[114:115], 2, v[24:25]
	v_add_co_u32 v150, s17, v12, v134
	s_delay_alu instid0(VALU_DEP_1) | instskip(SKIP_2) | instid1(VALU_DEP_1)
	v_add_co_ci_u32_e64 v151, s17, v13, v135, s17
	v_lshlrev_b64 v[112:113], 2, v[84:85]
	v_add_co_u32 v146, s17, v12, v128
	v_add_co_ci_u32_e64 v147, s17, v13, v129, s17
	;; [unrolled: 7-line block ×3, first 2 shown]
	v_add_co_u32 v118, s17, v12, v20
	s_delay_alu instid0(VALU_DEP_1) | instskip(SKIP_1) | instid1(VALU_DEP_1)
	v_add_co_ci_u32_e64 v119, s17, v13, v21, s17
	v_add_co_u32 v116, s17, v12, v18
	v_add_co_ci_u32_e64 v117, s17, v13, v19, s17
                                        ; implicit-def: $vgpr22_vgpr23
                                        ; implicit-def: $vgpr24_vgpr25
                                        ; implicit-def: $vgpr84_vgpr85
                                        ; implicit-def: $vgpr86_vgpr87
                                        ; implicit-def: $vgpr96_vgpr97
	s_and_saveexec_b32 s17, s16
	s_cbranch_execz .LBB1435_28
; %bb.52:                               ;   in Loop: Header=BB1435_29 Depth=1
	v_add_co_u32 v22, s16, v162, v148
	s_delay_alu instid0(VALU_DEP_1) | instskip(SKIP_1) | instid1(VALU_DEP_1)
	v_add_co_ci_u32_e64 v23, s16, v163, v149, s16
	v_add_co_u32 v24, s16, v160, v144
	v_add_co_ci_u32_e64 v25, s16, v161, v145, s16
	v_add_co_u32 v84, s16, v150, v134
	s_delay_alu instid0(VALU_DEP_1)
	v_add_co_ci_u32_e64 v85, s16, v151, v135, s16
	s_barrier
	buffer_gl0_inv
	s_clause 0x7
	flat_store_b32 v[162:163], v177
	flat_store_b32 v[160:161], v192
	;; [unrolled: 1-line block ×8, first 2 shown]
	s_waitcnt lgkmcnt(0)
	s_waitcnt_vscnt null, 0x0
	s_barrier
	buffer_gl0_inv
	s_clause 0x7
	flat_load_b32 v196, v[37:38]
	flat_load_b32 v193, v[37:38] offset:128
	flat_load_b32 v194, v[37:38] offset:256
	;; [unrolled: 1-line block ×7, first 2 shown]
	s_waitcnt vmcnt(0) lgkmcnt(0)
	s_barrier
	buffer_gl0_inv
	s_clause 0x2
	flat_store_b64 v[22:23], v[82:83]
	flat_store_b64 v[24:25], v[80:81]
	;; [unrolled: 1-line block ×3, first 2 shown]
	v_add_co_u32 v22, s16, v146, v128
	s_delay_alu instid0(VALU_DEP_1) | instskip(SKIP_1) | instid1(VALU_DEP_1)
	v_add_co_ci_u32_e64 v23, s16, v147, v129, s16
	v_add_co_u32 v24, s16, v132, v114
	v_add_co_ci_u32_e64 v25, s16, v133, v115, s16
	v_add_co_u32 v84, s16, v130, v112
	s_delay_alu instid0(VALU_DEP_1) | instskip(SKIP_1) | instid1(VALU_DEP_1)
	v_add_co_ci_u32_e64 v85, s16, v131, v113, s16
	v_add_co_u32 v86, s16, v118, v20
	v_add_co_ci_u32_e64 v87, s16, v119, v21, s16
	v_add_co_u32 v96, s16, v116, v18
	s_delay_alu instid0(VALU_DEP_1)
	v_add_co_ci_u32_e64 v97, s16, v117, v19, s16
	s_clause 0x4
	flat_store_b64 v[22:23], v[68:69]
	flat_store_b64 v[24:25], v[66:67]
	;; [unrolled: 1-line block ×5, first 2 shown]
	s_waitcnt lgkmcnt(0)
	s_waitcnt_vscnt null, 0x0
	s_barrier
	buffer_gl0_inv
	s_clause 0x7
	flat_load_b64 v[22:23], v[50:51]
	flat_load_b64 v[24:25], v[50:51] offset:256
	flat_load_b64 v[84:85], v[50:51] offset:512
	;; [unrolled: 1-line block ×7, first 2 shown]
	v_add_nc_u32_e32 v176, -8, v176
	s_xor_b32 s18, exec_lo, -1
	s_waitcnt vmcnt(0) lgkmcnt(0)
	s_barrier
	buffer_gl0_inv
	s_branch .LBB1435_28
.LBB1435_53:
	s_or_b32 exec_lo, exec_lo, s20
	v_or_b32_e32 v37, 0x1000, v28
	s_barrier
	buffer_gl0_inv
	s_clause 0x7
	flat_store_b32 v[162:163], v177
	flat_store_b32 v[160:161], v192
	;; [unrolled: 1-line block ×8, first 2 shown]
	s_waitcnt lgkmcnt(0)
	s_waitcnt_vscnt null, 0x0
	v_add_co_u32 v4, vcc_lo, v12, v37
	v_add_co_ci_u32_e32 v5, vcc_lo, 0, v13, vcc_lo
	v_add_co_u32 v38, vcc_lo, 0x1400, v33
	v_add_co_ci_u32_e32 v48, vcc_lo, 0, v34, vcc_lo
	;; [unrolled: 2-line block ×5, first 2 shown]
	s_barrier
	buffer_gl0_inv
	s_clause 0x7
	flat_load_b32 v36, v[33:34]
	flat_load_b32 v35, v[33:34] offset:1024
	flat_load_b32 v32, v[33:34] offset:2048
	;; [unrolled: 1-line block ×3, first 2 shown]
	flat_load_b32 v25, v[4:5]
	flat_load_b32 v24, v[8:9] offset:1024
	flat_load_b32 v23, v[8:9] offset:2048
	;; [unrolled: 1-line block ×3, first 2 shown]
	v_add_co_u32 v8, vcc_lo, v162, v148
	v_add_co_ci_u32_e32 v9, vcc_lo, v163, v149, vcc_lo
	v_add_co_u32 v10, vcc_lo, v160, v144
	v_add_co_ci_u32_e32 v11, vcc_lo, v161, v145, vcc_lo
	;; [unrolled: 2-line block ×4, first 2 shown]
	s_waitcnt vmcnt(0) lgkmcnt(0)
	s_barrier
	buffer_gl0_inv
	s_clause 0x3
	flat_store_b64 v[8:9], v[82:83]
	flat_store_b64 v[10:11], v[80:81]
	flat_store_b64 v[14:15], v[70:71]
	flat_store_b64 v[16:17], v[68:69]
	v_add_co_u32 v8, vcc_lo, v132, v114
	v_add_co_ci_u32_e32 v9, vcc_lo, v133, v115, vcc_lo
	v_add_co_u32 v10, vcc_lo, v130, v112
	v_add_co_ci_u32_e32 v11, vcc_lo, v131, v113, vcc_lo
	;; [unrolled: 2-line block ×3, first 2 shown]
	s_clause 0x2
	flat_store_b64 v[8:9], v[66:67]
	flat_store_b64 v[10:11], v[64:65]
	;; [unrolled: 1-line block ×3, first 2 shown]
	v_lshlrev_b32_e32 v8, 3, v26
	v_add_co_u32 v16, vcc_lo, v116, v18
	v_add_co_ci_u32_e32 v17, vcc_lo, v117, v19, vcc_lo
	s_delay_alu instid0(VALU_DEP_3) | instskip(SKIP_2) | instid1(VALU_DEP_3)
	v_add_co_u32 v8, vcc_lo, v12, v8
	v_add_co_ci_u32_e32 v9, vcc_lo, 0, v13, vcc_lo
	v_add_nc_u32_e32 v12, 0x1400, v28
	v_add_co_u32 v10, vcc_lo, 0x1000, v8
	s_delay_alu instid0(VALU_DEP_3)
	v_add_co_ci_u32_e32 v11, vcc_lo, 0, v9, vcc_lo
	v_add_co_u32 v4, vcc_lo, v4, v37
	v_add_nc_u32_e32 v13, 0x1800, v28
	v_add_co_ci_u32_e32 v5, vcc_lo, 0, v5, vcc_lo
	v_add_co_u32 v33, vcc_lo, v38, v12
	v_add_nc_u32_e32 v12, 0x1c00, v28
	v_mov_b32_e32 v28, 0
	v_add_co_ci_u32_e32 v34, vcc_lo, 0, v48, vcc_lo
	v_add_co_u32 v37, vcc_lo, v49, v13
	v_add_co_ci_u32_e32 v38, vcc_lo, 0, v50, vcc_lo
	v_add_co_u32 v48, vcc_lo, v51, v12
	flat_store_b64 v[16:17], v[52:53]
	s_waitcnt lgkmcnt(0)
	s_waitcnt_vscnt null, 0x0
	s_barrier
	buffer_gl0_inv
	v_add_co_ci_u32_e32 v49, vcc_lo, 0, v84, vcc_lo
	s_clause 0x7
	flat_load_b64 v[20:21], v[8:9]
	flat_load_b64 v[18:19], v[8:9] offset:2048
	flat_load_b64 v[16:17], v[10:11]
	flat_load_b64 v[14:15], v[10:11] offset:2048
	flat_load_b64 v[12:13], v[4:5]
	flat_load_b64 v[10:11], v[33:34]
	;; [unrolled: 1-line block ×4, first 2 shown]
	v_lshlrev_b64 v[33:34], 2, v[27:28]
	v_add_co_u32 v2, vcc_lo, v2, v29
	v_add_co_ci_u32_e32 v3, vcc_lo, v3, v30, vcc_lo
	s_waitcnt vmcnt(0) lgkmcnt(0)
	s_delay_alu instid0(VALU_DEP_2) | instskip(NEXT) | instid1(VALU_DEP_2)
	v_add_co_u32 v2, vcc_lo, v2, v33
	v_add_co_ci_u32_e32 v3, vcc_lo, v3, v34, vcc_lo
	v_cmp_lt_u32_e32 vcc_lo, v27, v39
	s_barrier
	buffer_gl0_inv
	s_and_saveexec_b32 s1, vcc_lo
	s_cbranch_execz .LBB1435_55
; %bb.54:
	v_cmp_lt_i32_e64 s0, -1, v36
	s_delay_alu instid0(VALU_DEP_1) | instskip(NEXT) | instid1(VALU_DEP_1)
	v_cndmask_b32_e64 v26, 0x80000000, -1, s0
	v_xor_b32_e32 v26, v26, v36
	flat_store_b32 v[2:3], v26
.LBB1435_55:
	s_or_b32 exec_lo, exec_lo, s1
	v_add_nc_u32_e32 v26, 0x100, v27
	s_delay_alu instid0(VALU_DEP_1) | instskip(NEXT) | instid1(VALU_DEP_1)
	v_cmp_lt_u32_e64 s0, v26, v39
	s_and_saveexec_b32 s2, s0
	s_cbranch_execz .LBB1435_57
; %bb.56:
	v_cmp_lt_i32_e64 s1, -1, v35
	s_delay_alu instid0(VALU_DEP_1) | instskip(NEXT) | instid1(VALU_DEP_1)
	v_cndmask_b32_e64 v26, 0x80000000, -1, s1
	v_xor_b32_e32 v26, v26, v35
	flat_store_b32 v[2:3], v26 offset:1024
.LBB1435_57:
	s_or_b32 exec_lo, exec_lo, s2
	v_add_nc_u32_e32 v26, 0x200, v27
	s_delay_alu instid0(VALU_DEP_1) | instskip(NEXT) | instid1(VALU_DEP_1)
	v_cmp_lt_u32_e64 s1, v26, v39
	s_and_saveexec_b32 s3, s1
	s_cbranch_execz .LBB1435_59
; %bb.58:
	v_cmp_lt_i32_e64 s2, -1, v32
	s_delay_alu instid0(VALU_DEP_1) | instskip(NEXT) | instid1(VALU_DEP_1)
	v_cndmask_b32_e64 v26, 0x80000000, -1, s2
	v_xor_b32_e32 v26, v26, v32
	flat_store_b32 v[2:3], v26 offset:2048
.LBB1435_59:
	;; [unrolled: 13-line block ×3, first 2 shown]
	s_or_b32 exec_lo, exec_lo, s4
	v_add_nc_u32_e32 v26, 0x400, v27
	s_delay_alu instid0(VALU_DEP_1) | instskip(NEXT) | instid1(VALU_DEP_1)
	v_cmp_lt_u32_e64 s3, v26, v39
	s_and_saveexec_b32 s5, s3
	s_cbranch_execz .LBB1435_63
; %bb.62:
	v_cmp_lt_i32_e64 s4, -1, v25
	s_delay_alu instid0(VALU_DEP_1) | instskip(NEXT) | instid1(VALU_DEP_1)
	v_cndmask_b32_e64 v26, 0x80000000, -1, s4
	v_xor_b32_e32 v29, v26, v25
	v_add_co_u32 v25, s4, 0x1000, v2
	s_delay_alu instid0(VALU_DEP_1)
	v_add_co_ci_u32_e64 v26, s4, 0, v3, s4
	flat_store_b32 v[25:26], v29
.LBB1435_63:
	s_or_b32 exec_lo, exec_lo, s5
	v_add_nc_u32_e32 v25, 0x500, v27
	s_delay_alu instid0(VALU_DEP_1) | instskip(NEXT) | instid1(VALU_DEP_1)
	v_cmp_lt_u32_e64 s4, v25, v39
	s_and_saveexec_b32 s6, s4
	s_cbranch_execz .LBB1435_65
; %bb.64:
	v_cmp_lt_i32_e64 s5, -1, v24
	s_delay_alu instid0(VALU_DEP_1) | instskip(NEXT) | instid1(VALU_DEP_1)
	v_cndmask_b32_e64 v25, 0x80000000, -1, s5
	v_xor_b32_e32 v26, v25, v24
	v_add_co_u32 v24, s5, 0x1000, v2
	s_delay_alu instid0(VALU_DEP_1)
	v_add_co_ci_u32_e64 v25, s5, 0, v3, s5
	flat_store_b32 v[24:25], v26 offset:1024
.LBB1435_65:
	s_or_b32 exec_lo, exec_lo, s6
	v_add_nc_u32_e32 v24, 0x600, v27
	s_delay_alu instid0(VALU_DEP_1) | instskip(NEXT) | instid1(VALU_DEP_1)
	v_cmp_lt_u32_e64 s5, v24, v39
	s_and_saveexec_b32 s7, s5
	s_cbranch_execz .LBB1435_67
; %bb.66:
	v_cmp_lt_i32_e64 s6, -1, v23
	s_delay_alu instid0(VALU_DEP_1) | instskip(NEXT) | instid1(VALU_DEP_1)
	v_cndmask_b32_e64 v24, 0x80000000, -1, s6
	v_xor_b32_e32 v25, v24, v23
	v_add_co_u32 v23, s6, 0x1000, v2
	s_delay_alu instid0(VALU_DEP_1)
	v_add_co_ci_u32_e64 v24, s6, 0, v3, s6
	flat_store_b32 v[23:24], v25 offset:2048
.LBB1435_67:
	s_or_b32 exec_lo, exec_lo, s7
	v_add_nc_u32_e32 v23, 0x700, v27
	s_delay_alu instid0(VALU_DEP_1) | instskip(NEXT) | instid1(VALU_DEP_1)
	v_cmp_lt_u32_e64 s6, v23, v39
	s_and_saveexec_b32 s10, s6
	s_cbranch_execz .LBB1435_69
; %bb.68:
	v_cmp_lt_i32_e64 s7, -1, v22
	s_delay_alu instid0(VALU_DEP_1) | instskip(SKIP_1) | instid1(VALU_DEP_1)
	v_cndmask_b32_e64 v23, 0x80000000, -1, s7
	v_add_co_u32 v2, s7, 0x1000, v2
	v_add_co_ci_u32_e64 v3, s7, 0, v3, s7
	s_delay_alu instid0(VALU_DEP_3)
	v_xor_b32_e32 v22, v23, v22
	flat_store_b32 v[2:3], v22 offset:3072
.LBB1435_69:
	s_or_b32 exec_lo, exec_lo, s10
	v_lshlrev_b64 v[2:3], 3, v[27:28]
	v_add_co_u32 v0, s7, v6, v0
	s_delay_alu instid0(VALU_DEP_1) | instskip(NEXT) | instid1(VALU_DEP_2)
	v_add_co_ci_u32_e64 v1, s7, v7, v1, s7
	v_add_co_u32 v0, s7, v0, v2
	s_delay_alu instid0(VALU_DEP_1)
	v_add_co_ci_u32_e64 v1, s7, v1, v3, s7
	s_and_saveexec_b32 s7, vcc_lo
	s_cbranch_execnz .LBB1435_119
; %bb.70:
	s_or_b32 exec_lo, exec_lo, s7
	s_and_saveexec_b32 s7, s0
	s_cbranch_execnz .LBB1435_120
.LBB1435_71:
	s_or_b32 exec_lo, exec_lo, s7
	s_and_saveexec_b32 s0, s1
	s_cbranch_execnz .LBB1435_121
.LBB1435_72:
	s_or_b32 exec_lo, exec_lo, s0
	s_and_saveexec_b32 s0, s2
	s_cbranch_execnz .LBB1435_122
.LBB1435_73:
	s_or_b32 exec_lo, exec_lo, s0
	s_and_saveexec_b32 s0, s3
	s_cbranch_execnz .LBB1435_123
.LBB1435_74:
	s_or_b32 exec_lo, exec_lo, s0
	s_and_saveexec_b32 s0, s4
	s_cbranch_execnz .LBB1435_124
.LBB1435_75:
	s_or_b32 exec_lo, exec_lo, s0
	s_and_saveexec_b32 s0, s5
	s_cbranch_execnz .LBB1435_125
.LBB1435_76:
	s_or_b32 exec_lo, exec_lo, s0
	s_and_saveexec_b32 s0, s6
	s_cbranch_execz .LBB1435_78
.LBB1435_77:
	v_add_co_u32 v0, vcc_lo, 0x3000, v0
	v_add_co_ci_u32_e32 v1, vcc_lo, 0, v1, vcc_lo
	flat_store_b64 v[0:1], v[4:5] offset:2048
.LBB1435_78:
	s_or_b32 exec_lo, exec_lo, s0
                                        ; implicit-def: $vgpr39
                                        ; implicit-def: $vgpr0
                                        ; implicit-def: $vgpr1
                                        ; implicit-def: $vgpr2
                                        ; implicit-def: $vgpr3
                                        ; implicit-def: $vgpr4
                                        ; implicit-def: $vgpr5
                                        ; implicit-def: $vgpr6
                                        ; implicit-def: $vgpr7
                                        ; implicit-def: $vgpr8
                                        ; implicit-def: $vgpr10
                                        ; implicit-def: $vgpr11
                                        ; implicit-def: $vgpr12
                                        ; implicit-def: $vgpr13
                                        ; implicit-def: $vgpr14
                                        ; implicit-def: $vgpr15
                                        ; implicit-def: $vgpr26
                                        ; implicit-def: $vgpr37
.LBB1435_79:
	s_and_not1_saveexec_b32 s0, s19
	s_cbranch_execz .LBB1435_199
; %bb.80:
	s_mov_b32 s0, exec_lo
	v_cmpx_lt_u32_e32 0x200, v39
	s_xor_b32 s19, exec_lo, s0
	s_cbranch_execz .LBB1435_140
; %bb.81:
	s_load_b64 s[0:1], s[8:9], 0x0
	v_mov_b32_e32 v9, 0
	s_brev_b32 s4, -2
	s_delay_alu instid0(SALU_CYCLE_1)
	s_mov_b32 s5, s4
	s_mov_b32 s6, s4
	;; [unrolled: 1-line block ×3, first 2 shown]
	s_waitcnt lgkmcnt(0)
	s_cmp_lt_u32 s13, s1
	s_cselect_b32 s1, 14, 20
	s_delay_alu instid0(SALU_CYCLE_1) | instskip(SKIP_4) | instid1(SALU_CYCLE_1)
	s_add_u32 s2, s8, s1
	s_addc_u32 s3, s9, 0
	s_cmp_lt_u32 s12, s0
	global_load_u16 v16, v9, s[2:3]
	s_cselect_b32 s0, 12, 18
	s_add_u32 s0, s8, s0
	s_addc_u32 s1, s9, 0
	global_load_u16 v17, v9, s[0:1]
	s_waitcnt vmcnt(1)
	v_mad_u32_u24 v14, v15, v16, v14
	s_waitcnt vmcnt(0)
	s_delay_alu instid0(VALU_DEP_1) | instskip(SKIP_2) | instid1(VALU_DEP_3)
	v_mad_u64_u32 v[27:28], null, v14, v17, v[26:27]
	v_lshlrev_b32_e32 v14, 2, v37
	v_lshlrev_b64 v[29:30], 2, v[8:9]
	v_lshlrev_b32_e32 v15, 2, v27
	s_delay_alu instid0(VALU_DEP_1) | instskip(NEXT) | instid1(VALU_DEP_3)
	v_dual_mov_b32 v19, v9 :: v_dual_and_b32 v18, 0xffffff80, v15
	v_add_co_u32 v15, vcc_lo, v0, v29
	s_delay_alu instid0(VALU_DEP_4) | instskip(NEXT) | instid1(VALU_DEP_3)
	v_add_co_ci_u32_e32 v16, vcc_lo, v1, v30, vcc_lo
	v_lshlrev_b64 v[0:1], 2, v[18:19]
	s_delay_alu instid0(VALU_DEP_3) | instskip(NEXT) | instid1(VALU_DEP_3)
	v_add_co_u32 v14, vcc_lo, v15, v14
	v_add_co_ci_u32_e32 v15, vcc_lo, 0, v16, vcc_lo
	v_or_b32_e32 v20, v18, v37
	s_delay_alu instid0(VALU_DEP_3) | instskip(NEXT) | instid1(VALU_DEP_1)
	v_add_co_u32 v0, s0, v14, v0
	v_add_co_ci_u32_e64 v1, s0, v15, v1, s0
	v_dual_mov_b32 v17, s7 :: v_dual_mov_b32 v14, s4
	s_delay_alu instid0(VALU_DEP_4)
	v_cmp_lt_u32_e32 vcc_lo, v20, v39
	v_dual_mov_b32 v16, s6 :: v_dual_mov_b32 v15, s5
	s_and_saveexec_b32 s0, vcc_lo
	s_cbranch_execz .LBB1435_83
; %bb.82:
	flat_load_b32 v14, v[0:1]
	v_bfrev_b32_e32 v15, -2
	s_delay_alu instid0(VALU_DEP_1)
	v_mov_b32_e32 v16, v15
	v_mov_b32_e32 v17, v15
.LBB1435_83:
	s_or_b32 exec_lo, exec_lo, s0
	v_or_b32_e32 v21, 32, v20
	s_delay_alu instid0(VALU_DEP_1) | instskip(NEXT) | instid1(VALU_DEP_1)
	v_cmp_lt_u32_e64 s0, v21, v39
	s_and_saveexec_b32 s1, s0
	s_cbranch_execz .LBB1435_85
; %bb.84:
	flat_load_b32 v15, v[0:1] offset:128
.LBB1435_85:
	s_or_b32 exec_lo, exec_lo, s1
	v_or_b32_e32 v21, 64, v20
	s_delay_alu instid0(VALU_DEP_1) | instskip(NEXT) | instid1(VALU_DEP_1)
	v_cmp_lt_u32_e64 s1, v21, v39
	s_and_saveexec_b32 s2, s1
	s_cbranch_execz .LBB1435_87
; %bb.86:
	flat_load_b32 v16, v[0:1] offset:256
.LBB1435_87:
	;; [unrolled: 9-line block ×3, first 2 shown]
	s_or_b32 exec_lo, exec_lo, s3
	v_lshlrev_b64 v[0:1], 3, v[8:9]
	v_lshlrev_b32_e32 v8, 3, v37
	s_delay_alu instid0(VALU_DEP_2) | instskip(NEXT) | instid1(VALU_DEP_1)
	v_add_co_u32 v9, s3, v4, v0
	v_add_co_ci_u32_e64 v20, s3, v5, v1, s3
	v_lshlrev_b64 v[4:5], 3, v[18:19]
	s_delay_alu instid0(VALU_DEP_3) | instskip(NEXT) | instid1(VALU_DEP_1)
	v_add_co_u32 v8, s3, v9, v8
	v_add_co_ci_u32_e64 v9, s3, 0, v20, s3
                                        ; implicit-def: $vgpr18_vgpr19
	s_delay_alu instid0(VALU_DEP_2) | instskip(NEXT) | instid1(VALU_DEP_1)
	v_add_co_u32 v4, s3, v8, v4
	v_add_co_ci_u32_e64 v5, s3, v9, v5, s3
	s_and_saveexec_b32 s3, vcc_lo
	s_cbranch_execnz .LBB1435_164
; %bb.90:
	s_or_b32 exec_lo, exec_lo, s3
                                        ; implicit-def: $vgpr20_vgpr21
	s_and_saveexec_b32 s3, s0
	s_cbranch_execnz .LBB1435_165
.LBB1435_91:
	s_or_b32 exec_lo, exec_lo, s3
                                        ; implicit-def: $vgpr22_vgpr23
	s_and_saveexec_b32 s0, s1
	s_cbranch_execnz .LBB1435_166
.LBB1435_92:
	s_or_b32 exec_lo, exec_lo, s0
                                        ; implicit-def: $vgpr24_vgpr25
	s_and_saveexec_b32 s0, s2
	s_cbranch_execz .LBB1435_94
.LBB1435_93:
	flat_load_b64 v[24:25], v[4:5] offset:768
.LBB1435_94:
	s_or_b32 exec_lo, exec_lo, s0
	s_waitcnt vmcnt(0) lgkmcnt(0)
	v_cmp_lt_i32_e32 vcc_lo, -1, v14
	s_mov_b32 s20, 0
	s_getpc_b64 s[0:1]
	s_add_u32 s0, s0, _ZN7rocprim17ROCPRIM_400000_NS16block_radix_sortIfLj256ELj4ElLj1ELj1ELj8ELNS0_26block_radix_rank_algorithmE2ELNS0_18block_padding_hintE2ELNS0_4arch9wavefront6targetE0EE19radix_bits_per_passE@rel32@lo+4
	s_addc_u32 s1, s1, _ZN7rocprim17ROCPRIM_400000_NS16block_radix_sortIfLj256ELj4ElLj1ELj1ELj8ELNS0_26block_radix_rank_algorithmE2ELNS0_18block_padding_hintE2ELNS0_4arch9wavefront6targetE0EE19radix_bits_per_passE@rel32@hi+12
	s_mov_b32 s21, s20
	s_mov_b32 s22, s20
	v_cndmask_b32_e64 v4, -1, 0x80000000, vcc_lo
	v_cmp_lt_i32_e32 vcc_lo, -1, v15
	s_mov_b32 s23, s20
	s_load_b32 s25, s[0:1], 0x0
	v_cmp_eq_u32_e64 s7, 0, v37
	v_xor_b32_e32 v119, v4, v14
	v_cndmask_b32_e64 v5, -1, 0x80000000, vcc_lo
	v_cmp_lt_i32_e32 vcc_lo, -1, v16
	v_lshlrev_b32_e32 v4, 5, v26
	v_and_b32_e32 v14, 15, v37
	v_lshrrev_b32_e32 v101, 5, v27
	v_xor_b32_e32 v116, v5, v15
	v_cndmask_b32_e64 v8, -1, 0x80000000, vcc_lo
	v_cmp_lt_i32_e32 vcc_lo, -1, v17
	v_and_b32_e32 v15, 0x3e0, v26
	v_mov_b32_e32 v5, 0
	v_cmp_lt_u32_e64 s0, 1, v14
	v_xor_b32_e32 v117, v8, v16
	v_add_nc_u32_e32 v16, -1, v37
	v_cndmask_b32_e64 v9, -1, 0x80000000, vcc_lo
	v_add_co_u32 v28, vcc_lo, v12, 32
	v_add_co_ci_u32_e32 v100, vcc_lo, 0, v13, vcc_lo
	v_add_co_u32 v8, vcc_lo, v12, v4
	v_cmp_gt_i32_e64 s4, 0, v16
	v_xor_b32_e32 v118, v9, v17
	v_add_co_ci_u32_e32 v9, vcc_lo, 0, v13, vcc_lo
	v_add_co_u32 v31, vcc_lo, v28, v4
	v_min_u32_e32 v4, 0xe0, v15
	v_and_b32_e32 v15, 16, v37
	v_add_co_ci_u32_e32 v32, vcc_lo, 0, v100, vcc_lo
	v_cmp_eq_u32_e32 vcc_lo, 0, v14
	v_cmp_lt_u32_e64 s1, 3, v14
	v_cmp_lt_u32_e64 s2, 7, v14
	v_cndmask_b32_e64 v14, v16, v37, s4
	v_or_b32_e32 v4, 31, v4
	v_cmp_eq_u32_e64 s3, 0, v15
	v_lshrrev_b32_e32 v15, 5, v26
	v_and_b32_e32 v16, 7, v37
	v_lshlrev_b32_e32 v102, 2, v14
	v_lshlrev_b32_e32 v14, 2, v26
	v_cmp_eq_u32_e64 s4, v4, v26
	v_lshlrev_b32_e32 v4, 2, v15
	v_cmp_lt_u32_e64 s14, 1, v16
	v_cmp_lt_u32_e64 s15, 3, v16
	v_and_or_b32 v17, 0xf80, v14, v37
	v_cmp_gt_u32_e64 s5, 8, v26
	v_add_co_u32 v33, s11, v12, v4
	v_add_nc_u32_e32 v4, -1, v15
	s_delay_alu instid0(VALU_DEP_4) | instskip(SKIP_2) | instid1(VALU_DEP_4)
	v_lshlrev_b32_e32 v17, 2, v17
	v_add_co_ci_u32_e64 v34, s11, 0, v13, s11
	v_add_co_u32 v35, s11, v12, v14
	v_lshlrev_b64 v[14:15], 2, v[4:5]
	s_delay_alu instid0(VALU_DEP_4) | instskip(NEXT) | instid1(VALU_DEP_1)
	v_add_co_u32 v37, s16, v12, v17
	v_add_co_ci_u32_e64 v38, s16, 0, v13, s16
	v_add_co_ci_u32_e64 v36, s11, 0, v13, s11
	s_delay_alu instid0(VALU_DEP_4) | instskip(NEXT) | instid1(VALU_DEP_1)
	v_add_co_u32 v48, s16, v12, v14
	v_add_co_ci_u32_e64 v49, s16, v13, v15, s16
	v_add_co_u32 v50, s16, v37, v17
	v_cmp_eq_u32_e64 s11, 0, v16
	v_dual_mov_b32 v14, s20 :: v_dual_mov_b32 v17, s23
	v_cmp_lt_u32_e64 s6, 31, v26
	v_cmp_eq_u32_e64 s10, 0, v26
	v_add_co_ci_u32_e64 v51, s16, 0, v38, s16
	v_sub_nc_u32_e32 v103, v11, v10
	v_dual_mov_b32 v15, s21 :: v_dual_mov_b32 v16, s22
	s_waitcnt lgkmcnt(0)
	s_waitcnt_vscnt null, 0x0
	s_barrier
	buffer_gl0_inv
	s_branch .LBB1435_96
.LBB1435_95:                            ;   in Loop: Header=BB1435_96 Depth=1
	s_or_b32 exec_lo, exec_lo, s17
	s_delay_alu instid0(SALU_CYCLE_1) | instskip(NEXT) | instid1(SALU_CYCLE_1)
	s_and_b32 s16, exec_lo, s18
	s_or_b32 s20, s16, s20
	s_delay_alu instid0(SALU_CYCLE_1)
	s_and_not1_b32 exec_lo, exec_lo, s20
	s_cbranch_execz .LBB1435_126
.LBB1435_96:                            ; =>This Inner Loop Header: Depth=1
	v_mov_b32_e32 v112, v119
	v_min_u32_e32 v4, s25, v103
	s_clause 0x1
	flat_store_b128 v[8:9], v[14:17] offset:32
	flat_store_b128 v[31:32], v[14:17] offset:16
	s_waitcnt lgkmcnt(0)
	s_waitcnt_vscnt null, 0x0
	s_barrier
	v_cmp_ne_u32_e64 s16, 0x7fffffff, v112
	v_lshlrev_b32_e64 v4, v4, -1
	buffer_gl0_inv
	; wave barrier
	v_cndmask_b32_e64 v52, 0x80000000, v112, s16
	v_not_b32_e32 v82, v4
	v_mov_b32_e32 v113, v118
	v_dual_mov_b32 v115, v116 :: v_dual_mov_b32 v114, v117
	s_delay_alu instid0(VALU_DEP_4) | instskip(NEXT) | instid1(VALU_DEP_1)
	v_lshrrev_b32_e32 v4, v10, v52
	v_and_b32_e32 v4, v4, v82
	s_delay_alu instid0(VALU_DEP_1)
	v_and_b32_e32 v52, 1, v4
	v_lshlrev_b32_e32 v53, 30, v4
	v_lshlrev_b32_e32 v54, 29, v4
	;; [unrolled: 1-line block ×4, first 2 shown]
	v_add_co_u32 v52, s16, v52, -1
	s_delay_alu instid0(VALU_DEP_1)
	v_cndmask_b32_e64 v64, 0, 1, s16
	v_not_b32_e32 v68, v53
	v_cmp_gt_i32_e64 s17, 0, v53
	v_not_b32_e32 v53, v54
	v_lshlrev_b32_e32 v66, 26, v4
	v_cmp_ne_u32_e64 s16, 0, v64
	v_ashrrev_i32_e32 v68, 31, v68
	v_lshlrev_b32_e32 v64, 24, v4
	v_ashrrev_i32_e32 v53, 31, v53
	v_lshlrev_b32_e32 v67, 25, v4
	v_xor_b32_e32 v52, s16, v52
	v_cmp_gt_i32_e64 s16, 0, v54
	v_not_b32_e32 v54, v55
	v_xor_b32_e32 v68, s17, v68
	v_cmp_gt_i32_e64 s17, 0, v55
	v_and_b32_e32 v52, exec_lo, v52
	v_xor_b32_e32 v53, s16, v53
	v_ashrrev_i32_e32 v54, 31, v54
	v_not_b32_e32 v55, v65
	v_cmp_gt_i32_e64 s16, 0, v65
	v_and_b32_e32 v52, v52, v68
	v_not_b32_e32 v65, v66
	v_xor_b32_e32 v54, s17, v54
	v_ashrrev_i32_e32 v55, 31, v55
	v_cmp_gt_i32_e64 s17, 0, v66
	v_and_b32_e32 v52, v52, v53
	v_ashrrev_i32_e32 v65, 31, v65
	v_lshl_add_u32 v4, v4, 3, v101
	v_xor_b32_e32 v55, s16, v55
	s_delay_alu instid0(VALU_DEP_4) | instskip(SKIP_3) | instid1(VALU_DEP_4)
	v_and_b32_e32 v52, v52, v54
	v_not_b32_e32 v54, v64
	v_xor_b32_e32 v65, s17, v65
	v_cmp_gt_i32_e64 s17, 0, v64
	v_and_b32_e32 v52, v52, v55
	s_delay_alu instid0(VALU_DEP_4) | instskip(NEXT) | instid1(VALU_DEP_2)
	v_ashrrev_i32_e32 v54, 31, v54
	v_and_b32_e32 v52, v52, v65
	s_delay_alu instid0(VALU_DEP_2)
	v_xor_b32_e32 v64, s17, v54
	v_dual_mov_b32 v55, v21 :: v_dual_mov_b32 v54, v20
	v_not_b32_e32 v53, v67
	v_cmp_gt_i32_e64 s16, 0, v67
	v_dual_mov_b32 v67, v19 :: v_dual_mov_b32 v66, v18
	v_lshlrev_b64 v[19:20], 2, v[4:5]
	s_delay_alu instid0(VALU_DEP_4) | instskip(NEXT) | instid1(VALU_DEP_2)
	v_ashrrev_i32_e32 v53, 31, v53
	v_add_co_u32 v68, s18, v28, v19
	s_delay_alu instid0(VALU_DEP_2) | instskip(NEXT) | instid1(VALU_DEP_4)
	v_xor_b32_e32 v53, s16, v53
	v_add_co_ci_u32_e64 v69, s18, v100, v20, s18
	s_delay_alu instid0(VALU_DEP_2) | instskip(SKIP_1) | instid1(VALU_DEP_2)
	v_and_b32_e32 v65, v52, v53
	v_dual_mov_b32 v53, v23 :: v_dual_mov_b32 v52, v22
	v_and_b32_e32 v18, v65, v64
	v_dual_mov_b32 v65, v25 :: v_dual_mov_b32 v64, v24
	s_delay_alu instid0(VALU_DEP_2) | instskip(SKIP_1) | instid1(VALU_DEP_2)
	v_mbcnt_lo_u32_b32 v84, v18, 0
	v_cmp_ne_u32_e64 s16, 0, v18
	v_cmp_eq_u32_e64 s17, 0, v84
	s_delay_alu instid0(VALU_DEP_1) | instskip(NEXT) | instid1(SALU_CYCLE_1)
	s_and_b32 s17, s16, s17
	s_and_saveexec_b32 s16, s17
	s_cbranch_execz .LBB1435_98
; %bb.97:                               ;   in Loop: Header=BB1435_96 Depth=1
	v_bcnt_u32_b32 v4, v18, 0
	flat_store_b32 v[68:69], v4
.LBB1435_98:                            ;   in Loop: Header=BB1435_96 Depth=1
	s_or_b32 exec_lo, exec_lo, s16
	v_cmp_ne_u32_e64 s16, 0x7fffffff, v115
	; wave barrier
	s_delay_alu instid0(VALU_DEP_1) | instskip(NEXT) | instid1(VALU_DEP_1)
	v_cndmask_b32_e64 v4, 0x80000000, v115, s16
	v_lshrrev_b32_e32 v4, v10, v4
	s_delay_alu instid0(VALU_DEP_1) | instskip(NEXT) | instid1(VALU_DEP_1)
	v_and_b32_e32 v20, v4, v82
	v_lshl_add_u32 v4, v20, 3, v101
	v_lshlrev_b32_e32 v21, 29, v20
	v_lshlrev_b32_e32 v22, 28, v20
	s_delay_alu instid0(VALU_DEP_3) | instskip(SKIP_1) | instid1(VALU_DEP_2)
	v_lshlrev_b64 v[18:19], 2, v[4:5]
	v_and_b32_e32 v4, 1, v20
	v_add_co_u32 v70, s16, v28, v18
	s_delay_alu instid0(VALU_DEP_1) | instskip(NEXT) | instid1(VALU_DEP_3)
	v_add_co_ci_u32_e64 v71, s16, v100, v19, s16
	v_add_co_u32 v4, s16, v4, -1
	s_delay_alu instid0(VALU_DEP_1) | instskip(SKIP_3) | instid1(VALU_DEP_2)
	v_cndmask_b32_e64 v18, 0, 1, s16
	flat_load_b32 v85, v[70:71]
	v_lshlrev_b32_e32 v19, 30, v20
	; wave barrier
	v_cmp_ne_u32_e64 s16, 0, v18
	v_not_b32_e32 v18, v19
	s_delay_alu instid0(VALU_DEP_2) | instskip(SKIP_1) | instid1(VALU_DEP_3)
	v_xor_b32_e32 v4, s16, v4
	v_cmp_gt_i32_e64 s16, 0, v19
	v_ashrrev_i32_e32 v18, 31, v18
	v_not_b32_e32 v19, v21
	s_delay_alu instid0(VALU_DEP_4) | instskip(NEXT) | instid1(VALU_DEP_3)
	v_and_b32_e32 v4, exec_lo, v4
	v_xor_b32_e32 v18, s16, v18
	v_cmp_gt_i32_e64 s16, 0, v21
	s_delay_alu instid0(VALU_DEP_4) | instskip(SKIP_1) | instid1(VALU_DEP_4)
	v_ashrrev_i32_e32 v19, 31, v19
	v_not_b32_e32 v21, v22
	v_and_b32_e32 v4, v4, v18
	v_lshlrev_b32_e32 v18, 27, v20
	s_delay_alu instid0(VALU_DEP_4) | instskip(SKIP_2) | instid1(VALU_DEP_4)
	v_xor_b32_e32 v19, s16, v19
	v_cmp_gt_i32_e64 s16, 0, v22
	v_ashrrev_i32_e32 v21, 31, v21
	v_not_b32_e32 v22, v18
	s_delay_alu instid0(VALU_DEP_4) | instskip(SKIP_1) | instid1(VALU_DEP_4)
	v_and_b32_e32 v4, v4, v19
	v_lshlrev_b32_e32 v19, 26, v20
	v_xor_b32_e32 v21, s16, v21
	v_cmp_gt_i32_e64 s16, 0, v18
	v_ashrrev_i32_e32 v18, 31, v22
	s_delay_alu instid0(VALU_DEP_4) | instskip(NEXT) | instid1(VALU_DEP_4)
	v_not_b32_e32 v22, v19
	v_and_b32_e32 v4, v4, v21
	v_lshlrev_b32_e32 v21, 25, v20
	s_delay_alu instid0(VALU_DEP_4) | instskip(SKIP_2) | instid1(VALU_DEP_4)
	v_xor_b32_e32 v18, s16, v18
	v_cmp_gt_i32_e64 s16, 0, v19
	v_ashrrev_i32_e32 v19, 31, v22
	v_not_b32_e32 v22, v21
	s_delay_alu instid0(VALU_DEP_4) | instskip(SKIP_1) | instid1(VALU_DEP_4)
	v_and_b32_e32 v4, v4, v18
	v_lshlrev_b32_e32 v18, 24, v20
	v_xor_b32_e32 v19, s16, v19
	v_cmp_gt_i32_e64 s16, 0, v21
	v_ashrrev_i32_e32 v20, 31, v22
	s_delay_alu instid0(VALU_DEP_4) | instskip(NEXT) | instid1(VALU_DEP_4)
	v_not_b32_e32 v21, v18
	v_and_b32_e32 v4, v4, v19
	s_delay_alu instid0(VALU_DEP_3) | instskip(SKIP_1) | instid1(VALU_DEP_4)
	v_xor_b32_e32 v19, s16, v20
	v_cmp_gt_i32_e64 s16, 0, v18
	v_ashrrev_i32_e32 v18, 31, v21
	s_delay_alu instid0(VALU_DEP_3) | instskip(NEXT) | instid1(VALU_DEP_2)
	v_and_b32_e32 v4, v4, v19
	v_xor_b32_e32 v18, s16, v18
	s_delay_alu instid0(VALU_DEP_1) | instskip(NEXT) | instid1(VALU_DEP_1)
	v_and_b32_e32 v4, v4, v18
	v_mbcnt_lo_u32_b32 v86, v4, 0
	v_cmp_ne_u32_e64 s17, 0, v4
	s_delay_alu instid0(VALU_DEP_2) | instskip(NEXT) | instid1(VALU_DEP_1)
	v_cmp_eq_u32_e64 s16, 0, v86
	s_and_b32 s17, s17, s16
	s_delay_alu instid0(SALU_CYCLE_1)
	s_and_saveexec_b32 s16, s17
	s_cbranch_execz .LBB1435_100
; %bb.99:                               ;   in Loop: Header=BB1435_96 Depth=1
	s_waitcnt vmcnt(0) lgkmcnt(0)
	v_bcnt_u32_b32 v4, v4, v85
	flat_store_b32 v[70:71], v4
.LBB1435_100:                           ;   in Loop: Header=BB1435_96 Depth=1
	s_or_b32 exec_lo, exec_lo, s16
	v_cmp_ne_u32_e64 s16, 0x7fffffff, v114
	; wave barrier
	s_delay_alu instid0(VALU_DEP_1) | instskip(NEXT) | instid1(VALU_DEP_1)
	v_cndmask_b32_e64 v4, 0x80000000, v114, s16
	v_lshrrev_b32_e32 v4, v10, v4
	s_delay_alu instid0(VALU_DEP_1) | instskip(NEXT) | instid1(VALU_DEP_1)
	v_and_b32_e32 v20, v4, v82
	v_lshl_add_u32 v4, v20, 3, v101
	v_lshlrev_b32_e32 v21, 29, v20
	v_lshlrev_b32_e32 v22, 28, v20
	s_delay_alu instid0(VALU_DEP_3) | instskip(SKIP_1) | instid1(VALU_DEP_2)
	v_lshlrev_b64 v[18:19], 2, v[4:5]
	v_and_b32_e32 v4, 1, v20
	v_add_co_u32 v80, s16, v28, v18
	s_delay_alu instid0(VALU_DEP_1) | instskip(NEXT) | instid1(VALU_DEP_3)
	v_add_co_ci_u32_e64 v81, s16, v100, v19, s16
	v_add_co_u32 v4, s16, v4, -1
	s_delay_alu instid0(VALU_DEP_1) | instskip(SKIP_3) | instid1(VALU_DEP_2)
	v_cndmask_b32_e64 v18, 0, 1, s16
	flat_load_b32 v87, v[80:81]
	v_lshlrev_b32_e32 v19, 30, v20
	; wave barrier
	v_cmp_ne_u32_e64 s16, 0, v18
	v_not_b32_e32 v18, v19
	s_delay_alu instid0(VALU_DEP_2) | instskip(SKIP_1) | instid1(VALU_DEP_3)
	v_xor_b32_e32 v4, s16, v4
	v_cmp_gt_i32_e64 s16, 0, v19
	v_ashrrev_i32_e32 v18, 31, v18
	v_not_b32_e32 v19, v21
	s_delay_alu instid0(VALU_DEP_4) | instskip(NEXT) | instid1(VALU_DEP_3)
	v_and_b32_e32 v4, exec_lo, v4
	v_xor_b32_e32 v18, s16, v18
	v_cmp_gt_i32_e64 s16, 0, v21
	s_delay_alu instid0(VALU_DEP_4) | instskip(SKIP_1) | instid1(VALU_DEP_4)
	v_ashrrev_i32_e32 v19, 31, v19
	v_not_b32_e32 v21, v22
	v_and_b32_e32 v4, v4, v18
	v_lshlrev_b32_e32 v18, 27, v20
	s_delay_alu instid0(VALU_DEP_4) | instskip(SKIP_2) | instid1(VALU_DEP_4)
	v_xor_b32_e32 v19, s16, v19
	v_cmp_gt_i32_e64 s16, 0, v22
	v_ashrrev_i32_e32 v21, 31, v21
	v_not_b32_e32 v22, v18
	s_delay_alu instid0(VALU_DEP_4) | instskip(SKIP_1) | instid1(VALU_DEP_4)
	v_and_b32_e32 v4, v4, v19
	v_lshlrev_b32_e32 v19, 26, v20
	v_xor_b32_e32 v21, s16, v21
	v_cmp_gt_i32_e64 s16, 0, v18
	v_ashrrev_i32_e32 v18, 31, v22
	s_delay_alu instid0(VALU_DEP_4) | instskip(NEXT) | instid1(VALU_DEP_4)
	v_not_b32_e32 v22, v19
	v_and_b32_e32 v4, v4, v21
	v_lshlrev_b32_e32 v21, 25, v20
	s_delay_alu instid0(VALU_DEP_4) | instskip(SKIP_2) | instid1(VALU_DEP_4)
	v_xor_b32_e32 v18, s16, v18
	v_cmp_gt_i32_e64 s16, 0, v19
	v_ashrrev_i32_e32 v19, 31, v22
	v_not_b32_e32 v22, v21
	s_delay_alu instid0(VALU_DEP_4) | instskip(SKIP_1) | instid1(VALU_DEP_4)
	v_and_b32_e32 v4, v4, v18
	v_lshlrev_b32_e32 v18, 24, v20
	v_xor_b32_e32 v19, s16, v19
	v_cmp_gt_i32_e64 s16, 0, v21
	v_ashrrev_i32_e32 v20, 31, v22
	s_delay_alu instid0(VALU_DEP_4) | instskip(NEXT) | instid1(VALU_DEP_4)
	v_not_b32_e32 v21, v18
	v_and_b32_e32 v4, v4, v19
	s_delay_alu instid0(VALU_DEP_3) | instskip(SKIP_1) | instid1(VALU_DEP_4)
	v_xor_b32_e32 v19, s16, v20
	v_cmp_gt_i32_e64 s16, 0, v18
	v_ashrrev_i32_e32 v18, 31, v21
	s_delay_alu instid0(VALU_DEP_3) | instskip(NEXT) | instid1(VALU_DEP_2)
	v_and_b32_e32 v4, v4, v19
	v_xor_b32_e32 v18, s16, v18
	s_delay_alu instid0(VALU_DEP_1) | instskip(NEXT) | instid1(VALU_DEP_1)
	v_and_b32_e32 v4, v4, v18
	v_mbcnt_lo_u32_b32 v96, v4, 0
	v_cmp_ne_u32_e64 s17, 0, v4
	s_delay_alu instid0(VALU_DEP_2) | instskip(NEXT) | instid1(VALU_DEP_1)
	v_cmp_eq_u32_e64 s16, 0, v96
	s_and_b32 s17, s17, s16
	s_delay_alu instid0(SALU_CYCLE_1)
	s_and_saveexec_b32 s16, s17
	s_cbranch_execz .LBB1435_102
; %bb.101:                              ;   in Loop: Header=BB1435_96 Depth=1
	s_waitcnt vmcnt(0) lgkmcnt(0)
	v_bcnt_u32_b32 v4, v4, v87
	flat_store_b32 v[80:81], v4
.LBB1435_102:                           ;   in Loop: Header=BB1435_96 Depth=1
	s_or_b32 exec_lo, exec_lo, s16
	v_cmp_ne_u32_e64 s16, 0x7fffffff, v113
	; wave barrier
	s_delay_alu instid0(VALU_DEP_1) | instskip(NEXT) | instid1(VALU_DEP_1)
	v_cndmask_b32_e64 v4, 0x80000000, v113, s16
	v_lshrrev_b32_e32 v4, v10, v4
	s_delay_alu instid0(VALU_DEP_1) | instskip(NEXT) | instid1(VALU_DEP_1)
	v_and_b32_e32 v20, v4, v82
	v_lshl_add_u32 v4, v20, 3, v101
	v_lshlrev_b32_e32 v21, 29, v20
	v_lshlrev_b32_e32 v22, 28, v20
	s_delay_alu instid0(VALU_DEP_3) | instskip(SKIP_1) | instid1(VALU_DEP_2)
	v_lshlrev_b64 v[18:19], 2, v[4:5]
	v_and_b32_e32 v4, 1, v20
	v_add_co_u32 v82, s16, v28, v18
	s_delay_alu instid0(VALU_DEP_1) | instskip(NEXT) | instid1(VALU_DEP_3)
	v_add_co_ci_u32_e64 v83, s16, v100, v19, s16
	v_add_co_u32 v4, s16, v4, -1
	s_delay_alu instid0(VALU_DEP_1) | instskip(SKIP_3) | instid1(VALU_DEP_2)
	v_cndmask_b32_e64 v18, 0, 1, s16
	flat_load_b32 v97, v[82:83]
	v_lshlrev_b32_e32 v19, 30, v20
	; wave barrier
	v_cmp_ne_u32_e64 s16, 0, v18
	v_not_b32_e32 v18, v19
	s_delay_alu instid0(VALU_DEP_2) | instskip(SKIP_1) | instid1(VALU_DEP_3)
	v_xor_b32_e32 v4, s16, v4
	v_cmp_gt_i32_e64 s16, 0, v19
	v_ashrrev_i32_e32 v18, 31, v18
	v_not_b32_e32 v19, v21
	s_delay_alu instid0(VALU_DEP_4) | instskip(NEXT) | instid1(VALU_DEP_3)
	v_and_b32_e32 v4, exec_lo, v4
	v_xor_b32_e32 v18, s16, v18
	v_cmp_gt_i32_e64 s16, 0, v21
	s_delay_alu instid0(VALU_DEP_4) | instskip(SKIP_1) | instid1(VALU_DEP_4)
	v_ashrrev_i32_e32 v19, 31, v19
	v_not_b32_e32 v21, v22
	v_and_b32_e32 v4, v4, v18
	v_lshlrev_b32_e32 v18, 27, v20
	s_delay_alu instid0(VALU_DEP_4) | instskip(SKIP_2) | instid1(VALU_DEP_4)
	v_xor_b32_e32 v19, s16, v19
	v_cmp_gt_i32_e64 s16, 0, v22
	v_ashrrev_i32_e32 v21, 31, v21
	v_not_b32_e32 v22, v18
	s_delay_alu instid0(VALU_DEP_4) | instskip(SKIP_1) | instid1(VALU_DEP_4)
	v_and_b32_e32 v4, v4, v19
	v_lshlrev_b32_e32 v19, 26, v20
	v_xor_b32_e32 v21, s16, v21
	v_cmp_gt_i32_e64 s16, 0, v18
	v_ashrrev_i32_e32 v18, 31, v22
	s_delay_alu instid0(VALU_DEP_4) | instskip(NEXT) | instid1(VALU_DEP_4)
	v_not_b32_e32 v22, v19
	v_and_b32_e32 v4, v4, v21
	v_lshlrev_b32_e32 v21, 25, v20
	s_delay_alu instid0(VALU_DEP_4) | instskip(SKIP_2) | instid1(VALU_DEP_4)
	v_xor_b32_e32 v18, s16, v18
	v_cmp_gt_i32_e64 s16, 0, v19
	v_ashrrev_i32_e32 v19, 31, v22
	v_not_b32_e32 v22, v21
	s_delay_alu instid0(VALU_DEP_4) | instskip(SKIP_1) | instid1(VALU_DEP_4)
	v_and_b32_e32 v4, v4, v18
	v_lshlrev_b32_e32 v18, 24, v20
	v_xor_b32_e32 v19, s16, v19
	v_cmp_gt_i32_e64 s16, 0, v21
	v_ashrrev_i32_e32 v20, 31, v22
	s_delay_alu instid0(VALU_DEP_4) | instskip(NEXT) | instid1(VALU_DEP_4)
	v_not_b32_e32 v21, v18
	v_and_b32_e32 v4, v4, v19
	s_delay_alu instid0(VALU_DEP_3) | instskip(SKIP_1) | instid1(VALU_DEP_4)
	v_xor_b32_e32 v19, s16, v20
	v_cmp_gt_i32_e64 s16, 0, v18
	v_ashrrev_i32_e32 v18, 31, v21
	s_delay_alu instid0(VALU_DEP_3) | instskip(NEXT) | instid1(VALU_DEP_2)
	v_and_b32_e32 v4, v4, v19
	v_xor_b32_e32 v18, s16, v18
	s_delay_alu instid0(VALU_DEP_1) | instskip(NEXT) | instid1(VALU_DEP_1)
	v_and_b32_e32 v4, v4, v18
	v_mbcnt_lo_u32_b32 v98, v4, 0
	v_cmp_ne_u32_e64 s17, 0, v4
	s_delay_alu instid0(VALU_DEP_2) | instskip(NEXT) | instid1(VALU_DEP_1)
	v_cmp_eq_u32_e64 s16, 0, v98
	s_and_b32 s17, s17, s16
	s_delay_alu instid0(SALU_CYCLE_1)
	s_and_saveexec_b32 s16, s17
	s_cbranch_execz .LBB1435_104
; %bb.103:                              ;   in Loop: Header=BB1435_96 Depth=1
	s_waitcnt vmcnt(0) lgkmcnt(0)
	v_bcnt_u32_b32 v4, v4, v97
	flat_store_b32 v[82:83], v4
.LBB1435_104:                           ;   in Loop: Header=BB1435_96 Depth=1
	s_or_b32 exec_lo, exec_lo, s16
	; wave barrier
	s_waitcnt vmcnt(0) lgkmcnt(0)
	s_waitcnt_vscnt null, 0x0
	s_barrier
	buffer_gl0_inv
	s_clause 0x1
	flat_load_b128 v[22:25], v[8:9] offset:32
	flat_load_b128 v[18:21], v[31:32] offset:16
	s_waitcnt vmcnt(1) lgkmcnt(1)
	v_add_nc_u32_e32 v4, v23, v22
	s_delay_alu instid0(VALU_DEP_1) | instskip(SKIP_1) | instid1(VALU_DEP_1)
	v_add3_u32 v4, v4, v24, v25
	s_waitcnt vmcnt(0) lgkmcnt(0)
	v_add3_u32 v4, v4, v18, v19
	s_delay_alu instid0(VALU_DEP_1) | instskip(NEXT) | instid1(VALU_DEP_1)
	v_add3_u32 v4, v4, v20, v21
	v_mov_b32_dpp v21, v4 row_shr:1 row_mask:0xf bank_mask:0xf
	s_delay_alu instid0(VALU_DEP_1) | instskip(NEXT) | instid1(VALU_DEP_1)
	v_cndmask_b32_e64 v21, v21, 0, vcc_lo
	v_add_nc_u32_e32 v4, v21, v4
	s_delay_alu instid0(VALU_DEP_1) | instskip(NEXT) | instid1(VALU_DEP_1)
	v_mov_b32_dpp v21, v4 row_shr:2 row_mask:0xf bank_mask:0xf
	v_cndmask_b32_e64 v21, 0, v21, s0
	s_delay_alu instid0(VALU_DEP_1) | instskip(NEXT) | instid1(VALU_DEP_1)
	v_add_nc_u32_e32 v4, v4, v21
	v_mov_b32_dpp v21, v4 row_shr:4 row_mask:0xf bank_mask:0xf
	s_delay_alu instid0(VALU_DEP_1) | instskip(NEXT) | instid1(VALU_DEP_1)
	v_cndmask_b32_e64 v21, 0, v21, s1
	v_add_nc_u32_e32 v4, v4, v21
	s_delay_alu instid0(VALU_DEP_1) | instskip(NEXT) | instid1(VALU_DEP_1)
	v_mov_b32_dpp v21, v4 row_shr:8 row_mask:0xf bank_mask:0xf
	v_cndmask_b32_e64 v21, 0, v21, s2
	s_delay_alu instid0(VALU_DEP_1) | instskip(SKIP_3) | instid1(VALU_DEP_1)
	v_add_nc_u32_e32 v4, v4, v21
	ds_swizzle_b32 v21, v4 offset:swizzle(BROADCAST,32,15)
	s_waitcnt lgkmcnt(0)
	v_cndmask_b32_e64 v21, v21, 0, s3
	v_add_nc_u32_e32 v4, v4, v21
	s_and_saveexec_b32 s16, s4
	s_cbranch_execz .LBB1435_106
; %bb.105:                              ;   in Loop: Header=BB1435_96 Depth=1
	flat_store_b32 v[33:34], v4
.LBB1435_106:                           ;   in Loop: Header=BB1435_96 Depth=1
	s_or_b32 exec_lo, exec_lo, s16
	s_waitcnt lgkmcnt(0)
	s_waitcnt_vscnt null, 0x0
	s_barrier
	buffer_gl0_inv
	s_and_saveexec_b32 s16, s5
	s_cbranch_execz .LBB1435_108
; %bb.107:                              ;   in Loop: Header=BB1435_96 Depth=1
	flat_load_b32 v21, v[35:36]
	s_waitcnt vmcnt(0) lgkmcnt(0)
	v_mov_b32_dpp v99, v21 row_shr:1 row_mask:0xf bank_mask:0xf
	s_delay_alu instid0(VALU_DEP_1) | instskip(NEXT) | instid1(VALU_DEP_1)
	v_cndmask_b32_e64 v99, v99, 0, s11
	v_add_nc_u32_e32 v21, v99, v21
	s_delay_alu instid0(VALU_DEP_1) | instskip(NEXT) | instid1(VALU_DEP_1)
	v_mov_b32_dpp v99, v21 row_shr:2 row_mask:0xf bank_mask:0xf
	v_cndmask_b32_e64 v99, 0, v99, s14
	s_delay_alu instid0(VALU_DEP_1) | instskip(NEXT) | instid1(VALU_DEP_1)
	v_add_nc_u32_e32 v21, v21, v99
	v_mov_b32_dpp v99, v21 row_shr:4 row_mask:0xf bank_mask:0xf
	s_delay_alu instid0(VALU_DEP_1) | instskip(NEXT) | instid1(VALU_DEP_1)
	v_cndmask_b32_e64 v99, 0, v99, s15
	v_add_nc_u32_e32 v21, v21, v99
	flat_store_b32 v[35:36], v21
.LBB1435_108:                           ;   in Loop: Header=BB1435_96 Depth=1
	s_or_b32 exec_lo, exec_lo, s16
	v_mov_b32_e32 v21, 0
	s_waitcnt lgkmcnt(0)
	s_waitcnt_vscnt null, 0x0
	s_barrier
	buffer_gl0_inv
	s_and_saveexec_b32 s16, s6
	s_cbranch_execz .LBB1435_110
; %bb.109:                              ;   in Loop: Header=BB1435_96 Depth=1
	flat_load_b32 v21, v[48:49]
.LBB1435_110:                           ;   in Loop: Header=BB1435_96 Depth=1
	s_or_b32 exec_lo, exec_lo, s16
	s_waitcnt vmcnt(0) lgkmcnt(0)
	v_add_nc_u32_e32 v4, v21, v4
	v_add_nc_u32_e32 v10, 8, v10
	s_mov_b32 s18, -1
	ds_bpermute_b32 v4, v102, v4
	s_waitcnt lgkmcnt(0)
	v_cndmask_b32_e64 v4, v4, v21, s7
	s_delay_alu instid0(VALU_DEP_1) | instskip(NEXT) | instid1(VALU_DEP_1)
	v_cndmask_b32_e64 v21, v4, 0, s10
	v_add_nc_u32_e32 v22, v21, v22
	s_delay_alu instid0(VALU_DEP_1) | instskip(NEXT) | instid1(VALU_DEP_1)
	v_add_nc_u32_e32 v23, v22, v23
	v_add_nc_u32_e32 v24, v23, v24
	s_delay_alu instid0(VALU_DEP_1) | instskip(NEXT) | instid1(VALU_DEP_1)
	v_add_nc_u32_e32 v116, v24, v25
	v_add_nc_u32_e32 v117, v116, v18
	s_delay_alu instid0(VALU_DEP_1) | instskip(SKIP_1) | instid1(VALU_DEP_2)
	v_add_nc_u32_e32 v118, v117, v19
	v_mov_b32_e32 v19, v5
	v_add_nc_u32_e32 v119, v118, v20
	s_clause 0x1
	flat_store_b128 v[8:9], v[21:24] offset:32
	flat_store_b128 v[31:32], v[116:119] offset:16
	v_mov_b32_e32 v21, v5
	s_waitcnt lgkmcnt(0)
	s_waitcnt_vscnt null, 0x0
	s_barrier
	buffer_gl0_inv
	s_clause 0x3
	flat_load_b32 v4, v[68:69]
	flat_load_b32 v18, v[70:71]
	;; [unrolled: 1-line block ×4, first 2 shown]
	v_mov_b32_e32 v23, v5
	v_cmp_lt_u32_e64 s16, v10, v11
	s_waitcnt vmcnt(0) lgkmcnt(0)
	s_waitcnt_vscnt null, 0x0
                                        ; implicit-def: $vgpr118
                                        ; implicit-def: $vgpr117
                                        ; implicit-def: $vgpr116
                                        ; implicit-def: $vgpr119
                                        ; implicit-def: $vgpr24_vgpr25
	s_waitcnt vmcnt(3) lgkmcnt(3)
	v_add_nc_u32_e32 v4, v4, v84
	s_waitcnt vmcnt(2) lgkmcnt(2)
	v_add3_u32 v18, v86, v85, v18
	s_waitcnt vmcnt(1) lgkmcnt(1)
	v_add3_u32 v20, v96, v87, v20
	;; [unrolled: 2-line block ×3, first 2 shown]
	v_lshlrev_b64 v[86:87], 2, v[4:5]
	v_lshlrev_b64 v[82:83], 2, v[18:19]
	;; [unrolled: 1-line block ×3, first 2 shown]
	s_delay_alu instid0(VALU_DEP_4) | instskip(NEXT) | instid1(VALU_DEP_4)
	v_lshlrev_b64 v[68:69], 2, v[22:23]
                                        ; implicit-def: $vgpr18_vgpr19
                                        ; implicit-def: $vgpr20_vgpr21
                                        ; implicit-def: $vgpr22_vgpr23
	v_add_co_u32 v98, s17, v12, v86
	s_delay_alu instid0(VALU_DEP_1) | instskip(SKIP_1) | instid1(VALU_DEP_1)
	v_add_co_ci_u32_e64 v99, s17, v13, v87, s17
	v_add_co_u32 v96, s17, v12, v82
	v_add_co_ci_u32_e64 v97, s17, v13, v83, s17
	v_add_co_u32 v84, s17, v12, v70
	s_delay_alu instid0(VALU_DEP_1) | instskip(SKIP_1) | instid1(VALU_DEP_1)
	v_add_co_ci_u32_e64 v85, s17, v13, v71, s17
	v_add_co_u32 v80, s17, v12, v68
	v_add_co_ci_u32_e64 v81, s17, v13, v69, s17
	s_and_saveexec_b32 s17, s16
	s_cbranch_execz .LBB1435_95
; %bb.111:                              ;   in Loop: Header=BB1435_96 Depth=1
	v_add_co_u32 v18, s16, v98, v86
	s_delay_alu instid0(VALU_DEP_1) | instskip(SKIP_1) | instid1(VALU_DEP_1)
	v_add_co_ci_u32_e64 v19, s16, v99, v87, s16
	v_add_co_u32 v20, s16, v96, v82
	v_add_co_ci_u32_e64 v21, s16, v97, v83, s16
	v_add_co_u32 v22, s16, v84, v70
	s_delay_alu instid0(VALU_DEP_1) | instskip(SKIP_1) | instid1(VALU_DEP_1)
	v_add_co_ci_u32_e64 v23, s16, v85, v71, s16
	v_add_co_u32 v24, s16, v80, v68
	v_add_co_ci_u32_e64 v25, s16, v81, v69, s16
	s_barrier
	buffer_gl0_inv
	s_clause 0x3
	flat_store_b32 v[98:99], v112
	flat_store_b32 v[96:97], v115
	;; [unrolled: 1-line block ×4, first 2 shown]
	s_waitcnt lgkmcnt(0)
	s_waitcnt_vscnt null, 0x0
	s_barrier
	buffer_gl0_inv
	s_clause 0x3
	flat_load_b32 v119, v[37:38]
	flat_load_b32 v116, v[37:38] offset:128
	flat_load_b32 v117, v[37:38] offset:256
	;; [unrolled: 1-line block ×3, first 2 shown]
	s_waitcnt vmcnt(0) lgkmcnt(0)
	s_barrier
	buffer_gl0_inv
	s_clause 0x3
	flat_store_b64 v[18:19], v[66:67]
	flat_store_b64 v[20:21], v[54:55]
	;; [unrolled: 1-line block ×4, first 2 shown]
	s_waitcnt lgkmcnt(0)
	s_waitcnt_vscnt null, 0x0
	s_barrier
	buffer_gl0_inv
	s_clause 0x3
	flat_load_b64 v[18:19], v[50:51]
	flat_load_b64 v[20:21], v[50:51] offset:256
	flat_load_b64 v[22:23], v[50:51] offset:512
	;; [unrolled: 1-line block ×3, first 2 shown]
	v_add_nc_u32_e32 v103, -8, v103
	s_xor_b32 s18, exec_lo, -1
	s_waitcnt vmcnt(0) lgkmcnt(0)
	s_barrier
	buffer_gl0_inv
	s_branch .LBB1435_95
.LBB1435_112:
	flat_load_b64 v[22:23], v[4:5]
	s_or_b32 exec_lo, exec_lo, s7
                                        ; implicit-def: $vgpr24_vgpr25
	s_and_saveexec_b32 s7, s0
	s_cbranch_execz .LBB1435_20
.LBB1435_113:
	flat_load_b64 v[24:25], v[4:5] offset:256
	s_or_b32 exec_lo, exec_lo, s7
                                        ; implicit-def: $vgpr84_vgpr85
	s_and_saveexec_b32 s0, s1
	s_cbranch_execz .LBB1435_21
.LBB1435_114:
	flat_load_b64 v[84:85], v[4:5] offset:512
	s_or_b32 exec_lo, exec_lo, s0
                                        ; implicit-def: $vgpr86_vgpr87
	s_and_saveexec_b32 s0, s2
	s_cbranch_execz .LBB1435_22
.LBB1435_115:
	flat_load_b64 v[86:87], v[4:5] offset:768
	s_or_b32 exec_lo, exec_lo, s0
                                        ; implicit-def: $vgpr96_vgpr97
	s_and_saveexec_b32 s0, s3
	s_cbranch_execz .LBB1435_23
.LBB1435_116:
	flat_load_b64 v[96:97], v[4:5] offset:1024
	s_or_b32 exec_lo, exec_lo, s0
                                        ; implicit-def: $vgpr98_vgpr99
	s_and_saveexec_b32 s0, s4
	s_cbranch_execz .LBB1435_24
.LBB1435_117:
	flat_load_b64 v[98:99], v[4:5] offset:1280
	s_or_b32 exec_lo, exec_lo, s0
                                        ; implicit-def: $vgpr100_vgpr101
	s_and_saveexec_b32 s0, s5
	s_cbranch_execz .LBB1435_25
.LBB1435_118:
	flat_load_b64 v[100:101], v[4:5] offset:1536
	s_or_b32 exec_lo, exec_lo, s0
                                        ; implicit-def: $vgpr102_vgpr103
	s_and_saveexec_b32 s0, s6
	s_cbranch_execnz .LBB1435_26
	s_branch .LBB1435_27
.LBB1435_119:
	flat_store_b64 v[0:1], v[20:21]
	s_or_b32 exec_lo, exec_lo, s7
	s_and_saveexec_b32 s7, s0
	s_cbranch_execz .LBB1435_71
.LBB1435_120:
	flat_store_b64 v[0:1], v[18:19] offset:2048
	s_or_b32 exec_lo, exec_lo, s7
	s_and_saveexec_b32 s0, s1
	s_cbranch_execz .LBB1435_72
.LBB1435_121:
	v_add_co_u32 v2, vcc_lo, 0x1000, v0
	v_add_co_ci_u32_e32 v3, vcc_lo, 0, v1, vcc_lo
	flat_store_b64 v[2:3], v[16:17]
	s_or_b32 exec_lo, exec_lo, s0
	s_and_saveexec_b32 s0, s2
	s_cbranch_execz .LBB1435_73
.LBB1435_122:
	v_add_co_u32 v2, vcc_lo, 0x1000, v0
	v_add_co_ci_u32_e32 v3, vcc_lo, 0, v1, vcc_lo
	flat_store_b64 v[2:3], v[14:15] offset:2048
	s_or_b32 exec_lo, exec_lo, s0
	s_and_saveexec_b32 s0, s3
	s_cbranch_execz .LBB1435_74
.LBB1435_123:
	v_add_co_u32 v2, vcc_lo, 0x2000, v0
	v_add_co_ci_u32_e32 v3, vcc_lo, 0, v1, vcc_lo
	flat_store_b64 v[2:3], v[12:13]
	s_or_b32 exec_lo, exec_lo, s0
	s_and_saveexec_b32 s0, s4
	s_cbranch_execz .LBB1435_75
.LBB1435_124:
	v_add_co_u32 v2, vcc_lo, 0x2000, v0
	v_add_co_ci_u32_e32 v3, vcc_lo, 0, v1, vcc_lo
	flat_store_b64 v[2:3], v[10:11] offset:2048
	s_or_b32 exec_lo, exec_lo, s0
	s_and_saveexec_b32 s0, s5
	s_cbranch_execz .LBB1435_76
.LBB1435_125:
	v_add_co_u32 v2, vcc_lo, 0x3000, v0
	v_add_co_ci_u32_e32 v3, vcc_lo, 0, v1, vcc_lo
	flat_store_b64 v[2:3], v[8:9]
	s_or_b32 exec_lo, exec_lo, s0
	s_and_saveexec_b32 s0, s6
	s_cbranch_execnz .LBB1435_77
	s_branch .LBB1435_78
.LBB1435_126:
	s_or_b32 exec_lo, exec_lo, s20
	v_add_co_u32 v4, vcc_lo, v98, v86
	v_add_co_ci_u32_e32 v5, vcc_lo, v99, v87, vcc_lo
	v_add_co_u32 v8, vcc_lo, v96, v82
	v_add_co_ci_u32_e32 v9, vcc_lo, v97, v83, vcc_lo
	v_add_co_u32 v10, vcc_lo, v84, v70
	s_barrier
	buffer_gl0_inv
	s_clause 0x3
	flat_store_b32 v[98:99], v112
	flat_store_b32 v[96:97], v115
	;; [unrolled: 1-line block ×4, first 2 shown]
	s_waitcnt lgkmcnt(0)
	s_waitcnt_vscnt null, 0x0
	s_barrier
	buffer_gl0_inv
	s_clause 0x3
	flat_load_b32 v17, v[35:36]
	flat_load_b32 v16, v[35:36] offset:1024
	flat_load_b32 v15, v[35:36] offset:2048
	;; [unrolled: 1-line block ×3, first 2 shown]
	s_waitcnt vmcnt(0) lgkmcnt(0)
	s_barrier
	buffer_gl0_inv
	flat_store_b64 v[4:5], v[66:67]
	v_lshlrev_b32_e32 v4, 3, v26
	v_add_co_ci_u32_e32 v11, vcc_lo, v85, v71, vcc_lo
	v_add_co_u32 v18, vcc_lo, v80, v68
	v_add_co_ci_u32_e32 v19, vcc_lo, v81, v69, vcc_lo
	s_delay_alu instid0(VALU_DEP_4)
	v_add_co_u32 v4, vcc_lo, v12, v4
	v_add_co_ci_u32_e32 v5, vcc_lo, 0, v13, vcc_lo
	s_clause 0x2
	flat_store_b64 v[8:9], v[54:55]
	flat_store_b64 v[10:11], v[52:53]
	;; [unrolled: 1-line block ×3, first 2 shown]
	v_add_co_u32 v18, vcc_lo, 0x1000, v4
	v_add_co_ci_u32_e32 v19, vcc_lo, 0, v5, vcc_lo
	s_waitcnt lgkmcnt(0)
	s_waitcnt_vscnt null, 0x0
	s_barrier
	buffer_gl0_inv
	s_clause 0x3
	flat_load_b64 v[12:13], v[4:5]
	flat_load_b64 v[10:11], v[4:5] offset:2048
	flat_load_b64 v[8:9], v[18:19]
	flat_load_b64 v[4:5], v[18:19] offset:2048
	v_mov_b32_e32 v28, 0
	v_add_co_u32 v2, vcc_lo, v2, v29
	v_add_co_ci_u32_e32 v3, vcc_lo, v3, v30, vcc_lo
	s_delay_alu instid0(VALU_DEP_3)
	v_lshlrev_b64 v[18:19], 2, v[27:28]
	s_waitcnt vmcnt(0) lgkmcnt(0)
	s_barrier
	buffer_gl0_inv
	v_add_co_u32 v2, vcc_lo, v2, v18
	v_add_co_ci_u32_e32 v3, vcc_lo, v3, v19, vcc_lo
	v_cmp_lt_u32_e32 vcc_lo, v27, v39
	s_and_saveexec_b32 s1, vcc_lo
	s_cbranch_execz .LBB1435_128
; %bb.127:
	v_cmp_lt_i32_e64 s0, -1, v17
	s_delay_alu instid0(VALU_DEP_1) | instskip(NEXT) | instid1(VALU_DEP_1)
	v_cndmask_b32_e64 v18, 0x80000000, -1, s0
	v_xor_b32_e32 v17, v18, v17
	flat_store_b32 v[2:3], v17
.LBB1435_128:
	s_or_b32 exec_lo, exec_lo, s1
	v_add_nc_u32_e32 v17, 0x100, v27
	s_delay_alu instid0(VALU_DEP_1) | instskip(NEXT) | instid1(VALU_DEP_1)
	v_cmp_lt_u32_e64 s0, v17, v39
	s_and_saveexec_b32 s2, s0
	s_cbranch_execz .LBB1435_130
; %bb.129:
	v_cmp_lt_i32_e64 s1, -1, v16
	s_delay_alu instid0(VALU_DEP_1) | instskip(NEXT) | instid1(VALU_DEP_1)
	v_cndmask_b32_e64 v17, 0x80000000, -1, s1
	v_xor_b32_e32 v16, v17, v16
	flat_store_b32 v[2:3], v16 offset:1024
.LBB1435_130:
	s_or_b32 exec_lo, exec_lo, s2
	v_add_nc_u32_e32 v16, 0x200, v27
	s_delay_alu instid0(VALU_DEP_1) | instskip(NEXT) | instid1(VALU_DEP_1)
	v_cmp_lt_u32_e64 s1, v16, v39
	s_and_saveexec_b32 s3, s1
	s_cbranch_execz .LBB1435_132
; %bb.131:
	v_cmp_lt_i32_e64 s2, -1, v15
	s_delay_alu instid0(VALU_DEP_1) | instskip(NEXT) | instid1(VALU_DEP_1)
	v_cndmask_b32_e64 v16, 0x80000000, -1, s2
	v_xor_b32_e32 v15, v16, v15
	flat_store_b32 v[2:3], v15 offset:2048
.LBB1435_132:
	s_or_b32 exec_lo, exec_lo, s3
	v_add_nc_u32_e32 v15, 0x300, v27
	s_delay_alu instid0(VALU_DEP_1) | instskip(NEXT) | instid1(VALU_DEP_1)
	v_cmp_lt_u32_e64 s2, v15, v39
	s_and_saveexec_b32 s4, s2
	s_cbranch_execz .LBB1435_134
; %bb.133:
	v_cmp_lt_i32_e64 s3, -1, v14
	s_delay_alu instid0(VALU_DEP_1) | instskip(NEXT) | instid1(VALU_DEP_1)
	v_cndmask_b32_e64 v15, 0x80000000, -1, s3
	v_xor_b32_e32 v14, v15, v14
	flat_store_b32 v[2:3], v14 offset:3072
.LBB1435_134:
	s_or_b32 exec_lo, exec_lo, s4
	v_lshlrev_b64 v[2:3], 3, v[27:28]
	v_add_co_u32 v0, s3, v6, v0
	s_delay_alu instid0(VALU_DEP_1) | instskip(NEXT) | instid1(VALU_DEP_2)
	v_add_co_ci_u32_e64 v1, s3, v7, v1, s3
	v_add_co_u32 v0, s3, v0, v2
	s_delay_alu instid0(VALU_DEP_1)
	v_add_co_ci_u32_e64 v1, s3, v1, v3, s3
	s_and_saveexec_b32 s3, vcc_lo
	s_cbranch_execnz .LBB1435_167
; %bb.135:
	s_or_b32 exec_lo, exec_lo, s3
	s_and_saveexec_b32 s3, s0
	s_cbranch_execnz .LBB1435_168
.LBB1435_136:
	s_or_b32 exec_lo, exec_lo, s3
	s_and_saveexec_b32 s0, s1
	s_cbranch_execnz .LBB1435_169
.LBB1435_137:
	s_or_b32 exec_lo, exec_lo, s0
	s_and_saveexec_b32 s0, s2
	s_cbranch_execz .LBB1435_139
.LBB1435_138:
	v_add_co_u32 v0, vcc_lo, 0x1000, v0
	v_add_co_ci_u32_e32 v1, vcc_lo, 0, v1, vcc_lo
	flat_store_b64 v[0:1], v[4:5] offset:2048
.LBB1435_139:
	s_or_b32 exec_lo, exec_lo, s0
                                        ; implicit-def: $vgpr39
                                        ; implicit-def: $vgpr0
                                        ; implicit-def: $vgpr1
                                        ; implicit-def: $vgpr2
                                        ; implicit-def: $vgpr3
                                        ; implicit-def: $vgpr4
                                        ; implicit-def: $vgpr5
                                        ; implicit-def: $vgpr6
                                        ; implicit-def: $vgpr7
                                        ; implicit-def: $vgpr8
                                        ; implicit-def: $vgpr10
                                        ; implicit-def: $vgpr11
                                        ; implicit-def: $vgpr12
                                        ; implicit-def: $vgpr13
                                        ; implicit-def: $vgpr14
                                        ; implicit-def: $vgpr15
                                        ; implicit-def: $vgpr26
                                        ; implicit-def: $vgpr37
.LBB1435_140:
	s_and_not1_saveexec_b32 s0, s19
	s_cbranch_execz .LBB1435_199
; %bb.141:
	s_load_b64 s[0:1], s[8:9], 0x0
	v_mov_b32_e32 v9, 0
	s_delay_alu instid0(VALU_DEP_1) | instskip(SKIP_3) | instid1(SALU_CYCLE_1)
	v_lshlrev_b64 v[29:30], 2, v[8:9]
	s_waitcnt lgkmcnt(0)
	s_cmp_lt_u32 s13, s1
	s_cselect_b32 s1, 14, 20
	s_add_u32 s2, s8, s1
	s_addc_u32 s3, s9, 0
	s_cmp_lt_u32 s12, s0
	global_load_u16 v16, v9, s[2:3]
	s_cselect_b32 s0, 12, 18
	s_delay_alu instid0(SALU_CYCLE_1)
	s_add_u32 s0, s8, s0
	s_addc_u32 s1, s9, 0
	global_load_u16 v17, v9, s[0:1]
	s_mov_b32 s0, exec_lo
	s_waitcnt vmcnt(1)
	v_mad_u32_u24 v14, v15, v16, v14
	s_waitcnt vmcnt(0)
	s_delay_alu instid0(VALU_DEP_1)
	v_mad_u64_u32 v[27:28], null, v14, v17, v[26:27]
	v_cmpx_lt_u32_e32 0x100, v39
	s_xor_b32 s15, exec_lo, s0
	s_cbranch_execz .LBB1435_179
; %bb.142:
	s_delay_alu instid0(VALU_DEP_2) | instskip(SKIP_1) | instid1(SALU_CYCLE_1)
	v_dual_mov_b32 v17, v9 :: v_dual_lshlrev_b32 v14, 1, v27
	s_brev_b32 s0, -2
	s_mov_b32 s1, s0
	s_delay_alu instid0(VALU_DEP_1) | instskip(SKIP_3) | instid1(VALU_DEP_4)
	v_and_b32_e32 v16, 0xffffffc0, v14
	v_lshlrev_b32_e32 v15, 2, v37
	v_add_co_u32 v14, vcc_lo, v0, v29
	v_add_co_ci_u32_e32 v18, vcc_lo, v1, v30, vcc_lo
	v_lshlrev_b64 v[0:1], 2, v[16:17]
	s_delay_alu instid0(VALU_DEP_3) | instskip(NEXT) | instid1(VALU_DEP_3)
	v_add_co_u32 v14, vcc_lo, v14, v15
	v_add_co_ci_u32_e32 v15, vcc_lo, 0, v18, vcc_lo
	s_delay_alu instid0(VALU_DEP_2) | instskip(NEXT) | instid1(VALU_DEP_2)
	v_add_co_u32 v0, vcc_lo, v14, v0
	v_add_co_ci_u32_e32 v1, vcc_lo, v15, v1, vcc_lo
	v_dual_mov_b32 v15, s1 :: v_dual_mov_b32 v14, s0
	v_or_b32_e32 v18, v37, v16
	s_delay_alu instid0(VALU_DEP_1)
	v_cmp_lt_u32_e32 vcc_lo, v18, v39
	s_and_saveexec_b32 s0, vcc_lo
	s_cbranch_execz .LBB1435_144
; %bb.143:
	flat_load_b32 v14, v[0:1]
	v_bfrev_b32_e32 v15, -2
.LBB1435_144:
	s_or_b32 exec_lo, exec_lo, s0
	v_or_b32_e32 v18, 32, v18
	s_delay_alu instid0(VALU_DEP_1) | instskip(NEXT) | instid1(VALU_DEP_1)
	v_cmp_lt_u32_e64 s0, v18, v39
	s_and_saveexec_b32 s1, s0
	s_cbranch_execz .LBB1435_146
; %bb.145:
	flat_load_b32 v15, v[0:1] offset:128
.LBB1435_146:
	s_or_b32 exec_lo, exec_lo, s1
	v_lshlrev_b64 v[0:1], 3, v[8:9]
	v_lshlrev_b32_e32 v8, 3, v37
	s_delay_alu instid0(VALU_DEP_2) | instskip(NEXT) | instid1(VALU_DEP_1)
	v_add_co_u32 v9, s1, v4, v0
	v_add_co_ci_u32_e64 v18, s1, v5, v1, s1
	v_lshlrev_b64 v[4:5], 3, v[16:17]
	s_delay_alu instid0(VALU_DEP_3) | instskip(NEXT) | instid1(VALU_DEP_1)
	v_add_co_u32 v8, s1, v9, v8
	v_add_co_ci_u32_e64 v9, s1, 0, v18, s1
                                        ; implicit-def: $vgpr18_vgpr19
	s_delay_alu instid0(VALU_DEP_2) | instskip(NEXT) | instid1(VALU_DEP_1)
	v_add_co_u32 v4, s1, v8, v4
	v_add_co_ci_u32_e64 v5, s1, v9, v5, s1
	s_and_saveexec_b32 s1, vcc_lo
	s_cbranch_execz .LBB1435_148
; %bb.147:
	flat_load_b64 v[18:19], v[4:5]
.LBB1435_148:
	s_or_b32 exec_lo, exec_lo, s1
                                        ; implicit-def: $vgpr20_vgpr21
	s_and_saveexec_b32 s1, s0
	s_cbranch_execz .LBB1435_150
; %bb.149:
	flat_load_b64 v[20:21], v[4:5] offset:256
.LBB1435_150:
	s_or_b32 exec_lo, exec_lo, s1
	s_waitcnt vmcnt(0) lgkmcnt(0)
	v_cmp_lt_i32_e32 vcc_lo, -1, v14
	s_mov_b32 s16, 0
	s_getpc_b64 s[0:1]
	s_add_u32 s0, s0, _ZN7rocprim17ROCPRIM_400000_NS16block_radix_sortIfLj256ELj2ElLj1ELj1ELj8ELNS0_26block_radix_rank_algorithmE2ELNS0_18block_padding_hintE2ELNS0_4arch9wavefront6targetE0EE19radix_bits_per_passE@rel32@lo+4
	s_addc_u32 s1, s1, _ZN7rocprim17ROCPRIM_400000_NS16block_radix_sortIfLj256ELj2ElLj1ELj1ELj8ELNS0_26block_radix_rank_algorithmE2ELNS0_18block_padding_hintE2ELNS0_4arch9wavefront6targetE0EE19radix_bits_per_passE@rel32@hi+12
	s_mov_b32 s17, s16
	s_mov_b32 s18, s16
	v_cndmask_b32_e64 v4, -1, 0x80000000, vcc_lo
	v_cmp_lt_i32_e32 vcc_lo, -1, v15
	s_mov_b32 s19, s16
	v_add_nc_u32_e32 v16, -1, v37
	s_load_b32 s20, s[0:1], 0x0
	v_xor_b32_e32 v83, v4, v14
	v_cndmask_b32_e64 v5, -1, 0x80000000, vcc_lo
	v_lshlrev_b32_e32 v4, 5, v26
	v_add_co_u32 v28, vcc_lo, v12, 32
	v_add_co_ci_u32_e32 v68, vcc_lo, 0, v13, vcc_lo
	s_delay_alu instid0(VALU_DEP_4)
	v_xor_b32_e32 v82, v5, v15
	v_mov_b32_e32 v5, 0
	v_and_b32_e32 v15, 0x3e0, v26
	v_add_co_u32 v8, vcc_lo, v12, v4
	v_add_co_ci_u32_e32 v9, vcc_lo, 0, v13, vcc_lo
	v_add_co_u32 v31, vcc_lo, v28, v4
	s_delay_alu instid0(VALU_DEP_4)
	v_min_u32_e32 v4, 0xe0, v15
	v_and_b32_e32 v15, 16, v37
	v_and_b32_e32 v14, 15, v37
	v_cmp_gt_i32_e64 s4, 0, v16
	v_add_co_ci_u32_e32 v32, vcc_lo, 0, v68, vcc_lo
	v_or_b32_e32 v4, 31, v4
	v_cmp_eq_u32_e64 s3, 0, v15
	v_lshrrev_b32_e32 v15, 5, v26
	v_cmp_eq_u32_e32 vcc_lo, 0, v14
	v_cmp_lt_u32_e64 s0, 1, v14
	v_cmp_lt_u32_e64 s1, 3, v14
	;; [unrolled: 1-line block ×3, first 2 shown]
	v_cndmask_b32_e64 v14, v16, v37, s4
	v_lshlrev_b32_e32 v16, 1, v26
	v_cmp_eq_u32_e64 s4, v4, v26
	v_lshlrev_b32_e32 v4, 2, v15
	v_cmp_eq_u32_e64 s7, 0, v37
	v_lshlrev_b32_e32 v70, 2, v14
	v_and_or_b32 v16, 0x7c0, v16, v37
	v_lshlrev_b32_e32 v14, 2, v26
	v_add_co_u32 v35, s9, v12, v4
	v_add_nc_u32_e32 v4, -1, v15
	s_delay_alu instid0(VALU_DEP_4) | instskip(SKIP_2) | instid1(VALU_DEP_4)
	v_lshlrev_b32_e32 v16, 2, v16
	v_add_co_ci_u32_e64 v36, s9, 0, v13, s9
	v_add_co_u32 v33, s9, v12, v14
	v_lshlrev_b64 v[14:15], 2, v[4:5]
	v_and_b32_e32 v17, 7, v37
	v_add_co_u32 v37, s12, v12, v16
	s_delay_alu instid0(VALU_DEP_1) | instskip(NEXT) | instid1(VALU_DEP_4)
	v_add_co_ci_u32_e64 v38, s12, 0, v13, s12
	v_add_co_u32 v48, s12, v12, v14
	s_delay_alu instid0(VALU_DEP_1)
	v_add_co_ci_u32_e64 v49, s12, v13, v15, s12
	v_add_co_ci_u32_e64 v34, s9, 0, v13, s9
	v_add_co_u32 v50, s12, v37, v16
	v_cmp_eq_u32_e64 s9, 0, v17
	v_cmp_lt_u32_e64 s10, 1, v17
	v_cmp_lt_u32_e64 s11, 3, v17
	v_dual_mov_b32 v14, s16 :: v_dual_mov_b32 v15, s17
	v_lshrrev_b32_e32 v69, 5, v27
	v_cmp_gt_u32_e64 s5, 8, v26
	v_cmp_lt_u32_e64 s6, 31, v26
	v_cmp_eq_u32_e64 s8, 0, v26
	v_add_co_ci_u32_e64 v51, s12, 0, v38, s12
	v_sub_nc_u32_e32 v71, v11, v10
	v_dual_mov_b32 v16, s18 :: v_dual_mov_b32 v17, s19
	s_waitcnt lgkmcnt(0)
	s_waitcnt_vscnt null, 0x0
	s_barrier
	buffer_gl0_inv
	s_branch .LBB1435_152
.LBB1435_151:                           ;   in Loop: Header=BB1435_152 Depth=1
	s_or_b32 exec_lo, exec_lo, s13
	s_delay_alu instid0(SALU_CYCLE_1) | instskip(NEXT) | instid1(SALU_CYCLE_1)
	s_and_b32 s12, exec_lo, s14
	s_or_b32 s16, s12, s16
	s_delay_alu instid0(SALU_CYCLE_1)
	s_and_not1_b32 exec_lo, exec_lo, s16
	s_cbranch_execz .LBB1435_170
.LBB1435_152:                           ; =>This Inner Loop Header: Depth=1
	v_mov_b32_e32 v80, v83
	v_min_u32_e32 v4, s20, v71
	s_clause 0x1
	flat_store_b128 v[8:9], v[14:17] offset:32
	flat_store_b128 v[31:32], v[14:17] offset:16
	s_waitcnt lgkmcnt(0)
	s_waitcnt_vscnt null, 0x0
	s_barrier
	v_cmp_ne_u32_e64 s12, 0x7fffffff, v80
	v_lshlrev_b32_e64 v4, v4, -1
	buffer_gl0_inv
	; wave barrier
	v_cndmask_b32_e64 v23, 0x80000000, v80, s12
	v_not_b32_e32 v22, v4
	v_mov_b32_e32 v81, v82
	s_delay_alu instid0(VALU_DEP_3) | instskip(NEXT) | instid1(VALU_DEP_1)
	v_lshrrev_b32_e32 v4, v10, v23
	v_and_b32_e32 v4, v4, v22
	s_delay_alu instid0(VALU_DEP_1)
	v_and_b32_e32 v23, 1, v4
	v_lshlrev_b32_e32 v24, 30, v4
	v_lshlrev_b32_e32 v25, 29, v4
	;; [unrolled: 1-line block ×4, first 2 shown]
	v_add_co_u32 v23, s12, v23, -1
	s_delay_alu instid0(VALU_DEP_1)
	v_cndmask_b32_e64 v53, 0, 1, s12
	v_not_b32_e32 v65, v24
	v_cmp_gt_i32_e64 s13, 0, v24
	v_not_b32_e32 v24, v25
	v_lshlrev_b32_e32 v55, 26, v4
	v_cmp_ne_u32_e64 s12, 0, v53
	v_ashrrev_i32_e32 v65, 31, v65
	v_lshlrev_b32_e32 v64, 25, v4
	v_ashrrev_i32_e32 v24, 31, v24
	v_lshlrev_b32_e32 v53, 24, v4
	v_xor_b32_e32 v23, s12, v23
	v_cmp_gt_i32_e64 s12, 0, v25
	v_not_b32_e32 v25, v52
	v_xor_b32_e32 v65, s13, v65
	v_cmp_gt_i32_e64 s13, 0, v52
	v_and_b32_e32 v23, exec_lo, v23
	v_not_b32_e32 v52, v54
	v_ashrrev_i32_e32 v25, 31, v25
	v_xor_b32_e32 v24, s12, v24
	v_cmp_gt_i32_e64 s12, 0, v54
	v_and_b32_e32 v23, v23, v65
	v_not_b32_e32 v54, v55
	v_ashrrev_i32_e32 v52, 31, v52
	v_xor_b32_e32 v25, s13, v25
	v_cmp_gt_i32_e64 s13, 0, v55
	v_and_b32_e32 v23, v23, v24
	;; [unrolled: 5-line block ×4, first 2 shown]
	v_ashrrev_i32_e32 v25, 31, v25
	v_xor_b32_e32 v24, s12, v24
	v_mov_b32_e32 v53, v21
	v_lshl_add_u32 v4, v4, 3, v69
	v_and_b32_e32 v23, v23, v54
	v_xor_b32_e32 v25, s13, v25
	v_dual_mov_b32 v52, v20 :: v_dual_mov_b32 v55, v19
	s_delay_alu instid0(VALU_DEP_3) | instskip(SKIP_1) | instid1(VALU_DEP_2)
	v_dual_mov_b32 v54, v18 :: v_dual_and_b32 v23, v23, v24
	v_lshlrev_b64 v[18:19], 2, v[4:5]
	v_and_b32_e32 v20, v23, v25
	s_delay_alu instid0(VALU_DEP_2) | instskip(NEXT) | instid1(VALU_DEP_1)
	v_add_co_u32 v64, s14, v28, v18
	v_add_co_ci_u32_e64 v65, s14, v68, v19, s14
	s_delay_alu instid0(VALU_DEP_3) | instskip(SKIP_1) | instid1(VALU_DEP_2)
	v_mbcnt_lo_u32_b32 v82, v20, 0
	v_cmp_ne_u32_e64 s12, 0, v20
	v_cmp_eq_u32_e64 s13, 0, v82
	s_delay_alu instid0(VALU_DEP_1) | instskip(NEXT) | instid1(SALU_CYCLE_1)
	s_and_b32 s13, s12, s13
	s_and_saveexec_b32 s12, s13
	s_cbranch_execz .LBB1435_154
; %bb.153:                              ;   in Loop: Header=BB1435_152 Depth=1
	v_bcnt_u32_b32 v4, v20, 0
	flat_store_b32 v[64:65], v4
.LBB1435_154:                           ;   in Loop: Header=BB1435_152 Depth=1
	s_or_b32 exec_lo, exec_lo, s12
	v_cmp_ne_u32_e64 s12, 0x7fffffff, v81
	; wave barrier
	s_delay_alu instid0(VALU_DEP_1) | instskip(NEXT) | instid1(VALU_DEP_1)
	v_cndmask_b32_e64 v4, 0x80000000, v81, s12
	v_lshrrev_b32_e32 v4, v10, v4
	s_delay_alu instid0(VALU_DEP_1) | instskip(NEXT) | instid1(VALU_DEP_1)
	v_and_b32_e32 v20, v4, v22
	v_lshl_add_u32 v4, v20, 3, v69
	v_lshlrev_b32_e32 v21, 29, v20
	v_lshlrev_b32_e32 v22, 28, v20
	s_delay_alu instid0(VALU_DEP_3) | instskip(SKIP_1) | instid1(VALU_DEP_2)
	v_lshlrev_b64 v[18:19], 2, v[4:5]
	v_and_b32_e32 v4, 1, v20
	v_add_co_u32 v66, s12, v28, v18
	s_delay_alu instid0(VALU_DEP_1) | instskip(NEXT) | instid1(VALU_DEP_3)
	v_add_co_ci_u32_e64 v67, s12, v68, v19, s12
	v_add_co_u32 v4, s12, v4, -1
	s_delay_alu instid0(VALU_DEP_1) | instskip(SKIP_3) | instid1(VALU_DEP_2)
	v_cndmask_b32_e64 v18, 0, 1, s12
	flat_load_b32 v83, v[66:67]
	v_lshlrev_b32_e32 v19, 30, v20
	; wave barrier
	v_cmp_ne_u32_e64 s12, 0, v18
	v_not_b32_e32 v18, v19
	s_delay_alu instid0(VALU_DEP_2) | instskip(SKIP_1) | instid1(VALU_DEP_3)
	v_xor_b32_e32 v4, s12, v4
	v_cmp_gt_i32_e64 s12, 0, v19
	v_ashrrev_i32_e32 v18, 31, v18
	v_not_b32_e32 v19, v21
	s_delay_alu instid0(VALU_DEP_4) | instskip(NEXT) | instid1(VALU_DEP_3)
	v_and_b32_e32 v4, exec_lo, v4
	v_xor_b32_e32 v18, s12, v18
	v_cmp_gt_i32_e64 s12, 0, v21
	s_delay_alu instid0(VALU_DEP_4) | instskip(SKIP_1) | instid1(VALU_DEP_4)
	v_ashrrev_i32_e32 v19, 31, v19
	v_not_b32_e32 v21, v22
	v_and_b32_e32 v4, v4, v18
	v_lshlrev_b32_e32 v18, 27, v20
	s_delay_alu instid0(VALU_DEP_4) | instskip(SKIP_2) | instid1(VALU_DEP_4)
	v_xor_b32_e32 v19, s12, v19
	v_cmp_gt_i32_e64 s12, 0, v22
	v_ashrrev_i32_e32 v21, 31, v21
	v_not_b32_e32 v22, v18
	s_delay_alu instid0(VALU_DEP_4) | instskip(SKIP_1) | instid1(VALU_DEP_4)
	v_and_b32_e32 v4, v4, v19
	v_lshlrev_b32_e32 v19, 26, v20
	v_xor_b32_e32 v21, s12, v21
	v_cmp_gt_i32_e64 s12, 0, v18
	v_ashrrev_i32_e32 v18, 31, v22
	s_delay_alu instid0(VALU_DEP_4) | instskip(NEXT) | instid1(VALU_DEP_4)
	v_not_b32_e32 v22, v19
	v_and_b32_e32 v4, v4, v21
	v_lshlrev_b32_e32 v21, 25, v20
	s_delay_alu instid0(VALU_DEP_4) | instskip(SKIP_2) | instid1(VALU_DEP_4)
	v_xor_b32_e32 v18, s12, v18
	v_cmp_gt_i32_e64 s12, 0, v19
	v_ashrrev_i32_e32 v19, 31, v22
	v_not_b32_e32 v22, v21
	s_delay_alu instid0(VALU_DEP_4) | instskip(SKIP_1) | instid1(VALU_DEP_4)
	v_and_b32_e32 v4, v4, v18
	v_lshlrev_b32_e32 v18, 24, v20
	v_xor_b32_e32 v19, s12, v19
	v_cmp_gt_i32_e64 s12, 0, v21
	v_ashrrev_i32_e32 v20, 31, v22
	s_delay_alu instid0(VALU_DEP_4) | instskip(NEXT) | instid1(VALU_DEP_4)
	v_not_b32_e32 v21, v18
	v_and_b32_e32 v4, v4, v19
	s_delay_alu instid0(VALU_DEP_3) | instskip(SKIP_1) | instid1(VALU_DEP_4)
	v_xor_b32_e32 v19, s12, v20
	v_cmp_gt_i32_e64 s12, 0, v18
	v_ashrrev_i32_e32 v18, 31, v21
	s_delay_alu instid0(VALU_DEP_3) | instskip(NEXT) | instid1(VALU_DEP_2)
	v_and_b32_e32 v4, v4, v19
	v_xor_b32_e32 v18, s12, v18
	s_delay_alu instid0(VALU_DEP_1) | instskip(NEXT) | instid1(VALU_DEP_1)
	v_and_b32_e32 v4, v4, v18
	v_mbcnt_lo_u32_b32 v84, v4, 0
	v_cmp_ne_u32_e64 s13, 0, v4
	s_delay_alu instid0(VALU_DEP_2) | instskip(NEXT) | instid1(VALU_DEP_1)
	v_cmp_eq_u32_e64 s12, 0, v84
	s_and_b32 s13, s13, s12
	s_delay_alu instid0(SALU_CYCLE_1)
	s_and_saveexec_b32 s12, s13
	s_cbranch_execz .LBB1435_156
; %bb.155:                              ;   in Loop: Header=BB1435_152 Depth=1
	s_waitcnt vmcnt(0) lgkmcnt(0)
	v_bcnt_u32_b32 v4, v4, v83
	flat_store_b32 v[66:67], v4
.LBB1435_156:                           ;   in Loop: Header=BB1435_152 Depth=1
	s_or_b32 exec_lo, exec_lo, s12
	; wave barrier
	s_waitcnt vmcnt(0) lgkmcnt(0)
	s_waitcnt_vscnt null, 0x0
	s_barrier
	buffer_gl0_inv
	s_clause 0x1
	flat_load_b128 v[22:25], v[8:9] offset:32
	flat_load_b128 v[18:21], v[31:32] offset:16
	s_waitcnt vmcnt(1) lgkmcnt(1)
	v_add_nc_u32_e32 v4, v23, v22
	s_delay_alu instid0(VALU_DEP_1) | instskip(SKIP_1) | instid1(VALU_DEP_1)
	v_add3_u32 v4, v4, v24, v25
	s_waitcnt vmcnt(0) lgkmcnt(0)
	v_add3_u32 v4, v4, v18, v19
	s_delay_alu instid0(VALU_DEP_1) | instskip(NEXT) | instid1(VALU_DEP_1)
	v_add3_u32 v4, v4, v20, v21
	v_mov_b32_dpp v21, v4 row_shr:1 row_mask:0xf bank_mask:0xf
	s_delay_alu instid0(VALU_DEP_1) | instskip(NEXT) | instid1(VALU_DEP_1)
	v_cndmask_b32_e64 v21, v21, 0, vcc_lo
	v_add_nc_u32_e32 v4, v21, v4
	s_delay_alu instid0(VALU_DEP_1) | instskip(NEXT) | instid1(VALU_DEP_1)
	v_mov_b32_dpp v21, v4 row_shr:2 row_mask:0xf bank_mask:0xf
	v_cndmask_b32_e64 v21, 0, v21, s0
	s_delay_alu instid0(VALU_DEP_1) | instskip(NEXT) | instid1(VALU_DEP_1)
	v_add_nc_u32_e32 v4, v4, v21
	v_mov_b32_dpp v21, v4 row_shr:4 row_mask:0xf bank_mask:0xf
	s_delay_alu instid0(VALU_DEP_1) | instskip(NEXT) | instid1(VALU_DEP_1)
	v_cndmask_b32_e64 v21, 0, v21, s1
	v_add_nc_u32_e32 v4, v4, v21
	s_delay_alu instid0(VALU_DEP_1) | instskip(NEXT) | instid1(VALU_DEP_1)
	v_mov_b32_dpp v21, v4 row_shr:8 row_mask:0xf bank_mask:0xf
	v_cndmask_b32_e64 v21, 0, v21, s2
	s_delay_alu instid0(VALU_DEP_1) | instskip(SKIP_3) | instid1(VALU_DEP_1)
	v_add_nc_u32_e32 v4, v4, v21
	ds_swizzle_b32 v21, v4 offset:swizzle(BROADCAST,32,15)
	s_waitcnt lgkmcnt(0)
	v_cndmask_b32_e64 v21, v21, 0, s3
	v_add_nc_u32_e32 v4, v4, v21
	s_and_saveexec_b32 s12, s4
	s_cbranch_execz .LBB1435_158
; %bb.157:                              ;   in Loop: Header=BB1435_152 Depth=1
	flat_store_b32 v[35:36], v4
.LBB1435_158:                           ;   in Loop: Header=BB1435_152 Depth=1
	s_or_b32 exec_lo, exec_lo, s12
	s_waitcnt lgkmcnt(0)
	s_waitcnt_vscnt null, 0x0
	s_barrier
	buffer_gl0_inv
	s_and_saveexec_b32 s12, s5
	s_cbranch_execz .LBB1435_160
; %bb.159:                              ;   in Loop: Header=BB1435_152 Depth=1
	flat_load_b32 v21, v[33:34]
	s_waitcnt vmcnt(0) lgkmcnt(0)
	v_mov_b32_dpp v85, v21 row_shr:1 row_mask:0xf bank_mask:0xf
	s_delay_alu instid0(VALU_DEP_1) | instskip(NEXT) | instid1(VALU_DEP_1)
	v_cndmask_b32_e64 v85, v85, 0, s9
	v_add_nc_u32_e32 v21, v85, v21
	s_delay_alu instid0(VALU_DEP_1) | instskip(NEXT) | instid1(VALU_DEP_1)
	v_mov_b32_dpp v85, v21 row_shr:2 row_mask:0xf bank_mask:0xf
	v_cndmask_b32_e64 v85, 0, v85, s10
	s_delay_alu instid0(VALU_DEP_1) | instskip(NEXT) | instid1(VALU_DEP_1)
	v_add_nc_u32_e32 v21, v21, v85
	v_mov_b32_dpp v85, v21 row_shr:4 row_mask:0xf bank_mask:0xf
	s_delay_alu instid0(VALU_DEP_1) | instskip(NEXT) | instid1(VALU_DEP_1)
	v_cndmask_b32_e64 v85, 0, v85, s11
	v_add_nc_u32_e32 v21, v21, v85
	flat_store_b32 v[33:34], v21
.LBB1435_160:                           ;   in Loop: Header=BB1435_152 Depth=1
	s_or_b32 exec_lo, exec_lo, s12
	v_mov_b32_e32 v21, 0
	s_waitcnt lgkmcnt(0)
	s_waitcnt_vscnt null, 0x0
	s_barrier
	buffer_gl0_inv
	s_and_saveexec_b32 s12, s6
	s_cbranch_execz .LBB1435_162
; %bb.161:                              ;   in Loop: Header=BB1435_152 Depth=1
	flat_load_b32 v21, v[48:49]
.LBB1435_162:                           ;   in Loop: Header=BB1435_152 Depth=1
	s_or_b32 exec_lo, exec_lo, s12
	s_waitcnt vmcnt(0) lgkmcnt(0)
	v_add_nc_u32_e32 v4, v21, v4
	v_add_nc_u32_e32 v10, 8, v10
	s_mov_b32 s14, -1
	ds_bpermute_b32 v4, v70, v4
	s_waitcnt lgkmcnt(0)
	v_cndmask_b32_e64 v4, v4, v21, s7
	s_delay_alu instid0(VALU_DEP_1) | instskip(NEXT) | instid1(VALU_DEP_1)
	v_cndmask_b32_e64 v21, v4, 0, s8
	v_add_nc_u32_e32 v22, v21, v22
	s_delay_alu instid0(VALU_DEP_1) | instskip(NEXT) | instid1(VALU_DEP_1)
	v_add_nc_u32_e32 v23, v22, v23
	v_add_nc_u32_e32 v24, v23, v24
	s_delay_alu instid0(VALU_DEP_1) | instskip(NEXT) | instid1(VALU_DEP_1)
	v_add_nc_u32_e32 v96, v24, v25
	v_add_nc_u32_e32 v97, v96, v18
	s_delay_alu instid0(VALU_DEP_1) | instskip(SKIP_1) | instid1(VALU_DEP_2)
	v_add_nc_u32_e32 v98, v97, v19
	v_mov_b32_e32 v19, v5
	v_add_nc_u32_e32 v99, v98, v20
	s_clause 0x1
	flat_store_b128 v[8:9], v[21:24] offset:32
	flat_store_b128 v[31:32], v[96:99] offset:16
	s_waitcnt lgkmcnt(0)
	s_waitcnt_vscnt null, 0x0
	s_barrier
	buffer_gl0_inv
	s_clause 0x1
	flat_load_b32 v4, v[64:65]
	flat_load_b32 v18, v[66:67]
	s_waitcnt vmcnt(0) lgkmcnt(0)
	s_waitcnt_vscnt null, 0x0
                                        ; implicit-def: $vgpr20_vgpr21
	s_waitcnt vmcnt(1) lgkmcnt(1)
	v_add_nc_u32_e32 v4, v4, v82
	s_waitcnt vmcnt(0) lgkmcnt(0)
	v_add3_u32 v18, v84, v83, v18
                                        ; implicit-def: $vgpr82
                                        ; implicit-def: $vgpr83
	s_delay_alu instid0(VALU_DEP_2) | instskip(NEXT) | instid1(VALU_DEP_2)
	v_lshlrev_b64 v[64:65], 2, v[4:5]
	v_lshlrev_b64 v[22:23], 2, v[18:19]
                                        ; implicit-def: $vgpr18_vgpr19
	s_delay_alu instid0(VALU_DEP_2) | instskip(NEXT) | instid1(VALU_DEP_1)
	v_add_co_u32 v66, s13, v12, v64
	v_add_co_ci_u32_e64 v67, s13, v13, v65, s13
	s_delay_alu instid0(VALU_DEP_3) | instskip(NEXT) | instid1(VALU_DEP_1)
	v_add_co_u32 v24, s13, v12, v22
	v_add_co_ci_u32_e64 v25, s13, v13, v23, s13
	s_mov_b32 s13, exec_lo
	v_cmpx_lt_u32_e64 v10, v11
	s_cbranch_execz .LBB1435_151
; %bb.163:                              ;   in Loop: Header=BB1435_152 Depth=1
	v_add_co_u32 v18, s12, v66, v64
	s_delay_alu instid0(VALU_DEP_1) | instskip(SKIP_1) | instid1(VALU_DEP_1)
	v_add_co_ci_u32_e64 v19, s12, v67, v65, s12
	v_add_co_u32 v20, s12, v24, v22
	v_add_co_ci_u32_e64 v21, s12, v25, v23, s12
	s_barrier
	buffer_gl0_inv
	s_clause 0x1
	flat_store_b32 v[66:67], v80
	flat_store_b32 v[24:25], v81
	s_waitcnt lgkmcnt(0)
	s_waitcnt_vscnt null, 0x0
	s_barrier
	buffer_gl0_inv
	s_clause 0x1
	flat_load_b32 v83, v[37:38]
	flat_load_b32 v82, v[37:38] offset:128
	s_waitcnt vmcnt(0) lgkmcnt(0)
	s_barrier
	buffer_gl0_inv
	s_clause 0x1
	flat_store_b64 v[18:19], v[54:55]
	flat_store_b64 v[20:21], v[52:53]
	s_waitcnt lgkmcnt(0)
	s_waitcnt_vscnt null, 0x0
	s_barrier
	buffer_gl0_inv
	s_clause 0x1
	flat_load_b64 v[18:19], v[50:51]
	flat_load_b64 v[20:21], v[50:51] offset:256
	v_add_nc_u32_e32 v71, -8, v71
	s_xor_b32 s14, exec_lo, -1
	s_waitcnt vmcnt(0) lgkmcnt(0)
	s_barrier
	buffer_gl0_inv
	s_branch .LBB1435_151
.LBB1435_164:
	flat_load_b64 v[18:19], v[4:5]
	s_or_b32 exec_lo, exec_lo, s3
                                        ; implicit-def: $vgpr20_vgpr21
	s_and_saveexec_b32 s3, s0
	s_cbranch_execz .LBB1435_91
.LBB1435_165:
	flat_load_b64 v[20:21], v[4:5] offset:256
	s_or_b32 exec_lo, exec_lo, s3
                                        ; implicit-def: $vgpr22_vgpr23
	s_and_saveexec_b32 s0, s1
	s_cbranch_execz .LBB1435_92
.LBB1435_166:
	flat_load_b64 v[22:23], v[4:5] offset:512
	s_or_b32 exec_lo, exec_lo, s0
                                        ; implicit-def: $vgpr24_vgpr25
	s_and_saveexec_b32 s0, s2
	s_cbranch_execnz .LBB1435_93
	s_branch .LBB1435_94
.LBB1435_167:
	flat_store_b64 v[0:1], v[12:13]
	s_or_b32 exec_lo, exec_lo, s3
	s_and_saveexec_b32 s3, s0
	s_cbranch_execz .LBB1435_136
.LBB1435_168:
	flat_store_b64 v[0:1], v[10:11] offset:2048
	s_or_b32 exec_lo, exec_lo, s3
	s_and_saveexec_b32 s0, s1
	s_cbranch_execz .LBB1435_137
.LBB1435_169:
	v_add_co_u32 v2, vcc_lo, 0x1000, v0
	v_add_co_ci_u32_e32 v3, vcc_lo, 0, v1, vcc_lo
	flat_store_b64 v[2:3], v[8:9]
	s_or_b32 exec_lo, exec_lo, s0
	s_and_saveexec_b32 s0, s2
	s_cbranch_execnz .LBB1435_138
	s_branch .LBB1435_139
.LBB1435_170:
	s_or_b32 exec_lo, exec_lo, s16
	v_add_co_u32 v4, vcc_lo, v66, v64
	v_add_co_ci_u32_e32 v5, vcc_lo, v67, v65, vcc_lo
	v_lshlrev_b32_e32 v8, 3, v26
	s_barrier
	buffer_gl0_inv
	s_clause 0x1
	flat_store_b32 v[66:67], v80
	flat_store_b32 v[24:25], v81
	s_waitcnt lgkmcnt(0)
	s_waitcnt_vscnt null, 0x0
	s_barrier
	buffer_gl0_inv
	s_clause 0x1
	flat_load_b32 v11, v[33:34]
	flat_load_b32 v10, v[33:34] offset:1024
	s_waitcnt vmcnt(0) lgkmcnt(0)
	s_barrier
	buffer_gl0_inv
	flat_store_b64 v[4:5], v[54:55]
	v_add_co_u32 v4, vcc_lo, v24, v22
	v_add_co_ci_u32_e32 v5, vcc_lo, v25, v23, vcc_lo
	v_add_co_u32 v12, vcc_lo, v12, v8
	v_add_co_ci_u32_e32 v13, vcc_lo, 0, v13, vcc_lo
	flat_store_b64 v[4:5], v[52:53]
	s_waitcnt lgkmcnt(0)
	s_waitcnt_vscnt null, 0x0
	s_barrier
	buffer_gl0_inv
	s_clause 0x1
	flat_load_b64 v[8:9], v[12:13]
	flat_load_b64 v[4:5], v[12:13] offset:2048
	v_mov_b32_e32 v28, 0
	v_add_co_u32 v2, vcc_lo, v2, v29
	v_add_co_ci_u32_e32 v3, vcc_lo, v3, v30, vcc_lo
	s_delay_alu instid0(VALU_DEP_3)
	v_lshlrev_b64 v[12:13], 2, v[27:28]
	s_waitcnt vmcnt(0) lgkmcnt(0)
	s_barrier
	buffer_gl0_inv
	v_add_co_u32 v2, vcc_lo, v2, v12
	v_add_co_ci_u32_e32 v3, vcc_lo, v3, v13, vcc_lo
	v_cmp_lt_u32_e32 vcc_lo, v27, v39
	s_and_saveexec_b32 s1, vcc_lo
	s_cbranch_execz .LBB1435_172
; %bb.171:
	v_cmp_lt_i32_e64 s0, -1, v11
	s_delay_alu instid0(VALU_DEP_1) | instskip(NEXT) | instid1(VALU_DEP_1)
	v_cndmask_b32_e64 v12, 0x80000000, -1, s0
	v_xor_b32_e32 v11, v12, v11
	flat_store_b32 v[2:3], v11
.LBB1435_172:
	s_or_b32 exec_lo, exec_lo, s1
	v_add_nc_u32_e32 v11, 0x100, v27
	s_delay_alu instid0(VALU_DEP_1) | instskip(NEXT) | instid1(VALU_DEP_1)
	v_cmp_lt_u32_e64 s0, v11, v39
	s_and_saveexec_b32 s2, s0
	s_cbranch_execz .LBB1435_174
; %bb.173:
	v_cmp_lt_i32_e64 s1, -1, v10
	s_delay_alu instid0(VALU_DEP_1) | instskip(NEXT) | instid1(VALU_DEP_1)
	v_cndmask_b32_e64 v11, 0x80000000, -1, s1
	v_xor_b32_e32 v10, v11, v10
	flat_store_b32 v[2:3], v10 offset:1024
.LBB1435_174:
	s_or_b32 exec_lo, exec_lo, s2
	v_lshlrev_b64 v[2:3], 3, v[27:28]
	v_add_co_u32 v0, s1, v6, v0
	s_delay_alu instid0(VALU_DEP_1) | instskip(NEXT) | instid1(VALU_DEP_2)
	v_add_co_ci_u32_e64 v1, s1, v7, v1, s1
	v_add_co_u32 v0, s1, v0, v2
	s_delay_alu instid0(VALU_DEP_1)
	v_add_co_ci_u32_e64 v1, s1, v1, v3, s1
	s_and_saveexec_b32 s1, vcc_lo
	s_cbranch_execz .LBB1435_176
; %bb.175:
	flat_store_b64 v[0:1], v[8:9]
.LBB1435_176:
	s_or_b32 exec_lo, exec_lo, s1
	s_and_saveexec_b32 s1, s0
	s_cbranch_execz .LBB1435_178
; %bb.177:
	flat_store_b64 v[0:1], v[4:5] offset:2048
.LBB1435_178:
	s_or_b32 exec_lo, exec_lo, s1
                                        ; implicit-def: $vgpr27_vgpr28
                                        ; implicit-def: $vgpr8_vgpr9
                                        ; implicit-def: $vgpr29_vgpr30
                                        ; implicit-def: $vgpr39
                                        ; implicit-def: $vgpr0
                                        ; implicit-def: $vgpr1
                                        ; implicit-def: $vgpr2
                                        ; implicit-def: $vgpr3
                                        ; implicit-def: $vgpr4
                                        ; implicit-def: $vgpr5
                                        ; implicit-def: $vgpr6
                                        ; implicit-def: $vgpr7
                                        ; implicit-def: $vgpr10
                                        ; implicit-def: $vgpr11
                                        ; implicit-def: $vgpr12
                                        ; implicit-def: $vgpr13
                                        ; implicit-def: $vgpr26
                                        ; implicit-def: $vgpr37
.LBB1435_179:
	s_and_not1_saveexec_b32 s0, s15
	s_cbranch_execz .LBB1435_199
; %bb.180:
	s_delay_alu instid0(VALU_DEP_2) | instskip(SKIP_1) | instid1(VALU_DEP_2)
	v_and_b32_e32 v14, 0xffffffe0, v27
	v_bfrev_b32_e32 v16, -2
	v_or_b32_e32 v15, v37, v14
	s_delay_alu instid0(VALU_DEP_1)
	v_cmp_lt_u32_e32 vcc_lo, v15, v39
	s_and_saveexec_b32 s1, vcc_lo
	s_cbranch_execz .LBB1435_182
; %bb.181:
	v_dual_mov_b32 v15, 0 :: v_dual_lshlrev_b32 v16, 2, v37
	v_add_co_u32 v17, s0, v0, v29
	s_delay_alu instid0(VALU_DEP_1) | instskip(NEXT) | instid1(VALU_DEP_3)
	v_add_co_ci_u32_e64 v18, s0, v1, v30, s0
	v_lshlrev_b64 v[0:1], 2, v[14:15]
	s_delay_alu instid0(VALU_DEP_3) | instskip(NEXT) | instid1(VALU_DEP_1)
	v_add_co_u32 v15, s0, v17, v16
	v_add_co_ci_u32_e64 v16, s0, 0, v18, s0
	s_delay_alu instid0(VALU_DEP_2) | instskip(NEXT) | instid1(VALU_DEP_1)
	v_add_co_u32 v0, s0, v15, v0
	v_add_co_ci_u32_e64 v1, s0, v16, v1, s0
	flat_load_b32 v16, v[0:1]
.LBB1435_182:
	s_or_b32 exec_lo, exec_lo, s1
	v_lshlrev_b64 v[0:1], 3, v[8:9]
                                        ; implicit-def: $vgpr18_vgpr19
	s_and_saveexec_b32 s0, vcc_lo
	s_cbranch_execz .LBB1435_184
; %bb.183:
	v_dual_mov_b32 v15, 0 :: v_dual_lshlrev_b32 v8, 3, v37
	s_delay_alu instid0(VALU_DEP_2) | instskip(NEXT) | instid1(VALU_DEP_3)
	v_add_co_u32 v9, vcc_lo, v4, v0
	v_add_co_ci_u32_e32 v17, vcc_lo, v5, v1, vcc_lo
	s_delay_alu instid0(VALU_DEP_3) | instskip(NEXT) | instid1(VALU_DEP_3)
	v_lshlrev_b64 v[4:5], 3, v[14:15]
	v_add_co_u32 v8, vcc_lo, v9, v8
	s_delay_alu instid0(VALU_DEP_3) | instskip(NEXT) | instid1(VALU_DEP_2)
	v_add_co_ci_u32_e32 v9, vcc_lo, 0, v17, vcc_lo
	v_add_co_u32 v4, vcc_lo, v8, v4
	s_delay_alu instid0(VALU_DEP_2)
	v_add_co_ci_u32_e32 v5, vcc_lo, v9, v5, vcc_lo
	flat_load_b64 v[18:19], v[4:5]
.LBB1435_184:
	s_or_b32 exec_lo, exec_lo, s0
	s_waitcnt vmcnt(0) lgkmcnt(0)
	v_cmp_lt_i32_e32 vcc_lo, -1, v16
	v_dual_mov_b32 v5, 0 :: v_dual_lshlrev_b32 v14, 5, v26
	s_mov_b32 s16, 0
	v_add_nc_u32_e32 v17, -1, v37
	v_cndmask_b32_e64 v4, -1, 0x80000000, vcc_lo
	v_add_co_u32 v28, vcc_lo, v12, 32
	s_mov_b32 s17, s16
	s_mov_b32 s18, s16
	;; [unrolled: 1-line block ×3, first 2 shown]
	v_and_b32_e32 v15, 0x3e0, v26
	v_add_co_ci_u32_e32 v64, vcc_lo, 0, v13, vcc_lo
	v_add_co_u32 v8, vcc_lo, v12, v14
	v_add_co_ci_u32_e32 v9, vcc_lo, 0, v13, vcc_lo
	v_xor_b32_e32 v24, v4, v16
	v_and_b32_e32 v4, 15, v37
	v_add_co_u32 v31, vcc_lo, v28, v14
	v_min_u32_e32 v14, 0xe0, v15
	v_and_b32_e32 v16, 16, v37
	s_getpc_b64 s[0:1]
	s_add_u32 s0, s0, _ZN7rocprim17ROCPRIM_400000_NS16block_radix_sortIfLj256ELj1ElLj1ELj1ELj8ELNS0_26block_radix_rank_algorithmE2ELNS0_18block_padding_hintE2ELNS0_4arch9wavefront6targetE0EE19radix_bits_per_passE@rel32@lo+4
	s_addc_u32 s1, s1, _ZN7rocprim17ROCPRIM_400000_NS16block_radix_sortIfLj256ELj1ElLj1ELj1ELj8ELNS0_26block_radix_rank_algorithmE2ELNS0_18block_padding_hintE2ELNS0_4arch9wavefront6targetE0EE19radix_bits_per_passE@rel32@hi+12
	v_add_co_ci_u32_e32 v32, vcc_lo, 0, v64, vcc_lo
	s_load_b32 s15, s[0:1], 0x0
	v_cmp_eq_u32_e32 vcc_lo, 0, v4
	v_cmp_lt_u32_e64 s0, 1, v4
	v_cmp_lt_u32_e64 s1, 3, v4
	;; [unrolled: 1-line block ×3, first 2 shown]
	v_or_b32_e32 v4, 31, v14
	v_cmp_eq_u32_e64 s3, 0, v16
	v_cmp_gt_i32_e64 s4, 0, v17
	v_lshrrev_b32_e32 v16, 5, v26
	v_or_b32_e32 v15, v37, v15
	v_cmp_eq_u32_e64 s7, 0, v37
	v_lshrrev_b32_e32 v65, 5, v27
	v_cndmask_b32_e64 v14, v17, v37, s4
	v_cmp_eq_u32_e64 s4, v4, v26
	v_lshlrev_b32_e32 v4, 2, v16
	v_and_b32_e32 v17, 7, v37
	v_cmp_gt_u32_e64 s5, 8, v26
	v_lshlrev_b32_e32 v66, 2, v14
	v_lshlrev_b32_e32 v14, 2, v26
	v_add_co_u32 v33, s9, v12, v4
	v_add_nc_u32_e32 v4, -1, v16
	v_lshlrev_b32_e32 v16, 2, v15
	v_add_co_ci_u32_e64 v34, s9, 0, v13, s9
	v_add_co_u32 v35, s9, v12, v14
	s_delay_alu instid0(VALU_DEP_4) | instskip(NEXT) | instid1(VALU_DEP_4)
	v_lshlrev_b64 v[14:15], 2, v[4:5]
	v_add_co_u32 v37, s12, v12, v16
	s_delay_alu instid0(VALU_DEP_1) | instskip(SKIP_1) | instid1(VALU_DEP_4)
	v_add_co_ci_u32_e64 v38, s12, 0, v13, s12
	v_add_co_ci_u32_e64 v36, s9, 0, v13, s9
	v_add_co_u32 v48, s12, v12, v14
	s_delay_alu instid0(VALU_DEP_1)
	v_add_co_ci_u32_e64 v49, s12, v13, v15, s12
	v_add_co_u32 v50, s12, v37, v16
	v_cmp_eq_u32_e64 s9, 0, v17
	v_cmp_lt_u32_e64 s10, 1, v17
	v_cmp_lt_u32_e64 s11, 3, v17
	v_dual_mov_b32 v14, s16 :: v_dual_mov_b32 v17, s19
	v_cmp_lt_u32_e64 s6, 31, v26
	v_cmp_eq_u32_e64 s8, 0, v26
	v_add_co_ci_u32_e64 v51, s12, 0, v38, s12
	v_sub_nc_u32_e32 v67, v11, v10
	v_dual_mov_b32 v15, s17 :: v_dual_mov_b32 v16, s18
	s_waitcnt lgkmcnt(0)
	s_waitcnt_vscnt null, 0x0
	s_barrier
	buffer_gl0_inv
	s_branch .LBB1435_186
.LBB1435_185:                           ;   in Loop: Header=BB1435_186 Depth=1
	s_or_b32 exec_lo, exec_lo, s13
	s_delay_alu instid0(SALU_CYCLE_1) | instskip(NEXT) | instid1(SALU_CYCLE_1)
	s_and_b32 s12, exec_lo, s14
	s_or_b32 s16, s12, s16
	s_delay_alu instid0(SALU_CYCLE_1)
	s_and_not1_b32 exec_lo, exec_lo, s16
	s_cbranch_execz .LBB1435_196
.LBB1435_186:                           ; =>This Inner Loop Header: Depth=1
	v_mov_b32_e32 v68, v24
	v_min_u32_e32 v20, s15, v67
	s_clause 0x1
	flat_store_b128 v[8:9], v[14:17] offset:32
	flat_store_b128 v[31:32], v[14:17] offset:16
	s_waitcnt lgkmcnt(0)
	s_waitcnt_vscnt null, 0x0
	s_barrier
	v_cmp_ne_u32_e64 s12, 0x7fffffff, v68
	buffer_gl0_inv
	; wave barrier
	v_cndmask_b32_e64 v4, 0x80000000, v68, s12
	s_delay_alu instid0(VALU_DEP_1) | instskip(NEXT) | instid1(VALU_DEP_1)
	v_lshrrev_b32_e32 v4, v10, v4
	v_bfe_u32 v4, v4, 0, v20
	s_delay_alu instid0(VALU_DEP_1)
	v_lshlrev_b32_e32 v21, 30, v4
	v_and_b32_e32 v20, 1, v4
	v_lshlrev_b32_e32 v22, 29, v4
	v_lshlrev_b32_e32 v23, 28, v4
	;; [unrolled: 1-line block ×3, first 2 shown]
	v_not_b32_e32 v54, v21
	v_add_co_u32 v20, s12, v20, -1
	s_delay_alu instid0(VALU_DEP_1)
	v_cndmask_b32_e64 v24, 0, 1, s12
	v_cmp_gt_i32_e64 s13, 0, v21
	v_not_b32_e32 v21, v22
	v_ashrrev_i32_e32 v54, 31, v54
	v_lshlrev_b32_e32 v52, 26, v4
	v_cmp_ne_u32_e64 s12, 0, v24
	v_lshlrev_b32_e32 v53, 25, v4
	v_ashrrev_i32_e32 v21, 31, v21
	v_xor_b32_e32 v54, s13, v54
	v_cmp_gt_i32_e64 s13, 0, v23
	v_xor_b32_e32 v20, s12, v20
	v_cmp_gt_i32_e64 s12, 0, v22
	v_not_b32_e32 v22, v23
	v_not_b32_e32 v23, v25
	v_lshlrev_b32_e32 v24, 24, v4
	v_and_b32_e32 v20, exec_lo, v20
	v_xor_b32_e32 v21, s12, v21
	v_ashrrev_i32_e32 v22, 31, v22
	v_cmp_gt_i32_e64 s12, 0, v25
	v_not_b32_e32 v25, v52
	v_and_b32_e32 v20, v20, v54
	v_ashrrev_i32_e32 v23, 31, v23
	v_xor_b32_e32 v22, s13, v22
	v_cmp_gt_i32_e64 s13, 0, v52
	v_ashrrev_i32_e32 v25, 31, v25
	v_and_b32_e32 v20, v20, v21
	v_not_b32_e32 v21, v53
	v_xor_b32_e32 v23, s12, v23
	v_cmp_gt_i32_e64 s12, 0, v53
	v_xor_b32_e32 v25, s13, v25
	v_and_b32_e32 v20, v20, v22
	v_not_b32_e32 v22, v24
	v_ashrrev_i32_e32 v21, 31, v21
	v_cmp_gt_i32_e64 s13, 0, v24
	v_lshl_add_u32 v4, v4, 3, v65
	v_and_b32_e32 v20, v20, v23
	v_ashrrev_i32_e32 v22, 31, v22
	v_xor_b32_e32 v21, s12, v21
	v_dual_mov_b32 v53, v19 :: v_dual_mov_b32 v52, v18
	s_delay_alu instid0(VALU_DEP_4) | instskip(NEXT) | instid1(VALU_DEP_4)
	v_and_b32_e32 v20, v20, v25
	v_xor_b32_e32 v22, s13, v22
	v_lshlrev_b64 v[18:19], 2, v[4:5]
	s_delay_alu instid0(VALU_DEP_3) | instskip(NEXT) | instid1(VALU_DEP_2)
	v_and_b32_e32 v20, v20, v21
	v_add_co_u32 v54, s14, v28, v18
	s_delay_alu instid0(VALU_DEP_2) | instskip(NEXT) | instid1(VALU_DEP_4)
	v_and_b32_e32 v20, v20, v22
	v_add_co_ci_u32_e64 v55, s14, v64, v19, s14
	s_delay_alu instid0(VALU_DEP_2) | instskip(SKIP_1) | instid1(VALU_DEP_2)
	v_mbcnt_lo_u32_b32 v69, v20, 0
	v_cmp_ne_u32_e64 s12, 0, v20
	v_cmp_eq_u32_e64 s13, 0, v69
	s_delay_alu instid0(VALU_DEP_1) | instskip(NEXT) | instid1(SALU_CYCLE_1)
	s_and_b32 s13, s12, s13
	s_and_saveexec_b32 s12, s13
	s_cbranch_execz .LBB1435_188
; %bb.187:                              ;   in Loop: Header=BB1435_186 Depth=1
	v_bcnt_u32_b32 v4, v20, 0
	flat_store_b32 v[54:55], v4
.LBB1435_188:                           ;   in Loop: Header=BB1435_186 Depth=1
	s_or_b32 exec_lo, exec_lo, s12
	; wave barrier
	s_waitcnt lgkmcnt(0)
	s_waitcnt_vscnt null, 0x0
	s_barrier
	buffer_gl0_inv
	s_clause 0x1
	flat_load_b128 v[22:25], v[8:9] offset:32
	flat_load_b128 v[18:21], v[31:32] offset:16
	s_waitcnt vmcnt(1) lgkmcnt(1)
	v_add_nc_u32_e32 v4, v23, v22
	s_delay_alu instid0(VALU_DEP_1) | instskip(SKIP_1) | instid1(VALU_DEP_1)
	v_add3_u32 v4, v4, v24, v25
	s_waitcnt vmcnt(0) lgkmcnt(0)
	v_add3_u32 v4, v4, v18, v19
	s_delay_alu instid0(VALU_DEP_1) | instskip(NEXT) | instid1(VALU_DEP_1)
	v_add3_u32 v4, v4, v20, v21
	v_mov_b32_dpp v21, v4 row_shr:1 row_mask:0xf bank_mask:0xf
	s_delay_alu instid0(VALU_DEP_1) | instskip(NEXT) | instid1(VALU_DEP_1)
	v_cndmask_b32_e64 v21, v21, 0, vcc_lo
	v_add_nc_u32_e32 v4, v21, v4
	s_delay_alu instid0(VALU_DEP_1) | instskip(NEXT) | instid1(VALU_DEP_1)
	v_mov_b32_dpp v21, v4 row_shr:2 row_mask:0xf bank_mask:0xf
	v_cndmask_b32_e64 v21, 0, v21, s0
	s_delay_alu instid0(VALU_DEP_1) | instskip(NEXT) | instid1(VALU_DEP_1)
	v_add_nc_u32_e32 v4, v4, v21
	v_mov_b32_dpp v21, v4 row_shr:4 row_mask:0xf bank_mask:0xf
	s_delay_alu instid0(VALU_DEP_1) | instskip(NEXT) | instid1(VALU_DEP_1)
	v_cndmask_b32_e64 v21, 0, v21, s1
	v_add_nc_u32_e32 v4, v4, v21
	s_delay_alu instid0(VALU_DEP_1) | instskip(NEXT) | instid1(VALU_DEP_1)
	v_mov_b32_dpp v21, v4 row_shr:8 row_mask:0xf bank_mask:0xf
	v_cndmask_b32_e64 v21, 0, v21, s2
	s_delay_alu instid0(VALU_DEP_1) | instskip(SKIP_3) | instid1(VALU_DEP_1)
	v_add_nc_u32_e32 v4, v4, v21
	ds_swizzle_b32 v21, v4 offset:swizzle(BROADCAST,32,15)
	s_waitcnt lgkmcnt(0)
	v_cndmask_b32_e64 v21, v21, 0, s3
	v_add_nc_u32_e32 v4, v4, v21
	s_and_saveexec_b32 s12, s4
	s_cbranch_execz .LBB1435_190
; %bb.189:                              ;   in Loop: Header=BB1435_186 Depth=1
	flat_store_b32 v[33:34], v4
.LBB1435_190:                           ;   in Loop: Header=BB1435_186 Depth=1
	s_or_b32 exec_lo, exec_lo, s12
	s_waitcnt lgkmcnt(0)
	s_waitcnt_vscnt null, 0x0
	s_barrier
	buffer_gl0_inv
	s_and_saveexec_b32 s12, s5
	s_cbranch_execz .LBB1435_192
; %bb.191:                              ;   in Loop: Header=BB1435_186 Depth=1
	flat_load_b32 v21, v[35:36]
	s_waitcnt vmcnt(0) lgkmcnt(0)
	v_mov_b32_dpp v70, v21 row_shr:1 row_mask:0xf bank_mask:0xf
	s_delay_alu instid0(VALU_DEP_1) | instskip(NEXT) | instid1(VALU_DEP_1)
	v_cndmask_b32_e64 v70, v70, 0, s9
	v_add_nc_u32_e32 v21, v70, v21
	s_delay_alu instid0(VALU_DEP_1) | instskip(NEXT) | instid1(VALU_DEP_1)
	v_mov_b32_dpp v70, v21 row_shr:2 row_mask:0xf bank_mask:0xf
	v_cndmask_b32_e64 v70, 0, v70, s10
	s_delay_alu instid0(VALU_DEP_1) | instskip(NEXT) | instid1(VALU_DEP_1)
	v_add_nc_u32_e32 v21, v21, v70
	v_mov_b32_dpp v70, v21 row_shr:4 row_mask:0xf bank_mask:0xf
	s_delay_alu instid0(VALU_DEP_1) | instskip(NEXT) | instid1(VALU_DEP_1)
	v_cndmask_b32_e64 v70, 0, v70, s11
	v_add_nc_u32_e32 v21, v21, v70
	flat_store_b32 v[35:36], v21
.LBB1435_192:                           ;   in Loop: Header=BB1435_186 Depth=1
	s_or_b32 exec_lo, exec_lo, s12
	v_mov_b32_e32 v21, 0
	s_waitcnt lgkmcnt(0)
	s_waitcnt_vscnt null, 0x0
	s_barrier
	buffer_gl0_inv
	s_and_saveexec_b32 s12, s6
	s_cbranch_execz .LBB1435_194
; %bb.193:                              ;   in Loop: Header=BB1435_186 Depth=1
	flat_load_b32 v21, v[48:49]
.LBB1435_194:                           ;   in Loop: Header=BB1435_186 Depth=1
	s_or_b32 exec_lo, exec_lo, s12
	s_waitcnt vmcnt(0) lgkmcnt(0)
	v_add_nc_u32_e32 v4, v21, v4
	v_add_nc_u32_e32 v10, 8, v10
	s_mov_b32 s14, -1
	ds_bpermute_b32 v4, v66, v4
	s_waitcnt lgkmcnt(0)
	v_cndmask_b32_e64 v4, v4, v21, s7
	s_delay_alu instid0(VALU_DEP_1) | instskip(NEXT) | instid1(VALU_DEP_1)
	v_cndmask_b32_e64 v21, v4, 0, s8
	v_add_nc_u32_e32 v22, v21, v22
	s_delay_alu instid0(VALU_DEP_1) | instskip(NEXT) | instid1(VALU_DEP_1)
	v_add_nc_u32_e32 v23, v22, v23
	v_add_nc_u32_e32 v24, v23, v24
	s_delay_alu instid0(VALU_DEP_1) | instskip(NEXT) | instid1(VALU_DEP_1)
	v_add_nc_u32_e32 v80, v24, v25
	;; [unrolled: 3-line block ×3, first 2 shown]
	v_add_nc_u32_e32 v83, v82, v20
	s_clause 0x1
	flat_store_b128 v[8:9], v[21:24] offset:32
	flat_store_b128 v[31:32], v[80:83] offset:16
	s_waitcnt lgkmcnt(0)
	s_waitcnt_vscnt null, 0x0
	s_barrier
	buffer_gl0_inv
	flat_load_b32 v4, v[54:55]
	s_waitcnt vmcnt(0) lgkmcnt(0)
	s_waitcnt_vscnt null, 0x0
                                        ; implicit-def: $vgpr24
	s_waitcnt vmcnt(0) lgkmcnt(0)
	v_add_nc_u32_e32 v4, v4, v69
	s_delay_alu instid0(VALU_DEP_1) | instskip(NEXT) | instid1(VALU_DEP_1)
	v_lshlrev_b64 v[18:19], 2, v[4:5]
	v_add_co_u32 v22, s12, v12, v18
	s_delay_alu instid0(VALU_DEP_1) | instskip(NEXT) | instid1(VALU_DEP_2)
	v_add_co_ci_u32_e64 v23, s12, v13, v19, s12
	v_add_co_u32 v20, s13, v22, v18
	s_delay_alu instid0(VALU_DEP_1)
	v_add_co_ci_u32_e64 v21, s13, v23, v19, s13
	s_mov_b32 s13, exec_lo
                                        ; implicit-def: $vgpr18_vgpr19
	v_cmpx_lt_u32_e64 v10, v11
	s_cbranch_execz .LBB1435_185
; %bb.195:                              ;   in Loop: Header=BB1435_186 Depth=1
	s_barrier
	buffer_gl0_inv
	flat_store_b32 v[22:23], v68
	s_waitcnt lgkmcnt(0)
	s_waitcnt_vscnt null, 0x0
	s_barrier
	buffer_gl0_inv
	flat_load_b32 v24, v[37:38]
	s_waitcnt vmcnt(0) lgkmcnt(0)
	s_barrier
	buffer_gl0_inv
	flat_store_b64 v[20:21], v[52:53]
	s_waitcnt lgkmcnt(0)
	s_waitcnt_vscnt null, 0x0
	s_barrier
	buffer_gl0_inv
	flat_load_b64 v[18:19], v[50:51]
	v_add_nc_u32_e32 v67, -8, v67
	s_xor_b32 s14, exec_lo, -1
	s_waitcnt vmcnt(0) lgkmcnt(0)
	s_barrier
	buffer_gl0_inv
	s_branch .LBB1435_185
.LBB1435_196:
	s_or_b32 exec_lo, exec_lo, s16
	v_lshlrev_b32_e32 v4, 3, v26
	s_barrier
	buffer_gl0_inv
	flat_store_b32 v[22:23], v68
	s_waitcnt lgkmcnt(0)
	s_waitcnt_vscnt null, 0x0
	v_add_co_u32 v4, vcc_lo, v12, v4
	v_add_co_ci_u32_e32 v5, vcc_lo, 0, v13, vcc_lo
	s_barrier
	buffer_gl0_inv
	flat_load_b32 v8, v[35:36]
	s_waitcnt vmcnt(0) lgkmcnt(0)
	s_barrier
	buffer_gl0_inv
	flat_store_b64 v[20:21], v[52:53]
	s_waitcnt lgkmcnt(0)
	s_waitcnt_vscnt null, 0x0
	s_barrier
	buffer_gl0_inv
	flat_load_b64 v[4:5], v[4:5]
	v_mov_b32_e32 v28, 0
	s_mov_b32 s0, exec_lo
	s_waitcnt vmcnt(0) lgkmcnt(0)
	s_barrier
	buffer_gl0_inv
	v_cmpx_lt_u32_e64 v27, v39
	s_cbranch_execz .LBB1435_198
; %bb.197:
	v_add_co_u32 v9, vcc_lo, v6, v0
	v_add_co_ci_u32_e32 v10, vcc_lo, v7, v1, vcc_lo
	v_cmp_lt_i32_e32 vcc_lo, -1, v8
	v_lshlrev_b64 v[6:7], 2, v[27:28]
	v_lshlrev_b64 v[0:1], 3, v[27:28]
	v_cndmask_b32_e64 v11, 0x80000000, -1, vcc_lo
	v_add_co_u32 v2, vcc_lo, v2, v29
	v_add_co_ci_u32_e32 v3, vcc_lo, v3, v30, vcc_lo
	s_delay_alu instid0(VALU_DEP_3) | instskip(NEXT) | instid1(VALU_DEP_3)
	v_xor_b32_e32 v8, v11, v8
	v_add_co_u32 v2, vcc_lo, v2, v6
	s_delay_alu instid0(VALU_DEP_3)
	v_add_co_ci_u32_e32 v3, vcc_lo, v3, v7, vcc_lo
	v_add_co_u32 v0, vcc_lo, v9, v0
	v_add_co_ci_u32_e32 v1, vcc_lo, v10, v1, vcc_lo
	flat_store_b32 v[2:3], v8
	flat_store_b64 v[0:1], v[4:5]
.LBB1435_198:
	s_or_b32 exec_lo, exec_lo, s0
.LBB1435_199:
	s_delay_alu instid0(SALU_CYCLE_1)
	s_or_b32 exec_lo, exec_lo, s24
	v_readlane_b32 s43, v40, 7
	v_readlane_b32 s42, v40, 6
	;; [unrolled: 1-line block ×8, first 2 shown]
	s_or_saveexec_b32 s0, -1
	scratch_load_b32 v40, off, s32          ; 4-byte Folded Reload
	s_mov_b32 exec_lo, s0
	s_waitcnt vmcnt(0) lgkmcnt(0)
	s_setpc_b64 s[30:31]
.Lfunc_end1435:
	.size	_ZN7rocprim17ROCPRIM_400000_NS6detail40segmented_radix_sort_single_block_helperIflLj256ELj8ELb0EE4sortIPKfPfPKlPlEEbT_T0_T1_T2_jjjjRNS3_12storage_typeE, .Lfunc_end1435-_ZN7rocprim17ROCPRIM_400000_NS6detail40segmented_radix_sort_single_block_helperIflLj256ELj8ELb0EE4sortIPKfPfPKlPlEEbT_T0_T1_T2_jjjjRNS3_12storage_typeE
                                        ; -- End function
	.section	.AMDGPU.csdata,"",@progbits
; Function info:
; codeLenInByte = 18772
; NumSgprs: 46
; NumVgprs: 209
; ScratchSize: 8
; MemoryBound: 1
	.section	.text._ZN7rocprim17ROCPRIM_400000_NS6detail17trampoline_kernelINS0_14default_configENS1_36segmented_radix_sort_config_selectorIflEEZNS1_25segmented_radix_sort_implIS3_Lb0EPKfPfPKlPlN2at6native12_GLOBAL__N_18offset_tEEE10hipError_tPvRmT1_PNSt15iterator_traitsISK_E10value_typeET2_T3_PNSL_ISQ_E10value_typeET4_jRbjT5_SW_jjP12ihipStream_tbEUlT_E_NS1_11comp_targetILNS1_3genE9ELNS1_11target_archE1100ELNS1_3gpuE3ELNS1_3repE0EEENS1_30default_config_static_selectorELNS0_4arch9wavefront6targetE0EEEvSK_,"axG",@progbits,_ZN7rocprim17ROCPRIM_400000_NS6detail17trampoline_kernelINS0_14default_configENS1_36segmented_radix_sort_config_selectorIflEEZNS1_25segmented_radix_sort_implIS3_Lb0EPKfPfPKlPlN2at6native12_GLOBAL__N_18offset_tEEE10hipError_tPvRmT1_PNSt15iterator_traitsISK_E10value_typeET2_T3_PNSL_ISQ_E10value_typeET4_jRbjT5_SW_jjP12ihipStream_tbEUlT_E_NS1_11comp_targetILNS1_3genE9ELNS1_11target_archE1100ELNS1_3gpuE3ELNS1_3repE0EEENS1_30default_config_static_selectorELNS0_4arch9wavefront6targetE0EEEvSK_,comdat
	.globl	_ZN7rocprim17ROCPRIM_400000_NS6detail17trampoline_kernelINS0_14default_configENS1_36segmented_radix_sort_config_selectorIflEEZNS1_25segmented_radix_sort_implIS3_Lb0EPKfPfPKlPlN2at6native12_GLOBAL__N_18offset_tEEE10hipError_tPvRmT1_PNSt15iterator_traitsISK_E10value_typeET2_T3_PNSL_ISQ_E10value_typeET4_jRbjT5_SW_jjP12ihipStream_tbEUlT_E_NS1_11comp_targetILNS1_3genE9ELNS1_11target_archE1100ELNS1_3gpuE3ELNS1_3repE0EEENS1_30default_config_static_selectorELNS0_4arch9wavefront6targetE0EEEvSK_ ; -- Begin function _ZN7rocprim17ROCPRIM_400000_NS6detail17trampoline_kernelINS0_14default_configENS1_36segmented_radix_sort_config_selectorIflEEZNS1_25segmented_radix_sort_implIS3_Lb0EPKfPfPKlPlN2at6native12_GLOBAL__N_18offset_tEEE10hipError_tPvRmT1_PNSt15iterator_traitsISK_E10value_typeET2_T3_PNSL_ISQ_E10value_typeET4_jRbjT5_SW_jjP12ihipStream_tbEUlT_E_NS1_11comp_targetILNS1_3genE9ELNS1_11target_archE1100ELNS1_3gpuE3ELNS1_3repE0EEENS1_30default_config_static_selectorELNS0_4arch9wavefront6targetE0EEEvSK_
	.p2align	8
	.type	_ZN7rocprim17ROCPRIM_400000_NS6detail17trampoline_kernelINS0_14default_configENS1_36segmented_radix_sort_config_selectorIflEEZNS1_25segmented_radix_sort_implIS3_Lb0EPKfPfPKlPlN2at6native12_GLOBAL__N_18offset_tEEE10hipError_tPvRmT1_PNSt15iterator_traitsISK_E10value_typeET2_T3_PNSL_ISQ_E10value_typeET4_jRbjT5_SW_jjP12ihipStream_tbEUlT_E_NS1_11comp_targetILNS1_3genE9ELNS1_11target_archE1100ELNS1_3gpuE3ELNS1_3repE0EEENS1_30default_config_static_selectorELNS0_4arch9wavefront6targetE0EEEvSK_,@function
_ZN7rocprim17ROCPRIM_400000_NS6detail17trampoline_kernelINS0_14default_configENS1_36segmented_radix_sort_config_selectorIflEEZNS1_25segmented_radix_sort_implIS3_Lb0EPKfPfPKlPlN2at6native12_GLOBAL__N_18offset_tEEE10hipError_tPvRmT1_PNSt15iterator_traitsISK_E10value_typeET2_T3_PNSL_ISQ_E10value_typeET4_jRbjT5_SW_jjP12ihipStream_tbEUlT_E_NS1_11comp_targetILNS1_3genE9ELNS1_11target_archE1100ELNS1_3gpuE3ELNS1_3repE0EEENS1_30default_config_static_selectorELNS0_4arch9wavefront6targetE0EEEvSK_: ; @_ZN7rocprim17ROCPRIM_400000_NS6detail17trampoline_kernelINS0_14default_configENS1_36segmented_radix_sort_config_selectorIflEEZNS1_25segmented_radix_sort_implIS3_Lb0EPKfPfPKlPlN2at6native12_GLOBAL__N_18offset_tEEE10hipError_tPvRmT1_PNSt15iterator_traitsISK_E10value_typeET2_T3_PNSL_ISQ_E10value_typeET4_jRbjT5_SW_jjP12ihipStream_tbEUlT_E_NS1_11comp_targetILNS1_3genE9ELNS1_11target_archE1100ELNS1_3gpuE3ELNS1_3repE0EEENS1_30default_config_static_selectorELNS0_4arch9wavefront6targetE0EEEvSK_
; %bb.0:
	s_clause 0x1
	s_load_b64 s[2:3], s[0:1], 0x38
	s_load_b128 s[4:7], s[0:1], 0x40
	s_mov_b32 s26, s14
	s_mov_b32 s27, 0
	;; [unrolled: 1-line block ×3, first 2 shown]
	s_lshl_b64 s[8:9], s[26:27], 2
	s_waitcnt lgkmcnt(0)
	s_add_u32 s2, s2, s8
	s_addc_u32 s3, s3, s9
	s_load_b32 s2, s[2:3], 0x0
	s_waitcnt lgkmcnt(0)
	s_add_i32 s27, s2, s5
	s_add_i32 s33, s2, s7
	s_mul_i32 s27, s27, s4
	s_mul_i32 s33, s33, s6
	s_delay_alu instid0(SALU_CYCLE_1)
	s_cmp_le_u32 s33, s27
	s_cbranch_scc1 .LBB1436_678
; %bb.1:
	s_clause 0x3
	s_load_b32 s2, s[0:1], 0x30
	s_load_b128 s[52:55], s[0:1], 0x20
	s_load_b128 s[56:59], s[0:1], 0x50
	s_load_b256 s[44:51], s[0:1], 0x0
	s_waitcnt lgkmcnt(0)
	s_bitcmp1_b32 s2, 0
	s_mov_b32 s2, -1
	s_cselect_b32 s34, -1, 0
	s_sub_i32 s35, s33, s27
	s_delay_alu instid0(SALU_CYCLE_1)
	s_cmpk_lt_u32 s35, 0x801
	s_cbranch_scc0 .LBB1436_7
; %bb.2:
	v_cndmask_b32_e64 v1, 0, 1, s34
	s_and_b32 s2, s56, 1
	s_delay_alu instid0(VALU_DEP_1) | instid1(SALU_CYCLE_1)
	v_cmp_ne_u32_e32 vcc_lo, s2, v1
	s_mov_b32 s2, -1
	s_cbranch_vccnz .LBB1436_4
; %bb.3:
	s_mov_b64 s[2:3], src_shared_base
	v_mov_b32_e32 v31, v0
	v_dual_mov_b32 v41, v0 :: v_dual_mov_b32 v2, s48
	v_dual_mov_b32 v0, s44 :: v_dual_mov_b32 v1, s45
	;; [unrolled: 1-line block ×7, first 2 shown]
	v_mov_b32_e32 v13, s3
	s_add_u32 s8, s0, 0x60
	s_addc_u32 s9, s1, 0
	s_mov_b32 s12, s26
	s_mov_b32 s13, s15
	s_getpc_b64 s[4:5]
	s_add_u32 s4, s4, _ZN7rocprim17ROCPRIM_400000_NS6detail40segmented_radix_sort_single_block_helperIflLj256ELj8ELb0EE4sortIPKfPfPKlPlEEbT_T0_T1_T2_jjjjRNS3_12storage_typeE@rel32@lo+4
	s_addc_u32 s5, s5, _ZN7rocprim17ROCPRIM_400000_NS6detail40segmented_radix_sort_single_block_helperIflLj256ELj8ELb0EE4sortIPKfPfPKlPlEEbT_T0_T1_T2_jjjjRNS3_12storage_typeE@rel32@hi+12
	s_mov_b64 s[28:29], s[0:1]
	s_mov_b32 s56, s15
	s_swappc_b64 s[30:31], s[4:5]
	v_mov_b32_e32 v0, v41
	s_mov_b32 s15, s56
	s_mov_b64 s[0:1], s[28:29]
	s_mov_b32 s2, 0
.LBB1436_4:
	s_delay_alu instid0(SALU_CYCLE_1)
	s_and_not1_b32 vcc_lo, exec_lo, s2
	s_cbranch_vccnz .LBB1436_6
; %bb.5:
	s_mov_b64 s[2:3], src_shared_base
	v_mov_b32_e32 v31, v0
	v_dual_mov_b32 v41, v0 :: v_dual_mov_b32 v2, s46
	v_dual_mov_b32 v0, s44 :: v_dual_mov_b32 v1, s45
	;; [unrolled: 1-line block ×7, first 2 shown]
	v_mov_b32_e32 v13, s3
	s_add_u32 s8, s0, 0x60
	s_addc_u32 s9, s1, 0
	s_mov_b32 s12, s26
	s_mov_b32 s13, s15
	s_getpc_b64 s[4:5]
	s_add_u32 s4, s4, _ZN7rocprim17ROCPRIM_400000_NS6detail40segmented_radix_sort_single_block_helperIflLj256ELj8ELb0EE4sortIPKfPfPKlPlEEbT_T0_T1_T2_jjjjRNS3_12storage_typeE@rel32@lo+4
	s_addc_u32 s5, s5, _ZN7rocprim17ROCPRIM_400000_NS6detail40segmented_radix_sort_single_block_helperIflLj256ELj8ELb0EE4sortIPKfPfPKlPlEEbT_T0_T1_T2_jjjjRNS3_12storage_typeE@rel32@hi+12
	s_mov_b64 s[28:29], s[0:1]
	s_mov_b32 s56, s15
	s_swappc_b64 s[30:31], s[4:5]
	v_mov_b32_e32 v0, v41
	s_mov_b32 s15, s56
	s_mov_b64 s[0:1], s[28:29]
.LBB1436_6:
	s_mov_b32 s2, 0
.LBB1436_7:
	s_delay_alu instid0(SALU_CYCLE_1)
	s_and_not1_b32 vcc_lo, exec_lo, s2
	s_cbranch_vccnz .LBB1436_678
; %bb.8:
	s_cmp_ge_u32 s57, s58
	s_cbranch_scc1 .LBB1436_678
; %bb.9:
	v_dual_mov_b32 v71, 1 :: v_dual_and_b32 v18, 0x3ff, v0
	v_bfe_u32 v48, v0, 20, 10
	v_bfe_u32 v50, v0, 10, 10
	s_delay_alu instid0(VALU_DEP_3)
	v_dual_mov_b32 v20, 0 :: v_dual_lshlrev_b32 v31, 2, v18
	v_lshrrev_b32_e32 v1, 3, v18
	v_or_b32_e32 v2, 31, v18
	v_lshlrev_b32_e32 v3, 5, v18
	v_or_b32_e32 v32, 0x100, v18
	v_mad_u32_u24 v43, v18, 12, v31
	v_and_b32_e32 v41, 28, v1
	v_lshlrev_b32_e32 v1, 3, v18
	v_cmp_eq_u32_e64 s3, v2, v18
	v_add_nc_u32_e32 v2, 1, v18
	v_mad_u32_u24 v49, v18, 20, v43
	v_add_co_u32 v36, s2, s48, v31
	v_and_b32_e32 v47, 0x700, v1
	v_mul_u32_u24_e32 v1, 9, v18
	v_mul_u32_u24_e32 v0, 9, v2
	v_or_b32_e32 v33, 0x200, v18
	v_or_b32_e32 v34, 0x300, v18
	v_and_b32_e32 v35, 3, v18
	v_lshl_add_u32 v51, v1, 2, 0x420
	v_lshlrev_b32_e32 v1, 3, v47
	v_lshlrev_b32_e32 v53, 2, v0
	;; [unrolled: 1-line block ×3, first 2 shown]
	v_add_co_ci_u32_e64 v37, null, s49, 0, s2
	s_delay_alu instid0(VALU_DEP_4) | instskip(NEXT) | instid1(VALU_DEP_1)
	v_add_co_u32 v54, s7, s54, v1
	v_add_co_ci_u32_e64 v55, null, s55, 0, s7
	s_delay_alu instid0(VALU_DEP_4) | instskip(NEXT) | instid1(VALU_DEP_1)
	v_add_co_u32 v56, s7, s48, v0
	v_add_co_ci_u32_e64 v57, null, s49, 0, s7
	v_add_co_u32 v59, s7, s46, v31
	s_delay_alu instid0(VALU_DEP_1) | instskip(SKIP_1) | instid1(VALU_DEP_1)
	v_add_co_ci_u32_e64 v60, null, s47, 0, s7
	v_add_co_u32 v61, s7, s52, v1
	v_add_co_ci_u32_e64 v62, null, s53, 0, s7
	v_add_co_u32 v63, s7, s46, v0
	s_delay_alu instid0(VALU_DEP_1) | instskip(SKIP_1) | instid1(VALU_DEP_1)
	v_add_co_ci_u32_e64 v64, null, s47, 0, s7
	v_add_co_u32 v65, s7, s44, v31
	v_add_co_ci_u32_e64 v66, null, s45, 0, s7
	v_add_co_u32 v67, s7, s50, v1
	s_delay_alu instid0(VALU_DEP_1)
	v_add_co_ci_u32_e64 v68, null, s51, 0, s7
	v_add_co_u32 v69, s7, s44, v0
	v_or_b32_e32 v38, 0x400, v18
	v_or_b32_e32 v39, 0x500, v18
	;; [unrolled: 1-line block ×4, first 2 shown]
	v_cmp_gt_u32_e64 s2, 0x100, v18
	v_or_b32_e32 v44, 0x4400, v41
	v_cmp_gt_u32_e64 s4, 8, v18
	v_add_nc_u32_e32 v45, 0x4400, v31
	v_cmp_lt_u32_e64 s5, 31, v18
	v_add_nc_u32_e32 v46, 0x43fc, v41
	s_add_u32 s28, s0, 0x60
	v_sub_nc_u32_e32 v52, v49, v3
	v_cmp_eq_u32_e64 s0, 0, v18
	v_cmp_ne_u32_e64 s6, 0x100, v2
	v_add_nc_u32_e32 v58, 0x400, v31
	v_add_co_ci_u32_e64 v70, null, s45, 0, s7
	v_mbcnt_lo_u32_b32 v72, -1, 0
	v_bfrev_b32_e32 v1, -2
	s_mov_b32 s25, 0
	s_addc_u32 s29, s1, 0
	s_brev_b32 s36, -2
	s_mov_b32 s30, s57
	s_branch .LBB1436_12
.LBB1436_10:                            ;   in Loop: Header=BB1436_12 Depth=1
	s_waitcnt lgkmcnt(0)
	s_barrier
.LBB1436_11:                            ;   in Loop: Header=BB1436_12 Depth=1
	s_add_i32 s30, s30, 8
	buffer_gl0_inv
	s_cmp_ge_u32 s30, s58
	s_cbranch_scc1 .LBB1436_678
.LBB1436_12:                            ; =>This Loop Header: Depth=1
                                        ;     Child Loop BB1436_16 Depth 2
                                        ;     Child Loop BB1436_66 Depth 2
	;; [unrolled: 1-line block ×8, first 2 shown]
	s_sub_i32 s1, s58, s30
	s_xor_b32 s34, s34, -1
	s_min_u32 s1, s1, 8
	ds_store_2addr_stride64_b32 v31, v20, v20 offset1:4
	s_lshl_b32 s1, -1, s1
	ds_store_2addr_stride64_b32 v31, v20, v20 offset0:8 offset1:12
	s_not_b32 s31, s1
	s_cmp_lg_u32 s30, s57
	s_mov_b32 s1, -1
	s_waitcnt lgkmcnt(0)
	s_waitcnt_vscnt null, 0x0
	s_cbranch_scc0 .LBB1436_346
; %bb.13:                               ;   in Loop: Header=BB1436_12 Depth=1
	s_and_b32 vcc_lo, exec_lo, s34
	s_cbranch_vccz .LBB1436_179
; %bb.14:                               ;   in Loop: Header=BB1436_12 Depth=1
	s_mov_b32 s1, s35
	s_mov_b32 s24, s27
	s_barrier
	buffer_gl0_inv
                                        ; implicit-def: $vgpr2_vgpr3_vgpr4_vgpr5_vgpr6_vgpr7_vgpr8_vgpr9
	s_branch .LBB1436_16
.LBB1436_15:                            ;   in Loop: Header=BB1436_16 Depth=2
	s_or_b32 exec_lo, exec_lo, s8
	s_addk_i32 s1, 0xf800
	s_cmp_ge_u32 s7, s33
	s_mov_b32 s24, s7
	s_cbranch_scc1 .LBB1436_54
.LBB1436_16:                            ;   Parent Loop BB1436_12 Depth=1
                                        ; =>  This Inner Loop Header: Depth=2
	s_add_i32 s7, s24, 0x800
	s_delay_alu instid0(SALU_CYCLE_1)
	s_cmp_gt_u32 s7, s33
	s_cbranch_scc1 .LBB1436_19
; %bb.17:                               ;   in Loop: Header=BB1436_16 Depth=2
	s_mov_b32 s9, 0
	s_mov_b32 s8, s24
	s_delay_alu instid0(SALU_CYCLE_1) | instskip(NEXT) | instid1(SALU_CYCLE_1)
	s_lshl_b64 s[10:11], s[8:9], 2
	v_add_co_u32 v21, vcc_lo, v36, s10
	v_add_co_ci_u32_e32 v22, vcc_lo, s11, v37, vcc_lo
	s_mov_b32 s10, -1
	s_waitcnt vmcnt(0)
	s_delay_alu instid0(VALU_DEP_2) | instskip(NEXT) | instid1(VALU_DEP_2)
	v_add_co_u32 v16, vcc_lo, 0x1000, v21
	v_add_co_ci_u32_e32 v17, vcc_lo, 0, v22, vcc_lo
	s_clause 0x6
	global_load_b32 v10, v[21:22], off
	global_load_b32 v11, v[21:22], off offset:1024
	global_load_b32 v12, v[21:22], off offset:2048
	;; [unrolled: 1-line block ×3, first 2 shown]
	global_load_b32 v14, v[16:17], off
	global_load_b32 v15, v[16:17], off offset:1024
	global_load_b32 v16, v[16:17], off offset:2048
	v_add_co_u32 v21, vcc_lo, 0x1c00, v21
	v_add_co_ci_u32_e32 v22, vcc_lo, 0, v22, vcc_lo
	s_movk_i32 s11, 0x800
	s_cbranch_execz .LBB1436_20
; %bb.18:                               ;   in Loop: Header=BB1436_16 Depth=2
                                        ; implicit-def: $vgpr2_vgpr3_vgpr4_vgpr5_vgpr6_vgpr7_vgpr8_vgpr9
	v_mov_b32_e32 v0, s1
	s_and_saveexec_b32 s8, s10
	s_cbranch_execnz .LBB1436_31
	s_branch .LBB1436_32
.LBB1436_19:                            ;   in Loop: Header=BB1436_16 Depth=2
	s_mov_b32 s10, 0
                                        ; implicit-def: $sgpr11
                                        ; implicit-def: $vgpr10_vgpr11_vgpr12_vgpr13_vgpr14_vgpr15_vgpr16_vgpr17
                                        ; implicit-def: $vgpr21_vgpr22
.LBB1436_20:                            ;   in Loop: Header=BB1436_16 Depth=2
	s_lshl_b64 s[8:9], s[24:25], 2
	s_mov_b32 s11, exec_lo
	s_add_u32 s8, s48, s8
	s_addc_u32 s9, s49, s9
	v_cmpx_gt_u32_e64 s1, v18
	s_cbranch_execz .LBB1436_48
; %bb.21:                               ;   in Loop: Header=BB1436_16 Depth=2
	v_lshlrev_b32_e32 v0, 2, v18
	global_load_b32 v2, v0, s[8:9]
	s_or_b32 exec_lo, exec_lo, s11
	s_delay_alu instid0(SALU_CYCLE_1)
	s_mov_b32 s11, exec_lo
	v_cmpx_gt_u32_e64 s1, v32
	s_cbranch_execnz .LBB1436_49
.LBB1436_22:                            ;   in Loop: Header=BB1436_16 Depth=2
	s_or_b32 exec_lo, exec_lo, s11
	s_delay_alu instid0(SALU_CYCLE_1)
	s_mov_b32 s11, exec_lo
	v_cmpx_gt_u32_e64 s1, v33
	s_cbranch_execz .LBB1436_50
.LBB1436_23:                            ;   in Loop: Header=BB1436_16 Depth=2
	v_lshlrev_b32_e32 v0, 2, v18
	global_load_b32 v4, v0, s[8:9] offset:2048
	s_or_b32 exec_lo, exec_lo, s11
	s_delay_alu instid0(SALU_CYCLE_1)
	s_mov_b32 s11, exec_lo
	v_cmpx_gt_u32_e64 s1, v34
	s_cbranch_execnz .LBB1436_51
.LBB1436_24:                            ;   in Loop: Header=BB1436_16 Depth=2
	s_or_b32 exec_lo, exec_lo, s11
	s_delay_alu instid0(SALU_CYCLE_1)
	s_mov_b32 s11, exec_lo
	v_cmpx_gt_u32_e64 s1, v38
	s_cbranch_execz .LBB1436_52
.LBB1436_25:                            ;   in Loop: Header=BB1436_16 Depth=2
	v_lshlrev_b32_e32 v0, 2, v38
	global_load_b32 v6, v0, s[8:9]
	s_or_b32 exec_lo, exec_lo, s11
	s_delay_alu instid0(SALU_CYCLE_1)
	s_mov_b32 s11, exec_lo
	v_cmpx_gt_u32_e64 s1, v39
	s_cbranch_execnz .LBB1436_53
.LBB1436_26:                            ;   in Loop: Header=BB1436_16 Depth=2
	s_or_b32 exec_lo, exec_lo, s11
	s_delay_alu instid0(SALU_CYCLE_1)
	s_mov_b32 s11, exec_lo
	v_cmpx_gt_u32_e64 s1, v40
	s_cbranch_execz .LBB1436_28
.LBB1436_27:                            ;   in Loop: Header=BB1436_16 Depth=2
	v_lshlrev_b32_e32 v0, 2, v40
	global_load_b32 v8, v0, s[8:9]
.LBB1436_28:                            ;   in Loop: Header=BB1436_16 Depth=2
	s_or_b32 exec_lo, exec_lo, s11
	s_delay_alu instid0(SALU_CYCLE_1)
	s_mov_b32 s12, exec_lo
                                        ; implicit-def: $sgpr11
                                        ; implicit-def: $vgpr21_vgpr22
	v_cmpx_gt_u32_e64 s1, v42
; %bb.29:                               ;   in Loop: Header=BB1436_16 Depth=2
	v_lshlrev_b32_e32 v0, 2, v42
	s_sub_i32 s11, s33, s24
	s_or_b32 s10, s10, exec_lo
	s_delay_alu instid0(VALU_DEP_1) | instskip(NEXT) | instid1(VALU_DEP_1)
	v_add_co_u32 v21, s8, s8, v0
	v_add_co_ci_u32_e64 v22, null, s9, 0, s8
; %bb.30:                               ;   in Loop: Header=BB1436_16 Depth=2
	s_or_b32 exec_lo, exec_lo, s12
	s_waitcnt vmcnt(0)
	v_dual_mov_b32 v17, v9 :: v_dual_mov_b32 v16, v8
	v_dual_mov_b32 v15, v7 :: v_dual_mov_b32 v14, v6
	;; [unrolled: 1-line block ×4, first 2 shown]
	v_mov_b32_e32 v0, s1
	s_and_saveexec_b32 s8, s10
	s_cbranch_execz .LBB1436_32
.LBB1436_31:                            ;   in Loop: Header=BB1436_16 Depth=2
	global_load_b32 v17, v[21:22], off
	s_waitcnt vmcnt(0)
	v_dual_mov_b32 v2, v10 :: v_dual_mov_b32 v5, v13
	v_dual_mov_b32 v0, s11 :: v_dual_mov_b32 v3, v11
	;; [unrolled: 1-line block ×3, first 2 shown]
	v_mov_b32_e32 v6, v14
	v_dual_mov_b32 v8, v16 :: v_dual_mov_b32 v9, v17
.LBB1436_32:                            ;   in Loop: Header=BB1436_16 Depth=2
	s_or_b32 exec_lo, exec_lo, s8
	s_delay_alu instid0(SALU_CYCLE_1)
	s_mov_b32 s8, exec_lo
	v_cmpx_lt_u32_e64 v18, v0
	s_cbranch_execz .LBB1436_40
; %bb.33:                               ;   in Loop: Header=BB1436_16 Depth=2
	v_cmp_lt_i32_e32 vcc_lo, -1, v2
	s_waitcnt vmcnt(5)
	v_lshlrev_b32_e32 v11, 2, v35
	v_cndmask_b32_e64 v10, -1, 0x80000000, vcc_lo
	s_delay_alu instid0(VALU_DEP_1) | instskip(NEXT) | instid1(VALU_DEP_1)
	v_xor_b32_e32 v10, v10, v2
	v_cmp_ne_u32_e32 vcc_lo, 0x7fffffff, v10
	v_cndmask_b32_e32 v10, 0x80000000, v10, vcc_lo
	s_delay_alu instid0(VALU_DEP_1) | instskip(NEXT) | instid1(VALU_DEP_1)
	v_lshrrev_b32_e32 v10, s30, v10
	v_and_b32_e32 v10, s31, v10
	s_delay_alu instid0(VALU_DEP_1) | instskip(SKIP_2) | instid1(SALU_CYCLE_1)
	v_lshl_or_b32 v10, v10, 4, v11
	ds_add_u32 v10, v71
	s_or_b32 exec_lo, exec_lo, s8
	s_mov_b32 s8, exec_lo
	v_cmpx_lt_u32_e64 v32, v0
	s_cbranch_execnz .LBB1436_41
.LBB1436_34:                            ;   in Loop: Header=BB1436_16 Depth=2
	s_or_b32 exec_lo, exec_lo, s8
	s_delay_alu instid0(SALU_CYCLE_1)
	s_mov_b32 s8, exec_lo
	v_cmpx_lt_u32_e64 v33, v0
	s_cbranch_execz .LBB1436_42
.LBB1436_35:                            ;   in Loop: Header=BB1436_16 Depth=2
	v_cmp_lt_i32_e32 vcc_lo, -1, v4
	s_waitcnt vmcnt(5)
	v_lshlrev_b32_e32 v11, 2, v35
	v_cndmask_b32_e64 v10, -1, 0x80000000, vcc_lo
	s_delay_alu instid0(VALU_DEP_1) | instskip(NEXT) | instid1(VALU_DEP_1)
	v_xor_b32_e32 v10, v10, v4
	v_cmp_ne_u32_e32 vcc_lo, 0x7fffffff, v10
	v_cndmask_b32_e32 v10, 0x80000000, v10, vcc_lo
	s_delay_alu instid0(VALU_DEP_1) | instskip(NEXT) | instid1(VALU_DEP_1)
	v_lshrrev_b32_e32 v10, s30, v10
	v_and_b32_e32 v10, s31, v10
	s_delay_alu instid0(VALU_DEP_1) | instskip(SKIP_2) | instid1(SALU_CYCLE_1)
	v_lshl_or_b32 v10, v10, 4, v11
	ds_add_u32 v10, v71
	s_or_b32 exec_lo, exec_lo, s8
	s_mov_b32 s8, exec_lo
	v_cmpx_lt_u32_e64 v34, v0
	s_cbranch_execnz .LBB1436_43
.LBB1436_36:                            ;   in Loop: Header=BB1436_16 Depth=2
	s_or_b32 exec_lo, exec_lo, s8
	s_delay_alu instid0(SALU_CYCLE_1)
	s_mov_b32 s8, exec_lo
	v_cmpx_lt_u32_e64 v38, v0
	s_cbranch_execz .LBB1436_44
.LBB1436_37:                            ;   in Loop: Header=BB1436_16 Depth=2
	v_cmp_lt_i32_e32 vcc_lo, -1, v6
	s_waitcnt vmcnt(5)
	v_lshlrev_b32_e32 v11, 2, v35
	v_cndmask_b32_e64 v10, -1, 0x80000000, vcc_lo
	s_delay_alu instid0(VALU_DEP_1) | instskip(NEXT) | instid1(VALU_DEP_1)
	v_xor_b32_e32 v10, v10, v6
	v_cmp_ne_u32_e32 vcc_lo, 0x7fffffff, v10
	v_cndmask_b32_e32 v10, 0x80000000, v10, vcc_lo
	s_delay_alu instid0(VALU_DEP_1) | instskip(NEXT) | instid1(VALU_DEP_1)
	v_lshrrev_b32_e32 v10, s30, v10
	v_and_b32_e32 v10, s31, v10
	s_delay_alu instid0(VALU_DEP_1) | instskip(SKIP_2) | instid1(SALU_CYCLE_1)
	v_lshl_or_b32 v10, v10, 4, v11
	ds_add_u32 v10, v71
	s_or_b32 exec_lo, exec_lo, s8
	s_mov_b32 s8, exec_lo
	v_cmpx_lt_u32_e64 v39, v0
	s_cbranch_execnz .LBB1436_45
.LBB1436_38:                            ;   in Loop: Header=BB1436_16 Depth=2
	s_or_b32 exec_lo, exec_lo, s8
	s_delay_alu instid0(SALU_CYCLE_1)
	s_mov_b32 s8, exec_lo
	v_cmpx_lt_u32_e64 v40, v0
	s_cbranch_execz .LBB1436_46
.LBB1436_39:                            ;   in Loop: Header=BB1436_16 Depth=2
	v_cmp_lt_i32_e32 vcc_lo, -1, v8
	s_waitcnt vmcnt(5)
	v_lshlrev_b32_e32 v11, 2, v35
	v_cndmask_b32_e64 v10, -1, 0x80000000, vcc_lo
	s_delay_alu instid0(VALU_DEP_1) | instskip(NEXT) | instid1(VALU_DEP_1)
	v_xor_b32_e32 v10, v10, v8
	v_cmp_ne_u32_e32 vcc_lo, 0x7fffffff, v10
	v_cndmask_b32_e32 v10, 0x80000000, v10, vcc_lo
	s_delay_alu instid0(VALU_DEP_1) | instskip(NEXT) | instid1(VALU_DEP_1)
	v_lshrrev_b32_e32 v10, s30, v10
	v_and_b32_e32 v10, s31, v10
	s_delay_alu instid0(VALU_DEP_1) | instskip(SKIP_2) | instid1(SALU_CYCLE_1)
	v_lshl_or_b32 v10, v10, 4, v11
	ds_add_u32 v10, v71
	s_or_b32 exec_lo, exec_lo, s8
	s_mov_b32 s8, exec_lo
	v_cmpx_lt_u32_e64 v42, v0
	s_cbranch_execz .LBB1436_15
	s_branch .LBB1436_47
.LBB1436_40:                            ;   in Loop: Header=BB1436_16 Depth=2
	s_or_b32 exec_lo, exec_lo, s8
	s_delay_alu instid0(SALU_CYCLE_1)
	s_mov_b32 s8, exec_lo
	v_cmpx_lt_u32_e64 v32, v0
	s_cbranch_execz .LBB1436_34
.LBB1436_41:                            ;   in Loop: Header=BB1436_16 Depth=2
	v_cmp_lt_i32_e32 vcc_lo, -1, v3
	s_waitcnt vmcnt(5)
	v_lshlrev_b32_e32 v11, 2, v35
	v_cndmask_b32_e64 v10, -1, 0x80000000, vcc_lo
	s_delay_alu instid0(VALU_DEP_1) | instskip(NEXT) | instid1(VALU_DEP_1)
	v_xor_b32_e32 v10, v10, v3
	v_cmp_ne_u32_e32 vcc_lo, 0x7fffffff, v10
	v_cndmask_b32_e32 v10, 0x80000000, v10, vcc_lo
	s_delay_alu instid0(VALU_DEP_1) | instskip(NEXT) | instid1(VALU_DEP_1)
	v_lshrrev_b32_e32 v10, s30, v10
	v_and_b32_e32 v10, s31, v10
	s_delay_alu instid0(VALU_DEP_1) | instskip(SKIP_2) | instid1(SALU_CYCLE_1)
	v_lshl_or_b32 v10, v10, 4, v11
	ds_add_u32 v10, v71
	s_or_b32 exec_lo, exec_lo, s8
	s_mov_b32 s8, exec_lo
	v_cmpx_lt_u32_e64 v33, v0
	s_cbranch_execnz .LBB1436_35
.LBB1436_42:                            ;   in Loop: Header=BB1436_16 Depth=2
	s_or_b32 exec_lo, exec_lo, s8
	s_delay_alu instid0(SALU_CYCLE_1)
	s_mov_b32 s8, exec_lo
	v_cmpx_lt_u32_e64 v34, v0
	s_cbranch_execz .LBB1436_36
.LBB1436_43:                            ;   in Loop: Header=BB1436_16 Depth=2
	v_cmp_lt_i32_e32 vcc_lo, -1, v5
	s_waitcnt vmcnt(5)
	v_lshlrev_b32_e32 v11, 2, v35
	v_cndmask_b32_e64 v10, -1, 0x80000000, vcc_lo
	s_delay_alu instid0(VALU_DEP_1) | instskip(NEXT) | instid1(VALU_DEP_1)
	v_xor_b32_e32 v10, v10, v5
	v_cmp_ne_u32_e32 vcc_lo, 0x7fffffff, v10
	v_cndmask_b32_e32 v10, 0x80000000, v10, vcc_lo
	s_delay_alu instid0(VALU_DEP_1) | instskip(NEXT) | instid1(VALU_DEP_1)
	v_lshrrev_b32_e32 v10, s30, v10
	v_and_b32_e32 v10, s31, v10
	s_delay_alu instid0(VALU_DEP_1) | instskip(SKIP_2) | instid1(SALU_CYCLE_1)
	v_lshl_or_b32 v10, v10, 4, v11
	ds_add_u32 v10, v71
	s_or_b32 exec_lo, exec_lo, s8
	s_mov_b32 s8, exec_lo
	v_cmpx_lt_u32_e64 v38, v0
	s_cbranch_execnz .LBB1436_37
.LBB1436_44:                            ;   in Loop: Header=BB1436_16 Depth=2
	s_or_b32 exec_lo, exec_lo, s8
	s_delay_alu instid0(SALU_CYCLE_1)
	s_mov_b32 s8, exec_lo
	v_cmpx_lt_u32_e64 v39, v0
	s_cbranch_execz .LBB1436_38
.LBB1436_45:                            ;   in Loop: Header=BB1436_16 Depth=2
	v_cmp_lt_i32_e32 vcc_lo, -1, v7
	s_waitcnt vmcnt(5)
	v_lshlrev_b32_e32 v11, 2, v35
	v_cndmask_b32_e64 v10, -1, 0x80000000, vcc_lo
	s_delay_alu instid0(VALU_DEP_1) | instskip(NEXT) | instid1(VALU_DEP_1)
	v_xor_b32_e32 v10, v10, v7
	v_cmp_ne_u32_e32 vcc_lo, 0x7fffffff, v10
	v_cndmask_b32_e32 v10, 0x80000000, v10, vcc_lo
	s_delay_alu instid0(VALU_DEP_1) | instskip(NEXT) | instid1(VALU_DEP_1)
	v_lshrrev_b32_e32 v10, s30, v10
	v_and_b32_e32 v10, s31, v10
	s_delay_alu instid0(VALU_DEP_1) | instskip(SKIP_2) | instid1(SALU_CYCLE_1)
	v_lshl_or_b32 v10, v10, 4, v11
	ds_add_u32 v10, v71
	s_or_b32 exec_lo, exec_lo, s8
	s_mov_b32 s8, exec_lo
	v_cmpx_lt_u32_e64 v40, v0
	s_cbranch_execnz .LBB1436_39
.LBB1436_46:                            ;   in Loop: Header=BB1436_16 Depth=2
	s_or_b32 exec_lo, exec_lo, s8
	s_delay_alu instid0(SALU_CYCLE_1)
	s_mov_b32 s8, exec_lo
	v_cmpx_lt_u32_e64 v42, v0
	s_cbranch_execz .LBB1436_15
.LBB1436_47:                            ;   in Loop: Header=BB1436_16 Depth=2
	v_cmp_lt_i32_e32 vcc_lo, -1, v9
	s_waitcnt vmcnt(6)
	v_lshlrev_b32_e32 v10, 2, v35
	v_cndmask_b32_e64 v0, -1, 0x80000000, vcc_lo
	s_delay_alu instid0(VALU_DEP_1) | instskip(NEXT) | instid1(VALU_DEP_1)
	v_xor_b32_e32 v0, v0, v9
	v_cmp_ne_u32_e32 vcc_lo, 0x7fffffff, v0
	v_cndmask_b32_e32 v0, 0x80000000, v0, vcc_lo
	s_delay_alu instid0(VALU_DEP_1) | instskip(NEXT) | instid1(VALU_DEP_1)
	v_lshrrev_b32_e32 v0, s30, v0
	v_and_b32_e32 v0, s31, v0
	s_delay_alu instid0(VALU_DEP_1)
	v_lshl_or_b32 v0, v0, 4, v10
	ds_add_u32 v0, v71
	s_branch .LBB1436_15
.LBB1436_48:                            ;   in Loop: Header=BB1436_16 Depth=2
	s_or_b32 exec_lo, exec_lo, s11
	s_delay_alu instid0(SALU_CYCLE_1)
	s_mov_b32 s11, exec_lo
	v_cmpx_gt_u32_e64 s1, v32
	s_cbranch_execz .LBB1436_22
.LBB1436_49:                            ;   in Loop: Header=BB1436_16 Depth=2
	v_lshlrev_b32_e32 v0, 2, v18
	global_load_b32 v3, v0, s[8:9] offset:1024
	s_or_b32 exec_lo, exec_lo, s11
	s_delay_alu instid0(SALU_CYCLE_1)
	s_mov_b32 s11, exec_lo
	v_cmpx_gt_u32_e64 s1, v33
	s_cbranch_execnz .LBB1436_23
.LBB1436_50:                            ;   in Loop: Header=BB1436_16 Depth=2
	s_or_b32 exec_lo, exec_lo, s11
	s_delay_alu instid0(SALU_CYCLE_1)
	s_mov_b32 s11, exec_lo
	v_cmpx_gt_u32_e64 s1, v34
	s_cbranch_execz .LBB1436_24
.LBB1436_51:                            ;   in Loop: Header=BB1436_16 Depth=2
	v_lshlrev_b32_e32 v0, 2, v18
	global_load_b32 v5, v0, s[8:9] offset:3072
	s_or_b32 exec_lo, exec_lo, s11
	s_delay_alu instid0(SALU_CYCLE_1)
	s_mov_b32 s11, exec_lo
	v_cmpx_gt_u32_e64 s1, v38
	s_cbranch_execnz .LBB1436_25
.LBB1436_52:                            ;   in Loop: Header=BB1436_16 Depth=2
	s_or_b32 exec_lo, exec_lo, s11
	s_delay_alu instid0(SALU_CYCLE_1)
	s_mov_b32 s11, exec_lo
	v_cmpx_gt_u32_e64 s1, v39
	s_cbranch_execz .LBB1436_26
.LBB1436_53:                            ;   in Loop: Header=BB1436_16 Depth=2
	v_lshlrev_b32_e32 v0, 2, v39
	global_load_b32 v7, v0, s[8:9]
	s_or_b32 exec_lo, exec_lo, s11
	s_delay_alu instid0(SALU_CYCLE_1)
	s_mov_b32 s11, exec_lo
	v_cmpx_gt_u32_e64 s1, v40
	s_cbranch_execz .LBB1436_28
	s_branch .LBB1436_27
.LBB1436_54:                            ;   in Loop: Header=BB1436_12 Depth=1
	v_mov_b32_e32 v0, 0
	s_waitcnt vmcnt(0) lgkmcnt(0)
	s_barrier
	buffer_gl0_inv
	s_and_saveexec_b32 s1, s2
	s_cbranch_execz .LBB1436_56
; %bb.55:                               ;   in Loop: Header=BB1436_12 Depth=1
	ds_load_2addr_b64 v[2:5], v43 offset1:1
	s_waitcnt lgkmcnt(0)
	v_add_nc_u32_e32 v0, v3, v2
	s_delay_alu instid0(VALU_DEP_1)
	v_add3_u32 v0, v0, v4, v5
.LBB1436_56:                            ;   in Loop: Header=BB1436_12 Depth=1
	s_or_b32 exec_lo, exec_lo, s1
	v_and_b32_e32 v2, 15, v72
	s_delay_alu instid0(VALU_DEP_2) | instskip(SKIP_1) | instid1(VALU_DEP_3)
	v_mov_b32_dpp v3, v0 row_shr:1 row_mask:0xf bank_mask:0xf
	v_and_b32_e32 v4, 16, v72
	v_cmp_eq_u32_e64 s1, 0, v2
	v_cmp_lt_u32_e64 s7, 1, v2
	v_cmp_lt_u32_e64 s8, 3, v2
	v_cmp_lt_u32_e64 s9, 7, v2
	v_cmp_eq_u32_e64 s10, 0, v4
	v_cndmask_b32_e64 v3, v3, 0, s1
	s_delay_alu instid0(VALU_DEP_1) | instskip(NEXT) | instid1(VALU_DEP_1)
	v_add_nc_u32_e32 v0, v3, v0
	v_mov_b32_dpp v3, v0 row_shr:2 row_mask:0xf bank_mask:0xf
	s_delay_alu instid0(VALU_DEP_1) | instskip(NEXT) | instid1(VALU_DEP_1)
	v_cndmask_b32_e64 v3, 0, v3, s7
	v_add_nc_u32_e32 v0, v0, v3
	s_delay_alu instid0(VALU_DEP_1) | instskip(NEXT) | instid1(VALU_DEP_1)
	v_mov_b32_dpp v3, v0 row_shr:4 row_mask:0xf bank_mask:0xf
	v_cndmask_b32_e64 v3, 0, v3, s8
	s_delay_alu instid0(VALU_DEP_1) | instskip(NEXT) | instid1(VALU_DEP_1)
	v_add_nc_u32_e32 v0, v0, v3
	v_mov_b32_dpp v3, v0 row_shr:8 row_mask:0xf bank_mask:0xf
	s_delay_alu instid0(VALU_DEP_1) | instskip(SKIP_1) | instid1(VALU_DEP_2)
	v_cndmask_b32_e64 v2, 0, v3, s9
	v_bfe_i32 v3, v72, 4, 1
	v_add_nc_u32_e32 v0, v0, v2
	ds_swizzle_b32 v2, v0 offset:swizzle(BROADCAST,32,15)
	s_waitcnt lgkmcnt(0)
	v_and_b32_e32 v2, v3, v2
	s_delay_alu instid0(VALU_DEP_1)
	v_add_nc_u32_e32 v2, v0, v2
	s_and_saveexec_b32 s11, s3
	s_cbranch_execz .LBB1436_58
; %bb.57:                               ;   in Loop: Header=BB1436_12 Depth=1
	ds_store_b32 v44, v2
.LBB1436_58:                            ;   in Loop: Header=BB1436_12 Depth=1
	s_or_b32 exec_lo, exec_lo, s11
	v_and_b32_e32 v0, 7, v72
	s_waitcnt lgkmcnt(0)
	s_barrier
	buffer_gl0_inv
	s_and_saveexec_b32 s11, s4
	s_cbranch_execz .LBB1436_60
; %bb.59:                               ;   in Loop: Header=BB1436_12 Depth=1
	ds_load_b32 v3, v45
	v_cmp_ne_u32_e32 vcc_lo, 0, v0
	s_waitcnt lgkmcnt(0)
	v_mov_b32_dpp v4, v3 row_shr:1 row_mask:0xf bank_mask:0xf
	s_delay_alu instid0(VALU_DEP_1) | instskip(SKIP_1) | instid1(VALU_DEP_2)
	v_cndmask_b32_e32 v4, 0, v4, vcc_lo
	v_cmp_lt_u32_e32 vcc_lo, 1, v0
	v_add_nc_u32_e32 v3, v4, v3
	s_delay_alu instid0(VALU_DEP_1) | instskip(NEXT) | instid1(VALU_DEP_1)
	v_mov_b32_dpp v4, v3 row_shr:2 row_mask:0xf bank_mask:0xf
	v_cndmask_b32_e32 v4, 0, v4, vcc_lo
	v_cmp_lt_u32_e32 vcc_lo, 3, v0
	s_delay_alu instid0(VALU_DEP_2) | instskip(NEXT) | instid1(VALU_DEP_1)
	v_add_nc_u32_e32 v3, v3, v4
	v_mov_b32_dpp v4, v3 row_shr:4 row_mask:0xf bank_mask:0xf
	s_delay_alu instid0(VALU_DEP_1) | instskip(NEXT) | instid1(VALU_DEP_1)
	v_cndmask_b32_e32 v4, 0, v4, vcc_lo
	v_add_nc_u32_e32 v3, v3, v4
	ds_store_b32 v45, v3
.LBB1436_60:                            ;   in Loop: Header=BB1436_12 Depth=1
	s_or_b32 exec_lo, exec_lo, s11
	v_mov_b32_e32 v3, 0
	s_waitcnt lgkmcnt(0)
	s_barrier
	buffer_gl0_inv
	s_and_saveexec_b32 s11, s5
	s_cbranch_execz .LBB1436_62
; %bb.61:                               ;   in Loop: Header=BB1436_12 Depth=1
	ds_load_b32 v3, v46
.LBB1436_62:                            ;   in Loop: Header=BB1436_12 Depth=1
	s_or_b32 exec_lo, exec_lo, s11
	v_add_nc_u32_e32 v4, -1, v72
	s_waitcnt lgkmcnt(0)
	v_add_nc_u32_e32 v2, v3, v2
	v_cmp_eq_u32_e64 s11, 0, v72
	s_barrier
	v_cmp_gt_i32_e32 vcc_lo, 0, v4
	buffer_gl0_inv
	v_cndmask_b32_e32 v4, v4, v72, vcc_lo
	s_delay_alu instid0(VALU_DEP_1)
	v_lshlrev_b32_e32 v73, 2, v4
	ds_bpermute_b32 v2, v73, v2
	s_and_saveexec_b32 s12, s2
	s_cbranch_execz .LBB1436_64
; %bb.63:                               ;   in Loop: Header=BB1436_12 Depth=1
	s_waitcnt lgkmcnt(0)
	v_cndmask_b32_e64 v2, v2, v3, s11
	s_delay_alu instid0(VALU_DEP_1)
	v_add_nc_u32_e32 v2, s27, v2
	ds_store_b32 v31, v2
.LBB1436_64:                            ;   in Loop: Header=BB1436_12 Depth=1
	s_or_b32 exec_lo, exec_lo, s12
	s_clause 0x1
	s_load_b32 s12, s[28:29], 0x4
	s_load_b32 s16, s[28:29], 0xc
	v_lshlrev_b32_e32 v3, 3, v72
	v_cmp_lt_u32_e64 s14, 3, v0
	v_or_b32_e32 v74, v72, v47
	s_mov_b32 s50, s35
	s_mov_b32 s24, s27
	v_add_co_u32 v75, vcc_lo, v54, v3
	v_add_co_ci_u32_e32 v76, vcc_lo, 0, v55, vcc_lo
	v_or_b32_e32 v77, 32, v74
	v_or_b32_e32 v78, 64, v74
	;; [unrolled: 1-line block ×7, first 2 shown]
                                        ; implicit-def: $vgpr10_vgpr11
                                        ; implicit-def: $vgpr12_vgpr13
                                        ; implicit-def: $vgpr14_vgpr15
                                        ; implicit-def: $vgpr16_vgpr17
                                        ; implicit-def: $vgpr21_vgpr22
                                        ; implicit-def: $vgpr23_vgpr24
                                        ; implicit-def: $vgpr25_vgpr26
                                        ; implicit-def: $vgpr27_vgpr28
                                        ; implicit-def: $vgpr89
                                        ; implicit-def: $vgpr90
                                        ; implicit-def: $vgpr91
                                        ; implicit-def: $vgpr92
                                        ; implicit-def: $vgpr93
                                        ; implicit-def: $vgpr94
                                        ; implicit-def: $vgpr95
                                        ; implicit-def: $vgpr96
	s_waitcnt lgkmcnt(0)
	s_cmp_lt_u32 s15, s12
	s_cselect_b32 s12, 14, 20
	s_delay_alu instid0(SALU_CYCLE_1)
	s_add_u32 s12, s28, s12
	s_addc_u32 s13, s29, 0
	s_and_b32 s16, s16, 0xffff
	global_load_u16 v2, v20, s[12:13]
	v_cmp_eq_u32_e64 s12, 0, v0
	v_cmp_lt_u32_e64 s13, 1, v0
	v_lshlrev_b32_e32 v0, 2, v72
	s_delay_alu instid0(VALU_DEP_1) | instskip(SKIP_1) | instid1(VALU_DEP_2)
	v_add_co_u32 v84, vcc_lo, v56, v0
	v_add_co_ci_u32_e32 v85, vcc_lo, 0, v57, vcc_lo
	v_add_co_u32 v87, vcc_lo, 0x380, v84
	s_delay_alu instid0(VALU_DEP_2) | instskip(SKIP_2) | instid1(VALU_DEP_1)
	v_add_co_ci_u32_e32 v88, vcc_lo, 0, v85, vcc_lo
	s_waitcnt vmcnt(0)
	v_mad_u32_u24 v4, v48, v2, v50
	v_mad_u64_u32 v[2:3], null, v4, s16, v[18:19]
	s_delay_alu instid0(VALU_DEP_1)
	v_lshrrev_b32_e32 v86, 5, v2
	s_branch .LBB1436_66
.LBB1436_65:                            ;   in Loop: Header=BB1436_66 Depth=2
	s_or_b32 exec_lo, exec_lo, s16
	s_addk_i32 s50, 0xf800
	s_cmp_lt_u32 s51, s33
	s_mov_b32 s24, s51
	s_cbranch_scc0 .LBB1436_178
.LBB1436_66:                            ;   Parent Loop BB1436_12 Depth=1
                                        ; =>  This Inner Loop Header: Depth=2
	s_add_i32 s51, s24, 0x800
	s_delay_alu instid0(SALU_CYCLE_1)
	s_cmp_gt_u32 s51, s33
	s_cbranch_scc1 .LBB1436_68
; %bb.67:                               ;   in Loop: Header=BB1436_66 Depth=2
	s_mov_b32 s17, 0
	s_mov_b32 s16, s24
	s_delay_alu instid0(SALU_CYCLE_1) | instskip(NEXT) | instid1(SALU_CYCLE_1)
	s_lshl_b64 s[18:19], s[16:17], 2
	v_add_co_u32 v8, vcc_lo, v84, s18
	v_add_co_ci_u32_e32 v9, vcc_lo, s19, v85, vcc_lo
	s_mov_b32 s19, -1
	s_movk_i32 s18, 0x800
	s_clause 0x6
	global_load_b32 v2, v[8:9], off
	global_load_b32 v3, v[8:9], off offset:128
	global_load_b32 v4, v[8:9], off offset:256
	;; [unrolled: 1-line block ×6, first 2 shown]
	s_cbranch_execz .LBB1436_69
	s_branch .LBB1436_78
.LBB1436_68:                            ;   in Loop: Header=BB1436_66 Depth=2
	s_mov_b32 s17, -1
	s_mov_b32 s19, 0
                                        ; implicit-def: $sgpr18
                                        ; implicit-def: $vgpr2_vgpr3_vgpr4_vgpr5_vgpr6_vgpr7_vgpr8_vgpr9
.LBB1436_69:                            ;   in Loop: Header=BB1436_66 Depth=2
	s_lshl_b64 s[16:17], s[24:25], 2
	s_mov_b32 s37, s36
	v_add_co_u32 v29, vcc_lo, v84, s16
	s_mov_b32 s38, s36
	s_mov_b32 s39, s36
	;; [unrolled: 1-line block ×6, first 2 shown]
	s_waitcnt vmcnt(0)
	v_dual_mov_b32 v2, s36 :: v_dual_mov_b32 v3, s37
	v_add_co_ci_u32_e32 v30, vcc_lo, s17, v85, vcc_lo
	v_dual_mov_b32 v4, s38 :: v_dual_mov_b32 v5, s39
	v_dual_mov_b32 v6, s40 :: v_dual_mov_b32 v7, s41
	;; [unrolled: 1-line block ×3, first 2 shown]
	s_mov_b32 s16, exec_lo
	v_cmpx_gt_u32_e64 s50, v74
	s_cbranch_execz .LBB1436_172
; %bb.70:                               ;   in Loop: Header=BB1436_66 Depth=2
	global_load_b32 v0, v[29:30], off
	v_mov_b32_e32 v7, v1
	v_mov_b32_e32 v2, v1
	;; [unrolled: 1-line block ×6, first 2 shown]
	s_waitcnt vmcnt(0)
	v_mov_b32_e32 v9, v7
	s_delay_alu instid0(VALU_DEP_2)
	v_dual_mov_b32 v8, v6 :: v_dual_mov_b32 v7, v5
	v_mov_b32_e32 v6, v4
	v_mov_b32_e32 v5, v3
	;; [unrolled: 1-line block ×5, first 2 shown]
	s_or_b32 exec_lo, exec_lo, s16
	s_delay_alu instid0(SALU_CYCLE_1)
	s_mov_b32 s16, exec_lo
	v_cmpx_gt_u32_e64 s50, v77
	s_cbranch_execnz .LBB1436_173
.LBB1436_71:                            ;   in Loop: Header=BB1436_66 Depth=2
	s_or_b32 exec_lo, exec_lo, s16
	s_delay_alu instid0(SALU_CYCLE_1)
	s_mov_b32 s16, exec_lo
	v_cmpx_gt_u32_e64 s50, v78
	s_cbranch_execz .LBB1436_174
.LBB1436_72:                            ;   in Loop: Header=BB1436_66 Depth=2
	global_load_b32 v4, v[29:30], off offset:256
	s_or_b32 exec_lo, exec_lo, s16
	s_delay_alu instid0(SALU_CYCLE_1)
	s_mov_b32 s16, exec_lo
	v_cmpx_gt_u32_e64 s50, v79
	s_cbranch_execnz .LBB1436_175
.LBB1436_73:                            ;   in Loop: Header=BB1436_66 Depth=2
	s_or_b32 exec_lo, exec_lo, s16
	s_delay_alu instid0(SALU_CYCLE_1)
	s_mov_b32 s16, exec_lo
	v_cmpx_gt_u32_e64 s50, v80
	s_cbranch_execz .LBB1436_176
.LBB1436_74:                            ;   in Loop: Header=BB1436_66 Depth=2
	global_load_b32 v6, v[29:30], off offset:512
	s_or_b32 exec_lo, exec_lo, s16
	s_delay_alu instid0(SALU_CYCLE_1)
	s_mov_b32 s16, exec_lo
	v_cmpx_gt_u32_e64 s50, v81
	s_cbranch_execnz .LBB1436_177
.LBB1436_75:                            ;   in Loop: Header=BB1436_66 Depth=2
	s_or_b32 exec_lo, exec_lo, s16
	s_delay_alu instid0(SALU_CYCLE_1)
	s_mov_b32 s16, exec_lo
	v_cmpx_gt_u32_e64 s50, v82
	s_cbranch_execz .LBB1436_77
.LBB1436_76:                            ;   in Loop: Header=BB1436_66 Depth=2
	global_load_b32 v8, v[29:30], off offset:768
.LBB1436_77:                            ;   in Loop: Header=BB1436_66 Depth=2
	s_or_b32 exec_lo, exec_lo, s16
	v_cmp_gt_u32_e64 s19, s50, v83
	s_sub_i32 s18, s33, s24
	s_mov_b64 s[16:17], s[24:25]
.LBB1436_78:                            ;   in Loop: Header=BB1436_66 Depth=2
	v_mov_b32_e32 v0, s50
	s_delay_alu instid0(VALU_DEP_2)
	s_and_saveexec_b32 s20, s19
	s_cbranch_execz .LBB1436_80
; %bb.79:                               ;   in Loop: Header=BB1436_66 Depth=2
	s_lshl_b64 s[16:17], s[16:17], 2
	v_mov_b32_e32 v0, s18
	v_add_co_u32 v29, vcc_lo, v87, s16
	v_add_co_ci_u32_e32 v30, vcc_lo, s17, v88, vcc_lo
	global_load_b32 v9, v[29:30], off
.LBB1436_80:                            ;   in Loop: Header=BB1436_66 Depth=2
	s_or_b32 exec_lo, exec_lo, s20
	s_waitcnt vmcnt(6)
	v_cmp_lt_i32_e32 vcc_lo, -1, v2
	ds_store_b32 v49, v20 offset:1056
	ds_store_2addr_b32 v51, v20, v20 offset0:1 offset1:2
	ds_store_2addr_b32 v51, v20, v20 offset0:3 offset1:4
	;; [unrolled: 1-line block ×4, first 2 shown]
	s_waitcnt vmcnt(0) lgkmcnt(0)
	s_barrier
	v_cndmask_b32_e64 v19, -1, 0x80000000, vcc_lo
	buffer_gl0_inv
	; wave barrier
	v_xor_b32_e32 v19, v19, v2
	s_delay_alu instid0(VALU_DEP_1) | instskip(SKIP_1) | instid1(VALU_DEP_1)
	v_cmp_ne_u32_e32 vcc_lo, 0x7fffffff, v19
	v_cndmask_b32_e32 v2, 0x80000000, v19, vcc_lo
	v_lshrrev_b32_e32 v2, s30, v2
	s_delay_alu instid0(VALU_DEP_1) | instskip(NEXT) | instid1(VALU_DEP_1)
	v_and_b32_e32 v30, s31, v2
	v_lshlrev_b32_e32 v29, 30, v30
	v_and_b32_e32 v2, 1, v30
	v_lshlrev_b32_e32 v97, 29, v30
	v_lshlrev_b32_e32 v98, 28, v30
	;; [unrolled: 1-line block ×3, first 2 shown]
	v_not_b32_e32 v103, v29
	v_add_co_u32 v2, s16, v2, -1
	s_delay_alu instid0(VALU_DEP_1)
	v_cndmask_b32_e64 v99, 0, 1, s16
	v_cmp_gt_i32_e64 s16, 0, v29
	v_not_b32_e32 v29, v97
	v_ashrrev_i32_e32 v103, 31, v103
	v_lshlrev_b32_e32 v101, 26, v30
	v_cmp_ne_u32_e32 vcc_lo, 0, v99
	v_lshlrev_b32_e32 v102, 25, v30
	v_ashrrev_i32_e32 v29, 31, v29
	v_xor_b32_e32 v103, s16, v103
	v_cmp_gt_i32_e64 s16, 0, v98
	v_xor_b32_e32 v2, vcc_lo, v2
	v_cmp_gt_i32_e32 vcc_lo, 0, v97
	v_not_b32_e32 v97, v98
	v_not_b32_e32 v98, v100
	v_lshlrev_b32_e32 v99, 24, v30
	v_and_b32_e32 v2, exec_lo, v2
	v_xor_b32_e32 v29, vcc_lo, v29
	v_ashrrev_i32_e32 v97, 31, v97
	v_cmp_gt_i32_e32 vcc_lo, 0, v100
	v_not_b32_e32 v100, v101
	v_and_b32_e32 v2, v2, v103
	v_ashrrev_i32_e32 v98, 31, v98
	v_xor_b32_e32 v97, s16, v97
	v_cmp_gt_i32_e64 s16, 0, v101
	v_ashrrev_i32_e32 v100, 31, v100
	v_and_b32_e32 v2, v2, v29
	v_not_b32_e32 v29, v102
	v_xor_b32_e32 v98, vcc_lo, v98
	v_cmp_gt_i32_e32 vcc_lo, 0, v102
	v_xor_b32_e32 v100, s16, v100
	v_and_b32_e32 v2, v2, v97
	v_not_b32_e32 v97, v99
	v_ashrrev_i32_e32 v29, 31, v29
	v_cmp_gt_i32_e64 s16, 0, v99
	v_mad_u32_u24 v30, v30, 9, v86
	v_and_b32_e32 v2, v2, v98
	v_ashrrev_i32_e32 v97, 31, v97
	v_xor_b32_e32 v29, vcc_lo, v29
	s_delay_alu instid0(VALU_DEP_3) | instskip(NEXT) | instid1(VALU_DEP_3)
	v_and_b32_e32 v2, v2, v100
	v_xor_b32_e32 v97, s16, v97
	s_delay_alu instid0(VALU_DEP_2) | instskip(NEXT) | instid1(VALU_DEP_1)
	v_and_b32_e32 v2, v2, v29
	v_and_b32_e32 v2, v2, v97
	v_lshl_add_u32 v97, v30, 2, 0x420
	s_delay_alu instid0(VALU_DEP_2) | instskip(SKIP_1) | instid1(VALU_DEP_2)
	v_mbcnt_lo_u32_b32 v29, v2, 0
	v_cmp_ne_u32_e64 s16, 0, v2
	v_cmp_eq_u32_e32 vcc_lo, 0, v29
	s_delay_alu instid0(VALU_DEP_2) | instskip(NEXT) | instid1(SALU_CYCLE_1)
	s_and_b32 s17, s16, vcc_lo
	s_and_saveexec_b32 s16, s17
	s_cbranch_execz .LBB1436_82
; %bb.81:                               ;   in Loop: Header=BB1436_66 Depth=2
	v_bcnt_u32_b32 v2, v2, 0
	ds_store_b32 v97, v2
.LBB1436_82:                            ;   in Loop: Header=BB1436_66 Depth=2
	s_or_b32 exec_lo, exec_lo, s16
	v_cmp_lt_i32_e32 vcc_lo, -1, v3
	; wave barrier
	v_cndmask_b32_e64 v2, -1, 0x80000000, vcc_lo
	s_delay_alu instid0(VALU_DEP_1) | instskip(NEXT) | instid1(VALU_DEP_1)
	v_xor_b32_e32 v30, v2, v3
	v_cmp_ne_u32_e32 vcc_lo, 0x7fffffff, v30
	v_cndmask_b32_e32 v2, 0x80000000, v30, vcc_lo
	s_delay_alu instid0(VALU_DEP_1) | instskip(NEXT) | instid1(VALU_DEP_1)
	v_lshrrev_b32_e32 v2, s30, v2
	v_and_b32_e32 v2, s31, v2
	s_delay_alu instid0(VALU_DEP_1)
	v_and_b32_e32 v3, 1, v2
	v_lshlrev_b32_e32 v98, 30, v2
	v_lshlrev_b32_e32 v99, 29, v2
	v_lshlrev_b32_e32 v100, 28, v2
	v_lshlrev_b32_e32 v102, 27, v2
	v_add_co_u32 v3, s16, v3, -1
	s_delay_alu instid0(VALU_DEP_1)
	v_cndmask_b32_e64 v101, 0, 1, s16
	v_not_b32_e32 v105, v98
	v_cmp_gt_i32_e64 s16, 0, v98
	v_not_b32_e32 v98, v99
	v_lshlrev_b32_e32 v103, 26, v2
	v_cmp_ne_u32_e32 vcc_lo, 0, v101
	v_ashrrev_i32_e32 v105, 31, v105
	v_lshlrev_b32_e32 v104, 25, v2
	v_ashrrev_i32_e32 v98, 31, v98
	v_lshlrev_b32_e32 v101, 24, v2
	v_xor_b32_e32 v3, vcc_lo, v3
	v_cmp_gt_i32_e32 vcc_lo, 0, v99
	v_not_b32_e32 v99, v100
	v_xor_b32_e32 v105, s16, v105
	v_cmp_gt_i32_e64 s16, 0, v100
	v_and_b32_e32 v3, exec_lo, v3
	v_not_b32_e32 v100, v102
	v_ashrrev_i32_e32 v99, 31, v99
	v_xor_b32_e32 v98, vcc_lo, v98
	v_cmp_gt_i32_e32 vcc_lo, 0, v102
	v_and_b32_e32 v3, v3, v105
	v_not_b32_e32 v102, v103
	v_ashrrev_i32_e32 v100, 31, v100
	v_xor_b32_e32 v99, s16, v99
	v_cmp_gt_i32_e64 s16, 0, v103
	v_and_b32_e32 v3, v3, v98
	v_not_b32_e32 v98, v104
	v_ashrrev_i32_e32 v102, 31, v102
	v_xor_b32_e32 v100, vcc_lo, v100
	v_cmp_gt_i32_e32 vcc_lo, 0, v104
	v_and_b32_e32 v3, v3, v99
	v_not_b32_e32 v99, v101
	v_ashrrev_i32_e32 v98, 31, v98
	v_xor_b32_e32 v102, s16, v102
	v_mul_u32_u24_e32 v2, 9, v2
	v_and_b32_e32 v3, v3, v100
	v_cmp_gt_i32_e64 s16, 0, v101
	v_ashrrev_i32_e32 v99, 31, v99
	v_xor_b32_e32 v98, vcc_lo, v98
	v_add_lshl_u32 v100, v2, v86, 2
	v_and_b32_e32 v3, v3, v102
	s_delay_alu instid0(VALU_DEP_4) | instskip(NEXT) | instid1(VALU_DEP_3)
	v_xor_b32_e32 v2, s16, v99
	v_add_nc_u32_e32 v101, 0x420, v100
	s_delay_alu instid0(VALU_DEP_3) | instskip(SKIP_2) | instid1(VALU_DEP_1)
	v_and_b32_e32 v3, v3, v98
	ds_load_b32 v98, v100 offset:1056
	; wave barrier
	v_and_b32_e32 v2, v3, v2
	v_mbcnt_lo_u32_b32 v99, v2, 0
	v_cmp_ne_u32_e64 s16, 0, v2
	s_delay_alu instid0(VALU_DEP_2) | instskip(NEXT) | instid1(VALU_DEP_2)
	v_cmp_eq_u32_e32 vcc_lo, 0, v99
	s_and_b32 s17, s16, vcc_lo
	s_delay_alu instid0(SALU_CYCLE_1)
	s_and_saveexec_b32 s16, s17
	s_cbranch_execz .LBB1436_84
; %bb.83:                               ;   in Loop: Header=BB1436_66 Depth=2
	s_waitcnt lgkmcnt(0)
	v_bcnt_u32_b32 v2, v2, v98
	ds_store_b32 v101, v2
.LBB1436_84:                            ;   in Loop: Header=BB1436_66 Depth=2
	s_or_b32 exec_lo, exec_lo, s16
	v_cmp_lt_i32_e32 vcc_lo, -1, v4
	; wave barrier
	v_cndmask_b32_e64 v2, -1, 0x80000000, vcc_lo
	s_delay_alu instid0(VALU_DEP_1) | instskip(NEXT) | instid1(VALU_DEP_1)
	v_xor_b32_e32 v100, v2, v4
	v_cmp_ne_u32_e32 vcc_lo, 0x7fffffff, v100
	v_cndmask_b32_e32 v2, 0x80000000, v100, vcc_lo
	s_delay_alu instid0(VALU_DEP_1) | instskip(NEXT) | instid1(VALU_DEP_1)
	v_lshrrev_b32_e32 v2, s30, v2
	v_and_b32_e32 v2, s31, v2
	s_delay_alu instid0(VALU_DEP_1)
	v_and_b32_e32 v3, 1, v2
	v_lshlrev_b32_e32 v4, 30, v2
	v_lshlrev_b32_e32 v102, 29, v2
	;; [unrolled: 1-line block ×4, first 2 shown]
	v_add_co_u32 v3, s16, v3, -1
	s_delay_alu instid0(VALU_DEP_1)
	v_cndmask_b32_e64 v104, 0, 1, s16
	v_not_b32_e32 v108, v4
	v_cmp_gt_i32_e64 s16, 0, v4
	v_not_b32_e32 v4, v102
	v_lshlrev_b32_e32 v106, 26, v2
	v_cmp_ne_u32_e32 vcc_lo, 0, v104
	v_ashrrev_i32_e32 v108, 31, v108
	v_lshlrev_b32_e32 v107, 25, v2
	v_ashrrev_i32_e32 v4, 31, v4
	v_lshlrev_b32_e32 v104, 24, v2
	v_xor_b32_e32 v3, vcc_lo, v3
	v_cmp_gt_i32_e32 vcc_lo, 0, v102
	v_not_b32_e32 v102, v103
	v_xor_b32_e32 v108, s16, v108
	v_cmp_gt_i32_e64 s16, 0, v103
	v_and_b32_e32 v3, exec_lo, v3
	v_not_b32_e32 v103, v105
	v_ashrrev_i32_e32 v102, 31, v102
	v_xor_b32_e32 v4, vcc_lo, v4
	v_cmp_gt_i32_e32 vcc_lo, 0, v105
	v_and_b32_e32 v3, v3, v108
	v_not_b32_e32 v105, v106
	v_ashrrev_i32_e32 v103, 31, v103
	v_xor_b32_e32 v102, s16, v102
	v_cmp_gt_i32_e64 s16, 0, v106
	v_and_b32_e32 v3, v3, v4
	v_not_b32_e32 v4, v107
	v_ashrrev_i32_e32 v105, 31, v105
	v_xor_b32_e32 v103, vcc_lo, v103
	v_cmp_gt_i32_e32 vcc_lo, 0, v107
	v_and_b32_e32 v3, v3, v102
	v_not_b32_e32 v102, v104
	v_ashrrev_i32_e32 v4, 31, v4
	v_xor_b32_e32 v105, s16, v105
	v_mul_u32_u24_e32 v2, 9, v2
	v_and_b32_e32 v3, v3, v103
	v_cmp_gt_i32_e64 s16, 0, v104
	v_ashrrev_i32_e32 v102, 31, v102
	v_xor_b32_e32 v4, vcc_lo, v4
	v_add_lshl_u32 v103, v2, v86, 2
	v_and_b32_e32 v3, v3, v105
	s_delay_alu instid0(VALU_DEP_4) | instskip(SKIP_3) | instid1(VALU_DEP_2)
	v_xor_b32_e32 v2, s16, v102
	ds_load_b32 v102, v103 offset:1056
	v_and_b32_e32 v3, v3, v4
	v_add_nc_u32_e32 v105, 0x420, v103
	; wave barrier
	v_and_b32_e32 v2, v3, v2
	s_delay_alu instid0(VALU_DEP_1) | instskip(SKIP_1) | instid1(VALU_DEP_2)
	v_mbcnt_lo_u32_b32 v104, v2, 0
	v_cmp_ne_u32_e64 s16, 0, v2
	v_cmp_eq_u32_e32 vcc_lo, 0, v104
	s_delay_alu instid0(VALU_DEP_2) | instskip(NEXT) | instid1(SALU_CYCLE_1)
	s_and_b32 s17, s16, vcc_lo
	s_and_saveexec_b32 s16, s17
	s_cbranch_execz .LBB1436_86
; %bb.85:                               ;   in Loop: Header=BB1436_66 Depth=2
	s_waitcnt lgkmcnt(0)
	v_bcnt_u32_b32 v2, v2, v102
	ds_store_b32 v105, v2
.LBB1436_86:                            ;   in Loop: Header=BB1436_66 Depth=2
	s_or_b32 exec_lo, exec_lo, s16
	v_cmp_lt_i32_e32 vcc_lo, -1, v5
	; wave barrier
	v_cndmask_b32_e64 v2, -1, 0x80000000, vcc_lo
	s_delay_alu instid0(VALU_DEP_1) | instskip(NEXT) | instid1(VALU_DEP_1)
	v_xor_b32_e32 v103, v2, v5
	v_cmp_ne_u32_e32 vcc_lo, 0x7fffffff, v103
	v_cndmask_b32_e32 v2, 0x80000000, v103, vcc_lo
	s_delay_alu instid0(VALU_DEP_1) | instskip(NEXT) | instid1(VALU_DEP_1)
	v_lshrrev_b32_e32 v2, s30, v2
	v_and_b32_e32 v2, s31, v2
	s_delay_alu instid0(VALU_DEP_1)
	v_and_b32_e32 v3, 1, v2
	v_lshlrev_b32_e32 v4, 30, v2
	v_lshlrev_b32_e32 v5, 29, v2
	;; [unrolled: 1-line block ×4, first 2 shown]
	v_add_co_u32 v3, s16, v3, -1
	s_delay_alu instid0(VALU_DEP_1)
	v_cndmask_b32_e64 v107, 0, 1, s16
	v_not_b32_e32 v111, v4
	v_cmp_gt_i32_e64 s16, 0, v4
	v_not_b32_e32 v4, v5
	v_lshlrev_b32_e32 v109, 26, v2
	v_cmp_ne_u32_e32 vcc_lo, 0, v107
	v_ashrrev_i32_e32 v111, 31, v111
	v_lshlrev_b32_e32 v110, 25, v2
	v_ashrrev_i32_e32 v4, 31, v4
	v_lshlrev_b32_e32 v107, 24, v2
	v_xor_b32_e32 v3, vcc_lo, v3
	v_cmp_gt_i32_e32 vcc_lo, 0, v5
	v_not_b32_e32 v5, v106
	v_xor_b32_e32 v111, s16, v111
	v_cmp_gt_i32_e64 s16, 0, v106
	v_and_b32_e32 v3, exec_lo, v3
	v_not_b32_e32 v106, v108
	v_ashrrev_i32_e32 v5, 31, v5
	v_xor_b32_e32 v4, vcc_lo, v4
	v_cmp_gt_i32_e32 vcc_lo, 0, v108
	v_and_b32_e32 v3, v3, v111
	v_not_b32_e32 v108, v109
	v_ashrrev_i32_e32 v106, 31, v106
	v_xor_b32_e32 v5, s16, v5
	v_cmp_gt_i32_e64 s16, 0, v109
	v_and_b32_e32 v3, v3, v4
	v_not_b32_e32 v4, v110
	v_ashrrev_i32_e32 v108, 31, v108
	v_xor_b32_e32 v106, vcc_lo, v106
	v_cmp_gt_i32_e32 vcc_lo, 0, v110
	v_and_b32_e32 v3, v3, v5
	v_not_b32_e32 v5, v107
	v_ashrrev_i32_e32 v4, 31, v4
	v_xor_b32_e32 v108, s16, v108
	v_mul_u32_u24_e32 v2, 9, v2
	v_and_b32_e32 v3, v3, v106
	v_cmp_gt_i32_e64 s16, 0, v107
	v_ashrrev_i32_e32 v5, 31, v5
	v_xor_b32_e32 v4, vcc_lo, v4
	v_add_lshl_u32 v106, v2, v86, 2
	v_and_b32_e32 v3, v3, v108
	s_delay_alu instid0(VALU_DEP_4) | instskip(SKIP_3) | instid1(VALU_DEP_2)
	v_xor_b32_e32 v2, s16, v5
	ds_load_b32 v107, v106 offset:1056
	v_and_b32_e32 v3, v3, v4
	v_add_nc_u32_e32 v109, 0x420, v106
	; wave barrier
	v_and_b32_e32 v2, v3, v2
	s_delay_alu instid0(VALU_DEP_1) | instskip(SKIP_1) | instid1(VALU_DEP_2)
	v_mbcnt_lo_u32_b32 v108, v2, 0
	v_cmp_ne_u32_e64 s16, 0, v2
	v_cmp_eq_u32_e32 vcc_lo, 0, v108
	s_delay_alu instid0(VALU_DEP_2) | instskip(NEXT) | instid1(SALU_CYCLE_1)
	s_and_b32 s17, s16, vcc_lo
	s_and_saveexec_b32 s16, s17
	s_cbranch_execz .LBB1436_88
; %bb.87:                               ;   in Loop: Header=BB1436_66 Depth=2
	s_waitcnt lgkmcnt(0)
	v_bcnt_u32_b32 v2, v2, v107
	ds_store_b32 v109, v2
.LBB1436_88:                            ;   in Loop: Header=BB1436_66 Depth=2
	s_or_b32 exec_lo, exec_lo, s16
	v_cmp_lt_i32_e32 vcc_lo, -1, v6
	; wave barrier
	v_cndmask_b32_e64 v2, -1, 0x80000000, vcc_lo
	s_delay_alu instid0(VALU_DEP_1) | instskip(NEXT) | instid1(VALU_DEP_1)
	v_xor_b32_e32 v106, v2, v6
	v_cmp_ne_u32_e32 vcc_lo, 0x7fffffff, v106
	v_cndmask_b32_e32 v2, 0x80000000, v106, vcc_lo
	s_delay_alu instid0(VALU_DEP_1) | instskip(NEXT) | instid1(VALU_DEP_1)
	v_lshrrev_b32_e32 v2, s30, v2
	v_and_b32_e32 v2, s31, v2
	s_delay_alu instid0(VALU_DEP_1)
	v_and_b32_e32 v3, 1, v2
	v_lshlrev_b32_e32 v4, 30, v2
	v_lshlrev_b32_e32 v5, 29, v2
	;; [unrolled: 1-line block ×4, first 2 shown]
	v_add_co_u32 v3, s16, v3, -1
	s_delay_alu instid0(VALU_DEP_1)
	v_cndmask_b32_e64 v110, 0, 1, s16
	v_not_b32_e32 v114, v4
	v_cmp_gt_i32_e64 s16, 0, v4
	v_not_b32_e32 v4, v5
	v_lshlrev_b32_e32 v112, 26, v2
	v_cmp_ne_u32_e32 vcc_lo, 0, v110
	v_ashrrev_i32_e32 v114, 31, v114
	v_lshlrev_b32_e32 v113, 25, v2
	v_ashrrev_i32_e32 v4, 31, v4
	v_lshlrev_b32_e32 v110, 24, v2
	v_xor_b32_e32 v3, vcc_lo, v3
	v_cmp_gt_i32_e32 vcc_lo, 0, v5
	v_not_b32_e32 v5, v6
	v_xor_b32_e32 v114, s16, v114
	v_cmp_gt_i32_e64 s16, 0, v6
	v_and_b32_e32 v3, exec_lo, v3
	v_not_b32_e32 v6, v111
	v_ashrrev_i32_e32 v5, 31, v5
	v_xor_b32_e32 v4, vcc_lo, v4
	v_cmp_gt_i32_e32 vcc_lo, 0, v111
	v_and_b32_e32 v3, v3, v114
	v_not_b32_e32 v111, v112
	v_ashrrev_i32_e32 v6, 31, v6
	v_xor_b32_e32 v5, s16, v5
	v_cmp_gt_i32_e64 s16, 0, v112
	v_and_b32_e32 v3, v3, v4
	v_not_b32_e32 v4, v113
	v_ashrrev_i32_e32 v111, 31, v111
	v_xor_b32_e32 v6, vcc_lo, v6
	v_cmp_gt_i32_e32 vcc_lo, 0, v113
	v_and_b32_e32 v3, v3, v5
	v_not_b32_e32 v5, v110
	v_ashrrev_i32_e32 v4, 31, v4
	v_xor_b32_e32 v111, s16, v111
	v_mul_u32_u24_e32 v2, 9, v2
	v_and_b32_e32 v3, v3, v6
	v_cmp_gt_i32_e64 s16, 0, v110
	v_ashrrev_i32_e32 v5, 31, v5
	v_xor_b32_e32 v4, vcc_lo, v4
	v_add_lshl_u32 v6, v2, v86, 2
	v_and_b32_e32 v3, v3, v111
	s_delay_alu instid0(VALU_DEP_4) | instskip(SKIP_3) | instid1(VALU_DEP_2)
	v_xor_b32_e32 v2, s16, v5
	ds_load_b32 v111, v6 offset:1056
	v_and_b32_e32 v3, v3, v4
	v_add_nc_u32_e32 v113, 0x420, v6
	; wave barrier
	v_and_b32_e32 v2, v3, v2
	s_delay_alu instid0(VALU_DEP_1) | instskip(SKIP_1) | instid1(VALU_DEP_2)
	v_mbcnt_lo_u32_b32 v112, v2, 0
	v_cmp_ne_u32_e64 s16, 0, v2
	v_cmp_eq_u32_e32 vcc_lo, 0, v112
	s_delay_alu instid0(VALU_DEP_2) | instskip(NEXT) | instid1(SALU_CYCLE_1)
	s_and_b32 s17, s16, vcc_lo
	s_and_saveexec_b32 s16, s17
	s_cbranch_execz .LBB1436_90
; %bb.89:                               ;   in Loop: Header=BB1436_66 Depth=2
	s_waitcnt lgkmcnt(0)
	v_bcnt_u32_b32 v2, v2, v111
	ds_store_b32 v113, v2
.LBB1436_90:                            ;   in Loop: Header=BB1436_66 Depth=2
	s_or_b32 exec_lo, exec_lo, s16
	v_cmp_lt_i32_e32 vcc_lo, -1, v7
	; wave barrier
	v_cndmask_b32_e64 v2, -1, 0x80000000, vcc_lo
	s_delay_alu instid0(VALU_DEP_1) | instskip(NEXT) | instid1(VALU_DEP_1)
	v_xor_b32_e32 v110, v2, v7
	v_cmp_ne_u32_e32 vcc_lo, 0x7fffffff, v110
	v_cndmask_b32_e32 v2, 0x80000000, v110, vcc_lo
	s_delay_alu instid0(VALU_DEP_1) | instskip(NEXT) | instid1(VALU_DEP_1)
	v_lshrrev_b32_e32 v2, s30, v2
	v_and_b32_e32 v2, s31, v2
	s_delay_alu instid0(VALU_DEP_1)
	v_and_b32_e32 v3, 1, v2
	v_lshlrev_b32_e32 v4, 30, v2
	v_lshlrev_b32_e32 v5, 29, v2
	;; [unrolled: 1-line block ×4, first 2 shown]
	v_add_co_u32 v3, s16, v3, -1
	s_delay_alu instid0(VALU_DEP_1)
	v_cndmask_b32_e64 v7, 0, 1, s16
	v_not_b32_e32 v117, v4
	v_cmp_gt_i32_e64 s16, 0, v4
	v_not_b32_e32 v4, v5
	v_lshlrev_b32_e32 v115, 26, v2
	v_cmp_ne_u32_e32 vcc_lo, 0, v7
	v_ashrrev_i32_e32 v117, 31, v117
	v_lshlrev_b32_e32 v116, 25, v2
	v_ashrrev_i32_e32 v4, 31, v4
	v_lshlrev_b32_e32 v7, 24, v2
	v_xor_b32_e32 v3, vcc_lo, v3
	v_cmp_gt_i32_e32 vcc_lo, 0, v5
	v_not_b32_e32 v5, v6
	v_xor_b32_e32 v117, s16, v117
	v_cmp_gt_i32_e64 s16, 0, v6
	v_and_b32_e32 v3, exec_lo, v3
	v_not_b32_e32 v6, v114
	v_ashrrev_i32_e32 v5, 31, v5
	v_xor_b32_e32 v4, vcc_lo, v4
	v_cmp_gt_i32_e32 vcc_lo, 0, v114
	v_and_b32_e32 v3, v3, v117
	v_not_b32_e32 v114, v115
	v_ashrrev_i32_e32 v6, 31, v6
	v_xor_b32_e32 v5, s16, v5
	v_cmp_gt_i32_e64 s16, 0, v115
	v_and_b32_e32 v3, v3, v4
	v_not_b32_e32 v4, v116
	v_ashrrev_i32_e32 v114, 31, v114
	v_xor_b32_e32 v6, vcc_lo, v6
	v_cmp_gt_i32_e32 vcc_lo, 0, v116
	v_and_b32_e32 v3, v3, v5
	v_not_b32_e32 v5, v7
	v_ashrrev_i32_e32 v4, 31, v4
	v_xor_b32_e32 v114, s16, v114
	v_mul_u32_u24_e32 v2, 9, v2
	v_and_b32_e32 v3, v3, v6
	v_cmp_gt_i32_e64 s16, 0, v7
	v_ashrrev_i32_e32 v5, 31, v5
	v_xor_b32_e32 v4, vcc_lo, v4
	v_add_lshl_u32 v6, v2, v86, 2
	v_and_b32_e32 v3, v3, v114
	s_delay_alu instid0(VALU_DEP_4) | instskip(SKIP_3) | instid1(VALU_DEP_2)
	v_xor_b32_e32 v2, s16, v5
	ds_load_b32 v115, v6 offset:1056
	v_and_b32_e32 v3, v3, v4
	v_add_nc_u32_e32 v117, 0x420, v6
	; wave barrier
	v_and_b32_e32 v2, v3, v2
	s_delay_alu instid0(VALU_DEP_1) | instskip(SKIP_1) | instid1(VALU_DEP_2)
	v_mbcnt_lo_u32_b32 v116, v2, 0
	v_cmp_ne_u32_e64 s16, 0, v2
	v_cmp_eq_u32_e32 vcc_lo, 0, v116
	s_delay_alu instid0(VALU_DEP_2) | instskip(NEXT) | instid1(SALU_CYCLE_1)
	s_and_b32 s17, s16, vcc_lo
	s_and_saveexec_b32 s16, s17
	s_cbranch_execz .LBB1436_92
; %bb.91:                               ;   in Loop: Header=BB1436_66 Depth=2
	s_waitcnt lgkmcnt(0)
	v_bcnt_u32_b32 v2, v2, v115
	ds_store_b32 v117, v2
.LBB1436_92:                            ;   in Loop: Header=BB1436_66 Depth=2
	s_or_b32 exec_lo, exec_lo, s16
	v_cmp_lt_i32_e32 vcc_lo, -1, v8
	; wave barrier
	v_cndmask_b32_e64 v2, -1, 0x80000000, vcc_lo
	s_delay_alu instid0(VALU_DEP_1) | instskip(NEXT) | instid1(VALU_DEP_1)
	v_xor_b32_e32 v114, v2, v8
	v_cmp_ne_u32_e32 vcc_lo, 0x7fffffff, v114
	v_cndmask_b32_e32 v2, 0x80000000, v114, vcc_lo
	s_delay_alu instid0(VALU_DEP_1) | instskip(NEXT) | instid1(VALU_DEP_1)
	v_lshrrev_b32_e32 v2, s30, v2
	v_and_b32_e32 v2, s31, v2
	s_delay_alu instid0(VALU_DEP_1)
	v_and_b32_e32 v3, 1, v2
	v_lshlrev_b32_e32 v4, 30, v2
	v_lshlrev_b32_e32 v5, 29, v2
	;; [unrolled: 1-line block ×4, first 2 shown]
	v_add_co_u32 v3, s16, v3, -1
	s_delay_alu instid0(VALU_DEP_1)
	v_cndmask_b32_e64 v7, 0, 1, s16
	v_not_b32_e32 v120, v4
	v_cmp_gt_i32_e64 s16, 0, v4
	v_not_b32_e32 v4, v5
	v_lshlrev_b32_e32 v118, 26, v2
	v_cmp_ne_u32_e32 vcc_lo, 0, v7
	v_ashrrev_i32_e32 v120, 31, v120
	v_lshlrev_b32_e32 v119, 25, v2
	v_ashrrev_i32_e32 v4, 31, v4
	v_lshlrev_b32_e32 v7, 24, v2
	v_xor_b32_e32 v3, vcc_lo, v3
	v_cmp_gt_i32_e32 vcc_lo, 0, v5
	v_not_b32_e32 v5, v6
	v_xor_b32_e32 v120, s16, v120
	v_cmp_gt_i32_e64 s16, 0, v6
	v_and_b32_e32 v3, exec_lo, v3
	v_not_b32_e32 v6, v8
	v_ashrrev_i32_e32 v5, 31, v5
	v_xor_b32_e32 v4, vcc_lo, v4
	v_cmp_gt_i32_e32 vcc_lo, 0, v8
	v_and_b32_e32 v3, v3, v120
	v_not_b32_e32 v8, v118
	v_ashrrev_i32_e32 v6, 31, v6
	v_xor_b32_e32 v5, s16, v5
	v_cmp_gt_i32_e64 s16, 0, v118
	v_and_b32_e32 v3, v3, v4
	v_not_b32_e32 v4, v119
	v_ashrrev_i32_e32 v8, 31, v8
	v_xor_b32_e32 v6, vcc_lo, v6
	v_cmp_gt_i32_e32 vcc_lo, 0, v119
	v_and_b32_e32 v3, v3, v5
	v_not_b32_e32 v5, v7
	v_ashrrev_i32_e32 v4, 31, v4
	v_xor_b32_e32 v8, s16, v8
	v_mul_u32_u24_e32 v2, 9, v2
	v_and_b32_e32 v3, v3, v6
	v_cmp_gt_i32_e64 s16, 0, v7
	v_ashrrev_i32_e32 v5, 31, v5
	v_xor_b32_e32 v4, vcc_lo, v4
	v_add_lshl_u32 v6, v2, v86, 2
	v_and_b32_e32 v3, v3, v8
	s_delay_alu instid0(VALU_DEP_4) | instskip(SKIP_3) | instid1(VALU_DEP_2)
	v_xor_b32_e32 v2, s16, v5
	ds_load_b32 v119, v6 offset:1056
	v_and_b32_e32 v3, v3, v4
	v_add_nc_u32_e32 v121, 0x420, v6
	; wave barrier
	v_and_b32_e32 v2, v3, v2
	s_delay_alu instid0(VALU_DEP_1) | instskip(SKIP_1) | instid1(VALU_DEP_2)
	v_mbcnt_lo_u32_b32 v120, v2, 0
	v_cmp_ne_u32_e64 s16, 0, v2
	v_cmp_eq_u32_e32 vcc_lo, 0, v120
	s_delay_alu instid0(VALU_DEP_2) | instskip(NEXT) | instid1(SALU_CYCLE_1)
	s_and_b32 s17, s16, vcc_lo
	s_and_saveexec_b32 s16, s17
	s_cbranch_execz .LBB1436_94
; %bb.93:                               ;   in Loop: Header=BB1436_66 Depth=2
	s_waitcnt lgkmcnt(0)
	v_bcnt_u32_b32 v2, v2, v119
	ds_store_b32 v121, v2
.LBB1436_94:                            ;   in Loop: Header=BB1436_66 Depth=2
	s_or_b32 exec_lo, exec_lo, s16
	v_cmp_lt_i32_e32 vcc_lo, -1, v9
	; wave barrier
	v_cndmask_b32_e64 v2, -1, 0x80000000, vcc_lo
	s_delay_alu instid0(VALU_DEP_1) | instskip(NEXT) | instid1(VALU_DEP_1)
	v_xor_b32_e32 v118, v2, v9
	v_cmp_ne_u32_e32 vcc_lo, 0x7fffffff, v118
	v_cndmask_b32_e32 v2, 0x80000000, v118, vcc_lo
	s_delay_alu instid0(VALU_DEP_1) | instskip(NEXT) | instid1(VALU_DEP_1)
	v_lshrrev_b32_e32 v2, s30, v2
	v_and_b32_e32 v2, s31, v2
	s_delay_alu instid0(VALU_DEP_1)
	v_and_b32_e32 v3, 1, v2
	v_lshlrev_b32_e32 v4, 30, v2
	v_lshlrev_b32_e32 v5, 29, v2
	;; [unrolled: 1-line block ×4, first 2 shown]
	v_add_co_u32 v3, s16, v3, -1
	s_delay_alu instid0(VALU_DEP_1)
	v_cndmask_b32_e64 v7, 0, 1, s16
	v_not_b32_e32 v123, v4
	v_cmp_gt_i32_e64 s16, 0, v4
	v_not_b32_e32 v4, v5
	v_lshlrev_b32_e32 v9, 26, v2
	v_cmp_ne_u32_e32 vcc_lo, 0, v7
	v_ashrrev_i32_e32 v123, 31, v123
	v_lshlrev_b32_e32 v122, 25, v2
	v_ashrrev_i32_e32 v4, 31, v4
	v_lshlrev_b32_e32 v7, 24, v2
	v_xor_b32_e32 v3, vcc_lo, v3
	v_cmp_gt_i32_e32 vcc_lo, 0, v5
	v_not_b32_e32 v5, v6
	v_xor_b32_e32 v123, s16, v123
	v_cmp_gt_i32_e64 s16, 0, v6
	v_and_b32_e32 v3, exec_lo, v3
	v_not_b32_e32 v6, v8
	v_ashrrev_i32_e32 v5, 31, v5
	v_xor_b32_e32 v4, vcc_lo, v4
	v_cmp_gt_i32_e32 vcc_lo, 0, v8
	v_and_b32_e32 v3, v3, v123
	v_not_b32_e32 v8, v9
	v_ashrrev_i32_e32 v6, 31, v6
	v_xor_b32_e32 v5, s16, v5
	v_cmp_gt_i32_e64 s16, 0, v9
	v_and_b32_e32 v3, v3, v4
	v_not_b32_e32 v4, v122
	v_ashrrev_i32_e32 v8, 31, v8
	v_xor_b32_e32 v6, vcc_lo, v6
	v_cmp_gt_i32_e32 vcc_lo, 0, v122
	v_and_b32_e32 v3, v3, v5
	v_not_b32_e32 v5, v7
	v_ashrrev_i32_e32 v4, 31, v4
	v_xor_b32_e32 v8, s16, v8
	v_mul_u32_u24_e32 v2, 9, v2
	v_and_b32_e32 v3, v3, v6
	v_cmp_gt_i32_e64 s16, 0, v7
	v_ashrrev_i32_e32 v5, 31, v5
	v_xor_b32_e32 v4, vcc_lo, v4
	v_add_lshl_u32 v6, v2, v86, 2
	v_and_b32_e32 v3, v3, v8
	s_delay_alu instid0(VALU_DEP_4) | instskip(SKIP_3) | instid1(VALU_DEP_2)
	v_xor_b32_e32 v2, s16, v5
	ds_load_b32 v122, v6 offset:1056
	v_and_b32_e32 v3, v3, v4
	v_add_nc_u32_e32 v124, 0x420, v6
	; wave barrier
	v_and_b32_e32 v2, v3, v2
	s_delay_alu instid0(VALU_DEP_1) | instskip(SKIP_1) | instid1(VALU_DEP_2)
	v_mbcnt_lo_u32_b32 v123, v2, 0
	v_cmp_ne_u32_e64 s16, 0, v2
	v_cmp_eq_u32_e32 vcc_lo, 0, v123
	s_delay_alu instid0(VALU_DEP_2) | instskip(NEXT) | instid1(SALU_CYCLE_1)
	s_and_b32 s17, s16, vcc_lo
	s_and_saveexec_b32 s16, s17
	s_cbranch_execz .LBB1436_96
; %bb.95:                               ;   in Loop: Header=BB1436_66 Depth=2
	s_waitcnt lgkmcnt(0)
	v_bcnt_u32_b32 v2, v2, v122
	ds_store_b32 v124, v2
.LBB1436_96:                            ;   in Loop: Header=BB1436_66 Depth=2
	s_or_b32 exec_lo, exec_lo, s16
	; wave barrier
	s_waitcnt lgkmcnt(0)
	s_barrier
	buffer_gl0_inv
	ds_load_b32 v125, v49 offset:1056
	ds_load_2addr_b32 v[8:9], v51 offset0:1 offset1:2
	ds_load_2addr_b32 v[6:7], v51 offset0:3 offset1:4
	;; [unrolled: 1-line block ×4, first 2 shown]
	s_waitcnt lgkmcnt(3)
	v_add3_u32 v126, v8, v125, v9
	s_waitcnt lgkmcnt(2)
	s_delay_alu instid0(VALU_DEP_1) | instskip(SKIP_1) | instid1(VALU_DEP_1)
	v_add3_u32 v126, v126, v6, v7
	s_waitcnt lgkmcnt(1)
	v_add3_u32 v126, v126, v2, v3
	s_waitcnt lgkmcnt(0)
	s_delay_alu instid0(VALU_DEP_1) | instskip(NEXT) | instid1(VALU_DEP_1)
	v_add3_u32 v5, v126, v4, v5
	v_mov_b32_dpp v126, v5 row_shr:1 row_mask:0xf bank_mask:0xf
	s_delay_alu instid0(VALU_DEP_1) | instskip(NEXT) | instid1(VALU_DEP_1)
	v_cndmask_b32_e64 v126, v126, 0, s1
	v_add_nc_u32_e32 v5, v126, v5
	s_delay_alu instid0(VALU_DEP_1) | instskip(NEXT) | instid1(VALU_DEP_1)
	v_mov_b32_dpp v126, v5 row_shr:2 row_mask:0xf bank_mask:0xf
	v_cndmask_b32_e64 v126, 0, v126, s7
	s_delay_alu instid0(VALU_DEP_1) | instskip(NEXT) | instid1(VALU_DEP_1)
	v_add_nc_u32_e32 v5, v5, v126
	v_mov_b32_dpp v126, v5 row_shr:4 row_mask:0xf bank_mask:0xf
	s_delay_alu instid0(VALU_DEP_1) | instskip(NEXT) | instid1(VALU_DEP_1)
	v_cndmask_b32_e64 v126, 0, v126, s8
	v_add_nc_u32_e32 v5, v5, v126
	s_delay_alu instid0(VALU_DEP_1) | instskip(NEXT) | instid1(VALU_DEP_1)
	v_mov_b32_dpp v126, v5 row_shr:8 row_mask:0xf bank_mask:0xf
	v_cndmask_b32_e64 v126, 0, v126, s9
	s_delay_alu instid0(VALU_DEP_1) | instskip(SKIP_3) | instid1(VALU_DEP_1)
	v_add_nc_u32_e32 v5, v5, v126
	ds_swizzle_b32 v126, v5 offset:swizzle(BROADCAST,32,15)
	s_waitcnt lgkmcnt(0)
	v_cndmask_b32_e64 v126, v126, 0, s10
	v_add_nc_u32_e32 v5, v5, v126
	s_and_saveexec_b32 s16, s3
	s_cbranch_execz .LBB1436_98
; %bb.97:                               ;   in Loop: Header=BB1436_66 Depth=2
	ds_store_b32 v41, v5 offset:1024
.LBB1436_98:                            ;   in Loop: Header=BB1436_66 Depth=2
	s_or_b32 exec_lo, exec_lo, s16
	s_waitcnt lgkmcnt(0)
	s_barrier
	buffer_gl0_inv
	s_and_saveexec_b32 s16, s4
	s_cbranch_execz .LBB1436_100
; %bb.99:                               ;   in Loop: Header=BB1436_66 Depth=2
	ds_load_b32 v126, v52 offset:1024
	s_waitcnt lgkmcnt(0)
	v_mov_b32_dpp v127, v126 row_shr:1 row_mask:0xf bank_mask:0xf
	s_delay_alu instid0(VALU_DEP_1) | instskip(NEXT) | instid1(VALU_DEP_1)
	v_cndmask_b32_e64 v127, v127, 0, s12
	v_add_nc_u32_e32 v126, v127, v126
	s_delay_alu instid0(VALU_DEP_1) | instskip(NEXT) | instid1(VALU_DEP_1)
	v_mov_b32_dpp v127, v126 row_shr:2 row_mask:0xf bank_mask:0xf
	v_cndmask_b32_e64 v127, 0, v127, s13
	s_delay_alu instid0(VALU_DEP_1) | instskip(NEXT) | instid1(VALU_DEP_1)
	v_add_nc_u32_e32 v126, v126, v127
	v_mov_b32_dpp v127, v126 row_shr:4 row_mask:0xf bank_mask:0xf
	s_delay_alu instid0(VALU_DEP_1) | instskip(NEXT) | instid1(VALU_DEP_1)
	v_cndmask_b32_e64 v127, 0, v127, s14
	v_add_nc_u32_e32 v126, v126, v127
	ds_store_b32 v52, v126 offset:1024
.LBB1436_100:                           ;   in Loop: Header=BB1436_66 Depth=2
	s_or_b32 exec_lo, exec_lo, s16
	v_mov_b32_e32 v126, 0
	s_waitcnt lgkmcnt(0)
	s_barrier
	buffer_gl0_inv
	s_and_saveexec_b32 s16, s5
	s_cbranch_execz .LBB1436_102
; %bb.101:                              ;   in Loop: Header=BB1436_66 Depth=2
	ds_load_b32 v126, v41 offset:1020
.LBB1436_102:                           ;   in Loop: Header=BB1436_66 Depth=2
	s_or_b32 exec_lo, exec_lo, s16
	s_waitcnt lgkmcnt(0)
	v_add_nc_u32_e32 v5, v126, v5
	ds_bpermute_b32 v5, v73, v5
	s_waitcnt lgkmcnt(0)
	v_cndmask_b32_e64 v5, v5, v126, s11
	s_delay_alu instid0(VALU_DEP_1) | instskip(NEXT) | instid1(VALU_DEP_1)
	v_cndmask_b32_e64 v5, v5, 0, s0
	v_add_nc_u32_e32 v125, v5, v125
	s_delay_alu instid0(VALU_DEP_1) | instskip(NEXT) | instid1(VALU_DEP_1)
	v_add_nc_u32_e32 v8, v125, v8
	v_add_nc_u32_e32 v9, v8, v9
	s_delay_alu instid0(VALU_DEP_1) | instskip(NEXT) | instid1(VALU_DEP_1)
	v_add_nc_u32_e32 v6, v9, v6
	;; [unrolled: 3-line block ×3, first 2 shown]
	v_add_nc_u32_e32 v3, v2, v3
	s_delay_alu instid0(VALU_DEP_1)
	v_add_nc_u32_e32 v4, v3, v4
	ds_store_b32 v49, v5 offset:1056
	ds_store_2addr_b32 v51, v125, v8 offset0:1 offset1:2
	ds_store_2addr_b32 v51, v9, v6 offset0:3 offset1:4
	;; [unrolled: 1-line block ×4, first 2 shown]
	v_mov_b32_e32 v4, 0x800
	s_waitcnt lgkmcnt(0)
	s_barrier
	buffer_gl0_inv
	ds_load_b32 v5, v101
	ds_load_b32 v6, v105
	;; [unrolled: 1-line block ×8, first 2 shown]
	ds_load_b32 v101, v49 offset:1056
	s_and_saveexec_b32 s16, s6
	s_cbranch_execz .LBB1436_104
; %bb.103:                              ;   in Loop: Header=BB1436_66 Depth=2
	ds_load_b32 v4, v53 offset:1056
.LBB1436_104:                           ;   in Loop: Header=BB1436_66 Depth=2
	s_or_b32 exec_lo, exec_lo, s16
	s_waitcnt lgkmcnt(0)
	s_barrier
	buffer_gl0_inv
	s_and_saveexec_b32 s16, s2
	s_cbranch_execz .LBB1436_106
; %bb.105:                              ;   in Loop: Header=BB1436_66 Depth=2
	ds_load_b32 v105, v31
	s_waitcnt lgkmcnt(0)
	v_sub_nc_u32_e32 v101, v105, v101
	ds_store_b32 v31, v101
.LBB1436_106:                           ;   in Loop: Header=BB1436_66 Depth=2
	s_or_b32 exec_lo, exec_lo, s16
	v_add_nc_u32_e32 v101, v97, v29
	v_add3_u32 v29, v104, v102, v6
	v_add3_u32 v7, v108, v107, v7
	;; [unrolled: 1-line block ×5, first 2 shown]
	v_lshlrev_b32_e32 v98, 2, v101
	v_add3_u32 v8, v120, v119, v3
	v_lshlrev_b32_e32 v3, 2, v29
	v_add3_u32 v9, v123, v122, v2
	v_lshlrev_b32_e32 v2, 2, v7
	v_lshlrev_b32_e32 v99, 2, v97
	ds_store_b32 v98, v19 offset:1024
	ds_store_b32 v99, v30 offset:1024
	;; [unrolled: 1-line block ×3, first 2 shown]
	v_lshlrev_b32_e32 v3, 2, v6
	ds_store_b32 v2, v103 offset:1024
	v_lshlrev_b32_e32 v2, 2, v9
	v_cmp_lt_u32_e32 vcc_lo, v18, v0
	v_lshlrev_b32_e32 v19, 2, v5
	v_lshlrev_b32_e32 v30, 2, v8
	ds_store_b32 v3, v106 offset:1024
	ds_store_b32 v19, v110 offset:1024
	;; [unrolled: 1-line block ×4, first 2 shown]
	s_waitcnt lgkmcnt(0)
	s_barrier
	buffer_gl0_inv
	s_and_saveexec_b32 s17, vcc_lo
	s_cbranch_execz .LBB1436_114
; %bb.107:                              ;   in Loop: Header=BB1436_66 Depth=2
	ds_load_b32 v30, v52 offset:1024
	s_waitcnt lgkmcnt(0)
	v_cmp_ne_u32_e64 s16, 0x7fffffff, v30
	s_delay_alu instid0(VALU_DEP_1) | instskip(SKIP_1) | instid1(VALU_DEP_2)
	v_cndmask_b32_e64 v2, 0x80000000, v30, s16
	v_cmp_lt_i32_e64 s16, -1, v30
	v_lshrrev_b32_e32 v2, s30, v2
	s_delay_alu instid0(VALU_DEP_2) | instskip(NEXT) | instid1(VALU_DEP_2)
	v_cndmask_b32_e64 v98, 0x80000000, -1, s16
	v_and_b32_e32 v2, s31, v2
	s_delay_alu instid0(VALU_DEP_1) | instskip(SKIP_3) | instid1(VALU_DEP_1)
	v_lshlrev_b32_e32 v2, 2, v2
	ds_load_b32 v2, v2
	s_waitcnt lgkmcnt(0)
	v_add_nc_u32_e32 v19, v2, v18
	v_lshlrev_b64 v[2:3], 2, v[19:20]
	v_xor_b32_e32 v19, v98, v30
	s_delay_alu instid0(VALU_DEP_2) | instskip(NEXT) | instid1(VALU_DEP_1)
	v_add_co_u32 v2, s16, s46, v2
	v_add_co_ci_u32_e64 v3, s16, s47, v3, s16
	global_store_b32 v[2:3], v19, off
	s_or_b32 exec_lo, exec_lo, s17
	v_cmp_lt_u32_e64 s16, v32, v0
	s_delay_alu instid0(VALU_DEP_1)
	s_and_saveexec_b32 s18, s16
	s_cbranch_execnz .LBB1436_115
.LBB1436_108:                           ;   in Loop: Header=BB1436_66 Depth=2
	s_or_b32 exec_lo, exec_lo, s18
	v_cmp_lt_u32_e64 s17, v33, v0
	s_delay_alu instid0(VALU_DEP_1)
	s_and_saveexec_b32 s19, s17
	s_cbranch_execz .LBB1436_116
.LBB1436_109:                           ;   in Loop: Header=BB1436_66 Depth=2
	ds_load_b32 v30, v58 offset:2048
	s_waitcnt lgkmcnt(0)
	v_cmp_ne_u32_e64 s18, 0x7fffffff, v30
	s_delay_alu instid0(VALU_DEP_1) | instskip(SKIP_1) | instid1(VALU_DEP_2)
	v_cndmask_b32_e64 v2, 0x80000000, v30, s18
	v_cmp_lt_i32_e64 s18, -1, v30
	v_lshrrev_b32_e32 v2, s30, v2
	s_delay_alu instid0(VALU_DEP_2) | instskip(NEXT) | instid1(VALU_DEP_2)
	v_cndmask_b32_e64 v98, 0x80000000, -1, s18
	v_and_b32_e32 v2, s31, v2
	s_delay_alu instid0(VALU_DEP_1) | instskip(SKIP_3) | instid1(VALU_DEP_1)
	v_lshlrev_b32_e32 v2, 2, v2
	ds_load_b32 v2, v2
	s_waitcnt lgkmcnt(0)
	v_add_nc_u32_e32 v19, v2, v33
	v_lshlrev_b64 v[2:3], 2, v[19:20]
	v_xor_b32_e32 v19, v98, v30
	s_delay_alu instid0(VALU_DEP_2) | instskip(NEXT) | instid1(VALU_DEP_1)
	v_add_co_u32 v2, s18, s46, v2
	v_add_co_ci_u32_e64 v3, s18, s47, v3, s18
	global_store_b32 v[2:3], v19, off
	s_or_b32 exec_lo, exec_lo, s19
	v_cmp_lt_u32_e64 s18, v34, v0
	s_delay_alu instid0(VALU_DEP_1)
	s_and_saveexec_b32 s20, s18
	s_cbranch_execnz .LBB1436_117
.LBB1436_110:                           ;   in Loop: Header=BB1436_66 Depth=2
	s_or_b32 exec_lo, exec_lo, s20
	v_cmp_lt_u32_e64 s19, v38, v0
	s_delay_alu instid0(VALU_DEP_1)
	s_and_saveexec_b32 s21, s19
	s_cbranch_execz .LBB1436_118
.LBB1436_111:                           ;   in Loop: Header=BB1436_66 Depth=2
	ds_load_b32 v30, v58 offset:4096
	s_waitcnt lgkmcnt(0)
	v_cmp_ne_u32_e64 s20, 0x7fffffff, v30
	s_delay_alu instid0(VALU_DEP_1) | instskip(SKIP_1) | instid1(VALU_DEP_2)
	v_cndmask_b32_e64 v2, 0x80000000, v30, s20
	v_cmp_lt_i32_e64 s20, -1, v30
	v_lshrrev_b32_e32 v2, s30, v2
	s_delay_alu instid0(VALU_DEP_2) | instskip(NEXT) | instid1(VALU_DEP_2)
	v_cndmask_b32_e64 v98, 0x80000000, -1, s20
	v_and_b32_e32 v2, s31, v2
	s_delay_alu instid0(VALU_DEP_1) | instskip(SKIP_3) | instid1(VALU_DEP_1)
	v_lshlrev_b32_e32 v2, 2, v2
	ds_load_b32 v2, v2
	s_waitcnt lgkmcnt(0)
	v_add_nc_u32_e32 v19, v2, v38
	v_lshlrev_b64 v[2:3], 2, v[19:20]
	v_xor_b32_e32 v19, v98, v30
	s_delay_alu instid0(VALU_DEP_2) | instskip(NEXT) | instid1(VALU_DEP_1)
	v_add_co_u32 v2, s20, s46, v2
	v_add_co_ci_u32_e64 v3, s20, s47, v3, s20
	global_store_b32 v[2:3], v19, off
	s_or_b32 exec_lo, exec_lo, s21
	v_cmp_lt_u32_e64 s20, v39, v0
	s_delay_alu instid0(VALU_DEP_1)
	s_and_saveexec_b32 s22, s20
	s_cbranch_execnz .LBB1436_119
.LBB1436_112:                           ;   in Loop: Header=BB1436_66 Depth=2
	s_or_b32 exec_lo, exec_lo, s22
	v_cmp_lt_u32_e64 s21, v40, v0
	s_delay_alu instid0(VALU_DEP_1)
	s_and_saveexec_b32 s23, s21
	s_cbranch_execz .LBB1436_120
.LBB1436_113:                           ;   in Loop: Header=BB1436_66 Depth=2
	ds_load_b32 v30, v58 offset:6144
	s_waitcnt lgkmcnt(0)
	v_cmp_ne_u32_e64 s22, 0x7fffffff, v30
	s_delay_alu instid0(VALU_DEP_1) | instskip(SKIP_1) | instid1(VALU_DEP_2)
	v_cndmask_b32_e64 v2, 0x80000000, v30, s22
	v_cmp_lt_i32_e64 s22, -1, v30
	v_lshrrev_b32_e32 v2, s30, v2
	s_delay_alu instid0(VALU_DEP_2) | instskip(NEXT) | instid1(VALU_DEP_2)
	v_cndmask_b32_e64 v98, 0x80000000, -1, s22
	v_and_b32_e32 v2, s31, v2
	s_delay_alu instid0(VALU_DEP_1) | instskip(SKIP_3) | instid1(VALU_DEP_1)
	v_lshlrev_b32_e32 v2, 2, v2
	ds_load_b32 v2, v2
	s_waitcnt lgkmcnt(0)
	v_add_nc_u32_e32 v19, v2, v40
	v_lshlrev_b64 v[2:3], 2, v[19:20]
	v_xor_b32_e32 v19, v98, v30
	s_delay_alu instid0(VALU_DEP_2) | instskip(NEXT) | instid1(VALU_DEP_1)
	v_add_co_u32 v2, s22, s46, v2
	v_add_co_ci_u32_e64 v3, s22, s47, v3, s22
	global_store_b32 v[2:3], v19, off
	s_or_b32 exec_lo, exec_lo, s23
	v_cmp_lt_u32_e64 s22, v42, v0
	s_delay_alu instid0(VALU_DEP_1)
	s_and_saveexec_b32 s37, s22
	s_cbranch_execnz .LBB1436_121
	s_branch .LBB1436_122
.LBB1436_114:                           ;   in Loop: Header=BB1436_66 Depth=2
	s_or_b32 exec_lo, exec_lo, s17
	v_cmp_lt_u32_e64 s16, v32, v0
	s_delay_alu instid0(VALU_DEP_1)
	s_and_saveexec_b32 s18, s16
	s_cbranch_execz .LBB1436_108
.LBB1436_115:                           ;   in Loop: Header=BB1436_66 Depth=2
	ds_load_b32 v30, v58 offset:1024
	s_waitcnt lgkmcnt(0)
	v_cmp_ne_u32_e64 s17, 0x7fffffff, v30
	s_delay_alu instid0(VALU_DEP_1) | instskip(SKIP_1) | instid1(VALU_DEP_2)
	v_cndmask_b32_e64 v2, 0x80000000, v30, s17
	v_cmp_lt_i32_e64 s17, -1, v30
	v_lshrrev_b32_e32 v2, s30, v2
	s_delay_alu instid0(VALU_DEP_2) | instskip(NEXT) | instid1(VALU_DEP_2)
	v_cndmask_b32_e64 v98, 0x80000000, -1, s17
	v_and_b32_e32 v2, s31, v2
	s_delay_alu instid0(VALU_DEP_1) | instskip(SKIP_3) | instid1(VALU_DEP_1)
	v_lshlrev_b32_e32 v2, 2, v2
	ds_load_b32 v2, v2
	s_waitcnt lgkmcnt(0)
	v_add_nc_u32_e32 v19, v2, v32
	v_lshlrev_b64 v[2:3], 2, v[19:20]
	v_xor_b32_e32 v19, v98, v30
	s_delay_alu instid0(VALU_DEP_2) | instskip(NEXT) | instid1(VALU_DEP_1)
	v_add_co_u32 v2, s17, s46, v2
	v_add_co_ci_u32_e64 v3, s17, s47, v3, s17
	global_store_b32 v[2:3], v19, off
	s_or_b32 exec_lo, exec_lo, s18
	v_cmp_lt_u32_e64 s17, v33, v0
	s_delay_alu instid0(VALU_DEP_1)
	s_and_saveexec_b32 s19, s17
	s_cbranch_execnz .LBB1436_109
.LBB1436_116:                           ;   in Loop: Header=BB1436_66 Depth=2
	s_or_b32 exec_lo, exec_lo, s19
	v_cmp_lt_u32_e64 s18, v34, v0
	s_delay_alu instid0(VALU_DEP_1)
	s_and_saveexec_b32 s20, s18
	s_cbranch_execz .LBB1436_110
.LBB1436_117:                           ;   in Loop: Header=BB1436_66 Depth=2
	ds_load_b32 v30, v58 offset:3072
	s_waitcnt lgkmcnt(0)
	v_cmp_ne_u32_e64 s19, 0x7fffffff, v30
	s_delay_alu instid0(VALU_DEP_1) | instskip(SKIP_1) | instid1(VALU_DEP_2)
	v_cndmask_b32_e64 v2, 0x80000000, v30, s19
	v_cmp_lt_i32_e64 s19, -1, v30
	v_lshrrev_b32_e32 v2, s30, v2
	s_delay_alu instid0(VALU_DEP_2) | instskip(NEXT) | instid1(VALU_DEP_2)
	v_cndmask_b32_e64 v98, 0x80000000, -1, s19
	v_and_b32_e32 v2, s31, v2
	s_delay_alu instid0(VALU_DEP_1) | instskip(SKIP_3) | instid1(VALU_DEP_1)
	v_lshlrev_b32_e32 v2, 2, v2
	ds_load_b32 v2, v2
	s_waitcnt lgkmcnt(0)
	v_add_nc_u32_e32 v19, v2, v34
	v_lshlrev_b64 v[2:3], 2, v[19:20]
	v_xor_b32_e32 v19, v98, v30
	s_delay_alu instid0(VALU_DEP_2) | instskip(NEXT) | instid1(VALU_DEP_1)
	v_add_co_u32 v2, s19, s46, v2
	v_add_co_ci_u32_e64 v3, s19, s47, v3, s19
	global_store_b32 v[2:3], v19, off
	s_or_b32 exec_lo, exec_lo, s20
	v_cmp_lt_u32_e64 s19, v38, v0
	s_delay_alu instid0(VALU_DEP_1)
	s_and_saveexec_b32 s21, s19
	s_cbranch_execnz .LBB1436_111
.LBB1436_118:                           ;   in Loop: Header=BB1436_66 Depth=2
	s_or_b32 exec_lo, exec_lo, s21
	v_cmp_lt_u32_e64 s20, v39, v0
	s_delay_alu instid0(VALU_DEP_1)
	s_and_saveexec_b32 s22, s20
	s_cbranch_execz .LBB1436_112
.LBB1436_119:                           ;   in Loop: Header=BB1436_66 Depth=2
	ds_load_b32 v30, v58 offset:5120
	s_waitcnt lgkmcnt(0)
	v_cmp_ne_u32_e64 s21, 0x7fffffff, v30
	s_delay_alu instid0(VALU_DEP_1) | instskip(SKIP_1) | instid1(VALU_DEP_2)
	v_cndmask_b32_e64 v2, 0x80000000, v30, s21
	v_cmp_lt_i32_e64 s21, -1, v30
	v_lshrrev_b32_e32 v2, s30, v2
	s_delay_alu instid0(VALU_DEP_2) | instskip(NEXT) | instid1(VALU_DEP_2)
	v_cndmask_b32_e64 v98, 0x80000000, -1, s21
	v_and_b32_e32 v2, s31, v2
	s_delay_alu instid0(VALU_DEP_1) | instskip(SKIP_3) | instid1(VALU_DEP_1)
	v_lshlrev_b32_e32 v2, 2, v2
	ds_load_b32 v2, v2
	s_waitcnt lgkmcnt(0)
	v_add_nc_u32_e32 v19, v2, v39
	v_lshlrev_b64 v[2:3], 2, v[19:20]
	v_xor_b32_e32 v19, v98, v30
	s_delay_alu instid0(VALU_DEP_2) | instskip(NEXT) | instid1(VALU_DEP_1)
	v_add_co_u32 v2, s21, s46, v2
	v_add_co_ci_u32_e64 v3, s21, s47, v3, s21
	global_store_b32 v[2:3], v19, off
	s_or_b32 exec_lo, exec_lo, s22
	v_cmp_lt_u32_e64 s21, v40, v0
	s_delay_alu instid0(VALU_DEP_1)
	s_and_saveexec_b32 s23, s21
	s_cbranch_execnz .LBB1436_113
.LBB1436_120:                           ;   in Loop: Header=BB1436_66 Depth=2
	s_or_b32 exec_lo, exec_lo, s23
	v_cmp_lt_u32_e64 s22, v42, v0
	s_delay_alu instid0(VALU_DEP_1)
	s_and_saveexec_b32 s37, s22
	s_cbranch_execz .LBB1436_122
.LBB1436_121:                           ;   in Loop: Header=BB1436_66 Depth=2
	ds_load_b32 v30, v58 offset:7168
	s_waitcnt lgkmcnt(0)
	v_cmp_ne_u32_e64 s23, 0x7fffffff, v30
	s_delay_alu instid0(VALU_DEP_1) | instskip(SKIP_1) | instid1(VALU_DEP_2)
	v_cndmask_b32_e64 v2, 0x80000000, v30, s23
	v_cmp_lt_i32_e64 s23, -1, v30
	v_lshrrev_b32_e32 v2, s30, v2
	s_delay_alu instid0(VALU_DEP_2) | instskip(NEXT) | instid1(VALU_DEP_2)
	v_cndmask_b32_e64 v98, 0x80000000, -1, s23
	v_and_b32_e32 v2, s31, v2
	s_delay_alu instid0(VALU_DEP_1) | instskip(SKIP_3) | instid1(VALU_DEP_1)
	v_lshlrev_b32_e32 v2, 2, v2
	ds_load_b32 v2, v2
	s_waitcnt lgkmcnt(0)
	v_add_nc_u32_e32 v19, v2, v42
	v_lshlrev_b64 v[2:3], 2, v[19:20]
	v_xor_b32_e32 v19, v98, v30
	s_delay_alu instid0(VALU_DEP_2) | instskip(NEXT) | instid1(VALU_DEP_1)
	v_add_co_u32 v2, s23, s46, v2
	v_add_co_ci_u32_e64 v3, s23, s47, v3, s23
	global_store_b32 v[2:3], v19, off
.LBB1436_122:                           ;   in Loop: Header=BB1436_66 Depth=2
	s_or_b32 exec_lo, exec_lo, s37
	s_lshl_b64 s[38:39], s[24:25], 3
	s_delay_alu instid0(SALU_CYCLE_1) | instskip(NEXT) | instid1(VALU_DEP_1)
	v_add_co_u32 v2, s23, v75, s38
	v_add_co_ci_u32_e64 v3, s23, s39, v76, s23
	v_cmp_lt_u32_e64 s23, v74, v0
	s_delay_alu instid0(VALU_DEP_1) | instskip(NEXT) | instid1(SALU_CYCLE_1)
	s_and_saveexec_b32 s24, s23
	s_xor_b32 s23, exec_lo, s24
	s_cbranch_execz .LBB1436_138
; %bb.123:                              ;   in Loop: Header=BB1436_66 Depth=2
	global_load_b64 v[27:28], v[2:3], off
	s_or_b32 exec_lo, exec_lo, s23
	s_delay_alu instid0(SALU_CYCLE_1)
	s_mov_b32 s24, exec_lo
	v_cmpx_lt_u32_e64 v77, v0
	s_cbranch_execnz .LBB1436_139
.LBB1436_124:                           ;   in Loop: Header=BB1436_66 Depth=2
	s_or_b32 exec_lo, exec_lo, s24
	s_delay_alu instid0(SALU_CYCLE_1)
	s_mov_b32 s24, exec_lo
	v_cmpx_lt_u32_e64 v78, v0
	s_cbranch_execz .LBB1436_140
.LBB1436_125:                           ;   in Loop: Header=BB1436_66 Depth=2
	global_load_b64 v[23:24], v[2:3], off offset:512
	s_or_b32 exec_lo, exec_lo, s24
	s_delay_alu instid0(SALU_CYCLE_1)
	s_mov_b32 s24, exec_lo
	v_cmpx_lt_u32_e64 v79, v0
	s_cbranch_execnz .LBB1436_141
.LBB1436_126:                           ;   in Loop: Header=BB1436_66 Depth=2
	s_or_b32 exec_lo, exec_lo, s24
	s_delay_alu instid0(SALU_CYCLE_1)
	s_mov_b32 s24, exec_lo
	v_cmpx_lt_u32_e64 v80, v0
	s_cbranch_execz .LBB1436_142
.LBB1436_127:                           ;   in Loop: Header=BB1436_66 Depth=2
	global_load_b64 v[16:17], v[2:3], off offset:1024
	s_or_b32 exec_lo, exec_lo, s24
	s_delay_alu instid0(SALU_CYCLE_1)
	s_mov_b32 s24, exec_lo
	v_cmpx_lt_u32_e64 v81, v0
	s_cbranch_execnz .LBB1436_143
.LBB1436_128:                           ;   in Loop: Header=BB1436_66 Depth=2
	s_or_b32 exec_lo, exec_lo, s24
	s_delay_alu instid0(SALU_CYCLE_1)
	s_mov_b32 s24, exec_lo
	v_cmpx_lt_u32_e64 v82, v0
	s_cbranch_execz .LBB1436_144
.LBB1436_129:                           ;   in Loop: Header=BB1436_66 Depth=2
	global_load_b64 v[12:13], v[2:3], off offset:1536
	s_or_b32 exec_lo, exec_lo, s24
	s_delay_alu instid0(SALU_CYCLE_1)
	s_mov_b32 s24, exec_lo
	v_cmpx_lt_u32_e64 v83, v0
	s_cbranch_execnz .LBB1436_145
.LBB1436_130:                           ;   in Loop: Header=BB1436_66 Depth=2
	s_or_b32 exec_lo, exec_lo, s24
	s_and_saveexec_b32 s24, vcc_lo
	s_cbranch_execz .LBB1436_146
.LBB1436_131:                           ;   in Loop: Header=BB1436_66 Depth=2
	ds_load_b32 v0, v52 offset:1024
	s_waitcnt lgkmcnt(0)
	v_cmp_ne_u32_e64 s23, 0x7fffffff, v0
	s_delay_alu instid0(VALU_DEP_1) | instskip(NEXT) | instid1(VALU_DEP_1)
	v_cndmask_b32_e64 v0, 0x80000000, v0, s23
	v_lshrrev_b32_e32 v0, s30, v0
	s_delay_alu instid0(VALU_DEP_1)
	v_and_b32_e32 v96, s31, v0
	s_or_b32 exec_lo, exec_lo, s24
	s_and_saveexec_b32 s24, s16
	s_cbranch_execnz .LBB1436_147
.LBB1436_132:                           ;   in Loop: Header=BB1436_66 Depth=2
	s_or_b32 exec_lo, exec_lo, s24
	s_and_saveexec_b32 s24, s17
	s_cbranch_execz .LBB1436_148
.LBB1436_133:                           ;   in Loop: Header=BB1436_66 Depth=2
	ds_load_b32 v0, v58 offset:2048
	s_waitcnt lgkmcnt(0)
	v_cmp_ne_u32_e64 s23, 0x7fffffff, v0
	s_delay_alu instid0(VALU_DEP_1) | instskip(NEXT) | instid1(VALU_DEP_1)
	v_cndmask_b32_e64 v0, 0x80000000, v0, s23
	v_lshrrev_b32_e32 v0, s30, v0
	s_delay_alu instid0(VALU_DEP_1)
	v_and_b32_e32 v94, s31, v0
	s_or_b32 exec_lo, exec_lo, s24
	s_and_saveexec_b32 s24, s18
	s_cbranch_execnz .LBB1436_149
.LBB1436_134:                           ;   in Loop: Header=BB1436_66 Depth=2
	s_or_b32 exec_lo, exec_lo, s24
	s_and_saveexec_b32 s24, s19
	s_cbranch_execz .LBB1436_150
.LBB1436_135:                           ;   in Loop: Header=BB1436_66 Depth=2
	ds_load_b32 v0, v58 offset:4096
	s_waitcnt lgkmcnt(0)
	v_cmp_ne_u32_e64 s23, 0x7fffffff, v0
	s_delay_alu instid0(VALU_DEP_1) | instskip(NEXT) | instid1(VALU_DEP_1)
	v_cndmask_b32_e64 v0, 0x80000000, v0, s23
	v_lshrrev_b32_e32 v0, s30, v0
	s_delay_alu instid0(VALU_DEP_1)
	v_and_b32_e32 v92, s31, v0
	s_or_b32 exec_lo, exec_lo, s24
	s_and_saveexec_b32 s24, s20
	s_cbranch_execnz .LBB1436_151
.LBB1436_136:                           ;   in Loop: Header=BB1436_66 Depth=2
	s_or_b32 exec_lo, exec_lo, s24
	s_and_saveexec_b32 s24, s21
	s_cbranch_execz .LBB1436_152
.LBB1436_137:                           ;   in Loop: Header=BB1436_66 Depth=2
	ds_load_b32 v0, v58 offset:6144
	s_waitcnt lgkmcnt(0)
	v_cmp_ne_u32_e64 s23, 0x7fffffff, v0
	s_delay_alu instid0(VALU_DEP_1) | instskip(NEXT) | instid1(VALU_DEP_1)
	v_cndmask_b32_e64 v0, 0x80000000, v0, s23
	v_lshrrev_b32_e32 v0, s30, v0
	s_delay_alu instid0(VALU_DEP_1)
	v_and_b32_e32 v90, s31, v0
	s_or_b32 exec_lo, exec_lo, s24
	s_and_saveexec_b32 s24, s22
	s_cbranch_execnz .LBB1436_153
	s_branch .LBB1436_154
.LBB1436_138:                           ;   in Loop: Header=BB1436_66 Depth=2
	s_or_b32 exec_lo, exec_lo, s23
	s_delay_alu instid0(SALU_CYCLE_1)
	s_mov_b32 s24, exec_lo
	v_cmpx_lt_u32_e64 v77, v0
	s_cbranch_execz .LBB1436_124
.LBB1436_139:                           ;   in Loop: Header=BB1436_66 Depth=2
	global_load_b64 v[25:26], v[2:3], off offset:256
	s_or_b32 exec_lo, exec_lo, s24
	s_delay_alu instid0(SALU_CYCLE_1)
	s_mov_b32 s24, exec_lo
	v_cmpx_lt_u32_e64 v78, v0
	s_cbranch_execnz .LBB1436_125
.LBB1436_140:                           ;   in Loop: Header=BB1436_66 Depth=2
	s_or_b32 exec_lo, exec_lo, s24
	s_delay_alu instid0(SALU_CYCLE_1)
	s_mov_b32 s24, exec_lo
	v_cmpx_lt_u32_e64 v79, v0
	s_cbranch_execz .LBB1436_126
.LBB1436_141:                           ;   in Loop: Header=BB1436_66 Depth=2
	global_load_b64 v[21:22], v[2:3], off offset:768
	s_or_b32 exec_lo, exec_lo, s24
	s_delay_alu instid0(SALU_CYCLE_1)
	s_mov_b32 s24, exec_lo
	v_cmpx_lt_u32_e64 v80, v0
	s_cbranch_execnz .LBB1436_127
.LBB1436_142:                           ;   in Loop: Header=BB1436_66 Depth=2
	s_or_b32 exec_lo, exec_lo, s24
	s_delay_alu instid0(SALU_CYCLE_1)
	s_mov_b32 s24, exec_lo
	v_cmpx_lt_u32_e64 v81, v0
	s_cbranch_execz .LBB1436_128
.LBB1436_143:                           ;   in Loop: Header=BB1436_66 Depth=2
	global_load_b64 v[14:15], v[2:3], off offset:1280
	s_or_b32 exec_lo, exec_lo, s24
	s_delay_alu instid0(SALU_CYCLE_1)
	s_mov_b32 s24, exec_lo
	v_cmpx_lt_u32_e64 v82, v0
	s_cbranch_execnz .LBB1436_129
.LBB1436_144:                           ;   in Loop: Header=BB1436_66 Depth=2
	s_or_b32 exec_lo, exec_lo, s24
	s_delay_alu instid0(SALU_CYCLE_1)
	s_mov_b32 s24, exec_lo
	v_cmpx_lt_u32_e64 v83, v0
	s_cbranch_execz .LBB1436_130
.LBB1436_145:                           ;   in Loop: Header=BB1436_66 Depth=2
	global_load_b64 v[10:11], v[2:3], off offset:1792
	s_or_b32 exec_lo, exec_lo, s24
	s_and_saveexec_b32 s24, vcc_lo
	s_cbranch_execnz .LBB1436_131
.LBB1436_146:                           ;   in Loop: Header=BB1436_66 Depth=2
	s_or_b32 exec_lo, exec_lo, s24
	s_and_saveexec_b32 s24, s16
	s_cbranch_execz .LBB1436_132
.LBB1436_147:                           ;   in Loop: Header=BB1436_66 Depth=2
	ds_load_b32 v0, v58 offset:1024
	s_waitcnt lgkmcnt(0)
	v_cmp_ne_u32_e64 s23, 0x7fffffff, v0
	s_delay_alu instid0(VALU_DEP_1) | instskip(NEXT) | instid1(VALU_DEP_1)
	v_cndmask_b32_e64 v0, 0x80000000, v0, s23
	v_lshrrev_b32_e32 v0, s30, v0
	s_delay_alu instid0(VALU_DEP_1)
	v_and_b32_e32 v95, s31, v0
	s_or_b32 exec_lo, exec_lo, s24
	s_and_saveexec_b32 s24, s17
	s_cbranch_execnz .LBB1436_133
.LBB1436_148:                           ;   in Loop: Header=BB1436_66 Depth=2
	s_or_b32 exec_lo, exec_lo, s24
	s_and_saveexec_b32 s24, s18
	s_cbranch_execz .LBB1436_134
.LBB1436_149:                           ;   in Loop: Header=BB1436_66 Depth=2
	ds_load_b32 v0, v58 offset:3072
	s_waitcnt lgkmcnt(0)
	v_cmp_ne_u32_e64 s23, 0x7fffffff, v0
	s_delay_alu instid0(VALU_DEP_1) | instskip(NEXT) | instid1(VALU_DEP_1)
	v_cndmask_b32_e64 v0, 0x80000000, v0, s23
	v_lshrrev_b32_e32 v0, s30, v0
	s_delay_alu instid0(VALU_DEP_1)
	v_and_b32_e32 v93, s31, v0
	s_or_b32 exec_lo, exec_lo, s24
	s_and_saveexec_b32 s24, s19
	s_cbranch_execnz .LBB1436_135
.LBB1436_150:                           ;   in Loop: Header=BB1436_66 Depth=2
	s_or_b32 exec_lo, exec_lo, s24
	s_and_saveexec_b32 s24, s20
	s_cbranch_execz .LBB1436_136
.LBB1436_151:                           ;   in Loop: Header=BB1436_66 Depth=2
	ds_load_b32 v0, v58 offset:5120
	s_waitcnt lgkmcnt(0)
	v_cmp_ne_u32_e64 s23, 0x7fffffff, v0
	s_delay_alu instid0(VALU_DEP_1) | instskip(NEXT) | instid1(VALU_DEP_1)
	v_cndmask_b32_e64 v0, 0x80000000, v0, s23
	v_lshrrev_b32_e32 v0, s30, v0
	s_delay_alu instid0(VALU_DEP_1)
	v_and_b32_e32 v91, s31, v0
	s_or_b32 exec_lo, exec_lo, s24
	s_and_saveexec_b32 s24, s21
	s_cbranch_execnz .LBB1436_137
.LBB1436_152:                           ;   in Loop: Header=BB1436_66 Depth=2
	s_or_b32 exec_lo, exec_lo, s24
	s_and_saveexec_b32 s24, s22
	s_cbranch_execz .LBB1436_154
.LBB1436_153:                           ;   in Loop: Header=BB1436_66 Depth=2
	ds_load_b32 v0, v58 offset:7168
	s_waitcnt lgkmcnt(0)
	v_cmp_ne_u32_e64 s23, 0x7fffffff, v0
	s_delay_alu instid0(VALU_DEP_1) | instskip(NEXT) | instid1(VALU_DEP_1)
	v_cndmask_b32_e64 v0, 0x80000000, v0, s23
	v_lshrrev_b32_e32 v0, s30, v0
	s_delay_alu instid0(VALU_DEP_1)
	v_and_b32_e32 v89, s31, v0
.LBB1436_154:                           ;   in Loop: Header=BB1436_66 Depth=2
	s_or_b32 exec_lo, exec_lo, s24
	v_lshlrev_b32_e32 v0, 3, v101
	v_lshlrev_b32_e32 v2, 3, v97
	;; [unrolled: 1-line block ×3, first 2 shown]
	s_waitcnt vmcnt(0)
	s_waitcnt_vscnt null, 0x0
	s_barrier
	buffer_gl0_inv
	ds_store_b64 v0, v[27:28] offset:1024
	ds_store_b64 v2, v[25:26] offset:1024
	;; [unrolled: 1-line block ×3, first 2 shown]
	v_lshlrev_b32_e32 v0, 3, v7
	v_lshlrev_b32_e32 v2, 3, v6
	;; [unrolled: 1-line block ×5, first 2 shown]
	ds_store_b64 v0, v[21:22] offset:1024
	ds_store_b64 v2, v[16:17] offset:1024
	;; [unrolled: 1-line block ×5, first 2 shown]
	s_waitcnt lgkmcnt(0)
	s_barrier
	buffer_gl0_inv
	s_and_saveexec_b32 s23, vcc_lo
	s_cbranch_execz .LBB1436_162
; %bb.155:                              ;   in Loop: Header=BB1436_66 Depth=2
	v_lshlrev_b32_e32 v0, 2, v96
	v_add_nc_u32_e32 v2, v52, v31
	ds_load_b32 v0, v0
	ds_load_b64 v[2:3], v2 offset:1024
	s_waitcnt lgkmcnt(1)
	v_add_nc_u32_e32 v19, v0, v18
	s_delay_alu instid0(VALU_DEP_1) | instskip(NEXT) | instid1(VALU_DEP_1)
	v_lshlrev_b64 v[5:6], 3, v[19:20]
	v_add_co_u32 v5, vcc_lo, s52, v5
	s_delay_alu instid0(VALU_DEP_2)
	v_add_co_ci_u32_e32 v6, vcc_lo, s53, v6, vcc_lo
	s_waitcnt lgkmcnt(0)
	global_store_b64 v[5:6], v[2:3], off
	s_or_b32 exec_lo, exec_lo, s23
	s_and_saveexec_b32 s23, s16
	s_cbranch_execnz .LBB1436_163
.LBB1436_156:                           ;   in Loop: Header=BB1436_66 Depth=2
	s_or_b32 exec_lo, exec_lo, s23
	s_and_saveexec_b32 s16, s17
	s_cbranch_execz .LBB1436_164
.LBB1436_157:                           ;   in Loop: Header=BB1436_66 Depth=2
	v_lshlrev_b32_e32 v0, 2, v94
	v_add_nc_u32_e32 v2, v58, v31
	ds_load_b32 v0, v0
	ds_load_b64 v[2:3], v2 offset:4096
	s_waitcnt lgkmcnt(1)
	v_add_nc_u32_e32 v19, v0, v33
	s_delay_alu instid0(VALU_DEP_1) | instskip(NEXT) | instid1(VALU_DEP_1)
	v_lshlrev_b64 v[5:6], 3, v[19:20]
	v_add_co_u32 v5, vcc_lo, s52, v5
	s_delay_alu instid0(VALU_DEP_2)
	v_add_co_ci_u32_e32 v6, vcc_lo, s53, v6, vcc_lo
	s_waitcnt lgkmcnt(0)
	global_store_b64 v[5:6], v[2:3], off
	s_or_b32 exec_lo, exec_lo, s16
	s_and_saveexec_b32 s16, s18
	s_cbranch_execnz .LBB1436_165
.LBB1436_158:                           ;   in Loop: Header=BB1436_66 Depth=2
	s_or_b32 exec_lo, exec_lo, s16
	s_and_saveexec_b32 s16, s19
	s_cbranch_execz .LBB1436_166
.LBB1436_159:                           ;   in Loop: Header=BB1436_66 Depth=2
	v_lshlrev_b32_e32 v0, 2, v92
	v_add_nc_u32_e32 v2, v58, v31
	ds_load_b32 v0, v0
	ds_load_b64 v[2:3], v2 offset:8192
	s_waitcnt lgkmcnt(1)
	v_add_nc_u32_e32 v19, v0, v38
	s_delay_alu instid0(VALU_DEP_1) | instskip(NEXT) | instid1(VALU_DEP_1)
	v_lshlrev_b64 v[5:6], 3, v[19:20]
	v_add_co_u32 v5, vcc_lo, s52, v5
	s_delay_alu instid0(VALU_DEP_2)
	v_add_co_ci_u32_e32 v6, vcc_lo, s53, v6, vcc_lo
	s_waitcnt lgkmcnt(0)
	global_store_b64 v[5:6], v[2:3], off
	s_or_b32 exec_lo, exec_lo, s16
	s_and_saveexec_b32 s16, s20
	s_cbranch_execnz .LBB1436_167
.LBB1436_160:                           ;   in Loop: Header=BB1436_66 Depth=2
	s_or_b32 exec_lo, exec_lo, s16
	s_and_saveexec_b32 s16, s21
	s_cbranch_execz .LBB1436_168
.LBB1436_161:                           ;   in Loop: Header=BB1436_66 Depth=2
	v_lshlrev_b32_e32 v0, 2, v90
	v_add_nc_u32_e32 v2, v58, v31
	ds_load_b32 v0, v0
	ds_load_b64 v[2:3], v2 offset:12288
	s_waitcnt lgkmcnt(1)
	v_add_nc_u32_e32 v19, v0, v40
	s_delay_alu instid0(VALU_DEP_1) | instskip(NEXT) | instid1(VALU_DEP_1)
	v_lshlrev_b64 v[5:6], 3, v[19:20]
	v_add_co_u32 v5, vcc_lo, s52, v5
	s_delay_alu instid0(VALU_DEP_2)
	v_add_co_ci_u32_e32 v6, vcc_lo, s53, v6, vcc_lo
	s_waitcnt lgkmcnt(0)
	global_store_b64 v[5:6], v[2:3], off
	s_or_b32 exec_lo, exec_lo, s16
	s_and_saveexec_b32 s16, s22
	s_cbranch_execnz .LBB1436_169
	s_branch .LBB1436_170
.LBB1436_162:                           ;   in Loop: Header=BB1436_66 Depth=2
	s_or_b32 exec_lo, exec_lo, s23
	s_and_saveexec_b32 s23, s16
	s_cbranch_execz .LBB1436_156
.LBB1436_163:                           ;   in Loop: Header=BB1436_66 Depth=2
	v_lshlrev_b32_e32 v0, 2, v95
	v_add_nc_u32_e32 v2, v58, v31
	ds_load_b32 v0, v0
	ds_load_b64 v[2:3], v2 offset:2048
	s_waitcnt lgkmcnt(1)
	v_add_nc_u32_e32 v19, v0, v32
	s_delay_alu instid0(VALU_DEP_1) | instskip(NEXT) | instid1(VALU_DEP_1)
	v_lshlrev_b64 v[5:6], 3, v[19:20]
	v_add_co_u32 v5, vcc_lo, s52, v5
	s_delay_alu instid0(VALU_DEP_2)
	v_add_co_ci_u32_e32 v6, vcc_lo, s53, v6, vcc_lo
	s_waitcnt lgkmcnt(0)
	global_store_b64 v[5:6], v[2:3], off
	s_or_b32 exec_lo, exec_lo, s23
	s_and_saveexec_b32 s16, s17
	s_cbranch_execnz .LBB1436_157
.LBB1436_164:                           ;   in Loop: Header=BB1436_66 Depth=2
	s_or_b32 exec_lo, exec_lo, s16
	s_and_saveexec_b32 s16, s18
	s_cbranch_execz .LBB1436_158
.LBB1436_165:                           ;   in Loop: Header=BB1436_66 Depth=2
	v_lshlrev_b32_e32 v0, 2, v93
	v_add_nc_u32_e32 v2, v58, v31
	ds_load_b32 v0, v0
	ds_load_b64 v[2:3], v2 offset:6144
	s_waitcnt lgkmcnt(1)
	v_add_nc_u32_e32 v19, v0, v34
	s_delay_alu instid0(VALU_DEP_1) | instskip(NEXT) | instid1(VALU_DEP_1)
	v_lshlrev_b64 v[5:6], 3, v[19:20]
	v_add_co_u32 v5, vcc_lo, s52, v5
	s_delay_alu instid0(VALU_DEP_2)
	v_add_co_ci_u32_e32 v6, vcc_lo, s53, v6, vcc_lo
	s_waitcnt lgkmcnt(0)
	global_store_b64 v[5:6], v[2:3], off
	s_or_b32 exec_lo, exec_lo, s16
	s_and_saveexec_b32 s16, s19
	s_cbranch_execnz .LBB1436_159
.LBB1436_166:                           ;   in Loop: Header=BB1436_66 Depth=2
	s_or_b32 exec_lo, exec_lo, s16
	s_and_saveexec_b32 s16, s20
	s_cbranch_execz .LBB1436_160
.LBB1436_167:                           ;   in Loop: Header=BB1436_66 Depth=2
	v_lshlrev_b32_e32 v0, 2, v91
	v_add_nc_u32_e32 v2, v58, v31
	ds_load_b32 v0, v0
	ds_load_b64 v[2:3], v2 offset:10240
	s_waitcnt lgkmcnt(1)
	v_add_nc_u32_e32 v19, v0, v39
	s_delay_alu instid0(VALU_DEP_1) | instskip(NEXT) | instid1(VALU_DEP_1)
	v_lshlrev_b64 v[5:6], 3, v[19:20]
	v_add_co_u32 v5, vcc_lo, s52, v5
	s_delay_alu instid0(VALU_DEP_2)
	v_add_co_ci_u32_e32 v6, vcc_lo, s53, v6, vcc_lo
	s_waitcnt lgkmcnt(0)
	global_store_b64 v[5:6], v[2:3], off
	s_or_b32 exec_lo, exec_lo, s16
	s_and_saveexec_b32 s16, s21
	s_cbranch_execnz .LBB1436_161
.LBB1436_168:                           ;   in Loop: Header=BB1436_66 Depth=2
	s_or_b32 exec_lo, exec_lo, s16
	s_and_saveexec_b32 s16, s22
	s_cbranch_execz .LBB1436_170
.LBB1436_169:                           ;   in Loop: Header=BB1436_66 Depth=2
	v_lshlrev_b32_e32 v0, 2, v89
	v_add_nc_u32_e32 v2, v58, v31
	ds_load_b32 v0, v0
	ds_load_b64 v[2:3], v2 offset:14336
	s_waitcnt lgkmcnt(1)
	v_add_nc_u32_e32 v19, v0, v42
	s_delay_alu instid0(VALU_DEP_1) | instskip(NEXT) | instid1(VALU_DEP_1)
	v_lshlrev_b64 v[5:6], 3, v[19:20]
	v_add_co_u32 v5, vcc_lo, s52, v5
	s_delay_alu instid0(VALU_DEP_2)
	v_add_co_ci_u32_e32 v6, vcc_lo, s53, v6, vcc_lo
	s_waitcnt lgkmcnt(0)
	global_store_b64 v[5:6], v[2:3], off
.LBB1436_170:                           ;   in Loop: Header=BB1436_66 Depth=2
	s_or_b32 exec_lo, exec_lo, s16
	s_waitcnt_vscnt null, 0x0
	s_barrier
	buffer_gl0_inv
	s_and_saveexec_b32 s16, s2
	s_cbranch_execz .LBB1436_65
; %bb.171:                              ;   in Loop: Header=BB1436_66 Depth=2
	ds_load_b32 v0, v31
	s_waitcnt lgkmcnt(0)
	v_add_nc_u32_e32 v0, v0, v4
	ds_store_b32 v31, v0
	s_branch .LBB1436_65
.LBB1436_172:                           ;   in Loop: Header=BB1436_66 Depth=2
	s_or_b32 exec_lo, exec_lo, s16
	s_delay_alu instid0(SALU_CYCLE_1)
	s_mov_b32 s16, exec_lo
	v_cmpx_gt_u32_e64 s50, v77
	s_cbranch_execz .LBB1436_71
.LBB1436_173:                           ;   in Loop: Header=BB1436_66 Depth=2
	global_load_b32 v3, v[29:30], off offset:128
	s_or_b32 exec_lo, exec_lo, s16
	s_delay_alu instid0(SALU_CYCLE_1)
	s_mov_b32 s16, exec_lo
	v_cmpx_gt_u32_e64 s50, v78
	s_cbranch_execnz .LBB1436_72
.LBB1436_174:                           ;   in Loop: Header=BB1436_66 Depth=2
	s_or_b32 exec_lo, exec_lo, s16
	s_delay_alu instid0(SALU_CYCLE_1)
	s_mov_b32 s16, exec_lo
	v_cmpx_gt_u32_e64 s50, v79
	s_cbranch_execz .LBB1436_73
.LBB1436_175:                           ;   in Loop: Header=BB1436_66 Depth=2
	global_load_b32 v5, v[29:30], off offset:384
	s_or_b32 exec_lo, exec_lo, s16
	s_delay_alu instid0(SALU_CYCLE_1)
	s_mov_b32 s16, exec_lo
	v_cmpx_gt_u32_e64 s50, v80
	s_cbranch_execnz .LBB1436_74
.LBB1436_176:                           ;   in Loop: Header=BB1436_66 Depth=2
	s_or_b32 exec_lo, exec_lo, s16
	s_delay_alu instid0(SALU_CYCLE_1)
	s_mov_b32 s16, exec_lo
	v_cmpx_gt_u32_e64 s50, v81
	s_cbranch_execz .LBB1436_75
.LBB1436_177:                           ;   in Loop: Header=BB1436_66 Depth=2
	global_load_b32 v7, v[29:30], off offset:640
	s_or_b32 exec_lo, exec_lo, s16
	s_delay_alu instid0(SALU_CYCLE_1)
	s_mov_b32 s16, exec_lo
	v_cmpx_gt_u32_e64 s50, v82
	s_cbranch_execnz .LBB1436_76
	s_branch .LBB1436_77
.LBB1436_178:                           ;   in Loop: Header=BB1436_12 Depth=1
	s_waitcnt lgkmcnt(0)
	s_mov_b32 s1, 0
	s_barrier
.LBB1436_179:                           ;   in Loop: Header=BB1436_12 Depth=1
	s_and_b32 vcc_lo, exec_lo, s1
	s_cbranch_vccz .LBB1436_345
; %bb.180:                              ;   in Loop: Header=BB1436_12 Depth=1
	s_mov_b32 s1, s35
	s_mov_b32 s24, s27
	s_barrier
	buffer_gl0_inv
                                        ; implicit-def: $vgpr2_vgpr3_vgpr4_vgpr5_vgpr6_vgpr7_vgpr8_vgpr9
	s_branch .LBB1436_182
.LBB1436_181:                           ;   in Loop: Header=BB1436_182 Depth=2
	s_or_b32 exec_lo, exec_lo, s8
	s_addk_i32 s1, 0xf800
	s_cmp_ge_u32 s7, s33
	s_mov_b32 s24, s7
	s_cbranch_scc1 .LBB1436_220
.LBB1436_182:                           ;   Parent Loop BB1436_12 Depth=1
                                        ; =>  This Inner Loop Header: Depth=2
	s_add_i32 s7, s24, 0x800
	s_delay_alu instid0(SALU_CYCLE_1)
	s_cmp_gt_u32 s7, s33
	s_cbranch_scc1 .LBB1436_185
; %bb.183:                              ;   in Loop: Header=BB1436_182 Depth=2
	s_mov_b32 s9, 0
	s_mov_b32 s8, s24
	s_delay_alu instid0(SALU_CYCLE_1) | instskip(NEXT) | instid1(SALU_CYCLE_1)
	s_lshl_b64 s[10:11], s[8:9], 2
	v_add_co_u32 v21, vcc_lo, v59, s10
	v_add_co_ci_u32_e32 v22, vcc_lo, s11, v60, vcc_lo
	s_mov_b32 s10, -1
	s_waitcnt vmcnt(0)
	s_delay_alu instid0(VALU_DEP_2) | instskip(NEXT) | instid1(VALU_DEP_2)
	v_add_co_u32 v16, vcc_lo, 0x1000, v21
	v_add_co_ci_u32_e32 v17, vcc_lo, 0, v22, vcc_lo
	s_clause 0x6
	global_load_b32 v10, v[21:22], off
	global_load_b32 v11, v[21:22], off offset:1024
	global_load_b32 v12, v[21:22], off offset:2048
	;; [unrolled: 1-line block ×3, first 2 shown]
	global_load_b32 v14, v[16:17], off
	global_load_b32 v15, v[16:17], off offset:1024
	global_load_b32 v16, v[16:17], off offset:2048
	v_add_co_u32 v21, vcc_lo, 0x1c00, v21
	v_add_co_ci_u32_e32 v22, vcc_lo, 0, v22, vcc_lo
	s_movk_i32 s11, 0x800
	s_cbranch_execz .LBB1436_186
; %bb.184:                              ;   in Loop: Header=BB1436_182 Depth=2
                                        ; implicit-def: $vgpr2_vgpr3_vgpr4_vgpr5_vgpr6_vgpr7_vgpr8_vgpr9
	v_mov_b32_e32 v0, s1
	s_and_saveexec_b32 s8, s10
	s_cbranch_execnz .LBB1436_197
	s_branch .LBB1436_198
.LBB1436_185:                           ;   in Loop: Header=BB1436_182 Depth=2
	s_mov_b32 s10, 0
                                        ; implicit-def: $sgpr11
                                        ; implicit-def: $vgpr10_vgpr11_vgpr12_vgpr13_vgpr14_vgpr15_vgpr16_vgpr17
                                        ; implicit-def: $vgpr21_vgpr22
.LBB1436_186:                           ;   in Loop: Header=BB1436_182 Depth=2
	s_lshl_b64 s[8:9], s[24:25], 2
	s_mov_b32 s11, exec_lo
	s_add_u32 s8, s46, s8
	s_addc_u32 s9, s47, s9
	v_cmpx_gt_u32_e64 s1, v18
	s_cbranch_execz .LBB1436_214
; %bb.187:                              ;   in Loop: Header=BB1436_182 Depth=2
	v_lshlrev_b32_e32 v0, 2, v18
	global_load_b32 v2, v0, s[8:9]
	s_or_b32 exec_lo, exec_lo, s11
	s_delay_alu instid0(SALU_CYCLE_1)
	s_mov_b32 s11, exec_lo
	v_cmpx_gt_u32_e64 s1, v32
	s_cbranch_execnz .LBB1436_215
.LBB1436_188:                           ;   in Loop: Header=BB1436_182 Depth=2
	s_or_b32 exec_lo, exec_lo, s11
	s_delay_alu instid0(SALU_CYCLE_1)
	s_mov_b32 s11, exec_lo
	v_cmpx_gt_u32_e64 s1, v33
	s_cbranch_execz .LBB1436_216
.LBB1436_189:                           ;   in Loop: Header=BB1436_182 Depth=2
	v_lshlrev_b32_e32 v0, 2, v18
	global_load_b32 v4, v0, s[8:9] offset:2048
	s_or_b32 exec_lo, exec_lo, s11
	s_delay_alu instid0(SALU_CYCLE_1)
	s_mov_b32 s11, exec_lo
	v_cmpx_gt_u32_e64 s1, v34
	s_cbranch_execnz .LBB1436_217
.LBB1436_190:                           ;   in Loop: Header=BB1436_182 Depth=2
	s_or_b32 exec_lo, exec_lo, s11
	s_delay_alu instid0(SALU_CYCLE_1)
	s_mov_b32 s11, exec_lo
	v_cmpx_gt_u32_e64 s1, v38
	s_cbranch_execz .LBB1436_218
.LBB1436_191:                           ;   in Loop: Header=BB1436_182 Depth=2
	v_lshlrev_b32_e32 v0, 2, v38
	global_load_b32 v6, v0, s[8:9]
	s_or_b32 exec_lo, exec_lo, s11
	s_delay_alu instid0(SALU_CYCLE_1)
	s_mov_b32 s11, exec_lo
	v_cmpx_gt_u32_e64 s1, v39
	s_cbranch_execnz .LBB1436_219
.LBB1436_192:                           ;   in Loop: Header=BB1436_182 Depth=2
	s_or_b32 exec_lo, exec_lo, s11
	s_delay_alu instid0(SALU_CYCLE_1)
	s_mov_b32 s11, exec_lo
	v_cmpx_gt_u32_e64 s1, v40
	s_cbranch_execz .LBB1436_194
.LBB1436_193:                           ;   in Loop: Header=BB1436_182 Depth=2
	v_lshlrev_b32_e32 v0, 2, v40
	global_load_b32 v8, v0, s[8:9]
.LBB1436_194:                           ;   in Loop: Header=BB1436_182 Depth=2
	s_or_b32 exec_lo, exec_lo, s11
	s_delay_alu instid0(SALU_CYCLE_1)
	s_mov_b32 s12, exec_lo
                                        ; implicit-def: $sgpr11
                                        ; implicit-def: $vgpr21_vgpr22
	v_cmpx_gt_u32_e64 s1, v42
; %bb.195:                              ;   in Loop: Header=BB1436_182 Depth=2
	v_lshlrev_b32_e32 v0, 2, v42
	s_sub_i32 s11, s33, s24
	s_or_b32 s10, s10, exec_lo
	s_delay_alu instid0(VALU_DEP_1) | instskip(NEXT) | instid1(VALU_DEP_1)
	v_add_co_u32 v21, s8, s8, v0
	v_add_co_ci_u32_e64 v22, null, s9, 0, s8
; %bb.196:                              ;   in Loop: Header=BB1436_182 Depth=2
	s_or_b32 exec_lo, exec_lo, s12
	s_waitcnt vmcnt(0)
	v_dual_mov_b32 v17, v9 :: v_dual_mov_b32 v16, v8
	v_dual_mov_b32 v15, v7 :: v_dual_mov_b32 v14, v6
	;; [unrolled: 1-line block ×4, first 2 shown]
	v_mov_b32_e32 v0, s1
	s_and_saveexec_b32 s8, s10
	s_cbranch_execz .LBB1436_198
.LBB1436_197:                           ;   in Loop: Header=BB1436_182 Depth=2
	global_load_b32 v17, v[21:22], off
	s_waitcnt vmcnt(0)
	v_dual_mov_b32 v2, v10 :: v_dual_mov_b32 v5, v13
	v_dual_mov_b32 v0, s11 :: v_dual_mov_b32 v3, v11
	;; [unrolled: 1-line block ×3, first 2 shown]
	v_mov_b32_e32 v6, v14
	v_dual_mov_b32 v8, v16 :: v_dual_mov_b32 v9, v17
.LBB1436_198:                           ;   in Loop: Header=BB1436_182 Depth=2
	s_or_b32 exec_lo, exec_lo, s8
	s_delay_alu instid0(SALU_CYCLE_1)
	s_mov_b32 s8, exec_lo
	v_cmpx_lt_u32_e64 v18, v0
	s_cbranch_execz .LBB1436_206
; %bb.199:                              ;   in Loop: Header=BB1436_182 Depth=2
	v_cmp_lt_i32_e32 vcc_lo, -1, v2
	s_waitcnt vmcnt(5)
	v_lshlrev_b32_e32 v11, 2, v35
	v_cndmask_b32_e64 v10, -1, 0x80000000, vcc_lo
	s_delay_alu instid0(VALU_DEP_1) | instskip(NEXT) | instid1(VALU_DEP_1)
	v_xor_b32_e32 v10, v10, v2
	v_cmp_ne_u32_e32 vcc_lo, 0x7fffffff, v10
	v_cndmask_b32_e32 v10, 0x80000000, v10, vcc_lo
	s_delay_alu instid0(VALU_DEP_1) | instskip(NEXT) | instid1(VALU_DEP_1)
	v_lshrrev_b32_e32 v10, s30, v10
	v_and_b32_e32 v10, s31, v10
	s_delay_alu instid0(VALU_DEP_1) | instskip(SKIP_2) | instid1(SALU_CYCLE_1)
	v_lshl_or_b32 v10, v10, 4, v11
	ds_add_u32 v10, v71
	s_or_b32 exec_lo, exec_lo, s8
	s_mov_b32 s8, exec_lo
	v_cmpx_lt_u32_e64 v32, v0
	s_cbranch_execnz .LBB1436_207
.LBB1436_200:                           ;   in Loop: Header=BB1436_182 Depth=2
	s_or_b32 exec_lo, exec_lo, s8
	s_delay_alu instid0(SALU_CYCLE_1)
	s_mov_b32 s8, exec_lo
	v_cmpx_lt_u32_e64 v33, v0
	s_cbranch_execz .LBB1436_208
.LBB1436_201:                           ;   in Loop: Header=BB1436_182 Depth=2
	v_cmp_lt_i32_e32 vcc_lo, -1, v4
	s_waitcnt vmcnt(5)
	v_lshlrev_b32_e32 v11, 2, v35
	v_cndmask_b32_e64 v10, -1, 0x80000000, vcc_lo
	s_delay_alu instid0(VALU_DEP_1) | instskip(NEXT) | instid1(VALU_DEP_1)
	v_xor_b32_e32 v10, v10, v4
	v_cmp_ne_u32_e32 vcc_lo, 0x7fffffff, v10
	v_cndmask_b32_e32 v10, 0x80000000, v10, vcc_lo
	s_delay_alu instid0(VALU_DEP_1) | instskip(NEXT) | instid1(VALU_DEP_1)
	v_lshrrev_b32_e32 v10, s30, v10
	v_and_b32_e32 v10, s31, v10
	s_delay_alu instid0(VALU_DEP_1) | instskip(SKIP_2) | instid1(SALU_CYCLE_1)
	v_lshl_or_b32 v10, v10, 4, v11
	ds_add_u32 v10, v71
	s_or_b32 exec_lo, exec_lo, s8
	s_mov_b32 s8, exec_lo
	v_cmpx_lt_u32_e64 v34, v0
	s_cbranch_execnz .LBB1436_209
.LBB1436_202:                           ;   in Loop: Header=BB1436_182 Depth=2
	s_or_b32 exec_lo, exec_lo, s8
	s_delay_alu instid0(SALU_CYCLE_1)
	s_mov_b32 s8, exec_lo
	v_cmpx_lt_u32_e64 v38, v0
	s_cbranch_execz .LBB1436_210
.LBB1436_203:                           ;   in Loop: Header=BB1436_182 Depth=2
	v_cmp_lt_i32_e32 vcc_lo, -1, v6
	s_waitcnt vmcnt(5)
	v_lshlrev_b32_e32 v11, 2, v35
	v_cndmask_b32_e64 v10, -1, 0x80000000, vcc_lo
	s_delay_alu instid0(VALU_DEP_1) | instskip(NEXT) | instid1(VALU_DEP_1)
	v_xor_b32_e32 v10, v10, v6
	v_cmp_ne_u32_e32 vcc_lo, 0x7fffffff, v10
	v_cndmask_b32_e32 v10, 0x80000000, v10, vcc_lo
	s_delay_alu instid0(VALU_DEP_1) | instskip(NEXT) | instid1(VALU_DEP_1)
	v_lshrrev_b32_e32 v10, s30, v10
	v_and_b32_e32 v10, s31, v10
	s_delay_alu instid0(VALU_DEP_1) | instskip(SKIP_2) | instid1(SALU_CYCLE_1)
	v_lshl_or_b32 v10, v10, 4, v11
	ds_add_u32 v10, v71
	s_or_b32 exec_lo, exec_lo, s8
	s_mov_b32 s8, exec_lo
	v_cmpx_lt_u32_e64 v39, v0
	s_cbranch_execnz .LBB1436_211
.LBB1436_204:                           ;   in Loop: Header=BB1436_182 Depth=2
	s_or_b32 exec_lo, exec_lo, s8
	s_delay_alu instid0(SALU_CYCLE_1)
	s_mov_b32 s8, exec_lo
	v_cmpx_lt_u32_e64 v40, v0
	s_cbranch_execz .LBB1436_212
.LBB1436_205:                           ;   in Loop: Header=BB1436_182 Depth=2
	v_cmp_lt_i32_e32 vcc_lo, -1, v8
	s_waitcnt vmcnt(5)
	v_lshlrev_b32_e32 v11, 2, v35
	v_cndmask_b32_e64 v10, -1, 0x80000000, vcc_lo
	s_delay_alu instid0(VALU_DEP_1) | instskip(NEXT) | instid1(VALU_DEP_1)
	v_xor_b32_e32 v10, v10, v8
	v_cmp_ne_u32_e32 vcc_lo, 0x7fffffff, v10
	v_cndmask_b32_e32 v10, 0x80000000, v10, vcc_lo
	s_delay_alu instid0(VALU_DEP_1) | instskip(NEXT) | instid1(VALU_DEP_1)
	v_lshrrev_b32_e32 v10, s30, v10
	v_and_b32_e32 v10, s31, v10
	s_delay_alu instid0(VALU_DEP_1) | instskip(SKIP_2) | instid1(SALU_CYCLE_1)
	v_lshl_or_b32 v10, v10, 4, v11
	ds_add_u32 v10, v71
	s_or_b32 exec_lo, exec_lo, s8
	s_mov_b32 s8, exec_lo
	v_cmpx_lt_u32_e64 v42, v0
	s_cbranch_execz .LBB1436_181
	s_branch .LBB1436_213
.LBB1436_206:                           ;   in Loop: Header=BB1436_182 Depth=2
	s_or_b32 exec_lo, exec_lo, s8
	s_delay_alu instid0(SALU_CYCLE_1)
	s_mov_b32 s8, exec_lo
	v_cmpx_lt_u32_e64 v32, v0
	s_cbranch_execz .LBB1436_200
.LBB1436_207:                           ;   in Loop: Header=BB1436_182 Depth=2
	v_cmp_lt_i32_e32 vcc_lo, -1, v3
	s_waitcnt vmcnt(5)
	v_lshlrev_b32_e32 v11, 2, v35
	v_cndmask_b32_e64 v10, -1, 0x80000000, vcc_lo
	s_delay_alu instid0(VALU_DEP_1) | instskip(NEXT) | instid1(VALU_DEP_1)
	v_xor_b32_e32 v10, v10, v3
	v_cmp_ne_u32_e32 vcc_lo, 0x7fffffff, v10
	v_cndmask_b32_e32 v10, 0x80000000, v10, vcc_lo
	s_delay_alu instid0(VALU_DEP_1) | instskip(NEXT) | instid1(VALU_DEP_1)
	v_lshrrev_b32_e32 v10, s30, v10
	v_and_b32_e32 v10, s31, v10
	s_delay_alu instid0(VALU_DEP_1) | instskip(SKIP_2) | instid1(SALU_CYCLE_1)
	v_lshl_or_b32 v10, v10, 4, v11
	ds_add_u32 v10, v71
	s_or_b32 exec_lo, exec_lo, s8
	s_mov_b32 s8, exec_lo
	v_cmpx_lt_u32_e64 v33, v0
	s_cbranch_execnz .LBB1436_201
.LBB1436_208:                           ;   in Loop: Header=BB1436_182 Depth=2
	s_or_b32 exec_lo, exec_lo, s8
	s_delay_alu instid0(SALU_CYCLE_1)
	s_mov_b32 s8, exec_lo
	v_cmpx_lt_u32_e64 v34, v0
	s_cbranch_execz .LBB1436_202
.LBB1436_209:                           ;   in Loop: Header=BB1436_182 Depth=2
	v_cmp_lt_i32_e32 vcc_lo, -1, v5
	s_waitcnt vmcnt(5)
	v_lshlrev_b32_e32 v11, 2, v35
	v_cndmask_b32_e64 v10, -1, 0x80000000, vcc_lo
	s_delay_alu instid0(VALU_DEP_1) | instskip(NEXT) | instid1(VALU_DEP_1)
	v_xor_b32_e32 v10, v10, v5
	v_cmp_ne_u32_e32 vcc_lo, 0x7fffffff, v10
	v_cndmask_b32_e32 v10, 0x80000000, v10, vcc_lo
	s_delay_alu instid0(VALU_DEP_1) | instskip(NEXT) | instid1(VALU_DEP_1)
	v_lshrrev_b32_e32 v10, s30, v10
	v_and_b32_e32 v10, s31, v10
	s_delay_alu instid0(VALU_DEP_1) | instskip(SKIP_2) | instid1(SALU_CYCLE_1)
	v_lshl_or_b32 v10, v10, 4, v11
	ds_add_u32 v10, v71
	s_or_b32 exec_lo, exec_lo, s8
	s_mov_b32 s8, exec_lo
	v_cmpx_lt_u32_e64 v38, v0
	s_cbranch_execnz .LBB1436_203
.LBB1436_210:                           ;   in Loop: Header=BB1436_182 Depth=2
	s_or_b32 exec_lo, exec_lo, s8
	s_delay_alu instid0(SALU_CYCLE_1)
	s_mov_b32 s8, exec_lo
	v_cmpx_lt_u32_e64 v39, v0
	s_cbranch_execz .LBB1436_204
.LBB1436_211:                           ;   in Loop: Header=BB1436_182 Depth=2
	v_cmp_lt_i32_e32 vcc_lo, -1, v7
	s_waitcnt vmcnt(5)
	v_lshlrev_b32_e32 v11, 2, v35
	v_cndmask_b32_e64 v10, -1, 0x80000000, vcc_lo
	s_delay_alu instid0(VALU_DEP_1) | instskip(NEXT) | instid1(VALU_DEP_1)
	v_xor_b32_e32 v10, v10, v7
	v_cmp_ne_u32_e32 vcc_lo, 0x7fffffff, v10
	v_cndmask_b32_e32 v10, 0x80000000, v10, vcc_lo
	s_delay_alu instid0(VALU_DEP_1) | instskip(NEXT) | instid1(VALU_DEP_1)
	v_lshrrev_b32_e32 v10, s30, v10
	v_and_b32_e32 v10, s31, v10
	s_delay_alu instid0(VALU_DEP_1) | instskip(SKIP_2) | instid1(SALU_CYCLE_1)
	v_lshl_or_b32 v10, v10, 4, v11
	ds_add_u32 v10, v71
	s_or_b32 exec_lo, exec_lo, s8
	s_mov_b32 s8, exec_lo
	v_cmpx_lt_u32_e64 v40, v0
	s_cbranch_execnz .LBB1436_205
.LBB1436_212:                           ;   in Loop: Header=BB1436_182 Depth=2
	s_or_b32 exec_lo, exec_lo, s8
	s_delay_alu instid0(SALU_CYCLE_1)
	s_mov_b32 s8, exec_lo
	v_cmpx_lt_u32_e64 v42, v0
	s_cbranch_execz .LBB1436_181
.LBB1436_213:                           ;   in Loop: Header=BB1436_182 Depth=2
	v_cmp_lt_i32_e32 vcc_lo, -1, v9
	s_waitcnt vmcnt(6)
	v_lshlrev_b32_e32 v10, 2, v35
	v_cndmask_b32_e64 v0, -1, 0x80000000, vcc_lo
	s_delay_alu instid0(VALU_DEP_1) | instskip(NEXT) | instid1(VALU_DEP_1)
	v_xor_b32_e32 v0, v0, v9
	v_cmp_ne_u32_e32 vcc_lo, 0x7fffffff, v0
	v_cndmask_b32_e32 v0, 0x80000000, v0, vcc_lo
	s_delay_alu instid0(VALU_DEP_1) | instskip(NEXT) | instid1(VALU_DEP_1)
	v_lshrrev_b32_e32 v0, s30, v0
	v_and_b32_e32 v0, s31, v0
	s_delay_alu instid0(VALU_DEP_1)
	v_lshl_or_b32 v0, v0, 4, v10
	ds_add_u32 v0, v71
	s_branch .LBB1436_181
.LBB1436_214:                           ;   in Loop: Header=BB1436_182 Depth=2
	s_or_b32 exec_lo, exec_lo, s11
	s_delay_alu instid0(SALU_CYCLE_1)
	s_mov_b32 s11, exec_lo
	v_cmpx_gt_u32_e64 s1, v32
	s_cbranch_execz .LBB1436_188
.LBB1436_215:                           ;   in Loop: Header=BB1436_182 Depth=2
	v_lshlrev_b32_e32 v0, 2, v18
	global_load_b32 v3, v0, s[8:9] offset:1024
	s_or_b32 exec_lo, exec_lo, s11
	s_delay_alu instid0(SALU_CYCLE_1)
	s_mov_b32 s11, exec_lo
	v_cmpx_gt_u32_e64 s1, v33
	s_cbranch_execnz .LBB1436_189
.LBB1436_216:                           ;   in Loop: Header=BB1436_182 Depth=2
	s_or_b32 exec_lo, exec_lo, s11
	s_delay_alu instid0(SALU_CYCLE_1)
	s_mov_b32 s11, exec_lo
	v_cmpx_gt_u32_e64 s1, v34
	s_cbranch_execz .LBB1436_190
.LBB1436_217:                           ;   in Loop: Header=BB1436_182 Depth=2
	v_lshlrev_b32_e32 v0, 2, v18
	global_load_b32 v5, v0, s[8:9] offset:3072
	s_or_b32 exec_lo, exec_lo, s11
	s_delay_alu instid0(SALU_CYCLE_1)
	s_mov_b32 s11, exec_lo
	v_cmpx_gt_u32_e64 s1, v38
	s_cbranch_execnz .LBB1436_191
.LBB1436_218:                           ;   in Loop: Header=BB1436_182 Depth=2
	s_or_b32 exec_lo, exec_lo, s11
	s_delay_alu instid0(SALU_CYCLE_1)
	s_mov_b32 s11, exec_lo
	v_cmpx_gt_u32_e64 s1, v39
	s_cbranch_execz .LBB1436_192
.LBB1436_219:                           ;   in Loop: Header=BB1436_182 Depth=2
	v_lshlrev_b32_e32 v0, 2, v39
	global_load_b32 v7, v0, s[8:9]
	s_or_b32 exec_lo, exec_lo, s11
	s_delay_alu instid0(SALU_CYCLE_1)
	s_mov_b32 s11, exec_lo
	v_cmpx_gt_u32_e64 s1, v40
	s_cbranch_execz .LBB1436_194
	s_branch .LBB1436_193
.LBB1436_220:                           ;   in Loop: Header=BB1436_12 Depth=1
	v_mov_b32_e32 v0, 0
	s_waitcnt vmcnt(0) lgkmcnt(0)
	s_barrier
	buffer_gl0_inv
	s_and_saveexec_b32 s1, s2
	s_cbranch_execz .LBB1436_222
; %bb.221:                              ;   in Loop: Header=BB1436_12 Depth=1
	ds_load_2addr_b64 v[2:5], v43 offset1:1
	s_waitcnt lgkmcnt(0)
	v_add_nc_u32_e32 v0, v3, v2
	s_delay_alu instid0(VALU_DEP_1)
	v_add3_u32 v0, v0, v4, v5
.LBB1436_222:                           ;   in Loop: Header=BB1436_12 Depth=1
	s_or_b32 exec_lo, exec_lo, s1
	v_and_b32_e32 v2, 15, v72
	s_delay_alu instid0(VALU_DEP_2) | instskip(SKIP_1) | instid1(VALU_DEP_3)
	v_mov_b32_dpp v3, v0 row_shr:1 row_mask:0xf bank_mask:0xf
	v_and_b32_e32 v4, 16, v72
	v_cmp_eq_u32_e64 s1, 0, v2
	v_cmp_lt_u32_e64 s7, 1, v2
	v_cmp_lt_u32_e64 s8, 3, v2
	;; [unrolled: 1-line block ×3, first 2 shown]
	v_cmp_eq_u32_e64 s10, 0, v4
	v_cndmask_b32_e64 v3, v3, 0, s1
	s_delay_alu instid0(VALU_DEP_1) | instskip(NEXT) | instid1(VALU_DEP_1)
	v_add_nc_u32_e32 v0, v3, v0
	v_mov_b32_dpp v3, v0 row_shr:2 row_mask:0xf bank_mask:0xf
	s_delay_alu instid0(VALU_DEP_1) | instskip(NEXT) | instid1(VALU_DEP_1)
	v_cndmask_b32_e64 v3, 0, v3, s7
	v_add_nc_u32_e32 v0, v0, v3
	s_delay_alu instid0(VALU_DEP_1) | instskip(NEXT) | instid1(VALU_DEP_1)
	v_mov_b32_dpp v3, v0 row_shr:4 row_mask:0xf bank_mask:0xf
	v_cndmask_b32_e64 v3, 0, v3, s8
	s_delay_alu instid0(VALU_DEP_1) | instskip(NEXT) | instid1(VALU_DEP_1)
	v_add_nc_u32_e32 v0, v0, v3
	v_mov_b32_dpp v3, v0 row_shr:8 row_mask:0xf bank_mask:0xf
	s_delay_alu instid0(VALU_DEP_1) | instskip(SKIP_1) | instid1(VALU_DEP_2)
	v_cndmask_b32_e64 v2, 0, v3, s9
	v_bfe_i32 v3, v72, 4, 1
	v_add_nc_u32_e32 v0, v0, v2
	ds_swizzle_b32 v2, v0 offset:swizzle(BROADCAST,32,15)
	s_waitcnt lgkmcnt(0)
	v_and_b32_e32 v2, v3, v2
	s_delay_alu instid0(VALU_DEP_1)
	v_add_nc_u32_e32 v2, v0, v2
	s_and_saveexec_b32 s11, s3
	s_cbranch_execz .LBB1436_224
; %bb.223:                              ;   in Loop: Header=BB1436_12 Depth=1
	ds_store_b32 v44, v2
.LBB1436_224:                           ;   in Loop: Header=BB1436_12 Depth=1
	s_or_b32 exec_lo, exec_lo, s11
	v_and_b32_e32 v0, 7, v72
	s_waitcnt lgkmcnt(0)
	s_barrier
	buffer_gl0_inv
	s_and_saveexec_b32 s11, s4
	s_cbranch_execz .LBB1436_226
; %bb.225:                              ;   in Loop: Header=BB1436_12 Depth=1
	ds_load_b32 v3, v45
	v_cmp_ne_u32_e32 vcc_lo, 0, v0
	s_waitcnt lgkmcnt(0)
	v_mov_b32_dpp v4, v3 row_shr:1 row_mask:0xf bank_mask:0xf
	s_delay_alu instid0(VALU_DEP_1) | instskip(SKIP_1) | instid1(VALU_DEP_2)
	v_cndmask_b32_e32 v4, 0, v4, vcc_lo
	v_cmp_lt_u32_e32 vcc_lo, 1, v0
	v_add_nc_u32_e32 v3, v4, v3
	s_delay_alu instid0(VALU_DEP_1) | instskip(NEXT) | instid1(VALU_DEP_1)
	v_mov_b32_dpp v4, v3 row_shr:2 row_mask:0xf bank_mask:0xf
	v_cndmask_b32_e32 v4, 0, v4, vcc_lo
	v_cmp_lt_u32_e32 vcc_lo, 3, v0
	s_delay_alu instid0(VALU_DEP_2) | instskip(NEXT) | instid1(VALU_DEP_1)
	v_add_nc_u32_e32 v3, v3, v4
	v_mov_b32_dpp v4, v3 row_shr:4 row_mask:0xf bank_mask:0xf
	s_delay_alu instid0(VALU_DEP_1) | instskip(NEXT) | instid1(VALU_DEP_1)
	v_cndmask_b32_e32 v4, 0, v4, vcc_lo
	v_add_nc_u32_e32 v3, v3, v4
	ds_store_b32 v45, v3
.LBB1436_226:                           ;   in Loop: Header=BB1436_12 Depth=1
	s_or_b32 exec_lo, exec_lo, s11
	v_mov_b32_e32 v3, 0
	s_waitcnt lgkmcnt(0)
	s_barrier
	buffer_gl0_inv
	s_and_saveexec_b32 s11, s5
	s_cbranch_execz .LBB1436_228
; %bb.227:                              ;   in Loop: Header=BB1436_12 Depth=1
	ds_load_b32 v3, v46
.LBB1436_228:                           ;   in Loop: Header=BB1436_12 Depth=1
	s_or_b32 exec_lo, exec_lo, s11
	v_add_nc_u32_e32 v4, -1, v72
	s_waitcnt lgkmcnt(0)
	v_add_nc_u32_e32 v2, v3, v2
	v_cmp_eq_u32_e64 s11, 0, v72
	s_barrier
	v_cmp_gt_i32_e32 vcc_lo, 0, v4
	buffer_gl0_inv
	v_cndmask_b32_e32 v4, v4, v72, vcc_lo
	s_delay_alu instid0(VALU_DEP_1)
	v_lshlrev_b32_e32 v73, 2, v4
	ds_bpermute_b32 v2, v73, v2
	s_and_saveexec_b32 s12, s2
	s_cbranch_execz .LBB1436_230
; %bb.229:                              ;   in Loop: Header=BB1436_12 Depth=1
	s_waitcnt lgkmcnt(0)
	v_cndmask_b32_e64 v2, v2, v3, s11
	s_delay_alu instid0(VALU_DEP_1)
	v_add_nc_u32_e32 v2, s27, v2
	ds_store_b32 v31, v2
.LBB1436_230:                           ;   in Loop: Header=BB1436_12 Depth=1
	s_or_b32 exec_lo, exec_lo, s12
	s_load_b64 s[12:13], s[28:29], 0x0
	v_lshlrev_b32_e32 v3, 3, v72
	v_cmp_lt_u32_e64 s14, 3, v0
	v_or_b32_e32 v74, v72, v47
	s_mov_b32 s50, s35
	s_mov_b32 s24, s27
	v_add_co_u32 v75, vcc_lo, v61, v3
	v_add_co_ci_u32_e32 v76, vcc_lo, 0, v62, vcc_lo
	v_or_b32_e32 v77, 32, v74
	v_or_b32_e32 v78, 64, v74
	;; [unrolled: 1-line block ×7, first 2 shown]
                                        ; implicit-def: $vgpr10_vgpr11
                                        ; implicit-def: $vgpr12_vgpr13
                                        ; implicit-def: $vgpr14_vgpr15
                                        ; implicit-def: $vgpr16_vgpr17
                                        ; implicit-def: $vgpr21_vgpr22
                                        ; implicit-def: $vgpr23_vgpr24
                                        ; implicit-def: $vgpr25_vgpr26
                                        ; implicit-def: $vgpr27_vgpr28
                                        ; implicit-def: $vgpr89
                                        ; implicit-def: $vgpr90
                                        ; implicit-def: $vgpr91
                                        ; implicit-def: $vgpr92
                                        ; implicit-def: $vgpr93
                                        ; implicit-def: $vgpr94
                                        ; implicit-def: $vgpr95
                                        ; implicit-def: $vgpr96
	s_waitcnt lgkmcnt(0)
	s_cmp_lt_u32 s15, s13
	s_cselect_b32 s13, 14, 20
	s_delay_alu instid0(SALU_CYCLE_1) | instskip(SKIP_4) | instid1(SALU_CYCLE_1)
	s_add_u32 s16, s28, s13
	s_addc_u32 s17, s29, 0
	s_cmp_lt_u32 s26, s12
	global_load_u16 v2, v20, s[16:17]
	s_cselect_b32 s12, 12, 18
	s_add_u32 s12, s28, s12
	s_addc_u32 s13, s29, 0
	global_load_u16 v4, v20, s[12:13]
	v_cmp_eq_u32_e64 s12, 0, v0
	v_cmp_lt_u32_e64 s13, 1, v0
	v_lshlrev_b32_e32 v0, 2, v72
	s_delay_alu instid0(VALU_DEP_1) | instskip(SKIP_1) | instid1(VALU_DEP_2)
	v_add_co_u32 v84, vcc_lo, v63, v0
	v_add_co_ci_u32_e32 v85, vcc_lo, 0, v64, vcc_lo
	v_add_co_u32 v87, vcc_lo, 0x380, v84
	s_delay_alu instid0(VALU_DEP_2) | instskip(SKIP_3) | instid1(VALU_DEP_1)
	v_add_co_ci_u32_e32 v88, vcc_lo, 0, v85, vcc_lo
	s_waitcnt vmcnt(1)
	v_mad_u32_u24 v5, v48, v2, v50
	s_waitcnt vmcnt(0)
	v_mad_u64_u32 v[2:3], null, v5, v4, v[18:19]
	s_delay_alu instid0(VALU_DEP_1)
	v_lshrrev_b32_e32 v86, 5, v2
	s_branch .LBB1436_232
.LBB1436_231:                           ;   in Loop: Header=BB1436_232 Depth=2
	s_or_b32 exec_lo, exec_lo, s16
	s_addk_i32 s50, 0xf800
	s_cmp_lt_u32 s51, s33
	s_mov_b32 s24, s51
	s_cbranch_scc0 .LBB1436_344
.LBB1436_232:                           ;   Parent Loop BB1436_12 Depth=1
                                        ; =>  This Inner Loop Header: Depth=2
	s_add_i32 s51, s24, 0x800
	s_delay_alu instid0(SALU_CYCLE_1)
	s_cmp_gt_u32 s51, s33
	s_cbranch_scc1 .LBB1436_234
; %bb.233:                              ;   in Loop: Header=BB1436_232 Depth=2
	s_mov_b32 s17, 0
	s_mov_b32 s16, s24
	s_delay_alu instid0(SALU_CYCLE_1) | instskip(NEXT) | instid1(SALU_CYCLE_1)
	s_lshl_b64 s[18:19], s[16:17], 2
	v_add_co_u32 v8, vcc_lo, v84, s18
	v_add_co_ci_u32_e32 v9, vcc_lo, s19, v85, vcc_lo
	s_mov_b32 s19, -1
	s_movk_i32 s18, 0x800
	s_clause 0x6
	global_load_b32 v2, v[8:9], off
	global_load_b32 v3, v[8:9], off offset:128
	global_load_b32 v4, v[8:9], off offset:256
	;; [unrolled: 1-line block ×6, first 2 shown]
	s_cbranch_execz .LBB1436_235
	s_branch .LBB1436_244
.LBB1436_234:                           ;   in Loop: Header=BB1436_232 Depth=2
	s_mov_b32 s17, -1
	s_mov_b32 s19, 0
                                        ; implicit-def: $sgpr18
                                        ; implicit-def: $vgpr2_vgpr3_vgpr4_vgpr5_vgpr6_vgpr7_vgpr8_vgpr9
.LBB1436_235:                           ;   in Loop: Header=BB1436_232 Depth=2
	s_lshl_b64 s[16:17], s[24:25], 2
	s_mov_b32 s37, s36
	v_add_co_u32 v29, vcc_lo, v84, s16
	s_mov_b32 s38, s36
	s_mov_b32 s39, s36
	s_mov_b32 s40, s36
	s_mov_b32 s41, s36
	s_mov_b32 s42, s36
	s_mov_b32 s43, s36
	s_waitcnt vmcnt(0)
	v_dual_mov_b32 v2, s36 :: v_dual_mov_b32 v3, s37
	v_add_co_ci_u32_e32 v30, vcc_lo, s17, v85, vcc_lo
	v_dual_mov_b32 v4, s38 :: v_dual_mov_b32 v5, s39
	v_dual_mov_b32 v6, s40 :: v_dual_mov_b32 v7, s41
	;; [unrolled: 1-line block ×3, first 2 shown]
	s_mov_b32 s16, exec_lo
	v_cmpx_gt_u32_e64 s50, v74
	s_cbranch_execz .LBB1436_338
; %bb.236:                              ;   in Loop: Header=BB1436_232 Depth=2
	global_load_b32 v0, v[29:30], off
	v_mov_b32_e32 v7, v1
	v_mov_b32_e32 v2, v1
	;; [unrolled: 1-line block ×6, first 2 shown]
	s_waitcnt vmcnt(0)
	v_mov_b32_e32 v9, v7
	s_delay_alu instid0(VALU_DEP_2)
	v_dual_mov_b32 v8, v6 :: v_dual_mov_b32 v7, v5
	v_mov_b32_e32 v6, v4
	v_mov_b32_e32 v5, v3
	;; [unrolled: 1-line block ×5, first 2 shown]
	s_or_b32 exec_lo, exec_lo, s16
	s_delay_alu instid0(SALU_CYCLE_1)
	s_mov_b32 s16, exec_lo
	v_cmpx_gt_u32_e64 s50, v77
	s_cbranch_execnz .LBB1436_339
.LBB1436_237:                           ;   in Loop: Header=BB1436_232 Depth=2
	s_or_b32 exec_lo, exec_lo, s16
	s_delay_alu instid0(SALU_CYCLE_1)
	s_mov_b32 s16, exec_lo
	v_cmpx_gt_u32_e64 s50, v78
	s_cbranch_execz .LBB1436_340
.LBB1436_238:                           ;   in Loop: Header=BB1436_232 Depth=2
	global_load_b32 v4, v[29:30], off offset:256
	s_or_b32 exec_lo, exec_lo, s16
	s_delay_alu instid0(SALU_CYCLE_1)
	s_mov_b32 s16, exec_lo
	v_cmpx_gt_u32_e64 s50, v79
	s_cbranch_execnz .LBB1436_341
.LBB1436_239:                           ;   in Loop: Header=BB1436_232 Depth=2
	s_or_b32 exec_lo, exec_lo, s16
	s_delay_alu instid0(SALU_CYCLE_1)
	s_mov_b32 s16, exec_lo
	v_cmpx_gt_u32_e64 s50, v80
	s_cbranch_execz .LBB1436_342
.LBB1436_240:                           ;   in Loop: Header=BB1436_232 Depth=2
	global_load_b32 v6, v[29:30], off offset:512
	s_or_b32 exec_lo, exec_lo, s16
	s_delay_alu instid0(SALU_CYCLE_1)
	s_mov_b32 s16, exec_lo
	v_cmpx_gt_u32_e64 s50, v81
	s_cbranch_execnz .LBB1436_343
.LBB1436_241:                           ;   in Loop: Header=BB1436_232 Depth=2
	s_or_b32 exec_lo, exec_lo, s16
	s_delay_alu instid0(SALU_CYCLE_1)
	s_mov_b32 s16, exec_lo
	v_cmpx_gt_u32_e64 s50, v82
	s_cbranch_execz .LBB1436_243
.LBB1436_242:                           ;   in Loop: Header=BB1436_232 Depth=2
	global_load_b32 v8, v[29:30], off offset:768
.LBB1436_243:                           ;   in Loop: Header=BB1436_232 Depth=2
	s_or_b32 exec_lo, exec_lo, s16
	v_cmp_gt_u32_e64 s19, s50, v83
	s_sub_i32 s18, s33, s24
	s_mov_b64 s[16:17], s[24:25]
.LBB1436_244:                           ;   in Loop: Header=BB1436_232 Depth=2
	v_mov_b32_e32 v0, s50
	s_delay_alu instid0(VALU_DEP_2)
	s_and_saveexec_b32 s20, s19
	s_cbranch_execz .LBB1436_246
; %bb.245:                              ;   in Loop: Header=BB1436_232 Depth=2
	s_lshl_b64 s[16:17], s[16:17], 2
	v_mov_b32_e32 v0, s18
	v_add_co_u32 v29, vcc_lo, v87, s16
	v_add_co_ci_u32_e32 v30, vcc_lo, s17, v88, vcc_lo
	global_load_b32 v9, v[29:30], off
.LBB1436_246:                           ;   in Loop: Header=BB1436_232 Depth=2
	s_or_b32 exec_lo, exec_lo, s20
	s_waitcnt vmcnt(6)
	v_cmp_lt_i32_e32 vcc_lo, -1, v2
	ds_store_b32 v49, v20 offset:1056
	ds_store_2addr_b32 v51, v20, v20 offset0:1 offset1:2
	ds_store_2addr_b32 v51, v20, v20 offset0:3 offset1:4
	;; [unrolled: 1-line block ×4, first 2 shown]
	s_waitcnt vmcnt(0) lgkmcnt(0)
	s_barrier
	v_cndmask_b32_e64 v19, -1, 0x80000000, vcc_lo
	buffer_gl0_inv
	; wave barrier
	v_xor_b32_e32 v19, v19, v2
	s_delay_alu instid0(VALU_DEP_1) | instskip(SKIP_1) | instid1(VALU_DEP_1)
	v_cmp_ne_u32_e32 vcc_lo, 0x7fffffff, v19
	v_cndmask_b32_e32 v2, 0x80000000, v19, vcc_lo
	v_lshrrev_b32_e32 v2, s30, v2
	s_delay_alu instid0(VALU_DEP_1) | instskip(NEXT) | instid1(VALU_DEP_1)
	v_and_b32_e32 v30, s31, v2
	v_lshlrev_b32_e32 v29, 30, v30
	v_and_b32_e32 v2, 1, v30
	v_lshlrev_b32_e32 v97, 29, v30
	v_lshlrev_b32_e32 v98, 28, v30
	;; [unrolled: 1-line block ×3, first 2 shown]
	v_not_b32_e32 v103, v29
	v_add_co_u32 v2, s16, v2, -1
	s_delay_alu instid0(VALU_DEP_1)
	v_cndmask_b32_e64 v99, 0, 1, s16
	v_cmp_gt_i32_e64 s16, 0, v29
	v_not_b32_e32 v29, v97
	v_ashrrev_i32_e32 v103, 31, v103
	v_lshlrev_b32_e32 v101, 26, v30
	v_cmp_ne_u32_e32 vcc_lo, 0, v99
	v_lshlrev_b32_e32 v102, 25, v30
	v_ashrrev_i32_e32 v29, 31, v29
	v_xor_b32_e32 v103, s16, v103
	v_cmp_gt_i32_e64 s16, 0, v98
	v_xor_b32_e32 v2, vcc_lo, v2
	v_cmp_gt_i32_e32 vcc_lo, 0, v97
	v_not_b32_e32 v97, v98
	v_not_b32_e32 v98, v100
	v_lshlrev_b32_e32 v99, 24, v30
	v_and_b32_e32 v2, exec_lo, v2
	v_xor_b32_e32 v29, vcc_lo, v29
	v_ashrrev_i32_e32 v97, 31, v97
	v_cmp_gt_i32_e32 vcc_lo, 0, v100
	v_not_b32_e32 v100, v101
	v_and_b32_e32 v2, v2, v103
	v_ashrrev_i32_e32 v98, 31, v98
	v_xor_b32_e32 v97, s16, v97
	v_cmp_gt_i32_e64 s16, 0, v101
	v_ashrrev_i32_e32 v100, 31, v100
	v_and_b32_e32 v2, v2, v29
	v_not_b32_e32 v29, v102
	v_xor_b32_e32 v98, vcc_lo, v98
	v_cmp_gt_i32_e32 vcc_lo, 0, v102
	v_xor_b32_e32 v100, s16, v100
	v_and_b32_e32 v2, v2, v97
	v_not_b32_e32 v97, v99
	v_ashrrev_i32_e32 v29, 31, v29
	v_cmp_gt_i32_e64 s16, 0, v99
	v_mad_u32_u24 v30, v30, 9, v86
	v_and_b32_e32 v2, v2, v98
	v_ashrrev_i32_e32 v97, 31, v97
	v_xor_b32_e32 v29, vcc_lo, v29
	s_delay_alu instid0(VALU_DEP_3) | instskip(NEXT) | instid1(VALU_DEP_3)
	v_and_b32_e32 v2, v2, v100
	v_xor_b32_e32 v97, s16, v97
	s_delay_alu instid0(VALU_DEP_2) | instskip(NEXT) | instid1(VALU_DEP_1)
	v_and_b32_e32 v2, v2, v29
	v_and_b32_e32 v2, v2, v97
	v_lshl_add_u32 v97, v30, 2, 0x420
	s_delay_alu instid0(VALU_DEP_2) | instskip(SKIP_1) | instid1(VALU_DEP_2)
	v_mbcnt_lo_u32_b32 v29, v2, 0
	v_cmp_ne_u32_e64 s16, 0, v2
	v_cmp_eq_u32_e32 vcc_lo, 0, v29
	s_delay_alu instid0(VALU_DEP_2) | instskip(NEXT) | instid1(SALU_CYCLE_1)
	s_and_b32 s17, s16, vcc_lo
	s_and_saveexec_b32 s16, s17
	s_cbranch_execz .LBB1436_248
; %bb.247:                              ;   in Loop: Header=BB1436_232 Depth=2
	v_bcnt_u32_b32 v2, v2, 0
	ds_store_b32 v97, v2
.LBB1436_248:                           ;   in Loop: Header=BB1436_232 Depth=2
	s_or_b32 exec_lo, exec_lo, s16
	v_cmp_lt_i32_e32 vcc_lo, -1, v3
	; wave barrier
	v_cndmask_b32_e64 v2, -1, 0x80000000, vcc_lo
	s_delay_alu instid0(VALU_DEP_1) | instskip(NEXT) | instid1(VALU_DEP_1)
	v_xor_b32_e32 v30, v2, v3
	v_cmp_ne_u32_e32 vcc_lo, 0x7fffffff, v30
	v_cndmask_b32_e32 v2, 0x80000000, v30, vcc_lo
	s_delay_alu instid0(VALU_DEP_1) | instskip(NEXT) | instid1(VALU_DEP_1)
	v_lshrrev_b32_e32 v2, s30, v2
	v_and_b32_e32 v2, s31, v2
	s_delay_alu instid0(VALU_DEP_1)
	v_and_b32_e32 v3, 1, v2
	v_lshlrev_b32_e32 v98, 30, v2
	v_lshlrev_b32_e32 v99, 29, v2
	;; [unrolled: 1-line block ×4, first 2 shown]
	v_add_co_u32 v3, s16, v3, -1
	s_delay_alu instid0(VALU_DEP_1)
	v_cndmask_b32_e64 v101, 0, 1, s16
	v_not_b32_e32 v105, v98
	v_cmp_gt_i32_e64 s16, 0, v98
	v_not_b32_e32 v98, v99
	v_lshlrev_b32_e32 v103, 26, v2
	v_cmp_ne_u32_e32 vcc_lo, 0, v101
	v_ashrrev_i32_e32 v105, 31, v105
	v_lshlrev_b32_e32 v104, 25, v2
	v_ashrrev_i32_e32 v98, 31, v98
	v_lshlrev_b32_e32 v101, 24, v2
	v_xor_b32_e32 v3, vcc_lo, v3
	v_cmp_gt_i32_e32 vcc_lo, 0, v99
	v_not_b32_e32 v99, v100
	v_xor_b32_e32 v105, s16, v105
	v_cmp_gt_i32_e64 s16, 0, v100
	v_and_b32_e32 v3, exec_lo, v3
	v_not_b32_e32 v100, v102
	v_ashrrev_i32_e32 v99, 31, v99
	v_xor_b32_e32 v98, vcc_lo, v98
	v_cmp_gt_i32_e32 vcc_lo, 0, v102
	v_and_b32_e32 v3, v3, v105
	v_not_b32_e32 v102, v103
	v_ashrrev_i32_e32 v100, 31, v100
	v_xor_b32_e32 v99, s16, v99
	v_cmp_gt_i32_e64 s16, 0, v103
	v_and_b32_e32 v3, v3, v98
	v_not_b32_e32 v98, v104
	v_ashrrev_i32_e32 v102, 31, v102
	v_xor_b32_e32 v100, vcc_lo, v100
	v_cmp_gt_i32_e32 vcc_lo, 0, v104
	v_and_b32_e32 v3, v3, v99
	v_not_b32_e32 v99, v101
	v_ashrrev_i32_e32 v98, 31, v98
	v_xor_b32_e32 v102, s16, v102
	v_mul_u32_u24_e32 v2, 9, v2
	v_and_b32_e32 v3, v3, v100
	v_cmp_gt_i32_e64 s16, 0, v101
	v_ashrrev_i32_e32 v99, 31, v99
	v_xor_b32_e32 v98, vcc_lo, v98
	v_add_lshl_u32 v100, v2, v86, 2
	v_and_b32_e32 v3, v3, v102
	s_delay_alu instid0(VALU_DEP_4) | instskip(NEXT) | instid1(VALU_DEP_3)
	v_xor_b32_e32 v2, s16, v99
	v_add_nc_u32_e32 v101, 0x420, v100
	s_delay_alu instid0(VALU_DEP_3) | instskip(SKIP_2) | instid1(VALU_DEP_1)
	v_and_b32_e32 v3, v3, v98
	ds_load_b32 v98, v100 offset:1056
	; wave barrier
	v_and_b32_e32 v2, v3, v2
	v_mbcnt_lo_u32_b32 v99, v2, 0
	v_cmp_ne_u32_e64 s16, 0, v2
	s_delay_alu instid0(VALU_DEP_2) | instskip(NEXT) | instid1(VALU_DEP_2)
	v_cmp_eq_u32_e32 vcc_lo, 0, v99
	s_and_b32 s17, s16, vcc_lo
	s_delay_alu instid0(SALU_CYCLE_1)
	s_and_saveexec_b32 s16, s17
	s_cbranch_execz .LBB1436_250
; %bb.249:                              ;   in Loop: Header=BB1436_232 Depth=2
	s_waitcnt lgkmcnt(0)
	v_bcnt_u32_b32 v2, v2, v98
	ds_store_b32 v101, v2
.LBB1436_250:                           ;   in Loop: Header=BB1436_232 Depth=2
	s_or_b32 exec_lo, exec_lo, s16
	v_cmp_lt_i32_e32 vcc_lo, -1, v4
	; wave barrier
	v_cndmask_b32_e64 v2, -1, 0x80000000, vcc_lo
	s_delay_alu instid0(VALU_DEP_1) | instskip(NEXT) | instid1(VALU_DEP_1)
	v_xor_b32_e32 v100, v2, v4
	v_cmp_ne_u32_e32 vcc_lo, 0x7fffffff, v100
	v_cndmask_b32_e32 v2, 0x80000000, v100, vcc_lo
	s_delay_alu instid0(VALU_DEP_1) | instskip(NEXT) | instid1(VALU_DEP_1)
	v_lshrrev_b32_e32 v2, s30, v2
	v_and_b32_e32 v2, s31, v2
	s_delay_alu instid0(VALU_DEP_1)
	v_and_b32_e32 v3, 1, v2
	v_lshlrev_b32_e32 v4, 30, v2
	v_lshlrev_b32_e32 v102, 29, v2
	;; [unrolled: 1-line block ×4, first 2 shown]
	v_add_co_u32 v3, s16, v3, -1
	s_delay_alu instid0(VALU_DEP_1)
	v_cndmask_b32_e64 v104, 0, 1, s16
	v_not_b32_e32 v108, v4
	v_cmp_gt_i32_e64 s16, 0, v4
	v_not_b32_e32 v4, v102
	v_lshlrev_b32_e32 v106, 26, v2
	v_cmp_ne_u32_e32 vcc_lo, 0, v104
	v_ashrrev_i32_e32 v108, 31, v108
	v_lshlrev_b32_e32 v107, 25, v2
	v_ashrrev_i32_e32 v4, 31, v4
	v_lshlrev_b32_e32 v104, 24, v2
	v_xor_b32_e32 v3, vcc_lo, v3
	v_cmp_gt_i32_e32 vcc_lo, 0, v102
	v_not_b32_e32 v102, v103
	v_xor_b32_e32 v108, s16, v108
	v_cmp_gt_i32_e64 s16, 0, v103
	v_and_b32_e32 v3, exec_lo, v3
	v_not_b32_e32 v103, v105
	v_ashrrev_i32_e32 v102, 31, v102
	v_xor_b32_e32 v4, vcc_lo, v4
	v_cmp_gt_i32_e32 vcc_lo, 0, v105
	v_and_b32_e32 v3, v3, v108
	v_not_b32_e32 v105, v106
	v_ashrrev_i32_e32 v103, 31, v103
	v_xor_b32_e32 v102, s16, v102
	v_cmp_gt_i32_e64 s16, 0, v106
	v_and_b32_e32 v3, v3, v4
	v_not_b32_e32 v4, v107
	v_ashrrev_i32_e32 v105, 31, v105
	v_xor_b32_e32 v103, vcc_lo, v103
	v_cmp_gt_i32_e32 vcc_lo, 0, v107
	v_and_b32_e32 v3, v3, v102
	v_not_b32_e32 v102, v104
	v_ashrrev_i32_e32 v4, 31, v4
	v_xor_b32_e32 v105, s16, v105
	v_mul_u32_u24_e32 v2, 9, v2
	v_and_b32_e32 v3, v3, v103
	v_cmp_gt_i32_e64 s16, 0, v104
	v_ashrrev_i32_e32 v102, 31, v102
	v_xor_b32_e32 v4, vcc_lo, v4
	v_add_lshl_u32 v103, v2, v86, 2
	v_and_b32_e32 v3, v3, v105
	s_delay_alu instid0(VALU_DEP_4) | instskip(SKIP_3) | instid1(VALU_DEP_2)
	v_xor_b32_e32 v2, s16, v102
	ds_load_b32 v102, v103 offset:1056
	v_and_b32_e32 v3, v3, v4
	v_add_nc_u32_e32 v105, 0x420, v103
	; wave barrier
	v_and_b32_e32 v2, v3, v2
	s_delay_alu instid0(VALU_DEP_1) | instskip(SKIP_1) | instid1(VALU_DEP_2)
	v_mbcnt_lo_u32_b32 v104, v2, 0
	v_cmp_ne_u32_e64 s16, 0, v2
	v_cmp_eq_u32_e32 vcc_lo, 0, v104
	s_delay_alu instid0(VALU_DEP_2) | instskip(NEXT) | instid1(SALU_CYCLE_1)
	s_and_b32 s17, s16, vcc_lo
	s_and_saveexec_b32 s16, s17
	s_cbranch_execz .LBB1436_252
; %bb.251:                              ;   in Loop: Header=BB1436_232 Depth=2
	s_waitcnt lgkmcnt(0)
	v_bcnt_u32_b32 v2, v2, v102
	ds_store_b32 v105, v2
.LBB1436_252:                           ;   in Loop: Header=BB1436_232 Depth=2
	s_or_b32 exec_lo, exec_lo, s16
	v_cmp_lt_i32_e32 vcc_lo, -1, v5
	; wave barrier
	v_cndmask_b32_e64 v2, -1, 0x80000000, vcc_lo
	s_delay_alu instid0(VALU_DEP_1) | instskip(NEXT) | instid1(VALU_DEP_1)
	v_xor_b32_e32 v103, v2, v5
	v_cmp_ne_u32_e32 vcc_lo, 0x7fffffff, v103
	v_cndmask_b32_e32 v2, 0x80000000, v103, vcc_lo
	s_delay_alu instid0(VALU_DEP_1) | instskip(NEXT) | instid1(VALU_DEP_1)
	v_lshrrev_b32_e32 v2, s30, v2
	v_and_b32_e32 v2, s31, v2
	s_delay_alu instid0(VALU_DEP_1)
	v_and_b32_e32 v3, 1, v2
	v_lshlrev_b32_e32 v4, 30, v2
	v_lshlrev_b32_e32 v5, 29, v2
	;; [unrolled: 1-line block ×4, first 2 shown]
	v_add_co_u32 v3, s16, v3, -1
	s_delay_alu instid0(VALU_DEP_1)
	v_cndmask_b32_e64 v107, 0, 1, s16
	v_not_b32_e32 v111, v4
	v_cmp_gt_i32_e64 s16, 0, v4
	v_not_b32_e32 v4, v5
	v_lshlrev_b32_e32 v109, 26, v2
	v_cmp_ne_u32_e32 vcc_lo, 0, v107
	v_ashrrev_i32_e32 v111, 31, v111
	v_lshlrev_b32_e32 v110, 25, v2
	v_ashrrev_i32_e32 v4, 31, v4
	v_lshlrev_b32_e32 v107, 24, v2
	v_xor_b32_e32 v3, vcc_lo, v3
	v_cmp_gt_i32_e32 vcc_lo, 0, v5
	v_not_b32_e32 v5, v106
	v_xor_b32_e32 v111, s16, v111
	v_cmp_gt_i32_e64 s16, 0, v106
	v_and_b32_e32 v3, exec_lo, v3
	v_not_b32_e32 v106, v108
	v_ashrrev_i32_e32 v5, 31, v5
	v_xor_b32_e32 v4, vcc_lo, v4
	v_cmp_gt_i32_e32 vcc_lo, 0, v108
	v_and_b32_e32 v3, v3, v111
	v_not_b32_e32 v108, v109
	v_ashrrev_i32_e32 v106, 31, v106
	v_xor_b32_e32 v5, s16, v5
	v_cmp_gt_i32_e64 s16, 0, v109
	v_and_b32_e32 v3, v3, v4
	v_not_b32_e32 v4, v110
	v_ashrrev_i32_e32 v108, 31, v108
	v_xor_b32_e32 v106, vcc_lo, v106
	v_cmp_gt_i32_e32 vcc_lo, 0, v110
	v_and_b32_e32 v3, v3, v5
	v_not_b32_e32 v5, v107
	v_ashrrev_i32_e32 v4, 31, v4
	v_xor_b32_e32 v108, s16, v108
	v_mul_u32_u24_e32 v2, 9, v2
	v_and_b32_e32 v3, v3, v106
	v_cmp_gt_i32_e64 s16, 0, v107
	v_ashrrev_i32_e32 v5, 31, v5
	v_xor_b32_e32 v4, vcc_lo, v4
	v_add_lshl_u32 v106, v2, v86, 2
	v_and_b32_e32 v3, v3, v108
	s_delay_alu instid0(VALU_DEP_4) | instskip(SKIP_3) | instid1(VALU_DEP_2)
	v_xor_b32_e32 v2, s16, v5
	ds_load_b32 v107, v106 offset:1056
	v_and_b32_e32 v3, v3, v4
	v_add_nc_u32_e32 v109, 0x420, v106
	; wave barrier
	v_and_b32_e32 v2, v3, v2
	s_delay_alu instid0(VALU_DEP_1) | instskip(SKIP_1) | instid1(VALU_DEP_2)
	v_mbcnt_lo_u32_b32 v108, v2, 0
	v_cmp_ne_u32_e64 s16, 0, v2
	v_cmp_eq_u32_e32 vcc_lo, 0, v108
	s_delay_alu instid0(VALU_DEP_2) | instskip(NEXT) | instid1(SALU_CYCLE_1)
	s_and_b32 s17, s16, vcc_lo
	s_and_saveexec_b32 s16, s17
	s_cbranch_execz .LBB1436_254
; %bb.253:                              ;   in Loop: Header=BB1436_232 Depth=2
	s_waitcnt lgkmcnt(0)
	v_bcnt_u32_b32 v2, v2, v107
	ds_store_b32 v109, v2
.LBB1436_254:                           ;   in Loop: Header=BB1436_232 Depth=2
	s_or_b32 exec_lo, exec_lo, s16
	v_cmp_lt_i32_e32 vcc_lo, -1, v6
	; wave barrier
	v_cndmask_b32_e64 v2, -1, 0x80000000, vcc_lo
	s_delay_alu instid0(VALU_DEP_1) | instskip(NEXT) | instid1(VALU_DEP_1)
	v_xor_b32_e32 v106, v2, v6
	v_cmp_ne_u32_e32 vcc_lo, 0x7fffffff, v106
	v_cndmask_b32_e32 v2, 0x80000000, v106, vcc_lo
	s_delay_alu instid0(VALU_DEP_1) | instskip(NEXT) | instid1(VALU_DEP_1)
	v_lshrrev_b32_e32 v2, s30, v2
	v_and_b32_e32 v2, s31, v2
	s_delay_alu instid0(VALU_DEP_1)
	v_and_b32_e32 v3, 1, v2
	v_lshlrev_b32_e32 v4, 30, v2
	v_lshlrev_b32_e32 v5, 29, v2
	;; [unrolled: 1-line block ×4, first 2 shown]
	v_add_co_u32 v3, s16, v3, -1
	s_delay_alu instid0(VALU_DEP_1)
	v_cndmask_b32_e64 v110, 0, 1, s16
	v_not_b32_e32 v114, v4
	v_cmp_gt_i32_e64 s16, 0, v4
	v_not_b32_e32 v4, v5
	v_lshlrev_b32_e32 v112, 26, v2
	v_cmp_ne_u32_e32 vcc_lo, 0, v110
	v_ashrrev_i32_e32 v114, 31, v114
	v_lshlrev_b32_e32 v113, 25, v2
	v_ashrrev_i32_e32 v4, 31, v4
	v_lshlrev_b32_e32 v110, 24, v2
	v_xor_b32_e32 v3, vcc_lo, v3
	v_cmp_gt_i32_e32 vcc_lo, 0, v5
	v_not_b32_e32 v5, v6
	v_xor_b32_e32 v114, s16, v114
	v_cmp_gt_i32_e64 s16, 0, v6
	v_and_b32_e32 v3, exec_lo, v3
	v_not_b32_e32 v6, v111
	v_ashrrev_i32_e32 v5, 31, v5
	v_xor_b32_e32 v4, vcc_lo, v4
	v_cmp_gt_i32_e32 vcc_lo, 0, v111
	v_and_b32_e32 v3, v3, v114
	v_not_b32_e32 v111, v112
	v_ashrrev_i32_e32 v6, 31, v6
	v_xor_b32_e32 v5, s16, v5
	v_cmp_gt_i32_e64 s16, 0, v112
	v_and_b32_e32 v3, v3, v4
	v_not_b32_e32 v4, v113
	v_ashrrev_i32_e32 v111, 31, v111
	v_xor_b32_e32 v6, vcc_lo, v6
	v_cmp_gt_i32_e32 vcc_lo, 0, v113
	v_and_b32_e32 v3, v3, v5
	v_not_b32_e32 v5, v110
	v_ashrrev_i32_e32 v4, 31, v4
	v_xor_b32_e32 v111, s16, v111
	v_mul_u32_u24_e32 v2, 9, v2
	v_and_b32_e32 v3, v3, v6
	v_cmp_gt_i32_e64 s16, 0, v110
	v_ashrrev_i32_e32 v5, 31, v5
	v_xor_b32_e32 v4, vcc_lo, v4
	v_add_lshl_u32 v6, v2, v86, 2
	v_and_b32_e32 v3, v3, v111
	s_delay_alu instid0(VALU_DEP_4) | instskip(SKIP_3) | instid1(VALU_DEP_2)
	v_xor_b32_e32 v2, s16, v5
	ds_load_b32 v111, v6 offset:1056
	v_and_b32_e32 v3, v3, v4
	v_add_nc_u32_e32 v113, 0x420, v6
	; wave barrier
	v_and_b32_e32 v2, v3, v2
	s_delay_alu instid0(VALU_DEP_1) | instskip(SKIP_1) | instid1(VALU_DEP_2)
	v_mbcnt_lo_u32_b32 v112, v2, 0
	v_cmp_ne_u32_e64 s16, 0, v2
	v_cmp_eq_u32_e32 vcc_lo, 0, v112
	s_delay_alu instid0(VALU_DEP_2) | instskip(NEXT) | instid1(SALU_CYCLE_1)
	s_and_b32 s17, s16, vcc_lo
	s_and_saveexec_b32 s16, s17
	s_cbranch_execz .LBB1436_256
; %bb.255:                              ;   in Loop: Header=BB1436_232 Depth=2
	s_waitcnt lgkmcnt(0)
	v_bcnt_u32_b32 v2, v2, v111
	ds_store_b32 v113, v2
.LBB1436_256:                           ;   in Loop: Header=BB1436_232 Depth=2
	s_or_b32 exec_lo, exec_lo, s16
	v_cmp_lt_i32_e32 vcc_lo, -1, v7
	; wave barrier
	v_cndmask_b32_e64 v2, -1, 0x80000000, vcc_lo
	s_delay_alu instid0(VALU_DEP_1) | instskip(NEXT) | instid1(VALU_DEP_1)
	v_xor_b32_e32 v110, v2, v7
	v_cmp_ne_u32_e32 vcc_lo, 0x7fffffff, v110
	v_cndmask_b32_e32 v2, 0x80000000, v110, vcc_lo
	s_delay_alu instid0(VALU_DEP_1) | instskip(NEXT) | instid1(VALU_DEP_1)
	v_lshrrev_b32_e32 v2, s30, v2
	v_and_b32_e32 v2, s31, v2
	s_delay_alu instid0(VALU_DEP_1)
	v_and_b32_e32 v3, 1, v2
	v_lshlrev_b32_e32 v4, 30, v2
	v_lshlrev_b32_e32 v5, 29, v2
	v_lshlrev_b32_e32 v6, 28, v2
	v_lshlrev_b32_e32 v114, 27, v2
	v_add_co_u32 v3, s16, v3, -1
	s_delay_alu instid0(VALU_DEP_1)
	v_cndmask_b32_e64 v7, 0, 1, s16
	v_not_b32_e32 v117, v4
	v_cmp_gt_i32_e64 s16, 0, v4
	v_not_b32_e32 v4, v5
	v_lshlrev_b32_e32 v115, 26, v2
	v_cmp_ne_u32_e32 vcc_lo, 0, v7
	v_ashrrev_i32_e32 v117, 31, v117
	v_lshlrev_b32_e32 v116, 25, v2
	v_ashrrev_i32_e32 v4, 31, v4
	v_lshlrev_b32_e32 v7, 24, v2
	v_xor_b32_e32 v3, vcc_lo, v3
	v_cmp_gt_i32_e32 vcc_lo, 0, v5
	v_not_b32_e32 v5, v6
	v_xor_b32_e32 v117, s16, v117
	v_cmp_gt_i32_e64 s16, 0, v6
	v_and_b32_e32 v3, exec_lo, v3
	v_not_b32_e32 v6, v114
	v_ashrrev_i32_e32 v5, 31, v5
	v_xor_b32_e32 v4, vcc_lo, v4
	v_cmp_gt_i32_e32 vcc_lo, 0, v114
	v_and_b32_e32 v3, v3, v117
	v_not_b32_e32 v114, v115
	v_ashrrev_i32_e32 v6, 31, v6
	v_xor_b32_e32 v5, s16, v5
	v_cmp_gt_i32_e64 s16, 0, v115
	v_and_b32_e32 v3, v3, v4
	v_not_b32_e32 v4, v116
	v_ashrrev_i32_e32 v114, 31, v114
	v_xor_b32_e32 v6, vcc_lo, v6
	v_cmp_gt_i32_e32 vcc_lo, 0, v116
	v_and_b32_e32 v3, v3, v5
	v_not_b32_e32 v5, v7
	v_ashrrev_i32_e32 v4, 31, v4
	v_xor_b32_e32 v114, s16, v114
	v_mul_u32_u24_e32 v2, 9, v2
	v_and_b32_e32 v3, v3, v6
	v_cmp_gt_i32_e64 s16, 0, v7
	v_ashrrev_i32_e32 v5, 31, v5
	v_xor_b32_e32 v4, vcc_lo, v4
	v_add_lshl_u32 v6, v2, v86, 2
	v_and_b32_e32 v3, v3, v114
	s_delay_alu instid0(VALU_DEP_4) | instskip(SKIP_3) | instid1(VALU_DEP_2)
	v_xor_b32_e32 v2, s16, v5
	ds_load_b32 v115, v6 offset:1056
	v_and_b32_e32 v3, v3, v4
	v_add_nc_u32_e32 v117, 0x420, v6
	; wave barrier
	v_and_b32_e32 v2, v3, v2
	s_delay_alu instid0(VALU_DEP_1) | instskip(SKIP_1) | instid1(VALU_DEP_2)
	v_mbcnt_lo_u32_b32 v116, v2, 0
	v_cmp_ne_u32_e64 s16, 0, v2
	v_cmp_eq_u32_e32 vcc_lo, 0, v116
	s_delay_alu instid0(VALU_DEP_2) | instskip(NEXT) | instid1(SALU_CYCLE_1)
	s_and_b32 s17, s16, vcc_lo
	s_and_saveexec_b32 s16, s17
	s_cbranch_execz .LBB1436_258
; %bb.257:                              ;   in Loop: Header=BB1436_232 Depth=2
	s_waitcnt lgkmcnt(0)
	v_bcnt_u32_b32 v2, v2, v115
	ds_store_b32 v117, v2
.LBB1436_258:                           ;   in Loop: Header=BB1436_232 Depth=2
	s_or_b32 exec_lo, exec_lo, s16
	v_cmp_lt_i32_e32 vcc_lo, -1, v8
	; wave barrier
	v_cndmask_b32_e64 v2, -1, 0x80000000, vcc_lo
	s_delay_alu instid0(VALU_DEP_1) | instskip(NEXT) | instid1(VALU_DEP_1)
	v_xor_b32_e32 v114, v2, v8
	v_cmp_ne_u32_e32 vcc_lo, 0x7fffffff, v114
	v_cndmask_b32_e32 v2, 0x80000000, v114, vcc_lo
	s_delay_alu instid0(VALU_DEP_1) | instskip(NEXT) | instid1(VALU_DEP_1)
	v_lshrrev_b32_e32 v2, s30, v2
	v_and_b32_e32 v2, s31, v2
	s_delay_alu instid0(VALU_DEP_1)
	v_and_b32_e32 v3, 1, v2
	v_lshlrev_b32_e32 v4, 30, v2
	v_lshlrev_b32_e32 v5, 29, v2
	v_lshlrev_b32_e32 v6, 28, v2
	v_lshlrev_b32_e32 v8, 27, v2
	v_add_co_u32 v3, s16, v3, -1
	s_delay_alu instid0(VALU_DEP_1)
	v_cndmask_b32_e64 v7, 0, 1, s16
	v_not_b32_e32 v120, v4
	v_cmp_gt_i32_e64 s16, 0, v4
	v_not_b32_e32 v4, v5
	v_lshlrev_b32_e32 v118, 26, v2
	v_cmp_ne_u32_e32 vcc_lo, 0, v7
	v_ashrrev_i32_e32 v120, 31, v120
	v_lshlrev_b32_e32 v119, 25, v2
	v_ashrrev_i32_e32 v4, 31, v4
	v_lshlrev_b32_e32 v7, 24, v2
	v_xor_b32_e32 v3, vcc_lo, v3
	v_cmp_gt_i32_e32 vcc_lo, 0, v5
	v_not_b32_e32 v5, v6
	v_xor_b32_e32 v120, s16, v120
	v_cmp_gt_i32_e64 s16, 0, v6
	v_and_b32_e32 v3, exec_lo, v3
	v_not_b32_e32 v6, v8
	v_ashrrev_i32_e32 v5, 31, v5
	v_xor_b32_e32 v4, vcc_lo, v4
	v_cmp_gt_i32_e32 vcc_lo, 0, v8
	v_and_b32_e32 v3, v3, v120
	v_not_b32_e32 v8, v118
	v_ashrrev_i32_e32 v6, 31, v6
	v_xor_b32_e32 v5, s16, v5
	v_cmp_gt_i32_e64 s16, 0, v118
	v_and_b32_e32 v3, v3, v4
	v_not_b32_e32 v4, v119
	v_ashrrev_i32_e32 v8, 31, v8
	v_xor_b32_e32 v6, vcc_lo, v6
	v_cmp_gt_i32_e32 vcc_lo, 0, v119
	v_and_b32_e32 v3, v3, v5
	v_not_b32_e32 v5, v7
	v_ashrrev_i32_e32 v4, 31, v4
	v_xor_b32_e32 v8, s16, v8
	v_mul_u32_u24_e32 v2, 9, v2
	v_and_b32_e32 v3, v3, v6
	v_cmp_gt_i32_e64 s16, 0, v7
	v_ashrrev_i32_e32 v5, 31, v5
	v_xor_b32_e32 v4, vcc_lo, v4
	v_add_lshl_u32 v6, v2, v86, 2
	v_and_b32_e32 v3, v3, v8
	s_delay_alu instid0(VALU_DEP_4) | instskip(SKIP_3) | instid1(VALU_DEP_2)
	v_xor_b32_e32 v2, s16, v5
	ds_load_b32 v119, v6 offset:1056
	v_and_b32_e32 v3, v3, v4
	v_add_nc_u32_e32 v121, 0x420, v6
	; wave barrier
	v_and_b32_e32 v2, v3, v2
	s_delay_alu instid0(VALU_DEP_1) | instskip(SKIP_1) | instid1(VALU_DEP_2)
	v_mbcnt_lo_u32_b32 v120, v2, 0
	v_cmp_ne_u32_e64 s16, 0, v2
	v_cmp_eq_u32_e32 vcc_lo, 0, v120
	s_delay_alu instid0(VALU_DEP_2) | instskip(NEXT) | instid1(SALU_CYCLE_1)
	s_and_b32 s17, s16, vcc_lo
	s_and_saveexec_b32 s16, s17
	s_cbranch_execz .LBB1436_260
; %bb.259:                              ;   in Loop: Header=BB1436_232 Depth=2
	s_waitcnt lgkmcnt(0)
	v_bcnt_u32_b32 v2, v2, v119
	ds_store_b32 v121, v2
.LBB1436_260:                           ;   in Loop: Header=BB1436_232 Depth=2
	s_or_b32 exec_lo, exec_lo, s16
	v_cmp_lt_i32_e32 vcc_lo, -1, v9
	; wave barrier
	v_cndmask_b32_e64 v2, -1, 0x80000000, vcc_lo
	s_delay_alu instid0(VALU_DEP_1) | instskip(NEXT) | instid1(VALU_DEP_1)
	v_xor_b32_e32 v118, v2, v9
	v_cmp_ne_u32_e32 vcc_lo, 0x7fffffff, v118
	v_cndmask_b32_e32 v2, 0x80000000, v118, vcc_lo
	s_delay_alu instid0(VALU_DEP_1) | instskip(NEXT) | instid1(VALU_DEP_1)
	v_lshrrev_b32_e32 v2, s30, v2
	v_and_b32_e32 v2, s31, v2
	s_delay_alu instid0(VALU_DEP_1)
	v_and_b32_e32 v3, 1, v2
	v_lshlrev_b32_e32 v4, 30, v2
	v_lshlrev_b32_e32 v5, 29, v2
	v_lshlrev_b32_e32 v6, 28, v2
	v_lshlrev_b32_e32 v8, 27, v2
	v_add_co_u32 v3, s16, v3, -1
	s_delay_alu instid0(VALU_DEP_1)
	v_cndmask_b32_e64 v7, 0, 1, s16
	v_not_b32_e32 v123, v4
	v_cmp_gt_i32_e64 s16, 0, v4
	v_not_b32_e32 v4, v5
	v_lshlrev_b32_e32 v9, 26, v2
	v_cmp_ne_u32_e32 vcc_lo, 0, v7
	v_ashrrev_i32_e32 v123, 31, v123
	v_lshlrev_b32_e32 v122, 25, v2
	v_ashrrev_i32_e32 v4, 31, v4
	v_lshlrev_b32_e32 v7, 24, v2
	v_xor_b32_e32 v3, vcc_lo, v3
	v_cmp_gt_i32_e32 vcc_lo, 0, v5
	v_not_b32_e32 v5, v6
	v_xor_b32_e32 v123, s16, v123
	v_cmp_gt_i32_e64 s16, 0, v6
	v_and_b32_e32 v3, exec_lo, v3
	v_not_b32_e32 v6, v8
	v_ashrrev_i32_e32 v5, 31, v5
	v_xor_b32_e32 v4, vcc_lo, v4
	v_cmp_gt_i32_e32 vcc_lo, 0, v8
	v_and_b32_e32 v3, v3, v123
	v_not_b32_e32 v8, v9
	v_ashrrev_i32_e32 v6, 31, v6
	v_xor_b32_e32 v5, s16, v5
	v_cmp_gt_i32_e64 s16, 0, v9
	v_and_b32_e32 v3, v3, v4
	v_not_b32_e32 v4, v122
	v_ashrrev_i32_e32 v8, 31, v8
	v_xor_b32_e32 v6, vcc_lo, v6
	v_cmp_gt_i32_e32 vcc_lo, 0, v122
	v_and_b32_e32 v3, v3, v5
	v_not_b32_e32 v5, v7
	v_ashrrev_i32_e32 v4, 31, v4
	v_xor_b32_e32 v8, s16, v8
	v_mul_u32_u24_e32 v2, 9, v2
	v_and_b32_e32 v3, v3, v6
	v_cmp_gt_i32_e64 s16, 0, v7
	v_ashrrev_i32_e32 v5, 31, v5
	v_xor_b32_e32 v4, vcc_lo, v4
	v_add_lshl_u32 v6, v2, v86, 2
	v_and_b32_e32 v3, v3, v8
	s_delay_alu instid0(VALU_DEP_4) | instskip(SKIP_3) | instid1(VALU_DEP_2)
	v_xor_b32_e32 v2, s16, v5
	ds_load_b32 v122, v6 offset:1056
	v_and_b32_e32 v3, v3, v4
	v_add_nc_u32_e32 v124, 0x420, v6
	; wave barrier
	v_and_b32_e32 v2, v3, v2
	s_delay_alu instid0(VALU_DEP_1) | instskip(SKIP_1) | instid1(VALU_DEP_2)
	v_mbcnt_lo_u32_b32 v123, v2, 0
	v_cmp_ne_u32_e64 s16, 0, v2
	v_cmp_eq_u32_e32 vcc_lo, 0, v123
	s_delay_alu instid0(VALU_DEP_2) | instskip(NEXT) | instid1(SALU_CYCLE_1)
	s_and_b32 s17, s16, vcc_lo
	s_and_saveexec_b32 s16, s17
	s_cbranch_execz .LBB1436_262
; %bb.261:                              ;   in Loop: Header=BB1436_232 Depth=2
	s_waitcnt lgkmcnt(0)
	v_bcnt_u32_b32 v2, v2, v122
	ds_store_b32 v124, v2
.LBB1436_262:                           ;   in Loop: Header=BB1436_232 Depth=2
	s_or_b32 exec_lo, exec_lo, s16
	; wave barrier
	s_waitcnt lgkmcnt(0)
	s_barrier
	buffer_gl0_inv
	ds_load_b32 v125, v49 offset:1056
	ds_load_2addr_b32 v[8:9], v51 offset0:1 offset1:2
	ds_load_2addr_b32 v[6:7], v51 offset0:3 offset1:4
	;; [unrolled: 1-line block ×4, first 2 shown]
	s_waitcnt lgkmcnt(3)
	v_add3_u32 v126, v8, v125, v9
	s_waitcnt lgkmcnt(2)
	s_delay_alu instid0(VALU_DEP_1) | instskip(SKIP_1) | instid1(VALU_DEP_1)
	v_add3_u32 v126, v126, v6, v7
	s_waitcnt lgkmcnt(1)
	v_add3_u32 v126, v126, v2, v3
	s_waitcnt lgkmcnt(0)
	s_delay_alu instid0(VALU_DEP_1) | instskip(NEXT) | instid1(VALU_DEP_1)
	v_add3_u32 v5, v126, v4, v5
	v_mov_b32_dpp v126, v5 row_shr:1 row_mask:0xf bank_mask:0xf
	s_delay_alu instid0(VALU_DEP_1) | instskip(NEXT) | instid1(VALU_DEP_1)
	v_cndmask_b32_e64 v126, v126, 0, s1
	v_add_nc_u32_e32 v5, v126, v5
	s_delay_alu instid0(VALU_DEP_1) | instskip(NEXT) | instid1(VALU_DEP_1)
	v_mov_b32_dpp v126, v5 row_shr:2 row_mask:0xf bank_mask:0xf
	v_cndmask_b32_e64 v126, 0, v126, s7
	s_delay_alu instid0(VALU_DEP_1) | instskip(NEXT) | instid1(VALU_DEP_1)
	v_add_nc_u32_e32 v5, v5, v126
	v_mov_b32_dpp v126, v5 row_shr:4 row_mask:0xf bank_mask:0xf
	s_delay_alu instid0(VALU_DEP_1) | instskip(NEXT) | instid1(VALU_DEP_1)
	v_cndmask_b32_e64 v126, 0, v126, s8
	v_add_nc_u32_e32 v5, v5, v126
	s_delay_alu instid0(VALU_DEP_1) | instskip(NEXT) | instid1(VALU_DEP_1)
	v_mov_b32_dpp v126, v5 row_shr:8 row_mask:0xf bank_mask:0xf
	v_cndmask_b32_e64 v126, 0, v126, s9
	s_delay_alu instid0(VALU_DEP_1) | instskip(SKIP_3) | instid1(VALU_DEP_1)
	v_add_nc_u32_e32 v5, v5, v126
	ds_swizzle_b32 v126, v5 offset:swizzle(BROADCAST,32,15)
	s_waitcnt lgkmcnt(0)
	v_cndmask_b32_e64 v126, v126, 0, s10
	v_add_nc_u32_e32 v5, v5, v126
	s_and_saveexec_b32 s16, s3
	s_cbranch_execz .LBB1436_264
; %bb.263:                              ;   in Loop: Header=BB1436_232 Depth=2
	ds_store_b32 v41, v5 offset:1024
.LBB1436_264:                           ;   in Loop: Header=BB1436_232 Depth=2
	s_or_b32 exec_lo, exec_lo, s16
	s_waitcnt lgkmcnt(0)
	s_barrier
	buffer_gl0_inv
	s_and_saveexec_b32 s16, s4
	s_cbranch_execz .LBB1436_266
; %bb.265:                              ;   in Loop: Header=BB1436_232 Depth=2
	ds_load_b32 v126, v52 offset:1024
	s_waitcnt lgkmcnt(0)
	v_mov_b32_dpp v127, v126 row_shr:1 row_mask:0xf bank_mask:0xf
	s_delay_alu instid0(VALU_DEP_1) | instskip(NEXT) | instid1(VALU_DEP_1)
	v_cndmask_b32_e64 v127, v127, 0, s12
	v_add_nc_u32_e32 v126, v127, v126
	s_delay_alu instid0(VALU_DEP_1) | instskip(NEXT) | instid1(VALU_DEP_1)
	v_mov_b32_dpp v127, v126 row_shr:2 row_mask:0xf bank_mask:0xf
	v_cndmask_b32_e64 v127, 0, v127, s13
	s_delay_alu instid0(VALU_DEP_1) | instskip(NEXT) | instid1(VALU_DEP_1)
	v_add_nc_u32_e32 v126, v126, v127
	v_mov_b32_dpp v127, v126 row_shr:4 row_mask:0xf bank_mask:0xf
	s_delay_alu instid0(VALU_DEP_1) | instskip(NEXT) | instid1(VALU_DEP_1)
	v_cndmask_b32_e64 v127, 0, v127, s14
	v_add_nc_u32_e32 v126, v126, v127
	ds_store_b32 v52, v126 offset:1024
.LBB1436_266:                           ;   in Loop: Header=BB1436_232 Depth=2
	s_or_b32 exec_lo, exec_lo, s16
	v_mov_b32_e32 v126, 0
	s_waitcnt lgkmcnt(0)
	s_barrier
	buffer_gl0_inv
	s_and_saveexec_b32 s16, s5
	s_cbranch_execz .LBB1436_268
; %bb.267:                              ;   in Loop: Header=BB1436_232 Depth=2
	ds_load_b32 v126, v41 offset:1020
.LBB1436_268:                           ;   in Loop: Header=BB1436_232 Depth=2
	s_or_b32 exec_lo, exec_lo, s16
	s_waitcnt lgkmcnt(0)
	v_add_nc_u32_e32 v5, v126, v5
	ds_bpermute_b32 v5, v73, v5
	s_waitcnt lgkmcnt(0)
	v_cndmask_b32_e64 v5, v5, v126, s11
	s_delay_alu instid0(VALU_DEP_1) | instskip(NEXT) | instid1(VALU_DEP_1)
	v_cndmask_b32_e64 v5, v5, 0, s0
	v_add_nc_u32_e32 v125, v5, v125
	s_delay_alu instid0(VALU_DEP_1) | instskip(NEXT) | instid1(VALU_DEP_1)
	v_add_nc_u32_e32 v8, v125, v8
	v_add_nc_u32_e32 v9, v8, v9
	s_delay_alu instid0(VALU_DEP_1) | instskip(NEXT) | instid1(VALU_DEP_1)
	v_add_nc_u32_e32 v6, v9, v6
	;; [unrolled: 3-line block ×3, first 2 shown]
	v_add_nc_u32_e32 v3, v2, v3
	s_delay_alu instid0(VALU_DEP_1)
	v_add_nc_u32_e32 v4, v3, v4
	ds_store_b32 v49, v5 offset:1056
	ds_store_2addr_b32 v51, v125, v8 offset0:1 offset1:2
	ds_store_2addr_b32 v51, v9, v6 offset0:3 offset1:4
	;; [unrolled: 1-line block ×4, first 2 shown]
	v_mov_b32_e32 v4, 0x800
	s_waitcnt lgkmcnt(0)
	s_barrier
	buffer_gl0_inv
	ds_load_b32 v5, v101
	ds_load_b32 v6, v105
	;; [unrolled: 1-line block ×8, first 2 shown]
	ds_load_b32 v101, v49 offset:1056
	s_and_saveexec_b32 s16, s6
	s_cbranch_execz .LBB1436_270
; %bb.269:                              ;   in Loop: Header=BB1436_232 Depth=2
	ds_load_b32 v4, v53 offset:1056
.LBB1436_270:                           ;   in Loop: Header=BB1436_232 Depth=2
	s_or_b32 exec_lo, exec_lo, s16
	s_waitcnt lgkmcnt(0)
	s_barrier
	buffer_gl0_inv
	s_and_saveexec_b32 s16, s2
	s_cbranch_execz .LBB1436_272
; %bb.271:                              ;   in Loop: Header=BB1436_232 Depth=2
	ds_load_b32 v105, v31
	s_waitcnt lgkmcnt(0)
	v_sub_nc_u32_e32 v101, v105, v101
	ds_store_b32 v31, v101
.LBB1436_272:                           ;   in Loop: Header=BB1436_232 Depth=2
	s_or_b32 exec_lo, exec_lo, s16
	v_add_nc_u32_e32 v101, v97, v29
	v_add3_u32 v29, v104, v102, v6
	v_add3_u32 v7, v108, v107, v7
	;; [unrolled: 1-line block ×5, first 2 shown]
	v_lshlrev_b32_e32 v98, 2, v101
	v_add3_u32 v8, v120, v119, v3
	v_lshlrev_b32_e32 v3, 2, v29
	v_add3_u32 v9, v123, v122, v2
	v_lshlrev_b32_e32 v2, 2, v7
	v_lshlrev_b32_e32 v99, 2, v97
	ds_store_b32 v98, v19 offset:1024
	ds_store_b32 v99, v30 offset:1024
	;; [unrolled: 1-line block ×3, first 2 shown]
	v_lshlrev_b32_e32 v3, 2, v6
	ds_store_b32 v2, v103 offset:1024
	v_lshlrev_b32_e32 v2, 2, v9
	v_cmp_lt_u32_e32 vcc_lo, v18, v0
	v_lshlrev_b32_e32 v19, 2, v5
	v_lshlrev_b32_e32 v30, 2, v8
	ds_store_b32 v3, v106 offset:1024
	ds_store_b32 v19, v110 offset:1024
	;; [unrolled: 1-line block ×4, first 2 shown]
	s_waitcnt lgkmcnt(0)
	s_barrier
	buffer_gl0_inv
	s_and_saveexec_b32 s17, vcc_lo
	s_cbranch_execz .LBB1436_280
; %bb.273:                              ;   in Loop: Header=BB1436_232 Depth=2
	ds_load_b32 v30, v52 offset:1024
	s_waitcnt lgkmcnt(0)
	v_cmp_ne_u32_e64 s16, 0x7fffffff, v30
	s_delay_alu instid0(VALU_DEP_1) | instskip(SKIP_1) | instid1(VALU_DEP_2)
	v_cndmask_b32_e64 v2, 0x80000000, v30, s16
	v_cmp_lt_i32_e64 s16, -1, v30
	v_lshrrev_b32_e32 v2, s30, v2
	s_delay_alu instid0(VALU_DEP_2) | instskip(NEXT) | instid1(VALU_DEP_2)
	v_cndmask_b32_e64 v98, 0x80000000, -1, s16
	v_and_b32_e32 v2, s31, v2
	s_delay_alu instid0(VALU_DEP_1) | instskip(SKIP_3) | instid1(VALU_DEP_1)
	v_lshlrev_b32_e32 v2, 2, v2
	ds_load_b32 v2, v2
	s_waitcnt lgkmcnt(0)
	v_add_nc_u32_e32 v19, v2, v18
	v_lshlrev_b64 v[2:3], 2, v[19:20]
	v_xor_b32_e32 v19, v98, v30
	s_delay_alu instid0(VALU_DEP_2) | instskip(NEXT) | instid1(VALU_DEP_1)
	v_add_co_u32 v2, s16, s48, v2
	v_add_co_ci_u32_e64 v3, s16, s49, v3, s16
	global_store_b32 v[2:3], v19, off
	s_or_b32 exec_lo, exec_lo, s17
	v_cmp_lt_u32_e64 s16, v32, v0
	s_delay_alu instid0(VALU_DEP_1)
	s_and_saveexec_b32 s18, s16
	s_cbranch_execnz .LBB1436_281
.LBB1436_274:                           ;   in Loop: Header=BB1436_232 Depth=2
	s_or_b32 exec_lo, exec_lo, s18
	v_cmp_lt_u32_e64 s17, v33, v0
	s_delay_alu instid0(VALU_DEP_1)
	s_and_saveexec_b32 s19, s17
	s_cbranch_execz .LBB1436_282
.LBB1436_275:                           ;   in Loop: Header=BB1436_232 Depth=2
	ds_load_b32 v30, v58 offset:2048
	s_waitcnt lgkmcnt(0)
	v_cmp_ne_u32_e64 s18, 0x7fffffff, v30
	s_delay_alu instid0(VALU_DEP_1) | instskip(SKIP_1) | instid1(VALU_DEP_2)
	v_cndmask_b32_e64 v2, 0x80000000, v30, s18
	v_cmp_lt_i32_e64 s18, -1, v30
	v_lshrrev_b32_e32 v2, s30, v2
	s_delay_alu instid0(VALU_DEP_2) | instskip(NEXT) | instid1(VALU_DEP_2)
	v_cndmask_b32_e64 v98, 0x80000000, -1, s18
	v_and_b32_e32 v2, s31, v2
	s_delay_alu instid0(VALU_DEP_1) | instskip(SKIP_3) | instid1(VALU_DEP_1)
	v_lshlrev_b32_e32 v2, 2, v2
	ds_load_b32 v2, v2
	s_waitcnt lgkmcnt(0)
	v_add_nc_u32_e32 v19, v2, v33
	v_lshlrev_b64 v[2:3], 2, v[19:20]
	v_xor_b32_e32 v19, v98, v30
	s_delay_alu instid0(VALU_DEP_2) | instskip(NEXT) | instid1(VALU_DEP_1)
	v_add_co_u32 v2, s18, s48, v2
	v_add_co_ci_u32_e64 v3, s18, s49, v3, s18
	global_store_b32 v[2:3], v19, off
	s_or_b32 exec_lo, exec_lo, s19
	v_cmp_lt_u32_e64 s18, v34, v0
	s_delay_alu instid0(VALU_DEP_1)
	s_and_saveexec_b32 s20, s18
	s_cbranch_execnz .LBB1436_283
.LBB1436_276:                           ;   in Loop: Header=BB1436_232 Depth=2
	s_or_b32 exec_lo, exec_lo, s20
	v_cmp_lt_u32_e64 s19, v38, v0
	s_delay_alu instid0(VALU_DEP_1)
	s_and_saveexec_b32 s21, s19
	s_cbranch_execz .LBB1436_284
.LBB1436_277:                           ;   in Loop: Header=BB1436_232 Depth=2
	ds_load_b32 v30, v58 offset:4096
	s_waitcnt lgkmcnt(0)
	v_cmp_ne_u32_e64 s20, 0x7fffffff, v30
	s_delay_alu instid0(VALU_DEP_1) | instskip(SKIP_1) | instid1(VALU_DEP_2)
	v_cndmask_b32_e64 v2, 0x80000000, v30, s20
	v_cmp_lt_i32_e64 s20, -1, v30
	v_lshrrev_b32_e32 v2, s30, v2
	s_delay_alu instid0(VALU_DEP_2) | instskip(NEXT) | instid1(VALU_DEP_2)
	v_cndmask_b32_e64 v98, 0x80000000, -1, s20
	v_and_b32_e32 v2, s31, v2
	s_delay_alu instid0(VALU_DEP_1) | instskip(SKIP_3) | instid1(VALU_DEP_1)
	v_lshlrev_b32_e32 v2, 2, v2
	ds_load_b32 v2, v2
	s_waitcnt lgkmcnt(0)
	v_add_nc_u32_e32 v19, v2, v38
	v_lshlrev_b64 v[2:3], 2, v[19:20]
	v_xor_b32_e32 v19, v98, v30
	s_delay_alu instid0(VALU_DEP_2) | instskip(NEXT) | instid1(VALU_DEP_1)
	v_add_co_u32 v2, s20, s48, v2
	v_add_co_ci_u32_e64 v3, s20, s49, v3, s20
	global_store_b32 v[2:3], v19, off
	s_or_b32 exec_lo, exec_lo, s21
	v_cmp_lt_u32_e64 s20, v39, v0
	s_delay_alu instid0(VALU_DEP_1)
	s_and_saveexec_b32 s22, s20
	s_cbranch_execnz .LBB1436_285
.LBB1436_278:                           ;   in Loop: Header=BB1436_232 Depth=2
	s_or_b32 exec_lo, exec_lo, s22
	v_cmp_lt_u32_e64 s21, v40, v0
	s_delay_alu instid0(VALU_DEP_1)
	s_and_saveexec_b32 s23, s21
	s_cbranch_execz .LBB1436_286
.LBB1436_279:                           ;   in Loop: Header=BB1436_232 Depth=2
	ds_load_b32 v30, v58 offset:6144
	s_waitcnt lgkmcnt(0)
	v_cmp_ne_u32_e64 s22, 0x7fffffff, v30
	s_delay_alu instid0(VALU_DEP_1) | instskip(SKIP_1) | instid1(VALU_DEP_2)
	v_cndmask_b32_e64 v2, 0x80000000, v30, s22
	v_cmp_lt_i32_e64 s22, -1, v30
	v_lshrrev_b32_e32 v2, s30, v2
	s_delay_alu instid0(VALU_DEP_2) | instskip(NEXT) | instid1(VALU_DEP_2)
	v_cndmask_b32_e64 v98, 0x80000000, -1, s22
	v_and_b32_e32 v2, s31, v2
	s_delay_alu instid0(VALU_DEP_1) | instskip(SKIP_3) | instid1(VALU_DEP_1)
	v_lshlrev_b32_e32 v2, 2, v2
	ds_load_b32 v2, v2
	s_waitcnt lgkmcnt(0)
	v_add_nc_u32_e32 v19, v2, v40
	v_lshlrev_b64 v[2:3], 2, v[19:20]
	v_xor_b32_e32 v19, v98, v30
	s_delay_alu instid0(VALU_DEP_2) | instskip(NEXT) | instid1(VALU_DEP_1)
	v_add_co_u32 v2, s22, s48, v2
	v_add_co_ci_u32_e64 v3, s22, s49, v3, s22
	global_store_b32 v[2:3], v19, off
	s_or_b32 exec_lo, exec_lo, s23
	v_cmp_lt_u32_e64 s22, v42, v0
	s_delay_alu instid0(VALU_DEP_1)
	s_and_saveexec_b32 s37, s22
	s_cbranch_execnz .LBB1436_287
	s_branch .LBB1436_288
.LBB1436_280:                           ;   in Loop: Header=BB1436_232 Depth=2
	s_or_b32 exec_lo, exec_lo, s17
	v_cmp_lt_u32_e64 s16, v32, v0
	s_delay_alu instid0(VALU_DEP_1)
	s_and_saveexec_b32 s18, s16
	s_cbranch_execz .LBB1436_274
.LBB1436_281:                           ;   in Loop: Header=BB1436_232 Depth=2
	ds_load_b32 v30, v58 offset:1024
	s_waitcnt lgkmcnt(0)
	v_cmp_ne_u32_e64 s17, 0x7fffffff, v30
	s_delay_alu instid0(VALU_DEP_1) | instskip(SKIP_1) | instid1(VALU_DEP_2)
	v_cndmask_b32_e64 v2, 0x80000000, v30, s17
	v_cmp_lt_i32_e64 s17, -1, v30
	v_lshrrev_b32_e32 v2, s30, v2
	s_delay_alu instid0(VALU_DEP_2) | instskip(NEXT) | instid1(VALU_DEP_2)
	v_cndmask_b32_e64 v98, 0x80000000, -1, s17
	v_and_b32_e32 v2, s31, v2
	s_delay_alu instid0(VALU_DEP_1) | instskip(SKIP_3) | instid1(VALU_DEP_1)
	v_lshlrev_b32_e32 v2, 2, v2
	ds_load_b32 v2, v2
	s_waitcnt lgkmcnt(0)
	v_add_nc_u32_e32 v19, v2, v32
	v_lshlrev_b64 v[2:3], 2, v[19:20]
	v_xor_b32_e32 v19, v98, v30
	s_delay_alu instid0(VALU_DEP_2) | instskip(NEXT) | instid1(VALU_DEP_1)
	v_add_co_u32 v2, s17, s48, v2
	v_add_co_ci_u32_e64 v3, s17, s49, v3, s17
	global_store_b32 v[2:3], v19, off
	s_or_b32 exec_lo, exec_lo, s18
	v_cmp_lt_u32_e64 s17, v33, v0
	s_delay_alu instid0(VALU_DEP_1)
	s_and_saveexec_b32 s19, s17
	s_cbranch_execnz .LBB1436_275
.LBB1436_282:                           ;   in Loop: Header=BB1436_232 Depth=2
	s_or_b32 exec_lo, exec_lo, s19
	v_cmp_lt_u32_e64 s18, v34, v0
	s_delay_alu instid0(VALU_DEP_1)
	s_and_saveexec_b32 s20, s18
	s_cbranch_execz .LBB1436_276
.LBB1436_283:                           ;   in Loop: Header=BB1436_232 Depth=2
	ds_load_b32 v30, v58 offset:3072
	s_waitcnt lgkmcnt(0)
	v_cmp_ne_u32_e64 s19, 0x7fffffff, v30
	s_delay_alu instid0(VALU_DEP_1) | instskip(SKIP_1) | instid1(VALU_DEP_2)
	v_cndmask_b32_e64 v2, 0x80000000, v30, s19
	v_cmp_lt_i32_e64 s19, -1, v30
	v_lshrrev_b32_e32 v2, s30, v2
	s_delay_alu instid0(VALU_DEP_2) | instskip(NEXT) | instid1(VALU_DEP_2)
	v_cndmask_b32_e64 v98, 0x80000000, -1, s19
	v_and_b32_e32 v2, s31, v2
	s_delay_alu instid0(VALU_DEP_1) | instskip(SKIP_3) | instid1(VALU_DEP_1)
	v_lshlrev_b32_e32 v2, 2, v2
	ds_load_b32 v2, v2
	s_waitcnt lgkmcnt(0)
	v_add_nc_u32_e32 v19, v2, v34
	v_lshlrev_b64 v[2:3], 2, v[19:20]
	v_xor_b32_e32 v19, v98, v30
	s_delay_alu instid0(VALU_DEP_2) | instskip(NEXT) | instid1(VALU_DEP_1)
	v_add_co_u32 v2, s19, s48, v2
	v_add_co_ci_u32_e64 v3, s19, s49, v3, s19
	global_store_b32 v[2:3], v19, off
	s_or_b32 exec_lo, exec_lo, s20
	v_cmp_lt_u32_e64 s19, v38, v0
	s_delay_alu instid0(VALU_DEP_1)
	s_and_saveexec_b32 s21, s19
	s_cbranch_execnz .LBB1436_277
.LBB1436_284:                           ;   in Loop: Header=BB1436_232 Depth=2
	s_or_b32 exec_lo, exec_lo, s21
	v_cmp_lt_u32_e64 s20, v39, v0
	s_delay_alu instid0(VALU_DEP_1)
	s_and_saveexec_b32 s22, s20
	s_cbranch_execz .LBB1436_278
.LBB1436_285:                           ;   in Loop: Header=BB1436_232 Depth=2
	ds_load_b32 v30, v58 offset:5120
	s_waitcnt lgkmcnt(0)
	v_cmp_ne_u32_e64 s21, 0x7fffffff, v30
	s_delay_alu instid0(VALU_DEP_1) | instskip(SKIP_1) | instid1(VALU_DEP_2)
	v_cndmask_b32_e64 v2, 0x80000000, v30, s21
	v_cmp_lt_i32_e64 s21, -1, v30
	v_lshrrev_b32_e32 v2, s30, v2
	s_delay_alu instid0(VALU_DEP_2) | instskip(NEXT) | instid1(VALU_DEP_2)
	v_cndmask_b32_e64 v98, 0x80000000, -1, s21
	v_and_b32_e32 v2, s31, v2
	s_delay_alu instid0(VALU_DEP_1) | instskip(SKIP_3) | instid1(VALU_DEP_1)
	v_lshlrev_b32_e32 v2, 2, v2
	ds_load_b32 v2, v2
	s_waitcnt lgkmcnt(0)
	v_add_nc_u32_e32 v19, v2, v39
	v_lshlrev_b64 v[2:3], 2, v[19:20]
	v_xor_b32_e32 v19, v98, v30
	s_delay_alu instid0(VALU_DEP_2) | instskip(NEXT) | instid1(VALU_DEP_1)
	v_add_co_u32 v2, s21, s48, v2
	v_add_co_ci_u32_e64 v3, s21, s49, v3, s21
	global_store_b32 v[2:3], v19, off
	s_or_b32 exec_lo, exec_lo, s22
	v_cmp_lt_u32_e64 s21, v40, v0
	s_delay_alu instid0(VALU_DEP_1)
	s_and_saveexec_b32 s23, s21
	s_cbranch_execnz .LBB1436_279
.LBB1436_286:                           ;   in Loop: Header=BB1436_232 Depth=2
	s_or_b32 exec_lo, exec_lo, s23
	v_cmp_lt_u32_e64 s22, v42, v0
	s_delay_alu instid0(VALU_DEP_1)
	s_and_saveexec_b32 s37, s22
	s_cbranch_execz .LBB1436_288
.LBB1436_287:                           ;   in Loop: Header=BB1436_232 Depth=2
	ds_load_b32 v30, v58 offset:7168
	s_waitcnt lgkmcnt(0)
	v_cmp_ne_u32_e64 s23, 0x7fffffff, v30
	s_delay_alu instid0(VALU_DEP_1) | instskip(SKIP_1) | instid1(VALU_DEP_2)
	v_cndmask_b32_e64 v2, 0x80000000, v30, s23
	v_cmp_lt_i32_e64 s23, -1, v30
	v_lshrrev_b32_e32 v2, s30, v2
	s_delay_alu instid0(VALU_DEP_2) | instskip(NEXT) | instid1(VALU_DEP_2)
	v_cndmask_b32_e64 v98, 0x80000000, -1, s23
	v_and_b32_e32 v2, s31, v2
	s_delay_alu instid0(VALU_DEP_1) | instskip(SKIP_3) | instid1(VALU_DEP_1)
	v_lshlrev_b32_e32 v2, 2, v2
	ds_load_b32 v2, v2
	s_waitcnt lgkmcnt(0)
	v_add_nc_u32_e32 v19, v2, v42
	v_lshlrev_b64 v[2:3], 2, v[19:20]
	v_xor_b32_e32 v19, v98, v30
	s_delay_alu instid0(VALU_DEP_2) | instskip(NEXT) | instid1(VALU_DEP_1)
	v_add_co_u32 v2, s23, s48, v2
	v_add_co_ci_u32_e64 v3, s23, s49, v3, s23
	global_store_b32 v[2:3], v19, off
.LBB1436_288:                           ;   in Loop: Header=BB1436_232 Depth=2
	s_or_b32 exec_lo, exec_lo, s37
	s_lshl_b64 s[38:39], s[24:25], 3
	s_delay_alu instid0(SALU_CYCLE_1) | instskip(NEXT) | instid1(VALU_DEP_1)
	v_add_co_u32 v2, s23, v75, s38
	v_add_co_ci_u32_e64 v3, s23, s39, v76, s23
	v_cmp_lt_u32_e64 s23, v74, v0
	s_delay_alu instid0(VALU_DEP_1) | instskip(NEXT) | instid1(SALU_CYCLE_1)
	s_and_saveexec_b32 s24, s23
	s_xor_b32 s23, exec_lo, s24
	s_cbranch_execz .LBB1436_304
; %bb.289:                              ;   in Loop: Header=BB1436_232 Depth=2
	global_load_b64 v[27:28], v[2:3], off
	s_or_b32 exec_lo, exec_lo, s23
	s_delay_alu instid0(SALU_CYCLE_1)
	s_mov_b32 s24, exec_lo
	v_cmpx_lt_u32_e64 v77, v0
	s_cbranch_execnz .LBB1436_305
.LBB1436_290:                           ;   in Loop: Header=BB1436_232 Depth=2
	s_or_b32 exec_lo, exec_lo, s24
	s_delay_alu instid0(SALU_CYCLE_1)
	s_mov_b32 s24, exec_lo
	v_cmpx_lt_u32_e64 v78, v0
	s_cbranch_execz .LBB1436_306
.LBB1436_291:                           ;   in Loop: Header=BB1436_232 Depth=2
	global_load_b64 v[23:24], v[2:3], off offset:512
	s_or_b32 exec_lo, exec_lo, s24
	s_delay_alu instid0(SALU_CYCLE_1)
	s_mov_b32 s24, exec_lo
	v_cmpx_lt_u32_e64 v79, v0
	s_cbranch_execnz .LBB1436_307
.LBB1436_292:                           ;   in Loop: Header=BB1436_232 Depth=2
	s_or_b32 exec_lo, exec_lo, s24
	s_delay_alu instid0(SALU_CYCLE_1)
	s_mov_b32 s24, exec_lo
	v_cmpx_lt_u32_e64 v80, v0
	s_cbranch_execz .LBB1436_308
.LBB1436_293:                           ;   in Loop: Header=BB1436_232 Depth=2
	global_load_b64 v[16:17], v[2:3], off offset:1024
	s_or_b32 exec_lo, exec_lo, s24
	s_delay_alu instid0(SALU_CYCLE_1)
	s_mov_b32 s24, exec_lo
	v_cmpx_lt_u32_e64 v81, v0
	s_cbranch_execnz .LBB1436_309
.LBB1436_294:                           ;   in Loop: Header=BB1436_232 Depth=2
	s_or_b32 exec_lo, exec_lo, s24
	s_delay_alu instid0(SALU_CYCLE_1)
	s_mov_b32 s24, exec_lo
	v_cmpx_lt_u32_e64 v82, v0
	s_cbranch_execz .LBB1436_310
.LBB1436_295:                           ;   in Loop: Header=BB1436_232 Depth=2
	global_load_b64 v[12:13], v[2:3], off offset:1536
	s_or_b32 exec_lo, exec_lo, s24
	s_delay_alu instid0(SALU_CYCLE_1)
	s_mov_b32 s24, exec_lo
	v_cmpx_lt_u32_e64 v83, v0
	s_cbranch_execnz .LBB1436_311
.LBB1436_296:                           ;   in Loop: Header=BB1436_232 Depth=2
	s_or_b32 exec_lo, exec_lo, s24
	s_and_saveexec_b32 s24, vcc_lo
	s_cbranch_execz .LBB1436_312
.LBB1436_297:                           ;   in Loop: Header=BB1436_232 Depth=2
	ds_load_b32 v0, v52 offset:1024
	s_waitcnt lgkmcnt(0)
	v_cmp_ne_u32_e64 s23, 0x7fffffff, v0
	s_delay_alu instid0(VALU_DEP_1) | instskip(NEXT) | instid1(VALU_DEP_1)
	v_cndmask_b32_e64 v0, 0x80000000, v0, s23
	v_lshrrev_b32_e32 v0, s30, v0
	s_delay_alu instid0(VALU_DEP_1)
	v_and_b32_e32 v96, s31, v0
	s_or_b32 exec_lo, exec_lo, s24
	s_and_saveexec_b32 s24, s16
	s_cbranch_execnz .LBB1436_313
.LBB1436_298:                           ;   in Loop: Header=BB1436_232 Depth=2
	s_or_b32 exec_lo, exec_lo, s24
	s_and_saveexec_b32 s24, s17
	s_cbranch_execz .LBB1436_314
.LBB1436_299:                           ;   in Loop: Header=BB1436_232 Depth=2
	ds_load_b32 v0, v58 offset:2048
	s_waitcnt lgkmcnt(0)
	v_cmp_ne_u32_e64 s23, 0x7fffffff, v0
	s_delay_alu instid0(VALU_DEP_1) | instskip(NEXT) | instid1(VALU_DEP_1)
	v_cndmask_b32_e64 v0, 0x80000000, v0, s23
	v_lshrrev_b32_e32 v0, s30, v0
	s_delay_alu instid0(VALU_DEP_1)
	v_and_b32_e32 v94, s31, v0
	s_or_b32 exec_lo, exec_lo, s24
	s_and_saveexec_b32 s24, s18
	s_cbranch_execnz .LBB1436_315
.LBB1436_300:                           ;   in Loop: Header=BB1436_232 Depth=2
	s_or_b32 exec_lo, exec_lo, s24
	s_and_saveexec_b32 s24, s19
	s_cbranch_execz .LBB1436_316
.LBB1436_301:                           ;   in Loop: Header=BB1436_232 Depth=2
	ds_load_b32 v0, v58 offset:4096
	s_waitcnt lgkmcnt(0)
	v_cmp_ne_u32_e64 s23, 0x7fffffff, v0
	s_delay_alu instid0(VALU_DEP_1) | instskip(NEXT) | instid1(VALU_DEP_1)
	v_cndmask_b32_e64 v0, 0x80000000, v0, s23
	v_lshrrev_b32_e32 v0, s30, v0
	s_delay_alu instid0(VALU_DEP_1)
	v_and_b32_e32 v92, s31, v0
	s_or_b32 exec_lo, exec_lo, s24
	s_and_saveexec_b32 s24, s20
	s_cbranch_execnz .LBB1436_317
.LBB1436_302:                           ;   in Loop: Header=BB1436_232 Depth=2
	s_or_b32 exec_lo, exec_lo, s24
	s_and_saveexec_b32 s24, s21
	s_cbranch_execz .LBB1436_318
.LBB1436_303:                           ;   in Loop: Header=BB1436_232 Depth=2
	ds_load_b32 v0, v58 offset:6144
	s_waitcnt lgkmcnt(0)
	v_cmp_ne_u32_e64 s23, 0x7fffffff, v0
	s_delay_alu instid0(VALU_DEP_1) | instskip(NEXT) | instid1(VALU_DEP_1)
	v_cndmask_b32_e64 v0, 0x80000000, v0, s23
	v_lshrrev_b32_e32 v0, s30, v0
	s_delay_alu instid0(VALU_DEP_1)
	v_and_b32_e32 v90, s31, v0
	s_or_b32 exec_lo, exec_lo, s24
	s_and_saveexec_b32 s24, s22
	s_cbranch_execnz .LBB1436_319
	s_branch .LBB1436_320
.LBB1436_304:                           ;   in Loop: Header=BB1436_232 Depth=2
	s_or_b32 exec_lo, exec_lo, s23
	s_delay_alu instid0(SALU_CYCLE_1)
	s_mov_b32 s24, exec_lo
	v_cmpx_lt_u32_e64 v77, v0
	s_cbranch_execz .LBB1436_290
.LBB1436_305:                           ;   in Loop: Header=BB1436_232 Depth=2
	global_load_b64 v[25:26], v[2:3], off offset:256
	s_or_b32 exec_lo, exec_lo, s24
	s_delay_alu instid0(SALU_CYCLE_1)
	s_mov_b32 s24, exec_lo
	v_cmpx_lt_u32_e64 v78, v0
	s_cbranch_execnz .LBB1436_291
.LBB1436_306:                           ;   in Loop: Header=BB1436_232 Depth=2
	s_or_b32 exec_lo, exec_lo, s24
	s_delay_alu instid0(SALU_CYCLE_1)
	s_mov_b32 s24, exec_lo
	v_cmpx_lt_u32_e64 v79, v0
	s_cbranch_execz .LBB1436_292
.LBB1436_307:                           ;   in Loop: Header=BB1436_232 Depth=2
	global_load_b64 v[21:22], v[2:3], off offset:768
	s_or_b32 exec_lo, exec_lo, s24
	s_delay_alu instid0(SALU_CYCLE_1)
	s_mov_b32 s24, exec_lo
	v_cmpx_lt_u32_e64 v80, v0
	s_cbranch_execnz .LBB1436_293
.LBB1436_308:                           ;   in Loop: Header=BB1436_232 Depth=2
	s_or_b32 exec_lo, exec_lo, s24
	s_delay_alu instid0(SALU_CYCLE_1)
	s_mov_b32 s24, exec_lo
	v_cmpx_lt_u32_e64 v81, v0
	s_cbranch_execz .LBB1436_294
.LBB1436_309:                           ;   in Loop: Header=BB1436_232 Depth=2
	global_load_b64 v[14:15], v[2:3], off offset:1280
	s_or_b32 exec_lo, exec_lo, s24
	s_delay_alu instid0(SALU_CYCLE_1)
	s_mov_b32 s24, exec_lo
	v_cmpx_lt_u32_e64 v82, v0
	s_cbranch_execnz .LBB1436_295
.LBB1436_310:                           ;   in Loop: Header=BB1436_232 Depth=2
	s_or_b32 exec_lo, exec_lo, s24
	s_delay_alu instid0(SALU_CYCLE_1)
	s_mov_b32 s24, exec_lo
	v_cmpx_lt_u32_e64 v83, v0
	s_cbranch_execz .LBB1436_296
.LBB1436_311:                           ;   in Loop: Header=BB1436_232 Depth=2
	global_load_b64 v[10:11], v[2:3], off offset:1792
	s_or_b32 exec_lo, exec_lo, s24
	s_and_saveexec_b32 s24, vcc_lo
	s_cbranch_execnz .LBB1436_297
.LBB1436_312:                           ;   in Loop: Header=BB1436_232 Depth=2
	s_or_b32 exec_lo, exec_lo, s24
	s_and_saveexec_b32 s24, s16
	s_cbranch_execz .LBB1436_298
.LBB1436_313:                           ;   in Loop: Header=BB1436_232 Depth=2
	ds_load_b32 v0, v58 offset:1024
	s_waitcnt lgkmcnt(0)
	v_cmp_ne_u32_e64 s23, 0x7fffffff, v0
	s_delay_alu instid0(VALU_DEP_1) | instskip(NEXT) | instid1(VALU_DEP_1)
	v_cndmask_b32_e64 v0, 0x80000000, v0, s23
	v_lshrrev_b32_e32 v0, s30, v0
	s_delay_alu instid0(VALU_DEP_1)
	v_and_b32_e32 v95, s31, v0
	s_or_b32 exec_lo, exec_lo, s24
	s_and_saveexec_b32 s24, s17
	s_cbranch_execnz .LBB1436_299
.LBB1436_314:                           ;   in Loop: Header=BB1436_232 Depth=2
	s_or_b32 exec_lo, exec_lo, s24
	s_and_saveexec_b32 s24, s18
	s_cbranch_execz .LBB1436_300
.LBB1436_315:                           ;   in Loop: Header=BB1436_232 Depth=2
	ds_load_b32 v0, v58 offset:3072
	s_waitcnt lgkmcnt(0)
	v_cmp_ne_u32_e64 s23, 0x7fffffff, v0
	s_delay_alu instid0(VALU_DEP_1) | instskip(NEXT) | instid1(VALU_DEP_1)
	v_cndmask_b32_e64 v0, 0x80000000, v0, s23
	v_lshrrev_b32_e32 v0, s30, v0
	s_delay_alu instid0(VALU_DEP_1)
	v_and_b32_e32 v93, s31, v0
	s_or_b32 exec_lo, exec_lo, s24
	s_and_saveexec_b32 s24, s19
	s_cbranch_execnz .LBB1436_301
.LBB1436_316:                           ;   in Loop: Header=BB1436_232 Depth=2
	s_or_b32 exec_lo, exec_lo, s24
	s_and_saveexec_b32 s24, s20
	s_cbranch_execz .LBB1436_302
.LBB1436_317:                           ;   in Loop: Header=BB1436_232 Depth=2
	ds_load_b32 v0, v58 offset:5120
	s_waitcnt lgkmcnt(0)
	v_cmp_ne_u32_e64 s23, 0x7fffffff, v0
	s_delay_alu instid0(VALU_DEP_1) | instskip(NEXT) | instid1(VALU_DEP_1)
	v_cndmask_b32_e64 v0, 0x80000000, v0, s23
	v_lshrrev_b32_e32 v0, s30, v0
	s_delay_alu instid0(VALU_DEP_1)
	v_and_b32_e32 v91, s31, v0
	s_or_b32 exec_lo, exec_lo, s24
	s_and_saveexec_b32 s24, s21
	s_cbranch_execnz .LBB1436_303
.LBB1436_318:                           ;   in Loop: Header=BB1436_232 Depth=2
	s_or_b32 exec_lo, exec_lo, s24
	s_and_saveexec_b32 s24, s22
	s_cbranch_execz .LBB1436_320
.LBB1436_319:                           ;   in Loop: Header=BB1436_232 Depth=2
	ds_load_b32 v0, v58 offset:7168
	s_waitcnt lgkmcnt(0)
	v_cmp_ne_u32_e64 s23, 0x7fffffff, v0
	s_delay_alu instid0(VALU_DEP_1) | instskip(NEXT) | instid1(VALU_DEP_1)
	v_cndmask_b32_e64 v0, 0x80000000, v0, s23
	v_lshrrev_b32_e32 v0, s30, v0
	s_delay_alu instid0(VALU_DEP_1)
	v_and_b32_e32 v89, s31, v0
.LBB1436_320:                           ;   in Loop: Header=BB1436_232 Depth=2
	s_or_b32 exec_lo, exec_lo, s24
	v_lshlrev_b32_e32 v0, 3, v101
	v_lshlrev_b32_e32 v2, 3, v97
	;; [unrolled: 1-line block ×3, first 2 shown]
	s_waitcnt vmcnt(0)
	s_waitcnt_vscnt null, 0x0
	s_barrier
	buffer_gl0_inv
	ds_store_b64 v0, v[27:28] offset:1024
	ds_store_b64 v2, v[25:26] offset:1024
	;; [unrolled: 1-line block ×3, first 2 shown]
	v_lshlrev_b32_e32 v0, 3, v7
	v_lshlrev_b32_e32 v2, 3, v6
	;; [unrolled: 1-line block ×5, first 2 shown]
	ds_store_b64 v0, v[21:22] offset:1024
	ds_store_b64 v2, v[16:17] offset:1024
	;; [unrolled: 1-line block ×5, first 2 shown]
	s_waitcnt lgkmcnt(0)
	s_barrier
	buffer_gl0_inv
	s_and_saveexec_b32 s23, vcc_lo
	s_cbranch_execz .LBB1436_328
; %bb.321:                              ;   in Loop: Header=BB1436_232 Depth=2
	v_lshlrev_b32_e32 v0, 2, v96
	v_add_nc_u32_e32 v2, v52, v31
	ds_load_b32 v0, v0
	ds_load_b64 v[2:3], v2 offset:1024
	s_waitcnt lgkmcnt(1)
	v_add_nc_u32_e32 v19, v0, v18
	s_delay_alu instid0(VALU_DEP_1) | instskip(NEXT) | instid1(VALU_DEP_1)
	v_lshlrev_b64 v[5:6], 3, v[19:20]
	v_add_co_u32 v5, vcc_lo, s54, v5
	s_delay_alu instid0(VALU_DEP_2)
	v_add_co_ci_u32_e32 v6, vcc_lo, s55, v6, vcc_lo
	s_waitcnt lgkmcnt(0)
	global_store_b64 v[5:6], v[2:3], off
	s_or_b32 exec_lo, exec_lo, s23
	s_and_saveexec_b32 s23, s16
	s_cbranch_execnz .LBB1436_329
.LBB1436_322:                           ;   in Loop: Header=BB1436_232 Depth=2
	s_or_b32 exec_lo, exec_lo, s23
	s_and_saveexec_b32 s16, s17
	s_cbranch_execz .LBB1436_330
.LBB1436_323:                           ;   in Loop: Header=BB1436_232 Depth=2
	v_lshlrev_b32_e32 v0, 2, v94
	v_add_nc_u32_e32 v2, v58, v31
	ds_load_b32 v0, v0
	ds_load_b64 v[2:3], v2 offset:4096
	s_waitcnt lgkmcnt(1)
	v_add_nc_u32_e32 v19, v0, v33
	s_delay_alu instid0(VALU_DEP_1) | instskip(NEXT) | instid1(VALU_DEP_1)
	v_lshlrev_b64 v[5:6], 3, v[19:20]
	v_add_co_u32 v5, vcc_lo, s54, v5
	s_delay_alu instid0(VALU_DEP_2)
	v_add_co_ci_u32_e32 v6, vcc_lo, s55, v6, vcc_lo
	s_waitcnt lgkmcnt(0)
	global_store_b64 v[5:6], v[2:3], off
	s_or_b32 exec_lo, exec_lo, s16
	s_and_saveexec_b32 s16, s18
	s_cbranch_execnz .LBB1436_331
.LBB1436_324:                           ;   in Loop: Header=BB1436_232 Depth=2
	s_or_b32 exec_lo, exec_lo, s16
	s_and_saveexec_b32 s16, s19
	s_cbranch_execz .LBB1436_332
.LBB1436_325:                           ;   in Loop: Header=BB1436_232 Depth=2
	v_lshlrev_b32_e32 v0, 2, v92
	v_add_nc_u32_e32 v2, v58, v31
	ds_load_b32 v0, v0
	ds_load_b64 v[2:3], v2 offset:8192
	s_waitcnt lgkmcnt(1)
	v_add_nc_u32_e32 v19, v0, v38
	s_delay_alu instid0(VALU_DEP_1) | instskip(NEXT) | instid1(VALU_DEP_1)
	v_lshlrev_b64 v[5:6], 3, v[19:20]
	v_add_co_u32 v5, vcc_lo, s54, v5
	s_delay_alu instid0(VALU_DEP_2)
	v_add_co_ci_u32_e32 v6, vcc_lo, s55, v6, vcc_lo
	s_waitcnt lgkmcnt(0)
	global_store_b64 v[5:6], v[2:3], off
	s_or_b32 exec_lo, exec_lo, s16
	s_and_saveexec_b32 s16, s20
	s_cbranch_execnz .LBB1436_333
.LBB1436_326:                           ;   in Loop: Header=BB1436_232 Depth=2
	s_or_b32 exec_lo, exec_lo, s16
	s_and_saveexec_b32 s16, s21
	s_cbranch_execz .LBB1436_334
.LBB1436_327:                           ;   in Loop: Header=BB1436_232 Depth=2
	v_lshlrev_b32_e32 v0, 2, v90
	v_add_nc_u32_e32 v2, v58, v31
	ds_load_b32 v0, v0
	ds_load_b64 v[2:3], v2 offset:12288
	s_waitcnt lgkmcnt(1)
	v_add_nc_u32_e32 v19, v0, v40
	s_delay_alu instid0(VALU_DEP_1) | instskip(NEXT) | instid1(VALU_DEP_1)
	v_lshlrev_b64 v[5:6], 3, v[19:20]
	v_add_co_u32 v5, vcc_lo, s54, v5
	s_delay_alu instid0(VALU_DEP_2)
	v_add_co_ci_u32_e32 v6, vcc_lo, s55, v6, vcc_lo
	s_waitcnt lgkmcnt(0)
	global_store_b64 v[5:6], v[2:3], off
	s_or_b32 exec_lo, exec_lo, s16
	s_and_saveexec_b32 s16, s22
	s_cbranch_execnz .LBB1436_335
	s_branch .LBB1436_336
.LBB1436_328:                           ;   in Loop: Header=BB1436_232 Depth=2
	s_or_b32 exec_lo, exec_lo, s23
	s_and_saveexec_b32 s23, s16
	s_cbranch_execz .LBB1436_322
.LBB1436_329:                           ;   in Loop: Header=BB1436_232 Depth=2
	v_lshlrev_b32_e32 v0, 2, v95
	v_add_nc_u32_e32 v2, v58, v31
	ds_load_b32 v0, v0
	ds_load_b64 v[2:3], v2 offset:2048
	s_waitcnt lgkmcnt(1)
	v_add_nc_u32_e32 v19, v0, v32
	s_delay_alu instid0(VALU_DEP_1) | instskip(NEXT) | instid1(VALU_DEP_1)
	v_lshlrev_b64 v[5:6], 3, v[19:20]
	v_add_co_u32 v5, vcc_lo, s54, v5
	s_delay_alu instid0(VALU_DEP_2)
	v_add_co_ci_u32_e32 v6, vcc_lo, s55, v6, vcc_lo
	s_waitcnt lgkmcnt(0)
	global_store_b64 v[5:6], v[2:3], off
	s_or_b32 exec_lo, exec_lo, s23
	s_and_saveexec_b32 s16, s17
	s_cbranch_execnz .LBB1436_323
.LBB1436_330:                           ;   in Loop: Header=BB1436_232 Depth=2
	s_or_b32 exec_lo, exec_lo, s16
	s_and_saveexec_b32 s16, s18
	s_cbranch_execz .LBB1436_324
.LBB1436_331:                           ;   in Loop: Header=BB1436_232 Depth=2
	v_lshlrev_b32_e32 v0, 2, v93
	v_add_nc_u32_e32 v2, v58, v31
	ds_load_b32 v0, v0
	ds_load_b64 v[2:3], v2 offset:6144
	s_waitcnt lgkmcnt(1)
	v_add_nc_u32_e32 v19, v0, v34
	s_delay_alu instid0(VALU_DEP_1) | instskip(NEXT) | instid1(VALU_DEP_1)
	v_lshlrev_b64 v[5:6], 3, v[19:20]
	v_add_co_u32 v5, vcc_lo, s54, v5
	s_delay_alu instid0(VALU_DEP_2)
	v_add_co_ci_u32_e32 v6, vcc_lo, s55, v6, vcc_lo
	s_waitcnt lgkmcnt(0)
	global_store_b64 v[5:6], v[2:3], off
	s_or_b32 exec_lo, exec_lo, s16
	s_and_saveexec_b32 s16, s19
	s_cbranch_execnz .LBB1436_325
.LBB1436_332:                           ;   in Loop: Header=BB1436_232 Depth=2
	s_or_b32 exec_lo, exec_lo, s16
	s_and_saveexec_b32 s16, s20
	s_cbranch_execz .LBB1436_326
.LBB1436_333:                           ;   in Loop: Header=BB1436_232 Depth=2
	v_lshlrev_b32_e32 v0, 2, v91
	v_add_nc_u32_e32 v2, v58, v31
	ds_load_b32 v0, v0
	ds_load_b64 v[2:3], v2 offset:10240
	s_waitcnt lgkmcnt(1)
	v_add_nc_u32_e32 v19, v0, v39
	s_delay_alu instid0(VALU_DEP_1) | instskip(NEXT) | instid1(VALU_DEP_1)
	v_lshlrev_b64 v[5:6], 3, v[19:20]
	v_add_co_u32 v5, vcc_lo, s54, v5
	s_delay_alu instid0(VALU_DEP_2)
	v_add_co_ci_u32_e32 v6, vcc_lo, s55, v6, vcc_lo
	s_waitcnt lgkmcnt(0)
	global_store_b64 v[5:6], v[2:3], off
	s_or_b32 exec_lo, exec_lo, s16
	s_and_saveexec_b32 s16, s21
	s_cbranch_execnz .LBB1436_327
.LBB1436_334:                           ;   in Loop: Header=BB1436_232 Depth=2
	s_or_b32 exec_lo, exec_lo, s16
	s_and_saveexec_b32 s16, s22
	s_cbranch_execz .LBB1436_336
.LBB1436_335:                           ;   in Loop: Header=BB1436_232 Depth=2
	v_lshlrev_b32_e32 v0, 2, v89
	v_add_nc_u32_e32 v2, v58, v31
	ds_load_b32 v0, v0
	ds_load_b64 v[2:3], v2 offset:14336
	s_waitcnt lgkmcnt(1)
	v_add_nc_u32_e32 v19, v0, v42
	s_delay_alu instid0(VALU_DEP_1) | instskip(NEXT) | instid1(VALU_DEP_1)
	v_lshlrev_b64 v[5:6], 3, v[19:20]
	v_add_co_u32 v5, vcc_lo, s54, v5
	s_delay_alu instid0(VALU_DEP_2)
	v_add_co_ci_u32_e32 v6, vcc_lo, s55, v6, vcc_lo
	s_waitcnt lgkmcnt(0)
	global_store_b64 v[5:6], v[2:3], off
.LBB1436_336:                           ;   in Loop: Header=BB1436_232 Depth=2
	s_or_b32 exec_lo, exec_lo, s16
	s_waitcnt_vscnt null, 0x0
	s_barrier
	buffer_gl0_inv
	s_and_saveexec_b32 s16, s2
	s_cbranch_execz .LBB1436_231
; %bb.337:                              ;   in Loop: Header=BB1436_232 Depth=2
	ds_load_b32 v0, v31
	s_waitcnt lgkmcnt(0)
	v_add_nc_u32_e32 v0, v0, v4
	ds_store_b32 v31, v0
	s_branch .LBB1436_231
.LBB1436_338:                           ;   in Loop: Header=BB1436_232 Depth=2
	s_or_b32 exec_lo, exec_lo, s16
	s_delay_alu instid0(SALU_CYCLE_1)
	s_mov_b32 s16, exec_lo
	v_cmpx_gt_u32_e64 s50, v77
	s_cbranch_execz .LBB1436_237
.LBB1436_339:                           ;   in Loop: Header=BB1436_232 Depth=2
	global_load_b32 v3, v[29:30], off offset:128
	s_or_b32 exec_lo, exec_lo, s16
	s_delay_alu instid0(SALU_CYCLE_1)
	s_mov_b32 s16, exec_lo
	v_cmpx_gt_u32_e64 s50, v78
	s_cbranch_execnz .LBB1436_238
.LBB1436_340:                           ;   in Loop: Header=BB1436_232 Depth=2
	s_or_b32 exec_lo, exec_lo, s16
	s_delay_alu instid0(SALU_CYCLE_1)
	s_mov_b32 s16, exec_lo
	v_cmpx_gt_u32_e64 s50, v79
	s_cbranch_execz .LBB1436_239
.LBB1436_341:                           ;   in Loop: Header=BB1436_232 Depth=2
	global_load_b32 v5, v[29:30], off offset:384
	s_or_b32 exec_lo, exec_lo, s16
	s_delay_alu instid0(SALU_CYCLE_1)
	s_mov_b32 s16, exec_lo
	v_cmpx_gt_u32_e64 s50, v80
	s_cbranch_execnz .LBB1436_240
.LBB1436_342:                           ;   in Loop: Header=BB1436_232 Depth=2
	s_or_b32 exec_lo, exec_lo, s16
	s_delay_alu instid0(SALU_CYCLE_1)
	s_mov_b32 s16, exec_lo
	v_cmpx_gt_u32_e64 s50, v81
	s_cbranch_execz .LBB1436_241
.LBB1436_343:                           ;   in Loop: Header=BB1436_232 Depth=2
	global_load_b32 v7, v[29:30], off offset:640
	s_or_b32 exec_lo, exec_lo, s16
	s_delay_alu instid0(SALU_CYCLE_1)
	s_mov_b32 s16, exec_lo
	v_cmpx_gt_u32_e64 s50, v82
	s_cbranch_execnz .LBB1436_242
	s_branch .LBB1436_243
.LBB1436_344:                           ;   in Loop: Header=BB1436_12 Depth=1
	s_waitcnt lgkmcnt(0)
	s_barrier
.LBB1436_345:                           ;   in Loop: Header=BB1436_12 Depth=1
	s_mov_b32 s1, 0
.LBB1436_346:                           ;   in Loop: Header=BB1436_12 Depth=1
	s_delay_alu instid0(SALU_CYCLE_1)
	s_and_not1_b32 vcc_lo, exec_lo, s1
	s_cbranch_vccnz .LBB1436_11
; %bb.347:                              ;   in Loop: Header=BB1436_12 Depth=1
	s_and_b32 vcc_lo, exec_lo, s34
	s_mov_b32 s1, -1
	s_cbranch_vccz .LBB1436_513
; %bb.348:                              ;   in Loop: Header=BB1436_12 Depth=1
	s_mov_b32 s1, s35
	s_mov_b32 s24, s27
	s_barrier
	buffer_gl0_inv
                                        ; implicit-def: $vgpr2_vgpr3_vgpr4_vgpr5_vgpr6_vgpr7_vgpr8_vgpr9
	s_branch .LBB1436_350
.LBB1436_349:                           ;   in Loop: Header=BB1436_350 Depth=2
	s_or_b32 exec_lo, exec_lo, s8
	s_addk_i32 s1, 0xf800
	s_cmp_ge_u32 s7, s33
	s_mov_b32 s24, s7
	s_cbranch_scc1 .LBB1436_388
.LBB1436_350:                           ;   Parent Loop BB1436_12 Depth=1
                                        ; =>  This Inner Loop Header: Depth=2
	s_add_i32 s7, s24, 0x800
	s_delay_alu instid0(SALU_CYCLE_1)
	s_cmp_gt_u32 s7, s33
	s_cbranch_scc1 .LBB1436_353
; %bb.351:                              ;   in Loop: Header=BB1436_350 Depth=2
	s_mov_b32 s9, 0
	s_mov_b32 s8, s24
	s_delay_alu instid0(SALU_CYCLE_1) | instskip(NEXT) | instid1(SALU_CYCLE_1)
	s_lshl_b64 s[10:11], s[8:9], 2
	v_add_co_u32 v21, vcc_lo, v65, s10
	v_add_co_ci_u32_e32 v22, vcc_lo, s11, v66, vcc_lo
	s_mov_b32 s10, -1
	s_waitcnt vmcnt(0)
	s_delay_alu instid0(VALU_DEP_2) | instskip(NEXT) | instid1(VALU_DEP_2)
	v_add_co_u32 v16, vcc_lo, 0x1000, v21
	v_add_co_ci_u32_e32 v17, vcc_lo, 0, v22, vcc_lo
	s_clause 0x6
	global_load_b32 v10, v[21:22], off
	global_load_b32 v11, v[21:22], off offset:1024
	global_load_b32 v12, v[21:22], off offset:2048
	;; [unrolled: 1-line block ×3, first 2 shown]
	global_load_b32 v14, v[16:17], off
	global_load_b32 v15, v[16:17], off offset:1024
	global_load_b32 v16, v[16:17], off offset:2048
	v_add_co_u32 v21, vcc_lo, 0x1c00, v21
	v_add_co_ci_u32_e32 v22, vcc_lo, 0, v22, vcc_lo
	s_movk_i32 s11, 0x800
	s_cbranch_execz .LBB1436_354
; %bb.352:                              ;   in Loop: Header=BB1436_350 Depth=2
                                        ; implicit-def: $vgpr2_vgpr3_vgpr4_vgpr5_vgpr6_vgpr7_vgpr8_vgpr9
	v_mov_b32_e32 v0, s1
	s_and_saveexec_b32 s8, s10
	s_cbranch_execnz .LBB1436_365
	s_branch .LBB1436_366
.LBB1436_353:                           ;   in Loop: Header=BB1436_350 Depth=2
	s_mov_b32 s10, 0
                                        ; implicit-def: $sgpr11
                                        ; implicit-def: $vgpr10_vgpr11_vgpr12_vgpr13_vgpr14_vgpr15_vgpr16_vgpr17
                                        ; implicit-def: $vgpr21_vgpr22
.LBB1436_354:                           ;   in Loop: Header=BB1436_350 Depth=2
	s_lshl_b64 s[8:9], s[24:25], 2
	s_mov_b32 s11, exec_lo
	s_add_u32 s8, s44, s8
	s_addc_u32 s9, s45, s9
	v_cmpx_gt_u32_e64 s1, v18
	s_cbranch_execz .LBB1436_382
; %bb.355:                              ;   in Loop: Header=BB1436_350 Depth=2
	v_lshlrev_b32_e32 v0, 2, v18
	global_load_b32 v2, v0, s[8:9]
	s_or_b32 exec_lo, exec_lo, s11
	s_delay_alu instid0(SALU_CYCLE_1)
	s_mov_b32 s11, exec_lo
	v_cmpx_gt_u32_e64 s1, v32
	s_cbranch_execnz .LBB1436_383
.LBB1436_356:                           ;   in Loop: Header=BB1436_350 Depth=2
	s_or_b32 exec_lo, exec_lo, s11
	s_delay_alu instid0(SALU_CYCLE_1)
	s_mov_b32 s11, exec_lo
	v_cmpx_gt_u32_e64 s1, v33
	s_cbranch_execz .LBB1436_384
.LBB1436_357:                           ;   in Loop: Header=BB1436_350 Depth=2
	v_lshlrev_b32_e32 v0, 2, v18
	global_load_b32 v4, v0, s[8:9] offset:2048
	s_or_b32 exec_lo, exec_lo, s11
	s_delay_alu instid0(SALU_CYCLE_1)
	s_mov_b32 s11, exec_lo
	v_cmpx_gt_u32_e64 s1, v34
	s_cbranch_execnz .LBB1436_385
.LBB1436_358:                           ;   in Loop: Header=BB1436_350 Depth=2
	s_or_b32 exec_lo, exec_lo, s11
	s_delay_alu instid0(SALU_CYCLE_1)
	s_mov_b32 s11, exec_lo
	v_cmpx_gt_u32_e64 s1, v38
	s_cbranch_execz .LBB1436_386
.LBB1436_359:                           ;   in Loop: Header=BB1436_350 Depth=2
	v_lshlrev_b32_e32 v0, 2, v38
	global_load_b32 v6, v0, s[8:9]
	s_or_b32 exec_lo, exec_lo, s11
	s_delay_alu instid0(SALU_CYCLE_1)
	s_mov_b32 s11, exec_lo
	v_cmpx_gt_u32_e64 s1, v39
	s_cbranch_execnz .LBB1436_387
.LBB1436_360:                           ;   in Loop: Header=BB1436_350 Depth=2
	s_or_b32 exec_lo, exec_lo, s11
	s_delay_alu instid0(SALU_CYCLE_1)
	s_mov_b32 s11, exec_lo
	v_cmpx_gt_u32_e64 s1, v40
	s_cbranch_execz .LBB1436_362
.LBB1436_361:                           ;   in Loop: Header=BB1436_350 Depth=2
	v_lshlrev_b32_e32 v0, 2, v40
	global_load_b32 v8, v0, s[8:9]
.LBB1436_362:                           ;   in Loop: Header=BB1436_350 Depth=2
	s_or_b32 exec_lo, exec_lo, s11
	s_delay_alu instid0(SALU_CYCLE_1)
	s_mov_b32 s12, exec_lo
                                        ; implicit-def: $sgpr11
                                        ; implicit-def: $vgpr21_vgpr22
	v_cmpx_gt_u32_e64 s1, v42
; %bb.363:                              ;   in Loop: Header=BB1436_350 Depth=2
	v_lshlrev_b32_e32 v0, 2, v42
	s_sub_i32 s11, s33, s24
	s_or_b32 s10, s10, exec_lo
	s_delay_alu instid0(VALU_DEP_1) | instskip(NEXT) | instid1(VALU_DEP_1)
	v_add_co_u32 v21, s8, s8, v0
	v_add_co_ci_u32_e64 v22, null, s9, 0, s8
; %bb.364:                              ;   in Loop: Header=BB1436_350 Depth=2
	s_or_b32 exec_lo, exec_lo, s12
	s_waitcnt vmcnt(0)
	v_dual_mov_b32 v17, v9 :: v_dual_mov_b32 v16, v8
	v_dual_mov_b32 v15, v7 :: v_dual_mov_b32 v14, v6
	v_dual_mov_b32 v13, v5 :: v_dual_mov_b32 v12, v4
	v_dual_mov_b32 v11, v3 :: v_dual_mov_b32 v10, v2
	v_mov_b32_e32 v0, s1
	s_and_saveexec_b32 s8, s10
	s_cbranch_execz .LBB1436_366
.LBB1436_365:                           ;   in Loop: Header=BB1436_350 Depth=2
	global_load_b32 v17, v[21:22], off
	s_waitcnt vmcnt(0)
	v_dual_mov_b32 v2, v10 :: v_dual_mov_b32 v5, v13
	v_dual_mov_b32 v0, s11 :: v_dual_mov_b32 v3, v11
	;; [unrolled: 1-line block ×3, first 2 shown]
	v_mov_b32_e32 v6, v14
	v_dual_mov_b32 v8, v16 :: v_dual_mov_b32 v9, v17
.LBB1436_366:                           ;   in Loop: Header=BB1436_350 Depth=2
	s_or_b32 exec_lo, exec_lo, s8
	s_delay_alu instid0(SALU_CYCLE_1)
	s_mov_b32 s8, exec_lo
	v_cmpx_lt_u32_e64 v18, v0
	s_cbranch_execz .LBB1436_374
; %bb.367:                              ;   in Loop: Header=BB1436_350 Depth=2
	v_cmp_lt_i32_e32 vcc_lo, -1, v2
	s_waitcnt vmcnt(5)
	v_lshlrev_b32_e32 v11, 2, v35
	v_cndmask_b32_e64 v10, -1, 0x80000000, vcc_lo
	s_delay_alu instid0(VALU_DEP_1) | instskip(NEXT) | instid1(VALU_DEP_1)
	v_xor_b32_e32 v10, v10, v2
	v_cmp_ne_u32_e32 vcc_lo, 0x7fffffff, v10
	v_cndmask_b32_e32 v10, 0x80000000, v10, vcc_lo
	s_delay_alu instid0(VALU_DEP_1) | instskip(NEXT) | instid1(VALU_DEP_1)
	v_lshrrev_b32_e32 v10, s57, v10
	v_and_b32_e32 v10, s31, v10
	s_delay_alu instid0(VALU_DEP_1) | instskip(SKIP_2) | instid1(SALU_CYCLE_1)
	v_lshl_or_b32 v10, v10, 4, v11
	ds_add_u32 v10, v71
	s_or_b32 exec_lo, exec_lo, s8
	s_mov_b32 s8, exec_lo
	v_cmpx_lt_u32_e64 v32, v0
	s_cbranch_execnz .LBB1436_375
.LBB1436_368:                           ;   in Loop: Header=BB1436_350 Depth=2
	s_or_b32 exec_lo, exec_lo, s8
	s_delay_alu instid0(SALU_CYCLE_1)
	s_mov_b32 s8, exec_lo
	v_cmpx_lt_u32_e64 v33, v0
	s_cbranch_execz .LBB1436_376
.LBB1436_369:                           ;   in Loop: Header=BB1436_350 Depth=2
	v_cmp_lt_i32_e32 vcc_lo, -1, v4
	s_waitcnt vmcnt(5)
	v_lshlrev_b32_e32 v11, 2, v35
	v_cndmask_b32_e64 v10, -1, 0x80000000, vcc_lo
	s_delay_alu instid0(VALU_DEP_1) | instskip(NEXT) | instid1(VALU_DEP_1)
	v_xor_b32_e32 v10, v10, v4
	v_cmp_ne_u32_e32 vcc_lo, 0x7fffffff, v10
	v_cndmask_b32_e32 v10, 0x80000000, v10, vcc_lo
	s_delay_alu instid0(VALU_DEP_1) | instskip(NEXT) | instid1(VALU_DEP_1)
	v_lshrrev_b32_e32 v10, s57, v10
	v_and_b32_e32 v10, s31, v10
	s_delay_alu instid0(VALU_DEP_1) | instskip(SKIP_2) | instid1(SALU_CYCLE_1)
	v_lshl_or_b32 v10, v10, 4, v11
	ds_add_u32 v10, v71
	s_or_b32 exec_lo, exec_lo, s8
	s_mov_b32 s8, exec_lo
	v_cmpx_lt_u32_e64 v34, v0
	s_cbranch_execnz .LBB1436_377
.LBB1436_370:                           ;   in Loop: Header=BB1436_350 Depth=2
	s_or_b32 exec_lo, exec_lo, s8
	s_delay_alu instid0(SALU_CYCLE_1)
	s_mov_b32 s8, exec_lo
	v_cmpx_lt_u32_e64 v38, v0
	s_cbranch_execz .LBB1436_378
.LBB1436_371:                           ;   in Loop: Header=BB1436_350 Depth=2
	v_cmp_lt_i32_e32 vcc_lo, -1, v6
	s_waitcnt vmcnt(5)
	v_lshlrev_b32_e32 v11, 2, v35
	v_cndmask_b32_e64 v10, -1, 0x80000000, vcc_lo
	s_delay_alu instid0(VALU_DEP_1) | instskip(NEXT) | instid1(VALU_DEP_1)
	v_xor_b32_e32 v10, v10, v6
	v_cmp_ne_u32_e32 vcc_lo, 0x7fffffff, v10
	v_cndmask_b32_e32 v10, 0x80000000, v10, vcc_lo
	s_delay_alu instid0(VALU_DEP_1) | instskip(NEXT) | instid1(VALU_DEP_1)
	v_lshrrev_b32_e32 v10, s57, v10
	v_and_b32_e32 v10, s31, v10
	s_delay_alu instid0(VALU_DEP_1) | instskip(SKIP_2) | instid1(SALU_CYCLE_1)
	v_lshl_or_b32 v10, v10, 4, v11
	ds_add_u32 v10, v71
	s_or_b32 exec_lo, exec_lo, s8
	s_mov_b32 s8, exec_lo
	v_cmpx_lt_u32_e64 v39, v0
	s_cbranch_execnz .LBB1436_379
.LBB1436_372:                           ;   in Loop: Header=BB1436_350 Depth=2
	s_or_b32 exec_lo, exec_lo, s8
	s_delay_alu instid0(SALU_CYCLE_1)
	s_mov_b32 s8, exec_lo
	v_cmpx_lt_u32_e64 v40, v0
	s_cbranch_execz .LBB1436_380
.LBB1436_373:                           ;   in Loop: Header=BB1436_350 Depth=2
	v_cmp_lt_i32_e32 vcc_lo, -1, v8
	s_waitcnt vmcnt(5)
	v_lshlrev_b32_e32 v11, 2, v35
	v_cndmask_b32_e64 v10, -1, 0x80000000, vcc_lo
	s_delay_alu instid0(VALU_DEP_1) | instskip(NEXT) | instid1(VALU_DEP_1)
	v_xor_b32_e32 v10, v10, v8
	v_cmp_ne_u32_e32 vcc_lo, 0x7fffffff, v10
	v_cndmask_b32_e32 v10, 0x80000000, v10, vcc_lo
	s_delay_alu instid0(VALU_DEP_1) | instskip(NEXT) | instid1(VALU_DEP_1)
	v_lshrrev_b32_e32 v10, s57, v10
	v_and_b32_e32 v10, s31, v10
	s_delay_alu instid0(VALU_DEP_1) | instskip(SKIP_2) | instid1(SALU_CYCLE_1)
	v_lshl_or_b32 v10, v10, 4, v11
	ds_add_u32 v10, v71
	s_or_b32 exec_lo, exec_lo, s8
	s_mov_b32 s8, exec_lo
	v_cmpx_lt_u32_e64 v42, v0
	s_cbranch_execz .LBB1436_349
	s_branch .LBB1436_381
.LBB1436_374:                           ;   in Loop: Header=BB1436_350 Depth=2
	s_or_b32 exec_lo, exec_lo, s8
	s_delay_alu instid0(SALU_CYCLE_1)
	s_mov_b32 s8, exec_lo
	v_cmpx_lt_u32_e64 v32, v0
	s_cbranch_execz .LBB1436_368
.LBB1436_375:                           ;   in Loop: Header=BB1436_350 Depth=2
	v_cmp_lt_i32_e32 vcc_lo, -1, v3
	s_waitcnt vmcnt(5)
	v_lshlrev_b32_e32 v11, 2, v35
	v_cndmask_b32_e64 v10, -1, 0x80000000, vcc_lo
	s_delay_alu instid0(VALU_DEP_1) | instskip(NEXT) | instid1(VALU_DEP_1)
	v_xor_b32_e32 v10, v10, v3
	v_cmp_ne_u32_e32 vcc_lo, 0x7fffffff, v10
	v_cndmask_b32_e32 v10, 0x80000000, v10, vcc_lo
	s_delay_alu instid0(VALU_DEP_1) | instskip(NEXT) | instid1(VALU_DEP_1)
	v_lshrrev_b32_e32 v10, s57, v10
	v_and_b32_e32 v10, s31, v10
	s_delay_alu instid0(VALU_DEP_1) | instskip(SKIP_2) | instid1(SALU_CYCLE_1)
	v_lshl_or_b32 v10, v10, 4, v11
	ds_add_u32 v10, v71
	s_or_b32 exec_lo, exec_lo, s8
	s_mov_b32 s8, exec_lo
	v_cmpx_lt_u32_e64 v33, v0
	s_cbranch_execnz .LBB1436_369
.LBB1436_376:                           ;   in Loop: Header=BB1436_350 Depth=2
	s_or_b32 exec_lo, exec_lo, s8
	s_delay_alu instid0(SALU_CYCLE_1)
	s_mov_b32 s8, exec_lo
	v_cmpx_lt_u32_e64 v34, v0
	s_cbranch_execz .LBB1436_370
.LBB1436_377:                           ;   in Loop: Header=BB1436_350 Depth=2
	v_cmp_lt_i32_e32 vcc_lo, -1, v5
	s_waitcnt vmcnt(5)
	v_lshlrev_b32_e32 v11, 2, v35
	v_cndmask_b32_e64 v10, -1, 0x80000000, vcc_lo
	s_delay_alu instid0(VALU_DEP_1) | instskip(NEXT) | instid1(VALU_DEP_1)
	v_xor_b32_e32 v10, v10, v5
	v_cmp_ne_u32_e32 vcc_lo, 0x7fffffff, v10
	v_cndmask_b32_e32 v10, 0x80000000, v10, vcc_lo
	s_delay_alu instid0(VALU_DEP_1) | instskip(NEXT) | instid1(VALU_DEP_1)
	v_lshrrev_b32_e32 v10, s57, v10
	v_and_b32_e32 v10, s31, v10
	s_delay_alu instid0(VALU_DEP_1) | instskip(SKIP_2) | instid1(SALU_CYCLE_1)
	v_lshl_or_b32 v10, v10, 4, v11
	ds_add_u32 v10, v71
	s_or_b32 exec_lo, exec_lo, s8
	s_mov_b32 s8, exec_lo
	v_cmpx_lt_u32_e64 v38, v0
	s_cbranch_execnz .LBB1436_371
.LBB1436_378:                           ;   in Loop: Header=BB1436_350 Depth=2
	s_or_b32 exec_lo, exec_lo, s8
	s_delay_alu instid0(SALU_CYCLE_1)
	s_mov_b32 s8, exec_lo
	v_cmpx_lt_u32_e64 v39, v0
	s_cbranch_execz .LBB1436_372
.LBB1436_379:                           ;   in Loop: Header=BB1436_350 Depth=2
	v_cmp_lt_i32_e32 vcc_lo, -1, v7
	s_waitcnt vmcnt(5)
	v_lshlrev_b32_e32 v11, 2, v35
	v_cndmask_b32_e64 v10, -1, 0x80000000, vcc_lo
	s_delay_alu instid0(VALU_DEP_1) | instskip(NEXT) | instid1(VALU_DEP_1)
	v_xor_b32_e32 v10, v10, v7
	v_cmp_ne_u32_e32 vcc_lo, 0x7fffffff, v10
	v_cndmask_b32_e32 v10, 0x80000000, v10, vcc_lo
	s_delay_alu instid0(VALU_DEP_1) | instskip(NEXT) | instid1(VALU_DEP_1)
	v_lshrrev_b32_e32 v10, s57, v10
	v_and_b32_e32 v10, s31, v10
	s_delay_alu instid0(VALU_DEP_1) | instskip(SKIP_2) | instid1(SALU_CYCLE_1)
	v_lshl_or_b32 v10, v10, 4, v11
	ds_add_u32 v10, v71
	s_or_b32 exec_lo, exec_lo, s8
	s_mov_b32 s8, exec_lo
	v_cmpx_lt_u32_e64 v40, v0
	s_cbranch_execnz .LBB1436_373
.LBB1436_380:                           ;   in Loop: Header=BB1436_350 Depth=2
	s_or_b32 exec_lo, exec_lo, s8
	s_delay_alu instid0(SALU_CYCLE_1)
	s_mov_b32 s8, exec_lo
	v_cmpx_lt_u32_e64 v42, v0
	s_cbranch_execz .LBB1436_349
.LBB1436_381:                           ;   in Loop: Header=BB1436_350 Depth=2
	v_cmp_lt_i32_e32 vcc_lo, -1, v9
	s_waitcnt vmcnt(6)
	v_lshlrev_b32_e32 v10, 2, v35
	v_cndmask_b32_e64 v0, -1, 0x80000000, vcc_lo
	s_delay_alu instid0(VALU_DEP_1) | instskip(NEXT) | instid1(VALU_DEP_1)
	v_xor_b32_e32 v0, v0, v9
	v_cmp_ne_u32_e32 vcc_lo, 0x7fffffff, v0
	v_cndmask_b32_e32 v0, 0x80000000, v0, vcc_lo
	s_delay_alu instid0(VALU_DEP_1) | instskip(NEXT) | instid1(VALU_DEP_1)
	v_lshrrev_b32_e32 v0, s57, v0
	v_and_b32_e32 v0, s31, v0
	s_delay_alu instid0(VALU_DEP_1)
	v_lshl_or_b32 v0, v0, 4, v10
	ds_add_u32 v0, v71
	s_branch .LBB1436_349
.LBB1436_382:                           ;   in Loop: Header=BB1436_350 Depth=2
	s_or_b32 exec_lo, exec_lo, s11
	s_delay_alu instid0(SALU_CYCLE_1)
	s_mov_b32 s11, exec_lo
	v_cmpx_gt_u32_e64 s1, v32
	s_cbranch_execz .LBB1436_356
.LBB1436_383:                           ;   in Loop: Header=BB1436_350 Depth=2
	v_lshlrev_b32_e32 v0, 2, v18
	global_load_b32 v3, v0, s[8:9] offset:1024
	s_or_b32 exec_lo, exec_lo, s11
	s_delay_alu instid0(SALU_CYCLE_1)
	s_mov_b32 s11, exec_lo
	v_cmpx_gt_u32_e64 s1, v33
	s_cbranch_execnz .LBB1436_357
.LBB1436_384:                           ;   in Loop: Header=BB1436_350 Depth=2
	s_or_b32 exec_lo, exec_lo, s11
	s_delay_alu instid0(SALU_CYCLE_1)
	s_mov_b32 s11, exec_lo
	v_cmpx_gt_u32_e64 s1, v34
	s_cbranch_execz .LBB1436_358
.LBB1436_385:                           ;   in Loop: Header=BB1436_350 Depth=2
	v_lshlrev_b32_e32 v0, 2, v18
	global_load_b32 v5, v0, s[8:9] offset:3072
	s_or_b32 exec_lo, exec_lo, s11
	s_delay_alu instid0(SALU_CYCLE_1)
	s_mov_b32 s11, exec_lo
	v_cmpx_gt_u32_e64 s1, v38
	s_cbranch_execnz .LBB1436_359
.LBB1436_386:                           ;   in Loop: Header=BB1436_350 Depth=2
	s_or_b32 exec_lo, exec_lo, s11
	s_delay_alu instid0(SALU_CYCLE_1)
	s_mov_b32 s11, exec_lo
	v_cmpx_gt_u32_e64 s1, v39
	s_cbranch_execz .LBB1436_360
.LBB1436_387:                           ;   in Loop: Header=BB1436_350 Depth=2
	v_lshlrev_b32_e32 v0, 2, v39
	global_load_b32 v7, v0, s[8:9]
	s_or_b32 exec_lo, exec_lo, s11
	s_delay_alu instid0(SALU_CYCLE_1)
	s_mov_b32 s11, exec_lo
	v_cmpx_gt_u32_e64 s1, v40
	s_cbranch_execz .LBB1436_362
	s_branch .LBB1436_361
.LBB1436_388:                           ;   in Loop: Header=BB1436_12 Depth=1
	v_mov_b32_e32 v0, 0
	s_waitcnt vmcnt(0) lgkmcnt(0)
	s_barrier
	buffer_gl0_inv
	s_and_saveexec_b32 s1, s2
	s_cbranch_execz .LBB1436_390
; %bb.389:                              ;   in Loop: Header=BB1436_12 Depth=1
	ds_load_2addr_b64 v[2:5], v43 offset1:1
	s_waitcnt lgkmcnt(0)
	v_add_nc_u32_e32 v0, v3, v2
	s_delay_alu instid0(VALU_DEP_1)
	v_add3_u32 v0, v0, v4, v5
.LBB1436_390:                           ;   in Loop: Header=BB1436_12 Depth=1
	s_or_b32 exec_lo, exec_lo, s1
	v_and_b32_e32 v2, 15, v72
	s_delay_alu instid0(VALU_DEP_2) | instskip(SKIP_1) | instid1(VALU_DEP_3)
	v_mov_b32_dpp v3, v0 row_shr:1 row_mask:0xf bank_mask:0xf
	v_and_b32_e32 v4, 16, v72
	v_cmp_eq_u32_e64 s1, 0, v2
	v_cmp_lt_u32_e64 s7, 1, v2
	v_cmp_lt_u32_e64 s8, 3, v2
	;; [unrolled: 1-line block ×3, first 2 shown]
	v_cmp_eq_u32_e64 s10, 0, v4
	v_cndmask_b32_e64 v3, v3, 0, s1
	s_delay_alu instid0(VALU_DEP_1) | instskip(NEXT) | instid1(VALU_DEP_1)
	v_add_nc_u32_e32 v0, v3, v0
	v_mov_b32_dpp v3, v0 row_shr:2 row_mask:0xf bank_mask:0xf
	s_delay_alu instid0(VALU_DEP_1) | instskip(NEXT) | instid1(VALU_DEP_1)
	v_cndmask_b32_e64 v3, 0, v3, s7
	v_add_nc_u32_e32 v0, v0, v3
	s_delay_alu instid0(VALU_DEP_1) | instskip(NEXT) | instid1(VALU_DEP_1)
	v_mov_b32_dpp v3, v0 row_shr:4 row_mask:0xf bank_mask:0xf
	v_cndmask_b32_e64 v3, 0, v3, s8
	s_delay_alu instid0(VALU_DEP_1) | instskip(NEXT) | instid1(VALU_DEP_1)
	v_add_nc_u32_e32 v0, v0, v3
	v_mov_b32_dpp v3, v0 row_shr:8 row_mask:0xf bank_mask:0xf
	s_delay_alu instid0(VALU_DEP_1) | instskip(SKIP_1) | instid1(VALU_DEP_2)
	v_cndmask_b32_e64 v2, 0, v3, s9
	v_bfe_i32 v3, v72, 4, 1
	v_add_nc_u32_e32 v0, v0, v2
	ds_swizzle_b32 v2, v0 offset:swizzle(BROADCAST,32,15)
	s_waitcnt lgkmcnt(0)
	v_and_b32_e32 v2, v3, v2
	s_delay_alu instid0(VALU_DEP_1)
	v_add_nc_u32_e32 v2, v0, v2
	s_and_saveexec_b32 s11, s3
	s_cbranch_execz .LBB1436_392
; %bb.391:                              ;   in Loop: Header=BB1436_12 Depth=1
	ds_store_b32 v44, v2
.LBB1436_392:                           ;   in Loop: Header=BB1436_12 Depth=1
	s_or_b32 exec_lo, exec_lo, s11
	v_and_b32_e32 v0, 7, v72
	s_waitcnt lgkmcnt(0)
	s_barrier
	buffer_gl0_inv
	s_and_saveexec_b32 s11, s4
	s_cbranch_execz .LBB1436_394
; %bb.393:                              ;   in Loop: Header=BB1436_12 Depth=1
	ds_load_b32 v3, v45
	v_cmp_ne_u32_e32 vcc_lo, 0, v0
	s_waitcnt lgkmcnt(0)
	v_mov_b32_dpp v4, v3 row_shr:1 row_mask:0xf bank_mask:0xf
	s_delay_alu instid0(VALU_DEP_1) | instskip(SKIP_1) | instid1(VALU_DEP_2)
	v_cndmask_b32_e32 v4, 0, v4, vcc_lo
	v_cmp_lt_u32_e32 vcc_lo, 1, v0
	v_add_nc_u32_e32 v3, v4, v3
	s_delay_alu instid0(VALU_DEP_1) | instskip(NEXT) | instid1(VALU_DEP_1)
	v_mov_b32_dpp v4, v3 row_shr:2 row_mask:0xf bank_mask:0xf
	v_cndmask_b32_e32 v4, 0, v4, vcc_lo
	v_cmp_lt_u32_e32 vcc_lo, 3, v0
	s_delay_alu instid0(VALU_DEP_2) | instskip(NEXT) | instid1(VALU_DEP_1)
	v_add_nc_u32_e32 v3, v3, v4
	v_mov_b32_dpp v4, v3 row_shr:4 row_mask:0xf bank_mask:0xf
	s_delay_alu instid0(VALU_DEP_1) | instskip(NEXT) | instid1(VALU_DEP_1)
	v_cndmask_b32_e32 v4, 0, v4, vcc_lo
	v_add_nc_u32_e32 v3, v3, v4
	ds_store_b32 v45, v3
.LBB1436_394:                           ;   in Loop: Header=BB1436_12 Depth=1
	s_or_b32 exec_lo, exec_lo, s11
	v_mov_b32_e32 v3, 0
	s_waitcnt lgkmcnt(0)
	s_barrier
	buffer_gl0_inv
	s_and_saveexec_b32 s11, s5
	s_cbranch_execz .LBB1436_396
; %bb.395:                              ;   in Loop: Header=BB1436_12 Depth=1
	ds_load_b32 v3, v46
.LBB1436_396:                           ;   in Loop: Header=BB1436_12 Depth=1
	s_or_b32 exec_lo, exec_lo, s11
	v_add_nc_u32_e32 v4, -1, v72
	s_waitcnt lgkmcnt(0)
	v_add_nc_u32_e32 v2, v3, v2
	v_cmp_eq_u32_e64 s11, 0, v72
	s_barrier
	v_cmp_gt_i32_e32 vcc_lo, 0, v4
	buffer_gl0_inv
	v_cndmask_b32_e32 v4, v4, v72, vcc_lo
	s_delay_alu instid0(VALU_DEP_1)
	v_lshlrev_b32_e32 v73, 2, v4
	ds_bpermute_b32 v2, v73, v2
	s_and_saveexec_b32 s12, s2
	s_cbranch_execz .LBB1436_398
; %bb.397:                              ;   in Loop: Header=BB1436_12 Depth=1
	s_waitcnt lgkmcnt(0)
	v_cndmask_b32_e64 v2, v2, v3, s11
	s_delay_alu instid0(VALU_DEP_1)
	v_add_nc_u32_e32 v2, s27, v2
	ds_store_b32 v31, v2
.LBB1436_398:                           ;   in Loop: Header=BB1436_12 Depth=1
	s_or_b32 exec_lo, exec_lo, s12
	s_load_b64 s[12:13], s[28:29], 0x0
	v_lshlrev_b32_e32 v3, 3, v72
	v_cmp_lt_u32_e64 s14, 3, v0
	v_or_b32_e32 v74, v72, v47
	s_mov_b32 s50, s35
	s_mov_b32 s24, s27
	v_add_co_u32 v75, vcc_lo, v67, v3
	v_add_co_ci_u32_e32 v76, vcc_lo, 0, v68, vcc_lo
	v_or_b32_e32 v77, 32, v74
	v_or_b32_e32 v78, 64, v74
	;; [unrolled: 1-line block ×7, first 2 shown]
                                        ; implicit-def: $vgpr10_vgpr11
                                        ; implicit-def: $vgpr12_vgpr13
                                        ; implicit-def: $vgpr14_vgpr15
                                        ; implicit-def: $vgpr16_vgpr17
                                        ; implicit-def: $vgpr21_vgpr22
                                        ; implicit-def: $vgpr23_vgpr24
                                        ; implicit-def: $vgpr25_vgpr26
                                        ; implicit-def: $vgpr27_vgpr28
                                        ; implicit-def: $vgpr89
                                        ; implicit-def: $vgpr90
                                        ; implicit-def: $vgpr91
                                        ; implicit-def: $vgpr92
                                        ; implicit-def: $vgpr93
                                        ; implicit-def: $vgpr94
                                        ; implicit-def: $vgpr95
                                        ; implicit-def: $vgpr96
	s_waitcnt lgkmcnt(0)
	s_cmp_lt_u32 s15, s13
	s_cselect_b32 s13, 14, 20
	s_delay_alu instid0(SALU_CYCLE_1) | instskip(SKIP_4) | instid1(SALU_CYCLE_1)
	s_add_u32 s16, s28, s13
	s_addc_u32 s17, s29, 0
	s_cmp_lt_u32 s26, s12
	global_load_u16 v2, v20, s[16:17]
	s_cselect_b32 s12, 12, 18
	s_add_u32 s12, s28, s12
	s_addc_u32 s13, s29, 0
	global_load_u16 v4, v20, s[12:13]
	v_cmp_eq_u32_e64 s12, 0, v0
	v_cmp_lt_u32_e64 s13, 1, v0
	v_lshlrev_b32_e32 v0, 2, v72
	s_delay_alu instid0(VALU_DEP_1) | instskip(SKIP_1) | instid1(VALU_DEP_2)
	v_add_co_u32 v84, vcc_lo, v69, v0
	v_add_co_ci_u32_e32 v85, vcc_lo, 0, v70, vcc_lo
	v_add_co_u32 v87, vcc_lo, 0x380, v84
	s_delay_alu instid0(VALU_DEP_2) | instskip(SKIP_3) | instid1(VALU_DEP_1)
	v_add_co_ci_u32_e32 v88, vcc_lo, 0, v85, vcc_lo
	s_waitcnt vmcnt(1)
	v_mad_u32_u24 v5, v48, v2, v50
	s_waitcnt vmcnt(0)
	v_mad_u64_u32 v[2:3], null, v5, v4, v[18:19]
	s_delay_alu instid0(VALU_DEP_1)
	v_lshrrev_b32_e32 v86, 5, v2
	s_branch .LBB1436_400
.LBB1436_399:                           ;   in Loop: Header=BB1436_400 Depth=2
	s_or_b32 exec_lo, exec_lo, s16
	s_addk_i32 s50, 0xf800
	s_cmp_lt_u32 s51, s33
	s_mov_b32 s24, s51
	s_cbranch_scc0 .LBB1436_512
.LBB1436_400:                           ;   Parent Loop BB1436_12 Depth=1
                                        ; =>  This Inner Loop Header: Depth=2
	s_add_i32 s51, s24, 0x800
	s_delay_alu instid0(SALU_CYCLE_1)
	s_cmp_gt_u32 s51, s33
	s_cbranch_scc1 .LBB1436_402
; %bb.401:                              ;   in Loop: Header=BB1436_400 Depth=2
	s_mov_b32 s17, 0
	s_mov_b32 s16, s24
	s_delay_alu instid0(SALU_CYCLE_1) | instskip(NEXT) | instid1(SALU_CYCLE_1)
	s_lshl_b64 s[18:19], s[16:17], 2
	v_add_co_u32 v8, vcc_lo, v84, s18
	v_add_co_ci_u32_e32 v9, vcc_lo, s19, v85, vcc_lo
	s_mov_b32 s19, -1
	s_movk_i32 s18, 0x800
	s_clause 0x6
	global_load_b32 v2, v[8:9], off
	global_load_b32 v3, v[8:9], off offset:128
	global_load_b32 v4, v[8:9], off offset:256
	global_load_b32 v5, v[8:9], off offset:384
	global_load_b32 v6, v[8:9], off offset:512
	global_load_b32 v7, v[8:9], off offset:640
	global_load_b32 v8, v[8:9], off offset:768
	s_cbranch_execz .LBB1436_403
	s_branch .LBB1436_412
.LBB1436_402:                           ;   in Loop: Header=BB1436_400 Depth=2
	s_mov_b32 s17, -1
	s_mov_b32 s19, 0
                                        ; implicit-def: $sgpr18
                                        ; implicit-def: $vgpr2_vgpr3_vgpr4_vgpr5_vgpr6_vgpr7_vgpr8_vgpr9
.LBB1436_403:                           ;   in Loop: Header=BB1436_400 Depth=2
	s_lshl_b64 s[16:17], s[24:25], 2
	s_mov_b32 s37, s36
	v_add_co_u32 v29, vcc_lo, v84, s16
	s_mov_b32 s38, s36
	s_mov_b32 s39, s36
	s_mov_b32 s40, s36
	s_mov_b32 s41, s36
	s_mov_b32 s42, s36
	s_mov_b32 s43, s36
	s_waitcnt vmcnt(0)
	v_dual_mov_b32 v2, s36 :: v_dual_mov_b32 v3, s37
	v_add_co_ci_u32_e32 v30, vcc_lo, s17, v85, vcc_lo
	v_dual_mov_b32 v4, s38 :: v_dual_mov_b32 v5, s39
	v_dual_mov_b32 v6, s40 :: v_dual_mov_b32 v7, s41
	;; [unrolled: 1-line block ×3, first 2 shown]
	s_mov_b32 s16, exec_lo
	v_cmpx_gt_u32_e64 s50, v74
	s_cbranch_execz .LBB1436_506
; %bb.404:                              ;   in Loop: Header=BB1436_400 Depth=2
	global_load_b32 v0, v[29:30], off
	v_mov_b32_e32 v7, v1
	v_mov_b32_e32 v2, v1
	;; [unrolled: 1-line block ×6, first 2 shown]
	s_waitcnt vmcnt(0)
	v_mov_b32_e32 v9, v7
	s_delay_alu instid0(VALU_DEP_2)
	v_dual_mov_b32 v8, v6 :: v_dual_mov_b32 v7, v5
	v_mov_b32_e32 v6, v4
	v_mov_b32_e32 v5, v3
	;; [unrolled: 1-line block ×5, first 2 shown]
	s_or_b32 exec_lo, exec_lo, s16
	s_delay_alu instid0(SALU_CYCLE_1)
	s_mov_b32 s16, exec_lo
	v_cmpx_gt_u32_e64 s50, v77
	s_cbranch_execnz .LBB1436_507
.LBB1436_405:                           ;   in Loop: Header=BB1436_400 Depth=2
	s_or_b32 exec_lo, exec_lo, s16
	s_delay_alu instid0(SALU_CYCLE_1)
	s_mov_b32 s16, exec_lo
	v_cmpx_gt_u32_e64 s50, v78
	s_cbranch_execz .LBB1436_508
.LBB1436_406:                           ;   in Loop: Header=BB1436_400 Depth=2
	global_load_b32 v4, v[29:30], off offset:256
	s_or_b32 exec_lo, exec_lo, s16
	s_delay_alu instid0(SALU_CYCLE_1)
	s_mov_b32 s16, exec_lo
	v_cmpx_gt_u32_e64 s50, v79
	s_cbranch_execnz .LBB1436_509
.LBB1436_407:                           ;   in Loop: Header=BB1436_400 Depth=2
	s_or_b32 exec_lo, exec_lo, s16
	s_delay_alu instid0(SALU_CYCLE_1)
	s_mov_b32 s16, exec_lo
	v_cmpx_gt_u32_e64 s50, v80
	s_cbranch_execz .LBB1436_510
.LBB1436_408:                           ;   in Loop: Header=BB1436_400 Depth=2
	global_load_b32 v6, v[29:30], off offset:512
	s_or_b32 exec_lo, exec_lo, s16
	s_delay_alu instid0(SALU_CYCLE_1)
	s_mov_b32 s16, exec_lo
	v_cmpx_gt_u32_e64 s50, v81
	s_cbranch_execnz .LBB1436_511
.LBB1436_409:                           ;   in Loop: Header=BB1436_400 Depth=2
	s_or_b32 exec_lo, exec_lo, s16
	s_delay_alu instid0(SALU_CYCLE_1)
	s_mov_b32 s16, exec_lo
	v_cmpx_gt_u32_e64 s50, v82
	s_cbranch_execz .LBB1436_411
.LBB1436_410:                           ;   in Loop: Header=BB1436_400 Depth=2
	global_load_b32 v8, v[29:30], off offset:768
.LBB1436_411:                           ;   in Loop: Header=BB1436_400 Depth=2
	s_or_b32 exec_lo, exec_lo, s16
	v_cmp_gt_u32_e64 s19, s50, v83
	s_sub_i32 s18, s33, s24
	s_mov_b64 s[16:17], s[24:25]
.LBB1436_412:                           ;   in Loop: Header=BB1436_400 Depth=2
	v_mov_b32_e32 v0, s50
	s_delay_alu instid0(VALU_DEP_2)
	s_and_saveexec_b32 s20, s19
	s_cbranch_execz .LBB1436_414
; %bb.413:                              ;   in Loop: Header=BB1436_400 Depth=2
	s_lshl_b64 s[16:17], s[16:17], 2
	v_mov_b32_e32 v0, s18
	v_add_co_u32 v29, vcc_lo, v87, s16
	v_add_co_ci_u32_e32 v30, vcc_lo, s17, v88, vcc_lo
	global_load_b32 v9, v[29:30], off
.LBB1436_414:                           ;   in Loop: Header=BB1436_400 Depth=2
	s_or_b32 exec_lo, exec_lo, s20
	s_waitcnt vmcnt(6)
	v_cmp_lt_i32_e32 vcc_lo, -1, v2
	ds_store_b32 v49, v20 offset:1056
	ds_store_2addr_b32 v51, v20, v20 offset0:1 offset1:2
	ds_store_2addr_b32 v51, v20, v20 offset0:3 offset1:4
	;; [unrolled: 1-line block ×4, first 2 shown]
	s_waitcnt vmcnt(0) lgkmcnt(0)
	s_barrier
	v_cndmask_b32_e64 v19, -1, 0x80000000, vcc_lo
	buffer_gl0_inv
	; wave barrier
	v_xor_b32_e32 v19, v19, v2
	s_delay_alu instid0(VALU_DEP_1) | instskip(SKIP_1) | instid1(VALU_DEP_1)
	v_cmp_ne_u32_e32 vcc_lo, 0x7fffffff, v19
	v_cndmask_b32_e32 v2, 0x80000000, v19, vcc_lo
	v_lshrrev_b32_e32 v2, s57, v2
	s_delay_alu instid0(VALU_DEP_1) | instskip(NEXT) | instid1(VALU_DEP_1)
	v_and_b32_e32 v30, s31, v2
	v_lshlrev_b32_e32 v29, 30, v30
	v_and_b32_e32 v2, 1, v30
	v_lshlrev_b32_e32 v97, 29, v30
	v_lshlrev_b32_e32 v98, 28, v30
	;; [unrolled: 1-line block ×3, first 2 shown]
	v_not_b32_e32 v103, v29
	v_add_co_u32 v2, s16, v2, -1
	s_delay_alu instid0(VALU_DEP_1)
	v_cndmask_b32_e64 v99, 0, 1, s16
	v_cmp_gt_i32_e64 s16, 0, v29
	v_not_b32_e32 v29, v97
	v_ashrrev_i32_e32 v103, 31, v103
	v_lshlrev_b32_e32 v101, 26, v30
	v_cmp_ne_u32_e32 vcc_lo, 0, v99
	v_lshlrev_b32_e32 v102, 25, v30
	v_ashrrev_i32_e32 v29, 31, v29
	v_xor_b32_e32 v103, s16, v103
	v_cmp_gt_i32_e64 s16, 0, v98
	v_xor_b32_e32 v2, vcc_lo, v2
	v_cmp_gt_i32_e32 vcc_lo, 0, v97
	v_not_b32_e32 v97, v98
	v_not_b32_e32 v98, v100
	v_lshlrev_b32_e32 v99, 24, v30
	v_and_b32_e32 v2, exec_lo, v2
	v_xor_b32_e32 v29, vcc_lo, v29
	v_ashrrev_i32_e32 v97, 31, v97
	v_cmp_gt_i32_e32 vcc_lo, 0, v100
	v_not_b32_e32 v100, v101
	v_and_b32_e32 v2, v2, v103
	v_ashrrev_i32_e32 v98, 31, v98
	v_xor_b32_e32 v97, s16, v97
	v_cmp_gt_i32_e64 s16, 0, v101
	v_ashrrev_i32_e32 v100, 31, v100
	v_and_b32_e32 v2, v2, v29
	v_not_b32_e32 v29, v102
	v_xor_b32_e32 v98, vcc_lo, v98
	v_cmp_gt_i32_e32 vcc_lo, 0, v102
	v_xor_b32_e32 v100, s16, v100
	v_and_b32_e32 v2, v2, v97
	v_not_b32_e32 v97, v99
	v_ashrrev_i32_e32 v29, 31, v29
	v_cmp_gt_i32_e64 s16, 0, v99
	v_mad_u32_u24 v30, v30, 9, v86
	v_and_b32_e32 v2, v2, v98
	v_ashrrev_i32_e32 v97, 31, v97
	v_xor_b32_e32 v29, vcc_lo, v29
	s_delay_alu instid0(VALU_DEP_3) | instskip(NEXT) | instid1(VALU_DEP_3)
	v_and_b32_e32 v2, v2, v100
	v_xor_b32_e32 v97, s16, v97
	s_delay_alu instid0(VALU_DEP_2) | instskip(NEXT) | instid1(VALU_DEP_1)
	v_and_b32_e32 v2, v2, v29
	v_and_b32_e32 v2, v2, v97
	v_lshl_add_u32 v97, v30, 2, 0x420
	s_delay_alu instid0(VALU_DEP_2) | instskip(SKIP_1) | instid1(VALU_DEP_2)
	v_mbcnt_lo_u32_b32 v29, v2, 0
	v_cmp_ne_u32_e64 s16, 0, v2
	v_cmp_eq_u32_e32 vcc_lo, 0, v29
	s_delay_alu instid0(VALU_DEP_2) | instskip(NEXT) | instid1(SALU_CYCLE_1)
	s_and_b32 s17, s16, vcc_lo
	s_and_saveexec_b32 s16, s17
	s_cbranch_execz .LBB1436_416
; %bb.415:                              ;   in Loop: Header=BB1436_400 Depth=2
	v_bcnt_u32_b32 v2, v2, 0
	ds_store_b32 v97, v2
.LBB1436_416:                           ;   in Loop: Header=BB1436_400 Depth=2
	s_or_b32 exec_lo, exec_lo, s16
	v_cmp_lt_i32_e32 vcc_lo, -1, v3
	; wave barrier
	v_cndmask_b32_e64 v2, -1, 0x80000000, vcc_lo
	s_delay_alu instid0(VALU_DEP_1) | instskip(NEXT) | instid1(VALU_DEP_1)
	v_xor_b32_e32 v30, v2, v3
	v_cmp_ne_u32_e32 vcc_lo, 0x7fffffff, v30
	v_cndmask_b32_e32 v2, 0x80000000, v30, vcc_lo
	s_delay_alu instid0(VALU_DEP_1) | instskip(NEXT) | instid1(VALU_DEP_1)
	v_lshrrev_b32_e32 v2, s57, v2
	v_and_b32_e32 v2, s31, v2
	s_delay_alu instid0(VALU_DEP_1)
	v_and_b32_e32 v3, 1, v2
	v_lshlrev_b32_e32 v98, 30, v2
	v_lshlrev_b32_e32 v99, 29, v2
	;; [unrolled: 1-line block ×4, first 2 shown]
	v_add_co_u32 v3, s16, v3, -1
	s_delay_alu instid0(VALU_DEP_1)
	v_cndmask_b32_e64 v101, 0, 1, s16
	v_not_b32_e32 v105, v98
	v_cmp_gt_i32_e64 s16, 0, v98
	v_not_b32_e32 v98, v99
	v_lshlrev_b32_e32 v103, 26, v2
	v_cmp_ne_u32_e32 vcc_lo, 0, v101
	v_ashrrev_i32_e32 v105, 31, v105
	v_lshlrev_b32_e32 v104, 25, v2
	v_ashrrev_i32_e32 v98, 31, v98
	v_lshlrev_b32_e32 v101, 24, v2
	v_xor_b32_e32 v3, vcc_lo, v3
	v_cmp_gt_i32_e32 vcc_lo, 0, v99
	v_not_b32_e32 v99, v100
	v_xor_b32_e32 v105, s16, v105
	v_cmp_gt_i32_e64 s16, 0, v100
	v_and_b32_e32 v3, exec_lo, v3
	v_not_b32_e32 v100, v102
	v_ashrrev_i32_e32 v99, 31, v99
	v_xor_b32_e32 v98, vcc_lo, v98
	v_cmp_gt_i32_e32 vcc_lo, 0, v102
	v_and_b32_e32 v3, v3, v105
	v_not_b32_e32 v102, v103
	v_ashrrev_i32_e32 v100, 31, v100
	v_xor_b32_e32 v99, s16, v99
	v_cmp_gt_i32_e64 s16, 0, v103
	v_and_b32_e32 v3, v3, v98
	v_not_b32_e32 v98, v104
	v_ashrrev_i32_e32 v102, 31, v102
	v_xor_b32_e32 v100, vcc_lo, v100
	v_cmp_gt_i32_e32 vcc_lo, 0, v104
	v_and_b32_e32 v3, v3, v99
	v_not_b32_e32 v99, v101
	v_ashrrev_i32_e32 v98, 31, v98
	v_xor_b32_e32 v102, s16, v102
	v_mul_u32_u24_e32 v2, 9, v2
	v_and_b32_e32 v3, v3, v100
	v_cmp_gt_i32_e64 s16, 0, v101
	v_ashrrev_i32_e32 v99, 31, v99
	v_xor_b32_e32 v98, vcc_lo, v98
	v_add_lshl_u32 v100, v2, v86, 2
	v_and_b32_e32 v3, v3, v102
	s_delay_alu instid0(VALU_DEP_4) | instskip(NEXT) | instid1(VALU_DEP_3)
	v_xor_b32_e32 v2, s16, v99
	v_add_nc_u32_e32 v101, 0x420, v100
	s_delay_alu instid0(VALU_DEP_3) | instskip(SKIP_2) | instid1(VALU_DEP_1)
	v_and_b32_e32 v3, v3, v98
	ds_load_b32 v98, v100 offset:1056
	; wave barrier
	v_and_b32_e32 v2, v3, v2
	v_mbcnt_lo_u32_b32 v99, v2, 0
	v_cmp_ne_u32_e64 s16, 0, v2
	s_delay_alu instid0(VALU_DEP_2) | instskip(NEXT) | instid1(VALU_DEP_2)
	v_cmp_eq_u32_e32 vcc_lo, 0, v99
	s_and_b32 s17, s16, vcc_lo
	s_delay_alu instid0(SALU_CYCLE_1)
	s_and_saveexec_b32 s16, s17
	s_cbranch_execz .LBB1436_418
; %bb.417:                              ;   in Loop: Header=BB1436_400 Depth=2
	s_waitcnt lgkmcnt(0)
	v_bcnt_u32_b32 v2, v2, v98
	ds_store_b32 v101, v2
.LBB1436_418:                           ;   in Loop: Header=BB1436_400 Depth=2
	s_or_b32 exec_lo, exec_lo, s16
	v_cmp_lt_i32_e32 vcc_lo, -1, v4
	; wave barrier
	v_cndmask_b32_e64 v2, -1, 0x80000000, vcc_lo
	s_delay_alu instid0(VALU_DEP_1) | instskip(NEXT) | instid1(VALU_DEP_1)
	v_xor_b32_e32 v100, v2, v4
	v_cmp_ne_u32_e32 vcc_lo, 0x7fffffff, v100
	v_cndmask_b32_e32 v2, 0x80000000, v100, vcc_lo
	s_delay_alu instid0(VALU_DEP_1) | instskip(NEXT) | instid1(VALU_DEP_1)
	v_lshrrev_b32_e32 v2, s57, v2
	v_and_b32_e32 v2, s31, v2
	s_delay_alu instid0(VALU_DEP_1)
	v_and_b32_e32 v3, 1, v2
	v_lshlrev_b32_e32 v4, 30, v2
	v_lshlrev_b32_e32 v102, 29, v2
	;; [unrolled: 1-line block ×4, first 2 shown]
	v_add_co_u32 v3, s16, v3, -1
	s_delay_alu instid0(VALU_DEP_1)
	v_cndmask_b32_e64 v104, 0, 1, s16
	v_not_b32_e32 v108, v4
	v_cmp_gt_i32_e64 s16, 0, v4
	v_not_b32_e32 v4, v102
	v_lshlrev_b32_e32 v106, 26, v2
	v_cmp_ne_u32_e32 vcc_lo, 0, v104
	v_ashrrev_i32_e32 v108, 31, v108
	v_lshlrev_b32_e32 v107, 25, v2
	v_ashrrev_i32_e32 v4, 31, v4
	v_lshlrev_b32_e32 v104, 24, v2
	v_xor_b32_e32 v3, vcc_lo, v3
	v_cmp_gt_i32_e32 vcc_lo, 0, v102
	v_not_b32_e32 v102, v103
	v_xor_b32_e32 v108, s16, v108
	v_cmp_gt_i32_e64 s16, 0, v103
	v_and_b32_e32 v3, exec_lo, v3
	v_not_b32_e32 v103, v105
	v_ashrrev_i32_e32 v102, 31, v102
	v_xor_b32_e32 v4, vcc_lo, v4
	v_cmp_gt_i32_e32 vcc_lo, 0, v105
	v_and_b32_e32 v3, v3, v108
	v_not_b32_e32 v105, v106
	v_ashrrev_i32_e32 v103, 31, v103
	v_xor_b32_e32 v102, s16, v102
	v_cmp_gt_i32_e64 s16, 0, v106
	v_and_b32_e32 v3, v3, v4
	v_not_b32_e32 v4, v107
	v_ashrrev_i32_e32 v105, 31, v105
	v_xor_b32_e32 v103, vcc_lo, v103
	v_cmp_gt_i32_e32 vcc_lo, 0, v107
	v_and_b32_e32 v3, v3, v102
	v_not_b32_e32 v102, v104
	v_ashrrev_i32_e32 v4, 31, v4
	v_xor_b32_e32 v105, s16, v105
	v_mul_u32_u24_e32 v2, 9, v2
	v_and_b32_e32 v3, v3, v103
	v_cmp_gt_i32_e64 s16, 0, v104
	v_ashrrev_i32_e32 v102, 31, v102
	v_xor_b32_e32 v4, vcc_lo, v4
	v_add_lshl_u32 v103, v2, v86, 2
	v_and_b32_e32 v3, v3, v105
	s_delay_alu instid0(VALU_DEP_4) | instskip(SKIP_3) | instid1(VALU_DEP_2)
	v_xor_b32_e32 v2, s16, v102
	ds_load_b32 v102, v103 offset:1056
	v_and_b32_e32 v3, v3, v4
	v_add_nc_u32_e32 v105, 0x420, v103
	; wave barrier
	v_and_b32_e32 v2, v3, v2
	s_delay_alu instid0(VALU_DEP_1) | instskip(SKIP_1) | instid1(VALU_DEP_2)
	v_mbcnt_lo_u32_b32 v104, v2, 0
	v_cmp_ne_u32_e64 s16, 0, v2
	v_cmp_eq_u32_e32 vcc_lo, 0, v104
	s_delay_alu instid0(VALU_DEP_2) | instskip(NEXT) | instid1(SALU_CYCLE_1)
	s_and_b32 s17, s16, vcc_lo
	s_and_saveexec_b32 s16, s17
	s_cbranch_execz .LBB1436_420
; %bb.419:                              ;   in Loop: Header=BB1436_400 Depth=2
	s_waitcnt lgkmcnt(0)
	v_bcnt_u32_b32 v2, v2, v102
	ds_store_b32 v105, v2
.LBB1436_420:                           ;   in Loop: Header=BB1436_400 Depth=2
	s_or_b32 exec_lo, exec_lo, s16
	v_cmp_lt_i32_e32 vcc_lo, -1, v5
	; wave barrier
	v_cndmask_b32_e64 v2, -1, 0x80000000, vcc_lo
	s_delay_alu instid0(VALU_DEP_1) | instskip(NEXT) | instid1(VALU_DEP_1)
	v_xor_b32_e32 v103, v2, v5
	v_cmp_ne_u32_e32 vcc_lo, 0x7fffffff, v103
	v_cndmask_b32_e32 v2, 0x80000000, v103, vcc_lo
	s_delay_alu instid0(VALU_DEP_1) | instskip(NEXT) | instid1(VALU_DEP_1)
	v_lshrrev_b32_e32 v2, s57, v2
	v_and_b32_e32 v2, s31, v2
	s_delay_alu instid0(VALU_DEP_1)
	v_and_b32_e32 v3, 1, v2
	v_lshlrev_b32_e32 v4, 30, v2
	v_lshlrev_b32_e32 v5, 29, v2
	;; [unrolled: 1-line block ×4, first 2 shown]
	v_add_co_u32 v3, s16, v3, -1
	s_delay_alu instid0(VALU_DEP_1)
	v_cndmask_b32_e64 v107, 0, 1, s16
	v_not_b32_e32 v111, v4
	v_cmp_gt_i32_e64 s16, 0, v4
	v_not_b32_e32 v4, v5
	v_lshlrev_b32_e32 v109, 26, v2
	v_cmp_ne_u32_e32 vcc_lo, 0, v107
	v_ashrrev_i32_e32 v111, 31, v111
	v_lshlrev_b32_e32 v110, 25, v2
	v_ashrrev_i32_e32 v4, 31, v4
	v_lshlrev_b32_e32 v107, 24, v2
	v_xor_b32_e32 v3, vcc_lo, v3
	v_cmp_gt_i32_e32 vcc_lo, 0, v5
	v_not_b32_e32 v5, v106
	v_xor_b32_e32 v111, s16, v111
	v_cmp_gt_i32_e64 s16, 0, v106
	v_and_b32_e32 v3, exec_lo, v3
	v_not_b32_e32 v106, v108
	v_ashrrev_i32_e32 v5, 31, v5
	v_xor_b32_e32 v4, vcc_lo, v4
	v_cmp_gt_i32_e32 vcc_lo, 0, v108
	v_and_b32_e32 v3, v3, v111
	v_not_b32_e32 v108, v109
	v_ashrrev_i32_e32 v106, 31, v106
	v_xor_b32_e32 v5, s16, v5
	v_cmp_gt_i32_e64 s16, 0, v109
	v_and_b32_e32 v3, v3, v4
	v_not_b32_e32 v4, v110
	v_ashrrev_i32_e32 v108, 31, v108
	v_xor_b32_e32 v106, vcc_lo, v106
	v_cmp_gt_i32_e32 vcc_lo, 0, v110
	v_and_b32_e32 v3, v3, v5
	v_not_b32_e32 v5, v107
	v_ashrrev_i32_e32 v4, 31, v4
	v_xor_b32_e32 v108, s16, v108
	v_mul_u32_u24_e32 v2, 9, v2
	v_and_b32_e32 v3, v3, v106
	v_cmp_gt_i32_e64 s16, 0, v107
	v_ashrrev_i32_e32 v5, 31, v5
	v_xor_b32_e32 v4, vcc_lo, v4
	v_add_lshl_u32 v106, v2, v86, 2
	v_and_b32_e32 v3, v3, v108
	s_delay_alu instid0(VALU_DEP_4) | instskip(SKIP_3) | instid1(VALU_DEP_2)
	v_xor_b32_e32 v2, s16, v5
	ds_load_b32 v107, v106 offset:1056
	v_and_b32_e32 v3, v3, v4
	v_add_nc_u32_e32 v109, 0x420, v106
	; wave barrier
	v_and_b32_e32 v2, v3, v2
	s_delay_alu instid0(VALU_DEP_1) | instskip(SKIP_1) | instid1(VALU_DEP_2)
	v_mbcnt_lo_u32_b32 v108, v2, 0
	v_cmp_ne_u32_e64 s16, 0, v2
	v_cmp_eq_u32_e32 vcc_lo, 0, v108
	s_delay_alu instid0(VALU_DEP_2) | instskip(NEXT) | instid1(SALU_CYCLE_1)
	s_and_b32 s17, s16, vcc_lo
	s_and_saveexec_b32 s16, s17
	s_cbranch_execz .LBB1436_422
; %bb.421:                              ;   in Loop: Header=BB1436_400 Depth=2
	s_waitcnt lgkmcnt(0)
	v_bcnt_u32_b32 v2, v2, v107
	ds_store_b32 v109, v2
.LBB1436_422:                           ;   in Loop: Header=BB1436_400 Depth=2
	s_or_b32 exec_lo, exec_lo, s16
	v_cmp_lt_i32_e32 vcc_lo, -1, v6
	; wave barrier
	v_cndmask_b32_e64 v2, -1, 0x80000000, vcc_lo
	s_delay_alu instid0(VALU_DEP_1) | instskip(NEXT) | instid1(VALU_DEP_1)
	v_xor_b32_e32 v106, v2, v6
	v_cmp_ne_u32_e32 vcc_lo, 0x7fffffff, v106
	v_cndmask_b32_e32 v2, 0x80000000, v106, vcc_lo
	s_delay_alu instid0(VALU_DEP_1) | instskip(NEXT) | instid1(VALU_DEP_1)
	v_lshrrev_b32_e32 v2, s57, v2
	v_and_b32_e32 v2, s31, v2
	s_delay_alu instid0(VALU_DEP_1)
	v_and_b32_e32 v3, 1, v2
	v_lshlrev_b32_e32 v4, 30, v2
	v_lshlrev_b32_e32 v5, 29, v2
	;; [unrolled: 1-line block ×4, first 2 shown]
	v_add_co_u32 v3, s16, v3, -1
	s_delay_alu instid0(VALU_DEP_1)
	v_cndmask_b32_e64 v110, 0, 1, s16
	v_not_b32_e32 v114, v4
	v_cmp_gt_i32_e64 s16, 0, v4
	v_not_b32_e32 v4, v5
	v_lshlrev_b32_e32 v112, 26, v2
	v_cmp_ne_u32_e32 vcc_lo, 0, v110
	v_ashrrev_i32_e32 v114, 31, v114
	v_lshlrev_b32_e32 v113, 25, v2
	v_ashrrev_i32_e32 v4, 31, v4
	v_lshlrev_b32_e32 v110, 24, v2
	v_xor_b32_e32 v3, vcc_lo, v3
	v_cmp_gt_i32_e32 vcc_lo, 0, v5
	v_not_b32_e32 v5, v6
	v_xor_b32_e32 v114, s16, v114
	v_cmp_gt_i32_e64 s16, 0, v6
	v_and_b32_e32 v3, exec_lo, v3
	v_not_b32_e32 v6, v111
	v_ashrrev_i32_e32 v5, 31, v5
	v_xor_b32_e32 v4, vcc_lo, v4
	v_cmp_gt_i32_e32 vcc_lo, 0, v111
	v_and_b32_e32 v3, v3, v114
	v_not_b32_e32 v111, v112
	v_ashrrev_i32_e32 v6, 31, v6
	v_xor_b32_e32 v5, s16, v5
	v_cmp_gt_i32_e64 s16, 0, v112
	v_and_b32_e32 v3, v3, v4
	v_not_b32_e32 v4, v113
	v_ashrrev_i32_e32 v111, 31, v111
	v_xor_b32_e32 v6, vcc_lo, v6
	v_cmp_gt_i32_e32 vcc_lo, 0, v113
	v_and_b32_e32 v3, v3, v5
	v_not_b32_e32 v5, v110
	v_ashrrev_i32_e32 v4, 31, v4
	v_xor_b32_e32 v111, s16, v111
	v_mul_u32_u24_e32 v2, 9, v2
	v_and_b32_e32 v3, v3, v6
	v_cmp_gt_i32_e64 s16, 0, v110
	v_ashrrev_i32_e32 v5, 31, v5
	v_xor_b32_e32 v4, vcc_lo, v4
	v_add_lshl_u32 v6, v2, v86, 2
	v_and_b32_e32 v3, v3, v111
	s_delay_alu instid0(VALU_DEP_4) | instskip(SKIP_3) | instid1(VALU_DEP_2)
	v_xor_b32_e32 v2, s16, v5
	ds_load_b32 v111, v6 offset:1056
	v_and_b32_e32 v3, v3, v4
	v_add_nc_u32_e32 v113, 0x420, v6
	; wave barrier
	v_and_b32_e32 v2, v3, v2
	s_delay_alu instid0(VALU_DEP_1) | instskip(SKIP_1) | instid1(VALU_DEP_2)
	v_mbcnt_lo_u32_b32 v112, v2, 0
	v_cmp_ne_u32_e64 s16, 0, v2
	v_cmp_eq_u32_e32 vcc_lo, 0, v112
	s_delay_alu instid0(VALU_DEP_2) | instskip(NEXT) | instid1(SALU_CYCLE_1)
	s_and_b32 s17, s16, vcc_lo
	s_and_saveexec_b32 s16, s17
	s_cbranch_execz .LBB1436_424
; %bb.423:                              ;   in Loop: Header=BB1436_400 Depth=2
	s_waitcnt lgkmcnt(0)
	v_bcnt_u32_b32 v2, v2, v111
	ds_store_b32 v113, v2
.LBB1436_424:                           ;   in Loop: Header=BB1436_400 Depth=2
	s_or_b32 exec_lo, exec_lo, s16
	v_cmp_lt_i32_e32 vcc_lo, -1, v7
	; wave barrier
	v_cndmask_b32_e64 v2, -1, 0x80000000, vcc_lo
	s_delay_alu instid0(VALU_DEP_1) | instskip(NEXT) | instid1(VALU_DEP_1)
	v_xor_b32_e32 v110, v2, v7
	v_cmp_ne_u32_e32 vcc_lo, 0x7fffffff, v110
	v_cndmask_b32_e32 v2, 0x80000000, v110, vcc_lo
	s_delay_alu instid0(VALU_DEP_1) | instskip(NEXT) | instid1(VALU_DEP_1)
	v_lshrrev_b32_e32 v2, s57, v2
	v_and_b32_e32 v2, s31, v2
	s_delay_alu instid0(VALU_DEP_1)
	v_and_b32_e32 v3, 1, v2
	v_lshlrev_b32_e32 v4, 30, v2
	v_lshlrev_b32_e32 v5, 29, v2
	;; [unrolled: 1-line block ×4, first 2 shown]
	v_add_co_u32 v3, s16, v3, -1
	s_delay_alu instid0(VALU_DEP_1)
	v_cndmask_b32_e64 v7, 0, 1, s16
	v_not_b32_e32 v117, v4
	v_cmp_gt_i32_e64 s16, 0, v4
	v_not_b32_e32 v4, v5
	v_lshlrev_b32_e32 v115, 26, v2
	v_cmp_ne_u32_e32 vcc_lo, 0, v7
	v_ashrrev_i32_e32 v117, 31, v117
	v_lshlrev_b32_e32 v116, 25, v2
	v_ashrrev_i32_e32 v4, 31, v4
	v_lshlrev_b32_e32 v7, 24, v2
	v_xor_b32_e32 v3, vcc_lo, v3
	v_cmp_gt_i32_e32 vcc_lo, 0, v5
	v_not_b32_e32 v5, v6
	v_xor_b32_e32 v117, s16, v117
	v_cmp_gt_i32_e64 s16, 0, v6
	v_and_b32_e32 v3, exec_lo, v3
	v_not_b32_e32 v6, v114
	v_ashrrev_i32_e32 v5, 31, v5
	v_xor_b32_e32 v4, vcc_lo, v4
	v_cmp_gt_i32_e32 vcc_lo, 0, v114
	v_and_b32_e32 v3, v3, v117
	v_not_b32_e32 v114, v115
	v_ashrrev_i32_e32 v6, 31, v6
	v_xor_b32_e32 v5, s16, v5
	v_cmp_gt_i32_e64 s16, 0, v115
	v_and_b32_e32 v3, v3, v4
	v_not_b32_e32 v4, v116
	v_ashrrev_i32_e32 v114, 31, v114
	v_xor_b32_e32 v6, vcc_lo, v6
	v_cmp_gt_i32_e32 vcc_lo, 0, v116
	v_and_b32_e32 v3, v3, v5
	v_not_b32_e32 v5, v7
	v_ashrrev_i32_e32 v4, 31, v4
	v_xor_b32_e32 v114, s16, v114
	v_mul_u32_u24_e32 v2, 9, v2
	v_and_b32_e32 v3, v3, v6
	v_cmp_gt_i32_e64 s16, 0, v7
	v_ashrrev_i32_e32 v5, 31, v5
	v_xor_b32_e32 v4, vcc_lo, v4
	v_add_lshl_u32 v6, v2, v86, 2
	v_and_b32_e32 v3, v3, v114
	s_delay_alu instid0(VALU_DEP_4) | instskip(SKIP_3) | instid1(VALU_DEP_2)
	v_xor_b32_e32 v2, s16, v5
	ds_load_b32 v115, v6 offset:1056
	v_and_b32_e32 v3, v3, v4
	v_add_nc_u32_e32 v117, 0x420, v6
	; wave barrier
	v_and_b32_e32 v2, v3, v2
	s_delay_alu instid0(VALU_DEP_1) | instskip(SKIP_1) | instid1(VALU_DEP_2)
	v_mbcnt_lo_u32_b32 v116, v2, 0
	v_cmp_ne_u32_e64 s16, 0, v2
	v_cmp_eq_u32_e32 vcc_lo, 0, v116
	s_delay_alu instid0(VALU_DEP_2) | instskip(NEXT) | instid1(SALU_CYCLE_1)
	s_and_b32 s17, s16, vcc_lo
	s_and_saveexec_b32 s16, s17
	s_cbranch_execz .LBB1436_426
; %bb.425:                              ;   in Loop: Header=BB1436_400 Depth=2
	s_waitcnt lgkmcnt(0)
	v_bcnt_u32_b32 v2, v2, v115
	ds_store_b32 v117, v2
.LBB1436_426:                           ;   in Loop: Header=BB1436_400 Depth=2
	s_or_b32 exec_lo, exec_lo, s16
	v_cmp_lt_i32_e32 vcc_lo, -1, v8
	; wave barrier
	v_cndmask_b32_e64 v2, -1, 0x80000000, vcc_lo
	s_delay_alu instid0(VALU_DEP_1) | instskip(NEXT) | instid1(VALU_DEP_1)
	v_xor_b32_e32 v114, v2, v8
	v_cmp_ne_u32_e32 vcc_lo, 0x7fffffff, v114
	v_cndmask_b32_e32 v2, 0x80000000, v114, vcc_lo
	s_delay_alu instid0(VALU_DEP_1) | instskip(NEXT) | instid1(VALU_DEP_1)
	v_lshrrev_b32_e32 v2, s57, v2
	v_and_b32_e32 v2, s31, v2
	s_delay_alu instid0(VALU_DEP_1)
	v_and_b32_e32 v3, 1, v2
	v_lshlrev_b32_e32 v4, 30, v2
	v_lshlrev_b32_e32 v5, 29, v2
	;; [unrolled: 1-line block ×4, first 2 shown]
	v_add_co_u32 v3, s16, v3, -1
	s_delay_alu instid0(VALU_DEP_1)
	v_cndmask_b32_e64 v7, 0, 1, s16
	v_not_b32_e32 v120, v4
	v_cmp_gt_i32_e64 s16, 0, v4
	v_not_b32_e32 v4, v5
	v_lshlrev_b32_e32 v118, 26, v2
	v_cmp_ne_u32_e32 vcc_lo, 0, v7
	v_ashrrev_i32_e32 v120, 31, v120
	v_lshlrev_b32_e32 v119, 25, v2
	v_ashrrev_i32_e32 v4, 31, v4
	v_lshlrev_b32_e32 v7, 24, v2
	v_xor_b32_e32 v3, vcc_lo, v3
	v_cmp_gt_i32_e32 vcc_lo, 0, v5
	v_not_b32_e32 v5, v6
	v_xor_b32_e32 v120, s16, v120
	v_cmp_gt_i32_e64 s16, 0, v6
	v_and_b32_e32 v3, exec_lo, v3
	v_not_b32_e32 v6, v8
	v_ashrrev_i32_e32 v5, 31, v5
	v_xor_b32_e32 v4, vcc_lo, v4
	v_cmp_gt_i32_e32 vcc_lo, 0, v8
	v_and_b32_e32 v3, v3, v120
	v_not_b32_e32 v8, v118
	v_ashrrev_i32_e32 v6, 31, v6
	v_xor_b32_e32 v5, s16, v5
	v_cmp_gt_i32_e64 s16, 0, v118
	v_and_b32_e32 v3, v3, v4
	v_not_b32_e32 v4, v119
	v_ashrrev_i32_e32 v8, 31, v8
	v_xor_b32_e32 v6, vcc_lo, v6
	v_cmp_gt_i32_e32 vcc_lo, 0, v119
	v_and_b32_e32 v3, v3, v5
	v_not_b32_e32 v5, v7
	v_ashrrev_i32_e32 v4, 31, v4
	v_xor_b32_e32 v8, s16, v8
	v_mul_u32_u24_e32 v2, 9, v2
	v_and_b32_e32 v3, v3, v6
	v_cmp_gt_i32_e64 s16, 0, v7
	v_ashrrev_i32_e32 v5, 31, v5
	v_xor_b32_e32 v4, vcc_lo, v4
	v_add_lshl_u32 v6, v2, v86, 2
	v_and_b32_e32 v3, v3, v8
	s_delay_alu instid0(VALU_DEP_4) | instskip(SKIP_3) | instid1(VALU_DEP_2)
	v_xor_b32_e32 v2, s16, v5
	ds_load_b32 v119, v6 offset:1056
	v_and_b32_e32 v3, v3, v4
	v_add_nc_u32_e32 v121, 0x420, v6
	; wave barrier
	v_and_b32_e32 v2, v3, v2
	s_delay_alu instid0(VALU_DEP_1) | instskip(SKIP_1) | instid1(VALU_DEP_2)
	v_mbcnt_lo_u32_b32 v120, v2, 0
	v_cmp_ne_u32_e64 s16, 0, v2
	v_cmp_eq_u32_e32 vcc_lo, 0, v120
	s_delay_alu instid0(VALU_DEP_2) | instskip(NEXT) | instid1(SALU_CYCLE_1)
	s_and_b32 s17, s16, vcc_lo
	s_and_saveexec_b32 s16, s17
	s_cbranch_execz .LBB1436_428
; %bb.427:                              ;   in Loop: Header=BB1436_400 Depth=2
	s_waitcnt lgkmcnt(0)
	v_bcnt_u32_b32 v2, v2, v119
	ds_store_b32 v121, v2
.LBB1436_428:                           ;   in Loop: Header=BB1436_400 Depth=2
	s_or_b32 exec_lo, exec_lo, s16
	v_cmp_lt_i32_e32 vcc_lo, -1, v9
	; wave barrier
	v_cndmask_b32_e64 v2, -1, 0x80000000, vcc_lo
	s_delay_alu instid0(VALU_DEP_1) | instskip(NEXT) | instid1(VALU_DEP_1)
	v_xor_b32_e32 v118, v2, v9
	v_cmp_ne_u32_e32 vcc_lo, 0x7fffffff, v118
	v_cndmask_b32_e32 v2, 0x80000000, v118, vcc_lo
	s_delay_alu instid0(VALU_DEP_1) | instskip(NEXT) | instid1(VALU_DEP_1)
	v_lshrrev_b32_e32 v2, s57, v2
	v_and_b32_e32 v2, s31, v2
	s_delay_alu instid0(VALU_DEP_1)
	v_and_b32_e32 v3, 1, v2
	v_lshlrev_b32_e32 v4, 30, v2
	v_lshlrev_b32_e32 v5, 29, v2
	;; [unrolled: 1-line block ×4, first 2 shown]
	v_add_co_u32 v3, s16, v3, -1
	s_delay_alu instid0(VALU_DEP_1)
	v_cndmask_b32_e64 v7, 0, 1, s16
	v_not_b32_e32 v123, v4
	v_cmp_gt_i32_e64 s16, 0, v4
	v_not_b32_e32 v4, v5
	v_lshlrev_b32_e32 v9, 26, v2
	v_cmp_ne_u32_e32 vcc_lo, 0, v7
	v_ashrrev_i32_e32 v123, 31, v123
	v_lshlrev_b32_e32 v122, 25, v2
	v_ashrrev_i32_e32 v4, 31, v4
	v_lshlrev_b32_e32 v7, 24, v2
	v_xor_b32_e32 v3, vcc_lo, v3
	v_cmp_gt_i32_e32 vcc_lo, 0, v5
	v_not_b32_e32 v5, v6
	v_xor_b32_e32 v123, s16, v123
	v_cmp_gt_i32_e64 s16, 0, v6
	v_and_b32_e32 v3, exec_lo, v3
	v_not_b32_e32 v6, v8
	v_ashrrev_i32_e32 v5, 31, v5
	v_xor_b32_e32 v4, vcc_lo, v4
	v_cmp_gt_i32_e32 vcc_lo, 0, v8
	v_and_b32_e32 v3, v3, v123
	v_not_b32_e32 v8, v9
	v_ashrrev_i32_e32 v6, 31, v6
	v_xor_b32_e32 v5, s16, v5
	v_cmp_gt_i32_e64 s16, 0, v9
	v_and_b32_e32 v3, v3, v4
	v_not_b32_e32 v4, v122
	v_ashrrev_i32_e32 v8, 31, v8
	v_xor_b32_e32 v6, vcc_lo, v6
	v_cmp_gt_i32_e32 vcc_lo, 0, v122
	v_and_b32_e32 v3, v3, v5
	v_not_b32_e32 v5, v7
	v_ashrrev_i32_e32 v4, 31, v4
	v_xor_b32_e32 v8, s16, v8
	v_mul_u32_u24_e32 v2, 9, v2
	v_and_b32_e32 v3, v3, v6
	v_cmp_gt_i32_e64 s16, 0, v7
	v_ashrrev_i32_e32 v5, 31, v5
	v_xor_b32_e32 v4, vcc_lo, v4
	v_add_lshl_u32 v6, v2, v86, 2
	v_and_b32_e32 v3, v3, v8
	s_delay_alu instid0(VALU_DEP_4) | instskip(SKIP_3) | instid1(VALU_DEP_2)
	v_xor_b32_e32 v2, s16, v5
	ds_load_b32 v122, v6 offset:1056
	v_and_b32_e32 v3, v3, v4
	v_add_nc_u32_e32 v124, 0x420, v6
	; wave barrier
	v_and_b32_e32 v2, v3, v2
	s_delay_alu instid0(VALU_DEP_1) | instskip(SKIP_1) | instid1(VALU_DEP_2)
	v_mbcnt_lo_u32_b32 v123, v2, 0
	v_cmp_ne_u32_e64 s16, 0, v2
	v_cmp_eq_u32_e32 vcc_lo, 0, v123
	s_delay_alu instid0(VALU_DEP_2) | instskip(NEXT) | instid1(SALU_CYCLE_1)
	s_and_b32 s17, s16, vcc_lo
	s_and_saveexec_b32 s16, s17
	s_cbranch_execz .LBB1436_430
; %bb.429:                              ;   in Loop: Header=BB1436_400 Depth=2
	s_waitcnt lgkmcnt(0)
	v_bcnt_u32_b32 v2, v2, v122
	ds_store_b32 v124, v2
.LBB1436_430:                           ;   in Loop: Header=BB1436_400 Depth=2
	s_or_b32 exec_lo, exec_lo, s16
	; wave barrier
	s_waitcnt lgkmcnt(0)
	s_barrier
	buffer_gl0_inv
	ds_load_b32 v125, v49 offset:1056
	ds_load_2addr_b32 v[8:9], v51 offset0:1 offset1:2
	ds_load_2addr_b32 v[6:7], v51 offset0:3 offset1:4
	;; [unrolled: 1-line block ×4, first 2 shown]
	s_waitcnt lgkmcnt(3)
	v_add3_u32 v126, v8, v125, v9
	s_waitcnt lgkmcnt(2)
	s_delay_alu instid0(VALU_DEP_1) | instskip(SKIP_1) | instid1(VALU_DEP_1)
	v_add3_u32 v126, v126, v6, v7
	s_waitcnt lgkmcnt(1)
	v_add3_u32 v126, v126, v2, v3
	s_waitcnt lgkmcnt(0)
	s_delay_alu instid0(VALU_DEP_1) | instskip(NEXT) | instid1(VALU_DEP_1)
	v_add3_u32 v5, v126, v4, v5
	v_mov_b32_dpp v126, v5 row_shr:1 row_mask:0xf bank_mask:0xf
	s_delay_alu instid0(VALU_DEP_1) | instskip(NEXT) | instid1(VALU_DEP_1)
	v_cndmask_b32_e64 v126, v126, 0, s1
	v_add_nc_u32_e32 v5, v126, v5
	s_delay_alu instid0(VALU_DEP_1) | instskip(NEXT) | instid1(VALU_DEP_1)
	v_mov_b32_dpp v126, v5 row_shr:2 row_mask:0xf bank_mask:0xf
	v_cndmask_b32_e64 v126, 0, v126, s7
	s_delay_alu instid0(VALU_DEP_1) | instskip(NEXT) | instid1(VALU_DEP_1)
	v_add_nc_u32_e32 v5, v5, v126
	v_mov_b32_dpp v126, v5 row_shr:4 row_mask:0xf bank_mask:0xf
	s_delay_alu instid0(VALU_DEP_1) | instskip(NEXT) | instid1(VALU_DEP_1)
	v_cndmask_b32_e64 v126, 0, v126, s8
	v_add_nc_u32_e32 v5, v5, v126
	s_delay_alu instid0(VALU_DEP_1) | instskip(NEXT) | instid1(VALU_DEP_1)
	v_mov_b32_dpp v126, v5 row_shr:8 row_mask:0xf bank_mask:0xf
	v_cndmask_b32_e64 v126, 0, v126, s9
	s_delay_alu instid0(VALU_DEP_1) | instskip(SKIP_3) | instid1(VALU_DEP_1)
	v_add_nc_u32_e32 v5, v5, v126
	ds_swizzle_b32 v126, v5 offset:swizzle(BROADCAST,32,15)
	s_waitcnt lgkmcnt(0)
	v_cndmask_b32_e64 v126, v126, 0, s10
	v_add_nc_u32_e32 v5, v5, v126
	s_and_saveexec_b32 s16, s3
	s_cbranch_execz .LBB1436_432
; %bb.431:                              ;   in Loop: Header=BB1436_400 Depth=2
	ds_store_b32 v41, v5 offset:1024
.LBB1436_432:                           ;   in Loop: Header=BB1436_400 Depth=2
	s_or_b32 exec_lo, exec_lo, s16
	s_waitcnt lgkmcnt(0)
	s_barrier
	buffer_gl0_inv
	s_and_saveexec_b32 s16, s4
	s_cbranch_execz .LBB1436_434
; %bb.433:                              ;   in Loop: Header=BB1436_400 Depth=2
	ds_load_b32 v126, v52 offset:1024
	s_waitcnt lgkmcnt(0)
	v_mov_b32_dpp v127, v126 row_shr:1 row_mask:0xf bank_mask:0xf
	s_delay_alu instid0(VALU_DEP_1) | instskip(NEXT) | instid1(VALU_DEP_1)
	v_cndmask_b32_e64 v127, v127, 0, s12
	v_add_nc_u32_e32 v126, v127, v126
	s_delay_alu instid0(VALU_DEP_1) | instskip(NEXT) | instid1(VALU_DEP_1)
	v_mov_b32_dpp v127, v126 row_shr:2 row_mask:0xf bank_mask:0xf
	v_cndmask_b32_e64 v127, 0, v127, s13
	s_delay_alu instid0(VALU_DEP_1) | instskip(NEXT) | instid1(VALU_DEP_1)
	v_add_nc_u32_e32 v126, v126, v127
	v_mov_b32_dpp v127, v126 row_shr:4 row_mask:0xf bank_mask:0xf
	s_delay_alu instid0(VALU_DEP_1) | instskip(NEXT) | instid1(VALU_DEP_1)
	v_cndmask_b32_e64 v127, 0, v127, s14
	v_add_nc_u32_e32 v126, v126, v127
	ds_store_b32 v52, v126 offset:1024
.LBB1436_434:                           ;   in Loop: Header=BB1436_400 Depth=2
	s_or_b32 exec_lo, exec_lo, s16
	v_mov_b32_e32 v126, 0
	s_waitcnt lgkmcnt(0)
	s_barrier
	buffer_gl0_inv
	s_and_saveexec_b32 s16, s5
	s_cbranch_execz .LBB1436_436
; %bb.435:                              ;   in Loop: Header=BB1436_400 Depth=2
	ds_load_b32 v126, v41 offset:1020
.LBB1436_436:                           ;   in Loop: Header=BB1436_400 Depth=2
	s_or_b32 exec_lo, exec_lo, s16
	s_waitcnt lgkmcnt(0)
	v_add_nc_u32_e32 v5, v126, v5
	ds_bpermute_b32 v5, v73, v5
	s_waitcnt lgkmcnt(0)
	v_cndmask_b32_e64 v5, v5, v126, s11
	s_delay_alu instid0(VALU_DEP_1) | instskip(NEXT) | instid1(VALU_DEP_1)
	v_cndmask_b32_e64 v5, v5, 0, s0
	v_add_nc_u32_e32 v125, v5, v125
	s_delay_alu instid0(VALU_DEP_1) | instskip(NEXT) | instid1(VALU_DEP_1)
	v_add_nc_u32_e32 v8, v125, v8
	v_add_nc_u32_e32 v9, v8, v9
	s_delay_alu instid0(VALU_DEP_1) | instskip(NEXT) | instid1(VALU_DEP_1)
	v_add_nc_u32_e32 v6, v9, v6
	;; [unrolled: 3-line block ×3, first 2 shown]
	v_add_nc_u32_e32 v3, v2, v3
	s_delay_alu instid0(VALU_DEP_1)
	v_add_nc_u32_e32 v4, v3, v4
	ds_store_b32 v49, v5 offset:1056
	ds_store_2addr_b32 v51, v125, v8 offset0:1 offset1:2
	ds_store_2addr_b32 v51, v9, v6 offset0:3 offset1:4
	ds_store_2addr_b32 v51, v7, v2 offset0:5 offset1:6
	ds_store_2addr_b32 v51, v3, v4 offset0:7 offset1:8
	v_mov_b32_e32 v4, 0x800
	s_waitcnt lgkmcnt(0)
	s_barrier
	buffer_gl0_inv
	ds_load_b32 v5, v101
	ds_load_b32 v6, v105
	;; [unrolled: 1-line block ×8, first 2 shown]
	ds_load_b32 v101, v49 offset:1056
	s_and_saveexec_b32 s16, s6
	s_cbranch_execz .LBB1436_438
; %bb.437:                              ;   in Loop: Header=BB1436_400 Depth=2
	ds_load_b32 v4, v53 offset:1056
.LBB1436_438:                           ;   in Loop: Header=BB1436_400 Depth=2
	s_or_b32 exec_lo, exec_lo, s16
	s_waitcnt lgkmcnt(0)
	s_barrier
	buffer_gl0_inv
	s_and_saveexec_b32 s16, s2
	s_cbranch_execz .LBB1436_440
; %bb.439:                              ;   in Loop: Header=BB1436_400 Depth=2
	ds_load_b32 v105, v31
	s_waitcnt lgkmcnt(0)
	v_sub_nc_u32_e32 v101, v105, v101
	ds_store_b32 v31, v101
.LBB1436_440:                           ;   in Loop: Header=BB1436_400 Depth=2
	s_or_b32 exec_lo, exec_lo, s16
	v_add_nc_u32_e32 v101, v97, v29
	v_add3_u32 v29, v104, v102, v6
	v_add3_u32 v7, v108, v107, v7
	;; [unrolled: 1-line block ×5, first 2 shown]
	v_lshlrev_b32_e32 v98, 2, v101
	v_add3_u32 v8, v120, v119, v3
	v_lshlrev_b32_e32 v3, 2, v29
	v_add3_u32 v9, v123, v122, v2
	v_lshlrev_b32_e32 v2, 2, v7
	v_lshlrev_b32_e32 v99, 2, v97
	ds_store_b32 v98, v19 offset:1024
	ds_store_b32 v99, v30 offset:1024
	ds_store_b32 v3, v100 offset:1024
	v_lshlrev_b32_e32 v3, 2, v6
	ds_store_b32 v2, v103 offset:1024
	v_lshlrev_b32_e32 v2, 2, v9
	v_cmp_lt_u32_e32 vcc_lo, v18, v0
	v_lshlrev_b32_e32 v19, 2, v5
	v_lshlrev_b32_e32 v30, 2, v8
	ds_store_b32 v3, v106 offset:1024
	ds_store_b32 v19, v110 offset:1024
	;; [unrolled: 1-line block ×4, first 2 shown]
	s_waitcnt lgkmcnt(0)
	s_barrier
	buffer_gl0_inv
	s_and_saveexec_b32 s17, vcc_lo
	s_cbranch_execz .LBB1436_448
; %bb.441:                              ;   in Loop: Header=BB1436_400 Depth=2
	ds_load_b32 v30, v52 offset:1024
	s_waitcnt lgkmcnt(0)
	v_cmp_ne_u32_e64 s16, 0x7fffffff, v30
	s_delay_alu instid0(VALU_DEP_1) | instskip(SKIP_1) | instid1(VALU_DEP_2)
	v_cndmask_b32_e64 v2, 0x80000000, v30, s16
	v_cmp_lt_i32_e64 s16, -1, v30
	v_lshrrev_b32_e32 v2, s57, v2
	s_delay_alu instid0(VALU_DEP_2) | instskip(NEXT) | instid1(VALU_DEP_2)
	v_cndmask_b32_e64 v98, 0x80000000, -1, s16
	v_and_b32_e32 v2, s31, v2
	s_delay_alu instid0(VALU_DEP_1) | instskip(SKIP_3) | instid1(VALU_DEP_1)
	v_lshlrev_b32_e32 v2, 2, v2
	ds_load_b32 v2, v2
	s_waitcnt lgkmcnt(0)
	v_add_nc_u32_e32 v19, v2, v18
	v_lshlrev_b64 v[2:3], 2, v[19:20]
	v_xor_b32_e32 v19, v98, v30
	s_delay_alu instid0(VALU_DEP_2) | instskip(NEXT) | instid1(VALU_DEP_1)
	v_add_co_u32 v2, s16, s46, v2
	v_add_co_ci_u32_e64 v3, s16, s47, v3, s16
	global_store_b32 v[2:3], v19, off
	s_or_b32 exec_lo, exec_lo, s17
	v_cmp_lt_u32_e64 s16, v32, v0
	s_delay_alu instid0(VALU_DEP_1)
	s_and_saveexec_b32 s18, s16
	s_cbranch_execnz .LBB1436_449
.LBB1436_442:                           ;   in Loop: Header=BB1436_400 Depth=2
	s_or_b32 exec_lo, exec_lo, s18
	v_cmp_lt_u32_e64 s17, v33, v0
	s_delay_alu instid0(VALU_DEP_1)
	s_and_saveexec_b32 s19, s17
	s_cbranch_execz .LBB1436_450
.LBB1436_443:                           ;   in Loop: Header=BB1436_400 Depth=2
	ds_load_b32 v30, v58 offset:2048
	s_waitcnt lgkmcnt(0)
	v_cmp_ne_u32_e64 s18, 0x7fffffff, v30
	s_delay_alu instid0(VALU_DEP_1) | instskip(SKIP_1) | instid1(VALU_DEP_2)
	v_cndmask_b32_e64 v2, 0x80000000, v30, s18
	v_cmp_lt_i32_e64 s18, -1, v30
	v_lshrrev_b32_e32 v2, s57, v2
	s_delay_alu instid0(VALU_DEP_2) | instskip(NEXT) | instid1(VALU_DEP_2)
	v_cndmask_b32_e64 v98, 0x80000000, -1, s18
	v_and_b32_e32 v2, s31, v2
	s_delay_alu instid0(VALU_DEP_1) | instskip(SKIP_3) | instid1(VALU_DEP_1)
	v_lshlrev_b32_e32 v2, 2, v2
	ds_load_b32 v2, v2
	s_waitcnt lgkmcnt(0)
	v_add_nc_u32_e32 v19, v2, v33
	v_lshlrev_b64 v[2:3], 2, v[19:20]
	v_xor_b32_e32 v19, v98, v30
	s_delay_alu instid0(VALU_DEP_2) | instskip(NEXT) | instid1(VALU_DEP_1)
	v_add_co_u32 v2, s18, s46, v2
	v_add_co_ci_u32_e64 v3, s18, s47, v3, s18
	global_store_b32 v[2:3], v19, off
	s_or_b32 exec_lo, exec_lo, s19
	v_cmp_lt_u32_e64 s18, v34, v0
	s_delay_alu instid0(VALU_DEP_1)
	s_and_saveexec_b32 s20, s18
	s_cbranch_execnz .LBB1436_451
.LBB1436_444:                           ;   in Loop: Header=BB1436_400 Depth=2
	s_or_b32 exec_lo, exec_lo, s20
	v_cmp_lt_u32_e64 s19, v38, v0
	s_delay_alu instid0(VALU_DEP_1)
	s_and_saveexec_b32 s21, s19
	s_cbranch_execz .LBB1436_452
.LBB1436_445:                           ;   in Loop: Header=BB1436_400 Depth=2
	ds_load_b32 v30, v58 offset:4096
	s_waitcnt lgkmcnt(0)
	v_cmp_ne_u32_e64 s20, 0x7fffffff, v30
	s_delay_alu instid0(VALU_DEP_1) | instskip(SKIP_1) | instid1(VALU_DEP_2)
	v_cndmask_b32_e64 v2, 0x80000000, v30, s20
	v_cmp_lt_i32_e64 s20, -1, v30
	v_lshrrev_b32_e32 v2, s57, v2
	s_delay_alu instid0(VALU_DEP_2) | instskip(NEXT) | instid1(VALU_DEP_2)
	v_cndmask_b32_e64 v98, 0x80000000, -1, s20
	v_and_b32_e32 v2, s31, v2
	s_delay_alu instid0(VALU_DEP_1) | instskip(SKIP_3) | instid1(VALU_DEP_1)
	v_lshlrev_b32_e32 v2, 2, v2
	ds_load_b32 v2, v2
	s_waitcnt lgkmcnt(0)
	v_add_nc_u32_e32 v19, v2, v38
	v_lshlrev_b64 v[2:3], 2, v[19:20]
	v_xor_b32_e32 v19, v98, v30
	s_delay_alu instid0(VALU_DEP_2) | instskip(NEXT) | instid1(VALU_DEP_1)
	v_add_co_u32 v2, s20, s46, v2
	v_add_co_ci_u32_e64 v3, s20, s47, v3, s20
	global_store_b32 v[2:3], v19, off
	s_or_b32 exec_lo, exec_lo, s21
	v_cmp_lt_u32_e64 s20, v39, v0
	s_delay_alu instid0(VALU_DEP_1)
	s_and_saveexec_b32 s22, s20
	s_cbranch_execnz .LBB1436_453
.LBB1436_446:                           ;   in Loop: Header=BB1436_400 Depth=2
	s_or_b32 exec_lo, exec_lo, s22
	v_cmp_lt_u32_e64 s21, v40, v0
	s_delay_alu instid0(VALU_DEP_1)
	s_and_saveexec_b32 s23, s21
	s_cbranch_execz .LBB1436_454
.LBB1436_447:                           ;   in Loop: Header=BB1436_400 Depth=2
	ds_load_b32 v30, v58 offset:6144
	s_waitcnt lgkmcnt(0)
	v_cmp_ne_u32_e64 s22, 0x7fffffff, v30
	s_delay_alu instid0(VALU_DEP_1) | instskip(SKIP_1) | instid1(VALU_DEP_2)
	v_cndmask_b32_e64 v2, 0x80000000, v30, s22
	v_cmp_lt_i32_e64 s22, -1, v30
	v_lshrrev_b32_e32 v2, s57, v2
	s_delay_alu instid0(VALU_DEP_2) | instskip(NEXT) | instid1(VALU_DEP_2)
	v_cndmask_b32_e64 v98, 0x80000000, -1, s22
	v_and_b32_e32 v2, s31, v2
	s_delay_alu instid0(VALU_DEP_1) | instskip(SKIP_3) | instid1(VALU_DEP_1)
	v_lshlrev_b32_e32 v2, 2, v2
	ds_load_b32 v2, v2
	s_waitcnt lgkmcnt(0)
	v_add_nc_u32_e32 v19, v2, v40
	v_lshlrev_b64 v[2:3], 2, v[19:20]
	v_xor_b32_e32 v19, v98, v30
	s_delay_alu instid0(VALU_DEP_2) | instskip(NEXT) | instid1(VALU_DEP_1)
	v_add_co_u32 v2, s22, s46, v2
	v_add_co_ci_u32_e64 v3, s22, s47, v3, s22
	global_store_b32 v[2:3], v19, off
	s_or_b32 exec_lo, exec_lo, s23
	v_cmp_lt_u32_e64 s22, v42, v0
	s_delay_alu instid0(VALU_DEP_1)
	s_and_saveexec_b32 s37, s22
	s_cbranch_execnz .LBB1436_455
	s_branch .LBB1436_456
.LBB1436_448:                           ;   in Loop: Header=BB1436_400 Depth=2
	s_or_b32 exec_lo, exec_lo, s17
	v_cmp_lt_u32_e64 s16, v32, v0
	s_delay_alu instid0(VALU_DEP_1)
	s_and_saveexec_b32 s18, s16
	s_cbranch_execz .LBB1436_442
.LBB1436_449:                           ;   in Loop: Header=BB1436_400 Depth=2
	ds_load_b32 v30, v58 offset:1024
	s_waitcnt lgkmcnt(0)
	v_cmp_ne_u32_e64 s17, 0x7fffffff, v30
	s_delay_alu instid0(VALU_DEP_1) | instskip(SKIP_1) | instid1(VALU_DEP_2)
	v_cndmask_b32_e64 v2, 0x80000000, v30, s17
	v_cmp_lt_i32_e64 s17, -1, v30
	v_lshrrev_b32_e32 v2, s57, v2
	s_delay_alu instid0(VALU_DEP_2) | instskip(NEXT) | instid1(VALU_DEP_2)
	v_cndmask_b32_e64 v98, 0x80000000, -1, s17
	v_and_b32_e32 v2, s31, v2
	s_delay_alu instid0(VALU_DEP_1) | instskip(SKIP_3) | instid1(VALU_DEP_1)
	v_lshlrev_b32_e32 v2, 2, v2
	ds_load_b32 v2, v2
	s_waitcnt lgkmcnt(0)
	v_add_nc_u32_e32 v19, v2, v32
	v_lshlrev_b64 v[2:3], 2, v[19:20]
	v_xor_b32_e32 v19, v98, v30
	s_delay_alu instid0(VALU_DEP_2) | instskip(NEXT) | instid1(VALU_DEP_1)
	v_add_co_u32 v2, s17, s46, v2
	v_add_co_ci_u32_e64 v3, s17, s47, v3, s17
	global_store_b32 v[2:3], v19, off
	s_or_b32 exec_lo, exec_lo, s18
	v_cmp_lt_u32_e64 s17, v33, v0
	s_delay_alu instid0(VALU_DEP_1)
	s_and_saveexec_b32 s19, s17
	s_cbranch_execnz .LBB1436_443
.LBB1436_450:                           ;   in Loop: Header=BB1436_400 Depth=2
	s_or_b32 exec_lo, exec_lo, s19
	v_cmp_lt_u32_e64 s18, v34, v0
	s_delay_alu instid0(VALU_DEP_1)
	s_and_saveexec_b32 s20, s18
	s_cbranch_execz .LBB1436_444
.LBB1436_451:                           ;   in Loop: Header=BB1436_400 Depth=2
	ds_load_b32 v30, v58 offset:3072
	s_waitcnt lgkmcnt(0)
	v_cmp_ne_u32_e64 s19, 0x7fffffff, v30
	s_delay_alu instid0(VALU_DEP_1) | instskip(SKIP_1) | instid1(VALU_DEP_2)
	v_cndmask_b32_e64 v2, 0x80000000, v30, s19
	v_cmp_lt_i32_e64 s19, -1, v30
	v_lshrrev_b32_e32 v2, s57, v2
	s_delay_alu instid0(VALU_DEP_2) | instskip(NEXT) | instid1(VALU_DEP_2)
	v_cndmask_b32_e64 v98, 0x80000000, -1, s19
	v_and_b32_e32 v2, s31, v2
	s_delay_alu instid0(VALU_DEP_1) | instskip(SKIP_3) | instid1(VALU_DEP_1)
	v_lshlrev_b32_e32 v2, 2, v2
	ds_load_b32 v2, v2
	s_waitcnt lgkmcnt(0)
	v_add_nc_u32_e32 v19, v2, v34
	v_lshlrev_b64 v[2:3], 2, v[19:20]
	v_xor_b32_e32 v19, v98, v30
	s_delay_alu instid0(VALU_DEP_2) | instskip(NEXT) | instid1(VALU_DEP_1)
	v_add_co_u32 v2, s19, s46, v2
	v_add_co_ci_u32_e64 v3, s19, s47, v3, s19
	global_store_b32 v[2:3], v19, off
	s_or_b32 exec_lo, exec_lo, s20
	v_cmp_lt_u32_e64 s19, v38, v0
	s_delay_alu instid0(VALU_DEP_1)
	s_and_saveexec_b32 s21, s19
	s_cbranch_execnz .LBB1436_445
.LBB1436_452:                           ;   in Loop: Header=BB1436_400 Depth=2
	s_or_b32 exec_lo, exec_lo, s21
	v_cmp_lt_u32_e64 s20, v39, v0
	s_delay_alu instid0(VALU_DEP_1)
	s_and_saveexec_b32 s22, s20
	s_cbranch_execz .LBB1436_446
.LBB1436_453:                           ;   in Loop: Header=BB1436_400 Depth=2
	ds_load_b32 v30, v58 offset:5120
	s_waitcnt lgkmcnt(0)
	v_cmp_ne_u32_e64 s21, 0x7fffffff, v30
	s_delay_alu instid0(VALU_DEP_1) | instskip(SKIP_1) | instid1(VALU_DEP_2)
	v_cndmask_b32_e64 v2, 0x80000000, v30, s21
	v_cmp_lt_i32_e64 s21, -1, v30
	v_lshrrev_b32_e32 v2, s57, v2
	s_delay_alu instid0(VALU_DEP_2) | instskip(NEXT) | instid1(VALU_DEP_2)
	v_cndmask_b32_e64 v98, 0x80000000, -1, s21
	v_and_b32_e32 v2, s31, v2
	s_delay_alu instid0(VALU_DEP_1) | instskip(SKIP_3) | instid1(VALU_DEP_1)
	v_lshlrev_b32_e32 v2, 2, v2
	ds_load_b32 v2, v2
	s_waitcnt lgkmcnt(0)
	v_add_nc_u32_e32 v19, v2, v39
	v_lshlrev_b64 v[2:3], 2, v[19:20]
	v_xor_b32_e32 v19, v98, v30
	s_delay_alu instid0(VALU_DEP_2) | instskip(NEXT) | instid1(VALU_DEP_1)
	v_add_co_u32 v2, s21, s46, v2
	v_add_co_ci_u32_e64 v3, s21, s47, v3, s21
	global_store_b32 v[2:3], v19, off
	s_or_b32 exec_lo, exec_lo, s22
	v_cmp_lt_u32_e64 s21, v40, v0
	s_delay_alu instid0(VALU_DEP_1)
	s_and_saveexec_b32 s23, s21
	s_cbranch_execnz .LBB1436_447
.LBB1436_454:                           ;   in Loop: Header=BB1436_400 Depth=2
	s_or_b32 exec_lo, exec_lo, s23
	v_cmp_lt_u32_e64 s22, v42, v0
	s_delay_alu instid0(VALU_DEP_1)
	s_and_saveexec_b32 s37, s22
	s_cbranch_execz .LBB1436_456
.LBB1436_455:                           ;   in Loop: Header=BB1436_400 Depth=2
	ds_load_b32 v30, v58 offset:7168
	s_waitcnt lgkmcnt(0)
	v_cmp_ne_u32_e64 s23, 0x7fffffff, v30
	s_delay_alu instid0(VALU_DEP_1) | instskip(SKIP_1) | instid1(VALU_DEP_2)
	v_cndmask_b32_e64 v2, 0x80000000, v30, s23
	v_cmp_lt_i32_e64 s23, -1, v30
	v_lshrrev_b32_e32 v2, s57, v2
	s_delay_alu instid0(VALU_DEP_2) | instskip(NEXT) | instid1(VALU_DEP_2)
	v_cndmask_b32_e64 v98, 0x80000000, -1, s23
	v_and_b32_e32 v2, s31, v2
	s_delay_alu instid0(VALU_DEP_1) | instskip(SKIP_3) | instid1(VALU_DEP_1)
	v_lshlrev_b32_e32 v2, 2, v2
	ds_load_b32 v2, v2
	s_waitcnt lgkmcnt(0)
	v_add_nc_u32_e32 v19, v2, v42
	v_lshlrev_b64 v[2:3], 2, v[19:20]
	v_xor_b32_e32 v19, v98, v30
	s_delay_alu instid0(VALU_DEP_2) | instskip(NEXT) | instid1(VALU_DEP_1)
	v_add_co_u32 v2, s23, s46, v2
	v_add_co_ci_u32_e64 v3, s23, s47, v3, s23
	global_store_b32 v[2:3], v19, off
.LBB1436_456:                           ;   in Loop: Header=BB1436_400 Depth=2
	s_or_b32 exec_lo, exec_lo, s37
	s_lshl_b64 s[38:39], s[24:25], 3
	s_delay_alu instid0(SALU_CYCLE_1) | instskip(NEXT) | instid1(VALU_DEP_1)
	v_add_co_u32 v2, s23, v75, s38
	v_add_co_ci_u32_e64 v3, s23, s39, v76, s23
	v_cmp_lt_u32_e64 s23, v74, v0
	s_delay_alu instid0(VALU_DEP_1) | instskip(NEXT) | instid1(SALU_CYCLE_1)
	s_and_saveexec_b32 s24, s23
	s_xor_b32 s23, exec_lo, s24
	s_cbranch_execz .LBB1436_472
; %bb.457:                              ;   in Loop: Header=BB1436_400 Depth=2
	global_load_b64 v[27:28], v[2:3], off
	s_or_b32 exec_lo, exec_lo, s23
	s_delay_alu instid0(SALU_CYCLE_1)
	s_mov_b32 s24, exec_lo
	v_cmpx_lt_u32_e64 v77, v0
	s_cbranch_execnz .LBB1436_473
.LBB1436_458:                           ;   in Loop: Header=BB1436_400 Depth=2
	s_or_b32 exec_lo, exec_lo, s24
	s_delay_alu instid0(SALU_CYCLE_1)
	s_mov_b32 s24, exec_lo
	v_cmpx_lt_u32_e64 v78, v0
	s_cbranch_execz .LBB1436_474
.LBB1436_459:                           ;   in Loop: Header=BB1436_400 Depth=2
	global_load_b64 v[23:24], v[2:3], off offset:512
	s_or_b32 exec_lo, exec_lo, s24
	s_delay_alu instid0(SALU_CYCLE_1)
	s_mov_b32 s24, exec_lo
	v_cmpx_lt_u32_e64 v79, v0
	s_cbranch_execnz .LBB1436_475
.LBB1436_460:                           ;   in Loop: Header=BB1436_400 Depth=2
	s_or_b32 exec_lo, exec_lo, s24
	s_delay_alu instid0(SALU_CYCLE_1)
	s_mov_b32 s24, exec_lo
	v_cmpx_lt_u32_e64 v80, v0
	s_cbranch_execz .LBB1436_476
.LBB1436_461:                           ;   in Loop: Header=BB1436_400 Depth=2
	global_load_b64 v[16:17], v[2:3], off offset:1024
	s_or_b32 exec_lo, exec_lo, s24
	s_delay_alu instid0(SALU_CYCLE_1)
	s_mov_b32 s24, exec_lo
	v_cmpx_lt_u32_e64 v81, v0
	s_cbranch_execnz .LBB1436_477
.LBB1436_462:                           ;   in Loop: Header=BB1436_400 Depth=2
	s_or_b32 exec_lo, exec_lo, s24
	s_delay_alu instid0(SALU_CYCLE_1)
	s_mov_b32 s24, exec_lo
	v_cmpx_lt_u32_e64 v82, v0
	s_cbranch_execz .LBB1436_478
.LBB1436_463:                           ;   in Loop: Header=BB1436_400 Depth=2
	global_load_b64 v[12:13], v[2:3], off offset:1536
	s_or_b32 exec_lo, exec_lo, s24
	s_delay_alu instid0(SALU_CYCLE_1)
	s_mov_b32 s24, exec_lo
	v_cmpx_lt_u32_e64 v83, v0
	s_cbranch_execnz .LBB1436_479
.LBB1436_464:                           ;   in Loop: Header=BB1436_400 Depth=2
	s_or_b32 exec_lo, exec_lo, s24
	s_and_saveexec_b32 s24, vcc_lo
	s_cbranch_execz .LBB1436_480
.LBB1436_465:                           ;   in Loop: Header=BB1436_400 Depth=2
	ds_load_b32 v0, v52 offset:1024
	s_waitcnt lgkmcnt(0)
	v_cmp_ne_u32_e64 s23, 0x7fffffff, v0
	s_delay_alu instid0(VALU_DEP_1) | instskip(NEXT) | instid1(VALU_DEP_1)
	v_cndmask_b32_e64 v0, 0x80000000, v0, s23
	v_lshrrev_b32_e32 v0, s57, v0
	s_delay_alu instid0(VALU_DEP_1)
	v_and_b32_e32 v96, s31, v0
	s_or_b32 exec_lo, exec_lo, s24
	s_and_saveexec_b32 s24, s16
	s_cbranch_execnz .LBB1436_481
.LBB1436_466:                           ;   in Loop: Header=BB1436_400 Depth=2
	s_or_b32 exec_lo, exec_lo, s24
	s_and_saveexec_b32 s24, s17
	s_cbranch_execz .LBB1436_482
.LBB1436_467:                           ;   in Loop: Header=BB1436_400 Depth=2
	ds_load_b32 v0, v58 offset:2048
	s_waitcnt lgkmcnt(0)
	v_cmp_ne_u32_e64 s23, 0x7fffffff, v0
	s_delay_alu instid0(VALU_DEP_1) | instskip(NEXT) | instid1(VALU_DEP_1)
	v_cndmask_b32_e64 v0, 0x80000000, v0, s23
	v_lshrrev_b32_e32 v0, s57, v0
	s_delay_alu instid0(VALU_DEP_1)
	v_and_b32_e32 v94, s31, v0
	s_or_b32 exec_lo, exec_lo, s24
	s_and_saveexec_b32 s24, s18
	s_cbranch_execnz .LBB1436_483
.LBB1436_468:                           ;   in Loop: Header=BB1436_400 Depth=2
	s_or_b32 exec_lo, exec_lo, s24
	s_and_saveexec_b32 s24, s19
	s_cbranch_execz .LBB1436_484
.LBB1436_469:                           ;   in Loop: Header=BB1436_400 Depth=2
	ds_load_b32 v0, v58 offset:4096
	s_waitcnt lgkmcnt(0)
	v_cmp_ne_u32_e64 s23, 0x7fffffff, v0
	s_delay_alu instid0(VALU_DEP_1) | instskip(NEXT) | instid1(VALU_DEP_1)
	v_cndmask_b32_e64 v0, 0x80000000, v0, s23
	v_lshrrev_b32_e32 v0, s57, v0
	s_delay_alu instid0(VALU_DEP_1)
	v_and_b32_e32 v92, s31, v0
	s_or_b32 exec_lo, exec_lo, s24
	s_and_saveexec_b32 s24, s20
	s_cbranch_execnz .LBB1436_485
.LBB1436_470:                           ;   in Loop: Header=BB1436_400 Depth=2
	s_or_b32 exec_lo, exec_lo, s24
	s_and_saveexec_b32 s24, s21
	s_cbranch_execz .LBB1436_486
.LBB1436_471:                           ;   in Loop: Header=BB1436_400 Depth=2
	ds_load_b32 v0, v58 offset:6144
	s_waitcnt lgkmcnt(0)
	v_cmp_ne_u32_e64 s23, 0x7fffffff, v0
	s_delay_alu instid0(VALU_DEP_1) | instskip(NEXT) | instid1(VALU_DEP_1)
	v_cndmask_b32_e64 v0, 0x80000000, v0, s23
	v_lshrrev_b32_e32 v0, s57, v0
	s_delay_alu instid0(VALU_DEP_1)
	v_and_b32_e32 v90, s31, v0
	s_or_b32 exec_lo, exec_lo, s24
	s_and_saveexec_b32 s24, s22
	s_cbranch_execnz .LBB1436_487
	s_branch .LBB1436_488
.LBB1436_472:                           ;   in Loop: Header=BB1436_400 Depth=2
	s_or_b32 exec_lo, exec_lo, s23
	s_delay_alu instid0(SALU_CYCLE_1)
	s_mov_b32 s24, exec_lo
	v_cmpx_lt_u32_e64 v77, v0
	s_cbranch_execz .LBB1436_458
.LBB1436_473:                           ;   in Loop: Header=BB1436_400 Depth=2
	global_load_b64 v[25:26], v[2:3], off offset:256
	s_or_b32 exec_lo, exec_lo, s24
	s_delay_alu instid0(SALU_CYCLE_1)
	s_mov_b32 s24, exec_lo
	v_cmpx_lt_u32_e64 v78, v0
	s_cbranch_execnz .LBB1436_459
.LBB1436_474:                           ;   in Loop: Header=BB1436_400 Depth=2
	s_or_b32 exec_lo, exec_lo, s24
	s_delay_alu instid0(SALU_CYCLE_1)
	s_mov_b32 s24, exec_lo
	v_cmpx_lt_u32_e64 v79, v0
	s_cbranch_execz .LBB1436_460
.LBB1436_475:                           ;   in Loop: Header=BB1436_400 Depth=2
	global_load_b64 v[21:22], v[2:3], off offset:768
	s_or_b32 exec_lo, exec_lo, s24
	s_delay_alu instid0(SALU_CYCLE_1)
	s_mov_b32 s24, exec_lo
	v_cmpx_lt_u32_e64 v80, v0
	s_cbranch_execnz .LBB1436_461
.LBB1436_476:                           ;   in Loop: Header=BB1436_400 Depth=2
	s_or_b32 exec_lo, exec_lo, s24
	s_delay_alu instid0(SALU_CYCLE_1)
	s_mov_b32 s24, exec_lo
	v_cmpx_lt_u32_e64 v81, v0
	s_cbranch_execz .LBB1436_462
.LBB1436_477:                           ;   in Loop: Header=BB1436_400 Depth=2
	global_load_b64 v[14:15], v[2:3], off offset:1280
	s_or_b32 exec_lo, exec_lo, s24
	s_delay_alu instid0(SALU_CYCLE_1)
	s_mov_b32 s24, exec_lo
	v_cmpx_lt_u32_e64 v82, v0
	s_cbranch_execnz .LBB1436_463
.LBB1436_478:                           ;   in Loop: Header=BB1436_400 Depth=2
	s_or_b32 exec_lo, exec_lo, s24
	s_delay_alu instid0(SALU_CYCLE_1)
	s_mov_b32 s24, exec_lo
	v_cmpx_lt_u32_e64 v83, v0
	s_cbranch_execz .LBB1436_464
.LBB1436_479:                           ;   in Loop: Header=BB1436_400 Depth=2
	global_load_b64 v[10:11], v[2:3], off offset:1792
	s_or_b32 exec_lo, exec_lo, s24
	s_and_saveexec_b32 s24, vcc_lo
	s_cbranch_execnz .LBB1436_465
.LBB1436_480:                           ;   in Loop: Header=BB1436_400 Depth=2
	s_or_b32 exec_lo, exec_lo, s24
	s_and_saveexec_b32 s24, s16
	s_cbranch_execz .LBB1436_466
.LBB1436_481:                           ;   in Loop: Header=BB1436_400 Depth=2
	ds_load_b32 v0, v58 offset:1024
	s_waitcnt lgkmcnt(0)
	v_cmp_ne_u32_e64 s23, 0x7fffffff, v0
	s_delay_alu instid0(VALU_DEP_1) | instskip(NEXT) | instid1(VALU_DEP_1)
	v_cndmask_b32_e64 v0, 0x80000000, v0, s23
	v_lshrrev_b32_e32 v0, s57, v0
	s_delay_alu instid0(VALU_DEP_1)
	v_and_b32_e32 v95, s31, v0
	s_or_b32 exec_lo, exec_lo, s24
	s_and_saveexec_b32 s24, s17
	s_cbranch_execnz .LBB1436_467
.LBB1436_482:                           ;   in Loop: Header=BB1436_400 Depth=2
	s_or_b32 exec_lo, exec_lo, s24
	s_and_saveexec_b32 s24, s18
	s_cbranch_execz .LBB1436_468
.LBB1436_483:                           ;   in Loop: Header=BB1436_400 Depth=2
	ds_load_b32 v0, v58 offset:3072
	s_waitcnt lgkmcnt(0)
	v_cmp_ne_u32_e64 s23, 0x7fffffff, v0
	s_delay_alu instid0(VALU_DEP_1) | instskip(NEXT) | instid1(VALU_DEP_1)
	v_cndmask_b32_e64 v0, 0x80000000, v0, s23
	v_lshrrev_b32_e32 v0, s57, v0
	s_delay_alu instid0(VALU_DEP_1)
	v_and_b32_e32 v93, s31, v0
	s_or_b32 exec_lo, exec_lo, s24
	s_and_saveexec_b32 s24, s19
	s_cbranch_execnz .LBB1436_469
.LBB1436_484:                           ;   in Loop: Header=BB1436_400 Depth=2
	s_or_b32 exec_lo, exec_lo, s24
	s_and_saveexec_b32 s24, s20
	s_cbranch_execz .LBB1436_470
.LBB1436_485:                           ;   in Loop: Header=BB1436_400 Depth=2
	ds_load_b32 v0, v58 offset:5120
	s_waitcnt lgkmcnt(0)
	v_cmp_ne_u32_e64 s23, 0x7fffffff, v0
	s_delay_alu instid0(VALU_DEP_1) | instskip(NEXT) | instid1(VALU_DEP_1)
	v_cndmask_b32_e64 v0, 0x80000000, v0, s23
	v_lshrrev_b32_e32 v0, s57, v0
	s_delay_alu instid0(VALU_DEP_1)
	v_and_b32_e32 v91, s31, v0
	s_or_b32 exec_lo, exec_lo, s24
	s_and_saveexec_b32 s24, s21
	s_cbranch_execnz .LBB1436_471
.LBB1436_486:                           ;   in Loop: Header=BB1436_400 Depth=2
	s_or_b32 exec_lo, exec_lo, s24
	s_and_saveexec_b32 s24, s22
	s_cbranch_execz .LBB1436_488
.LBB1436_487:                           ;   in Loop: Header=BB1436_400 Depth=2
	ds_load_b32 v0, v58 offset:7168
	s_waitcnt lgkmcnt(0)
	v_cmp_ne_u32_e64 s23, 0x7fffffff, v0
	s_delay_alu instid0(VALU_DEP_1) | instskip(NEXT) | instid1(VALU_DEP_1)
	v_cndmask_b32_e64 v0, 0x80000000, v0, s23
	v_lshrrev_b32_e32 v0, s57, v0
	s_delay_alu instid0(VALU_DEP_1)
	v_and_b32_e32 v89, s31, v0
.LBB1436_488:                           ;   in Loop: Header=BB1436_400 Depth=2
	s_or_b32 exec_lo, exec_lo, s24
	v_lshlrev_b32_e32 v0, 3, v101
	v_lshlrev_b32_e32 v2, 3, v97
	;; [unrolled: 1-line block ×3, first 2 shown]
	s_waitcnt vmcnt(0)
	s_waitcnt_vscnt null, 0x0
	s_barrier
	buffer_gl0_inv
	ds_store_b64 v0, v[27:28] offset:1024
	ds_store_b64 v2, v[25:26] offset:1024
	;; [unrolled: 1-line block ×3, first 2 shown]
	v_lshlrev_b32_e32 v0, 3, v7
	v_lshlrev_b32_e32 v2, 3, v6
	v_lshlrev_b32_e32 v3, 3, v5
	v_lshlrev_b32_e32 v5, 3, v8
	v_lshlrev_b32_e32 v6, 3, v9
	ds_store_b64 v0, v[21:22] offset:1024
	ds_store_b64 v2, v[16:17] offset:1024
	;; [unrolled: 1-line block ×5, first 2 shown]
	s_waitcnt lgkmcnt(0)
	s_barrier
	buffer_gl0_inv
	s_and_saveexec_b32 s23, vcc_lo
	s_cbranch_execz .LBB1436_496
; %bb.489:                              ;   in Loop: Header=BB1436_400 Depth=2
	v_lshlrev_b32_e32 v0, 2, v96
	v_add_nc_u32_e32 v2, v52, v31
	ds_load_b32 v0, v0
	ds_load_b64 v[2:3], v2 offset:1024
	s_waitcnt lgkmcnt(1)
	v_add_nc_u32_e32 v19, v0, v18
	s_delay_alu instid0(VALU_DEP_1) | instskip(NEXT) | instid1(VALU_DEP_1)
	v_lshlrev_b64 v[5:6], 3, v[19:20]
	v_add_co_u32 v5, vcc_lo, s52, v5
	s_delay_alu instid0(VALU_DEP_2)
	v_add_co_ci_u32_e32 v6, vcc_lo, s53, v6, vcc_lo
	s_waitcnt lgkmcnt(0)
	global_store_b64 v[5:6], v[2:3], off
	s_or_b32 exec_lo, exec_lo, s23
	s_and_saveexec_b32 s23, s16
	s_cbranch_execnz .LBB1436_497
.LBB1436_490:                           ;   in Loop: Header=BB1436_400 Depth=2
	s_or_b32 exec_lo, exec_lo, s23
	s_and_saveexec_b32 s16, s17
	s_cbranch_execz .LBB1436_498
.LBB1436_491:                           ;   in Loop: Header=BB1436_400 Depth=2
	v_lshlrev_b32_e32 v0, 2, v94
	v_add_nc_u32_e32 v2, v58, v31
	ds_load_b32 v0, v0
	ds_load_b64 v[2:3], v2 offset:4096
	s_waitcnt lgkmcnt(1)
	v_add_nc_u32_e32 v19, v0, v33
	s_delay_alu instid0(VALU_DEP_1) | instskip(NEXT) | instid1(VALU_DEP_1)
	v_lshlrev_b64 v[5:6], 3, v[19:20]
	v_add_co_u32 v5, vcc_lo, s52, v5
	s_delay_alu instid0(VALU_DEP_2)
	v_add_co_ci_u32_e32 v6, vcc_lo, s53, v6, vcc_lo
	s_waitcnt lgkmcnt(0)
	global_store_b64 v[5:6], v[2:3], off
	s_or_b32 exec_lo, exec_lo, s16
	s_and_saveexec_b32 s16, s18
	s_cbranch_execnz .LBB1436_499
.LBB1436_492:                           ;   in Loop: Header=BB1436_400 Depth=2
	s_or_b32 exec_lo, exec_lo, s16
	s_and_saveexec_b32 s16, s19
	s_cbranch_execz .LBB1436_500
.LBB1436_493:                           ;   in Loop: Header=BB1436_400 Depth=2
	v_lshlrev_b32_e32 v0, 2, v92
	v_add_nc_u32_e32 v2, v58, v31
	ds_load_b32 v0, v0
	ds_load_b64 v[2:3], v2 offset:8192
	s_waitcnt lgkmcnt(1)
	v_add_nc_u32_e32 v19, v0, v38
	s_delay_alu instid0(VALU_DEP_1) | instskip(NEXT) | instid1(VALU_DEP_1)
	v_lshlrev_b64 v[5:6], 3, v[19:20]
	v_add_co_u32 v5, vcc_lo, s52, v5
	s_delay_alu instid0(VALU_DEP_2)
	v_add_co_ci_u32_e32 v6, vcc_lo, s53, v6, vcc_lo
	s_waitcnt lgkmcnt(0)
	global_store_b64 v[5:6], v[2:3], off
	s_or_b32 exec_lo, exec_lo, s16
	s_and_saveexec_b32 s16, s20
	s_cbranch_execnz .LBB1436_501
.LBB1436_494:                           ;   in Loop: Header=BB1436_400 Depth=2
	s_or_b32 exec_lo, exec_lo, s16
	s_and_saveexec_b32 s16, s21
	s_cbranch_execz .LBB1436_502
.LBB1436_495:                           ;   in Loop: Header=BB1436_400 Depth=2
	v_lshlrev_b32_e32 v0, 2, v90
	v_add_nc_u32_e32 v2, v58, v31
	ds_load_b32 v0, v0
	ds_load_b64 v[2:3], v2 offset:12288
	s_waitcnt lgkmcnt(1)
	v_add_nc_u32_e32 v19, v0, v40
	s_delay_alu instid0(VALU_DEP_1) | instskip(NEXT) | instid1(VALU_DEP_1)
	v_lshlrev_b64 v[5:6], 3, v[19:20]
	v_add_co_u32 v5, vcc_lo, s52, v5
	s_delay_alu instid0(VALU_DEP_2)
	v_add_co_ci_u32_e32 v6, vcc_lo, s53, v6, vcc_lo
	s_waitcnt lgkmcnt(0)
	global_store_b64 v[5:6], v[2:3], off
	s_or_b32 exec_lo, exec_lo, s16
	s_and_saveexec_b32 s16, s22
	s_cbranch_execnz .LBB1436_503
	s_branch .LBB1436_504
.LBB1436_496:                           ;   in Loop: Header=BB1436_400 Depth=2
	s_or_b32 exec_lo, exec_lo, s23
	s_and_saveexec_b32 s23, s16
	s_cbranch_execz .LBB1436_490
.LBB1436_497:                           ;   in Loop: Header=BB1436_400 Depth=2
	v_lshlrev_b32_e32 v0, 2, v95
	v_add_nc_u32_e32 v2, v58, v31
	ds_load_b32 v0, v0
	ds_load_b64 v[2:3], v2 offset:2048
	s_waitcnt lgkmcnt(1)
	v_add_nc_u32_e32 v19, v0, v32
	s_delay_alu instid0(VALU_DEP_1) | instskip(NEXT) | instid1(VALU_DEP_1)
	v_lshlrev_b64 v[5:6], 3, v[19:20]
	v_add_co_u32 v5, vcc_lo, s52, v5
	s_delay_alu instid0(VALU_DEP_2)
	v_add_co_ci_u32_e32 v6, vcc_lo, s53, v6, vcc_lo
	s_waitcnt lgkmcnt(0)
	global_store_b64 v[5:6], v[2:3], off
	s_or_b32 exec_lo, exec_lo, s23
	s_and_saveexec_b32 s16, s17
	s_cbranch_execnz .LBB1436_491
.LBB1436_498:                           ;   in Loop: Header=BB1436_400 Depth=2
	s_or_b32 exec_lo, exec_lo, s16
	s_and_saveexec_b32 s16, s18
	s_cbranch_execz .LBB1436_492
.LBB1436_499:                           ;   in Loop: Header=BB1436_400 Depth=2
	v_lshlrev_b32_e32 v0, 2, v93
	v_add_nc_u32_e32 v2, v58, v31
	ds_load_b32 v0, v0
	ds_load_b64 v[2:3], v2 offset:6144
	s_waitcnt lgkmcnt(1)
	v_add_nc_u32_e32 v19, v0, v34
	s_delay_alu instid0(VALU_DEP_1) | instskip(NEXT) | instid1(VALU_DEP_1)
	v_lshlrev_b64 v[5:6], 3, v[19:20]
	v_add_co_u32 v5, vcc_lo, s52, v5
	s_delay_alu instid0(VALU_DEP_2)
	v_add_co_ci_u32_e32 v6, vcc_lo, s53, v6, vcc_lo
	s_waitcnt lgkmcnt(0)
	global_store_b64 v[5:6], v[2:3], off
	s_or_b32 exec_lo, exec_lo, s16
	s_and_saveexec_b32 s16, s19
	s_cbranch_execnz .LBB1436_493
.LBB1436_500:                           ;   in Loop: Header=BB1436_400 Depth=2
	s_or_b32 exec_lo, exec_lo, s16
	s_and_saveexec_b32 s16, s20
	s_cbranch_execz .LBB1436_494
.LBB1436_501:                           ;   in Loop: Header=BB1436_400 Depth=2
	v_lshlrev_b32_e32 v0, 2, v91
	v_add_nc_u32_e32 v2, v58, v31
	ds_load_b32 v0, v0
	ds_load_b64 v[2:3], v2 offset:10240
	s_waitcnt lgkmcnt(1)
	v_add_nc_u32_e32 v19, v0, v39
	s_delay_alu instid0(VALU_DEP_1) | instskip(NEXT) | instid1(VALU_DEP_1)
	v_lshlrev_b64 v[5:6], 3, v[19:20]
	v_add_co_u32 v5, vcc_lo, s52, v5
	s_delay_alu instid0(VALU_DEP_2)
	v_add_co_ci_u32_e32 v6, vcc_lo, s53, v6, vcc_lo
	s_waitcnt lgkmcnt(0)
	global_store_b64 v[5:6], v[2:3], off
	s_or_b32 exec_lo, exec_lo, s16
	s_and_saveexec_b32 s16, s21
	s_cbranch_execnz .LBB1436_495
.LBB1436_502:                           ;   in Loop: Header=BB1436_400 Depth=2
	s_or_b32 exec_lo, exec_lo, s16
	s_and_saveexec_b32 s16, s22
	s_cbranch_execz .LBB1436_504
.LBB1436_503:                           ;   in Loop: Header=BB1436_400 Depth=2
	v_lshlrev_b32_e32 v0, 2, v89
	v_add_nc_u32_e32 v2, v58, v31
	ds_load_b32 v0, v0
	ds_load_b64 v[2:3], v2 offset:14336
	s_waitcnt lgkmcnt(1)
	v_add_nc_u32_e32 v19, v0, v42
	s_delay_alu instid0(VALU_DEP_1) | instskip(NEXT) | instid1(VALU_DEP_1)
	v_lshlrev_b64 v[5:6], 3, v[19:20]
	v_add_co_u32 v5, vcc_lo, s52, v5
	s_delay_alu instid0(VALU_DEP_2)
	v_add_co_ci_u32_e32 v6, vcc_lo, s53, v6, vcc_lo
	s_waitcnt lgkmcnt(0)
	global_store_b64 v[5:6], v[2:3], off
.LBB1436_504:                           ;   in Loop: Header=BB1436_400 Depth=2
	s_or_b32 exec_lo, exec_lo, s16
	s_waitcnt_vscnt null, 0x0
	s_barrier
	buffer_gl0_inv
	s_and_saveexec_b32 s16, s2
	s_cbranch_execz .LBB1436_399
; %bb.505:                              ;   in Loop: Header=BB1436_400 Depth=2
	ds_load_b32 v0, v31
	s_waitcnt lgkmcnt(0)
	v_add_nc_u32_e32 v0, v0, v4
	ds_store_b32 v31, v0
	s_branch .LBB1436_399
.LBB1436_506:                           ;   in Loop: Header=BB1436_400 Depth=2
	s_or_b32 exec_lo, exec_lo, s16
	s_delay_alu instid0(SALU_CYCLE_1)
	s_mov_b32 s16, exec_lo
	v_cmpx_gt_u32_e64 s50, v77
	s_cbranch_execz .LBB1436_405
.LBB1436_507:                           ;   in Loop: Header=BB1436_400 Depth=2
	global_load_b32 v3, v[29:30], off offset:128
	s_or_b32 exec_lo, exec_lo, s16
	s_delay_alu instid0(SALU_CYCLE_1)
	s_mov_b32 s16, exec_lo
	v_cmpx_gt_u32_e64 s50, v78
	s_cbranch_execnz .LBB1436_406
.LBB1436_508:                           ;   in Loop: Header=BB1436_400 Depth=2
	s_or_b32 exec_lo, exec_lo, s16
	s_delay_alu instid0(SALU_CYCLE_1)
	s_mov_b32 s16, exec_lo
	v_cmpx_gt_u32_e64 s50, v79
	s_cbranch_execz .LBB1436_407
.LBB1436_509:                           ;   in Loop: Header=BB1436_400 Depth=2
	global_load_b32 v5, v[29:30], off offset:384
	s_or_b32 exec_lo, exec_lo, s16
	s_delay_alu instid0(SALU_CYCLE_1)
	s_mov_b32 s16, exec_lo
	v_cmpx_gt_u32_e64 s50, v80
	s_cbranch_execnz .LBB1436_408
.LBB1436_510:                           ;   in Loop: Header=BB1436_400 Depth=2
	s_or_b32 exec_lo, exec_lo, s16
	s_delay_alu instid0(SALU_CYCLE_1)
	s_mov_b32 s16, exec_lo
	v_cmpx_gt_u32_e64 s50, v81
	s_cbranch_execz .LBB1436_409
.LBB1436_511:                           ;   in Loop: Header=BB1436_400 Depth=2
	global_load_b32 v7, v[29:30], off offset:640
	s_or_b32 exec_lo, exec_lo, s16
	s_delay_alu instid0(SALU_CYCLE_1)
	s_mov_b32 s16, exec_lo
	v_cmpx_gt_u32_e64 s50, v82
	s_cbranch_execnz .LBB1436_410
	s_branch .LBB1436_411
.LBB1436_512:                           ;   in Loop: Header=BB1436_12 Depth=1
	s_waitcnt lgkmcnt(0)
	s_mov_b32 s1, 0
	s_barrier
.LBB1436_513:                           ;   in Loop: Header=BB1436_12 Depth=1
	s_and_b32 vcc_lo, exec_lo, s1
	s_cbranch_vccz .LBB1436_11
; %bb.514:                              ;   in Loop: Header=BB1436_12 Depth=1
	s_mov_b32 s1, s35
	s_mov_b32 s24, s27
	s_barrier
	buffer_gl0_inv
                                        ; implicit-def: $vgpr2_vgpr3_vgpr4_vgpr5_vgpr6_vgpr7_vgpr8_vgpr9
	s_branch .LBB1436_516
.LBB1436_515:                           ;   in Loop: Header=BB1436_516 Depth=2
	s_or_b32 exec_lo, exec_lo, s8
	s_addk_i32 s1, 0xf800
	s_cmp_ge_u32 s7, s33
	s_mov_b32 s24, s7
	s_cbranch_scc1 .LBB1436_554
.LBB1436_516:                           ;   Parent Loop BB1436_12 Depth=1
                                        ; =>  This Inner Loop Header: Depth=2
	s_add_i32 s7, s24, 0x800
	s_delay_alu instid0(SALU_CYCLE_1)
	s_cmp_gt_u32 s7, s33
	s_cbranch_scc1 .LBB1436_519
; %bb.517:                              ;   in Loop: Header=BB1436_516 Depth=2
	s_mov_b32 s9, 0
	s_mov_b32 s8, s24
	s_delay_alu instid0(SALU_CYCLE_1) | instskip(NEXT) | instid1(SALU_CYCLE_1)
	s_lshl_b64 s[10:11], s[8:9], 2
	v_add_co_u32 v21, vcc_lo, v65, s10
	v_add_co_ci_u32_e32 v22, vcc_lo, s11, v66, vcc_lo
	s_mov_b32 s10, -1
	s_waitcnt vmcnt(0)
	s_delay_alu instid0(VALU_DEP_2) | instskip(NEXT) | instid1(VALU_DEP_2)
	v_add_co_u32 v16, vcc_lo, 0x1000, v21
	v_add_co_ci_u32_e32 v17, vcc_lo, 0, v22, vcc_lo
	s_clause 0x6
	global_load_b32 v10, v[21:22], off
	global_load_b32 v11, v[21:22], off offset:1024
	global_load_b32 v12, v[21:22], off offset:2048
	;; [unrolled: 1-line block ×3, first 2 shown]
	global_load_b32 v14, v[16:17], off
	global_load_b32 v15, v[16:17], off offset:1024
	global_load_b32 v16, v[16:17], off offset:2048
	v_add_co_u32 v21, vcc_lo, 0x1c00, v21
	v_add_co_ci_u32_e32 v22, vcc_lo, 0, v22, vcc_lo
	s_movk_i32 s11, 0x800
	s_cbranch_execz .LBB1436_520
; %bb.518:                              ;   in Loop: Header=BB1436_516 Depth=2
                                        ; implicit-def: $vgpr2_vgpr3_vgpr4_vgpr5_vgpr6_vgpr7_vgpr8_vgpr9
	v_mov_b32_e32 v0, s1
	s_and_saveexec_b32 s8, s10
	s_cbranch_execnz .LBB1436_531
	s_branch .LBB1436_532
.LBB1436_519:                           ;   in Loop: Header=BB1436_516 Depth=2
	s_mov_b32 s10, 0
                                        ; implicit-def: $sgpr11
                                        ; implicit-def: $vgpr10_vgpr11_vgpr12_vgpr13_vgpr14_vgpr15_vgpr16_vgpr17
                                        ; implicit-def: $vgpr21_vgpr22
.LBB1436_520:                           ;   in Loop: Header=BB1436_516 Depth=2
	s_lshl_b64 s[8:9], s[24:25], 2
	v_lshlrev_b32_e32 v0, 2, v18
	s_add_u32 s8, s44, s8
	s_addc_u32 s9, s45, s9
	s_mov_b32 s11, exec_lo
	v_cmpx_gt_u32_e64 s1, v18
	s_cbranch_execz .LBB1436_548
; %bb.521:                              ;   in Loop: Header=BB1436_516 Depth=2
	global_load_b32 v2, v0, s[8:9]
	s_or_b32 exec_lo, exec_lo, s11
	s_delay_alu instid0(SALU_CYCLE_1)
	s_mov_b32 s11, exec_lo
	v_cmpx_gt_u32_e64 s1, v32
	s_cbranch_execnz .LBB1436_549
.LBB1436_522:                           ;   in Loop: Header=BB1436_516 Depth=2
	s_or_b32 exec_lo, exec_lo, s11
	s_delay_alu instid0(SALU_CYCLE_1)
	s_mov_b32 s11, exec_lo
	v_cmpx_gt_u32_e64 s1, v33
	s_cbranch_execz .LBB1436_550
.LBB1436_523:                           ;   in Loop: Header=BB1436_516 Depth=2
	global_load_b32 v4, v0, s[8:9] offset:2048
	s_or_b32 exec_lo, exec_lo, s11
	s_delay_alu instid0(SALU_CYCLE_1)
	s_mov_b32 s11, exec_lo
	v_cmpx_gt_u32_e64 s1, v34
	s_cbranch_execnz .LBB1436_551
.LBB1436_524:                           ;   in Loop: Header=BB1436_516 Depth=2
	s_or_b32 exec_lo, exec_lo, s11
	s_delay_alu instid0(SALU_CYCLE_1)
	s_mov_b32 s11, exec_lo
	v_cmpx_gt_u32_e64 s1, v38
	s_cbranch_execz .LBB1436_552
.LBB1436_525:                           ;   in Loop: Header=BB1436_516 Depth=2
	v_lshlrev_b32_e32 v0, 2, v38
	global_load_b32 v6, v0, s[8:9]
	s_or_b32 exec_lo, exec_lo, s11
	s_delay_alu instid0(SALU_CYCLE_1)
	s_mov_b32 s11, exec_lo
	v_cmpx_gt_u32_e64 s1, v39
	s_cbranch_execnz .LBB1436_553
.LBB1436_526:                           ;   in Loop: Header=BB1436_516 Depth=2
	s_or_b32 exec_lo, exec_lo, s11
	s_delay_alu instid0(SALU_CYCLE_1)
	s_mov_b32 s11, exec_lo
	v_cmpx_gt_u32_e64 s1, v40
	s_cbranch_execz .LBB1436_528
.LBB1436_527:                           ;   in Loop: Header=BB1436_516 Depth=2
	v_lshlrev_b32_e32 v0, 2, v40
	global_load_b32 v8, v0, s[8:9]
.LBB1436_528:                           ;   in Loop: Header=BB1436_516 Depth=2
	s_or_b32 exec_lo, exec_lo, s11
	s_delay_alu instid0(SALU_CYCLE_1)
	s_mov_b32 s12, exec_lo
                                        ; implicit-def: $sgpr11
                                        ; implicit-def: $vgpr21_vgpr22
	v_cmpx_gt_u32_e64 s1, v42
; %bb.529:                              ;   in Loop: Header=BB1436_516 Depth=2
	v_lshlrev_b32_e32 v0, 2, v42
	s_sub_i32 s11, s33, s24
	s_or_b32 s10, s10, exec_lo
	s_delay_alu instid0(VALU_DEP_1) | instskip(NEXT) | instid1(VALU_DEP_1)
	v_add_co_u32 v21, s8, s8, v0
	v_add_co_ci_u32_e64 v22, null, s9, 0, s8
; %bb.530:                              ;   in Loop: Header=BB1436_516 Depth=2
	s_or_b32 exec_lo, exec_lo, s12
	s_waitcnt vmcnt(0)
	v_dual_mov_b32 v17, v9 :: v_dual_mov_b32 v16, v8
	v_dual_mov_b32 v15, v7 :: v_dual_mov_b32 v14, v6
	;; [unrolled: 1-line block ×4, first 2 shown]
	v_mov_b32_e32 v0, s1
	s_and_saveexec_b32 s8, s10
	s_cbranch_execz .LBB1436_532
.LBB1436_531:                           ;   in Loop: Header=BB1436_516 Depth=2
	global_load_b32 v17, v[21:22], off
	s_waitcnt vmcnt(0)
	v_dual_mov_b32 v2, v10 :: v_dual_mov_b32 v5, v13
	v_dual_mov_b32 v0, s11 :: v_dual_mov_b32 v3, v11
	;; [unrolled: 1-line block ×3, first 2 shown]
	v_mov_b32_e32 v6, v14
	v_dual_mov_b32 v8, v16 :: v_dual_mov_b32 v9, v17
.LBB1436_532:                           ;   in Loop: Header=BB1436_516 Depth=2
	s_or_b32 exec_lo, exec_lo, s8
	s_waitcnt vmcnt(6)
	v_lshlrev_b32_e32 v10, 2, v35
	s_mov_b32 s8, exec_lo
	v_cmpx_lt_u32_e64 v18, v0
	s_cbranch_execz .LBB1436_540
; %bb.533:                              ;   in Loop: Header=BB1436_516 Depth=2
	v_cmp_lt_i32_e32 vcc_lo, -1, v2
	s_waitcnt vmcnt(5)
	v_cndmask_b32_e64 v11, -1, 0x80000000, vcc_lo
	s_delay_alu instid0(VALU_DEP_1) | instskip(NEXT) | instid1(VALU_DEP_1)
	v_xor_b32_e32 v11, v11, v2
	v_cmp_ne_u32_e32 vcc_lo, 0x7fffffff, v11
	v_cndmask_b32_e32 v11, 0x80000000, v11, vcc_lo
	s_delay_alu instid0(VALU_DEP_1) | instskip(NEXT) | instid1(VALU_DEP_1)
	v_lshrrev_b32_e32 v11, s57, v11
	v_and_b32_e32 v11, s31, v11
	s_delay_alu instid0(VALU_DEP_1) | instskip(SKIP_2) | instid1(SALU_CYCLE_1)
	v_lshl_or_b32 v11, v11, 4, v10
	ds_add_u32 v11, v71
	s_or_b32 exec_lo, exec_lo, s8
	s_mov_b32 s8, exec_lo
	v_cmpx_lt_u32_e64 v32, v0
	s_cbranch_execnz .LBB1436_541
.LBB1436_534:                           ;   in Loop: Header=BB1436_516 Depth=2
	s_or_b32 exec_lo, exec_lo, s8
	s_delay_alu instid0(SALU_CYCLE_1)
	s_mov_b32 s8, exec_lo
	v_cmpx_lt_u32_e64 v33, v0
	s_cbranch_execz .LBB1436_542
.LBB1436_535:                           ;   in Loop: Header=BB1436_516 Depth=2
	v_cmp_lt_i32_e32 vcc_lo, -1, v4
	s_waitcnt vmcnt(5)
	v_cndmask_b32_e64 v11, -1, 0x80000000, vcc_lo
	s_delay_alu instid0(VALU_DEP_1) | instskip(NEXT) | instid1(VALU_DEP_1)
	v_xor_b32_e32 v11, v11, v4
	v_cmp_ne_u32_e32 vcc_lo, 0x7fffffff, v11
	v_cndmask_b32_e32 v11, 0x80000000, v11, vcc_lo
	s_delay_alu instid0(VALU_DEP_1) | instskip(NEXT) | instid1(VALU_DEP_1)
	v_lshrrev_b32_e32 v11, s57, v11
	v_and_b32_e32 v11, s31, v11
	s_delay_alu instid0(VALU_DEP_1) | instskip(SKIP_2) | instid1(SALU_CYCLE_1)
	v_lshl_or_b32 v11, v11, 4, v10
	ds_add_u32 v11, v71
	s_or_b32 exec_lo, exec_lo, s8
	s_mov_b32 s8, exec_lo
	v_cmpx_lt_u32_e64 v34, v0
	s_cbranch_execnz .LBB1436_543
.LBB1436_536:                           ;   in Loop: Header=BB1436_516 Depth=2
	s_or_b32 exec_lo, exec_lo, s8
	s_delay_alu instid0(SALU_CYCLE_1)
	s_mov_b32 s8, exec_lo
	v_cmpx_lt_u32_e64 v38, v0
	s_cbranch_execz .LBB1436_544
.LBB1436_537:                           ;   in Loop: Header=BB1436_516 Depth=2
	v_cmp_lt_i32_e32 vcc_lo, -1, v6
	s_waitcnt vmcnt(5)
	v_cndmask_b32_e64 v11, -1, 0x80000000, vcc_lo
	s_delay_alu instid0(VALU_DEP_1) | instskip(NEXT) | instid1(VALU_DEP_1)
	v_xor_b32_e32 v11, v11, v6
	v_cmp_ne_u32_e32 vcc_lo, 0x7fffffff, v11
	v_cndmask_b32_e32 v11, 0x80000000, v11, vcc_lo
	s_delay_alu instid0(VALU_DEP_1) | instskip(NEXT) | instid1(VALU_DEP_1)
	v_lshrrev_b32_e32 v11, s57, v11
	v_and_b32_e32 v11, s31, v11
	s_delay_alu instid0(VALU_DEP_1) | instskip(SKIP_2) | instid1(SALU_CYCLE_1)
	v_lshl_or_b32 v11, v11, 4, v10
	ds_add_u32 v11, v71
	s_or_b32 exec_lo, exec_lo, s8
	s_mov_b32 s8, exec_lo
	v_cmpx_lt_u32_e64 v39, v0
	s_cbranch_execnz .LBB1436_545
.LBB1436_538:                           ;   in Loop: Header=BB1436_516 Depth=2
	s_or_b32 exec_lo, exec_lo, s8
	s_delay_alu instid0(SALU_CYCLE_1)
	s_mov_b32 s8, exec_lo
	v_cmpx_lt_u32_e64 v40, v0
	s_cbranch_execz .LBB1436_546
.LBB1436_539:                           ;   in Loop: Header=BB1436_516 Depth=2
	v_cmp_lt_i32_e32 vcc_lo, -1, v8
	s_waitcnt vmcnt(5)
	v_cndmask_b32_e64 v11, -1, 0x80000000, vcc_lo
	s_delay_alu instid0(VALU_DEP_1) | instskip(NEXT) | instid1(VALU_DEP_1)
	v_xor_b32_e32 v11, v11, v8
	v_cmp_ne_u32_e32 vcc_lo, 0x7fffffff, v11
	v_cndmask_b32_e32 v11, 0x80000000, v11, vcc_lo
	s_delay_alu instid0(VALU_DEP_1) | instskip(NEXT) | instid1(VALU_DEP_1)
	v_lshrrev_b32_e32 v11, s57, v11
	v_and_b32_e32 v11, s31, v11
	s_delay_alu instid0(VALU_DEP_1) | instskip(SKIP_2) | instid1(SALU_CYCLE_1)
	v_lshl_or_b32 v11, v11, 4, v10
	ds_add_u32 v11, v71
	s_or_b32 exec_lo, exec_lo, s8
	s_mov_b32 s8, exec_lo
	v_cmpx_lt_u32_e64 v42, v0
	s_cbranch_execz .LBB1436_515
	s_branch .LBB1436_547
.LBB1436_540:                           ;   in Loop: Header=BB1436_516 Depth=2
	s_or_b32 exec_lo, exec_lo, s8
	s_delay_alu instid0(SALU_CYCLE_1)
	s_mov_b32 s8, exec_lo
	v_cmpx_lt_u32_e64 v32, v0
	s_cbranch_execz .LBB1436_534
.LBB1436_541:                           ;   in Loop: Header=BB1436_516 Depth=2
	v_cmp_lt_i32_e32 vcc_lo, -1, v3
	s_waitcnt vmcnt(5)
	v_cndmask_b32_e64 v11, -1, 0x80000000, vcc_lo
	s_delay_alu instid0(VALU_DEP_1) | instskip(NEXT) | instid1(VALU_DEP_1)
	v_xor_b32_e32 v11, v11, v3
	v_cmp_ne_u32_e32 vcc_lo, 0x7fffffff, v11
	v_cndmask_b32_e32 v11, 0x80000000, v11, vcc_lo
	s_delay_alu instid0(VALU_DEP_1) | instskip(NEXT) | instid1(VALU_DEP_1)
	v_lshrrev_b32_e32 v11, s57, v11
	v_and_b32_e32 v11, s31, v11
	s_delay_alu instid0(VALU_DEP_1) | instskip(SKIP_2) | instid1(SALU_CYCLE_1)
	v_lshl_or_b32 v11, v11, 4, v10
	ds_add_u32 v11, v71
	s_or_b32 exec_lo, exec_lo, s8
	s_mov_b32 s8, exec_lo
	v_cmpx_lt_u32_e64 v33, v0
	s_cbranch_execnz .LBB1436_535
.LBB1436_542:                           ;   in Loop: Header=BB1436_516 Depth=2
	s_or_b32 exec_lo, exec_lo, s8
	s_delay_alu instid0(SALU_CYCLE_1)
	s_mov_b32 s8, exec_lo
	v_cmpx_lt_u32_e64 v34, v0
	s_cbranch_execz .LBB1436_536
.LBB1436_543:                           ;   in Loop: Header=BB1436_516 Depth=2
	v_cmp_lt_i32_e32 vcc_lo, -1, v5
	s_waitcnt vmcnt(5)
	v_cndmask_b32_e64 v11, -1, 0x80000000, vcc_lo
	s_delay_alu instid0(VALU_DEP_1) | instskip(NEXT) | instid1(VALU_DEP_1)
	v_xor_b32_e32 v11, v11, v5
	v_cmp_ne_u32_e32 vcc_lo, 0x7fffffff, v11
	v_cndmask_b32_e32 v11, 0x80000000, v11, vcc_lo
	s_delay_alu instid0(VALU_DEP_1) | instskip(NEXT) | instid1(VALU_DEP_1)
	v_lshrrev_b32_e32 v11, s57, v11
	v_and_b32_e32 v11, s31, v11
	s_delay_alu instid0(VALU_DEP_1) | instskip(SKIP_2) | instid1(SALU_CYCLE_1)
	v_lshl_or_b32 v11, v11, 4, v10
	ds_add_u32 v11, v71
	s_or_b32 exec_lo, exec_lo, s8
	s_mov_b32 s8, exec_lo
	v_cmpx_lt_u32_e64 v38, v0
	s_cbranch_execnz .LBB1436_537
.LBB1436_544:                           ;   in Loop: Header=BB1436_516 Depth=2
	s_or_b32 exec_lo, exec_lo, s8
	s_delay_alu instid0(SALU_CYCLE_1)
	s_mov_b32 s8, exec_lo
	v_cmpx_lt_u32_e64 v39, v0
	s_cbranch_execz .LBB1436_538
.LBB1436_545:                           ;   in Loop: Header=BB1436_516 Depth=2
	v_cmp_lt_i32_e32 vcc_lo, -1, v7
	s_waitcnt vmcnt(5)
	v_cndmask_b32_e64 v11, -1, 0x80000000, vcc_lo
	s_delay_alu instid0(VALU_DEP_1) | instskip(NEXT) | instid1(VALU_DEP_1)
	v_xor_b32_e32 v11, v11, v7
	v_cmp_ne_u32_e32 vcc_lo, 0x7fffffff, v11
	v_cndmask_b32_e32 v11, 0x80000000, v11, vcc_lo
	s_delay_alu instid0(VALU_DEP_1) | instskip(NEXT) | instid1(VALU_DEP_1)
	v_lshrrev_b32_e32 v11, s57, v11
	v_and_b32_e32 v11, s31, v11
	s_delay_alu instid0(VALU_DEP_1) | instskip(SKIP_2) | instid1(SALU_CYCLE_1)
	v_lshl_or_b32 v11, v11, 4, v10
	ds_add_u32 v11, v71
	s_or_b32 exec_lo, exec_lo, s8
	s_mov_b32 s8, exec_lo
	v_cmpx_lt_u32_e64 v40, v0
	s_cbranch_execnz .LBB1436_539
.LBB1436_546:                           ;   in Loop: Header=BB1436_516 Depth=2
	s_or_b32 exec_lo, exec_lo, s8
	s_delay_alu instid0(SALU_CYCLE_1)
	s_mov_b32 s8, exec_lo
	v_cmpx_lt_u32_e64 v42, v0
	s_cbranch_execz .LBB1436_515
.LBB1436_547:                           ;   in Loop: Header=BB1436_516 Depth=2
	v_cmp_lt_i32_e32 vcc_lo, -1, v9
	v_cndmask_b32_e64 v0, -1, 0x80000000, vcc_lo
	s_delay_alu instid0(VALU_DEP_1) | instskip(NEXT) | instid1(VALU_DEP_1)
	v_xor_b32_e32 v0, v0, v9
	v_cmp_ne_u32_e32 vcc_lo, 0x7fffffff, v0
	v_cndmask_b32_e32 v0, 0x80000000, v0, vcc_lo
	s_delay_alu instid0(VALU_DEP_1) | instskip(NEXT) | instid1(VALU_DEP_1)
	v_lshrrev_b32_e32 v0, s57, v0
	v_and_b32_e32 v0, s31, v0
	s_delay_alu instid0(VALU_DEP_1)
	v_lshl_or_b32 v0, v0, 4, v10
	ds_add_u32 v0, v71
	s_branch .LBB1436_515
.LBB1436_548:                           ;   in Loop: Header=BB1436_516 Depth=2
	s_or_b32 exec_lo, exec_lo, s11
	s_delay_alu instid0(SALU_CYCLE_1)
	s_mov_b32 s11, exec_lo
	v_cmpx_gt_u32_e64 s1, v32
	s_cbranch_execz .LBB1436_522
.LBB1436_549:                           ;   in Loop: Header=BB1436_516 Depth=2
	global_load_b32 v3, v0, s[8:9] offset:1024
	s_or_b32 exec_lo, exec_lo, s11
	s_delay_alu instid0(SALU_CYCLE_1)
	s_mov_b32 s11, exec_lo
	v_cmpx_gt_u32_e64 s1, v33
	s_cbranch_execnz .LBB1436_523
.LBB1436_550:                           ;   in Loop: Header=BB1436_516 Depth=2
	s_or_b32 exec_lo, exec_lo, s11
	s_delay_alu instid0(SALU_CYCLE_1)
	s_mov_b32 s11, exec_lo
	v_cmpx_gt_u32_e64 s1, v34
	s_cbranch_execz .LBB1436_524
.LBB1436_551:                           ;   in Loop: Header=BB1436_516 Depth=2
	global_load_b32 v5, v0, s[8:9] offset:3072
	s_or_b32 exec_lo, exec_lo, s11
	s_delay_alu instid0(SALU_CYCLE_1)
	s_mov_b32 s11, exec_lo
	v_cmpx_gt_u32_e64 s1, v38
	s_cbranch_execnz .LBB1436_525
.LBB1436_552:                           ;   in Loop: Header=BB1436_516 Depth=2
	s_or_b32 exec_lo, exec_lo, s11
	s_delay_alu instid0(SALU_CYCLE_1)
	s_mov_b32 s11, exec_lo
	v_cmpx_gt_u32_e64 s1, v39
	s_cbranch_execz .LBB1436_526
.LBB1436_553:                           ;   in Loop: Header=BB1436_516 Depth=2
	v_lshlrev_b32_e32 v0, 2, v39
	global_load_b32 v7, v0, s[8:9]
	s_or_b32 exec_lo, exec_lo, s11
	s_delay_alu instid0(SALU_CYCLE_1)
	s_mov_b32 s11, exec_lo
	v_cmpx_gt_u32_e64 s1, v40
	s_cbranch_execz .LBB1436_528
	s_branch .LBB1436_527
.LBB1436_554:                           ;   in Loop: Header=BB1436_12 Depth=1
	v_mov_b32_e32 v0, 0
	s_waitcnt vmcnt(0) lgkmcnt(0)
	s_barrier
	buffer_gl0_inv
	s_and_saveexec_b32 s1, s2
	s_cbranch_execz .LBB1436_556
; %bb.555:                              ;   in Loop: Header=BB1436_12 Depth=1
	ds_load_2addr_b64 v[2:5], v43 offset1:1
	s_waitcnt lgkmcnt(0)
	v_add_nc_u32_e32 v0, v3, v2
	s_delay_alu instid0(VALU_DEP_1)
	v_add3_u32 v0, v0, v4, v5
.LBB1436_556:                           ;   in Loop: Header=BB1436_12 Depth=1
	s_or_b32 exec_lo, exec_lo, s1
	v_and_b32_e32 v2, 15, v72
	s_delay_alu instid0(VALU_DEP_2) | instskip(SKIP_1) | instid1(VALU_DEP_3)
	v_mov_b32_dpp v3, v0 row_shr:1 row_mask:0xf bank_mask:0xf
	v_and_b32_e32 v4, 16, v72
	v_cmp_eq_u32_e64 s1, 0, v2
	v_cmp_lt_u32_e64 s7, 1, v2
	v_cmp_lt_u32_e64 s8, 3, v2
	;; [unrolled: 1-line block ×3, first 2 shown]
	v_cmp_eq_u32_e64 s10, 0, v4
	v_cndmask_b32_e64 v3, v3, 0, s1
	s_delay_alu instid0(VALU_DEP_1) | instskip(NEXT) | instid1(VALU_DEP_1)
	v_add_nc_u32_e32 v0, v3, v0
	v_mov_b32_dpp v3, v0 row_shr:2 row_mask:0xf bank_mask:0xf
	s_delay_alu instid0(VALU_DEP_1) | instskip(NEXT) | instid1(VALU_DEP_1)
	v_cndmask_b32_e64 v3, 0, v3, s7
	v_add_nc_u32_e32 v0, v0, v3
	s_delay_alu instid0(VALU_DEP_1) | instskip(NEXT) | instid1(VALU_DEP_1)
	v_mov_b32_dpp v3, v0 row_shr:4 row_mask:0xf bank_mask:0xf
	v_cndmask_b32_e64 v3, 0, v3, s8
	s_delay_alu instid0(VALU_DEP_1) | instskip(NEXT) | instid1(VALU_DEP_1)
	v_add_nc_u32_e32 v0, v0, v3
	v_mov_b32_dpp v3, v0 row_shr:8 row_mask:0xf bank_mask:0xf
	s_delay_alu instid0(VALU_DEP_1) | instskip(SKIP_1) | instid1(VALU_DEP_2)
	v_cndmask_b32_e64 v2, 0, v3, s9
	v_bfe_i32 v3, v72, 4, 1
	v_add_nc_u32_e32 v0, v0, v2
	ds_swizzle_b32 v2, v0 offset:swizzle(BROADCAST,32,15)
	s_waitcnt lgkmcnt(0)
	v_and_b32_e32 v2, v3, v2
	s_delay_alu instid0(VALU_DEP_1)
	v_add_nc_u32_e32 v2, v0, v2
	s_and_saveexec_b32 s11, s3
	s_cbranch_execz .LBB1436_558
; %bb.557:                              ;   in Loop: Header=BB1436_12 Depth=1
	ds_store_b32 v44, v2
.LBB1436_558:                           ;   in Loop: Header=BB1436_12 Depth=1
	s_or_b32 exec_lo, exec_lo, s11
	v_and_b32_e32 v0, 7, v72
	s_waitcnt lgkmcnt(0)
	s_barrier
	buffer_gl0_inv
	s_and_saveexec_b32 s11, s4
	s_cbranch_execz .LBB1436_560
; %bb.559:                              ;   in Loop: Header=BB1436_12 Depth=1
	ds_load_b32 v3, v45
	v_cmp_ne_u32_e32 vcc_lo, 0, v0
	s_waitcnt lgkmcnt(0)
	v_mov_b32_dpp v4, v3 row_shr:1 row_mask:0xf bank_mask:0xf
	s_delay_alu instid0(VALU_DEP_1) | instskip(SKIP_1) | instid1(VALU_DEP_2)
	v_cndmask_b32_e32 v4, 0, v4, vcc_lo
	v_cmp_lt_u32_e32 vcc_lo, 1, v0
	v_add_nc_u32_e32 v3, v4, v3
	s_delay_alu instid0(VALU_DEP_1) | instskip(NEXT) | instid1(VALU_DEP_1)
	v_mov_b32_dpp v4, v3 row_shr:2 row_mask:0xf bank_mask:0xf
	v_cndmask_b32_e32 v4, 0, v4, vcc_lo
	v_cmp_lt_u32_e32 vcc_lo, 3, v0
	s_delay_alu instid0(VALU_DEP_2) | instskip(NEXT) | instid1(VALU_DEP_1)
	v_add_nc_u32_e32 v3, v3, v4
	v_mov_b32_dpp v4, v3 row_shr:4 row_mask:0xf bank_mask:0xf
	s_delay_alu instid0(VALU_DEP_1) | instskip(NEXT) | instid1(VALU_DEP_1)
	v_cndmask_b32_e32 v4, 0, v4, vcc_lo
	v_add_nc_u32_e32 v3, v3, v4
	ds_store_b32 v45, v3
.LBB1436_560:                           ;   in Loop: Header=BB1436_12 Depth=1
	s_or_b32 exec_lo, exec_lo, s11
	v_mov_b32_e32 v3, 0
	s_waitcnt lgkmcnt(0)
	s_barrier
	buffer_gl0_inv
	s_and_saveexec_b32 s11, s5
	s_cbranch_execz .LBB1436_562
; %bb.561:                              ;   in Loop: Header=BB1436_12 Depth=1
	ds_load_b32 v3, v46
.LBB1436_562:                           ;   in Loop: Header=BB1436_12 Depth=1
	s_or_b32 exec_lo, exec_lo, s11
	v_add_nc_u32_e32 v4, -1, v72
	s_waitcnt lgkmcnt(0)
	v_add_nc_u32_e32 v2, v3, v2
	v_cmp_eq_u32_e64 s11, 0, v72
	s_barrier
	v_cmp_gt_i32_e32 vcc_lo, 0, v4
	buffer_gl0_inv
	v_cndmask_b32_e32 v4, v4, v72, vcc_lo
	s_delay_alu instid0(VALU_DEP_1)
	v_lshlrev_b32_e32 v73, 2, v4
	ds_bpermute_b32 v2, v73, v2
	s_and_saveexec_b32 s12, s2
	s_cbranch_execz .LBB1436_564
; %bb.563:                              ;   in Loop: Header=BB1436_12 Depth=1
	s_waitcnt lgkmcnt(0)
	v_cndmask_b32_e64 v2, v2, v3, s11
	s_delay_alu instid0(VALU_DEP_1)
	v_add_nc_u32_e32 v2, s27, v2
	ds_store_b32 v31, v2
.LBB1436_564:                           ;   in Loop: Header=BB1436_12 Depth=1
	s_or_b32 exec_lo, exec_lo, s12
	s_load_b64 s[12:13], s[28:29], 0x0
	v_lshlrev_b32_e32 v3, 3, v72
	v_cmp_lt_u32_e64 s14, 3, v0
	v_or_b32_e32 v74, v72, v47
	s_mov_b32 s50, s35
	s_mov_b32 s24, s27
	v_add_co_u32 v75, vcc_lo, v67, v3
	v_add_co_ci_u32_e32 v76, vcc_lo, 0, v68, vcc_lo
	v_or_b32_e32 v77, 32, v74
	v_or_b32_e32 v78, 64, v74
	;; [unrolled: 1-line block ×7, first 2 shown]
                                        ; implicit-def: $vgpr10_vgpr11
                                        ; implicit-def: $vgpr12_vgpr13
                                        ; implicit-def: $vgpr14_vgpr15
                                        ; implicit-def: $vgpr16_vgpr17
                                        ; implicit-def: $vgpr21_vgpr22
                                        ; implicit-def: $vgpr23_vgpr24
                                        ; implicit-def: $vgpr25_vgpr26
                                        ; implicit-def: $vgpr27_vgpr28
                                        ; implicit-def: $vgpr89
                                        ; implicit-def: $vgpr90
                                        ; implicit-def: $vgpr91
                                        ; implicit-def: $vgpr92
                                        ; implicit-def: $vgpr93
                                        ; implicit-def: $vgpr94
                                        ; implicit-def: $vgpr95
                                        ; implicit-def: $vgpr96
	s_waitcnt lgkmcnt(0)
	s_cmp_lt_u32 s15, s13
	s_cselect_b32 s13, 14, 20
	s_delay_alu instid0(SALU_CYCLE_1) | instskip(SKIP_4) | instid1(SALU_CYCLE_1)
	s_add_u32 s16, s28, s13
	s_addc_u32 s17, s29, 0
	s_cmp_lt_u32 s26, s12
	global_load_u16 v2, v20, s[16:17]
	s_cselect_b32 s12, 12, 18
	s_add_u32 s12, s28, s12
	s_addc_u32 s13, s29, 0
	global_load_u16 v4, v20, s[12:13]
	v_cmp_eq_u32_e64 s12, 0, v0
	v_cmp_lt_u32_e64 s13, 1, v0
	v_lshlrev_b32_e32 v0, 2, v72
	s_delay_alu instid0(VALU_DEP_1) | instskip(SKIP_1) | instid1(VALU_DEP_2)
	v_add_co_u32 v84, vcc_lo, v69, v0
	v_add_co_ci_u32_e32 v85, vcc_lo, 0, v70, vcc_lo
	v_add_co_u32 v87, vcc_lo, 0x380, v84
	s_delay_alu instid0(VALU_DEP_2) | instskip(SKIP_3) | instid1(VALU_DEP_1)
	v_add_co_ci_u32_e32 v88, vcc_lo, 0, v85, vcc_lo
	s_waitcnt vmcnt(1)
	v_mad_u32_u24 v5, v48, v2, v50
	s_waitcnt vmcnt(0)
	v_mad_u64_u32 v[2:3], null, v5, v4, v[18:19]
	s_delay_alu instid0(VALU_DEP_1)
	v_lshrrev_b32_e32 v86, 5, v2
	s_branch .LBB1436_566
.LBB1436_565:                           ;   in Loop: Header=BB1436_566 Depth=2
	s_or_b32 exec_lo, exec_lo, s16
	s_addk_i32 s50, 0xf800
	s_cmp_lt_u32 s51, s33
	s_mov_b32 s24, s51
	s_cbranch_scc0 .LBB1436_10
.LBB1436_566:                           ;   Parent Loop BB1436_12 Depth=1
                                        ; =>  This Inner Loop Header: Depth=2
	s_add_i32 s51, s24, 0x800
	s_delay_alu instid0(SALU_CYCLE_1)
	s_cmp_gt_u32 s51, s33
	s_cbranch_scc1 .LBB1436_568
; %bb.567:                              ;   in Loop: Header=BB1436_566 Depth=2
	s_mov_b32 s17, 0
	s_mov_b32 s16, s24
	s_delay_alu instid0(SALU_CYCLE_1) | instskip(NEXT) | instid1(SALU_CYCLE_1)
	s_lshl_b64 s[18:19], s[16:17], 2
	v_add_co_u32 v8, vcc_lo, v84, s18
	v_add_co_ci_u32_e32 v9, vcc_lo, s19, v85, vcc_lo
	s_mov_b32 s19, -1
	s_movk_i32 s18, 0x800
	s_clause 0x6
	global_load_b32 v2, v[8:9], off
	global_load_b32 v3, v[8:9], off offset:128
	global_load_b32 v4, v[8:9], off offset:256
	;; [unrolled: 1-line block ×6, first 2 shown]
	s_cbranch_execz .LBB1436_569
	s_branch .LBB1436_578
.LBB1436_568:                           ;   in Loop: Header=BB1436_566 Depth=2
	s_mov_b32 s17, -1
	s_mov_b32 s19, 0
                                        ; implicit-def: $sgpr18
                                        ; implicit-def: $vgpr2_vgpr3_vgpr4_vgpr5_vgpr6_vgpr7_vgpr8_vgpr9
.LBB1436_569:                           ;   in Loop: Header=BB1436_566 Depth=2
	s_lshl_b64 s[16:17], s[24:25], 2
	s_mov_b32 s37, s36
	v_add_co_u32 v29, vcc_lo, v84, s16
	s_mov_b32 s38, s36
	s_mov_b32 s39, s36
	;; [unrolled: 1-line block ×6, first 2 shown]
	s_waitcnt vmcnt(0)
	v_dual_mov_b32 v2, s36 :: v_dual_mov_b32 v3, s37
	v_add_co_ci_u32_e32 v30, vcc_lo, s17, v85, vcc_lo
	v_dual_mov_b32 v4, s38 :: v_dual_mov_b32 v5, s39
	v_dual_mov_b32 v6, s40 :: v_dual_mov_b32 v7, s41
	;; [unrolled: 1-line block ×3, first 2 shown]
	s_mov_b32 s16, exec_lo
	v_cmpx_gt_u32_e64 s50, v74
	s_cbranch_execz .LBB1436_672
; %bb.570:                              ;   in Loop: Header=BB1436_566 Depth=2
	global_load_b32 v0, v[29:30], off
	v_mov_b32_e32 v7, v1
	v_mov_b32_e32 v2, v1
	;; [unrolled: 1-line block ×6, first 2 shown]
	s_waitcnt vmcnt(0)
	v_mov_b32_e32 v9, v7
	s_delay_alu instid0(VALU_DEP_2)
	v_dual_mov_b32 v8, v6 :: v_dual_mov_b32 v7, v5
	v_mov_b32_e32 v6, v4
	v_mov_b32_e32 v5, v3
	;; [unrolled: 1-line block ×5, first 2 shown]
	s_or_b32 exec_lo, exec_lo, s16
	s_delay_alu instid0(SALU_CYCLE_1)
	s_mov_b32 s16, exec_lo
	v_cmpx_gt_u32_e64 s50, v77
	s_cbranch_execnz .LBB1436_673
.LBB1436_571:                           ;   in Loop: Header=BB1436_566 Depth=2
	s_or_b32 exec_lo, exec_lo, s16
	s_delay_alu instid0(SALU_CYCLE_1)
	s_mov_b32 s16, exec_lo
	v_cmpx_gt_u32_e64 s50, v78
	s_cbranch_execz .LBB1436_674
.LBB1436_572:                           ;   in Loop: Header=BB1436_566 Depth=2
	global_load_b32 v4, v[29:30], off offset:256
	s_or_b32 exec_lo, exec_lo, s16
	s_delay_alu instid0(SALU_CYCLE_1)
	s_mov_b32 s16, exec_lo
	v_cmpx_gt_u32_e64 s50, v79
	s_cbranch_execnz .LBB1436_675
.LBB1436_573:                           ;   in Loop: Header=BB1436_566 Depth=2
	s_or_b32 exec_lo, exec_lo, s16
	s_delay_alu instid0(SALU_CYCLE_1)
	s_mov_b32 s16, exec_lo
	v_cmpx_gt_u32_e64 s50, v80
	s_cbranch_execz .LBB1436_676
.LBB1436_574:                           ;   in Loop: Header=BB1436_566 Depth=2
	global_load_b32 v6, v[29:30], off offset:512
	s_or_b32 exec_lo, exec_lo, s16
	s_delay_alu instid0(SALU_CYCLE_1)
	s_mov_b32 s16, exec_lo
	v_cmpx_gt_u32_e64 s50, v81
	s_cbranch_execnz .LBB1436_677
.LBB1436_575:                           ;   in Loop: Header=BB1436_566 Depth=2
	s_or_b32 exec_lo, exec_lo, s16
	s_delay_alu instid0(SALU_CYCLE_1)
	s_mov_b32 s16, exec_lo
	v_cmpx_gt_u32_e64 s50, v82
	s_cbranch_execz .LBB1436_577
.LBB1436_576:                           ;   in Loop: Header=BB1436_566 Depth=2
	global_load_b32 v8, v[29:30], off offset:768
.LBB1436_577:                           ;   in Loop: Header=BB1436_566 Depth=2
	s_or_b32 exec_lo, exec_lo, s16
	v_cmp_gt_u32_e64 s19, s50, v83
	s_sub_i32 s18, s33, s24
	s_mov_b64 s[16:17], s[24:25]
.LBB1436_578:                           ;   in Loop: Header=BB1436_566 Depth=2
	v_mov_b32_e32 v0, s50
	s_delay_alu instid0(VALU_DEP_2)
	s_and_saveexec_b32 s20, s19
	s_cbranch_execz .LBB1436_580
; %bb.579:                              ;   in Loop: Header=BB1436_566 Depth=2
	s_lshl_b64 s[16:17], s[16:17], 2
	v_mov_b32_e32 v0, s18
	v_add_co_u32 v29, vcc_lo, v87, s16
	v_add_co_ci_u32_e32 v30, vcc_lo, s17, v88, vcc_lo
	global_load_b32 v9, v[29:30], off
.LBB1436_580:                           ;   in Loop: Header=BB1436_566 Depth=2
	s_or_b32 exec_lo, exec_lo, s20
	s_waitcnt vmcnt(6)
	v_cmp_lt_i32_e32 vcc_lo, -1, v2
	ds_store_b32 v49, v20 offset:1056
	ds_store_2addr_b32 v51, v20, v20 offset0:1 offset1:2
	ds_store_2addr_b32 v51, v20, v20 offset0:3 offset1:4
	;; [unrolled: 1-line block ×4, first 2 shown]
	s_waitcnt vmcnt(0) lgkmcnt(0)
	s_barrier
	v_cndmask_b32_e64 v19, -1, 0x80000000, vcc_lo
	buffer_gl0_inv
	; wave barrier
	v_xor_b32_e32 v19, v19, v2
	s_delay_alu instid0(VALU_DEP_1) | instskip(SKIP_1) | instid1(VALU_DEP_1)
	v_cmp_ne_u32_e32 vcc_lo, 0x7fffffff, v19
	v_cndmask_b32_e32 v2, 0x80000000, v19, vcc_lo
	v_lshrrev_b32_e32 v2, s57, v2
	s_delay_alu instid0(VALU_DEP_1) | instskip(NEXT) | instid1(VALU_DEP_1)
	v_and_b32_e32 v30, s31, v2
	v_lshlrev_b32_e32 v29, 30, v30
	v_and_b32_e32 v2, 1, v30
	v_lshlrev_b32_e32 v97, 29, v30
	v_lshlrev_b32_e32 v98, 28, v30
	;; [unrolled: 1-line block ×3, first 2 shown]
	v_not_b32_e32 v103, v29
	v_add_co_u32 v2, s16, v2, -1
	s_delay_alu instid0(VALU_DEP_1)
	v_cndmask_b32_e64 v99, 0, 1, s16
	v_cmp_gt_i32_e64 s16, 0, v29
	v_not_b32_e32 v29, v97
	v_ashrrev_i32_e32 v103, 31, v103
	v_lshlrev_b32_e32 v101, 26, v30
	v_cmp_ne_u32_e32 vcc_lo, 0, v99
	v_lshlrev_b32_e32 v102, 25, v30
	v_ashrrev_i32_e32 v29, 31, v29
	v_xor_b32_e32 v103, s16, v103
	v_cmp_gt_i32_e64 s16, 0, v98
	v_xor_b32_e32 v2, vcc_lo, v2
	v_cmp_gt_i32_e32 vcc_lo, 0, v97
	v_not_b32_e32 v97, v98
	v_not_b32_e32 v98, v100
	v_lshlrev_b32_e32 v99, 24, v30
	v_and_b32_e32 v2, exec_lo, v2
	v_xor_b32_e32 v29, vcc_lo, v29
	v_ashrrev_i32_e32 v97, 31, v97
	v_cmp_gt_i32_e32 vcc_lo, 0, v100
	v_not_b32_e32 v100, v101
	v_and_b32_e32 v2, v2, v103
	v_ashrrev_i32_e32 v98, 31, v98
	v_xor_b32_e32 v97, s16, v97
	v_cmp_gt_i32_e64 s16, 0, v101
	v_ashrrev_i32_e32 v100, 31, v100
	v_and_b32_e32 v2, v2, v29
	v_not_b32_e32 v29, v102
	v_xor_b32_e32 v98, vcc_lo, v98
	v_cmp_gt_i32_e32 vcc_lo, 0, v102
	v_xor_b32_e32 v100, s16, v100
	v_and_b32_e32 v2, v2, v97
	v_not_b32_e32 v97, v99
	v_ashrrev_i32_e32 v29, 31, v29
	v_cmp_gt_i32_e64 s16, 0, v99
	v_mad_u32_u24 v30, v30, 9, v86
	v_and_b32_e32 v2, v2, v98
	v_ashrrev_i32_e32 v97, 31, v97
	v_xor_b32_e32 v29, vcc_lo, v29
	s_delay_alu instid0(VALU_DEP_3) | instskip(NEXT) | instid1(VALU_DEP_3)
	v_and_b32_e32 v2, v2, v100
	v_xor_b32_e32 v97, s16, v97
	s_delay_alu instid0(VALU_DEP_2) | instskip(NEXT) | instid1(VALU_DEP_1)
	v_and_b32_e32 v2, v2, v29
	v_and_b32_e32 v2, v2, v97
	v_lshl_add_u32 v97, v30, 2, 0x420
	s_delay_alu instid0(VALU_DEP_2) | instskip(SKIP_1) | instid1(VALU_DEP_2)
	v_mbcnt_lo_u32_b32 v29, v2, 0
	v_cmp_ne_u32_e64 s16, 0, v2
	v_cmp_eq_u32_e32 vcc_lo, 0, v29
	s_delay_alu instid0(VALU_DEP_2) | instskip(NEXT) | instid1(SALU_CYCLE_1)
	s_and_b32 s17, s16, vcc_lo
	s_and_saveexec_b32 s16, s17
	s_cbranch_execz .LBB1436_582
; %bb.581:                              ;   in Loop: Header=BB1436_566 Depth=2
	v_bcnt_u32_b32 v2, v2, 0
	ds_store_b32 v97, v2
.LBB1436_582:                           ;   in Loop: Header=BB1436_566 Depth=2
	s_or_b32 exec_lo, exec_lo, s16
	v_cmp_lt_i32_e32 vcc_lo, -1, v3
	; wave barrier
	v_cndmask_b32_e64 v2, -1, 0x80000000, vcc_lo
	s_delay_alu instid0(VALU_DEP_1) | instskip(NEXT) | instid1(VALU_DEP_1)
	v_xor_b32_e32 v30, v2, v3
	v_cmp_ne_u32_e32 vcc_lo, 0x7fffffff, v30
	v_cndmask_b32_e32 v2, 0x80000000, v30, vcc_lo
	s_delay_alu instid0(VALU_DEP_1) | instskip(NEXT) | instid1(VALU_DEP_1)
	v_lshrrev_b32_e32 v2, s57, v2
	v_and_b32_e32 v2, s31, v2
	s_delay_alu instid0(VALU_DEP_1)
	v_and_b32_e32 v3, 1, v2
	v_lshlrev_b32_e32 v98, 30, v2
	v_lshlrev_b32_e32 v99, 29, v2
	;; [unrolled: 1-line block ×4, first 2 shown]
	v_add_co_u32 v3, s16, v3, -1
	s_delay_alu instid0(VALU_DEP_1)
	v_cndmask_b32_e64 v101, 0, 1, s16
	v_not_b32_e32 v105, v98
	v_cmp_gt_i32_e64 s16, 0, v98
	v_not_b32_e32 v98, v99
	v_lshlrev_b32_e32 v103, 26, v2
	v_cmp_ne_u32_e32 vcc_lo, 0, v101
	v_ashrrev_i32_e32 v105, 31, v105
	v_lshlrev_b32_e32 v104, 25, v2
	v_ashrrev_i32_e32 v98, 31, v98
	v_lshlrev_b32_e32 v101, 24, v2
	v_xor_b32_e32 v3, vcc_lo, v3
	v_cmp_gt_i32_e32 vcc_lo, 0, v99
	v_not_b32_e32 v99, v100
	v_xor_b32_e32 v105, s16, v105
	v_cmp_gt_i32_e64 s16, 0, v100
	v_and_b32_e32 v3, exec_lo, v3
	v_not_b32_e32 v100, v102
	v_ashrrev_i32_e32 v99, 31, v99
	v_xor_b32_e32 v98, vcc_lo, v98
	v_cmp_gt_i32_e32 vcc_lo, 0, v102
	v_and_b32_e32 v3, v3, v105
	v_not_b32_e32 v102, v103
	v_ashrrev_i32_e32 v100, 31, v100
	v_xor_b32_e32 v99, s16, v99
	v_cmp_gt_i32_e64 s16, 0, v103
	v_and_b32_e32 v3, v3, v98
	v_not_b32_e32 v98, v104
	v_ashrrev_i32_e32 v102, 31, v102
	v_xor_b32_e32 v100, vcc_lo, v100
	v_cmp_gt_i32_e32 vcc_lo, 0, v104
	v_and_b32_e32 v3, v3, v99
	v_not_b32_e32 v99, v101
	v_ashrrev_i32_e32 v98, 31, v98
	v_xor_b32_e32 v102, s16, v102
	v_mul_u32_u24_e32 v2, 9, v2
	v_and_b32_e32 v3, v3, v100
	v_cmp_gt_i32_e64 s16, 0, v101
	v_ashrrev_i32_e32 v99, 31, v99
	v_xor_b32_e32 v98, vcc_lo, v98
	v_add_lshl_u32 v100, v2, v86, 2
	v_and_b32_e32 v3, v3, v102
	s_delay_alu instid0(VALU_DEP_4) | instskip(NEXT) | instid1(VALU_DEP_3)
	v_xor_b32_e32 v2, s16, v99
	v_add_nc_u32_e32 v101, 0x420, v100
	s_delay_alu instid0(VALU_DEP_3) | instskip(SKIP_2) | instid1(VALU_DEP_1)
	v_and_b32_e32 v3, v3, v98
	ds_load_b32 v98, v100 offset:1056
	; wave barrier
	v_and_b32_e32 v2, v3, v2
	v_mbcnt_lo_u32_b32 v99, v2, 0
	v_cmp_ne_u32_e64 s16, 0, v2
	s_delay_alu instid0(VALU_DEP_2) | instskip(NEXT) | instid1(VALU_DEP_2)
	v_cmp_eq_u32_e32 vcc_lo, 0, v99
	s_and_b32 s17, s16, vcc_lo
	s_delay_alu instid0(SALU_CYCLE_1)
	s_and_saveexec_b32 s16, s17
	s_cbranch_execz .LBB1436_584
; %bb.583:                              ;   in Loop: Header=BB1436_566 Depth=2
	s_waitcnt lgkmcnt(0)
	v_bcnt_u32_b32 v2, v2, v98
	ds_store_b32 v101, v2
.LBB1436_584:                           ;   in Loop: Header=BB1436_566 Depth=2
	s_or_b32 exec_lo, exec_lo, s16
	v_cmp_lt_i32_e32 vcc_lo, -1, v4
	; wave barrier
	v_cndmask_b32_e64 v2, -1, 0x80000000, vcc_lo
	s_delay_alu instid0(VALU_DEP_1) | instskip(NEXT) | instid1(VALU_DEP_1)
	v_xor_b32_e32 v100, v2, v4
	v_cmp_ne_u32_e32 vcc_lo, 0x7fffffff, v100
	v_cndmask_b32_e32 v2, 0x80000000, v100, vcc_lo
	s_delay_alu instid0(VALU_DEP_1) | instskip(NEXT) | instid1(VALU_DEP_1)
	v_lshrrev_b32_e32 v2, s57, v2
	v_and_b32_e32 v2, s31, v2
	s_delay_alu instid0(VALU_DEP_1)
	v_and_b32_e32 v3, 1, v2
	v_lshlrev_b32_e32 v4, 30, v2
	v_lshlrev_b32_e32 v102, 29, v2
	;; [unrolled: 1-line block ×4, first 2 shown]
	v_add_co_u32 v3, s16, v3, -1
	s_delay_alu instid0(VALU_DEP_1)
	v_cndmask_b32_e64 v104, 0, 1, s16
	v_not_b32_e32 v108, v4
	v_cmp_gt_i32_e64 s16, 0, v4
	v_not_b32_e32 v4, v102
	v_lshlrev_b32_e32 v106, 26, v2
	v_cmp_ne_u32_e32 vcc_lo, 0, v104
	v_ashrrev_i32_e32 v108, 31, v108
	v_lshlrev_b32_e32 v107, 25, v2
	v_ashrrev_i32_e32 v4, 31, v4
	v_lshlrev_b32_e32 v104, 24, v2
	v_xor_b32_e32 v3, vcc_lo, v3
	v_cmp_gt_i32_e32 vcc_lo, 0, v102
	v_not_b32_e32 v102, v103
	v_xor_b32_e32 v108, s16, v108
	v_cmp_gt_i32_e64 s16, 0, v103
	v_and_b32_e32 v3, exec_lo, v3
	v_not_b32_e32 v103, v105
	v_ashrrev_i32_e32 v102, 31, v102
	v_xor_b32_e32 v4, vcc_lo, v4
	v_cmp_gt_i32_e32 vcc_lo, 0, v105
	v_and_b32_e32 v3, v3, v108
	v_not_b32_e32 v105, v106
	v_ashrrev_i32_e32 v103, 31, v103
	v_xor_b32_e32 v102, s16, v102
	v_cmp_gt_i32_e64 s16, 0, v106
	v_and_b32_e32 v3, v3, v4
	v_not_b32_e32 v4, v107
	v_ashrrev_i32_e32 v105, 31, v105
	v_xor_b32_e32 v103, vcc_lo, v103
	v_cmp_gt_i32_e32 vcc_lo, 0, v107
	v_and_b32_e32 v3, v3, v102
	v_not_b32_e32 v102, v104
	v_ashrrev_i32_e32 v4, 31, v4
	v_xor_b32_e32 v105, s16, v105
	v_mul_u32_u24_e32 v2, 9, v2
	v_and_b32_e32 v3, v3, v103
	v_cmp_gt_i32_e64 s16, 0, v104
	v_ashrrev_i32_e32 v102, 31, v102
	v_xor_b32_e32 v4, vcc_lo, v4
	v_add_lshl_u32 v103, v2, v86, 2
	v_and_b32_e32 v3, v3, v105
	s_delay_alu instid0(VALU_DEP_4) | instskip(SKIP_3) | instid1(VALU_DEP_2)
	v_xor_b32_e32 v2, s16, v102
	ds_load_b32 v102, v103 offset:1056
	v_and_b32_e32 v3, v3, v4
	v_add_nc_u32_e32 v105, 0x420, v103
	; wave barrier
	v_and_b32_e32 v2, v3, v2
	s_delay_alu instid0(VALU_DEP_1) | instskip(SKIP_1) | instid1(VALU_DEP_2)
	v_mbcnt_lo_u32_b32 v104, v2, 0
	v_cmp_ne_u32_e64 s16, 0, v2
	v_cmp_eq_u32_e32 vcc_lo, 0, v104
	s_delay_alu instid0(VALU_DEP_2) | instskip(NEXT) | instid1(SALU_CYCLE_1)
	s_and_b32 s17, s16, vcc_lo
	s_and_saveexec_b32 s16, s17
	s_cbranch_execz .LBB1436_586
; %bb.585:                              ;   in Loop: Header=BB1436_566 Depth=2
	s_waitcnt lgkmcnt(0)
	v_bcnt_u32_b32 v2, v2, v102
	ds_store_b32 v105, v2
.LBB1436_586:                           ;   in Loop: Header=BB1436_566 Depth=2
	s_or_b32 exec_lo, exec_lo, s16
	v_cmp_lt_i32_e32 vcc_lo, -1, v5
	; wave barrier
	v_cndmask_b32_e64 v2, -1, 0x80000000, vcc_lo
	s_delay_alu instid0(VALU_DEP_1) | instskip(NEXT) | instid1(VALU_DEP_1)
	v_xor_b32_e32 v103, v2, v5
	v_cmp_ne_u32_e32 vcc_lo, 0x7fffffff, v103
	v_cndmask_b32_e32 v2, 0x80000000, v103, vcc_lo
	s_delay_alu instid0(VALU_DEP_1) | instskip(NEXT) | instid1(VALU_DEP_1)
	v_lshrrev_b32_e32 v2, s57, v2
	v_and_b32_e32 v2, s31, v2
	s_delay_alu instid0(VALU_DEP_1)
	v_and_b32_e32 v3, 1, v2
	v_lshlrev_b32_e32 v4, 30, v2
	v_lshlrev_b32_e32 v5, 29, v2
	;; [unrolled: 1-line block ×4, first 2 shown]
	v_add_co_u32 v3, s16, v3, -1
	s_delay_alu instid0(VALU_DEP_1)
	v_cndmask_b32_e64 v107, 0, 1, s16
	v_not_b32_e32 v111, v4
	v_cmp_gt_i32_e64 s16, 0, v4
	v_not_b32_e32 v4, v5
	v_lshlrev_b32_e32 v109, 26, v2
	v_cmp_ne_u32_e32 vcc_lo, 0, v107
	v_ashrrev_i32_e32 v111, 31, v111
	v_lshlrev_b32_e32 v110, 25, v2
	v_ashrrev_i32_e32 v4, 31, v4
	v_lshlrev_b32_e32 v107, 24, v2
	v_xor_b32_e32 v3, vcc_lo, v3
	v_cmp_gt_i32_e32 vcc_lo, 0, v5
	v_not_b32_e32 v5, v106
	v_xor_b32_e32 v111, s16, v111
	v_cmp_gt_i32_e64 s16, 0, v106
	v_and_b32_e32 v3, exec_lo, v3
	v_not_b32_e32 v106, v108
	v_ashrrev_i32_e32 v5, 31, v5
	v_xor_b32_e32 v4, vcc_lo, v4
	v_cmp_gt_i32_e32 vcc_lo, 0, v108
	v_and_b32_e32 v3, v3, v111
	v_not_b32_e32 v108, v109
	v_ashrrev_i32_e32 v106, 31, v106
	v_xor_b32_e32 v5, s16, v5
	v_cmp_gt_i32_e64 s16, 0, v109
	v_and_b32_e32 v3, v3, v4
	v_not_b32_e32 v4, v110
	v_ashrrev_i32_e32 v108, 31, v108
	v_xor_b32_e32 v106, vcc_lo, v106
	v_cmp_gt_i32_e32 vcc_lo, 0, v110
	v_and_b32_e32 v3, v3, v5
	v_not_b32_e32 v5, v107
	v_ashrrev_i32_e32 v4, 31, v4
	v_xor_b32_e32 v108, s16, v108
	v_mul_u32_u24_e32 v2, 9, v2
	v_and_b32_e32 v3, v3, v106
	v_cmp_gt_i32_e64 s16, 0, v107
	v_ashrrev_i32_e32 v5, 31, v5
	v_xor_b32_e32 v4, vcc_lo, v4
	v_add_lshl_u32 v106, v2, v86, 2
	v_and_b32_e32 v3, v3, v108
	s_delay_alu instid0(VALU_DEP_4) | instskip(SKIP_3) | instid1(VALU_DEP_2)
	v_xor_b32_e32 v2, s16, v5
	ds_load_b32 v107, v106 offset:1056
	v_and_b32_e32 v3, v3, v4
	v_add_nc_u32_e32 v109, 0x420, v106
	; wave barrier
	v_and_b32_e32 v2, v3, v2
	s_delay_alu instid0(VALU_DEP_1) | instskip(SKIP_1) | instid1(VALU_DEP_2)
	v_mbcnt_lo_u32_b32 v108, v2, 0
	v_cmp_ne_u32_e64 s16, 0, v2
	v_cmp_eq_u32_e32 vcc_lo, 0, v108
	s_delay_alu instid0(VALU_DEP_2) | instskip(NEXT) | instid1(SALU_CYCLE_1)
	s_and_b32 s17, s16, vcc_lo
	s_and_saveexec_b32 s16, s17
	s_cbranch_execz .LBB1436_588
; %bb.587:                              ;   in Loop: Header=BB1436_566 Depth=2
	s_waitcnt lgkmcnt(0)
	v_bcnt_u32_b32 v2, v2, v107
	ds_store_b32 v109, v2
.LBB1436_588:                           ;   in Loop: Header=BB1436_566 Depth=2
	s_or_b32 exec_lo, exec_lo, s16
	v_cmp_lt_i32_e32 vcc_lo, -1, v6
	; wave barrier
	v_cndmask_b32_e64 v2, -1, 0x80000000, vcc_lo
	s_delay_alu instid0(VALU_DEP_1) | instskip(NEXT) | instid1(VALU_DEP_1)
	v_xor_b32_e32 v106, v2, v6
	v_cmp_ne_u32_e32 vcc_lo, 0x7fffffff, v106
	v_cndmask_b32_e32 v2, 0x80000000, v106, vcc_lo
	s_delay_alu instid0(VALU_DEP_1) | instskip(NEXT) | instid1(VALU_DEP_1)
	v_lshrrev_b32_e32 v2, s57, v2
	v_and_b32_e32 v2, s31, v2
	s_delay_alu instid0(VALU_DEP_1)
	v_and_b32_e32 v3, 1, v2
	v_lshlrev_b32_e32 v4, 30, v2
	v_lshlrev_b32_e32 v5, 29, v2
	;; [unrolled: 1-line block ×4, first 2 shown]
	v_add_co_u32 v3, s16, v3, -1
	s_delay_alu instid0(VALU_DEP_1)
	v_cndmask_b32_e64 v110, 0, 1, s16
	v_not_b32_e32 v114, v4
	v_cmp_gt_i32_e64 s16, 0, v4
	v_not_b32_e32 v4, v5
	v_lshlrev_b32_e32 v112, 26, v2
	v_cmp_ne_u32_e32 vcc_lo, 0, v110
	v_ashrrev_i32_e32 v114, 31, v114
	v_lshlrev_b32_e32 v113, 25, v2
	v_ashrrev_i32_e32 v4, 31, v4
	v_lshlrev_b32_e32 v110, 24, v2
	v_xor_b32_e32 v3, vcc_lo, v3
	v_cmp_gt_i32_e32 vcc_lo, 0, v5
	v_not_b32_e32 v5, v6
	v_xor_b32_e32 v114, s16, v114
	v_cmp_gt_i32_e64 s16, 0, v6
	v_and_b32_e32 v3, exec_lo, v3
	v_not_b32_e32 v6, v111
	v_ashrrev_i32_e32 v5, 31, v5
	v_xor_b32_e32 v4, vcc_lo, v4
	v_cmp_gt_i32_e32 vcc_lo, 0, v111
	v_and_b32_e32 v3, v3, v114
	v_not_b32_e32 v111, v112
	v_ashrrev_i32_e32 v6, 31, v6
	v_xor_b32_e32 v5, s16, v5
	v_cmp_gt_i32_e64 s16, 0, v112
	v_and_b32_e32 v3, v3, v4
	v_not_b32_e32 v4, v113
	v_ashrrev_i32_e32 v111, 31, v111
	v_xor_b32_e32 v6, vcc_lo, v6
	v_cmp_gt_i32_e32 vcc_lo, 0, v113
	v_and_b32_e32 v3, v3, v5
	v_not_b32_e32 v5, v110
	v_ashrrev_i32_e32 v4, 31, v4
	v_xor_b32_e32 v111, s16, v111
	v_mul_u32_u24_e32 v2, 9, v2
	v_and_b32_e32 v3, v3, v6
	v_cmp_gt_i32_e64 s16, 0, v110
	v_ashrrev_i32_e32 v5, 31, v5
	v_xor_b32_e32 v4, vcc_lo, v4
	v_add_lshl_u32 v6, v2, v86, 2
	v_and_b32_e32 v3, v3, v111
	s_delay_alu instid0(VALU_DEP_4) | instskip(SKIP_3) | instid1(VALU_DEP_2)
	v_xor_b32_e32 v2, s16, v5
	ds_load_b32 v111, v6 offset:1056
	v_and_b32_e32 v3, v3, v4
	v_add_nc_u32_e32 v113, 0x420, v6
	; wave barrier
	v_and_b32_e32 v2, v3, v2
	s_delay_alu instid0(VALU_DEP_1) | instskip(SKIP_1) | instid1(VALU_DEP_2)
	v_mbcnt_lo_u32_b32 v112, v2, 0
	v_cmp_ne_u32_e64 s16, 0, v2
	v_cmp_eq_u32_e32 vcc_lo, 0, v112
	s_delay_alu instid0(VALU_DEP_2) | instskip(NEXT) | instid1(SALU_CYCLE_1)
	s_and_b32 s17, s16, vcc_lo
	s_and_saveexec_b32 s16, s17
	s_cbranch_execz .LBB1436_590
; %bb.589:                              ;   in Loop: Header=BB1436_566 Depth=2
	s_waitcnt lgkmcnt(0)
	v_bcnt_u32_b32 v2, v2, v111
	ds_store_b32 v113, v2
.LBB1436_590:                           ;   in Loop: Header=BB1436_566 Depth=2
	s_or_b32 exec_lo, exec_lo, s16
	v_cmp_lt_i32_e32 vcc_lo, -1, v7
	; wave barrier
	v_cndmask_b32_e64 v2, -1, 0x80000000, vcc_lo
	s_delay_alu instid0(VALU_DEP_1) | instskip(NEXT) | instid1(VALU_DEP_1)
	v_xor_b32_e32 v110, v2, v7
	v_cmp_ne_u32_e32 vcc_lo, 0x7fffffff, v110
	v_cndmask_b32_e32 v2, 0x80000000, v110, vcc_lo
	s_delay_alu instid0(VALU_DEP_1) | instskip(NEXT) | instid1(VALU_DEP_1)
	v_lshrrev_b32_e32 v2, s57, v2
	v_and_b32_e32 v2, s31, v2
	s_delay_alu instid0(VALU_DEP_1)
	v_and_b32_e32 v3, 1, v2
	v_lshlrev_b32_e32 v4, 30, v2
	v_lshlrev_b32_e32 v5, 29, v2
	v_lshlrev_b32_e32 v6, 28, v2
	v_lshlrev_b32_e32 v114, 27, v2
	v_add_co_u32 v3, s16, v3, -1
	s_delay_alu instid0(VALU_DEP_1)
	v_cndmask_b32_e64 v7, 0, 1, s16
	v_not_b32_e32 v117, v4
	v_cmp_gt_i32_e64 s16, 0, v4
	v_not_b32_e32 v4, v5
	v_lshlrev_b32_e32 v115, 26, v2
	v_cmp_ne_u32_e32 vcc_lo, 0, v7
	v_ashrrev_i32_e32 v117, 31, v117
	v_lshlrev_b32_e32 v116, 25, v2
	v_ashrrev_i32_e32 v4, 31, v4
	v_lshlrev_b32_e32 v7, 24, v2
	v_xor_b32_e32 v3, vcc_lo, v3
	v_cmp_gt_i32_e32 vcc_lo, 0, v5
	v_not_b32_e32 v5, v6
	v_xor_b32_e32 v117, s16, v117
	v_cmp_gt_i32_e64 s16, 0, v6
	v_and_b32_e32 v3, exec_lo, v3
	v_not_b32_e32 v6, v114
	v_ashrrev_i32_e32 v5, 31, v5
	v_xor_b32_e32 v4, vcc_lo, v4
	v_cmp_gt_i32_e32 vcc_lo, 0, v114
	v_and_b32_e32 v3, v3, v117
	v_not_b32_e32 v114, v115
	v_ashrrev_i32_e32 v6, 31, v6
	v_xor_b32_e32 v5, s16, v5
	v_cmp_gt_i32_e64 s16, 0, v115
	v_and_b32_e32 v3, v3, v4
	v_not_b32_e32 v4, v116
	v_ashrrev_i32_e32 v114, 31, v114
	v_xor_b32_e32 v6, vcc_lo, v6
	v_cmp_gt_i32_e32 vcc_lo, 0, v116
	v_and_b32_e32 v3, v3, v5
	v_not_b32_e32 v5, v7
	v_ashrrev_i32_e32 v4, 31, v4
	v_xor_b32_e32 v114, s16, v114
	v_mul_u32_u24_e32 v2, 9, v2
	v_and_b32_e32 v3, v3, v6
	v_cmp_gt_i32_e64 s16, 0, v7
	v_ashrrev_i32_e32 v5, 31, v5
	v_xor_b32_e32 v4, vcc_lo, v4
	v_add_lshl_u32 v6, v2, v86, 2
	v_and_b32_e32 v3, v3, v114
	s_delay_alu instid0(VALU_DEP_4) | instskip(SKIP_3) | instid1(VALU_DEP_2)
	v_xor_b32_e32 v2, s16, v5
	ds_load_b32 v115, v6 offset:1056
	v_and_b32_e32 v3, v3, v4
	v_add_nc_u32_e32 v117, 0x420, v6
	; wave barrier
	v_and_b32_e32 v2, v3, v2
	s_delay_alu instid0(VALU_DEP_1) | instskip(SKIP_1) | instid1(VALU_DEP_2)
	v_mbcnt_lo_u32_b32 v116, v2, 0
	v_cmp_ne_u32_e64 s16, 0, v2
	v_cmp_eq_u32_e32 vcc_lo, 0, v116
	s_delay_alu instid0(VALU_DEP_2) | instskip(NEXT) | instid1(SALU_CYCLE_1)
	s_and_b32 s17, s16, vcc_lo
	s_and_saveexec_b32 s16, s17
	s_cbranch_execz .LBB1436_592
; %bb.591:                              ;   in Loop: Header=BB1436_566 Depth=2
	s_waitcnt lgkmcnt(0)
	v_bcnt_u32_b32 v2, v2, v115
	ds_store_b32 v117, v2
.LBB1436_592:                           ;   in Loop: Header=BB1436_566 Depth=2
	s_or_b32 exec_lo, exec_lo, s16
	v_cmp_lt_i32_e32 vcc_lo, -1, v8
	; wave barrier
	v_cndmask_b32_e64 v2, -1, 0x80000000, vcc_lo
	s_delay_alu instid0(VALU_DEP_1) | instskip(NEXT) | instid1(VALU_DEP_1)
	v_xor_b32_e32 v114, v2, v8
	v_cmp_ne_u32_e32 vcc_lo, 0x7fffffff, v114
	v_cndmask_b32_e32 v2, 0x80000000, v114, vcc_lo
	s_delay_alu instid0(VALU_DEP_1) | instskip(NEXT) | instid1(VALU_DEP_1)
	v_lshrrev_b32_e32 v2, s57, v2
	v_and_b32_e32 v2, s31, v2
	s_delay_alu instid0(VALU_DEP_1)
	v_and_b32_e32 v3, 1, v2
	v_lshlrev_b32_e32 v4, 30, v2
	v_lshlrev_b32_e32 v5, 29, v2
	;; [unrolled: 1-line block ×4, first 2 shown]
	v_add_co_u32 v3, s16, v3, -1
	s_delay_alu instid0(VALU_DEP_1)
	v_cndmask_b32_e64 v7, 0, 1, s16
	v_not_b32_e32 v120, v4
	v_cmp_gt_i32_e64 s16, 0, v4
	v_not_b32_e32 v4, v5
	v_lshlrev_b32_e32 v118, 26, v2
	v_cmp_ne_u32_e32 vcc_lo, 0, v7
	v_ashrrev_i32_e32 v120, 31, v120
	v_lshlrev_b32_e32 v119, 25, v2
	v_ashrrev_i32_e32 v4, 31, v4
	v_lshlrev_b32_e32 v7, 24, v2
	v_xor_b32_e32 v3, vcc_lo, v3
	v_cmp_gt_i32_e32 vcc_lo, 0, v5
	v_not_b32_e32 v5, v6
	v_xor_b32_e32 v120, s16, v120
	v_cmp_gt_i32_e64 s16, 0, v6
	v_and_b32_e32 v3, exec_lo, v3
	v_not_b32_e32 v6, v8
	v_ashrrev_i32_e32 v5, 31, v5
	v_xor_b32_e32 v4, vcc_lo, v4
	v_cmp_gt_i32_e32 vcc_lo, 0, v8
	v_and_b32_e32 v3, v3, v120
	v_not_b32_e32 v8, v118
	v_ashrrev_i32_e32 v6, 31, v6
	v_xor_b32_e32 v5, s16, v5
	v_cmp_gt_i32_e64 s16, 0, v118
	v_and_b32_e32 v3, v3, v4
	v_not_b32_e32 v4, v119
	v_ashrrev_i32_e32 v8, 31, v8
	v_xor_b32_e32 v6, vcc_lo, v6
	v_cmp_gt_i32_e32 vcc_lo, 0, v119
	v_and_b32_e32 v3, v3, v5
	v_not_b32_e32 v5, v7
	v_ashrrev_i32_e32 v4, 31, v4
	v_xor_b32_e32 v8, s16, v8
	v_mul_u32_u24_e32 v2, 9, v2
	v_and_b32_e32 v3, v3, v6
	v_cmp_gt_i32_e64 s16, 0, v7
	v_ashrrev_i32_e32 v5, 31, v5
	v_xor_b32_e32 v4, vcc_lo, v4
	v_add_lshl_u32 v6, v2, v86, 2
	v_and_b32_e32 v3, v3, v8
	s_delay_alu instid0(VALU_DEP_4) | instskip(SKIP_3) | instid1(VALU_DEP_2)
	v_xor_b32_e32 v2, s16, v5
	ds_load_b32 v119, v6 offset:1056
	v_and_b32_e32 v3, v3, v4
	v_add_nc_u32_e32 v121, 0x420, v6
	; wave barrier
	v_and_b32_e32 v2, v3, v2
	s_delay_alu instid0(VALU_DEP_1) | instskip(SKIP_1) | instid1(VALU_DEP_2)
	v_mbcnt_lo_u32_b32 v120, v2, 0
	v_cmp_ne_u32_e64 s16, 0, v2
	v_cmp_eq_u32_e32 vcc_lo, 0, v120
	s_delay_alu instid0(VALU_DEP_2) | instskip(NEXT) | instid1(SALU_CYCLE_1)
	s_and_b32 s17, s16, vcc_lo
	s_and_saveexec_b32 s16, s17
	s_cbranch_execz .LBB1436_594
; %bb.593:                              ;   in Loop: Header=BB1436_566 Depth=2
	s_waitcnt lgkmcnt(0)
	v_bcnt_u32_b32 v2, v2, v119
	ds_store_b32 v121, v2
.LBB1436_594:                           ;   in Loop: Header=BB1436_566 Depth=2
	s_or_b32 exec_lo, exec_lo, s16
	v_cmp_lt_i32_e32 vcc_lo, -1, v9
	; wave barrier
	v_cndmask_b32_e64 v2, -1, 0x80000000, vcc_lo
	s_delay_alu instid0(VALU_DEP_1) | instskip(NEXT) | instid1(VALU_DEP_1)
	v_xor_b32_e32 v118, v2, v9
	v_cmp_ne_u32_e32 vcc_lo, 0x7fffffff, v118
	v_cndmask_b32_e32 v2, 0x80000000, v118, vcc_lo
	s_delay_alu instid0(VALU_DEP_1) | instskip(NEXT) | instid1(VALU_DEP_1)
	v_lshrrev_b32_e32 v2, s57, v2
	v_and_b32_e32 v2, s31, v2
	s_delay_alu instid0(VALU_DEP_1)
	v_and_b32_e32 v3, 1, v2
	v_lshlrev_b32_e32 v4, 30, v2
	v_lshlrev_b32_e32 v5, 29, v2
	;; [unrolled: 1-line block ×4, first 2 shown]
	v_add_co_u32 v3, s16, v3, -1
	s_delay_alu instid0(VALU_DEP_1)
	v_cndmask_b32_e64 v7, 0, 1, s16
	v_not_b32_e32 v123, v4
	v_cmp_gt_i32_e64 s16, 0, v4
	v_not_b32_e32 v4, v5
	v_lshlrev_b32_e32 v9, 26, v2
	v_cmp_ne_u32_e32 vcc_lo, 0, v7
	v_ashrrev_i32_e32 v123, 31, v123
	v_lshlrev_b32_e32 v122, 25, v2
	v_ashrrev_i32_e32 v4, 31, v4
	v_lshlrev_b32_e32 v7, 24, v2
	v_xor_b32_e32 v3, vcc_lo, v3
	v_cmp_gt_i32_e32 vcc_lo, 0, v5
	v_not_b32_e32 v5, v6
	v_xor_b32_e32 v123, s16, v123
	v_cmp_gt_i32_e64 s16, 0, v6
	v_and_b32_e32 v3, exec_lo, v3
	v_not_b32_e32 v6, v8
	v_ashrrev_i32_e32 v5, 31, v5
	v_xor_b32_e32 v4, vcc_lo, v4
	v_cmp_gt_i32_e32 vcc_lo, 0, v8
	v_and_b32_e32 v3, v3, v123
	v_not_b32_e32 v8, v9
	v_ashrrev_i32_e32 v6, 31, v6
	v_xor_b32_e32 v5, s16, v5
	v_cmp_gt_i32_e64 s16, 0, v9
	v_and_b32_e32 v3, v3, v4
	v_not_b32_e32 v4, v122
	v_ashrrev_i32_e32 v8, 31, v8
	v_xor_b32_e32 v6, vcc_lo, v6
	v_cmp_gt_i32_e32 vcc_lo, 0, v122
	v_and_b32_e32 v3, v3, v5
	v_not_b32_e32 v5, v7
	v_ashrrev_i32_e32 v4, 31, v4
	v_xor_b32_e32 v8, s16, v8
	v_mul_u32_u24_e32 v2, 9, v2
	v_and_b32_e32 v3, v3, v6
	v_cmp_gt_i32_e64 s16, 0, v7
	v_ashrrev_i32_e32 v5, 31, v5
	v_xor_b32_e32 v4, vcc_lo, v4
	v_add_lshl_u32 v6, v2, v86, 2
	v_and_b32_e32 v3, v3, v8
	s_delay_alu instid0(VALU_DEP_4) | instskip(SKIP_3) | instid1(VALU_DEP_2)
	v_xor_b32_e32 v2, s16, v5
	ds_load_b32 v122, v6 offset:1056
	v_and_b32_e32 v3, v3, v4
	v_add_nc_u32_e32 v124, 0x420, v6
	; wave barrier
	v_and_b32_e32 v2, v3, v2
	s_delay_alu instid0(VALU_DEP_1) | instskip(SKIP_1) | instid1(VALU_DEP_2)
	v_mbcnt_lo_u32_b32 v123, v2, 0
	v_cmp_ne_u32_e64 s16, 0, v2
	v_cmp_eq_u32_e32 vcc_lo, 0, v123
	s_delay_alu instid0(VALU_DEP_2) | instskip(NEXT) | instid1(SALU_CYCLE_1)
	s_and_b32 s17, s16, vcc_lo
	s_and_saveexec_b32 s16, s17
	s_cbranch_execz .LBB1436_596
; %bb.595:                              ;   in Loop: Header=BB1436_566 Depth=2
	s_waitcnt lgkmcnt(0)
	v_bcnt_u32_b32 v2, v2, v122
	ds_store_b32 v124, v2
.LBB1436_596:                           ;   in Loop: Header=BB1436_566 Depth=2
	s_or_b32 exec_lo, exec_lo, s16
	; wave barrier
	s_waitcnt lgkmcnt(0)
	s_barrier
	buffer_gl0_inv
	ds_load_b32 v125, v49 offset:1056
	ds_load_2addr_b32 v[8:9], v51 offset0:1 offset1:2
	ds_load_2addr_b32 v[6:7], v51 offset0:3 offset1:4
	;; [unrolled: 1-line block ×4, first 2 shown]
	s_waitcnt lgkmcnt(3)
	v_add3_u32 v126, v8, v125, v9
	s_waitcnt lgkmcnt(2)
	s_delay_alu instid0(VALU_DEP_1) | instskip(SKIP_1) | instid1(VALU_DEP_1)
	v_add3_u32 v126, v126, v6, v7
	s_waitcnt lgkmcnt(1)
	v_add3_u32 v126, v126, v2, v3
	s_waitcnt lgkmcnt(0)
	s_delay_alu instid0(VALU_DEP_1) | instskip(NEXT) | instid1(VALU_DEP_1)
	v_add3_u32 v5, v126, v4, v5
	v_mov_b32_dpp v126, v5 row_shr:1 row_mask:0xf bank_mask:0xf
	s_delay_alu instid0(VALU_DEP_1) | instskip(NEXT) | instid1(VALU_DEP_1)
	v_cndmask_b32_e64 v126, v126, 0, s1
	v_add_nc_u32_e32 v5, v126, v5
	s_delay_alu instid0(VALU_DEP_1) | instskip(NEXT) | instid1(VALU_DEP_1)
	v_mov_b32_dpp v126, v5 row_shr:2 row_mask:0xf bank_mask:0xf
	v_cndmask_b32_e64 v126, 0, v126, s7
	s_delay_alu instid0(VALU_DEP_1) | instskip(NEXT) | instid1(VALU_DEP_1)
	v_add_nc_u32_e32 v5, v5, v126
	v_mov_b32_dpp v126, v5 row_shr:4 row_mask:0xf bank_mask:0xf
	s_delay_alu instid0(VALU_DEP_1) | instskip(NEXT) | instid1(VALU_DEP_1)
	v_cndmask_b32_e64 v126, 0, v126, s8
	v_add_nc_u32_e32 v5, v5, v126
	s_delay_alu instid0(VALU_DEP_1) | instskip(NEXT) | instid1(VALU_DEP_1)
	v_mov_b32_dpp v126, v5 row_shr:8 row_mask:0xf bank_mask:0xf
	v_cndmask_b32_e64 v126, 0, v126, s9
	s_delay_alu instid0(VALU_DEP_1) | instskip(SKIP_3) | instid1(VALU_DEP_1)
	v_add_nc_u32_e32 v5, v5, v126
	ds_swizzle_b32 v126, v5 offset:swizzle(BROADCAST,32,15)
	s_waitcnt lgkmcnt(0)
	v_cndmask_b32_e64 v126, v126, 0, s10
	v_add_nc_u32_e32 v5, v5, v126
	s_and_saveexec_b32 s16, s3
	s_cbranch_execz .LBB1436_598
; %bb.597:                              ;   in Loop: Header=BB1436_566 Depth=2
	ds_store_b32 v41, v5 offset:1024
.LBB1436_598:                           ;   in Loop: Header=BB1436_566 Depth=2
	s_or_b32 exec_lo, exec_lo, s16
	s_waitcnt lgkmcnt(0)
	s_barrier
	buffer_gl0_inv
	s_and_saveexec_b32 s16, s4
	s_cbranch_execz .LBB1436_600
; %bb.599:                              ;   in Loop: Header=BB1436_566 Depth=2
	ds_load_b32 v126, v52 offset:1024
	s_waitcnt lgkmcnt(0)
	v_mov_b32_dpp v127, v126 row_shr:1 row_mask:0xf bank_mask:0xf
	s_delay_alu instid0(VALU_DEP_1) | instskip(NEXT) | instid1(VALU_DEP_1)
	v_cndmask_b32_e64 v127, v127, 0, s12
	v_add_nc_u32_e32 v126, v127, v126
	s_delay_alu instid0(VALU_DEP_1) | instskip(NEXT) | instid1(VALU_DEP_1)
	v_mov_b32_dpp v127, v126 row_shr:2 row_mask:0xf bank_mask:0xf
	v_cndmask_b32_e64 v127, 0, v127, s13
	s_delay_alu instid0(VALU_DEP_1) | instskip(NEXT) | instid1(VALU_DEP_1)
	v_add_nc_u32_e32 v126, v126, v127
	v_mov_b32_dpp v127, v126 row_shr:4 row_mask:0xf bank_mask:0xf
	s_delay_alu instid0(VALU_DEP_1) | instskip(NEXT) | instid1(VALU_DEP_1)
	v_cndmask_b32_e64 v127, 0, v127, s14
	v_add_nc_u32_e32 v126, v126, v127
	ds_store_b32 v52, v126 offset:1024
.LBB1436_600:                           ;   in Loop: Header=BB1436_566 Depth=2
	s_or_b32 exec_lo, exec_lo, s16
	v_mov_b32_e32 v126, 0
	s_waitcnt lgkmcnt(0)
	s_barrier
	buffer_gl0_inv
	s_and_saveexec_b32 s16, s5
	s_cbranch_execz .LBB1436_602
; %bb.601:                              ;   in Loop: Header=BB1436_566 Depth=2
	ds_load_b32 v126, v41 offset:1020
.LBB1436_602:                           ;   in Loop: Header=BB1436_566 Depth=2
	s_or_b32 exec_lo, exec_lo, s16
	s_waitcnt lgkmcnt(0)
	v_add_nc_u32_e32 v5, v126, v5
	ds_bpermute_b32 v5, v73, v5
	s_waitcnt lgkmcnt(0)
	v_cndmask_b32_e64 v5, v5, v126, s11
	s_delay_alu instid0(VALU_DEP_1) | instskip(NEXT) | instid1(VALU_DEP_1)
	v_cndmask_b32_e64 v5, v5, 0, s0
	v_add_nc_u32_e32 v125, v5, v125
	s_delay_alu instid0(VALU_DEP_1) | instskip(NEXT) | instid1(VALU_DEP_1)
	v_add_nc_u32_e32 v8, v125, v8
	v_add_nc_u32_e32 v9, v8, v9
	s_delay_alu instid0(VALU_DEP_1) | instskip(NEXT) | instid1(VALU_DEP_1)
	v_add_nc_u32_e32 v6, v9, v6
	;; [unrolled: 3-line block ×3, first 2 shown]
	v_add_nc_u32_e32 v3, v2, v3
	s_delay_alu instid0(VALU_DEP_1)
	v_add_nc_u32_e32 v4, v3, v4
	ds_store_b32 v49, v5 offset:1056
	ds_store_2addr_b32 v51, v125, v8 offset0:1 offset1:2
	ds_store_2addr_b32 v51, v9, v6 offset0:3 offset1:4
	;; [unrolled: 1-line block ×4, first 2 shown]
	v_mov_b32_e32 v4, 0x800
	s_waitcnt lgkmcnt(0)
	s_barrier
	buffer_gl0_inv
	ds_load_b32 v5, v101
	ds_load_b32 v6, v105
	;; [unrolled: 1-line block ×8, first 2 shown]
	ds_load_b32 v101, v49 offset:1056
	s_and_saveexec_b32 s16, s6
	s_cbranch_execz .LBB1436_604
; %bb.603:                              ;   in Loop: Header=BB1436_566 Depth=2
	ds_load_b32 v4, v53 offset:1056
.LBB1436_604:                           ;   in Loop: Header=BB1436_566 Depth=2
	s_or_b32 exec_lo, exec_lo, s16
	s_waitcnt lgkmcnt(0)
	s_barrier
	buffer_gl0_inv
	s_and_saveexec_b32 s16, s2
	s_cbranch_execz .LBB1436_606
; %bb.605:                              ;   in Loop: Header=BB1436_566 Depth=2
	ds_load_b32 v105, v31
	s_waitcnt lgkmcnt(0)
	v_sub_nc_u32_e32 v101, v105, v101
	ds_store_b32 v31, v101
.LBB1436_606:                           ;   in Loop: Header=BB1436_566 Depth=2
	s_or_b32 exec_lo, exec_lo, s16
	v_add_nc_u32_e32 v101, v97, v29
	v_add3_u32 v29, v104, v102, v6
	v_add3_u32 v7, v108, v107, v7
	;; [unrolled: 1-line block ×5, first 2 shown]
	v_lshlrev_b32_e32 v98, 2, v101
	v_add3_u32 v8, v120, v119, v3
	v_lshlrev_b32_e32 v3, 2, v29
	v_add3_u32 v9, v123, v122, v2
	v_lshlrev_b32_e32 v2, 2, v7
	v_lshlrev_b32_e32 v99, 2, v97
	ds_store_b32 v98, v19 offset:1024
	ds_store_b32 v99, v30 offset:1024
	;; [unrolled: 1-line block ×3, first 2 shown]
	v_lshlrev_b32_e32 v3, 2, v6
	ds_store_b32 v2, v103 offset:1024
	v_lshlrev_b32_e32 v2, 2, v9
	v_cmp_lt_u32_e32 vcc_lo, v18, v0
	v_lshlrev_b32_e32 v19, 2, v5
	v_lshlrev_b32_e32 v30, 2, v8
	ds_store_b32 v3, v106 offset:1024
	ds_store_b32 v19, v110 offset:1024
	ds_store_b32 v30, v114 offset:1024
	ds_store_b32 v2, v118 offset:1024
	s_waitcnt lgkmcnt(0)
	s_barrier
	buffer_gl0_inv
	s_and_saveexec_b32 s17, vcc_lo
	s_cbranch_execz .LBB1436_614
; %bb.607:                              ;   in Loop: Header=BB1436_566 Depth=2
	ds_load_b32 v30, v52 offset:1024
	s_waitcnt lgkmcnt(0)
	v_cmp_ne_u32_e64 s16, 0x7fffffff, v30
	s_delay_alu instid0(VALU_DEP_1) | instskip(SKIP_1) | instid1(VALU_DEP_2)
	v_cndmask_b32_e64 v2, 0x80000000, v30, s16
	v_cmp_lt_i32_e64 s16, -1, v30
	v_lshrrev_b32_e32 v2, s57, v2
	s_delay_alu instid0(VALU_DEP_2) | instskip(NEXT) | instid1(VALU_DEP_2)
	v_cndmask_b32_e64 v98, 0x80000000, -1, s16
	v_and_b32_e32 v2, s31, v2
	s_delay_alu instid0(VALU_DEP_1) | instskip(SKIP_3) | instid1(VALU_DEP_1)
	v_lshlrev_b32_e32 v2, 2, v2
	ds_load_b32 v2, v2
	s_waitcnt lgkmcnt(0)
	v_add_nc_u32_e32 v19, v2, v18
	v_lshlrev_b64 v[2:3], 2, v[19:20]
	v_xor_b32_e32 v19, v98, v30
	s_delay_alu instid0(VALU_DEP_2) | instskip(NEXT) | instid1(VALU_DEP_1)
	v_add_co_u32 v2, s16, s48, v2
	v_add_co_ci_u32_e64 v3, s16, s49, v3, s16
	global_store_b32 v[2:3], v19, off
	s_or_b32 exec_lo, exec_lo, s17
	v_cmp_lt_u32_e64 s16, v32, v0
	s_delay_alu instid0(VALU_DEP_1)
	s_and_saveexec_b32 s18, s16
	s_cbranch_execnz .LBB1436_615
.LBB1436_608:                           ;   in Loop: Header=BB1436_566 Depth=2
	s_or_b32 exec_lo, exec_lo, s18
	v_cmp_lt_u32_e64 s17, v33, v0
	s_delay_alu instid0(VALU_DEP_1)
	s_and_saveexec_b32 s19, s17
	s_cbranch_execz .LBB1436_616
.LBB1436_609:                           ;   in Loop: Header=BB1436_566 Depth=2
	ds_load_b32 v30, v58 offset:2048
	s_waitcnt lgkmcnt(0)
	v_cmp_ne_u32_e64 s18, 0x7fffffff, v30
	s_delay_alu instid0(VALU_DEP_1) | instskip(SKIP_1) | instid1(VALU_DEP_2)
	v_cndmask_b32_e64 v2, 0x80000000, v30, s18
	v_cmp_lt_i32_e64 s18, -1, v30
	v_lshrrev_b32_e32 v2, s57, v2
	s_delay_alu instid0(VALU_DEP_2) | instskip(NEXT) | instid1(VALU_DEP_2)
	v_cndmask_b32_e64 v98, 0x80000000, -1, s18
	v_and_b32_e32 v2, s31, v2
	s_delay_alu instid0(VALU_DEP_1) | instskip(SKIP_3) | instid1(VALU_DEP_1)
	v_lshlrev_b32_e32 v2, 2, v2
	ds_load_b32 v2, v2
	s_waitcnt lgkmcnt(0)
	v_add_nc_u32_e32 v19, v2, v33
	v_lshlrev_b64 v[2:3], 2, v[19:20]
	v_xor_b32_e32 v19, v98, v30
	s_delay_alu instid0(VALU_DEP_2) | instskip(NEXT) | instid1(VALU_DEP_1)
	v_add_co_u32 v2, s18, s48, v2
	v_add_co_ci_u32_e64 v3, s18, s49, v3, s18
	global_store_b32 v[2:3], v19, off
	s_or_b32 exec_lo, exec_lo, s19
	v_cmp_lt_u32_e64 s18, v34, v0
	s_delay_alu instid0(VALU_DEP_1)
	s_and_saveexec_b32 s20, s18
	s_cbranch_execnz .LBB1436_617
.LBB1436_610:                           ;   in Loop: Header=BB1436_566 Depth=2
	s_or_b32 exec_lo, exec_lo, s20
	v_cmp_lt_u32_e64 s19, v38, v0
	s_delay_alu instid0(VALU_DEP_1)
	s_and_saveexec_b32 s21, s19
	s_cbranch_execz .LBB1436_618
.LBB1436_611:                           ;   in Loop: Header=BB1436_566 Depth=2
	ds_load_b32 v30, v58 offset:4096
	s_waitcnt lgkmcnt(0)
	v_cmp_ne_u32_e64 s20, 0x7fffffff, v30
	s_delay_alu instid0(VALU_DEP_1) | instskip(SKIP_1) | instid1(VALU_DEP_2)
	v_cndmask_b32_e64 v2, 0x80000000, v30, s20
	v_cmp_lt_i32_e64 s20, -1, v30
	v_lshrrev_b32_e32 v2, s57, v2
	s_delay_alu instid0(VALU_DEP_2) | instskip(NEXT) | instid1(VALU_DEP_2)
	v_cndmask_b32_e64 v98, 0x80000000, -1, s20
	v_and_b32_e32 v2, s31, v2
	s_delay_alu instid0(VALU_DEP_1) | instskip(SKIP_3) | instid1(VALU_DEP_1)
	v_lshlrev_b32_e32 v2, 2, v2
	ds_load_b32 v2, v2
	s_waitcnt lgkmcnt(0)
	v_add_nc_u32_e32 v19, v2, v38
	v_lshlrev_b64 v[2:3], 2, v[19:20]
	v_xor_b32_e32 v19, v98, v30
	s_delay_alu instid0(VALU_DEP_2) | instskip(NEXT) | instid1(VALU_DEP_1)
	v_add_co_u32 v2, s20, s48, v2
	v_add_co_ci_u32_e64 v3, s20, s49, v3, s20
	global_store_b32 v[2:3], v19, off
	s_or_b32 exec_lo, exec_lo, s21
	v_cmp_lt_u32_e64 s20, v39, v0
	s_delay_alu instid0(VALU_DEP_1)
	s_and_saveexec_b32 s22, s20
	s_cbranch_execnz .LBB1436_619
.LBB1436_612:                           ;   in Loop: Header=BB1436_566 Depth=2
	s_or_b32 exec_lo, exec_lo, s22
	v_cmp_lt_u32_e64 s21, v40, v0
	s_delay_alu instid0(VALU_DEP_1)
	s_and_saveexec_b32 s23, s21
	s_cbranch_execz .LBB1436_620
.LBB1436_613:                           ;   in Loop: Header=BB1436_566 Depth=2
	ds_load_b32 v30, v58 offset:6144
	s_waitcnt lgkmcnt(0)
	v_cmp_ne_u32_e64 s22, 0x7fffffff, v30
	s_delay_alu instid0(VALU_DEP_1) | instskip(SKIP_1) | instid1(VALU_DEP_2)
	v_cndmask_b32_e64 v2, 0x80000000, v30, s22
	v_cmp_lt_i32_e64 s22, -1, v30
	v_lshrrev_b32_e32 v2, s57, v2
	s_delay_alu instid0(VALU_DEP_2) | instskip(NEXT) | instid1(VALU_DEP_2)
	v_cndmask_b32_e64 v98, 0x80000000, -1, s22
	v_and_b32_e32 v2, s31, v2
	s_delay_alu instid0(VALU_DEP_1) | instskip(SKIP_3) | instid1(VALU_DEP_1)
	v_lshlrev_b32_e32 v2, 2, v2
	ds_load_b32 v2, v2
	s_waitcnt lgkmcnt(0)
	v_add_nc_u32_e32 v19, v2, v40
	v_lshlrev_b64 v[2:3], 2, v[19:20]
	v_xor_b32_e32 v19, v98, v30
	s_delay_alu instid0(VALU_DEP_2) | instskip(NEXT) | instid1(VALU_DEP_1)
	v_add_co_u32 v2, s22, s48, v2
	v_add_co_ci_u32_e64 v3, s22, s49, v3, s22
	global_store_b32 v[2:3], v19, off
	s_or_b32 exec_lo, exec_lo, s23
	v_cmp_lt_u32_e64 s22, v42, v0
	s_delay_alu instid0(VALU_DEP_1)
	s_and_saveexec_b32 s37, s22
	s_cbranch_execnz .LBB1436_621
	s_branch .LBB1436_622
.LBB1436_614:                           ;   in Loop: Header=BB1436_566 Depth=2
	s_or_b32 exec_lo, exec_lo, s17
	v_cmp_lt_u32_e64 s16, v32, v0
	s_delay_alu instid0(VALU_DEP_1)
	s_and_saveexec_b32 s18, s16
	s_cbranch_execz .LBB1436_608
.LBB1436_615:                           ;   in Loop: Header=BB1436_566 Depth=2
	ds_load_b32 v30, v58 offset:1024
	s_waitcnt lgkmcnt(0)
	v_cmp_ne_u32_e64 s17, 0x7fffffff, v30
	s_delay_alu instid0(VALU_DEP_1) | instskip(SKIP_1) | instid1(VALU_DEP_2)
	v_cndmask_b32_e64 v2, 0x80000000, v30, s17
	v_cmp_lt_i32_e64 s17, -1, v30
	v_lshrrev_b32_e32 v2, s57, v2
	s_delay_alu instid0(VALU_DEP_2) | instskip(NEXT) | instid1(VALU_DEP_2)
	v_cndmask_b32_e64 v98, 0x80000000, -1, s17
	v_and_b32_e32 v2, s31, v2
	s_delay_alu instid0(VALU_DEP_1) | instskip(SKIP_3) | instid1(VALU_DEP_1)
	v_lshlrev_b32_e32 v2, 2, v2
	ds_load_b32 v2, v2
	s_waitcnt lgkmcnt(0)
	v_add_nc_u32_e32 v19, v2, v32
	v_lshlrev_b64 v[2:3], 2, v[19:20]
	v_xor_b32_e32 v19, v98, v30
	s_delay_alu instid0(VALU_DEP_2) | instskip(NEXT) | instid1(VALU_DEP_1)
	v_add_co_u32 v2, s17, s48, v2
	v_add_co_ci_u32_e64 v3, s17, s49, v3, s17
	global_store_b32 v[2:3], v19, off
	s_or_b32 exec_lo, exec_lo, s18
	v_cmp_lt_u32_e64 s17, v33, v0
	s_delay_alu instid0(VALU_DEP_1)
	s_and_saveexec_b32 s19, s17
	s_cbranch_execnz .LBB1436_609
.LBB1436_616:                           ;   in Loop: Header=BB1436_566 Depth=2
	s_or_b32 exec_lo, exec_lo, s19
	v_cmp_lt_u32_e64 s18, v34, v0
	s_delay_alu instid0(VALU_DEP_1)
	s_and_saveexec_b32 s20, s18
	s_cbranch_execz .LBB1436_610
.LBB1436_617:                           ;   in Loop: Header=BB1436_566 Depth=2
	ds_load_b32 v30, v58 offset:3072
	s_waitcnt lgkmcnt(0)
	v_cmp_ne_u32_e64 s19, 0x7fffffff, v30
	s_delay_alu instid0(VALU_DEP_1) | instskip(SKIP_1) | instid1(VALU_DEP_2)
	v_cndmask_b32_e64 v2, 0x80000000, v30, s19
	v_cmp_lt_i32_e64 s19, -1, v30
	v_lshrrev_b32_e32 v2, s57, v2
	s_delay_alu instid0(VALU_DEP_2) | instskip(NEXT) | instid1(VALU_DEP_2)
	v_cndmask_b32_e64 v98, 0x80000000, -1, s19
	v_and_b32_e32 v2, s31, v2
	s_delay_alu instid0(VALU_DEP_1) | instskip(SKIP_3) | instid1(VALU_DEP_1)
	v_lshlrev_b32_e32 v2, 2, v2
	ds_load_b32 v2, v2
	s_waitcnt lgkmcnt(0)
	v_add_nc_u32_e32 v19, v2, v34
	v_lshlrev_b64 v[2:3], 2, v[19:20]
	v_xor_b32_e32 v19, v98, v30
	s_delay_alu instid0(VALU_DEP_2) | instskip(NEXT) | instid1(VALU_DEP_1)
	v_add_co_u32 v2, s19, s48, v2
	v_add_co_ci_u32_e64 v3, s19, s49, v3, s19
	global_store_b32 v[2:3], v19, off
	s_or_b32 exec_lo, exec_lo, s20
	v_cmp_lt_u32_e64 s19, v38, v0
	s_delay_alu instid0(VALU_DEP_1)
	s_and_saveexec_b32 s21, s19
	s_cbranch_execnz .LBB1436_611
.LBB1436_618:                           ;   in Loop: Header=BB1436_566 Depth=2
	s_or_b32 exec_lo, exec_lo, s21
	v_cmp_lt_u32_e64 s20, v39, v0
	s_delay_alu instid0(VALU_DEP_1)
	s_and_saveexec_b32 s22, s20
	s_cbranch_execz .LBB1436_612
.LBB1436_619:                           ;   in Loop: Header=BB1436_566 Depth=2
	ds_load_b32 v30, v58 offset:5120
	s_waitcnt lgkmcnt(0)
	v_cmp_ne_u32_e64 s21, 0x7fffffff, v30
	s_delay_alu instid0(VALU_DEP_1) | instskip(SKIP_1) | instid1(VALU_DEP_2)
	v_cndmask_b32_e64 v2, 0x80000000, v30, s21
	v_cmp_lt_i32_e64 s21, -1, v30
	v_lshrrev_b32_e32 v2, s57, v2
	s_delay_alu instid0(VALU_DEP_2) | instskip(NEXT) | instid1(VALU_DEP_2)
	v_cndmask_b32_e64 v98, 0x80000000, -1, s21
	v_and_b32_e32 v2, s31, v2
	s_delay_alu instid0(VALU_DEP_1) | instskip(SKIP_3) | instid1(VALU_DEP_1)
	v_lshlrev_b32_e32 v2, 2, v2
	ds_load_b32 v2, v2
	s_waitcnt lgkmcnt(0)
	v_add_nc_u32_e32 v19, v2, v39
	v_lshlrev_b64 v[2:3], 2, v[19:20]
	v_xor_b32_e32 v19, v98, v30
	s_delay_alu instid0(VALU_DEP_2) | instskip(NEXT) | instid1(VALU_DEP_1)
	v_add_co_u32 v2, s21, s48, v2
	v_add_co_ci_u32_e64 v3, s21, s49, v3, s21
	global_store_b32 v[2:3], v19, off
	s_or_b32 exec_lo, exec_lo, s22
	v_cmp_lt_u32_e64 s21, v40, v0
	s_delay_alu instid0(VALU_DEP_1)
	s_and_saveexec_b32 s23, s21
	s_cbranch_execnz .LBB1436_613
.LBB1436_620:                           ;   in Loop: Header=BB1436_566 Depth=2
	s_or_b32 exec_lo, exec_lo, s23
	v_cmp_lt_u32_e64 s22, v42, v0
	s_delay_alu instid0(VALU_DEP_1)
	s_and_saveexec_b32 s37, s22
	s_cbranch_execz .LBB1436_622
.LBB1436_621:                           ;   in Loop: Header=BB1436_566 Depth=2
	ds_load_b32 v30, v58 offset:7168
	s_waitcnt lgkmcnt(0)
	v_cmp_ne_u32_e64 s23, 0x7fffffff, v30
	s_delay_alu instid0(VALU_DEP_1) | instskip(SKIP_1) | instid1(VALU_DEP_2)
	v_cndmask_b32_e64 v2, 0x80000000, v30, s23
	v_cmp_lt_i32_e64 s23, -1, v30
	v_lshrrev_b32_e32 v2, s57, v2
	s_delay_alu instid0(VALU_DEP_2) | instskip(NEXT) | instid1(VALU_DEP_2)
	v_cndmask_b32_e64 v98, 0x80000000, -1, s23
	v_and_b32_e32 v2, s31, v2
	s_delay_alu instid0(VALU_DEP_1) | instskip(SKIP_3) | instid1(VALU_DEP_1)
	v_lshlrev_b32_e32 v2, 2, v2
	ds_load_b32 v2, v2
	s_waitcnt lgkmcnt(0)
	v_add_nc_u32_e32 v19, v2, v42
	v_lshlrev_b64 v[2:3], 2, v[19:20]
	v_xor_b32_e32 v19, v98, v30
	s_delay_alu instid0(VALU_DEP_2) | instskip(NEXT) | instid1(VALU_DEP_1)
	v_add_co_u32 v2, s23, s48, v2
	v_add_co_ci_u32_e64 v3, s23, s49, v3, s23
	global_store_b32 v[2:3], v19, off
.LBB1436_622:                           ;   in Loop: Header=BB1436_566 Depth=2
	s_or_b32 exec_lo, exec_lo, s37
	s_lshl_b64 s[38:39], s[24:25], 3
	s_delay_alu instid0(SALU_CYCLE_1) | instskip(NEXT) | instid1(VALU_DEP_1)
	v_add_co_u32 v2, s23, v75, s38
	v_add_co_ci_u32_e64 v3, s23, s39, v76, s23
	v_cmp_lt_u32_e64 s23, v74, v0
	s_delay_alu instid0(VALU_DEP_1) | instskip(NEXT) | instid1(SALU_CYCLE_1)
	s_and_saveexec_b32 s24, s23
	s_xor_b32 s23, exec_lo, s24
	s_cbranch_execz .LBB1436_638
; %bb.623:                              ;   in Loop: Header=BB1436_566 Depth=2
	global_load_b64 v[27:28], v[2:3], off
	s_or_b32 exec_lo, exec_lo, s23
	s_delay_alu instid0(SALU_CYCLE_1)
	s_mov_b32 s24, exec_lo
	v_cmpx_lt_u32_e64 v77, v0
	s_cbranch_execnz .LBB1436_639
.LBB1436_624:                           ;   in Loop: Header=BB1436_566 Depth=2
	s_or_b32 exec_lo, exec_lo, s24
	s_delay_alu instid0(SALU_CYCLE_1)
	s_mov_b32 s24, exec_lo
	v_cmpx_lt_u32_e64 v78, v0
	s_cbranch_execz .LBB1436_640
.LBB1436_625:                           ;   in Loop: Header=BB1436_566 Depth=2
	global_load_b64 v[23:24], v[2:3], off offset:512
	s_or_b32 exec_lo, exec_lo, s24
	s_delay_alu instid0(SALU_CYCLE_1)
	s_mov_b32 s24, exec_lo
	v_cmpx_lt_u32_e64 v79, v0
	s_cbranch_execnz .LBB1436_641
.LBB1436_626:                           ;   in Loop: Header=BB1436_566 Depth=2
	s_or_b32 exec_lo, exec_lo, s24
	s_delay_alu instid0(SALU_CYCLE_1)
	s_mov_b32 s24, exec_lo
	v_cmpx_lt_u32_e64 v80, v0
	s_cbranch_execz .LBB1436_642
.LBB1436_627:                           ;   in Loop: Header=BB1436_566 Depth=2
	global_load_b64 v[16:17], v[2:3], off offset:1024
	s_or_b32 exec_lo, exec_lo, s24
	s_delay_alu instid0(SALU_CYCLE_1)
	s_mov_b32 s24, exec_lo
	v_cmpx_lt_u32_e64 v81, v0
	s_cbranch_execnz .LBB1436_643
.LBB1436_628:                           ;   in Loop: Header=BB1436_566 Depth=2
	s_or_b32 exec_lo, exec_lo, s24
	s_delay_alu instid0(SALU_CYCLE_1)
	s_mov_b32 s24, exec_lo
	v_cmpx_lt_u32_e64 v82, v0
	s_cbranch_execz .LBB1436_644
.LBB1436_629:                           ;   in Loop: Header=BB1436_566 Depth=2
	global_load_b64 v[12:13], v[2:3], off offset:1536
	s_or_b32 exec_lo, exec_lo, s24
	s_delay_alu instid0(SALU_CYCLE_1)
	s_mov_b32 s24, exec_lo
	v_cmpx_lt_u32_e64 v83, v0
	s_cbranch_execnz .LBB1436_645
.LBB1436_630:                           ;   in Loop: Header=BB1436_566 Depth=2
	s_or_b32 exec_lo, exec_lo, s24
	s_and_saveexec_b32 s24, vcc_lo
	s_cbranch_execz .LBB1436_646
.LBB1436_631:                           ;   in Loop: Header=BB1436_566 Depth=2
	ds_load_b32 v0, v52 offset:1024
	s_waitcnt lgkmcnt(0)
	v_cmp_ne_u32_e64 s23, 0x7fffffff, v0
	s_delay_alu instid0(VALU_DEP_1) | instskip(NEXT) | instid1(VALU_DEP_1)
	v_cndmask_b32_e64 v0, 0x80000000, v0, s23
	v_lshrrev_b32_e32 v0, s57, v0
	s_delay_alu instid0(VALU_DEP_1)
	v_and_b32_e32 v96, s31, v0
	s_or_b32 exec_lo, exec_lo, s24
	s_and_saveexec_b32 s24, s16
	s_cbranch_execnz .LBB1436_647
.LBB1436_632:                           ;   in Loop: Header=BB1436_566 Depth=2
	s_or_b32 exec_lo, exec_lo, s24
	s_and_saveexec_b32 s24, s17
	s_cbranch_execz .LBB1436_648
.LBB1436_633:                           ;   in Loop: Header=BB1436_566 Depth=2
	ds_load_b32 v0, v58 offset:2048
	s_waitcnt lgkmcnt(0)
	v_cmp_ne_u32_e64 s23, 0x7fffffff, v0
	s_delay_alu instid0(VALU_DEP_1) | instskip(NEXT) | instid1(VALU_DEP_1)
	v_cndmask_b32_e64 v0, 0x80000000, v0, s23
	v_lshrrev_b32_e32 v0, s57, v0
	s_delay_alu instid0(VALU_DEP_1)
	v_and_b32_e32 v94, s31, v0
	s_or_b32 exec_lo, exec_lo, s24
	s_and_saveexec_b32 s24, s18
	s_cbranch_execnz .LBB1436_649
.LBB1436_634:                           ;   in Loop: Header=BB1436_566 Depth=2
	s_or_b32 exec_lo, exec_lo, s24
	s_and_saveexec_b32 s24, s19
	s_cbranch_execz .LBB1436_650
.LBB1436_635:                           ;   in Loop: Header=BB1436_566 Depth=2
	ds_load_b32 v0, v58 offset:4096
	s_waitcnt lgkmcnt(0)
	v_cmp_ne_u32_e64 s23, 0x7fffffff, v0
	s_delay_alu instid0(VALU_DEP_1) | instskip(NEXT) | instid1(VALU_DEP_1)
	v_cndmask_b32_e64 v0, 0x80000000, v0, s23
	v_lshrrev_b32_e32 v0, s57, v0
	s_delay_alu instid0(VALU_DEP_1)
	v_and_b32_e32 v92, s31, v0
	s_or_b32 exec_lo, exec_lo, s24
	s_and_saveexec_b32 s24, s20
	s_cbranch_execnz .LBB1436_651
.LBB1436_636:                           ;   in Loop: Header=BB1436_566 Depth=2
	s_or_b32 exec_lo, exec_lo, s24
	s_and_saveexec_b32 s24, s21
	s_cbranch_execz .LBB1436_652
.LBB1436_637:                           ;   in Loop: Header=BB1436_566 Depth=2
	ds_load_b32 v0, v58 offset:6144
	s_waitcnt lgkmcnt(0)
	v_cmp_ne_u32_e64 s23, 0x7fffffff, v0
	s_delay_alu instid0(VALU_DEP_1) | instskip(NEXT) | instid1(VALU_DEP_1)
	v_cndmask_b32_e64 v0, 0x80000000, v0, s23
	v_lshrrev_b32_e32 v0, s57, v0
	s_delay_alu instid0(VALU_DEP_1)
	v_and_b32_e32 v90, s31, v0
	s_or_b32 exec_lo, exec_lo, s24
	s_and_saveexec_b32 s24, s22
	s_cbranch_execnz .LBB1436_653
	s_branch .LBB1436_654
.LBB1436_638:                           ;   in Loop: Header=BB1436_566 Depth=2
	s_or_b32 exec_lo, exec_lo, s23
	s_delay_alu instid0(SALU_CYCLE_1)
	s_mov_b32 s24, exec_lo
	v_cmpx_lt_u32_e64 v77, v0
	s_cbranch_execz .LBB1436_624
.LBB1436_639:                           ;   in Loop: Header=BB1436_566 Depth=2
	global_load_b64 v[25:26], v[2:3], off offset:256
	s_or_b32 exec_lo, exec_lo, s24
	s_delay_alu instid0(SALU_CYCLE_1)
	s_mov_b32 s24, exec_lo
	v_cmpx_lt_u32_e64 v78, v0
	s_cbranch_execnz .LBB1436_625
.LBB1436_640:                           ;   in Loop: Header=BB1436_566 Depth=2
	s_or_b32 exec_lo, exec_lo, s24
	s_delay_alu instid0(SALU_CYCLE_1)
	s_mov_b32 s24, exec_lo
	v_cmpx_lt_u32_e64 v79, v0
	s_cbranch_execz .LBB1436_626
.LBB1436_641:                           ;   in Loop: Header=BB1436_566 Depth=2
	global_load_b64 v[21:22], v[2:3], off offset:768
	s_or_b32 exec_lo, exec_lo, s24
	s_delay_alu instid0(SALU_CYCLE_1)
	s_mov_b32 s24, exec_lo
	v_cmpx_lt_u32_e64 v80, v0
	s_cbranch_execnz .LBB1436_627
.LBB1436_642:                           ;   in Loop: Header=BB1436_566 Depth=2
	s_or_b32 exec_lo, exec_lo, s24
	s_delay_alu instid0(SALU_CYCLE_1)
	s_mov_b32 s24, exec_lo
	v_cmpx_lt_u32_e64 v81, v0
	s_cbranch_execz .LBB1436_628
.LBB1436_643:                           ;   in Loop: Header=BB1436_566 Depth=2
	global_load_b64 v[14:15], v[2:3], off offset:1280
	s_or_b32 exec_lo, exec_lo, s24
	s_delay_alu instid0(SALU_CYCLE_1)
	s_mov_b32 s24, exec_lo
	v_cmpx_lt_u32_e64 v82, v0
	s_cbranch_execnz .LBB1436_629
.LBB1436_644:                           ;   in Loop: Header=BB1436_566 Depth=2
	s_or_b32 exec_lo, exec_lo, s24
	s_delay_alu instid0(SALU_CYCLE_1)
	s_mov_b32 s24, exec_lo
	v_cmpx_lt_u32_e64 v83, v0
	s_cbranch_execz .LBB1436_630
.LBB1436_645:                           ;   in Loop: Header=BB1436_566 Depth=2
	global_load_b64 v[10:11], v[2:3], off offset:1792
	s_or_b32 exec_lo, exec_lo, s24
	s_and_saveexec_b32 s24, vcc_lo
	s_cbranch_execnz .LBB1436_631
.LBB1436_646:                           ;   in Loop: Header=BB1436_566 Depth=2
	s_or_b32 exec_lo, exec_lo, s24
	s_and_saveexec_b32 s24, s16
	s_cbranch_execz .LBB1436_632
.LBB1436_647:                           ;   in Loop: Header=BB1436_566 Depth=2
	ds_load_b32 v0, v58 offset:1024
	s_waitcnt lgkmcnt(0)
	v_cmp_ne_u32_e64 s23, 0x7fffffff, v0
	s_delay_alu instid0(VALU_DEP_1) | instskip(NEXT) | instid1(VALU_DEP_1)
	v_cndmask_b32_e64 v0, 0x80000000, v0, s23
	v_lshrrev_b32_e32 v0, s57, v0
	s_delay_alu instid0(VALU_DEP_1)
	v_and_b32_e32 v95, s31, v0
	s_or_b32 exec_lo, exec_lo, s24
	s_and_saveexec_b32 s24, s17
	s_cbranch_execnz .LBB1436_633
.LBB1436_648:                           ;   in Loop: Header=BB1436_566 Depth=2
	s_or_b32 exec_lo, exec_lo, s24
	s_and_saveexec_b32 s24, s18
	s_cbranch_execz .LBB1436_634
.LBB1436_649:                           ;   in Loop: Header=BB1436_566 Depth=2
	ds_load_b32 v0, v58 offset:3072
	s_waitcnt lgkmcnt(0)
	v_cmp_ne_u32_e64 s23, 0x7fffffff, v0
	s_delay_alu instid0(VALU_DEP_1) | instskip(NEXT) | instid1(VALU_DEP_1)
	v_cndmask_b32_e64 v0, 0x80000000, v0, s23
	v_lshrrev_b32_e32 v0, s57, v0
	s_delay_alu instid0(VALU_DEP_1)
	v_and_b32_e32 v93, s31, v0
	s_or_b32 exec_lo, exec_lo, s24
	s_and_saveexec_b32 s24, s19
	s_cbranch_execnz .LBB1436_635
.LBB1436_650:                           ;   in Loop: Header=BB1436_566 Depth=2
	s_or_b32 exec_lo, exec_lo, s24
	s_and_saveexec_b32 s24, s20
	s_cbranch_execz .LBB1436_636
.LBB1436_651:                           ;   in Loop: Header=BB1436_566 Depth=2
	ds_load_b32 v0, v58 offset:5120
	s_waitcnt lgkmcnt(0)
	v_cmp_ne_u32_e64 s23, 0x7fffffff, v0
	s_delay_alu instid0(VALU_DEP_1) | instskip(NEXT) | instid1(VALU_DEP_1)
	v_cndmask_b32_e64 v0, 0x80000000, v0, s23
	v_lshrrev_b32_e32 v0, s57, v0
	s_delay_alu instid0(VALU_DEP_1)
	v_and_b32_e32 v91, s31, v0
	s_or_b32 exec_lo, exec_lo, s24
	s_and_saveexec_b32 s24, s21
	s_cbranch_execnz .LBB1436_637
.LBB1436_652:                           ;   in Loop: Header=BB1436_566 Depth=2
	s_or_b32 exec_lo, exec_lo, s24
	s_and_saveexec_b32 s24, s22
	s_cbranch_execz .LBB1436_654
.LBB1436_653:                           ;   in Loop: Header=BB1436_566 Depth=2
	ds_load_b32 v0, v58 offset:7168
	s_waitcnt lgkmcnt(0)
	v_cmp_ne_u32_e64 s23, 0x7fffffff, v0
	s_delay_alu instid0(VALU_DEP_1) | instskip(NEXT) | instid1(VALU_DEP_1)
	v_cndmask_b32_e64 v0, 0x80000000, v0, s23
	v_lshrrev_b32_e32 v0, s57, v0
	s_delay_alu instid0(VALU_DEP_1)
	v_and_b32_e32 v89, s31, v0
.LBB1436_654:                           ;   in Loop: Header=BB1436_566 Depth=2
	s_or_b32 exec_lo, exec_lo, s24
	v_lshlrev_b32_e32 v0, 3, v101
	v_lshlrev_b32_e32 v2, 3, v97
	;; [unrolled: 1-line block ×3, first 2 shown]
	s_waitcnt vmcnt(0)
	s_waitcnt_vscnt null, 0x0
	s_barrier
	buffer_gl0_inv
	ds_store_b64 v0, v[27:28] offset:1024
	ds_store_b64 v2, v[25:26] offset:1024
	;; [unrolled: 1-line block ×3, first 2 shown]
	v_lshlrev_b32_e32 v0, 3, v7
	v_lshlrev_b32_e32 v2, 3, v6
	v_lshlrev_b32_e32 v3, 3, v5
	v_lshlrev_b32_e32 v5, 3, v8
	v_lshlrev_b32_e32 v6, 3, v9
	ds_store_b64 v0, v[21:22] offset:1024
	ds_store_b64 v2, v[16:17] offset:1024
	;; [unrolled: 1-line block ×5, first 2 shown]
	s_waitcnt lgkmcnt(0)
	s_barrier
	buffer_gl0_inv
	s_and_saveexec_b32 s23, vcc_lo
	s_cbranch_execz .LBB1436_662
; %bb.655:                              ;   in Loop: Header=BB1436_566 Depth=2
	v_lshlrev_b32_e32 v0, 2, v96
	v_add_nc_u32_e32 v2, v52, v31
	ds_load_b32 v0, v0
	ds_load_b64 v[2:3], v2 offset:1024
	s_waitcnt lgkmcnt(1)
	v_add_nc_u32_e32 v19, v0, v18
	s_delay_alu instid0(VALU_DEP_1) | instskip(NEXT) | instid1(VALU_DEP_1)
	v_lshlrev_b64 v[5:6], 3, v[19:20]
	v_add_co_u32 v5, vcc_lo, s54, v5
	s_delay_alu instid0(VALU_DEP_2)
	v_add_co_ci_u32_e32 v6, vcc_lo, s55, v6, vcc_lo
	s_waitcnt lgkmcnt(0)
	global_store_b64 v[5:6], v[2:3], off
	s_or_b32 exec_lo, exec_lo, s23
	v_add_nc_u32_e32 v0, v58, v31
	s_and_saveexec_b32 s23, s16
	s_cbranch_execnz .LBB1436_663
.LBB1436_656:                           ;   in Loop: Header=BB1436_566 Depth=2
	s_or_b32 exec_lo, exec_lo, s23
	s_and_saveexec_b32 s16, s17
	s_cbranch_execz .LBB1436_664
.LBB1436_657:                           ;   in Loop: Header=BB1436_566 Depth=2
	v_lshlrev_b32_e32 v2, 2, v94
	ds_load_b32 v5, v2
	ds_load_b64 v[2:3], v0 offset:4096
	s_waitcnt lgkmcnt(1)
	v_add_nc_u32_e32 v19, v5, v33
	s_delay_alu instid0(VALU_DEP_1) | instskip(NEXT) | instid1(VALU_DEP_1)
	v_lshlrev_b64 v[5:6], 3, v[19:20]
	v_add_co_u32 v5, vcc_lo, s54, v5
	s_delay_alu instid0(VALU_DEP_2)
	v_add_co_ci_u32_e32 v6, vcc_lo, s55, v6, vcc_lo
	s_waitcnt lgkmcnt(0)
	global_store_b64 v[5:6], v[2:3], off
	s_or_b32 exec_lo, exec_lo, s16
	s_and_saveexec_b32 s16, s18
	s_cbranch_execnz .LBB1436_665
.LBB1436_658:                           ;   in Loop: Header=BB1436_566 Depth=2
	s_or_b32 exec_lo, exec_lo, s16
	s_and_saveexec_b32 s16, s19
	s_cbranch_execz .LBB1436_666
.LBB1436_659:                           ;   in Loop: Header=BB1436_566 Depth=2
	v_lshlrev_b32_e32 v2, 2, v92
	ds_load_b32 v5, v2
	ds_load_b64 v[2:3], v0 offset:8192
	s_waitcnt lgkmcnt(1)
	v_add_nc_u32_e32 v19, v5, v38
	s_delay_alu instid0(VALU_DEP_1) | instskip(NEXT) | instid1(VALU_DEP_1)
	v_lshlrev_b64 v[5:6], 3, v[19:20]
	v_add_co_u32 v5, vcc_lo, s54, v5
	s_delay_alu instid0(VALU_DEP_2)
	v_add_co_ci_u32_e32 v6, vcc_lo, s55, v6, vcc_lo
	s_waitcnt lgkmcnt(0)
	global_store_b64 v[5:6], v[2:3], off
	s_or_b32 exec_lo, exec_lo, s16
	s_and_saveexec_b32 s16, s20
	s_cbranch_execnz .LBB1436_667
.LBB1436_660:                           ;   in Loop: Header=BB1436_566 Depth=2
	s_or_b32 exec_lo, exec_lo, s16
	s_and_saveexec_b32 s16, s21
	s_cbranch_execz .LBB1436_668
.LBB1436_661:                           ;   in Loop: Header=BB1436_566 Depth=2
	v_lshlrev_b32_e32 v2, 2, v90
	ds_load_b32 v5, v2
	ds_load_b64 v[2:3], v0 offset:12288
	s_waitcnt lgkmcnt(1)
	v_add_nc_u32_e32 v19, v5, v40
	s_delay_alu instid0(VALU_DEP_1) | instskip(NEXT) | instid1(VALU_DEP_1)
	v_lshlrev_b64 v[5:6], 3, v[19:20]
	v_add_co_u32 v5, vcc_lo, s54, v5
	s_delay_alu instid0(VALU_DEP_2)
	v_add_co_ci_u32_e32 v6, vcc_lo, s55, v6, vcc_lo
	s_waitcnt lgkmcnt(0)
	global_store_b64 v[5:6], v[2:3], off
	s_or_b32 exec_lo, exec_lo, s16
	s_and_saveexec_b32 s16, s22
	s_cbranch_execnz .LBB1436_669
	s_branch .LBB1436_670
.LBB1436_662:                           ;   in Loop: Header=BB1436_566 Depth=2
	s_or_b32 exec_lo, exec_lo, s23
	v_add_nc_u32_e32 v0, v58, v31
	s_and_saveexec_b32 s23, s16
	s_cbranch_execz .LBB1436_656
.LBB1436_663:                           ;   in Loop: Header=BB1436_566 Depth=2
	v_lshlrev_b32_e32 v2, 2, v95
	ds_load_b32 v5, v2
	ds_load_b64 v[2:3], v0 offset:2048
	s_waitcnt lgkmcnt(1)
	v_add_nc_u32_e32 v19, v5, v32
	s_delay_alu instid0(VALU_DEP_1) | instskip(NEXT) | instid1(VALU_DEP_1)
	v_lshlrev_b64 v[5:6], 3, v[19:20]
	v_add_co_u32 v5, vcc_lo, s54, v5
	s_delay_alu instid0(VALU_DEP_2)
	v_add_co_ci_u32_e32 v6, vcc_lo, s55, v6, vcc_lo
	s_waitcnt lgkmcnt(0)
	global_store_b64 v[5:6], v[2:3], off
	s_or_b32 exec_lo, exec_lo, s23
	s_and_saveexec_b32 s16, s17
	s_cbranch_execnz .LBB1436_657
.LBB1436_664:                           ;   in Loop: Header=BB1436_566 Depth=2
	s_or_b32 exec_lo, exec_lo, s16
	s_and_saveexec_b32 s16, s18
	s_cbranch_execz .LBB1436_658
.LBB1436_665:                           ;   in Loop: Header=BB1436_566 Depth=2
	v_lshlrev_b32_e32 v2, 2, v93
	ds_load_b32 v5, v2
	ds_load_b64 v[2:3], v0 offset:6144
	s_waitcnt lgkmcnt(1)
	v_add_nc_u32_e32 v19, v5, v34
	s_delay_alu instid0(VALU_DEP_1) | instskip(NEXT) | instid1(VALU_DEP_1)
	v_lshlrev_b64 v[5:6], 3, v[19:20]
	v_add_co_u32 v5, vcc_lo, s54, v5
	s_delay_alu instid0(VALU_DEP_2)
	v_add_co_ci_u32_e32 v6, vcc_lo, s55, v6, vcc_lo
	s_waitcnt lgkmcnt(0)
	global_store_b64 v[5:6], v[2:3], off
	s_or_b32 exec_lo, exec_lo, s16
	s_and_saveexec_b32 s16, s19
	s_cbranch_execnz .LBB1436_659
.LBB1436_666:                           ;   in Loop: Header=BB1436_566 Depth=2
	s_or_b32 exec_lo, exec_lo, s16
	s_and_saveexec_b32 s16, s20
	s_cbranch_execz .LBB1436_660
.LBB1436_667:                           ;   in Loop: Header=BB1436_566 Depth=2
	v_lshlrev_b32_e32 v2, 2, v91
	ds_load_b32 v5, v2
	ds_load_b64 v[2:3], v0 offset:10240
	s_waitcnt lgkmcnt(1)
	v_add_nc_u32_e32 v19, v5, v39
	s_delay_alu instid0(VALU_DEP_1) | instskip(NEXT) | instid1(VALU_DEP_1)
	v_lshlrev_b64 v[5:6], 3, v[19:20]
	v_add_co_u32 v5, vcc_lo, s54, v5
	s_delay_alu instid0(VALU_DEP_2)
	v_add_co_ci_u32_e32 v6, vcc_lo, s55, v6, vcc_lo
	s_waitcnt lgkmcnt(0)
	global_store_b64 v[5:6], v[2:3], off
	s_or_b32 exec_lo, exec_lo, s16
	s_and_saveexec_b32 s16, s21
	s_cbranch_execnz .LBB1436_661
.LBB1436_668:                           ;   in Loop: Header=BB1436_566 Depth=2
	s_or_b32 exec_lo, exec_lo, s16
	s_and_saveexec_b32 s16, s22
	s_cbranch_execz .LBB1436_670
.LBB1436_669:                           ;   in Loop: Header=BB1436_566 Depth=2
	v_lshlrev_b32_e32 v2, 2, v89
	ds_load_b32 v5, v2
	ds_load_b64 v[2:3], v0 offset:14336
	s_waitcnt lgkmcnt(1)
	v_add_nc_u32_e32 v19, v5, v42
	s_delay_alu instid0(VALU_DEP_1) | instskip(NEXT) | instid1(VALU_DEP_1)
	v_lshlrev_b64 v[5:6], 3, v[19:20]
	v_add_co_u32 v5, vcc_lo, s54, v5
	s_delay_alu instid0(VALU_DEP_2)
	v_add_co_ci_u32_e32 v6, vcc_lo, s55, v6, vcc_lo
	s_waitcnt lgkmcnt(0)
	global_store_b64 v[5:6], v[2:3], off
.LBB1436_670:                           ;   in Loop: Header=BB1436_566 Depth=2
	s_or_b32 exec_lo, exec_lo, s16
	s_waitcnt_vscnt null, 0x0
	s_barrier
	buffer_gl0_inv
	s_and_saveexec_b32 s16, s2
	s_cbranch_execz .LBB1436_565
; %bb.671:                              ;   in Loop: Header=BB1436_566 Depth=2
	ds_load_b32 v0, v31
	s_waitcnt lgkmcnt(0)
	v_add_nc_u32_e32 v0, v0, v4
	ds_store_b32 v31, v0
	s_branch .LBB1436_565
.LBB1436_672:                           ;   in Loop: Header=BB1436_566 Depth=2
	s_or_b32 exec_lo, exec_lo, s16
	s_delay_alu instid0(SALU_CYCLE_1)
	s_mov_b32 s16, exec_lo
	v_cmpx_gt_u32_e64 s50, v77
	s_cbranch_execz .LBB1436_571
.LBB1436_673:                           ;   in Loop: Header=BB1436_566 Depth=2
	global_load_b32 v3, v[29:30], off offset:128
	s_or_b32 exec_lo, exec_lo, s16
	s_delay_alu instid0(SALU_CYCLE_1)
	s_mov_b32 s16, exec_lo
	v_cmpx_gt_u32_e64 s50, v78
	s_cbranch_execnz .LBB1436_572
.LBB1436_674:                           ;   in Loop: Header=BB1436_566 Depth=2
	s_or_b32 exec_lo, exec_lo, s16
	s_delay_alu instid0(SALU_CYCLE_1)
	s_mov_b32 s16, exec_lo
	v_cmpx_gt_u32_e64 s50, v79
	s_cbranch_execz .LBB1436_573
.LBB1436_675:                           ;   in Loop: Header=BB1436_566 Depth=2
	global_load_b32 v5, v[29:30], off offset:384
	s_or_b32 exec_lo, exec_lo, s16
	s_delay_alu instid0(SALU_CYCLE_1)
	s_mov_b32 s16, exec_lo
	v_cmpx_gt_u32_e64 s50, v80
	s_cbranch_execnz .LBB1436_574
.LBB1436_676:                           ;   in Loop: Header=BB1436_566 Depth=2
	s_or_b32 exec_lo, exec_lo, s16
	s_delay_alu instid0(SALU_CYCLE_1)
	s_mov_b32 s16, exec_lo
	v_cmpx_gt_u32_e64 s50, v81
	s_cbranch_execz .LBB1436_575
.LBB1436_677:                           ;   in Loop: Header=BB1436_566 Depth=2
	global_load_b32 v7, v[29:30], off offset:640
	s_or_b32 exec_lo, exec_lo, s16
	s_delay_alu instid0(SALU_CYCLE_1)
	s_mov_b32 s16, exec_lo
	v_cmpx_gt_u32_e64 s50, v82
	s_cbranch_execnz .LBB1436_576
	s_branch .LBB1436_577
.LBB1436_678:
	s_endpgm
	.section	.rodata,"a",@progbits
	.p2align	6, 0x0
	.amdhsa_kernel _ZN7rocprim17ROCPRIM_400000_NS6detail17trampoline_kernelINS0_14default_configENS1_36segmented_radix_sort_config_selectorIflEEZNS1_25segmented_radix_sort_implIS3_Lb0EPKfPfPKlPlN2at6native12_GLOBAL__N_18offset_tEEE10hipError_tPvRmT1_PNSt15iterator_traitsISK_E10value_typeET2_T3_PNSL_ISQ_E10value_typeET4_jRbjT5_SW_jjP12ihipStream_tbEUlT_E_NS1_11comp_targetILNS1_3genE9ELNS1_11target_archE1100ELNS1_3gpuE3ELNS1_3repE0EEENS1_30default_config_static_selectorELNS0_4arch9wavefront6targetE0EEEvSK_
		.amdhsa_group_segment_fixed_size 17440
		.amdhsa_private_segment_fixed_size 8
		.amdhsa_kernarg_size 352
		.amdhsa_user_sgpr_count 14
		.amdhsa_user_sgpr_dispatch_ptr 0
		.amdhsa_user_sgpr_queue_ptr 0
		.amdhsa_user_sgpr_kernarg_segment_ptr 1
		.amdhsa_user_sgpr_dispatch_id 0
		.amdhsa_user_sgpr_private_segment_size 0
		.amdhsa_wavefront_size32 1
		.amdhsa_uses_dynamic_stack 0
		.amdhsa_enable_private_segment 1
		.amdhsa_system_sgpr_workgroup_id_x 1
		.amdhsa_system_sgpr_workgroup_id_y 1
		.amdhsa_system_sgpr_workgroup_id_z 0
		.amdhsa_system_sgpr_workgroup_info 0
		.amdhsa_system_vgpr_workitem_id 2
		.amdhsa_next_free_vgpr 209
		.amdhsa_next_free_sgpr 60
		.amdhsa_reserve_vcc 1
		.amdhsa_float_round_mode_32 0
		.amdhsa_float_round_mode_16_64 0
		.amdhsa_float_denorm_mode_32 3
		.amdhsa_float_denorm_mode_16_64 3
		.amdhsa_dx10_clamp 1
		.amdhsa_ieee_mode 1
		.amdhsa_fp16_overflow 0
		.amdhsa_workgroup_processor_mode 1
		.amdhsa_memory_ordered 1
		.amdhsa_forward_progress 0
		.amdhsa_shared_vgpr_count 0
		.amdhsa_exception_fp_ieee_invalid_op 0
		.amdhsa_exception_fp_denorm_src 0
		.amdhsa_exception_fp_ieee_div_zero 0
		.amdhsa_exception_fp_ieee_overflow 0
		.amdhsa_exception_fp_ieee_underflow 0
		.amdhsa_exception_fp_ieee_inexact 0
		.amdhsa_exception_int_div_zero 0
	.end_amdhsa_kernel
	.section	.text._ZN7rocprim17ROCPRIM_400000_NS6detail17trampoline_kernelINS0_14default_configENS1_36segmented_radix_sort_config_selectorIflEEZNS1_25segmented_radix_sort_implIS3_Lb0EPKfPfPKlPlN2at6native12_GLOBAL__N_18offset_tEEE10hipError_tPvRmT1_PNSt15iterator_traitsISK_E10value_typeET2_T3_PNSL_ISQ_E10value_typeET4_jRbjT5_SW_jjP12ihipStream_tbEUlT_E_NS1_11comp_targetILNS1_3genE9ELNS1_11target_archE1100ELNS1_3gpuE3ELNS1_3repE0EEENS1_30default_config_static_selectorELNS0_4arch9wavefront6targetE0EEEvSK_,"axG",@progbits,_ZN7rocprim17ROCPRIM_400000_NS6detail17trampoline_kernelINS0_14default_configENS1_36segmented_radix_sort_config_selectorIflEEZNS1_25segmented_radix_sort_implIS3_Lb0EPKfPfPKlPlN2at6native12_GLOBAL__N_18offset_tEEE10hipError_tPvRmT1_PNSt15iterator_traitsISK_E10value_typeET2_T3_PNSL_ISQ_E10value_typeET4_jRbjT5_SW_jjP12ihipStream_tbEUlT_E_NS1_11comp_targetILNS1_3genE9ELNS1_11target_archE1100ELNS1_3gpuE3ELNS1_3repE0EEENS1_30default_config_static_selectorELNS0_4arch9wavefront6targetE0EEEvSK_,comdat
.Lfunc_end1436:
	.size	_ZN7rocprim17ROCPRIM_400000_NS6detail17trampoline_kernelINS0_14default_configENS1_36segmented_radix_sort_config_selectorIflEEZNS1_25segmented_radix_sort_implIS3_Lb0EPKfPfPKlPlN2at6native12_GLOBAL__N_18offset_tEEE10hipError_tPvRmT1_PNSt15iterator_traitsISK_E10value_typeET2_T3_PNSL_ISQ_E10value_typeET4_jRbjT5_SW_jjP12ihipStream_tbEUlT_E_NS1_11comp_targetILNS1_3genE9ELNS1_11target_archE1100ELNS1_3gpuE3ELNS1_3repE0EEENS1_30default_config_static_selectorELNS0_4arch9wavefront6targetE0EEEvSK_, .Lfunc_end1436-_ZN7rocprim17ROCPRIM_400000_NS6detail17trampoline_kernelINS0_14default_configENS1_36segmented_radix_sort_config_selectorIflEEZNS1_25segmented_radix_sort_implIS3_Lb0EPKfPfPKlPlN2at6native12_GLOBAL__N_18offset_tEEE10hipError_tPvRmT1_PNSt15iterator_traitsISK_E10value_typeET2_T3_PNSL_ISQ_E10value_typeET4_jRbjT5_SW_jjP12ihipStream_tbEUlT_E_NS1_11comp_targetILNS1_3genE9ELNS1_11target_archE1100ELNS1_3gpuE3ELNS1_3repE0EEENS1_30default_config_static_selectorELNS0_4arch9wavefront6targetE0EEEvSK_
                                        ; -- End function
	.section	.AMDGPU.csdata,"",@progbits
; Kernel info:
; codeLenInByte = 43576
; NumSgprs: 62
; NumVgprs: 209
; ScratchSize: 8
; MemoryBound: 0
; FloatMode: 240
; IeeeMode: 1
; LDSByteSize: 17440 bytes/workgroup (compile time only)
; SGPRBlocks: 7
; VGPRBlocks: 26
; NumSGPRsForWavesPerEU: 62
; NumVGPRsForWavesPerEU: 209
; Occupancy: 7
; WaveLimiterHint : 1
; COMPUTE_PGM_RSRC2:SCRATCH_EN: 1
; COMPUTE_PGM_RSRC2:USER_SGPR: 14
; COMPUTE_PGM_RSRC2:TRAP_HANDLER: 0
; COMPUTE_PGM_RSRC2:TGID_X_EN: 1
; COMPUTE_PGM_RSRC2:TGID_Y_EN: 1
; COMPUTE_PGM_RSRC2:TGID_Z_EN: 0
; COMPUTE_PGM_RSRC2:TIDIG_COMP_CNT: 2
	.section	.text._ZN7rocprim17ROCPRIM_400000_NS6detail17trampoline_kernelINS0_14default_configENS1_36segmented_radix_sort_config_selectorIflEEZNS1_25segmented_radix_sort_implIS3_Lb0EPKfPfPKlPlN2at6native12_GLOBAL__N_18offset_tEEE10hipError_tPvRmT1_PNSt15iterator_traitsISK_E10value_typeET2_T3_PNSL_ISQ_E10value_typeET4_jRbjT5_SW_jjP12ihipStream_tbEUlT_E_NS1_11comp_targetILNS1_3genE8ELNS1_11target_archE1030ELNS1_3gpuE2ELNS1_3repE0EEENS1_30default_config_static_selectorELNS0_4arch9wavefront6targetE0EEEvSK_,"axG",@progbits,_ZN7rocprim17ROCPRIM_400000_NS6detail17trampoline_kernelINS0_14default_configENS1_36segmented_radix_sort_config_selectorIflEEZNS1_25segmented_radix_sort_implIS3_Lb0EPKfPfPKlPlN2at6native12_GLOBAL__N_18offset_tEEE10hipError_tPvRmT1_PNSt15iterator_traitsISK_E10value_typeET2_T3_PNSL_ISQ_E10value_typeET4_jRbjT5_SW_jjP12ihipStream_tbEUlT_E_NS1_11comp_targetILNS1_3genE8ELNS1_11target_archE1030ELNS1_3gpuE2ELNS1_3repE0EEENS1_30default_config_static_selectorELNS0_4arch9wavefront6targetE0EEEvSK_,comdat
	.globl	_ZN7rocprim17ROCPRIM_400000_NS6detail17trampoline_kernelINS0_14default_configENS1_36segmented_radix_sort_config_selectorIflEEZNS1_25segmented_radix_sort_implIS3_Lb0EPKfPfPKlPlN2at6native12_GLOBAL__N_18offset_tEEE10hipError_tPvRmT1_PNSt15iterator_traitsISK_E10value_typeET2_T3_PNSL_ISQ_E10value_typeET4_jRbjT5_SW_jjP12ihipStream_tbEUlT_E_NS1_11comp_targetILNS1_3genE8ELNS1_11target_archE1030ELNS1_3gpuE2ELNS1_3repE0EEENS1_30default_config_static_selectorELNS0_4arch9wavefront6targetE0EEEvSK_ ; -- Begin function _ZN7rocprim17ROCPRIM_400000_NS6detail17trampoline_kernelINS0_14default_configENS1_36segmented_radix_sort_config_selectorIflEEZNS1_25segmented_radix_sort_implIS3_Lb0EPKfPfPKlPlN2at6native12_GLOBAL__N_18offset_tEEE10hipError_tPvRmT1_PNSt15iterator_traitsISK_E10value_typeET2_T3_PNSL_ISQ_E10value_typeET4_jRbjT5_SW_jjP12ihipStream_tbEUlT_E_NS1_11comp_targetILNS1_3genE8ELNS1_11target_archE1030ELNS1_3gpuE2ELNS1_3repE0EEENS1_30default_config_static_selectorELNS0_4arch9wavefront6targetE0EEEvSK_
	.p2align	8
	.type	_ZN7rocprim17ROCPRIM_400000_NS6detail17trampoline_kernelINS0_14default_configENS1_36segmented_radix_sort_config_selectorIflEEZNS1_25segmented_radix_sort_implIS3_Lb0EPKfPfPKlPlN2at6native12_GLOBAL__N_18offset_tEEE10hipError_tPvRmT1_PNSt15iterator_traitsISK_E10value_typeET2_T3_PNSL_ISQ_E10value_typeET4_jRbjT5_SW_jjP12ihipStream_tbEUlT_E_NS1_11comp_targetILNS1_3genE8ELNS1_11target_archE1030ELNS1_3gpuE2ELNS1_3repE0EEENS1_30default_config_static_selectorELNS0_4arch9wavefront6targetE0EEEvSK_,@function
_ZN7rocprim17ROCPRIM_400000_NS6detail17trampoline_kernelINS0_14default_configENS1_36segmented_radix_sort_config_selectorIflEEZNS1_25segmented_radix_sort_implIS3_Lb0EPKfPfPKlPlN2at6native12_GLOBAL__N_18offset_tEEE10hipError_tPvRmT1_PNSt15iterator_traitsISK_E10value_typeET2_T3_PNSL_ISQ_E10value_typeET4_jRbjT5_SW_jjP12ihipStream_tbEUlT_E_NS1_11comp_targetILNS1_3genE8ELNS1_11target_archE1030ELNS1_3gpuE2ELNS1_3repE0EEENS1_30default_config_static_selectorELNS0_4arch9wavefront6targetE0EEEvSK_: ; @_ZN7rocprim17ROCPRIM_400000_NS6detail17trampoline_kernelINS0_14default_configENS1_36segmented_radix_sort_config_selectorIflEEZNS1_25segmented_radix_sort_implIS3_Lb0EPKfPfPKlPlN2at6native12_GLOBAL__N_18offset_tEEE10hipError_tPvRmT1_PNSt15iterator_traitsISK_E10value_typeET2_T3_PNSL_ISQ_E10value_typeET4_jRbjT5_SW_jjP12ihipStream_tbEUlT_E_NS1_11comp_targetILNS1_3genE8ELNS1_11target_archE1030ELNS1_3gpuE2ELNS1_3repE0EEENS1_30default_config_static_selectorELNS0_4arch9wavefront6targetE0EEEvSK_
; %bb.0:
	.section	.rodata,"a",@progbits
	.p2align	6, 0x0
	.amdhsa_kernel _ZN7rocprim17ROCPRIM_400000_NS6detail17trampoline_kernelINS0_14default_configENS1_36segmented_radix_sort_config_selectorIflEEZNS1_25segmented_radix_sort_implIS3_Lb0EPKfPfPKlPlN2at6native12_GLOBAL__N_18offset_tEEE10hipError_tPvRmT1_PNSt15iterator_traitsISK_E10value_typeET2_T3_PNSL_ISQ_E10value_typeET4_jRbjT5_SW_jjP12ihipStream_tbEUlT_E_NS1_11comp_targetILNS1_3genE8ELNS1_11target_archE1030ELNS1_3gpuE2ELNS1_3repE0EEENS1_30default_config_static_selectorELNS0_4arch9wavefront6targetE0EEEvSK_
		.amdhsa_group_segment_fixed_size 0
		.amdhsa_private_segment_fixed_size 0
		.amdhsa_kernarg_size 96
		.amdhsa_user_sgpr_count 15
		.amdhsa_user_sgpr_dispatch_ptr 0
		.amdhsa_user_sgpr_queue_ptr 0
		.amdhsa_user_sgpr_kernarg_segment_ptr 1
		.amdhsa_user_sgpr_dispatch_id 0
		.amdhsa_user_sgpr_private_segment_size 0
		.amdhsa_wavefront_size32 1
		.amdhsa_uses_dynamic_stack 0
		.amdhsa_enable_private_segment 0
		.amdhsa_system_sgpr_workgroup_id_x 1
		.amdhsa_system_sgpr_workgroup_id_y 0
		.amdhsa_system_sgpr_workgroup_id_z 0
		.amdhsa_system_sgpr_workgroup_info 0
		.amdhsa_system_vgpr_workitem_id 0
		.amdhsa_next_free_vgpr 1
		.amdhsa_next_free_sgpr 1
		.amdhsa_reserve_vcc 0
		.amdhsa_float_round_mode_32 0
		.amdhsa_float_round_mode_16_64 0
		.amdhsa_float_denorm_mode_32 3
		.amdhsa_float_denorm_mode_16_64 3
		.amdhsa_dx10_clamp 1
		.amdhsa_ieee_mode 1
		.amdhsa_fp16_overflow 0
		.amdhsa_workgroup_processor_mode 1
		.amdhsa_memory_ordered 1
		.amdhsa_forward_progress 0
		.amdhsa_shared_vgpr_count 0
		.amdhsa_exception_fp_ieee_invalid_op 0
		.amdhsa_exception_fp_denorm_src 0
		.amdhsa_exception_fp_ieee_div_zero 0
		.amdhsa_exception_fp_ieee_overflow 0
		.amdhsa_exception_fp_ieee_underflow 0
		.amdhsa_exception_fp_ieee_inexact 0
		.amdhsa_exception_int_div_zero 0
	.end_amdhsa_kernel
	.section	.text._ZN7rocprim17ROCPRIM_400000_NS6detail17trampoline_kernelINS0_14default_configENS1_36segmented_radix_sort_config_selectorIflEEZNS1_25segmented_radix_sort_implIS3_Lb0EPKfPfPKlPlN2at6native12_GLOBAL__N_18offset_tEEE10hipError_tPvRmT1_PNSt15iterator_traitsISK_E10value_typeET2_T3_PNSL_ISQ_E10value_typeET4_jRbjT5_SW_jjP12ihipStream_tbEUlT_E_NS1_11comp_targetILNS1_3genE8ELNS1_11target_archE1030ELNS1_3gpuE2ELNS1_3repE0EEENS1_30default_config_static_selectorELNS0_4arch9wavefront6targetE0EEEvSK_,"axG",@progbits,_ZN7rocprim17ROCPRIM_400000_NS6detail17trampoline_kernelINS0_14default_configENS1_36segmented_radix_sort_config_selectorIflEEZNS1_25segmented_radix_sort_implIS3_Lb0EPKfPfPKlPlN2at6native12_GLOBAL__N_18offset_tEEE10hipError_tPvRmT1_PNSt15iterator_traitsISK_E10value_typeET2_T3_PNSL_ISQ_E10value_typeET4_jRbjT5_SW_jjP12ihipStream_tbEUlT_E_NS1_11comp_targetILNS1_3genE8ELNS1_11target_archE1030ELNS1_3gpuE2ELNS1_3repE0EEENS1_30default_config_static_selectorELNS0_4arch9wavefront6targetE0EEEvSK_,comdat
.Lfunc_end1437:
	.size	_ZN7rocprim17ROCPRIM_400000_NS6detail17trampoline_kernelINS0_14default_configENS1_36segmented_radix_sort_config_selectorIflEEZNS1_25segmented_radix_sort_implIS3_Lb0EPKfPfPKlPlN2at6native12_GLOBAL__N_18offset_tEEE10hipError_tPvRmT1_PNSt15iterator_traitsISK_E10value_typeET2_T3_PNSL_ISQ_E10value_typeET4_jRbjT5_SW_jjP12ihipStream_tbEUlT_E_NS1_11comp_targetILNS1_3genE8ELNS1_11target_archE1030ELNS1_3gpuE2ELNS1_3repE0EEENS1_30default_config_static_selectorELNS0_4arch9wavefront6targetE0EEEvSK_, .Lfunc_end1437-_ZN7rocprim17ROCPRIM_400000_NS6detail17trampoline_kernelINS0_14default_configENS1_36segmented_radix_sort_config_selectorIflEEZNS1_25segmented_radix_sort_implIS3_Lb0EPKfPfPKlPlN2at6native12_GLOBAL__N_18offset_tEEE10hipError_tPvRmT1_PNSt15iterator_traitsISK_E10value_typeET2_T3_PNSL_ISQ_E10value_typeET4_jRbjT5_SW_jjP12ihipStream_tbEUlT_E_NS1_11comp_targetILNS1_3genE8ELNS1_11target_archE1030ELNS1_3gpuE2ELNS1_3repE0EEENS1_30default_config_static_selectorELNS0_4arch9wavefront6targetE0EEEvSK_
                                        ; -- End function
	.section	.AMDGPU.csdata,"",@progbits
; Kernel info:
; codeLenInByte = 0
; NumSgprs: 0
; NumVgprs: 0
; ScratchSize: 0
; MemoryBound: 0
; FloatMode: 240
; IeeeMode: 1
; LDSByteSize: 0 bytes/workgroup (compile time only)
; SGPRBlocks: 0
; VGPRBlocks: 0
; NumSGPRsForWavesPerEU: 1
; NumVGPRsForWavesPerEU: 1
; Occupancy: 16
; WaveLimiterHint : 0
; COMPUTE_PGM_RSRC2:SCRATCH_EN: 0
; COMPUTE_PGM_RSRC2:USER_SGPR: 15
; COMPUTE_PGM_RSRC2:TRAP_HANDLER: 0
; COMPUTE_PGM_RSRC2:TGID_X_EN: 1
; COMPUTE_PGM_RSRC2:TGID_Y_EN: 0
; COMPUTE_PGM_RSRC2:TGID_Z_EN: 0
; COMPUTE_PGM_RSRC2:TIDIG_COMP_CNT: 0
	.section	.text._ZN7rocprim17ROCPRIM_400000_NS6detail17trampoline_kernelINS0_14default_configENS1_36segmented_radix_sort_config_selectorIflEEZNS1_25segmented_radix_sort_implIS3_Lb0EPKfPfPKlPlN2at6native12_GLOBAL__N_18offset_tEEE10hipError_tPvRmT1_PNSt15iterator_traitsISK_E10value_typeET2_T3_PNSL_ISQ_E10value_typeET4_jRbjT5_SW_jjP12ihipStream_tbEUlT_E0_NS1_11comp_targetILNS1_3genE0ELNS1_11target_archE4294967295ELNS1_3gpuE0ELNS1_3repE0EEENS1_60segmented_radix_sort_warp_sort_medium_config_static_selectorELNS0_4arch9wavefront6targetE0EEEvSK_,"axG",@progbits,_ZN7rocprim17ROCPRIM_400000_NS6detail17trampoline_kernelINS0_14default_configENS1_36segmented_radix_sort_config_selectorIflEEZNS1_25segmented_radix_sort_implIS3_Lb0EPKfPfPKlPlN2at6native12_GLOBAL__N_18offset_tEEE10hipError_tPvRmT1_PNSt15iterator_traitsISK_E10value_typeET2_T3_PNSL_ISQ_E10value_typeET4_jRbjT5_SW_jjP12ihipStream_tbEUlT_E0_NS1_11comp_targetILNS1_3genE0ELNS1_11target_archE4294967295ELNS1_3gpuE0ELNS1_3repE0EEENS1_60segmented_radix_sort_warp_sort_medium_config_static_selectorELNS0_4arch9wavefront6targetE0EEEvSK_,comdat
	.globl	_ZN7rocprim17ROCPRIM_400000_NS6detail17trampoline_kernelINS0_14default_configENS1_36segmented_radix_sort_config_selectorIflEEZNS1_25segmented_radix_sort_implIS3_Lb0EPKfPfPKlPlN2at6native12_GLOBAL__N_18offset_tEEE10hipError_tPvRmT1_PNSt15iterator_traitsISK_E10value_typeET2_T3_PNSL_ISQ_E10value_typeET4_jRbjT5_SW_jjP12ihipStream_tbEUlT_E0_NS1_11comp_targetILNS1_3genE0ELNS1_11target_archE4294967295ELNS1_3gpuE0ELNS1_3repE0EEENS1_60segmented_radix_sort_warp_sort_medium_config_static_selectorELNS0_4arch9wavefront6targetE0EEEvSK_ ; -- Begin function _ZN7rocprim17ROCPRIM_400000_NS6detail17trampoline_kernelINS0_14default_configENS1_36segmented_radix_sort_config_selectorIflEEZNS1_25segmented_radix_sort_implIS3_Lb0EPKfPfPKlPlN2at6native12_GLOBAL__N_18offset_tEEE10hipError_tPvRmT1_PNSt15iterator_traitsISK_E10value_typeET2_T3_PNSL_ISQ_E10value_typeET4_jRbjT5_SW_jjP12ihipStream_tbEUlT_E0_NS1_11comp_targetILNS1_3genE0ELNS1_11target_archE4294967295ELNS1_3gpuE0ELNS1_3repE0EEENS1_60segmented_radix_sort_warp_sort_medium_config_static_selectorELNS0_4arch9wavefront6targetE0EEEvSK_
	.p2align	8
	.type	_ZN7rocprim17ROCPRIM_400000_NS6detail17trampoline_kernelINS0_14default_configENS1_36segmented_radix_sort_config_selectorIflEEZNS1_25segmented_radix_sort_implIS3_Lb0EPKfPfPKlPlN2at6native12_GLOBAL__N_18offset_tEEE10hipError_tPvRmT1_PNSt15iterator_traitsISK_E10value_typeET2_T3_PNSL_ISQ_E10value_typeET4_jRbjT5_SW_jjP12ihipStream_tbEUlT_E0_NS1_11comp_targetILNS1_3genE0ELNS1_11target_archE4294967295ELNS1_3gpuE0ELNS1_3repE0EEENS1_60segmented_radix_sort_warp_sort_medium_config_static_selectorELNS0_4arch9wavefront6targetE0EEEvSK_,@function
_ZN7rocprim17ROCPRIM_400000_NS6detail17trampoline_kernelINS0_14default_configENS1_36segmented_radix_sort_config_selectorIflEEZNS1_25segmented_radix_sort_implIS3_Lb0EPKfPfPKlPlN2at6native12_GLOBAL__N_18offset_tEEE10hipError_tPvRmT1_PNSt15iterator_traitsISK_E10value_typeET2_T3_PNSL_ISQ_E10value_typeET4_jRbjT5_SW_jjP12ihipStream_tbEUlT_E0_NS1_11comp_targetILNS1_3genE0ELNS1_11target_archE4294967295ELNS1_3gpuE0ELNS1_3repE0EEENS1_60segmented_radix_sort_warp_sort_medium_config_static_selectorELNS0_4arch9wavefront6targetE0EEEvSK_: ; @_ZN7rocprim17ROCPRIM_400000_NS6detail17trampoline_kernelINS0_14default_configENS1_36segmented_radix_sort_config_selectorIflEEZNS1_25segmented_radix_sort_implIS3_Lb0EPKfPfPKlPlN2at6native12_GLOBAL__N_18offset_tEEE10hipError_tPvRmT1_PNSt15iterator_traitsISK_E10value_typeET2_T3_PNSL_ISQ_E10value_typeET4_jRbjT5_SW_jjP12ihipStream_tbEUlT_E0_NS1_11comp_targetILNS1_3genE0ELNS1_11target_archE4294967295ELNS1_3gpuE0ELNS1_3repE0EEENS1_60segmented_radix_sort_warp_sort_medium_config_static_selectorELNS0_4arch9wavefront6targetE0EEEvSK_
; %bb.0:
	.section	.rodata,"a",@progbits
	.p2align	6, 0x0
	.amdhsa_kernel _ZN7rocprim17ROCPRIM_400000_NS6detail17trampoline_kernelINS0_14default_configENS1_36segmented_radix_sort_config_selectorIflEEZNS1_25segmented_radix_sort_implIS3_Lb0EPKfPfPKlPlN2at6native12_GLOBAL__N_18offset_tEEE10hipError_tPvRmT1_PNSt15iterator_traitsISK_E10value_typeET2_T3_PNSL_ISQ_E10value_typeET4_jRbjT5_SW_jjP12ihipStream_tbEUlT_E0_NS1_11comp_targetILNS1_3genE0ELNS1_11target_archE4294967295ELNS1_3gpuE0ELNS1_3repE0EEENS1_60segmented_radix_sort_warp_sort_medium_config_static_selectorELNS0_4arch9wavefront6targetE0EEEvSK_
		.amdhsa_group_segment_fixed_size 0
		.amdhsa_private_segment_fixed_size 0
		.amdhsa_kernarg_size 88
		.amdhsa_user_sgpr_count 15
		.amdhsa_user_sgpr_dispatch_ptr 0
		.amdhsa_user_sgpr_queue_ptr 0
		.amdhsa_user_sgpr_kernarg_segment_ptr 1
		.amdhsa_user_sgpr_dispatch_id 0
		.amdhsa_user_sgpr_private_segment_size 0
		.amdhsa_wavefront_size32 1
		.amdhsa_uses_dynamic_stack 0
		.amdhsa_enable_private_segment 0
		.amdhsa_system_sgpr_workgroup_id_x 1
		.amdhsa_system_sgpr_workgroup_id_y 0
		.amdhsa_system_sgpr_workgroup_id_z 0
		.amdhsa_system_sgpr_workgroup_info 0
		.amdhsa_system_vgpr_workitem_id 0
		.amdhsa_next_free_vgpr 1
		.amdhsa_next_free_sgpr 1
		.amdhsa_reserve_vcc 0
		.amdhsa_float_round_mode_32 0
		.amdhsa_float_round_mode_16_64 0
		.amdhsa_float_denorm_mode_32 3
		.amdhsa_float_denorm_mode_16_64 3
		.amdhsa_dx10_clamp 1
		.amdhsa_ieee_mode 1
		.amdhsa_fp16_overflow 0
		.amdhsa_workgroup_processor_mode 1
		.amdhsa_memory_ordered 1
		.amdhsa_forward_progress 0
		.amdhsa_shared_vgpr_count 0
		.amdhsa_exception_fp_ieee_invalid_op 0
		.amdhsa_exception_fp_denorm_src 0
		.amdhsa_exception_fp_ieee_div_zero 0
		.amdhsa_exception_fp_ieee_overflow 0
		.amdhsa_exception_fp_ieee_underflow 0
		.amdhsa_exception_fp_ieee_inexact 0
		.amdhsa_exception_int_div_zero 0
	.end_amdhsa_kernel
	.section	.text._ZN7rocprim17ROCPRIM_400000_NS6detail17trampoline_kernelINS0_14default_configENS1_36segmented_radix_sort_config_selectorIflEEZNS1_25segmented_radix_sort_implIS3_Lb0EPKfPfPKlPlN2at6native12_GLOBAL__N_18offset_tEEE10hipError_tPvRmT1_PNSt15iterator_traitsISK_E10value_typeET2_T3_PNSL_ISQ_E10value_typeET4_jRbjT5_SW_jjP12ihipStream_tbEUlT_E0_NS1_11comp_targetILNS1_3genE0ELNS1_11target_archE4294967295ELNS1_3gpuE0ELNS1_3repE0EEENS1_60segmented_radix_sort_warp_sort_medium_config_static_selectorELNS0_4arch9wavefront6targetE0EEEvSK_,"axG",@progbits,_ZN7rocprim17ROCPRIM_400000_NS6detail17trampoline_kernelINS0_14default_configENS1_36segmented_radix_sort_config_selectorIflEEZNS1_25segmented_radix_sort_implIS3_Lb0EPKfPfPKlPlN2at6native12_GLOBAL__N_18offset_tEEE10hipError_tPvRmT1_PNSt15iterator_traitsISK_E10value_typeET2_T3_PNSL_ISQ_E10value_typeET4_jRbjT5_SW_jjP12ihipStream_tbEUlT_E0_NS1_11comp_targetILNS1_3genE0ELNS1_11target_archE4294967295ELNS1_3gpuE0ELNS1_3repE0EEENS1_60segmented_radix_sort_warp_sort_medium_config_static_selectorELNS0_4arch9wavefront6targetE0EEEvSK_,comdat
.Lfunc_end1438:
	.size	_ZN7rocprim17ROCPRIM_400000_NS6detail17trampoline_kernelINS0_14default_configENS1_36segmented_radix_sort_config_selectorIflEEZNS1_25segmented_radix_sort_implIS3_Lb0EPKfPfPKlPlN2at6native12_GLOBAL__N_18offset_tEEE10hipError_tPvRmT1_PNSt15iterator_traitsISK_E10value_typeET2_T3_PNSL_ISQ_E10value_typeET4_jRbjT5_SW_jjP12ihipStream_tbEUlT_E0_NS1_11comp_targetILNS1_3genE0ELNS1_11target_archE4294967295ELNS1_3gpuE0ELNS1_3repE0EEENS1_60segmented_radix_sort_warp_sort_medium_config_static_selectorELNS0_4arch9wavefront6targetE0EEEvSK_, .Lfunc_end1438-_ZN7rocprim17ROCPRIM_400000_NS6detail17trampoline_kernelINS0_14default_configENS1_36segmented_radix_sort_config_selectorIflEEZNS1_25segmented_radix_sort_implIS3_Lb0EPKfPfPKlPlN2at6native12_GLOBAL__N_18offset_tEEE10hipError_tPvRmT1_PNSt15iterator_traitsISK_E10value_typeET2_T3_PNSL_ISQ_E10value_typeET4_jRbjT5_SW_jjP12ihipStream_tbEUlT_E0_NS1_11comp_targetILNS1_3genE0ELNS1_11target_archE4294967295ELNS1_3gpuE0ELNS1_3repE0EEENS1_60segmented_radix_sort_warp_sort_medium_config_static_selectorELNS0_4arch9wavefront6targetE0EEEvSK_
                                        ; -- End function
	.section	.AMDGPU.csdata,"",@progbits
; Kernel info:
; codeLenInByte = 0
; NumSgprs: 0
; NumVgprs: 0
; ScratchSize: 0
; MemoryBound: 0
; FloatMode: 240
; IeeeMode: 1
; LDSByteSize: 0 bytes/workgroup (compile time only)
; SGPRBlocks: 0
; VGPRBlocks: 0
; NumSGPRsForWavesPerEU: 1
; NumVGPRsForWavesPerEU: 1
; Occupancy: 16
; WaveLimiterHint : 0
; COMPUTE_PGM_RSRC2:SCRATCH_EN: 0
; COMPUTE_PGM_RSRC2:USER_SGPR: 15
; COMPUTE_PGM_RSRC2:TRAP_HANDLER: 0
; COMPUTE_PGM_RSRC2:TGID_X_EN: 1
; COMPUTE_PGM_RSRC2:TGID_Y_EN: 0
; COMPUTE_PGM_RSRC2:TGID_Z_EN: 0
; COMPUTE_PGM_RSRC2:TIDIG_COMP_CNT: 0
	.section	.text._ZN7rocprim17ROCPRIM_400000_NS6detail17trampoline_kernelINS0_14default_configENS1_36segmented_radix_sort_config_selectorIflEEZNS1_25segmented_radix_sort_implIS3_Lb0EPKfPfPKlPlN2at6native12_GLOBAL__N_18offset_tEEE10hipError_tPvRmT1_PNSt15iterator_traitsISK_E10value_typeET2_T3_PNSL_ISQ_E10value_typeET4_jRbjT5_SW_jjP12ihipStream_tbEUlT_E0_NS1_11comp_targetILNS1_3genE5ELNS1_11target_archE942ELNS1_3gpuE9ELNS1_3repE0EEENS1_60segmented_radix_sort_warp_sort_medium_config_static_selectorELNS0_4arch9wavefront6targetE0EEEvSK_,"axG",@progbits,_ZN7rocprim17ROCPRIM_400000_NS6detail17trampoline_kernelINS0_14default_configENS1_36segmented_radix_sort_config_selectorIflEEZNS1_25segmented_radix_sort_implIS3_Lb0EPKfPfPKlPlN2at6native12_GLOBAL__N_18offset_tEEE10hipError_tPvRmT1_PNSt15iterator_traitsISK_E10value_typeET2_T3_PNSL_ISQ_E10value_typeET4_jRbjT5_SW_jjP12ihipStream_tbEUlT_E0_NS1_11comp_targetILNS1_3genE5ELNS1_11target_archE942ELNS1_3gpuE9ELNS1_3repE0EEENS1_60segmented_radix_sort_warp_sort_medium_config_static_selectorELNS0_4arch9wavefront6targetE0EEEvSK_,comdat
	.globl	_ZN7rocprim17ROCPRIM_400000_NS6detail17trampoline_kernelINS0_14default_configENS1_36segmented_radix_sort_config_selectorIflEEZNS1_25segmented_radix_sort_implIS3_Lb0EPKfPfPKlPlN2at6native12_GLOBAL__N_18offset_tEEE10hipError_tPvRmT1_PNSt15iterator_traitsISK_E10value_typeET2_T3_PNSL_ISQ_E10value_typeET4_jRbjT5_SW_jjP12ihipStream_tbEUlT_E0_NS1_11comp_targetILNS1_3genE5ELNS1_11target_archE942ELNS1_3gpuE9ELNS1_3repE0EEENS1_60segmented_radix_sort_warp_sort_medium_config_static_selectorELNS0_4arch9wavefront6targetE0EEEvSK_ ; -- Begin function _ZN7rocprim17ROCPRIM_400000_NS6detail17trampoline_kernelINS0_14default_configENS1_36segmented_radix_sort_config_selectorIflEEZNS1_25segmented_radix_sort_implIS3_Lb0EPKfPfPKlPlN2at6native12_GLOBAL__N_18offset_tEEE10hipError_tPvRmT1_PNSt15iterator_traitsISK_E10value_typeET2_T3_PNSL_ISQ_E10value_typeET4_jRbjT5_SW_jjP12ihipStream_tbEUlT_E0_NS1_11comp_targetILNS1_3genE5ELNS1_11target_archE942ELNS1_3gpuE9ELNS1_3repE0EEENS1_60segmented_radix_sort_warp_sort_medium_config_static_selectorELNS0_4arch9wavefront6targetE0EEEvSK_
	.p2align	8
	.type	_ZN7rocprim17ROCPRIM_400000_NS6detail17trampoline_kernelINS0_14default_configENS1_36segmented_radix_sort_config_selectorIflEEZNS1_25segmented_radix_sort_implIS3_Lb0EPKfPfPKlPlN2at6native12_GLOBAL__N_18offset_tEEE10hipError_tPvRmT1_PNSt15iterator_traitsISK_E10value_typeET2_T3_PNSL_ISQ_E10value_typeET4_jRbjT5_SW_jjP12ihipStream_tbEUlT_E0_NS1_11comp_targetILNS1_3genE5ELNS1_11target_archE942ELNS1_3gpuE9ELNS1_3repE0EEENS1_60segmented_radix_sort_warp_sort_medium_config_static_selectorELNS0_4arch9wavefront6targetE0EEEvSK_,@function
_ZN7rocprim17ROCPRIM_400000_NS6detail17trampoline_kernelINS0_14default_configENS1_36segmented_radix_sort_config_selectorIflEEZNS1_25segmented_radix_sort_implIS3_Lb0EPKfPfPKlPlN2at6native12_GLOBAL__N_18offset_tEEE10hipError_tPvRmT1_PNSt15iterator_traitsISK_E10value_typeET2_T3_PNSL_ISQ_E10value_typeET4_jRbjT5_SW_jjP12ihipStream_tbEUlT_E0_NS1_11comp_targetILNS1_3genE5ELNS1_11target_archE942ELNS1_3gpuE9ELNS1_3repE0EEENS1_60segmented_radix_sort_warp_sort_medium_config_static_selectorELNS0_4arch9wavefront6targetE0EEEvSK_: ; @_ZN7rocprim17ROCPRIM_400000_NS6detail17trampoline_kernelINS0_14default_configENS1_36segmented_radix_sort_config_selectorIflEEZNS1_25segmented_radix_sort_implIS3_Lb0EPKfPfPKlPlN2at6native12_GLOBAL__N_18offset_tEEE10hipError_tPvRmT1_PNSt15iterator_traitsISK_E10value_typeET2_T3_PNSL_ISQ_E10value_typeET4_jRbjT5_SW_jjP12ihipStream_tbEUlT_E0_NS1_11comp_targetILNS1_3genE5ELNS1_11target_archE942ELNS1_3gpuE9ELNS1_3repE0EEENS1_60segmented_radix_sort_warp_sort_medium_config_static_selectorELNS0_4arch9wavefront6targetE0EEEvSK_
; %bb.0:
	.section	.rodata,"a",@progbits
	.p2align	6, 0x0
	.amdhsa_kernel _ZN7rocprim17ROCPRIM_400000_NS6detail17trampoline_kernelINS0_14default_configENS1_36segmented_radix_sort_config_selectorIflEEZNS1_25segmented_radix_sort_implIS3_Lb0EPKfPfPKlPlN2at6native12_GLOBAL__N_18offset_tEEE10hipError_tPvRmT1_PNSt15iterator_traitsISK_E10value_typeET2_T3_PNSL_ISQ_E10value_typeET4_jRbjT5_SW_jjP12ihipStream_tbEUlT_E0_NS1_11comp_targetILNS1_3genE5ELNS1_11target_archE942ELNS1_3gpuE9ELNS1_3repE0EEENS1_60segmented_radix_sort_warp_sort_medium_config_static_selectorELNS0_4arch9wavefront6targetE0EEEvSK_
		.amdhsa_group_segment_fixed_size 0
		.amdhsa_private_segment_fixed_size 0
		.amdhsa_kernarg_size 88
		.amdhsa_user_sgpr_count 15
		.amdhsa_user_sgpr_dispatch_ptr 0
		.amdhsa_user_sgpr_queue_ptr 0
		.amdhsa_user_sgpr_kernarg_segment_ptr 1
		.amdhsa_user_sgpr_dispatch_id 0
		.amdhsa_user_sgpr_private_segment_size 0
		.amdhsa_wavefront_size32 1
		.amdhsa_uses_dynamic_stack 0
		.amdhsa_enable_private_segment 0
		.amdhsa_system_sgpr_workgroup_id_x 1
		.amdhsa_system_sgpr_workgroup_id_y 0
		.amdhsa_system_sgpr_workgroup_id_z 0
		.amdhsa_system_sgpr_workgroup_info 0
		.amdhsa_system_vgpr_workitem_id 0
		.amdhsa_next_free_vgpr 1
		.amdhsa_next_free_sgpr 1
		.amdhsa_reserve_vcc 0
		.amdhsa_float_round_mode_32 0
		.amdhsa_float_round_mode_16_64 0
		.amdhsa_float_denorm_mode_32 3
		.amdhsa_float_denorm_mode_16_64 3
		.amdhsa_dx10_clamp 1
		.amdhsa_ieee_mode 1
		.amdhsa_fp16_overflow 0
		.amdhsa_workgroup_processor_mode 1
		.amdhsa_memory_ordered 1
		.amdhsa_forward_progress 0
		.amdhsa_shared_vgpr_count 0
		.amdhsa_exception_fp_ieee_invalid_op 0
		.amdhsa_exception_fp_denorm_src 0
		.amdhsa_exception_fp_ieee_div_zero 0
		.amdhsa_exception_fp_ieee_overflow 0
		.amdhsa_exception_fp_ieee_underflow 0
		.amdhsa_exception_fp_ieee_inexact 0
		.amdhsa_exception_int_div_zero 0
	.end_amdhsa_kernel
	.section	.text._ZN7rocprim17ROCPRIM_400000_NS6detail17trampoline_kernelINS0_14default_configENS1_36segmented_radix_sort_config_selectorIflEEZNS1_25segmented_radix_sort_implIS3_Lb0EPKfPfPKlPlN2at6native12_GLOBAL__N_18offset_tEEE10hipError_tPvRmT1_PNSt15iterator_traitsISK_E10value_typeET2_T3_PNSL_ISQ_E10value_typeET4_jRbjT5_SW_jjP12ihipStream_tbEUlT_E0_NS1_11comp_targetILNS1_3genE5ELNS1_11target_archE942ELNS1_3gpuE9ELNS1_3repE0EEENS1_60segmented_radix_sort_warp_sort_medium_config_static_selectorELNS0_4arch9wavefront6targetE0EEEvSK_,"axG",@progbits,_ZN7rocprim17ROCPRIM_400000_NS6detail17trampoline_kernelINS0_14default_configENS1_36segmented_radix_sort_config_selectorIflEEZNS1_25segmented_radix_sort_implIS3_Lb0EPKfPfPKlPlN2at6native12_GLOBAL__N_18offset_tEEE10hipError_tPvRmT1_PNSt15iterator_traitsISK_E10value_typeET2_T3_PNSL_ISQ_E10value_typeET4_jRbjT5_SW_jjP12ihipStream_tbEUlT_E0_NS1_11comp_targetILNS1_3genE5ELNS1_11target_archE942ELNS1_3gpuE9ELNS1_3repE0EEENS1_60segmented_radix_sort_warp_sort_medium_config_static_selectorELNS0_4arch9wavefront6targetE0EEEvSK_,comdat
.Lfunc_end1439:
	.size	_ZN7rocprim17ROCPRIM_400000_NS6detail17trampoline_kernelINS0_14default_configENS1_36segmented_radix_sort_config_selectorIflEEZNS1_25segmented_radix_sort_implIS3_Lb0EPKfPfPKlPlN2at6native12_GLOBAL__N_18offset_tEEE10hipError_tPvRmT1_PNSt15iterator_traitsISK_E10value_typeET2_T3_PNSL_ISQ_E10value_typeET4_jRbjT5_SW_jjP12ihipStream_tbEUlT_E0_NS1_11comp_targetILNS1_3genE5ELNS1_11target_archE942ELNS1_3gpuE9ELNS1_3repE0EEENS1_60segmented_radix_sort_warp_sort_medium_config_static_selectorELNS0_4arch9wavefront6targetE0EEEvSK_, .Lfunc_end1439-_ZN7rocprim17ROCPRIM_400000_NS6detail17trampoline_kernelINS0_14default_configENS1_36segmented_radix_sort_config_selectorIflEEZNS1_25segmented_radix_sort_implIS3_Lb0EPKfPfPKlPlN2at6native12_GLOBAL__N_18offset_tEEE10hipError_tPvRmT1_PNSt15iterator_traitsISK_E10value_typeET2_T3_PNSL_ISQ_E10value_typeET4_jRbjT5_SW_jjP12ihipStream_tbEUlT_E0_NS1_11comp_targetILNS1_3genE5ELNS1_11target_archE942ELNS1_3gpuE9ELNS1_3repE0EEENS1_60segmented_radix_sort_warp_sort_medium_config_static_selectorELNS0_4arch9wavefront6targetE0EEEvSK_
                                        ; -- End function
	.section	.AMDGPU.csdata,"",@progbits
; Kernel info:
; codeLenInByte = 0
; NumSgprs: 0
; NumVgprs: 0
; ScratchSize: 0
; MemoryBound: 0
; FloatMode: 240
; IeeeMode: 1
; LDSByteSize: 0 bytes/workgroup (compile time only)
; SGPRBlocks: 0
; VGPRBlocks: 0
; NumSGPRsForWavesPerEU: 1
; NumVGPRsForWavesPerEU: 1
; Occupancy: 16
; WaveLimiterHint : 0
; COMPUTE_PGM_RSRC2:SCRATCH_EN: 0
; COMPUTE_PGM_RSRC2:USER_SGPR: 15
; COMPUTE_PGM_RSRC2:TRAP_HANDLER: 0
; COMPUTE_PGM_RSRC2:TGID_X_EN: 1
; COMPUTE_PGM_RSRC2:TGID_Y_EN: 0
; COMPUTE_PGM_RSRC2:TGID_Z_EN: 0
; COMPUTE_PGM_RSRC2:TIDIG_COMP_CNT: 0
	.section	.text._ZN7rocprim17ROCPRIM_400000_NS6detail17trampoline_kernelINS0_14default_configENS1_36segmented_radix_sort_config_selectorIflEEZNS1_25segmented_radix_sort_implIS3_Lb0EPKfPfPKlPlN2at6native12_GLOBAL__N_18offset_tEEE10hipError_tPvRmT1_PNSt15iterator_traitsISK_E10value_typeET2_T3_PNSL_ISQ_E10value_typeET4_jRbjT5_SW_jjP12ihipStream_tbEUlT_E0_NS1_11comp_targetILNS1_3genE4ELNS1_11target_archE910ELNS1_3gpuE8ELNS1_3repE0EEENS1_60segmented_radix_sort_warp_sort_medium_config_static_selectorELNS0_4arch9wavefront6targetE0EEEvSK_,"axG",@progbits,_ZN7rocprim17ROCPRIM_400000_NS6detail17trampoline_kernelINS0_14default_configENS1_36segmented_radix_sort_config_selectorIflEEZNS1_25segmented_radix_sort_implIS3_Lb0EPKfPfPKlPlN2at6native12_GLOBAL__N_18offset_tEEE10hipError_tPvRmT1_PNSt15iterator_traitsISK_E10value_typeET2_T3_PNSL_ISQ_E10value_typeET4_jRbjT5_SW_jjP12ihipStream_tbEUlT_E0_NS1_11comp_targetILNS1_3genE4ELNS1_11target_archE910ELNS1_3gpuE8ELNS1_3repE0EEENS1_60segmented_radix_sort_warp_sort_medium_config_static_selectorELNS0_4arch9wavefront6targetE0EEEvSK_,comdat
	.globl	_ZN7rocprim17ROCPRIM_400000_NS6detail17trampoline_kernelINS0_14default_configENS1_36segmented_radix_sort_config_selectorIflEEZNS1_25segmented_radix_sort_implIS3_Lb0EPKfPfPKlPlN2at6native12_GLOBAL__N_18offset_tEEE10hipError_tPvRmT1_PNSt15iterator_traitsISK_E10value_typeET2_T3_PNSL_ISQ_E10value_typeET4_jRbjT5_SW_jjP12ihipStream_tbEUlT_E0_NS1_11comp_targetILNS1_3genE4ELNS1_11target_archE910ELNS1_3gpuE8ELNS1_3repE0EEENS1_60segmented_radix_sort_warp_sort_medium_config_static_selectorELNS0_4arch9wavefront6targetE0EEEvSK_ ; -- Begin function _ZN7rocprim17ROCPRIM_400000_NS6detail17trampoline_kernelINS0_14default_configENS1_36segmented_radix_sort_config_selectorIflEEZNS1_25segmented_radix_sort_implIS3_Lb0EPKfPfPKlPlN2at6native12_GLOBAL__N_18offset_tEEE10hipError_tPvRmT1_PNSt15iterator_traitsISK_E10value_typeET2_T3_PNSL_ISQ_E10value_typeET4_jRbjT5_SW_jjP12ihipStream_tbEUlT_E0_NS1_11comp_targetILNS1_3genE4ELNS1_11target_archE910ELNS1_3gpuE8ELNS1_3repE0EEENS1_60segmented_radix_sort_warp_sort_medium_config_static_selectorELNS0_4arch9wavefront6targetE0EEEvSK_
	.p2align	8
	.type	_ZN7rocprim17ROCPRIM_400000_NS6detail17trampoline_kernelINS0_14default_configENS1_36segmented_radix_sort_config_selectorIflEEZNS1_25segmented_radix_sort_implIS3_Lb0EPKfPfPKlPlN2at6native12_GLOBAL__N_18offset_tEEE10hipError_tPvRmT1_PNSt15iterator_traitsISK_E10value_typeET2_T3_PNSL_ISQ_E10value_typeET4_jRbjT5_SW_jjP12ihipStream_tbEUlT_E0_NS1_11comp_targetILNS1_3genE4ELNS1_11target_archE910ELNS1_3gpuE8ELNS1_3repE0EEENS1_60segmented_radix_sort_warp_sort_medium_config_static_selectorELNS0_4arch9wavefront6targetE0EEEvSK_,@function
_ZN7rocprim17ROCPRIM_400000_NS6detail17trampoline_kernelINS0_14default_configENS1_36segmented_radix_sort_config_selectorIflEEZNS1_25segmented_radix_sort_implIS3_Lb0EPKfPfPKlPlN2at6native12_GLOBAL__N_18offset_tEEE10hipError_tPvRmT1_PNSt15iterator_traitsISK_E10value_typeET2_T3_PNSL_ISQ_E10value_typeET4_jRbjT5_SW_jjP12ihipStream_tbEUlT_E0_NS1_11comp_targetILNS1_3genE4ELNS1_11target_archE910ELNS1_3gpuE8ELNS1_3repE0EEENS1_60segmented_radix_sort_warp_sort_medium_config_static_selectorELNS0_4arch9wavefront6targetE0EEEvSK_: ; @_ZN7rocprim17ROCPRIM_400000_NS6detail17trampoline_kernelINS0_14default_configENS1_36segmented_radix_sort_config_selectorIflEEZNS1_25segmented_radix_sort_implIS3_Lb0EPKfPfPKlPlN2at6native12_GLOBAL__N_18offset_tEEE10hipError_tPvRmT1_PNSt15iterator_traitsISK_E10value_typeET2_T3_PNSL_ISQ_E10value_typeET4_jRbjT5_SW_jjP12ihipStream_tbEUlT_E0_NS1_11comp_targetILNS1_3genE4ELNS1_11target_archE910ELNS1_3gpuE8ELNS1_3repE0EEENS1_60segmented_radix_sort_warp_sort_medium_config_static_selectorELNS0_4arch9wavefront6targetE0EEEvSK_
; %bb.0:
	.section	.rodata,"a",@progbits
	.p2align	6, 0x0
	.amdhsa_kernel _ZN7rocprim17ROCPRIM_400000_NS6detail17trampoline_kernelINS0_14default_configENS1_36segmented_radix_sort_config_selectorIflEEZNS1_25segmented_radix_sort_implIS3_Lb0EPKfPfPKlPlN2at6native12_GLOBAL__N_18offset_tEEE10hipError_tPvRmT1_PNSt15iterator_traitsISK_E10value_typeET2_T3_PNSL_ISQ_E10value_typeET4_jRbjT5_SW_jjP12ihipStream_tbEUlT_E0_NS1_11comp_targetILNS1_3genE4ELNS1_11target_archE910ELNS1_3gpuE8ELNS1_3repE0EEENS1_60segmented_radix_sort_warp_sort_medium_config_static_selectorELNS0_4arch9wavefront6targetE0EEEvSK_
		.amdhsa_group_segment_fixed_size 0
		.amdhsa_private_segment_fixed_size 0
		.amdhsa_kernarg_size 88
		.amdhsa_user_sgpr_count 15
		.amdhsa_user_sgpr_dispatch_ptr 0
		.amdhsa_user_sgpr_queue_ptr 0
		.amdhsa_user_sgpr_kernarg_segment_ptr 1
		.amdhsa_user_sgpr_dispatch_id 0
		.amdhsa_user_sgpr_private_segment_size 0
		.amdhsa_wavefront_size32 1
		.amdhsa_uses_dynamic_stack 0
		.amdhsa_enable_private_segment 0
		.amdhsa_system_sgpr_workgroup_id_x 1
		.amdhsa_system_sgpr_workgroup_id_y 0
		.amdhsa_system_sgpr_workgroup_id_z 0
		.amdhsa_system_sgpr_workgroup_info 0
		.amdhsa_system_vgpr_workitem_id 0
		.amdhsa_next_free_vgpr 1
		.amdhsa_next_free_sgpr 1
		.amdhsa_reserve_vcc 0
		.amdhsa_float_round_mode_32 0
		.amdhsa_float_round_mode_16_64 0
		.amdhsa_float_denorm_mode_32 3
		.amdhsa_float_denorm_mode_16_64 3
		.amdhsa_dx10_clamp 1
		.amdhsa_ieee_mode 1
		.amdhsa_fp16_overflow 0
		.amdhsa_workgroup_processor_mode 1
		.amdhsa_memory_ordered 1
		.amdhsa_forward_progress 0
		.amdhsa_shared_vgpr_count 0
		.amdhsa_exception_fp_ieee_invalid_op 0
		.amdhsa_exception_fp_denorm_src 0
		.amdhsa_exception_fp_ieee_div_zero 0
		.amdhsa_exception_fp_ieee_overflow 0
		.amdhsa_exception_fp_ieee_underflow 0
		.amdhsa_exception_fp_ieee_inexact 0
		.amdhsa_exception_int_div_zero 0
	.end_amdhsa_kernel
	.section	.text._ZN7rocprim17ROCPRIM_400000_NS6detail17trampoline_kernelINS0_14default_configENS1_36segmented_radix_sort_config_selectorIflEEZNS1_25segmented_radix_sort_implIS3_Lb0EPKfPfPKlPlN2at6native12_GLOBAL__N_18offset_tEEE10hipError_tPvRmT1_PNSt15iterator_traitsISK_E10value_typeET2_T3_PNSL_ISQ_E10value_typeET4_jRbjT5_SW_jjP12ihipStream_tbEUlT_E0_NS1_11comp_targetILNS1_3genE4ELNS1_11target_archE910ELNS1_3gpuE8ELNS1_3repE0EEENS1_60segmented_radix_sort_warp_sort_medium_config_static_selectorELNS0_4arch9wavefront6targetE0EEEvSK_,"axG",@progbits,_ZN7rocprim17ROCPRIM_400000_NS6detail17trampoline_kernelINS0_14default_configENS1_36segmented_radix_sort_config_selectorIflEEZNS1_25segmented_radix_sort_implIS3_Lb0EPKfPfPKlPlN2at6native12_GLOBAL__N_18offset_tEEE10hipError_tPvRmT1_PNSt15iterator_traitsISK_E10value_typeET2_T3_PNSL_ISQ_E10value_typeET4_jRbjT5_SW_jjP12ihipStream_tbEUlT_E0_NS1_11comp_targetILNS1_3genE4ELNS1_11target_archE910ELNS1_3gpuE8ELNS1_3repE0EEENS1_60segmented_radix_sort_warp_sort_medium_config_static_selectorELNS0_4arch9wavefront6targetE0EEEvSK_,comdat
.Lfunc_end1440:
	.size	_ZN7rocprim17ROCPRIM_400000_NS6detail17trampoline_kernelINS0_14default_configENS1_36segmented_radix_sort_config_selectorIflEEZNS1_25segmented_radix_sort_implIS3_Lb0EPKfPfPKlPlN2at6native12_GLOBAL__N_18offset_tEEE10hipError_tPvRmT1_PNSt15iterator_traitsISK_E10value_typeET2_T3_PNSL_ISQ_E10value_typeET4_jRbjT5_SW_jjP12ihipStream_tbEUlT_E0_NS1_11comp_targetILNS1_3genE4ELNS1_11target_archE910ELNS1_3gpuE8ELNS1_3repE0EEENS1_60segmented_radix_sort_warp_sort_medium_config_static_selectorELNS0_4arch9wavefront6targetE0EEEvSK_, .Lfunc_end1440-_ZN7rocprim17ROCPRIM_400000_NS6detail17trampoline_kernelINS0_14default_configENS1_36segmented_radix_sort_config_selectorIflEEZNS1_25segmented_radix_sort_implIS3_Lb0EPKfPfPKlPlN2at6native12_GLOBAL__N_18offset_tEEE10hipError_tPvRmT1_PNSt15iterator_traitsISK_E10value_typeET2_T3_PNSL_ISQ_E10value_typeET4_jRbjT5_SW_jjP12ihipStream_tbEUlT_E0_NS1_11comp_targetILNS1_3genE4ELNS1_11target_archE910ELNS1_3gpuE8ELNS1_3repE0EEENS1_60segmented_radix_sort_warp_sort_medium_config_static_selectorELNS0_4arch9wavefront6targetE0EEEvSK_
                                        ; -- End function
	.section	.AMDGPU.csdata,"",@progbits
; Kernel info:
; codeLenInByte = 0
; NumSgprs: 0
; NumVgprs: 0
; ScratchSize: 0
; MemoryBound: 0
; FloatMode: 240
; IeeeMode: 1
; LDSByteSize: 0 bytes/workgroup (compile time only)
; SGPRBlocks: 0
; VGPRBlocks: 0
; NumSGPRsForWavesPerEU: 1
; NumVGPRsForWavesPerEU: 1
; Occupancy: 16
; WaveLimiterHint : 0
; COMPUTE_PGM_RSRC2:SCRATCH_EN: 0
; COMPUTE_PGM_RSRC2:USER_SGPR: 15
; COMPUTE_PGM_RSRC2:TRAP_HANDLER: 0
; COMPUTE_PGM_RSRC2:TGID_X_EN: 1
; COMPUTE_PGM_RSRC2:TGID_Y_EN: 0
; COMPUTE_PGM_RSRC2:TGID_Z_EN: 0
; COMPUTE_PGM_RSRC2:TIDIG_COMP_CNT: 0
	.section	.text._ZN7rocprim17ROCPRIM_400000_NS6detail17trampoline_kernelINS0_14default_configENS1_36segmented_radix_sort_config_selectorIflEEZNS1_25segmented_radix_sort_implIS3_Lb0EPKfPfPKlPlN2at6native12_GLOBAL__N_18offset_tEEE10hipError_tPvRmT1_PNSt15iterator_traitsISK_E10value_typeET2_T3_PNSL_ISQ_E10value_typeET4_jRbjT5_SW_jjP12ihipStream_tbEUlT_E0_NS1_11comp_targetILNS1_3genE3ELNS1_11target_archE908ELNS1_3gpuE7ELNS1_3repE0EEENS1_60segmented_radix_sort_warp_sort_medium_config_static_selectorELNS0_4arch9wavefront6targetE0EEEvSK_,"axG",@progbits,_ZN7rocprim17ROCPRIM_400000_NS6detail17trampoline_kernelINS0_14default_configENS1_36segmented_radix_sort_config_selectorIflEEZNS1_25segmented_radix_sort_implIS3_Lb0EPKfPfPKlPlN2at6native12_GLOBAL__N_18offset_tEEE10hipError_tPvRmT1_PNSt15iterator_traitsISK_E10value_typeET2_T3_PNSL_ISQ_E10value_typeET4_jRbjT5_SW_jjP12ihipStream_tbEUlT_E0_NS1_11comp_targetILNS1_3genE3ELNS1_11target_archE908ELNS1_3gpuE7ELNS1_3repE0EEENS1_60segmented_radix_sort_warp_sort_medium_config_static_selectorELNS0_4arch9wavefront6targetE0EEEvSK_,comdat
	.globl	_ZN7rocprim17ROCPRIM_400000_NS6detail17trampoline_kernelINS0_14default_configENS1_36segmented_radix_sort_config_selectorIflEEZNS1_25segmented_radix_sort_implIS3_Lb0EPKfPfPKlPlN2at6native12_GLOBAL__N_18offset_tEEE10hipError_tPvRmT1_PNSt15iterator_traitsISK_E10value_typeET2_T3_PNSL_ISQ_E10value_typeET4_jRbjT5_SW_jjP12ihipStream_tbEUlT_E0_NS1_11comp_targetILNS1_3genE3ELNS1_11target_archE908ELNS1_3gpuE7ELNS1_3repE0EEENS1_60segmented_radix_sort_warp_sort_medium_config_static_selectorELNS0_4arch9wavefront6targetE0EEEvSK_ ; -- Begin function _ZN7rocprim17ROCPRIM_400000_NS6detail17trampoline_kernelINS0_14default_configENS1_36segmented_radix_sort_config_selectorIflEEZNS1_25segmented_radix_sort_implIS3_Lb0EPKfPfPKlPlN2at6native12_GLOBAL__N_18offset_tEEE10hipError_tPvRmT1_PNSt15iterator_traitsISK_E10value_typeET2_T3_PNSL_ISQ_E10value_typeET4_jRbjT5_SW_jjP12ihipStream_tbEUlT_E0_NS1_11comp_targetILNS1_3genE3ELNS1_11target_archE908ELNS1_3gpuE7ELNS1_3repE0EEENS1_60segmented_radix_sort_warp_sort_medium_config_static_selectorELNS0_4arch9wavefront6targetE0EEEvSK_
	.p2align	8
	.type	_ZN7rocprim17ROCPRIM_400000_NS6detail17trampoline_kernelINS0_14default_configENS1_36segmented_radix_sort_config_selectorIflEEZNS1_25segmented_radix_sort_implIS3_Lb0EPKfPfPKlPlN2at6native12_GLOBAL__N_18offset_tEEE10hipError_tPvRmT1_PNSt15iterator_traitsISK_E10value_typeET2_T3_PNSL_ISQ_E10value_typeET4_jRbjT5_SW_jjP12ihipStream_tbEUlT_E0_NS1_11comp_targetILNS1_3genE3ELNS1_11target_archE908ELNS1_3gpuE7ELNS1_3repE0EEENS1_60segmented_radix_sort_warp_sort_medium_config_static_selectorELNS0_4arch9wavefront6targetE0EEEvSK_,@function
_ZN7rocprim17ROCPRIM_400000_NS6detail17trampoline_kernelINS0_14default_configENS1_36segmented_radix_sort_config_selectorIflEEZNS1_25segmented_radix_sort_implIS3_Lb0EPKfPfPKlPlN2at6native12_GLOBAL__N_18offset_tEEE10hipError_tPvRmT1_PNSt15iterator_traitsISK_E10value_typeET2_T3_PNSL_ISQ_E10value_typeET4_jRbjT5_SW_jjP12ihipStream_tbEUlT_E0_NS1_11comp_targetILNS1_3genE3ELNS1_11target_archE908ELNS1_3gpuE7ELNS1_3repE0EEENS1_60segmented_radix_sort_warp_sort_medium_config_static_selectorELNS0_4arch9wavefront6targetE0EEEvSK_: ; @_ZN7rocprim17ROCPRIM_400000_NS6detail17trampoline_kernelINS0_14default_configENS1_36segmented_radix_sort_config_selectorIflEEZNS1_25segmented_radix_sort_implIS3_Lb0EPKfPfPKlPlN2at6native12_GLOBAL__N_18offset_tEEE10hipError_tPvRmT1_PNSt15iterator_traitsISK_E10value_typeET2_T3_PNSL_ISQ_E10value_typeET4_jRbjT5_SW_jjP12ihipStream_tbEUlT_E0_NS1_11comp_targetILNS1_3genE3ELNS1_11target_archE908ELNS1_3gpuE7ELNS1_3repE0EEENS1_60segmented_radix_sort_warp_sort_medium_config_static_selectorELNS0_4arch9wavefront6targetE0EEEvSK_
; %bb.0:
	.section	.rodata,"a",@progbits
	.p2align	6, 0x0
	.amdhsa_kernel _ZN7rocprim17ROCPRIM_400000_NS6detail17trampoline_kernelINS0_14default_configENS1_36segmented_radix_sort_config_selectorIflEEZNS1_25segmented_radix_sort_implIS3_Lb0EPKfPfPKlPlN2at6native12_GLOBAL__N_18offset_tEEE10hipError_tPvRmT1_PNSt15iterator_traitsISK_E10value_typeET2_T3_PNSL_ISQ_E10value_typeET4_jRbjT5_SW_jjP12ihipStream_tbEUlT_E0_NS1_11comp_targetILNS1_3genE3ELNS1_11target_archE908ELNS1_3gpuE7ELNS1_3repE0EEENS1_60segmented_radix_sort_warp_sort_medium_config_static_selectorELNS0_4arch9wavefront6targetE0EEEvSK_
		.amdhsa_group_segment_fixed_size 0
		.amdhsa_private_segment_fixed_size 0
		.amdhsa_kernarg_size 88
		.amdhsa_user_sgpr_count 15
		.amdhsa_user_sgpr_dispatch_ptr 0
		.amdhsa_user_sgpr_queue_ptr 0
		.amdhsa_user_sgpr_kernarg_segment_ptr 1
		.amdhsa_user_sgpr_dispatch_id 0
		.amdhsa_user_sgpr_private_segment_size 0
		.amdhsa_wavefront_size32 1
		.amdhsa_uses_dynamic_stack 0
		.amdhsa_enable_private_segment 0
		.amdhsa_system_sgpr_workgroup_id_x 1
		.amdhsa_system_sgpr_workgroup_id_y 0
		.amdhsa_system_sgpr_workgroup_id_z 0
		.amdhsa_system_sgpr_workgroup_info 0
		.amdhsa_system_vgpr_workitem_id 0
		.amdhsa_next_free_vgpr 1
		.amdhsa_next_free_sgpr 1
		.amdhsa_reserve_vcc 0
		.amdhsa_float_round_mode_32 0
		.amdhsa_float_round_mode_16_64 0
		.amdhsa_float_denorm_mode_32 3
		.amdhsa_float_denorm_mode_16_64 3
		.amdhsa_dx10_clamp 1
		.amdhsa_ieee_mode 1
		.amdhsa_fp16_overflow 0
		.amdhsa_workgroup_processor_mode 1
		.amdhsa_memory_ordered 1
		.amdhsa_forward_progress 0
		.amdhsa_shared_vgpr_count 0
		.amdhsa_exception_fp_ieee_invalid_op 0
		.amdhsa_exception_fp_denorm_src 0
		.amdhsa_exception_fp_ieee_div_zero 0
		.amdhsa_exception_fp_ieee_overflow 0
		.amdhsa_exception_fp_ieee_underflow 0
		.amdhsa_exception_fp_ieee_inexact 0
		.amdhsa_exception_int_div_zero 0
	.end_amdhsa_kernel
	.section	.text._ZN7rocprim17ROCPRIM_400000_NS6detail17trampoline_kernelINS0_14default_configENS1_36segmented_radix_sort_config_selectorIflEEZNS1_25segmented_radix_sort_implIS3_Lb0EPKfPfPKlPlN2at6native12_GLOBAL__N_18offset_tEEE10hipError_tPvRmT1_PNSt15iterator_traitsISK_E10value_typeET2_T3_PNSL_ISQ_E10value_typeET4_jRbjT5_SW_jjP12ihipStream_tbEUlT_E0_NS1_11comp_targetILNS1_3genE3ELNS1_11target_archE908ELNS1_3gpuE7ELNS1_3repE0EEENS1_60segmented_radix_sort_warp_sort_medium_config_static_selectorELNS0_4arch9wavefront6targetE0EEEvSK_,"axG",@progbits,_ZN7rocprim17ROCPRIM_400000_NS6detail17trampoline_kernelINS0_14default_configENS1_36segmented_radix_sort_config_selectorIflEEZNS1_25segmented_radix_sort_implIS3_Lb0EPKfPfPKlPlN2at6native12_GLOBAL__N_18offset_tEEE10hipError_tPvRmT1_PNSt15iterator_traitsISK_E10value_typeET2_T3_PNSL_ISQ_E10value_typeET4_jRbjT5_SW_jjP12ihipStream_tbEUlT_E0_NS1_11comp_targetILNS1_3genE3ELNS1_11target_archE908ELNS1_3gpuE7ELNS1_3repE0EEENS1_60segmented_radix_sort_warp_sort_medium_config_static_selectorELNS0_4arch9wavefront6targetE0EEEvSK_,comdat
.Lfunc_end1441:
	.size	_ZN7rocprim17ROCPRIM_400000_NS6detail17trampoline_kernelINS0_14default_configENS1_36segmented_radix_sort_config_selectorIflEEZNS1_25segmented_radix_sort_implIS3_Lb0EPKfPfPKlPlN2at6native12_GLOBAL__N_18offset_tEEE10hipError_tPvRmT1_PNSt15iterator_traitsISK_E10value_typeET2_T3_PNSL_ISQ_E10value_typeET4_jRbjT5_SW_jjP12ihipStream_tbEUlT_E0_NS1_11comp_targetILNS1_3genE3ELNS1_11target_archE908ELNS1_3gpuE7ELNS1_3repE0EEENS1_60segmented_radix_sort_warp_sort_medium_config_static_selectorELNS0_4arch9wavefront6targetE0EEEvSK_, .Lfunc_end1441-_ZN7rocprim17ROCPRIM_400000_NS6detail17trampoline_kernelINS0_14default_configENS1_36segmented_radix_sort_config_selectorIflEEZNS1_25segmented_radix_sort_implIS3_Lb0EPKfPfPKlPlN2at6native12_GLOBAL__N_18offset_tEEE10hipError_tPvRmT1_PNSt15iterator_traitsISK_E10value_typeET2_T3_PNSL_ISQ_E10value_typeET4_jRbjT5_SW_jjP12ihipStream_tbEUlT_E0_NS1_11comp_targetILNS1_3genE3ELNS1_11target_archE908ELNS1_3gpuE7ELNS1_3repE0EEENS1_60segmented_radix_sort_warp_sort_medium_config_static_selectorELNS0_4arch9wavefront6targetE0EEEvSK_
                                        ; -- End function
	.section	.AMDGPU.csdata,"",@progbits
; Kernel info:
; codeLenInByte = 0
; NumSgprs: 0
; NumVgprs: 0
; ScratchSize: 0
; MemoryBound: 0
; FloatMode: 240
; IeeeMode: 1
; LDSByteSize: 0 bytes/workgroup (compile time only)
; SGPRBlocks: 0
; VGPRBlocks: 0
; NumSGPRsForWavesPerEU: 1
; NumVGPRsForWavesPerEU: 1
; Occupancy: 16
; WaveLimiterHint : 0
; COMPUTE_PGM_RSRC2:SCRATCH_EN: 0
; COMPUTE_PGM_RSRC2:USER_SGPR: 15
; COMPUTE_PGM_RSRC2:TRAP_HANDLER: 0
; COMPUTE_PGM_RSRC2:TGID_X_EN: 1
; COMPUTE_PGM_RSRC2:TGID_Y_EN: 0
; COMPUTE_PGM_RSRC2:TGID_Z_EN: 0
; COMPUTE_PGM_RSRC2:TIDIG_COMP_CNT: 0
	.section	.text._ZN7rocprim17ROCPRIM_400000_NS6detail17trampoline_kernelINS0_14default_configENS1_36segmented_radix_sort_config_selectorIflEEZNS1_25segmented_radix_sort_implIS3_Lb0EPKfPfPKlPlN2at6native12_GLOBAL__N_18offset_tEEE10hipError_tPvRmT1_PNSt15iterator_traitsISK_E10value_typeET2_T3_PNSL_ISQ_E10value_typeET4_jRbjT5_SW_jjP12ihipStream_tbEUlT_E0_NS1_11comp_targetILNS1_3genE2ELNS1_11target_archE906ELNS1_3gpuE6ELNS1_3repE0EEENS1_60segmented_radix_sort_warp_sort_medium_config_static_selectorELNS0_4arch9wavefront6targetE0EEEvSK_,"axG",@progbits,_ZN7rocprim17ROCPRIM_400000_NS6detail17trampoline_kernelINS0_14default_configENS1_36segmented_radix_sort_config_selectorIflEEZNS1_25segmented_radix_sort_implIS3_Lb0EPKfPfPKlPlN2at6native12_GLOBAL__N_18offset_tEEE10hipError_tPvRmT1_PNSt15iterator_traitsISK_E10value_typeET2_T3_PNSL_ISQ_E10value_typeET4_jRbjT5_SW_jjP12ihipStream_tbEUlT_E0_NS1_11comp_targetILNS1_3genE2ELNS1_11target_archE906ELNS1_3gpuE6ELNS1_3repE0EEENS1_60segmented_radix_sort_warp_sort_medium_config_static_selectorELNS0_4arch9wavefront6targetE0EEEvSK_,comdat
	.globl	_ZN7rocprim17ROCPRIM_400000_NS6detail17trampoline_kernelINS0_14default_configENS1_36segmented_radix_sort_config_selectorIflEEZNS1_25segmented_radix_sort_implIS3_Lb0EPKfPfPKlPlN2at6native12_GLOBAL__N_18offset_tEEE10hipError_tPvRmT1_PNSt15iterator_traitsISK_E10value_typeET2_T3_PNSL_ISQ_E10value_typeET4_jRbjT5_SW_jjP12ihipStream_tbEUlT_E0_NS1_11comp_targetILNS1_3genE2ELNS1_11target_archE906ELNS1_3gpuE6ELNS1_3repE0EEENS1_60segmented_radix_sort_warp_sort_medium_config_static_selectorELNS0_4arch9wavefront6targetE0EEEvSK_ ; -- Begin function _ZN7rocprim17ROCPRIM_400000_NS6detail17trampoline_kernelINS0_14default_configENS1_36segmented_radix_sort_config_selectorIflEEZNS1_25segmented_radix_sort_implIS3_Lb0EPKfPfPKlPlN2at6native12_GLOBAL__N_18offset_tEEE10hipError_tPvRmT1_PNSt15iterator_traitsISK_E10value_typeET2_T3_PNSL_ISQ_E10value_typeET4_jRbjT5_SW_jjP12ihipStream_tbEUlT_E0_NS1_11comp_targetILNS1_3genE2ELNS1_11target_archE906ELNS1_3gpuE6ELNS1_3repE0EEENS1_60segmented_radix_sort_warp_sort_medium_config_static_selectorELNS0_4arch9wavefront6targetE0EEEvSK_
	.p2align	8
	.type	_ZN7rocprim17ROCPRIM_400000_NS6detail17trampoline_kernelINS0_14default_configENS1_36segmented_radix_sort_config_selectorIflEEZNS1_25segmented_radix_sort_implIS3_Lb0EPKfPfPKlPlN2at6native12_GLOBAL__N_18offset_tEEE10hipError_tPvRmT1_PNSt15iterator_traitsISK_E10value_typeET2_T3_PNSL_ISQ_E10value_typeET4_jRbjT5_SW_jjP12ihipStream_tbEUlT_E0_NS1_11comp_targetILNS1_3genE2ELNS1_11target_archE906ELNS1_3gpuE6ELNS1_3repE0EEENS1_60segmented_radix_sort_warp_sort_medium_config_static_selectorELNS0_4arch9wavefront6targetE0EEEvSK_,@function
_ZN7rocprim17ROCPRIM_400000_NS6detail17trampoline_kernelINS0_14default_configENS1_36segmented_radix_sort_config_selectorIflEEZNS1_25segmented_radix_sort_implIS3_Lb0EPKfPfPKlPlN2at6native12_GLOBAL__N_18offset_tEEE10hipError_tPvRmT1_PNSt15iterator_traitsISK_E10value_typeET2_T3_PNSL_ISQ_E10value_typeET4_jRbjT5_SW_jjP12ihipStream_tbEUlT_E0_NS1_11comp_targetILNS1_3genE2ELNS1_11target_archE906ELNS1_3gpuE6ELNS1_3repE0EEENS1_60segmented_radix_sort_warp_sort_medium_config_static_selectorELNS0_4arch9wavefront6targetE0EEEvSK_: ; @_ZN7rocprim17ROCPRIM_400000_NS6detail17trampoline_kernelINS0_14default_configENS1_36segmented_radix_sort_config_selectorIflEEZNS1_25segmented_radix_sort_implIS3_Lb0EPKfPfPKlPlN2at6native12_GLOBAL__N_18offset_tEEE10hipError_tPvRmT1_PNSt15iterator_traitsISK_E10value_typeET2_T3_PNSL_ISQ_E10value_typeET4_jRbjT5_SW_jjP12ihipStream_tbEUlT_E0_NS1_11comp_targetILNS1_3genE2ELNS1_11target_archE906ELNS1_3gpuE6ELNS1_3repE0EEENS1_60segmented_radix_sort_warp_sort_medium_config_static_selectorELNS0_4arch9wavefront6targetE0EEEvSK_
; %bb.0:
	.section	.rodata,"a",@progbits
	.p2align	6, 0x0
	.amdhsa_kernel _ZN7rocprim17ROCPRIM_400000_NS6detail17trampoline_kernelINS0_14default_configENS1_36segmented_radix_sort_config_selectorIflEEZNS1_25segmented_radix_sort_implIS3_Lb0EPKfPfPKlPlN2at6native12_GLOBAL__N_18offset_tEEE10hipError_tPvRmT1_PNSt15iterator_traitsISK_E10value_typeET2_T3_PNSL_ISQ_E10value_typeET4_jRbjT5_SW_jjP12ihipStream_tbEUlT_E0_NS1_11comp_targetILNS1_3genE2ELNS1_11target_archE906ELNS1_3gpuE6ELNS1_3repE0EEENS1_60segmented_radix_sort_warp_sort_medium_config_static_selectorELNS0_4arch9wavefront6targetE0EEEvSK_
		.amdhsa_group_segment_fixed_size 0
		.amdhsa_private_segment_fixed_size 0
		.amdhsa_kernarg_size 88
		.amdhsa_user_sgpr_count 15
		.amdhsa_user_sgpr_dispatch_ptr 0
		.amdhsa_user_sgpr_queue_ptr 0
		.amdhsa_user_sgpr_kernarg_segment_ptr 1
		.amdhsa_user_sgpr_dispatch_id 0
		.amdhsa_user_sgpr_private_segment_size 0
		.amdhsa_wavefront_size32 1
		.amdhsa_uses_dynamic_stack 0
		.amdhsa_enable_private_segment 0
		.amdhsa_system_sgpr_workgroup_id_x 1
		.amdhsa_system_sgpr_workgroup_id_y 0
		.amdhsa_system_sgpr_workgroup_id_z 0
		.amdhsa_system_sgpr_workgroup_info 0
		.amdhsa_system_vgpr_workitem_id 0
		.amdhsa_next_free_vgpr 1
		.amdhsa_next_free_sgpr 1
		.amdhsa_reserve_vcc 0
		.amdhsa_float_round_mode_32 0
		.amdhsa_float_round_mode_16_64 0
		.amdhsa_float_denorm_mode_32 3
		.amdhsa_float_denorm_mode_16_64 3
		.amdhsa_dx10_clamp 1
		.amdhsa_ieee_mode 1
		.amdhsa_fp16_overflow 0
		.amdhsa_workgroup_processor_mode 1
		.amdhsa_memory_ordered 1
		.amdhsa_forward_progress 0
		.amdhsa_shared_vgpr_count 0
		.amdhsa_exception_fp_ieee_invalid_op 0
		.amdhsa_exception_fp_denorm_src 0
		.amdhsa_exception_fp_ieee_div_zero 0
		.amdhsa_exception_fp_ieee_overflow 0
		.amdhsa_exception_fp_ieee_underflow 0
		.amdhsa_exception_fp_ieee_inexact 0
		.amdhsa_exception_int_div_zero 0
	.end_amdhsa_kernel
	.section	.text._ZN7rocprim17ROCPRIM_400000_NS6detail17trampoline_kernelINS0_14default_configENS1_36segmented_radix_sort_config_selectorIflEEZNS1_25segmented_radix_sort_implIS3_Lb0EPKfPfPKlPlN2at6native12_GLOBAL__N_18offset_tEEE10hipError_tPvRmT1_PNSt15iterator_traitsISK_E10value_typeET2_T3_PNSL_ISQ_E10value_typeET4_jRbjT5_SW_jjP12ihipStream_tbEUlT_E0_NS1_11comp_targetILNS1_3genE2ELNS1_11target_archE906ELNS1_3gpuE6ELNS1_3repE0EEENS1_60segmented_radix_sort_warp_sort_medium_config_static_selectorELNS0_4arch9wavefront6targetE0EEEvSK_,"axG",@progbits,_ZN7rocprim17ROCPRIM_400000_NS6detail17trampoline_kernelINS0_14default_configENS1_36segmented_radix_sort_config_selectorIflEEZNS1_25segmented_radix_sort_implIS3_Lb0EPKfPfPKlPlN2at6native12_GLOBAL__N_18offset_tEEE10hipError_tPvRmT1_PNSt15iterator_traitsISK_E10value_typeET2_T3_PNSL_ISQ_E10value_typeET4_jRbjT5_SW_jjP12ihipStream_tbEUlT_E0_NS1_11comp_targetILNS1_3genE2ELNS1_11target_archE906ELNS1_3gpuE6ELNS1_3repE0EEENS1_60segmented_radix_sort_warp_sort_medium_config_static_selectorELNS0_4arch9wavefront6targetE0EEEvSK_,comdat
.Lfunc_end1442:
	.size	_ZN7rocprim17ROCPRIM_400000_NS6detail17trampoline_kernelINS0_14default_configENS1_36segmented_radix_sort_config_selectorIflEEZNS1_25segmented_radix_sort_implIS3_Lb0EPKfPfPKlPlN2at6native12_GLOBAL__N_18offset_tEEE10hipError_tPvRmT1_PNSt15iterator_traitsISK_E10value_typeET2_T3_PNSL_ISQ_E10value_typeET4_jRbjT5_SW_jjP12ihipStream_tbEUlT_E0_NS1_11comp_targetILNS1_3genE2ELNS1_11target_archE906ELNS1_3gpuE6ELNS1_3repE0EEENS1_60segmented_radix_sort_warp_sort_medium_config_static_selectorELNS0_4arch9wavefront6targetE0EEEvSK_, .Lfunc_end1442-_ZN7rocprim17ROCPRIM_400000_NS6detail17trampoline_kernelINS0_14default_configENS1_36segmented_radix_sort_config_selectorIflEEZNS1_25segmented_radix_sort_implIS3_Lb0EPKfPfPKlPlN2at6native12_GLOBAL__N_18offset_tEEE10hipError_tPvRmT1_PNSt15iterator_traitsISK_E10value_typeET2_T3_PNSL_ISQ_E10value_typeET4_jRbjT5_SW_jjP12ihipStream_tbEUlT_E0_NS1_11comp_targetILNS1_3genE2ELNS1_11target_archE906ELNS1_3gpuE6ELNS1_3repE0EEENS1_60segmented_radix_sort_warp_sort_medium_config_static_selectorELNS0_4arch9wavefront6targetE0EEEvSK_
                                        ; -- End function
	.section	.AMDGPU.csdata,"",@progbits
; Kernel info:
; codeLenInByte = 0
; NumSgprs: 0
; NumVgprs: 0
; ScratchSize: 0
; MemoryBound: 0
; FloatMode: 240
; IeeeMode: 1
; LDSByteSize: 0 bytes/workgroup (compile time only)
; SGPRBlocks: 0
; VGPRBlocks: 0
; NumSGPRsForWavesPerEU: 1
; NumVGPRsForWavesPerEU: 1
; Occupancy: 16
; WaveLimiterHint : 0
; COMPUTE_PGM_RSRC2:SCRATCH_EN: 0
; COMPUTE_PGM_RSRC2:USER_SGPR: 15
; COMPUTE_PGM_RSRC2:TRAP_HANDLER: 0
; COMPUTE_PGM_RSRC2:TGID_X_EN: 1
; COMPUTE_PGM_RSRC2:TGID_Y_EN: 0
; COMPUTE_PGM_RSRC2:TGID_Z_EN: 0
; COMPUTE_PGM_RSRC2:TIDIG_COMP_CNT: 0
	.section	.text._ZN7rocprim17ROCPRIM_400000_NS6detail17trampoline_kernelINS0_14default_configENS1_36segmented_radix_sort_config_selectorIflEEZNS1_25segmented_radix_sort_implIS3_Lb0EPKfPfPKlPlN2at6native12_GLOBAL__N_18offset_tEEE10hipError_tPvRmT1_PNSt15iterator_traitsISK_E10value_typeET2_T3_PNSL_ISQ_E10value_typeET4_jRbjT5_SW_jjP12ihipStream_tbEUlT_E0_NS1_11comp_targetILNS1_3genE10ELNS1_11target_archE1201ELNS1_3gpuE5ELNS1_3repE0EEENS1_60segmented_radix_sort_warp_sort_medium_config_static_selectorELNS0_4arch9wavefront6targetE0EEEvSK_,"axG",@progbits,_ZN7rocprim17ROCPRIM_400000_NS6detail17trampoline_kernelINS0_14default_configENS1_36segmented_radix_sort_config_selectorIflEEZNS1_25segmented_radix_sort_implIS3_Lb0EPKfPfPKlPlN2at6native12_GLOBAL__N_18offset_tEEE10hipError_tPvRmT1_PNSt15iterator_traitsISK_E10value_typeET2_T3_PNSL_ISQ_E10value_typeET4_jRbjT5_SW_jjP12ihipStream_tbEUlT_E0_NS1_11comp_targetILNS1_3genE10ELNS1_11target_archE1201ELNS1_3gpuE5ELNS1_3repE0EEENS1_60segmented_radix_sort_warp_sort_medium_config_static_selectorELNS0_4arch9wavefront6targetE0EEEvSK_,comdat
	.globl	_ZN7rocprim17ROCPRIM_400000_NS6detail17trampoline_kernelINS0_14default_configENS1_36segmented_radix_sort_config_selectorIflEEZNS1_25segmented_radix_sort_implIS3_Lb0EPKfPfPKlPlN2at6native12_GLOBAL__N_18offset_tEEE10hipError_tPvRmT1_PNSt15iterator_traitsISK_E10value_typeET2_T3_PNSL_ISQ_E10value_typeET4_jRbjT5_SW_jjP12ihipStream_tbEUlT_E0_NS1_11comp_targetILNS1_3genE10ELNS1_11target_archE1201ELNS1_3gpuE5ELNS1_3repE0EEENS1_60segmented_radix_sort_warp_sort_medium_config_static_selectorELNS0_4arch9wavefront6targetE0EEEvSK_ ; -- Begin function _ZN7rocprim17ROCPRIM_400000_NS6detail17trampoline_kernelINS0_14default_configENS1_36segmented_radix_sort_config_selectorIflEEZNS1_25segmented_radix_sort_implIS3_Lb0EPKfPfPKlPlN2at6native12_GLOBAL__N_18offset_tEEE10hipError_tPvRmT1_PNSt15iterator_traitsISK_E10value_typeET2_T3_PNSL_ISQ_E10value_typeET4_jRbjT5_SW_jjP12ihipStream_tbEUlT_E0_NS1_11comp_targetILNS1_3genE10ELNS1_11target_archE1201ELNS1_3gpuE5ELNS1_3repE0EEENS1_60segmented_radix_sort_warp_sort_medium_config_static_selectorELNS0_4arch9wavefront6targetE0EEEvSK_
	.p2align	8
	.type	_ZN7rocprim17ROCPRIM_400000_NS6detail17trampoline_kernelINS0_14default_configENS1_36segmented_radix_sort_config_selectorIflEEZNS1_25segmented_radix_sort_implIS3_Lb0EPKfPfPKlPlN2at6native12_GLOBAL__N_18offset_tEEE10hipError_tPvRmT1_PNSt15iterator_traitsISK_E10value_typeET2_T3_PNSL_ISQ_E10value_typeET4_jRbjT5_SW_jjP12ihipStream_tbEUlT_E0_NS1_11comp_targetILNS1_3genE10ELNS1_11target_archE1201ELNS1_3gpuE5ELNS1_3repE0EEENS1_60segmented_radix_sort_warp_sort_medium_config_static_selectorELNS0_4arch9wavefront6targetE0EEEvSK_,@function
_ZN7rocprim17ROCPRIM_400000_NS6detail17trampoline_kernelINS0_14default_configENS1_36segmented_radix_sort_config_selectorIflEEZNS1_25segmented_radix_sort_implIS3_Lb0EPKfPfPKlPlN2at6native12_GLOBAL__N_18offset_tEEE10hipError_tPvRmT1_PNSt15iterator_traitsISK_E10value_typeET2_T3_PNSL_ISQ_E10value_typeET4_jRbjT5_SW_jjP12ihipStream_tbEUlT_E0_NS1_11comp_targetILNS1_3genE10ELNS1_11target_archE1201ELNS1_3gpuE5ELNS1_3repE0EEENS1_60segmented_radix_sort_warp_sort_medium_config_static_selectorELNS0_4arch9wavefront6targetE0EEEvSK_: ; @_ZN7rocprim17ROCPRIM_400000_NS6detail17trampoline_kernelINS0_14default_configENS1_36segmented_radix_sort_config_selectorIflEEZNS1_25segmented_radix_sort_implIS3_Lb0EPKfPfPKlPlN2at6native12_GLOBAL__N_18offset_tEEE10hipError_tPvRmT1_PNSt15iterator_traitsISK_E10value_typeET2_T3_PNSL_ISQ_E10value_typeET4_jRbjT5_SW_jjP12ihipStream_tbEUlT_E0_NS1_11comp_targetILNS1_3genE10ELNS1_11target_archE1201ELNS1_3gpuE5ELNS1_3repE0EEENS1_60segmented_radix_sort_warp_sort_medium_config_static_selectorELNS0_4arch9wavefront6targetE0EEEvSK_
; %bb.0:
	.section	.rodata,"a",@progbits
	.p2align	6, 0x0
	.amdhsa_kernel _ZN7rocprim17ROCPRIM_400000_NS6detail17trampoline_kernelINS0_14default_configENS1_36segmented_radix_sort_config_selectorIflEEZNS1_25segmented_radix_sort_implIS3_Lb0EPKfPfPKlPlN2at6native12_GLOBAL__N_18offset_tEEE10hipError_tPvRmT1_PNSt15iterator_traitsISK_E10value_typeET2_T3_PNSL_ISQ_E10value_typeET4_jRbjT5_SW_jjP12ihipStream_tbEUlT_E0_NS1_11comp_targetILNS1_3genE10ELNS1_11target_archE1201ELNS1_3gpuE5ELNS1_3repE0EEENS1_60segmented_radix_sort_warp_sort_medium_config_static_selectorELNS0_4arch9wavefront6targetE0EEEvSK_
		.amdhsa_group_segment_fixed_size 0
		.amdhsa_private_segment_fixed_size 0
		.amdhsa_kernarg_size 88
		.amdhsa_user_sgpr_count 15
		.amdhsa_user_sgpr_dispatch_ptr 0
		.amdhsa_user_sgpr_queue_ptr 0
		.amdhsa_user_sgpr_kernarg_segment_ptr 1
		.amdhsa_user_sgpr_dispatch_id 0
		.amdhsa_user_sgpr_private_segment_size 0
		.amdhsa_wavefront_size32 1
		.amdhsa_uses_dynamic_stack 0
		.amdhsa_enable_private_segment 0
		.amdhsa_system_sgpr_workgroup_id_x 1
		.amdhsa_system_sgpr_workgroup_id_y 0
		.amdhsa_system_sgpr_workgroup_id_z 0
		.amdhsa_system_sgpr_workgroup_info 0
		.amdhsa_system_vgpr_workitem_id 0
		.amdhsa_next_free_vgpr 1
		.amdhsa_next_free_sgpr 1
		.amdhsa_reserve_vcc 0
		.amdhsa_float_round_mode_32 0
		.amdhsa_float_round_mode_16_64 0
		.amdhsa_float_denorm_mode_32 3
		.amdhsa_float_denorm_mode_16_64 3
		.amdhsa_dx10_clamp 1
		.amdhsa_ieee_mode 1
		.amdhsa_fp16_overflow 0
		.amdhsa_workgroup_processor_mode 1
		.amdhsa_memory_ordered 1
		.amdhsa_forward_progress 0
		.amdhsa_shared_vgpr_count 0
		.amdhsa_exception_fp_ieee_invalid_op 0
		.amdhsa_exception_fp_denorm_src 0
		.amdhsa_exception_fp_ieee_div_zero 0
		.amdhsa_exception_fp_ieee_overflow 0
		.amdhsa_exception_fp_ieee_underflow 0
		.amdhsa_exception_fp_ieee_inexact 0
		.amdhsa_exception_int_div_zero 0
	.end_amdhsa_kernel
	.section	.text._ZN7rocprim17ROCPRIM_400000_NS6detail17trampoline_kernelINS0_14default_configENS1_36segmented_radix_sort_config_selectorIflEEZNS1_25segmented_radix_sort_implIS3_Lb0EPKfPfPKlPlN2at6native12_GLOBAL__N_18offset_tEEE10hipError_tPvRmT1_PNSt15iterator_traitsISK_E10value_typeET2_T3_PNSL_ISQ_E10value_typeET4_jRbjT5_SW_jjP12ihipStream_tbEUlT_E0_NS1_11comp_targetILNS1_3genE10ELNS1_11target_archE1201ELNS1_3gpuE5ELNS1_3repE0EEENS1_60segmented_radix_sort_warp_sort_medium_config_static_selectorELNS0_4arch9wavefront6targetE0EEEvSK_,"axG",@progbits,_ZN7rocprim17ROCPRIM_400000_NS6detail17trampoline_kernelINS0_14default_configENS1_36segmented_radix_sort_config_selectorIflEEZNS1_25segmented_radix_sort_implIS3_Lb0EPKfPfPKlPlN2at6native12_GLOBAL__N_18offset_tEEE10hipError_tPvRmT1_PNSt15iterator_traitsISK_E10value_typeET2_T3_PNSL_ISQ_E10value_typeET4_jRbjT5_SW_jjP12ihipStream_tbEUlT_E0_NS1_11comp_targetILNS1_3genE10ELNS1_11target_archE1201ELNS1_3gpuE5ELNS1_3repE0EEENS1_60segmented_radix_sort_warp_sort_medium_config_static_selectorELNS0_4arch9wavefront6targetE0EEEvSK_,comdat
.Lfunc_end1443:
	.size	_ZN7rocprim17ROCPRIM_400000_NS6detail17trampoline_kernelINS0_14default_configENS1_36segmented_radix_sort_config_selectorIflEEZNS1_25segmented_radix_sort_implIS3_Lb0EPKfPfPKlPlN2at6native12_GLOBAL__N_18offset_tEEE10hipError_tPvRmT1_PNSt15iterator_traitsISK_E10value_typeET2_T3_PNSL_ISQ_E10value_typeET4_jRbjT5_SW_jjP12ihipStream_tbEUlT_E0_NS1_11comp_targetILNS1_3genE10ELNS1_11target_archE1201ELNS1_3gpuE5ELNS1_3repE0EEENS1_60segmented_radix_sort_warp_sort_medium_config_static_selectorELNS0_4arch9wavefront6targetE0EEEvSK_, .Lfunc_end1443-_ZN7rocprim17ROCPRIM_400000_NS6detail17trampoline_kernelINS0_14default_configENS1_36segmented_radix_sort_config_selectorIflEEZNS1_25segmented_radix_sort_implIS3_Lb0EPKfPfPKlPlN2at6native12_GLOBAL__N_18offset_tEEE10hipError_tPvRmT1_PNSt15iterator_traitsISK_E10value_typeET2_T3_PNSL_ISQ_E10value_typeET4_jRbjT5_SW_jjP12ihipStream_tbEUlT_E0_NS1_11comp_targetILNS1_3genE10ELNS1_11target_archE1201ELNS1_3gpuE5ELNS1_3repE0EEENS1_60segmented_radix_sort_warp_sort_medium_config_static_selectorELNS0_4arch9wavefront6targetE0EEEvSK_
                                        ; -- End function
	.section	.AMDGPU.csdata,"",@progbits
; Kernel info:
; codeLenInByte = 0
; NumSgprs: 0
; NumVgprs: 0
; ScratchSize: 0
; MemoryBound: 0
; FloatMode: 240
; IeeeMode: 1
; LDSByteSize: 0 bytes/workgroup (compile time only)
; SGPRBlocks: 0
; VGPRBlocks: 0
; NumSGPRsForWavesPerEU: 1
; NumVGPRsForWavesPerEU: 1
; Occupancy: 16
; WaveLimiterHint : 0
; COMPUTE_PGM_RSRC2:SCRATCH_EN: 0
; COMPUTE_PGM_RSRC2:USER_SGPR: 15
; COMPUTE_PGM_RSRC2:TRAP_HANDLER: 0
; COMPUTE_PGM_RSRC2:TGID_X_EN: 1
; COMPUTE_PGM_RSRC2:TGID_Y_EN: 0
; COMPUTE_PGM_RSRC2:TGID_Z_EN: 0
; COMPUTE_PGM_RSRC2:TIDIG_COMP_CNT: 0
	.section	.text._ZN7rocprim17ROCPRIM_400000_NS6detail17trampoline_kernelINS0_14default_configENS1_36segmented_radix_sort_config_selectorIflEEZNS1_25segmented_radix_sort_implIS3_Lb0EPKfPfPKlPlN2at6native12_GLOBAL__N_18offset_tEEE10hipError_tPvRmT1_PNSt15iterator_traitsISK_E10value_typeET2_T3_PNSL_ISQ_E10value_typeET4_jRbjT5_SW_jjP12ihipStream_tbEUlT_E0_NS1_11comp_targetILNS1_3genE10ELNS1_11target_archE1200ELNS1_3gpuE4ELNS1_3repE0EEENS1_60segmented_radix_sort_warp_sort_medium_config_static_selectorELNS0_4arch9wavefront6targetE0EEEvSK_,"axG",@progbits,_ZN7rocprim17ROCPRIM_400000_NS6detail17trampoline_kernelINS0_14default_configENS1_36segmented_radix_sort_config_selectorIflEEZNS1_25segmented_radix_sort_implIS3_Lb0EPKfPfPKlPlN2at6native12_GLOBAL__N_18offset_tEEE10hipError_tPvRmT1_PNSt15iterator_traitsISK_E10value_typeET2_T3_PNSL_ISQ_E10value_typeET4_jRbjT5_SW_jjP12ihipStream_tbEUlT_E0_NS1_11comp_targetILNS1_3genE10ELNS1_11target_archE1200ELNS1_3gpuE4ELNS1_3repE0EEENS1_60segmented_radix_sort_warp_sort_medium_config_static_selectorELNS0_4arch9wavefront6targetE0EEEvSK_,comdat
	.globl	_ZN7rocprim17ROCPRIM_400000_NS6detail17trampoline_kernelINS0_14default_configENS1_36segmented_radix_sort_config_selectorIflEEZNS1_25segmented_radix_sort_implIS3_Lb0EPKfPfPKlPlN2at6native12_GLOBAL__N_18offset_tEEE10hipError_tPvRmT1_PNSt15iterator_traitsISK_E10value_typeET2_T3_PNSL_ISQ_E10value_typeET4_jRbjT5_SW_jjP12ihipStream_tbEUlT_E0_NS1_11comp_targetILNS1_3genE10ELNS1_11target_archE1200ELNS1_3gpuE4ELNS1_3repE0EEENS1_60segmented_radix_sort_warp_sort_medium_config_static_selectorELNS0_4arch9wavefront6targetE0EEEvSK_ ; -- Begin function _ZN7rocprim17ROCPRIM_400000_NS6detail17trampoline_kernelINS0_14default_configENS1_36segmented_radix_sort_config_selectorIflEEZNS1_25segmented_radix_sort_implIS3_Lb0EPKfPfPKlPlN2at6native12_GLOBAL__N_18offset_tEEE10hipError_tPvRmT1_PNSt15iterator_traitsISK_E10value_typeET2_T3_PNSL_ISQ_E10value_typeET4_jRbjT5_SW_jjP12ihipStream_tbEUlT_E0_NS1_11comp_targetILNS1_3genE10ELNS1_11target_archE1200ELNS1_3gpuE4ELNS1_3repE0EEENS1_60segmented_radix_sort_warp_sort_medium_config_static_selectorELNS0_4arch9wavefront6targetE0EEEvSK_
	.p2align	8
	.type	_ZN7rocprim17ROCPRIM_400000_NS6detail17trampoline_kernelINS0_14default_configENS1_36segmented_radix_sort_config_selectorIflEEZNS1_25segmented_radix_sort_implIS3_Lb0EPKfPfPKlPlN2at6native12_GLOBAL__N_18offset_tEEE10hipError_tPvRmT1_PNSt15iterator_traitsISK_E10value_typeET2_T3_PNSL_ISQ_E10value_typeET4_jRbjT5_SW_jjP12ihipStream_tbEUlT_E0_NS1_11comp_targetILNS1_3genE10ELNS1_11target_archE1200ELNS1_3gpuE4ELNS1_3repE0EEENS1_60segmented_radix_sort_warp_sort_medium_config_static_selectorELNS0_4arch9wavefront6targetE0EEEvSK_,@function
_ZN7rocprim17ROCPRIM_400000_NS6detail17trampoline_kernelINS0_14default_configENS1_36segmented_radix_sort_config_selectorIflEEZNS1_25segmented_radix_sort_implIS3_Lb0EPKfPfPKlPlN2at6native12_GLOBAL__N_18offset_tEEE10hipError_tPvRmT1_PNSt15iterator_traitsISK_E10value_typeET2_T3_PNSL_ISQ_E10value_typeET4_jRbjT5_SW_jjP12ihipStream_tbEUlT_E0_NS1_11comp_targetILNS1_3genE10ELNS1_11target_archE1200ELNS1_3gpuE4ELNS1_3repE0EEENS1_60segmented_radix_sort_warp_sort_medium_config_static_selectorELNS0_4arch9wavefront6targetE0EEEvSK_: ; @_ZN7rocprim17ROCPRIM_400000_NS6detail17trampoline_kernelINS0_14default_configENS1_36segmented_radix_sort_config_selectorIflEEZNS1_25segmented_radix_sort_implIS3_Lb0EPKfPfPKlPlN2at6native12_GLOBAL__N_18offset_tEEE10hipError_tPvRmT1_PNSt15iterator_traitsISK_E10value_typeET2_T3_PNSL_ISQ_E10value_typeET4_jRbjT5_SW_jjP12ihipStream_tbEUlT_E0_NS1_11comp_targetILNS1_3genE10ELNS1_11target_archE1200ELNS1_3gpuE4ELNS1_3repE0EEENS1_60segmented_radix_sort_warp_sort_medium_config_static_selectorELNS0_4arch9wavefront6targetE0EEEvSK_
; %bb.0:
	.section	.rodata,"a",@progbits
	.p2align	6, 0x0
	.amdhsa_kernel _ZN7rocprim17ROCPRIM_400000_NS6detail17trampoline_kernelINS0_14default_configENS1_36segmented_radix_sort_config_selectorIflEEZNS1_25segmented_radix_sort_implIS3_Lb0EPKfPfPKlPlN2at6native12_GLOBAL__N_18offset_tEEE10hipError_tPvRmT1_PNSt15iterator_traitsISK_E10value_typeET2_T3_PNSL_ISQ_E10value_typeET4_jRbjT5_SW_jjP12ihipStream_tbEUlT_E0_NS1_11comp_targetILNS1_3genE10ELNS1_11target_archE1200ELNS1_3gpuE4ELNS1_3repE0EEENS1_60segmented_radix_sort_warp_sort_medium_config_static_selectorELNS0_4arch9wavefront6targetE0EEEvSK_
		.amdhsa_group_segment_fixed_size 0
		.amdhsa_private_segment_fixed_size 0
		.amdhsa_kernarg_size 88
		.amdhsa_user_sgpr_count 15
		.amdhsa_user_sgpr_dispatch_ptr 0
		.amdhsa_user_sgpr_queue_ptr 0
		.amdhsa_user_sgpr_kernarg_segment_ptr 1
		.amdhsa_user_sgpr_dispatch_id 0
		.amdhsa_user_sgpr_private_segment_size 0
		.amdhsa_wavefront_size32 1
		.amdhsa_uses_dynamic_stack 0
		.amdhsa_enable_private_segment 0
		.amdhsa_system_sgpr_workgroup_id_x 1
		.amdhsa_system_sgpr_workgroup_id_y 0
		.amdhsa_system_sgpr_workgroup_id_z 0
		.amdhsa_system_sgpr_workgroup_info 0
		.amdhsa_system_vgpr_workitem_id 0
		.amdhsa_next_free_vgpr 1
		.amdhsa_next_free_sgpr 1
		.amdhsa_reserve_vcc 0
		.amdhsa_float_round_mode_32 0
		.amdhsa_float_round_mode_16_64 0
		.amdhsa_float_denorm_mode_32 3
		.amdhsa_float_denorm_mode_16_64 3
		.amdhsa_dx10_clamp 1
		.amdhsa_ieee_mode 1
		.amdhsa_fp16_overflow 0
		.amdhsa_workgroup_processor_mode 1
		.amdhsa_memory_ordered 1
		.amdhsa_forward_progress 0
		.amdhsa_shared_vgpr_count 0
		.amdhsa_exception_fp_ieee_invalid_op 0
		.amdhsa_exception_fp_denorm_src 0
		.amdhsa_exception_fp_ieee_div_zero 0
		.amdhsa_exception_fp_ieee_overflow 0
		.amdhsa_exception_fp_ieee_underflow 0
		.amdhsa_exception_fp_ieee_inexact 0
		.amdhsa_exception_int_div_zero 0
	.end_amdhsa_kernel
	.section	.text._ZN7rocprim17ROCPRIM_400000_NS6detail17trampoline_kernelINS0_14default_configENS1_36segmented_radix_sort_config_selectorIflEEZNS1_25segmented_radix_sort_implIS3_Lb0EPKfPfPKlPlN2at6native12_GLOBAL__N_18offset_tEEE10hipError_tPvRmT1_PNSt15iterator_traitsISK_E10value_typeET2_T3_PNSL_ISQ_E10value_typeET4_jRbjT5_SW_jjP12ihipStream_tbEUlT_E0_NS1_11comp_targetILNS1_3genE10ELNS1_11target_archE1200ELNS1_3gpuE4ELNS1_3repE0EEENS1_60segmented_radix_sort_warp_sort_medium_config_static_selectorELNS0_4arch9wavefront6targetE0EEEvSK_,"axG",@progbits,_ZN7rocprim17ROCPRIM_400000_NS6detail17trampoline_kernelINS0_14default_configENS1_36segmented_radix_sort_config_selectorIflEEZNS1_25segmented_radix_sort_implIS3_Lb0EPKfPfPKlPlN2at6native12_GLOBAL__N_18offset_tEEE10hipError_tPvRmT1_PNSt15iterator_traitsISK_E10value_typeET2_T3_PNSL_ISQ_E10value_typeET4_jRbjT5_SW_jjP12ihipStream_tbEUlT_E0_NS1_11comp_targetILNS1_3genE10ELNS1_11target_archE1200ELNS1_3gpuE4ELNS1_3repE0EEENS1_60segmented_radix_sort_warp_sort_medium_config_static_selectorELNS0_4arch9wavefront6targetE0EEEvSK_,comdat
.Lfunc_end1444:
	.size	_ZN7rocprim17ROCPRIM_400000_NS6detail17trampoline_kernelINS0_14default_configENS1_36segmented_radix_sort_config_selectorIflEEZNS1_25segmented_radix_sort_implIS3_Lb0EPKfPfPKlPlN2at6native12_GLOBAL__N_18offset_tEEE10hipError_tPvRmT1_PNSt15iterator_traitsISK_E10value_typeET2_T3_PNSL_ISQ_E10value_typeET4_jRbjT5_SW_jjP12ihipStream_tbEUlT_E0_NS1_11comp_targetILNS1_3genE10ELNS1_11target_archE1200ELNS1_3gpuE4ELNS1_3repE0EEENS1_60segmented_radix_sort_warp_sort_medium_config_static_selectorELNS0_4arch9wavefront6targetE0EEEvSK_, .Lfunc_end1444-_ZN7rocprim17ROCPRIM_400000_NS6detail17trampoline_kernelINS0_14default_configENS1_36segmented_radix_sort_config_selectorIflEEZNS1_25segmented_radix_sort_implIS3_Lb0EPKfPfPKlPlN2at6native12_GLOBAL__N_18offset_tEEE10hipError_tPvRmT1_PNSt15iterator_traitsISK_E10value_typeET2_T3_PNSL_ISQ_E10value_typeET4_jRbjT5_SW_jjP12ihipStream_tbEUlT_E0_NS1_11comp_targetILNS1_3genE10ELNS1_11target_archE1200ELNS1_3gpuE4ELNS1_3repE0EEENS1_60segmented_radix_sort_warp_sort_medium_config_static_selectorELNS0_4arch9wavefront6targetE0EEEvSK_
                                        ; -- End function
	.section	.AMDGPU.csdata,"",@progbits
; Kernel info:
; codeLenInByte = 0
; NumSgprs: 0
; NumVgprs: 0
; ScratchSize: 0
; MemoryBound: 0
; FloatMode: 240
; IeeeMode: 1
; LDSByteSize: 0 bytes/workgroup (compile time only)
; SGPRBlocks: 0
; VGPRBlocks: 0
; NumSGPRsForWavesPerEU: 1
; NumVGPRsForWavesPerEU: 1
; Occupancy: 16
; WaveLimiterHint : 0
; COMPUTE_PGM_RSRC2:SCRATCH_EN: 0
; COMPUTE_PGM_RSRC2:USER_SGPR: 15
; COMPUTE_PGM_RSRC2:TRAP_HANDLER: 0
; COMPUTE_PGM_RSRC2:TGID_X_EN: 1
; COMPUTE_PGM_RSRC2:TGID_Y_EN: 0
; COMPUTE_PGM_RSRC2:TGID_Z_EN: 0
; COMPUTE_PGM_RSRC2:TIDIG_COMP_CNT: 0
	.text
	.p2align	2                               ; -- Begin function _ZN7rocprim17ROCPRIM_400000_NS6detail26segmented_warp_sort_helperINS1_20WarpSortHelperConfigILj16ELj8ELj256EEEflLi256ELb0EvE4sortIPKfPfPKlPlEEvT_T0_T1_T2_jjjjRNS5_12storage_typeE
	.type	_ZN7rocprim17ROCPRIM_400000_NS6detail26segmented_warp_sort_helperINS1_20WarpSortHelperConfigILj16ELj8ELj256EEEflLi256ELb0EvE4sortIPKfPfPKlPlEEvT_T0_T1_T2_jjjjRNS5_12storage_typeE,@function
_ZN7rocprim17ROCPRIM_400000_NS6detail26segmented_warp_sort_helperINS1_20WarpSortHelperConfigILj16ELj8ELj256EEEflLi256ELb0EvE4sortIPKfPfPKlPlEEvT_T0_T1_T2_jjjjRNS5_12storage_typeE: ; @_ZN7rocprim17ROCPRIM_400000_NS6detail26segmented_warp_sort_helperINS1_20WarpSortHelperConfigILj16ELj8ELj256EEEflLi256ELb0EvE4sortIPKfPfPKlPlEEvT_T0_T1_T2_jjjjRNS5_12storage_typeE
; %bb.0:
	s_waitcnt vmcnt(0) expcnt(0) lgkmcnt(0)
	v_mov_b32_e32 v10, v9
	v_mbcnt_lo_u32_b32 v9, -1, 0
	s_brev_b32 s0, -2
	s_delay_alu instid0(SALU_CYCLE_1) | instskip(SKIP_1) | instid1(VALU_DEP_1)
	s_mov_b32 s1, s0
	s_mov_b32 s2, s0
	v_lshlrev_b32_e32 v85, 3, v9
	v_mov_b32_e32 v9, 0
	s_mov_b32 s3, s0
	s_mov_b32 s4, s0
	;; [unrolled: 1-line block ×3, first 2 shown]
	v_and_b32_e32 v84, 0x78, v85
	v_lshlrev_b64 v[54:55], 2, v[8:9]
	s_mov_b32 s6, s0
	s_mov_b32 s7, s0
	v_sub_nc_u32_e32 v10, v10, v8
	v_dual_mov_b32 v23, s7 :: v_dual_lshlrev_b32 v82, 2, v84
	s_delay_alu instid0(VALU_DEP_3) | instskip(SKIP_2) | instid1(VALU_DEP_3)
	v_add_co_u32 v0, vcc_lo, v0, v54
	v_add_co_ci_u32_e32 v1, vcc_lo, v1, v55, vcc_lo
	v_dual_mov_b32 v22, s6 :: v_dual_mov_b32 v21, s5
	v_add_co_u32 v0, vcc_lo, v0, v82
	s_delay_alu instid0(VALU_DEP_3)
	v_add_co_ci_u32_e32 v1, vcc_lo, 0, v1, vcc_lo
	v_cmp_lt_u32_e32 vcc_lo, v84, v10
	v_dual_mov_b32 v20, s4 :: v_dual_mov_b32 v19, s3
	v_dual_mov_b32 v18, s2 :: v_dual_mov_b32 v17, s1
	v_mov_b32_e32 v16, s0
	s_and_saveexec_b32 s0, vcc_lo
	s_cbranch_execz .LBB1445_2
; %bb.1:
	flat_load_b32 v16, v[0:1]
	v_bfrev_b32_e32 v17, -2
	s_delay_alu instid0(VALU_DEP_1)
	v_mov_b32_e32 v18, v17
	v_mov_b32_e32 v19, v17
	;; [unrolled: 1-line block ×6, first 2 shown]
.LBB1445_2:
	s_or_b32 exec_lo, exec_lo, s0
	v_or_b32_e32 v11, 1, v84
	s_delay_alu instid0(VALU_DEP_1) | instskip(NEXT) | instid1(VALU_DEP_1)
	v_cmp_lt_u32_e64 s0, v11, v10
	s_and_saveexec_b32 s1, s0
	s_cbranch_execz .LBB1445_4
; %bb.3:
	flat_load_b32 v17, v[0:1] offset:4
.LBB1445_4:
	s_or_b32 exec_lo, exec_lo, s1
	v_or_b32_e32 v11, 2, v84
	s_delay_alu instid0(VALU_DEP_1) | instskip(NEXT) | instid1(VALU_DEP_1)
	v_cmp_lt_u32_e64 s1, v11, v10
	s_and_saveexec_b32 s2, s1
	s_cbranch_execz .LBB1445_6
; %bb.5:
	flat_load_b32 v18, v[0:1] offset:8
.LBB1445_6:
	;; [unrolled: 9-line block ×7, first 2 shown]
	s_or_b32 exec_lo, exec_lo, s7
	v_lshlrev_b64 v[0:1], 3, v[8:9]
	v_lshlrev_b32_e32 v83, 3, v84
	; wave barrier
	s_delay_alu instid0(VALU_DEP_2) | instskip(NEXT) | instid1(VALU_DEP_1)
	v_add_co_u32 v4, s7, v4, v0
	v_add_co_ci_u32_e64 v5, s7, v5, v1, s7
	s_delay_alu instid0(VALU_DEP_2) | instskip(NEXT) | instid1(VALU_DEP_1)
	v_add_co_u32 v8, s7, v4, v83
	v_add_co_ci_u32_e64 v9, s7, 0, v5, s7
                                        ; implicit-def: $vgpr4_vgpr5
	s_and_saveexec_b32 s7, vcc_lo
	s_cbranch_execnz .LBB1445_257
; %bb.17:
	s_or_b32 exec_lo, exec_lo, s7
	s_and_saveexec_b32 s7, s0
                                        ; implicit-def: $vgpr32_vgpr33_vgpr34_vgpr35
	s_cbranch_execnz .LBB1445_258
.LBB1445_18:
	s_or_b32 exec_lo, exec_lo, s7
                                        ; implicit-def: $vgpr68_vgpr69
	s_and_saveexec_b32 s7, s1
	s_cbranch_execnz .LBB1445_259
.LBB1445_19:
	s_or_b32 exec_lo, exec_lo, s7
	s_and_saveexec_b32 s7, s2
                                        ; implicit-def: $vgpr50_vgpr51_vgpr52_vgpr53
	s_cbranch_execnz .LBB1445_260
.LBB1445_20:
	s_or_b32 exec_lo, exec_lo, s7
                                        ; implicit-def: $vgpr70_vgpr71
	s_and_saveexec_b32 s7, s3
	s_cbranch_execnz .LBB1445_261
.LBB1445_21:
	s_or_b32 exec_lo, exec_lo, s7
	s_and_saveexec_b32 s7, s4
                                        ; implicit-def: $vgpr64_vgpr65_vgpr66_vgpr67
	s_cbranch_execnz .LBB1445_262
.LBB1445_22:
	s_or_b32 exec_lo, exec_lo, s7
                                        ; implicit-def: $vgpr64_vgpr65
	s_and_saveexec_b32 s7, s5
	s_cbranch_execnz .LBB1445_263
.LBB1445_23:
	s_or_b32 exec_lo, exec_lo, s7
	s_and_saveexec_b32 s7, s6
                                        ; implicit-def: $vgpr48_vgpr49_vgpr50_vgpr51
	s_cbranch_execz .LBB1445_25
.LBB1445_24:
	flat_load_b64 v[50:51], v[8:9] offset:56
.LBB1445_25:
	s_or_b32 exec_lo, exec_lo, s7
	; wave barrier
	s_load_b64 s[10:11], s[8:9], 0x0
	v_mov_b32_e32 v8, 0
	v_bfe_u32 v10, v31, 10, 10
	v_bfe_u32 v11, v31, 20, 10
	s_waitcnt lgkmcnt(0)
	s_cmp_lt_u32 s13, s11
	s_cselect_b32 s7, 14, 20
	s_delay_alu instid0(SALU_CYCLE_1) | instskip(SKIP_4) | instid1(SALU_CYCLE_1)
	s_add_u32 s14, s8, s7
	s_addc_u32 s15, s9, 0
	s_cmp_lt_u32 s12, s10
	global_load_u16 v9, v8, s[14:15]
	s_cselect_b32 s7, 12, 18
	s_add_u32 s8, s8, s7
	s_addc_u32 s9, s9, 0
	global_load_u16 v8, v8, s[8:9]
	s_mov_b32 s9, exec_lo
	s_waitcnt vmcnt(1)
	v_mad_u32_u24 v9, v11, v9, v10
	s_waitcnt vmcnt(0)
	s_delay_alu instid0(VALU_DEP_1) | instskip(SKIP_1) | instid1(VALU_DEP_1)
	v_mul_lo_u32 v8, v9, v8
	v_and_b32_e32 v9, 0x3ff, v31
	v_add_lshl_u32 v86, v8, v9, 3
	v_dual_mov_b32 v8, v16 :: v_dual_mov_b32 v9, v17
	v_dual_mov_b32 v10, v18 :: v_dual_mov_b32 v11, v19
	;; [unrolled: 1-line block ×4, first 2 shown]
	v_cmpx_gt_u32_e32 0x800, v86
	s_cbranch_execz .LBB1445_79
; %bb.26:
	v_dual_add_f32 v8, 0, v16 :: v_dual_add_f32 v9, 0, v17
	v_dual_mov_b32 v31, v23 :: v_dual_mov_b32 v30, v22
	v_dual_mov_b32 v49, v35 :: v_dual_mov_b32 v48, v34
	s_delay_alu instid0(VALU_DEP_3) | instskip(NEXT) | instid1(VALU_DEP_4)
	v_ashrrev_i32_e32 v10, 31, v8
	v_ashrrev_i32_e32 v11, 31, v9
	v_dual_mov_b32 v29, v21 :: v_dual_mov_b32 v28, v20
	v_dual_mov_b32 v27, v19 :: v_dual_mov_b32 v26, v18
	s_delay_alu instid0(VALU_DEP_4) | instskip(NEXT) | instid1(VALU_DEP_4)
	v_or_b32_e32 v10, 0x80000000, v10
	v_or_b32_e32 v11, 0x80000000, v11
	v_dual_mov_b32 v25, v17 :: v_dual_mov_b32 v24, v16
	v_mov_b32_e32 v87, v16
	s_delay_alu instid0(VALU_DEP_4) | instskip(NEXT) | instid1(VALU_DEP_4)
	v_xor_b32_e32 v8, v10, v8
	v_xor_b32_e32 v9, v11, v9
	s_mov_b32 s8, exec_lo
	s_delay_alu instid0(VALU_DEP_1)
	v_cmpx_gt_u32_e64 v8, v9
; %bb.27:
	v_dual_mov_b32 v24, v17 :: v_dual_mov_b32 v25, v16
	v_dual_mov_b32 v26, v18 :: v_dual_mov_b32 v27, v19
	v_dual_mov_b32 v28, v20 :: v_dual_mov_b32 v29, v21
	v_dual_mov_b32 v30, v22 :: v_dual_mov_b32 v31, v23
	v_dual_mov_b32 v49, v5 :: v_dual_mov_b32 v48, v4
	v_dual_mov_b32 v4, v34 :: v_dual_mov_b32 v5, v35
	v_mov_b32_e32 v87, v17
	v_mov_b32_e32 v17, v16
; %bb.28:
	s_or_b32 exec_lo, exec_lo, s8
	v_dual_add_f32 v8, 0, v26 :: v_dual_add_f32 v9, 0, v27
	v_dual_mov_b32 v39, v31 :: v_dual_mov_b32 v38, v30
	v_dual_mov_b32 v81, v53 :: v_dual_mov_b32 v80, v52
	s_delay_alu instid0(VALU_DEP_3) | instskip(NEXT) | instid1(VALU_DEP_4)
	v_ashrrev_i32_e32 v10, 31, v8
	v_ashrrev_i32_e32 v11, 31, v9
	v_dual_mov_b32 v37, v29 :: v_dual_mov_b32 v36, v28
	v_dual_mov_b32 v35, v27 :: v_dual_mov_b32 v34, v26
	s_delay_alu instid0(VALU_DEP_4) | instskip(NEXT) | instid1(VALU_DEP_4)
	v_or_b32_e32 v10, 0x80000000, v10
	v_or_b32_e32 v11, 0x80000000, v11
	v_dual_mov_b32 v33, v25 :: v_dual_mov_b32 v32, v24
	v_mov_b32_e32 v16, v27
	s_delay_alu instid0(VALU_DEP_4) | instskip(NEXT) | instid1(VALU_DEP_4)
	v_xor_b32_e32 v8, v10, v8
	v_xor_b32_e32 v9, v11, v9
	s_mov_b32 s8, exec_lo
	s_delay_alu instid0(VALU_DEP_1)
	v_cmpx_gt_u32_e64 v8, v9
; %bb.29:
	v_dual_mov_b32 v32, v24 :: v_dual_mov_b32 v33, v25
	v_dual_mov_b32 v34, v27 :: v_dual_mov_b32 v35, v26
	v_dual_mov_b32 v36, v28 :: v_dual_mov_b32 v37, v29
	v_dual_mov_b32 v38, v30 :: v_dual_mov_b32 v39, v31
	v_dual_mov_b32 v81, v69 :: v_dual_mov_b32 v80, v68
	v_dual_mov_b32 v69, v53 :: v_dual_mov_b32 v68, v52
	v_mov_b32_e32 v16, v26
	v_mov_b32_e32 v26, v27
; %bb.30:
	s_or_b32 exec_lo, exec_lo, s8
	;; [unrolled: 30-line block ×3, first 2 shown]
	v_dual_add_f32 v8, 0, v24 :: v_dual_add_f32 v9, 0, v25
	v_dual_mov_b32 v29, v64 :: v_dual_mov_b32 v30, v65
	v_mov_b32_e32 v33, v25
	s_delay_alu instid0(VALU_DEP_3) | instskip(NEXT) | instid1(VALU_DEP_4)
	v_ashrrev_i32_e32 v10, 31, v8
	v_ashrrev_i32_e32 v11, 31, v9
	s_mov_b32 s8, exec_lo
	s_delay_alu instid0(VALU_DEP_2) | instskip(NEXT) | instid1(VALU_DEP_2)
	v_or_b32_e32 v10, 0x80000000, v10
	v_or_b32_e32 v11, 0x80000000, v11
	s_delay_alu instid0(VALU_DEP_2) | instskip(NEXT) | instid1(VALU_DEP_2)
	v_xor_b32_e32 v31, v10, v8
	v_xor_b32_e32 v32, v11, v9
	v_dual_mov_b32 v8, v18 :: v_dual_mov_b32 v9, v19
	v_dual_mov_b32 v10, v20 :: v_dual_mov_b32 v11, v21
	;; [unrolled: 1-line block ×4, first 2 shown]
	v_cmpx_gt_u32_e64 v31, v32
; %bb.33:
	v_dual_mov_b32 v8, v18 :: v_dual_mov_b32 v9, v19
	v_dual_mov_b32 v10, v20 :: v_dual_mov_b32 v11, v21
	;; [unrolled: 1-line block ×7, first 2 shown]
; %bb.34:
	s_or_b32 exec_lo, exec_lo, s8
	v_dual_add_f32 v18, 0, v17 :: v_dual_add_f32 v19, 0, v26
	v_mov_b32_e32 v35, v26
	s_delay_alu instid0(VALU_DEP_2) | instskip(NEXT) | instid1(VALU_DEP_3)
	v_ashrrev_i32_e32 v20, 31, v18
	v_ashrrev_i32_e32 v21, 31, v19
	s_delay_alu instid0(VALU_DEP_2) | instskip(NEXT) | instid1(VALU_DEP_2)
	v_or_b32_e32 v20, 0x80000000, v20
	v_or_b32_e32 v21, 0x80000000, v21
	s_delay_alu instid0(VALU_DEP_2) | instskip(NEXT) | instid1(VALU_DEP_2)
	v_xor_b32_e32 v20, v20, v18
	v_xor_b32_e32 v21, v21, v19
	v_dual_mov_b32 v18, v68 :: v_dual_mov_b32 v19, v69
	s_delay_alu instid0(VALU_DEP_2) | instskip(NEXT) | instid1(VALU_DEP_1)
	v_cmp_gt_u32_e64 s7, v20, v21
	s_and_saveexec_b32 s8, s7
	s_delay_alu instid0(SALU_CYCLE_1)
	s_xor_b32 s7, exec_lo, s8
; %bb.35:
	v_dual_mov_b32 v9, v26 :: v_dual_mov_b32 v10, v17
	v_dual_mov_b32 v18, v48 :: v_dual_mov_b32 v19, v49
	;; [unrolled: 1-line block ×3, first 2 shown]
	v_mov_b32_e32 v35, v17
	v_mov_b32_e32 v17, v26
; %bb.36:
	s_or_b32 exec_lo, exec_lo, s7
	v_dual_add_f32 v20, 0, v16 :: v_dual_mov_b32 v25, v80
	v_dual_add_f32 v21, 0, v36 :: v_dual_mov_b32 v26, v81
	v_mov_b32_e32 v37, v36
	s_delay_alu instid0(VALU_DEP_3) | instskip(SKIP_1) | instid1(VALU_DEP_3)
	v_ashrrev_i32_e32 v22, 31, v20
	s_mov_b32 s8, exec_lo
	v_ashrrev_i32_e32 v23, 31, v21
	s_delay_alu instid0(VALU_DEP_2) | instskip(NEXT) | instid1(VALU_DEP_2)
	v_or_b32_e32 v22, 0x80000000, v22
	v_or_b32_e32 v23, 0x80000000, v23
	s_delay_alu instid0(VALU_DEP_2) | instskip(NEXT) | instid1(VALU_DEP_2)
	v_xor_b32_e32 v20, v22, v20
	v_xor_b32_e32 v21, v23, v21
	s_delay_alu instid0(VALU_DEP_1)
	v_cmpx_gt_u32_e64 v20, v21
; %bb.37:
	v_dual_mov_b32 v12, v16 :: v_dual_mov_b32 v25, v27
	v_mov_b32_e32 v26, v28
	v_mov_b32_e32 v27, v80
	v_dual_mov_b32 v11, v36 :: v_dual_mov_b32 v28, v81
	v_mov_b32_e32 v37, v16
	v_mov_b32_e32 v16, v36
; %bb.38:
	s_or_b32 exec_lo, exec_lo, s8
	v_add_f32_e32 v20, 0, v52
	v_dual_add_f32 v21, 0, v24 :: v_dual_mov_b32 v36, v24
	s_mov_b32 s8, exec_lo
	s_delay_alu instid0(VALU_DEP_2) | instskip(NEXT) | instid1(VALU_DEP_2)
	v_ashrrev_i32_e32 v22, 31, v20
	v_ashrrev_i32_e32 v23, 31, v21
	s_delay_alu instid0(VALU_DEP_2) | instskip(NEXT) | instid1(VALU_DEP_2)
	v_or_b32_e32 v22, 0x80000000, v22
	v_or_b32_e32 v23, 0x80000000, v23
	s_delay_alu instid0(VALU_DEP_2) | instskip(NEXT) | instid1(VALU_DEP_2)
	v_xor_b32_e32 v22, v22, v20
	v_xor_b32_e32 v23, v23, v21
	v_dual_mov_b32 v20, v66 :: v_dual_mov_b32 v21, v67
	s_delay_alu instid0(VALU_DEP_2)
	v_cmpx_gt_u32_e64 v22, v23
; %bb.39:
	v_dual_mov_b32 v13, v24 :: v_dual_mov_b32 v20, v29
	v_dual_mov_b32 v14, v52 :: v_dual_mov_b32 v21, v30
	;; [unrolled: 1-line block ×3, first 2 shown]
	v_mov_b32_e32 v36, v52
	v_mov_b32_e32 v52, v24
; %bb.40:
	s_or_b32 exec_lo, exec_lo, s8
	v_dual_add_f32 v22, 0, v87 :: v_dual_add_f32 v23, 0, v17
	v_mov_b32_e32 v34, v87
	s_mov_b32 s8, exec_lo
	s_delay_alu instid0(VALU_DEP_2) | instskip(NEXT) | instid1(VALU_DEP_3)
	v_ashrrev_i32_e32 v24, 31, v22
	v_ashrrev_i32_e32 v31, 31, v23
	s_delay_alu instid0(VALU_DEP_2) | instskip(NEXT) | instid1(VALU_DEP_2)
	v_or_b32_e32 v24, 0x80000000, v24
	v_or_b32_e32 v31, 0x80000000, v31
	s_delay_alu instid0(VALU_DEP_2) | instskip(NEXT) | instid1(VALU_DEP_2)
	v_xor_b32_e32 v24, v24, v22
	v_xor_b32_e32 v31, v31, v23
	v_dual_mov_b32 v22, v48 :: v_dual_mov_b32 v23, v49
	s_delay_alu instid0(VALU_DEP_2)
	v_cmpx_gt_u32_e64 v24, v31
; %bb.41:
	v_dual_mov_b32 v8, v17 :: v_dual_mov_b32 v9, v87
	v_dual_mov_b32 v23, v5 :: v_dual_mov_b32 v22, v4
	;; [unrolled: 1-line block ×4, first 2 shown]
; %bb.42:
	s_or_b32 exec_lo, exec_lo, s8
	v_dual_add_f32 v24, 0, v35 :: v_dual_add_f32 v31, 0, v16
	s_delay_alu instid0(VALU_DEP_1) | instskip(NEXT) | instid1(VALU_DEP_2)
	v_ashrrev_i32_e32 v32, 31, v24
	v_ashrrev_i32_e32 v38, 31, v31
	s_delay_alu instid0(VALU_DEP_2) | instskip(NEXT) | instid1(VALU_DEP_2)
	v_or_b32_e32 v32, 0x80000000, v32
	v_or_b32_e32 v38, 0x80000000, v38
	s_delay_alu instid0(VALU_DEP_2) | instskip(NEXT) | instid1(VALU_DEP_2)
	v_xor_b32_e32 v24, v32, v24
	v_xor_b32_e32 v38, v38, v31
	v_dual_mov_b32 v32, v26 :: v_dual_mov_b32 v31, v25
	s_delay_alu instid0(VALU_DEP_2) | instskip(SKIP_1) | instid1(VALU_DEP_2)
	v_cmp_gt_u32_e64 s7, v24, v38
	v_mov_b32_e32 v38, v16
	s_and_saveexec_b32 s8, s7
; %bb.43:
	v_dual_mov_b32 v10, v16 :: v_dual_mov_b32 v11, v35
	v_dual_mov_b32 v32, v19 :: v_dual_mov_b32 v31, v18
	;; [unrolled: 1-line block ×4, first 2 shown]
; %bb.44:
	s_or_b32 exec_lo, exec_lo, s8
	v_add_f32_e32 v16, 0, v37
	v_dual_add_f32 v24, 0, v52 :: v_dual_mov_b32 v39, v52
	s_mov_b32 s8, exec_lo
	s_delay_alu instid0(VALU_DEP_2) | instskip(NEXT) | instid1(VALU_DEP_2)
	v_ashrrev_i32_e32 v25, 31, v16
	v_ashrrev_i32_e32 v26, 31, v24
	s_delay_alu instid0(VALU_DEP_2) | instskip(NEXT) | instid1(VALU_DEP_2)
	v_or_b32_e32 v25, 0x80000000, v25
	v_or_b32_e32 v26, 0x80000000, v26
	s_delay_alu instid0(VALU_DEP_2) | instskip(NEXT) | instid1(VALU_DEP_2)
	v_xor_b32_e32 v16, v25, v16
	v_xor_b32_e32 v26, v26, v24
	v_dual_mov_b32 v24, v27 :: v_dual_mov_b32 v25, v28
	s_delay_alu instid0(VALU_DEP_2)
	v_cmpx_gt_u32_e64 v16, v26
; %bb.45:
	v_dual_mov_b32 v12, v52 :: v_dual_mov_b32 v13, v37
	v_dual_mov_b32 v25, v21 :: v_dual_mov_b32 v24, v20
	;; [unrolled: 1-line block ×3, first 2 shown]
	v_mov_b32_e32 v39, v37
	v_mov_b32_e32 v37, v52
; %bb.46:
	s_or_b32 exec_lo, exec_lo, s8
	v_add_f32_e32 v16, 0, v36
	v_add_f32_e32 v26, 0, v33
	s_delay_alu instid0(VALU_DEP_2) | instskip(NEXT) | instid1(VALU_DEP_2)
	v_ashrrev_i32_e32 v27, 31, v16
	v_ashrrev_i32_e32 v28, 31, v26
	s_delay_alu instid0(VALU_DEP_2) | instskip(NEXT) | instid1(VALU_DEP_2)
	v_or_b32_e32 v27, 0x80000000, v27
	v_or_b32_e32 v28, 0x80000000, v28
	s_delay_alu instid0(VALU_DEP_2) | instskip(NEXT) | instid1(VALU_DEP_2)
	v_xor_b32_e32 v16, v27, v16
	v_xor_b32_e32 v28, v28, v26
	v_dual_mov_b32 v26, v29 :: v_dual_mov_b32 v27, v30
	s_delay_alu instid0(VALU_DEP_2) | instskip(SKIP_1) | instid1(VALU_DEP_2)
	v_cmp_gt_u32_e64 s7, v16, v28
	v_mov_b32_e32 v16, v33
	s_and_saveexec_b32 s8, s7
; %bb.47:
	v_dual_mov_b32 v14, v33 :: v_dual_mov_b32 v15, v36
	v_dual_mov_b32 v26, v50 :: v_dual_mov_b32 v27, v51
	v_dual_mov_b32 v51, v30 :: v_dual_mov_b32 v50, v29
	v_mov_b32_e32 v16, v36
	v_mov_b32_e32 v36, v33
; %bb.48:
	s_or_b32 exec_lo, exec_lo, s8
	v_dual_add_f32 v28, 0, v17 :: v_dual_add_f32 v29, 0, v35
	v_mov_b32_e32 v48, v35
	s_mov_b32 s8, exec_lo
	s_delay_alu instid0(VALU_DEP_2) | instskip(NEXT) | instid1(VALU_DEP_3)
	v_ashrrev_i32_e32 v30, 31, v28
	v_ashrrev_i32_e32 v33, 31, v29
	s_delay_alu instid0(VALU_DEP_2) | instskip(NEXT) | instid1(VALU_DEP_2)
	v_or_b32_e32 v30, 0x80000000, v30
	v_or_b32_e32 v33, 0x80000000, v33
	s_delay_alu instid0(VALU_DEP_2) | instskip(NEXT) | instid1(VALU_DEP_2)
	v_xor_b32_e32 v30, v30, v28
	v_xor_b32_e32 v33, v33, v29
	v_dual_mov_b32 v29, v19 :: v_dual_mov_b32 v28, v18
	s_delay_alu instid0(VALU_DEP_2)
	v_cmpx_gt_u32_e64 v30, v33
; %bb.49:
	v_dual_mov_b32 v9, v35 :: v_dual_mov_b32 v10, v17
	v_dual_mov_b32 v29, v23 :: v_dual_mov_b32 v28, v22
	;; [unrolled: 1-line block ×4, first 2 shown]
; %bb.50:
	s_or_b32 exec_lo, exec_lo, s8
	v_dual_add_f32 v18, 0, v38 :: v_dual_add_f32 v19, 0, v37
	v_mov_b32_e32 v49, v37
	s_mov_b32 s8, exec_lo
	s_delay_alu instid0(VALU_DEP_2) | instskip(NEXT) | instid1(VALU_DEP_3)
	v_ashrrev_i32_e32 v30, 31, v18
	v_ashrrev_i32_e32 v33, 31, v19
	s_delay_alu instid0(VALU_DEP_2) | instskip(NEXT) | instid1(VALU_DEP_2)
	v_or_b32_e32 v30, 0x80000000, v30
	v_or_b32_e32 v33, 0x80000000, v33
	s_delay_alu instid0(VALU_DEP_2) | instskip(NEXT) | instid1(VALU_DEP_2)
	v_xor_b32_e32 v30, v30, v18
	v_xor_b32_e32 v33, v33, v19
	v_dual_mov_b32 v18, v31 :: v_dual_mov_b32 v19, v32
	s_delay_alu instid0(VALU_DEP_2)
	v_cmpx_gt_u32_e64 v30, v33
; %bb.51:
	v_dual_mov_b32 v11, v37 :: v_dual_mov_b32 v12, v38
	v_dual_mov_b32 v18, v24 :: v_dual_mov_b32 v19, v25
	;; [unrolled: 1-line block ×4, first 2 shown]
; %bb.52:
	s_or_b32 exec_lo, exec_lo, s8
	v_dual_add_f32 v30, 0, v39 :: v_dual_add_f32 v31, 0, v36
	v_mov_b32_e32 v37, v36
	s_mov_b32 s8, exec_lo
	s_delay_alu instid0(VALU_DEP_2) | instskip(NEXT) | instid1(VALU_DEP_3)
	v_ashrrev_i32_e32 v32, 31, v30
	v_ashrrev_i32_e32 v33, 31, v31
	s_delay_alu instid0(VALU_DEP_2) | instskip(NEXT) | instid1(VALU_DEP_2)
	v_or_b32_e32 v32, 0x80000000, v32
	v_or_b32_e32 v33, 0x80000000, v33
	s_delay_alu instid0(VALU_DEP_2) | instskip(NEXT) | instid1(VALU_DEP_2)
	v_xor_b32_e32 v32, v32, v30
	v_xor_b32_e32 v33, v33, v31
	v_dual_mov_b32 v31, v21 :: v_dual_mov_b32 v30, v20
	s_delay_alu instid0(VALU_DEP_2)
	v_cmpx_gt_u32_e64 v32, v33
; %bb.53:
	v_dual_mov_b32 v13, v36 :: v_dual_mov_b32 v14, v39
	v_dual_mov_b32 v31, v27 :: v_dual_mov_b32 v30, v26
	v_dual_mov_b32 v27, v21 :: v_dual_mov_b32 v26, v20
	v_mov_b32_e32 v37, v39
	v_mov_b32_e32 v39, v36
; %bb.54:
	s_or_b32 exec_lo, exec_lo, s8
	v_dual_add_f32 v20, 0, v34 :: v_dual_add_f32 v21, 0, v17
	v_mov_b32_e32 v35, v34
	s_mov_b32 s8, exec_lo
	s_delay_alu instid0(VALU_DEP_2) | instskip(NEXT) | instid1(VALU_DEP_3)
	v_ashrrev_i32_e32 v32, 31, v20
	v_ashrrev_i32_e32 v33, 31, v21
	s_delay_alu instid0(VALU_DEP_2) | instskip(NEXT) | instid1(VALU_DEP_2)
	v_or_b32_e32 v32, 0x80000000, v32
	v_or_b32_e32 v33, 0x80000000, v33
	s_delay_alu instid0(VALU_DEP_2) | instskip(NEXT) | instid1(VALU_DEP_2)
	v_xor_b32_e32 v32, v32, v20
	v_xor_b32_e32 v33, v33, v21
	v_dual_mov_b32 v20, v22 :: v_dual_mov_b32 v21, v23
	s_delay_alu instid0(VALU_DEP_2)
	v_cmpx_gt_u32_e64 v32, v33
; %bb.55:
	v_dual_mov_b32 v8, v17 :: v_dual_mov_b32 v9, v34
	v_dual_mov_b32 v21, v5 :: v_dual_mov_b32 v20, v4
	v_dual_mov_b32 v4, v22 :: v_dual_mov_b32 v5, v23
	v_mov_b32_e32 v35, v17
	v_mov_b32_e32 v17, v34
	;; [unrolled: 23-line block ×3, first 2 shown]
; %bb.58:
	s_or_b32 exec_lo, exec_lo, s8
	v_dual_add_f32 v18, 0, v49 :: v_dual_add_f32 v19, 0, v39
	v_mov_b32_e32 v38, v39
	s_mov_b32 s8, exec_lo
	s_delay_alu instid0(VALU_DEP_2) | instskip(NEXT) | instid1(VALU_DEP_3)
	v_ashrrev_i32_e32 v22, 31, v18
	v_ashrrev_i32_e32 v23, 31, v19
	s_delay_alu instid0(VALU_DEP_2) | instskip(NEXT) | instid1(VALU_DEP_2)
	v_or_b32_e32 v22, 0x80000000, v22
	v_or_b32_e32 v23, 0x80000000, v23
	s_delay_alu instid0(VALU_DEP_2) | instskip(NEXT) | instid1(VALU_DEP_2)
	v_xor_b32_e32 v18, v22, v18
	v_xor_b32_e32 v19, v23, v19
	v_dual_mov_b32 v22, v24 :: v_dual_mov_b32 v23, v25
	s_delay_alu instid0(VALU_DEP_2)
	v_cmpx_gt_u32_e64 v18, v19
; %bb.59:
	v_dual_mov_b32 v12, v39 :: v_dual_mov_b32 v13, v49
	v_dual_mov_b32 v22, v30 :: v_dual_mov_b32 v23, v31
	;; [unrolled: 1-line block ×4, first 2 shown]
; %bb.60:
	s_or_b32 exec_lo, exec_lo, s8
	v_dual_add_f32 v18, 0, v37 :: v_dual_add_f32 v19, 0, v16
	v_mov_b32_e32 v34, v16
	s_mov_b32 s8, exec_lo
	s_delay_alu instid0(VALU_DEP_2) | instskip(NEXT) | instid1(VALU_DEP_3)
	v_ashrrev_i32_e32 v24, 31, v18
	v_ashrrev_i32_e32 v25, 31, v19
	s_delay_alu instid0(VALU_DEP_2) | instskip(NEXT) | instid1(VALU_DEP_2)
	v_or_b32_e32 v24, 0x80000000, v24
	v_or_b32_e32 v25, 0x80000000, v25
	s_delay_alu instid0(VALU_DEP_2) | instskip(NEXT) | instid1(VALU_DEP_2)
	v_xor_b32_e32 v18, v24, v18
	v_xor_b32_e32 v19, v25, v19
	v_dual_mov_b32 v24, v26 :: v_dual_mov_b32 v25, v27
	s_delay_alu instid0(VALU_DEP_2)
	v_cmpx_gt_u32_e64 v18, v19
; %bb.61:
	v_dual_mov_b32 v14, v16 :: v_dual_mov_b32 v15, v37
	v_dual_mov_b32 v24, v50 :: v_dual_mov_b32 v25, v51
	;; [unrolled: 1-line block ×4, first 2 shown]
; %bb.62:
	s_or_b32 exec_lo, exec_lo, s8
	v_add_f32_e32 v16, 0, v17
	v_add_f32_e32 v18, 0, v48
	v_mov_b32_e32 v36, v48
	s_mov_b32 s8, exec_lo
	s_delay_alu instid0(VALU_DEP_3) | instskip(NEXT) | instid1(VALU_DEP_3)
	v_ashrrev_i32_e32 v19, 31, v16
	v_ashrrev_i32_e32 v26, 31, v18
	s_delay_alu instid0(VALU_DEP_2) | instskip(NEXT) | instid1(VALU_DEP_2)
	v_or_b32_e32 v19, 0x80000000, v19
	v_or_b32_e32 v26, 0x80000000, v26
	s_delay_alu instid0(VALU_DEP_2) | instskip(NEXT) | instid1(VALU_DEP_2)
	v_xor_b32_e32 v16, v19, v16
	v_xor_b32_e32 v26, v26, v18
	v_dual_mov_b32 v18, v28 :: v_dual_mov_b32 v19, v29
	s_delay_alu instid0(VALU_DEP_2)
	v_cmpx_gt_u32_e64 v16, v26
; %bb.63:
	v_dual_mov_b32 v9, v48 :: v_dual_mov_b32 v10, v17
	v_dual_mov_b32 v18, v20 :: v_dual_mov_b32 v19, v21
	;; [unrolled: 1-line block ×4, first 2 shown]
; %bb.64:
	s_or_b32 exec_lo, exec_lo, s8
	v_dual_add_f32 v26, 0, v49 :: v_dual_mov_b32 v39, v49
	v_add_f32_e32 v16, 0, v52
	s_mov_b32 s8, exec_lo
	s_delay_alu instid0(VALU_DEP_2) | instskip(NEXT) | instid1(VALU_DEP_1)
	v_ashrrev_i32_e32 v28, 31, v26
	v_or_b32_e32 v28, 0x80000000, v28
	s_delay_alu instid0(VALU_DEP_1) | instskip(SKIP_2) | instid1(VALU_DEP_1)
	v_xor_b32_e32 v26, v28, v26
	v_dual_mov_b32 v28, v32 :: v_dual_mov_b32 v29, v33
	v_ashrrev_i32_e32 v27, 31, v16
	v_or_b32_e32 v27, 0x80000000, v27
	s_delay_alu instid0(VALU_DEP_1) | instskip(NEXT) | instid1(VALU_DEP_1)
	v_xor_b32_e32 v16, v27, v16
	v_cmpx_gt_u32_e64 v16, v26
; %bb.65:
	v_dual_mov_b32 v11, v49 :: v_dual_mov_b32 v12, v52
	v_dual_mov_b32 v29, v23 :: v_dual_mov_b32 v28, v22
	;; [unrolled: 1-line block ×4, first 2 shown]
; %bb.66:
	s_or_b32 exec_lo, exec_lo, s8
	v_dual_add_f32 v16, 0, v38 :: v_dual_mov_b32 v67, v31
	v_add_f32_e32 v26, 0, v37
	v_mov_b32_e32 v66, v30
	s_mov_b32 s8, exec_lo
	s_delay_alu instid0(VALU_DEP_3) | instskip(NEXT) | instid1(VALU_DEP_3)
	v_ashrrev_i32_e32 v27, 31, v16
	v_ashrrev_i32_e32 v32, 31, v26
	s_delay_alu instid0(VALU_DEP_2) | instskip(NEXT) | instid1(VALU_DEP_2)
	v_or_b32_e32 v27, 0x80000000, v27
	v_or_b32_e32 v32, 0x80000000, v32
	s_delay_alu instid0(VALU_DEP_2) | instskip(NEXT) | instid1(VALU_DEP_2)
	v_xor_b32_e32 v16, v27, v16
	v_xor_b32_e32 v26, v32, v26
	v_mov_b32_e32 v32, v37
	s_delay_alu instid0(VALU_DEP_2)
	v_cmpx_gt_u32_e64 v16, v26
; %bb.67:
	v_dual_mov_b32 v13, v37 :: v_dual_mov_b32 v14, v38
	v_dual_mov_b32 v67, v25 :: v_dual_mov_b32 v66, v24
	;; [unrolled: 1-line block ×3, first 2 shown]
	v_mov_b32_e32 v32, v38
	v_mov_b32_e32 v38, v37
; %bb.68:
	s_or_b32 exec_lo, exec_lo, s8
	v_add_f32_e32 v16, 0, v35
	v_add_f32_e32 v26, 0, v17
	s_delay_alu instid0(VALU_DEP_2) | instskip(NEXT) | instid1(VALU_DEP_2)
	v_ashrrev_i32_e32 v27, 31, v16
	v_ashrrev_i32_e32 v30, 31, v26
	s_delay_alu instid0(VALU_DEP_2) | instskip(NEXT) | instid1(VALU_DEP_2)
	v_or_b32_e32 v27, 0x80000000, v27
	v_or_b32_e32 v30, 0x80000000, v30
	s_delay_alu instid0(VALU_DEP_2) | instskip(NEXT) | instid1(VALU_DEP_2)
	v_xor_b32_e32 v16, v27, v16
	v_xor_b32_e32 v30, v30, v26
	v_dual_mov_b32 v27, v21 :: v_dual_mov_b32 v26, v20
	s_delay_alu instid0(VALU_DEP_2) | instskip(SKIP_1) | instid1(VALU_DEP_2)
	v_cmp_gt_u32_e64 s7, v16, v30
	v_mov_b32_e32 v16, v35
	s_and_saveexec_b32 s8, s7
; %bb.69:
	v_dual_mov_b32 v8, v17 :: v_dual_mov_b32 v9, v35
	v_dual_mov_b32 v27, v5 :: v_dual_mov_b32 v26, v4
	;; [unrolled: 1-line block ×4, first 2 shown]
; %bb.70:
	s_or_b32 exec_lo, exec_lo, s8
	v_add_f32_e32 v20, 0, v36
	v_add_f32_e32 v21, 0, v52
	s_delay_alu instid0(VALU_DEP_2) | instskip(NEXT) | instid1(VALU_DEP_2)
	v_ashrrev_i32_e32 v30, 31, v20
	v_ashrrev_i32_e32 v31, 31, v21
	s_delay_alu instid0(VALU_DEP_2) | instskip(NEXT) | instid1(VALU_DEP_2)
	v_or_b32_e32 v30, 0x80000000, v30
	v_or_b32_e32 v31, 0x80000000, v31
	s_delay_alu instid0(VALU_DEP_2) | instskip(NEXT) | instid1(VALU_DEP_2)
	v_xor_b32_e32 v30, v30, v20
	v_xor_b32_e32 v31, v31, v21
	v_dual_mov_b32 v20, v28 :: v_dual_mov_b32 v21, v29
	s_delay_alu instid0(VALU_DEP_2) | instskip(SKIP_1) | instid1(VALU_DEP_2)
	v_cmp_gt_u32_e64 s7, v30, v31
	v_mov_b32_e32 v30, v52
	s_and_saveexec_b32 s8, s7
; %bb.71:
	v_dual_mov_b32 v10, v52 :: v_dual_mov_b32 v21, v19
	v_dual_mov_b32 v11, v36 :: v_dual_mov_b32 v20, v18
	;; [unrolled: 1-line block ×3, first 2 shown]
	v_mov_b32_e32 v30, v36
	v_mov_b32_e32 v36, v52
; %bb.72:
	s_or_b32 exec_lo, exec_lo, s8
	v_dual_add_f32 v28, 0, v39 :: v_dual_add_f32 v29, 0, v38
	s_delay_alu instid0(VALU_DEP_1) | instskip(NEXT) | instid1(VALU_DEP_2)
	v_ashrrev_i32_e32 v31, 31, v28
	v_ashrrev_i32_e32 v33, 31, v29
	s_delay_alu instid0(VALU_DEP_2) | instskip(NEXT) | instid1(VALU_DEP_2)
	v_or_b32_e32 v31, 0x80000000, v31
	v_or_b32_e32 v33, 0x80000000, v33
	s_delay_alu instid0(VALU_DEP_2) | instskip(NEXT) | instid1(VALU_DEP_2)
	v_xor_b32_e32 v31, v31, v28
	v_xor_b32_e32 v33, v33, v29
	v_dual_mov_b32 v29, v23 :: v_dual_mov_b32 v28, v22
	s_delay_alu instid0(VALU_DEP_2) | instskip(SKIP_1) | instid1(VALU_DEP_2)
	v_cmp_gt_u32_e64 s7, v31, v33
	v_mov_b32_e32 v31, v38
	s_and_saveexec_b32 s8, s7
; %bb.73:
	v_dual_mov_b32 v12, v38 :: v_dual_mov_b32 v13, v39
	v_dual_mov_b32 v28, v66 :: v_dual_mov_b32 v29, v67
	;; [unrolled: 1-line block ×3, first 2 shown]
	v_mov_b32_e32 v31, v39
	v_mov_b32_e32 v39, v38
; %bb.74:
	s_or_b32 exec_lo, exec_lo, s8
	v_dual_add_f32 v22, 0, v32 :: v_dual_add_f32 v23, 0, v34
	s_mov_b32 s8, exec_lo
	s_delay_alu instid0(VALU_DEP_1) | instskip(NEXT) | instid1(VALU_DEP_2)
	v_ashrrev_i32_e32 v33, 31, v22
	v_ashrrev_i32_e32 v35, 31, v23
	s_delay_alu instid0(VALU_DEP_2) | instskip(NEXT) | instid1(VALU_DEP_2)
	v_or_b32_e32 v33, 0x80000000, v33
	v_or_b32_e32 v35, 0x80000000, v35
	s_delay_alu instid0(VALU_DEP_2) | instskip(NEXT) | instid1(VALU_DEP_2)
	v_xor_b32_e32 v33, v33, v22
	v_xor_b32_e32 v35, v35, v23
	v_dual_mov_b32 v22, v24 :: v_dual_mov_b32 v23, v25
	s_delay_alu instid0(VALU_DEP_2)
	v_cmpx_gt_u32_e64 v33, v35
; %bb.75:
	v_dual_mov_b32 v33, v35 :: v_dual_mov_b32 v22, v50
	v_mov_b32_e32 v23, v51
	v_dual_mov_b32 v51, v25 :: v_dual_mov_b32 v14, v34
	v_mov_b32_e32 v15, v32
	v_mov_b32_e32 v50, v24
	;; [unrolled: 1-line block ×3, first 2 shown]
; %bb.76:
	s_or_b32 exec_lo, exec_lo, s8
	v_dual_add_f32 v24, 0, v17 :: v_dual_add_f32 v25, 0, v36
	v_dual_add_f32 v37, 0, v30 :: v_dual_add_f32 v38, 0, v39
	v_add_f32_e32 v64, 0, v31
	s_delay_alu instid0(VALU_DEP_3) | instskip(NEXT) | instid1(VALU_DEP_4)
	v_ashrrev_i32_e32 v34, 31, v24
	v_ashrrev_i32_e32 v35, 31, v25
	s_delay_alu instid0(VALU_DEP_4) | instskip(SKIP_1) | instid1(VALU_DEP_4)
	v_ashrrev_i32_e32 v48, 31, v37
	v_ashrrev_i32_e32 v49, 31, v38
	v_or_b32_e32 v34, 0x80000000, v34
	s_delay_alu instid0(VALU_DEP_4) | instskip(NEXT) | instid1(VALU_DEP_2)
	v_or_b32_e32 v35, 0x80000000, v35
	v_xor_b32_e32 v24, v34, v24
	s_delay_alu instid0(VALU_DEP_2) | instskip(SKIP_3) | instid1(VALU_DEP_4)
	v_xor_b32_e32 v25, v35, v25
	v_or_b32_e32 v34, 0x80000000, v48
	v_or_b32_e32 v35, 0x80000000, v49
	v_ashrrev_i32_e32 v48, 31, v64
	v_cmp_gt_u32_e64 s7, v24, v25
	s_delay_alu instid0(VALU_DEP_4) | instskip(NEXT) | instid1(VALU_DEP_4)
	v_xor_b32_e32 v24, v34, v37
	v_xor_b32_e32 v25, v35, v38
	s_delay_alu instid0(VALU_DEP_4) | instskip(NEXT) | instid1(VALU_DEP_4)
	v_or_b32_e32 v37, 0x80000000, v48
	v_cndmask_b32_e64 v69, v19, v27, s7
	v_cndmask_b32_e64 v68, v18, v26, s7
	s_delay_alu instid0(VALU_DEP_4)
	v_cmp_gt_u32_e64 s8, v24, v25
	v_cndmask_b32_e64 v35, v27, v19, s7
	v_cndmask_b32_e64 v34, v26, v18, s7
	;; [unrolled: 1-line block ×6, first 2 shown]
	v_xor_b32_e32 v17, v37, v64
	v_cndmask_b32_e64 v71, v29, v21, s8
	v_cndmask_b32_e64 v70, v28, v20, s8
	;; [unrolled: 1-line block ×4, first 2 shown]
	v_dual_mov_b32 v65, v23 :: v_dual_mov_b32 v64, v22
	s_mov_b32 s8, exec_lo
	v_cmpx_gt_u32_e64 v17, v33
; %bb.77:
	v_dual_mov_b32 v13, v32 :: v_dual_mov_b32 v14, v31
	v_dual_mov_b32 v64, v66 :: v_dual_mov_b32 v65, v67
	;; [unrolled: 1-line block ×3, first 2 shown]
; %bb.78:
	s_or_b32 exec_lo, exec_lo, s8
.LBB1445_79:
	s_delay_alu instid0(SALU_CYCLE_1) | instskip(SKIP_4) | instid1(VALU_DEP_4)
	s_or_b32 exec_lo, exec_lo, s9
	v_dual_mov_b32 v30, v11 :: v_dual_and_b32 v17, 0xffffff00, v86
	v_or_b32_e32 v18, 8, v85
	v_and_b32_e32 v25, 8, v85
	v_and_b32_e32 v26, 0xf0, v85
	v_sub_nc_u32_e64 v21, 0x800, v17 clamp
	v_lshlrev_b32_e32 v19, 2, v17
	v_mov_b32_e32 v17, v9
	s_mov_b32 s8, exec_lo
	s_delay_alu instid0(VALU_DEP_3) | instskip(NEXT) | instid1(VALU_DEP_3)
	v_min_u32_e32 v23, v21, v18
	v_dual_mov_b32 v29, v10 :: v_dual_add_nc_u32 v18, v19, v19
	v_lshl_or_b32 v22, v85, 2, v19
	v_min_u32_e32 v27, v21, v25
	s_delay_alu instid0(VALU_DEP_4) | instskip(NEXT) | instid1(VALU_DEP_4)
	v_add_nc_u32_e32 v20, 8, v23
	v_lshl_add_u32 v31, v85, 3, v18
	v_sub_nc_u32_e32 v32, v23, v26
	s_delay_alu instid0(VALU_DEP_3) | instskip(NEXT) | instid1(VALU_DEP_3)
	v_min_u32_e32 v24, v21, v20
	v_add_nc_u32_e32 v20, 0x2000, v31
	v_add_nc_u32_e32 v25, 0x2010, v31
	v_add_nc_u32_e32 v33, 0x2020, v31
	v_add_nc_u32_e32 v31, 0x2030, v31
	v_sub_nc_u32_e32 v28, v24, v23
	ds_store_2addr_b64 v20, v[4:5], v[34:35] offset1:1
	ds_store_2addr_b64 v25, v[68:69], v[52:53] offset1:1
	;; [unrolled: 1-line block ×3, first 2 shown]
	ds_store_2addr_b64 v22, v[12:13], v[14:15] offset0:2 offset1:3
	v_lshl_or_b32 v16, v26, 2, v19
	ds_store_2addr_b64 v33, v[70:71], v[66:67] offset1:1
	ds_store_2addr_b64 v31, v[64:65], v[50:51] offset1:1
	v_sub_nc_u32_e64 v25, v27, v28 clamp
	v_min_u32_e32 v28, v27, v32
	; wave barrier
	s_delay_alu instid0(VALU_DEP_1)
	v_cmpx_lt_u32_e64 v25, v28
	s_cbranch_execz .LBB1445_83
; %bb.80:
	v_lshlrev_b32_e32 v17, 2, v23
	v_lshlrev_b32_e32 v29, 2, v27
	s_mov_b32 s9, 0
	s_delay_alu instid0(VALU_DEP_1)
	v_add3_u32 v17, v19, v17, v29
	s_set_inst_prefetch_distance 0x1
	.p2align	6
.LBB1445_81:                            ; =>This Inner Loop Header: Depth=1
	v_add_nc_u32_e32 v29, v28, v25
	s_delay_alu instid0(VALU_DEP_1) | instskip(NEXT) | instid1(VALU_DEP_1)
	v_lshrrev_b32_e32 v29, 1, v29
	v_not_b32_e32 v30, v29
	v_lshl_add_u32 v31, v29, 2, v16
	s_delay_alu instid0(VALU_DEP_2) | instskip(SKIP_4) | instid1(VALU_DEP_1)
	v_lshl_add_u32 v30, v30, 2, v17
	ds_load_b32 v31, v31
	ds_load_b32 v30, v30
	s_waitcnt lgkmcnt(0)
	v_dual_add_f32 v31, 0, v31 :: v_dual_add_f32 v30, 0, v30
	v_ashrrev_i32_e32 v32, 31, v31
	s_delay_alu instid0(VALU_DEP_2) | instskip(NEXT) | instid1(VALU_DEP_2)
	v_ashrrev_i32_e32 v33, 31, v30
	v_or_b32_e32 v32, 0x80000000, v32
	s_delay_alu instid0(VALU_DEP_2) | instskip(NEXT) | instid1(VALU_DEP_2)
	v_or_b32_e32 v33, 0x80000000, v33
	v_xor_b32_e32 v31, v32, v31
	v_add_nc_u32_e32 v32, 1, v29
	s_delay_alu instid0(VALU_DEP_3) | instskip(NEXT) | instid1(VALU_DEP_1)
	v_xor_b32_e32 v30, v33, v30
	v_cmp_gt_u32_e64 s7, v31, v30
	s_delay_alu instid0(VALU_DEP_1) | instskip(NEXT) | instid1(VALU_DEP_4)
	v_cndmask_b32_e64 v28, v28, v29, s7
	v_cndmask_b32_e64 v25, v32, v25, s7
	s_delay_alu instid0(VALU_DEP_1) | instskip(NEXT) | instid1(VALU_DEP_1)
	v_cmp_ge_u32_e64 s7, v25, v28
	s_or_b32 s9, s7, s9
	s_delay_alu instid0(SALU_CYCLE_1)
	s_and_not1_b32 exec_lo, exec_lo, s9
	s_cbranch_execnz .LBB1445_81
; %bb.82:
	s_set_inst_prefetch_distance 0x2
	s_or_b32 exec_lo, exec_lo, s9
.LBB1445_83:
	s_delay_alu instid0(SALU_CYCLE_1) | instskip(SKIP_2) | instid1(VALU_DEP_2)
	s_or_b32 exec_lo, exec_lo, s8
	v_add_nc_u32_e32 v27, v23, v27
	v_add_nc_u32_e32 v17, v25, v26
	v_sub_nc_u32_e32 v26, v27, v25
	s_delay_alu instid0(VALU_DEP_2) | instskip(NEXT) | instid1(VALU_DEP_2)
	v_cmp_le_u32_e64 s7, v17, v23
	v_cmp_le_u32_e64 s8, v26, v24
	s_delay_alu instid0(VALU_DEP_1) | instskip(NEXT) | instid1(SALU_CYCLE_1)
	s_or_b32 s7, s7, s8
	s_and_saveexec_b32 s9, s7
	s_cbranch_execz .LBB1445_119
; %bb.84:
	v_cmp_ge_u32_e64 s7, v17, v23
	s_mov_b32 s10, exec_lo
                                        ; implicit-def: $vgpr8
	v_cmpx_lt_u32_e64 v17, v23
	s_cbranch_execz .LBB1445_86
; %bb.85:
	v_lshl_add_u32 v4, v25, 2, v16
	ds_load_b32 v8, v4
.LBB1445_86:
	s_or_b32 exec_lo, exec_lo, s10
	v_cmp_ge_u32_e64 s10, v26, v24
	s_mov_b32 s11, exec_lo
                                        ; implicit-def: $vgpr9
	v_cmpx_lt_u32_e64 v26, v24
	s_cbranch_execz .LBB1445_88
; %bb.87:
	v_lshl_add_u32 v4, v26, 2, v19
	ds_load_b32 v9, v4
.LBB1445_88:
	s_or_b32 exec_lo, exec_lo, s11
	s_or_b32 s7, s7, s10
	s_mov_b32 s8, -1
	s_xor_b32 s7, s7, -1
	s_delay_alu instid0(SALU_CYCLE_1)
	s_and_saveexec_b32 s11, s7
	s_cbranch_execz .LBB1445_90
; %bb.89:
	s_waitcnt lgkmcnt(0)
	v_dual_add_f32 v4, 0, v8 :: v_dual_add_f32 v5, 0, v9
	s_and_not1_b32 s10, s10, exec_lo
	s_delay_alu instid0(VALU_DEP_1) | instskip(NEXT) | instid1(VALU_DEP_2)
	v_ashrrev_i32_e32 v10, 31, v4
	v_ashrrev_i32_e32 v11, 31, v5
	s_delay_alu instid0(VALU_DEP_2) | instskip(NEXT) | instid1(VALU_DEP_2)
	v_or_b32_e32 v10, 0x80000000, v10
	v_or_b32_e32 v11, 0x80000000, v11
	s_delay_alu instid0(VALU_DEP_2) | instskip(NEXT) | instid1(VALU_DEP_2)
	v_xor_b32_e32 v4, v10, v4
	v_xor_b32_e32 v5, v11, v5
	s_delay_alu instid0(VALU_DEP_1) | instskip(NEXT) | instid1(VALU_DEP_1)
	v_cmp_le_u32_e64 s7, v4, v5
	s_and_b32 s7, s7, exec_lo
	s_delay_alu instid0(SALU_CYCLE_1)
	s_or_b32 s10, s10, s7
.LBB1445_90:
	s_or_b32 exec_lo, exec_lo, s11
	v_cndmask_b32_e64 v4, v26, v17, s10
	v_cndmask_b32_e64 v5, v24, v23, s10
	s_mov_b32 s11, exec_lo
	s_delay_alu instid0(VALU_DEP_2) | instskip(NEXT) | instid1(VALU_DEP_2)
	v_add_nc_u32_e32 v10, 1, v4
	v_add_nc_u32_e32 v5, -1, v5
	v_lshl_add_u32 v4, v4, 3, v18
	s_delay_alu instid0(VALU_DEP_3) | instskip(NEXT) | instid1(VALU_DEP_3)
	v_cndmask_b32_e64 v12, v10, v26, s10
	v_min_u32_e32 v5, v10, v5
	v_cndmask_b32_e64 v13, v17, v10, s10
	s_delay_alu instid0(VALU_DEP_2)
	v_lshl_add_u32 v5, v5, 2, v19
	ds_load_b32 v11, v5
	ds_load_b64 v[4:5], v4 offset:8192
	s_waitcnt lgkmcnt(1)
	v_cndmask_b32_e64 v10, v11, v9, s10
	v_cndmask_b32_e64 v11, v8, v11, s10
	v_cmpx_lt_u32_e64 v12, v24
	s_cbranch_execz .LBB1445_94
; %bb.91:
	s_mov_b32 s12, 0
	s_mov_b32 s8, exec_lo
	v_cmpx_lt_u32_e64 v13, v23
; %bb.92:
	v_dual_add_f32 v14, 0, v11 :: v_dual_add_f32 v15, 0, v10
	s_delay_alu instid0(VALU_DEP_1) | instskip(NEXT) | instid1(VALU_DEP_2)
	v_ashrrev_i32_e32 v16, 31, v14
	v_ashrrev_i32_e32 v17, 31, v15
	s_delay_alu instid0(VALU_DEP_2) | instskip(NEXT) | instid1(VALU_DEP_2)
	v_or_b32_e32 v16, 0x80000000, v16
	v_or_b32_e32 v17, 0x80000000, v17
	s_delay_alu instid0(VALU_DEP_2) | instskip(NEXT) | instid1(VALU_DEP_2)
	v_xor_b32_e32 v14, v16, v14
	v_xor_b32_e32 v15, v17, v15
	s_delay_alu instid0(VALU_DEP_1) | instskip(NEXT) | instid1(VALU_DEP_1)
	v_cmp_le_u32_e64 s7, v14, v15
	s_and_b32 s12, s7, exec_lo
; %bb.93:
	s_or_b32 exec_lo, exec_lo, s8
	s_delay_alu instid0(SALU_CYCLE_1)
	s_or_not1_b32 s8, s12, exec_lo
.LBB1445_94:
	s_or_b32 exec_lo, exec_lo, s11
	v_cndmask_b32_e64 v14, v12, v13, s8
	v_cndmask_b32_e64 v15, v24, v23, s8
	s_mov_b32 s11, -1
	s_mov_b32 s12, -1
	s_mov_b32 s13, exec_lo
	v_add_nc_u32_e32 v16, 1, v14
	v_add_nc_u32_e32 v15, -1, v15
	v_lshl_add_u32 v14, v14, 3, v18
	s_delay_alu instid0(VALU_DEP_2)
	v_min_u32_e32 v15, v16, v15
	ds_load_b64 v[34:35], v14 offset:8192
	v_cndmask_b32_e64 v14, v16, v12, s8
	v_lshl_add_u32 v15, v15, 2, v19
	ds_load_b32 v17, v15
	v_cndmask_b32_e64 v15, v13, v16, s8
	s_waitcnt lgkmcnt(0)
	v_cndmask_b32_e64 v12, v17, v10, s8
	v_cndmask_b32_e64 v13, v11, v17, s8
	v_cmpx_lt_u32_e64 v14, v24
	s_cbranch_execz .LBB1445_98
; %bb.95:
	s_mov_b32 s14, 0
	s_mov_b32 s12, exec_lo
	v_cmpx_lt_u32_e64 v15, v23
; %bb.96:
	v_dual_add_f32 v16, 0, v13 :: v_dual_add_f32 v17, 0, v12
	s_delay_alu instid0(VALU_DEP_1) | instskip(NEXT) | instid1(VALU_DEP_2)
	v_ashrrev_i32_e32 v25, 31, v16
	v_ashrrev_i32_e32 v26, 31, v17
	s_delay_alu instid0(VALU_DEP_2) | instskip(NEXT) | instid1(VALU_DEP_2)
	v_or_b32_e32 v25, 0x80000000, v25
	v_or_b32_e32 v26, 0x80000000, v26
	s_delay_alu instid0(VALU_DEP_2) | instskip(NEXT) | instid1(VALU_DEP_2)
	v_xor_b32_e32 v16, v25, v16
	v_xor_b32_e32 v17, v26, v17
	s_delay_alu instid0(VALU_DEP_1) | instskip(NEXT) | instid1(VALU_DEP_1)
	v_cmp_le_u32_e64 s7, v16, v17
	s_and_b32 s14, s7, exec_lo
; %bb.97:
	s_or_b32 exec_lo, exec_lo, s12
	s_delay_alu instid0(SALU_CYCLE_1)
	s_or_not1_b32 s12, s14, exec_lo
.LBB1445_98:
	s_or_b32 exec_lo, exec_lo, s13
	v_cndmask_b32_e64 v16, v14, v15, s12
	v_cndmask_b32_e64 v17, v24, v23, s12
	s_mov_b32 s13, exec_lo
	s_delay_alu instid0(VALU_DEP_2) | instskip(NEXT) | instid1(VALU_DEP_2)
	v_add_nc_u32_e32 v25, 1, v16
	v_add_nc_u32_e32 v17, -1, v17
	v_lshl_add_u32 v16, v16, 3, v18
	s_delay_alu instid0(VALU_DEP_2)
	v_min_u32_e32 v17, v25, v17
	ds_load_b64 v[68:69], v16 offset:8192
	v_cndmask_b32_e64 v16, v25, v14, s12
	v_lshl_add_u32 v17, v17, 2, v19
	ds_load_b32 v26, v17
	v_cndmask_b32_e64 v17, v15, v25, s12
	s_waitcnt lgkmcnt(0)
	v_cndmask_b32_e64 v14, v26, v12, s12
	v_cndmask_b32_e64 v15, v13, v26, s12
	v_cmpx_lt_u32_e64 v16, v24
	s_cbranch_execz .LBB1445_102
; %bb.99:
	s_mov_b32 s14, 0
	s_mov_b32 s11, exec_lo
	v_cmpx_lt_u32_e64 v17, v23
; %bb.100:
	v_dual_add_f32 v25, 0, v15 :: v_dual_add_f32 v26, 0, v14
	s_delay_alu instid0(VALU_DEP_1) | instskip(NEXT) | instid1(VALU_DEP_2)
	v_ashrrev_i32_e32 v27, 31, v25
	v_ashrrev_i32_e32 v28, 31, v26
	s_delay_alu instid0(VALU_DEP_2) | instskip(NEXT) | instid1(VALU_DEP_2)
	v_or_b32_e32 v27, 0x80000000, v27
	v_or_b32_e32 v28, 0x80000000, v28
	s_delay_alu instid0(VALU_DEP_2) | instskip(NEXT) | instid1(VALU_DEP_2)
	v_xor_b32_e32 v25, v27, v25
	v_xor_b32_e32 v26, v28, v26
	s_delay_alu instid0(VALU_DEP_1) | instskip(NEXT) | instid1(VALU_DEP_1)
	v_cmp_le_u32_e64 s7, v25, v26
	s_and_b32 s14, s7, exec_lo
; %bb.101:
	s_or_b32 exec_lo, exec_lo, s11
	s_delay_alu instid0(SALU_CYCLE_1)
	s_or_not1_b32 s11, s14, exec_lo
.LBB1445_102:
	s_or_b32 exec_lo, exec_lo, s13
	v_cndmask_b32_e64 v25, v16, v17, s11
	v_cndmask_b32_e64 v26, v24, v23, s11
	s_mov_b32 s13, -1
	s_mov_b32 s14, -1
	s_mov_b32 s15, exec_lo
	v_add_nc_u32_e32 v27, 1, v25
	v_add_nc_u32_e32 v26, -1, v26
	v_lshl_add_u32 v25, v25, 3, v18
	s_delay_alu instid0(VALU_DEP_2)
	v_min_u32_e32 v26, v27, v26
	ds_load_b64 v[52:53], v25 offset:8192
	v_cndmask_b32_e64 v25, v27, v16, s11
	v_lshl_add_u32 v26, v26, 2, v19
	ds_load_b32 v28, v26
	v_cndmask_b32_e64 v26, v17, v27, s11
	s_waitcnt lgkmcnt(0)
	v_cndmask_b32_e64 v16, v28, v14, s11
	v_cndmask_b32_e64 v17, v15, v28, s11
	v_cmpx_lt_u32_e64 v25, v24
	s_cbranch_execz .LBB1445_106
; %bb.103:
	s_mov_b32 s16, 0
	s_mov_b32 s14, exec_lo
	v_cmpx_lt_u32_e64 v26, v23
; %bb.104:
	v_dual_add_f32 v27, 0, v17 :: v_dual_add_f32 v28, 0, v16
	s_delay_alu instid0(VALU_DEP_1) | instskip(NEXT) | instid1(VALU_DEP_2)
	v_ashrrev_i32_e32 v29, 31, v27
	v_ashrrev_i32_e32 v30, 31, v28
	s_delay_alu instid0(VALU_DEP_2) | instskip(NEXT) | instid1(VALU_DEP_2)
	v_or_b32_e32 v29, 0x80000000, v29
	v_or_b32_e32 v30, 0x80000000, v30
	s_delay_alu instid0(VALU_DEP_2) | instskip(NEXT) | instid1(VALU_DEP_2)
	v_xor_b32_e32 v27, v29, v27
	v_xor_b32_e32 v28, v30, v28
	s_delay_alu instid0(VALU_DEP_1) | instskip(NEXT) | instid1(VALU_DEP_1)
	v_cmp_le_u32_e64 s7, v27, v28
	s_and_b32 s16, s7, exec_lo
; %bb.105:
	s_or_b32 exec_lo, exec_lo, s14
	s_delay_alu instid0(SALU_CYCLE_1)
	s_or_not1_b32 s14, s16, exec_lo
.LBB1445_106:
	s_or_b32 exec_lo, exec_lo, s15
	v_cndmask_b32_e64 v27, v25, v26, s14
	v_cndmask_b32_e64 v28, v24, v23, s14
	s_mov_b32 s15, exec_lo
	s_delay_alu instid0(VALU_DEP_2) | instskip(NEXT) | instid1(VALU_DEP_2)
	v_add_nc_u32_e32 v29, 1, v27
	v_add_nc_u32_e32 v28, -1, v28
	v_lshl_add_u32 v27, v27, 3, v18
	s_delay_alu instid0(VALU_DEP_2)
	v_min_u32_e32 v28, v29, v28
	ds_load_b64 v[70:71], v27 offset:8192
	v_cndmask_b32_e64 v27, v29, v25, s14
	v_lshl_add_u32 v28, v28, 2, v19
	ds_load_b32 v30, v28
	v_cndmask_b32_e64 v28, v26, v29, s14
	s_waitcnt lgkmcnt(0)
	v_cndmask_b32_e64 v25, v30, v16, s14
	v_cndmask_b32_e64 v26, v17, v30, s14
	v_cmpx_lt_u32_e64 v27, v24
	s_cbranch_execz .LBB1445_110
; %bb.107:
	s_mov_b32 s16, 0
	s_mov_b32 s13, exec_lo
	v_cmpx_lt_u32_e64 v28, v23
; %bb.108:
	v_dual_add_f32 v29, 0, v26 :: v_dual_add_f32 v30, 0, v25
	s_delay_alu instid0(VALU_DEP_1) | instskip(NEXT) | instid1(VALU_DEP_2)
	v_ashrrev_i32_e32 v31, 31, v29
	v_ashrrev_i32_e32 v32, 31, v30
	s_delay_alu instid0(VALU_DEP_2) | instskip(NEXT) | instid1(VALU_DEP_2)
	v_or_b32_e32 v31, 0x80000000, v31
	v_or_b32_e32 v32, 0x80000000, v32
	s_delay_alu instid0(VALU_DEP_2) | instskip(NEXT) | instid1(VALU_DEP_2)
	v_xor_b32_e32 v29, v31, v29
	v_xor_b32_e32 v30, v32, v30
	s_delay_alu instid0(VALU_DEP_1) | instskip(NEXT) | instid1(VALU_DEP_1)
	v_cmp_le_u32_e64 s7, v29, v30
	s_and_b32 s16, s7, exec_lo
; %bb.109:
	s_or_b32 exec_lo, exec_lo, s13
	s_delay_alu instid0(SALU_CYCLE_1)
	s_or_not1_b32 s13, s16, exec_lo
.LBB1445_110:
	s_or_b32 exec_lo, exec_lo, s15
	v_cndmask_b32_e64 v29, v27, v28, s13
	v_cndmask_b32_e64 v30, v24, v23, s13
	s_mov_b32 s15, -1
	s_mov_b32 s16, -1
	s_mov_b32 s17, exec_lo
	v_add_nc_u32_e32 v31, 1, v29
	v_add_nc_u32_e32 v30, -1, v30
	v_lshl_add_u32 v29, v29, 3, v18
	s_delay_alu instid0(VALU_DEP_2)
	v_min_u32_e32 v30, v31, v30
	ds_load_b64 v[66:67], v29 offset:8192
	v_cndmask_b32_e64 v29, v31, v27, s13
	v_lshl_add_u32 v30, v30, 2, v19
	ds_load_b32 v32, v30
	v_cndmask_b32_e64 v30, v28, v31, s13
	s_waitcnt lgkmcnt(0)
	v_cndmask_b32_e64 v27, v32, v25, s13
	v_cndmask_b32_e64 v28, v26, v32, s13
	v_cmpx_lt_u32_e64 v29, v24
	s_cbranch_execz .LBB1445_114
; %bb.111:
	s_mov_b32 s18, 0
	s_mov_b32 s16, exec_lo
	v_cmpx_lt_u32_e64 v30, v23
; %bb.112:
	v_dual_add_f32 v31, 0, v28 :: v_dual_add_f32 v32, 0, v27
	s_delay_alu instid0(VALU_DEP_1) | instskip(NEXT) | instid1(VALU_DEP_2)
	v_ashrrev_i32_e32 v33, 31, v31
	v_ashrrev_i32_e32 v36, 31, v32
	s_delay_alu instid0(VALU_DEP_2) | instskip(NEXT) | instid1(VALU_DEP_2)
	v_or_b32_e32 v33, 0x80000000, v33
	v_or_b32_e32 v36, 0x80000000, v36
	s_delay_alu instid0(VALU_DEP_2) | instskip(NEXT) | instid1(VALU_DEP_2)
	v_xor_b32_e32 v31, v33, v31
	v_xor_b32_e32 v32, v36, v32
	s_delay_alu instid0(VALU_DEP_1) | instskip(NEXT) | instid1(VALU_DEP_1)
	v_cmp_le_u32_e64 s7, v31, v32
	s_and_b32 s18, s7, exec_lo
; %bb.113:
	s_or_b32 exec_lo, exec_lo, s16
	s_delay_alu instid0(SALU_CYCLE_1)
	s_or_not1_b32 s16, s18, exec_lo
.LBB1445_114:
	s_or_b32 exec_lo, exec_lo, s17
	v_cndmask_b32_e64 v31, v29, v30, s16
	v_cndmask_b32_e64 v32, v24, v23, s16
	s_mov_b32 s17, exec_lo
	s_delay_alu instid0(VALU_DEP_2) | instskip(NEXT) | instid1(VALU_DEP_2)
	v_add_nc_u32_e32 v33, 1, v31
	v_add_nc_u32_e32 v32, -1, v32
	v_lshl_add_u32 v31, v31, 3, v18
	s_delay_alu instid0(VALU_DEP_2)
	v_min_u32_e32 v32, v33, v32
	ds_load_b64 v[64:65], v31 offset:8192
	v_cndmask_b32_e64 v31, v33, v29, s16
	v_lshl_add_u32 v32, v32, 2, v19
	ds_load_b32 v36, v32
	v_cndmask_b32_e64 v32, v30, v33, s16
	s_waitcnt lgkmcnt(0)
	v_cndmask_b32_e64 v29, v36, v27, s16
	v_cndmask_b32_e64 v30, v28, v36, s16
	v_cmpx_lt_u32_e64 v31, v24
	s_cbranch_execz .LBB1445_118
; %bb.115:
	s_mov_b32 s18, 0
	s_mov_b32 s15, exec_lo
	v_cmpx_lt_u32_e64 v32, v23
; %bb.116:
	v_dual_add_f32 v23, 0, v30 :: v_dual_add_f32 v24, 0, v29
	s_delay_alu instid0(VALU_DEP_1) | instskip(NEXT) | instid1(VALU_DEP_2)
	v_ashrrev_i32_e32 v33, 31, v23
	v_ashrrev_i32_e32 v36, 31, v24
	s_delay_alu instid0(VALU_DEP_2) | instskip(NEXT) | instid1(VALU_DEP_2)
	v_or_b32_e32 v33, 0x80000000, v33
	v_or_b32_e32 v36, 0x80000000, v36
	s_delay_alu instid0(VALU_DEP_2) | instskip(NEXT) | instid1(VALU_DEP_2)
	v_xor_b32_e32 v23, v33, v23
	v_xor_b32_e32 v24, v36, v24
	s_delay_alu instid0(VALU_DEP_1) | instskip(NEXT) | instid1(VALU_DEP_1)
	v_cmp_le_u32_e64 s7, v23, v24
	s_and_b32 s18, s7, exec_lo
; %bb.117:
	s_or_b32 exec_lo, exec_lo, s15
	s_delay_alu instid0(SALU_CYCLE_1)
	s_or_not1_b32 s15, s18, exec_lo
.LBB1445_118:
	s_or_b32 exec_lo, exec_lo, s17
	v_cndmask_b32_e64 v23, v31, v32, s15
	v_cndmask_b32_e64 v8, v9, v8, s10
	v_cndmask_b32_e64 v9, v10, v11, s8
	v_cndmask_b32_e64 v10, v12, v13, s12
	v_cndmask_b32_e64 v11, v14, v15, s11
	v_lshl_add_u32 v23, v23, 3, v18
	v_cndmask_b32_e64 v12, v16, v17, s14
	v_cndmask_b32_e64 v13, v25, v26, s13
	v_cndmask_b32_e64 v14, v27, v28, s16
	v_cndmask_b32_e64 v15, v29, v30, s15
	ds_load_b64 v[50:51], v23 offset:8192
.LBB1445_119:
	s_or_b32 exec_lo, exec_lo, s9
	v_and_b32_e32 v25, 0xe0, v85
	v_and_b32_e32 v23, 24, v85
	s_mov_b32 s8, exec_lo
	; wave barrier
	s_delay_alu instid0(VALU_DEP_2) | instskip(NEXT) | instid1(VALU_DEP_2)
	v_or_b32_e32 v16, 16, v25
	v_min_u32_e32 v26, v21, v23
	ds_store_2addr_b64 v20, v[4:5], v[34:35] offset1:1
	ds_store_2addr_b64 v20, v[68:69], v[52:53] offset0:2 offset1:3
	ds_store_2addr_b64 v22, v[8:9], v[10:11] offset1:1
	ds_store_2addr_b64 v22, v[12:13], v[14:15] offset0:2 offset1:3
	ds_store_2addr_b64 v20, v[70:71], v[66:67] offset0:4 offset1:5
	s_waitcnt lgkmcnt(5)
	ds_store_2addr_b64 v20, v[64:65], v[50:51] offset0:6 offset1:7
	v_min_u32_e32 v16, v21, v16
	; wave barrier
	s_delay_alu instid0(VALU_DEP_1) | instskip(SKIP_1) | instid1(VALU_DEP_2)
	v_add_nc_u32_e32 v17, 16, v16
	v_sub_nc_u32_e32 v23, v16, v25
	v_min_u32_e32 v17, v21, v17
	s_delay_alu instid0(VALU_DEP_2) | instskip(NEXT) | instid1(VALU_DEP_2)
	v_min_u32_e32 v27, v26, v23
	v_sub_nc_u32_e32 v24, v17, v16
	s_delay_alu instid0(VALU_DEP_1) | instskip(SKIP_1) | instid1(VALU_DEP_2)
	v_sub_nc_u32_e64 v23, v26, v24 clamp
	v_lshl_add_u32 v24, v25, 2, v19
	v_cmpx_lt_u32_e64 v23, v27
	s_cbranch_execz .LBB1445_123
; %bb.120:
	v_lshlrev_b32_e32 v28, 2, v16
	v_lshlrev_b32_e32 v29, 2, v26
	s_mov_b32 s9, 0
	s_delay_alu instid0(VALU_DEP_1)
	v_add3_u32 v28, v19, v28, v29
	s_set_inst_prefetch_distance 0x1
	.p2align	6
.LBB1445_121:                           ; =>This Inner Loop Header: Depth=1
	v_add_nc_u32_e32 v29, v27, v23
	s_delay_alu instid0(VALU_DEP_1) | instskip(NEXT) | instid1(VALU_DEP_1)
	v_lshrrev_b32_e32 v29, 1, v29
	v_not_b32_e32 v30, v29
	v_lshl_add_u32 v31, v29, 2, v24
	s_delay_alu instid0(VALU_DEP_2) | instskip(SKIP_4) | instid1(VALU_DEP_1)
	v_lshl_add_u32 v30, v30, 2, v28
	ds_load_b32 v31, v31
	ds_load_b32 v30, v30
	s_waitcnt lgkmcnt(0)
	v_dual_add_f32 v31, 0, v31 :: v_dual_add_f32 v30, 0, v30
	v_ashrrev_i32_e32 v32, 31, v31
	s_delay_alu instid0(VALU_DEP_2) | instskip(NEXT) | instid1(VALU_DEP_2)
	v_ashrrev_i32_e32 v33, 31, v30
	v_or_b32_e32 v32, 0x80000000, v32
	s_delay_alu instid0(VALU_DEP_2) | instskip(NEXT) | instid1(VALU_DEP_2)
	v_or_b32_e32 v33, 0x80000000, v33
	v_xor_b32_e32 v31, v32, v31
	v_add_nc_u32_e32 v32, 1, v29
	s_delay_alu instid0(VALU_DEP_3) | instskip(NEXT) | instid1(VALU_DEP_1)
	v_xor_b32_e32 v30, v33, v30
	v_cmp_gt_u32_e64 s7, v31, v30
	s_delay_alu instid0(VALU_DEP_1) | instskip(NEXT) | instid1(VALU_DEP_4)
	v_cndmask_b32_e64 v27, v27, v29, s7
	v_cndmask_b32_e64 v23, v32, v23, s7
	s_delay_alu instid0(VALU_DEP_1) | instskip(NEXT) | instid1(VALU_DEP_1)
	v_cmp_ge_u32_e64 s7, v23, v27
	s_or_b32 s9, s7, s9
	s_delay_alu instid0(SALU_CYCLE_1)
	s_and_not1_b32 exec_lo, exec_lo, s9
	s_cbranch_execnz .LBB1445_121
; %bb.122:
	s_set_inst_prefetch_distance 0x2
	s_or_b32 exec_lo, exec_lo, s9
.LBB1445_123:
	s_delay_alu instid0(SALU_CYCLE_1) | instskip(SKIP_2) | instid1(VALU_DEP_2)
	s_or_b32 exec_lo, exec_lo, s8
	v_add_nc_u32_e32 v26, v16, v26
	v_add_nc_u32_e32 v25, v23, v25
	v_sub_nc_u32_e32 v26, v26, v23
	s_delay_alu instid0(VALU_DEP_2) | instskip(NEXT) | instid1(VALU_DEP_2)
	v_cmp_le_u32_e64 s7, v25, v16
	v_cmp_le_u32_e64 s8, v26, v17
	s_delay_alu instid0(VALU_DEP_1) | instskip(NEXT) | instid1(SALU_CYCLE_1)
	s_or_b32 s7, s7, s8
	s_and_saveexec_b32 s9, s7
	s_cbranch_execz .LBB1445_159
; %bb.124:
	v_cmp_ge_u32_e64 s7, v25, v16
	s_mov_b32 s10, exec_lo
                                        ; implicit-def: $vgpr8
	v_cmpx_lt_u32_e64 v25, v16
	s_cbranch_execz .LBB1445_126
; %bb.125:
	v_lshl_add_u32 v4, v23, 2, v24
	ds_load_b32 v8, v4
.LBB1445_126:
	s_or_b32 exec_lo, exec_lo, s10
	v_cmp_ge_u32_e64 s10, v26, v17
	s_mov_b32 s11, exec_lo
                                        ; implicit-def: $vgpr9
	v_cmpx_lt_u32_e64 v26, v17
	s_cbranch_execz .LBB1445_128
; %bb.127:
	v_lshl_add_u32 v4, v26, 2, v19
	ds_load_b32 v9, v4
.LBB1445_128:
	s_or_b32 exec_lo, exec_lo, s11
	s_or_b32 s7, s7, s10
	s_mov_b32 s8, -1
	s_xor_b32 s7, s7, -1
	s_delay_alu instid0(SALU_CYCLE_1)
	s_and_saveexec_b32 s11, s7
	s_cbranch_execz .LBB1445_130
; %bb.129:
	s_waitcnt lgkmcnt(0)
	v_dual_add_f32 v4, 0, v8 :: v_dual_add_f32 v5, 0, v9
	s_and_not1_b32 s10, s10, exec_lo
	s_delay_alu instid0(VALU_DEP_1) | instskip(NEXT) | instid1(VALU_DEP_2)
	v_ashrrev_i32_e32 v10, 31, v4
	v_ashrrev_i32_e32 v11, 31, v5
	s_delay_alu instid0(VALU_DEP_2) | instskip(NEXT) | instid1(VALU_DEP_2)
	v_or_b32_e32 v10, 0x80000000, v10
	v_or_b32_e32 v11, 0x80000000, v11
	s_delay_alu instid0(VALU_DEP_2) | instskip(NEXT) | instid1(VALU_DEP_2)
	v_xor_b32_e32 v4, v10, v4
	v_xor_b32_e32 v5, v11, v5
	s_delay_alu instid0(VALU_DEP_1) | instskip(NEXT) | instid1(VALU_DEP_1)
	v_cmp_le_u32_e64 s7, v4, v5
	s_and_b32 s7, s7, exec_lo
	s_delay_alu instid0(SALU_CYCLE_1)
	s_or_b32 s10, s10, s7
.LBB1445_130:
	s_or_b32 exec_lo, exec_lo, s11
	v_cndmask_b32_e64 v4, v26, v25, s10
	v_cndmask_b32_e64 v5, v17, v16, s10
	s_mov_b32 s11, exec_lo
	s_delay_alu instid0(VALU_DEP_2) | instskip(NEXT) | instid1(VALU_DEP_2)
	v_add_nc_u32_e32 v10, 1, v4
	v_add_nc_u32_e32 v5, -1, v5
	v_lshl_add_u32 v4, v4, 3, v18
	s_delay_alu instid0(VALU_DEP_3) | instskip(NEXT) | instid1(VALU_DEP_3)
	v_cndmask_b32_e64 v12, v10, v26, s10
	v_min_u32_e32 v5, v10, v5
	v_cndmask_b32_e64 v13, v25, v10, s10
	s_delay_alu instid0(VALU_DEP_2)
	v_lshl_add_u32 v5, v5, 2, v19
	ds_load_b32 v11, v5
	ds_load_b64 v[4:5], v4 offset:8192
	s_waitcnt lgkmcnt(1)
	v_cndmask_b32_e64 v10, v11, v9, s10
	v_cndmask_b32_e64 v11, v8, v11, s10
	v_cmpx_lt_u32_e64 v12, v17
	s_cbranch_execz .LBB1445_134
; %bb.131:
	s_mov_b32 s12, 0
	s_mov_b32 s8, exec_lo
	v_cmpx_lt_u32_e64 v13, v16
; %bb.132:
	v_dual_add_f32 v14, 0, v11 :: v_dual_add_f32 v15, 0, v10
	s_delay_alu instid0(VALU_DEP_1) | instskip(NEXT) | instid1(VALU_DEP_2)
	v_ashrrev_i32_e32 v23, 31, v14
	v_ashrrev_i32_e32 v24, 31, v15
	s_delay_alu instid0(VALU_DEP_2) | instskip(NEXT) | instid1(VALU_DEP_2)
	v_or_b32_e32 v23, 0x80000000, v23
	v_or_b32_e32 v24, 0x80000000, v24
	s_delay_alu instid0(VALU_DEP_2) | instskip(NEXT) | instid1(VALU_DEP_2)
	v_xor_b32_e32 v14, v23, v14
	v_xor_b32_e32 v15, v24, v15
	s_delay_alu instid0(VALU_DEP_1) | instskip(NEXT) | instid1(VALU_DEP_1)
	v_cmp_le_u32_e64 s7, v14, v15
	s_and_b32 s12, s7, exec_lo
; %bb.133:
	s_or_b32 exec_lo, exec_lo, s8
	s_delay_alu instid0(SALU_CYCLE_1)
	s_or_not1_b32 s8, s12, exec_lo
.LBB1445_134:
	s_or_b32 exec_lo, exec_lo, s11
	v_cndmask_b32_e64 v14, v12, v13, s8
	v_cndmask_b32_e64 v15, v17, v16, s8
	s_mov_b32 s11, -1
	s_mov_b32 s12, -1
	s_mov_b32 s13, exec_lo
	v_add_nc_u32_e32 v23, 1, v14
	v_add_nc_u32_e32 v15, -1, v15
	v_lshl_add_u32 v14, v14, 3, v18
	s_delay_alu instid0(VALU_DEP_2)
	v_min_u32_e32 v15, v23, v15
	ds_load_b64 v[34:35], v14 offset:8192
	v_cndmask_b32_e64 v14, v23, v12, s8
	v_lshl_add_u32 v15, v15, 2, v19
	ds_load_b32 v24, v15
	v_cndmask_b32_e64 v15, v13, v23, s8
	s_waitcnt lgkmcnt(0)
	v_cndmask_b32_e64 v12, v24, v10, s8
	v_cndmask_b32_e64 v13, v11, v24, s8
	v_cmpx_lt_u32_e64 v14, v17
	s_cbranch_execz .LBB1445_138
; %bb.135:
	s_mov_b32 s14, 0
	s_mov_b32 s12, exec_lo
	v_cmpx_lt_u32_e64 v15, v16
; %bb.136:
	v_dual_add_f32 v23, 0, v13 :: v_dual_add_f32 v24, 0, v12
	s_delay_alu instid0(VALU_DEP_1) | instskip(NEXT) | instid1(VALU_DEP_2)
	v_ashrrev_i32_e32 v25, 31, v23
	v_ashrrev_i32_e32 v26, 31, v24
	s_delay_alu instid0(VALU_DEP_2) | instskip(NEXT) | instid1(VALU_DEP_2)
	v_or_b32_e32 v25, 0x80000000, v25
	v_or_b32_e32 v26, 0x80000000, v26
	s_delay_alu instid0(VALU_DEP_2) | instskip(NEXT) | instid1(VALU_DEP_2)
	v_xor_b32_e32 v23, v25, v23
	v_xor_b32_e32 v24, v26, v24
	s_delay_alu instid0(VALU_DEP_1) | instskip(NEXT) | instid1(VALU_DEP_1)
	v_cmp_le_u32_e64 s7, v23, v24
	s_and_b32 s14, s7, exec_lo
; %bb.137:
	s_or_b32 exec_lo, exec_lo, s12
	s_delay_alu instid0(SALU_CYCLE_1)
	s_or_not1_b32 s12, s14, exec_lo
.LBB1445_138:
	s_or_b32 exec_lo, exec_lo, s13
	v_cndmask_b32_e64 v23, v14, v15, s12
	v_cndmask_b32_e64 v24, v17, v16, s12
	s_mov_b32 s13, exec_lo
	s_delay_alu instid0(VALU_DEP_2) | instskip(NEXT) | instid1(VALU_DEP_2)
	v_add_nc_u32_e32 v25, 1, v23
	v_add_nc_u32_e32 v24, -1, v24
	v_lshl_add_u32 v23, v23, 3, v18
	s_delay_alu instid0(VALU_DEP_2)
	v_min_u32_e32 v24, v25, v24
	ds_load_b64 v[68:69], v23 offset:8192
	v_cndmask_b32_e64 v23, v25, v14, s12
	v_lshl_add_u32 v24, v24, 2, v19
	ds_load_b32 v26, v24
	v_cndmask_b32_e64 v24, v15, v25, s12
	s_waitcnt lgkmcnt(0)
	v_cndmask_b32_e64 v14, v26, v12, s12
	v_cndmask_b32_e64 v15, v13, v26, s12
	v_cmpx_lt_u32_e64 v23, v17
	s_cbranch_execz .LBB1445_142
; %bb.139:
	s_mov_b32 s14, 0
	s_mov_b32 s11, exec_lo
	v_cmpx_lt_u32_e64 v24, v16
; %bb.140:
	v_dual_add_f32 v25, 0, v15 :: v_dual_add_f32 v26, 0, v14
	s_delay_alu instid0(VALU_DEP_1) | instskip(NEXT) | instid1(VALU_DEP_2)
	v_ashrrev_i32_e32 v27, 31, v25
	v_ashrrev_i32_e32 v28, 31, v26
	s_delay_alu instid0(VALU_DEP_2) | instskip(NEXT) | instid1(VALU_DEP_2)
	v_or_b32_e32 v27, 0x80000000, v27
	v_or_b32_e32 v28, 0x80000000, v28
	s_delay_alu instid0(VALU_DEP_2) | instskip(NEXT) | instid1(VALU_DEP_2)
	v_xor_b32_e32 v25, v27, v25
	v_xor_b32_e32 v26, v28, v26
	s_delay_alu instid0(VALU_DEP_1) | instskip(NEXT) | instid1(VALU_DEP_1)
	v_cmp_le_u32_e64 s7, v25, v26
	s_and_b32 s14, s7, exec_lo
; %bb.141:
	s_or_b32 exec_lo, exec_lo, s11
	s_delay_alu instid0(SALU_CYCLE_1)
	s_or_not1_b32 s11, s14, exec_lo
.LBB1445_142:
	s_or_b32 exec_lo, exec_lo, s13
	v_cndmask_b32_e64 v25, v23, v24, s11
	v_cndmask_b32_e64 v26, v17, v16, s11
	s_mov_b32 s13, -1
	s_mov_b32 s14, -1
	s_mov_b32 s15, exec_lo
	v_add_nc_u32_e32 v27, 1, v25
	v_add_nc_u32_e32 v26, -1, v26
	v_lshl_add_u32 v25, v25, 3, v18
	s_delay_alu instid0(VALU_DEP_2)
	v_min_u32_e32 v26, v27, v26
	ds_load_b64 v[52:53], v25 offset:8192
	v_cndmask_b32_e64 v25, v27, v23, s11
	v_lshl_add_u32 v26, v26, 2, v19
	ds_load_b32 v28, v26
	v_cndmask_b32_e64 v26, v24, v27, s11
	s_waitcnt lgkmcnt(0)
	v_cndmask_b32_e64 v23, v28, v14, s11
	v_cndmask_b32_e64 v24, v15, v28, s11
	v_cmpx_lt_u32_e64 v25, v17
	s_cbranch_execz .LBB1445_146
; %bb.143:
	s_mov_b32 s16, 0
	s_mov_b32 s14, exec_lo
	v_cmpx_lt_u32_e64 v26, v16
; %bb.144:
	v_dual_add_f32 v27, 0, v24 :: v_dual_add_f32 v28, 0, v23
	s_delay_alu instid0(VALU_DEP_1) | instskip(NEXT) | instid1(VALU_DEP_2)
	v_ashrrev_i32_e32 v29, 31, v27
	v_ashrrev_i32_e32 v30, 31, v28
	s_delay_alu instid0(VALU_DEP_2) | instskip(NEXT) | instid1(VALU_DEP_2)
	v_or_b32_e32 v29, 0x80000000, v29
	v_or_b32_e32 v30, 0x80000000, v30
	s_delay_alu instid0(VALU_DEP_2) | instskip(NEXT) | instid1(VALU_DEP_2)
	v_xor_b32_e32 v27, v29, v27
	v_xor_b32_e32 v28, v30, v28
	s_delay_alu instid0(VALU_DEP_1) | instskip(NEXT) | instid1(VALU_DEP_1)
	v_cmp_le_u32_e64 s7, v27, v28
	s_and_b32 s16, s7, exec_lo
; %bb.145:
	s_or_b32 exec_lo, exec_lo, s14
	s_delay_alu instid0(SALU_CYCLE_1)
	s_or_not1_b32 s14, s16, exec_lo
.LBB1445_146:
	s_or_b32 exec_lo, exec_lo, s15
	v_cndmask_b32_e64 v27, v25, v26, s14
	v_cndmask_b32_e64 v28, v17, v16, s14
	s_mov_b32 s15, exec_lo
	s_delay_alu instid0(VALU_DEP_2) | instskip(NEXT) | instid1(VALU_DEP_2)
	v_add_nc_u32_e32 v29, 1, v27
	v_add_nc_u32_e32 v28, -1, v28
	v_lshl_add_u32 v27, v27, 3, v18
	s_delay_alu instid0(VALU_DEP_2)
	v_min_u32_e32 v28, v29, v28
	ds_load_b64 v[70:71], v27 offset:8192
	v_cndmask_b32_e64 v27, v29, v25, s14
	v_lshl_add_u32 v28, v28, 2, v19
	ds_load_b32 v30, v28
	v_cndmask_b32_e64 v28, v26, v29, s14
	s_waitcnt lgkmcnt(0)
	v_cndmask_b32_e64 v25, v30, v23, s14
	v_cndmask_b32_e64 v26, v24, v30, s14
	v_cmpx_lt_u32_e64 v27, v17
	s_cbranch_execz .LBB1445_150
; %bb.147:
	s_mov_b32 s16, 0
	s_mov_b32 s13, exec_lo
	v_cmpx_lt_u32_e64 v28, v16
; %bb.148:
	v_dual_add_f32 v29, 0, v26 :: v_dual_add_f32 v30, 0, v25
	s_delay_alu instid0(VALU_DEP_1) | instskip(NEXT) | instid1(VALU_DEP_2)
	v_ashrrev_i32_e32 v31, 31, v29
	v_ashrrev_i32_e32 v32, 31, v30
	s_delay_alu instid0(VALU_DEP_2) | instskip(NEXT) | instid1(VALU_DEP_2)
	v_or_b32_e32 v31, 0x80000000, v31
	v_or_b32_e32 v32, 0x80000000, v32
	s_delay_alu instid0(VALU_DEP_2) | instskip(NEXT) | instid1(VALU_DEP_2)
	v_xor_b32_e32 v29, v31, v29
	v_xor_b32_e32 v30, v32, v30
	s_delay_alu instid0(VALU_DEP_1) | instskip(NEXT) | instid1(VALU_DEP_1)
	v_cmp_le_u32_e64 s7, v29, v30
	s_and_b32 s16, s7, exec_lo
; %bb.149:
	s_or_b32 exec_lo, exec_lo, s13
	s_delay_alu instid0(SALU_CYCLE_1)
	s_or_not1_b32 s13, s16, exec_lo
.LBB1445_150:
	s_or_b32 exec_lo, exec_lo, s15
	v_cndmask_b32_e64 v29, v27, v28, s13
	v_cndmask_b32_e64 v30, v17, v16, s13
	s_mov_b32 s15, -1
	s_mov_b32 s16, -1
	s_mov_b32 s17, exec_lo
	v_add_nc_u32_e32 v31, 1, v29
	v_add_nc_u32_e32 v30, -1, v30
	v_lshl_add_u32 v29, v29, 3, v18
	s_delay_alu instid0(VALU_DEP_2)
	v_min_u32_e32 v30, v31, v30
	ds_load_b64 v[66:67], v29 offset:8192
	v_cndmask_b32_e64 v29, v31, v27, s13
	v_lshl_add_u32 v30, v30, 2, v19
	ds_load_b32 v32, v30
	v_cndmask_b32_e64 v30, v28, v31, s13
	s_waitcnt lgkmcnt(0)
	v_cndmask_b32_e64 v27, v32, v25, s13
	v_cndmask_b32_e64 v28, v26, v32, s13
	v_cmpx_lt_u32_e64 v29, v17
	s_cbranch_execz .LBB1445_154
; %bb.151:
	s_mov_b32 s18, 0
	s_mov_b32 s16, exec_lo
	v_cmpx_lt_u32_e64 v30, v16
; %bb.152:
	v_dual_add_f32 v31, 0, v28 :: v_dual_add_f32 v32, 0, v27
	s_delay_alu instid0(VALU_DEP_1) | instskip(NEXT) | instid1(VALU_DEP_2)
	v_ashrrev_i32_e32 v33, 31, v31
	v_ashrrev_i32_e32 v36, 31, v32
	s_delay_alu instid0(VALU_DEP_2) | instskip(NEXT) | instid1(VALU_DEP_2)
	v_or_b32_e32 v33, 0x80000000, v33
	v_or_b32_e32 v36, 0x80000000, v36
	s_delay_alu instid0(VALU_DEP_2) | instskip(NEXT) | instid1(VALU_DEP_2)
	v_xor_b32_e32 v31, v33, v31
	v_xor_b32_e32 v32, v36, v32
	s_delay_alu instid0(VALU_DEP_1) | instskip(NEXT) | instid1(VALU_DEP_1)
	v_cmp_le_u32_e64 s7, v31, v32
	s_and_b32 s18, s7, exec_lo
; %bb.153:
	s_or_b32 exec_lo, exec_lo, s16
	s_delay_alu instid0(SALU_CYCLE_1)
	s_or_not1_b32 s16, s18, exec_lo
.LBB1445_154:
	s_or_b32 exec_lo, exec_lo, s17
	v_cndmask_b32_e64 v31, v29, v30, s16
	v_cndmask_b32_e64 v32, v17, v16, s16
	s_mov_b32 s17, exec_lo
	s_delay_alu instid0(VALU_DEP_2) | instskip(NEXT) | instid1(VALU_DEP_2)
	v_add_nc_u32_e32 v33, 1, v31
	v_add_nc_u32_e32 v32, -1, v32
	v_lshl_add_u32 v31, v31, 3, v18
	s_delay_alu instid0(VALU_DEP_2)
	v_min_u32_e32 v32, v33, v32
	ds_load_b64 v[64:65], v31 offset:8192
	v_cndmask_b32_e64 v31, v33, v29, s16
	v_lshl_add_u32 v32, v32, 2, v19
	ds_load_b32 v36, v32
	v_cndmask_b32_e64 v32, v30, v33, s16
	s_waitcnt lgkmcnt(0)
	v_cndmask_b32_e64 v29, v36, v27, s16
	v_cndmask_b32_e64 v30, v28, v36, s16
	v_cmpx_lt_u32_e64 v31, v17
	s_cbranch_execz .LBB1445_158
; %bb.155:
	s_mov_b32 s18, 0
	s_mov_b32 s15, exec_lo
	v_cmpx_lt_u32_e64 v32, v16
; %bb.156:
	v_dual_add_f32 v16, 0, v30 :: v_dual_add_f32 v17, 0, v29
	s_delay_alu instid0(VALU_DEP_1) | instskip(NEXT) | instid1(VALU_DEP_2)
	v_ashrrev_i32_e32 v33, 31, v16
	v_ashrrev_i32_e32 v36, 31, v17
	s_delay_alu instid0(VALU_DEP_2) | instskip(NEXT) | instid1(VALU_DEP_2)
	v_or_b32_e32 v33, 0x80000000, v33
	v_or_b32_e32 v36, 0x80000000, v36
	s_delay_alu instid0(VALU_DEP_2) | instskip(NEXT) | instid1(VALU_DEP_2)
	v_xor_b32_e32 v16, v33, v16
	v_xor_b32_e32 v17, v36, v17
	s_delay_alu instid0(VALU_DEP_1) | instskip(NEXT) | instid1(VALU_DEP_1)
	v_cmp_le_u32_e64 s7, v16, v17
	s_and_b32 s18, s7, exec_lo
; %bb.157:
	s_or_b32 exec_lo, exec_lo, s15
	s_delay_alu instid0(SALU_CYCLE_1)
	s_or_not1_b32 s15, s18, exec_lo
.LBB1445_158:
	s_or_b32 exec_lo, exec_lo, s17
	v_cndmask_b32_e64 v16, v31, v32, s15
	v_cndmask_b32_e64 v8, v9, v8, s10
	;; [unrolled: 1-line block ×5, first 2 shown]
	v_lshl_add_u32 v16, v16, 3, v18
	v_cndmask_b32_e64 v12, v23, v24, s14
	v_cndmask_b32_e64 v13, v25, v26, s13
	;; [unrolled: 1-line block ×4, first 2 shown]
	ds_load_b64 v[50:51], v16 offset:8192
.LBB1445_159:
	s_or_b32 exec_lo, exec_lo, s9
	v_and_b32_e32 v25, 0xc0, v85
	v_and_b32_e32 v23, 56, v85
	s_mov_b32 s8, exec_lo
	; wave barrier
	s_delay_alu instid0(VALU_DEP_2) | instskip(NEXT) | instid1(VALU_DEP_2)
	v_or_b32_e32 v16, 32, v25
	v_min_u32_e32 v26, v21, v23
	ds_store_2addr_b64 v20, v[4:5], v[34:35] offset1:1
	ds_store_2addr_b64 v20, v[68:69], v[52:53] offset0:2 offset1:3
	ds_store_2addr_b64 v22, v[8:9], v[10:11] offset1:1
	ds_store_2addr_b64 v22, v[12:13], v[14:15] offset0:2 offset1:3
	ds_store_2addr_b64 v20, v[70:71], v[66:67] offset0:4 offset1:5
	s_waitcnt lgkmcnt(5)
	ds_store_2addr_b64 v20, v[64:65], v[50:51] offset0:6 offset1:7
	v_min_u32_e32 v16, v21, v16
	; wave barrier
	s_delay_alu instid0(VALU_DEP_1) | instskip(SKIP_1) | instid1(VALU_DEP_2)
	v_add_nc_u32_e32 v17, 32, v16
	v_sub_nc_u32_e32 v23, v16, v25
	v_min_u32_e32 v17, v21, v17
	s_delay_alu instid0(VALU_DEP_2) | instskip(NEXT) | instid1(VALU_DEP_2)
	v_min_u32_e32 v27, v26, v23
	v_sub_nc_u32_e32 v24, v17, v16
	s_delay_alu instid0(VALU_DEP_1) | instskip(SKIP_1) | instid1(VALU_DEP_2)
	v_sub_nc_u32_e64 v23, v26, v24 clamp
	v_lshl_add_u32 v24, v25, 2, v19
	v_cmpx_lt_u32_e64 v23, v27
	s_cbranch_execz .LBB1445_163
; %bb.160:
	v_lshlrev_b32_e32 v28, 2, v16
	v_lshlrev_b32_e32 v29, 2, v26
	s_mov_b32 s9, 0
	s_delay_alu instid0(VALU_DEP_1)
	v_add3_u32 v28, v19, v28, v29
	s_set_inst_prefetch_distance 0x1
	.p2align	6
.LBB1445_161:                           ; =>This Inner Loop Header: Depth=1
	v_add_nc_u32_e32 v29, v27, v23
	s_delay_alu instid0(VALU_DEP_1) | instskip(NEXT) | instid1(VALU_DEP_1)
	v_lshrrev_b32_e32 v29, 1, v29
	v_not_b32_e32 v30, v29
	v_lshl_add_u32 v31, v29, 2, v24
	s_delay_alu instid0(VALU_DEP_2) | instskip(SKIP_4) | instid1(VALU_DEP_1)
	v_lshl_add_u32 v30, v30, 2, v28
	ds_load_b32 v31, v31
	ds_load_b32 v30, v30
	s_waitcnt lgkmcnt(0)
	v_dual_add_f32 v31, 0, v31 :: v_dual_add_f32 v30, 0, v30
	v_ashrrev_i32_e32 v32, 31, v31
	s_delay_alu instid0(VALU_DEP_2) | instskip(NEXT) | instid1(VALU_DEP_2)
	v_ashrrev_i32_e32 v33, 31, v30
	v_or_b32_e32 v32, 0x80000000, v32
	s_delay_alu instid0(VALU_DEP_2) | instskip(NEXT) | instid1(VALU_DEP_2)
	v_or_b32_e32 v33, 0x80000000, v33
	v_xor_b32_e32 v31, v32, v31
	v_add_nc_u32_e32 v32, 1, v29
	s_delay_alu instid0(VALU_DEP_3) | instskip(NEXT) | instid1(VALU_DEP_1)
	v_xor_b32_e32 v30, v33, v30
	v_cmp_gt_u32_e64 s7, v31, v30
	s_delay_alu instid0(VALU_DEP_1) | instskip(NEXT) | instid1(VALU_DEP_4)
	v_cndmask_b32_e64 v27, v27, v29, s7
	v_cndmask_b32_e64 v23, v32, v23, s7
	s_delay_alu instid0(VALU_DEP_1) | instskip(NEXT) | instid1(VALU_DEP_1)
	v_cmp_ge_u32_e64 s7, v23, v27
	s_or_b32 s9, s7, s9
	s_delay_alu instid0(SALU_CYCLE_1)
	s_and_not1_b32 exec_lo, exec_lo, s9
	s_cbranch_execnz .LBB1445_161
; %bb.162:
	s_set_inst_prefetch_distance 0x2
	s_or_b32 exec_lo, exec_lo, s9
.LBB1445_163:
	s_delay_alu instid0(SALU_CYCLE_1) | instskip(SKIP_2) | instid1(VALU_DEP_2)
	s_or_b32 exec_lo, exec_lo, s8
	v_add_nc_u32_e32 v26, v16, v26
	v_add_nc_u32_e32 v25, v23, v25
	v_sub_nc_u32_e32 v26, v26, v23
	s_delay_alu instid0(VALU_DEP_2) | instskip(NEXT) | instid1(VALU_DEP_2)
	v_cmp_le_u32_e64 s7, v25, v16
	v_cmp_le_u32_e64 s8, v26, v17
	s_delay_alu instid0(VALU_DEP_1) | instskip(NEXT) | instid1(SALU_CYCLE_1)
	s_or_b32 s7, s7, s8
	s_and_saveexec_b32 s9, s7
	s_cbranch_execz .LBB1445_199
; %bb.164:
	v_cmp_ge_u32_e64 s7, v25, v16
	s_mov_b32 s10, exec_lo
                                        ; implicit-def: $vgpr8
	v_cmpx_lt_u32_e64 v25, v16
	s_cbranch_execz .LBB1445_166
; %bb.165:
	v_lshl_add_u32 v4, v23, 2, v24
	ds_load_b32 v8, v4
.LBB1445_166:
	s_or_b32 exec_lo, exec_lo, s10
	v_cmp_ge_u32_e64 s10, v26, v17
	s_mov_b32 s11, exec_lo
                                        ; implicit-def: $vgpr9
	v_cmpx_lt_u32_e64 v26, v17
	s_cbranch_execz .LBB1445_168
; %bb.167:
	v_lshl_add_u32 v4, v26, 2, v19
	ds_load_b32 v9, v4
.LBB1445_168:
	s_or_b32 exec_lo, exec_lo, s11
	s_or_b32 s7, s7, s10
	s_mov_b32 s8, -1
	s_xor_b32 s7, s7, -1
	s_delay_alu instid0(SALU_CYCLE_1)
	s_and_saveexec_b32 s11, s7
	s_cbranch_execz .LBB1445_170
; %bb.169:
	s_waitcnt lgkmcnt(0)
	v_dual_add_f32 v4, 0, v8 :: v_dual_add_f32 v5, 0, v9
	s_and_not1_b32 s10, s10, exec_lo
	s_delay_alu instid0(VALU_DEP_1) | instskip(NEXT) | instid1(VALU_DEP_2)
	v_ashrrev_i32_e32 v10, 31, v4
	v_ashrrev_i32_e32 v11, 31, v5
	s_delay_alu instid0(VALU_DEP_2) | instskip(NEXT) | instid1(VALU_DEP_2)
	v_or_b32_e32 v10, 0x80000000, v10
	v_or_b32_e32 v11, 0x80000000, v11
	s_delay_alu instid0(VALU_DEP_2) | instskip(NEXT) | instid1(VALU_DEP_2)
	v_xor_b32_e32 v4, v10, v4
	v_xor_b32_e32 v5, v11, v5
	s_delay_alu instid0(VALU_DEP_1) | instskip(NEXT) | instid1(VALU_DEP_1)
	v_cmp_le_u32_e64 s7, v4, v5
	s_and_b32 s7, s7, exec_lo
	s_delay_alu instid0(SALU_CYCLE_1)
	s_or_b32 s10, s10, s7
.LBB1445_170:
	s_or_b32 exec_lo, exec_lo, s11
	v_cndmask_b32_e64 v4, v26, v25, s10
	v_cndmask_b32_e64 v5, v17, v16, s10
	s_mov_b32 s11, exec_lo
	s_delay_alu instid0(VALU_DEP_2) | instskip(NEXT) | instid1(VALU_DEP_2)
	v_add_nc_u32_e32 v10, 1, v4
	v_add_nc_u32_e32 v5, -1, v5
	v_lshl_add_u32 v4, v4, 3, v18
	s_delay_alu instid0(VALU_DEP_3) | instskip(NEXT) | instid1(VALU_DEP_3)
	v_cndmask_b32_e64 v12, v10, v26, s10
	v_min_u32_e32 v5, v10, v5
	v_cndmask_b32_e64 v13, v25, v10, s10
	s_delay_alu instid0(VALU_DEP_2)
	v_lshl_add_u32 v5, v5, 2, v19
	ds_load_b32 v11, v5
	ds_load_b64 v[4:5], v4 offset:8192
	s_waitcnt lgkmcnt(1)
	v_cndmask_b32_e64 v10, v11, v9, s10
	v_cndmask_b32_e64 v11, v8, v11, s10
	v_cmpx_lt_u32_e64 v12, v17
	s_cbranch_execz .LBB1445_174
; %bb.171:
	s_mov_b32 s12, 0
	s_mov_b32 s8, exec_lo
	v_cmpx_lt_u32_e64 v13, v16
; %bb.172:
	v_dual_add_f32 v14, 0, v11 :: v_dual_add_f32 v15, 0, v10
	s_delay_alu instid0(VALU_DEP_1) | instskip(NEXT) | instid1(VALU_DEP_2)
	v_ashrrev_i32_e32 v23, 31, v14
	v_ashrrev_i32_e32 v24, 31, v15
	s_delay_alu instid0(VALU_DEP_2) | instskip(NEXT) | instid1(VALU_DEP_2)
	v_or_b32_e32 v23, 0x80000000, v23
	v_or_b32_e32 v24, 0x80000000, v24
	s_delay_alu instid0(VALU_DEP_2) | instskip(NEXT) | instid1(VALU_DEP_2)
	v_xor_b32_e32 v14, v23, v14
	v_xor_b32_e32 v15, v24, v15
	s_delay_alu instid0(VALU_DEP_1) | instskip(NEXT) | instid1(VALU_DEP_1)
	v_cmp_le_u32_e64 s7, v14, v15
	s_and_b32 s12, s7, exec_lo
; %bb.173:
	s_or_b32 exec_lo, exec_lo, s8
	s_delay_alu instid0(SALU_CYCLE_1)
	s_or_not1_b32 s8, s12, exec_lo
.LBB1445_174:
	s_or_b32 exec_lo, exec_lo, s11
	v_cndmask_b32_e64 v14, v12, v13, s8
	v_cndmask_b32_e64 v15, v17, v16, s8
	s_mov_b32 s11, -1
	s_mov_b32 s12, -1
	s_mov_b32 s13, exec_lo
	v_add_nc_u32_e32 v23, 1, v14
	v_add_nc_u32_e32 v15, -1, v15
	v_lshl_add_u32 v14, v14, 3, v18
	s_delay_alu instid0(VALU_DEP_2)
	v_min_u32_e32 v15, v23, v15
	ds_load_b64 v[34:35], v14 offset:8192
	v_cndmask_b32_e64 v14, v23, v12, s8
	v_lshl_add_u32 v15, v15, 2, v19
	ds_load_b32 v24, v15
	v_cndmask_b32_e64 v15, v13, v23, s8
	s_waitcnt lgkmcnt(0)
	v_cndmask_b32_e64 v12, v24, v10, s8
	v_cndmask_b32_e64 v13, v11, v24, s8
	v_cmpx_lt_u32_e64 v14, v17
	s_cbranch_execz .LBB1445_178
; %bb.175:
	s_mov_b32 s14, 0
	s_mov_b32 s12, exec_lo
	v_cmpx_lt_u32_e64 v15, v16
; %bb.176:
	v_dual_add_f32 v23, 0, v13 :: v_dual_add_f32 v24, 0, v12
	s_delay_alu instid0(VALU_DEP_1) | instskip(NEXT) | instid1(VALU_DEP_2)
	v_ashrrev_i32_e32 v25, 31, v23
	v_ashrrev_i32_e32 v26, 31, v24
	s_delay_alu instid0(VALU_DEP_2) | instskip(NEXT) | instid1(VALU_DEP_2)
	v_or_b32_e32 v25, 0x80000000, v25
	v_or_b32_e32 v26, 0x80000000, v26
	s_delay_alu instid0(VALU_DEP_2) | instskip(NEXT) | instid1(VALU_DEP_2)
	v_xor_b32_e32 v23, v25, v23
	v_xor_b32_e32 v24, v26, v24
	s_delay_alu instid0(VALU_DEP_1) | instskip(NEXT) | instid1(VALU_DEP_1)
	v_cmp_le_u32_e64 s7, v23, v24
	s_and_b32 s14, s7, exec_lo
; %bb.177:
	s_or_b32 exec_lo, exec_lo, s12
	s_delay_alu instid0(SALU_CYCLE_1)
	s_or_not1_b32 s12, s14, exec_lo
.LBB1445_178:
	s_or_b32 exec_lo, exec_lo, s13
	v_cndmask_b32_e64 v23, v14, v15, s12
	v_cndmask_b32_e64 v24, v17, v16, s12
	s_mov_b32 s13, exec_lo
	s_delay_alu instid0(VALU_DEP_2) | instskip(NEXT) | instid1(VALU_DEP_2)
	v_add_nc_u32_e32 v25, 1, v23
	v_add_nc_u32_e32 v24, -1, v24
	v_lshl_add_u32 v23, v23, 3, v18
	s_delay_alu instid0(VALU_DEP_2)
	v_min_u32_e32 v24, v25, v24
	ds_load_b64 v[68:69], v23 offset:8192
	v_cndmask_b32_e64 v23, v25, v14, s12
	v_lshl_add_u32 v24, v24, 2, v19
	ds_load_b32 v26, v24
	v_cndmask_b32_e64 v24, v15, v25, s12
	s_waitcnt lgkmcnt(0)
	v_cndmask_b32_e64 v14, v26, v12, s12
	v_cndmask_b32_e64 v15, v13, v26, s12
	v_cmpx_lt_u32_e64 v23, v17
	s_cbranch_execz .LBB1445_182
; %bb.179:
	s_mov_b32 s14, 0
	s_mov_b32 s11, exec_lo
	v_cmpx_lt_u32_e64 v24, v16
; %bb.180:
	v_dual_add_f32 v25, 0, v15 :: v_dual_add_f32 v26, 0, v14
	s_delay_alu instid0(VALU_DEP_1) | instskip(NEXT) | instid1(VALU_DEP_2)
	v_ashrrev_i32_e32 v27, 31, v25
	v_ashrrev_i32_e32 v28, 31, v26
	s_delay_alu instid0(VALU_DEP_2) | instskip(NEXT) | instid1(VALU_DEP_2)
	v_or_b32_e32 v27, 0x80000000, v27
	v_or_b32_e32 v28, 0x80000000, v28
	s_delay_alu instid0(VALU_DEP_2) | instskip(NEXT) | instid1(VALU_DEP_2)
	v_xor_b32_e32 v25, v27, v25
	v_xor_b32_e32 v26, v28, v26
	s_delay_alu instid0(VALU_DEP_1) | instskip(NEXT) | instid1(VALU_DEP_1)
	v_cmp_le_u32_e64 s7, v25, v26
	s_and_b32 s14, s7, exec_lo
; %bb.181:
	s_or_b32 exec_lo, exec_lo, s11
	s_delay_alu instid0(SALU_CYCLE_1)
	s_or_not1_b32 s11, s14, exec_lo
.LBB1445_182:
	s_or_b32 exec_lo, exec_lo, s13
	v_cndmask_b32_e64 v25, v23, v24, s11
	v_cndmask_b32_e64 v26, v17, v16, s11
	s_mov_b32 s13, -1
	s_mov_b32 s14, -1
	s_mov_b32 s15, exec_lo
	v_add_nc_u32_e32 v27, 1, v25
	v_add_nc_u32_e32 v26, -1, v26
	v_lshl_add_u32 v25, v25, 3, v18
	s_delay_alu instid0(VALU_DEP_2)
	v_min_u32_e32 v26, v27, v26
	ds_load_b64 v[52:53], v25 offset:8192
	v_cndmask_b32_e64 v25, v27, v23, s11
	v_lshl_add_u32 v26, v26, 2, v19
	ds_load_b32 v28, v26
	v_cndmask_b32_e64 v26, v24, v27, s11
	s_waitcnt lgkmcnt(0)
	v_cndmask_b32_e64 v23, v28, v14, s11
	v_cndmask_b32_e64 v24, v15, v28, s11
	v_cmpx_lt_u32_e64 v25, v17
	s_cbranch_execz .LBB1445_186
; %bb.183:
	s_mov_b32 s16, 0
	s_mov_b32 s14, exec_lo
	v_cmpx_lt_u32_e64 v26, v16
; %bb.184:
	v_dual_add_f32 v27, 0, v24 :: v_dual_add_f32 v28, 0, v23
	s_delay_alu instid0(VALU_DEP_1) | instskip(NEXT) | instid1(VALU_DEP_2)
	v_ashrrev_i32_e32 v29, 31, v27
	v_ashrrev_i32_e32 v30, 31, v28
	s_delay_alu instid0(VALU_DEP_2) | instskip(NEXT) | instid1(VALU_DEP_2)
	v_or_b32_e32 v29, 0x80000000, v29
	v_or_b32_e32 v30, 0x80000000, v30
	s_delay_alu instid0(VALU_DEP_2) | instskip(NEXT) | instid1(VALU_DEP_2)
	v_xor_b32_e32 v27, v29, v27
	v_xor_b32_e32 v28, v30, v28
	s_delay_alu instid0(VALU_DEP_1) | instskip(NEXT) | instid1(VALU_DEP_1)
	v_cmp_le_u32_e64 s7, v27, v28
	s_and_b32 s16, s7, exec_lo
; %bb.185:
	s_or_b32 exec_lo, exec_lo, s14
	s_delay_alu instid0(SALU_CYCLE_1)
	s_or_not1_b32 s14, s16, exec_lo
.LBB1445_186:
	s_or_b32 exec_lo, exec_lo, s15
	v_cndmask_b32_e64 v27, v25, v26, s14
	v_cndmask_b32_e64 v28, v17, v16, s14
	s_mov_b32 s15, exec_lo
	s_delay_alu instid0(VALU_DEP_2) | instskip(NEXT) | instid1(VALU_DEP_2)
	v_add_nc_u32_e32 v29, 1, v27
	v_add_nc_u32_e32 v28, -1, v28
	v_lshl_add_u32 v27, v27, 3, v18
	s_delay_alu instid0(VALU_DEP_2)
	v_min_u32_e32 v28, v29, v28
	ds_load_b64 v[70:71], v27 offset:8192
	v_cndmask_b32_e64 v27, v29, v25, s14
	v_lshl_add_u32 v28, v28, 2, v19
	ds_load_b32 v30, v28
	v_cndmask_b32_e64 v28, v26, v29, s14
	s_waitcnt lgkmcnt(0)
	v_cndmask_b32_e64 v25, v30, v23, s14
	v_cndmask_b32_e64 v26, v24, v30, s14
	v_cmpx_lt_u32_e64 v27, v17
	s_cbranch_execz .LBB1445_190
; %bb.187:
	s_mov_b32 s16, 0
	s_mov_b32 s13, exec_lo
	v_cmpx_lt_u32_e64 v28, v16
; %bb.188:
	v_dual_add_f32 v29, 0, v26 :: v_dual_add_f32 v30, 0, v25
	s_delay_alu instid0(VALU_DEP_1) | instskip(NEXT) | instid1(VALU_DEP_2)
	v_ashrrev_i32_e32 v31, 31, v29
	v_ashrrev_i32_e32 v32, 31, v30
	s_delay_alu instid0(VALU_DEP_2) | instskip(NEXT) | instid1(VALU_DEP_2)
	v_or_b32_e32 v31, 0x80000000, v31
	v_or_b32_e32 v32, 0x80000000, v32
	s_delay_alu instid0(VALU_DEP_2) | instskip(NEXT) | instid1(VALU_DEP_2)
	v_xor_b32_e32 v29, v31, v29
	v_xor_b32_e32 v30, v32, v30
	s_delay_alu instid0(VALU_DEP_1) | instskip(NEXT) | instid1(VALU_DEP_1)
	v_cmp_le_u32_e64 s7, v29, v30
	s_and_b32 s16, s7, exec_lo
; %bb.189:
	s_or_b32 exec_lo, exec_lo, s13
	s_delay_alu instid0(SALU_CYCLE_1)
	s_or_not1_b32 s13, s16, exec_lo
.LBB1445_190:
	s_or_b32 exec_lo, exec_lo, s15
	v_cndmask_b32_e64 v29, v27, v28, s13
	v_cndmask_b32_e64 v30, v17, v16, s13
	s_mov_b32 s15, -1
	s_mov_b32 s16, -1
	s_mov_b32 s17, exec_lo
	v_add_nc_u32_e32 v31, 1, v29
	v_add_nc_u32_e32 v30, -1, v30
	v_lshl_add_u32 v29, v29, 3, v18
	s_delay_alu instid0(VALU_DEP_2)
	v_min_u32_e32 v30, v31, v30
	ds_load_b64 v[66:67], v29 offset:8192
	v_cndmask_b32_e64 v29, v31, v27, s13
	v_lshl_add_u32 v30, v30, 2, v19
	ds_load_b32 v32, v30
	v_cndmask_b32_e64 v30, v28, v31, s13
	s_waitcnt lgkmcnt(0)
	v_cndmask_b32_e64 v27, v32, v25, s13
	v_cndmask_b32_e64 v28, v26, v32, s13
	v_cmpx_lt_u32_e64 v29, v17
	s_cbranch_execz .LBB1445_194
; %bb.191:
	s_mov_b32 s18, 0
	s_mov_b32 s16, exec_lo
	v_cmpx_lt_u32_e64 v30, v16
; %bb.192:
	v_dual_add_f32 v31, 0, v28 :: v_dual_add_f32 v32, 0, v27
	s_delay_alu instid0(VALU_DEP_1) | instskip(NEXT) | instid1(VALU_DEP_2)
	v_ashrrev_i32_e32 v33, 31, v31
	v_ashrrev_i32_e32 v36, 31, v32
	s_delay_alu instid0(VALU_DEP_2) | instskip(NEXT) | instid1(VALU_DEP_2)
	v_or_b32_e32 v33, 0x80000000, v33
	v_or_b32_e32 v36, 0x80000000, v36
	s_delay_alu instid0(VALU_DEP_2) | instskip(NEXT) | instid1(VALU_DEP_2)
	v_xor_b32_e32 v31, v33, v31
	v_xor_b32_e32 v32, v36, v32
	s_delay_alu instid0(VALU_DEP_1) | instskip(NEXT) | instid1(VALU_DEP_1)
	v_cmp_le_u32_e64 s7, v31, v32
	s_and_b32 s18, s7, exec_lo
; %bb.193:
	s_or_b32 exec_lo, exec_lo, s16
	s_delay_alu instid0(SALU_CYCLE_1)
	s_or_not1_b32 s16, s18, exec_lo
.LBB1445_194:
	s_or_b32 exec_lo, exec_lo, s17
	v_cndmask_b32_e64 v31, v29, v30, s16
	v_cndmask_b32_e64 v32, v17, v16, s16
	s_mov_b32 s17, exec_lo
	s_delay_alu instid0(VALU_DEP_2) | instskip(NEXT) | instid1(VALU_DEP_2)
	v_add_nc_u32_e32 v33, 1, v31
	v_add_nc_u32_e32 v32, -1, v32
	v_lshl_add_u32 v31, v31, 3, v18
	s_delay_alu instid0(VALU_DEP_2)
	v_min_u32_e32 v32, v33, v32
	ds_load_b64 v[64:65], v31 offset:8192
	v_cndmask_b32_e64 v31, v33, v29, s16
	v_lshl_add_u32 v32, v32, 2, v19
	ds_load_b32 v36, v32
	v_cndmask_b32_e64 v32, v30, v33, s16
	s_waitcnt lgkmcnt(0)
	v_cndmask_b32_e64 v29, v36, v27, s16
	v_cndmask_b32_e64 v30, v28, v36, s16
	v_cmpx_lt_u32_e64 v31, v17
	s_cbranch_execz .LBB1445_198
; %bb.195:
	s_mov_b32 s18, 0
	s_mov_b32 s15, exec_lo
	v_cmpx_lt_u32_e64 v32, v16
; %bb.196:
	v_dual_add_f32 v16, 0, v30 :: v_dual_add_f32 v17, 0, v29
	s_delay_alu instid0(VALU_DEP_1) | instskip(NEXT) | instid1(VALU_DEP_2)
	v_ashrrev_i32_e32 v33, 31, v16
	v_ashrrev_i32_e32 v36, 31, v17
	s_delay_alu instid0(VALU_DEP_2) | instskip(NEXT) | instid1(VALU_DEP_2)
	v_or_b32_e32 v33, 0x80000000, v33
	v_or_b32_e32 v36, 0x80000000, v36
	s_delay_alu instid0(VALU_DEP_2) | instskip(NEXT) | instid1(VALU_DEP_2)
	v_xor_b32_e32 v16, v33, v16
	v_xor_b32_e32 v17, v36, v17
	s_delay_alu instid0(VALU_DEP_1) | instskip(NEXT) | instid1(VALU_DEP_1)
	v_cmp_le_u32_e64 s7, v16, v17
	s_and_b32 s18, s7, exec_lo
; %bb.197:
	s_or_b32 exec_lo, exec_lo, s15
	s_delay_alu instid0(SALU_CYCLE_1)
	s_or_not1_b32 s15, s18, exec_lo
.LBB1445_198:
	s_or_b32 exec_lo, exec_lo, s17
	v_cndmask_b32_e64 v16, v31, v32, s15
	v_cndmask_b32_e64 v8, v9, v8, s10
	v_cndmask_b32_e64 v9, v10, v11, s8
	v_cndmask_b32_e64 v10, v12, v13, s12
	v_cndmask_b32_e64 v11, v14, v15, s11
	v_lshl_add_u32 v16, v16, 3, v18
	v_cndmask_b32_e64 v12, v23, v24, s14
	v_cndmask_b32_e64 v13, v25, v26, s13
	;; [unrolled: 1-line block ×4, first 2 shown]
	ds_load_b64 v[50:51], v16 offset:8192
.LBB1445_199:
	s_or_b32 exec_lo, exec_lo, s9
	v_and_b32_e32 v23, 0x80, v85
	v_min_u32_e32 v24, v21, v84
	; wave barrier
	ds_store_2addr_b64 v20, v[4:5], v[34:35] offset1:1
	ds_store_2addr_b64 v20, v[68:69], v[52:53] offset0:2 offset1:3
	ds_store_2addr_b64 v22, v[8:9], v[10:11] offset1:1
	ds_store_2addr_b64 v22, v[12:13], v[14:15] offset0:2 offset1:3
	v_or_b32_e32 v16, 64, v23
	v_lshl_add_u32 v22, v23, 2, v19
	s_mov_b32 s8, exec_lo
	ds_store_2addr_b64 v20, v[70:71], v[66:67] offset0:4 offset1:5
	s_waitcnt lgkmcnt(5)
	ds_store_2addr_b64 v20, v[64:65], v[50:51] offset0:6 offset1:7
	v_min_u32_e32 v16, v21, v16
	; wave barrier
	s_delay_alu instid0(VALU_DEP_1) | instskip(NEXT) | instid1(VALU_DEP_1)
	v_add_nc_u32_e32 v17, 64, v16
	v_min_u32_e32 v17, v21, v17
	v_sub_nc_u32_e32 v21, v16, v23
	s_delay_alu instid0(VALU_DEP_2) | instskip(NEXT) | instid1(VALU_DEP_2)
	v_sub_nc_u32_e32 v26, v17, v16
	v_min_u32_e32 v25, v24, v21
	s_delay_alu instid0(VALU_DEP_2) | instskip(NEXT) | instid1(VALU_DEP_1)
	v_sub_nc_u32_e64 v21, v24, v26 clamp
	v_cmpx_lt_u32_e64 v21, v25
	s_cbranch_execz .LBB1445_203
; %bb.200:
	v_lshlrev_b32_e32 v20, 2, v16
	v_lshlrev_b32_e32 v26, 2, v24
	s_mov_b32 s9, 0
	s_delay_alu instid0(VALU_DEP_1)
	v_add3_u32 v20, v19, v20, v26
	s_set_inst_prefetch_distance 0x1
	.p2align	6
.LBB1445_201:                           ; =>This Inner Loop Header: Depth=1
	v_add_nc_u32_e32 v26, v25, v21
	s_delay_alu instid0(VALU_DEP_1) | instskip(NEXT) | instid1(VALU_DEP_1)
	v_lshrrev_b32_e32 v26, 1, v26
	v_not_b32_e32 v27, v26
	v_lshl_add_u32 v28, v26, 2, v22
	s_delay_alu instid0(VALU_DEP_2) | instskip(SKIP_4) | instid1(VALU_DEP_1)
	v_lshl_add_u32 v27, v27, 2, v20
	ds_load_b32 v28, v28
	ds_load_b32 v27, v27
	s_waitcnt lgkmcnt(0)
	v_dual_add_f32 v28, 0, v28 :: v_dual_add_f32 v27, 0, v27
	v_ashrrev_i32_e32 v29, 31, v28
	s_delay_alu instid0(VALU_DEP_2) | instskip(NEXT) | instid1(VALU_DEP_2)
	v_ashrrev_i32_e32 v30, 31, v27
	v_or_b32_e32 v29, 0x80000000, v29
	s_delay_alu instid0(VALU_DEP_2) | instskip(NEXT) | instid1(VALU_DEP_2)
	v_or_b32_e32 v30, 0x80000000, v30
	v_xor_b32_e32 v28, v29, v28
	v_add_nc_u32_e32 v29, 1, v26
	s_delay_alu instid0(VALU_DEP_3) | instskip(NEXT) | instid1(VALU_DEP_1)
	v_xor_b32_e32 v27, v30, v27
	v_cmp_gt_u32_e64 s7, v28, v27
	s_delay_alu instid0(VALU_DEP_1) | instskip(NEXT) | instid1(VALU_DEP_4)
	v_cndmask_b32_e64 v25, v25, v26, s7
	v_cndmask_b32_e64 v21, v29, v21, s7
	s_delay_alu instid0(VALU_DEP_1) | instskip(NEXT) | instid1(VALU_DEP_1)
	v_cmp_ge_u32_e64 s7, v21, v25
	s_or_b32 s9, s7, s9
	s_delay_alu instid0(SALU_CYCLE_1)
	s_and_not1_b32 exec_lo, exec_lo, s9
	s_cbranch_execnz .LBB1445_201
; %bb.202:
	s_set_inst_prefetch_distance 0x2
	s_or_b32 exec_lo, exec_lo, s9
.LBB1445_203:
	s_delay_alu instid0(SALU_CYCLE_1) | instskip(SKIP_2) | instid1(VALU_DEP_2)
	s_or_b32 exec_lo, exec_lo, s8
	v_add_nc_u32_e32 v24, v16, v24
	v_add_nc_u32_e32 v20, v21, v23
	v_sub_nc_u32_e32 v23, v24, v21
	s_delay_alu instid0(VALU_DEP_2) | instskip(NEXT) | instid1(VALU_DEP_2)
	v_cmp_le_u32_e64 s7, v20, v16
	v_cmp_le_u32_e64 s8, v23, v17
	s_delay_alu instid0(VALU_DEP_1) | instskip(NEXT) | instid1(SALU_CYCLE_1)
	s_or_b32 s7, s7, s8
	s_and_saveexec_b32 s9, s7
	s_cbranch_execz .LBB1445_239
; %bb.204:
	v_cmp_ge_u32_e64 s7, v20, v16
	s_mov_b32 s10, exec_lo
                                        ; implicit-def: $vgpr8
	v_cmpx_lt_u32_e64 v20, v16
	s_cbranch_execz .LBB1445_206
; %bb.205:
	v_lshl_add_u32 v4, v21, 2, v22
	ds_load_b32 v8, v4
.LBB1445_206:
	s_or_b32 exec_lo, exec_lo, s10
	v_cmp_ge_u32_e64 s10, v23, v17
	s_mov_b32 s11, exec_lo
                                        ; implicit-def: $vgpr9
	v_cmpx_lt_u32_e64 v23, v17
	s_cbranch_execz .LBB1445_208
; %bb.207:
	v_lshl_add_u32 v4, v23, 2, v19
	ds_load_b32 v9, v4
.LBB1445_208:
	s_or_b32 exec_lo, exec_lo, s11
	s_or_b32 s7, s7, s10
	s_mov_b32 s8, -1
	s_xor_b32 s7, s7, -1
	s_delay_alu instid0(SALU_CYCLE_1)
	s_and_saveexec_b32 s11, s7
	s_cbranch_execz .LBB1445_210
; %bb.209:
	s_waitcnt lgkmcnt(0)
	v_dual_add_f32 v4, 0, v8 :: v_dual_add_f32 v5, 0, v9
	s_and_not1_b32 s10, s10, exec_lo
	s_delay_alu instid0(VALU_DEP_1) | instskip(NEXT) | instid1(VALU_DEP_2)
	v_ashrrev_i32_e32 v10, 31, v4
	v_ashrrev_i32_e32 v11, 31, v5
	s_delay_alu instid0(VALU_DEP_2) | instskip(NEXT) | instid1(VALU_DEP_2)
	v_or_b32_e32 v10, 0x80000000, v10
	v_or_b32_e32 v11, 0x80000000, v11
	s_delay_alu instid0(VALU_DEP_2) | instskip(NEXT) | instid1(VALU_DEP_2)
	v_xor_b32_e32 v4, v10, v4
	v_xor_b32_e32 v5, v11, v5
	s_delay_alu instid0(VALU_DEP_1) | instskip(NEXT) | instid1(VALU_DEP_1)
	v_cmp_le_u32_e64 s7, v4, v5
	s_and_b32 s7, s7, exec_lo
	s_delay_alu instid0(SALU_CYCLE_1)
	s_or_b32 s10, s10, s7
.LBB1445_210:
	s_or_b32 exec_lo, exec_lo, s11
	v_cndmask_b32_e64 v4, v23, v20, s10
	v_cndmask_b32_e64 v5, v17, v16, s10
	s_mov_b32 s11, exec_lo
	s_delay_alu instid0(VALU_DEP_2) | instskip(NEXT) | instid1(VALU_DEP_2)
	v_add_nc_u32_e32 v10, 1, v4
	v_add_nc_u32_e32 v5, -1, v5
	v_lshl_add_u32 v4, v4, 3, v18
	s_delay_alu instid0(VALU_DEP_3) | instskip(NEXT) | instid1(VALU_DEP_3)
	v_cndmask_b32_e64 v12, v10, v23, s10
	v_min_u32_e32 v5, v10, v5
	v_cndmask_b32_e64 v13, v20, v10, s10
	s_delay_alu instid0(VALU_DEP_2)
	v_lshl_add_u32 v5, v5, 2, v19
	ds_load_b32 v11, v5
	ds_load_b64 v[4:5], v4 offset:8192
	s_waitcnt lgkmcnt(1)
	v_cndmask_b32_e64 v10, v11, v9, s10
	v_cndmask_b32_e64 v11, v8, v11, s10
	v_cmpx_lt_u32_e64 v12, v17
	s_cbranch_execz .LBB1445_214
; %bb.211:
	s_mov_b32 s12, 0
	s_mov_b32 s8, exec_lo
	v_cmpx_lt_u32_e64 v13, v16
; %bb.212:
	v_dual_add_f32 v14, 0, v11 :: v_dual_add_f32 v15, 0, v10
	s_delay_alu instid0(VALU_DEP_1) | instskip(NEXT) | instid1(VALU_DEP_2)
	v_ashrrev_i32_e32 v20, 31, v14
	v_ashrrev_i32_e32 v21, 31, v15
	s_delay_alu instid0(VALU_DEP_2) | instskip(NEXT) | instid1(VALU_DEP_2)
	v_or_b32_e32 v20, 0x80000000, v20
	v_or_b32_e32 v21, 0x80000000, v21
	s_delay_alu instid0(VALU_DEP_2) | instskip(NEXT) | instid1(VALU_DEP_2)
	v_xor_b32_e32 v14, v20, v14
	v_xor_b32_e32 v15, v21, v15
	s_delay_alu instid0(VALU_DEP_1) | instskip(NEXT) | instid1(VALU_DEP_1)
	v_cmp_le_u32_e64 s7, v14, v15
	s_and_b32 s12, s7, exec_lo
; %bb.213:
	s_or_b32 exec_lo, exec_lo, s8
	s_delay_alu instid0(SALU_CYCLE_1)
	s_or_not1_b32 s8, s12, exec_lo
.LBB1445_214:
	s_or_b32 exec_lo, exec_lo, s11
	v_cndmask_b32_e64 v14, v12, v13, s8
	v_cndmask_b32_e64 v15, v17, v16, s8
	s_mov_b32 s11, -1
	s_mov_b32 s12, -1
	s_mov_b32 s13, exec_lo
	v_add_nc_u32_e32 v20, 1, v14
	v_add_nc_u32_e32 v15, -1, v15
	v_lshl_add_u32 v14, v14, 3, v18
	s_delay_alu instid0(VALU_DEP_2)
	v_min_u32_e32 v15, v20, v15
	ds_load_b64 v[34:35], v14 offset:8192
	v_cndmask_b32_e64 v14, v20, v12, s8
	v_lshl_add_u32 v15, v15, 2, v19
	ds_load_b32 v21, v15
	v_cndmask_b32_e64 v15, v13, v20, s8
	s_waitcnt lgkmcnt(0)
	v_cndmask_b32_e64 v12, v21, v10, s8
	v_cndmask_b32_e64 v13, v11, v21, s8
	v_cmpx_lt_u32_e64 v14, v17
	s_cbranch_execz .LBB1445_218
; %bb.215:
	s_mov_b32 s14, 0
	s_mov_b32 s12, exec_lo
	v_cmpx_lt_u32_e64 v15, v16
; %bb.216:
	v_dual_add_f32 v20, 0, v13 :: v_dual_add_f32 v21, 0, v12
	s_delay_alu instid0(VALU_DEP_1) | instskip(NEXT) | instid1(VALU_DEP_2)
	v_ashrrev_i32_e32 v22, 31, v20
	v_ashrrev_i32_e32 v23, 31, v21
	s_delay_alu instid0(VALU_DEP_2) | instskip(NEXT) | instid1(VALU_DEP_2)
	v_or_b32_e32 v22, 0x80000000, v22
	v_or_b32_e32 v23, 0x80000000, v23
	s_delay_alu instid0(VALU_DEP_2) | instskip(NEXT) | instid1(VALU_DEP_2)
	v_xor_b32_e32 v20, v22, v20
	v_xor_b32_e32 v21, v23, v21
	s_delay_alu instid0(VALU_DEP_1) | instskip(NEXT) | instid1(VALU_DEP_1)
	v_cmp_le_u32_e64 s7, v20, v21
	s_and_b32 s14, s7, exec_lo
; %bb.217:
	s_or_b32 exec_lo, exec_lo, s12
	s_delay_alu instid0(SALU_CYCLE_1)
	s_or_not1_b32 s12, s14, exec_lo
.LBB1445_218:
	s_or_b32 exec_lo, exec_lo, s13
	v_cndmask_b32_e64 v20, v14, v15, s12
	v_cndmask_b32_e64 v21, v17, v16, s12
	s_mov_b32 s13, exec_lo
	s_delay_alu instid0(VALU_DEP_2) | instskip(NEXT) | instid1(VALU_DEP_2)
	v_add_nc_u32_e32 v22, 1, v20
	v_add_nc_u32_e32 v21, -1, v21
	v_lshl_add_u32 v20, v20, 3, v18
	s_delay_alu instid0(VALU_DEP_2)
	v_min_u32_e32 v21, v22, v21
	ds_load_b64 v[68:69], v20 offset:8192
	v_cndmask_b32_e64 v20, v22, v14, s12
	v_lshl_add_u32 v21, v21, 2, v19
	ds_load_b32 v23, v21
	v_cndmask_b32_e64 v21, v15, v22, s12
	s_waitcnt lgkmcnt(0)
	v_cndmask_b32_e64 v14, v23, v12, s12
	v_cndmask_b32_e64 v15, v13, v23, s12
	v_cmpx_lt_u32_e64 v20, v17
	s_cbranch_execz .LBB1445_222
; %bb.219:
	s_mov_b32 s14, 0
	s_mov_b32 s11, exec_lo
	v_cmpx_lt_u32_e64 v21, v16
; %bb.220:
	v_dual_add_f32 v22, 0, v15 :: v_dual_add_f32 v23, 0, v14
	s_delay_alu instid0(VALU_DEP_1) | instskip(NEXT) | instid1(VALU_DEP_2)
	v_ashrrev_i32_e32 v24, 31, v22
	v_ashrrev_i32_e32 v25, 31, v23
	s_delay_alu instid0(VALU_DEP_2) | instskip(NEXT) | instid1(VALU_DEP_2)
	v_or_b32_e32 v24, 0x80000000, v24
	v_or_b32_e32 v25, 0x80000000, v25
	s_delay_alu instid0(VALU_DEP_2) | instskip(NEXT) | instid1(VALU_DEP_2)
	v_xor_b32_e32 v22, v24, v22
	v_xor_b32_e32 v23, v25, v23
	s_delay_alu instid0(VALU_DEP_1) | instskip(NEXT) | instid1(VALU_DEP_1)
	v_cmp_le_u32_e64 s7, v22, v23
	s_and_b32 s14, s7, exec_lo
; %bb.221:
	s_or_b32 exec_lo, exec_lo, s11
	s_delay_alu instid0(SALU_CYCLE_1)
	s_or_not1_b32 s11, s14, exec_lo
.LBB1445_222:
	s_or_b32 exec_lo, exec_lo, s13
	v_cndmask_b32_e64 v22, v20, v21, s11
	v_cndmask_b32_e64 v23, v17, v16, s11
	s_mov_b32 s13, -1
	s_mov_b32 s14, -1
	s_mov_b32 s15, exec_lo
	v_add_nc_u32_e32 v24, 1, v22
	v_add_nc_u32_e32 v23, -1, v23
	v_lshl_add_u32 v22, v22, 3, v18
	s_delay_alu instid0(VALU_DEP_2)
	v_min_u32_e32 v23, v24, v23
	ds_load_b64 v[52:53], v22 offset:8192
	v_cndmask_b32_e64 v22, v24, v20, s11
	v_lshl_add_u32 v23, v23, 2, v19
	ds_load_b32 v25, v23
	v_cndmask_b32_e64 v23, v21, v24, s11
	s_waitcnt lgkmcnt(0)
	v_cndmask_b32_e64 v20, v25, v14, s11
	v_cndmask_b32_e64 v21, v15, v25, s11
	v_cmpx_lt_u32_e64 v22, v17
	s_cbranch_execz .LBB1445_226
; %bb.223:
	s_mov_b32 s16, 0
	s_mov_b32 s14, exec_lo
	v_cmpx_lt_u32_e64 v23, v16
; %bb.224:
	v_dual_add_f32 v24, 0, v21 :: v_dual_add_f32 v25, 0, v20
	s_delay_alu instid0(VALU_DEP_1) | instskip(NEXT) | instid1(VALU_DEP_2)
	v_ashrrev_i32_e32 v26, 31, v24
	v_ashrrev_i32_e32 v27, 31, v25
	s_delay_alu instid0(VALU_DEP_2) | instskip(NEXT) | instid1(VALU_DEP_2)
	v_or_b32_e32 v26, 0x80000000, v26
	v_or_b32_e32 v27, 0x80000000, v27
	s_delay_alu instid0(VALU_DEP_2) | instskip(NEXT) | instid1(VALU_DEP_2)
	v_xor_b32_e32 v24, v26, v24
	v_xor_b32_e32 v25, v27, v25
	s_delay_alu instid0(VALU_DEP_1) | instskip(NEXT) | instid1(VALU_DEP_1)
	v_cmp_le_u32_e64 s7, v24, v25
	s_and_b32 s16, s7, exec_lo
; %bb.225:
	s_or_b32 exec_lo, exec_lo, s14
	s_delay_alu instid0(SALU_CYCLE_1)
	s_or_not1_b32 s14, s16, exec_lo
.LBB1445_226:
	s_or_b32 exec_lo, exec_lo, s15
	v_cndmask_b32_e64 v24, v22, v23, s14
	v_cndmask_b32_e64 v25, v17, v16, s14
	s_mov_b32 s15, exec_lo
	s_delay_alu instid0(VALU_DEP_2) | instskip(NEXT) | instid1(VALU_DEP_2)
	v_add_nc_u32_e32 v26, 1, v24
	v_add_nc_u32_e32 v25, -1, v25
	v_lshl_add_u32 v24, v24, 3, v18
	s_delay_alu instid0(VALU_DEP_2)
	v_min_u32_e32 v25, v26, v25
	ds_load_b64 v[70:71], v24 offset:8192
	v_cndmask_b32_e64 v24, v26, v22, s14
	v_lshl_add_u32 v25, v25, 2, v19
	ds_load_b32 v27, v25
	v_cndmask_b32_e64 v25, v23, v26, s14
	s_waitcnt lgkmcnt(0)
	v_cndmask_b32_e64 v22, v27, v20, s14
	v_cndmask_b32_e64 v23, v21, v27, s14
	v_cmpx_lt_u32_e64 v24, v17
	s_cbranch_execz .LBB1445_230
; %bb.227:
	s_mov_b32 s16, 0
	s_mov_b32 s13, exec_lo
	v_cmpx_lt_u32_e64 v25, v16
; %bb.228:
	v_dual_add_f32 v26, 0, v23 :: v_dual_add_f32 v27, 0, v22
	s_delay_alu instid0(VALU_DEP_1) | instskip(NEXT) | instid1(VALU_DEP_2)
	v_ashrrev_i32_e32 v28, 31, v26
	v_ashrrev_i32_e32 v29, 31, v27
	s_delay_alu instid0(VALU_DEP_2) | instskip(NEXT) | instid1(VALU_DEP_2)
	v_or_b32_e32 v28, 0x80000000, v28
	v_or_b32_e32 v29, 0x80000000, v29
	s_delay_alu instid0(VALU_DEP_2) | instskip(NEXT) | instid1(VALU_DEP_2)
	v_xor_b32_e32 v26, v28, v26
	v_xor_b32_e32 v27, v29, v27
	s_delay_alu instid0(VALU_DEP_1) | instskip(NEXT) | instid1(VALU_DEP_1)
	v_cmp_le_u32_e64 s7, v26, v27
	s_and_b32 s16, s7, exec_lo
; %bb.229:
	s_or_b32 exec_lo, exec_lo, s13
	s_delay_alu instid0(SALU_CYCLE_1)
	s_or_not1_b32 s13, s16, exec_lo
.LBB1445_230:
	s_or_b32 exec_lo, exec_lo, s15
	v_cndmask_b32_e64 v26, v24, v25, s13
	v_cndmask_b32_e64 v27, v17, v16, s13
	s_mov_b32 s15, -1
	s_mov_b32 s16, -1
	s_mov_b32 s17, exec_lo
	v_add_nc_u32_e32 v28, 1, v26
	v_add_nc_u32_e32 v27, -1, v27
	v_lshl_add_u32 v26, v26, 3, v18
	s_delay_alu instid0(VALU_DEP_2)
	v_min_u32_e32 v27, v28, v27
	ds_load_b64 v[66:67], v26 offset:8192
	v_cndmask_b32_e64 v26, v28, v24, s13
	v_lshl_add_u32 v27, v27, 2, v19
	ds_load_b32 v29, v27
	v_cndmask_b32_e64 v27, v25, v28, s13
	s_waitcnt lgkmcnt(0)
	v_cndmask_b32_e64 v24, v29, v22, s13
	v_cndmask_b32_e64 v25, v23, v29, s13
	v_cmpx_lt_u32_e64 v26, v17
	s_cbranch_execz .LBB1445_234
; %bb.231:
	s_mov_b32 s18, 0
	s_mov_b32 s16, exec_lo
	v_cmpx_lt_u32_e64 v27, v16
; %bb.232:
	v_dual_add_f32 v28, 0, v25 :: v_dual_add_f32 v29, 0, v24
	s_delay_alu instid0(VALU_DEP_1) | instskip(NEXT) | instid1(VALU_DEP_2)
	v_ashrrev_i32_e32 v30, 31, v28
	v_ashrrev_i32_e32 v31, 31, v29
	s_delay_alu instid0(VALU_DEP_2) | instskip(NEXT) | instid1(VALU_DEP_2)
	v_or_b32_e32 v30, 0x80000000, v30
	v_or_b32_e32 v31, 0x80000000, v31
	s_delay_alu instid0(VALU_DEP_2) | instskip(NEXT) | instid1(VALU_DEP_2)
	v_xor_b32_e32 v28, v30, v28
	v_xor_b32_e32 v29, v31, v29
	s_delay_alu instid0(VALU_DEP_1) | instskip(NEXT) | instid1(VALU_DEP_1)
	v_cmp_le_u32_e64 s7, v28, v29
	s_and_b32 s18, s7, exec_lo
; %bb.233:
	s_or_b32 exec_lo, exec_lo, s16
	s_delay_alu instid0(SALU_CYCLE_1)
	s_or_not1_b32 s16, s18, exec_lo
.LBB1445_234:
	s_or_b32 exec_lo, exec_lo, s17
	v_cndmask_b32_e64 v28, v26, v27, s16
	v_cndmask_b32_e64 v29, v17, v16, s16
	s_mov_b32 s17, exec_lo
	s_delay_alu instid0(VALU_DEP_2) | instskip(NEXT) | instid1(VALU_DEP_2)
	v_add_nc_u32_e32 v30, 1, v28
	v_add_nc_u32_e32 v29, -1, v29
	s_delay_alu instid0(VALU_DEP_2) | instskip(NEXT) | instid1(VALU_DEP_2)
	v_cndmask_b32_e64 v27, v27, v30, s16
	v_min_u32_e32 v29, v30, v29
	s_delay_alu instid0(VALU_DEP_1)
	v_lshl_add_u32 v19, v29, 2, v19
	ds_load_b32 v29, v19
	v_lshl_add_u32 v19, v28, 3, v18
	v_cndmask_b32_e64 v28, v30, v26, s16
	ds_load_b64 v[64:65], v19 offset:8192
	s_waitcnt lgkmcnt(1)
	v_cndmask_b32_e64 v19, v29, v24, s16
	v_cndmask_b32_e64 v26, v25, v29, s16
	v_cmpx_lt_u32_e64 v28, v17
	s_cbranch_execz .LBB1445_238
; %bb.235:
	s_mov_b32 s18, 0
	s_mov_b32 s15, exec_lo
	v_cmpx_lt_u32_e64 v27, v16
; %bb.236:
	v_dual_add_f32 v16, 0, v26 :: v_dual_add_f32 v17, 0, v19
	s_delay_alu instid0(VALU_DEP_1) | instskip(NEXT) | instid1(VALU_DEP_2)
	v_ashrrev_i32_e32 v29, 31, v16
	v_ashrrev_i32_e32 v30, 31, v17
	s_delay_alu instid0(VALU_DEP_2) | instskip(NEXT) | instid1(VALU_DEP_2)
	v_or_b32_e32 v29, 0x80000000, v29
	v_or_b32_e32 v30, 0x80000000, v30
	s_delay_alu instid0(VALU_DEP_2) | instskip(NEXT) | instid1(VALU_DEP_2)
	v_xor_b32_e32 v16, v29, v16
	v_xor_b32_e32 v17, v30, v17
	s_delay_alu instid0(VALU_DEP_1) | instskip(NEXT) | instid1(VALU_DEP_1)
	v_cmp_le_u32_e64 s7, v16, v17
	s_and_b32 s18, s7, exec_lo
; %bb.237:
	s_or_b32 exec_lo, exec_lo, s15
	s_delay_alu instid0(SALU_CYCLE_1)
	s_or_not1_b32 s15, s18, exec_lo
.LBB1445_238:
	s_or_b32 exec_lo, exec_lo, s17
	v_cndmask_b32_e64 v16, v28, v27, s15
	v_cndmask_b32_e64 v8, v9, v8, s10
	;; [unrolled: 1-line block ×5, first 2 shown]
	v_lshl_add_u32 v16, v16, 3, v18
	v_cndmask_b32_e64 v12, v20, v21, s14
	v_cndmask_b32_e64 v13, v22, v23, s13
	;; [unrolled: 1-line block ×4, first 2 shown]
	ds_load_b64 v[50:51], v16 offset:8192
.LBB1445_239:
	s_or_b32 exec_lo, exec_lo, s9
	v_add_co_u32 v2, s7, v2, v54
	s_delay_alu instid0(VALU_DEP_1) | instskip(NEXT) | instid1(VALU_DEP_2)
	v_add_co_ci_u32_e64 v3, s7, v3, v55, s7
	v_add_co_u32 v2, s7, v2, v82
	s_delay_alu instid0(VALU_DEP_1)
	v_add_co_ci_u32_e64 v3, s7, 0, v3, s7
	; wave barrier
	s_waitcnt lgkmcnt(0)
	s_waitcnt_vscnt null, 0x0
	s_barrier
	buffer_gl0_inv
	; wave barrier
	s_and_saveexec_b32 s7, vcc_lo
	s_cbranch_execnz .LBB1445_264
; %bb.240:
	s_or_b32 exec_lo, exec_lo, s7
	s_and_saveexec_b32 s7, s0
	s_cbranch_execnz .LBB1445_265
.LBB1445_241:
	s_or_b32 exec_lo, exec_lo, s7
	s_and_saveexec_b32 s7, s1
	s_cbranch_execnz .LBB1445_266
.LBB1445_242:
	s_or_b32 exec_lo, exec_lo, s7
	s_and_saveexec_b32 s7, s2
	s_cbranch_execnz .LBB1445_267
.LBB1445_243:
	s_or_b32 exec_lo, exec_lo, s7
	s_and_saveexec_b32 s7, s3
	s_cbranch_execnz .LBB1445_268
.LBB1445_244:
	s_or_b32 exec_lo, exec_lo, s7
	s_and_saveexec_b32 s7, s4
	s_cbranch_execnz .LBB1445_269
.LBB1445_245:
	s_or_b32 exec_lo, exec_lo, s7
	s_and_saveexec_b32 s7, s5
	s_cbranch_execnz .LBB1445_270
.LBB1445_246:
	s_or_b32 exec_lo, exec_lo, s7
	s_and_saveexec_b32 s7, s6
	s_cbranch_execz .LBB1445_248
.LBB1445_247:
	flat_store_b32 v[2:3], v15 offset:28
.LBB1445_248:
	s_or_b32 exec_lo, exec_lo, s7
	v_add_co_u32 v0, s7, v6, v0
	s_delay_alu instid0(VALU_DEP_1) | instskip(NEXT) | instid1(VALU_DEP_2)
	v_add_co_ci_u32_e64 v1, s7, v7, v1, s7
	v_add_co_u32 v0, s7, v0, v83
	s_delay_alu instid0(VALU_DEP_1)
	v_add_co_ci_u32_e64 v1, s7, 0, v1, s7
	; wave barrier
	s_and_saveexec_b32 s7, vcc_lo
	s_cbranch_execnz .LBB1445_271
; %bb.249:
	s_or_b32 exec_lo, exec_lo, s7
	s_and_saveexec_b32 s7, s0
	s_cbranch_execnz .LBB1445_272
.LBB1445_250:
	s_or_b32 exec_lo, exec_lo, s7
	s_and_saveexec_b32 s0, s1
	s_cbranch_execnz .LBB1445_273
.LBB1445_251:
	s_or_b32 exec_lo, exec_lo, s0
	s_and_saveexec_b32 s0, s2
	s_cbranch_execnz .LBB1445_274
.LBB1445_252:
	s_or_b32 exec_lo, exec_lo, s0
	s_and_saveexec_b32 s0, s3
	s_cbranch_execnz .LBB1445_275
.LBB1445_253:
	s_or_b32 exec_lo, exec_lo, s0
	s_and_saveexec_b32 s0, s4
	s_cbranch_execnz .LBB1445_276
.LBB1445_254:
	s_or_b32 exec_lo, exec_lo, s0
	s_and_saveexec_b32 s0, s5
	s_cbranch_execnz .LBB1445_277
.LBB1445_255:
	s_or_b32 exec_lo, exec_lo, s0
	s_and_saveexec_b32 s0, s6
	s_cbranch_execnz .LBB1445_278
.LBB1445_256:
	s_or_b32 exec_lo, exec_lo, s0
	s_waitcnt lgkmcnt(0)
	s_setpc_b64 s[30:31]
.LBB1445_257:
	flat_load_b64 v[4:5], v[8:9]
	s_or_b32 exec_lo, exec_lo, s7
	s_and_saveexec_b32 s7, s0
                                        ; implicit-def: $vgpr32_vgpr33_vgpr34_vgpr35
	s_cbranch_execz .LBB1445_18
.LBB1445_258:
	flat_load_b64 v[34:35], v[8:9] offset:8
	s_or_b32 exec_lo, exec_lo, s7
                                        ; implicit-def: $vgpr68_vgpr69
	s_and_saveexec_b32 s7, s1
	s_cbranch_execz .LBB1445_19
.LBB1445_259:
	flat_load_b64 v[68:69], v[8:9] offset:16
	s_or_b32 exec_lo, exec_lo, s7
	s_and_saveexec_b32 s7, s2
                                        ; implicit-def: $vgpr50_vgpr51_vgpr52_vgpr53
	s_cbranch_execz .LBB1445_20
.LBB1445_260:
	flat_load_b64 v[52:53], v[8:9] offset:24
	s_or_b32 exec_lo, exec_lo, s7
                                        ; implicit-def: $vgpr70_vgpr71
	s_and_saveexec_b32 s7, s3
	s_cbranch_execz .LBB1445_21
.LBB1445_261:
	flat_load_b64 v[70:71], v[8:9] offset:32
	s_or_b32 exec_lo, exec_lo, s7
	s_and_saveexec_b32 s7, s4
                                        ; implicit-def: $vgpr64_vgpr65_vgpr66_vgpr67
	s_cbranch_execz .LBB1445_22
.LBB1445_262:
	flat_load_b64 v[66:67], v[8:9] offset:40
	s_or_b32 exec_lo, exec_lo, s7
                                        ; implicit-def: $vgpr64_vgpr65
	s_and_saveexec_b32 s7, s5
	s_cbranch_execz .LBB1445_23
.LBB1445_263:
	flat_load_b64 v[64:65], v[8:9] offset:48
	s_or_b32 exec_lo, exec_lo, s7
	s_and_saveexec_b32 s7, s6
                                        ; implicit-def: $vgpr48_vgpr49_vgpr50_vgpr51
	s_cbranch_execnz .LBB1445_24
	s_branch .LBB1445_25
.LBB1445_264:
	flat_store_b32 v[2:3], v8
	s_or_b32 exec_lo, exec_lo, s7
	s_and_saveexec_b32 s7, s0
	s_cbranch_execz .LBB1445_241
.LBB1445_265:
	flat_store_b32 v[2:3], v9 offset:4
	s_or_b32 exec_lo, exec_lo, s7
	s_and_saveexec_b32 s7, s1
	s_cbranch_execz .LBB1445_242
.LBB1445_266:
	flat_store_b32 v[2:3], v10 offset:8
	s_or_b32 exec_lo, exec_lo, s7
	s_and_saveexec_b32 s7, s2
	s_cbranch_execz .LBB1445_243
.LBB1445_267:
	flat_store_b32 v[2:3], v11 offset:12
	s_or_b32 exec_lo, exec_lo, s7
	s_and_saveexec_b32 s7, s3
	s_cbranch_execz .LBB1445_244
.LBB1445_268:
	flat_store_b32 v[2:3], v12 offset:16
	s_or_b32 exec_lo, exec_lo, s7
	s_and_saveexec_b32 s7, s4
	s_cbranch_execz .LBB1445_245
.LBB1445_269:
	flat_store_b32 v[2:3], v13 offset:20
	s_or_b32 exec_lo, exec_lo, s7
	s_and_saveexec_b32 s7, s5
	s_cbranch_execz .LBB1445_246
.LBB1445_270:
	flat_store_b32 v[2:3], v14 offset:24
	s_or_b32 exec_lo, exec_lo, s7
	s_and_saveexec_b32 s7, s6
	s_cbranch_execnz .LBB1445_247
	s_branch .LBB1445_248
.LBB1445_271:
	flat_store_b64 v[0:1], v[4:5]
	s_or_b32 exec_lo, exec_lo, s7
	s_and_saveexec_b32 s7, s0
	s_cbranch_execz .LBB1445_250
.LBB1445_272:
	flat_store_b64 v[0:1], v[34:35] offset:8
	s_or_b32 exec_lo, exec_lo, s7
	s_and_saveexec_b32 s0, s1
	s_cbranch_execz .LBB1445_251
.LBB1445_273:
	flat_store_b64 v[0:1], v[68:69] offset:16
	s_or_b32 exec_lo, exec_lo, s0
	s_and_saveexec_b32 s0, s2
	s_cbranch_execz .LBB1445_252
.LBB1445_274:
	flat_store_b64 v[0:1], v[52:53] offset:24
	s_or_b32 exec_lo, exec_lo, s0
	s_and_saveexec_b32 s0, s3
	s_cbranch_execz .LBB1445_253
.LBB1445_275:
	flat_store_b64 v[0:1], v[70:71] offset:32
	s_or_b32 exec_lo, exec_lo, s0
	s_and_saveexec_b32 s0, s4
	s_cbranch_execz .LBB1445_254
.LBB1445_276:
	flat_store_b64 v[0:1], v[66:67] offset:40
	s_or_b32 exec_lo, exec_lo, s0
	s_and_saveexec_b32 s0, s5
	s_cbranch_execz .LBB1445_255
.LBB1445_277:
	flat_store_b64 v[0:1], v[64:65] offset:48
	s_or_b32 exec_lo, exec_lo, s0
	s_and_saveexec_b32 s0, s6
	s_cbranch_execz .LBB1445_256
.LBB1445_278:
	flat_store_b64 v[0:1], v[50:51] offset:56
	s_or_b32 exec_lo, exec_lo, s0
	s_waitcnt lgkmcnt(0)
	s_setpc_b64 s[30:31]
.Lfunc_end1445:
	.size	_ZN7rocprim17ROCPRIM_400000_NS6detail26segmented_warp_sort_helperINS1_20WarpSortHelperConfigILj16ELj8ELj256EEEflLi256ELb0EvE4sortIPKfPfPKlPlEEvT_T0_T1_T2_jjjjRNS5_12storage_typeE, .Lfunc_end1445-_ZN7rocprim17ROCPRIM_400000_NS6detail26segmented_warp_sort_helperINS1_20WarpSortHelperConfigILj16ELj8ELj256EEEflLi256ELb0EvE4sortIPKfPfPKlPlEEvT_T0_T1_T2_jjjjRNS5_12storage_typeE
                                        ; -- End function
	.section	.AMDGPU.csdata,"",@progbits
; Function info:
; codeLenInByte = 14048
; NumSgprs: 34
; NumVgprs: 88
; ScratchSize: 0
; MemoryBound: 0
	.section	.text._ZN7rocprim17ROCPRIM_400000_NS6detail17trampoline_kernelINS0_14default_configENS1_36segmented_radix_sort_config_selectorIflEEZNS1_25segmented_radix_sort_implIS3_Lb0EPKfPfPKlPlN2at6native12_GLOBAL__N_18offset_tEEE10hipError_tPvRmT1_PNSt15iterator_traitsISK_E10value_typeET2_T3_PNSL_ISQ_E10value_typeET4_jRbjT5_SW_jjP12ihipStream_tbEUlT_E0_NS1_11comp_targetILNS1_3genE9ELNS1_11target_archE1100ELNS1_3gpuE3ELNS1_3repE0EEENS1_60segmented_radix_sort_warp_sort_medium_config_static_selectorELNS0_4arch9wavefront6targetE0EEEvSK_,"axG",@progbits,_ZN7rocprim17ROCPRIM_400000_NS6detail17trampoline_kernelINS0_14default_configENS1_36segmented_radix_sort_config_selectorIflEEZNS1_25segmented_radix_sort_implIS3_Lb0EPKfPfPKlPlN2at6native12_GLOBAL__N_18offset_tEEE10hipError_tPvRmT1_PNSt15iterator_traitsISK_E10value_typeET2_T3_PNSL_ISQ_E10value_typeET4_jRbjT5_SW_jjP12ihipStream_tbEUlT_E0_NS1_11comp_targetILNS1_3genE9ELNS1_11target_archE1100ELNS1_3gpuE3ELNS1_3repE0EEENS1_60segmented_radix_sort_warp_sort_medium_config_static_selectorELNS0_4arch9wavefront6targetE0EEEvSK_,comdat
	.globl	_ZN7rocprim17ROCPRIM_400000_NS6detail17trampoline_kernelINS0_14default_configENS1_36segmented_radix_sort_config_selectorIflEEZNS1_25segmented_radix_sort_implIS3_Lb0EPKfPfPKlPlN2at6native12_GLOBAL__N_18offset_tEEE10hipError_tPvRmT1_PNSt15iterator_traitsISK_E10value_typeET2_T3_PNSL_ISQ_E10value_typeET4_jRbjT5_SW_jjP12ihipStream_tbEUlT_E0_NS1_11comp_targetILNS1_3genE9ELNS1_11target_archE1100ELNS1_3gpuE3ELNS1_3repE0EEENS1_60segmented_radix_sort_warp_sort_medium_config_static_selectorELNS0_4arch9wavefront6targetE0EEEvSK_ ; -- Begin function _ZN7rocprim17ROCPRIM_400000_NS6detail17trampoline_kernelINS0_14default_configENS1_36segmented_radix_sort_config_selectorIflEEZNS1_25segmented_radix_sort_implIS3_Lb0EPKfPfPKlPlN2at6native12_GLOBAL__N_18offset_tEEE10hipError_tPvRmT1_PNSt15iterator_traitsISK_E10value_typeET2_T3_PNSL_ISQ_E10value_typeET4_jRbjT5_SW_jjP12ihipStream_tbEUlT_E0_NS1_11comp_targetILNS1_3genE9ELNS1_11target_archE1100ELNS1_3gpuE3ELNS1_3repE0EEENS1_60segmented_radix_sort_warp_sort_medium_config_static_selectorELNS0_4arch9wavefront6targetE0EEEvSK_
	.p2align	8
	.type	_ZN7rocprim17ROCPRIM_400000_NS6detail17trampoline_kernelINS0_14default_configENS1_36segmented_radix_sort_config_selectorIflEEZNS1_25segmented_radix_sort_implIS3_Lb0EPKfPfPKlPlN2at6native12_GLOBAL__N_18offset_tEEE10hipError_tPvRmT1_PNSt15iterator_traitsISK_E10value_typeET2_T3_PNSL_ISQ_E10value_typeET4_jRbjT5_SW_jjP12ihipStream_tbEUlT_E0_NS1_11comp_targetILNS1_3genE9ELNS1_11target_archE1100ELNS1_3gpuE3ELNS1_3repE0EEENS1_60segmented_radix_sort_warp_sort_medium_config_static_selectorELNS0_4arch9wavefront6targetE0EEEvSK_,@function
_ZN7rocprim17ROCPRIM_400000_NS6detail17trampoline_kernelINS0_14default_configENS1_36segmented_radix_sort_config_selectorIflEEZNS1_25segmented_radix_sort_implIS3_Lb0EPKfPfPKlPlN2at6native12_GLOBAL__N_18offset_tEEE10hipError_tPvRmT1_PNSt15iterator_traitsISK_E10value_typeET2_T3_PNSL_ISQ_E10value_typeET4_jRbjT5_SW_jjP12ihipStream_tbEUlT_E0_NS1_11comp_targetILNS1_3genE9ELNS1_11target_archE1100ELNS1_3gpuE3ELNS1_3repE0EEENS1_60segmented_radix_sort_warp_sort_medium_config_static_selectorELNS0_4arch9wavefront6targetE0EEEvSK_: ; @_ZN7rocprim17ROCPRIM_400000_NS6detail17trampoline_kernelINS0_14default_configENS1_36segmented_radix_sort_config_selectorIflEEZNS1_25segmented_radix_sort_implIS3_Lb0EPKfPfPKlPlN2at6native12_GLOBAL__N_18offset_tEEE10hipError_tPvRmT1_PNSt15iterator_traitsISK_E10value_typeET2_T3_PNSL_ISQ_E10value_typeET4_jRbjT5_SW_jjP12ihipStream_tbEUlT_E0_NS1_11comp_targetILNS1_3genE9ELNS1_11target_archE1100ELNS1_3gpuE3ELNS1_3repE0EEENS1_60segmented_radix_sort_warp_sort_medium_config_static_selectorELNS0_4arch9wavefront6targetE0EEEvSK_
; %bb.0:
	s_load_b32 s2, s[0:1], 0x64
	v_bfe_u32 v1, v0, 10, 10
	v_bfe_u32 v2, v0, 20, 10
	s_mov_b32 s32, 0
	s_waitcnt lgkmcnt(0)
	s_lshr_b32 s3, s2, 16
	s_and_b32 s2, s2, 0xffff
	v_mad_u32_u24 v4, v2, s3, v1
	v_and_b32_e32 v1, 0x3ff, v0
	s_load_b32 s3, s[0:1], 0x34
	s_delay_alu instid0(VALU_DEP_1) | instskip(SKIP_1) | instid1(VALU_DEP_1)
	v_mad_u64_u32 v[2:3], null, v4, s2, v[1:2]
	s_mov_b32 s2, exec_lo
	v_lshrrev_b32_e32 v1, 4, v2
	s_delay_alu instid0(VALU_DEP_1) | instskip(SKIP_1) | instid1(VALU_DEP_1)
	v_lshl_add_u32 v1, s14, 4, v1
	s_waitcnt lgkmcnt(0)
	v_cmpx_gt_u32_e64 s3, v1
	s_cbranch_execz .LBB1446_6
; %bb.1:
	s_clause 0x1
	s_load_b64 s[2:3], s[0:1], 0x38
	s_load_b128 s[4:7], s[0:1], 0x40
	v_mov_b32_e32 v2, 0
	s_delay_alu instid0(VALU_DEP_1) | instskip(SKIP_1) | instid1(VALU_DEP_1)
	v_lshlrev_b64 v[1:2], 2, v[1:2]
	s_waitcnt lgkmcnt(0)
	v_add_co_u32 v1, vcc_lo, s2, v1
	s_delay_alu instid0(VALU_DEP_2) | instskip(SKIP_4) | instid1(VALU_DEP_2)
	v_add_co_ci_u32_e32 v2, vcc_lo, s3, v2, vcc_lo
	global_load_b32 v1, v[1:2], off
	s_waitcnt vmcnt(0)
	v_add_nc_u32_e32 v2, s5, v1
	v_add_nc_u32_e32 v1, s7, v1
	v_mul_lo_u32 v40, v2, s4
	s_delay_alu instid0(VALU_DEP_2) | instskip(NEXT) | instid1(VALU_DEP_1)
	v_mul_lo_u32 v41, v1, s6
	v_cmp_gt_u32_e32 vcc_lo, v41, v40
	s_and_b32 exec_lo, exec_lo, vcc_lo
	s_cbranch_execz .LBB1446_6
; %bb.2:
	s_clause 0x2
	s_load_b32 s2, s[0:1], 0x30
	s_load_b128 s[36:39], s[0:1], 0x20
	s_load_b256 s[20:27], s[0:1], 0x0
	s_waitcnt lgkmcnt(0)
	s_bitcmp0_b32 s2, 0
	s_mov_b32 s2, -1
	s_cbranch_scc0 .LBB1446_4
; %bb.3:
	v_mov_b32_e32 v31, v0
	v_dual_mov_b32 v42, v0 :: v_dual_mov_b32 v1, s21
	v_mov_b32_e32 v0, s20
	v_dual_mov_b32 v2, s22 :: v_dual_mov_b32 v3, s23
	v_dual_mov_b32 v4, s26 :: v_dual_mov_b32 v5, s27
	;; [unrolled: 1-line block ×4, first 2 shown]
	s_add_u32 s8, s0, 0x58
	s_addc_u32 s9, s1, 0
	s_mov_b32 s12, s14
	s_mov_b32 s13, s15
	s_getpc_b64 s[2:3]
	s_add_u32 s2, s2, _ZN7rocprim17ROCPRIM_400000_NS6detail26segmented_warp_sort_helperINS1_20WarpSortHelperConfigILj16ELj8ELj256EEEflLi256ELb0EvE4sortIPKfPfPKlPlEEvT_T0_T1_T2_jjjjRNS5_12storage_typeE@rel32@lo+4
	s_addc_u32 s3, s3, _ZN7rocprim17ROCPRIM_400000_NS6detail26segmented_warp_sort_helperINS1_20WarpSortHelperConfigILj16ELj8ELj256EEEflLi256ELb0EvE4sortIPKfPfPKlPlEEvT_T0_T1_T2_jjjjRNS5_12storage_typeE@rel32@hi+12
	s_mov_b64 s[22:23], s[0:1]
	s_mov_b32 s19, s15
	s_mov_b32 s28, s14
	s_swappc_b64 s[30:31], s[2:3]
	v_mov_b32_e32 v0, v42
	s_mov_b32 s14, s28
	s_mov_b32 s15, s19
	s_mov_b64 s[0:1], s[22:23]
	s_mov_b32 s2, 0
.LBB1446_4:
	s_delay_alu instid0(SALU_CYCLE_1)
	s_and_not1_b32 vcc_lo, exec_lo, s2
	s_cbranch_vccnz .LBB1446_6
; %bb.5:
	v_dual_mov_b32 v31, v0 :: v_dual_mov_b32 v0, s20
	v_dual_mov_b32 v1, s21 :: v_dual_mov_b32 v2, s24
	;; [unrolled: 1-line block ×5, first 2 shown]
	v_mov_b32_e32 v9, v41
	s_add_u32 s8, s0, 0x58
	s_addc_u32 s9, s1, 0
	s_mov_b32 s12, s14
	s_mov_b32 s13, s15
	s_getpc_b64 s[0:1]
	s_add_u32 s0, s0, _ZN7rocprim17ROCPRIM_400000_NS6detail26segmented_warp_sort_helperINS1_20WarpSortHelperConfigILj16ELj8ELj256EEEflLi256ELb0EvE4sortIPKfPfPKlPlEEvT_T0_T1_T2_jjjjRNS5_12storage_typeE@rel32@lo+4
	s_addc_u32 s1, s1, _ZN7rocprim17ROCPRIM_400000_NS6detail26segmented_warp_sort_helperINS1_20WarpSortHelperConfigILj16ELj8ELj256EEEflLi256ELb0EvE4sortIPKfPfPKlPlEEvT_T0_T1_T2_jjjjRNS5_12storage_typeE@rel32@hi+12
	s_delay_alu instid0(SALU_CYCLE_1)
	s_swappc_b64 s[30:31], s[0:1]
.LBB1446_6:
	s_endpgm
	.section	.rodata,"a",@progbits
	.p2align	6, 0x0
	.amdhsa_kernel _ZN7rocprim17ROCPRIM_400000_NS6detail17trampoline_kernelINS0_14default_configENS1_36segmented_radix_sort_config_selectorIflEEZNS1_25segmented_radix_sort_implIS3_Lb0EPKfPfPKlPlN2at6native12_GLOBAL__N_18offset_tEEE10hipError_tPvRmT1_PNSt15iterator_traitsISK_E10value_typeET2_T3_PNSL_ISQ_E10value_typeET4_jRbjT5_SW_jjP12ihipStream_tbEUlT_E0_NS1_11comp_targetILNS1_3genE9ELNS1_11target_archE1100ELNS1_3gpuE3ELNS1_3repE0EEENS1_60segmented_radix_sort_warp_sort_medium_config_static_selectorELNS0_4arch9wavefront6targetE0EEEvSK_
		.amdhsa_group_segment_fixed_size 24576
		.amdhsa_private_segment_fixed_size 0
		.amdhsa_kernarg_size 344
		.amdhsa_user_sgpr_count 14
		.amdhsa_user_sgpr_dispatch_ptr 0
		.amdhsa_user_sgpr_queue_ptr 0
		.amdhsa_user_sgpr_kernarg_segment_ptr 1
		.amdhsa_user_sgpr_dispatch_id 0
		.amdhsa_user_sgpr_private_segment_size 0
		.amdhsa_wavefront_size32 1
		.amdhsa_uses_dynamic_stack 0
		.amdhsa_enable_private_segment 0
		.amdhsa_system_sgpr_workgroup_id_x 1
		.amdhsa_system_sgpr_workgroup_id_y 1
		.amdhsa_system_sgpr_workgroup_id_z 0
		.amdhsa_system_sgpr_workgroup_info 0
		.amdhsa_system_vgpr_workitem_id 2
		.amdhsa_next_free_vgpr 88
		.amdhsa_next_free_sgpr 40
		.amdhsa_reserve_vcc 1
		.amdhsa_float_round_mode_32 0
		.amdhsa_float_round_mode_16_64 0
		.amdhsa_float_denorm_mode_32 3
		.amdhsa_float_denorm_mode_16_64 3
		.amdhsa_dx10_clamp 1
		.amdhsa_ieee_mode 1
		.amdhsa_fp16_overflow 0
		.amdhsa_workgroup_processor_mode 1
		.amdhsa_memory_ordered 1
		.amdhsa_forward_progress 0
		.amdhsa_shared_vgpr_count 0
		.amdhsa_exception_fp_ieee_invalid_op 0
		.amdhsa_exception_fp_denorm_src 0
		.amdhsa_exception_fp_ieee_div_zero 0
		.amdhsa_exception_fp_ieee_overflow 0
		.amdhsa_exception_fp_ieee_underflow 0
		.amdhsa_exception_fp_ieee_inexact 0
		.amdhsa_exception_int_div_zero 0
	.end_amdhsa_kernel
	.section	.text._ZN7rocprim17ROCPRIM_400000_NS6detail17trampoline_kernelINS0_14default_configENS1_36segmented_radix_sort_config_selectorIflEEZNS1_25segmented_radix_sort_implIS3_Lb0EPKfPfPKlPlN2at6native12_GLOBAL__N_18offset_tEEE10hipError_tPvRmT1_PNSt15iterator_traitsISK_E10value_typeET2_T3_PNSL_ISQ_E10value_typeET4_jRbjT5_SW_jjP12ihipStream_tbEUlT_E0_NS1_11comp_targetILNS1_3genE9ELNS1_11target_archE1100ELNS1_3gpuE3ELNS1_3repE0EEENS1_60segmented_radix_sort_warp_sort_medium_config_static_selectorELNS0_4arch9wavefront6targetE0EEEvSK_,"axG",@progbits,_ZN7rocprim17ROCPRIM_400000_NS6detail17trampoline_kernelINS0_14default_configENS1_36segmented_radix_sort_config_selectorIflEEZNS1_25segmented_radix_sort_implIS3_Lb0EPKfPfPKlPlN2at6native12_GLOBAL__N_18offset_tEEE10hipError_tPvRmT1_PNSt15iterator_traitsISK_E10value_typeET2_T3_PNSL_ISQ_E10value_typeET4_jRbjT5_SW_jjP12ihipStream_tbEUlT_E0_NS1_11comp_targetILNS1_3genE9ELNS1_11target_archE1100ELNS1_3gpuE3ELNS1_3repE0EEENS1_60segmented_radix_sort_warp_sort_medium_config_static_selectorELNS0_4arch9wavefront6targetE0EEEvSK_,comdat
.Lfunc_end1446:
	.size	_ZN7rocprim17ROCPRIM_400000_NS6detail17trampoline_kernelINS0_14default_configENS1_36segmented_radix_sort_config_selectorIflEEZNS1_25segmented_radix_sort_implIS3_Lb0EPKfPfPKlPlN2at6native12_GLOBAL__N_18offset_tEEE10hipError_tPvRmT1_PNSt15iterator_traitsISK_E10value_typeET2_T3_PNSL_ISQ_E10value_typeET4_jRbjT5_SW_jjP12ihipStream_tbEUlT_E0_NS1_11comp_targetILNS1_3genE9ELNS1_11target_archE1100ELNS1_3gpuE3ELNS1_3repE0EEENS1_60segmented_radix_sort_warp_sort_medium_config_static_selectorELNS0_4arch9wavefront6targetE0EEEvSK_, .Lfunc_end1446-_ZN7rocprim17ROCPRIM_400000_NS6detail17trampoline_kernelINS0_14default_configENS1_36segmented_radix_sort_config_selectorIflEEZNS1_25segmented_radix_sort_implIS3_Lb0EPKfPfPKlPlN2at6native12_GLOBAL__N_18offset_tEEE10hipError_tPvRmT1_PNSt15iterator_traitsISK_E10value_typeET2_T3_PNSL_ISQ_E10value_typeET4_jRbjT5_SW_jjP12ihipStream_tbEUlT_E0_NS1_11comp_targetILNS1_3genE9ELNS1_11target_archE1100ELNS1_3gpuE3ELNS1_3repE0EEENS1_60segmented_radix_sort_warp_sort_medium_config_static_selectorELNS0_4arch9wavefront6targetE0EEEvSK_
                                        ; -- End function
	.section	.AMDGPU.csdata,"",@progbits
; Kernel info:
; codeLenInByte = 500
; NumSgprs: 42
; NumVgprs: 88
; ScratchSize: 0
; MemoryBound: 0
; FloatMode: 240
; IeeeMode: 1
; LDSByteSize: 24576 bytes/workgroup (compile time only)
; SGPRBlocks: 5
; VGPRBlocks: 10
; NumSGPRsForWavesPerEU: 42
; NumVGPRsForWavesPerEU: 88
; Occupancy: 10
; WaveLimiterHint : 0
; COMPUTE_PGM_RSRC2:SCRATCH_EN: 0
; COMPUTE_PGM_RSRC2:USER_SGPR: 14
; COMPUTE_PGM_RSRC2:TRAP_HANDLER: 0
; COMPUTE_PGM_RSRC2:TGID_X_EN: 1
; COMPUTE_PGM_RSRC2:TGID_Y_EN: 1
; COMPUTE_PGM_RSRC2:TGID_Z_EN: 0
; COMPUTE_PGM_RSRC2:TIDIG_COMP_CNT: 2
	.section	.text._ZN7rocprim17ROCPRIM_400000_NS6detail17trampoline_kernelINS0_14default_configENS1_36segmented_radix_sort_config_selectorIflEEZNS1_25segmented_radix_sort_implIS3_Lb0EPKfPfPKlPlN2at6native12_GLOBAL__N_18offset_tEEE10hipError_tPvRmT1_PNSt15iterator_traitsISK_E10value_typeET2_T3_PNSL_ISQ_E10value_typeET4_jRbjT5_SW_jjP12ihipStream_tbEUlT_E0_NS1_11comp_targetILNS1_3genE8ELNS1_11target_archE1030ELNS1_3gpuE2ELNS1_3repE0EEENS1_60segmented_radix_sort_warp_sort_medium_config_static_selectorELNS0_4arch9wavefront6targetE0EEEvSK_,"axG",@progbits,_ZN7rocprim17ROCPRIM_400000_NS6detail17trampoline_kernelINS0_14default_configENS1_36segmented_radix_sort_config_selectorIflEEZNS1_25segmented_radix_sort_implIS3_Lb0EPKfPfPKlPlN2at6native12_GLOBAL__N_18offset_tEEE10hipError_tPvRmT1_PNSt15iterator_traitsISK_E10value_typeET2_T3_PNSL_ISQ_E10value_typeET4_jRbjT5_SW_jjP12ihipStream_tbEUlT_E0_NS1_11comp_targetILNS1_3genE8ELNS1_11target_archE1030ELNS1_3gpuE2ELNS1_3repE0EEENS1_60segmented_radix_sort_warp_sort_medium_config_static_selectorELNS0_4arch9wavefront6targetE0EEEvSK_,comdat
	.globl	_ZN7rocprim17ROCPRIM_400000_NS6detail17trampoline_kernelINS0_14default_configENS1_36segmented_radix_sort_config_selectorIflEEZNS1_25segmented_radix_sort_implIS3_Lb0EPKfPfPKlPlN2at6native12_GLOBAL__N_18offset_tEEE10hipError_tPvRmT1_PNSt15iterator_traitsISK_E10value_typeET2_T3_PNSL_ISQ_E10value_typeET4_jRbjT5_SW_jjP12ihipStream_tbEUlT_E0_NS1_11comp_targetILNS1_3genE8ELNS1_11target_archE1030ELNS1_3gpuE2ELNS1_3repE0EEENS1_60segmented_radix_sort_warp_sort_medium_config_static_selectorELNS0_4arch9wavefront6targetE0EEEvSK_ ; -- Begin function _ZN7rocprim17ROCPRIM_400000_NS6detail17trampoline_kernelINS0_14default_configENS1_36segmented_radix_sort_config_selectorIflEEZNS1_25segmented_radix_sort_implIS3_Lb0EPKfPfPKlPlN2at6native12_GLOBAL__N_18offset_tEEE10hipError_tPvRmT1_PNSt15iterator_traitsISK_E10value_typeET2_T3_PNSL_ISQ_E10value_typeET4_jRbjT5_SW_jjP12ihipStream_tbEUlT_E0_NS1_11comp_targetILNS1_3genE8ELNS1_11target_archE1030ELNS1_3gpuE2ELNS1_3repE0EEENS1_60segmented_radix_sort_warp_sort_medium_config_static_selectorELNS0_4arch9wavefront6targetE0EEEvSK_
	.p2align	8
	.type	_ZN7rocprim17ROCPRIM_400000_NS6detail17trampoline_kernelINS0_14default_configENS1_36segmented_radix_sort_config_selectorIflEEZNS1_25segmented_radix_sort_implIS3_Lb0EPKfPfPKlPlN2at6native12_GLOBAL__N_18offset_tEEE10hipError_tPvRmT1_PNSt15iterator_traitsISK_E10value_typeET2_T3_PNSL_ISQ_E10value_typeET4_jRbjT5_SW_jjP12ihipStream_tbEUlT_E0_NS1_11comp_targetILNS1_3genE8ELNS1_11target_archE1030ELNS1_3gpuE2ELNS1_3repE0EEENS1_60segmented_radix_sort_warp_sort_medium_config_static_selectorELNS0_4arch9wavefront6targetE0EEEvSK_,@function
_ZN7rocprim17ROCPRIM_400000_NS6detail17trampoline_kernelINS0_14default_configENS1_36segmented_radix_sort_config_selectorIflEEZNS1_25segmented_radix_sort_implIS3_Lb0EPKfPfPKlPlN2at6native12_GLOBAL__N_18offset_tEEE10hipError_tPvRmT1_PNSt15iterator_traitsISK_E10value_typeET2_T3_PNSL_ISQ_E10value_typeET4_jRbjT5_SW_jjP12ihipStream_tbEUlT_E0_NS1_11comp_targetILNS1_3genE8ELNS1_11target_archE1030ELNS1_3gpuE2ELNS1_3repE0EEENS1_60segmented_radix_sort_warp_sort_medium_config_static_selectorELNS0_4arch9wavefront6targetE0EEEvSK_: ; @_ZN7rocprim17ROCPRIM_400000_NS6detail17trampoline_kernelINS0_14default_configENS1_36segmented_radix_sort_config_selectorIflEEZNS1_25segmented_radix_sort_implIS3_Lb0EPKfPfPKlPlN2at6native12_GLOBAL__N_18offset_tEEE10hipError_tPvRmT1_PNSt15iterator_traitsISK_E10value_typeET2_T3_PNSL_ISQ_E10value_typeET4_jRbjT5_SW_jjP12ihipStream_tbEUlT_E0_NS1_11comp_targetILNS1_3genE8ELNS1_11target_archE1030ELNS1_3gpuE2ELNS1_3repE0EEENS1_60segmented_radix_sort_warp_sort_medium_config_static_selectorELNS0_4arch9wavefront6targetE0EEEvSK_
; %bb.0:
	.section	.rodata,"a",@progbits
	.p2align	6, 0x0
	.amdhsa_kernel _ZN7rocprim17ROCPRIM_400000_NS6detail17trampoline_kernelINS0_14default_configENS1_36segmented_radix_sort_config_selectorIflEEZNS1_25segmented_radix_sort_implIS3_Lb0EPKfPfPKlPlN2at6native12_GLOBAL__N_18offset_tEEE10hipError_tPvRmT1_PNSt15iterator_traitsISK_E10value_typeET2_T3_PNSL_ISQ_E10value_typeET4_jRbjT5_SW_jjP12ihipStream_tbEUlT_E0_NS1_11comp_targetILNS1_3genE8ELNS1_11target_archE1030ELNS1_3gpuE2ELNS1_3repE0EEENS1_60segmented_radix_sort_warp_sort_medium_config_static_selectorELNS0_4arch9wavefront6targetE0EEEvSK_
		.amdhsa_group_segment_fixed_size 0
		.amdhsa_private_segment_fixed_size 0
		.amdhsa_kernarg_size 88
		.amdhsa_user_sgpr_count 15
		.amdhsa_user_sgpr_dispatch_ptr 0
		.amdhsa_user_sgpr_queue_ptr 0
		.amdhsa_user_sgpr_kernarg_segment_ptr 1
		.amdhsa_user_sgpr_dispatch_id 0
		.amdhsa_user_sgpr_private_segment_size 0
		.amdhsa_wavefront_size32 1
		.amdhsa_uses_dynamic_stack 0
		.amdhsa_enable_private_segment 0
		.amdhsa_system_sgpr_workgroup_id_x 1
		.amdhsa_system_sgpr_workgroup_id_y 0
		.amdhsa_system_sgpr_workgroup_id_z 0
		.amdhsa_system_sgpr_workgroup_info 0
		.amdhsa_system_vgpr_workitem_id 0
		.amdhsa_next_free_vgpr 1
		.amdhsa_next_free_sgpr 1
		.amdhsa_reserve_vcc 0
		.amdhsa_float_round_mode_32 0
		.amdhsa_float_round_mode_16_64 0
		.amdhsa_float_denorm_mode_32 3
		.amdhsa_float_denorm_mode_16_64 3
		.amdhsa_dx10_clamp 1
		.amdhsa_ieee_mode 1
		.amdhsa_fp16_overflow 0
		.amdhsa_workgroup_processor_mode 1
		.amdhsa_memory_ordered 1
		.amdhsa_forward_progress 0
		.amdhsa_shared_vgpr_count 0
		.amdhsa_exception_fp_ieee_invalid_op 0
		.amdhsa_exception_fp_denorm_src 0
		.amdhsa_exception_fp_ieee_div_zero 0
		.amdhsa_exception_fp_ieee_overflow 0
		.amdhsa_exception_fp_ieee_underflow 0
		.amdhsa_exception_fp_ieee_inexact 0
		.amdhsa_exception_int_div_zero 0
	.end_amdhsa_kernel
	.section	.text._ZN7rocprim17ROCPRIM_400000_NS6detail17trampoline_kernelINS0_14default_configENS1_36segmented_radix_sort_config_selectorIflEEZNS1_25segmented_radix_sort_implIS3_Lb0EPKfPfPKlPlN2at6native12_GLOBAL__N_18offset_tEEE10hipError_tPvRmT1_PNSt15iterator_traitsISK_E10value_typeET2_T3_PNSL_ISQ_E10value_typeET4_jRbjT5_SW_jjP12ihipStream_tbEUlT_E0_NS1_11comp_targetILNS1_3genE8ELNS1_11target_archE1030ELNS1_3gpuE2ELNS1_3repE0EEENS1_60segmented_radix_sort_warp_sort_medium_config_static_selectorELNS0_4arch9wavefront6targetE0EEEvSK_,"axG",@progbits,_ZN7rocprim17ROCPRIM_400000_NS6detail17trampoline_kernelINS0_14default_configENS1_36segmented_radix_sort_config_selectorIflEEZNS1_25segmented_radix_sort_implIS3_Lb0EPKfPfPKlPlN2at6native12_GLOBAL__N_18offset_tEEE10hipError_tPvRmT1_PNSt15iterator_traitsISK_E10value_typeET2_T3_PNSL_ISQ_E10value_typeET4_jRbjT5_SW_jjP12ihipStream_tbEUlT_E0_NS1_11comp_targetILNS1_3genE8ELNS1_11target_archE1030ELNS1_3gpuE2ELNS1_3repE0EEENS1_60segmented_radix_sort_warp_sort_medium_config_static_selectorELNS0_4arch9wavefront6targetE0EEEvSK_,comdat
.Lfunc_end1447:
	.size	_ZN7rocprim17ROCPRIM_400000_NS6detail17trampoline_kernelINS0_14default_configENS1_36segmented_radix_sort_config_selectorIflEEZNS1_25segmented_radix_sort_implIS3_Lb0EPKfPfPKlPlN2at6native12_GLOBAL__N_18offset_tEEE10hipError_tPvRmT1_PNSt15iterator_traitsISK_E10value_typeET2_T3_PNSL_ISQ_E10value_typeET4_jRbjT5_SW_jjP12ihipStream_tbEUlT_E0_NS1_11comp_targetILNS1_3genE8ELNS1_11target_archE1030ELNS1_3gpuE2ELNS1_3repE0EEENS1_60segmented_radix_sort_warp_sort_medium_config_static_selectorELNS0_4arch9wavefront6targetE0EEEvSK_, .Lfunc_end1447-_ZN7rocprim17ROCPRIM_400000_NS6detail17trampoline_kernelINS0_14default_configENS1_36segmented_radix_sort_config_selectorIflEEZNS1_25segmented_radix_sort_implIS3_Lb0EPKfPfPKlPlN2at6native12_GLOBAL__N_18offset_tEEE10hipError_tPvRmT1_PNSt15iterator_traitsISK_E10value_typeET2_T3_PNSL_ISQ_E10value_typeET4_jRbjT5_SW_jjP12ihipStream_tbEUlT_E0_NS1_11comp_targetILNS1_3genE8ELNS1_11target_archE1030ELNS1_3gpuE2ELNS1_3repE0EEENS1_60segmented_radix_sort_warp_sort_medium_config_static_selectorELNS0_4arch9wavefront6targetE0EEEvSK_
                                        ; -- End function
	.section	.AMDGPU.csdata,"",@progbits
; Kernel info:
; codeLenInByte = 0
; NumSgprs: 0
; NumVgprs: 0
; ScratchSize: 0
; MemoryBound: 0
; FloatMode: 240
; IeeeMode: 1
; LDSByteSize: 0 bytes/workgroup (compile time only)
; SGPRBlocks: 0
; VGPRBlocks: 0
; NumSGPRsForWavesPerEU: 1
; NumVGPRsForWavesPerEU: 1
; Occupancy: 16
; WaveLimiterHint : 0
; COMPUTE_PGM_RSRC2:SCRATCH_EN: 0
; COMPUTE_PGM_RSRC2:USER_SGPR: 15
; COMPUTE_PGM_RSRC2:TRAP_HANDLER: 0
; COMPUTE_PGM_RSRC2:TGID_X_EN: 1
; COMPUTE_PGM_RSRC2:TGID_Y_EN: 0
; COMPUTE_PGM_RSRC2:TGID_Z_EN: 0
; COMPUTE_PGM_RSRC2:TIDIG_COMP_CNT: 0
	.section	.text._ZN7rocprim17ROCPRIM_400000_NS6detail17trampoline_kernelINS0_14default_configENS1_36segmented_radix_sort_config_selectorIflEEZNS1_25segmented_radix_sort_implIS3_Lb0EPKfPfPKlPlN2at6native12_GLOBAL__N_18offset_tEEE10hipError_tPvRmT1_PNSt15iterator_traitsISK_E10value_typeET2_T3_PNSL_ISQ_E10value_typeET4_jRbjT5_SW_jjP12ihipStream_tbEUlT_E1_NS1_11comp_targetILNS1_3genE0ELNS1_11target_archE4294967295ELNS1_3gpuE0ELNS1_3repE0EEENS1_59segmented_radix_sort_warp_sort_small_config_static_selectorELNS0_4arch9wavefront6targetE0EEEvSK_,"axG",@progbits,_ZN7rocprim17ROCPRIM_400000_NS6detail17trampoline_kernelINS0_14default_configENS1_36segmented_radix_sort_config_selectorIflEEZNS1_25segmented_radix_sort_implIS3_Lb0EPKfPfPKlPlN2at6native12_GLOBAL__N_18offset_tEEE10hipError_tPvRmT1_PNSt15iterator_traitsISK_E10value_typeET2_T3_PNSL_ISQ_E10value_typeET4_jRbjT5_SW_jjP12ihipStream_tbEUlT_E1_NS1_11comp_targetILNS1_3genE0ELNS1_11target_archE4294967295ELNS1_3gpuE0ELNS1_3repE0EEENS1_59segmented_radix_sort_warp_sort_small_config_static_selectorELNS0_4arch9wavefront6targetE0EEEvSK_,comdat
	.globl	_ZN7rocprim17ROCPRIM_400000_NS6detail17trampoline_kernelINS0_14default_configENS1_36segmented_radix_sort_config_selectorIflEEZNS1_25segmented_radix_sort_implIS3_Lb0EPKfPfPKlPlN2at6native12_GLOBAL__N_18offset_tEEE10hipError_tPvRmT1_PNSt15iterator_traitsISK_E10value_typeET2_T3_PNSL_ISQ_E10value_typeET4_jRbjT5_SW_jjP12ihipStream_tbEUlT_E1_NS1_11comp_targetILNS1_3genE0ELNS1_11target_archE4294967295ELNS1_3gpuE0ELNS1_3repE0EEENS1_59segmented_radix_sort_warp_sort_small_config_static_selectorELNS0_4arch9wavefront6targetE0EEEvSK_ ; -- Begin function _ZN7rocprim17ROCPRIM_400000_NS6detail17trampoline_kernelINS0_14default_configENS1_36segmented_radix_sort_config_selectorIflEEZNS1_25segmented_radix_sort_implIS3_Lb0EPKfPfPKlPlN2at6native12_GLOBAL__N_18offset_tEEE10hipError_tPvRmT1_PNSt15iterator_traitsISK_E10value_typeET2_T3_PNSL_ISQ_E10value_typeET4_jRbjT5_SW_jjP12ihipStream_tbEUlT_E1_NS1_11comp_targetILNS1_3genE0ELNS1_11target_archE4294967295ELNS1_3gpuE0ELNS1_3repE0EEENS1_59segmented_radix_sort_warp_sort_small_config_static_selectorELNS0_4arch9wavefront6targetE0EEEvSK_
	.p2align	8
	.type	_ZN7rocprim17ROCPRIM_400000_NS6detail17trampoline_kernelINS0_14default_configENS1_36segmented_radix_sort_config_selectorIflEEZNS1_25segmented_radix_sort_implIS3_Lb0EPKfPfPKlPlN2at6native12_GLOBAL__N_18offset_tEEE10hipError_tPvRmT1_PNSt15iterator_traitsISK_E10value_typeET2_T3_PNSL_ISQ_E10value_typeET4_jRbjT5_SW_jjP12ihipStream_tbEUlT_E1_NS1_11comp_targetILNS1_3genE0ELNS1_11target_archE4294967295ELNS1_3gpuE0ELNS1_3repE0EEENS1_59segmented_radix_sort_warp_sort_small_config_static_selectorELNS0_4arch9wavefront6targetE0EEEvSK_,@function
_ZN7rocprim17ROCPRIM_400000_NS6detail17trampoline_kernelINS0_14default_configENS1_36segmented_radix_sort_config_selectorIflEEZNS1_25segmented_radix_sort_implIS3_Lb0EPKfPfPKlPlN2at6native12_GLOBAL__N_18offset_tEEE10hipError_tPvRmT1_PNSt15iterator_traitsISK_E10value_typeET2_T3_PNSL_ISQ_E10value_typeET4_jRbjT5_SW_jjP12ihipStream_tbEUlT_E1_NS1_11comp_targetILNS1_3genE0ELNS1_11target_archE4294967295ELNS1_3gpuE0ELNS1_3repE0EEENS1_59segmented_radix_sort_warp_sort_small_config_static_selectorELNS0_4arch9wavefront6targetE0EEEvSK_: ; @_ZN7rocprim17ROCPRIM_400000_NS6detail17trampoline_kernelINS0_14default_configENS1_36segmented_radix_sort_config_selectorIflEEZNS1_25segmented_radix_sort_implIS3_Lb0EPKfPfPKlPlN2at6native12_GLOBAL__N_18offset_tEEE10hipError_tPvRmT1_PNSt15iterator_traitsISK_E10value_typeET2_T3_PNSL_ISQ_E10value_typeET4_jRbjT5_SW_jjP12ihipStream_tbEUlT_E1_NS1_11comp_targetILNS1_3genE0ELNS1_11target_archE4294967295ELNS1_3gpuE0ELNS1_3repE0EEENS1_59segmented_radix_sort_warp_sort_small_config_static_selectorELNS0_4arch9wavefront6targetE0EEEvSK_
; %bb.0:
	.section	.rodata,"a",@progbits
	.p2align	6, 0x0
	.amdhsa_kernel _ZN7rocprim17ROCPRIM_400000_NS6detail17trampoline_kernelINS0_14default_configENS1_36segmented_radix_sort_config_selectorIflEEZNS1_25segmented_radix_sort_implIS3_Lb0EPKfPfPKlPlN2at6native12_GLOBAL__N_18offset_tEEE10hipError_tPvRmT1_PNSt15iterator_traitsISK_E10value_typeET2_T3_PNSL_ISQ_E10value_typeET4_jRbjT5_SW_jjP12ihipStream_tbEUlT_E1_NS1_11comp_targetILNS1_3genE0ELNS1_11target_archE4294967295ELNS1_3gpuE0ELNS1_3repE0EEENS1_59segmented_radix_sort_warp_sort_small_config_static_selectorELNS0_4arch9wavefront6targetE0EEEvSK_
		.amdhsa_group_segment_fixed_size 0
		.amdhsa_private_segment_fixed_size 0
		.amdhsa_kernarg_size 88
		.amdhsa_user_sgpr_count 15
		.amdhsa_user_sgpr_dispatch_ptr 0
		.amdhsa_user_sgpr_queue_ptr 0
		.amdhsa_user_sgpr_kernarg_segment_ptr 1
		.amdhsa_user_sgpr_dispatch_id 0
		.amdhsa_user_sgpr_private_segment_size 0
		.amdhsa_wavefront_size32 1
		.amdhsa_uses_dynamic_stack 0
		.amdhsa_enable_private_segment 0
		.amdhsa_system_sgpr_workgroup_id_x 1
		.amdhsa_system_sgpr_workgroup_id_y 0
		.amdhsa_system_sgpr_workgroup_id_z 0
		.amdhsa_system_sgpr_workgroup_info 0
		.amdhsa_system_vgpr_workitem_id 0
		.amdhsa_next_free_vgpr 1
		.amdhsa_next_free_sgpr 1
		.amdhsa_reserve_vcc 0
		.amdhsa_float_round_mode_32 0
		.amdhsa_float_round_mode_16_64 0
		.amdhsa_float_denorm_mode_32 3
		.amdhsa_float_denorm_mode_16_64 3
		.amdhsa_dx10_clamp 1
		.amdhsa_ieee_mode 1
		.amdhsa_fp16_overflow 0
		.amdhsa_workgroup_processor_mode 1
		.amdhsa_memory_ordered 1
		.amdhsa_forward_progress 0
		.amdhsa_shared_vgpr_count 0
		.amdhsa_exception_fp_ieee_invalid_op 0
		.amdhsa_exception_fp_denorm_src 0
		.amdhsa_exception_fp_ieee_div_zero 0
		.amdhsa_exception_fp_ieee_overflow 0
		.amdhsa_exception_fp_ieee_underflow 0
		.amdhsa_exception_fp_ieee_inexact 0
		.amdhsa_exception_int_div_zero 0
	.end_amdhsa_kernel
	.section	.text._ZN7rocprim17ROCPRIM_400000_NS6detail17trampoline_kernelINS0_14default_configENS1_36segmented_radix_sort_config_selectorIflEEZNS1_25segmented_radix_sort_implIS3_Lb0EPKfPfPKlPlN2at6native12_GLOBAL__N_18offset_tEEE10hipError_tPvRmT1_PNSt15iterator_traitsISK_E10value_typeET2_T3_PNSL_ISQ_E10value_typeET4_jRbjT5_SW_jjP12ihipStream_tbEUlT_E1_NS1_11comp_targetILNS1_3genE0ELNS1_11target_archE4294967295ELNS1_3gpuE0ELNS1_3repE0EEENS1_59segmented_radix_sort_warp_sort_small_config_static_selectorELNS0_4arch9wavefront6targetE0EEEvSK_,"axG",@progbits,_ZN7rocprim17ROCPRIM_400000_NS6detail17trampoline_kernelINS0_14default_configENS1_36segmented_radix_sort_config_selectorIflEEZNS1_25segmented_radix_sort_implIS3_Lb0EPKfPfPKlPlN2at6native12_GLOBAL__N_18offset_tEEE10hipError_tPvRmT1_PNSt15iterator_traitsISK_E10value_typeET2_T3_PNSL_ISQ_E10value_typeET4_jRbjT5_SW_jjP12ihipStream_tbEUlT_E1_NS1_11comp_targetILNS1_3genE0ELNS1_11target_archE4294967295ELNS1_3gpuE0ELNS1_3repE0EEENS1_59segmented_radix_sort_warp_sort_small_config_static_selectorELNS0_4arch9wavefront6targetE0EEEvSK_,comdat
.Lfunc_end1448:
	.size	_ZN7rocprim17ROCPRIM_400000_NS6detail17trampoline_kernelINS0_14default_configENS1_36segmented_radix_sort_config_selectorIflEEZNS1_25segmented_radix_sort_implIS3_Lb0EPKfPfPKlPlN2at6native12_GLOBAL__N_18offset_tEEE10hipError_tPvRmT1_PNSt15iterator_traitsISK_E10value_typeET2_T3_PNSL_ISQ_E10value_typeET4_jRbjT5_SW_jjP12ihipStream_tbEUlT_E1_NS1_11comp_targetILNS1_3genE0ELNS1_11target_archE4294967295ELNS1_3gpuE0ELNS1_3repE0EEENS1_59segmented_radix_sort_warp_sort_small_config_static_selectorELNS0_4arch9wavefront6targetE0EEEvSK_, .Lfunc_end1448-_ZN7rocprim17ROCPRIM_400000_NS6detail17trampoline_kernelINS0_14default_configENS1_36segmented_radix_sort_config_selectorIflEEZNS1_25segmented_radix_sort_implIS3_Lb0EPKfPfPKlPlN2at6native12_GLOBAL__N_18offset_tEEE10hipError_tPvRmT1_PNSt15iterator_traitsISK_E10value_typeET2_T3_PNSL_ISQ_E10value_typeET4_jRbjT5_SW_jjP12ihipStream_tbEUlT_E1_NS1_11comp_targetILNS1_3genE0ELNS1_11target_archE4294967295ELNS1_3gpuE0ELNS1_3repE0EEENS1_59segmented_radix_sort_warp_sort_small_config_static_selectorELNS0_4arch9wavefront6targetE0EEEvSK_
                                        ; -- End function
	.section	.AMDGPU.csdata,"",@progbits
; Kernel info:
; codeLenInByte = 0
; NumSgprs: 0
; NumVgprs: 0
; ScratchSize: 0
; MemoryBound: 0
; FloatMode: 240
; IeeeMode: 1
; LDSByteSize: 0 bytes/workgroup (compile time only)
; SGPRBlocks: 0
; VGPRBlocks: 0
; NumSGPRsForWavesPerEU: 1
; NumVGPRsForWavesPerEU: 1
; Occupancy: 16
; WaveLimiterHint : 0
; COMPUTE_PGM_RSRC2:SCRATCH_EN: 0
; COMPUTE_PGM_RSRC2:USER_SGPR: 15
; COMPUTE_PGM_RSRC2:TRAP_HANDLER: 0
; COMPUTE_PGM_RSRC2:TGID_X_EN: 1
; COMPUTE_PGM_RSRC2:TGID_Y_EN: 0
; COMPUTE_PGM_RSRC2:TGID_Z_EN: 0
; COMPUTE_PGM_RSRC2:TIDIG_COMP_CNT: 0
	.section	.text._ZN7rocprim17ROCPRIM_400000_NS6detail17trampoline_kernelINS0_14default_configENS1_36segmented_radix_sort_config_selectorIflEEZNS1_25segmented_radix_sort_implIS3_Lb0EPKfPfPKlPlN2at6native12_GLOBAL__N_18offset_tEEE10hipError_tPvRmT1_PNSt15iterator_traitsISK_E10value_typeET2_T3_PNSL_ISQ_E10value_typeET4_jRbjT5_SW_jjP12ihipStream_tbEUlT_E1_NS1_11comp_targetILNS1_3genE5ELNS1_11target_archE942ELNS1_3gpuE9ELNS1_3repE0EEENS1_59segmented_radix_sort_warp_sort_small_config_static_selectorELNS0_4arch9wavefront6targetE0EEEvSK_,"axG",@progbits,_ZN7rocprim17ROCPRIM_400000_NS6detail17trampoline_kernelINS0_14default_configENS1_36segmented_radix_sort_config_selectorIflEEZNS1_25segmented_radix_sort_implIS3_Lb0EPKfPfPKlPlN2at6native12_GLOBAL__N_18offset_tEEE10hipError_tPvRmT1_PNSt15iterator_traitsISK_E10value_typeET2_T3_PNSL_ISQ_E10value_typeET4_jRbjT5_SW_jjP12ihipStream_tbEUlT_E1_NS1_11comp_targetILNS1_3genE5ELNS1_11target_archE942ELNS1_3gpuE9ELNS1_3repE0EEENS1_59segmented_radix_sort_warp_sort_small_config_static_selectorELNS0_4arch9wavefront6targetE0EEEvSK_,comdat
	.globl	_ZN7rocprim17ROCPRIM_400000_NS6detail17trampoline_kernelINS0_14default_configENS1_36segmented_radix_sort_config_selectorIflEEZNS1_25segmented_radix_sort_implIS3_Lb0EPKfPfPKlPlN2at6native12_GLOBAL__N_18offset_tEEE10hipError_tPvRmT1_PNSt15iterator_traitsISK_E10value_typeET2_T3_PNSL_ISQ_E10value_typeET4_jRbjT5_SW_jjP12ihipStream_tbEUlT_E1_NS1_11comp_targetILNS1_3genE5ELNS1_11target_archE942ELNS1_3gpuE9ELNS1_3repE0EEENS1_59segmented_radix_sort_warp_sort_small_config_static_selectorELNS0_4arch9wavefront6targetE0EEEvSK_ ; -- Begin function _ZN7rocprim17ROCPRIM_400000_NS6detail17trampoline_kernelINS0_14default_configENS1_36segmented_radix_sort_config_selectorIflEEZNS1_25segmented_radix_sort_implIS3_Lb0EPKfPfPKlPlN2at6native12_GLOBAL__N_18offset_tEEE10hipError_tPvRmT1_PNSt15iterator_traitsISK_E10value_typeET2_T3_PNSL_ISQ_E10value_typeET4_jRbjT5_SW_jjP12ihipStream_tbEUlT_E1_NS1_11comp_targetILNS1_3genE5ELNS1_11target_archE942ELNS1_3gpuE9ELNS1_3repE0EEENS1_59segmented_radix_sort_warp_sort_small_config_static_selectorELNS0_4arch9wavefront6targetE0EEEvSK_
	.p2align	8
	.type	_ZN7rocprim17ROCPRIM_400000_NS6detail17trampoline_kernelINS0_14default_configENS1_36segmented_radix_sort_config_selectorIflEEZNS1_25segmented_radix_sort_implIS3_Lb0EPKfPfPKlPlN2at6native12_GLOBAL__N_18offset_tEEE10hipError_tPvRmT1_PNSt15iterator_traitsISK_E10value_typeET2_T3_PNSL_ISQ_E10value_typeET4_jRbjT5_SW_jjP12ihipStream_tbEUlT_E1_NS1_11comp_targetILNS1_3genE5ELNS1_11target_archE942ELNS1_3gpuE9ELNS1_3repE0EEENS1_59segmented_radix_sort_warp_sort_small_config_static_selectorELNS0_4arch9wavefront6targetE0EEEvSK_,@function
_ZN7rocprim17ROCPRIM_400000_NS6detail17trampoline_kernelINS0_14default_configENS1_36segmented_radix_sort_config_selectorIflEEZNS1_25segmented_radix_sort_implIS3_Lb0EPKfPfPKlPlN2at6native12_GLOBAL__N_18offset_tEEE10hipError_tPvRmT1_PNSt15iterator_traitsISK_E10value_typeET2_T3_PNSL_ISQ_E10value_typeET4_jRbjT5_SW_jjP12ihipStream_tbEUlT_E1_NS1_11comp_targetILNS1_3genE5ELNS1_11target_archE942ELNS1_3gpuE9ELNS1_3repE0EEENS1_59segmented_radix_sort_warp_sort_small_config_static_selectorELNS0_4arch9wavefront6targetE0EEEvSK_: ; @_ZN7rocprim17ROCPRIM_400000_NS6detail17trampoline_kernelINS0_14default_configENS1_36segmented_radix_sort_config_selectorIflEEZNS1_25segmented_radix_sort_implIS3_Lb0EPKfPfPKlPlN2at6native12_GLOBAL__N_18offset_tEEE10hipError_tPvRmT1_PNSt15iterator_traitsISK_E10value_typeET2_T3_PNSL_ISQ_E10value_typeET4_jRbjT5_SW_jjP12ihipStream_tbEUlT_E1_NS1_11comp_targetILNS1_3genE5ELNS1_11target_archE942ELNS1_3gpuE9ELNS1_3repE0EEENS1_59segmented_radix_sort_warp_sort_small_config_static_selectorELNS0_4arch9wavefront6targetE0EEEvSK_
; %bb.0:
	.section	.rodata,"a",@progbits
	.p2align	6, 0x0
	.amdhsa_kernel _ZN7rocprim17ROCPRIM_400000_NS6detail17trampoline_kernelINS0_14default_configENS1_36segmented_radix_sort_config_selectorIflEEZNS1_25segmented_radix_sort_implIS3_Lb0EPKfPfPKlPlN2at6native12_GLOBAL__N_18offset_tEEE10hipError_tPvRmT1_PNSt15iterator_traitsISK_E10value_typeET2_T3_PNSL_ISQ_E10value_typeET4_jRbjT5_SW_jjP12ihipStream_tbEUlT_E1_NS1_11comp_targetILNS1_3genE5ELNS1_11target_archE942ELNS1_3gpuE9ELNS1_3repE0EEENS1_59segmented_radix_sort_warp_sort_small_config_static_selectorELNS0_4arch9wavefront6targetE0EEEvSK_
		.amdhsa_group_segment_fixed_size 0
		.amdhsa_private_segment_fixed_size 0
		.amdhsa_kernarg_size 88
		.amdhsa_user_sgpr_count 15
		.amdhsa_user_sgpr_dispatch_ptr 0
		.amdhsa_user_sgpr_queue_ptr 0
		.amdhsa_user_sgpr_kernarg_segment_ptr 1
		.amdhsa_user_sgpr_dispatch_id 0
		.amdhsa_user_sgpr_private_segment_size 0
		.amdhsa_wavefront_size32 1
		.amdhsa_uses_dynamic_stack 0
		.amdhsa_enable_private_segment 0
		.amdhsa_system_sgpr_workgroup_id_x 1
		.amdhsa_system_sgpr_workgroup_id_y 0
		.amdhsa_system_sgpr_workgroup_id_z 0
		.amdhsa_system_sgpr_workgroup_info 0
		.amdhsa_system_vgpr_workitem_id 0
		.amdhsa_next_free_vgpr 1
		.amdhsa_next_free_sgpr 1
		.amdhsa_reserve_vcc 0
		.amdhsa_float_round_mode_32 0
		.amdhsa_float_round_mode_16_64 0
		.amdhsa_float_denorm_mode_32 3
		.amdhsa_float_denorm_mode_16_64 3
		.amdhsa_dx10_clamp 1
		.amdhsa_ieee_mode 1
		.amdhsa_fp16_overflow 0
		.amdhsa_workgroup_processor_mode 1
		.amdhsa_memory_ordered 1
		.amdhsa_forward_progress 0
		.amdhsa_shared_vgpr_count 0
		.amdhsa_exception_fp_ieee_invalid_op 0
		.amdhsa_exception_fp_denorm_src 0
		.amdhsa_exception_fp_ieee_div_zero 0
		.amdhsa_exception_fp_ieee_overflow 0
		.amdhsa_exception_fp_ieee_underflow 0
		.amdhsa_exception_fp_ieee_inexact 0
		.amdhsa_exception_int_div_zero 0
	.end_amdhsa_kernel
	.section	.text._ZN7rocprim17ROCPRIM_400000_NS6detail17trampoline_kernelINS0_14default_configENS1_36segmented_radix_sort_config_selectorIflEEZNS1_25segmented_radix_sort_implIS3_Lb0EPKfPfPKlPlN2at6native12_GLOBAL__N_18offset_tEEE10hipError_tPvRmT1_PNSt15iterator_traitsISK_E10value_typeET2_T3_PNSL_ISQ_E10value_typeET4_jRbjT5_SW_jjP12ihipStream_tbEUlT_E1_NS1_11comp_targetILNS1_3genE5ELNS1_11target_archE942ELNS1_3gpuE9ELNS1_3repE0EEENS1_59segmented_radix_sort_warp_sort_small_config_static_selectorELNS0_4arch9wavefront6targetE0EEEvSK_,"axG",@progbits,_ZN7rocprim17ROCPRIM_400000_NS6detail17trampoline_kernelINS0_14default_configENS1_36segmented_radix_sort_config_selectorIflEEZNS1_25segmented_radix_sort_implIS3_Lb0EPKfPfPKlPlN2at6native12_GLOBAL__N_18offset_tEEE10hipError_tPvRmT1_PNSt15iterator_traitsISK_E10value_typeET2_T3_PNSL_ISQ_E10value_typeET4_jRbjT5_SW_jjP12ihipStream_tbEUlT_E1_NS1_11comp_targetILNS1_3genE5ELNS1_11target_archE942ELNS1_3gpuE9ELNS1_3repE0EEENS1_59segmented_radix_sort_warp_sort_small_config_static_selectorELNS0_4arch9wavefront6targetE0EEEvSK_,comdat
.Lfunc_end1449:
	.size	_ZN7rocprim17ROCPRIM_400000_NS6detail17trampoline_kernelINS0_14default_configENS1_36segmented_radix_sort_config_selectorIflEEZNS1_25segmented_radix_sort_implIS3_Lb0EPKfPfPKlPlN2at6native12_GLOBAL__N_18offset_tEEE10hipError_tPvRmT1_PNSt15iterator_traitsISK_E10value_typeET2_T3_PNSL_ISQ_E10value_typeET4_jRbjT5_SW_jjP12ihipStream_tbEUlT_E1_NS1_11comp_targetILNS1_3genE5ELNS1_11target_archE942ELNS1_3gpuE9ELNS1_3repE0EEENS1_59segmented_radix_sort_warp_sort_small_config_static_selectorELNS0_4arch9wavefront6targetE0EEEvSK_, .Lfunc_end1449-_ZN7rocprim17ROCPRIM_400000_NS6detail17trampoline_kernelINS0_14default_configENS1_36segmented_radix_sort_config_selectorIflEEZNS1_25segmented_radix_sort_implIS3_Lb0EPKfPfPKlPlN2at6native12_GLOBAL__N_18offset_tEEE10hipError_tPvRmT1_PNSt15iterator_traitsISK_E10value_typeET2_T3_PNSL_ISQ_E10value_typeET4_jRbjT5_SW_jjP12ihipStream_tbEUlT_E1_NS1_11comp_targetILNS1_3genE5ELNS1_11target_archE942ELNS1_3gpuE9ELNS1_3repE0EEENS1_59segmented_radix_sort_warp_sort_small_config_static_selectorELNS0_4arch9wavefront6targetE0EEEvSK_
                                        ; -- End function
	.section	.AMDGPU.csdata,"",@progbits
; Kernel info:
; codeLenInByte = 0
; NumSgprs: 0
; NumVgprs: 0
; ScratchSize: 0
; MemoryBound: 0
; FloatMode: 240
; IeeeMode: 1
; LDSByteSize: 0 bytes/workgroup (compile time only)
; SGPRBlocks: 0
; VGPRBlocks: 0
; NumSGPRsForWavesPerEU: 1
; NumVGPRsForWavesPerEU: 1
; Occupancy: 16
; WaveLimiterHint : 0
; COMPUTE_PGM_RSRC2:SCRATCH_EN: 0
; COMPUTE_PGM_RSRC2:USER_SGPR: 15
; COMPUTE_PGM_RSRC2:TRAP_HANDLER: 0
; COMPUTE_PGM_RSRC2:TGID_X_EN: 1
; COMPUTE_PGM_RSRC2:TGID_Y_EN: 0
; COMPUTE_PGM_RSRC2:TGID_Z_EN: 0
; COMPUTE_PGM_RSRC2:TIDIG_COMP_CNT: 0
	.section	.text._ZN7rocprim17ROCPRIM_400000_NS6detail17trampoline_kernelINS0_14default_configENS1_36segmented_radix_sort_config_selectorIflEEZNS1_25segmented_radix_sort_implIS3_Lb0EPKfPfPKlPlN2at6native12_GLOBAL__N_18offset_tEEE10hipError_tPvRmT1_PNSt15iterator_traitsISK_E10value_typeET2_T3_PNSL_ISQ_E10value_typeET4_jRbjT5_SW_jjP12ihipStream_tbEUlT_E1_NS1_11comp_targetILNS1_3genE4ELNS1_11target_archE910ELNS1_3gpuE8ELNS1_3repE0EEENS1_59segmented_radix_sort_warp_sort_small_config_static_selectorELNS0_4arch9wavefront6targetE0EEEvSK_,"axG",@progbits,_ZN7rocprim17ROCPRIM_400000_NS6detail17trampoline_kernelINS0_14default_configENS1_36segmented_radix_sort_config_selectorIflEEZNS1_25segmented_radix_sort_implIS3_Lb0EPKfPfPKlPlN2at6native12_GLOBAL__N_18offset_tEEE10hipError_tPvRmT1_PNSt15iterator_traitsISK_E10value_typeET2_T3_PNSL_ISQ_E10value_typeET4_jRbjT5_SW_jjP12ihipStream_tbEUlT_E1_NS1_11comp_targetILNS1_3genE4ELNS1_11target_archE910ELNS1_3gpuE8ELNS1_3repE0EEENS1_59segmented_radix_sort_warp_sort_small_config_static_selectorELNS0_4arch9wavefront6targetE0EEEvSK_,comdat
	.globl	_ZN7rocprim17ROCPRIM_400000_NS6detail17trampoline_kernelINS0_14default_configENS1_36segmented_radix_sort_config_selectorIflEEZNS1_25segmented_radix_sort_implIS3_Lb0EPKfPfPKlPlN2at6native12_GLOBAL__N_18offset_tEEE10hipError_tPvRmT1_PNSt15iterator_traitsISK_E10value_typeET2_T3_PNSL_ISQ_E10value_typeET4_jRbjT5_SW_jjP12ihipStream_tbEUlT_E1_NS1_11comp_targetILNS1_3genE4ELNS1_11target_archE910ELNS1_3gpuE8ELNS1_3repE0EEENS1_59segmented_radix_sort_warp_sort_small_config_static_selectorELNS0_4arch9wavefront6targetE0EEEvSK_ ; -- Begin function _ZN7rocprim17ROCPRIM_400000_NS6detail17trampoline_kernelINS0_14default_configENS1_36segmented_radix_sort_config_selectorIflEEZNS1_25segmented_radix_sort_implIS3_Lb0EPKfPfPKlPlN2at6native12_GLOBAL__N_18offset_tEEE10hipError_tPvRmT1_PNSt15iterator_traitsISK_E10value_typeET2_T3_PNSL_ISQ_E10value_typeET4_jRbjT5_SW_jjP12ihipStream_tbEUlT_E1_NS1_11comp_targetILNS1_3genE4ELNS1_11target_archE910ELNS1_3gpuE8ELNS1_3repE0EEENS1_59segmented_radix_sort_warp_sort_small_config_static_selectorELNS0_4arch9wavefront6targetE0EEEvSK_
	.p2align	8
	.type	_ZN7rocprim17ROCPRIM_400000_NS6detail17trampoline_kernelINS0_14default_configENS1_36segmented_radix_sort_config_selectorIflEEZNS1_25segmented_radix_sort_implIS3_Lb0EPKfPfPKlPlN2at6native12_GLOBAL__N_18offset_tEEE10hipError_tPvRmT1_PNSt15iterator_traitsISK_E10value_typeET2_T3_PNSL_ISQ_E10value_typeET4_jRbjT5_SW_jjP12ihipStream_tbEUlT_E1_NS1_11comp_targetILNS1_3genE4ELNS1_11target_archE910ELNS1_3gpuE8ELNS1_3repE0EEENS1_59segmented_radix_sort_warp_sort_small_config_static_selectorELNS0_4arch9wavefront6targetE0EEEvSK_,@function
_ZN7rocprim17ROCPRIM_400000_NS6detail17trampoline_kernelINS0_14default_configENS1_36segmented_radix_sort_config_selectorIflEEZNS1_25segmented_radix_sort_implIS3_Lb0EPKfPfPKlPlN2at6native12_GLOBAL__N_18offset_tEEE10hipError_tPvRmT1_PNSt15iterator_traitsISK_E10value_typeET2_T3_PNSL_ISQ_E10value_typeET4_jRbjT5_SW_jjP12ihipStream_tbEUlT_E1_NS1_11comp_targetILNS1_3genE4ELNS1_11target_archE910ELNS1_3gpuE8ELNS1_3repE0EEENS1_59segmented_radix_sort_warp_sort_small_config_static_selectorELNS0_4arch9wavefront6targetE0EEEvSK_: ; @_ZN7rocprim17ROCPRIM_400000_NS6detail17trampoline_kernelINS0_14default_configENS1_36segmented_radix_sort_config_selectorIflEEZNS1_25segmented_radix_sort_implIS3_Lb0EPKfPfPKlPlN2at6native12_GLOBAL__N_18offset_tEEE10hipError_tPvRmT1_PNSt15iterator_traitsISK_E10value_typeET2_T3_PNSL_ISQ_E10value_typeET4_jRbjT5_SW_jjP12ihipStream_tbEUlT_E1_NS1_11comp_targetILNS1_3genE4ELNS1_11target_archE910ELNS1_3gpuE8ELNS1_3repE0EEENS1_59segmented_radix_sort_warp_sort_small_config_static_selectorELNS0_4arch9wavefront6targetE0EEEvSK_
; %bb.0:
	.section	.rodata,"a",@progbits
	.p2align	6, 0x0
	.amdhsa_kernel _ZN7rocprim17ROCPRIM_400000_NS6detail17trampoline_kernelINS0_14default_configENS1_36segmented_radix_sort_config_selectorIflEEZNS1_25segmented_radix_sort_implIS3_Lb0EPKfPfPKlPlN2at6native12_GLOBAL__N_18offset_tEEE10hipError_tPvRmT1_PNSt15iterator_traitsISK_E10value_typeET2_T3_PNSL_ISQ_E10value_typeET4_jRbjT5_SW_jjP12ihipStream_tbEUlT_E1_NS1_11comp_targetILNS1_3genE4ELNS1_11target_archE910ELNS1_3gpuE8ELNS1_3repE0EEENS1_59segmented_radix_sort_warp_sort_small_config_static_selectorELNS0_4arch9wavefront6targetE0EEEvSK_
		.amdhsa_group_segment_fixed_size 0
		.amdhsa_private_segment_fixed_size 0
		.amdhsa_kernarg_size 88
		.amdhsa_user_sgpr_count 15
		.amdhsa_user_sgpr_dispatch_ptr 0
		.amdhsa_user_sgpr_queue_ptr 0
		.amdhsa_user_sgpr_kernarg_segment_ptr 1
		.amdhsa_user_sgpr_dispatch_id 0
		.amdhsa_user_sgpr_private_segment_size 0
		.amdhsa_wavefront_size32 1
		.amdhsa_uses_dynamic_stack 0
		.amdhsa_enable_private_segment 0
		.amdhsa_system_sgpr_workgroup_id_x 1
		.amdhsa_system_sgpr_workgroup_id_y 0
		.amdhsa_system_sgpr_workgroup_id_z 0
		.amdhsa_system_sgpr_workgroup_info 0
		.amdhsa_system_vgpr_workitem_id 0
		.amdhsa_next_free_vgpr 1
		.amdhsa_next_free_sgpr 1
		.amdhsa_reserve_vcc 0
		.amdhsa_float_round_mode_32 0
		.amdhsa_float_round_mode_16_64 0
		.amdhsa_float_denorm_mode_32 3
		.amdhsa_float_denorm_mode_16_64 3
		.amdhsa_dx10_clamp 1
		.amdhsa_ieee_mode 1
		.amdhsa_fp16_overflow 0
		.amdhsa_workgroup_processor_mode 1
		.amdhsa_memory_ordered 1
		.amdhsa_forward_progress 0
		.amdhsa_shared_vgpr_count 0
		.amdhsa_exception_fp_ieee_invalid_op 0
		.amdhsa_exception_fp_denorm_src 0
		.amdhsa_exception_fp_ieee_div_zero 0
		.amdhsa_exception_fp_ieee_overflow 0
		.amdhsa_exception_fp_ieee_underflow 0
		.amdhsa_exception_fp_ieee_inexact 0
		.amdhsa_exception_int_div_zero 0
	.end_amdhsa_kernel
	.section	.text._ZN7rocprim17ROCPRIM_400000_NS6detail17trampoline_kernelINS0_14default_configENS1_36segmented_radix_sort_config_selectorIflEEZNS1_25segmented_radix_sort_implIS3_Lb0EPKfPfPKlPlN2at6native12_GLOBAL__N_18offset_tEEE10hipError_tPvRmT1_PNSt15iterator_traitsISK_E10value_typeET2_T3_PNSL_ISQ_E10value_typeET4_jRbjT5_SW_jjP12ihipStream_tbEUlT_E1_NS1_11comp_targetILNS1_3genE4ELNS1_11target_archE910ELNS1_3gpuE8ELNS1_3repE0EEENS1_59segmented_radix_sort_warp_sort_small_config_static_selectorELNS0_4arch9wavefront6targetE0EEEvSK_,"axG",@progbits,_ZN7rocprim17ROCPRIM_400000_NS6detail17trampoline_kernelINS0_14default_configENS1_36segmented_radix_sort_config_selectorIflEEZNS1_25segmented_radix_sort_implIS3_Lb0EPKfPfPKlPlN2at6native12_GLOBAL__N_18offset_tEEE10hipError_tPvRmT1_PNSt15iterator_traitsISK_E10value_typeET2_T3_PNSL_ISQ_E10value_typeET4_jRbjT5_SW_jjP12ihipStream_tbEUlT_E1_NS1_11comp_targetILNS1_3genE4ELNS1_11target_archE910ELNS1_3gpuE8ELNS1_3repE0EEENS1_59segmented_radix_sort_warp_sort_small_config_static_selectorELNS0_4arch9wavefront6targetE0EEEvSK_,comdat
.Lfunc_end1450:
	.size	_ZN7rocprim17ROCPRIM_400000_NS6detail17trampoline_kernelINS0_14default_configENS1_36segmented_radix_sort_config_selectorIflEEZNS1_25segmented_radix_sort_implIS3_Lb0EPKfPfPKlPlN2at6native12_GLOBAL__N_18offset_tEEE10hipError_tPvRmT1_PNSt15iterator_traitsISK_E10value_typeET2_T3_PNSL_ISQ_E10value_typeET4_jRbjT5_SW_jjP12ihipStream_tbEUlT_E1_NS1_11comp_targetILNS1_3genE4ELNS1_11target_archE910ELNS1_3gpuE8ELNS1_3repE0EEENS1_59segmented_radix_sort_warp_sort_small_config_static_selectorELNS0_4arch9wavefront6targetE0EEEvSK_, .Lfunc_end1450-_ZN7rocprim17ROCPRIM_400000_NS6detail17trampoline_kernelINS0_14default_configENS1_36segmented_radix_sort_config_selectorIflEEZNS1_25segmented_radix_sort_implIS3_Lb0EPKfPfPKlPlN2at6native12_GLOBAL__N_18offset_tEEE10hipError_tPvRmT1_PNSt15iterator_traitsISK_E10value_typeET2_T3_PNSL_ISQ_E10value_typeET4_jRbjT5_SW_jjP12ihipStream_tbEUlT_E1_NS1_11comp_targetILNS1_3genE4ELNS1_11target_archE910ELNS1_3gpuE8ELNS1_3repE0EEENS1_59segmented_radix_sort_warp_sort_small_config_static_selectorELNS0_4arch9wavefront6targetE0EEEvSK_
                                        ; -- End function
	.section	.AMDGPU.csdata,"",@progbits
; Kernel info:
; codeLenInByte = 0
; NumSgprs: 0
; NumVgprs: 0
; ScratchSize: 0
; MemoryBound: 0
; FloatMode: 240
; IeeeMode: 1
; LDSByteSize: 0 bytes/workgroup (compile time only)
; SGPRBlocks: 0
; VGPRBlocks: 0
; NumSGPRsForWavesPerEU: 1
; NumVGPRsForWavesPerEU: 1
; Occupancy: 16
; WaveLimiterHint : 0
; COMPUTE_PGM_RSRC2:SCRATCH_EN: 0
; COMPUTE_PGM_RSRC2:USER_SGPR: 15
; COMPUTE_PGM_RSRC2:TRAP_HANDLER: 0
; COMPUTE_PGM_RSRC2:TGID_X_EN: 1
; COMPUTE_PGM_RSRC2:TGID_Y_EN: 0
; COMPUTE_PGM_RSRC2:TGID_Z_EN: 0
; COMPUTE_PGM_RSRC2:TIDIG_COMP_CNT: 0
	.section	.text._ZN7rocprim17ROCPRIM_400000_NS6detail17trampoline_kernelINS0_14default_configENS1_36segmented_radix_sort_config_selectorIflEEZNS1_25segmented_radix_sort_implIS3_Lb0EPKfPfPKlPlN2at6native12_GLOBAL__N_18offset_tEEE10hipError_tPvRmT1_PNSt15iterator_traitsISK_E10value_typeET2_T3_PNSL_ISQ_E10value_typeET4_jRbjT5_SW_jjP12ihipStream_tbEUlT_E1_NS1_11comp_targetILNS1_3genE3ELNS1_11target_archE908ELNS1_3gpuE7ELNS1_3repE0EEENS1_59segmented_radix_sort_warp_sort_small_config_static_selectorELNS0_4arch9wavefront6targetE0EEEvSK_,"axG",@progbits,_ZN7rocprim17ROCPRIM_400000_NS6detail17trampoline_kernelINS0_14default_configENS1_36segmented_radix_sort_config_selectorIflEEZNS1_25segmented_radix_sort_implIS3_Lb0EPKfPfPKlPlN2at6native12_GLOBAL__N_18offset_tEEE10hipError_tPvRmT1_PNSt15iterator_traitsISK_E10value_typeET2_T3_PNSL_ISQ_E10value_typeET4_jRbjT5_SW_jjP12ihipStream_tbEUlT_E1_NS1_11comp_targetILNS1_3genE3ELNS1_11target_archE908ELNS1_3gpuE7ELNS1_3repE0EEENS1_59segmented_radix_sort_warp_sort_small_config_static_selectorELNS0_4arch9wavefront6targetE0EEEvSK_,comdat
	.globl	_ZN7rocprim17ROCPRIM_400000_NS6detail17trampoline_kernelINS0_14default_configENS1_36segmented_radix_sort_config_selectorIflEEZNS1_25segmented_radix_sort_implIS3_Lb0EPKfPfPKlPlN2at6native12_GLOBAL__N_18offset_tEEE10hipError_tPvRmT1_PNSt15iterator_traitsISK_E10value_typeET2_T3_PNSL_ISQ_E10value_typeET4_jRbjT5_SW_jjP12ihipStream_tbEUlT_E1_NS1_11comp_targetILNS1_3genE3ELNS1_11target_archE908ELNS1_3gpuE7ELNS1_3repE0EEENS1_59segmented_radix_sort_warp_sort_small_config_static_selectorELNS0_4arch9wavefront6targetE0EEEvSK_ ; -- Begin function _ZN7rocprim17ROCPRIM_400000_NS6detail17trampoline_kernelINS0_14default_configENS1_36segmented_radix_sort_config_selectorIflEEZNS1_25segmented_radix_sort_implIS3_Lb0EPKfPfPKlPlN2at6native12_GLOBAL__N_18offset_tEEE10hipError_tPvRmT1_PNSt15iterator_traitsISK_E10value_typeET2_T3_PNSL_ISQ_E10value_typeET4_jRbjT5_SW_jjP12ihipStream_tbEUlT_E1_NS1_11comp_targetILNS1_3genE3ELNS1_11target_archE908ELNS1_3gpuE7ELNS1_3repE0EEENS1_59segmented_radix_sort_warp_sort_small_config_static_selectorELNS0_4arch9wavefront6targetE0EEEvSK_
	.p2align	8
	.type	_ZN7rocprim17ROCPRIM_400000_NS6detail17trampoline_kernelINS0_14default_configENS1_36segmented_radix_sort_config_selectorIflEEZNS1_25segmented_radix_sort_implIS3_Lb0EPKfPfPKlPlN2at6native12_GLOBAL__N_18offset_tEEE10hipError_tPvRmT1_PNSt15iterator_traitsISK_E10value_typeET2_T3_PNSL_ISQ_E10value_typeET4_jRbjT5_SW_jjP12ihipStream_tbEUlT_E1_NS1_11comp_targetILNS1_3genE3ELNS1_11target_archE908ELNS1_3gpuE7ELNS1_3repE0EEENS1_59segmented_radix_sort_warp_sort_small_config_static_selectorELNS0_4arch9wavefront6targetE0EEEvSK_,@function
_ZN7rocprim17ROCPRIM_400000_NS6detail17trampoline_kernelINS0_14default_configENS1_36segmented_radix_sort_config_selectorIflEEZNS1_25segmented_radix_sort_implIS3_Lb0EPKfPfPKlPlN2at6native12_GLOBAL__N_18offset_tEEE10hipError_tPvRmT1_PNSt15iterator_traitsISK_E10value_typeET2_T3_PNSL_ISQ_E10value_typeET4_jRbjT5_SW_jjP12ihipStream_tbEUlT_E1_NS1_11comp_targetILNS1_3genE3ELNS1_11target_archE908ELNS1_3gpuE7ELNS1_3repE0EEENS1_59segmented_radix_sort_warp_sort_small_config_static_selectorELNS0_4arch9wavefront6targetE0EEEvSK_: ; @_ZN7rocprim17ROCPRIM_400000_NS6detail17trampoline_kernelINS0_14default_configENS1_36segmented_radix_sort_config_selectorIflEEZNS1_25segmented_radix_sort_implIS3_Lb0EPKfPfPKlPlN2at6native12_GLOBAL__N_18offset_tEEE10hipError_tPvRmT1_PNSt15iterator_traitsISK_E10value_typeET2_T3_PNSL_ISQ_E10value_typeET4_jRbjT5_SW_jjP12ihipStream_tbEUlT_E1_NS1_11comp_targetILNS1_3genE3ELNS1_11target_archE908ELNS1_3gpuE7ELNS1_3repE0EEENS1_59segmented_radix_sort_warp_sort_small_config_static_selectorELNS0_4arch9wavefront6targetE0EEEvSK_
; %bb.0:
	.section	.rodata,"a",@progbits
	.p2align	6, 0x0
	.amdhsa_kernel _ZN7rocprim17ROCPRIM_400000_NS6detail17trampoline_kernelINS0_14default_configENS1_36segmented_radix_sort_config_selectorIflEEZNS1_25segmented_radix_sort_implIS3_Lb0EPKfPfPKlPlN2at6native12_GLOBAL__N_18offset_tEEE10hipError_tPvRmT1_PNSt15iterator_traitsISK_E10value_typeET2_T3_PNSL_ISQ_E10value_typeET4_jRbjT5_SW_jjP12ihipStream_tbEUlT_E1_NS1_11comp_targetILNS1_3genE3ELNS1_11target_archE908ELNS1_3gpuE7ELNS1_3repE0EEENS1_59segmented_radix_sort_warp_sort_small_config_static_selectorELNS0_4arch9wavefront6targetE0EEEvSK_
		.amdhsa_group_segment_fixed_size 0
		.amdhsa_private_segment_fixed_size 0
		.amdhsa_kernarg_size 88
		.amdhsa_user_sgpr_count 15
		.amdhsa_user_sgpr_dispatch_ptr 0
		.amdhsa_user_sgpr_queue_ptr 0
		.amdhsa_user_sgpr_kernarg_segment_ptr 1
		.amdhsa_user_sgpr_dispatch_id 0
		.amdhsa_user_sgpr_private_segment_size 0
		.amdhsa_wavefront_size32 1
		.amdhsa_uses_dynamic_stack 0
		.amdhsa_enable_private_segment 0
		.amdhsa_system_sgpr_workgroup_id_x 1
		.amdhsa_system_sgpr_workgroup_id_y 0
		.amdhsa_system_sgpr_workgroup_id_z 0
		.amdhsa_system_sgpr_workgroup_info 0
		.amdhsa_system_vgpr_workitem_id 0
		.amdhsa_next_free_vgpr 1
		.amdhsa_next_free_sgpr 1
		.amdhsa_reserve_vcc 0
		.amdhsa_float_round_mode_32 0
		.amdhsa_float_round_mode_16_64 0
		.amdhsa_float_denorm_mode_32 3
		.amdhsa_float_denorm_mode_16_64 3
		.amdhsa_dx10_clamp 1
		.amdhsa_ieee_mode 1
		.amdhsa_fp16_overflow 0
		.amdhsa_workgroup_processor_mode 1
		.amdhsa_memory_ordered 1
		.amdhsa_forward_progress 0
		.amdhsa_shared_vgpr_count 0
		.amdhsa_exception_fp_ieee_invalid_op 0
		.amdhsa_exception_fp_denorm_src 0
		.amdhsa_exception_fp_ieee_div_zero 0
		.amdhsa_exception_fp_ieee_overflow 0
		.amdhsa_exception_fp_ieee_underflow 0
		.amdhsa_exception_fp_ieee_inexact 0
		.amdhsa_exception_int_div_zero 0
	.end_amdhsa_kernel
	.section	.text._ZN7rocprim17ROCPRIM_400000_NS6detail17trampoline_kernelINS0_14default_configENS1_36segmented_radix_sort_config_selectorIflEEZNS1_25segmented_radix_sort_implIS3_Lb0EPKfPfPKlPlN2at6native12_GLOBAL__N_18offset_tEEE10hipError_tPvRmT1_PNSt15iterator_traitsISK_E10value_typeET2_T3_PNSL_ISQ_E10value_typeET4_jRbjT5_SW_jjP12ihipStream_tbEUlT_E1_NS1_11comp_targetILNS1_3genE3ELNS1_11target_archE908ELNS1_3gpuE7ELNS1_3repE0EEENS1_59segmented_radix_sort_warp_sort_small_config_static_selectorELNS0_4arch9wavefront6targetE0EEEvSK_,"axG",@progbits,_ZN7rocprim17ROCPRIM_400000_NS6detail17trampoline_kernelINS0_14default_configENS1_36segmented_radix_sort_config_selectorIflEEZNS1_25segmented_radix_sort_implIS3_Lb0EPKfPfPKlPlN2at6native12_GLOBAL__N_18offset_tEEE10hipError_tPvRmT1_PNSt15iterator_traitsISK_E10value_typeET2_T3_PNSL_ISQ_E10value_typeET4_jRbjT5_SW_jjP12ihipStream_tbEUlT_E1_NS1_11comp_targetILNS1_3genE3ELNS1_11target_archE908ELNS1_3gpuE7ELNS1_3repE0EEENS1_59segmented_radix_sort_warp_sort_small_config_static_selectorELNS0_4arch9wavefront6targetE0EEEvSK_,comdat
.Lfunc_end1451:
	.size	_ZN7rocprim17ROCPRIM_400000_NS6detail17trampoline_kernelINS0_14default_configENS1_36segmented_radix_sort_config_selectorIflEEZNS1_25segmented_radix_sort_implIS3_Lb0EPKfPfPKlPlN2at6native12_GLOBAL__N_18offset_tEEE10hipError_tPvRmT1_PNSt15iterator_traitsISK_E10value_typeET2_T3_PNSL_ISQ_E10value_typeET4_jRbjT5_SW_jjP12ihipStream_tbEUlT_E1_NS1_11comp_targetILNS1_3genE3ELNS1_11target_archE908ELNS1_3gpuE7ELNS1_3repE0EEENS1_59segmented_radix_sort_warp_sort_small_config_static_selectorELNS0_4arch9wavefront6targetE0EEEvSK_, .Lfunc_end1451-_ZN7rocprim17ROCPRIM_400000_NS6detail17trampoline_kernelINS0_14default_configENS1_36segmented_radix_sort_config_selectorIflEEZNS1_25segmented_radix_sort_implIS3_Lb0EPKfPfPKlPlN2at6native12_GLOBAL__N_18offset_tEEE10hipError_tPvRmT1_PNSt15iterator_traitsISK_E10value_typeET2_T3_PNSL_ISQ_E10value_typeET4_jRbjT5_SW_jjP12ihipStream_tbEUlT_E1_NS1_11comp_targetILNS1_3genE3ELNS1_11target_archE908ELNS1_3gpuE7ELNS1_3repE0EEENS1_59segmented_radix_sort_warp_sort_small_config_static_selectorELNS0_4arch9wavefront6targetE0EEEvSK_
                                        ; -- End function
	.section	.AMDGPU.csdata,"",@progbits
; Kernel info:
; codeLenInByte = 0
; NumSgprs: 0
; NumVgprs: 0
; ScratchSize: 0
; MemoryBound: 0
; FloatMode: 240
; IeeeMode: 1
; LDSByteSize: 0 bytes/workgroup (compile time only)
; SGPRBlocks: 0
; VGPRBlocks: 0
; NumSGPRsForWavesPerEU: 1
; NumVGPRsForWavesPerEU: 1
; Occupancy: 16
; WaveLimiterHint : 0
; COMPUTE_PGM_RSRC2:SCRATCH_EN: 0
; COMPUTE_PGM_RSRC2:USER_SGPR: 15
; COMPUTE_PGM_RSRC2:TRAP_HANDLER: 0
; COMPUTE_PGM_RSRC2:TGID_X_EN: 1
; COMPUTE_PGM_RSRC2:TGID_Y_EN: 0
; COMPUTE_PGM_RSRC2:TGID_Z_EN: 0
; COMPUTE_PGM_RSRC2:TIDIG_COMP_CNT: 0
	.section	.text._ZN7rocprim17ROCPRIM_400000_NS6detail17trampoline_kernelINS0_14default_configENS1_36segmented_radix_sort_config_selectorIflEEZNS1_25segmented_radix_sort_implIS3_Lb0EPKfPfPKlPlN2at6native12_GLOBAL__N_18offset_tEEE10hipError_tPvRmT1_PNSt15iterator_traitsISK_E10value_typeET2_T3_PNSL_ISQ_E10value_typeET4_jRbjT5_SW_jjP12ihipStream_tbEUlT_E1_NS1_11comp_targetILNS1_3genE2ELNS1_11target_archE906ELNS1_3gpuE6ELNS1_3repE0EEENS1_59segmented_radix_sort_warp_sort_small_config_static_selectorELNS0_4arch9wavefront6targetE0EEEvSK_,"axG",@progbits,_ZN7rocprim17ROCPRIM_400000_NS6detail17trampoline_kernelINS0_14default_configENS1_36segmented_radix_sort_config_selectorIflEEZNS1_25segmented_radix_sort_implIS3_Lb0EPKfPfPKlPlN2at6native12_GLOBAL__N_18offset_tEEE10hipError_tPvRmT1_PNSt15iterator_traitsISK_E10value_typeET2_T3_PNSL_ISQ_E10value_typeET4_jRbjT5_SW_jjP12ihipStream_tbEUlT_E1_NS1_11comp_targetILNS1_3genE2ELNS1_11target_archE906ELNS1_3gpuE6ELNS1_3repE0EEENS1_59segmented_radix_sort_warp_sort_small_config_static_selectorELNS0_4arch9wavefront6targetE0EEEvSK_,comdat
	.globl	_ZN7rocprim17ROCPRIM_400000_NS6detail17trampoline_kernelINS0_14default_configENS1_36segmented_radix_sort_config_selectorIflEEZNS1_25segmented_radix_sort_implIS3_Lb0EPKfPfPKlPlN2at6native12_GLOBAL__N_18offset_tEEE10hipError_tPvRmT1_PNSt15iterator_traitsISK_E10value_typeET2_T3_PNSL_ISQ_E10value_typeET4_jRbjT5_SW_jjP12ihipStream_tbEUlT_E1_NS1_11comp_targetILNS1_3genE2ELNS1_11target_archE906ELNS1_3gpuE6ELNS1_3repE0EEENS1_59segmented_radix_sort_warp_sort_small_config_static_selectorELNS0_4arch9wavefront6targetE0EEEvSK_ ; -- Begin function _ZN7rocprim17ROCPRIM_400000_NS6detail17trampoline_kernelINS0_14default_configENS1_36segmented_radix_sort_config_selectorIflEEZNS1_25segmented_radix_sort_implIS3_Lb0EPKfPfPKlPlN2at6native12_GLOBAL__N_18offset_tEEE10hipError_tPvRmT1_PNSt15iterator_traitsISK_E10value_typeET2_T3_PNSL_ISQ_E10value_typeET4_jRbjT5_SW_jjP12ihipStream_tbEUlT_E1_NS1_11comp_targetILNS1_3genE2ELNS1_11target_archE906ELNS1_3gpuE6ELNS1_3repE0EEENS1_59segmented_radix_sort_warp_sort_small_config_static_selectorELNS0_4arch9wavefront6targetE0EEEvSK_
	.p2align	8
	.type	_ZN7rocprim17ROCPRIM_400000_NS6detail17trampoline_kernelINS0_14default_configENS1_36segmented_radix_sort_config_selectorIflEEZNS1_25segmented_radix_sort_implIS3_Lb0EPKfPfPKlPlN2at6native12_GLOBAL__N_18offset_tEEE10hipError_tPvRmT1_PNSt15iterator_traitsISK_E10value_typeET2_T3_PNSL_ISQ_E10value_typeET4_jRbjT5_SW_jjP12ihipStream_tbEUlT_E1_NS1_11comp_targetILNS1_3genE2ELNS1_11target_archE906ELNS1_3gpuE6ELNS1_3repE0EEENS1_59segmented_radix_sort_warp_sort_small_config_static_selectorELNS0_4arch9wavefront6targetE0EEEvSK_,@function
_ZN7rocprim17ROCPRIM_400000_NS6detail17trampoline_kernelINS0_14default_configENS1_36segmented_radix_sort_config_selectorIflEEZNS1_25segmented_radix_sort_implIS3_Lb0EPKfPfPKlPlN2at6native12_GLOBAL__N_18offset_tEEE10hipError_tPvRmT1_PNSt15iterator_traitsISK_E10value_typeET2_T3_PNSL_ISQ_E10value_typeET4_jRbjT5_SW_jjP12ihipStream_tbEUlT_E1_NS1_11comp_targetILNS1_3genE2ELNS1_11target_archE906ELNS1_3gpuE6ELNS1_3repE0EEENS1_59segmented_radix_sort_warp_sort_small_config_static_selectorELNS0_4arch9wavefront6targetE0EEEvSK_: ; @_ZN7rocprim17ROCPRIM_400000_NS6detail17trampoline_kernelINS0_14default_configENS1_36segmented_radix_sort_config_selectorIflEEZNS1_25segmented_radix_sort_implIS3_Lb0EPKfPfPKlPlN2at6native12_GLOBAL__N_18offset_tEEE10hipError_tPvRmT1_PNSt15iterator_traitsISK_E10value_typeET2_T3_PNSL_ISQ_E10value_typeET4_jRbjT5_SW_jjP12ihipStream_tbEUlT_E1_NS1_11comp_targetILNS1_3genE2ELNS1_11target_archE906ELNS1_3gpuE6ELNS1_3repE0EEENS1_59segmented_radix_sort_warp_sort_small_config_static_selectorELNS0_4arch9wavefront6targetE0EEEvSK_
; %bb.0:
	.section	.rodata,"a",@progbits
	.p2align	6, 0x0
	.amdhsa_kernel _ZN7rocprim17ROCPRIM_400000_NS6detail17trampoline_kernelINS0_14default_configENS1_36segmented_radix_sort_config_selectorIflEEZNS1_25segmented_radix_sort_implIS3_Lb0EPKfPfPKlPlN2at6native12_GLOBAL__N_18offset_tEEE10hipError_tPvRmT1_PNSt15iterator_traitsISK_E10value_typeET2_T3_PNSL_ISQ_E10value_typeET4_jRbjT5_SW_jjP12ihipStream_tbEUlT_E1_NS1_11comp_targetILNS1_3genE2ELNS1_11target_archE906ELNS1_3gpuE6ELNS1_3repE0EEENS1_59segmented_radix_sort_warp_sort_small_config_static_selectorELNS0_4arch9wavefront6targetE0EEEvSK_
		.amdhsa_group_segment_fixed_size 0
		.amdhsa_private_segment_fixed_size 0
		.amdhsa_kernarg_size 88
		.amdhsa_user_sgpr_count 15
		.amdhsa_user_sgpr_dispatch_ptr 0
		.amdhsa_user_sgpr_queue_ptr 0
		.amdhsa_user_sgpr_kernarg_segment_ptr 1
		.amdhsa_user_sgpr_dispatch_id 0
		.amdhsa_user_sgpr_private_segment_size 0
		.amdhsa_wavefront_size32 1
		.amdhsa_uses_dynamic_stack 0
		.amdhsa_enable_private_segment 0
		.amdhsa_system_sgpr_workgroup_id_x 1
		.amdhsa_system_sgpr_workgroup_id_y 0
		.amdhsa_system_sgpr_workgroup_id_z 0
		.amdhsa_system_sgpr_workgroup_info 0
		.amdhsa_system_vgpr_workitem_id 0
		.amdhsa_next_free_vgpr 1
		.amdhsa_next_free_sgpr 1
		.amdhsa_reserve_vcc 0
		.amdhsa_float_round_mode_32 0
		.amdhsa_float_round_mode_16_64 0
		.amdhsa_float_denorm_mode_32 3
		.amdhsa_float_denorm_mode_16_64 3
		.amdhsa_dx10_clamp 1
		.amdhsa_ieee_mode 1
		.amdhsa_fp16_overflow 0
		.amdhsa_workgroup_processor_mode 1
		.amdhsa_memory_ordered 1
		.amdhsa_forward_progress 0
		.amdhsa_shared_vgpr_count 0
		.amdhsa_exception_fp_ieee_invalid_op 0
		.amdhsa_exception_fp_denorm_src 0
		.amdhsa_exception_fp_ieee_div_zero 0
		.amdhsa_exception_fp_ieee_overflow 0
		.amdhsa_exception_fp_ieee_underflow 0
		.amdhsa_exception_fp_ieee_inexact 0
		.amdhsa_exception_int_div_zero 0
	.end_amdhsa_kernel
	.section	.text._ZN7rocprim17ROCPRIM_400000_NS6detail17trampoline_kernelINS0_14default_configENS1_36segmented_radix_sort_config_selectorIflEEZNS1_25segmented_radix_sort_implIS3_Lb0EPKfPfPKlPlN2at6native12_GLOBAL__N_18offset_tEEE10hipError_tPvRmT1_PNSt15iterator_traitsISK_E10value_typeET2_T3_PNSL_ISQ_E10value_typeET4_jRbjT5_SW_jjP12ihipStream_tbEUlT_E1_NS1_11comp_targetILNS1_3genE2ELNS1_11target_archE906ELNS1_3gpuE6ELNS1_3repE0EEENS1_59segmented_radix_sort_warp_sort_small_config_static_selectorELNS0_4arch9wavefront6targetE0EEEvSK_,"axG",@progbits,_ZN7rocprim17ROCPRIM_400000_NS6detail17trampoline_kernelINS0_14default_configENS1_36segmented_radix_sort_config_selectorIflEEZNS1_25segmented_radix_sort_implIS3_Lb0EPKfPfPKlPlN2at6native12_GLOBAL__N_18offset_tEEE10hipError_tPvRmT1_PNSt15iterator_traitsISK_E10value_typeET2_T3_PNSL_ISQ_E10value_typeET4_jRbjT5_SW_jjP12ihipStream_tbEUlT_E1_NS1_11comp_targetILNS1_3genE2ELNS1_11target_archE906ELNS1_3gpuE6ELNS1_3repE0EEENS1_59segmented_radix_sort_warp_sort_small_config_static_selectorELNS0_4arch9wavefront6targetE0EEEvSK_,comdat
.Lfunc_end1452:
	.size	_ZN7rocprim17ROCPRIM_400000_NS6detail17trampoline_kernelINS0_14default_configENS1_36segmented_radix_sort_config_selectorIflEEZNS1_25segmented_radix_sort_implIS3_Lb0EPKfPfPKlPlN2at6native12_GLOBAL__N_18offset_tEEE10hipError_tPvRmT1_PNSt15iterator_traitsISK_E10value_typeET2_T3_PNSL_ISQ_E10value_typeET4_jRbjT5_SW_jjP12ihipStream_tbEUlT_E1_NS1_11comp_targetILNS1_3genE2ELNS1_11target_archE906ELNS1_3gpuE6ELNS1_3repE0EEENS1_59segmented_radix_sort_warp_sort_small_config_static_selectorELNS0_4arch9wavefront6targetE0EEEvSK_, .Lfunc_end1452-_ZN7rocprim17ROCPRIM_400000_NS6detail17trampoline_kernelINS0_14default_configENS1_36segmented_radix_sort_config_selectorIflEEZNS1_25segmented_radix_sort_implIS3_Lb0EPKfPfPKlPlN2at6native12_GLOBAL__N_18offset_tEEE10hipError_tPvRmT1_PNSt15iterator_traitsISK_E10value_typeET2_T3_PNSL_ISQ_E10value_typeET4_jRbjT5_SW_jjP12ihipStream_tbEUlT_E1_NS1_11comp_targetILNS1_3genE2ELNS1_11target_archE906ELNS1_3gpuE6ELNS1_3repE0EEENS1_59segmented_radix_sort_warp_sort_small_config_static_selectorELNS0_4arch9wavefront6targetE0EEEvSK_
                                        ; -- End function
	.section	.AMDGPU.csdata,"",@progbits
; Kernel info:
; codeLenInByte = 0
; NumSgprs: 0
; NumVgprs: 0
; ScratchSize: 0
; MemoryBound: 0
; FloatMode: 240
; IeeeMode: 1
; LDSByteSize: 0 bytes/workgroup (compile time only)
; SGPRBlocks: 0
; VGPRBlocks: 0
; NumSGPRsForWavesPerEU: 1
; NumVGPRsForWavesPerEU: 1
; Occupancy: 16
; WaveLimiterHint : 0
; COMPUTE_PGM_RSRC2:SCRATCH_EN: 0
; COMPUTE_PGM_RSRC2:USER_SGPR: 15
; COMPUTE_PGM_RSRC2:TRAP_HANDLER: 0
; COMPUTE_PGM_RSRC2:TGID_X_EN: 1
; COMPUTE_PGM_RSRC2:TGID_Y_EN: 0
; COMPUTE_PGM_RSRC2:TGID_Z_EN: 0
; COMPUTE_PGM_RSRC2:TIDIG_COMP_CNT: 0
	.section	.text._ZN7rocprim17ROCPRIM_400000_NS6detail17trampoline_kernelINS0_14default_configENS1_36segmented_radix_sort_config_selectorIflEEZNS1_25segmented_radix_sort_implIS3_Lb0EPKfPfPKlPlN2at6native12_GLOBAL__N_18offset_tEEE10hipError_tPvRmT1_PNSt15iterator_traitsISK_E10value_typeET2_T3_PNSL_ISQ_E10value_typeET4_jRbjT5_SW_jjP12ihipStream_tbEUlT_E1_NS1_11comp_targetILNS1_3genE10ELNS1_11target_archE1201ELNS1_3gpuE5ELNS1_3repE0EEENS1_59segmented_radix_sort_warp_sort_small_config_static_selectorELNS0_4arch9wavefront6targetE0EEEvSK_,"axG",@progbits,_ZN7rocprim17ROCPRIM_400000_NS6detail17trampoline_kernelINS0_14default_configENS1_36segmented_radix_sort_config_selectorIflEEZNS1_25segmented_radix_sort_implIS3_Lb0EPKfPfPKlPlN2at6native12_GLOBAL__N_18offset_tEEE10hipError_tPvRmT1_PNSt15iterator_traitsISK_E10value_typeET2_T3_PNSL_ISQ_E10value_typeET4_jRbjT5_SW_jjP12ihipStream_tbEUlT_E1_NS1_11comp_targetILNS1_3genE10ELNS1_11target_archE1201ELNS1_3gpuE5ELNS1_3repE0EEENS1_59segmented_radix_sort_warp_sort_small_config_static_selectorELNS0_4arch9wavefront6targetE0EEEvSK_,comdat
	.globl	_ZN7rocprim17ROCPRIM_400000_NS6detail17trampoline_kernelINS0_14default_configENS1_36segmented_radix_sort_config_selectorIflEEZNS1_25segmented_radix_sort_implIS3_Lb0EPKfPfPKlPlN2at6native12_GLOBAL__N_18offset_tEEE10hipError_tPvRmT1_PNSt15iterator_traitsISK_E10value_typeET2_T3_PNSL_ISQ_E10value_typeET4_jRbjT5_SW_jjP12ihipStream_tbEUlT_E1_NS1_11comp_targetILNS1_3genE10ELNS1_11target_archE1201ELNS1_3gpuE5ELNS1_3repE0EEENS1_59segmented_radix_sort_warp_sort_small_config_static_selectorELNS0_4arch9wavefront6targetE0EEEvSK_ ; -- Begin function _ZN7rocprim17ROCPRIM_400000_NS6detail17trampoline_kernelINS0_14default_configENS1_36segmented_radix_sort_config_selectorIflEEZNS1_25segmented_radix_sort_implIS3_Lb0EPKfPfPKlPlN2at6native12_GLOBAL__N_18offset_tEEE10hipError_tPvRmT1_PNSt15iterator_traitsISK_E10value_typeET2_T3_PNSL_ISQ_E10value_typeET4_jRbjT5_SW_jjP12ihipStream_tbEUlT_E1_NS1_11comp_targetILNS1_3genE10ELNS1_11target_archE1201ELNS1_3gpuE5ELNS1_3repE0EEENS1_59segmented_radix_sort_warp_sort_small_config_static_selectorELNS0_4arch9wavefront6targetE0EEEvSK_
	.p2align	8
	.type	_ZN7rocprim17ROCPRIM_400000_NS6detail17trampoline_kernelINS0_14default_configENS1_36segmented_radix_sort_config_selectorIflEEZNS1_25segmented_radix_sort_implIS3_Lb0EPKfPfPKlPlN2at6native12_GLOBAL__N_18offset_tEEE10hipError_tPvRmT1_PNSt15iterator_traitsISK_E10value_typeET2_T3_PNSL_ISQ_E10value_typeET4_jRbjT5_SW_jjP12ihipStream_tbEUlT_E1_NS1_11comp_targetILNS1_3genE10ELNS1_11target_archE1201ELNS1_3gpuE5ELNS1_3repE0EEENS1_59segmented_radix_sort_warp_sort_small_config_static_selectorELNS0_4arch9wavefront6targetE0EEEvSK_,@function
_ZN7rocprim17ROCPRIM_400000_NS6detail17trampoline_kernelINS0_14default_configENS1_36segmented_radix_sort_config_selectorIflEEZNS1_25segmented_radix_sort_implIS3_Lb0EPKfPfPKlPlN2at6native12_GLOBAL__N_18offset_tEEE10hipError_tPvRmT1_PNSt15iterator_traitsISK_E10value_typeET2_T3_PNSL_ISQ_E10value_typeET4_jRbjT5_SW_jjP12ihipStream_tbEUlT_E1_NS1_11comp_targetILNS1_3genE10ELNS1_11target_archE1201ELNS1_3gpuE5ELNS1_3repE0EEENS1_59segmented_radix_sort_warp_sort_small_config_static_selectorELNS0_4arch9wavefront6targetE0EEEvSK_: ; @_ZN7rocprim17ROCPRIM_400000_NS6detail17trampoline_kernelINS0_14default_configENS1_36segmented_radix_sort_config_selectorIflEEZNS1_25segmented_radix_sort_implIS3_Lb0EPKfPfPKlPlN2at6native12_GLOBAL__N_18offset_tEEE10hipError_tPvRmT1_PNSt15iterator_traitsISK_E10value_typeET2_T3_PNSL_ISQ_E10value_typeET4_jRbjT5_SW_jjP12ihipStream_tbEUlT_E1_NS1_11comp_targetILNS1_3genE10ELNS1_11target_archE1201ELNS1_3gpuE5ELNS1_3repE0EEENS1_59segmented_radix_sort_warp_sort_small_config_static_selectorELNS0_4arch9wavefront6targetE0EEEvSK_
; %bb.0:
	.section	.rodata,"a",@progbits
	.p2align	6, 0x0
	.amdhsa_kernel _ZN7rocprim17ROCPRIM_400000_NS6detail17trampoline_kernelINS0_14default_configENS1_36segmented_radix_sort_config_selectorIflEEZNS1_25segmented_radix_sort_implIS3_Lb0EPKfPfPKlPlN2at6native12_GLOBAL__N_18offset_tEEE10hipError_tPvRmT1_PNSt15iterator_traitsISK_E10value_typeET2_T3_PNSL_ISQ_E10value_typeET4_jRbjT5_SW_jjP12ihipStream_tbEUlT_E1_NS1_11comp_targetILNS1_3genE10ELNS1_11target_archE1201ELNS1_3gpuE5ELNS1_3repE0EEENS1_59segmented_radix_sort_warp_sort_small_config_static_selectorELNS0_4arch9wavefront6targetE0EEEvSK_
		.amdhsa_group_segment_fixed_size 0
		.amdhsa_private_segment_fixed_size 0
		.amdhsa_kernarg_size 88
		.amdhsa_user_sgpr_count 15
		.amdhsa_user_sgpr_dispatch_ptr 0
		.amdhsa_user_sgpr_queue_ptr 0
		.amdhsa_user_sgpr_kernarg_segment_ptr 1
		.amdhsa_user_sgpr_dispatch_id 0
		.amdhsa_user_sgpr_private_segment_size 0
		.amdhsa_wavefront_size32 1
		.amdhsa_uses_dynamic_stack 0
		.amdhsa_enable_private_segment 0
		.amdhsa_system_sgpr_workgroup_id_x 1
		.amdhsa_system_sgpr_workgroup_id_y 0
		.amdhsa_system_sgpr_workgroup_id_z 0
		.amdhsa_system_sgpr_workgroup_info 0
		.amdhsa_system_vgpr_workitem_id 0
		.amdhsa_next_free_vgpr 1
		.amdhsa_next_free_sgpr 1
		.amdhsa_reserve_vcc 0
		.amdhsa_float_round_mode_32 0
		.amdhsa_float_round_mode_16_64 0
		.amdhsa_float_denorm_mode_32 3
		.amdhsa_float_denorm_mode_16_64 3
		.amdhsa_dx10_clamp 1
		.amdhsa_ieee_mode 1
		.amdhsa_fp16_overflow 0
		.amdhsa_workgroup_processor_mode 1
		.amdhsa_memory_ordered 1
		.amdhsa_forward_progress 0
		.amdhsa_shared_vgpr_count 0
		.amdhsa_exception_fp_ieee_invalid_op 0
		.amdhsa_exception_fp_denorm_src 0
		.amdhsa_exception_fp_ieee_div_zero 0
		.amdhsa_exception_fp_ieee_overflow 0
		.amdhsa_exception_fp_ieee_underflow 0
		.amdhsa_exception_fp_ieee_inexact 0
		.amdhsa_exception_int_div_zero 0
	.end_amdhsa_kernel
	.section	.text._ZN7rocprim17ROCPRIM_400000_NS6detail17trampoline_kernelINS0_14default_configENS1_36segmented_radix_sort_config_selectorIflEEZNS1_25segmented_radix_sort_implIS3_Lb0EPKfPfPKlPlN2at6native12_GLOBAL__N_18offset_tEEE10hipError_tPvRmT1_PNSt15iterator_traitsISK_E10value_typeET2_T3_PNSL_ISQ_E10value_typeET4_jRbjT5_SW_jjP12ihipStream_tbEUlT_E1_NS1_11comp_targetILNS1_3genE10ELNS1_11target_archE1201ELNS1_3gpuE5ELNS1_3repE0EEENS1_59segmented_radix_sort_warp_sort_small_config_static_selectorELNS0_4arch9wavefront6targetE0EEEvSK_,"axG",@progbits,_ZN7rocprim17ROCPRIM_400000_NS6detail17trampoline_kernelINS0_14default_configENS1_36segmented_radix_sort_config_selectorIflEEZNS1_25segmented_radix_sort_implIS3_Lb0EPKfPfPKlPlN2at6native12_GLOBAL__N_18offset_tEEE10hipError_tPvRmT1_PNSt15iterator_traitsISK_E10value_typeET2_T3_PNSL_ISQ_E10value_typeET4_jRbjT5_SW_jjP12ihipStream_tbEUlT_E1_NS1_11comp_targetILNS1_3genE10ELNS1_11target_archE1201ELNS1_3gpuE5ELNS1_3repE0EEENS1_59segmented_radix_sort_warp_sort_small_config_static_selectorELNS0_4arch9wavefront6targetE0EEEvSK_,comdat
.Lfunc_end1453:
	.size	_ZN7rocprim17ROCPRIM_400000_NS6detail17trampoline_kernelINS0_14default_configENS1_36segmented_radix_sort_config_selectorIflEEZNS1_25segmented_radix_sort_implIS3_Lb0EPKfPfPKlPlN2at6native12_GLOBAL__N_18offset_tEEE10hipError_tPvRmT1_PNSt15iterator_traitsISK_E10value_typeET2_T3_PNSL_ISQ_E10value_typeET4_jRbjT5_SW_jjP12ihipStream_tbEUlT_E1_NS1_11comp_targetILNS1_3genE10ELNS1_11target_archE1201ELNS1_3gpuE5ELNS1_3repE0EEENS1_59segmented_radix_sort_warp_sort_small_config_static_selectorELNS0_4arch9wavefront6targetE0EEEvSK_, .Lfunc_end1453-_ZN7rocprim17ROCPRIM_400000_NS6detail17trampoline_kernelINS0_14default_configENS1_36segmented_radix_sort_config_selectorIflEEZNS1_25segmented_radix_sort_implIS3_Lb0EPKfPfPKlPlN2at6native12_GLOBAL__N_18offset_tEEE10hipError_tPvRmT1_PNSt15iterator_traitsISK_E10value_typeET2_T3_PNSL_ISQ_E10value_typeET4_jRbjT5_SW_jjP12ihipStream_tbEUlT_E1_NS1_11comp_targetILNS1_3genE10ELNS1_11target_archE1201ELNS1_3gpuE5ELNS1_3repE0EEENS1_59segmented_radix_sort_warp_sort_small_config_static_selectorELNS0_4arch9wavefront6targetE0EEEvSK_
                                        ; -- End function
	.section	.AMDGPU.csdata,"",@progbits
; Kernel info:
; codeLenInByte = 0
; NumSgprs: 0
; NumVgprs: 0
; ScratchSize: 0
; MemoryBound: 0
; FloatMode: 240
; IeeeMode: 1
; LDSByteSize: 0 bytes/workgroup (compile time only)
; SGPRBlocks: 0
; VGPRBlocks: 0
; NumSGPRsForWavesPerEU: 1
; NumVGPRsForWavesPerEU: 1
; Occupancy: 16
; WaveLimiterHint : 0
; COMPUTE_PGM_RSRC2:SCRATCH_EN: 0
; COMPUTE_PGM_RSRC2:USER_SGPR: 15
; COMPUTE_PGM_RSRC2:TRAP_HANDLER: 0
; COMPUTE_PGM_RSRC2:TGID_X_EN: 1
; COMPUTE_PGM_RSRC2:TGID_Y_EN: 0
; COMPUTE_PGM_RSRC2:TGID_Z_EN: 0
; COMPUTE_PGM_RSRC2:TIDIG_COMP_CNT: 0
	.section	.text._ZN7rocprim17ROCPRIM_400000_NS6detail17trampoline_kernelINS0_14default_configENS1_36segmented_radix_sort_config_selectorIflEEZNS1_25segmented_radix_sort_implIS3_Lb0EPKfPfPKlPlN2at6native12_GLOBAL__N_18offset_tEEE10hipError_tPvRmT1_PNSt15iterator_traitsISK_E10value_typeET2_T3_PNSL_ISQ_E10value_typeET4_jRbjT5_SW_jjP12ihipStream_tbEUlT_E1_NS1_11comp_targetILNS1_3genE10ELNS1_11target_archE1200ELNS1_3gpuE4ELNS1_3repE0EEENS1_59segmented_radix_sort_warp_sort_small_config_static_selectorELNS0_4arch9wavefront6targetE0EEEvSK_,"axG",@progbits,_ZN7rocprim17ROCPRIM_400000_NS6detail17trampoline_kernelINS0_14default_configENS1_36segmented_radix_sort_config_selectorIflEEZNS1_25segmented_radix_sort_implIS3_Lb0EPKfPfPKlPlN2at6native12_GLOBAL__N_18offset_tEEE10hipError_tPvRmT1_PNSt15iterator_traitsISK_E10value_typeET2_T3_PNSL_ISQ_E10value_typeET4_jRbjT5_SW_jjP12ihipStream_tbEUlT_E1_NS1_11comp_targetILNS1_3genE10ELNS1_11target_archE1200ELNS1_3gpuE4ELNS1_3repE0EEENS1_59segmented_radix_sort_warp_sort_small_config_static_selectorELNS0_4arch9wavefront6targetE0EEEvSK_,comdat
	.globl	_ZN7rocprim17ROCPRIM_400000_NS6detail17trampoline_kernelINS0_14default_configENS1_36segmented_radix_sort_config_selectorIflEEZNS1_25segmented_radix_sort_implIS3_Lb0EPKfPfPKlPlN2at6native12_GLOBAL__N_18offset_tEEE10hipError_tPvRmT1_PNSt15iterator_traitsISK_E10value_typeET2_T3_PNSL_ISQ_E10value_typeET4_jRbjT5_SW_jjP12ihipStream_tbEUlT_E1_NS1_11comp_targetILNS1_3genE10ELNS1_11target_archE1200ELNS1_3gpuE4ELNS1_3repE0EEENS1_59segmented_radix_sort_warp_sort_small_config_static_selectorELNS0_4arch9wavefront6targetE0EEEvSK_ ; -- Begin function _ZN7rocprim17ROCPRIM_400000_NS6detail17trampoline_kernelINS0_14default_configENS1_36segmented_radix_sort_config_selectorIflEEZNS1_25segmented_radix_sort_implIS3_Lb0EPKfPfPKlPlN2at6native12_GLOBAL__N_18offset_tEEE10hipError_tPvRmT1_PNSt15iterator_traitsISK_E10value_typeET2_T3_PNSL_ISQ_E10value_typeET4_jRbjT5_SW_jjP12ihipStream_tbEUlT_E1_NS1_11comp_targetILNS1_3genE10ELNS1_11target_archE1200ELNS1_3gpuE4ELNS1_3repE0EEENS1_59segmented_radix_sort_warp_sort_small_config_static_selectorELNS0_4arch9wavefront6targetE0EEEvSK_
	.p2align	8
	.type	_ZN7rocprim17ROCPRIM_400000_NS6detail17trampoline_kernelINS0_14default_configENS1_36segmented_radix_sort_config_selectorIflEEZNS1_25segmented_radix_sort_implIS3_Lb0EPKfPfPKlPlN2at6native12_GLOBAL__N_18offset_tEEE10hipError_tPvRmT1_PNSt15iterator_traitsISK_E10value_typeET2_T3_PNSL_ISQ_E10value_typeET4_jRbjT5_SW_jjP12ihipStream_tbEUlT_E1_NS1_11comp_targetILNS1_3genE10ELNS1_11target_archE1200ELNS1_3gpuE4ELNS1_3repE0EEENS1_59segmented_radix_sort_warp_sort_small_config_static_selectorELNS0_4arch9wavefront6targetE0EEEvSK_,@function
_ZN7rocprim17ROCPRIM_400000_NS6detail17trampoline_kernelINS0_14default_configENS1_36segmented_radix_sort_config_selectorIflEEZNS1_25segmented_radix_sort_implIS3_Lb0EPKfPfPKlPlN2at6native12_GLOBAL__N_18offset_tEEE10hipError_tPvRmT1_PNSt15iterator_traitsISK_E10value_typeET2_T3_PNSL_ISQ_E10value_typeET4_jRbjT5_SW_jjP12ihipStream_tbEUlT_E1_NS1_11comp_targetILNS1_3genE10ELNS1_11target_archE1200ELNS1_3gpuE4ELNS1_3repE0EEENS1_59segmented_radix_sort_warp_sort_small_config_static_selectorELNS0_4arch9wavefront6targetE0EEEvSK_: ; @_ZN7rocprim17ROCPRIM_400000_NS6detail17trampoline_kernelINS0_14default_configENS1_36segmented_radix_sort_config_selectorIflEEZNS1_25segmented_radix_sort_implIS3_Lb0EPKfPfPKlPlN2at6native12_GLOBAL__N_18offset_tEEE10hipError_tPvRmT1_PNSt15iterator_traitsISK_E10value_typeET2_T3_PNSL_ISQ_E10value_typeET4_jRbjT5_SW_jjP12ihipStream_tbEUlT_E1_NS1_11comp_targetILNS1_3genE10ELNS1_11target_archE1200ELNS1_3gpuE4ELNS1_3repE0EEENS1_59segmented_radix_sort_warp_sort_small_config_static_selectorELNS0_4arch9wavefront6targetE0EEEvSK_
; %bb.0:
	.section	.rodata,"a",@progbits
	.p2align	6, 0x0
	.amdhsa_kernel _ZN7rocprim17ROCPRIM_400000_NS6detail17trampoline_kernelINS0_14default_configENS1_36segmented_radix_sort_config_selectorIflEEZNS1_25segmented_radix_sort_implIS3_Lb0EPKfPfPKlPlN2at6native12_GLOBAL__N_18offset_tEEE10hipError_tPvRmT1_PNSt15iterator_traitsISK_E10value_typeET2_T3_PNSL_ISQ_E10value_typeET4_jRbjT5_SW_jjP12ihipStream_tbEUlT_E1_NS1_11comp_targetILNS1_3genE10ELNS1_11target_archE1200ELNS1_3gpuE4ELNS1_3repE0EEENS1_59segmented_radix_sort_warp_sort_small_config_static_selectorELNS0_4arch9wavefront6targetE0EEEvSK_
		.amdhsa_group_segment_fixed_size 0
		.amdhsa_private_segment_fixed_size 0
		.amdhsa_kernarg_size 88
		.amdhsa_user_sgpr_count 15
		.amdhsa_user_sgpr_dispatch_ptr 0
		.amdhsa_user_sgpr_queue_ptr 0
		.amdhsa_user_sgpr_kernarg_segment_ptr 1
		.amdhsa_user_sgpr_dispatch_id 0
		.amdhsa_user_sgpr_private_segment_size 0
		.amdhsa_wavefront_size32 1
		.amdhsa_uses_dynamic_stack 0
		.amdhsa_enable_private_segment 0
		.amdhsa_system_sgpr_workgroup_id_x 1
		.amdhsa_system_sgpr_workgroup_id_y 0
		.amdhsa_system_sgpr_workgroup_id_z 0
		.amdhsa_system_sgpr_workgroup_info 0
		.amdhsa_system_vgpr_workitem_id 0
		.amdhsa_next_free_vgpr 1
		.amdhsa_next_free_sgpr 1
		.amdhsa_reserve_vcc 0
		.amdhsa_float_round_mode_32 0
		.amdhsa_float_round_mode_16_64 0
		.amdhsa_float_denorm_mode_32 3
		.amdhsa_float_denorm_mode_16_64 3
		.amdhsa_dx10_clamp 1
		.amdhsa_ieee_mode 1
		.amdhsa_fp16_overflow 0
		.amdhsa_workgroup_processor_mode 1
		.amdhsa_memory_ordered 1
		.amdhsa_forward_progress 0
		.amdhsa_shared_vgpr_count 0
		.amdhsa_exception_fp_ieee_invalid_op 0
		.amdhsa_exception_fp_denorm_src 0
		.amdhsa_exception_fp_ieee_div_zero 0
		.amdhsa_exception_fp_ieee_overflow 0
		.amdhsa_exception_fp_ieee_underflow 0
		.amdhsa_exception_fp_ieee_inexact 0
		.amdhsa_exception_int_div_zero 0
	.end_amdhsa_kernel
	.section	.text._ZN7rocprim17ROCPRIM_400000_NS6detail17trampoline_kernelINS0_14default_configENS1_36segmented_radix_sort_config_selectorIflEEZNS1_25segmented_radix_sort_implIS3_Lb0EPKfPfPKlPlN2at6native12_GLOBAL__N_18offset_tEEE10hipError_tPvRmT1_PNSt15iterator_traitsISK_E10value_typeET2_T3_PNSL_ISQ_E10value_typeET4_jRbjT5_SW_jjP12ihipStream_tbEUlT_E1_NS1_11comp_targetILNS1_3genE10ELNS1_11target_archE1200ELNS1_3gpuE4ELNS1_3repE0EEENS1_59segmented_radix_sort_warp_sort_small_config_static_selectorELNS0_4arch9wavefront6targetE0EEEvSK_,"axG",@progbits,_ZN7rocprim17ROCPRIM_400000_NS6detail17trampoline_kernelINS0_14default_configENS1_36segmented_radix_sort_config_selectorIflEEZNS1_25segmented_radix_sort_implIS3_Lb0EPKfPfPKlPlN2at6native12_GLOBAL__N_18offset_tEEE10hipError_tPvRmT1_PNSt15iterator_traitsISK_E10value_typeET2_T3_PNSL_ISQ_E10value_typeET4_jRbjT5_SW_jjP12ihipStream_tbEUlT_E1_NS1_11comp_targetILNS1_3genE10ELNS1_11target_archE1200ELNS1_3gpuE4ELNS1_3repE0EEENS1_59segmented_radix_sort_warp_sort_small_config_static_selectorELNS0_4arch9wavefront6targetE0EEEvSK_,comdat
.Lfunc_end1454:
	.size	_ZN7rocprim17ROCPRIM_400000_NS6detail17trampoline_kernelINS0_14default_configENS1_36segmented_radix_sort_config_selectorIflEEZNS1_25segmented_radix_sort_implIS3_Lb0EPKfPfPKlPlN2at6native12_GLOBAL__N_18offset_tEEE10hipError_tPvRmT1_PNSt15iterator_traitsISK_E10value_typeET2_T3_PNSL_ISQ_E10value_typeET4_jRbjT5_SW_jjP12ihipStream_tbEUlT_E1_NS1_11comp_targetILNS1_3genE10ELNS1_11target_archE1200ELNS1_3gpuE4ELNS1_3repE0EEENS1_59segmented_radix_sort_warp_sort_small_config_static_selectorELNS0_4arch9wavefront6targetE0EEEvSK_, .Lfunc_end1454-_ZN7rocprim17ROCPRIM_400000_NS6detail17trampoline_kernelINS0_14default_configENS1_36segmented_radix_sort_config_selectorIflEEZNS1_25segmented_radix_sort_implIS3_Lb0EPKfPfPKlPlN2at6native12_GLOBAL__N_18offset_tEEE10hipError_tPvRmT1_PNSt15iterator_traitsISK_E10value_typeET2_T3_PNSL_ISQ_E10value_typeET4_jRbjT5_SW_jjP12ihipStream_tbEUlT_E1_NS1_11comp_targetILNS1_3genE10ELNS1_11target_archE1200ELNS1_3gpuE4ELNS1_3repE0EEENS1_59segmented_radix_sort_warp_sort_small_config_static_selectorELNS0_4arch9wavefront6targetE0EEEvSK_
                                        ; -- End function
	.section	.AMDGPU.csdata,"",@progbits
; Kernel info:
; codeLenInByte = 0
; NumSgprs: 0
; NumVgprs: 0
; ScratchSize: 0
; MemoryBound: 0
; FloatMode: 240
; IeeeMode: 1
; LDSByteSize: 0 bytes/workgroup (compile time only)
; SGPRBlocks: 0
; VGPRBlocks: 0
; NumSGPRsForWavesPerEU: 1
; NumVGPRsForWavesPerEU: 1
; Occupancy: 16
; WaveLimiterHint : 0
; COMPUTE_PGM_RSRC2:SCRATCH_EN: 0
; COMPUTE_PGM_RSRC2:USER_SGPR: 15
; COMPUTE_PGM_RSRC2:TRAP_HANDLER: 0
; COMPUTE_PGM_RSRC2:TGID_X_EN: 1
; COMPUTE_PGM_RSRC2:TGID_Y_EN: 0
; COMPUTE_PGM_RSRC2:TGID_Z_EN: 0
; COMPUTE_PGM_RSRC2:TIDIG_COMP_CNT: 0
	.text
	.p2align	2                               ; -- Begin function _ZN7rocprim17ROCPRIM_400000_NS6detail26segmented_warp_sort_helperINS1_20WarpSortHelperConfigILj8ELj4ELj256EEEflLi256ELb0EvE4sortIPKfPfPKlPlEEvT_S9_T0_T1_SC_T2_bjjjjRNS5_12storage_typeE
	.type	_ZN7rocprim17ROCPRIM_400000_NS6detail26segmented_warp_sort_helperINS1_20WarpSortHelperConfigILj8ELj4ELj256EEEflLi256ELb0EvE4sortIPKfPfPKlPlEEvT_S9_T0_T1_SC_T2_bjjjjRNS5_12storage_typeE,@function
_ZN7rocprim17ROCPRIM_400000_NS6detail26segmented_warp_sort_helperINS1_20WarpSortHelperConfigILj8ELj4ELj256EEEflLi256ELb0EvE4sortIPKfPfPKlPlEEvT_S9_T0_T1_SC_T2_bjjjjRNS5_12storage_typeE: ; @_ZN7rocprim17ROCPRIM_400000_NS6detail26segmented_warp_sort_helperINS1_20WarpSortHelperConfigILj8ELj4ELj256EEEflLi256ELb0EvE4sortIPKfPfPKlPlEEvT_S9_T0_T1_SC_T2_bjjjjRNS5_12storage_typeE
; %bb.0:
	s_waitcnt vmcnt(0) expcnt(0) lgkmcnt(0)
	v_mov_b32_e32 v17, v14
	v_mbcnt_lo_u32_b32 v14, -1, 0
	v_and_b32_e32 v12, 1, v12
	s_mov_b32 s5, 0
	s_delay_alu instid0(VALU_DEP_2) | instskip(NEXT) | instid1(VALU_DEP_2)
	v_lshlrev_b32_e32 v80, 2, v14
	v_cmp_eq_u32_e64 s0, 1, v12
	v_sub_nc_u32_e32 v12, v17, v13
                                        ; implicit-def: $vgpr17_vgpr18_vgpr19_vgpr20_vgpr21_vgpr22_vgpr23_vgpr24
	s_delay_alu instid0(VALU_DEP_3) | instskip(SKIP_1) | instid1(VALU_DEP_4)
	v_and_b32_e32 v70, 28, v80
	v_mov_b32_e32 v14, 0
	s_xor_b32 s0, s0, -1
	s_delay_alu instid0(VALU_DEP_2) | instskip(NEXT) | instid1(VALU_DEP_2)
	v_lshlrev_b32_e32 v71, 2, v70
	v_lshlrev_b64 v[68:69], 2, v[13:14]
	s_delay_alu instid0(VALU_DEP_1) | instskip(NEXT) | instid1(VALU_DEP_2)
	v_add_co_u32 v0, vcc_lo, v0, v68
	v_add_co_ci_u32_e32 v1, vcc_lo, v1, v69, vcc_lo
	s_delay_alu instid0(VALU_DEP_2) | instskip(NEXT) | instid1(VALU_DEP_2)
	v_add_co_u32 v25, vcc_lo, v0, v71
	v_add_co_ci_u32_e32 v26, vcc_lo, 0, v1, vcc_lo
	v_cmp_lt_u32_e32 vcc_lo, v70, v12
	s_and_saveexec_b32 s1, s0
	s_delay_alu instid0(SALU_CYCLE_1)
	s_xor_b32 s6, exec_lo, s1
	s_cbranch_execnz .LBB1455_4
; %bb.1:
	s_and_not1_saveexec_b32 s6, s6
	s_cbranch_execnz .LBB1455_111
.LBB1455_2:
	s_or_b32 exec_lo, exec_lo, s6
	s_and_saveexec_b32 s0, s5
	s_cbranch_execnz .LBB1455_218
.LBB1455_3:
	s_or_b32 exec_lo, exec_lo, s0
	s_waitcnt lgkmcnt(0)
	s_setpc_b64 s[30:31]
.LBB1455_4:
	v_bfrev_b32_e32 v65, -2
	v_bfrev_b32_e32 v64, -2
	s_and_saveexec_b32 s0, vcc_lo
	s_cbranch_execz .LBB1455_6
; %bb.5:
	flat_load_b32 v64, v[25:26]
.LBB1455_6:
	s_or_b32 exec_lo, exec_lo, s0
	v_or_b32_e32 v0, 1, v70
	s_delay_alu instid0(VALU_DEP_1) | instskip(NEXT) | instid1(VALU_DEP_1)
	v_cmp_lt_u32_e64 s0, v0, v12
	s_and_saveexec_b32 s1, s0
	s_cbranch_execz .LBB1455_8
; %bb.7:
	flat_load_b32 v65, v[25:26] offset:4
.LBB1455_8:
	s_or_b32 exec_lo, exec_lo, s1
	v_or_b32_e32 v0, 2, v70
	v_bfrev_b32_e32 v67, -2
	v_bfrev_b32_e32 v66, -2
	s_delay_alu instid0(VALU_DEP_3) | instskip(NEXT) | instid1(VALU_DEP_1)
	v_cmp_lt_u32_e64 s1, v0, v12
	s_and_saveexec_b32 s2, s1
	s_cbranch_execz .LBB1455_10
; %bb.9:
	flat_load_b32 v66, v[25:26] offset:8
.LBB1455_10:
	s_or_b32 exec_lo, exec_lo, s2
	v_or_b32_e32 v0, 3, v70
	s_delay_alu instid0(VALU_DEP_1) | instskip(NEXT) | instid1(VALU_DEP_1)
	v_cmp_lt_u32_e64 s2, v0, v12
	s_and_saveexec_b32 s3, s2
	s_cbranch_execz .LBB1455_12
; %bb.11:
	flat_load_b32 v67, v[25:26] offset:12
.LBB1455_12:
	s_or_b32 exec_lo, exec_lo, s3
	v_lshlrev_b64 v[0:1], 3, v[13:14]
	v_lshlrev_b32_e32 v81, 3, v70
	; wave barrier
                                        ; implicit-def: $vgpr17_vgpr18_vgpr19_vgpr20_vgpr21_vgpr22_vgpr23_vgpr24
	s_delay_alu instid0(VALU_DEP_2) | instskip(NEXT) | instid1(VALU_DEP_1)
	v_add_co_u32 v4, s3, v6, v0
	v_add_co_ci_u32_e64 v5, s3, v7, v1, s3
	s_delay_alu instid0(VALU_DEP_2) | instskip(NEXT) | instid1(VALU_DEP_1)
	v_add_co_u32 v4, s3, v4, v81
	v_add_co_ci_u32_e64 v5, s3, 0, v5, s3
	s_and_saveexec_b32 s3, vcc_lo
	s_cbranch_execnz .LBB1455_219
; %bb.13:
	s_or_b32 exec_lo, exec_lo, s3
	s_and_saveexec_b32 s3, s0
	s_cbranch_execnz .LBB1455_220
.LBB1455_14:
	s_or_b32 exec_lo, exec_lo, s3
	s_and_saveexec_b32 s3, s1
	s_cbranch_execnz .LBB1455_221
.LBB1455_15:
	s_or_b32 exec_lo, exec_lo, s3
	s_and_saveexec_b32 s3, s2
	s_cbranch_execz .LBB1455_17
.LBB1455_16:
	flat_load_b64 v[23:24], v[4:5] offset:24
.LBB1455_17:
	s_or_b32 exec_lo, exec_lo, s3
	; wave barrier
	s_load_b64 s[4:5], s[8:9], 0x0
	v_mov_b32_e32 v4, 0
	v_bfe_u32 v6, v31, 10, 10
	v_bfe_u32 v7, v31, 20, 10
	s_waitcnt lgkmcnt(0)
	s_cmp_lt_u32 s13, s5
	s_cselect_b32 s3, 14, 20
	s_delay_alu instid0(SALU_CYCLE_1) | instskip(SKIP_4) | instid1(SALU_CYCLE_1)
	s_add_u32 s10, s8, s3
	s_addc_u32 s11, s9, 0
	s_cmp_lt_u32 s12, s4
	global_load_u16 v5, v4, s[10:11]
	s_cselect_b32 s3, 12, 18
	s_add_u32 s4, s8, s3
	s_addc_u32 s5, s9, 0
	global_load_u16 v4, v4, s[4:5]
	s_mov_b32 s5, exec_lo
	s_waitcnt vmcnt(1)
	v_mad_u32_u24 v5, v7, v5, v6
	s_waitcnt vmcnt(0)
	s_delay_alu instid0(VALU_DEP_1) | instskip(SKIP_1) | instid1(VALU_DEP_1)
	v_mul_lo_u32 v4, v5, v4
	v_and_b32_e32 v5, 0x3ff, v31
	v_add_lshl_u32 v4, v4, v5, 2
	s_delay_alu instid0(VALU_DEP_1)
	v_cmpx_gt_u32_e32 0x400, v4
	s_cbranch_execz .LBB1455_29
; %bb.18:
	v_dual_add_f32 v5, 0, v64 :: v_dual_add_f32 v6, 0, v65
	v_dual_add_f32 v7, 0, v66 :: v_dual_add_f32 v10, 0, v67
	s_mov_b32 s7, exec_lo
	s_delay_alu instid0(VALU_DEP_2) | instskip(NEXT) | instid1(VALU_DEP_3)
	v_ashrrev_i32_e32 v11, 31, v5
	v_ashrrev_i32_e32 v12, 31, v6
	s_delay_alu instid0(VALU_DEP_3) | instskip(SKIP_1) | instid1(VALU_DEP_4)
	v_ashrrev_i32_e32 v25, 31, v7
	v_ashrrev_i32_e32 v26, 31, v10
	v_or_b32_e32 v11, 0x80000000, v11
	s_delay_alu instid0(VALU_DEP_4) | instskip(NEXT) | instid1(VALU_DEP_4)
	v_or_b32_e32 v12, 0x80000000, v12
	v_or_b32_e32 v25, 0x80000000, v25
	s_delay_alu instid0(VALU_DEP_4) | instskip(NEXT) | instid1(VALU_DEP_4)
	v_or_b32_e32 v26, 0x80000000, v26
	v_xor_b32_e32 v5, v11, v5
	s_delay_alu instid0(VALU_DEP_4) | instskip(NEXT) | instid1(VALU_DEP_4)
	v_xor_b32_e32 v6, v12, v6
	v_xor_b32_e32 v82, v25, v7
	s_delay_alu instid0(VALU_DEP_4) | instskip(SKIP_1) | instid1(VALU_DEP_4)
	v_xor_b32_e32 v12, v26, v10
	v_mov_b32_e32 v7, v66
	v_cmp_gt_u32_e64 s3, v5, v6
	s_delay_alu instid0(VALU_DEP_1)
	v_cndmask_b32_e64 v10, v20, v18, s3
	v_cndmask_b32_e64 v11, v19, v17, s3
	;; [unrolled: 1-line block ×4, first 2 shown]
	v_cmpx_gt_u32_e64 v82, v12
; %bb.19:
	v_dual_mov_b32 v17, v21 :: v_dual_mov_b32 v18, v22
	v_mov_b32_e32 v21, v23
	v_dual_mov_b32 v7, v67 :: v_dual_mov_b32 v82, v12
	v_dual_mov_b32 v67, v66 :: v_dual_mov_b32 v22, v24
	s_delay_alu instid0(VALU_DEP_4)
	v_dual_mov_b32 v24, v18 :: v_dual_mov_b32 v23, v17
; %bb.20:
	s_or_b32 exec_lo, exec_lo, s7
	v_cndmask_b32_e64 v17, v65, v64, s3
                                        ; implicit-def: $vgpr66
	s_delay_alu instid0(VALU_DEP_1) | instskip(NEXT) | instid1(VALU_DEP_1)
	v_add_f32_e32 v12, 0, v17
	v_ashrrev_i32_e32 v18, 31, v12
	s_delay_alu instid0(VALU_DEP_1) | instskip(NEXT) | instid1(VALU_DEP_1)
	v_or_b32_e32 v18, 0x80000000, v18
	v_xor_b32_e32 v12, v18, v12
	s_delay_alu instid0(VALU_DEP_1) | instskip(NEXT) | instid1(VALU_DEP_1)
	v_cmp_le_u32_e64 s4, v12, v82
	s_and_saveexec_b32 s7, s4
	s_delay_alu instid0(SALU_CYCLE_1)
	s_xor_b32 s4, exec_lo, s7
                                        ; implicit-def: $vgpr32_vgpr33_vgpr34_vgpr35_vgpr36_vgpr37_vgpr38_vgpr39
                                        ; implicit-def: $vgpr30_vgpr31_vgpr32_vgpr33_vgpr34_vgpr35_vgpr36_vgpr37
                                        ; implicit-def: $vgpr25_vgpr26_vgpr27_vgpr28_vgpr29_vgpr30_vgpr31_vgpr32
                                        ; implicit-def: $vgpr48_vgpr49_vgpr50_vgpr51_vgpr52_vgpr53_vgpr54_vgpr55
; %bb.21:
	v_dual_add_f32 v18, 0, v7 :: v_dual_mov_b32 v27, v11
	v_dual_mov_b32 v33, v10 :: v_dual_mov_b32 v38, v23
	v_dual_mov_b32 v11, v21 :: v_dual_mov_b32 v10, v22
	s_delay_alu instid0(VALU_DEP_3) | instskip(SKIP_1) | instid1(VALU_DEP_2)
	v_ashrrev_i32_e32 v19, 31, v18
	v_mov_b32_e32 v55, v24
                                        ; implicit-def: $vgpr21_vgpr22
                                        ; implicit-def: $vgpr82
	v_or_b32_e32 v19, 0x80000000, v19
	s_delay_alu instid0(VALU_DEP_1)
	v_xor_b32_e32 v66, v19, v18
; %bb.22:
	s_or_saveexec_b32 s4, s4
	v_mov_b32_e32 v25, v17
	s_xor_b32 exec_lo, exec_lo, s4
; %bb.23:
	v_dual_mov_b32 v27, v21 :: v_dual_mov_b32 v38, v23
	v_dual_mov_b32 v33, v22 :: v_dual_mov_b32 v66, v12
	;; [unrolled: 1-line block ×3, first 2 shown]
	v_mov_b32_e32 v25, v7
	v_mov_b32_e32 v7, v17
; %bb.24:
	s_or_b32 exec_lo, exec_lo, s4
	v_cndmask_b32_e64 v26, v64, v65, s3
	v_dual_mov_b32 v21, v11 :: v_dual_mov_b32 v22, v10
	v_dual_mov_b32 v23, v38 :: v_dual_mov_b32 v24, v55
	s_delay_alu instid0(VALU_DEP_3) | instskip(SKIP_1) | instid1(VALU_DEP_1)
	v_dual_add_f32 v17, 0, v26 :: v_dual_add_f32 v18, 0, v67
	s_mov_b32 s7, exec_lo
	v_ashrrev_i32_e32 v19, 31, v17
	s_delay_alu instid0(VALU_DEP_2) | instskip(NEXT) | instid1(VALU_DEP_2)
	v_ashrrev_i32_e32 v20, 31, v18
	v_or_b32_e32 v19, 0x80000000, v19
	s_delay_alu instid0(VALU_DEP_2) | instskip(NEXT) | instid1(VALU_DEP_2)
	v_or_b32_e32 v20, 0x80000000, v20
	v_xor_b32_e32 v17, v19, v17
	s_delay_alu instid0(VALU_DEP_2) | instskip(NEXT) | instid1(VALU_DEP_2)
	v_xor_b32_e32 v11, v20, v18
	v_cmp_gt_u32_e64 s3, v17, v12
	s_delay_alu instid0(VALU_DEP_1)
	v_cndmask_b32_e64 v20, v33, v5, s3
	v_cndmask_b32_e64 v19, v27, v6, s3
	v_cndmask_b32_e64 v18, v5, v33, s3
	v_cndmask_b32_e64 v17, v6, v27, s3
	v_mov_b32_e32 v5, v7
	v_cmpx_gt_u32_e64 v66, v11
; %bb.25:
	s_delay_alu instid0(VALU_DEP_3) | instskip(SKIP_3) | instid1(VALU_DEP_4)
	v_dual_mov_b32 v27, v17 :: v_dual_mov_b32 v28, v18
	v_dual_mov_b32 v29, v19 :: v_dual_mov_b32 v30, v20
	;; [unrolled: 1-line block ×4, first 2 shown]
	v_mov_b32_e32 v17, v27
	v_dual_mov_b32 v5, v67 :: v_dual_mov_b32 v18, v28
	v_dual_mov_b32 v67, v7 :: v_dual_mov_b32 v20, v30
	s_delay_alu instid0(VALU_DEP_4)
	v_dual_mov_b32 v19, v29 :: v_dual_mov_b32 v24, v34
	v_dual_mov_b32 v21, v31 :: v_dual_mov_b32 v22, v32
	;; [unrolled: 1-line block ×3, first 2 shown]
; %bb.26:
	s_or_b32 exec_lo, exec_lo, s7
	v_cndmask_b32_e64 v65, v25, v26, s3
	s_delay_alu instid0(VALU_DEP_1) | instskip(NEXT) | instid1(VALU_DEP_1)
	v_add_f32_e32 v6, 0, v65
	v_ashrrev_i32_e32 v7, 31, v6
	s_delay_alu instid0(VALU_DEP_1) | instskip(NEXT) | instid1(VALU_DEP_1)
	v_or_b32_e32 v7, 0x80000000, v7
	v_xor_b32_e32 v6, v7, v6
	s_delay_alu instid0(VALU_DEP_1) | instskip(SKIP_1) | instid1(VALU_DEP_2)
	v_cmp_gt_u32_e64 s4, v6, v66
	v_mov_b32_e32 v66, v5
	s_and_saveexec_b32 s7, s4
; %bb.27:
	v_dual_mov_b32 v27, v17 :: v_dual_mov_b32 v28, v18
	v_dual_mov_b32 v29, v21 :: v_dual_mov_b32 v30, v22
	;; [unrolled: 1-line block ×4, first 2 shown]
	s_delay_alu instid0(VALU_DEP_4) | instskip(NEXT) | instid1(VALU_DEP_4)
	v_dual_mov_b32 v17, v27 :: v_dual_mov_b32 v18, v28
	v_dual_mov_b32 v19, v29 :: v_dual_mov_b32 v20, v30
	s_delay_alu instid0(VALU_DEP_4) | instskip(NEXT) | instid1(VALU_DEP_4)
	v_dual_mov_b32 v21, v31 :: v_dual_mov_b32 v22, v32
	v_dual_mov_b32 v23, v33 :: v_dual_mov_b32 v24, v34
	v_mov_b32_e32 v66, v65
	v_mov_b32_e32 v65, v5
; %bb.28:
	s_or_b32 exec_lo, exec_lo, s7
	v_cndmask_b32_e64 v64, v26, v25, s3
.LBB1455_29:
	s_or_b32 exec_lo, exec_lo, s5
	v_dual_mov_b32 v11, 0 :: v_dual_and_b32 v10, 0xffffff80, v4
	v_or_b32_e32 v12, 4, v80
	s_mov_b32 s4, 0
	s_mov_b32 s5, exec_lo
	s_delay_alu instid0(VALU_DEP_2) | instskip(SKIP_2) | instid1(VALU_DEP_3)
	v_sub_nc_u32_e64 v29, 0x400, v10 clamp
	v_lshlrev_b64 v[4:5], 2, v[10:11]
	v_lshlrev_b64 v[6:7], 3, v[10:11]
	v_min_u32_e32 v30, v29, v12
	v_and_b32_e32 v12, 0x78, v80
	s_delay_alu instid0(VALU_DEP_4) | instskip(NEXT) | instid1(VALU_DEP_1)
	v_add_co_u32 v27, s3, v15, v4
	v_add_co_ci_u32_e64 v28, s3, v16, v5, s3
	v_add_co_u32 v4, s3, v15, v6
	s_delay_alu instid0(VALU_DEP_1) | instskip(SKIP_1) | instid1(VALU_DEP_3)
	v_add_co_ci_u32_e64 v5, s3, v16, v7, s3
	v_add_nc_u32_e32 v6, 4, v30
	v_add_co_u32 v25, s3, 0x1000, v4
	s_delay_alu instid0(VALU_DEP_1) | instskip(SKIP_1) | instid1(VALU_DEP_4)
	v_add_co_ci_u32_e64 v26, s3, 0, v5, s3
	v_and_b32_e32 v4, 4, v80
	v_min_u32_e32 v31, v29, v6
	v_lshlrev_b32_e32 v5, 3, v80
	v_lshlrev_b32_e32 v6, 2, v80
	v_sub_nc_u32_e32 v7, v30, v12
	v_min_u32_e32 v15, v29, v4
	v_sub_nc_u32_e32 v10, v31, v30
	v_add_co_u32 v4, s3, v25, v5
	s_delay_alu instid0(VALU_DEP_1) | instskip(SKIP_1) | instid1(VALU_DEP_4)
	v_add_co_ci_u32_e64 v5, s3, 0, v26, s3
	v_add_co_u32 v6, s3, v27, v6
	v_sub_nc_u32_e64 v16, v15, v10 clamp
	v_min_u32_e32 v32, v15, v7
	v_add_co_ci_u32_e64 v7, s3, 0, v28, s3
	s_clause 0x2
	flat_store_b128 v[4:5], v[17:20]
	flat_store_b128 v[6:7], v[64:67]
	flat_store_b128 v[4:5], v[21:24] offset:16
	; wave barrier
	v_cmpx_lt_u32_e64 v16, v32
	s_cbranch_execz .LBB1455_33
; %bb.30:
	v_lshlrev_b32_e32 v10, 2, v12
	v_lshlrev_b32_e32 v35, 2, v30
	s_delay_alu instid0(VALU_DEP_2) | instskip(NEXT) | instid1(VALU_DEP_1)
	v_add_co_u32 v33, s3, v27, v10
	v_add_co_ci_u32_e64 v34, s3, 0, v28, s3
	s_delay_alu instid0(VALU_DEP_3) | instskip(NEXT) | instid1(VALU_DEP_1)
	v_add_co_u32 v35, s3, v27, v35
	v_add_co_ci_u32_e64 v36, s3, 0, v28, s3
	s_set_inst_prefetch_distance 0x1
	.p2align	6
.LBB1455_31:                            ; =>This Inner Loop Header: Depth=1
	v_add_nc_u32_e32 v10, v32, v16
	s_delay_alu instid0(VALU_DEP_1) | instskip(SKIP_1) | instid1(VALU_DEP_2)
	v_lshrrev_b32_e32 v10, 1, v10
	v_mov_b32_e32 v38, v11
	v_xad_u32 v37, v10, -1, v15
	v_lshlrev_b64 v[48:49], 2, v[10:11]
	s_delay_alu instid0(VALU_DEP_2) | instskip(NEXT) | instid1(VALU_DEP_2)
	v_lshlrev_b64 v[37:38], 2, v[37:38]
	v_add_co_u32 v48, s3, v33, v48
	s_delay_alu instid0(VALU_DEP_1) | instskip(NEXT) | instid1(VALU_DEP_3)
	v_add_co_ci_u32_e64 v49, s3, v34, v49, s3
	v_add_co_u32 v37, s3, v35, v37
	s_delay_alu instid0(VALU_DEP_1)
	v_add_co_ci_u32_e64 v38, s3, v36, v38, s3
	s_clause 0x1
	flat_load_b32 v39, v[48:49]
	flat_load_b32 v37, v[37:38]
	s_waitcnt vmcnt(0) lgkmcnt(0)
	v_dual_add_f32 v38, 0, v39 :: v_dual_add_f32 v37, 0, v37
	s_delay_alu instid0(VALU_DEP_1) | instskip(NEXT) | instid1(VALU_DEP_2)
	v_ashrrev_i32_e32 v39, 31, v38
	v_ashrrev_i32_e32 v48, 31, v37
	s_delay_alu instid0(VALU_DEP_2) | instskip(NEXT) | instid1(VALU_DEP_2)
	v_or_b32_e32 v39, 0x80000000, v39
	v_or_b32_e32 v48, 0x80000000, v48
	s_delay_alu instid0(VALU_DEP_2) | instskip(SKIP_1) | instid1(VALU_DEP_3)
	v_xor_b32_e32 v38, v39, v38
	v_add_nc_u32_e32 v39, 1, v10
	v_xor_b32_e32 v37, v48, v37
	s_delay_alu instid0(VALU_DEP_1) | instskip(NEXT) | instid1(VALU_DEP_1)
	v_cmp_gt_u32_e64 s3, v38, v37
	v_cndmask_b32_e64 v32, v32, v10, s3
	s_delay_alu instid0(VALU_DEP_4) | instskip(NEXT) | instid1(VALU_DEP_1)
	v_cndmask_b32_e64 v16, v39, v16, s3
	v_cmp_ge_u32_e64 s3, v16, v32
	s_delay_alu instid0(VALU_DEP_1) | instskip(NEXT) | instid1(SALU_CYCLE_1)
	s_or_b32 s4, s3, s4
	s_and_not1_b32 exec_lo, exec_lo, s4
	s_cbranch_execnz .LBB1455_31
; %bb.32:
	s_set_inst_prefetch_distance 0x2
	s_or_b32 exec_lo, exec_lo, s4
.LBB1455_33:
	s_delay_alu instid0(SALU_CYCLE_1) | instskip(SKIP_2) | instid1(VALU_DEP_2)
	s_or_b32 exec_lo, exec_lo, s5
	v_add_nc_u32_e32 v11, v30, v15
	v_add_nc_u32_e32 v10, v16, v12
	v_sub_nc_u32_e32 v15, v11, v16
	s_delay_alu instid0(VALU_DEP_2) | instskip(NEXT) | instid1(VALU_DEP_2)
	v_cmp_le_u32_e64 s3, v10, v30
	v_cmp_le_u32_e64 s4, v15, v31
	s_delay_alu instid0(VALU_DEP_1) | instskip(NEXT) | instid1(SALU_CYCLE_1)
	s_or_b32 s3, s3, s4
	s_and_saveexec_b32 s5, s3
	s_cbranch_execz .LBB1455_53
; %bb.34:
	v_cmp_ge_u32_e64 s3, v10, v30
	s_mov_b32 s7, exec_lo
                                        ; implicit-def: $vgpr32
	v_cmpx_lt_u32_e64 v10, v30
	s_cbranch_execz .LBB1455_36
; %bb.35:
	v_mov_b32_e32 v11, 0
	s_delay_alu instid0(VALU_DEP_1) | instskip(NEXT) | instid1(VALU_DEP_1)
	v_lshlrev_b64 v[11:12], 2, v[10:11]
	v_add_co_u32 v11, s4, v27, v11
	s_delay_alu instid0(VALU_DEP_1)
	v_add_co_ci_u32_e64 v12, s4, v28, v12, s4
	flat_load_b32 v32, v[11:12]
.LBB1455_36:
	s_or_b32 exec_lo, exec_lo, s7
	v_cmp_ge_u32_e64 s7, v15, v31
	s_mov_b32 s10, exec_lo
                                        ; implicit-def: $vgpr16
	v_cmpx_lt_u32_e64 v15, v31
	s_cbranch_execz .LBB1455_38
; %bb.37:
	v_mov_b32_e32 v16, 0
	s_delay_alu instid0(VALU_DEP_1) | instskip(NEXT) | instid1(VALU_DEP_1)
	v_lshlrev_b64 v[11:12], 2, v[15:16]
	v_add_co_u32 v11, s4, v27, v11
	s_delay_alu instid0(VALU_DEP_1)
	v_add_co_ci_u32_e64 v12, s4, v28, v12, s4
	flat_load_b32 v16, v[11:12]
.LBB1455_38:
	s_or_b32 exec_lo, exec_lo, s10
	s_or_b32 s3, s3, s7
	s_mov_b32 s4, -1
	s_xor_b32 s3, s3, -1
	s_delay_alu instid0(SALU_CYCLE_1)
	s_and_saveexec_b32 s10, s3
	s_cbranch_execz .LBB1455_40
; %bb.39:
	s_waitcnt vmcnt(0) lgkmcnt(0)
	v_add_f32_e32 v11, 0, v32
	v_add_f32_e32 v12, 0, v16
	s_and_not1_b32 s7, s7, exec_lo
	s_delay_alu instid0(VALU_DEP_2) | instskip(NEXT) | instid1(VALU_DEP_2)
	v_ashrrev_i32_e32 v17, 31, v11
	v_ashrrev_i32_e32 v18, 31, v12
	s_delay_alu instid0(VALU_DEP_2) | instskip(NEXT) | instid1(VALU_DEP_2)
	v_or_b32_e32 v17, 0x80000000, v17
	v_or_b32_e32 v18, 0x80000000, v18
	s_delay_alu instid0(VALU_DEP_2) | instskip(NEXT) | instid1(VALU_DEP_2)
	v_xor_b32_e32 v11, v17, v11
	v_xor_b32_e32 v12, v18, v12
	s_delay_alu instid0(VALU_DEP_1) | instskip(NEXT) | instid1(VALU_DEP_1)
	v_cmp_le_u32_e64 s3, v11, v12
	s_and_b32 s3, s3, exec_lo
	s_delay_alu instid0(SALU_CYCLE_1)
	s_or_b32 s7, s7, s3
.LBB1455_40:
	s_or_b32 exec_lo, exec_lo, s10
	v_cndmask_b32_e64 v11, v15, v10, s7
	v_cndmask_b32_e64 v17, v31, v30, s7
	v_mov_b32_e32 v12, 0
	s_mov_b32 s11, 0
	s_mov_b32 s10, exec_lo
	v_add_nc_u32_e32 v22, 1, v11
	v_add_nc_u32_e32 v19, -1, v17
	v_lshlrev_b64 v[17:18], 3, v[11:12]
	s_delay_alu instid0(VALU_DEP_3) | instskip(NEXT) | instid1(VALU_DEP_3)
	v_cndmask_b32_e64 v21, v22, v15, s7
	v_min_u32_e32 v11, v22, v19
	v_cndmask_b32_e64 v10, v10, v22, s7
	s_delay_alu instid0(VALU_DEP_2) | instskip(NEXT) | instid1(VALU_DEP_1)
	v_lshlrev_b64 v[19:20], 2, v[11:12]
	v_add_co_u32 v19, s3, v27, v19
	s_delay_alu instid0(VALU_DEP_1) | instskip(SKIP_1) | instid1(VALU_DEP_1)
	v_add_co_ci_u32_e64 v20, s3, v28, v20, s3
	v_add_co_u32 v17, s3, v25, v17
	v_add_co_ci_u32_e64 v18, s3, v26, v18, s3
	s_clause 0x1
	flat_load_b32 v11, v[19:20]
	flat_load_b64 v[17:18], v[17:18]
	s_waitcnt vmcnt(1) lgkmcnt(1)
	v_cndmask_b32_e64 v15, v11, v16, s7
	v_cndmask_b32_e64 v33, v32, v11, s7
	v_cmpx_lt_u32_e64 v21, v31
	s_cbranch_execz .LBB1455_44
; %bb.41:
	s_mov_b32 s4, exec_lo
	v_cmpx_lt_u32_e64 v10, v30
; %bb.42:
	v_add_f32_e32 v11, 0, v33
	v_add_f32_e32 v19, 0, v15
	s_delay_alu instid0(VALU_DEP_2) | instskip(NEXT) | instid1(VALU_DEP_2)
	v_ashrrev_i32_e32 v20, 31, v11
	v_ashrrev_i32_e32 v22, 31, v19
	s_delay_alu instid0(VALU_DEP_2) | instskip(NEXT) | instid1(VALU_DEP_2)
	v_or_b32_e32 v20, 0x80000000, v20
	v_or_b32_e32 v22, 0x80000000, v22
	s_delay_alu instid0(VALU_DEP_2) | instskip(NEXT) | instid1(VALU_DEP_2)
	v_xor_b32_e32 v11, v20, v11
	v_xor_b32_e32 v19, v22, v19
	s_delay_alu instid0(VALU_DEP_1) | instskip(NEXT) | instid1(VALU_DEP_1)
	v_cmp_le_u32_e64 s3, v11, v19
	s_and_b32 s11, s3, exec_lo
; %bb.43:
	s_or_b32 exec_lo, exec_lo, s4
	s_delay_alu instid0(SALU_CYCLE_1)
	s_or_not1_b32 s4, s11, exec_lo
.LBB1455_44:
	s_or_b32 exec_lo, exec_lo, s10
	v_cndmask_b32_e64 v11, v21, v10, s4
	v_cndmask_b32_e64 v19, v31, v30, s4
	s_mov_b32 s15, 0
	s_mov_b32 s10, -1
	s_mov_b32 s11, -1
	v_add_nc_u32_e32 v22, 1, v11
	v_add_nc_u32_e32 v23, -1, v19
	v_lshlrev_b64 v[19:20], 3, v[11:12]
	s_mov_b32 s14, exec_lo
	s_delay_alu instid0(VALU_DEP_3) | instskip(NEXT) | instid1(VALU_DEP_3)
	v_cndmask_b32_e64 v24, v10, v22, s4
	v_min_u32_e32 v11, v22, v23
	v_cndmask_b32_e64 v23, v22, v21, s4
	s_delay_alu instid0(VALU_DEP_2) | instskip(NEXT) | instid1(VALU_DEP_1)
	v_lshlrev_b64 v[11:12], 2, v[11:12]
	v_add_co_u32 v11, s3, v27, v11
	s_delay_alu instid0(VALU_DEP_1) | instskip(SKIP_2) | instid1(VALU_DEP_1)
	v_add_co_ci_u32_e64 v12, s3, v28, v12, s3
	flat_load_b32 v34, v[11:12]
	v_add_co_u32 v11, s3, v25, v19
	v_add_co_ci_u32_e64 v12, s3, v26, v20, s3
	flat_load_b64 v[19:20], v[11:12]
	s_waitcnt vmcnt(1) lgkmcnt(1)
	v_cndmask_b32_e64 v12, v34, v15, s4
	v_cndmask_b32_e64 v34, v33, v34, s4
	v_cmpx_lt_u32_e64 v23, v31
	s_cbranch_execz .LBB1455_48
; %bb.45:
	s_mov_b32 s11, exec_lo
	v_cmpx_lt_u32_e64 v24, v30
; %bb.46:
	v_dual_add_f32 v10, 0, v34 :: v_dual_add_f32 v11, 0, v12
	s_delay_alu instid0(VALU_DEP_1) | instskip(NEXT) | instid1(VALU_DEP_2)
	v_ashrrev_i32_e32 v21, 31, v10
	v_ashrrev_i32_e32 v22, 31, v11
	s_delay_alu instid0(VALU_DEP_2) | instskip(NEXT) | instid1(VALU_DEP_2)
	v_or_b32_e32 v21, 0x80000000, v21
	v_or_b32_e32 v22, 0x80000000, v22
	s_delay_alu instid0(VALU_DEP_2) | instskip(NEXT) | instid1(VALU_DEP_2)
	v_xor_b32_e32 v10, v21, v10
	v_xor_b32_e32 v11, v22, v11
	s_delay_alu instid0(VALU_DEP_1) | instskip(NEXT) | instid1(VALU_DEP_1)
	v_cmp_le_u32_e64 s3, v10, v11
	s_and_b32 s15, s3, exec_lo
; %bb.47:
	s_or_b32 exec_lo, exec_lo, s11
	s_delay_alu instid0(SALU_CYCLE_1)
	s_or_not1_b32 s11, s15, exec_lo
.LBB1455_48:
	s_or_b32 exec_lo, exec_lo, s14
	v_cndmask_b32_e64 v10, v23, v24, s11
	v_cndmask_b32_e64 v21, v31, v30, s11
	v_mov_b32_e32 v11, 0
	s_mov_b32 s15, 0
	s_mov_b32 s14, exec_lo
	v_add_nc_u32_e32 v37, 1, v10
	v_add_nc_u32_e32 v35, -1, v21
	v_lshlrev_b64 v[21:22], 3, v[10:11]
	s_delay_alu instid0(VALU_DEP_2) | instskip(NEXT) | instid1(VALU_DEP_1)
	v_min_u32_e32 v10, v37, v35
	v_lshlrev_b64 v[35:36], 2, v[10:11]
	v_cndmask_b32_e64 v10, v37, v23, s11
	v_cndmask_b32_e64 v23, v24, v37, s11
	s_delay_alu instid0(VALU_DEP_3) | instskip(NEXT) | instid1(VALU_DEP_1)
	v_add_co_u32 v35, s3, v27, v35
	v_add_co_ci_u32_e64 v36, s3, v28, v36, s3
	v_add_co_u32 v21, s3, v25, v21
	s_delay_alu instid0(VALU_DEP_1)
	v_add_co_ci_u32_e64 v22, s3, v26, v22, s3
	s_clause 0x1
	flat_load_b32 v36, v[35:36]
	flat_load_b64 v[21:22], v[21:22]
	s_waitcnt vmcnt(1) lgkmcnt(1)
	v_cndmask_b32_e64 v35, v36, v12, s11
	v_cndmask_b32_e64 v36, v34, v36, s11
	v_cmpx_lt_u32_e64 v10, v31
	s_cbranch_execz .LBB1455_52
; %bb.49:
	s_mov_b32 s10, exec_lo
	v_cmpx_lt_u32_e64 v23, v30
; %bb.50:
	v_add_f32_e32 v24, 0, v36
	v_add_f32_e32 v30, 0, v35
	s_delay_alu instid0(VALU_DEP_2) | instskip(NEXT) | instid1(VALU_DEP_2)
	v_ashrrev_i32_e32 v31, 31, v24
	v_ashrrev_i32_e32 v37, 31, v30
	s_delay_alu instid0(VALU_DEP_2) | instskip(NEXT) | instid1(VALU_DEP_2)
	v_or_b32_e32 v31, 0x80000000, v31
	v_or_b32_e32 v37, 0x80000000, v37
	s_delay_alu instid0(VALU_DEP_2) | instskip(NEXT) | instid1(VALU_DEP_2)
	v_xor_b32_e32 v24, v31, v24
	v_xor_b32_e32 v30, v37, v30
	s_delay_alu instid0(VALU_DEP_1) | instskip(NEXT) | instid1(VALU_DEP_1)
	v_cmp_le_u32_e64 s3, v24, v30
	s_and_b32 s15, s3, exec_lo
; %bb.51:
	s_or_b32 exec_lo, exec_lo, s10
	s_delay_alu instid0(SALU_CYCLE_1)
	s_or_not1_b32 s10, s15, exec_lo
.LBB1455_52:
	s_or_b32 exec_lo, exec_lo, s14
	v_cndmask_b32_e64 v10, v10, v23, s10
	v_cndmask_b32_e64 v66, v12, v34, s11
	;; [unrolled: 1-line block ×5, first 2 shown]
	v_lshlrev_b64 v[10:11], 3, v[10:11]
	s_delay_alu instid0(VALU_DEP_1) | instskip(NEXT) | instid1(VALU_DEP_1)
	v_add_co_u32 v10, s3, v25, v10
	v_add_co_ci_u32_e64 v11, s3, v26, v11, s3
	flat_load_b64 v[23:24], v[10:11]
.LBB1455_53:
	s_or_b32 exec_lo, exec_lo, s5
	v_and_b32_e32 v12, 0x70, v80
	v_and_b32_e32 v11, 12, v80
	s_mov_b32 s4, exec_lo
	; wave barrier
	s_delay_alu instid0(VALU_DEP_2) | instskip(NEXT) | instid1(VALU_DEP_2)
	v_or_b32_e32 v10, 8, v12
	v_min_u32_e32 v15, v29, v11
	s_clause 0x1
	flat_store_b128 v[4:5], v[17:20]
	flat_store_b128 v[6:7], v[64:67]
	s_waitcnt vmcnt(0) lgkmcnt(2)
	flat_store_b128 v[4:5], v[21:24] offset:16
	; wave barrier
	v_min_u32_e32 v30, v29, v10
	s_delay_alu instid0(VALU_DEP_1) | instskip(NEXT) | instid1(VALU_DEP_1)
	v_add_nc_u32_e32 v10, 8, v30
	v_min_u32_e32 v31, v29, v10
	v_sub_nc_u32_e32 v10, v30, v12
	s_delay_alu instid0(VALU_DEP_2) | instskip(NEXT) | instid1(VALU_DEP_2)
	v_sub_nc_u32_e32 v11, v31, v30
	v_min_u32_e32 v32, v15, v10
	s_delay_alu instid0(VALU_DEP_2) | instskip(NEXT) | instid1(VALU_DEP_1)
	v_sub_nc_u32_e64 v16, v15, v11 clamp
	v_cmpx_lt_u32_e64 v16, v32
	s_cbranch_execz .LBB1455_57
; %bb.54:
	v_lshlrev_b32_e32 v10, 2, v12
	v_lshlrev_b32_e32 v11, 2, v30
	s_mov_b32 s5, 0
	s_delay_alu instid0(VALU_DEP_2) | instskip(NEXT) | instid1(VALU_DEP_1)
	v_add_co_u32 v33, s3, v27, v10
	v_add_co_ci_u32_e64 v34, s3, 0, v28, s3
	s_delay_alu instid0(VALU_DEP_3)
	v_add_co_u32 v35, s3, v27, v11
	v_mov_b32_e32 v11, 0
	v_add_co_ci_u32_e64 v36, s3, 0, v28, s3
	s_set_inst_prefetch_distance 0x1
	.p2align	6
.LBB1455_55:                            ; =>This Inner Loop Header: Depth=1
	v_add_nc_u32_e32 v10, v32, v16
	s_delay_alu instid0(VALU_DEP_1) | instskip(SKIP_1) | instid1(VALU_DEP_2)
	v_lshrrev_b32_e32 v10, 1, v10
	v_mov_b32_e32 v38, v11
	v_xad_u32 v37, v10, -1, v15
	v_lshlrev_b64 v[48:49], 2, v[10:11]
	s_delay_alu instid0(VALU_DEP_2) | instskip(NEXT) | instid1(VALU_DEP_2)
	v_lshlrev_b64 v[37:38], 2, v[37:38]
	v_add_co_u32 v48, s3, v33, v48
	s_delay_alu instid0(VALU_DEP_1) | instskip(NEXT) | instid1(VALU_DEP_3)
	v_add_co_ci_u32_e64 v49, s3, v34, v49, s3
	v_add_co_u32 v37, s3, v35, v37
	s_delay_alu instid0(VALU_DEP_1)
	v_add_co_ci_u32_e64 v38, s3, v36, v38, s3
	s_clause 0x1
	flat_load_b32 v39, v[48:49]
	flat_load_b32 v37, v[37:38]
	s_waitcnt vmcnt(0) lgkmcnt(0)
	v_dual_add_f32 v38, 0, v39 :: v_dual_add_f32 v37, 0, v37
	s_delay_alu instid0(VALU_DEP_1) | instskip(NEXT) | instid1(VALU_DEP_2)
	v_ashrrev_i32_e32 v39, 31, v38
	v_ashrrev_i32_e32 v48, 31, v37
	s_delay_alu instid0(VALU_DEP_2) | instskip(NEXT) | instid1(VALU_DEP_2)
	v_or_b32_e32 v39, 0x80000000, v39
	v_or_b32_e32 v48, 0x80000000, v48
	s_delay_alu instid0(VALU_DEP_2) | instskip(SKIP_1) | instid1(VALU_DEP_3)
	v_xor_b32_e32 v38, v39, v38
	v_add_nc_u32_e32 v39, 1, v10
	v_xor_b32_e32 v37, v48, v37
	s_delay_alu instid0(VALU_DEP_1) | instskip(NEXT) | instid1(VALU_DEP_1)
	v_cmp_gt_u32_e64 s3, v38, v37
	v_cndmask_b32_e64 v32, v32, v10, s3
	s_delay_alu instid0(VALU_DEP_4) | instskip(NEXT) | instid1(VALU_DEP_1)
	v_cndmask_b32_e64 v16, v39, v16, s3
	v_cmp_ge_u32_e64 s3, v16, v32
	s_delay_alu instid0(VALU_DEP_1) | instskip(NEXT) | instid1(SALU_CYCLE_1)
	s_or_b32 s5, s3, s5
	s_and_not1_b32 exec_lo, exec_lo, s5
	s_cbranch_execnz .LBB1455_55
; %bb.56:
	s_set_inst_prefetch_distance 0x2
	s_or_b32 exec_lo, exec_lo, s5
.LBB1455_57:
	s_delay_alu instid0(SALU_CYCLE_1) | instskip(SKIP_2) | instid1(VALU_DEP_2)
	s_or_b32 exec_lo, exec_lo, s4
	v_add_nc_u32_e32 v11, v30, v15
	v_add_nc_u32_e32 v10, v16, v12
	v_sub_nc_u32_e32 v15, v11, v16
	s_delay_alu instid0(VALU_DEP_2) | instskip(NEXT) | instid1(VALU_DEP_2)
	v_cmp_le_u32_e64 s3, v10, v30
	v_cmp_le_u32_e64 s4, v15, v31
	s_delay_alu instid0(VALU_DEP_1) | instskip(NEXT) | instid1(SALU_CYCLE_1)
	s_or_b32 s3, s3, s4
	s_and_saveexec_b32 s5, s3
	s_cbranch_execz .LBB1455_77
; %bb.58:
	v_cmp_ge_u32_e64 s3, v10, v30
	s_mov_b32 s7, exec_lo
                                        ; implicit-def: $vgpr32
	v_cmpx_lt_u32_e64 v10, v30
	s_cbranch_execz .LBB1455_60
; %bb.59:
	v_mov_b32_e32 v11, 0
	s_delay_alu instid0(VALU_DEP_1) | instskip(NEXT) | instid1(VALU_DEP_1)
	v_lshlrev_b64 v[11:12], 2, v[10:11]
	v_add_co_u32 v11, s4, v27, v11
	s_delay_alu instid0(VALU_DEP_1)
	v_add_co_ci_u32_e64 v12, s4, v28, v12, s4
	flat_load_b32 v32, v[11:12]
.LBB1455_60:
	s_or_b32 exec_lo, exec_lo, s7
	v_cmp_ge_u32_e64 s7, v15, v31
	s_mov_b32 s10, exec_lo
                                        ; implicit-def: $vgpr16
	v_cmpx_lt_u32_e64 v15, v31
	s_cbranch_execz .LBB1455_62
; %bb.61:
	v_mov_b32_e32 v16, 0
	s_delay_alu instid0(VALU_DEP_1) | instskip(NEXT) | instid1(VALU_DEP_1)
	v_lshlrev_b64 v[11:12], 2, v[15:16]
	v_add_co_u32 v11, s4, v27, v11
	s_delay_alu instid0(VALU_DEP_1)
	v_add_co_ci_u32_e64 v12, s4, v28, v12, s4
	flat_load_b32 v16, v[11:12]
.LBB1455_62:
	s_or_b32 exec_lo, exec_lo, s10
	s_or_b32 s3, s3, s7
	s_mov_b32 s4, -1
	s_xor_b32 s3, s3, -1
	s_delay_alu instid0(SALU_CYCLE_1)
	s_and_saveexec_b32 s10, s3
	s_cbranch_execz .LBB1455_64
; %bb.63:
	s_waitcnt vmcnt(0) lgkmcnt(0)
	v_add_f32_e32 v11, 0, v32
	v_add_f32_e32 v12, 0, v16
	s_and_not1_b32 s7, s7, exec_lo
	s_delay_alu instid0(VALU_DEP_2) | instskip(NEXT) | instid1(VALU_DEP_2)
	v_ashrrev_i32_e32 v17, 31, v11
	v_ashrrev_i32_e32 v18, 31, v12
	s_delay_alu instid0(VALU_DEP_2) | instskip(NEXT) | instid1(VALU_DEP_2)
	v_or_b32_e32 v17, 0x80000000, v17
	v_or_b32_e32 v18, 0x80000000, v18
	s_delay_alu instid0(VALU_DEP_2) | instskip(NEXT) | instid1(VALU_DEP_2)
	v_xor_b32_e32 v11, v17, v11
	v_xor_b32_e32 v12, v18, v12
	s_delay_alu instid0(VALU_DEP_1) | instskip(NEXT) | instid1(VALU_DEP_1)
	v_cmp_le_u32_e64 s3, v11, v12
	s_and_b32 s3, s3, exec_lo
	s_delay_alu instid0(SALU_CYCLE_1)
	s_or_b32 s7, s7, s3
.LBB1455_64:
	s_or_b32 exec_lo, exec_lo, s10
	v_cndmask_b32_e64 v11, v15, v10, s7
	v_cndmask_b32_e64 v17, v31, v30, s7
	v_mov_b32_e32 v12, 0
	s_mov_b32 s11, 0
	s_mov_b32 s10, exec_lo
	v_add_nc_u32_e32 v22, 1, v11
	v_add_nc_u32_e32 v19, -1, v17
	v_lshlrev_b64 v[17:18], 3, v[11:12]
	s_delay_alu instid0(VALU_DEP_3) | instskip(NEXT) | instid1(VALU_DEP_3)
	v_cndmask_b32_e64 v21, v22, v15, s7
	v_min_u32_e32 v11, v22, v19
	v_cndmask_b32_e64 v10, v10, v22, s7
	s_delay_alu instid0(VALU_DEP_2) | instskip(NEXT) | instid1(VALU_DEP_1)
	v_lshlrev_b64 v[19:20], 2, v[11:12]
	v_add_co_u32 v19, s3, v27, v19
	s_delay_alu instid0(VALU_DEP_1) | instskip(SKIP_1) | instid1(VALU_DEP_1)
	v_add_co_ci_u32_e64 v20, s3, v28, v20, s3
	v_add_co_u32 v17, s3, v25, v17
	v_add_co_ci_u32_e64 v18, s3, v26, v18, s3
	s_clause 0x1
	flat_load_b32 v11, v[19:20]
	flat_load_b64 v[17:18], v[17:18]
	s_waitcnt vmcnt(1) lgkmcnt(1)
	v_cndmask_b32_e64 v15, v11, v16, s7
	v_cndmask_b32_e64 v33, v32, v11, s7
	v_cmpx_lt_u32_e64 v21, v31
	s_cbranch_execz .LBB1455_68
; %bb.65:
	s_mov_b32 s4, exec_lo
	v_cmpx_lt_u32_e64 v10, v30
; %bb.66:
	v_add_f32_e32 v11, 0, v33
	v_add_f32_e32 v19, 0, v15
	s_delay_alu instid0(VALU_DEP_2) | instskip(NEXT) | instid1(VALU_DEP_2)
	v_ashrrev_i32_e32 v20, 31, v11
	v_ashrrev_i32_e32 v22, 31, v19
	s_delay_alu instid0(VALU_DEP_2) | instskip(NEXT) | instid1(VALU_DEP_2)
	v_or_b32_e32 v20, 0x80000000, v20
	v_or_b32_e32 v22, 0x80000000, v22
	s_delay_alu instid0(VALU_DEP_2) | instskip(NEXT) | instid1(VALU_DEP_2)
	v_xor_b32_e32 v11, v20, v11
	v_xor_b32_e32 v19, v22, v19
	s_delay_alu instid0(VALU_DEP_1) | instskip(NEXT) | instid1(VALU_DEP_1)
	v_cmp_le_u32_e64 s3, v11, v19
	s_and_b32 s11, s3, exec_lo
; %bb.67:
	s_or_b32 exec_lo, exec_lo, s4
	s_delay_alu instid0(SALU_CYCLE_1)
	s_or_not1_b32 s4, s11, exec_lo
.LBB1455_68:
	s_or_b32 exec_lo, exec_lo, s10
	v_cndmask_b32_e64 v11, v21, v10, s4
	v_cndmask_b32_e64 v19, v31, v30, s4
	s_mov_b32 s15, 0
	s_mov_b32 s10, -1
	s_mov_b32 s11, -1
	v_add_nc_u32_e32 v22, 1, v11
	v_add_nc_u32_e32 v23, -1, v19
	v_lshlrev_b64 v[19:20], 3, v[11:12]
	s_mov_b32 s14, exec_lo
	s_delay_alu instid0(VALU_DEP_3) | instskip(NEXT) | instid1(VALU_DEP_3)
	v_cndmask_b32_e64 v24, v10, v22, s4
	v_min_u32_e32 v11, v22, v23
	v_cndmask_b32_e64 v23, v22, v21, s4
	s_delay_alu instid0(VALU_DEP_2) | instskip(NEXT) | instid1(VALU_DEP_1)
	v_lshlrev_b64 v[11:12], 2, v[11:12]
	v_add_co_u32 v11, s3, v27, v11
	s_delay_alu instid0(VALU_DEP_1) | instskip(SKIP_2) | instid1(VALU_DEP_1)
	v_add_co_ci_u32_e64 v12, s3, v28, v12, s3
	flat_load_b32 v34, v[11:12]
	v_add_co_u32 v11, s3, v25, v19
	v_add_co_ci_u32_e64 v12, s3, v26, v20, s3
	flat_load_b64 v[19:20], v[11:12]
	s_waitcnt vmcnt(1) lgkmcnt(1)
	v_cndmask_b32_e64 v12, v34, v15, s4
	v_cndmask_b32_e64 v34, v33, v34, s4
	v_cmpx_lt_u32_e64 v23, v31
	s_cbranch_execz .LBB1455_72
; %bb.69:
	s_mov_b32 s11, exec_lo
	v_cmpx_lt_u32_e64 v24, v30
; %bb.70:
	v_dual_add_f32 v10, 0, v34 :: v_dual_add_f32 v11, 0, v12
	s_delay_alu instid0(VALU_DEP_1) | instskip(NEXT) | instid1(VALU_DEP_2)
	v_ashrrev_i32_e32 v21, 31, v10
	v_ashrrev_i32_e32 v22, 31, v11
	s_delay_alu instid0(VALU_DEP_2) | instskip(NEXT) | instid1(VALU_DEP_2)
	v_or_b32_e32 v21, 0x80000000, v21
	v_or_b32_e32 v22, 0x80000000, v22
	s_delay_alu instid0(VALU_DEP_2) | instskip(NEXT) | instid1(VALU_DEP_2)
	v_xor_b32_e32 v10, v21, v10
	v_xor_b32_e32 v11, v22, v11
	s_delay_alu instid0(VALU_DEP_1) | instskip(NEXT) | instid1(VALU_DEP_1)
	v_cmp_le_u32_e64 s3, v10, v11
	s_and_b32 s15, s3, exec_lo
; %bb.71:
	s_or_b32 exec_lo, exec_lo, s11
	s_delay_alu instid0(SALU_CYCLE_1)
	s_or_not1_b32 s11, s15, exec_lo
.LBB1455_72:
	s_or_b32 exec_lo, exec_lo, s14
	v_cndmask_b32_e64 v10, v23, v24, s11
	v_cndmask_b32_e64 v21, v31, v30, s11
	v_mov_b32_e32 v11, 0
	s_mov_b32 s15, 0
	s_mov_b32 s14, exec_lo
	v_add_nc_u32_e32 v37, 1, v10
	v_add_nc_u32_e32 v35, -1, v21
	v_lshlrev_b64 v[21:22], 3, v[10:11]
	s_delay_alu instid0(VALU_DEP_2) | instskip(NEXT) | instid1(VALU_DEP_1)
	v_min_u32_e32 v10, v37, v35
	v_lshlrev_b64 v[35:36], 2, v[10:11]
	v_cndmask_b32_e64 v10, v37, v23, s11
	v_cndmask_b32_e64 v23, v24, v37, s11
	s_delay_alu instid0(VALU_DEP_3) | instskip(NEXT) | instid1(VALU_DEP_1)
	v_add_co_u32 v35, s3, v27, v35
	v_add_co_ci_u32_e64 v36, s3, v28, v36, s3
	v_add_co_u32 v21, s3, v25, v21
	s_delay_alu instid0(VALU_DEP_1)
	v_add_co_ci_u32_e64 v22, s3, v26, v22, s3
	s_clause 0x1
	flat_load_b32 v36, v[35:36]
	flat_load_b64 v[21:22], v[21:22]
	s_waitcnt vmcnt(1) lgkmcnt(1)
	v_cndmask_b32_e64 v35, v36, v12, s11
	v_cndmask_b32_e64 v36, v34, v36, s11
	v_cmpx_lt_u32_e64 v10, v31
	s_cbranch_execz .LBB1455_76
; %bb.73:
	s_mov_b32 s10, exec_lo
	v_cmpx_lt_u32_e64 v23, v30
; %bb.74:
	v_add_f32_e32 v24, 0, v36
	v_add_f32_e32 v30, 0, v35
	s_delay_alu instid0(VALU_DEP_2) | instskip(NEXT) | instid1(VALU_DEP_2)
	v_ashrrev_i32_e32 v31, 31, v24
	v_ashrrev_i32_e32 v37, 31, v30
	s_delay_alu instid0(VALU_DEP_2) | instskip(NEXT) | instid1(VALU_DEP_2)
	v_or_b32_e32 v31, 0x80000000, v31
	v_or_b32_e32 v37, 0x80000000, v37
	s_delay_alu instid0(VALU_DEP_2) | instskip(NEXT) | instid1(VALU_DEP_2)
	v_xor_b32_e32 v24, v31, v24
	v_xor_b32_e32 v30, v37, v30
	s_delay_alu instid0(VALU_DEP_1) | instskip(NEXT) | instid1(VALU_DEP_1)
	v_cmp_le_u32_e64 s3, v24, v30
	s_and_b32 s15, s3, exec_lo
; %bb.75:
	s_or_b32 exec_lo, exec_lo, s10
	s_delay_alu instid0(SALU_CYCLE_1)
	s_or_not1_b32 s10, s15, exec_lo
.LBB1455_76:
	s_or_b32 exec_lo, exec_lo, s14
	v_cndmask_b32_e64 v10, v10, v23, s10
	v_cndmask_b32_e64 v66, v12, v34, s11
	;; [unrolled: 1-line block ×5, first 2 shown]
	v_lshlrev_b64 v[10:11], 3, v[10:11]
	s_delay_alu instid0(VALU_DEP_1) | instskip(NEXT) | instid1(VALU_DEP_1)
	v_add_co_u32 v10, s3, v25, v10
	v_add_co_ci_u32_e64 v11, s3, v26, v11, s3
	flat_load_b64 v[23:24], v[10:11]
.LBB1455_77:
	s_or_b32 exec_lo, exec_lo, s5
	v_and_b32_e32 v10, 0x60, v80
	s_mov_b32 s4, exec_lo
	; wave barrier
	s_clause 0x1
	flat_store_b128 v[4:5], v[17:20]
	flat_store_b128 v[6:7], v[64:67]
	s_waitcnt vmcnt(0) lgkmcnt(2)
	flat_store_b128 v[4:5], v[21:24] offset:16
	v_or_b32_e32 v11, 16, v10
	; wave barrier
	s_delay_alu instid0(VALU_DEP_1) | instskip(NEXT) | instid1(VALU_DEP_1)
	v_min_u32_e32 v12, v29, v11
	v_add_nc_u32_e32 v11, 16, v12
	v_sub_nc_u32_e32 v16, v12, v10
	s_delay_alu instid0(VALU_DEP_2) | instskip(SKIP_1) | instid1(VALU_DEP_2)
	v_min_u32_e32 v15, v29, v11
	v_min_u32_e32 v11, v29, v70
	v_sub_nc_u32_e32 v30, v15, v12
	s_delay_alu instid0(VALU_DEP_2) | instskip(NEXT) | instid1(VALU_DEP_2)
	v_min_u32_e32 v29, v11, v16
	v_sub_nc_u32_e64 v16, v11, v30 clamp
	s_delay_alu instid0(VALU_DEP_1)
	v_cmpx_lt_u32_e64 v16, v29
	s_cbranch_execz .LBB1455_81
; %bb.78:
	v_lshlrev_b32_e32 v4, 2, v10
	v_lshlrev_b32_e32 v5, 2, v12
	s_mov_b32 s5, 0
	s_delay_alu instid0(VALU_DEP_2) | instskip(NEXT) | instid1(VALU_DEP_1)
	v_add_co_u32 v6, s3, v27, v4
	v_add_co_ci_u32_e64 v7, s3, 0, v28, s3
	s_delay_alu instid0(VALU_DEP_3)
	v_add_co_u32 v30, s3, v27, v5
	v_mov_b32_e32 v5, 0
	v_add_co_ci_u32_e64 v31, s3, 0, v28, s3
	s_set_inst_prefetch_distance 0x1
	.p2align	6
.LBB1455_79:                            ; =>This Inner Loop Header: Depth=1
	v_add_nc_u32_e32 v4, v29, v16
	s_delay_alu instid0(VALU_DEP_3) | instskip(NEXT) | instid1(VALU_DEP_2)
	v_mov_b32_e32 v33, v5
	v_lshrrev_b32_e32 v4, 1, v4
	s_delay_alu instid0(VALU_DEP_1) | instskip(SKIP_1) | instid1(VALU_DEP_2)
	v_xad_u32 v32, v4, -1, v11
	v_lshlrev_b64 v[34:35], 2, v[4:5]
	v_lshlrev_b64 v[32:33], 2, v[32:33]
	s_delay_alu instid0(VALU_DEP_2) | instskip(NEXT) | instid1(VALU_DEP_1)
	v_add_co_u32 v34, s3, v6, v34
	v_add_co_ci_u32_e64 v35, s3, v7, v35, s3
	s_delay_alu instid0(VALU_DEP_3) | instskip(NEXT) | instid1(VALU_DEP_1)
	v_add_co_u32 v32, s3, v30, v32
	v_add_co_ci_u32_e64 v33, s3, v31, v33, s3
	s_clause 0x1
	flat_load_b32 v34, v[34:35]
	flat_load_b32 v32, v[32:33]
	s_waitcnt vmcnt(0) lgkmcnt(0)
	v_dual_add_f32 v33, 0, v34 :: v_dual_add_f32 v32, 0, v32
	s_delay_alu instid0(VALU_DEP_1) | instskip(NEXT) | instid1(VALU_DEP_2)
	v_ashrrev_i32_e32 v34, 31, v33
	v_ashrrev_i32_e32 v35, 31, v32
	s_delay_alu instid0(VALU_DEP_2) | instskip(NEXT) | instid1(VALU_DEP_2)
	v_or_b32_e32 v34, 0x80000000, v34
	v_or_b32_e32 v35, 0x80000000, v35
	s_delay_alu instid0(VALU_DEP_2) | instskip(NEXT) | instid1(VALU_DEP_2)
	v_xor_b32_e32 v33, v34, v33
	v_xor_b32_e32 v32, v35, v32
	v_add_nc_u32_e32 v34, 1, v4
	s_delay_alu instid0(VALU_DEP_2) | instskip(NEXT) | instid1(VALU_DEP_1)
	v_cmp_gt_u32_e64 s3, v33, v32
	v_cndmask_b32_e64 v29, v29, v4, s3
	s_delay_alu instid0(VALU_DEP_3) | instskip(NEXT) | instid1(VALU_DEP_1)
	v_cndmask_b32_e64 v16, v34, v16, s3
	v_cmp_ge_u32_e64 s3, v16, v29
	s_delay_alu instid0(VALU_DEP_1) | instskip(NEXT) | instid1(SALU_CYCLE_1)
	s_or_b32 s5, s3, s5
	s_and_not1_b32 exec_lo, exec_lo, s5
	s_cbranch_execnz .LBB1455_79
; %bb.80:
	s_set_inst_prefetch_distance 0x2
	s_or_b32 exec_lo, exec_lo, s5
.LBB1455_81:
	s_delay_alu instid0(SALU_CYCLE_1) | instskip(SKIP_2) | instid1(VALU_DEP_2)
	s_or_b32 exec_lo, exec_lo, s4
	v_add_nc_u32_e32 v5, v12, v11
	v_add_nc_u32_e32 v4, v16, v10
	v_sub_nc_u32_e32 v6, v5, v16
	s_delay_alu instid0(VALU_DEP_2) | instskip(NEXT) | instid1(VALU_DEP_2)
	v_cmp_le_u32_e64 s3, v4, v12
	v_cmp_le_u32_e64 s4, v6, v15
	s_delay_alu instid0(VALU_DEP_1) | instskip(NEXT) | instid1(SALU_CYCLE_1)
	s_or_b32 s3, s3, s4
	s_and_saveexec_b32 s5, s3
	s_cbranch_execz .LBB1455_101
; %bb.82:
	v_cmp_ge_u32_e64 s3, v4, v12
	s_mov_b32 s7, exec_lo
                                        ; implicit-def: $vgpr16
	v_cmpx_lt_u32_e64 v4, v12
	s_cbranch_execz .LBB1455_84
; %bb.83:
	v_mov_b32_e32 v5, 0
	s_delay_alu instid0(VALU_DEP_1) | instskip(NEXT) | instid1(VALU_DEP_1)
	v_lshlrev_b64 v[10:11], 2, v[4:5]
	v_add_co_u32 v10, s4, v27, v10
	s_delay_alu instid0(VALU_DEP_1)
	v_add_co_ci_u32_e64 v11, s4, v28, v11, s4
	flat_load_b32 v16, v[10:11]
.LBB1455_84:
	s_or_b32 exec_lo, exec_lo, s7
	v_cmp_ge_u32_e64 s7, v6, v15
	s_mov_b32 s10, exec_lo
                                        ; implicit-def: $vgpr7
	v_cmpx_lt_u32_e64 v6, v15
	s_cbranch_execz .LBB1455_86
; %bb.85:
	v_mov_b32_e32 v7, 0
	s_delay_alu instid0(VALU_DEP_1) | instskip(NEXT) | instid1(VALU_DEP_1)
	v_lshlrev_b64 v[10:11], 2, v[6:7]
	v_add_co_u32 v10, s4, v27, v10
	s_delay_alu instid0(VALU_DEP_1)
	v_add_co_ci_u32_e64 v11, s4, v28, v11, s4
	flat_load_b32 v7, v[10:11]
.LBB1455_86:
	s_or_b32 exec_lo, exec_lo, s10
	s_or_b32 s3, s3, s7
	s_mov_b32 s4, -1
	s_xor_b32 s3, s3, -1
	s_delay_alu instid0(SALU_CYCLE_1)
	s_and_saveexec_b32 s10, s3
	s_cbranch_execz .LBB1455_88
; %bb.87:
	s_waitcnt vmcnt(0) lgkmcnt(0)
	v_dual_add_f32 v5, 0, v16 :: v_dual_add_f32 v10, 0, v7
	s_and_not1_b32 s7, s7, exec_lo
	s_delay_alu instid0(VALU_DEP_1) | instskip(NEXT) | instid1(VALU_DEP_2)
	v_ashrrev_i32_e32 v11, 31, v5
	v_ashrrev_i32_e32 v17, 31, v10
	s_delay_alu instid0(VALU_DEP_2) | instskip(NEXT) | instid1(VALU_DEP_2)
	v_or_b32_e32 v11, 0x80000000, v11
	v_or_b32_e32 v17, 0x80000000, v17
	s_delay_alu instid0(VALU_DEP_2) | instskip(NEXT) | instid1(VALU_DEP_2)
	v_xor_b32_e32 v5, v11, v5
	v_xor_b32_e32 v10, v17, v10
	s_delay_alu instid0(VALU_DEP_1) | instskip(NEXT) | instid1(VALU_DEP_1)
	v_cmp_le_u32_e64 s3, v5, v10
	s_and_b32 s3, s3, exec_lo
	s_delay_alu instid0(SALU_CYCLE_1)
	s_or_b32 s7, s7, s3
.LBB1455_88:
	s_or_b32 exec_lo, exec_lo, s10
	v_cndmask_b32_e64 v10, v6, v4, s7
	v_cndmask_b32_e64 v5, v15, v12, s7
	v_mov_b32_e32 v11, 0
	s_mov_b32 s11, 0
	s_mov_b32 s10, exec_lo
	v_add_nc_u32_e32 v21, 1, v10
	v_add_nc_u32_e32 v5, -1, v5
	v_lshlrev_b64 v[17:18], 3, v[10:11]
	s_delay_alu instid0(VALU_DEP_3) | instskip(NEXT) | instid1(VALU_DEP_3)
	v_cndmask_b32_e64 v4, v4, v21, s7
	v_min_u32_e32 v10, v21, v5
	v_cndmask_b32_e64 v5, v21, v6, s7
	s_delay_alu instid0(VALU_DEP_2) | instskip(NEXT) | instid1(VALU_DEP_1)
	v_lshlrev_b64 v[19:20], 2, v[10:11]
	v_add_co_u32 v19, s3, v27, v19
	s_delay_alu instid0(VALU_DEP_1) | instskip(SKIP_1) | instid1(VALU_DEP_1)
	v_add_co_ci_u32_e64 v20, s3, v28, v20, s3
	v_add_co_u32 v17, s3, v25, v17
	v_add_co_ci_u32_e64 v18, s3, v26, v18, s3
	s_clause 0x1
	flat_load_b32 v10, v[19:20]
	flat_load_b64 v[17:18], v[17:18]
	s_waitcnt vmcnt(1) lgkmcnt(1)
	v_cndmask_b32_e64 v6, v10, v7, s7
	v_cndmask_b32_e64 v29, v16, v10, s7
	v_cmpx_lt_u32_e64 v5, v15
	s_cbranch_execz .LBB1455_92
; %bb.89:
	s_mov_b32 s4, exec_lo
	v_cmpx_lt_u32_e64 v4, v12
; %bb.90:
	v_dual_add_f32 v10, 0, v29 :: v_dual_add_f32 v19, 0, v6
	s_delay_alu instid0(VALU_DEP_1) | instskip(NEXT) | instid1(VALU_DEP_2)
	v_ashrrev_i32_e32 v20, 31, v10
	v_ashrrev_i32_e32 v21, 31, v19
	s_delay_alu instid0(VALU_DEP_2) | instskip(NEXT) | instid1(VALU_DEP_2)
	v_or_b32_e32 v20, 0x80000000, v20
	v_or_b32_e32 v21, 0x80000000, v21
	s_delay_alu instid0(VALU_DEP_2) | instskip(NEXT) | instid1(VALU_DEP_2)
	v_xor_b32_e32 v10, v20, v10
	v_xor_b32_e32 v19, v21, v19
	s_delay_alu instid0(VALU_DEP_1) | instskip(NEXT) | instid1(VALU_DEP_1)
	v_cmp_le_u32_e64 s3, v10, v19
	s_and_b32 s11, s3, exec_lo
; %bb.91:
	s_or_b32 exec_lo, exec_lo, s4
	s_delay_alu instid0(SALU_CYCLE_1)
	s_or_not1_b32 s4, s11, exec_lo
.LBB1455_92:
	s_or_b32 exec_lo, exec_lo, s10
	v_cndmask_b32_e64 v10, v5, v4, s4
	v_cndmask_b32_e64 v19, v15, v12, s4
	s_mov_b32 s15, 0
	s_mov_b32 s10, -1
	s_mov_b32 s11, -1
	v_add_nc_u32_e32 v21, 1, v10
	v_add_nc_u32_e32 v22, -1, v19
	v_lshlrev_b64 v[19:20], 3, v[10:11]
	s_mov_b32 s14, exec_lo
	s_delay_alu instid0(VALU_DEP_3) | instskip(NEXT) | instid1(VALU_DEP_3)
	v_cndmask_b32_e64 v23, v21, v5, s4
	v_min_u32_e32 v10, v21, v22
	v_cndmask_b32_e64 v24, v4, v21, s4
	s_delay_alu instid0(VALU_DEP_2) | instskip(NEXT) | instid1(VALU_DEP_1)
	v_lshlrev_b64 v[10:11], 2, v[10:11]
	v_add_co_u32 v10, s3, v27, v10
	s_delay_alu instid0(VALU_DEP_1) | instskip(SKIP_2) | instid1(VALU_DEP_1)
	v_add_co_ci_u32_e64 v11, s3, v28, v11, s3
	flat_load_b32 v22, v[10:11]
	v_add_co_u32 v10, s3, v25, v19
	v_add_co_ci_u32_e64 v11, s3, v26, v20, s3
	flat_load_b64 v[19:20], v[10:11]
	s_waitcnt vmcnt(1) lgkmcnt(1)
	v_cndmask_b32_e64 v10, v22, v6, s4
	v_cndmask_b32_e64 v11, v29, v22, s4
	v_cmpx_lt_u32_e64 v23, v15
	s_cbranch_execz .LBB1455_96
; %bb.93:
	s_mov_b32 s11, exec_lo
	v_cmpx_lt_u32_e64 v24, v12
; %bb.94:
	v_dual_add_f32 v4, 0, v11 :: v_dual_add_f32 v5, 0, v10
	s_delay_alu instid0(VALU_DEP_1) | instskip(NEXT) | instid1(VALU_DEP_2)
	v_ashrrev_i32_e32 v21, 31, v4
	v_ashrrev_i32_e32 v22, 31, v5
	s_delay_alu instid0(VALU_DEP_2) | instskip(NEXT) | instid1(VALU_DEP_2)
	v_or_b32_e32 v21, 0x80000000, v21
	v_or_b32_e32 v22, 0x80000000, v22
	s_delay_alu instid0(VALU_DEP_2) | instskip(NEXT) | instid1(VALU_DEP_2)
	v_xor_b32_e32 v4, v21, v4
	v_xor_b32_e32 v5, v22, v5
	s_delay_alu instid0(VALU_DEP_1) | instskip(NEXT) | instid1(VALU_DEP_1)
	v_cmp_le_u32_e64 s3, v4, v5
	s_and_b32 s15, s3, exec_lo
; %bb.95:
	s_or_b32 exec_lo, exec_lo, s11
	s_delay_alu instid0(SALU_CYCLE_1)
	s_or_not1_b32 s11, s15, exec_lo
.LBB1455_96:
	s_or_b32 exec_lo, exec_lo, s14
	v_cndmask_b32_e64 v4, v23, v24, s11
	v_cndmask_b32_e64 v21, v15, v12, s11
	v_mov_b32_e32 v5, 0
	s_mov_b32 s15, 0
	s_mov_b32 s14, exec_lo
	v_add_nc_u32_e32 v32, 1, v4
	v_add_nc_u32_e32 v30, -1, v21
	v_lshlrev_b64 v[21:22], 3, v[4:5]
	s_delay_alu instid0(VALU_DEP_2) | instskip(NEXT) | instid1(VALU_DEP_1)
	v_min_u32_e32 v4, v32, v30
	v_lshlrev_b64 v[30:31], 2, v[4:5]
	v_cndmask_b32_e64 v4, v32, v23, s11
	v_cndmask_b32_e64 v23, v24, v32, s11
	s_delay_alu instid0(VALU_DEP_3) | instskip(NEXT) | instid1(VALU_DEP_1)
	v_add_co_u32 v27, s3, v27, v30
	v_add_co_ci_u32_e64 v28, s3, v28, v31, s3
	v_add_co_u32 v21, s3, v25, v21
	s_delay_alu instid0(VALU_DEP_1)
	v_add_co_ci_u32_e64 v22, s3, v26, v22, s3
	s_clause 0x1
	flat_load_b32 v28, v[27:28]
	flat_load_b64 v[21:22], v[21:22]
	s_waitcnt vmcnt(1) lgkmcnt(1)
	v_cndmask_b32_e64 v27, v28, v10, s11
	v_cndmask_b32_e64 v28, v11, v28, s11
	v_cmpx_lt_u32_e64 v4, v15
	s_cbranch_execz .LBB1455_100
; %bb.97:
	s_mov_b32 s10, exec_lo
	v_cmpx_lt_u32_e64 v23, v12
; %bb.98:
	v_dual_add_f32 v12, 0, v28 :: v_dual_add_f32 v15, 0, v27
	s_delay_alu instid0(VALU_DEP_1) | instskip(NEXT) | instid1(VALU_DEP_2)
	v_ashrrev_i32_e32 v24, 31, v12
	v_ashrrev_i32_e32 v30, 31, v15
	s_delay_alu instid0(VALU_DEP_2) | instskip(NEXT) | instid1(VALU_DEP_2)
	v_or_b32_e32 v24, 0x80000000, v24
	v_or_b32_e32 v30, 0x80000000, v30
	s_delay_alu instid0(VALU_DEP_2) | instskip(NEXT) | instid1(VALU_DEP_2)
	v_xor_b32_e32 v12, v24, v12
	v_xor_b32_e32 v15, v30, v15
	s_delay_alu instid0(VALU_DEP_1) | instskip(NEXT) | instid1(VALU_DEP_1)
	v_cmp_le_u32_e64 s3, v12, v15
	s_and_b32 s15, s3, exec_lo
; %bb.99:
	s_or_b32 exec_lo, exec_lo, s10
	s_delay_alu instid0(SALU_CYCLE_1)
	s_or_not1_b32 s10, s15, exec_lo
.LBB1455_100:
	s_or_b32 exec_lo, exec_lo, s14
	v_cndmask_b32_e64 v4, v4, v23, s10
	v_cndmask_b32_e64 v66, v10, v11, s11
	;; [unrolled: 1-line block ×5, first 2 shown]
	v_lshlrev_b64 v[4:5], 3, v[4:5]
	s_delay_alu instid0(VALU_DEP_1) | instskip(NEXT) | instid1(VALU_DEP_1)
	v_add_co_u32 v4, s3, v25, v4
	v_add_co_ci_u32_e64 v5, s3, v26, v5, s3
	flat_load_b64 v[23:24], v[4:5]
.LBB1455_101:
	s_or_b32 exec_lo, exec_lo, s5
	v_add_co_u32 v2, s3, v2, v68
	s_delay_alu instid0(VALU_DEP_1) | instskip(NEXT) | instid1(VALU_DEP_2)
	v_add_co_ci_u32_e64 v3, s3, v3, v69, s3
	v_add_co_u32 v2, s3, v2, v71
	s_delay_alu instid0(VALU_DEP_1)
	v_add_co_ci_u32_e64 v3, s3, 0, v3, s3
	; wave barrier
	s_waitcnt vmcnt(0) lgkmcnt(0)
	s_waitcnt_vscnt null, 0x0
	s_barrier
	buffer_gl0_inv
	; wave barrier
	s_and_saveexec_b32 s3, vcc_lo
	s_cbranch_execnz .LBB1455_222
; %bb.102:
	s_or_b32 exec_lo, exec_lo, s3
	s_and_saveexec_b32 s3, s0
	s_cbranch_execnz .LBB1455_223
.LBB1455_103:
	s_or_b32 exec_lo, exec_lo, s3
	s_and_saveexec_b32 s3, s1
	s_cbranch_execnz .LBB1455_224
.LBB1455_104:
	s_or_b32 exec_lo, exec_lo, s3
	s_and_saveexec_b32 s3, s2
	s_cbranch_execz .LBB1455_106
.LBB1455_105:
	flat_store_b32 v[2:3], v67 offset:12
.LBB1455_106:
	s_or_b32 exec_lo, exec_lo, s3
	v_add_co_u32 v0, s3, v8, v0
	s_delay_alu instid0(VALU_DEP_1) | instskip(NEXT) | instid1(VALU_DEP_2)
	v_add_co_ci_u32_e64 v1, s3, v9, v1, s3
	v_add_co_u32 v0, s3, v0, v81
	s_delay_alu instid0(VALU_DEP_1)
	v_add_co_ci_u32_e64 v1, s3, 0, v1, s3
	; wave barrier
	s_and_saveexec_b32 s3, vcc_lo
	s_cbranch_execnz .LBB1455_225
; %bb.107:
	s_or_b32 exec_lo, exec_lo, s3
	s_and_saveexec_b32 s3, s0
	s_cbranch_execnz .LBB1455_226
.LBB1455_108:
	s_or_b32 exec_lo, exec_lo, s3
	s_and_saveexec_b32 s0, s1
	s_cbranch_execz .LBB1455_110
.LBB1455_109:
	flat_store_b64 v[0:1], v[21:22] offset:16
.LBB1455_110:
	s_or_b32 exec_lo, exec_lo, s0
	s_delay_alu instid0(SALU_CYCLE_1)
	s_and_b32 s5, s2, exec_lo
                                        ; implicit-def: $vgpr12
                                        ; implicit-def: $vgpr80
                                        ; implicit-def: $vgpr25_vgpr26
                                        ; implicit-def: $vgpr4
                                        ; implicit-def: $vgpr5
                                        ; implicit-def: $vgpr6
                                        ; implicit-def: $vgpr7
                                        ; implicit-def: $vgpr10
                                        ; implicit-def: $vgpr15
                                        ; implicit-def: $vgpr16
                                        ; implicit-def: $vgpr68_vgpr69
                                        ; implicit-def: $vgpr71
                                        ; implicit-def: $vgpr31
	s_and_not1_saveexec_b32 s6, s6
	s_cbranch_execz .LBB1455_2
.LBB1455_111:
	v_bfrev_b32_e32 v1, -2
	v_bfrev_b32_e32 v0, -2
	s_and_saveexec_b32 s0, vcc_lo
	s_cbranch_execz .LBB1455_113
; %bb.112:
	flat_load_b32 v0, v[25:26]
.LBB1455_113:
	s_or_b32 exec_lo, exec_lo, s0
	v_or_b32_e32 v2, 1, v70
	s_delay_alu instid0(VALU_DEP_1) | instskip(NEXT) | instid1(VALU_DEP_1)
	v_cmp_lt_u32_e64 s1, v2, v12
	s_and_saveexec_b32 s0, s1
	s_cbranch_execz .LBB1455_115
; %bb.114:
	flat_load_b32 v1, v[25:26] offset:4
.LBB1455_115:
	s_or_b32 exec_lo, exec_lo, s0
	v_or_b32_e32 v2, 2, v70
	v_bfrev_b32_e32 v3, -2
	s_delay_alu instid0(VALU_DEP_2) | instskip(SKIP_1) | instid1(VALU_DEP_2)
	v_cmp_lt_u32_e64 s2, v2, v12
	v_bfrev_b32_e32 v2, -2
	s_and_saveexec_b32 s0, s2
	s_cbranch_execz .LBB1455_117
; %bb.116:
	flat_load_b32 v2, v[25:26] offset:8
.LBB1455_117:
	s_or_b32 exec_lo, exec_lo, s0
	v_or_b32_e32 v8, 3, v70
	s_delay_alu instid0(VALU_DEP_1) | instskip(NEXT) | instid1(VALU_DEP_1)
	v_cmp_lt_u32_e64 s0, v8, v12
	s_and_saveexec_b32 s3, s0
	s_cbranch_execz .LBB1455_119
; %bb.118:
	flat_load_b32 v3, v[25:26] offset:12
.LBB1455_119:
	s_or_b32 exec_lo, exec_lo, s3
	v_lshlrev_b64 v[8:9], 3, v[13:14]
	v_lshlrev_b32_e32 v12, 3, v70
	; wave barrier
                                        ; implicit-def: $vgpr17_vgpr18_vgpr19_vgpr20_vgpr21_vgpr22_vgpr23_vgpr24
	s_delay_alu instid0(VALU_DEP_2) | instskip(NEXT) | instid1(VALU_DEP_1)
	v_add_co_u32 v6, s3, v6, v8
	v_add_co_ci_u32_e64 v7, s3, v7, v9, s3
	s_delay_alu instid0(VALU_DEP_2) | instskip(NEXT) | instid1(VALU_DEP_1)
	v_add_co_u32 v6, s3, v6, v12
	v_add_co_ci_u32_e64 v7, s3, 0, v7, s3
	s_and_saveexec_b32 s3, vcc_lo
	s_cbranch_execnz .LBB1455_227
; %bb.120:
	s_or_b32 exec_lo, exec_lo, s3
	s_and_saveexec_b32 s3, s1
	s_cbranch_execnz .LBB1455_228
.LBB1455_121:
	s_or_b32 exec_lo, exec_lo, s3
	s_and_saveexec_b32 s3, s2
	s_cbranch_execnz .LBB1455_229
.LBB1455_122:
	s_or_b32 exec_lo, exec_lo, s3
	s_and_saveexec_b32 s3, s0
	s_cbranch_execz .LBB1455_124
.LBB1455_123:
	flat_load_b64 v[23:24], v[6:7] offset:24
.LBB1455_124:
	s_or_b32 exec_lo, exec_lo, s3
	; wave barrier
	s_load_b64 s[10:11], s[8:9], 0x0
	v_mov_b32_e32 v6, 0
	v_bfe_u32 v25, v31, 10, 10
	v_bfe_u32 v26, v31, 20, 10
	s_mov_b32 s7, exec_lo
	s_waitcnt lgkmcnt(0)
	s_cmp_lt_u32 s13, s11
	s_cselect_b32 s3, 14, 20
	s_delay_alu instid0(SALU_CYCLE_1) | instskip(SKIP_4) | instid1(SALU_CYCLE_1)
	s_add_u32 s14, s8, s3
	s_addc_u32 s15, s9, 0
	s_cmp_lt_u32 s12, s10
	global_load_u16 v7, v6, s[14:15]
	s_cselect_b32 s3, 12, 18
	s_add_u32 s8, s8, s3
	s_addc_u32 s9, s9, 0
	global_load_u16 v6, v6, s[8:9]
	s_waitcnt vmcnt(1)
	v_mad_u32_u24 v7, v26, v7, v25
	s_waitcnt vmcnt(0)
	s_delay_alu instid0(VALU_DEP_1) | instskip(SKIP_1) | instid1(VALU_DEP_1)
	v_mul_lo_u32 v6, v7, v6
	v_and_b32_e32 v7, 0x3ff, v31
	v_add_lshl_u32 v6, v6, v7, 2
	s_delay_alu instid0(VALU_DEP_1)
	v_cmpx_gt_u32_e32 0x400, v6
	s_cbranch_execz .LBB1455_136
; %bb.125:
	v_dual_add_f32 v7, 0, v0 :: v_dual_add_f32 v26, 0, v2
	v_dual_add_f32 v25, 0, v1 :: v_dual_mov_b32 v64, v2
	v_add_f32_e32 v27, 0, v3
	s_delay_alu instid0(VALU_DEP_3) | instskip(NEXT) | instid1(VALU_DEP_4)
	v_ashrrev_i32_e32 v28, 31, v7
	v_ashrrev_i32_e32 v30, 31, v26
	s_delay_alu instid0(VALU_DEP_4)
	v_ashrrev_i32_e32 v29, 31, v25
	s_mov_b32 s8, exec_lo
	v_ashrrev_i32_e32 v31, 31, v27
	v_or_b32_e32 v28, 0x80000000, v28
	v_or_b32_e32 v30, 0x80000000, v30
	;; [unrolled: 1-line block ×3, first 2 shown]
	s_delay_alu instid0(VALU_DEP_4) | instskip(NEXT) | instid1(VALU_DEP_4)
	v_or_b32_e32 v31, 0x80000000, v31
	v_xor_b32_e32 v7, v28, v7
	s_delay_alu instid0(VALU_DEP_4) | instskip(NEXT) | instid1(VALU_DEP_4)
	v_xor_b32_e32 v81, v30, v26
	v_xor_b32_e32 v28, v29, v25
	s_delay_alu instid0(VALU_DEP_4) | instskip(NEXT) | instid1(VALU_DEP_2)
	v_xor_b32_e32 v25, v31, v27
	v_cmp_gt_u32_e64 s3, v7, v28
	s_delay_alu instid0(VALU_DEP_1)
	v_cndmask_b32_e64 v65, v20, v18, s3
	v_cndmask_b32_e64 v66, v19, v17, s3
	;; [unrolled: 1-line block ×4, first 2 shown]
	v_cmpx_gt_u32_e64 v81, v25
; %bb.126:
	v_dual_mov_b32 v18, v21 :: v_dual_mov_b32 v19, v22
	v_mov_b32_e32 v21, v23
	v_dual_mov_b32 v64, v3 :: v_dual_mov_b32 v3, v2
	v_dual_mov_b32 v81, v25 :: v_dual_mov_b32 v22, v24
	s_delay_alu instid0(VALU_DEP_4)
	v_dual_mov_b32 v24, v19 :: v_dual_mov_b32 v23, v18
; %bb.127:
	s_or_b32 exec_lo, exec_lo, s8
	v_cndmask_b32_e64 v18, v1, v0, s3
                                        ; implicit-def: $vgpr67
	s_delay_alu instid0(VALU_DEP_1) | instskip(NEXT) | instid1(VALU_DEP_1)
	v_add_f32_e32 v2, 0, v18
	v_ashrrev_i32_e32 v19, 31, v2
	s_delay_alu instid0(VALU_DEP_1) | instskip(NEXT) | instid1(VALU_DEP_1)
	v_or_b32_e32 v19, 0x80000000, v19
	v_xor_b32_e32 v2, v19, v2
	s_delay_alu instid0(VALU_DEP_1) | instskip(NEXT) | instid1(VALU_DEP_1)
	v_cmp_le_u32_e64 s4, v2, v81
	s_and_saveexec_b32 s8, s4
	s_delay_alu instid0(SALU_CYCLE_1)
	s_xor_b32 s4, exec_lo, s8
                                        ; implicit-def: $vgpr32_vgpr33_vgpr34_vgpr35_vgpr36_vgpr37_vgpr38_vgpr39
                                        ; implicit-def: $vgpr30_vgpr31_vgpr32_vgpr33_vgpr34_vgpr35_vgpr36_vgpr37
                                        ; implicit-def: $vgpr25_vgpr26_vgpr27_vgpr28_vgpr29_vgpr30_vgpr31_vgpr32
                                        ; implicit-def: $vgpr48_vgpr49_vgpr50_vgpr51_vgpr52_vgpr53_vgpr54_vgpr55
; %bb.128:
	v_add_f32_e32 v19, 0, v64
	v_dual_mov_b32 v27, v66 :: v_dual_mov_b32 v38, v23
	v_mov_b32_e32 v66, v21
	v_mov_b32_e32 v33, v65
	s_delay_alu instid0(VALU_DEP_4) | instskip(SKIP_2) | instid1(VALU_DEP_3)
	v_ashrrev_i32_e32 v20, 31, v19
	v_mov_b32_e32 v65, v22
	v_mov_b32_e32 v55, v24
                                        ; implicit-def: $vgpr21_vgpr22
                                        ; implicit-def: $vgpr81
	v_or_b32_e32 v20, 0x80000000, v20
	s_delay_alu instid0(VALU_DEP_1)
	v_xor_b32_e32 v67, v20, v19
; %bb.129:
	s_or_saveexec_b32 s4, s4
	v_mov_b32_e32 v25, v18
	s_xor_b32 exec_lo, exec_lo, s4
; %bb.130:
	v_dual_mov_b32 v27, v21 :: v_dual_mov_b32 v38, v23
	v_mov_b32_e32 v33, v22
	v_mov_b32_e32 v55, v24
	;; [unrolled: 1-line block ×3, first 2 shown]
	v_dual_mov_b32 v25, v64 :: v_dual_mov_b32 v64, v18
	v_mov_b32_e32 v2, v81
; %bb.131:
	s_or_b32 exec_lo, exec_lo, s4
	v_cndmask_b32_e64 v0, v0, v1, s3
	v_dual_mov_b32 v21, v66 :: v_dual_mov_b32 v22, v65
	v_dual_mov_b32 v23, v38 :: v_dual_mov_b32 v24, v55
	s_delay_alu instid0(VALU_DEP_3) | instskip(SKIP_1) | instid1(VALU_DEP_1)
	v_dual_add_f32 v1, 0, v0 :: v_dual_add_f32 v18, 0, v3
	s_mov_b32 s8, exec_lo
	v_ashrrev_i32_e32 v19, 31, v1
	s_delay_alu instid0(VALU_DEP_2) | instskip(NEXT) | instid1(VALU_DEP_2)
	v_ashrrev_i32_e32 v20, 31, v18
	v_or_b32_e32 v19, 0x80000000, v19
	s_delay_alu instid0(VALU_DEP_2) | instskip(NEXT) | instid1(VALU_DEP_2)
	v_or_b32_e32 v20, 0x80000000, v20
	v_xor_b32_e32 v19, v19, v1
	s_delay_alu instid0(VALU_DEP_2) | instskip(NEXT) | instid1(VALU_DEP_2)
	v_xor_b32_e32 v1, v20, v18
	v_cmp_gt_u32_e64 s3, v19, v2
	s_delay_alu instid0(VALU_DEP_1)
	v_cndmask_b32_e64 v20, v33, v7, s3
	v_cndmask_b32_e64 v19, v27, v17, s3
	;; [unrolled: 1-line block ×4, first 2 shown]
	v_mov_b32_e32 v7, v64
	v_cmpx_gt_u32_e64 v67, v1
; %bb.132:
	s_delay_alu instid0(VALU_DEP_3) | instskip(SKIP_3) | instid1(VALU_DEP_4)
	v_dual_mov_b32 v26, v17 :: v_dual_mov_b32 v27, v18
	v_dual_mov_b32 v28, v19 :: v_dual_mov_b32 v29, v20
	;; [unrolled: 1-line block ×4, first 2 shown]
	v_mov_b32_e32 v17, v26
	s_delay_alu instid0(VALU_DEP_4) | instskip(SKIP_1) | instid1(VALU_DEP_4)
	v_dual_mov_b32 v7, v3 :: v_dual_mov_b32 v20, v29
	v_dual_mov_b32 v3, v64 :: v_dual_mov_b32 v18, v27
	;; [unrolled: 1-line block ×4, first 2 shown]
	v_mov_b32_e32 v23, v32
	v_mov_b32_e32 v67, v1
; %bb.133:
	s_or_b32 exec_lo, exec_lo, s8
	v_cndmask_b32_e64 v1, v25, v0, s3
	s_delay_alu instid0(VALU_DEP_1) | instskip(NEXT) | instid1(VALU_DEP_1)
	v_add_f32_e32 v2, 0, v1
	v_ashrrev_i32_e32 v26, 31, v2
	s_delay_alu instid0(VALU_DEP_1) | instskip(NEXT) | instid1(VALU_DEP_1)
	v_or_b32_e32 v26, 0x80000000, v26
	v_xor_b32_e32 v2, v26, v2
	s_delay_alu instid0(VALU_DEP_1) | instskip(SKIP_1) | instid1(VALU_DEP_2)
	v_cmp_gt_u32_e64 s4, v2, v67
	v_mov_b32_e32 v2, v7
	s_and_saveexec_b32 s8, s4
; %bb.134:
	v_dual_mov_b32 v26, v17 :: v_dual_mov_b32 v27, v18
	v_dual_mov_b32 v28, v21 :: v_dual_mov_b32 v29, v22
	;; [unrolled: 1-line block ×4, first 2 shown]
	s_delay_alu instid0(VALU_DEP_4) | instskip(NEXT) | instid1(VALU_DEP_4)
	v_dual_mov_b32 v17, v26 :: v_dual_mov_b32 v18, v27
	v_dual_mov_b32 v19, v28 :: v_dual_mov_b32 v20, v29
	s_delay_alu instid0(VALU_DEP_4) | instskip(NEXT) | instid1(VALU_DEP_4)
	v_dual_mov_b32 v21, v30 :: v_dual_mov_b32 v22, v31
	v_dual_mov_b32 v23, v32 :: v_dual_mov_b32 v24, v33
	;; [unrolled: 1-line block ×3, first 2 shown]
; %bb.135:
	s_or_b32 exec_lo, exec_lo, s8
	v_cndmask_b32_e64 v0, v0, v25, s3
.LBB1455_136:
	s_or_b32 exec_lo, exec_lo, s7
	v_dual_mov_b32 v26, 0 :: v_dual_and_b32 v25, 0xffffff80, v6
	v_or_b32_e32 v29, 4, v80
	s_mov_b32 s4, 0
	s_mov_b32 s7, exec_lo
	s_delay_alu instid0(VALU_DEP_2) | instskip(SKIP_2) | instid1(VALU_DEP_3)
	v_sub_nc_u32_e64 v33, 0x400, v25 clamp
	v_lshlrev_b64 v[6:7], 2, v[25:26]
	v_lshlrev_b64 v[27:28], 3, v[25:26]
	v_min_u32_e32 v34, v33, v29
	s_delay_alu instid0(VALU_DEP_3) | instskip(NEXT) | instid1(VALU_DEP_1)
	v_add_co_u32 v31, s3, v15, v6
	v_add_co_ci_u32_e64 v32, s3, v16, v7, s3
	s_delay_alu instid0(VALU_DEP_4) | instskip(NEXT) | instid1(VALU_DEP_1)
	v_add_co_u32 v6, s3, v15, v27
	v_add_co_ci_u32_e64 v7, s3, v16, v28, s3
	v_add_nc_u32_e32 v15, 4, v34
	s_delay_alu instid0(VALU_DEP_3) | instskip(NEXT) | instid1(VALU_DEP_1)
	v_add_co_u32 v29, s3, 0x1000, v6
	v_add_co_ci_u32_e64 v30, s3, 0, v7, s3
	v_and_b32_e32 v6, 4, v80
	v_and_b32_e32 v27, 0x78, v80
	v_min_u32_e32 v35, v33, v15
	v_lshlrev_b32_e32 v7, 3, v80
	v_lshlrev_b32_e32 v15, 2, v80
	v_min_u32_e32 v28, v33, v6
	v_sub_nc_u32_e32 v16, v34, v27
	v_sub_nc_u32_e32 v25, v35, v34
	v_add_co_u32 v6, s3, v29, v7
	s_delay_alu instid0(VALU_DEP_1) | instskip(SKIP_1) | instid1(VALU_DEP_4)
	v_add_co_ci_u32_e64 v7, s3, 0, v30, s3
	v_add_co_u32 v15, s3, v31, v15
	v_sub_nc_u32_e64 v36, v28, v25 clamp
	v_min_u32_e32 v37, v28, v16
	v_add_co_ci_u32_e64 v16, s3, 0, v32, s3
	s_clause 0x2
	flat_store_b128 v[6:7], v[17:20]
	flat_store_b128 v[15:16], v[0:3]
	flat_store_b128 v[6:7], v[21:24] offset:16
	; wave barrier
	v_cmpx_lt_u32_e64 v36, v37
	s_cbranch_execz .LBB1455_140
; %bb.137:
	v_lshlrev_b32_e32 v25, 2, v27
	v_lshlrev_b32_e32 v48, 2, v34
	s_delay_alu instid0(VALU_DEP_2) | instskip(NEXT) | instid1(VALU_DEP_1)
	v_add_co_u32 v38, s3, v31, v25
	v_add_co_ci_u32_e64 v39, s3, 0, v32, s3
	s_delay_alu instid0(VALU_DEP_3) | instskip(NEXT) | instid1(VALU_DEP_1)
	v_add_co_u32 v48, s3, v31, v48
	v_add_co_ci_u32_e64 v49, s3, 0, v32, s3
	s_set_inst_prefetch_distance 0x1
	.p2align	6
.LBB1455_138:                           ; =>This Inner Loop Header: Depth=1
	v_add_nc_u32_e32 v25, v37, v36
	s_delay_alu instid0(VALU_DEP_1) | instskip(SKIP_1) | instid1(VALU_DEP_2)
	v_lshrrev_b32_e32 v25, 1, v25
	v_mov_b32_e32 v51, v26
	v_xad_u32 v50, v25, -1, v28
	v_lshlrev_b64 v[52:53], 2, v[25:26]
	s_delay_alu instid0(VALU_DEP_2) | instskip(NEXT) | instid1(VALU_DEP_2)
	v_lshlrev_b64 v[50:51], 2, v[50:51]
	v_add_co_u32 v52, s3, v38, v52
	s_delay_alu instid0(VALU_DEP_1) | instskip(NEXT) | instid1(VALU_DEP_3)
	v_add_co_ci_u32_e64 v53, s3, v39, v53, s3
	v_add_co_u32 v50, s3, v48, v50
	s_delay_alu instid0(VALU_DEP_1)
	v_add_co_ci_u32_e64 v51, s3, v49, v51, s3
	s_clause 0x1
	flat_load_b32 v52, v[52:53]
	flat_load_b32 v50, v[50:51]
	s_waitcnt vmcnt(0) lgkmcnt(0)
	v_dual_add_f32 v51, 0, v52 :: v_dual_add_f32 v50, 0, v50
	s_delay_alu instid0(VALU_DEP_1) | instskip(NEXT) | instid1(VALU_DEP_2)
	v_ashrrev_i32_e32 v52, 31, v51
	v_ashrrev_i32_e32 v53, 31, v50
	s_delay_alu instid0(VALU_DEP_2) | instskip(NEXT) | instid1(VALU_DEP_2)
	v_or_b32_e32 v52, 0x80000000, v52
	v_or_b32_e32 v53, 0x80000000, v53
	s_delay_alu instid0(VALU_DEP_2) | instskip(SKIP_1) | instid1(VALU_DEP_3)
	v_xor_b32_e32 v51, v52, v51
	v_add_nc_u32_e32 v52, 1, v25
	v_xor_b32_e32 v50, v53, v50
	s_delay_alu instid0(VALU_DEP_1) | instskip(NEXT) | instid1(VALU_DEP_1)
	v_cmp_gt_u32_e64 s3, v51, v50
	v_cndmask_b32_e64 v37, v37, v25, s3
	s_delay_alu instid0(VALU_DEP_4) | instskip(NEXT) | instid1(VALU_DEP_1)
	v_cndmask_b32_e64 v36, v52, v36, s3
	v_cmp_ge_u32_e64 s3, v36, v37
	s_delay_alu instid0(VALU_DEP_1) | instskip(NEXT) | instid1(SALU_CYCLE_1)
	s_or_b32 s4, s3, s4
	s_and_not1_b32 exec_lo, exec_lo, s4
	s_cbranch_execnz .LBB1455_138
; %bb.139:
	s_set_inst_prefetch_distance 0x2
	s_or_b32 exec_lo, exec_lo, s4
.LBB1455_140:
	s_delay_alu instid0(SALU_CYCLE_1) | instskip(SKIP_2) | instid1(VALU_DEP_2)
	s_or_b32 exec_lo, exec_lo, s7
	v_add_nc_u32_e32 v26, v34, v28
	v_add_nc_u32_e32 v25, v36, v27
	v_sub_nc_u32_e32 v27, v26, v36
	s_delay_alu instid0(VALU_DEP_2) | instskip(NEXT) | instid1(VALU_DEP_2)
	v_cmp_le_u32_e64 s3, v25, v34
	v_cmp_le_u32_e64 s4, v27, v35
	s_delay_alu instid0(VALU_DEP_1) | instskip(NEXT) | instid1(SALU_CYCLE_1)
	s_or_b32 s3, s3, s4
	s_and_saveexec_b32 s7, s3
	s_cbranch_execz .LBB1455_160
; %bb.141:
	v_cmp_ge_u32_e64 s3, v25, v34
	s_mov_b32 s8, exec_lo
                                        ; implicit-def: $vgpr3
	v_cmpx_lt_u32_e64 v25, v34
	s_cbranch_execz .LBB1455_143
; %bb.142:
	v_mov_b32_e32 v26, 0
	s_delay_alu instid0(VALU_DEP_1) | instskip(NEXT) | instid1(VALU_DEP_1)
	v_lshlrev_b64 v[0:1], 2, v[25:26]
	v_add_co_u32 v0, s4, v31, v0
	s_delay_alu instid0(VALU_DEP_1)
	v_add_co_ci_u32_e64 v1, s4, v32, v1, s4
	flat_load_b32 v3, v[0:1]
.LBB1455_143:
	s_or_b32 exec_lo, exec_lo, s8
	v_cmp_ge_u32_e64 s8, v27, v35
	s_mov_b32 s9, exec_lo
                                        ; implicit-def: $vgpr26
	v_cmpx_lt_u32_e64 v27, v35
	s_cbranch_execz .LBB1455_145
; %bb.144:
	v_mov_b32_e32 v28, 0
	s_delay_alu instid0(VALU_DEP_1) | instskip(NEXT) | instid1(VALU_DEP_1)
	v_lshlrev_b64 v[0:1], 2, v[27:28]
	v_add_co_u32 v0, s4, v31, v0
	s_delay_alu instid0(VALU_DEP_1)
	v_add_co_ci_u32_e64 v1, s4, v32, v1, s4
	flat_load_b32 v26, v[0:1]
.LBB1455_145:
	s_or_b32 exec_lo, exec_lo, s9
	s_or_b32 s3, s3, s8
	s_mov_b32 s4, -1
	s_xor_b32 s3, s3, -1
	s_delay_alu instid0(SALU_CYCLE_1)
	s_and_saveexec_b32 s9, s3
	s_cbranch_execz .LBB1455_147
; %bb.146:
	s_waitcnt vmcnt(0) lgkmcnt(0)
	v_dual_add_f32 v0, 0, v3 :: v_dual_add_f32 v1, 0, v26
	s_and_not1_b32 s8, s8, exec_lo
	s_delay_alu instid0(VALU_DEP_1) | instskip(NEXT) | instid1(VALU_DEP_2)
	v_ashrrev_i32_e32 v2, 31, v0
	v_ashrrev_i32_e32 v17, 31, v1
	s_delay_alu instid0(VALU_DEP_2) | instskip(NEXT) | instid1(VALU_DEP_2)
	v_or_b32_e32 v2, 0x80000000, v2
	v_or_b32_e32 v17, 0x80000000, v17
	s_delay_alu instid0(VALU_DEP_2) | instskip(NEXT) | instid1(VALU_DEP_2)
	v_xor_b32_e32 v0, v2, v0
	v_xor_b32_e32 v1, v17, v1
	s_delay_alu instid0(VALU_DEP_1) | instskip(NEXT) | instid1(VALU_DEP_1)
	v_cmp_le_u32_e64 s3, v0, v1
	s_and_b32 s3, s3, exec_lo
	s_delay_alu instid0(SALU_CYCLE_1)
	s_or_b32 s8, s8, s3
.LBB1455_147:
	s_or_b32 exec_lo, exec_lo, s9
	v_cndmask_b32_e64 v0, v27, v25, s8
	v_cndmask_b32_e64 v2, v35, v34, s8
	v_mov_b32_e32 v1, 0
	s_mov_b32 s10, 0
	s_mov_b32 s9, exec_lo
	v_add_nc_u32_e32 v21, 1, v0
	v_add_nc_u32_e32 v2, -1, v2
	v_lshlrev_b64 v[17:18], 3, v[0:1]
	s_delay_alu instid0(VALU_DEP_2) | instskip(SKIP_2) | instid1(VALU_DEP_3)
	v_min_u32_e32 v0, v21, v2
	v_cndmask_b32_e64 v2, v21, v27, s8
	v_cndmask_b32_e64 v21, v25, v21, s8
	v_lshlrev_b64 v[19:20], 2, v[0:1]
	s_delay_alu instid0(VALU_DEP_1) | instskip(NEXT) | instid1(VALU_DEP_1)
	v_add_co_u32 v19, s3, v31, v19
	v_add_co_ci_u32_e64 v20, s3, v32, v20, s3
	v_add_co_u32 v17, s3, v29, v17
	s_delay_alu instid0(VALU_DEP_1)
	v_add_co_ci_u32_e64 v18, s3, v30, v18, s3
	s_clause 0x1
	flat_load_b32 v0, v[19:20]
	flat_load_b64 v[17:18], v[17:18]
	s_waitcnt vmcnt(1) lgkmcnt(1)
	v_cndmask_b32_e64 v25, v0, v26, s8
	v_cndmask_b32_e64 v27, v3, v0, s8
	v_cmpx_lt_u32_e64 v2, v35
	s_cbranch_execz .LBB1455_151
; %bb.148:
	s_mov_b32 s4, exec_lo
	v_cmpx_lt_u32_e64 v21, v34
; %bb.149:
	v_dual_add_f32 v0, 0, v27 :: v_dual_add_f32 v19, 0, v25
	s_delay_alu instid0(VALU_DEP_1) | instskip(NEXT) | instid1(VALU_DEP_2)
	v_ashrrev_i32_e32 v20, 31, v0
	v_ashrrev_i32_e32 v22, 31, v19
	s_delay_alu instid0(VALU_DEP_2) | instskip(NEXT) | instid1(VALU_DEP_2)
	v_or_b32_e32 v20, 0x80000000, v20
	v_or_b32_e32 v22, 0x80000000, v22
	s_delay_alu instid0(VALU_DEP_2) | instskip(NEXT) | instid1(VALU_DEP_2)
	v_xor_b32_e32 v0, v20, v0
	v_xor_b32_e32 v19, v22, v19
	s_delay_alu instid0(VALU_DEP_1) | instskip(NEXT) | instid1(VALU_DEP_1)
	v_cmp_le_u32_e64 s3, v0, v19
	s_and_b32 s10, s3, exec_lo
; %bb.150:
	s_or_b32 exec_lo, exec_lo, s4
	s_delay_alu instid0(SALU_CYCLE_1)
	s_or_not1_b32 s4, s10, exec_lo
.LBB1455_151:
	s_or_b32 exec_lo, exec_lo, s9
	v_cndmask_b32_e64 v0, v2, v21, s4
	v_cndmask_b32_e64 v19, v35, v34, s4
	s_mov_b32 s12, 0
	s_mov_b32 s9, -1
	s_mov_b32 s10, -1
	v_add_nc_u32_e32 v22, 1, v0
	v_add_nc_u32_e32 v23, -1, v19
	v_lshlrev_b64 v[19:20], 3, v[0:1]
	s_mov_b32 s11, exec_lo
	s_delay_alu instid0(VALU_DEP_3) | instskip(NEXT) | instid1(VALU_DEP_3)
	v_cndmask_b32_e64 v24, v21, v22, s4
	v_min_u32_e32 v0, v22, v23
	v_cndmask_b32_e64 v23, v22, v2, s4
	s_delay_alu instid0(VALU_DEP_2) | instskip(NEXT) | instid1(VALU_DEP_1)
	v_lshlrev_b64 v[0:1], 2, v[0:1]
	v_add_co_u32 v0, s3, v31, v0
	s_delay_alu instid0(VALU_DEP_1) | instskip(SKIP_2) | instid1(VALU_DEP_1)
	v_add_co_ci_u32_e64 v1, s3, v32, v1, s3
	flat_load_b32 v28, v[0:1]
	v_add_co_u32 v0, s3, v29, v19
	v_add_co_ci_u32_e64 v1, s3, v30, v20, s3
	flat_load_b64 v[19:20], v[0:1]
	s_waitcnt vmcnt(1) lgkmcnt(1)
	v_cndmask_b32_e64 v2, v28, v25, s4
	v_cndmask_b32_e64 v28, v27, v28, s4
	v_cmpx_lt_u32_e64 v23, v35
	s_cbranch_execz .LBB1455_155
; %bb.152:
	s_mov_b32 s10, exec_lo
	v_cmpx_lt_u32_e64 v24, v34
; %bb.153:
	v_dual_add_f32 v0, 0, v28 :: v_dual_add_f32 v1, 0, v2
	s_delay_alu instid0(VALU_DEP_1) | instskip(NEXT) | instid1(VALU_DEP_2)
	v_ashrrev_i32_e32 v21, 31, v0
	v_ashrrev_i32_e32 v22, 31, v1
	s_delay_alu instid0(VALU_DEP_2) | instskip(NEXT) | instid1(VALU_DEP_2)
	v_or_b32_e32 v21, 0x80000000, v21
	v_or_b32_e32 v22, 0x80000000, v22
	s_delay_alu instid0(VALU_DEP_2) | instskip(NEXT) | instid1(VALU_DEP_2)
	v_xor_b32_e32 v0, v21, v0
	v_xor_b32_e32 v1, v22, v1
	s_delay_alu instid0(VALU_DEP_1) | instskip(NEXT) | instid1(VALU_DEP_1)
	v_cmp_le_u32_e64 s3, v0, v1
	s_and_b32 s12, s3, exec_lo
; %bb.154:
	s_or_b32 exec_lo, exec_lo, s10
	s_delay_alu instid0(SALU_CYCLE_1)
	s_or_not1_b32 s10, s12, exec_lo
.LBB1455_155:
	s_or_b32 exec_lo, exec_lo, s11
	v_cndmask_b32_e64 v0, v23, v24, s10
	v_cndmask_b32_e64 v21, v35, v34, s10
	v_mov_b32_e32 v1, 0
	s_mov_b32 s12, 0
	s_mov_b32 s11, exec_lo
	v_add_nc_u32_e32 v38, 1, v0
	v_add_nc_u32_e32 v36, -1, v21
	v_lshlrev_b64 v[21:22], 3, v[0:1]
	s_delay_alu instid0(VALU_DEP_2) | instskip(NEXT) | instid1(VALU_DEP_1)
	v_min_u32_e32 v0, v38, v36
	v_lshlrev_b64 v[36:37], 2, v[0:1]
	v_cndmask_b32_e64 v0, v38, v23, s10
	v_cndmask_b32_e64 v23, v24, v38, s10
	s_delay_alu instid0(VALU_DEP_3) | instskip(NEXT) | instid1(VALU_DEP_1)
	v_add_co_u32 v36, s3, v31, v36
	v_add_co_ci_u32_e64 v37, s3, v32, v37, s3
	v_add_co_u32 v21, s3, v29, v21
	s_delay_alu instid0(VALU_DEP_1)
	v_add_co_ci_u32_e64 v22, s3, v30, v22, s3
	s_clause 0x1
	flat_load_b32 v37, v[36:37]
	flat_load_b64 v[21:22], v[21:22]
	s_waitcnt vmcnt(1) lgkmcnt(1)
	v_cndmask_b32_e64 v36, v37, v2, s10
	v_cndmask_b32_e64 v37, v28, v37, s10
	v_cmpx_lt_u32_e64 v0, v35
	s_cbranch_execz .LBB1455_159
; %bb.156:
	s_mov_b32 s9, exec_lo
	v_cmpx_lt_u32_e64 v23, v34
; %bb.157:
	v_add_f32_e32 v24, 0, v37
	v_add_f32_e32 v34, 0, v36
	s_delay_alu instid0(VALU_DEP_2) | instskip(NEXT) | instid1(VALU_DEP_2)
	v_ashrrev_i32_e32 v35, 31, v24
	v_ashrrev_i32_e32 v38, 31, v34
	s_delay_alu instid0(VALU_DEP_2) | instskip(NEXT) | instid1(VALU_DEP_2)
	v_or_b32_e32 v35, 0x80000000, v35
	v_or_b32_e32 v38, 0x80000000, v38
	s_delay_alu instid0(VALU_DEP_2) | instskip(NEXT) | instid1(VALU_DEP_2)
	v_xor_b32_e32 v24, v35, v24
	v_xor_b32_e32 v34, v38, v34
	s_delay_alu instid0(VALU_DEP_1) | instskip(NEXT) | instid1(VALU_DEP_1)
	v_cmp_le_u32_e64 s3, v24, v34
	s_and_b32 s12, s3, exec_lo
; %bb.158:
	s_or_b32 exec_lo, exec_lo, s9
	s_delay_alu instid0(SALU_CYCLE_1)
	s_or_not1_b32 s9, s12, exec_lo
.LBB1455_159:
	s_or_b32 exec_lo, exec_lo, s11
	v_cndmask_b32_e64 v0, v0, v23, s9
	v_cndmask_b32_e64 v2, v2, v28, s10
	s_delay_alu instid0(VALU_DEP_2) | instskip(NEXT) | instid1(VALU_DEP_1)
	v_lshlrev_b64 v[0:1], 3, v[0:1]
	v_add_co_u32 v0, s3, v29, v0
	s_delay_alu instid0(VALU_DEP_1)
	v_add_co_ci_u32_e64 v1, s3, v30, v1, s3
	flat_load_b64 v[23:24], v[0:1]
	v_cndmask_b32_e64 v1, v25, v27, s4
	v_cndmask_b32_e64 v0, v26, v3, s8
	v_cndmask_b32_e64 v3, v36, v37, s9
.LBB1455_160:
	s_or_b32 exec_lo, exec_lo, s7
	v_and_b32_e32 v27, 0x70, v80
	v_and_b32_e32 v26, 12, v80
	s_mov_b32 s4, exec_lo
	; wave barrier
	s_delay_alu instid0(VALU_DEP_2) | instskip(NEXT) | instid1(VALU_DEP_2)
	v_or_b32_e32 v25, 8, v27
	v_min_u32_e32 v28, v33, v26
	s_clause 0x1
	flat_store_b128 v[6:7], v[17:20]
	flat_store_b128 v[15:16], v[0:3]
	s_waitcnt vmcnt(0) lgkmcnt(2)
	flat_store_b128 v[6:7], v[21:24] offset:16
	; wave barrier
	v_min_u32_e32 v34, v33, v25
	s_delay_alu instid0(VALU_DEP_1) | instskip(NEXT) | instid1(VALU_DEP_1)
	v_add_nc_u32_e32 v25, 8, v34
	v_min_u32_e32 v35, v33, v25
	v_sub_nc_u32_e32 v25, v34, v27
	s_delay_alu instid0(VALU_DEP_2) | instskip(NEXT) | instid1(VALU_DEP_2)
	v_sub_nc_u32_e32 v26, v35, v34
	v_min_u32_e32 v37, v28, v25
	s_delay_alu instid0(VALU_DEP_2) | instskip(NEXT) | instid1(VALU_DEP_1)
	v_sub_nc_u32_e64 v36, v28, v26 clamp
	v_cmpx_lt_u32_e64 v36, v37
	s_cbranch_execz .LBB1455_164
; %bb.161:
	v_lshlrev_b32_e32 v25, 2, v27
	v_lshlrev_b32_e32 v26, 2, v34
	s_mov_b32 s7, 0
	s_delay_alu instid0(VALU_DEP_2) | instskip(NEXT) | instid1(VALU_DEP_1)
	v_add_co_u32 v38, s3, v31, v25
	v_add_co_ci_u32_e64 v39, s3, 0, v32, s3
	s_delay_alu instid0(VALU_DEP_3)
	v_add_co_u32 v48, s3, v31, v26
	v_mov_b32_e32 v26, 0
	v_add_co_ci_u32_e64 v49, s3, 0, v32, s3
	s_set_inst_prefetch_distance 0x1
	.p2align	6
.LBB1455_162:                           ; =>This Inner Loop Header: Depth=1
	v_add_nc_u32_e32 v25, v37, v36
	s_delay_alu instid0(VALU_DEP_1) | instskip(SKIP_1) | instid1(VALU_DEP_2)
	v_lshrrev_b32_e32 v25, 1, v25
	v_mov_b32_e32 v51, v26
	v_xad_u32 v50, v25, -1, v28
	v_lshlrev_b64 v[52:53], 2, v[25:26]
	s_delay_alu instid0(VALU_DEP_2) | instskip(NEXT) | instid1(VALU_DEP_2)
	v_lshlrev_b64 v[50:51], 2, v[50:51]
	v_add_co_u32 v52, s3, v38, v52
	s_delay_alu instid0(VALU_DEP_1) | instskip(NEXT) | instid1(VALU_DEP_3)
	v_add_co_ci_u32_e64 v53, s3, v39, v53, s3
	v_add_co_u32 v50, s3, v48, v50
	s_delay_alu instid0(VALU_DEP_1)
	v_add_co_ci_u32_e64 v51, s3, v49, v51, s3
	s_clause 0x1
	flat_load_b32 v52, v[52:53]
	flat_load_b32 v50, v[50:51]
	s_waitcnt vmcnt(0) lgkmcnt(0)
	v_dual_add_f32 v51, 0, v52 :: v_dual_add_f32 v50, 0, v50
	s_delay_alu instid0(VALU_DEP_1) | instskip(NEXT) | instid1(VALU_DEP_2)
	v_ashrrev_i32_e32 v52, 31, v51
	v_ashrrev_i32_e32 v53, 31, v50
	s_delay_alu instid0(VALU_DEP_2) | instskip(NEXT) | instid1(VALU_DEP_2)
	v_or_b32_e32 v52, 0x80000000, v52
	v_or_b32_e32 v53, 0x80000000, v53
	s_delay_alu instid0(VALU_DEP_2) | instskip(SKIP_1) | instid1(VALU_DEP_3)
	v_xor_b32_e32 v51, v52, v51
	v_add_nc_u32_e32 v52, 1, v25
	v_xor_b32_e32 v50, v53, v50
	s_delay_alu instid0(VALU_DEP_1) | instskip(NEXT) | instid1(VALU_DEP_1)
	v_cmp_gt_u32_e64 s3, v51, v50
	v_cndmask_b32_e64 v37, v37, v25, s3
	s_delay_alu instid0(VALU_DEP_4) | instskip(NEXT) | instid1(VALU_DEP_1)
	v_cndmask_b32_e64 v36, v52, v36, s3
	v_cmp_ge_u32_e64 s3, v36, v37
	s_delay_alu instid0(VALU_DEP_1) | instskip(NEXT) | instid1(SALU_CYCLE_1)
	s_or_b32 s7, s3, s7
	s_and_not1_b32 exec_lo, exec_lo, s7
	s_cbranch_execnz .LBB1455_162
; %bb.163:
	s_set_inst_prefetch_distance 0x2
	s_or_b32 exec_lo, exec_lo, s7
.LBB1455_164:
	s_delay_alu instid0(SALU_CYCLE_1) | instskip(SKIP_2) | instid1(VALU_DEP_2)
	s_or_b32 exec_lo, exec_lo, s4
	v_add_nc_u32_e32 v26, v34, v28
	v_add_nc_u32_e32 v25, v36, v27
	v_sub_nc_u32_e32 v27, v26, v36
	s_delay_alu instid0(VALU_DEP_2) | instskip(NEXT) | instid1(VALU_DEP_2)
	v_cmp_le_u32_e64 s3, v25, v34
	v_cmp_le_u32_e64 s4, v27, v35
	s_delay_alu instid0(VALU_DEP_1) | instskip(NEXT) | instid1(SALU_CYCLE_1)
	s_or_b32 s3, s3, s4
	s_and_saveexec_b32 s7, s3
	s_cbranch_execz .LBB1455_184
; %bb.165:
	v_cmp_ge_u32_e64 s3, v25, v34
	s_mov_b32 s8, exec_lo
                                        ; implicit-def: $vgpr3
	v_cmpx_lt_u32_e64 v25, v34
	s_cbranch_execz .LBB1455_167
; %bb.166:
	v_mov_b32_e32 v26, 0
	s_delay_alu instid0(VALU_DEP_1) | instskip(NEXT) | instid1(VALU_DEP_1)
	v_lshlrev_b64 v[0:1], 2, v[25:26]
	v_add_co_u32 v0, s4, v31, v0
	s_delay_alu instid0(VALU_DEP_1)
	v_add_co_ci_u32_e64 v1, s4, v32, v1, s4
	flat_load_b32 v3, v[0:1]
.LBB1455_167:
	s_or_b32 exec_lo, exec_lo, s8
	v_cmp_ge_u32_e64 s8, v27, v35
	s_mov_b32 s9, exec_lo
                                        ; implicit-def: $vgpr26
	v_cmpx_lt_u32_e64 v27, v35
	s_cbranch_execz .LBB1455_169
; %bb.168:
	v_mov_b32_e32 v28, 0
	s_delay_alu instid0(VALU_DEP_1) | instskip(NEXT) | instid1(VALU_DEP_1)
	v_lshlrev_b64 v[0:1], 2, v[27:28]
	v_add_co_u32 v0, s4, v31, v0
	s_delay_alu instid0(VALU_DEP_1)
	v_add_co_ci_u32_e64 v1, s4, v32, v1, s4
	flat_load_b32 v26, v[0:1]
.LBB1455_169:
	s_or_b32 exec_lo, exec_lo, s9
	s_or_b32 s3, s3, s8
	s_mov_b32 s4, -1
	s_xor_b32 s3, s3, -1
	s_delay_alu instid0(SALU_CYCLE_1)
	s_and_saveexec_b32 s9, s3
	s_cbranch_execz .LBB1455_171
; %bb.170:
	s_waitcnt vmcnt(0) lgkmcnt(0)
	v_dual_add_f32 v0, 0, v3 :: v_dual_add_f32 v1, 0, v26
	s_and_not1_b32 s8, s8, exec_lo
	s_delay_alu instid0(VALU_DEP_1) | instskip(NEXT) | instid1(VALU_DEP_2)
	v_ashrrev_i32_e32 v2, 31, v0
	v_ashrrev_i32_e32 v17, 31, v1
	s_delay_alu instid0(VALU_DEP_2) | instskip(NEXT) | instid1(VALU_DEP_2)
	v_or_b32_e32 v2, 0x80000000, v2
	v_or_b32_e32 v17, 0x80000000, v17
	s_delay_alu instid0(VALU_DEP_2) | instskip(NEXT) | instid1(VALU_DEP_2)
	v_xor_b32_e32 v0, v2, v0
	v_xor_b32_e32 v1, v17, v1
	s_delay_alu instid0(VALU_DEP_1) | instskip(NEXT) | instid1(VALU_DEP_1)
	v_cmp_le_u32_e64 s3, v0, v1
	s_and_b32 s3, s3, exec_lo
	s_delay_alu instid0(SALU_CYCLE_1)
	s_or_b32 s8, s8, s3
.LBB1455_171:
	s_or_b32 exec_lo, exec_lo, s9
	v_cndmask_b32_e64 v0, v27, v25, s8
	v_cndmask_b32_e64 v2, v35, v34, s8
	v_mov_b32_e32 v1, 0
	s_mov_b32 s10, 0
	s_mov_b32 s9, exec_lo
	v_add_nc_u32_e32 v21, 1, v0
	v_add_nc_u32_e32 v2, -1, v2
	v_lshlrev_b64 v[17:18], 3, v[0:1]
	s_delay_alu instid0(VALU_DEP_2) | instskip(SKIP_2) | instid1(VALU_DEP_3)
	v_min_u32_e32 v0, v21, v2
	v_cndmask_b32_e64 v2, v21, v27, s8
	v_cndmask_b32_e64 v21, v25, v21, s8
	v_lshlrev_b64 v[19:20], 2, v[0:1]
	s_delay_alu instid0(VALU_DEP_1) | instskip(NEXT) | instid1(VALU_DEP_1)
	v_add_co_u32 v19, s3, v31, v19
	v_add_co_ci_u32_e64 v20, s3, v32, v20, s3
	v_add_co_u32 v17, s3, v29, v17
	s_delay_alu instid0(VALU_DEP_1)
	v_add_co_ci_u32_e64 v18, s3, v30, v18, s3
	s_clause 0x1
	flat_load_b32 v0, v[19:20]
	flat_load_b64 v[17:18], v[17:18]
	s_waitcnt vmcnt(1) lgkmcnt(1)
	v_cndmask_b32_e64 v25, v0, v26, s8
	v_cndmask_b32_e64 v27, v3, v0, s8
	v_cmpx_lt_u32_e64 v2, v35
	s_cbranch_execz .LBB1455_175
; %bb.172:
	s_mov_b32 s4, exec_lo
	v_cmpx_lt_u32_e64 v21, v34
; %bb.173:
	v_dual_add_f32 v0, 0, v27 :: v_dual_add_f32 v19, 0, v25
	s_delay_alu instid0(VALU_DEP_1) | instskip(NEXT) | instid1(VALU_DEP_2)
	v_ashrrev_i32_e32 v20, 31, v0
	v_ashrrev_i32_e32 v22, 31, v19
	s_delay_alu instid0(VALU_DEP_2) | instskip(NEXT) | instid1(VALU_DEP_2)
	v_or_b32_e32 v20, 0x80000000, v20
	v_or_b32_e32 v22, 0x80000000, v22
	s_delay_alu instid0(VALU_DEP_2) | instskip(NEXT) | instid1(VALU_DEP_2)
	v_xor_b32_e32 v0, v20, v0
	v_xor_b32_e32 v19, v22, v19
	s_delay_alu instid0(VALU_DEP_1) | instskip(NEXT) | instid1(VALU_DEP_1)
	v_cmp_le_u32_e64 s3, v0, v19
	s_and_b32 s10, s3, exec_lo
; %bb.174:
	s_or_b32 exec_lo, exec_lo, s4
	s_delay_alu instid0(SALU_CYCLE_1)
	s_or_not1_b32 s4, s10, exec_lo
.LBB1455_175:
	s_or_b32 exec_lo, exec_lo, s9
	v_cndmask_b32_e64 v0, v2, v21, s4
	v_cndmask_b32_e64 v19, v35, v34, s4
	s_mov_b32 s12, 0
	s_mov_b32 s9, -1
	s_mov_b32 s10, -1
	v_add_nc_u32_e32 v22, 1, v0
	v_add_nc_u32_e32 v23, -1, v19
	v_lshlrev_b64 v[19:20], 3, v[0:1]
	s_mov_b32 s11, exec_lo
	s_delay_alu instid0(VALU_DEP_3) | instskip(NEXT) | instid1(VALU_DEP_3)
	v_cndmask_b32_e64 v24, v21, v22, s4
	v_min_u32_e32 v0, v22, v23
	v_cndmask_b32_e64 v23, v22, v2, s4
	s_delay_alu instid0(VALU_DEP_2) | instskip(NEXT) | instid1(VALU_DEP_1)
	v_lshlrev_b64 v[0:1], 2, v[0:1]
	v_add_co_u32 v0, s3, v31, v0
	s_delay_alu instid0(VALU_DEP_1) | instskip(SKIP_2) | instid1(VALU_DEP_1)
	v_add_co_ci_u32_e64 v1, s3, v32, v1, s3
	flat_load_b32 v28, v[0:1]
	v_add_co_u32 v0, s3, v29, v19
	v_add_co_ci_u32_e64 v1, s3, v30, v20, s3
	flat_load_b64 v[19:20], v[0:1]
	s_waitcnt vmcnt(1) lgkmcnt(1)
	v_cndmask_b32_e64 v2, v28, v25, s4
	v_cndmask_b32_e64 v28, v27, v28, s4
	v_cmpx_lt_u32_e64 v23, v35
	s_cbranch_execz .LBB1455_179
; %bb.176:
	s_mov_b32 s10, exec_lo
	v_cmpx_lt_u32_e64 v24, v34
; %bb.177:
	v_dual_add_f32 v0, 0, v28 :: v_dual_add_f32 v1, 0, v2
	s_delay_alu instid0(VALU_DEP_1) | instskip(NEXT) | instid1(VALU_DEP_2)
	v_ashrrev_i32_e32 v21, 31, v0
	v_ashrrev_i32_e32 v22, 31, v1
	s_delay_alu instid0(VALU_DEP_2) | instskip(NEXT) | instid1(VALU_DEP_2)
	v_or_b32_e32 v21, 0x80000000, v21
	v_or_b32_e32 v22, 0x80000000, v22
	s_delay_alu instid0(VALU_DEP_2) | instskip(NEXT) | instid1(VALU_DEP_2)
	v_xor_b32_e32 v0, v21, v0
	v_xor_b32_e32 v1, v22, v1
	s_delay_alu instid0(VALU_DEP_1) | instskip(NEXT) | instid1(VALU_DEP_1)
	v_cmp_le_u32_e64 s3, v0, v1
	s_and_b32 s12, s3, exec_lo
; %bb.178:
	s_or_b32 exec_lo, exec_lo, s10
	s_delay_alu instid0(SALU_CYCLE_1)
	s_or_not1_b32 s10, s12, exec_lo
.LBB1455_179:
	s_or_b32 exec_lo, exec_lo, s11
	v_cndmask_b32_e64 v0, v23, v24, s10
	v_cndmask_b32_e64 v21, v35, v34, s10
	v_mov_b32_e32 v1, 0
	s_mov_b32 s12, 0
	s_mov_b32 s11, exec_lo
	v_add_nc_u32_e32 v38, 1, v0
	v_add_nc_u32_e32 v36, -1, v21
	v_lshlrev_b64 v[21:22], 3, v[0:1]
	s_delay_alu instid0(VALU_DEP_2) | instskip(NEXT) | instid1(VALU_DEP_1)
	v_min_u32_e32 v0, v38, v36
	v_lshlrev_b64 v[36:37], 2, v[0:1]
	v_cndmask_b32_e64 v0, v38, v23, s10
	v_cndmask_b32_e64 v23, v24, v38, s10
	s_delay_alu instid0(VALU_DEP_3) | instskip(NEXT) | instid1(VALU_DEP_1)
	v_add_co_u32 v36, s3, v31, v36
	v_add_co_ci_u32_e64 v37, s3, v32, v37, s3
	v_add_co_u32 v21, s3, v29, v21
	s_delay_alu instid0(VALU_DEP_1)
	v_add_co_ci_u32_e64 v22, s3, v30, v22, s3
	s_clause 0x1
	flat_load_b32 v37, v[36:37]
	flat_load_b64 v[21:22], v[21:22]
	s_waitcnt vmcnt(1) lgkmcnt(1)
	v_cndmask_b32_e64 v36, v37, v2, s10
	v_cndmask_b32_e64 v37, v28, v37, s10
	v_cmpx_lt_u32_e64 v0, v35
	s_cbranch_execz .LBB1455_183
; %bb.180:
	s_mov_b32 s9, exec_lo
	v_cmpx_lt_u32_e64 v23, v34
; %bb.181:
	v_add_f32_e32 v24, 0, v37
	v_add_f32_e32 v34, 0, v36
	s_delay_alu instid0(VALU_DEP_2) | instskip(NEXT) | instid1(VALU_DEP_2)
	v_ashrrev_i32_e32 v35, 31, v24
	v_ashrrev_i32_e32 v38, 31, v34
	s_delay_alu instid0(VALU_DEP_2) | instskip(NEXT) | instid1(VALU_DEP_2)
	v_or_b32_e32 v35, 0x80000000, v35
	v_or_b32_e32 v38, 0x80000000, v38
	s_delay_alu instid0(VALU_DEP_2) | instskip(NEXT) | instid1(VALU_DEP_2)
	v_xor_b32_e32 v24, v35, v24
	v_xor_b32_e32 v34, v38, v34
	s_delay_alu instid0(VALU_DEP_1) | instskip(NEXT) | instid1(VALU_DEP_1)
	v_cmp_le_u32_e64 s3, v24, v34
	s_and_b32 s12, s3, exec_lo
; %bb.182:
	s_or_b32 exec_lo, exec_lo, s9
	s_delay_alu instid0(SALU_CYCLE_1)
	s_or_not1_b32 s9, s12, exec_lo
.LBB1455_183:
	s_or_b32 exec_lo, exec_lo, s11
	v_cndmask_b32_e64 v0, v0, v23, s9
	v_cndmask_b32_e64 v2, v2, v28, s10
	s_delay_alu instid0(VALU_DEP_2) | instskip(NEXT) | instid1(VALU_DEP_1)
	v_lshlrev_b64 v[0:1], 3, v[0:1]
	v_add_co_u32 v0, s3, v29, v0
	s_delay_alu instid0(VALU_DEP_1)
	v_add_co_ci_u32_e64 v1, s3, v30, v1, s3
	flat_load_b64 v[23:24], v[0:1]
	v_cndmask_b32_e64 v1, v25, v27, s4
	v_cndmask_b32_e64 v0, v26, v3, s8
	;; [unrolled: 1-line block ×3, first 2 shown]
.LBB1455_184:
	s_or_b32 exec_lo, exec_lo, s7
	v_and_b32_e32 v27, 0x60, v80
	v_min_u32_e32 v28, v33, v70
	s_mov_b32 s4, exec_lo
	; wave barrier
	s_delay_alu instid0(VALU_DEP_2)
	v_or_b32_e32 v25, 16, v27
	s_clause 0x1
	flat_store_b128 v[6:7], v[17:20]
	flat_store_b128 v[15:16], v[0:3]
	s_waitcnt vmcnt(0) lgkmcnt(2)
	flat_store_b128 v[6:7], v[21:24] offset:16
	; wave barrier
	v_min_u32_e32 v25, v33, v25
	s_delay_alu instid0(VALU_DEP_1) | instskip(NEXT) | instid1(VALU_DEP_1)
	v_add_nc_u32_e32 v26, 16, v25
	v_min_u32_e32 v26, v33, v26
	v_sub_nc_u32_e32 v33, v25, v27
	s_delay_alu instid0(VALU_DEP_2) | instskip(NEXT) | instid1(VALU_DEP_2)
	v_sub_nc_u32_e32 v35, v26, v25
	v_min_u32_e32 v34, v28, v33
	s_delay_alu instid0(VALU_DEP_2) | instskip(NEXT) | instid1(VALU_DEP_1)
	v_sub_nc_u32_e64 v33, v28, v35 clamp
	v_cmpx_lt_u32_e64 v33, v34
	s_cbranch_execz .LBB1455_188
; %bb.185:
	v_lshlrev_b32_e32 v6, 2, v27
	v_lshlrev_b32_e32 v7, 2, v25
	s_mov_b32 s7, 0
	s_delay_alu instid0(VALU_DEP_2) | instskip(NEXT) | instid1(VALU_DEP_1)
	v_add_co_u32 v15, s3, v31, v6
	v_add_co_ci_u32_e64 v16, s3, 0, v32, s3
	s_delay_alu instid0(VALU_DEP_3)
	v_add_co_u32 v35, s3, v31, v7
	v_mov_b32_e32 v7, 0
	v_add_co_ci_u32_e64 v36, s3, 0, v32, s3
	s_set_inst_prefetch_distance 0x1
	.p2align	6
.LBB1455_186:                           ; =>This Inner Loop Header: Depth=1
	v_add_nc_u32_e32 v6, v34, v33
	s_delay_alu instid0(VALU_DEP_3) | instskip(NEXT) | instid1(VALU_DEP_2)
	v_mov_b32_e32 v38, v7
	v_lshrrev_b32_e32 v6, 1, v6
	s_delay_alu instid0(VALU_DEP_1) | instskip(SKIP_1) | instid1(VALU_DEP_2)
	v_xad_u32 v37, v6, -1, v28
	v_lshlrev_b64 v[48:49], 2, v[6:7]
	v_lshlrev_b64 v[37:38], 2, v[37:38]
	s_delay_alu instid0(VALU_DEP_2) | instskip(NEXT) | instid1(VALU_DEP_1)
	v_add_co_u32 v48, s3, v15, v48
	v_add_co_ci_u32_e64 v49, s3, v16, v49, s3
	s_delay_alu instid0(VALU_DEP_3) | instskip(NEXT) | instid1(VALU_DEP_1)
	v_add_co_u32 v37, s3, v35, v37
	v_add_co_ci_u32_e64 v38, s3, v36, v38, s3
	s_clause 0x1
	flat_load_b32 v39, v[48:49]
	flat_load_b32 v37, v[37:38]
	s_waitcnt vmcnt(0) lgkmcnt(0)
	v_dual_add_f32 v38, 0, v39 :: v_dual_add_f32 v37, 0, v37
	s_delay_alu instid0(VALU_DEP_1) | instskip(NEXT) | instid1(VALU_DEP_2)
	v_ashrrev_i32_e32 v39, 31, v38
	v_ashrrev_i32_e32 v48, 31, v37
	s_delay_alu instid0(VALU_DEP_2) | instskip(NEXT) | instid1(VALU_DEP_2)
	v_or_b32_e32 v39, 0x80000000, v39
	v_or_b32_e32 v48, 0x80000000, v48
	s_delay_alu instid0(VALU_DEP_2) | instskip(SKIP_1) | instid1(VALU_DEP_3)
	v_xor_b32_e32 v38, v39, v38
	v_add_nc_u32_e32 v39, 1, v6
	v_xor_b32_e32 v37, v48, v37
	s_delay_alu instid0(VALU_DEP_1) | instskip(NEXT) | instid1(VALU_DEP_1)
	v_cmp_gt_u32_e64 s3, v38, v37
	v_cndmask_b32_e64 v34, v34, v6, s3
	s_delay_alu instid0(VALU_DEP_4) | instskip(NEXT) | instid1(VALU_DEP_1)
	v_cndmask_b32_e64 v33, v39, v33, s3
	v_cmp_ge_u32_e64 s3, v33, v34
	s_delay_alu instid0(VALU_DEP_1) | instskip(NEXT) | instid1(SALU_CYCLE_1)
	s_or_b32 s7, s3, s7
	s_and_not1_b32 exec_lo, exec_lo, s7
	s_cbranch_execnz .LBB1455_186
; %bb.187:
	s_set_inst_prefetch_distance 0x2
	s_or_b32 exec_lo, exec_lo, s7
.LBB1455_188:
	s_delay_alu instid0(SALU_CYCLE_1) | instskip(SKIP_2) | instid1(VALU_DEP_2)
	s_or_b32 exec_lo, exec_lo, s4
	v_add_nc_u32_e32 v7, v25, v28
	v_add_nc_u32_e32 v6, v33, v27
	v_sub_nc_u32_e32 v15, v7, v33
	s_delay_alu instid0(VALU_DEP_2) | instskip(NEXT) | instid1(VALU_DEP_2)
	v_cmp_le_u32_e64 s3, v6, v25
	v_cmp_le_u32_e64 s4, v15, v26
	s_delay_alu instid0(VALU_DEP_1) | instskip(NEXT) | instid1(SALU_CYCLE_1)
	s_or_b32 s3, s3, s4
	s_and_saveexec_b32 s7, s3
	s_cbranch_execz .LBB1455_208
; %bb.189:
	v_cmp_ge_u32_e64 s3, v6, v25
	s_mov_b32 s8, exec_lo
                                        ; implicit-def: $vgpr3
	v_cmpx_lt_u32_e64 v6, v25
	s_cbranch_execz .LBB1455_191
; %bb.190:
	v_mov_b32_e32 v7, 0
	s_delay_alu instid0(VALU_DEP_1) | instskip(NEXT) | instid1(VALU_DEP_1)
	v_lshlrev_b64 v[0:1], 2, v[6:7]
	v_add_co_u32 v0, s4, v31, v0
	s_delay_alu instid0(VALU_DEP_1)
	v_add_co_ci_u32_e64 v1, s4, v32, v1, s4
	flat_load_b32 v3, v[0:1]
.LBB1455_191:
	s_or_b32 exec_lo, exec_lo, s8
	v_cmp_ge_u32_e64 s8, v15, v26
	s_mov_b32 s9, exec_lo
                                        ; implicit-def: $vgpr7
	v_cmpx_lt_u32_e64 v15, v26
	s_cbranch_execz .LBB1455_193
; %bb.192:
	v_mov_b32_e32 v16, 0
	s_delay_alu instid0(VALU_DEP_1) | instskip(NEXT) | instid1(VALU_DEP_1)
	v_lshlrev_b64 v[0:1], 2, v[15:16]
	v_add_co_u32 v0, s4, v31, v0
	s_delay_alu instid0(VALU_DEP_1)
	v_add_co_ci_u32_e64 v1, s4, v32, v1, s4
	flat_load_b32 v7, v[0:1]
.LBB1455_193:
	s_or_b32 exec_lo, exec_lo, s9
	s_or_b32 s3, s3, s8
	s_mov_b32 s4, -1
	s_xor_b32 s3, s3, -1
	s_delay_alu instid0(SALU_CYCLE_1)
	s_and_saveexec_b32 s9, s3
	s_cbranch_execz .LBB1455_195
; %bb.194:
	s_waitcnt vmcnt(0) lgkmcnt(0)
	v_add_f32_e32 v0, 0, v3
	v_add_f32_e32 v1, 0, v7
	s_and_not1_b32 s8, s8, exec_lo
	s_delay_alu instid0(VALU_DEP_2) | instskip(NEXT) | instid1(VALU_DEP_2)
	v_ashrrev_i32_e32 v2, 31, v0
	v_ashrrev_i32_e32 v16, 31, v1
	s_delay_alu instid0(VALU_DEP_2) | instskip(NEXT) | instid1(VALU_DEP_2)
	v_or_b32_e32 v2, 0x80000000, v2
	v_or_b32_e32 v16, 0x80000000, v16
	s_delay_alu instid0(VALU_DEP_2) | instskip(NEXT) | instid1(VALU_DEP_2)
	v_xor_b32_e32 v0, v2, v0
	v_xor_b32_e32 v1, v16, v1
	s_delay_alu instid0(VALU_DEP_1) | instskip(NEXT) | instid1(VALU_DEP_1)
	v_cmp_le_u32_e64 s3, v0, v1
	s_and_b32 s3, s3, exec_lo
	s_delay_alu instid0(SALU_CYCLE_1)
	s_or_b32 s8, s8, s3
.LBB1455_195:
	s_or_b32 exec_lo, exec_lo, s9
	v_cndmask_b32_e64 v0, v15, v6, s8
	v_cndmask_b32_e64 v2, v26, v25, s8
	v_mov_b32_e32 v1, 0
	s_mov_b32 s10, 0
	s_mov_b32 s9, exec_lo
	v_add_nc_u32_e32 v20, 1, v0
	v_add_nc_u32_e32 v2, -1, v2
	v_lshlrev_b64 v[16:17], 3, v[0:1]
	s_delay_alu instid0(VALU_DEP_2) | instskip(SKIP_1) | instid1(VALU_DEP_2)
	v_min_u32_e32 v0, v20, v2
	v_cndmask_b32_e64 v2, v20, v15, s8
	v_lshlrev_b64 v[18:19], 2, v[0:1]
	s_delay_alu instid0(VALU_DEP_1) | instskip(NEXT) | instid1(VALU_DEP_1)
	v_add_co_u32 v18, s3, v31, v18
	v_add_co_ci_u32_e64 v19, s3, v32, v19, s3
	v_add_co_u32 v16, s3, v29, v16
	s_delay_alu instid0(VALU_DEP_1)
	v_add_co_ci_u32_e64 v17, s3, v30, v17, s3
	s_clause 0x1
	flat_load_b32 v0, v[18:19]
	flat_load_b64 v[17:18], v[16:17]
	v_cndmask_b32_e64 v16, v6, v20, s8
	s_waitcnt vmcnt(1) lgkmcnt(1)
	v_cndmask_b32_e64 v6, v0, v7, s8
	v_cndmask_b32_e64 v15, v3, v0, s8
	v_cmpx_lt_u32_e64 v2, v26
	s_cbranch_execz .LBB1455_199
; %bb.196:
	s_mov_b32 s4, exec_lo
	v_cmpx_lt_u32_e64 v16, v25
; %bb.197:
	v_dual_add_f32 v0, 0, v15 :: v_dual_add_f32 v19, 0, v6
	s_delay_alu instid0(VALU_DEP_1) | instskip(NEXT) | instid1(VALU_DEP_2)
	v_ashrrev_i32_e32 v20, 31, v0
	v_ashrrev_i32_e32 v21, 31, v19
	s_delay_alu instid0(VALU_DEP_2) | instskip(NEXT) | instid1(VALU_DEP_2)
	v_or_b32_e32 v20, 0x80000000, v20
	v_or_b32_e32 v21, 0x80000000, v21
	s_delay_alu instid0(VALU_DEP_2) | instskip(NEXT) | instid1(VALU_DEP_2)
	v_xor_b32_e32 v0, v20, v0
	v_xor_b32_e32 v19, v21, v19
	s_delay_alu instid0(VALU_DEP_1) | instskip(NEXT) | instid1(VALU_DEP_1)
	v_cmp_le_u32_e64 s3, v0, v19
	s_and_b32 s10, s3, exec_lo
; %bb.198:
	s_or_b32 exec_lo, exec_lo, s4
	s_delay_alu instid0(SALU_CYCLE_1)
	s_or_not1_b32 s4, s10, exec_lo
.LBB1455_199:
	s_or_b32 exec_lo, exec_lo, s9
	v_cndmask_b32_e64 v0, v2, v16, s4
	v_cndmask_b32_e64 v19, v26, v25, s4
	s_mov_b32 s12, 0
	s_mov_b32 s9, -1
	s_mov_b32 s10, -1
	v_add_nc_u32_e32 v21, 1, v0
	v_add_nc_u32_e32 v22, -1, v19
	v_lshlrev_b64 v[19:20], 3, v[0:1]
	s_mov_b32 s11, exec_lo
	s_delay_alu instid0(VALU_DEP_3) | instskip(NEXT) | instid1(VALU_DEP_3)
	v_cndmask_b32_e64 v23, v21, v2, s4
	v_min_u32_e32 v0, v21, v22
	v_cndmask_b32_e64 v24, v16, v21, s4
	s_delay_alu instid0(VALU_DEP_2) | instskip(NEXT) | instid1(VALU_DEP_1)
	v_lshlrev_b64 v[0:1], 2, v[0:1]
	v_add_co_u32 v0, s3, v31, v0
	s_delay_alu instid0(VALU_DEP_1) | instskip(SKIP_2) | instid1(VALU_DEP_1)
	v_add_co_ci_u32_e64 v1, s3, v32, v1, s3
	flat_load_b32 v22, v[0:1]
	v_add_co_u32 v0, s3, v29, v19
	v_add_co_ci_u32_e64 v1, s3, v30, v20, s3
	flat_load_b64 v[19:20], v[0:1]
	s_waitcnt vmcnt(1) lgkmcnt(1)
	v_cndmask_b32_e64 v2, v22, v6, s4
	v_cndmask_b32_e64 v16, v15, v22, s4
	v_cmpx_lt_u32_e64 v23, v26
	s_cbranch_execz .LBB1455_203
; %bb.200:
	s_mov_b32 s10, exec_lo
	v_cmpx_lt_u32_e64 v24, v25
; %bb.201:
	v_dual_add_f32 v0, 0, v16 :: v_dual_add_f32 v1, 0, v2
	s_delay_alu instid0(VALU_DEP_1) | instskip(NEXT) | instid1(VALU_DEP_2)
	v_ashrrev_i32_e32 v21, 31, v0
	v_ashrrev_i32_e32 v22, 31, v1
	s_delay_alu instid0(VALU_DEP_2) | instskip(NEXT) | instid1(VALU_DEP_2)
	v_or_b32_e32 v21, 0x80000000, v21
	v_or_b32_e32 v22, 0x80000000, v22
	s_delay_alu instid0(VALU_DEP_2) | instskip(NEXT) | instid1(VALU_DEP_2)
	v_xor_b32_e32 v0, v21, v0
	v_xor_b32_e32 v1, v22, v1
	s_delay_alu instid0(VALU_DEP_1) | instskip(NEXT) | instid1(VALU_DEP_1)
	v_cmp_le_u32_e64 s3, v0, v1
	s_and_b32 s12, s3, exec_lo
; %bb.202:
	s_or_b32 exec_lo, exec_lo, s10
	s_delay_alu instid0(SALU_CYCLE_1)
	s_or_not1_b32 s10, s12, exec_lo
.LBB1455_203:
	s_or_b32 exec_lo, exec_lo, s11
	v_cndmask_b32_e64 v0, v23, v24, s10
	v_cndmask_b32_e64 v21, v26, v25, s10
	v_mov_b32_e32 v1, 0
	s_mov_b32 s12, 0
	s_mov_b32 s11, exec_lo
	v_add_nc_u32_e32 v33, 1, v0
	v_add_nc_u32_e32 v27, -1, v21
	v_lshlrev_b64 v[21:22], 3, v[0:1]
	s_delay_alu instid0(VALU_DEP_2) | instskip(NEXT) | instid1(VALU_DEP_1)
	v_min_u32_e32 v0, v33, v27
	v_lshlrev_b64 v[27:28], 2, v[0:1]
	v_cndmask_b32_e64 v0, v33, v23, s10
	v_cndmask_b32_e64 v23, v24, v33, s10
	s_delay_alu instid0(VALU_DEP_3) | instskip(NEXT) | instid1(VALU_DEP_1)
	v_add_co_u32 v27, s3, v31, v27
	v_add_co_ci_u32_e64 v28, s3, v32, v28, s3
	v_add_co_u32 v21, s3, v29, v21
	s_delay_alu instid0(VALU_DEP_1)
	v_add_co_ci_u32_e64 v22, s3, v30, v22, s3
	s_clause 0x1
	flat_load_b32 v28, v[27:28]
	flat_load_b64 v[21:22], v[21:22]
	s_waitcnt vmcnt(1) lgkmcnt(1)
	v_cndmask_b32_e64 v27, v28, v2, s10
	v_cndmask_b32_e64 v28, v16, v28, s10
	v_cmpx_lt_u32_e64 v0, v26
	s_cbranch_execz .LBB1455_207
; %bb.204:
	s_mov_b32 s9, exec_lo
	v_cmpx_lt_u32_e64 v23, v25
; %bb.205:
	v_dual_add_f32 v24, 0, v28 :: v_dual_add_f32 v25, 0, v27
	s_delay_alu instid0(VALU_DEP_1) | instskip(NEXT) | instid1(VALU_DEP_2)
	v_ashrrev_i32_e32 v26, 31, v24
	v_ashrrev_i32_e32 v31, 31, v25
	s_delay_alu instid0(VALU_DEP_2) | instskip(NEXT) | instid1(VALU_DEP_2)
	v_or_b32_e32 v26, 0x80000000, v26
	v_or_b32_e32 v31, 0x80000000, v31
	s_delay_alu instid0(VALU_DEP_2) | instskip(NEXT) | instid1(VALU_DEP_2)
	v_xor_b32_e32 v24, v26, v24
	v_xor_b32_e32 v25, v31, v25
	s_delay_alu instid0(VALU_DEP_1) | instskip(NEXT) | instid1(VALU_DEP_1)
	v_cmp_le_u32_e64 s3, v24, v25
	s_and_b32 s12, s3, exec_lo
; %bb.206:
	s_or_b32 exec_lo, exec_lo, s9
	s_delay_alu instid0(SALU_CYCLE_1)
	s_or_not1_b32 s9, s12, exec_lo
.LBB1455_207:
	s_or_b32 exec_lo, exec_lo, s11
	v_cndmask_b32_e64 v0, v0, v23, s9
	v_cndmask_b32_e64 v2, v2, v16, s10
	s_delay_alu instid0(VALU_DEP_2) | instskip(NEXT) | instid1(VALU_DEP_1)
	v_lshlrev_b64 v[0:1], 3, v[0:1]
	v_add_co_u32 v0, s3, v29, v0
	s_delay_alu instid0(VALU_DEP_1)
	v_add_co_ci_u32_e64 v1, s3, v30, v1, s3
	flat_load_b64 v[23:24], v[0:1]
	v_cndmask_b32_e64 v1, v6, v15, s4
	v_cndmask_b32_e64 v0, v7, v3, s8
	;; [unrolled: 1-line block ×3, first 2 shown]
.LBB1455_208:
	s_or_b32 exec_lo, exec_lo, s7
	v_add_co_u32 v4, s3, v4, v68
	s_delay_alu instid0(VALU_DEP_1) | instskip(NEXT) | instid1(VALU_DEP_2)
	v_add_co_ci_u32_e64 v5, s3, v5, v69, s3
	v_add_co_u32 v4, s3, v4, v71
	s_delay_alu instid0(VALU_DEP_1)
	v_add_co_ci_u32_e64 v5, s3, 0, v5, s3
	; wave barrier
	s_waitcnt vmcnt(0) lgkmcnt(0)
	s_waitcnt_vscnt null, 0x0
	s_barrier
	buffer_gl0_inv
	; wave barrier
	s_and_saveexec_b32 s3, vcc_lo
	s_cbranch_execnz .LBB1455_230
; %bb.209:
	s_or_b32 exec_lo, exec_lo, s3
	s_and_saveexec_b32 s3, s1
	s_cbranch_execnz .LBB1455_231
.LBB1455_210:
	s_or_b32 exec_lo, exec_lo, s3
	s_and_saveexec_b32 s3, s2
	s_cbranch_execnz .LBB1455_232
.LBB1455_211:
	s_or_b32 exec_lo, exec_lo, s3
	s_and_saveexec_b32 s3, s0
	s_cbranch_execz .LBB1455_213
.LBB1455_212:
	flat_store_b32 v[4:5], v3 offset:12
.LBB1455_213:
	s_or_b32 exec_lo, exec_lo, s3
	v_add_co_u32 v0, s3, v10, v8
	s_delay_alu instid0(VALU_DEP_1) | instskip(NEXT) | instid1(VALU_DEP_2)
	v_add_co_ci_u32_e64 v1, s3, v11, v9, s3
	v_add_co_u32 v0, s3, v0, v12
	s_delay_alu instid0(VALU_DEP_1)
	v_add_co_ci_u32_e64 v1, s3, 0, v1, s3
	; wave barrier
	s_and_saveexec_b32 s3, vcc_lo
	s_cbranch_execnz .LBB1455_233
; %bb.214:
	s_or_b32 exec_lo, exec_lo, s3
	s_and_saveexec_b32 s3, s1
	s_cbranch_execnz .LBB1455_234
.LBB1455_215:
	s_or_b32 exec_lo, exec_lo, s3
	s_and_saveexec_b32 s1, s2
	s_cbranch_execz .LBB1455_217
.LBB1455_216:
	flat_store_b64 v[0:1], v[21:22] offset:16
.LBB1455_217:
	s_or_b32 exec_lo, exec_lo, s1
	v_dual_mov_b32 v8, v10 :: v_dual_mov_b32 v9, v11
	s_and_not1_b32 s1, s5, exec_lo
	s_and_b32 s0, s0, exec_lo
	s_delay_alu instid0(SALU_CYCLE_1)
	s_or_b32 s5, s1, s0
	s_or_b32 exec_lo, exec_lo, s6
	s_and_saveexec_b32 s0, s5
	s_cbranch_execz .LBB1455_3
.LBB1455_218:
	v_lshlrev_b64 v[0:1], 3, v[13:14]
	v_lshlrev_b32_e32 v2, 3, v70
	s_delay_alu instid0(VALU_DEP_2) | instskip(NEXT) | instid1(VALU_DEP_3)
	v_add_co_u32 v0, vcc_lo, v8, v0
	v_add_co_ci_u32_e32 v1, vcc_lo, v9, v1, vcc_lo
	s_delay_alu instid0(VALU_DEP_2) | instskip(NEXT) | instid1(VALU_DEP_2)
	v_add_co_u32 v0, vcc_lo, v0, v2
	v_add_co_ci_u32_e32 v1, vcc_lo, 0, v1, vcc_lo
	flat_store_b64 v[0:1], v[23:24] offset:24
	s_or_b32 exec_lo, exec_lo, s0
	s_waitcnt lgkmcnt(0)
	s_setpc_b64 s[30:31]
.LBB1455_219:
	flat_load_b64 v[17:18], v[4:5]
	s_or_b32 exec_lo, exec_lo, s3
	s_and_saveexec_b32 s3, s0
	s_cbranch_execz .LBB1455_14
.LBB1455_220:
	flat_load_b64 v[19:20], v[4:5] offset:8
	s_or_b32 exec_lo, exec_lo, s3
	s_and_saveexec_b32 s3, s1
	s_cbranch_execz .LBB1455_15
.LBB1455_221:
	flat_load_b64 v[21:22], v[4:5] offset:16
	s_or_b32 exec_lo, exec_lo, s3
	s_and_saveexec_b32 s3, s2
	s_cbranch_execnz .LBB1455_16
	s_branch .LBB1455_17
.LBB1455_222:
	flat_store_b32 v[2:3], v64
	s_or_b32 exec_lo, exec_lo, s3
	s_and_saveexec_b32 s3, s0
	s_cbranch_execz .LBB1455_103
.LBB1455_223:
	flat_store_b32 v[2:3], v65 offset:4
	s_or_b32 exec_lo, exec_lo, s3
	s_and_saveexec_b32 s3, s1
	s_cbranch_execz .LBB1455_104
.LBB1455_224:
	flat_store_b32 v[2:3], v66 offset:8
	s_or_b32 exec_lo, exec_lo, s3
	s_and_saveexec_b32 s3, s2
	s_cbranch_execnz .LBB1455_105
	s_branch .LBB1455_106
.LBB1455_225:
	flat_store_b64 v[0:1], v[17:18]
	s_or_b32 exec_lo, exec_lo, s3
	s_and_saveexec_b32 s3, s0
	s_cbranch_execz .LBB1455_108
.LBB1455_226:
	flat_store_b64 v[0:1], v[19:20] offset:8
	s_or_b32 exec_lo, exec_lo, s3
	s_and_saveexec_b32 s0, s1
	s_cbranch_execnz .LBB1455_109
	s_branch .LBB1455_110
.LBB1455_227:
	flat_load_b64 v[17:18], v[6:7]
	s_or_b32 exec_lo, exec_lo, s3
	s_and_saveexec_b32 s3, s1
	s_cbranch_execz .LBB1455_121
.LBB1455_228:
	flat_load_b64 v[19:20], v[6:7] offset:8
	s_or_b32 exec_lo, exec_lo, s3
	s_and_saveexec_b32 s3, s2
	s_cbranch_execz .LBB1455_122
.LBB1455_229:
	flat_load_b64 v[21:22], v[6:7] offset:16
	s_or_b32 exec_lo, exec_lo, s3
	s_and_saveexec_b32 s3, s0
	s_cbranch_execnz .LBB1455_123
	s_branch .LBB1455_124
.LBB1455_230:
	flat_store_b32 v[4:5], v0
	s_or_b32 exec_lo, exec_lo, s3
	s_and_saveexec_b32 s3, s1
	s_cbranch_execz .LBB1455_210
.LBB1455_231:
	flat_store_b32 v[4:5], v1 offset:4
	s_or_b32 exec_lo, exec_lo, s3
	s_and_saveexec_b32 s3, s2
	s_cbranch_execz .LBB1455_211
.LBB1455_232:
	flat_store_b32 v[4:5], v2 offset:8
	s_or_b32 exec_lo, exec_lo, s3
	s_and_saveexec_b32 s3, s0
	s_cbranch_execnz .LBB1455_212
	s_branch .LBB1455_213
.LBB1455_233:
	flat_store_b64 v[0:1], v[17:18]
	s_or_b32 exec_lo, exec_lo, s3
	s_and_saveexec_b32 s3, s1
	s_cbranch_execz .LBB1455_215
.LBB1455_234:
	flat_store_b64 v[0:1], v[19:20] offset:8
	s_or_b32 exec_lo, exec_lo, s3
	s_and_saveexec_b32 s1, s2
	s_cbranch_execnz .LBB1455_216
	s_branch .LBB1455_217
.Lfunc_end1455:
	.size	_ZN7rocprim17ROCPRIM_400000_NS6detail26segmented_warp_sort_helperINS1_20WarpSortHelperConfigILj8ELj4ELj256EEEflLi256ELb0EvE4sortIPKfPfPKlPlEEvT_S9_T0_T1_SC_T2_bjjjjRNS5_12storage_typeE, .Lfunc_end1455-_ZN7rocprim17ROCPRIM_400000_NS6detail26segmented_warp_sort_helperINS1_20WarpSortHelperConfigILj8ELj4ELj256EEEflLi256ELb0EvE4sortIPKfPfPKlPlEEvT_S9_T0_T1_SC_T2_bjjjjRNS5_12storage_typeE
                                        ; -- End function
	.section	.AMDGPU.csdata,"",@progbits
; Function info:
; codeLenInByte = 13100
; NumSgprs: 34
; NumVgprs: 83
; ScratchSize: 0
; MemoryBound: 1
	.section	.text._ZN7rocprim17ROCPRIM_400000_NS6detail17trampoline_kernelINS0_14default_configENS1_36segmented_radix_sort_config_selectorIflEEZNS1_25segmented_radix_sort_implIS3_Lb0EPKfPfPKlPlN2at6native12_GLOBAL__N_18offset_tEEE10hipError_tPvRmT1_PNSt15iterator_traitsISK_E10value_typeET2_T3_PNSL_ISQ_E10value_typeET4_jRbjT5_SW_jjP12ihipStream_tbEUlT_E1_NS1_11comp_targetILNS1_3genE9ELNS1_11target_archE1100ELNS1_3gpuE3ELNS1_3repE0EEENS1_59segmented_radix_sort_warp_sort_small_config_static_selectorELNS0_4arch9wavefront6targetE0EEEvSK_,"axG",@progbits,_ZN7rocprim17ROCPRIM_400000_NS6detail17trampoline_kernelINS0_14default_configENS1_36segmented_radix_sort_config_selectorIflEEZNS1_25segmented_radix_sort_implIS3_Lb0EPKfPfPKlPlN2at6native12_GLOBAL__N_18offset_tEEE10hipError_tPvRmT1_PNSt15iterator_traitsISK_E10value_typeET2_T3_PNSL_ISQ_E10value_typeET4_jRbjT5_SW_jjP12ihipStream_tbEUlT_E1_NS1_11comp_targetILNS1_3genE9ELNS1_11target_archE1100ELNS1_3gpuE3ELNS1_3repE0EEENS1_59segmented_radix_sort_warp_sort_small_config_static_selectorELNS0_4arch9wavefront6targetE0EEEvSK_,comdat
	.globl	_ZN7rocprim17ROCPRIM_400000_NS6detail17trampoline_kernelINS0_14default_configENS1_36segmented_radix_sort_config_selectorIflEEZNS1_25segmented_radix_sort_implIS3_Lb0EPKfPfPKlPlN2at6native12_GLOBAL__N_18offset_tEEE10hipError_tPvRmT1_PNSt15iterator_traitsISK_E10value_typeET2_T3_PNSL_ISQ_E10value_typeET4_jRbjT5_SW_jjP12ihipStream_tbEUlT_E1_NS1_11comp_targetILNS1_3genE9ELNS1_11target_archE1100ELNS1_3gpuE3ELNS1_3repE0EEENS1_59segmented_radix_sort_warp_sort_small_config_static_selectorELNS0_4arch9wavefront6targetE0EEEvSK_ ; -- Begin function _ZN7rocprim17ROCPRIM_400000_NS6detail17trampoline_kernelINS0_14default_configENS1_36segmented_radix_sort_config_selectorIflEEZNS1_25segmented_radix_sort_implIS3_Lb0EPKfPfPKlPlN2at6native12_GLOBAL__N_18offset_tEEE10hipError_tPvRmT1_PNSt15iterator_traitsISK_E10value_typeET2_T3_PNSL_ISQ_E10value_typeET4_jRbjT5_SW_jjP12ihipStream_tbEUlT_E1_NS1_11comp_targetILNS1_3genE9ELNS1_11target_archE1100ELNS1_3gpuE3ELNS1_3repE0EEENS1_59segmented_radix_sort_warp_sort_small_config_static_selectorELNS0_4arch9wavefront6targetE0EEEvSK_
	.p2align	8
	.type	_ZN7rocprim17ROCPRIM_400000_NS6detail17trampoline_kernelINS0_14default_configENS1_36segmented_radix_sort_config_selectorIflEEZNS1_25segmented_radix_sort_implIS3_Lb0EPKfPfPKlPlN2at6native12_GLOBAL__N_18offset_tEEE10hipError_tPvRmT1_PNSt15iterator_traitsISK_E10value_typeET2_T3_PNSL_ISQ_E10value_typeET4_jRbjT5_SW_jjP12ihipStream_tbEUlT_E1_NS1_11comp_targetILNS1_3genE9ELNS1_11target_archE1100ELNS1_3gpuE3ELNS1_3repE0EEENS1_59segmented_radix_sort_warp_sort_small_config_static_selectorELNS0_4arch9wavefront6targetE0EEEvSK_,@function
_ZN7rocprim17ROCPRIM_400000_NS6detail17trampoline_kernelINS0_14default_configENS1_36segmented_radix_sort_config_selectorIflEEZNS1_25segmented_radix_sort_implIS3_Lb0EPKfPfPKlPlN2at6native12_GLOBAL__N_18offset_tEEE10hipError_tPvRmT1_PNSt15iterator_traitsISK_E10value_typeET2_T3_PNSL_ISQ_E10value_typeET4_jRbjT5_SW_jjP12ihipStream_tbEUlT_E1_NS1_11comp_targetILNS1_3genE9ELNS1_11target_archE1100ELNS1_3gpuE3ELNS1_3repE0EEENS1_59segmented_radix_sort_warp_sort_small_config_static_selectorELNS0_4arch9wavefront6targetE0EEEvSK_: ; @_ZN7rocprim17ROCPRIM_400000_NS6detail17trampoline_kernelINS0_14default_configENS1_36segmented_radix_sort_config_selectorIflEEZNS1_25segmented_radix_sort_implIS3_Lb0EPKfPfPKlPlN2at6native12_GLOBAL__N_18offset_tEEE10hipError_tPvRmT1_PNSt15iterator_traitsISK_E10value_typeET2_T3_PNSL_ISQ_E10value_typeET4_jRbjT5_SW_jjP12ihipStream_tbEUlT_E1_NS1_11comp_targetILNS1_3genE9ELNS1_11target_archE1100ELNS1_3gpuE3ELNS1_3repE0EEENS1_59segmented_radix_sort_warp_sort_small_config_static_selectorELNS0_4arch9wavefront6targetE0EEEvSK_
; %bb.0:
	s_load_b32 s2, s[0:1], 0x64
	v_bfe_u32 v1, v0, 10, 10
	v_bfe_u32 v2, v0, 20, 10
	s_mov_b32 s32, 0
	s_waitcnt lgkmcnt(0)
	s_lshr_b32 s3, s2, 16
	s_and_b32 s2, s2, 0xffff
	v_mad_u32_u24 v4, v2, s3, v1
	v_and_b32_e32 v1, 0x3ff, v0
	s_load_b32 s3, s[0:1], 0x34
	s_delay_alu instid0(VALU_DEP_1) | instskip(SKIP_1) | instid1(VALU_DEP_1)
	v_mad_u64_u32 v[2:3], null, v4, s2, v[1:2]
	s_mov_b32 s2, exec_lo
	v_lshrrev_b32_e32 v1, 3, v2
	s_delay_alu instid0(VALU_DEP_1) | instskip(SKIP_1) | instid1(VALU_DEP_1)
	v_lshl_add_u32 v1, s14, 5, v1
	s_waitcnt lgkmcnt(0)
	v_cmpx_gt_u32_e64 s3, v1
	s_cbranch_execz .LBB1456_3
; %bb.1:
	s_clause 0x1
	s_load_b64 s[2:3], s[0:1], 0x38
	s_load_b128 s[4:7], s[0:1], 0x40
	v_mov_b32_e32 v2, 0
	s_delay_alu instid0(VALU_DEP_1) | instskip(SKIP_1) | instid1(VALU_DEP_1)
	v_lshlrev_b64 v[1:2], 2, v[1:2]
	s_waitcnt lgkmcnt(0)
	v_sub_co_u32 v1, vcc_lo, s2, v1
	s_delay_alu instid0(VALU_DEP_2) | instskip(SKIP_4) | instid1(VALU_DEP_2)
	v_sub_co_ci_u32_e32 v2, vcc_lo, s3, v2, vcc_lo
	global_load_b32 v1, v[1:2], off offset:-4
	s_waitcnt vmcnt(0)
	v_add_nc_u32_e32 v2, s5, v1
	v_add_nc_u32_e32 v1, s7, v1
	v_mul_lo_u32 v13, v2, s4
	s_delay_alu instid0(VALU_DEP_2) | instskip(NEXT) | instid1(VALU_DEP_1)
	v_mul_lo_u32 v14, v1, s6
	v_cmp_gt_u32_e32 vcc_lo, v14, v13
	s_and_b32 exec_lo, exec_lo, vcc_lo
	s_cbranch_execz .LBB1456_3
; %bb.2:
	s_clause 0x2
	s_load_b32 s10, s[0:1], 0x30
	s_load_b256 s[16:23], s[0:1], 0x0
	s_load_b128 s[4:7], s[0:1], 0x20
	s_add_u32 s8, s0, 0x58
	s_addc_u32 s9, s1, 0
	s_mov_b64 s[2:3], src_shared_base
	s_getpc_b64 s[0:1]
	s_add_u32 s0, s0, _ZN7rocprim17ROCPRIM_400000_NS6detail26segmented_warp_sort_helperINS1_20WarpSortHelperConfigILj8ELj4ELj256EEEflLi256ELb0EvE4sortIPKfPfPKlPlEEvT_S9_T0_T1_SC_T2_bjjjjRNS5_12storage_typeE@rel32@lo+4
	s_addc_u32 s1, s1, _ZN7rocprim17ROCPRIM_400000_NS6detail26segmented_warp_sort_helperINS1_20WarpSortHelperConfigILj8ELj4ELj256EEEflLi256ELb0EvE4sortIPKfPfPKlPlEEvT_S9_T0_T1_SC_T2_bjjjjRNS5_12storage_typeE@rel32@hi+12
	v_mov_b32_e32 v31, v0
	v_dual_mov_b32 v15, 0 :: v_dual_mov_b32 v16, s3
	s_mov_b32 s12, s14
	s_mov_b32 s13, s15
	s_waitcnt lgkmcnt(0)
	s_and_b32 s2, s10, 1
	v_dual_mov_b32 v0, s16 :: v_dual_mov_b32 v1, s17
	v_dual_mov_b32 v2, s18 :: v_dual_mov_b32 v3, s19
	;; [unrolled: 1-line block ×6, first 2 shown]
	v_mov_b32_e32 v12, s2
	s_swappc_b64 s[30:31], s[0:1]
.LBB1456_3:
	s_endpgm
	.section	.rodata,"a",@progbits
	.p2align	6, 0x0
	.amdhsa_kernel _ZN7rocprim17ROCPRIM_400000_NS6detail17trampoline_kernelINS0_14default_configENS1_36segmented_radix_sort_config_selectorIflEEZNS1_25segmented_radix_sort_implIS3_Lb0EPKfPfPKlPlN2at6native12_GLOBAL__N_18offset_tEEE10hipError_tPvRmT1_PNSt15iterator_traitsISK_E10value_typeET2_T3_PNSL_ISQ_E10value_typeET4_jRbjT5_SW_jjP12ihipStream_tbEUlT_E1_NS1_11comp_targetILNS1_3genE9ELNS1_11target_archE1100ELNS1_3gpuE3ELNS1_3repE0EEENS1_59segmented_radix_sort_warp_sort_small_config_static_selectorELNS0_4arch9wavefront6targetE0EEEvSK_
		.amdhsa_group_segment_fixed_size 12288
		.amdhsa_private_segment_fixed_size 0
		.amdhsa_kernarg_size 344
		.amdhsa_user_sgpr_count 14
		.amdhsa_user_sgpr_dispatch_ptr 0
		.amdhsa_user_sgpr_queue_ptr 0
		.amdhsa_user_sgpr_kernarg_segment_ptr 1
		.amdhsa_user_sgpr_dispatch_id 0
		.amdhsa_user_sgpr_private_segment_size 0
		.amdhsa_wavefront_size32 1
		.amdhsa_uses_dynamic_stack 0
		.amdhsa_enable_private_segment 0
		.amdhsa_system_sgpr_workgroup_id_x 1
		.amdhsa_system_sgpr_workgroup_id_y 1
		.amdhsa_system_sgpr_workgroup_id_z 0
		.amdhsa_system_sgpr_workgroup_info 0
		.amdhsa_system_vgpr_workitem_id 2
		.amdhsa_next_free_vgpr 83
		.amdhsa_next_free_sgpr 33
		.amdhsa_reserve_vcc 1
		.amdhsa_float_round_mode_32 0
		.amdhsa_float_round_mode_16_64 0
		.amdhsa_float_denorm_mode_32 3
		.amdhsa_float_denorm_mode_16_64 3
		.amdhsa_dx10_clamp 1
		.amdhsa_ieee_mode 1
		.amdhsa_fp16_overflow 0
		.amdhsa_workgroup_processor_mode 1
		.amdhsa_memory_ordered 1
		.amdhsa_forward_progress 0
		.amdhsa_shared_vgpr_count 0
		.amdhsa_exception_fp_ieee_invalid_op 0
		.amdhsa_exception_fp_denorm_src 0
		.amdhsa_exception_fp_ieee_div_zero 0
		.amdhsa_exception_fp_ieee_overflow 0
		.amdhsa_exception_fp_ieee_underflow 0
		.amdhsa_exception_fp_ieee_inexact 0
		.amdhsa_exception_int_div_zero 0
	.end_amdhsa_kernel
	.section	.text._ZN7rocprim17ROCPRIM_400000_NS6detail17trampoline_kernelINS0_14default_configENS1_36segmented_radix_sort_config_selectorIflEEZNS1_25segmented_radix_sort_implIS3_Lb0EPKfPfPKlPlN2at6native12_GLOBAL__N_18offset_tEEE10hipError_tPvRmT1_PNSt15iterator_traitsISK_E10value_typeET2_T3_PNSL_ISQ_E10value_typeET4_jRbjT5_SW_jjP12ihipStream_tbEUlT_E1_NS1_11comp_targetILNS1_3genE9ELNS1_11target_archE1100ELNS1_3gpuE3ELNS1_3repE0EEENS1_59segmented_radix_sort_warp_sort_small_config_static_selectorELNS0_4arch9wavefront6targetE0EEEvSK_,"axG",@progbits,_ZN7rocprim17ROCPRIM_400000_NS6detail17trampoline_kernelINS0_14default_configENS1_36segmented_radix_sort_config_selectorIflEEZNS1_25segmented_radix_sort_implIS3_Lb0EPKfPfPKlPlN2at6native12_GLOBAL__N_18offset_tEEE10hipError_tPvRmT1_PNSt15iterator_traitsISK_E10value_typeET2_T3_PNSL_ISQ_E10value_typeET4_jRbjT5_SW_jjP12ihipStream_tbEUlT_E1_NS1_11comp_targetILNS1_3genE9ELNS1_11target_archE1100ELNS1_3gpuE3ELNS1_3repE0EEENS1_59segmented_radix_sort_warp_sort_small_config_static_selectorELNS0_4arch9wavefront6targetE0EEEvSK_,comdat
.Lfunc_end1456:
	.size	_ZN7rocprim17ROCPRIM_400000_NS6detail17trampoline_kernelINS0_14default_configENS1_36segmented_radix_sort_config_selectorIflEEZNS1_25segmented_radix_sort_implIS3_Lb0EPKfPfPKlPlN2at6native12_GLOBAL__N_18offset_tEEE10hipError_tPvRmT1_PNSt15iterator_traitsISK_E10value_typeET2_T3_PNSL_ISQ_E10value_typeET4_jRbjT5_SW_jjP12ihipStream_tbEUlT_E1_NS1_11comp_targetILNS1_3genE9ELNS1_11target_archE1100ELNS1_3gpuE3ELNS1_3repE0EEENS1_59segmented_radix_sort_warp_sort_small_config_static_selectorELNS0_4arch9wavefront6targetE0EEEvSK_, .Lfunc_end1456-_ZN7rocprim17ROCPRIM_400000_NS6detail17trampoline_kernelINS0_14default_configENS1_36segmented_radix_sort_config_selectorIflEEZNS1_25segmented_radix_sort_implIS3_Lb0EPKfPfPKlPlN2at6native12_GLOBAL__N_18offset_tEEE10hipError_tPvRmT1_PNSt15iterator_traitsISK_E10value_typeET2_T3_PNSL_ISQ_E10value_typeET4_jRbjT5_SW_jjP12ihipStream_tbEUlT_E1_NS1_11comp_targetILNS1_3genE9ELNS1_11target_archE1100ELNS1_3gpuE3ELNS1_3repE0EEENS1_59segmented_radix_sort_warp_sort_small_config_static_selectorELNS0_4arch9wavefront6targetE0EEEvSK_
                                        ; -- End function
	.section	.AMDGPU.csdata,"",@progbits
; Kernel info:
; codeLenInByte = 376
; NumSgprs: 35
; NumVgprs: 83
; ScratchSize: 0
; MemoryBound: 0
; FloatMode: 240
; IeeeMode: 1
; LDSByteSize: 12288 bytes/workgroup (compile time only)
; SGPRBlocks: 4
; VGPRBlocks: 10
; NumSGPRsForWavesPerEU: 35
; NumVGPRsForWavesPerEU: 83
; Occupancy: 16
; WaveLimiterHint : 0
; COMPUTE_PGM_RSRC2:SCRATCH_EN: 0
; COMPUTE_PGM_RSRC2:USER_SGPR: 14
; COMPUTE_PGM_RSRC2:TRAP_HANDLER: 0
; COMPUTE_PGM_RSRC2:TGID_X_EN: 1
; COMPUTE_PGM_RSRC2:TGID_Y_EN: 1
; COMPUTE_PGM_RSRC2:TGID_Z_EN: 0
; COMPUTE_PGM_RSRC2:TIDIG_COMP_CNT: 2
	.section	.text._ZN7rocprim17ROCPRIM_400000_NS6detail17trampoline_kernelINS0_14default_configENS1_36segmented_radix_sort_config_selectorIflEEZNS1_25segmented_radix_sort_implIS3_Lb0EPKfPfPKlPlN2at6native12_GLOBAL__N_18offset_tEEE10hipError_tPvRmT1_PNSt15iterator_traitsISK_E10value_typeET2_T3_PNSL_ISQ_E10value_typeET4_jRbjT5_SW_jjP12ihipStream_tbEUlT_E1_NS1_11comp_targetILNS1_3genE8ELNS1_11target_archE1030ELNS1_3gpuE2ELNS1_3repE0EEENS1_59segmented_radix_sort_warp_sort_small_config_static_selectorELNS0_4arch9wavefront6targetE0EEEvSK_,"axG",@progbits,_ZN7rocprim17ROCPRIM_400000_NS6detail17trampoline_kernelINS0_14default_configENS1_36segmented_radix_sort_config_selectorIflEEZNS1_25segmented_radix_sort_implIS3_Lb0EPKfPfPKlPlN2at6native12_GLOBAL__N_18offset_tEEE10hipError_tPvRmT1_PNSt15iterator_traitsISK_E10value_typeET2_T3_PNSL_ISQ_E10value_typeET4_jRbjT5_SW_jjP12ihipStream_tbEUlT_E1_NS1_11comp_targetILNS1_3genE8ELNS1_11target_archE1030ELNS1_3gpuE2ELNS1_3repE0EEENS1_59segmented_radix_sort_warp_sort_small_config_static_selectorELNS0_4arch9wavefront6targetE0EEEvSK_,comdat
	.globl	_ZN7rocprim17ROCPRIM_400000_NS6detail17trampoline_kernelINS0_14default_configENS1_36segmented_radix_sort_config_selectorIflEEZNS1_25segmented_radix_sort_implIS3_Lb0EPKfPfPKlPlN2at6native12_GLOBAL__N_18offset_tEEE10hipError_tPvRmT1_PNSt15iterator_traitsISK_E10value_typeET2_T3_PNSL_ISQ_E10value_typeET4_jRbjT5_SW_jjP12ihipStream_tbEUlT_E1_NS1_11comp_targetILNS1_3genE8ELNS1_11target_archE1030ELNS1_3gpuE2ELNS1_3repE0EEENS1_59segmented_radix_sort_warp_sort_small_config_static_selectorELNS0_4arch9wavefront6targetE0EEEvSK_ ; -- Begin function _ZN7rocprim17ROCPRIM_400000_NS6detail17trampoline_kernelINS0_14default_configENS1_36segmented_radix_sort_config_selectorIflEEZNS1_25segmented_radix_sort_implIS3_Lb0EPKfPfPKlPlN2at6native12_GLOBAL__N_18offset_tEEE10hipError_tPvRmT1_PNSt15iterator_traitsISK_E10value_typeET2_T3_PNSL_ISQ_E10value_typeET4_jRbjT5_SW_jjP12ihipStream_tbEUlT_E1_NS1_11comp_targetILNS1_3genE8ELNS1_11target_archE1030ELNS1_3gpuE2ELNS1_3repE0EEENS1_59segmented_radix_sort_warp_sort_small_config_static_selectorELNS0_4arch9wavefront6targetE0EEEvSK_
	.p2align	8
	.type	_ZN7rocprim17ROCPRIM_400000_NS6detail17trampoline_kernelINS0_14default_configENS1_36segmented_radix_sort_config_selectorIflEEZNS1_25segmented_radix_sort_implIS3_Lb0EPKfPfPKlPlN2at6native12_GLOBAL__N_18offset_tEEE10hipError_tPvRmT1_PNSt15iterator_traitsISK_E10value_typeET2_T3_PNSL_ISQ_E10value_typeET4_jRbjT5_SW_jjP12ihipStream_tbEUlT_E1_NS1_11comp_targetILNS1_3genE8ELNS1_11target_archE1030ELNS1_3gpuE2ELNS1_3repE0EEENS1_59segmented_radix_sort_warp_sort_small_config_static_selectorELNS0_4arch9wavefront6targetE0EEEvSK_,@function
_ZN7rocprim17ROCPRIM_400000_NS6detail17trampoline_kernelINS0_14default_configENS1_36segmented_radix_sort_config_selectorIflEEZNS1_25segmented_radix_sort_implIS3_Lb0EPKfPfPKlPlN2at6native12_GLOBAL__N_18offset_tEEE10hipError_tPvRmT1_PNSt15iterator_traitsISK_E10value_typeET2_T3_PNSL_ISQ_E10value_typeET4_jRbjT5_SW_jjP12ihipStream_tbEUlT_E1_NS1_11comp_targetILNS1_3genE8ELNS1_11target_archE1030ELNS1_3gpuE2ELNS1_3repE0EEENS1_59segmented_radix_sort_warp_sort_small_config_static_selectorELNS0_4arch9wavefront6targetE0EEEvSK_: ; @_ZN7rocprim17ROCPRIM_400000_NS6detail17trampoline_kernelINS0_14default_configENS1_36segmented_radix_sort_config_selectorIflEEZNS1_25segmented_radix_sort_implIS3_Lb0EPKfPfPKlPlN2at6native12_GLOBAL__N_18offset_tEEE10hipError_tPvRmT1_PNSt15iterator_traitsISK_E10value_typeET2_T3_PNSL_ISQ_E10value_typeET4_jRbjT5_SW_jjP12ihipStream_tbEUlT_E1_NS1_11comp_targetILNS1_3genE8ELNS1_11target_archE1030ELNS1_3gpuE2ELNS1_3repE0EEENS1_59segmented_radix_sort_warp_sort_small_config_static_selectorELNS0_4arch9wavefront6targetE0EEEvSK_
; %bb.0:
	.section	.rodata,"a",@progbits
	.p2align	6, 0x0
	.amdhsa_kernel _ZN7rocprim17ROCPRIM_400000_NS6detail17trampoline_kernelINS0_14default_configENS1_36segmented_radix_sort_config_selectorIflEEZNS1_25segmented_radix_sort_implIS3_Lb0EPKfPfPKlPlN2at6native12_GLOBAL__N_18offset_tEEE10hipError_tPvRmT1_PNSt15iterator_traitsISK_E10value_typeET2_T3_PNSL_ISQ_E10value_typeET4_jRbjT5_SW_jjP12ihipStream_tbEUlT_E1_NS1_11comp_targetILNS1_3genE8ELNS1_11target_archE1030ELNS1_3gpuE2ELNS1_3repE0EEENS1_59segmented_radix_sort_warp_sort_small_config_static_selectorELNS0_4arch9wavefront6targetE0EEEvSK_
		.amdhsa_group_segment_fixed_size 0
		.amdhsa_private_segment_fixed_size 0
		.amdhsa_kernarg_size 88
		.amdhsa_user_sgpr_count 15
		.amdhsa_user_sgpr_dispatch_ptr 0
		.amdhsa_user_sgpr_queue_ptr 0
		.amdhsa_user_sgpr_kernarg_segment_ptr 1
		.amdhsa_user_sgpr_dispatch_id 0
		.amdhsa_user_sgpr_private_segment_size 0
		.amdhsa_wavefront_size32 1
		.amdhsa_uses_dynamic_stack 0
		.amdhsa_enable_private_segment 0
		.amdhsa_system_sgpr_workgroup_id_x 1
		.amdhsa_system_sgpr_workgroup_id_y 0
		.amdhsa_system_sgpr_workgroup_id_z 0
		.amdhsa_system_sgpr_workgroup_info 0
		.amdhsa_system_vgpr_workitem_id 0
		.amdhsa_next_free_vgpr 1
		.amdhsa_next_free_sgpr 1
		.amdhsa_reserve_vcc 0
		.amdhsa_float_round_mode_32 0
		.amdhsa_float_round_mode_16_64 0
		.amdhsa_float_denorm_mode_32 3
		.amdhsa_float_denorm_mode_16_64 3
		.amdhsa_dx10_clamp 1
		.amdhsa_ieee_mode 1
		.amdhsa_fp16_overflow 0
		.amdhsa_workgroup_processor_mode 1
		.amdhsa_memory_ordered 1
		.amdhsa_forward_progress 0
		.amdhsa_shared_vgpr_count 0
		.amdhsa_exception_fp_ieee_invalid_op 0
		.amdhsa_exception_fp_denorm_src 0
		.amdhsa_exception_fp_ieee_div_zero 0
		.amdhsa_exception_fp_ieee_overflow 0
		.amdhsa_exception_fp_ieee_underflow 0
		.amdhsa_exception_fp_ieee_inexact 0
		.amdhsa_exception_int_div_zero 0
	.end_amdhsa_kernel
	.section	.text._ZN7rocprim17ROCPRIM_400000_NS6detail17trampoline_kernelINS0_14default_configENS1_36segmented_radix_sort_config_selectorIflEEZNS1_25segmented_radix_sort_implIS3_Lb0EPKfPfPKlPlN2at6native12_GLOBAL__N_18offset_tEEE10hipError_tPvRmT1_PNSt15iterator_traitsISK_E10value_typeET2_T3_PNSL_ISQ_E10value_typeET4_jRbjT5_SW_jjP12ihipStream_tbEUlT_E1_NS1_11comp_targetILNS1_3genE8ELNS1_11target_archE1030ELNS1_3gpuE2ELNS1_3repE0EEENS1_59segmented_radix_sort_warp_sort_small_config_static_selectorELNS0_4arch9wavefront6targetE0EEEvSK_,"axG",@progbits,_ZN7rocprim17ROCPRIM_400000_NS6detail17trampoline_kernelINS0_14default_configENS1_36segmented_radix_sort_config_selectorIflEEZNS1_25segmented_radix_sort_implIS3_Lb0EPKfPfPKlPlN2at6native12_GLOBAL__N_18offset_tEEE10hipError_tPvRmT1_PNSt15iterator_traitsISK_E10value_typeET2_T3_PNSL_ISQ_E10value_typeET4_jRbjT5_SW_jjP12ihipStream_tbEUlT_E1_NS1_11comp_targetILNS1_3genE8ELNS1_11target_archE1030ELNS1_3gpuE2ELNS1_3repE0EEENS1_59segmented_radix_sort_warp_sort_small_config_static_selectorELNS0_4arch9wavefront6targetE0EEEvSK_,comdat
.Lfunc_end1457:
	.size	_ZN7rocprim17ROCPRIM_400000_NS6detail17trampoline_kernelINS0_14default_configENS1_36segmented_radix_sort_config_selectorIflEEZNS1_25segmented_radix_sort_implIS3_Lb0EPKfPfPKlPlN2at6native12_GLOBAL__N_18offset_tEEE10hipError_tPvRmT1_PNSt15iterator_traitsISK_E10value_typeET2_T3_PNSL_ISQ_E10value_typeET4_jRbjT5_SW_jjP12ihipStream_tbEUlT_E1_NS1_11comp_targetILNS1_3genE8ELNS1_11target_archE1030ELNS1_3gpuE2ELNS1_3repE0EEENS1_59segmented_radix_sort_warp_sort_small_config_static_selectorELNS0_4arch9wavefront6targetE0EEEvSK_, .Lfunc_end1457-_ZN7rocprim17ROCPRIM_400000_NS6detail17trampoline_kernelINS0_14default_configENS1_36segmented_radix_sort_config_selectorIflEEZNS1_25segmented_radix_sort_implIS3_Lb0EPKfPfPKlPlN2at6native12_GLOBAL__N_18offset_tEEE10hipError_tPvRmT1_PNSt15iterator_traitsISK_E10value_typeET2_T3_PNSL_ISQ_E10value_typeET4_jRbjT5_SW_jjP12ihipStream_tbEUlT_E1_NS1_11comp_targetILNS1_3genE8ELNS1_11target_archE1030ELNS1_3gpuE2ELNS1_3repE0EEENS1_59segmented_radix_sort_warp_sort_small_config_static_selectorELNS0_4arch9wavefront6targetE0EEEvSK_
                                        ; -- End function
	.section	.AMDGPU.csdata,"",@progbits
; Kernel info:
; codeLenInByte = 0
; NumSgprs: 0
; NumVgprs: 0
; ScratchSize: 0
; MemoryBound: 0
; FloatMode: 240
; IeeeMode: 1
; LDSByteSize: 0 bytes/workgroup (compile time only)
; SGPRBlocks: 0
; VGPRBlocks: 0
; NumSGPRsForWavesPerEU: 1
; NumVGPRsForWavesPerEU: 1
; Occupancy: 16
; WaveLimiterHint : 0
; COMPUTE_PGM_RSRC2:SCRATCH_EN: 0
; COMPUTE_PGM_RSRC2:USER_SGPR: 15
; COMPUTE_PGM_RSRC2:TRAP_HANDLER: 0
; COMPUTE_PGM_RSRC2:TGID_X_EN: 1
; COMPUTE_PGM_RSRC2:TGID_Y_EN: 0
; COMPUTE_PGM_RSRC2:TGID_Z_EN: 0
; COMPUTE_PGM_RSRC2:TIDIG_COMP_CNT: 0
	.section	.text._ZN7rocprim17ROCPRIM_400000_NS6detail17trampoline_kernelINS0_14default_configENS1_36segmented_radix_sort_config_selectorIflEEZNS1_25segmented_radix_sort_implIS3_Lb0EPKfPfPKlPlN2at6native12_GLOBAL__N_18offset_tEEE10hipError_tPvRmT1_PNSt15iterator_traitsISK_E10value_typeET2_T3_PNSL_ISQ_E10value_typeET4_jRbjT5_SW_jjP12ihipStream_tbEUlT_E2_NS1_11comp_targetILNS1_3genE0ELNS1_11target_archE4294967295ELNS1_3gpuE0ELNS1_3repE0EEENS1_30default_config_static_selectorELNS0_4arch9wavefront6targetE0EEEvSK_,"axG",@progbits,_ZN7rocprim17ROCPRIM_400000_NS6detail17trampoline_kernelINS0_14default_configENS1_36segmented_radix_sort_config_selectorIflEEZNS1_25segmented_radix_sort_implIS3_Lb0EPKfPfPKlPlN2at6native12_GLOBAL__N_18offset_tEEE10hipError_tPvRmT1_PNSt15iterator_traitsISK_E10value_typeET2_T3_PNSL_ISQ_E10value_typeET4_jRbjT5_SW_jjP12ihipStream_tbEUlT_E2_NS1_11comp_targetILNS1_3genE0ELNS1_11target_archE4294967295ELNS1_3gpuE0ELNS1_3repE0EEENS1_30default_config_static_selectorELNS0_4arch9wavefront6targetE0EEEvSK_,comdat
	.globl	_ZN7rocprim17ROCPRIM_400000_NS6detail17trampoline_kernelINS0_14default_configENS1_36segmented_radix_sort_config_selectorIflEEZNS1_25segmented_radix_sort_implIS3_Lb0EPKfPfPKlPlN2at6native12_GLOBAL__N_18offset_tEEE10hipError_tPvRmT1_PNSt15iterator_traitsISK_E10value_typeET2_T3_PNSL_ISQ_E10value_typeET4_jRbjT5_SW_jjP12ihipStream_tbEUlT_E2_NS1_11comp_targetILNS1_3genE0ELNS1_11target_archE4294967295ELNS1_3gpuE0ELNS1_3repE0EEENS1_30default_config_static_selectorELNS0_4arch9wavefront6targetE0EEEvSK_ ; -- Begin function _ZN7rocprim17ROCPRIM_400000_NS6detail17trampoline_kernelINS0_14default_configENS1_36segmented_radix_sort_config_selectorIflEEZNS1_25segmented_radix_sort_implIS3_Lb0EPKfPfPKlPlN2at6native12_GLOBAL__N_18offset_tEEE10hipError_tPvRmT1_PNSt15iterator_traitsISK_E10value_typeET2_T3_PNSL_ISQ_E10value_typeET4_jRbjT5_SW_jjP12ihipStream_tbEUlT_E2_NS1_11comp_targetILNS1_3genE0ELNS1_11target_archE4294967295ELNS1_3gpuE0ELNS1_3repE0EEENS1_30default_config_static_selectorELNS0_4arch9wavefront6targetE0EEEvSK_
	.p2align	8
	.type	_ZN7rocprim17ROCPRIM_400000_NS6detail17trampoline_kernelINS0_14default_configENS1_36segmented_radix_sort_config_selectorIflEEZNS1_25segmented_radix_sort_implIS3_Lb0EPKfPfPKlPlN2at6native12_GLOBAL__N_18offset_tEEE10hipError_tPvRmT1_PNSt15iterator_traitsISK_E10value_typeET2_T3_PNSL_ISQ_E10value_typeET4_jRbjT5_SW_jjP12ihipStream_tbEUlT_E2_NS1_11comp_targetILNS1_3genE0ELNS1_11target_archE4294967295ELNS1_3gpuE0ELNS1_3repE0EEENS1_30default_config_static_selectorELNS0_4arch9wavefront6targetE0EEEvSK_,@function
_ZN7rocprim17ROCPRIM_400000_NS6detail17trampoline_kernelINS0_14default_configENS1_36segmented_radix_sort_config_selectorIflEEZNS1_25segmented_radix_sort_implIS3_Lb0EPKfPfPKlPlN2at6native12_GLOBAL__N_18offset_tEEE10hipError_tPvRmT1_PNSt15iterator_traitsISK_E10value_typeET2_T3_PNSL_ISQ_E10value_typeET4_jRbjT5_SW_jjP12ihipStream_tbEUlT_E2_NS1_11comp_targetILNS1_3genE0ELNS1_11target_archE4294967295ELNS1_3gpuE0ELNS1_3repE0EEENS1_30default_config_static_selectorELNS0_4arch9wavefront6targetE0EEEvSK_: ; @_ZN7rocprim17ROCPRIM_400000_NS6detail17trampoline_kernelINS0_14default_configENS1_36segmented_radix_sort_config_selectorIflEEZNS1_25segmented_radix_sort_implIS3_Lb0EPKfPfPKlPlN2at6native12_GLOBAL__N_18offset_tEEE10hipError_tPvRmT1_PNSt15iterator_traitsISK_E10value_typeET2_T3_PNSL_ISQ_E10value_typeET4_jRbjT5_SW_jjP12ihipStream_tbEUlT_E2_NS1_11comp_targetILNS1_3genE0ELNS1_11target_archE4294967295ELNS1_3gpuE0ELNS1_3repE0EEENS1_30default_config_static_selectorELNS0_4arch9wavefront6targetE0EEEvSK_
; %bb.0:
	.section	.rodata,"a",@progbits
	.p2align	6, 0x0
	.amdhsa_kernel _ZN7rocprim17ROCPRIM_400000_NS6detail17trampoline_kernelINS0_14default_configENS1_36segmented_radix_sort_config_selectorIflEEZNS1_25segmented_radix_sort_implIS3_Lb0EPKfPfPKlPlN2at6native12_GLOBAL__N_18offset_tEEE10hipError_tPvRmT1_PNSt15iterator_traitsISK_E10value_typeET2_T3_PNSL_ISQ_E10value_typeET4_jRbjT5_SW_jjP12ihipStream_tbEUlT_E2_NS1_11comp_targetILNS1_3genE0ELNS1_11target_archE4294967295ELNS1_3gpuE0ELNS1_3repE0EEENS1_30default_config_static_selectorELNS0_4arch9wavefront6targetE0EEEvSK_
		.amdhsa_group_segment_fixed_size 0
		.amdhsa_private_segment_fixed_size 0
		.amdhsa_kernarg_size 80
		.amdhsa_user_sgpr_count 15
		.amdhsa_user_sgpr_dispatch_ptr 0
		.amdhsa_user_sgpr_queue_ptr 0
		.amdhsa_user_sgpr_kernarg_segment_ptr 1
		.amdhsa_user_sgpr_dispatch_id 0
		.amdhsa_user_sgpr_private_segment_size 0
		.amdhsa_wavefront_size32 1
		.amdhsa_uses_dynamic_stack 0
		.amdhsa_enable_private_segment 0
		.amdhsa_system_sgpr_workgroup_id_x 1
		.amdhsa_system_sgpr_workgroup_id_y 0
		.amdhsa_system_sgpr_workgroup_id_z 0
		.amdhsa_system_sgpr_workgroup_info 0
		.amdhsa_system_vgpr_workitem_id 0
		.amdhsa_next_free_vgpr 1
		.amdhsa_next_free_sgpr 1
		.amdhsa_reserve_vcc 0
		.amdhsa_float_round_mode_32 0
		.amdhsa_float_round_mode_16_64 0
		.amdhsa_float_denorm_mode_32 3
		.amdhsa_float_denorm_mode_16_64 3
		.amdhsa_dx10_clamp 1
		.amdhsa_ieee_mode 1
		.amdhsa_fp16_overflow 0
		.amdhsa_workgroup_processor_mode 1
		.amdhsa_memory_ordered 1
		.amdhsa_forward_progress 0
		.amdhsa_shared_vgpr_count 0
		.amdhsa_exception_fp_ieee_invalid_op 0
		.amdhsa_exception_fp_denorm_src 0
		.amdhsa_exception_fp_ieee_div_zero 0
		.amdhsa_exception_fp_ieee_overflow 0
		.amdhsa_exception_fp_ieee_underflow 0
		.amdhsa_exception_fp_ieee_inexact 0
		.amdhsa_exception_int_div_zero 0
	.end_amdhsa_kernel
	.section	.text._ZN7rocprim17ROCPRIM_400000_NS6detail17trampoline_kernelINS0_14default_configENS1_36segmented_radix_sort_config_selectorIflEEZNS1_25segmented_radix_sort_implIS3_Lb0EPKfPfPKlPlN2at6native12_GLOBAL__N_18offset_tEEE10hipError_tPvRmT1_PNSt15iterator_traitsISK_E10value_typeET2_T3_PNSL_ISQ_E10value_typeET4_jRbjT5_SW_jjP12ihipStream_tbEUlT_E2_NS1_11comp_targetILNS1_3genE0ELNS1_11target_archE4294967295ELNS1_3gpuE0ELNS1_3repE0EEENS1_30default_config_static_selectorELNS0_4arch9wavefront6targetE0EEEvSK_,"axG",@progbits,_ZN7rocprim17ROCPRIM_400000_NS6detail17trampoline_kernelINS0_14default_configENS1_36segmented_radix_sort_config_selectorIflEEZNS1_25segmented_radix_sort_implIS3_Lb0EPKfPfPKlPlN2at6native12_GLOBAL__N_18offset_tEEE10hipError_tPvRmT1_PNSt15iterator_traitsISK_E10value_typeET2_T3_PNSL_ISQ_E10value_typeET4_jRbjT5_SW_jjP12ihipStream_tbEUlT_E2_NS1_11comp_targetILNS1_3genE0ELNS1_11target_archE4294967295ELNS1_3gpuE0ELNS1_3repE0EEENS1_30default_config_static_selectorELNS0_4arch9wavefront6targetE0EEEvSK_,comdat
.Lfunc_end1458:
	.size	_ZN7rocprim17ROCPRIM_400000_NS6detail17trampoline_kernelINS0_14default_configENS1_36segmented_radix_sort_config_selectorIflEEZNS1_25segmented_radix_sort_implIS3_Lb0EPKfPfPKlPlN2at6native12_GLOBAL__N_18offset_tEEE10hipError_tPvRmT1_PNSt15iterator_traitsISK_E10value_typeET2_T3_PNSL_ISQ_E10value_typeET4_jRbjT5_SW_jjP12ihipStream_tbEUlT_E2_NS1_11comp_targetILNS1_3genE0ELNS1_11target_archE4294967295ELNS1_3gpuE0ELNS1_3repE0EEENS1_30default_config_static_selectorELNS0_4arch9wavefront6targetE0EEEvSK_, .Lfunc_end1458-_ZN7rocprim17ROCPRIM_400000_NS6detail17trampoline_kernelINS0_14default_configENS1_36segmented_radix_sort_config_selectorIflEEZNS1_25segmented_radix_sort_implIS3_Lb0EPKfPfPKlPlN2at6native12_GLOBAL__N_18offset_tEEE10hipError_tPvRmT1_PNSt15iterator_traitsISK_E10value_typeET2_T3_PNSL_ISQ_E10value_typeET4_jRbjT5_SW_jjP12ihipStream_tbEUlT_E2_NS1_11comp_targetILNS1_3genE0ELNS1_11target_archE4294967295ELNS1_3gpuE0ELNS1_3repE0EEENS1_30default_config_static_selectorELNS0_4arch9wavefront6targetE0EEEvSK_
                                        ; -- End function
	.section	.AMDGPU.csdata,"",@progbits
; Kernel info:
; codeLenInByte = 0
; NumSgprs: 0
; NumVgprs: 0
; ScratchSize: 0
; MemoryBound: 0
; FloatMode: 240
; IeeeMode: 1
; LDSByteSize: 0 bytes/workgroup (compile time only)
; SGPRBlocks: 0
; VGPRBlocks: 0
; NumSGPRsForWavesPerEU: 1
; NumVGPRsForWavesPerEU: 1
; Occupancy: 16
; WaveLimiterHint : 0
; COMPUTE_PGM_RSRC2:SCRATCH_EN: 0
; COMPUTE_PGM_RSRC2:USER_SGPR: 15
; COMPUTE_PGM_RSRC2:TRAP_HANDLER: 0
; COMPUTE_PGM_RSRC2:TGID_X_EN: 1
; COMPUTE_PGM_RSRC2:TGID_Y_EN: 0
; COMPUTE_PGM_RSRC2:TGID_Z_EN: 0
; COMPUTE_PGM_RSRC2:TIDIG_COMP_CNT: 0
	.section	.text._ZN7rocprim17ROCPRIM_400000_NS6detail17trampoline_kernelINS0_14default_configENS1_36segmented_radix_sort_config_selectorIflEEZNS1_25segmented_radix_sort_implIS3_Lb0EPKfPfPKlPlN2at6native12_GLOBAL__N_18offset_tEEE10hipError_tPvRmT1_PNSt15iterator_traitsISK_E10value_typeET2_T3_PNSL_ISQ_E10value_typeET4_jRbjT5_SW_jjP12ihipStream_tbEUlT_E2_NS1_11comp_targetILNS1_3genE5ELNS1_11target_archE942ELNS1_3gpuE9ELNS1_3repE0EEENS1_30default_config_static_selectorELNS0_4arch9wavefront6targetE0EEEvSK_,"axG",@progbits,_ZN7rocprim17ROCPRIM_400000_NS6detail17trampoline_kernelINS0_14default_configENS1_36segmented_radix_sort_config_selectorIflEEZNS1_25segmented_radix_sort_implIS3_Lb0EPKfPfPKlPlN2at6native12_GLOBAL__N_18offset_tEEE10hipError_tPvRmT1_PNSt15iterator_traitsISK_E10value_typeET2_T3_PNSL_ISQ_E10value_typeET4_jRbjT5_SW_jjP12ihipStream_tbEUlT_E2_NS1_11comp_targetILNS1_3genE5ELNS1_11target_archE942ELNS1_3gpuE9ELNS1_3repE0EEENS1_30default_config_static_selectorELNS0_4arch9wavefront6targetE0EEEvSK_,comdat
	.globl	_ZN7rocprim17ROCPRIM_400000_NS6detail17trampoline_kernelINS0_14default_configENS1_36segmented_radix_sort_config_selectorIflEEZNS1_25segmented_radix_sort_implIS3_Lb0EPKfPfPKlPlN2at6native12_GLOBAL__N_18offset_tEEE10hipError_tPvRmT1_PNSt15iterator_traitsISK_E10value_typeET2_T3_PNSL_ISQ_E10value_typeET4_jRbjT5_SW_jjP12ihipStream_tbEUlT_E2_NS1_11comp_targetILNS1_3genE5ELNS1_11target_archE942ELNS1_3gpuE9ELNS1_3repE0EEENS1_30default_config_static_selectorELNS0_4arch9wavefront6targetE0EEEvSK_ ; -- Begin function _ZN7rocprim17ROCPRIM_400000_NS6detail17trampoline_kernelINS0_14default_configENS1_36segmented_radix_sort_config_selectorIflEEZNS1_25segmented_radix_sort_implIS3_Lb0EPKfPfPKlPlN2at6native12_GLOBAL__N_18offset_tEEE10hipError_tPvRmT1_PNSt15iterator_traitsISK_E10value_typeET2_T3_PNSL_ISQ_E10value_typeET4_jRbjT5_SW_jjP12ihipStream_tbEUlT_E2_NS1_11comp_targetILNS1_3genE5ELNS1_11target_archE942ELNS1_3gpuE9ELNS1_3repE0EEENS1_30default_config_static_selectorELNS0_4arch9wavefront6targetE0EEEvSK_
	.p2align	8
	.type	_ZN7rocprim17ROCPRIM_400000_NS6detail17trampoline_kernelINS0_14default_configENS1_36segmented_radix_sort_config_selectorIflEEZNS1_25segmented_radix_sort_implIS3_Lb0EPKfPfPKlPlN2at6native12_GLOBAL__N_18offset_tEEE10hipError_tPvRmT1_PNSt15iterator_traitsISK_E10value_typeET2_T3_PNSL_ISQ_E10value_typeET4_jRbjT5_SW_jjP12ihipStream_tbEUlT_E2_NS1_11comp_targetILNS1_3genE5ELNS1_11target_archE942ELNS1_3gpuE9ELNS1_3repE0EEENS1_30default_config_static_selectorELNS0_4arch9wavefront6targetE0EEEvSK_,@function
_ZN7rocprim17ROCPRIM_400000_NS6detail17trampoline_kernelINS0_14default_configENS1_36segmented_radix_sort_config_selectorIflEEZNS1_25segmented_radix_sort_implIS3_Lb0EPKfPfPKlPlN2at6native12_GLOBAL__N_18offset_tEEE10hipError_tPvRmT1_PNSt15iterator_traitsISK_E10value_typeET2_T3_PNSL_ISQ_E10value_typeET4_jRbjT5_SW_jjP12ihipStream_tbEUlT_E2_NS1_11comp_targetILNS1_3genE5ELNS1_11target_archE942ELNS1_3gpuE9ELNS1_3repE0EEENS1_30default_config_static_selectorELNS0_4arch9wavefront6targetE0EEEvSK_: ; @_ZN7rocprim17ROCPRIM_400000_NS6detail17trampoline_kernelINS0_14default_configENS1_36segmented_radix_sort_config_selectorIflEEZNS1_25segmented_radix_sort_implIS3_Lb0EPKfPfPKlPlN2at6native12_GLOBAL__N_18offset_tEEE10hipError_tPvRmT1_PNSt15iterator_traitsISK_E10value_typeET2_T3_PNSL_ISQ_E10value_typeET4_jRbjT5_SW_jjP12ihipStream_tbEUlT_E2_NS1_11comp_targetILNS1_3genE5ELNS1_11target_archE942ELNS1_3gpuE9ELNS1_3repE0EEENS1_30default_config_static_selectorELNS0_4arch9wavefront6targetE0EEEvSK_
; %bb.0:
	.section	.rodata,"a",@progbits
	.p2align	6, 0x0
	.amdhsa_kernel _ZN7rocprim17ROCPRIM_400000_NS6detail17trampoline_kernelINS0_14default_configENS1_36segmented_radix_sort_config_selectorIflEEZNS1_25segmented_radix_sort_implIS3_Lb0EPKfPfPKlPlN2at6native12_GLOBAL__N_18offset_tEEE10hipError_tPvRmT1_PNSt15iterator_traitsISK_E10value_typeET2_T3_PNSL_ISQ_E10value_typeET4_jRbjT5_SW_jjP12ihipStream_tbEUlT_E2_NS1_11comp_targetILNS1_3genE5ELNS1_11target_archE942ELNS1_3gpuE9ELNS1_3repE0EEENS1_30default_config_static_selectorELNS0_4arch9wavefront6targetE0EEEvSK_
		.amdhsa_group_segment_fixed_size 0
		.amdhsa_private_segment_fixed_size 0
		.amdhsa_kernarg_size 80
		.amdhsa_user_sgpr_count 15
		.amdhsa_user_sgpr_dispatch_ptr 0
		.amdhsa_user_sgpr_queue_ptr 0
		.amdhsa_user_sgpr_kernarg_segment_ptr 1
		.amdhsa_user_sgpr_dispatch_id 0
		.amdhsa_user_sgpr_private_segment_size 0
		.amdhsa_wavefront_size32 1
		.amdhsa_uses_dynamic_stack 0
		.amdhsa_enable_private_segment 0
		.amdhsa_system_sgpr_workgroup_id_x 1
		.amdhsa_system_sgpr_workgroup_id_y 0
		.amdhsa_system_sgpr_workgroup_id_z 0
		.amdhsa_system_sgpr_workgroup_info 0
		.amdhsa_system_vgpr_workitem_id 0
		.amdhsa_next_free_vgpr 1
		.amdhsa_next_free_sgpr 1
		.amdhsa_reserve_vcc 0
		.amdhsa_float_round_mode_32 0
		.amdhsa_float_round_mode_16_64 0
		.amdhsa_float_denorm_mode_32 3
		.amdhsa_float_denorm_mode_16_64 3
		.amdhsa_dx10_clamp 1
		.amdhsa_ieee_mode 1
		.amdhsa_fp16_overflow 0
		.amdhsa_workgroup_processor_mode 1
		.amdhsa_memory_ordered 1
		.amdhsa_forward_progress 0
		.amdhsa_shared_vgpr_count 0
		.amdhsa_exception_fp_ieee_invalid_op 0
		.amdhsa_exception_fp_denorm_src 0
		.amdhsa_exception_fp_ieee_div_zero 0
		.amdhsa_exception_fp_ieee_overflow 0
		.amdhsa_exception_fp_ieee_underflow 0
		.amdhsa_exception_fp_ieee_inexact 0
		.amdhsa_exception_int_div_zero 0
	.end_amdhsa_kernel
	.section	.text._ZN7rocprim17ROCPRIM_400000_NS6detail17trampoline_kernelINS0_14default_configENS1_36segmented_radix_sort_config_selectorIflEEZNS1_25segmented_radix_sort_implIS3_Lb0EPKfPfPKlPlN2at6native12_GLOBAL__N_18offset_tEEE10hipError_tPvRmT1_PNSt15iterator_traitsISK_E10value_typeET2_T3_PNSL_ISQ_E10value_typeET4_jRbjT5_SW_jjP12ihipStream_tbEUlT_E2_NS1_11comp_targetILNS1_3genE5ELNS1_11target_archE942ELNS1_3gpuE9ELNS1_3repE0EEENS1_30default_config_static_selectorELNS0_4arch9wavefront6targetE0EEEvSK_,"axG",@progbits,_ZN7rocprim17ROCPRIM_400000_NS6detail17trampoline_kernelINS0_14default_configENS1_36segmented_radix_sort_config_selectorIflEEZNS1_25segmented_radix_sort_implIS3_Lb0EPKfPfPKlPlN2at6native12_GLOBAL__N_18offset_tEEE10hipError_tPvRmT1_PNSt15iterator_traitsISK_E10value_typeET2_T3_PNSL_ISQ_E10value_typeET4_jRbjT5_SW_jjP12ihipStream_tbEUlT_E2_NS1_11comp_targetILNS1_3genE5ELNS1_11target_archE942ELNS1_3gpuE9ELNS1_3repE0EEENS1_30default_config_static_selectorELNS0_4arch9wavefront6targetE0EEEvSK_,comdat
.Lfunc_end1459:
	.size	_ZN7rocprim17ROCPRIM_400000_NS6detail17trampoline_kernelINS0_14default_configENS1_36segmented_radix_sort_config_selectorIflEEZNS1_25segmented_radix_sort_implIS3_Lb0EPKfPfPKlPlN2at6native12_GLOBAL__N_18offset_tEEE10hipError_tPvRmT1_PNSt15iterator_traitsISK_E10value_typeET2_T3_PNSL_ISQ_E10value_typeET4_jRbjT5_SW_jjP12ihipStream_tbEUlT_E2_NS1_11comp_targetILNS1_3genE5ELNS1_11target_archE942ELNS1_3gpuE9ELNS1_3repE0EEENS1_30default_config_static_selectorELNS0_4arch9wavefront6targetE0EEEvSK_, .Lfunc_end1459-_ZN7rocprim17ROCPRIM_400000_NS6detail17trampoline_kernelINS0_14default_configENS1_36segmented_radix_sort_config_selectorIflEEZNS1_25segmented_radix_sort_implIS3_Lb0EPKfPfPKlPlN2at6native12_GLOBAL__N_18offset_tEEE10hipError_tPvRmT1_PNSt15iterator_traitsISK_E10value_typeET2_T3_PNSL_ISQ_E10value_typeET4_jRbjT5_SW_jjP12ihipStream_tbEUlT_E2_NS1_11comp_targetILNS1_3genE5ELNS1_11target_archE942ELNS1_3gpuE9ELNS1_3repE0EEENS1_30default_config_static_selectorELNS0_4arch9wavefront6targetE0EEEvSK_
                                        ; -- End function
	.section	.AMDGPU.csdata,"",@progbits
; Kernel info:
; codeLenInByte = 0
; NumSgprs: 0
; NumVgprs: 0
; ScratchSize: 0
; MemoryBound: 0
; FloatMode: 240
; IeeeMode: 1
; LDSByteSize: 0 bytes/workgroup (compile time only)
; SGPRBlocks: 0
; VGPRBlocks: 0
; NumSGPRsForWavesPerEU: 1
; NumVGPRsForWavesPerEU: 1
; Occupancy: 16
; WaveLimiterHint : 0
; COMPUTE_PGM_RSRC2:SCRATCH_EN: 0
; COMPUTE_PGM_RSRC2:USER_SGPR: 15
; COMPUTE_PGM_RSRC2:TRAP_HANDLER: 0
; COMPUTE_PGM_RSRC2:TGID_X_EN: 1
; COMPUTE_PGM_RSRC2:TGID_Y_EN: 0
; COMPUTE_PGM_RSRC2:TGID_Z_EN: 0
; COMPUTE_PGM_RSRC2:TIDIG_COMP_CNT: 0
	.section	.text._ZN7rocprim17ROCPRIM_400000_NS6detail17trampoline_kernelINS0_14default_configENS1_36segmented_radix_sort_config_selectorIflEEZNS1_25segmented_radix_sort_implIS3_Lb0EPKfPfPKlPlN2at6native12_GLOBAL__N_18offset_tEEE10hipError_tPvRmT1_PNSt15iterator_traitsISK_E10value_typeET2_T3_PNSL_ISQ_E10value_typeET4_jRbjT5_SW_jjP12ihipStream_tbEUlT_E2_NS1_11comp_targetILNS1_3genE4ELNS1_11target_archE910ELNS1_3gpuE8ELNS1_3repE0EEENS1_30default_config_static_selectorELNS0_4arch9wavefront6targetE0EEEvSK_,"axG",@progbits,_ZN7rocprim17ROCPRIM_400000_NS6detail17trampoline_kernelINS0_14default_configENS1_36segmented_radix_sort_config_selectorIflEEZNS1_25segmented_radix_sort_implIS3_Lb0EPKfPfPKlPlN2at6native12_GLOBAL__N_18offset_tEEE10hipError_tPvRmT1_PNSt15iterator_traitsISK_E10value_typeET2_T3_PNSL_ISQ_E10value_typeET4_jRbjT5_SW_jjP12ihipStream_tbEUlT_E2_NS1_11comp_targetILNS1_3genE4ELNS1_11target_archE910ELNS1_3gpuE8ELNS1_3repE0EEENS1_30default_config_static_selectorELNS0_4arch9wavefront6targetE0EEEvSK_,comdat
	.globl	_ZN7rocprim17ROCPRIM_400000_NS6detail17trampoline_kernelINS0_14default_configENS1_36segmented_radix_sort_config_selectorIflEEZNS1_25segmented_radix_sort_implIS3_Lb0EPKfPfPKlPlN2at6native12_GLOBAL__N_18offset_tEEE10hipError_tPvRmT1_PNSt15iterator_traitsISK_E10value_typeET2_T3_PNSL_ISQ_E10value_typeET4_jRbjT5_SW_jjP12ihipStream_tbEUlT_E2_NS1_11comp_targetILNS1_3genE4ELNS1_11target_archE910ELNS1_3gpuE8ELNS1_3repE0EEENS1_30default_config_static_selectorELNS0_4arch9wavefront6targetE0EEEvSK_ ; -- Begin function _ZN7rocprim17ROCPRIM_400000_NS6detail17trampoline_kernelINS0_14default_configENS1_36segmented_radix_sort_config_selectorIflEEZNS1_25segmented_radix_sort_implIS3_Lb0EPKfPfPKlPlN2at6native12_GLOBAL__N_18offset_tEEE10hipError_tPvRmT1_PNSt15iterator_traitsISK_E10value_typeET2_T3_PNSL_ISQ_E10value_typeET4_jRbjT5_SW_jjP12ihipStream_tbEUlT_E2_NS1_11comp_targetILNS1_3genE4ELNS1_11target_archE910ELNS1_3gpuE8ELNS1_3repE0EEENS1_30default_config_static_selectorELNS0_4arch9wavefront6targetE0EEEvSK_
	.p2align	8
	.type	_ZN7rocprim17ROCPRIM_400000_NS6detail17trampoline_kernelINS0_14default_configENS1_36segmented_radix_sort_config_selectorIflEEZNS1_25segmented_radix_sort_implIS3_Lb0EPKfPfPKlPlN2at6native12_GLOBAL__N_18offset_tEEE10hipError_tPvRmT1_PNSt15iterator_traitsISK_E10value_typeET2_T3_PNSL_ISQ_E10value_typeET4_jRbjT5_SW_jjP12ihipStream_tbEUlT_E2_NS1_11comp_targetILNS1_3genE4ELNS1_11target_archE910ELNS1_3gpuE8ELNS1_3repE0EEENS1_30default_config_static_selectorELNS0_4arch9wavefront6targetE0EEEvSK_,@function
_ZN7rocprim17ROCPRIM_400000_NS6detail17trampoline_kernelINS0_14default_configENS1_36segmented_radix_sort_config_selectorIflEEZNS1_25segmented_radix_sort_implIS3_Lb0EPKfPfPKlPlN2at6native12_GLOBAL__N_18offset_tEEE10hipError_tPvRmT1_PNSt15iterator_traitsISK_E10value_typeET2_T3_PNSL_ISQ_E10value_typeET4_jRbjT5_SW_jjP12ihipStream_tbEUlT_E2_NS1_11comp_targetILNS1_3genE4ELNS1_11target_archE910ELNS1_3gpuE8ELNS1_3repE0EEENS1_30default_config_static_selectorELNS0_4arch9wavefront6targetE0EEEvSK_: ; @_ZN7rocprim17ROCPRIM_400000_NS6detail17trampoline_kernelINS0_14default_configENS1_36segmented_radix_sort_config_selectorIflEEZNS1_25segmented_radix_sort_implIS3_Lb0EPKfPfPKlPlN2at6native12_GLOBAL__N_18offset_tEEE10hipError_tPvRmT1_PNSt15iterator_traitsISK_E10value_typeET2_T3_PNSL_ISQ_E10value_typeET4_jRbjT5_SW_jjP12ihipStream_tbEUlT_E2_NS1_11comp_targetILNS1_3genE4ELNS1_11target_archE910ELNS1_3gpuE8ELNS1_3repE0EEENS1_30default_config_static_selectorELNS0_4arch9wavefront6targetE0EEEvSK_
; %bb.0:
	.section	.rodata,"a",@progbits
	.p2align	6, 0x0
	.amdhsa_kernel _ZN7rocprim17ROCPRIM_400000_NS6detail17trampoline_kernelINS0_14default_configENS1_36segmented_radix_sort_config_selectorIflEEZNS1_25segmented_radix_sort_implIS3_Lb0EPKfPfPKlPlN2at6native12_GLOBAL__N_18offset_tEEE10hipError_tPvRmT1_PNSt15iterator_traitsISK_E10value_typeET2_T3_PNSL_ISQ_E10value_typeET4_jRbjT5_SW_jjP12ihipStream_tbEUlT_E2_NS1_11comp_targetILNS1_3genE4ELNS1_11target_archE910ELNS1_3gpuE8ELNS1_3repE0EEENS1_30default_config_static_selectorELNS0_4arch9wavefront6targetE0EEEvSK_
		.amdhsa_group_segment_fixed_size 0
		.amdhsa_private_segment_fixed_size 0
		.amdhsa_kernarg_size 80
		.amdhsa_user_sgpr_count 15
		.amdhsa_user_sgpr_dispatch_ptr 0
		.amdhsa_user_sgpr_queue_ptr 0
		.amdhsa_user_sgpr_kernarg_segment_ptr 1
		.amdhsa_user_sgpr_dispatch_id 0
		.amdhsa_user_sgpr_private_segment_size 0
		.amdhsa_wavefront_size32 1
		.amdhsa_uses_dynamic_stack 0
		.amdhsa_enable_private_segment 0
		.amdhsa_system_sgpr_workgroup_id_x 1
		.amdhsa_system_sgpr_workgroup_id_y 0
		.amdhsa_system_sgpr_workgroup_id_z 0
		.amdhsa_system_sgpr_workgroup_info 0
		.amdhsa_system_vgpr_workitem_id 0
		.amdhsa_next_free_vgpr 1
		.amdhsa_next_free_sgpr 1
		.amdhsa_reserve_vcc 0
		.amdhsa_float_round_mode_32 0
		.amdhsa_float_round_mode_16_64 0
		.amdhsa_float_denorm_mode_32 3
		.amdhsa_float_denorm_mode_16_64 3
		.amdhsa_dx10_clamp 1
		.amdhsa_ieee_mode 1
		.amdhsa_fp16_overflow 0
		.amdhsa_workgroup_processor_mode 1
		.amdhsa_memory_ordered 1
		.amdhsa_forward_progress 0
		.amdhsa_shared_vgpr_count 0
		.amdhsa_exception_fp_ieee_invalid_op 0
		.amdhsa_exception_fp_denorm_src 0
		.amdhsa_exception_fp_ieee_div_zero 0
		.amdhsa_exception_fp_ieee_overflow 0
		.amdhsa_exception_fp_ieee_underflow 0
		.amdhsa_exception_fp_ieee_inexact 0
		.amdhsa_exception_int_div_zero 0
	.end_amdhsa_kernel
	.section	.text._ZN7rocprim17ROCPRIM_400000_NS6detail17trampoline_kernelINS0_14default_configENS1_36segmented_radix_sort_config_selectorIflEEZNS1_25segmented_radix_sort_implIS3_Lb0EPKfPfPKlPlN2at6native12_GLOBAL__N_18offset_tEEE10hipError_tPvRmT1_PNSt15iterator_traitsISK_E10value_typeET2_T3_PNSL_ISQ_E10value_typeET4_jRbjT5_SW_jjP12ihipStream_tbEUlT_E2_NS1_11comp_targetILNS1_3genE4ELNS1_11target_archE910ELNS1_3gpuE8ELNS1_3repE0EEENS1_30default_config_static_selectorELNS0_4arch9wavefront6targetE0EEEvSK_,"axG",@progbits,_ZN7rocprim17ROCPRIM_400000_NS6detail17trampoline_kernelINS0_14default_configENS1_36segmented_radix_sort_config_selectorIflEEZNS1_25segmented_radix_sort_implIS3_Lb0EPKfPfPKlPlN2at6native12_GLOBAL__N_18offset_tEEE10hipError_tPvRmT1_PNSt15iterator_traitsISK_E10value_typeET2_T3_PNSL_ISQ_E10value_typeET4_jRbjT5_SW_jjP12ihipStream_tbEUlT_E2_NS1_11comp_targetILNS1_3genE4ELNS1_11target_archE910ELNS1_3gpuE8ELNS1_3repE0EEENS1_30default_config_static_selectorELNS0_4arch9wavefront6targetE0EEEvSK_,comdat
.Lfunc_end1460:
	.size	_ZN7rocprim17ROCPRIM_400000_NS6detail17trampoline_kernelINS0_14default_configENS1_36segmented_radix_sort_config_selectorIflEEZNS1_25segmented_radix_sort_implIS3_Lb0EPKfPfPKlPlN2at6native12_GLOBAL__N_18offset_tEEE10hipError_tPvRmT1_PNSt15iterator_traitsISK_E10value_typeET2_T3_PNSL_ISQ_E10value_typeET4_jRbjT5_SW_jjP12ihipStream_tbEUlT_E2_NS1_11comp_targetILNS1_3genE4ELNS1_11target_archE910ELNS1_3gpuE8ELNS1_3repE0EEENS1_30default_config_static_selectorELNS0_4arch9wavefront6targetE0EEEvSK_, .Lfunc_end1460-_ZN7rocprim17ROCPRIM_400000_NS6detail17trampoline_kernelINS0_14default_configENS1_36segmented_radix_sort_config_selectorIflEEZNS1_25segmented_radix_sort_implIS3_Lb0EPKfPfPKlPlN2at6native12_GLOBAL__N_18offset_tEEE10hipError_tPvRmT1_PNSt15iterator_traitsISK_E10value_typeET2_T3_PNSL_ISQ_E10value_typeET4_jRbjT5_SW_jjP12ihipStream_tbEUlT_E2_NS1_11comp_targetILNS1_3genE4ELNS1_11target_archE910ELNS1_3gpuE8ELNS1_3repE0EEENS1_30default_config_static_selectorELNS0_4arch9wavefront6targetE0EEEvSK_
                                        ; -- End function
	.section	.AMDGPU.csdata,"",@progbits
; Kernel info:
; codeLenInByte = 0
; NumSgprs: 0
; NumVgprs: 0
; ScratchSize: 0
; MemoryBound: 0
; FloatMode: 240
; IeeeMode: 1
; LDSByteSize: 0 bytes/workgroup (compile time only)
; SGPRBlocks: 0
; VGPRBlocks: 0
; NumSGPRsForWavesPerEU: 1
; NumVGPRsForWavesPerEU: 1
; Occupancy: 16
; WaveLimiterHint : 0
; COMPUTE_PGM_RSRC2:SCRATCH_EN: 0
; COMPUTE_PGM_RSRC2:USER_SGPR: 15
; COMPUTE_PGM_RSRC2:TRAP_HANDLER: 0
; COMPUTE_PGM_RSRC2:TGID_X_EN: 1
; COMPUTE_PGM_RSRC2:TGID_Y_EN: 0
; COMPUTE_PGM_RSRC2:TGID_Z_EN: 0
; COMPUTE_PGM_RSRC2:TIDIG_COMP_CNT: 0
	.section	.text._ZN7rocprim17ROCPRIM_400000_NS6detail17trampoline_kernelINS0_14default_configENS1_36segmented_radix_sort_config_selectorIflEEZNS1_25segmented_radix_sort_implIS3_Lb0EPKfPfPKlPlN2at6native12_GLOBAL__N_18offset_tEEE10hipError_tPvRmT1_PNSt15iterator_traitsISK_E10value_typeET2_T3_PNSL_ISQ_E10value_typeET4_jRbjT5_SW_jjP12ihipStream_tbEUlT_E2_NS1_11comp_targetILNS1_3genE3ELNS1_11target_archE908ELNS1_3gpuE7ELNS1_3repE0EEENS1_30default_config_static_selectorELNS0_4arch9wavefront6targetE0EEEvSK_,"axG",@progbits,_ZN7rocprim17ROCPRIM_400000_NS6detail17trampoline_kernelINS0_14default_configENS1_36segmented_radix_sort_config_selectorIflEEZNS1_25segmented_radix_sort_implIS3_Lb0EPKfPfPKlPlN2at6native12_GLOBAL__N_18offset_tEEE10hipError_tPvRmT1_PNSt15iterator_traitsISK_E10value_typeET2_T3_PNSL_ISQ_E10value_typeET4_jRbjT5_SW_jjP12ihipStream_tbEUlT_E2_NS1_11comp_targetILNS1_3genE3ELNS1_11target_archE908ELNS1_3gpuE7ELNS1_3repE0EEENS1_30default_config_static_selectorELNS0_4arch9wavefront6targetE0EEEvSK_,comdat
	.globl	_ZN7rocprim17ROCPRIM_400000_NS6detail17trampoline_kernelINS0_14default_configENS1_36segmented_radix_sort_config_selectorIflEEZNS1_25segmented_radix_sort_implIS3_Lb0EPKfPfPKlPlN2at6native12_GLOBAL__N_18offset_tEEE10hipError_tPvRmT1_PNSt15iterator_traitsISK_E10value_typeET2_T3_PNSL_ISQ_E10value_typeET4_jRbjT5_SW_jjP12ihipStream_tbEUlT_E2_NS1_11comp_targetILNS1_3genE3ELNS1_11target_archE908ELNS1_3gpuE7ELNS1_3repE0EEENS1_30default_config_static_selectorELNS0_4arch9wavefront6targetE0EEEvSK_ ; -- Begin function _ZN7rocprim17ROCPRIM_400000_NS6detail17trampoline_kernelINS0_14default_configENS1_36segmented_radix_sort_config_selectorIflEEZNS1_25segmented_radix_sort_implIS3_Lb0EPKfPfPKlPlN2at6native12_GLOBAL__N_18offset_tEEE10hipError_tPvRmT1_PNSt15iterator_traitsISK_E10value_typeET2_T3_PNSL_ISQ_E10value_typeET4_jRbjT5_SW_jjP12ihipStream_tbEUlT_E2_NS1_11comp_targetILNS1_3genE3ELNS1_11target_archE908ELNS1_3gpuE7ELNS1_3repE0EEENS1_30default_config_static_selectorELNS0_4arch9wavefront6targetE0EEEvSK_
	.p2align	8
	.type	_ZN7rocprim17ROCPRIM_400000_NS6detail17trampoline_kernelINS0_14default_configENS1_36segmented_radix_sort_config_selectorIflEEZNS1_25segmented_radix_sort_implIS3_Lb0EPKfPfPKlPlN2at6native12_GLOBAL__N_18offset_tEEE10hipError_tPvRmT1_PNSt15iterator_traitsISK_E10value_typeET2_T3_PNSL_ISQ_E10value_typeET4_jRbjT5_SW_jjP12ihipStream_tbEUlT_E2_NS1_11comp_targetILNS1_3genE3ELNS1_11target_archE908ELNS1_3gpuE7ELNS1_3repE0EEENS1_30default_config_static_selectorELNS0_4arch9wavefront6targetE0EEEvSK_,@function
_ZN7rocprim17ROCPRIM_400000_NS6detail17trampoline_kernelINS0_14default_configENS1_36segmented_radix_sort_config_selectorIflEEZNS1_25segmented_radix_sort_implIS3_Lb0EPKfPfPKlPlN2at6native12_GLOBAL__N_18offset_tEEE10hipError_tPvRmT1_PNSt15iterator_traitsISK_E10value_typeET2_T3_PNSL_ISQ_E10value_typeET4_jRbjT5_SW_jjP12ihipStream_tbEUlT_E2_NS1_11comp_targetILNS1_3genE3ELNS1_11target_archE908ELNS1_3gpuE7ELNS1_3repE0EEENS1_30default_config_static_selectorELNS0_4arch9wavefront6targetE0EEEvSK_: ; @_ZN7rocprim17ROCPRIM_400000_NS6detail17trampoline_kernelINS0_14default_configENS1_36segmented_radix_sort_config_selectorIflEEZNS1_25segmented_radix_sort_implIS3_Lb0EPKfPfPKlPlN2at6native12_GLOBAL__N_18offset_tEEE10hipError_tPvRmT1_PNSt15iterator_traitsISK_E10value_typeET2_T3_PNSL_ISQ_E10value_typeET4_jRbjT5_SW_jjP12ihipStream_tbEUlT_E2_NS1_11comp_targetILNS1_3genE3ELNS1_11target_archE908ELNS1_3gpuE7ELNS1_3repE0EEENS1_30default_config_static_selectorELNS0_4arch9wavefront6targetE0EEEvSK_
; %bb.0:
	.section	.rodata,"a",@progbits
	.p2align	6, 0x0
	.amdhsa_kernel _ZN7rocprim17ROCPRIM_400000_NS6detail17trampoline_kernelINS0_14default_configENS1_36segmented_radix_sort_config_selectorIflEEZNS1_25segmented_radix_sort_implIS3_Lb0EPKfPfPKlPlN2at6native12_GLOBAL__N_18offset_tEEE10hipError_tPvRmT1_PNSt15iterator_traitsISK_E10value_typeET2_T3_PNSL_ISQ_E10value_typeET4_jRbjT5_SW_jjP12ihipStream_tbEUlT_E2_NS1_11comp_targetILNS1_3genE3ELNS1_11target_archE908ELNS1_3gpuE7ELNS1_3repE0EEENS1_30default_config_static_selectorELNS0_4arch9wavefront6targetE0EEEvSK_
		.amdhsa_group_segment_fixed_size 0
		.amdhsa_private_segment_fixed_size 0
		.amdhsa_kernarg_size 80
		.amdhsa_user_sgpr_count 15
		.amdhsa_user_sgpr_dispatch_ptr 0
		.amdhsa_user_sgpr_queue_ptr 0
		.amdhsa_user_sgpr_kernarg_segment_ptr 1
		.amdhsa_user_sgpr_dispatch_id 0
		.amdhsa_user_sgpr_private_segment_size 0
		.amdhsa_wavefront_size32 1
		.amdhsa_uses_dynamic_stack 0
		.amdhsa_enable_private_segment 0
		.amdhsa_system_sgpr_workgroup_id_x 1
		.amdhsa_system_sgpr_workgroup_id_y 0
		.amdhsa_system_sgpr_workgroup_id_z 0
		.amdhsa_system_sgpr_workgroup_info 0
		.amdhsa_system_vgpr_workitem_id 0
		.amdhsa_next_free_vgpr 1
		.amdhsa_next_free_sgpr 1
		.amdhsa_reserve_vcc 0
		.amdhsa_float_round_mode_32 0
		.amdhsa_float_round_mode_16_64 0
		.amdhsa_float_denorm_mode_32 3
		.amdhsa_float_denorm_mode_16_64 3
		.amdhsa_dx10_clamp 1
		.amdhsa_ieee_mode 1
		.amdhsa_fp16_overflow 0
		.amdhsa_workgroup_processor_mode 1
		.amdhsa_memory_ordered 1
		.amdhsa_forward_progress 0
		.amdhsa_shared_vgpr_count 0
		.amdhsa_exception_fp_ieee_invalid_op 0
		.amdhsa_exception_fp_denorm_src 0
		.amdhsa_exception_fp_ieee_div_zero 0
		.amdhsa_exception_fp_ieee_overflow 0
		.amdhsa_exception_fp_ieee_underflow 0
		.amdhsa_exception_fp_ieee_inexact 0
		.amdhsa_exception_int_div_zero 0
	.end_amdhsa_kernel
	.section	.text._ZN7rocprim17ROCPRIM_400000_NS6detail17trampoline_kernelINS0_14default_configENS1_36segmented_radix_sort_config_selectorIflEEZNS1_25segmented_radix_sort_implIS3_Lb0EPKfPfPKlPlN2at6native12_GLOBAL__N_18offset_tEEE10hipError_tPvRmT1_PNSt15iterator_traitsISK_E10value_typeET2_T3_PNSL_ISQ_E10value_typeET4_jRbjT5_SW_jjP12ihipStream_tbEUlT_E2_NS1_11comp_targetILNS1_3genE3ELNS1_11target_archE908ELNS1_3gpuE7ELNS1_3repE0EEENS1_30default_config_static_selectorELNS0_4arch9wavefront6targetE0EEEvSK_,"axG",@progbits,_ZN7rocprim17ROCPRIM_400000_NS6detail17trampoline_kernelINS0_14default_configENS1_36segmented_radix_sort_config_selectorIflEEZNS1_25segmented_radix_sort_implIS3_Lb0EPKfPfPKlPlN2at6native12_GLOBAL__N_18offset_tEEE10hipError_tPvRmT1_PNSt15iterator_traitsISK_E10value_typeET2_T3_PNSL_ISQ_E10value_typeET4_jRbjT5_SW_jjP12ihipStream_tbEUlT_E2_NS1_11comp_targetILNS1_3genE3ELNS1_11target_archE908ELNS1_3gpuE7ELNS1_3repE0EEENS1_30default_config_static_selectorELNS0_4arch9wavefront6targetE0EEEvSK_,comdat
.Lfunc_end1461:
	.size	_ZN7rocprim17ROCPRIM_400000_NS6detail17trampoline_kernelINS0_14default_configENS1_36segmented_radix_sort_config_selectorIflEEZNS1_25segmented_radix_sort_implIS3_Lb0EPKfPfPKlPlN2at6native12_GLOBAL__N_18offset_tEEE10hipError_tPvRmT1_PNSt15iterator_traitsISK_E10value_typeET2_T3_PNSL_ISQ_E10value_typeET4_jRbjT5_SW_jjP12ihipStream_tbEUlT_E2_NS1_11comp_targetILNS1_3genE3ELNS1_11target_archE908ELNS1_3gpuE7ELNS1_3repE0EEENS1_30default_config_static_selectorELNS0_4arch9wavefront6targetE0EEEvSK_, .Lfunc_end1461-_ZN7rocprim17ROCPRIM_400000_NS6detail17trampoline_kernelINS0_14default_configENS1_36segmented_radix_sort_config_selectorIflEEZNS1_25segmented_radix_sort_implIS3_Lb0EPKfPfPKlPlN2at6native12_GLOBAL__N_18offset_tEEE10hipError_tPvRmT1_PNSt15iterator_traitsISK_E10value_typeET2_T3_PNSL_ISQ_E10value_typeET4_jRbjT5_SW_jjP12ihipStream_tbEUlT_E2_NS1_11comp_targetILNS1_3genE3ELNS1_11target_archE908ELNS1_3gpuE7ELNS1_3repE0EEENS1_30default_config_static_selectorELNS0_4arch9wavefront6targetE0EEEvSK_
                                        ; -- End function
	.section	.AMDGPU.csdata,"",@progbits
; Kernel info:
; codeLenInByte = 0
; NumSgprs: 0
; NumVgprs: 0
; ScratchSize: 0
; MemoryBound: 0
; FloatMode: 240
; IeeeMode: 1
; LDSByteSize: 0 bytes/workgroup (compile time only)
; SGPRBlocks: 0
; VGPRBlocks: 0
; NumSGPRsForWavesPerEU: 1
; NumVGPRsForWavesPerEU: 1
; Occupancy: 16
; WaveLimiterHint : 0
; COMPUTE_PGM_RSRC2:SCRATCH_EN: 0
; COMPUTE_PGM_RSRC2:USER_SGPR: 15
; COMPUTE_PGM_RSRC2:TRAP_HANDLER: 0
; COMPUTE_PGM_RSRC2:TGID_X_EN: 1
; COMPUTE_PGM_RSRC2:TGID_Y_EN: 0
; COMPUTE_PGM_RSRC2:TGID_Z_EN: 0
; COMPUTE_PGM_RSRC2:TIDIG_COMP_CNT: 0
	.section	.text._ZN7rocprim17ROCPRIM_400000_NS6detail17trampoline_kernelINS0_14default_configENS1_36segmented_radix_sort_config_selectorIflEEZNS1_25segmented_radix_sort_implIS3_Lb0EPKfPfPKlPlN2at6native12_GLOBAL__N_18offset_tEEE10hipError_tPvRmT1_PNSt15iterator_traitsISK_E10value_typeET2_T3_PNSL_ISQ_E10value_typeET4_jRbjT5_SW_jjP12ihipStream_tbEUlT_E2_NS1_11comp_targetILNS1_3genE2ELNS1_11target_archE906ELNS1_3gpuE6ELNS1_3repE0EEENS1_30default_config_static_selectorELNS0_4arch9wavefront6targetE0EEEvSK_,"axG",@progbits,_ZN7rocprim17ROCPRIM_400000_NS6detail17trampoline_kernelINS0_14default_configENS1_36segmented_radix_sort_config_selectorIflEEZNS1_25segmented_radix_sort_implIS3_Lb0EPKfPfPKlPlN2at6native12_GLOBAL__N_18offset_tEEE10hipError_tPvRmT1_PNSt15iterator_traitsISK_E10value_typeET2_T3_PNSL_ISQ_E10value_typeET4_jRbjT5_SW_jjP12ihipStream_tbEUlT_E2_NS1_11comp_targetILNS1_3genE2ELNS1_11target_archE906ELNS1_3gpuE6ELNS1_3repE0EEENS1_30default_config_static_selectorELNS0_4arch9wavefront6targetE0EEEvSK_,comdat
	.globl	_ZN7rocprim17ROCPRIM_400000_NS6detail17trampoline_kernelINS0_14default_configENS1_36segmented_radix_sort_config_selectorIflEEZNS1_25segmented_radix_sort_implIS3_Lb0EPKfPfPKlPlN2at6native12_GLOBAL__N_18offset_tEEE10hipError_tPvRmT1_PNSt15iterator_traitsISK_E10value_typeET2_T3_PNSL_ISQ_E10value_typeET4_jRbjT5_SW_jjP12ihipStream_tbEUlT_E2_NS1_11comp_targetILNS1_3genE2ELNS1_11target_archE906ELNS1_3gpuE6ELNS1_3repE0EEENS1_30default_config_static_selectorELNS0_4arch9wavefront6targetE0EEEvSK_ ; -- Begin function _ZN7rocprim17ROCPRIM_400000_NS6detail17trampoline_kernelINS0_14default_configENS1_36segmented_radix_sort_config_selectorIflEEZNS1_25segmented_radix_sort_implIS3_Lb0EPKfPfPKlPlN2at6native12_GLOBAL__N_18offset_tEEE10hipError_tPvRmT1_PNSt15iterator_traitsISK_E10value_typeET2_T3_PNSL_ISQ_E10value_typeET4_jRbjT5_SW_jjP12ihipStream_tbEUlT_E2_NS1_11comp_targetILNS1_3genE2ELNS1_11target_archE906ELNS1_3gpuE6ELNS1_3repE0EEENS1_30default_config_static_selectorELNS0_4arch9wavefront6targetE0EEEvSK_
	.p2align	8
	.type	_ZN7rocprim17ROCPRIM_400000_NS6detail17trampoline_kernelINS0_14default_configENS1_36segmented_radix_sort_config_selectorIflEEZNS1_25segmented_radix_sort_implIS3_Lb0EPKfPfPKlPlN2at6native12_GLOBAL__N_18offset_tEEE10hipError_tPvRmT1_PNSt15iterator_traitsISK_E10value_typeET2_T3_PNSL_ISQ_E10value_typeET4_jRbjT5_SW_jjP12ihipStream_tbEUlT_E2_NS1_11comp_targetILNS1_3genE2ELNS1_11target_archE906ELNS1_3gpuE6ELNS1_3repE0EEENS1_30default_config_static_selectorELNS0_4arch9wavefront6targetE0EEEvSK_,@function
_ZN7rocprim17ROCPRIM_400000_NS6detail17trampoline_kernelINS0_14default_configENS1_36segmented_radix_sort_config_selectorIflEEZNS1_25segmented_radix_sort_implIS3_Lb0EPKfPfPKlPlN2at6native12_GLOBAL__N_18offset_tEEE10hipError_tPvRmT1_PNSt15iterator_traitsISK_E10value_typeET2_T3_PNSL_ISQ_E10value_typeET4_jRbjT5_SW_jjP12ihipStream_tbEUlT_E2_NS1_11comp_targetILNS1_3genE2ELNS1_11target_archE906ELNS1_3gpuE6ELNS1_3repE0EEENS1_30default_config_static_selectorELNS0_4arch9wavefront6targetE0EEEvSK_: ; @_ZN7rocprim17ROCPRIM_400000_NS6detail17trampoline_kernelINS0_14default_configENS1_36segmented_radix_sort_config_selectorIflEEZNS1_25segmented_radix_sort_implIS3_Lb0EPKfPfPKlPlN2at6native12_GLOBAL__N_18offset_tEEE10hipError_tPvRmT1_PNSt15iterator_traitsISK_E10value_typeET2_T3_PNSL_ISQ_E10value_typeET4_jRbjT5_SW_jjP12ihipStream_tbEUlT_E2_NS1_11comp_targetILNS1_3genE2ELNS1_11target_archE906ELNS1_3gpuE6ELNS1_3repE0EEENS1_30default_config_static_selectorELNS0_4arch9wavefront6targetE0EEEvSK_
; %bb.0:
	.section	.rodata,"a",@progbits
	.p2align	6, 0x0
	.amdhsa_kernel _ZN7rocprim17ROCPRIM_400000_NS6detail17trampoline_kernelINS0_14default_configENS1_36segmented_radix_sort_config_selectorIflEEZNS1_25segmented_radix_sort_implIS3_Lb0EPKfPfPKlPlN2at6native12_GLOBAL__N_18offset_tEEE10hipError_tPvRmT1_PNSt15iterator_traitsISK_E10value_typeET2_T3_PNSL_ISQ_E10value_typeET4_jRbjT5_SW_jjP12ihipStream_tbEUlT_E2_NS1_11comp_targetILNS1_3genE2ELNS1_11target_archE906ELNS1_3gpuE6ELNS1_3repE0EEENS1_30default_config_static_selectorELNS0_4arch9wavefront6targetE0EEEvSK_
		.amdhsa_group_segment_fixed_size 0
		.amdhsa_private_segment_fixed_size 0
		.amdhsa_kernarg_size 80
		.amdhsa_user_sgpr_count 15
		.amdhsa_user_sgpr_dispatch_ptr 0
		.amdhsa_user_sgpr_queue_ptr 0
		.amdhsa_user_sgpr_kernarg_segment_ptr 1
		.amdhsa_user_sgpr_dispatch_id 0
		.amdhsa_user_sgpr_private_segment_size 0
		.amdhsa_wavefront_size32 1
		.amdhsa_uses_dynamic_stack 0
		.amdhsa_enable_private_segment 0
		.amdhsa_system_sgpr_workgroup_id_x 1
		.amdhsa_system_sgpr_workgroup_id_y 0
		.amdhsa_system_sgpr_workgroup_id_z 0
		.amdhsa_system_sgpr_workgroup_info 0
		.amdhsa_system_vgpr_workitem_id 0
		.amdhsa_next_free_vgpr 1
		.amdhsa_next_free_sgpr 1
		.amdhsa_reserve_vcc 0
		.amdhsa_float_round_mode_32 0
		.amdhsa_float_round_mode_16_64 0
		.amdhsa_float_denorm_mode_32 3
		.amdhsa_float_denorm_mode_16_64 3
		.amdhsa_dx10_clamp 1
		.amdhsa_ieee_mode 1
		.amdhsa_fp16_overflow 0
		.amdhsa_workgroup_processor_mode 1
		.amdhsa_memory_ordered 1
		.amdhsa_forward_progress 0
		.amdhsa_shared_vgpr_count 0
		.amdhsa_exception_fp_ieee_invalid_op 0
		.amdhsa_exception_fp_denorm_src 0
		.amdhsa_exception_fp_ieee_div_zero 0
		.amdhsa_exception_fp_ieee_overflow 0
		.amdhsa_exception_fp_ieee_underflow 0
		.amdhsa_exception_fp_ieee_inexact 0
		.amdhsa_exception_int_div_zero 0
	.end_amdhsa_kernel
	.section	.text._ZN7rocprim17ROCPRIM_400000_NS6detail17trampoline_kernelINS0_14default_configENS1_36segmented_radix_sort_config_selectorIflEEZNS1_25segmented_radix_sort_implIS3_Lb0EPKfPfPKlPlN2at6native12_GLOBAL__N_18offset_tEEE10hipError_tPvRmT1_PNSt15iterator_traitsISK_E10value_typeET2_T3_PNSL_ISQ_E10value_typeET4_jRbjT5_SW_jjP12ihipStream_tbEUlT_E2_NS1_11comp_targetILNS1_3genE2ELNS1_11target_archE906ELNS1_3gpuE6ELNS1_3repE0EEENS1_30default_config_static_selectorELNS0_4arch9wavefront6targetE0EEEvSK_,"axG",@progbits,_ZN7rocprim17ROCPRIM_400000_NS6detail17trampoline_kernelINS0_14default_configENS1_36segmented_radix_sort_config_selectorIflEEZNS1_25segmented_radix_sort_implIS3_Lb0EPKfPfPKlPlN2at6native12_GLOBAL__N_18offset_tEEE10hipError_tPvRmT1_PNSt15iterator_traitsISK_E10value_typeET2_T3_PNSL_ISQ_E10value_typeET4_jRbjT5_SW_jjP12ihipStream_tbEUlT_E2_NS1_11comp_targetILNS1_3genE2ELNS1_11target_archE906ELNS1_3gpuE6ELNS1_3repE0EEENS1_30default_config_static_selectorELNS0_4arch9wavefront6targetE0EEEvSK_,comdat
.Lfunc_end1462:
	.size	_ZN7rocprim17ROCPRIM_400000_NS6detail17trampoline_kernelINS0_14default_configENS1_36segmented_radix_sort_config_selectorIflEEZNS1_25segmented_radix_sort_implIS3_Lb0EPKfPfPKlPlN2at6native12_GLOBAL__N_18offset_tEEE10hipError_tPvRmT1_PNSt15iterator_traitsISK_E10value_typeET2_T3_PNSL_ISQ_E10value_typeET4_jRbjT5_SW_jjP12ihipStream_tbEUlT_E2_NS1_11comp_targetILNS1_3genE2ELNS1_11target_archE906ELNS1_3gpuE6ELNS1_3repE0EEENS1_30default_config_static_selectorELNS0_4arch9wavefront6targetE0EEEvSK_, .Lfunc_end1462-_ZN7rocprim17ROCPRIM_400000_NS6detail17trampoline_kernelINS0_14default_configENS1_36segmented_radix_sort_config_selectorIflEEZNS1_25segmented_radix_sort_implIS3_Lb0EPKfPfPKlPlN2at6native12_GLOBAL__N_18offset_tEEE10hipError_tPvRmT1_PNSt15iterator_traitsISK_E10value_typeET2_T3_PNSL_ISQ_E10value_typeET4_jRbjT5_SW_jjP12ihipStream_tbEUlT_E2_NS1_11comp_targetILNS1_3genE2ELNS1_11target_archE906ELNS1_3gpuE6ELNS1_3repE0EEENS1_30default_config_static_selectorELNS0_4arch9wavefront6targetE0EEEvSK_
                                        ; -- End function
	.section	.AMDGPU.csdata,"",@progbits
; Kernel info:
; codeLenInByte = 0
; NumSgprs: 0
; NumVgprs: 0
; ScratchSize: 0
; MemoryBound: 0
; FloatMode: 240
; IeeeMode: 1
; LDSByteSize: 0 bytes/workgroup (compile time only)
; SGPRBlocks: 0
; VGPRBlocks: 0
; NumSGPRsForWavesPerEU: 1
; NumVGPRsForWavesPerEU: 1
; Occupancy: 16
; WaveLimiterHint : 0
; COMPUTE_PGM_RSRC2:SCRATCH_EN: 0
; COMPUTE_PGM_RSRC2:USER_SGPR: 15
; COMPUTE_PGM_RSRC2:TRAP_HANDLER: 0
; COMPUTE_PGM_RSRC2:TGID_X_EN: 1
; COMPUTE_PGM_RSRC2:TGID_Y_EN: 0
; COMPUTE_PGM_RSRC2:TGID_Z_EN: 0
; COMPUTE_PGM_RSRC2:TIDIG_COMP_CNT: 0
	.section	.text._ZN7rocprim17ROCPRIM_400000_NS6detail17trampoline_kernelINS0_14default_configENS1_36segmented_radix_sort_config_selectorIflEEZNS1_25segmented_radix_sort_implIS3_Lb0EPKfPfPKlPlN2at6native12_GLOBAL__N_18offset_tEEE10hipError_tPvRmT1_PNSt15iterator_traitsISK_E10value_typeET2_T3_PNSL_ISQ_E10value_typeET4_jRbjT5_SW_jjP12ihipStream_tbEUlT_E2_NS1_11comp_targetILNS1_3genE10ELNS1_11target_archE1201ELNS1_3gpuE5ELNS1_3repE0EEENS1_30default_config_static_selectorELNS0_4arch9wavefront6targetE0EEEvSK_,"axG",@progbits,_ZN7rocprim17ROCPRIM_400000_NS6detail17trampoline_kernelINS0_14default_configENS1_36segmented_radix_sort_config_selectorIflEEZNS1_25segmented_radix_sort_implIS3_Lb0EPKfPfPKlPlN2at6native12_GLOBAL__N_18offset_tEEE10hipError_tPvRmT1_PNSt15iterator_traitsISK_E10value_typeET2_T3_PNSL_ISQ_E10value_typeET4_jRbjT5_SW_jjP12ihipStream_tbEUlT_E2_NS1_11comp_targetILNS1_3genE10ELNS1_11target_archE1201ELNS1_3gpuE5ELNS1_3repE0EEENS1_30default_config_static_selectorELNS0_4arch9wavefront6targetE0EEEvSK_,comdat
	.globl	_ZN7rocprim17ROCPRIM_400000_NS6detail17trampoline_kernelINS0_14default_configENS1_36segmented_radix_sort_config_selectorIflEEZNS1_25segmented_radix_sort_implIS3_Lb0EPKfPfPKlPlN2at6native12_GLOBAL__N_18offset_tEEE10hipError_tPvRmT1_PNSt15iterator_traitsISK_E10value_typeET2_T3_PNSL_ISQ_E10value_typeET4_jRbjT5_SW_jjP12ihipStream_tbEUlT_E2_NS1_11comp_targetILNS1_3genE10ELNS1_11target_archE1201ELNS1_3gpuE5ELNS1_3repE0EEENS1_30default_config_static_selectorELNS0_4arch9wavefront6targetE0EEEvSK_ ; -- Begin function _ZN7rocprim17ROCPRIM_400000_NS6detail17trampoline_kernelINS0_14default_configENS1_36segmented_radix_sort_config_selectorIflEEZNS1_25segmented_radix_sort_implIS3_Lb0EPKfPfPKlPlN2at6native12_GLOBAL__N_18offset_tEEE10hipError_tPvRmT1_PNSt15iterator_traitsISK_E10value_typeET2_T3_PNSL_ISQ_E10value_typeET4_jRbjT5_SW_jjP12ihipStream_tbEUlT_E2_NS1_11comp_targetILNS1_3genE10ELNS1_11target_archE1201ELNS1_3gpuE5ELNS1_3repE0EEENS1_30default_config_static_selectorELNS0_4arch9wavefront6targetE0EEEvSK_
	.p2align	8
	.type	_ZN7rocprim17ROCPRIM_400000_NS6detail17trampoline_kernelINS0_14default_configENS1_36segmented_radix_sort_config_selectorIflEEZNS1_25segmented_radix_sort_implIS3_Lb0EPKfPfPKlPlN2at6native12_GLOBAL__N_18offset_tEEE10hipError_tPvRmT1_PNSt15iterator_traitsISK_E10value_typeET2_T3_PNSL_ISQ_E10value_typeET4_jRbjT5_SW_jjP12ihipStream_tbEUlT_E2_NS1_11comp_targetILNS1_3genE10ELNS1_11target_archE1201ELNS1_3gpuE5ELNS1_3repE0EEENS1_30default_config_static_selectorELNS0_4arch9wavefront6targetE0EEEvSK_,@function
_ZN7rocprim17ROCPRIM_400000_NS6detail17trampoline_kernelINS0_14default_configENS1_36segmented_radix_sort_config_selectorIflEEZNS1_25segmented_radix_sort_implIS3_Lb0EPKfPfPKlPlN2at6native12_GLOBAL__N_18offset_tEEE10hipError_tPvRmT1_PNSt15iterator_traitsISK_E10value_typeET2_T3_PNSL_ISQ_E10value_typeET4_jRbjT5_SW_jjP12ihipStream_tbEUlT_E2_NS1_11comp_targetILNS1_3genE10ELNS1_11target_archE1201ELNS1_3gpuE5ELNS1_3repE0EEENS1_30default_config_static_selectorELNS0_4arch9wavefront6targetE0EEEvSK_: ; @_ZN7rocprim17ROCPRIM_400000_NS6detail17trampoline_kernelINS0_14default_configENS1_36segmented_radix_sort_config_selectorIflEEZNS1_25segmented_radix_sort_implIS3_Lb0EPKfPfPKlPlN2at6native12_GLOBAL__N_18offset_tEEE10hipError_tPvRmT1_PNSt15iterator_traitsISK_E10value_typeET2_T3_PNSL_ISQ_E10value_typeET4_jRbjT5_SW_jjP12ihipStream_tbEUlT_E2_NS1_11comp_targetILNS1_3genE10ELNS1_11target_archE1201ELNS1_3gpuE5ELNS1_3repE0EEENS1_30default_config_static_selectorELNS0_4arch9wavefront6targetE0EEEvSK_
; %bb.0:
	.section	.rodata,"a",@progbits
	.p2align	6, 0x0
	.amdhsa_kernel _ZN7rocprim17ROCPRIM_400000_NS6detail17trampoline_kernelINS0_14default_configENS1_36segmented_radix_sort_config_selectorIflEEZNS1_25segmented_radix_sort_implIS3_Lb0EPKfPfPKlPlN2at6native12_GLOBAL__N_18offset_tEEE10hipError_tPvRmT1_PNSt15iterator_traitsISK_E10value_typeET2_T3_PNSL_ISQ_E10value_typeET4_jRbjT5_SW_jjP12ihipStream_tbEUlT_E2_NS1_11comp_targetILNS1_3genE10ELNS1_11target_archE1201ELNS1_3gpuE5ELNS1_3repE0EEENS1_30default_config_static_selectorELNS0_4arch9wavefront6targetE0EEEvSK_
		.amdhsa_group_segment_fixed_size 0
		.amdhsa_private_segment_fixed_size 0
		.amdhsa_kernarg_size 80
		.amdhsa_user_sgpr_count 15
		.amdhsa_user_sgpr_dispatch_ptr 0
		.amdhsa_user_sgpr_queue_ptr 0
		.amdhsa_user_sgpr_kernarg_segment_ptr 1
		.amdhsa_user_sgpr_dispatch_id 0
		.amdhsa_user_sgpr_private_segment_size 0
		.amdhsa_wavefront_size32 1
		.amdhsa_uses_dynamic_stack 0
		.amdhsa_enable_private_segment 0
		.amdhsa_system_sgpr_workgroup_id_x 1
		.amdhsa_system_sgpr_workgroup_id_y 0
		.amdhsa_system_sgpr_workgroup_id_z 0
		.amdhsa_system_sgpr_workgroup_info 0
		.amdhsa_system_vgpr_workitem_id 0
		.amdhsa_next_free_vgpr 1
		.amdhsa_next_free_sgpr 1
		.amdhsa_reserve_vcc 0
		.amdhsa_float_round_mode_32 0
		.amdhsa_float_round_mode_16_64 0
		.amdhsa_float_denorm_mode_32 3
		.amdhsa_float_denorm_mode_16_64 3
		.amdhsa_dx10_clamp 1
		.amdhsa_ieee_mode 1
		.amdhsa_fp16_overflow 0
		.amdhsa_workgroup_processor_mode 1
		.amdhsa_memory_ordered 1
		.amdhsa_forward_progress 0
		.amdhsa_shared_vgpr_count 0
		.amdhsa_exception_fp_ieee_invalid_op 0
		.amdhsa_exception_fp_denorm_src 0
		.amdhsa_exception_fp_ieee_div_zero 0
		.amdhsa_exception_fp_ieee_overflow 0
		.amdhsa_exception_fp_ieee_underflow 0
		.amdhsa_exception_fp_ieee_inexact 0
		.amdhsa_exception_int_div_zero 0
	.end_amdhsa_kernel
	.section	.text._ZN7rocprim17ROCPRIM_400000_NS6detail17trampoline_kernelINS0_14default_configENS1_36segmented_radix_sort_config_selectorIflEEZNS1_25segmented_radix_sort_implIS3_Lb0EPKfPfPKlPlN2at6native12_GLOBAL__N_18offset_tEEE10hipError_tPvRmT1_PNSt15iterator_traitsISK_E10value_typeET2_T3_PNSL_ISQ_E10value_typeET4_jRbjT5_SW_jjP12ihipStream_tbEUlT_E2_NS1_11comp_targetILNS1_3genE10ELNS1_11target_archE1201ELNS1_3gpuE5ELNS1_3repE0EEENS1_30default_config_static_selectorELNS0_4arch9wavefront6targetE0EEEvSK_,"axG",@progbits,_ZN7rocprim17ROCPRIM_400000_NS6detail17trampoline_kernelINS0_14default_configENS1_36segmented_radix_sort_config_selectorIflEEZNS1_25segmented_radix_sort_implIS3_Lb0EPKfPfPKlPlN2at6native12_GLOBAL__N_18offset_tEEE10hipError_tPvRmT1_PNSt15iterator_traitsISK_E10value_typeET2_T3_PNSL_ISQ_E10value_typeET4_jRbjT5_SW_jjP12ihipStream_tbEUlT_E2_NS1_11comp_targetILNS1_3genE10ELNS1_11target_archE1201ELNS1_3gpuE5ELNS1_3repE0EEENS1_30default_config_static_selectorELNS0_4arch9wavefront6targetE0EEEvSK_,comdat
.Lfunc_end1463:
	.size	_ZN7rocprim17ROCPRIM_400000_NS6detail17trampoline_kernelINS0_14default_configENS1_36segmented_radix_sort_config_selectorIflEEZNS1_25segmented_radix_sort_implIS3_Lb0EPKfPfPKlPlN2at6native12_GLOBAL__N_18offset_tEEE10hipError_tPvRmT1_PNSt15iterator_traitsISK_E10value_typeET2_T3_PNSL_ISQ_E10value_typeET4_jRbjT5_SW_jjP12ihipStream_tbEUlT_E2_NS1_11comp_targetILNS1_3genE10ELNS1_11target_archE1201ELNS1_3gpuE5ELNS1_3repE0EEENS1_30default_config_static_selectorELNS0_4arch9wavefront6targetE0EEEvSK_, .Lfunc_end1463-_ZN7rocprim17ROCPRIM_400000_NS6detail17trampoline_kernelINS0_14default_configENS1_36segmented_radix_sort_config_selectorIflEEZNS1_25segmented_radix_sort_implIS3_Lb0EPKfPfPKlPlN2at6native12_GLOBAL__N_18offset_tEEE10hipError_tPvRmT1_PNSt15iterator_traitsISK_E10value_typeET2_T3_PNSL_ISQ_E10value_typeET4_jRbjT5_SW_jjP12ihipStream_tbEUlT_E2_NS1_11comp_targetILNS1_3genE10ELNS1_11target_archE1201ELNS1_3gpuE5ELNS1_3repE0EEENS1_30default_config_static_selectorELNS0_4arch9wavefront6targetE0EEEvSK_
                                        ; -- End function
	.section	.AMDGPU.csdata,"",@progbits
; Kernel info:
; codeLenInByte = 0
; NumSgprs: 0
; NumVgprs: 0
; ScratchSize: 0
; MemoryBound: 0
; FloatMode: 240
; IeeeMode: 1
; LDSByteSize: 0 bytes/workgroup (compile time only)
; SGPRBlocks: 0
; VGPRBlocks: 0
; NumSGPRsForWavesPerEU: 1
; NumVGPRsForWavesPerEU: 1
; Occupancy: 16
; WaveLimiterHint : 0
; COMPUTE_PGM_RSRC2:SCRATCH_EN: 0
; COMPUTE_PGM_RSRC2:USER_SGPR: 15
; COMPUTE_PGM_RSRC2:TRAP_HANDLER: 0
; COMPUTE_PGM_RSRC2:TGID_X_EN: 1
; COMPUTE_PGM_RSRC2:TGID_Y_EN: 0
; COMPUTE_PGM_RSRC2:TGID_Z_EN: 0
; COMPUTE_PGM_RSRC2:TIDIG_COMP_CNT: 0
	.section	.text._ZN7rocprim17ROCPRIM_400000_NS6detail17trampoline_kernelINS0_14default_configENS1_36segmented_radix_sort_config_selectorIflEEZNS1_25segmented_radix_sort_implIS3_Lb0EPKfPfPKlPlN2at6native12_GLOBAL__N_18offset_tEEE10hipError_tPvRmT1_PNSt15iterator_traitsISK_E10value_typeET2_T3_PNSL_ISQ_E10value_typeET4_jRbjT5_SW_jjP12ihipStream_tbEUlT_E2_NS1_11comp_targetILNS1_3genE10ELNS1_11target_archE1200ELNS1_3gpuE4ELNS1_3repE0EEENS1_30default_config_static_selectorELNS0_4arch9wavefront6targetE0EEEvSK_,"axG",@progbits,_ZN7rocprim17ROCPRIM_400000_NS6detail17trampoline_kernelINS0_14default_configENS1_36segmented_radix_sort_config_selectorIflEEZNS1_25segmented_radix_sort_implIS3_Lb0EPKfPfPKlPlN2at6native12_GLOBAL__N_18offset_tEEE10hipError_tPvRmT1_PNSt15iterator_traitsISK_E10value_typeET2_T3_PNSL_ISQ_E10value_typeET4_jRbjT5_SW_jjP12ihipStream_tbEUlT_E2_NS1_11comp_targetILNS1_3genE10ELNS1_11target_archE1200ELNS1_3gpuE4ELNS1_3repE0EEENS1_30default_config_static_selectorELNS0_4arch9wavefront6targetE0EEEvSK_,comdat
	.globl	_ZN7rocprim17ROCPRIM_400000_NS6detail17trampoline_kernelINS0_14default_configENS1_36segmented_radix_sort_config_selectorIflEEZNS1_25segmented_radix_sort_implIS3_Lb0EPKfPfPKlPlN2at6native12_GLOBAL__N_18offset_tEEE10hipError_tPvRmT1_PNSt15iterator_traitsISK_E10value_typeET2_T3_PNSL_ISQ_E10value_typeET4_jRbjT5_SW_jjP12ihipStream_tbEUlT_E2_NS1_11comp_targetILNS1_3genE10ELNS1_11target_archE1200ELNS1_3gpuE4ELNS1_3repE0EEENS1_30default_config_static_selectorELNS0_4arch9wavefront6targetE0EEEvSK_ ; -- Begin function _ZN7rocprim17ROCPRIM_400000_NS6detail17trampoline_kernelINS0_14default_configENS1_36segmented_radix_sort_config_selectorIflEEZNS1_25segmented_radix_sort_implIS3_Lb0EPKfPfPKlPlN2at6native12_GLOBAL__N_18offset_tEEE10hipError_tPvRmT1_PNSt15iterator_traitsISK_E10value_typeET2_T3_PNSL_ISQ_E10value_typeET4_jRbjT5_SW_jjP12ihipStream_tbEUlT_E2_NS1_11comp_targetILNS1_3genE10ELNS1_11target_archE1200ELNS1_3gpuE4ELNS1_3repE0EEENS1_30default_config_static_selectorELNS0_4arch9wavefront6targetE0EEEvSK_
	.p2align	8
	.type	_ZN7rocprim17ROCPRIM_400000_NS6detail17trampoline_kernelINS0_14default_configENS1_36segmented_radix_sort_config_selectorIflEEZNS1_25segmented_radix_sort_implIS3_Lb0EPKfPfPKlPlN2at6native12_GLOBAL__N_18offset_tEEE10hipError_tPvRmT1_PNSt15iterator_traitsISK_E10value_typeET2_T3_PNSL_ISQ_E10value_typeET4_jRbjT5_SW_jjP12ihipStream_tbEUlT_E2_NS1_11comp_targetILNS1_3genE10ELNS1_11target_archE1200ELNS1_3gpuE4ELNS1_3repE0EEENS1_30default_config_static_selectorELNS0_4arch9wavefront6targetE0EEEvSK_,@function
_ZN7rocprim17ROCPRIM_400000_NS6detail17trampoline_kernelINS0_14default_configENS1_36segmented_radix_sort_config_selectorIflEEZNS1_25segmented_radix_sort_implIS3_Lb0EPKfPfPKlPlN2at6native12_GLOBAL__N_18offset_tEEE10hipError_tPvRmT1_PNSt15iterator_traitsISK_E10value_typeET2_T3_PNSL_ISQ_E10value_typeET4_jRbjT5_SW_jjP12ihipStream_tbEUlT_E2_NS1_11comp_targetILNS1_3genE10ELNS1_11target_archE1200ELNS1_3gpuE4ELNS1_3repE0EEENS1_30default_config_static_selectorELNS0_4arch9wavefront6targetE0EEEvSK_: ; @_ZN7rocprim17ROCPRIM_400000_NS6detail17trampoline_kernelINS0_14default_configENS1_36segmented_radix_sort_config_selectorIflEEZNS1_25segmented_radix_sort_implIS3_Lb0EPKfPfPKlPlN2at6native12_GLOBAL__N_18offset_tEEE10hipError_tPvRmT1_PNSt15iterator_traitsISK_E10value_typeET2_T3_PNSL_ISQ_E10value_typeET4_jRbjT5_SW_jjP12ihipStream_tbEUlT_E2_NS1_11comp_targetILNS1_3genE10ELNS1_11target_archE1200ELNS1_3gpuE4ELNS1_3repE0EEENS1_30default_config_static_selectorELNS0_4arch9wavefront6targetE0EEEvSK_
; %bb.0:
	.section	.rodata,"a",@progbits
	.p2align	6, 0x0
	.amdhsa_kernel _ZN7rocprim17ROCPRIM_400000_NS6detail17trampoline_kernelINS0_14default_configENS1_36segmented_radix_sort_config_selectorIflEEZNS1_25segmented_radix_sort_implIS3_Lb0EPKfPfPKlPlN2at6native12_GLOBAL__N_18offset_tEEE10hipError_tPvRmT1_PNSt15iterator_traitsISK_E10value_typeET2_T3_PNSL_ISQ_E10value_typeET4_jRbjT5_SW_jjP12ihipStream_tbEUlT_E2_NS1_11comp_targetILNS1_3genE10ELNS1_11target_archE1200ELNS1_3gpuE4ELNS1_3repE0EEENS1_30default_config_static_selectorELNS0_4arch9wavefront6targetE0EEEvSK_
		.amdhsa_group_segment_fixed_size 0
		.amdhsa_private_segment_fixed_size 0
		.amdhsa_kernarg_size 80
		.amdhsa_user_sgpr_count 15
		.amdhsa_user_sgpr_dispatch_ptr 0
		.amdhsa_user_sgpr_queue_ptr 0
		.amdhsa_user_sgpr_kernarg_segment_ptr 1
		.amdhsa_user_sgpr_dispatch_id 0
		.amdhsa_user_sgpr_private_segment_size 0
		.amdhsa_wavefront_size32 1
		.amdhsa_uses_dynamic_stack 0
		.amdhsa_enable_private_segment 0
		.amdhsa_system_sgpr_workgroup_id_x 1
		.amdhsa_system_sgpr_workgroup_id_y 0
		.amdhsa_system_sgpr_workgroup_id_z 0
		.amdhsa_system_sgpr_workgroup_info 0
		.amdhsa_system_vgpr_workitem_id 0
		.amdhsa_next_free_vgpr 1
		.amdhsa_next_free_sgpr 1
		.amdhsa_reserve_vcc 0
		.amdhsa_float_round_mode_32 0
		.amdhsa_float_round_mode_16_64 0
		.amdhsa_float_denorm_mode_32 3
		.amdhsa_float_denorm_mode_16_64 3
		.amdhsa_dx10_clamp 1
		.amdhsa_ieee_mode 1
		.amdhsa_fp16_overflow 0
		.amdhsa_workgroup_processor_mode 1
		.amdhsa_memory_ordered 1
		.amdhsa_forward_progress 0
		.amdhsa_shared_vgpr_count 0
		.amdhsa_exception_fp_ieee_invalid_op 0
		.amdhsa_exception_fp_denorm_src 0
		.amdhsa_exception_fp_ieee_div_zero 0
		.amdhsa_exception_fp_ieee_overflow 0
		.amdhsa_exception_fp_ieee_underflow 0
		.amdhsa_exception_fp_ieee_inexact 0
		.amdhsa_exception_int_div_zero 0
	.end_amdhsa_kernel
	.section	.text._ZN7rocprim17ROCPRIM_400000_NS6detail17trampoline_kernelINS0_14default_configENS1_36segmented_radix_sort_config_selectorIflEEZNS1_25segmented_radix_sort_implIS3_Lb0EPKfPfPKlPlN2at6native12_GLOBAL__N_18offset_tEEE10hipError_tPvRmT1_PNSt15iterator_traitsISK_E10value_typeET2_T3_PNSL_ISQ_E10value_typeET4_jRbjT5_SW_jjP12ihipStream_tbEUlT_E2_NS1_11comp_targetILNS1_3genE10ELNS1_11target_archE1200ELNS1_3gpuE4ELNS1_3repE0EEENS1_30default_config_static_selectorELNS0_4arch9wavefront6targetE0EEEvSK_,"axG",@progbits,_ZN7rocprim17ROCPRIM_400000_NS6detail17trampoline_kernelINS0_14default_configENS1_36segmented_radix_sort_config_selectorIflEEZNS1_25segmented_radix_sort_implIS3_Lb0EPKfPfPKlPlN2at6native12_GLOBAL__N_18offset_tEEE10hipError_tPvRmT1_PNSt15iterator_traitsISK_E10value_typeET2_T3_PNSL_ISQ_E10value_typeET4_jRbjT5_SW_jjP12ihipStream_tbEUlT_E2_NS1_11comp_targetILNS1_3genE10ELNS1_11target_archE1200ELNS1_3gpuE4ELNS1_3repE0EEENS1_30default_config_static_selectorELNS0_4arch9wavefront6targetE0EEEvSK_,comdat
.Lfunc_end1464:
	.size	_ZN7rocprim17ROCPRIM_400000_NS6detail17trampoline_kernelINS0_14default_configENS1_36segmented_radix_sort_config_selectorIflEEZNS1_25segmented_radix_sort_implIS3_Lb0EPKfPfPKlPlN2at6native12_GLOBAL__N_18offset_tEEE10hipError_tPvRmT1_PNSt15iterator_traitsISK_E10value_typeET2_T3_PNSL_ISQ_E10value_typeET4_jRbjT5_SW_jjP12ihipStream_tbEUlT_E2_NS1_11comp_targetILNS1_3genE10ELNS1_11target_archE1200ELNS1_3gpuE4ELNS1_3repE0EEENS1_30default_config_static_selectorELNS0_4arch9wavefront6targetE0EEEvSK_, .Lfunc_end1464-_ZN7rocprim17ROCPRIM_400000_NS6detail17trampoline_kernelINS0_14default_configENS1_36segmented_radix_sort_config_selectorIflEEZNS1_25segmented_radix_sort_implIS3_Lb0EPKfPfPKlPlN2at6native12_GLOBAL__N_18offset_tEEE10hipError_tPvRmT1_PNSt15iterator_traitsISK_E10value_typeET2_T3_PNSL_ISQ_E10value_typeET4_jRbjT5_SW_jjP12ihipStream_tbEUlT_E2_NS1_11comp_targetILNS1_3genE10ELNS1_11target_archE1200ELNS1_3gpuE4ELNS1_3repE0EEENS1_30default_config_static_selectorELNS0_4arch9wavefront6targetE0EEEvSK_
                                        ; -- End function
	.section	.AMDGPU.csdata,"",@progbits
; Kernel info:
; codeLenInByte = 0
; NumSgprs: 0
; NumVgprs: 0
; ScratchSize: 0
; MemoryBound: 0
; FloatMode: 240
; IeeeMode: 1
; LDSByteSize: 0 bytes/workgroup (compile time only)
; SGPRBlocks: 0
; VGPRBlocks: 0
; NumSGPRsForWavesPerEU: 1
; NumVGPRsForWavesPerEU: 1
; Occupancy: 16
; WaveLimiterHint : 0
; COMPUTE_PGM_RSRC2:SCRATCH_EN: 0
; COMPUTE_PGM_RSRC2:USER_SGPR: 15
; COMPUTE_PGM_RSRC2:TRAP_HANDLER: 0
; COMPUTE_PGM_RSRC2:TGID_X_EN: 1
; COMPUTE_PGM_RSRC2:TGID_Y_EN: 0
; COMPUTE_PGM_RSRC2:TGID_Z_EN: 0
; COMPUTE_PGM_RSRC2:TIDIG_COMP_CNT: 0
	.section	.text._ZN7rocprim17ROCPRIM_400000_NS6detail17trampoline_kernelINS0_14default_configENS1_36segmented_radix_sort_config_selectorIflEEZNS1_25segmented_radix_sort_implIS3_Lb0EPKfPfPKlPlN2at6native12_GLOBAL__N_18offset_tEEE10hipError_tPvRmT1_PNSt15iterator_traitsISK_E10value_typeET2_T3_PNSL_ISQ_E10value_typeET4_jRbjT5_SW_jjP12ihipStream_tbEUlT_E2_NS1_11comp_targetILNS1_3genE9ELNS1_11target_archE1100ELNS1_3gpuE3ELNS1_3repE0EEENS1_30default_config_static_selectorELNS0_4arch9wavefront6targetE0EEEvSK_,"axG",@progbits,_ZN7rocprim17ROCPRIM_400000_NS6detail17trampoline_kernelINS0_14default_configENS1_36segmented_radix_sort_config_selectorIflEEZNS1_25segmented_radix_sort_implIS3_Lb0EPKfPfPKlPlN2at6native12_GLOBAL__N_18offset_tEEE10hipError_tPvRmT1_PNSt15iterator_traitsISK_E10value_typeET2_T3_PNSL_ISQ_E10value_typeET4_jRbjT5_SW_jjP12ihipStream_tbEUlT_E2_NS1_11comp_targetILNS1_3genE9ELNS1_11target_archE1100ELNS1_3gpuE3ELNS1_3repE0EEENS1_30default_config_static_selectorELNS0_4arch9wavefront6targetE0EEEvSK_,comdat
	.globl	_ZN7rocprim17ROCPRIM_400000_NS6detail17trampoline_kernelINS0_14default_configENS1_36segmented_radix_sort_config_selectorIflEEZNS1_25segmented_radix_sort_implIS3_Lb0EPKfPfPKlPlN2at6native12_GLOBAL__N_18offset_tEEE10hipError_tPvRmT1_PNSt15iterator_traitsISK_E10value_typeET2_T3_PNSL_ISQ_E10value_typeET4_jRbjT5_SW_jjP12ihipStream_tbEUlT_E2_NS1_11comp_targetILNS1_3genE9ELNS1_11target_archE1100ELNS1_3gpuE3ELNS1_3repE0EEENS1_30default_config_static_selectorELNS0_4arch9wavefront6targetE0EEEvSK_ ; -- Begin function _ZN7rocprim17ROCPRIM_400000_NS6detail17trampoline_kernelINS0_14default_configENS1_36segmented_radix_sort_config_selectorIflEEZNS1_25segmented_radix_sort_implIS3_Lb0EPKfPfPKlPlN2at6native12_GLOBAL__N_18offset_tEEE10hipError_tPvRmT1_PNSt15iterator_traitsISK_E10value_typeET2_T3_PNSL_ISQ_E10value_typeET4_jRbjT5_SW_jjP12ihipStream_tbEUlT_E2_NS1_11comp_targetILNS1_3genE9ELNS1_11target_archE1100ELNS1_3gpuE3ELNS1_3repE0EEENS1_30default_config_static_selectorELNS0_4arch9wavefront6targetE0EEEvSK_
	.p2align	8
	.type	_ZN7rocprim17ROCPRIM_400000_NS6detail17trampoline_kernelINS0_14default_configENS1_36segmented_radix_sort_config_selectorIflEEZNS1_25segmented_radix_sort_implIS3_Lb0EPKfPfPKlPlN2at6native12_GLOBAL__N_18offset_tEEE10hipError_tPvRmT1_PNSt15iterator_traitsISK_E10value_typeET2_T3_PNSL_ISQ_E10value_typeET4_jRbjT5_SW_jjP12ihipStream_tbEUlT_E2_NS1_11comp_targetILNS1_3genE9ELNS1_11target_archE1100ELNS1_3gpuE3ELNS1_3repE0EEENS1_30default_config_static_selectorELNS0_4arch9wavefront6targetE0EEEvSK_,@function
_ZN7rocprim17ROCPRIM_400000_NS6detail17trampoline_kernelINS0_14default_configENS1_36segmented_radix_sort_config_selectorIflEEZNS1_25segmented_radix_sort_implIS3_Lb0EPKfPfPKlPlN2at6native12_GLOBAL__N_18offset_tEEE10hipError_tPvRmT1_PNSt15iterator_traitsISK_E10value_typeET2_T3_PNSL_ISQ_E10value_typeET4_jRbjT5_SW_jjP12ihipStream_tbEUlT_E2_NS1_11comp_targetILNS1_3genE9ELNS1_11target_archE1100ELNS1_3gpuE3ELNS1_3repE0EEENS1_30default_config_static_selectorELNS0_4arch9wavefront6targetE0EEEvSK_: ; @_ZN7rocprim17ROCPRIM_400000_NS6detail17trampoline_kernelINS0_14default_configENS1_36segmented_radix_sort_config_selectorIflEEZNS1_25segmented_radix_sort_implIS3_Lb0EPKfPfPKlPlN2at6native12_GLOBAL__N_18offset_tEEE10hipError_tPvRmT1_PNSt15iterator_traitsISK_E10value_typeET2_T3_PNSL_ISQ_E10value_typeET4_jRbjT5_SW_jjP12ihipStream_tbEUlT_E2_NS1_11comp_targetILNS1_3genE9ELNS1_11target_archE1100ELNS1_3gpuE3ELNS1_3repE0EEENS1_30default_config_static_selectorELNS0_4arch9wavefront6targetE0EEEvSK_
; %bb.0:
	s_load_b128 s[4:7], s[0:1], 0x34
	s_mov_b32 s32, 0
	s_waitcnt lgkmcnt(0)
	s_add_i32 s33, s5, s14
	s_add_i32 s34, s7, s14
	s_mul_i32 s33, s33, s4
	s_mul_i32 s34, s34, s6
	s_delay_alu instid0(SALU_CYCLE_1)
	s_cmp_le_u32 s34, s33
	s_cbranch_scc1 .LBB1465_683
; %bb.1:
	s_clause 0x3
	s_load_b32 s2, s[0:1], 0x30
	s_load_b128 s[52:55], s[0:1], 0x20
	s_load_b128 s[56:59], s[0:1], 0x44
	s_load_b256 s[44:51], s[0:1], 0x0
	s_waitcnt lgkmcnt(0)
	s_bitcmp1_b32 s2, 0
	s_mov_b32 s2, -1
	s_cselect_b32 s35, -1, 0
	s_sub_i32 s59, s34, s33
	s_delay_alu instid0(SALU_CYCLE_1)
	s_cmpk_lt_u32 s59, 0x801
	s_cbranch_scc0 .LBB1465_12
; %bb.2:
	s_cmp_lt_u32 s59, 33
	s_cbranch_scc0 .LBB1465_6
; %bb.3:
	s_load_b32 s2, s[0:1], 0x5c
	v_bfe_u32 v1, v0, 10, 10
	v_bfe_u32 v2, v0, 20, 10
	s_mov_b32 s18, exec_lo
	s_waitcnt lgkmcnt(0)
	s_lshr_b32 s3, s2, 16
	s_and_b32 s2, s2, 0xffff
	v_mad_u32_u24 v4, v2, s3, v1
	v_and_b32_e32 v1, 0x3ff, v0
	s_delay_alu instid0(VALU_DEP_1) | instskip(NEXT) | instid1(VALU_DEP_1)
	v_mad_u64_u32 v[2:3], null, v4, s2, v[1:2]
	v_cmpx_gt_u32_e32 8, v2
	s_cbranch_execz .LBB1465_5
; %bb.4:
	s_bitcmp1_b32 s56, 0
	v_mov_b32_e32 v31, v0
	s_cselect_b32 s2, -1, 0
	v_dual_mov_b32 v40, v0 :: v_dual_mov_b32 v1, s45
	s_xor_b32 s4, s35, s2
	s_mov_b64 s[2:3], src_shared_base
	s_xor_b32 s2, s4, -1
	v_mov_b32_e32 v0, s44
	v_cndmask_b32_e64 v12, 0, 1, s2
	v_dual_mov_b32 v2, s46 :: v_dual_mov_b32 v3, s47
	v_dual_mov_b32 v4, s48 :: v_dual_mov_b32 v5, s49
	;; [unrolled: 1-line block ×7, first 2 shown]
	s_add_u32 s8, s0, 0x50
	s_addc_u32 s9, s1, 0
	s_mov_b32 s12, s14
	s_mov_b32 s13, s15
	s_getpc_b64 s[4:5]
	s_add_u32 s4, s4, _ZN7rocprim17ROCPRIM_400000_NS6detail26segmented_warp_sort_helperINS1_20WarpSortHelperConfigILj8ELj4ELj256EEEflLi256ELb0EvE4sortIPKfPfPKlPlEEvT_S9_T0_T1_SC_T2_bjjjjRNS5_12storage_typeE@rel32@lo+4
	s_addc_u32 s5, s5, _ZN7rocprim17ROCPRIM_400000_NS6detail26segmented_warp_sort_helperINS1_20WarpSortHelperConfigILj8ELj4ELj256EEEflLi256ELb0EvE4sortIPKfPfPKlPlEEvT_S9_T0_T1_SC_T2_bjjjjRNS5_12storage_typeE@rel32@hi+12
	s_mov_b64 s[16:17], s[0:1]
	s_mov_b32 s20, s15
	s_mov_b32 s19, s14
	s_swappc_b64 s[30:31], s[4:5]
	v_mov_b32_e32 v0, v40
	s_mov_b32 s14, s19
	s_mov_b32 s15, s20
	s_mov_b64 s[0:1], s[16:17]
.LBB1465_5:
	s_or_b32 exec_lo, exec_lo, s18
	s_mov_b32 s2, 0
.LBB1465_6:
	s_delay_alu instid0(SALU_CYCLE_1)
	s_and_not1_b32 vcc_lo, exec_lo, s2
	s_cbranch_vccnz .LBB1465_11
; %bb.7:
	v_cndmask_b32_e64 v1, 0, 1, s35
	s_and_b32 s2, s56, 1
	s_delay_alu instid0(VALU_DEP_1) | instid1(SALU_CYCLE_1)
	v_cmp_ne_u32_e32 vcc_lo, s2, v1
	s_mov_b32 s2, -1
	s_cbranch_vccnz .LBB1465_9
; %bb.8:
	s_mov_b64 s[2:3], src_shared_base
	v_mov_b32_e32 v31, v0
	v_dual_mov_b32 v41, v0 :: v_dual_mov_b32 v2, s48
	v_dual_mov_b32 v0, s44 :: v_dual_mov_b32 v1, s45
	;; [unrolled: 1-line block ×7, first 2 shown]
	v_mov_b32_e32 v13, s3
	s_add_u32 s8, s0, 0x50
	s_addc_u32 s9, s1, 0
	s_mov_b32 s12, s14
	s_mov_b32 s13, s15
	s_getpc_b64 s[4:5]
	s_add_u32 s4, s4, _ZN7rocprim17ROCPRIM_400000_NS6detail40segmented_radix_sort_single_block_helperIflLj256ELj8ELb0EE4sortIPKfPfPKlPlEEbT_T0_T1_T2_jjjjRNS3_12storage_typeE@rel32@lo+4
	s_addc_u32 s5, s5, _ZN7rocprim17ROCPRIM_400000_NS6detail40segmented_radix_sort_single_block_helperIflLj256ELj8ELb0EE4sortIPKfPfPKlPlEEbT_T0_T1_T2_jjjjRNS3_12storage_typeE@rel32@hi+12
	s_mov_b64 s[26:27], s[0:1]
	s_mov_b32 s28, s15
	s_mov_b32 s29, s14
	s_swappc_b64 s[30:31], s[4:5]
	v_mov_b32_e32 v0, v41
	s_mov_b32 s14, s29
	s_mov_b32 s15, s28
	s_mov_b64 s[0:1], s[26:27]
	s_mov_b32 s2, 0
.LBB1465_9:
	s_delay_alu instid0(SALU_CYCLE_1)
	s_and_not1_b32 vcc_lo, exec_lo, s2
	s_cbranch_vccnz .LBB1465_11
; %bb.10:
	s_mov_b64 s[2:3], src_shared_base
	v_mov_b32_e32 v31, v0
	v_dual_mov_b32 v41, v0 :: v_dual_mov_b32 v2, s46
	v_dual_mov_b32 v0, s44 :: v_dual_mov_b32 v1, s45
	;; [unrolled: 1-line block ×7, first 2 shown]
	v_mov_b32_e32 v13, s3
	s_add_u32 s8, s0, 0x50
	s_addc_u32 s9, s1, 0
	s_mov_b32 s12, s14
	s_mov_b32 s13, s15
	s_getpc_b64 s[4:5]
	s_add_u32 s4, s4, _ZN7rocprim17ROCPRIM_400000_NS6detail40segmented_radix_sort_single_block_helperIflLj256ELj8ELb0EE4sortIPKfPfPKlPlEEbT_T0_T1_T2_jjjjRNS3_12storage_typeE@rel32@lo+4
	s_addc_u32 s5, s5, _ZN7rocprim17ROCPRIM_400000_NS6detail40segmented_radix_sort_single_block_helperIflLj256ELj8ELb0EE4sortIPKfPfPKlPlEEbT_T0_T1_T2_jjjjRNS3_12storage_typeE@rel32@hi+12
	s_mov_b64 s[26:27], s[0:1]
	s_mov_b32 s29, s15
	s_mov_b32 s28, s14
	s_swappc_b64 s[30:31], s[4:5]
	v_mov_b32_e32 v0, v41
	s_mov_b32 s14, s28
	s_mov_b32 s15, s29
	s_mov_b64 s[0:1], s[26:27]
.LBB1465_11:
	s_mov_b32 s2, 0
.LBB1465_12:
	s_delay_alu instid0(SALU_CYCLE_1)
	s_and_not1_b32 vcc_lo, exec_lo, s2
	s_cbranch_vccnz .LBB1465_683
; %bb.13:
	s_cmp_ge_u32 s57, s58
	s_cbranch_scc1 .LBB1465_683
; %bb.14:
	v_dual_mov_b32 v71, 1 :: v_dual_and_b32 v18, 0x3ff, v0
	v_bfe_u32 v48, v0, 20, 10
	v_bfe_u32 v50, v0, 10, 10
	s_delay_alu instid0(VALU_DEP_3)
	v_dual_mov_b32 v20, 0 :: v_dual_lshlrev_b32 v31, 2, v18
	v_lshrrev_b32_e32 v1, 3, v18
	v_or_b32_e32 v2, 31, v18
	v_lshlrev_b32_e32 v3, 5, v18
	v_or_b32_e32 v32, 0x100, v18
	v_mad_u32_u24 v43, v18, 12, v31
	v_and_b32_e32 v41, 28, v1
	v_lshlrev_b32_e32 v1, 3, v18
	v_cmp_eq_u32_e64 s3, v2, v18
	v_add_nc_u32_e32 v2, 1, v18
	v_mad_u32_u24 v49, v18, 20, v43
	v_add_co_u32 v36, s2, s48, v31
	v_and_b32_e32 v47, 0x700, v1
	v_mul_u32_u24_e32 v1, 9, v18
	v_mul_u32_u24_e32 v0, 9, v2
	v_or_b32_e32 v33, 0x200, v18
	v_or_b32_e32 v34, 0x300, v18
	v_and_b32_e32 v35, 3, v18
	v_lshl_add_u32 v51, v1, 2, 0x420
	v_lshlrev_b32_e32 v1, 3, v47
	v_lshlrev_b32_e32 v53, 2, v0
	;; [unrolled: 1-line block ×3, first 2 shown]
	v_add_co_ci_u32_e64 v37, null, s49, 0, s2
	s_delay_alu instid0(VALU_DEP_4) | instskip(NEXT) | instid1(VALU_DEP_1)
	v_add_co_u32 v54, s7, s54, v1
	v_add_co_ci_u32_e64 v55, null, s55, 0, s7
	s_delay_alu instid0(VALU_DEP_4) | instskip(NEXT) | instid1(VALU_DEP_1)
	v_add_co_u32 v56, s7, s48, v0
	v_add_co_ci_u32_e64 v57, null, s49, 0, s7
	v_add_co_u32 v59, s7, s46, v31
	s_delay_alu instid0(VALU_DEP_1) | instskip(SKIP_1) | instid1(VALU_DEP_1)
	v_add_co_ci_u32_e64 v60, null, s47, 0, s7
	v_add_co_u32 v61, s7, s52, v1
	v_add_co_ci_u32_e64 v62, null, s53, 0, s7
	v_add_co_u32 v63, s7, s46, v0
	s_delay_alu instid0(VALU_DEP_1) | instskip(SKIP_1) | instid1(VALU_DEP_1)
	v_add_co_ci_u32_e64 v64, null, s47, 0, s7
	v_add_co_u32 v65, s7, s44, v31
	v_add_co_ci_u32_e64 v66, null, s45, 0, s7
	v_add_co_u32 v67, s7, s50, v1
	s_delay_alu instid0(VALU_DEP_1)
	v_add_co_ci_u32_e64 v68, null, s51, 0, s7
	v_add_co_u32 v69, s7, s44, v0
	v_or_b32_e32 v38, 0x400, v18
	v_or_b32_e32 v39, 0x500, v18
	;; [unrolled: 1-line block ×4, first 2 shown]
	v_cmp_gt_u32_e64 s2, 0x100, v18
	v_or_b32_e32 v44, 0x4400, v41
	v_cmp_gt_u32_e64 s4, 8, v18
	v_add_nc_u32_e32 v45, 0x4400, v31
	v_cmp_lt_u32_e64 s5, 31, v18
	v_add_nc_u32_e32 v46, 0x43fc, v41
	s_add_u32 s28, s0, 0x50
	v_sub_nc_u32_e32 v52, v49, v3
	v_cmp_eq_u32_e64 s0, 0, v18
	v_cmp_ne_u32_e64 s6, 0x100, v2
	v_add_nc_u32_e32 v58, 0x400, v31
	v_add_co_ci_u32_e64 v70, null, s45, 0, s7
	v_mbcnt_lo_u32_b32 v72, -1, 0
	v_bfrev_b32_e32 v1, -2
	s_mov_b32 s27, 0
	s_addc_u32 s29, s1, 0
	s_brev_b32 s36, -2
	s_mov_b32 s25, s57
	s_branch .LBB1465_17
.LBB1465_15:                            ;   in Loop: Header=BB1465_17 Depth=1
	s_waitcnt lgkmcnt(0)
	s_barrier
.LBB1465_16:                            ;   in Loop: Header=BB1465_17 Depth=1
	s_add_i32 s25, s25, 8
	buffer_gl0_inv
	s_cmp_ge_u32 s25, s58
	s_cbranch_scc1 .LBB1465_683
.LBB1465_17:                            ; =>This Loop Header: Depth=1
                                        ;     Child Loop BB1465_21 Depth 2
                                        ;     Child Loop BB1465_71 Depth 2
                                        ;     Child Loop BB1465_187 Depth 2
                                        ;     Child Loop BB1465_237 Depth 2
                                        ;     Child Loop BB1465_355 Depth 2
                                        ;     Child Loop BB1465_405 Depth 2
                                        ;     Child Loop BB1465_521 Depth 2
                                        ;     Child Loop BB1465_571 Depth 2
	s_sub_i32 s1, s58, s25
	s_xor_b32 s35, s35, -1
	s_min_u32 s1, s1, 8
	ds_store_2addr_stride64_b32 v31, v20, v20 offset1:4
	s_lshl_b32 s1, -1, s1
	ds_store_2addr_stride64_b32 v31, v20, v20 offset0:8 offset1:12
	s_not_b32 s30, s1
	s_cmp_lg_u32 s25, s57
	s_mov_b32 s1, -1
	s_waitcnt lgkmcnt(0)
	s_waitcnt_vscnt null, 0x0
	s_cbranch_scc0 .LBB1465_351
; %bb.18:                               ;   in Loop: Header=BB1465_17 Depth=1
	s_and_b32 vcc_lo, exec_lo, s35
	s_cbranch_vccz .LBB1465_184
; %bb.19:                               ;   in Loop: Header=BB1465_17 Depth=1
	s_mov_b32 s1, s59
	s_mov_b32 s26, s33
	s_barrier
	buffer_gl0_inv
                                        ; implicit-def: $vgpr2_vgpr3_vgpr4_vgpr5_vgpr6_vgpr7_vgpr8_vgpr9
	s_branch .LBB1465_21
.LBB1465_20:                            ;   in Loop: Header=BB1465_21 Depth=2
	s_or_b32 exec_lo, exec_lo, s8
	s_addk_i32 s1, 0xf800
	s_cmp_ge_u32 s7, s34
	s_mov_b32 s26, s7
	s_cbranch_scc1 .LBB1465_59
.LBB1465_21:                            ;   Parent Loop BB1465_17 Depth=1
                                        ; =>  This Inner Loop Header: Depth=2
	s_add_i32 s7, s26, 0x800
	s_delay_alu instid0(SALU_CYCLE_1)
	s_cmp_gt_u32 s7, s34
	s_cbranch_scc1 .LBB1465_24
; %bb.22:                               ;   in Loop: Header=BB1465_21 Depth=2
	s_mov_b32 s9, 0
	s_mov_b32 s8, s26
	s_delay_alu instid0(SALU_CYCLE_1) | instskip(NEXT) | instid1(SALU_CYCLE_1)
	s_lshl_b64 s[10:11], s[8:9], 2
	v_add_co_u32 v21, vcc_lo, v36, s10
	v_add_co_ci_u32_e32 v22, vcc_lo, s11, v37, vcc_lo
	s_mov_b32 s10, -1
	s_waitcnt vmcnt(0)
	s_delay_alu instid0(VALU_DEP_2) | instskip(NEXT) | instid1(VALU_DEP_2)
	v_add_co_u32 v16, vcc_lo, 0x1000, v21
	v_add_co_ci_u32_e32 v17, vcc_lo, 0, v22, vcc_lo
	s_clause 0x6
	global_load_b32 v10, v[21:22], off
	global_load_b32 v11, v[21:22], off offset:1024
	global_load_b32 v12, v[21:22], off offset:2048
	;; [unrolled: 1-line block ×3, first 2 shown]
	global_load_b32 v14, v[16:17], off
	global_load_b32 v15, v[16:17], off offset:1024
	global_load_b32 v16, v[16:17], off offset:2048
	v_add_co_u32 v21, vcc_lo, 0x1c00, v21
	v_add_co_ci_u32_e32 v22, vcc_lo, 0, v22, vcc_lo
	s_movk_i32 s11, 0x800
	s_cbranch_execz .LBB1465_25
; %bb.23:                               ;   in Loop: Header=BB1465_21 Depth=2
                                        ; implicit-def: $vgpr2_vgpr3_vgpr4_vgpr5_vgpr6_vgpr7_vgpr8_vgpr9
	v_mov_b32_e32 v0, s1
	s_and_saveexec_b32 s8, s10
	s_cbranch_execnz .LBB1465_36
	s_branch .LBB1465_37
.LBB1465_24:                            ;   in Loop: Header=BB1465_21 Depth=2
	s_mov_b32 s10, 0
                                        ; implicit-def: $sgpr11
                                        ; implicit-def: $vgpr10_vgpr11_vgpr12_vgpr13_vgpr14_vgpr15_vgpr16_vgpr17
                                        ; implicit-def: $vgpr21_vgpr22
.LBB1465_25:                            ;   in Loop: Header=BB1465_21 Depth=2
	s_lshl_b64 s[8:9], s[26:27], 2
	s_mov_b32 s11, exec_lo
	s_add_u32 s8, s48, s8
	s_addc_u32 s9, s49, s9
	v_cmpx_gt_u32_e64 s1, v18
	s_cbranch_execz .LBB1465_53
; %bb.26:                               ;   in Loop: Header=BB1465_21 Depth=2
	v_lshlrev_b32_e32 v0, 2, v18
	global_load_b32 v2, v0, s[8:9]
	s_or_b32 exec_lo, exec_lo, s11
	s_delay_alu instid0(SALU_CYCLE_1)
	s_mov_b32 s11, exec_lo
	v_cmpx_gt_u32_e64 s1, v32
	s_cbranch_execnz .LBB1465_54
.LBB1465_27:                            ;   in Loop: Header=BB1465_21 Depth=2
	s_or_b32 exec_lo, exec_lo, s11
	s_delay_alu instid0(SALU_CYCLE_1)
	s_mov_b32 s11, exec_lo
	v_cmpx_gt_u32_e64 s1, v33
	s_cbranch_execz .LBB1465_55
.LBB1465_28:                            ;   in Loop: Header=BB1465_21 Depth=2
	v_lshlrev_b32_e32 v0, 2, v18
	global_load_b32 v4, v0, s[8:9] offset:2048
	s_or_b32 exec_lo, exec_lo, s11
	s_delay_alu instid0(SALU_CYCLE_1)
	s_mov_b32 s11, exec_lo
	v_cmpx_gt_u32_e64 s1, v34
	s_cbranch_execnz .LBB1465_56
.LBB1465_29:                            ;   in Loop: Header=BB1465_21 Depth=2
	s_or_b32 exec_lo, exec_lo, s11
	s_delay_alu instid0(SALU_CYCLE_1)
	s_mov_b32 s11, exec_lo
	v_cmpx_gt_u32_e64 s1, v38
	s_cbranch_execz .LBB1465_57
.LBB1465_30:                            ;   in Loop: Header=BB1465_21 Depth=2
	v_lshlrev_b32_e32 v0, 2, v38
	global_load_b32 v6, v0, s[8:9]
	s_or_b32 exec_lo, exec_lo, s11
	s_delay_alu instid0(SALU_CYCLE_1)
	s_mov_b32 s11, exec_lo
	v_cmpx_gt_u32_e64 s1, v39
	s_cbranch_execnz .LBB1465_58
.LBB1465_31:                            ;   in Loop: Header=BB1465_21 Depth=2
	s_or_b32 exec_lo, exec_lo, s11
	s_delay_alu instid0(SALU_CYCLE_1)
	s_mov_b32 s11, exec_lo
	v_cmpx_gt_u32_e64 s1, v40
	s_cbranch_execz .LBB1465_33
.LBB1465_32:                            ;   in Loop: Header=BB1465_21 Depth=2
	v_lshlrev_b32_e32 v0, 2, v40
	global_load_b32 v8, v0, s[8:9]
.LBB1465_33:                            ;   in Loop: Header=BB1465_21 Depth=2
	s_or_b32 exec_lo, exec_lo, s11
	s_delay_alu instid0(SALU_CYCLE_1)
	s_mov_b32 s12, exec_lo
                                        ; implicit-def: $sgpr11
                                        ; implicit-def: $vgpr21_vgpr22
	v_cmpx_gt_u32_e64 s1, v42
; %bb.34:                               ;   in Loop: Header=BB1465_21 Depth=2
	v_lshlrev_b32_e32 v0, 2, v42
	s_sub_i32 s11, s34, s26
	s_or_b32 s10, s10, exec_lo
	s_delay_alu instid0(VALU_DEP_1) | instskip(NEXT) | instid1(VALU_DEP_1)
	v_add_co_u32 v21, s8, s8, v0
	v_add_co_ci_u32_e64 v22, null, s9, 0, s8
; %bb.35:                               ;   in Loop: Header=BB1465_21 Depth=2
	s_or_b32 exec_lo, exec_lo, s12
	s_waitcnt vmcnt(0)
	v_dual_mov_b32 v17, v9 :: v_dual_mov_b32 v16, v8
	v_dual_mov_b32 v15, v7 :: v_dual_mov_b32 v14, v6
	;; [unrolled: 1-line block ×4, first 2 shown]
	v_mov_b32_e32 v0, s1
	s_and_saveexec_b32 s8, s10
	s_cbranch_execz .LBB1465_37
.LBB1465_36:                            ;   in Loop: Header=BB1465_21 Depth=2
	global_load_b32 v17, v[21:22], off
	s_waitcnt vmcnt(0)
	v_dual_mov_b32 v2, v10 :: v_dual_mov_b32 v5, v13
	v_dual_mov_b32 v0, s11 :: v_dual_mov_b32 v3, v11
	;; [unrolled: 1-line block ×3, first 2 shown]
	v_mov_b32_e32 v6, v14
	v_dual_mov_b32 v8, v16 :: v_dual_mov_b32 v9, v17
.LBB1465_37:                            ;   in Loop: Header=BB1465_21 Depth=2
	s_or_b32 exec_lo, exec_lo, s8
	s_delay_alu instid0(SALU_CYCLE_1)
	s_mov_b32 s8, exec_lo
	v_cmpx_lt_u32_e64 v18, v0
	s_cbranch_execz .LBB1465_45
; %bb.38:                               ;   in Loop: Header=BB1465_21 Depth=2
	v_cmp_lt_i32_e32 vcc_lo, -1, v2
	s_waitcnt vmcnt(5)
	v_lshlrev_b32_e32 v11, 2, v35
	v_cndmask_b32_e64 v10, -1, 0x80000000, vcc_lo
	s_delay_alu instid0(VALU_DEP_1) | instskip(NEXT) | instid1(VALU_DEP_1)
	v_xor_b32_e32 v10, v10, v2
	v_cmp_ne_u32_e32 vcc_lo, 0x7fffffff, v10
	v_cndmask_b32_e32 v10, 0x80000000, v10, vcc_lo
	s_delay_alu instid0(VALU_DEP_1) | instskip(NEXT) | instid1(VALU_DEP_1)
	v_lshrrev_b32_e32 v10, s25, v10
	v_and_b32_e32 v10, s30, v10
	s_delay_alu instid0(VALU_DEP_1) | instskip(SKIP_2) | instid1(SALU_CYCLE_1)
	v_lshl_or_b32 v10, v10, 4, v11
	ds_add_u32 v10, v71
	s_or_b32 exec_lo, exec_lo, s8
	s_mov_b32 s8, exec_lo
	v_cmpx_lt_u32_e64 v32, v0
	s_cbranch_execnz .LBB1465_46
.LBB1465_39:                            ;   in Loop: Header=BB1465_21 Depth=2
	s_or_b32 exec_lo, exec_lo, s8
	s_delay_alu instid0(SALU_CYCLE_1)
	s_mov_b32 s8, exec_lo
	v_cmpx_lt_u32_e64 v33, v0
	s_cbranch_execz .LBB1465_47
.LBB1465_40:                            ;   in Loop: Header=BB1465_21 Depth=2
	v_cmp_lt_i32_e32 vcc_lo, -1, v4
	s_waitcnt vmcnt(5)
	v_lshlrev_b32_e32 v11, 2, v35
	v_cndmask_b32_e64 v10, -1, 0x80000000, vcc_lo
	s_delay_alu instid0(VALU_DEP_1) | instskip(NEXT) | instid1(VALU_DEP_1)
	v_xor_b32_e32 v10, v10, v4
	v_cmp_ne_u32_e32 vcc_lo, 0x7fffffff, v10
	v_cndmask_b32_e32 v10, 0x80000000, v10, vcc_lo
	s_delay_alu instid0(VALU_DEP_1) | instskip(NEXT) | instid1(VALU_DEP_1)
	v_lshrrev_b32_e32 v10, s25, v10
	v_and_b32_e32 v10, s30, v10
	s_delay_alu instid0(VALU_DEP_1) | instskip(SKIP_2) | instid1(SALU_CYCLE_1)
	v_lshl_or_b32 v10, v10, 4, v11
	ds_add_u32 v10, v71
	s_or_b32 exec_lo, exec_lo, s8
	s_mov_b32 s8, exec_lo
	v_cmpx_lt_u32_e64 v34, v0
	s_cbranch_execnz .LBB1465_48
.LBB1465_41:                            ;   in Loop: Header=BB1465_21 Depth=2
	s_or_b32 exec_lo, exec_lo, s8
	s_delay_alu instid0(SALU_CYCLE_1)
	s_mov_b32 s8, exec_lo
	v_cmpx_lt_u32_e64 v38, v0
	s_cbranch_execz .LBB1465_49
.LBB1465_42:                            ;   in Loop: Header=BB1465_21 Depth=2
	v_cmp_lt_i32_e32 vcc_lo, -1, v6
	s_waitcnt vmcnt(5)
	v_lshlrev_b32_e32 v11, 2, v35
	v_cndmask_b32_e64 v10, -1, 0x80000000, vcc_lo
	s_delay_alu instid0(VALU_DEP_1) | instskip(NEXT) | instid1(VALU_DEP_1)
	v_xor_b32_e32 v10, v10, v6
	v_cmp_ne_u32_e32 vcc_lo, 0x7fffffff, v10
	v_cndmask_b32_e32 v10, 0x80000000, v10, vcc_lo
	s_delay_alu instid0(VALU_DEP_1) | instskip(NEXT) | instid1(VALU_DEP_1)
	v_lshrrev_b32_e32 v10, s25, v10
	v_and_b32_e32 v10, s30, v10
	s_delay_alu instid0(VALU_DEP_1) | instskip(SKIP_2) | instid1(SALU_CYCLE_1)
	v_lshl_or_b32 v10, v10, 4, v11
	ds_add_u32 v10, v71
	s_or_b32 exec_lo, exec_lo, s8
	s_mov_b32 s8, exec_lo
	v_cmpx_lt_u32_e64 v39, v0
	s_cbranch_execnz .LBB1465_50
.LBB1465_43:                            ;   in Loop: Header=BB1465_21 Depth=2
	s_or_b32 exec_lo, exec_lo, s8
	s_delay_alu instid0(SALU_CYCLE_1)
	s_mov_b32 s8, exec_lo
	v_cmpx_lt_u32_e64 v40, v0
	s_cbranch_execz .LBB1465_51
.LBB1465_44:                            ;   in Loop: Header=BB1465_21 Depth=2
	v_cmp_lt_i32_e32 vcc_lo, -1, v8
	s_waitcnt vmcnt(5)
	v_lshlrev_b32_e32 v11, 2, v35
	v_cndmask_b32_e64 v10, -1, 0x80000000, vcc_lo
	s_delay_alu instid0(VALU_DEP_1) | instskip(NEXT) | instid1(VALU_DEP_1)
	v_xor_b32_e32 v10, v10, v8
	v_cmp_ne_u32_e32 vcc_lo, 0x7fffffff, v10
	v_cndmask_b32_e32 v10, 0x80000000, v10, vcc_lo
	s_delay_alu instid0(VALU_DEP_1) | instskip(NEXT) | instid1(VALU_DEP_1)
	v_lshrrev_b32_e32 v10, s25, v10
	v_and_b32_e32 v10, s30, v10
	s_delay_alu instid0(VALU_DEP_1) | instskip(SKIP_2) | instid1(SALU_CYCLE_1)
	v_lshl_or_b32 v10, v10, 4, v11
	ds_add_u32 v10, v71
	s_or_b32 exec_lo, exec_lo, s8
	s_mov_b32 s8, exec_lo
	v_cmpx_lt_u32_e64 v42, v0
	s_cbranch_execz .LBB1465_20
	s_branch .LBB1465_52
.LBB1465_45:                            ;   in Loop: Header=BB1465_21 Depth=2
	s_or_b32 exec_lo, exec_lo, s8
	s_delay_alu instid0(SALU_CYCLE_1)
	s_mov_b32 s8, exec_lo
	v_cmpx_lt_u32_e64 v32, v0
	s_cbranch_execz .LBB1465_39
.LBB1465_46:                            ;   in Loop: Header=BB1465_21 Depth=2
	v_cmp_lt_i32_e32 vcc_lo, -1, v3
	s_waitcnt vmcnt(5)
	v_lshlrev_b32_e32 v11, 2, v35
	v_cndmask_b32_e64 v10, -1, 0x80000000, vcc_lo
	s_delay_alu instid0(VALU_DEP_1) | instskip(NEXT) | instid1(VALU_DEP_1)
	v_xor_b32_e32 v10, v10, v3
	v_cmp_ne_u32_e32 vcc_lo, 0x7fffffff, v10
	v_cndmask_b32_e32 v10, 0x80000000, v10, vcc_lo
	s_delay_alu instid0(VALU_DEP_1) | instskip(NEXT) | instid1(VALU_DEP_1)
	v_lshrrev_b32_e32 v10, s25, v10
	v_and_b32_e32 v10, s30, v10
	s_delay_alu instid0(VALU_DEP_1) | instskip(SKIP_2) | instid1(SALU_CYCLE_1)
	v_lshl_or_b32 v10, v10, 4, v11
	ds_add_u32 v10, v71
	s_or_b32 exec_lo, exec_lo, s8
	s_mov_b32 s8, exec_lo
	v_cmpx_lt_u32_e64 v33, v0
	s_cbranch_execnz .LBB1465_40
.LBB1465_47:                            ;   in Loop: Header=BB1465_21 Depth=2
	s_or_b32 exec_lo, exec_lo, s8
	s_delay_alu instid0(SALU_CYCLE_1)
	s_mov_b32 s8, exec_lo
	v_cmpx_lt_u32_e64 v34, v0
	s_cbranch_execz .LBB1465_41
.LBB1465_48:                            ;   in Loop: Header=BB1465_21 Depth=2
	v_cmp_lt_i32_e32 vcc_lo, -1, v5
	s_waitcnt vmcnt(5)
	v_lshlrev_b32_e32 v11, 2, v35
	v_cndmask_b32_e64 v10, -1, 0x80000000, vcc_lo
	s_delay_alu instid0(VALU_DEP_1) | instskip(NEXT) | instid1(VALU_DEP_1)
	v_xor_b32_e32 v10, v10, v5
	v_cmp_ne_u32_e32 vcc_lo, 0x7fffffff, v10
	v_cndmask_b32_e32 v10, 0x80000000, v10, vcc_lo
	s_delay_alu instid0(VALU_DEP_1) | instskip(NEXT) | instid1(VALU_DEP_1)
	v_lshrrev_b32_e32 v10, s25, v10
	v_and_b32_e32 v10, s30, v10
	s_delay_alu instid0(VALU_DEP_1) | instskip(SKIP_2) | instid1(SALU_CYCLE_1)
	v_lshl_or_b32 v10, v10, 4, v11
	ds_add_u32 v10, v71
	s_or_b32 exec_lo, exec_lo, s8
	s_mov_b32 s8, exec_lo
	v_cmpx_lt_u32_e64 v38, v0
	s_cbranch_execnz .LBB1465_42
.LBB1465_49:                            ;   in Loop: Header=BB1465_21 Depth=2
	s_or_b32 exec_lo, exec_lo, s8
	s_delay_alu instid0(SALU_CYCLE_1)
	s_mov_b32 s8, exec_lo
	v_cmpx_lt_u32_e64 v39, v0
	s_cbranch_execz .LBB1465_43
.LBB1465_50:                            ;   in Loop: Header=BB1465_21 Depth=2
	v_cmp_lt_i32_e32 vcc_lo, -1, v7
	s_waitcnt vmcnt(5)
	v_lshlrev_b32_e32 v11, 2, v35
	v_cndmask_b32_e64 v10, -1, 0x80000000, vcc_lo
	s_delay_alu instid0(VALU_DEP_1) | instskip(NEXT) | instid1(VALU_DEP_1)
	v_xor_b32_e32 v10, v10, v7
	v_cmp_ne_u32_e32 vcc_lo, 0x7fffffff, v10
	v_cndmask_b32_e32 v10, 0x80000000, v10, vcc_lo
	s_delay_alu instid0(VALU_DEP_1) | instskip(NEXT) | instid1(VALU_DEP_1)
	v_lshrrev_b32_e32 v10, s25, v10
	v_and_b32_e32 v10, s30, v10
	s_delay_alu instid0(VALU_DEP_1) | instskip(SKIP_2) | instid1(SALU_CYCLE_1)
	v_lshl_or_b32 v10, v10, 4, v11
	ds_add_u32 v10, v71
	s_or_b32 exec_lo, exec_lo, s8
	s_mov_b32 s8, exec_lo
	v_cmpx_lt_u32_e64 v40, v0
	s_cbranch_execnz .LBB1465_44
.LBB1465_51:                            ;   in Loop: Header=BB1465_21 Depth=2
	s_or_b32 exec_lo, exec_lo, s8
	s_delay_alu instid0(SALU_CYCLE_1)
	s_mov_b32 s8, exec_lo
	v_cmpx_lt_u32_e64 v42, v0
	s_cbranch_execz .LBB1465_20
.LBB1465_52:                            ;   in Loop: Header=BB1465_21 Depth=2
	v_cmp_lt_i32_e32 vcc_lo, -1, v9
	s_waitcnt vmcnt(6)
	v_lshlrev_b32_e32 v10, 2, v35
	v_cndmask_b32_e64 v0, -1, 0x80000000, vcc_lo
	s_delay_alu instid0(VALU_DEP_1) | instskip(NEXT) | instid1(VALU_DEP_1)
	v_xor_b32_e32 v0, v0, v9
	v_cmp_ne_u32_e32 vcc_lo, 0x7fffffff, v0
	v_cndmask_b32_e32 v0, 0x80000000, v0, vcc_lo
	s_delay_alu instid0(VALU_DEP_1) | instskip(NEXT) | instid1(VALU_DEP_1)
	v_lshrrev_b32_e32 v0, s25, v0
	v_and_b32_e32 v0, s30, v0
	s_delay_alu instid0(VALU_DEP_1)
	v_lshl_or_b32 v0, v0, 4, v10
	ds_add_u32 v0, v71
	s_branch .LBB1465_20
.LBB1465_53:                            ;   in Loop: Header=BB1465_21 Depth=2
	s_or_b32 exec_lo, exec_lo, s11
	s_delay_alu instid0(SALU_CYCLE_1)
	s_mov_b32 s11, exec_lo
	v_cmpx_gt_u32_e64 s1, v32
	s_cbranch_execz .LBB1465_27
.LBB1465_54:                            ;   in Loop: Header=BB1465_21 Depth=2
	v_lshlrev_b32_e32 v0, 2, v18
	global_load_b32 v3, v0, s[8:9] offset:1024
	s_or_b32 exec_lo, exec_lo, s11
	s_delay_alu instid0(SALU_CYCLE_1)
	s_mov_b32 s11, exec_lo
	v_cmpx_gt_u32_e64 s1, v33
	s_cbranch_execnz .LBB1465_28
.LBB1465_55:                            ;   in Loop: Header=BB1465_21 Depth=2
	s_or_b32 exec_lo, exec_lo, s11
	s_delay_alu instid0(SALU_CYCLE_1)
	s_mov_b32 s11, exec_lo
	v_cmpx_gt_u32_e64 s1, v34
	s_cbranch_execz .LBB1465_29
.LBB1465_56:                            ;   in Loop: Header=BB1465_21 Depth=2
	v_lshlrev_b32_e32 v0, 2, v18
	global_load_b32 v5, v0, s[8:9] offset:3072
	s_or_b32 exec_lo, exec_lo, s11
	s_delay_alu instid0(SALU_CYCLE_1)
	s_mov_b32 s11, exec_lo
	v_cmpx_gt_u32_e64 s1, v38
	s_cbranch_execnz .LBB1465_30
.LBB1465_57:                            ;   in Loop: Header=BB1465_21 Depth=2
	s_or_b32 exec_lo, exec_lo, s11
	s_delay_alu instid0(SALU_CYCLE_1)
	s_mov_b32 s11, exec_lo
	v_cmpx_gt_u32_e64 s1, v39
	s_cbranch_execz .LBB1465_31
.LBB1465_58:                            ;   in Loop: Header=BB1465_21 Depth=2
	v_lshlrev_b32_e32 v0, 2, v39
	global_load_b32 v7, v0, s[8:9]
	s_or_b32 exec_lo, exec_lo, s11
	s_delay_alu instid0(SALU_CYCLE_1)
	s_mov_b32 s11, exec_lo
	v_cmpx_gt_u32_e64 s1, v40
	s_cbranch_execz .LBB1465_33
	s_branch .LBB1465_32
.LBB1465_59:                            ;   in Loop: Header=BB1465_17 Depth=1
	v_mov_b32_e32 v0, 0
	s_waitcnt vmcnt(0) lgkmcnt(0)
	s_barrier
	buffer_gl0_inv
	s_and_saveexec_b32 s1, s2
	s_cbranch_execz .LBB1465_61
; %bb.60:                               ;   in Loop: Header=BB1465_17 Depth=1
	ds_load_2addr_b64 v[2:5], v43 offset1:1
	s_waitcnt lgkmcnt(0)
	v_add_nc_u32_e32 v0, v3, v2
	s_delay_alu instid0(VALU_DEP_1)
	v_add3_u32 v0, v0, v4, v5
.LBB1465_61:                            ;   in Loop: Header=BB1465_17 Depth=1
	s_or_b32 exec_lo, exec_lo, s1
	v_and_b32_e32 v2, 15, v72
	s_delay_alu instid0(VALU_DEP_2) | instskip(SKIP_1) | instid1(VALU_DEP_3)
	v_mov_b32_dpp v3, v0 row_shr:1 row_mask:0xf bank_mask:0xf
	v_and_b32_e32 v4, 16, v72
	v_cmp_eq_u32_e64 s1, 0, v2
	v_cmp_lt_u32_e64 s7, 1, v2
	v_cmp_lt_u32_e64 s8, 3, v2
	;; [unrolled: 1-line block ×3, first 2 shown]
	v_cmp_eq_u32_e64 s10, 0, v4
	v_cndmask_b32_e64 v3, v3, 0, s1
	s_delay_alu instid0(VALU_DEP_1) | instskip(NEXT) | instid1(VALU_DEP_1)
	v_add_nc_u32_e32 v0, v3, v0
	v_mov_b32_dpp v3, v0 row_shr:2 row_mask:0xf bank_mask:0xf
	s_delay_alu instid0(VALU_DEP_1) | instskip(NEXT) | instid1(VALU_DEP_1)
	v_cndmask_b32_e64 v3, 0, v3, s7
	v_add_nc_u32_e32 v0, v0, v3
	s_delay_alu instid0(VALU_DEP_1) | instskip(NEXT) | instid1(VALU_DEP_1)
	v_mov_b32_dpp v3, v0 row_shr:4 row_mask:0xf bank_mask:0xf
	v_cndmask_b32_e64 v3, 0, v3, s8
	s_delay_alu instid0(VALU_DEP_1) | instskip(NEXT) | instid1(VALU_DEP_1)
	v_add_nc_u32_e32 v0, v0, v3
	v_mov_b32_dpp v3, v0 row_shr:8 row_mask:0xf bank_mask:0xf
	s_delay_alu instid0(VALU_DEP_1) | instskip(SKIP_1) | instid1(VALU_DEP_2)
	v_cndmask_b32_e64 v2, 0, v3, s9
	v_bfe_i32 v3, v72, 4, 1
	v_add_nc_u32_e32 v0, v0, v2
	ds_swizzle_b32 v2, v0 offset:swizzle(BROADCAST,32,15)
	s_waitcnt lgkmcnt(0)
	v_and_b32_e32 v2, v3, v2
	s_delay_alu instid0(VALU_DEP_1)
	v_add_nc_u32_e32 v2, v0, v2
	s_and_saveexec_b32 s11, s3
	s_cbranch_execz .LBB1465_63
; %bb.62:                               ;   in Loop: Header=BB1465_17 Depth=1
	ds_store_b32 v44, v2
.LBB1465_63:                            ;   in Loop: Header=BB1465_17 Depth=1
	s_or_b32 exec_lo, exec_lo, s11
	v_and_b32_e32 v0, 7, v72
	s_waitcnt lgkmcnt(0)
	s_barrier
	buffer_gl0_inv
	s_and_saveexec_b32 s11, s4
	s_cbranch_execz .LBB1465_65
; %bb.64:                               ;   in Loop: Header=BB1465_17 Depth=1
	ds_load_b32 v3, v45
	v_cmp_ne_u32_e32 vcc_lo, 0, v0
	s_waitcnt lgkmcnt(0)
	v_mov_b32_dpp v4, v3 row_shr:1 row_mask:0xf bank_mask:0xf
	s_delay_alu instid0(VALU_DEP_1) | instskip(SKIP_1) | instid1(VALU_DEP_2)
	v_cndmask_b32_e32 v4, 0, v4, vcc_lo
	v_cmp_lt_u32_e32 vcc_lo, 1, v0
	v_add_nc_u32_e32 v3, v4, v3
	s_delay_alu instid0(VALU_DEP_1) | instskip(NEXT) | instid1(VALU_DEP_1)
	v_mov_b32_dpp v4, v3 row_shr:2 row_mask:0xf bank_mask:0xf
	v_cndmask_b32_e32 v4, 0, v4, vcc_lo
	v_cmp_lt_u32_e32 vcc_lo, 3, v0
	s_delay_alu instid0(VALU_DEP_2) | instskip(NEXT) | instid1(VALU_DEP_1)
	v_add_nc_u32_e32 v3, v3, v4
	v_mov_b32_dpp v4, v3 row_shr:4 row_mask:0xf bank_mask:0xf
	s_delay_alu instid0(VALU_DEP_1) | instskip(NEXT) | instid1(VALU_DEP_1)
	v_cndmask_b32_e32 v4, 0, v4, vcc_lo
	v_add_nc_u32_e32 v3, v3, v4
	ds_store_b32 v45, v3
.LBB1465_65:                            ;   in Loop: Header=BB1465_17 Depth=1
	s_or_b32 exec_lo, exec_lo, s11
	v_mov_b32_e32 v3, 0
	s_waitcnt lgkmcnt(0)
	s_barrier
	buffer_gl0_inv
	s_and_saveexec_b32 s11, s5
	s_cbranch_execz .LBB1465_67
; %bb.66:                               ;   in Loop: Header=BB1465_17 Depth=1
	ds_load_b32 v3, v46
.LBB1465_67:                            ;   in Loop: Header=BB1465_17 Depth=1
	s_or_b32 exec_lo, exec_lo, s11
	v_add_nc_u32_e32 v4, -1, v72
	s_waitcnt lgkmcnt(0)
	v_add_nc_u32_e32 v2, v3, v2
	v_cmp_eq_u32_e64 s11, 0, v72
	s_barrier
	v_cmp_gt_i32_e32 vcc_lo, 0, v4
	buffer_gl0_inv
	v_cndmask_b32_e32 v4, v4, v72, vcc_lo
	s_delay_alu instid0(VALU_DEP_1)
	v_lshlrev_b32_e32 v73, 2, v4
	ds_bpermute_b32 v2, v73, v2
	s_and_saveexec_b32 s12, s2
	s_cbranch_execz .LBB1465_69
; %bb.68:                               ;   in Loop: Header=BB1465_17 Depth=1
	s_waitcnt lgkmcnt(0)
	v_cndmask_b32_e64 v2, v2, v3, s11
	s_delay_alu instid0(VALU_DEP_1)
	v_add_nc_u32_e32 v2, s33, v2
	ds_store_b32 v31, v2
.LBB1465_69:                            ;   in Loop: Header=BB1465_17 Depth=1
	s_or_b32 exec_lo, exec_lo, s12
	s_clause 0x1
	s_load_b32 s12, s[28:29], 0x4
	s_load_b32 s17, s[28:29], 0xc
	v_lshlrev_b32_e32 v3, 3, v72
	v_cmp_lt_u32_e64 s16, 3, v0
	v_or_b32_e32 v74, v72, v47
	s_mov_b32 s31, s59
	s_mov_b32 s26, s33
	v_add_co_u32 v75, vcc_lo, v54, v3
	v_add_co_ci_u32_e32 v76, vcc_lo, 0, v55, vcc_lo
	v_or_b32_e32 v77, 32, v74
	v_or_b32_e32 v78, 64, v74
	;; [unrolled: 1-line block ×7, first 2 shown]
                                        ; implicit-def: $vgpr10_vgpr11
                                        ; implicit-def: $vgpr12_vgpr13
                                        ; implicit-def: $vgpr14_vgpr15
                                        ; implicit-def: $vgpr16_vgpr17
                                        ; implicit-def: $vgpr21_vgpr22
                                        ; implicit-def: $vgpr23_vgpr24
                                        ; implicit-def: $vgpr25_vgpr26
                                        ; implicit-def: $vgpr27_vgpr28
                                        ; implicit-def: $vgpr89
                                        ; implicit-def: $vgpr90
                                        ; implicit-def: $vgpr91
                                        ; implicit-def: $vgpr92
                                        ; implicit-def: $vgpr93
                                        ; implicit-def: $vgpr94
                                        ; implicit-def: $vgpr95
                                        ; implicit-def: $vgpr96
	s_waitcnt lgkmcnt(0)
	s_cmp_lt_u32 s15, s12
	s_cselect_b32 s12, 14, 20
	s_delay_alu instid0(SALU_CYCLE_1)
	s_add_u32 s12, s28, s12
	s_addc_u32 s13, s29, 0
	s_and_b32 s17, s17, 0xffff
	global_load_u16 v2, v20, s[12:13]
	v_cmp_eq_u32_e64 s12, 0, v0
	v_cmp_lt_u32_e64 s13, 1, v0
	v_lshlrev_b32_e32 v0, 2, v72
	s_delay_alu instid0(VALU_DEP_1) | instskip(SKIP_1) | instid1(VALU_DEP_2)
	v_add_co_u32 v84, vcc_lo, v56, v0
	v_add_co_ci_u32_e32 v85, vcc_lo, 0, v57, vcc_lo
	v_add_co_u32 v87, vcc_lo, 0x380, v84
	s_delay_alu instid0(VALU_DEP_2) | instskip(SKIP_2) | instid1(VALU_DEP_1)
	v_add_co_ci_u32_e32 v88, vcc_lo, 0, v85, vcc_lo
	s_waitcnt vmcnt(0)
	v_mad_u32_u24 v4, v48, v2, v50
	v_mad_u64_u32 v[2:3], null, v4, s17, v[18:19]
	s_delay_alu instid0(VALU_DEP_1)
	v_lshrrev_b32_e32 v86, 5, v2
	s_branch .LBB1465_71
.LBB1465_70:                            ;   in Loop: Header=BB1465_71 Depth=2
	s_or_b32 exec_lo, exec_lo, s17
	s_addk_i32 s31, 0xf800
	s_cmp_lt_u32 s50, s34
	s_mov_b32 s26, s50
	s_cbranch_scc0 .LBB1465_183
.LBB1465_71:                            ;   Parent Loop BB1465_17 Depth=1
                                        ; =>  This Inner Loop Header: Depth=2
	s_add_i32 s50, s26, 0x800
	s_delay_alu instid0(SALU_CYCLE_1)
	s_cmp_gt_u32 s50, s34
	s_cbranch_scc1 .LBB1465_73
; %bb.72:                               ;   in Loop: Header=BB1465_71 Depth=2
	s_mov_b32 s19, 0
	s_mov_b32 s18, s26
	s_movk_i32 s17, 0x800
	s_lshl_b64 s[20:21], s[18:19], 2
	s_delay_alu instid0(SALU_CYCLE_1)
	v_add_co_u32 v8, vcc_lo, v84, s20
	v_add_co_ci_u32_e32 v9, vcc_lo, s21, v85, vcc_lo
	s_mov_b32 s20, -1
	s_clause 0x6
	global_load_b32 v2, v[8:9], off
	global_load_b32 v3, v[8:9], off offset:128
	global_load_b32 v4, v[8:9], off offset:256
	global_load_b32 v5, v[8:9], off offset:384
	global_load_b32 v6, v[8:9], off offset:512
	global_load_b32 v7, v[8:9], off offset:640
	global_load_b32 v8, v[8:9], off offset:768
	s_cbranch_execz .LBB1465_74
	s_branch .LBB1465_83
.LBB1465_73:                            ;   in Loop: Header=BB1465_71 Depth=2
	s_mov_b32 s19, -1
	s_mov_b32 s20, 0
                                        ; implicit-def: $sgpr17
                                        ; implicit-def: $vgpr2_vgpr3_vgpr4_vgpr5_vgpr6_vgpr7_vgpr8_vgpr9
.LBB1465_74:                            ;   in Loop: Header=BB1465_71 Depth=2
	s_lshl_b64 s[18:19], s[26:27], 2
	s_mov_b32 s37, s36
	v_add_co_u32 v29, vcc_lo, v84, s18
	s_mov_b32 s38, s36
	s_mov_b32 s39, s36
	;; [unrolled: 1-line block ×6, first 2 shown]
	s_waitcnt vmcnt(0)
	v_dual_mov_b32 v2, s36 :: v_dual_mov_b32 v3, s37
	v_add_co_ci_u32_e32 v30, vcc_lo, s19, v85, vcc_lo
	v_dual_mov_b32 v4, s38 :: v_dual_mov_b32 v5, s39
	v_dual_mov_b32 v6, s40 :: v_dual_mov_b32 v7, s41
	;; [unrolled: 1-line block ×3, first 2 shown]
	s_mov_b32 s17, exec_lo
	v_cmpx_gt_u32_e64 s31, v74
	s_cbranch_execz .LBB1465_177
; %bb.75:                               ;   in Loop: Header=BB1465_71 Depth=2
	global_load_b32 v0, v[29:30], off
	v_mov_b32_e32 v7, v1
	v_mov_b32_e32 v2, v1
	;; [unrolled: 1-line block ×6, first 2 shown]
	s_waitcnt vmcnt(0)
	v_mov_b32_e32 v9, v7
	s_delay_alu instid0(VALU_DEP_2)
	v_dual_mov_b32 v8, v6 :: v_dual_mov_b32 v7, v5
	v_mov_b32_e32 v6, v4
	v_mov_b32_e32 v5, v3
	;; [unrolled: 1-line block ×5, first 2 shown]
	s_or_b32 exec_lo, exec_lo, s17
	s_delay_alu instid0(SALU_CYCLE_1)
	s_mov_b32 s17, exec_lo
	v_cmpx_gt_u32_e64 s31, v77
	s_cbranch_execnz .LBB1465_178
.LBB1465_76:                            ;   in Loop: Header=BB1465_71 Depth=2
	s_or_b32 exec_lo, exec_lo, s17
	s_delay_alu instid0(SALU_CYCLE_1)
	s_mov_b32 s17, exec_lo
	v_cmpx_gt_u32_e64 s31, v78
	s_cbranch_execz .LBB1465_179
.LBB1465_77:                            ;   in Loop: Header=BB1465_71 Depth=2
	global_load_b32 v4, v[29:30], off offset:256
	s_or_b32 exec_lo, exec_lo, s17
	s_delay_alu instid0(SALU_CYCLE_1)
	s_mov_b32 s17, exec_lo
	v_cmpx_gt_u32_e64 s31, v79
	s_cbranch_execnz .LBB1465_180
.LBB1465_78:                            ;   in Loop: Header=BB1465_71 Depth=2
	s_or_b32 exec_lo, exec_lo, s17
	s_delay_alu instid0(SALU_CYCLE_1)
	s_mov_b32 s17, exec_lo
	v_cmpx_gt_u32_e64 s31, v80
	s_cbranch_execz .LBB1465_181
.LBB1465_79:                            ;   in Loop: Header=BB1465_71 Depth=2
	global_load_b32 v6, v[29:30], off offset:512
	s_or_b32 exec_lo, exec_lo, s17
	s_delay_alu instid0(SALU_CYCLE_1)
	s_mov_b32 s17, exec_lo
	v_cmpx_gt_u32_e64 s31, v81
	s_cbranch_execnz .LBB1465_182
.LBB1465_80:                            ;   in Loop: Header=BB1465_71 Depth=2
	s_or_b32 exec_lo, exec_lo, s17
	s_delay_alu instid0(SALU_CYCLE_1)
	s_mov_b32 s17, exec_lo
	v_cmpx_gt_u32_e64 s31, v82
	s_cbranch_execz .LBB1465_82
.LBB1465_81:                            ;   in Loop: Header=BB1465_71 Depth=2
	global_load_b32 v8, v[29:30], off offset:768
.LBB1465_82:                            ;   in Loop: Header=BB1465_71 Depth=2
	s_or_b32 exec_lo, exec_lo, s17
	v_cmp_gt_u32_e64 s20, s31, v83
	s_sub_i32 s17, s34, s26
	s_mov_b64 s[18:19], s[26:27]
.LBB1465_83:                            ;   in Loop: Header=BB1465_71 Depth=2
	v_mov_b32_e32 v0, s31
	s_delay_alu instid0(VALU_DEP_2)
	s_and_saveexec_b32 s21, s20
	s_cbranch_execz .LBB1465_85
; %bb.84:                               ;   in Loop: Header=BB1465_71 Depth=2
	s_lshl_b64 s[18:19], s[18:19], 2
	v_mov_b32_e32 v0, s17
	v_add_co_u32 v29, vcc_lo, v87, s18
	v_add_co_ci_u32_e32 v30, vcc_lo, s19, v88, vcc_lo
	global_load_b32 v9, v[29:30], off
.LBB1465_85:                            ;   in Loop: Header=BB1465_71 Depth=2
	s_or_b32 exec_lo, exec_lo, s21
	s_waitcnt vmcnt(6)
	v_cmp_lt_i32_e32 vcc_lo, -1, v2
	ds_store_b32 v49, v20 offset:1056
	ds_store_2addr_b32 v51, v20, v20 offset0:1 offset1:2
	ds_store_2addr_b32 v51, v20, v20 offset0:3 offset1:4
	;; [unrolled: 1-line block ×4, first 2 shown]
	s_waitcnt vmcnt(0) lgkmcnt(0)
	s_barrier
	v_cndmask_b32_e64 v19, -1, 0x80000000, vcc_lo
	buffer_gl0_inv
	; wave barrier
	v_xor_b32_e32 v19, v19, v2
	s_delay_alu instid0(VALU_DEP_1) | instskip(SKIP_1) | instid1(VALU_DEP_1)
	v_cmp_ne_u32_e32 vcc_lo, 0x7fffffff, v19
	v_cndmask_b32_e32 v2, 0x80000000, v19, vcc_lo
	v_lshrrev_b32_e32 v2, s25, v2
	s_delay_alu instid0(VALU_DEP_1) | instskip(NEXT) | instid1(VALU_DEP_1)
	v_and_b32_e32 v30, s30, v2
	v_lshlrev_b32_e32 v29, 30, v30
	v_and_b32_e32 v2, 1, v30
	v_lshlrev_b32_e32 v97, 29, v30
	v_lshlrev_b32_e32 v98, 28, v30
	;; [unrolled: 1-line block ×3, first 2 shown]
	v_not_b32_e32 v103, v29
	v_add_co_u32 v2, s17, v2, -1
	s_delay_alu instid0(VALU_DEP_1)
	v_cndmask_b32_e64 v99, 0, 1, s17
	v_cmp_gt_i32_e64 s17, 0, v29
	v_not_b32_e32 v29, v97
	v_ashrrev_i32_e32 v103, 31, v103
	v_lshlrev_b32_e32 v101, 26, v30
	v_cmp_ne_u32_e32 vcc_lo, 0, v99
	v_lshlrev_b32_e32 v102, 25, v30
	v_ashrrev_i32_e32 v29, 31, v29
	v_xor_b32_e32 v103, s17, v103
	v_cmp_gt_i32_e64 s17, 0, v98
	v_xor_b32_e32 v2, vcc_lo, v2
	v_cmp_gt_i32_e32 vcc_lo, 0, v97
	v_not_b32_e32 v97, v98
	v_not_b32_e32 v98, v100
	v_lshlrev_b32_e32 v99, 24, v30
	v_and_b32_e32 v2, exec_lo, v2
	v_xor_b32_e32 v29, vcc_lo, v29
	v_ashrrev_i32_e32 v97, 31, v97
	v_cmp_gt_i32_e32 vcc_lo, 0, v100
	v_not_b32_e32 v100, v101
	v_and_b32_e32 v2, v2, v103
	v_ashrrev_i32_e32 v98, 31, v98
	v_xor_b32_e32 v97, s17, v97
	v_cmp_gt_i32_e64 s17, 0, v101
	v_ashrrev_i32_e32 v100, 31, v100
	v_and_b32_e32 v2, v2, v29
	v_not_b32_e32 v29, v102
	v_xor_b32_e32 v98, vcc_lo, v98
	v_cmp_gt_i32_e32 vcc_lo, 0, v102
	v_xor_b32_e32 v100, s17, v100
	v_and_b32_e32 v2, v2, v97
	v_not_b32_e32 v97, v99
	v_ashrrev_i32_e32 v29, 31, v29
	v_cmp_gt_i32_e64 s17, 0, v99
	v_mad_u32_u24 v30, v30, 9, v86
	v_and_b32_e32 v2, v2, v98
	v_ashrrev_i32_e32 v97, 31, v97
	v_xor_b32_e32 v29, vcc_lo, v29
	s_delay_alu instid0(VALU_DEP_3) | instskip(NEXT) | instid1(VALU_DEP_3)
	v_and_b32_e32 v2, v2, v100
	v_xor_b32_e32 v97, s17, v97
	s_delay_alu instid0(VALU_DEP_2) | instskip(NEXT) | instid1(VALU_DEP_1)
	v_and_b32_e32 v2, v2, v29
	v_and_b32_e32 v2, v2, v97
	v_lshl_add_u32 v97, v30, 2, 0x420
	s_delay_alu instid0(VALU_DEP_2) | instskip(SKIP_1) | instid1(VALU_DEP_2)
	v_mbcnt_lo_u32_b32 v29, v2, 0
	v_cmp_ne_u32_e64 s17, 0, v2
	v_cmp_eq_u32_e32 vcc_lo, 0, v29
	s_delay_alu instid0(VALU_DEP_2) | instskip(NEXT) | instid1(SALU_CYCLE_1)
	s_and_b32 s18, s17, vcc_lo
	s_and_saveexec_b32 s17, s18
	s_cbranch_execz .LBB1465_87
; %bb.86:                               ;   in Loop: Header=BB1465_71 Depth=2
	v_bcnt_u32_b32 v2, v2, 0
	ds_store_b32 v97, v2
.LBB1465_87:                            ;   in Loop: Header=BB1465_71 Depth=2
	s_or_b32 exec_lo, exec_lo, s17
	v_cmp_lt_i32_e32 vcc_lo, -1, v3
	; wave barrier
	v_cndmask_b32_e64 v2, -1, 0x80000000, vcc_lo
	s_delay_alu instid0(VALU_DEP_1) | instskip(NEXT) | instid1(VALU_DEP_1)
	v_xor_b32_e32 v30, v2, v3
	v_cmp_ne_u32_e32 vcc_lo, 0x7fffffff, v30
	v_cndmask_b32_e32 v2, 0x80000000, v30, vcc_lo
	s_delay_alu instid0(VALU_DEP_1) | instskip(NEXT) | instid1(VALU_DEP_1)
	v_lshrrev_b32_e32 v2, s25, v2
	v_and_b32_e32 v2, s30, v2
	s_delay_alu instid0(VALU_DEP_1)
	v_and_b32_e32 v3, 1, v2
	v_lshlrev_b32_e32 v98, 30, v2
	v_lshlrev_b32_e32 v99, 29, v2
	;; [unrolled: 1-line block ×4, first 2 shown]
	v_add_co_u32 v3, s17, v3, -1
	s_delay_alu instid0(VALU_DEP_1)
	v_cndmask_b32_e64 v101, 0, 1, s17
	v_not_b32_e32 v105, v98
	v_cmp_gt_i32_e64 s17, 0, v98
	v_not_b32_e32 v98, v99
	v_lshlrev_b32_e32 v103, 26, v2
	v_cmp_ne_u32_e32 vcc_lo, 0, v101
	v_ashrrev_i32_e32 v105, 31, v105
	v_lshlrev_b32_e32 v104, 25, v2
	v_ashrrev_i32_e32 v98, 31, v98
	v_lshlrev_b32_e32 v101, 24, v2
	v_xor_b32_e32 v3, vcc_lo, v3
	v_cmp_gt_i32_e32 vcc_lo, 0, v99
	v_not_b32_e32 v99, v100
	v_xor_b32_e32 v105, s17, v105
	v_cmp_gt_i32_e64 s17, 0, v100
	v_and_b32_e32 v3, exec_lo, v3
	v_not_b32_e32 v100, v102
	v_ashrrev_i32_e32 v99, 31, v99
	v_xor_b32_e32 v98, vcc_lo, v98
	v_cmp_gt_i32_e32 vcc_lo, 0, v102
	v_and_b32_e32 v3, v3, v105
	v_not_b32_e32 v102, v103
	v_ashrrev_i32_e32 v100, 31, v100
	v_xor_b32_e32 v99, s17, v99
	v_cmp_gt_i32_e64 s17, 0, v103
	v_and_b32_e32 v3, v3, v98
	v_not_b32_e32 v98, v104
	v_ashrrev_i32_e32 v102, 31, v102
	v_xor_b32_e32 v100, vcc_lo, v100
	v_cmp_gt_i32_e32 vcc_lo, 0, v104
	v_and_b32_e32 v3, v3, v99
	v_not_b32_e32 v99, v101
	v_ashrrev_i32_e32 v98, 31, v98
	v_xor_b32_e32 v102, s17, v102
	v_mul_u32_u24_e32 v2, 9, v2
	v_and_b32_e32 v3, v3, v100
	v_cmp_gt_i32_e64 s17, 0, v101
	v_ashrrev_i32_e32 v99, 31, v99
	v_xor_b32_e32 v98, vcc_lo, v98
	v_add_lshl_u32 v100, v2, v86, 2
	v_and_b32_e32 v3, v3, v102
	s_delay_alu instid0(VALU_DEP_4) | instskip(NEXT) | instid1(VALU_DEP_3)
	v_xor_b32_e32 v2, s17, v99
	v_add_nc_u32_e32 v101, 0x420, v100
	s_delay_alu instid0(VALU_DEP_3) | instskip(SKIP_2) | instid1(VALU_DEP_1)
	v_and_b32_e32 v3, v3, v98
	ds_load_b32 v98, v100 offset:1056
	; wave barrier
	v_and_b32_e32 v2, v3, v2
	v_mbcnt_lo_u32_b32 v99, v2, 0
	v_cmp_ne_u32_e64 s17, 0, v2
	s_delay_alu instid0(VALU_DEP_2) | instskip(NEXT) | instid1(VALU_DEP_2)
	v_cmp_eq_u32_e32 vcc_lo, 0, v99
	s_and_b32 s18, s17, vcc_lo
	s_delay_alu instid0(SALU_CYCLE_1)
	s_and_saveexec_b32 s17, s18
	s_cbranch_execz .LBB1465_89
; %bb.88:                               ;   in Loop: Header=BB1465_71 Depth=2
	s_waitcnt lgkmcnt(0)
	v_bcnt_u32_b32 v2, v2, v98
	ds_store_b32 v101, v2
.LBB1465_89:                            ;   in Loop: Header=BB1465_71 Depth=2
	s_or_b32 exec_lo, exec_lo, s17
	v_cmp_lt_i32_e32 vcc_lo, -1, v4
	; wave barrier
	v_cndmask_b32_e64 v2, -1, 0x80000000, vcc_lo
	s_delay_alu instid0(VALU_DEP_1) | instskip(NEXT) | instid1(VALU_DEP_1)
	v_xor_b32_e32 v100, v2, v4
	v_cmp_ne_u32_e32 vcc_lo, 0x7fffffff, v100
	v_cndmask_b32_e32 v2, 0x80000000, v100, vcc_lo
	s_delay_alu instid0(VALU_DEP_1) | instskip(NEXT) | instid1(VALU_DEP_1)
	v_lshrrev_b32_e32 v2, s25, v2
	v_and_b32_e32 v2, s30, v2
	s_delay_alu instid0(VALU_DEP_1)
	v_and_b32_e32 v3, 1, v2
	v_lshlrev_b32_e32 v4, 30, v2
	v_lshlrev_b32_e32 v102, 29, v2
	;; [unrolled: 1-line block ×4, first 2 shown]
	v_add_co_u32 v3, s17, v3, -1
	s_delay_alu instid0(VALU_DEP_1)
	v_cndmask_b32_e64 v104, 0, 1, s17
	v_not_b32_e32 v108, v4
	v_cmp_gt_i32_e64 s17, 0, v4
	v_not_b32_e32 v4, v102
	v_lshlrev_b32_e32 v106, 26, v2
	v_cmp_ne_u32_e32 vcc_lo, 0, v104
	v_ashrrev_i32_e32 v108, 31, v108
	v_lshlrev_b32_e32 v107, 25, v2
	v_ashrrev_i32_e32 v4, 31, v4
	v_lshlrev_b32_e32 v104, 24, v2
	v_xor_b32_e32 v3, vcc_lo, v3
	v_cmp_gt_i32_e32 vcc_lo, 0, v102
	v_not_b32_e32 v102, v103
	v_xor_b32_e32 v108, s17, v108
	v_cmp_gt_i32_e64 s17, 0, v103
	v_and_b32_e32 v3, exec_lo, v3
	v_not_b32_e32 v103, v105
	v_ashrrev_i32_e32 v102, 31, v102
	v_xor_b32_e32 v4, vcc_lo, v4
	v_cmp_gt_i32_e32 vcc_lo, 0, v105
	v_and_b32_e32 v3, v3, v108
	v_not_b32_e32 v105, v106
	v_ashrrev_i32_e32 v103, 31, v103
	v_xor_b32_e32 v102, s17, v102
	v_cmp_gt_i32_e64 s17, 0, v106
	v_and_b32_e32 v3, v3, v4
	v_not_b32_e32 v4, v107
	v_ashrrev_i32_e32 v105, 31, v105
	v_xor_b32_e32 v103, vcc_lo, v103
	v_cmp_gt_i32_e32 vcc_lo, 0, v107
	v_and_b32_e32 v3, v3, v102
	v_not_b32_e32 v102, v104
	v_ashrrev_i32_e32 v4, 31, v4
	v_xor_b32_e32 v105, s17, v105
	v_mul_u32_u24_e32 v2, 9, v2
	v_and_b32_e32 v3, v3, v103
	v_cmp_gt_i32_e64 s17, 0, v104
	v_ashrrev_i32_e32 v102, 31, v102
	v_xor_b32_e32 v4, vcc_lo, v4
	v_add_lshl_u32 v103, v2, v86, 2
	v_and_b32_e32 v3, v3, v105
	s_delay_alu instid0(VALU_DEP_4) | instskip(SKIP_3) | instid1(VALU_DEP_2)
	v_xor_b32_e32 v2, s17, v102
	ds_load_b32 v102, v103 offset:1056
	v_and_b32_e32 v3, v3, v4
	v_add_nc_u32_e32 v105, 0x420, v103
	; wave barrier
	v_and_b32_e32 v2, v3, v2
	s_delay_alu instid0(VALU_DEP_1) | instskip(SKIP_1) | instid1(VALU_DEP_2)
	v_mbcnt_lo_u32_b32 v104, v2, 0
	v_cmp_ne_u32_e64 s17, 0, v2
	v_cmp_eq_u32_e32 vcc_lo, 0, v104
	s_delay_alu instid0(VALU_DEP_2) | instskip(NEXT) | instid1(SALU_CYCLE_1)
	s_and_b32 s18, s17, vcc_lo
	s_and_saveexec_b32 s17, s18
	s_cbranch_execz .LBB1465_91
; %bb.90:                               ;   in Loop: Header=BB1465_71 Depth=2
	s_waitcnt lgkmcnt(0)
	v_bcnt_u32_b32 v2, v2, v102
	ds_store_b32 v105, v2
.LBB1465_91:                            ;   in Loop: Header=BB1465_71 Depth=2
	s_or_b32 exec_lo, exec_lo, s17
	v_cmp_lt_i32_e32 vcc_lo, -1, v5
	; wave barrier
	v_cndmask_b32_e64 v2, -1, 0x80000000, vcc_lo
	s_delay_alu instid0(VALU_DEP_1) | instskip(NEXT) | instid1(VALU_DEP_1)
	v_xor_b32_e32 v103, v2, v5
	v_cmp_ne_u32_e32 vcc_lo, 0x7fffffff, v103
	v_cndmask_b32_e32 v2, 0x80000000, v103, vcc_lo
	s_delay_alu instid0(VALU_DEP_1) | instskip(NEXT) | instid1(VALU_DEP_1)
	v_lshrrev_b32_e32 v2, s25, v2
	v_and_b32_e32 v2, s30, v2
	s_delay_alu instid0(VALU_DEP_1)
	v_and_b32_e32 v3, 1, v2
	v_lshlrev_b32_e32 v4, 30, v2
	v_lshlrev_b32_e32 v5, 29, v2
	;; [unrolled: 1-line block ×4, first 2 shown]
	v_add_co_u32 v3, s17, v3, -1
	s_delay_alu instid0(VALU_DEP_1)
	v_cndmask_b32_e64 v107, 0, 1, s17
	v_not_b32_e32 v111, v4
	v_cmp_gt_i32_e64 s17, 0, v4
	v_not_b32_e32 v4, v5
	v_lshlrev_b32_e32 v109, 26, v2
	v_cmp_ne_u32_e32 vcc_lo, 0, v107
	v_ashrrev_i32_e32 v111, 31, v111
	v_lshlrev_b32_e32 v110, 25, v2
	v_ashrrev_i32_e32 v4, 31, v4
	v_lshlrev_b32_e32 v107, 24, v2
	v_xor_b32_e32 v3, vcc_lo, v3
	v_cmp_gt_i32_e32 vcc_lo, 0, v5
	v_not_b32_e32 v5, v106
	v_xor_b32_e32 v111, s17, v111
	v_cmp_gt_i32_e64 s17, 0, v106
	v_and_b32_e32 v3, exec_lo, v3
	v_not_b32_e32 v106, v108
	v_ashrrev_i32_e32 v5, 31, v5
	v_xor_b32_e32 v4, vcc_lo, v4
	v_cmp_gt_i32_e32 vcc_lo, 0, v108
	v_and_b32_e32 v3, v3, v111
	v_not_b32_e32 v108, v109
	v_ashrrev_i32_e32 v106, 31, v106
	v_xor_b32_e32 v5, s17, v5
	v_cmp_gt_i32_e64 s17, 0, v109
	v_and_b32_e32 v3, v3, v4
	v_not_b32_e32 v4, v110
	v_ashrrev_i32_e32 v108, 31, v108
	v_xor_b32_e32 v106, vcc_lo, v106
	v_cmp_gt_i32_e32 vcc_lo, 0, v110
	v_and_b32_e32 v3, v3, v5
	v_not_b32_e32 v5, v107
	v_ashrrev_i32_e32 v4, 31, v4
	v_xor_b32_e32 v108, s17, v108
	v_mul_u32_u24_e32 v2, 9, v2
	v_and_b32_e32 v3, v3, v106
	v_cmp_gt_i32_e64 s17, 0, v107
	v_ashrrev_i32_e32 v5, 31, v5
	v_xor_b32_e32 v4, vcc_lo, v4
	v_add_lshl_u32 v106, v2, v86, 2
	v_and_b32_e32 v3, v3, v108
	s_delay_alu instid0(VALU_DEP_4) | instskip(SKIP_3) | instid1(VALU_DEP_2)
	v_xor_b32_e32 v2, s17, v5
	ds_load_b32 v107, v106 offset:1056
	v_and_b32_e32 v3, v3, v4
	v_add_nc_u32_e32 v109, 0x420, v106
	; wave barrier
	v_and_b32_e32 v2, v3, v2
	s_delay_alu instid0(VALU_DEP_1) | instskip(SKIP_1) | instid1(VALU_DEP_2)
	v_mbcnt_lo_u32_b32 v108, v2, 0
	v_cmp_ne_u32_e64 s17, 0, v2
	v_cmp_eq_u32_e32 vcc_lo, 0, v108
	s_delay_alu instid0(VALU_DEP_2) | instskip(NEXT) | instid1(SALU_CYCLE_1)
	s_and_b32 s18, s17, vcc_lo
	s_and_saveexec_b32 s17, s18
	s_cbranch_execz .LBB1465_93
; %bb.92:                               ;   in Loop: Header=BB1465_71 Depth=2
	s_waitcnt lgkmcnt(0)
	v_bcnt_u32_b32 v2, v2, v107
	ds_store_b32 v109, v2
.LBB1465_93:                            ;   in Loop: Header=BB1465_71 Depth=2
	s_or_b32 exec_lo, exec_lo, s17
	v_cmp_lt_i32_e32 vcc_lo, -1, v6
	; wave barrier
	v_cndmask_b32_e64 v2, -1, 0x80000000, vcc_lo
	s_delay_alu instid0(VALU_DEP_1) | instskip(NEXT) | instid1(VALU_DEP_1)
	v_xor_b32_e32 v106, v2, v6
	v_cmp_ne_u32_e32 vcc_lo, 0x7fffffff, v106
	v_cndmask_b32_e32 v2, 0x80000000, v106, vcc_lo
	s_delay_alu instid0(VALU_DEP_1) | instskip(NEXT) | instid1(VALU_DEP_1)
	v_lshrrev_b32_e32 v2, s25, v2
	v_and_b32_e32 v2, s30, v2
	s_delay_alu instid0(VALU_DEP_1)
	v_and_b32_e32 v3, 1, v2
	v_lshlrev_b32_e32 v4, 30, v2
	v_lshlrev_b32_e32 v5, 29, v2
	v_lshlrev_b32_e32 v6, 28, v2
	v_lshlrev_b32_e32 v111, 27, v2
	v_add_co_u32 v3, s17, v3, -1
	s_delay_alu instid0(VALU_DEP_1)
	v_cndmask_b32_e64 v110, 0, 1, s17
	v_not_b32_e32 v114, v4
	v_cmp_gt_i32_e64 s17, 0, v4
	v_not_b32_e32 v4, v5
	v_lshlrev_b32_e32 v112, 26, v2
	v_cmp_ne_u32_e32 vcc_lo, 0, v110
	v_ashrrev_i32_e32 v114, 31, v114
	v_lshlrev_b32_e32 v113, 25, v2
	v_ashrrev_i32_e32 v4, 31, v4
	v_lshlrev_b32_e32 v110, 24, v2
	v_xor_b32_e32 v3, vcc_lo, v3
	v_cmp_gt_i32_e32 vcc_lo, 0, v5
	v_not_b32_e32 v5, v6
	v_xor_b32_e32 v114, s17, v114
	v_cmp_gt_i32_e64 s17, 0, v6
	v_and_b32_e32 v3, exec_lo, v3
	v_not_b32_e32 v6, v111
	v_ashrrev_i32_e32 v5, 31, v5
	v_xor_b32_e32 v4, vcc_lo, v4
	v_cmp_gt_i32_e32 vcc_lo, 0, v111
	v_and_b32_e32 v3, v3, v114
	v_not_b32_e32 v111, v112
	v_ashrrev_i32_e32 v6, 31, v6
	v_xor_b32_e32 v5, s17, v5
	v_cmp_gt_i32_e64 s17, 0, v112
	v_and_b32_e32 v3, v3, v4
	v_not_b32_e32 v4, v113
	v_ashrrev_i32_e32 v111, 31, v111
	v_xor_b32_e32 v6, vcc_lo, v6
	v_cmp_gt_i32_e32 vcc_lo, 0, v113
	v_and_b32_e32 v3, v3, v5
	v_not_b32_e32 v5, v110
	v_ashrrev_i32_e32 v4, 31, v4
	v_xor_b32_e32 v111, s17, v111
	v_mul_u32_u24_e32 v2, 9, v2
	v_and_b32_e32 v3, v3, v6
	v_cmp_gt_i32_e64 s17, 0, v110
	v_ashrrev_i32_e32 v5, 31, v5
	v_xor_b32_e32 v4, vcc_lo, v4
	v_add_lshl_u32 v6, v2, v86, 2
	v_and_b32_e32 v3, v3, v111
	s_delay_alu instid0(VALU_DEP_4) | instskip(SKIP_3) | instid1(VALU_DEP_2)
	v_xor_b32_e32 v2, s17, v5
	ds_load_b32 v111, v6 offset:1056
	v_and_b32_e32 v3, v3, v4
	v_add_nc_u32_e32 v113, 0x420, v6
	; wave barrier
	v_and_b32_e32 v2, v3, v2
	s_delay_alu instid0(VALU_DEP_1) | instskip(SKIP_1) | instid1(VALU_DEP_2)
	v_mbcnt_lo_u32_b32 v112, v2, 0
	v_cmp_ne_u32_e64 s17, 0, v2
	v_cmp_eq_u32_e32 vcc_lo, 0, v112
	s_delay_alu instid0(VALU_DEP_2) | instskip(NEXT) | instid1(SALU_CYCLE_1)
	s_and_b32 s18, s17, vcc_lo
	s_and_saveexec_b32 s17, s18
	s_cbranch_execz .LBB1465_95
; %bb.94:                               ;   in Loop: Header=BB1465_71 Depth=2
	s_waitcnt lgkmcnt(0)
	v_bcnt_u32_b32 v2, v2, v111
	ds_store_b32 v113, v2
.LBB1465_95:                            ;   in Loop: Header=BB1465_71 Depth=2
	s_or_b32 exec_lo, exec_lo, s17
	v_cmp_lt_i32_e32 vcc_lo, -1, v7
	; wave barrier
	v_cndmask_b32_e64 v2, -1, 0x80000000, vcc_lo
	s_delay_alu instid0(VALU_DEP_1) | instskip(NEXT) | instid1(VALU_DEP_1)
	v_xor_b32_e32 v110, v2, v7
	v_cmp_ne_u32_e32 vcc_lo, 0x7fffffff, v110
	v_cndmask_b32_e32 v2, 0x80000000, v110, vcc_lo
	s_delay_alu instid0(VALU_DEP_1) | instskip(NEXT) | instid1(VALU_DEP_1)
	v_lshrrev_b32_e32 v2, s25, v2
	v_and_b32_e32 v2, s30, v2
	s_delay_alu instid0(VALU_DEP_1)
	v_and_b32_e32 v3, 1, v2
	v_lshlrev_b32_e32 v4, 30, v2
	v_lshlrev_b32_e32 v5, 29, v2
	;; [unrolled: 1-line block ×4, first 2 shown]
	v_add_co_u32 v3, s17, v3, -1
	s_delay_alu instid0(VALU_DEP_1)
	v_cndmask_b32_e64 v7, 0, 1, s17
	v_not_b32_e32 v117, v4
	v_cmp_gt_i32_e64 s17, 0, v4
	v_not_b32_e32 v4, v5
	v_lshlrev_b32_e32 v115, 26, v2
	v_cmp_ne_u32_e32 vcc_lo, 0, v7
	v_ashrrev_i32_e32 v117, 31, v117
	v_lshlrev_b32_e32 v116, 25, v2
	v_ashrrev_i32_e32 v4, 31, v4
	v_lshlrev_b32_e32 v7, 24, v2
	v_xor_b32_e32 v3, vcc_lo, v3
	v_cmp_gt_i32_e32 vcc_lo, 0, v5
	v_not_b32_e32 v5, v6
	v_xor_b32_e32 v117, s17, v117
	v_cmp_gt_i32_e64 s17, 0, v6
	v_and_b32_e32 v3, exec_lo, v3
	v_not_b32_e32 v6, v114
	v_ashrrev_i32_e32 v5, 31, v5
	v_xor_b32_e32 v4, vcc_lo, v4
	v_cmp_gt_i32_e32 vcc_lo, 0, v114
	v_and_b32_e32 v3, v3, v117
	v_not_b32_e32 v114, v115
	v_ashrrev_i32_e32 v6, 31, v6
	v_xor_b32_e32 v5, s17, v5
	v_cmp_gt_i32_e64 s17, 0, v115
	v_and_b32_e32 v3, v3, v4
	v_not_b32_e32 v4, v116
	v_ashrrev_i32_e32 v114, 31, v114
	v_xor_b32_e32 v6, vcc_lo, v6
	v_cmp_gt_i32_e32 vcc_lo, 0, v116
	v_and_b32_e32 v3, v3, v5
	v_not_b32_e32 v5, v7
	v_ashrrev_i32_e32 v4, 31, v4
	v_xor_b32_e32 v114, s17, v114
	v_mul_u32_u24_e32 v2, 9, v2
	v_and_b32_e32 v3, v3, v6
	v_cmp_gt_i32_e64 s17, 0, v7
	v_ashrrev_i32_e32 v5, 31, v5
	v_xor_b32_e32 v4, vcc_lo, v4
	v_add_lshl_u32 v6, v2, v86, 2
	v_and_b32_e32 v3, v3, v114
	s_delay_alu instid0(VALU_DEP_4) | instskip(SKIP_3) | instid1(VALU_DEP_2)
	v_xor_b32_e32 v2, s17, v5
	ds_load_b32 v115, v6 offset:1056
	v_and_b32_e32 v3, v3, v4
	v_add_nc_u32_e32 v117, 0x420, v6
	; wave barrier
	v_and_b32_e32 v2, v3, v2
	s_delay_alu instid0(VALU_DEP_1) | instskip(SKIP_1) | instid1(VALU_DEP_2)
	v_mbcnt_lo_u32_b32 v116, v2, 0
	v_cmp_ne_u32_e64 s17, 0, v2
	v_cmp_eq_u32_e32 vcc_lo, 0, v116
	s_delay_alu instid0(VALU_DEP_2) | instskip(NEXT) | instid1(SALU_CYCLE_1)
	s_and_b32 s18, s17, vcc_lo
	s_and_saveexec_b32 s17, s18
	s_cbranch_execz .LBB1465_97
; %bb.96:                               ;   in Loop: Header=BB1465_71 Depth=2
	s_waitcnt lgkmcnt(0)
	v_bcnt_u32_b32 v2, v2, v115
	ds_store_b32 v117, v2
.LBB1465_97:                            ;   in Loop: Header=BB1465_71 Depth=2
	s_or_b32 exec_lo, exec_lo, s17
	v_cmp_lt_i32_e32 vcc_lo, -1, v8
	; wave barrier
	v_cndmask_b32_e64 v2, -1, 0x80000000, vcc_lo
	s_delay_alu instid0(VALU_DEP_1) | instskip(NEXT) | instid1(VALU_DEP_1)
	v_xor_b32_e32 v114, v2, v8
	v_cmp_ne_u32_e32 vcc_lo, 0x7fffffff, v114
	v_cndmask_b32_e32 v2, 0x80000000, v114, vcc_lo
	s_delay_alu instid0(VALU_DEP_1) | instskip(NEXT) | instid1(VALU_DEP_1)
	v_lshrrev_b32_e32 v2, s25, v2
	v_and_b32_e32 v2, s30, v2
	s_delay_alu instid0(VALU_DEP_1)
	v_and_b32_e32 v3, 1, v2
	v_lshlrev_b32_e32 v4, 30, v2
	v_lshlrev_b32_e32 v5, 29, v2
	;; [unrolled: 1-line block ×4, first 2 shown]
	v_add_co_u32 v3, s17, v3, -1
	s_delay_alu instid0(VALU_DEP_1)
	v_cndmask_b32_e64 v7, 0, 1, s17
	v_not_b32_e32 v120, v4
	v_cmp_gt_i32_e64 s17, 0, v4
	v_not_b32_e32 v4, v5
	v_lshlrev_b32_e32 v118, 26, v2
	v_cmp_ne_u32_e32 vcc_lo, 0, v7
	v_ashrrev_i32_e32 v120, 31, v120
	v_lshlrev_b32_e32 v119, 25, v2
	v_ashrrev_i32_e32 v4, 31, v4
	v_lshlrev_b32_e32 v7, 24, v2
	v_xor_b32_e32 v3, vcc_lo, v3
	v_cmp_gt_i32_e32 vcc_lo, 0, v5
	v_not_b32_e32 v5, v6
	v_xor_b32_e32 v120, s17, v120
	v_cmp_gt_i32_e64 s17, 0, v6
	v_and_b32_e32 v3, exec_lo, v3
	v_not_b32_e32 v6, v8
	v_ashrrev_i32_e32 v5, 31, v5
	v_xor_b32_e32 v4, vcc_lo, v4
	v_cmp_gt_i32_e32 vcc_lo, 0, v8
	v_and_b32_e32 v3, v3, v120
	v_not_b32_e32 v8, v118
	v_ashrrev_i32_e32 v6, 31, v6
	v_xor_b32_e32 v5, s17, v5
	v_cmp_gt_i32_e64 s17, 0, v118
	v_and_b32_e32 v3, v3, v4
	v_not_b32_e32 v4, v119
	v_ashrrev_i32_e32 v8, 31, v8
	v_xor_b32_e32 v6, vcc_lo, v6
	v_cmp_gt_i32_e32 vcc_lo, 0, v119
	v_and_b32_e32 v3, v3, v5
	v_not_b32_e32 v5, v7
	v_ashrrev_i32_e32 v4, 31, v4
	v_xor_b32_e32 v8, s17, v8
	v_mul_u32_u24_e32 v2, 9, v2
	v_and_b32_e32 v3, v3, v6
	v_cmp_gt_i32_e64 s17, 0, v7
	v_ashrrev_i32_e32 v5, 31, v5
	v_xor_b32_e32 v4, vcc_lo, v4
	v_add_lshl_u32 v6, v2, v86, 2
	v_and_b32_e32 v3, v3, v8
	s_delay_alu instid0(VALU_DEP_4) | instskip(SKIP_3) | instid1(VALU_DEP_2)
	v_xor_b32_e32 v2, s17, v5
	ds_load_b32 v119, v6 offset:1056
	v_and_b32_e32 v3, v3, v4
	v_add_nc_u32_e32 v121, 0x420, v6
	; wave barrier
	v_and_b32_e32 v2, v3, v2
	s_delay_alu instid0(VALU_DEP_1) | instskip(SKIP_1) | instid1(VALU_DEP_2)
	v_mbcnt_lo_u32_b32 v120, v2, 0
	v_cmp_ne_u32_e64 s17, 0, v2
	v_cmp_eq_u32_e32 vcc_lo, 0, v120
	s_delay_alu instid0(VALU_DEP_2) | instskip(NEXT) | instid1(SALU_CYCLE_1)
	s_and_b32 s18, s17, vcc_lo
	s_and_saveexec_b32 s17, s18
	s_cbranch_execz .LBB1465_99
; %bb.98:                               ;   in Loop: Header=BB1465_71 Depth=2
	s_waitcnt lgkmcnt(0)
	v_bcnt_u32_b32 v2, v2, v119
	ds_store_b32 v121, v2
.LBB1465_99:                            ;   in Loop: Header=BB1465_71 Depth=2
	s_or_b32 exec_lo, exec_lo, s17
	v_cmp_lt_i32_e32 vcc_lo, -1, v9
	; wave barrier
	v_cndmask_b32_e64 v2, -1, 0x80000000, vcc_lo
	s_delay_alu instid0(VALU_DEP_1) | instskip(NEXT) | instid1(VALU_DEP_1)
	v_xor_b32_e32 v118, v2, v9
	v_cmp_ne_u32_e32 vcc_lo, 0x7fffffff, v118
	v_cndmask_b32_e32 v2, 0x80000000, v118, vcc_lo
	s_delay_alu instid0(VALU_DEP_1) | instskip(NEXT) | instid1(VALU_DEP_1)
	v_lshrrev_b32_e32 v2, s25, v2
	v_and_b32_e32 v2, s30, v2
	s_delay_alu instid0(VALU_DEP_1)
	v_and_b32_e32 v3, 1, v2
	v_lshlrev_b32_e32 v4, 30, v2
	v_lshlrev_b32_e32 v5, 29, v2
	;; [unrolled: 1-line block ×4, first 2 shown]
	v_add_co_u32 v3, s17, v3, -1
	s_delay_alu instid0(VALU_DEP_1)
	v_cndmask_b32_e64 v7, 0, 1, s17
	v_not_b32_e32 v123, v4
	v_cmp_gt_i32_e64 s17, 0, v4
	v_not_b32_e32 v4, v5
	v_lshlrev_b32_e32 v9, 26, v2
	v_cmp_ne_u32_e32 vcc_lo, 0, v7
	v_ashrrev_i32_e32 v123, 31, v123
	v_lshlrev_b32_e32 v122, 25, v2
	v_ashrrev_i32_e32 v4, 31, v4
	v_lshlrev_b32_e32 v7, 24, v2
	v_xor_b32_e32 v3, vcc_lo, v3
	v_cmp_gt_i32_e32 vcc_lo, 0, v5
	v_not_b32_e32 v5, v6
	v_xor_b32_e32 v123, s17, v123
	v_cmp_gt_i32_e64 s17, 0, v6
	v_and_b32_e32 v3, exec_lo, v3
	v_not_b32_e32 v6, v8
	v_ashrrev_i32_e32 v5, 31, v5
	v_xor_b32_e32 v4, vcc_lo, v4
	v_cmp_gt_i32_e32 vcc_lo, 0, v8
	v_and_b32_e32 v3, v3, v123
	v_not_b32_e32 v8, v9
	v_ashrrev_i32_e32 v6, 31, v6
	v_xor_b32_e32 v5, s17, v5
	v_cmp_gt_i32_e64 s17, 0, v9
	v_and_b32_e32 v3, v3, v4
	v_not_b32_e32 v4, v122
	v_ashrrev_i32_e32 v8, 31, v8
	v_xor_b32_e32 v6, vcc_lo, v6
	v_cmp_gt_i32_e32 vcc_lo, 0, v122
	v_and_b32_e32 v3, v3, v5
	v_not_b32_e32 v5, v7
	v_ashrrev_i32_e32 v4, 31, v4
	v_xor_b32_e32 v8, s17, v8
	v_mul_u32_u24_e32 v2, 9, v2
	v_and_b32_e32 v3, v3, v6
	v_cmp_gt_i32_e64 s17, 0, v7
	v_ashrrev_i32_e32 v5, 31, v5
	v_xor_b32_e32 v4, vcc_lo, v4
	v_add_lshl_u32 v6, v2, v86, 2
	v_and_b32_e32 v3, v3, v8
	s_delay_alu instid0(VALU_DEP_4) | instskip(SKIP_3) | instid1(VALU_DEP_2)
	v_xor_b32_e32 v2, s17, v5
	ds_load_b32 v122, v6 offset:1056
	v_and_b32_e32 v3, v3, v4
	v_add_nc_u32_e32 v124, 0x420, v6
	; wave barrier
	v_and_b32_e32 v2, v3, v2
	s_delay_alu instid0(VALU_DEP_1) | instskip(SKIP_1) | instid1(VALU_DEP_2)
	v_mbcnt_lo_u32_b32 v123, v2, 0
	v_cmp_ne_u32_e64 s17, 0, v2
	v_cmp_eq_u32_e32 vcc_lo, 0, v123
	s_delay_alu instid0(VALU_DEP_2) | instskip(NEXT) | instid1(SALU_CYCLE_1)
	s_and_b32 s18, s17, vcc_lo
	s_and_saveexec_b32 s17, s18
	s_cbranch_execz .LBB1465_101
; %bb.100:                              ;   in Loop: Header=BB1465_71 Depth=2
	s_waitcnt lgkmcnt(0)
	v_bcnt_u32_b32 v2, v2, v122
	ds_store_b32 v124, v2
.LBB1465_101:                           ;   in Loop: Header=BB1465_71 Depth=2
	s_or_b32 exec_lo, exec_lo, s17
	; wave barrier
	s_waitcnt lgkmcnt(0)
	s_barrier
	buffer_gl0_inv
	ds_load_b32 v125, v49 offset:1056
	ds_load_2addr_b32 v[8:9], v51 offset0:1 offset1:2
	ds_load_2addr_b32 v[6:7], v51 offset0:3 offset1:4
	;; [unrolled: 1-line block ×4, first 2 shown]
	s_waitcnt lgkmcnt(3)
	v_add3_u32 v126, v8, v125, v9
	s_waitcnt lgkmcnt(2)
	s_delay_alu instid0(VALU_DEP_1) | instskip(SKIP_1) | instid1(VALU_DEP_1)
	v_add3_u32 v126, v126, v6, v7
	s_waitcnt lgkmcnt(1)
	v_add3_u32 v126, v126, v2, v3
	s_waitcnt lgkmcnt(0)
	s_delay_alu instid0(VALU_DEP_1) | instskip(NEXT) | instid1(VALU_DEP_1)
	v_add3_u32 v5, v126, v4, v5
	v_mov_b32_dpp v126, v5 row_shr:1 row_mask:0xf bank_mask:0xf
	s_delay_alu instid0(VALU_DEP_1) | instskip(NEXT) | instid1(VALU_DEP_1)
	v_cndmask_b32_e64 v126, v126, 0, s1
	v_add_nc_u32_e32 v5, v126, v5
	s_delay_alu instid0(VALU_DEP_1) | instskip(NEXT) | instid1(VALU_DEP_1)
	v_mov_b32_dpp v126, v5 row_shr:2 row_mask:0xf bank_mask:0xf
	v_cndmask_b32_e64 v126, 0, v126, s7
	s_delay_alu instid0(VALU_DEP_1) | instskip(NEXT) | instid1(VALU_DEP_1)
	v_add_nc_u32_e32 v5, v5, v126
	v_mov_b32_dpp v126, v5 row_shr:4 row_mask:0xf bank_mask:0xf
	s_delay_alu instid0(VALU_DEP_1) | instskip(NEXT) | instid1(VALU_DEP_1)
	v_cndmask_b32_e64 v126, 0, v126, s8
	v_add_nc_u32_e32 v5, v5, v126
	s_delay_alu instid0(VALU_DEP_1) | instskip(NEXT) | instid1(VALU_DEP_1)
	v_mov_b32_dpp v126, v5 row_shr:8 row_mask:0xf bank_mask:0xf
	v_cndmask_b32_e64 v126, 0, v126, s9
	s_delay_alu instid0(VALU_DEP_1) | instskip(SKIP_3) | instid1(VALU_DEP_1)
	v_add_nc_u32_e32 v5, v5, v126
	ds_swizzle_b32 v126, v5 offset:swizzle(BROADCAST,32,15)
	s_waitcnt lgkmcnt(0)
	v_cndmask_b32_e64 v126, v126, 0, s10
	v_add_nc_u32_e32 v5, v5, v126
	s_and_saveexec_b32 s17, s3
	s_cbranch_execz .LBB1465_103
; %bb.102:                              ;   in Loop: Header=BB1465_71 Depth=2
	ds_store_b32 v41, v5 offset:1024
.LBB1465_103:                           ;   in Loop: Header=BB1465_71 Depth=2
	s_or_b32 exec_lo, exec_lo, s17
	s_waitcnt lgkmcnt(0)
	s_barrier
	buffer_gl0_inv
	s_and_saveexec_b32 s17, s4
	s_cbranch_execz .LBB1465_105
; %bb.104:                              ;   in Loop: Header=BB1465_71 Depth=2
	ds_load_b32 v126, v52 offset:1024
	s_waitcnt lgkmcnt(0)
	v_mov_b32_dpp v127, v126 row_shr:1 row_mask:0xf bank_mask:0xf
	s_delay_alu instid0(VALU_DEP_1) | instskip(NEXT) | instid1(VALU_DEP_1)
	v_cndmask_b32_e64 v127, v127, 0, s12
	v_add_nc_u32_e32 v126, v127, v126
	s_delay_alu instid0(VALU_DEP_1) | instskip(NEXT) | instid1(VALU_DEP_1)
	v_mov_b32_dpp v127, v126 row_shr:2 row_mask:0xf bank_mask:0xf
	v_cndmask_b32_e64 v127, 0, v127, s13
	s_delay_alu instid0(VALU_DEP_1) | instskip(NEXT) | instid1(VALU_DEP_1)
	v_add_nc_u32_e32 v126, v126, v127
	v_mov_b32_dpp v127, v126 row_shr:4 row_mask:0xf bank_mask:0xf
	s_delay_alu instid0(VALU_DEP_1) | instskip(NEXT) | instid1(VALU_DEP_1)
	v_cndmask_b32_e64 v127, 0, v127, s16
	v_add_nc_u32_e32 v126, v126, v127
	ds_store_b32 v52, v126 offset:1024
.LBB1465_105:                           ;   in Loop: Header=BB1465_71 Depth=2
	s_or_b32 exec_lo, exec_lo, s17
	v_mov_b32_e32 v126, 0
	s_waitcnt lgkmcnt(0)
	s_barrier
	buffer_gl0_inv
	s_and_saveexec_b32 s17, s5
	s_cbranch_execz .LBB1465_107
; %bb.106:                              ;   in Loop: Header=BB1465_71 Depth=2
	ds_load_b32 v126, v41 offset:1020
.LBB1465_107:                           ;   in Loop: Header=BB1465_71 Depth=2
	s_or_b32 exec_lo, exec_lo, s17
	s_waitcnt lgkmcnt(0)
	v_add_nc_u32_e32 v5, v126, v5
	ds_bpermute_b32 v5, v73, v5
	s_waitcnt lgkmcnt(0)
	v_cndmask_b32_e64 v5, v5, v126, s11
	s_delay_alu instid0(VALU_DEP_1) | instskip(NEXT) | instid1(VALU_DEP_1)
	v_cndmask_b32_e64 v5, v5, 0, s0
	v_add_nc_u32_e32 v125, v5, v125
	s_delay_alu instid0(VALU_DEP_1) | instskip(NEXT) | instid1(VALU_DEP_1)
	v_add_nc_u32_e32 v8, v125, v8
	v_add_nc_u32_e32 v9, v8, v9
	s_delay_alu instid0(VALU_DEP_1) | instskip(NEXT) | instid1(VALU_DEP_1)
	v_add_nc_u32_e32 v6, v9, v6
	;; [unrolled: 3-line block ×3, first 2 shown]
	v_add_nc_u32_e32 v3, v2, v3
	s_delay_alu instid0(VALU_DEP_1)
	v_add_nc_u32_e32 v4, v3, v4
	ds_store_b32 v49, v5 offset:1056
	ds_store_2addr_b32 v51, v125, v8 offset0:1 offset1:2
	ds_store_2addr_b32 v51, v9, v6 offset0:3 offset1:4
	;; [unrolled: 1-line block ×4, first 2 shown]
	v_mov_b32_e32 v4, 0x800
	s_waitcnt lgkmcnt(0)
	s_barrier
	buffer_gl0_inv
	ds_load_b32 v5, v101
	ds_load_b32 v6, v105
	;; [unrolled: 1-line block ×8, first 2 shown]
	ds_load_b32 v101, v49 offset:1056
	s_and_saveexec_b32 s17, s6
	s_cbranch_execz .LBB1465_109
; %bb.108:                              ;   in Loop: Header=BB1465_71 Depth=2
	ds_load_b32 v4, v53 offset:1056
.LBB1465_109:                           ;   in Loop: Header=BB1465_71 Depth=2
	s_or_b32 exec_lo, exec_lo, s17
	s_waitcnt lgkmcnt(0)
	s_barrier
	buffer_gl0_inv
	s_and_saveexec_b32 s17, s2
	s_cbranch_execz .LBB1465_111
; %bb.110:                              ;   in Loop: Header=BB1465_71 Depth=2
	ds_load_b32 v105, v31
	s_waitcnt lgkmcnt(0)
	v_sub_nc_u32_e32 v101, v105, v101
	ds_store_b32 v31, v101
.LBB1465_111:                           ;   in Loop: Header=BB1465_71 Depth=2
	s_or_b32 exec_lo, exec_lo, s17
	v_add_nc_u32_e32 v101, v97, v29
	v_add3_u32 v29, v104, v102, v6
	v_add3_u32 v7, v108, v107, v7
	;; [unrolled: 1-line block ×5, first 2 shown]
	v_lshlrev_b32_e32 v98, 2, v101
	v_add3_u32 v8, v120, v119, v3
	v_lshlrev_b32_e32 v3, 2, v29
	v_add3_u32 v9, v123, v122, v2
	v_lshlrev_b32_e32 v2, 2, v7
	v_lshlrev_b32_e32 v99, 2, v97
	ds_store_b32 v98, v19 offset:1024
	ds_store_b32 v99, v30 offset:1024
	;; [unrolled: 1-line block ×3, first 2 shown]
	v_lshlrev_b32_e32 v3, 2, v6
	ds_store_b32 v2, v103 offset:1024
	v_lshlrev_b32_e32 v2, 2, v9
	v_cmp_lt_u32_e32 vcc_lo, v18, v0
	v_lshlrev_b32_e32 v19, 2, v5
	v_lshlrev_b32_e32 v30, 2, v8
	ds_store_b32 v3, v106 offset:1024
	ds_store_b32 v19, v110 offset:1024
	;; [unrolled: 1-line block ×4, first 2 shown]
	s_waitcnt lgkmcnt(0)
	s_barrier
	buffer_gl0_inv
	s_and_saveexec_b32 s18, vcc_lo
	s_cbranch_execz .LBB1465_119
; %bb.112:                              ;   in Loop: Header=BB1465_71 Depth=2
	ds_load_b32 v30, v52 offset:1024
	s_waitcnt lgkmcnt(0)
	v_cmp_ne_u32_e64 s17, 0x7fffffff, v30
	s_delay_alu instid0(VALU_DEP_1) | instskip(SKIP_1) | instid1(VALU_DEP_2)
	v_cndmask_b32_e64 v2, 0x80000000, v30, s17
	v_cmp_lt_i32_e64 s17, -1, v30
	v_lshrrev_b32_e32 v2, s25, v2
	s_delay_alu instid0(VALU_DEP_2) | instskip(NEXT) | instid1(VALU_DEP_2)
	v_cndmask_b32_e64 v98, 0x80000000, -1, s17
	v_and_b32_e32 v2, s30, v2
	s_delay_alu instid0(VALU_DEP_1) | instskip(SKIP_3) | instid1(VALU_DEP_1)
	v_lshlrev_b32_e32 v2, 2, v2
	ds_load_b32 v2, v2
	s_waitcnt lgkmcnt(0)
	v_add_nc_u32_e32 v19, v2, v18
	v_lshlrev_b64 v[2:3], 2, v[19:20]
	v_xor_b32_e32 v19, v98, v30
	s_delay_alu instid0(VALU_DEP_2) | instskip(NEXT) | instid1(VALU_DEP_1)
	v_add_co_u32 v2, s17, s46, v2
	v_add_co_ci_u32_e64 v3, s17, s47, v3, s17
	global_store_b32 v[2:3], v19, off
	s_or_b32 exec_lo, exec_lo, s18
	v_cmp_lt_u32_e64 s17, v32, v0
	s_delay_alu instid0(VALU_DEP_1)
	s_and_saveexec_b32 s19, s17
	s_cbranch_execnz .LBB1465_120
.LBB1465_113:                           ;   in Loop: Header=BB1465_71 Depth=2
	s_or_b32 exec_lo, exec_lo, s19
	v_cmp_lt_u32_e64 s18, v33, v0
	s_delay_alu instid0(VALU_DEP_1)
	s_and_saveexec_b32 s20, s18
	s_cbranch_execz .LBB1465_121
.LBB1465_114:                           ;   in Loop: Header=BB1465_71 Depth=2
	ds_load_b32 v30, v58 offset:2048
	s_waitcnt lgkmcnt(0)
	v_cmp_ne_u32_e64 s19, 0x7fffffff, v30
	s_delay_alu instid0(VALU_DEP_1) | instskip(SKIP_1) | instid1(VALU_DEP_2)
	v_cndmask_b32_e64 v2, 0x80000000, v30, s19
	v_cmp_lt_i32_e64 s19, -1, v30
	v_lshrrev_b32_e32 v2, s25, v2
	s_delay_alu instid0(VALU_DEP_2) | instskip(NEXT) | instid1(VALU_DEP_2)
	v_cndmask_b32_e64 v98, 0x80000000, -1, s19
	v_and_b32_e32 v2, s30, v2
	s_delay_alu instid0(VALU_DEP_1) | instskip(SKIP_3) | instid1(VALU_DEP_1)
	v_lshlrev_b32_e32 v2, 2, v2
	ds_load_b32 v2, v2
	s_waitcnt lgkmcnt(0)
	v_add_nc_u32_e32 v19, v2, v33
	v_lshlrev_b64 v[2:3], 2, v[19:20]
	v_xor_b32_e32 v19, v98, v30
	s_delay_alu instid0(VALU_DEP_2) | instskip(NEXT) | instid1(VALU_DEP_1)
	v_add_co_u32 v2, s19, s46, v2
	v_add_co_ci_u32_e64 v3, s19, s47, v3, s19
	global_store_b32 v[2:3], v19, off
	s_or_b32 exec_lo, exec_lo, s20
	v_cmp_lt_u32_e64 s19, v34, v0
	s_delay_alu instid0(VALU_DEP_1)
	s_and_saveexec_b32 s21, s19
	s_cbranch_execnz .LBB1465_122
.LBB1465_115:                           ;   in Loop: Header=BB1465_71 Depth=2
	s_or_b32 exec_lo, exec_lo, s21
	v_cmp_lt_u32_e64 s20, v38, v0
	s_delay_alu instid0(VALU_DEP_1)
	s_and_saveexec_b32 s22, s20
	s_cbranch_execz .LBB1465_123
.LBB1465_116:                           ;   in Loop: Header=BB1465_71 Depth=2
	ds_load_b32 v30, v58 offset:4096
	s_waitcnt lgkmcnt(0)
	v_cmp_ne_u32_e64 s21, 0x7fffffff, v30
	s_delay_alu instid0(VALU_DEP_1) | instskip(SKIP_1) | instid1(VALU_DEP_2)
	v_cndmask_b32_e64 v2, 0x80000000, v30, s21
	v_cmp_lt_i32_e64 s21, -1, v30
	v_lshrrev_b32_e32 v2, s25, v2
	s_delay_alu instid0(VALU_DEP_2) | instskip(NEXT) | instid1(VALU_DEP_2)
	v_cndmask_b32_e64 v98, 0x80000000, -1, s21
	v_and_b32_e32 v2, s30, v2
	s_delay_alu instid0(VALU_DEP_1) | instskip(SKIP_3) | instid1(VALU_DEP_1)
	v_lshlrev_b32_e32 v2, 2, v2
	ds_load_b32 v2, v2
	s_waitcnt lgkmcnt(0)
	v_add_nc_u32_e32 v19, v2, v38
	v_lshlrev_b64 v[2:3], 2, v[19:20]
	v_xor_b32_e32 v19, v98, v30
	s_delay_alu instid0(VALU_DEP_2) | instskip(NEXT) | instid1(VALU_DEP_1)
	v_add_co_u32 v2, s21, s46, v2
	v_add_co_ci_u32_e64 v3, s21, s47, v3, s21
	global_store_b32 v[2:3], v19, off
	s_or_b32 exec_lo, exec_lo, s22
	v_cmp_lt_u32_e64 s21, v39, v0
	s_delay_alu instid0(VALU_DEP_1)
	s_and_saveexec_b32 s23, s21
	s_cbranch_execnz .LBB1465_124
.LBB1465_117:                           ;   in Loop: Header=BB1465_71 Depth=2
	s_or_b32 exec_lo, exec_lo, s23
	v_cmp_lt_u32_e64 s22, v40, v0
	s_delay_alu instid0(VALU_DEP_1)
	s_and_saveexec_b32 s24, s22
	s_cbranch_execz .LBB1465_125
.LBB1465_118:                           ;   in Loop: Header=BB1465_71 Depth=2
	ds_load_b32 v30, v58 offset:6144
	s_waitcnt lgkmcnt(0)
	v_cmp_ne_u32_e64 s23, 0x7fffffff, v30
	s_delay_alu instid0(VALU_DEP_1) | instskip(SKIP_1) | instid1(VALU_DEP_2)
	v_cndmask_b32_e64 v2, 0x80000000, v30, s23
	v_cmp_lt_i32_e64 s23, -1, v30
	v_lshrrev_b32_e32 v2, s25, v2
	s_delay_alu instid0(VALU_DEP_2) | instskip(NEXT) | instid1(VALU_DEP_2)
	v_cndmask_b32_e64 v98, 0x80000000, -1, s23
	v_and_b32_e32 v2, s30, v2
	s_delay_alu instid0(VALU_DEP_1) | instskip(SKIP_3) | instid1(VALU_DEP_1)
	v_lshlrev_b32_e32 v2, 2, v2
	ds_load_b32 v2, v2
	s_waitcnt lgkmcnt(0)
	v_add_nc_u32_e32 v19, v2, v40
	v_lshlrev_b64 v[2:3], 2, v[19:20]
	v_xor_b32_e32 v19, v98, v30
	s_delay_alu instid0(VALU_DEP_2) | instskip(NEXT) | instid1(VALU_DEP_1)
	v_add_co_u32 v2, s23, s46, v2
	v_add_co_ci_u32_e64 v3, s23, s47, v3, s23
	global_store_b32 v[2:3], v19, off
	s_or_b32 exec_lo, exec_lo, s24
	v_cmp_lt_u32_e64 s23, v42, v0
	s_delay_alu instid0(VALU_DEP_1)
	s_and_saveexec_b32 s37, s23
	s_cbranch_execnz .LBB1465_126
	s_branch .LBB1465_127
.LBB1465_119:                           ;   in Loop: Header=BB1465_71 Depth=2
	s_or_b32 exec_lo, exec_lo, s18
	v_cmp_lt_u32_e64 s17, v32, v0
	s_delay_alu instid0(VALU_DEP_1)
	s_and_saveexec_b32 s19, s17
	s_cbranch_execz .LBB1465_113
.LBB1465_120:                           ;   in Loop: Header=BB1465_71 Depth=2
	ds_load_b32 v30, v58 offset:1024
	s_waitcnt lgkmcnt(0)
	v_cmp_ne_u32_e64 s18, 0x7fffffff, v30
	s_delay_alu instid0(VALU_DEP_1) | instskip(SKIP_1) | instid1(VALU_DEP_2)
	v_cndmask_b32_e64 v2, 0x80000000, v30, s18
	v_cmp_lt_i32_e64 s18, -1, v30
	v_lshrrev_b32_e32 v2, s25, v2
	s_delay_alu instid0(VALU_DEP_2) | instskip(NEXT) | instid1(VALU_DEP_2)
	v_cndmask_b32_e64 v98, 0x80000000, -1, s18
	v_and_b32_e32 v2, s30, v2
	s_delay_alu instid0(VALU_DEP_1) | instskip(SKIP_3) | instid1(VALU_DEP_1)
	v_lshlrev_b32_e32 v2, 2, v2
	ds_load_b32 v2, v2
	s_waitcnt lgkmcnt(0)
	v_add_nc_u32_e32 v19, v2, v32
	v_lshlrev_b64 v[2:3], 2, v[19:20]
	v_xor_b32_e32 v19, v98, v30
	s_delay_alu instid0(VALU_DEP_2) | instskip(NEXT) | instid1(VALU_DEP_1)
	v_add_co_u32 v2, s18, s46, v2
	v_add_co_ci_u32_e64 v3, s18, s47, v3, s18
	global_store_b32 v[2:3], v19, off
	s_or_b32 exec_lo, exec_lo, s19
	v_cmp_lt_u32_e64 s18, v33, v0
	s_delay_alu instid0(VALU_DEP_1)
	s_and_saveexec_b32 s20, s18
	s_cbranch_execnz .LBB1465_114
.LBB1465_121:                           ;   in Loop: Header=BB1465_71 Depth=2
	s_or_b32 exec_lo, exec_lo, s20
	v_cmp_lt_u32_e64 s19, v34, v0
	s_delay_alu instid0(VALU_DEP_1)
	s_and_saveexec_b32 s21, s19
	s_cbranch_execz .LBB1465_115
.LBB1465_122:                           ;   in Loop: Header=BB1465_71 Depth=2
	ds_load_b32 v30, v58 offset:3072
	s_waitcnt lgkmcnt(0)
	v_cmp_ne_u32_e64 s20, 0x7fffffff, v30
	s_delay_alu instid0(VALU_DEP_1) | instskip(SKIP_1) | instid1(VALU_DEP_2)
	v_cndmask_b32_e64 v2, 0x80000000, v30, s20
	v_cmp_lt_i32_e64 s20, -1, v30
	v_lshrrev_b32_e32 v2, s25, v2
	s_delay_alu instid0(VALU_DEP_2) | instskip(NEXT) | instid1(VALU_DEP_2)
	v_cndmask_b32_e64 v98, 0x80000000, -1, s20
	v_and_b32_e32 v2, s30, v2
	s_delay_alu instid0(VALU_DEP_1) | instskip(SKIP_3) | instid1(VALU_DEP_1)
	v_lshlrev_b32_e32 v2, 2, v2
	ds_load_b32 v2, v2
	s_waitcnt lgkmcnt(0)
	v_add_nc_u32_e32 v19, v2, v34
	v_lshlrev_b64 v[2:3], 2, v[19:20]
	v_xor_b32_e32 v19, v98, v30
	s_delay_alu instid0(VALU_DEP_2) | instskip(NEXT) | instid1(VALU_DEP_1)
	v_add_co_u32 v2, s20, s46, v2
	v_add_co_ci_u32_e64 v3, s20, s47, v3, s20
	global_store_b32 v[2:3], v19, off
	s_or_b32 exec_lo, exec_lo, s21
	v_cmp_lt_u32_e64 s20, v38, v0
	s_delay_alu instid0(VALU_DEP_1)
	s_and_saveexec_b32 s22, s20
	s_cbranch_execnz .LBB1465_116
.LBB1465_123:                           ;   in Loop: Header=BB1465_71 Depth=2
	s_or_b32 exec_lo, exec_lo, s22
	v_cmp_lt_u32_e64 s21, v39, v0
	s_delay_alu instid0(VALU_DEP_1)
	s_and_saveexec_b32 s23, s21
	s_cbranch_execz .LBB1465_117
.LBB1465_124:                           ;   in Loop: Header=BB1465_71 Depth=2
	ds_load_b32 v30, v58 offset:5120
	s_waitcnt lgkmcnt(0)
	v_cmp_ne_u32_e64 s22, 0x7fffffff, v30
	s_delay_alu instid0(VALU_DEP_1) | instskip(SKIP_1) | instid1(VALU_DEP_2)
	v_cndmask_b32_e64 v2, 0x80000000, v30, s22
	v_cmp_lt_i32_e64 s22, -1, v30
	v_lshrrev_b32_e32 v2, s25, v2
	s_delay_alu instid0(VALU_DEP_2) | instskip(NEXT) | instid1(VALU_DEP_2)
	v_cndmask_b32_e64 v98, 0x80000000, -1, s22
	v_and_b32_e32 v2, s30, v2
	s_delay_alu instid0(VALU_DEP_1) | instskip(SKIP_3) | instid1(VALU_DEP_1)
	v_lshlrev_b32_e32 v2, 2, v2
	ds_load_b32 v2, v2
	s_waitcnt lgkmcnt(0)
	v_add_nc_u32_e32 v19, v2, v39
	v_lshlrev_b64 v[2:3], 2, v[19:20]
	v_xor_b32_e32 v19, v98, v30
	s_delay_alu instid0(VALU_DEP_2) | instskip(NEXT) | instid1(VALU_DEP_1)
	v_add_co_u32 v2, s22, s46, v2
	v_add_co_ci_u32_e64 v3, s22, s47, v3, s22
	global_store_b32 v[2:3], v19, off
	s_or_b32 exec_lo, exec_lo, s23
	v_cmp_lt_u32_e64 s22, v40, v0
	s_delay_alu instid0(VALU_DEP_1)
	s_and_saveexec_b32 s24, s22
	s_cbranch_execnz .LBB1465_118
.LBB1465_125:                           ;   in Loop: Header=BB1465_71 Depth=2
	s_or_b32 exec_lo, exec_lo, s24
	v_cmp_lt_u32_e64 s23, v42, v0
	s_delay_alu instid0(VALU_DEP_1)
	s_and_saveexec_b32 s37, s23
	s_cbranch_execz .LBB1465_127
.LBB1465_126:                           ;   in Loop: Header=BB1465_71 Depth=2
	ds_load_b32 v30, v58 offset:7168
	s_waitcnt lgkmcnt(0)
	v_cmp_ne_u32_e64 s24, 0x7fffffff, v30
	s_delay_alu instid0(VALU_DEP_1) | instskip(SKIP_1) | instid1(VALU_DEP_2)
	v_cndmask_b32_e64 v2, 0x80000000, v30, s24
	v_cmp_lt_i32_e64 s24, -1, v30
	v_lshrrev_b32_e32 v2, s25, v2
	s_delay_alu instid0(VALU_DEP_2) | instskip(NEXT) | instid1(VALU_DEP_2)
	v_cndmask_b32_e64 v98, 0x80000000, -1, s24
	v_and_b32_e32 v2, s30, v2
	s_delay_alu instid0(VALU_DEP_1) | instskip(SKIP_3) | instid1(VALU_DEP_1)
	v_lshlrev_b32_e32 v2, 2, v2
	ds_load_b32 v2, v2
	s_waitcnt lgkmcnt(0)
	v_add_nc_u32_e32 v19, v2, v42
	v_lshlrev_b64 v[2:3], 2, v[19:20]
	v_xor_b32_e32 v19, v98, v30
	s_delay_alu instid0(VALU_DEP_2) | instskip(NEXT) | instid1(VALU_DEP_1)
	v_add_co_u32 v2, s24, s46, v2
	v_add_co_ci_u32_e64 v3, s24, s47, v3, s24
	global_store_b32 v[2:3], v19, off
.LBB1465_127:                           ;   in Loop: Header=BB1465_71 Depth=2
	s_or_b32 exec_lo, exec_lo, s37
	s_lshl_b64 s[38:39], s[26:27], 3
	s_delay_alu instid0(SALU_CYCLE_1) | instskip(NEXT) | instid1(VALU_DEP_1)
	v_add_co_u32 v2, s24, v75, s38
	v_add_co_ci_u32_e64 v3, s24, s39, v76, s24
	v_cmp_lt_u32_e64 s24, v74, v0
	s_delay_alu instid0(VALU_DEP_1) | instskip(NEXT) | instid1(SALU_CYCLE_1)
	s_and_saveexec_b32 s26, s24
	s_xor_b32 s24, exec_lo, s26
	s_cbranch_execz .LBB1465_143
; %bb.128:                              ;   in Loop: Header=BB1465_71 Depth=2
	global_load_b64 v[27:28], v[2:3], off
	s_or_b32 exec_lo, exec_lo, s24
	s_delay_alu instid0(SALU_CYCLE_1)
	s_mov_b32 s26, exec_lo
	v_cmpx_lt_u32_e64 v77, v0
	s_cbranch_execnz .LBB1465_144
.LBB1465_129:                           ;   in Loop: Header=BB1465_71 Depth=2
	s_or_b32 exec_lo, exec_lo, s26
	s_delay_alu instid0(SALU_CYCLE_1)
	s_mov_b32 s26, exec_lo
	v_cmpx_lt_u32_e64 v78, v0
	s_cbranch_execz .LBB1465_145
.LBB1465_130:                           ;   in Loop: Header=BB1465_71 Depth=2
	global_load_b64 v[23:24], v[2:3], off offset:512
	s_or_b32 exec_lo, exec_lo, s26
	s_delay_alu instid0(SALU_CYCLE_1)
	s_mov_b32 s26, exec_lo
	v_cmpx_lt_u32_e64 v79, v0
	s_cbranch_execnz .LBB1465_146
.LBB1465_131:                           ;   in Loop: Header=BB1465_71 Depth=2
	s_or_b32 exec_lo, exec_lo, s26
	s_delay_alu instid0(SALU_CYCLE_1)
	s_mov_b32 s26, exec_lo
	v_cmpx_lt_u32_e64 v80, v0
	s_cbranch_execz .LBB1465_147
.LBB1465_132:                           ;   in Loop: Header=BB1465_71 Depth=2
	global_load_b64 v[16:17], v[2:3], off offset:1024
	s_or_b32 exec_lo, exec_lo, s26
	s_delay_alu instid0(SALU_CYCLE_1)
	s_mov_b32 s26, exec_lo
	v_cmpx_lt_u32_e64 v81, v0
	s_cbranch_execnz .LBB1465_148
.LBB1465_133:                           ;   in Loop: Header=BB1465_71 Depth=2
	s_or_b32 exec_lo, exec_lo, s26
	s_delay_alu instid0(SALU_CYCLE_1)
	s_mov_b32 s26, exec_lo
	v_cmpx_lt_u32_e64 v82, v0
	s_cbranch_execz .LBB1465_149
.LBB1465_134:                           ;   in Loop: Header=BB1465_71 Depth=2
	global_load_b64 v[12:13], v[2:3], off offset:1536
	s_or_b32 exec_lo, exec_lo, s26
	s_delay_alu instid0(SALU_CYCLE_1)
	s_mov_b32 s26, exec_lo
	v_cmpx_lt_u32_e64 v83, v0
	s_cbranch_execnz .LBB1465_150
.LBB1465_135:                           ;   in Loop: Header=BB1465_71 Depth=2
	s_or_b32 exec_lo, exec_lo, s26
	s_and_saveexec_b32 s26, vcc_lo
	s_cbranch_execz .LBB1465_151
.LBB1465_136:                           ;   in Loop: Header=BB1465_71 Depth=2
	ds_load_b32 v0, v52 offset:1024
	s_waitcnt lgkmcnt(0)
	v_cmp_ne_u32_e64 s24, 0x7fffffff, v0
	s_delay_alu instid0(VALU_DEP_1) | instskip(NEXT) | instid1(VALU_DEP_1)
	v_cndmask_b32_e64 v0, 0x80000000, v0, s24
	v_lshrrev_b32_e32 v0, s25, v0
	s_delay_alu instid0(VALU_DEP_1)
	v_and_b32_e32 v96, s30, v0
	s_or_b32 exec_lo, exec_lo, s26
	s_and_saveexec_b32 s26, s17
	s_cbranch_execnz .LBB1465_152
.LBB1465_137:                           ;   in Loop: Header=BB1465_71 Depth=2
	s_or_b32 exec_lo, exec_lo, s26
	s_and_saveexec_b32 s26, s18
	s_cbranch_execz .LBB1465_153
.LBB1465_138:                           ;   in Loop: Header=BB1465_71 Depth=2
	ds_load_b32 v0, v58 offset:2048
	s_waitcnt lgkmcnt(0)
	v_cmp_ne_u32_e64 s24, 0x7fffffff, v0
	s_delay_alu instid0(VALU_DEP_1) | instskip(NEXT) | instid1(VALU_DEP_1)
	v_cndmask_b32_e64 v0, 0x80000000, v0, s24
	v_lshrrev_b32_e32 v0, s25, v0
	s_delay_alu instid0(VALU_DEP_1)
	v_and_b32_e32 v94, s30, v0
	s_or_b32 exec_lo, exec_lo, s26
	s_and_saveexec_b32 s26, s19
	s_cbranch_execnz .LBB1465_154
.LBB1465_139:                           ;   in Loop: Header=BB1465_71 Depth=2
	s_or_b32 exec_lo, exec_lo, s26
	s_and_saveexec_b32 s26, s20
	s_cbranch_execz .LBB1465_155
.LBB1465_140:                           ;   in Loop: Header=BB1465_71 Depth=2
	ds_load_b32 v0, v58 offset:4096
	s_waitcnt lgkmcnt(0)
	v_cmp_ne_u32_e64 s24, 0x7fffffff, v0
	s_delay_alu instid0(VALU_DEP_1) | instskip(NEXT) | instid1(VALU_DEP_1)
	v_cndmask_b32_e64 v0, 0x80000000, v0, s24
	v_lshrrev_b32_e32 v0, s25, v0
	s_delay_alu instid0(VALU_DEP_1)
	v_and_b32_e32 v92, s30, v0
	s_or_b32 exec_lo, exec_lo, s26
	s_and_saveexec_b32 s26, s21
	s_cbranch_execnz .LBB1465_156
.LBB1465_141:                           ;   in Loop: Header=BB1465_71 Depth=2
	s_or_b32 exec_lo, exec_lo, s26
	s_and_saveexec_b32 s26, s22
	s_cbranch_execz .LBB1465_157
.LBB1465_142:                           ;   in Loop: Header=BB1465_71 Depth=2
	ds_load_b32 v0, v58 offset:6144
	s_waitcnt lgkmcnt(0)
	v_cmp_ne_u32_e64 s24, 0x7fffffff, v0
	s_delay_alu instid0(VALU_DEP_1) | instskip(NEXT) | instid1(VALU_DEP_1)
	v_cndmask_b32_e64 v0, 0x80000000, v0, s24
	v_lshrrev_b32_e32 v0, s25, v0
	s_delay_alu instid0(VALU_DEP_1)
	v_and_b32_e32 v90, s30, v0
	s_or_b32 exec_lo, exec_lo, s26
	s_and_saveexec_b32 s26, s23
	s_cbranch_execnz .LBB1465_158
	s_branch .LBB1465_159
.LBB1465_143:                           ;   in Loop: Header=BB1465_71 Depth=2
	s_or_b32 exec_lo, exec_lo, s24
	s_delay_alu instid0(SALU_CYCLE_1)
	s_mov_b32 s26, exec_lo
	v_cmpx_lt_u32_e64 v77, v0
	s_cbranch_execz .LBB1465_129
.LBB1465_144:                           ;   in Loop: Header=BB1465_71 Depth=2
	global_load_b64 v[25:26], v[2:3], off offset:256
	s_or_b32 exec_lo, exec_lo, s26
	s_delay_alu instid0(SALU_CYCLE_1)
	s_mov_b32 s26, exec_lo
	v_cmpx_lt_u32_e64 v78, v0
	s_cbranch_execnz .LBB1465_130
.LBB1465_145:                           ;   in Loop: Header=BB1465_71 Depth=2
	s_or_b32 exec_lo, exec_lo, s26
	s_delay_alu instid0(SALU_CYCLE_1)
	s_mov_b32 s26, exec_lo
	v_cmpx_lt_u32_e64 v79, v0
	s_cbranch_execz .LBB1465_131
.LBB1465_146:                           ;   in Loop: Header=BB1465_71 Depth=2
	global_load_b64 v[21:22], v[2:3], off offset:768
	s_or_b32 exec_lo, exec_lo, s26
	s_delay_alu instid0(SALU_CYCLE_1)
	s_mov_b32 s26, exec_lo
	v_cmpx_lt_u32_e64 v80, v0
	s_cbranch_execnz .LBB1465_132
.LBB1465_147:                           ;   in Loop: Header=BB1465_71 Depth=2
	s_or_b32 exec_lo, exec_lo, s26
	s_delay_alu instid0(SALU_CYCLE_1)
	s_mov_b32 s26, exec_lo
	v_cmpx_lt_u32_e64 v81, v0
	s_cbranch_execz .LBB1465_133
.LBB1465_148:                           ;   in Loop: Header=BB1465_71 Depth=2
	global_load_b64 v[14:15], v[2:3], off offset:1280
	s_or_b32 exec_lo, exec_lo, s26
	s_delay_alu instid0(SALU_CYCLE_1)
	s_mov_b32 s26, exec_lo
	v_cmpx_lt_u32_e64 v82, v0
	s_cbranch_execnz .LBB1465_134
.LBB1465_149:                           ;   in Loop: Header=BB1465_71 Depth=2
	s_or_b32 exec_lo, exec_lo, s26
	s_delay_alu instid0(SALU_CYCLE_1)
	s_mov_b32 s26, exec_lo
	v_cmpx_lt_u32_e64 v83, v0
	s_cbranch_execz .LBB1465_135
.LBB1465_150:                           ;   in Loop: Header=BB1465_71 Depth=2
	global_load_b64 v[10:11], v[2:3], off offset:1792
	s_or_b32 exec_lo, exec_lo, s26
	s_and_saveexec_b32 s26, vcc_lo
	s_cbranch_execnz .LBB1465_136
.LBB1465_151:                           ;   in Loop: Header=BB1465_71 Depth=2
	s_or_b32 exec_lo, exec_lo, s26
	s_and_saveexec_b32 s26, s17
	s_cbranch_execz .LBB1465_137
.LBB1465_152:                           ;   in Loop: Header=BB1465_71 Depth=2
	ds_load_b32 v0, v58 offset:1024
	s_waitcnt lgkmcnt(0)
	v_cmp_ne_u32_e64 s24, 0x7fffffff, v0
	s_delay_alu instid0(VALU_DEP_1) | instskip(NEXT) | instid1(VALU_DEP_1)
	v_cndmask_b32_e64 v0, 0x80000000, v0, s24
	v_lshrrev_b32_e32 v0, s25, v0
	s_delay_alu instid0(VALU_DEP_1)
	v_and_b32_e32 v95, s30, v0
	s_or_b32 exec_lo, exec_lo, s26
	s_and_saveexec_b32 s26, s18
	s_cbranch_execnz .LBB1465_138
.LBB1465_153:                           ;   in Loop: Header=BB1465_71 Depth=2
	s_or_b32 exec_lo, exec_lo, s26
	s_and_saveexec_b32 s26, s19
	s_cbranch_execz .LBB1465_139
.LBB1465_154:                           ;   in Loop: Header=BB1465_71 Depth=2
	ds_load_b32 v0, v58 offset:3072
	s_waitcnt lgkmcnt(0)
	v_cmp_ne_u32_e64 s24, 0x7fffffff, v0
	s_delay_alu instid0(VALU_DEP_1) | instskip(NEXT) | instid1(VALU_DEP_1)
	v_cndmask_b32_e64 v0, 0x80000000, v0, s24
	v_lshrrev_b32_e32 v0, s25, v0
	s_delay_alu instid0(VALU_DEP_1)
	v_and_b32_e32 v93, s30, v0
	s_or_b32 exec_lo, exec_lo, s26
	s_and_saveexec_b32 s26, s20
	s_cbranch_execnz .LBB1465_140
.LBB1465_155:                           ;   in Loop: Header=BB1465_71 Depth=2
	s_or_b32 exec_lo, exec_lo, s26
	s_and_saveexec_b32 s26, s21
	s_cbranch_execz .LBB1465_141
.LBB1465_156:                           ;   in Loop: Header=BB1465_71 Depth=2
	ds_load_b32 v0, v58 offset:5120
	s_waitcnt lgkmcnt(0)
	v_cmp_ne_u32_e64 s24, 0x7fffffff, v0
	s_delay_alu instid0(VALU_DEP_1) | instskip(NEXT) | instid1(VALU_DEP_1)
	v_cndmask_b32_e64 v0, 0x80000000, v0, s24
	v_lshrrev_b32_e32 v0, s25, v0
	s_delay_alu instid0(VALU_DEP_1)
	v_and_b32_e32 v91, s30, v0
	s_or_b32 exec_lo, exec_lo, s26
	s_and_saveexec_b32 s26, s22
	s_cbranch_execnz .LBB1465_142
.LBB1465_157:                           ;   in Loop: Header=BB1465_71 Depth=2
	s_or_b32 exec_lo, exec_lo, s26
	s_and_saveexec_b32 s26, s23
	s_cbranch_execz .LBB1465_159
.LBB1465_158:                           ;   in Loop: Header=BB1465_71 Depth=2
	ds_load_b32 v0, v58 offset:7168
	s_waitcnt lgkmcnt(0)
	v_cmp_ne_u32_e64 s24, 0x7fffffff, v0
	s_delay_alu instid0(VALU_DEP_1) | instskip(NEXT) | instid1(VALU_DEP_1)
	v_cndmask_b32_e64 v0, 0x80000000, v0, s24
	v_lshrrev_b32_e32 v0, s25, v0
	s_delay_alu instid0(VALU_DEP_1)
	v_and_b32_e32 v89, s30, v0
.LBB1465_159:                           ;   in Loop: Header=BB1465_71 Depth=2
	s_or_b32 exec_lo, exec_lo, s26
	v_lshlrev_b32_e32 v0, 3, v101
	v_lshlrev_b32_e32 v2, 3, v97
	;; [unrolled: 1-line block ×3, first 2 shown]
	s_waitcnt vmcnt(0)
	s_waitcnt_vscnt null, 0x0
	s_barrier
	buffer_gl0_inv
	ds_store_b64 v0, v[27:28] offset:1024
	ds_store_b64 v2, v[25:26] offset:1024
	;; [unrolled: 1-line block ×3, first 2 shown]
	v_lshlrev_b32_e32 v0, 3, v7
	v_lshlrev_b32_e32 v2, 3, v6
	;; [unrolled: 1-line block ×5, first 2 shown]
	ds_store_b64 v0, v[21:22] offset:1024
	ds_store_b64 v2, v[16:17] offset:1024
	;; [unrolled: 1-line block ×5, first 2 shown]
	s_waitcnt lgkmcnt(0)
	s_barrier
	buffer_gl0_inv
	s_and_saveexec_b32 s24, vcc_lo
	s_cbranch_execz .LBB1465_167
; %bb.160:                              ;   in Loop: Header=BB1465_71 Depth=2
	v_lshlrev_b32_e32 v0, 2, v96
	v_add_nc_u32_e32 v2, v52, v31
	ds_load_b32 v0, v0
	ds_load_b64 v[2:3], v2 offset:1024
	s_waitcnt lgkmcnt(1)
	v_add_nc_u32_e32 v19, v0, v18
	s_delay_alu instid0(VALU_DEP_1) | instskip(NEXT) | instid1(VALU_DEP_1)
	v_lshlrev_b64 v[5:6], 3, v[19:20]
	v_add_co_u32 v5, vcc_lo, s52, v5
	s_delay_alu instid0(VALU_DEP_2)
	v_add_co_ci_u32_e32 v6, vcc_lo, s53, v6, vcc_lo
	s_waitcnt lgkmcnt(0)
	global_store_b64 v[5:6], v[2:3], off
	s_or_b32 exec_lo, exec_lo, s24
	s_and_saveexec_b32 s24, s17
	s_cbranch_execnz .LBB1465_168
.LBB1465_161:                           ;   in Loop: Header=BB1465_71 Depth=2
	s_or_b32 exec_lo, exec_lo, s24
	s_and_saveexec_b32 s17, s18
	s_cbranch_execz .LBB1465_169
.LBB1465_162:                           ;   in Loop: Header=BB1465_71 Depth=2
	v_lshlrev_b32_e32 v0, 2, v94
	v_add_nc_u32_e32 v2, v58, v31
	ds_load_b32 v0, v0
	ds_load_b64 v[2:3], v2 offset:4096
	s_waitcnt lgkmcnt(1)
	v_add_nc_u32_e32 v19, v0, v33
	s_delay_alu instid0(VALU_DEP_1) | instskip(NEXT) | instid1(VALU_DEP_1)
	v_lshlrev_b64 v[5:6], 3, v[19:20]
	v_add_co_u32 v5, vcc_lo, s52, v5
	s_delay_alu instid0(VALU_DEP_2)
	v_add_co_ci_u32_e32 v6, vcc_lo, s53, v6, vcc_lo
	s_waitcnt lgkmcnt(0)
	global_store_b64 v[5:6], v[2:3], off
	s_or_b32 exec_lo, exec_lo, s17
	s_and_saveexec_b32 s17, s19
	s_cbranch_execnz .LBB1465_170
.LBB1465_163:                           ;   in Loop: Header=BB1465_71 Depth=2
	s_or_b32 exec_lo, exec_lo, s17
	s_and_saveexec_b32 s17, s20
	s_cbranch_execz .LBB1465_171
.LBB1465_164:                           ;   in Loop: Header=BB1465_71 Depth=2
	v_lshlrev_b32_e32 v0, 2, v92
	v_add_nc_u32_e32 v2, v58, v31
	ds_load_b32 v0, v0
	ds_load_b64 v[2:3], v2 offset:8192
	s_waitcnt lgkmcnt(1)
	v_add_nc_u32_e32 v19, v0, v38
	s_delay_alu instid0(VALU_DEP_1) | instskip(NEXT) | instid1(VALU_DEP_1)
	v_lshlrev_b64 v[5:6], 3, v[19:20]
	v_add_co_u32 v5, vcc_lo, s52, v5
	s_delay_alu instid0(VALU_DEP_2)
	v_add_co_ci_u32_e32 v6, vcc_lo, s53, v6, vcc_lo
	s_waitcnt lgkmcnt(0)
	global_store_b64 v[5:6], v[2:3], off
	s_or_b32 exec_lo, exec_lo, s17
	s_and_saveexec_b32 s17, s21
	s_cbranch_execnz .LBB1465_172
.LBB1465_165:                           ;   in Loop: Header=BB1465_71 Depth=2
	s_or_b32 exec_lo, exec_lo, s17
	s_and_saveexec_b32 s17, s22
	s_cbranch_execz .LBB1465_173
.LBB1465_166:                           ;   in Loop: Header=BB1465_71 Depth=2
	v_lshlrev_b32_e32 v0, 2, v90
	v_add_nc_u32_e32 v2, v58, v31
	ds_load_b32 v0, v0
	ds_load_b64 v[2:3], v2 offset:12288
	s_waitcnt lgkmcnt(1)
	v_add_nc_u32_e32 v19, v0, v40
	s_delay_alu instid0(VALU_DEP_1) | instskip(NEXT) | instid1(VALU_DEP_1)
	v_lshlrev_b64 v[5:6], 3, v[19:20]
	v_add_co_u32 v5, vcc_lo, s52, v5
	s_delay_alu instid0(VALU_DEP_2)
	v_add_co_ci_u32_e32 v6, vcc_lo, s53, v6, vcc_lo
	s_waitcnt lgkmcnt(0)
	global_store_b64 v[5:6], v[2:3], off
	s_or_b32 exec_lo, exec_lo, s17
	s_and_saveexec_b32 s17, s23
	s_cbranch_execnz .LBB1465_174
	s_branch .LBB1465_175
.LBB1465_167:                           ;   in Loop: Header=BB1465_71 Depth=2
	s_or_b32 exec_lo, exec_lo, s24
	s_and_saveexec_b32 s24, s17
	s_cbranch_execz .LBB1465_161
.LBB1465_168:                           ;   in Loop: Header=BB1465_71 Depth=2
	v_lshlrev_b32_e32 v0, 2, v95
	v_add_nc_u32_e32 v2, v58, v31
	ds_load_b32 v0, v0
	ds_load_b64 v[2:3], v2 offset:2048
	s_waitcnt lgkmcnt(1)
	v_add_nc_u32_e32 v19, v0, v32
	s_delay_alu instid0(VALU_DEP_1) | instskip(NEXT) | instid1(VALU_DEP_1)
	v_lshlrev_b64 v[5:6], 3, v[19:20]
	v_add_co_u32 v5, vcc_lo, s52, v5
	s_delay_alu instid0(VALU_DEP_2)
	v_add_co_ci_u32_e32 v6, vcc_lo, s53, v6, vcc_lo
	s_waitcnt lgkmcnt(0)
	global_store_b64 v[5:6], v[2:3], off
	s_or_b32 exec_lo, exec_lo, s24
	s_and_saveexec_b32 s17, s18
	s_cbranch_execnz .LBB1465_162
.LBB1465_169:                           ;   in Loop: Header=BB1465_71 Depth=2
	s_or_b32 exec_lo, exec_lo, s17
	s_and_saveexec_b32 s17, s19
	s_cbranch_execz .LBB1465_163
.LBB1465_170:                           ;   in Loop: Header=BB1465_71 Depth=2
	v_lshlrev_b32_e32 v0, 2, v93
	v_add_nc_u32_e32 v2, v58, v31
	ds_load_b32 v0, v0
	ds_load_b64 v[2:3], v2 offset:6144
	s_waitcnt lgkmcnt(1)
	v_add_nc_u32_e32 v19, v0, v34
	s_delay_alu instid0(VALU_DEP_1) | instskip(NEXT) | instid1(VALU_DEP_1)
	v_lshlrev_b64 v[5:6], 3, v[19:20]
	v_add_co_u32 v5, vcc_lo, s52, v5
	s_delay_alu instid0(VALU_DEP_2)
	v_add_co_ci_u32_e32 v6, vcc_lo, s53, v6, vcc_lo
	s_waitcnt lgkmcnt(0)
	global_store_b64 v[5:6], v[2:3], off
	s_or_b32 exec_lo, exec_lo, s17
	s_and_saveexec_b32 s17, s20
	s_cbranch_execnz .LBB1465_164
.LBB1465_171:                           ;   in Loop: Header=BB1465_71 Depth=2
	s_or_b32 exec_lo, exec_lo, s17
	s_and_saveexec_b32 s17, s21
	s_cbranch_execz .LBB1465_165
.LBB1465_172:                           ;   in Loop: Header=BB1465_71 Depth=2
	v_lshlrev_b32_e32 v0, 2, v91
	v_add_nc_u32_e32 v2, v58, v31
	ds_load_b32 v0, v0
	ds_load_b64 v[2:3], v2 offset:10240
	s_waitcnt lgkmcnt(1)
	v_add_nc_u32_e32 v19, v0, v39
	s_delay_alu instid0(VALU_DEP_1) | instskip(NEXT) | instid1(VALU_DEP_1)
	v_lshlrev_b64 v[5:6], 3, v[19:20]
	v_add_co_u32 v5, vcc_lo, s52, v5
	s_delay_alu instid0(VALU_DEP_2)
	v_add_co_ci_u32_e32 v6, vcc_lo, s53, v6, vcc_lo
	s_waitcnt lgkmcnt(0)
	global_store_b64 v[5:6], v[2:3], off
	s_or_b32 exec_lo, exec_lo, s17
	s_and_saveexec_b32 s17, s22
	s_cbranch_execnz .LBB1465_166
.LBB1465_173:                           ;   in Loop: Header=BB1465_71 Depth=2
	s_or_b32 exec_lo, exec_lo, s17
	s_and_saveexec_b32 s17, s23
	s_cbranch_execz .LBB1465_175
.LBB1465_174:                           ;   in Loop: Header=BB1465_71 Depth=2
	v_lshlrev_b32_e32 v0, 2, v89
	v_add_nc_u32_e32 v2, v58, v31
	ds_load_b32 v0, v0
	ds_load_b64 v[2:3], v2 offset:14336
	s_waitcnt lgkmcnt(1)
	v_add_nc_u32_e32 v19, v0, v42
	s_delay_alu instid0(VALU_DEP_1) | instskip(NEXT) | instid1(VALU_DEP_1)
	v_lshlrev_b64 v[5:6], 3, v[19:20]
	v_add_co_u32 v5, vcc_lo, s52, v5
	s_delay_alu instid0(VALU_DEP_2)
	v_add_co_ci_u32_e32 v6, vcc_lo, s53, v6, vcc_lo
	s_waitcnt lgkmcnt(0)
	global_store_b64 v[5:6], v[2:3], off
.LBB1465_175:                           ;   in Loop: Header=BB1465_71 Depth=2
	s_or_b32 exec_lo, exec_lo, s17
	s_waitcnt_vscnt null, 0x0
	s_barrier
	buffer_gl0_inv
	s_and_saveexec_b32 s17, s2
	s_cbranch_execz .LBB1465_70
; %bb.176:                              ;   in Loop: Header=BB1465_71 Depth=2
	ds_load_b32 v0, v31
	s_waitcnt lgkmcnt(0)
	v_add_nc_u32_e32 v0, v0, v4
	ds_store_b32 v31, v0
	s_branch .LBB1465_70
.LBB1465_177:                           ;   in Loop: Header=BB1465_71 Depth=2
	s_or_b32 exec_lo, exec_lo, s17
	s_delay_alu instid0(SALU_CYCLE_1)
	s_mov_b32 s17, exec_lo
	v_cmpx_gt_u32_e64 s31, v77
	s_cbranch_execz .LBB1465_76
.LBB1465_178:                           ;   in Loop: Header=BB1465_71 Depth=2
	global_load_b32 v3, v[29:30], off offset:128
	s_or_b32 exec_lo, exec_lo, s17
	s_delay_alu instid0(SALU_CYCLE_1)
	s_mov_b32 s17, exec_lo
	v_cmpx_gt_u32_e64 s31, v78
	s_cbranch_execnz .LBB1465_77
.LBB1465_179:                           ;   in Loop: Header=BB1465_71 Depth=2
	s_or_b32 exec_lo, exec_lo, s17
	s_delay_alu instid0(SALU_CYCLE_1)
	s_mov_b32 s17, exec_lo
	v_cmpx_gt_u32_e64 s31, v79
	s_cbranch_execz .LBB1465_78
.LBB1465_180:                           ;   in Loop: Header=BB1465_71 Depth=2
	global_load_b32 v5, v[29:30], off offset:384
	s_or_b32 exec_lo, exec_lo, s17
	s_delay_alu instid0(SALU_CYCLE_1)
	s_mov_b32 s17, exec_lo
	v_cmpx_gt_u32_e64 s31, v80
	s_cbranch_execnz .LBB1465_79
.LBB1465_181:                           ;   in Loop: Header=BB1465_71 Depth=2
	s_or_b32 exec_lo, exec_lo, s17
	s_delay_alu instid0(SALU_CYCLE_1)
	s_mov_b32 s17, exec_lo
	v_cmpx_gt_u32_e64 s31, v81
	s_cbranch_execz .LBB1465_80
.LBB1465_182:                           ;   in Loop: Header=BB1465_71 Depth=2
	global_load_b32 v7, v[29:30], off offset:640
	s_or_b32 exec_lo, exec_lo, s17
	s_delay_alu instid0(SALU_CYCLE_1)
	s_mov_b32 s17, exec_lo
	v_cmpx_gt_u32_e64 s31, v82
	s_cbranch_execnz .LBB1465_81
	s_branch .LBB1465_82
.LBB1465_183:                           ;   in Loop: Header=BB1465_17 Depth=1
	s_waitcnt lgkmcnt(0)
	s_mov_b32 s1, 0
	s_barrier
.LBB1465_184:                           ;   in Loop: Header=BB1465_17 Depth=1
	s_and_b32 vcc_lo, exec_lo, s1
	s_cbranch_vccz .LBB1465_350
; %bb.185:                              ;   in Loop: Header=BB1465_17 Depth=1
	s_mov_b32 s1, s59
	s_mov_b32 s26, s33
	s_barrier
	buffer_gl0_inv
                                        ; implicit-def: $vgpr2_vgpr3_vgpr4_vgpr5_vgpr6_vgpr7_vgpr8_vgpr9
	s_branch .LBB1465_187
.LBB1465_186:                           ;   in Loop: Header=BB1465_187 Depth=2
	s_or_b32 exec_lo, exec_lo, s8
	s_addk_i32 s1, 0xf800
	s_cmp_ge_u32 s7, s34
	s_mov_b32 s26, s7
	s_cbranch_scc1 .LBB1465_225
.LBB1465_187:                           ;   Parent Loop BB1465_17 Depth=1
                                        ; =>  This Inner Loop Header: Depth=2
	s_add_i32 s7, s26, 0x800
	s_delay_alu instid0(SALU_CYCLE_1)
	s_cmp_gt_u32 s7, s34
	s_cbranch_scc1 .LBB1465_190
; %bb.188:                              ;   in Loop: Header=BB1465_187 Depth=2
	s_mov_b32 s9, 0
	s_mov_b32 s8, s26
	s_delay_alu instid0(SALU_CYCLE_1) | instskip(NEXT) | instid1(SALU_CYCLE_1)
	s_lshl_b64 s[10:11], s[8:9], 2
	v_add_co_u32 v21, vcc_lo, v59, s10
	v_add_co_ci_u32_e32 v22, vcc_lo, s11, v60, vcc_lo
	s_mov_b32 s10, -1
	s_waitcnt vmcnt(0)
	s_delay_alu instid0(VALU_DEP_2) | instskip(NEXT) | instid1(VALU_DEP_2)
	v_add_co_u32 v16, vcc_lo, 0x1000, v21
	v_add_co_ci_u32_e32 v17, vcc_lo, 0, v22, vcc_lo
	s_clause 0x6
	global_load_b32 v10, v[21:22], off
	global_load_b32 v11, v[21:22], off offset:1024
	global_load_b32 v12, v[21:22], off offset:2048
	;; [unrolled: 1-line block ×3, first 2 shown]
	global_load_b32 v14, v[16:17], off
	global_load_b32 v15, v[16:17], off offset:1024
	global_load_b32 v16, v[16:17], off offset:2048
	v_add_co_u32 v21, vcc_lo, 0x1c00, v21
	v_add_co_ci_u32_e32 v22, vcc_lo, 0, v22, vcc_lo
	s_movk_i32 s11, 0x800
	s_cbranch_execz .LBB1465_191
; %bb.189:                              ;   in Loop: Header=BB1465_187 Depth=2
                                        ; implicit-def: $vgpr2_vgpr3_vgpr4_vgpr5_vgpr6_vgpr7_vgpr8_vgpr9
	v_mov_b32_e32 v0, s1
	s_and_saveexec_b32 s8, s10
	s_cbranch_execnz .LBB1465_202
	s_branch .LBB1465_203
.LBB1465_190:                           ;   in Loop: Header=BB1465_187 Depth=2
	s_mov_b32 s10, 0
                                        ; implicit-def: $sgpr11
                                        ; implicit-def: $vgpr10_vgpr11_vgpr12_vgpr13_vgpr14_vgpr15_vgpr16_vgpr17
                                        ; implicit-def: $vgpr21_vgpr22
.LBB1465_191:                           ;   in Loop: Header=BB1465_187 Depth=2
	s_lshl_b64 s[8:9], s[26:27], 2
	s_mov_b32 s11, exec_lo
	s_add_u32 s8, s46, s8
	s_addc_u32 s9, s47, s9
	v_cmpx_gt_u32_e64 s1, v18
	s_cbranch_execz .LBB1465_219
; %bb.192:                              ;   in Loop: Header=BB1465_187 Depth=2
	v_lshlrev_b32_e32 v0, 2, v18
	global_load_b32 v2, v0, s[8:9]
	s_or_b32 exec_lo, exec_lo, s11
	s_delay_alu instid0(SALU_CYCLE_1)
	s_mov_b32 s11, exec_lo
	v_cmpx_gt_u32_e64 s1, v32
	s_cbranch_execnz .LBB1465_220
.LBB1465_193:                           ;   in Loop: Header=BB1465_187 Depth=2
	s_or_b32 exec_lo, exec_lo, s11
	s_delay_alu instid0(SALU_CYCLE_1)
	s_mov_b32 s11, exec_lo
	v_cmpx_gt_u32_e64 s1, v33
	s_cbranch_execz .LBB1465_221
.LBB1465_194:                           ;   in Loop: Header=BB1465_187 Depth=2
	v_lshlrev_b32_e32 v0, 2, v18
	global_load_b32 v4, v0, s[8:9] offset:2048
	s_or_b32 exec_lo, exec_lo, s11
	s_delay_alu instid0(SALU_CYCLE_1)
	s_mov_b32 s11, exec_lo
	v_cmpx_gt_u32_e64 s1, v34
	s_cbranch_execnz .LBB1465_222
.LBB1465_195:                           ;   in Loop: Header=BB1465_187 Depth=2
	s_or_b32 exec_lo, exec_lo, s11
	s_delay_alu instid0(SALU_CYCLE_1)
	s_mov_b32 s11, exec_lo
	v_cmpx_gt_u32_e64 s1, v38
	s_cbranch_execz .LBB1465_223
.LBB1465_196:                           ;   in Loop: Header=BB1465_187 Depth=2
	v_lshlrev_b32_e32 v0, 2, v38
	global_load_b32 v6, v0, s[8:9]
	s_or_b32 exec_lo, exec_lo, s11
	s_delay_alu instid0(SALU_CYCLE_1)
	s_mov_b32 s11, exec_lo
	v_cmpx_gt_u32_e64 s1, v39
	s_cbranch_execnz .LBB1465_224
.LBB1465_197:                           ;   in Loop: Header=BB1465_187 Depth=2
	s_or_b32 exec_lo, exec_lo, s11
	s_delay_alu instid0(SALU_CYCLE_1)
	s_mov_b32 s11, exec_lo
	v_cmpx_gt_u32_e64 s1, v40
	s_cbranch_execz .LBB1465_199
.LBB1465_198:                           ;   in Loop: Header=BB1465_187 Depth=2
	v_lshlrev_b32_e32 v0, 2, v40
	global_load_b32 v8, v0, s[8:9]
.LBB1465_199:                           ;   in Loop: Header=BB1465_187 Depth=2
	s_or_b32 exec_lo, exec_lo, s11
	s_delay_alu instid0(SALU_CYCLE_1)
	s_mov_b32 s12, exec_lo
                                        ; implicit-def: $sgpr11
                                        ; implicit-def: $vgpr21_vgpr22
	v_cmpx_gt_u32_e64 s1, v42
; %bb.200:                              ;   in Loop: Header=BB1465_187 Depth=2
	v_lshlrev_b32_e32 v0, 2, v42
	s_sub_i32 s11, s34, s26
	s_or_b32 s10, s10, exec_lo
	s_delay_alu instid0(VALU_DEP_1) | instskip(NEXT) | instid1(VALU_DEP_1)
	v_add_co_u32 v21, s8, s8, v0
	v_add_co_ci_u32_e64 v22, null, s9, 0, s8
; %bb.201:                              ;   in Loop: Header=BB1465_187 Depth=2
	s_or_b32 exec_lo, exec_lo, s12
	s_waitcnt vmcnt(0)
	v_dual_mov_b32 v17, v9 :: v_dual_mov_b32 v16, v8
	v_dual_mov_b32 v15, v7 :: v_dual_mov_b32 v14, v6
	;; [unrolled: 1-line block ×4, first 2 shown]
	v_mov_b32_e32 v0, s1
	s_and_saveexec_b32 s8, s10
	s_cbranch_execz .LBB1465_203
.LBB1465_202:                           ;   in Loop: Header=BB1465_187 Depth=2
	global_load_b32 v17, v[21:22], off
	s_waitcnt vmcnt(0)
	v_dual_mov_b32 v2, v10 :: v_dual_mov_b32 v5, v13
	v_dual_mov_b32 v0, s11 :: v_dual_mov_b32 v3, v11
	;; [unrolled: 1-line block ×3, first 2 shown]
	v_mov_b32_e32 v6, v14
	v_dual_mov_b32 v8, v16 :: v_dual_mov_b32 v9, v17
.LBB1465_203:                           ;   in Loop: Header=BB1465_187 Depth=2
	s_or_b32 exec_lo, exec_lo, s8
	s_delay_alu instid0(SALU_CYCLE_1)
	s_mov_b32 s8, exec_lo
	v_cmpx_lt_u32_e64 v18, v0
	s_cbranch_execz .LBB1465_211
; %bb.204:                              ;   in Loop: Header=BB1465_187 Depth=2
	v_cmp_lt_i32_e32 vcc_lo, -1, v2
	s_waitcnt vmcnt(5)
	v_lshlrev_b32_e32 v11, 2, v35
	v_cndmask_b32_e64 v10, -1, 0x80000000, vcc_lo
	s_delay_alu instid0(VALU_DEP_1) | instskip(NEXT) | instid1(VALU_DEP_1)
	v_xor_b32_e32 v10, v10, v2
	v_cmp_ne_u32_e32 vcc_lo, 0x7fffffff, v10
	v_cndmask_b32_e32 v10, 0x80000000, v10, vcc_lo
	s_delay_alu instid0(VALU_DEP_1) | instskip(NEXT) | instid1(VALU_DEP_1)
	v_lshrrev_b32_e32 v10, s25, v10
	v_and_b32_e32 v10, s30, v10
	s_delay_alu instid0(VALU_DEP_1) | instskip(SKIP_2) | instid1(SALU_CYCLE_1)
	v_lshl_or_b32 v10, v10, 4, v11
	ds_add_u32 v10, v71
	s_or_b32 exec_lo, exec_lo, s8
	s_mov_b32 s8, exec_lo
	v_cmpx_lt_u32_e64 v32, v0
	s_cbranch_execnz .LBB1465_212
.LBB1465_205:                           ;   in Loop: Header=BB1465_187 Depth=2
	s_or_b32 exec_lo, exec_lo, s8
	s_delay_alu instid0(SALU_CYCLE_1)
	s_mov_b32 s8, exec_lo
	v_cmpx_lt_u32_e64 v33, v0
	s_cbranch_execz .LBB1465_213
.LBB1465_206:                           ;   in Loop: Header=BB1465_187 Depth=2
	v_cmp_lt_i32_e32 vcc_lo, -1, v4
	s_waitcnt vmcnt(5)
	v_lshlrev_b32_e32 v11, 2, v35
	v_cndmask_b32_e64 v10, -1, 0x80000000, vcc_lo
	s_delay_alu instid0(VALU_DEP_1) | instskip(NEXT) | instid1(VALU_DEP_1)
	v_xor_b32_e32 v10, v10, v4
	v_cmp_ne_u32_e32 vcc_lo, 0x7fffffff, v10
	v_cndmask_b32_e32 v10, 0x80000000, v10, vcc_lo
	s_delay_alu instid0(VALU_DEP_1) | instskip(NEXT) | instid1(VALU_DEP_1)
	v_lshrrev_b32_e32 v10, s25, v10
	v_and_b32_e32 v10, s30, v10
	s_delay_alu instid0(VALU_DEP_1) | instskip(SKIP_2) | instid1(SALU_CYCLE_1)
	v_lshl_or_b32 v10, v10, 4, v11
	ds_add_u32 v10, v71
	s_or_b32 exec_lo, exec_lo, s8
	s_mov_b32 s8, exec_lo
	v_cmpx_lt_u32_e64 v34, v0
	s_cbranch_execnz .LBB1465_214
.LBB1465_207:                           ;   in Loop: Header=BB1465_187 Depth=2
	s_or_b32 exec_lo, exec_lo, s8
	s_delay_alu instid0(SALU_CYCLE_1)
	s_mov_b32 s8, exec_lo
	v_cmpx_lt_u32_e64 v38, v0
	s_cbranch_execz .LBB1465_215
.LBB1465_208:                           ;   in Loop: Header=BB1465_187 Depth=2
	v_cmp_lt_i32_e32 vcc_lo, -1, v6
	s_waitcnt vmcnt(5)
	v_lshlrev_b32_e32 v11, 2, v35
	v_cndmask_b32_e64 v10, -1, 0x80000000, vcc_lo
	s_delay_alu instid0(VALU_DEP_1) | instskip(NEXT) | instid1(VALU_DEP_1)
	v_xor_b32_e32 v10, v10, v6
	v_cmp_ne_u32_e32 vcc_lo, 0x7fffffff, v10
	v_cndmask_b32_e32 v10, 0x80000000, v10, vcc_lo
	s_delay_alu instid0(VALU_DEP_1) | instskip(NEXT) | instid1(VALU_DEP_1)
	v_lshrrev_b32_e32 v10, s25, v10
	v_and_b32_e32 v10, s30, v10
	s_delay_alu instid0(VALU_DEP_1) | instskip(SKIP_2) | instid1(SALU_CYCLE_1)
	v_lshl_or_b32 v10, v10, 4, v11
	ds_add_u32 v10, v71
	s_or_b32 exec_lo, exec_lo, s8
	s_mov_b32 s8, exec_lo
	v_cmpx_lt_u32_e64 v39, v0
	s_cbranch_execnz .LBB1465_216
.LBB1465_209:                           ;   in Loop: Header=BB1465_187 Depth=2
	s_or_b32 exec_lo, exec_lo, s8
	s_delay_alu instid0(SALU_CYCLE_1)
	s_mov_b32 s8, exec_lo
	v_cmpx_lt_u32_e64 v40, v0
	s_cbranch_execz .LBB1465_217
.LBB1465_210:                           ;   in Loop: Header=BB1465_187 Depth=2
	v_cmp_lt_i32_e32 vcc_lo, -1, v8
	s_waitcnt vmcnt(5)
	v_lshlrev_b32_e32 v11, 2, v35
	v_cndmask_b32_e64 v10, -1, 0x80000000, vcc_lo
	s_delay_alu instid0(VALU_DEP_1) | instskip(NEXT) | instid1(VALU_DEP_1)
	v_xor_b32_e32 v10, v10, v8
	v_cmp_ne_u32_e32 vcc_lo, 0x7fffffff, v10
	v_cndmask_b32_e32 v10, 0x80000000, v10, vcc_lo
	s_delay_alu instid0(VALU_DEP_1) | instskip(NEXT) | instid1(VALU_DEP_1)
	v_lshrrev_b32_e32 v10, s25, v10
	v_and_b32_e32 v10, s30, v10
	s_delay_alu instid0(VALU_DEP_1) | instskip(SKIP_2) | instid1(SALU_CYCLE_1)
	v_lshl_or_b32 v10, v10, 4, v11
	ds_add_u32 v10, v71
	s_or_b32 exec_lo, exec_lo, s8
	s_mov_b32 s8, exec_lo
	v_cmpx_lt_u32_e64 v42, v0
	s_cbranch_execz .LBB1465_186
	s_branch .LBB1465_218
.LBB1465_211:                           ;   in Loop: Header=BB1465_187 Depth=2
	s_or_b32 exec_lo, exec_lo, s8
	s_delay_alu instid0(SALU_CYCLE_1)
	s_mov_b32 s8, exec_lo
	v_cmpx_lt_u32_e64 v32, v0
	s_cbranch_execz .LBB1465_205
.LBB1465_212:                           ;   in Loop: Header=BB1465_187 Depth=2
	v_cmp_lt_i32_e32 vcc_lo, -1, v3
	s_waitcnt vmcnt(5)
	v_lshlrev_b32_e32 v11, 2, v35
	v_cndmask_b32_e64 v10, -1, 0x80000000, vcc_lo
	s_delay_alu instid0(VALU_DEP_1) | instskip(NEXT) | instid1(VALU_DEP_1)
	v_xor_b32_e32 v10, v10, v3
	v_cmp_ne_u32_e32 vcc_lo, 0x7fffffff, v10
	v_cndmask_b32_e32 v10, 0x80000000, v10, vcc_lo
	s_delay_alu instid0(VALU_DEP_1) | instskip(NEXT) | instid1(VALU_DEP_1)
	v_lshrrev_b32_e32 v10, s25, v10
	v_and_b32_e32 v10, s30, v10
	s_delay_alu instid0(VALU_DEP_1) | instskip(SKIP_2) | instid1(SALU_CYCLE_1)
	v_lshl_or_b32 v10, v10, 4, v11
	ds_add_u32 v10, v71
	s_or_b32 exec_lo, exec_lo, s8
	s_mov_b32 s8, exec_lo
	v_cmpx_lt_u32_e64 v33, v0
	s_cbranch_execnz .LBB1465_206
.LBB1465_213:                           ;   in Loop: Header=BB1465_187 Depth=2
	s_or_b32 exec_lo, exec_lo, s8
	s_delay_alu instid0(SALU_CYCLE_1)
	s_mov_b32 s8, exec_lo
	v_cmpx_lt_u32_e64 v34, v0
	s_cbranch_execz .LBB1465_207
.LBB1465_214:                           ;   in Loop: Header=BB1465_187 Depth=2
	v_cmp_lt_i32_e32 vcc_lo, -1, v5
	s_waitcnt vmcnt(5)
	v_lshlrev_b32_e32 v11, 2, v35
	v_cndmask_b32_e64 v10, -1, 0x80000000, vcc_lo
	s_delay_alu instid0(VALU_DEP_1) | instskip(NEXT) | instid1(VALU_DEP_1)
	v_xor_b32_e32 v10, v10, v5
	v_cmp_ne_u32_e32 vcc_lo, 0x7fffffff, v10
	v_cndmask_b32_e32 v10, 0x80000000, v10, vcc_lo
	s_delay_alu instid0(VALU_DEP_1) | instskip(NEXT) | instid1(VALU_DEP_1)
	v_lshrrev_b32_e32 v10, s25, v10
	v_and_b32_e32 v10, s30, v10
	s_delay_alu instid0(VALU_DEP_1) | instskip(SKIP_2) | instid1(SALU_CYCLE_1)
	v_lshl_or_b32 v10, v10, 4, v11
	ds_add_u32 v10, v71
	s_or_b32 exec_lo, exec_lo, s8
	s_mov_b32 s8, exec_lo
	v_cmpx_lt_u32_e64 v38, v0
	s_cbranch_execnz .LBB1465_208
.LBB1465_215:                           ;   in Loop: Header=BB1465_187 Depth=2
	s_or_b32 exec_lo, exec_lo, s8
	s_delay_alu instid0(SALU_CYCLE_1)
	s_mov_b32 s8, exec_lo
	v_cmpx_lt_u32_e64 v39, v0
	s_cbranch_execz .LBB1465_209
.LBB1465_216:                           ;   in Loop: Header=BB1465_187 Depth=2
	v_cmp_lt_i32_e32 vcc_lo, -1, v7
	s_waitcnt vmcnt(5)
	v_lshlrev_b32_e32 v11, 2, v35
	v_cndmask_b32_e64 v10, -1, 0x80000000, vcc_lo
	s_delay_alu instid0(VALU_DEP_1) | instskip(NEXT) | instid1(VALU_DEP_1)
	v_xor_b32_e32 v10, v10, v7
	v_cmp_ne_u32_e32 vcc_lo, 0x7fffffff, v10
	v_cndmask_b32_e32 v10, 0x80000000, v10, vcc_lo
	s_delay_alu instid0(VALU_DEP_1) | instskip(NEXT) | instid1(VALU_DEP_1)
	v_lshrrev_b32_e32 v10, s25, v10
	v_and_b32_e32 v10, s30, v10
	s_delay_alu instid0(VALU_DEP_1) | instskip(SKIP_2) | instid1(SALU_CYCLE_1)
	v_lshl_or_b32 v10, v10, 4, v11
	ds_add_u32 v10, v71
	s_or_b32 exec_lo, exec_lo, s8
	s_mov_b32 s8, exec_lo
	v_cmpx_lt_u32_e64 v40, v0
	s_cbranch_execnz .LBB1465_210
.LBB1465_217:                           ;   in Loop: Header=BB1465_187 Depth=2
	s_or_b32 exec_lo, exec_lo, s8
	s_delay_alu instid0(SALU_CYCLE_1)
	s_mov_b32 s8, exec_lo
	v_cmpx_lt_u32_e64 v42, v0
	s_cbranch_execz .LBB1465_186
.LBB1465_218:                           ;   in Loop: Header=BB1465_187 Depth=2
	v_cmp_lt_i32_e32 vcc_lo, -1, v9
	s_waitcnt vmcnt(6)
	v_lshlrev_b32_e32 v10, 2, v35
	v_cndmask_b32_e64 v0, -1, 0x80000000, vcc_lo
	s_delay_alu instid0(VALU_DEP_1) | instskip(NEXT) | instid1(VALU_DEP_1)
	v_xor_b32_e32 v0, v0, v9
	v_cmp_ne_u32_e32 vcc_lo, 0x7fffffff, v0
	v_cndmask_b32_e32 v0, 0x80000000, v0, vcc_lo
	s_delay_alu instid0(VALU_DEP_1) | instskip(NEXT) | instid1(VALU_DEP_1)
	v_lshrrev_b32_e32 v0, s25, v0
	v_and_b32_e32 v0, s30, v0
	s_delay_alu instid0(VALU_DEP_1)
	v_lshl_or_b32 v0, v0, 4, v10
	ds_add_u32 v0, v71
	s_branch .LBB1465_186
.LBB1465_219:                           ;   in Loop: Header=BB1465_187 Depth=2
	s_or_b32 exec_lo, exec_lo, s11
	s_delay_alu instid0(SALU_CYCLE_1)
	s_mov_b32 s11, exec_lo
	v_cmpx_gt_u32_e64 s1, v32
	s_cbranch_execz .LBB1465_193
.LBB1465_220:                           ;   in Loop: Header=BB1465_187 Depth=2
	v_lshlrev_b32_e32 v0, 2, v18
	global_load_b32 v3, v0, s[8:9] offset:1024
	s_or_b32 exec_lo, exec_lo, s11
	s_delay_alu instid0(SALU_CYCLE_1)
	s_mov_b32 s11, exec_lo
	v_cmpx_gt_u32_e64 s1, v33
	s_cbranch_execnz .LBB1465_194
.LBB1465_221:                           ;   in Loop: Header=BB1465_187 Depth=2
	s_or_b32 exec_lo, exec_lo, s11
	s_delay_alu instid0(SALU_CYCLE_1)
	s_mov_b32 s11, exec_lo
	v_cmpx_gt_u32_e64 s1, v34
	s_cbranch_execz .LBB1465_195
.LBB1465_222:                           ;   in Loop: Header=BB1465_187 Depth=2
	v_lshlrev_b32_e32 v0, 2, v18
	global_load_b32 v5, v0, s[8:9] offset:3072
	s_or_b32 exec_lo, exec_lo, s11
	s_delay_alu instid0(SALU_CYCLE_1)
	s_mov_b32 s11, exec_lo
	v_cmpx_gt_u32_e64 s1, v38
	s_cbranch_execnz .LBB1465_196
.LBB1465_223:                           ;   in Loop: Header=BB1465_187 Depth=2
	s_or_b32 exec_lo, exec_lo, s11
	s_delay_alu instid0(SALU_CYCLE_1)
	s_mov_b32 s11, exec_lo
	v_cmpx_gt_u32_e64 s1, v39
	s_cbranch_execz .LBB1465_197
.LBB1465_224:                           ;   in Loop: Header=BB1465_187 Depth=2
	v_lshlrev_b32_e32 v0, 2, v39
	global_load_b32 v7, v0, s[8:9]
	s_or_b32 exec_lo, exec_lo, s11
	s_delay_alu instid0(SALU_CYCLE_1)
	s_mov_b32 s11, exec_lo
	v_cmpx_gt_u32_e64 s1, v40
	s_cbranch_execz .LBB1465_199
	s_branch .LBB1465_198
.LBB1465_225:                           ;   in Loop: Header=BB1465_17 Depth=1
	v_mov_b32_e32 v0, 0
	s_waitcnt vmcnt(0) lgkmcnt(0)
	s_barrier
	buffer_gl0_inv
	s_and_saveexec_b32 s1, s2
	s_cbranch_execz .LBB1465_227
; %bb.226:                              ;   in Loop: Header=BB1465_17 Depth=1
	ds_load_2addr_b64 v[2:5], v43 offset1:1
	s_waitcnt lgkmcnt(0)
	v_add_nc_u32_e32 v0, v3, v2
	s_delay_alu instid0(VALU_DEP_1)
	v_add3_u32 v0, v0, v4, v5
.LBB1465_227:                           ;   in Loop: Header=BB1465_17 Depth=1
	s_or_b32 exec_lo, exec_lo, s1
	v_and_b32_e32 v2, 15, v72
	s_delay_alu instid0(VALU_DEP_2) | instskip(SKIP_1) | instid1(VALU_DEP_3)
	v_mov_b32_dpp v3, v0 row_shr:1 row_mask:0xf bank_mask:0xf
	v_and_b32_e32 v4, 16, v72
	v_cmp_eq_u32_e64 s1, 0, v2
	v_cmp_lt_u32_e64 s7, 1, v2
	v_cmp_lt_u32_e64 s8, 3, v2
	;; [unrolled: 1-line block ×3, first 2 shown]
	v_cmp_eq_u32_e64 s10, 0, v4
	v_cndmask_b32_e64 v3, v3, 0, s1
	s_delay_alu instid0(VALU_DEP_1) | instskip(NEXT) | instid1(VALU_DEP_1)
	v_add_nc_u32_e32 v0, v3, v0
	v_mov_b32_dpp v3, v0 row_shr:2 row_mask:0xf bank_mask:0xf
	s_delay_alu instid0(VALU_DEP_1) | instskip(NEXT) | instid1(VALU_DEP_1)
	v_cndmask_b32_e64 v3, 0, v3, s7
	v_add_nc_u32_e32 v0, v0, v3
	s_delay_alu instid0(VALU_DEP_1) | instskip(NEXT) | instid1(VALU_DEP_1)
	v_mov_b32_dpp v3, v0 row_shr:4 row_mask:0xf bank_mask:0xf
	v_cndmask_b32_e64 v3, 0, v3, s8
	s_delay_alu instid0(VALU_DEP_1) | instskip(NEXT) | instid1(VALU_DEP_1)
	v_add_nc_u32_e32 v0, v0, v3
	v_mov_b32_dpp v3, v0 row_shr:8 row_mask:0xf bank_mask:0xf
	s_delay_alu instid0(VALU_DEP_1) | instskip(SKIP_1) | instid1(VALU_DEP_2)
	v_cndmask_b32_e64 v2, 0, v3, s9
	v_bfe_i32 v3, v72, 4, 1
	v_add_nc_u32_e32 v0, v0, v2
	ds_swizzle_b32 v2, v0 offset:swizzle(BROADCAST,32,15)
	s_waitcnt lgkmcnt(0)
	v_and_b32_e32 v2, v3, v2
	s_delay_alu instid0(VALU_DEP_1)
	v_add_nc_u32_e32 v2, v0, v2
	s_and_saveexec_b32 s11, s3
	s_cbranch_execz .LBB1465_229
; %bb.228:                              ;   in Loop: Header=BB1465_17 Depth=1
	ds_store_b32 v44, v2
.LBB1465_229:                           ;   in Loop: Header=BB1465_17 Depth=1
	s_or_b32 exec_lo, exec_lo, s11
	v_and_b32_e32 v0, 7, v72
	s_waitcnt lgkmcnt(0)
	s_barrier
	buffer_gl0_inv
	s_and_saveexec_b32 s11, s4
	s_cbranch_execz .LBB1465_231
; %bb.230:                              ;   in Loop: Header=BB1465_17 Depth=1
	ds_load_b32 v3, v45
	v_cmp_ne_u32_e32 vcc_lo, 0, v0
	s_waitcnt lgkmcnt(0)
	v_mov_b32_dpp v4, v3 row_shr:1 row_mask:0xf bank_mask:0xf
	s_delay_alu instid0(VALU_DEP_1) | instskip(SKIP_1) | instid1(VALU_DEP_2)
	v_cndmask_b32_e32 v4, 0, v4, vcc_lo
	v_cmp_lt_u32_e32 vcc_lo, 1, v0
	v_add_nc_u32_e32 v3, v4, v3
	s_delay_alu instid0(VALU_DEP_1) | instskip(NEXT) | instid1(VALU_DEP_1)
	v_mov_b32_dpp v4, v3 row_shr:2 row_mask:0xf bank_mask:0xf
	v_cndmask_b32_e32 v4, 0, v4, vcc_lo
	v_cmp_lt_u32_e32 vcc_lo, 3, v0
	s_delay_alu instid0(VALU_DEP_2) | instskip(NEXT) | instid1(VALU_DEP_1)
	v_add_nc_u32_e32 v3, v3, v4
	v_mov_b32_dpp v4, v3 row_shr:4 row_mask:0xf bank_mask:0xf
	s_delay_alu instid0(VALU_DEP_1) | instskip(NEXT) | instid1(VALU_DEP_1)
	v_cndmask_b32_e32 v4, 0, v4, vcc_lo
	v_add_nc_u32_e32 v3, v3, v4
	ds_store_b32 v45, v3
.LBB1465_231:                           ;   in Loop: Header=BB1465_17 Depth=1
	s_or_b32 exec_lo, exec_lo, s11
	v_mov_b32_e32 v3, 0
	s_waitcnt lgkmcnt(0)
	s_barrier
	buffer_gl0_inv
	s_and_saveexec_b32 s11, s5
	s_cbranch_execz .LBB1465_233
; %bb.232:                              ;   in Loop: Header=BB1465_17 Depth=1
	ds_load_b32 v3, v46
.LBB1465_233:                           ;   in Loop: Header=BB1465_17 Depth=1
	s_or_b32 exec_lo, exec_lo, s11
	v_add_nc_u32_e32 v4, -1, v72
	s_waitcnt lgkmcnt(0)
	v_add_nc_u32_e32 v2, v3, v2
	v_cmp_eq_u32_e64 s11, 0, v72
	s_barrier
	v_cmp_gt_i32_e32 vcc_lo, 0, v4
	buffer_gl0_inv
	v_cndmask_b32_e32 v4, v4, v72, vcc_lo
	s_delay_alu instid0(VALU_DEP_1)
	v_lshlrev_b32_e32 v73, 2, v4
	ds_bpermute_b32 v2, v73, v2
	s_and_saveexec_b32 s12, s2
	s_cbranch_execz .LBB1465_235
; %bb.234:                              ;   in Loop: Header=BB1465_17 Depth=1
	s_waitcnt lgkmcnt(0)
	v_cndmask_b32_e64 v2, v2, v3, s11
	s_delay_alu instid0(VALU_DEP_1)
	v_add_nc_u32_e32 v2, s33, v2
	ds_store_b32 v31, v2
.LBB1465_235:                           ;   in Loop: Header=BB1465_17 Depth=1
	s_or_b32 exec_lo, exec_lo, s12
	s_load_b64 s[12:13], s[28:29], 0x0
	v_lshlrev_b32_e32 v3, 3, v72
	v_or_b32_e32 v74, v72, v47
	s_mov_b32 s31, s59
	s_mov_b32 s26, s33
                                        ; implicit-def: $vgpr10_vgpr11
                                        ; implicit-def: $vgpr12_vgpr13
                                        ; implicit-def: $vgpr14_vgpr15
                                        ; implicit-def: $vgpr16_vgpr17
                                        ; implicit-def: $vgpr21_vgpr22
                                        ; implicit-def: $vgpr23_vgpr24
                                        ; implicit-def: $vgpr25_vgpr26
                                        ; implicit-def: $vgpr27_vgpr28
                                        ; implicit-def: $vgpr89
                                        ; implicit-def: $vgpr90
                                        ; implicit-def: $vgpr91
                                        ; implicit-def: $vgpr92
                                        ; implicit-def: $vgpr93
                                        ; implicit-def: $vgpr94
                                        ; implicit-def: $vgpr95
                                        ; implicit-def: $vgpr96
	s_delay_alu instid0(VALU_DEP_2)
	v_add_co_u32 v75, vcc_lo, v61, v3
	v_add_co_ci_u32_e32 v76, vcc_lo, 0, v62, vcc_lo
	v_or_b32_e32 v77, 32, v74
	v_or_b32_e32 v78, 64, v74
	;; [unrolled: 1-line block ×7, first 2 shown]
	s_waitcnt lgkmcnt(0)
	s_cmp_lt_u32 s15, s13
	s_cselect_b32 s13, 14, 20
	s_delay_alu instid0(SALU_CYCLE_1) | instskip(SKIP_4) | instid1(SALU_CYCLE_1)
	s_add_u32 s16, s28, s13
	s_addc_u32 s17, s29, 0
	s_cmp_lt_u32 s14, s12
	global_load_u16 v2, v20, s[16:17]
	s_cselect_b32 s12, 12, 18
	s_add_u32 s12, s28, s12
	s_addc_u32 s13, s29, 0
	global_load_u16 v4, v20, s[12:13]
	v_cmp_eq_u32_e64 s12, 0, v0
	v_cmp_lt_u32_e64 s13, 1, v0
	v_cmp_lt_u32_e64 s16, 3, v0
	v_lshlrev_b32_e32 v0, 2, v72
	s_delay_alu instid0(VALU_DEP_1) | instskip(SKIP_1) | instid1(VALU_DEP_2)
	v_add_co_u32 v84, vcc_lo, v63, v0
	v_add_co_ci_u32_e32 v85, vcc_lo, 0, v64, vcc_lo
	v_add_co_u32 v87, vcc_lo, 0x380, v84
	s_delay_alu instid0(VALU_DEP_2) | instskip(SKIP_3) | instid1(VALU_DEP_1)
	v_add_co_ci_u32_e32 v88, vcc_lo, 0, v85, vcc_lo
	s_waitcnt vmcnt(1)
	v_mad_u32_u24 v5, v48, v2, v50
	s_waitcnt vmcnt(0)
	v_mad_u64_u32 v[2:3], null, v5, v4, v[18:19]
	s_delay_alu instid0(VALU_DEP_1)
	v_lshrrev_b32_e32 v86, 5, v2
	s_branch .LBB1465_237
.LBB1465_236:                           ;   in Loop: Header=BB1465_237 Depth=2
	s_or_b32 exec_lo, exec_lo, s17
	s_addk_i32 s31, 0xf800
	s_cmp_lt_u32 s50, s34
	s_mov_b32 s26, s50
	s_cbranch_scc0 .LBB1465_349
.LBB1465_237:                           ;   Parent Loop BB1465_17 Depth=1
                                        ; =>  This Inner Loop Header: Depth=2
	s_add_i32 s50, s26, 0x800
	s_delay_alu instid0(SALU_CYCLE_1)
	s_cmp_gt_u32 s50, s34
	s_cbranch_scc1 .LBB1465_239
; %bb.238:                              ;   in Loop: Header=BB1465_237 Depth=2
	s_mov_b32 s19, 0
	s_mov_b32 s18, s26
	s_movk_i32 s17, 0x800
	s_lshl_b64 s[20:21], s[18:19], 2
	s_delay_alu instid0(SALU_CYCLE_1)
	v_add_co_u32 v8, vcc_lo, v84, s20
	v_add_co_ci_u32_e32 v9, vcc_lo, s21, v85, vcc_lo
	s_mov_b32 s20, -1
	s_clause 0x6
	global_load_b32 v2, v[8:9], off
	global_load_b32 v3, v[8:9], off offset:128
	global_load_b32 v4, v[8:9], off offset:256
	;; [unrolled: 1-line block ×6, first 2 shown]
	s_cbranch_execz .LBB1465_240
	s_branch .LBB1465_249
.LBB1465_239:                           ;   in Loop: Header=BB1465_237 Depth=2
	s_mov_b32 s19, -1
	s_mov_b32 s20, 0
                                        ; implicit-def: $sgpr17
                                        ; implicit-def: $vgpr2_vgpr3_vgpr4_vgpr5_vgpr6_vgpr7_vgpr8_vgpr9
.LBB1465_240:                           ;   in Loop: Header=BB1465_237 Depth=2
	s_lshl_b64 s[18:19], s[26:27], 2
	s_mov_b32 s37, s36
	v_add_co_u32 v29, vcc_lo, v84, s18
	s_mov_b32 s38, s36
	s_mov_b32 s39, s36
	;; [unrolled: 1-line block ×6, first 2 shown]
	s_waitcnt vmcnt(0)
	v_dual_mov_b32 v2, s36 :: v_dual_mov_b32 v3, s37
	v_add_co_ci_u32_e32 v30, vcc_lo, s19, v85, vcc_lo
	v_dual_mov_b32 v4, s38 :: v_dual_mov_b32 v5, s39
	v_dual_mov_b32 v6, s40 :: v_dual_mov_b32 v7, s41
	v_dual_mov_b32 v8, s42 :: v_dual_mov_b32 v9, s43
	s_mov_b32 s17, exec_lo
	v_cmpx_gt_u32_e64 s31, v74
	s_cbranch_execz .LBB1465_343
; %bb.241:                              ;   in Loop: Header=BB1465_237 Depth=2
	global_load_b32 v0, v[29:30], off
	v_mov_b32_e32 v7, v1
	v_mov_b32_e32 v2, v1
	;; [unrolled: 1-line block ×6, first 2 shown]
	s_waitcnt vmcnt(0)
	v_mov_b32_e32 v9, v7
	s_delay_alu instid0(VALU_DEP_2)
	v_dual_mov_b32 v8, v6 :: v_dual_mov_b32 v7, v5
	v_mov_b32_e32 v6, v4
	v_mov_b32_e32 v5, v3
	;; [unrolled: 1-line block ×5, first 2 shown]
	s_or_b32 exec_lo, exec_lo, s17
	s_delay_alu instid0(SALU_CYCLE_1)
	s_mov_b32 s17, exec_lo
	v_cmpx_gt_u32_e64 s31, v77
	s_cbranch_execnz .LBB1465_344
.LBB1465_242:                           ;   in Loop: Header=BB1465_237 Depth=2
	s_or_b32 exec_lo, exec_lo, s17
	s_delay_alu instid0(SALU_CYCLE_1)
	s_mov_b32 s17, exec_lo
	v_cmpx_gt_u32_e64 s31, v78
	s_cbranch_execz .LBB1465_345
.LBB1465_243:                           ;   in Loop: Header=BB1465_237 Depth=2
	global_load_b32 v4, v[29:30], off offset:256
	s_or_b32 exec_lo, exec_lo, s17
	s_delay_alu instid0(SALU_CYCLE_1)
	s_mov_b32 s17, exec_lo
	v_cmpx_gt_u32_e64 s31, v79
	s_cbranch_execnz .LBB1465_346
.LBB1465_244:                           ;   in Loop: Header=BB1465_237 Depth=2
	s_or_b32 exec_lo, exec_lo, s17
	s_delay_alu instid0(SALU_CYCLE_1)
	s_mov_b32 s17, exec_lo
	v_cmpx_gt_u32_e64 s31, v80
	s_cbranch_execz .LBB1465_347
.LBB1465_245:                           ;   in Loop: Header=BB1465_237 Depth=2
	global_load_b32 v6, v[29:30], off offset:512
	s_or_b32 exec_lo, exec_lo, s17
	s_delay_alu instid0(SALU_CYCLE_1)
	s_mov_b32 s17, exec_lo
	v_cmpx_gt_u32_e64 s31, v81
	s_cbranch_execnz .LBB1465_348
.LBB1465_246:                           ;   in Loop: Header=BB1465_237 Depth=2
	s_or_b32 exec_lo, exec_lo, s17
	s_delay_alu instid0(SALU_CYCLE_1)
	s_mov_b32 s17, exec_lo
	v_cmpx_gt_u32_e64 s31, v82
	s_cbranch_execz .LBB1465_248
.LBB1465_247:                           ;   in Loop: Header=BB1465_237 Depth=2
	global_load_b32 v8, v[29:30], off offset:768
.LBB1465_248:                           ;   in Loop: Header=BB1465_237 Depth=2
	s_or_b32 exec_lo, exec_lo, s17
	v_cmp_gt_u32_e64 s20, s31, v83
	s_sub_i32 s17, s34, s26
	s_mov_b64 s[18:19], s[26:27]
.LBB1465_249:                           ;   in Loop: Header=BB1465_237 Depth=2
	v_mov_b32_e32 v0, s31
	s_delay_alu instid0(VALU_DEP_2)
	s_and_saveexec_b32 s21, s20
	s_cbranch_execz .LBB1465_251
; %bb.250:                              ;   in Loop: Header=BB1465_237 Depth=2
	s_lshl_b64 s[18:19], s[18:19], 2
	v_mov_b32_e32 v0, s17
	v_add_co_u32 v29, vcc_lo, v87, s18
	v_add_co_ci_u32_e32 v30, vcc_lo, s19, v88, vcc_lo
	global_load_b32 v9, v[29:30], off
.LBB1465_251:                           ;   in Loop: Header=BB1465_237 Depth=2
	s_or_b32 exec_lo, exec_lo, s21
	s_waitcnt vmcnt(6)
	v_cmp_lt_i32_e32 vcc_lo, -1, v2
	ds_store_b32 v49, v20 offset:1056
	ds_store_2addr_b32 v51, v20, v20 offset0:1 offset1:2
	ds_store_2addr_b32 v51, v20, v20 offset0:3 offset1:4
	;; [unrolled: 1-line block ×4, first 2 shown]
	s_waitcnt vmcnt(0) lgkmcnt(0)
	s_barrier
	v_cndmask_b32_e64 v19, -1, 0x80000000, vcc_lo
	buffer_gl0_inv
	; wave barrier
	v_xor_b32_e32 v19, v19, v2
	s_delay_alu instid0(VALU_DEP_1) | instskip(SKIP_1) | instid1(VALU_DEP_1)
	v_cmp_ne_u32_e32 vcc_lo, 0x7fffffff, v19
	v_cndmask_b32_e32 v2, 0x80000000, v19, vcc_lo
	v_lshrrev_b32_e32 v2, s25, v2
	s_delay_alu instid0(VALU_DEP_1) | instskip(NEXT) | instid1(VALU_DEP_1)
	v_and_b32_e32 v30, s30, v2
	v_lshlrev_b32_e32 v29, 30, v30
	v_and_b32_e32 v2, 1, v30
	v_lshlrev_b32_e32 v97, 29, v30
	v_lshlrev_b32_e32 v98, 28, v30
	;; [unrolled: 1-line block ×3, first 2 shown]
	v_not_b32_e32 v103, v29
	v_add_co_u32 v2, s17, v2, -1
	s_delay_alu instid0(VALU_DEP_1)
	v_cndmask_b32_e64 v99, 0, 1, s17
	v_cmp_gt_i32_e64 s17, 0, v29
	v_not_b32_e32 v29, v97
	v_ashrrev_i32_e32 v103, 31, v103
	v_lshlrev_b32_e32 v101, 26, v30
	v_cmp_ne_u32_e32 vcc_lo, 0, v99
	v_lshlrev_b32_e32 v102, 25, v30
	v_ashrrev_i32_e32 v29, 31, v29
	v_xor_b32_e32 v103, s17, v103
	v_cmp_gt_i32_e64 s17, 0, v98
	v_xor_b32_e32 v2, vcc_lo, v2
	v_cmp_gt_i32_e32 vcc_lo, 0, v97
	v_not_b32_e32 v97, v98
	v_not_b32_e32 v98, v100
	v_lshlrev_b32_e32 v99, 24, v30
	v_and_b32_e32 v2, exec_lo, v2
	v_xor_b32_e32 v29, vcc_lo, v29
	v_ashrrev_i32_e32 v97, 31, v97
	v_cmp_gt_i32_e32 vcc_lo, 0, v100
	v_not_b32_e32 v100, v101
	v_and_b32_e32 v2, v2, v103
	v_ashrrev_i32_e32 v98, 31, v98
	v_xor_b32_e32 v97, s17, v97
	v_cmp_gt_i32_e64 s17, 0, v101
	v_ashrrev_i32_e32 v100, 31, v100
	v_and_b32_e32 v2, v2, v29
	v_not_b32_e32 v29, v102
	v_xor_b32_e32 v98, vcc_lo, v98
	v_cmp_gt_i32_e32 vcc_lo, 0, v102
	v_xor_b32_e32 v100, s17, v100
	v_and_b32_e32 v2, v2, v97
	v_not_b32_e32 v97, v99
	v_ashrrev_i32_e32 v29, 31, v29
	v_cmp_gt_i32_e64 s17, 0, v99
	v_mad_u32_u24 v30, v30, 9, v86
	v_and_b32_e32 v2, v2, v98
	v_ashrrev_i32_e32 v97, 31, v97
	v_xor_b32_e32 v29, vcc_lo, v29
	s_delay_alu instid0(VALU_DEP_3) | instskip(NEXT) | instid1(VALU_DEP_3)
	v_and_b32_e32 v2, v2, v100
	v_xor_b32_e32 v97, s17, v97
	s_delay_alu instid0(VALU_DEP_2) | instskip(NEXT) | instid1(VALU_DEP_1)
	v_and_b32_e32 v2, v2, v29
	v_and_b32_e32 v2, v2, v97
	v_lshl_add_u32 v97, v30, 2, 0x420
	s_delay_alu instid0(VALU_DEP_2) | instskip(SKIP_1) | instid1(VALU_DEP_2)
	v_mbcnt_lo_u32_b32 v29, v2, 0
	v_cmp_ne_u32_e64 s17, 0, v2
	v_cmp_eq_u32_e32 vcc_lo, 0, v29
	s_delay_alu instid0(VALU_DEP_2) | instskip(NEXT) | instid1(SALU_CYCLE_1)
	s_and_b32 s18, s17, vcc_lo
	s_and_saveexec_b32 s17, s18
	s_cbranch_execz .LBB1465_253
; %bb.252:                              ;   in Loop: Header=BB1465_237 Depth=2
	v_bcnt_u32_b32 v2, v2, 0
	ds_store_b32 v97, v2
.LBB1465_253:                           ;   in Loop: Header=BB1465_237 Depth=2
	s_or_b32 exec_lo, exec_lo, s17
	v_cmp_lt_i32_e32 vcc_lo, -1, v3
	; wave barrier
	v_cndmask_b32_e64 v2, -1, 0x80000000, vcc_lo
	s_delay_alu instid0(VALU_DEP_1) | instskip(NEXT) | instid1(VALU_DEP_1)
	v_xor_b32_e32 v30, v2, v3
	v_cmp_ne_u32_e32 vcc_lo, 0x7fffffff, v30
	v_cndmask_b32_e32 v2, 0x80000000, v30, vcc_lo
	s_delay_alu instid0(VALU_DEP_1) | instskip(NEXT) | instid1(VALU_DEP_1)
	v_lshrrev_b32_e32 v2, s25, v2
	v_and_b32_e32 v2, s30, v2
	s_delay_alu instid0(VALU_DEP_1)
	v_and_b32_e32 v3, 1, v2
	v_lshlrev_b32_e32 v98, 30, v2
	v_lshlrev_b32_e32 v99, 29, v2
	v_lshlrev_b32_e32 v100, 28, v2
	v_lshlrev_b32_e32 v102, 27, v2
	v_add_co_u32 v3, s17, v3, -1
	s_delay_alu instid0(VALU_DEP_1)
	v_cndmask_b32_e64 v101, 0, 1, s17
	v_not_b32_e32 v105, v98
	v_cmp_gt_i32_e64 s17, 0, v98
	v_not_b32_e32 v98, v99
	v_lshlrev_b32_e32 v103, 26, v2
	v_cmp_ne_u32_e32 vcc_lo, 0, v101
	v_ashrrev_i32_e32 v105, 31, v105
	v_lshlrev_b32_e32 v104, 25, v2
	v_ashrrev_i32_e32 v98, 31, v98
	v_lshlrev_b32_e32 v101, 24, v2
	v_xor_b32_e32 v3, vcc_lo, v3
	v_cmp_gt_i32_e32 vcc_lo, 0, v99
	v_not_b32_e32 v99, v100
	v_xor_b32_e32 v105, s17, v105
	v_cmp_gt_i32_e64 s17, 0, v100
	v_and_b32_e32 v3, exec_lo, v3
	v_not_b32_e32 v100, v102
	v_ashrrev_i32_e32 v99, 31, v99
	v_xor_b32_e32 v98, vcc_lo, v98
	v_cmp_gt_i32_e32 vcc_lo, 0, v102
	v_and_b32_e32 v3, v3, v105
	v_not_b32_e32 v102, v103
	v_ashrrev_i32_e32 v100, 31, v100
	v_xor_b32_e32 v99, s17, v99
	v_cmp_gt_i32_e64 s17, 0, v103
	v_and_b32_e32 v3, v3, v98
	v_not_b32_e32 v98, v104
	v_ashrrev_i32_e32 v102, 31, v102
	v_xor_b32_e32 v100, vcc_lo, v100
	v_cmp_gt_i32_e32 vcc_lo, 0, v104
	v_and_b32_e32 v3, v3, v99
	v_not_b32_e32 v99, v101
	v_ashrrev_i32_e32 v98, 31, v98
	v_xor_b32_e32 v102, s17, v102
	v_mul_u32_u24_e32 v2, 9, v2
	v_and_b32_e32 v3, v3, v100
	v_cmp_gt_i32_e64 s17, 0, v101
	v_ashrrev_i32_e32 v99, 31, v99
	v_xor_b32_e32 v98, vcc_lo, v98
	v_add_lshl_u32 v100, v2, v86, 2
	v_and_b32_e32 v3, v3, v102
	s_delay_alu instid0(VALU_DEP_4) | instskip(NEXT) | instid1(VALU_DEP_3)
	v_xor_b32_e32 v2, s17, v99
	v_add_nc_u32_e32 v101, 0x420, v100
	s_delay_alu instid0(VALU_DEP_3) | instskip(SKIP_2) | instid1(VALU_DEP_1)
	v_and_b32_e32 v3, v3, v98
	ds_load_b32 v98, v100 offset:1056
	; wave barrier
	v_and_b32_e32 v2, v3, v2
	v_mbcnt_lo_u32_b32 v99, v2, 0
	v_cmp_ne_u32_e64 s17, 0, v2
	s_delay_alu instid0(VALU_DEP_2) | instskip(NEXT) | instid1(VALU_DEP_2)
	v_cmp_eq_u32_e32 vcc_lo, 0, v99
	s_and_b32 s18, s17, vcc_lo
	s_delay_alu instid0(SALU_CYCLE_1)
	s_and_saveexec_b32 s17, s18
	s_cbranch_execz .LBB1465_255
; %bb.254:                              ;   in Loop: Header=BB1465_237 Depth=2
	s_waitcnt lgkmcnt(0)
	v_bcnt_u32_b32 v2, v2, v98
	ds_store_b32 v101, v2
.LBB1465_255:                           ;   in Loop: Header=BB1465_237 Depth=2
	s_or_b32 exec_lo, exec_lo, s17
	v_cmp_lt_i32_e32 vcc_lo, -1, v4
	; wave barrier
	v_cndmask_b32_e64 v2, -1, 0x80000000, vcc_lo
	s_delay_alu instid0(VALU_DEP_1) | instskip(NEXT) | instid1(VALU_DEP_1)
	v_xor_b32_e32 v100, v2, v4
	v_cmp_ne_u32_e32 vcc_lo, 0x7fffffff, v100
	v_cndmask_b32_e32 v2, 0x80000000, v100, vcc_lo
	s_delay_alu instid0(VALU_DEP_1) | instskip(NEXT) | instid1(VALU_DEP_1)
	v_lshrrev_b32_e32 v2, s25, v2
	v_and_b32_e32 v2, s30, v2
	s_delay_alu instid0(VALU_DEP_1)
	v_and_b32_e32 v3, 1, v2
	v_lshlrev_b32_e32 v4, 30, v2
	v_lshlrev_b32_e32 v102, 29, v2
	;; [unrolled: 1-line block ×4, first 2 shown]
	v_add_co_u32 v3, s17, v3, -1
	s_delay_alu instid0(VALU_DEP_1)
	v_cndmask_b32_e64 v104, 0, 1, s17
	v_not_b32_e32 v108, v4
	v_cmp_gt_i32_e64 s17, 0, v4
	v_not_b32_e32 v4, v102
	v_lshlrev_b32_e32 v106, 26, v2
	v_cmp_ne_u32_e32 vcc_lo, 0, v104
	v_ashrrev_i32_e32 v108, 31, v108
	v_lshlrev_b32_e32 v107, 25, v2
	v_ashrrev_i32_e32 v4, 31, v4
	v_lshlrev_b32_e32 v104, 24, v2
	v_xor_b32_e32 v3, vcc_lo, v3
	v_cmp_gt_i32_e32 vcc_lo, 0, v102
	v_not_b32_e32 v102, v103
	v_xor_b32_e32 v108, s17, v108
	v_cmp_gt_i32_e64 s17, 0, v103
	v_and_b32_e32 v3, exec_lo, v3
	v_not_b32_e32 v103, v105
	v_ashrrev_i32_e32 v102, 31, v102
	v_xor_b32_e32 v4, vcc_lo, v4
	v_cmp_gt_i32_e32 vcc_lo, 0, v105
	v_and_b32_e32 v3, v3, v108
	v_not_b32_e32 v105, v106
	v_ashrrev_i32_e32 v103, 31, v103
	v_xor_b32_e32 v102, s17, v102
	v_cmp_gt_i32_e64 s17, 0, v106
	v_and_b32_e32 v3, v3, v4
	v_not_b32_e32 v4, v107
	v_ashrrev_i32_e32 v105, 31, v105
	v_xor_b32_e32 v103, vcc_lo, v103
	v_cmp_gt_i32_e32 vcc_lo, 0, v107
	v_and_b32_e32 v3, v3, v102
	v_not_b32_e32 v102, v104
	v_ashrrev_i32_e32 v4, 31, v4
	v_xor_b32_e32 v105, s17, v105
	v_mul_u32_u24_e32 v2, 9, v2
	v_and_b32_e32 v3, v3, v103
	v_cmp_gt_i32_e64 s17, 0, v104
	v_ashrrev_i32_e32 v102, 31, v102
	v_xor_b32_e32 v4, vcc_lo, v4
	v_add_lshl_u32 v103, v2, v86, 2
	v_and_b32_e32 v3, v3, v105
	s_delay_alu instid0(VALU_DEP_4) | instskip(SKIP_3) | instid1(VALU_DEP_2)
	v_xor_b32_e32 v2, s17, v102
	ds_load_b32 v102, v103 offset:1056
	v_and_b32_e32 v3, v3, v4
	v_add_nc_u32_e32 v105, 0x420, v103
	; wave barrier
	v_and_b32_e32 v2, v3, v2
	s_delay_alu instid0(VALU_DEP_1) | instskip(SKIP_1) | instid1(VALU_DEP_2)
	v_mbcnt_lo_u32_b32 v104, v2, 0
	v_cmp_ne_u32_e64 s17, 0, v2
	v_cmp_eq_u32_e32 vcc_lo, 0, v104
	s_delay_alu instid0(VALU_DEP_2) | instskip(NEXT) | instid1(SALU_CYCLE_1)
	s_and_b32 s18, s17, vcc_lo
	s_and_saveexec_b32 s17, s18
	s_cbranch_execz .LBB1465_257
; %bb.256:                              ;   in Loop: Header=BB1465_237 Depth=2
	s_waitcnt lgkmcnt(0)
	v_bcnt_u32_b32 v2, v2, v102
	ds_store_b32 v105, v2
.LBB1465_257:                           ;   in Loop: Header=BB1465_237 Depth=2
	s_or_b32 exec_lo, exec_lo, s17
	v_cmp_lt_i32_e32 vcc_lo, -1, v5
	; wave barrier
	v_cndmask_b32_e64 v2, -1, 0x80000000, vcc_lo
	s_delay_alu instid0(VALU_DEP_1) | instskip(NEXT) | instid1(VALU_DEP_1)
	v_xor_b32_e32 v103, v2, v5
	v_cmp_ne_u32_e32 vcc_lo, 0x7fffffff, v103
	v_cndmask_b32_e32 v2, 0x80000000, v103, vcc_lo
	s_delay_alu instid0(VALU_DEP_1) | instskip(NEXT) | instid1(VALU_DEP_1)
	v_lshrrev_b32_e32 v2, s25, v2
	v_and_b32_e32 v2, s30, v2
	s_delay_alu instid0(VALU_DEP_1)
	v_and_b32_e32 v3, 1, v2
	v_lshlrev_b32_e32 v4, 30, v2
	v_lshlrev_b32_e32 v5, 29, v2
	;; [unrolled: 1-line block ×4, first 2 shown]
	v_add_co_u32 v3, s17, v3, -1
	s_delay_alu instid0(VALU_DEP_1)
	v_cndmask_b32_e64 v107, 0, 1, s17
	v_not_b32_e32 v111, v4
	v_cmp_gt_i32_e64 s17, 0, v4
	v_not_b32_e32 v4, v5
	v_lshlrev_b32_e32 v109, 26, v2
	v_cmp_ne_u32_e32 vcc_lo, 0, v107
	v_ashrrev_i32_e32 v111, 31, v111
	v_lshlrev_b32_e32 v110, 25, v2
	v_ashrrev_i32_e32 v4, 31, v4
	v_lshlrev_b32_e32 v107, 24, v2
	v_xor_b32_e32 v3, vcc_lo, v3
	v_cmp_gt_i32_e32 vcc_lo, 0, v5
	v_not_b32_e32 v5, v106
	v_xor_b32_e32 v111, s17, v111
	v_cmp_gt_i32_e64 s17, 0, v106
	v_and_b32_e32 v3, exec_lo, v3
	v_not_b32_e32 v106, v108
	v_ashrrev_i32_e32 v5, 31, v5
	v_xor_b32_e32 v4, vcc_lo, v4
	v_cmp_gt_i32_e32 vcc_lo, 0, v108
	v_and_b32_e32 v3, v3, v111
	v_not_b32_e32 v108, v109
	v_ashrrev_i32_e32 v106, 31, v106
	v_xor_b32_e32 v5, s17, v5
	v_cmp_gt_i32_e64 s17, 0, v109
	v_and_b32_e32 v3, v3, v4
	v_not_b32_e32 v4, v110
	v_ashrrev_i32_e32 v108, 31, v108
	v_xor_b32_e32 v106, vcc_lo, v106
	v_cmp_gt_i32_e32 vcc_lo, 0, v110
	v_and_b32_e32 v3, v3, v5
	v_not_b32_e32 v5, v107
	v_ashrrev_i32_e32 v4, 31, v4
	v_xor_b32_e32 v108, s17, v108
	v_mul_u32_u24_e32 v2, 9, v2
	v_and_b32_e32 v3, v3, v106
	v_cmp_gt_i32_e64 s17, 0, v107
	v_ashrrev_i32_e32 v5, 31, v5
	v_xor_b32_e32 v4, vcc_lo, v4
	v_add_lshl_u32 v106, v2, v86, 2
	v_and_b32_e32 v3, v3, v108
	s_delay_alu instid0(VALU_DEP_4) | instskip(SKIP_3) | instid1(VALU_DEP_2)
	v_xor_b32_e32 v2, s17, v5
	ds_load_b32 v107, v106 offset:1056
	v_and_b32_e32 v3, v3, v4
	v_add_nc_u32_e32 v109, 0x420, v106
	; wave barrier
	v_and_b32_e32 v2, v3, v2
	s_delay_alu instid0(VALU_DEP_1) | instskip(SKIP_1) | instid1(VALU_DEP_2)
	v_mbcnt_lo_u32_b32 v108, v2, 0
	v_cmp_ne_u32_e64 s17, 0, v2
	v_cmp_eq_u32_e32 vcc_lo, 0, v108
	s_delay_alu instid0(VALU_DEP_2) | instskip(NEXT) | instid1(SALU_CYCLE_1)
	s_and_b32 s18, s17, vcc_lo
	s_and_saveexec_b32 s17, s18
	s_cbranch_execz .LBB1465_259
; %bb.258:                              ;   in Loop: Header=BB1465_237 Depth=2
	s_waitcnt lgkmcnt(0)
	v_bcnt_u32_b32 v2, v2, v107
	ds_store_b32 v109, v2
.LBB1465_259:                           ;   in Loop: Header=BB1465_237 Depth=2
	s_or_b32 exec_lo, exec_lo, s17
	v_cmp_lt_i32_e32 vcc_lo, -1, v6
	; wave barrier
	v_cndmask_b32_e64 v2, -1, 0x80000000, vcc_lo
	s_delay_alu instid0(VALU_DEP_1) | instskip(NEXT) | instid1(VALU_DEP_1)
	v_xor_b32_e32 v106, v2, v6
	v_cmp_ne_u32_e32 vcc_lo, 0x7fffffff, v106
	v_cndmask_b32_e32 v2, 0x80000000, v106, vcc_lo
	s_delay_alu instid0(VALU_DEP_1) | instskip(NEXT) | instid1(VALU_DEP_1)
	v_lshrrev_b32_e32 v2, s25, v2
	v_and_b32_e32 v2, s30, v2
	s_delay_alu instid0(VALU_DEP_1)
	v_and_b32_e32 v3, 1, v2
	v_lshlrev_b32_e32 v4, 30, v2
	v_lshlrev_b32_e32 v5, 29, v2
	;; [unrolled: 1-line block ×4, first 2 shown]
	v_add_co_u32 v3, s17, v3, -1
	s_delay_alu instid0(VALU_DEP_1)
	v_cndmask_b32_e64 v110, 0, 1, s17
	v_not_b32_e32 v114, v4
	v_cmp_gt_i32_e64 s17, 0, v4
	v_not_b32_e32 v4, v5
	v_lshlrev_b32_e32 v112, 26, v2
	v_cmp_ne_u32_e32 vcc_lo, 0, v110
	v_ashrrev_i32_e32 v114, 31, v114
	v_lshlrev_b32_e32 v113, 25, v2
	v_ashrrev_i32_e32 v4, 31, v4
	v_lshlrev_b32_e32 v110, 24, v2
	v_xor_b32_e32 v3, vcc_lo, v3
	v_cmp_gt_i32_e32 vcc_lo, 0, v5
	v_not_b32_e32 v5, v6
	v_xor_b32_e32 v114, s17, v114
	v_cmp_gt_i32_e64 s17, 0, v6
	v_and_b32_e32 v3, exec_lo, v3
	v_not_b32_e32 v6, v111
	v_ashrrev_i32_e32 v5, 31, v5
	v_xor_b32_e32 v4, vcc_lo, v4
	v_cmp_gt_i32_e32 vcc_lo, 0, v111
	v_and_b32_e32 v3, v3, v114
	v_not_b32_e32 v111, v112
	v_ashrrev_i32_e32 v6, 31, v6
	v_xor_b32_e32 v5, s17, v5
	v_cmp_gt_i32_e64 s17, 0, v112
	v_and_b32_e32 v3, v3, v4
	v_not_b32_e32 v4, v113
	v_ashrrev_i32_e32 v111, 31, v111
	v_xor_b32_e32 v6, vcc_lo, v6
	v_cmp_gt_i32_e32 vcc_lo, 0, v113
	v_and_b32_e32 v3, v3, v5
	v_not_b32_e32 v5, v110
	v_ashrrev_i32_e32 v4, 31, v4
	v_xor_b32_e32 v111, s17, v111
	v_mul_u32_u24_e32 v2, 9, v2
	v_and_b32_e32 v3, v3, v6
	v_cmp_gt_i32_e64 s17, 0, v110
	v_ashrrev_i32_e32 v5, 31, v5
	v_xor_b32_e32 v4, vcc_lo, v4
	v_add_lshl_u32 v6, v2, v86, 2
	v_and_b32_e32 v3, v3, v111
	s_delay_alu instid0(VALU_DEP_4) | instskip(SKIP_3) | instid1(VALU_DEP_2)
	v_xor_b32_e32 v2, s17, v5
	ds_load_b32 v111, v6 offset:1056
	v_and_b32_e32 v3, v3, v4
	v_add_nc_u32_e32 v113, 0x420, v6
	; wave barrier
	v_and_b32_e32 v2, v3, v2
	s_delay_alu instid0(VALU_DEP_1) | instskip(SKIP_1) | instid1(VALU_DEP_2)
	v_mbcnt_lo_u32_b32 v112, v2, 0
	v_cmp_ne_u32_e64 s17, 0, v2
	v_cmp_eq_u32_e32 vcc_lo, 0, v112
	s_delay_alu instid0(VALU_DEP_2) | instskip(NEXT) | instid1(SALU_CYCLE_1)
	s_and_b32 s18, s17, vcc_lo
	s_and_saveexec_b32 s17, s18
	s_cbranch_execz .LBB1465_261
; %bb.260:                              ;   in Loop: Header=BB1465_237 Depth=2
	s_waitcnt lgkmcnt(0)
	v_bcnt_u32_b32 v2, v2, v111
	ds_store_b32 v113, v2
.LBB1465_261:                           ;   in Loop: Header=BB1465_237 Depth=2
	s_or_b32 exec_lo, exec_lo, s17
	v_cmp_lt_i32_e32 vcc_lo, -1, v7
	; wave barrier
	v_cndmask_b32_e64 v2, -1, 0x80000000, vcc_lo
	s_delay_alu instid0(VALU_DEP_1) | instskip(NEXT) | instid1(VALU_DEP_1)
	v_xor_b32_e32 v110, v2, v7
	v_cmp_ne_u32_e32 vcc_lo, 0x7fffffff, v110
	v_cndmask_b32_e32 v2, 0x80000000, v110, vcc_lo
	s_delay_alu instid0(VALU_DEP_1) | instskip(NEXT) | instid1(VALU_DEP_1)
	v_lshrrev_b32_e32 v2, s25, v2
	v_and_b32_e32 v2, s30, v2
	s_delay_alu instid0(VALU_DEP_1)
	v_and_b32_e32 v3, 1, v2
	v_lshlrev_b32_e32 v4, 30, v2
	v_lshlrev_b32_e32 v5, 29, v2
	v_lshlrev_b32_e32 v6, 28, v2
	v_lshlrev_b32_e32 v114, 27, v2
	v_add_co_u32 v3, s17, v3, -1
	s_delay_alu instid0(VALU_DEP_1)
	v_cndmask_b32_e64 v7, 0, 1, s17
	v_not_b32_e32 v117, v4
	v_cmp_gt_i32_e64 s17, 0, v4
	v_not_b32_e32 v4, v5
	v_lshlrev_b32_e32 v115, 26, v2
	v_cmp_ne_u32_e32 vcc_lo, 0, v7
	v_ashrrev_i32_e32 v117, 31, v117
	v_lshlrev_b32_e32 v116, 25, v2
	v_ashrrev_i32_e32 v4, 31, v4
	v_lshlrev_b32_e32 v7, 24, v2
	v_xor_b32_e32 v3, vcc_lo, v3
	v_cmp_gt_i32_e32 vcc_lo, 0, v5
	v_not_b32_e32 v5, v6
	v_xor_b32_e32 v117, s17, v117
	v_cmp_gt_i32_e64 s17, 0, v6
	v_and_b32_e32 v3, exec_lo, v3
	v_not_b32_e32 v6, v114
	v_ashrrev_i32_e32 v5, 31, v5
	v_xor_b32_e32 v4, vcc_lo, v4
	v_cmp_gt_i32_e32 vcc_lo, 0, v114
	v_and_b32_e32 v3, v3, v117
	v_not_b32_e32 v114, v115
	v_ashrrev_i32_e32 v6, 31, v6
	v_xor_b32_e32 v5, s17, v5
	v_cmp_gt_i32_e64 s17, 0, v115
	v_and_b32_e32 v3, v3, v4
	v_not_b32_e32 v4, v116
	v_ashrrev_i32_e32 v114, 31, v114
	v_xor_b32_e32 v6, vcc_lo, v6
	v_cmp_gt_i32_e32 vcc_lo, 0, v116
	v_and_b32_e32 v3, v3, v5
	v_not_b32_e32 v5, v7
	v_ashrrev_i32_e32 v4, 31, v4
	v_xor_b32_e32 v114, s17, v114
	v_mul_u32_u24_e32 v2, 9, v2
	v_and_b32_e32 v3, v3, v6
	v_cmp_gt_i32_e64 s17, 0, v7
	v_ashrrev_i32_e32 v5, 31, v5
	v_xor_b32_e32 v4, vcc_lo, v4
	v_add_lshl_u32 v6, v2, v86, 2
	v_and_b32_e32 v3, v3, v114
	s_delay_alu instid0(VALU_DEP_4) | instskip(SKIP_3) | instid1(VALU_DEP_2)
	v_xor_b32_e32 v2, s17, v5
	ds_load_b32 v115, v6 offset:1056
	v_and_b32_e32 v3, v3, v4
	v_add_nc_u32_e32 v117, 0x420, v6
	; wave barrier
	v_and_b32_e32 v2, v3, v2
	s_delay_alu instid0(VALU_DEP_1) | instskip(SKIP_1) | instid1(VALU_DEP_2)
	v_mbcnt_lo_u32_b32 v116, v2, 0
	v_cmp_ne_u32_e64 s17, 0, v2
	v_cmp_eq_u32_e32 vcc_lo, 0, v116
	s_delay_alu instid0(VALU_DEP_2) | instskip(NEXT) | instid1(SALU_CYCLE_1)
	s_and_b32 s18, s17, vcc_lo
	s_and_saveexec_b32 s17, s18
	s_cbranch_execz .LBB1465_263
; %bb.262:                              ;   in Loop: Header=BB1465_237 Depth=2
	s_waitcnt lgkmcnt(0)
	v_bcnt_u32_b32 v2, v2, v115
	ds_store_b32 v117, v2
.LBB1465_263:                           ;   in Loop: Header=BB1465_237 Depth=2
	s_or_b32 exec_lo, exec_lo, s17
	v_cmp_lt_i32_e32 vcc_lo, -1, v8
	; wave barrier
	v_cndmask_b32_e64 v2, -1, 0x80000000, vcc_lo
	s_delay_alu instid0(VALU_DEP_1) | instskip(NEXT) | instid1(VALU_DEP_1)
	v_xor_b32_e32 v114, v2, v8
	v_cmp_ne_u32_e32 vcc_lo, 0x7fffffff, v114
	v_cndmask_b32_e32 v2, 0x80000000, v114, vcc_lo
	s_delay_alu instid0(VALU_DEP_1) | instskip(NEXT) | instid1(VALU_DEP_1)
	v_lshrrev_b32_e32 v2, s25, v2
	v_and_b32_e32 v2, s30, v2
	s_delay_alu instid0(VALU_DEP_1)
	v_and_b32_e32 v3, 1, v2
	v_lshlrev_b32_e32 v4, 30, v2
	v_lshlrev_b32_e32 v5, 29, v2
	;; [unrolled: 1-line block ×4, first 2 shown]
	v_add_co_u32 v3, s17, v3, -1
	s_delay_alu instid0(VALU_DEP_1)
	v_cndmask_b32_e64 v7, 0, 1, s17
	v_not_b32_e32 v120, v4
	v_cmp_gt_i32_e64 s17, 0, v4
	v_not_b32_e32 v4, v5
	v_lshlrev_b32_e32 v118, 26, v2
	v_cmp_ne_u32_e32 vcc_lo, 0, v7
	v_ashrrev_i32_e32 v120, 31, v120
	v_lshlrev_b32_e32 v119, 25, v2
	v_ashrrev_i32_e32 v4, 31, v4
	v_lshlrev_b32_e32 v7, 24, v2
	v_xor_b32_e32 v3, vcc_lo, v3
	v_cmp_gt_i32_e32 vcc_lo, 0, v5
	v_not_b32_e32 v5, v6
	v_xor_b32_e32 v120, s17, v120
	v_cmp_gt_i32_e64 s17, 0, v6
	v_and_b32_e32 v3, exec_lo, v3
	v_not_b32_e32 v6, v8
	v_ashrrev_i32_e32 v5, 31, v5
	v_xor_b32_e32 v4, vcc_lo, v4
	v_cmp_gt_i32_e32 vcc_lo, 0, v8
	v_and_b32_e32 v3, v3, v120
	v_not_b32_e32 v8, v118
	v_ashrrev_i32_e32 v6, 31, v6
	v_xor_b32_e32 v5, s17, v5
	v_cmp_gt_i32_e64 s17, 0, v118
	v_and_b32_e32 v3, v3, v4
	v_not_b32_e32 v4, v119
	v_ashrrev_i32_e32 v8, 31, v8
	v_xor_b32_e32 v6, vcc_lo, v6
	v_cmp_gt_i32_e32 vcc_lo, 0, v119
	v_and_b32_e32 v3, v3, v5
	v_not_b32_e32 v5, v7
	v_ashrrev_i32_e32 v4, 31, v4
	v_xor_b32_e32 v8, s17, v8
	v_mul_u32_u24_e32 v2, 9, v2
	v_and_b32_e32 v3, v3, v6
	v_cmp_gt_i32_e64 s17, 0, v7
	v_ashrrev_i32_e32 v5, 31, v5
	v_xor_b32_e32 v4, vcc_lo, v4
	v_add_lshl_u32 v6, v2, v86, 2
	v_and_b32_e32 v3, v3, v8
	s_delay_alu instid0(VALU_DEP_4) | instskip(SKIP_3) | instid1(VALU_DEP_2)
	v_xor_b32_e32 v2, s17, v5
	ds_load_b32 v119, v6 offset:1056
	v_and_b32_e32 v3, v3, v4
	v_add_nc_u32_e32 v121, 0x420, v6
	; wave barrier
	v_and_b32_e32 v2, v3, v2
	s_delay_alu instid0(VALU_DEP_1) | instskip(SKIP_1) | instid1(VALU_DEP_2)
	v_mbcnt_lo_u32_b32 v120, v2, 0
	v_cmp_ne_u32_e64 s17, 0, v2
	v_cmp_eq_u32_e32 vcc_lo, 0, v120
	s_delay_alu instid0(VALU_DEP_2) | instskip(NEXT) | instid1(SALU_CYCLE_1)
	s_and_b32 s18, s17, vcc_lo
	s_and_saveexec_b32 s17, s18
	s_cbranch_execz .LBB1465_265
; %bb.264:                              ;   in Loop: Header=BB1465_237 Depth=2
	s_waitcnt lgkmcnt(0)
	v_bcnt_u32_b32 v2, v2, v119
	ds_store_b32 v121, v2
.LBB1465_265:                           ;   in Loop: Header=BB1465_237 Depth=2
	s_or_b32 exec_lo, exec_lo, s17
	v_cmp_lt_i32_e32 vcc_lo, -1, v9
	; wave barrier
	v_cndmask_b32_e64 v2, -1, 0x80000000, vcc_lo
	s_delay_alu instid0(VALU_DEP_1) | instskip(NEXT) | instid1(VALU_DEP_1)
	v_xor_b32_e32 v118, v2, v9
	v_cmp_ne_u32_e32 vcc_lo, 0x7fffffff, v118
	v_cndmask_b32_e32 v2, 0x80000000, v118, vcc_lo
	s_delay_alu instid0(VALU_DEP_1) | instskip(NEXT) | instid1(VALU_DEP_1)
	v_lshrrev_b32_e32 v2, s25, v2
	v_and_b32_e32 v2, s30, v2
	s_delay_alu instid0(VALU_DEP_1)
	v_and_b32_e32 v3, 1, v2
	v_lshlrev_b32_e32 v4, 30, v2
	v_lshlrev_b32_e32 v5, 29, v2
	v_lshlrev_b32_e32 v6, 28, v2
	v_lshlrev_b32_e32 v8, 27, v2
	v_add_co_u32 v3, s17, v3, -1
	s_delay_alu instid0(VALU_DEP_1)
	v_cndmask_b32_e64 v7, 0, 1, s17
	v_not_b32_e32 v123, v4
	v_cmp_gt_i32_e64 s17, 0, v4
	v_not_b32_e32 v4, v5
	v_lshlrev_b32_e32 v9, 26, v2
	v_cmp_ne_u32_e32 vcc_lo, 0, v7
	v_ashrrev_i32_e32 v123, 31, v123
	v_lshlrev_b32_e32 v122, 25, v2
	v_ashrrev_i32_e32 v4, 31, v4
	v_lshlrev_b32_e32 v7, 24, v2
	v_xor_b32_e32 v3, vcc_lo, v3
	v_cmp_gt_i32_e32 vcc_lo, 0, v5
	v_not_b32_e32 v5, v6
	v_xor_b32_e32 v123, s17, v123
	v_cmp_gt_i32_e64 s17, 0, v6
	v_and_b32_e32 v3, exec_lo, v3
	v_not_b32_e32 v6, v8
	v_ashrrev_i32_e32 v5, 31, v5
	v_xor_b32_e32 v4, vcc_lo, v4
	v_cmp_gt_i32_e32 vcc_lo, 0, v8
	v_and_b32_e32 v3, v3, v123
	v_not_b32_e32 v8, v9
	v_ashrrev_i32_e32 v6, 31, v6
	v_xor_b32_e32 v5, s17, v5
	v_cmp_gt_i32_e64 s17, 0, v9
	v_and_b32_e32 v3, v3, v4
	v_not_b32_e32 v4, v122
	v_ashrrev_i32_e32 v8, 31, v8
	v_xor_b32_e32 v6, vcc_lo, v6
	v_cmp_gt_i32_e32 vcc_lo, 0, v122
	v_and_b32_e32 v3, v3, v5
	v_not_b32_e32 v5, v7
	v_ashrrev_i32_e32 v4, 31, v4
	v_xor_b32_e32 v8, s17, v8
	v_mul_u32_u24_e32 v2, 9, v2
	v_and_b32_e32 v3, v3, v6
	v_cmp_gt_i32_e64 s17, 0, v7
	v_ashrrev_i32_e32 v5, 31, v5
	v_xor_b32_e32 v4, vcc_lo, v4
	v_add_lshl_u32 v6, v2, v86, 2
	v_and_b32_e32 v3, v3, v8
	s_delay_alu instid0(VALU_DEP_4) | instskip(SKIP_3) | instid1(VALU_DEP_2)
	v_xor_b32_e32 v2, s17, v5
	ds_load_b32 v122, v6 offset:1056
	v_and_b32_e32 v3, v3, v4
	v_add_nc_u32_e32 v124, 0x420, v6
	; wave barrier
	v_and_b32_e32 v2, v3, v2
	s_delay_alu instid0(VALU_DEP_1) | instskip(SKIP_1) | instid1(VALU_DEP_2)
	v_mbcnt_lo_u32_b32 v123, v2, 0
	v_cmp_ne_u32_e64 s17, 0, v2
	v_cmp_eq_u32_e32 vcc_lo, 0, v123
	s_delay_alu instid0(VALU_DEP_2) | instskip(NEXT) | instid1(SALU_CYCLE_1)
	s_and_b32 s18, s17, vcc_lo
	s_and_saveexec_b32 s17, s18
	s_cbranch_execz .LBB1465_267
; %bb.266:                              ;   in Loop: Header=BB1465_237 Depth=2
	s_waitcnt lgkmcnt(0)
	v_bcnt_u32_b32 v2, v2, v122
	ds_store_b32 v124, v2
.LBB1465_267:                           ;   in Loop: Header=BB1465_237 Depth=2
	s_or_b32 exec_lo, exec_lo, s17
	; wave barrier
	s_waitcnt lgkmcnt(0)
	s_barrier
	buffer_gl0_inv
	ds_load_b32 v125, v49 offset:1056
	ds_load_2addr_b32 v[8:9], v51 offset0:1 offset1:2
	ds_load_2addr_b32 v[6:7], v51 offset0:3 offset1:4
	;; [unrolled: 1-line block ×4, first 2 shown]
	s_waitcnt lgkmcnt(3)
	v_add3_u32 v126, v8, v125, v9
	s_waitcnt lgkmcnt(2)
	s_delay_alu instid0(VALU_DEP_1) | instskip(SKIP_1) | instid1(VALU_DEP_1)
	v_add3_u32 v126, v126, v6, v7
	s_waitcnt lgkmcnt(1)
	v_add3_u32 v126, v126, v2, v3
	s_waitcnt lgkmcnt(0)
	s_delay_alu instid0(VALU_DEP_1) | instskip(NEXT) | instid1(VALU_DEP_1)
	v_add3_u32 v5, v126, v4, v5
	v_mov_b32_dpp v126, v5 row_shr:1 row_mask:0xf bank_mask:0xf
	s_delay_alu instid0(VALU_DEP_1) | instskip(NEXT) | instid1(VALU_DEP_1)
	v_cndmask_b32_e64 v126, v126, 0, s1
	v_add_nc_u32_e32 v5, v126, v5
	s_delay_alu instid0(VALU_DEP_1) | instskip(NEXT) | instid1(VALU_DEP_1)
	v_mov_b32_dpp v126, v5 row_shr:2 row_mask:0xf bank_mask:0xf
	v_cndmask_b32_e64 v126, 0, v126, s7
	s_delay_alu instid0(VALU_DEP_1) | instskip(NEXT) | instid1(VALU_DEP_1)
	v_add_nc_u32_e32 v5, v5, v126
	v_mov_b32_dpp v126, v5 row_shr:4 row_mask:0xf bank_mask:0xf
	s_delay_alu instid0(VALU_DEP_1) | instskip(NEXT) | instid1(VALU_DEP_1)
	v_cndmask_b32_e64 v126, 0, v126, s8
	v_add_nc_u32_e32 v5, v5, v126
	s_delay_alu instid0(VALU_DEP_1) | instskip(NEXT) | instid1(VALU_DEP_1)
	v_mov_b32_dpp v126, v5 row_shr:8 row_mask:0xf bank_mask:0xf
	v_cndmask_b32_e64 v126, 0, v126, s9
	s_delay_alu instid0(VALU_DEP_1) | instskip(SKIP_3) | instid1(VALU_DEP_1)
	v_add_nc_u32_e32 v5, v5, v126
	ds_swizzle_b32 v126, v5 offset:swizzle(BROADCAST,32,15)
	s_waitcnt lgkmcnt(0)
	v_cndmask_b32_e64 v126, v126, 0, s10
	v_add_nc_u32_e32 v5, v5, v126
	s_and_saveexec_b32 s17, s3
	s_cbranch_execz .LBB1465_269
; %bb.268:                              ;   in Loop: Header=BB1465_237 Depth=2
	ds_store_b32 v41, v5 offset:1024
.LBB1465_269:                           ;   in Loop: Header=BB1465_237 Depth=2
	s_or_b32 exec_lo, exec_lo, s17
	s_waitcnt lgkmcnt(0)
	s_barrier
	buffer_gl0_inv
	s_and_saveexec_b32 s17, s4
	s_cbranch_execz .LBB1465_271
; %bb.270:                              ;   in Loop: Header=BB1465_237 Depth=2
	ds_load_b32 v126, v52 offset:1024
	s_waitcnt lgkmcnt(0)
	v_mov_b32_dpp v127, v126 row_shr:1 row_mask:0xf bank_mask:0xf
	s_delay_alu instid0(VALU_DEP_1) | instskip(NEXT) | instid1(VALU_DEP_1)
	v_cndmask_b32_e64 v127, v127, 0, s12
	v_add_nc_u32_e32 v126, v127, v126
	s_delay_alu instid0(VALU_DEP_1) | instskip(NEXT) | instid1(VALU_DEP_1)
	v_mov_b32_dpp v127, v126 row_shr:2 row_mask:0xf bank_mask:0xf
	v_cndmask_b32_e64 v127, 0, v127, s13
	s_delay_alu instid0(VALU_DEP_1) | instskip(NEXT) | instid1(VALU_DEP_1)
	v_add_nc_u32_e32 v126, v126, v127
	v_mov_b32_dpp v127, v126 row_shr:4 row_mask:0xf bank_mask:0xf
	s_delay_alu instid0(VALU_DEP_1) | instskip(NEXT) | instid1(VALU_DEP_1)
	v_cndmask_b32_e64 v127, 0, v127, s16
	v_add_nc_u32_e32 v126, v126, v127
	ds_store_b32 v52, v126 offset:1024
.LBB1465_271:                           ;   in Loop: Header=BB1465_237 Depth=2
	s_or_b32 exec_lo, exec_lo, s17
	v_mov_b32_e32 v126, 0
	s_waitcnt lgkmcnt(0)
	s_barrier
	buffer_gl0_inv
	s_and_saveexec_b32 s17, s5
	s_cbranch_execz .LBB1465_273
; %bb.272:                              ;   in Loop: Header=BB1465_237 Depth=2
	ds_load_b32 v126, v41 offset:1020
.LBB1465_273:                           ;   in Loop: Header=BB1465_237 Depth=2
	s_or_b32 exec_lo, exec_lo, s17
	s_waitcnt lgkmcnt(0)
	v_add_nc_u32_e32 v5, v126, v5
	ds_bpermute_b32 v5, v73, v5
	s_waitcnt lgkmcnt(0)
	v_cndmask_b32_e64 v5, v5, v126, s11
	s_delay_alu instid0(VALU_DEP_1) | instskip(NEXT) | instid1(VALU_DEP_1)
	v_cndmask_b32_e64 v5, v5, 0, s0
	v_add_nc_u32_e32 v125, v5, v125
	s_delay_alu instid0(VALU_DEP_1) | instskip(NEXT) | instid1(VALU_DEP_1)
	v_add_nc_u32_e32 v8, v125, v8
	v_add_nc_u32_e32 v9, v8, v9
	s_delay_alu instid0(VALU_DEP_1) | instskip(NEXT) | instid1(VALU_DEP_1)
	v_add_nc_u32_e32 v6, v9, v6
	;; [unrolled: 3-line block ×3, first 2 shown]
	v_add_nc_u32_e32 v3, v2, v3
	s_delay_alu instid0(VALU_DEP_1)
	v_add_nc_u32_e32 v4, v3, v4
	ds_store_b32 v49, v5 offset:1056
	ds_store_2addr_b32 v51, v125, v8 offset0:1 offset1:2
	ds_store_2addr_b32 v51, v9, v6 offset0:3 offset1:4
	;; [unrolled: 1-line block ×4, first 2 shown]
	v_mov_b32_e32 v4, 0x800
	s_waitcnt lgkmcnt(0)
	s_barrier
	buffer_gl0_inv
	ds_load_b32 v5, v101
	ds_load_b32 v6, v105
	;; [unrolled: 1-line block ×8, first 2 shown]
	ds_load_b32 v101, v49 offset:1056
	s_and_saveexec_b32 s17, s6
	s_cbranch_execz .LBB1465_275
; %bb.274:                              ;   in Loop: Header=BB1465_237 Depth=2
	ds_load_b32 v4, v53 offset:1056
.LBB1465_275:                           ;   in Loop: Header=BB1465_237 Depth=2
	s_or_b32 exec_lo, exec_lo, s17
	s_waitcnt lgkmcnt(0)
	s_barrier
	buffer_gl0_inv
	s_and_saveexec_b32 s17, s2
	s_cbranch_execz .LBB1465_277
; %bb.276:                              ;   in Loop: Header=BB1465_237 Depth=2
	ds_load_b32 v105, v31
	s_waitcnt lgkmcnt(0)
	v_sub_nc_u32_e32 v101, v105, v101
	ds_store_b32 v31, v101
.LBB1465_277:                           ;   in Loop: Header=BB1465_237 Depth=2
	s_or_b32 exec_lo, exec_lo, s17
	v_add_nc_u32_e32 v101, v97, v29
	v_add3_u32 v29, v104, v102, v6
	v_add3_u32 v7, v108, v107, v7
	;; [unrolled: 1-line block ×5, first 2 shown]
	v_lshlrev_b32_e32 v98, 2, v101
	v_add3_u32 v8, v120, v119, v3
	v_lshlrev_b32_e32 v3, 2, v29
	v_add3_u32 v9, v123, v122, v2
	v_lshlrev_b32_e32 v2, 2, v7
	v_lshlrev_b32_e32 v99, 2, v97
	ds_store_b32 v98, v19 offset:1024
	ds_store_b32 v99, v30 offset:1024
	;; [unrolled: 1-line block ×3, first 2 shown]
	v_lshlrev_b32_e32 v3, 2, v6
	ds_store_b32 v2, v103 offset:1024
	v_lshlrev_b32_e32 v2, 2, v9
	v_cmp_lt_u32_e32 vcc_lo, v18, v0
	v_lshlrev_b32_e32 v19, 2, v5
	v_lshlrev_b32_e32 v30, 2, v8
	ds_store_b32 v3, v106 offset:1024
	ds_store_b32 v19, v110 offset:1024
	;; [unrolled: 1-line block ×4, first 2 shown]
	s_waitcnt lgkmcnt(0)
	s_barrier
	buffer_gl0_inv
	s_and_saveexec_b32 s18, vcc_lo
	s_cbranch_execz .LBB1465_285
; %bb.278:                              ;   in Loop: Header=BB1465_237 Depth=2
	ds_load_b32 v30, v52 offset:1024
	s_waitcnt lgkmcnt(0)
	v_cmp_ne_u32_e64 s17, 0x7fffffff, v30
	s_delay_alu instid0(VALU_DEP_1) | instskip(SKIP_1) | instid1(VALU_DEP_2)
	v_cndmask_b32_e64 v2, 0x80000000, v30, s17
	v_cmp_lt_i32_e64 s17, -1, v30
	v_lshrrev_b32_e32 v2, s25, v2
	s_delay_alu instid0(VALU_DEP_2) | instskip(NEXT) | instid1(VALU_DEP_2)
	v_cndmask_b32_e64 v98, 0x80000000, -1, s17
	v_and_b32_e32 v2, s30, v2
	s_delay_alu instid0(VALU_DEP_1) | instskip(SKIP_3) | instid1(VALU_DEP_1)
	v_lshlrev_b32_e32 v2, 2, v2
	ds_load_b32 v2, v2
	s_waitcnt lgkmcnt(0)
	v_add_nc_u32_e32 v19, v2, v18
	v_lshlrev_b64 v[2:3], 2, v[19:20]
	v_xor_b32_e32 v19, v98, v30
	s_delay_alu instid0(VALU_DEP_2) | instskip(NEXT) | instid1(VALU_DEP_1)
	v_add_co_u32 v2, s17, s48, v2
	v_add_co_ci_u32_e64 v3, s17, s49, v3, s17
	global_store_b32 v[2:3], v19, off
	s_or_b32 exec_lo, exec_lo, s18
	v_cmp_lt_u32_e64 s17, v32, v0
	s_delay_alu instid0(VALU_DEP_1)
	s_and_saveexec_b32 s19, s17
	s_cbranch_execnz .LBB1465_286
.LBB1465_279:                           ;   in Loop: Header=BB1465_237 Depth=2
	s_or_b32 exec_lo, exec_lo, s19
	v_cmp_lt_u32_e64 s18, v33, v0
	s_delay_alu instid0(VALU_DEP_1)
	s_and_saveexec_b32 s20, s18
	s_cbranch_execz .LBB1465_287
.LBB1465_280:                           ;   in Loop: Header=BB1465_237 Depth=2
	ds_load_b32 v30, v58 offset:2048
	s_waitcnt lgkmcnt(0)
	v_cmp_ne_u32_e64 s19, 0x7fffffff, v30
	s_delay_alu instid0(VALU_DEP_1) | instskip(SKIP_1) | instid1(VALU_DEP_2)
	v_cndmask_b32_e64 v2, 0x80000000, v30, s19
	v_cmp_lt_i32_e64 s19, -1, v30
	v_lshrrev_b32_e32 v2, s25, v2
	s_delay_alu instid0(VALU_DEP_2) | instskip(NEXT) | instid1(VALU_DEP_2)
	v_cndmask_b32_e64 v98, 0x80000000, -1, s19
	v_and_b32_e32 v2, s30, v2
	s_delay_alu instid0(VALU_DEP_1) | instskip(SKIP_3) | instid1(VALU_DEP_1)
	v_lshlrev_b32_e32 v2, 2, v2
	ds_load_b32 v2, v2
	s_waitcnt lgkmcnt(0)
	v_add_nc_u32_e32 v19, v2, v33
	v_lshlrev_b64 v[2:3], 2, v[19:20]
	v_xor_b32_e32 v19, v98, v30
	s_delay_alu instid0(VALU_DEP_2) | instskip(NEXT) | instid1(VALU_DEP_1)
	v_add_co_u32 v2, s19, s48, v2
	v_add_co_ci_u32_e64 v3, s19, s49, v3, s19
	global_store_b32 v[2:3], v19, off
	s_or_b32 exec_lo, exec_lo, s20
	v_cmp_lt_u32_e64 s19, v34, v0
	s_delay_alu instid0(VALU_DEP_1)
	s_and_saveexec_b32 s21, s19
	s_cbranch_execnz .LBB1465_288
.LBB1465_281:                           ;   in Loop: Header=BB1465_237 Depth=2
	s_or_b32 exec_lo, exec_lo, s21
	v_cmp_lt_u32_e64 s20, v38, v0
	s_delay_alu instid0(VALU_DEP_1)
	s_and_saveexec_b32 s22, s20
	s_cbranch_execz .LBB1465_289
.LBB1465_282:                           ;   in Loop: Header=BB1465_237 Depth=2
	ds_load_b32 v30, v58 offset:4096
	s_waitcnt lgkmcnt(0)
	v_cmp_ne_u32_e64 s21, 0x7fffffff, v30
	s_delay_alu instid0(VALU_DEP_1) | instskip(SKIP_1) | instid1(VALU_DEP_2)
	v_cndmask_b32_e64 v2, 0x80000000, v30, s21
	v_cmp_lt_i32_e64 s21, -1, v30
	v_lshrrev_b32_e32 v2, s25, v2
	s_delay_alu instid0(VALU_DEP_2) | instskip(NEXT) | instid1(VALU_DEP_2)
	v_cndmask_b32_e64 v98, 0x80000000, -1, s21
	v_and_b32_e32 v2, s30, v2
	s_delay_alu instid0(VALU_DEP_1) | instskip(SKIP_3) | instid1(VALU_DEP_1)
	v_lshlrev_b32_e32 v2, 2, v2
	ds_load_b32 v2, v2
	s_waitcnt lgkmcnt(0)
	v_add_nc_u32_e32 v19, v2, v38
	v_lshlrev_b64 v[2:3], 2, v[19:20]
	v_xor_b32_e32 v19, v98, v30
	s_delay_alu instid0(VALU_DEP_2) | instskip(NEXT) | instid1(VALU_DEP_1)
	v_add_co_u32 v2, s21, s48, v2
	v_add_co_ci_u32_e64 v3, s21, s49, v3, s21
	global_store_b32 v[2:3], v19, off
	s_or_b32 exec_lo, exec_lo, s22
	v_cmp_lt_u32_e64 s21, v39, v0
	s_delay_alu instid0(VALU_DEP_1)
	s_and_saveexec_b32 s23, s21
	s_cbranch_execnz .LBB1465_290
.LBB1465_283:                           ;   in Loop: Header=BB1465_237 Depth=2
	s_or_b32 exec_lo, exec_lo, s23
	v_cmp_lt_u32_e64 s22, v40, v0
	s_delay_alu instid0(VALU_DEP_1)
	s_and_saveexec_b32 s24, s22
	s_cbranch_execz .LBB1465_291
.LBB1465_284:                           ;   in Loop: Header=BB1465_237 Depth=2
	ds_load_b32 v30, v58 offset:6144
	s_waitcnt lgkmcnt(0)
	v_cmp_ne_u32_e64 s23, 0x7fffffff, v30
	s_delay_alu instid0(VALU_DEP_1) | instskip(SKIP_1) | instid1(VALU_DEP_2)
	v_cndmask_b32_e64 v2, 0x80000000, v30, s23
	v_cmp_lt_i32_e64 s23, -1, v30
	v_lshrrev_b32_e32 v2, s25, v2
	s_delay_alu instid0(VALU_DEP_2) | instskip(NEXT) | instid1(VALU_DEP_2)
	v_cndmask_b32_e64 v98, 0x80000000, -1, s23
	v_and_b32_e32 v2, s30, v2
	s_delay_alu instid0(VALU_DEP_1) | instskip(SKIP_3) | instid1(VALU_DEP_1)
	v_lshlrev_b32_e32 v2, 2, v2
	ds_load_b32 v2, v2
	s_waitcnt lgkmcnt(0)
	v_add_nc_u32_e32 v19, v2, v40
	v_lshlrev_b64 v[2:3], 2, v[19:20]
	v_xor_b32_e32 v19, v98, v30
	s_delay_alu instid0(VALU_DEP_2) | instskip(NEXT) | instid1(VALU_DEP_1)
	v_add_co_u32 v2, s23, s48, v2
	v_add_co_ci_u32_e64 v3, s23, s49, v3, s23
	global_store_b32 v[2:3], v19, off
	s_or_b32 exec_lo, exec_lo, s24
	v_cmp_lt_u32_e64 s23, v42, v0
	s_delay_alu instid0(VALU_DEP_1)
	s_and_saveexec_b32 s37, s23
	s_cbranch_execnz .LBB1465_292
	s_branch .LBB1465_293
.LBB1465_285:                           ;   in Loop: Header=BB1465_237 Depth=2
	s_or_b32 exec_lo, exec_lo, s18
	v_cmp_lt_u32_e64 s17, v32, v0
	s_delay_alu instid0(VALU_DEP_1)
	s_and_saveexec_b32 s19, s17
	s_cbranch_execz .LBB1465_279
.LBB1465_286:                           ;   in Loop: Header=BB1465_237 Depth=2
	ds_load_b32 v30, v58 offset:1024
	s_waitcnt lgkmcnt(0)
	v_cmp_ne_u32_e64 s18, 0x7fffffff, v30
	s_delay_alu instid0(VALU_DEP_1) | instskip(SKIP_1) | instid1(VALU_DEP_2)
	v_cndmask_b32_e64 v2, 0x80000000, v30, s18
	v_cmp_lt_i32_e64 s18, -1, v30
	v_lshrrev_b32_e32 v2, s25, v2
	s_delay_alu instid0(VALU_DEP_2) | instskip(NEXT) | instid1(VALU_DEP_2)
	v_cndmask_b32_e64 v98, 0x80000000, -1, s18
	v_and_b32_e32 v2, s30, v2
	s_delay_alu instid0(VALU_DEP_1) | instskip(SKIP_3) | instid1(VALU_DEP_1)
	v_lshlrev_b32_e32 v2, 2, v2
	ds_load_b32 v2, v2
	s_waitcnt lgkmcnt(0)
	v_add_nc_u32_e32 v19, v2, v32
	v_lshlrev_b64 v[2:3], 2, v[19:20]
	v_xor_b32_e32 v19, v98, v30
	s_delay_alu instid0(VALU_DEP_2) | instskip(NEXT) | instid1(VALU_DEP_1)
	v_add_co_u32 v2, s18, s48, v2
	v_add_co_ci_u32_e64 v3, s18, s49, v3, s18
	global_store_b32 v[2:3], v19, off
	s_or_b32 exec_lo, exec_lo, s19
	v_cmp_lt_u32_e64 s18, v33, v0
	s_delay_alu instid0(VALU_DEP_1)
	s_and_saveexec_b32 s20, s18
	s_cbranch_execnz .LBB1465_280
.LBB1465_287:                           ;   in Loop: Header=BB1465_237 Depth=2
	s_or_b32 exec_lo, exec_lo, s20
	v_cmp_lt_u32_e64 s19, v34, v0
	s_delay_alu instid0(VALU_DEP_1)
	s_and_saveexec_b32 s21, s19
	s_cbranch_execz .LBB1465_281
.LBB1465_288:                           ;   in Loop: Header=BB1465_237 Depth=2
	ds_load_b32 v30, v58 offset:3072
	s_waitcnt lgkmcnt(0)
	v_cmp_ne_u32_e64 s20, 0x7fffffff, v30
	s_delay_alu instid0(VALU_DEP_1) | instskip(SKIP_1) | instid1(VALU_DEP_2)
	v_cndmask_b32_e64 v2, 0x80000000, v30, s20
	v_cmp_lt_i32_e64 s20, -1, v30
	v_lshrrev_b32_e32 v2, s25, v2
	s_delay_alu instid0(VALU_DEP_2) | instskip(NEXT) | instid1(VALU_DEP_2)
	v_cndmask_b32_e64 v98, 0x80000000, -1, s20
	v_and_b32_e32 v2, s30, v2
	s_delay_alu instid0(VALU_DEP_1) | instskip(SKIP_3) | instid1(VALU_DEP_1)
	v_lshlrev_b32_e32 v2, 2, v2
	ds_load_b32 v2, v2
	s_waitcnt lgkmcnt(0)
	v_add_nc_u32_e32 v19, v2, v34
	v_lshlrev_b64 v[2:3], 2, v[19:20]
	v_xor_b32_e32 v19, v98, v30
	s_delay_alu instid0(VALU_DEP_2) | instskip(NEXT) | instid1(VALU_DEP_1)
	v_add_co_u32 v2, s20, s48, v2
	v_add_co_ci_u32_e64 v3, s20, s49, v3, s20
	global_store_b32 v[2:3], v19, off
	s_or_b32 exec_lo, exec_lo, s21
	v_cmp_lt_u32_e64 s20, v38, v0
	s_delay_alu instid0(VALU_DEP_1)
	s_and_saveexec_b32 s22, s20
	s_cbranch_execnz .LBB1465_282
.LBB1465_289:                           ;   in Loop: Header=BB1465_237 Depth=2
	s_or_b32 exec_lo, exec_lo, s22
	v_cmp_lt_u32_e64 s21, v39, v0
	s_delay_alu instid0(VALU_DEP_1)
	s_and_saveexec_b32 s23, s21
	s_cbranch_execz .LBB1465_283
.LBB1465_290:                           ;   in Loop: Header=BB1465_237 Depth=2
	ds_load_b32 v30, v58 offset:5120
	s_waitcnt lgkmcnt(0)
	v_cmp_ne_u32_e64 s22, 0x7fffffff, v30
	s_delay_alu instid0(VALU_DEP_1) | instskip(SKIP_1) | instid1(VALU_DEP_2)
	v_cndmask_b32_e64 v2, 0x80000000, v30, s22
	v_cmp_lt_i32_e64 s22, -1, v30
	v_lshrrev_b32_e32 v2, s25, v2
	s_delay_alu instid0(VALU_DEP_2) | instskip(NEXT) | instid1(VALU_DEP_2)
	v_cndmask_b32_e64 v98, 0x80000000, -1, s22
	v_and_b32_e32 v2, s30, v2
	s_delay_alu instid0(VALU_DEP_1) | instskip(SKIP_3) | instid1(VALU_DEP_1)
	v_lshlrev_b32_e32 v2, 2, v2
	ds_load_b32 v2, v2
	s_waitcnt lgkmcnt(0)
	v_add_nc_u32_e32 v19, v2, v39
	v_lshlrev_b64 v[2:3], 2, v[19:20]
	v_xor_b32_e32 v19, v98, v30
	s_delay_alu instid0(VALU_DEP_2) | instskip(NEXT) | instid1(VALU_DEP_1)
	v_add_co_u32 v2, s22, s48, v2
	v_add_co_ci_u32_e64 v3, s22, s49, v3, s22
	global_store_b32 v[2:3], v19, off
	s_or_b32 exec_lo, exec_lo, s23
	v_cmp_lt_u32_e64 s22, v40, v0
	s_delay_alu instid0(VALU_DEP_1)
	s_and_saveexec_b32 s24, s22
	s_cbranch_execnz .LBB1465_284
.LBB1465_291:                           ;   in Loop: Header=BB1465_237 Depth=2
	s_or_b32 exec_lo, exec_lo, s24
	v_cmp_lt_u32_e64 s23, v42, v0
	s_delay_alu instid0(VALU_DEP_1)
	s_and_saveexec_b32 s37, s23
	s_cbranch_execz .LBB1465_293
.LBB1465_292:                           ;   in Loop: Header=BB1465_237 Depth=2
	ds_load_b32 v30, v58 offset:7168
	s_waitcnt lgkmcnt(0)
	v_cmp_ne_u32_e64 s24, 0x7fffffff, v30
	s_delay_alu instid0(VALU_DEP_1) | instskip(SKIP_1) | instid1(VALU_DEP_2)
	v_cndmask_b32_e64 v2, 0x80000000, v30, s24
	v_cmp_lt_i32_e64 s24, -1, v30
	v_lshrrev_b32_e32 v2, s25, v2
	s_delay_alu instid0(VALU_DEP_2) | instskip(NEXT) | instid1(VALU_DEP_2)
	v_cndmask_b32_e64 v98, 0x80000000, -1, s24
	v_and_b32_e32 v2, s30, v2
	s_delay_alu instid0(VALU_DEP_1) | instskip(SKIP_3) | instid1(VALU_DEP_1)
	v_lshlrev_b32_e32 v2, 2, v2
	ds_load_b32 v2, v2
	s_waitcnt lgkmcnt(0)
	v_add_nc_u32_e32 v19, v2, v42
	v_lshlrev_b64 v[2:3], 2, v[19:20]
	v_xor_b32_e32 v19, v98, v30
	s_delay_alu instid0(VALU_DEP_2) | instskip(NEXT) | instid1(VALU_DEP_1)
	v_add_co_u32 v2, s24, s48, v2
	v_add_co_ci_u32_e64 v3, s24, s49, v3, s24
	global_store_b32 v[2:3], v19, off
.LBB1465_293:                           ;   in Loop: Header=BB1465_237 Depth=2
	s_or_b32 exec_lo, exec_lo, s37
	s_lshl_b64 s[38:39], s[26:27], 3
	s_delay_alu instid0(SALU_CYCLE_1) | instskip(NEXT) | instid1(VALU_DEP_1)
	v_add_co_u32 v2, s24, v75, s38
	v_add_co_ci_u32_e64 v3, s24, s39, v76, s24
	v_cmp_lt_u32_e64 s24, v74, v0
	s_delay_alu instid0(VALU_DEP_1) | instskip(NEXT) | instid1(SALU_CYCLE_1)
	s_and_saveexec_b32 s26, s24
	s_xor_b32 s24, exec_lo, s26
	s_cbranch_execz .LBB1465_309
; %bb.294:                              ;   in Loop: Header=BB1465_237 Depth=2
	global_load_b64 v[27:28], v[2:3], off
	s_or_b32 exec_lo, exec_lo, s24
	s_delay_alu instid0(SALU_CYCLE_1)
	s_mov_b32 s26, exec_lo
	v_cmpx_lt_u32_e64 v77, v0
	s_cbranch_execnz .LBB1465_310
.LBB1465_295:                           ;   in Loop: Header=BB1465_237 Depth=2
	s_or_b32 exec_lo, exec_lo, s26
	s_delay_alu instid0(SALU_CYCLE_1)
	s_mov_b32 s26, exec_lo
	v_cmpx_lt_u32_e64 v78, v0
	s_cbranch_execz .LBB1465_311
.LBB1465_296:                           ;   in Loop: Header=BB1465_237 Depth=2
	global_load_b64 v[23:24], v[2:3], off offset:512
	s_or_b32 exec_lo, exec_lo, s26
	s_delay_alu instid0(SALU_CYCLE_1)
	s_mov_b32 s26, exec_lo
	v_cmpx_lt_u32_e64 v79, v0
	s_cbranch_execnz .LBB1465_312
.LBB1465_297:                           ;   in Loop: Header=BB1465_237 Depth=2
	s_or_b32 exec_lo, exec_lo, s26
	s_delay_alu instid0(SALU_CYCLE_1)
	s_mov_b32 s26, exec_lo
	v_cmpx_lt_u32_e64 v80, v0
	s_cbranch_execz .LBB1465_313
.LBB1465_298:                           ;   in Loop: Header=BB1465_237 Depth=2
	global_load_b64 v[16:17], v[2:3], off offset:1024
	s_or_b32 exec_lo, exec_lo, s26
	s_delay_alu instid0(SALU_CYCLE_1)
	s_mov_b32 s26, exec_lo
	v_cmpx_lt_u32_e64 v81, v0
	s_cbranch_execnz .LBB1465_314
.LBB1465_299:                           ;   in Loop: Header=BB1465_237 Depth=2
	s_or_b32 exec_lo, exec_lo, s26
	s_delay_alu instid0(SALU_CYCLE_1)
	s_mov_b32 s26, exec_lo
	v_cmpx_lt_u32_e64 v82, v0
	s_cbranch_execz .LBB1465_315
.LBB1465_300:                           ;   in Loop: Header=BB1465_237 Depth=2
	global_load_b64 v[12:13], v[2:3], off offset:1536
	s_or_b32 exec_lo, exec_lo, s26
	s_delay_alu instid0(SALU_CYCLE_1)
	s_mov_b32 s26, exec_lo
	v_cmpx_lt_u32_e64 v83, v0
	s_cbranch_execnz .LBB1465_316
.LBB1465_301:                           ;   in Loop: Header=BB1465_237 Depth=2
	s_or_b32 exec_lo, exec_lo, s26
	s_and_saveexec_b32 s26, vcc_lo
	s_cbranch_execz .LBB1465_317
.LBB1465_302:                           ;   in Loop: Header=BB1465_237 Depth=2
	ds_load_b32 v0, v52 offset:1024
	s_waitcnt lgkmcnt(0)
	v_cmp_ne_u32_e64 s24, 0x7fffffff, v0
	s_delay_alu instid0(VALU_DEP_1) | instskip(NEXT) | instid1(VALU_DEP_1)
	v_cndmask_b32_e64 v0, 0x80000000, v0, s24
	v_lshrrev_b32_e32 v0, s25, v0
	s_delay_alu instid0(VALU_DEP_1)
	v_and_b32_e32 v96, s30, v0
	s_or_b32 exec_lo, exec_lo, s26
	s_and_saveexec_b32 s26, s17
	s_cbranch_execnz .LBB1465_318
.LBB1465_303:                           ;   in Loop: Header=BB1465_237 Depth=2
	s_or_b32 exec_lo, exec_lo, s26
	s_and_saveexec_b32 s26, s18
	s_cbranch_execz .LBB1465_319
.LBB1465_304:                           ;   in Loop: Header=BB1465_237 Depth=2
	ds_load_b32 v0, v58 offset:2048
	s_waitcnt lgkmcnt(0)
	v_cmp_ne_u32_e64 s24, 0x7fffffff, v0
	s_delay_alu instid0(VALU_DEP_1) | instskip(NEXT) | instid1(VALU_DEP_1)
	v_cndmask_b32_e64 v0, 0x80000000, v0, s24
	v_lshrrev_b32_e32 v0, s25, v0
	s_delay_alu instid0(VALU_DEP_1)
	v_and_b32_e32 v94, s30, v0
	s_or_b32 exec_lo, exec_lo, s26
	s_and_saveexec_b32 s26, s19
	s_cbranch_execnz .LBB1465_320
.LBB1465_305:                           ;   in Loop: Header=BB1465_237 Depth=2
	s_or_b32 exec_lo, exec_lo, s26
	s_and_saveexec_b32 s26, s20
	s_cbranch_execz .LBB1465_321
.LBB1465_306:                           ;   in Loop: Header=BB1465_237 Depth=2
	ds_load_b32 v0, v58 offset:4096
	s_waitcnt lgkmcnt(0)
	v_cmp_ne_u32_e64 s24, 0x7fffffff, v0
	s_delay_alu instid0(VALU_DEP_1) | instskip(NEXT) | instid1(VALU_DEP_1)
	v_cndmask_b32_e64 v0, 0x80000000, v0, s24
	v_lshrrev_b32_e32 v0, s25, v0
	s_delay_alu instid0(VALU_DEP_1)
	v_and_b32_e32 v92, s30, v0
	s_or_b32 exec_lo, exec_lo, s26
	s_and_saveexec_b32 s26, s21
	s_cbranch_execnz .LBB1465_322
.LBB1465_307:                           ;   in Loop: Header=BB1465_237 Depth=2
	s_or_b32 exec_lo, exec_lo, s26
	s_and_saveexec_b32 s26, s22
	s_cbranch_execz .LBB1465_323
.LBB1465_308:                           ;   in Loop: Header=BB1465_237 Depth=2
	ds_load_b32 v0, v58 offset:6144
	s_waitcnt lgkmcnt(0)
	v_cmp_ne_u32_e64 s24, 0x7fffffff, v0
	s_delay_alu instid0(VALU_DEP_1) | instskip(NEXT) | instid1(VALU_DEP_1)
	v_cndmask_b32_e64 v0, 0x80000000, v0, s24
	v_lshrrev_b32_e32 v0, s25, v0
	s_delay_alu instid0(VALU_DEP_1)
	v_and_b32_e32 v90, s30, v0
	s_or_b32 exec_lo, exec_lo, s26
	s_and_saveexec_b32 s26, s23
	s_cbranch_execnz .LBB1465_324
	s_branch .LBB1465_325
.LBB1465_309:                           ;   in Loop: Header=BB1465_237 Depth=2
	s_or_b32 exec_lo, exec_lo, s24
	s_delay_alu instid0(SALU_CYCLE_1)
	s_mov_b32 s26, exec_lo
	v_cmpx_lt_u32_e64 v77, v0
	s_cbranch_execz .LBB1465_295
.LBB1465_310:                           ;   in Loop: Header=BB1465_237 Depth=2
	global_load_b64 v[25:26], v[2:3], off offset:256
	s_or_b32 exec_lo, exec_lo, s26
	s_delay_alu instid0(SALU_CYCLE_1)
	s_mov_b32 s26, exec_lo
	v_cmpx_lt_u32_e64 v78, v0
	s_cbranch_execnz .LBB1465_296
.LBB1465_311:                           ;   in Loop: Header=BB1465_237 Depth=2
	s_or_b32 exec_lo, exec_lo, s26
	s_delay_alu instid0(SALU_CYCLE_1)
	s_mov_b32 s26, exec_lo
	v_cmpx_lt_u32_e64 v79, v0
	s_cbranch_execz .LBB1465_297
.LBB1465_312:                           ;   in Loop: Header=BB1465_237 Depth=2
	global_load_b64 v[21:22], v[2:3], off offset:768
	s_or_b32 exec_lo, exec_lo, s26
	s_delay_alu instid0(SALU_CYCLE_1)
	s_mov_b32 s26, exec_lo
	v_cmpx_lt_u32_e64 v80, v0
	s_cbranch_execnz .LBB1465_298
.LBB1465_313:                           ;   in Loop: Header=BB1465_237 Depth=2
	s_or_b32 exec_lo, exec_lo, s26
	s_delay_alu instid0(SALU_CYCLE_1)
	s_mov_b32 s26, exec_lo
	v_cmpx_lt_u32_e64 v81, v0
	s_cbranch_execz .LBB1465_299
.LBB1465_314:                           ;   in Loop: Header=BB1465_237 Depth=2
	global_load_b64 v[14:15], v[2:3], off offset:1280
	s_or_b32 exec_lo, exec_lo, s26
	s_delay_alu instid0(SALU_CYCLE_1)
	s_mov_b32 s26, exec_lo
	v_cmpx_lt_u32_e64 v82, v0
	s_cbranch_execnz .LBB1465_300
.LBB1465_315:                           ;   in Loop: Header=BB1465_237 Depth=2
	s_or_b32 exec_lo, exec_lo, s26
	s_delay_alu instid0(SALU_CYCLE_1)
	s_mov_b32 s26, exec_lo
	v_cmpx_lt_u32_e64 v83, v0
	s_cbranch_execz .LBB1465_301
.LBB1465_316:                           ;   in Loop: Header=BB1465_237 Depth=2
	global_load_b64 v[10:11], v[2:3], off offset:1792
	s_or_b32 exec_lo, exec_lo, s26
	s_and_saveexec_b32 s26, vcc_lo
	s_cbranch_execnz .LBB1465_302
.LBB1465_317:                           ;   in Loop: Header=BB1465_237 Depth=2
	s_or_b32 exec_lo, exec_lo, s26
	s_and_saveexec_b32 s26, s17
	s_cbranch_execz .LBB1465_303
.LBB1465_318:                           ;   in Loop: Header=BB1465_237 Depth=2
	ds_load_b32 v0, v58 offset:1024
	s_waitcnt lgkmcnt(0)
	v_cmp_ne_u32_e64 s24, 0x7fffffff, v0
	s_delay_alu instid0(VALU_DEP_1) | instskip(NEXT) | instid1(VALU_DEP_1)
	v_cndmask_b32_e64 v0, 0x80000000, v0, s24
	v_lshrrev_b32_e32 v0, s25, v0
	s_delay_alu instid0(VALU_DEP_1)
	v_and_b32_e32 v95, s30, v0
	s_or_b32 exec_lo, exec_lo, s26
	s_and_saveexec_b32 s26, s18
	s_cbranch_execnz .LBB1465_304
.LBB1465_319:                           ;   in Loop: Header=BB1465_237 Depth=2
	s_or_b32 exec_lo, exec_lo, s26
	s_and_saveexec_b32 s26, s19
	s_cbranch_execz .LBB1465_305
.LBB1465_320:                           ;   in Loop: Header=BB1465_237 Depth=2
	ds_load_b32 v0, v58 offset:3072
	s_waitcnt lgkmcnt(0)
	v_cmp_ne_u32_e64 s24, 0x7fffffff, v0
	s_delay_alu instid0(VALU_DEP_1) | instskip(NEXT) | instid1(VALU_DEP_1)
	v_cndmask_b32_e64 v0, 0x80000000, v0, s24
	v_lshrrev_b32_e32 v0, s25, v0
	s_delay_alu instid0(VALU_DEP_1)
	v_and_b32_e32 v93, s30, v0
	s_or_b32 exec_lo, exec_lo, s26
	s_and_saveexec_b32 s26, s20
	s_cbranch_execnz .LBB1465_306
.LBB1465_321:                           ;   in Loop: Header=BB1465_237 Depth=2
	s_or_b32 exec_lo, exec_lo, s26
	s_and_saveexec_b32 s26, s21
	s_cbranch_execz .LBB1465_307
.LBB1465_322:                           ;   in Loop: Header=BB1465_237 Depth=2
	ds_load_b32 v0, v58 offset:5120
	s_waitcnt lgkmcnt(0)
	v_cmp_ne_u32_e64 s24, 0x7fffffff, v0
	s_delay_alu instid0(VALU_DEP_1) | instskip(NEXT) | instid1(VALU_DEP_1)
	v_cndmask_b32_e64 v0, 0x80000000, v0, s24
	v_lshrrev_b32_e32 v0, s25, v0
	s_delay_alu instid0(VALU_DEP_1)
	v_and_b32_e32 v91, s30, v0
	s_or_b32 exec_lo, exec_lo, s26
	s_and_saveexec_b32 s26, s22
	s_cbranch_execnz .LBB1465_308
.LBB1465_323:                           ;   in Loop: Header=BB1465_237 Depth=2
	s_or_b32 exec_lo, exec_lo, s26
	s_and_saveexec_b32 s26, s23
	s_cbranch_execz .LBB1465_325
.LBB1465_324:                           ;   in Loop: Header=BB1465_237 Depth=2
	ds_load_b32 v0, v58 offset:7168
	s_waitcnt lgkmcnt(0)
	v_cmp_ne_u32_e64 s24, 0x7fffffff, v0
	s_delay_alu instid0(VALU_DEP_1) | instskip(NEXT) | instid1(VALU_DEP_1)
	v_cndmask_b32_e64 v0, 0x80000000, v0, s24
	v_lshrrev_b32_e32 v0, s25, v0
	s_delay_alu instid0(VALU_DEP_1)
	v_and_b32_e32 v89, s30, v0
.LBB1465_325:                           ;   in Loop: Header=BB1465_237 Depth=2
	s_or_b32 exec_lo, exec_lo, s26
	v_lshlrev_b32_e32 v0, 3, v101
	v_lshlrev_b32_e32 v2, 3, v97
	;; [unrolled: 1-line block ×3, first 2 shown]
	s_waitcnt vmcnt(0)
	s_waitcnt_vscnt null, 0x0
	s_barrier
	buffer_gl0_inv
	ds_store_b64 v0, v[27:28] offset:1024
	ds_store_b64 v2, v[25:26] offset:1024
	;; [unrolled: 1-line block ×3, first 2 shown]
	v_lshlrev_b32_e32 v0, 3, v7
	v_lshlrev_b32_e32 v2, 3, v6
	;; [unrolled: 1-line block ×5, first 2 shown]
	ds_store_b64 v0, v[21:22] offset:1024
	ds_store_b64 v2, v[16:17] offset:1024
	;; [unrolled: 1-line block ×5, first 2 shown]
	s_waitcnt lgkmcnt(0)
	s_barrier
	buffer_gl0_inv
	s_and_saveexec_b32 s24, vcc_lo
	s_cbranch_execz .LBB1465_333
; %bb.326:                              ;   in Loop: Header=BB1465_237 Depth=2
	v_lshlrev_b32_e32 v0, 2, v96
	v_add_nc_u32_e32 v2, v52, v31
	ds_load_b32 v0, v0
	ds_load_b64 v[2:3], v2 offset:1024
	s_waitcnt lgkmcnt(1)
	v_add_nc_u32_e32 v19, v0, v18
	s_delay_alu instid0(VALU_DEP_1) | instskip(NEXT) | instid1(VALU_DEP_1)
	v_lshlrev_b64 v[5:6], 3, v[19:20]
	v_add_co_u32 v5, vcc_lo, s54, v5
	s_delay_alu instid0(VALU_DEP_2)
	v_add_co_ci_u32_e32 v6, vcc_lo, s55, v6, vcc_lo
	s_waitcnt lgkmcnt(0)
	global_store_b64 v[5:6], v[2:3], off
	s_or_b32 exec_lo, exec_lo, s24
	s_and_saveexec_b32 s24, s17
	s_cbranch_execnz .LBB1465_334
.LBB1465_327:                           ;   in Loop: Header=BB1465_237 Depth=2
	s_or_b32 exec_lo, exec_lo, s24
	s_and_saveexec_b32 s17, s18
	s_cbranch_execz .LBB1465_335
.LBB1465_328:                           ;   in Loop: Header=BB1465_237 Depth=2
	v_lshlrev_b32_e32 v0, 2, v94
	v_add_nc_u32_e32 v2, v58, v31
	ds_load_b32 v0, v0
	ds_load_b64 v[2:3], v2 offset:4096
	s_waitcnt lgkmcnt(1)
	v_add_nc_u32_e32 v19, v0, v33
	s_delay_alu instid0(VALU_DEP_1) | instskip(NEXT) | instid1(VALU_DEP_1)
	v_lshlrev_b64 v[5:6], 3, v[19:20]
	v_add_co_u32 v5, vcc_lo, s54, v5
	s_delay_alu instid0(VALU_DEP_2)
	v_add_co_ci_u32_e32 v6, vcc_lo, s55, v6, vcc_lo
	s_waitcnt lgkmcnt(0)
	global_store_b64 v[5:6], v[2:3], off
	s_or_b32 exec_lo, exec_lo, s17
	s_and_saveexec_b32 s17, s19
	s_cbranch_execnz .LBB1465_336
.LBB1465_329:                           ;   in Loop: Header=BB1465_237 Depth=2
	s_or_b32 exec_lo, exec_lo, s17
	s_and_saveexec_b32 s17, s20
	s_cbranch_execz .LBB1465_337
.LBB1465_330:                           ;   in Loop: Header=BB1465_237 Depth=2
	v_lshlrev_b32_e32 v0, 2, v92
	v_add_nc_u32_e32 v2, v58, v31
	ds_load_b32 v0, v0
	ds_load_b64 v[2:3], v2 offset:8192
	s_waitcnt lgkmcnt(1)
	v_add_nc_u32_e32 v19, v0, v38
	s_delay_alu instid0(VALU_DEP_1) | instskip(NEXT) | instid1(VALU_DEP_1)
	v_lshlrev_b64 v[5:6], 3, v[19:20]
	v_add_co_u32 v5, vcc_lo, s54, v5
	s_delay_alu instid0(VALU_DEP_2)
	v_add_co_ci_u32_e32 v6, vcc_lo, s55, v6, vcc_lo
	s_waitcnt lgkmcnt(0)
	global_store_b64 v[5:6], v[2:3], off
	s_or_b32 exec_lo, exec_lo, s17
	s_and_saveexec_b32 s17, s21
	s_cbranch_execnz .LBB1465_338
.LBB1465_331:                           ;   in Loop: Header=BB1465_237 Depth=2
	s_or_b32 exec_lo, exec_lo, s17
	s_and_saveexec_b32 s17, s22
	s_cbranch_execz .LBB1465_339
.LBB1465_332:                           ;   in Loop: Header=BB1465_237 Depth=2
	v_lshlrev_b32_e32 v0, 2, v90
	v_add_nc_u32_e32 v2, v58, v31
	ds_load_b32 v0, v0
	ds_load_b64 v[2:3], v2 offset:12288
	s_waitcnt lgkmcnt(1)
	v_add_nc_u32_e32 v19, v0, v40
	s_delay_alu instid0(VALU_DEP_1) | instskip(NEXT) | instid1(VALU_DEP_1)
	v_lshlrev_b64 v[5:6], 3, v[19:20]
	v_add_co_u32 v5, vcc_lo, s54, v5
	s_delay_alu instid0(VALU_DEP_2)
	v_add_co_ci_u32_e32 v6, vcc_lo, s55, v6, vcc_lo
	s_waitcnt lgkmcnt(0)
	global_store_b64 v[5:6], v[2:3], off
	s_or_b32 exec_lo, exec_lo, s17
	s_and_saveexec_b32 s17, s23
	s_cbranch_execnz .LBB1465_340
	s_branch .LBB1465_341
.LBB1465_333:                           ;   in Loop: Header=BB1465_237 Depth=2
	s_or_b32 exec_lo, exec_lo, s24
	s_and_saveexec_b32 s24, s17
	s_cbranch_execz .LBB1465_327
.LBB1465_334:                           ;   in Loop: Header=BB1465_237 Depth=2
	v_lshlrev_b32_e32 v0, 2, v95
	v_add_nc_u32_e32 v2, v58, v31
	ds_load_b32 v0, v0
	ds_load_b64 v[2:3], v2 offset:2048
	s_waitcnt lgkmcnt(1)
	v_add_nc_u32_e32 v19, v0, v32
	s_delay_alu instid0(VALU_DEP_1) | instskip(NEXT) | instid1(VALU_DEP_1)
	v_lshlrev_b64 v[5:6], 3, v[19:20]
	v_add_co_u32 v5, vcc_lo, s54, v5
	s_delay_alu instid0(VALU_DEP_2)
	v_add_co_ci_u32_e32 v6, vcc_lo, s55, v6, vcc_lo
	s_waitcnt lgkmcnt(0)
	global_store_b64 v[5:6], v[2:3], off
	s_or_b32 exec_lo, exec_lo, s24
	s_and_saveexec_b32 s17, s18
	s_cbranch_execnz .LBB1465_328
.LBB1465_335:                           ;   in Loop: Header=BB1465_237 Depth=2
	s_or_b32 exec_lo, exec_lo, s17
	s_and_saveexec_b32 s17, s19
	s_cbranch_execz .LBB1465_329
.LBB1465_336:                           ;   in Loop: Header=BB1465_237 Depth=2
	v_lshlrev_b32_e32 v0, 2, v93
	v_add_nc_u32_e32 v2, v58, v31
	ds_load_b32 v0, v0
	ds_load_b64 v[2:3], v2 offset:6144
	s_waitcnt lgkmcnt(1)
	v_add_nc_u32_e32 v19, v0, v34
	s_delay_alu instid0(VALU_DEP_1) | instskip(NEXT) | instid1(VALU_DEP_1)
	v_lshlrev_b64 v[5:6], 3, v[19:20]
	v_add_co_u32 v5, vcc_lo, s54, v5
	s_delay_alu instid0(VALU_DEP_2)
	v_add_co_ci_u32_e32 v6, vcc_lo, s55, v6, vcc_lo
	s_waitcnt lgkmcnt(0)
	global_store_b64 v[5:6], v[2:3], off
	s_or_b32 exec_lo, exec_lo, s17
	s_and_saveexec_b32 s17, s20
	s_cbranch_execnz .LBB1465_330
.LBB1465_337:                           ;   in Loop: Header=BB1465_237 Depth=2
	s_or_b32 exec_lo, exec_lo, s17
	s_and_saveexec_b32 s17, s21
	s_cbranch_execz .LBB1465_331
.LBB1465_338:                           ;   in Loop: Header=BB1465_237 Depth=2
	v_lshlrev_b32_e32 v0, 2, v91
	v_add_nc_u32_e32 v2, v58, v31
	ds_load_b32 v0, v0
	ds_load_b64 v[2:3], v2 offset:10240
	s_waitcnt lgkmcnt(1)
	v_add_nc_u32_e32 v19, v0, v39
	s_delay_alu instid0(VALU_DEP_1) | instskip(NEXT) | instid1(VALU_DEP_1)
	v_lshlrev_b64 v[5:6], 3, v[19:20]
	v_add_co_u32 v5, vcc_lo, s54, v5
	s_delay_alu instid0(VALU_DEP_2)
	v_add_co_ci_u32_e32 v6, vcc_lo, s55, v6, vcc_lo
	s_waitcnt lgkmcnt(0)
	global_store_b64 v[5:6], v[2:3], off
	s_or_b32 exec_lo, exec_lo, s17
	s_and_saveexec_b32 s17, s22
	s_cbranch_execnz .LBB1465_332
.LBB1465_339:                           ;   in Loop: Header=BB1465_237 Depth=2
	s_or_b32 exec_lo, exec_lo, s17
	s_and_saveexec_b32 s17, s23
	s_cbranch_execz .LBB1465_341
.LBB1465_340:                           ;   in Loop: Header=BB1465_237 Depth=2
	v_lshlrev_b32_e32 v0, 2, v89
	v_add_nc_u32_e32 v2, v58, v31
	ds_load_b32 v0, v0
	ds_load_b64 v[2:3], v2 offset:14336
	s_waitcnt lgkmcnt(1)
	v_add_nc_u32_e32 v19, v0, v42
	s_delay_alu instid0(VALU_DEP_1) | instskip(NEXT) | instid1(VALU_DEP_1)
	v_lshlrev_b64 v[5:6], 3, v[19:20]
	v_add_co_u32 v5, vcc_lo, s54, v5
	s_delay_alu instid0(VALU_DEP_2)
	v_add_co_ci_u32_e32 v6, vcc_lo, s55, v6, vcc_lo
	s_waitcnt lgkmcnt(0)
	global_store_b64 v[5:6], v[2:3], off
.LBB1465_341:                           ;   in Loop: Header=BB1465_237 Depth=2
	s_or_b32 exec_lo, exec_lo, s17
	s_waitcnt_vscnt null, 0x0
	s_barrier
	buffer_gl0_inv
	s_and_saveexec_b32 s17, s2
	s_cbranch_execz .LBB1465_236
; %bb.342:                              ;   in Loop: Header=BB1465_237 Depth=2
	ds_load_b32 v0, v31
	s_waitcnt lgkmcnt(0)
	v_add_nc_u32_e32 v0, v0, v4
	ds_store_b32 v31, v0
	s_branch .LBB1465_236
.LBB1465_343:                           ;   in Loop: Header=BB1465_237 Depth=2
	s_or_b32 exec_lo, exec_lo, s17
	s_delay_alu instid0(SALU_CYCLE_1)
	s_mov_b32 s17, exec_lo
	v_cmpx_gt_u32_e64 s31, v77
	s_cbranch_execz .LBB1465_242
.LBB1465_344:                           ;   in Loop: Header=BB1465_237 Depth=2
	global_load_b32 v3, v[29:30], off offset:128
	s_or_b32 exec_lo, exec_lo, s17
	s_delay_alu instid0(SALU_CYCLE_1)
	s_mov_b32 s17, exec_lo
	v_cmpx_gt_u32_e64 s31, v78
	s_cbranch_execnz .LBB1465_243
.LBB1465_345:                           ;   in Loop: Header=BB1465_237 Depth=2
	s_or_b32 exec_lo, exec_lo, s17
	s_delay_alu instid0(SALU_CYCLE_1)
	s_mov_b32 s17, exec_lo
	v_cmpx_gt_u32_e64 s31, v79
	s_cbranch_execz .LBB1465_244
.LBB1465_346:                           ;   in Loop: Header=BB1465_237 Depth=2
	global_load_b32 v5, v[29:30], off offset:384
	s_or_b32 exec_lo, exec_lo, s17
	s_delay_alu instid0(SALU_CYCLE_1)
	s_mov_b32 s17, exec_lo
	v_cmpx_gt_u32_e64 s31, v80
	s_cbranch_execnz .LBB1465_245
.LBB1465_347:                           ;   in Loop: Header=BB1465_237 Depth=2
	s_or_b32 exec_lo, exec_lo, s17
	s_delay_alu instid0(SALU_CYCLE_1)
	s_mov_b32 s17, exec_lo
	v_cmpx_gt_u32_e64 s31, v81
	s_cbranch_execz .LBB1465_246
.LBB1465_348:                           ;   in Loop: Header=BB1465_237 Depth=2
	global_load_b32 v7, v[29:30], off offset:640
	s_or_b32 exec_lo, exec_lo, s17
	s_delay_alu instid0(SALU_CYCLE_1)
	s_mov_b32 s17, exec_lo
	v_cmpx_gt_u32_e64 s31, v82
	s_cbranch_execnz .LBB1465_247
	s_branch .LBB1465_248
.LBB1465_349:                           ;   in Loop: Header=BB1465_17 Depth=1
	s_waitcnt lgkmcnt(0)
	s_barrier
.LBB1465_350:                           ;   in Loop: Header=BB1465_17 Depth=1
	s_mov_b32 s1, 0
.LBB1465_351:                           ;   in Loop: Header=BB1465_17 Depth=1
	s_delay_alu instid0(SALU_CYCLE_1)
	s_and_not1_b32 vcc_lo, exec_lo, s1
	s_cbranch_vccnz .LBB1465_16
; %bb.352:                              ;   in Loop: Header=BB1465_17 Depth=1
	s_and_b32 vcc_lo, exec_lo, s35
	s_mov_b32 s1, -1
	s_cbranch_vccz .LBB1465_518
; %bb.353:                              ;   in Loop: Header=BB1465_17 Depth=1
	s_mov_b32 s1, s59
	s_mov_b32 s26, s33
	s_barrier
	buffer_gl0_inv
                                        ; implicit-def: $vgpr2_vgpr3_vgpr4_vgpr5_vgpr6_vgpr7_vgpr8_vgpr9
	s_branch .LBB1465_355
.LBB1465_354:                           ;   in Loop: Header=BB1465_355 Depth=2
	s_or_b32 exec_lo, exec_lo, s8
	s_addk_i32 s1, 0xf800
	s_cmp_ge_u32 s7, s34
	s_mov_b32 s26, s7
	s_cbranch_scc1 .LBB1465_393
.LBB1465_355:                           ;   Parent Loop BB1465_17 Depth=1
                                        ; =>  This Inner Loop Header: Depth=2
	s_add_i32 s7, s26, 0x800
	s_delay_alu instid0(SALU_CYCLE_1)
	s_cmp_gt_u32 s7, s34
	s_cbranch_scc1 .LBB1465_358
; %bb.356:                              ;   in Loop: Header=BB1465_355 Depth=2
	s_mov_b32 s9, 0
	s_mov_b32 s8, s26
	s_delay_alu instid0(SALU_CYCLE_1) | instskip(NEXT) | instid1(SALU_CYCLE_1)
	s_lshl_b64 s[10:11], s[8:9], 2
	v_add_co_u32 v21, vcc_lo, v65, s10
	v_add_co_ci_u32_e32 v22, vcc_lo, s11, v66, vcc_lo
	s_mov_b32 s10, -1
	s_waitcnt vmcnt(0)
	s_delay_alu instid0(VALU_DEP_2) | instskip(NEXT) | instid1(VALU_DEP_2)
	v_add_co_u32 v16, vcc_lo, 0x1000, v21
	v_add_co_ci_u32_e32 v17, vcc_lo, 0, v22, vcc_lo
	s_clause 0x6
	global_load_b32 v10, v[21:22], off
	global_load_b32 v11, v[21:22], off offset:1024
	global_load_b32 v12, v[21:22], off offset:2048
	;; [unrolled: 1-line block ×3, first 2 shown]
	global_load_b32 v14, v[16:17], off
	global_load_b32 v15, v[16:17], off offset:1024
	global_load_b32 v16, v[16:17], off offset:2048
	v_add_co_u32 v21, vcc_lo, 0x1c00, v21
	v_add_co_ci_u32_e32 v22, vcc_lo, 0, v22, vcc_lo
	s_movk_i32 s11, 0x800
	s_cbranch_execz .LBB1465_359
; %bb.357:                              ;   in Loop: Header=BB1465_355 Depth=2
                                        ; implicit-def: $vgpr2_vgpr3_vgpr4_vgpr5_vgpr6_vgpr7_vgpr8_vgpr9
	v_mov_b32_e32 v0, s1
	s_and_saveexec_b32 s8, s10
	s_cbranch_execnz .LBB1465_370
	s_branch .LBB1465_371
.LBB1465_358:                           ;   in Loop: Header=BB1465_355 Depth=2
	s_mov_b32 s10, 0
                                        ; implicit-def: $sgpr11
                                        ; implicit-def: $vgpr10_vgpr11_vgpr12_vgpr13_vgpr14_vgpr15_vgpr16_vgpr17
                                        ; implicit-def: $vgpr21_vgpr22
.LBB1465_359:                           ;   in Loop: Header=BB1465_355 Depth=2
	s_lshl_b64 s[8:9], s[26:27], 2
	s_mov_b32 s11, exec_lo
	s_add_u32 s8, s44, s8
	s_addc_u32 s9, s45, s9
	v_cmpx_gt_u32_e64 s1, v18
	s_cbranch_execz .LBB1465_387
; %bb.360:                              ;   in Loop: Header=BB1465_355 Depth=2
	v_lshlrev_b32_e32 v0, 2, v18
	global_load_b32 v2, v0, s[8:9]
	s_or_b32 exec_lo, exec_lo, s11
	s_delay_alu instid0(SALU_CYCLE_1)
	s_mov_b32 s11, exec_lo
	v_cmpx_gt_u32_e64 s1, v32
	s_cbranch_execnz .LBB1465_388
.LBB1465_361:                           ;   in Loop: Header=BB1465_355 Depth=2
	s_or_b32 exec_lo, exec_lo, s11
	s_delay_alu instid0(SALU_CYCLE_1)
	s_mov_b32 s11, exec_lo
	v_cmpx_gt_u32_e64 s1, v33
	s_cbranch_execz .LBB1465_389
.LBB1465_362:                           ;   in Loop: Header=BB1465_355 Depth=2
	v_lshlrev_b32_e32 v0, 2, v18
	global_load_b32 v4, v0, s[8:9] offset:2048
	s_or_b32 exec_lo, exec_lo, s11
	s_delay_alu instid0(SALU_CYCLE_1)
	s_mov_b32 s11, exec_lo
	v_cmpx_gt_u32_e64 s1, v34
	s_cbranch_execnz .LBB1465_390
.LBB1465_363:                           ;   in Loop: Header=BB1465_355 Depth=2
	s_or_b32 exec_lo, exec_lo, s11
	s_delay_alu instid0(SALU_CYCLE_1)
	s_mov_b32 s11, exec_lo
	v_cmpx_gt_u32_e64 s1, v38
	s_cbranch_execz .LBB1465_391
.LBB1465_364:                           ;   in Loop: Header=BB1465_355 Depth=2
	v_lshlrev_b32_e32 v0, 2, v38
	global_load_b32 v6, v0, s[8:9]
	s_or_b32 exec_lo, exec_lo, s11
	s_delay_alu instid0(SALU_CYCLE_1)
	s_mov_b32 s11, exec_lo
	v_cmpx_gt_u32_e64 s1, v39
	s_cbranch_execnz .LBB1465_392
.LBB1465_365:                           ;   in Loop: Header=BB1465_355 Depth=2
	s_or_b32 exec_lo, exec_lo, s11
	s_delay_alu instid0(SALU_CYCLE_1)
	s_mov_b32 s11, exec_lo
	v_cmpx_gt_u32_e64 s1, v40
	s_cbranch_execz .LBB1465_367
.LBB1465_366:                           ;   in Loop: Header=BB1465_355 Depth=2
	v_lshlrev_b32_e32 v0, 2, v40
	global_load_b32 v8, v0, s[8:9]
.LBB1465_367:                           ;   in Loop: Header=BB1465_355 Depth=2
	s_or_b32 exec_lo, exec_lo, s11
	s_delay_alu instid0(SALU_CYCLE_1)
	s_mov_b32 s12, exec_lo
                                        ; implicit-def: $sgpr11
                                        ; implicit-def: $vgpr21_vgpr22
	v_cmpx_gt_u32_e64 s1, v42
; %bb.368:                              ;   in Loop: Header=BB1465_355 Depth=2
	v_lshlrev_b32_e32 v0, 2, v42
	s_sub_i32 s11, s34, s26
	s_or_b32 s10, s10, exec_lo
	s_delay_alu instid0(VALU_DEP_1) | instskip(NEXT) | instid1(VALU_DEP_1)
	v_add_co_u32 v21, s8, s8, v0
	v_add_co_ci_u32_e64 v22, null, s9, 0, s8
; %bb.369:                              ;   in Loop: Header=BB1465_355 Depth=2
	s_or_b32 exec_lo, exec_lo, s12
	s_waitcnt vmcnt(0)
	v_dual_mov_b32 v17, v9 :: v_dual_mov_b32 v16, v8
	v_dual_mov_b32 v15, v7 :: v_dual_mov_b32 v14, v6
	;; [unrolled: 1-line block ×4, first 2 shown]
	v_mov_b32_e32 v0, s1
	s_and_saveexec_b32 s8, s10
	s_cbranch_execz .LBB1465_371
.LBB1465_370:                           ;   in Loop: Header=BB1465_355 Depth=2
	global_load_b32 v17, v[21:22], off
	s_waitcnt vmcnt(0)
	v_dual_mov_b32 v2, v10 :: v_dual_mov_b32 v5, v13
	v_dual_mov_b32 v0, s11 :: v_dual_mov_b32 v3, v11
	;; [unrolled: 1-line block ×3, first 2 shown]
	v_mov_b32_e32 v6, v14
	v_dual_mov_b32 v8, v16 :: v_dual_mov_b32 v9, v17
.LBB1465_371:                           ;   in Loop: Header=BB1465_355 Depth=2
	s_or_b32 exec_lo, exec_lo, s8
	s_delay_alu instid0(SALU_CYCLE_1)
	s_mov_b32 s8, exec_lo
	v_cmpx_lt_u32_e64 v18, v0
	s_cbranch_execz .LBB1465_379
; %bb.372:                              ;   in Loop: Header=BB1465_355 Depth=2
	v_cmp_lt_i32_e32 vcc_lo, -1, v2
	s_waitcnt vmcnt(5)
	v_lshlrev_b32_e32 v11, 2, v35
	v_cndmask_b32_e64 v10, -1, 0x80000000, vcc_lo
	s_delay_alu instid0(VALU_DEP_1) | instskip(NEXT) | instid1(VALU_DEP_1)
	v_xor_b32_e32 v10, v10, v2
	v_cmp_ne_u32_e32 vcc_lo, 0x7fffffff, v10
	v_cndmask_b32_e32 v10, 0x80000000, v10, vcc_lo
	s_delay_alu instid0(VALU_DEP_1) | instskip(NEXT) | instid1(VALU_DEP_1)
	v_lshrrev_b32_e32 v10, s57, v10
	v_and_b32_e32 v10, s30, v10
	s_delay_alu instid0(VALU_DEP_1) | instskip(SKIP_2) | instid1(SALU_CYCLE_1)
	v_lshl_or_b32 v10, v10, 4, v11
	ds_add_u32 v10, v71
	s_or_b32 exec_lo, exec_lo, s8
	s_mov_b32 s8, exec_lo
	v_cmpx_lt_u32_e64 v32, v0
	s_cbranch_execnz .LBB1465_380
.LBB1465_373:                           ;   in Loop: Header=BB1465_355 Depth=2
	s_or_b32 exec_lo, exec_lo, s8
	s_delay_alu instid0(SALU_CYCLE_1)
	s_mov_b32 s8, exec_lo
	v_cmpx_lt_u32_e64 v33, v0
	s_cbranch_execz .LBB1465_381
.LBB1465_374:                           ;   in Loop: Header=BB1465_355 Depth=2
	v_cmp_lt_i32_e32 vcc_lo, -1, v4
	s_waitcnt vmcnt(5)
	v_lshlrev_b32_e32 v11, 2, v35
	v_cndmask_b32_e64 v10, -1, 0x80000000, vcc_lo
	s_delay_alu instid0(VALU_DEP_1) | instskip(NEXT) | instid1(VALU_DEP_1)
	v_xor_b32_e32 v10, v10, v4
	v_cmp_ne_u32_e32 vcc_lo, 0x7fffffff, v10
	v_cndmask_b32_e32 v10, 0x80000000, v10, vcc_lo
	s_delay_alu instid0(VALU_DEP_1) | instskip(NEXT) | instid1(VALU_DEP_1)
	v_lshrrev_b32_e32 v10, s57, v10
	v_and_b32_e32 v10, s30, v10
	s_delay_alu instid0(VALU_DEP_1) | instskip(SKIP_2) | instid1(SALU_CYCLE_1)
	v_lshl_or_b32 v10, v10, 4, v11
	ds_add_u32 v10, v71
	s_or_b32 exec_lo, exec_lo, s8
	s_mov_b32 s8, exec_lo
	v_cmpx_lt_u32_e64 v34, v0
	s_cbranch_execnz .LBB1465_382
.LBB1465_375:                           ;   in Loop: Header=BB1465_355 Depth=2
	s_or_b32 exec_lo, exec_lo, s8
	s_delay_alu instid0(SALU_CYCLE_1)
	s_mov_b32 s8, exec_lo
	v_cmpx_lt_u32_e64 v38, v0
	s_cbranch_execz .LBB1465_383
.LBB1465_376:                           ;   in Loop: Header=BB1465_355 Depth=2
	v_cmp_lt_i32_e32 vcc_lo, -1, v6
	s_waitcnt vmcnt(5)
	v_lshlrev_b32_e32 v11, 2, v35
	v_cndmask_b32_e64 v10, -1, 0x80000000, vcc_lo
	s_delay_alu instid0(VALU_DEP_1) | instskip(NEXT) | instid1(VALU_DEP_1)
	v_xor_b32_e32 v10, v10, v6
	v_cmp_ne_u32_e32 vcc_lo, 0x7fffffff, v10
	v_cndmask_b32_e32 v10, 0x80000000, v10, vcc_lo
	s_delay_alu instid0(VALU_DEP_1) | instskip(NEXT) | instid1(VALU_DEP_1)
	v_lshrrev_b32_e32 v10, s57, v10
	v_and_b32_e32 v10, s30, v10
	s_delay_alu instid0(VALU_DEP_1) | instskip(SKIP_2) | instid1(SALU_CYCLE_1)
	v_lshl_or_b32 v10, v10, 4, v11
	ds_add_u32 v10, v71
	s_or_b32 exec_lo, exec_lo, s8
	s_mov_b32 s8, exec_lo
	v_cmpx_lt_u32_e64 v39, v0
	s_cbranch_execnz .LBB1465_384
.LBB1465_377:                           ;   in Loop: Header=BB1465_355 Depth=2
	s_or_b32 exec_lo, exec_lo, s8
	s_delay_alu instid0(SALU_CYCLE_1)
	s_mov_b32 s8, exec_lo
	v_cmpx_lt_u32_e64 v40, v0
	s_cbranch_execz .LBB1465_385
.LBB1465_378:                           ;   in Loop: Header=BB1465_355 Depth=2
	v_cmp_lt_i32_e32 vcc_lo, -1, v8
	s_waitcnt vmcnt(5)
	v_lshlrev_b32_e32 v11, 2, v35
	v_cndmask_b32_e64 v10, -1, 0x80000000, vcc_lo
	s_delay_alu instid0(VALU_DEP_1) | instskip(NEXT) | instid1(VALU_DEP_1)
	v_xor_b32_e32 v10, v10, v8
	v_cmp_ne_u32_e32 vcc_lo, 0x7fffffff, v10
	v_cndmask_b32_e32 v10, 0x80000000, v10, vcc_lo
	s_delay_alu instid0(VALU_DEP_1) | instskip(NEXT) | instid1(VALU_DEP_1)
	v_lshrrev_b32_e32 v10, s57, v10
	v_and_b32_e32 v10, s30, v10
	s_delay_alu instid0(VALU_DEP_1) | instskip(SKIP_2) | instid1(SALU_CYCLE_1)
	v_lshl_or_b32 v10, v10, 4, v11
	ds_add_u32 v10, v71
	s_or_b32 exec_lo, exec_lo, s8
	s_mov_b32 s8, exec_lo
	v_cmpx_lt_u32_e64 v42, v0
	s_cbranch_execz .LBB1465_354
	s_branch .LBB1465_386
.LBB1465_379:                           ;   in Loop: Header=BB1465_355 Depth=2
	s_or_b32 exec_lo, exec_lo, s8
	s_delay_alu instid0(SALU_CYCLE_1)
	s_mov_b32 s8, exec_lo
	v_cmpx_lt_u32_e64 v32, v0
	s_cbranch_execz .LBB1465_373
.LBB1465_380:                           ;   in Loop: Header=BB1465_355 Depth=2
	v_cmp_lt_i32_e32 vcc_lo, -1, v3
	s_waitcnt vmcnt(5)
	v_lshlrev_b32_e32 v11, 2, v35
	v_cndmask_b32_e64 v10, -1, 0x80000000, vcc_lo
	s_delay_alu instid0(VALU_DEP_1) | instskip(NEXT) | instid1(VALU_DEP_1)
	v_xor_b32_e32 v10, v10, v3
	v_cmp_ne_u32_e32 vcc_lo, 0x7fffffff, v10
	v_cndmask_b32_e32 v10, 0x80000000, v10, vcc_lo
	s_delay_alu instid0(VALU_DEP_1) | instskip(NEXT) | instid1(VALU_DEP_1)
	v_lshrrev_b32_e32 v10, s57, v10
	v_and_b32_e32 v10, s30, v10
	s_delay_alu instid0(VALU_DEP_1) | instskip(SKIP_2) | instid1(SALU_CYCLE_1)
	v_lshl_or_b32 v10, v10, 4, v11
	ds_add_u32 v10, v71
	s_or_b32 exec_lo, exec_lo, s8
	s_mov_b32 s8, exec_lo
	v_cmpx_lt_u32_e64 v33, v0
	s_cbranch_execnz .LBB1465_374
.LBB1465_381:                           ;   in Loop: Header=BB1465_355 Depth=2
	s_or_b32 exec_lo, exec_lo, s8
	s_delay_alu instid0(SALU_CYCLE_1)
	s_mov_b32 s8, exec_lo
	v_cmpx_lt_u32_e64 v34, v0
	s_cbranch_execz .LBB1465_375
.LBB1465_382:                           ;   in Loop: Header=BB1465_355 Depth=2
	v_cmp_lt_i32_e32 vcc_lo, -1, v5
	s_waitcnt vmcnt(5)
	v_lshlrev_b32_e32 v11, 2, v35
	v_cndmask_b32_e64 v10, -1, 0x80000000, vcc_lo
	s_delay_alu instid0(VALU_DEP_1) | instskip(NEXT) | instid1(VALU_DEP_1)
	v_xor_b32_e32 v10, v10, v5
	v_cmp_ne_u32_e32 vcc_lo, 0x7fffffff, v10
	v_cndmask_b32_e32 v10, 0x80000000, v10, vcc_lo
	s_delay_alu instid0(VALU_DEP_1) | instskip(NEXT) | instid1(VALU_DEP_1)
	v_lshrrev_b32_e32 v10, s57, v10
	v_and_b32_e32 v10, s30, v10
	s_delay_alu instid0(VALU_DEP_1) | instskip(SKIP_2) | instid1(SALU_CYCLE_1)
	v_lshl_or_b32 v10, v10, 4, v11
	ds_add_u32 v10, v71
	s_or_b32 exec_lo, exec_lo, s8
	s_mov_b32 s8, exec_lo
	v_cmpx_lt_u32_e64 v38, v0
	s_cbranch_execnz .LBB1465_376
.LBB1465_383:                           ;   in Loop: Header=BB1465_355 Depth=2
	s_or_b32 exec_lo, exec_lo, s8
	s_delay_alu instid0(SALU_CYCLE_1)
	s_mov_b32 s8, exec_lo
	v_cmpx_lt_u32_e64 v39, v0
	s_cbranch_execz .LBB1465_377
.LBB1465_384:                           ;   in Loop: Header=BB1465_355 Depth=2
	v_cmp_lt_i32_e32 vcc_lo, -1, v7
	s_waitcnt vmcnt(5)
	v_lshlrev_b32_e32 v11, 2, v35
	v_cndmask_b32_e64 v10, -1, 0x80000000, vcc_lo
	s_delay_alu instid0(VALU_DEP_1) | instskip(NEXT) | instid1(VALU_DEP_1)
	v_xor_b32_e32 v10, v10, v7
	v_cmp_ne_u32_e32 vcc_lo, 0x7fffffff, v10
	v_cndmask_b32_e32 v10, 0x80000000, v10, vcc_lo
	s_delay_alu instid0(VALU_DEP_1) | instskip(NEXT) | instid1(VALU_DEP_1)
	v_lshrrev_b32_e32 v10, s57, v10
	v_and_b32_e32 v10, s30, v10
	s_delay_alu instid0(VALU_DEP_1) | instskip(SKIP_2) | instid1(SALU_CYCLE_1)
	v_lshl_or_b32 v10, v10, 4, v11
	ds_add_u32 v10, v71
	s_or_b32 exec_lo, exec_lo, s8
	s_mov_b32 s8, exec_lo
	v_cmpx_lt_u32_e64 v40, v0
	s_cbranch_execnz .LBB1465_378
.LBB1465_385:                           ;   in Loop: Header=BB1465_355 Depth=2
	s_or_b32 exec_lo, exec_lo, s8
	s_delay_alu instid0(SALU_CYCLE_1)
	s_mov_b32 s8, exec_lo
	v_cmpx_lt_u32_e64 v42, v0
	s_cbranch_execz .LBB1465_354
.LBB1465_386:                           ;   in Loop: Header=BB1465_355 Depth=2
	v_cmp_lt_i32_e32 vcc_lo, -1, v9
	s_waitcnt vmcnt(6)
	v_lshlrev_b32_e32 v10, 2, v35
	v_cndmask_b32_e64 v0, -1, 0x80000000, vcc_lo
	s_delay_alu instid0(VALU_DEP_1) | instskip(NEXT) | instid1(VALU_DEP_1)
	v_xor_b32_e32 v0, v0, v9
	v_cmp_ne_u32_e32 vcc_lo, 0x7fffffff, v0
	v_cndmask_b32_e32 v0, 0x80000000, v0, vcc_lo
	s_delay_alu instid0(VALU_DEP_1) | instskip(NEXT) | instid1(VALU_DEP_1)
	v_lshrrev_b32_e32 v0, s57, v0
	v_and_b32_e32 v0, s30, v0
	s_delay_alu instid0(VALU_DEP_1)
	v_lshl_or_b32 v0, v0, 4, v10
	ds_add_u32 v0, v71
	s_branch .LBB1465_354
.LBB1465_387:                           ;   in Loop: Header=BB1465_355 Depth=2
	s_or_b32 exec_lo, exec_lo, s11
	s_delay_alu instid0(SALU_CYCLE_1)
	s_mov_b32 s11, exec_lo
	v_cmpx_gt_u32_e64 s1, v32
	s_cbranch_execz .LBB1465_361
.LBB1465_388:                           ;   in Loop: Header=BB1465_355 Depth=2
	v_lshlrev_b32_e32 v0, 2, v18
	global_load_b32 v3, v0, s[8:9] offset:1024
	s_or_b32 exec_lo, exec_lo, s11
	s_delay_alu instid0(SALU_CYCLE_1)
	s_mov_b32 s11, exec_lo
	v_cmpx_gt_u32_e64 s1, v33
	s_cbranch_execnz .LBB1465_362
.LBB1465_389:                           ;   in Loop: Header=BB1465_355 Depth=2
	s_or_b32 exec_lo, exec_lo, s11
	s_delay_alu instid0(SALU_CYCLE_1)
	s_mov_b32 s11, exec_lo
	v_cmpx_gt_u32_e64 s1, v34
	s_cbranch_execz .LBB1465_363
.LBB1465_390:                           ;   in Loop: Header=BB1465_355 Depth=2
	v_lshlrev_b32_e32 v0, 2, v18
	global_load_b32 v5, v0, s[8:9] offset:3072
	s_or_b32 exec_lo, exec_lo, s11
	s_delay_alu instid0(SALU_CYCLE_1)
	s_mov_b32 s11, exec_lo
	v_cmpx_gt_u32_e64 s1, v38
	s_cbranch_execnz .LBB1465_364
.LBB1465_391:                           ;   in Loop: Header=BB1465_355 Depth=2
	s_or_b32 exec_lo, exec_lo, s11
	s_delay_alu instid0(SALU_CYCLE_1)
	s_mov_b32 s11, exec_lo
	v_cmpx_gt_u32_e64 s1, v39
	s_cbranch_execz .LBB1465_365
.LBB1465_392:                           ;   in Loop: Header=BB1465_355 Depth=2
	v_lshlrev_b32_e32 v0, 2, v39
	global_load_b32 v7, v0, s[8:9]
	s_or_b32 exec_lo, exec_lo, s11
	s_delay_alu instid0(SALU_CYCLE_1)
	s_mov_b32 s11, exec_lo
	v_cmpx_gt_u32_e64 s1, v40
	s_cbranch_execz .LBB1465_367
	s_branch .LBB1465_366
.LBB1465_393:                           ;   in Loop: Header=BB1465_17 Depth=1
	v_mov_b32_e32 v0, 0
	s_waitcnt vmcnt(0) lgkmcnt(0)
	s_barrier
	buffer_gl0_inv
	s_and_saveexec_b32 s1, s2
	s_cbranch_execz .LBB1465_395
; %bb.394:                              ;   in Loop: Header=BB1465_17 Depth=1
	ds_load_2addr_b64 v[2:5], v43 offset1:1
	s_waitcnt lgkmcnt(0)
	v_add_nc_u32_e32 v0, v3, v2
	s_delay_alu instid0(VALU_DEP_1)
	v_add3_u32 v0, v0, v4, v5
.LBB1465_395:                           ;   in Loop: Header=BB1465_17 Depth=1
	s_or_b32 exec_lo, exec_lo, s1
	v_and_b32_e32 v2, 15, v72
	s_delay_alu instid0(VALU_DEP_2) | instskip(SKIP_1) | instid1(VALU_DEP_3)
	v_mov_b32_dpp v3, v0 row_shr:1 row_mask:0xf bank_mask:0xf
	v_and_b32_e32 v4, 16, v72
	v_cmp_eq_u32_e64 s1, 0, v2
	v_cmp_lt_u32_e64 s7, 1, v2
	v_cmp_lt_u32_e64 s8, 3, v2
	;; [unrolled: 1-line block ×3, first 2 shown]
	v_cmp_eq_u32_e64 s10, 0, v4
	v_cndmask_b32_e64 v3, v3, 0, s1
	s_delay_alu instid0(VALU_DEP_1) | instskip(NEXT) | instid1(VALU_DEP_1)
	v_add_nc_u32_e32 v0, v3, v0
	v_mov_b32_dpp v3, v0 row_shr:2 row_mask:0xf bank_mask:0xf
	s_delay_alu instid0(VALU_DEP_1) | instskip(NEXT) | instid1(VALU_DEP_1)
	v_cndmask_b32_e64 v3, 0, v3, s7
	v_add_nc_u32_e32 v0, v0, v3
	s_delay_alu instid0(VALU_DEP_1) | instskip(NEXT) | instid1(VALU_DEP_1)
	v_mov_b32_dpp v3, v0 row_shr:4 row_mask:0xf bank_mask:0xf
	v_cndmask_b32_e64 v3, 0, v3, s8
	s_delay_alu instid0(VALU_DEP_1) | instskip(NEXT) | instid1(VALU_DEP_1)
	v_add_nc_u32_e32 v0, v0, v3
	v_mov_b32_dpp v3, v0 row_shr:8 row_mask:0xf bank_mask:0xf
	s_delay_alu instid0(VALU_DEP_1) | instskip(SKIP_1) | instid1(VALU_DEP_2)
	v_cndmask_b32_e64 v2, 0, v3, s9
	v_bfe_i32 v3, v72, 4, 1
	v_add_nc_u32_e32 v0, v0, v2
	ds_swizzle_b32 v2, v0 offset:swizzle(BROADCAST,32,15)
	s_waitcnt lgkmcnt(0)
	v_and_b32_e32 v2, v3, v2
	s_delay_alu instid0(VALU_DEP_1)
	v_add_nc_u32_e32 v2, v0, v2
	s_and_saveexec_b32 s11, s3
	s_cbranch_execz .LBB1465_397
; %bb.396:                              ;   in Loop: Header=BB1465_17 Depth=1
	ds_store_b32 v44, v2
.LBB1465_397:                           ;   in Loop: Header=BB1465_17 Depth=1
	s_or_b32 exec_lo, exec_lo, s11
	v_and_b32_e32 v0, 7, v72
	s_waitcnt lgkmcnt(0)
	s_barrier
	buffer_gl0_inv
	s_and_saveexec_b32 s11, s4
	s_cbranch_execz .LBB1465_399
; %bb.398:                              ;   in Loop: Header=BB1465_17 Depth=1
	ds_load_b32 v3, v45
	v_cmp_ne_u32_e32 vcc_lo, 0, v0
	s_waitcnt lgkmcnt(0)
	v_mov_b32_dpp v4, v3 row_shr:1 row_mask:0xf bank_mask:0xf
	s_delay_alu instid0(VALU_DEP_1) | instskip(SKIP_1) | instid1(VALU_DEP_2)
	v_cndmask_b32_e32 v4, 0, v4, vcc_lo
	v_cmp_lt_u32_e32 vcc_lo, 1, v0
	v_add_nc_u32_e32 v3, v4, v3
	s_delay_alu instid0(VALU_DEP_1) | instskip(NEXT) | instid1(VALU_DEP_1)
	v_mov_b32_dpp v4, v3 row_shr:2 row_mask:0xf bank_mask:0xf
	v_cndmask_b32_e32 v4, 0, v4, vcc_lo
	v_cmp_lt_u32_e32 vcc_lo, 3, v0
	s_delay_alu instid0(VALU_DEP_2) | instskip(NEXT) | instid1(VALU_DEP_1)
	v_add_nc_u32_e32 v3, v3, v4
	v_mov_b32_dpp v4, v3 row_shr:4 row_mask:0xf bank_mask:0xf
	s_delay_alu instid0(VALU_DEP_1) | instskip(NEXT) | instid1(VALU_DEP_1)
	v_cndmask_b32_e32 v4, 0, v4, vcc_lo
	v_add_nc_u32_e32 v3, v3, v4
	ds_store_b32 v45, v3
.LBB1465_399:                           ;   in Loop: Header=BB1465_17 Depth=1
	s_or_b32 exec_lo, exec_lo, s11
	v_mov_b32_e32 v3, 0
	s_waitcnt lgkmcnt(0)
	s_barrier
	buffer_gl0_inv
	s_and_saveexec_b32 s11, s5
	s_cbranch_execz .LBB1465_401
; %bb.400:                              ;   in Loop: Header=BB1465_17 Depth=1
	ds_load_b32 v3, v46
.LBB1465_401:                           ;   in Loop: Header=BB1465_17 Depth=1
	s_or_b32 exec_lo, exec_lo, s11
	v_add_nc_u32_e32 v4, -1, v72
	s_waitcnt lgkmcnt(0)
	v_add_nc_u32_e32 v2, v3, v2
	v_cmp_eq_u32_e64 s11, 0, v72
	s_barrier
	v_cmp_gt_i32_e32 vcc_lo, 0, v4
	buffer_gl0_inv
	v_cndmask_b32_e32 v4, v4, v72, vcc_lo
	s_delay_alu instid0(VALU_DEP_1)
	v_lshlrev_b32_e32 v73, 2, v4
	ds_bpermute_b32 v2, v73, v2
	s_and_saveexec_b32 s12, s2
	s_cbranch_execz .LBB1465_403
; %bb.402:                              ;   in Loop: Header=BB1465_17 Depth=1
	s_waitcnt lgkmcnt(0)
	v_cndmask_b32_e64 v2, v2, v3, s11
	s_delay_alu instid0(VALU_DEP_1)
	v_add_nc_u32_e32 v2, s33, v2
	ds_store_b32 v31, v2
.LBB1465_403:                           ;   in Loop: Header=BB1465_17 Depth=1
	s_or_b32 exec_lo, exec_lo, s12
	s_load_b64 s[12:13], s[28:29], 0x0
	v_lshlrev_b32_e32 v3, 3, v72
	v_or_b32_e32 v74, v72, v47
	s_mov_b32 s31, s59
	s_mov_b32 s26, s33
                                        ; implicit-def: $vgpr10_vgpr11
                                        ; implicit-def: $vgpr12_vgpr13
                                        ; implicit-def: $vgpr14_vgpr15
                                        ; implicit-def: $vgpr16_vgpr17
                                        ; implicit-def: $vgpr21_vgpr22
                                        ; implicit-def: $vgpr23_vgpr24
                                        ; implicit-def: $vgpr25_vgpr26
                                        ; implicit-def: $vgpr27_vgpr28
                                        ; implicit-def: $vgpr89
                                        ; implicit-def: $vgpr90
                                        ; implicit-def: $vgpr91
                                        ; implicit-def: $vgpr92
                                        ; implicit-def: $vgpr93
                                        ; implicit-def: $vgpr94
                                        ; implicit-def: $vgpr95
                                        ; implicit-def: $vgpr96
	s_delay_alu instid0(VALU_DEP_2)
	v_add_co_u32 v75, vcc_lo, v67, v3
	v_add_co_ci_u32_e32 v76, vcc_lo, 0, v68, vcc_lo
	v_or_b32_e32 v77, 32, v74
	v_or_b32_e32 v78, 64, v74
	;; [unrolled: 1-line block ×7, first 2 shown]
	s_waitcnt lgkmcnt(0)
	s_cmp_lt_u32 s15, s13
	s_cselect_b32 s13, 14, 20
	s_delay_alu instid0(SALU_CYCLE_1) | instskip(SKIP_4) | instid1(SALU_CYCLE_1)
	s_add_u32 s16, s28, s13
	s_addc_u32 s17, s29, 0
	s_cmp_lt_u32 s14, s12
	global_load_u16 v2, v20, s[16:17]
	s_cselect_b32 s12, 12, 18
	s_add_u32 s12, s28, s12
	s_addc_u32 s13, s29, 0
	global_load_u16 v4, v20, s[12:13]
	v_cmp_eq_u32_e64 s12, 0, v0
	v_cmp_lt_u32_e64 s13, 1, v0
	v_cmp_lt_u32_e64 s16, 3, v0
	v_lshlrev_b32_e32 v0, 2, v72
	s_delay_alu instid0(VALU_DEP_1) | instskip(SKIP_1) | instid1(VALU_DEP_2)
	v_add_co_u32 v84, vcc_lo, v69, v0
	v_add_co_ci_u32_e32 v85, vcc_lo, 0, v70, vcc_lo
	v_add_co_u32 v87, vcc_lo, 0x380, v84
	s_delay_alu instid0(VALU_DEP_2) | instskip(SKIP_3) | instid1(VALU_DEP_1)
	v_add_co_ci_u32_e32 v88, vcc_lo, 0, v85, vcc_lo
	s_waitcnt vmcnt(1)
	v_mad_u32_u24 v5, v48, v2, v50
	s_waitcnt vmcnt(0)
	v_mad_u64_u32 v[2:3], null, v5, v4, v[18:19]
	s_delay_alu instid0(VALU_DEP_1)
	v_lshrrev_b32_e32 v86, 5, v2
	s_branch .LBB1465_405
.LBB1465_404:                           ;   in Loop: Header=BB1465_405 Depth=2
	s_or_b32 exec_lo, exec_lo, s17
	s_addk_i32 s31, 0xf800
	s_cmp_lt_u32 s50, s34
	s_mov_b32 s26, s50
	s_cbranch_scc0 .LBB1465_517
.LBB1465_405:                           ;   Parent Loop BB1465_17 Depth=1
                                        ; =>  This Inner Loop Header: Depth=2
	s_add_i32 s50, s26, 0x800
	s_delay_alu instid0(SALU_CYCLE_1)
	s_cmp_gt_u32 s50, s34
	s_cbranch_scc1 .LBB1465_407
; %bb.406:                              ;   in Loop: Header=BB1465_405 Depth=2
	s_mov_b32 s19, 0
	s_mov_b32 s18, s26
	s_movk_i32 s17, 0x800
	s_lshl_b64 s[20:21], s[18:19], 2
	s_delay_alu instid0(SALU_CYCLE_1)
	v_add_co_u32 v8, vcc_lo, v84, s20
	v_add_co_ci_u32_e32 v9, vcc_lo, s21, v85, vcc_lo
	s_mov_b32 s20, -1
	s_clause 0x6
	global_load_b32 v2, v[8:9], off
	global_load_b32 v3, v[8:9], off offset:128
	global_load_b32 v4, v[8:9], off offset:256
	;; [unrolled: 1-line block ×6, first 2 shown]
	s_cbranch_execz .LBB1465_408
	s_branch .LBB1465_417
.LBB1465_407:                           ;   in Loop: Header=BB1465_405 Depth=2
	s_mov_b32 s19, -1
	s_mov_b32 s20, 0
                                        ; implicit-def: $sgpr17
                                        ; implicit-def: $vgpr2_vgpr3_vgpr4_vgpr5_vgpr6_vgpr7_vgpr8_vgpr9
.LBB1465_408:                           ;   in Loop: Header=BB1465_405 Depth=2
	s_lshl_b64 s[18:19], s[26:27], 2
	s_mov_b32 s37, s36
	v_add_co_u32 v29, vcc_lo, v84, s18
	s_mov_b32 s38, s36
	s_mov_b32 s39, s36
	;; [unrolled: 1-line block ×6, first 2 shown]
	s_waitcnt vmcnt(0)
	v_dual_mov_b32 v2, s36 :: v_dual_mov_b32 v3, s37
	v_add_co_ci_u32_e32 v30, vcc_lo, s19, v85, vcc_lo
	v_dual_mov_b32 v4, s38 :: v_dual_mov_b32 v5, s39
	v_dual_mov_b32 v6, s40 :: v_dual_mov_b32 v7, s41
	;; [unrolled: 1-line block ×3, first 2 shown]
	s_mov_b32 s17, exec_lo
	v_cmpx_gt_u32_e64 s31, v74
	s_cbranch_execz .LBB1465_511
; %bb.409:                              ;   in Loop: Header=BB1465_405 Depth=2
	global_load_b32 v0, v[29:30], off
	v_mov_b32_e32 v7, v1
	v_mov_b32_e32 v2, v1
	;; [unrolled: 1-line block ×6, first 2 shown]
	s_waitcnt vmcnt(0)
	v_mov_b32_e32 v9, v7
	s_delay_alu instid0(VALU_DEP_2)
	v_dual_mov_b32 v8, v6 :: v_dual_mov_b32 v7, v5
	v_mov_b32_e32 v6, v4
	v_mov_b32_e32 v5, v3
	;; [unrolled: 1-line block ×5, first 2 shown]
	s_or_b32 exec_lo, exec_lo, s17
	s_delay_alu instid0(SALU_CYCLE_1)
	s_mov_b32 s17, exec_lo
	v_cmpx_gt_u32_e64 s31, v77
	s_cbranch_execnz .LBB1465_512
.LBB1465_410:                           ;   in Loop: Header=BB1465_405 Depth=2
	s_or_b32 exec_lo, exec_lo, s17
	s_delay_alu instid0(SALU_CYCLE_1)
	s_mov_b32 s17, exec_lo
	v_cmpx_gt_u32_e64 s31, v78
	s_cbranch_execz .LBB1465_513
.LBB1465_411:                           ;   in Loop: Header=BB1465_405 Depth=2
	global_load_b32 v4, v[29:30], off offset:256
	s_or_b32 exec_lo, exec_lo, s17
	s_delay_alu instid0(SALU_CYCLE_1)
	s_mov_b32 s17, exec_lo
	v_cmpx_gt_u32_e64 s31, v79
	s_cbranch_execnz .LBB1465_514
.LBB1465_412:                           ;   in Loop: Header=BB1465_405 Depth=2
	s_or_b32 exec_lo, exec_lo, s17
	s_delay_alu instid0(SALU_CYCLE_1)
	s_mov_b32 s17, exec_lo
	v_cmpx_gt_u32_e64 s31, v80
	s_cbranch_execz .LBB1465_515
.LBB1465_413:                           ;   in Loop: Header=BB1465_405 Depth=2
	global_load_b32 v6, v[29:30], off offset:512
	s_or_b32 exec_lo, exec_lo, s17
	s_delay_alu instid0(SALU_CYCLE_1)
	s_mov_b32 s17, exec_lo
	v_cmpx_gt_u32_e64 s31, v81
	s_cbranch_execnz .LBB1465_516
.LBB1465_414:                           ;   in Loop: Header=BB1465_405 Depth=2
	s_or_b32 exec_lo, exec_lo, s17
	s_delay_alu instid0(SALU_CYCLE_1)
	s_mov_b32 s17, exec_lo
	v_cmpx_gt_u32_e64 s31, v82
	s_cbranch_execz .LBB1465_416
.LBB1465_415:                           ;   in Loop: Header=BB1465_405 Depth=2
	global_load_b32 v8, v[29:30], off offset:768
.LBB1465_416:                           ;   in Loop: Header=BB1465_405 Depth=2
	s_or_b32 exec_lo, exec_lo, s17
	v_cmp_gt_u32_e64 s20, s31, v83
	s_sub_i32 s17, s34, s26
	s_mov_b64 s[18:19], s[26:27]
.LBB1465_417:                           ;   in Loop: Header=BB1465_405 Depth=2
	v_mov_b32_e32 v0, s31
	s_delay_alu instid0(VALU_DEP_2)
	s_and_saveexec_b32 s21, s20
	s_cbranch_execz .LBB1465_419
; %bb.418:                              ;   in Loop: Header=BB1465_405 Depth=2
	s_lshl_b64 s[18:19], s[18:19], 2
	v_mov_b32_e32 v0, s17
	v_add_co_u32 v29, vcc_lo, v87, s18
	v_add_co_ci_u32_e32 v30, vcc_lo, s19, v88, vcc_lo
	global_load_b32 v9, v[29:30], off
.LBB1465_419:                           ;   in Loop: Header=BB1465_405 Depth=2
	s_or_b32 exec_lo, exec_lo, s21
	s_waitcnt vmcnt(6)
	v_cmp_lt_i32_e32 vcc_lo, -1, v2
	ds_store_b32 v49, v20 offset:1056
	ds_store_2addr_b32 v51, v20, v20 offset0:1 offset1:2
	ds_store_2addr_b32 v51, v20, v20 offset0:3 offset1:4
	;; [unrolled: 1-line block ×4, first 2 shown]
	s_waitcnt vmcnt(0) lgkmcnt(0)
	s_barrier
	v_cndmask_b32_e64 v19, -1, 0x80000000, vcc_lo
	buffer_gl0_inv
	; wave barrier
	v_xor_b32_e32 v19, v19, v2
	s_delay_alu instid0(VALU_DEP_1) | instskip(SKIP_1) | instid1(VALU_DEP_1)
	v_cmp_ne_u32_e32 vcc_lo, 0x7fffffff, v19
	v_cndmask_b32_e32 v2, 0x80000000, v19, vcc_lo
	v_lshrrev_b32_e32 v2, s57, v2
	s_delay_alu instid0(VALU_DEP_1) | instskip(NEXT) | instid1(VALU_DEP_1)
	v_and_b32_e32 v30, s30, v2
	v_lshlrev_b32_e32 v29, 30, v30
	v_and_b32_e32 v2, 1, v30
	v_lshlrev_b32_e32 v97, 29, v30
	v_lshlrev_b32_e32 v98, 28, v30
	v_lshlrev_b32_e32 v100, 27, v30
	v_not_b32_e32 v103, v29
	v_add_co_u32 v2, s17, v2, -1
	s_delay_alu instid0(VALU_DEP_1)
	v_cndmask_b32_e64 v99, 0, 1, s17
	v_cmp_gt_i32_e64 s17, 0, v29
	v_not_b32_e32 v29, v97
	v_ashrrev_i32_e32 v103, 31, v103
	v_lshlrev_b32_e32 v101, 26, v30
	v_cmp_ne_u32_e32 vcc_lo, 0, v99
	v_lshlrev_b32_e32 v102, 25, v30
	v_ashrrev_i32_e32 v29, 31, v29
	v_xor_b32_e32 v103, s17, v103
	v_cmp_gt_i32_e64 s17, 0, v98
	v_xor_b32_e32 v2, vcc_lo, v2
	v_cmp_gt_i32_e32 vcc_lo, 0, v97
	v_not_b32_e32 v97, v98
	v_not_b32_e32 v98, v100
	v_lshlrev_b32_e32 v99, 24, v30
	v_and_b32_e32 v2, exec_lo, v2
	v_xor_b32_e32 v29, vcc_lo, v29
	v_ashrrev_i32_e32 v97, 31, v97
	v_cmp_gt_i32_e32 vcc_lo, 0, v100
	v_not_b32_e32 v100, v101
	v_and_b32_e32 v2, v2, v103
	v_ashrrev_i32_e32 v98, 31, v98
	v_xor_b32_e32 v97, s17, v97
	v_cmp_gt_i32_e64 s17, 0, v101
	v_ashrrev_i32_e32 v100, 31, v100
	v_and_b32_e32 v2, v2, v29
	v_not_b32_e32 v29, v102
	v_xor_b32_e32 v98, vcc_lo, v98
	v_cmp_gt_i32_e32 vcc_lo, 0, v102
	v_xor_b32_e32 v100, s17, v100
	v_and_b32_e32 v2, v2, v97
	v_not_b32_e32 v97, v99
	v_ashrrev_i32_e32 v29, 31, v29
	v_cmp_gt_i32_e64 s17, 0, v99
	v_mad_u32_u24 v30, v30, 9, v86
	v_and_b32_e32 v2, v2, v98
	v_ashrrev_i32_e32 v97, 31, v97
	v_xor_b32_e32 v29, vcc_lo, v29
	s_delay_alu instid0(VALU_DEP_3) | instskip(NEXT) | instid1(VALU_DEP_3)
	v_and_b32_e32 v2, v2, v100
	v_xor_b32_e32 v97, s17, v97
	s_delay_alu instid0(VALU_DEP_2) | instskip(NEXT) | instid1(VALU_DEP_1)
	v_and_b32_e32 v2, v2, v29
	v_and_b32_e32 v2, v2, v97
	v_lshl_add_u32 v97, v30, 2, 0x420
	s_delay_alu instid0(VALU_DEP_2) | instskip(SKIP_1) | instid1(VALU_DEP_2)
	v_mbcnt_lo_u32_b32 v29, v2, 0
	v_cmp_ne_u32_e64 s17, 0, v2
	v_cmp_eq_u32_e32 vcc_lo, 0, v29
	s_delay_alu instid0(VALU_DEP_2) | instskip(NEXT) | instid1(SALU_CYCLE_1)
	s_and_b32 s18, s17, vcc_lo
	s_and_saveexec_b32 s17, s18
	s_cbranch_execz .LBB1465_421
; %bb.420:                              ;   in Loop: Header=BB1465_405 Depth=2
	v_bcnt_u32_b32 v2, v2, 0
	ds_store_b32 v97, v2
.LBB1465_421:                           ;   in Loop: Header=BB1465_405 Depth=2
	s_or_b32 exec_lo, exec_lo, s17
	v_cmp_lt_i32_e32 vcc_lo, -1, v3
	; wave barrier
	v_cndmask_b32_e64 v2, -1, 0x80000000, vcc_lo
	s_delay_alu instid0(VALU_DEP_1) | instskip(NEXT) | instid1(VALU_DEP_1)
	v_xor_b32_e32 v30, v2, v3
	v_cmp_ne_u32_e32 vcc_lo, 0x7fffffff, v30
	v_cndmask_b32_e32 v2, 0x80000000, v30, vcc_lo
	s_delay_alu instid0(VALU_DEP_1) | instskip(NEXT) | instid1(VALU_DEP_1)
	v_lshrrev_b32_e32 v2, s57, v2
	v_and_b32_e32 v2, s30, v2
	s_delay_alu instid0(VALU_DEP_1)
	v_and_b32_e32 v3, 1, v2
	v_lshlrev_b32_e32 v98, 30, v2
	v_lshlrev_b32_e32 v99, 29, v2
	;; [unrolled: 1-line block ×4, first 2 shown]
	v_add_co_u32 v3, s17, v3, -1
	s_delay_alu instid0(VALU_DEP_1)
	v_cndmask_b32_e64 v101, 0, 1, s17
	v_not_b32_e32 v105, v98
	v_cmp_gt_i32_e64 s17, 0, v98
	v_not_b32_e32 v98, v99
	v_lshlrev_b32_e32 v103, 26, v2
	v_cmp_ne_u32_e32 vcc_lo, 0, v101
	v_ashrrev_i32_e32 v105, 31, v105
	v_lshlrev_b32_e32 v104, 25, v2
	v_ashrrev_i32_e32 v98, 31, v98
	v_lshlrev_b32_e32 v101, 24, v2
	v_xor_b32_e32 v3, vcc_lo, v3
	v_cmp_gt_i32_e32 vcc_lo, 0, v99
	v_not_b32_e32 v99, v100
	v_xor_b32_e32 v105, s17, v105
	v_cmp_gt_i32_e64 s17, 0, v100
	v_and_b32_e32 v3, exec_lo, v3
	v_not_b32_e32 v100, v102
	v_ashrrev_i32_e32 v99, 31, v99
	v_xor_b32_e32 v98, vcc_lo, v98
	v_cmp_gt_i32_e32 vcc_lo, 0, v102
	v_and_b32_e32 v3, v3, v105
	v_not_b32_e32 v102, v103
	v_ashrrev_i32_e32 v100, 31, v100
	v_xor_b32_e32 v99, s17, v99
	v_cmp_gt_i32_e64 s17, 0, v103
	v_and_b32_e32 v3, v3, v98
	v_not_b32_e32 v98, v104
	v_ashrrev_i32_e32 v102, 31, v102
	v_xor_b32_e32 v100, vcc_lo, v100
	v_cmp_gt_i32_e32 vcc_lo, 0, v104
	v_and_b32_e32 v3, v3, v99
	v_not_b32_e32 v99, v101
	v_ashrrev_i32_e32 v98, 31, v98
	v_xor_b32_e32 v102, s17, v102
	v_mul_u32_u24_e32 v2, 9, v2
	v_and_b32_e32 v3, v3, v100
	v_cmp_gt_i32_e64 s17, 0, v101
	v_ashrrev_i32_e32 v99, 31, v99
	v_xor_b32_e32 v98, vcc_lo, v98
	v_add_lshl_u32 v100, v2, v86, 2
	v_and_b32_e32 v3, v3, v102
	s_delay_alu instid0(VALU_DEP_4) | instskip(NEXT) | instid1(VALU_DEP_3)
	v_xor_b32_e32 v2, s17, v99
	v_add_nc_u32_e32 v101, 0x420, v100
	s_delay_alu instid0(VALU_DEP_3) | instskip(SKIP_2) | instid1(VALU_DEP_1)
	v_and_b32_e32 v3, v3, v98
	ds_load_b32 v98, v100 offset:1056
	; wave barrier
	v_and_b32_e32 v2, v3, v2
	v_mbcnt_lo_u32_b32 v99, v2, 0
	v_cmp_ne_u32_e64 s17, 0, v2
	s_delay_alu instid0(VALU_DEP_2) | instskip(NEXT) | instid1(VALU_DEP_2)
	v_cmp_eq_u32_e32 vcc_lo, 0, v99
	s_and_b32 s18, s17, vcc_lo
	s_delay_alu instid0(SALU_CYCLE_1)
	s_and_saveexec_b32 s17, s18
	s_cbranch_execz .LBB1465_423
; %bb.422:                              ;   in Loop: Header=BB1465_405 Depth=2
	s_waitcnt lgkmcnt(0)
	v_bcnt_u32_b32 v2, v2, v98
	ds_store_b32 v101, v2
.LBB1465_423:                           ;   in Loop: Header=BB1465_405 Depth=2
	s_or_b32 exec_lo, exec_lo, s17
	v_cmp_lt_i32_e32 vcc_lo, -1, v4
	; wave barrier
	v_cndmask_b32_e64 v2, -1, 0x80000000, vcc_lo
	s_delay_alu instid0(VALU_DEP_1) | instskip(NEXT) | instid1(VALU_DEP_1)
	v_xor_b32_e32 v100, v2, v4
	v_cmp_ne_u32_e32 vcc_lo, 0x7fffffff, v100
	v_cndmask_b32_e32 v2, 0x80000000, v100, vcc_lo
	s_delay_alu instid0(VALU_DEP_1) | instskip(NEXT) | instid1(VALU_DEP_1)
	v_lshrrev_b32_e32 v2, s57, v2
	v_and_b32_e32 v2, s30, v2
	s_delay_alu instid0(VALU_DEP_1)
	v_and_b32_e32 v3, 1, v2
	v_lshlrev_b32_e32 v4, 30, v2
	v_lshlrev_b32_e32 v102, 29, v2
	;; [unrolled: 1-line block ×4, first 2 shown]
	v_add_co_u32 v3, s17, v3, -1
	s_delay_alu instid0(VALU_DEP_1)
	v_cndmask_b32_e64 v104, 0, 1, s17
	v_not_b32_e32 v108, v4
	v_cmp_gt_i32_e64 s17, 0, v4
	v_not_b32_e32 v4, v102
	v_lshlrev_b32_e32 v106, 26, v2
	v_cmp_ne_u32_e32 vcc_lo, 0, v104
	v_ashrrev_i32_e32 v108, 31, v108
	v_lshlrev_b32_e32 v107, 25, v2
	v_ashrrev_i32_e32 v4, 31, v4
	v_lshlrev_b32_e32 v104, 24, v2
	v_xor_b32_e32 v3, vcc_lo, v3
	v_cmp_gt_i32_e32 vcc_lo, 0, v102
	v_not_b32_e32 v102, v103
	v_xor_b32_e32 v108, s17, v108
	v_cmp_gt_i32_e64 s17, 0, v103
	v_and_b32_e32 v3, exec_lo, v3
	v_not_b32_e32 v103, v105
	v_ashrrev_i32_e32 v102, 31, v102
	v_xor_b32_e32 v4, vcc_lo, v4
	v_cmp_gt_i32_e32 vcc_lo, 0, v105
	v_and_b32_e32 v3, v3, v108
	v_not_b32_e32 v105, v106
	v_ashrrev_i32_e32 v103, 31, v103
	v_xor_b32_e32 v102, s17, v102
	v_cmp_gt_i32_e64 s17, 0, v106
	v_and_b32_e32 v3, v3, v4
	v_not_b32_e32 v4, v107
	v_ashrrev_i32_e32 v105, 31, v105
	v_xor_b32_e32 v103, vcc_lo, v103
	v_cmp_gt_i32_e32 vcc_lo, 0, v107
	v_and_b32_e32 v3, v3, v102
	v_not_b32_e32 v102, v104
	v_ashrrev_i32_e32 v4, 31, v4
	v_xor_b32_e32 v105, s17, v105
	v_mul_u32_u24_e32 v2, 9, v2
	v_and_b32_e32 v3, v3, v103
	v_cmp_gt_i32_e64 s17, 0, v104
	v_ashrrev_i32_e32 v102, 31, v102
	v_xor_b32_e32 v4, vcc_lo, v4
	v_add_lshl_u32 v103, v2, v86, 2
	v_and_b32_e32 v3, v3, v105
	s_delay_alu instid0(VALU_DEP_4) | instskip(SKIP_3) | instid1(VALU_DEP_2)
	v_xor_b32_e32 v2, s17, v102
	ds_load_b32 v102, v103 offset:1056
	v_and_b32_e32 v3, v3, v4
	v_add_nc_u32_e32 v105, 0x420, v103
	; wave barrier
	v_and_b32_e32 v2, v3, v2
	s_delay_alu instid0(VALU_DEP_1) | instskip(SKIP_1) | instid1(VALU_DEP_2)
	v_mbcnt_lo_u32_b32 v104, v2, 0
	v_cmp_ne_u32_e64 s17, 0, v2
	v_cmp_eq_u32_e32 vcc_lo, 0, v104
	s_delay_alu instid0(VALU_DEP_2) | instskip(NEXT) | instid1(SALU_CYCLE_1)
	s_and_b32 s18, s17, vcc_lo
	s_and_saveexec_b32 s17, s18
	s_cbranch_execz .LBB1465_425
; %bb.424:                              ;   in Loop: Header=BB1465_405 Depth=2
	s_waitcnt lgkmcnt(0)
	v_bcnt_u32_b32 v2, v2, v102
	ds_store_b32 v105, v2
.LBB1465_425:                           ;   in Loop: Header=BB1465_405 Depth=2
	s_or_b32 exec_lo, exec_lo, s17
	v_cmp_lt_i32_e32 vcc_lo, -1, v5
	; wave barrier
	v_cndmask_b32_e64 v2, -1, 0x80000000, vcc_lo
	s_delay_alu instid0(VALU_DEP_1) | instskip(NEXT) | instid1(VALU_DEP_1)
	v_xor_b32_e32 v103, v2, v5
	v_cmp_ne_u32_e32 vcc_lo, 0x7fffffff, v103
	v_cndmask_b32_e32 v2, 0x80000000, v103, vcc_lo
	s_delay_alu instid0(VALU_DEP_1) | instskip(NEXT) | instid1(VALU_DEP_1)
	v_lshrrev_b32_e32 v2, s57, v2
	v_and_b32_e32 v2, s30, v2
	s_delay_alu instid0(VALU_DEP_1)
	v_and_b32_e32 v3, 1, v2
	v_lshlrev_b32_e32 v4, 30, v2
	v_lshlrev_b32_e32 v5, 29, v2
	;; [unrolled: 1-line block ×4, first 2 shown]
	v_add_co_u32 v3, s17, v3, -1
	s_delay_alu instid0(VALU_DEP_1)
	v_cndmask_b32_e64 v107, 0, 1, s17
	v_not_b32_e32 v111, v4
	v_cmp_gt_i32_e64 s17, 0, v4
	v_not_b32_e32 v4, v5
	v_lshlrev_b32_e32 v109, 26, v2
	v_cmp_ne_u32_e32 vcc_lo, 0, v107
	v_ashrrev_i32_e32 v111, 31, v111
	v_lshlrev_b32_e32 v110, 25, v2
	v_ashrrev_i32_e32 v4, 31, v4
	v_lshlrev_b32_e32 v107, 24, v2
	v_xor_b32_e32 v3, vcc_lo, v3
	v_cmp_gt_i32_e32 vcc_lo, 0, v5
	v_not_b32_e32 v5, v106
	v_xor_b32_e32 v111, s17, v111
	v_cmp_gt_i32_e64 s17, 0, v106
	v_and_b32_e32 v3, exec_lo, v3
	v_not_b32_e32 v106, v108
	v_ashrrev_i32_e32 v5, 31, v5
	v_xor_b32_e32 v4, vcc_lo, v4
	v_cmp_gt_i32_e32 vcc_lo, 0, v108
	v_and_b32_e32 v3, v3, v111
	v_not_b32_e32 v108, v109
	v_ashrrev_i32_e32 v106, 31, v106
	v_xor_b32_e32 v5, s17, v5
	v_cmp_gt_i32_e64 s17, 0, v109
	v_and_b32_e32 v3, v3, v4
	v_not_b32_e32 v4, v110
	v_ashrrev_i32_e32 v108, 31, v108
	v_xor_b32_e32 v106, vcc_lo, v106
	v_cmp_gt_i32_e32 vcc_lo, 0, v110
	v_and_b32_e32 v3, v3, v5
	v_not_b32_e32 v5, v107
	v_ashrrev_i32_e32 v4, 31, v4
	v_xor_b32_e32 v108, s17, v108
	v_mul_u32_u24_e32 v2, 9, v2
	v_and_b32_e32 v3, v3, v106
	v_cmp_gt_i32_e64 s17, 0, v107
	v_ashrrev_i32_e32 v5, 31, v5
	v_xor_b32_e32 v4, vcc_lo, v4
	v_add_lshl_u32 v106, v2, v86, 2
	v_and_b32_e32 v3, v3, v108
	s_delay_alu instid0(VALU_DEP_4) | instskip(SKIP_3) | instid1(VALU_DEP_2)
	v_xor_b32_e32 v2, s17, v5
	ds_load_b32 v107, v106 offset:1056
	v_and_b32_e32 v3, v3, v4
	v_add_nc_u32_e32 v109, 0x420, v106
	; wave barrier
	v_and_b32_e32 v2, v3, v2
	s_delay_alu instid0(VALU_DEP_1) | instskip(SKIP_1) | instid1(VALU_DEP_2)
	v_mbcnt_lo_u32_b32 v108, v2, 0
	v_cmp_ne_u32_e64 s17, 0, v2
	v_cmp_eq_u32_e32 vcc_lo, 0, v108
	s_delay_alu instid0(VALU_DEP_2) | instskip(NEXT) | instid1(SALU_CYCLE_1)
	s_and_b32 s18, s17, vcc_lo
	s_and_saveexec_b32 s17, s18
	s_cbranch_execz .LBB1465_427
; %bb.426:                              ;   in Loop: Header=BB1465_405 Depth=2
	s_waitcnt lgkmcnt(0)
	v_bcnt_u32_b32 v2, v2, v107
	ds_store_b32 v109, v2
.LBB1465_427:                           ;   in Loop: Header=BB1465_405 Depth=2
	s_or_b32 exec_lo, exec_lo, s17
	v_cmp_lt_i32_e32 vcc_lo, -1, v6
	; wave barrier
	v_cndmask_b32_e64 v2, -1, 0x80000000, vcc_lo
	s_delay_alu instid0(VALU_DEP_1) | instskip(NEXT) | instid1(VALU_DEP_1)
	v_xor_b32_e32 v106, v2, v6
	v_cmp_ne_u32_e32 vcc_lo, 0x7fffffff, v106
	v_cndmask_b32_e32 v2, 0x80000000, v106, vcc_lo
	s_delay_alu instid0(VALU_DEP_1) | instskip(NEXT) | instid1(VALU_DEP_1)
	v_lshrrev_b32_e32 v2, s57, v2
	v_and_b32_e32 v2, s30, v2
	s_delay_alu instid0(VALU_DEP_1)
	v_and_b32_e32 v3, 1, v2
	v_lshlrev_b32_e32 v4, 30, v2
	v_lshlrev_b32_e32 v5, 29, v2
	;; [unrolled: 1-line block ×4, first 2 shown]
	v_add_co_u32 v3, s17, v3, -1
	s_delay_alu instid0(VALU_DEP_1)
	v_cndmask_b32_e64 v110, 0, 1, s17
	v_not_b32_e32 v114, v4
	v_cmp_gt_i32_e64 s17, 0, v4
	v_not_b32_e32 v4, v5
	v_lshlrev_b32_e32 v112, 26, v2
	v_cmp_ne_u32_e32 vcc_lo, 0, v110
	v_ashrrev_i32_e32 v114, 31, v114
	v_lshlrev_b32_e32 v113, 25, v2
	v_ashrrev_i32_e32 v4, 31, v4
	v_lshlrev_b32_e32 v110, 24, v2
	v_xor_b32_e32 v3, vcc_lo, v3
	v_cmp_gt_i32_e32 vcc_lo, 0, v5
	v_not_b32_e32 v5, v6
	v_xor_b32_e32 v114, s17, v114
	v_cmp_gt_i32_e64 s17, 0, v6
	v_and_b32_e32 v3, exec_lo, v3
	v_not_b32_e32 v6, v111
	v_ashrrev_i32_e32 v5, 31, v5
	v_xor_b32_e32 v4, vcc_lo, v4
	v_cmp_gt_i32_e32 vcc_lo, 0, v111
	v_and_b32_e32 v3, v3, v114
	v_not_b32_e32 v111, v112
	v_ashrrev_i32_e32 v6, 31, v6
	v_xor_b32_e32 v5, s17, v5
	v_cmp_gt_i32_e64 s17, 0, v112
	v_and_b32_e32 v3, v3, v4
	v_not_b32_e32 v4, v113
	v_ashrrev_i32_e32 v111, 31, v111
	v_xor_b32_e32 v6, vcc_lo, v6
	v_cmp_gt_i32_e32 vcc_lo, 0, v113
	v_and_b32_e32 v3, v3, v5
	v_not_b32_e32 v5, v110
	v_ashrrev_i32_e32 v4, 31, v4
	v_xor_b32_e32 v111, s17, v111
	v_mul_u32_u24_e32 v2, 9, v2
	v_and_b32_e32 v3, v3, v6
	v_cmp_gt_i32_e64 s17, 0, v110
	v_ashrrev_i32_e32 v5, 31, v5
	v_xor_b32_e32 v4, vcc_lo, v4
	v_add_lshl_u32 v6, v2, v86, 2
	v_and_b32_e32 v3, v3, v111
	s_delay_alu instid0(VALU_DEP_4) | instskip(SKIP_3) | instid1(VALU_DEP_2)
	v_xor_b32_e32 v2, s17, v5
	ds_load_b32 v111, v6 offset:1056
	v_and_b32_e32 v3, v3, v4
	v_add_nc_u32_e32 v113, 0x420, v6
	; wave barrier
	v_and_b32_e32 v2, v3, v2
	s_delay_alu instid0(VALU_DEP_1) | instskip(SKIP_1) | instid1(VALU_DEP_2)
	v_mbcnt_lo_u32_b32 v112, v2, 0
	v_cmp_ne_u32_e64 s17, 0, v2
	v_cmp_eq_u32_e32 vcc_lo, 0, v112
	s_delay_alu instid0(VALU_DEP_2) | instskip(NEXT) | instid1(SALU_CYCLE_1)
	s_and_b32 s18, s17, vcc_lo
	s_and_saveexec_b32 s17, s18
	s_cbranch_execz .LBB1465_429
; %bb.428:                              ;   in Loop: Header=BB1465_405 Depth=2
	s_waitcnt lgkmcnt(0)
	v_bcnt_u32_b32 v2, v2, v111
	ds_store_b32 v113, v2
.LBB1465_429:                           ;   in Loop: Header=BB1465_405 Depth=2
	s_or_b32 exec_lo, exec_lo, s17
	v_cmp_lt_i32_e32 vcc_lo, -1, v7
	; wave barrier
	v_cndmask_b32_e64 v2, -1, 0x80000000, vcc_lo
	s_delay_alu instid0(VALU_DEP_1) | instskip(NEXT) | instid1(VALU_DEP_1)
	v_xor_b32_e32 v110, v2, v7
	v_cmp_ne_u32_e32 vcc_lo, 0x7fffffff, v110
	v_cndmask_b32_e32 v2, 0x80000000, v110, vcc_lo
	s_delay_alu instid0(VALU_DEP_1) | instskip(NEXT) | instid1(VALU_DEP_1)
	v_lshrrev_b32_e32 v2, s57, v2
	v_and_b32_e32 v2, s30, v2
	s_delay_alu instid0(VALU_DEP_1)
	v_and_b32_e32 v3, 1, v2
	v_lshlrev_b32_e32 v4, 30, v2
	v_lshlrev_b32_e32 v5, 29, v2
	;; [unrolled: 1-line block ×4, first 2 shown]
	v_add_co_u32 v3, s17, v3, -1
	s_delay_alu instid0(VALU_DEP_1)
	v_cndmask_b32_e64 v7, 0, 1, s17
	v_not_b32_e32 v117, v4
	v_cmp_gt_i32_e64 s17, 0, v4
	v_not_b32_e32 v4, v5
	v_lshlrev_b32_e32 v115, 26, v2
	v_cmp_ne_u32_e32 vcc_lo, 0, v7
	v_ashrrev_i32_e32 v117, 31, v117
	v_lshlrev_b32_e32 v116, 25, v2
	v_ashrrev_i32_e32 v4, 31, v4
	v_lshlrev_b32_e32 v7, 24, v2
	v_xor_b32_e32 v3, vcc_lo, v3
	v_cmp_gt_i32_e32 vcc_lo, 0, v5
	v_not_b32_e32 v5, v6
	v_xor_b32_e32 v117, s17, v117
	v_cmp_gt_i32_e64 s17, 0, v6
	v_and_b32_e32 v3, exec_lo, v3
	v_not_b32_e32 v6, v114
	v_ashrrev_i32_e32 v5, 31, v5
	v_xor_b32_e32 v4, vcc_lo, v4
	v_cmp_gt_i32_e32 vcc_lo, 0, v114
	v_and_b32_e32 v3, v3, v117
	v_not_b32_e32 v114, v115
	v_ashrrev_i32_e32 v6, 31, v6
	v_xor_b32_e32 v5, s17, v5
	v_cmp_gt_i32_e64 s17, 0, v115
	v_and_b32_e32 v3, v3, v4
	v_not_b32_e32 v4, v116
	v_ashrrev_i32_e32 v114, 31, v114
	v_xor_b32_e32 v6, vcc_lo, v6
	v_cmp_gt_i32_e32 vcc_lo, 0, v116
	v_and_b32_e32 v3, v3, v5
	v_not_b32_e32 v5, v7
	v_ashrrev_i32_e32 v4, 31, v4
	v_xor_b32_e32 v114, s17, v114
	v_mul_u32_u24_e32 v2, 9, v2
	v_and_b32_e32 v3, v3, v6
	v_cmp_gt_i32_e64 s17, 0, v7
	v_ashrrev_i32_e32 v5, 31, v5
	v_xor_b32_e32 v4, vcc_lo, v4
	v_add_lshl_u32 v6, v2, v86, 2
	v_and_b32_e32 v3, v3, v114
	s_delay_alu instid0(VALU_DEP_4) | instskip(SKIP_3) | instid1(VALU_DEP_2)
	v_xor_b32_e32 v2, s17, v5
	ds_load_b32 v115, v6 offset:1056
	v_and_b32_e32 v3, v3, v4
	v_add_nc_u32_e32 v117, 0x420, v6
	; wave barrier
	v_and_b32_e32 v2, v3, v2
	s_delay_alu instid0(VALU_DEP_1) | instskip(SKIP_1) | instid1(VALU_DEP_2)
	v_mbcnt_lo_u32_b32 v116, v2, 0
	v_cmp_ne_u32_e64 s17, 0, v2
	v_cmp_eq_u32_e32 vcc_lo, 0, v116
	s_delay_alu instid0(VALU_DEP_2) | instskip(NEXT) | instid1(SALU_CYCLE_1)
	s_and_b32 s18, s17, vcc_lo
	s_and_saveexec_b32 s17, s18
	s_cbranch_execz .LBB1465_431
; %bb.430:                              ;   in Loop: Header=BB1465_405 Depth=2
	s_waitcnt lgkmcnt(0)
	v_bcnt_u32_b32 v2, v2, v115
	ds_store_b32 v117, v2
.LBB1465_431:                           ;   in Loop: Header=BB1465_405 Depth=2
	s_or_b32 exec_lo, exec_lo, s17
	v_cmp_lt_i32_e32 vcc_lo, -1, v8
	; wave barrier
	v_cndmask_b32_e64 v2, -1, 0x80000000, vcc_lo
	s_delay_alu instid0(VALU_DEP_1) | instskip(NEXT) | instid1(VALU_DEP_1)
	v_xor_b32_e32 v114, v2, v8
	v_cmp_ne_u32_e32 vcc_lo, 0x7fffffff, v114
	v_cndmask_b32_e32 v2, 0x80000000, v114, vcc_lo
	s_delay_alu instid0(VALU_DEP_1) | instskip(NEXT) | instid1(VALU_DEP_1)
	v_lshrrev_b32_e32 v2, s57, v2
	v_and_b32_e32 v2, s30, v2
	s_delay_alu instid0(VALU_DEP_1)
	v_and_b32_e32 v3, 1, v2
	v_lshlrev_b32_e32 v4, 30, v2
	v_lshlrev_b32_e32 v5, 29, v2
	;; [unrolled: 1-line block ×4, first 2 shown]
	v_add_co_u32 v3, s17, v3, -1
	s_delay_alu instid0(VALU_DEP_1)
	v_cndmask_b32_e64 v7, 0, 1, s17
	v_not_b32_e32 v120, v4
	v_cmp_gt_i32_e64 s17, 0, v4
	v_not_b32_e32 v4, v5
	v_lshlrev_b32_e32 v118, 26, v2
	v_cmp_ne_u32_e32 vcc_lo, 0, v7
	v_ashrrev_i32_e32 v120, 31, v120
	v_lshlrev_b32_e32 v119, 25, v2
	v_ashrrev_i32_e32 v4, 31, v4
	v_lshlrev_b32_e32 v7, 24, v2
	v_xor_b32_e32 v3, vcc_lo, v3
	v_cmp_gt_i32_e32 vcc_lo, 0, v5
	v_not_b32_e32 v5, v6
	v_xor_b32_e32 v120, s17, v120
	v_cmp_gt_i32_e64 s17, 0, v6
	v_and_b32_e32 v3, exec_lo, v3
	v_not_b32_e32 v6, v8
	v_ashrrev_i32_e32 v5, 31, v5
	v_xor_b32_e32 v4, vcc_lo, v4
	v_cmp_gt_i32_e32 vcc_lo, 0, v8
	v_and_b32_e32 v3, v3, v120
	v_not_b32_e32 v8, v118
	v_ashrrev_i32_e32 v6, 31, v6
	v_xor_b32_e32 v5, s17, v5
	v_cmp_gt_i32_e64 s17, 0, v118
	v_and_b32_e32 v3, v3, v4
	v_not_b32_e32 v4, v119
	v_ashrrev_i32_e32 v8, 31, v8
	v_xor_b32_e32 v6, vcc_lo, v6
	v_cmp_gt_i32_e32 vcc_lo, 0, v119
	v_and_b32_e32 v3, v3, v5
	v_not_b32_e32 v5, v7
	v_ashrrev_i32_e32 v4, 31, v4
	v_xor_b32_e32 v8, s17, v8
	v_mul_u32_u24_e32 v2, 9, v2
	v_and_b32_e32 v3, v3, v6
	v_cmp_gt_i32_e64 s17, 0, v7
	v_ashrrev_i32_e32 v5, 31, v5
	v_xor_b32_e32 v4, vcc_lo, v4
	v_add_lshl_u32 v6, v2, v86, 2
	v_and_b32_e32 v3, v3, v8
	s_delay_alu instid0(VALU_DEP_4) | instskip(SKIP_3) | instid1(VALU_DEP_2)
	v_xor_b32_e32 v2, s17, v5
	ds_load_b32 v119, v6 offset:1056
	v_and_b32_e32 v3, v3, v4
	v_add_nc_u32_e32 v121, 0x420, v6
	; wave barrier
	v_and_b32_e32 v2, v3, v2
	s_delay_alu instid0(VALU_DEP_1) | instskip(SKIP_1) | instid1(VALU_DEP_2)
	v_mbcnt_lo_u32_b32 v120, v2, 0
	v_cmp_ne_u32_e64 s17, 0, v2
	v_cmp_eq_u32_e32 vcc_lo, 0, v120
	s_delay_alu instid0(VALU_DEP_2) | instskip(NEXT) | instid1(SALU_CYCLE_1)
	s_and_b32 s18, s17, vcc_lo
	s_and_saveexec_b32 s17, s18
	s_cbranch_execz .LBB1465_433
; %bb.432:                              ;   in Loop: Header=BB1465_405 Depth=2
	s_waitcnt lgkmcnt(0)
	v_bcnt_u32_b32 v2, v2, v119
	ds_store_b32 v121, v2
.LBB1465_433:                           ;   in Loop: Header=BB1465_405 Depth=2
	s_or_b32 exec_lo, exec_lo, s17
	v_cmp_lt_i32_e32 vcc_lo, -1, v9
	; wave barrier
	v_cndmask_b32_e64 v2, -1, 0x80000000, vcc_lo
	s_delay_alu instid0(VALU_DEP_1) | instskip(NEXT) | instid1(VALU_DEP_1)
	v_xor_b32_e32 v118, v2, v9
	v_cmp_ne_u32_e32 vcc_lo, 0x7fffffff, v118
	v_cndmask_b32_e32 v2, 0x80000000, v118, vcc_lo
	s_delay_alu instid0(VALU_DEP_1) | instskip(NEXT) | instid1(VALU_DEP_1)
	v_lshrrev_b32_e32 v2, s57, v2
	v_and_b32_e32 v2, s30, v2
	s_delay_alu instid0(VALU_DEP_1)
	v_and_b32_e32 v3, 1, v2
	v_lshlrev_b32_e32 v4, 30, v2
	v_lshlrev_b32_e32 v5, 29, v2
	;; [unrolled: 1-line block ×4, first 2 shown]
	v_add_co_u32 v3, s17, v3, -1
	s_delay_alu instid0(VALU_DEP_1)
	v_cndmask_b32_e64 v7, 0, 1, s17
	v_not_b32_e32 v123, v4
	v_cmp_gt_i32_e64 s17, 0, v4
	v_not_b32_e32 v4, v5
	v_lshlrev_b32_e32 v9, 26, v2
	v_cmp_ne_u32_e32 vcc_lo, 0, v7
	v_ashrrev_i32_e32 v123, 31, v123
	v_lshlrev_b32_e32 v122, 25, v2
	v_ashrrev_i32_e32 v4, 31, v4
	v_lshlrev_b32_e32 v7, 24, v2
	v_xor_b32_e32 v3, vcc_lo, v3
	v_cmp_gt_i32_e32 vcc_lo, 0, v5
	v_not_b32_e32 v5, v6
	v_xor_b32_e32 v123, s17, v123
	v_cmp_gt_i32_e64 s17, 0, v6
	v_and_b32_e32 v3, exec_lo, v3
	v_not_b32_e32 v6, v8
	v_ashrrev_i32_e32 v5, 31, v5
	v_xor_b32_e32 v4, vcc_lo, v4
	v_cmp_gt_i32_e32 vcc_lo, 0, v8
	v_and_b32_e32 v3, v3, v123
	v_not_b32_e32 v8, v9
	v_ashrrev_i32_e32 v6, 31, v6
	v_xor_b32_e32 v5, s17, v5
	v_cmp_gt_i32_e64 s17, 0, v9
	v_and_b32_e32 v3, v3, v4
	v_not_b32_e32 v4, v122
	v_ashrrev_i32_e32 v8, 31, v8
	v_xor_b32_e32 v6, vcc_lo, v6
	v_cmp_gt_i32_e32 vcc_lo, 0, v122
	v_and_b32_e32 v3, v3, v5
	v_not_b32_e32 v5, v7
	v_ashrrev_i32_e32 v4, 31, v4
	v_xor_b32_e32 v8, s17, v8
	v_mul_u32_u24_e32 v2, 9, v2
	v_and_b32_e32 v3, v3, v6
	v_cmp_gt_i32_e64 s17, 0, v7
	v_ashrrev_i32_e32 v5, 31, v5
	v_xor_b32_e32 v4, vcc_lo, v4
	v_add_lshl_u32 v6, v2, v86, 2
	v_and_b32_e32 v3, v3, v8
	s_delay_alu instid0(VALU_DEP_4) | instskip(SKIP_3) | instid1(VALU_DEP_2)
	v_xor_b32_e32 v2, s17, v5
	ds_load_b32 v122, v6 offset:1056
	v_and_b32_e32 v3, v3, v4
	v_add_nc_u32_e32 v124, 0x420, v6
	; wave barrier
	v_and_b32_e32 v2, v3, v2
	s_delay_alu instid0(VALU_DEP_1) | instskip(SKIP_1) | instid1(VALU_DEP_2)
	v_mbcnt_lo_u32_b32 v123, v2, 0
	v_cmp_ne_u32_e64 s17, 0, v2
	v_cmp_eq_u32_e32 vcc_lo, 0, v123
	s_delay_alu instid0(VALU_DEP_2) | instskip(NEXT) | instid1(SALU_CYCLE_1)
	s_and_b32 s18, s17, vcc_lo
	s_and_saveexec_b32 s17, s18
	s_cbranch_execz .LBB1465_435
; %bb.434:                              ;   in Loop: Header=BB1465_405 Depth=2
	s_waitcnt lgkmcnt(0)
	v_bcnt_u32_b32 v2, v2, v122
	ds_store_b32 v124, v2
.LBB1465_435:                           ;   in Loop: Header=BB1465_405 Depth=2
	s_or_b32 exec_lo, exec_lo, s17
	; wave barrier
	s_waitcnt lgkmcnt(0)
	s_barrier
	buffer_gl0_inv
	ds_load_b32 v125, v49 offset:1056
	ds_load_2addr_b32 v[8:9], v51 offset0:1 offset1:2
	ds_load_2addr_b32 v[6:7], v51 offset0:3 offset1:4
	;; [unrolled: 1-line block ×4, first 2 shown]
	s_waitcnt lgkmcnt(3)
	v_add3_u32 v126, v8, v125, v9
	s_waitcnt lgkmcnt(2)
	s_delay_alu instid0(VALU_DEP_1) | instskip(SKIP_1) | instid1(VALU_DEP_1)
	v_add3_u32 v126, v126, v6, v7
	s_waitcnt lgkmcnt(1)
	v_add3_u32 v126, v126, v2, v3
	s_waitcnt lgkmcnt(0)
	s_delay_alu instid0(VALU_DEP_1) | instskip(NEXT) | instid1(VALU_DEP_1)
	v_add3_u32 v5, v126, v4, v5
	v_mov_b32_dpp v126, v5 row_shr:1 row_mask:0xf bank_mask:0xf
	s_delay_alu instid0(VALU_DEP_1) | instskip(NEXT) | instid1(VALU_DEP_1)
	v_cndmask_b32_e64 v126, v126, 0, s1
	v_add_nc_u32_e32 v5, v126, v5
	s_delay_alu instid0(VALU_DEP_1) | instskip(NEXT) | instid1(VALU_DEP_1)
	v_mov_b32_dpp v126, v5 row_shr:2 row_mask:0xf bank_mask:0xf
	v_cndmask_b32_e64 v126, 0, v126, s7
	s_delay_alu instid0(VALU_DEP_1) | instskip(NEXT) | instid1(VALU_DEP_1)
	v_add_nc_u32_e32 v5, v5, v126
	v_mov_b32_dpp v126, v5 row_shr:4 row_mask:0xf bank_mask:0xf
	s_delay_alu instid0(VALU_DEP_1) | instskip(NEXT) | instid1(VALU_DEP_1)
	v_cndmask_b32_e64 v126, 0, v126, s8
	v_add_nc_u32_e32 v5, v5, v126
	s_delay_alu instid0(VALU_DEP_1) | instskip(NEXT) | instid1(VALU_DEP_1)
	v_mov_b32_dpp v126, v5 row_shr:8 row_mask:0xf bank_mask:0xf
	v_cndmask_b32_e64 v126, 0, v126, s9
	s_delay_alu instid0(VALU_DEP_1) | instskip(SKIP_3) | instid1(VALU_DEP_1)
	v_add_nc_u32_e32 v5, v5, v126
	ds_swizzle_b32 v126, v5 offset:swizzle(BROADCAST,32,15)
	s_waitcnt lgkmcnt(0)
	v_cndmask_b32_e64 v126, v126, 0, s10
	v_add_nc_u32_e32 v5, v5, v126
	s_and_saveexec_b32 s17, s3
	s_cbranch_execz .LBB1465_437
; %bb.436:                              ;   in Loop: Header=BB1465_405 Depth=2
	ds_store_b32 v41, v5 offset:1024
.LBB1465_437:                           ;   in Loop: Header=BB1465_405 Depth=2
	s_or_b32 exec_lo, exec_lo, s17
	s_waitcnt lgkmcnt(0)
	s_barrier
	buffer_gl0_inv
	s_and_saveexec_b32 s17, s4
	s_cbranch_execz .LBB1465_439
; %bb.438:                              ;   in Loop: Header=BB1465_405 Depth=2
	ds_load_b32 v126, v52 offset:1024
	s_waitcnt lgkmcnt(0)
	v_mov_b32_dpp v127, v126 row_shr:1 row_mask:0xf bank_mask:0xf
	s_delay_alu instid0(VALU_DEP_1) | instskip(NEXT) | instid1(VALU_DEP_1)
	v_cndmask_b32_e64 v127, v127, 0, s12
	v_add_nc_u32_e32 v126, v127, v126
	s_delay_alu instid0(VALU_DEP_1) | instskip(NEXT) | instid1(VALU_DEP_1)
	v_mov_b32_dpp v127, v126 row_shr:2 row_mask:0xf bank_mask:0xf
	v_cndmask_b32_e64 v127, 0, v127, s13
	s_delay_alu instid0(VALU_DEP_1) | instskip(NEXT) | instid1(VALU_DEP_1)
	v_add_nc_u32_e32 v126, v126, v127
	v_mov_b32_dpp v127, v126 row_shr:4 row_mask:0xf bank_mask:0xf
	s_delay_alu instid0(VALU_DEP_1) | instskip(NEXT) | instid1(VALU_DEP_1)
	v_cndmask_b32_e64 v127, 0, v127, s16
	v_add_nc_u32_e32 v126, v126, v127
	ds_store_b32 v52, v126 offset:1024
.LBB1465_439:                           ;   in Loop: Header=BB1465_405 Depth=2
	s_or_b32 exec_lo, exec_lo, s17
	v_mov_b32_e32 v126, 0
	s_waitcnt lgkmcnt(0)
	s_barrier
	buffer_gl0_inv
	s_and_saveexec_b32 s17, s5
	s_cbranch_execz .LBB1465_441
; %bb.440:                              ;   in Loop: Header=BB1465_405 Depth=2
	ds_load_b32 v126, v41 offset:1020
.LBB1465_441:                           ;   in Loop: Header=BB1465_405 Depth=2
	s_or_b32 exec_lo, exec_lo, s17
	s_waitcnt lgkmcnt(0)
	v_add_nc_u32_e32 v5, v126, v5
	ds_bpermute_b32 v5, v73, v5
	s_waitcnt lgkmcnt(0)
	v_cndmask_b32_e64 v5, v5, v126, s11
	s_delay_alu instid0(VALU_DEP_1) | instskip(NEXT) | instid1(VALU_DEP_1)
	v_cndmask_b32_e64 v5, v5, 0, s0
	v_add_nc_u32_e32 v125, v5, v125
	s_delay_alu instid0(VALU_DEP_1) | instskip(NEXT) | instid1(VALU_DEP_1)
	v_add_nc_u32_e32 v8, v125, v8
	v_add_nc_u32_e32 v9, v8, v9
	s_delay_alu instid0(VALU_DEP_1) | instskip(NEXT) | instid1(VALU_DEP_1)
	v_add_nc_u32_e32 v6, v9, v6
	;; [unrolled: 3-line block ×3, first 2 shown]
	v_add_nc_u32_e32 v3, v2, v3
	s_delay_alu instid0(VALU_DEP_1)
	v_add_nc_u32_e32 v4, v3, v4
	ds_store_b32 v49, v5 offset:1056
	ds_store_2addr_b32 v51, v125, v8 offset0:1 offset1:2
	ds_store_2addr_b32 v51, v9, v6 offset0:3 offset1:4
	;; [unrolled: 1-line block ×4, first 2 shown]
	v_mov_b32_e32 v4, 0x800
	s_waitcnt lgkmcnt(0)
	s_barrier
	buffer_gl0_inv
	ds_load_b32 v5, v101
	ds_load_b32 v6, v105
	;; [unrolled: 1-line block ×8, first 2 shown]
	ds_load_b32 v101, v49 offset:1056
	s_and_saveexec_b32 s17, s6
	s_cbranch_execz .LBB1465_443
; %bb.442:                              ;   in Loop: Header=BB1465_405 Depth=2
	ds_load_b32 v4, v53 offset:1056
.LBB1465_443:                           ;   in Loop: Header=BB1465_405 Depth=2
	s_or_b32 exec_lo, exec_lo, s17
	s_waitcnt lgkmcnt(0)
	s_barrier
	buffer_gl0_inv
	s_and_saveexec_b32 s17, s2
	s_cbranch_execz .LBB1465_445
; %bb.444:                              ;   in Loop: Header=BB1465_405 Depth=2
	ds_load_b32 v105, v31
	s_waitcnt lgkmcnt(0)
	v_sub_nc_u32_e32 v101, v105, v101
	ds_store_b32 v31, v101
.LBB1465_445:                           ;   in Loop: Header=BB1465_405 Depth=2
	s_or_b32 exec_lo, exec_lo, s17
	v_add_nc_u32_e32 v101, v97, v29
	v_add3_u32 v29, v104, v102, v6
	v_add3_u32 v7, v108, v107, v7
	;; [unrolled: 1-line block ×5, first 2 shown]
	v_lshlrev_b32_e32 v98, 2, v101
	v_add3_u32 v8, v120, v119, v3
	v_lshlrev_b32_e32 v3, 2, v29
	v_add3_u32 v9, v123, v122, v2
	v_lshlrev_b32_e32 v2, 2, v7
	v_lshlrev_b32_e32 v99, 2, v97
	ds_store_b32 v98, v19 offset:1024
	ds_store_b32 v99, v30 offset:1024
	;; [unrolled: 1-line block ×3, first 2 shown]
	v_lshlrev_b32_e32 v3, 2, v6
	ds_store_b32 v2, v103 offset:1024
	v_lshlrev_b32_e32 v2, 2, v9
	v_cmp_lt_u32_e32 vcc_lo, v18, v0
	v_lshlrev_b32_e32 v19, 2, v5
	v_lshlrev_b32_e32 v30, 2, v8
	ds_store_b32 v3, v106 offset:1024
	ds_store_b32 v19, v110 offset:1024
	;; [unrolled: 1-line block ×4, first 2 shown]
	s_waitcnt lgkmcnt(0)
	s_barrier
	buffer_gl0_inv
	s_and_saveexec_b32 s18, vcc_lo
	s_cbranch_execz .LBB1465_453
; %bb.446:                              ;   in Loop: Header=BB1465_405 Depth=2
	ds_load_b32 v30, v52 offset:1024
	s_waitcnt lgkmcnt(0)
	v_cmp_ne_u32_e64 s17, 0x7fffffff, v30
	s_delay_alu instid0(VALU_DEP_1) | instskip(SKIP_1) | instid1(VALU_DEP_2)
	v_cndmask_b32_e64 v2, 0x80000000, v30, s17
	v_cmp_lt_i32_e64 s17, -1, v30
	v_lshrrev_b32_e32 v2, s57, v2
	s_delay_alu instid0(VALU_DEP_2) | instskip(NEXT) | instid1(VALU_DEP_2)
	v_cndmask_b32_e64 v98, 0x80000000, -1, s17
	v_and_b32_e32 v2, s30, v2
	s_delay_alu instid0(VALU_DEP_1) | instskip(SKIP_3) | instid1(VALU_DEP_1)
	v_lshlrev_b32_e32 v2, 2, v2
	ds_load_b32 v2, v2
	s_waitcnt lgkmcnt(0)
	v_add_nc_u32_e32 v19, v2, v18
	v_lshlrev_b64 v[2:3], 2, v[19:20]
	v_xor_b32_e32 v19, v98, v30
	s_delay_alu instid0(VALU_DEP_2) | instskip(NEXT) | instid1(VALU_DEP_1)
	v_add_co_u32 v2, s17, s46, v2
	v_add_co_ci_u32_e64 v3, s17, s47, v3, s17
	global_store_b32 v[2:3], v19, off
	s_or_b32 exec_lo, exec_lo, s18
	v_cmp_lt_u32_e64 s17, v32, v0
	s_delay_alu instid0(VALU_DEP_1)
	s_and_saveexec_b32 s19, s17
	s_cbranch_execnz .LBB1465_454
.LBB1465_447:                           ;   in Loop: Header=BB1465_405 Depth=2
	s_or_b32 exec_lo, exec_lo, s19
	v_cmp_lt_u32_e64 s18, v33, v0
	s_delay_alu instid0(VALU_DEP_1)
	s_and_saveexec_b32 s20, s18
	s_cbranch_execz .LBB1465_455
.LBB1465_448:                           ;   in Loop: Header=BB1465_405 Depth=2
	ds_load_b32 v30, v58 offset:2048
	s_waitcnt lgkmcnt(0)
	v_cmp_ne_u32_e64 s19, 0x7fffffff, v30
	s_delay_alu instid0(VALU_DEP_1) | instskip(SKIP_1) | instid1(VALU_DEP_2)
	v_cndmask_b32_e64 v2, 0x80000000, v30, s19
	v_cmp_lt_i32_e64 s19, -1, v30
	v_lshrrev_b32_e32 v2, s57, v2
	s_delay_alu instid0(VALU_DEP_2) | instskip(NEXT) | instid1(VALU_DEP_2)
	v_cndmask_b32_e64 v98, 0x80000000, -1, s19
	v_and_b32_e32 v2, s30, v2
	s_delay_alu instid0(VALU_DEP_1) | instskip(SKIP_3) | instid1(VALU_DEP_1)
	v_lshlrev_b32_e32 v2, 2, v2
	ds_load_b32 v2, v2
	s_waitcnt lgkmcnt(0)
	v_add_nc_u32_e32 v19, v2, v33
	v_lshlrev_b64 v[2:3], 2, v[19:20]
	v_xor_b32_e32 v19, v98, v30
	s_delay_alu instid0(VALU_DEP_2) | instskip(NEXT) | instid1(VALU_DEP_1)
	v_add_co_u32 v2, s19, s46, v2
	v_add_co_ci_u32_e64 v3, s19, s47, v3, s19
	global_store_b32 v[2:3], v19, off
	s_or_b32 exec_lo, exec_lo, s20
	v_cmp_lt_u32_e64 s19, v34, v0
	s_delay_alu instid0(VALU_DEP_1)
	s_and_saveexec_b32 s21, s19
	s_cbranch_execnz .LBB1465_456
.LBB1465_449:                           ;   in Loop: Header=BB1465_405 Depth=2
	s_or_b32 exec_lo, exec_lo, s21
	v_cmp_lt_u32_e64 s20, v38, v0
	s_delay_alu instid0(VALU_DEP_1)
	s_and_saveexec_b32 s22, s20
	s_cbranch_execz .LBB1465_457
.LBB1465_450:                           ;   in Loop: Header=BB1465_405 Depth=2
	ds_load_b32 v30, v58 offset:4096
	s_waitcnt lgkmcnt(0)
	v_cmp_ne_u32_e64 s21, 0x7fffffff, v30
	s_delay_alu instid0(VALU_DEP_1) | instskip(SKIP_1) | instid1(VALU_DEP_2)
	v_cndmask_b32_e64 v2, 0x80000000, v30, s21
	v_cmp_lt_i32_e64 s21, -1, v30
	v_lshrrev_b32_e32 v2, s57, v2
	s_delay_alu instid0(VALU_DEP_2) | instskip(NEXT) | instid1(VALU_DEP_2)
	v_cndmask_b32_e64 v98, 0x80000000, -1, s21
	v_and_b32_e32 v2, s30, v2
	s_delay_alu instid0(VALU_DEP_1) | instskip(SKIP_3) | instid1(VALU_DEP_1)
	v_lshlrev_b32_e32 v2, 2, v2
	ds_load_b32 v2, v2
	s_waitcnt lgkmcnt(0)
	v_add_nc_u32_e32 v19, v2, v38
	v_lshlrev_b64 v[2:3], 2, v[19:20]
	v_xor_b32_e32 v19, v98, v30
	s_delay_alu instid0(VALU_DEP_2) | instskip(NEXT) | instid1(VALU_DEP_1)
	v_add_co_u32 v2, s21, s46, v2
	v_add_co_ci_u32_e64 v3, s21, s47, v3, s21
	global_store_b32 v[2:3], v19, off
	s_or_b32 exec_lo, exec_lo, s22
	v_cmp_lt_u32_e64 s21, v39, v0
	s_delay_alu instid0(VALU_DEP_1)
	s_and_saveexec_b32 s23, s21
	s_cbranch_execnz .LBB1465_458
.LBB1465_451:                           ;   in Loop: Header=BB1465_405 Depth=2
	s_or_b32 exec_lo, exec_lo, s23
	v_cmp_lt_u32_e64 s22, v40, v0
	s_delay_alu instid0(VALU_DEP_1)
	s_and_saveexec_b32 s24, s22
	s_cbranch_execz .LBB1465_459
.LBB1465_452:                           ;   in Loop: Header=BB1465_405 Depth=2
	ds_load_b32 v30, v58 offset:6144
	s_waitcnt lgkmcnt(0)
	v_cmp_ne_u32_e64 s23, 0x7fffffff, v30
	s_delay_alu instid0(VALU_DEP_1) | instskip(SKIP_1) | instid1(VALU_DEP_2)
	v_cndmask_b32_e64 v2, 0x80000000, v30, s23
	v_cmp_lt_i32_e64 s23, -1, v30
	v_lshrrev_b32_e32 v2, s57, v2
	s_delay_alu instid0(VALU_DEP_2) | instskip(NEXT) | instid1(VALU_DEP_2)
	v_cndmask_b32_e64 v98, 0x80000000, -1, s23
	v_and_b32_e32 v2, s30, v2
	s_delay_alu instid0(VALU_DEP_1) | instskip(SKIP_3) | instid1(VALU_DEP_1)
	v_lshlrev_b32_e32 v2, 2, v2
	ds_load_b32 v2, v2
	s_waitcnt lgkmcnt(0)
	v_add_nc_u32_e32 v19, v2, v40
	v_lshlrev_b64 v[2:3], 2, v[19:20]
	v_xor_b32_e32 v19, v98, v30
	s_delay_alu instid0(VALU_DEP_2) | instskip(NEXT) | instid1(VALU_DEP_1)
	v_add_co_u32 v2, s23, s46, v2
	v_add_co_ci_u32_e64 v3, s23, s47, v3, s23
	global_store_b32 v[2:3], v19, off
	s_or_b32 exec_lo, exec_lo, s24
	v_cmp_lt_u32_e64 s23, v42, v0
	s_delay_alu instid0(VALU_DEP_1)
	s_and_saveexec_b32 s37, s23
	s_cbranch_execnz .LBB1465_460
	s_branch .LBB1465_461
.LBB1465_453:                           ;   in Loop: Header=BB1465_405 Depth=2
	s_or_b32 exec_lo, exec_lo, s18
	v_cmp_lt_u32_e64 s17, v32, v0
	s_delay_alu instid0(VALU_DEP_1)
	s_and_saveexec_b32 s19, s17
	s_cbranch_execz .LBB1465_447
.LBB1465_454:                           ;   in Loop: Header=BB1465_405 Depth=2
	ds_load_b32 v30, v58 offset:1024
	s_waitcnt lgkmcnt(0)
	v_cmp_ne_u32_e64 s18, 0x7fffffff, v30
	s_delay_alu instid0(VALU_DEP_1) | instskip(SKIP_1) | instid1(VALU_DEP_2)
	v_cndmask_b32_e64 v2, 0x80000000, v30, s18
	v_cmp_lt_i32_e64 s18, -1, v30
	v_lshrrev_b32_e32 v2, s57, v2
	s_delay_alu instid0(VALU_DEP_2) | instskip(NEXT) | instid1(VALU_DEP_2)
	v_cndmask_b32_e64 v98, 0x80000000, -1, s18
	v_and_b32_e32 v2, s30, v2
	s_delay_alu instid0(VALU_DEP_1) | instskip(SKIP_3) | instid1(VALU_DEP_1)
	v_lshlrev_b32_e32 v2, 2, v2
	ds_load_b32 v2, v2
	s_waitcnt lgkmcnt(0)
	v_add_nc_u32_e32 v19, v2, v32
	v_lshlrev_b64 v[2:3], 2, v[19:20]
	v_xor_b32_e32 v19, v98, v30
	s_delay_alu instid0(VALU_DEP_2) | instskip(NEXT) | instid1(VALU_DEP_1)
	v_add_co_u32 v2, s18, s46, v2
	v_add_co_ci_u32_e64 v3, s18, s47, v3, s18
	global_store_b32 v[2:3], v19, off
	s_or_b32 exec_lo, exec_lo, s19
	v_cmp_lt_u32_e64 s18, v33, v0
	s_delay_alu instid0(VALU_DEP_1)
	s_and_saveexec_b32 s20, s18
	s_cbranch_execnz .LBB1465_448
.LBB1465_455:                           ;   in Loop: Header=BB1465_405 Depth=2
	s_or_b32 exec_lo, exec_lo, s20
	v_cmp_lt_u32_e64 s19, v34, v0
	s_delay_alu instid0(VALU_DEP_1)
	s_and_saveexec_b32 s21, s19
	s_cbranch_execz .LBB1465_449
.LBB1465_456:                           ;   in Loop: Header=BB1465_405 Depth=2
	ds_load_b32 v30, v58 offset:3072
	s_waitcnt lgkmcnt(0)
	v_cmp_ne_u32_e64 s20, 0x7fffffff, v30
	s_delay_alu instid0(VALU_DEP_1) | instskip(SKIP_1) | instid1(VALU_DEP_2)
	v_cndmask_b32_e64 v2, 0x80000000, v30, s20
	v_cmp_lt_i32_e64 s20, -1, v30
	v_lshrrev_b32_e32 v2, s57, v2
	s_delay_alu instid0(VALU_DEP_2) | instskip(NEXT) | instid1(VALU_DEP_2)
	v_cndmask_b32_e64 v98, 0x80000000, -1, s20
	v_and_b32_e32 v2, s30, v2
	s_delay_alu instid0(VALU_DEP_1) | instskip(SKIP_3) | instid1(VALU_DEP_1)
	v_lshlrev_b32_e32 v2, 2, v2
	ds_load_b32 v2, v2
	s_waitcnt lgkmcnt(0)
	v_add_nc_u32_e32 v19, v2, v34
	v_lshlrev_b64 v[2:3], 2, v[19:20]
	v_xor_b32_e32 v19, v98, v30
	s_delay_alu instid0(VALU_DEP_2) | instskip(NEXT) | instid1(VALU_DEP_1)
	v_add_co_u32 v2, s20, s46, v2
	v_add_co_ci_u32_e64 v3, s20, s47, v3, s20
	global_store_b32 v[2:3], v19, off
	s_or_b32 exec_lo, exec_lo, s21
	v_cmp_lt_u32_e64 s20, v38, v0
	s_delay_alu instid0(VALU_DEP_1)
	s_and_saveexec_b32 s22, s20
	s_cbranch_execnz .LBB1465_450
.LBB1465_457:                           ;   in Loop: Header=BB1465_405 Depth=2
	s_or_b32 exec_lo, exec_lo, s22
	v_cmp_lt_u32_e64 s21, v39, v0
	s_delay_alu instid0(VALU_DEP_1)
	s_and_saveexec_b32 s23, s21
	s_cbranch_execz .LBB1465_451
.LBB1465_458:                           ;   in Loop: Header=BB1465_405 Depth=2
	ds_load_b32 v30, v58 offset:5120
	s_waitcnt lgkmcnt(0)
	v_cmp_ne_u32_e64 s22, 0x7fffffff, v30
	s_delay_alu instid0(VALU_DEP_1) | instskip(SKIP_1) | instid1(VALU_DEP_2)
	v_cndmask_b32_e64 v2, 0x80000000, v30, s22
	v_cmp_lt_i32_e64 s22, -1, v30
	v_lshrrev_b32_e32 v2, s57, v2
	s_delay_alu instid0(VALU_DEP_2) | instskip(NEXT) | instid1(VALU_DEP_2)
	v_cndmask_b32_e64 v98, 0x80000000, -1, s22
	v_and_b32_e32 v2, s30, v2
	s_delay_alu instid0(VALU_DEP_1) | instskip(SKIP_3) | instid1(VALU_DEP_1)
	v_lshlrev_b32_e32 v2, 2, v2
	ds_load_b32 v2, v2
	s_waitcnt lgkmcnt(0)
	v_add_nc_u32_e32 v19, v2, v39
	v_lshlrev_b64 v[2:3], 2, v[19:20]
	v_xor_b32_e32 v19, v98, v30
	s_delay_alu instid0(VALU_DEP_2) | instskip(NEXT) | instid1(VALU_DEP_1)
	v_add_co_u32 v2, s22, s46, v2
	v_add_co_ci_u32_e64 v3, s22, s47, v3, s22
	global_store_b32 v[2:3], v19, off
	s_or_b32 exec_lo, exec_lo, s23
	v_cmp_lt_u32_e64 s22, v40, v0
	s_delay_alu instid0(VALU_DEP_1)
	s_and_saveexec_b32 s24, s22
	s_cbranch_execnz .LBB1465_452
.LBB1465_459:                           ;   in Loop: Header=BB1465_405 Depth=2
	s_or_b32 exec_lo, exec_lo, s24
	v_cmp_lt_u32_e64 s23, v42, v0
	s_delay_alu instid0(VALU_DEP_1)
	s_and_saveexec_b32 s37, s23
	s_cbranch_execz .LBB1465_461
.LBB1465_460:                           ;   in Loop: Header=BB1465_405 Depth=2
	ds_load_b32 v30, v58 offset:7168
	s_waitcnt lgkmcnt(0)
	v_cmp_ne_u32_e64 s24, 0x7fffffff, v30
	s_delay_alu instid0(VALU_DEP_1) | instskip(SKIP_1) | instid1(VALU_DEP_2)
	v_cndmask_b32_e64 v2, 0x80000000, v30, s24
	v_cmp_lt_i32_e64 s24, -1, v30
	v_lshrrev_b32_e32 v2, s57, v2
	s_delay_alu instid0(VALU_DEP_2) | instskip(NEXT) | instid1(VALU_DEP_2)
	v_cndmask_b32_e64 v98, 0x80000000, -1, s24
	v_and_b32_e32 v2, s30, v2
	s_delay_alu instid0(VALU_DEP_1) | instskip(SKIP_3) | instid1(VALU_DEP_1)
	v_lshlrev_b32_e32 v2, 2, v2
	ds_load_b32 v2, v2
	s_waitcnt lgkmcnt(0)
	v_add_nc_u32_e32 v19, v2, v42
	v_lshlrev_b64 v[2:3], 2, v[19:20]
	v_xor_b32_e32 v19, v98, v30
	s_delay_alu instid0(VALU_DEP_2) | instskip(NEXT) | instid1(VALU_DEP_1)
	v_add_co_u32 v2, s24, s46, v2
	v_add_co_ci_u32_e64 v3, s24, s47, v3, s24
	global_store_b32 v[2:3], v19, off
.LBB1465_461:                           ;   in Loop: Header=BB1465_405 Depth=2
	s_or_b32 exec_lo, exec_lo, s37
	s_lshl_b64 s[38:39], s[26:27], 3
	s_delay_alu instid0(SALU_CYCLE_1) | instskip(NEXT) | instid1(VALU_DEP_1)
	v_add_co_u32 v2, s24, v75, s38
	v_add_co_ci_u32_e64 v3, s24, s39, v76, s24
	v_cmp_lt_u32_e64 s24, v74, v0
	s_delay_alu instid0(VALU_DEP_1) | instskip(NEXT) | instid1(SALU_CYCLE_1)
	s_and_saveexec_b32 s26, s24
	s_xor_b32 s24, exec_lo, s26
	s_cbranch_execz .LBB1465_477
; %bb.462:                              ;   in Loop: Header=BB1465_405 Depth=2
	global_load_b64 v[27:28], v[2:3], off
	s_or_b32 exec_lo, exec_lo, s24
	s_delay_alu instid0(SALU_CYCLE_1)
	s_mov_b32 s26, exec_lo
	v_cmpx_lt_u32_e64 v77, v0
	s_cbranch_execnz .LBB1465_478
.LBB1465_463:                           ;   in Loop: Header=BB1465_405 Depth=2
	s_or_b32 exec_lo, exec_lo, s26
	s_delay_alu instid0(SALU_CYCLE_1)
	s_mov_b32 s26, exec_lo
	v_cmpx_lt_u32_e64 v78, v0
	s_cbranch_execz .LBB1465_479
.LBB1465_464:                           ;   in Loop: Header=BB1465_405 Depth=2
	global_load_b64 v[23:24], v[2:3], off offset:512
	s_or_b32 exec_lo, exec_lo, s26
	s_delay_alu instid0(SALU_CYCLE_1)
	s_mov_b32 s26, exec_lo
	v_cmpx_lt_u32_e64 v79, v0
	s_cbranch_execnz .LBB1465_480
.LBB1465_465:                           ;   in Loop: Header=BB1465_405 Depth=2
	s_or_b32 exec_lo, exec_lo, s26
	s_delay_alu instid0(SALU_CYCLE_1)
	s_mov_b32 s26, exec_lo
	v_cmpx_lt_u32_e64 v80, v0
	s_cbranch_execz .LBB1465_481
.LBB1465_466:                           ;   in Loop: Header=BB1465_405 Depth=2
	global_load_b64 v[16:17], v[2:3], off offset:1024
	s_or_b32 exec_lo, exec_lo, s26
	s_delay_alu instid0(SALU_CYCLE_1)
	s_mov_b32 s26, exec_lo
	v_cmpx_lt_u32_e64 v81, v0
	s_cbranch_execnz .LBB1465_482
.LBB1465_467:                           ;   in Loop: Header=BB1465_405 Depth=2
	s_or_b32 exec_lo, exec_lo, s26
	s_delay_alu instid0(SALU_CYCLE_1)
	s_mov_b32 s26, exec_lo
	v_cmpx_lt_u32_e64 v82, v0
	s_cbranch_execz .LBB1465_483
.LBB1465_468:                           ;   in Loop: Header=BB1465_405 Depth=2
	global_load_b64 v[12:13], v[2:3], off offset:1536
	s_or_b32 exec_lo, exec_lo, s26
	s_delay_alu instid0(SALU_CYCLE_1)
	s_mov_b32 s26, exec_lo
	v_cmpx_lt_u32_e64 v83, v0
	s_cbranch_execnz .LBB1465_484
.LBB1465_469:                           ;   in Loop: Header=BB1465_405 Depth=2
	s_or_b32 exec_lo, exec_lo, s26
	s_and_saveexec_b32 s26, vcc_lo
	s_cbranch_execz .LBB1465_485
.LBB1465_470:                           ;   in Loop: Header=BB1465_405 Depth=2
	ds_load_b32 v0, v52 offset:1024
	s_waitcnt lgkmcnt(0)
	v_cmp_ne_u32_e64 s24, 0x7fffffff, v0
	s_delay_alu instid0(VALU_DEP_1) | instskip(NEXT) | instid1(VALU_DEP_1)
	v_cndmask_b32_e64 v0, 0x80000000, v0, s24
	v_lshrrev_b32_e32 v0, s57, v0
	s_delay_alu instid0(VALU_DEP_1)
	v_and_b32_e32 v96, s30, v0
	s_or_b32 exec_lo, exec_lo, s26
	s_and_saveexec_b32 s26, s17
	s_cbranch_execnz .LBB1465_486
.LBB1465_471:                           ;   in Loop: Header=BB1465_405 Depth=2
	s_or_b32 exec_lo, exec_lo, s26
	s_and_saveexec_b32 s26, s18
	s_cbranch_execz .LBB1465_487
.LBB1465_472:                           ;   in Loop: Header=BB1465_405 Depth=2
	ds_load_b32 v0, v58 offset:2048
	s_waitcnt lgkmcnt(0)
	v_cmp_ne_u32_e64 s24, 0x7fffffff, v0
	s_delay_alu instid0(VALU_DEP_1) | instskip(NEXT) | instid1(VALU_DEP_1)
	v_cndmask_b32_e64 v0, 0x80000000, v0, s24
	v_lshrrev_b32_e32 v0, s57, v0
	s_delay_alu instid0(VALU_DEP_1)
	v_and_b32_e32 v94, s30, v0
	s_or_b32 exec_lo, exec_lo, s26
	s_and_saveexec_b32 s26, s19
	s_cbranch_execnz .LBB1465_488
.LBB1465_473:                           ;   in Loop: Header=BB1465_405 Depth=2
	s_or_b32 exec_lo, exec_lo, s26
	s_and_saveexec_b32 s26, s20
	s_cbranch_execz .LBB1465_489
.LBB1465_474:                           ;   in Loop: Header=BB1465_405 Depth=2
	ds_load_b32 v0, v58 offset:4096
	s_waitcnt lgkmcnt(0)
	v_cmp_ne_u32_e64 s24, 0x7fffffff, v0
	s_delay_alu instid0(VALU_DEP_1) | instskip(NEXT) | instid1(VALU_DEP_1)
	v_cndmask_b32_e64 v0, 0x80000000, v0, s24
	v_lshrrev_b32_e32 v0, s57, v0
	s_delay_alu instid0(VALU_DEP_1)
	v_and_b32_e32 v92, s30, v0
	s_or_b32 exec_lo, exec_lo, s26
	s_and_saveexec_b32 s26, s21
	s_cbranch_execnz .LBB1465_490
.LBB1465_475:                           ;   in Loop: Header=BB1465_405 Depth=2
	s_or_b32 exec_lo, exec_lo, s26
	s_and_saveexec_b32 s26, s22
	s_cbranch_execz .LBB1465_491
.LBB1465_476:                           ;   in Loop: Header=BB1465_405 Depth=2
	ds_load_b32 v0, v58 offset:6144
	s_waitcnt lgkmcnt(0)
	v_cmp_ne_u32_e64 s24, 0x7fffffff, v0
	s_delay_alu instid0(VALU_DEP_1) | instskip(NEXT) | instid1(VALU_DEP_1)
	v_cndmask_b32_e64 v0, 0x80000000, v0, s24
	v_lshrrev_b32_e32 v0, s57, v0
	s_delay_alu instid0(VALU_DEP_1)
	v_and_b32_e32 v90, s30, v0
	s_or_b32 exec_lo, exec_lo, s26
	s_and_saveexec_b32 s26, s23
	s_cbranch_execnz .LBB1465_492
	s_branch .LBB1465_493
.LBB1465_477:                           ;   in Loop: Header=BB1465_405 Depth=2
	s_or_b32 exec_lo, exec_lo, s24
	s_delay_alu instid0(SALU_CYCLE_1)
	s_mov_b32 s26, exec_lo
	v_cmpx_lt_u32_e64 v77, v0
	s_cbranch_execz .LBB1465_463
.LBB1465_478:                           ;   in Loop: Header=BB1465_405 Depth=2
	global_load_b64 v[25:26], v[2:3], off offset:256
	s_or_b32 exec_lo, exec_lo, s26
	s_delay_alu instid0(SALU_CYCLE_1)
	s_mov_b32 s26, exec_lo
	v_cmpx_lt_u32_e64 v78, v0
	s_cbranch_execnz .LBB1465_464
.LBB1465_479:                           ;   in Loop: Header=BB1465_405 Depth=2
	s_or_b32 exec_lo, exec_lo, s26
	s_delay_alu instid0(SALU_CYCLE_1)
	s_mov_b32 s26, exec_lo
	v_cmpx_lt_u32_e64 v79, v0
	s_cbranch_execz .LBB1465_465
.LBB1465_480:                           ;   in Loop: Header=BB1465_405 Depth=2
	global_load_b64 v[21:22], v[2:3], off offset:768
	s_or_b32 exec_lo, exec_lo, s26
	s_delay_alu instid0(SALU_CYCLE_1)
	s_mov_b32 s26, exec_lo
	v_cmpx_lt_u32_e64 v80, v0
	s_cbranch_execnz .LBB1465_466
.LBB1465_481:                           ;   in Loop: Header=BB1465_405 Depth=2
	s_or_b32 exec_lo, exec_lo, s26
	s_delay_alu instid0(SALU_CYCLE_1)
	s_mov_b32 s26, exec_lo
	v_cmpx_lt_u32_e64 v81, v0
	s_cbranch_execz .LBB1465_467
.LBB1465_482:                           ;   in Loop: Header=BB1465_405 Depth=2
	global_load_b64 v[14:15], v[2:3], off offset:1280
	s_or_b32 exec_lo, exec_lo, s26
	s_delay_alu instid0(SALU_CYCLE_1)
	s_mov_b32 s26, exec_lo
	v_cmpx_lt_u32_e64 v82, v0
	s_cbranch_execnz .LBB1465_468
.LBB1465_483:                           ;   in Loop: Header=BB1465_405 Depth=2
	s_or_b32 exec_lo, exec_lo, s26
	s_delay_alu instid0(SALU_CYCLE_1)
	s_mov_b32 s26, exec_lo
	v_cmpx_lt_u32_e64 v83, v0
	s_cbranch_execz .LBB1465_469
.LBB1465_484:                           ;   in Loop: Header=BB1465_405 Depth=2
	global_load_b64 v[10:11], v[2:3], off offset:1792
	s_or_b32 exec_lo, exec_lo, s26
	s_and_saveexec_b32 s26, vcc_lo
	s_cbranch_execnz .LBB1465_470
.LBB1465_485:                           ;   in Loop: Header=BB1465_405 Depth=2
	s_or_b32 exec_lo, exec_lo, s26
	s_and_saveexec_b32 s26, s17
	s_cbranch_execz .LBB1465_471
.LBB1465_486:                           ;   in Loop: Header=BB1465_405 Depth=2
	ds_load_b32 v0, v58 offset:1024
	s_waitcnt lgkmcnt(0)
	v_cmp_ne_u32_e64 s24, 0x7fffffff, v0
	s_delay_alu instid0(VALU_DEP_1) | instskip(NEXT) | instid1(VALU_DEP_1)
	v_cndmask_b32_e64 v0, 0x80000000, v0, s24
	v_lshrrev_b32_e32 v0, s57, v0
	s_delay_alu instid0(VALU_DEP_1)
	v_and_b32_e32 v95, s30, v0
	s_or_b32 exec_lo, exec_lo, s26
	s_and_saveexec_b32 s26, s18
	s_cbranch_execnz .LBB1465_472
.LBB1465_487:                           ;   in Loop: Header=BB1465_405 Depth=2
	s_or_b32 exec_lo, exec_lo, s26
	s_and_saveexec_b32 s26, s19
	s_cbranch_execz .LBB1465_473
.LBB1465_488:                           ;   in Loop: Header=BB1465_405 Depth=2
	ds_load_b32 v0, v58 offset:3072
	s_waitcnt lgkmcnt(0)
	v_cmp_ne_u32_e64 s24, 0x7fffffff, v0
	s_delay_alu instid0(VALU_DEP_1) | instskip(NEXT) | instid1(VALU_DEP_1)
	v_cndmask_b32_e64 v0, 0x80000000, v0, s24
	v_lshrrev_b32_e32 v0, s57, v0
	s_delay_alu instid0(VALU_DEP_1)
	v_and_b32_e32 v93, s30, v0
	s_or_b32 exec_lo, exec_lo, s26
	s_and_saveexec_b32 s26, s20
	s_cbranch_execnz .LBB1465_474
.LBB1465_489:                           ;   in Loop: Header=BB1465_405 Depth=2
	s_or_b32 exec_lo, exec_lo, s26
	s_and_saveexec_b32 s26, s21
	s_cbranch_execz .LBB1465_475
.LBB1465_490:                           ;   in Loop: Header=BB1465_405 Depth=2
	ds_load_b32 v0, v58 offset:5120
	s_waitcnt lgkmcnt(0)
	v_cmp_ne_u32_e64 s24, 0x7fffffff, v0
	s_delay_alu instid0(VALU_DEP_1) | instskip(NEXT) | instid1(VALU_DEP_1)
	v_cndmask_b32_e64 v0, 0x80000000, v0, s24
	v_lshrrev_b32_e32 v0, s57, v0
	s_delay_alu instid0(VALU_DEP_1)
	v_and_b32_e32 v91, s30, v0
	s_or_b32 exec_lo, exec_lo, s26
	s_and_saveexec_b32 s26, s22
	s_cbranch_execnz .LBB1465_476
.LBB1465_491:                           ;   in Loop: Header=BB1465_405 Depth=2
	s_or_b32 exec_lo, exec_lo, s26
	s_and_saveexec_b32 s26, s23
	s_cbranch_execz .LBB1465_493
.LBB1465_492:                           ;   in Loop: Header=BB1465_405 Depth=2
	ds_load_b32 v0, v58 offset:7168
	s_waitcnt lgkmcnt(0)
	v_cmp_ne_u32_e64 s24, 0x7fffffff, v0
	s_delay_alu instid0(VALU_DEP_1) | instskip(NEXT) | instid1(VALU_DEP_1)
	v_cndmask_b32_e64 v0, 0x80000000, v0, s24
	v_lshrrev_b32_e32 v0, s57, v0
	s_delay_alu instid0(VALU_DEP_1)
	v_and_b32_e32 v89, s30, v0
.LBB1465_493:                           ;   in Loop: Header=BB1465_405 Depth=2
	s_or_b32 exec_lo, exec_lo, s26
	v_lshlrev_b32_e32 v0, 3, v101
	v_lshlrev_b32_e32 v2, 3, v97
	;; [unrolled: 1-line block ×3, first 2 shown]
	s_waitcnt vmcnt(0)
	s_waitcnt_vscnt null, 0x0
	s_barrier
	buffer_gl0_inv
	ds_store_b64 v0, v[27:28] offset:1024
	ds_store_b64 v2, v[25:26] offset:1024
	;; [unrolled: 1-line block ×3, first 2 shown]
	v_lshlrev_b32_e32 v0, 3, v7
	v_lshlrev_b32_e32 v2, 3, v6
	;; [unrolled: 1-line block ×5, first 2 shown]
	ds_store_b64 v0, v[21:22] offset:1024
	ds_store_b64 v2, v[16:17] offset:1024
	;; [unrolled: 1-line block ×5, first 2 shown]
	s_waitcnt lgkmcnt(0)
	s_barrier
	buffer_gl0_inv
	s_and_saveexec_b32 s24, vcc_lo
	s_cbranch_execz .LBB1465_501
; %bb.494:                              ;   in Loop: Header=BB1465_405 Depth=2
	v_lshlrev_b32_e32 v0, 2, v96
	v_add_nc_u32_e32 v2, v52, v31
	ds_load_b32 v0, v0
	ds_load_b64 v[2:3], v2 offset:1024
	s_waitcnt lgkmcnt(1)
	v_add_nc_u32_e32 v19, v0, v18
	s_delay_alu instid0(VALU_DEP_1) | instskip(NEXT) | instid1(VALU_DEP_1)
	v_lshlrev_b64 v[5:6], 3, v[19:20]
	v_add_co_u32 v5, vcc_lo, s52, v5
	s_delay_alu instid0(VALU_DEP_2)
	v_add_co_ci_u32_e32 v6, vcc_lo, s53, v6, vcc_lo
	s_waitcnt lgkmcnt(0)
	global_store_b64 v[5:6], v[2:3], off
	s_or_b32 exec_lo, exec_lo, s24
	s_and_saveexec_b32 s24, s17
	s_cbranch_execnz .LBB1465_502
.LBB1465_495:                           ;   in Loop: Header=BB1465_405 Depth=2
	s_or_b32 exec_lo, exec_lo, s24
	s_and_saveexec_b32 s17, s18
	s_cbranch_execz .LBB1465_503
.LBB1465_496:                           ;   in Loop: Header=BB1465_405 Depth=2
	v_lshlrev_b32_e32 v0, 2, v94
	v_add_nc_u32_e32 v2, v58, v31
	ds_load_b32 v0, v0
	ds_load_b64 v[2:3], v2 offset:4096
	s_waitcnt lgkmcnt(1)
	v_add_nc_u32_e32 v19, v0, v33
	s_delay_alu instid0(VALU_DEP_1) | instskip(NEXT) | instid1(VALU_DEP_1)
	v_lshlrev_b64 v[5:6], 3, v[19:20]
	v_add_co_u32 v5, vcc_lo, s52, v5
	s_delay_alu instid0(VALU_DEP_2)
	v_add_co_ci_u32_e32 v6, vcc_lo, s53, v6, vcc_lo
	s_waitcnt lgkmcnt(0)
	global_store_b64 v[5:6], v[2:3], off
	s_or_b32 exec_lo, exec_lo, s17
	s_and_saveexec_b32 s17, s19
	s_cbranch_execnz .LBB1465_504
.LBB1465_497:                           ;   in Loop: Header=BB1465_405 Depth=2
	s_or_b32 exec_lo, exec_lo, s17
	s_and_saveexec_b32 s17, s20
	s_cbranch_execz .LBB1465_505
.LBB1465_498:                           ;   in Loop: Header=BB1465_405 Depth=2
	v_lshlrev_b32_e32 v0, 2, v92
	v_add_nc_u32_e32 v2, v58, v31
	ds_load_b32 v0, v0
	ds_load_b64 v[2:3], v2 offset:8192
	s_waitcnt lgkmcnt(1)
	v_add_nc_u32_e32 v19, v0, v38
	s_delay_alu instid0(VALU_DEP_1) | instskip(NEXT) | instid1(VALU_DEP_1)
	v_lshlrev_b64 v[5:6], 3, v[19:20]
	v_add_co_u32 v5, vcc_lo, s52, v5
	s_delay_alu instid0(VALU_DEP_2)
	v_add_co_ci_u32_e32 v6, vcc_lo, s53, v6, vcc_lo
	s_waitcnt lgkmcnt(0)
	global_store_b64 v[5:6], v[2:3], off
	s_or_b32 exec_lo, exec_lo, s17
	s_and_saveexec_b32 s17, s21
	s_cbranch_execnz .LBB1465_506
.LBB1465_499:                           ;   in Loop: Header=BB1465_405 Depth=2
	s_or_b32 exec_lo, exec_lo, s17
	s_and_saveexec_b32 s17, s22
	s_cbranch_execz .LBB1465_507
.LBB1465_500:                           ;   in Loop: Header=BB1465_405 Depth=2
	v_lshlrev_b32_e32 v0, 2, v90
	v_add_nc_u32_e32 v2, v58, v31
	ds_load_b32 v0, v0
	ds_load_b64 v[2:3], v2 offset:12288
	s_waitcnt lgkmcnt(1)
	v_add_nc_u32_e32 v19, v0, v40
	s_delay_alu instid0(VALU_DEP_1) | instskip(NEXT) | instid1(VALU_DEP_1)
	v_lshlrev_b64 v[5:6], 3, v[19:20]
	v_add_co_u32 v5, vcc_lo, s52, v5
	s_delay_alu instid0(VALU_DEP_2)
	v_add_co_ci_u32_e32 v6, vcc_lo, s53, v6, vcc_lo
	s_waitcnt lgkmcnt(0)
	global_store_b64 v[5:6], v[2:3], off
	s_or_b32 exec_lo, exec_lo, s17
	s_and_saveexec_b32 s17, s23
	s_cbranch_execnz .LBB1465_508
	s_branch .LBB1465_509
.LBB1465_501:                           ;   in Loop: Header=BB1465_405 Depth=2
	s_or_b32 exec_lo, exec_lo, s24
	s_and_saveexec_b32 s24, s17
	s_cbranch_execz .LBB1465_495
.LBB1465_502:                           ;   in Loop: Header=BB1465_405 Depth=2
	v_lshlrev_b32_e32 v0, 2, v95
	v_add_nc_u32_e32 v2, v58, v31
	ds_load_b32 v0, v0
	ds_load_b64 v[2:3], v2 offset:2048
	s_waitcnt lgkmcnt(1)
	v_add_nc_u32_e32 v19, v0, v32
	s_delay_alu instid0(VALU_DEP_1) | instskip(NEXT) | instid1(VALU_DEP_1)
	v_lshlrev_b64 v[5:6], 3, v[19:20]
	v_add_co_u32 v5, vcc_lo, s52, v5
	s_delay_alu instid0(VALU_DEP_2)
	v_add_co_ci_u32_e32 v6, vcc_lo, s53, v6, vcc_lo
	s_waitcnt lgkmcnt(0)
	global_store_b64 v[5:6], v[2:3], off
	s_or_b32 exec_lo, exec_lo, s24
	s_and_saveexec_b32 s17, s18
	s_cbranch_execnz .LBB1465_496
.LBB1465_503:                           ;   in Loop: Header=BB1465_405 Depth=2
	s_or_b32 exec_lo, exec_lo, s17
	s_and_saveexec_b32 s17, s19
	s_cbranch_execz .LBB1465_497
.LBB1465_504:                           ;   in Loop: Header=BB1465_405 Depth=2
	v_lshlrev_b32_e32 v0, 2, v93
	v_add_nc_u32_e32 v2, v58, v31
	ds_load_b32 v0, v0
	ds_load_b64 v[2:3], v2 offset:6144
	s_waitcnt lgkmcnt(1)
	v_add_nc_u32_e32 v19, v0, v34
	s_delay_alu instid0(VALU_DEP_1) | instskip(NEXT) | instid1(VALU_DEP_1)
	v_lshlrev_b64 v[5:6], 3, v[19:20]
	v_add_co_u32 v5, vcc_lo, s52, v5
	s_delay_alu instid0(VALU_DEP_2)
	v_add_co_ci_u32_e32 v6, vcc_lo, s53, v6, vcc_lo
	s_waitcnt lgkmcnt(0)
	global_store_b64 v[5:6], v[2:3], off
	s_or_b32 exec_lo, exec_lo, s17
	s_and_saveexec_b32 s17, s20
	s_cbranch_execnz .LBB1465_498
.LBB1465_505:                           ;   in Loop: Header=BB1465_405 Depth=2
	s_or_b32 exec_lo, exec_lo, s17
	s_and_saveexec_b32 s17, s21
	s_cbranch_execz .LBB1465_499
.LBB1465_506:                           ;   in Loop: Header=BB1465_405 Depth=2
	v_lshlrev_b32_e32 v0, 2, v91
	v_add_nc_u32_e32 v2, v58, v31
	ds_load_b32 v0, v0
	ds_load_b64 v[2:3], v2 offset:10240
	s_waitcnt lgkmcnt(1)
	v_add_nc_u32_e32 v19, v0, v39
	s_delay_alu instid0(VALU_DEP_1) | instskip(NEXT) | instid1(VALU_DEP_1)
	v_lshlrev_b64 v[5:6], 3, v[19:20]
	v_add_co_u32 v5, vcc_lo, s52, v5
	s_delay_alu instid0(VALU_DEP_2)
	v_add_co_ci_u32_e32 v6, vcc_lo, s53, v6, vcc_lo
	s_waitcnt lgkmcnt(0)
	global_store_b64 v[5:6], v[2:3], off
	s_or_b32 exec_lo, exec_lo, s17
	s_and_saveexec_b32 s17, s22
	s_cbranch_execnz .LBB1465_500
.LBB1465_507:                           ;   in Loop: Header=BB1465_405 Depth=2
	s_or_b32 exec_lo, exec_lo, s17
	s_and_saveexec_b32 s17, s23
	s_cbranch_execz .LBB1465_509
.LBB1465_508:                           ;   in Loop: Header=BB1465_405 Depth=2
	v_lshlrev_b32_e32 v0, 2, v89
	v_add_nc_u32_e32 v2, v58, v31
	ds_load_b32 v0, v0
	ds_load_b64 v[2:3], v2 offset:14336
	s_waitcnt lgkmcnt(1)
	v_add_nc_u32_e32 v19, v0, v42
	s_delay_alu instid0(VALU_DEP_1) | instskip(NEXT) | instid1(VALU_DEP_1)
	v_lshlrev_b64 v[5:6], 3, v[19:20]
	v_add_co_u32 v5, vcc_lo, s52, v5
	s_delay_alu instid0(VALU_DEP_2)
	v_add_co_ci_u32_e32 v6, vcc_lo, s53, v6, vcc_lo
	s_waitcnt lgkmcnt(0)
	global_store_b64 v[5:6], v[2:3], off
.LBB1465_509:                           ;   in Loop: Header=BB1465_405 Depth=2
	s_or_b32 exec_lo, exec_lo, s17
	s_waitcnt_vscnt null, 0x0
	s_barrier
	buffer_gl0_inv
	s_and_saveexec_b32 s17, s2
	s_cbranch_execz .LBB1465_404
; %bb.510:                              ;   in Loop: Header=BB1465_405 Depth=2
	ds_load_b32 v0, v31
	s_waitcnt lgkmcnt(0)
	v_add_nc_u32_e32 v0, v0, v4
	ds_store_b32 v31, v0
	s_branch .LBB1465_404
.LBB1465_511:                           ;   in Loop: Header=BB1465_405 Depth=2
	s_or_b32 exec_lo, exec_lo, s17
	s_delay_alu instid0(SALU_CYCLE_1)
	s_mov_b32 s17, exec_lo
	v_cmpx_gt_u32_e64 s31, v77
	s_cbranch_execz .LBB1465_410
.LBB1465_512:                           ;   in Loop: Header=BB1465_405 Depth=2
	global_load_b32 v3, v[29:30], off offset:128
	s_or_b32 exec_lo, exec_lo, s17
	s_delay_alu instid0(SALU_CYCLE_1)
	s_mov_b32 s17, exec_lo
	v_cmpx_gt_u32_e64 s31, v78
	s_cbranch_execnz .LBB1465_411
.LBB1465_513:                           ;   in Loop: Header=BB1465_405 Depth=2
	s_or_b32 exec_lo, exec_lo, s17
	s_delay_alu instid0(SALU_CYCLE_1)
	s_mov_b32 s17, exec_lo
	v_cmpx_gt_u32_e64 s31, v79
	s_cbranch_execz .LBB1465_412
.LBB1465_514:                           ;   in Loop: Header=BB1465_405 Depth=2
	global_load_b32 v5, v[29:30], off offset:384
	s_or_b32 exec_lo, exec_lo, s17
	s_delay_alu instid0(SALU_CYCLE_1)
	s_mov_b32 s17, exec_lo
	v_cmpx_gt_u32_e64 s31, v80
	s_cbranch_execnz .LBB1465_413
.LBB1465_515:                           ;   in Loop: Header=BB1465_405 Depth=2
	s_or_b32 exec_lo, exec_lo, s17
	s_delay_alu instid0(SALU_CYCLE_1)
	s_mov_b32 s17, exec_lo
	v_cmpx_gt_u32_e64 s31, v81
	s_cbranch_execz .LBB1465_414
.LBB1465_516:                           ;   in Loop: Header=BB1465_405 Depth=2
	global_load_b32 v7, v[29:30], off offset:640
	s_or_b32 exec_lo, exec_lo, s17
	s_delay_alu instid0(SALU_CYCLE_1)
	s_mov_b32 s17, exec_lo
	v_cmpx_gt_u32_e64 s31, v82
	s_cbranch_execnz .LBB1465_415
	s_branch .LBB1465_416
.LBB1465_517:                           ;   in Loop: Header=BB1465_17 Depth=1
	s_waitcnt lgkmcnt(0)
	s_mov_b32 s1, 0
	s_barrier
.LBB1465_518:                           ;   in Loop: Header=BB1465_17 Depth=1
	s_and_b32 vcc_lo, exec_lo, s1
	s_cbranch_vccz .LBB1465_16
; %bb.519:                              ;   in Loop: Header=BB1465_17 Depth=1
	s_mov_b32 s1, s59
	s_mov_b32 s26, s33
	s_barrier
	buffer_gl0_inv
                                        ; implicit-def: $vgpr2_vgpr3_vgpr4_vgpr5_vgpr6_vgpr7_vgpr8_vgpr9
	s_branch .LBB1465_521
.LBB1465_520:                           ;   in Loop: Header=BB1465_521 Depth=2
	s_or_b32 exec_lo, exec_lo, s8
	s_addk_i32 s1, 0xf800
	s_cmp_ge_u32 s7, s34
	s_mov_b32 s26, s7
	s_cbranch_scc1 .LBB1465_559
.LBB1465_521:                           ;   Parent Loop BB1465_17 Depth=1
                                        ; =>  This Inner Loop Header: Depth=2
	s_add_i32 s7, s26, 0x800
	s_delay_alu instid0(SALU_CYCLE_1)
	s_cmp_gt_u32 s7, s34
	s_cbranch_scc1 .LBB1465_524
; %bb.522:                              ;   in Loop: Header=BB1465_521 Depth=2
	s_mov_b32 s9, 0
	s_mov_b32 s8, s26
	s_delay_alu instid0(SALU_CYCLE_1) | instskip(NEXT) | instid1(SALU_CYCLE_1)
	s_lshl_b64 s[10:11], s[8:9], 2
	v_add_co_u32 v21, vcc_lo, v65, s10
	v_add_co_ci_u32_e32 v22, vcc_lo, s11, v66, vcc_lo
	s_mov_b32 s10, -1
	s_waitcnt vmcnt(0)
	s_delay_alu instid0(VALU_DEP_2) | instskip(NEXT) | instid1(VALU_DEP_2)
	v_add_co_u32 v16, vcc_lo, 0x1000, v21
	v_add_co_ci_u32_e32 v17, vcc_lo, 0, v22, vcc_lo
	s_clause 0x6
	global_load_b32 v10, v[21:22], off
	global_load_b32 v11, v[21:22], off offset:1024
	global_load_b32 v12, v[21:22], off offset:2048
	;; [unrolled: 1-line block ×3, first 2 shown]
	global_load_b32 v14, v[16:17], off
	global_load_b32 v15, v[16:17], off offset:1024
	global_load_b32 v16, v[16:17], off offset:2048
	v_add_co_u32 v21, vcc_lo, 0x1c00, v21
	v_add_co_ci_u32_e32 v22, vcc_lo, 0, v22, vcc_lo
	s_movk_i32 s11, 0x800
	s_cbranch_execz .LBB1465_525
; %bb.523:                              ;   in Loop: Header=BB1465_521 Depth=2
                                        ; implicit-def: $vgpr2_vgpr3_vgpr4_vgpr5_vgpr6_vgpr7_vgpr8_vgpr9
	v_mov_b32_e32 v0, s1
	s_and_saveexec_b32 s8, s10
	s_cbranch_execnz .LBB1465_536
	s_branch .LBB1465_537
.LBB1465_524:                           ;   in Loop: Header=BB1465_521 Depth=2
	s_mov_b32 s10, 0
                                        ; implicit-def: $sgpr11
                                        ; implicit-def: $vgpr10_vgpr11_vgpr12_vgpr13_vgpr14_vgpr15_vgpr16_vgpr17
                                        ; implicit-def: $vgpr21_vgpr22
.LBB1465_525:                           ;   in Loop: Header=BB1465_521 Depth=2
	s_lshl_b64 s[8:9], s[26:27], 2
	v_lshlrev_b32_e32 v0, 2, v18
	s_add_u32 s8, s44, s8
	s_addc_u32 s9, s45, s9
	s_mov_b32 s11, exec_lo
	v_cmpx_gt_u32_e64 s1, v18
	s_cbranch_execz .LBB1465_553
; %bb.526:                              ;   in Loop: Header=BB1465_521 Depth=2
	global_load_b32 v2, v0, s[8:9]
	s_or_b32 exec_lo, exec_lo, s11
	s_delay_alu instid0(SALU_CYCLE_1)
	s_mov_b32 s11, exec_lo
	v_cmpx_gt_u32_e64 s1, v32
	s_cbranch_execnz .LBB1465_554
.LBB1465_527:                           ;   in Loop: Header=BB1465_521 Depth=2
	s_or_b32 exec_lo, exec_lo, s11
	s_delay_alu instid0(SALU_CYCLE_1)
	s_mov_b32 s11, exec_lo
	v_cmpx_gt_u32_e64 s1, v33
	s_cbranch_execz .LBB1465_555
.LBB1465_528:                           ;   in Loop: Header=BB1465_521 Depth=2
	global_load_b32 v4, v0, s[8:9] offset:2048
	s_or_b32 exec_lo, exec_lo, s11
	s_delay_alu instid0(SALU_CYCLE_1)
	s_mov_b32 s11, exec_lo
	v_cmpx_gt_u32_e64 s1, v34
	s_cbranch_execnz .LBB1465_556
.LBB1465_529:                           ;   in Loop: Header=BB1465_521 Depth=2
	s_or_b32 exec_lo, exec_lo, s11
	s_delay_alu instid0(SALU_CYCLE_1)
	s_mov_b32 s11, exec_lo
	v_cmpx_gt_u32_e64 s1, v38
	s_cbranch_execz .LBB1465_557
.LBB1465_530:                           ;   in Loop: Header=BB1465_521 Depth=2
	v_lshlrev_b32_e32 v0, 2, v38
	global_load_b32 v6, v0, s[8:9]
	s_or_b32 exec_lo, exec_lo, s11
	s_delay_alu instid0(SALU_CYCLE_1)
	s_mov_b32 s11, exec_lo
	v_cmpx_gt_u32_e64 s1, v39
	s_cbranch_execnz .LBB1465_558
.LBB1465_531:                           ;   in Loop: Header=BB1465_521 Depth=2
	s_or_b32 exec_lo, exec_lo, s11
	s_delay_alu instid0(SALU_CYCLE_1)
	s_mov_b32 s11, exec_lo
	v_cmpx_gt_u32_e64 s1, v40
	s_cbranch_execz .LBB1465_533
.LBB1465_532:                           ;   in Loop: Header=BB1465_521 Depth=2
	v_lshlrev_b32_e32 v0, 2, v40
	global_load_b32 v8, v0, s[8:9]
.LBB1465_533:                           ;   in Loop: Header=BB1465_521 Depth=2
	s_or_b32 exec_lo, exec_lo, s11
	s_delay_alu instid0(SALU_CYCLE_1)
	s_mov_b32 s12, exec_lo
                                        ; implicit-def: $sgpr11
                                        ; implicit-def: $vgpr21_vgpr22
	v_cmpx_gt_u32_e64 s1, v42
; %bb.534:                              ;   in Loop: Header=BB1465_521 Depth=2
	v_lshlrev_b32_e32 v0, 2, v42
	s_sub_i32 s11, s34, s26
	s_or_b32 s10, s10, exec_lo
	s_delay_alu instid0(VALU_DEP_1) | instskip(NEXT) | instid1(VALU_DEP_1)
	v_add_co_u32 v21, s8, s8, v0
	v_add_co_ci_u32_e64 v22, null, s9, 0, s8
; %bb.535:                              ;   in Loop: Header=BB1465_521 Depth=2
	s_or_b32 exec_lo, exec_lo, s12
	s_waitcnt vmcnt(0)
	v_dual_mov_b32 v17, v9 :: v_dual_mov_b32 v16, v8
	v_dual_mov_b32 v15, v7 :: v_dual_mov_b32 v14, v6
	;; [unrolled: 1-line block ×4, first 2 shown]
	v_mov_b32_e32 v0, s1
	s_and_saveexec_b32 s8, s10
	s_cbranch_execz .LBB1465_537
.LBB1465_536:                           ;   in Loop: Header=BB1465_521 Depth=2
	global_load_b32 v17, v[21:22], off
	s_waitcnt vmcnt(0)
	v_dual_mov_b32 v2, v10 :: v_dual_mov_b32 v5, v13
	v_dual_mov_b32 v0, s11 :: v_dual_mov_b32 v3, v11
	;; [unrolled: 1-line block ×3, first 2 shown]
	v_mov_b32_e32 v6, v14
	v_dual_mov_b32 v8, v16 :: v_dual_mov_b32 v9, v17
.LBB1465_537:                           ;   in Loop: Header=BB1465_521 Depth=2
	s_or_b32 exec_lo, exec_lo, s8
	s_waitcnt vmcnt(6)
	v_lshlrev_b32_e32 v10, 2, v35
	s_mov_b32 s8, exec_lo
	v_cmpx_lt_u32_e64 v18, v0
	s_cbranch_execz .LBB1465_545
; %bb.538:                              ;   in Loop: Header=BB1465_521 Depth=2
	v_cmp_lt_i32_e32 vcc_lo, -1, v2
	s_waitcnt vmcnt(5)
	v_cndmask_b32_e64 v11, -1, 0x80000000, vcc_lo
	s_delay_alu instid0(VALU_DEP_1) | instskip(NEXT) | instid1(VALU_DEP_1)
	v_xor_b32_e32 v11, v11, v2
	v_cmp_ne_u32_e32 vcc_lo, 0x7fffffff, v11
	v_cndmask_b32_e32 v11, 0x80000000, v11, vcc_lo
	s_delay_alu instid0(VALU_DEP_1) | instskip(NEXT) | instid1(VALU_DEP_1)
	v_lshrrev_b32_e32 v11, s57, v11
	v_and_b32_e32 v11, s30, v11
	s_delay_alu instid0(VALU_DEP_1) | instskip(SKIP_2) | instid1(SALU_CYCLE_1)
	v_lshl_or_b32 v11, v11, 4, v10
	ds_add_u32 v11, v71
	s_or_b32 exec_lo, exec_lo, s8
	s_mov_b32 s8, exec_lo
	v_cmpx_lt_u32_e64 v32, v0
	s_cbranch_execnz .LBB1465_546
.LBB1465_539:                           ;   in Loop: Header=BB1465_521 Depth=2
	s_or_b32 exec_lo, exec_lo, s8
	s_delay_alu instid0(SALU_CYCLE_1)
	s_mov_b32 s8, exec_lo
	v_cmpx_lt_u32_e64 v33, v0
	s_cbranch_execz .LBB1465_547
.LBB1465_540:                           ;   in Loop: Header=BB1465_521 Depth=2
	v_cmp_lt_i32_e32 vcc_lo, -1, v4
	s_waitcnt vmcnt(5)
	v_cndmask_b32_e64 v11, -1, 0x80000000, vcc_lo
	s_delay_alu instid0(VALU_DEP_1) | instskip(NEXT) | instid1(VALU_DEP_1)
	v_xor_b32_e32 v11, v11, v4
	v_cmp_ne_u32_e32 vcc_lo, 0x7fffffff, v11
	v_cndmask_b32_e32 v11, 0x80000000, v11, vcc_lo
	s_delay_alu instid0(VALU_DEP_1) | instskip(NEXT) | instid1(VALU_DEP_1)
	v_lshrrev_b32_e32 v11, s57, v11
	v_and_b32_e32 v11, s30, v11
	s_delay_alu instid0(VALU_DEP_1) | instskip(SKIP_2) | instid1(SALU_CYCLE_1)
	v_lshl_or_b32 v11, v11, 4, v10
	ds_add_u32 v11, v71
	s_or_b32 exec_lo, exec_lo, s8
	s_mov_b32 s8, exec_lo
	v_cmpx_lt_u32_e64 v34, v0
	s_cbranch_execnz .LBB1465_548
.LBB1465_541:                           ;   in Loop: Header=BB1465_521 Depth=2
	s_or_b32 exec_lo, exec_lo, s8
	s_delay_alu instid0(SALU_CYCLE_1)
	s_mov_b32 s8, exec_lo
	v_cmpx_lt_u32_e64 v38, v0
	s_cbranch_execz .LBB1465_549
.LBB1465_542:                           ;   in Loop: Header=BB1465_521 Depth=2
	v_cmp_lt_i32_e32 vcc_lo, -1, v6
	s_waitcnt vmcnt(5)
	v_cndmask_b32_e64 v11, -1, 0x80000000, vcc_lo
	s_delay_alu instid0(VALU_DEP_1) | instskip(NEXT) | instid1(VALU_DEP_1)
	v_xor_b32_e32 v11, v11, v6
	v_cmp_ne_u32_e32 vcc_lo, 0x7fffffff, v11
	v_cndmask_b32_e32 v11, 0x80000000, v11, vcc_lo
	s_delay_alu instid0(VALU_DEP_1) | instskip(NEXT) | instid1(VALU_DEP_1)
	v_lshrrev_b32_e32 v11, s57, v11
	v_and_b32_e32 v11, s30, v11
	s_delay_alu instid0(VALU_DEP_1) | instskip(SKIP_2) | instid1(SALU_CYCLE_1)
	v_lshl_or_b32 v11, v11, 4, v10
	ds_add_u32 v11, v71
	s_or_b32 exec_lo, exec_lo, s8
	s_mov_b32 s8, exec_lo
	v_cmpx_lt_u32_e64 v39, v0
	s_cbranch_execnz .LBB1465_550
.LBB1465_543:                           ;   in Loop: Header=BB1465_521 Depth=2
	s_or_b32 exec_lo, exec_lo, s8
	s_delay_alu instid0(SALU_CYCLE_1)
	s_mov_b32 s8, exec_lo
	v_cmpx_lt_u32_e64 v40, v0
	s_cbranch_execz .LBB1465_551
.LBB1465_544:                           ;   in Loop: Header=BB1465_521 Depth=2
	v_cmp_lt_i32_e32 vcc_lo, -1, v8
	s_waitcnt vmcnt(5)
	v_cndmask_b32_e64 v11, -1, 0x80000000, vcc_lo
	s_delay_alu instid0(VALU_DEP_1) | instskip(NEXT) | instid1(VALU_DEP_1)
	v_xor_b32_e32 v11, v11, v8
	v_cmp_ne_u32_e32 vcc_lo, 0x7fffffff, v11
	v_cndmask_b32_e32 v11, 0x80000000, v11, vcc_lo
	s_delay_alu instid0(VALU_DEP_1) | instskip(NEXT) | instid1(VALU_DEP_1)
	v_lshrrev_b32_e32 v11, s57, v11
	v_and_b32_e32 v11, s30, v11
	s_delay_alu instid0(VALU_DEP_1) | instskip(SKIP_2) | instid1(SALU_CYCLE_1)
	v_lshl_or_b32 v11, v11, 4, v10
	ds_add_u32 v11, v71
	s_or_b32 exec_lo, exec_lo, s8
	s_mov_b32 s8, exec_lo
	v_cmpx_lt_u32_e64 v42, v0
	s_cbranch_execz .LBB1465_520
	s_branch .LBB1465_552
.LBB1465_545:                           ;   in Loop: Header=BB1465_521 Depth=2
	s_or_b32 exec_lo, exec_lo, s8
	s_delay_alu instid0(SALU_CYCLE_1)
	s_mov_b32 s8, exec_lo
	v_cmpx_lt_u32_e64 v32, v0
	s_cbranch_execz .LBB1465_539
.LBB1465_546:                           ;   in Loop: Header=BB1465_521 Depth=2
	v_cmp_lt_i32_e32 vcc_lo, -1, v3
	s_waitcnt vmcnt(5)
	v_cndmask_b32_e64 v11, -1, 0x80000000, vcc_lo
	s_delay_alu instid0(VALU_DEP_1) | instskip(NEXT) | instid1(VALU_DEP_1)
	v_xor_b32_e32 v11, v11, v3
	v_cmp_ne_u32_e32 vcc_lo, 0x7fffffff, v11
	v_cndmask_b32_e32 v11, 0x80000000, v11, vcc_lo
	s_delay_alu instid0(VALU_DEP_1) | instskip(NEXT) | instid1(VALU_DEP_1)
	v_lshrrev_b32_e32 v11, s57, v11
	v_and_b32_e32 v11, s30, v11
	s_delay_alu instid0(VALU_DEP_1) | instskip(SKIP_2) | instid1(SALU_CYCLE_1)
	v_lshl_or_b32 v11, v11, 4, v10
	ds_add_u32 v11, v71
	s_or_b32 exec_lo, exec_lo, s8
	s_mov_b32 s8, exec_lo
	v_cmpx_lt_u32_e64 v33, v0
	s_cbranch_execnz .LBB1465_540
.LBB1465_547:                           ;   in Loop: Header=BB1465_521 Depth=2
	s_or_b32 exec_lo, exec_lo, s8
	s_delay_alu instid0(SALU_CYCLE_1)
	s_mov_b32 s8, exec_lo
	v_cmpx_lt_u32_e64 v34, v0
	s_cbranch_execz .LBB1465_541
.LBB1465_548:                           ;   in Loop: Header=BB1465_521 Depth=2
	v_cmp_lt_i32_e32 vcc_lo, -1, v5
	s_waitcnt vmcnt(5)
	v_cndmask_b32_e64 v11, -1, 0x80000000, vcc_lo
	s_delay_alu instid0(VALU_DEP_1) | instskip(NEXT) | instid1(VALU_DEP_1)
	v_xor_b32_e32 v11, v11, v5
	v_cmp_ne_u32_e32 vcc_lo, 0x7fffffff, v11
	v_cndmask_b32_e32 v11, 0x80000000, v11, vcc_lo
	s_delay_alu instid0(VALU_DEP_1) | instskip(NEXT) | instid1(VALU_DEP_1)
	v_lshrrev_b32_e32 v11, s57, v11
	v_and_b32_e32 v11, s30, v11
	s_delay_alu instid0(VALU_DEP_1) | instskip(SKIP_2) | instid1(SALU_CYCLE_1)
	v_lshl_or_b32 v11, v11, 4, v10
	ds_add_u32 v11, v71
	s_or_b32 exec_lo, exec_lo, s8
	s_mov_b32 s8, exec_lo
	v_cmpx_lt_u32_e64 v38, v0
	s_cbranch_execnz .LBB1465_542
.LBB1465_549:                           ;   in Loop: Header=BB1465_521 Depth=2
	s_or_b32 exec_lo, exec_lo, s8
	s_delay_alu instid0(SALU_CYCLE_1)
	s_mov_b32 s8, exec_lo
	v_cmpx_lt_u32_e64 v39, v0
	s_cbranch_execz .LBB1465_543
.LBB1465_550:                           ;   in Loop: Header=BB1465_521 Depth=2
	v_cmp_lt_i32_e32 vcc_lo, -1, v7
	s_waitcnt vmcnt(5)
	v_cndmask_b32_e64 v11, -1, 0x80000000, vcc_lo
	s_delay_alu instid0(VALU_DEP_1) | instskip(NEXT) | instid1(VALU_DEP_1)
	v_xor_b32_e32 v11, v11, v7
	v_cmp_ne_u32_e32 vcc_lo, 0x7fffffff, v11
	v_cndmask_b32_e32 v11, 0x80000000, v11, vcc_lo
	s_delay_alu instid0(VALU_DEP_1) | instskip(NEXT) | instid1(VALU_DEP_1)
	v_lshrrev_b32_e32 v11, s57, v11
	v_and_b32_e32 v11, s30, v11
	s_delay_alu instid0(VALU_DEP_1) | instskip(SKIP_2) | instid1(SALU_CYCLE_1)
	v_lshl_or_b32 v11, v11, 4, v10
	ds_add_u32 v11, v71
	s_or_b32 exec_lo, exec_lo, s8
	s_mov_b32 s8, exec_lo
	v_cmpx_lt_u32_e64 v40, v0
	s_cbranch_execnz .LBB1465_544
.LBB1465_551:                           ;   in Loop: Header=BB1465_521 Depth=2
	s_or_b32 exec_lo, exec_lo, s8
	s_delay_alu instid0(SALU_CYCLE_1)
	s_mov_b32 s8, exec_lo
	v_cmpx_lt_u32_e64 v42, v0
	s_cbranch_execz .LBB1465_520
.LBB1465_552:                           ;   in Loop: Header=BB1465_521 Depth=2
	v_cmp_lt_i32_e32 vcc_lo, -1, v9
	v_cndmask_b32_e64 v0, -1, 0x80000000, vcc_lo
	s_delay_alu instid0(VALU_DEP_1) | instskip(NEXT) | instid1(VALU_DEP_1)
	v_xor_b32_e32 v0, v0, v9
	v_cmp_ne_u32_e32 vcc_lo, 0x7fffffff, v0
	v_cndmask_b32_e32 v0, 0x80000000, v0, vcc_lo
	s_delay_alu instid0(VALU_DEP_1) | instskip(NEXT) | instid1(VALU_DEP_1)
	v_lshrrev_b32_e32 v0, s57, v0
	v_and_b32_e32 v0, s30, v0
	s_delay_alu instid0(VALU_DEP_1)
	v_lshl_or_b32 v0, v0, 4, v10
	ds_add_u32 v0, v71
	s_branch .LBB1465_520
.LBB1465_553:                           ;   in Loop: Header=BB1465_521 Depth=2
	s_or_b32 exec_lo, exec_lo, s11
	s_delay_alu instid0(SALU_CYCLE_1)
	s_mov_b32 s11, exec_lo
	v_cmpx_gt_u32_e64 s1, v32
	s_cbranch_execz .LBB1465_527
.LBB1465_554:                           ;   in Loop: Header=BB1465_521 Depth=2
	global_load_b32 v3, v0, s[8:9] offset:1024
	s_or_b32 exec_lo, exec_lo, s11
	s_delay_alu instid0(SALU_CYCLE_1)
	s_mov_b32 s11, exec_lo
	v_cmpx_gt_u32_e64 s1, v33
	s_cbranch_execnz .LBB1465_528
.LBB1465_555:                           ;   in Loop: Header=BB1465_521 Depth=2
	s_or_b32 exec_lo, exec_lo, s11
	s_delay_alu instid0(SALU_CYCLE_1)
	s_mov_b32 s11, exec_lo
	v_cmpx_gt_u32_e64 s1, v34
	s_cbranch_execz .LBB1465_529
.LBB1465_556:                           ;   in Loop: Header=BB1465_521 Depth=2
	global_load_b32 v5, v0, s[8:9] offset:3072
	s_or_b32 exec_lo, exec_lo, s11
	s_delay_alu instid0(SALU_CYCLE_1)
	s_mov_b32 s11, exec_lo
	v_cmpx_gt_u32_e64 s1, v38
	s_cbranch_execnz .LBB1465_530
.LBB1465_557:                           ;   in Loop: Header=BB1465_521 Depth=2
	s_or_b32 exec_lo, exec_lo, s11
	s_delay_alu instid0(SALU_CYCLE_1)
	s_mov_b32 s11, exec_lo
	v_cmpx_gt_u32_e64 s1, v39
	s_cbranch_execz .LBB1465_531
.LBB1465_558:                           ;   in Loop: Header=BB1465_521 Depth=2
	v_lshlrev_b32_e32 v0, 2, v39
	global_load_b32 v7, v0, s[8:9]
	s_or_b32 exec_lo, exec_lo, s11
	s_delay_alu instid0(SALU_CYCLE_1)
	s_mov_b32 s11, exec_lo
	v_cmpx_gt_u32_e64 s1, v40
	s_cbranch_execz .LBB1465_533
	s_branch .LBB1465_532
.LBB1465_559:                           ;   in Loop: Header=BB1465_17 Depth=1
	v_mov_b32_e32 v0, 0
	s_waitcnt vmcnt(0) lgkmcnt(0)
	s_barrier
	buffer_gl0_inv
	s_and_saveexec_b32 s1, s2
	s_cbranch_execz .LBB1465_561
; %bb.560:                              ;   in Loop: Header=BB1465_17 Depth=1
	ds_load_2addr_b64 v[2:5], v43 offset1:1
	s_waitcnt lgkmcnt(0)
	v_add_nc_u32_e32 v0, v3, v2
	s_delay_alu instid0(VALU_DEP_1)
	v_add3_u32 v0, v0, v4, v5
.LBB1465_561:                           ;   in Loop: Header=BB1465_17 Depth=1
	s_or_b32 exec_lo, exec_lo, s1
	v_and_b32_e32 v2, 15, v72
	s_delay_alu instid0(VALU_DEP_2) | instskip(SKIP_1) | instid1(VALU_DEP_3)
	v_mov_b32_dpp v3, v0 row_shr:1 row_mask:0xf bank_mask:0xf
	v_and_b32_e32 v4, 16, v72
	v_cmp_eq_u32_e64 s1, 0, v2
	v_cmp_lt_u32_e64 s7, 1, v2
	v_cmp_lt_u32_e64 s8, 3, v2
	;; [unrolled: 1-line block ×3, first 2 shown]
	v_cmp_eq_u32_e64 s10, 0, v4
	v_cndmask_b32_e64 v3, v3, 0, s1
	s_delay_alu instid0(VALU_DEP_1) | instskip(NEXT) | instid1(VALU_DEP_1)
	v_add_nc_u32_e32 v0, v3, v0
	v_mov_b32_dpp v3, v0 row_shr:2 row_mask:0xf bank_mask:0xf
	s_delay_alu instid0(VALU_DEP_1) | instskip(NEXT) | instid1(VALU_DEP_1)
	v_cndmask_b32_e64 v3, 0, v3, s7
	v_add_nc_u32_e32 v0, v0, v3
	s_delay_alu instid0(VALU_DEP_1) | instskip(NEXT) | instid1(VALU_DEP_1)
	v_mov_b32_dpp v3, v0 row_shr:4 row_mask:0xf bank_mask:0xf
	v_cndmask_b32_e64 v3, 0, v3, s8
	s_delay_alu instid0(VALU_DEP_1) | instskip(NEXT) | instid1(VALU_DEP_1)
	v_add_nc_u32_e32 v0, v0, v3
	v_mov_b32_dpp v3, v0 row_shr:8 row_mask:0xf bank_mask:0xf
	s_delay_alu instid0(VALU_DEP_1) | instskip(SKIP_1) | instid1(VALU_DEP_2)
	v_cndmask_b32_e64 v2, 0, v3, s9
	v_bfe_i32 v3, v72, 4, 1
	v_add_nc_u32_e32 v0, v0, v2
	ds_swizzle_b32 v2, v0 offset:swizzle(BROADCAST,32,15)
	s_waitcnt lgkmcnt(0)
	v_and_b32_e32 v2, v3, v2
	s_delay_alu instid0(VALU_DEP_1)
	v_add_nc_u32_e32 v2, v0, v2
	s_and_saveexec_b32 s11, s3
	s_cbranch_execz .LBB1465_563
; %bb.562:                              ;   in Loop: Header=BB1465_17 Depth=1
	ds_store_b32 v44, v2
.LBB1465_563:                           ;   in Loop: Header=BB1465_17 Depth=1
	s_or_b32 exec_lo, exec_lo, s11
	v_and_b32_e32 v0, 7, v72
	s_waitcnt lgkmcnt(0)
	s_barrier
	buffer_gl0_inv
	s_and_saveexec_b32 s11, s4
	s_cbranch_execz .LBB1465_565
; %bb.564:                              ;   in Loop: Header=BB1465_17 Depth=1
	ds_load_b32 v3, v45
	v_cmp_ne_u32_e32 vcc_lo, 0, v0
	s_waitcnt lgkmcnt(0)
	v_mov_b32_dpp v4, v3 row_shr:1 row_mask:0xf bank_mask:0xf
	s_delay_alu instid0(VALU_DEP_1) | instskip(SKIP_1) | instid1(VALU_DEP_2)
	v_cndmask_b32_e32 v4, 0, v4, vcc_lo
	v_cmp_lt_u32_e32 vcc_lo, 1, v0
	v_add_nc_u32_e32 v3, v4, v3
	s_delay_alu instid0(VALU_DEP_1) | instskip(NEXT) | instid1(VALU_DEP_1)
	v_mov_b32_dpp v4, v3 row_shr:2 row_mask:0xf bank_mask:0xf
	v_cndmask_b32_e32 v4, 0, v4, vcc_lo
	v_cmp_lt_u32_e32 vcc_lo, 3, v0
	s_delay_alu instid0(VALU_DEP_2) | instskip(NEXT) | instid1(VALU_DEP_1)
	v_add_nc_u32_e32 v3, v3, v4
	v_mov_b32_dpp v4, v3 row_shr:4 row_mask:0xf bank_mask:0xf
	s_delay_alu instid0(VALU_DEP_1) | instskip(NEXT) | instid1(VALU_DEP_1)
	v_cndmask_b32_e32 v4, 0, v4, vcc_lo
	v_add_nc_u32_e32 v3, v3, v4
	ds_store_b32 v45, v3
.LBB1465_565:                           ;   in Loop: Header=BB1465_17 Depth=1
	s_or_b32 exec_lo, exec_lo, s11
	v_mov_b32_e32 v3, 0
	s_waitcnt lgkmcnt(0)
	s_barrier
	buffer_gl0_inv
	s_and_saveexec_b32 s11, s5
	s_cbranch_execz .LBB1465_567
; %bb.566:                              ;   in Loop: Header=BB1465_17 Depth=1
	ds_load_b32 v3, v46
.LBB1465_567:                           ;   in Loop: Header=BB1465_17 Depth=1
	s_or_b32 exec_lo, exec_lo, s11
	v_add_nc_u32_e32 v4, -1, v72
	s_waitcnt lgkmcnt(0)
	v_add_nc_u32_e32 v2, v3, v2
	v_cmp_eq_u32_e64 s11, 0, v72
	s_barrier
	v_cmp_gt_i32_e32 vcc_lo, 0, v4
	buffer_gl0_inv
	v_cndmask_b32_e32 v4, v4, v72, vcc_lo
	s_delay_alu instid0(VALU_DEP_1)
	v_lshlrev_b32_e32 v73, 2, v4
	ds_bpermute_b32 v2, v73, v2
	s_and_saveexec_b32 s12, s2
	s_cbranch_execz .LBB1465_569
; %bb.568:                              ;   in Loop: Header=BB1465_17 Depth=1
	s_waitcnt lgkmcnt(0)
	v_cndmask_b32_e64 v2, v2, v3, s11
	s_delay_alu instid0(VALU_DEP_1)
	v_add_nc_u32_e32 v2, s33, v2
	ds_store_b32 v31, v2
.LBB1465_569:                           ;   in Loop: Header=BB1465_17 Depth=1
	s_or_b32 exec_lo, exec_lo, s12
	s_load_b64 s[12:13], s[28:29], 0x0
	v_lshlrev_b32_e32 v3, 3, v72
	v_or_b32_e32 v74, v72, v47
	s_mov_b32 s31, s59
	s_mov_b32 s26, s33
                                        ; implicit-def: $vgpr10_vgpr11
                                        ; implicit-def: $vgpr12_vgpr13
                                        ; implicit-def: $vgpr14_vgpr15
                                        ; implicit-def: $vgpr16_vgpr17
                                        ; implicit-def: $vgpr21_vgpr22
                                        ; implicit-def: $vgpr23_vgpr24
                                        ; implicit-def: $vgpr25_vgpr26
                                        ; implicit-def: $vgpr27_vgpr28
                                        ; implicit-def: $vgpr89
                                        ; implicit-def: $vgpr90
                                        ; implicit-def: $vgpr91
                                        ; implicit-def: $vgpr92
                                        ; implicit-def: $vgpr93
                                        ; implicit-def: $vgpr94
                                        ; implicit-def: $vgpr95
                                        ; implicit-def: $vgpr96
	s_delay_alu instid0(VALU_DEP_2)
	v_add_co_u32 v75, vcc_lo, v67, v3
	v_add_co_ci_u32_e32 v76, vcc_lo, 0, v68, vcc_lo
	v_or_b32_e32 v77, 32, v74
	v_or_b32_e32 v78, 64, v74
	;; [unrolled: 1-line block ×7, first 2 shown]
	s_waitcnt lgkmcnt(0)
	s_cmp_lt_u32 s15, s13
	s_cselect_b32 s13, 14, 20
	s_delay_alu instid0(SALU_CYCLE_1) | instskip(SKIP_4) | instid1(SALU_CYCLE_1)
	s_add_u32 s16, s28, s13
	s_addc_u32 s17, s29, 0
	s_cmp_lt_u32 s14, s12
	global_load_u16 v2, v20, s[16:17]
	s_cselect_b32 s12, 12, 18
	s_add_u32 s12, s28, s12
	s_addc_u32 s13, s29, 0
	global_load_u16 v4, v20, s[12:13]
	v_cmp_eq_u32_e64 s12, 0, v0
	v_cmp_lt_u32_e64 s13, 1, v0
	v_cmp_lt_u32_e64 s16, 3, v0
	v_lshlrev_b32_e32 v0, 2, v72
	s_delay_alu instid0(VALU_DEP_1) | instskip(SKIP_1) | instid1(VALU_DEP_2)
	v_add_co_u32 v84, vcc_lo, v69, v0
	v_add_co_ci_u32_e32 v85, vcc_lo, 0, v70, vcc_lo
	v_add_co_u32 v87, vcc_lo, 0x380, v84
	s_delay_alu instid0(VALU_DEP_2) | instskip(SKIP_3) | instid1(VALU_DEP_1)
	v_add_co_ci_u32_e32 v88, vcc_lo, 0, v85, vcc_lo
	s_waitcnt vmcnt(1)
	v_mad_u32_u24 v5, v48, v2, v50
	s_waitcnt vmcnt(0)
	v_mad_u64_u32 v[2:3], null, v5, v4, v[18:19]
	s_delay_alu instid0(VALU_DEP_1)
	v_lshrrev_b32_e32 v86, 5, v2
	s_branch .LBB1465_571
.LBB1465_570:                           ;   in Loop: Header=BB1465_571 Depth=2
	s_or_b32 exec_lo, exec_lo, s17
	s_addk_i32 s31, 0xf800
	s_cmp_lt_u32 s50, s34
	s_mov_b32 s26, s50
	s_cbranch_scc0 .LBB1465_15
.LBB1465_571:                           ;   Parent Loop BB1465_17 Depth=1
                                        ; =>  This Inner Loop Header: Depth=2
	s_add_i32 s50, s26, 0x800
	s_delay_alu instid0(SALU_CYCLE_1)
	s_cmp_gt_u32 s50, s34
	s_cbranch_scc1 .LBB1465_573
; %bb.572:                              ;   in Loop: Header=BB1465_571 Depth=2
	s_mov_b32 s19, 0
	s_mov_b32 s18, s26
	s_movk_i32 s17, 0x800
	s_lshl_b64 s[20:21], s[18:19], 2
	s_delay_alu instid0(SALU_CYCLE_1)
	v_add_co_u32 v8, vcc_lo, v84, s20
	v_add_co_ci_u32_e32 v9, vcc_lo, s21, v85, vcc_lo
	s_mov_b32 s20, -1
	s_clause 0x6
	global_load_b32 v2, v[8:9], off
	global_load_b32 v3, v[8:9], off offset:128
	global_load_b32 v4, v[8:9], off offset:256
	;; [unrolled: 1-line block ×6, first 2 shown]
	s_cbranch_execz .LBB1465_574
	s_branch .LBB1465_583
.LBB1465_573:                           ;   in Loop: Header=BB1465_571 Depth=2
	s_mov_b32 s19, -1
	s_mov_b32 s20, 0
                                        ; implicit-def: $sgpr17
                                        ; implicit-def: $vgpr2_vgpr3_vgpr4_vgpr5_vgpr6_vgpr7_vgpr8_vgpr9
.LBB1465_574:                           ;   in Loop: Header=BB1465_571 Depth=2
	s_lshl_b64 s[18:19], s[26:27], 2
	s_mov_b32 s37, s36
	v_add_co_u32 v29, vcc_lo, v84, s18
	s_mov_b32 s38, s36
	s_mov_b32 s39, s36
	s_mov_b32 s40, s36
	s_mov_b32 s41, s36
	s_mov_b32 s42, s36
	s_mov_b32 s43, s36
	s_waitcnt vmcnt(0)
	v_dual_mov_b32 v2, s36 :: v_dual_mov_b32 v3, s37
	v_add_co_ci_u32_e32 v30, vcc_lo, s19, v85, vcc_lo
	v_dual_mov_b32 v4, s38 :: v_dual_mov_b32 v5, s39
	v_dual_mov_b32 v6, s40 :: v_dual_mov_b32 v7, s41
	;; [unrolled: 1-line block ×3, first 2 shown]
	s_mov_b32 s17, exec_lo
	v_cmpx_gt_u32_e64 s31, v74
	s_cbranch_execz .LBB1465_677
; %bb.575:                              ;   in Loop: Header=BB1465_571 Depth=2
	global_load_b32 v0, v[29:30], off
	v_mov_b32_e32 v7, v1
	v_mov_b32_e32 v2, v1
	;; [unrolled: 1-line block ×6, first 2 shown]
	s_waitcnt vmcnt(0)
	v_mov_b32_e32 v9, v7
	s_delay_alu instid0(VALU_DEP_2)
	v_dual_mov_b32 v8, v6 :: v_dual_mov_b32 v7, v5
	v_mov_b32_e32 v6, v4
	v_mov_b32_e32 v5, v3
	;; [unrolled: 1-line block ×5, first 2 shown]
	s_or_b32 exec_lo, exec_lo, s17
	s_delay_alu instid0(SALU_CYCLE_1)
	s_mov_b32 s17, exec_lo
	v_cmpx_gt_u32_e64 s31, v77
	s_cbranch_execnz .LBB1465_678
.LBB1465_576:                           ;   in Loop: Header=BB1465_571 Depth=2
	s_or_b32 exec_lo, exec_lo, s17
	s_delay_alu instid0(SALU_CYCLE_1)
	s_mov_b32 s17, exec_lo
	v_cmpx_gt_u32_e64 s31, v78
	s_cbranch_execz .LBB1465_679
.LBB1465_577:                           ;   in Loop: Header=BB1465_571 Depth=2
	global_load_b32 v4, v[29:30], off offset:256
	s_or_b32 exec_lo, exec_lo, s17
	s_delay_alu instid0(SALU_CYCLE_1)
	s_mov_b32 s17, exec_lo
	v_cmpx_gt_u32_e64 s31, v79
	s_cbranch_execnz .LBB1465_680
.LBB1465_578:                           ;   in Loop: Header=BB1465_571 Depth=2
	s_or_b32 exec_lo, exec_lo, s17
	s_delay_alu instid0(SALU_CYCLE_1)
	s_mov_b32 s17, exec_lo
	v_cmpx_gt_u32_e64 s31, v80
	s_cbranch_execz .LBB1465_681
.LBB1465_579:                           ;   in Loop: Header=BB1465_571 Depth=2
	global_load_b32 v6, v[29:30], off offset:512
	s_or_b32 exec_lo, exec_lo, s17
	s_delay_alu instid0(SALU_CYCLE_1)
	s_mov_b32 s17, exec_lo
	v_cmpx_gt_u32_e64 s31, v81
	s_cbranch_execnz .LBB1465_682
.LBB1465_580:                           ;   in Loop: Header=BB1465_571 Depth=2
	s_or_b32 exec_lo, exec_lo, s17
	s_delay_alu instid0(SALU_CYCLE_1)
	s_mov_b32 s17, exec_lo
	v_cmpx_gt_u32_e64 s31, v82
	s_cbranch_execz .LBB1465_582
.LBB1465_581:                           ;   in Loop: Header=BB1465_571 Depth=2
	global_load_b32 v8, v[29:30], off offset:768
.LBB1465_582:                           ;   in Loop: Header=BB1465_571 Depth=2
	s_or_b32 exec_lo, exec_lo, s17
	v_cmp_gt_u32_e64 s20, s31, v83
	s_sub_i32 s17, s34, s26
	s_mov_b64 s[18:19], s[26:27]
.LBB1465_583:                           ;   in Loop: Header=BB1465_571 Depth=2
	v_mov_b32_e32 v0, s31
	s_delay_alu instid0(VALU_DEP_2)
	s_and_saveexec_b32 s21, s20
	s_cbranch_execz .LBB1465_585
; %bb.584:                              ;   in Loop: Header=BB1465_571 Depth=2
	s_lshl_b64 s[18:19], s[18:19], 2
	v_mov_b32_e32 v0, s17
	v_add_co_u32 v29, vcc_lo, v87, s18
	v_add_co_ci_u32_e32 v30, vcc_lo, s19, v88, vcc_lo
	global_load_b32 v9, v[29:30], off
.LBB1465_585:                           ;   in Loop: Header=BB1465_571 Depth=2
	s_or_b32 exec_lo, exec_lo, s21
	s_waitcnt vmcnt(6)
	v_cmp_lt_i32_e32 vcc_lo, -1, v2
	ds_store_b32 v49, v20 offset:1056
	ds_store_2addr_b32 v51, v20, v20 offset0:1 offset1:2
	ds_store_2addr_b32 v51, v20, v20 offset0:3 offset1:4
	;; [unrolled: 1-line block ×4, first 2 shown]
	s_waitcnt vmcnt(0) lgkmcnt(0)
	s_barrier
	v_cndmask_b32_e64 v19, -1, 0x80000000, vcc_lo
	buffer_gl0_inv
	; wave barrier
	v_xor_b32_e32 v19, v19, v2
	s_delay_alu instid0(VALU_DEP_1) | instskip(SKIP_1) | instid1(VALU_DEP_1)
	v_cmp_ne_u32_e32 vcc_lo, 0x7fffffff, v19
	v_cndmask_b32_e32 v2, 0x80000000, v19, vcc_lo
	v_lshrrev_b32_e32 v2, s57, v2
	s_delay_alu instid0(VALU_DEP_1) | instskip(NEXT) | instid1(VALU_DEP_1)
	v_and_b32_e32 v30, s30, v2
	v_lshlrev_b32_e32 v29, 30, v30
	v_and_b32_e32 v2, 1, v30
	v_lshlrev_b32_e32 v97, 29, v30
	v_lshlrev_b32_e32 v98, 28, v30
	;; [unrolled: 1-line block ×3, first 2 shown]
	v_not_b32_e32 v103, v29
	v_add_co_u32 v2, s17, v2, -1
	s_delay_alu instid0(VALU_DEP_1)
	v_cndmask_b32_e64 v99, 0, 1, s17
	v_cmp_gt_i32_e64 s17, 0, v29
	v_not_b32_e32 v29, v97
	v_ashrrev_i32_e32 v103, 31, v103
	v_lshlrev_b32_e32 v101, 26, v30
	v_cmp_ne_u32_e32 vcc_lo, 0, v99
	v_lshlrev_b32_e32 v102, 25, v30
	v_ashrrev_i32_e32 v29, 31, v29
	v_xor_b32_e32 v103, s17, v103
	v_cmp_gt_i32_e64 s17, 0, v98
	v_xor_b32_e32 v2, vcc_lo, v2
	v_cmp_gt_i32_e32 vcc_lo, 0, v97
	v_not_b32_e32 v97, v98
	v_not_b32_e32 v98, v100
	v_lshlrev_b32_e32 v99, 24, v30
	v_and_b32_e32 v2, exec_lo, v2
	v_xor_b32_e32 v29, vcc_lo, v29
	v_ashrrev_i32_e32 v97, 31, v97
	v_cmp_gt_i32_e32 vcc_lo, 0, v100
	v_not_b32_e32 v100, v101
	v_and_b32_e32 v2, v2, v103
	v_ashrrev_i32_e32 v98, 31, v98
	v_xor_b32_e32 v97, s17, v97
	v_cmp_gt_i32_e64 s17, 0, v101
	v_ashrrev_i32_e32 v100, 31, v100
	v_and_b32_e32 v2, v2, v29
	v_not_b32_e32 v29, v102
	v_xor_b32_e32 v98, vcc_lo, v98
	v_cmp_gt_i32_e32 vcc_lo, 0, v102
	v_xor_b32_e32 v100, s17, v100
	v_and_b32_e32 v2, v2, v97
	v_not_b32_e32 v97, v99
	v_ashrrev_i32_e32 v29, 31, v29
	v_cmp_gt_i32_e64 s17, 0, v99
	v_mad_u32_u24 v30, v30, 9, v86
	v_and_b32_e32 v2, v2, v98
	v_ashrrev_i32_e32 v97, 31, v97
	v_xor_b32_e32 v29, vcc_lo, v29
	s_delay_alu instid0(VALU_DEP_3) | instskip(NEXT) | instid1(VALU_DEP_3)
	v_and_b32_e32 v2, v2, v100
	v_xor_b32_e32 v97, s17, v97
	s_delay_alu instid0(VALU_DEP_2) | instskip(NEXT) | instid1(VALU_DEP_1)
	v_and_b32_e32 v2, v2, v29
	v_and_b32_e32 v2, v2, v97
	v_lshl_add_u32 v97, v30, 2, 0x420
	s_delay_alu instid0(VALU_DEP_2) | instskip(SKIP_1) | instid1(VALU_DEP_2)
	v_mbcnt_lo_u32_b32 v29, v2, 0
	v_cmp_ne_u32_e64 s17, 0, v2
	v_cmp_eq_u32_e32 vcc_lo, 0, v29
	s_delay_alu instid0(VALU_DEP_2) | instskip(NEXT) | instid1(SALU_CYCLE_1)
	s_and_b32 s18, s17, vcc_lo
	s_and_saveexec_b32 s17, s18
	s_cbranch_execz .LBB1465_587
; %bb.586:                              ;   in Loop: Header=BB1465_571 Depth=2
	v_bcnt_u32_b32 v2, v2, 0
	ds_store_b32 v97, v2
.LBB1465_587:                           ;   in Loop: Header=BB1465_571 Depth=2
	s_or_b32 exec_lo, exec_lo, s17
	v_cmp_lt_i32_e32 vcc_lo, -1, v3
	; wave barrier
	v_cndmask_b32_e64 v2, -1, 0x80000000, vcc_lo
	s_delay_alu instid0(VALU_DEP_1) | instskip(NEXT) | instid1(VALU_DEP_1)
	v_xor_b32_e32 v30, v2, v3
	v_cmp_ne_u32_e32 vcc_lo, 0x7fffffff, v30
	v_cndmask_b32_e32 v2, 0x80000000, v30, vcc_lo
	s_delay_alu instid0(VALU_DEP_1) | instskip(NEXT) | instid1(VALU_DEP_1)
	v_lshrrev_b32_e32 v2, s57, v2
	v_and_b32_e32 v2, s30, v2
	s_delay_alu instid0(VALU_DEP_1)
	v_and_b32_e32 v3, 1, v2
	v_lshlrev_b32_e32 v98, 30, v2
	v_lshlrev_b32_e32 v99, 29, v2
	;; [unrolled: 1-line block ×4, first 2 shown]
	v_add_co_u32 v3, s17, v3, -1
	s_delay_alu instid0(VALU_DEP_1)
	v_cndmask_b32_e64 v101, 0, 1, s17
	v_not_b32_e32 v105, v98
	v_cmp_gt_i32_e64 s17, 0, v98
	v_not_b32_e32 v98, v99
	v_lshlrev_b32_e32 v103, 26, v2
	v_cmp_ne_u32_e32 vcc_lo, 0, v101
	v_ashrrev_i32_e32 v105, 31, v105
	v_lshlrev_b32_e32 v104, 25, v2
	v_ashrrev_i32_e32 v98, 31, v98
	v_lshlrev_b32_e32 v101, 24, v2
	v_xor_b32_e32 v3, vcc_lo, v3
	v_cmp_gt_i32_e32 vcc_lo, 0, v99
	v_not_b32_e32 v99, v100
	v_xor_b32_e32 v105, s17, v105
	v_cmp_gt_i32_e64 s17, 0, v100
	v_and_b32_e32 v3, exec_lo, v3
	v_not_b32_e32 v100, v102
	v_ashrrev_i32_e32 v99, 31, v99
	v_xor_b32_e32 v98, vcc_lo, v98
	v_cmp_gt_i32_e32 vcc_lo, 0, v102
	v_and_b32_e32 v3, v3, v105
	v_not_b32_e32 v102, v103
	v_ashrrev_i32_e32 v100, 31, v100
	v_xor_b32_e32 v99, s17, v99
	v_cmp_gt_i32_e64 s17, 0, v103
	v_and_b32_e32 v3, v3, v98
	v_not_b32_e32 v98, v104
	v_ashrrev_i32_e32 v102, 31, v102
	v_xor_b32_e32 v100, vcc_lo, v100
	v_cmp_gt_i32_e32 vcc_lo, 0, v104
	v_and_b32_e32 v3, v3, v99
	v_not_b32_e32 v99, v101
	v_ashrrev_i32_e32 v98, 31, v98
	v_xor_b32_e32 v102, s17, v102
	v_mul_u32_u24_e32 v2, 9, v2
	v_and_b32_e32 v3, v3, v100
	v_cmp_gt_i32_e64 s17, 0, v101
	v_ashrrev_i32_e32 v99, 31, v99
	v_xor_b32_e32 v98, vcc_lo, v98
	v_add_lshl_u32 v100, v2, v86, 2
	v_and_b32_e32 v3, v3, v102
	s_delay_alu instid0(VALU_DEP_4) | instskip(NEXT) | instid1(VALU_DEP_3)
	v_xor_b32_e32 v2, s17, v99
	v_add_nc_u32_e32 v101, 0x420, v100
	s_delay_alu instid0(VALU_DEP_3) | instskip(SKIP_2) | instid1(VALU_DEP_1)
	v_and_b32_e32 v3, v3, v98
	ds_load_b32 v98, v100 offset:1056
	; wave barrier
	v_and_b32_e32 v2, v3, v2
	v_mbcnt_lo_u32_b32 v99, v2, 0
	v_cmp_ne_u32_e64 s17, 0, v2
	s_delay_alu instid0(VALU_DEP_2) | instskip(NEXT) | instid1(VALU_DEP_2)
	v_cmp_eq_u32_e32 vcc_lo, 0, v99
	s_and_b32 s18, s17, vcc_lo
	s_delay_alu instid0(SALU_CYCLE_1)
	s_and_saveexec_b32 s17, s18
	s_cbranch_execz .LBB1465_589
; %bb.588:                              ;   in Loop: Header=BB1465_571 Depth=2
	s_waitcnt lgkmcnt(0)
	v_bcnt_u32_b32 v2, v2, v98
	ds_store_b32 v101, v2
.LBB1465_589:                           ;   in Loop: Header=BB1465_571 Depth=2
	s_or_b32 exec_lo, exec_lo, s17
	v_cmp_lt_i32_e32 vcc_lo, -1, v4
	; wave barrier
	v_cndmask_b32_e64 v2, -1, 0x80000000, vcc_lo
	s_delay_alu instid0(VALU_DEP_1) | instskip(NEXT) | instid1(VALU_DEP_1)
	v_xor_b32_e32 v100, v2, v4
	v_cmp_ne_u32_e32 vcc_lo, 0x7fffffff, v100
	v_cndmask_b32_e32 v2, 0x80000000, v100, vcc_lo
	s_delay_alu instid0(VALU_DEP_1) | instskip(NEXT) | instid1(VALU_DEP_1)
	v_lshrrev_b32_e32 v2, s57, v2
	v_and_b32_e32 v2, s30, v2
	s_delay_alu instid0(VALU_DEP_1)
	v_and_b32_e32 v3, 1, v2
	v_lshlrev_b32_e32 v4, 30, v2
	v_lshlrev_b32_e32 v102, 29, v2
	v_lshlrev_b32_e32 v103, 28, v2
	v_lshlrev_b32_e32 v105, 27, v2
	v_add_co_u32 v3, s17, v3, -1
	s_delay_alu instid0(VALU_DEP_1)
	v_cndmask_b32_e64 v104, 0, 1, s17
	v_not_b32_e32 v108, v4
	v_cmp_gt_i32_e64 s17, 0, v4
	v_not_b32_e32 v4, v102
	v_lshlrev_b32_e32 v106, 26, v2
	v_cmp_ne_u32_e32 vcc_lo, 0, v104
	v_ashrrev_i32_e32 v108, 31, v108
	v_lshlrev_b32_e32 v107, 25, v2
	v_ashrrev_i32_e32 v4, 31, v4
	v_lshlrev_b32_e32 v104, 24, v2
	v_xor_b32_e32 v3, vcc_lo, v3
	v_cmp_gt_i32_e32 vcc_lo, 0, v102
	v_not_b32_e32 v102, v103
	v_xor_b32_e32 v108, s17, v108
	v_cmp_gt_i32_e64 s17, 0, v103
	v_and_b32_e32 v3, exec_lo, v3
	v_not_b32_e32 v103, v105
	v_ashrrev_i32_e32 v102, 31, v102
	v_xor_b32_e32 v4, vcc_lo, v4
	v_cmp_gt_i32_e32 vcc_lo, 0, v105
	v_and_b32_e32 v3, v3, v108
	v_not_b32_e32 v105, v106
	v_ashrrev_i32_e32 v103, 31, v103
	v_xor_b32_e32 v102, s17, v102
	v_cmp_gt_i32_e64 s17, 0, v106
	v_and_b32_e32 v3, v3, v4
	v_not_b32_e32 v4, v107
	v_ashrrev_i32_e32 v105, 31, v105
	v_xor_b32_e32 v103, vcc_lo, v103
	v_cmp_gt_i32_e32 vcc_lo, 0, v107
	v_and_b32_e32 v3, v3, v102
	v_not_b32_e32 v102, v104
	v_ashrrev_i32_e32 v4, 31, v4
	v_xor_b32_e32 v105, s17, v105
	v_mul_u32_u24_e32 v2, 9, v2
	v_and_b32_e32 v3, v3, v103
	v_cmp_gt_i32_e64 s17, 0, v104
	v_ashrrev_i32_e32 v102, 31, v102
	v_xor_b32_e32 v4, vcc_lo, v4
	v_add_lshl_u32 v103, v2, v86, 2
	v_and_b32_e32 v3, v3, v105
	s_delay_alu instid0(VALU_DEP_4) | instskip(SKIP_3) | instid1(VALU_DEP_2)
	v_xor_b32_e32 v2, s17, v102
	ds_load_b32 v102, v103 offset:1056
	v_and_b32_e32 v3, v3, v4
	v_add_nc_u32_e32 v105, 0x420, v103
	; wave barrier
	v_and_b32_e32 v2, v3, v2
	s_delay_alu instid0(VALU_DEP_1) | instskip(SKIP_1) | instid1(VALU_DEP_2)
	v_mbcnt_lo_u32_b32 v104, v2, 0
	v_cmp_ne_u32_e64 s17, 0, v2
	v_cmp_eq_u32_e32 vcc_lo, 0, v104
	s_delay_alu instid0(VALU_DEP_2) | instskip(NEXT) | instid1(SALU_CYCLE_1)
	s_and_b32 s18, s17, vcc_lo
	s_and_saveexec_b32 s17, s18
	s_cbranch_execz .LBB1465_591
; %bb.590:                              ;   in Loop: Header=BB1465_571 Depth=2
	s_waitcnt lgkmcnt(0)
	v_bcnt_u32_b32 v2, v2, v102
	ds_store_b32 v105, v2
.LBB1465_591:                           ;   in Loop: Header=BB1465_571 Depth=2
	s_or_b32 exec_lo, exec_lo, s17
	v_cmp_lt_i32_e32 vcc_lo, -1, v5
	; wave barrier
	v_cndmask_b32_e64 v2, -1, 0x80000000, vcc_lo
	s_delay_alu instid0(VALU_DEP_1) | instskip(NEXT) | instid1(VALU_DEP_1)
	v_xor_b32_e32 v103, v2, v5
	v_cmp_ne_u32_e32 vcc_lo, 0x7fffffff, v103
	v_cndmask_b32_e32 v2, 0x80000000, v103, vcc_lo
	s_delay_alu instid0(VALU_DEP_1) | instskip(NEXT) | instid1(VALU_DEP_1)
	v_lshrrev_b32_e32 v2, s57, v2
	v_and_b32_e32 v2, s30, v2
	s_delay_alu instid0(VALU_DEP_1)
	v_and_b32_e32 v3, 1, v2
	v_lshlrev_b32_e32 v4, 30, v2
	v_lshlrev_b32_e32 v5, 29, v2
	v_lshlrev_b32_e32 v106, 28, v2
	v_lshlrev_b32_e32 v108, 27, v2
	v_add_co_u32 v3, s17, v3, -1
	s_delay_alu instid0(VALU_DEP_1)
	v_cndmask_b32_e64 v107, 0, 1, s17
	v_not_b32_e32 v111, v4
	v_cmp_gt_i32_e64 s17, 0, v4
	v_not_b32_e32 v4, v5
	v_lshlrev_b32_e32 v109, 26, v2
	v_cmp_ne_u32_e32 vcc_lo, 0, v107
	v_ashrrev_i32_e32 v111, 31, v111
	v_lshlrev_b32_e32 v110, 25, v2
	v_ashrrev_i32_e32 v4, 31, v4
	v_lshlrev_b32_e32 v107, 24, v2
	v_xor_b32_e32 v3, vcc_lo, v3
	v_cmp_gt_i32_e32 vcc_lo, 0, v5
	v_not_b32_e32 v5, v106
	v_xor_b32_e32 v111, s17, v111
	v_cmp_gt_i32_e64 s17, 0, v106
	v_and_b32_e32 v3, exec_lo, v3
	v_not_b32_e32 v106, v108
	v_ashrrev_i32_e32 v5, 31, v5
	v_xor_b32_e32 v4, vcc_lo, v4
	v_cmp_gt_i32_e32 vcc_lo, 0, v108
	v_and_b32_e32 v3, v3, v111
	v_not_b32_e32 v108, v109
	v_ashrrev_i32_e32 v106, 31, v106
	v_xor_b32_e32 v5, s17, v5
	v_cmp_gt_i32_e64 s17, 0, v109
	v_and_b32_e32 v3, v3, v4
	v_not_b32_e32 v4, v110
	v_ashrrev_i32_e32 v108, 31, v108
	v_xor_b32_e32 v106, vcc_lo, v106
	v_cmp_gt_i32_e32 vcc_lo, 0, v110
	v_and_b32_e32 v3, v3, v5
	v_not_b32_e32 v5, v107
	v_ashrrev_i32_e32 v4, 31, v4
	v_xor_b32_e32 v108, s17, v108
	v_mul_u32_u24_e32 v2, 9, v2
	v_and_b32_e32 v3, v3, v106
	v_cmp_gt_i32_e64 s17, 0, v107
	v_ashrrev_i32_e32 v5, 31, v5
	v_xor_b32_e32 v4, vcc_lo, v4
	v_add_lshl_u32 v106, v2, v86, 2
	v_and_b32_e32 v3, v3, v108
	s_delay_alu instid0(VALU_DEP_4) | instskip(SKIP_3) | instid1(VALU_DEP_2)
	v_xor_b32_e32 v2, s17, v5
	ds_load_b32 v107, v106 offset:1056
	v_and_b32_e32 v3, v3, v4
	v_add_nc_u32_e32 v109, 0x420, v106
	; wave barrier
	v_and_b32_e32 v2, v3, v2
	s_delay_alu instid0(VALU_DEP_1) | instskip(SKIP_1) | instid1(VALU_DEP_2)
	v_mbcnt_lo_u32_b32 v108, v2, 0
	v_cmp_ne_u32_e64 s17, 0, v2
	v_cmp_eq_u32_e32 vcc_lo, 0, v108
	s_delay_alu instid0(VALU_DEP_2) | instskip(NEXT) | instid1(SALU_CYCLE_1)
	s_and_b32 s18, s17, vcc_lo
	s_and_saveexec_b32 s17, s18
	s_cbranch_execz .LBB1465_593
; %bb.592:                              ;   in Loop: Header=BB1465_571 Depth=2
	s_waitcnt lgkmcnt(0)
	v_bcnt_u32_b32 v2, v2, v107
	ds_store_b32 v109, v2
.LBB1465_593:                           ;   in Loop: Header=BB1465_571 Depth=2
	s_or_b32 exec_lo, exec_lo, s17
	v_cmp_lt_i32_e32 vcc_lo, -1, v6
	; wave barrier
	v_cndmask_b32_e64 v2, -1, 0x80000000, vcc_lo
	s_delay_alu instid0(VALU_DEP_1) | instskip(NEXT) | instid1(VALU_DEP_1)
	v_xor_b32_e32 v106, v2, v6
	v_cmp_ne_u32_e32 vcc_lo, 0x7fffffff, v106
	v_cndmask_b32_e32 v2, 0x80000000, v106, vcc_lo
	s_delay_alu instid0(VALU_DEP_1) | instskip(NEXT) | instid1(VALU_DEP_1)
	v_lshrrev_b32_e32 v2, s57, v2
	v_and_b32_e32 v2, s30, v2
	s_delay_alu instid0(VALU_DEP_1)
	v_and_b32_e32 v3, 1, v2
	v_lshlrev_b32_e32 v4, 30, v2
	v_lshlrev_b32_e32 v5, 29, v2
	;; [unrolled: 1-line block ×4, first 2 shown]
	v_add_co_u32 v3, s17, v3, -1
	s_delay_alu instid0(VALU_DEP_1)
	v_cndmask_b32_e64 v110, 0, 1, s17
	v_not_b32_e32 v114, v4
	v_cmp_gt_i32_e64 s17, 0, v4
	v_not_b32_e32 v4, v5
	v_lshlrev_b32_e32 v112, 26, v2
	v_cmp_ne_u32_e32 vcc_lo, 0, v110
	v_ashrrev_i32_e32 v114, 31, v114
	v_lshlrev_b32_e32 v113, 25, v2
	v_ashrrev_i32_e32 v4, 31, v4
	v_lshlrev_b32_e32 v110, 24, v2
	v_xor_b32_e32 v3, vcc_lo, v3
	v_cmp_gt_i32_e32 vcc_lo, 0, v5
	v_not_b32_e32 v5, v6
	v_xor_b32_e32 v114, s17, v114
	v_cmp_gt_i32_e64 s17, 0, v6
	v_and_b32_e32 v3, exec_lo, v3
	v_not_b32_e32 v6, v111
	v_ashrrev_i32_e32 v5, 31, v5
	v_xor_b32_e32 v4, vcc_lo, v4
	v_cmp_gt_i32_e32 vcc_lo, 0, v111
	v_and_b32_e32 v3, v3, v114
	v_not_b32_e32 v111, v112
	v_ashrrev_i32_e32 v6, 31, v6
	v_xor_b32_e32 v5, s17, v5
	v_cmp_gt_i32_e64 s17, 0, v112
	v_and_b32_e32 v3, v3, v4
	v_not_b32_e32 v4, v113
	v_ashrrev_i32_e32 v111, 31, v111
	v_xor_b32_e32 v6, vcc_lo, v6
	v_cmp_gt_i32_e32 vcc_lo, 0, v113
	v_and_b32_e32 v3, v3, v5
	v_not_b32_e32 v5, v110
	v_ashrrev_i32_e32 v4, 31, v4
	v_xor_b32_e32 v111, s17, v111
	v_mul_u32_u24_e32 v2, 9, v2
	v_and_b32_e32 v3, v3, v6
	v_cmp_gt_i32_e64 s17, 0, v110
	v_ashrrev_i32_e32 v5, 31, v5
	v_xor_b32_e32 v4, vcc_lo, v4
	v_add_lshl_u32 v6, v2, v86, 2
	v_and_b32_e32 v3, v3, v111
	s_delay_alu instid0(VALU_DEP_4) | instskip(SKIP_3) | instid1(VALU_DEP_2)
	v_xor_b32_e32 v2, s17, v5
	ds_load_b32 v111, v6 offset:1056
	v_and_b32_e32 v3, v3, v4
	v_add_nc_u32_e32 v113, 0x420, v6
	; wave barrier
	v_and_b32_e32 v2, v3, v2
	s_delay_alu instid0(VALU_DEP_1) | instskip(SKIP_1) | instid1(VALU_DEP_2)
	v_mbcnt_lo_u32_b32 v112, v2, 0
	v_cmp_ne_u32_e64 s17, 0, v2
	v_cmp_eq_u32_e32 vcc_lo, 0, v112
	s_delay_alu instid0(VALU_DEP_2) | instskip(NEXT) | instid1(SALU_CYCLE_1)
	s_and_b32 s18, s17, vcc_lo
	s_and_saveexec_b32 s17, s18
	s_cbranch_execz .LBB1465_595
; %bb.594:                              ;   in Loop: Header=BB1465_571 Depth=2
	s_waitcnt lgkmcnt(0)
	v_bcnt_u32_b32 v2, v2, v111
	ds_store_b32 v113, v2
.LBB1465_595:                           ;   in Loop: Header=BB1465_571 Depth=2
	s_or_b32 exec_lo, exec_lo, s17
	v_cmp_lt_i32_e32 vcc_lo, -1, v7
	; wave barrier
	v_cndmask_b32_e64 v2, -1, 0x80000000, vcc_lo
	s_delay_alu instid0(VALU_DEP_1) | instskip(NEXT) | instid1(VALU_DEP_1)
	v_xor_b32_e32 v110, v2, v7
	v_cmp_ne_u32_e32 vcc_lo, 0x7fffffff, v110
	v_cndmask_b32_e32 v2, 0x80000000, v110, vcc_lo
	s_delay_alu instid0(VALU_DEP_1) | instskip(NEXT) | instid1(VALU_DEP_1)
	v_lshrrev_b32_e32 v2, s57, v2
	v_and_b32_e32 v2, s30, v2
	s_delay_alu instid0(VALU_DEP_1)
	v_and_b32_e32 v3, 1, v2
	v_lshlrev_b32_e32 v4, 30, v2
	v_lshlrev_b32_e32 v5, 29, v2
	;; [unrolled: 1-line block ×4, first 2 shown]
	v_add_co_u32 v3, s17, v3, -1
	s_delay_alu instid0(VALU_DEP_1)
	v_cndmask_b32_e64 v7, 0, 1, s17
	v_not_b32_e32 v117, v4
	v_cmp_gt_i32_e64 s17, 0, v4
	v_not_b32_e32 v4, v5
	v_lshlrev_b32_e32 v115, 26, v2
	v_cmp_ne_u32_e32 vcc_lo, 0, v7
	v_ashrrev_i32_e32 v117, 31, v117
	v_lshlrev_b32_e32 v116, 25, v2
	v_ashrrev_i32_e32 v4, 31, v4
	v_lshlrev_b32_e32 v7, 24, v2
	v_xor_b32_e32 v3, vcc_lo, v3
	v_cmp_gt_i32_e32 vcc_lo, 0, v5
	v_not_b32_e32 v5, v6
	v_xor_b32_e32 v117, s17, v117
	v_cmp_gt_i32_e64 s17, 0, v6
	v_and_b32_e32 v3, exec_lo, v3
	v_not_b32_e32 v6, v114
	v_ashrrev_i32_e32 v5, 31, v5
	v_xor_b32_e32 v4, vcc_lo, v4
	v_cmp_gt_i32_e32 vcc_lo, 0, v114
	v_and_b32_e32 v3, v3, v117
	v_not_b32_e32 v114, v115
	v_ashrrev_i32_e32 v6, 31, v6
	v_xor_b32_e32 v5, s17, v5
	v_cmp_gt_i32_e64 s17, 0, v115
	v_and_b32_e32 v3, v3, v4
	v_not_b32_e32 v4, v116
	v_ashrrev_i32_e32 v114, 31, v114
	v_xor_b32_e32 v6, vcc_lo, v6
	v_cmp_gt_i32_e32 vcc_lo, 0, v116
	v_and_b32_e32 v3, v3, v5
	v_not_b32_e32 v5, v7
	v_ashrrev_i32_e32 v4, 31, v4
	v_xor_b32_e32 v114, s17, v114
	v_mul_u32_u24_e32 v2, 9, v2
	v_and_b32_e32 v3, v3, v6
	v_cmp_gt_i32_e64 s17, 0, v7
	v_ashrrev_i32_e32 v5, 31, v5
	v_xor_b32_e32 v4, vcc_lo, v4
	v_add_lshl_u32 v6, v2, v86, 2
	v_and_b32_e32 v3, v3, v114
	s_delay_alu instid0(VALU_DEP_4) | instskip(SKIP_3) | instid1(VALU_DEP_2)
	v_xor_b32_e32 v2, s17, v5
	ds_load_b32 v115, v6 offset:1056
	v_and_b32_e32 v3, v3, v4
	v_add_nc_u32_e32 v117, 0x420, v6
	; wave barrier
	v_and_b32_e32 v2, v3, v2
	s_delay_alu instid0(VALU_DEP_1) | instskip(SKIP_1) | instid1(VALU_DEP_2)
	v_mbcnt_lo_u32_b32 v116, v2, 0
	v_cmp_ne_u32_e64 s17, 0, v2
	v_cmp_eq_u32_e32 vcc_lo, 0, v116
	s_delay_alu instid0(VALU_DEP_2) | instskip(NEXT) | instid1(SALU_CYCLE_1)
	s_and_b32 s18, s17, vcc_lo
	s_and_saveexec_b32 s17, s18
	s_cbranch_execz .LBB1465_597
; %bb.596:                              ;   in Loop: Header=BB1465_571 Depth=2
	s_waitcnt lgkmcnt(0)
	v_bcnt_u32_b32 v2, v2, v115
	ds_store_b32 v117, v2
.LBB1465_597:                           ;   in Loop: Header=BB1465_571 Depth=2
	s_or_b32 exec_lo, exec_lo, s17
	v_cmp_lt_i32_e32 vcc_lo, -1, v8
	; wave barrier
	v_cndmask_b32_e64 v2, -1, 0x80000000, vcc_lo
	s_delay_alu instid0(VALU_DEP_1) | instskip(NEXT) | instid1(VALU_DEP_1)
	v_xor_b32_e32 v114, v2, v8
	v_cmp_ne_u32_e32 vcc_lo, 0x7fffffff, v114
	v_cndmask_b32_e32 v2, 0x80000000, v114, vcc_lo
	s_delay_alu instid0(VALU_DEP_1) | instskip(NEXT) | instid1(VALU_DEP_1)
	v_lshrrev_b32_e32 v2, s57, v2
	v_and_b32_e32 v2, s30, v2
	s_delay_alu instid0(VALU_DEP_1)
	v_and_b32_e32 v3, 1, v2
	v_lshlrev_b32_e32 v4, 30, v2
	v_lshlrev_b32_e32 v5, 29, v2
	;; [unrolled: 1-line block ×4, first 2 shown]
	v_add_co_u32 v3, s17, v3, -1
	s_delay_alu instid0(VALU_DEP_1)
	v_cndmask_b32_e64 v7, 0, 1, s17
	v_not_b32_e32 v120, v4
	v_cmp_gt_i32_e64 s17, 0, v4
	v_not_b32_e32 v4, v5
	v_lshlrev_b32_e32 v118, 26, v2
	v_cmp_ne_u32_e32 vcc_lo, 0, v7
	v_ashrrev_i32_e32 v120, 31, v120
	v_lshlrev_b32_e32 v119, 25, v2
	v_ashrrev_i32_e32 v4, 31, v4
	v_lshlrev_b32_e32 v7, 24, v2
	v_xor_b32_e32 v3, vcc_lo, v3
	v_cmp_gt_i32_e32 vcc_lo, 0, v5
	v_not_b32_e32 v5, v6
	v_xor_b32_e32 v120, s17, v120
	v_cmp_gt_i32_e64 s17, 0, v6
	v_and_b32_e32 v3, exec_lo, v3
	v_not_b32_e32 v6, v8
	v_ashrrev_i32_e32 v5, 31, v5
	v_xor_b32_e32 v4, vcc_lo, v4
	v_cmp_gt_i32_e32 vcc_lo, 0, v8
	v_and_b32_e32 v3, v3, v120
	v_not_b32_e32 v8, v118
	v_ashrrev_i32_e32 v6, 31, v6
	v_xor_b32_e32 v5, s17, v5
	v_cmp_gt_i32_e64 s17, 0, v118
	v_and_b32_e32 v3, v3, v4
	v_not_b32_e32 v4, v119
	v_ashrrev_i32_e32 v8, 31, v8
	v_xor_b32_e32 v6, vcc_lo, v6
	v_cmp_gt_i32_e32 vcc_lo, 0, v119
	v_and_b32_e32 v3, v3, v5
	v_not_b32_e32 v5, v7
	v_ashrrev_i32_e32 v4, 31, v4
	v_xor_b32_e32 v8, s17, v8
	v_mul_u32_u24_e32 v2, 9, v2
	v_and_b32_e32 v3, v3, v6
	v_cmp_gt_i32_e64 s17, 0, v7
	v_ashrrev_i32_e32 v5, 31, v5
	v_xor_b32_e32 v4, vcc_lo, v4
	v_add_lshl_u32 v6, v2, v86, 2
	v_and_b32_e32 v3, v3, v8
	s_delay_alu instid0(VALU_DEP_4) | instskip(SKIP_3) | instid1(VALU_DEP_2)
	v_xor_b32_e32 v2, s17, v5
	ds_load_b32 v119, v6 offset:1056
	v_and_b32_e32 v3, v3, v4
	v_add_nc_u32_e32 v121, 0x420, v6
	; wave barrier
	v_and_b32_e32 v2, v3, v2
	s_delay_alu instid0(VALU_DEP_1) | instskip(SKIP_1) | instid1(VALU_DEP_2)
	v_mbcnt_lo_u32_b32 v120, v2, 0
	v_cmp_ne_u32_e64 s17, 0, v2
	v_cmp_eq_u32_e32 vcc_lo, 0, v120
	s_delay_alu instid0(VALU_DEP_2) | instskip(NEXT) | instid1(SALU_CYCLE_1)
	s_and_b32 s18, s17, vcc_lo
	s_and_saveexec_b32 s17, s18
	s_cbranch_execz .LBB1465_599
; %bb.598:                              ;   in Loop: Header=BB1465_571 Depth=2
	s_waitcnt lgkmcnt(0)
	v_bcnt_u32_b32 v2, v2, v119
	ds_store_b32 v121, v2
.LBB1465_599:                           ;   in Loop: Header=BB1465_571 Depth=2
	s_or_b32 exec_lo, exec_lo, s17
	v_cmp_lt_i32_e32 vcc_lo, -1, v9
	; wave barrier
	v_cndmask_b32_e64 v2, -1, 0x80000000, vcc_lo
	s_delay_alu instid0(VALU_DEP_1) | instskip(NEXT) | instid1(VALU_DEP_1)
	v_xor_b32_e32 v118, v2, v9
	v_cmp_ne_u32_e32 vcc_lo, 0x7fffffff, v118
	v_cndmask_b32_e32 v2, 0x80000000, v118, vcc_lo
	s_delay_alu instid0(VALU_DEP_1) | instskip(NEXT) | instid1(VALU_DEP_1)
	v_lshrrev_b32_e32 v2, s57, v2
	v_and_b32_e32 v2, s30, v2
	s_delay_alu instid0(VALU_DEP_1)
	v_and_b32_e32 v3, 1, v2
	v_lshlrev_b32_e32 v4, 30, v2
	v_lshlrev_b32_e32 v5, 29, v2
	;; [unrolled: 1-line block ×4, first 2 shown]
	v_add_co_u32 v3, s17, v3, -1
	s_delay_alu instid0(VALU_DEP_1)
	v_cndmask_b32_e64 v7, 0, 1, s17
	v_not_b32_e32 v123, v4
	v_cmp_gt_i32_e64 s17, 0, v4
	v_not_b32_e32 v4, v5
	v_lshlrev_b32_e32 v9, 26, v2
	v_cmp_ne_u32_e32 vcc_lo, 0, v7
	v_ashrrev_i32_e32 v123, 31, v123
	v_lshlrev_b32_e32 v122, 25, v2
	v_ashrrev_i32_e32 v4, 31, v4
	v_lshlrev_b32_e32 v7, 24, v2
	v_xor_b32_e32 v3, vcc_lo, v3
	v_cmp_gt_i32_e32 vcc_lo, 0, v5
	v_not_b32_e32 v5, v6
	v_xor_b32_e32 v123, s17, v123
	v_cmp_gt_i32_e64 s17, 0, v6
	v_and_b32_e32 v3, exec_lo, v3
	v_not_b32_e32 v6, v8
	v_ashrrev_i32_e32 v5, 31, v5
	v_xor_b32_e32 v4, vcc_lo, v4
	v_cmp_gt_i32_e32 vcc_lo, 0, v8
	v_and_b32_e32 v3, v3, v123
	v_not_b32_e32 v8, v9
	v_ashrrev_i32_e32 v6, 31, v6
	v_xor_b32_e32 v5, s17, v5
	v_cmp_gt_i32_e64 s17, 0, v9
	v_and_b32_e32 v3, v3, v4
	v_not_b32_e32 v4, v122
	v_ashrrev_i32_e32 v8, 31, v8
	v_xor_b32_e32 v6, vcc_lo, v6
	v_cmp_gt_i32_e32 vcc_lo, 0, v122
	v_and_b32_e32 v3, v3, v5
	v_not_b32_e32 v5, v7
	v_ashrrev_i32_e32 v4, 31, v4
	v_xor_b32_e32 v8, s17, v8
	v_mul_u32_u24_e32 v2, 9, v2
	v_and_b32_e32 v3, v3, v6
	v_cmp_gt_i32_e64 s17, 0, v7
	v_ashrrev_i32_e32 v5, 31, v5
	v_xor_b32_e32 v4, vcc_lo, v4
	v_add_lshl_u32 v6, v2, v86, 2
	v_and_b32_e32 v3, v3, v8
	s_delay_alu instid0(VALU_DEP_4) | instskip(SKIP_3) | instid1(VALU_DEP_2)
	v_xor_b32_e32 v2, s17, v5
	ds_load_b32 v122, v6 offset:1056
	v_and_b32_e32 v3, v3, v4
	v_add_nc_u32_e32 v124, 0x420, v6
	; wave barrier
	v_and_b32_e32 v2, v3, v2
	s_delay_alu instid0(VALU_DEP_1) | instskip(SKIP_1) | instid1(VALU_DEP_2)
	v_mbcnt_lo_u32_b32 v123, v2, 0
	v_cmp_ne_u32_e64 s17, 0, v2
	v_cmp_eq_u32_e32 vcc_lo, 0, v123
	s_delay_alu instid0(VALU_DEP_2) | instskip(NEXT) | instid1(SALU_CYCLE_1)
	s_and_b32 s18, s17, vcc_lo
	s_and_saveexec_b32 s17, s18
	s_cbranch_execz .LBB1465_601
; %bb.600:                              ;   in Loop: Header=BB1465_571 Depth=2
	s_waitcnt lgkmcnt(0)
	v_bcnt_u32_b32 v2, v2, v122
	ds_store_b32 v124, v2
.LBB1465_601:                           ;   in Loop: Header=BB1465_571 Depth=2
	s_or_b32 exec_lo, exec_lo, s17
	; wave barrier
	s_waitcnt lgkmcnt(0)
	s_barrier
	buffer_gl0_inv
	ds_load_b32 v125, v49 offset:1056
	ds_load_2addr_b32 v[8:9], v51 offset0:1 offset1:2
	ds_load_2addr_b32 v[6:7], v51 offset0:3 offset1:4
	ds_load_2addr_b32 v[2:3], v51 offset0:5 offset1:6
	ds_load_2addr_b32 v[4:5], v51 offset0:7 offset1:8
	s_waitcnt lgkmcnt(3)
	v_add3_u32 v126, v8, v125, v9
	s_waitcnt lgkmcnt(2)
	s_delay_alu instid0(VALU_DEP_1) | instskip(SKIP_1) | instid1(VALU_DEP_1)
	v_add3_u32 v126, v126, v6, v7
	s_waitcnt lgkmcnt(1)
	v_add3_u32 v126, v126, v2, v3
	s_waitcnt lgkmcnt(0)
	s_delay_alu instid0(VALU_DEP_1) | instskip(NEXT) | instid1(VALU_DEP_1)
	v_add3_u32 v5, v126, v4, v5
	v_mov_b32_dpp v126, v5 row_shr:1 row_mask:0xf bank_mask:0xf
	s_delay_alu instid0(VALU_DEP_1) | instskip(NEXT) | instid1(VALU_DEP_1)
	v_cndmask_b32_e64 v126, v126, 0, s1
	v_add_nc_u32_e32 v5, v126, v5
	s_delay_alu instid0(VALU_DEP_1) | instskip(NEXT) | instid1(VALU_DEP_1)
	v_mov_b32_dpp v126, v5 row_shr:2 row_mask:0xf bank_mask:0xf
	v_cndmask_b32_e64 v126, 0, v126, s7
	s_delay_alu instid0(VALU_DEP_1) | instskip(NEXT) | instid1(VALU_DEP_1)
	v_add_nc_u32_e32 v5, v5, v126
	v_mov_b32_dpp v126, v5 row_shr:4 row_mask:0xf bank_mask:0xf
	s_delay_alu instid0(VALU_DEP_1) | instskip(NEXT) | instid1(VALU_DEP_1)
	v_cndmask_b32_e64 v126, 0, v126, s8
	v_add_nc_u32_e32 v5, v5, v126
	s_delay_alu instid0(VALU_DEP_1) | instskip(NEXT) | instid1(VALU_DEP_1)
	v_mov_b32_dpp v126, v5 row_shr:8 row_mask:0xf bank_mask:0xf
	v_cndmask_b32_e64 v126, 0, v126, s9
	s_delay_alu instid0(VALU_DEP_1) | instskip(SKIP_3) | instid1(VALU_DEP_1)
	v_add_nc_u32_e32 v5, v5, v126
	ds_swizzle_b32 v126, v5 offset:swizzle(BROADCAST,32,15)
	s_waitcnt lgkmcnt(0)
	v_cndmask_b32_e64 v126, v126, 0, s10
	v_add_nc_u32_e32 v5, v5, v126
	s_and_saveexec_b32 s17, s3
	s_cbranch_execz .LBB1465_603
; %bb.602:                              ;   in Loop: Header=BB1465_571 Depth=2
	ds_store_b32 v41, v5 offset:1024
.LBB1465_603:                           ;   in Loop: Header=BB1465_571 Depth=2
	s_or_b32 exec_lo, exec_lo, s17
	s_waitcnt lgkmcnt(0)
	s_barrier
	buffer_gl0_inv
	s_and_saveexec_b32 s17, s4
	s_cbranch_execz .LBB1465_605
; %bb.604:                              ;   in Loop: Header=BB1465_571 Depth=2
	ds_load_b32 v126, v52 offset:1024
	s_waitcnt lgkmcnt(0)
	v_mov_b32_dpp v127, v126 row_shr:1 row_mask:0xf bank_mask:0xf
	s_delay_alu instid0(VALU_DEP_1) | instskip(NEXT) | instid1(VALU_DEP_1)
	v_cndmask_b32_e64 v127, v127, 0, s12
	v_add_nc_u32_e32 v126, v127, v126
	s_delay_alu instid0(VALU_DEP_1) | instskip(NEXT) | instid1(VALU_DEP_1)
	v_mov_b32_dpp v127, v126 row_shr:2 row_mask:0xf bank_mask:0xf
	v_cndmask_b32_e64 v127, 0, v127, s13
	s_delay_alu instid0(VALU_DEP_1) | instskip(NEXT) | instid1(VALU_DEP_1)
	v_add_nc_u32_e32 v126, v126, v127
	v_mov_b32_dpp v127, v126 row_shr:4 row_mask:0xf bank_mask:0xf
	s_delay_alu instid0(VALU_DEP_1) | instskip(NEXT) | instid1(VALU_DEP_1)
	v_cndmask_b32_e64 v127, 0, v127, s16
	v_add_nc_u32_e32 v126, v126, v127
	ds_store_b32 v52, v126 offset:1024
.LBB1465_605:                           ;   in Loop: Header=BB1465_571 Depth=2
	s_or_b32 exec_lo, exec_lo, s17
	v_mov_b32_e32 v126, 0
	s_waitcnt lgkmcnt(0)
	s_barrier
	buffer_gl0_inv
	s_and_saveexec_b32 s17, s5
	s_cbranch_execz .LBB1465_607
; %bb.606:                              ;   in Loop: Header=BB1465_571 Depth=2
	ds_load_b32 v126, v41 offset:1020
.LBB1465_607:                           ;   in Loop: Header=BB1465_571 Depth=2
	s_or_b32 exec_lo, exec_lo, s17
	s_waitcnt lgkmcnt(0)
	v_add_nc_u32_e32 v5, v126, v5
	ds_bpermute_b32 v5, v73, v5
	s_waitcnt lgkmcnt(0)
	v_cndmask_b32_e64 v5, v5, v126, s11
	s_delay_alu instid0(VALU_DEP_1) | instskip(NEXT) | instid1(VALU_DEP_1)
	v_cndmask_b32_e64 v5, v5, 0, s0
	v_add_nc_u32_e32 v125, v5, v125
	s_delay_alu instid0(VALU_DEP_1) | instskip(NEXT) | instid1(VALU_DEP_1)
	v_add_nc_u32_e32 v8, v125, v8
	v_add_nc_u32_e32 v9, v8, v9
	s_delay_alu instid0(VALU_DEP_1) | instskip(NEXT) | instid1(VALU_DEP_1)
	v_add_nc_u32_e32 v6, v9, v6
	;; [unrolled: 3-line block ×3, first 2 shown]
	v_add_nc_u32_e32 v3, v2, v3
	s_delay_alu instid0(VALU_DEP_1)
	v_add_nc_u32_e32 v4, v3, v4
	ds_store_b32 v49, v5 offset:1056
	ds_store_2addr_b32 v51, v125, v8 offset0:1 offset1:2
	ds_store_2addr_b32 v51, v9, v6 offset0:3 offset1:4
	;; [unrolled: 1-line block ×4, first 2 shown]
	v_mov_b32_e32 v4, 0x800
	s_waitcnt lgkmcnt(0)
	s_barrier
	buffer_gl0_inv
	ds_load_b32 v5, v101
	ds_load_b32 v6, v105
	;; [unrolled: 1-line block ×8, first 2 shown]
	ds_load_b32 v101, v49 offset:1056
	s_and_saveexec_b32 s17, s6
	s_cbranch_execz .LBB1465_609
; %bb.608:                              ;   in Loop: Header=BB1465_571 Depth=2
	ds_load_b32 v4, v53 offset:1056
.LBB1465_609:                           ;   in Loop: Header=BB1465_571 Depth=2
	s_or_b32 exec_lo, exec_lo, s17
	s_waitcnt lgkmcnt(0)
	s_barrier
	buffer_gl0_inv
	s_and_saveexec_b32 s17, s2
	s_cbranch_execz .LBB1465_611
; %bb.610:                              ;   in Loop: Header=BB1465_571 Depth=2
	ds_load_b32 v105, v31
	s_waitcnt lgkmcnt(0)
	v_sub_nc_u32_e32 v101, v105, v101
	ds_store_b32 v31, v101
.LBB1465_611:                           ;   in Loop: Header=BB1465_571 Depth=2
	s_or_b32 exec_lo, exec_lo, s17
	v_add_nc_u32_e32 v101, v97, v29
	v_add3_u32 v29, v104, v102, v6
	v_add3_u32 v7, v108, v107, v7
	;; [unrolled: 1-line block ×5, first 2 shown]
	v_lshlrev_b32_e32 v98, 2, v101
	v_add3_u32 v8, v120, v119, v3
	v_lshlrev_b32_e32 v3, 2, v29
	v_add3_u32 v9, v123, v122, v2
	v_lshlrev_b32_e32 v2, 2, v7
	v_lshlrev_b32_e32 v99, 2, v97
	ds_store_b32 v98, v19 offset:1024
	ds_store_b32 v99, v30 offset:1024
	;; [unrolled: 1-line block ×3, first 2 shown]
	v_lshlrev_b32_e32 v3, 2, v6
	ds_store_b32 v2, v103 offset:1024
	v_lshlrev_b32_e32 v2, 2, v9
	v_cmp_lt_u32_e32 vcc_lo, v18, v0
	v_lshlrev_b32_e32 v19, 2, v5
	v_lshlrev_b32_e32 v30, 2, v8
	ds_store_b32 v3, v106 offset:1024
	ds_store_b32 v19, v110 offset:1024
	;; [unrolled: 1-line block ×4, first 2 shown]
	s_waitcnt lgkmcnt(0)
	s_barrier
	buffer_gl0_inv
	s_and_saveexec_b32 s18, vcc_lo
	s_cbranch_execz .LBB1465_619
; %bb.612:                              ;   in Loop: Header=BB1465_571 Depth=2
	ds_load_b32 v30, v52 offset:1024
	s_waitcnt lgkmcnt(0)
	v_cmp_ne_u32_e64 s17, 0x7fffffff, v30
	s_delay_alu instid0(VALU_DEP_1) | instskip(SKIP_1) | instid1(VALU_DEP_2)
	v_cndmask_b32_e64 v2, 0x80000000, v30, s17
	v_cmp_lt_i32_e64 s17, -1, v30
	v_lshrrev_b32_e32 v2, s57, v2
	s_delay_alu instid0(VALU_DEP_2) | instskip(NEXT) | instid1(VALU_DEP_2)
	v_cndmask_b32_e64 v98, 0x80000000, -1, s17
	v_and_b32_e32 v2, s30, v2
	s_delay_alu instid0(VALU_DEP_1) | instskip(SKIP_3) | instid1(VALU_DEP_1)
	v_lshlrev_b32_e32 v2, 2, v2
	ds_load_b32 v2, v2
	s_waitcnt lgkmcnt(0)
	v_add_nc_u32_e32 v19, v2, v18
	v_lshlrev_b64 v[2:3], 2, v[19:20]
	v_xor_b32_e32 v19, v98, v30
	s_delay_alu instid0(VALU_DEP_2) | instskip(NEXT) | instid1(VALU_DEP_1)
	v_add_co_u32 v2, s17, s48, v2
	v_add_co_ci_u32_e64 v3, s17, s49, v3, s17
	global_store_b32 v[2:3], v19, off
	s_or_b32 exec_lo, exec_lo, s18
	v_cmp_lt_u32_e64 s17, v32, v0
	s_delay_alu instid0(VALU_DEP_1)
	s_and_saveexec_b32 s19, s17
	s_cbranch_execnz .LBB1465_620
.LBB1465_613:                           ;   in Loop: Header=BB1465_571 Depth=2
	s_or_b32 exec_lo, exec_lo, s19
	v_cmp_lt_u32_e64 s18, v33, v0
	s_delay_alu instid0(VALU_DEP_1)
	s_and_saveexec_b32 s20, s18
	s_cbranch_execz .LBB1465_621
.LBB1465_614:                           ;   in Loop: Header=BB1465_571 Depth=2
	ds_load_b32 v30, v58 offset:2048
	s_waitcnt lgkmcnt(0)
	v_cmp_ne_u32_e64 s19, 0x7fffffff, v30
	s_delay_alu instid0(VALU_DEP_1) | instskip(SKIP_1) | instid1(VALU_DEP_2)
	v_cndmask_b32_e64 v2, 0x80000000, v30, s19
	v_cmp_lt_i32_e64 s19, -1, v30
	v_lshrrev_b32_e32 v2, s57, v2
	s_delay_alu instid0(VALU_DEP_2) | instskip(NEXT) | instid1(VALU_DEP_2)
	v_cndmask_b32_e64 v98, 0x80000000, -1, s19
	v_and_b32_e32 v2, s30, v2
	s_delay_alu instid0(VALU_DEP_1) | instskip(SKIP_3) | instid1(VALU_DEP_1)
	v_lshlrev_b32_e32 v2, 2, v2
	ds_load_b32 v2, v2
	s_waitcnt lgkmcnt(0)
	v_add_nc_u32_e32 v19, v2, v33
	v_lshlrev_b64 v[2:3], 2, v[19:20]
	v_xor_b32_e32 v19, v98, v30
	s_delay_alu instid0(VALU_DEP_2) | instskip(NEXT) | instid1(VALU_DEP_1)
	v_add_co_u32 v2, s19, s48, v2
	v_add_co_ci_u32_e64 v3, s19, s49, v3, s19
	global_store_b32 v[2:3], v19, off
	s_or_b32 exec_lo, exec_lo, s20
	v_cmp_lt_u32_e64 s19, v34, v0
	s_delay_alu instid0(VALU_DEP_1)
	s_and_saveexec_b32 s21, s19
	s_cbranch_execnz .LBB1465_622
.LBB1465_615:                           ;   in Loop: Header=BB1465_571 Depth=2
	s_or_b32 exec_lo, exec_lo, s21
	v_cmp_lt_u32_e64 s20, v38, v0
	s_delay_alu instid0(VALU_DEP_1)
	s_and_saveexec_b32 s22, s20
	s_cbranch_execz .LBB1465_623
.LBB1465_616:                           ;   in Loop: Header=BB1465_571 Depth=2
	ds_load_b32 v30, v58 offset:4096
	s_waitcnt lgkmcnt(0)
	v_cmp_ne_u32_e64 s21, 0x7fffffff, v30
	s_delay_alu instid0(VALU_DEP_1) | instskip(SKIP_1) | instid1(VALU_DEP_2)
	v_cndmask_b32_e64 v2, 0x80000000, v30, s21
	v_cmp_lt_i32_e64 s21, -1, v30
	v_lshrrev_b32_e32 v2, s57, v2
	s_delay_alu instid0(VALU_DEP_2) | instskip(NEXT) | instid1(VALU_DEP_2)
	v_cndmask_b32_e64 v98, 0x80000000, -1, s21
	v_and_b32_e32 v2, s30, v2
	s_delay_alu instid0(VALU_DEP_1) | instskip(SKIP_3) | instid1(VALU_DEP_1)
	v_lshlrev_b32_e32 v2, 2, v2
	ds_load_b32 v2, v2
	s_waitcnt lgkmcnt(0)
	v_add_nc_u32_e32 v19, v2, v38
	v_lshlrev_b64 v[2:3], 2, v[19:20]
	v_xor_b32_e32 v19, v98, v30
	s_delay_alu instid0(VALU_DEP_2) | instskip(NEXT) | instid1(VALU_DEP_1)
	v_add_co_u32 v2, s21, s48, v2
	v_add_co_ci_u32_e64 v3, s21, s49, v3, s21
	global_store_b32 v[2:3], v19, off
	s_or_b32 exec_lo, exec_lo, s22
	v_cmp_lt_u32_e64 s21, v39, v0
	s_delay_alu instid0(VALU_DEP_1)
	s_and_saveexec_b32 s23, s21
	s_cbranch_execnz .LBB1465_624
.LBB1465_617:                           ;   in Loop: Header=BB1465_571 Depth=2
	s_or_b32 exec_lo, exec_lo, s23
	v_cmp_lt_u32_e64 s22, v40, v0
	s_delay_alu instid0(VALU_DEP_1)
	s_and_saveexec_b32 s24, s22
	s_cbranch_execz .LBB1465_625
.LBB1465_618:                           ;   in Loop: Header=BB1465_571 Depth=2
	ds_load_b32 v30, v58 offset:6144
	s_waitcnt lgkmcnt(0)
	v_cmp_ne_u32_e64 s23, 0x7fffffff, v30
	s_delay_alu instid0(VALU_DEP_1) | instskip(SKIP_1) | instid1(VALU_DEP_2)
	v_cndmask_b32_e64 v2, 0x80000000, v30, s23
	v_cmp_lt_i32_e64 s23, -1, v30
	v_lshrrev_b32_e32 v2, s57, v2
	s_delay_alu instid0(VALU_DEP_2) | instskip(NEXT) | instid1(VALU_DEP_2)
	v_cndmask_b32_e64 v98, 0x80000000, -1, s23
	v_and_b32_e32 v2, s30, v2
	s_delay_alu instid0(VALU_DEP_1) | instskip(SKIP_3) | instid1(VALU_DEP_1)
	v_lshlrev_b32_e32 v2, 2, v2
	ds_load_b32 v2, v2
	s_waitcnt lgkmcnt(0)
	v_add_nc_u32_e32 v19, v2, v40
	v_lshlrev_b64 v[2:3], 2, v[19:20]
	v_xor_b32_e32 v19, v98, v30
	s_delay_alu instid0(VALU_DEP_2) | instskip(NEXT) | instid1(VALU_DEP_1)
	v_add_co_u32 v2, s23, s48, v2
	v_add_co_ci_u32_e64 v3, s23, s49, v3, s23
	global_store_b32 v[2:3], v19, off
	s_or_b32 exec_lo, exec_lo, s24
	v_cmp_lt_u32_e64 s23, v42, v0
	s_delay_alu instid0(VALU_DEP_1)
	s_and_saveexec_b32 s37, s23
	s_cbranch_execnz .LBB1465_626
	s_branch .LBB1465_627
.LBB1465_619:                           ;   in Loop: Header=BB1465_571 Depth=2
	s_or_b32 exec_lo, exec_lo, s18
	v_cmp_lt_u32_e64 s17, v32, v0
	s_delay_alu instid0(VALU_DEP_1)
	s_and_saveexec_b32 s19, s17
	s_cbranch_execz .LBB1465_613
.LBB1465_620:                           ;   in Loop: Header=BB1465_571 Depth=2
	ds_load_b32 v30, v58 offset:1024
	s_waitcnt lgkmcnt(0)
	v_cmp_ne_u32_e64 s18, 0x7fffffff, v30
	s_delay_alu instid0(VALU_DEP_1) | instskip(SKIP_1) | instid1(VALU_DEP_2)
	v_cndmask_b32_e64 v2, 0x80000000, v30, s18
	v_cmp_lt_i32_e64 s18, -1, v30
	v_lshrrev_b32_e32 v2, s57, v2
	s_delay_alu instid0(VALU_DEP_2) | instskip(NEXT) | instid1(VALU_DEP_2)
	v_cndmask_b32_e64 v98, 0x80000000, -1, s18
	v_and_b32_e32 v2, s30, v2
	s_delay_alu instid0(VALU_DEP_1) | instskip(SKIP_3) | instid1(VALU_DEP_1)
	v_lshlrev_b32_e32 v2, 2, v2
	ds_load_b32 v2, v2
	s_waitcnt lgkmcnt(0)
	v_add_nc_u32_e32 v19, v2, v32
	v_lshlrev_b64 v[2:3], 2, v[19:20]
	v_xor_b32_e32 v19, v98, v30
	s_delay_alu instid0(VALU_DEP_2) | instskip(NEXT) | instid1(VALU_DEP_1)
	v_add_co_u32 v2, s18, s48, v2
	v_add_co_ci_u32_e64 v3, s18, s49, v3, s18
	global_store_b32 v[2:3], v19, off
	s_or_b32 exec_lo, exec_lo, s19
	v_cmp_lt_u32_e64 s18, v33, v0
	s_delay_alu instid0(VALU_DEP_1)
	s_and_saveexec_b32 s20, s18
	s_cbranch_execnz .LBB1465_614
.LBB1465_621:                           ;   in Loop: Header=BB1465_571 Depth=2
	s_or_b32 exec_lo, exec_lo, s20
	v_cmp_lt_u32_e64 s19, v34, v0
	s_delay_alu instid0(VALU_DEP_1)
	s_and_saveexec_b32 s21, s19
	s_cbranch_execz .LBB1465_615
.LBB1465_622:                           ;   in Loop: Header=BB1465_571 Depth=2
	ds_load_b32 v30, v58 offset:3072
	s_waitcnt lgkmcnt(0)
	v_cmp_ne_u32_e64 s20, 0x7fffffff, v30
	s_delay_alu instid0(VALU_DEP_1) | instskip(SKIP_1) | instid1(VALU_DEP_2)
	v_cndmask_b32_e64 v2, 0x80000000, v30, s20
	v_cmp_lt_i32_e64 s20, -1, v30
	v_lshrrev_b32_e32 v2, s57, v2
	s_delay_alu instid0(VALU_DEP_2) | instskip(NEXT) | instid1(VALU_DEP_2)
	v_cndmask_b32_e64 v98, 0x80000000, -1, s20
	v_and_b32_e32 v2, s30, v2
	s_delay_alu instid0(VALU_DEP_1) | instskip(SKIP_3) | instid1(VALU_DEP_1)
	v_lshlrev_b32_e32 v2, 2, v2
	ds_load_b32 v2, v2
	s_waitcnt lgkmcnt(0)
	v_add_nc_u32_e32 v19, v2, v34
	v_lshlrev_b64 v[2:3], 2, v[19:20]
	v_xor_b32_e32 v19, v98, v30
	s_delay_alu instid0(VALU_DEP_2) | instskip(NEXT) | instid1(VALU_DEP_1)
	v_add_co_u32 v2, s20, s48, v2
	v_add_co_ci_u32_e64 v3, s20, s49, v3, s20
	global_store_b32 v[2:3], v19, off
	s_or_b32 exec_lo, exec_lo, s21
	v_cmp_lt_u32_e64 s20, v38, v0
	s_delay_alu instid0(VALU_DEP_1)
	s_and_saveexec_b32 s22, s20
	s_cbranch_execnz .LBB1465_616
.LBB1465_623:                           ;   in Loop: Header=BB1465_571 Depth=2
	s_or_b32 exec_lo, exec_lo, s22
	v_cmp_lt_u32_e64 s21, v39, v0
	s_delay_alu instid0(VALU_DEP_1)
	s_and_saveexec_b32 s23, s21
	s_cbranch_execz .LBB1465_617
.LBB1465_624:                           ;   in Loop: Header=BB1465_571 Depth=2
	ds_load_b32 v30, v58 offset:5120
	s_waitcnt lgkmcnt(0)
	v_cmp_ne_u32_e64 s22, 0x7fffffff, v30
	s_delay_alu instid0(VALU_DEP_1) | instskip(SKIP_1) | instid1(VALU_DEP_2)
	v_cndmask_b32_e64 v2, 0x80000000, v30, s22
	v_cmp_lt_i32_e64 s22, -1, v30
	v_lshrrev_b32_e32 v2, s57, v2
	s_delay_alu instid0(VALU_DEP_2) | instskip(NEXT) | instid1(VALU_DEP_2)
	v_cndmask_b32_e64 v98, 0x80000000, -1, s22
	v_and_b32_e32 v2, s30, v2
	s_delay_alu instid0(VALU_DEP_1) | instskip(SKIP_3) | instid1(VALU_DEP_1)
	v_lshlrev_b32_e32 v2, 2, v2
	ds_load_b32 v2, v2
	s_waitcnt lgkmcnt(0)
	v_add_nc_u32_e32 v19, v2, v39
	v_lshlrev_b64 v[2:3], 2, v[19:20]
	v_xor_b32_e32 v19, v98, v30
	s_delay_alu instid0(VALU_DEP_2) | instskip(NEXT) | instid1(VALU_DEP_1)
	v_add_co_u32 v2, s22, s48, v2
	v_add_co_ci_u32_e64 v3, s22, s49, v3, s22
	global_store_b32 v[2:3], v19, off
	s_or_b32 exec_lo, exec_lo, s23
	v_cmp_lt_u32_e64 s22, v40, v0
	s_delay_alu instid0(VALU_DEP_1)
	s_and_saveexec_b32 s24, s22
	s_cbranch_execnz .LBB1465_618
.LBB1465_625:                           ;   in Loop: Header=BB1465_571 Depth=2
	s_or_b32 exec_lo, exec_lo, s24
	v_cmp_lt_u32_e64 s23, v42, v0
	s_delay_alu instid0(VALU_DEP_1)
	s_and_saveexec_b32 s37, s23
	s_cbranch_execz .LBB1465_627
.LBB1465_626:                           ;   in Loop: Header=BB1465_571 Depth=2
	ds_load_b32 v30, v58 offset:7168
	s_waitcnt lgkmcnt(0)
	v_cmp_ne_u32_e64 s24, 0x7fffffff, v30
	s_delay_alu instid0(VALU_DEP_1) | instskip(SKIP_1) | instid1(VALU_DEP_2)
	v_cndmask_b32_e64 v2, 0x80000000, v30, s24
	v_cmp_lt_i32_e64 s24, -1, v30
	v_lshrrev_b32_e32 v2, s57, v2
	s_delay_alu instid0(VALU_DEP_2) | instskip(NEXT) | instid1(VALU_DEP_2)
	v_cndmask_b32_e64 v98, 0x80000000, -1, s24
	v_and_b32_e32 v2, s30, v2
	s_delay_alu instid0(VALU_DEP_1) | instskip(SKIP_3) | instid1(VALU_DEP_1)
	v_lshlrev_b32_e32 v2, 2, v2
	ds_load_b32 v2, v2
	s_waitcnt lgkmcnt(0)
	v_add_nc_u32_e32 v19, v2, v42
	v_lshlrev_b64 v[2:3], 2, v[19:20]
	v_xor_b32_e32 v19, v98, v30
	s_delay_alu instid0(VALU_DEP_2) | instskip(NEXT) | instid1(VALU_DEP_1)
	v_add_co_u32 v2, s24, s48, v2
	v_add_co_ci_u32_e64 v3, s24, s49, v3, s24
	global_store_b32 v[2:3], v19, off
.LBB1465_627:                           ;   in Loop: Header=BB1465_571 Depth=2
	s_or_b32 exec_lo, exec_lo, s37
	s_lshl_b64 s[38:39], s[26:27], 3
	s_delay_alu instid0(SALU_CYCLE_1) | instskip(NEXT) | instid1(VALU_DEP_1)
	v_add_co_u32 v2, s24, v75, s38
	v_add_co_ci_u32_e64 v3, s24, s39, v76, s24
	v_cmp_lt_u32_e64 s24, v74, v0
	s_delay_alu instid0(VALU_DEP_1) | instskip(NEXT) | instid1(SALU_CYCLE_1)
	s_and_saveexec_b32 s26, s24
	s_xor_b32 s24, exec_lo, s26
	s_cbranch_execz .LBB1465_643
; %bb.628:                              ;   in Loop: Header=BB1465_571 Depth=2
	global_load_b64 v[27:28], v[2:3], off
	s_or_b32 exec_lo, exec_lo, s24
	s_delay_alu instid0(SALU_CYCLE_1)
	s_mov_b32 s26, exec_lo
	v_cmpx_lt_u32_e64 v77, v0
	s_cbranch_execnz .LBB1465_644
.LBB1465_629:                           ;   in Loop: Header=BB1465_571 Depth=2
	s_or_b32 exec_lo, exec_lo, s26
	s_delay_alu instid0(SALU_CYCLE_1)
	s_mov_b32 s26, exec_lo
	v_cmpx_lt_u32_e64 v78, v0
	s_cbranch_execz .LBB1465_645
.LBB1465_630:                           ;   in Loop: Header=BB1465_571 Depth=2
	global_load_b64 v[23:24], v[2:3], off offset:512
	s_or_b32 exec_lo, exec_lo, s26
	s_delay_alu instid0(SALU_CYCLE_1)
	s_mov_b32 s26, exec_lo
	v_cmpx_lt_u32_e64 v79, v0
	s_cbranch_execnz .LBB1465_646
.LBB1465_631:                           ;   in Loop: Header=BB1465_571 Depth=2
	s_or_b32 exec_lo, exec_lo, s26
	s_delay_alu instid0(SALU_CYCLE_1)
	s_mov_b32 s26, exec_lo
	v_cmpx_lt_u32_e64 v80, v0
	s_cbranch_execz .LBB1465_647
.LBB1465_632:                           ;   in Loop: Header=BB1465_571 Depth=2
	global_load_b64 v[16:17], v[2:3], off offset:1024
	s_or_b32 exec_lo, exec_lo, s26
	s_delay_alu instid0(SALU_CYCLE_1)
	s_mov_b32 s26, exec_lo
	v_cmpx_lt_u32_e64 v81, v0
	s_cbranch_execnz .LBB1465_648
.LBB1465_633:                           ;   in Loop: Header=BB1465_571 Depth=2
	s_or_b32 exec_lo, exec_lo, s26
	s_delay_alu instid0(SALU_CYCLE_1)
	s_mov_b32 s26, exec_lo
	v_cmpx_lt_u32_e64 v82, v0
	s_cbranch_execz .LBB1465_649
.LBB1465_634:                           ;   in Loop: Header=BB1465_571 Depth=2
	global_load_b64 v[12:13], v[2:3], off offset:1536
	s_or_b32 exec_lo, exec_lo, s26
	s_delay_alu instid0(SALU_CYCLE_1)
	s_mov_b32 s26, exec_lo
	v_cmpx_lt_u32_e64 v83, v0
	s_cbranch_execnz .LBB1465_650
.LBB1465_635:                           ;   in Loop: Header=BB1465_571 Depth=2
	s_or_b32 exec_lo, exec_lo, s26
	s_and_saveexec_b32 s26, vcc_lo
	s_cbranch_execz .LBB1465_651
.LBB1465_636:                           ;   in Loop: Header=BB1465_571 Depth=2
	ds_load_b32 v0, v52 offset:1024
	s_waitcnt lgkmcnt(0)
	v_cmp_ne_u32_e64 s24, 0x7fffffff, v0
	s_delay_alu instid0(VALU_DEP_1) | instskip(NEXT) | instid1(VALU_DEP_1)
	v_cndmask_b32_e64 v0, 0x80000000, v0, s24
	v_lshrrev_b32_e32 v0, s57, v0
	s_delay_alu instid0(VALU_DEP_1)
	v_and_b32_e32 v96, s30, v0
	s_or_b32 exec_lo, exec_lo, s26
	s_and_saveexec_b32 s26, s17
	s_cbranch_execnz .LBB1465_652
.LBB1465_637:                           ;   in Loop: Header=BB1465_571 Depth=2
	s_or_b32 exec_lo, exec_lo, s26
	s_and_saveexec_b32 s26, s18
	s_cbranch_execz .LBB1465_653
.LBB1465_638:                           ;   in Loop: Header=BB1465_571 Depth=2
	ds_load_b32 v0, v58 offset:2048
	s_waitcnt lgkmcnt(0)
	v_cmp_ne_u32_e64 s24, 0x7fffffff, v0
	s_delay_alu instid0(VALU_DEP_1) | instskip(NEXT) | instid1(VALU_DEP_1)
	v_cndmask_b32_e64 v0, 0x80000000, v0, s24
	v_lshrrev_b32_e32 v0, s57, v0
	s_delay_alu instid0(VALU_DEP_1)
	v_and_b32_e32 v94, s30, v0
	s_or_b32 exec_lo, exec_lo, s26
	s_and_saveexec_b32 s26, s19
	s_cbranch_execnz .LBB1465_654
.LBB1465_639:                           ;   in Loop: Header=BB1465_571 Depth=2
	s_or_b32 exec_lo, exec_lo, s26
	s_and_saveexec_b32 s26, s20
	s_cbranch_execz .LBB1465_655
.LBB1465_640:                           ;   in Loop: Header=BB1465_571 Depth=2
	ds_load_b32 v0, v58 offset:4096
	s_waitcnt lgkmcnt(0)
	v_cmp_ne_u32_e64 s24, 0x7fffffff, v0
	s_delay_alu instid0(VALU_DEP_1) | instskip(NEXT) | instid1(VALU_DEP_1)
	v_cndmask_b32_e64 v0, 0x80000000, v0, s24
	v_lshrrev_b32_e32 v0, s57, v0
	s_delay_alu instid0(VALU_DEP_1)
	v_and_b32_e32 v92, s30, v0
	s_or_b32 exec_lo, exec_lo, s26
	s_and_saveexec_b32 s26, s21
	s_cbranch_execnz .LBB1465_656
.LBB1465_641:                           ;   in Loop: Header=BB1465_571 Depth=2
	s_or_b32 exec_lo, exec_lo, s26
	s_and_saveexec_b32 s26, s22
	s_cbranch_execz .LBB1465_657
.LBB1465_642:                           ;   in Loop: Header=BB1465_571 Depth=2
	ds_load_b32 v0, v58 offset:6144
	s_waitcnt lgkmcnt(0)
	v_cmp_ne_u32_e64 s24, 0x7fffffff, v0
	s_delay_alu instid0(VALU_DEP_1) | instskip(NEXT) | instid1(VALU_DEP_1)
	v_cndmask_b32_e64 v0, 0x80000000, v0, s24
	v_lshrrev_b32_e32 v0, s57, v0
	s_delay_alu instid0(VALU_DEP_1)
	v_and_b32_e32 v90, s30, v0
	s_or_b32 exec_lo, exec_lo, s26
	s_and_saveexec_b32 s26, s23
	s_cbranch_execnz .LBB1465_658
	s_branch .LBB1465_659
.LBB1465_643:                           ;   in Loop: Header=BB1465_571 Depth=2
	s_or_b32 exec_lo, exec_lo, s24
	s_delay_alu instid0(SALU_CYCLE_1)
	s_mov_b32 s26, exec_lo
	v_cmpx_lt_u32_e64 v77, v0
	s_cbranch_execz .LBB1465_629
.LBB1465_644:                           ;   in Loop: Header=BB1465_571 Depth=2
	global_load_b64 v[25:26], v[2:3], off offset:256
	s_or_b32 exec_lo, exec_lo, s26
	s_delay_alu instid0(SALU_CYCLE_1)
	s_mov_b32 s26, exec_lo
	v_cmpx_lt_u32_e64 v78, v0
	s_cbranch_execnz .LBB1465_630
.LBB1465_645:                           ;   in Loop: Header=BB1465_571 Depth=2
	s_or_b32 exec_lo, exec_lo, s26
	s_delay_alu instid0(SALU_CYCLE_1)
	s_mov_b32 s26, exec_lo
	v_cmpx_lt_u32_e64 v79, v0
	s_cbranch_execz .LBB1465_631
.LBB1465_646:                           ;   in Loop: Header=BB1465_571 Depth=2
	global_load_b64 v[21:22], v[2:3], off offset:768
	s_or_b32 exec_lo, exec_lo, s26
	s_delay_alu instid0(SALU_CYCLE_1)
	s_mov_b32 s26, exec_lo
	v_cmpx_lt_u32_e64 v80, v0
	s_cbranch_execnz .LBB1465_632
.LBB1465_647:                           ;   in Loop: Header=BB1465_571 Depth=2
	s_or_b32 exec_lo, exec_lo, s26
	s_delay_alu instid0(SALU_CYCLE_1)
	s_mov_b32 s26, exec_lo
	v_cmpx_lt_u32_e64 v81, v0
	s_cbranch_execz .LBB1465_633
.LBB1465_648:                           ;   in Loop: Header=BB1465_571 Depth=2
	global_load_b64 v[14:15], v[2:3], off offset:1280
	s_or_b32 exec_lo, exec_lo, s26
	s_delay_alu instid0(SALU_CYCLE_1)
	s_mov_b32 s26, exec_lo
	v_cmpx_lt_u32_e64 v82, v0
	s_cbranch_execnz .LBB1465_634
.LBB1465_649:                           ;   in Loop: Header=BB1465_571 Depth=2
	s_or_b32 exec_lo, exec_lo, s26
	s_delay_alu instid0(SALU_CYCLE_1)
	s_mov_b32 s26, exec_lo
	v_cmpx_lt_u32_e64 v83, v0
	s_cbranch_execz .LBB1465_635
.LBB1465_650:                           ;   in Loop: Header=BB1465_571 Depth=2
	global_load_b64 v[10:11], v[2:3], off offset:1792
	s_or_b32 exec_lo, exec_lo, s26
	s_and_saveexec_b32 s26, vcc_lo
	s_cbranch_execnz .LBB1465_636
.LBB1465_651:                           ;   in Loop: Header=BB1465_571 Depth=2
	s_or_b32 exec_lo, exec_lo, s26
	s_and_saveexec_b32 s26, s17
	s_cbranch_execz .LBB1465_637
.LBB1465_652:                           ;   in Loop: Header=BB1465_571 Depth=2
	ds_load_b32 v0, v58 offset:1024
	s_waitcnt lgkmcnt(0)
	v_cmp_ne_u32_e64 s24, 0x7fffffff, v0
	s_delay_alu instid0(VALU_DEP_1) | instskip(NEXT) | instid1(VALU_DEP_1)
	v_cndmask_b32_e64 v0, 0x80000000, v0, s24
	v_lshrrev_b32_e32 v0, s57, v0
	s_delay_alu instid0(VALU_DEP_1)
	v_and_b32_e32 v95, s30, v0
	s_or_b32 exec_lo, exec_lo, s26
	s_and_saveexec_b32 s26, s18
	s_cbranch_execnz .LBB1465_638
.LBB1465_653:                           ;   in Loop: Header=BB1465_571 Depth=2
	s_or_b32 exec_lo, exec_lo, s26
	s_and_saveexec_b32 s26, s19
	s_cbranch_execz .LBB1465_639
.LBB1465_654:                           ;   in Loop: Header=BB1465_571 Depth=2
	ds_load_b32 v0, v58 offset:3072
	s_waitcnt lgkmcnt(0)
	v_cmp_ne_u32_e64 s24, 0x7fffffff, v0
	s_delay_alu instid0(VALU_DEP_1) | instskip(NEXT) | instid1(VALU_DEP_1)
	v_cndmask_b32_e64 v0, 0x80000000, v0, s24
	v_lshrrev_b32_e32 v0, s57, v0
	s_delay_alu instid0(VALU_DEP_1)
	v_and_b32_e32 v93, s30, v0
	s_or_b32 exec_lo, exec_lo, s26
	s_and_saveexec_b32 s26, s20
	s_cbranch_execnz .LBB1465_640
.LBB1465_655:                           ;   in Loop: Header=BB1465_571 Depth=2
	s_or_b32 exec_lo, exec_lo, s26
	s_and_saveexec_b32 s26, s21
	s_cbranch_execz .LBB1465_641
.LBB1465_656:                           ;   in Loop: Header=BB1465_571 Depth=2
	ds_load_b32 v0, v58 offset:5120
	s_waitcnt lgkmcnt(0)
	v_cmp_ne_u32_e64 s24, 0x7fffffff, v0
	s_delay_alu instid0(VALU_DEP_1) | instskip(NEXT) | instid1(VALU_DEP_1)
	v_cndmask_b32_e64 v0, 0x80000000, v0, s24
	v_lshrrev_b32_e32 v0, s57, v0
	s_delay_alu instid0(VALU_DEP_1)
	v_and_b32_e32 v91, s30, v0
	s_or_b32 exec_lo, exec_lo, s26
	s_and_saveexec_b32 s26, s22
	s_cbranch_execnz .LBB1465_642
.LBB1465_657:                           ;   in Loop: Header=BB1465_571 Depth=2
	s_or_b32 exec_lo, exec_lo, s26
	s_and_saveexec_b32 s26, s23
	s_cbranch_execz .LBB1465_659
.LBB1465_658:                           ;   in Loop: Header=BB1465_571 Depth=2
	ds_load_b32 v0, v58 offset:7168
	s_waitcnt lgkmcnt(0)
	v_cmp_ne_u32_e64 s24, 0x7fffffff, v0
	s_delay_alu instid0(VALU_DEP_1) | instskip(NEXT) | instid1(VALU_DEP_1)
	v_cndmask_b32_e64 v0, 0x80000000, v0, s24
	v_lshrrev_b32_e32 v0, s57, v0
	s_delay_alu instid0(VALU_DEP_1)
	v_and_b32_e32 v89, s30, v0
.LBB1465_659:                           ;   in Loop: Header=BB1465_571 Depth=2
	s_or_b32 exec_lo, exec_lo, s26
	v_lshlrev_b32_e32 v0, 3, v101
	v_lshlrev_b32_e32 v2, 3, v97
	;; [unrolled: 1-line block ×3, first 2 shown]
	s_waitcnt vmcnt(0)
	s_waitcnt_vscnt null, 0x0
	s_barrier
	buffer_gl0_inv
	ds_store_b64 v0, v[27:28] offset:1024
	ds_store_b64 v2, v[25:26] offset:1024
	;; [unrolled: 1-line block ×3, first 2 shown]
	v_lshlrev_b32_e32 v0, 3, v7
	v_lshlrev_b32_e32 v2, 3, v6
	;; [unrolled: 1-line block ×5, first 2 shown]
	ds_store_b64 v0, v[21:22] offset:1024
	ds_store_b64 v2, v[16:17] offset:1024
	ds_store_b64 v3, v[14:15] offset:1024
	ds_store_b64 v5, v[12:13] offset:1024
	ds_store_b64 v6, v[10:11] offset:1024
	s_waitcnt lgkmcnt(0)
	s_barrier
	buffer_gl0_inv
	s_and_saveexec_b32 s24, vcc_lo
	s_cbranch_execz .LBB1465_667
; %bb.660:                              ;   in Loop: Header=BB1465_571 Depth=2
	v_lshlrev_b32_e32 v0, 2, v96
	v_add_nc_u32_e32 v2, v52, v31
	ds_load_b32 v0, v0
	ds_load_b64 v[2:3], v2 offset:1024
	s_waitcnt lgkmcnt(1)
	v_add_nc_u32_e32 v19, v0, v18
	s_delay_alu instid0(VALU_DEP_1) | instskip(NEXT) | instid1(VALU_DEP_1)
	v_lshlrev_b64 v[5:6], 3, v[19:20]
	v_add_co_u32 v5, vcc_lo, s54, v5
	s_delay_alu instid0(VALU_DEP_2)
	v_add_co_ci_u32_e32 v6, vcc_lo, s55, v6, vcc_lo
	s_waitcnt lgkmcnt(0)
	global_store_b64 v[5:6], v[2:3], off
	s_or_b32 exec_lo, exec_lo, s24
	v_add_nc_u32_e32 v0, v58, v31
	s_and_saveexec_b32 s24, s17
	s_cbranch_execnz .LBB1465_668
.LBB1465_661:                           ;   in Loop: Header=BB1465_571 Depth=2
	s_or_b32 exec_lo, exec_lo, s24
	s_and_saveexec_b32 s17, s18
	s_cbranch_execz .LBB1465_669
.LBB1465_662:                           ;   in Loop: Header=BB1465_571 Depth=2
	v_lshlrev_b32_e32 v2, 2, v94
	ds_load_b32 v5, v2
	ds_load_b64 v[2:3], v0 offset:4096
	s_waitcnt lgkmcnt(1)
	v_add_nc_u32_e32 v19, v5, v33
	s_delay_alu instid0(VALU_DEP_1) | instskip(NEXT) | instid1(VALU_DEP_1)
	v_lshlrev_b64 v[5:6], 3, v[19:20]
	v_add_co_u32 v5, vcc_lo, s54, v5
	s_delay_alu instid0(VALU_DEP_2)
	v_add_co_ci_u32_e32 v6, vcc_lo, s55, v6, vcc_lo
	s_waitcnt lgkmcnt(0)
	global_store_b64 v[5:6], v[2:3], off
	s_or_b32 exec_lo, exec_lo, s17
	s_and_saveexec_b32 s17, s19
	s_cbranch_execnz .LBB1465_670
.LBB1465_663:                           ;   in Loop: Header=BB1465_571 Depth=2
	s_or_b32 exec_lo, exec_lo, s17
	s_and_saveexec_b32 s17, s20
	s_cbranch_execz .LBB1465_671
.LBB1465_664:                           ;   in Loop: Header=BB1465_571 Depth=2
	v_lshlrev_b32_e32 v2, 2, v92
	ds_load_b32 v5, v2
	ds_load_b64 v[2:3], v0 offset:8192
	s_waitcnt lgkmcnt(1)
	v_add_nc_u32_e32 v19, v5, v38
	s_delay_alu instid0(VALU_DEP_1) | instskip(NEXT) | instid1(VALU_DEP_1)
	v_lshlrev_b64 v[5:6], 3, v[19:20]
	v_add_co_u32 v5, vcc_lo, s54, v5
	s_delay_alu instid0(VALU_DEP_2)
	v_add_co_ci_u32_e32 v6, vcc_lo, s55, v6, vcc_lo
	s_waitcnt lgkmcnt(0)
	global_store_b64 v[5:6], v[2:3], off
	s_or_b32 exec_lo, exec_lo, s17
	s_and_saveexec_b32 s17, s21
	s_cbranch_execnz .LBB1465_672
.LBB1465_665:                           ;   in Loop: Header=BB1465_571 Depth=2
	s_or_b32 exec_lo, exec_lo, s17
	s_and_saveexec_b32 s17, s22
	s_cbranch_execz .LBB1465_673
.LBB1465_666:                           ;   in Loop: Header=BB1465_571 Depth=2
	v_lshlrev_b32_e32 v2, 2, v90
	ds_load_b32 v5, v2
	ds_load_b64 v[2:3], v0 offset:12288
	s_waitcnt lgkmcnt(1)
	v_add_nc_u32_e32 v19, v5, v40
	s_delay_alu instid0(VALU_DEP_1) | instskip(NEXT) | instid1(VALU_DEP_1)
	v_lshlrev_b64 v[5:6], 3, v[19:20]
	v_add_co_u32 v5, vcc_lo, s54, v5
	s_delay_alu instid0(VALU_DEP_2)
	v_add_co_ci_u32_e32 v6, vcc_lo, s55, v6, vcc_lo
	s_waitcnt lgkmcnt(0)
	global_store_b64 v[5:6], v[2:3], off
	s_or_b32 exec_lo, exec_lo, s17
	s_and_saveexec_b32 s17, s23
	s_cbranch_execnz .LBB1465_674
	s_branch .LBB1465_675
.LBB1465_667:                           ;   in Loop: Header=BB1465_571 Depth=2
	s_or_b32 exec_lo, exec_lo, s24
	v_add_nc_u32_e32 v0, v58, v31
	s_and_saveexec_b32 s24, s17
	s_cbranch_execz .LBB1465_661
.LBB1465_668:                           ;   in Loop: Header=BB1465_571 Depth=2
	v_lshlrev_b32_e32 v2, 2, v95
	ds_load_b32 v5, v2
	ds_load_b64 v[2:3], v0 offset:2048
	s_waitcnt lgkmcnt(1)
	v_add_nc_u32_e32 v19, v5, v32
	s_delay_alu instid0(VALU_DEP_1) | instskip(NEXT) | instid1(VALU_DEP_1)
	v_lshlrev_b64 v[5:6], 3, v[19:20]
	v_add_co_u32 v5, vcc_lo, s54, v5
	s_delay_alu instid0(VALU_DEP_2)
	v_add_co_ci_u32_e32 v6, vcc_lo, s55, v6, vcc_lo
	s_waitcnt lgkmcnt(0)
	global_store_b64 v[5:6], v[2:3], off
	s_or_b32 exec_lo, exec_lo, s24
	s_and_saveexec_b32 s17, s18
	s_cbranch_execnz .LBB1465_662
.LBB1465_669:                           ;   in Loop: Header=BB1465_571 Depth=2
	s_or_b32 exec_lo, exec_lo, s17
	s_and_saveexec_b32 s17, s19
	s_cbranch_execz .LBB1465_663
.LBB1465_670:                           ;   in Loop: Header=BB1465_571 Depth=2
	v_lshlrev_b32_e32 v2, 2, v93
	ds_load_b32 v5, v2
	ds_load_b64 v[2:3], v0 offset:6144
	s_waitcnt lgkmcnt(1)
	v_add_nc_u32_e32 v19, v5, v34
	s_delay_alu instid0(VALU_DEP_1) | instskip(NEXT) | instid1(VALU_DEP_1)
	v_lshlrev_b64 v[5:6], 3, v[19:20]
	v_add_co_u32 v5, vcc_lo, s54, v5
	s_delay_alu instid0(VALU_DEP_2)
	v_add_co_ci_u32_e32 v6, vcc_lo, s55, v6, vcc_lo
	s_waitcnt lgkmcnt(0)
	global_store_b64 v[5:6], v[2:3], off
	s_or_b32 exec_lo, exec_lo, s17
	s_and_saveexec_b32 s17, s20
	s_cbranch_execnz .LBB1465_664
.LBB1465_671:                           ;   in Loop: Header=BB1465_571 Depth=2
	s_or_b32 exec_lo, exec_lo, s17
	s_and_saveexec_b32 s17, s21
	s_cbranch_execz .LBB1465_665
.LBB1465_672:                           ;   in Loop: Header=BB1465_571 Depth=2
	v_lshlrev_b32_e32 v2, 2, v91
	ds_load_b32 v5, v2
	ds_load_b64 v[2:3], v0 offset:10240
	s_waitcnt lgkmcnt(1)
	v_add_nc_u32_e32 v19, v5, v39
	s_delay_alu instid0(VALU_DEP_1) | instskip(NEXT) | instid1(VALU_DEP_1)
	v_lshlrev_b64 v[5:6], 3, v[19:20]
	v_add_co_u32 v5, vcc_lo, s54, v5
	s_delay_alu instid0(VALU_DEP_2)
	v_add_co_ci_u32_e32 v6, vcc_lo, s55, v6, vcc_lo
	s_waitcnt lgkmcnt(0)
	global_store_b64 v[5:6], v[2:3], off
	s_or_b32 exec_lo, exec_lo, s17
	s_and_saveexec_b32 s17, s22
	s_cbranch_execnz .LBB1465_666
.LBB1465_673:                           ;   in Loop: Header=BB1465_571 Depth=2
	s_or_b32 exec_lo, exec_lo, s17
	s_and_saveexec_b32 s17, s23
	s_cbranch_execz .LBB1465_675
.LBB1465_674:                           ;   in Loop: Header=BB1465_571 Depth=2
	v_lshlrev_b32_e32 v2, 2, v89
	ds_load_b32 v5, v2
	ds_load_b64 v[2:3], v0 offset:14336
	s_waitcnt lgkmcnt(1)
	v_add_nc_u32_e32 v19, v5, v42
	s_delay_alu instid0(VALU_DEP_1) | instskip(NEXT) | instid1(VALU_DEP_1)
	v_lshlrev_b64 v[5:6], 3, v[19:20]
	v_add_co_u32 v5, vcc_lo, s54, v5
	s_delay_alu instid0(VALU_DEP_2)
	v_add_co_ci_u32_e32 v6, vcc_lo, s55, v6, vcc_lo
	s_waitcnt lgkmcnt(0)
	global_store_b64 v[5:6], v[2:3], off
.LBB1465_675:                           ;   in Loop: Header=BB1465_571 Depth=2
	s_or_b32 exec_lo, exec_lo, s17
	s_waitcnt_vscnt null, 0x0
	s_barrier
	buffer_gl0_inv
	s_and_saveexec_b32 s17, s2
	s_cbranch_execz .LBB1465_570
; %bb.676:                              ;   in Loop: Header=BB1465_571 Depth=2
	ds_load_b32 v0, v31
	s_waitcnt lgkmcnt(0)
	v_add_nc_u32_e32 v0, v0, v4
	ds_store_b32 v31, v0
	s_branch .LBB1465_570
.LBB1465_677:                           ;   in Loop: Header=BB1465_571 Depth=2
	s_or_b32 exec_lo, exec_lo, s17
	s_delay_alu instid0(SALU_CYCLE_1)
	s_mov_b32 s17, exec_lo
	v_cmpx_gt_u32_e64 s31, v77
	s_cbranch_execz .LBB1465_576
.LBB1465_678:                           ;   in Loop: Header=BB1465_571 Depth=2
	global_load_b32 v3, v[29:30], off offset:128
	s_or_b32 exec_lo, exec_lo, s17
	s_delay_alu instid0(SALU_CYCLE_1)
	s_mov_b32 s17, exec_lo
	v_cmpx_gt_u32_e64 s31, v78
	s_cbranch_execnz .LBB1465_577
.LBB1465_679:                           ;   in Loop: Header=BB1465_571 Depth=2
	s_or_b32 exec_lo, exec_lo, s17
	s_delay_alu instid0(SALU_CYCLE_1)
	s_mov_b32 s17, exec_lo
	v_cmpx_gt_u32_e64 s31, v79
	s_cbranch_execz .LBB1465_578
.LBB1465_680:                           ;   in Loop: Header=BB1465_571 Depth=2
	global_load_b32 v5, v[29:30], off offset:384
	s_or_b32 exec_lo, exec_lo, s17
	s_delay_alu instid0(SALU_CYCLE_1)
	s_mov_b32 s17, exec_lo
	v_cmpx_gt_u32_e64 s31, v80
	s_cbranch_execnz .LBB1465_579
.LBB1465_681:                           ;   in Loop: Header=BB1465_571 Depth=2
	s_or_b32 exec_lo, exec_lo, s17
	s_delay_alu instid0(SALU_CYCLE_1)
	s_mov_b32 s17, exec_lo
	v_cmpx_gt_u32_e64 s31, v81
	s_cbranch_execz .LBB1465_580
.LBB1465_682:                           ;   in Loop: Header=BB1465_571 Depth=2
	global_load_b32 v7, v[29:30], off offset:640
	s_or_b32 exec_lo, exec_lo, s17
	s_delay_alu instid0(SALU_CYCLE_1)
	s_mov_b32 s17, exec_lo
	v_cmpx_gt_u32_e64 s31, v82
	s_cbranch_execnz .LBB1465_581
	s_branch .LBB1465_582
.LBB1465_683:
	s_endpgm
	.section	.rodata,"a",@progbits
	.p2align	6, 0x0
	.amdhsa_kernel _ZN7rocprim17ROCPRIM_400000_NS6detail17trampoline_kernelINS0_14default_configENS1_36segmented_radix_sort_config_selectorIflEEZNS1_25segmented_radix_sort_implIS3_Lb0EPKfPfPKlPlN2at6native12_GLOBAL__N_18offset_tEEE10hipError_tPvRmT1_PNSt15iterator_traitsISK_E10value_typeET2_T3_PNSL_ISQ_E10value_typeET4_jRbjT5_SW_jjP12ihipStream_tbEUlT_E2_NS1_11comp_targetILNS1_3genE9ELNS1_11target_archE1100ELNS1_3gpuE3ELNS1_3repE0EEENS1_30default_config_static_selectorELNS0_4arch9wavefront6targetE0EEEvSK_
		.amdhsa_group_segment_fixed_size 17440
		.amdhsa_private_segment_fixed_size 8
		.amdhsa_kernarg_size 336
		.amdhsa_user_sgpr_count 14
		.amdhsa_user_sgpr_dispatch_ptr 0
		.amdhsa_user_sgpr_queue_ptr 0
		.amdhsa_user_sgpr_kernarg_segment_ptr 1
		.amdhsa_user_sgpr_dispatch_id 0
		.amdhsa_user_sgpr_private_segment_size 0
		.amdhsa_wavefront_size32 1
		.amdhsa_uses_dynamic_stack 0
		.amdhsa_enable_private_segment 1
		.amdhsa_system_sgpr_workgroup_id_x 1
		.amdhsa_system_sgpr_workgroup_id_y 1
		.amdhsa_system_sgpr_workgroup_id_z 0
		.amdhsa_system_sgpr_workgroup_info 0
		.amdhsa_system_vgpr_workitem_id 2
		.amdhsa_next_free_vgpr 209
		.amdhsa_next_free_sgpr 60
		.amdhsa_reserve_vcc 1
		.amdhsa_float_round_mode_32 0
		.amdhsa_float_round_mode_16_64 0
		.amdhsa_float_denorm_mode_32 3
		.amdhsa_float_denorm_mode_16_64 3
		.amdhsa_dx10_clamp 1
		.amdhsa_ieee_mode 1
		.amdhsa_fp16_overflow 0
		.amdhsa_workgroup_processor_mode 1
		.amdhsa_memory_ordered 1
		.amdhsa_forward_progress 0
		.amdhsa_shared_vgpr_count 0
		.amdhsa_exception_fp_ieee_invalid_op 0
		.amdhsa_exception_fp_denorm_src 0
		.amdhsa_exception_fp_ieee_div_zero 0
		.amdhsa_exception_fp_ieee_overflow 0
		.amdhsa_exception_fp_ieee_underflow 0
		.amdhsa_exception_fp_ieee_inexact 0
		.amdhsa_exception_int_div_zero 0
	.end_amdhsa_kernel
	.section	.text._ZN7rocprim17ROCPRIM_400000_NS6detail17trampoline_kernelINS0_14default_configENS1_36segmented_radix_sort_config_selectorIflEEZNS1_25segmented_radix_sort_implIS3_Lb0EPKfPfPKlPlN2at6native12_GLOBAL__N_18offset_tEEE10hipError_tPvRmT1_PNSt15iterator_traitsISK_E10value_typeET2_T3_PNSL_ISQ_E10value_typeET4_jRbjT5_SW_jjP12ihipStream_tbEUlT_E2_NS1_11comp_targetILNS1_3genE9ELNS1_11target_archE1100ELNS1_3gpuE3ELNS1_3repE0EEENS1_30default_config_static_selectorELNS0_4arch9wavefront6targetE0EEEvSK_,"axG",@progbits,_ZN7rocprim17ROCPRIM_400000_NS6detail17trampoline_kernelINS0_14default_configENS1_36segmented_radix_sort_config_selectorIflEEZNS1_25segmented_radix_sort_implIS3_Lb0EPKfPfPKlPlN2at6native12_GLOBAL__N_18offset_tEEE10hipError_tPvRmT1_PNSt15iterator_traitsISK_E10value_typeET2_T3_PNSL_ISQ_E10value_typeET4_jRbjT5_SW_jjP12ihipStream_tbEUlT_E2_NS1_11comp_targetILNS1_3genE9ELNS1_11target_archE1100ELNS1_3gpuE3ELNS1_3repE0EEENS1_30default_config_static_selectorELNS0_4arch9wavefront6targetE0EEEvSK_,comdat
.Lfunc_end1465:
	.size	_ZN7rocprim17ROCPRIM_400000_NS6detail17trampoline_kernelINS0_14default_configENS1_36segmented_radix_sort_config_selectorIflEEZNS1_25segmented_radix_sort_implIS3_Lb0EPKfPfPKlPlN2at6native12_GLOBAL__N_18offset_tEEE10hipError_tPvRmT1_PNSt15iterator_traitsISK_E10value_typeET2_T3_PNSL_ISQ_E10value_typeET4_jRbjT5_SW_jjP12ihipStream_tbEUlT_E2_NS1_11comp_targetILNS1_3genE9ELNS1_11target_archE1100ELNS1_3gpuE3ELNS1_3repE0EEENS1_30default_config_static_selectorELNS0_4arch9wavefront6targetE0EEEvSK_, .Lfunc_end1465-_ZN7rocprim17ROCPRIM_400000_NS6detail17trampoline_kernelINS0_14default_configENS1_36segmented_radix_sort_config_selectorIflEEZNS1_25segmented_radix_sort_implIS3_Lb0EPKfPfPKlPlN2at6native12_GLOBAL__N_18offset_tEEE10hipError_tPvRmT1_PNSt15iterator_traitsISK_E10value_typeET2_T3_PNSL_ISQ_E10value_typeET4_jRbjT5_SW_jjP12ihipStream_tbEUlT_E2_NS1_11comp_targetILNS1_3genE9ELNS1_11target_archE1100ELNS1_3gpuE3ELNS1_3repE0EEENS1_30default_config_static_selectorELNS0_4arch9wavefront6targetE0EEEvSK_
                                        ; -- End function
	.section	.AMDGPU.csdata,"",@progbits
; Kernel info:
; codeLenInByte = 43840
; NumSgprs: 62
; NumVgprs: 209
; ScratchSize: 8
; MemoryBound: 0
; FloatMode: 240
; IeeeMode: 1
; LDSByteSize: 17440 bytes/workgroup (compile time only)
; SGPRBlocks: 7
; VGPRBlocks: 26
; NumSGPRsForWavesPerEU: 62
; NumVGPRsForWavesPerEU: 209
; Occupancy: 7
; WaveLimiterHint : 1
; COMPUTE_PGM_RSRC2:SCRATCH_EN: 1
; COMPUTE_PGM_RSRC2:USER_SGPR: 14
; COMPUTE_PGM_RSRC2:TRAP_HANDLER: 0
; COMPUTE_PGM_RSRC2:TGID_X_EN: 1
; COMPUTE_PGM_RSRC2:TGID_Y_EN: 1
; COMPUTE_PGM_RSRC2:TGID_Z_EN: 0
; COMPUTE_PGM_RSRC2:TIDIG_COMP_CNT: 2
	.section	.text._ZN7rocprim17ROCPRIM_400000_NS6detail17trampoline_kernelINS0_14default_configENS1_36segmented_radix_sort_config_selectorIflEEZNS1_25segmented_radix_sort_implIS3_Lb0EPKfPfPKlPlN2at6native12_GLOBAL__N_18offset_tEEE10hipError_tPvRmT1_PNSt15iterator_traitsISK_E10value_typeET2_T3_PNSL_ISQ_E10value_typeET4_jRbjT5_SW_jjP12ihipStream_tbEUlT_E2_NS1_11comp_targetILNS1_3genE8ELNS1_11target_archE1030ELNS1_3gpuE2ELNS1_3repE0EEENS1_30default_config_static_selectorELNS0_4arch9wavefront6targetE0EEEvSK_,"axG",@progbits,_ZN7rocprim17ROCPRIM_400000_NS6detail17trampoline_kernelINS0_14default_configENS1_36segmented_radix_sort_config_selectorIflEEZNS1_25segmented_radix_sort_implIS3_Lb0EPKfPfPKlPlN2at6native12_GLOBAL__N_18offset_tEEE10hipError_tPvRmT1_PNSt15iterator_traitsISK_E10value_typeET2_T3_PNSL_ISQ_E10value_typeET4_jRbjT5_SW_jjP12ihipStream_tbEUlT_E2_NS1_11comp_targetILNS1_3genE8ELNS1_11target_archE1030ELNS1_3gpuE2ELNS1_3repE0EEENS1_30default_config_static_selectorELNS0_4arch9wavefront6targetE0EEEvSK_,comdat
	.globl	_ZN7rocprim17ROCPRIM_400000_NS6detail17trampoline_kernelINS0_14default_configENS1_36segmented_radix_sort_config_selectorIflEEZNS1_25segmented_radix_sort_implIS3_Lb0EPKfPfPKlPlN2at6native12_GLOBAL__N_18offset_tEEE10hipError_tPvRmT1_PNSt15iterator_traitsISK_E10value_typeET2_T3_PNSL_ISQ_E10value_typeET4_jRbjT5_SW_jjP12ihipStream_tbEUlT_E2_NS1_11comp_targetILNS1_3genE8ELNS1_11target_archE1030ELNS1_3gpuE2ELNS1_3repE0EEENS1_30default_config_static_selectorELNS0_4arch9wavefront6targetE0EEEvSK_ ; -- Begin function _ZN7rocprim17ROCPRIM_400000_NS6detail17trampoline_kernelINS0_14default_configENS1_36segmented_radix_sort_config_selectorIflEEZNS1_25segmented_radix_sort_implIS3_Lb0EPKfPfPKlPlN2at6native12_GLOBAL__N_18offset_tEEE10hipError_tPvRmT1_PNSt15iterator_traitsISK_E10value_typeET2_T3_PNSL_ISQ_E10value_typeET4_jRbjT5_SW_jjP12ihipStream_tbEUlT_E2_NS1_11comp_targetILNS1_3genE8ELNS1_11target_archE1030ELNS1_3gpuE2ELNS1_3repE0EEENS1_30default_config_static_selectorELNS0_4arch9wavefront6targetE0EEEvSK_
	.p2align	8
	.type	_ZN7rocprim17ROCPRIM_400000_NS6detail17trampoline_kernelINS0_14default_configENS1_36segmented_radix_sort_config_selectorIflEEZNS1_25segmented_radix_sort_implIS3_Lb0EPKfPfPKlPlN2at6native12_GLOBAL__N_18offset_tEEE10hipError_tPvRmT1_PNSt15iterator_traitsISK_E10value_typeET2_T3_PNSL_ISQ_E10value_typeET4_jRbjT5_SW_jjP12ihipStream_tbEUlT_E2_NS1_11comp_targetILNS1_3genE8ELNS1_11target_archE1030ELNS1_3gpuE2ELNS1_3repE0EEENS1_30default_config_static_selectorELNS0_4arch9wavefront6targetE0EEEvSK_,@function
_ZN7rocprim17ROCPRIM_400000_NS6detail17trampoline_kernelINS0_14default_configENS1_36segmented_radix_sort_config_selectorIflEEZNS1_25segmented_radix_sort_implIS3_Lb0EPKfPfPKlPlN2at6native12_GLOBAL__N_18offset_tEEE10hipError_tPvRmT1_PNSt15iterator_traitsISK_E10value_typeET2_T3_PNSL_ISQ_E10value_typeET4_jRbjT5_SW_jjP12ihipStream_tbEUlT_E2_NS1_11comp_targetILNS1_3genE8ELNS1_11target_archE1030ELNS1_3gpuE2ELNS1_3repE0EEENS1_30default_config_static_selectorELNS0_4arch9wavefront6targetE0EEEvSK_: ; @_ZN7rocprim17ROCPRIM_400000_NS6detail17trampoline_kernelINS0_14default_configENS1_36segmented_radix_sort_config_selectorIflEEZNS1_25segmented_radix_sort_implIS3_Lb0EPKfPfPKlPlN2at6native12_GLOBAL__N_18offset_tEEE10hipError_tPvRmT1_PNSt15iterator_traitsISK_E10value_typeET2_T3_PNSL_ISQ_E10value_typeET4_jRbjT5_SW_jjP12ihipStream_tbEUlT_E2_NS1_11comp_targetILNS1_3genE8ELNS1_11target_archE1030ELNS1_3gpuE2ELNS1_3repE0EEENS1_30default_config_static_selectorELNS0_4arch9wavefront6targetE0EEEvSK_
; %bb.0:
	.section	.rodata,"a",@progbits
	.p2align	6, 0x0
	.amdhsa_kernel _ZN7rocprim17ROCPRIM_400000_NS6detail17trampoline_kernelINS0_14default_configENS1_36segmented_radix_sort_config_selectorIflEEZNS1_25segmented_radix_sort_implIS3_Lb0EPKfPfPKlPlN2at6native12_GLOBAL__N_18offset_tEEE10hipError_tPvRmT1_PNSt15iterator_traitsISK_E10value_typeET2_T3_PNSL_ISQ_E10value_typeET4_jRbjT5_SW_jjP12ihipStream_tbEUlT_E2_NS1_11comp_targetILNS1_3genE8ELNS1_11target_archE1030ELNS1_3gpuE2ELNS1_3repE0EEENS1_30default_config_static_selectorELNS0_4arch9wavefront6targetE0EEEvSK_
		.amdhsa_group_segment_fixed_size 0
		.amdhsa_private_segment_fixed_size 0
		.amdhsa_kernarg_size 80
		.amdhsa_user_sgpr_count 15
		.amdhsa_user_sgpr_dispatch_ptr 0
		.amdhsa_user_sgpr_queue_ptr 0
		.amdhsa_user_sgpr_kernarg_segment_ptr 1
		.amdhsa_user_sgpr_dispatch_id 0
		.amdhsa_user_sgpr_private_segment_size 0
		.amdhsa_wavefront_size32 1
		.amdhsa_uses_dynamic_stack 0
		.amdhsa_enable_private_segment 0
		.amdhsa_system_sgpr_workgroup_id_x 1
		.amdhsa_system_sgpr_workgroup_id_y 0
		.amdhsa_system_sgpr_workgroup_id_z 0
		.amdhsa_system_sgpr_workgroup_info 0
		.amdhsa_system_vgpr_workitem_id 0
		.amdhsa_next_free_vgpr 1
		.amdhsa_next_free_sgpr 1
		.amdhsa_reserve_vcc 0
		.amdhsa_float_round_mode_32 0
		.amdhsa_float_round_mode_16_64 0
		.amdhsa_float_denorm_mode_32 3
		.amdhsa_float_denorm_mode_16_64 3
		.amdhsa_dx10_clamp 1
		.amdhsa_ieee_mode 1
		.amdhsa_fp16_overflow 0
		.amdhsa_workgroup_processor_mode 1
		.amdhsa_memory_ordered 1
		.amdhsa_forward_progress 0
		.amdhsa_shared_vgpr_count 0
		.amdhsa_exception_fp_ieee_invalid_op 0
		.amdhsa_exception_fp_denorm_src 0
		.amdhsa_exception_fp_ieee_div_zero 0
		.amdhsa_exception_fp_ieee_overflow 0
		.amdhsa_exception_fp_ieee_underflow 0
		.amdhsa_exception_fp_ieee_inexact 0
		.amdhsa_exception_int_div_zero 0
	.end_amdhsa_kernel
	.section	.text._ZN7rocprim17ROCPRIM_400000_NS6detail17trampoline_kernelINS0_14default_configENS1_36segmented_radix_sort_config_selectorIflEEZNS1_25segmented_radix_sort_implIS3_Lb0EPKfPfPKlPlN2at6native12_GLOBAL__N_18offset_tEEE10hipError_tPvRmT1_PNSt15iterator_traitsISK_E10value_typeET2_T3_PNSL_ISQ_E10value_typeET4_jRbjT5_SW_jjP12ihipStream_tbEUlT_E2_NS1_11comp_targetILNS1_3genE8ELNS1_11target_archE1030ELNS1_3gpuE2ELNS1_3repE0EEENS1_30default_config_static_selectorELNS0_4arch9wavefront6targetE0EEEvSK_,"axG",@progbits,_ZN7rocprim17ROCPRIM_400000_NS6detail17trampoline_kernelINS0_14default_configENS1_36segmented_radix_sort_config_selectorIflEEZNS1_25segmented_radix_sort_implIS3_Lb0EPKfPfPKlPlN2at6native12_GLOBAL__N_18offset_tEEE10hipError_tPvRmT1_PNSt15iterator_traitsISK_E10value_typeET2_T3_PNSL_ISQ_E10value_typeET4_jRbjT5_SW_jjP12ihipStream_tbEUlT_E2_NS1_11comp_targetILNS1_3genE8ELNS1_11target_archE1030ELNS1_3gpuE2ELNS1_3repE0EEENS1_30default_config_static_selectorELNS0_4arch9wavefront6targetE0EEEvSK_,comdat
.Lfunc_end1466:
	.size	_ZN7rocprim17ROCPRIM_400000_NS6detail17trampoline_kernelINS0_14default_configENS1_36segmented_radix_sort_config_selectorIflEEZNS1_25segmented_radix_sort_implIS3_Lb0EPKfPfPKlPlN2at6native12_GLOBAL__N_18offset_tEEE10hipError_tPvRmT1_PNSt15iterator_traitsISK_E10value_typeET2_T3_PNSL_ISQ_E10value_typeET4_jRbjT5_SW_jjP12ihipStream_tbEUlT_E2_NS1_11comp_targetILNS1_3genE8ELNS1_11target_archE1030ELNS1_3gpuE2ELNS1_3repE0EEENS1_30default_config_static_selectorELNS0_4arch9wavefront6targetE0EEEvSK_, .Lfunc_end1466-_ZN7rocprim17ROCPRIM_400000_NS6detail17trampoline_kernelINS0_14default_configENS1_36segmented_radix_sort_config_selectorIflEEZNS1_25segmented_radix_sort_implIS3_Lb0EPKfPfPKlPlN2at6native12_GLOBAL__N_18offset_tEEE10hipError_tPvRmT1_PNSt15iterator_traitsISK_E10value_typeET2_T3_PNSL_ISQ_E10value_typeET4_jRbjT5_SW_jjP12ihipStream_tbEUlT_E2_NS1_11comp_targetILNS1_3genE8ELNS1_11target_archE1030ELNS1_3gpuE2ELNS1_3repE0EEENS1_30default_config_static_selectorELNS0_4arch9wavefront6targetE0EEEvSK_
                                        ; -- End function
	.section	.AMDGPU.csdata,"",@progbits
; Kernel info:
; codeLenInByte = 0
; NumSgprs: 0
; NumVgprs: 0
; ScratchSize: 0
; MemoryBound: 0
; FloatMode: 240
; IeeeMode: 1
; LDSByteSize: 0 bytes/workgroup (compile time only)
; SGPRBlocks: 0
; VGPRBlocks: 0
; NumSGPRsForWavesPerEU: 1
; NumVGPRsForWavesPerEU: 1
; Occupancy: 16
; WaveLimiterHint : 0
; COMPUTE_PGM_RSRC2:SCRATCH_EN: 0
; COMPUTE_PGM_RSRC2:USER_SGPR: 15
; COMPUTE_PGM_RSRC2:TRAP_HANDLER: 0
; COMPUTE_PGM_RSRC2:TGID_X_EN: 1
; COMPUTE_PGM_RSRC2:TGID_Y_EN: 0
; COMPUTE_PGM_RSRC2:TGID_Z_EN: 0
; COMPUTE_PGM_RSRC2:TIDIG_COMP_CNT: 0
	.section	.text._ZN2at6native12_GLOBAL__N_123sort_postprocess_kernelIbEEvPKT_PS3_PlPK15HIP_vector_typeIiLj2EEii,"axG",@progbits,_ZN2at6native12_GLOBAL__N_123sort_postprocess_kernelIbEEvPKT_PS3_PlPK15HIP_vector_typeIiLj2EEii,comdat
	.globl	_ZN2at6native12_GLOBAL__N_123sort_postprocess_kernelIbEEvPKT_PS3_PlPK15HIP_vector_typeIiLj2EEii ; -- Begin function _ZN2at6native12_GLOBAL__N_123sort_postprocess_kernelIbEEvPKT_PS3_PlPK15HIP_vector_typeIiLj2EEii
	.p2align	8
	.type	_ZN2at6native12_GLOBAL__N_123sort_postprocess_kernelIbEEvPKT_PS3_PlPK15HIP_vector_typeIiLj2EEii,@function
_ZN2at6native12_GLOBAL__N_123sort_postprocess_kernelIbEEvPKT_PS3_PlPK15HIP_vector_typeIiLj2EEii: ; @_ZN2at6native12_GLOBAL__N_123sort_postprocess_kernelIbEEvPKT_PS3_PlPK15HIP_vector_typeIiLj2EEii
; %bb.0:
	s_clause 0x1
	s_load_b32 s2, s[0:1], 0x34
	s_load_b64 s[6:7], s[0:1], 0x20
	v_mov_b32_e32 v1, 0
	s_add_u32 s4, s0, 40
	s_addc_u32 s5, s1, 0
	s_waitcnt lgkmcnt(0)
	s_and_b32 s13, s2, 0xffff
	s_mul_i32 s2, s7, s6
	v_mad_u64_u32 v[2:3], null, s13, s15, v[0:1]
	s_ashr_i32 s3, s2, 31
	s_mov_b32 s6, exec_lo
	s_delay_alu instid0(VALU_DEP_1)
	v_cmpx_gt_i64_e64 s[2:3], v[2:3]
	s_cbranch_execz .LBB1467_3
; %bb.1:
	s_abs_i32 s12, s7
	s_load_b32 s14, s[4:5], 0x0
	v_cvt_f32_u32_e32 v0, s12
	s_sub_i32 s4, 0, s12
	s_delay_alu instid0(VALU_DEP_1) | instskip(SKIP_2) | instid1(VALU_DEP_1)
	v_rcp_iflag_f32_e32 v0, v0
	s_waitcnt_depctr 0xfff
	v_mul_f32_e32 v0, 0x4f7ffffe, v0
	v_cvt_u32_f32_e32 v0, v0
	s_delay_alu instid0(VALU_DEP_1) | instskip(SKIP_4) | instid1(VALU_DEP_1)
	v_mul_lo_u32 v1, s4, v0
	s_load_b256 s[4:11], s[0:1], 0x0
	s_waitcnt lgkmcnt(0)
	s_mul_i32 s1, s14, s13
	s_mov_b32 s13, 0
	v_mul_hi_u32 v1, v0, v1
	s_delay_alu instid0(VALU_DEP_1)
	v_add_nc_u32_e32 v0, v0, v1
.LBB1467_2:                             ; =>This Inner Loop Header: Depth=1
	v_sub_nc_u32_e32 v1, 0, v2
	v_ashrrev_i32_e32 v5, 31, v2
	s_delay_alu instid0(VALU_DEP_2) | instskip(NEXT) | instid1(VALU_DEP_1)
	v_max_i32_e32 v1, v2, v1
	v_mul_hi_u32 v4, v1, v0
	s_delay_alu instid0(VALU_DEP_1) | instskip(NEXT) | instid1(VALU_DEP_1)
	v_mul_lo_u32 v4, v4, s12
	v_sub_nc_u32_e32 v1, v1, v4
	s_delay_alu instid0(VALU_DEP_1) | instskip(SKIP_1) | instid1(VALU_DEP_2)
	v_subrev_nc_u32_e32 v4, s12, v1
	v_cmp_le_u32_e32 vcc_lo, s12, v1
	v_cndmask_b32_e32 v1, v1, v4, vcc_lo
	s_delay_alu instid0(VALU_DEP_1) | instskip(SKIP_1) | instid1(VALU_DEP_2)
	v_subrev_nc_u32_e32 v4, s12, v1
	v_cmp_le_u32_e32 vcc_lo, s12, v1
	v_dual_cndmask_b32 v1, v1, v4 :: v_dual_add_nc_u32 v4, v2, v5
	s_delay_alu instid0(VALU_DEP_1) | instskip(NEXT) | instid1(VALU_DEP_1)
	v_xor_b32_e32 v1, v1, v5
	v_sub_nc_u32_e32 v4, v4, v1
	v_sub_nc_u32_e32 v6, v1, v5
	s_delay_alu instid0(VALU_DEP_2) | instskip(NEXT) | instid1(VALU_DEP_2)
	v_ashrrev_i32_e32 v5, 31, v4
	v_ashrrev_i32_e32 v7, 31, v6
	s_delay_alu instid0(VALU_DEP_2) | instskip(NEXT) | instid1(VALU_DEP_2)
	v_lshlrev_b64 v[8:9], 3, v[4:5]
	v_lshlrev_b64 v[10:11], 3, v[6:7]
	s_delay_alu instid0(VALU_DEP_2) | instskip(NEXT) | instid1(VALU_DEP_3)
	v_add_co_u32 v1, vcc_lo, s10, v8
	v_add_co_ci_u32_e32 v13, vcc_lo, s11, v9, vcc_lo
	s_delay_alu instid0(VALU_DEP_2) | instskip(NEXT) | instid1(VALU_DEP_2)
	v_add_co_u32 v12, vcc_lo, v1, v10
	v_add_co_ci_u32_e32 v13, vcc_lo, v13, v11, vcc_lo
	v_add_co_u32 v1, vcc_lo, s4, v4
	v_add_co_ci_u32_e32 v15, vcc_lo, s5, v5, vcc_lo
	global_load_b32 v12, v[12:13], off offset:4
	v_add_co_u32 v4, s0, s6, v4
	s_delay_alu instid0(VALU_DEP_1) | instskip(NEXT) | instid1(VALU_DEP_2)
	v_add_co_ci_u32_e64 v5, s0, s7, v5, s0
	v_add_co_u32 v4, s0, v4, v6
	s_delay_alu instid0(VALU_DEP_1) | instskip(SKIP_1) | instid1(VALU_DEP_1)
	v_add_co_ci_u32_e64 v5, s0, v5, v7, s0
	v_add_co_u32 v6, s0, s8, v8
	v_add_co_ci_u32_e64 v7, s0, s9, v9, s0
	s_delay_alu instid0(VALU_DEP_2) | instskip(NEXT) | instid1(VALU_DEP_1)
	v_add_co_u32 v6, s0, v6, v10
	v_add_co_ci_u32_e64 v7, s0, v7, v11, s0
	s_waitcnt vmcnt(0)
	v_ashrrev_i32_e32 v13, 31, v12
	v_add_co_u32 v14, vcc_lo, v1, v12
	s_delay_alu instid0(VALU_DEP_2)
	v_add_co_ci_u32_e32 v15, vcc_lo, v15, v13, vcc_lo
	v_add_co_u32 v2, vcc_lo, v2, s1
	v_add_co_ci_u32_e32 v3, vcc_lo, 0, v3, vcc_lo
	global_load_u8 v1, v[14:15], off
	global_store_b64 v[6:7], v[12:13], off
	s_waitcnt vmcnt(0)
	global_store_b8 v[4:5], v1, off
	v_cmp_le_i64_e32 vcc_lo, s[2:3], v[2:3]
	s_or_b32 s13, vcc_lo, s13
	s_delay_alu instid0(SALU_CYCLE_1)
	s_and_not1_b32 exec_lo, exec_lo, s13
	s_cbranch_execnz .LBB1467_2
.LBB1467_3:
	s_nop 0
	s_sendmsg sendmsg(MSG_DEALLOC_VGPRS)
	s_endpgm
	.section	.rodata,"a",@progbits
	.p2align	6, 0x0
	.amdhsa_kernel _ZN2at6native12_GLOBAL__N_123sort_postprocess_kernelIbEEvPKT_PS3_PlPK15HIP_vector_typeIiLj2EEii
		.amdhsa_group_segment_fixed_size 0
		.amdhsa_private_segment_fixed_size 0
		.amdhsa_kernarg_size 296
		.amdhsa_user_sgpr_count 15
		.amdhsa_user_sgpr_dispatch_ptr 0
		.amdhsa_user_sgpr_queue_ptr 0
		.amdhsa_user_sgpr_kernarg_segment_ptr 1
		.amdhsa_user_sgpr_dispatch_id 0
		.amdhsa_user_sgpr_private_segment_size 0
		.amdhsa_wavefront_size32 1
		.amdhsa_uses_dynamic_stack 0
		.amdhsa_enable_private_segment 0
		.amdhsa_system_sgpr_workgroup_id_x 1
		.amdhsa_system_sgpr_workgroup_id_y 0
		.amdhsa_system_sgpr_workgroup_id_z 0
		.amdhsa_system_sgpr_workgroup_info 0
		.amdhsa_system_vgpr_workitem_id 0
		.amdhsa_next_free_vgpr 16
		.amdhsa_next_free_sgpr 16
		.amdhsa_reserve_vcc 1
		.amdhsa_float_round_mode_32 0
		.amdhsa_float_round_mode_16_64 0
		.amdhsa_float_denorm_mode_32 3
		.amdhsa_float_denorm_mode_16_64 3
		.amdhsa_dx10_clamp 1
		.amdhsa_ieee_mode 1
		.amdhsa_fp16_overflow 0
		.amdhsa_workgroup_processor_mode 1
		.amdhsa_memory_ordered 1
		.amdhsa_forward_progress 0
		.amdhsa_shared_vgpr_count 0
		.amdhsa_exception_fp_ieee_invalid_op 0
		.amdhsa_exception_fp_denorm_src 0
		.amdhsa_exception_fp_ieee_div_zero 0
		.amdhsa_exception_fp_ieee_overflow 0
		.amdhsa_exception_fp_ieee_underflow 0
		.amdhsa_exception_fp_ieee_inexact 0
		.amdhsa_exception_int_div_zero 0
	.end_amdhsa_kernel
	.section	.text._ZN2at6native12_GLOBAL__N_123sort_postprocess_kernelIbEEvPKT_PS3_PlPK15HIP_vector_typeIiLj2EEii,"axG",@progbits,_ZN2at6native12_GLOBAL__N_123sort_postprocess_kernelIbEEvPKT_PS3_PlPK15HIP_vector_typeIiLj2EEii,comdat
.Lfunc_end1467:
	.size	_ZN2at6native12_GLOBAL__N_123sort_postprocess_kernelIbEEvPKT_PS3_PlPK15HIP_vector_typeIiLj2EEii, .Lfunc_end1467-_ZN2at6native12_GLOBAL__N_123sort_postprocess_kernelIbEEvPKT_PS3_PlPK15HIP_vector_typeIiLj2EEii
                                        ; -- End function
	.section	.AMDGPU.csdata,"",@progbits
; Kernel info:
; codeLenInByte = 520
; NumSgprs: 18
; NumVgprs: 16
; ScratchSize: 0
; MemoryBound: 0
; FloatMode: 240
; IeeeMode: 1
; LDSByteSize: 0 bytes/workgroup (compile time only)
; SGPRBlocks: 2
; VGPRBlocks: 1
; NumSGPRsForWavesPerEU: 18
; NumVGPRsForWavesPerEU: 16
; Occupancy: 16
; WaveLimiterHint : 1
; COMPUTE_PGM_RSRC2:SCRATCH_EN: 0
; COMPUTE_PGM_RSRC2:USER_SGPR: 15
; COMPUTE_PGM_RSRC2:TRAP_HANDLER: 0
; COMPUTE_PGM_RSRC2:TGID_X_EN: 1
; COMPUTE_PGM_RSRC2:TGID_Y_EN: 0
; COMPUTE_PGM_RSRC2:TGID_Z_EN: 0
; COMPUTE_PGM_RSRC2:TIDIG_COMP_CNT: 0
	.section	.text._ZN7rocprim17ROCPRIM_400000_NS6detail17trampoline_kernelINS0_13select_configILj256ELj13ELNS0_17block_load_methodE3ELS4_3ELS4_3ELNS0_20block_scan_algorithmE0ELj4294967295EEENS1_25partition_config_selectorILNS1_17partition_subalgoE4EjNS0_10empty_typeEbEEZZNS1_14partition_implILS8_4ELb0ES6_15HIP_vector_typeIjLj2EENS0_17counting_iteratorIjlEEPS9_SG_NS0_5tupleIJPjSI_NS0_16reverse_iteratorISI_EEEEENSH_IJSG_SG_SG_EEES9_SI_JZNS1_25segmented_radix_sort_implINS0_14default_configELb1EPKbPbPKlPlN2at6native12_GLOBAL__N_18offset_tEEE10hipError_tPvRmT1_PNSt15iterator_traitsIS12_E10value_typeET2_T3_PNS13_IS18_E10value_typeET4_jRbjT5_S1E_jjP12ihipStream_tbEUljE_ZNSN_ISO_Lb1ESQ_SR_ST_SU_SY_EESZ_S10_S11_S12_S16_S17_S18_S1B_S1C_jS1D_jS1E_S1E_jjS1G_bEUljE0_EEESZ_S10_S11_S18_S1C_S1E_T6_T7_T9_mT8_S1G_bDpT10_ENKUlT_T0_E_clISt17integral_constantIbLb0EES1U_EEDaS1P_S1Q_EUlS1P_E_NS1_11comp_targetILNS1_3genE0ELNS1_11target_archE4294967295ELNS1_3gpuE0ELNS1_3repE0EEENS1_30default_config_static_selectorELNS0_4arch9wavefront6targetE0EEEvS12_,"axG",@progbits,_ZN7rocprim17ROCPRIM_400000_NS6detail17trampoline_kernelINS0_13select_configILj256ELj13ELNS0_17block_load_methodE3ELS4_3ELS4_3ELNS0_20block_scan_algorithmE0ELj4294967295EEENS1_25partition_config_selectorILNS1_17partition_subalgoE4EjNS0_10empty_typeEbEEZZNS1_14partition_implILS8_4ELb0ES6_15HIP_vector_typeIjLj2EENS0_17counting_iteratorIjlEEPS9_SG_NS0_5tupleIJPjSI_NS0_16reverse_iteratorISI_EEEEENSH_IJSG_SG_SG_EEES9_SI_JZNS1_25segmented_radix_sort_implINS0_14default_configELb1EPKbPbPKlPlN2at6native12_GLOBAL__N_18offset_tEEE10hipError_tPvRmT1_PNSt15iterator_traitsIS12_E10value_typeET2_T3_PNS13_IS18_E10value_typeET4_jRbjT5_S1E_jjP12ihipStream_tbEUljE_ZNSN_ISO_Lb1ESQ_SR_ST_SU_SY_EESZ_S10_S11_S12_S16_S17_S18_S1B_S1C_jS1D_jS1E_S1E_jjS1G_bEUljE0_EEESZ_S10_S11_S18_S1C_S1E_T6_T7_T9_mT8_S1G_bDpT10_ENKUlT_T0_E_clISt17integral_constantIbLb0EES1U_EEDaS1P_S1Q_EUlS1P_E_NS1_11comp_targetILNS1_3genE0ELNS1_11target_archE4294967295ELNS1_3gpuE0ELNS1_3repE0EEENS1_30default_config_static_selectorELNS0_4arch9wavefront6targetE0EEEvS12_,comdat
	.globl	_ZN7rocprim17ROCPRIM_400000_NS6detail17trampoline_kernelINS0_13select_configILj256ELj13ELNS0_17block_load_methodE3ELS4_3ELS4_3ELNS0_20block_scan_algorithmE0ELj4294967295EEENS1_25partition_config_selectorILNS1_17partition_subalgoE4EjNS0_10empty_typeEbEEZZNS1_14partition_implILS8_4ELb0ES6_15HIP_vector_typeIjLj2EENS0_17counting_iteratorIjlEEPS9_SG_NS0_5tupleIJPjSI_NS0_16reverse_iteratorISI_EEEEENSH_IJSG_SG_SG_EEES9_SI_JZNS1_25segmented_radix_sort_implINS0_14default_configELb1EPKbPbPKlPlN2at6native12_GLOBAL__N_18offset_tEEE10hipError_tPvRmT1_PNSt15iterator_traitsIS12_E10value_typeET2_T3_PNS13_IS18_E10value_typeET4_jRbjT5_S1E_jjP12ihipStream_tbEUljE_ZNSN_ISO_Lb1ESQ_SR_ST_SU_SY_EESZ_S10_S11_S12_S16_S17_S18_S1B_S1C_jS1D_jS1E_S1E_jjS1G_bEUljE0_EEESZ_S10_S11_S18_S1C_S1E_T6_T7_T9_mT8_S1G_bDpT10_ENKUlT_T0_E_clISt17integral_constantIbLb0EES1U_EEDaS1P_S1Q_EUlS1P_E_NS1_11comp_targetILNS1_3genE0ELNS1_11target_archE4294967295ELNS1_3gpuE0ELNS1_3repE0EEENS1_30default_config_static_selectorELNS0_4arch9wavefront6targetE0EEEvS12_ ; -- Begin function _ZN7rocprim17ROCPRIM_400000_NS6detail17trampoline_kernelINS0_13select_configILj256ELj13ELNS0_17block_load_methodE3ELS4_3ELS4_3ELNS0_20block_scan_algorithmE0ELj4294967295EEENS1_25partition_config_selectorILNS1_17partition_subalgoE4EjNS0_10empty_typeEbEEZZNS1_14partition_implILS8_4ELb0ES6_15HIP_vector_typeIjLj2EENS0_17counting_iteratorIjlEEPS9_SG_NS0_5tupleIJPjSI_NS0_16reverse_iteratorISI_EEEEENSH_IJSG_SG_SG_EEES9_SI_JZNS1_25segmented_radix_sort_implINS0_14default_configELb1EPKbPbPKlPlN2at6native12_GLOBAL__N_18offset_tEEE10hipError_tPvRmT1_PNSt15iterator_traitsIS12_E10value_typeET2_T3_PNS13_IS18_E10value_typeET4_jRbjT5_S1E_jjP12ihipStream_tbEUljE_ZNSN_ISO_Lb1ESQ_SR_ST_SU_SY_EESZ_S10_S11_S12_S16_S17_S18_S1B_S1C_jS1D_jS1E_S1E_jjS1G_bEUljE0_EEESZ_S10_S11_S18_S1C_S1E_T6_T7_T9_mT8_S1G_bDpT10_ENKUlT_T0_E_clISt17integral_constantIbLb0EES1U_EEDaS1P_S1Q_EUlS1P_E_NS1_11comp_targetILNS1_3genE0ELNS1_11target_archE4294967295ELNS1_3gpuE0ELNS1_3repE0EEENS1_30default_config_static_selectorELNS0_4arch9wavefront6targetE0EEEvS12_
	.p2align	8
	.type	_ZN7rocprim17ROCPRIM_400000_NS6detail17trampoline_kernelINS0_13select_configILj256ELj13ELNS0_17block_load_methodE3ELS4_3ELS4_3ELNS0_20block_scan_algorithmE0ELj4294967295EEENS1_25partition_config_selectorILNS1_17partition_subalgoE4EjNS0_10empty_typeEbEEZZNS1_14partition_implILS8_4ELb0ES6_15HIP_vector_typeIjLj2EENS0_17counting_iteratorIjlEEPS9_SG_NS0_5tupleIJPjSI_NS0_16reverse_iteratorISI_EEEEENSH_IJSG_SG_SG_EEES9_SI_JZNS1_25segmented_radix_sort_implINS0_14default_configELb1EPKbPbPKlPlN2at6native12_GLOBAL__N_18offset_tEEE10hipError_tPvRmT1_PNSt15iterator_traitsIS12_E10value_typeET2_T3_PNS13_IS18_E10value_typeET4_jRbjT5_S1E_jjP12ihipStream_tbEUljE_ZNSN_ISO_Lb1ESQ_SR_ST_SU_SY_EESZ_S10_S11_S12_S16_S17_S18_S1B_S1C_jS1D_jS1E_S1E_jjS1G_bEUljE0_EEESZ_S10_S11_S18_S1C_S1E_T6_T7_T9_mT8_S1G_bDpT10_ENKUlT_T0_E_clISt17integral_constantIbLb0EES1U_EEDaS1P_S1Q_EUlS1P_E_NS1_11comp_targetILNS1_3genE0ELNS1_11target_archE4294967295ELNS1_3gpuE0ELNS1_3repE0EEENS1_30default_config_static_selectorELNS0_4arch9wavefront6targetE0EEEvS12_,@function
_ZN7rocprim17ROCPRIM_400000_NS6detail17trampoline_kernelINS0_13select_configILj256ELj13ELNS0_17block_load_methodE3ELS4_3ELS4_3ELNS0_20block_scan_algorithmE0ELj4294967295EEENS1_25partition_config_selectorILNS1_17partition_subalgoE4EjNS0_10empty_typeEbEEZZNS1_14partition_implILS8_4ELb0ES6_15HIP_vector_typeIjLj2EENS0_17counting_iteratorIjlEEPS9_SG_NS0_5tupleIJPjSI_NS0_16reverse_iteratorISI_EEEEENSH_IJSG_SG_SG_EEES9_SI_JZNS1_25segmented_radix_sort_implINS0_14default_configELb1EPKbPbPKlPlN2at6native12_GLOBAL__N_18offset_tEEE10hipError_tPvRmT1_PNSt15iterator_traitsIS12_E10value_typeET2_T3_PNS13_IS18_E10value_typeET4_jRbjT5_S1E_jjP12ihipStream_tbEUljE_ZNSN_ISO_Lb1ESQ_SR_ST_SU_SY_EESZ_S10_S11_S12_S16_S17_S18_S1B_S1C_jS1D_jS1E_S1E_jjS1G_bEUljE0_EEESZ_S10_S11_S18_S1C_S1E_T6_T7_T9_mT8_S1G_bDpT10_ENKUlT_T0_E_clISt17integral_constantIbLb0EES1U_EEDaS1P_S1Q_EUlS1P_E_NS1_11comp_targetILNS1_3genE0ELNS1_11target_archE4294967295ELNS1_3gpuE0ELNS1_3repE0EEENS1_30default_config_static_selectorELNS0_4arch9wavefront6targetE0EEEvS12_: ; @_ZN7rocprim17ROCPRIM_400000_NS6detail17trampoline_kernelINS0_13select_configILj256ELj13ELNS0_17block_load_methodE3ELS4_3ELS4_3ELNS0_20block_scan_algorithmE0ELj4294967295EEENS1_25partition_config_selectorILNS1_17partition_subalgoE4EjNS0_10empty_typeEbEEZZNS1_14partition_implILS8_4ELb0ES6_15HIP_vector_typeIjLj2EENS0_17counting_iteratorIjlEEPS9_SG_NS0_5tupleIJPjSI_NS0_16reverse_iteratorISI_EEEEENSH_IJSG_SG_SG_EEES9_SI_JZNS1_25segmented_radix_sort_implINS0_14default_configELb1EPKbPbPKlPlN2at6native12_GLOBAL__N_18offset_tEEE10hipError_tPvRmT1_PNSt15iterator_traitsIS12_E10value_typeET2_T3_PNS13_IS18_E10value_typeET4_jRbjT5_S1E_jjP12ihipStream_tbEUljE_ZNSN_ISO_Lb1ESQ_SR_ST_SU_SY_EESZ_S10_S11_S12_S16_S17_S18_S1B_S1C_jS1D_jS1E_S1E_jjS1G_bEUljE0_EEESZ_S10_S11_S18_S1C_S1E_T6_T7_T9_mT8_S1G_bDpT10_ENKUlT_T0_E_clISt17integral_constantIbLb0EES1U_EEDaS1P_S1Q_EUlS1P_E_NS1_11comp_targetILNS1_3genE0ELNS1_11target_archE4294967295ELNS1_3gpuE0ELNS1_3repE0EEENS1_30default_config_static_selectorELNS0_4arch9wavefront6targetE0EEEvS12_
; %bb.0:
	.section	.rodata,"a",@progbits
	.p2align	6, 0x0
	.amdhsa_kernel _ZN7rocprim17ROCPRIM_400000_NS6detail17trampoline_kernelINS0_13select_configILj256ELj13ELNS0_17block_load_methodE3ELS4_3ELS4_3ELNS0_20block_scan_algorithmE0ELj4294967295EEENS1_25partition_config_selectorILNS1_17partition_subalgoE4EjNS0_10empty_typeEbEEZZNS1_14partition_implILS8_4ELb0ES6_15HIP_vector_typeIjLj2EENS0_17counting_iteratorIjlEEPS9_SG_NS0_5tupleIJPjSI_NS0_16reverse_iteratorISI_EEEEENSH_IJSG_SG_SG_EEES9_SI_JZNS1_25segmented_radix_sort_implINS0_14default_configELb1EPKbPbPKlPlN2at6native12_GLOBAL__N_18offset_tEEE10hipError_tPvRmT1_PNSt15iterator_traitsIS12_E10value_typeET2_T3_PNS13_IS18_E10value_typeET4_jRbjT5_S1E_jjP12ihipStream_tbEUljE_ZNSN_ISO_Lb1ESQ_SR_ST_SU_SY_EESZ_S10_S11_S12_S16_S17_S18_S1B_S1C_jS1D_jS1E_S1E_jjS1G_bEUljE0_EEESZ_S10_S11_S18_S1C_S1E_T6_T7_T9_mT8_S1G_bDpT10_ENKUlT_T0_E_clISt17integral_constantIbLb0EES1U_EEDaS1P_S1Q_EUlS1P_E_NS1_11comp_targetILNS1_3genE0ELNS1_11target_archE4294967295ELNS1_3gpuE0ELNS1_3repE0EEENS1_30default_config_static_selectorELNS0_4arch9wavefront6targetE0EEEvS12_
		.amdhsa_group_segment_fixed_size 0
		.amdhsa_private_segment_fixed_size 0
		.amdhsa_kernarg_size 176
		.amdhsa_user_sgpr_count 15
		.amdhsa_user_sgpr_dispatch_ptr 0
		.amdhsa_user_sgpr_queue_ptr 0
		.amdhsa_user_sgpr_kernarg_segment_ptr 1
		.amdhsa_user_sgpr_dispatch_id 0
		.amdhsa_user_sgpr_private_segment_size 0
		.amdhsa_wavefront_size32 1
		.amdhsa_uses_dynamic_stack 0
		.amdhsa_enable_private_segment 0
		.amdhsa_system_sgpr_workgroup_id_x 1
		.amdhsa_system_sgpr_workgroup_id_y 0
		.amdhsa_system_sgpr_workgroup_id_z 0
		.amdhsa_system_sgpr_workgroup_info 0
		.amdhsa_system_vgpr_workitem_id 0
		.amdhsa_next_free_vgpr 1
		.amdhsa_next_free_sgpr 1
		.amdhsa_reserve_vcc 0
		.amdhsa_float_round_mode_32 0
		.amdhsa_float_round_mode_16_64 0
		.amdhsa_float_denorm_mode_32 3
		.amdhsa_float_denorm_mode_16_64 3
		.amdhsa_dx10_clamp 1
		.amdhsa_ieee_mode 1
		.amdhsa_fp16_overflow 0
		.amdhsa_workgroup_processor_mode 1
		.amdhsa_memory_ordered 1
		.amdhsa_forward_progress 0
		.amdhsa_shared_vgpr_count 0
		.amdhsa_exception_fp_ieee_invalid_op 0
		.amdhsa_exception_fp_denorm_src 0
		.amdhsa_exception_fp_ieee_div_zero 0
		.amdhsa_exception_fp_ieee_overflow 0
		.amdhsa_exception_fp_ieee_underflow 0
		.amdhsa_exception_fp_ieee_inexact 0
		.amdhsa_exception_int_div_zero 0
	.end_amdhsa_kernel
	.section	.text._ZN7rocprim17ROCPRIM_400000_NS6detail17trampoline_kernelINS0_13select_configILj256ELj13ELNS0_17block_load_methodE3ELS4_3ELS4_3ELNS0_20block_scan_algorithmE0ELj4294967295EEENS1_25partition_config_selectorILNS1_17partition_subalgoE4EjNS0_10empty_typeEbEEZZNS1_14partition_implILS8_4ELb0ES6_15HIP_vector_typeIjLj2EENS0_17counting_iteratorIjlEEPS9_SG_NS0_5tupleIJPjSI_NS0_16reverse_iteratorISI_EEEEENSH_IJSG_SG_SG_EEES9_SI_JZNS1_25segmented_radix_sort_implINS0_14default_configELb1EPKbPbPKlPlN2at6native12_GLOBAL__N_18offset_tEEE10hipError_tPvRmT1_PNSt15iterator_traitsIS12_E10value_typeET2_T3_PNS13_IS18_E10value_typeET4_jRbjT5_S1E_jjP12ihipStream_tbEUljE_ZNSN_ISO_Lb1ESQ_SR_ST_SU_SY_EESZ_S10_S11_S12_S16_S17_S18_S1B_S1C_jS1D_jS1E_S1E_jjS1G_bEUljE0_EEESZ_S10_S11_S18_S1C_S1E_T6_T7_T9_mT8_S1G_bDpT10_ENKUlT_T0_E_clISt17integral_constantIbLb0EES1U_EEDaS1P_S1Q_EUlS1P_E_NS1_11comp_targetILNS1_3genE0ELNS1_11target_archE4294967295ELNS1_3gpuE0ELNS1_3repE0EEENS1_30default_config_static_selectorELNS0_4arch9wavefront6targetE0EEEvS12_,"axG",@progbits,_ZN7rocprim17ROCPRIM_400000_NS6detail17trampoline_kernelINS0_13select_configILj256ELj13ELNS0_17block_load_methodE3ELS4_3ELS4_3ELNS0_20block_scan_algorithmE0ELj4294967295EEENS1_25partition_config_selectorILNS1_17partition_subalgoE4EjNS0_10empty_typeEbEEZZNS1_14partition_implILS8_4ELb0ES6_15HIP_vector_typeIjLj2EENS0_17counting_iteratorIjlEEPS9_SG_NS0_5tupleIJPjSI_NS0_16reverse_iteratorISI_EEEEENSH_IJSG_SG_SG_EEES9_SI_JZNS1_25segmented_radix_sort_implINS0_14default_configELb1EPKbPbPKlPlN2at6native12_GLOBAL__N_18offset_tEEE10hipError_tPvRmT1_PNSt15iterator_traitsIS12_E10value_typeET2_T3_PNS13_IS18_E10value_typeET4_jRbjT5_S1E_jjP12ihipStream_tbEUljE_ZNSN_ISO_Lb1ESQ_SR_ST_SU_SY_EESZ_S10_S11_S12_S16_S17_S18_S1B_S1C_jS1D_jS1E_S1E_jjS1G_bEUljE0_EEESZ_S10_S11_S18_S1C_S1E_T6_T7_T9_mT8_S1G_bDpT10_ENKUlT_T0_E_clISt17integral_constantIbLb0EES1U_EEDaS1P_S1Q_EUlS1P_E_NS1_11comp_targetILNS1_3genE0ELNS1_11target_archE4294967295ELNS1_3gpuE0ELNS1_3repE0EEENS1_30default_config_static_selectorELNS0_4arch9wavefront6targetE0EEEvS12_,comdat
.Lfunc_end1468:
	.size	_ZN7rocprim17ROCPRIM_400000_NS6detail17trampoline_kernelINS0_13select_configILj256ELj13ELNS0_17block_load_methodE3ELS4_3ELS4_3ELNS0_20block_scan_algorithmE0ELj4294967295EEENS1_25partition_config_selectorILNS1_17partition_subalgoE4EjNS0_10empty_typeEbEEZZNS1_14partition_implILS8_4ELb0ES6_15HIP_vector_typeIjLj2EENS0_17counting_iteratorIjlEEPS9_SG_NS0_5tupleIJPjSI_NS0_16reverse_iteratorISI_EEEEENSH_IJSG_SG_SG_EEES9_SI_JZNS1_25segmented_radix_sort_implINS0_14default_configELb1EPKbPbPKlPlN2at6native12_GLOBAL__N_18offset_tEEE10hipError_tPvRmT1_PNSt15iterator_traitsIS12_E10value_typeET2_T3_PNS13_IS18_E10value_typeET4_jRbjT5_S1E_jjP12ihipStream_tbEUljE_ZNSN_ISO_Lb1ESQ_SR_ST_SU_SY_EESZ_S10_S11_S12_S16_S17_S18_S1B_S1C_jS1D_jS1E_S1E_jjS1G_bEUljE0_EEESZ_S10_S11_S18_S1C_S1E_T6_T7_T9_mT8_S1G_bDpT10_ENKUlT_T0_E_clISt17integral_constantIbLb0EES1U_EEDaS1P_S1Q_EUlS1P_E_NS1_11comp_targetILNS1_3genE0ELNS1_11target_archE4294967295ELNS1_3gpuE0ELNS1_3repE0EEENS1_30default_config_static_selectorELNS0_4arch9wavefront6targetE0EEEvS12_, .Lfunc_end1468-_ZN7rocprim17ROCPRIM_400000_NS6detail17trampoline_kernelINS0_13select_configILj256ELj13ELNS0_17block_load_methodE3ELS4_3ELS4_3ELNS0_20block_scan_algorithmE0ELj4294967295EEENS1_25partition_config_selectorILNS1_17partition_subalgoE4EjNS0_10empty_typeEbEEZZNS1_14partition_implILS8_4ELb0ES6_15HIP_vector_typeIjLj2EENS0_17counting_iteratorIjlEEPS9_SG_NS0_5tupleIJPjSI_NS0_16reverse_iteratorISI_EEEEENSH_IJSG_SG_SG_EEES9_SI_JZNS1_25segmented_radix_sort_implINS0_14default_configELb1EPKbPbPKlPlN2at6native12_GLOBAL__N_18offset_tEEE10hipError_tPvRmT1_PNSt15iterator_traitsIS12_E10value_typeET2_T3_PNS13_IS18_E10value_typeET4_jRbjT5_S1E_jjP12ihipStream_tbEUljE_ZNSN_ISO_Lb1ESQ_SR_ST_SU_SY_EESZ_S10_S11_S12_S16_S17_S18_S1B_S1C_jS1D_jS1E_S1E_jjS1G_bEUljE0_EEESZ_S10_S11_S18_S1C_S1E_T6_T7_T9_mT8_S1G_bDpT10_ENKUlT_T0_E_clISt17integral_constantIbLb0EES1U_EEDaS1P_S1Q_EUlS1P_E_NS1_11comp_targetILNS1_3genE0ELNS1_11target_archE4294967295ELNS1_3gpuE0ELNS1_3repE0EEENS1_30default_config_static_selectorELNS0_4arch9wavefront6targetE0EEEvS12_
                                        ; -- End function
	.section	.AMDGPU.csdata,"",@progbits
; Kernel info:
; codeLenInByte = 0
; NumSgprs: 0
; NumVgprs: 0
; ScratchSize: 0
; MemoryBound: 0
; FloatMode: 240
; IeeeMode: 1
; LDSByteSize: 0 bytes/workgroup (compile time only)
; SGPRBlocks: 0
; VGPRBlocks: 0
; NumSGPRsForWavesPerEU: 1
; NumVGPRsForWavesPerEU: 1
; Occupancy: 16
; WaveLimiterHint : 0
; COMPUTE_PGM_RSRC2:SCRATCH_EN: 0
; COMPUTE_PGM_RSRC2:USER_SGPR: 15
; COMPUTE_PGM_RSRC2:TRAP_HANDLER: 0
; COMPUTE_PGM_RSRC2:TGID_X_EN: 1
; COMPUTE_PGM_RSRC2:TGID_Y_EN: 0
; COMPUTE_PGM_RSRC2:TGID_Z_EN: 0
; COMPUTE_PGM_RSRC2:TIDIG_COMP_CNT: 0
	.section	.text._ZN7rocprim17ROCPRIM_400000_NS6detail17trampoline_kernelINS0_13select_configILj256ELj13ELNS0_17block_load_methodE3ELS4_3ELS4_3ELNS0_20block_scan_algorithmE0ELj4294967295EEENS1_25partition_config_selectorILNS1_17partition_subalgoE4EjNS0_10empty_typeEbEEZZNS1_14partition_implILS8_4ELb0ES6_15HIP_vector_typeIjLj2EENS0_17counting_iteratorIjlEEPS9_SG_NS0_5tupleIJPjSI_NS0_16reverse_iteratorISI_EEEEENSH_IJSG_SG_SG_EEES9_SI_JZNS1_25segmented_radix_sort_implINS0_14default_configELb1EPKbPbPKlPlN2at6native12_GLOBAL__N_18offset_tEEE10hipError_tPvRmT1_PNSt15iterator_traitsIS12_E10value_typeET2_T3_PNS13_IS18_E10value_typeET4_jRbjT5_S1E_jjP12ihipStream_tbEUljE_ZNSN_ISO_Lb1ESQ_SR_ST_SU_SY_EESZ_S10_S11_S12_S16_S17_S18_S1B_S1C_jS1D_jS1E_S1E_jjS1G_bEUljE0_EEESZ_S10_S11_S18_S1C_S1E_T6_T7_T9_mT8_S1G_bDpT10_ENKUlT_T0_E_clISt17integral_constantIbLb0EES1U_EEDaS1P_S1Q_EUlS1P_E_NS1_11comp_targetILNS1_3genE5ELNS1_11target_archE942ELNS1_3gpuE9ELNS1_3repE0EEENS1_30default_config_static_selectorELNS0_4arch9wavefront6targetE0EEEvS12_,"axG",@progbits,_ZN7rocprim17ROCPRIM_400000_NS6detail17trampoline_kernelINS0_13select_configILj256ELj13ELNS0_17block_load_methodE3ELS4_3ELS4_3ELNS0_20block_scan_algorithmE0ELj4294967295EEENS1_25partition_config_selectorILNS1_17partition_subalgoE4EjNS0_10empty_typeEbEEZZNS1_14partition_implILS8_4ELb0ES6_15HIP_vector_typeIjLj2EENS0_17counting_iteratorIjlEEPS9_SG_NS0_5tupleIJPjSI_NS0_16reverse_iteratorISI_EEEEENSH_IJSG_SG_SG_EEES9_SI_JZNS1_25segmented_radix_sort_implINS0_14default_configELb1EPKbPbPKlPlN2at6native12_GLOBAL__N_18offset_tEEE10hipError_tPvRmT1_PNSt15iterator_traitsIS12_E10value_typeET2_T3_PNS13_IS18_E10value_typeET4_jRbjT5_S1E_jjP12ihipStream_tbEUljE_ZNSN_ISO_Lb1ESQ_SR_ST_SU_SY_EESZ_S10_S11_S12_S16_S17_S18_S1B_S1C_jS1D_jS1E_S1E_jjS1G_bEUljE0_EEESZ_S10_S11_S18_S1C_S1E_T6_T7_T9_mT8_S1G_bDpT10_ENKUlT_T0_E_clISt17integral_constantIbLb0EES1U_EEDaS1P_S1Q_EUlS1P_E_NS1_11comp_targetILNS1_3genE5ELNS1_11target_archE942ELNS1_3gpuE9ELNS1_3repE0EEENS1_30default_config_static_selectorELNS0_4arch9wavefront6targetE0EEEvS12_,comdat
	.globl	_ZN7rocprim17ROCPRIM_400000_NS6detail17trampoline_kernelINS0_13select_configILj256ELj13ELNS0_17block_load_methodE3ELS4_3ELS4_3ELNS0_20block_scan_algorithmE0ELj4294967295EEENS1_25partition_config_selectorILNS1_17partition_subalgoE4EjNS0_10empty_typeEbEEZZNS1_14partition_implILS8_4ELb0ES6_15HIP_vector_typeIjLj2EENS0_17counting_iteratorIjlEEPS9_SG_NS0_5tupleIJPjSI_NS0_16reverse_iteratorISI_EEEEENSH_IJSG_SG_SG_EEES9_SI_JZNS1_25segmented_radix_sort_implINS0_14default_configELb1EPKbPbPKlPlN2at6native12_GLOBAL__N_18offset_tEEE10hipError_tPvRmT1_PNSt15iterator_traitsIS12_E10value_typeET2_T3_PNS13_IS18_E10value_typeET4_jRbjT5_S1E_jjP12ihipStream_tbEUljE_ZNSN_ISO_Lb1ESQ_SR_ST_SU_SY_EESZ_S10_S11_S12_S16_S17_S18_S1B_S1C_jS1D_jS1E_S1E_jjS1G_bEUljE0_EEESZ_S10_S11_S18_S1C_S1E_T6_T7_T9_mT8_S1G_bDpT10_ENKUlT_T0_E_clISt17integral_constantIbLb0EES1U_EEDaS1P_S1Q_EUlS1P_E_NS1_11comp_targetILNS1_3genE5ELNS1_11target_archE942ELNS1_3gpuE9ELNS1_3repE0EEENS1_30default_config_static_selectorELNS0_4arch9wavefront6targetE0EEEvS12_ ; -- Begin function _ZN7rocprim17ROCPRIM_400000_NS6detail17trampoline_kernelINS0_13select_configILj256ELj13ELNS0_17block_load_methodE3ELS4_3ELS4_3ELNS0_20block_scan_algorithmE0ELj4294967295EEENS1_25partition_config_selectorILNS1_17partition_subalgoE4EjNS0_10empty_typeEbEEZZNS1_14partition_implILS8_4ELb0ES6_15HIP_vector_typeIjLj2EENS0_17counting_iteratorIjlEEPS9_SG_NS0_5tupleIJPjSI_NS0_16reverse_iteratorISI_EEEEENSH_IJSG_SG_SG_EEES9_SI_JZNS1_25segmented_radix_sort_implINS0_14default_configELb1EPKbPbPKlPlN2at6native12_GLOBAL__N_18offset_tEEE10hipError_tPvRmT1_PNSt15iterator_traitsIS12_E10value_typeET2_T3_PNS13_IS18_E10value_typeET4_jRbjT5_S1E_jjP12ihipStream_tbEUljE_ZNSN_ISO_Lb1ESQ_SR_ST_SU_SY_EESZ_S10_S11_S12_S16_S17_S18_S1B_S1C_jS1D_jS1E_S1E_jjS1G_bEUljE0_EEESZ_S10_S11_S18_S1C_S1E_T6_T7_T9_mT8_S1G_bDpT10_ENKUlT_T0_E_clISt17integral_constantIbLb0EES1U_EEDaS1P_S1Q_EUlS1P_E_NS1_11comp_targetILNS1_3genE5ELNS1_11target_archE942ELNS1_3gpuE9ELNS1_3repE0EEENS1_30default_config_static_selectorELNS0_4arch9wavefront6targetE0EEEvS12_
	.p2align	8
	.type	_ZN7rocprim17ROCPRIM_400000_NS6detail17trampoline_kernelINS0_13select_configILj256ELj13ELNS0_17block_load_methodE3ELS4_3ELS4_3ELNS0_20block_scan_algorithmE0ELj4294967295EEENS1_25partition_config_selectorILNS1_17partition_subalgoE4EjNS0_10empty_typeEbEEZZNS1_14partition_implILS8_4ELb0ES6_15HIP_vector_typeIjLj2EENS0_17counting_iteratorIjlEEPS9_SG_NS0_5tupleIJPjSI_NS0_16reverse_iteratorISI_EEEEENSH_IJSG_SG_SG_EEES9_SI_JZNS1_25segmented_radix_sort_implINS0_14default_configELb1EPKbPbPKlPlN2at6native12_GLOBAL__N_18offset_tEEE10hipError_tPvRmT1_PNSt15iterator_traitsIS12_E10value_typeET2_T3_PNS13_IS18_E10value_typeET4_jRbjT5_S1E_jjP12ihipStream_tbEUljE_ZNSN_ISO_Lb1ESQ_SR_ST_SU_SY_EESZ_S10_S11_S12_S16_S17_S18_S1B_S1C_jS1D_jS1E_S1E_jjS1G_bEUljE0_EEESZ_S10_S11_S18_S1C_S1E_T6_T7_T9_mT8_S1G_bDpT10_ENKUlT_T0_E_clISt17integral_constantIbLb0EES1U_EEDaS1P_S1Q_EUlS1P_E_NS1_11comp_targetILNS1_3genE5ELNS1_11target_archE942ELNS1_3gpuE9ELNS1_3repE0EEENS1_30default_config_static_selectorELNS0_4arch9wavefront6targetE0EEEvS12_,@function
_ZN7rocprim17ROCPRIM_400000_NS6detail17trampoline_kernelINS0_13select_configILj256ELj13ELNS0_17block_load_methodE3ELS4_3ELS4_3ELNS0_20block_scan_algorithmE0ELj4294967295EEENS1_25partition_config_selectorILNS1_17partition_subalgoE4EjNS0_10empty_typeEbEEZZNS1_14partition_implILS8_4ELb0ES6_15HIP_vector_typeIjLj2EENS0_17counting_iteratorIjlEEPS9_SG_NS0_5tupleIJPjSI_NS0_16reverse_iteratorISI_EEEEENSH_IJSG_SG_SG_EEES9_SI_JZNS1_25segmented_radix_sort_implINS0_14default_configELb1EPKbPbPKlPlN2at6native12_GLOBAL__N_18offset_tEEE10hipError_tPvRmT1_PNSt15iterator_traitsIS12_E10value_typeET2_T3_PNS13_IS18_E10value_typeET4_jRbjT5_S1E_jjP12ihipStream_tbEUljE_ZNSN_ISO_Lb1ESQ_SR_ST_SU_SY_EESZ_S10_S11_S12_S16_S17_S18_S1B_S1C_jS1D_jS1E_S1E_jjS1G_bEUljE0_EEESZ_S10_S11_S18_S1C_S1E_T6_T7_T9_mT8_S1G_bDpT10_ENKUlT_T0_E_clISt17integral_constantIbLb0EES1U_EEDaS1P_S1Q_EUlS1P_E_NS1_11comp_targetILNS1_3genE5ELNS1_11target_archE942ELNS1_3gpuE9ELNS1_3repE0EEENS1_30default_config_static_selectorELNS0_4arch9wavefront6targetE0EEEvS12_: ; @_ZN7rocprim17ROCPRIM_400000_NS6detail17trampoline_kernelINS0_13select_configILj256ELj13ELNS0_17block_load_methodE3ELS4_3ELS4_3ELNS0_20block_scan_algorithmE0ELj4294967295EEENS1_25partition_config_selectorILNS1_17partition_subalgoE4EjNS0_10empty_typeEbEEZZNS1_14partition_implILS8_4ELb0ES6_15HIP_vector_typeIjLj2EENS0_17counting_iteratorIjlEEPS9_SG_NS0_5tupleIJPjSI_NS0_16reverse_iteratorISI_EEEEENSH_IJSG_SG_SG_EEES9_SI_JZNS1_25segmented_radix_sort_implINS0_14default_configELb1EPKbPbPKlPlN2at6native12_GLOBAL__N_18offset_tEEE10hipError_tPvRmT1_PNSt15iterator_traitsIS12_E10value_typeET2_T3_PNS13_IS18_E10value_typeET4_jRbjT5_S1E_jjP12ihipStream_tbEUljE_ZNSN_ISO_Lb1ESQ_SR_ST_SU_SY_EESZ_S10_S11_S12_S16_S17_S18_S1B_S1C_jS1D_jS1E_S1E_jjS1G_bEUljE0_EEESZ_S10_S11_S18_S1C_S1E_T6_T7_T9_mT8_S1G_bDpT10_ENKUlT_T0_E_clISt17integral_constantIbLb0EES1U_EEDaS1P_S1Q_EUlS1P_E_NS1_11comp_targetILNS1_3genE5ELNS1_11target_archE942ELNS1_3gpuE9ELNS1_3repE0EEENS1_30default_config_static_selectorELNS0_4arch9wavefront6targetE0EEEvS12_
; %bb.0:
	.section	.rodata,"a",@progbits
	.p2align	6, 0x0
	.amdhsa_kernel _ZN7rocprim17ROCPRIM_400000_NS6detail17trampoline_kernelINS0_13select_configILj256ELj13ELNS0_17block_load_methodE3ELS4_3ELS4_3ELNS0_20block_scan_algorithmE0ELj4294967295EEENS1_25partition_config_selectorILNS1_17partition_subalgoE4EjNS0_10empty_typeEbEEZZNS1_14partition_implILS8_4ELb0ES6_15HIP_vector_typeIjLj2EENS0_17counting_iteratorIjlEEPS9_SG_NS0_5tupleIJPjSI_NS0_16reverse_iteratorISI_EEEEENSH_IJSG_SG_SG_EEES9_SI_JZNS1_25segmented_radix_sort_implINS0_14default_configELb1EPKbPbPKlPlN2at6native12_GLOBAL__N_18offset_tEEE10hipError_tPvRmT1_PNSt15iterator_traitsIS12_E10value_typeET2_T3_PNS13_IS18_E10value_typeET4_jRbjT5_S1E_jjP12ihipStream_tbEUljE_ZNSN_ISO_Lb1ESQ_SR_ST_SU_SY_EESZ_S10_S11_S12_S16_S17_S18_S1B_S1C_jS1D_jS1E_S1E_jjS1G_bEUljE0_EEESZ_S10_S11_S18_S1C_S1E_T6_T7_T9_mT8_S1G_bDpT10_ENKUlT_T0_E_clISt17integral_constantIbLb0EES1U_EEDaS1P_S1Q_EUlS1P_E_NS1_11comp_targetILNS1_3genE5ELNS1_11target_archE942ELNS1_3gpuE9ELNS1_3repE0EEENS1_30default_config_static_selectorELNS0_4arch9wavefront6targetE0EEEvS12_
		.amdhsa_group_segment_fixed_size 0
		.amdhsa_private_segment_fixed_size 0
		.amdhsa_kernarg_size 176
		.amdhsa_user_sgpr_count 15
		.amdhsa_user_sgpr_dispatch_ptr 0
		.amdhsa_user_sgpr_queue_ptr 0
		.amdhsa_user_sgpr_kernarg_segment_ptr 1
		.amdhsa_user_sgpr_dispatch_id 0
		.amdhsa_user_sgpr_private_segment_size 0
		.amdhsa_wavefront_size32 1
		.amdhsa_uses_dynamic_stack 0
		.amdhsa_enable_private_segment 0
		.amdhsa_system_sgpr_workgroup_id_x 1
		.amdhsa_system_sgpr_workgroup_id_y 0
		.amdhsa_system_sgpr_workgroup_id_z 0
		.amdhsa_system_sgpr_workgroup_info 0
		.amdhsa_system_vgpr_workitem_id 0
		.amdhsa_next_free_vgpr 1
		.amdhsa_next_free_sgpr 1
		.amdhsa_reserve_vcc 0
		.amdhsa_float_round_mode_32 0
		.amdhsa_float_round_mode_16_64 0
		.amdhsa_float_denorm_mode_32 3
		.amdhsa_float_denorm_mode_16_64 3
		.amdhsa_dx10_clamp 1
		.amdhsa_ieee_mode 1
		.amdhsa_fp16_overflow 0
		.amdhsa_workgroup_processor_mode 1
		.amdhsa_memory_ordered 1
		.amdhsa_forward_progress 0
		.amdhsa_shared_vgpr_count 0
		.amdhsa_exception_fp_ieee_invalid_op 0
		.amdhsa_exception_fp_denorm_src 0
		.amdhsa_exception_fp_ieee_div_zero 0
		.amdhsa_exception_fp_ieee_overflow 0
		.amdhsa_exception_fp_ieee_underflow 0
		.amdhsa_exception_fp_ieee_inexact 0
		.amdhsa_exception_int_div_zero 0
	.end_amdhsa_kernel
	.section	.text._ZN7rocprim17ROCPRIM_400000_NS6detail17trampoline_kernelINS0_13select_configILj256ELj13ELNS0_17block_load_methodE3ELS4_3ELS4_3ELNS0_20block_scan_algorithmE0ELj4294967295EEENS1_25partition_config_selectorILNS1_17partition_subalgoE4EjNS0_10empty_typeEbEEZZNS1_14partition_implILS8_4ELb0ES6_15HIP_vector_typeIjLj2EENS0_17counting_iteratorIjlEEPS9_SG_NS0_5tupleIJPjSI_NS0_16reverse_iteratorISI_EEEEENSH_IJSG_SG_SG_EEES9_SI_JZNS1_25segmented_radix_sort_implINS0_14default_configELb1EPKbPbPKlPlN2at6native12_GLOBAL__N_18offset_tEEE10hipError_tPvRmT1_PNSt15iterator_traitsIS12_E10value_typeET2_T3_PNS13_IS18_E10value_typeET4_jRbjT5_S1E_jjP12ihipStream_tbEUljE_ZNSN_ISO_Lb1ESQ_SR_ST_SU_SY_EESZ_S10_S11_S12_S16_S17_S18_S1B_S1C_jS1D_jS1E_S1E_jjS1G_bEUljE0_EEESZ_S10_S11_S18_S1C_S1E_T6_T7_T9_mT8_S1G_bDpT10_ENKUlT_T0_E_clISt17integral_constantIbLb0EES1U_EEDaS1P_S1Q_EUlS1P_E_NS1_11comp_targetILNS1_3genE5ELNS1_11target_archE942ELNS1_3gpuE9ELNS1_3repE0EEENS1_30default_config_static_selectorELNS0_4arch9wavefront6targetE0EEEvS12_,"axG",@progbits,_ZN7rocprim17ROCPRIM_400000_NS6detail17trampoline_kernelINS0_13select_configILj256ELj13ELNS0_17block_load_methodE3ELS4_3ELS4_3ELNS0_20block_scan_algorithmE0ELj4294967295EEENS1_25partition_config_selectorILNS1_17partition_subalgoE4EjNS0_10empty_typeEbEEZZNS1_14partition_implILS8_4ELb0ES6_15HIP_vector_typeIjLj2EENS0_17counting_iteratorIjlEEPS9_SG_NS0_5tupleIJPjSI_NS0_16reverse_iteratorISI_EEEEENSH_IJSG_SG_SG_EEES9_SI_JZNS1_25segmented_radix_sort_implINS0_14default_configELb1EPKbPbPKlPlN2at6native12_GLOBAL__N_18offset_tEEE10hipError_tPvRmT1_PNSt15iterator_traitsIS12_E10value_typeET2_T3_PNS13_IS18_E10value_typeET4_jRbjT5_S1E_jjP12ihipStream_tbEUljE_ZNSN_ISO_Lb1ESQ_SR_ST_SU_SY_EESZ_S10_S11_S12_S16_S17_S18_S1B_S1C_jS1D_jS1E_S1E_jjS1G_bEUljE0_EEESZ_S10_S11_S18_S1C_S1E_T6_T7_T9_mT8_S1G_bDpT10_ENKUlT_T0_E_clISt17integral_constantIbLb0EES1U_EEDaS1P_S1Q_EUlS1P_E_NS1_11comp_targetILNS1_3genE5ELNS1_11target_archE942ELNS1_3gpuE9ELNS1_3repE0EEENS1_30default_config_static_selectorELNS0_4arch9wavefront6targetE0EEEvS12_,comdat
.Lfunc_end1469:
	.size	_ZN7rocprim17ROCPRIM_400000_NS6detail17trampoline_kernelINS0_13select_configILj256ELj13ELNS0_17block_load_methodE3ELS4_3ELS4_3ELNS0_20block_scan_algorithmE0ELj4294967295EEENS1_25partition_config_selectorILNS1_17partition_subalgoE4EjNS0_10empty_typeEbEEZZNS1_14partition_implILS8_4ELb0ES6_15HIP_vector_typeIjLj2EENS0_17counting_iteratorIjlEEPS9_SG_NS0_5tupleIJPjSI_NS0_16reverse_iteratorISI_EEEEENSH_IJSG_SG_SG_EEES9_SI_JZNS1_25segmented_radix_sort_implINS0_14default_configELb1EPKbPbPKlPlN2at6native12_GLOBAL__N_18offset_tEEE10hipError_tPvRmT1_PNSt15iterator_traitsIS12_E10value_typeET2_T3_PNS13_IS18_E10value_typeET4_jRbjT5_S1E_jjP12ihipStream_tbEUljE_ZNSN_ISO_Lb1ESQ_SR_ST_SU_SY_EESZ_S10_S11_S12_S16_S17_S18_S1B_S1C_jS1D_jS1E_S1E_jjS1G_bEUljE0_EEESZ_S10_S11_S18_S1C_S1E_T6_T7_T9_mT8_S1G_bDpT10_ENKUlT_T0_E_clISt17integral_constantIbLb0EES1U_EEDaS1P_S1Q_EUlS1P_E_NS1_11comp_targetILNS1_3genE5ELNS1_11target_archE942ELNS1_3gpuE9ELNS1_3repE0EEENS1_30default_config_static_selectorELNS0_4arch9wavefront6targetE0EEEvS12_, .Lfunc_end1469-_ZN7rocprim17ROCPRIM_400000_NS6detail17trampoline_kernelINS0_13select_configILj256ELj13ELNS0_17block_load_methodE3ELS4_3ELS4_3ELNS0_20block_scan_algorithmE0ELj4294967295EEENS1_25partition_config_selectorILNS1_17partition_subalgoE4EjNS0_10empty_typeEbEEZZNS1_14partition_implILS8_4ELb0ES6_15HIP_vector_typeIjLj2EENS0_17counting_iteratorIjlEEPS9_SG_NS0_5tupleIJPjSI_NS0_16reverse_iteratorISI_EEEEENSH_IJSG_SG_SG_EEES9_SI_JZNS1_25segmented_radix_sort_implINS0_14default_configELb1EPKbPbPKlPlN2at6native12_GLOBAL__N_18offset_tEEE10hipError_tPvRmT1_PNSt15iterator_traitsIS12_E10value_typeET2_T3_PNS13_IS18_E10value_typeET4_jRbjT5_S1E_jjP12ihipStream_tbEUljE_ZNSN_ISO_Lb1ESQ_SR_ST_SU_SY_EESZ_S10_S11_S12_S16_S17_S18_S1B_S1C_jS1D_jS1E_S1E_jjS1G_bEUljE0_EEESZ_S10_S11_S18_S1C_S1E_T6_T7_T9_mT8_S1G_bDpT10_ENKUlT_T0_E_clISt17integral_constantIbLb0EES1U_EEDaS1P_S1Q_EUlS1P_E_NS1_11comp_targetILNS1_3genE5ELNS1_11target_archE942ELNS1_3gpuE9ELNS1_3repE0EEENS1_30default_config_static_selectorELNS0_4arch9wavefront6targetE0EEEvS12_
                                        ; -- End function
	.section	.AMDGPU.csdata,"",@progbits
; Kernel info:
; codeLenInByte = 0
; NumSgprs: 0
; NumVgprs: 0
; ScratchSize: 0
; MemoryBound: 0
; FloatMode: 240
; IeeeMode: 1
; LDSByteSize: 0 bytes/workgroup (compile time only)
; SGPRBlocks: 0
; VGPRBlocks: 0
; NumSGPRsForWavesPerEU: 1
; NumVGPRsForWavesPerEU: 1
; Occupancy: 16
; WaveLimiterHint : 0
; COMPUTE_PGM_RSRC2:SCRATCH_EN: 0
; COMPUTE_PGM_RSRC2:USER_SGPR: 15
; COMPUTE_PGM_RSRC2:TRAP_HANDLER: 0
; COMPUTE_PGM_RSRC2:TGID_X_EN: 1
; COMPUTE_PGM_RSRC2:TGID_Y_EN: 0
; COMPUTE_PGM_RSRC2:TGID_Z_EN: 0
; COMPUTE_PGM_RSRC2:TIDIG_COMP_CNT: 0
	.section	.text._ZN7rocprim17ROCPRIM_400000_NS6detail17trampoline_kernelINS0_13select_configILj256ELj13ELNS0_17block_load_methodE3ELS4_3ELS4_3ELNS0_20block_scan_algorithmE0ELj4294967295EEENS1_25partition_config_selectorILNS1_17partition_subalgoE4EjNS0_10empty_typeEbEEZZNS1_14partition_implILS8_4ELb0ES6_15HIP_vector_typeIjLj2EENS0_17counting_iteratorIjlEEPS9_SG_NS0_5tupleIJPjSI_NS0_16reverse_iteratorISI_EEEEENSH_IJSG_SG_SG_EEES9_SI_JZNS1_25segmented_radix_sort_implINS0_14default_configELb1EPKbPbPKlPlN2at6native12_GLOBAL__N_18offset_tEEE10hipError_tPvRmT1_PNSt15iterator_traitsIS12_E10value_typeET2_T3_PNS13_IS18_E10value_typeET4_jRbjT5_S1E_jjP12ihipStream_tbEUljE_ZNSN_ISO_Lb1ESQ_SR_ST_SU_SY_EESZ_S10_S11_S12_S16_S17_S18_S1B_S1C_jS1D_jS1E_S1E_jjS1G_bEUljE0_EEESZ_S10_S11_S18_S1C_S1E_T6_T7_T9_mT8_S1G_bDpT10_ENKUlT_T0_E_clISt17integral_constantIbLb0EES1U_EEDaS1P_S1Q_EUlS1P_E_NS1_11comp_targetILNS1_3genE4ELNS1_11target_archE910ELNS1_3gpuE8ELNS1_3repE0EEENS1_30default_config_static_selectorELNS0_4arch9wavefront6targetE0EEEvS12_,"axG",@progbits,_ZN7rocprim17ROCPRIM_400000_NS6detail17trampoline_kernelINS0_13select_configILj256ELj13ELNS0_17block_load_methodE3ELS4_3ELS4_3ELNS0_20block_scan_algorithmE0ELj4294967295EEENS1_25partition_config_selectorILNS1_17partition_subalgoE4EjNS0_10empty_typeEbEEZZNS1_14partition_implILS8_4ELb0ES6_15HIP_vector_typeIjLj2EENS0_17counting_iteratorIjlEEPS9_SG_NS0_5tupleIJPjSI_NS0_16reverse_iteratorISI_EEEEENSH_IJSG_SG_SG_EEES9_SI_JZNS1_25segmented_radix_sort_implINS0_14default_configELb1EPKbPbPKlPlN2at6native12_GLOBAL__N_18offset_tEEE10hipError_tPvRmT1_PNSt15iterator_traitsIS12_E10value_typeET2_T3_PNS13_IS18_E10value_typeET4_jRbjT5_S1E_jjP12ihipStream_tbEUljE_ZNSN_ISO_Lb1ESQ_SR_ST_SU_SY_EESZ_S10_S11_S12_S16_S17_S18_S1B_S1C_jS1D_jS1E_S1E_jjS1G_bEUljE0_EEESZ_S10_S11_S18_S1C_S1E_T6_T7_T9_mT8_S1G_bDpT10_ENKUlT_T0_E_clISt17integral_constantIbLb0EES1U_EEDaS1P_S1Q_EUlS1P_E_NS1_11comp_targetILNS1_3genE4ELNS1_11target_archE910ELNS1_3gpuE8ELNS1_3repE0EEENS1_30default_config_static_selectorELNS0_4arch9wavefront6targetE0EEEvS12_,comdat
	.globl	_ZN7rocprim17ROCPRIM_400000_NS6detail17trampoline_kernelINS0_13select_configILj256ELj13ELNS0_17block_load_methodE3ELS4_3ELS4_3ELNS0_20block_scan_algorithmE0ELj4294967295EEENS1_25partition_config_selectorILNS1_17partition_subalgoE4EjNS0_10empty_typeEbEEZZNS1_14partition_implILS8_4ELb0ES6_15HIP_vector_typeIjLj2EENS0_17counting_iteratorIjlEEPS9_SG_NS0_5tupleIJPjSI_NS0_16reverse_iteratorISI_EEEEENSH_IJSG_SG_SG_EEES9_SI_JZNS1_25segmented_radix_sort_implINS0_14default_configELb1EPKbPbPKlPlN2at6native12_GLOBAL__N_18offset_tEEE10hipError_tPvRmT1_PNSt15iterator_traitsIS12_E10value_typeET2_T3_PNS13_IS18_E10value_typeET4_jRbjT5_S1E_jjP12ihipStream_tbEUljE_ZNSN_ISO_Lb1ESQ_SR_ST_SU_SY_EESZ_S10_S11_S12_S16_S17_S18_S1B_S1C_jS1D_jS1E_S1E_jjS1G_bEUljE0_EEESZ_S10_S11_S18_S1C_S1E_T6_T7_T9_mT8_S1G_bDpT10_ENKUlT_T0_E_clISt17integral_constantIbLb0EES1U_EEDaS1P_S1Q_EUlS1P_E_NS1_11comp_targetILNS1_3genE4ELNS1_11target_archE910ELNS1_3gpuE8ELNS1_3repE0EEENS1_30default_config_static_selectorELNS0_4arch9wavefront6targetE0EEEvS12_ ; -- Begin function _ZN7rocprim17ROCPRIM_400000_NS6detail17trampoline_kernelINS0_13select_configILj256ELj13ELNS0_17block_load_methodE3ELS4_3ELS4_3ELNS0_20block_scan_algorithmE0ELj4294967295EEENS1_25partition_config_selectorILNS1_17partition_subalgoE4EjNS0_10empty_typeEbEEZZNS1_14partition_implILS8_4ELb0ES6_15HIP_vector_typeIjLj2EENS0_17counting_iteratorIjlEEPS9_SG_NS0_5tupleIJPjSI_NS0_16reverse_iteratorISI_EEEEENSH_IJSG_SG_SG_EEES9_SI_JZNS1_25segmented_radix_sort_implINS0_14default_configELb1EPKbPbPKlPlN2at6native12_GLOBAL__N_18offset_tEEE10hipError_tPvRmT1_PNSt15iterator_traitsIS12_E10value_typeET2_T3_PNS13_IS18_E10value_typeET4_jRbjT5_S1E_jjP12ihipStream_tbEUljE_ZNSN_ISO_Lb1ESQ_SR_ST_SU_SY_EESZ_S10_S11_S12_S16_S17_S18_S1B_S1C_jS1D_jS1E_S1E_jjS1G_bEUljE0_EEESZ_S10_S11_S18_S1C_S1E_T6_T7_T9_mT8_S1G_bDpT10_ENKUlT_T0_E_clISt17integral_constantIbLb0EES1U_EEDaS1P_S1Q_EUlS1P_E_NS1_11comp_targetILNS1_3genE4ELNS1_11target_archE910ELNS1_3gpuE8ELNS1_3repE0EEENS1_30default_config_static_selectorELNS0_4arch9wavefront6targetE0EEEvS12_
	.p2align	8
	.type	_ZN7rocprim17ROCPRIM_400000_NS6detail17trampoline_kernelINS0_13select_configILj256ELj13ELNS0_17block_load_methodE3ELS4_3ELS4_3ELNS0_20block_scan_algorithmE0ELj4294967295EEENS1_25partition_config_selectorILNS1_17partition_subalgoE4EjNS0_10empty_typeEbEEZZNS1_14partition_implILS8_4ELb0ES6_15HIP_vector_typeIjLj2EENS0_17counting_iteratorIjlEEPS9_SG_NS0_5tupleIJPjSI_NS0_16reverse_iteratorISI_EEEEENSH_IJSG_SG_SG_EEES9_SI_JZNS1_25segmented_radix_sort_implINS0_14default_configELb1EPKbPbPKlPlN2at6native12_GLOBAL__N_18offset_tEEE10hipError_tPvRmT1_PNSt15iterator_traitsIS12_E10value_typeET2_T3_PNS13_IS18_E10value_typeET4_jRbjT5_S1E_jjP12ihipStream_tbEUljE_ZNSN_ISO_Lb1ESQ_SR_ST_SU_SY_EESZ_S10_S11_S12_S16_S17_S18_S1B_S1C_jS1D_jS1E_S1E_jjS1G_bEUljE0_EEESZ_S10_S11_S18_S1C_S1E_T6_T7_T9_mT8_S1G_bDpT10_ENKUlT_T0_E_clISt17integral_constantIbLb0EES1U_EEDaS1P_S1Q_EUlS1P_E_NS1_11comp_targetILNS1_3genE4ELNS1_11target_archE910ELNS1_3gpuE8ELNS1_3repE0EEENS1_30default_config_static_selectorELNS0_4arch9wavefront6targetE0EEEvS12_,@function
_ZN7rocprim17ROCPRIM_400000_NS6detail17trampoline_kernelINS0_13select_configILj256ELj13ELNS0_17block_load_methodE3ELS4_3ELS4_3ELNS0_20block_scan_algorithmE0ELj4294967295EEENS1_25partition_config_selectorILNS1_17partition_subalgoE4EjNS0_10empty_typeEbEEZZNS1_14partition_implILS8_4ELb0ES6_15HIP_vector_typeIjLj2EENS0_17counting_iteratorIjlEEPS9_SG_NS0_5tupleIJPjSI_NS0_16reverse_iteratorISI_EEEEENSH_IJSG_SG_SG_EEES9_SI_JZNS1_25segmented_radix_sort_implINS0_14default_configELb1EPKbPbPKlPlN2at6native12_GLOBAL__N_18offset_tEEE10hipError_tPvRmT1_PNSt15iterator_traitsIS12_E10value_typeET2_T3_PNS13_IS18_E10value_typeET4_jRbjT5_S1E_jjP12ihipStream_tbEUljE_ZNSN_ISO_Lb1ESQ_SR_ST_SU_SY_EESZ_S10_S11_S12_S16_S17_S18_S1B_S1C_jS1D_jS1E_S1E_jjS1G_bEUljE0_EEESZ_S10_S11_S18_S1C_S1E_T6_T7_T9_mT8_S1G_bDpT10_ENKUlT_T0_E_clISt17integral_constantIbLb0EES1U_EEDaS1P_S1Q_EUlS1P_E_NS1_11comp_targetILNS1_3genE4ELNS1_11target_archE910ELNS1_3gpuE8ELNS1_3repE0EEENS1_30default_config_static_selectorELNS0_4arch9wavefront6targetE0EEEvS12_: ; @_ZN7rocprim17ROCPRIM_400000_NS6detail17trampoline_kernelINS0_13select_configILj256ELj13ELNS0_17block_load_methodE3ELS4_3ELS4_3ELNS0_20block_scan_algorithmE0ELj4294967295EEENS1_25partition_config_selectorILNS1_17partition_subalgoE4EjNS0_10empty_typeEbEEZZNS1_14partition_implILS8_4ELb0ES6_15HIP_vector_typeIjLj2EENS0_17counting_iteratorIjlEEPS9_SG_NS0_5tupleIJPjSI_NS0_16reverse_iteratorISI_EEEEENSH_IJSG_SG_SG_EEES9_SI_JZNS1_25segmented_radix_sort_implINS0_14default_configELb1EPKbPbPKlPlN2at6native12_GLOBAL__N_18offset_tEEE10hipError_tPvRmT1_PNSt15iterator_traitsIS12_E10value_typeET2_T3_PNS13_IS18_E10value_typeET4_jRbjT5_S1E_jjP12ihipStream_tbEUljE_ZNSN_ISO_Lb1ESQ_SR_ST_SU_SY_EESZ_S10_S11_S12_S16_S17_S18_S1B_S1C_jS1D_jS1E_S1E_jjS1G_bEUljE0_EEESZ_S10_S11_S18_S1C_S1E_T6_T7_T9_mT8_S1G_bDpT10_ENKUlT_T0_E_clISt17integral_constantIbLb0EES1U_EEDaS1P_S1Q_EUlS1P_E_NS1_11comp_targetILNS1_3genE4ELNS1_11target_archE910ELNS1_3gpuE8ELNS1_3repE0EEENS1_30default_config_static_selectorELNS0_4arch9wavefront6targetE0EEEvS12_
; %bb.0:
	.section	.rodata,"a",@progbits
	.p2align	6, 0x0
	.amdhsa_kernel _ZN7rocprim17ROCPRIM_400000_NS6detail17trampoline_kernelINS0_13select_configILj256ELj13ELNS0_17block_load_methodE3ELS4_3ELS4_3ELNS0_20block_scan_algorithmE0ELj4294967295EEENS1_25partition_config_selectorILNS1_17partition_subalgoE4EjNS0_10empty_typeEbEEZZNS1_14partition_implILS8_4ELb0ES6_15HIP_vector_typeIjLj2EENS0_17counting_iteratorIjlEEPS9_SG_NS0_5tupleIJPjSI_NS0_16reverse_iteratorISI_EEEEENSH_IJSG_SG_SG_EEES9_SI_JZNS1_25segmented_radix_sort_implINS0_14default_configELb1EPKbPbPKlPlN2at6native12_GLOBAL__N_18offset_tEEE10hipError_tPvRmT1_PNSt15iterator_traitsIS12_E10value_typeET2_T3_PNS13_IS18_E10value_typeET4_jRbjT5_S1E_jjP12ihipStream_tbEUljE_ZNSN_ISO_Lb1ESQ_SR_ST_SU_SY_EESZ_S10_S11_S12_S16_S17_S18_S1B_S1C_jS1D_jS1E_S1E_jjS1G_bEUljE0_EEESZ_S10_S11_S18_S1C_S1E_T6_T7_T9_mT8_S1G_bDpT10_ENKUlT_T0_E_clISt17integral_constantIbLb0EES1U_EEDaS1P_S1Q_EUlS1P_E_NS1_11comp_targetILNS1_3genE4ELNS1_11target_archE910ELNS1_3gpuE8ELNS1_3repE0EEENS1_30default_config_static_selectorELNS0_4arch9wavefront6targetE0EEEvS12_
		.amdhsa_group_segment_fixed_size 0
		.amdhsa_private_segment_fixed_size 0
		.amdhsa_kernarg_size 176
		.amdhsa_user_sgpr_count 15
		.amdhsa_user_sgpr_dispatch_ptr 0
		.amdhsa_user_sgpr_queue_ptr 0
		.amdhsa_user_sgpr_kernarg_segment_ptr 1
		.amdhsa_user_sgpr_dispatch_id 0
		.amdhsa_user_sgpr_private_segment_size 0
		.amdhsa_wavefront_size32 1
		.amdhsa_uses_dynamic_stack 0
		.amdhsa_enable_private_segment 0
		.amdhsa_system_sgpr_workgroup_id_x 1
		.amdhsa_system_sgpr_workgroup_id_y 0
		.amdhsa_system_sgpr_workgroup_id_z 0
		.amdhsa_system_sgpr_workgroup_info 0
		.amdhsa_system_vgpr_workitem_id 0
		.amdhsa_next_free_vgpr 1
		.amdhsa_next_free_sgpr 1
		.amdhsa_reserve_vcc 0
		.amdhsa_float_round_mode_32 0
		.amdhsa_float_round_mode_16_64 0
		.amdhsa_float_denorm_mode_32 3
		.amdhsa_float_denorm_mode_16_64 3
		.amdhsa_dx10_clamp 1
		.amdhsa_ieee_mode 1
		.amdhsa_fp16_overflow 0
		.amdhsa_workgroup_processor_mode 1
		.amdhsa_memory_ordered 1
		.amdhsa_forward_progress 0
		.amdhsa_shared_vgpr_count 0
		.amdhsa_exception_fp_ieee_invalid_op 0
		.amdhsa_exception_fp_denorm_src 0
		.amdhsa_exception_fp_ieee_div_zero 0
		.amdhsa_exception_fp_ieee_overflow 0
		.amdhsa_exception_fp_ieee_underflow 0
		.amdhsa_exception_fp_ieee_inexact 0
		.amdhsa_exception_int_div_zero 0
	.end_amdhsa_kernel
	.section	.text._ZN7rocprim17ROCPRIM_400000_NS6detail17trampoline_kernelINS0_13select_configILj256ELj13ELNS0_17block_load_methodE3ELS4_3ELS4_3ELNS0_20block_scan_algorithmE0ELj4294967295EEENS1_25partition_config_selectorILNS1_17partition_subalgoE4EjNS0_10empty_typeEbEEZZNS1_14partition_implILS8_4ELb0ES6_15HIP_vector_typeIjLj2EENS0_17counting_iteratorIjlEEPS9_SG_NS0_5tupleIJPjSI_NS0_16reverse_iteratorISI_EEEEENSH_IJSG_SG_SG_EEES9_SI_JZNS1_25segmented_radix_sort_implINS0_14default_configELb1EPKbPbPKlPlN2at6native12_GLOBAL__N_18offset_tEEE10hipError_tPvRmT1_PNSt15iterator_traitsIS12_E10value_typeET2_T3_PNS13_IS18_E10value_typeET4_jRbjT5_S1E_jjP12ihipStream_tbEUljE_ZNSN_ISO_Lb1ESQ_SR_ST_SU_SY_EESZ_S10_S11_S12_S16_S17_S18_S1B_S1C_jS1D_jS1E_S1E_jjS1G_bEUljE0_EEESZ_S10_S11_S18_S1C_S1E_T6_T7_T9_mT8_S1G_bDpT10_ENKUlT_T0_E_clISt17integral_constantIbLb0EES1U_EEDaS1P_S1Q_EUlS1P_E_NS1_11comp_targetILNS1_3genE4ELNS1_11target_archE910ELNS1_3gpuE8ELNS1_3repE0EEENS1_30default_config_static_selectorELNS0_4arch9wavefront6targetE0EEEvS12_,"axG",@progbits,_ZN7rocprim17ROCPRIM_400000_NS6detail17trampoline_kernelINS0_13select_configILj256ELj13ELNS0_17block_load_methodE3ELS4_3ELS4_3ELNS0_20block_scan_algorithmE0ELj4294967295EEENS1_25partition_config_selectorILNS1_17partition_subalgoE4EjNS0_10empty_typeEbEEZZNS1_14partition_implILS8_4ELb0ES6_15HIP_vector_typeIjLj2EENS0_17counting_iteratorIjlEEPS9_SG_NS0_5tupleIJPjSI_NS0_16reverse_iteratorISI_EEEEENSH_IJSG_SG_SG_EEES9_SI_JZNS1_25segmented_radix_sort_implINS0_14default_configELb1EPKbPbPKlPlN2at6native12_GLOBAL__N_18offset_tEEE10hipError_tPvRmT1_PNSt15iterator_traitsIS12_E10value_typeET2_T3_PNS13_IS18_E10value_typeET4_jRbjT5_S1E_jjP12ihipStream_tbEUljE_ZNSN_ISO_Lb1ESQ_SR_ST_SU_SY_EESZ_S10_S11_S12_S16_S17_S18_S1B_S1C_jS1D_jS1E_S1E_jjS1G_bEUljE0_EEESZ_S10_S11_S18_S1C_S1E_T6_T7_T9_mT8_S1G_bDpT10_ENKUlT_T0_E_clISt17integral_constantIbLb0EES1U_EEDaS1P_S1Q_EUlS1P_E_NS1_11comp_targetILNS1_3genE4ELNS1_11target_archE910ELNS1_3gpuE8ELNS1_3repE0EEENS1_30default_config_static_selectorELNS0_4arch9wavefront6targetE0EEEvS12_,comdat
.Lfunc_end1470:
	.size	_ZN7rocprim17ROCPRIM_400000_NS6detail17trampoline_kernelINS0_13select_configILj256ELj13ELNS0_17block_load_methodE3ELS4_3ELS4_3ELNS0_20block_scan_algorithmE0ELj4294967295EEENS1_25partition_config_selectorILNS1_17partition_subalgoE4EjNS0_10empty_typeEbEEZZNS1_14partition_implILS8_4ELb0ES6_15HIP_vector_typeIjLj2EENS0_17counting_iteratorIjlEEPS9_SG_NS0_5tupleIJPjSI_NS0_16reverse_iteratorISI_EEEEENSH_IJSG_SG_SG_EEES9_SI_JZNS1_25segmented_radix_sort_implINS0_14default_configELb1EPKbPbPKlPlN2at6native12_GLOBAL__N_18offset_tEEE10hipError_tPvRmT1_PNSt15iterator_traitsIS12_E10value_typeET2_T3_PNS13_IS18_E10value_typeET4_jRbjT5_S1E_jjP12ihipStream_tbEUljE_ZNSN_ISO_Lb1ESQ_SR_ST_SU_SY_EESZ_S10_S11_S12_S16_S17_S18_S1B_S1C_jS1D_jS1E_S1E_jjS1G_bEUljE0_EEESZ_S10_S11_S18_S1C_S1E_T6_T7_T9_mT8_S1G_bDpT10_ENKUlT_T0_E_clISt17integral_constantIbLb0EES1U_EEDaS1P_S1Q_EUlS1P_E_NS1_11comp_targetILNS1_3genE4ELNS1_11target_archE910ELNS1_3gpuE8ELNS1_3repE0EEENS1_30default_config_static_selectorELNS0_4arch9wavefront6targetE0EEEvS12_, .Lfunc_end1470-_ZN7rocprim17ROCPRIM_400000_NS6detail17trampoline_kernelINS0_13select_configILj256ELj13ELNS0_17block_load_methodE3ELS4_3ELS4_3ELNS0_20block_scan_algorithmE0ELj4294967295EEENS1_25partition_config_selectorILNS1_17partition_subalgoE4EjNS0_10empty_typeEbEEZZNS1_14partition_implILS8_4ELb0ES6_15HIP_vector_typeIjLj2EENS0_17counting_iteratorIjlEEPS9_SG_NS0_5tupleIJPjSI_NS0_16reverse_iteratorISI_EEEEENSH_IJSG_SG_SG_EEES9_SI_JZNS1_25segmented_radix_sort_implINS0_14default_configELb1EPKbPbPKlPlN2at6native12_GLOBAL__N_18offset_tEEE10hipError_tPvRmT1_PNSt15iterator_traitsIS12_E10value_typeET2_T3_PNS13_IS18_E10value_typeET4_jRbjT5_S1E_jjP12ihipStream_tbEUljE_ZNSN_ISO_Lb1ESQ_SR_ST_SU_SY_EESZ_S10_S11_S12_S16_S17_S18_S1B_S1C_jS1D_jS1E_S1E_jjS1G_bEUljE0_EEESZ_S10_S11_S18_S1C_S1E_T6_T7_T9_mT8_S1G_bDpT10_ENKUlT_T0_E_clISt17integral_constantIbLb0EES1U_EEDaS1P_S1Q_EUlS1P_E_NS1_11comp_targetILNS1_3genE4ELNS1_11target_archE910ELNS1_3gpuE8ELNS1_3repE0EEENS1_30default_config_static_selectorELNS0_4arch9wavefront6targetE0EEEvS12_
                                        ; -- End function
	.section	.AMDGPU.csdata,"",@progbits
; Kernel info:
; codeLenInByte = 0
; NumSgprs: 0
; NumVgprs: 0
; ScratchSize: 0
; MemoryBound: 0
; FloatMode: 240
; IeeeMode: 1
; LDSByteSize: 0 bytes/workgroup (compile time only)
; SGPRBlocks: 0
; VGPRBlocks: 0
; NumSGPRsForWavesPerEU: 1
; NumVGPRsForWavesPerEU: 1
; Occupancy: 16
; WaveLimiterHint : 0
; COMPUTE_PGM_RSRC2:SCRATCH_EN: 0
; COMPUTE_PGM_RSRC2:USER_SGPR: 15
; COMPUTE_PGM_RSRC2:TRAP_HANDLER: 0
; COMPUTE_PGM_RSRC2:TGID_X_EN: 1
; COMPUTE_PGM_RSRC2:TGID_Y_EN: 0
; COMPUTE_PGM_RSRC2:TGID_Z_EN: 0
; COMPUTE_PGM_RSRC2:TIDIG_COMP_CNT: 0
	.section	.text._ZN7rocprim17ROCPRIM_400000_NS6detail17trampoline_kernelINS0_13select_configILj256ELj13ELNS0_17block_load_methodE3ELS4_3ELS4_3ELNS0_20block_scan_algorithmE0ELj4294967295EEENS1_25partition_config_selectorILNS1_17partition_subalgoE4EjNS0_10empty_typeEbEEZZNS1_14partition_implILS8_4ELb0ES6_15HIP_vector_typeIjLj2EENS0_17counting_iteratorIjlEEPS9_SG_NS0_5tupleIJPjSI_NS0_16reverse_iteratorISI_EEEEENSH_IJSG_SG_SG_EEES9_SI_JZNS1_25segmented_radix_sort_implINS0_14default_configELb1EPKbPbPKlPlN2at6native12_GLOBAL__N_18offset_tEEE10hipError_tPvRmT1_PNSt15iterator_traitsIS12_E10value_typeET2_T3_PNS13_IS18_E10value_typeET4_jRbjT5_S1E_jjP12ihipStream_tbEUljE_ZNSN_ISO_Lb1ESQ_SR_ST_SU_SY_EESZ_S10_S11_S12_S16_S17_S18_S1B_S1C_jS1D_jS1E_S1E_jjS1G_bEUljE0_EEESZ_S10_S11_S18_S1C_S1E_T6_T7_T9_mT8_S1G_bDpT10_ENKUlT_T0_E_clISt17integral_constantIbLb0EES1U_EEDaS1P_S1Q_EUlS1P_E_NS1_11comp_targetILNS1_3genE3ELNS1_11target_archE908ELNS1_3gpuE7ELNS1_3repE0EEENS1_30default_config_static_selectorELNS0_4arch9wavefront6targetE0EEEvS12_,"axG",@progbits,_ZN7rocprim17ROCPRIM_400000_NS6detail17trampoline_kernelINS0_13select_configILj256ELj13ELNS0_17block_load_methodE3ELS4_3ELS4_3ELNS0_20block_scan_algorithmE0ELj4294967295EEENS1_25partition_config_selectorILNS1_17partition_subalgoE4EjNS0_10empty_typeEbEEZZNS1_14partition_implILS8_4ELb0ES6_15HIP_vector_typeIjLj2EENS0_17counting_iteratorIjlEEPS9_SG_NS0_5tupleIJPjSI_NS0_16reverse_iteratorISI_EEEEENSH_IJSG_SG_SG_EEES9_SI_JZNS1_25segmented_radix_sort_implINS0_14default_configELb1EPKbPbPKlPlN2at6native12_GLOBAL__N_18offset_tEEE10hipError_tPvRmT1_PNSt15iterator_traitsIS12_E10value_typeET2_T3_PNS13_IS18_E10value_typeET4_jRbjT5_S1E_jjP12ihipStream_tbEUljE_ZNSN_ISO_Lb1ESQ_SR_ST_SU_SY_EESZ_S10_S11_S12_S16_S17_S18_S1B_S1C_jS1D_jS1E_S1E_jjS1G_bEUljE0_EEESZ_S10_S11_S18_S1C_S1E_T6_T7_T9_mT8_S1G_bDpT10_ENKUlT_T0_E_clISt17integral_constantIbLb0EES1U_EEDaS1P_S1Q_EUlS1P_E_NS1_11comp_targetILNS1_3genE3ELNS1_11target_archE908ELNS1_3gpuE7ELNS1_3repE0EEENS1_30default_config_static_selectorELNS0_4arch9wavefront6targetE0EEEvS12_,comdat
	.globl	_ZN7rocprim17ROCPRIM_400000_NS6detail17trampoline_kernelINS0_13select_configILj256ELj13ELNS0_17block_load_methodE3ELS4_3ELS4_3ELNS0_20block_scan_algorithmE0ELj4294967295EEENS1_25partition_config_selectorILNS1_17partition_subalgoE4EjNS0_10empty_typeEbEEZZNS1_14partition_implILS8_4ELb0ES6_15HIP_vector_typeIjLj2EENS0_17counting_iteratorIjlEEPS9_SG_NS0_5tupleIJPjSI_NS0_16reverse_iteratorISI_EEEEENSH_IJSG_SG_SG_EEES9_SI_JZNS1_25segmented_radix_sort_implINS0_14default_configELb1EPKbPbPKlPlN2at6native12_GLOBAL__N_18offset_tEEE10hipError_tPvRmT1_PNSt15iterator_traitsIS12_E10value_typeET2_T3_PNS13_IS18_E10value_typeET4_jRbjT5_S1E_jjP12ihipStream_tbEUljE_ZNSN_ISO_Lb1ESQ_SR_ST_SU_SY_EESZ_S10_S11_S12_S16_S17_S18_S1B_S1C_jS1D_jS1E_S1E_jjS1G_bEUljE0_EEESZ_S10_S11_S18_S1C_S1E_T6_T7_T9_mT8_S1G_bDpT10_ENKUlT_T0_E_clISt17integral_constantIbLb0EES1U_EEDaS1P_S1Q_EUlS1P_E_NS1_11comp_targetILNS1_3genE3ELNS1_11target_archE908ELNS1_3gpuE7ELNS1_3repE0EEENS1_30default_config_static_selectorELNS0_4arch9wavefront6targetE0EEEvS12_ ; -- Begin function _ZN7rocprim17ROCPRIM_400000_NS6detail17trampoline_kernelINS0_13select_configILj256ELj13ELNS0_17block_load_methodE3ELS4_3ELS4_3ELNS0_20block_scan_algorithmE0ELj4294967295EEENS1_25partition_config_selectorILNS1_17partition_subalgoE4EjNS0_10empty_typeEbEEZZNS1_14partition_implILS8_4ELb0ES6_15HIP_vector_typeIjLj2EENS0_17counting_iteratorIjlEEPS9_SG_NS0_5tupleIJPjSI_NS0_16reverse_iteratorISI_EEEEENSH_IJSG_SG_SG_EEES9_SI_JZNS1_25segmented_radix_sort_implINS0_14default_configELb1EPKbPbPKlPlN2at6native12_GLOBAL__N_18offset_tEEE10hipError_tPvRmT1_PNSt15iterator_traitsIS12_E10value_typeET2_T3_PNS13_IS18_E10value_typeET4_jRbjT5_S1E_jjP12ihipStream_tbEUljE_ZNSN_ISO_Lb1ESQ_SR_ST_SU_SY_EESZ_S10_S11_S12_S16_S17_S18_S1B_S1C_jS1D_jS1E_S1E_jjS1G_bEUljE0_EEESZ_S10_S11_S18_S1C_S1E_T6_T7_T9_mT8_S1G_bDpT10_ENKUlT_T0_E_clISt17integral_constantIbLb0EES1U_EEDaS1P_S1Q_EUlS1P_E_NS1_11comp_targetILNS1_3genE3ELNS1_11target_archE908ELNS1_3gpuE7ELNS1_3repE0EEENS1_30default_config_static_selectorELNS0_4arch9wavefront6targetE0EEEvS12_
	.p2align	8
	.type	_ZN7rocprim17ROCPRIM_400000_NS6detail17trampoline_kernelINS0_13select_configILj256ELj13ELNS0_17block_load_methodE3ELS4_3ELS4_3ELNS0_20block_scan_algorithmE0ELj4294967295EEENS1_25partition_config_selectorILNS1_17partition_subalgoE4EjNS0_10empty_typeEbEEZZNS1_14partition_implILS8_4ELb0ES6_15HIP_vector_typeIjLj2EENS0_17counting_iteratorIjlEEPS9_SG_NS0_5tupleIJPjSI_NS0_16reverse_iteratorISI_EEEEENSH_IJSG_SG_SG_EEES9_SI_JZNS1_25segmented_radix_sort_implINS0_14default_configELb1EPKbPbPKlPlN2at6native12_GLOBAL__N_18offset_tEEE10hipError_tPvRmT1_PNSt15iterator_traitsIS12_E10value_typeET2_T3_PNS13_IS18_E10value_typeET4_jRbjT5_S1E_jjP12ihipStream_tbEUljE_ZNSN_ISO_Lb1ESQ_SR_ST_SU_SY_EESZ_S10_S11_S12_S16_S17_S18_S1B_S1C_jS1D_jS1E_S1E_jjS1G_bEUljE0_EEESZ_S10_S11_S18_S1C_S1E_T6_T7_T9_mT8_S1G_bDpT10_ENKUlT_T0_E_clISt17integral_constantIbLb0EES1U_EEDaS1P_S1Q_EUlS1P_E_NS1_11comp_targetILNS1_3genE3ELNS1_11target_archE908ELNS1_3gpuE7ELNS1_3repE0EEENS1_30default_config_static_selectorELNS0_4arch9wavefront6targetE0EEEvS12_,@function
_ZN7rocprim17ROCPRIM_400000_NS6detail17trampoline_kernelINS0_13select_configILj256ELj13ELNS0_17block_load_methodE3ELS4_3ELS4_3ELNS0_20block_scan_algorithmE0ELj4294967295EEENS1_25partition_config_selectorILNS1_17partition_subalgoE4EjNS0_10empty_typeEbEEZZNS1_14partition_implILS8_4ELb0ES6_15HIP_vector_typeIjLj2EENS0_17counting_iteratorIjlEEPS9_SG_NS0_5tupleIJPjSI_NS0_16reverse_iteratorISI_EEEEENSH_IJSG_SG_SG_EEES9_SI_JZNS1_25segmented_radix_sort_implINS0_14default_configELb1EPKbPbPKlPlN2at6native12_GLOBAL__N_18offset_tEEE10hipError_tPvRmT1_PNSt15iterator_traitsIS12_E10value_typeET2_T3_PNS13_IS18_E10value_typeET4_jRbjT5_S1E_jjP12ihipStream_tbEUljE_ZNSN_ISO_Lb1ESQ_SR_ST_SU_SY_EESZ_S10_S11_S12_S16_S17_S18_S1B_S1C_jS1D_jS1E_S1E_jjS1G_bEUljE0_EEESZ_S10_S11_S18_S1C_S1E_T6_T7_T9_mT8_S1G_bDpT10_ENKUlT_T0_E_clISt17integral_constantIbLb0EES1U_EEDaS1P_S1Q_EUlS1P_E_NS1_11comp_targetILNS1_3genE3ELNS1_11target_archE908ELNS1_3gpuE7ELNS1_3repE0EEENS1_30default_config_static_selectorELNS0_4arch9wavefront6targetE0EEEvS12_: ; @_ZN7rocprim17ROCPRIM_400000_NS6detail17trampoline_kernelINS0_13select_configILj256ELj13ELNS0_17block_load_methodE3ELS4_3ELS4_3ELNS0_20block_scan_algorithmE0ELj4294967295EEENS1_25partition_config_selectorILNS1_17partition_subalgoE4EjNS0_10empty_typeEbEEZZNS1_14partition_implILS8_4ELb0ES6_15HIP_vector_typeIjLj2EENS0_17counting_iteratorIjlEEPS9_SG_NS0_5tupleIJPjSI_NS0_16reverse_iteratorISI_EEEEENSH_IJSG_SG_SG_EEES9_SI_JZNS1_25segmented_radix_sort_implINS0_14default_configELb1EPKbPbPKlPlN2at6native12_GLOBAL__N_18offset_tEEE10hipError_tPvRmT1_PNSt15iterator_traitsIS12_E10value_typeET2_T3_PNS13_IS18_E10value_typeET4_jRbjT5_S1E_jjP12ihipStream_tbEUljE_ZNSN_ISO_Lb1ESQ_SR_ST_SU_SY_EESZ_S10_S11_S12_S16_S17_S18_S1B_S1C_jS1D_jS1E_S1E_jjS1G_bEUljE0_EEESZ_S10_S11_S18_S1C_S1E_T6_T7_T9_mT8_S1G_bDpT10_ENKUlT_T0_E_clISt17integral_constantIbLb0EES1U_EEDaS1P_S1Q_EUlS1P_E_NS1_11comp_targetILNS1_3genE3ELNS1_11target_archE908ELNS1_3gpuE7ELNS1_3repE0EEENS1_30default_config_static_selectorELNS0_4arch9wavefront6targetE0EEEvS12_
; %bb.0:
	.section	.rodata,"a",@progbits
	.p2align	6, 0x0
	.amdhsa_kernel _ZN7rocprim17ROCPRIM_400000_NS6detail17trampoline_kernelINS0_13select_configILj256ELj13ELNS0_17block_load_methodE3ELS4_3ELS4_3ELNS0_20block_scan_algorithmE0ELj4294967295EEENS1_25partition_config_selectorILNS1_17partition_subalgoE4EjNS0_10empty_typeEbEEZZNS1_14partition_implILS8_4ELb0ES6_15HIP_vector_typeIjLj2EENS0_17counting_iteratorIjlEEPS9_SG_NS0_5tupleIJPjSI_NS0_16reverse_iteratorISI_EEEEENSH_IJSG_SG_SG_EEES9_SI_JZNS1_25segmented_radix_sort_implINS0_14default_configELb1EPKbPbPKlPlN2at6native12_GLOBAL__N_18offset_tEEE10hipError_tPvRmT1_PNSt15iterator_traitsIS12_E10value_typeET2_T3_PNS13_IS18_E10value_typeET4_jRbjT5_S1E_jjP12ihipStream_tbEUljE_ZNSN_ISO_Lb1ESQ_SR_ST_SU_SY_EESZ_S10_S11_S12_S16_S17_S18_S1B_S1C_jS1D_jS1E_S1E_jjS1G_bEUljE0_EEESZ_S10_S11_S18_S1C_S1E_T6_T7_T9_mT8_S1G_bDpT10_ENKUlT_T0_E_clISt17integral_constantIbLb0EES1U_EEDaS1P_S1Q_EUlS1P_E_NS1_11comp_targetILNS1_3genE3ELNS1_11target_archE908ELNS1_3gpuE7ELNS1_3repE0EEENS1_30default_config_static_selectorELNS0_4arch9wavefront6targetE0EEEvS12_
		.amdhsa_group_segment_fixed_size 0
		.amdhsa_private_segment_fixed_size 0
		.amdhsa_kernarg_size 176
		.amdhsa_user_sgpr_count 15
		.amdhsa_user_sgpr_dispatch_ptr 0
		.amdhsa_user_sgpr_queue_ptr 0
		.amdhsa_user_sgpr_kernarg_segment_ptr 1
		.amdhsa_user_sgpr_dispatch_id 0
		.amdhsa_user_sgpr_private_segment_size 0
		.amdhsa_wavefront_size32 1
		.amdhsa_uses_dynamic_stack 0
		.amdhsa_enable_private_segment 0
		.amdhsa_system_sgpr_workgroup_id_x 1
		.amdhsa_system_sgpr_workgroup_id_y 0
		.amdhsa_system_sgpr_workgroup_id_z 0
		.amdhsa_system_sgpr_workgroup_info 0
		.amdhsa_system_vgpr_workitem_id 0
		.amdhsa_next_free_vgpr 1
		.amdhsa_next_free_sgpr 1
		.amdhsa_reserve_vcc 0
		.amdhsa_float_round_mode_32 0
		.amdhsa_float_round_mode_16_64 0
		.amdhsa_float_denorm_mode_32 3
		.amdhsa_float_denorm_mode_16_64 3
		.amdhsa_dx10_clamp 1
		.amdhsa_ieee_mode 1
		.amdhsa_fp16_overflow 0
		.amdhsa_workgroup_processor_mode 1
		.amdhsa_memory_ordered 1
		.amdhsa_forward_progress 0
		.amdhsa_shared_vgpr_count 0
		.amdhsa_exception_fp_ieee_invalid_op 0
		.amdhsa_exception_fp_denorm_src 0
		.amdhsa_exception_fp_ieee_div_zero 0
		.amdhsa_exception_fp_ieee_overflow 0
		.amdhsa_exception_fp_ieee_underflow 0
		.amdhsa_exception_fp_ieee_inexact 0
		.amdhsa_exception_int_div_zero 0
	.end_amdhsa_kernel
	.section	.text._ZN7rocprim17ROCPRIM_400000_NS6detail17trampoline_kernelINS0_13select_configILj256ELj13ELNS0_17block_load_methodE3ELS4_3ELS4_3ELNS0_20block_scan_algorithmE0ELj4294967295EEENS1_25partition_config_selectorILNS1_17partition_subalgoE4EjNS0_10empty_typeEbEEZZNS1_14partition_implILS8_4ELb0ES6_15HIP_vector_typeIjLj2EENS0_17counting_iteratorIjlEEPS9_SG_NS0_5tupleIJPjSI_NS0_16reverse_iteratorISI_EEEEENSH_IJSG_SG_SG_EEES9_SI_JZNS1_25segmented_radix_sort_implINS0_14default_configELb1EPKbPbPKlPlN2at6native12_GLOBAL__N_18offset_tEEE10hipError_tPvRmT1_PNSt15iterator_traitsIS12_E10value_typeET2_T3_PNS13_IS18_E10value_typeET4_jRbjT5_S1E_jjP12ihipStream_tbEUljE_ZNSN_ISO_Lb1ESQ_SR_ST_SU_SY_EESZ_S10_S11_S12_S16_S17_S18_S1B_S1C_jS1D_jS1E_S1E_jjS1G_bEUljE0_EEESZ_S10_S11_S18_S1C_S1E_T6_T7_T9_mT8_S1G_bDpT10_ENKUlT_T0_E_clISt17integral_constantIbLb0EES1U_EEDaS1P_S1Q_EUlS1P_E_NS1_11comp_targetILNS1_3genE3ELNS1_11target_archE908ELNS1_3gpuE7ELNS1_3repE0EEENS1_30default_config_static_selectorELNS0_4arch9wavefront6targetE0EEEvS12_,"axG",@progbits,_ZN7rocprim17ROCPRIM_400000_NS6detail17trampoline_kernelINS0_13select_configILj256ELj13ELNS0_17block_load_methodE3ELS4_3ELS4_3ELNS0_20block_scan_algorithmE0ELj4294967295EEENS1_25partition_config_selectorILNS1_17partition_subalgoE4EjNS0_10empty_typeEbEEZZNS1_14partition_implILS8_4ELb0ES6_15HIP_vector_typeIjLj2EENS0_17counting_iteratorIjlEEPS9_SG_NS0_5tupleIJPjSI_NS0_16reverse_iteratorISI_EEEEENSH_IJSG_SG_SG_EEES9_SI_JZNS1_25segmented_radix_sort_implINS0_14default_configELb1EPKbPbPKlPlN2at6native12_GLOBAL__N_18offset_tEEE10hipError_tPvRmT1_PNSt15iterator_traitsIS12_E10value_typeET2_T3_PNS13_IS18_E10value_typeET4_jRbjT5_S1E_jjP12ihipStream_tbEUljE_ZNSN_ISO_Lb1ESQ_SR_ST_SU_SY_EESZ_S10_S11_S12_S16_S17_S18_S1B_S1C_jS1D_jS1E_S1E_jjS1G_bEUljE0_EEESZ_S10_S11_S18_S1C_S1E_T6_T7_T9_mT8_S1G_bDpT10_ENKUlT_T0_E_clISt17integral_constantIbLb0EES1U_EEDaS1P_S1Q_EUlS1P_E_NS1_11comp_targetILNS1_3genE3ELNS1_11target_archE908ELNS1_3gpuE7ELNS1_3repE0EEENS1_30default_config_static_selectorELNS0_4arch9wavefront6targetE0EEEvS12_,comdat
.Lfunc_end1471:
	.size	_ZN7rocprim17ROCPRIM_400000_NS6detail17trampoline_kernelINS0_13select_configILj256ELj13ELNS0_17block_load_methodE3ELS4_3ELS4_3ELNS0_20block_scan_algorithmE0ELj4294967295EEENS1_25partition_config_selectorILNS1_17partition_subalgoE4EjNS0_10empty_typeEbEEZZNS1_14partition_implILS8_4ELb0ES6_15HIP_vector_typeIjLj2EENS0_17counting_iteratorIjlEEPS9_SG_NS0_5tupleIJPjSI_NS0_16reverse_iteratorISI_EEEEENSH_IJSG_SG_SG_EEES9_SI_JZNS1_25segmented_radix_sort_implINS0_14default_configELb1EPKbPbPKlPlN2at6native12_GLOBAL__N_18offset_tEEE10hipError_tPvRmT1_PNSt15iterator_traitsIS12_E10value_typeET2_T3_PNS13_IS18_E10value_typeET4_jRbjT5_S1E_jjP12ihipStream_tbEUljE_ZNSN_ISO_Lb1ESQ_SR_ST_SU_SY_EESZ_S10_S11_S12_S16_S17_S18_S1B_S1C_jS1D_jS1E_S1E_jjS1G_bEUljE0_EEESZ_S10_S11_S18_S1C_S1E_T6_T7_T9_mT8_S1G_bDpT10_ENKUlT_T0_E_clISt17integral_constantIbLb0EES1U_EEDaS1P_S1Q_EUlS1P_E_NS1_11comp_targetILNS1_3genE3ELNS1_11target_archE908ELNS1_3gpuE7ELNS1_3repE0EEENS1_30default_config_static_selectorELNS0_4arch9wavefront6targetE0EEEvS12_, .Lfunc_end1471-_ZN7rocprim17ROCPRIM_400000_NS6detail17trampoline_kernelINS0_13select_configILj256ELj13ELNS0_17block_load_methodE3ELS4_3ELS4_3ELNS0_20block_scan_algorithmE0ELj4294967295EEENS1_25partition_config_selectorILNS1_17partition_subalgoE4EjNS0_10empty_typeEbEEZZNS1_14partition_implILS8_4ELb0ES6_15HIP_vector_typeIjLj2EENS0_17counting_iteratorIjlEEPS9_SG_NS0_5tupleIJPjSI_NS0_16reverse_iteratorISI_EEEEENSH_IJSG_SG_SG_EEES9_SI_JZNS1_25segmented_radix_sort_implINS0_14default_configELb1EPKbPbPKlPlN2at6native12_GLOBAL__N_18offset_tEEE10hipError_tPvRmT1_PNSt15iterator_traitsIS12_E10value_typeET2_T3_PNS13_IS18_E10value_typeET4_jRbjT5_S1E_jjP12ihipStream_tbEUljE_ZNSN_ISO_Lb1ESQ_SR_ST_SU_SY_EESZ_S10_S11_S12_S16_S17_S18_S1B_S1C_jS1D_jS1E_S1E_jjS1G_bEUljE0_EEESZ_S10_S11_S18_S1C_S1E_T6_T7_T9_mT8_S1G_bDpT10_ENKUlT_T0_E_clISt17integral_constantIbLb0EES1U_EEDaS1P_S1Q_EUlS1P_E_NS1_11comp_targetILNS1_3genE3ELNS1_11target_archE908ELNS1_3gpuE7ELNS1_3repE0EEENS1_30default_config_static_selectorELNS0_4arch9wavefront6targetE0EEEvS12_
                                        ; -- End function
	.section	.AMDGPU.csdata,"",@progbits
; Kernel info:
; codeLenInByte = 0
; NumSgprs: 0
; NumVgprs: 0
; ScratchSize: 0
; MemoryBound: 0
; FloatMode: 240
; IeeeMode: 1
; LDSByteSize: 0 bytes/workgroup (compile time only)
; SGPRBlocks: 0
; VGPRBlocks: 0
; NumSGPRsForWavesPerEU: 1
; NumVGPRsForWavesPerEU: 1
; Occupancy: 16
; WaveLimiterHint : 0
; COMPUTE_PGM_RSRC2:SCRATCH_EN: 0
; COMPUTE_PGM_RSRC2:USER_SGPR: 15
; COMPUTE_PGM_RSRC2:TRAP_HANDLER: 0
; COMPUTE_PGM_RSRC2:TGID_X_EN: 1
; COMPUTE_PGM_RSRC2:TGID_Y_EN: 0
; COMPUTE_PGM_RSRC2:TGID_Z_EN: 0
; COMPUTE_PGM_RSRC2:TIDIG_COMP_CNT: 0
	.section	.text._ZN7rocprim17ROCPRIM_400000_NS6detail17trampoline_kernelINS0_13select_configILj256ELj13ELNS0_17block_load_methodE3ELS4_3ELS4_3ELNS0_20block_scan_algorithmE0ELj4294967295EEENS1_25partition_config_selectorILNS1_17partition_subalgoE4EjNS0_10empty_typeEbEEZZNS1_14partition_implILS8_4ELb0ES6_15HIP_vector_typeIjLj2EENS0_17counting_iteratorIjlEEPS9_SG_NS0_5tupleIJPjSI_NS0_16reverse_iteratorISI_EEEEENSH_IJSG_SG_SG_EEES9_SI_JZNS1_25segmented_radix_sort_implINS0_14default_configELb1EPKbPbPKlPlN2at6native12_GLOBAL__N_18offset_tEEE10hipError_tPvRmT1_PNSt15iterator_traitsIS12_E10value_typeET2_T3_PNS13_IS18_E10value_typeET4_jRbjT5_S1E_jjP12ihipStream_tbEUljE_ZNSN_ISO_Lb1ESQ_SR_ST_SU_SY_EESZ_S10_S11_S12_S16_S17_S18_S1B_S1C_jS1D_jS1E_S1E_jjS1G_bEUljE0_EEESZ_S10_S11_S18_S1C_S1E_T6_T7_T9_mT8_S1G_bDpT10_ENKUlT_T0_E_clISt17integral_constantIbLb0EES1U_EEDaS1P_S1Q_EUlS1P_E_NS1_11comp_targetILNS1_3genE2ELNS1_11target_archE906ELNS1_3gpuE6ELNS1_3repE0EEENS1_30default_config_static_selectorELNS0_4arch9wavefront6targetE0EEEvS12_,"axG",@progbits,_ZN7rocprim17ROCPRIM_400000_NS6detail17trampoline_kernelINS0_13select_configILj256ELj13ELNS0_17block_load_methodE3ELS4_3ELS4_3ELNS0_20block_scan_algorithmE0ELj4294967295EEENS1_25partition_config_selectorILNS1_17partition_subalgoE4EjNS0_10empty_typeEbEEZZNS1_14partition_implILS8_4ELb0ES6_15HIP_vector_typeIjLj2EENS0_17counting_iteratorIjlEEPS9_SG_NS0_5tupleIJPjSI_NS0_16reverse_iteratorISI_EEEEENSH_IJSG_SG_SG_EEES9_SI_JZNS1_25segmented_radix_sort_implINS0_14default_configELb1EPKbPbPKlPlN2at6native12_GLOBAL__N_18offset_tEEE10hipError_tPvRmT1_PNSt15iterator_traitsIS12_E10value_typeET2_T3_PNS13_IS18_E10value_typeET4_jRbjT5_S1E_jjP12ihipStream_tbEUljE_ZNSN_ISO_Lb1ESQ_SR_ST_SU_SY_EESZ_S10_S11_S12_S16_S17_S18_S1B_S1C_jS1D_jS1E_S1E_jjS1G_bEUljE0_EEESZ_S10_S11_S18_S1C_S1E_T6_T7_T9_mT8_S1G_bDpT10_ENKUlT_T0_E_clISt17integral_constantIbLb0EES1U_EEDaS1P_S1Q_EUlS1P_E_NS1_11comp_targetILNS1_3genE2ELNS1_11target_archE906ELNS1_3gpuE6ELNS1_3repE0EEENS1_30default_config_static_selectorELNS0_4arch9wavefront6targetE0EEEvS12_,comdat
	.globl	_ZN7rocprim17ROCPRIM_400000_NS6detail17trampoline_kernelINS0_13select_configILj256ELj13ELNS0_17block_load_methodE3ELS4_3ELS4_3ELNS0_20block_scan_algorithmE0ELj4294967295EEENS1_25partition_config_selectorILNS1_17partition_subalgoE4EjNS0_10empty_typeEbEEZZNS1_14partition_implILS8_4ELb0ES6_15HIP_vector_typeIjLj2EENS0_17counting_iteratorIjlEEPS9_SG_NS0_5tupleIJPjSI_NS0_16reverse_iteratorISI_EEEEENSH_IJSG_SG_SG_EEES9_SI_JZNS1_25segmented_radix_sort_implINS0_14default_configELb1EPKbPbPKlPlN2at6native12_GLOBAL__N_18offset_tEEE10hipError_tPvRmT1_PNSt15iterator_traitsIS12_E10value_typeET2_T3_PNS13_IS18_E10value_typeET4_jRbjT5_S1E_jjP12ihipStream_tbEUljE_ZNSN_ISO_Lb1ESQ_SR_ST_SU_SY_EESZ_S10_S11_S12_S16_S17_S18_S1B_S1C_jS1D_jS1E_S1E_jjS1G_bEUljE0_EEESZ_S10_S11_S18_S1C_S1E_T6_T7_T9_mT8_S1G_bDpT10_ENKUlT_T0_E_clISt17integral_constantIbLb0EES1U_EEDaS1P_S1Q_EUlS1P_E_NS1_11comp_targetILNS1_3genE2ELNS1_11target_archE906ELNS1_3gpuE6ELNS1_3repE0EEENS1_30default_config_static_selectorELNS0_4arch9wavefront6targetE0EEEvS12_ ; -- Begin function _ZN7rocprim17ROCPRIM_400000_NS6detail17trampoline_kernelINS0_13select_configILj256ELj13ELNS0_17block_load_methodE3ELS4_3ELS4_3ELNS0_20block_scan_algorithmE0ELj4294967295EEENS1_25partition_config_selectorILNS1_17partition_subalgoE4EjNS0_10empty_typeEbEEZZNS1_14partition_implILS8_4ELb0ES6_15HIP_vector_typeIjLj2EENS0_17counting_iteratorIjlEEPS9_SG_NS0_5tupleIJPjSI_NS0_16reverse_iteratorISI_EEEEENSH_IJSG_SG_SG_EEES9_SI_JZNS1_25segmented_radix_sort_implINS0_14default_configELb1EPKbPbPKlPlN2at6native12_GLOBAL__N_18offset_tEEE10hipError_tPvRmT1_PNSt15iterator_traitsIS12_E10value_typeET2_T3_PNS13_IS18_E10value_typeET4_jRbjT5_S1E_jjP12ihipStream_tbEUljE_ZNSN_ISO_Lb1ESQ_SR_ST_SU_SY_EESZ_S10_S11_S12_S16_S17_S18_S1B_S1C_jS1D_jS1E_S1E_jjS1G_bEUljE0_EEESZ_S10_S11_S18_S1C_S1E_T6_T7_T9_mT8_S1G_bDpT10_ENKUlT_T0_E_clISt17integral_constantIbLb0EES1U_EEDaS1P_S1Q_EUlS1P_E_NS1_11comp_targetILNS1_3genE2ELNS1_11target_archE906ELNS1_3gpuE6ELNS1_3repE0EEENS1_30default_config_static_selectorELNS0_4arch9wavefront6targetE0EEEvS12_
	.p2align	8
	.type	_ZN7rocprim17ROCPRIM_400000_NS6detail17trampoline_kernelINS0_13select_configILj256ELj13ELNS0_17block_load_methodE3ELS4_3ELS4_3ELNS0_20block_scan_algorithmE0ELj4294967295EEENS1_25partition_config_selectorILNS1_17partition_subalgoE4EjNS0_10empty_typeEbEEZZNS1_14partition_implILS8_4ELb0ES6_15HIP_vector_typeIjLj2EENS0_17counting_iteratorIjlEEPS9_SG_NS0_5tupleIJPjSI_NS0_16reverse_iteratorISI_EEEEENSH_IJSG_SG_SG_EEES9_SI_JZNS1_25segmented_radix_sort_implINS0_14default_configELb1EPKbPbPKlPlN2at6native12_GLOBAL__N_18offset_tEEE10hipError_tPvRmT1_PNSt15iterator_traitsIS12_E10value_typeET2_T3_PNS13_IS18_E10value_typeET4_jRbjT5_S1E_jjP12ihipStream_tbEUljE_ZNSN_ISO_Lb1ESQ_SR_ST_SU_SY_EESZ_S10_S11_S12_S16_S17_S18_S1B_S1C_jS1D_jS1E_S1E_jjS1G_bEUljE0_EEESZ_S10_S11_S18_S1C_S1E_T6_T7_T9_mT8_S1G_bDpT10_ENKUlT_T0_E_clISt17integral_constantIbLb0EES1U_EEDaS1P_S1Q_EUlS1P_E_NS1_11comp_targetILNS1_3genE2ELNS1_11target_archE906ELNS1_3gpuE6ELNS1_3repE0EEENS1_30default_config_static_selectorELNS0_4arch9wavefront6targetE0EEEvS12_,@function
_ZN7rocprim17ROCPRIM_400000_NS6detail17trampoline_kernelINS0_13select_configILj256ELj13ELNS0_17block_load_methodE3ELS4_3ELS4_3ELNS0_20block_scan_algorithmE0ELj4294967295EEENS1_25partition_config_selectorILNS1_17partition_subalgoE4EjNS0_10empty_typeEbEEZZNS1_14partition_implILS8_4ELb0ES6_15HIP_vector_typeIjLj2EENS0_17counting_iteratorIjlEEPS9_SG_NS0_5tupleIJPjSI_NS0_16reverse_iteratorISI_EEEEENSH_IJSG_SG_SG_EEES9_SI_JZNS1_25segmented_radix_sort_implINS0_14default_configELb1EPKbPbPKlPlN2at6native12_GLOBAL__N_18offset_tEEE10hipError_tPvRmT1_PNSt15iterator_traitsIS12_E10value_typeET2_T3_PNS13_IS18_E10value_typeET4_jRbjT5_S1E_jjP12ihipStream_tbEUljE_ZNSN_ISO_Lb1ESQ_SR_ST_SU_SY_EESZ_S10_S11_S12_S16_S17_S18_S1B_S1C_jS1D_jS1E_S1E_jjS1G_bEUljE0_EEESZ_S10_S11_S18_S1C_S1E_T6_T7_T9_mT8_S1G_bDpT10_ENKUlT_T0_E_clISt17integral_constantIbLb0EES1U_EEDaS1P_S1Q_EUlS1P_E_NS1_11comp_targetILNS1_3genE2ELNS1_11target_archE906ELNS1_3gpuE6ELNS1_3repE0EEENS1_30default_config_static_selectorELNS0_4arch9wavefront6targetE0EEEvS12_: ; @_ZN7rocprim17ROCPRIM_400000_NS6detail17trampoline_kernelINS0_13select_configILj256ELj13ELNS0_17block_load_methodE3ELS4_3ELS4_3ELNS0_20block_scan_algorithmE0ELj4294967295EEENS1_25partition_config_selectorILNS1_17partition_subalgoE4EjNS0_10empty_typeEbEEZZNS1_14partition_implILS8_4ELb0ES6_15HIP_vector_typeIjLj2EENS0_17counting_iteratorIjlEEPS9_SG_NS0_5tupleIJPjSI_NS0_16reverse_iteratorISI_EEEEENSH_IJSG_SG_SG_EEES9_SI_JZNS1_25segmented_radix_sort_implINS0_14default_configELb1EPKbPbPKlPlN2at6native12_GLOBAL__N_18offset_tEEE10hipError_tPvRmT1_PNSt15iterator_traitsIS12_E10value_typeET2_T3_PNS13_IS18_E10value_typeET4_jRbjT5_S1E_jjP12ihipStream_tbEUljE_ZNSN_ISO_Lb1ESQ_SR_ST_SU_SY_EESZ_S10_S11_S12_S16_S17_S18_S1B_S1C_jS1D_jS1E_S1E_jjS1G_bEUljE0_EEESZ_S10_S11_S18_S1C_S1E_T6_T7_T9_mT8_S1G_bDpT10_ENKUlT_T0_E_clISt17integral_constantIbLb0EES1U_EEDaS1P_S1Q_EUlS1P_E_NS1_11comp_targetILNS1_3genE2ELNS1_11target_archE906ELNS1_3gpuE6ELNS1_3repE0EEENS1_30default_config_static_selectorELNS0_4arch9wavefront6targetE0EEEvS12_
; %bb.0:
	.section	.rodata,"a",@progbits
	.p2align	6, 0x0
	.amdhsa_kernel _ZN7rocprim17ROCPRIM_400000_NS6detail17trampoline_kernelINS0_13select_configILj256ELj13ELNS0_17block_load_methodE3ELS4_3ELS4_3ELNS0_20block_scan_algorithmE0ELj4294967295EEENS1_25partition_config_selectorILNS1_17partition_subalgoE4EjNS0_10empty_typeEbEEZZNS1_14partition_implILS8_4ELb0ES6_15HIP_vector_typeIjLj2EENS0_17counting_iteratorIjlEEPS9_SG_NS0_5tupleIJPjSI_NS0_16reverse_iteratorISI_EEEEENSH_IJSG_SG_SG_EEES9_SI_JZNS1_25segmented_radix_sort_implINS0_14default_configELb1EPKbPbPKlPlN2at6native12_GLOBAL__N_18offset_tEEE10hipError_tPvRmT1_PNSt15iterator_traitsIS12_E10value_typeET2_T3_PNS13_IS18_E10value_typeET4_jRbjT5_S1E_jjP12ihipStream_tbEUljE_ZNSN_ISO_Lb1ESQ_SR_ST_SU_SY_EESZ_S10_S11_S12_S16_S17_S18_S1B_S1C_jS1D_jS1E_S1E_jjS1G_bEUljE0_EEESZ_S10_S11_S18_S1C_S1E_T6_T7_T9_mT8_S1G_bDpT10_ENKUlT_T0_E_clISt17integral_constantIbLb0EES1U_EEDaS1P_S1Q_EUlS1P_E_NS1_11comp_targetILNS1_3genE2ELNS1_11target_archE906ELNS1_3gpuE6ELNS1_3repE0EEENS1_30default_config_static_selectorELNS0_4arch9wavefront6targetE0EEEvS12_
		.amdhsa_group_segment_fixed_size 0
		.amdhsa_private_segment_fixed_size 0
		.amdhsa_kernarg_size 176
		.amdhsa_user_sgpr_count 15
		.amdhsa_user_sgpr_dispatch_ptr 0
		.amdhsa_user_sgpr_queue_ptr 0
		.amdhsa_user_sgpr_kernarg_segment_ptr 1
		.amdhsa_user_sgpr_dispatch_id 0
		.amdhsa_user_sgpr_private_segment_size 0
		.amdhsa_wavefront_size32 1
		.amdhsa_uses_dynamic_stack 0
		.amdhsa_enable_private_segment 0
		.amdhsa_system_sgpr_workgroup_id_x 1
		.amdhsa_system_sgpr_workgroup_id_y 0
		.amdhsa_system_sgpr_workgroup_id_z 0
		.amdhsa_system_sgpr_workgroup_info 0
		.amdhsa_system_vgpr_workitem_id 0
		.amdhsa_next_free_vgpr 1
		.amdhsa_next_free_sgpr 1
		.amdhsa_reserve_vcc 0
		.amdhsa_float_round_mode_32 0
		.amdhsa_float_round_mode_16_64 0
		.amdhsa_float_denorm_mode_32 3
		.amdhsa_float_denorm_mode_16_64 3
		.amdhsa_dx10_clamp 1
		.amdhsa_ieee_mode 1
		.amdhsa_fp16_overflow 0
		.amdhsa_workgroup_processor_mode 1
		.amdhsa_memory_ordered 1
		.amdhsa_forward_progress 0
		.amdhsa_shared_vgpr_count 0
		.amdhsa_exception_fp_ieee_invalid_op 0
		.amdhsa_exception_fp_denorm_src 0
		.amdhsa_exception_fp_ieee_div_zero 0
		.amdhsa_exception_fp_ieee_overflow 0
		.amdhsa_exception_fp_ieee_underflow 0
		.amdhsa_exception_fp_ieee_inexact 0
		.amdhsa_exception_int_div_zero 0
	.end_amdhsa_kernel
	.section	.text._ZN7rocprim17ROCPRIM_400000_NS6detail17trampoline_kernelINS0_13select_configILj256ELj13ELNS0_17block_load_methodE3ELS4_3ELS4_3ELNS0_20block_scan_algorithmE0ELj4294967295EEENS1_25partition_config_selectorILNS1_17partition_subalgoE4EjNS0_10empty_typeEbEEZZNS1_14partition_implILS8_4ELb0ES6_15HIP_vector_typeIjLj2EENS0_17counting_iteratorIjlEEPS9_SG_NS0_5tupleIJPjSI_NS0_16reverse_iteratorISI_EEEEENSH_IJSG_SG_SG_EEES9_SI_JZNS1_25segmented_radix_sort_implINS0_14default_configELb1EPKbPbPKlPlN2at6native12_GLOBAL__N_18offset_tEEE10hipError_tPvRmT1_PNSt15iterator_traitsIS12_E10value_typeET2_T3_PNS13_IS18_E10value_typeET4_jRbjT5_S1E_jjP12ihipStream_tbEUljE_ZNSN_ISO_Lb1ESQ_SR_ST_SU_SY_EESZ_S10_S11_S12_S16_S17_S18_S1B_S1C_jS1D_jS1E_S1E_jjS1G_bEUljE0_EEESZ_S10_S11_S18_S1C_S1E_T6_T7_T9_mT8_S1G_bDpT10_ENKUlT_T0_E_clISt17integral_constantIbLb0EES1U_EEDaS1P_S1Q_EUlS1P_E_NS1_11comp_targetILNS1_3genE2ELNS1_11target_archE906ELNS1_3gpuE6ELNS1_3repE0EEENS1_30default_config_static_selectorELNS0_4arch9wavefront6targetE0EEEvS12_,"axG",@progbits,_ZN7rocprim17ROCPRIM_400000_NS6detail17trampoline_kernelINS0_13select_configILj256ELj13ELNS0_17block_load_methodE3ELS4_3ELS4_3ELNS0_20block_scan_algorithmE0ELj4294967295EEENS1_25partition_config_selectorILNS1_17partition_subalgoE4EjNS0_10empty_typeEbEEZZNS1_14partition_implILS8_4ELb0ES6_15HIP_vector_typeIjLj2EENS0_17counting_iteratorIjlEEPS9_SG_NS0_5tupleIJPjSI_NS0_16reverse_iteratorISI_EEEEENSH_IJSG_SG_SG_EEES9_SI_JZNS1_25segmented_radix_sort_implINS0_14default_configELb1EPKbPbPKlPlN2at6native12_GLOBAL__N_18offset_tEEE10hipError_tPvRmT1_PNSt15iterator_traitsIS12_E10value_typeET2_T3_PNS13_IS18_E10value_typeET4_jRbjT5_S1E_jjP12ihipStream_tbEUljE_ZNSN_ISO_Lb1ESQ_SR_ST_SU_SY_EESZ_S10_S11_S12_S16_S17_S18_S1B_S1C_jS1D_jS1E_S1E_jjS1G_bEUljE0_EEESZ_S10_S11_S18_S1C_S1E_T6_T7_T9_mT8_S1G_bDpT10_ENKUlT_T0_E_clISt17integral_constantIbLb0EES1U_EEDaS1P_S1Q_EUlS1P_E_NS1_11comp_targetILNS1_3genE2ELNS1_11target_archE906ELNS1_3gpuE6ELNS1_3repE0EEENS1_30default_config_static_selectorELNS0_4arch9wavefront6targetE0EEEvS12_,comdat
.Lfunc_end1472:
	.size	_ZN7rocprim17ROCPRIM_400000_NS6detail17trampoline_kernelINS0_13select_configILj256ELj13ELNS0_17block_load_methodE3ELS4_3ELS4_3ELNS0_20block_scan_algorithmE0ELj4294967295EEENS1_25partition_config_selectorILNS1_17partition_subalgoE4EjNS0_10empty_typeEbEEZZNS1_14partition_implILS8_4ELb0ES6_15HIP_vector_typeIjLj2EENS0_17counting_iteratorIjlEEPS9_SG_NS0_5tupleIJPjSI_NS0_16reverse_iteratorISI_EEEEENSH_IJSG_SG_SG_EEES9_SI_JZNS1_25segmented_radix_sort_implINS0_14default_configELb1EPKbPbPKlPlN2at6native12_GLOBAL__N_18offset_tEEE10hipError_tPvRmT1_PNSt15iterator_traitsIS12_E10value_typeET2_T3_PNS13_IS18_E10value_typeET4_jRbjT5_S1E_jjP12ihipStream_tbEUljE_ZNSN_ISO_Lb1ESQ_SR_ST_SU_SY_EESZ_S10_S11_S12_S16_S17_S18_S1B_S1C_jS1D_jS1E_S1E_jjS1G_bEUljE0_EEESZ_S10_S11_S18_S1C_S1E_T6_T7_T9_mT8_S1G_bDpT10_ENKUlT_T0_E_clISt17integral_constantIbLb0EES1U_EEDaS1P_S1Q_EUlS1P_E_NS1_11comp_targetILNS1_3genE2ELNS1_11target_archE906ELNS1_3gpuE6ELNS1_3repE0EEENS1_30default_config_static_selectorELNS0_4arch9wavefront6targetE0EEEvS12_, .Lfunc_end1472-_ZN7rocprim17ROCPRIM_400000_NS6detail17trampoline_kernelINS0_13select_configILj256ELj13ELNS0_17block_load_methodE3ELS4_3ELS4_3ELNS0_20block_scan_algorithmE0ELj4294967295EEENS1_25partition_config_selectorILNS1_17partition_subalgoE4EjNS0_10empty_typeEbEEZZNS1_14partition_implILS8_4ELb0ES6_15HIP_vector_typeIjLj2EENS0_17counting_iteratorIjlEEPS9_SG_NS0_5tupleIJPjSI_NS0_16reverse_iteratorISI_EEEEENSH_IJSG_SG_SG_EEES9_SI_JZNS1_25segmented_radix_sort_implINS0_14default_configELb1EPKbPbPKlPlN2at6native12_GLOBAL__N_18offset_tEEE10hipError_tPvRmT1_PNSt15iterator_traitsIS12_E10value_typeET2_T3_PNS13_IS18_E10value_typeET4_jRbjT5_S1E_jjP12ihipStream_tbEUljE_ZNSN_ISO_Lb1ESQ_SR_ST_SU_SY_EESZ_S10_S11_S12_S16_S17_S18_S1B_S1C_jS1D_jS1E_S1E_jjS1G_bEUljE0_EEESZ_S10_S11_S18_S1C_S1E_T6_T7_T9_mT8_S1G_bDpT10_ENKUlT_T0_E_clISt17integral_constantIbLb0EES1U_EEDaS1P_S1Q_EUlS1P_E_NS1_11comp_targetILNS1_3genE2ELNS1_11target_archE906ELNS1_3gpuE6ELNS1_3repE0EEENS1_30default_config_static_selectorELNS0_4arch9wavefront6targetE0EEEvS12_
                                        ; -- End function
	.section	.AMDGPU.csdata,"",@progbits
; Kernel info:
; codeLenInByte = 0
; NumSgprs: 0
; NumVgprs: 0
; ScratchSize: 0
; MemoryBound: 0
; FloatMode: 240
; IeeeMode: 1
; LDSByteSize: 0 bytes/workgroup (compile time only)
; SGPRBlocks: 0
; VGPRBlocks: 0
; NumSGPRsForWavesPerEU: 1
; NumVGPRsForWavesPerEU: 1
; Occupancy: 16
; WaveLimiterHint : 0
; COMPUTE_PGM_RSRC2:SCRATCH_EN: 0
; COMPUTE_PGM_RSRC2:USER_SGPR: 15
; COMPUTE_PGM_RSRC2:TRAP_HANDLER: 0
; COMPUTE_PGM_RSRC2:TGID_X_EN: 1
; COMPUTE_PGM_RSRC2:TGID_Y_EN: 0
; COMPUTE_PGM_RSRC2:TGID_Z_EN: 0
; COMPUTE_PGM_RSRC2:TIDIG_COMP_CNT: 0
	.section	.text._ZN7rocprim17ROCPRIM_400000_NS6detail17trampoline_kernelINS0_13select_configILj256ELj13ELNS0_17block_load_methodE3ELS4_3ELS4_3ELNS0_20block_scan_algorithmE0ELj4294967295EEENS1_25partition_config_selectorILNS1_17partition_subalgoE4EjNS0_10empty_typeEbEEZZNS1_14partition_implILS8_4ELb0ES6_15HIP_vector_typeIjLj2EENS0_17counting_iteratorIjlEEPS9_SG_NS0_5tupleIJPjSI_NS0_16reverse_iteratorISI_EEEEENSH_IJSG_SG_SG_EEES9_SI_JZNS1_25segmented_radix_sort_implINS0_14default_configELb1EPKbPbPKlPlN2at6native12_GLOBAL__N_18offset_tEEE10hipError_tPvRmT1_PNSt15iterator_traitsIS12_E10value_typeET2_T3_PNS13_IS18_E10value_typeET4_jRbjT5_S1E_jjP12ihipStream_tbEUljE_ZNSN_ISO_Lb1ESQ_SR_ST_SU_SY_EESZ_S10_S11_S12_S16_S17_S18_S1B_S1C_jS1D_jS1E_S1E_jjS1G_bEUljE0_EEESZ_S10_S11_S18_S1C_S1E_T6_T7_T9_mT8_S1G_bDpT10_ENKUlT_T0_E_clISt17integral_constantIbLb0EES1U_EEDaS1P_S1Q_EUlS1P_E_NS1_11comp_targetILNS1_3genE10ELNS1_11target_archE1200ELNS1_3gpuE4ELNS1_3repE0EEENS1_30default_config_static_selectorELNS0_4arch9wavefront6targetE0EEEvS12_,"axG",@progbits,_ZN7rocprim17ROCPRIM_400000_NS6detail17trampoline_kernelINS0_13select_configILj256ELj13ELNS0_17block_load_methodE3ELS4_3ELS4_3ELNS0_20block_scan_algorithmE0ELj4294967295EEENS1_25partition_config_selectorILNS1_17partition_subalgoE4EjNS0_10empty_typeEbEEZZNS1_14partition_implILS8_4ELb0ES6_15HIP_vector_typeIjLj2EENS0_17counting_iteratorIjlEEPS9_SG_NS0_5tupleIJPjSI_NS0_16reverse_iteratorISI_EEEEENSH_IJSG_SG_SG_EEES9_SI_JZNS1_25segmented_radix_sort_implINS0_14default_configELb1EPKbPbPKlPlN2at6native12_GLOBAL__N_18offset_tEEE10hipError_tPvRmT1_PNSt15iterator_traitsIS12_E10value_typeET2_T3_PNS13_IS18_E10value_typeET4_jRbjT5_S1E_jjP12ihipStream_tbEUljE_ZNSN_ISO_Lb1ESQ_SR_ST_SU_SY_EESZ_S10_S11_S12_S16_S17_S18_S1B_S1C_jS1D_jS1E_S1E_jjS1G_bEUljE0_EEESZ_S10_S11_S18_S1C_S1E_T6_T7_T9_mT8_S1G_bDpT10_ENKUlT_T0_E_clISt17integral_constantIbLb0EES1U_EEDaS1P_S1Q_EUlS1P_E_NS1_11comp_targetILNS1_3genE10ELNS1_11target_archE1200ELNS1_3gpuE4ELNS1_3repE0EEENS1_30default_config_static_selectorELNS0_4arch9wavefront6targetE0EEEvS12_,comdat
	.globl	_ZN7rocprim17ROCPRIM_400000_NS6detail17trampoline_kernelINS0_13select_configILj256ELj13ELNS0_17block_load_methodE3ELS4_3ELS4_3ELNS0_20block_scan_algorithmE0ELj4294967295EEENS1_25partition_config_selectorILNS1_17partition_subalgoE4EjNS0_10empty_typeEbEEZZNS1_14partition_implILS8_4ELb0ES6_15HIP_vector_typeIjLj2EENS0_17counting_iteratorIjlEEPS9_SG_NS0_5tupleIJPjSI_NS0_16reverse_iteratorISI_EEEEENSH_IJSG_SG_SG_EEES9_SI_JZNS1_25segmented_radix_sort_implINS0_14default_configELb1EPKbPbPKlPlN2at6native12_GLOBAL__N_18offset_tEEE10hipError_tPvRmT1_PNSt15iterator_traitsIS12_E10value_typeET2_T3_PNS13_IS18_E10value_typeET4_jRbjT5_S1E_jjP12ihipStream_tbEUljE_ZNSN_ISO_Lb1ESQ_SR_ST_SU_SY_EESZ_S10_S11_S12_S16_S17_S18_S1B_S1C_jS1D_jS1E_S1E_jjS1G_bEUljE0_EEESZ_S10_S11_S18_S1C_S1E_T6_T7_T9_mT8_S1G_bDpT10_ENKUlT_T0_E_clISt17integral_constantIbLb0EES1U_EEDaS1P_S1Q_EUlS1P_E_NS1_11comp_targetILNS1_3genE10ELNS1_11target_archE1200ELNS1_3gpuE4ELNS1_3repE0EEENS1_30default_config_static_selectorELNS0_4arch9wavefront6targetE0EEEvS12_ ; -- Begin function _ZN7rocprim17ROCPRIM_400000_NS6detail17trampoline_kernelINS0_13select_configILj256ELj13ELNS0_17block_load_methodE3ELS4_3ELS4_3ELNS0_20block_scan_algorithmE0ELj4294967295EEENS1_25partition_config_selectorILNS1_17partition_subalgoE4EjNS0_10empty_typeEbEEZZNS1_14partition_implILS8_4ELb0ES6_15HIP_vector_typeIjLj2EENS0_17counting_iteratorIjlEEPS9_SG_NS0_5tupleIJPjSI_NS0_16reverse_iteratorISI_EEEEENSH_IJSG_SG_SG_EEES9_SI_JZNS1_25segmented_radix_sort_implINS0_14default_configELb1EPKbPbPKlPlN2at6native12_GLOBAL__N_18offset_tEEE10hipError_tPvRmT1_PNSt15iterator_traitsIS12_E10value_typeET2_T3_PNS13_IS18_E10value_typeET4_jRbjT5_S1E_jjP12ihipStream_tbEUljE_ZNSN_ISO_Lb1ESQ_SR_ST_SU_SY_EESZ_S10_S11_S12_S16_S17_S18_S1B_S1C_jS1D_jS1E_S1E_jjS1G_bEUljE0_EEESZ_S10_S11_S18_S1C_S1E_T6_T7_T9_mT8_S1G_bDpT10_ENKUlT_T0_E_clISt17integral_constantIbLb0EES1U_EEDaS1P_S1Q_EUlS1P_E_NS1_11comp_targetILNS1_3genE10ELNS1_11target_archE1200ELNS1_3gpuE4ELNS1_3repE0EEENS1_30default_config_static_selectorELNS0_4arch9wavefront6targetE0EEEvS12_
	.p2align	8
	.type	_ZN7rocprim17ROCPRIM_400000_NS6detail17trampoline_kernelINS0_13select_configILj256ELj13ELNS0_17block_load_methodE3ELS4_3ELS4_3ELNS0_20block_scan_algorithmE0ELj4294967295EEENS1_25partition_config_selectorILNS1_17partition_subalgoE4EjNS0_10empty_typeEbEEZZNS1_14partition_implILS8_4ELb0ES6_15HIP_vector_typeIjLj2EENS0_17counting_iteratorIjlEEPS9_SG_NS0_5tupleIJPjSI_NS0_16reverse_iteratorISI_EEEEENSH_IJSG_SG_SG_EEES9_SI_JZNS1_25segmented_radix_sort_implINS0_14default_configELb1EPKbPbPKlPlN2at6native12_GLOBAL__N_18offset_tEEE10hipError_tPvRmT1_PNSt15iterator_traitsIS12_E10value_typeET2_T3_PNS13_IS18_E10value_typeET4_jRbjT5_S1E_jjP12ihipStream_tbEUljE_ZNSN_ISO_Lb1ESQ_SR_ST_SU_SY_EESZ_S10_S11_S12_S16_S17_S18_S1B_S1C_jS1D_jS1E_S1E_jjS1G_bEUljE0_EEESZ_S10_S11_S18_S1C_S1E_T6_T7_T9_mT8_S1G_bDpT10_ENKUlT_T0_E_clISt17integral_constantIbLb0EES1U_EEDaS1P_S1Q_EUlS1P_E_NS1_11comp_targetILNS1_3genE10ELNS1_11target_archE1200ELNS1_3gpuE4ELNS1_3repE0EEENS1_30default_config_static_selectorELNS0_4arch9wavefront6targetE0EEEvS12_,@function
_ZN7rocprim17ROCPRIM_400000_NS6detail17trampoline_kernelINS0_13select_configILj256ELj13ELNS0_17block_load_methodE3ELS4_3ELS4_3ELNS0_20block_scan_algorithmE0ELj4294967295EEENS1_25partition_config_selectorILNS1_17partition_subalgoE4EjNS0_10empty_typeEbEEZZNS1_14partition_implILS8_4ELb0ES6_15HIP_vector_typeIjLj2EENS0_17counting_iteratorIjlEEPS9_SG_NS0_5tupleIJPjSI_NS0_16reverse_iteratorISI_EEEEENSH_IJSG_SG_SG_EEES9_SI_JZNS1_25segmented_radix_sort_implINS0_14default_configELb1EPKbPbPKlPlN2at6native12_GLOBAL__N_18offset_tEEE10hipError_tPvRmT1_PNSt15iterator_traitsIS12_E10value_typeET2_T3_PNS13_IS18_E10value_typeET4_jRbjT5_S1E_jjP12ihipStream_tbEUljE_ZNSN_ISO_Lb1ESQ_SR_ST_SU_SY_EESZ_S10_S11_S12_S16_S17_S18_S1B_S1C_jS1D_jS1E_S1E_jjS1G_bEUljE0_EEESZ_S10_S11_S18_S1C_S1E_T6_T7_T9_mT8_S1G_bDpT10_ENKUlT_T0_E_clISt17integral_constantIbLb0EES1U_EEDaS1P_S1Q_EUlS1P_E_NS1_11comp_targetILNS1_3genE10ELNS1_11target_archE1200ELNS1_3gpuE4ELNS1_3repE0EEENS1_30default_config_static_selectorELNS0_4arch9wavefront6targetE0EEEvS12_: ; @_ZN7rocprim17ROCPRIM_400000_NS6detail17trampoline_kernelINS0_13select_configILj256ELj13ELNS0_17block_load_methodE3ELS4_3ELS4_3ELNS0_20block_scan_algorithmE0ELj4294967295EEENS1_25partition_config_selectorILNS1_17partition_subalgoE4EjNS0_10empty_typeEbEEZZNS1_14partition_implILS8_4ELb0ES6_15HIP_vector_typeIjLj2EENS0_17counting_iteratorIjlEEPS9_SG_NS0_5tupleIJPjSI_NS0_16reverse_iteratorISI_EEEEENSH_IJSG_SG_SG_EEES9_SI_JZNS1_25segmented_radix_sort_implINS0_14default_configELb1EPKbPbPKlPlN2at6native12_GLOBAL__N_18offset_tEEE10hipError_tPvRmT1_PNSt15iterator_traitsIS12_E10value_typeET2_T3_PNS13_IS18_E10value_typeET4_jRbjT5_S1E_jjP12ihipStream_tbEUljE_ZNSN_ISO_Lb1ESQ_SR_ST_SU_SY_EESZ_S10_S11_S12_S16_S17_S18_S1B_S1C_jS1D_jS1E_S1E_jjS1G_bEUljE0_EEESZ_S10_S11_S18_S1C_S1E_T6_T7_T9_mT8_S1G_bDpT10_ENKUlT_T0_E_clISt17integral_constantIbLb0EES1U_EEDaS1P_S1Q_EUlS1P_E_NS1_11comp_targetILNS1_3genE10ELNS1_11target_archE1200ELNS1_3gpuE4ELNS1_3repE0EEENS1_30default_config_static_selectorELNS0_4arch9wavefront6targetE0EEEvS12_
; %bb.0:
	.section	.rodata,"a",@progbits
	.p2align	6, 0x0
	.amdhsa_kernel _ZN7rocprim17ROCPRIM_400000_NS6detail17trampoline_kernelINS0_13select_configILj256ELj13ELNS0_17block_load_methodE3ELS4_3ELS4_3ELNS0_20block_scan_algorithmE0ELj4294967295EEENS1_25partition_config_selectorILNS1_17partition_subalgoE4EjNS0_10empty_typeEbEEZZNS1_14partition_implILS8_4ELb0ES6_15HIP_vector_typeIjLj2EENS0_17counting_iteratorIjlEEPS9_SG_NS0_5tupleIJPjSI_NS0_16reverse_iteratorISI_EEEEENSH_IJSG_SG_SG_EEES9_SI_JZNS1_25segmented_radix_sort_implINS0_14default_configELb1EPKbPbPKlPlN2at6native12_GLOBAL__N_18offset_tEEE10hipError_tPvRmT1_PNSt15iterator_traitsIS12_E10value_typeET2_T3_PNS13_IS18_E10value_typeET4_jRbjT5_S1E_jjP12ihipStream_tbEUljE_ZNSN_ISO_Lb1ESQ_SR_ST_SU_SY_EESZ_S10_S11_S12_S16_S17_S18_S1B_S1C_jS1D_jS1E_S1E_jjS1G_bEUljE0_EEESZ_S10_S11_S18_S1C_S1E_T6_T7_T9_mT8_S1G_bDpT10_ENKUlT_T0_E_clISt17integral_constantIbLb0EES1U_EEDaS1P_S1Q_EUlS1P_E_NS1_11comp_targetILNS1_3genE10ELNS1_11target_archE1200ELNS1_3gpuE4ELNS1_3repE0EEENS1_30default_config_static_selectorELNS0_4arch9wavefront6targetE0EEEvS12_
		.amdhsa_group_segment_fixed_size 0
		.amdhsa_private_segment_fixed_size 0
		.amdhsa_kernarg_size 176
		.amdhsa_user_sgpr_count 15
		.amdhsa_user_sgpr_dispatch_ptr 0
		.amdhsa_user_sgpr_queue_ptr 0
		.amdhsa_user_sgpr_kernarg_segment_ptr 1
		.amdhsa_user_sgpr_dispatch_id 0
		.amdhsa_user_sgpr_private_segment_size 0
		.amdhsa_wavefront_size32 1
		.amdhsa_uses_dynamic_stack 0
		.amdhsa_enable_private_segment 0
		.amdhsa_system_sgpr_workgroup_id_x 1
		.amdhsa_system_sgpr_workgroup_id_y 0
		.amdhsa_system_sgpr_workgroup_id_z 0
		.amdhsa_system_sgpr_workgroup_info 0
		.amdhsa_system_vgpr_workitem_id 0
		.amdhsa_next_free_vgpr 1
		.amdhsa_next_free_sgpr 1
		.amdhsa_reserve_vcc 0
		.amdhsa_float_round_mode_32 0
		.amdhsa_float_round_mode_16_64 0
		.amdhsa_float_denorm_mode_32 3
		.amdhsa_float_denorm_mode_16_64 3
		.amdhsa_dx10_clamp 1
		.amdhsa_ieee_mode 1
		.amdhsa_fp16_overflow 0
		.amdhsa_workgroup_processor_mode 1
		.amdhsa_memory_ordered 1
		.amdhsa_forward_progress 0
		.amdhsa_shared_vgpr_count 0
		.amdhsa_exception_fp_ieee_invalid_op 0
		.amdhsa_exception_fp_denorm_src 0
		.amdhsa_exception_fp_ieee_div_zero 0
		.amdhsa_exception_fp_ieee_overflow 0
		.amdhsa_exception_fp_ieee_underflow 0
		.amdhsa_exception_fp_ieee_inexact 0
		.amdhsa_exception_int_div_zero 0
	.end_amdhsa_kernel
	.section	.text._ZN7rocprim17ROCPRIM_400000_NS6detail17trampoline_kernelINS0_13select_configILj256ELj13ELNS0_17block_load_methodE3ELS4_3ELS4_3ELNS0_20block_scan_algorithmE0ELj4294967295EEENS1_25partition_config_selectorILNS1_17partition_subalgoE4EjNS0_10empty_typeEbEEZZNS1_14partition_implILS8_4ELb0ES6_15HIP_vector_typeIjLj2EENS0_17counting_iteratorIjlEEPS9_SG_NS0_5tupleIJPjSI_NS0_16reverse_iteratorISI_EEEEENSH_IJSG_SG_SG_EEES9_SI_JZNS1_25segmented_radix_sort_implINS0_14default_configELb1EPKbPbPKlPlN2at6native12_GLOBAL__N_18offset_tEEE10hipError_tPvRmT1_PNSt15iterator_traitsIS12_E10value_typeET2_T3_PNS13_IS18_E10value_typeET4_jRbjT5_S1E_jjP12ihipStream_tbEUljE_ZNSN_ISO_Lb1ESQ_SR_ST_SU_SY_EESZ_S10_S11_S12_S16_S17_S18_S1B_S1C_jS1D_jS1E_S1E_jjS1G_bEUljE0_EEESZ_S10_S11_S18_S1C_S1E_T6_T7_T9_mT8_S1G_bDpT10_ENKUlT_T0_E_clISt17integral_constantIbLb0EES1U_EEDaS1P_S1Q_EUlS1P_E_NS1_11comp_targetILNS1_3genE10ELNS1_11target_archE1200ELNS1_3gpuE4ELNS1_3repE0EEENS1_30default_config_static_selectorELNS0_4arch9wavefront6targetE0EEEvS12_,"axG",@progbits,_ZN7rocprim17ROCPRIM_400000_NS6detail17trampoline_kernelINS0_13select_configILj256ELj13ELNS0_17block_load_methodE3ELS4_3ELS4_3ELNS0_20block_scan_algorithmE0ELj4294967295EEENS1_25partition_config_selectorILNS1_17partition_subalgoE4EjNS0_10empty_typeEbEEZZNS1_14partition_implILS8_4ELb0ES6_15HIP_vector_typeIjLj2EENS0_17counting_iteratorIjlEEPS9_SG_NS0_5tupleIJPjSI_NS0_16reverse_iteratorISI_EEEEENSH_IJSG_SG_SG_EEES9_SI_JZNS1_25segmented_radix_sort_implINS0_14default_configELb1EPKbPbPKlPlN2at6native12_GLOBAL__N_18offset_tEEE10hipError_tPvRmT1_PNSt15iterator_traitsIS12_E10value_typeET2_T3_PNS13_IS18_E10value_typeET4_jRbjT5_S1E_jjP12ihipStream_tbEUljE_ZNSN_ISO_Lb1ESQ_SR_ST_SU_SY_EESZ_S10_S11_S12_S16_S17_S18_S1B_S1C_jS1D_jS1E_S1E_jjS1G_bEUljE0_EEESZ_S10_S11_S18_S1C_S1E_T6_T7_T9_mT8_S1G_bDpT10_ENKUlT_T0_E_clISt17integral_constantIbLb0EES1U_EEDaS1P_S1Q_EUlS1P_E_NS1_11comp_targetILNS1_3genE10ELNS1_11target_archE1200ELNS1_3gpuE4ELNS1_3repE0EEENS1_30default_config_static_selectorELNS0_4arch9wavefront6targetE0EEEvS12_,comdat
.Lfunc_end1473:
	.size	_ZN7rocprim17ROCPRIM_400000_NS6detail17trampoline_kernelINS0_13select_configILj256ELj13ELNS0_17block_load_methodE3ELS4_3ELS4_3ELNS0_20block_scan_algorithmE0ELj4294967295EEENS1_25partition_config_selectorILNS1_17partition_subalgoE4EjNS0_10empty_typeEbEEZZNS1_14partition_implILS8_4ELb0ES6_15HIP_vector_typeIjLj2EENS0_17counting_iteratorIjlEEPS9_SG_NS0_5tupleIJPjSI_NS0_16reverse_iteratorISI_EEEEENSH_IJSG_SG_SG_EEES9_SI_JZNS1_25segmented_radix_sort_implINS0_14default_configELb1EPKbPbPKlPlN2at6native12_GLOBAL__N_18offset_tEEE10hipError_tPvRmT1_PNSt15iterator_traitsIS12_E10value_typeET2_T3_PNS13_IS18_E10value_typeET4_jRbjT5_S1E_jjP12ihipStream_tbEUljE_ZNSN_ISO_Lb1ESQ_SR_ST_SU_SY_EESZ_S10_S11_S12_S16_S17_S18_S1B_S1C_jS1D_jS1E_S1E_jjS1G_bEUljE0_EEESZ_S10_S11_S18_S1C_S1E_T6_T7_T9_mT8_S1G_bDpT10_ENKUlT_T0_E_clISt17integral_constantIbLb0EES1U_EEDaS1P_S1Q_EUlS1P_E_NS1_11comp_targetILNS1_3genE10ELNS1_11target_archE1200ELNS1_3gpuE4ELNS1_3repE0EEENS1_30default_config_static_selectorELNS0_4arch9wavefront6targetE0EEEvS12_, .Lfunc_end1473-_ZN7rocprim17ROCPRIM_400000_NS6detail17trampoline_kernelINS0_13select_configILj256ELj13ELNS0_17block_load_methodE3ELS4_3ELS4_3ELNS0_20block_scan_algorithmE0ELj4294967295EEENS1_25partition_config_selectorILNS1_17partition_subalgoE4EjNS0_10empty_typeEbEEZZNS1_14partition_implILS8_4ELb0ES6_15HIP_vector_typeIjLj2EENS0_17counting_iteratorIjlEEPS9_SG_NS0_5tupleIJPjSI_NS0_16reverse_iteratorISI_EEEEENSH_IJSG_SG_SG_EEES9_SI_JZNS1_25segmented_radix_sort_implINS0_14default_configELb1EPKbPbPKlPlN2at6native12_GLOBAL__N_18offset_tEEE10hipError_tPvRmT1_PNSt15iterator_traitsIS12_E10value_typeET2_T3_PNS13_IS18_E10value_typeET4_jRbjT5_S1E_jjP12ihipStream_tbEUljE_ZNSN_ISO_Lb1ESQ_SR_ST_SU_SY_EESZ_S10_S11_S12_S16_S17_S18_S1B_S1C_jS1D_jS1E_S1E_jjS1G_bEUljE0_EEESZ_S10_S11_S18_S1C_S1E_T6_T7_T9_mT8_S1G_bDpT10_ENKUlT_T0_E_clISt17integral_constantIbLb0EES1U_EEDaS1P_S1Q_EUlS1P_E_NS1_11comp_targetILNS1_3genE10ELNS1_11target_archE1200ELNS1_3gpuE4ELNS1_3repE0EEENS1_30default_config_static_selectorELNS0_4arch9wavefront6targetE0EEEvS12_
                                        ; -- End function
	.section	.AMDGPU.csdata,"",@progbits
; Kernel info:
; codeLenInByte = 0
; NumSgprs: 0
; NumVgprs: 0
; ScratchSize: 0
; MemoryBound: 0
; FloatMode: 240
; IeeeMode: 1
; LDSByteSize: 0 bytes/workgroup (compile time only)
; SGPRBlocks: 0
; VGPRBlocks: 0
; NumSGPRsForWavesPerEU: 1
; NumVGPRsForWavesPerEU: 1
; Occupancy: 16
; WaveLimiterHint : 0
; COMPUTE_PGM_RSRC2:SCRATCH_EN: 0
; COMPUTE_PGM_RSRC2:USER_SGPR: 15
; COMPUTE_PGM_RSRC2:TRAP_HANDLER: 0
; COMPUTE_PGM_RSRC2:TGID_X_EN: 1
; COMPUTE_PGM_RSRC2:TGID_Y_EN: 0
; COMPUTE_PGM_RSRC2:TGID_Z_EN: 0
; COMPUTE_PGM_RSRC2:TIDIG_COMP_CNT: 0
	.section	.text._ZN7rocprim17ROCPRIM_400000_NS6detail17trampoline_kernelINS0_13select_configILj256ELj13ELNS0_17block_load_methodE3ELS4_3ELS4_3ELNS0_20block_scan_algorithmE0ELj4294967295EEENS1_25partition_config_selectorILNS1_17partition_subalgoE4EjNS0_10empty_typeEbEEZZNS1_14partition_implILS8_4ELb0ES6_15HIP_vector_typeIjLj2EENS0_17counting_iteratorIjlEEPS9_SG_NS0_5tupleIJPjSI_NS0_16reverse_iteratorISI_EEEEENSH_IJSG_SG_SG_EEES9_SI_JZNS1_25segmented_radix_sort_implINS0_14default_configELb1EPKbPbPKlPlN2at6native12_GLOBAL__N_18offset_tEEE10hipError_tPvRmT1_PNSt15iterator_traitsIS12_E10value_typeET2_T3_PNS13_IS18_E10value_typeET4_jRbjT5_S1E_jjP12ihipStream_tbEUljE_ZNSN_ISO_Lb1ESQ_SR_ST_SU_SY_EESZ_S10_S11_S12_S16_S17_S18_S1B_S1C_jS1D_jS1E_S1E_jjS1G_bEUljE0_EEESZ_S10_S11_S18_S1C_S1E_T6_T7_T9_mT8_S1G_bDpT10_ENKUlT_T0_E_clISt17integral_constantIbLb0EES1U_EEDaS1P_S1Q_EUlS1P_E_NS1_11comp_targetILNS1_3genE9ELNS1_11target_archE1100ELNS1_3gpuE3ELNS1_3repE0EEENS1_30default_config_static_selectorELNS0_4arch9wavefront6targetE0EEEvS12_,"axG",@progbits,_ZN7rocprim17ROCPRIM_400000_NS6detail17trampoline_kernelINS0_13select_configILj256ELj13ELNS0_17block_load_methodE3ELS4_3ELS4_3ELNS0_20block_scan_algorithmE0ELj4294967295EEENS1_25partition_config_selectorILNS1_17partition_subalgoE4EjNS0_10empty_typeEbEEZZNS1_14partition_implILS8_4ELb0ES6_15HIP_vector_typeIjLj2EENS0_17counting_iteratorIjlEEPS9_SG_NS0_5tupleIJPjSI_NS0_16reverse_iteratorISI_EEEEENSH_IJSG_SG_SG_EEES9_SI_JZNS1_25segmented_radix_sort_implINS0_14default_configELb1EPKbPbPKlPlN2at6native12_GLOBAL__N_18offset_tEEE10hipError_tPvRmT1_PNSt15iterator_traitsIS12_E10value_typeET2_T3_PNS13_IS18_E10value_typeET4_jRbjT5_S1E_jjP12ihipStream_tbEUljE_ZNSN_ISO_Lb1ESQ_SR_ST_SU_SY_EESZ_S10_S11_S12_S16_S17_S18_S1B_S1C_jS1D_jS1E_S1E_jjS1G_bEUljE0_EEESZ_S10_S11_S18_S1C_S1E_T6_T7_T9_mT8_S1G_bDpT10_ENKUlT_T0_E_clISt17integral_constantIbLb0EES1U_EEDaS1P_S1Q_EUlS1P_E_NS1_11comp_targetILNS1_3genE9ELNS1_11target_archE1100ELNS1_3gpuE3ELNS1_3repE0EEENS1_30default_config_static_selectorELNS0_4arch9wavefront6targetE0EEEvS12_,comdat
	.globl	_ZN7rocprim17ROCPRIM_400000_NS6detail17trampoline_kernelINS0_13select_configILj256ELj13ELNS0_17block_load_methodE3ELS4_3ELS4_3ELNS0_20block_scan_algorithmE0ELj4294967295EEENS1_25partition_config_selectorILNS1_17partition_subalgoE4EjNS0_10empty_typeEbEEZZNS1_14partition_implILS8_4ELb0ES6_15HIP_vector_typeIjLj2EENS0_17counting_iteratorIjlEEPS9_SG_NS0_5tupleIJPjSI_NS0_16reverse_iteratorISI_EEEEENSH_IJSG_SG_SG_EEES9_SI_JZNS1_25segmented_radix_sort_implINS0_14default_configELb1EPKbPbPKlPlN2at6native12_GLOBAL__N_18offset_tEEE10hipError_tPvRmT1_PNSt15iterator_traitsIS12_E10value_typeET2_T3_PNS13_IS18_E10value_typeET4_jRbjT5_S1E_jjP12ihipStream_tbEUljE_ZNSN_ISO_Lb1ESQ_SR_ST_SU_SY_EESZ_S10_S11_S12_S16_S17_S18_S1B_S1C_jS1D_jS1E_S1E_jjS1G_bEUljE0_EEESZ_S10_S11_S18_S1C_S1E_T6_T7_T9_mT8_S1G_bDpT10_ENKUlT_T0_E_clISt17integral_constantIbLb0EES1U_EEDaS1P_S1Q_EUlS1P_E_NS1_11comp_targetILNS1_3genE9ELNS1_11target_archE1100ELNS1_3gpuE3ELNS1_3repE0EEENS1_30default_config_static_selectorELNS0_4arch9wavefront6targetE0EEEvS12_ ; -- Begin function _ZN7rocprim17ROCPRIM_400000_NS6detail17trampoline_kernelINS0_13select_configILj256ELj13ELNS0_17block_load_methodE3ELS4_3ELS4_3ELNS0_20block_scan_algorithmE0ELj4294967295EEENS1_25partition_config_selectorILNS1_17partition_subalgoE4EjNS0_10empty_typeEbEEZZNS1_14partition_implILS8_4ELb0ES6_15HIP_vector_typeIjLj2EENS0_17counting_iteratorIjlEEPS9_SG_NS0_5tupleIJPjSI_NS0_16reverse_iteratorISI_EEEEENSH_IJSG_SG_SG_EEES9_SI_JZNS1_25segmented_radix_sort_implINS0_14default_configELb1EPKbPbPKlPlN2at6native12_GLOBAL__N_18offset_tEEE10hipError_tPvRmT1_PNSt15iterator_traitsIS12_E10value_typeET2_T3_PNS13_IS18_E10value_typeET4_jRbjT5_S1E_jjP12ihipStream_tbEUljE_ZNSN_ISO_Lb1ESQ_SR_ST_SU_SY_EESZ_S10_S11_S12_S16_S17_S18_S1B_S1C_jS1D_jS1E_S1E_jjS1G_bEUljE0_EEESZ_S10_S11_S18_S1C_S1E_T6_T7_T9_mT8_S1G_bDpT10_ENKUlT_T0_E_clISt17integral_constantIbLb0EES1U_EEDaS1P_S1Q_EUlS1P_E_NS1_11comp_targetILNS1_3genE9ELNS1_11target_archE1100ELNS1_3gpuE3ELNS1_3repE0EEENS1_30default_config_static_selectorELNS0_4arch9wavefront6targetE0EEEvS12_
	.p2align	8
	.type	_ZN7rocprim17ROCPRIM_400000_NS6detail17trampoline_kernelINS0_13select_configILj256ELj13ELNS0_17block_load_methodE3ELS4_3ELS4_3ELNS0_20block_scan_algorithmE0ELj4294967295EEENS1_25partition_config_selectorILNS1_17partition_subalgoE4EjNS0_10empty_typeEbEEZZNS1_14partition_implILS8_4ELb0ES6_15HIP_vector_typeIjLj2EENS0_17counting_iteratorIjlEEPS9_SG_NS0_5tupleIJPjSI_NS0_16reverse_iteratorISI_EEEEENSH_IJSG_SG_SG_EEES9_SI_JZNS1_25segmented_radix_sort_implINS0_14default_configELb1EPKbPbPKlPlN2at6native12_GLOBAL__N_18offset_tEEE10hipError_tPvRmT1_PNSt15iterator_traitsIS12_E10value_typeET2_T3_PNS13_IS18_E10value_typeET4_jRbjT5_S1E_jjP12ihipStream_tbEUljE_ZNSN_ISO_Lb1ESQ_SR_ST_SU_SY_EESZ_S10_S11_S12_S16_S17_S18_S1B_S1C_jS1D_jS1E_S1E_jjS1G_bEUljE0_EEESZ_S10_S11_S18_S1C_S1E_T6_T7_T9_mT8_S1G_bDpT10_ENKUlT_T0_E_clISt17integral_constantIbLb0EES1U_EEDaS1P_S1Q_EUlS1P_E_NS1_11comp_targetILNS1_3genE9ELNS1_11target_archE1100ELNS1_3gpuE3ELNS1_3repE0EEENS1_30default_config_static_selectorELNS0_4arch9wavefront6targetE0EEEvS12_,@function
_ZN7rocprim17ROCPRIM_400000_NS6detail17trampoline_kernelINS0_13select_configILj256ELj13ELNS0_17block_load_methodE3ELS4_3ELS4_3ELNS0_20block_scan_algorithmE0ELj4294967295EEENS1_25partition_config_selectorILNS1_17partition_subalgoE4EjNS0_10empty_typeEbEEZZNS1_14partition_implILS8_4ELb0ES6_15HIP_vector_typeIjLj2EENS0_17counting_iteratorIjlEEPS9_SG_NS0_5tupleIJPjSI_NS0_16reverse_iteratorISI_EEEEENSH_IJSG_SG_SG_EEES9_SI_JZNS1_25segmented_radix_sort_implINS0_14default_configELb1EPKbPbPKlPlN2at6native12_GLOBAL__N_18offset_tEEE10hipError_tPvRmT1_PNSt15iterator_traitsIS12_E10value_typeET2_T3_PNS13_IS18_E10value_typeET4_jRbjT5_S1E_jjP12ihipStream_tbEUljE_ZNSN_ISO_Lb1ESQ_SR_ST_SU_SY_EESZ_S10_S11_S12_S16_S17_S18_S1B_S1C_jS1D_jS1E_S1E_jjS1G_bEUljE0_EEESZ_S10_S11_S18_S1C_S1E_T6_T7_T9_mT8_S1G_bDpT10_ENKUlT_T0_E_clISt17integral_constantIbLb0EES1U_EEDaS1P_S1Q_EUlS1P_E_NS1_11comp_targetILNS1_3genE9ELNS1_11target_archE1100ELNS1_3gpuE3ELNS1_3repE0EEENS1_30default_config_static_selectorELNS0_4arch9wavefront6targetE0EEEvS12_: ; @_ZN7rocprim17ROCPRIM_400000_NS6detail17trampoline_kernelINS0_13select_configILj256ELj13ELNS0_17block_load_methodE3ELS4_3ELS4_3ELNS0_20block_scan_algorithmE0ELj4294967295EEENS1_25partition_config_selectorILNS1_17partition_subalgoE4EjNS0_10empty_typeEbEEZZNS1_14partition_implILS8_4ELb0ES6_15HIP_vector_typeIjLj2EENS0_17counting_iteratorIjlEEPS9_SG_NS0_5tupleIJPjSI_NS0_16reverse_iteratorISI_EEEEENSH_IJSG_SG_SG_EEES9_SI_JZNS1_25segmented_radix_sort_implINS0_14default_configELb1EPKbPbPKlPlN2at6native12_GLOBAL__N_18offset_tEEE10hipError_tPvRmT1_PNSt15iterator_traitsIS12_E10value_typeET2_T3_PNS13_IS18_E10value_typeET4_jRbjT5_S1E_jjP12ihipStream_tbEUljE_ZNSN_ISO_Lb1ESQ_SR_ST_SU_SY_EESZ_S10_S11_S12_S16_S17_S18_S1B_S1C_jS1D_jS1E_S1E_jjS1G_bEUljE0_EEESZ_S10_S11_S18_S1C_S1E_T6_T7_T9_mT8_S1G_bDpT10_ENKUlT_T0_E_clISt17integral_constantIbLb0EES1U_EEDaS1P_S1Q_EUlS1P_E_NS1_11comp_targetILNS1_3genE9ELNS1_11target_archE1100ELNS1_3gpuE3ELNS1_3repE0EEENS1_30default_config_static_selectorELNS0_4arch9wavefront6targetE0EEEvS12_
; %bb.0:
	s_clause 0x6
	s_load_b32 s5, s[0:1], 0x80
	s_load_b64 s[34:35], s[0:1], 0x10
	s_load_b64 s[2:3], s[0:1], 0x68
	s_load_b32 s8, s[0:1], 0x8
	s_load_b128 s[24:27], s[0:1], 0x58
	s_load_b64 s[40:41], s[0:1], 0xa8
	s_load_b256 s[16:23], s[0:1], 0x88
	s_mul_i32 s33, s15, 0xd00
	s_waitcnt lgkmcnt(0)
	s_mul_i32 s4, s5, 0xd00
	s_add_i32 s5, s5, -1
	s_add_u32 s6, s34, s4
	s_addc_u32 s7, s35, 0
	s_load_b128 s[28:31], s[26:27], 0x0
	s_cmp_eq_u32 s15, s5
	v_cmp_lt_u64_e64 s3, s[6:7], s[2:3]
	s_cselect_b32 s14, -1, 0
	s_cmp_lg_u32 s15, s5
	s_cselect_b32 s5, -1, 0
	s_add_i32 s6, s8, s33
	s_delay_alu instid0(VALU_DEP_1) | instskip(SKIP_4) | instid1(VALU_DEP_1)
	s_or_b32 s3, s5, s3
	s_add_i32 s6, s6, s34
	s_and_b32 vcc_lo, exec_lo, s3
	v_add_nc_u32_e32 v1, s6, v0
	s_mov_b32 s5, -1
	v_add_nc_u32_e32 v2, 0x100, v1
	v_add_nc_u32_e32 v3, 0x200, v1
	;; [unrolled: 1-line block ×12, first 2 shown]
	s_cbranch_vccz .LBB1474_2
; %bb.1:
	v_lshlrev_b32_e32 v14, 2, v0
	s_mov_b32 s5, 0
	ds_store_2addr_stride64_b32 v14, v1, v2 offset1:4
	ds_store_2addr_stride64_b32 v14, v3, v4 offset0:8 offset1:12
	ds_store_2addr_stride64_b32 v14, v5, v6 offset0:16 offset1:20
	;; [unrolled: 1-line block ×5, first 2 shown]
	ds_store_b32 v14, v13 offset:12288
	s_waitcnt lgkmcnt(0)
	s_barrier
.LBB1474_2:
	s_and_not1_b32 vcc_lo, exec_lo, s5
	s_add_i32 s4, s4, s34
	s_cbranch_vccnz .LBB1474_4
; %bb.3:
	v_lshlrev_b32_e32 v14, 2, v0
	ds_store_2addr_stride64_b32 v14, v1, v2 offset1:4
	ds_store_2addr_stride64_b32 v14, v3, v4 offset0:8 offset1:12
	ds_store_2addr_stride64_b32 v14, v5, v6 offset0:16 offset1:20
	ds_store_2addr_stride64_b32 v14, v7, v8 offset0:24 offset1:28
	ds_store_2addr_stride64_b32 v14, v9, v10 offset0:32 offset1:36
	ds_store_2addr_stride64_b32 v14, v11, v12 offset0:40 offset1:44
	ds_store_b32 v14, v13 offset:12288
	s_waitcnt lgkmcnt(0)
	s_barrier
.LBB1474_4:
	v_mul_u32_u24_e32 v28, 13, v0
	s_clause 0x1
	s_load_b128 s[36:39], s[0:1], 0x28
	s_load_b64 s[26:27], s[0:1], 0x38
	s_waitcnt lgkmcnt(0)
	buffer_gl0_inv
	v_cndmask_b32_e64 v26, 0, 1, s3
	s_sub_i32 s44, s2, s4
	v_lshlrev_b32_e32 v1, 2, v28
	s_and_not1_b32 vcc_lo, exec_lo, s3
	ds_load_2addr_b32 v[16:17], v1 offset1:1
	ds_load_2addr_b32 v[14:15], v1 offset0:2 offset1:3
	ds_load_2addr_b32 v[12:13], v1 offset0:4 offset1:5
	;; [unrolled: 1-line block ×5, first 2 shown]
	ds_load_b32 v27, v1 offset:48
	s_waitcnt lgkmcnt(0)
	s_barrier
	buffer_gl0_inv
	s_cbranch_vccnz .LBB1474_32
; %bb.5:
	v_add_nc_u32_e32 v1, s17, v16
	v_add_nc_u32_e32 v2, s19, v16
	s_mov_b32 s46, 0
	s_mov_b32 s45, 0
	s_mov_b32 s3, exec_lo
	v_mul_lo_u32 v1, v1, s16
	v_mul_lo_u32 v2, v2, s18
	s_delay_alu instid0(VALU_DEP_1) | instskip(NEXT) | instid1(VALU_DEP_1)
	v_sub_nc_u32_e32 v1, v1, v2
	v_cmp_lt_u32_e32 vcc_lo, s20, v1
	v_cmpx_ge_u32_e64 s20, v1
; %bb.6:
	v_add_nc_u32_e32 v1, s22, v16
	v_add_nc_u32_e32 v2, s40, v16
	s_delay_alu instid0(VALU_DEP_2) | instskip(NEXT) | instid1(VALU_DEP_2)
	v_mul_lo_u32 v1, v1, s21
	v_mul_lo_u32 v2, v2, s23
	s_delay_alu instid0(VALU_DEP_1) | instskip(NEXT) | instid1(VALU_DEP_1)
	v_sub_nc_u32_e32 v1, v1, v2
	v_cmp_lt_u32_e64 s2, s41, v1
	s_delay_alu instid0(VALU_DEP_1)
	s_and_b32 s45, s2, exec_lo
; %bb.7:
	s_or_b32 exec_lo, exec_lo, s3
	v_add_nc_u32_e32 v1, s17, v17
	v_add_nc_u32_e32 v2, s19, v17
	s_mov_b32 s4, exec_lo
	s_delay_alu instid0(VALU_DEP_2) | instskip(NEXT) | instid1(VALU_DEP_2)
	v_mul_lo_u32 v1, v1, s16
	v_mul_lo_u32 v2, v2, s18
	s_delay_alu instid0(VALU_DEP_1) | instskip(NEXT) | instid1(VALU_DEP_1)
	v_sub_nc_u32_e32 v1, v1, v2
	v_cmp_lt_u32_e64 s2, s20, v1
	v_cmpx_ge_u32_e64 s20, v1
; %bb.8:
	v_add_nc_u32_e32 v1, s22, v17
	v_add_nc_u32_e32 v2, s40, v17
	s_delay_alu instid0(VALU_DEP_2) | instskip(NEXT) | instid1(VALU_DEP_2)
	v_mul_lo_u32 v1, v1, s21
	v_mul_lo_u32 v2, v2, s23
	s_delay_alu instid0(VALU_DEP_1) | instskip(NEXT) | instid1(VALU_DEP_1)
	v_sub_nc_u32_e32 v1, v1, v2
	v_cmp_lt_u32_e64 s3, s41, v1
	s_delay_alu instid0(VALU_DEP_1)
	s_and_b32 s46, s3, exec_lo
; %bb.9:
	s_or_b32 exec_lo, exec_lo, s4
	v_add_nc_u32_e32 v1, s17, v14
	v_add_nc_u32_e32 v2, s19, v14
	s_mov_b32 s48, 0
	s_mov_b32 s47, 0
	s_mov_b32 s5, exec_lo
	v_mul_lo_u32 v1, v1, s16
	v_mul_lo_u32 v2, v2, s18
	s_delay_alu instid0(VALU_DEP_1) | instskip(NEXT) | instid1(VALU_DEP_1)
	v_sub_nc_u32_e32 v1, v1, v2
	v_cmp_lt_u32_e64 s3, s20, v1
	v_cmpx_ge_u32_e64 s20, v1
; %bb.10:
	v_add_nc_u32_e32 v1, s22, v14
	v_add_nc_u32_e32 v2, s40, v14
	s_delay_alu instid0(VALU_DEP_2) | instskip(NEXT) | instid1(VALU_DEP_2)
	v_mul_lo_u32 v1, v1, s21
	v_mul_lo_u32 v2, v2, s23
	s_delay_alu instid0(VALU_DEP_1) | instskip(NEXT) | instid1(VALU_DEP_1)
	v_sub_nc_u32_e32 v1, v1, v2
	v_cmp_lt_u32_e64 s4, s41, v1
	s_delay_alu instid0(VALU_DEP_1)
	s_and_b32 s47, s4, exec_lo
; %bb.11:
	s_or_b32 exec_lo, exec_lo, s5
	v_add_nc_u32_e32 v1, s17, v15
	v_add_nc_u32_e32 v2, s19, v15
	s_mov_b32 s6, exec_lo
	s_delay_alu instid0(VALU_DEP_2) | instskip(NEXT) | instid1(VALU_DEP_2)
	v_mul_lo_u32 v1, v1, s16
	v_mul_lo_u32 v2, v2, s18
	s_delay_alu instid0(VALU_DEP_1) | instskip(NEXT) | instid1(VALU_DEP_1)
	v_sub_nc_u32_e32 v1, v1, v2
	v_cmp_lt_u32_e64 s4, s20, v1
	v_cmpx_ge_u32_e64 s20, v1
; %bb.12:
	v_add_nc_u32_e32 v1, s22, v15
	v_add_nc_u32_e32 v2, s40, v15
	s_delay_alu instid0(VALU_DEP_2) | instskip(NEXT) | instid1(VALU_DEP_2)
	v_mul_lo_u32 v1, v1, s21
	v_mul_lo_u32 v2, v2, s23
	s_delay_alu instid0(VALU_DEP_1) | instskip(NEXT) | instid1(VALU_DEP_1)
	v_sub_nc_u32_e32 v1, v1, v2
	v_cmp_lt_u32_e64 s5, s41, v1
	s_delay_alu instid0(VALU_DEP_1)
	s_and_b32 s48, s5, exec_lo
; %bb.13:
	s_or_b32 exec_lo, exec_lo, s6
	v_add_nc_u32_e32 v1, s17, v12
	v_add_nc_u32_e32 v2, s19, v12
	s_mov_b32 s50, 0
	s_mov_b32 s49, 0
	s_mov_b32 s7, exec_lo
	v_mul_lo_u32 v1, v1, s16
	v_mul_lo_u32 v2, v2, s18
	s_delay_alu instid0(VALU_DEP_1) | instskip(NEXT) | instid1(VALU_DEP_1)
	v_sub_nc_u32_e32 v1, v1, v2
	v_cmp_lt_u32_e64 s5, s20, v1
	v_cmpx_ge_u32_e64 s20, v1
; %bb.14:
	v_add_nc_u32_e32 v1, s22, v12
	v_add_nc_u32_e32 v2, s40, v12
	s_delay_alu instid0(VALU_DEP_2) | instskip(NEXT) | instid1(VALU_DEP_2)
	v_mul_lo_u32 v1, v1, s21
	v_mul_lo_u32 v2, v2, s23
	s_delay_alu instid0(VALU_DEP_1) | instskip(NEXT) | instid1(VALU_DEP_1)
	v_sub_nc_u32_e32 v1, v1, v2
	v_cmp_lt_u32_e64 s6, s41, v1
	s_delay_alu instid0(VALU_DEP_1)
	s_and_b32 s49, s6, exec_lo
; %bb.15:
	s_or_b32 exec_lo, exec_lo, s7
	v_add_nc_u32_e32 v1, s17, v13
	v_add_nc_u32_e32 v2, s19, v13
	s_mov_b32 s8, exec_lo
	s_delay_alu instid0(VALU_DEP_2) | instskip(NEXT) | instid1(VALU_DEP_2)
	v_mul_lo_u32 v1, v1, s16
	v_mul_lo_u32 v2, v2, s18
	s_delay_alu instid0(VALU_DEP_1) | instskip(NEXT) | instid1(VALU_DEP_1)
	v_sub_nc_u32_e32 v1, v1, v2
	v_cmp_lt_u32_e64 s6, s20, v1
	v_cmpx_ge_u32_e64 s20, v1
; %bb.16:
	v_add_nc_u32_e32 v1, s22, v13
	v_add_nc_u32_e32 v2, s40, v13
	s_delay_alu instid0(VALU_DEP_2) | instskip(NEXT) | instid1(VALU_DEP_2)
	v_mul_lo_u32 v1, v1, s21
	v_mul_lo_u32 v2, v2, s23
	s_delay_alu instid0(VALU_DEP_1) | instskip(NEXT) | instid1(VALU_DEP_1)
	v_sub_nc_u32_e32 v1, v1, v2
	v_cmp_lt_u32_e64 s7, s41, v1
	s_delay_alu instid0(VALU_DEP_1)
	s_and_b32 s50, s7, exec_lo
; %bb.17:
	s_or_b32 exec_lo, exec_lo, s8
	v_add_nc_u32_e32 v1, s17, v10
	v_add_nc_u32_e32 v2, s19, v10
	s_mov_b32 s52, 0
	s_mov_b32 s51, 0
	s_mov_b32 s9, exec_lo
	v_mul_lo_u32 v1, v1, s16
	v_mul_lo_u32 v2, v2, s18
	s_delay_alu instid0(VALU_DEP_1) | instskip(NEXT) | instid1(VALU_DEP_1)
	v_sub_nc_u32_e32 v1, v1, v2
	v_cmp_lt_u32_e64 s7, s20, v1
	v_cmpx_ge_u32_e64 s20, v1
; %bb.18:
	v_add_nc_u32_e32 v1, s22, v10
	v_add_nc_u32_e32 v2, s40, v10
	s_delay_alu instid0(VALU_DEP_2) | instskip(NEXT) | instid1(VALU_DEP_2)
	v_mul_lo_u32 v1, v1, s21
	v_mul_lo_u32 v2, v2, s23
	s_delay_alu instid0(VALU_DEP_1) | instskip(NEXT) | instid1(VALU_DEP_1)
	v_sub_nc_u32_e32 v1, v1, v2
	v_cmp_lt_u32_e64 s8, s41, v1
	s_delay_alu instid0(VALU_DEP_1)
	s_and_b32 s51, s8, exec_lo
; %bb.19:
	s_or_b32 exec_lo, exec_lo, s9
	v_add_nc_u32_e32 v1, s17, v11
	v_add_nc_u32_e32 v2, s19, v11
	s_mov_b32 s10, exec_lo
	s_delay_alu instid0(VALU_DEP_2) | instskip(NEXT) | instid1(VALU_DEP_2)
	v_mul_lo_u32 v1, v1, s16
	v_mul_lo_u32 v2, v2, s18
	s_delay_alu instid0(VALU_DEP_1) | instskip(NEXT) | instid1(VALU_DEP_1)
	v_sub_nc_u32_e32 v1, v1, v2
	v_cmp_lt_u32_e64 s8, s20, v1
	v_cmpx_ge_u32_e64 s20, v1
; %bb.20:
	v_add_nc_u32_e32 v1, s22, v11
	v_add_nc_u32_e32 v2, s40, v11
	s_delay_alu instid0(VALU_DEP_2) | instskip(NEXT) | instid1(VALU_DEP_2)
	v_mul_lo_u32 v1, v1, s21
	v_mul_lo_u32 v2, v2, s23
	s_delay_alu instid0(VALU_DEP_1) | instskip(NEXT) | instid1(VALU_DEP_1)
	v_sub_nc_u32_e32 v1, v1, v2
	v_cmp_lt_u32_e64 s9, s41, v1
	s_delay_alu instid0(VALU_DEP_1)
	s_and_b32 s52, s9, exec_lo
; %bb.21:
	s_or_b32 exec_lo, exec_lo, s10
	v_add_nc_u32_e32 v1, s17, v8
	v_add_nc_u32_e32 v2, s19, v8
	s_mov_b32 s55, 0
	s_mov_b32 s54, 0
	s_mov_b32 s11, exec_lo
	v_mul_lo_u32 v1, v1, s16
	v_mul_lo_u32 v2, v2, s18
	s_delay_alu instid0(VALU_DEP_1) | instskip(NEXT) | instid1(VALU_DEP_1)
	v_sub_nc_u32_e32 v1, v1, v2
	v_cmp_lt_u32_e64 s9, s20, v1
	v_cmpx_ge_u32_e64 s20, v1
; %bb.22:
	v_add_nc_u32_e32 v1, s22, v8
	v_add_nc_u32_e32 v2, s40, v8
	s_delay_alu instid0(VALU_DEP_2) | instskip(NEXT) | instid1(VALU_DEP_2)
	v_mul_lo_u32 v1, v1, s21
	v_mul_lo_u32 v2, v2, s23
	s_delay_alu instid0(VALU_DEP_1) | instskip(NEXT) | instid1(VALU_DEP_1)
	v_sub_nc_u32_e32 v1, v1, v2
	v_cmp_lt_u32_e64 s10, s41, v1
	s_delay_alu instid0(VALU_DEP_1)
	s_and_b32 s54, s10, exec_lo
; %bb.23:
	s_or_b32 exec_lo, exec_lo, s11
	v_add_nc_u32_e32 v1, s17, v9
	v_add_nc_u32_e32 v2, s19, v9
	s_mov_b32 s12, exec_lo
	s_delay_alu instid0(VALU_DEP_2) | instskip(NEXT) | instid1(VALU_DEP_2)
	v_mul_lo_u32 v1, v1, s16
	v_mul_lo_u32 v2, v2, s18
	s_delay_alu instid0(VALU_DEP_1) | instskip(NEXT) | instid1(VALU_DEP_1)
	v_sub_nc_u32_e32 v1, v1, v2
	v_cmp_lt_u32_e64 s10, s20, v1
	v_cmpx_ge_u32_e64 s20, v1
; %bb.24:
	v_add_nc_u32_e32 v1, s22, v9
	v_add_nc_u32_e32 v2, s40, v9
	s_delay_alu instid0(VALU_DEP_2) | instskip(NEXT) | instid1(VALU_DEP_2)
	v_mul_lo_u32 v1, v1, s21
	v_mul_lo_u32 v2, v2, s23
	s_delay_alu instid0(VALU_DEP_1) | instskip(NEXT) | instid1(VALU_DEP_1)
	v_sub_nc_u32_e32 v1, v1, v2
	v_cmp_lt_u32_e64 s11, s41, v1
	s_delay_alu instid0(VALU_DEP_1)
	s_and_b32 s55, s11, exec_lo
; %bb.25:
	s_or_b32 exec_lo, exec_lo, s12
	v_add_nc_u32_e32 v1, s17, v6
	v_add_nc_u32_e32 v2, s19, v6
	s_mov_b32 s56, 0
	s_mov_b32 s57, 0
	s_mov_b32 s13, exec_lo
	v_mul_lo_u32 v1, v1, s16
	v_mul_lo_u32 v2, v2, s18
	s_delay_alu instid0(VALU_DEP_1) | instskip(NEXT) | instid1(VALU_DEP_1)
	v_sub_nc_u32_e32 v1, v1, v2
	v_cmp_lt_u32_e64 s11, s20, v1
	v_cmpx_ge_u32_e64 s20, v1
; %bb.26:
	v_add_nc_u32_e32 v1, s22, v6
	v_add_nc_u32_e32 v2, s40, v6
	s_delay_alu instid0(VALU_DEP_2) | instskip(NEXT) | instid1(VALU_DEP_2)
	v_mul_lo_u32 v1, v1, s21
	v_mul_lo_u32 v2, v2, s23
	s_delay_alu instid0(VALU_DEP_1) | instskip(NEXT) | instid1(VALU_DEP_1)
	v_sub_nc_u32_e32 v1, v1, v2
	v_cmp_lt_u32_e64 s12, s41, v1
	s_delay_alu instid0(VALU_DEP_1)
	s_and_b32 s57, s12, exec_lo
; %bb.27:
	s_or_b32 exec_lo, exec_lo, s13
	v_add_nc_u32_e32 v1, s17, v7
	v_add_nc_u32_e32 v2, s19, v7
	s_mov_b32 s42, exec_lo
	s_delay_alu instid0(VALU_DEP_2) | instskip(NEXT) | instid1(VALU_DEP_2)
	v_mul_lo_u32 v1, v1, s16
	v_mul_lo_u32 v2, v2, s18
	s_delay_alu instid0(VALU_DEP_1) | instskip(NEXT) | instid1(VALU_DEP_1)
	v_sub_nc_u32_e32 v1, v1, v2
	v_cmp_lt_u32_e64 s12, s20, v1
	v_cmpx_ge_u32_e64 s20, v1
; %bb.28:
	v_add_nc_u32_e32 v1, s22, v7
	v_add_nc_u32_e32 v2, s40, v7
	s_delay_alu instid0(VALU_DEP_2) | instskip(NEXT) | instid1(VALU_DEP_2)
	v_mul_lo_u32 v1, v1, s21
	v_mul_lo_u32 v2, v2, s23
	s_delay_alu instid0(VALU_DEP_1) | instskip(NEXT) | instid1(VALU_DEP_1)
	v_sub_nc_u32_e32 v1, v1, v2
	v_cmp_lt_u32_e64 s13, s41, v1
	s_delay_alu instid0(VALU_DEP_1)
	s_and_b32 s56, s13, exec_lo
; %bb.29:
	s_or_b32 exec_lo, exec_lo, s42
	v_add_nc_u32_e32 v1, s17, v27
	v_add_nc_u32_e32 v2, s19, v27
	s_mov_b32 s42, -1
	s_mov_b32 s53, 0
	s_mov_b32 s43, 0
	v_mul_lo_u32 v1, v1, s16
	v_mul_lo_u32 v2, v2, s18
	s_mov_b32 s58, exec_lo
	s_delay_alu instid0(VALU_DEP_1) | instskip(NEXT) | instid1(VALU_DEP_1)
	v_sub_nc_u32_e32 v1, v1, v2
	v_cmpx_ge_u32_e64 s20, v1
; %bb.30:
	v_add_nc_u32_e32 v1, s22, v27
	v_add_nc_u32_e32 v2, s40, v27
	s_xor_b32 s42, exec_lo, -1
	s_delay_alu instid0(VALU_DEP_2) | instskip(NEXT) | instid1(VALU_DEP_2)
	v_mul_lo_u32 v1, v1, s21
	v_mul_lo_u32 v2, v2, s23
	s_delay_alu instid0(VALU_DEP_1) | instskip(NEXT) | instid1(VALU_DEP_1)
	v_sub_nc_u32_e32 v1, v1, v2
	v_cmp_lt_u32_e64 s13, s41, v1
	s_delay_alu instid0(VALU_DEP_1)
	s_and_b32 s43, s13, exec_lo
; %bb.31:
	s_or_b32 exec_lo, exec_lo, s58
	v_cndmask_b32_e64 v48, 0, 1, s57
	v_cndmask_b32_e64 v51, 0, 1, s12
	;; [unrolled: 1-line block ×22, first 2 shown]
	v_cndmask_b32_e64 v29, 0, 1, vcc_lo
	v_cndmask_b32_e64 v52, 0, 1, s56
	s_load_b64 s[4:5], s[0:1], 0x78
	s_and_b32 vcc_lo, exec_lo, s53
	s_add_i32 s3, s44, 0xd00
	s_cbranch_vccnz .LBB1474_33
	s_branch .LBB1474_86
.LBB1474_32:
                                        ; implicit-def: $sgpr42
                                        ; implicit-def: $sgpr43
                                        ; implicit-def: $vgpr52
                                        ; implicit-def: $vgpr48
                                        ; implicit-def: $vgpr47
                                        ; implicit-def: $vgpr45
                                        ; implicit-def: $vgpr43
                                        ; implicit-def: $vgpr40
                                        ; implicit-def: $vgpr39
                                        ; implicit-def: $vgpr37
                                        ; implicit-def: $vgpr35
                                        ; implicit-def: $vgpr29
                                        ; implicit-def: $vgpr33
                                        ; implicit-def: $vgpr31
                                        ; implicit-def: $vgpr32
                                        ; implicit-def: $vgpr38
                                        ; implicit-def: $vgpr41
                                        ; implicit-def: $vgpr42
                                        ; implicit-def: $vgpr44
                                        ; implicit-def: $vgpr46
                                        ; implicit-def: $vgpr49
                                        ; implicit-def: $vgpr50
                                        ; implicit-def: $vgpr51
                                        ; implicit-def: $vgpr30
                                        ; implicit-def: $vgpr34
                                        ; implicit-def: $vgpr36
	s_load_b64 s[4:5], s[0:1], 0x78
	s_add_i32 s3, s44, 0xd00
	s_cbranch_execz .LBB1474_86
.LBB1474_33:
	v_dual_mov_b32 v30, 0 :: v_dual_mov_b32 v29, 0
	s_mov_b32 s2, 0
	s_mov_b32 s1, exec_lo
	v_cmpx_gt_u32_e64 s3, v28
	s_cbranch_execz .LBB1474_37
; %bb.34:
	v_add_nc_u32_e32 v1, s17, v16
	v_add_nc_u32_e32 v2, s19, v16
	s_mov_b32 s6, exec_lo
	s_delay_alu instid0(VALU_DEP_2) | instskip(NEXT) | instid1(VALU_DEP_2)
	v_mul_lo_u32 v1, v1, s16
	v_mul_lo_u32 v2, v2, s18
	s_delay_alu instid0(VALU_DEP_1) | instskip(NEXT) | instid1(VALU_DEP_1)
	v_sub_nc_u32_e32 v1, v1, v2
	v_cmp_lt_u32_e32 vcc_lo, s20, v1
	v_cmpx_ge_u32_e64 s20, v1
; %bb.35:
	v_add_nc_u32_e32 v1, s22, v16
	v_add_nc_u32_e32 v2, s40, v16
	s_delay_alu instid0(VALU_DEP_2) | instskip(NEXT) | instid1(VALU_DEP_2)
	v_mul_lo_u32 v1, v1, s21
	v_mul_lo_u32 v2, v2, s23
	s_delay_alu instid0(VALU_DEP_1) | instskip(NEXT) | instid1(VALU_DEP_1)
	v_sub_nc_u32_e32 v1, v1, v2
	v_cmp_lt_u32_e64 s0, s41, v1
	s_delay_alu instid0(VALU_DEP_1)
	s_and_b32 s2, s0, exec_lo
; %bb.36:
	s_or_b32 exec_lo, exec_lo, s6
	v_cndmask_b32_e64 v29, 0, 1, vcc_lo
	v_cndmask_b32_e64 v30, 0, 1, s2
.LBB1474_37:
	s_or_b32 exec_lo, exec_lo, s1
	v_dual_mov_b32 v34, 0 :: v_dual_add_nc_u32 v1, 1, v28
	v_mov_b32_e32 v33, 0
	s_mov_b32 s2, 0
	s_mov_b32 s1, exec_lo
	s_delay_alu instid0(VALU_DEP_2)
	v_cmpx_gt_u32_e64 s3, v1
	s_cbranch_execz .LBB1474_41
; %bb.38:
	v_add_nc_u32_e32 v1, s17, v17
	v_add_nc_u32_e32 v2, s19, v17
	s_mov_b32 s6, exec_lo
	s_delay_alu instid0(VALU_DEP_2) | instskip(NEXT) | instid1(VALU_DEP_2)
	v_mul_lo_u32 v1, v1, s16
	v_mul_lo_u32 v2, v2, s18
	s_delay_alu instid0(VALU_DEP_1) | instskip(NEXT) | instid1(VALU_DEP_1)
	v_sub_nc_u32_e32 v1, v1, v2
	v_cmp_lt_u32_e32 vcc_lo, s20, v1
	v_cmpx_ge_u32_e64 s20, v1
; %bb.39:
	v_add_nc_u32_e32 v1, s22, v17
	v_add_nc_u32_e32 v2, s40, v17
	s_delay_alu instid0(VALU_DEP_2) | instskip(NEXT) | instid1(VALU_DEP_2)
	v_mul_lo_u32 v1, v1, s21
	v_mul_lo_u32 v2, v2, s23
	s_delay_alu instid0(VALU_DEP_1) | instskip(NEXT) | instid1(VALU_DEP_1)
	v_sub_nc_u32_e32 v1, v1, v2
	v_cmp_lt_u32_e64 s0, s41, v1
	s_delay_alu instid0(VALU_DEP_1)
	s_and_b32 s2, s0, exec_lo
; %bb.40:
	s_or_b32 exec_lo, exec_lo, s6
	v_cndmask_b32_e64 v33, 0, 1, vcc_lo
	v_cndmask_b32_e64 v34, 0, 1, s2
.LBB1474_41:
	s_or_b32 exec_lo, exec_lo, s1
	v_dual_mov_b32 v36, 0 :: v_dual_add_nc_u32 v1, 2, v28
	v_mov_b32_e32 v31, 0
	s_mov_b32 s2, 0
	s_mov_b32 s1, exec_lo
	s_delay_alu instid0(VALU_DEP_2)
	;; [unrolled: 35-line block ×4, first 2 shown]
	v_cmpx_gt_u32_e64 s3, v1
	s_cbranch_execz .LBB1474_53
; %bb.50:
	v_add_nc_u32_e32 v1, s17, v12
	v_add_nc_u32_e32 v2, s19, v12
	s_mov_b32 s6, exec_lo
	s_delay_alu instid0(VALU_DEP_2) | instskip(NEXT) | instid1(VALU_DEP_2)
	v_mul_lo_u32 v1, v1, s16
	v_mul_lo_u32 v2, v2, s18
	s_delay_alu instid0(VALU_DEP_1) | instskip(NEXT) | instid1(VALU_DEP_1)
	v_sub_nc_u32_e32 v1, v1, v2
	v_cmp_lt_u32_e32 vcc_lo, s20, v1
	v_cmpx_ge_u32_e64 s20, v1
; %bb.51:
	v_add_nc_u32_e32 v1, s22, v12
	v_add_nc_u32_e32 v2, s40, v12
	s_delay_alu instid0(VALU_DEP_2) | instskip(NEXT) | instid1(VALU_DEP_2)
	v_mul_lo_u32 v1, v1, s21
	v_mul_lo_u32 v2, v2, s23
	s_delay_alu instid0(VALU_DEP_1) | instskip(NEXT) | instid1(VALU_DEP_1)
	v_sub_nc_u32_e32 v1, v1, v2
	v_cmp_lt_u32_e64 s0, s41, v1
	s_delay_alu instid0(VALU_DEP_1)
	s_and_b32 s2, s0, exec_lo
; %bb.52:
	s_or_b32 exec_lo, exec_lo, s6
	v_cndmask_b32_e64 v38, 0, 1, vcc_lo
	v_cndmask_b32_e64 v37, 0, 1, s2
.LBB1474_53:
	s_or_b32 exec_lo, exec_lo, s1
	v_add_nc_u32_e32 v1, 5, v28
	v_mov_b32_e32 v39, 0
	v_mov_b32_e32 v41, 0
	s_mov_b32 s2, 0
	s_mov_b32 s1, exec_lo
	v_cmpx_gt_u32_e64 s3, v1
	s_cbranch_execz .LBB1474_57
; %bb.54:
	v_add_nc_u32_e32 v1, s17, v13
	v_add_nc_u32_e32 v2, s19, v13
	s_mov_b32 s6, exec_lo
	s_delay_alu instid0(VALU_DEP_2) | instskip(NEXT) | instid1(VALU_DEP_2)
	v_mul_lo_u32 v1, v1, s16
	v_mul_lo_u32 v2, v2, s18
	s_delay_alu instid0(VALU_DEP_1) | instskip(NEXT) | instid1(VALU_DEP_1)
	v_sub_nc_u32_e32 v1, v1, v2
	v_cmp_lt_u32_e32 vcc_lo, s20, v1
	v_cmpx_ge_u32_e64 s20, v1
; %bb.55:
	v_add_nc_u32_e32 v1, s22, v13
	v_add_nc_u32_e32 v2, s40, v13
	s_delay_alu instid0(VALU_DEP_2) | instskip(NEXT) | instid1(VALU_DEP_2)
	v_mul_lo_u32 v1, v1, s21
	v_mul_lo_u32 v2, v2, s23
	s_delay_alu instid0(VALU_DEP_1) | instskip(NEXT) | instid1(VALU_DEP_1)
	v_sub_nc_u32_e32 v1, v1, v2
	v_cmp_lt_u32_e64 s0, s41, v1
	s_delay_alu instid0(VALU_DEP_1)
	s_and_b32 s2, s0, exec_lo
; %bb.56:
	s_or_b32 exec_lo, exec_lo, s6
	v_cndmask_b32_e64 v41, 0, 1, vcc_lo
	v_cndmask_b32_e64 v39, 0, 1, s2
.LBB1474_57:
	s_or_b32 exec_lo, exec_lo, s1
	v_dual_mov_b32 v40, 0 :: v_dual_add_nc_u32 v1, 6, v28
	v_mov_b32_e32 v42, 0
	s_mov_b32 s2, 0
	s_mov_b32 s1, exec_lo
	s_delay_alu instid0(VALU_DEP_2)
	v_cmpx_gt_u32_e64 s3, v1
	s_cbranch_execz .LBB1474_61
; %bb.58:
	v_add_nc_u32_e32 v1, s17, v10
	v_add_nc_u32_e32 v2, s19, v10
	s_mov_b32 s6, exec_lo
	s_delay_alu instid0(VALU_DEP_2) | instskip(NEXT) | instid1(VALU_DEP_2)
	v_mul_lo_u32 v1, v1, s16
	v_mul_lo_u32 v2, v2, s18
	s_delay_alu instid0(VALU_DEP_1) | instskip(NEXT) | instid1(VALU_DEP_1)
	v_sub_nc_u32_e32 v1, v1, v2
	v_cmp_lt_u32_e32 vcc_lo, s20, v1
	v_cmpx_ge_u32_e64 s20, v1
; %bb.59:
	v_add_nc_u32_e32 v1, s22, v10
	v_add_nc_u32_e32 v2, s40, v10
	s_delay_alu instid0(VALU_DEP_2) | instskip(NEXT) | instid1(VALU_DEP_2)
	v_mul_lo_u32 v1, v1, s21
	v_mul_lo_u32 v2, v2, s23
	s_delay_alu instid0(VALU_DEP_1) | instskip(NEXT) | instid1(VALU_DEP_1)
	v_sub_nc_u32_e32 v1, v1, v2
	v_cmp_lt_u32_e64 s0, s41, v1
	s_delay_alu instid0(VALU_DEP_1)
	s_and_b32 s2, s0, exec_lo
; %bb.60:
	s_or_b32 exec_lo, exec_lo, s6
	v_cndmask_b32_e64 v42, 0, 1, vcc_lo
	v_cndmask_b32_e64 v40, 0, 1, s2
.LBB1474_61:
	s_or_b32 exec_lo, exec_lo, s1
	v_dual_mov_b32 v44, 0 :: v_dual_add_nc_u32 v1, 7, v28
	v_mov_b32_e32 v43, 0
	s_mov_b32 s2, 0
	s_mov_b32 s1, exec_lo
	s_delay_alu instid0(VALU_DEP_2)
	;; [unrolled: 35-line block ×3, first 2 shown]
	v_cmpx_gt_u32_e64 s3, v1
	s_cbranch_execz .LBB1474_69
; %bb.66:
	v_add_nc_u32_e32 v1, s17, v8
	v_add_nc_u32_e32 v2, s19, v8
	s_mov_b32 s6, exec_lo
	s_delay_alu instid0(VALU_DEP_2) | instskip(NEXT) | instid1(VALU_DEP_2)
	v_mul_lo_u32 v1, v1, s16
	v_mul_lo_u32 v2, v2, s18
	s_delay_alu instid0(VALU_DEP_1) | instskip(NEXT) | instid1(VALU_DEP_1)
	v_sub_nc_u32_e32 v1, v1, v2
	v_cmp_lt_u32_e32 vcc_lo, s20, v1
	v_cmpx_ge_u32_e64 s20, v1
; %bb.67:
	v_add_nc_u32_e32 v1, s22, v8
	v_add_nc_u32_e32 v2, s40, v8
	s_delay_alu instid0(VALU_DEP_2) | instskip(NEXT) | instid1(VALU_DEP_2)
	v_mul_lo_u32 v1, v1, s21
	v_mul_lo_u32 v2, v2, s23
	s_delay_alu instid0(VALU_DEP_1) | instskip(NEXT) | instid1(VALU_DEP_1)
	v_sub_nc_u32_e32 v1, v1, v2
	v_cmp_lt_u32_e64 s0, s41, v1
	s_delay_alu instid0(VALU_DEP_1)
	s_and_b32 s2, s0, exec_lo
; %bb.68:
	s_or_b32 exec_lo, exec_lo, s6
	v_cndmask_b32_e64 v46, 0, 1, vcc_lo
	v_cndmask_b32_e64 v45, 0, 1, s2
.LBB1474_69:
	s_or_b32 exec_lo, exec_lo, s1
	v_add_nc_u32_e32 v1, 9, v28
	v_mov_b32_e32 v47, 0
	v_mov_b32_e32 v49, 0
	s_mov_b32 s2, 0
	s_mov_b32 s1, exec_lo
	v_cmpx_gt_u32_e64 s3, v1
	s_cbranch_execz .LBB1474_73
; %bb.70:
	v_add_nc_u32_e32 v1, s17, v9
	v_add_nc_u32_e32 v2, s19, v9
	s_mov_b32 s6, exec_lo
	s_delay_alu instid0(VALU_DEP_2) | instskip(NEXT) | instid1(VALU_DEP_2)
	v_mul_lo_u32 v1, v1, s16
	v_mul_lo_u32 v2, v2, s18
	s_delay_alu instid0(VALU_DEP_1) | instskip(NEXT) | instid1(VALU_DEP_1)
	v_sub_nc_u32_e32 v1, v1, v2
	v_cmp_lt_u32_e32 vcc_lo, s20, v1
	v_cmpx_ge_u32_e64 s20, v1
; %bb.71:
	v_add_nc_u32_e32 v1, s22, v9
	v_add_nc_u32_e32 v2, s40, v9
	s_delay_alu instid0(VALU_DEP_2) | instskip(NEXT) | instid1(VALU_DEP_2)
	v_mul_lo_u32 v1, v1, s21
	v_mul_lo_u32 v2, v2, s23
	s_delay_alu instid0(VALU_DEP_1) | instskip(NEXT) | instid1(VALU_DEP_1)
	v_sub_nc_u32_e32 v1, v1, v2
	v_cmp_lt_u32_e64 s0, s41, v1
	s_delay_alu instid0(VALU_DEP_1)
	s_and_b32 s2, s0, exec_lo
; %bb.72:
	s_or_b32 exec_lo, exec_lo, s6
	v_cndmask_b32_e64 v49, 0, 1, vcc_lo
	v_cndmask_b32_e64 v47, 0, 1, s2
.LBB1474_73:
	s_or_b32 exec_lo, exec_lo, s1
	v_dual_mov_b32 v48, 0 :: v_dual_add_nc_u32 v1, 10, v28
	v_mov_b32_e32 v50, 0
	s_mov_b32 s2, 0
	s_mov_b32 s1, exec_lo
	s_delay_alu instid0(VALU_DEP_2)
	v_cmpx_gt_u32_e64 s3, v1
	s_cbranch_execz .LBB1474_77
; %bb.74:
	v_add_nc_u32_e32 v1, s17, v6
	v_add_nc_u32_e32 v2, s19, v6
	s_mov_b32 s6, exec_lo
	s_delay_alu instid0(VALU_DEP_2) | instskip(NEXT) | instid1(VALU_DEP_2)
	v_mul_lo_u32 v1, v1, s16
	v_mul_lo_u32 v2, v2, s18
	s_delay_alu instid0(VALU_DEP_1) | instskip(NEXT) | instid1(VALU_DEP_1)
	v_sub_nc_u32_e32 v1, v1, v2
	v_cmp_lt_u32_e32 vcc_lo, s20, v1
	v_cmpx_ge_u32_e64 s20, v1
; %bb.75:
	v_add_nc_u32_e32 v1, s22, v6
	v_add_nc_u32_e32 v2, s40, v6
	s_delay_alu instid0(VALU_DEP_2) | instskip(NEXT) | instid1(VALU_DEP_2)
	v_mul_lo_u32 v1, v1, s21
	v_mul_lo_u32 v2, v2, s23
	s_delay_alu instid0(VALU_DEP_1) | instskip(NEXT) | instid1(VALU_DEP_1)
	v_sub_nc_u32_e32 v1, v1, v2
	v_cmp_lt_u32_e64 s0, s41, v1
	s_delay_alu instid0(VALU_DEP_1)
	s_and_b32 s2, s0, exec_lo
; %bb.76:
	s_or_b32 exec_lo, exec_lo, s6
	v_cndmask_b32_e64 v50, 0, 1, vcc_lo
	v_cndmask_b32_e64 v48, 0, 1, s2
.LBB1474_77:
	s_or_b32 exec_lo, exec_lo, s1
	v_dual_mov_b32 v52, 0 :: v_dual_add_nc_u32 v1, 11, v28
	v_mov_b32_e32 v51, 0
	s_mov_b32 s2, 0
	s_mov_b32 s1, exec_lo
	s_delay_alu instid0(VALU_DEP_2)
	v_cmpx_gt_u32_e64 s3, v1
	s_cbranch_execz .LBB1474_81
; %bb.78:
	v_add_nc_u32_e32 v1, s17, v7
	v_add_nc_u32_e32 v2, s19, v7
	s_mov_b32 s6, exec_lo
	s_delay_alu instid0(VALU_DEP_2) | instskip(NEXT) | instid1(VALU_DEP_2)
	v_mul_lo_u32 v1, v1, s16
	v_mul_lo_u32 v2, v2, s18
	s_delay_alu instid0(VALU_DEP_1) | instskip(NEXT) | instid1(VALU_DEP_1)
	v_sub_nc_u32_e32 v1, v1, v2
	v_cmp_lt_u32_e32 vcc_lo, s20, v1
	v_cmpx_ge_u32_e64 s20, v1
; %bb.79:
	v_add_nc_u32_e32 v1, s22, v7
	v_add_nc_u32_e32 v2, s40, v7
	s_delay_alu instid0(VALU_DEP_2) | instskip(NEXT) | instid1(VALU_DEP_2)
	v_mul_lo_u32 v1, v1, s21
	v_mul_lo_u32 v2, v2, s23
	s_delay_alu instid0(VALU_DEP_1) | instskip(NEXT) | instid1(VALU_DEP_1)
	v_sub_nc_u32_e32 v1, v1, v2
	v_cmp_lt_u32_e64 s0, s41, v1
	s_delay_alu instid0(VALU_DEP_1)
	s_and_b32 s2, s0, exec_lo
; %bb.80:
	s_or_b32 exec_lo, exec_lo, s6
	v_cndmask_b32_e64 v51, 0, 1, vcc_lo
	v_cndmask_b32_e64 v52, 0, 1, s2
.LBB1474_81:
	s_or_b32 exec_lo, exec_lo, s1
	v_add_nc_u32_e32 v1, 12, v28
	s_mov_b32 s42, 0
	s_mov_b32 s43, 0
	s_mov_b32 s0, exec_lo
	s_delay_alu instid0(VALU_DEP_1)
	v_cmpx_gt_u32_e64 s3, v1
	s_cbranch_execz .LBB1474_85
; %bb.82:
	v_add_nc_u32_e32 v1, s17, v27
	v_add_nc_u32_e32 v2, s19, v27
	s_mov_b32 s2, -1
	s_mov_b32 s6, 0
	s_mov_b32 s1, exec_lo
	v_mul_lo_u32 v1, v1, s16
	v_mul_lo_u32 v2, v2, s18
	s_delay_alu instid0(VALU_DEP_1) | instskip(NEXT) | instid1(VALU_DEP_1)
	v_sub_nc_u32_e32 v1, v1, v2
	v_cmpx_ge_u32_e64 s20, v1
; %bb.83:
	v_add_nc_u32_e32 v1, s22, v27
	v_add_nc_u32_e32 v2, s40, v27
	s_xor_b32 s2, exec_lo, -1
	s_delay_alu instid0(VALU_DEP_2) | instskip(NEXT) | instid1(VALU_DEP_2)
	v_mul_lo_u32 v1, v1, s21
	v_mul_lo_u32 v2, v2, s23
	s_delay_alu instid0(VALU_DEP_1) | instskip(NEXT) | instid1(VALU_DEP_1)
	v_sub_nc_u32_e32 v1, v1, v2
	v_cmp_lt_u32_e32 vcc_lo, s41, v1
	s_and_b32 s6, vcc_lo, exec_lo
; %bb.84:
	s_or_b32 exec_lo, exec_lo, s1
	s_delay_alu instid0(SALU_CYCLE_1)
	s_and_b32 s43, s6, exec_lo
	s_and_b32 s42, s2, exec_lo
.LBB1474_85:
	s_or_b32 exec_lo, exec_lo, s0
.LBB1474_86:
	v_and_b32_e32 v75, 0xff, v29
	v_and_b32_e32 v76, 0xff, v30
	;; [unrolled: 1-line block ×10, first 2 shown]
	v_add3_u32 v1, v71, v73, v75
	v_add3_u32 v2, v72, v74, v76
	v_and_b32_e32 v65, 0xff, v41
	v_and_b32_e32 v66, 0xff, v39
	v_and_b32_e32 v61, 0xff, v42
	v_and_b32_e32 v62, 0xff, v40
	v_add3_u32 v1, v1, v69, v67
	v_add3_u32 v2, v2, v70, v68
	v_and_b32_e32 v63, 0xff, v44
	v_and_b32_e32 v64, 0xff, v43
	v_and_b32_e32 v59, 0xff, v46
	v_and_b32_e32 v60, 0xff, v45
	;; [unrolled: 6-line block ×3, first 2 shown]
	v_add3_u32 v1, v1, v63, v59
	v_add3_u32 v2, v2, v64, v60
	v_mbcnt_lo_u32_b32 v77, -1, 0
	v_and_b32_e32 v53, 0xff, v51
	v_and_b32_e32 v54, 0xff, v52
	v_cndmask_b32_e64 v3, 0, 1, s43
	v_add3_u32 v1, v1, v57, v55
	v_cndmask_b32_e64 v4, 0, 1, s42
	v_add3_u32 v2, v2, v58, v56
	v_and_b32_e32 v81, 15, v77
	v_and_b32_e32 v80, 16, v77
	v_lshrrev_b32_e32 v78, 5, v0
	v_add3_u32 v82, v1, v53, v4
	v_add3_u32 v83, v2, v54, v3
	v_cmp_eq_u32_e64 s1, 0, v81
	v_cmp_lt_u32_e64 s0, 1, v81
	v_cmp_lt_u32_e64 s2, 3, v81
	v_cmp_lt_u32_e32 vcc_lo, 7, v81
	v_or_b32_e32 v79, 31, v0
	s_cmp_lg_u32 s15, 0
	s_mov_b32 s6, -1
	s_cbranch_scc0 .LBB1474_114
; %bb.87:
	v_mov_b32_dpp v1, v83 row_shr:1 row_mask:0xf bank_mask:0xf
	v_mov_b32_dpp v2, v82 row_shr:1 row_mask:0xf bank_mask:0xf
	s_delay_alu instid0(VALU_DEP_2) | instskip(NEXT) | instid1(VALU_DEP_1)
	v_add_nc_u32_e32 v1, v1, v83
	v_cndmask_b32_e64 v1, v1, v83, s1
	s_delay_alu instid0(VALU_DEP_1) | instskip(NEXT) | instid1(VALU_DEP_1)
	v_mov_b32_dpp v3, v1 row_shr:2 row_mask:0xf bank_mask:0xf
	v_add_nc_u32_e32 v3, v1, v3
	s_delay_alu instid0(VALU_DEP_1) | instskip(NEXT) | instid1(VALU_DEP_1)
	v_cndmask_b32_e64 v1, v1, v3, s0
	v_mov_b32_dpp v3, v1 row_shr:4 row_mask:0xf bank_mask:0xf
	s_delay_alu instid0(VALU_DEP_1) | instskip(NEXT) | instid1(VALU_DEP_1)
	v_add_nc_u32_e32 v3, v1, v3
	v_cndmask_b32_e64 v1, v1, v3, s2
	s_delay_alu instid0(VALU_DEP_1) | instskip(NEXT) | instid1(VALU_DEP_1)
	v_mov_b32_dpp v3, v1 row_shr:8 row_mask:0xf bank_mask:0xf
	v_add_nc_u32_e32 v3, v1, v3
	s_delay_alu instid0(VALU_DEP_1) | instskip(NEXT) | instid1(VALU_DEP_1)
	v_dual_cndmask_b32 v1, v1, v3 :: v_dual_add_nc_u32 v2, v2, v82
	v_cndmask_b32_e64 v2, v2, v82, s1
	s_delay_alu instid0(VALU_DEP_1) | instskip(NEXT) | instid1(VALU_DEP_1)
	v_mov_b32_dpp v4, v2 row_shr:2 row_mask:0xf bank_mask:0xf
	v_add_nc_u32_e32 v4, v2, v4
	s_delay_alu instid0(VALU_DEP_1) | instskip(NEXT) | instid1(VALU_DEP_1)
	v_cndmask_b32_e64 v2, v2, v4, s0
	v_mov_b32_dpp v4, v2 row_shr:4 row_mask:0xf bank_mask:0xf
	s_delay_alu instid0(VALU_DEP_1) | instskip(NEXT) | instid1(VALU_DEP_1)
	v_add_nc_u32_e32 v4, v2, v4
	v_cndmask_b32_e64 v2, v2, v4, s2
	s_mov_b32 s2, exec_lo
	s_delay_alu instid0(VALU_DEP_1) | instskip(NEXT) | instid1(VALU_DEP_1)
	v_mov_b32_dpp v4, v2 row_shr:8 row_mask:0xf bank_mask:0xf
	v_add_nc_u32_e32 v4, v2, v4
	s_delay_alu instid0(VALU_DEP_1)
	v_cndmask_b32_e32 v3, v2, v4, vcc_lo
	ds_swizzle_b32 v2, v1 offset:swizzle(BROADCAST,32,15)
	v_cmp_eq_u32_e32 vcc_lo, 0, v80
	s_waitcnt lgkmcnt(0)
	v_add_nc_u32_e32 v2, v1, v2
	ds_swizzle_b32 v4, v3 offset:swizzle(BROADCAST,32,15)
	v_cndmask_b32_e32 v2, v2, v1, vcc_lo
	s_waitcnt lgkmcnt(0)
	v_add_nc_u32_e32 v4, v3, v4
	s_delay_alu instid0(VALU_DEP_1)
	v_cndmask_b32_e32 v1, v4, v3, vcc_lo
	v_cmpx_eq_u32_e64 v79, v0
	s_cbranch_execz .LBB1474_89
; %bb.88:
	v_lshlrev_b32_e32 v3, 3, v78
	ds_store_b64 v3, v[1:2]
.LBB1474_89:
	s_or_b32 exec_lo, exec_lo, s2
	s_delay_alu instid0(SALU_CYCLE_1)
	s_mov_b32 s2, exec_lo
	s_waitcnt lgkmcnt(0)
	s_barrier
	buffer_gl0_inv
	v_cmpx_gt_u32_e32 8, v0
	s_cbranch_execz .LBB1474_91
; %bb.90:
	v_lshlrev_b32_e32 v5, 3, v0
	ds_load_b64 v[3:4], v5
	s_waitcnt lgkmcnt(0)
	v_mov_b32_dpp v18, v3 row_shr:1 row_mask:0xf bank_mask:0xf
	v_mov_b32_dpp v19, v4 row_shr:1 row_mask:0xf bank_mask:0xf
	s_delay_alu instid0(VALU_DEP_2) | instskip(SKIP_1) | instid1(VALU_DEP_3)
	v_add_nc_u32_e32 v18, v18, v3
	v_and_b32_e32 v20, 7, v77
	v_add_nc_u32_e32 v19, v19, v4
	s_delay_alu instid0(VALU_DEP_2) | instskip(NEXT) | instid1(VALU_DEP_2)
	v_cmp_eq_u32_e32 vcc_lo, 0, v20
	v_dual_cndmask_b32 v4, v19, v4 :: v_dual_cndmask_b32 v3, v18, v3
	v_cmp_lt_u32_e32 vcc_lo, 1, v20
	s_delay_alu instid0(VALU_DEP_2) | instskip(NEXT) | instid1(VALU_DEP_3)
	v_mov_b32_dpp v19, v4 row_shr:2 row_mask:0xf bank_mask:0xf
	v_mov_b32_dpp v18, v3 row_shr:2 row_mask:0xf bank_mask:0xf
	s_delay_alu instid0(VALU_DEP_2) | instskip(NEXT) | instid1(VALU_DEP_2)
	v_add_nc_u32_e32 v19, v4, v19
	v_add_nc_u32_e32 v18, v3, v18
	s_delay_alu instid0(VALU_DEP_1) | instskip(SKIP_1) | instid1(VALU_DEP_2)
	v_dual_cndmask_b32 v4, v4, v19 :: v_dual_cndmask_b32 v3, v3, v18
	v_cmp_lt_u32_e32 vcc_lo, 3, v20
	v_mov_b32_dpp v19, v4 row_shr:4 row_mask:0xf bank_mask:0xf
	s_delay_alu instid0(VALU_DEP_3) | instskip(NEXT) | instid1(VALU_DEP_1)
	v_mov_b32_dpp v18, v3 row_shr:4 row_mask:0xf bank_mask:0xf
	v_dual_cndmask_b32 v19, 0, v19 :: v_dual_cndmask_b32 v18, 0, v18
	s_delay_alu instid0(VALU_DEP_1) | instskip(NEXT) | instid1(VALU_DEP_2)
	v_add_nc_u32_e32 v4, v19, v4
	v_add_nc_u32_e32 v3, v18, v3
	ds_store_b64 v5, v[3:4]
.LBB1474_91:
	s_or_b32 exec_lo, exec_lo, s2
	v_cmp_gt_u32_e32 vcc_lo, 32, v0
	v_cmp_lt_u32_e64 s2, 31, v0
	s_waitcnt lgkmcnt(0)
	s_barrier
	buffer_gl0_inv
                                        ; implicit-def: $vgpr19
	s_and_saveexec_b32 s6, s2
	s_delay_alu instid0(SALU_CYCLE_1)
	s_xor_b32 s2, exec_lo, s6
	s_cbranch_execz .LBB1474_93
; %bb.92:
	v_lshl_add_u32 v3, v78, 3, -8
	ds_load_b64 v[18:19], v3
	s_waitcnt lgkmcnt(0)
	v_add_nc_u32_e32 v2, v19, v2
	v_add_nc_u32_e32 v1, v18, v1
.LBB1474_93:
	s_and_not1_saveexec_b32 s2, s2
; %bb.94:
                                        ; implicit-def: $vgpr18
; %bb.95:
	s_delay_alu instid0(SALU_CYCLE_1) | instskip(SKIP_1) | instid1(VALU_DEP_1)
	s_or_b32 exec_lo, exec_lo, s2
	v_add_nc_u32_e32 v3, -1, v77
	v_cmp_gt_i32_e64 s2, 0, v3
	s_delay_alu instid0(VALU_DEP_1) | instskip(SKIP_1) | instid1(VALU_DEP_2)
	v_cndmask_b32_e64 v3, v3, v77, s2
	v_cmp_eq_u32_e64 s2, 0, v77
	v_lshlrev_b32_e32 v3, 2, v3
	ds_bpermute_b32 v84, v3, v1
	ds_bpermute_b32 v85, v3, v2
	s_and_saveexec_b32 s6, vcc_lo
	s_cbranch_execz .LBB1474_113
; %bb.96:
	v_mov_b32_e32 v4, 0
	ds_load_b64 v[1:2], v4 offset:56
	s_waitcnt lgkmcnt(0)
	v_readfirstlane_b32 s7, v2
	s_and_saveexec_b32 s8, s2
	s_cbranch_execz .LBB1474_98
; %bb.97:
	s_add_i32 s10, s15, 32
	s_mov_b32 s11, 0
	v_mov_b32_e32 v3, 1
	s_lshl_b64 s[12:13], s[10:11], 4
	s_mov_b32 s16, s11
	s_add_u32 s12, s4, s12
	s_addc_u32 s13, s5, s13
	s_and_b32 s17, s7, 0xff000000
	s_and_b32 s19, s7, 0xff0000
	s_mov_b32 s18, s11
	v_dual_mov_b32 v21, s13 :: v_dual_mov_b32 v20, s12
	s_or_b64 s[16:17], s[18:19], s[16:17]
	s_and_b32 s19, s7, 0xff00
	s_delay_alu instid0(SALU_CYCLE_1) | instskip(SKIP_1) | instid1(SALU_CYCLE_1)
	s_or_b64 s[16:17], s[16:17], s[18:19]
	s_and_b32 s19, s7, 0xff
	s_or_b64 s[10:11], s[16:17], s[18:19]
	s_delay_alu instid0(SALU_CYCLE_1)
	v_mov_b32_e32 v2, s11
	;;#ASMSTART
	global_store_dwordx4 v[20:21], v[1:4] off	
s_waitcnt vmcnt(0)
	;;#ASMEND
.LBB1474_98:
	s_or_b32 exec_lo, exec_lo, s8
	v_xad_u32 v20, v77, -1, s15
	s_mov_b32 s9, 0
	s_mov_b32 s8, exec_lo
	s_delay_alu instid0(VALU_DEP_1) | instskip(NEXT) | instid1(VALU_DEP_1)
	v_add_nc_u32_e32 v3, 32, v20
	v_lshlrev_b64 v[2:3], 4, v[3:4]
	s_delay_alu instid0(VALU_DEP_1) | instskip(NEXT) | instid1(VALU_DEP_2)
	v_add_co_u32 v21, vcc_lo, s4, v2
	v_add_co_ci_u32_e32 v22, vcc_lo, s5, v3, vcc_lo
	;;#ASMSTART
	global_load_dwordx4 v[2:5], v[21:22] off glc	
s_waitcnt vmcnt(0)
	;;#ASMEND
	v_and_b32_e32 v5, 0xff, v3
	v_and_b32_e32 v23, 0xff00, v3
	v_or3_b32 v2, v2, 0, 0
	v_and_b32_e32 v24, 0xff000000, v3
	v_and_b32_e32 v3, 0xff0000, v3
	s_delay_alu instid0(VALU_DEP_4) | instskip(SKIP_2) | instid1(VALU_DEP_3)
	v_or3_b32 v5, 0, v5, v23
	v_and_b32_e32 v23, 0xff, v4
	v_or3_b32 v2, v2, 0, 0
	v_or3_b32 v3, v5, v3, v24
	s_delay_alu instid0(VALU_DEP_3)
	v_cmpx_eq_u16_e32 0, v23
	s_cbranch_execz .LBB1474_101
.LBB1474_99:                            ; =>This Inner Loop Header: Depth=1
	;;#ASMSTART
	global_load_dwordx4 v[2:5], v[21:22] off glc	
s_waitcnt vmcnt(0)
	;;#ASMEND
	v_and_b32_e32 v5, 0xff, v4
	s_delay_alu instid0(VALU_DEP_1) | instskip(SKIP_1) | instid1(SALU_CYCLE_1)
	v_cmp_ne_u16_e32 vcc_lo, 0, v5
	s_or_b32 s9, vcc_lo, s9
	s_and_not1_b32 exec_lo, exec_lo, s9
	s_cbranch_execnz .LBB1474_99
; %bb.100:
	s_or_b32 exec_lo, exec_lo, s9
.LBB1474_101:
	s_delay_alu instid0(SALU_CYCLE_1)
	s_or_b32 exec_lo, exec_lo, s8
	v_cmp_ne_u32_e32 vcc_lo, 31, v77
	v_lshlrev_b32_e64 v87, v77, -1
	v_add_nc_u32_e32 v91, 4, v77
	v_add_nc_u32_e32 v93, 8, v77
	;; [unrolled: 1-line block ×3, first 2 shown]
	v_add_co_ci_u32_e32 v5, vcc_lo, 0, v77, vcc_lo
	s_delay_alu instid0(VALU_DEP_1)
	v_lshlrev_b32_e32 v86, 2, v5
	ds_bpermute_b32 v21, v86, v3
	ds_bpermute_b32 v5, v86, v2
	s_waitcnt lgkmcnt(1)
	v_add_nc_u32_e32 v21, v21, v3
	v_and_b32_e32 v22, 0xff, v4
	s_waitcnt lgkmcnt(0)
	v_add_nc_u32_e32 v5, v5, v2
	s_delay_alu instid0(VALU_DEP_2) | instskip(SKIP_2) | instid1(VALU_DEP_2)
	v_cmp_eq_u16_e32 vcc_lo, 2, v22
	v_and_or_b32 v22, vcc_lo, v87, 0x80000000
	v_cmp_gt_u32_e32 vcc_lo, 30, v77
	v_ctz_i32_b32_e32 v22, v22
	v_cndmask_b32_e64 v23, 0, 1, vcc_lo
	s_delay_alu instid0(VALU_DEP_2) | instskip(NEXT) | instid1(VALU_DEP_2)
	v_cmp_lt_u32_e32 vcc_lo, v77, v22
	v_dual_cndmask_b32 v2, v2, v5 :: v_dual_lshlrev_b32 v23, 1, v23
	s_delay_alu instid0(VALU_DEP_1)
	v_add_lshl_u32 v88, v23, v77, 2
	v_cndmask_b32_e32 v3, v3, v21, vcc_lo
	v_cmp_gt_u32_e32 vcc_lo, 28, v77
	ds_bpermute_b32 v5, v88, v2
	ds_bpermute_b32 v21, v88, v3
	v_cndmask_b32_e64 v23, 0, 1, vcc_lo
	s_waitcnt lgkmcnt(1)
	v_add_nc_u32_e32 v5, v2, v5
	v_add_nc_u32_e32 v89, 2, v77
	s_waitcnt lgkmcnt(0)
	v_add_nc_u32_e32 v21, v3, v21
	s_delay_alu instid0(VALU_DEP_2) | instskip(SKIP_1) | instid1(VALU_DEP_3)
	v_cmp_gt_u32_e32 vcc_lo, v89, v22
	v_dual_cndmask_b32 v2, v5, v2 :: v_dual_lshlrev_b32 v23, 2, v23
	v_cndmask_b32_e32 v3, v21, v3, vcc_lo
	v_cmp_gt_u32_e32 vcc_lo, 24, v77
	s_delay_alu instid0(VALU_DEP_3)
	v_add_lshl_u32 v90, v23, v77, 2
	v_cndmask_b32_e64 v23, 0, 1, vcc_lo
	v_cmp_gt_u32_e32 vcc_lo, v91, v22
	ds_bpermute_b32 v5, v90, v2
	ds_bpermute_b32 v21, v90, v3
	v_lshlrev_b32_e32 v23, 3, v23
	s_delay_alu instid0(VALU_DEP_1) | instskip(SKIP_3) | instid1(VALU_DEP_1)
	v_add_lshl_u32 v92, v23, v77, 2
	s_waitcnt lgkmcnt(1)
	v_add_nc_u32_e32 v5, v2, v5
	s_waitcnt lgkmcnt(0)
	v_dual_cndmask_b32 v2, v5, v2 :: v_dual_add_nc_u32 v21, v3, v21
	s_delay_alu instid0(VALU_DEP_1)
	v_cndmask_b32_e32 v3, v21, v3, vcc_lo
	v_cmp_gt_u32_e32 vcc_lo, 16, v77
	ds_bpermute_b32 v5, v92, v2
	ds_bpermute_b32 v21, v92, v3
	v_cndmask_b32_e64 v23, 0, 1, vcc_lo
	v_cmp_gt_u32_e32 vcc_lo, v93, v22
	s_delay_alu instid0(VALU_DEP_2) | instskip(NEXT) | instid1(VALU_DEP_1)
	v_lshlrev_b32_e32 v23, 4, v23
	v_add_lshl_u32 v94, v23, v77, 2
	s_waitcnt lgkmcnt(1)
	v_add_nc_u32_e32 v5, v2, v5
	s_waitcnt lgkmcnt(0)
	s_delay_alu instid0(VALU_DEP_1) | instskip(NEXT) | instid1(VALU_DEP_1)
	v_dual_cndmask_b32 v2, v5, v2 :: v_dual_add_nc_u32 v21, v3, v21
	v_cndmask_b32_e32 v3, v21, v3, vcc_lo
	v_cmp_le_u32_e32 vcc_lo, v95, v22
	ds_bpermute_b32 v5, v94, v2
	ds_bpermute_b32 v21, v94, v3
	s_waitcnt lgkmcnt(1)
	v_cndmask_b32_e32 v5, 0, v5, vcc_lo
	s_waitcnt lgkmcnt(0)
	s_delay_alu instid0(VALU_DEP_1) | instskip(NEXT) | instid1(VALU_DEP_1)
	v_dual_cndmask_b32 v21, 0, v21 :: v_dual_add_nc_u32 v2, v5, v2
	v_add_nc_u32_e32 v3, v21, v3
	v_mov_b32_e32 v21, 0
	s_branch .LBB1474_103
.LBB1474_102:                           ;   in Loop: Header=BB1474_103 Depth=1
	s_or_b32 exec_lo, exec_lo, s8
	ds_bpermute_b32 v5, v86, v2
	ds_bpermute_b32 v24, v86, v3
	v_subrev_nc_u32_e32 v20, 32, v20
	s_waitcnt lgkmcnt(1)
	v_add_nc_u32_e32 v5, v5, v2
	v_and_b32_e32 v25, 0xff, v4
	s_waitcnt lgkmcnt(0)
	v_add_nc_u32_e32 v24, v24, v3
	s_delay_alu instid0(VALU_DEP_2) | instskip(SKIP_1) | instid1(VALU_DEP_1)
	v_cmp_eq_u16_e32 vcc_lo, 2, v25
	v_and_or_b32 v25, vcc_lo, v87, 0x80000000
	v_ctz_i32_b32_e32 v25, v25
	s_delay_alu instid0(VALU_DEP_1)
	v_cmp_lt_u32_e32 vcc_lo, v77, v25
	v_cndmask_b32_e32 v2, v2, v5, vcc_lo
	ds_bpermute_b32 v5, v88, v2
	s_waitcnt lgkmcnt(0)
	v_add_nc_u32_e32 v5, v2, v5
	v_cndmask_b32_e32 v3, v3, v24, vcc_lo
	v_cmp_gt_u32_e32 vcc_lo, v89, v25
	s_delay_alu instid0(VALU_DEP_3)
	v_cndmask_b32_e32 v2, v5, v2, vcc_lo
	ds_bpermute_b32 v24, v88, v3
	ds_bpermute_b32 v5, v90, v2
	s_waitcnt lgkmcnt(1)
	v_add_nc_u32_e32 v24, v3, v24
	s_waitcnt lgkmcnt(0)
	v_add_nc_u32_e32 v5, v2, v5
	s_delay_alu instid0(VALU_DEP_2) | instskip(SKIP_1) | instid1(VALU_DEP_3)
	v_cndmask_b32_e32 v3, v24, v3, vcc_lo
	v_cmp_gt_u32_e32 vcc_lo, v91, v25
	v_cndmask_b32_e32 v2, v5, v2, vcc_lo
	ds_bpermute_b32 v24, v90, v3
	ds_bpermute_b32 v5, v92, v2
	s_waitcnt lgkmcnt(1)
	v_add_nc_u32_e32 v24, v3, v24
	s_waitcnt lgkmcnt(0)
	v_add_nc_u32_e32 v5, v2, v5
	s_delay_alu instid0(VALU_DEP_2) | instskip(SKIP_1) | instid1(VALU_DEP_3)
	v_cndmask_b32_e32 v3, v24, v3, vcc_lo
	v_cmp_gt_u32_e32 vcc_lo, v93, v25
	v_cndmask_b32_e32 v2, v5, v2, vcc_lo
	ds_bpermute_b32 v24, v92, v3
	ds_bpermute_b32 v5, v94, v2
	s_waitcnt lgkmcnt(1)
	v_add_nc_u32_e32 v24, v3, v24
	s_delay_alu instid0(VALU_DEP_1) | instskip(SKIP_4) | instid1(VALU_DEP_1)
	v_cndmask_b32_e32 v3, v24, v3, vcc_lo
	v_cmp_le_u32_e32 vcc_lo, v95, v25
	ds_bpermute_b32 v24, v94, v3
	s_waitcnt lgkmcnt(1)
	v_cndmask_b32_e32 v5, 0, v5, vcc_lo
	v_add3_u32 v2, v2, v22, v5
	s_waitcnt lgkmcnt(0)
	v_cndmask_b32_e32 v24, 0, v24, vcc_lo
	s_delay_alu instid0(VALU_DEP_1)
	v_add3_u32 v3, v3, v23, v24
.LBB1474_103:                           ; =>This Loop Header: Depth=1
                                        ;     Child Loop BB1474_106 Depth 2
	s_delay_alu instid0(VALU_DEP_1) | instskip(SKIP_1) | instid1(VALU_DEP_2)
	v_dual_mov_b32 v23, v3 :: v_dual_and_b32 v4, 0xff, v4
	v_mov_b32_e32 v22, v2
	v_cmp_ne_u16_e32 vcc_lo, 2, v4
	v_cndmask_b32_e64 v4, 0, 1, vcc_lo
	;;#ASMSTART
	;;#ASMEND
	s_delay_alu instid0(VALU_DEP_1)
	v_cmp_ne_u32_e32 vcc_lo, 0, v4
	s_cmp_lg_u32 vcc_lo, exec_lo
	s_cbranch_scc1 .LBB1474_108
; %bb.104:                              ;   in Loop: Header=BB1474_103 Depth=1
	v_lshlrev_b64 v[2:3], 4, v[20:21]
	s_mov_b32 s8, exec_lo
	s_delay_alu instid0(VALU_DEP_1) | instskip(NEXT) | instid1(VALU_DEP_2)
	v_add_co_u32 v24, vcc_lo, s4, v2
	v_add_co_ci_u32_e32 v25, vcc_lo, s5, v3, vcc_lo
	;;#ASMSTART
	global_load_dwordx4 v[2:5], v[24:25] off glc	
s_waitcnt vmcnt(0)
	;;#ASMEND
	v_and_b32_e32 v5, 0xff, v3
	v_and_b32_e32 v96, 0xff00, v3
	v_or3_b32 v2, v2, 0, 0
	v_and_b32_e32 v97, 0xff000000, v3
	v_and_b32_e32 v3, 0xff0000, v3
	s_delay_alu instid0(VALU_DEP_4) | instskip(SKIP_2) | instid1(VALU_DEP_3)
	v_or3_b32 v5, 0, v5, v96
	v_and_b32_e32 v96, 0xff, v4
	v_or3_b32 v2, v2, 0, 0
	v_or3_b32 v3, v5, v3, v97
	s_delay_alu instid0(VALU_DEP_3)
	v_cmpx_eq_u16_e32 0, v96
	s_cbranch_execz .LBB1474_102
; %bb.105:                              ;   in Loop: Header=BB1474_103 Depth=1
	s_mov_b32 s9, 0
.LBB1474_106:                           ;   Parent Loop BB1474_103 Depth=1
                                        ; =>  This Inner Loop Header: Depth=2
	;;#ASMSTART
	global_load_dwordx4 v[2:5], v[24:25] off glc	
s_waitcnt vmcnt(0)
	;;#ASMEND
	v_and_b32_e32 v5, 0xff, v4
	s_delay_alu instid0(VALU_DEP_1) | instskip(SKIP_1) | instid1(SALU_CYCLE_1)
	v_cmp_ne_u16_e32 vcc_lo, 0, v5
	s_or_b32 s9, vcc_lo, s9
	s_and_not1_b32 exec_lo, exec_lo, s9
	s_cbranch_execnz .LBB1474_106
; %bb.107:                              ;   in Loop: Header=BB1474_103 Depth=1
	s_or_b32 exec_lo, exec_lo, s9
	s_branch .LBB1474_102
.LBB1474_108:                           ;   in Loop: Header=BB1474_103 Depth=1
                                        ; implicit-def: $vgpr4
                                        ; implicit-def: $vgpr2_vgpr3
	s_cbranch_execz .LBB1474_103
; %bb.109:
	s_and_saveexec_b32 s8, s2
	s_cbranch_execnz .LBB1474_352
; %bb.110:
	s_or_b32 exec_lo, exec_lo, s8
	s_and_saveexec_b32 s8, s2
	s_cbranch_execnz .LBB1474_353
.LBB1474_111:
	s_or_b32 exec_lo, exec_lo, s8
	v_cmp_eq_u32_e32 vcc_lo, 0, v0
	s_and_b32 exec_lo, exec_lo, vcc_lo
	s_cbranch_execz .LBB1474_113
.LBB1474_112:
	v_mov_b32_e32 v1, 0
	ds_store_b64 v1, v[22:23] offset:56
.LBB1474_113:
	s_or_b32 exec_lo, exec_lo, s6
	v_cmp_eq_u32_e32 vcc_lo, 0, v0
	v_mov_b32_e32 v1, 0
	s_waitcnt lgkmcnt(0)
	s_barrier
	buffer_gl0_inv
	v_add_nc_u32_e64 v3, 0x3400, 0
	ds_load_b64 v[20:21], v1 offset:56
	s_waitcnt lgkmcnt(0)
	s_barrier
	buffer_gl0_inv
	ds_load_2addr_b32 v[1:2], v3 offset1:2
	ds_load_2addr_b32 v[3:4], v3 offset0:4 offset1:6
	v_cndmask_b32_e64 v5, v84, v18, s2
	v_cndmask_b32_e64 v18, v85, v19, s2
	s_delay_alu instid0(VALU_DEP_2) | instskip(NEXT) | instid1(VALU_DEP_1)
	v_add_nc_u32_e32 v19, v20, v5
	v_dual_cndmask_b32 v20, v19, v20 :: v_dual_add_nc_u32 v5, v21, v18
	s_delay_alu instid0(VALU_DEP_1)
	v_cndmask_b32_e32 v5, v5, v21, vcc_lo
	s_branch .LBB1474_124
.LBB1474_114:
                                        ; implicit-def: $vgpr5
                                        ; implicit-def: $vgpr3
                                        ; implicit-def: $vgpr1
                                        ; implicit-def: $vgpr20_vgpr21
	s_and_b32 vcc_lo, exec_lo, s6
	s_cbranch_vccz .LBB1474_124
; %bb.115:
	s_waitcnt lgkmcnt(0)
	v_mov_b32_dpp v2, v83 row_shr:1 row_mask:0xf bank_mask:0xf
	v_cmp_lt_u32_e32 vcc_lo, 3, v81
	v_mov_b32_dpp v1, v82 row_shr:1 row_mask:0xf bank_mask:0xf
	s_delay_alu instid0(VALU_DEP_3) | instskip(NEXT) | instid1(VALU_DEP_1)
	v_add_nc_u32_e32 v2, v2, v83
	v_cndmask_b32_e64 v2, v2, v83, s1
	s_delay_alu instid0(VALU_DEP_1) | instskip(NEXT) | instid1(VALU_DEP_1)
	v_mov_b32_dpp v4, v2 row_shr:2 row_mask:0xf bank_mask:0xf
	v_add_nc_u32_e32 v4, v2, v4
	s_delay_alu instid0(VALU_DEP_1) | instskip(NEXT) | instid1(VALU_DEP_1)
	v_cndmask_b32_e64 v2, v2, v4, s0
	v_mov_b32_dpp v4, v2 row_shr:4 row_mask:0xf bank_mask:0xf
	s_delay_alu instid0(VALU_DEP_1) | instskip(NEXT) | instid1(VALU_DEP_1)
	v_add_nc_u32_e32 v4, v2, v4
	v_dual_cndmask_b32 v2, v2, v4 :: v_dual_add_nc_u32 v1, v1, v82
	s_delay_alu instid0(VALU_DEP_1) | instskip(NEXT) | instid1(VALU_DEP_2)
	v_cndmask_b32_e64 v1, v1, v82, s1
	v_mov_b32_dpp v4, v2 row_shr:8 row_mask:0xf bank_mask:0xf
	s_delay_alu instid0(VALU_DEP_2) | instskip(NEXT) | instid1(VALU_DEP_2)
	v_mov_b32_dpp v3, v1 row_shr:2 row_mask:0xf bank_mask:0xf
	v_add_nc_u32_e32 v4, v2, v4
	s_delay_alu instid0(VALU_DEP_2) | instskip(NEXT) | instid1(VALU_DEP_1)
	v_add_nc_u32_e32 v3, v1, v3
	v_cndmask_b32_e64 v1, v1, v3, s0
	s_mov_b32 s0, exec_lo
	s_delay_alu instid0(VALU_DEP_1) | instskip(NEXT) | instid1(VALU_DEP_1)
	v_mov_b32_dpp v3, v1 row_shr:4 row_mask:0xf bank_mask:0xf
	v_add_nc_u32_e32 v3, v1, v3
	s_delay_alu instid0(VALU_DEP_1) | instskip(SKIP_1) | instid1(VALU_DEP_2)
	v_cndmask_b32_e32 v1, v1, v3, vcc_lo
	v_cmp_lt_u32_e32 vcc_lo, 7, v81
	v_mov_b32_dpp v3, v1 row_shr:8 row_mask:0xf bank_mask:0xf
	s_delay_alu instid0(VALU_DEP_1) | instskip(NEXT) | instid1(VALU_DEP_1)
	v_dual_cndmask_b32 v2, v2, v4 :: v_dual_add_nc_u32 v3, v1, v3
	v_cndmask_b32_e32 v1, v1, v3, vcc_lo
	ds_swizzle_b32 v3, v2 offset:swizzle(BROADCAST,32,15)
	v_cmp_eq_u32_e32 vcc_lo, 0, v80
	ds_swizzle_b32 v4, v1 offset:swizzle(BROADCAST,32,15)
	s_waitcnt lgkmcnt(1)
	v_add_nc_u32_e32 v3, v2, v3
	s_waitcnt lgkmcnt(0)
	v_add_nc_u32_e32 v4, v1, v4
	s_delay_alu instid0(VALU_DEP_1)
	v_dual_cndmask_b32 v2, v3, v2 :: v_dual_cndmask_b32 v1, v4, v1
	v_cmpx_eq_u32_e64 v79, v0
	s_cbranch_execz .LBB1474_117
; %bb.116:
	v_lshlrev_b32_e32 v3, 3, v78
	ds_store_b64 v3, v[1:2]
.LBB1474_117:
	s_or_b32 exec_lo, exec_lo, s0
	s_delay_alu instid0(SALU_CYCLE_1)
	s_mov_b32 s0, exec_lo
	s_waitcnt lgkmcnt(0)
	s_barrier
	buffer_gl0_inv
	v_cmpx_gt_u32_e32 8, v0
	s_cbranch_execz .LBB1474_119
; %bb.118:
	v_lshlrev_b32_e32 v5, 3, v0
	ds_load_b64 v[3:4], v5
	s_waitcnt lgkmcnt(0)
	v_mov_b32_dpp v18, v3 row_shr:1 row_mask:0xf bank_mask:0xf
	v_mov_b32_dpp v19, v4 row_shr:1 row_mask:0xf bank_mask:0xf
	s_delay_alu instid0(VALU_DEP_2) | instskip(SKIP_1) | instid1(VALU_DEP_3)
	v_add_nc_u32_e32 v18, v18, v3
	v_and_b32_e32 v20, 7, v77
	v_add_nc_u32_e32 v19, v19, v4
	s_delay_alu instid0(VALU_DEP_2) | instskip(NEXT) | instid1(VALU_DEP_2)
	v_cmp_eq_u32_e32 vcc_lo, 0, v20
	v_dual_cndmask_b32 v4, v19, v4 :: v_dual_cndmask_b32 v3, v18, v3
	v_cmp_lt_u32_e32 vcc_lo, 1, v20
	s_delay_alu instid0(VALU_DEP_2) | instskip(NEXT) | instid1(VALU_DEP_3)
	v_mov_b32_dpp v19, v4 row_shr:2 row_mask:0xf bank_mask:0xf
	v_mov_b32_dpp v18, v3 row_shr:2 row_mask:0xf bank_mask:0xf
	s_delay_alu instid0(VALU_DEP_2) | instskip(NEXT) | instid1(VALU_DEP_2)
	v_add_nc_u32_e32 v19, v4, v19
	v_add_nc_u32_e32 v18, v3, v18
	s_delay_alu instid0(VALU_DEP_1) | instskip(SKIP_1) | instid1(VALU_DEP_2)
	v_dual_cndmask_b32 v4, v4, v19 :: v_dual_cndmask_b32 v3, v3, v18
	v_cmp_lt_u32_e32 vcc_lo, 3, v20
	v_mov_b32_dpp v19, v4 row_shr:4 row_mask:0xf bank_mask:0xf
	s_delay_alu instid0(VALU_DEP_3) | instskip(NEXT) | instid1(VALU_DEP_1)
	v_mov_b32_dpp v18, v3 row_shr:4 row_mask:0xf bank_mask:0xf
	v_dual_cndmask_b32 v19, 0, v19 :: v_dual_cndmask_b32 v18, 0, v18
	s_delay_alu instid0(VALU_DEP_1) | instskip(NEXT) | instid1(VALU_DEP_2)
	v_add_nc_u32_e32 v4, v19, v4
	v_add_nc_u32_e32 v3, v18, v3
	ds_store_b64 v5, v[3:4]
.LBB1474_119:
	s_or_b32 exec_lo, exec_lo, s0
	v_dual_mov_b32 v3, 0 :: v_dual_mov_b32 v18, 0
	v_mov_b32_e32 v19, 0
	s_mov_b32 s0, exec_lo
	s_waitcnt lgkmcnt(0)
	s_barrier
	buffer_gl0_inv
	v_cmpx_lt_u32_e32 31, v0
	s_cbranch_execz .LBB1474_121
; %bb.120:
	v_lshl_add_u32 v4, v78, 3, -8
	ds_load_b64 v[18:19], v4
.LBB1474_121:
	s_or_b32 exec_lo, exec_lo, s0
	v_add_nc_u32_e32 v4, -1, v77
	s_waitcnt lgkmcnt(0)
	v_add_nc_u32_e32 v20, v19, v2
	v_add_nc_u32_e32 v5, v18, v1
	ds_load_b64 v[1:2], v3 offset:56
	v_cmp_gt_i32_e32 vcc_lo, 0, v4
	v_cndmask_b32_e32 v4, v4, v77, vcc_lo
	v_cmp_eq_u32_e32 vcc_lo, 0, v0
	s_delay_alu instid0(VALU_DEP_2)
	v_lshlrev_b32_e32 v4, 2, v4
	ds_bpermute_b32 v5, v4, v5
	ds_bpermute_b32 v20, v4, v20
	s_waitcnt lgkmcnt(2)
	v_readfirstlane_b32 s1, v2
	s_and_saveexec_b32 s0, vcc_lo
	s_cbranch_execz .LBB1474_123
; %bb.122:
	s_mov_b32 s6, 0
	s_add_u32 s4, s4, 0x200
	s_addc_u32 s5, s5, 0
	s_and_b32 s7, s1, 0xff000000
	s_and_b32 s9, s1, 0xff0000
	s_mov_b32 s8, s6
	v_mov_b32_e32 v22, s5
	s_or_b64 s[8:9], s[8:9], s[6:7]
	s_and_b32 s7, s1, 0xff00
	v_dual_mov_b32 v4, 0 :: v_dual_mov_b32 v21, s4
	s_or_b64 s[8:9], s[8:9], s[6:7]
	s_and_b32 s7, s1, 0xff
	v_mov_b32_e32 v3, 2
	s_or_b64 s[6:7], s[8:9], s[6:7]
	s_delay_alu instid0(SALU_CYCLE_1)
	v_mov_b32_e32 v2, s7
	;;#ASMSTART
	global_store_dwordx4 v[21:22], v[1:4] off	
s_waitcnt vmcnt(0)
	;;#ASMEND
.LBB1474_123:
	s_or_b32 exec_lo, exec_lo, s0
	v_cmp_eq_u32_e64 s0, 0, v77
	v_dual_mov_b32 v3, 0 :: v_dual_mov_b32 v2, s1
	s_waitcnt lgkmcnt(0)
	s_barrier
	s_delay_alu instid0(VALU_DEP_2)
	v_cndmask_b32_e64 v4, v5, v18, s0
	v_cndmask_b32_e64 v5, v20, v19, s0
	buffer_gl0_inv
	v_cndmask_b32_e64 v20, v4, 0, vcc_lo
	v_cndmask_b32_e64 v5, v5, 0, vcc_lo
	v_mov_b32_e32 v4, 0
.LBB1474_124:
	v_and_b32_e32 v30, 1, v30
	v_and_b32_e32 v34, 1, v34
	;; [unrolled: 1-line block ×4, first 2 shown]
	s_waitcnt lgkmcnt(0)
	v_add_co_u32 v18, s0, s28, v3
	v_cmp_eq_u32_e32 vcc_lo, 1, v30
	v_add_nc_u32_e32 v22, v5, v76
	v_sub_nc_u32_e32 v5, v5, v4
	v_add_co_ci_u32_e64 v19, null, s29, 0, s0
	s_mov_b32 s2, -1
	s_delay_alu instid0(VALU_DEP_3) | instskip(SKIP_3) | instid1(VALU_DEP_3)
	v_add_nc_u32_e32 v24, v22, v72
	v_sub_nc_u32_e32 v22, v22, v4
	v_add_nc_u32_e32 v5, v5, v1
	v_sub_co_u32 v72, s0, s30, v1
	v_add_nc_u32_e32 v22, v22, v1
	v_add_nc_u32_e32 v21, v20, v75
	v_sub_nc_u32_e32 v20, v20, v3
	s_delay_alu instid0(VALU_DEP_2)
	v_add_nc_u32_e32 v23, v21, v71
	v_add_nc_u32_e32 v71, v24, v74
	v_lshlrev_b32_e32 v74, 1, v1
	v_sub_nc_u32_e32 v21, v21, v3
	v_add_nc_u32_e32 v75, v20, v5
	v_sub_nc_u32_e32 v24, v24, v4
	s_delay_alu instid0(VALU_DEP_4) | instskip(NEXT) | instid1(VALU_DEP_4)
	v_add3_u32 v28, v74, v2, v28
	v_add_nc_u32_e32 v76, v22, v21
	s_delay_alu instid0(VALU_DEP_3) | instskip(NEXT) | instid1(VALU_DEP_3)
	v_add_nc_u32_e32 v24, v24, v1
	v_sub_nc_u32_e32 v75, v28, v75
	s_delay_alu instid0(VALU_DEP_3) | instskip(NEXT) | instid1(VALU_DEP_1)
	v_sub_nc_u32_e32 v76, v28, v76
	v_dual_cndmask_b32 v5, v75, v5 :: v_dual_add_nc_u32 v30, 1, v76
	v_cmp_eq_u32_e32 vcc_lo, 1, v34
	s_delay_alu instid0(VALU_DEP_2) | instskip(SKIP_1) | instid1(VALU_DEP_4)
	v_cndmask_b32_e32 v22, v30, v22, vcc_lo
	v_cmp_eq_u32_e32 vcc_lo, 1, v29
	v_cndmask_b32_e32 v5, v5, v20, vcc_lo
	v_and_b32_e32 v20, 1, v36
	v_cmp_eq_u32_e32 vcc_lo, 1, v33
	s_delay_alu instid0(VALU_DEP_3) | instskip(SKIP_1) | instid1(VALU_DEP_4)
	v_lshlrev_b32_e32 v5, 2, v5
	v_cndmask_b32_e32 v21, v22, v21, vcc_lo
	v_cmp_eq_u32_e32 vcc_lo, 1, v20
	v_add_nc_u32_e32 v25, v23, v73
	v_sub_nc_u32_e32 v23, v23, v3
	v_and_b32_e32 v22, 1, v31
	v_sub_co_ci_u32_e64 v73, null, s31, 0, s0
	v_and_b32_e32 v31, 1, v32
	s_delay_alu instid0(VALU_DEP_4) | instskip(NEXT) | instid1(VALU_DEP_1)
	v_add_nc_u32_e32 v77, v24, v23
	v_sub_nc_u32_e32 v75, v28, v77
	s_delay_alu instid0(VALU_DEP_1) | instskip(NEXT) | instid1(VALU_DEP_1)
	v_add_nc_u32_e32 v29, 2, v75
	v_cndmask_b32_e32 v20, v29, v24, vcc_lo
	v_sub_nc_u32_e32 v24, v71, v4
	v_cmp_eq_u32_e32 vcc_lo, 1, v22
	v_add_nc_u32_e32 v69, v25, v69
	v_lshlrev_b32_e32 v29, 2, v21
	ds_store_b32 v5, v16
	ds_store_b32 v29, v17
	v_cndmask_b32_e32 v22, v20, v23, vcc_lo
	v_sub_nc_u32_e32 v23, v25, v3
	v_add_nc_u32_e32 v24, v24, v1
	v_add_co_u32 v20, vcc_lo, v72, v4
	s_delay_alu instid0(VALU_DEP_4) | instskip(SKIP_1) | instid1(VALU_DEP_4)
	v_lshlrev_b32_e32 v5, 2, v22
	v_and_b32_e32 v22, 1, v35
	v_add_nc_u32_e32 v25, v23, v24
	v_add_co_ci_u32_e32 v21, vcc_lo, 0, v73, vcc_lo
	ds_store_b32 v5, v14
	v_cmp_eq_u32_e32 vcc_lo, 1, v22
	v_sub_nc_u32_e32 v17, v28, v25
	v_sub_nc_u32_e32 v29, v69, v3
	v_add_nc_u32_e32 v67, v69, v67
	s_delay_alu instid0(VALU_DEP_3) | instskip(NEXT) | instid1(VALU_DEP_2)
	v_add_nc_u32_e32 v17, 3, v17
	v_sub_nc_u32_e32 v30, v67, v3
	s_delay_alu instid0(VALU_DEP_2) | instskip(SKIP_2) | instid1(VALU_DEP_3)
	v_cndmask_b32_e32 v17, v17, v24, vcc_lo
	v_cmp_eq_u32_e32 vcc_lo, 1, v31
	v_and_b32_e32 v24, 1, v39
	v_cndmask_b32_e32 v14, v17, v23, vcc_lo
	v_add_nc_u32_e32 v70, v71, v70
	v_and_b32_e32 v23, 1, v38
	s_delay_alu instid0(VALU_DEP_3) | instskip(NEXT) | instid1(VALU_DEP_3)
	v_lshlrev_b32_e32 v14, 2, v14
	v_add_nc_u32_e32 v68, v70, v68
	v_sub_nc_u32_e32 v16, v70, v4
	ds_store_b32 v14, v15
	v_sub_nc_u32_e32 v25, v68, v4
	v_add_nc_u32_e32 v16, v16, v1
	s_delay_alu instid0(VALU_DEP_2) | instskip(NEXT) | instid1(VALU_DEP_2)
	v_add_nc_u32_e32 v25, v25, v1
	v_add_nc_u32_e32 v32, v29, v16
	s_delay_alu instid0(VALU_DEP_2) | instskip(NEXT) | instid1(VALU_DEP_2)
	v_add_nc_u32_e32 v22, v30, v25
	v_sub_nc_u32_e32 v5, v28, v32
	s_delay_alu instid0(VALU_DEP_2) | instskip(SKIP_1) | instid1(VALU_DEP_3)
	v_sub_nc_u32_e32 v17, v28, v22
	v_and_b32_e32 v22, 1, v37
	v_add_nc_u32_e32 v5, 4, v5
	s_delay_alu instid0(VALU_DEP_3) | instskip(NEXT) | instid1(VALU_DEP_3)
	v_add_nc_u32_e32 v17, 5, v17
	v_cmp_eq_u32_e32 vcc_lo, 1, v22
	s_delay_alu instid0(VALU_DEP_3)
	v_cndmask_b32_e32 v5, v5, v16, vcc_lo
	v_cmp_eq_u32_e32 vcc_lo, 1, v24
	v_and_b32_e32 v16, 1, v41
	v_cndmask_b32_e32 v17, v17, v25, vcc_lo
	v_cmp_eq_u32_e32 vcc_lo, 1, v23
	v_cndmask_b32_e32 v5, v5, v29, vcc_lo
	s_delay_alu instid0(VALU_DEP_4) | instskip(SKIP_1) | instid1(VALU_DEP_3)
	v_cmp_eq_u32_e32 vcc_lo, 1, v16
	v_add_nc_u32_e32 v66, v68, v66
	v_dual_cndmask_b32 v16, v17, v30 :: v_dual_lshlrev_b32 v5, 2, v5
	s_delay_alu instid0(VALU_DEP_2) | instskip(SKIP_1) | instid1(VALU_DEP_3)
	v_sub_nc_u32_e32 v22, v66, v4
	v_add_nc_u32_e32 v62, v66, v62
	v_lshlrev_b32_e32 v16, 2, v16
	ds_store_b32 v5, v12
	ds_store_b32 v16, v13
	v_and_b32_e32 v12, 1, v40
	v_add_nc_u32_e32 v22, v22, v1
	v_add_nc_u32_e32 v64, v62, v64
	v_sub_nc_u32_e32 v17, v62, v4
	v_and_b32_e32 v16, 1, v43
	v_cmp_eq_u32_e32 vcc_lo, 1, v12
	v_add_nc_u32_e32 v65, v67, v65
	v_sub_nc_u32_e32 v15, v64, v4
	v_add_nc_u32_e32 v17, v17, v1
	s_delay_alu instid0(VALU_DEP_3) | instskip(NEXT) | instid1(VALU_DEP_3)
	v_sub_nc_u32_e32 v23, v65, v3
	v_add_nc_u32_e32 v15, v15, v1
	s_delay_alu instid0(VALU_DEP_2) | instskip(NEXT) | instid1(VALU_DEP_1)
	v_add_nc_u32_e32 v24, v23, v22
	v_sub_nc_u32_e32 v14, v28, v24
	v_and_b32_e32 v24, 1, v48
	s_delay_alu instid0(VALU_DEP_2) | instskip(SKIP_1) | instid1(VALU_DEP_2)
	v_add_nc_u32_e32 v13, 6, v14
	v_and_b32_e32 v14, 1, v42
	v_cndmask_b32_e32 v12, v13, v22, vcc_lo
	v_add_nc_u32_e32 v61, v65, v61
	s_delay_alu instid0(VALU_DEP_3) | instskip(SKIP_1) | instid1(VALU_DEP_3)
	v_cmp_eq_u32_e32 vcc_lo, 1, v14
	v_and_b32_e32 v22, 1, v44
	v_sub_nc_u32_e32 v25, v61, v3
	v_add_nc_u32_e32 v63, v61, v63
	v_cndmask_b32_e32 v12, v12, v23, vcc_lo
	v_cmp_eq_u32_e32 vcc_lo, 1, v16
	v_and_b32_e32 v23, 1, v46
	v_add_nc_u32_e32 v5, v25, v17
	v_sub_nc_u32_e32 v13, v63, v3
	v_lshlrev_b32_e32 v12, 2, v12
	v_add_nc_u32_e32 v59, v63, v59
	s_delay_alu instid0(VALU_DEP_4) | instskip(NEXT) | instid1(VALU_DEP_4)
	v_sub_nc_u32_e32 v5, v28, v5
	v_add_nc_u32_e32 v14, v13, v15
	s_delay_alu instid0(VALU_DEP_3) | instskip(NEXT) | instid1(VALU_DEP_3)
	v_add_nc_u32_e32 v57, v59, v57
	v_add_nc_u32_e32 v5, 7, v5
	s_delay_alu instid0(VALU_DEP_3) | instskip(NEXT) | instid1(VALU_DEP_3)
	v_sub_nc_u32_e32 v14, v28, v14
	v_add_nc_u32_e32 v55, v57, v55
	s_delay_alu instid0(VALU_DEP_3)
	v_cndmask_b32_e32 v5, v5, v17, vcc_lo
	v_cmp_eq_u32_e32 vcc_lo, 1, v22
	v_and_b32_e32 v17, 1, v45
	v_add_nc_u32_e32 v14, 8, v14
	v_sub_nc_u32_e32 v22, v59, v3
	v_add_nc_u32_e32 v53, v55, v53
	v_cndmask_b32_e32 v5, v5, v25, vcc_lo
	v_cmp_eq_u32_e32 vcc_lo, 1, v17
	v_sub_nc_u32_e32 v17, v55, v3
	v_and_b32_e32 v25, 1, v52
	s_delay_alu instid0(VALU_DEP_4)
	v_dual_cndmask_b32 v14, v14, v15 :: v_dual_lshlrev_b32 v5, 2, v5
	v_cmp_eq_u32_e32 vcc_lo, 1, v23
	v_add_nc_u32_e32 v60, v64, v60
	ds_store_b32 v12, v10
	ds_store_b32 v5, v11
	v_and_b32_e32 v11, 1, v49
	v_cndmask_b32_e32 v5, v14, v13, vcc_lo
	v_sub_nc_u32_e32 v16, v60, v4
	v_add_nc_u32_e32 v58, v60, v58
	v_and_b32_e32 v13, 1, v47
	s_delay_alu instid0(VALU_DEP_4) | instskip(NEXT) | instid1(VALU_DEP_4)
	v_lshlrev_b32_e32 v5, 2, v5
	v_add_nc_u32_e32 v16, v16, v1
	s_delay_alu instid0(VALU_DEP_4) | instskip(SKIP_2) | instid1(VALU_DEP_4)
	v_add_nc_u32_e32 v56, v58, v56
	v_sub_nc_u32_e32 v12, v58, v4
	v_cmp_eq_u32_e32 vcc_lo, 1, v13
	v_add_nc_u32_e32 v15, v22, v16
	s_delay_alu instid0(VALU_DEP_4) | instskip(NEXT) | instid1(VALU_DEP_4)
	v_sub_nc_u32_e32 v14, v56, v4
	v_add_nc_u32_e32 v12, v12, v1
	v_add_nc_u32_e32 v54, v56, v54
	s_delay_alu instid0(VALU_DEP_4) | instskip(SKIP_2) | instid1(VALU_DEP_4)
	v_sub_nc_u32_e32 v10, v28, v15
	v_sub_nc_u32_e32 v15, v57, v3
	v_add_nc_u32_e32 v14, v14, v1
	v_sub_nc_u32_e32 v23, v54, v4
	v_sub_nc_u32_e32 v3, v53, v3
	v_add_nc_u32_e32 v10, 9, v10
	v_add_nc_u32_e32 v13, v15, v12
	s_delay_alu instid0(VALU_DEP_2) | instskip(SKIP_2) | instid1(VALU_DEP_4)
	v_dual_cndmask_b32 v10, v10, v16 :: v_dual_add_nc_u32 v23, v23, v1
	v_add_nc_u32_e32 v16, v17, v14
	v_cmp_eq_u32_e32 vcc_lo, 1, v11
	v_sub_nc_u32_e32 v11, v28, v13
	v_and_b32_e32 v13, 1, v50
	s_delay_alu instid0(VALU_DEP_4) | instskip(NEXT) | instid1(VALU_DEP_3)
	v_sub_nc_u32_e32 v16, v28, v16
	v_dual_cndmask_b32 v10, v10, v22 :: v_dual_add_nc_u32 v11, 10, v11
	v_cmp_eq_u32_e32 vcc_lo, 1, v24
	v_add_nc_u32_e32 v22, v3, v23
	s_delay_alu instid0(VALU_DEP_4) | instskip(NEXT) | instid1(VALU_DEP_4)
	v_add_nc_u32_e32 v16, 11, v16
	v_dual_cndmask_b32 v11, v11, v12 :: v_dual_lshlrev_b32 v10, 2, v10
	v_cmp_eq_u32_e32 vcc_lo, 1, v25
	s_delay_alu instid0(VALU_DEP_4) | instskip(SKIP_3) | instid1(VALU_DEP_4)
	v_sub_nc_u32_e32 v22, v28, v22
	v_and_b32_e32 v12, 1, v51
	v_cndmask_b32_e32 v14, v16, v14, vcc_lo
	v_cmp_eq_u32_e32 vcc_lo, 1, v13
	v_dual_cndmask_b32 v11, v11, v15 :: v_dual_add_nc_u32 v16, 12, v22
	s_delay_alu instid0(VALU_DEP_4) | instskip(NEXT) | instid1(VALU_DEP_2)
	v_cmp_eq_u32_e32 vcc_lo, 1, v12
	v_cndmask_b32_e64 v13, v16, v23, s43
	s_delay_alu instid0(VALU_DEP_3) | instskip(NEXT) | instid1(VALU_DEP_2)
	v_dual_cndmask_b32 v12, v14, v17 :: v_dual_lshlrev_b32 v11, 2, v11
	v_cndmask_b32_e64 v3, v13, v3, s42
	s_delay_alu instid0(VALU_DEP_2)
	v_lshlrev_b32_e32 v12, 2, v12
	ds_store_b32 v5, v8
	ds_store_b32 v10, v9
	;; [unrolled: 1-line block ×4, first 2 shown]
	v_lshlrev_b32_e32 v3, 2, v3
	v_add_co_u32 v5, s0, v2, v74
	s_delay_alu instid0(VALU_DEP_1) | instskip(SKIP_4) | instid1(VALU_DEP_2)
	v_add_co_ci_u32_e64 v6, null, 0, 0, s0
	ds_store_b32 v3, v27
	v_add_co_u32 v3, vcc_lo, v5, v20
	v_add_co_ci_u32_e32 v5, vcc_lo, v6, v21, vcc_lo
	s_add_u32 s0, s34, s33
	v_add_co_u32 v3, vcc_lo, v3, v18
	s_delay_alu instid0(VALU_DEP_2) | instskip(SKIP_1) | instid1(VALU_DEP_2)
	v_add_co_ci_u32_e32 v5, vcc_lo, v5, v19, vcc_lo
	s_addc_u32 s1, s35, 0
	v_sub_co_u32 v3, vcc_lo, s0, v3
	s_delay_alu instid0(VALU_DEP_2)
	v_sub_co_ci_u32_e32 v9, vcc_lo, s1, v5, vcc_lo
	v_lshlrev_b64 v[5:6], 2, v[20:21]
	v_lshlrev_b64 v[7:8], 2, v[18:19]
	v_add_nc_u32_e32 v10, v1, v2
	s_add_u32 s1, s26, -4
	s_waitcnt lgkmcnt(0)
	s_barrier
	v_add_co_u32 v5, vcc_lo, s38, v5
	v_add_co_ci_u32_e32 v6, vcc_lo, s39, v6, vcc_lo
	v_cmp_ne_u32_e32 vcc_lo, 1, v26
	v_add_co_u32 v7, s0, s36, v7
	s_delay_alu instid0(VALU_DEP_1)
	v_add_co_ci_u32_e64 v8, s0, s37, v8, s0
	s_addc_u32 s0, s27, -1
	buffer_gl0_inv
	s_cbranch_vccz .LBB1474_128
; %bb.125:
	s_and_b32 vcc_lo, exec_lo, s2
	s_cbranch_vccnz .LBB1474_233
.LBB1474_126:
	v_cmp_eq_u32_e32 vcc_lo, 0, v0
	s_and_b32 s0, vcc_lo, s14
	s_delay_alu instid0(SALU_CYCLE_1)
	s_and_saveexec_b32 s1, s0
	s_cbranch_execnz .LBB1474_351
.LBB1474_127:
	s_nop 0
	s_sendmsg sendmsg(MSG_DEALLOC_VGPRS)
	s_endpgm
.LBB1474_128:
	s_mov_b32 s2, exec_lo
	v_cmpx_le_u32_e64 v1, v0
	s_xor_b32 s2, exec_lo, s2
	s_cbranch_execz .LBB1474_134
; %bb.129:
	s_mov_b32 s4, exec_lo
	v_cmpx_le_u32_e64 v10, v0
	s_xor_b32 s4, exec_lo, s4
	s_cbranch_execz .LBB1474_131
; %bb.130:
	v_lshlrev_b32_e32 v11, 2, v0
	ds_load_b32 v13, v11
	v_add_co_u32 v11, vcc_lo, v3, v0
	v_add_co_ci_u32_e32 v12, vcc_lo, 0, v9, vcc_lo
	s_delay_alu instid0(VALU_DEP_1) | instskip(NEXT) | instid1(VALU_DEP_1)
	v_lshlrev_b64 v[11:12], 2, v[11:12]
	v_sub_co_u32 v11, vcc_lo, s26, v11
	s_delay_alu instid0(VALU_DEP_2)
	v_sub_co_ci_u32_e32 v12, vcc_lo, s27, v12, vcc_lo
	s_waitcnt lgkmcnt(0)
	global_store_b32 v[11:12], v13, off offset:-4
.LBB1474_131:
	s_and_not1_saveexec_b32 s4, s4
	s_cbranch_execz .LBB1474_133
; %bb.132:
	v_lshlrev_b32_e32 v11, 2, v0
	v_readfirstlane_b32 s6, v5
	v_readfirstlane_b32 s7, v6
	ds_load_b32 v12, v11
	s_waitcnt lgkmcnt(0)
	global_store_b32 v11, v12, s[6:7]
.LBB1474_133:
	s_or_b32 exec_lo, exec_lo, s4
.LBB1474_134:
	s_and_not1_saveexec_b32 s2, s2
	s_cbranch_execz .LBB1474_136
; %bb.135:
	v_lshlrev_b32_e32 v11, 2, v0
	v_readfirstlane_b32 s4, v7
	v_readfirstlane_b32 s5, v8
	ds_load_b32 v12, v11
	s_waitcnt lgkmcnt(0)
	global_store_b32 v11, v12, s[4:5]
.LBB1474_136:
	s_or_b32 exec_lo, exec_lo, s2
	v_or_b32_e32 v11, 0x100, v0
	s_mov_b32 s2, exec_lo
	s_delay_alu instid0(VALU_DEP_1)
	v_cmpx_le_u32_e64 v1, v11
	s_xor_b32 s2, exec_lo, s2
	s_cbranch_execz .LBB1474_142
; %bb.137:
	s_mov_b32 s4, exec_lo
	v_cmpx_le_u32_e64 v10, v11
	s_xor_b32 s4, exec_lo, s4
	s_cbranch_execz .LBB1474_139
; %bb.138:
	v_lshlrev_b32_e32 v11, 2, v0
	ds_load_b32 v13, v11 offset:1024
	v_add_co_u32 v11, vcc_lo, v3, v0
	v_add_co_ci_u32_e32 v12, vcc_lo, 0, v9, vcc_lo
	s_delay_alu instid0(VALU_DEP_1) | instskip(NEXT) | instid1(VALU_DEP_1)
	v_lshlrev_b64 v[11:12], 2, v[11:12]
	v_sub_co_u32 v11, vcc_lo, s1, v11
	s_delay_alu instid0(VALU_DEP_2)
	v_sub_co_ci_u32_e32 v12, vcc_lo, s0, v12, vcc_lo
	s_waitcnt lgkmcnt(0)
	global_store_b32 v[11:12], v13, off offset:-1024
.LBB1474_139:
	s_and_not1_saveexec_b32 s4, s4
	s_cbranch_execz .LBB1474_141
; %bb.140:
	v_lshlrev_b32_e32 v11, 2, v0
	v_readfirstlane_b32 s6, v5
	v_readfirstlane_b32 s7, v6
	ds_load_b32 v12, v11 offset:1024
	s_waitcnt lgkmcnt(0)
	global_store_b32 v11, v12, s[6:7] offset:1024
.LBB1474_141:
	s_or_b32 exec_lo, exec_lo, s4
.LBB1474_142:
	s_and_not1_saveexec_b32 s2, s2
	s_cbranch_execz .LBB1474_144
; %bb.143:
	v_lshlrev_b32_e32 v11, 2, v0
	v_readfirstlane_b32 s4, v7
	v_readfirstlane_b32 s5, v8
	ds_load_b32 v12, v11 offset:1024
	s_waitcnt lgkmcnt(0)
	global_store_b32 v11, v12, s[4:5] offset:1024
.LBB1474_144:
	s_or_b32 exec_lo, exec_lo, s2
	v_or_b32_e32 v11, 0x200, v0
	s_mov_b32 s2, exec_lo
	s_delay_alu instid0(VALU_DEP_1)
	v_cmpx_le_u32_e64 v1, v11
	s_xor_b32 s2, exec_lo, s2
	s_cbranch_execz .LBB1474_150
; %bb.145:
	s_mov_b32 s4, exec_lo
	v_cmpx_le_u32_e64 v10, v11
	s_xor_b32 s4, exec_lo, s4
	s_cbranch_execz .LBB1474_147
; %bb.146:
	v_lshlrev_b32_e32 v11, 2, v0
	ds_load_b32 v13, v11 offset:2048
	v_add_co_u32 v11, vcc_lo, v3, v0
	v_add_co_ci_u32_e32 v12, vcc_lo, 0, v9, vcc_lo
	s_delay_alu instid0(VALU_DEP_1) | instskip(NEXT) | instid1(VALU_DEP_1)
	v_lshlrev_b64 v[11:12], 2, v[11:12]
	v_sub_co_u32 v11, vcc_lo, s1, v11
	s_delay_alu instid0(VALU_DEP_2)
	v_sub_co_ci_u32_e32 v12, vcc_lo, s0, v12, vcc_lo
	s_waitcnt lgkmcnt(0)
	global_store_b32 v[11:12], v13, off offset:-2048
.LBB1474_147:
	s_and_not1_saveexec_b32 s4, s4
	s_cbranch_execz .LBB1474_149
; %bb.148:
	v_lshlrev_b32_e32 v11, 2, v0
	v_readfirstlane_b32 s6, v5
	v_readfirstlane_b32 s7, v6
	ds_load_b32 v12, v11 offset:2048
	s_waitcnt lgkmcnt(0)
	global_store_b32 v11, v12, s[6:7] offset:2048
.LBB1474_149:
	s_or_b32 exec_lo, exec_lo, s4
.LBB1474_150:
	s_and_not1_saveexec_b32 s2, s2
	s_cbranch_execz .LBB1474_152
; %bb.151:
	v_lshlrev_b32_e32 v11, 2, v0
	v_readfirstlane_b32 s4, v7
	v_readfirstlane_b32 s5, v8
	ds_load_b32 v12, v11 offset:2048
	s_waitcnt lgkmcnt(0)
	global_store_b32 v11, v12, s[4:5] offset:2048
.LBB1474_152:
	;; [unrolled: 47-line block ×3, first 2 shown]
	s_or_b32 exec_lo, exec_lo, s2
	v_or_b32_e32 v11, 0x400, v0
	s_mov_b32 s2, exec_lo
	s_delay_alu instid0(VALU_DEP_1)
	v_cmpx_le_u32_e64 v1, v11
	s_xor_b32 s2, exec_lo, s2
	s_cbranch_execz .LBB1474_166
; %bb.161:
	s_mov_b32 s4, exec_lo
	v_cmpx_le_u32_e64 v10, v11
	s_xor_b32 s4, exec_lo, s4
	s_cbranch_execz .LBB1474_163
; %bb.162:
	v_lshlrev_b32_e32 v11, 2, v0
	ds_load_b32 v13, v11 offset:4096
	v_add_co_u32 v11, vcc_lo, v3, v0
	v_add_co_ci_u32_e32 v12, vcc_lo, 0, v9, vcc_lo
	s_delay_alu instid0(VALU_DEP_1) | instskip(NEXT) | instid1(VALU_DEP_1)
	v_lshlrev_b64 v[11:12], 2, v[11:12]
	v_sub_co_u32 v11, vcc_lo, s1, v11
	s_delay_alu instid0(VALU_DEP_2)
	v_sub_co_ci_u32_e32 v12, vcc_lo, s0, v12, vcc_lo
	s_waitcnt lgkmcnt(0)
	global_store_b32 v[11:12], v13, off offset:-4096
                                        ; implicit-def: $vgpr11
.LBB1474_163:
	s_and_not1_saveexec_b32 s4, s4
	s_cbranch_execz .LBB1474_165
; %bb.164:
	v_lshlrev_b32_e32 v12, 2, v0
	v_lshlrev_b32_e32 v11, 2, v11
	v_readfirstlane_b32 s6, v5
	v_readfirstlane_b32 s7, v6
	ds_load_b32 v12, v12 offset:4096
	s_waitcnt lgkmcnt(0)
	global_store_b32 v11, v12, s[6:7]
.LBB1474_165:
	s_or_b32 exec_lo, exec_lo, s4
                                        ; implicit-def: $vgpr11
.LBB1474_166:
	s_and_not1_saveexec_b32 s2, s2
	s_cbranch_execz .LBB1474_168
; %bb.167:
	v_lshlrev_b32_e32 v12, 2, v0
	v_lshlrev_b32_e32 v11, 2, v11
	v_readfirstlane_b32 s4, v7
	v_readfirstlane_b32 s5, v8
	ds_load_b32 v12, v12 offset:4096
	s_waitcnt lgkmcnt(0)
	global_store_b32 v11, v12, s[4:5]
.LBB1474_168:
	s_or_b32 exec_lo, exec_lo, s2
	v_or_b32_e32 v11, 0x500, v0
	s_mov_b32 s2, exec_lo
	s_delay_alu instid0(VALU_DEP_1)
	v_cmpx_le_u32_e64 v1, v11
	s_xor_b32 s2, exec_lo, s2
	s_cbranch_execz .LBB1474_174
; %bb.169:
	s_mov_b32 s4, exec_lo
	v_cmpx_le_u32_e64 v10, v11
	s_xor_b32 s4, exec_lo, s4
	s_cbranch_execz .LBB1474_171
; %bb.170:
	v_lshlrev_b32_e32 v12, 2, v0
	v_add_co_u32 v11, vcc_lo, v3, v11
	ds_load_b32 v13, v12 offset:5120
	v_add_co_ci_u32_e32 v12, vcc_lo, 0, v9, vcc_lo
	s_delay_alu instid0(VALU_DEP_1) | instskip(NEXT) | instid1(VALU_DEP_1)
	v_lshlrev_b64 v[11:12], 2, v[11:12]
	v_sub_co_u32 v11, vcc_lo, s1, v11
	s_delay_alu instid0(VALU_DEP_2)
	v_sub_co_ci_u32_e32 v12, vcc_lo, s0, v12, vcc_lo
	s_waitcnt lgkmcnt(0)
	global_store_b32 v[11:12], v13, off
                                        ; implicit-def: $vgpr11
.LBB1474_171:
	s_and_not1_saveexec_b32 s4, s4
	s_cbranch_execz .LBB1474_173
; %bb.172:
	v_lshlrev_b32_e32 v12, 2, v0
	v_lshlrev_b32_e32 v11, 2, v11
	v_readfirstlane_b32 s6, v5
	v_readfirstlane_b32 s7, v6
	ds_load_b32 v12, v12 offset:5120
	s_waitcnt lgkmcnt(0)
	global_store_b32 v11, v12, s[6:7]
.LBB1474_173:
	s_or_b32 exec_lo, exec_lo, s4
                                        ; implicit-def: $vgpr11
.LBB1474_174:
	s_and_not1_saveexec_b32 s2, s2
	s_cbranch_execz .LBB1474_176
; %bb.175:
	v_lshlrev_b32_e32 v12, 2, v0
	v_lshlrev_b32_e32 v11, 2, v11
	v_readfirstlane_b32 s4, v7
	v_readfirstlane_b32 s5, v8
	ds_load_b32 v12, v12 offset:5120
	s_waitcnt lgkmcnt(0)
	global_store_b32 v11, v12, s[4:5]
.LBB1474_176:
	s_or_b32 exec_lo, exec_lo, s2
	v_or_b32_e32 v11, 0x600, v0
	s_mov_b32 s2, exec_lo
	s_delay_alu instid0(VALU_DEP_1)
	v_cmpx_le_u32_e64 v1, v11
	s_xor_b32 s2, exec_lo, s2
	s_cbranch_execz .LBB1474_182
; %bb.177:
	s_mov_b32 s4, exec_lo
	v_cmpx_le_u32_e64 v10, v11
	s_xor_b32 s4, exec_lo, s4
	s_cbranch_execz .LBB1474_179
; %bb.178:
	v_lshlrev_b32_e32 v12, 2, v0
	v_add_co_u32 v11, vcc_lo, v3, v11
	ds_load_b32 v13, v12 offset:6144
	v_add_co_ci_u32_e32 v12, vcc_lo, 0, v9, vcc_lo
	s_delay_alu instid0(VALU_DEP_1) | instskip(NEXT) | instid1(VALU_DEP_1)
	v_lshlrev_b64 v[11:12], 2, v[11:12]
	v_sub_co_u32 v11, vcc_lo, s1, v11
	s_delay_alu instid0(VALU_DEP_2)
	v_sub_co_ci_u32_e32 v12, vcc_lo, s0, v12, vcc_lo
	s_waitcnt lgkmcnt(0)
	global_store_b32 v[11:12], v13, off
                                        ; implicit-def: $vgpr11
.LBB1474_179:
	s_and_not1_saveexec_b32 s4, s4
	s_cbranch_execz .LBB1474_181
; %bb.180:
	v_lshlrev_b32_e32 v12, 2, v0
	v_lshlrev_b32_e32 v11, 2, v11
	v_readfirstlane_b32 s6, v5
	v_readfirstlane_b32 s7, v6
	ds_load_b32 v12, v12 offset:6144
	s_waitcnt lgkmcnt(0)
	global_store_b32 v11, v12, s[6:7]
.LBB1474_181:
	s_or_b32 exec_lo, exec_lo, s4
                                        ; implicit-def: $vgpr11
.LBB1474_182:
	;; [unrolled: 51-line block ×8, first 2 shown]
	s_and_not1_saveexec_b32 s2, s2
	s_cbranch_execz .LBB1474_232
; %bb.231:
	v_lshlrev_b32_e32 v12, 2, v0
	v_lshlrev_b32_e32 v11, 2, v11
	v_readfirstlane_b32 s4, v7
	v_readfirstlane_b32 s5, v8
	ds_load_b32 v12, v12 offset:12288
	s_waitcnt lgkmcnt(0)
	global_store_b32 v11, v12, s[4:5]
.LBB1474_232:
	s_or_b32 exec_lo, exec_lo, s2
	s_branch .LBB1474_126
.LBB1474_233:
	s_mov_b32 s2, exec_lo
	v_cmpx_gt_u32_e64 s3, v0
	s_cbranch_execz .LBB1474_242
; %bb.234:
	s_mov_b32 s4, exec_lo
	v_cmpx_le_u32_e64 v1, v0
	s_xor_b32 s4, exec_lo, s4
	s_cbranch_execz .LBB1474_240
; %bb.235:
	s_mov_b32 s5, exec_lo
	v_cmpx_le_u32_e64 v10, v0
	s_xor_b32 s5, exec_lo, s5
	s_cbranch_execz .LBB1474_237
; %bb.236:
	v_lshlrev_b32_e32 v11, 2, v0
	ds_load_b32 v13, v11
	v_add_co_u32 v11, vcc_lo, v3, v0
	v_add_co_ci_u32_e32 v12, vcc_lo, 0, v9, vcc_lo
	s_delay_alu instid0(VALU_DEP_1) | instskip(NEXT) | instid1(VALU_DEP_1)
	v_lshlrev_b64 v[11:12], 2, v[11:12]
	v_sub_co_u32 v11, vcc_lo, s26, v11
	s_delay_alu instid0(VALU_DEP_2)
	v_sub_co_ci_u32_e32 v12, vcc_lo, s27, v12, vcc_lo
	s_waitcnt lgkmcnt(0)
	global_store_b32 v[11:12], v13, off offset:-4
.LBB1474_237:
	s_and_not1_saveexec_b32 s5, s5
	s_cbranch_execz .LBB1474_239
; %bb.238:
	v_lshlrev_b32_e32 v11, 2, v0
	v_readfirstlane_b32 s6, v5
	v_readfirstlane_b32 s7, v6
	ds_load_b32 v12, v11
	s_waitcnt lgkmcnt(0)
	global_store_b32 v11, v12, s[6:7]
.LBB1474_239:
	s_or_b32 exec_lo, exec_lo, s5
.LBB1474_240:
	s_and_not1_saveexec_b32 s4, s4
	s_cbranch_execz .LBB1474_242
; %bb.241:
	v_lshlrev_b32_e32 v11, 2, v0
	v_readfirstlane_b32 s4, v7
	v_readfirstlane_b32 s5, v8
	ds_load_b32 v12, v11
	s_waitcnt lgkmcnt(0)
	global_store_b32 v11, v12, s[4:5]
.LBB1474_242:
	s_or_b32 exec_lo, exec_lo, s2
	v_or_b32_e32 v11, 0x100, v0
	s_mov_b32 s2, exec_lo
	s_delay_alu instid0(VALU_DEP_1)
	v_cmpx_gt_u32_e64 s3, v11
	s_cbranch_execz .LBB1474_251
; %bb.243:
	s_mov_b32 s4, exec_lo
	v_cmpx_le_u32_e64 v1, v11
	s_xor_b32 s4, exec_lo, s4
	s_cbranch_execz .LBB1474_249
; %bb.244:
	s_mov_b32 s5, exec_lo
	v_cmpx_le_u32_e64 v10, v11
	s_xor_b32 s5, exec_lo, s5
	s_cbranch_execz .LBB1474_246
; %bb.245:
	v_lshlrev_b32_e32 v11, 2, v0
	ds_load_b32 v13, v11 offset:1024
	v_add_co_u32 v11, vcc_lo, v3, v0
	v_add_co_ci_u32_e32 v12, vcc_lo, 0, v9, vcc_lo
	s_delay_alu instid0(VALU_DEP_1) | instskip(NEXT) | instid1(VALU_DEP_1)
	v_lshlrev_b64 v[11:12], 2, v[11:12]
	v_sub_co_u32 v11, vcc_lo, s1, v11
	s_delay_alu instid0(VALU_DEP_2)
	v_sub_co_ci_u32_e32 v12, vcc_lo, s0, v12, vcc_lo
	s_waitcnt lgkmcnt(0)
	global_store_b32 v[11:12], v13, off offset:-1024
.LBB1474_246:
	s_and_not1_saveexec_b32 s5, s5
	s_cbranch_execz .LBB1474_248
; %bb.247:
	v_lshlrev_b32_e32 v11, 2, v0
	v_readfirstlane_b32 s6, v5
	v_readfirstlane_b32 s7, v6
	ds_load_b32 v12, v11 offset:1024
	s_waitcnt lgkmcnt(0)
	global_store_b32 v11, v12, s[6:7] offset:1024
.LBB1474_248:
	s_or_b32 exec_lo, exec_lo, s5
.LBB1474_249:
	s_and_not1_saveexec_b32 s4, s4
	s_cbranch_execz .LBB1474_251
; %bb.250:
	v_lshlrev_b32_e32 v11, 2, v0
	v_readfirstlane_b32 s4, v7
	v_readfirstlane_b32 s5, v8
	ds_load_b32 v12, v11 offset:1024
	s_waitcnt lgkmcnt(0)
	global_store_b32 v11, v12, s[4:5] offset:1024
.LBB1474_251:
	s_or_b32 exec_lo, exec_lo, s2
	v_or_b32_e32 v11, 0x200, v0
	s_mov_b32 s2, exec_lo
	s_delay_alu instid0(VALU_DEP_1)
	v_cmpx_gt_u32_e64 s3, v11
	s_cbranch_execz .LBB1474_260
; %bb.252:
	s_mov_b32 s4, exec_lo
	v_cmpx_le_u32_e64 v1, v11
	s_xor_b32 s4, exec_lo, s4
	s_cbranch_execz .LBB1474_258
; %bb.253:
	s_mov_b32 s5, exec_lo
	v_cmpx_le_u32_e64 v10, v11
	s_xor_b32 s5, exec_lo, s5
	s_cbranch_execz .LBB1474_255
; %bb.254:
	v_lshlrev_b32_e32 v11, 2, v0
	ds_load_b32 v13, v11 offset:2048
	v_add_co_u32 v11, vcc_lo, v3, v0
	v_add_co_ci_u32_e32 v12, vcc_lo, 0, v9, vcc_lo
	s_delay_alu instid0(VALU_DEP_1) | instskip(NEXT) | instid1(VALU_DEP_1)
	v_lshlrev_b64 v[11:12], 2, v[11:12]
	v_sub_co_u32 v11, vcc_lo, s1, v11
	s_delay_alu instid0(VALU_DEP_2)
	v_sub_co_ci_u32_e32 v12, vcc_lo, s0, v12, vcc_lo
	s_waitcnt lgkmcnt(0)
	global_store_b32 v[11:12], v13, off offset:-2048
.LBB1474_255:
	s_and_not1_saveexec_b32 s5, s5
	s_cbranch_execz .LBB1474_257
; %bb.256:
	v_lshlrev_b32_e32 v11, 2, v0
	v_readfirstlane_b32 s6, v5
	v_readfirstlane_b32 s7, v6
	ds_load_b32 v12, v11 offset:2048
	s_waitcnt lgkmcnt(0)
	global_store_b32 v11, v12, s[6:7] offset:2048
.LBB1474_257:
	s_or_b32 exec_lo, exec_lo, s5
.LBB1474_258:
	s_and_not1_saveexec_b32 s4, s4
	s_cbranch_execz .LBB1474_260
; %bb.259:
	v_lshlrev_b32_e32 v11, 2, v0
	v_readfirstlane_b32 s4, v7
	v_readfirstlane_b32 s5, v8
	ds_load_b32 v12, v11 offset:2048
	s_waitcnt lgkmcnt(0)
	global_store_b32 v11, v12, s[4:5] offset:2048
.LBB1474_260:
	;; [unrolled: 51-line block ×3, first 2 shown]
	s_or_b32 exec_lo, exec_lo, s2
	v_or_b32_e32 v11, 0x400, v0
	s_mov_b32 s2, exec_lo
	s_delay_alu instid0(VALU_DEP_1)
	v_cmpx_gt_u32_e64 s3, v11
	s_cbranch_execz .LBB1474_278
; %bb.270:
	s_mov_b32 s4, exec_lo
	v_cmpx_le_u32_e64 v1, v11
	s_xor_b32 s4, exec_lo, s4
	s_cbranch_execz .LBB1474_276
; %bb.271:
	s_mov_b32 s5, exec_lo
	v_cmpx_le_u32_e64 v10, v11
	s_xor_b32 s5, exec_lo, s5
	s_cbranch_execz .LBB1474_273
; %bb.272:
	v_lshlrev_b32_e32 v11, 2, v0
	ds_load_b32 v13, v11 offset:4096
	v_add_co_u32 v11, vcc_lo, v3, v0
	v_add_co_ci_u32_e32 v12, vcc_lo, 0, v9, vcc_lo
	s_delay_alu instid0(VALU_DEP_1) | instskip(NEXT) | instid1(VALU_DEP_1)
	v_lshlrev_b64 v[11:12], 2, v[11:12]
	v_sub_co_u32 v11, vcc_lo, s1, v11
	s_delay_alu instid0(VALU_DEP_2)
	v_sub_co_ci_u32_e32 v12, vcc_lo, s0, v12, vcc_lo
	s_waitcnt lgkmcnt(0)
	global_store_b32 v[11:12], v13, off offset:-4096
                                        ; implicit-def: $vgpr11
.LBB1474_273:
	s_and_not1_saveexec_b32 s5, s5
	s_cbranch_execz .LBB1474_275
; %bb.274:
	v_lshlrev_b32_e32 v12, 2, v0
	v_lshlrev_b32_e32 v11, 2, v11
	v_readfirstlane_b32 s6, v5
	v_readfirstlane_b32 s7, v6
	ds_load_b32 v12, v12 offset:4096
	s_waitcnt lgkmcnt(0)
	global_store_b32 v11, v12, s[6:7]
.LBB1474_275:
	s_or_b32 exec_lo, exec_lo, s5
                                        ; implicit-def: $vgpr11
.LBB1474_276:
	s_and_not1_saveexec_b32 s4, s4
	s_cbranch_execz .LBB1474_278
; %bb.277:
	v_lshlrev_b32_e32 v12, 2, v0
	v_lshlrev_b32_e32 v11, 2, v11
	v_readfirstlane_b32 s4, v7
	v_readfirstlane_b32 s5, v8
	ds_load_b32 v12, v12 offset:4096
	s_waitcnt lgkmcnt(0)
	global_store_b32 v11, v12, s[4:5]
.LBB1474_278:
	s_or_b32 exec_lo, exec_lo, s2
	v_or_b32_e32 v11, 0x500, v0
	s_mov_b32 s2, exec_lo
	s_delay_alu instid0(VALU_DEP_1)
	v_cmpx_gt_u32_e64 s3, v11
	s_cbranch_execz .LBB1474_287
; %bb.279:
	s_mov_b32 s4, exec_lo
	v_cmpx_le_u32_e64 v1, v11
	s_xor_b32 s4, exec_lo, s4
	s_cbranch_execz .LBB1474_285
; %bb.280:
	s_mov_b32 s5, exec_lo
	v_cmpx_le_u32_e64 v10, v11
	s_xor_b32 s5, exec_lo, s5
	s_cbranch_execz .LBB1474_282
; %bb.281:
	v_lshlrev_b32_e32 v12, 2, v0
	v_add_co_u32 v11, vcc_lo, v3, v11
	ds_load_b32 v13, v12 offset:5120
	v_add_co_ci_u32_e32 v12, vcc_lo, 0, v9, vcc_lo
	s_delay_alu instid0(VALU_DEP_1) | instskip(NEXT) | instid1(VALU_DEP_1)
	v_lshlrev_b64 v[11:12], 2, v[11:12]
	v_sub_co_u32 v11, vcc_lo, s1, v11
	s_delay_alu instid0(VALU_DEP_2)
	v_sub_co_ci_u32_e32 v12, vcc_lo, s0, v12, vcc_lo
	s_waitcnt lgkmcnt(0)
	global_store_b32 v[11:12], v13, off
                                        ; implicit-def: $vgpr11
.LBB1474_282:
	s_and_not1_saveexec_b32 s5, s5
	s_cbranch_execz .LBB1474_284
; %bb.283:
	v_lshlrev_b32_e32 v12, 2, v0
	v_lshlrev_b32_e32 v11, 2, v11
	v_readfirstlane_b32 s6, v5
	v_readfirstlane_b32 s7, v6
	ds_load_b32 v12, v12 offset:5120
	s_waitcnt lgkmcnt(0)
	global_store_b32 v11, v12, s[6:7]
.LBB1474_284:
	s_or_b32 exec_lo, exec_lo, s5
                                        ; implicit-def: $vgpr11
.LBB1474_285:
	s_and_not1_saveexec_b32 s4, s4
	s_cbranch_execz .LBB1474_287
; %bb.286:
	v_lshlrev_b32_e32 v12, 2, v0
	v_lshlrev_b32_e32 v11, 2, v11
	v_readfirstlane_b32 s4, v7
	v_readfirstlane_b32 s5, v8
	ds_load_b32 v12, v12 offset:5120
	s_waitcnt lgkmcnt(0)
	global_store_b32 v11, v12, s[4:5]
.LBB1474_287:
	s_or_b32 exec_lo, exec_lo, s2
	v_or_b32_e32 v11, 0x600, v0
	s_mov_b32 s2, exec_lo
	s_delay_alu instid0(VALU_DEP_1)
	v_cmpx_gt_u32_e64 s3, v11
	s_cbranch_execz .LBB1474_296
; %bb.288:
	s_mov_b32 s4, exec_lo
	v_cmpx_le_u32_e64 v1, v11
	s_xor_b32 s4, exec_lo, s4
	s_cbranch_execz .LBB1474_294
; %bb.289:
	s_mov_b32 s5, exec_lo
	v_cmpx_le_u32_e64 v10, v11
	s_xor_b32 s5, exec_lo, s5
	s_cbranch_execz .LBB1474_291
; %bb.290:
	v_lshlrev_b32_e32 v12, 2, v0
	v_add_co_u32 v11, vcc_lo, v3, v11
	ds_load_b32 v13, v12 offset:6144
	v_add_co_ci_u32_e32 v12, vcc_lo, 0, v9, vcc_lo
	s_delay_alu instid0(VALU_DEP_1) | instskip(NEXT) | instid1(VALU_DEP_1)
	v_lshlrev_b64 v[11:12], 2, v[11:12]
	v_sub_co_u32 v11, vcc_lo, s1, v11
	s_delay_alu instid0(VALU_DEP_2)
	v_sub_co_ci_u32_e32 v12, vcc_lo, s0, v12, vcc_lo
	s_waitcnt lgkmcnt(0)
	global_store_b32 v[11:12], v13, off
                                        ; implicit-def: $vgpr11
.LBB1474_291:
	s_and_not1_saveexec_b32 s5, s5
	s_cbranch_execz .LBB1474_293
; %bb.292:
	v_lshlrev_b32_e32 v12, 2, v0
	v_lshlrev_b32_e32 v11, 2, v11
	v_readfirstlane_b32 s6, v5
	v_readfirstlane_b32 s7, v6
	ds_load_b32 v12, v12 offset:6144
	s_waitcnt lgkmcnt(0)
	global_store_b32 v11, v12, s[6:7]
.LBB1474_293:
	s_or_b32 exec_lo, exec_lo, s5
                                        ; implicit-def: $vgpr11
.LBB1474_294:
	s_and_not1_saveexec_b32 s4, s4
	s_cbranch_execz .LBB1474_296
; %bb.295:
	v_lshlrev_b32_e32 v12, 2, v0
	v_lshlrev_b32_e32 v11, 2, v11
	v_readfirstlane_b32 s4, v7
	v_readfirstlane_b32 s5, v8
	ds_load_b32 v12, v12 offset:6144
	s_waitcnt lgkmcnt(0)
	global_store_b32 v11, v12, s[4:5]
.LBB1474_296:
	s_or_b32 exec_lo, exec_lo, s2
	v_or_b32_e32 v11, 0x700, v0
	s_mov_b32 s2, exec_lo
	s_delay_alu instid0(VALU_DEP_1)
	v_cmpx_gt_u32_e64 s3, v11
	s_cbranch_execz .LBB1474_305
; %bb.297:
	s_mov_b32 s4, exec_lo
	v_cmpx_le_u32_e64 v1, v11
	s_xor_b32 s4, exec_lo, s4
	s_cbranch_execz .LBB1474_303
; %bb.298:
	s_mov_b32 s5, exec_lo
	v_cmpx_le_u32_e64 v10, v11
	s_xor_b32 s5, exec_lo, s5
	s_cbranch_execz .LBB1474_300
; %bb.299:
	v_lshlrev_b32_e32 v12, 2, v0
	v_add_co_u32 v11, vcc_lo, v3, v11
	ds_load_b32 v13, v12 offset:7168
	v_add_co_ci_u32_e32 v12, vcc_lo, 0, v9, vcc_lo
	s_delay_alu instid0(VALU_DEP_1) | instskip(NEXT) | instid1(VALU_DEP_1)
	v_lshlrev_b64 v[11:12], 2, v[11:12]
	v_sub_co_u32 v11, vcc_lo, s1, v11
	s_delay_alu instid0(VALU_DEP_2)
	v_sub_co_ci_u32_e32 v12, vcc_lo, s0, v12, vcc_lo
	s_waitcnt lgkmcnt(0)
	global_store_b32 v[11:12], v13, off
                                        ; implicit-def: $vgpr11
.LBB1474_300:
	s_and_not1_saveexec_b32 s5, s5
	s_cbranch_execz .LBB1474_302
; %bb.301:
	v_lshlrev_b32_e32 v12, 2, v0
	v_lshlrev_b32_e32 v11, 2, v11
	v_readfirstlane_b32 s6, v5
	v_readfirstlane_b32 s7, v6
	ds_load_b32 v12, v12 offset:7168
	s_waitcnt lgkmcnt(0)
	global_store_b32 v11, v12, s[6:7]
.LBB1474_302:
	s_or_b32 exec_lo, exec_lo, s5
                                        ; implicit-def: $vgpr11
.LBB1474_303:
	s_and_not1_saveexec_b32 s4, s4
	s_cbranch_execz .LBB1474_305
; %bb.304:
	v_lshlrev_b32_e32 v12, 2, v0
	v_lshlrev_b32_e32 v11, 2, v11
	v_readfirstlane_b32 s4, v7
	v_readfirstlane_b32 s5, v8
	ds_load_b32 v12, v12 offset:7168
	s_waitcnt lgkmcnt(0)
	global_store_b32 v11, v12, s[4:5]
.LBB1474_305:
	s_or_b32 exec_lo, exec_lo, s2
	v_or_b32_e32 v11, 0x800, v0
	s_mov_b32 s2, exec_lo
	s_delay_alu instid0(VALU_DEP_1)
	v_cmpx_gt_u32_e64 s3, v11
	s_cbranch_execz .LBB1474_314
; %bb.306:
	s_mov_b32 s4, exec_lo
	v_cmpx_le_u32_e64 v1, v11
	s_xor_b32 s4, exec_lo, s4
	s_cbranch_execz .LBB1474_312
; %bb.307:
	s_mov_b32 s5, exec_lo
	v_cmpx_le_u32_e64 v10, v11
	s_xor_b32 s5, exec_lo, s5
	s_cbranch_execz .LBB1474_309
; %bb.308:
	v_lshlrev_b32_e32 v12, 2, v0
	v_add_co_u32 v11, vcc_lo, v3, v11
	ds_load_b32 v13, v12 offset:8192
	v_add_co_ci_u32_e32 v12, vcc_lo, 0, v9, vcc_lo
	s_delay_alu instid0(VALU_DEP_1) | instskip(NEXT) | instid1(VALU_DEP_1)
	v_lshlrev_b64 v[11:12], 2, v[11:12]
	v_sub_co_u32 v11, vcc_lo, s1, v11
	s_delay_alu instid0(VALU_DEP_2)
	v_sub_co_ci_u32_e32 v12, vcc_lo, s0, v12, vcc_lo
	s_waitcnt lgkmcnt(0)
	global_store_b32 v[11:12], v13, off
                                        ; implicit-def: $vgpr11
.LBB1474_309:
	s_and_not1_saveexec_b32 s5, s5
	s_cbranch_execz .LBB1474_311
; %bb.310:
	v_lshlrev_b32_e32 v12, 2, v0
	v_lshlrev_b32_e32 v11, 2, v11
	v_readfirstlane_b32 s6, v5
	v_readfirstlane_b32 s7, v6
	ds_load_b32 v12, v12 offset:8192
	s_waitcnt lgkmcnt(0)
	global_store_b32 v11, v12, s[6:7]
.LBB1474_311:
	s_or_b32 exec_lo, exec_lo, s5
                                        ; implicit-def: $vgpr11
.LBB1474_312:
	s_and_not1_saveexec_b32 s4, s4
	s_cbranch_execz .LBB1474_314
; %bb.313:
	v_lshlrev_b32_e32 v12, 2, v0
	v_lshlrev_b32_e32 v11, 2, v11
	v_readfirstlane_b32 s4, v7
	v_readfirstlane_b32 s5, v8
	ds_load_b32 v12, v12 offset:8192
	s_waitcnt lgkmcnt(0)
	global_store_b32 v11, v12, s[4:5]
.LBB1474_314:
	s_or_b32 exec_lo, exec_lo, s2
	v_or_b32_e32 v11, 0x900, v0
	s_mov_b32 s2, exec_lo
	s_delay_alu instid0(VALU_DEP_1)
	v_cmpx_gt_u32_e64 s3, v11
	s_cbranch_execz .LBB1474_323
; %bb.315:
	s_mov_b32 s4, exec_lo
	v_cmpx_le_u32_e64 v1, v11
	s_xor_b32 s4, exec_lo, s4
	s_cbranch_execz .LBB1474_321
; %bb.316:
	s_mov_b32 s5, exec_lo
	v_cmpx_le_u32_e64 v10, v11
	s_xor_b32 s5, exec_lo, s5
	s_cbranch_execz .LBB1474_318
; %bb.317:
	v_lshlrev_b32_e32 v12, 2, v0
	v_add_co_u32 v11, vcc_lo, v3, v11
	ds_load_b32 v13, v12 offset:9216
	v_add_co_ci_u32_e32 v12, vcc_lo, 0, v9, vcc_lo
	s_delay_alu instid0(VALU_DEP_1) | instskip(NEXT) | instid1(VALU_DEP_1)
	v_lshlrev_b64 v[11:12], 2, v[11:12]
	v_sub_co_u32 v11, vcc_lo, s1, v11
	s_delay_alu instid0(VALU_DEP_2)
	v_sub_co_ci_u32_e32 v12, vcc_lo, s0, v12, vcc_lo
	s_waitcnt lgkmcnt(0)
	global_store_b32 v[11:12], v13, off
                                        ; implicit-def: $vgpr11
.LBB1474_318:
	s_and_not1_saveexec_b32 s5, s5
	s_cbranch_execz .LBB1474_320
; %bb.319:
	v_lshlrev_b32_e32 v12, 2, v0
	v_lshlrev_b32_e32 v11, 2, v11
	v_readfirstlane_b32 s6, v5
	v_readfirstlane_b32 s7, v6
	ds_load_b32 v12, v12 offset:9216
	s_waitcnt lgkmcnt(0)
	global_store_b32 v11, v12, s[6:7]
.LBB1474_320:
	s_or_b32 exec_lo, exec_lo, s5
                                        ; implicit-def: $vgpr11
.LBB1474_321:
	s_and_not1_saveexec_b32 s4, s4
	s_cbranch_execz .LBB1474_323
; %bb.322:
	v_lshlrev_b32_e32 v12, 2, v0
	v_lshlrev_b32_e32 v11, 2, v11
	v_readfirstlane_b32 s4, v7
	v_readfirstlane_b32 s5, v8
	ds_load_b32 v12, v12 offset:9216
	s_waitcnt lgkmcnt(0)
	global_store_b32 v11, v12, s[4:5]
.LBB1474_323:
	s_or_b32 exec_lo, exec_lo, s2
	v_or_b32_e32 v11, 0xa00, v0
	s_mov_b32 s2, exec_lo
	s_delay_alu instid0(VALU_DEP_1)
	v_cmpx_gt_u32_e64 s3, v11
	s_cbranch_execz .LBB1474_332
; %bb.324:
	s_mov_b32 s4, exec_lo
	v_cmpx_le_u32_e64 v1, v11
	s_xor_b32 s4, exec_lo, s4
	s_cbranch_execz .LBB1474_330
; %bb.325:
	s_mov_b32 s5, exec_lo
	v_cmpx_le_u32_e64 v10, v11
	s_xor_b32 s5, exec_lo, s5
	s_cbranch_execz .LBB1474_327
; %bb.326:
	v_lshlrev_b32_e32 v12, 2, v0
	v_add_co_u32 v11, vcc_lo, v3, v11
	ds_load_b32 v13, v12 offset:10240
	v_add_co_ci_u32_e32 v12, vcc_lo, 0, v9, vcc_lo
	s_delay_alu instid0(VALU_DEP_1) | instskip(NEXT) | instid1(VALU_DEP_1)
	v_lshlrev_b64 v[11:12], 2, v[11:12]
	v_sub_co_u32 v11, vcc_lo, s1, v11
	s_delay_alu instid0(VALU_DEP_2)
	v_sub_co_ci_u32_e32 v12, vcc_lo, s0, v12, vcc_lo
	s_waitcnt lgkmcnt(0)
	global_store_b32 v[11:12], v13, off
                                        ; implicit-def: $vgpr11
.LBB1474_327:
	s_and_not1_saveexec_b32 s5, s5
	s_cbranch_execz .LBB1474_329
; %bb.328:
	v_lshlrev_b32_e32 v12, 2, v0
	v_lshlrev_b32_e32 v11, 2, v11
	v_readfirstlane_b32 s6, v5
	v_readfirstlane_b32 s7, v6
	ds_load_b32 v12, v12 offset:10240
	s_waitcnt lgkmcnt(0)
	global_store_b32 v11, v12, s[6:7]
.LBB1474_329:
	s_or_b32 exec_lo, exec_lo, s5
                                        ; implicit-def: $vgpr11
.LBB1474_330:
	s_and_not1_saveexec_b32 s4, s4
	s_cbranch_execz .LBB1474_332
; %bb.331:
	v_lshlrev_b32_e32 v12, 2, v0
	v_lshlrev_b32_e32 v11, 2, v11
	v_readfirstlane_b32 s4, v7
	v_readfirstlane_b32 s5, v8
	ds_load_b32 v12, v12 offset:10240
	s_waitcnt lgkmcnt(0)
	global_store_b32 v11, v12, s[4:5]
.LBB1474_332:
	s_or_b32 exec_lo, exec_lo, s2
	v_or_b32_e32 v11, 0xb00, v0
	s_mov_b32 s2, exec_lo
	s_delay_alu instid0(VALU_DEP_1)
	v_cmpx_gt_u32_e64 s3, v11
	s_cbranch_execz .LBB1474_341
; %bb.333:
	s_mov_b32 s4, exec_lo
	v_cmpx_le_u32_e64 v1, v11
	s_xor_b32 s4, exec_lo, s4
	s_cbranch_execz .LBB1474_339
; %bb.334:
	s_mov_b32 s5, exec_lo
	v_cmpx_le_u32_e64 v10, v11
	s_xor_b32 s5, exec_lo, s5
	s_cbranch_execz .LBB1474_336
; %bb.335:
	v_lshlrev_b32_e32 v12, 2, v0
	v_add_co_u32 v11, vcc_lo, v3, v11
	ds_load_b32 v13, v12 offset:11264
	v_add_co_ci_u32_e32 v12, vcc_lo, 0, v9, vcc_lo
	s_delay_alu instid0(VALU_DEP_1) | instskip(NEXT) | instid1(VALU_DEP_1)
	v_lshlrev_b64 v[11:12], 2, v[11:12]
	v_sub_co_u32 v11, vcc_lo, s1, v11
	s_delay_alu instid0(VALU_DEP_2)
	v_sub_co_ci_u32_e32 v12, vcc_lo, s0, v12, vcc_lo
	s_waitcnt lgkmcnt(0)
	global_store_b32 v[11:12], v13, off
                                        ; implicit-def: $vgpr11
.LBB1474_336:
	s_and_not1_saveexec_b32 s5, s5
	s_cbranch_execz .LBB1474_338
; %bb.337:
	v_lshlrev_b32_e32 v12, 2, v0
	v_lshlrev_b32_e32 v11, 2, v11
	v_readfirstlane_b32 s6, v5
	v_readfirstlane_b32 s7, v6
	ds_load_b32 v12, v12 offset:11264
	s_waitcnt lgkmcnt(0)
	global_store_b32 v11, v12, s[6:7]
.LBB1474_338:
	s_or_b32 exec_lo, exec_lo, s5
                                        ; implicit-def: $vgpr11
.LBB1474_339:
	s_and_not1_saveexec_b32 s4, s4
	s_cbranch_execz .LBB1474_341
; %bb.340:
	v_lshlrev_b32_e32 v12, 2, v0
	v_lshlrev_b32_e32 v11, 2, v11
	v_readfirstlane_b32 s4, v7
	v_readfirstlane_b32 s5, v8
	ds_load_b32 v12, v12 offset:11264
	s_waitcnt lgkmcnt(0)
	global_store_b32 v11, v12, s[4:5]
.LBB1474_341:
	s_or_b32 exec_lo, exec_lo, s2
	v_or_b32_e32 v11, 0xc00, v0
	s_mov_b32 s2, exec_lo
	s_delay_alu instid0(VALU_DEP_1)
	v_cmpx_gt_u32_e64 s3, v11
	s_cbranch_execz .LBB1474_350
; %bb.342:
	s_mov_b32 s3, exec_lo
	v_cmpx_le_u32_e64 v1, v11
	s_xor_b32 s3, exec_lo, s3
	s_cbranch_execz .LBB1474_348
; %bb.343:
	s_mov_b32 s4, exec_lo
	v_cmpx_le_u32_e64 v10, v11
	s_xor_b32 s4, exec_lo, s4
	s_cbranch_execz .LBB1474_345
; %bb.344:
	v_lshlrev_b32_e32 v5, 2, v0
	ds_load_b32 v7, v5 offset:12288
	v_add_co_u32 v5, vcc_lo, v3, v11
	v_add_co_ci_u32_e32 v6, vcc_lo, 0, v9, vcc_lo
                                        ; implicit-def: $vgpr11
	s_delay_alu instid0(VALU_DEP_1) | instskip(NEXT) | instid1(VALU_DEP_1)
	v_lshlrev_b64 v[5:6], 2, v[5:6]
	v_sub_co_u32 v5, vcc_lo, s1, v5
	s_delay_alu instid0(VALU_DEP_2)
	v_sub_co_ci_u32_e32 v6, vcc_lo, s0, v6, vcc_lo
	s_waitcnt lgkmcnt(0)
	global_store_b32 v[5:6], v7, off
                                        ; implicit-def: $vgpr5_vgpr6
.LBB1474_345:
	s_and_not1_saveexec_b32 s0, s4
	s_cbranch_execz .LBB1474_347
; %bb.346:
	v_lshlrev_b32_e32 v3, 2, v0
	v_lshlrev_b32_e32 v7, 2, v11
	v_readfirstlane_b32 s4, v5
	v_readfirstlane_b32 s5, v6
	ds_load_b32 v3, v3 offset:12288
	s_waitcnt lgkmcnt(0)
	global_store_b32 v7, v3, s[4:5]
.LBB1474_347:
	s_or_b32 exec_lo, exec_lo, s0
                                        ; implicit-def: $vgpr11
                                        ; implicit-def: $vgpr7_vgpr8
.LBB1474_348:
	s_and_not1_saveexec_b32 s0, s3
	s_cbranch_execz .LBB1474_350
; %bb.349:
	v_lshlrev_b32_e32 v3, 2, v0
	v_lshlrev_b32_e32 v5, 2, v11
	v_readfirstlane_b32 s0, v7
	v_readfirstlane_b32 s1, v8
	ds_load_b32 v3, v3 offset:12288
	s_waitcnt lgkmcnt(0)
	global_store_b32 v5, v3, s[0:1]
.LBB1474_350:
	s_or_b32 exec_lo, exec_lo, s2
	v_cmp_eq_u32_e32 vcc_lo, 0, v0
	s_and_b32 s0, vcc_lo, s14
	s_delay_alu instid0(SALU_CYCLE_1)
	s_and_saveexec_b32 s1, s0
	s_cbranch_execz .LBB1474_127
.LBB1474_351:
	v_add_co_u32 v2, s0, s30, v2
	s_delay_alu instid0(VALU_DEP_1) | instskip(SKIP_2) | instid1(VALU_DEP_4)
	v_add_co_ci_u32_e64 v3, null, s31, 0, s0
	v_add_co_u32 v0, vcc_lo, v18, v1
	v_add_co_ci_u32_e32 v1, vcc_lo, 0, v19, vcc_lo
	v_add_co_u32 v2, vcc_lo, v2, v4
	v_mov_b32_e32 v5, 0
	v_add_co_ci_u32_e32 v3, vcc_lo, 0, v3, vcc_lo
	global_store_b128 v5, v[0:3], s[24:25]
	s_nop 0
	s_sendmsg sendmsg(MSG_DEALLOC_VGPRS)
	s_endpgm
.LBB1474_352:
	v_add_nc_u32_e32 v3, s7, v23
	s_add_i32 s10, s15, 32
	s_mov_b32 s11, 0
	v_dual_mov_b32 v5, 0 :: v_dual_add_nc_u32 v2, v22, v1
	s_lshl_b64 s[10:11], s[10:11], 4
	v_and_b32_e32 v20, 0xff0000, v3
	s_add_u32 s10, s4, s10
	s_addc_u32 s11, s5, s11
	v_and_b32_e32 v4, 0xff000000, v3
	s_delay_alu instid0(VALU_DEP_1) | instskip(SKIP_2) | instid1(VALU_DEP_1)
	v_or_b32_e32 v20, v20, v4
	v_dual_mov_b32 v4, 2 :: v_dual_and_b32 v21, 0xff00, v3
	v_and_b32_e32 v3, 0xff, v3
	v_or3_b32 v3, v20, v21, v3
	v_dual_mov_b32 v21, s11 :: v_dual_mov_b32 v20, s10
	;;#ASMSTART
	global_store_dwordx4 v[20:21], v[2:5] off	
s_waitcnt vmcnt(0)
	;;#ASMEND
	s_or_b32 exec_lo, exec_lo, s8
	s_and_saveexec_b32 s8, s2
	s_cbranch_execz .LBB1474_111
.LBB1474_353:
	v_mov_b32_e32 v2, s7
	v_add_nc_u32_e64 v3, 0x3400, 0
	ds_store_2addr_b32 v3, v1, v2 offset1:2
	ds_store_2addr_b32 v3, v22, v23 offset0:4 offset1:6
	s_or_b32 exec_lo, exec_lo, s8
	v_cmp_eq_u32_e32 vcc_lo, 0, v0
	s_and_b32 exec_lo, exec_lo, vcc_lo
	s_cbranch_execnz .LBB1474_112
	s_branch .LBB1474_113
	.section	.rodata,"a",@progbits
	.p2align	6, 0x0
	.amdhsa_kernel _ZN7rocprim17ROCPRIM_400000_NS6detail17trampoline_kernelINS0_13select_configILj256ELj13ELNS0_17block_load_methodE3ELS4_3ELS4_3ELNS0_20block_scan_algorithmE0ELj4294967295EEENS1_25partition_config_selectorILNS1_17partition_subalgoE4EjNS0_10empty_typeEbEEZZNS1_14partition_implILS8_4ELb0ES6_15HIP_vector_typeIjLj2EENS0_17counting_iteratorIjlEEPS9_SG_NS0_5tupleIJPjSI_NS0_16reverse_iteratorISI_EEEEENSH_IJSG_SG_SG_EEES9_SI_JZNS1_25segmented_radix_sort_implINS0_14default_configELb1EPKbPbPKlPlN2at6native12_GLOBAL__N_18offset_tEEE10hipError_tPvRmT1_PNSt15iterator_traitsIS12_E10value_typeET2_T3_PNS13_IS18_E10value_typeET4_jRbjT5_S1E_jjP12ihipStream_tbEUljE_ZNSN_ISO_Lb1ESQ_SR_ST_SU_SY_EESZ_S10_S11_S12_S16_S17_S18_S1B_S1C_jS1D_jS1E_S1E_jjS1G_bEUljE0_EEESZ_S10_S11_S18_S1C_S1E_T6_T7_T9_mT8_S1G_bDpT10_ENKUlT_T0_E_clISt17integral_constantIbLb0EES1U_EEDaS1P_S1Q_EUlS1P_E_NS1_11comp_targetILNS1_3genE9ELNS1_11target_archE1100ELNS1_3gpuE3ELNS1_3repE0EEENS1_30default_config_static_selectorELNS0_4arch9wavefront6targetE0EEEvS12_
		.amdhsa_group_segment_fixed_size 13340
		.amdhsa_private_segment_fixed_size 0
		.amdhsa_kernarg_size 176
		.amdhsa_user_sgpr_count 15
		.amdhsa_user_sgpr_dispatch_ptr 0
		.amdhsa_user_sgpr_queue_ptr 0
		.amdhsa_user_sgpr_kernarg_segment_ptr 1
		.amdhsa_user_sgpr_dispatch_id 0
		.amdhsa_user_sgpr_private_segment_size 0
		.amdhsa_wavefront_size32 1
		.amdhsa_uses_dynamic_stack 0
		.amdhsa_enable_private_segment 0
		.amdhsa_system_sgpr_workgroup_id_x 1
		.amdhsa_system_sgpr_workgroup_id_y 0
		.amdhsa_system_sgpr_workgroup_id_z 0
		.amdhsa_system_sgpr_workgroup_info 0
		.amdhsa_system_vgpr_workitem_id 0
		.amdhsa_next_free_vgpr 98
		.amdhsa_next_free_sgpr 59
		.amdhsa_reserve_vcc 1
		.amdhsa_float_round_mode_32 0
		.amdhsa_float_round_mode_16_64 0
		.amdhsa_float_denorm_mode_32 3
		.amdhsa_float_denorm_mode_16_64 3
		.amdhsa_dx10_clamp 1
		.amdhsa_ieee_mode 1
		.amdhsa_fp16_overflow 0
		.amdhsa_workgroup_processor_mode 1
		.amdhsa_memory_ordered 1
		.amdhsa_forward_progress 0
		.amdhsa_shared_vgpr_count 0
		.amdhsa_exception_fp_ieee_invalid_op 0
		.amdhsa_exception_fp_denorm_src 0
		.amdhsa_exception_fp_ieee_div_zero 0
		.amdhsa_exception_fp_ieee_overflow 0
		.amdhsa_exception_fp_ieee_underflow 0
		.amdhsa_exception_fp_ieee_inexact 0
		.amdhsa_exception_int_div_zero 0
	.end_amdhsa_kernel
	.section	.text._ZN7rocprim17ROCPRIM_400000_NS6detail17trampoline_kernelINS0_13select_configILj256ELj13ELNS0_17block_load_methodE3ELS4_3ELS4_3ELNS0_20block_scan_algorithmE0ELj4294967295EEENS1_25partition_config_selectorILNS1_17partition_subalgoE4EjNS0_10empty_typeEbEEZZNS1_14partition_implILS8_4ELb0ES6_15HIP_vector_typeIjLj2EENS0_17counting_iteratorIjlEEPS9_SG_NS0_5tupleIJPjSI_NS0_16reverse_iteratorISI_EEEEENSH_IJSG_SG_SG_EEES9_SI_JZNS1_25segmented_radix_sort_implINS0_14default_configELb1EPKbPbPKlPlN2at6native12_GLOBAL__N_18offset_tEEE10hipError_tPvRmT1_PNSt15iterator_traitsIS12_E10value_typeET2_T3_PNS13_IS18_E10value_typeET4_jRbjT5_S1E_jjP12ihipStream_tbEUljE_ZNSN_ISO_Lb1ESQ_SR_ST_SU_SY_EESZ_S10_S11_S12_S16_S17_S18_S1B_S1C_jS1D_jS1E_S1E_jjS1G_bEUljE0_EEESZ_S10_S11_S18_S1C_S1E_T6_T7_T9_mT8_S1G_bDpT10_ENKUlT_T0_E_clISt17integral_constantIbLb0EES1U_EEDaS1P_S1Q_EUlS1P_E_NS1_11comp_targetILNS1_3genE9ELNS1_11target_archE1100ELNS1_3gpuE3ELNS1_3repE0EEENS1_30default_config_static_selectorELNS0_4arch9wavefront6targetE0EEEvS12_,"axG",@progbits,_ZN7rocprim17ROCPRIM_400000_NS6detail17trampoline_kernelINS0_13select_configILj256ELj13ELNS0_17block_load_methodE3ELS4_3ELS4_3ELNS0_20block_scan_algorithmE0ELj4294967295EEENS1_25partition_config_selectorILNS1_17partition_subalgoE4EjNS0_10empty_typeEbEEZZNS1_14partition_implILS8_4ELb0ES6_15HIP_vector_typeIjLj2EENS0_17counting_iteratorIjlEEPS9_SG_NS0_5tupleIJPjSI_NS0_16reverse_iteratorISI_EEEEENSH_IJSG_SG_SG_EEES9_SI_JZNS1_25segmented_radix_sort_implINS0_14default_configELb1EPKbPbPKlPlN2at6native12_GLOBAL__N_18offset_tEEE10hipError_tPvRmT1_PNSt15iterator_traitsIS12_E10value_typeET2_T3_PNS13_IS18_E10value_typeET4_jRbjT5_S1E_jjP12ihipStream_tbEUljE_ZNSN_ISO_Lb1ESQ_SR_ST_SU_SY_EESZ_S10_S11_S12_S16_S17_S18_S1B_S1C_jS1D_jS1E_S1E_jjS1G_bEUljE0_EEESZ_S10_S11_S18_S1C_S1E_T6_T7_T9_mT8_S1G_bDpT10_ENKUlT_T0_E_clISt17integral_constantIbLb0EES1U_EEDaS1P_S1Q_EUlS1P_E_NS1_11comp_targetILNS1_3genE9ELNS1_11target_archE1100ELNS1_3gpuE3ELNS1_3repE0EEENS1_30default_config_static_selectorELNS0_4arch9wavefront6targetE0EEEvS12_,comdat
.Lfunc_end1474:
	.size	_ZN7rocprim17ROCPRIM_400000_NS6detail17trampoline_kernelINS0_13select_configILj256ELj13ELNS0_17block_load_methodE3ELS4_3ELS4_3ELNS0_20block_scan_algorithmE0ELj4294967295EEENS1_25partition_config_selectorILNS1_17partition_subalgoE4EjNS0_10empty_typeEbEEZZNS1_14partition_implILS8_4ELb0ES6_15HIP_vector_typeIjLj2EENS0_17counting_iteratorIjlEEPS9_SG_NS0_5tupleIJPjSI_NS0_16reverse_iteratorISI_EEEEENSH_IJSG_SG_SG_EEES9_SI_JZNS1_25segmented_radix_sort_implINS0_14default_configELb1EPKbPbPKlPlN2at6native12_GLOBAL__N_18offset_tEEE10hipError_tPvRmT1_PNSt15iterator_traitsIS12_E10value_typeET2_T3_PNS13_IS18_E10value_typeET4_jRbjT5_S1E_jjP12ihipStream_tbEUljE_ZNSN_ISO_Lb1ESQ_SR_ST_SU_SY_EESZ_S10_S11_S12_S16_S17_S18_S1B_S1C_jS1D_jS1E_S1E_jjS1G_bEUljE0_EEESZ_S10_S11_S18_S1C_S1E_T6_T7_T9_mT8_S1G_bDpT10_ENKUlT_T0_E_clISt17integral_constantIbLb0EES1U_EEDaS1P_S1Q_EUlS1P_E_NS1_11comp_targetILNS1_3genE9ELNS1_11target_archE1100ELNS1_3gpuE3ELNS1_3repE0EEENS1_30default_config_static_selectorELNS0_4arch9wavefront6targetE0EEEvS12_, .Lfunc_end1474-_ZN7rocprim17ROCPRIM_400000_NS6detail17trampoline_kernelINS0_13select_configILj256ELj13ELNS0_17block_load_methodE3ELS4_3ELS4_3ELNS0_20block_scan_algorithmE0ELj4294967295EEENS1_25partition_config_selectorILNS1_17partition_subalgoE4EjNS0_10empty_typeEbEEZZNS1_14partition_implILS8_4ELb0ES6_15HIP_vector_typeIjLj2EENS0_17counting_iteratorIjlEEPS9_SG_NS0_5tupleIJPjSI_NS0_16reverse_iteratorISI_EEEEENSH_IJSG_SG_SG_EEES9_SI_JZNS1_25segmented_radix_sort_implINS0_14default_configELb1EPKbPbPKlPlN2at6native12_GLOBAL__N_18offset_tEEE10hipError_tPvRmT1_PNSt15iterator_traitsIS12_E10value_typeET2_T3_PNS13_IS18_E10value_typeET4_jRbjT5_S1E_jjP12ihipStream_tbEUljE_ZNSN_ISO_Lb1ESQ_SR_ST_SU_SY_EESZ_S10_S11_S12_S16_S17_S18_S1B_S1C_jS1D_jS1E_S1E_jjS1G_bEUljE0_EEESZ_S10_S11_S18_S1C_S1E_T6_T7_T9_mT8_S1G_bDpT10_ENKUlT_T0_E_clISt17integral_constantIbLb0EES1U_EEDaS1P_S1Q_EUlS1P_E_NS1_11comp_targetILNS1_3genE9ELNS1_11target_archE1100ELNS1_3gpuE3ELNS1_3repE0EEENS1_30default_config_static_selectorELNS0_4arch9wavefront6targetE0EEEvS12_
                                        ; -- End function
	.section	.AMDGPU.csdata,"",@progbits
; Kernel info:
; codeLenInByte = 14984
; NumSgprs: 61
; NumVgprs: 98
; ScratchSize: 0
; MemoryBound: 0
; FloatMode: 240
; IeeeMode: 1
; LDSByteSize: 13340 bytes/workgroup (compile time only)
; SGPRBlocks: 7
; VGPRBlocks: 12
; NumSGPRsForWavesPerEU: 61
; NumVGPRsForWavesPerEU: 98
; Occupancy: 12
; WaveLimiterHint : 1
; COMPUTE_PGM_RSRC2:SCRATCH_EN: 0
; COMPUTE_PGM_RSRC2:USER_SGPR: 15
; COMPUTE_PGM_RSRC2:TRAP_HANDLER: 0
; COMPUTE_PGM_RSRC2:TGID_X_EN: 1
; COMPUTE_PGM_RSRC2:TGID_Y_EN: 0
; COMPUTE_PGM_RSRC2:TGID_Z_EN: 0
; COMPUTE_PGM_RSRC2:TIDIG_COMP_CNT: 0
	.section	.text._ZN7rocprim17ROCPRIM_400000_NS6detail17trampoline_kernelINS0_13select_configILj256ELj13ELNS0_17block_load_methodE3ELS4_3ELS4_3ELNS0_20block_scan_algorithmE0ELj4294967295EEENS1_25partition_config_selectorILNS1_17partition_subalgoE4EjNS0_10empty_typeEbEEZZNS1_14partition_implILS8_4ELb0ES6_15HIP_vector_typeIjLj2EENS0_17counting_iteratorIjlEEPS9_SG_NS0_5tupleIJPjSI_NS0_16reverse_iteratorISI_EEEEENSH_IJSG_SG_SG_EEES9_SI_JZNS1_25segmented_radix_sort_implINS0_14default_configELb1EPKbPbPKlPlN2at6native12_GLOBAL__N_18offset_tEEE10hipError_tPvRmT1_PNSt15iterator_traitsIS12_E10value_typeET2_T3_PNS13_IS18_E10value_typeET4_jRbjT5_S1E_jjP12ihipStream_tbEUljE_ZNSN_ISO_Lb1ESQ_SR_ST_SU_SY_EESZ_S10_S11_S12_S16_S17_S18_S1B_S1C_jS1D_jS1E_S1E_jjS1G_bEUljE0_EEESZ_S10_S11_S18_S1C_S1E_T6_T7_T9_mT8_S1G_bDpT10_ENKUlT_T0_E_clISt17integral_constantIbLb0EES1U_EEDaS1P_S1Q_EUlS1P_E_NS1_11comp_targetILNS1_3genE8ELNS1_11target_archE1030ELNS1_3gpuE2ELNS1_3repE0EEENS1_30default_config_static_selectorELNS0_4arch9wavefront6targetE0EEEvS12_,"axG",@progbits,_ZN7rocprim17ROCPRIM_400000_NS6detail17trampoline_kernelINS0_13select_configILj256ELj13ELNS0_17block_load_methodE3ELS4_3ELS4_3ELNS0_20block_scan_algorithmE0ELj4294967295EEENS1_25partition_config_selectorILNS1_17partition_subalgoE4EjNS0_10empty_typeEbEEZZNS1_14partition_implILS8_4ELb0ES6_15HIP_vector_typeIjLj2EENS0_17counting_iteratorIjlEEPS9_SG_NS0_5tupleIJPjSI_NS0_16reverse_iteratorISI_EEEEENSH_IJSG_SG_SG_EEES9_SI_JZNS1_25segmented_radix_sort_implINS0_14default_configELb1EPKbPbPKlPlN2at6native12_GLOBAL__N_18offset_tEEE10hipError_tPvRmT1_PNSt15iterator_traitsIS12_E10value_typeET2_T3_PNS13_IS18_E10value_typeET4_jRbjT5_S1E_jjP12ihipStream_tbEUljE_ZNSN_ISO_Lb1ESQ_SR_ST_SU_SY_EESZ_S10_S11_S12_S16_S17_S18_S1B_S1C_jS1D_jS1E_S1E_jjS1G_bEUljE0_EEESZ_S10_S11_S18_S1C_S1E_T6_T7_T9_mT8_S1G_bDpT10_ENKUlT_T0_E_clISt17integral_constantIbLb0EES1U_EEDaS1P_S1Q_EUlS1P_E_NS1_11comp_targetILNS1_3genE8ELNS1_11target_archE1030ELNS1_3gpuE2ELNS1_3repE0EEENS1_30default_config_static_selectorELNS0_4arch9wavefront6targetE0EEEvS12_,comdat
	.globl	_ZN7rocprim17ROCPRIM_400000_NS6detail17trampoline_kernelINS0_13select_configILj256ELj13ELNS0_17block_load_methodE3ELS4_3ELS4_3ELNS0_20block_scan_algorithmE0ELj4294967295EEENS1_25partition_config_selectorILNS1_17partition_subalgoE4EjNS0_10empty_typeEbEEZZNS1_14partition_implILS8_4ELb0ES6_15HIP_vector_typeIjLj2EENS0_17counting_iteratorIjlEEPS9_SG_NS0_5tupleIJPjSI_NS0_16reverse_iteratorISI_EEEEENSH_IJSG_SG_SG_EEES9_SI_JZNS1_25segmented_radix_sort_implINS0_14default_configELb1EPKbPbPKlPlN2at6native12_GLOBAL__N_18offset_tEEE10hipError_tPvRmT1_PNSt15iterator_traitsIS12_E10value_typeET2_T3_PNS13_IS18_E10value_typeET4_jRbjT5_S1E_jjP12ihipStream_tbEUljE_ZNSN_ISO_Lb1ESQ_SR_ST_SU_SY_EESZ_S10_S11_S12_S16_S17_S18_S1B_S1C_jS1D_jS1E_S1E_jjS1G_bEUljE0_EEESZ_S10_S11_S18_S1C_S1E_T6_T7_T9_mT8_S1G_bDpT10_ENKUlT_T0_E_clISt17integral_constantIbLb0EES1U_EEDaS1P_S1Q_EUlS1P_E_NS1_11comp_targetILNS1_3genE8ELNS1_11target_archE1030ELNS1_3gpuE2ELNS1_3repE0EEENS1_30default_config_static_selectorELNS0_4arch9wavefront6targetE0EEEvS12_ ; -- Begin function _ZN7rocprim17ROCPRIM_400000_NS6detail17trampoline_kernelINS0_13select_configILj256ELj13ELNS0_17block_load_methodE3ELS4_3ELS4_3ELNS0_20block_scan_algorithmE0ELj4294967295EEENS1_25partition_config_selectorILNS1_17partition_subalgoE4EjNS0_10empty_typeEbEEZZNS1_14partition_implILS8_4ELb0ES6_15HIP_vector_typeIjLj2EENS0_17counting_iteratorIjlEEPS9_SG_NS0_5tupleIJPjSI_NS0_16reverse_iteratorISI_EEEEENSH_IJSG_SG_SG_EEES9_SI_JZNS1_25segmented_radix_sort_implINS0_14default_configELb1EPKbPbPKlPlN2at6native12_GLOBAL__N_18offset_tEEE10hipError_tPvRmT1_PNSt15iterator_traitsIS12_E10value_typeET2_T3_PNS13_IS18_E10value_typeET4_jRbjT5_S1E_jjP12ihipStream_tbEUljE_ZNSN_ISO_Lb1ESQ_SR_ST_SU_SY_EESZ_S10_S11_S12_S16_S17_S18_S1B_S1C_jS1D_jS1E_S1E_jjS1G_bEUljE0_EEESZ_S10_S11_S18_S1C_S1E_T6_T7_T9_mT8_S1G_bDpT10_ENKUlT_T0_E_clISt17integral_constantIbLb0EES1U_EEDaS1P_S1Q_EUlS1P_E_NS1_11comp_targetILNS1_3genE8ELNS1_11target_archE1030ELNS1_3gpuE2ELNS1_3repE0EEENS1_30default_config_static_selectorELNS0_4arch9wavefront6targetE0EEEvS12_
	.p2align	8
	.type	_ZN7rocprim17ROCPRIM_400000_NS6detail17trampoline_kernelINS0_13select_configILj256ELj13ELNS0_17block_load_methodE3ELS4_3ELS4_3ELNS0_20block_scan_algorithmE0ELj4294967295EEENS1_25partition_config_selectorILNS1_17partition_subalgoE4EjNS0_10empty_typeEbEEZZNS1_14partition_implILS8_4ELb0ES6_15HIP_vector_typeIjLj2EENS0_17counting_iteratorIjlEEPS9_SG_NS0_5tupleIJPjSI_NS0_16reverse_iteratorISI_EEEEENSH_IJSG_SG_SG_EEES9_SI_JZNS1_25segmented_radix_sort_implINS0_14default_configELb1EPKbPbPKlPlN2at6native12_GLOBAL__N_18offset_tEEE10hipError_tPvRmT1_PNSt15iterator_traitsIS12_E10value_typeET2_T3_PNS13_IS18_E10value_typeET4_jRbjT5_S1E_jjP12ihipStream_tbEUljE_ZNSN_ISO_Lb1ESQ_SR_ST_SU_SY_EESZ_S10_S11_S12_S16_S17_S18_S1B_S1C_jS1D_jS1E_S1E_jjS1G_bEUljE0_EEESZ_S10_S11_S18_S1C_S1E_T6_T7_T9_mT8_S1G_bDpT10_ENKUlT_T0_E_clISt17integral_constantIbLb0EES1U_EEDaS1P_S1Q_EUlS1P_E_NS1_11comp_targetILNS1_3genE8ELNS1_11target_archE1030ELNS1_3gpuE2ELNS1_3repE0EEENS1_30default_config_static_selectorELNS0_4arch9wavefront6targetE0EEEvS12_,@function
_ZN7rocprim17ROCPRIM_400000_NS6detail17trampoline_kernelINS0_13select_configILj256ELj13ELNS0_17block_load_methodE3ELS4_3ELS4_3ELNS0_20block_scan_algorithmE0ELj4294967295EEENS1_25partition_config_selectorILNS1_17partition_subalgoE4EjNS0_10empty_typeEbEEZZNS1_14partition_implILS8_4ELb0ES6_15HIP_vector_typeIjLj2EENS0_17counting_iteratorIjlEEPS9_SG_NS0_5tupleIJPjSI_NS0_16reverse_iteratorISI_EEEEENSH_IJSG_SG_SG_EEES9_SI_JZNS1_25segmented_radix_sort_implINS0_14default_configELb1EPKbPbPKlPlN2at6native12_GLOBAL__N_18offset_tEEE10hipError_tPvRmT1_PNSt15iterator_traitsIS12_E10value_typeET2_T3_PNS13_IS18_E10value_typeET4_jRbjT5_S1E_jjP12ihipStream_tbEUljE_ZNSN_ISO_Lb1ESQ_SR_ST_SU_SY_EESZ_S10_S11_S12_S16_S17_S18_S1B_S1C_jS1D_jS1E_S1E_jjS1G_bEUljE0_EEESZ_S10_S11_S18_S1C_S1E_T6_T7_T9_mT8_S1G_bDpT10_ENKUlT_T0_E_clISt17integral_constantIbLb0EES1U_EEDaS1P_S1Q_EUlS1P_E_NS1_11comp_targetILNS1_3genE8ELNS1_11target_archE1030ELNS1_3gpuE2ELNS1_3repE0EEENS1_30default_config_static_selectorELNS0_4arch9wavefront6targetE0EEEvS12_: ; @_ZN7rocprim17ROCPRIM_400000_NS6detail17trampoline_kernelINS0_13select_configILj256ELj13ELNS0_17block_load_methodE3ELS4_3ELS4_3ELNS0_20block_scan_algorithmE0ELj4294967295EEENS1_25partition_config_selectorILNS1_17partition_subalgoE4EjNS0_10empty_typeEbEEZZNS1_14partition_implILS8_4ELb0ES6_15HIP_vector_typeIjLj2EENS0_17counting_iteratorIjlEEPS9_SG_NS0_5tupleIJPjSI_NS0_16reverse_iteratorISI_EEEEENSH_IJSG_SG_SG_EEES9_SI_JZNS1_25segmented_radix_sort_implINS0_14default_configELb1EPKbPbPKlPlN2at6native12_GLOBAL__N_18offset_tEEE10hipError_tPvRmT1_PNSt15iterator_traitsIS12_E10value_typeET2_T3_PNS13_IS18_E10value_typeET4_jRbjT5_S1E_jjP12ihipStream_tbEUljE_ZNSN_ISO_Lb1ESQ_SR_ST_SU_SY_EESZ_S10_S11_S12_S16_S17_S18_S1B_S1C_jS1D_jS1E_S1E_jjS1G_bEUljE0_EEESZ_S10_S11_S18_S1C_S1E_T6_T7_T9_mT8_S1G_bDpT10_ENKUlT_T0_E_clISt17integral_constantIbLb0EES1U_EEDaS1P_S1Q_EUlS1P_E_NS1_11comp_targetILNS1_3genE8ELNS1_11target_archE1030ELNS1_3gpuE2ELNS1_3repE0EEENS1_30default_config_static_selectorELNS0_4arch9wavefront6targetE0EEEvS12_
; %bb.0:
	.section	.rodata,"a",@progbits
	.p2align	6, 0x0
	.amdhsa_kernel _ZN7rocprim17ROCPRIM_400000_NS6detail17trampoline_kernelINS0_13select_configILj256ELj13ELNS0_17block_load_methodE3ELS4_3ELS4_3ELNS0_20block_scan_algorithmE0ELj4294967295EEENS1_25partition_config_selectorILNS1_17partition_subalgoE4EjNS0_10empty_typeEbEEZZNS1_14partition_implILS8_4ELb0ES6_15HIP_vector_typeIjLj2EENS0_17counting_iteratorIjlEEPS9_SG_NS0_5tupleIJPjSI_NS0_16reverse_iteratorISI_EEEEENSH_IJSG_SG_SG_EEES9_SI_JZNS1_25segmented_radix_sort_implINS0_14default_configELb1EPKbPbPKlPlN2at6native12_GLOBAL__N_18offset_tEEE10hipError_tPvRmT1_PNSt15iterator_traitsIS12_E10value_typeET2_T3_PNS13_IS18_E10value_typeET4_jRbjT5_S1E_jjP12ihipStream_tbEUljE_ZNSN_ISO_Lb1ESQ_SR_ST_SU_SY_EESZ_S10_S11_S12_S16_S17_S18_S1B_S1C_jS1D_jS1E_S1E_jjS1G_bEUljE0_EEESZ_S10_S11_S18_S1C_S1E_T6_T7_T9_mT8_S1G_bDpT10_ENKUlT_T0_E_clISt17integral_constantIbLb0EES1U_EEDaS1P_S1Q_EUlS1P_E_NS1_11comp_targetILNS1_3genE8ELNS1_11target_archE1030ELNS1_3gpuE2ELNS1_3repE0EEENS1_30default_config_static_selectorELNS0_4arch9wavefront6targetE0EEEvS12_
		.amdhsa_group_segment_fixed_size 0
		.amdhsa_private_segment_fixed_size 0
		.amdhsa_kernarg_size 176
		.amdhsa_user_sgpr_count 15
		.amdhsa_user_sgpr_dispatch_ptr 0
		.amdhsa_user_sgpr_queue_ptr 0
		.amdhsa_user_sgpr_kernarg_segment_ptr 1
		.amdhsa_user_sgpr_dispatch_id 0
		.amdhsa_user_sgpr_private_segment_size 0
		.amdhsa_wavefront_size32 1
		.amdhsa_uses_dynamic_stack 0
		.amdhsa_enable_private_segment 0
		.amdhsa_system_sgpr_workgroup_id_x 1
		.amdhsa_system_sgpr_workgroup_id_y 0
		.amdhsa_system_sgpr_workgroup_id_z 0
		.amdhsa_system_sgpr_workgroup_info 0
		.amdhsa_system_vgpr_workitem_id 0
		.amdhsa_next_free_vgpr 1
		.amdhsa_next_free_sgpr 1
		.amdhsa_reserve_vcc 0
		.amdhsa_float_round_mode_32 0
		.amdhsa_float_round_mode_16_64 0
		.amdhsa_float_denorm_mode_32 3
		.amdhsa_float_denorm_mode_16_64 3
		.amdhsa_dx10_clamp 1
		.amdhsa_ieee_mode 1
		.amdhsa_fp16_overflow 0
		.amdhsa_workgroup_processor_mode 1
		.amdhsa_memory_ordered 1
		.amdhsa_forward_progress 0
		.amdhsa_shared_vgpr_count 0
		.amdhsa_exception_fp_ieee_invalid_op 0
		.amdhsa_exception_fp_denorm_src 0
		.amdhsa_exception_fp_ieee_div_zero 0
		.amdhsa_exception_fp_ieee_overflow 0
		.amdhsa_exception_fp_ieee_underflow 0
		.amdhsa_exception_fp_ieee_inexact 0
		.amdhsa_exception_int_div_zero 0
	.end_amdhsa_kernel
	.section	.text._ZN7rocprim17ROCPRIM_400000_NS6detail17trampoline_kernelINS0_13select_configILj256ELj13ELNS0_17block_load_methodE3ELS4_3ELS4_3ELNS0_20block_scan_algorithmE0ELj4294967295EEENS1_25partition_config_selectorILNS1_17partition_subalgoE4EjNS0_10empty_typeEbEEZZNS1_14partition_implILS8_4ELb0ES6_15HIP_vector_typeIjLj2EENS0_17counting_iteratorIjlEEPS9_SG_NS0_5tupleIJPjSI_NS0_16reverse_iteratorISI_EEEEENSH_IJSG_SG_SG_EEES9_SI_JZNS1_25segmented_radix_sort_implINS0_14default_configELb1EPKbPbPKlPlN2at6native12_GLOBAL__N_18offset_tEEE10hipError_tPvRmT1_PNSt15iterator_traitsIS12_E10value_typeET2_T3_PNS13_IS18_E10value_typeET4_jRbjT5_S1E_jjP12ihipStream_tbEUljE_ZNSN_ISO_Lb1ESQ_SR_ST_SU_SY_EESZ_S10_S11_S12_S16_S17_S18_S1B_S1C_jS1D_jS1E_S1E_jjS1G_bEUljE0_EEESZ_S10_S11_S18_S1C_S1E_T6_T7_T9_mT8_S1G_bDpT10_ENKUlT_T0_E_clISt17integral_constantIbLb0EES1U_EEDaS1P_S1Q_EUlS1P_E_NS1_11comp_targetILNS1_3genE8ELNS1_11target_archE1030ELNS1_3gpuE2ELNS1_3repE0EEENS1_30default_config_static_selectorELNS0_4arch9wavefront6targetE0EEEvS12_,"axG",@progbits,_ZN7rocprim17ROCPRIM_400000_NS6detail17trampoline_kernelINS0_13select_configILj256ELj13ELNS0_17block_load_methodE3ELS4_3ELS4_3ELNS0_20block_scan_algorithmE0ELj4294967295EEENS1_25partition_config_selectorILNS1_17partition_subalgoE4EjNS0_10empty_typeEbEEZZNS1_14partition_implILS8_4ELb0ES6_15HIP_vector_typeIjLj2EENS0_17counting_iteratorIjlEEPS9_SG_NS0_5tupleIJPjSI_NS0_16reverse_iteratorISI_EEEEENSH_IJSG_SG_SG_EEES9_SI_JZNS1_25segmented_radix_sort_implINS0_14default_configELb1EPKbPbPKlPlN2at6native12_GLOBAL__N_18offset_tEEE10hipError_tPvRmT1_PNSt15iterator_traitsIS12_E10value_typeET2_T3_PNS13_IS18_E10value_typeET4_jRbjT5_S1E_jjP12ihipStream_tbEUljE_ZNSN_ISO_Lb1ESQ_SR_ST_SU_SY_EESZ_S10_S11_S12_S16_S17_S18_S1B_S1C_jS1D_jS1E_S1E_jjS1G_bEUljE0_EEESZ_S10_S11_S18_S1C_S1E_T6_T7_T9_mT8_S1G_bDpT10_ENKUlT_T0_E_clISt17integral_constantIbLb0EES1U_EEDaS1P_S1Q_EUlS1P_E_NS1_11comp_targetILNS1_3genE8ELNS1_11target_archE1030ELNS1_3gpuE2ELNS1_3repE0EEENS1_30default_config_static_selectorELNS0_4arch9wavefront6targetE0EEEvS12_,comdat
.Lfunc_end1475:
	.size	_ZN7rocprim17ROCPRIM_400000_NS6detail17trampoline_kernelINS0_13select_configILj256ELj13ELNS0_17block_load_methodE3ELS4_3ELS4_3ELNS0_20block_scan_algorithmE0ELj4294967295EEENS1_25partition_config_selectorILNS1_17partition_subalgoE4EjNS0_10empty_typeEbEEZZNS1_14partition_implILS8_4ELb0ES6_15HIP_vector_typeIjLj2EENS0_17counting_iteratorIjlEEPS9_SG_NS0_5tupleIJPjSI_NS0_16reverse_iteratorISI_EEEEENSH_IJSG_SG_SG_EEES9_SI_JZNS1_25segmented_radix_sort_implINS0_14default_configELb1EPKbPbPKlPlN2at6native12_GLOBAL__N_18offset_tEEE10hipError_tPvRmT1_PNSt15iterator_traitsIS12_E10value_typeET2_T3_PNS13_IS18_E10value_typeET4_jRbjT5_S1E_jjP12ihipStream_tbEUljE_ZNSN_ISO_Lb1ESQ_SR_ST_SU_SY_EESZ_S10_S11_S12_S16_S17_S18_S1B_S1C_jS1D_jS1E_S1E_jjS1G_bEUljE0_EEESZ_S10_S11_S18_S1C_S1E_T6_T7_T9_mT8_S1G_bDpT10_ENKUlT_T0_E_clISt17integral_constantIbLb0EES1U_EEDaS1P_S1Q_EUlS1P_E_NS1_11comp_targetILNS1_3genE8ELNS1_11target_archE1030ELNS1_3gpuE2ELNS1_3repE0EEENS1_30default_config_static_selectorELNS0_4arch9wavefront6targetE0EEEvS12_, .Lfunc_end1475-_ZN7rocprim17ROCPRIM_400000_NS6detail17trampoline_kernelINS0_13select_configILj256ELj13ELNS0_17block_load_methodE3ELS4_3ELS4_3ELNS0_20block_scan_algorithmE0ELj4294967295EEENS1_25partition_config_selectorILNS1_17partition_subalgoE4EjNS0_10empty_typeEbEEZZNS1_14partition_implILS8_4ELb0ES6_15HIP_vector_typeIjLj2EENS0_17counting_iteratorIjlEEPS9_SG_NS0_5tupleIJPjSI_NS0_16reverse_iteratorISI_EEEEENSH_IJSG_SG_SG_EEES9_SI_JZNS1_25segmented_radix_sort_implINS0_14default_configELb1EPKbPbPKlPlN2at6native12_GLOBAL__N_18offset_tEEE10hipError_tPvRmT1_PNSt15iterator_traitsIS12_E10value_typeET2_T3_PNS13_IS18_E10value_typeET4_jRbjT5_S1E_jjP12ihipStream_tbEUljE_ZNSN_ISO_Lb1ESQ_SR_ST_SU_SY_EESZ_S10_S11_S12_S16_S17_S18_S1B_S1C_jS1D_jS1E_S1E_jjS1G_bEUljE0_EEESZ_S10_S11_S18_S1C_S1E_T6_T7_T9_mT8_S1G_bDpT10_ENKUlT_T0_E_clISt17integral_constantIbLb0EES1U_EEDaS1P_S1Q_EUlS1P_E_NS1_11comp_targetILNS1_3genE8ELNS1_11target_archE1030ELNS1_3gpuE2ELNS1_3repE0EEENS1_30default_config_static_selectorELNS0_4arch9wavefront6targetE0EEEvS12_
                                        ; -- End function
	.section	.AMDGPU.csdata,"",@progbits
; Kernel info:
; codeLenInByte = 0
; NumSgprs: 0
; NumVgprs: 0
; ScratchSize: 0
; MemoryBound: 0
; FloatMode: 240
; IeeeMode: 1
; LDSByteSize: 0 bytes/workgroup (compile time only)
; SGPRBlocks: 0
; VGPRBlocks: 0
; NumSGPRsForWavesPerEU: 1
; NumVGPRsForWavesPerEU: 1
; Occupancy: 16
; WaveLimiterHint : 0
; COMPUTE_PGM_RSRC2:SCRATCH_EN: 0
; COMPUTE_PGM_RSRC2:USER_SGPR: 15
; COMPUTE_PGM_RSRC2:TRAP_HANDLER: 0
; COMPUTE_PGM_RSRC2:TGID_X_EN: 1
; COMPUTE_PGM_RSRC2:TGID_Y_EN: 0
; COMPUTE_PGM_RSRC2:TGID_Z_EN: 0
; COMPUTE_PGM_RSRC2:TIDIG_COMP_CNT: 0
	.section	.text._ZN7rocprim17ROCPRIM_400000_NS6detail17trampoline_kernelINS0_13select_configILj256ELj13ELNS0_17block_load_methodE3ELS4_3ELS4_3ELNS0_20block_scan_algorithmE0ELj4294967295EEENS1_25partition_config_selectorILNS1_17partition_subalgoE4EjNS0_10empty_typeEbEEZZNS1_14partition_implILS8_4ELb0ES6_15HIP_vector_typeIjLj2EENS0_17counting_iteratorIjlEEPS9_SG_NS0_5tupleIJPjSI_NS0_16reverse_iteratorISI_EEEEENSH_IJSG_SG_SG_EEES9_SI_JZNS1_25segmented_radix_sort_implINS0_14default_configELb1EPKbPbPKlPlN2at6native12_GLOBAL__N_18offset_tEEE10hipError_tPvRmT1_PNSt15iterator_traitsIS12_E10value_typeET2_T3_PNS13_IS18_E10value_typeET4_jRbjT5_S1E_jjP12ihipStream_tbEUljE_ZNSN_ISO_Lb1ESQ_SR_ST_SU_SY_EESZ_S10_S11_S12_S16_S17_S18_S1B_S1C_jS1D_jS1E_S1E_jjS1G_bEUljE0_EEESZ_S10_S11_S18_S1C_S1E_T6_T7_T9_mT8_S1G_bDpT10_ENKUlT_T0_E_clISt17integral_constantIbLb1EES1U_EEDaS1P_S1Q_EUlS1P_E_NS1_11comp_targetILNS1_3genE0ELNS1_11target_archE4294967295ELNS1_3gpuE0ELNS1_3repE0EEENS1_30default_config_static_selectorELNS0_4arch9wavefront6targetE0EEEvS12_,"axG",@progbits,_ZN7rocprim17ROCPRIM_400000_NS6detail17trampoline_kernelINS0_13select_configILj256ELj13ELNS0_17block_load_methodE3ELS4_3ELS4_3ELNS0_20block_scan_algorithmE0ELj4294967295EEENS1_25partition_config_selectorILNS1_17partition_subalgoE4EjNS0_10empty_typeEbEEZZNS1_14partition_implILS8_4ELb0ES6_15HIP_vector_typeIjLj2EENS0_17counting_iteratorIjlEEPS9_SG_NS0_5tupleIJPjSI_NS0_16reverse_iteratorISI_EEEEENSH_IJSG_SG_SG_EEES9_SI_JZNS1_25segmented_radix_sort_implINS0_14default_configELb1EPKbPbPKlPlN2at6native12_GLOBAL__N_18offset_tEEE10hipError_tPvRmT1_PNSt15iterator_traitsIS12_E10value_typeET2_T3_PNS13_IS18_E10value_typeET4_jRbjT5_S1E_jjP12ihipStream_tbEUljE_ZNSN_ISO_Lb1ESQ_SR_ST_SU_SY_EESZ_S10_S11_S12_S16_S17_S18_S1B_S1C_jS1D_jS1E_S1E_jjS1G_bEUljE0_EEESZ_S10_S11_S18_S1C_S1E_T6_T7_T9_mT8_S1G_bDpT10_ENKUlT_T0_E_clISt17integral_constantIbLb1EES1U_EEDaS1P_S1Q_EUlS1P_E_NS1_11comp_targetILNS1_3genE0ELNS1_11target_archE4294967295ELNS1_3gpuE0ELNS1_3repE0EEENS1_30default_config_static_selectorELNS0_4arch9wavefront6targetE0EEEvS12_,comdat
	.globl	_ZN7rocprim17ROCPRIM_400000_NS6detail17trampoline_kernelINS0_13select_configILj256ELj13ELNS0_17block_load_methodE3ELS4_3ELS4_3ELNS0_20block_scan_algorithmE0ELj4294967295EEENS1_25partition_config_selectorILNS1_17partition_subalgoE4EjNS0_10empty_typeEbEEZZNS1_14partition_implILS8_4ELb0ES6_15HIP_vector_typeIjLj2EENS0_17counting_iteratorIjlEEPS9_SG_NS0_5tupleIJPjSI_NS0_16reverse_iteratorISI_EEEEENSH_IJSG_SG_SG_EEES9_SI_JZNS1_25segmented_radix_sort_implINS0_14default_configELb1EPKbPbPKlPlN2at6native12_GLOBAL__N_18offset_tEEE10hipError_tPvRmT1_PNSt15iterator_traitsIS12_E10value_typeET2_T3_PNS13_IS18_E10value_typeET4_jRbjT5_S1E_jjP12ihipStream_tbEUljE_ZNSN_ISO_Lb1ESQ_SR_ST_SU_SY_EESZ_S10_S11_S12_S16_S17_S18_S1B_S1C_jS1D_jS1E_S1E_jjS1G_bEUljE0_EEESZ_S10_S11_S18_S1C_S1E_T6_T7_T9_mT8_S1G_bDpT10_ENKUlT_T0_E_clISt17integral_constantIbLb1EES1U_EEDaS1P_S1Q_EUlS1P_E_NS1_11comp_targetILNS1_3genE0ELNS1_11target_archE4294967295ELNS1_3gpuE0ELNS1_3repE0EEENS1_30default_config_static_selectorELNS0_4arch9wavefront6targetE0EEEvS12_ ; -- Begin function _ZN7rocprim17ROCPRIM_400000_NS6detail17trampoline_kernelINS0_13select_configILj256ELj13ELNS0_17block_load_methodE3ELS4_3ELS4_3ELNS0_20block_scan_algorithmE0ELj4294967295EEENS1_25partition_config_selectorILNS1_17partition_subalgoE4EjNS0_10empty_typeEbEEZZNS1_14partition_implILS8_4ELb0ES6_15HIP_vector_typeIjLj2EENS0_17counting_iteratorIjlEEPS9_SG_NS0_5tupleIJPjSI_NS0_16reverse_iteratorISI_EEEEENSH_IJSG_SG_SG_EEES9_SI_JZNS1_25segmented_radix_sort_implINS0_14default_configELb1EPKbPbPKlPlN2at6native12_GLOBAL__N_18offset_tEEE10hipError_tPvRmT1_PNSt15iterator_traitsIS12_E10value_typeET2_T3_PNS13_IS18_E10value_typeET4_jRbjT5_S1E_jjP12ihipStream_tbEUljE_ZNSN_ISO_Lb1ESQ_SR_ST_SU_SY_EESZ_S10_S11_S12_S16_S17_S18_S1B_S1C_jS1D_jS1E_S1E_jjS1G_bEUljE0_EEESZ_S10_S11_S18_S1C_S1E_T6_T7_T9_mT8_S1G_bDpT10_ENKUlT_T0_E_clISt17integral_constantIbLb1EES1U_EEDaS1P_S1Q_EUlS1P_E_NS1_11comp_targetILNS1_3genE0ELNS1_11target_archE4294967295ELNS1_3gpuE0ELNS1_3repE0EEENS1_30default_config_static_selectorELNS0_4arch9wavefront6targetE0EEEvS12_
	.p2align	8
	.type	_ZN7rocprim17ROCPRIM_400000_NS6detail17trampoline_kernelINS0_13select_configILj256ELj13ELNS0_17block_load_methodE3ELS4_3ELS4_3ELNS0_20block_scan_algorithmE0ELj4294967295EEENS1_25partition_config_selectorILNS1_17partition_subalgoE4EjNS0_10empty_typeEbEEZZNS1_14partition_implILS8_4ELb0ES6_15HIP_vector_typeIjLj2EENS0_17counting_iteratorIjlEEPS9_SG_NS0_5tupleIJPjSI_NS0_16reverse_iteratorISI_EEEEENSH_IJSG_SG_SG_EEES9_SI_JZNS1_25segmented_radix_sort_implINS0_14default_configELb1EPKbPbPKlPlN2at6native12_GLOBAL__N_18offset_tEEE10hipError_tPvRmT1_PNSt15iterator_traitsIS12_E10value_typeET2_T3_PNS13_IS18_E10value_typeET4_jRbjT5_S1E_jjP12ihipStream_tbEUljE_ZNSN_ISO_Lb1ESQ_SR_ST_SU_SY_EESZ_S10_S11_S12_S16_S17_S18_S1B_S1C_jS1D_jS1E_S1E_jjS1G_bEUljE0_EEESZ_S10_S11_S18_S1C_S1E_T6_T7_T9_mT8_S1G_bDpT10_ENKUlT_T0_E_clISt17integral_constantIbLb1EES1U_EEDaS1P_S1Q_EUlS1P_E_NS1_11comp_targetILNS1_3genE0ELNS1_11target_archE4294967295ELNS1_3gpuE0ELNS1_3repE0EEENS1_30default_config_static_selectorELNS0_4arch9wavefront6targetE0EEEvS12_,@function
_ZN7rocprim17ROCPRIM_400000_NS6detail17trampoline_kernelINS0_13select_configILj256ELj13ELNS0_17block_load_methodE3ELS4_3ELS4_3ELNS0_20block_scan_algorithmE0ELj4294967295EEENS1_25partition_config_selectorILNS1_17partition_subalgoE4EjNS0_10empty_typeEbEEZZNS1_14partition_implILS8_4ELb0ES6_15HIP_vector_typeIjLj2EENS0_17counting_iteratorIjlEEPS9_SG_NS0_5tupleIJPjSI_NS0_16reverse_iteratorISI_EEEEENSH_IJSG_SG_SG_EEES9_SI_JZNS1_25segmented_radix_sort_implINS0_14default_configELb1EPKbPbPKlPlN2at6native12_GLOBAL__N_18offset_tEEE10hipError_tPvRmT1_PNSt15iterator_traitsIS12_E10value_typeET2_T3_PNS13_IS18_E10value_typeET4_jRbjT5_S1E_jjP12ihipStream_tbEUljE_ZNSN_ISO_Lb1ESQ_SR_ST_SU_SY_EESZ_S10_S11_S12_S16_S17_S18_S1B_S1C_jS1D_jS1E_S1E_jjS1G_bEUljE0_EEESZ_S10_S11_S18_S1C_S1E_T6_T7_T9_mT8_S1G_bDpT10_ENKUlT_T0_E_clISt17integral_constantIbLb1EES1U_EEDaS1P_S1Q_EUlS1P_E_NS1_11comp_targetILNS1_3genE0ELNS1_11target_archE4294967295ELNS1_3gpuE0ELNS1_3repE0EEENS1_30default_config_static_selectorELNS0_4arch9wavefront6targetE0EEEvS12_: ; @_ZN7rocprim17ROCPRIM_400000_NS6detail17trampoline_kernelINS0_13select_configILj256ELj13ELNS0_17block_load_methodE3ELS4_3ELS4_3ELNS0_20block_scan_algorithmE0ELj4294967295EEENS1_25partition_config_selectorILNS1_17partition_subalgoE4EjNS0_10empty_typeEbEEZZNS1_14partition_implILS8_4ELb0ES6_15HIP_vector_typeIjLj2EENS0_17counting_iteratorIjlEEPS9_SG_NS0_5tupleIJPjSI_NS0_16reverse_iteratorISI_EEEEENSH_IJSG_SG_SG_EEES9_SI_JZNS1_25segmented_radix_sort_implINS0_14default_configELb1EPKbPbPKlPlN2at6native12_GLOBAL__N_18offset_tEEE10hipError_tPvRmT1_PNSt15iterator_traitsIS12_E10value_typeET2_T3_PNS13_IS18_E10value_typeET4_jRbjT5_S1E_jjP12ihipStream_tbEUljE_ZNSN_ISO_Lb1ESQ_SR_ST_SU_SY_EESZ_S10_S11_S12_S16_S17_S18_S1B_S1C_jS1D_jS1E_S1E_jjS1G_bEUljE0_EEESZ_S10_S11_S18_S1C_S1E_T6_T7_T9_mT8_S1G_bDpT10_ENKUlT_T0_E_clISt17integral_constantIbLb1EES1U_EEDaS1P_S1Q_EUlS1P_E_NS1_11comp_targetILNS1_3genE0ELNS1_11target_archE4294967295ELNS1_3gpuE0ELNS1_3repE0EEENS1_30default_config_static_selectorELNS0_4arch9wavefront6targetE0EEEvS12_
; %bb.0:
	.section	.rodata,"a",@progbits
	.p2align	6, 0x0
	.amdhsa_kernel _ZN7rocprim17ROCPRIM_400000_NS6detail17trampoline_kernelINS0_13select_configILj256ELj13ELNS0_17block_load_methodE3ELS4_3ELS4_3ELNS0_20block_scan_algorithmE0ELj4294967295EEENS1_25partition_config_selectorILNS1_17partition_subalgoE4EjNS0_10empty_typeEbEEZZNS1_14partition_implILS8_4ELb0ES6_15HIP_vector_typeIjLj2EENS0_17counting_iteratorIjlEEPS9_SG_NS0_5tupleIJPjSI_NS0_16reverse_iteratorISI_EEEEENSH_IJSG_SG_SG_EEES9_SI_JZNS1_25segmented_radix_sort_implINS0_14default_configELb1EPKbPbPKlPlN2at6native12_GLOBAL__N_18offset_tEEE10hipError_tPvRmT1_PNSt15iterator_traitsIS12_E10value_typeET2_T3_PNS13_IS18_E10value_typeET4_jRbjT5_S1E_jjP12ihipStream_tbEUljE_ZNSN_ISO_Lb1ESQ_SR_ST_SU_SY_EESZ_S10_S11_S12_S16_S17_S18_S1B_S1C_jS1D_jS1E_S1E_jjS1G_bEUljE0_EEESZ_S10_S11_S18_S1C_S1E_T6_T7_T9_mT8_S1G_bDpT10_ENKUlT_T0_E_clISt17integral_constantIbLb1EES1U_EEDaS1P_S1Q_EUlS1P_E_NS1_11comp_targetILNS1_3genE0ELNS1_11target_archE4294967295ELNS1_3gpuE0ELNS1_3repE0EEENS1_30default_config_static_selectorELNS0_4arch9wavefront6targetE0EEEvS12_
		.amdhsa_group_segment_fixed_size 0
		.amdhsa_private_segment_fixed_size 0
		.amdhsa_kernarg_size 184
		.amdhsa_user_sgpr_count 15
		.amdhsa_user_sgpr_dispatch_ptr 0
		.amdhsa_user_sgpr_queue_ptr 0
		.amdhsa_user_sgpr_kernarg_segment_ptr 1
		.amdhsa_user_sgpr_dispatch_id 0
		.amdhsa_user_sgpr_private_segment_size 0
		.amdhsa_wavefront_size32 1
		.amdhsa_uses_dynamic_stack 0
		.amdhsa_enable_private_segment 0
		.amdhsa_system_sgpr_workgroup_id_x 1
		.amdhsa_system_sgpr_workgroup_id_y 0
		.amdhsa_system_sgpr_workgroup_id_z 0
		.amdhsa_system_sgpr_workgroup_info 0
		.amdhsa_system_vgpr_workitem_id 0
		.amdhsa_next_free_vgpr 1
		.amdhsa_next_free_sgpr 1
		.amdhsa_reserve_vcc 0
		.amdhsa_float_round_mode_32 0
		.amdhsa_float_round_mode_16_64 0
		.amdhsa_float_denorm_mode_32 3
		.amdhsa_float_denorm_mode_16_64 3
		.amdhsa_dx10_clamp 1
		.amdhsa_ieee_mode 1
		.amdhsa_fp16_overflow 0
		.amdhsa_workgroup_processor_mode 1
		.amdhsa_memory_ordered 1
		.amdhsa_forward_progress 0
		.amdhsa_shared_vgpr_count 0
		.amdhsa_exception_fp_ieee_invalid_op 0
		.amdhsa_exception_fp_denorm_src 0
		.amdhsa_exception_fp_ieee_div_zero 0
		.amdhsa_exception_fp_ieee_overflow 0
		.amdhsa_exception_fp_ieee_underflow 0
		.amdhsa_exception_fp_ieee_inexact 0
		.amdhsa_exception_int_div_zero 0
	.end_amdhsa_kernel
	.section	.text._ZN7rocprim17ROCPRIM_400000_NS6detail17trampoline_kernelINS0_13select_configILj256ELj13ELNS0_17block_load_methodE3ELS4_3ELS4_3ELNS0_20block_scan_algorithmE0ELj4294967295EEENS1_25partition_config_selectorILNS1_17partition_subalgoE4EjNS0_10empty_typeEbEEZZNS1_14partition_implILS8_4ELb0ES6_15HIP_vector_typeIjLj2EENS0_17counting_iteratorIjlEEPS9_SG_NS0_5tupleIJPjSI_NS0_16reverse_iteratorISI_EEEEENSH_IJSG_SG_SG_EEES9_SI_JZNS1_25segmented_radix_sort_implINS0_14default_configELb1EPKbPbPKlPlN2at6native12_GLOBAL__N_18offset_tEEE10hipError_tPvRmT1_PNSt15iterator_traitsIS12_E10value_typeET2_T3_PNS13_IS18_E10value_typeET4_jRbjT5_S1E_jjP12ihipStream_tbEUljE_ZNSN_ISO_Lb1ESQ_SR_ST_SU_SY_EESZ_S10_S11_S12_S16_S17_S18_S1B_S1C_jS1D_jS1E_S1E_jjS1G_bEUljE0_EEESZ_S10_S11_S18_S1C_S1E_T6_T7_T9_mT8_S1G_bDpT10_ENKUlT_T0_E_clISt17integral_constantIbLb1EES1U_EEDaS1P_S1Q_EUlS1P_E_NS1_11comp_targetILNS1_3genE0ELNS1_11target_archE4294967295ELNS1_3gpuE0ELNS1_3repE0EEENS1_30default_config_static_selectorELNS0_4arch9wavefront6targetE0EEEvS12_,"axG",@progbits,_ZN7rocprim17ROCPRIM_400000_NS6detail17trampoline_kernelINS0_13select_configILj256ELj13ELNS0_17block_load_methodE3ELS4_3ELS4_3ELNS0_20block_scan_algorithmE0ELj4294967295EEENS1_25partition_config_selectorILNS1_17partition_subalgoE4EjNS0_10empty_typeEbEEZZNS1_14partition_implILS8_4ELb0ES6_15HIP_vector_typeIjLj2EENS0_17counting_iteratorIjlEEPS9_SG_NS0_5tupleIJPjSI_NS0_16reverse_iteratorISI_EEEEENSH_IJSG_SG_SG_EEES9_SI_JZNS1_25segmented_radix_sort_implINS0_14default_configELb1EPKbPbPKlPlN2at6native12_GLOBAL__N_18offset_tEEE10hipError_tPvRmT1_PNSt15iterator_traitsIS12_E10value_typeET2_T3_PNS13_IS18_E10value_typeET4_jRbjT5_S1E_jjP12ihipStream_tbEUljE_ZNSN_ISO_Lb1ESQ_SR_ST_SU_SY_EESZ_S10_S11_S12_S16_S17_S18_S1B_S1C_jS1D_jS1E_S1E_jjS1G_bEUljE0_EEESZ_S10_S11_S18_S1C_S1E_T6_T7_T9_mT8_S1G_bDpT10_ENKUlT_T0_E_clISt17integral_constantIbLb1EES1U_EEDaS1P_S1Q_EUlS1P_E_NS1_11comp_targetILNS1_3genE0ELNS1_11target_archE4294967295ELNS1_3gpuE0ELNS1_3repE0EEENS1_30default_config_static_selectorELNS0_4arch9wavefront6targetE0EEEvS12_,comdat
.Lfunc_end1476:
	.size	_ZN7rocprim17ROCPRIM_400000_NS6detail17trampoline_kernelINS0_13select_configILj256ELj13ELNS0_17block_load_methodE3ELS4_3ELS4_3ELNS0_20block_scan_algorithmE0ELj4294967295EEENS1_25partition_config_selectorILNS1_17partition_subalgoE4EjNS0_10empty_typeEbEEZZNS1_14partition_implILS8_4ELb0ES6_15HIP_vector_typeIjLj2EENS0_17counting_iteratorIjlEEPS9_SG_NS0_5tupleIJPjSI_NS0_16reverse_iteratorISI_EEEEENSH_IJSG_SG_SG_EEES9_SI_JZNS1_25segmented_radix_sort_implINS0_14default_configELb1EPKbPbPKlPlN2at6native12_GLOBAL__N_18offset_tEEE10hipError_tPvRmT1_PNSt15iterator_traitsIS12_E10value_typeET2_T3_PNS13_IS18_E10value_typeET4_jRbjT5_S1E_jjP12ihipStream_tbEUljE_ZNSN_ISO_Lb1ESQ_SR_ST_SU_SY_EESZ_S10_S11_S12_S16_S17_S18_S1B_S1C_jS1D_jS1E_S1E_jjS1G_bEUljE0_EEESZ_S10_S11_S18_S1C_S1E_T6_T7_T9_mT8_S1G_bDpT10_ENKUlT_T0_E_clISt17integral_constantIbLb1EES1U_EEDaS1P_S1Q_EUlS1P_E_NS1_11comp_targetILNS1_3genE0ELNS1_11target_archE4294967295ELNS1_3gpuE0ELNS1_3repE0EEENS1_30default_config_static_selectorELNS0_4arch9wavefront6targetE0EEEvS12_, .Lfunc_end1476-_ZN7rocprim17ROCPRIM_400000_NS6detail17trampoline_kernelINS0_13select_configILj256ELj13ELNS0_17block_load_methodE3ELS4_3ELS4_3ELNS0_20block_scan_algorithmE0ELj4294967295EEENS1_25partition_config_selectorILNS1_17partition_subalgoE4EjNS0_10empty_typeEbEEZZNS1_14partition_implILS8_4ELb0ES6_15HIP_vector_typeIjLj2EENS0_17counting_iteratorIjlEEPS9_SG_NS0_5tupleIJPjSI_NS0_16reverse_iteratorISI_EEEEENSH_IJSG_SG_SG_EEES9_SI_JZNS1_25segmented_radix_sort_implINS0_14default_configELb1EPKbPbPKlPlN2at6native12_GLOBAL__N_18offset_tEEE10hipError_tPvRmT1_PNSt15iterator_traitsIS12_E10value_typeET2_T3_PNS13_IS18_E10value_typeET4_jRbjT5_S1E_jjP12ihipStream_tbEUljE_ZNSN_ISO_Lb1ESQ_SR_ST_SU_SY_EESZ_S10_S11_S12_S16_S17_S18_S1B_S1C_jS1D_jS1E_S1E_jjS1G_bEUljE0_EEESZ_S10_S11_S18_S1C_S1E_T6_T7_T9_mT8_S1G_bDpT10_ENKUlT_T0_E_clISt17integral_constantIbLb1EES1U_EEDaS1P_S1Q_EUlS1P_E_NS1_11comp_targetILNS1_3genE0ELNS1_11target_archE4294967295ELNS1_3gpuE0ELNS1_3repE0EEENS1_30default_config_static_selectorELNS0_4arch9wavefront6targetE0EEEvS12_
                                        ; -- End function
	.section	.AMDGPU.csdata,"",@progbits
; Kernel info:
; codeLenInByte = 0
; NumSgprs: 0
; NumVgprs: 0
; ScratchSize: 0
; MemoryBound: 0
; FloatMode: 240
; IeeeMode: 1
; LDSByteSize: 0 bytes/workgroup (compile time only)
; SGPRBlocks: 0
; VGPRBlocks: 0
; NumSGPRsForWavesPerEU: 1
; NumVGPRsForWavesPerEU: 1
; Occupancy: 16
; WaveLimiterHint : 0
; COMPUTE_PGM_RSRC2:SCRATCH_EN: 0
; COMPUTE_PGM_RSRC2:USER_SGPR: 15
; COMPUTE_PGM_RSRC2:TRAP_HANDLER: 0
; COMPUTE_PGM_RSRC2:TGID_X_EN: 1
; COMPUTE_PGM_RSRC2:TGID_Y_EN: 0
; COMPUTE_PGM_RSRC2:TGID_Z_EN: 0
; COMPUTE_PGM_RSRC2:TIDIG_COMP_CNT: 0
	.section	.text._ZN7rocprim17ROCPRIM_400000_NS6detail17trampoline_kernelINS0_13select_configILj256ELj13ELNS0_17block_load_methodE3ELS4_3ELS4_3ELNS0_20block_scan_algorithmE0ELj4294967295EEENS1_25partition_config_selectorILNS1_17partition_subalgoE4EjNS0_10empty_typeEbEEZZNS1_14partition_implILS8_4ELb0ES6_15HIP_vector_typeIjLj2EENS0_17counting_iteratorIjlEEPS9_SG_NS0_5tupleIJPjSI_NS0_16reverse_iteratorISI_EEEEENSH_IJSG_SG_SG_EEES9_SI_JZNS1_25segmented_radix_sort_implINS0_14default_configELb1EPKbPbPKlPlN2at6native12_GLOBAL__N_18offset_tEEE10hipError_tPvRmT1_PNSt15iterator_traitsIS12_E10value_typeET2_T3_PNS13_IS18_E10value_typeET4_jRbjT5_S1E_jjP12ihipStream_tbEUljE_ZNSN_ISO_Lb1ESQ_SR_ST_SU_SY_EESZ_S10_S11_S12_S16_S17_S18_S1B_S1C_jS1D_jS1E_S1E_jjS1G_bEUljE0_EEESZ_S10_S11_S18_S1C_S1E_T6_T7_T9_mT8_S1G_bDpT10_ENKUlT_T0_E_clISt17integral_constantIbLb1EES1U_EEDaS1P_S1Q_EUlS1P_E_NS1_11comp_targetILNS1_3genE5ELNS1_11target_archE942ELNS1_3gpuE9ELNS1_3repE0EEENS1_30default_config_static_selectorELNS0_4arch9wavefront6targetE0EEEvS12_,"axG",@progbits,_ZN7rocprim17ROCPRIM_400000_NS6detail17trampoline_kernelINS0_13select_configILj256ELj13ELNS0_17block_load_methodE3ELS4_3ELS4_3ELNS0_20block_scan_algorithmE0ELj4294967295EEENS1_25partition_config_selectorILNS1_17partition_subalgoE4EjNS0_10empty_typeEbEEZZNS1_14partition_implILS8_4ELb0ES6_15HIP_vector_typeIjLj2EENS0_17counting_iteratorIjlEEPS9_SG_NS0_5tupleIJPjSI_NS0_16reverse_iteratorISI_EEEEENSH_IJSG_SG_SG_EEES9_SI_JZNS1_25segmented_radix_sort_implINS0_14default_configELb1EPKbPbPKlPlN2at6native12_GLOBAL__N_18offset_tEEE10hipError_tPvRmT1_PNSt15iterator_traitsIS12_E10value_typeET2_T3_PNS13_IS18_E10value_typeET4_jRbjT5_S1E_jjP12ihipStream_tbEUljE_ZNSN_ISO_Lb1ESQ_SR_ST_SU_SY_EESZ_S10_S11_S12_S16_S17_S18_S1B_S1C_jS1D_jS1E_S1E_jjS1G_bEUljE0_EEESZ_S10_S11_S18_S1C_S1E_T6_T7_T9_mT8_S1G_bDpT10_ENKUlT_T0_E_clISt17integral_constantIbLb1EES1U_EEDaS1P_S1Q_EUlS1P_E_NS1_11comp_targetILNS1_3genE5ELNS1_11target_archE942ELNS1_3gpuE9ELNS1_3repE0EEENS1_30default_config_static_selectorELNS0_4arch9wavefront6targetE0EEEvS12_,comdat
	.globl	_ZN7rocprim17ROCPRIM_400000_NS6detail17trampoline_kernelINS0_13select_configILj256ELj13ELNS0_17block_load_methodE3ELS4_3ELS4_3ELNS0_20block_scan_algorithmE0ELj4294967295EEENS1_25partition_config_selectorILNS1_17partition_subalgoE4EjNS0_10empty_typeEbEEZZNS1_14partition_implILS8_4ELb0ES6_15HIP_vector_typeIjLj2EENS0_17counting_iteratorIjlEEPS9_SG_NS0_5tupleIJPjSI_NS0_16reverse_iteratorISI_EEEEENSH_IJSG_SG_SG_EEES9_SI_JZNS1_25segmented_radix_sort_implINS0_14default_configELb1EPKbPbPKlPlN2at6native12_GLOBAL__N_18offset_tEEE10hipError_tPvRmT1_PNSt15iterator_traitsIS12_E10value_typeET2_T3_PNS13_IS18_E10value_typeET4_jRbjT5_S1E_jjP12ihipStream_tbEUljE_ZNSN_ISO_Lb1ESQ_SR_ST_SU_SY_EESZ_S10_S11_S12_S16_S17_S18_S1B_S1C_jS1D_jS1E_S1E_jjS1G_bEUljE0_EEESZ_S10_S11_S18_S1C_S1E_T6_T7_T9_mT8_S1G_bDpT10_ENKUlT_T0_E_clISt17integral_constantIbLb1EES1U_EEDaS1P_S1Q_EUlS1P_E_NS1_11comp_targetILNS1_3genE5ELNS1_11target_archE942ELNS1_3gpuE9ELNS1_3repE0EEENS1_30default_config_static_selectorELNS0_4arch9wavefront6targetE0EEEvS12_ ; -- Begin function _ZN7rocprim17ROCPRIM_400000_NS6detail17trampoline_kernelINS0_13select_configILj256ELj13ELNS0_17block_load_methodE3ELS4_3ELS4_3ELNS0_20block_scan_algorithmE0ELj4294967295EEENS1_25partition_config_selectorILNS1_17partition_subalgoE4EjNS0_10empty_typeEbEEZZNS1_14partition_implILS8_4ELb0ES6_15HIP_vector_typeIjLj2EENS0_17counting_iteratorIjlEEPS9_SG_NS0_5tupleIJPjSI_NS0_16reverse_iteratorISI_EEEEENSH_IJSG_SG_SG_EEES9_SI_JZNS1_25segmented_radix_sort_implINS0_14default_configELb1EPKbPbPKlPlN2at6native12_GLOBAL__N_18offset_tEEE10hipError_tPvRmT1_PNSt15iterator_traitsIS12_E10value_typeET2_T3_PNS13_IS18_E10value_typeET4_jRbjT5_S1E_jjP12ihipStream_tbEUljE_ZNSN_ISO_Lb1ESQ_SR_ST_SU_SY_EESZ_S10_S11_S12_S16_S17_S18_S1B_S1C_jS1D_jS1E_S1E_jjS1G_bEUljE0_EEESZ_S10_S11_S18_S1C_S1E_T6_T7_T9_mT8_S1G_bDpT10_ENKUlT_T0_E_clISt17integral_constantIbLb1EES1U_EEDaS1P_S1Q_EUlS1P_E_NS1_11comp_targetILNS1_3genE5ELNS1_11target_archE942ELNS1_3gpuE9ELNS1_3repE0EEENS1_30default_config_static_selectorELNS0_4arch9wavefront6targetE0EEEvS12_
	.p2align	8
	.type	_ZN7rocprim17ROCPRIM_400000_NS6detail17trampoline_kernelINS0_13select_configILj256ELj13ELNS0_17block_load_methodE3ELS4_3ELS4_3ELNS0_20block_scan_algorithmE0ELj4294967295EEENS1_25partition_config_selectorILNS1_17partition_subalgoE4EjNS0_10empty_typeEbEEZZNS1_14partition_implILS8_4ELb0ES6_15HIP_vector_typeIjLj2EENS0_17counting_iteratorIjlEEPS9_SG_NS0_5tupleIJPjSI_NS0_16reverse_iteratorISI_EEEEENSH_IJSG_SG_SG_EEES9_SI_JZNS1_25segmented_radix_sort_implINS0_14default_configELb1EPKbPbPKlPlN2at6native12_GLOBAL__N_18offset_tEEE10hipError_tPvRmT1_PNSt15iterator_traitsIS12_E10value_typeET2_T3_PNS13_IS18_E10value_typeET4_jRbjT5_S1E_jjP12ihipStream_tbEUljE_ZNSN_ISO_Lb1ESQ_SR_ST_SU_SY_EESZ_S10_S11_S12_S16_S17_S18_S1B_S1C_jS1D_jS1E_S1E_jjS1G_bEUljE0_EEESZ_S10_S11_S18_S1C_S1E_T6_T7_T9_mT8_S1G_bDpT10_ENKUlT_T0_E_clISt17integral_constantIbLb1EES1U_EEDaS1P_S1Q_EUlS1P_E_NS1_11comp_targetILNS1_3genE5ELNS1_11target_archE942ELNS1_3gpuE9ELNS1_3repE0EEENS1_30default_config_static_selectorELNS0_4arch9wavefront6targetE0EEEvS12_,@function
_ZN7rocprim17ROCPRIM_400000_NS6detail17trampoline_kernelINS0_13select_configILj256ELj13ELNS0_17block_load_methodE3ELS4_3ELS4_3ELNS0_20block_scan_algorithmE0ELj4294967295EEENS1_25partition_config_selectorILNS1_17partition_subalgoE4EjNS0_10empty_typeEbEEZZNS1_14partition_implILS8_4ELb0ES6_15HIP_vector_typeIjLj2EENS0_17counting_iteratorIjlEEPS9_SG_NS0_5tupleIJPjSI_NS0_16reverse_iteratorISI_EEEEENSH_IJSG_SG_SG_EEES9_SI_JZNS1_25segmented_radix_sort_implINS0_14default_configELb1EPKbPbPKlPlN2at6native12_GLOBAL__N_18offset_tEEE10hipError_tPvRmT1_PNSt15iterator_traitsIS12_E10value_typeET2_T3_PNS13_IS18_E10value_typeET4_jRbjT5_S1E_jjP12ihipStream_tbEUljE_ZNSN_ISO_Lb1ESQ_SR_ST_SU_SY_EESZ_S10_S11_S12_S16_S17_S18_S1B_S1C_jS1D_jS1E_S1E_jjS1G_bEUljE0_EEESZ_S10_S11_S18_S1C_S1E_T6_T7_T9_mT8_S1G_bDpT10_ENKUlT_T0_E_clISt17integral_constantIbLb1EES1U_EEDaS1P_S1Q_EUlS1P_E_NS1_11comp_targetILNS1_3genE5ELNS1_11target_archE942ELNS1_3gpuE9ELNS1_3repE0EEENS1_30default_config_static_selectorELNS0_4arch9wavefront6targetE0EEEvS12_: ; @_ZN7rocprim17ROCPRIM_400000_NS6detail17trampoline_kernelINS0_13select_configILj256ELj13ELNS0_17block_load_methodE3ELS4_3ELS4_3ELNS0_20block_scan_algorithmE0ELj4294967295EEENS1_25partition_config_selectorILNS1_17partition_subalgoE4EjNS0_10empty_typeEbEEZZNS1_14partition_implILS8_4ELb0ES6_15HIP_vector_typeIjLj2EENS0_17counting_iteratorIjlEEPS9_SG_NS0_5tupleIJPjSI_NS0_16reverse_iteratorISI_EEEEENSH_IJSG_SG_SG_EEES9_SI_JZNS1_25segmented_radix_sort_implINS0_14default_configELb1EPKbPbPKlPlN2at6native12_GLOBAL__N_18offset_tEEE10hipError_tPvRmT1_PNSt15iterator_traitsIS12_E10value_typeET2_T3_PNS13_IS18_E10value_typeET4_jRbjT5_S1E_jjP12ihipStream_tbEUljE_ZNSN_ISO_Lb1ESQ_SR_ST_SU_SY_EESZ_S10_S11_S12_S16_S17_S18_S1B_S1C_jS1D_jS1E_S1E_jjS1G_bEUljE0_EEESZ_S10_S11_S18_S1C_S1E_T6_T7_T9_mT8_S1G_bDpT10_ENKUlT_T0_E_clISt17integral_constantIbLb1EES1U_EEDaS1P_S1Q_EUlS1P_E_NS1_11comp_targetILNS1_3genE5ELNS1_11target_archE942ELNS1_3gpuE9ELNS1_3repE0EEENS1_30default_config_static_selectorELNS0_4arch9wavefront6targetE0EEEvS12_
; %bb.0:
	.section	.rodata,"a",@progbits
	.p2align	6, 0x0
	.amdhsa_kernel _ZN7rocprim17ROCPRIM_400000_NS6detail17trampoline_kernelINS0_13select_configILj256ELj13ELNS0_17block_load_methodE3ELS4_3ELS4_3ELNS0_20block_scan_algorithmE0ELj4294967295EEENS1_25partition_config_selectorILNS1_17partition_subalgoE4EjNS0_10empty_typeEbEEZZNS1_14partition_implILS8_4ELb0ES6_15HIP_vector_typeIjLj2EENS0_17counting_iteratorIjlEEPS9_SG_NS0_5tupleIJPjSI_NS0_16reverse_iteratorISI_EEEEENSH_IJSG_SG_SG_EEES9_SI_JZNS1_25segmented_radix_sort_implINS0_14default_configELb1EPKbPbPKlPlN2at6native12_GLOBAL__N_18offset_tEEE10hipError_tPvRmT1_PNSt15iterator_traitsIS12_E10value_typeET2_T3_PNS13_IS18_E10value_typeET4_jRbjT5_S1E_jjP12ihipStream_tbEUljE_ZNSN_ISO_Lb1ESQ_SR_ST_SU_SY_EESZ_S10_S11_S12_S16_S17_S18_S1B_S1C_jS1D_jS1E_S1E_jjS1G_bEUljE0_EEESZ_S10_S11_S18_S1C_S1E_T6_T7_T9_mT8_S1G_bDpT10_ENKUlT_T0_E_clISt17integral_constantIbLb1EES1U_EEDaS1P_S1Q_EUlS1P_E_NS1_11comp_targetILNS1_3genE5ELNS1_11target_archE942ELNS1_3gpuE9ELNS1_3repE0EEENS1_30default_config_static_selectorELNS0_4arch9wavefront6targetE0EEEvS12_
		.amdhsa_group_segment_fixed_size 0
		.amdhsa_private_segment_fixed_size 0
		.amdhsa_kernarg_size 184
		.amdhsa_user_sgpr_count 15
		.amdhsa_user_sgpr_dispatch_ptr 0
		.amdhsa_user_sgpr_queue_ptr 0
		.amdhsa_user_sgpr_kernarg_segment_ptr 1
		.amdhsa_user_sgpr_dispatch_id 0
		.amdhsa_user_sgpr_private_segment_size 0
		.amdhsa_wavefront_size32 1
		.amdhsa_uses_dynamic_stack 0
		.amdhsa_enable_private_segment 0
		.amdhsa_system_sgpr_workgroup_id_x 1
		.amdhsa_system_sgpr_workgroup_id_y 0
		.amdhsa_system_sgpr_workgroup_id_z 0
		.amdhsa_system_sgpr_workgroup_info 0
		.amdhsa_system_vgpr_workitem_id 0
		.amdhsa_next_free_vgpr 1
		.amdhsa_next_free_sgpr 1
		.amdhsa_reserve_vcc 0
		.amdhsa_float_round_mode_32 0
		.amdhsa_float_round_mode_16_64 0
		.amdhsa_float_denorm_mode_32 3
		.amdhsa_float_denorm_mode_16_64 3
		.amdhsa_dx10_clamp 1
		.amdhsa_ieee_mode 1
		.amdhsa_fp16_overflow 0
		.amdhsa_workgroup_processor_mode 1
		.amdhsa_memory_ordered 1
		.amdhsa_forward_progress 0
		.amdhsa_shared_vgpr_count 0
		.amdhsa_exception_fp_ieee_invalid_op 0
		.amdhsa_exception_fp_denorm_src 0
		.amdhsa_exception_fp_ieee_div_zero 0
		.amdhsa_exception_fp_ieee_overflow 0
		.amdhsa_exception_fp_ieee_underflow 0
		.amdhsa_exception_fp_ieee_inexact 0
		.amdhsa_exception_int_div_zero 0
	.end_amdhsa_kernel
	.section	.text._ZN7rocprim17ROCPRIM_400000_NS6detail17trampoline_kernelINS0_13select_configILj256ELj13ELNS0_17block_load_methodE3ELS4_3ELS4_3ELNS0_20block_scan_algorithmE0ELj4294967295EEENS1_25partition_config_selectorILNS1_17partition_subalgoE4EjNS0_10empty_typeEbEEZZNS1_14partition_implILS8_4ELb0ES6_15HIP_vector_typeIjLj2EENS0_17counting_iteratorIjlEEPS9_SG_NS0_5tupleIJPjSI_NS0_16reverse_iteratorISI_EEEEENSH_IJSG_SG_SG_EEES9_SI_JZNS1_25segmented_radix_sort_implINS0_14default_configELb1EPKbPbPKlPlN2at6native12_GLOBAL__N_18offset_tEEE10hipError_tPvRmT1_PNSt15iterator_traitsIS12_E10value_typeET2_T3_PNS13_IS18_E10value_typeET4_jRbjT5_S1E_jjP12ihipStream_tbEUljE_ZNSN_ISO_Lb1ESQ_SR_ST_SU_SY_EESZ_S10_S11_S12_S16_S17_S18_S1B_S1C_jS1D_jS1E_S1E_jjS1G_bEUljE0_EEESZ_S10_S11_S18_S1C_S1E_T6_T7_T9_mT8_S1G_bDpT10_ENKUlT_T0_E_clISt17integral_constantIbLb1EES1U_EEDaS1P_S1Q_EUlS1P_E_NS1_11comp_targetILNS1_3genE5ELNS1_11target_archE942ELNS1_3gpuE9ELNS1_3repE0EEENS1_30default_config_static_selectorELNS0_4arch9wavefront6targetE0EEEvS12_,"axG",@progbits,_ZN7rocprim17ROCPRIM_400000_NS6detail17trampoline_kernelINS0_13select_configILj256ELj13ELNS0_17block_load_methodE3ELS4_3ELS4_3ELNS0_20block_scan_algorithmE0ELj4294967295EEENS1_25partition_config_selectorILNS1_17partition_subalgoE4EjNS0_10empty_typeEbEEZZNS1_14partition_implILS8_4ELb0ES6_15HIP_vector_typeIjLj2EENS0_17counting_iteratorIjlEEPS9_SG_NS0_5tupleIJPjSI_NS0_16reverse_iteratorISI_EEEEENSH_IJSG_SG_SG_EEES9_SI_JZNS1_25segmented_radix_sort_implINS0_14default_configELb1EPKbPbPKlPlN2at6native12_GLOBAL__N_18offset_tEEE10hipError_tPvRmT1_PNSt15iterator_traitsIS12_E10value_typeET2_T3_PNS13_IS18_E10value_typeET4_jRbjT5_S1E_jjP12ihipStream_tbEUljE_ZNSN_ISO_Lb1ESQ_SR_ST_SU_SY_EESZ_S10_S11_S12_S16_S17_S18_S1B_S1C_jS1D_jS1E_S1E_jjS1G_bEUljE0_EEESZ_S10_S11_S18_S1C_S1E_T6_T7_T9_mT8_S1G_bDpT10_ENKUlT_T0_E_clISt17integral_constantIbLb1EES1U_EEDaS1P_S1Q_EUlS1P_E_NS1_11comp_targetILNS1_3genE5ELNS1_11target_archE942ELNS1_3gpuE9ELNS1_3repE0EEENS1_30default_config_static_selectorELNS0_4arch9wavefront6targetE0EEEvS12_,comdat
.Lfunc_end1477:
	.size	_ZN7rocprim17ROCPRIM_400000_NS6detail17trampoline_kernelINS0_13select_configILj256ELj13ELNS0_17block_load_methodE3ELS4_3ELS4_3ELNS0_20block_scan_algorithmE0ELj4294967295EEENS1_25partition_config_selectorILNS1_17partition_subalgoE4EjNS0_10empty_typeEbEEZZNS1_14partition_implILS8_4ELb0ES6_15HIP_vector_typeIjLj2EENS0_17counting_iteratorIjlEEPS9_SG_NS0_5tupleIJPjSI_NS0_16reverse_iteratorISI_EEEEENSH_IJSG_SG_SG_EEES9_SI_JZNS1_25segmented_radix_sort_implINS0_14default_configELb1EPKbPbPKlPlN2at6native12_GLOBAL__N_18offset_tEEE10hipError_tPvRmT1_PNSt15iterator_traitsIS12_E10value_typeET2_T3_PNS13_IS18_E10value_typeET4_jRbjT5_S1E_jjP12ihipStream_tbEUljE_ZNSN_ISO_Lb1ESQ_SR_ST_SU_SY_EESZ_S10_S11_S12_S16_S17_S18_S1B_S1C_jS1D_jS1E_S1E_jjS1G_bEUljE0_EEESZ_S10_S11_S18_S1C_S1E_T6_T7_T9_mT8_S1G_bDpT10_ENKUlT_T0_E_clISt17integral_constantIbLb1EES1U_EEDaS1P_S1Q_EUlS1P_E_NS1_11comp_targetILNS1_3genE5ELNS1_11target_archE942ELNS1_3gpuE9ELNS1_3repE0EEENS1_30default_config_static_selectorELNS0_4arch9wavefront6targetE0EEEvS12_, .Lfunc_end1477-_ZN7rocprim17ROCPRIM_400000_NS6detail17trampoline_kernelINS0_13select_configILj256ELj13ELNS0_17block_load_methodE3ELS4_3ELS4_3ELNS0_20block_scan_algorithmE0ELj4294967295EEENS1_25partition_config_selectorILNS1_17partition_subalgoE4EjNS0_10empty_typeEbEEZZNS1_14partition_implILS8_4ELb0ES6_15HIP_vector_typeIjLj2EENS0_17counting_iteratorIjlEEPS9_SG_NS0_5tupleIJPjSI_NS0_16reverse_iteratorISI_EEEEENSH_IJSG_SG_SG_EEES9_SI_JZNS1_25segmented_radix_sort_implINS0_14default_configELb1EPKbPbPKlPlN2at6native12_GLOBAL__N_18offset_tEEE10hipError_tPvRmT1_PNSt15iterator_traitsIS12_E10value_typeET2_T3_PNS13_IS18_E10value_typeET4_jRbjT5_S1E_jjP12ihipStream_tbEUljE_ZNSN_ISO_Lb1ESQ_SR_ST_SU_SY_EESZ_S10_S11_S12_S16_S17_S18_S1B_S1C_jS1D_jS1E_S1E_jjS1G_bEUljE0_EEESZ_S10_S11_S18_S1C_S1E_T6_T7_T9_mT8_S1G_bDpT10_ENKUlT_T0_E_clISt17integral_constantIbLb1EES1U_EEDaS1P_S1Q_EUlS1P_E_NS1_11comp_targetILNS1_3genE5ELNS1_11target_archE942ELNS1_3gpuE9ELNS1_3repE0EEENS1_30default_config_static_selectorELNS0_4arch9wavefront6targetE0EEEvS12_
                                        ; -- End function
	.section	.AMDGPU.csdata,"",@progbits
; Kernel info:
; codeLenInByte = 0
; NumSgprs: 0
; NumVgprs: 0
; ScratchSize: 0
; MemoryBound: 0
; FloatMode: 240
; IeeeMode: 1
; LDSByteSize: 0 bytes/workgroup (compile time only)
; SGPRBlocks: 0
; VGPRBlocks: 0
; NumSGPRsForWavesPerEU: 1
; NumVGPRsForWavesPerEU: 1
; Occupancy: 16
; WaveLimiterHint : 0
; COMPUTE_PGM_RSRC2:SCRATCH_EN: 0
; COMPUTE_PGM_RSRC2:USER_SGPR: 15
; COMPUTE_PGM_RSRC2:TRAP_HANDLER: 0
; COMPUTE_PGM_RSRC2:TGID_X_EN: 1
; COMPUTE_PGM_RSRC2:TGID_Y_EN: 0
; COMPUTE_PGM_RSRC2:TGID_Z_EN: 0
; COMPUTE_PGM_RSRC2:TIDIG_COMP_CNT: 0
	.section	.text._ZN7rocprim17ROCPRIM_400000_NS6detail17trampoline_kernelINS0_13select_configILj256ELj13ELNS0_17block_load_methodE3ELS4_3ELS4_3ELNS0_20block_scan_algorithmE0ELj4294967295EEENS1_25partition_config_selectorILNS1_17partition_subalgoE4EjNS0_10empty_typeEbEEZZNS1_14partition_implILS8_4ELb0ES6_15HIP_vector_typeIjLj2EENS0_17counting_iteratorIjlEEPS9_SG_NS0_5tupleIJPjSI_NS0_16reverse_iteratorISI_EEEEENSH_IJSG_SG_SG_EEES9_SI_JZNS1_25segmented_radix_sort_implINS0_14default_configELb1EPKbPbPKlPlN2at6native12_GLOBAL__N_18offset_tEEE10hipError_tPvRmT1_PNSt15iterator_traitsIS12_E10value_typeET2_T3_PNS13_IS18_E10value_typeET4_jRbjT5_S1E_jjP12ihipStream_tbEUljE_ZNSN_ISO_Lb1ESQ_SR_ST_SU_SY_EESZ_S10_S11_S12_S16_S17_S18_S1B_S1C_jS1D_jS1E_S1E_jjS1G_bEUljE0_EEESZ_S10_S11_S18_S1C_S1E_T6_T7_T9_mT8_S1G_bDpT10_ENKUlT_T0_E_clISt17integral_constantIbLb1EES1U_EEDaS1P_S1Q_EUlS1P_E_NS1_11comp_targetILNS1_3genE4ELNS1_11target_archE910ELNS1_3gpuE8ELNS1_3repE0EEENS1_30default_config_static_selectorELNS0_4arch9wavefront6targetE0EEEvS12_,"axG",@progbits,_ZN7rocprim17ROCPRIM_400000_NS6detail17trampoline_kernelINS0_13select_configILj256ELj13ELNS0_17block_load_methodE3ELS4_3ELS4_3ELNS0_20block_scan_algorithmE0ELj4294967295EEENS1_25partition_config_selectorILNS1_17partition_subalgoE4EjNS0_10empty_typeEbEEZZNS1_14partition_implILS8_4ELb0ES6_15HIP_vector_typeIjLj2EENS0_17counting_iteratorIjlEEPS9_SG_NS0_5tupleIJPjSI_NS0_16reverse_iteratorISI_EEEEENSH_IJSG_SG_SG_EEES9_SI_JZNS1_25segmented_radix_sort_implINS0_14default_configELb1EPKbPbPKlPlN2at6native12_GLOBAL__N_18offset_tEEE10hipError_tPvRmT1_PNSt15iterator_traitsIS12_E10value_typeET2_T3_PNS13_IS18_E10value_typeET4_jRbjT5_S1E_jjP12ihipStream_tbEUljE_ZNSN_ISO_Lb1ESQ_SR_ST_SU_SY_EESZ_S10_S11_S12_S16_S17_S18_S1B_S1C_jS1D_jS1E_S1E_jjS1G_bEUljE0_EEESZ_S10_S11_S18_S1C_S1E_T6_T7_T9_mT8_S1G_bDpT10_ENKUlT_T0_E_clISt17integral_constantIbLb1EES1U_EEDaS1P_S1Q_EUlS1P_E_NS1_11comp_targetILNS1_3genE4ELNS1_11target_archE910ELNS1_3gpuE8ELNS1_3repE0EEENS1_30default_config_static_selectorELNS0_4arch9wavefront6targetE0EEEvS12_,comdat
	.globl	_ZN7rocprim17ROCPRIM_400000_NS6detail17trampoline_kernelINS0_13select_configILj256ELj13ELNS0_17block_load_methodE3ELS4_3ELS4_3ELNS0_20block_scan_algorithmE0ELj4294967295EEENS1_25partition_config_selectorILNS1_17partition_subalgoE4EjNS0_10empty_typeEbEEZZNS1_14partition_implILS8_4ELb0ES6_15HIP_vector_typeIjLj2EENS0_17counting_iteratorIjlEEPS9_SG_NS0_5tupleIJPjSI_NS0_16reverse_iteratorISI_EEEEENSH_IJSG_SG_SG_EEES9_SI_JZNS1_25segmented_radix_sort_implINS0_14default_configELb1EPKbPbPKlPlN2at6native12_GLOBAL__N_18offset_tEEE10hipError_tPvRmT1_PNSt15iterator_traitsIS12_E10value_typeET2_T3_PNS13_IS18_E10value_typeET4_jRbjT5_S1E_jjP12ihipStream_tbEUljE_ZNSN_ISO_Lb1ESQ_SR_ST_SU_SY_EESZ_S10_S11_S12_S16_S17_S18_S1B_S1C_jS1D_jS1E_S1E_jjS1G_bEUljE0_EEESZ_S10_S11_S18_S1C_S1E_T6_T7_T9_mT8_S1G_bDpT10_ENKUlT_T0_E_clISt17integral_constantIbLb1EES1U_EEDaS1P_S1Q_EUlS1P_E_NS1_11comp_targetILNS1_3genE4ELNS1_11target_archE910ELNS1_3gpuE8ELNS1_3repE0EEENS1_30default_config_static_selectorELNS0_4arch9wavefront6targetE0EEEvS12_ ; -- Begin function _ZN7rocprim17ROCPRIM_400000_NS6detail17trampoline_kernelINS0_13select_configILj256ELj13ELNS0_17block_load_methodE3ELS4_3ELS4_3ELNS0_20block_scan_algorithmE0ELj4294967295EEENS1_25partition_config_selectorILNS1_17partition_subalgoE4EjNS0_10empty_typeEbEEZZNS1_14partition_implILS8_4ELb0ES6_15HIP_vector_typeIjLj2EENS0_17counting_iteratorIjlEEPS9_SG_NS0_5tupleIJPjSI_NS0_16reverse_iteratorISI_EEEEENSH_IJSG_SG_SG_EEES9_SI_JZNS1_25segmented_radix_sort_implINS0_14default_configELb1EPKbPbPKlPlN2at6native12_GLOBAL__N_18offset_tEEE10hipError_tPvRmT1_PNSt15iterator_traitsIS12_E10value_typeET2_T3_PNS13_IS18_E10value_typeET4_jRbjT5_S1E_jjP12ihipStream_tbEUljE_ZNSN_ISO_Lb1ESQ_SR_ST_SU_SY_EESZ_S10_S11_S12_S16_S17_S18_S1B_S1C_jS1D_jS1E_S1E_jjS1G_bEUljE0_EEESZ_S10_S11_S18_S1C_S1E_T6_T7_T9_mT8_S1G_bDpT10_ENKUlT_T0_E_clISt17integral_constantIbLb1EES1U_EEDaS1P_S1Q_EUlS1P_E_NS1_11comp_targetILNS1_3genE4ELNS1_11target_archE910ELNS1_3gpuE8ELNS1_3repE0EEENS1_30default_config_static_selectorELNS0_4arch9wavefront6targetE0EEEvS12_
	.p2align	8
	.type	_ZN7rocprim17ROCPRIM_400000_NS6detail17trampoline_kernelINS0_13select_configILj256ELj13ELNS0_17block_load_methodE3ELS4_3ELS4_3ELNS0_20block_scan_algorithmE0ELj4294967295EEENS1_25partition_config_selectorILNS1_17partition_subalgoE4EjNS0_10empty_typeEbEEZZNS1_14partition_implILS8_4ELb0ES6_15HIP_vector_typeIjLj2EENS0_17counting_iteratorIjlEEPS9_SG_NS0_5tupleIJPjSI_NS0_16reverse_iteratorISI_EEEEENSH_IJSG_SG_SG_EEES9_SI_JZNS1_25segmented_radix_sort_implINS0_14default_configELb1EPKbPbPKlPlN2at6native12_GLOBAL__N_18offset_tEEE10hipError_tPvRmT1_PNSt15iterator_traitsIS12_E10value_typeET2_T3_PNS13_IS18_E10value_typeET4_jRbjT5_S1E_jjP12ihipStream_tbEUljE_ZNSN_ISO_Lb1ESQ_SR_ST_SU_SY_EESZ_S10_S11_S12_S16_S17_S18_S1B_S1C_jS1D_jS1E_S1E_jjS1G_bEUljE0_EEESZ_S10_S11_S18_S1C_S1E_T6_T7_T9_mT8_S1G_bDpT10_ENKUlT_T0_E_clISt17integral_constantIbLb1EES1U_EEDaS1P_S1Q_EUlS1P_E_NS1_11comp_targetILNS1_3genE4ELNS1_11target_archE910ELNS1_3gpuE8ELNS1_3repE0EEENS1_30default_config_static_selectorELNS0_4arch9wavefront6targetE0EEEvS12_,@function
_ZN7rocprim17ROCPRIM_400000_NS6detail17trampoline_kernelINS0_13select_configILj256ELj13ELNS0_17block_load_methodE3ELS4_3ELS4_3ELNS0_20block_scan_algorithmE0ELj4294967295EEENS1_25partition_config_selectorILNS1_17partition_subalgoE4EjNS0_10empty_typeEbEEZZNS1_14partition_implILS8_4ELb0ES6_15HIP_vector_typeIjLj2EENS0_17counting_iteratorIjlEEPS9_SG_NS0_5tupleIJPjSI_NS0_16reverse_iteratorISI_EEEEENSH_IJSG_SG_SG_EEES9_SI_JZNS1_25segmented_radix_sort_implINS0_14default_configELb1EPKbPbPKlPlN2at6native12_GLOBAL__N_18offset_tEEE10hipError_tPvRmT1_PNSt15iterator_traitsIS12_E10value_typeET2_T3_PNS13_IS18_E10value_typeET4_jRbjT5_S1E_jjP12ihipStream_tbEUljE_ZNSN_ISO_Lb1ESQ_SR_ST_SU_SY_EESZ_S10_S11_S12_S16_S17_S18_S1B_S1C_jS1D_jS1E_S1E_jjS1G_bEUljE0_EEESZ_S10_S11_S18_S1C_S1E_T6_T7_T9_mT8_S1G_bDpT10_ENKUlT_T0_E_clISt17integral_constantIbLb1EES1U_EEDaS1P_S1Q_EUlS1P_E_NS1_11comp_targetILNS1_3genE4ELNS1_11target_archE910ELNS1_3gpuE8ELNS1_3repE0EEENS1_30default_config_static_selectorELNS0_4arch9wavefront6targetE0EEEvS12_: ; @_ZN7rocprim17ROCPRIM_400000_NS6detail17trampoline_kernelINS0_13select_configILj256ELj13ELNS0_17block_load_methodE3ELS4_3ELS4_3ELNS0_20block_scan_algorithmE0ELj4294967295EEENS1_25partition_config_selectorILNS1_17partition_subalgoE4EjNS0_10empty_typeEbEEZZNS1_14partition_implILS8_4ELb0ES6_15HIP_vector_typeIjLj2EENS0_17counting_iteratorIjlEEPS9_SG_NS0_5tupleIJPjSI_NS0_16reverse_iteratorISI_EEEEENSH_IJSG_SG_SG_EEES9_SI_JZNS1_25segmented_radix_sort_implINS0_14default_configELb1EPKbPbPKlPlN2at6native12_GLOBAL__N_18offset_tEEE10hipError_tPvRmT1_PNSt15iterator_traitsIS12_E10value_typeET2_T3_PNS13_IS18_E10value_typeET4_jRbjT5_S1E_jjP12ihipStream_tbEUljE_ZNSN_ISO_Lb1ESQ_SR_ST_SU_SY_EESZ_S10_S11_S12_S16_S17_S18_S1B_S1C_jS1D_jS1E_S1E_jjS1G_bEUljE0_EEESZ_S10_S11_S18_S1C_S1E_T6_T7_T9_mT8_S1G_bDpT10_ENKUlT_T0_E_clISt17integral_constantIbLb1EES1U_EEDaS1P_S1Q_EUlS1P_E_NS1_11comp_targetILNS1_3genE4ELNS1_11target_archE910ELNS1_3gpuE8ELNS1_3repE0EEENS1_30default_config_static_selectorELNS0_4arch9wavefront6targetE0EEEvS12_
; %bb.0:
	.section	.rodata,"a",@progbits
	.p2align	6, 0x0
	.amdhsa_kernel _ZN7rocprim17ROCPRIM_400000_NS6detail17trampoline_kernelINS0_13select_configILj256ELj13ELNS0_17block_load_methodE3ELS4_3ELS4_3ELNS0_20block_scan_algorithmE0ELj4294967295EEENS1_25partition_config_selectorILNS1_17partition_subalgoE4EjNS0_10empty_typeEbEEZZNS1_14partition_implILS8_4ELb0ES6_15HIP_vector_typeIjLj2EENS0_17counting_iteratorIjlEEPS9_SG_NS0_5tupleIJPjSI_NS0_16reverse_iteratorISI_EEEEENSH_IJSG_SG_SG_EEES9_SI_JZNS1_25segmented_radix_sort_implINS0_14default_configELb1EPKbPbPKlPlN2at6native12_GLOBAL__N_18offset_tEEE10hipError_tPvRmT1_PNSt15iterator_traitsIS12_E10value_typeET2_T3_PNS13_IS18_E10value_typeET4_jRbjT5_S1E_jjP12ihipStream_tbEUljE_ZNSN_ISO_Lb1ESQ_SR_ST_SU_SY_EESZ_S10_S11_S12_S16_S17_S18_S1B_S1C_jS1D_jS1E_S1E_jjS1G_bEUljE0_EEESZ_S10_S11_S18_S1C_S1E_T6_T7_T9_mT8_S1G_bDpT10_ENKUlT_T0_E_clISt17integral_constantIbLb1EES1U_EEDaS1P_S1Q_EUlS1P_E_NS1_11comp_targetILNS1_3genE4ELNS1_11target_archE910ELNS1_3gpuE8ELNS1_3repE0EEENS1_30default_config_static_selectorELNS0_4arch9wavefront6targetE0EEEvS12_
		.amdhsa_group_segment_fixed_size 0
		.amdhsa_private_segment_fixed_size 0
		.amdhsa_kernarg_size 184
		.amdhsa_user_sgpr_count 15
		.amdhsa_user_sgpr_dispatch_ptr 0
		.amdhsa_user_sgpr_queue_ptr 0
		.amdhsa_user_sgpr_kernarg_segment_ptr 1
		.amdhsa_user_sgpr_dispatch_id 0
		.amdhsa_user_sgpr_private_segment_size 0
		.amdhsa_wavefront_size32 1
		.amdhsa_uses_dynamic_stack 0
		.amdhsa_enable_private_segment 0
		.amdhsa_system_sgpr_workgroup_id_x 1
		.amdhsa_system_sgpr_workgroup_id_y 0
		.amdhsa_system_sgpr_workgroup_id_z 0
		.amdhsa_system_sgpr_workgroup_info 0
		.amdhsa_system_vgpr_workitem_id 0
		.amdhsa_next_free_vgpr 1
		.amdhsa_next_free_sgpr 1
		.amdhsa_reserve_vcc 0
		.amdhsa_float_round_mode_32 0
		.amdhsa_float_round_mode_16_64 0
		.amdhsa_float_denorm_mode_32 3
		.amdhsa_float_denorm_mode_16_64 3
		.amdhsa_dx10_clamp 1
		.amdhsa_ieee_mode 1
		.amdhsa_fp16_overflow 0
		.amdhsa_workgroup_processor_mode 1
		.amdhsa_memory_ordered 1
		.amdhsa_forward_progress 0
		.amdhsa_shared_vgpr_count 0
		.amdhsa_exception_fp_ieee_invalid_op 0
		.amdhsa_exception_fp_denorm_src 0
		.amdhsa_exception_fp_ieee_div_zero 0
		.amdhsa_exception_fp_ieee_overflow 0
		.amdhsa_exception_fp_ieee_underflow 0
		.amdhsa_exception_fp_ieee_inexact 0
		.amdhsa_exception_int_div_zero 0
	.end_amdhsa_kernel
	.section	.text._ZN7rocprim17ROCPRIM_400000_NS6detail17trampoline_kernelINS0_13select_configILj256ELj13ELNS0_17block_load_methodE3ELS4_3ELS4_3ELNS0_20block_scan_algorithmE0ELj4294967295EEENS1_25partition_config_selectorILNS1_17partition_subalgoE4EjNS0_10empty_typeEbEEZZNS1_14partition_implILS8_4ELb0ES6_15HIP_vector_typeIjLj2EENS0_17counting_iteratorIjlEEPS9_SG_NS0_5tupleIJPjSI_NS0_16reverse_iteratorISI_EEEEENSH_IJSG_SG_SG_EEES9_SI_JZNS1_25segmented_radix_sort_implINS0_14default_configELb1EPKbPbPKlPlN2at6native12_GLOBAL__N_18offset_tEEE10hipError_tPvRmT1_PNSt15iterator_traitsIS12_E10value_typeET2_T3_PNS13_IS18_E10value_typeET4_jRbjT5_S1E_jjP12ihipStream_tbEUljE_ZNSN_ISO_Lb1ESQ_SR_ST_SU_SY_EESZ_S10_S11_S12_S16_S17_S18_S1B_S1C_jS1D_jS1E_S1E_jjS1G_bEUljE0_EEESZ_S10_S11_S18_S1C_S1E_T6_T7_T9_mT8_S1G_bDpT10_ENKUlT_T0_E_clISt17integral_constantIbLb1EES1U_EEDaS1P_S1Q_EUlS1P_E_NS1_11comp_targetILNS1_3genE4ELNS1_11target_archE910ELNS1_3gpuE8ELNS1_3repE0EEENS1_30default_config_static_selectorELNS0_4arch9wavefront6targetE0EEEvS12_,"axG",@progbits,_ZN7rocprim17ROCPRIM_400000_NS6detail17trampoline_kernelINS0_13select_configILj256ELj13ELNS0_17block_load_methodE3ELS4_3ELS4_3ELNS0_20block_scan_algorithmE0ELj4294967295EEENS1_25partition_config_selectorILNS1_17partition_subalgoE4EjNS0_10empty_typeEbEEZZNS1_14partition_implILS8_4ELb0ES6_15HIP_vector_typeIjLj2EENS0_17counting_iteratorIjlEEPS9_SG_NS0_5tupleIJPjSI_NS0_16reverse_iteratorISI_EEEEENSH_IJSG_SG_SG_EEES9_SI_JZNS1_25segmented_radix_sort_implINS0_14default_configELb1EPKbPbPKlPlN2at6native12_GLOBAL__N_18offset_tEEE10hipError_tPvRmT1_PNSt15iterator_traitsIS12_E10value_typeET2_T3_PNS13_IS18_E10value_typeET4_jRbjT5_S1E_jjP12ihipStream_tbEUljE_ZNSN_ISO_Lb1ESQ_SR_ST_SU_SY_EESZ_S10_S11_S12_S16_S17_S18_S1B_S1C_jS1D_jS1E_S1E_jjS1G_bEUljE0_EEESZ_S10_S11_S18_S1C_S1E_T6_T7_T9_mT8_S1G_bDpT10_ENKUlT_T0_E_clISt17integral_constantIbLb1EES1U_EEDaS1P_S1Q_EUlS1P_E_NS1_11comp_targetILNS1_3genE4ELNS1_11target_archE910ELNS1_3gpuE8ELNS1_3repE0EEENS1_30default_config_static_selectorELNS0_4arch9wavefront6targetE0EEEvS12_,comdat
.Lfunc_end1478:
	.size	_ZN7rocprim17ROCPRIM_400000_NS6detail17trampoline_kernelINS0_13select_configILj256ELj13ELNS0_17block_load_methodE3ELS4_3ELS4_3ELNS0_20block_scan_algorithmE0ELj4294967295EEENS1_25partition_config_selectorILNS1_17partition_subalgoE4EjNS0_10empty_typeEbEEZZNS1_14partition_implILS8_4ELb0ES6_15HIP_vector_typeIjLj2EENS0_17counting_iteratorIjlEEPS9_SG_NS0_5tupleIJPjSI_NS0_16reverse_iteratorISI_EEEEENSH_IJSG_SG_SG_EEES9_SI_JZNS1_25segmented_radix_sort_implINS0_14default_configELb1EPKbPbPKlPlN2at6native12_GLOBAL__N_18offset_tEEE10hipError_tPvRmT1_PNSt15iterator_traitsIS12_E10value_typeET2_T3_PNS13_IS18_E10value_typeET4_jRbjT5_S1E_jjP12ihipStream_tbEUljE_ZNSN_ISO_Lb1ESQ_SR_ST_SU_SY_EESZ_S10_S11_S12_S16_S17_S18_S1B_S1C_jS1D_jS1E_S1E_jjS1G_bEUljE0_EEESZ_S10_S11_S18_S1C_S1E_T6_T7_T9_mT8_S1G_bDpT10_ENKUlT_T0_E_clISt17integral_constantIbLb1EES1U_EEDaS1P_S1Q_EUlS1P_E_NS1_11comp_targetILNS1_3genE4ELNS1_11target_archE910ELNS1_3gpuE8ELNS1_3repE0EEENS1_30default_config_static_selectorELNS0_4arch9wavefront6targetE0EEEvS12_, .Lfunc_end1478-_ZN7rocprim17ROCPRIM_400000_NS6detail17trampoline_kernelINS0_13select_configILj256ELj13ELNS0_17block_load_methodE3ELS4_3ELS4_3ELNS0_20block_scan_algorithmE0ELj4294967295EEENS1_25partition_config_selectorILNS1_17partition_subalgoE4EjNS0_10empty_typeEbEEZZNS1_14partition_implILS8_4ELb0ES6_15HIP_vector_typeIjLj2EENS0_17counting_iteratorIjlEEPS9_SG_NS0_5tupleIJPjSI_NS0_16reverse_iteratorISI_EEEEENSH_IJSG_SG_SG_EEES9_SI_JZNS1_25segmented_radix_sort_implINS0_14default_configELb1EPKbPbPKlPlN2at6native12_GLOBAL__N_18offset_tEEE10hipError_tPvRmT1_PNSt15iterator_traitsIS12_E10value_typeET2_T3_PNS13_IS18_E10value_typeET4_jRbjT5_S1E_jjP12ihipStream_tbEUljE_ZNSN_ISO_Lb1ESQ_SR_ST_SU_SY_EESZ_S10_S11_S12_S16_S17_S18_S1B_S1C_jS1D_jS1E_S1E_jjS1G_bEUljE0_EEESZ_S10_S11_S18_S1C_S1E_T6_T7_T9_mT8_S1G_bDpT10_ENKUlT_T0_E_clISt17integral_constantIbLb1EES1U_EEDaS1P_S1Q_EUlS1P_E_NS1_11comp_targetILNS1_3genE4ELNS1_11target_archE910ELNS1_3gpuE8ELNS1_3repE0EEENS1_30default_config_static_selectorELNS0_4arch9wavefront6targetE0EEEvS12_
                                        ; -- End function
	.section	.AMDGPU.csdata,"",@progbits
; Kernel info:
; codeLenInByte = 0
; NumSgprs: 0
; NumVgprs: 0
; ScratchSize: 0
; MemoryBound: 0
; FloatMode: 240
; IeeeMode: 1
; LDSByteSize: 0 bytes/workgroup (compile time only)
; SGPRBlocks: 0
; VGPRBlocks: 0
; NumSGPRsForWavesPerEU: 1
; NumVGPRsForWavesPerEU: 1
; Occupancy: 16
; WaveLimiterHint : 0
; COMPUTE_PGM_RSRC2:SCRATCH_EN: 0
; COMPUTE_PGM_RSRC2:USER_SGPR: 15
; COMPUTE_PGM_RSRC2:TRAP_HANDLER: 0
; COMPUTE_PGM_RSRC2:TGID_X_EN: 1
; COMPUTE_PGM_RSRC2:TGID_Y_EN: 0
; COMPUTE_PGM_RSRC2:TGID_Z_EN: 0
; COMPUTE_PGM_RSRC2:TIDIG_COMP_CNT: 0
	.section	.text._ZN7rocprim17ROCPRIM_400000_NS6detail17trampoline_kernelINS0_13select_configILj256ELj13ELNS0_17block_load_methodE3ELS4_3ELS4_3ELNS0_20block_scan_algorithmE0ELj4294967295EEENS1_25partition_config_selectorILNS1_17partition_subalgoE4EjNS0_10empty_typeEbEEZZNS1_14partition_implILS8_4ELb0ES6_15HIP_vector_typeIjLj2EENS0_17counting_iteratorIjlEEPS9_SG_NS0_5tupleIJPjSI_NS0_16reverse_iteratorISI_EEEEENSH_IJSG_SG_SG_EEES9_SI_JZNS1_25segmented_radix_sort_implINS0_14default_configELb1EPKbPbPKlPlN2at6native12_GLOBAL__N_18offset_tEEE10hipError_tPvRmT1_PNSt15iterator_traitsIS12_E10value_typeET2_T3_PNS13_IS18_E10value_typeET4_jRbjT5_S1E_jjP12ihipStream_tbEUljE_ZNSN_ISO_Lb1ESQ_SR_ST_SU_SY_EESZ_S10_S11_S12_S16_S17_S18_S1B_S1C_jS1D_jS1E_S1E_jjS1G_bEUljE0_EEESZ_S10_S11_S18_S1C_S1E_T6_T7_T9_mT8_S1G_bDpT10_ENKUlT_T0_E_clISt17integral_constantIbLb1EES1U_EEDaS1P_S1Q_EUlS1P_E_NS1_11comp_targetILNS1_3genE3ELNS1_11target_archE908ELNS1_3gpuE7ELNS1_3repE0EEENS1_30default_config_static_selectorELNS0_4arch9wavefront6targetE0EEEvS12_,"axG",@progbits,_ZN7rocprim17ROCPRIM_400000_NS6detail17trampoline_kernelINS0_13select_configILj256ELj13ELNS0_17block_load_methodE3ELS4_3ELS4_3ELNS0_20block_scan_algorithmE0ELj4294967295EEENS1_25partition_config_selectorILNS1_17partition_subalgoE4EjNS0_10empty_typeEbEEZZNS1_14partition_implILS8_4ELb0ES6_15HIP_vector_typeIjLj2EENS0_17counting_iteratorIjlEEPS9_SG_NS0_5tupleIJPjSI_NS0_16reverse_iteratorISI_EEEEENSH_IJSG_SG_SG_EEES9_SI_JZNS1_25segmented_radix_sort_implINS0_14default_configELb1EPKbPbPKlPlN2at6native12_GLOBAL__N_18offset_tEEE10hipError_tPvRmT1_PNSt15iterator_traitsIS12_E10value_typeET2_T3_PNS13_IS18_E10value_typeET4_jRbjT5_S1E_jjP12ihipStream_tbEUljE_ZNSN_ISO_Lb1ESQ_SR_ST_SU_SY_EESZ_S10_S11_S12_S16_S17_S18_S1B_S1C_jS1D_jS1E_S1E_jjS1G_bEUljE0_EEESZ_S10_S11_S18_S1C_S1E_T6_T7_T9_mT8_S1G_bDpT10_ENKUlT_T0_E_clISt17integral_constantIbLb1EES1U_EEDaS1P_S1Q_EUlS1P_E_NS1_11comp_targetILNS1_3genE3ELNS1_11target_archE908ELNS1_3gpuE7ELNS1_3repE0EEENS1_30default_config_static_selectorELNS0_4arch9wavefront6targetE0EEEvS12_,comdat
	.globl	_ZN7rocprim17ROCPRIM_400000_NS6detail17trampoline_kernelINS0_13select_configILj256ELj13ELNS0_17block_load_methodE3ELS4_3ELS4_3ELNS0_20block_scan_algorithmE0ELj4294967295EEENS1_25partition_config_selectorILNS1_17partition_subalgoE4EjNS0_10empty_typeEbEEZZNS1_14partition_implILS8_4ELb0ES6_15HIP_vector_typeIjLj2EENS0_17counting_iteratorIjlEEPS9_SG_NS0_5tupleIJPjSI_NS0_16reverse_iteratorISI_EEEEENSH_IJSG_SG_SG_EEES9_SI_JZNS1_25segmented_radix_sort_implINS0_14default_configELb1EPKbPbPKlPlN2at6native12_GLOBAL__N_18offset_tEEE10hipError_tPvRmT1_PNSt15iterator_traitsIS12_E10value_typeET2_T3_PNS13_IS18_E10value_typeET4_jRbjT5_S1E_jjP12ihipStream_tbEUljE_ZNSN_ISO_Lb1ESQ_SR_ST_SU_SY_EESZ_S10_S11_S12_S16_S17_S18_S1B_S1C_jS1D_jS1E_S1E_jjS1G_bEUljE0_EEESZ_S10_S11_S18_S1C_S1E_T6_T7_T9_mT8_S1G_bDpT10_ENKUlT_T0_E_clISt17integral_constantIbLb1EES1U_EEDaS1P_S1Q_EUlS1P_E_NS1_11comp_targetILNS1_3genE3ELNS1_11target_archE908ELNS1_3gpuE7ELNS1_3repE0EEENS1_30default_config_static_selectorELNS0_4arch9wavefront6targetE0EEEvS12_ ; -- Begin function _ZN7rocprim17ROCPRIM_400000_NS6detail17trampoline_kernelINS0_13select_configILj256ELj13ELNS0_17block_load_methodE3ELS4_3ELS4_3ELNS0_20block_scan_algorithmE0ELj4294967295EEENS1_25partition_config_selectorILNS1_17partition_subalgoE4EjNS0_10empty_typeEbEEZZNS1_14partition_implILS8_4ELb0ES6_15HIP_vector_typeIjLj2EENS0_17counting_iteratorIjlEEPS9_SG_NS0_5tupleIJPjSI_NS0_16reverse_iteratorISI_EEEEENSH_IJSG_SG_SG_EEES9_SI_JZNS1_25segmented_radix_sort_implINS0_14default_configELb1EPKbPbPKlPlN2at6native12_GLOBAL__N_18offset_tEEE10hipError_tPvRmT1_PNSt15iterator_traitsIS12_E10value_typeET2_T3_PNS13_IS18_E10value_typeET4_jRbjT5_S1E_jjP12ihipStream_tbEUljE_ZNSN_ISO_Lb1ESQ_SR_ST_SU_SY_EESZ_S10_S11_S12_S16_S17_S18_S1B_S1C_jS1D_jS1E_S1E_jjS1G_bEUljE0_EEESZ_S10_S11_S18_S1C_S1E_T6_T7_T9_mT8_S1G_bDpT10_ENKUlT_T0_E_clISt17integral_constantIbLb1EES1U_EEDaS1P_S1Q_EUlS1P_E_NS1_11comp_targetILNS1_3genE3ELNS1_11target_archE908ELNS1_3gpuE7ELNS1_3repE0EEENS1_30default_config_static_selectorELNS0_4arch9wavefront6targetE0EEEvS12_
	.p2align	8
	.type	_ZN7rocprim17ROCPRIM_400000_NS6detail17trampoline_kernelINS0_13select_configILj256ELj13ELNS0_17block_load_methodE3ELS4_3ELS4_3ELNS0_20block_scan_algorithmE0ELj4294967295EEENS1_25partition_config_selectorILNS1_17partition_subalgoE4EjNS0_10empty_typeEbEEZZNS1_14partition_implILS8_4ELb0ES6_15HIP_vector_typeIjLj2EENS0_17counting_iteratorIjlEEPS9_SG_NS0_5tupleIJPjSI_NS0_16reverse_iteratorISI_EEEEENSH_IJSG_SG_SG_EEES9_SI_JZNS1_25segmented_radix_sort_implINS0_14default_configELb1EPKbPbPKlPlN2at6native12_GLOBAL__N_18offset_tEEE10hipError_tPvRmT1_PNSt15iterator_traitsIS12_E10value_typeET2_T3_PNS13_IS18_E10value_typeET4_jRbjT5_S1E_jjP12ihipStream_tbEUljE_ZNSN_ISO_Lb1ESQ_SR_ST_SU_SY_EESZ_S10_S11_S12_S16_S17_S18_S1B_S1C_jS1D_jS1E_S1E_jjS1G_bEUljE0_EEESZ_S10_S11_S18_S1C_S1E_T6_T7_T9_mT8_S1G_bDpT10_ENKUlT_T0_E_clISt17integral_constantIbLb1EES1U_EEDaS1P_S1Q_EUlS1P_E_NS1_11comp_targetILNS1_3genE3ELNS1_11target_archE908ELNS1_3gpuE7ELNS1_3repE0EEENS1_30default_config_static_selectorELNS0_4arch9wavefront6targetE0EEEvS12_,@function
_ZN7rocprim17ROCPRIM_400000_NS6detail17trampoline_kernelINS0_13select_configILj256ELj13ELNS0_17block_load_methodE3ELS4_3ELS4_3ELNS0_20block_scan_algorithmE0ELj4294967295EEENS1_25partition_config_selectorILNS1_17partition_subalgoE4EjNS0_10empty_typeEbEEZZNS1_14partition_implILS8_4ELb0ES6_15HIP_vector_typeIjLj2EENS0_17counting_iteratorIjlEEPS9_SG_NS0_5tupleIJPjSI_NS0_16reverse_iteratorISI_EEEEENSH_IJSG_SG_SG_EEES9_SI_JZNS1_25segmented_radix_sort_implINS0_14default_configELb1EPKbPbPKlPlN2at6native12_GLOBAL__N_18offset_tEEE10hipError_tPvRmT1_PNSt15iterator_traitsIS12_E10value_typeET2_T3_PNS13_IS18_E10value_typeET4_jRbjT5_S1E_jjP12ihipStream_tbEUljE_ZNSN_ISO_Lb1ESQ_SR_ST_SU_SY_EESZ_S10_S11_S12_S16_S17_S18_S1B_S1C_jS1D_jS1E_S1E_jjS1G_bEUljE0_EEESZ_S10_S11_S18_S1C_S1E_T6_T7_T9_mT8_S1G_bDpT10_ENKUlT_T0_E_clISt17integral_constantIbLb1EES1U_EEDaS1P_S1Q_EUlS1P_E_NS1_11comp_targetILNS1_3genE3ELNS1_11target_archE908ELNS1_3gpuE7ELNS1_3repE0EEENS1_30default_config_static_selectorELNS0_4arch9wavefront6targetE0EEEvS12_: ; @_ZN7rocprim17ROCPRIM_400000_NS6detail17trampoline_kernelINS0_13select_configILj256ELj13ELNS0_17block_load_methodE3ELS4_3ELS4_3ELNS0_20block_scan_algorithmE0ELj4294967295EEENS1_25partition_config_selectorILNS1_17partition_subalgoE4EjNS0_10empty_typeEbEEZZNS1_14partition_implILS8_4ELb0ES6_15HIP_vector_typeIjLj2EENS0_17counting_iteratorIjlEEPS9_SG_NS0_5tupleIJPjSI_NS0_16reverse_iteratorISI_EEEEENSH_IJSG_SG_SG_EEES9_SI_JZNS1_25segmented_radix_sort_implINS0_14default_configELb1EPKbPbPKlPlN2at6native12_GLOBAL__N_18offset_tEEE10hipError_tPvRmT1_PNSt15iterator_traitsIS12_E10value_typeET2_T3_PNS13_IS18_E10value_typeET4_jRbjT5_S1E_jjP12ihipStream_tbEUljE_ZNSN_ISO_Lb1ESQ_SR_ST_SU_SY_EESZ_S10_S11_S12_S16_S17_S18_S1B_S1C_jS1D_jS1E_S1E_jjS1G_bEUljE0_EEESZ_S10_S11_S18_S1C_S1E_T6_T7_T9_mT8_S1G_bDpT10_ENKUlT_T0_E_clISt17integral_constantIbLb1EES1U_EEDaS1P_S1Q_EUlS1P_E_NS1_11comp_targetILNS1_3genE3ELNS1_11target_archE908ELNS1_3gpuE7ELNS1_3repE0EEENS1_30default_config_static_selectorELNS0_4arch9wavefront6targetE0EEEvS12_
; %bb.0:
	.section	.rodata,"a",@progbits
	.p2align	6, 0x0
	.amdhsa_kernel _ZN7rocprim17ROCPRIM_400000_NS6detail17trampoline_kernelINS0_13select_configILj256ELj13ELNS0_17block_load_methodE3ELS4_3ELS4_3ELNS0_20block_scan_algorithmE0ELj4294967295EEENS1_25partition_config_selectorILNS1_17partition_subalgoE4EjNS0_10empty_typeEbEEZZNS1_14partition_implILS8_4ELb0ES6_15HIP_vector_typeIjLj2EENS0_17counting_iteratorIjlEEPS9_SG_NS0_5tupleIJPjSI_NS0_16reverse_iteratorISI_EEEEENSH_IJSG_SG_SG_EEES9_SI_JZNS1_25segmented_radix_sort_implINS0_14default_configELb1EPKbPbPKlPlN2at6native12_GLOBAL__N_18offset_tEEE10hipError_tPvRmT1_PNSt15iterator_traitsIS12_E10value_typeET2_T3_PNS13_IS18_E10value_typeET4_jRbjT5_S1E_jjP12ihipStream_tbEUljE_ZNSN_ISO_Lb1ESQ_SR_ST_SU_SY_EESZ_S10_S11_S12_S16_S17_S18_S1B_S1C_jS1D_jS1E_S1E_jjS1G_bEUljE0_EEESZ_S10_S11_S18_S1C_S1E_T6_T7_T9_mT8_S1G_bDpT10_ENKUlT_T0_E_clISt17integral_constantIbLb1EES1U_EEDaS1P_S1Q_EUlS1P_E_NS1_11comp_targetILNS1_3genE3ELNS1_11target_archE908ELNS1_3gpuE7ELNS1_3repE0EEENS1_30default_config_static_selectorELNS0_4arch9wavefront6targetE0EEEvS12_
		.amdhsa_group_segment_fixed_size 0
		.amdhsa_private_segment_fixed_size 0
		.amdhsa_kernarg_size 184
		.amdhsa_user_sgpr_count 15
		.amdhsa_user_sgpr_dispatch_ptr 0
		.amdhsa_user_sgpr_queue_ptr 0
		.amdhsa_user_sgpr_kernarg_segment_ptr 1
		.amdhsa_user_sgpr_dispatch_id 0
		.amdhsa_user_sgpr_private_segment_size 0
		.amdhsa_wavefront_size32 1
		.amdhsa_uses_dynamic_stack 0
		.amdhsa_enable_private_segment 0
		.amdhsa_system_sgpr_workgroup_id_x 1
		.amdhsa_system_sgpr_workgroup_id_y 0
		.amdhsa_system_sgpr_workgroup_id_z 0
		.amdhsa_system_sgpr_workgroup_info 0
		.amdhsa_system_vgpr_workitem_id 0
		.amdhsa_next_free_vgpr 1
		.amdhsa_next_free_sgpr 1
		.amdhsa_reserve_vcc 0
		.amdhsa_float_round_mode_32 0
		.amdhsa_float_round_mode_16_64 0
		.amdhsa_float_denorm_mode_32 3
		.amdhsa_float_denorm_mode_16_64 3
		.amdhsa_dx10_clamp 1
		.amdhsa_ieee_mode 1
		.amdhsa_fp16_overflow 0
		.amdhsa_workgroup_processor_mode 1
		.amdhsa_memory_ordered 1
		.amdhsa_forward_progress 0
		.amdhsa_shared_vgpr_count 0
		.amdhsa_exception_fp_ieee_invalid_op 0
		.amdhsa_exception_fp_denorm_src 0
		.amdhsa_exception_fp_ieee_div_zero 0
		.amdhsa_exception_fp_ieee_overflow 0
		.amdhsa_exception_fp_ieee_underflow 0
		.amdhsa_exception_fp_ieee_inexact 0
		.amdhsa_exception_int_div_zero 0
	.end_amdhsa_kernel
	.section	.text._ZN7rocprim17ROCPRIM_400000_NS6detail17trampoline_kernelINS0_13select_configILj256ELj13ELNS0_17block_load_methodE3ELS4_3ELS4_3ELNS0_20block_scan_algorithmE0ELj4294967295EEENS1_25partition_config_selectorILNS1_17partition_subalgoE4EjNS0_10empty_typeEbEEZZNS1_14partition_implILS8_4ELb0ES6_15HIP_vector_typeIjLj2EENS0_17counting_iteratorIjlEEPS9_SG_NS0_5tupleIJPjSI_NS0_16reverse_iteratorISI_EEEEENSH_IJSG_SG_SG_EEES9_SI_JZNS1_25segmented_radix_sort_implINS0_14default_configELb1EPKbPbPKlPlN2at6native12_GLOBAL__N_18offset_tEEE10hipError_tPvRmT1_PNSt15iterator_traitsIS12_E10value_typeET2_T3_PNS13_IS18_E10value_typeET4_jRbjT5_S1E_jjP12ihipStream_tbEUljE_ZNSN_ISO_Lb1ESQ_SR_ST_SU_SY_EESZ_S10_S11_S12_S16_S17_S18_S1B_S1C_jS1D_jS1E_S1E_jjS1G_bEUljE0_EEESZ_S10_S11_S18_S1C_S1E_T6_T7_T9_mT8_S1G_bDpT10_ENKUlT_T0_E_clISt17integral_constantIbLb1EES1U_EEDaS1P_S1Q_EUlS1P_E_NS1_11comp_targetILNS1_3genE3ELNS1_11target_archE908ELNS1_3gpuE7ELNS1_3repE0EEENS1_30default_config_static_selectorELNS0_4arch9wavefront6targetE0EEEvS12_,"axG",@progbits,_ZN7rocprim17ROCPRIM_400000_NS6detail17trampoline_kernelINS0_13select_configILj256ELj13ELNS0_17block_load_methodE3ELS4_3ELS4_3ELNS0_20block_scan_algorithmE0ELj4294967295EEENS1_25partition_config_selectorILNS1_17partition_subalgoE4EjNS0_10empty_typeEbEEZZNS1_14partition_implILS8_4ELb0ES6_15HIP_vector_typeIjLj2EENS0_17counting_iteratorIjlEEPS9_SG_NS0_5tupleIJPjSI_NS0_16reverse_iteratorISI_EEEEENSH_IJSG_SG_SG_EEES9_SI_JZNS1_25segmented_radix_sort_implINS0_14default_configELb1EPKbPbPKlPlN2at6native12_GLOBAL__N_18offset_tEEE10hipError_tPvRmT1_PNSt15iterator_traitsIS12_E10value_typeET2_T3_PNS13_IS18_E10value_typeET4_jRbjT5_S1E_jjP12ihipStream_tbEUljE_ZNSN_ISO_Lb1ESQ_SR_ST_SU_SY_EESZ_S10_S11_S12_S16_S17_S18_S1B_S1C_jS1D_jS1E_S1E_jjS1G_bEUljE0_EEESZ_S10_S11_S18_S1C_S1E_T6_T7_T9_mT8_S1G_bDpT10_ENKUlT_T0_E_clISt17integral_constantIbLb1EES1U_EEDaS1P_S1Q_EUlS1P_E_NS1_11comp_targetILNS1_3genE3ELNS1_11target_archE908ELNS1_3gpuE7ELNS1_3repE0EEENS1_30default_config_static_selectorELNS0_4arch9wavefront6targetE0EEEvS12_,comdat
.Lfunc_end1479:
	.size	_ZN7rocprim17ROCPRIM_400000_NS6detail17trampoline_kernelINS0_13select_configILj256ELj13ELNS0_17block_load_methodE3ELS4_3ELS4_3ELNS0_20block_scan_algorithmE0ELj4294967295EEENS1_25partition_config_selectorILNS1_17partition_subalgoE4EjNS0_10empty_typeEbEEZZNS1_14partition_implILS8_4ELb0ES6_15HIP_vector_typeIjLj2EENS0_17counting_iteratorIjlEEPS9_SG_NS0_5tupleIJPjSI_NS0_16reverse_iteratorISI_EEEEENSH_IJSG_SG_SG_EEES9_SI_JZNS1_25segmented_radix_sort_implINS0_14default_configELb1EPKbPbPKlPlN2at6native12_GLOBAL__N_18offset_tEEE10hipError_tPvRmT1_PNSt15iterator_traitsIS12_E10value_typeET2_T3_PNS13_IS18_E10value_typeET4_jRbjT5_S1E_jjP12ihipStream_tbEUljE_ZNSN_ISO_Lb1ESQ_SR_ST_SU_SY_EESZ_S10_S11_S12_S16_S17_S18_S1B_S1C_jS1D_jS1E_S1E_jjS1G_bEUljE0_EEESZ_S10_S11_S18_S1C_S1E_T6_T7_T9_mT8_S1G_bDpT10_ENKUlT_T0_E_clISt17integral_constantIbLb1EES1U_EEDaS1P_S1Q_EUlS1P_E_NS1_11comp_targetILNS1_3genE3ELNS1_11target_archE908ELNS1_3gpuE7ELNS1_3repE0EEENS1_30default_config_static_selectorELNS0_4arch9wavefront6targetE0EEEvS12_, .Lfunc_end1479-_ZN7rocprim17ROCPRIM_400000_NS6detail17trampoline_kernelINS0_13select_configILj256ELj13ELNS0_17block_load_methodE3ELS4_3ELS4_3ELNS0_20block_scan_algorithmE0ELj4294967295EEENS1_25partition_config_selectorILNS1_17partition_subalgoE4EjNS0_10empty_typeEbEEZZNS1_14partition_implILS8_4ELb0ES6_15HIP_vector_typeIjLj2EENS0_17counting_iteratorIjlEEPS9_SG_NS0_5tupleIJPjSI_NS0_16reverse_iteratorISI_EEEEENSH_IJSG_SG_SG_EEES9_SI_JZNS1_25segmented_radix_sort_implINS0_14default_configELb1EPKbPbPKlPlN2at6native12_GLOBAL__N_18offset_tEEE10hipError_tPvRmT1_PNSt15iterator_traitsIS12_E10value_typeET2_T3_PNS13_IS18_E10value_typeET4_jRbjT5_S1E_jjP12ihipStream_tbEUljE_ZNSN_ISO_Lb1ESQ_SR_ST_SU_SY_EESZ_S10_S11_S12_S16_S17_S18_S1B_S1C_jS1D_jS1E_S1E_jjS1G_bEUljE0_EEESZ_S10_S11_S18_S1C_S1E_T6_T7_T9_mT8_S1G_bDpT10_ENKUlT_T0_E_clISt17integral_constantIbLb1EES1U_EEDaS1P_S1Q_EUlS1P_E_NS1_11comp_targetILNS1_3genE3ELNS1_11target_archE908ELNS1_3gpuE7ELNS1_3repE0EEENS1_30default_config_static_selectorELNS0_4arch9wavefront6targetE0EEEvS12_
                                        ; -- End function
	.section	.AMDGPU.csdata,"",@progbits
; Kernel info:
; codeLenInByte = 0
; NumSgprs: 0
; NumVgprs: 0
; ScratchSize: 0
; MemoryBound: 0
; FloatMode: 240
; IeeeMode: 1
; LDSByteSize: 0 bytes/workgroup (compile time only)
; SGPRBlocks: 0
; VGPRBlocks: 0
; NumSGPRsForWavesPerEU: 1
; NumVGPRsForWavesPerEU: 1
; Occupancy: 16
; WaveLimiterHint : 0
; COMPUTE_PGM_RSRC2:SCRATCH_EN: 0
; COMPUTE_PGM_RSRC2:USER_SGPR: 15
; COMPUTE_PGM_RSRC2:TRAP_HANDLER: 0
; COMPUTE_PGM_RSRC2:TGID_X_EN: 1
; COMPUTE_PGM_RSRC2:TGID_Y_EN: 0
; COMPUTE_PGM_RSRC2:TGID_Z_EN: 0
; COMPUTE_PGM_RSRC2:TIDIG_COMP_CNT: 0
	.section	.text._ZN7rocprim17ROCPRIM_400000_NS6detail17trampoline_kernelINS0_13select_configILj256ELj13ELNS0_17block_load_methodE3ELS4_3ELS4_3ELNS0_20block_scan_algorithmE0ELj4294967295EEENS1_25partition_config_selectorILNS1_17partition_subalgoE4EjNS0_10empty_typeEbEEZZNS1_14partition_implILS8_4ELb0ES6_15HIP_vector_typeIjLj2EENS0_17counting_iteratorIjlEEPS9_SG_NS0_5tupleIJPjSI_NS0_16reverse_iteratorISI_EEEEENSH_IJSG_SG_SG_EEES9_SI_JZNS1_25segmented_radix_sort_implINS0_14default_configELb1EPKbPbPKlPlN2at6native12_GLOBAL__N_18offset_tEEE10hipError_tPvRmT1_PNSt15iterator_traitsIS12_E10value_typeET2_T3_PNS13_IS18_E10value_typeET4_jRbjT5_S1E_jjP12ihipStream_tbEUljE_ZNSN_ISO_Lb1ESQ_SR_ST_SU_SY_EESZ_S10_S11_S12_S16_S17_S18_S1B_S1C_jS1D_jS1E_S1E_jjS1G_bEUljE0_EEESZ_S10_S11_S18_S1C_S1E_T6_T7_T9_mT8_S1G_bDpT10_ENKUlT_T0_E_clISt17integral_constantIbLb1EES1U_EEDaS1P_S1Q_EUlS1P_E_NS1_11comp_targetILNS1_3genE2ELNS1_11target_archE906ELNS1_3gpuE6ELNS1_3repE0EEENS1_30default_config_static_selectorELNS0_4arch9wavefront6targetE0EEEvS12_,"axG",@progbits,_ZN7rocprim17ROCPRIM_400000_NS6detail17trampoline_kernelINS0_13select_configILj256ELj13ELNS0_17block_load_methodE3ELS4_3ELS4_3ELNS0_20block_scan_algorithmE0ELj4294967295EEENS1_25partition_config_selectorILNS1_17partition_subalgoE4EjNS0_10empty_typeEbEEZZNS1_14partition_implILS8_4ELb0ES6_15HIP_vector_typeIjLj2EENS0_17counting_iteratorIjlEEPS9_SG_NS0_5tupleIJPjSI_NS0_16reverse_iteratorISI_EEEEENSH_IJSG_SG_SG_EEES9_SI_JZNS1_25segmented_radix_sort_implINS0_14default_configELb1EPKbPbPKlPlN2at6native12_GLOBAL__N_18offset_tEEE10hipError_tPvRmT1_PNSt15iterator_traitsIS12_E10value_typeET2_T3_PNS13_IS18_E10value_typeET4_jRbjT5_S1E_jjP12ihipStream_tbEUljE_ZNSN_ISO_Lb1ESQ_SR_ST_SU_SY_EESZ_S10_S11_S12_S16_S17_S18_S1B_S1C_jS1D_jS1E_S1E_jjS1G_bEUljE0_EEESZ_S10_S11_S18_S1C_S1E_T6_T7_T9_mT8_S1G_bDpT10_ENKUlT_T0_E_clISt17integral_constantIbLb1EES1U_EEDaS1P_S1Q_EUlS1P_E_NS1_11comp_targetILNS1_3genE2ELNS1_11target_archE906ELNS1_3gpuE6ELNS1_3repE0EEENS1_30default_config_static_selectorELNS0_4arch9wavefront6targetE0EEEvS12_,comdat
	.globl	_ZN7rocprim17ROCPRIM_400000_NS6detail17trampoline_kernelINS0_13select_configILj256ELj13ELNS0_17block_load_methodE3ELS4_3ELS4_3ELNS0_20block_scan_algorithmE0ELj4294967295EEENS1_25partition_config_selectorILNS1_17partition_subalgoE4EjNS0_10empty_typeEbEEZZNS1_14partition_implILS8_4ELb0ES6_15HIP_vector_typeIjLj2EENS0_17counting_iteratorIjlEEPS9_SG_NS0_5tupleIJPjSI_NS0_16reverse_iteratorISI_EEEEENSH_IJSG_SG_SG_EEES9_SI_JZNS1_25segmented_radix_sort_implINS0_14default_configELb1EPKbPbPKlPlN2at6native12_GLOBAL__N_18offset_tEEE10hipError_tPvRmT1_PNSt15iterator_traitsIS12_E10value_typeET2_T3_PNS13_IS18_E10value_typeET4_jRbjT5_S1E_jjP12ihipStream_tbEUljE_ZNSN_ISO_Lb1ESQ_SR_ST_SU_SY_EESZ_S10_S11_S12_S16_S17_S18_S1B_S1C_jS1D_jS1E_S1E_jjS1G_bEUljE0_EEESZ_S10_S11_S18_S1C_S1E_T6_T7_T9_mT8_S1G_bDpT10_ENKUlT_T0_E_clISt17integral_constantIbLb1EES1U_EEDaS1P_S1Q_EUlS1P_E_NS1_11comp_targetILNS1_3genE2ELNS1_11target_archE906ELNS1_3gpuE6ELNS1_3repE0EEENS1_30default_config_static_selectorELNS0_4arch9wavefront6targetE0EEEvS12_ ; -- Begin function _ZN7rocprim17ROCPRIM_400000_NS6detail17trampoline_kernelINS0_13select_configILj256ELj13ELNS0_17block_load_methodE3ELS4_3ELS4_3ELNS0_20block_scan_algorithmE0ELj4294967295EEENS1_25partition_config_selectorILNS1_17partition_subalgoE4EjNS0_10empty_typeEbEEZZNS1_14partition_implILS8_4ELb0ES6_15HIP_vector_typeIjLj2EENS0_17counting_iteratorIjlEEPS9_SG_NS0_5tupleIJPjSI_NS0_16reverse_iteratorISI_EEEEENSH_IJSG_SG_SG_EEES9_SI_JZNS1_25segmented_radix_sort_implINS0_14default_configELb1EPKbPbPKlPlN2at6native12_GLOBAL__N_18offset_tEEE10hipError_tPvRmT1_PNSt15iterator_traitsIS12_E10value_typeET2_T3_PNS13_IS18_E10value_typeET4_jRbjT5_S1E_jjP12ihipStream_tbEUljE_ZNSN_ISO_Lb1ESQ_SR_ST_SU_SY_EESZ_S10_S11_S12_S16_S17_S18_S1B_S1C_jS1D_jS1E_S1E_jjS1G_bEUljE0_EEESZ_S10_S11_S18_S1C_S1E_T6_T7_T9_mT8_S1G_bDpT10_ENKUlT_T0_E_clISt17integral_constantIbLb1EES1U_EEDaS1P_S1Q_EUlS1P_E_NS1_11comp_targetILNS1_3genE2ELNS1_11target_archE906ELNS1_3gpuE6ELNS1_3repE0EEENS1_30default_config_static_selectorELNS0_4arch9wavefront6targetE0EEEvS12_
	.p2align	8
	.type	_ZN7rocprim17ROCPRIM_400000_NS6detail17trampoline_kernelINS0_13select_configILj256ELj13ELNS0_17block_load_methodE3ELS4_3ELS4_3ELNS0_20block_scan_algorithmE0ELj4294967295EEENS1_25partition_config_selectorILNS1_17partition_subalgoE4EjNS0_10empty_typeEbEEZZNS1_14partition_implILS8_4ELb0ES6_15HIP_vector_typeIjLj2EENS0_17counting_iteratorIjlEEPS9_SG_NS0_5tupleIJPjSI_NS0_16reverse_iteratorISI_EEEEENSH_IJSG_SG_SG_EEES9_SI_JZNS1_25segmented_radix_sort_implINS0_14default_configELb1EPKbPbPKlPlN2at6native12_GLOBAL__N_18offset_tEEE10hipError_tPvRmT1_PNSt15iterator_traitsIS12_E10value_typeET2_T3_PNS13_IS18_E10value_typeET4_jRbjT5_S1E_jjP12ihipStream_tbEUljE_ZNSN_ISO_Lb1ESQ_SR_ST_SU_SY_EESZ_S10_S11_S12_S16_S17_S18_S1B_S1C_jS1D_jS1E_S1E_jjS1G_bEUljE0_EEESZ_S10_S11_S18_S1C_S1E_T6_T7_T9_mT8_S1G_bDpT10_ENKUlT_T0_E_clISt17integral_constantIbLb1EES1U_EEDaS1P_S1Q_EUlS1P_E_NS1_11comp_targetILNS1_3genE2ELNS1_11target_archE906ELNS1_3gpuE6ELNS1_3repE0EEENS1_30default_config_static_selectorELNS0_4arch9wavefront6targetE0EEEvS12_,@function
_ZN7rocprim17ROCPRIM_400000_NS6detail17trampoline_kernelINS0_13select_configILj256ELj13ELNS0_17block_load_methodE3ELS4_3ELS4_3ELNS0_20block_scan_algorithmE0ELj4294967295EEENS1_25partition_config_selectorILNS1_17partition_subalgoE4EjNS0_10empty_typeEbEEZZNS1_14partition_implILS8_4ELb0ES6_15HIP_vector_typeIjLj2EENS0_17counting_iteratorIjlEEPS9_SG_NS0_5tupleIJPjSI_NS0_16reverse_iteratorISI_EEEEENSH_IJSG_SG_SG_EEES9_SI_JZNS1_25segmented_radix_sort_implINS0_14default_configELb1EPKbPbPKlPlN2at6native12_GLOBAL__N_18offset_tEEE10hipError_tPvRmT1_PNSt15iterator_traitsIS12_E10value_typeET2_T3_PNS13_IS18_E10value_typeET4_jRbjT5_S1E_jjP12ihipStream_tbEUljE_ZNSN_ISO_Lb1ESQ_SR_ST_SU_SY_EESZ_S10_S11_S12_S16_S17_S18_S1B_S1C_jS1D_jS1E_S1E_jjS1G_bEUljE0_EEESZ_S10_S11_S18_S1C_S1E_T6_T7_T9_mT8_S1G_bDpT10_ENKUlT_T0_E_clISt17integral_constantIbLb1EES1U_EEDaS1P_S1Q_EUlS1P_E_NS1_11comp_targetILNS1_3genE2ELNS1_11target_archE906ELNS1_3gpuE6ELNS1_3repE0EEENS1_30default_config_static_selectorELNS0_4arch9wavefront6targetE0EEEvS12_: ; @_ZN7rocprim17ROCPRIM_400000_NS6detail17trampoline_kernelINS0_13select_configILj256ELj13ELNS0_17block_load_methodE3ELS4_3ELS4_3ELNS0_20block_scan_algorithmE0ELj4294967295EEENS1_25partition_config_selectorILNS1_17partition_subalgoE4EjNS0_10empty_typeEbEEZZNS1_14partition_implILS8_4ELb0ES6_15HIP_vector_typeIjLj2EENS0_17counting_iteratorIjlEEPS9_SG_NS0_5tupleIJPjSI_NS0_16reverse_iteratorISI_EEEEENSH_IJSG_SG_SG_EEES9_SI_JZNS1_25segmented_radix_sort_implINS0_14default_configELb1EPKbPbPKlPlN2at6native12_GLOBAL__N_18offset_tEEE10hipError_tPvRmT1_PNSt15iterator_traitsIS12_E10value_typeET2_T3_PNS13_IS18_E10value_typeET4_jRbjT5_S1E_jjP12ihipStream_tbEUljE_ZNSN_ISO_Lb1ESQ_SR_ST_SU_SY_EESZ_S10_S11_S12_S16_S17_S18_S1B_S1C_jS1D_jS1E_S1E_jjS1G_bEUljE0_EEESZ_S10_S11_S18_S1C_S1E_T6_T7_T9_mT8_S1G_bDpT10_ENKUlT_T0_E_clISt17integral_constantIbLb1EES1U_EEDaS1P_S1Q_EUlS1P_E_NS1_11comp_targetILNS1_3genE2ELNS1_11target_archE906ELNS1_3gpuE6ELNS1_3repE0EEENS1_30default_config_static_selectorELNS0_4arch9wavefront6targetE0EEEvS12_
; %bb.0:
	.section	.rodata,"a",@progbits
	.p2align	6, 0x0
	.amdhsa_kernel _ZN7rocprim17ROCPRIM_400000_NS6detail17trampoline_kernelINS0_13select_configILj256ELj13ELNS0_17block_load_methodE3ELS4_3ELS4_3ELNS0_20block_scan_algorithmE0ELj4294967295EEENS1_25partition_config_selectorILNS1_17partition_subalgoE4EjNS0_10empty_typeEbEEZZNS1_14partition_implILS8_4ELb0ES6_15HIP_vector_typeIjLj2EENS0_17counting_iteratorIjlEEPS9_SG_NS0_5tupleIJPjSI_NS0_16reverse_iteratorISI_EEEEENSH_IJSG_SG_SG_EEES9_SI_JZNS1_25segmented_radix_sort_implINS0_14default_configELb1EPKbPbPKlPlN2at6native12_GLOBAL__N_18offset_tEEE10hipError_tPvRmT1_PNSt15iterator_traitsIS12_E10value_typeET2_T3_PNS13_IS18_E10value_typeET4_jRbjT5_S1E_jjP12ihipStream_tbEUljE_ZNSN_ISO_Lb1ESQ_SR_ST_SU_SY_EESZ_S10_S11_S12_S16_S17_S18_S1B_S1C_jS1D_jS1E_S1E_jjS1G_bEUljE0_EEESZ_S10_S11_S18_S1C_S1E_T6_T7_T9_mT8_S1G_bDpT10_ENKUlT_T0_E_clISt17integral_constantIbLb1EES1U_EEDaS1P_S1Q_EUlS1P_E_NS1_11comp_targetILNS1_3genE2ELNS1_11target_archE906ELNS1_3gpuE6ELNS1_3repE0EEENS1_30default_config_static_selectorELNS0_4arch9wavefront6targetE0EEEvS12_
		.amdhsa_group_segment_fixed_size 0
		.amdhsa_private_segment_fixed_size 0
		.amdhsa_kernarg_size 184
		.amdhsa_user_sgpr_count 15
		.amdhsa_user_sgpr_dispatch_ptr 0
		.amdhsa_user_sgpr_queue_ptr 0
		.amdhsa_user_sgpr_kernarg_segment_ptr 1
		.amdhsa_user_sgpr_dispatch_id 0
		.amdhsa_user_sgpr_private_segment_size 0
		.amdhsa_wavefront_size32 1
		.amdhsa_uses_dynamic_stack 0
		.amdhsa_enable_private_segment 0
		.amdhsa_system_sgpr_workgroup_id_x 1
		.amdhsa_system_sgpr_workgroup_id_y 0
		.amdhsa_system_sgpr_workgroup_id_z 0
		.amdhsa_system_sgpr_workgroup_info 0
		.amdhsa_system_vgpr_workitem_id 0
		.amdhsa_next_free_vgpr 1
		.amdhsa_next_free_sgpr 1
		.amdhsa_reserve_vcc 0
		.amdhsa_float_round_mode_32 0
		.amdhsa_float_round_mode_16_64 0
		.amdhsa_float_denorm_mode_32 3
		.amdhsa_float_denorm_mode_16_64 3
		.amdhsa_dx10_clamp 1
		.amdhsa_ieee_mode 1
		.amdhsa_fp16_overflow 0
		.amdhsa_workgroup_processor_mode 1
		.amdhsa_memory_ordered 1
		.amdhsa_forward_progress 0
		.amdhsa_shared_vgpr_count 0
		.amdhsa_exception_fp_ieee_invalid_op 0
		.amdhsa_exception_fp_denorm_src 0
		.amdhsa_exception_fp_ieee_div_zero 0
		.amdhsa_exception_fp_ieee_overflow 0
		.amdhsa_exception_fp_ieee_underflow 0
		.amdhsa_exception_fp_ieee_inexact 0
		.amdhsa_exception_int_div_zero 0
	.end_amdhsa_kernel
	.section	.text._ZN7rocprim17ROCPRIM_400000_NS6detail17trampoline_kernelINS0_13select_configILj256ELj13ELNS0_17block_load_methodE3ELS4_3ELS4_3ELNS0_20block_scan_algorithmE0ELj4294967295EEENS1_25partition_config_selectorILNS1_17partition_subalgoE4EjNS0_10empty_typeEbEEZZNS1_14partition_implILS8_4ELb0ES6_15HIP_vector_typeIjLj2EENS0_17counting_iteratorIjlEEPS9_SG_NS0_5tupleIJPjSI_NS0_16reverse_iteratorISI_EEEEENSH_IJSG_SG_SG_EEES9_SI_JZNS1_25segmented_radix_sort_implINS0_14default_configELb1EPKbPbPKlPlN2at6native12_GLOBAL__N_18offset_tEEE10hipError_tPvRmT1_PNSt15iterator_traitsIS12_E10value_typeET2_T3_PNS13_IS18_E10value_typeET4_jRbjT5_S1E_jjP12ihipStream_tbEUljE_ZNSN_ISO_Lb1ESQ_SR_ST_SU_SY_EESZ_S10_S11_S12_S16_S17_S18_S1B_S1C_jS1D_jS1E_S1E_jjS1G_bEUljE0_EEESZ_S10_S11_S18_S1C_S1E_T6_T7_T9_mT8_S1G_bDpT10_ENKUlT_T0_E_clISt17integral_constantIbLb1EES1U_EEDaS1P_S1Q_EUlS1P_E_NS1_11comp_targetILNS1_3genE2ELNS1_11target_archE906ELNS1_3gpuE6ELNS1_3repE0EEENS1_30default_config_static_selectorELNS0_4arch9wavefront6targetE0EEEvS12_,"axG",@progbits,_ZN7rocprim17ROCPRIM_400000_NS6detail17trampoline_kernelINS0_13select_configILj256ELj13ELNS0_17block_load_methodE3ELS4_3ELS4_3ELNS0_20block_scan_algorithmE0ELj4294967295EEENS1_25partition_config_selectorILNS1_17partition_subalgoE4EjNS0_10empty_typeEbEEZZNS1_14partition_implILS8_4ELb0ES6_15HIP_vector_typeIjLj2EENS0_17counting_iteratorIjlEEPS9_SG_NS0_5tupleIJPjSI_NS0_16reverse_iteratorISI_EEEEENSH_IJSG_SG_SG_EEES9_SI_JZNS1_25segmented_radix_sort_implINS0_14default_configELb1EPKbPbPKlPlN2at6native12_GLOBAL__N_18offset_tEEE10hipError_tPvRmT1_PNSt15iterator_traitsIS12_E10value_typeET2_T3_PNS13_IS18_E10value_typeET4_jRbjT5_S1E_jjP12ihipStream_tbEUljE_ZNSN_ISO_Lb1ESQ_SR_ST_SU_SY_EESZ_S10_S11_S12_S16_S17_S18_S1B_S1C_jS1D_jS1E_S1E_jjS1G_bEUljE0_EEESZ_S10_S11_S18_S1C_S1E_T6_T7_T9_mT8_S1G_bDpT10_ENKUlT_T0_E_clISt17integral_constantIbLb1EES1U_EEDaS1P_S1Q_EUlS1P_E_NS1_11comp_targetILNS1_3genE2ELNS1_11target_archE906ELNS1_3gpuE6ELNS1_3repE0EEENS1_30default_config_static_selectorELNS0_4arch9wavefront6targetE0EEEvS12_,comdat
.Lfunc_end1480:
	.size	_ZN7rocprim17ROCPRIM_400000_NS6detail17trampoline_kernelINS0_13select_configILj256ELj13ELNS0_17block_load_methodE3ELS4_3ELS4_3ELNS0_20block_scan_algorithmE0ELj4294967295EEENS1_25partition_config_selectorILNS1_17partition_subalgoE4EjNS0_10empty_typeEbEEZZNS1_14partition_implILS8_4ELb0ES6_15HIP_vector_typeIjLj2EENS0_17counting_iteratorIjlEEPS9_SG_NS0_5tupleIJPjSI_NS0_16reverse_iteratorISI_EEEEENSH_IJSG_SG_SG_EEES9_SI_JZNS1_25segmented_radix_sort_implINS0_14default_configELb1EPKbPbPKlPlN2at6native12_GLOBAL__N_18offset_tEEE10hipError_tPvRmT1_PNSt15iterator_traitsIS12_E10value_typeET2_T3_PNS13_IS18_E10value_typeET4_jRbjT5_S1E_jjP12ihipStream_tbEUljE_ZNSN_ISO_Lb1ESQ_SR_ST_SU_SY_EESZ_S10_S11_S12_S16_S17_S18_S1B_S1C_jS1D_jS1E_S1E_jjS1G_bEUljE0_EEESZ_S10_S11_S18_S1C_S1E_T6_T7_T9_mT8_S1G_bDpT10_ENKUlT_T0_E_clISt17integral_constantIbLb1EES1U_EEDaS1P_S1Q_EUlS1P_E_NS1_11comp_targetILNS1_3genE2ELNS1_11target_archE906ELNS1_3gpuE6ELNS1_3repE0EEENS1_30default_config_static_selectorELNS0_4arch9wavefront6targetE0EEEvS12_, .Lfunc_end1480-_ZN7rocprim17ROCPRIM_400000_NS6detail17trampoline_kernelINS0_13select_configILj256ELj13ELNS0_17block_load_methodE3ELS4_3ELS4_3ELNS0_20block_scan_algorithmE0ELj4294967295EEENS1_25partition_config_selectorILNS1_17partition_subalgoE4EjNS0_10empty_typeEbEEZZNS1_14partition_implILS8_4ELb0ES6_15HIP_vector_typeIjLj2EENS0_17counting_iteratorIjlEEPS9_SG_NS0_5tupleIJPjSI_NS0_16reverse_iteratorISI_EEEEENSH_IJSG_SG_SG_EEES9_SI_JZNS1_25segmented_radix_sort_implINS0_14default_configELb1EPKbPbPKlPlN2at6native12_GLOBAL__N_18offset_tEEE10hipError_tPvRmT1_PNSt15iterator_traitsIS12_E10value_typeET2_T3_PNS13_IS18_E10value_typeET4_jRbjT5_S1E_jjP12ihipStream_tbEUljE_ZNSN_ISO_Lb1ESQ_SR_ST_SU_SY_EESZ_S10_S11_S12_S16_S17_S18_S1B_S1C_jS1D_jS1E_S1E_jjS1G_bEUljE0_EEESZ_S10_S11_S18_S1C_S1E_T6_T7_T9_mT8_S1G_bDpT10_ENKUlT_T0_E_clISt17integral_constantIbLb1EES1U_EEDaS1P_S1Q_EUlS1P_E_NS1_11comp_targetILNS1_3genE2ELNS1_11target_archE906ELNS1_3gpuE6ELNS1_3repE0EEENS1_30default_config_static_selectorELNS0_4arch9wavefront6targetE0EEEvS12_
                                        ; -- End function
	.section	.AMDGPU.csdata,"",@progbits
; Kernel info:
; codeLenInByte = 0
; NumSgprs: 0
; NumVgprs: 0
; ScratchSize: 0
; MemoryBound: 0
; FloatMode: 240
; IeeeMode: 1
; LDSByteSize: 0 bytes/workgroup (compile time only)
; SGPRBlocks: 0
; VGPRBlocks: 0
; NumSGPRsForWavesPerEU: 1
; NumVGPRsForWavesPerEU: 1
; Occupancy: 16
; WaveLimiterHint : 0
; COMPUTE_PGM_RSRC2:SCRATCH_EN: 0
; COMPUTE_PGM_RSRC2:USER_SGPR: 15
; COMPUTE_PGM_RSRC2:TRAP_HANDLER: 0
; COMPUTE_PGM_RSRC2:TGID_X_EN: 1
; COMPUTE_PGM_RSRC2:TGID_Y_EN: 0
; COMPUTE_PGM_RSRC2:TGID_Z_EN: 0
; COMPUTE_PGM_RSRC2:TIDIG_COMP_CNT: 0
	.section	.text._ZN7rocprim17ROCPRIM_400000_NS6detail17trampoline_kernelINS0_13select_configILj256ELj13ELNS0_17block_load_methodE3ELS4_3ELS4_3ELNS0_20block_scan_algorithmE0ELj4294967295EEENS1_25partition_config_selectorILNS1_17partition_subalgoE4EjNS0_10empty_typeEbEEZZNS1_14partition_implILS8_4ELb0ES6_15HIP_vector_typeIjLj2EENS0_17counting_iteratorIjlEEPS9_SG_NS0_5tupleIJPjSI_NS0_16reverse_iteratorISI_EEEEENSH_IJSG_SG_SG_EEES9_SI_JZNS1_25segmented_radix_sort_implINS0_14default_configELb1EPKbPbPKlPlN2at6native12_GLOBAL__N_18offset_tEEE10hipError_tPvRmT1_PNSt15iterator_traitsIS12_E10value_typeET2_T3_PNS13_IS18_E10value_typeET4_jRbjT5_S1E_jjP12ihipStream_tbEUljE_ZNSN_ISO_Lb1ESQ_SR_ST_SU_SY_EESZ_S10_S11_S12_S16_S17_S18_S1B_S1C_jS1D_jS1E_S1E_jjS1G_bEUljE0_EEESZ_S10_S11_S18_S1C_S1E_T6_T7_T9_mT8_S1G_bDpT10_ENKUlT_T0_E_clISt17integral_constantIbLb1EES1U_EEDaS1P_S1Q_EUlS1P_E_NS1_11comp_targetILNS1_3genE10ELNS1_11target_archE1200ELNS1_3gpuE4ELNS1_3repE0EEENS1_30default_config_static_selectorELNS0_4arch9wavefront6targetE0EEEvS12_,"axG",@progbits,_ZN7rocprim17ROCPRIM_400000_NS6detail17trampoline_kernelINS0_13select_configILj256ELj13ELNS0_17block_load_methodE3ELS4_3ELS4_3ELNS0_20block_scan_algorithmE0ELj4294967295EEENS1_25partition_config_selectorILNS1_17partition_subalgoE4EjNS0_10empty_typeEbEEZZNS1_14partition_implILS8_4ELb0ES6_15HIP_vector_typeIjLj2EENS0_17counting_iteratorIjlEEPS9_SG_NS0_5tupleIJPjSI_NS0_16reverse_iteratorISI_EEEEENSH_IJSG_SG_SG_EEES9_SI_JZNS1_25segmented_radix_sort_implINS0_14default_configELb1EPKbPbPKlPlN2at6native12_GLOBAL__N_18offset_tEEE10hipError_tPvRmT1_PNSt15iterator_traitsIS12_E10value_typeET2_T3_PNS13_IS18_E10value_typeET4_jRbjT5_S1E_jjP12ihipStream_tbEUljE_ZNSN_ISO_Lb1ESQ_SR_ST_SU_SY_EESZ_S10_S11_S12_S16_S17_S18_S1B_S1C_jS1D_jS1E_S1E_jjS1G_bEUljE0_EEESZ_S10_S11_S18_S1C_S1E_T6_T7_T9_mT8_S1G_bDpT10_ENKUlT_T0_E_clISt17integral_constantIbLb1EES1U_EEDaS1P_S1Q_EUlS1P_E_NS1_11comp_targetILNS1_3genE10ELNS1_11target_archE1200ELNS1_3gpuE4ELNS1_3repE0EEENS1_30default_config_static_selectorELNS0_4arch9wavefront6targetE0EEEvS12_,comdat
	.globl	_ZN7rocprim17ROCPRIM_400000_NS6detail17trampoline_kernelINS0_13select_configILj256ELj13ELNS0_17block_load_methodE3ELS4_3ELS4_3ELNS0_20block_scan_algorithmE0ELj4294967295EEENS1_25partition_config_selectorILNS1_17partition_subalgoE4EjNS0_10empty_typeEbEEZZNS1_14partition_implILS8_4ELb0ES6_15HIP_vector_typeIjLj2EENS0_17counting_iteratorIjlEEPS9_SG_NS0_5tupleIJPjSI_NS0_16reverse_iteratorISI_EEEEENSH_IJSG_SG_SG_EEES9_SI_JZNS1_25segmented_radix_sort_implINS0_14default_configELb1EPKbPbPKlPlN2at6native12_GLOBAL__N_18offset_tEEE10hipError_tPvRmT1_PNSt15iterator_traitsIS12_E10value_typeET2_T3_PNS13_IS18_E10value_typeET4_jRbjT5_S1E_jjP12ihipStream_tbEUljE_ZNSN_ISO_Lb1ESQ_SR_ST_SU_SY_EESZ_S10_S11_S12_S16_S17_S18_S1B_S1C_jS1D_jS1E_S1E_jjS1G_bEUljE0_EEESZ_S10_S11_S18_S1C_S1E_T6_T7_T9_mT8_S1G_bDpT10_ENKUlT_T0_E_clISt17integral_constantIbLb1EES1U_EEDaS1P_S1Q_EUlS1P_E_NS1_11comp_targetILNS1_3genE10ELNS1_11target_archE1200ELNS1_3gpuE4ELNS1_3repE0EEENS1_30default_config_static_selectorELNS0_4arch9wavefront6targetE0EEEvS12_ ; -- Begin function _ZN7rocprim17ROCPRIM_400000_NS6detail17trampoline_kernelINS0_13select_configILj256ELj13ELNS0_17block_load_methodE3ELS4_3ELS4_3ELNS0_20block_scan_algorithmE0ELj4294967295EEENS1_25partition_config_selectorILNS1_17partition_subalgoE4EjNS0_10empty_typeEbEEZZNS1_14partition_implILS8_4ELb0ES6_15HIP_vector_typeIjLj2EENS0_17counting_iteratorIjlEEPS9_SG_NS0_5tupleIJPjSI_NS0_16reverse_iteratorISI_EEEEENSH_IJSG_SG_SG_EEES9_SI_JZNS1_25segmented_radix_sort_implINS0_14default_configELb1EPKbPbPKlPlN2at6native12_GLOBAL__N_18offset_tEEE10hipError_tPvRmT1_PNSt15iterator_traitsIS12_E10value_typeET2_T3_PNS13_IS18_E10value_typeET4_jRbjT5_S1E_jjP12ihipStream_tbEUljE_ZNSN_ISO_Lb1ESQ_SR_ST_SU_SY_EESZ_S10_S11_S12_S16_S17_S18_S1B_S1C_jS1D_jS1E_S1E_jjS1G_bEUljE0_EEESZ_S10_S11_S18_S1C_S1E_T6_T7_T9_mT8_S1G_bDpT10_ENKUlT_T0_E_clISt17integral_constantIbLb1EES1U_EEDaS1P_S1Q_EUlS1P_E_NS1_11comp_targetILNS1_3genE10ELNS1_11target_archE1200ELNS1_3gpuE4ELNS1_3repE0EEENS1_30default_config_static_selectorELNS0_4arch9wavefront6targetE0EEEvS12_
	.p2align	8
	.type	_ZN7rocprim17ROCPRIM_400000_NS6detail17trampoline_kernelINS0_13select_configILj256ELj13ELNS0_17block_load_methodE3ELS4_3ELS4_3ELNS0_20block_scan_algorithmE0ELj4294967295EEENS1_25partition_config_selectorILNS1_17partition_subalgoE4EjNS0_10empty_typeEbEEZZNS1_14partition_implILS8_4ELb0ES6_15HIP_vector_typeIjLj2EENS0_17counting_iteratorIjlEEPS9_SG_NS0_5tupleIJPjSI_NS0_16reverse_iteratorISI_EEEEENSH_IJSG_SG_SG_EEES9_SI_JZNS1_25segmented_radix_sort_implINS0_14default_configELb1EPKbPbPKlPlN2at6native12_GLOBAL__N_18offset_tEEE10hipError_tPvRmT1_PNSt15iterator_traitsIS12_E10value_typeET2_T3_PNS13_IS18_E10value_typeET4_jRbjT5_S1E_jjP12ihipStream_tbEUljE_ZNSN_ISO_Lb1ESQ_SR_ST_SU_SY_EESZ_S10_S11_S12_S16_S17_S18_S1B_S1C_jS1D_jS1E_S1E_jjS1G_bEUljE0_EEESZ_S10_S11_S18_S1C_S1E_T6_T7_T9_mT8_S1G_bDpT10_ENKUlT_T0_E_clISt17integral_constantIbLb1EES1U_EEDaS1P_S1Q_EUlS1P_E_NS1_11comp_targetILNS1_3genE10ELNS1_11target_archE1200ELNS1_3gpuE4ELNS1_3repE0EEENS1_30default_config_static_selectorELNS0_4arch9wavefront6targetE0EEEvS12_,@function
_ZN7rocprim17ROCPRIM_400000_NS6detail17trampoline_kernelINS0_13select_configILj256ELj13ELNS0_17block_load_methodE3ELS4_3ELS4_3ELNS0_20block_scan_algorithmE0ELj4294967295EEENS1_25partition_config_selectorILNS1_17partition_subalgoE4EjNS0_10empty_typeEbEEZZNS1_14partition_implILS8_4ELb0ES6_15HIP_vector_typeIjLj2EENS0_17counting_iteratorIjlEEPS9_SG_NS0_5tupleIJPjSI_NS0_16reverse_iteratorISI_EEEEENSH_IJSG_SG_SG_EEES9_SI_JZNS1_25segmented_radix_sort_implINS0_14default_configELb1EPKbPbPKlPlN2at6native12_GLOBAL__N_18offset_tEEE10hipError_tPvRmT1_PNSt15iterator_traitsIS12_E10value_typeET2_T3_PNS13_IS18_E10value_typeET4_jRbjT5_S1E_jjP12ihipStream_tbEUljE_ZNSN_ISO_Lb1ESQ_SR_ST_SU_SY_EESZ_S10_S11_S12_S16_S17_S18_S1B_S1C_jS1D_jS1E_S1E_jjS1G_bEUljE0_EEESZ_S10_S11_S18_S1C_S1E_T6_T7_T9_mT8_S1G_bDpT10_ENKUlT_T0_E_clISt17integral_constantIbLb1EES1U_EEDaS1P_S1Q_EUlS1P_E_NS1_11comp_targetILNS1_3genE10ELNS1_11target_archE1200ELNS1_3gpuE4ELNS1_3repE0EEENS1_30default_config_static_selectorELNS0_4arch9wavefront6targetE0EEEvS12_: ; @_ZN7rocprim17ROCPRIM_400000_NS6detail17trampoline_kernelINS0_13select_configILj256ELj13ELNS0_17block_load_methodE3ELS4_3ELS4_3ELNS0_20block_scan_algorithmE0ELj4294967295EEENS1_25partition_config_selectorILNS1_17partition_subalgoE4EjNS0_10empty_typeEbEEZZNS1_14partition_implILS8_4ELb0ES6_15HIP_vector_typeIjLj2EENS0_17counting_iteratorIjlEEPS9_SG_NS0_5tupleIJPjSI_NS0_16reverse_iteratorISI_EEEEENSH_IJSG_SG_SG_EEES9_SI_JZNS1_25segmented_radix_sort_implINS0_14default_configELb1EPKbPbPKlPlN2at6native12_GLOBAL__N_18offset_tEEE10hipError_tPvRmT1_PNSt15iterator_traitsIS12_E10value_typeET2_T3_PNS13_IS18_E10value_typeET4_jRbjT5_S1E_jjP12ihipStream_tbEUljE_ZNSN_ISO_Lb1ESQ_SR_ST_SU_SY_EESZ_S10_S11_S12_S16_S17_S18_S1B_S1C_jS1D_jS1E_S1E_jjS1G_bEUljE0_EEESZ_S10_S11_S18_S1C_S1E_T6_T7_T9_mT8_S1G_bDpT10_ENKUlT_T0_E_clISt17integral_constantIbLb1EES1U_EEDaS1P_S1Q_EUlS1P_E_NS1_11comp_targetILNS1_3genE10ELNS1_11target_archE1200ELNS1_3gpuE4ELNS1_3repE0EEENS1_30default_config_static_selectorELNS0_4arch9wavefront6targetE0EEEvS12_
; %bb.0:
	.section	.rodata,"a",@progbits
	.p2align	6, 0x0
	.amdhsa_kernel _ZN7rocprim17ROCPRIM_400000_NS6detail17trampoline_kernelINS0_13select_configILj256ELj13ELNS0_17block_load_methodE3ELS4_3ELS4_3ELNS0_20block_scan_algorithmE0ELj4294967295EEENS1_25partition_config_selectorILNS1_17partition_subalgoE4EjNS0_10empty_typeEbEEZZNS1_14partition_implILS8_4ELb0ES6_15HIP_vector_typeIjLj2EENS0_17counting_iteratorIjlEEPS9_SG_NS0_5tupleIJPjSI_NS0_16reverse_iteratorISI_EEEEENSH_IJSG_SG_SG_EEES9_SI_JZNS1_25segmented_radix_sort_implINS0_14default_configELb1EPKbPbPKlPlN2at6native12_GLOBAL__N_18offset_tEEE10hipError_tPvRmT1_PNSt15iterator_traitsIS12_E10value_typeET2_T3_PNS13_IS18_E10value_typeET4_jRbjT5_S1E_jjP12ihipStream_tbEUljE_ZNSN_ISO_Lb1ESQ_SR_ST_SU_SY_EESZ_S10_S11_S12_S16_S17_S18_S1B_S1C_jS1D_jS1E_S1E_jjS1G_bEUljE0_EEESZ_S10_S11_S18_S1C_S1E_T6_T7_T9_mT8_S1G_bDpT10_ENKUlT_T0_E_clISt17integral_constantIbLb1EES1U_EEDaS1P_S1Q_EUlS1P_E_NS1_11comp_targetILNS1_3genE10ELNS1_11target_archE1200ELNS1_3gpuE4ELNS1_3repE0EEENS1_30default_config_static_selectorELNS0_4arch9wavefront6targetE0EEEvS12_
		.amdhsa_group_segment_fixed_size 0
		.amdhsa_private_segment_fixed_size 0
		.amdhsa_kernarg_size 184
		.amdhsa_user_sgpr_count 15
		.amdhsa_user_sgpr_dispatch_ptr 0
		.amdhsa_user_sgpr_queue_ptr 0
		.amdhsa_user_sgpr_kernarg_segment_ptr 1
		.amdhsa_user_sgpr_dispatch_id 0
		.amdhsa_user_sgpr_private_segment_size 0
		.amdhsa_wavefront_size32 1
		.amdhsa_uses_dynamic_stack 0
		.amdhsa_enable_private_segment 0
		.amdhsa_system_sgpr_workgroup_id_x 1
		.amdhsa_system_sgpr_workgroup_id_y 0
		.amdhsa_system_sgpr_workgroup_id_z 0
		.amdhsa_system_sgpr_workgroup_info 0
		.amdhsa_system_vgpr_workitem_id 0
		.amdhsa_next_free_vgpr 1
		.amdhsa_next_free_sgpr 1
		.amdhsa_reserve_vcc 0
		.amdhsa_float_round_mode_32 0
		.amdhsa_float_round_mode_16_64 0
		.amdhsa_float_denorm_mode_32 3
		.amdhsa_float_denorm_mode_16_64 3
		.amdhsa_dx10_clamp 1
		.amdhsa_ieee_mode 1
		.amdhsa_fp16_overflow 0
		.amdhsa_workgroup_processor_mode 1
		.amdhsa_memory_ordered 1
		.amdhsa_forward_progress 0
		.amdhsa_shared_vgpr_count 0
		.amdhsa_exception_fp_ieee_invalid_op 0
		.amdhsa_exception_fp_denorm_src 0
		.amdhsa_exception_fp_ieee_div_zero 0
		.amdhsa_exception_fp_ieee_overflow 0
		.amdhsa_exception_fp_ieee_underflow 0
		.amdhsa_exception_fp_ieee_inexact 0
		.amdhsa_exception_int_div_zero 0
	.end_amdhsa_kernel
	.section	.text._ZN7rocprim17ROCPRIM_400000_NS6detail17trampoline_kernelINS0_13select_configILj256ELj13ELNS0_17block_load_methodE3ELS4_3ELS4_3ELNS0_20block_scan_algorithmE0ELj4294967295EEENS1_25partition_config_selectorILNS1_17partition_subalgoE4EjNS0_10empty_typeEbEEZZNS1_14partition_implILS8_4ELb0ES6_15HIP_vector_typeIjLj2EENS0_17counting_iteratorIjlEEPS9_SG_NS0_5tupleIJPjSI_NS0_16reverse_iteratorISI_EEEEENSH_IJSG_SG_SG_EEES9_SI_JZNS1_25segmented_radix_sort_implINS0_14default_configELb1EPKbPbPKlPlN2at6native12_GLOBAL__N_18offset_tEEE10hipError_tPvRmT1_PNSt15iterator_traitsIS12_E10value_typeET2_T3_PNS13_IS18_E10value_typeET4_jRbjT5_S1E_jjP12ihipStream_tbEUljE_ZNSN_ISO_Lb1ESQ_SR_ST_SU_SY_EESZ_S10_S11_S12_S16_S17_S18_S1B_S1C_jS1D_jS1E_S1E_jjS1G_bEUljE0_EEESZ_S10_S11_S18_S1C_S1E_T6_T7_T9_mT8_S1G_bDpT10_ENKUlT_T0_E_clISt17integral_constantIbLb1EES1U_EEDaS1P_S1Q_EUlS1P_E_NS1_11comp_targetILNS1_3genE10ELNS1_11target_archE1200ELNS1_3gpuE4ELNS1_3repE0EEENS1_30default_config_static_selectorELNS0_4arch9wavefront6targetE0EEEvS12_,"axG",@progbits,_ZN7rocprim17ROCPRIM_400000_NS6detail17trampoline_kernelINS0_13select_configILj256ELj13ELNS0_17block_load_methodE3ELS4_3ELS4_3ELNS0_20block_scan_algorithmE0ELj4294967295EEENS1_25partition_config_selectorILNS1_17partition_subalgoE4EjNS0_10empty_typeEbEEZZNS1_14partition_implILS8_4ELb0ES6_15HIP_vector_typeIjLj2EENS0_17counting_iteratorIjlEEPS9_SG_NS0_5tupleIJPjSI_NS0_16reverse_iteratorISI_EEEEENSH_IJSG_SG_SG_EEES9_SI_JZNS1_25segmented_radix_sort_implINS0_14default_configELb1EPKbPbPKlPlN2at6native12_GLOBAL__N_18offset_tEEE10hipError_tPvRmT1_PNSt15iterator_traitsIS12_E10value_typeET2_T3_PNS13_IS18_E10value_typeET4_jRbjT5_S1E_jjP12ihipStream_tbEUljE_ZNSN_ISO_Lb1ESQ_SR_ST_SU_SY_EESZ_S10_S11_S12_S16_S17_S18_S1B_S1C_jS1D_jS1E_S1E_jjS1G_bEUljE0_EEESZ_S10_S11_S18_S1C_S1E_T6_T7_T9_mT8_S1G_bDpT10_ENKUlT_T0_E_clISt17integral_constantIbLb1EES1U_EEDaS1P_S1Q_EUlS1P_E_NS1_11comp_targetILNS1_3genE10ELNS1_11target_archE1200ELNS1_3gpuE4ELNS1_3repE0EEENS1_30default_config_static_selectorELNS0_4arch9wavefront6targetE0EEEvS12_,comdat
.Lfunc_end1481:
	.size	_ZN7rocprim17ROCPRIM_400000_NS6detail17trampoline_kernelINS0_13select_configILj256ELj13ELNS0_17block_load_methodE3ELS4_3ELS4_3ELNS0_20block_scan_algorithmE0ELj4294967295EEENS1_25partition_config_selectorILNS1_17partition_subalgoE4EjNS0_10empty_typeEbEEZZNS1_14partition_implILS8_4ELb0ES6_15HIP_vector_typeIjLj2EENS0_17counting_iteratorIjlEEPS9_SG_NS0_5tupleIJPjSI_NS0_16reverse_iteratorISI_EEEEENSH_IJSG_SG_SG_EEES9_SI_JZNS1_25segmented_radix_sort_implINS0_14default_configELb1EPKbPbPKlPlN2at6native12_GLOBAL__N_18offset_tEEE10hipError_tPvRmT1_PNSt15iterator_traitsIS12_E10value_typeET2_T3_PNS13_IS18_E10value_typeET4_jRbjT5_S1E_jjP12ihipStream_tbEUljE_ZNSN_ISO_Lb1ESQ_SR_ST_SU_SY_EESZ_S10_S11_S12_S16_S17_S18_S1B_S1C_jS1D_jS1E_S1E_jjS1G_bEUljE0_EEESZ_S10_S11_S18_S1C_S1E_T6_T7_T9_mT8_S1G_bDpT10_ENKUlT_T0_E_clISt17integral_constantIbLb1EES1U_EEDaS1P_S1Q_EUlS1P_E_NS1_11comp_targetILNS1_3genE10ELNS1_11target_archE1200ELNS1_3gpuE4ELNS1_3repE0EEENS1_30default_config_static_selectorELNS0_4arch9wavefront6targetE0EEEvS12_, .Lfunc_end1481-_ZN7rocprim17ROCPRIM_400000_NS6detail17trampoline_kernelINS0_13select_configILj256ELj13ELNS0_17block_load_methodE3ELS4_3ELS4_3ELNS0_20block_scan_algorithmE0ELj4294967295EEENS1_25partition_config_selectorILNS1_17partition_subalgoE4EjNS0_10empty_typeEbEEZZNS1_14partition_implILS8_4ELb0ES6_15HIP_vector_typeIjLj2EENS0_17counting_iteratorIjlEEPS9_SG_NS0_5tupleIJPjSI_NS0_16reverse_iteratorISI_EEEEENSH_IJSG_SG_SG_EEES9_SI_JZNS1_25segmented_radix_sort_implINS0_14default_configELb1EPKbPbPKlPlN2at6native12_GLOBAL__N_18offset_tEEE10hipError_tPvRmT1_PNSt15iterator_traitsIS12_E10value_typeET2_T3_PNS13_IS18_E10value_typeET4_jRbjT5_S1E_jjP12ihipStream_tbEUljE_ZNSN_ISO_Lb1ESQ_SR_ST_SU_SY_EESZ_S10_S11_S12_S16_S17_S18_S1B_S1C_jS1D_jS1E_S1E_jjS1G_bEUljE0_EEESZ_S10_S11_S18_S1C_S1E_T6_T7_T9_mT8_S1G_bDpT10_ENKUlT_T0_E_clISt17integral_constantIbLb1EES1U_EEDaS1P_S1Q_EUlS1P_E_NS1_11comp_targetILNS1_3genE10ELNS1_11target_archE1200ELNS1_3gpuE4ELNS1_3repE0EEENS1_30default_config_static_selectorELNS0_4arch9wavefront6targetE0EEEvS12_
                                        ; -- End function
	.section	.AMDGPU.csdata,"",@progbits
; Kernel info:
; codeLenInByte = 0
; NumSgprs: 0
; NumVgprs: 0
; ScratchSize: 0
; MemoryBound: 0
; FloatMode: 240
; IeeeMode: 1
; LDSByteSize: 0 bytes/workgroup (compile time only)
; SGPRBlocks: 0
; VGPRBlocks: 0
; NumSGPRsForWavesPerEU: 1
; NumVGPRsForWavesPerEU: 1
; Occupancy: 16
; WaveLimiterHint : 0
; COMPUTE_PGM_RSRC2:SCRATCH_EN: 0
; COMPUTE_PGM_RSRC2:USER_SGPR: 15
; COMPUTE_PGM_RSRC2:TRAP_HANDLER: 0
; COMPUTE_PGM_RSRC2:TGID_X_EN: 1
; COMPUTE_PGM_RSRC2:TGID_Y_EN: 0
; COMPUTE_PGM_RSRC2:TGID_Z_EN: 0
; COMPUTE_PGM_RSRC2:TIDIG_COMP_CNT: 0
	.section	.text._ZN7rocprim17ROCPRIM_400000_NS6detail17trampoline_kernelINS0_13select_configILj256ELj13ELNS0_17block_load_methodE3ELS4_3ELS4_3ELNS0_20block_scan_algorithmE0ELj4294967295EEENS1_25partition_config_selectorILNS1_17partition_subalgoE4EjNS0_10empty_typeEbEEZZNS1_14partition_implILS8_4ELb0ES6_15HIP_vector_typeIjLj2EENS0_17counting_iteratorIjlEEPS9_SG_NS0_5tupleIJPjSI_NS0_16reverse_iteratorISI_EEEEENSH_IJSG_SG_SG_EEES9_SI_JZNS1_25segmented_radix_sort_implINS0_14default_configELb1EPKbPbPKlPlN2at6native12_GLOBAL__N_18offset_tEEE10hipError_tPvRmT1_PNSt15iterator_traitsIS12_E10value_typeET2_T3_PNS13_IS18_E10value_typeET4_jRbjT5_S1E_jjP12ihipStream_tbEUljE_ZNSN_ISO_Lb1ESQ_SR_ST_SU_SY_EESZ_S10_S11_S12_S16_S17_S18_S1B_S1C_jS1D_jS1E_S1E_jjS1G_bEUljE0_EEESZ_S10_S11_S18_S1C_S1E_T6_T7_T9_mT8_S1G_bDpT10_ENKUlT_T0_E_clISt17integral_constantIbLb1EES1U_EEDaS1P_S1Q_EUlS1P_E_NS1_11comp_targetILNS1_3genE9ELNS1_11target_archE1100ELNS1_3gpuE3ELNS1_3repE0EEENS1_30default_config_static_selectorELNS0_4arch9wavefront6targetE0EEEvS12_,"axG",@progbits,_ZN7rocprim17ROCPRIM_400000_NS6detail17trampoline_kernelINS0_13select_configILj256ELj13ELNS0_17block_load_methodE3ELS4_3ELS4_3ELNS0_20block_scan_algorithmE0ELj4294967295EEENS1_25partition_config_selectorILNS1_17partition_subalgoE4EjNS0_10empty_typeEbEEZZNS1_14partition_implILS8_4ELb0ES6_15HIP_vector_typeIjLj2EENS0_17counting_iteratorIjlEEPS9_SG_NS0_5tupleIJPjSI_NS0_16reverse_iteratorISI_EEEEENSH_IJSG_SG_SG_EEES9_SI_JZNS1_25segmented_radix_sort_implINS0_14default_configELb1EPKbPbPKlPlN2at6native12_GLOBAL__N_18offset_tEEE10hipError_tPvRmT1_PNSt15iterator_traitsIS12_E10value_typeET2_T3_PNS13_IS18_E10value_typeET4_jRbjT5_S1E_jjP12ihipStream_tbEUljE_ZNSN_ISO_Lb1ESQ_SR_ST_SU_SY_EESZ_S10_S11_S12_S16_S17_S18_S1B_S1C_jS1D_jS1E_S1E_jjS1G_bEUljE0_EEESZ_S10_S11_S18_S1C_S1E_T6_T7_T9_mT8_S1G_bDpT10_ENKUlT_T0_E_clISt17integral_constantIbLb1EES1U_EEDaS1P_S1Q_EUlS1P_E_NS1_11comp_targetILNS1_3genE9ELNS1_11target_archE1100ELNS1_3gpuE3ELNS1_3repE0EEENS1_30default_config_static_selectorELNS0_4arch9wavefront6targetE0EEEvS12_,comdat
	.globl	_ZN7rocprim17ROCPRIM_400000_NS6detail17trampoline_kernelINS0_13select_configILj256ELj13ELNS0_17block_load_methodE3ELS4_3ELS4_3ELNS0_20block_scan_algorithmE0ELj4294967295EEENS1_25partition_config_selectorILNS1_17partition_subalgoE4EjNS0_10empty_typeEbEEZZNS1_14partition_implILS8_4ELb0ES6_15HIP_vector_typeIjLj2EENS0_17counting_iteratorIjlEEPS9_SG_NS0_5tupleIJPjSI_NS0_16reverse_iteratorISI_EEEEENSH_IJSG_SG_SG_EEES9_SI_JZNS1_25segmented_radix_sort_implINS0_14default_configELb1EPKbPbPKlPlN2at6native12_GLOBAL__N_18offset_tEEE10hipError_tPvRmT1_PNSt15iterator_traitsIS12_E10value_typeET2_T3_PNS13_IS18_E10value_typeET4_jRbjT5_S1E_jjP12ihipStream_tbEUljE_ZNSN_ISO_Lb1ESQ_SR_ST_SU_SY_EESZ_S10_S11_S12_S16_S17_S18_S1B_S1C_jS1D_jS1E_S1E_jjS1G_bEUljE0_EEESZ_S10_S11_S18_S1C_S1E_T6_T7_T9_mT8_S1G_bDpT10_ENKUlT_T0_E_clISt17integral_constantIbLb1EES1U_EEDaS1P_S1Q_EUlS1P_E_NS1_11comp_targetILNS1_3genE9ELNS1_11target_archE1100ELNS1_3gpuE3ELNS1_3repE0EEENS1_30default_config_static_selectorELNS0_4arch9wavefront6targetE0EEEvS12_ ; -- Begin function _ZN7rocprim17ROCPRIM_400000_NS6detail17trampoline_kernelINS0_13select_configILj256ELj13ELNS0_17block_load_methodE3ELS4_3ELS4_3ELNS0_20block_scan_algorithmE0ELj4294967295EEENS1_25partition_config_selectorILNS1_17partition_subalgoE4EjNS0_10empty_typeEbEEZZNS1_14partition_implILS8_4ELb0ES6_15HIP_vector_typeIjLj2EENS0_17counting_iteratorIjlEEPS9_SG_NS0_5tupleIJPjSI_NS0_16reverse_iteratorISI_EEEEENSH_IJSG_SG_SG_EEES9_SI_JZNS1_25segmented_radix_sort_implINS0_14default_configELb1EPKbPbPKlPlN2at6native12_GLOBAL__N_18offset_tEEE10hipError_tPvRmT1_PNSt15iterator_traitsIS12_E10value_typeET2_T3_PNS13_IS18_E10value_typeET4_jRbjT5_S1E_jjP12ihipStream_tbEUljE_ZNSN_ISO_Lb1ESQ_SR_ST_SU_SY_EESZ_S10_S11_S12_S16_S17_S18_S1B_S1C_jS1D_jS1E_S1E_jjS1G_bEUljE0_EEESZ_S10_S11_S18_S1C_S1E_T6_T7_T9_mT8_S1G_bDpT10_ENKUlT_T0_E_clISt17integral_constantIbLb1EES1U_EEDaS1P_S1Q_EUlS1P_E_NS1_11comp_targetILNS1_3genE9ELNS1_11target_archE1100ELNS1_3gpuE3ELNS1_3repE0EEENS1_30default_config_static_selectorELNS0_4arch9wavefront6targetE0EEEvS12_
	.p2align	8
	.type	_ZN7rocprim17ROCPRIM_400000_NS6detail17trampoline_kernelINS0_13select_configILj256ELj13ELNS0_17block_load_methodE3ELS4_3ELS4_3ELNS0_20block_scan_algorithmE0ELj4294967295EEENS1_25partition_config_selectorILNS1_17partition_subalgoE4EjNS0_10empty_typeEbEEZZNS1_14partition_implILS8_4ELb0ES6_15HIP_vector_typeIjLj2EENS0_17counting_iteratorIjlEEPS9_SG_NS0_5tupleIJPjSI_NS0_16reverse_iteratorISI_EEEEENSH_IJSG_SG_SG_EEES9_SI_JZNS1_25segmented_radix_sort_implINS0_14default_configELb1EPKbPbPKlPlN2at6native12_GLOBAL__N_18offset_tEEE10hipError_tPvRmT1_PNSt15iterator_traitsIS12_E10value_typeET2_T3_PNS13_IS18_E10value_typeET4_jRbjT5_S1E_jjP12ihipStream_tbEUljE_ZNSN_ISO_Lb1ESQ_SR_ST_SU_SY_EESZ_S10_S11_S12_S16_S17_S18_S1B_S1C_jS1D_jS1E_S1E_jjS1G_bEUljE0_EEESZ_S10_S11_S18_S1C_S1E_T6_T7_T9_mT8_S1G_bDpT10_ENKUlT_T0_E_clISt17integral_constantIbLb1EES1U_EEDaS1P_S1Q_EUlS1P_E_NS1_11comp_targetILNS1_3genE9ELNS1_11target_archE1100ELNS1_3gpuE3ELNS1_3repE0EEENS1_30default_config_static_selectorELNS0_4arch9wavefront6targetE0EEEvS12_,@function
_ZN7rocprim17ROCPRIM_400000_NS6detail17trampoline_kernelINS0_13select_configILj256ELj13ELNS0_17block_load_methodE3ELS4_3ELS4_3ELNS0_20block_scan_algorithmE0ELj4294967295EEENS1_25partition_config_selectorILNS1_17partition_subalgoE4EjNS0_10empty_typeEbEEZZNS1_14partition_implILS8_4ELb0ES6_15HIP_vector_typeIjLj2EENS0_17counting_iteratorIjlEEPS9_SG_NS0_5tupleIJPjSI_NS0_16reverse_iteratorISI_EEEEENSH_IJSG_SG_SG_EEES9_SI_JZNS1_25segmented_radix_sort_implINS0_14default_configELb1EPKbPbPKlPlN2at6native12_GLOBAL__N_18offset_tEEE10hipError_tPvRmT1_PNSt15iterator_traitsIS12_E10value_typeET2_T3_PNS13_IS18_E10value_typeET4_jRbjT5_S1E_jjP12ihipStream_tbEUljE_ZNSN_ISO_Lb1ESQ_SR_ST_SU_SY_EESZ_S10_S11_S12_S16_S17_S18_S1B_S1C_jS1D_jS1E_S1E_jjS1G_bEUljE0_EEESZ_S10_S11_S18_S1C_S1E_T6_T7_T9_mT8_S1G_bDpT10_ENKUlT_T0_E_clISt17integral_constantIbLb1EES1U_EEDaS1P_S1Q_EUlS1P_E_NS1_11comp_targetILNS1_3genE9ELNS1_11target_archE1100ELNS1_3gpuE3ELNS1_3repE0EEENS1_30default_config_static_selectorELNS0_4arch9wavefront6targetE0EEEvS12_: ; @_ZN7rocprim17ROCPRIM_400000_NS6detail17trampoline_kernelINS0_13select_configILj256ELj13ELNS0_17block_load_methodE3ELS4_3ELS4_3ELNS0_20block_scan_algorithmE0ELj4294967295EEENS1_25partition_config_selectorILNS1_17partition_subalgoE4EjNS0_10empty_typeEbEEZZNS1_14partition_implILS8_4ELb0ES6_15HIP_vector_typeIjLj2EENS0_17counting_iteratorIjlEEPS9_SG_NS0_5tupleIJPjSI_NS0_16reverse_iteratorISI_EEEEENSH_IJSG_SG_SG_EEES9_SI_JZNS1_25segmented_radix_sort_implINS0_14default_configELb1EPKbPbPKlPlN2at6native12_GLOBAL__N_18offset_tEEE10hipError_tPvRmT1_PNSt15iterator_traitsIS12_E10value_typeET2_T3_PNS13_IS18_E10value_typeET4_jRbjT5_S1E_jjP12ihipStream_tbEUljE_ZNSN_ISO_Lb1ESQ_SR_ST_SU_SY_EESZ_S10_S11_S12_S16_S17_S18_S1B_S1C_jS1D_jS1E_S1E_jjS1G_bEUljE0_EEESZ_S10_S11_S18_S1C_S1E_T6_T7_T9_mT8_S1G_bDpT10_ENKUlT_T0_E_clISt17integral_constantIbLb1EES1U_EEDaS1P_S1Q_EUlS1P_E_NS1_11comp_targetILNS1_3genE9ELNS1_11target_archE1100ELNS1_3gpuE3ELNS1_3repE0EEENS1_30default_config_static_selectorELNS0_4arch9wavefront6targetE0EEEvS12_
; %bb.0:
	s_clause 0x7
	s_load_b64 s[34:35], s[0:1], 0x10
	s_load_b128 s[28:31], s[0:1], 0x28
	s_load_b64 s[14:15], s[0:1], 0x38
	s_load_b128 s[24:27], s[0:1], 0x58
	s_load_b64 s[4:5], s[0:1], 0x68
	s_load_b64 s[36:37], s[0:1], 0x78
	;; [unrolled: 1-line block ×3, first 2 shown]
	s_load_b256 s[16:23], s[0:1], 0x90
	v_cmp_eq_u32_e64 s2, 0, v0
	s_delay_alu instid0(VALU_DEP_1)
	s_and_saveexec_b32 s3, s2
	s_cbranch_execz .LBB1482_4
; %bb.1:
	s_mov_b32 s7, exec_lo
	s_mov_b32 s6, exec_lo
	v_mbcnt_lo_u32_b32 v1, s7, 0
                                        ; implicit-def: $vgpr2
	s_delay_alu instid0(VALU_DEP_1)
	v_cmpx_eq_u32_e32 0, v1
	s_cbranch_execz .LBB1482_3
; %bb.2:
	s_load_b64 s[8:9], s[0:1], 0x88
	s_bcnt1_i32_b32 s7, s7
	s_delay_alu instid0(SALU_CYCLE_1)
	v_dual_mov_b32 v2, 0 :: v_dual_mov_b32 v3, s7
	s_waitcnt lgkmcnt(0)
	global_atomic_add_u32 v2, v2, v3, s[8:9] glc
.LBB1482_3:
	s_or_b32 exec_lo, exec_lo, s6
	s_waitcnt vmcnt(0)
	v_readfirstlane_b32 s6, v2
	s_delay_alu instid0(VALU_DEP_1)
	v_dual_mov_b32 v2, 0 :: v_dual_add_nc_u32 v1, s6, v1
	ds_store_b32 v2, v1
.LBB1482_4:
	s_or_b32 exec_lo, exec_lo, s3
	v_mov_b32_e32 v1, 0
	s_clause 0x1
	s_load_b32 s3, s[0:1], 0x8
	s_load_b32 s0, s[0:1], 0x80
	s_waitcnt lgkmcnt(0)
	s_barrier
	buffer_gl0_inv
	ds_load_b32 v5, v1
	s_waitcnt lgkmcnt(0)
	s_barrier
	buffer_gl0_inv
	global_load_b128 v[1:4], v1, s[26:27]
	s_add_i32 s3, s3, s34
	s_mul_i32 s1, s0, 0xd00
	s_add_i32 s0, s0, -1
	s_add_u32 s6, s34, s1
	s_addc_u32 s7, s35, 0
	v_mul_lo_u32 v30, 0xd00, v5
	v_readfirstlane_b32 s26, v5
	v_cmp_lt_u64_e64 s5, s[6:7], s[4:5]
	v_cmp_ne_u32_e32 vcc_lo, s0, v5
	s_delay_alu instid0(VALU_DEP_3) | instskip(SKIP_1) | instid1(VALU_DEP_4)
	s_cmp_eq_u32 s26, s0
	s_cselect_b32 s13, -1, 0
	v_add3_u32 v5, v30, s3, v0
	s_delay_alu instid0(VALU_DEP_3) | instskip(SKIP_2) | instid1(VALU_DEP_1)
	s_or_b32 s0, s5, vcc_lo
	s_mov_b32 s3, -1
	s_and_b32 vcc_lo, exec_lo, s0
	v_add_nc_u32_e32 v6, 0x100, v5
	v_add_nc_u32_e32 v7, 0x200, v5
	;; [unrolled: 1-line block ×12, first 2 shown]
	s_cbranch_vccz .LBB1482_6
; %bb.5:
	v_lshlrev_b32_e32 v18, 2, v0
	s_mov_b32 s3, 0
	ds_store_2addr_stride64_b32 v18, v5, v6 offset1:4
	ds_store_2addr_stride64_b32 v18, v7, v8 offset0:8 offset1:12
	ds_store_2addr_stride64_b32 v18, v9, v10 offset0:16 offset1:20
	;; [unrolled: 1-line block ×5, first 2 shown]
	ds_store_b32 v18, v17 offset:12288
	s_waitcnt vmcnt(0) lgkmcnt(0)
	s_barrier
.LBB1482_6:
	s_and_not1_b32 vcc_lo, exec_lo, s3
	s_add_i32 s1, s1, s34
	s_cbranch_vccnz .LBB1482_8
; %bb.7:
	v_lshlrev_b32_e32 v18, 2, v0
	ds_store_2addr_stride64_b32 v18, v5, v6 offset1:4
	ds_store_2addr_stride64_b32 v18, v7, v8 offset0:8 offset1:12
	ds_store_2addr_stride64_b32 v18, v9, v10 offset0:16 offset1:20
	;; [unrolled: 1-line block ×5, first 2 shown]
	ds_store_b32 v18, v17 offset:12288
	s_waitcnt vmcnt(0) lgkmcnt(0)
	s_barrier
.LBB1482_8:
	v_mul_u32_u24_e32 v33, 13, v0
	s_waitcnt vmcnt(0)
	buffer_gl0_inv
	v_cndmask_b32_e64 v31, 0, 1, s0
	s_sub_i32 s40, s4, s1
	s_and_not1_b32 vcc_lo, exec_lo, s0
	v_lshlrev_b32_e32 v5, 2, v33
	ds_load_2addr_b32 v[20:21], v5 offset1:1
	ds_load_2addr_b32 v[18:19], v5 offset0:2 offset1:3
	ds_load_2addr_b32 v[16:17], v5 offset0:4 offset1:5
	;; [unrolled: 1-line block ×5, first 2 shown]
	ds_load_b32 v32, v5 offset:48
	s_waitcnt lgkmcnt(0)
	s_barrier
	buffer_gl0_inv
	s_cbranch_vccnz .LBB1482_36
; %bb.9:
	v_add_nc_u32_e32 v5, s17, v20
	v_add_nc_u32_e32 v6, s19, v20
	s_mov_b32 s42, 0
	s_mov_b32 s41, 0
	s_mov_b32 s1, exec_lo
	v_mul_lo_u32 v5, v5, s16
	v_mul_lo_u32 v6, v6, s18
	s_delay_alu instid0(VALU_DEP_1) | instskip(NEXT) | instid1(VALU_DEP_1)
	v_sub_nc_u32_e32 v5, v5, v6
	v_cmp_lt_u32_e32 vcc_lo, s20, v5
	v_cmpx_ge_u32_e64 s20, v5
; %bb.10:
	v_add_nc_u32_e32 v5, s22, v20
	v_add_nc_u32_e32 v6, s38, v20
	s_delay_alu instid0(VALU_DEP_2) | instskip(NEXT) | instid1(VALU_DEP_2)
	v_mul_lo_u32 v5, v5, s21
	v_mul_lo_u32 v6, v6, s23
	s_delay_alu instid0(VALU_DEP_1) | instskip(NEXT) | instid1(VALU_DEP_1)
	v_sub_nc_u32_e32 v5, v5, v6
	v_cmp_lt_u32_e64 s0, s39, v5
	s_delay_alu instid0(VALU_DEP_1)
	s_and_b32 s41, s0, exec_lo
; %bb.11:
	s_or_b32 exec_lo, exec_lo, s1
	v_add_nc_u32_e32 v5, s17, v21
	v_add_nc_u32_e32 v6, s19, v21
	s_mov_b32 s3, exec_lo
	s_delay_alu instid0(VALU_DEP_2) | instskip(NEXT) | instid1(VALU_DEP_2)
	v_mul_lo_u32 v5, v5, s16
	v_mul_lo_u32 v6, v6, s18
	s_delay_alu instid0(VALU_DEP_1) | instskip(NEXT) | instid1(VALU_DEP_1)
	v_sub_nc_u32_e32 v5, v5, v6
	v_cmp_lt_u32_e64 s0, s20, v5
	v_cmpx_ge_u32_e64 s20, v5
; %bb.12:
	v_add_nc_u32_e32 v5, s22, v21
	v_add_nc_u32_e32 v6, s38, v21
	s_delay_alu instid0(VALU_DEP_2) | instskip(NEXT) | instid1(VALU_DEP_2)
	v_mul_lo_u32 v5, v5, s21
	v_mul_lo_u32 v6, v6, s23
	s_delay_alu instid0(VALU_DEP_1) | instskip(NEXT) | instid1(VALU_DEP_1)
	v_sub_nc_u32_e32 v5, v5, v6
	v_cmp_lt_u32_e64 s1, s39, v5
	s_delay_alu instid0(VALU_DEP_1)
	s_and_b32 s42, s1, exec_lo
; %bb.13:
	s_or_b32 exec_lo, exec_lo, s3
	v_add_nc_u32_e32 v5, s17, v18
	v_add_nc_u32_e32 v6, s19, v18
	s_mov_b32 s44, 0
	s_mov_b32 s43, 0
	s_mov_b32 s4, exec_lo
	v_mul_lo_u32 v5, v5, s16
	v_mul_lo_u32 v6, v6, s18
	s_delay_alu instid0(VALU_DEP_1) | instskip(NEXT) | instid1(VALU_DEP_1)
	v_sub_nc_u32_e32 v5, v5, v6
	v_cmp_lt_u32_e64 s1, s20, v5
	v_cmpx_ge_u32_e64 s20, v5
; %bb.14:
	v_add_nc_u32_e32 v5, s22, v18
	v_add_nc_u32_e32 v6, s38, v18
	s_delay_alu instid0(VALU_DEP_2) | instskip(NEXT) | instid1(VALU_DEP_2)
	v_mul_lo_u32 v5, v5, s21
	v_mul_lo_u32 v6, v6, s23
	s_delay_alu instid0(VALU_DEP_1) | instskip(NEXT) | instid1(VALU_DEP_1)
	v_sub_nc_u32_e32 v5, v5, v6
	v_cmp_lt_u32_e64 s3, s39, v5
	s_delay_alu instid0(VALU_DEP_1)
	s_and_b32 s43, s3, exec_lo
; %bb.15:
	s_or_b32 exec_lo, exec_lo, s4
	v_add_nc_u32_e32 v5, s17, v19
	v_add_nc_u32_e32 v6, s19, v19
	s_mov_b32 s5, exec_lo
	s_delay_alu instid0(VALU_DEP_2) | instskip(NEXT) | instid1(VALU_DEP_2)
	v_mul_lo_u32 v5, v5, s16
	v_mul_lo_u32 v6, v6, s18
	s_delay_alu instid0(VALU_DEP_1) | instskip(NEXT) | instid1(VALU_DEP_1)
	v_sub_nc_u32_e32 v5, v5, v6
	v_cmp_lt_u32_e64 s3, s20, v5
	v_cmpx_ge_u32_e64 s20, v5
; %bb.16:
	v_add_nc_u32_e32 v5, s22, v19
	v_add_nc_u32_e32 v6, s38, v19
	s_delay_alu instid0(VALU_DEP_2) | instskip(NEXT) | instid1(VALU_DEP_2)
	v_mul_lo_u32 v5, v5, s21
	v_mul_lo_u32 v6, v6, s23
	s_delay_alu instid0(VALU_DEP_1) | instskip(NEXT) | instid1(VALU_DEP_1)
	v_sub_nc_u32_e32 v5, v5, v6
	v_cmp_lt_u32_e64 s4, s39, v5
	s_delay_alu instid0(VALU_DEP_1)
	s_and_b32 s44, s4, exec_lo
; %bb.17:
	s_or_b32 exec_lo, exec_lo, s5
	v_add_nc_u32_e32 v5, s17, v16
	v_add_nc_u32_e32 v6, s19, v16
	s_mov_b32 s46, 0
	s_mov_b32 s45, 0
	s_mov_b32 s6, exec_lo
	v_mul_lo_u32 v5, v5, s16
	v_mul_lo_u32 v6, v6, s18
	s_delay_alu instid0(VALU_DEP_1) | instskip(NEXT) | instid1(VALU_DEP_1)
	v_sub_nc_u32_e32 v5, v5, v6
	v_cmp_lt_u32_e64 s4, s20, v5
	;; [unrolled: 47-line block ×5, first 2 shown]
	v_cmpx_ge_u32_e64 s20, v5
; %bb.30:
	v_add_nc_u32_e32 v5, s22, v10
	v_add_nc_u32_e32 v6, s38, v10
	s_delay_alu instid0(VALU_DEP_2) | instskip(NEXT) | instid1(VALU_DEP_2)
	v_mul_lo_u32 v5, v5, s21
	v_mul_lo_u32 v6, v6, s23
	s_delay_alu instid0(VALU_DEP_1) | instskip(NEXT) | instid1(VALU_DEP_1)
	v_sub_nc_u32_e32 v5, v5, v6
	v_cmp_lt_u32_e64 s11, s39, v5
	s_delay_alu instid0(VALU_DEP_1)
	s_and_b32 s53, s11, exec_lo
; %bb.31:
	s_or_b32 exec_lo, exec_lo, s12
	v_add_nc_u32_e32 v5, s17, v11
	v_add_nc_u32_e32 v6, s19, v11
	s_mov_b32 s27, exec_lo
	s_delay_alu instid0(VALU_DEP_2) | instskip(NEXT) | instid1(VALU_DEP_2)
	v_mul_lo_u32 v5, v5, s16
	v_mul_lo_u32 v6, v6, s18
	s_delay_alu instid0(VALU_DEP_1) | instskip(NEXT) | instid1(VALU_DEP_1)
	v_sub_nc_u32_e32 v5, v5, v6
	v_cmp_lt_u32_e64 s11, s20, v5
	v_cmpx_ge_u32_e64 s20, v5
; %bb.32:
	v_add_nc_u32_e32 v5, s22, v11
	v_add_nc_u32_e32 v6, s38, v11
	s_delay_alu instid0(VALU_DEP_2) | instskip(NEXT) | instid1(VALU_DEP_2)
	v_mul_lo_u32 v5, v5, s21
	v_mul_lo_u32 v6, v6, s23
	s_delay_alu instid0(VALU_DEP_1) | instskip(NEXT) | instid1(VALU_DEP_1)
	v_sub_nc_u32_e32 v5, v5, v6
	v_cmp_lt_u32_e64 s12, s39, v5
	s_delay_alu instid0(VALU_DEP_1)
	s_and_b32 s52, s12, exec_lo
; %bb.33:
	s_or_b32 exec_lo, exec_lo, s27
	v_add_nc_u32_e32 v5, s17, v32
	v_add_nc_u32_e32 v6, s19, v32
	s_mov_b32 s27, -1
	s_mov_b32 s49, 0
	s_mov_b32 s33, 0
	v_mul_lo_u32 v5, v5, s16
	v_mul_lo_u32 v6, v6, s18
	s_mov_b32 s54, exec_lo
	s_delay_alu instid0(VALU_DEP_1) | instskip(NEXT) | instid1(VALU_DEP_1)
	v_sub_nc_u32_e32 v5, v5, v6
	v_cmpx_ge_u32_e64 s20, v5
; %bb.34:
	v_add_nc_u32_e32 v5, s22, v32
	v_add_nc_u32_e32 v6, s38, v32
	s_xor_b32 s27, exec_lo, -1
	s_delay_alu instid0(VALU_DEP_2) | instskip(NEXT) | instid1(VALU_DEP_2)
	v_mul_lo_u32 v5, v5, s21
	v_mul_lo_u32 v6, v6, s23
	s_delay_alu instid0(VALU_DEP_1) | instskip(NEXT) | instid1(VALU_DEP_1)
	v_sub_nc_u32_e32 v5, v5, v6
	v_cmp_lt_u32_e64 s12, s39, v5
	s_delay_alu instid0(VALU_DEP_1)
	s_and_b32 s33, s12, exec_lo
; %bb.35:
	s_or_b32 exec_lo, exec_lo, s54
	v_cndmask_b32_e64 v53, 0, 1, s53
	v_cndmask_b32_e64 v56, 0, 1, s11
	;; [unrolled: 1-line block ×22, first 2 shown]
	v_cndmask_b32_e64 v34, 0, 1, vcc_lo
	v_cndmask_b32_e64 v57, 0, 1, s52
	s_and_b32 vcc_lo, exec_lo, s49
	s_add_i32 s4, s40, 0xd00
	s_cbranch_vccnz .LBB1482_37
	s_branch .LBB1482_90
.LBB1482_36:
                                        ; implicit-def: $sgpr27
                                        ; implicit-def: $sgpr33
                                        ; implicit-def: $vgpr57
                                        ; implicit-def: $vgpr53
                                        ; implicit-def: $vgpr52
                                        ; implicit-def: $vgpr50
                                        ; implicit-def: $vgpr48
                                        ; implicit-def: $vgpr46
                                        ; implicit-def: $vgpr44
                                        ; implicit-def: $vgpr42
                                        ; implicit-def: $vgpr39
                                        ; implicit-def: $vgpr34
                                        ; implicit-def: $vgpr37
                                        ; implicit-def: $vgpr36
                                        ; implicit-def: $vgpr41
                                        ; implicit-def: $vgpr43
                                        ; implicit-def: $vgpr45
                                        ; implicit-def: $vgpr47
                                        ; implicit-def: $vgpr49
                                        ; implicit-def: $vgpr51
                                        ; implicit-def: $vgpr54
                                        ; implicit-def: $vgpr55
                                        ; implicit-def: $vgpr56
                                        ; implicit-def: $vgpr35
                                        ; implicit-def: $vgpr40
                                        ; implicit-def: $vgpr38
	s_add_i32 s4, s40, 0xd00
	s_cbranch_execz .LBB1482_90
.LBB1482_37:
	v_dual_mov_b32 v35, 0 :: v_dual_mov_b32 v34, 0
	s_mov_b32 s3, 0
	s_mov_b32 s1, exec_lo
	v_cmpx_gt_u32_e64 s4, v33
	s_cbranch_execz .LBB1482_41
; %bb.38:
	v_add_nc_u32_e32 v5, s17, v20
	v_add_nc_u32_e32 v6, s19, v20
	s_mov_b32 s5, exec_lo
	s_delay_alu instid0(VALU_DEP_2) | instskip(NEXT) | instid1(VALU_DEP_2)
	v_mul_lo_u32 v5, v5, s16
	v_mul_lo_u32 v6, v6, s18
	s_delay_alu instid0(VALU_DEP_1) | instskip(NEXT) | instid1(VALU_DEP_1)
	v_sub_nc_u32_e32 v5, v5, v6
	v_cmp_lt_u32_e32 vcc_lo, s20, v5
	v_cmpx_ge_u32_e64 s20, v5
; %bb.39:
	v_add_nc_u32_e32 v5, s22, v20
	v_add_nc_u32_e32 v6, s38, v20
	s_delay_alu instid0(VALU_DEP_2) | instskip(NEXT) | instid1(VALU_DEP_2)
	v_mul_lo_u32 v5, v5, s21
	v_mul_lo_u32 v6, v6, s23
	s_delay_alu instid0(VALU_DEP_1) | instskip(NEXT) | instid1(VALU_DEP_1)
	v_sub_nc_u32_e32 v5, v5, v6
	v_cmp_lt_u32_e64 s0, s39, v5
	s_delay_alu instid0(VALU_DEP_1)
	s_and_b32 s3, s0, exec_lo
; %bb.40:
	s_or_b32 exec_lo, exec_lo, s5
	v_cndmask_b32_e64 v34, 0, 1, vcc_lo
	v_cndmask_b32_e64 v35, 0, 1, s3
.LBB1482_41:
	s_or_b32 exec_lo, exec_lo, s1
	v_dual_mov_b32 v40, 0 :: v_dual_add_nc_u32 v5, 1, v33
	v_mov_b32_e32 v37, 0
	s_mov_b32 s3, 0
	s_mov_b32 s1, exec_lo
	s_delay_alu instid0(VALU_DEP_2)
	v_cmpx_gt_u32_e64 s4, v5
	s_cbranch_execz .LBB1482_45
; %bb.42:
	v_add_nc_u32_e32 v5, s17, v21
	v_add_nc_u32_e32 v6, s19, v21
	s_mov_b32 s5, exec_lo
	s_delay_alu instid0(VALU_DEP_2) | instskip(NEXT) | instid1(VALU_DEP_2)
	v_mul_lo_u32 v5, v5, s16
	v_mul_lo_u32 v6, v6, s18
	s_delay_alu instid0(VALU_DEP_1) | instskip(NEXT) | instid1(VALU_DEP_1)
	v_sub_nc_u32_e32 v5, v5, v6
	v_cmp_lt_u32_e32 vcc_lo, s20, v5
	v_cmpx_ge_u32_e64 s20, v5
; %bb.43:
	v_add_nc_u32_e32 v5, s22, v21
	v_add_nc_u32_e32 v6, s38, v21
	s_delay_alu instid0(VALU_DEP_2) | instskip(NEXT) | instid1(VALU_DEP_2)
	v_mul_lo_u32 v5, v5, s21
	v_mul_lo_u32 v6, v6, s23
	s_delay_alu instid0(VALU_DEP_1) | instskip(NEXT) | instid1(VALU_DEP_1)
	v_sub_nc_u32_e32 v5, v5, v6
	v_cmp_lt_u32_e64 s0, s39, v5
	s_delay_alu instid0(VALU_DEP_1)
	s_and_b32 s3, s0, exec_lo
; %bb.44:
	s_or_b32 exec_lo, exec_lo, s5
	v_cndmask_b32_e64 v37, 0, 1, vcc_lo
	v_cndmask_b32_e64 v40, 0, 1, s3
.LBB1482_45:
	s_or_b32 exec_lo, exec_lo, s1
	v_dual_mov_b32 v36, 0 :: v_dual_add_nc_u32 v5, 2, v33
	v_mov_b32_e32 v38, 0
	s_mov_b32 s3, 0
	s_mov_b32 s1, exec_lo
	s_delay_alu instid0(VALU_DEP_2)
	v_cmpx_gt_u32_e64 s4, v5
	s_cbranch_execz .LBB1482_49
; %bb.46:
	v_add_nc_u32_e32 v5, s17, v18
	v_add_nc_u32_e32 v6, s19, v18
	s_mov_b32 s5, exec_lo
	s_delay_alu instid0(VALU_DEP_2) | instskip(NEXT) | instid1(VALU_DEP_2)
	v_mul_lo_u32 v5, v5, s16
	v_mul_lo_u32 v6, v6, s18
	s_delay_alu instid0(VALU_DEP_1) | instskip(NEXT) | instid1(VALU_DEP_1)
	v_sub_nc_u32_e32 v5, v5, v6
	v_cmp_lt_u32_e32 vcc_lo, s20, v5
	v_cmpx_ge_u32_e64 s20, v5
; %bb.47:
	v_add_nc_u32_e32 v5, s22, v18
	v_add_nc_u32_e32 v6, s38, v18
	s_delay_alu instid0(VALU_DEP_2) | instskip(NEXT) | instid1(VALU_DEP_2)
	v_mul_lo_u32 v5, v5, s21
	v_mul_lo_u32 v6, v6, s23
	s_delay_alu instid0(VALU_DEP_1) | instskip(NEXT) | instid1(VALU_DEP_1)
	v_sub_nc_u32_e32 v5, v5, v6
	v_cmp_lt_u32_e64 s0, s39, v5
	s_delay_alu instid0(VALU_DEP_1)
	s_and_b32 s3, s0, exec_lo
; %bb.48:
	s_or_b32 exec_lo, exec_lo, s5
	v_cndmask_b32_e64 v36, 0, 1, vcc_lo
	v_cndmask_b32_e64 v38, 0, 1, s3
.LBB1482_49:
	s_or_b32 exec_lo, exec_lo, s1
	v_add_nc_u32_e32 v5, 3, v33
	v_mov_b32_e32 v39, 0
	v_mov_b32_e32 v41, 0
	s_mov_b32 s3, 0
	s_mov_b32 s1, exec_lo
	v_cmpx_gt_u32_e64 s4, v5
	s_cbranch_execz .LBB1482_53
; %bb.50:
	v_add_nc_u32_e32 v5, s17, v19
	v_add_nc_u32_e32 v6, s19, v19
	s_mov_b32 s5, exec_lo
	s_delay_alu instid0(VALU_DEP_2) | instskip(NEXT) | instid1(VALU_DEP_2)
	v_mul_lo_u32 v5, v5, s16
	v_mul_lo_u32 v6, v6, s18
	s_delay_alu instid0(VALU_DEP_1) | instskip(NEXT) | instid1(VALU_DEP_1)
	v_sub_nc_u32_e32 v5, v5, v6
	v_cmp_lt_u32_e32 vcc_lo, s20, v5
	v_cmpx_ge_u32_e64 s20, v5
; %bb.51:
	v_add_nc_u32_e32 v5, s22, v19
	v_add_nc_u32_e32 v6, s38, v19
	s_delay_alu instid0(VALU_DEP_2) | instskip(NEXT) | instid1(VALU_DEP_2)
	v_mul_lo_u32 v5, v5, s21
	v_mul_lo_u32 v6, v6, s23
	s_delay_alu instid0(VALU_DEP_1) | instskip(NEXT) | instid1(VALU_DEP_1)
	v_sub_nc_u32_e32 v5, v5, v6
	v_cmp_lt_u32_e64 s0, s39, v5
	s_delay_alu instid0(VALU_DEP_1)
	s_and_b32 s3, s0, exec_lo
; %bb.52:
	s_or_b32 exec_lo, exec_lo, s5
	v_cndmask_b32_e64 v41, 0, 1, vcc_lo
	v_cndmask_b32_e64 v39, 0, 1, s3
.LBB1482_53:
	s_or_b32 exec_lo, exec_lo, s1
	v_dual_mov_b32 v42, 0 :: v_dual_add_nc_u32 v5, 4, v33
	v_mov_b32_e32 v43, 0
	s_mov_b32 s3, 0
	s_mov_b32 s1, exec_lo
	s_delay_alu instid0(VALU_DEP_2)
	v_cmpx_gt_u32_e64 s4, v5
	s_cbranch_execz .LBB1482_57
; %bb.54:
	v_add_nc_u32_e32 v5, s17, v16
	v_add_nc_u32_e32 v6, s19, v16
	s_mov_b32 s5, exec_lo
	s_delay_alu instid0(VALU_DEP_2) | instskip(NEXT) | instid1(VALU_DEP_2)
	v_mul_lo_u32 v5, v5, s16
	v_mul_lo_u32 v6, v6, s18
	s_delay_alu instid0(VALU_DEP_1) | instskip(NEXT) | instid1(VALU_DEP_1)
	v_sub_nc_u32_e32 v5, v5, v6
	v_cmp_lt_u32_e32 vcc_lo, s20, v5
	v_cmpx_ge_u32_e64 s20, v5
; %bb.55:
	v_add_nc_u32_e32 v5, s22, v16
	v_add_nc_u32_e32 v6, s38, v16
	s_delay_alu instid0(VALU_DEP_2) | instskip(NEXT) | instid1(VALU_DEP_2)
	v_mul_lo_u32 v5, v5, s21
	v_mul_lo_u32 v6, v6, s23
	s_delay_alu instid0(VALU_DEP_1) | instskip(NEXT) | instid1(VALU_DEP_1)
	v_sub_nc_u32_e32 v5, v5, v6
	v_cmp_lt_u32_e64 s0, s39, v5
	s_delay_alu instid0(VALU_DEP_1)
	s_and_b32 s3, s0, exec_lo
; %bb.56:
	s_or_b32 exec_lo, exec_lo, s5
	v_cndmask_b32_e64 v43, 0, 1, vcc_lo
	v_cndmask_b32_e64 v42, 0, 1, s3
.LBB1482_57:
	s_or_b32 exec_lo, exec_lo, s1
	v_dual_mov_b32 v44, 0 :: v_dual_add_nc_u32 v5, 5, v33
	v_mov_b32_e32 v45, 0
	s_mov_b32 s3, 0
	s_mov_b32 s1, exec_lo
	s_delay_alu instid0(VALU_DEP_2)
	;; [unrolled: 35-line block ×6, first 2 shown]
	v_cmpx_gt_u32_e64 s4, v5
	s_cbranch_execz .LBB1482_77
; %bb.74:
	v_add_nc_u32_e32 v5, s17, v13
	v_add_nc_u32_e32 v6, s19, v13
	s_mov_b32 s5, exec_lo
	s_delay_alu instid0(VALU_DEP_2) | instskip(NEXT) | instid1(VALU_DEP_2)
	v_mul_lo_u32 v5, v5, s16
	v_mul_lo_u32 v6, v6, s18
	s_delay_alu instid0(VALU_DEP_1) | instskip(NEXT) | instid1(VALU_DEP_1)
	v_sub_nc_u32_e32 v5, v5, v6
	v_cmp_lt_u32_e32 vcc_lo, s20, v5
	v_cmpx_ge_u32_e64 s20, v5
; %bb.75:
	v_add_nc_u32_e32 v5, s22, v13
	v_add_nc_u32_e32 v6, s38, v13
	s_delay_alu instid0(VALU_DEP_2) | instskip(NEXT) | instid1(VALU_DEP_2)
	v_mul_lo_u32 v5, v5, s21
	v_mul_lo_u32 v6, v6, s23
	s_delay_alu instid0(VALU_DEP_1) | instskip(NEXT) | instid1(VALU_DEP_1)
	v_sub_nc_u32_e32 v5, v5, v6
	v_cmp_lt_u32_e64 s0, s39, v5
	s_delay_alu instid0(VALU_DEP_1)
	s_and_b32 s3, s0, exec_lo
; %bb.76:
	s_or_b32 exec_lo, exec_lo, s5
	v_cndmask_b32_e64 v54, 0, 1, vcc_lo
	v_cndmask_b32_e64 v52, 0, 1, s3
.LBB1482_77:
	s_or_b32 exec_lo, exec_lo, s1
	v_add_nc_u32_e32 v5, 10, v33
	v_mov_b32_e32 v53, 0
	v_mov_b32_e32 v55, 0
	s_mov_b32 s3, 0
	s_mov_b32 s1, exec_lo
	v_cmpx_gt_u32_e64 s4, v5
	s_cbranch_execz .LBB1482_81
; %bb.78:
	v_add_nc_u32_e32 v5, s17, v10
	v_add_nc_u32_e32 v6, s19, v10
	s_mov_b32 s5, exec_lo
	s_delay_alu instid0(VALU_DEP_2) | instskip(NEXT) | instid1(VALU_DEP_2)
	v_mul_lo_u32 v5, v5, s16
	v_mul_lo_u32 v6, v6, s18
	s_delay_alu instid0(VALU_DEP_1) | instskip(NEXT) | instid1(VALU_DEP_1)
	v_sub_nc_u32_e32 v5, v5, v6
	v_cmp_lt_u32_e32 vcc_lo, s20, v5
	v_cmpx_ge_u32_e64 s20, v5
; %bb.79:
	v_add_nc_u32_e32 v5, s22, v10
	v_add_nc_u32_e32 v6, s38, v10
	s_delay_alu instid0(VALU_DEP_2) | instskip(NEXT) | instid1(VALU_DEP_2)
	v_mul_lo_u32 v5, v5, s21
	v_mul_lo_u32 v6, v6, s23
	s_delay_alu instid0(VALU_DEP_1) | instskip(NEXT) | instid1(VALU_DEP_1)
	v_sub_nc_u32_e32 v5, v5, v6
	v_cmp_lt_u32_e64 s0, s39, v5
	s_delay_alu instid0(VALU_DEP_1)
	s_and_b32 s3, s0, exec_lo
; %bb.80:
	s_or_b32 exec_lo, exec_lo, s5
	v_cndmask_b32_e64 v55, 0, 1, vcc_lo
	v_cndmask_b32_e64 v53, 0, 1, s3
.LBB1482_81:
	s_or_b32 exec_lo, exec_lo, s1
	v_dual_mov_b32 v56, 0 :: v_dual_add_nc_u32 v5, 11, v33
	v_mov_b32_e32 v57, 0
	s_mov_b32 s3, 0
	s_mov_b32 s1, exec_lo
	s_delay_alu instid0(VALU_DEP_2)
	v_cmpx_gt_u32_e64 s4, v5
	s_cbranch_execz .LBB1482_85
; %bb.82:
	v_add_nc_u32_e32 v5, s17, v11
	v_add_nc_u32_e32 v6, s19, v11
	s_mov_b32 s5, exec_lo
	s_delay_alu instid0(VALU_DEP_2) | instskip(NEXT) | instid1(VALU_DEP_2)
	v_mul_lo_u32 v5, v5, s16
	v_mul_lo_u32 v6, v6, s18
	s_delay_alu instid0(VALU_DEP_1) | instskip(NEXT) | instid1(VALU_DEP_1)
	v_sub_nc_u32_e32 v5, v5, v6
	v_cmp_lt_u32_e32 vcc_lo, s20, v5
	v_cmpx_ge_u32_e64 s20, v5
; %bb.83:
	v_add_nc_u32_e32 v5, s22, v11
	v_add_nc_u32_e32 v6, s38, v11
	s_delay_alu instid0(VALU_DEP_2) | instskip(NEXT) | instid1(VALU_DEP_2)
	v_mul_lo_u32 v5, v5, s21
	v_mul_lo_u32 v6, v6, s23
	s_delay_alu instid0(VALU_DEP_1) | instskip(NEXT) | instid1(VALU_DEP_1)
	v_sub_nc_u32_e32 v5, v5, v6
	v_cmp_lt_u32_e64 s0, s39, v5
	s_delay_alu instid0(VALU_DEP_1)
	s_and_b32 s3, s0, exec_lo
; %bb.84:
	s_or_b32 exec_lo, exec_lo, s5
	v_cndmask_b32_e64 v56, 0, 1, vcc_lo
	v_cndmask_b32_e64 v57, 0, 1, s3
.LBB1482_85:
	s_or_b32 exec_lo, exec_lo, s1
	v_add_nc_u32_e32 v5, 12, v33
	s_mov_b32 s27, 0
	s_mov_b32 s33, 0
	s_mov_b32 s0, exec_lo
	s_delay_alu instid0(VALU_DEP_1)
	v_cmpx_gt_u32_e64 s4, v5
	s_cbranch_execz .LBB1482_89
; %bb.86:
	v_add_nc_u32_e32 v5, s17, v32
	v_add_nc_u32_e32 v6, s19, v32
	s_mov_b32 s3, -1
	s_mov_b32 s5, 0
	s_mov_b32 s1, exec_lo
	v_mul_lo_u32 v5, v5, s16
	v_mul_lo_u32 v6, v6, s18
	s_delay_alu instid0(VALU_DEP_1) | instskip(NEXT) | instid1(VALU_DEP_1)
	v_sub_nc_u32_e32 v5, v5, v6
	v_cmpx_ge_u32_e64 s20, v5
; %bb.87:
	v_add_nc_u32_e32 v5, s22, v32
	v_add_nc_u32_e32 v6, s38, v32
	s_xor_b32 s3, exec_lo, -1
	s_delay_alu instid0(VALU_DEP_2) | instskip(NEXT) | instid1(VALU_DEP_2)
	v_mul_lo_u32 v5, v5, s21
	v_mul_lo_u32 v6, v6, s23
	s_delay_alu instid0(VALU_DEP_1) | instskip(NEXT) | instid1(VALU_DEP_1)
	v_sub_nc_u32_e32 v5, v5, v6
	v_cmp_lt_u32_e32 vcc_lo, s39, v5
	s_and_b32 s5, vcc_lo, exec_lo
; %bb.88:
	s_or_b32 exec_lo, exec_lo, s1
	s_delay_alu instid0(SALU_CYCLE_1)
	s_and_b32 s33, s5, exec_lo
	s_and_b32 s27, s3, exec_lo
.LBB1482_89:
	s_or_b32 exec_lo, exec_lo, s0
.LBB1482_90:
	v_and_b32_e32 v80, 0xff, v34
	v_and_b32_e32 v81, 0xff, v35
	;; [unrolled: 1-line block ×10, first 2 shown]
	v_add3_u32 v5, v76, v78, v80
	v_add3_u32 v6, v77, v79, v81
	v_and_b32_e32 v70, 0xff, v45
	v_and_b32_e32 v71, 0xff, v44
	v_and_b32_e32 v64, 0xff, v47
	v_and_b32_e32 v65, 0xff, v46
	v_add3_u32 v5, v5, v74, v72
	v_add3_u32 v6, v6, v75, v73
	v_and_b32_e32 v68, 0xff, v49
	v_and_b32_e32 v69, 0xff, v48
	v_and_b32_e32 v66, 0xff, v51
	v_and_b32_e32 v67, 0xff, v50
	v_add3_u32 v5, v5, v70, v64
	v_add3_u32 v6, v6, v71, v65
	v_and_b32_e32 v61, 0xff, v54
	v_and_b32_e32 v62, 0xff, v52
	v_and_b32_e32 v60, 0xff, v55
	v_and_b32_e32 v63, 0xff, v53
	v_add3_u32 v5, v5, v68, v66
	v_add3_u32 v6, v6, v69, v67
	v_mbcnt_lo_u32_b32 v82, -1, 0
	v_and_b32_e32 v58, 0xff, v56
	v_and_b32_e32 v59, 0xff, v57
	v_cndmask_b32_e64 v7, 0, 1, s33
	v_add3_u32 v5, v5, v61, v60
	v_cndmask_b32_e64 v8, 0, 1, s27
	v_add3_u32 v6, v6, v62, v63
	v_and_b32_e32 v86, 15, v82
	v_and_b32_e32 v85, 16, v82
	v_lshrrev_b32_e32 v83, 5, v0
	v_add3_u32 v87, v5, v58, v8
	v_add3_u32 v88, v6, v59, v7
	v_cmp_eq_u32_e64 s1, 0, v86
	v_cmp_lt_u32_e64 s0, 1, v86
	v_cmp_lt_u32_e64 s3, 3, v86
	v_cmp_lt_u32_e32 vcc_lo, 7, v86
	v_or_b32_e32 v84, 31, v0
	s_cmp_lg_u32 s26, 0
	s_mov_b32 s5, -1
	s_cbranch_scc0 .LBB1482_123
; %bb.91:
	v_mov_b32_dpp v5, v88 row_shr:1 row_mask:0xf bank_mask:0xf
	v_mov_b32_dpp v6, v87 row_shr:1 row_mask:0xf bank_mask:0xf
	s_delay_alu instid0(VALU_DEP_2) | instskip(NEXT) | instid1(VALU_DEP_2)
	v_add_nc_u32_e32 v5, v5, v88
	v_add_nc_u32_e32 v6, v6, v87
	s_delay_alu instid0(VALU_DEP_2) | instskip(NEXT) | instid1(VALU_DEP_2)
	v_cndmask_b32_e64 v5, v5, v88, s1
	v_cndmask_b32_e64 v6, v6, v87, s1
	s_delay_alu instid0(VALU_DEP_2) | instskip(NEXT) | instid1(VALU_DEP_2)
	v_mov_b32_dpp v7, v5 row_shr:2 row_mask:0xf bank_mask:0xf
	v_mov_b32_dpp v8, v6 row_shr:2 row_mask:0xf bank_mask:0xf
	s_delay_alu instid0(VALU_DEP_2) | instskip(NEXT) | instid1(VALU_DEP_1)
	v_add_nc_u32_e32 v7, v5, v7
	v_cndmask_b32_e64 v5, v5, v7, s0
	s_delay_alu instid0(VALU_DEP_1) | instskip(NEXT) | instid1(VALU_DEP_1)
	v_mov_b32_dpp v7, v5 row_shr:4 row_mask:0xf bank_mask:0xf
	v_add_nc_u32_e32 v7, v5, v7
	s_delay_alu instid0(VALU_DEP_1) | instskip(NEXT) | instid1(VALU_DEP_1)
	v_cndmask_b32_e64 v5, v5, v7, s3
	v_mov_b32_dpp v7, v5 row_shr:8 row_mask:0xf bank_mask:0xf
	s_delay_alu instid0(VALU_DEP_1) | instskip(NEXT) | instid1(VALU_DEP_1)
	v_add_nc_u32_e32 v7, v5, v7
	v_dual_cndmask_b32 v5, v5, v7 :: v_dual_add_nc_u32 v8, v6, v8
	s_delay_alu instid0(VALU_DEP_1) | instskip(NEXT) | instid1(VALU_DEP_1)
	v_cndmask_b32_e64 v6, v6, v8, s0
	v_mov_b32_dpp v8, v6 row_shr:4 row_mask:0xf bank_mask:0xf
	s_delay_alu instid0(VALU_DEP_1) | instskip(NEXT) | instid1(VALU_DEP_1)
	v_add_nc_u32_e32 v8, v6, v8
	v_cndmask_b32_e64 v6, v6, v8, s3
	s_mov_b32 s3, exec_lo
	s_delay_alu instid0(VALU_DEP_1) | instskip(NEXT) | instid1(VALU_DEP_1)
	v_mov_b32_dpp v8, v6 row_shr:8 row_mask:0xf bank_mask:0xf
	v_add_nc_u32_e32 v8, v6, v8
	s_delay_alu instid0(VALU_DEP_1)
	v_cndmask_b32_e32 v7, v6, v8, vcc_lo
	ds_swizzle_b32 v6, v5 offset:swizzle(BROADCAST,32,15)
	v_cmp_eq_u32_e32 vcc_lo, 0, v85
	s_waitcnt lgkmcnt(0)
	v_add_nc_u32_e32 v6, v5, v6
	ds_swizzle_b32 v8, v7 offset:swizzle(BROADCAST,32,15)
	v_cndmask_b32_e32 v6, v6, v5, vcc_lo
	s_waitcnt lgkmcnt(0)
	v_add_nc_u32_e32 v8, v7, v8
	s_delay_alu instid0(VALU_DEP_1)
	v_cndmask_b32_e32 v5, v8, v7, vcc_lo
	v_cmpx_eq_u32_e64 v84, v0
	s_cbranch_execz .LBB1482_93
; %bb.92:
	v_lshlrev_b32_e32 v7, 3, v83
	ds_store_b64 v7, v[5:6]
.LBB1482_93:
	s_or_b32 exec_lo, exec_lo, s3
	s_delay_alu instid0(SALU_CYCLE_1)
	s_mov_b32 s3, exec_lo
	s_waitcnt lgkmcnt(0)
	s_barrier
	buffer_gl0_inv
	v_cmpx_gt_u32_e32 8, v0
	s_cbranch_execz .LBB1482_95
; %bb.94:
	v_lshlrev_b32_e32 v9, 3, v0
	ds_load_b64 v[7:8], v9
	s_waitcnt lgkmcnt(0)
	v_mov_b32_dpp v22, v7 row_shr:1 row_mask:0xf bank_mask:0xf
	v_mov_b32_dpp v23, v8 row_shr:1 row_mask:0xf bank_mask:0xf
	s_delay_alu instid0(VALU_DEP_2) | instskip(SKIP_1) | instid1(VALU_DEP_3)
	v_add_nc_u32_e32 v22, v22, v7
	v_and_b32_e32 v24, 7, v82
	v_add_nc_u32_e32 v23, v23, v8
	s_delay_alu instid0(VALU_DEP_2) | instskip(NEXT) | instid1(VALU_DEP_2)
	v_cmp_eq_u32_e32 vcc_lo, 0, v24
	v_dual_cndmask_b32 v8, v23, v8 :: v_dual_cndmask_b32 v7, v22, v7
	v_cmp_lt_u32_e32 vcc_lo, 1, v24
	s_delay_alu instid0(VALU_DEP_2) | instskip(NEXT) | instid1(VALU_DEP_3)
	v_mov_b32_dpp v23, v8 row_shr:2 row_mask:0xf bank_mask:0xf
	v_mov_b32_dpp v22, v7 row_shr:2 row_mask:0xf bank_mask:0xf
	s_delay_alu instid0(VALU_DEP_2) | instskip(NEXT) | instid1(VALU_DEP_2)
	v_add_nc_u32_e32 v23, v8, v23
	v_add_nc_u32_e32 v22, v7, v22
	s_delay_alu instid0(VALU_DEP_1) | instskip(SKIP_1) | instid1(VALU_DEP_2)
	v_dual_cndmask_b32 v8, v8, v23 :: v_dual_cndmask_b32 v7, v7, v22
	v_cmp_lt_u32_e32 vcc_lo, 3, v24
	v_mov_b32_dpp v23, v8 row_shr:4 row_mask:0xf bank_mask:0xf
	s_delay_alu instid0(VALU_DEP_3) | instskip(NEXT) | instid1(VALU_DEP_1)
	v_mov_b32_dpp v22, v7 row_shr:4 row_mask:0xf bank_mask:0xf
	v_dual_cndmask_b32 v23, 0, v23 :: v_dual_cndmask_b32 v22, 0, v22
	s_delay_alu instid0(VALU_DEP_1) | instskip(NEXT) | instid1(VALU_DEP_2)
	v_add_nc_u32_e32 v8, v23, v8
	v_add_nc_u32_e32 v7, v22, v7
	ds_store_b64 v9, v[7:8]
.LBB1482_95:
	s_or_b32 exec_lo, exec_lo, s3
	v_cmp_gt_u32_e32 vcc_lo, 32, v0
	v_cmp_lt_u32_e64 s3, 31, v0
	s_waitcnt lgkmcnt(0)
	s_barrier
	buffer_gl0_inv
                                        ; implicit-def: $vgpr23
	s_and_saveexec_b32 s5, s3
	s_delay_alu instid0(SALU_CYCLE_1)
	s_xor_b32 s3, exec_lo, s5
	s_cbranch_execz .LBB1482_97
; %bb.96:
	v_lshl_add_u32 v7, v83, 3, -8
	ds_load_b64 v[22:23], v7
	s_waitcnt lgkmcnt(0)
	v_add_nc_u32_e32 v6, v23, v6
	v_add_nc_u32_e32 v5, v22, v5
.LBB1482_97:
	s_and_not1_saveexec_b32 s3, s3
; %bb.98:
                                        ; implicit-def: $vgpr22
; %bb.99:
	s_delay_alu instid0(SALU_CYCLE_1) | instskip(SKIP_1) | instid1(VALU_DEP_1)
	s_or_b32 exec_lo, exec_lo, s3
	v_add_nc_u32_e32 v7, -1, v82
	v_cmp_gt_i32_e64 s3, 0, v7
	s_delay_alu instid0(VALU_DEP_1) | instskip(SKIP_1) | instid1(VALU_DEP_2)
	v_cndmask_b32_e64 v7, v7, v82, s3
	v_cmp_eq_u32_e64 s3, 0, v82
	v_lshlrev_b32_e32 v7, 2, v7
	ds_bpermute_b32 v89, v7, v5
	ds_bpermute_b32 v90, v7, v6
	s_and_saveexec_b32 s5, vcc_lo
	s_cbranch_execz .LBB1482_122
; %bb.100:
	v_mov_b32_e32 v8, 0
	ds_load_b64 v[5:6], v8 offset:56
	s_waitcnt lgkmcnt(0)
	v_readfirstlane_b32 s6, v6
	s_and_saveexec_b32 s7, s3
	s_cbranch_execz .LBB1482_102
; %bb.101:
	s_add_i32 s8, s26, 32
	s_mov_b32 s9, 0
	v_mov_b32_e32 v7, 1
	s_lshl_b64 s[10:11], s[8:9], 4
	s_mov_b32 s16, s9
	s_add_u32 s10, s36, s10
	s_addc_u32 s11, s37, s11
	s_and_b32 s17, s6, 0xff000000
	s_and_b32 s19, s6, 0xff0000
	s_mov_b32 s18, s9
	v_dual_mov_b32 v25, s11 :: v_dual_mov_b32 v24, s10
	s_or_b64 s[16:17], s[18:19], s[16:17]
	s_and_b32 s19, s6, 0xff00
	s_delay_alu instid0(SALU_CYCLE_1) | instskip(SKIP_1) | instid1(SALU_CYCLE_1)
	s_or_b64 s[16:17], s[16:17], s[18:19]
	s_and_b32 s19, s6, 0xff
	s_or_b64 s[8:9], s[16:17], s[18:19]
	s_delay_alu instid0(SALU_CYCLE_1)
	v_mov_b32_e32 v6, s9
	;;#ASMSTART
	global_store_dwordx4 v[24:25], v[5:8] off	
s_waitcnt vmcnt(0)
	;;#ASMEND
.LBB1482_102:
	s_or_b32 exec_lo, exec_lo, s7
	v_xad_u32 v24, v82, -1, s26
	s_mov_b32 s8, 0
	s_mov_b32 s7, exec_lo
	s_delay_alu instid0(VALU_DEP_1) | instskip(NEXT) | instid1(VALU_DEP_1)
	v_add_nc_u32_e32 v7, 32, v24
	v_lshlrev_b64 v[6:7], 4, v[7:8]
	s_delay_alu instid0(VALU_DEP_1) | instskip(NEXT) | instid1(VALU_DEP_2)
	v_add_co_u32 v25, vcc_lo, s36, v6
	v_add_co_ci_u32_e32 v26, vcc_lo, s37, v7, vcc_lo
	;;#ASMSTART
	global_load_dwordx4 v[6:9], v[25:26] off glc	
s_waitcnt vmcnt(0)
	;;#ASMEND
	v_and_b32_e32 v9, 0xff, v7
	v_and_b32_e32 v27, 0xff00, v7
	v_or3_b32 v6, v6, 0, 0
	v_and_b32_e32 v28, 0xff000000, v7
	v_and_b32_e32 v7, 0xff0000, v7
	s_delay_alu instid0(VALU_DEP_4) | instskip(SKIP_2) | instid1(VALU_DEP_3)
	v_or3_b32 v9, 0, v9, v27
	v_and_b32_e32 v27, 0xff, v8
	v_or3_b32 v6, v6, 0, 0
	v_or3_b32 v7, v9, v7, v28
	s_delay_alu instid0(VALU_DEP_3)
	v_cmpx_eq_u16_e32 0, v27
	s_cbranch_execz .LBB1482_108
; %bb.103:
	s_mov_b32 s9, 1
	.p2align	6
.LBB1482_104:                           ; =>This Loop Header: Depth=1
                                        ;     Child Loop BB1482_105 Depth 2
	s_delay_alu instid0(SALU_CYCLE_1)
	s_max_u32 s10, s9, 1
.LBB1482_105:                           ;   Parent Loop BB1482_104 Depth=1
                                        ; =>  This Inner Loop Header: Depth=2
	s_delay_alu instid0(SALU_CYCLE_1)
	s_add_i32 s10, s10, -1
	s_sleep 1
	s_cmp_eq_u32 s10, 0
	s_cbranch_scc0 .LBB1482_105
; %bb.106:                              ;   in Loop: Header=BB1482_104 Depth=1
	;;#ASMSTART
	global_load_dwordx4 v[6:9], v[25:26] off glc	
s_waitcnt vmcnt(0)
	;;#ASMEND
	v_and_b32_e32 v9, 0xff, v8
	s_cmp_lt_u32 s9, 32
	s_cselect_b32 s10, -1, 0
	s_delay_alu instid0(SALU_CYCLE_1) | instskip(NEXT) | instid1(VALU_DEP_1)
	s_cmp_lg_u32 s10, 0
	v_cmp_ne_u16_e32 vcc_lo, 0, v9
	s_addc_u32 s9, s9, 0
	s_or_b32 s8, vcc_lo, s8
	s_delay_alu instid0(SALU_CYCLE_1)
	s_and_not1_b32 exec_lo, exec_lo, s8
	s_cbranch_execnz .LBB1482_104
; %bb.107:
	s_or_b32 exec_lo, exec_lo, s8
.LBB1482_108:
	s_delay_alu instid0(SALU_CYCLE_1) | instskip(SKIP_3) | instid1(VALU_DEP_1)
	s_or_b32 exec_lo, exec_lo, s7
	v_cmp_ne_u32_e32 vcc_lo, 31, v82
	v_lshlrev_b32_e64 v92, v82, -1
	v_add_co_ci_u32_e32 v9, vcc_lo, 0, v82, vcc_lo
	v_lshlrev_b32_e32 v91, 2, v9
	ds_bpermute_b32 v25, v91, v7
	ds_bpermute_b32 v9, v91, v6
	s_waitcnt lgkmcnt(1)
	v_add_nc_u32_e32 v25, v25, v7
	v_and_b32_e32 v26, 0xff, v8
	s_waitcnt lgkmcnt(0)
	v_add_nc_u32_e32 v9, v9, v6
	s_delay_alu instid0(VALU_DEP_2) | instskip(SKIP_2) | instid1(VALU_DEP_2)
	v_cmp_eq_u16_e32 vcc_lo, 2, v26
	v_and_or_b32 v26, vcc_lo, v92, 0x80000000
	v_cmp_gt_u32_e32 vcc_lo, 30, v82
	v_ctz_i32_b32_e32 v26, v26
	v_cndmask_b32_e64 v27, 0, 1, vcc_lo
	s_delay_alu instid0(VALU_DEP_2) | instskip(NEXT) | instid1(VALU_DEP_2)
	v_cmp_lt_u32_e32 vcc_lo, v82, v26
	v_dual_cndmask_b32 v6, v6, v9 :: v_dual_lshlrev_b32 v27, 1, v27
	s_delay_alu instid0(VALU_DEP_1)
	v_add_lshl_u32 v93, v27, v82, 2
	v_cndmask_b32_e32 v7, v7, v25, vcc_lo
	v_cmp_gt_u32_e32 vcc_lo, 28, v82
	ds_bpermute_b32 v9, v93, v6
	ds_bpermute_b32 v25, v93, v7
	v_cndmask_b32_e64 v27, 0, 1, vcc_lo
	s_waitcnt lgkmcnt(1)
	v_add_nc_u32_e32 v9, v6, v9
	s_waitcnt lgkmcnt(0)
	v_add_nc_u32_e32 v25, v7, v25
	v_add_nc_u32_e32 v94, 2, v82
	s_delay_alu instid0(VALU_DEP_1) | instskip(NEXT) | instid1(VALU_DEP_3)
	v_cmp_gt_u32_e32 vcc_lo, v94, v26
	v_cndmask_b32_e32 v7, v25, v7, vcc_lo
	v_dual_cndmask_b32 v6, v9, v6 :: v_dual_lshlrev_b32 v27, 2, v27
	v_cmp_gt_u32_e32 vcc_lo, 24, v82
	s_delay_alu instid0(VALU_DEP_2) | instskip(SKIP_4) | instid1(VALU_DEP_1)
	v_add_lshl_u32 v95, v27, v82, 2
	v_cndmask_b32_e64 v27, 0, 1, vcc_lo
	ds_bpermute_b32 v25, v95, v7
	ds_bpermute_b32 v9, v95, v6
	v_lshlrev_b32_e32 v27, 3, v27
	v_add_lshl_u32 v97, v27, v82, 2
	s_waitcnt lgkmcnt(1)
	v_add_nc_u32_e32 v25, v7, v25
	v_add_nc_u32_e32 v96, 4, v82
	s_waitcnt lgkmcnt(0)
	v_add_nc_u32_e32 v9, v6, v9
	s_delay_alu instid0(VALU_DEP_2) | instskip(SKIP_1) | instid1(VALU_DEP_3)
	v_cmp_gt_u32_e32 vcc_lo, v96, v26
	v_cndmask_b32_e32 v7, v25, v7, vcc_lo
	v_cndmask_b32_e32 v6, v9, v6, vcc_lo
	v_cmp_gt_u32_e32 vcc_lo, 16, v82
	ds_bpermute_b32 v25, v97, v7
	ds_bpermute_b32 v9, v97, v6
	v_cndmask_b32_e64 v27, 0, 1, vcc_lo
	s_delay_alu instid0(VALU_DEP_1) | instskip(NEXT) | instid1(VALU_DEP_1)
	v_lshlrev_b32_e32 v27, 4, v27
	v_add_lshl_u32 v99, v27, v82, 2
	s_waitcnt lgkmcnt(1)
	v_add_nc_u32_e32 v25, v7, v25
	v_add_nc_u32_e32 v98, 8, v82
	s_waitcnt lgkmcnt(0)
	v_add_nc_u32_e32 v9, v6, v9
	s_delay_alu instid0(VALU_DEP_2) | instskip(SKIP_1) | instid1(VALU_DEP_3)
	v_cmp_gt_u32_e32 vcc_lo, v98, v26
	v_cndmask_b32_e32 v7, v25, v7, vcc_lo
	v_cndmask_b32_e32 v6, v9, v6, vcc_lo
	ds_bpermute_b32 v25, v99, v7
	ds_bpermute_b32 v9, v99, v6
	v_add_nc_u32_e32 v100, 16, v82
	s_delay_alu instid0(VALU_DEP_1) | instskip(SKIP_2) | instid1(VALU_DEP_1)
	v_cmp_le_u32_e32 vcc_lo, v100, v26
	s_waitcnt lgkmcnt(0)
	v_cndmask_b32_e32 v9, 0, v9, vcc_lo
	v_dual_cndmask_b32 v25, 0, v25 :: v_dual_add_nc_u32 v6, v9, v6
	s_delay_alu instid0(VALU_DEP_1)
	v_add_nc_u32_e32 v7, v25, v7
	v_mov_b32_e32 v25, 0
	s_branch .LBB1482_110
.LBB1482_109:                           ;   in Loop: Header=BB1482_110 Depth=1
	s_or_b32 exec_lo, exec_lo, s7
	ds_bpermute_b32 v9, v91, v6
	ds_bpermute_b32 v28, v91, v7
	v_subrev_nc_u32_e32 v24, 32, v24
	s_waitcnt lgkmcnt(1)
	v_add_nc_u32_e32 v9, v9, v6
	v_and_b32_e32 v29, 0xff, v8
	s_waitcnt lgkmcnt(0)
	v_add_nc_u32_e32 v28, v28, v7
	s_delay_alu instid0(VALU_DEP_2) | instskip(SKIP_1) | instid1(VALU_DEP_1)
	v_cmp_eq_u16_e32 vcc_lo, 2, v29
	v_and_or_b32 v29, vcc_lo, v92, 0x80000000
	v_ctz_i32_b32_e32 v29, v29
	s_delay_alu instid0(VALU_DEP_1)
	v_cmp_lt_u32_e32 vcc_lo, v82, v29
	v_cndmask_b32_e32 v6, v6, v9, vcc_lo
	ds_bpermute_b32 v9, v93, v6
	s_waitcnt lgkmcnt(0)
	v_add_nc_u32_e32 v9, v6, v9
	v_cndmask_b32_e32 v7, v7, v28, vcc_lo
	v_cmp_gt_u32_e32 vcc_lo, v94, v29
	s_delay_alu instid0(VALU_DEP_3)
	v_cndmask_b32_e32 v6, v9, v6, vcc_lo
	ds_bpermute_b32 v28, v93, v7
	ds_bpermute_b32 v9, v95, v6
	s_waitcnt lgkmcnt(1)
	v_add_nc_u32_e32 v28, v7, v28
	s_waitcnt lgkmcnt(0)
	v_add_nc_u32_e32 v9, v6, v9
	s_delay_alu instid0(VALU_DEP_2) | instskip(SKIP_1) | instid1(VALU_DEP_3)
	v_cndmask_b32_e32 v7, v28, v7, vcc_lo
	v_cmp_gt_u32_e32 vcc_lo, v96, v29
	v_cndmask_b32_e32 v6, v9, v6, vcc_lo
	ds_bpermute_b32 v28, v95, v7
	ds_bpermute_b32 v9, v97, v6
	s_waitcnt lgkmcnt(1)
	v_add_nc_u32_e32 v28, v7, v28
	s_waitcnt lgkmcnt(0)
	v_add_nc_u32_e32 v9, v6, v9
	s_delay_alu instid0(VALU_DEP_2) | instskip(SKIP_1) | instid1(VALU_DEP_3)
	v_cndmask_b32_e32 v7, v28, v7, vcc_lo
	v_cmp_gt_u32_e32 vcc_lo, v98, v29
	v_cndmask_b32_e32 v6, v9, v6, vcc_lo
	ds_bpermute_b32 v28, v97, v7
	ds_bpermute_b32 v9, v99, v6
	s_waitcnt lgkmcnt(1)
	v_add_nc_u32_e32 v28, v7, v28
	s_delay_alu instid0(VALU_DEP_1) | instskip(SKIP_4) | instid1(VALU_DEP_1)
	v_cndmask_b32_e32 v7, v28, v7, vcc_lo
	v_cmp_le_u32_e32 vcc_lo, v100, v29
	ds_bpermute_b32 v28, v99, v7
	s_waitcnt lgkmcnt(1)
	v_cndmask_b32_e32 v9, 0, v9, vcc_lo
	v_add3_u32 v6, v6, v26, v9
	s_waitcnt lgkmcnt(0)
	v_cndmask_b32_e32 v28, 0, v28, vcc_lo
	s_delay_alu instid0(VALU_DEP_1)
	v_add3_u32 v7, v7, v27, v28
.LBB1482_110:                           ; =>This Loop Header: Depth=1
                                        ;     Child Loop BB1482_113 Depth 2
                                        ;       Child Loop BB1482_114 Depth 3
	s_delay_alu instid0(VALU_DEP_1) | instskip(SKIP_1) | instid1(VALU_DEP_2)
	v_dual_mov_b32 v27, v7 :: v_dual_and_b32 v8, 0xff, v8
	v_mov_b32_e32 v26, v6
	v_cmp_ne_u16_e32 vcc_lo, 2, v8
	v_cndmask_b32_e64 v8, 0, 1, vcc_lo
	;;#ASMSTART
	;;#ASMEND
	s_delay_alu instid0(VALU_DEP_1)
	v_cmp_ne_u32_e32 vcc_lo, 0, v8
	s_cmp_lg_u32 vcc_lo, exec_lo
	s_cbranch_scc1 .LBB1482_117
; %bb.111:                              ;   in Loop: Header=BB1482_110 Depth=1
	v_lshlrev_b64 v[6:7], 4, v[24:25]
	s_mov_b32 s7, exec_lo
	s_delay_alu instid0(VALU_DEP_1) | instskip(NEXT) | instid1(VALU_DEP_2)
	v_add_co_u32 v28, vcc_lo, s36, v6
	v_add_co_ci_u32_e32 v29, vcc_lo, s37, v7, vcc_lo
	;;#ASMSTART
	global_load_dwordx4 v[6:9], v[28:29] off glc	
s_waitcnt vmcnt(0)
	;;#ASMEND
	v_and_b32_e32 v9, 0xff, v7
	v_and_b32_e32 v101, 0xff00, v7
	v_or3_b32 v6, v6, 0, 0
	v_and_b32_e32 v102, 0xff000000, v7
	v_and_b32_e32 v7, 0xff0000, v7
	s_delay_alu instid0(VALU_DEP_4) | instskip(SKIP_2) | instid1(VALU_DEP_3)
	v_or3_b32 v9, 0, v9, v101
	v_and_b32_e32 v101, 0xff, v8
	v_or3_b32 v6, v6, 0, 0
	v_or3_b32 v7, v9, v7, v102
	s_delay_alu instid0(VALU_DEP_3)
	v_cmpx_eq_u16_e32 0, v101
	s_cbranch_execz .LBB1482_109
; %bb.112:                              ;   in Loop: Header=BB1482_110 Depth=1
	s_mov_b32 s9, 1
	s_mov_b32 s8, 0
	.p2align	6
.LBB1482_113:                           ;   Parent Loop BB1482_110 Depth=1
                                        ; =>  This Loop Header: Depth=2
                                        ;       Child Loop BB1482_114 Depth 3
	s_max_u32 s10, s9, 1
.LBB1482_114:                           ;   Parent Loop BB1482_110 Depth=1
                                        ;     Parent Loop BB1482_113 Depth=2
                                        ; =>    This Inner Loop Header: Depth=3
	s_delay_alu instid0(SALU_CYCLE_1)
	s_add_i32 s10, s10, -1
	s_sleep 1
	s_cmp_eq_u32 s10, 0
	s_cbranch_scc0 .LBB1482_114
; %bb.115:                              ;   in Loop: Header=BB1482_113 Depth=2
	;;#ASMSTART
	global_load_dwordx4 v[6:9], v[28:29] off glc	
s_waitcnt vmcnt(0)
	;;#ASMEND
	v_and_b32_e32 v9, 0xff, v8
	s_cmp_lt_u32 s9, 32
	s_cselect_b32 s10, -1, 0
	s_delay_alu instid0(SALU_CYCLE_1) | instskip(NEXT) | instid1(VALU_DEP_1)
	s_cmp_lg_u32 s10, 0
	v_cmp_ne_u16_e32 vcc_lo, 0, v9
	s_addc_u32 s9, s9, 0
	s_or_b32 s8, vcc_lo, s8
	s_delay_alu instid0(SALU_CYCLE_1)
	s_and_not1_b32 exec_lo, exec_lo, s8
	s_cbranch_execnz .LBB1482_113
; %bb.116:                              ;   in Loop: Header=BB1482_110 Depth=1
	s_or_b32 exec_lo, exec_lo, s8
	s_branch .LBB1482_109
.LBB1482_117:                           ;   in Loop: Header=BB1482_110 Depth=1
                                        ; implicit-def: $vgpr8
                                        ; implicit-def: $vgpr6_vgpr7
	s_cbranch_execz .LBB1482_110
; %bb.118:
	s_and_saveexec_b32 s7, s3
	s_cbranch_execnz .LBB1482_361
; %bb.119:
	s_or_b32 exec_lo, exec_lo, s7
	s_and_saveexec_b32 s7, s3
	s_cbranch_execnz .LBB1482_362
.LBB1482_120:
	s_or_b32 exec_lo, exec_lo, s7
	s_delay_alu instid0(SALU_CYCLE_1)
	s_and_b32 exec_lo, exec_lo, s2
	s_cbranch_execz .LBB1482_122
.LBB1482_121:
	v_mov_b32_e32 v5, 0
	ds_store_b64 v5, v[26:27] offset:56
.LBB1482_122:
	s_or_b32 exec_lo, exec_lo, s5
	s_waitcnt lgkmcnt(1)
	v_cndmask_b32_e64 v22, v89, v22, s3
	v_mov_b32_e32 v5, 0
	s_waitcnt lgkmcnt(0)
	s_barrier
	buffer_gl0_inv
	v_add_nc_u32_e64 v7, 0x3400, 0
	ds_load_b64 v[24:25], v5 offset:56
	s_waitcnt lgkmcnt(0)
	s_barrier
	buffer_gl0_inv
	ds_load_2addr_b32 v[5:6], v7 offset1:2
	ds_load_2addr_b32 v[7:8], v7 offset0:4 offset1:6
	v_cndmask_b32_e64 v9, v90, v23, s3
	v_add_nc_u32_e32 v22, v24, v22
	s_delay_alu instid0(VALU_DEP_2) | instskip(NEXT) | instid1(VALU_DEP_2)
	v_add_nc_u32_e32 v9, v25, v9
	v_cndmask_b32_e64 v22, v22, v24, s2
	s_delay_alu instid0(VALU_DEP_2)
	v_cndmask_b32_e64 v9, v9, v25, s2
	s_branch .LBB1482_133
.LBB1482_123:
                                        ; implicit-def: $vgpr9
                                        ; implicit-def: $vgpr7
                                        ; implicit-def: $vgpr5
                                        ; implicit-def: $vgpr22_vgpr23
	s_and_b32 vcc_lo, exec_lo, s5
	s_cbranch_vccz .LBB1482_133
; %bb.124:
	s_waitcnt lgkmcnt(1)
	v_mov_b32_dpp v6, v88 row_shr:1 row_mask:0xf bank_mask:0xf
	v_cmp_lt_u32_e32 vcc_lo, 3, v86
	v_mov_b32_dpp v5, v87 row_shr:1 row_mask:0xf bank_mask:0xf
	s_delay_alu instid0(VALU_DEP_3) | instskip(NEXT) | instid1(VALU_DEP_1)
	v_add_nc_u32_e32 v6, v6, v88
	v_cndmask_b32_e64 v6, v6, v88, s1
	s_waitcnt lgkmcnt(0)
	s_delay_alu instid0(VALU_DEP_1) | instskip(NEXT) | instid1(VALU_DEP_1)
	v_mov_b32_dpp v8, v6 row_shr:2 row_mask:0xf bank_mask:0xf
	v_add_nc_u32_e32 v8, v6, v8
	s_delay_alu instid0(VALU_DEP_1) | instskip(NEXT) | instid1(VALU_DEP_1)
	v_cndmask_b32_e64 v6, v6, v8, s0
	v_mov_b32_dpp v8, v6 row_shr:4 row_mask:0xf bank_mask:0xf
	s_delay_alu instid0(VALU_DEP_1) | instskip(NEXT) | instid1(VALU_DEP_1)
	v_add_nc_u32_e32 v8, v6, v8
	v_dual_cndmask_b32 v6, v6, v8 :: v_dual_add_nc_u32 v5, v5, v87
	s_delay_alu instid0(VALU_DEP_1) | instskip(NEXT) | instid1(VALU_DEP_2)
	v_cndmask_b32_e64 v5, v5, v87, s1
	v_mov_b32_dpp v8, v6 row_shr:8 row_mask:0xf bank_mask:0xf
	s_delay_alu instid0(VALU_DEP_2) | instskip(NEXT) | instid1(VALU_DEP_2)
	v_mov_b32_dpp v7, v5 row_shr:2 row_mask:0xf bank_mask:0xf
	v_add_nc_u32_e32 v8, v6, v8
	s_delay_alu instid0(VALU_DEP_2) | instskip(NEXT) | instid1(VALU_DEP_1)
	v_add_nc_u32_e32 v7, v5, v7
	v_cndmask_b32_e64 v5, v5, v7, s0
	s_mov_b32 s0, exec_lo
	s_delay_alu instid0(VALU_DEP_1) | instskip(NEXT) | instid1(VALU_DEP_1)
	v_mov_b32_dpp v7, v5 row_shr:4 row_mask:0xf bank_mask:0xf
	v_add_nc_u32_e32 v7, v5, v7
	s_delay_alu instid0(VALU_DEP_1) | instskip(SKIP_1) | instid1(VALU_DEP_2)
	v_cndmask_b32_e32 v5, v5, v7, vcc_lo
	v_cmp_lt_u32_e32 vcc_lo, 7, v86
	v_mov_b32_dpp v7, v5 row_shr:8 row_mask:0xf bank_mask:0xf
	s_delay_alu instid0(VALU_DEP_1) | instskip(NEXT) | instid1(VALU_DEP_1)
	v_dual_cndmask_b32 v6, v6, v8 :: v_dual_add_nc_u32 v7, v5, v7
	v_cndmask_b32_e32 v5, v5, v7, vcc_lo
	ds_swizzle_b32 v7, v6 offset:swizzle(BROADCAST,32,15)
	v_cmp_eq_u32_e32 vcc_lo, 0, v85
	ds_swizzle_b32 v8, v5 offset:swizzle(BROADCAST,32,15)
	s_waitcnt lgkmcnt(1)
	v_add_nc_u32_e32 v7, v6, v7
	s_waitcnt lgkmcnt(0)
	v_add_nc_u32_e32 v8, v5, v8
	s_delay_alu instid0(VALU_DEP_1)
	v_dual_cndmask_b32 v6, v7, v6 :: v_dual_cndmask_b32 v5, v8, v5
	v_cmpx_eq_u32_e64 v84, v0
	s_cbranch_execz .LBB1482_126
; %bb.125:
	v_lshlrev_b32_e32 v7, 3, v83
	ds_store_b64 v7, v[5:6]
.LBB1482_126:
	s_or_b32 exec_lo, exec_lo, s0
	s_delay_alu instid0(SALU_CYCLE_1)
	s_mov_b32 s0, exec_lo
	s_waitcnt lgkmcnt(0)
	s_barrier
	buffer_gl0_inv
	v_cmpx_gt_u32_e32 8, v0
	s_cbranch_execz .LBB1482_128
; %bb.127:
	v_lshlrev_b32_e32 v9, 3, v0
	ds_load_b64 v[7:8], v9
	s_waitcnt lgkmcnt(0)
	v_mov_b32_dpp v22, v7 row_shr:1 row_mask:0xf bank_mask:0xf
	v_mov_b32_dpp v23, v8 row_shr:1 row_mask:0xf bank_mask:0xf
	s_delay_alu instid0(VALU_DEP_2) | instskip(SKIP_1) | instid1(VALU_DEP_3)
	v_add_nc_u32_e32 v22, v22, v7
	v_and_b32_e32 v24, 7, v82
	v_add_nc_u32_e32 v23, v23, v8
	s_delay_alu instid0(VALU_DEP_2) | instskip(NEXT) | instid1(VALU_DEP_2)
	v_cmp_eq_u32_e32 vcc_lo, 0, v24
	v_dual_cndmask_b32 v8, v23, v8 :: v_dual_cndmask_b32 v7, v22, v7
	v_cmp_lt_u32_e32 vcc_lo, 1, v24
	s_delay_alu instid0(VALU_DEP_2) | instskip(NEXT) | instid1(VALU_DEP_3)
	v_mov_b32_dpp v23, v8 row_shr:2 row_mask:0xf bank_mask:0xf
	v_mov_b32_dpp v22, v7 row_shr:2 row_mask:0xf bank_mask:0xf
	s_delay_alu instid0(VALU_DEP_2) | instskip(NEXT) | instid1(VALU_DEP_2)
	v_add_nc_u32_e32 v23, v8, v23
	v_add_nc_u32_e32 v22, v7, v22
	s_delay_alu instid0(VALU_DEP_1) | instskip(SKIP_1) | instid1(VALU_DEP_2)
	v_dual_cndmask_b32 v8, v8, v23 :: v_dual_cndmask_b32 v7, v7, v22
	v_cmp_lt_u32_e32 vcc_lo, 3, v24
	v_mov_b32_dpp v23, v8 row_shr:4 row_mask:0xf bank_mask:0xf
	s_delay_alu instid0(VALU_DEP_3) | instskip(NEXT) | instid1(VALU_DEP_1)
	v_mov_b32_dpp v22, v7 row_shr:4 row_mask:0xf bank_mask:0xf
	v_dual_cndmask_b32 v23, 0, v23 :: v_dual_cndmask_b32 v22, 0, v22
	s_delay_alu instid0(VALU_DEP_1) | instskip(NEXT) | instid1(VALU_DEP_2)
	v_add_nc_u32_e32 v8, v23, v8
	v_add_nc_u32_e32 v7, v22, v7
	ds_store_b64 v9, v[7:8]
.LBB1482_128:
	s_or_b32 exec_lo, exec_lo, s0
	v_dual_mov_b32 v7, 0 :: v_dual_mov_b32 v22, 0
	v_mov_b32_e32 v23, 0
	s_mov_b32 s0, exec_lo
	s_waitcnt lgkmcnt(0)
	s_barrier
	buffer_gl0_inv
	v_cmpx_lt_u32_e32 31, v0
	s_cbranch_execz .LBB1482_130
; %bb.129:
	v_lshl_add_u32 v8, v83, 3, -8
	ds_load_b64 v[22:23], v8
.LBB1482_130:
	s_or_b32 exec_lo, exec_lo, s0
	v_add_nc_u32_e32 v8, -1, v82
	s_waitcnt lgkmcnt(0)
	v_add_nc_u32_e32 v24, v23, v6
	v_add_nc_u32_e32 v9, v22, v5
	ds_load_b64 v[5:6], v7 offset:56
	v_cmp_gt_i32_e32 vcc_lo, 0, v8
	v_cndmask_b32_e32 v8, v8, v82, vcc_lo
	s_delay_alu instid0(VALU_DEP_1)
	v_lshlrev_b32_e32 v8, 2, v8
	ds_bpermute_b32 v9, v8, v9
	ds_bpermute_b32 v24, v8, v24
	s_waitcnt lgkmcnt(2)
	v_readfirstlane_b32 s0, v6
	s_and_saveexec_b32 s1, s2
	s_cbranch_execz .LBB1482_132
; %bb.131:
	s_mov_b32 s8, 0
	s_add_u32 s6, s36, 0x200
	s_addc_u32 s7, s37, 0
	s_and_b32 s9, s0, 0xff000000
	s_and_b32 s11, s0, 0xff0000
	s_mov_b32 s10, s8
	v_mov_b32_e32 v26, s7
	s_or_b64 s[10:11], s[10:11], s[8:9]
	s_and_b32 s9, s0, 0xff00
	v_dual_mov_b32 v8, 0 :: v_dual_mov_b32 v25, s6
	s_or_b64 s[10:11], s[10:11], s[8:9]
	s_and_b32 s9, s0, 0xff
	v_mov_b32_e32 v7, 2
	s_or_b64 s[8:9], s[10:11], s[8:9]
	s_delay_alu instid0(SALU_CYCLE_1)
	v_mov_b32_e32 v6, s9
	;;#ASMSTART
	global_store_dwordx4 v[25:26], v[5:8] off	
s_waitcnt vmcnt(0)
	;;#ASMEND
.LBB1482_132:
	s_or_b32 exec_lo, exec_lo, s1
	v_cmp_eq_u32_e32 vcc_lo, 0, v82
	v_dual_mov_b32 v7, 0 :: v_dual_mov_b32 v6, s0
	s_waitcnt lgkmcnt(0)
	s_barrier
	v_dual_cndmask_b32 v8, v9, v22 :: v_dual_cndmask_b32 v9, v24, v23
	buffer_gl0_inv
	v_cndmask_b32_e64 v22, v8, 0, s2
	v_cndmask_b32_e64 v9, v9, 0, s2
	v_mov_b32_e32 v8, 0
.LBB1482_133:
	s_delay_alu instid0(VALU_DEP_1) | instskip(SKIP_1) | instid1(VALU_DEP_2)
	v_add_nc_u32_e32 v24, v9, v81
	s_waitcnt lgkmcnt(0)
	v_sub_nc_u32_e32 v9, v9, v8
	v_add_co_u32 v1, vcc_lo, v1, v7
	v_and_b32_e32 v35, 1, v35
	v_add_nc_u32_e32 v26, v24, v77
	v_sub_nc_u32_e32 v24, v24, v8
	v_lshlrev_b32_e32 v77, 1, v5
	v_add_nc_u32_e32 v9, v9, v5
	v_add_co_ci_u32_e32 v2, vcc_lo, 0, v2, vcc_lo
	v_add_nc_u32_e32 v28, v26, v79
	s_delay_alu instid0(VALU_DEP_4)
	v_add3_u32 v33, v77, v6, v33
	v_and_b32_e32 v40, 1, v40
	v_and_b32_e32 v37, 1, v37
	;; [unrolled: 1-line block ×3, first 2 shown]
	v_add_nc_u32_e32 v29, v28, v75
	v_sub_nc_u32_e32 v28, v28, v8
	v_sub_co_u32 v75, vcc_lo, v3, v5
	s_add_u32 s1, s14, -4
	s_delay_alu instid0(VALU_DEP_3) | instskip(SKIP_4) | instid1(VALU_DEP_3)
	v_add_nc_u32_e32 v73, v29, v73
	v_sub_nc_u32_e32 v29, v29, v8
	v_add_nc_u32_e32 v28, v28, v5
	v_add_nc_u32_e32 v24, v24, v5
	s_mov_b32 s3, -1
	v_add_nc_u32_e32 v29, v29, v5
	v_add_nc_u32_e32 v23, v22, v80
	v_sub_nc_u32_e32 v22, v22, v7
	s_delay_alu instid0(VALU_DEP_2) | instskip(SKIP_3) | instid1(VALU_DEP_3)
	v_add_nc_u32_e32 v25, v23, v76
	v_sub_nc_u32_e32 v23, v23, v7
	v_subrev_co_ci_u32_e32 v76, vcc_lo, 0, v4, vcc_lo
	v_cmp_eq_u32_e32 vcc_lo, 1, v35
	v_add_nc_u32_e32 v79, v24, v23
	s_delay_alu instid0(VALU_DEP_1) | instskip(NEXT) | instid1(VALU_DEP_1)
	v_sub_nc_u32_e32 v79, v33, v79
	v_add_nc_u32_e32 v79, 1, v79
	v_add_nc_u32_e32 v27, v25, v78
	;; [unrolled: 1-line block ×3, first 2 shown]
	s_delay_alu instid0(VALU_DEP_1) | instskip(NEXT) | instid1(VALU_DEP_1)
	v_sub_nc_u32_e32 v78, v33, v78
	v_dual_cndmask_b32 v9, v78, v9 :: v_dual_and_b32 v34, 1, v34
	v_cmp_eq_u32_e32 vcc_lo, 1, v40
	v_cndmask_b32_e32 v24, v79, v24, vcc_lo
	s_delay_alu instid0(VALU_DEP_3) | instskip(NEXT) | instid1(VALU_DEP_4)
	v_cmp_eq_u32_e32 vcc_lo, 1, v34
	v_cndmask_b32_e32 v9, v9, v22, vcc_lo
	v_sub_nc_u32_e32 v26, v26, v8
	v_cmp_eq_u32_e32 vcc_lo, 1, v37
	v_and_b32_e32 v37, 1, v38
	s_delay_alu instid0(VALU_DEP_4) | instskip(NEXT) | instid1(VALU_DEP_4)
	v_lshlrev_b32_e32 v9, 2, v9
	v_add_nc_u32_e32 v26, v26, v5
	v_cndmask_b32_e32 v24, v24, v23, vcc_lo
	v_sub_nc_u32_e32 v25, v25, v7
	v_add_co_u32 v22, vcc_lo, v75, v8
	v_add_co_ci_u32_e32 v23, vcc_lo, 0, v76, vcc_lo
	s_delay_alu instid0(VALU_DEP_3)
	v_add_nc_u32_e32 v34, v26, v25
	v_cmp_eq_u32_e32 vcc_lo, 1, v37
	v_lshlrev_b32_e32 v24, 2, v24
	ds_store_b32 v9, v20
	v_sub_nc_u32_e32 v34, v33, v34
	ds_store_b32 v24, v21
	v_and_b32_e32 v24, 1, v39
	v_add_nc_u32_e32 v34, 2, v34
	s_delay_alu instid0(VALU_DEP_1) | instskip(SKIP_3) | instid1(VALU_DEP_4)
	v_cndmask_b32_e32 v26, v34, v26, vcc_lo
	v_cmp_eq_u32_e32 vcc_lo, 1, v36
	v_add_nc_u32_e32 v74, v27, v74
	v_sub_nc_u32_e32 v27, v27, v7
	v_cndmask_b32_e32 v25, v26, v25, vcc_lo
	s_delay_alu instid0(VALU_DEP_3) | instskip(NEXT) | instid1(VALU_DEP_3)
	v_sub_nc_u32_e32 v37, v74, v7
	v_add_nc_u32_e32 v34, v27, v28
	v_cmp_eq_u32_e32 vcc_lo, 1, v24
	v_sub_nc_u32_e32 v26, v73, v8
	v_lshlrev_b32_e32 v21, 2, v25
	v_and_b32_e32 v25, 1, v41
	v_sub_nc_u32_e32 v9, v33, v34
	v_add_nc_u32_e32 v20, v37, v29
	v_and_b32_e32 v24, 1, v42
	v_add_nc_u32_e32 v26, v26, v5
	ds_store_b32 v21, v18
	v_add_nc_u32_e32 v9, 3, v9
	v_sub_nc_u32_e32 v20, v33, v20
	s_delay_alu instid0(VALU_DEP_2) | instskip(SKIP_2) | instid1(VALU_DEP_4)
	v_cndmask_b32_e32 v9, v9, v28, vcc_lo
	v_cmp_eq_u32_e32 vcc_lo, 1, v25
	v_add_nc_u32_e32 v72, v74, v72
	v_add_nc_u32_e32 v20, 4, v20
	v_and_b32_e32 v25, 1, v43
	v_cndmask_b32_e32 v9, v9, v27, vcc_lo
	s_delay_alu instid0(VALU_DEP_4)
	v_sub_nc_u32_e32 v28, v72, v7
	v_cmp_eq_u32_e32 vcc_lo, 1, v24
	v_and_b32_e32 v24, 1, v44
	v_add_nc_u32_e32 v70, v72, v70
	v_lshlrev_b32_e32 v9, 2, v9
	v_add_nc_u32_e32 v27, v28, v26
	v_cndmask_b32_e32 v20, v20, v29, vcc_lo
	v_cmp_eq_u32_e32 vcc_lo, 1, v25
	v_and_b32_e32 v25, 1, v45
	v_add_nc_u32_e32 v64, v70, v64
	v_sub_nc_u32_e32 v18, v33, v27
	v_sub_nc_u32_e32 v27, v70, v7
	v_cndmask_b32_e32 v20, v20, v37, vcc_lo
	v_cmp_eq_u32_e32 vcc_lo, 1, v24
	ds_store_b32 v9, v19
	v_add_nc_u32_e32 v18, 5, v18
	v_and_b32_e32 v19, 1, v46
	v_lshlrev_b32_e32 v20, 2, v20
	v_add_nc_u32_e32 v68, v64, v68
	s_delay_alu instid0(VALU_DEP_4)
	v_cndmask_b32_e32 v18, v18, v26, vcc_lo
	v_cmp_eq_u32_e32 vcc_lo, 1, v25
	v_sub_nc_u32_e32 v25, v64, v7
	ds_store_b32 v20, v16
	v_and_b32_e32 v20, 1, v49
	v_add_nc_u32_e32 v66, v68, v66
	v_dual_cndmask_b32 v18, v18, v28 :: v_dual_add_nc_u32 v71, v73, v71
	v_cmp_eq_u32_e32 vcc_lo, 1, v19
	v_and_b32_e32 v19, 1, v48
	s_delay_alu instid0(VALU_DEP_4) | instskip(NEXT) | instid1(VALU_DEP_4)
	v_add_nc_u32_e32 v61, v66, v61
	v_lshlrev_b32_e32 v18, 2, v18
	v_add_nc_u32_e32 v65, v71, v65
	v_sub_nc_u32_e32 v21, v71, v8
	s_delay_alu instid0(VALU_DEP_4)
	v_add_nc_u32_e32 v60, v61, v60
	ds_store_b32 v18, v17
	v_sub_nc_u32_e32 v24, v65, v8
	v_add_nc_u32_e32 v21, v21, v5
	v_add_nc_u32_e32 v69, v65, v69
	v_and_b32_e32 v17, 1, v47
	s_delay_alu instid0(VALU_DEP_4) | instskip(NEXT) | instid1(VALU_DEP_4)
	v_add_nc_u32_e32 v24, v24, v5
	v_add_nc_u32_e32 v26, v27, v21
	s_delay_alu instid0(VALU_DEP_4) | instskip(NEXT) | instid1(VALU_DEP_3)
	v_sub_nc_u32_e32 v18, v69, v8
	v_add_nc_u32_e32 v16, v25, v24
	s_delay_alu instid0(VALU_DEP_3) | instskip(NEXT) | instid1(VALU_DEP_3)
	v_sub_nc_u32_e32 v9, v33, v26
	v_add_nc_u32_e32 v18, v18, v5
	v_sub_nc_u32_e32 v26, v60, v7
	s_delay_alu instid0(VALU_DEP_4) | instskip(NEXT) | instid1(VALU_DEP_4)
	v_sub_nc_u32_e32 v16, v33, v16
	v_add_nc_u32_e32 v9, 6, v9
	s_delay_alu instid0(VALU_DEP_1) | instskip(SKIP_2) | instid1(VALU_DEP_3)
	v_dual_cndmask_b32 v9, v9, v21 :: v_dual_add_nc_u32 v16, 7, v16
	v_cmp_eq_u32_e32 vcc_lo, 1, v19
	v_sub_nc_u32_e32 v21, v68, v7
	v_cndmask_b32_e32 v16, v16, v24, vcc_lo
	v_cmp_eq_u32_e32 vcc_lo, 1, v17
	s_delay_alu instid0(VALU_DEP_3) | instskip(SKIP_3) | instid1(VALU_DEP_4)
	v_add_nc_u32_e32 v17, v21, v18
	v_cndmask_b32_e32 v9, v9, v27, vcc_lo
	v_cmp_eq_u32_e32 vcc_lo, 1, v20
	v_add_nc_u32_e32 v67, v69, v67
	v_sub_nc_u32_e32 v17, v33, v17
	v_sub_nc_u32_e32 v20, v66, v7
	v_lshlrev_b32_e32 v9, 2, v9
	v_cndmask_b32_e32 v16, v16, v25, vcc_lo
	v_sub_nc_u32_e32 v19, v67, v8
	v_add_nc_u32_e32 v62, v67, v62
	v_sub_nc_u32_e32 v25, v61, v7
	ds_store_b32 v9, v14
	v_and_b32_e32 v9, 1, v50
	v_add_nc_u32_e32 v19, v19, v5
	v_add_nc_u32_e32 v14, 8, v17
	v_lshlrev_b32_e32 v16, 2, v16
	v_add_nc_u32_e32 v63, v62, v63
	v_cmp_eq_u32_e32 vcc_lo, 1, v9
	v_add_nc_u32_e32 v17, v20, v19
	ds_store_b32 v16, v15
	v_and_b32_e32 v15, 1, v51
	v_cndmask_b32_e32 v9, v14, v18, vcc_lo
	v_sub_nc_u32_e32 v14, v33, v17
	v_and_b32_e32 v18, 1, v52
	v_sub_nc_u32_e32 v17, v62, v8
	v_and_b32_e32 v16, 1, v54
	v_sub_nc_u32_e32 v24, v63, v8
	v_add_nc_u32_e32 v14, 9, v14
	v_cmp_eq_u32_e32 vcc_lo, 1, v18
	v_add_nc_u32_e32 v17, v17, v5
	v_add_nc_u32_e32 v35, v63, v59
	;; [unrolled: 1-line block ×3, first 2 shown]
	v_cndmask_b32_e32 v14, v14, v19, vcc_lo
	v_cmp_eq_u32_e32 vcc_lo, 1, v15
	v_add_nc_u32_e32 v15, v25, v17
	s_delay_alu instid0(VALU_DEP_4)
	v_add_nc_u32_e32 v18, v26, v24
	v_and_b32_e32 v19, 1, v55
	v_cndmask_b32_e32 v9, v9, v21, vcc_lo
	v_cmp_eq_u32_e32 vcc_lo, 1, v16
	v_sub_nc_u32_e32 v15, v33, v15
	v_sub_nc_u32_e32 v18, v33, v18
	v_and_b32_e32 v21, 1, v57
	v_sub_nc_u32_e32 v16, v35, v8
	v_cndmask_b32_e32 v14, v14, v20, vcc_lo
	v_and_b32_e32 v20, 1, v53
	v_add_nc_u32_e32 v15, 10, v15
	v_add_nc_u32_e32 v18, 11, v18
	;; [unrolled: 1-line block ×3, first 2 shown]
	v_lshlrev_b32_e32 v9, 2, v9
	v_cmp_eq_u32_e32 vcc_lo, 1, v20
	v_dual_cndmask_b32 v15, v15, v17 :: v_dual_lshlrev_b32 v14, 2, v14
	v_cmp_eq_u32_e32 vcc_lo, 1, v21
	v_and_b32_e32 v17, 1, v56
	v_cndmask_b32_e32 v18, v18, v24, vcc_lo
	v_cmp_eq_u32_e32 vcc_lo, 1, v19
	v_cndmask_b32_e32 v15, v15, v25, vcc_lo
	s_delay_alu instid0(VALU_DEP_4) | instskip(NEXT) | instid1(VALU_DEP_2)
	v_cmp_eq_u32_e32 vcc_lo, 1, v17
	v_lshlrev_b32_e32 v15, 2, v15
	v_cndmask_b32_e32 v17, v18, v26, vcc_lo
	v_add_nc_u32_e32 v40, v60, v58
	s_delay_alu instid0(VALU_DEP_2) | instskip(NEXT) | instid1(VALU_DEP_2)
	v_lshlrev_b32_e32 v17, 2, v17
	v_sub_nc_u32_e32 v7, v40, v7
	ds_store_b32 v9, v12
	ds_store_b32 v14, v13
	;; [unrolled: 1-line block ×4, first 2 shown]
	v_add_co_u32 v9, s0, v6, v77
	s_delay_alu instid0(VALU_DEP_1) | instskip(SKIP_1) | instid1(VALU_DEP_3)
	v_add_co_ci_u32_e64 v10, null, 0, 0, s0
	v_add_nc_u32_e32 v27, v7, v16
	v_add_co_u32 v9, vcc_lo, v9, v22
	s_delay_alu instid0(VALU_DEP_3) | instskip(NEXT) | instid1(VALU_DEP_3)
	v_add_co_ci_u32_e32 v10, vcc_lo, v10, v23, vcc_lo
	v_sub_nc_u32_e32 v20, v33, v27
	v_add_co_u32 v11, s0, s34, v30
	s_delay_alu instid0(VALU_DEP_4) | instskip(NEXT) | instid1(VALU_DEP_3)
	v_add_co_u32 v9, vcc_lo, v9, v1
	v_add_nc_u32_e32 v18, 12, v20
	v_add_co_ci_u32_e64 v12, null, s35, 0, s0
	v_add_co_ci_u32_e32 v10, vcc_lo, v10, v2, vcc_lo
	s_delay_alu instid0(VALU_DEP_3) | instskip(SKIP_1) | instid1(VALU_DEP_2)
	v_cndmask_b32_e64 v16, v18, v16, s33
	v_add_nc_u32_e32 v14, v5, v6
	v_cndmask_b32_e64 v7, v16, v7, s27
	s_delay_alu instid0(VALU_DEP_1)
	v_lshlrev_b32_e32 v7, 2, v7
	ds_store_b32 v7, v32
	v_sub_co_u32 v7, vcc_lo, v11, v9
	v_sub_co_ci_u32_e32 v13, vcc_lo, v12, v10, vcc_lo
	v_lshlrev_b64 v[9:10], 2, v[22:23]
	v_lshlrev_b64 v[11:12], 2, v[1:2]
	s_waitcnt lgkmcnt(0)
	s_barrier
	buffer_gl0_inv
	v_add_co_u32 v9, vcc_lo, s30, v9
	v_add_co_ci_u32_e32 v10, vcc_lo, s31, v10, vcc_lo
	v_cmp_ne_u32_e32 vcc_lo, 1, v31
	v_add_co_u32 v11, s0, s28, v11
	s_delay_alu instid0(VALU_DEP_1)
	v_add_co_ci_u32_e64 v12, s0, s29, v12, s0
	s_addc_u32 s0, s15, -1
	s_cbranch_vccz .LBB1482_137
; %bb.134:
	s_and_b32 vcc_lo, exec_lo, s3
	s_cbranch_vccnz .LBB1482_242
.LBB1482_135:
	s_and_b32 s0, s2, s13
	s_delay_alu instid0(SALU_CYCLE_1)
	s_and_saveexec_b32 s1, s0
	s_cbranch_execnz .LBB1482_360
.LBB1482_136:
	s_nop 0
	s_sendmsg sendmsg(MSG_DEALLOC_VGPRS)
	s_endpgm
.LBB1482_137:
	s_mov_b32 s3, exec_lo
	v_cmpx_le_u32_e64 v5, v0
	s_xor_b32 s3, exec_lo, s3
	s_cbranch_execz .LBB1482_143
; %bb.138:
	s_mov_b32 s5, exec_lo
	v_cmpx_le_u32_e64 v14, v0
	s_xor_b32 s5, exec_lo, s5
	s_cbranch_execz .LBB1482_140
; %bb.139:
	v_lshlrev_b32_e32 v15, 2, v0
	ds_load_b32 v17, v15
	v_add_co_u32 v15, vcc_lo, v7, v0
	v_add_co_ci_u32_e32 v16, vcc_lo, 0, v13, vcc_lo
	s_delay_alu instid0(VALU_DEP_1) | instskip(NEXT) | instid1(VALU_DEP_1)
	v_lshlrev_b64 v[15:16], 2, v[15:16]
	v_sub_co_u32 v15, vcc_lo, s14, v15
	s_delay_alu instid0(VALU_DEP_2)
	v_sub_co_ci_u32_e32 v16, vcc_lo, s15, v16, vcc_lo
	s_waitcnt lgkmcnt(0)
	global_store_b32 v[15:16], v17, off offset:-4
.LBB1482_140:
	s_and_not1_saveexec_b32 s5, s5
	s_cbranch_execz .LBB1482_142
; %bb.141:
	v_lshlrev_b32_e32 v15, 2, v0
	v_readfirstlane_b32 s6, v9
	v_readfirstlane_b32 s7, v10
	ds_load_b32 v16, v15
	s_waitcnt lgkmcnt(0)
	global_store_b32 v15, v16, s[6:7]
.LBB1482_142:
	s_or_b32 exec_lo, exec_lo, s5
.LBB1482_143:
	s_and_not1_saveexec_b32 s3, s3
	s_cbranch_execz .LBB1482_145
; %bb.144:
	v_lshlrev_b32_e32 v15, 2, v0
	v_readfirstlane_b32 s6, v11
	v_readfirstlane_b32 s7, v12
	ds_load_b32 v16, v15
	s_waitcnt lgkmcnt(0)
	global_store_b32 v15, v16, s[6:7]
.LBB1482_145:
	s_or_b32 exec_lo, exec_lo, s3
	v_or_b32_e32 v15, 0x100, v0
	s_mov_b32 s3, exec_lo
	s_delay_alu instid0(VALU_DEP_1)
	v_cmpx_le_u32_e64 v5, v15
	s_xor_b32 s3, exec_lo, s3
	s_cbranch_execz .LBB1482_151
; %bb.146:
	s_mov_b32 s5, exec_lo
	v_cmpx_le_u32_e64 v14, v15
	s_xor_b32 s5, exec_lo, s5
	s_cbranch_execz .LBB1482_148
; %bb.147:
	v_lshlrev_b32_e32 v15, 2, v0
	ds_load_b32 v17, v15 offset:1024
	v_add_co_u32 v15, vcc_lo, v7, v0
	v_add_co_ci_u32_e32 v16, vcc_lo, 0, v13, vcc_lo
	s_delay_alu instid0(VALU_DEP_1) | instskip(NEXT) | instid1(VALU_DEP_1)
	v_lshlrev_b64 v[15:16], 2, v[15:16]
	v_sub_co_u32 v15, vcc_lo, s1, v15
	s_delay_alu instid0(VALU_DEP_2)
	v_sub_co_ci_u32_e32 v16, vcc_lo, s0, v16, vcc_lo
	s_waitcnt lgkmcnt(0)
	global_store_b32 v[15:16], v17, off offset:-1024
.LBB1482_148:
	s_and_not1_saveexec_b32 s5, s5
	s_cbranch_execz .LBB1482_150
; %bb.149:
	v_lshlrev_b32_e32 v15, 2, v0
	v_readfirstlane_b32 s6, v9
	v_readfirstlane_b32 s7, v10
	ds_load_b32 v16, v15 offset:1024
	s_waitcnt lgkmcnt(0)
	global_store_b32 v15, v16, s[6:7] offset:1024
.LBB1482_150:
	s_or_b32 exec_lo, exec_lo, s5
.LBB1482_151:
	s_and_not1_saveexec_b32 s3, s3
	s_cbranch_execz .LBB1482_153
; %bb.152:
	v_lshlrev_b32_e32 v15, 2, v0
	v_readfirstlane_b32 s6, v11
	v_readfirstlane_b32 s7, v12
	ds_load_b32 v16, v15 offset:1024
	s_waitcnt lgkmcnt(0)
	global_store_b32 v15, v16, s[6:7] offset:1024
.LBB1482_153:
	s_or_b32 exec_lo, exec_lo, s3
	v_or_b32_e32 v15, 0x200, v0
	s_mov_b32 s3, exec_lo
	s_delay_alu instid0(VALU_DEP_1)
	v_cmpx_le_u32_e64 v5, v15
	s_xor_b32 s3, exec_lo, s3
	s_cbranch_execz .LBB1482_159
; %bb.154:
	s_mov_b32 s5, exec_lo
	v_cmpx_le_u32_e64 v14, v15
	s_xor_b32 s5, exec_lo, s5
	s_cbranch_execz .LBB1482_156
; %bb.155:
	v_lshlrev_b32_e32 v15, 2, v0
	ds_load_b32 v17, v15 offset:2048
	v_add_co_u32 v15, vcc_lo, v7, v0
	v_add_co_ci_u32_e32 v16, vcc_lo, 0, v13, vcc_lo
	s_delay_alu instid0(VALU_DEP_1) | instskip(NEXT) | instid1(VALU_DEP_1)
	v_lshlrev_b64 v[15:16], 2, v[15:16]
	v_sub_co_u32 v15, vcc_lo, s1, v15
	s_delay_alu instid0(VALU_DEP_2)
	v_sub_co_ci_u32_e32 v16, vcc_lo, s0, v16, vcc_lo
	s_waitcnt lgkmcnt(0)
	global_store_b32 v[15:16], v17, off offset:-2048
.LBB1482_156:
	s_and_not1_saveexec_b32 s5, s5
	s_cbranch_execz .LBB1482_158
; %bb.157:
	v_lshlrev_b32_e32 v15, 2, v0
	v_readfirstlane_b32 s6, v9
	v_readfirstlane_b32 s7, v10
	ds_load_b32 v16, v15 offset:2048
	s_waitcnt lgkmcnt(0)
	global_store_b32 v15, v16, s[6:7] offset:2048
.LBB1482_158:
	s_or_b32 exec_lo, exec_lo, s5
.LBB1482_159:
	s_and_not1_saveexec_b32 s3, s3
	s_cbranch_execz .LBB1482_161
; %bb.160:
	v_lshlrev_b32_e32 v15, 2, v0
	v_readfirstlane_b32 s6, v11
	v_readfirstlane_b32 s7, v12
	ds_load_b32 v16, v15 offset:2048
	s_waitcnt lgkmcnt(0)
	global_store_b32 v15, v16, s[6:7] offset:2048
.LBB1482_161:
	;; [unrolled: 47-line block ×3, first 2 shown]
	s_or_b32 exec_lo, exec_lo, s3
	v_or_b32_e32 v15, 0x400, v0
	s_mov_b32 s3, exec_lo
	s_delay_alu instid0(VALU_DEP_1)
	v_cmpx_le_u32_e64 v5, v15
	s_xor_b32 s3, exec_lo, s3
	s_cbranch_execz .LBB1482_175
; %bb.170:
	s_mov_b32 s5, exec_lo
	v_cmpx_le_u32_e64 v14, v15
	s_xor_b32 s5, exec_lo, s5
	s_cbranch_execz .LBB1482_172
; %bb.171:
	v_lshlrev_b32_e32 v15, 2, v0
	ds_load_b32 v17, v15 offset:4096
	v_add_co_u32 v15, vcc_lo, v7, v0
	v_add_co_ci_u32_e32 v16, vcc_lo, 0, v13, vcc_lo
	s_delay_alu instid0(VALU_DEP_1) | instskip(NEXT) | instid1(VALU_DEP_1)
	v_lshlrev_b64 v[15:16], 2, v[15:16]
	v_sub_co_u32 v15, vcc_lo, s1, v15
	s_delay_alu instid0(VALU_DEP_2)
	v_sub_co_ci_u32_e32 v16, vcc_lo, s0, v16, vcc_lo
	s_waitcnt lgkmcnt(0)
	global_store_b32 v[15:16], v17, off offset:-4096
                                        ; implicit-def: $vgpr15
.LBB1482_172:
	s_and_not1_saveexec_b32 s5, s5
	s_cbranch_execz .LBB1482_174
; %bb.173:
	v_lshlrev_b32_e32 v16, 2, v0
	v_lshlrev_b32_e32 v15, 2, v15
	v_readfirstlane_b32 s6, v9
	v_readfirstlane_b32 s7, v10
	ds_load_b32 v16, v16 offset:4096
	s_waitcnt lgkmcnt(0)
	global_store_b32 v15, v16, s[6:7]
.LBB1482_174:
	s_or_b32 exec_lo, exec_lo, s5
                                        ; implicit-def: $vgpr15
.LBB1482_175:
	s_and_not1_saveexec_b32 s3, s3
	s_cbranch_execz .LBB1482_177
; %bb.176:
	v_lshlrev_b32_e32 v16, 2, v0
	v_lshlrev_b32_e32 v15, 2, v15
	v_readfirstlane_b32 s6, v11
	v_readfirstlane_b32 s7, v12
	ds_load_b32 v16, v16 offset:4096
	s_waitcnt lgkmcnt(0)
	global_store_b32 v15, v16, s[6:7]
.LBB1482_177:
	s_or_b32 exec_lo, exec_lo, s3
	v_or_b32_e32 v15, 0x500, v0
	s_mov_b32 s3, exec_lo
	s_delay_alu instid0(VALU_DEP_1)
	v_cmpx_le_u32_e64 v5, v15
	s_xor_b32 s3, exec_lo, s3
	s_cbranch_execz .LBB1482_183
; %bb.178:
	s_mov_b32 s5, exec_lo
	v_cmpx_le_u32_e64 v14, v15
	s_xor_b32 s5, exec_lo, s5
	s_cbranch_execz .LBB1482_180
; %bb.179:
	v_lshlrev_b32_e32 v16, 2, v0
	v_add_co_u32 v15, vcc_lo, v7, v15
	ds_load_b32 v17, v16 offset:5120
	v_add_co_ci_u32_e32 v16, vcc_lo, 0, v13, vcc_lo
	s_delay_alu instid0(VALU_DEP_1) | instskip(NEXT) | instid1(VALU_DEP_1)
	v_lshlrev_b64 v[15:16], 2, v[15:16]
	v_sub_co_u32 v15, vcc_lo, s1, v15
	s_delay_alu instid0(VALU_DEP_2)
	v_sub_co_ci_u32_e32 v16, vcc_lo, s0, v16, vcc_lo
	s_waitcnt lgkmcnt(0)
	global_store_b32 v[15:16], v17, off
                                        ; implicit-def: $vgpr15
.LBB1482_180:
	s_and_not1_saveexec_b32 s5, s5
	s_cbranch_execz .LBB1482_182
; %bb.181:
	v_lshlrev_b32_e32 v16, 2, v0
	v_lshlrev_b32_e32 v15, 2, v15
	v_readfirstlane_b32 s6, v9
	v_readfirstlane_b32 s7, v10
	ds_load_b32 v16, v16 offset:5120
	s_waitcnt lgkmcnt(0)
	global_store_b32 v15, v16, s[6:7]
.LBB1482_182:
	s_or_b32 exec_lo, exec_lo, s5
                                        ; implicit-def: $vgpr15
.LBB1482_183:
	s_and_not1_saveexec_b32 s3, s3
	s_cbranch_execz .LBB1482_185
; %bb.184:
	v_lshlrev_b32_e32 v16, 2, v0
	v_lshlrev_b32_e32 v15, 2, v15
	v_readfirstlane_b32 s6, v11
	v_readfirstlane_b32 s7, v12
	ds_load_b32 v16, v16 offset:5120
	s_waitcnt lgkmcnt(0)
	global_store_b32 v15, v16, s[6:7]
.LBB1482_185:
	s_or_b32 exec_lo, exec_lo, s3
	v_or_b32_e32 v15, 0x600, v0
	s_mov_b32 s3, exec_lo
	s_delay_alu instid0(VALU_DEP_1)
	v_cmpx_le_u32_e64 v5, v15
	s_xor_b32 s3, exec_lo, s3
	s_cbranch_execz .LBB1482_191
; %bb.186:
	s_mov_b32 s5, exec_lo
	v_cmpx_le_u32_e64 v14, v15
	s_xor_b32 s5, exec_lo, s5
	s_cbranch_execz .LBB1482_188
; %bb.187:
	v_lshlrev_b32_e32 v16, 2, v0
	v_add_co_u32 v15, vcc_lo, v7, v15
	ds_load_b32 v17, v16 offset:6144
	v_add_co_ci_u32_e32 v16, vcc_lo, 0, v13, vcc_lo
	s_delay_alu instid0(VALU_DEP_1) | instskip(NEXT) | instid1(VALU_DEP_1)
	v_lshlrev_b64 v[15:16], 2, v[15:16]
	v_sub_co_u32 v15, vcc_lo, s1, v15
	s_delay_alu instid0(VALU_DEP_2)
	v_sub_co_ci_u32_e32 v16, vcc_lo, s0, v16, vcc_lo
	s_waitcnt lgkmcnt(0)
	global_store_b32 v[15:16], v17, off
                                        ; implicit-def: $vgpr15
.LBB1482_188:
	s_and_not1_saveexec_b32 s5, s5
	s_cbranch_execz .LBB1482_190
; %bb.189:
	v_lshlrev_b32_e32 v16, 2, v0
	v_lshlrev_b32_e32 v15, 2, v15
	v_readfirstlane_b32 s6, v9
	v_readfirstlane_b32 s7, v10
	ds_load_b32 v16, v16 offset:6144
	s_waitcnt lgkmcnt(0)
	global_store_b32 v15, v16, s[6:7]
.LBB1482_190:
	s_or_b32 exec_lo, exec_lo, s5
                                        ; implicit-def: $vgpr15
.LBB1482_191:
	;; [unrolled: 51-line block ×8, first 2 shown]
	s_and_not1_saveexec_b32 s3, s3
	s_cbranch_execz .LBB1482_241
; %bb.240:
	v_lshlrev_b32_e32 v16, 2, v0
	v_lshlrev_b32_e32 v15, 2, v15
	v_readfirstlane_b32 s6, v11
	v_readfirstlane_b32 s7, v12
	ds_load_b32 v16, v16 offset:12288
	s_waitcnt lgkmcnt(0)
	global_store_b32 v15, v16, s[6:7]
.LBB1482_241:
	s_or_b32 exec_lo, exec_lo, s3
	s_branch .LBB1482_135
.LBB1482_242:
	s_mov_b32 s3, exec_lo
	v_cmpx_gt_u32_e64 s4, v0
	s_cbranch_execz .LBB1482_251
; %bb.243:
	s_mov_b32 s5, exec_lo
	v_cmpx_le_u32_e64 v5, v0
	s_xor_b32 s5, exec_lo, s5
	s_cbranch_execz .LBB1482_249
; %bb.244:
	s_mov_b32 s6, exec_lo
	v_cmpx_le_u32_e64 v14, v0
	s_xor_b32 s6, exec_lo, s6
	s_cbranch_execz .LBB1482_246
; %bb.245:
	v_lshlrev_b32_e32 v15, 2, v0
	ds_load_b32 v17, v15
	v_add_co_u32 v15, vcc_lo, v7, v0
	v_add_co_ci_u32_e32 v16, vcc_lo, 0, v13, vcc_lo
	s_delay_alu instid0(VALU_DEP_1) | instskip(NEXT) | instid1(VALU_DEP_1)
	v_lshlrev_b64 v[15:16], 2, v[15:16]
	v_sub_co_u32 v15, vcc_lo, s14, v15
	s_delay_alu instid0(VALU_DEP_2)
	v_sub_co_ci_u32_e32 v16, vcc_lo, s15, v16, vcc_lo
	s_waitcnt lgkmcnt(0)
	global_store_b32 v[15:16], v17, off offset:-4
.LBB1482_246:
	s_and_not1_saveexec_b32 s6, s6
	s_cbranch_execz .LBB1482_248
; %bb.247:
	v_lshlrev_b32_e32 v15, 2, v0
	v_readfirstlane_b32 s8, v9
	v_readfirstlane_b32 s9, v10
	ds_load_b32 v16, v15
	s_waitcnt lgkmcnt(0)
	global_store_b32 v15, v16, s[8:9]
.LBB1482_248:
	s_or_b32 exec_lo, exec_lo, s6
.LBB1482_249:
	s_and_not1_saveexec_b32 s5, s5
	s_cbranch_execz .LBB1482_251
; %bb.250:
	v_lshlrev_b32_e32 v15, 2, v0
	v_readfirstlane_b32 s6, v11
	v_readfirstlane_b32 s7, v12
	ds_load_b32 v16, v15
	s_waitcnt lgkmcnt(0)
	global_store_b32 v15, v16, s[6:7]
.LBB1482_251:
	s_or_b32 exec_lo, exec_lo, s3
	v_or_b32_e32 v15, 0x100, v0
	s_mov_b32 s3, exec_lo
	s_delay_alu instid0(VALU_DEP_1)
	v_cmpx_gt_u32_e64 s4, v15
	s_cbranch_execz .LBB1482_260
; %bb.252:
	s_mov_b32 s5, exec_lo
	v_cmpx_le_u32_e64 v5, v15
	s_xor_b32 s5, exec_lo, s5
	s_cbranch_execz .LBB1482_258
; %bb.253:
	s_mov_b32 s6, exec_lo
	v_cmpx_le_u32_e64 v14, v15
	s_xor_b32 s6, exec_lo, s6
	s_cbranch_execz .LBB1482_255
; %bb.254:
	v_lshlrev_b32_e32 v15, 2, v0
	ds_load_b32 v17, v15 offset:1024
	v_add_co_u32 v15, vcc_lo, v7, v0
	v_add_co_ci_u32_e32 v16, vcc_lo, 0, v13, vcc_lo
	s_delay_alu instid0(VALU_DEP_1) | instskip(NEXT) | instid1(VALU_DEP_1)
	v_lshlrev_b64 v[15:16], 2, v[15:16]
	v_sub_co_u32 v15, vcc_lo, s1, v15
	s_delay_alu instid0(VALU_DEP_2)
	v_sub_co_ci_u32_e32 v16, vcc_lo, s0, v16, vcc_lo
	s_waitcnt lgkmcnt(0)
	global_store_b32 v[15:16], v17, off offset:-1024
.LBB1482_255:
	s_and_not1_saveexec_b32 s6, s6
	s_cbranch_execz .LBB1482_257
; %bb.256:
	v_lshlrev_b32_e32 v15, 2, v0
	v_readfirstlane_b32 s8, v9
	v_readfirstlane_b32 s9, v10
	ds_load_b32 v16, v15 offset:1024
	s_waitcnt lgkmcnt(0)
	global_store_b32 v15, v16, s[8:9] offset:1024
.LBB1482_257:
	s_or_b32 exec_lo, exec_lo, s6
.LBB1482_258:
	s_and_not1_saveexec_b32 s5, s5
	s_cbranch_execz .LBB1482_260
; %bb.259:
	v_lshlrev_b32_e32 v15, 2, v0
	v_readfirstlane_b32 s6, v11
	v_readfirstlane_b32 s7, v12
	ds_load_b32 v16, v15 offset:1024
	s_waitcnt lgkmcnt(0)
	global_store_b32 v15, v16, s[6:7] offset:1024
.LBB1482_260:
	s_or_b32 exec_lo, exec_lo, s3
	v_or_b32_e32 v15, 0x200, v0
	s_mov_b32 s3, exec_lo
	s_delay_alu instid0(VALU_DEP_1)
	v_cmpx_gt_u32_e64 s4, v15
	s_cbranch_execz .LBB1482_269
; %bb.261:
	s_mov_b32 s5, exec_lo
	v_cmpx_le_u32_e64 v5, v15
	s_xor_b32 s5, exec_lo, s5
	s_cbranch_execz .LBB1482_267
; %bb.262:
	s_mov_b32 s6, exec_lo
	v_cmpx_le_u32_e64 v14, v15
	s_xor_b32 s6, exec_lo, s6
	s_cbranch_execz .LBB1482_264
; %bb.263:
	v_lshlrev_b32_e32 v15, 2, v0
	ds_load_b32 v17, v15 offset:2048
	v_add_co_u32 v15, vcc_lo, v7, v0
	v_add_co_ci_u32_e32 v16, vcc_lo, 0, v13, vcc_lo
	s_delay_alu instid0(VALU_DEP_1) | instskip(NEXT) | instid1(VALU_DEP_1)
	v_lshlrev_b64 v[15:16], 2, v[15:16]
	v_sub_co_u32 v15, vcc_lo, s1, v15
	s_delay_alu instid0(VALU_DEP_2)
	v_sub_co_ci_u32_e32 v16, vcc_lo, s0, v16, vcc_lo
	s_waitcnt lgkmcnt(0)
	global_store_b32 v[15:16], v17, off offset:-2048
.LBB1482_264:
	s_and_not1_saveexec_b32 s6, s6
	s_cbranch_execz .LBB1482_266
; %bb.265:
	v_lshlrev_b32_e32 v15, 2, v0
	v_readfirstlane_b32 s8, v9
	v_readfirstlane_b32 s9, v10
	ds_load_b32 v16, v15 offset:2048
	s_waitcnt lgkmcnt(0)
	global_store_b32 v15, v16, s[8:9] offset:2048
.LBB1482_266:
	s_or_b32 exec_lo, exec_lo, s6
.LBB1482_267:
	s_and_not1_saveexec_b32 s5, s5
	s_cbranch_execz .LBB1482_269
; %bb.268:
	v_lshlrev_b32_e32 v15, 2, v0
	v_readfirstlane_b32 s6, v11
	v_readfirstlane_b32 s7, v12
	ds_load_b32 v16, v15 offset:2048
	s_waitcnt lgkmcnt(0)
	global_store_b32 v15, v16, s[6:7] offset:2048
.LBB1482_269:
	s_or_b32 exec_lo, exec_lo, s3
	v_or_b32_e32 v15, 0x300, v0
	s_mov_b32 s3, exec_lo
	s_delay_alu instid0(VALU_DEP_1)
	v_cmpx_gt_u32_e64 s4, v15
	s_cbranch_execz .LBB1482_278
; %bb.270:
	s_mov_b32 s5, exec_lo
	v_cmpx_le_u32_e64 v5, v15
	s_xor_b32 s5, exec_lo, s5
	s_cbranch_execz .LBB1482_276
; %bb.271:
	s_mov_b32 s6, exec_lo
	v_cmpx_le_u32_e64 v14, v15
	s_xor_b32 s6, exec_lo, s6
	s_cbranch_execz .LBB1482_273
; %bb.272:
	v_lshlrev_b32_e32 v15, 2, v0
	ds_load_b32 v17, v15 offset:3072
	v_add_co_u32 v15, vcc_lo, v7, v0
	v_add_co_ci_u32_e32 v16, vcc_lo, 0, v13, vcc_lo
	s_delay_alu instid0(VALU_DEP_1) | instskip(NEXT) | instid1(VALU_DEP_1)
	v_lshlrev_b64 v[15:16], 2, v[15:16]
	v_sub_co_u32 v15, vcc_lo, s1, v15
	s_delay_alu instid0(VALU_DEP_2)
	v_sub_co_ci_u32_e32 v16, vcc_lo, s0, v16, vcc_lo
	s_waitcnt lgkmcnt(0)
	global_store_b32 v[15:16], v17, off offset:-3072
.LBB1482_273:
	s_and_not1_saveexec_b32 s6, s6
	s_cbranch_execz .LBB1482_275
; %bb.274:
	v_lshlrev_b32_e32 v15, 2, v0
	v_readfirstlane_b32 s8, v9
	v_readfirstlane_b32 s9, v10
	ds_load_b32 v16, v15 offset:3072
	s_waitcnt lgkmcnt(0)
	global_store_b32 v15, v16, s[8:9] offset:3072
.LBB1482_275:
	s_or_b32 exec_lo, exec_lo, s6
.LBB1482_276:
	s_and_not1_saveexec_b32 s5, s5
	s_cbranch_execz .LBB1482_278
; %bb.277:
	v_lshlrev_b32_e32 v15, 2, v0
	v_readfirstlane_b32 s6, v11
	v_readfirstlane_b32 s7, v12
	ds_load_b32 v16, v15 offset:3072
	s_waitcnt lgkmcnt(0)
	global_store_b32 v15, v16, s[6:7] offset:3072
.LBB1482_278:
	s_or_b32 exec_lo, exec_lo, s3
	v_or_b32_e32 v15, 0x400, v0
	s_mov_b32 s3, exec_lo
	s_delay_alu instid0(VALU_DEP_1)
	v_cmpx_gt_u32_e64 s4, v15
	s_cbranch_execz .LBB1482_287
; %bb.279:
	s_mov_b32 s5, exec_lo
	v_cmpx_le_u32_e64 v5, v15
	s_xor_b32 s5, exec_lo, s5
	s_cbranch_execz .LBB1482_285
; %bb.280:
	s_mov_b32 s6, exec_lo
	v_cmpx_le_u32_e64 v14, v15
	s_xor_b32 s6, exec_lo, s6
	s_cbranch_execz .LBB1482_282
; %bb.281:
	v_lshlrev_b32_e32 v15, 2, v0
	ds_load_b32 v17, v15 offset:4096
	v_add_co_u32 v15, vcc_lo, v7, v0
	v_add_co_ci_u32_e32 v16, vcc_lo, 0, v13, vcc_lo
	s_delay_alu instid0(VALU_DEP_1) | instskip(NEXT) | instid1(VALU_DEP_1)
	v_lshlrev_b64 v[15:16], 2, v[15:16]
	v_sub_co_u32 v15, vcc_lo, s1, v15
	s_delay_alu instid0(VALU_DEP_2)
	v_sub_co_ci_u32_e32 v16, vcc_lo, s0, v16, vcc_lo
	s_waitcnt lgkmcnt(0)
	global_store_b32 v[15:16], v17, off offset:-4096
                                        ; implicit-def: $vgpr15
.LBB1482_282:
	s_and_not1_saveexec_b32 s6, s6
	s_cbranch_execz .LBB1482_284
; %bb.283:
	v_lshlrev_b32_e32 v16, 2, v0
	v_lshlrev_b32_e32 v15, 2, v15
	v_readfirstlane_b32 s8, v9
	v_readfirstlane_b32 s9, v10
	ds_load_b32 v16, v16 offset:4096
	s_waitcnt lgkmcnt(0)
	global_store_b32 v15, v16, s[8:9]
.LBB1482_284:
	s_or_b32 exec_lo, exec_lo, s6
                                        ; implicit-def: $vgpr15
.LBB1482_285:
	s_and_not1_saveexec_b32 s5, s5
	s_cbranch_execz .LBB1482_287
; %bb.286:
	v_lshlrev_b32_e32 v16, 2, v0
	v_lshlrev_b32_e32 v15, 2, v15
	v_readfirstlane_b32 s6, v11
	v_readfirstlane_b32 s7, v12
	ds_load_b32 v16, v16 offset:4096
	s_waitcnt lgkmcnt(0)
	global_store_b32 v15, v16, s[6:7]
.LBB1482_287:
	s_or_b32 exec_lo, exec_lo, s3
	v_or_b32_e32 v15, 0x500, v0
	s_mov_b32 s3, exec_lo
	s_delay_alu instid0(VALU_DEP_1)
	v_cmpx_gt_u32_e64 s4, v15
	s_cbranch_execz .LBB1482_296
; %bb.288:
	s_mov_b32 s5, exec_lo
	v_cmpx_le_u32_e64 v5, v15
	s_xor_b32 s5, exec_lo, s5
	s_cbranch_execz .LBB1482_294
; %bb.289:
	s_mov_b32 s6, exec_lo
	v_cmpx_le_u32_e64 v14, v15
	s_xor_b32 s6, exec_lo, s6
	s_cbranch_execz .LBB1482_291
; %bb.290:
	v_lshlrev_b32_e32 v16, 2, v0
	v_add_co_u32 v15, vcc_lo, v7, v15
	ds_load_b32 v17, v16 offset:5120
	v_add_co_ci_u32_e32 v16, vcc_lo, 0, v13, vcc_lo
	s_delay_alu instid0(VALU_DEP_1) | instskip(NEXT) | instid1(VALU_DEP_1)
	v_lshlrev_b64 v[15:16], 2, v[15:16]
	v_sub_co_u32 v15, vcc_lo, s1, v15
	s_delay_alu instid0(VALU_DEP_2)
	v_sub_co_ci_u32_e32 v16, vcc_lo, s0, v16, vcc_lo
	s_waitcnt lgkmcnt(0)
	global_store_b32 v[15:16], v17, off
                                        ; implicit-def: $vgpr15
.LBB1482_291:
	s_and_not1_saveexec_b32 s6, s6
	s_cbranch_execz .LBB1482_293
; %bb.292:
	v_lshlrev_b32_e32 v16, 2, v0
	v_lshlrev_b32_e32 v15, 2, v15
	v_readfirstlane_b32 s8, v9
	v_readfirstlane_b32 s9, v10
	ds_load_b32 v16, v16 offset:5120
	s_waitcnt lgkmcnt(0)
	global_store_b32 v15, v16, s[8:9]
.LBB1482_293:
	s_or_b32 exec_lo, exec_lo, s6
                                        ; implicit-def: $vgpr15
.LBB1482_294:
	s_and_not1_saveexec_b32 s5, s5
	s_cbranch_execz .LBB1482_296
; %bb.295:
	v_lshlrev_b32_e32 v16, 2, v0
	v_lshlrev_b32_e32 v15, 2, v15
	v_readfirstlane_b32 s6, v11
	v_readfirstlane_b32 s7, v12
	ds_load_b32 v16, v16 offset:5120
	s_waitcnt lgkmcnt(0)
	global_store_b32 v15, v16, s[6:7]
.LBB1482_296:
	s_or_b32 exec_lo, exec_lo, s3
	v_or_b32_e32 v15, 0x600, v0
	s_mov_b32 s3, exec_lo
	s_delay_alu instid0(VALU_DEP_1)
	v_cmpx_gt_u32_e64 s4, v15
	s_cbranch_execz .LBB1482_305
; %bb.297:
	s_mov_b32 s5, exec_lo
	v_cmpx_le_u32_e64 v5, v15
	s_xor_b32 s5, exec_lo, s5
	s_cbranch_execz .LBB1482_303
; %bb.298:
	s_mov_b32 s6, exec_lo
	v_cmpx_le_u32_e64 v14, v15
	s_xor_b32 s6, exec_lo, s6
	s_cbranch_execz .LBB1482_300
; %bb.299:
	v_lshlrev_b32_e32 v16, 2, v0
	v_add_co_u32 v15, vcc_lo, v7, v15
	ds_load_b32 v17, v16 offset:6144
	v_add_co_ci_u32_e32 v16, vcc_lo, 0, v13, vcc_lo
	s_delay_alu instid0(VALU_DEP_1) | instskip(NEXT) | instid1(VALU_DEP_1)
	v_lshlrev_b64 v[15:16], 2, v[15:16]
	v_sub_co_u32 v15, vcc_lo, s1, v15
	s_delay_alu instid0(VALU_DEP_2)
	v_sub_co_ci_u32_e32 v16, vcc_lo, s0, v16, vcc_lo
	s_waitcnt lgkmcnt(0)
	global_store_b32 v[15:16], v17, off
                                        ; implicit-def: $vgpr15
.LBB1482_300:
	s_and_not1_saveexec_b32 s6, s6
	s_cbranch_execz .LBB1482_302
; %bb.301:
	v_lshlrev_b32_e32 v16, 2, v0
	v_lshlrev_b32_e32 v15, 2, v15
	v_readfirstlane_b32 s8, v9
	v_readfirstlane_b32 s9, v10
	ds_load_b32 v16, v16 offset:6144
	s_waitcnt lgkmcnt(0)
	global_store_b32 v15, v16, s[8:9]
.LBB1482_302:
	s_or_b32 exec_lo, exec_lo, s6
                                        ; implicit-def: $vgpr15
.LBB1482_303:
	s_and_not1_saveexec_b32 s5, s5
	s_cbranch_execz .LBB1482_305
; %bb.304:
	v_lshlrev_b32_e32 v16, 2, v0
	v_lshlrev_b32_e32 v15, 2, v15
	v_readfirstlane_b32 s6, v11
	v_readfirstlane_b32 s7, v12
	ds_load_b32 v16, v16 offset:6144
	s_waitcnt lgkmcnt(0)
	global_store_b32 v15, v16, s[6:7]
.LBB1482_305:
	;; [unrolled: 55-line block ×7, first 2 shown]
	s_or_b32 exec_lo, exec_lo, s3
	v_or_b32_e32 v15, 0xc00, v0
	s_mov_b32 s3, exec_lo
	s_delay_alu instid0(VALU_DEP_1)
	v_cmpx_gt_u32_e64 s4, v15
	s_cbranch_execz .LBB1482_359
; %bb.351:
	s_mov_b32 s4, exec_lo
	v_cmpx_le_u32_e64 v5, v15
	s_xor_b32 s4, exec_lo, s4
	s_cbranch_execz .LBB1482_357
; %bb.352:
	s_mov_b32 s5, exec_lo
	v_cmpx_le_u32_e64 v14, v15
	s_xor_b32 s5, exec_lo, s5
	s_cbranch_execz .LBB1482_354
; %bb.353:
	v_lshlrev_b32_e32 v0, 2, v0
	v_add_co_u32 v9, vcc_lo, v7, v15
	v_add_co_ci_u32_e32 v10, vcc_lo, 0, v13, vcc_lo
	ds_load_b32 v0, v0 offset:12288
                                        ; implicit-def: $vgpr15
	v_lshlrev_b64 v[9:10], 2, v[9:10]
	s_delay_alu instid0(VALU_DEP_1) | instskip(NEXT) | instid1(VALU_DEP_2)
	v_sub_co_u32 v9, vcc_lo, s1, v9
	v_sub_co_ci_u32_e32 v10, vcc_lo, s0, v10, vcc_lo
	s_waitcnt lgkmcnt(0)
	global_store_b32 v[9:10], v0, off
                                        ; implicit-def: $vgpr0
                                        ; implicit-def: $vgpr9_vgpr10
.LBB1482_354:
	s_and_not1_saveexec_b32 s0, s5
	s_cbranch_execz .LBB1482_356
; %bb.355:
	v_lshlrev_b32_e32 v0, 2, v0
	v_lshlrev_b32_e32 v7, 2, v15
	v_readfirstlane_b32 s6, v9
	v_readfirstlane_b32 s7, v10
	ds_load_b32 v0, v0 offset:12288
	s_waitcnt lgkmcnt(0)
	global_store_b32 v7, v0, s[6:7]
.LBB1482_356:
	s_or_b32 exec_lo, exec_lo, s0
                                        ; implicit-def: $vgpr0
                                        ; implicit-def: $vgpr15
                                        ; implicit-def: $vgpr11_vgpr12
.LBB1482_357:
	s_and_not1_saveexec_b32 s0, s4
	s_cbranch_execz .LBB1482_359
; %bb.358:
	v_lshlrev_b32_e32 v0, 2, v0
	v_lshlrev_b32_e32 v7, 2, v15
	v_readfirstlane_b32 s0, v11
	v_readfirstlane_b32 s1, v12
	ds_load_b32 v0, v0 offset:12288
	s_waitcnt lgkmcnt(0)
	global_store_b32 v7, v0, s[0:1]
.LBB1482_359:
	s_or_b32 exec_lo, exec_lo, s3
	s_and_b32 s0, s2, s13
	s_delay_alu instid0(SALU_CYCLE_1)
	s_and_saveexec_b32 s1, s0
	s_cbranch_execz .LBB1482_136
.LBB1482_360:
	v_add_co_u32 v3, vcc_lo, v3, v6
	v_add_co_ci_u32_e32 v4, vcc_lo, 0, v4, vcc_lo
	v_add_co_u32 v0, vcc_lo, v1, v5
	v_add_co_ci_u32_e32 v1, vcc_lo, 0, v2, vcc_lo
	s_delay_alu instid0(VALU_DEP_4)
	v_add_co_u32 v2, vcc_lo, v3, v8
	v_mov_b32_e32 v7, 0
	v_add_co_ci_u32_e32 v3, vcc_lo, 0, v4, vcc_lo
	global_store_b128 v7, v[0:3], s[24:25]
	s_nop 0
	s_sendmsg sendmsg(MSG_DEALLOC_VGPRS)
	s_endpgm
.LBB1482_361:
	v_add_nc_u32_e32 v7, s6, v27
	s_add_i32 s8, s26, 32
	s_mov_b32 s9, 0
	v_dual_mov_b32 v9, 0 :: v_dual_add_nc_u32 v6, v26, v5
	s_lshl_b64 s[8:9], s[8:9], 4
	v_and_b32_e32 v24, 0xff0000, v7
	s_add_u32 s8, s36, s8
	s_addc_u32 s9, s37, s9
	v_and_b32_e32 v8, 0xff000000, v7
	s_delay_alu instid0(VALU_DEP_1) | instskip(SKIP_2) | instid1(VALU_DEP_1)
	v_or_b32_e32 v24, v24, v8
	v_dual_mov_b32 v8, 2 :: v_dual_and_b32 v25, 0xff00, v7
	v_and_b32_e32 v7, 0xff, v7
	v_or3_b32 v7, v24, v25, v7
	v_dual_mov_b32 v25, s9 :: v_dual_mov_b32 v24, s8
	;;#ASMSTART
	global_store_dwordx4 v[24:25], v[6:9] off	
s_waitcnt vmcnt(0)
	;;#ASMEND
	s_or_b32 exec_lo, exec_lo, s7
	s_and_saveexec_b32 s7, s3
	s_cbranch_execz .LBB1482_120
.LBB1482_362:
	v_mov_b32_e32 v6, s6
	v_add_nc_u32_e64 v7, 0x3400, 0
	ds_store_2addr_b32 v7, v5, v6 offset1:2
	ds_store_2addr_b32 v7, v26, v27 offset0:4 offset1:6
	s_or_b32 exec_lo, exec_lo, s7
	s_delay_alu instid0(SALU_CYCLE_1)
	s_and_b32 exec_lo, exec_lo, s2
	s_cbranch_execnz .LBB1482_121
	s_branch .LBB1482_122
	.section	.rodata,"a",@progbits
	.p2align	6, 0x0
	.amdhsa_kernel _ZN7rocprim17ROCPRIM_400000_NS6detail17trampoline_kernelINS0_13select_configILj256ELj13ELNS0_17block_load_methodE3ELS4_3ELS4_3ELNS0_20block_scan_algorithmE0ELj4294967295EEENS1_25partition_config_selectorILNS1_17partition_subalgoE4EjNS0_10empty_typeEbEEZZNS1_14partition_implILS8_4ELb0ES6_15HIP_vector_typeIjLj2EENS0_17counting_iteratorIjlEEPS9_SG_NS0_5tupleIJPjSI_NS0_16reverse_iteratorISI_EEEEENSH_IJSG_SG_SG_EEES9_SI_JZNS1_25segmented_radix_sort_implINS0_14default_configELb1EPKbPbPKlPlN2at6native12_GLOBAL__N_18offset_tEEE10hipError_tPvRmT1_PNSt15iterator_traitsIS12_E10value_typeET2_T3_PNS13_IS18_E10value_typeET4_jRbjT5_S1E_jjP12ihipStream_tbEUljE_ZNSN_ISO_Lb1ESQ_SR_ST_SU_SY_EESZ_S10_S11_S12_S16_S17_S18_S1B_S1C_jS1D_jS1E_S1E_jjS1G_bEUljE0_EEESZ_S10_S11_S18_S1C_S1E_T6_T7_T9_mT8_S1G_bDpT10_ENKUlT_T0_E_clISt17integral_constantIbLb1EES1U_EEDaS1P_S1Q_EUlS1P_E_NS1_11comp_targetILNS1_3genE9ELNS1_11target_archE1100ELNS1_3gpuE3ELNS1_3repE0EEENS1_30default_config_static_selectorELNS0_4arch9wavefront6targetE0EEEvS12_
		.amdhsa_group_segment_fixed_size 13340
		.amdhsa_private_segment_fixed_size 0
		.amdhsa_kernarg_size 184
		.amdhsa_user_sgpr_count 15
		.amdhsa_user_sgpr_dispatch_ptr 0
		.amdhsa_user_sgpr_queue_ptr 0
		.amdhsa_user_sgpr_kernarg_segment_ptr 1
		.amdhsa_user_sgpr_dispatch_id 0
		.amdhsa_user_sgpr_private_segment_size 0
		.amdhsa_wavefront_size32 1
		.amdhsa_uses_dynamic_stack 0
		.amdhsa_enable_private_segment 0
		.amdhsa_system_sgpr_workgroup_id_x 1
		.amdhsa_system_sgpr_workgroup_id_y 0
		.amdhsa_system_sgpr_workgroup_id_z 0
		.amdhsa_system_sgpr_workgroup_info 0
		.amdhsa_system_vgpr_workitem_id 0
		.amdhsa_next_free_vgpr 103
		.amdhsa_next_free_sgpr 55
		.amdhsa_reserve_vcc 1
		.amdhsa_float_round_mode_32 0
		.amdhsa_float_round_mode_16_64 0
		.amdhsa_float_denorm_mode_32 3
		.amdhsa_float_denorm_mode_16_64 3
		.amdhsa_dx10_clamp 1
		.amdhsa_ieee_mode 1
		.amdhsa_fp16_overflow 0
		.amdhsa_workgroup_processor_mode 1
		.amdhsa_memory_ordered 1
		.amdhsa_forward_progress 0
		.amdhsa_shared_vgpr_count 0
		.amdhsa_exception_fp_ieee_invalid_op 0
		.amdhsa_exception_fp_denorm_src 0
		.amdhsa_exception_fp_ieee_div_zero 0
		.amdhsa_exception_fp_ieee_overflow 0
		.amdhsa_exception_fp_ieee_underflow 0
		.amdhsa_exception_fp_ieee_inexact 0
		.amdhsa_exception_int_div_zero 0
	.end_amdhsa_kernel
	.section	.text._ZN7rocprim17ROCPRIM_400000_NS6detail17trampoline_kernelINS0_13select_configILj256ELj13ELNS0_17block_load_methodE3ELS4_3ELS4_3ELNS0_20block_scan_algorithmE0ELj4294967295EEENS1_25partition_config_selectorILNS1_17partition_subalgoE4EjNS0_10empty_typeEbEEZZNS1_14partition_implILS8_4ELb0ES6_15HIP_vector_typeIjLj2EENS0_17counting_iteratorIjlEEPS9_SG_NS0_5tupleIJPjSI_NS0_16reverse_iteratorISI_EEEEENSH_IJSG_SG_SG_EEES9_SI_JZNS1_25segmented_radix_sort_implINS0_14default_configELb1EPKbPbPKlPlN2at6native12_GLOBAL__N_18offset_tEEE10hipError_tPvRmT1_PNSt15iterator_traitsIS12_E10value_typeET2_T3_PNS13_IS18_E10value_typeET4_jRbjT5_S1E_jjP12ihipStream_tbEUljE_ZNSN_ISO_Lb1ESQ_SR_ST_SU_SY_EESZ_S10_S11_S12_S16_S17_S18_S1B_S1C_jS1D_jS1E_S1E_jjS1G_bEUljE0_EEESZ_S10_S11_S18_S1C_S1E_T6_T7_T9_mT8_S1G_bDpT10_ENKUlT_T0_E_clISt17integral_constantIbLb1EES1U_EEDaS1P_S1Q_EUlS1P_E_NS1_11comp_targetILNS1_3genE9ELNS1_11target_archE1100ELNS1_3gpuE3ELNS1_3repE0EEENS1_30default_config_static_selectorELNS0_4arch9wavefront6targetE0EEEvS12_,"axG",@progbits,_ZN7rocprim17ROCPRIM_400000_NS6detail17trampoline_kernelINS0_13select_configILj256ELj13ELNS0_17block_load_methodE3ELS4_3ELS4_3ELNS0_20block_scan_algorithmE0ELj4294967295EEENS1_25partition_config_selectorILNS1_17partition_subalgoE4EjNS0_10empty_typeEbEEZZNS1_14partition_implILS8_4ELb0ES6_15HIP_vector_typeIjLj2EENS0_17counting_iteratorIjlEEPS9_SG_NS0_5tupleIJPjSI_NS0_16reverse_iteratorISI_EEEEENSH_IJSG_SG_SG_EEES9_SI_JZNS1_25segmented_radix_sort_implINS0_14default_configELb1EPKbPbPKlPlN2at6native12_GLOBAL__N_18offset_tEEE10hipError_tPvRmT1_PNSt15iterator_traitsIS12_E10value_typeET2_T3_PNS13_IS18_E10value_typeET4_jRbjT5_S1E_jjP12ihipStream_tbEUljE_ZNSN_ISO_Lb1ESQ_SR_ST_SU_SY_EESZ_S10_S11_S12_S16_S17_S18_S1B_S1C_jS1D_jS1E_S1E_jjS1G_bEUljE0_EEESZ_S10_S11_S18_S1C_S1E_T6_T7_T9_mT8_S1G_bDpT10_ENKUlT_T0_E_clISt17integral_constantIbLb1EES1U_EEDaS1P_S1Q_EUlS1P_E_NS1_11comp_targetILNS1_3genE9ELNS1_11target_archE1100ELNS1_3gpuE3ELNS1_3repE0EEENS1_30default_config_static_selectorELNS0_4arch9wavefront6targetE0EEEvS12_,comdat
.Lfunc_end1482:
	.size	_ZN7rocprim17ROCPRIM_400000_NS6detail17trampoline_kernelINS0_13select_configILj256ELj13ELNS0_17block_load_methodE3ELS4_3ELS4_3ELNS0_20block_scan_algorithmE0ELj4294967295EEENS1_25partition_config_selectorILNS1_17partition_subalgoE4EjNS0_10empty_typeEbEEZZNS1_14partition_implILS8_4ELb0ES6_15HIP_vector_typeIjLj2EENS0_17counting_iteratorIjlEEPS9_SG_NS0_5tupleIJPjSI_NS0_16reverse_iteratorISI_EEEEENSH_IJSG_SG_SG_EEES9_SI_JZNS1_25segmented_radix_sort_implINS0_14default_configELb1EPKbPbPKlPlN2at6native12_GLOBAL__N_18offset_tEEE10hipError_tPvRmT1_PNSt15iterator_traitsIS12_E10value_typeET2_T3_PNS13_IS18_E10value_typeET4_jRbjT5_S1E_jjP12ihipStream_tbEUljE_ZNSN_ISO_Lb1ESQ_SR_ST_SU_SY_EESZ_S10_S11_S12_S16_S17_S18_S1B_S1C_jS1D_jS1E_S1E_jjS1G_bEUljE0_EEESZ_S10_S11_S18_S1C_S1E_T6_T7_T9_mT8_S1G_bDpT10_ENKUlT_T0_E_clISt17integral_constantIbLb1EES1U_EEDaS1P_S1Q_EUlS1P_E_NS1_11comp_targetILNS1_3genE9ELNS1_11target_archE1100ELNS1_3gpuE3ELNS1_3repE0EEENS1_30default_config_static_selectorELNS0_4arch9wavefront6targetE0EEEvS12_, .Lfunc_end1482-_ZN7rocprim17ROCPRIM_400000_NS6detail17trampoline_kernelINS0_13select_configILj256ELj13ELNS0_17block_load_methodE3ELS4_3ELS4_3ELNS0_20block_scan_algorithmE0ELj4294967295EEENS1_25partition_config_selectorILNS1_17partition_subalgoE4EjNS0_10empty_typeEbEEZZNS1_14partition_implILS8_4ELb0ES6_15HIP_vector_typeIjLj2EENS0_17counting_iteratorIjlEEPS9_SG_NS0_5tupleIJPjSI_NS0_16reverse_iteratorISI_EEEEENSH_IJSG_SG_SG_EEES9_SI_JZNS1_25segmented_radix_sort_implINS0_14default_configELb1EPKbPbPKlPlN2at6native12_GLOBAL__N_18offset_tEEE10hipError_tPvRmT1_PNSt15iterator_traitsIS12_E10value_typeET2_T3_PNS13_IS18_E10value_typeET4_jRbjT5_S1E_jjP12ihipStream_tbEUljE_ZNSN_ISO_Lb1ESQ_SR_ST_SU_SY_EESZ_S10_S11_S12_S16_S17_S18_S1B_S1C_jS1D_jS1E_S1E_jjS1G_bEUljE0_EEESZ_S10_S11_S18_S1C_S1E_T6_T7_T9_mT8_S1G_bDpT10_ENKUlT_T0_E_clISt17integral_constantIbLb1EES1U_EEDaS1P_S1Q_EUlS1P_E_NS1_11comp_targetILNS1_3genE9ELNS1_11target_archE1100ELNS1_3gpuE3ELNS1_3repE0EEENS1_30default_config_static_selectorELNS0_4arch9wavefront6targetE0EEEvS12_
                                        ; -- End function
	.section	.AMDGPU.csdata,"",@progbits
; Kernel info:
; codeLenInByte = 15160
; NumSgprs: 57
; NumVgprs: 103
; ScratchSize: 0
; MemoryBound: 0
; FloatMode: 240
; IeeeMode: 1
; LDSByteSize: 13340 bytes/workgroup (compile time only)
; SGPRBlocks: 7
; VGPRBlocks: 12
; NumSGPRsForWavesPerEU: 57
; NumVGPRsForWavesPerEU: 103
; Occupancy: 12
; WaveLimiterHint : 1
; COMPUTE_PGM_RSRC2:SCRATCH_EN: 0
; COMPUTE_PGM_RSRC2:USER_SGPR: 15
; COMPUTE_PGM_RSRC2:TRAP_HANDLER: 0
; COMPUTE_PGM_RSRC2:TGID_X_EN: 1
; COMPUTE_PGM_RSRC2:TGID_Y_EN: 0
; COMPUTE_PGM_RSRC2:TGID_Z_EN: 0
; COMPUTE_PGM_RSRC2:TIDIG_COMP_CNT: 0
	.section	.text._ZN7rocprim17ROCPRIM_400000_NS6detail17trampoline_kernelINS0_13select_configILj256ELj13ELNS0_17block_load_methodE3ELS4_3ELS4_3ELNS0_20block_scan_algorithmE0ELj4294967295EEENS1_25partition_config_selectorILNS1_17partition_subalgoE4EjNS0_10empty_typeEbEEZZNS1_14partition_implILS8_4ELb0ES6_15HIP_vector_typeIjLj2EENS0_17counting_iteratorIjlEEPS9_SG_NS0_5tupleIJPjSI_NS0_16reverse_iteratorISI_EEEEENSH_IJSG_SG_SG_EEES9_SI_JZNS1_25segmented_radix_sort_implINS0_14default_configELb1EPKbPbPKlPlN2at6native12_GLOBAL__N_18offset_tEEE10hipError_tPvRmT1_PNSt15iterator_traitsIS12_E10value_typeET2_T3_PNS13_IS18_E10value_typeET4_jRbjT5_S1E_jjP12ihipStream_tbEUljE_ZNSN_ISO_Lb1ESQ_SR_ST_SU_SY_EESZ_S10_S11_S12_S16_S17_S18_S1B_S1C_jS1D_jS1E_S1E_jjS1G_bEUljE0_EEESZ_S10_S11_S18_S1C_S1E_T6_T7_T9_mT8_S1G_bDpT10_ENKUlT_T0_E_clISt17integral_constantIbLb1EES1U_EEDaS1P_S1Q_EUlS1P_E_NS1_11comp_targetILNS1_3genE8ELNS1_11target_archE1030ELNS1_3gpuE2ELNS1_3repE0EEENS1_30default_config_static_selectorELNS0_4arch9wavefront6targetE0EEEvS12_,"axG",@progbits,_ZN7rocprim17ROCPRIM_400000_NS6detail17trampoline_kernelINS0_13select_configILj256ELj13ELNS0_17block_load_methodE3ELS4_3ELS4_3ELNS0_20block_scan_algorithmE0ELj4294967295EEENS1_25partition_config_selectorILNS1_17partition_subalgoE4EjNS0_10empty_typeEbEEZZNS1_14partition_implILS8_4ELb0ES6_15HIP_vector_typeIjLj2EENS0_17counting_iteratorIjlEEPS9_SG_NS0_5tupleIJPjSI_NS0_16reverse_iteratorISI_EEEEENSH_IJSG_SG_SG_EEES9_SI_JZNS1_25segmented_radix_sort_implINS0_14default_configELb1EPKbPbPKlPlN2at6native12_GLOBAL__N_18offset_tEEE10hipError_tPvRmT1_PNSt15iterator_traitsIS12_E10value_typeET2_T3_PNS13_IS18_E10value_typeET4_jRbjT5_S1E_jjP12ihipStream_tbEUljE_ZNSN_ISO_Lb1ESQ_SR_ST_SU_SY_EESZ_S10_S11_S12_S16_S17_S18_S1B_S1C_jS1D_jS1E_S1E_jjS1G_bEUljE0_EEESZ_S10_S11_S18_S1C_S1E_T6_T7_T9_mT8_S1G_bDpT10_ENKUlT_T0_E_clISt17integral_constantIbLb1EES1U_EEDaS1P_S1Q_EUlS1P_E_NS1_11comp_targetILNS1_3genE8ELNS1_11target_archE1030ELNS1_3gpuE2ELNS1_3repE0EEENS1_30default_config_static_selectorELNS0_4arch9wavefront6targetE0EEEvS12_,comdat
	.globl	_ZN7rocprim17ROCPRIM_400000_NS6detail17trampoline_kernelINS0_13select_configILj256ELj13ELNS0_17block_load_methodE3ELS4_3ELS4_3ELNS0_20block_scan_algorithmE0ELj4294967295EEENS1_25partition_config_selectorILNS1_17partition_subalgoE4EjNS0_10empty_typeEbEEZZNS1_14partition_implILS8_4ELb0ES6_15HIP_vector_typeIjLj2EENS0_17counting_iteratorIjlEEPS9_SG_NS0_5tupleIJPjSI_NS0_16reverse_iteratorISI_EEEEENSH_IJSG_SG_SG_EEES9_SI_JZNS1_25segmented_radix_sort_implINS0_14default_configELb1EPKbPbPKlPlN2at6native12_GLOBAL__N_18offset_tEEE10hipError_tPvRmT1_PNSt15iterator_traitsIS12_E10value_typeET2_T3_PNS13_IS18_E10value_typeET4_jRbjT5_S1E_jjP12ihipStream_tbEUljE_ZNSN_ISO_Lb1ESQ_SR_ST_SU_SY_EESZ_S10_S11_S12_S16_S17_S18_S1B_S1C_jS1D_jS1E_S1E_jjS1G_bEUljE0_EEESZ_S10_S11_S18_S1C_S1E_T6_T7_T9_mT8_S1G_bDpT10_ENKUlT_T0_E_clISt17integral_constantIbLb1EES1U_EEDaS1P_S1Q_EUlS1P_E_NS1_11comp_targetILNS1_3genE8ELNS1_11target_archE1030ELNS1_3gpuE2ELNS1_3repE0EEENS1_30default_config_static_selectorELNS0_4arch9wavefront6targetE0EEEvS12_ ; -- Begin function _ZN7rocprim17ROCPRIM_400000_NS6detail17trampoline_kernelINS0_13select_configILj256ELj13ELNS0_17block_load_methodE3ELS4_3ELS4_3ELNS0_20block_scan_algorithmE0ELj4294967295EEENS1_25partition_config_selectorILNS1_17partition_subalgoE4EjNS0_10empty_typeEbEEZZNS1_14partition_implILS8_4ELb0ES6_15HIP_vector_typeIjLj2EENS0_17counting_iteratorIjlEEPS9_SG_NS0_5tupleIJPjSI_NS0_16reverse_iteratorISI_EEEEENSH_IJSG_SG_SG_EEES9_SI_JZNS1_25segmented_radix_sort_implINS0_14default_configELb1EPKbPbPKlPlN2at6native12_GLOBAL__N_18offset_tEEE10hipError_tPvRmT1_PNSt15iterator_traitsIS12_E10value_typeET2_T3_PNS13_IS18_E10value_typeET4_jRbjT5_S1E_jjP12ihipStream_tbEUljE_ZNSN_ISO_Lb1ESQ_SR_ST_SU_SY_EESZ_S10_S11_S12_S16_S17_S18_S1B_S1C_jS1D_jS1E_S1E_jjS1G_bEUljE0_EEESZ_S10_S11_S18_S1C_S1E_T6_T7_T9_mT8_S1G_bDpT10_ENKUlT_T0_E_clISt17integral_constantIbLb1EES1U_EEDaS1P_S1Q_EUlS1P_E_NS1_11comp_targetILNS1_3genE8ELNS1_11target_archE1030ELNS1_3gpuE2ELNS1_3repE0EEENS1_30default_config_static_selectorELNS0_4arch9wavefront6targetE0EEEvS12_
	.p2align	8
	.type	_ZN7rocprim17ROCPRIM_400000_NS6detail17trampoline_kernelINS0_13select_configILj256ELj13ELNS0_17block_load_methodE3ELS4_3ELS4_3ELNS0_20block_scan_algorithmE0ELj4294967295EEENS1_25partition_config_selectorILNS1_17partition_subalgoE4EjNS0_10empty_typeEbEEZZNS1_14partition_implILS8_4ELb0ES6_15HIP_vector_typeIjLj2EENS0_17counting_iteratorIjlEEPS9_SG_NS0_5tupleIJPjSI_NS0_16reverse_iteratorISI_EEEEENSH_IJSG_SG_SG_EEES9_SI_JZNS1_25segmented_radix_sort_implINS0_14default_configELb1EPKbPbPKlPlN2at6native12_GLOBAL__N_18offset_tEEE10hipError_tPvRmT1_PNSt15iterator_traitsIS12_E10value_typeET2_T3_PNS13_IS18_E10value_typeET4_jRbjT5_S1E_jjP12ihipStream_tbEUljE_ZNSN_ISO_Lb1ESQ_SR_ST_SU_SY_EESZ_S10_S11_S12_S16_S17_S18_S1B_S1C_jS1D_jS1E_S1E_jjS1G_bEUljE0_EEESZ_S10_S11_S18_S1C_S1E_T6_T7_T9_mT8_S1G_bDpT10_ENKUlT_T0_E_clISt17integral_constantIbLb1EES1U_EEDaS1P_S1Q_EUlS1P_E_NS1_11comp_targetILNS1_3genE8ELNS1_11target_archE1030ELNS1_3gpuE2ELNS1_3repE0EEENS1_30default_config_static_selectorELNS0_4arch9wavefront6targetE0EEEvS12_,@function
_ZN7rocprim17ROCPRIM_400000_NS6detail17trampoline_kernelINS0_13select_configILj256ELj13ELNS0_17block_load_methodE3ELS4_3ELS4_3ELNS0_20block_scan_algorithmE0ELj4294967295EEENS1_25partition_config_selectorILNS1_17partition_subalgoE4EjNS0_10empty_typeEbEEZZNS1_14partition_implILS8_4ELb0ES6_15HIP_vector_typeIjLj2EENS0_17counting_iteratorIjlEEPS9_SG_NS0_5tupleIJPjSI_NS0_16reverse_iteratorISI_EEEEENSH_IJSG_SG_SG_EEES9_SI_JZNS1_25segmented_radix_sort_implINS0_14default_configELb1EPKbPbPKlPlN2at6native12_GLOBAL__N_18offset_tEEE10hipError_tPvRmT1_PNSt15iterator_traitsIS12_E10value_typeET2_T3_PNS13_IS18_E10value_typeET4_jRbjT5_S1E_jjP12ihipStream_tbEUljE_ZNSN_ISO_Lb1ESQ_SR_ST_SU_SY_EESZ_S10_S11_S12_S16_S17_S18_S1B_S1C_jS1D_jS1E_S1E_jjS1G_bEUljE0_EEESZ_S10_S11_S18_S1C_S1E_T6_T7_T9_mT8_S1G_bDpT10_ENKUlT_T0_E_clISt17integral_constantIbLb1EES1U_EEDaS1P_S1Q_EUlS1P_E_NS1_11comp_targetILNS1_3genE8ELNS1_11target_archE1030ELNS1_3gpuE2ELNS1_3repE0EEENS1_30default_config_static_selectorELNS0_4arch9wavefront6targetE0EEEvS12_: ; @_ZN7rocprim17ROCPRIM_400000_NS6detail17trampoline_kernelINS0_13select_configILj256ELj13ELNS0_17block_load_methodE3ELS4_3ELS4_3ELNS0_20block_scan_algorithmE0ELj4294967295EEENS1_25partition_config_selectorILNS1_17partition_subalgoE4EjNS0_10empty_typeEbEEZZNS1_14partition_implILS8_4ELb0ES6_15HIP_vector_typeIjLj2EENS0_17counting_iteratorIjlEEPS9_SG_NS0_5tupleIJPjSI_NS0_16reverse_iteratorISI_EEEEENSH_IJSG_SG_SG_EEES9_SI_JZNS1_25segmented_radix_sort_implINS0_14default_configELb1EPKbPbPKlPlN2at6native12_GLOBAL__N_18offset_tEEE10hipError_tPvRmT1_PNSt15iterator_traitsIS12_E10value_typeET2_T3_PNS13_IS18_E10value_typeET4_jRbjT5_S1E_jjP12ihipStream_tbEUljE_ZNSN_ISO_Lb1ESQ_SR_ST_SU_SY_EESZ_S10_S11_S12_S16_S17_S18_S1B_S1C_jS1D_jS1E_S1E_jjS1G_bEUljE0_EEESZ_S10_S11_S18_S1C_S1E_T6_T7_T9_mT8_S1G_bDpT10_ENKUlT_T0_E_clISt17integral_constantIbLb1EES1U_EEDaS1P_S1Q_EUlS1P_E_NS1_11comp_targetILNS1_3genE8ELNS1_11target_archE1030ELNS1_3gpuE2ELNS1_3repE0EEENS1_30default_config_static_selectorELNS0_4arch9wavefront6targetE0EEEvS12_
; %bb.0:
	.section	.rodata,"a",@progbits
	.p2align	6, 0x0
	.amdhsa_kernel _ZN7rocprim17ROCPRIM_400000_NS6detail17trampoline_kernelINS0_13select_configILj256ELj13ELNS0_17block_load_methodE3ELS4_3ELS4_3ELNS0_20block_scan_algorithmE0ELj4294967295EEENS1_25partition_config_selectorILNS1_17partition_subalgoE4EjNS0_10empty_typeEbEEZZNS1_14partition_implILS8_4ELb0ES6_15HIP_vector_typeIjLj2EENS0_17counting_iteratorIjlEEPS9_SG_NS0_5tupleIJPjSI_NS0_16reverse_iteratorISI_EEEEENSH_IJSG_SG_SG_EEES9_SI_JZNS1_25segmented_radix_sort_implINS0_14default_configELb1EPKbPbPKlPlN2at6native12_GLOBAL__N_18offset_tEEE10hipError_tPvRmT1_PNSt15iterator_traitsIS12_E10value_typeET2_T3_PNS13_IS18_E10value_typeET4_jRbjT5_S1E_jjP12ihipStream_tbEUljE_ZNSN_ISO_Lb1ESQ_SR_ST_SU_SY_EESZ_S10_S11_S12_S16_S17_S18_S1B_S1C_jS1D_jS1E_S1E_jjS1G_bEUljE0_EEESZ_S10_S11_S18_S1C_S1E_T6_T7_T9_mT8_S1G_bDpT10_ENKUlT_T0_E_clISt17integral_constantIbLb1EES1U_EEDaS1P_S1Q_EUlS1P_E_NS1_11comp_targetILNS1_3genE8ELNS1_11target_archE1030ELNS1_3gpuE2ELNS1_3repE0EEENS1_30default_config_static_selectorELNS0_4arch9wavefront6targetE0EEEvS12_
		.amdhsa_group_segment_fixed_size 0
		.amdhsa_private_segment_fixed_size 0
		.amdhsa_kernarg_size 184
		.amdhsa_user_sgpr_count 15
		.amdhsa_user_sgpr_dispatch_ptr 0
		.amdhsa_user_sgpr_queue_ptr 0
		.amdhsa_user_sgpr_kernarg_segment_ptr 1
		.amdhsa_user_sgpr_dispatch_id 0
		.amdhsa_user_sgpr_private_segment_size 0
		.amdhsa_wavefront_size32 1
		.amdhsa_uses_dynamic_stack 0
		.amdhsa_enable_private_segment 0
		.amdhsa_system_sgpr_workgroup_id_x 1
		.amdhsa_system_sgpr_workgroup_id_y 0
		.amdhsa_system_sgpr_workgroup_id_z 0
		.amdhsa_system_sgpr_workgroup_info 0
		.amdhsa_system_vgpr_workitem_id 0
		.amdhsa_next_free_vgpr 1
		.amdhsa_next_free_sgpr 1
		.amdhsa_reserve_vcc 0
		.amdhsa_float_round_mode_32 0
		.amdhsa_float_round_mode_16_64 0
		.amdhsa_float_denorm_mode_32 3
		.amdhsa_float_denorm_mode_16_64 3
		.amdhsa_dx10_clamp 1
		.amdhsa_ieee_mode 1
		.amdhsa_fp16_overflow 0
		.amdhsa_workgroup_processor_mode 1
		.amdhsa_memory_ordered 1
		.amdhsa_forward_progress 0
		.amdhsa_shared_vgpr_count 0
		.amdhsa_exception_fp_ieee_invalid_op 0
		.amdhsa_exception_fp_denorm_src 0
		.amdhsa_exception_fp_ieee_div_zero 0
		.amdhsa_exception_fp_ieee_overflow 0
		.amdhsa_exception_fp_ieee_underflow 0
		.amdhsa_exception_fp_ieee_inexact 0
		.amdhsa_exception_int_div_zero 0
	.end_amdhsa_kernel
	.section	.text._ZN7rocprim17ROCPRIM_400000_NS6detail17trampoline_kernelINS0_13select_configILj256ELj13ELNS0_17block_load_methodE3ELS4_3ELS4_3ELNS0_20block_scan_algorithmE0ELj4294967295EEENS1_25partition_config_selectorILNS1_17partition_subalgoE4EjNS0_10empty_typeEbEEZZNS1_14partition_implILS8_4ELb0ES6_15HIP_vector_typeIjLj2EENS0_17counting_iteratorIjlEEPS9_SG_NS0_5tupleIJPjSI_NS0_16reverse_iteratorISI_EEEEENSH_IJSG_SG_SG_EEES9_SI_JZNS1_25segmented_radix_sort_implINS0_14default_configELb1EPKbPbPKlPlN2at6native12_GLOBAL__N_18offset_tEEE10hipError_tPvRmT1_PNSt15iterator_traitsIS12_E10value_typeET2_T3_PNS13_IS18_E10value_typeET4_jRbjT5_S1E_jjP12ihipStream_tbEUljE_ZNSN_ISO_Lb1ESQ_SR_ST_SU_SY_EESZ_S10_S11_S12_S16_S17_S18_S1B_S1C_jS1D_jS1E_S1E_jjS1G_bEUljE0_EEESZ_S10_S11_S18_S1C_S1E_T6_T7_T9_mT8_S1G_bDpT10_ENKUlT_T0_E_clISt17integral_constantIbLb1EES1U_EEDaS1P_S1Q_EUlS1P_E_NS1_11comp_targetILNS1_3genE8ELNS1_11target_archE1030ELNS1_3gpuE2ELNS1_3repE0EEENS1_30default_config_static_selectorELNS0_4arch9wavefront6targetE0EEEvS12_,"axG",@progbits,_ZN7rocprim17ROCPRIM_400000_NS6detail17trampoline_kernelINS0_13select_configILj256ELj13ELNS0_17block_load_methodE3ELS4_3ELS4_3ELNS0_20block_scan_algorithmE0ELj4294967295EEENS1_25partition_config_selectorILNS1_17partition_subalgoE4EjNS0_10empty_typeEbEEZZNS1_14partition_implILS8_4ELb0ES6_15HIP_vector_typeIjLj2EENS0_17counting_iteratorIjlEEPS9_SG_NS0_5tupleIJPjSI_NS0_16reverse_iteratorISI_EEEEENSH_IJSG_SG_SG_EEES9_SI_JZNS1_25segmented_radix_sort_implINS0_14default_configELb1EPKbPbPKlPlN2at6native12_GLOBAL__N_18offset_tEEE10hipError_tPvRmT1_PNSt15iterator_traitsIS12_E10value_typeET2_T3_PNS13_IS18_E10value_typeET4_jRbjT5_S1E_jjP12ihipStream_tbEUljE_ZNSN_ISO_Lb1ESQ_SR_ST_SU_SY_EESZ_S10_S11_S12_S16_S17_S18_S1B_S1C_jS1D_jS1E_S1E_jjS1G_bEUljE0_EEESZ_S10_S11_S18_S1C_S1E_T6_T7_T9_mT8_S1G_bDpT10_ENKUlT_T0_E_clISt17integral_constantIbLb1EES1U_EEDaS1P_S1Q_EUlS1P_E_NS1_11comp_targetILNS1_3genE8ELNS1_11target_archE1030ELNS1_3gpuE2ELNS1_3repE0EEENS1_30default_config_static_selectorELNS0_4arch9wavefront6targetE0EEEvS12_,comdat
.Lfunc_end1483:
	.size	_ZN7rocprim17ROCPRIM_400000_NS6detail17trampoline_kernelINS0_13select_configILj256ELj13ELNS0_17block_load_methodE3ELS4_3ELS4_3ELNS0_20block_scan_algorithmE0ELj4294967295EEENS1_25partition_config_selectorILNS1_17partition_subalgoE4EjNS0_10empty_typeEbEEZZNS1_14partition_implILS8_4ELb0ES6_15HIP_vector_typeIjLj2EENS0_17counting_iteratorIjlEEPS9_SG_NS0_5tupleIJPjSI_NS0_16reverse_iteratorISI_EEEEENSH_IJSG_SG_SG_EEES9_SI_JZNS1_25segmented_radix_sort_implINS0_14default_configELb1EPKbPbPKlPlN2at6native12_GLOBAL__N_18offset_tEEE10hipError_tPvRmT1_PNSt15iterator_traitsIS12_E10value_typeET2_T3_PNS13_IS18_E10value_typeET4_jRbjT5_S1E_jjP12ihipStream_tbEUljE_ZNSN_ISO_Lb1ESQ_SR_ST_SU_SY_EESZ_S10_S11_S12_S16_S17_S18_S1B_S1C_jS1D_jS1E_S1E_jjS1G_bEUljE0_EEESZ_S10_S11_S18_S1C_S1E_T6_T7_T9_mT8_S1G_bDpT10_ENKUlT_T0_E_clISt17integral_constantIbLb1EES1U_EEDaS1P_S1Q_EUlS1P_E_NS1_11comp_targetILNS1_3genE8ELNS1_11target_archE1030ELNS1_3gpuE2ELNS1_3repE0EEENS1_30default_config_static_selectorELNS0_4arch9wavefront6targetE0EEEvS12_, .Lfunc_end1483-_ZN7rocprim17ROCPRIM_400000_NS6detail17trampoline_kernelINS0_13select_configILj256ELj13ELNS0_17block_load_methodE3ELS4_3ELS4_3ELNS0_20block_scan_algorithmE0ELj4294967295EEENS1_25partition_config_selectorILNS1_17partition_subalgoE4EjNS0_10empty_typeEbEEZZNS1_14partition_implILS8_4ELb0ES6_15HIP_vector_typeIjLj2EENS0_17counting_iteratorIjlEEPS9_SG_NS0_5tupleIJPjSI_NS0_16reverse_iteratorISI_EEEEENSH_IJSG_SG_SG_EEES9_SI_JZNS1_25segmented_radix_sort_implINS0_14default_configELb1EPKbPbPKlPlN2at6native12_GLOBAL__N_18offset_tEEE10hipError_tPvRmT1_PNSt15iterator_traitsIS12_E10value_typeET2_T3_PNS13_IS18_E10value_typeET4_jRbjT5_S1E_jjP12ihipStream_tbEUljE_ZNSN_ISO_Lb1ESQ_SR_ST_SU_SY_EESZ_S10_S11_S12_S16_S17_S18_S1B_S1C_jS1D_jS1E_S1E_jjS1G_bEUljE0_EEESZ_S10_S11_S18_S1C_S1E_T6_T7_T9_mT8_S1G_bDpT10_ENKUlT_T0_E_clISt17integral_constantIbLb1EES1U_EEDaS1P_S1Q_EUlS1P_E_NS1_11comp_targetILNS1_3genE8ELNS1_11target_archE1030ELNS1_3gpuE2ELNS1_3repE0EEENS1_30default_config_static_selectorELNS0_4arch9wavefront6targetE0EEEvS12_
                                        ; -- End function
	.section	.AMDGPU.csdata,"",@progbits
; Kernel info:
; codeLenInByte = 0
; NumSgprs: 0
; NumVgprs: 0
; ScratchSize: 0
; MemoryBound: 0
; FloatMode: 240
; IeeeMode: 1
; LDSByteSize: 0 bytes/workgroup (compile time only)
; SGPRBlocks: 0
; VGPRBlocks: 0
; NumSGPRsForWavesPerEU: 1
; NumVGPRsForWavesPerEU: 1
; Occupancy: 16
; WaveLimiterHint : 0
; COMPUTE_PGM_RSRC2:SCRATCH_EN: 0
; COMPUTE_PGM_RSRC2:USER_SGPR: 15
; COMPUTE_PGM_RSRC2:TRAP_HANDLER: 0
; COMPUTE_PGM_RSRC2:TGID_X_EN: 1
; COMPUTE_PGM_RSRC2:TGID_Y_EN: 0
; COMPUTE_PGM_RSRC2:TGID_Z_EN: 0
; COMPUTE_PGM_RSRC2:TIDIG_COMP_CNT: 0
	.section	.text._ZN7rocprim17ROCPRIM_400000_NS6detail17trampoline_kernelINS0_13select_configILj256ELj13ELNS0_17block_load_methodE3ELS4_3ELS4_3ELNS0_20block_scan_algorithmE0ELj4294967295EEENS1_25partition_config_selectorILNS1_17partition_subalgoE4EjNS0_10empty_typeEbEEZZNS1_14partition_implILS8_4ELb0ES6_15HIP_vector_typeIjLj2EENS0_17counting_iteratorIjlEEPS9_SG_NS0_5tupleIJPjSI_NS0_16reverse_iteratorISI_EEEEENSH_IJSG_SG_SG_EEES9_SI_JZNS1_25segmented_radix_sort_implINS0_14default_configELb1EPKbPbPKlPlN2at6native12_GLOBAL__N_18offset_tEEE10hipError_tPvRmT1_PNSt15iterator_traitsIS12_E10value_typeET2_T3_PNS13_IS18_E10value_typeET4_jRbjT5_S1E_jjP12ihipStream_tbEUljE_ZNSN_ISO_Lb1ESQ_SR_ST_SU_SY_EESZ_S10_S11_S12_S16_S17_S18_S1B_S1C_jS1D_jS1E_S1E_jjS1G_bEUljE0_EEESZ_S10_S11_S18_S1C_S1E_T6_T7_T9_mT8_S1G_bDpT10_ENKUlT_T0_E_clISt17integral_constantIbLb1EES1T_IbLb0EEEEDaS1P_S1Q_EUlS1P_E_NS1_11comp_targetILNS1_3genE0ELNS1_11target_archE4294967295ELNS1_3gpuE0ELNS1_3repE0EEENS1_30default_config_static_selectorELNS0_4arch9wavefront6targetE0EEEvS12_,"axG",@progbits,_ZN7rocprim17ROCPRIM_400000_NS6detail17trampoline_kernelINS0_13select_configILj256ELj13ELNS0_17block_load_methodE3ELS4_3ELS4_3ELNS0_20block_scan_algorithmE0ELj4294967295EEENS1_25partition_config_selectorILNS1_17partition_subalgoE4EjNS0_10empty_typeEbEEZZNS1_14partition_implILS8_4ELb0ES6_15HIP_vector_typeIjLj2EENS0_17counting_iteratorIjlEEPS9_SG_NS0_5tupleIJPjSI_NS0_16reverse_iteratorISI_EEEEENSH_IJSG_SG_SG_EEES9_SI_JZNS1_25segmented_radix_sort_implINS0_14default_configELb1EPKbPbPKlPlN2at6native12_GLOBAL__N_18offset_tEEE10hipError_tPvRmT1_PNSt15iterator_traitsIS12_E10value_typeET2_T3_PNS13_IS18_E10value_typeET4_jRbjT5_S1E_jjP12ihipStream_tbEUljE_ZNSN_ISO_Lb1ESQ_SR_ST_SU_SY_EESZ_S10_S11_S12_S16_S17_S18_S1B_S1C_jS1D_jS1E_S1E_jjS1G_bEUljE0_EEESZ_S10_S11_S18_S1C_S1E_T6_T7_T9_mT8_S1G_bDpT10_ENKUlT_T0_E_clISt17integral_constantIbLb1EES1T_IbLb0EEEEDaS1P_S1Q_EUlS1P_E_NS1_11comp_targetILNS1_3genE0ELNS1_11target_archE4294967295ELNS1_3gpuE0ELNS1_3repE0EEENS1_30default_config_static_selectorELNS0_4arch9wavefront6targetE0EEEvS12_,comdat
	.globl	_ZN7rocprim17ROCPRIM_400000_NS6detail17trampoline_kernelINS0_13select_configILj256ELj13ELNS0_17block_load_methodE3ELS4_3ELS4_3ELNS0_20block_scan_algorithmE0ELj4294967295EEENS1_25partition_config_selectorILNS1_17partition_subalgoE4EjNS0_10empty_typeEbEEZZNS1_14partition_implILS8_4ELb0ES6_15HIP_vector_typeIjLj2EENS0_17counting_iteratorIjlEEPS9_SG_NS0_5tupleIJPjSI_NS0_16reverse_iteratorISI_EEEEENSH_IJSG_SG_SG_EEES9_SI_JZNS1_25segmented_radix_sort_implINS0_14default_configELb1EPKbPbPKlPlN2at6native12_GLOBAL__N_18offset_tEEE10hipError_tPvRmT1_PNSt15iterator_traitsIS12_E10value_typeET2_T3_PNS13_IS18_E10value_typeET4_jRbjT5_S1E_jjP12ihipStream_tbEUljE_ZNSN_ISO_Lb1ESQ_SR_ST_SU_SY_EESZ_S10_S11_S12_S16_S17_S18_S1B_S1C_jS1D_jS1E_S1E_jjS1G_bEUljE0_EEESZ_S10_S11_S18_S1C_S1E_T6_T7_T9_mT8_S1G_bDpT10_ENKUlT_T0_E_clISt17integral_constantIbLb1EES1T_IbLb0EEEEDaS1P_S1Q_EUlS1P_E_NS1_11comp_targetILNS1_3genE0ELNS1_11target_archE4294967295ELNS1_3gpuE0ELNS1_3repE0EEENS1_30default_config_static_selectorELNS0_4arch9wavefront6targetE0EEEvS12_ ; -- Begin function _ZN7rocprim17ROCPRIM_400000_NS6detail17trampoline_kernelINS0_13select_configILj256ELj13ELNS0_17block_load_methodE3ELS4_3ELS4_3ELNS0_20block_scan_algorithmE0ELj4294967295EEENS1_25partition_config_selectorILNS1_17partition_subalgoE4EjNS0_10empty_typeEbEEZZNS1_14partition_implILS8_4ELb0ES6_15HIP_vector_typeIjLj2EENS0_17counting_iteratorIjlEEPS9_SG_NS0_5tupleIJPjSI_NS0_16reverse_iteratorISI_EEEEENSH_IJSG_SG_SG_EEES9_SI_JZNS1_25segmented_radix_sort_implINS0_14default_configELb1EPKbPbPKlPlN2at6native12_GLOBAL__N_18offset_tEEE10hipError_tPvRmT1_PNSt15iterator_traitsIS12_E10value_typeET2_T3_PNS13_IS18_E10value_typeET4_jRbjT5_S1E_jjP12ihipStream_tbEUljE_ZNSN_ISO_Lb1ESQ_SR_ST_SU_SY_EESZ_S10_S11_S12_S16_S17_S18_S1B_S1C_jS1D_jS1E_S1E_jjS1G_bEUljE0_EEESZ_S10_S11_S18_S1C_S1E_T6_T7_T9_mT8_S1G_bDpT10_ENKUlT_T0_E_clISt17integral_constantIbLb1EES1T_IbLb0EEEEDaS1P_S1Q_EUlS1P_E_NS1_11comp_targetILNS1_3genE0ELNS1_11target_archE4294967295ELNS1_3gpuE0ELNS1_3repE0EEENS1_30default_config_static_selectorELNS0_4arch9wavefront6targetE0EEEvS12_
	.p2align	8
	.type	_ZN7rocprim17ROCPRIM_400000_NS6detail17trampoline_kernelINS0_13select_configILj256ELj13ELNS0_17block_load_methodE3ELS4_3ELS4_3ELNS0_20block_scan_algorithmE0ELj4294967295EEENS1_25partition_config_selectorILNS1_17partition_subalgoE4EjNS0_10empty_typeEbEEZZNS1_14partition_implILS8_4ELb0ES6_15HIP_vector_typeIjLj2EENS0_17counting_iteratorIjlEEPS9_SG_NS0_5tupleIJPjSI_NS0_16reverse_iteratorISI_EEEEENSH_IJSG_SG_SG_EEES9_SI_JZNS1_25segmented_radix_sort_implINS0_14default_configELb1EPKbPbPKlPlN2at6native12_GLOBAL__N_18offset_tEEE10hipError_tPvRmT1_PNSt15iterator_traitsIS12_E10value_typeET2_T3_PNS13_IS18_E10value_typeET4_jRbjT5_S1E_jjP12ihipStream_tbEUljE_ZNSN_ISO_Lb1ESQ_SR_ST_SU_SY_EESZ_S10_S11_S12_S16_S17_S18_S1B_S1C_jS1D_jS1E_S1E_jjS1G_bEUljE0_EEESZ_S10_S11_S18_S1C_S1E_T6_T7_T9_mT8_S1G_bDpT10_ENKUlT_T0_E_clISt17integral_constantIbLb1EES1T_IbLb0EEEEDaS1P_S1Q_EUlS1P_E_NS1_11comp_targetILNS1_3genE0ELNS1_11target_archE4294967295ELNS1_3gpuE0ELNS1_3repE0EEENS1_30default_config_static_selectorELNS0_4arch9wavefront6targetE0EEEvS12_,@function
_ZN7rocprim17ROCPRIM_400000_NS6detail17trampoline_kernelINS0_13select_configILj256ELj13ELNS0_17block_load_methodE3ELS4_3ELS4_3ELNS0_20block_scan_algorithmE0ELj4294967295EEENS1_25partition_config_selectorILNS1_17partition_subalgoE4EjNS0_10empty_typeEbEEZZNS1_14partition_implILS8_4ELb0ES6_15HIP_vector_typeIjLj2EENS0_17counting_iteratorIjlEEPS9_SG_NS0_5tupleIJPjSI_NS0_16reverse_iteratorISI_EEEEENSH_IJSG_SG_SG_EEES9_SI_JZNS1_25segmented_radix_sort_implINS0_14default_configELb1EPKbPbPKlPlN2at6native12_GLOBAL__N_18offset_tEEE10hipError_tPvRmT1_PNSt15iterator_traitsIS12_E10value_typeET2_T3_PNS13_IS18_E10value_typeET4_jRbjT5_S1E_jjP12ihipStream_tbEUljE_ZNSN_ISO_Lb1ESQ_SR_ST_SU_SY_EESZ_S10_S11_S12_S16_S17_S18_S1B_S1C_jS1D_jS1E_S1E_jjS1G_bEUljE0_EEESZ_S10_S11_S18_S1C_S1E_T6_T7_T9_mT8_S1G_bDpT10_ENKUlT_T0_E_clISt17integral_constantIbLb1EES1T_IbLb0EEEEDaS1P_S1Q_EUlS1P_E_NS1_11comp_targetILNS1_3genE0ELNS1_11target_archE4294967295ELNS1_3gpuE0ELNS1_3repE0EEENS1_30default_config_static_selectorELNS0_4arch9wavefront6targetE0EEEvS12_: ; @_ZN7rocprim17ROCPRIM_400000_NS6detail17trampoline_kernelINS0_13select_configILj256ELj13ELNS0_17block_load_methodE3ELS4_3ELS4_3ELNS0_20block_scan_algorithmE0ELj4294967295EEENS1_25partition_config_selectorILNS1_17partition_subalgoE4EjNS0_10empty_typeEbEEZZNS1_14partition_implILS8_4ELb0ES6_15HIP_vector_typeIjLj2EENS0_17counting_iteratorIjlEEPS9_SG_NS0_5tupleIJPjSI_NS0_16reverse_iteratorISI_EEEEENSH_IJSG_SG_SG_EEES9_SI_JZNS1_25segmented_radix_sort_implINS0_14default_configELb1EPKbPbPKlPlN2at6native12_GLOBAL__N_18offset_tEEE10hipError_tPvRmT1_PNSt15iterator_traitsIS12_E10value_typeET2_T3_PNS13_IS18_E10value_typeET4_jRbjT5_S1E_jjP12ihipStream_tbEUljE_ZNSN_ISO_Lb1ESQ_SR_ST_SU_SY_EESZ_S10_S11_S12_S16_S17_S18_S1B_S1C_jS1D_jS1E_S1E_jjS1G_bEUljE0_EEESZ_S10_S11_S18_S1C_S1E_T6_T7_T9_mT8_S1G_bDpT10_ENKUlT_T0_E_clISt17integral_constantIbLb1EES1T_IbLb0EEEEDaS1P_S1Q_EUlS1P_E_NS1_11comp_targetILNS1_3genE0ELNS1_11target_archE4294967295ELNS1_3gpuE0ELNS1_3repE0EEENS1_30default_config_static_selectorELNS0_4arch9wavefront6targetE0EEEvS12_
; %bb.0:
	.section	.rodata,"a",@progbits
	.p2align	6, 0x0
	.amdhsa_kernel _ZN7rocprim17ROCPRIM_400000_NS6detail17trampoline_kernelINS0_13select_configILj256ELj13ELNS0_17block_load_methodE3ELS4_3ELS4_3ELNS0_20block_scan_algorithmE0ELj4294967295EEENS1_25partition_config_selectorILNS1_17partition_subalgoE4EjNS0_10empty_typeEbEEZZNS1_14partition_implILS8_4ELb0ES6_15HIP_vector_typeIjLj2EENS0_17counting_iteratorIjlEEPS9_SG_NS0_5tupleIJPjSI_NS0_16reverse_iteratorISI_EEEEENSH_IJSG_SG_SG_EEES9_SI_JZNS1_25segmented_radix_sort_implINS0_14default_configELb1EPKbPbPKlPlN2at6native12_GLOBAL__N_18offset_tEEE10hipError_tPvRmT1_PNSt15iterator_traitsIS12_E10value_typeET2_T3_PNS13_IS18_E10value_typeET4_jRbjT5_S1E_jjP12ihipStream_tbEUljE_ZNSN_ISO_Lb1ESQ_SR_ST_SU_SY_EESZ_S10_S11_S12_S16_S17_S18_S1B_S1C_jS1D_jS1E_S1E_jjS1G_bEUljE0_EEESZ_S10_S11_S18_S1C_S1E_T6_T7_T9_mT8_S1G_bDpT10_ENKUlT_T0_E_clISt17integral_constantIbLb1EES1T_IbLb0EEEEDaS1P_S1Q_EUlS1P_E_NS1_11comp_targetILNS1_3genE0ELNS1_11target_archE4294967295ELNS1_3gpuE0ELNS1_3repE0EEENS1_30default_config_static_selectorELNS0_4arch9wavefront6targetE0EEEvS12_
		.amdhsa_group_segment_fixed_size 0
		.amdhsa_private_segment_fixed_size 0
		.amdhsa_kernarg_size 176
		.amdhsa_user_sgpr_count 15
		.amdhsa_user_sgpr_dispatch_ptr 0
		.amdhsa_user_sgpr_queue_ptr 0
		.amdhsa_user_sgpr_kernarg_segment_ptr 1
		.amdhsa_user_sgpr_dispatch_id 0
		.amdhsa_user_sgpr_private_segment_size 0
		.amdhsa_wavefront_size32 1
		.amdhsa_uses_dynamic_stack 0
		.amdhsa_enable_private_segment 0
		.amdhsa_system_sgpr_workgroup_id_x 1
		.amdhsa_system_sgpr_workgroup_id_y 0
		.amdhsa_system_sgpr_workgroup_id_z 0
		.amdhsa_system_sgpr_workgroup_info 0
		.amdhsa_system_vgpr_workitem_id 0
		.amdhsa_next_free_vgpr 1
		.amdhsa_next_free_sgpr 1
		.amdhsa_reserve_vcc 0
		.amdhsa_float_round_mode_32 0
		.amdhsa_float_round_mode_16_64 0
		.amdhsa_float_denorm_mode_32 3
		.amdhsa_float_denorm_mode_16_64 3
		.amdhsa_dx10_clamp 1
		.amdhsa_ieee_mode 1
		.amdhsa_fp16_overflow 0
		.amdhsa_workgroup_processor_mode 1
		.amdhsa_memory_ordered 1
		.amdhsa_forward_progress 0
		.amdhsa_shared_vgpr_count 0
		.amdhsa_exception_fp_ieee_invalid_op 0
		.amdhsa_exception_fp_denorm_src 0
		.amdhsa_exception_fp_ieee_div_zero 0
		.amdhsa_exception_fp_ieee_overflow 0
		.amdhsa_exception_fp_ieee_underflow 0
		.amdhsa_exception_fp_ieee_inexact 0
		.amdhsa_exception_int_div_zero 0
	.end_amdhsa_kernel
	.section	.text._ZN7rocprim17ROCPRIM_400000_NS6detail17trampoline_kernelINS0_13select_configILj256ELj13ELNS0_17block_load_methodE3ELS4_3ELS4_3ELNS0_20block_scan_algorithmE0ELj4294967295EEENS1_25partition_config_selectorILNS1_17partition_subalgoE4EjNS0_10empty_typeEbEEZZNS1_14partition_implILS8_4ELb0ES6_15HIP_vector_typeIjLj2EENS0_17counting_iteratorIjlEEPS9_SG_NS0_5tupleIJPjSI_NS0_16reverse_iteratorISI_EEEEENSH_IJSG_SG_SG_EEES9_SI_JZNS1_25segmented_radix_sort_implINS0_14default_configELb1EPKbPbPKlPlN2at6native12_GLOBAL__N_18offset_tEEE10hipError_tPvRmT1_PNSt15iterator_traitsIS12_E10value_typeET2_T3_PNS13_IS18_E10value_typeET4_jRbjT5_S1E_jjP12ihipStream_tbEUljE_ZNSN_ISO_Lb1ESQ_SR_ST_SU_SY_EESZ_S10_S11_S12_S16_S17_S18_S1B_S1C_jS1D_jS1E_S1E_jjS1G_bEUljE0_EEESZ_S10_S11_S18_S1C_S1E_T6_T7_T9_mT8_S1G_bDpT10_ENKUlT_T0_E_clISt17integral_constantIbLb1EES1T_IbLb0EEEEDaS1P_S1Q_EUlS1P_E_NS1_11comp_targetILNS1_3genE0ELNS1_11target_archE4294967295ELNS1_3gpuE0ELNS1_3repE0EEENS1_30default_config_static_selectorELNS0_4arch9wavefront6targetE0EEEvS12_,"axG",@progbits,_ZN7rocprim17ROCPRIM_400000_NS6detail17trampoline_kernelINS0_13select_configILj256ELj13ELNS0_17block_load_methodE3ELS4_3ELS4_3ELNS0_20block_scan_algorithmE0ELj4294967295EEENS1_25partition_config_selectorILNS1_17partition_subalgoE4EjNS0_10empty_typeEbEEZZNS1_14partition_implILS8_4ELb0ES6_15HIP_vector_typeIjLj2EENS0_17counting_iteratorIjlEEPS9_SG_NS0_5tupleIJPjSI_NS0_16reverse_iteratorISI_EEEEENSH_IJSG_SG_SG_EEES9_SI_JZNS1_25segmented_radix_sort_implINS0_14default_configELb1EPKbPbPKlPlN2at6native12_GLOBAL__N_18offset_tEEE10hipError_tPvRmT1_PNSt15iterator_traitsIS12_E10value_typeET2_T3_PNS13_IS18_E10value_typeET4_jRbjT5_S1E_jjP12ihipStream_tbEUljE_ZNSN_ISO_Lb1ESQ_SR_ST_SU_SY_EESZ_S10_S11_S12_S16_S17_S18_S1B_S1C_jS1D_jS1E_S1E_jjS1G_bEUljE0_EEESZ_S10_S11_S18_S1C_S1E_T6_T7_T9_mT8_S1G_bDpT10_ENKUlT_T0_E_clISt17integral_constantIbLb1EES1T_IbLb0EEEEDaS1P_S1Q_EUlS1P_E_NS1_11comp_targetILNS1_3genE0ELNS1_11target_archE4294967295ELNS1_3gpuE0ELNS1_3repE0EEENS1_30default_config_static_selectorELNS0_4arch9wavefront6targetE0EEEvS12_,comdat
.Lfunc_end1484:
	.size	_ZN7rocprim17ROCPRIM_400000_NS6detail17trampoline_kernelINS0_13select_configILj256ELj13ELNS0_17block_load_methodE3ELS4_3ELS4_3ELNS0_20block_scan_algorithmE0ELj4294967295EEENS1_25partition_config_selectorILNS1_17partition_subalgoE4EjNS0_10empty_typeEbEEZZNS1_14partition_implILS8_4ELb0ES6_15HIP_vector_typeIjLj2EENS0_17counting_iteratorIjlEEPS9_SG_NS0_5tupleIJPjSI_NS0_16reverse_iteratorISI_EEEEENSH_IJSG_SG_SG_EEES9_SI_JZNS1_25segmented_radix_sort_implINS0_14default_configELb1EPKbPbPKlPlN2at6native12_GLOBAL__N_18offset_tEEE10hipError_tPvRmT1_PNSt15iterator_traitsIS12_E10value_typeET2_T3_PNS13_IS18_E10value_typeET4_jRbjT5_S1E_jjP12ihipStream_tbEUljE_ZNSN_ISO_Lb1ESQ_SR_ST_SU_SY_EESZ_S10_S11_S12_S16_S17_S18_S1B_S1C_jS1D_jS1E_S1E_jjS1G_bEUljE0_EEESZ_S10_S11_S18_S1C_S1E_T6_T7_T9_mT8_S1G_bDpT10_ENKUlT_T0_E_clISt17integral_constantIbLb1EES1T_IbLb0EEEEDaS1P_S1Q_EUlS1P_E_NS1_11comp_targetILNS1_3genE0ELNS1_11target_archE4294967295ELNS1_3gpuE0ELNS1_3repE0EEENS1_30default_config_static_selectorELNS0_4arch9wavefront6targetE0EEEvS12_, .Lfunc_end1484-_ZN7rocprim17ROCPRIM_400000_NS6detail17trampoline_kernelINS0_13select_configILj256ELj13ELNS0_17block_load_methodE3ELS4_3ELS4_3ELNS0_20block_scan_algorithmE0ELj4294967295EEENS1_25partition_config_selectorILNS1_17partition_subalgoE4EjNS0_10empty_typeEbEEZZNS1_14partition_implILS8_4ELb0ES6_15HIP_vector_typeIjLj2EENS0_17counting_iteratorIjlEEPS9_SG_NS0_5tupleIJPjSI_NS0_16reverse_iteratorISI_EEEEENSH_IJSG_SG_SG_EEES9_SI_JZNS1_25segmented_radix_sort_implINS0_14default_configELb1EPKbPbPKlPlN2at6native12_GLOBAL__N_18offset_tEEE10hipError_tPvRmT1_PNSt15iterator_traitsIS12_E10value_typeET2_T3_PNS13_IS18_E10value_typeET4_jRbjT5_S1E_jjP12ihipStream_tbEUljE_ZNSN_ISO_Lb1ESQ_SR_ST_SU_SY_EESZ_S10_S11_S12_S16_S17_S18_S1B_S1C_jS1D_jS1E_S1E_jjS1G_bEUljE0_EEESZ_S10_S11_S18_S1C_S1E_T6_T7_T9_mT8_S1G_bDpT10_ENKUlT_T0_E_clISt17integral_constantIbLb1EES1T_IbLb0EEEEDaS1P_S1Q_EUlS1P_E_NS1_11comp_targetILNS1_3genE0ELNS1_11target_archE4294967295ELNS1_3gpuE0ELNS1_3repE0EEENS1_30default_config_static_selectorELNS0_4arch9wavefront6targetE0EEEvS12_
                                        ; -- End function
	.section	.AMDGPU.csdata,"",@progbits
; Kernel info:
; codeLenInByte = 0
; NumSgprs: 0
; NumVgprs: 0
; ScratchSize: 0
; MemoryBound: 0
; FloatMode: 240
; IeeeMode: 1
; LDSByteSize: 0 bytes/workgroup (compile time only)
; SGPRBlocks: 0
; VGPRBlocks: 0
; NumSGPRsForWavesPerEU: 1
; NumVGPRsForWavesPerEU: 1
; Occupancy: 16
; WaveLimiterHint : 0
; COMPUTE_PGM_RSRC2:SCRATCH_EN: 0
; COMPUTE_PGM_RSRC2:USER_SGPR: 15
; COMPUTE_PGM_RSRC2:TRAP_HANDLER: 0
; COMPUTE_PGM_RSRC2:TGID_X_EN: 1
; COMPUTE_PGM_RSRC2:TGID_Y_EN: 0
; COMPUTE_PGM_RSRC2:TGID_Z_EN: 0
; COMPUTE_PGM_RSRC2:TIDIG_COMP_CNT: 0
	.section	.text._ZN7rocprim17ROCPRIM_400000_NS6detail17trampoline_kernelINS0_13select_configILj256ELj13ELNS0_17block_load_methodE3ELS4_3ELS4_3ELNS0_20block_scan_algorithmE0ELj4294967295EEENS1_25partition_config_selectorILNS1_17partition_subalgoE4EjNS0_10empty_typeEbEEZZNS1_14partition_implILS8_4ELb0ES6_15HIP_vector_typeIjLj2EENS0_17counting_iteratorIjlEEPS9_SG_NS0_5tupleIJPjSI_NS0_16reverse_iteratorISI_EEEEENSH_IJSG_SG_SG_EEES9_SI_JZNS1_25segmented_radix_sort_implINS0_14default_configELb1EPKbPbPKlPlN2at6native12_GLOBAL__N_18offset_tEEE10hipError_tPvRmT1_PNSt15iterator_traitsIS12_E10value_typeET2_T3_PNS13_IS18_E10value_typeET4_jRbjT5_S1E_jjP12ihipStream_tbEUljE_ZNSN_ISO_Lb1ESQ_SR_ST_SU_SY_EESZ_S10_S11_S12_S16_S17_S18_S1B_S1C_jS1D_jS1E_S1E_jjS1G_bEUljE0_EEESZ_S10_S11_S18_S1C_S1E_T6_T7_T9_mT8_S1G_bDpT10_ENKUlT_T0_E_clISt17integral_constantIbLb1EES1T_IbLb0EEEEDaS1P_S1Q_EUlS1P_E_NS1_11comp_targetILNS1_3genE5ELNS1_11target_archE942ELNS1_3gpuE9ELNS1_3repE0EEENS1_30default_config_static_selectorELNS0_4arch9wavefront6targetE0EEEvS12_,"axG",@progbits,_ZN7rocprim17ROCPRIM_400000_NS6detail17trampoline_kernelINS0_13select_configILj256ELj13ELNS0_17block_load_methodE3ELS4_3ELS4_3ELNS0_20block_scan_algorithmE0ELj4294967295EEENS1_25partition_config_selectorILNS1_17partition_subalgoE4EjNS0_10empty_typeEbEEZZNS1_14partition_implILS8_4ELb0ES6_15HIP_vector_typeIjLj2EENS0_17counting_iteratorIjlEEPS9_SG_NS0_5tupleIJPjSI_NS0_16reverse_iteratorISI_EEEEENSH_IJSG_SG_SG_EEES9_SI_JZNS1_25segmented_radix_sort_implINS0_14default_configELb1EPKbPbPKlPlN2at6native12_GLOBAL__N_18offset_tEEE10hipError_tPvRmT1_PNSt15iterator_traitsIS12_E10value_typeET2_T3_PNS13_IS18_E10value_typeET4_jRbjT5_S1E_jjP12ihipStream_tbEUljE_ZNSN_ISO_Lb1ESQ_SR_ST_SU_SY_EESZ_S10_S11_S12_S16_S17_S18_S1B_S1C_jS1D_jS1E_S1E_jjS1G_bEUljE0_EEESZ_S10_S11_S18_S1C_S1E_T6_T7_T9_mT8_S1G_bDpT10_ENKUlT_T0_E_clISt17integral_constantIbLb1EES1T_IbLb0EEEEDaS1P_S1Q_EUlS1P_E_NS1_11comp_targetILNS1_3genE5ELNS1_11target_archE942ELNS1_3gpuE9ELNS1_3repE0EEENS1_30default_config_static_selectorELNS0_4arch9wavefront6targetE0EEEvS12_,comdat
	.globl	_ZN7rocprim17ROCPRIM_400000_NS6detail17trampoline_kernelINS0_13select_configILj256ELj13ELNS0_17block_load_methodE3ELS4_3ELS4_3ELNS0_20block_scan_algorithmE0ELj4294967295EEENS1_25partition_config_selectorILNS1_17partition_subalgoE4EjNS0_10empty_typeEbEEZZNS1_14partition_implILS8_4ELb0ES6_15HIP_vector_typeIjLj2EENS0_17counting_iteratorIjlEEPS9_SG_NS0_5tupleIJPjSI_NS0_16reverse_iteratorISI_EEEEENSH_IJSG_SG_SG_EEES9_SI_JZNS1_25segmented_radix_sort_implINS0_14default_configELb1EPKbPbPKlPlN2at6native12_GLOBAL__N_18offset_tEEE10hipError_tPvRmT1_PNSt15iterator_traitsIS12_E10value_typeET2_T3_PNS13_IS18_E10value_typeET4_jRbjT5_S1E_jjP12ihipStream_tbEUljE_ZNSN_ISO_Lb1ESQ_SR_ST_SU_SY_EESZ_S10_S11_S12_S16_S17_S18_S1B_S1C_jS1D_jS1E_S1E_jjS1G_bEUljE0_EEESZ_S10_S11_S18_S1C_S1E_T6_T7_T9_mT8_S1G_bDpT10_ENKUlT_T0_E_clISt17integral_constantIbLb1EES1T_IbLb0EEEEDaS1P_S1Q_EUlS1P_E_NS1_11comp_targetILNS1_3genE5ELNS1_11target_archE942ELNS1_3gpuE9ELNS1_3repE0EEENS1_30default_config_static_selectorELNS0_4arch9wavefront6targetE0EEEvS12_ ; -- Begin function _ZN7rocprim17ROCPRIM_400000_NS6detail17trampoline_kernelINS0_13select_configILj256ELj13ELNS0_17block_load_methodE3ELS4_3ELS4_3ELNS0_20block_scan_algorithmE0ELj4294967295EEENS1_25partition_config_selectorILNS1_17partition_subalgoE4EjNS0_10empty_typeEbEEZZNS1_14partition_implILS8_4ELb0ES6_15HIP_vector_typeIjLj2EENS0_17counting_iteratorIjlEEPS9_SG_NS0_5tupleIJPjSI_NS0_16reverse_iteratorISI_EEEEENSH_IJSG_SG_SG_EEES9_SI_JZNS1_25segmented_radix_sort_implINS0_14default_configELb1EPKbPbPKlPlN2at6native12_GLOBAL__N_18offset_tEEE10hipError_tPvRmT1_PNSt15iterator_traitsIS12_E10value_typeET2_T3_PNS13_IS18_E10value_typeET4_jRbjT5_S1E_jjP12ihipStream_tbEUljE_ZNSN_ISO_Lb1ESQ_SR_ST_SU_SY_EESZ_S10_S11_S12_S16_S17_S18_S1B_S1C_jS1D_jS1E_S1E_jjS1G_bEUljE0_EEESZ_S10_S11_S18_S1C_S1E_T6_T7_T9_mT8_S1G_bDpT10_ENKUlT_T0_E_clISt17integral_constantIbLb1EES1T_IbLb0EEEEDaS1P_S1Q_EUlS1P_E_NS1_11comp_targetILNS1_3genE5ELNS1_11target_archE942ELNS1_3gpuE9ELNS1_3repE0EEENS1_30default_config_static_selectorELNS0_4arch9wavefront6targetE0EEEvS12_
	.p2align	8
	.type	_ZN7rocprim17ROCPRIM_400000_NS6detail17trampoline_kernelINS0_13select_configILj256ELj13ELNS0_17block_load_methodE3ELS4_3ELS4_3ELNS0_20block_scan_algorithmE0ELj4294967295EEENS1_25partition_config_selectorILNS1_17partition_subalgoE4EjNS0_10empty_typeEbEEZZNS1_14partition_implILS8_4ELb0ES6_15HIP_vector_typeIjLj2EENS0_17counting_iteratorIjlEEPS9_SG_NS0_5tupleIJPjSI_NS0_16reverse_iteratorISI_EEEEENSH_IJSG_SG_SG_EEES9_SI_JZNS1_25segmented_radix_sort_implINS0_14default_configELb1EPKbPbPKlPlN2at6native12_GLOBAL__N_18offset_tEEE10hipError_tPvRmT1_PNSt15iterator_traitsIS12_E10value_typeET2_T3_PNS13_IS18_E10value_typeET4_jRbjT5_S1E_jjP12ihipStream_tbEUljE_ZNSN_ISO_Lb1ESQ_SR_ST_SU_SY_EESZ_S10_S11_S12_S16_S17_S18_S1B_S1C_jS1D_jS1E_S1E_jjS1G_bEUljE0_EEESZ_S10_S11_S18_S1C_S1E_T6_T7_T9_mT8_S1G_bDpT10_ENKUlT_T0_E_clISt17integral_constantIbLb1EES1T_IbLb0EEEEDaS1P_S1Q_EUlS1P_E_NS1_11comp_targetILNS1_3genE5ELNS1_11target_archE942ELNS1_3gpuE9ELNS1_3repE0EEENS1_30default_config_static_selectorELNS0_4arch9wavefront6targetE0EEEvS12_,@function
_ZN7rocprim17ROCPRIM_400000_NS6detail17trampoline_kernelINS0_13select_configILj256ELj13ELNS0_17block_load_methodE3ELS4_3ELS4_3ELNS0_20block_scan_algorithmE0ELj4294967295EEENS1_25partition_config_selectorILNS1_17partition_subalgoE4EjNS0_10empty_typeEbEEZZNS1_14partition_implILS8_4ELb0ES6_15HIP_vector_typeIjLj2EENS0_17counting_iteratorIjlEEPS9_SG_NS0_5tupleIJPjSI_NS0_16reverse_iteratorISI_EEEEENSH_IJSG_SG_SG_EEES9_SI_JZNS1_25segmented_radix_sort_implINS0_14default_configELb1EPKbPbPKlPlN2at6native12_GLOBAL__N_18offset_tEEE10hipError_tPvRmT1_PNSt15iterator_traitsIS12_E10value_typeET2_T3_PNS13_IS18_E10value_typeET4_jRbjT5_S1E_jjP12ihipStream_tbEUljE_ZNSN_ISO_Lb1ESQ_SR_ST_SU_SY_EESZ_S10_S11_S12_S16_S17_S18_S1B_S1C_jS1D_jS1E_S1E_jjS1G_bEUljE0_EEESZ_S10_S11_S18_S1C_S1E_T6_T7_T9_mT8_S1G_bDpT10_ENKUlT_T0_E_clISt17integral_constantIbLb1EES1T_IbLb0EEEEDaS1P_S1Q_EUlS1P_E_NS1_11comp_targetILNS1_3genE5ELNS1_11target_archE942ELNS1_3gpuE9ELNS1_3repE0EEENS1_30default_config_static_selectorELNS0_4arch9wavefront6targetE0EEEvS12_: ; @_ZN7rocprim17ROCPRIM_400000_NS6detail17trampoline_kernelINS0_13select_configILj256ELj13ELNS0_17block_load_methodE3ELS4_3ELS4_3ELNS0_20block_scan_algorithmE0ELj4294967295EEENS1_25partition_config_selectorILNS1_17partition_subalgoE4EjNS0_10empty_typeEbEEZZNS1_14partition_implILS8_4ELb0ES6_15HIP_vector_typeIjLj2EENS0_17counting_iteratorIjlEEPS9_SG_NS0_5tupleIJPjSI_NS0_16reverse_iteratorISI_EEEEENSH_IJSG_SG_SG_EEES9_SI_JZNS1_25segmented_radix_sort_implINS0_14default_configELb1EPKbPbPKlPlN2at6native12_GLOBAL__N_18offset_tEEE10hipError_tPvRmT1_PNSt15iterator_traitsIS12_E10value_typeET2_T3_PNS13_IS18_E10value_typeET4_jRbjT5_S1E_jjP12ihipStream_tbEUljE_ZNSN_ISO_Lb1ESQ_SR_ST_SU_SY_EESZ_S10_S11_S12_S16_S17_S18_S1B_S1C_jS1D_jS1E_S1E_jjS1G_bEUljE0_EEESZ_S10_S11_S18_S1C_S1E_T6_T7_T9_mT8_S1G_bDpT10_ENKUlT_T0_E_clISt17integral_constantIbLb1EES1T_IbLb0EEEEDaS1P_S1Q_EUlS1P_E_NS1_11comp_targetILNS1_3genE5ELNS1_11target_archE942ELNS1_3gpuE9ELNS1_3repE0EEENS1_30default_config_static_selectorELNS0_4arch9wavefront6targetE0EEEvS12_
; %bb.0:
	.section	.rodata,"a",@progbits
	.p2align	6, 0x0
	.amdhsa_kernel _ZN7rocprim17ROCPRIM_400000_NS6detail17trampoline_kernelINS0_13select_configILj256ELj13ELNS0_17block_load_methodE3ELS4_3ELS4_3ELNS0_20block_scan_algorithmE0ELj4294967295EEENS1_25partition_config_selectorILNS1_17partition_subalgoE4EjNS0_10empty_typeEbEEZZNS1_14partition_implILS8_4ELb0ES6_15HIP_vector_typeIjLj2EENS0_17counting_iteratorIjlEEPS9_SG_NS0_5tupleIJPjSI_NS0_16reverse_iteratorISI_EEEEENSH_IJSG_SG_SG_EEES9_SI_JZNS1_25segmented_radix_sort_implINS0_14default_configELb1EPKbPbPKlPlN2at6native12_GLOBAL__N_18offset_tEEE10hipError_tPvRmT1_PNSt15iterator_traitsIS12_E10value_typeET2_T3_PNS13_IS18_E10value_typeET4_jRbjT5_S1E_jjP12ihipStream_tbEUljE_ZNSN_ISO_Lb1ESQ_SR_ST_SU_SY_EESZ_S10_S11_S12_S16_S17_S18_S1B_S1C_jS1D_jS1E_S1E_jjS1G_bEUljE0_EEESZ_S10_S11_S18_S1C_S1E_T6_T7_T9_mT8_S1G_bDpT10_ENKUlT_T0_E_clISt17integral_constantIbLb1EES1T_IbLb0EEEEDaS1P_S1Q_EUlS1P_E_NS1_11comp_targetILNS1_3genE5ELNS1_11target_archE942ELNS1_3gpuE9ELNS1_3repE0EEENS1_30default_config_static_selectorELNS0_4arch9wavefront6targetE0EEEvS12_
		.amdhsa_group_segment_fixed_size 0
		.amdhsa_private_segment_fixed_size 0
		.amdhsa_kernarg_size 176
		.amdhsa_user_sgpr_count 15
		.amdhsa_user_sgpr_dispatch_ptr 0
		.amdhsa_user_sgpr_queue_ptr 0
		.amdhsa_user_sgpr_kernarg_segment_ptr 1
		.amdhsa_user_sgpr_dispatch_id 0
		.amdhsa_user_sgpr_private_segment_size 0
		.amdhsa_wavefront_size32 1
		.amdhsa_uses_dynamic_stack 0
		.amdhsa_enable_private_segment 0
		.amdhsa_system_sgpr_workgroup_id_x 1
		.amdhsa_system_sgpr_workgroup_id_y 0
		.amdhsa_system_sgpr_workgroup_id_z 0
		.amdhsa_system_sgpr_workgroup_info 0
		.amdhsa_system_vgpr_workitem_id 0
		.amdhsa_next_free_vgpr 1
		.amdhsa_next_free_sgpr 1
		.amdhsa_reserve_vcc 0
		.amdhsa_float_round_mode_32 0
		.amdhsa_float_round_mode_16_64 0
		.amdhsa_float_denorm_mode_32 3
		.amdhsa_float_denorm_mode_16_64 3
		.amdhsa_dx10_clamp 1
		.amdhsa_ieee_mode 1
		.amdhsa_fp16_overflow 0
		.amdhsa_workgroup_processor_mode 1
		.amdhsa_memory_ordered 1
		.amdhsa_forward_progress 0
		.amdhsa_shared_vgpr_count 0
		.amdhsa_exception_fp_ieee_invalid_op 0
		.amdhsa_exception_fp_denorm_src 0
		.amdhsa_exception_fp_ieee_div_zero 0
		.amdhsa_exception_fp_ieee_overflow 0
		.amdhsa_exception_fp_ieee_underflow 0
		.amdhsa_exception_fp_ieee_inexact 0
		.amdhsa_exception_int_div_zero 0
	.end_amdhsa_kernel
	.section	.text._ZN7rocprim17ROCPRIM_400000_NS6detail17trampoline_kernelINS0_13select_configILj256ELj13ELNS0_17block_load_methodE3ELS4_3ELS4_3ELNS0_20block_scan_algorithmE0ELj4294967295EEENS1_25partition_config_selectorILNS1_17partition_subalgoE4EjNS0_10empty_typeEbEEZZNS1_14partition_implILS8_4ELb0ES6_15HIP_vector_typeIjLj2EENS0_17counting_iteratorIjlEEPS9_SG_NS0_5tupleIJPjSI_NS0_16reverse_iteratorISI_EEEEENSH_IJSG_SG_SG_EEES9_SI_JZNS1_25segmented_radix_sort_implINS0_14default_configELb1EPKbPbPKlPlN2at6native12_GLOBAL__N_18offset_tEEE10hipError_tPvRmT1_PNSt15iterator_traitsIS12_E10value_typeET2_T3_PNS13_IS18_E10value_typeET4_jRbjT5_S1E_jjP12ihipStream_tbEUljE_ZNSN_ISO_Lb1ESQ_SR_ST_SU_SY_EESZ_S10_S11_S12_S16_S17_S18_S1B_S1C_jS1D_jS1E_S1E_jjS1G_bEUljE0_EEESZ_S10_S11_S18_S1C_S1E_T6_T7_T9_mT8_S1G_bDpT10_ENKUlT_T0_E_clISt17integral_constantIbLb1EES1T_IbLb0EEEEDaS1P_S1Q_EUlS1P_E_NS1_11comp_targetILNS1_3genE5ELNS1_11target_archE942ELNS1_3gpuE9ELNS1_3repE0EEENS1_30default_config_static_selectorELNS0_4arch9wavefront6targetE0EEEvS12_,"axG",@progbits,_ZN7rocprim17ROCPRIM_400000_NS6detail17trampoline_kernelINS0_13select_configILj256ELj13ELNS0_17block_load_methodE3ELS4_3ELS4_3ELNS0_20block_scan_algorithmE0ELj4294967295EEENS1_25partition_config_selectorILNS1_17partition_subalgoE4EjNS0_10empty_typeEbEEZZNS1_14partition_implILS8_4ELb0ES6_15HIP_vector_typeIjLj2EENS0_17counting_iteratorIjlEEPS9_SG_NS0_5tupleIJPjSI_NS0_16reverse_iteratorISI_EEEEENSH_IJSG_SG_SG_EEES9_SI_JZNS1_25segmented_radix_sort_implINS0_14default_configELb1EPKbPbPKlPlN2at6native12_GLOBAL__N_18offset_tEEE10hipError_tPvRmT1_PNSt15iterator_traitsIS12_E10value_typeET2_T3_PNS13_IS18_E10value_typeET4_jRbjT5_S1E_jjP12ihipStream_tbEUljE_ZNSN_ISO_Lb1ESQ_SR_ST_SU_SY_EESZ_S10_S11_S12_S16_S17_S18_S1B_S1C_jS1D_jS1E_S1E_jjS1G_bEUljE0_EEESZ_S10_S11_S18_S1C_S1E_T6_T7_T9_mT8_S1G_bDpT10_ENKUlT_T0_E_clISt17integral_constantIbLb1EES1T_IbLb0EEEEDaS1P_S1Q_EUlS1P_E_NS1_11comp_targetILNS1_3genE5ELNS1_11target_archE942ELNS1_3gpuE9ELNS1_3repE0EEENS1_30default_config_static_selectorELNS0_4arch9wavefront6targetE0EEEvS12_,comdat
.Lfunc_end1485:
	.size	_ZN7rocprim17ROCPRIM_400000_NS6detail17trampoline_kernelINS0_13select_configILj256ELj13ELNS0_17block_load_methodE3ELS4_3ELS4_3ELNS0_20block_scan_algorithmE0ELj4294967295EEENS1_25partition_config_selectorILNS1_17partition_subalgoE4EjNS0_10empty_typeEbEEZZNS1_14partition_implILS8_4ELb0ES6_15HIP_vector_typeIjLj2EENS0_17counting_iteratorIjlEEPS9_SG_NS0_5tupleIJPjSI_NS0_16reverse_iteratorISI_EEEEENSH_IJSG_SG_SG_EEES9_SI_JZNS1_25segmented_radix_sort_implINS0_14default_configELb1EPKbPbPKlPlN2at6native12_GLOBAL__N_18offset_tEEE10hipError_tPvRmT1_PNSt15iterator_traitsIS12_E10value_typeET2_T3_PNS13_IS18_E10value_typeET4_jRbjT5_S1E_jjP12ihipStream_tbEUljE_ZNSN_ISO_Lb1ESQ_SR_ST_SU_SY_EESZ_S10_S11_S12_S16_S17_S18_S1B_S1C_jS1D_jS1E_S1E_jjS1G_bEUljE0_EEESZ_S10_S11_S18_S1C_S1E_T6_T7_T9_mT8_S1G_bDpT10_ENKUlT_T0_E_clISt17integral_constantIbLb1EES1T_IbLb0EEEEDaS1P_S1Q_EUlS1P_E_NS1_11comp_targetILNS1_3genE5ELNS1_11target_archE942ELNS1_3gpuE9ELNS1_3repE0EEENS1_30default_config_static_selectorELNS0_4arch9wavefront6targetE0EEEvS12_, .Lfunc_end1485-_ZN7rocprim17ROCPRIM_400000_NS6detail17trampoline_kernelINS0_13select_configILj256ELj13ELNS0_17block_load_methodE3ELS4_3ELS4_3ELNS0_20block_scan_algorithmE0ELj4294967295EEENS1_25partition_config_selectorILNS1_17partition_subalgoE4EjNS0_10empty_typeEbEEZZNS1_14partition_implILS8_4ELb0ES6_15HIP_vector_typeIjLj2EENS0_17counting_iteratorIjlEEPS9_SG_NS0_5tupleIJPjSI_NS0_16reverse_iteratorISI_EEEEENSH_IJSG_SG_SG_EEES9_SI_JZNS1_25segmented_radix_sort_implINS0_14default_configELb1EPKbPbPKlPlN2at6native12_GLOBAL__N_18offset_tEEE10hipError_tPvRmT1_PNSt15iterator_traitsIS12_E10value_typeET2_T3_PNS13_IS18_E10value_typeET4_jRbjT5_S1E_jjP12ihipStream_tbEUljE_ZNSN_ISO_Lb1ESQ_SR_ST_SU_SY_EESZ_S10_S11_S12_S16_S17_S18_S1B_S1C_jS1D_jS1E_S1E_jjS1G_bEUljE0_EEESZ_S10_S11_S18_S1C_S1E_T6_T7_T9_mT8_S1G_bDpT10_ENKUlT_T0_E_clISt17integral_constantIbLb1EES1T_IbLb0EEEEDaS1P_S1Q_EUlS1P_E_NS1_11comp_targetILNS1_3genE5ELNS1_11target_archE942ELNS1_3gpuE9ELNS1_3repE0EEENS1_30default_config_static_selectorELNS0_4arch9wavefront6targetE0EEEvS12_
                                        ; -- End function
	.section	.AMDGPU.csdata,"",@progbits
; Kernel info:
; codeLenInByte = 0
; NumSgprs: 0
; NumVgprs: 0
; ScratchSize: 0
; MemoryBound: 0
; FloatMode: 240
; IeeeMode: 1
; LDSByteSize: 0 bytes/workgroup (compile time only)
; SGPRBlocks: 0
; VGPRBlocks: 0
; NumSGPRsForWavesPerEU: 1
; NumVGPRsForWavesPerEU: 1
; Occupancy: 16
; WaveLimiterHint : 0
; COMPUTE_PGM_RSRC2:SCRATCH_EN: 0
; COMPUTE_PGM_RSRC2:USER_SGPR: 15
; COMPUTE_PGM_RSRC2:TRAP_HANDLER: 0
; COMPUTE_PGM_RSRC2:TGID_X_EN: 1
; COMPUTE_PGM_RSRC2:TGID_Y_EN: 0
; COMPUTE_PGM_RSRC2:TGID_Z_EN: 0
; COMPUTE_PGM_RSRC2:TIDIG_COMP_CNT: 0
	.section	.text._ZN7rocprim17ROCPRIM_400000_NS6detail17trampoline_kernelINS0_13select_configILj256ELj13ELNS0_17block_load_methodE3ELS4_3ELS4_3ELNS0_20block_scan_algorithmE0ELj4294967295EEENS1_25partition_config_selectorILNS1_17partition_subalgoE4EjNS0_10empty_typeEbEEZZNS1_14partition_implILS8_4ELb0ES6_15HIP_vector_typeIjLj2EENS0_17counting_iteratorIjlEEPS9_SG_NS0_5tupleIJPjSI_NS0_16reverse_iteratorISI_EEEEENSH_IJSG_SG_SG_EEES9_SI_JZNS1_25segmented_radix_sort_implINS0_14default_configELb1EPKbPbPKlPlN2at6native12_GLOBAL__N_18offset_tEEE10hipError_tPvRmT1_PNSt15iterator_traitsIS12_E10value_typeET2_T3_PNS13_IS18_E10value_typeET4_jRbjT5_S1E_jjP12ihipStream_tbEUljE_ZNSN_ISO_Lb1ESQ_SR_ST_SU_SY_EESZ_S10_S11_S12_S16_S17_S18_S1B_S1C_jS1D_jS1E_S1E_jjS1G_bEUljE0_EEESZ_S10_S11_S18_S1C_S1E_T6_T7_T9_mT8_S1G_bDpT10_ENKUlT_T0_E_clISt17integral_constantIbLb1EES1T_IbLb0EEEEDaS1P_S1Q_EUlS1P_E_NS1_11comp_targetILNS1_3genE4ELNS1_11target_archE910ELNS1_3gpuE8ELNS1_3repE0EEENS1_30default_config_static_selectorELNS0_4arch9wavefront6targetE0EEEvS12_,"axG",@progbits,_ZN7rocprim17ROCPRIM_400000_NS6detail17trampoline_kernelINS0_13select_configILj256ELj13ELNS0_17block_load_methodE3ELS4_3ELS4_3ELNS0_20block_scan_algorithmE0ELj4294967295EEENS1_25partition_config_selectorILNS1_17partition_subalgoE4EjNS0_10empty_typeEbEEZZNS1_14partition_implILS8_4ELb0ES6_15HIP_vector_typeIjLj2EENS0_17counting_iteratorIjlEEPS9_SG_NS0_5tupleIJPjSI_NS0_16reverse_iteratorISI_EEEEENSH_IJSG_SG_SG_EEES9_SI_JZNS1_25segmented_radix_sort_implINS0_14default_configELb1EPKbPbPKlPlN2at6native12_GLOBAL__N_18offset_tEEE10hipError_tPvRmT1_PNSt15iterator_traitsIS12_E10value_typeET2_T3_PNS13_IS18_E10value_typeET4_jRbjT5_S1E_jjP12ihipStream_tbEUljE_ZNSN_ISO_Lb1ESQ_SR_ST_SU_SY_EESZ_S10_S11_S12_S16_S17_S18_S1B_S1C_jS1D_jS1E_S1E_jjS1G_bEUljE0_EEESZ_S10_S11_S18_S1C_S1E_T6_T7_T9_mT8_S1G_bDpT10_ENKUlT_T0_E_clISt17integral_constantIbLb1EES1T_IbLb0EEEEDaS1P_S1Q_EUlS1P_E_NS1_11comp_targetILNS1_3genE4ELNS1_11target_archE910ELNS1_3gpuE8ELNS1_3repE0EEENS1_30default_config_static_selectorELNS0_4arch9wavefront6targetE0EEEvS12_,comdat
	.globl	_ZN7rocprim17ROCPRIM_400000_NS6detail17trampoline_kernelINS0_13select_configILj256ELj13ELNS0_17block_load_methodE3ELS4_3ELS4_3ELNS0_20block_scan_algorithmE0ELj4294967295EEENS1_25partition_config_selectorILNS1_17partition_subalgoE4EjNS0_10empty_typeEbEEZZNS1_14partition_implILS8_4ELb0ES6_15HIP_vector_typeIjLj2EENS0_17counting_iteratorIjlEEPS9_SG_NS0_5tupleIJPjSI_NS0_16reverse_iteratorISI_EEEEENSH_IJSG_SG_SG_EEES9_SI_JZNS1_25segmented_radix_sort_implINS0_14default_configELb1EPKbPbPKlPlN2at6native12_GLOBAL__N_18offset_tEEE10hipError_tPvRmT1_PNSt15iterator_traitsIS12_E10value_typeET2_T3_PNS13_IS18_E10value_typeET4_jRbjT5_S1E_jjP12ihipStream_tbEUljE_ZNSN_ISO_Lb1ESQ_SR_ST_SU_SY_EESZ_S10_S11_S12_S16_S17_S18_S1B_S1C_jS1D_jS1E_S1E_jjS1G_bEUljE0_EEESZ_S10_S11_S18_S1C_S1E_T6_T7_T9_mT8_S1G_bDpT10_ENKUlT_T0_E_clISt17integral_constantIbLb1EES1T_IbLb0EEEEDaS1P_S1Q_EUlS1P_E_NS1_11comp_targetILNS1_3genE4ELNS1_11target_archE910ELNS1_3gpuE8ELNS1_3repE0EEENS1_30default_config_static_selectorELNS0_4arch9wavefront6targetE0EEEvS12_ ; -- Begin function _ZN7rocprim17ROCPRIM_400000_NS6detail17trampoline_kernelINS0_13select_configILj256ELj13ELNS0_17block_load_methodE3ELS4_3ELS4_3ELNS0_20block_scan_algorithmE0ELj4294967295EEENS1_25partition_config_selectorILNS1_17partition_subalgoE4EjNS0_10empty_typeEbEEZZNS1_14partition_implILS8_4ELb0ES6_15HIP_vector_typeIjLj2EENS0_17counting_iteratorIjlEEPS9_SG_NS0_5tupleIJPjSI_NS0_16reverse_iteratorISI_EEEEENSH_IJSG_SG_SG_EEES9_SI_JZNS1_25segmented_radix_sort_implINS0_14default_configELb1EPKbPbPKlPlN2at6native12_GLOBAL__N_18offset_tEEE10hipError_tPvRmT1_PNSt15iterator_traitsIS12_E10value_typeET2_T3_PNS13_IS18_E10value_typeET4_jRbjT5_S1E_jjP12ihipStream_tbEUljE_ZNSN_ISO_Lb1ESQ_SR_ST_SU_SY_EESZ_S10_S11_S12_S16_S17_S18_S1B_S1C_jS1D_jS1E_S1E_jjS1G_bEUljE0_EEESZ_S10_S11_S18_S1C_S1E_T6_T7_T9_mT8_S1G_bDpT10_ENKUlT_T0_E_clISt17integral_constantIbLb1EES1T_IbLb0EEEEDaS1P_S1Q_EUlS1P_E_NS1_11comp_targetILNS1_3genE4ELNS1_11target_archE910ELNS1_3gpuE8ELNS1_3repE0EEENS1_30default_config_static_selectorELNS0_4arch9wavefront6targetE0EEEvS12_
	.p2align	8
	.type	_ZN7rocprim17ROCPRIM_400000_NS6detail17trampoline_kernelINS0_13select_configILj256ELj13ELNS0_17block_load_methodE3ELS4_3ELS4_3ELNS0_20block_scan_algorithmE0ELj4294967295EEENS1_25partition_config_selectorILNS1_17partition_subalgoE4EjNS0_10empty_typeEbEEZZNS1_14partition_implILS8_4ELb0ES6_15HIP_vector_typeIjLj2EENS0_17counting_iteratorIjlEEPS9_SG_NS0_5tupleIJPjSI_NS0_16reverse_iteratorISI_EEEEENSH_IJSG_SG_SG_EEES9_SI_JZNS1_25segmented_radix_sort_implINS0_14default_configELb1EPKbPbPKlPlN2at6native12_GLOBAL__N_18offset_tEEE10hipError_tPvRmT1_PNSt15iterator_traitsIS12_E10value_typeET2_T3_PNS13_IS18_E10value_typeET4_jRbjT5_S1E_jjP12ihipStream_tbEUljE_ZNSN_ISO_Lb1ESQ_SR_ST_SU_SY_EESZ_S10_S11_S12_S16_S17_S18_S1B_S1C_jS1D_jS1E_S1E_jjS1G_bEUljE0_EEESZ_S10_S11_S18_S1C_S1E_T6_T7_T9_mT8_S1G_bDpT10_ENKUlT_T0_E_clISt17integral_constantIbLb1EES1T_IbLb0EEEEDaS1P_S1Q_EUlS1P_E_NS1_11comp_targetILNS1_3genE4ELNS1_11target_archE910ELNS1_3gpuE8ELNS1_3repE0EEENS1_30default_config_static_selectorELNS0_4arch9wavefront6targetE0EEEvS12_,@function
_ZN7rocprim17ROCPRIM_400000_NS6detail17trampoline_kernelINS0_13select_configILj256ELj13ELNS0_17block_load_methodE3ELS4_3ELS4_3ELNS0_20block_scan_algorithmE0ELj4294967295EEENS1_25partition_config_selectorILNS1_17partition_subalgoE4EjNS0_10empty_typeEbEEZZNS1_14partition_implILS8_4ELb0ES6_15HIP_vector_typeIjLj2EENS0_17counting_iteratorIjlEEPS9_SG_NS0_5tupleIJPjSI_NS0_16reverse_iteratorISI_EEEEENSH_IJSG_SG_SG_EEES9_SI_JZNS1_25segmented_radix_sort_implINS0_14default_configELb1EPKbPbPKlPlN2at6native12_GLOBAL__N_18offset_tEEE10hipError_tPvRmT1_PNSt15iterator_traitsIS12_E10value_typeET2_T3_PNS13_IS18_E10value_typeET4_jRbjT5_S1E_jjP12ihipStream_tbEUljE_ZNSN_ISO_Lb1ESQ_SR_ST_SU_SY_EESZ_S10_S11_S12_S16_S17_S18_S1B_S1C_jS1D_jS1E_S1E_jjS1G_bEUljE0_EEESZ_S10_S11_S18_S1C_S1E_T6_T7_T9_mT8_S1G_bDpT10_ENKUlT_T0_E_clISt17integral_constantIbLb1EES1T_IbLb0EEEEDaS1P_S1Q_EUlS1P_E_NS1_11comp_targetILNS1_3genE4ELNS1_11target_archE910ELNS1_3gpuE8ELNS1_3repE0EEENS1_30default_config_static_selectorELNS0_4arch9wavefront6targetE0EEEvS12_: ; @_ZN7rocprim17ROCPRIM_400000_NS6detail17trampoline_kernelINS0_13select_configILj256ELj13ELNS0_17block_load_methodE3ELS4_3ELS4_3ELNS0_20block_scan_algorithmE0ELj4294967295EEENS1_25partition_config_selectorILNS1_17partition_subalgoE4EjNS0_10empty_typeEbEEZZNS1_14partition_implILS8_4ELb0ES6_15HIP_vector_typeIjLj2EENS0_17counting_iteratorIjlEEPS9_SG_NS0_5tupleIJPjSI_NS0_16reverse_iteratorISI_EEEEENSH_IJSG_SG_SG_EEES9_SI_JZNS1_25segmented_radix_sort_implINS0_14default_configELb1EPKbPbPKlPlN2at6native12_GLOBAL__N_18offset_tEEE10hipError_tPvRmT1_PNSt15iterator_traitsIS12_E10value_typeET2_T3_PNS13_IS18_E10value_typeET4_jRbjT5_S1E_jjP12ihipStream_tbEUljE_ZNSN_ISO_Lb1ESQ_SR_ST_SU_SY_EESZ_S10_S11_S12_S16_S17_S18_S1B_S1C_jS1D_jS1E_S1E_jjS1G_bEUljE0_EEESZ_S10_S11_S18_S1C_S1E_T6_T7_T9_mT8_S1G_bDpT10_ENKUlT_T0_E_clISt17integral_constantIbLb1EES1T_IbLb0EEEEDaS1P_S1Q_EUlS1P_E_NS1_11comp_targetILNS1_3genE4ELNS1_11target_archE910ELNS1_3gpuE8ELNS1_3repE0EEENS1_30default_config_static_selectorELNS0_4arch9wavefront6targetE0EEEvS12_
; %bb.0:
	.section	.rodata,"a",@progbits
	.p2align	6, 0x0
	.amdhsa_kernel _ZN7rocprim17ROCPRIM_400000_NS6detail17trampoline_kernelINS0_13select_configILj256ELj13ELNS0_17block_load_methodE3ELS4_3ELS4_3ELNS0_20block_scan_algorithmE0ELj4294967295EEENS1_25partition_config_selectorILNS1_17partition_subalgoE4EjNS0_10empty_typeEbEEZZNS1_14partition_implILS8_4ELb0ES6_15HIP_vector_typeIjLj2EENS0_17counting_iteratorIjlEEPS9_SG_NS0_5tupleIJPjSI_NS0_16reverse_iteratorISI_EEEEENSH_IJSG_SG_SG_EEES9_SI_JZNS1_25segmented_radix_sort_implINS0_14default_configELb1EPKbPbPKlPlN2at6native12_GLOBAL__N_18offset_tEEE10hipError_tPvRmT1_PNSt15iterator_traitsIS12_E10value_typeET2_T3_PNS13_IS18_E10value_typeET4_jRbjT5_S1E_jjP12ihipStream_tbEUljE_ZNSN_ISO_Lb1ESQ_SR_ST_SU_SY_EESZ_S10_S11_S12_S16_S17_S18_S1B_S1C_jS1D_jS1E_S1E_jjS1G_bEUljE0_EEESZ_S10_S11_S18_S1C_S1E_T6_T7_T9_mT8_S1G_bDpT10_ENKUlT_T0_E_clISt17integral_constantIbLb1EES1T_IbLb0EEEEDaS1P_S1Q_EUlS1P_E_NS1_11comp_targetILNS1_3genE4ELNS1_11target_archE910ELNS1_3gpuE8ELNS1_3repE0EEENS1_30default_config_static_selectorELNS0_4arch9wavefront6targetE0EEEvS12_
		.amdhsa_group_segment_fixed_size 0
		.amdhsa_private_segment_fixed_size 0
		.amdhsa_kernarg_size 176
		.amdhsa_user_sgpr_count 15
		.amdhsa_user_sgpr_dispatch_ptr 0
		.amdhsa_user_sgpr_queue_ptr 0
		.amdhsa_user_sgpr_kernarg_segment_ptr 1
		.amdhsa_user_sgpr_dispatch_id 0
		.amdhsa_user_sgpr_private_segment_size 0
		.amdhsa_wavefront_size32 1
		.amdhsa_uses_dynamic_stack 0
		.amdhsa_enable_private_segment 0
		.amdhsa_system_sgpr_workgroup_id_x 1
		.amdhsa_system_sgpr_workgroup_id_y 0
		.amdhsa_system_sgpr_workgroup_id_z 0
		.amdhsa_system_sgpr_workgroup_info 0
		.amdhsa_system_vgpr_workitem_id 0
		.amdhsa_next_free_vgpr 1
		.amdhsa_next_free_sgpr 1
		.amdhsa_reserve_vcc 0
		.amdhsa_float_round_mode_32 0
		.amdhsa_float_round_mode_16_64 0
		.amdhsa_float_denorm_mode_32 3
		.amdhsa_float_denorm_mode_16_64 3
		.amdhsa_dx10_clamp 1
		.amdhsa_ieee_mode 1
		.amdhsa_fp16_overflow 0
		.amdhsa_workgroup_processor_mode 1
		.amdhsa_memory_ordered 1
		.amdhsa_forward_progress 0
		.amdhsa_shared_vgpr_count 0
		.amdhsa_exception_fp_ieee_invalid_op 0
		.amdhsa_exception_fp_denorm_src 0
		.amdhsa_exception_fp_ieee_div_zero 0
		.amdhsa_exception_fp_ieee_overflow 0
		.amdhsa_exception_fp_ieee_underflow 0
		.amdhsa_exception_fp_ieee_inexact 0
		.amdhsa_exception_int_div_zero 0
	.end_amdhsa_kernel
	.section	.text._ZN7rocprim17ROCPRIM_400000_NS6detail17trampoline_kernelINS0_13select_configILj256ELj13ELNS0_17block_load_methodE3ELS4_3ELS4_3ELNS0_20block_scan_algorithmE0ELj4294967295EEENS1_25partition_config_selectorILNS1_17partition_subalgoE4EjNS0_10empty_typeEbEEZZNS1_14partition_implILS8_4ELb0ES6_15HIP_vector_typeIjLj2EENS0_17counting_iteratorIjlEEPS9_SG_NS0_5tupleIJPjSI_NS0_16reverse_iteratorISI_EEEEENSH_IJSG_SG_SG_EEES9_SI_JZNS1_25segmented_radix_sort_implINS0_14default_configELb1EPKbPbPKlPlN2at6native12_GLOBAL__N_18offset_tEEE10hipError_tPvRmT1_PNSt15iterator_traitsIS12_E10value_typeET2_T3_PNS13_IS18_E10value_typeET4_jRbjT5_S1E_jjP12ihipStream_tbEUljE_ZNSN_ISO_Lb1ESQ_SR_ST_SU_SY_EESZ_S10_S11_S12_S16_S17_S18_S1B_S1C_jS1D_jS1E_S1E_jjS1G_bEUljE0_EEESZ_S10_S11_S18_S1C_S1E_T6_T7_T9_mT8_S1G_bDpT10_ENKUlT_T0_E_clISt17integral_constantIbLb1EES1T_IbLb0EEEEDaS1P_S1Q_EUlS1P_E_NS1_11comp_targetILNS1_3genE4ELNS1_11target_archE910ELNS1_3gpuE8ELNS1_3repE0EEENS1_30default_config_static_selectorELNS0_4arch9wavefront6targetE0EEEvS12_,"axG",@progbits,_ZN7rocprim17ROCPRIM_400000_NS6detail17trampoline_kernelINS0_13select_configILj256ELj13ELNS0_17block_load_methodE3ELS4_3ELS4_3ELNS0_20block_scan_algorithmE0ELj4294967295EEENS1_25partition_config_selectorILNS1_17partition_subalgoE4EjNS0_10empty_typeEbEEZZNS1_14partition_implILS8_4ELb0ES6_15HIP_vector_typeIjLj2EENS0_17counting_iteratorIjlEEPS9_SG_NS0_5tupleIJPjSI_NS0_16reverse_iteratorISI_EEEEENSH_IJSG_SG_SG_EEES9_SI_JZNS1_25segmented_radix_sort_implINS0_14default_configELb1EPKbPbPKlPlN2at6native12_GLOBAL__N_18offset_tEEE10hipError_tPvRmT1_PNSt15iterator_traitsIS12_E10value_typeET2_T3_PNS13_IS18_E10value_typeET4_jRbjT5_S1E_jjP12ihipStream_tbEUljE_ZNSN_ISO_Lb1ESQ_SR_ST_SU_SY_EESZ_S10_S11_S12_S16_S17_S18_S1B_S1C_jS1D_jS1E_S1E_jjS1G_bEUljE0_EEESZ_S10_S11_S18_S1C_S1E_T6_T7_T9_mT8_S1G_bDpT10_ENKUlT_T0_E_clISt17integral_constantIbLb1EES1T_IbLb0EEEEDaS1P_S1Q_EUlS1P_E_NS1_11comp_targetILNS1_3genE4ELNS1_11target_archE910ELNS1_3gpuE8ELNS1_3repE0EEENS1_30default_config_static_selectorELNS0_4arch9wavefront6targetE0EEEvS12_,comdat
.Lfunc_end1486:
	.size	_ZN7rocprim17ROCPRIM_400000_NS6detail17trampoline_kernelINS0_13select_configILj256ELj13ELNS0_17block_load_methodE3ELS4_3ELS4_3ELNS0_20block_scan_algorithmE0ELj4294967295EEENS1_25partition_config_selectorILNS1_17partition_subalgoE4EjNS0_10empty_typeEbEEZZNS1_14partition_implILS8_4ELb0ES6_15HIP_vector_typeIjLj2EENS0_17counting_iteratorIjlEEPS9_SG_NS0_5tupleIJPjSI_NS0_16reverse_iteratorISI_EEEEENSH_IJSG_SG_SG_EEES9_SI_JZNS1_25segmented_radix_sort_implINS0_14default_configELb1EPKbPbPKlPlN2at6native12_GLOBAL__N_18offset_tEEE10hipError_tPvRmT1_PNSt15iterator_traitsIS12_E10value_typeET2_T3_PNS13_IS18_E10value_typeET4_jRbjT5_S1E_jjP12ihipStream_tbEUljE_ZNSN_ISO_Lb1ESQ_SR_ST_SU_SY_EESZ_S10_S11_S12_S16_S17_S18_S1B_S1C_jS1D_jS1E_S1E_jjS1G_bEUljE0_EEESZ_S10_S11_S18_S1C_S1E_T6_T7_T9_mT8_S1G_bDpT10_ENKUlT_T0_E_clISt17integral_constantIbLb1EES1T_IbLb0EEEEDaS1P_S1Q_EUlS1P_E_NS1_11comp_targetILNS1_3genE4ELNS1_11target_archE910ELNS1_3gpuE8ELNS1_3repE0EEENS1_30default_config_static_selectorELNS0_4arch9wavefront6targetE0EEEvS12_, .Lfunc_end1486-_ZN7rocprim17ROCPRIM_400000_NS6detail17trampoline_kernelINS0_13select_configILj256ELj13ELNS0_17block_load_methodE3ELS4_3ELS4_3ELNS0_20block_scan_algorithmE0ELj4294967295EEENS1_25partition_config_selectorILNS1_17partition_subalgoE4EjNS0_10empty_typeEbEEZZNS1_14partition_implILS8_4ELb0ES6_15HIP_vector_typeIjLj2EENS0_17counting_iteratorIjlEEPS9_SG_NS0_5tupleIJPjSI_NS0_16reverse_iteratorISI_EEEEENSH_IJSG_SG_SG_EEES9_SI_JZNS1_25segmented_radix_sort_implINS0_14default_configELb1EPKbPbPKlPlN2at6native12_GLOBAL__N_18offset_tEEE10hipError_tPvRmT1_PNSt15iterator_traitsIS12_E10value_typeET2_T3_PNS13_IS18_E10value_typeET4_jRbjT5_S1E_jjP12ihipStream_tbEUljE_ZNSN_ISO_Lb1ESQ_SR_ST_SU_SY_EESZ_S10_S11_S12_S16_S17_S18_S1B_S1C_jS1D_jS1E_S1E_jjS1G_bEUljE0_EEESZ_S10_S11_S18_S1C_S1E_T6_T7_T9_mT8_S1G_bDpT10_ENKUlT_T0_E_clISt17integral_constantIbLb1EES1T_IbLb0EEEEDaS1P_S1Q_EUlS1P_E_NS1_11comp_targetILNS1_3genE4ELNS1_11target_archE910ELNS1_3gpuE8ELNS1_3repE0EEENS1_30default_config_static_selectorELNS0_4arch9wavefront6targetE0EEEvS12_
                                        ; -- End function
	.section	.AMDGPU.csdata,"",@progbits
; Kernel info:
; codeLenInByte = 0
; NumSgprs: 0
; NumVgprs: 0
; ScratchSize: 0
; MemoryBound: 0
; FloatMode: 240
; IeeeMode: 1
; LDSByteSize: 0 bytes/workgroup (compile time only)
; SGPRBlocks: 0
; VGPRBlocks: 0
; NumSGPRsForWavesPerEU: 1
; NumVGPRsForWavesPerEU: 1
; Occupancy: 16
; WaveLimiterHint : 0
; COMPUTE_PGM_RSRC2:SCRATCH_EN: 0
; COMPUTE_PGM_RSRC2:USER_SGPR: 15
; COMPUTE_PGM_RSRC2:TRAP_HANDLER: 0
; COMPUTE_PGM_RSRC2:TGID_X_EN: 1
; COMPUTE_PGM_RSRC2:TGID_Y_EN: 0
; COMPUTE_PGM_RSRC2:TGID_Z_EN: 0
; COMPUTE_PGM_RSRC2:TIDIG_COMP_CNT: 0
	.section	.text._ZN7rocprim17ROCPRIM_400000_NS6detail17trampoline_kernelINS0_13select_configILj256ELj13ELNS0_17block_load_methodE3ELS4_3ELS4_3ELNS0_20block_scan_algorithmE0ELj4294967295EEENS1_25partition_config_selectorILNS1_17partition_subalgoE4EjNS0_10empty_typeEbEEZZNS1_14partition_implILS8_4ELb0ES6_15HIP_vector_typeIjLj2EENS0_17counting_iteratorIjlEEPS9_SG_NS0_5tupleIJPjSI_NS0_16reverse_iteratorISI_EEEEENSH_IJSG_SG_SG_EEES9_SI_JZNS1_25segmented_radix_sort_implINS0_14default_configELb1EPKbPbPKlPlN2at6native12_GLOBAL__N_18offset_tEEE10hipError_tPvRmT1_PNSt15iterator_traitsIS12_E10value_typeET2_T3_PNS13_IS18_E10value_typeET4_jRbjT5_S1E_jjP12ihipStream_tbEUljE_ZNSN_ISO_Lb1ESQ_SR_ST_SU_SY_EESZ_S10_S11_S12_S16_S17_S18_S1B_S1C_jS1D_jS1E_S1E_jjS1G_bEUljE0_EEESZ_S10_S11_S18_S1C_S1E_T6_T7_T9_mT8_S1G_bDpT10_ENKUlT_T0_E_clISt17integral_constantIbLb1EES1T_IbLb0EEEEDaS1P_S1Q_EUlS1P_E_NS1_11comp_targetILNS1_3genE3ELNS1_11target_archE908ELNS1_3gpuE7ELNS1_3repE0EEENS1_30default_config_static_selectorELNS0_4arch9wavefront6targetE0EEEvS12_,"axG",@progbits,_ZN7rocprim17ROCPRIM_400000_NS6detail17trampoline_kernelINS0_13select_configILj256ELj13ELNS0_17block_load_methodE3ELS4_3ELS4_3ELNS0_20block_scan_algorithmE0ELj4294967295EEENS1_25partition_config_selectorILNS1_17partition_subalgoE4EjNS0_10empty_typeEbEEZZNS1_14partition_implILS8_4ELb0ES6_15HIP_vector_typeIjLj2EENS0_17counting_iteratorIjlEEPS9_SG_NS0_5tupleIJPjSI_NS0_16reverse_iteratorISI_EEEEENSH_IJSG_SG_SG_EEES9_SI_JZNS1_25segmented_radix_sort_implINS0_14default_configELb1EPKbPbPKlPlN2at6native12_GLOBAL__N_18offset_tEEE10hipError_tPvRmT1_PNSt15iterator_traitsIS12_E10value_typeET2_T3_PNS13_IS18_E10value_typeET4_jRbjT5_S1E_jjP12ihipStream_tbEUljE_ZNSN_ISO_Lb1ESQ_SR_ST_SU_SY_EESZ_S10_S11_S12_S16_S17_S18_S1B_S1C_jS1D_jS1E_S1E_jjS1G_bEUljE0_EEESZ_S10_S11_S18_S1C_S1E_T6_T7_T9_mT8_S1G_bDpT10_ENKUlT_T0_E_clISt17integral_constantIbLb1EES1T_IbLb0EEEEDaS1P_S1Q_EUlS1P_E_NS1_11comp_targetILNS1_3genE3ELNS1_11target_archE908ELNS1_3gpuE7ELNS1_3repE0EEENS1_30default_config_static_selectorELNS0_4arch9wavefront6targetE0EEEvS12_,comdat
	.globl	_ZN7rocprim17ROCPRIM_400000_NS6detail17trampoline_kernelINS0_13select_configILj256ELj13ELNS0_17block_load_methodE3ELS4_3ELS4_3ELNS0_20block_scan_algorithmE0ELj4294967295EEENS1_25partition_config_selectorILNS1_17partition_subalgoE4EjNS0_10empty_typeEbEEZZNS1_14partition_implILS8_4ELb0ES6_15HIP_vector_typeIjLj2EENS0_17counting_iteratorIjlEEPS9_SG_NS0_5tupleIJPjSI_NS0_16reverse_iteratorISI_EEEEENSH_IJSG_SG_SG_EEES9_SI_JZNS1_25segmented_radix_sort_implINS0_14default_configELb1EPKbPbPKlPlN2at6native12_GLOBAL__N_18offset_tEEE10hipError_tPvRmT1_PNSt15iterator_traitsIS12_E10value_typeET2_T3_PNS13_IS18_E10value_typeET4_jRbjT5_S1E_jjP12ihipStream_tbEUljE_ZNSN_ISO_Lb1ESQ_SR_ST_SU_SY_EESZ_S10_S11_S12_S16_S17_S18_S1B_S1C_jS1D_jS1E_S1E_jjS1G_bEUljE0_EEESZ_S10_S11_S18_S1C_S1E_T6_T7_T9_mT8_S1G_bDpT10_ENKUlT_T0_E_clISt17integral_constantIbLb1EES1T_IbLb0EEEEDaS1P_S1Q_EUlS1P_E_NS1_11comp_targetILNS1_3genE3ELNS1_11target_archE908ELNS1_3gpuE7ELNS1_3repE0EEENS1_30default_config_static_selectorELNS0_4arch9wavefront6targetE0EEEvS12_ ; -- Begin function _ZN7rocprim17ROCPRIM_400000_NS6detail17trampoline_kernelINS0_13select_configILj256ELj13ELNS0_17block_load_methodE3ELS4_3ELS4_3ELNS0_20block_scan_algorithmE0ELj4294967295EEENS1_25partition_config_selectorILNS1_17partition_subalgoE4EjNS0_10empty_typeEbEEZZNS1_14partition_implILS8_4ELb0ES6_15HIP_vector_typeIjLj2EENS0_17counting_iteratorIjlEEPS9_SG_NS0_5tupleIJPjSI_NS0_16reverse_iteratorISI_EEEEENSH_IJSG_SG_SG_EEES9_SI_JZNS1_25segmented_radix_sort_implINS0_14default_configELb1EPKbPbPKlPlN2at6native12_GLOBAL__N_18offset_tEEE10hipError_tPvRmT1_PNSt15iterator_traitsIS12_E10value_typeET2_T3_PNS13_IS18_E10value_typeET4_jRbjT5_S1E_jjP12ihipStream_tbEUljE_ZNSN_ISO_Lb1ESQ_SR_ST_SU_SY_EESZ_S10_S11_S12_S16_S17_S18_S1B_S1C_jS1D_jS1E_S1E_jjS1G_bEUljE0_EEESZ_S10_S11_S18_S1C_S1E_T6_T7_T9_mT8_S1G_bDpT10_ENKUlT_T0_E_clISt17integral_constantIbLb1EES1T_IbLb0EEEEDaS1P_S1Q_EUlS1P_E_NS1_11comp_targetILNS1_3genE3ELNS1_11target_archE908ELNS1_3gpuE7ELNS1_3repE0EEENS1_30default_config_static_selectorELNS0_4arch9wavefront6targetE0EEEvS12_
	.p2align	8
	.type	_ZN7rocprim17ROCPRIM_400000_NS6detail17trampoline_kernelINS0_13select_configILj256ELj13ELNS0_17block_load_methodE3ELS4_3ELS4_3ELNS0_20block_scan_algorithmE0ELj4294967295EEENS1_25partition_config_selectorILNS1_17partition_subalgoE4EjNS0_10empty_typeEbEEZZNS1_14partition_implILS8_4ELb0ES6_15HIP_vector_typeIjLj2EENS0_17counting_iteratorIjlEEPS9_SG_NS0_5tupleIJPjSI_NS0_16reverse_iteratorISI_EEEEENSH_IJSG_SG_SG_EEES9_SI_JZNS1_25segmented_radix_sort_implINS0_14default_configELb1EPKbPbPKlPlN2at6native12_GLOBAL__N_18offset_tEEE10hipError_tPvRmT1_PNSt15iterator_traitsIS12_E10value_typeET2_T3_PNS13_IS18_E10value_typeET4_jRbjT5_S1E_jjP12ihipStream_tbEUljE_ZNSN_ISO_Lb1ESQ_SR_ST_SU_SY_EESZ_S10_S11_S12_S16_S17_S18_S1B_S1C_jS1D_jS1E_S1E_jjS1G_bEUljE0_EEESZ_S10_S11_S18_S1C_S1E_T6_T7_T9_mT8_S1G_bDpT10_ENKUlT_T0_E_clISt17integral_constantIbLb1EES1T_IbLb0EEEEDaS1P_S1Q_EUlS1P_E_NS1_11comp_targetILNS1_3genE3ELNS1_11target_archE908ELNS1_3gpuE7ELNS1_3repE0EEENS1_30default_config_static_selectorELNS0_4arch9wavefront6targetE0EEEvS12_,@function
_ZN7rocprim17ROCPRIM_400000_NS6detail17trampoline_kernelINS0_13select_configILj256ELj13ELNS0_17block_load_methodE3ELS4_3ELS4_3ELNS0_20block_scan_algorithmE0ELj4294967295EEENS1_25partition_config_selectorILNS1_17partition_subalgoE4EjNS0_10empty_typeEbEEZZNS1_14partition_implILS8_4ELb0ES6_15HIP_vector_typeIjLj2EENS0_17counting_iteratorIjlEEPS9_SG_NS0_5tupleIJPjSI_NS0_16reverse_iteratorISI_EEEEENSH_IJSG_SG_SG_EEES9_SI_JZNS1_25segmented_radix_sort_implINS0_14default_configELb1EPKbPbPKlPlN2at6native12_GLOBAL__N_18offset_tEEE10hipError_tPvRmT1_PNSt15iterator_traitsIS12_E10value_typeET2_T3_PNS13_IS18_E10value_typeET4_jRbjT5_S1E_jjP12ihipStream_tbEUljE_ZNSN_ISO_Lb1ESQ_SR_ST_SU_SY_EESZ_S10_S11_S12_S16_S17_S18_S1B_S1C_jS1D_jS1E_S1E_jjS1G_bEUljE0_EEESZ_S10_S11_S18_S1C_S1E_T6_T7_T9_mT8_S1G_bDpT10_ENKUlT_T0_E_clISt17integral_constantIbLb1EES1T_IbLb0EEEEDaS1P_S1Q_EUlS1P_E_NS1_11comp_targetILNS1_3genE3ELNS1_11target_archE908ELNS1_3gpuE7ELNS1_3repE0EEENS1_30default_config_static_selectorELNS0_4arch9wavefront6targetE0EEEvS12_: ; @_ZN7rocprim17ROCPRIM_400000_NS6detail17trampoline_kernelINS0_13select_configILj256ELj13ELNS0_17block_load_methodE3ELS4_3ELS4_3ELNS0_20block_scan_algorithmE0ELj4294967295EEENS1_25partition_config_selectorILNS1_17partition_subalgoE4EjNS0_10empty_typeEbEEZZNS1_14partition_implILS8_4ELb0ES6_15HIP_vector_typeIjLj2EENS0_17counting_iteratorIjlEEPS9_SG_NS0_5tupleIJPjSI_NS0_16reverse_iteratorISI_EEEEENSH_IJSG_SG_SG_EEES9_SI_JZNS1_25segmented_radix_sort_implINS0_14default_configELb1EPKbPbPKlPlN2at6native12_GLOBAL__N_18offset_tEEE10hipError_tPvRmT1_PNSt15iterator_traitsIS12_E10value_typeET2_T3_PNS13_IS18_E10value_typeET4_jRbjT5_S1E_jjP12ihipStream_tbEUljE_ZNSN_ISO_Lb1ESQ_SR_ST_SU_SY_EESZ_S10_S11_S12_S16_S17_S18_S1B_S1C_jS1D_jS1E_S1E_jjS1G_bEUljE0_EEESZ_S10_S11_S18_S1C_S1E_T6_T7_T9_mT8_S1G_bDpT10_ENKUlT_T0_E_clISt17integral_constantIbLb1EES1T_IbLb0EEEEDaS1P_S1Q_EUlS1P_E_NS1_11comp_targetILNS1_3genE3ELNS1_11target_archE908ELNS1_3gpuE7ELNS1_3repE0EEENS1_30default_config_static_selectorELNS0_4arch9wavefront6targetE0EEEvS12_
; %bb.0:
	.section	.rodata,"a",@progbits
	.p2align	6, 0x0
	.amdhsa_kernel _ZN7rocprim17ROCPRIM_400000_NS6detail17trampoline_kernelINS0_13select_configILj256ELj13ELNS0_17block_load_methodE3ELS4_3ELS4_3ELNS0_20block_scan_algorithmE0ELj4294967295EEENS1_25partition_config_selectorILNS1_17partition_subalgoE4EjNS0_10empty_typeEbEEZZNS1_14partition_implILS8_4ELb0ES6_15HIP_vector_typeIjLj2EENS0_17counting_iteratorIjlEEPS9_SG_NS0_5tupleIJPjSI_NS0_16reverse_iteratorISI_EEEEENSH_IJSG_SG_SG_EEES9_SI_JZNS1_25segmented_radix_sort_implINS0_14default_configELb1EPKbPbPKlPlN2at6native12_GLOBAL__N_18offset_tEEE10hipError_tPvRmT1_PNSt15iterator_traitsIS12_E10value_typeET2_T3_PNS13_IS18_E10value_typeET4_jRbjT5_S1E_jjP12ihipStream_tbEUljE_ZNSN_ISO_Lb1ESQ_SR_ST_SU_SY_EESZ_S10_S11_S12_S16_S17_S18_S1B_S1C_jS1D_jS1E_S1E_jjS1G_bEUljE0_EEESZ_S10_S11_S18_S1C_S1E_T6_T7_T9_mT8_S1G_bDpT10_ENKUlT_T0_E_clISt17integral_constantIbLb1EES1T_IbLb0EEEEDaS1P_S1Q_EUlS1P_E_NS1_11comp_targetILNS1_3genE3ELNS1_11target_archE908ELNS1_3gpuE7ELNS1_3repE0EEENS1_30default_config_static_selectorELNS0_4arch9wavefront6targetE0EEEvS12_
		.amdhsa_group_segment_fixed_size 0
		.amdhsa_private_segment_fixed_size 0
		.amdhsa_kernarg_size 176
		.amdhsa_user_sgpr_count 15
		.amdhsa_user_sgpr_dispatch_ptr 0
		.amdhsa_user_sgpr_queue_ptr 0
		.amdhsa_user_sgpr_kernarg_segment_ptr 1
		.amdhsa_user_sgpr_dispatch_id 0
		.amdhsa_user_sgpr_private_segment_size 0
		.amdhsa_wavefront_size32 1
		.amdhsa_uses_dynamic_stack 0
		.amdhsa_enable_private_segment 0
		.amdhsa_system_sgpr_workgroup_id_x 1
		.amdhsa_system_sgpr_workgroup_id_y 0
		.amdhsa_system_sgpr_workgroup_id_z 0
		.amdhsa_system_sgpr_workgroup_info 0
		.amdhsa_system_vgpr_workitem_id 0
		.amdhsa_next_free_vgpr 1
		.amdhsa_next_free_sgpr 1
		.amdhsa_reserve_vcc 0
		.amdhsa_float_round_mode_32 0
		.amdhsa_float_round_mode_16_64 0
		.amdhsa_float_denorm_mode_32 3
		.amdhsa_float_denorm_mode_16_64 3
		.amdhsa_dx10_clamp 1
		.amdhsa_ieee_mode 1
		.amdhsa_fp16_overflow 0
		.amdhsa_workgroup_processor_mode 1
		.amdhsa_memory_ordered 1
		.amdhsa_forward_progress 0
		.amdhsa_shared_vgpr_count 0
		.amdhsa_exception_fp_ieee_invalid_op 0
		.amdhsa_exception_fp_denorm_src 0
		.amdhsa_exception_fp_ieee_div_zero 0
		.amdhsa_exception_fp_ieee_overflow 0
		.amdhsa_exception_fp_ieee_underflow 0
		.amdhsa_exception_fp_ieee_inexact 0
		.amdhsa_exception_int_div_zero 0
	.end_amdhsa_kernel
	.section	.text._ZN7rocprim17ROCPRIM_400000_NS6detail17trampoline_kernelINS0_13select_configILj256ELj13ELNS0_17block_load_methodE3ELS4_3ELS4_3ELNS0_20block_scan_algorithmE0ELj4294967295EEENS1_25partition_config_selectorILNS1_17partition_subalgoE4EjNS0_10empty_typeEbEEZZNS1_14partition_implILS8_4ELb0ES6_15HIP_vector_typeIjLj2EENS0_17counting_iteratorIjlEEPS9_SG_NS0_5tupleIJPjSI_NS0_16reverse_iteratorISI_EEEEENSH_IJSG_SG_SG_EEES9_SI_JZNS1_25segmented_radix_sort_implINS0_14default_configELb1EPKbPbPKlPlN2at6native12_GLOBAL__N_18offset_tEEE10hipError_tPvRmT1_PNSt15iterator_traitsIS12_E10value_typeET2_T3_PNS13_IS18_E10value_typeET4_jRbjT5_S1E_jjP12ihipStream_tbEUljE_ZNSN_ISO_Lb1ESQ_SR_ST_SU_SY_EESZ_S10_S11_S12_S16_S17_S18_S1B_S1C_jS1D_jS1E_S1E_jjS1G_bEUljE0_EEESZ_S10_S11_S18_S1C_S1E_T6_T7_T9_mT8_S1G_bDpT10_ENKUlT_T0_E_clISt17integral_constantIbLb1EES1T_IbLb0EEEEDaS1P_S1Q_EUlS1P_E_NS1_11comp_targetILNS1_3genE3ELNS1_11target_archE908ELNS1_3gpuE7ELNS1_3repE0EEENS1_30default_config_static_selectorELNS0_4arch9wavefront6targetE0EEEvS12_,"axG",@progbits,_ZN7rocprim17ROCPRIM_400000_NS6detail17trampoline_kernelINS0_13select_configILj256ELj13ELNS0_17block_load_methodE3ELS4_3ELS4_3ELNS0_20block_scan_algorithmE0ELj4294967295EEENS1_25partition_config_selectorILNS1_17partition_subalgoE4EjNS0_10empty_typeEbEEZZNS1_14partition_implILS8_4ELb0ES6_15HIP_vector_typeIjLj2EENS0_17counting_iteratorIjlEEPS9_SG_NS0_5tupleIJPjSI_NS0_16reverse_iteratorISI_EEEEENSH_IJSG_SG_SG_EEES9_SI_JZNS1_25segmented_radix_sort_implINS0_14default_configELb1EPKbPbPKlPlN2at6native12_GLOBAL__N_18offset_tEEE10hipError_tPvRmT1_PNSt15iterator_traitsIS12_E10value_typeET2_T3_PNS13_IS18_E10value_typeET4_jRbjT5_S1E_jjP12ihipStream_tbEUljE_ZNSN_ISO_Lb1ESQ_SR_ST_SU_SY_EESZ_S10_S11_S12_S16_S17_S18_S1B_S1C_jS1D_jS1E_S1E_jjS1G_bEUljE0_EEESZ_S10_S11_S18_S1C_S1E_T6_T7_T9_mT8_S1G_bDpT10_ENKUlT_T0_E_clISt17integral_constantIbLb1EES1T_IbLb0EEEEDaS1P_S1Q_EUlS1P_E_NS1_11comp_targetILNS1_3genE3ELNS1_11target_archE908ELNS1_3gpuE7ELNS1_3repE0EEENS1_30default_config_static_selectorELNS0_4arch9wavefront6targetE0EEEvS12_,comdat
.Lfunc_end1487:
	.size	_ZN7rocprim17ROCPRIM_400000_NS6detail17trampoline_kernelINS0_13select_configILj256ELj13ELNS0_17block_load_methodE3ELS4_3ELS4_3ELNS0_20block_scan_algorithmE0ELj4294967295EEENS1_25partition_config_selectorILNS1_17partition_subalgoE4EjNS0_10empty_typeEbEEZZNS1_14partition_implILS8_4ELb0ES6_15HIP_vector_typeIjLj2EENS0_17counting_iteratorIjlEEPS9_SG_NS0_5tupleIJPjSI_NS0_16reverse_iteratorISI_EEEEENSH_IJSG_SG_SG_EEES9_SI_JZNS1_25segmented_radix_sort_implINS0_14default_configELb1EPKbPbPKlPlN2at6native12_GLOBAL__N_18offset_tEEE10hipError_tPvRmT1_PNSt15iterator_traitsIS12_E10value_typeET2_T3_PNS13_IS18_E10value_typeET4_jRbjT5_S1E_jjP12ihipStream_tbEUljE_ZNSN_ISO_Lb1ESQ_SR_ST_SU_SY_EESZ_S10_S11_S12_S16_S17_S18_S1B_S1C_jS1D_jS1E_S1E_jjS1G_bEUljE0_EEESZ_S10_S11_S18_S1C_S1E_T6_T7_T9_mT8_S1G_bDpT10_ENKUlT_T0_E_clISt17integral_constantIbLb1EES1T_IbLb0EEEEDaS1P_S1Q_EUlS1P_E_NS1_11comp_targetILNS1_3genE3ELNS1_11target_archE908ELNS1_3gpuE7ELNS1_3repE0EEENS1_30default_config_static_selectorELNS0_4arch9wavefront6targetE0EEEvS12_, .Lfunc_end1487-_ZN7rocprim17ROCPRIM_400000_NS6detail17trampoline_kernelINS0_13select_configILj256ELj13ELNS0_17block_load_methodE3ELS4_3ELS4_3ELNS0_20block_scan_algorithmE0ELj4294967295EEENS1_25partition_config_selectorILNS1_17partition_subalgoE4EjNS0_10empty_typeEbEEZZNS1_14partition_implILS8_4ELb0ES6_15HIP_vector_typeIjLj2EENS0_17counting_iteratorIjlEEPS9_SG_NS0_5tupleIJPjSI_NS0_16reverse_iteratorISI_EEEEENSH_IJSG_SG_SG_EEES9_SI_JZNS1_25segmented_radix_sort_implINS0_14default_configELb1EPKbPbPKlPlN2at6native12_GLOBAL__N_18offset_tEEE10hipError_tPvRmT1_PNSt15iterator_traitsIS12_E10value_typeET2_T3_PNS13_IS18_E10value_typeET4_jRbjT5_S1E_jjP12ihipStream_tbEUljE_ZNSN_ISO_Lb1ESQ_SR_ST_SU_SY_EESZ_S10_S11_S12_S16_S17_S18_S1B_S1C_jS1D_jS1E_S1E_jjS1G_bEUljE0_EEESZ_S10_S11_S18_S1C_S1E_T6_T7_T9_mT8_S1G_bDpT10_ENKUlT_T0_E_clISt17integral_constantIbLb1EES1T_IbLb0EEEEDaS1P_S1Q_EUlS1P_E_NS1_11comp_targetILNS1_3genE3ELNS1_11target_archE908ELNS1_3gpuE7ELNS1_3repE0EEENS1_30default_config_static_selectorELNS0_4arch9wavefront6targetE0EEEvS12_
                                        ; -- End function
	.section	.AMDGPU.csdata,"",@progbits
; Kernel info:
; codeLenInByte = 0
; NumSgprs: 0
; NumVgprs: 0
; ScratchSize: 0
; MemoryBound: 0
; FloatMode: 240
; IeeeMode: 1
; LDSByteSize: 0 bytes/workgroup (compile time only)
; SGPRBlocks: 0
; VGPRBlocks: 0
; NumSGPRsForWavesPerEU: 1
; NumVGPRsForWavesPerEU: 1
; Occupancy: 16
; WaveLimiterHint : 0
; COMPUTE_PGM_RSRC2:SCRATCH_EN: 0
; COMPUTE_PGM_RSRC2:USER_SGPR: 15
; COMPUTE_PGM_RSRC2:TRAP_HANDLER: 0
; COMPUTE_PGM_RSRC2:TGID_X_EN: 1
; COMPUTE_PGM_RSRC2:TGID_Y_EN: 0
; COMPUTE_PGM_RSRC2:TGID_Z_EN: 0
; COMPUTE_PGM_RSRC2:TIDIG_COMP_CNT: 0
	.section	.text._ZN7rocprim17ROCPRIM_400000_NS6detail17trampoline_kernelINS0_13select_configILj256ELj13ELNS0_17block_load_methodE3ELS4_3ELS4_3ELNS0_20block_scan_algorithmE0ELj4294967295EEENS1_25partition_config_selectorILNS1_17partition_subalgoE4EjNS0_10empty_typeEbEEZZNS1_14partition_implILS8_4ELb0ES6_15HIP_vector_typeIjLj2EENS0_17counting_iteratorIjlEEPS9_SG_NS0_5tupleIJPjSI_NS0_16reverse_iteratorISI_EEEEENSH_IJSG_SG_SG_EEES9_SI_JZNS1_25segmented_radix_sort_implINS0_14default_configELb1EPKbPbPKlPlN2at6native12_GLOBAL__N_18offset_tEEE10hipError_tPvRmT1_PNSt15iterator_traitsIS12_E10value_typeET2_T3_PNS13_IS18_E10value_typeET4_jRbjT5_S1E_jjP12ihipStream_tbEUljE_ZNSN_ISO_Lb1ESQ_SR_ST_SU_SY_EESZ_S10_S11_S12_S16_S17_S18_S1B_S1C_jS1D_jS1E_S1E_jjS1G_bEUljE0_EEESZ_S10_S11_S18_S1C_S1E_T6_T7_T9_mT8_S1G_bDpT10_ENKUlT_T0_E_clISt17integral_constantIbLb1EES1T_IbLb0EEEEDaS1P_S1Q_EUlS1P_E_NS1_11comp_targetILNS1_3genE2ELNS1_11target_archE906ELNS1_3gpuE6ELNS1_3repE0EEENS1_30default_config_static_selectorELNS0_4arch9wavefront6targetE0EEEvS12_,"axG",@progbits,_ZN7rocprim17ROCPRIM_400000_NS6detail17trampoline_kernelINS0_13select_configILj256ELj13ELNS0_17block_load_methodE3ELS4_3ELS4_3ELNS0_20block_scan_algorithmE0ELj4294967295EEENS1_25partition_config_selectorILNS1_17partition_subalgoE4EjNS0_10empty_typeEbEEZZNS1_14partition_implILS8_4ELb0ES6_15HIP_vector_typeIjLj2EENS0_17counting_iteratorIjlEEPS9_SG_NS0_5tupleIJPjSI_NS0_16reverse_iteratorISI_EEEEENSH_IJSG_SG_SG_EEES9_SI_JZNS1_25segmented_radix_sort_implINS0_14default_configELb1EPKbPbPKlPlN2at6native12_GLOBAL__N_18offset_tEEE10hipError_tPvRmT1_PNSt15iterator_traitsIS12_E10value_typeET2_T3_PNS13_IS18_E10value_typeET4_jRbjT5_S1E_jjP12ihipStream_tbEUljE_ZNSN_ISO_Lb1ESQ_SR_ST_SU_SY_EESZ_S10_S11_S12_S16_S17_S18_S1B_S1C_jS1D_jS1E_S1E_jjS1G_bEUljE0_EEESZ_S10_S11_S18_S1C_S1E_T6_T7_T9_mT8_S1G_bDpT10_ENKUlT_T0_E_clISt17integral_constantIbLb1EES1T_IbLb0EEEEDaS1P_S1Q_EUlS1P_E_NS1_11comp_targetILNS1_3genE2ELNS1_11target_archE906ELNS1_3gpuE6ELNS1_3repE0EEENS1_30default_config_static_selectorELNS0_4arch9wavefront6targetE0EEEvS12_,comdat
	.globl	_ZN7rocprim17ROCPRIM_400000_NS6detail17trampoline_kernelINS0_13select_configILj256ELj13ELNS0_17block_load_methodE3ELS4_3ELS4_3ELNS0_20block_scan_algorithmE0ELj4294967295EEENS1_25partition_config_selectorILNS1_17partition_subalgoE4EjNS0_10empty_typeEbEEZZNS1_14partition_implILS8_4ELb0ES6_15HIP_vector_typeIjLj2EENS0_17counting_iteratorIjlEEPS9_SG_NS0_5tupleIJPjSI_NS0_16reverse_iteratorISI_EEEEENSH_IJSG_SG_SG_EEES9_SI_JZNS1_25segmented_radix_sort_implINS0_14default_configELb1EPKbPbPKlPlN2at6native12_GLOBAL__N_18offset_tEEE10hipError_tPvRmT1_PNSt15iterator_traitsIS12_E10value_typeET2_T3_PNS13_IS18_E10value_typeET4_jRbjT5_S1E_jjP12ihipStream_tbEUljE_ZNSN_ISO_Lb1ESQ_SR_ST_SU_SY_EESZ_S10_S11_S12_S16_S17_S18_S1B_S1C_jS1D_jS1E_S1E_jjS1G_bEUljE0_EEESZ_S10_S11_S18_S1C_S1E_T6_T7_T9_mT8_S1G_bDpT10_ENKUlT_T0_E_clISt17integral_constantIbLb1EES1T_IbLb0EEEEDaS1P_S1Q_EUlS1P_E_NS1_11comp_targetILNS1_3genE2ELNS1_11target_archE906ELNS1_3gpuE6ELNS1_3repE0EEENS1_30default_config_static_selectorELNS0_4arch9wavefront6targetE0EEEvS12_ ; -- Begin function _ZN7rocprim17ROCPRIM_400000_NS6detail17trampoline_kernelINS0_13select_configILj256ELj13ELNS0_17block_load_methodE3ELS4_3ELS4_3ELNS0_20block_scan_algorithmE0ELj4294967295EEENS1_25partition_config_selectorILNS1_17partition_subalgoE4EjNS0_10empty_typeEbEEZZNS1_14partition_implILS8_4ELb0ES6_15HIP_vector_typeIjLj2EENS0_17counting_iteratorIjlEEPS9_SG_NS0_5tupleIJPjSI_NS0_16reverse_iteratorISI_EEEEENSH_IJSG_SG_SG_EEES9_SI_JZNS1_25segmented_radix_sort_implINS0_14default_configELb1EPKbPbPKlPlN2at6native12_GLOBAL__N_18offset_tEEE10hipError_tPvRmT1_PNSt15iterator_traitsIS12_E10value_typeET2_T3_PNS13_IS18_E10value_typeET4_jRbjT5_S1E_jjP12ihipStream_tbEUljE_ZNSN_ISO_Lb1ESQ_SR_ST_SU_SY_EESZ_S10_S11_S12_S16_S17_S18_S1B_S1C_jS1D_jS1E_S1E_jjS1G_bEUljE0_EEESZ_S10_S11_S18_S1C_S1E_T6_T7_T9_mT8_S1G_bDpT10_ENKUlT_T0_E_clISt17integral_constantIbLb1EES1T_IbLb0EEEEDaS1P_S1Q_EUlS1P_E_NS1_11comp_targetILNS1_3genE2ELNS1_11target_archE906ELNS1_3gpuE6ELNS1_3repE0EEENS1_30default_config_static_selectorELNS0_4arch9wavefront6targetE0EEEvS12_
	.p2align	8
	.type	_ZN7rocprim17ROCPRIM_400000_NS6detail17trampoline_kernelINS0_13select_configILj256ELj13ELNS0_17block_load_methodE3ELS4_3ELS4_3ELNS0_20block_scan_algorithmE0ELj4294967295EEENS1_25partition_config_selectorILNS1_17partition_subalgoE4EjNS0_10empty_typeEbEEZZNS1_14partition_implILS8_4ELb0ES6_15HIP_vector_typeIjLj2EENS0_17counting_iteratorIjlEEPS9_SG_NS0_5tupleIJPjSI_NS0_16reverse_iteratorISI_EEEEENSH_IJSG_SG_SG_EEES9_SI_JZNS1_25segmented_radix_sort_implINS0_14default_configELb1EPKbPbPKlPlN2at6native12_GLOBAL__N_18offset_tEEE10hipError_tPvRmT1_PNSt15iterator_traitsIS12_E10value_typeET2_T3_PNS13_IS18_E10value_typeET4_jRbjT5_S1E_jjP12ihipStream_tbEUljE_ZNSN_ISO_Lb1ESQ_SR_ST_SU_SY_EESZ_S10_S11_S12_S16_S17_S18_S1B_S1C_jS1D_jS1E_S1E_jjS1G_bEUljE0_EEESZ_S10_S11_S18_S1C_S1E_T6_T7_T9_mT8_S1G_bDpT10_ENKUlT_T0_E_clISt17integral_constantIbLb1EES1T_IbLb0EEEEDaS1P_S1Q_EUlS1P_E_NS1_11comp_targetILNS1_3genE2ELNS1_11target_archE906ELNS1_3gpuE6ELNS1_3repE0EEENS1_30default_config_static_selectorELNS0_4arch9wavefront6targetE0EEEvS12_,@function
_ZN7rocprim17ROCPRIM_400000_NS6detail17trampoline_kernelINS0_13select_configILj256ELj13ELNS0_17block_load_methodE3ELS4_3ELS4_3ELNS0_20block_scan_algorithmE0ELj4294967295EEENS1_25partition_config_selectorILNS1_17partition_subalgoE4EjNS0_10empty_typeEbEEZZNS1_14partition_implILS8_4ELb0ES6_15HIP_vector_typeIjLj2EENS0_17counting_iteratorIjlEEPS9_SG_NS0_5tupleIJPjSI_NS0_16reverse_iteratorISI_EEEEENSH_IJSG_SG_SG_EEES9_SI_JZNS1_25segmented_radix_sort_implINS0_14default_configELb1EPKbPbPKlPlN2at6native12_GLOBAL__N_18offset_tEEE10hipError_tPvRmT1_PNSt15iterator_traitsIS12_E10value_typeET2_T3_PNS13_IS18_E10value_typeET4_jRbjT5_S1E_jjP12ihipStream_tbEUljE_ZNSN_ISO_Lb1ESQ_SR_ST_SU_SY_EESZ_S10_S11_S12_S16_S17_S18_S1B_S1C_jS1D_jS1E_S1E_jjS1G_bEUljE0_EEESZ_S10_S11_S18_S1C_S1E_T6_T7_T9_mT8_S1G_bDpT10_ENKUlT_T0_E_clISt17integral_constantIbLb1EES1T_IbLb0EEEEDaS1P_S1Q_EUlS1P_E_NS1_11comp_targetILNS1_3genE2ELNS1_11target_archE906ELNS1_3gpuE6ELNS1_3repE0EEENS1_30default_config_static_selectorELNS0_4arch9wavefront6targetE0EEEvS12_: ; @_ZN7rocprim17ROCPRIM_400000_NS6detail17trampoline_kernelINS0_13select_configILj256ELj13ELNS0_17block_load_methodE3ELS4_3ELS4_3ELNS0_20block_scan_algorithmE0ELj4294967295EEENS1_25partition_config_selectorILNS1_17partition_subalgoE4EjNS0_10empty_typeEbEEZZNS1_14partition_implILS8_4ELb0ES6_15HIP_vector_typeIjLj2EENS0_17counting_iteratorIjlEEPS9_SG_NS0_5tupleIJPjSI_NS0_16reverse_iteratorISI_EEEEENSH_IJSG_SG_SG_EEES9_SI_JZNS1_25segmented_radix_sort_implINS0_14default_configELb1EPKbPbPKlPlN2at6native12_GLOBAL__N_18offset_tEEE10hipError_tPvRmT1_PNSt15iterator_traitsIS12_E10value_typeET2_T3_PNS13_IS18_E10value_typeET4_jRbjT5_S1E_jjP12ihipStream_tbEUljE_ZNSN_ISO_Lb1ESQ_SR_ST_SU_SY_EESZ_S10_S11_S12_S16_S17_S18_S1B_S1C_jS1D_jS1E_S1E_jjS1G_bEUljE0_EEESZ_S10_S11_S18_S1C_S1E_T6_T7_T9_mT8_S1G_bDpT10_ENKUlT_T0_E_clISt17integral_constantIbLb1EES1T_IbLb0EEEEDaS1P_S1Q_EUlS1P_E_NS1_11comp_targetILNS1_3genE2ELNS1_11target_archE906ELNS1_3gpuE6ELNS1_3repE0EEENS1_30default_config_static_selectorELNS0_4arch9wavefront6targetE0EEEvS12_
; %bb.0:
	.section	.rodata,"a",@progbits
	.p2align	6, 0x0
	.amdhsa_kernel _ZN7rocprim17ROCPRIM_400000_NS6detail17trampoline_kernelINS0_13select_configILj256ELj13ELNS0_17block_load_methodE3ELS4_3ELS4_3ELNS0_20block_scan_algorithmE0ELj4294967295EEENS1_25partition_config_selectorILNS1_17partition_subalgoE4EjNS0_10empty_typeEbEEZZNS1_14partition_implILS8_4ELb0ES6_15HIP_vector_typeIjLj2EENS0_17counting_iteratorIjlEEPS9_SG_NS0_5tupleIJPjSI_NS0_16reverse_iteratorISI_EEEEENSH_IJSG_SG_SG_EEES9_SI_JZNS1_25segmented_radix_sort_implINS0_14default_configELb1EPKbPbPKlPlN2at6native12_GLOBAL__N_18offset_tEEE10hipError_tPvRmT1_PNSt15iterator_traitsIS12_E10value_typeET2_T3_PNS13_IS18_E10value_typeET4_jRbjT5_S1E_jjP12ihipStream_tbEUljE_ZNSN_ISO_Lb1ESQ_SR_ST_SU_SY_EESZ_S10_S11_S12_S16_S17_S18_S1B_S1C_jS1D_jS1E_S1E_jjS1G_bEUljE0_EEESZ_S10_S11_S18_S1C_S1E_T6_T7_T9_mT8_S1G_bDpT10_ENKUlT_T0_E_clISt17integral_constantIbLb1EES1T_IbLb0EEEEDaS1P_S1Q_EUlS1P_E_NS1_11comp_targetILNS1_3genE2ELNS1_11target_archE906ELNS1_3gpuE6ELNS1_3repE0EEENS1_30default_config_static_selectorELNS0_4arch9wavefront6targetE0EEEvS12_
		.amdhsa_group_segment_fixed_size 0
		.amdhsa_private_segment_fixed_size 0
		.amdhsa_kernarg_size 176
		.amdhsa_user_sgpr_count 15
		.amdhsa_user_sgpr_dispatch_ptr 0
		.amdhsa_user_sgpr_queue_ptr 0
		.amdhsa_user_sgpr_kernarg_segment_ptr 1
		.amdhsa_user_sgpr_dispatch_id 0
		.amdhsa_user_sgpr_private_segment_size 0
		.amdhsa_wavefront_size32 1
		.amdhsa_uses_dynamic_stack 0
		.amdhsa_enable_private_segment 0
		.amdhsa_system_sgpr_workgroup_id_x 1
		.amdhsa_system_sgpr_workgroup_id_y 0
		.amdhsa_system_sgpr_workgroup_id_z 0
		.amdhsa_system_sgpr_workgroup_info 0
		.amdhsa_system_vgpr_workitem_id 0
		.amdhsa_next_free_vgpr 1
		.amdhsa_next_free_sgpr 1
		.amdhsa_reserve_vcc 0
		.amdhsa_float_round_mode_32 0
		.amdhsa_float_round_mode_16_64 0
		.amdhsa_float_denorm_mode_32 3
		.amdhsa_float_denorm_mode_16_64 3
		.amdhsa_dx10_clamp 1
		.amdhsa_ieee_mode 1
		.amdhsa_fp16_overflow 0
		.amdhsa_workgroup_processor_mode 1
		.amdhsa_memory_ordered 1
		.amdhsa_forward_progress 0
		.amdhsa_shared_vgpr_count 0
		.amdhsa_exception_fp_ieee_invalid_op 0
		.amdhsa_exception_fp_denorm_src 0
		.amdhsa_exception_fp_ieee_div_zero 0
		.amdhsa_exception_fp_ieee_overflow 0
		.amdhsa_exception_fp_ieee_underflow 0
		.amdhsa_exception_fp_ieee_inexact 0
		.amdhsa_exception_int_div_zero 0
	.end_amdhsa_kernel
	.section	.text._ZN7rocprim17ROCPRIM_400000_NS6detail17trampoline_kernelINS0_13select_configILj256ELj13ELNS0_17block_load_methodE3ELS4_3ELS4_3ELNS0_20block_scan_algorithmE0ELj4294967295EEENS1_25partition_config_selectorILNS1_17partition_subalgoE4EjNS0_10empty_typeEbEEZZNS1_14partition_implILS8_4ELb0ES6_15HIP_vector_typeIjLj2EENS0_17counting_iteratorIjlEEPS9_SG_NS0_5tupleIJPjSI_NS0_16reverse_iteratorISI_EEEEENSH_IJSG_SG_SG_EEES9_SI_JZNS1_25segmented_radix_sort_implINS0_14default_configELb1EPKbPbPKlPlN2at6native12_GLOBAL__N_18offset_tEEE10hipError_tPvRmT1_PNSt15iterator_traitsIS12_E10value_typeET2_T3_PNS13_IS18_E10value_typeET4_jRbjT5_S1E_jjP12ihipStream_tbEUljE_ZNSN_ISO_Lb1ESQ_SR_ST_SU_SY_EESZ_S10_S11_S12_S16_S17_S18_S1B_S1C_jS1D_jS1E_S1E_jjS1G_bEUljE0_EEESZ_S10_S11_S18_S1C_S1E_T6_T7_T9_mT8_S1G_bDpT10_ENKUlT_T0_E_clISt17integral_constantIbLb1EES1T_IbLb0EEEEDaS1P_S1Q_EUlS1P_E_NS1_11comp_targetILNS1_3genE2ELNS1_11target_archE906ELNS1_3gpuE6ELNS1_3repE0EEENS1_30default_config_static_selectorELNS0_4arch9wavefront6targetE0EEEvS12_,"axG",@progbits,_ZN7rocprim17ROCPRIM_400000_NS6detail17trampoline_kernelINS0_13select_configILj256ELj13ELNS0_17block_load_methodE3ELS4_3ELS4_3ELNS0_20block_scan_algorithmE0ELj4294967295EEENS1_25partition_config_selectorILNS1_17partition_subalgoE4EjNS0_10empty_typeEbEEZZNS1_14partition_implILS8_4ELb0ES6_15HIP_vector_typeIjLj2EENS0_17counting_iteratorIjlEEPS9_SG_NS0_5tupleIJPjSI_NS0_16reverse_iteratorISI_EEEEENSH_IJSG_SG_SG_EEES9_SI_JZNS1_25segmented_radix_sort_implINS0_14default_configELb1EPKbPbPKlPlN2at6native12_GLOBAL__N_18offset_tEEE10hipError_tPvRmT1_PNSt15iterator_traitsIS12_E10value_typeET2_T3_PNS13_IS18_E10value_typeET4_jRbjT5_S1E_jjP12ihipStream_tbEUljE_ZNSN_ISO_Lb1ESQ_SR_ST_SU_SY_EESZ_S10_S11_S12_S16_S17_S18_S1B_S1C_jS1D_jS1E_S1E_jjS1G_bEUljE0_EEESZ_S10_S11_S18_S1C_S1E_T6_T7_T9_mT8_S1G_bDpT10_ENKUlT_T0_E_clISt17integral_constantIbLb1EES1T_IbLb0EEEEDaS1P_S1Q_EUlS1P_E_NS1_11comp_targetILNS1_3genE2ELNS1_11target_archE906ELNS1_3gpuE6ELNS1_3repE0EEENS1_30default_config_static_selectorELNS0_4arch9wavefront6targetE0EEEvS12_,comdat
.Lfunc_end1488:
	.size	_ZN7rocprim17ROCPRIM_400000_NS6detail17trampoline_kernelINS0_13select_configILj256ELj13ELNS0_17block_load_methodE3ELS4_3ELS4_3ELNS0_20block_scan_algorithmE0ELj4294967295EEENS1_25partition_config_selectorILNS1_17partition_subalgoE4EjNS0_10empty_typeEbEEZZNS1_14partition_implILS8_4ELb0ES6_15HIP_vector_typeIjLj2EENS0_17counting_iteratorIjlEEPS9_SG_NS0_5tupleIJPjSI_NS0_16reverse_iteratorISI_EEEEENSH_IJSG_SG_SG_EEES9_SI_JZNS1_25segmented_radix_sort_implINS0_14default_configELb1EPKbPbPKlPlN2at6native12_GLOBAL__N_18offset_tEEE10hipError_tPvRmT1_PNSt15iterator_traitsIS12_E10value_typeET2_T3_PNS13_IS18_E10value_typeET4_jRbjT5_S1E_jjP12ihipStream_tbEUljE_ZNSN_ISO_Lb1ESQ_SR_ST_SU_SY_EESZ_S10_S11_S12_S16_S17_S18_S1B_S1C_jS1D_jS1E_S1E_jjS1G_bEUljE0_EEESZ_S10_S11_S18_S1C_S1E_T6_T7_T9_mT8_S1G_bDpT10_ENKUlT_T0_E_clISt17integral_constantIbLb1EES1T_IbLb0EEEEDaS1P_S1Q_EUlS1P_E_NS1_11comp_targetILNS1_3genE2ELNS1_11target_archE906ELNS1_3gpuE6ELNS1_3repE0EEENS1_30default_config_static_selectorELNS0_4arch9wavefront6targetE0EEEvS12_, .Lfunc_end1488-_ZN7rocprim17ROCPRIM_400000_NS6detail17trampoline_kernelINS0_13select_configILj256ELj13ELNS0_17block_load_methodE3ELS4_3ELS4_3ELNS0_20block_scan_algorithmE0ELj4294967295EEENS1_25partition_config_selectorILNS1_17partition_subalgoE4EjNS0_10empty_typeEbEEZZNS1_14partition_implILS8_4ELb0ES6_15HIP_vector_typeIjLj2EENS0_17counting_iteratorIjlEEPS9_SG_NS0_5tupleIJPjSI_NS0_16reverse_iteratorISI_EEEEENSH_IJSG_SG_SG_EEES9_SI_JZNS1_25segmented_radix_sort_implINS0_14default_configELb1EPKbPbPKlPlN2at6native12_GLOBAL__N_18offset_tEEE10hipError_tPvRmT1_PNSt15iterator_traitsIS12_E10value_typeET2_T3_PNS13_IS18_E10value_typeET4_jRbjT5_S1E_jjP12ihipStream_tbEUljE_ZNSN_ISO_Lb1ESQ_SR_ST_SU_SY_EESZ_S10_S11_S12_S16_S17_S18_S1B_S1C_jS1D_jS1E_S1E_jjS1G_bEUljE0_EEESZ_S10_S11_S18_S1C_S1E_T6_T7_T9_mT8_S1G_bDpT10_ENKUlT_T0_E_clISt17integral_constantIbLb1EES1T_IbLb0EEEEDaS1P_S1Q_EUlS1P_E_NS1_11comp_targetILNS1_3genE2ELNS1_11target_archE906ELNS1_3gpuE6ELNS1_3repE0EEENS1_30default_config_static_selectorELNS0_4arch9wavefront6targetE0EEEvS12_
                                        ; -- End function
	.section	.AMDGPU.csdata,"",@progbits
; Kernel info:
; codeLenInByte = 0
; NumSgprs: 0
; NumVgprs: 0
; ScratchSize: 0
; MemoryBound: 0
; FloatMode: 240
; IeeeMode: 1
; LDSByteSize: 0 bytes/workgroup (compile time only)
; SGPRBlocks: 0
; VGPRBlocks: 0
; NumSGPRsForWavesPerEU: 1
; NumVGPRsForWavesPerEU: 1
; Occupancy: 16
; WaveLimiterHint : 0
; COMPUTE_PGM_RSRC2:SCRATCH_EN: 0
; COMPUTE_PGM_RSRC2:USER_SGPR: 15
; COMPUTE_PGM_RSRC2:TRAP_HANDLER: 0
; COMPUTE_PGM_RSRC2:TGID_X_EN: 1
; COMPUTE_PGM_RSRC2:TGID_Y_EN: 0
; COMPUTE_PGM_RSRC2:TGID_Z_EN: 0
; COMPUTE_PGM_RSRC2:TIDIG_COMP_CNT: 0
	.section	.text._ZN7rocprim17ROCPRIM_400000_NS6detail17trampoline_kernelINS0_13select_configILj256ELj13ELNS0_17block_load_methodE3ELS4_3ELS4_3ELNS0_20block_scan_algorithmE0ELj4294967295EEENS1_25partition_config_selectorILNS1_17partition_subalgoE4EjNS0_10empty_typeEbEEZZNS1_14partition_implILS8_4ELb0ES6_15HIP_vector_typeIjLj2EENS0_17counting_iteratorIjlEEPS9_SG_NS0_5tupleIJPjSI_NS0_16reverse_iteratorISI_EEEEENSH_IJSG_SG_SG_EEES9_SI_JZNS1_25segmented_radix_sort_implINS0_14default_configELb1EPKbPbPKlPlN2at6native12_GLOBAL__N_18offset_tEEE10hipError_tPvRmT1_PNSt15iterator_traitsIS12_E10value_typeET2_T3_PNS13_IS18_E10value_typeET4_jRbjT5_S1E_jjP12ihipStream_tbEUljE_ZNSN_ISO_Lb1ESQ_SR_ST_SU_SY_EESZ_S10_S11_S12_S16_S17_S18_S1B_S1C_jS1D_jS1E_S1E_jjS1G_bEUljE0_EEESZ_S10_S11_S18_S1C_S1E_T6_T7_T9_mT8_S1G_bDpT10_ENKUlT_T0_E_clISt17integral_constantIbLb1EES1T_IbLb0EEEEDaS1P_S1Q_EUlS1P_E_NS1_11comp_targetILNS1_3genE10ELNS1_11target_archE1200ELNS1_3gpuE4ELNS1_3repE0EEENS1_30default_config_static_selectorELNS0_4arch9wavefront6targetE0EEEvS12_,"axG",@progbits,_ZN7rocprim17ROCPRIM_400000_NS6detail17trampoline_kernelINS0_13select_configILj256ELj13ELNS0_17block_load_methodE3ELS4_3ELS4_3ELNS0_20block_scan_algorithmE0ELj4294967295EEENS1_25partition_config_selectorILNS1_17partition_subalgoE4EjNS0_10empty_typeEbEEZZNS1_14partition_implILS8_4ELb0ES6_15HIP_vector_typeIjLj2EENS0_17counting_iteratorIjlEEPS9_SG_NS0_5tupleIJPjSI_NS0_16reverse_iteratorISI_EEEEENSH_IJSG_SG_SG_EEES9_SI_JZNS1_25segmented_radix_sort_implINS0_14default_configELb1EPKbPbPKlPlN2at6native12_GLOBAL__N_18offset_tEEE10hipError_tPvRmT1_PNSt15iterator_traitsIS12_E10value_typeET2_T3_PNS13_IS18_E10value_typeET4_jRbjT5_S1E_jjP12ihipStream_tbEUljE_ZNSN_ISO_Lb1ESQ_SR_ST_SU_SY_EESZ_S10_S11_S12_S16_S17_S18_S1B_S1C_jS1D_jS1E_S1E_jjS1G_bEUljE0_EEESZ_S10_S11_S18_S1C_S1E_T6_T7_T9_mT8_S1G_bDpT10_ENKUlT_T0_E_clISt17integral_constantIbLb1EES1T_IbLb0EEEEDaS1P_S1Q_EUlS1P_E_NS1_11comp_targetILNS1_3genE10ELNS1_11target_archE1200ELNS1_3gpuE4ELNS1_3repE0EEENS1_30default_config_static_selectorELNS0_4arch9wavefront6targetE0EEEvS12_,comdat
	.globl	_ZN7rocprim17ROCPRIM_400000_NS6detail17trampoline_kernelINS0_13select_configILj256ELj13ELNS0_17block_load_methodE3ELS4_3ELS4_3ELNS0_20block_scan_algorithmE0ELj4294967295EEENS1_25partition_config_selectorILNS1_17partition_subalgoE4EjNS0_10empty_typeEbEEZZNS1_14partition_implILS8_4ELb0ES6_15HIP_vector_typeIjLj2EENS0_17counting_iteratorIjlEEPS9_SG_NS0_5tupleIJPjSI_NS0_16reverse_iteratorISI_EEEEENSH_IJSG_SG_SG_EEES9_SI_JZNS1_25segmented_radix_sort_implINS0_14default_configELb1EPKbPbPKlPlN2at6native12_GLOBAL__N_18offset_tEEE10hipError_tPvRmT1_PNSt15iterator_traitsIS12_E10value_typeET2_T3_PNS13_IS18_E10value_typeET4_jRbjT5_S1E_jjP12ihipStream_tbEUljE_ZNSN_ISO_Lb1ESQ_SR_ST_SU_SY_EESZ_S10_S11_S12_S16_S17_S18_S1B_S1C_jS1D_jS1E_S1E_jjS1G_bEUljE0_EEESZ_S10_S11_S18_S1C_S1E_T6_T7_T9_mT8_S1G_bDpT10_ENKUlT_T0_E_clISt17integral_constantIbLb1EES1T_IbLb0EEEEDaS1P_S1Q_EUlS1P_E_NS1_11comp_targetILNS1_3genE10ELNS1_11target_archE1200ELNS1_3gpuE4ELNS1_3repE0EEENS1_30default_config_static_selectorELNS0_4arch9wavefront6targetE0EEEvS12_ ; -- Begin function _ZN7rocprim17ROCPRIM_400000_NS6detail17trampoline_kernelINS0_13select_configILj256ELj13ELNS0_17block_load_methodE3ELS4_3ELS4_3ELNS0_20block_scan_algorithmE0ELj4294967295EEENS1_25partition_config_selectorILNS1_17partition_subalgoE4EjNS0_10empty_typeEbEEZZNS1_14partition_implILS8_4ELb0ES6_15HIP_vector_typeIjLj2EENS0_17counting_iteratorIjlEEPS9_SG_NS0_5tupleIJPjSI_NS0_16reverse_iteratorISI_EEEEENSH_IJSG_SG_SG_EEES9_SI_JZNS1_25segmented_radix_sort_implINS0_14default_configELb1EPKbPbPKlPlN2at6native12_GLOBAL__N_18offset_tEEE10hipError_tPvRmT1_PNSt15iterator_traitsIS12_E10value_typeET2_T3_PNS13_IS18_E10value_typeET4_jRbjT5_S1E_jjP12ihipStream_tbEUljE_ZNSN_ISO_Lb1ESQ_SR_ST_SU_SY_EESZ_S10_S11_S12_S16_S17_S18_S1B_S1C_jS1D_jS1E_S1E_jjS1G_bEUljE0_EEESZ_S10_S11_S18_S1C_S1E_T6_T7_T9_mT8_S1G_bDpT10_ENKUlT_T0_E_clISt17integral_constantIbLb1EES1T_IbLb0EEEEDaS1P_S1Q_EUlS1P_E_NS1_11comp_targetILNS1_3genE10ELNS1_11target_archE1200ELNS1_3gpuE4ELNS1_3repE0EEENS1_30default_config_static_selectorELNS0_4arch9wavefront6targetE0EEEvS12_
	.p2align	8
	.type	_ZN7rocprim17ROCPRIM_400000_NS6detail17trampoline_kernelINS0_13select_configILj256ELj13ELNS0_17block_load_methodE3ELS4_3ELS4_3ELNS0_20block_scan_algorithmE0ELj4294967295EEENS1_25partition_config_selectorILNS1_17partition_subalgoE4EjNS0_10empty_typeEbEEZZNS1_14partition_implILS8_4ELb0ES6_15HIP_vector_typeIjLj2EENS0_17counting_iteratorIjlEEPS9_SG_NS0_5tupleIJPjSI_NS0_16reverse_iteratorISI_EEEEENSH_IJSG_SG_SG_EEES9_SI_JZNS1_25segmented_radix_sort_implINS0_14default_configELb1EPKbPbPKlPlN2at6native12_GLOBAL__N_18offset_tEEE10hipError_tPvRmT1_PNSt15iterator_traitsIS12_E10value_typeET2_T3_PNS13_IS18_E10value_typeET4_jRbjT5_S1E_jjP12ihipStream_tbEUljE_ZNSN_ISO_Lb1ESQ_SR_ST_SU_SY_EESZ_S10_S11_S12_S16_S17_S18_S1B_S1C_jS1D_jS1E_S1E_jjS1G_bEUljE0_EEESZ_S10_S11_S18_S1C_S1E_T6_T7_T9_mT8_S1G_bDpT10_ENKUlT_T0_E_clISt17integral_constantIbLb1EES1T_IbLb0EEEEDaS1P_S1Q_EUlS1P_E_NS1_11comp_targetILNS1_3genE10ELNS1_11target_archE1200ELNS1_3gpuE4ELNS1_3repE0EEENS1_30default_config_static_selectorELNS0_4arch9wavefront6targetE0EEEvS12_,@function
_ZN7rocprim17ROCPRIM_400000_NS6detail17trampoline_kernelINS0_13select_configILj256ELj13ELNS0_17block_load_methodE3ELS4_3ELS4_3ELNS0_20block_scan_algorithmE0ELj4294967295EEENS1_25partition_config_selectorILNS1_17partition_subalgoE4EjNS0_10empty_typeEbEEZZNS1_14partition_implILS8_4ELb0ES6_15HIP_vector_typeIjLj2EENS0_17counting_iteratorIjlEEPS9_SG_NS0_5tupleIJPjSI_NS0_16reverse_iteratorISI_EEEEENSH_IJSG_SG_SG_EEES9_SI_JZNS1_25segmented_radix_sort_implINS0_14default_configELb1EPKbPbPKlPlN2at6native12_GLOBAL__N_18offset_tEEE10hipError_tPvRmT1_PNSt15iterator_traitsIS12_E10value_typeET2_T3_PNS13_IS18_E10value_typeET4_jRbjT5_S1E_jjP12ihipStream_tbEUljE_ZNSN_ISO_Lb1ESQ_SR_ST_SU_SY_EESZ_S10_S11_S12_S16_S17_S18_S1B_S1C_jS1D_jS1E_S1E_jjS1G_bEUljE0_EEESZ_S10_S11_S18_S1C_S1E_T6_T7_T9_mT8_S1G_bDpT10_ENKUlT_T0_E_clISt17integral_constantIbLb1EES1T_IbLb0EEEEDaS1P_S1Q_EUlS1P_E_NS1_11comp_targetILNS1_3genE10ELNS1_11target_archE1200ELNS1_3gpuE4ELNS1_3repE0EEENS1_30default_config_static_selectorELNS0_4arch9wavefront6targetE0EEEvS12_: ; @_ZN7rocprim17ROCPRIM_400000_NS6detail17trampoline_kernelINS0_13select_configILj256ELj13ELNS0_17block_load_methodE3ELS4_3ELS4_3ELNS0_20block_scan_algorithmE0ELj4294967295EEENS1_25partition_config_selectorILNS1_17partition_subalgoE4EjNS0_10empty_typeEbEEZZNS1_14partition_implILS8_4ELb0ES6_15HIP_vector_typeIjLj2EENS0_17counting_iteratorIjlEEPS9_SG_NS0_5tupleIJPjSI_NS0_16reverse_iteratorISI_EEEEENSH_IJSG_SG_SG_EEES9_SI_JZNS1_25segmented_radix_sort_implINS0_14default_configELb1EPKbPbPKlPlN2at6native12_GLOBAL__N_18offset_tEEE10hipError_tPvRmT1_PNSt15iterator_traitsIS12_E10value_typeET2_T3_PNS13_IS18_E10value_typeET4_jRbjT5_S1E_jjP12ihipStream_tbEUljE_ZNSN_ISO_Lb1ESQ_SR_ST_SU_SY_EESZ_S10_S11_S12_S16_S17_S18_S1B_S1C_jS1D_jS1E_S1E_jjS1G_bEUljE0_EEESZ_S10_S11_S18_S1C_S1E_T6_T7_T9_mT8_S1G_bDpT10_ENKUlT_T0_E_clISt17integral_constantIbLb1EES1T_IbLb0EEEEDaS1P_S1Q_EUlS1P_E_NS1_11comp_targetILNS1_3genE10ELNS1_11target_archE1200ELNS1_3gpuE4ELNS1_3repE0EEENS1_30default_config_static_selectorELNS0_4arch9wavefront6targetE0EEEvS12_
; %bb.0:
	.section	.rodata,"a",@progbits
	.p2align	6, 0x0
	.amdhsa_kernel _ZN7rocprim17ROCPRIM_400000_NS6detail17trampoline_kernelINS0_13select_configILj256ELj13ELNS0_17block_load_methodE3ELS4_3ELS4_3ELNS0_20block_scan_algorithmE0ELj4294967295EEENS1_25partition_config_selectorILNS1_17partition_subalgoE4EjNS0_10empty_typeEbEEZZNS1_14partition_implILS8_4ELb0ES6_15HIP_vector_typeIjLj2EENS0_17counting_iteratorIjlEEPS9_SG_NS0_5tupleIJPjSI_NS0_16reverse_iteratorISI_EEEEENSH_IJSG_SG_SG_EEES9_SI_JZNS1_25segmented_radix_sort_implINS0_14default_configELb1EPKbPbPKlPlN2at6native12_GLOBAL__N_18offset_tEEE10hipError_tPvRmT1_PNSt15iterator_traitsIS12_E10value_typeET2_T3_PNS13_IS18_E10value_typeET4_jRbjT5_S1E_jjP12ihipStream_tbEUljE_ZNSN_ISO_Lb1ESQ_SR_ST_SU_SY_EESZ_S10_S11_S12_S16_S17_S18_S1B_S1C_jS1D_jS1E_S1E_jjS1G_bEUljE0_EEESZ_S10_S11_S18_S1C_S1E_T6_T7_T9_mT8_S1G_bDpT10_ENKUlT_T0_E_clISt17integral_constantIbLb1EES1T_IbLb0EEEEDaS1P_S1Q_EUlS1P_E_NS1_11comp_targetILNS1_3genE10ELNS1_11target_archE1200ELNS1_3gpuE4ELNS1_3repE0EEENS1_30default_config_static_selectorELNS0_4arch9wavefront6targetE0EEEvS12_
		.amdhsa_group_segment_fixed_size 0
		.amdhsa_private_segment_fixed_size 0
		.amdhsa_kernarg_size 176
		.amdhsa_user_sgpr_count 15
		.amdhsa_user_sgpr_dispatch_ptr 0
		.amdhsa_user_sgpr_queue_ptr 0
		.amdhsa_user_sgpr_kernarg_segment_ptr 1
		.amdhsa_user_sgpr_dispatch_id 0
		.amdhsa_user_sgpr_private_segment_size 0
		.amdhsa_wavefront_size32 1
		.amdhsa_uses_dynamic_stack 0
		.amdhsa_enable_private_segment 0
		.amdhsa_system_sgpr_workgroup_id_x 1
		.amdhsa_system_sgpr_workgroup_id_y 0
		.amdhsa_system_sgpr_workgroup_id_z 0
		.amdhsa_system_sgpr_workgroup_info 0
		.amdhsa_system_vgpr_workitem_id 0
		.amdhsa_next_free_vgpr 1
		.amdhsa_next_free_sgpr 1
		.amdhsa_reserve_vcc 0
		.amdhsa_float_round_mode_32 0
		.amdhsa_float_round_mode_16_64 0
		.amdhsa_float_denorm_mode_32 3
		.amdhsa_float_denorm_mode_16_64 3
		.amdhsa_dx10_clamp 1
		.amdhsa_ieee_mode 1
		.amdhsa_fp16_overflow 0
		.amdhsa_workgroup_processor_mode 1
		.amdhsa_memory_ordered 1
		.amdhsa_forward_progress 0
		.amdhsa_shared_vgpr_count 0
		.amdhsa_exception_fp_ieee_invalid_op 0
		.amdhsa_exception_fp_denorm_src 0
		.amdhsa_exception_fp_ieee_div_zero 0
		.amdhsa_exception_fp_ieee_overflow 0
		.amdhsa_exception_fp_ieee_underflow 0
		.amdhsa_exception_fp_ieee_inexact 0
		.amdhsa_exception_int_div_zero 0
	.end_amdhsa_kernel
	.section	.text._ZN7rocprim17ROCPRIM_400000_NS6detail17trampoline_kernelINS0_13select_configILj256ELj13ELNS0_17block_load_methodE3ELS4_3ELS4_3ELNS0_20block_scan_algorithmE0ELj4294967295EEENS1_25partition_config_selectorILNS1_17partition_subalgoE4EjNS0_10empty_typeEbEEZZNS1_14partition_implILS8_4ELb0ES6_15HIP_vector_typeIjLj2EENS0_17counting_iteratorIjlEEPS9_SG_NS0_5tupleIJPjSI_NS0_16reverse_iteratorISI_EEEEENSH_IJSG_SG_SG_EEES9_SI_JZNS1_25segmented_radix_sort_implINS0_14default_configELb1EPKbPbPKlPlN2at6native12_GLOBAL__N_18offset_tEEE10hipError_tPvRmT1_PNSt15iterator_traitsIS12_E10value_typeET2_T3_PNS13_IS18_E10value_typeET4_jRbjT5_S1E_jjP12ihipStream_tbEUljE_ZNSN_ISO_Lb1ESQ_SR_ST_SU_SY_EESZ_S10_S11_S12_S16_S17_S18_S1B_S1C_jS1D_jS1E_S1E_jjS1G_bEUljE0_EEESZ_S10_S11_S18_S1C_S1E_T6_T7_T9_mT8_S1G_bDpT10_ENKUlT_T0_E_clISt17integral_constantIbLb1EES1T_IbLb0EEEEDaS1P_S1Q_EUlS1P_E_NS1_11comp_targetILNS1_3genE10ELNS1_11target_archE1200ELNS1_3gpuE4ELNS1_3repE0EEENS1_30default_config_static_selectorELNS0_4arch9wavefront6targetE0EEEvS12_,"axG",@progbits,_ZN7rocprim17ROCPRIM_400000_NS6detail17trampoline_kernelINS0_13select_configILj256ELj13ELNS0_17block_load_methodE3ELS4_3ELS4_3ELNS0_20block_scan_algorithmE0ELj4294967295EEENS1_25partition_config_selectorILNS1_17partition_subalgoE4EjNS0_10empty_typeEbEEZZNS1_14partition_implILS8_4ELb0ES6_15HIP_vector_typeIjLj2EENS0_17counting_iteratorIjlEEPS9_SG_NS0_5tupleIJPjSI_NS0_16reverse_iteratorISI_EEEEENSH_IJSG_SG_SG_EEES9_SI_JZNS1_25segmented_radix_sort_implINS0_14default_configELb1EPKbPbPKlPlN2at6native12_GLOBAL__N_18offset_tEEE10hipError_tPvRmT1_PNSt15iterator_traitsIS12_E10value_typeET2_T3_PNS13_IS18_E10value_typeET4_jRbjT5_S1E_jjP12ihipStream_tbEUljE_ZNSN_ISO_Lb1ESQ_SR_ST_SU_SY_EESZ_S10_S11_S12_S16_S17_S18_S1B_S1C_jS1D_jS1E_S1E_jjS1G_bEUljE0_EEESZ_S10_S11_S18_S1C_S1E_T6_T7_T9_mT8_S1G_bDpT10_ENKUlT_T0_E_clISt17integral_constantIbLb1EES1T_IbLb0EEEEDaS1P_S1Q_EUlS1P_E_NS1_11comp_targetILNS1_3genE10ELNS1_11target_archE1200ELNS1_3gpuE4ELNS1_3repE0EEENS1_30default_config_static_selectorELNS0_4arch9wavefront6targetE0EEEvS12_,comdat
.Lfunc_end1489:
	.size	_ZN7rocprim17ROCPRIM_400000_NS6detail17trampoline_kernelINS0_13select_configILj256ELj13ELNS0_17block_load_methodE3ELS4_3ELS4_3ELNS0_20block_scan_algorithmE0ELj4294967295EEENS1_25partition_config_selectorILNS1_17partition_subalgoE4EjNS0_10empty_typeEbEEZZNS1_14partition_implILS8_4ELb0ES6_15HIP_vector_typeIjLj2EENS0_17counting_iteratorIjlEEPS9_SG_NS0_5tupleIJPjSI_NS0_16reverse_iteratorISI_EEEEENSH_IJSG_SG_SG_EEES9_SI_JZNS1_25segmented_radix_sort_implINS0_14default_configELb1EPKbPbPKlPlN2at6native12_GLOBAL__N_18offset_tEEE10hipError_tPvRmT1_PNSt15iterator_traitsIS12_E10value_typeET2_T3_PNS13_IS18_E10value_typeET4_jRbjT5_S1E_jjP12ihipStream_tbEUljE_ZNSN_ISO_Lb1ESQ_SR_ST_SU_SY_EESZ_S10_S11_S12_S16_S17_S18_S1B_S1C_jS1D_jS1E_S1E_jjS1G_bEUljE0_EEESZ_S10_S11_S18_S1C_S1E_T6_T7_T9_mT8_S1G_bDpT10_ENKUlT_T0_E_clISt17integral_constantIbLb1EES1T_IbLb0EEEEDaS1P_S1Q_EUlS1P_E_NS1_11comp_targetILNS1_3genE10ELNS1_11target_archE1200ELNS1_3gpuE4ELNS1_3repE0EEENS1_30default_config_static_selectorELNS0_4arch9wavefront6targetE0EEEvS12_, .Lfunc_end1489-_ZN7rocprim17ROCPRIM_400000_NS6detail17trampoline_kernelINS0_13select_configILj256ELj13ELNS0_17block_load_methodE3ELS4_3ELS4_3ELNS0_20block_scan_algorithmE0ELj4294967295EEENS1_25partition_config_selectorILNS1_17partition_subalgoE4EjNS0_10empty_typeEbEEZZNS1_14partition_implILS8_4ELb0ES6_15HIP_vector_typeIjLj2EENS0_17counting_iteratorIjlEEPS9_SG_NS0_5tupleIJPjSI_NS0_16reverse_iteratorISI_EEEEENSH_IJSG_SG_SG_EEES9_SI_JZNS1_25segmented_radix_sort_implINS0_14default_configELb1EPKbPbPKlPlN2at6native12_GLOBAL__N_18offset_tEEE10hipError_tPvRmT1_PNSt15iterator_traitsIS12_E10value_typeET2_T3_PNS13_IS18_E10value_typeET4_jRbjT5_S1E_jjP12ihipStream_tbEUljE_ZNSN_ISO_Lb1ESQ_SR_ST_SU_SY_EESZ_S10_S11_S12_S16_S17_S18_S1B_S1C_jS1D_jS1E_S1E_jjS1G_bEUljE0_EEESZ_S10_S11_S18_S1C_S1E_T6_T7_T9_mT8_S1G_bDpT10_ENKUlT_T0_E_clISt17integral_constantIbLb1EES1T_IbLb0EEEEDaS1P_S1Q_EUlS1P_E_NS1_11comp_targetILNS1_3genE10ELNS1_11target_archE1200ELNS1_3gpuE4ELNS1_3repE0EEENS1_30default_config_static_selectorELNS0_4arch9wavefront6targetE0EEEvS12_
                                        ; -- End function
	.section	.AMDGPU.csdata,"",@progbits
; Kernel info:
; codeLenInByte = 0
; NumSgprs: 0
; NumVgprs: 0
; ScratchSize: 0
; MemoryBound: 0
; FloatMode: 240
; IeeeMode: 1
; LDSByteSize: 0 bytes/workgroup (compile time only)
; SGPRBlocks: 0
; VGPRBlocks: 0
; NumSGPRsForWavesPerEU: 1
; NumVGPRsForWavesPerEU: 1
; Occupancy: 16
; WaveLimiterHint : 0
; COMPUTE_PGM_RSRC2:SCRATCH_EN: 0
; COMPUTE_PGM_RSRC2:USER_SGPR: 15
; COMPUTE_PGM_RSRC2:TRAP_HANDLER: 0
; COMPUTE_PGM_RSRC2:TGID_X_EN: 1
; COMPUTE_PGM_RSRC2:TGID_Y_EN: 0
; COMPUTE_PGM_RSRC2:TGID_Z_EN: 0
; COMPUTE_PGM_RSRC2:TIDIG_COMP_CNT: 0
	.section	.text._ZN7rocprim17ROCPRIM_400000_NS6detail17trampoline_kernelINS0_13select_configILj256ELj13ELNS0_17block_load_methodE3ELS4_3ELS4_3ELNS0_20block_scan_algorithmE0ELj4294967295EEENS1_25partition_config_selectorILNS1_17partition_subalgoE4EjNS0_10empty_typeEbEEZZNS1_14partition_implILS8_4ELb0ES6_15HIP_vector_typeIjLj2EENS0_17counting_iteratorIjlEEPS9_SG_NS0_5tupleIJPjSI_NS0_16reverse_iteratorISI_EEEEENSH_IJSG_SG_SG_EEES9_SI_JZNS1_25segmented_radix_sort_implINS0_14default_configELb1EPKbPbPKlPlN2at6native12_GLOBAL__N_18offset_tEEE10hipError_tPvRmT1_PNSt15iterator_traitsIS12_E10value_typeET2_T3_PNS13_IS18_E10value_typeET4_jRbjT5_S1E_jjP12ihipStream_tbEUljE_ZNSN_ISO_Lb1ESQ_SR_ST_SU_SY_EESZ_S10_S11_S12_S16_S17_S18_S1B_S1C_jS1D_jS1E_S1E_jjS1G_bEUljE0_EEESZ_S10_S11_S18_S1C_S1E_T6_T7_T9_mT8_S1G_bDpT10_ENKUlT_T0_E_clISt17integral_constantIbLb1EES1T_IbLb0EEEEDaS1P_S1Q_EUlS1P_E_NS1_11comp_targetILNS1_3genE9ELNS1_11target_archE1100ELNS1_3gpuE3ELNS1_3repE0EEENS1_30default_config_static_selectorELNS0_4arch9wavefront6targetE0EEEvS12_,"axG",@progbits,_ZN7rocprim17ROCPRIM_400000_NS6detail17trampoline_kernelINS0_13select_configILj256ELj13ELNS0_17block_load_methodE3ELS4_3ELS4_3ELNS0_20block_scan_algorithmE0ELj4294967295EEENS1_25partition_config_selectorILNS1_17partition_subalgoE4EjNS0_10empty_typeEbEEZZNS1_14partition_implILS8_4ELb0ES6_15HIP_vector_typeIjLj2EENS0_17counting_iteratorIjlEEPS9_SG_NS0_5tupleIJPjSI_NS0_16reverse_iteratorISI_EEEEENSH_IJSG_SG_SG_EEES9_SI_JZNS1_25segmented_radix_sort_implINS0_14default_configELb1EPKbPbPKlPlN2at6native12_GLOBAL__N_18offset_tEEE10hipError_tPvRmT1_PNSt15iterator_traitsIS12_E10value_typeET2_T3_PNS13_IS18_E10value_typeET4_jRbjT5_S1E_jjP12ihipStream_tbEUljE_ZNSN_ISO_Lb1ESQ_SR_ST_SU_SY_EESZ_S10_S11_S12_S16_S17_S18_S1B_S1C_jS1D_jS1E_S1E_jjS1G_bEUljE0_EEESZ_S10_S11_S18_S1C_S1E_T6_T7_T9_mT8_S1G_bDpT10_ENKUlT_T0_E_clISt17integral_constantIbLb1EES1T_IbLb0EEEEDaS1P_S1Q_EUlS1P_E_NS1_11comp_targetILNS1_3genE9ELNS1_11target_archE1100ELNS1_3gpuE3ELNS1_3repE0EEENS1_30default_config_static_selectorELNS0_4arch9wavefront6targetE0EEEvS12_,comdat
	.globl	_ZN7rocprim17ROCPRIM_400000_NS6detail17trampoline_kernelINS0_13select_configILj256ELj13ELNS0_17block_load_methodE3ELS4_3ELS4_3ELNS0_20block_scan_algorithmE0ELj4294967295EEENS1_25partition_config_selectorILNS1_17partition_subalgoE4EjNS0_10empty_typeEbEEZZNS1_14partition_implILS8_4ELb0ES6_15HIP_vector_typeIjLj2EENS0_17counting_iteratorIjlEEPS9_SG_NS0_5tupleIJPjSI_NS0_16reverse_iteratorISI_EEEEENSH_IJSG_SG_SG_EEES9_SI_JZNS1_25segmented_radix_sort_implINS0_14default_configELb1EPKbPbPKlPlN2at6native12_GLOBAL__N_18offset_tEEE10hipError_tPvRmT1_PNSt15iterator_traitsIS12_E10value_typeET2_T3_PNS13_IS18_E10value_typeET4_jRbjT5_S1E_jjP12ihipStream_tbEUljE_ZNSN_ISO_Lb1ESQ_SR_ST_SU_SY_EESZ_S10_S11_S12_S16_S17_S18_S1B_S1C_jS1D_jS1E_S1E_jjS1G_bEUljE0_EEESZ_S10_S11_S18_S1C_S1E_T6_T7_T9_mT8_S1G_bDpT10_ENKUlT_T0_E_clISt17integral_constantIbLb1EES1T_IbLb0EEEEDaS1P_S1Q_EUlS1P_E_NS1_11comp_targetILNS1_3genE9ELNS1_11target_archE1100ELNS1_3gpuE3ELNS1_3repE0EEENS1_30default_config_static_selectorELNS0_4arch9wavefront6targetE0EEEvS12_ ; -- Begin function _ZN7rocprim17ROCPRIM_400000_NS6detail17trampoline_kernelINS0_13select_configILj256ELj13ELNS0_17block_load_methodE3ELS4_3ELS4_3ELNS0_20block_scan_algorithmE0ELj4294967295EEENS1_25partition_config_selectorILNS1_17partition_subalgoE4EjNS0_10empty_typeEbEEZZNS1_14partition_implILS8_4ELb0ES6_15HIP_vector_typeIjLj2EENS0_17counting_iteratorIjlEEPS9_SG_NS0_5tupleIJPjSI_NS0_16reverse_iteratorISI_EEEEENSH_IJSG_SG_SG_EEES9_SI_JZNS1_25segmented_radix_sort_implINS0_14default_configELb1EPKbPbPKlPlN2at6native12_GLOBAL__N_18offset_tEEE10hipError_tPvRmT1_PNSt15iterator_traitsIS12_E10value_typeET2_T3_PNS13_IS18_E10value_typeET4_jRbjT5_S1E_jjP12ihipStream_tbEUljE_ZNSN_ISO_Lb1ESQ_SR_ST_SU_SY_EESZ_S10_S11_S12_S16_S17_S18_S1B_S1C_jS1D_jS1E_S1E_jjS1G_bEUljE0_EEESZ_S10_S11_S18_S1C_S1E_T6_T7_T9_mT8_S1G_bDpT10_ENKUlT_T0_E_clISt17integral_constantIbLb1EES1T_IbLb0EEEEDaS1P_S1Q_EUlS1P_E_NS1_11comp_targetILNS1_3genE9ELNS1_11target_archE1100ELNS1_3gpuE3ELNS1_3repE0EEENS1_30default_config_static_selectorELNS0_4arch9wavefront6targetE0EEEvS12_
	.p2align	8
	.type	_ZN7rocprim17ROCPRIM_400000_NS6detail17trampoline_kernelINS0_13select_configILj256ELj13ELNS0_17block_load_methodE3ELS4_3ELS4_3ELNS0_20block_scan_algorithmE0ELj4294967295EEENS1_25partition_config_selectorILNS1_17partition_subalgoE4EjNS0_10empty_typeEbEEZZNS1_14partition_implILS8_4ELb0ES6_15HIP_vector_typeIjLj2EENS0_17counting_iteratorIjlEEPS9_SG_NS0_5tupleIJPjSI_NS0_16reverse_iteratorISI_EEEEENSH_IJSG_SG_SG_EEES9_SI_JZNS1_25segmented_radix_sort_implINS0_14default_configELb1EPKbPbPKlPlN2at6native12_GLOBAL__N_18offset_tEEE10hipError_tPvRmT1_PNSt15iterator_traitsIS12_E10value_typeET2_T3_PNS13_IS18_E10value_typeET4_jRbjT5_S1E_jjP12ihipStream_tbEUljE_ZNSN_ISO_Lb1ESQ_SR_ST_SU_SY_EESZ_S10_S11_S12_S16_S17_S18_S1B_S1C_jS1D_jS1E_S1E_jjS1G_bEUljE0_EEESZ_S10_S11_S18_S1C_S1E_T6_T7_T9_mT8_S1G_bDpT10_ENKUlT_T0_E_clISt17integral_constantIbLb1EES1T_IbLb0EEEEDaS1P_S1Q_EUlS1P_E_NS1_11comp_targetILNS1_3genE9ELNS1_11target_archE1100ELNS1_3gpuE3ELNS1_3repE0EEENS1_30default_config_static_selectorELNS0_4arch9wavefront6targetE0EEEvS12_,@function
_ZN7rocprim17ROCPRIM_400000_NS6detail17trampoline_kernelINS0_13select_configILj256ELj13ELNS0_17block_load_methodE3ELS4_3ELS4_3ELNS0_20block_scan_algorithmE0ELj4294967295EEENS1_25partition_config_selectorILNS1_17partition_subalgoE4EjNS0_10empty_typeEbEEZZNS1_14partition_implILS8_4ELb0ES6_15HIP_vector_typeIjLj2EENS0_17counting_iteratorIjlEEPS9_SG_NS0_5tupleIJPjSI_NS0_16reverse_iteratorISI_EEEEENSH_IJSG_SG_SG_EEES9_SI_JZNS1_25segmented_radix_sort_implINS0_14default_configELb1EPKbPbPKlPlN2at6native12_GLOBAL__N_18offset_tEEE10hipError_tPvRmT1_PNSt15iterator_traitsIS12_E10value_typeET2_T3_PNS13_IS18_E10value_typeET4_jRbjT5_S1E_jjP12ihipStream_tbEUljE_ZNSN_ISO_Lb1ESQ_SR_ST_SU_SY_EESZ_S10_S11_S12_S16_S17_S18_S1B_S1C_jS1D_jS1E_S1E_jjS1G_bEUljE0_EEESZ_S10_S11_S18_S1C_S1E_T6_T7_T9_mT8_S1G_bDpT10_ENKUlT_T0_E_clISt17integral_constantIbLb1EES1T_IbLb0EEEEDaS1P_S1Q_EUlS1P_E_NS1_11comp_targetILNS1_3genE9ELNS1_11target_archE1100ELNS1_3gpuE3ELNS1_3repE0EEENS1_30default_config_static_selectorELNS0_4arch9wavefront6targetE0EEEvS12_: ; @_ZN7rocprim17ROCPRIM_400000_NS6detail17trampoline_kernelINS0_13select_configILj256ELj13ELNS0_17block_load_methodE3ELS4_3ELS4_3ELNS0_20block_scan_algorithmE0ELj4294967295EEENS1_25partition_config_selectorILNS1_17partition_subalgoE4EjNS0_10empty_typeEbEEZZNS1_14partition_implILS8_4ELb0ES6_15HIP_vector_typeIjLj2EENS0_17counting_iteratorIjlEEPS9_SG_NS0_5tupleIJPjSI_NS0_16reverse_iteratorISI_EEEEENSH_IJSG_SG_SG_EEES9_SI_JZNS1_25segmented_radix_sort_implINS0_14default_configELb1EPKbPbPKlPlN2at6native12_GLOBAL__N_18offset_tEEE10hipError_tPvRmT1_PNSt15iterator_traitsIS12_E10value_typeET2_T3_PNS13_IS18_E10value_typeET4_jRbjT5_S1E_jjP12ihipStream_tbEUljE_ZNSN_ISO_Lb1ESQ_SR_ST_SU_SY_EESZ_S10_S11_S12_S16_S17_S18_S1B_S1C_jS1D_jS1E_S1E_jjS1G_bEUljE0_EEESZ_S10_S11_S18_S1C_S1E_T6_T7_T9_mT8_S1G_bDpT10_ENKUlT_T0_E_clISt17integral_constantIbLb1EES1T_IbLb0EEEEDaS1P_S1Q_EUlS1P_E_NS1_11comp_targetILNS1_3genE9ELNS1_11target_archE1100ELNS1_3gpuE3ELNS1_3repE0EEENS1_30default_config_static_selectorELNS0_4arch9wavefront6targetE0EEEvS12_
; %bb.0:
	s_clause 0x6
	s_load_b32 s5, s[0:1], 0x80
	s_load_b64 s[34:35], s[0:1], 0x10
	s_load_b64 s[2:3], s[0:1], 0x68
	s_load_b32 s8, s[0:1], 0x8
	s_load_b128 s[24:27], s[0:1], 0x58
	s_load_b64 s[40:41], s[0:1], 0xa8
	s_load_b256 s[16:23], s[0:1], 0x88
	s_mul_i32 s33, s15, 0xd00
	s_waitcnt lgkmcnt(0)
	s_mul_i32 s4, s5, 0xd00
	s_add_i32 s5, s5, -1
	s_add_u32 s6, s34, s4
	s_addc_u32 s7, s35, 0
	s_load_b128 s[28:31], s[26:27], 0x0
	s_cmp_eq_u32 s15, s5
	v_cmp_lt_u64_e64 s3, s[6:7], s[2:3]
	s_cselect_b32 s14, -1, 0
	s_cmp_lg_u32 s15, s5
	s_cselect_b32 s5, -1, 0
	s_add_i32 s6, s8, s33
	s_delay_alu instid0(VALU_DEP_1) | instskip(SKIP_4) | instid1(VALU_DEP_1)
	s_or_b32 s3, s5, s3
	s_add_i32 s6, s6, s34
	s_and_b32 vcc_lo, exec_lo, s3
	v_add_nc_u32_e32 v1, s6, v0
	s_mov_b32 s5, -1
	v_add_nc_u32_e32 v2, 0x100, v1
	v_add_nc_u32_e32 v3, 0x200, v1
	;; [unrolled: 1-line block ×12, first 2 shown]
	s_cbranch_vccz .LBB1490_2
; %bb.1:
	v_lshlrev_b32_e32 v14, 2, v0
	s_mov_b32 s5, 0
	ds_store_2addr_stride64_b32 v14, v1, v2 offset1:4
	ds_store_2addr_stride64_b32 v14, v3, v4 offset0:8 offset1:12
	ds_store_2addr_stride64_b32 v14, v5, v6 offset0:16 offset1:20
	;; [unrolled: 1-line block ×5, first 2 shown]
	ds_store_b32 v14, v13 offset:12288
	s_waitcnt lgkmcnt(0)
	s_barrier
.LBB1490_2:
	s_and_not1_b32 vcc_lo, exec_lo, s5
	s_add_i32 s4, s4, s34
	s_cbranch_vccnz .LBB1490_4
; %bb.3:
	v_lshlrev_b32_e32 v14, 2, v0
	ds_store_2addr_stride64_b32 v14, v1, v2 offset1:4
	ds_store_2addr_stride64_b32 v14, v3, v4 offset0:8 offset1:12
	ds_store_2addr_stride64_b32 v14, v5, v6 offset0:16 offset1:20
	ds_store_2addr_stride64_b32 v14, v7, v8 offset0:24 offset1:28
	ds_store_2addr_stride64_b32 v14, v9, v10 offset0:32 offset1:36
	ds_store_2addr_stride64_b32 v14, v11, v12 offset0:40 offset1:44
	ds_store_b32 v14, v13 offset:12288
	s_waitcnt lgkmcnt(0)
	s_barrier
.LBB1490_4:
	v_mul_u32_u24_e32 v28, 13, v0
	s_clause 0x1
	s_load_b128 s[36:39], s[0:1], 0x28
	s_load_b64 s[26:27], s[0:1], 0x38
	s_waitcnt lgkmcnt(0)
	buffer_gl0_inv
	v_cndmask_b32_e64 v26, 0, 1, s3
	s_sub_i32 s44, s2, s4
	v_lshlrev_b32_e32 v1, 2, v28
	s_and_not1_b32 vcc_lo, exec_lo, s3
	ds_load_2addr_b32 v[16:17], v1 offset1:1
	ds_load_2addr_b32 v[14:15], v1 offset0:2 offset1:3
	ds_load_2addr_b32 v[12:13], v1 offset0:4 offset1:5
	ds_load_2addr_b32 v[10:11], v1 offset0:6 offset1:7
	ds_load_2addr_b32 v[8:9], v1 offset0:8 offset1:9
	ds_load_2addr_b32 v[6:7], v1 offset0:10 offset1:11
	ds_load_b32 v27, v1 offset:48
	s_waitcnt lgkmcnt(0)
	s_barrier
	buffer_gl0_inv
	s_cbranch_vccnz .LBB1490_32
; %bb.5:
	v_add_nc_u32_e32 v1, s17, v16
	v_add_nc_u32_e32 v2, s19, v16
	s_mov_b32 s46, 0
	s_mov_b32 s45, 0
	s_mov_b32 s3, exec_lo
	v_mul_lo_u32 v1, v1, s16
	v_mul_lo_u32 v2, v2, s18
	s_delay_alu instid0(VALU_DEP_1) | instskip(NEXT) | instid1(VALU_DEP_1)
	v_sub_nc_u32_e32 v1, v1, v2
	v_cmp_lt_u32_e32 vcc_lo, s20, v1
	v_cmpx_ge_u32_e64 s20, v1
; %bb.6:
	v_add_nc_u32_e32 v1, s22, v16
	v_add_nc_u32_e32 v2, s40, v16
	s_delay_alu instid0(VALU_DEP_2) | instskip(NEXT) | instid1(VALU_DEP_2)
	v_mul_lo_u32 v1, v1, s21
	v_mul_lo_u32 v2, v2, s23
	s_delay_alu instid0(VALU_DEP_1) | instskip(NEXT) | instid1(VALU_DEP_1)
	v_sub_nc_u32_e32 v1, v1, v2
	v_cmp_lt_u32_e64 s2, s41, v1
	s_delay_alu instid0(VALU_DEP_1)
	s_and_b32 s45, s2, exec_lo
; %bb.7:
	s_or_b32 exec_lo, exec_lo, s3
	v_add_nc_u32_e32 v1, s17, v17
	v_add_nc_u32_e32 v2, s19, v17
	s_mov_b32 s4, exec_lo
	s_delay_alu instid0(VALU_DEP_2) | instskip(NEXT) | instid1(VALU_DEP_2)
	v_mul_lo_u32 v1, v1, s16
	v_mul_lo_u32 v2, v2, s18
	s_delay_alu instid0(VALU_DEP_1) | instskip(NEXT) | instid1(VALU_DEP_1)
	v_sub_nc_u32_e32 v1, v1, v2
	v_cmp_lt_u32_e64 s2, s20, v1
	v_cmpx_ge_u32_e64 s20, v1
; %bb.8:
	v_add_nc_u32_e32 v1, s22, v17
	v_add_nc_u32_e32 v2, s40, v17
	s_delay_alu instid0(VALU_DEP_2) | instskip(NEXT) | instid1(VALU_DEP_2)
	v_mul_lo_u32 v1, v1, s21
	v_mul_lo_u32 v2, v2, s23
	s_delay_alu instid0(VALU_DEP_1) | instskip(NEXT) | instid1(VALU_DEP_1)
	v_sub_nc_u32_e32 v1, v1, v2
	v_cmp_lt_u32_e64 s3, s41, v1
	s_delay_alu instid0(VALU_DEP_1)
	s_and_b32 s46, s3, exec_lo
; %bb.9:
	s_or_b32 exec_lo, exec_lo, s4
	v_add_nc_u32_e32 v1, s17, v14
	v_add_nc_u32_e32 v2, s19, v14
	s_mov_b32 s48, 0
	s_mov_b32 s47, 0
	s_mov_b32 s5, exec_lo
	v_mul_lo_u32 v1, v1, s16
	v_mul_lo_u32 v2, v2, s18
	s_delay_alu instid0(VALU_DEP_1) | instskip(NEXT) | instid1(VALU_DEP_1)
	v_sub_nc_u32_e32 v1, v1, v2
	v_cmp_lt_u32_e64 s3, s20, v1
	v_cmpx_ge_u32_e64 s20, v1
; %bb.10:
	v_add_nc_u32_e32 v1, s22, v14
	v_add_nc_u32_e32 v2, s40, v14
	s_delay_alu instid0(VALU_DEP_2) | instskip(NEXT) | instid1(VALU_DEP_2)
	v_mul_lo_u32 v1, v1, s21
	v_mul_lo_u32 v2, v2, s23
	s_delay_alu instid0(VALU_DEP_1) | instskip(NEXT) | instid1(VALU_DEP_1)
	v_sub_nc_u32_e32 v1, v1, v2
	v_cmp_lt_u32_e64 s4, s41, v1
	s_delay_alu instid0(VALU_DEP_1)
	s_and_b32 s47, s4, exec_lo
; %bb.11:
	s_or_b32 exec_lo, exec_lo, s5
	v_add_nc_u32_e32 v1, s17, v15
	v_add_nc_u32_e32 v2, s19, v15
	s_mov_b32 s6, exec_lo
	s_delay_alu instid0(VALU_DEP_2) | instskip(NEXT) | instid1(VALU_DEP_2)
	v_mul_lo_u32 v1, v1, s16
	v_mul_lo_u32 v2, v2, s18
	s_delay_alu instid0(VALU_DEP_1) | instskip(NEXT) | instid1(VALU_DEP_1)
	v_sub_nc_u32_e32 v1, v1, v2
	v_cmp_lt_u32_e64 s4, s20, v1
	v_cmpx_ge_u32_e64 s20, v1
; %bb.12:
	v_add_nc_u32_e32 v1, s22, v15
	v_add_nc_u32_e32 v2, s40, v15
	s_delay_alu instid0(VALU_DEP_2) | instskip(NEXT) | instid1(VALU_DEP_2)
	v_mul_lo_u32 v1, v1, s21
	v_mul_lo_u32 v2, v2, s23
	s_delay_alu instid0(VALU_DEP_1) | instskip(NEXT) | instid1(VALU_DEP_1)
	v_sub_nc_u32_e32 v1, v1, v2
	v_cmp_lt_u32_e64 s5, s41, v1
	s_delay_alu instid0(VALU_DEP_1)
	s_and_b32 s48, s5, exec_lo
; %bb.13:
	s_or_b32 exec_lo, exec_lo, s6
	v_add_nc_u32_e32 v1, s17, v12
	v_add_nc_u32_e32 v2, s19, v12
	s_mov_b32 s50, 0
	s_mov_b32 s49, 0
	s_mov_b32 s7, exec_lo
	v_mul_lo_u32 v1, v1, s16
	v_mul_lo_u32 v2, v2, s18
	s_delay_alu instid0(VALU_DEP_1) | instskip(NEXT) | instid1(VALU_DEP_1)
	v_sub_nc_u32_e32 v1, v1, v2
	v_cmp_lt_u32_e64 s5, s20, v1
	v_cmpx_ge_u32_e64 s20, v1
; %bb.14:
	v_add_nc_u32_e32 v1, s22, v12
	v_add_nc_u32_e32 v2, s40, v12
	s_delay_alu instid0(VALU_DEP_2) | instskip(NEXT) | instid1(VALU_DEP_2)
	v_mul_lo_u32 v1, v1, s21
	v_mul_lo_u32 v2, v2, s23
	s_delay_alu instid0(VALU_DEP_1) | instskip(NEXT) | instid1(VALU_DEP_1)
	v_sub_nc_u32_e32 v1, v1, v2
	v_cmp_lt_u32_e64 s6, s41, v1
	s_delay_alu instid0(VALU_DEP_1)
	s_and_b32 s49, s6, exec_lo
; %bb.15:
	s_or_b32 exec_lo, exec_lo, s7
	v_add_nc_u32_e32 v1, s17, v13
	v_add_nc_u32_e32 v2, s19, v13
	s_mov_b32 s8, exec_lo
	s_delay_alu instid0(VALU_DEP_2) | instskip(NEXT) | instid1(VALU_DEP_2)
	v_mul_lo_u32 v1, v1, s16
	v_mul_lo_u32 v2, v2, s18
	s_delay_alu instid0(VALU_DEP_1) | instskip(NEXT) | instid1(VALU_DEP_1)
	v_sub_nc_u32_e32 v1, v1, v2
	v_cmp_lt_u32_e64 s6, s20, v1
	v_cmpx_ge_u32_e64 s20, v1
; %bb.16:
	v_add_nc_u32_e32 v1, s22, v13
	v_add_nc_u32_e32 v2, s40, v13
	s_delay_alu instid0(VALU_DEP_2) | instskip(NEXT) | instid1(VALU_DEP_2)
	v_mul_lo_u32 v1, v1, s21
	v_mul_lo_u32 v2, v2, s23
	s_delay_alu instid0(VALU_DEP_1) | instskip(NEXT) | instid1(VALU_DEP_1)
	v_sub_nc_u32_e32 v1, v1, v2
	v_cmp_lt_u32_e64 s7, s41, v1
	s_delay_alu instid0(VALU_DEP_1)
	s_and_b32 s50, s7, exec_lo
; %bb.17:
	s_or_b32 exec_lo, exec_lo, s8
	v_add_nc_u32_e32 v1, s17, v10
	v_add_nc_u32_e32 v2, s19, v10
	s_mov_b32 s52, 0
	s_mov_b32 s51, 0
	s_mov_b32 s9, exec_lo
	v_mul_lo_u32 v1, v1, s16
	v_mul_lo_u32 v2, v2, s18
	s_delay_alu instid0(VALU_DEP_1) | instskip(NEXT) | instid1(VALU_DEP_1)
	v_sub_nc_u32_e32 v1, v1, v2
	v_cmp_lt_u32_e64 s7, s20, v1
	v_cmpx_ge_u32_e64 s20, v1
; %bb.18:
	v_add_nc_u32_e32 v1, s22, v10
	v_add_nc_u32_e32 v2, s40, v10
	s_delay_alu instid0(VALU_DEP_2) | instskip(NEXT) | instid1(VALU_DEP_2)
	v_mul_lo_u32 v1, v1, s21
	v_mul_lo_u32 v2, v2, s23
	s_delay_alu instid0(VALU_DEP_1) | instskip(NEXT) | instid1(VALU_DEP_1)
	v_sub_nc_u32_e32 v1, v1, v2
	v_cmp_lt_u32_e64 s8, s41, v1
	s_delay_alu instid0(VALU_DEP_1)
	s_and_b32 s51, s8, exec_lo
; %bb.19:
	s_or_b32 exec_lo, exec_lo, s9
	v_add_nc_u32_e32 v1, s17, v11
	v_add_nc_u32_e32 v2, s19, v11
	s_mov_b32 s10, exec_lo
	s_delay_alu instid0(VALU_DEP_2) | instskip(NEXT) | instid1(VALU_DEP_2)
	v_mul_lo_u32 v1, v1, s16
	v_mul_lo_u32 v2, v2, s18
	s_delay_alu instid0(VALU_DEP_1) | instskip(NEXT) | instid1(VALU_DEP_1)
	v_sub_nc_u32_e32 v1, v1, v2
	v_cmp_lt_u32_e64 s8, s20, v1
	v_cmpx_ge_u32_e64 s20, v1
; %bb.20:
	v_add_nc_u32_e32 v1, s22, v11
	v_add_nc_u32_e32 v2, s40, v11
	s_delay_alu instid0(VALU_DEP_2) | instskip(NEXT) | instid1(VALU_DEP_2)
	v_mul_lo_u32 v1, v1, s21
	v_mul_lo_u32 v2, v2, s23
	s_delay_alu instid0(VALU_DEP_1) | instskip(NEXT) | instid1(VALU_DEP_1)
	v_sub_nc_u32_e32 v1, v1, v2
	v_cmp_lt_u32_e64 s9, s41, v1
	s_delay_alu instid0(VALU_DEP_1)
	s_and_b32 s52, s9, exec_lo
; %bb.21:
	s_or_b32 exec_lo, exec_lo, s10
	v_add_nc_u32_e32 v1, s17, v8
	v_add_nc_u32_e32 v2, s19, v8
	s_mov_b32 s55, 0
	s_mov_b32 s54, 0
	s_mov_b32 s11, exec_lo
	v_mul_lo_u32 v1, v1, s16
	v_mul_lo_u32 v2, v2, s18
	s_delay_alu instid0(VALU_DEP_1) | instskip(NEXT) | instid1(VALU_DEP_1)
	v_sub_nc_u32_e32 v1, v1, v2
	v_cmp_lt_u32_e64 s9, s20, v1
	v_cmpx_ge_u32_e64 s20, v1
; %bb.22:
	v_add_nc_u32_e32 v1, s22, v8
	v_add_nc_u32_e32 v2, s40, v8
	s_delay_alu instid0(VALU_DEP_2) | instskip(NEXT) | instid1(VALU_DEP_2)
	v_mul_lo_u32 v1, v1, s21
	v_mul_lo_u32 v2, v2, s23
	s_delay_alu instid0(VALU_DEP_1) | instskip(NEXT) | instid1(VALU_DEP_1)
	v_sub_nc_u32_e32 v1, v1, v2
	v_cmp_lt_u32_e64 s10, s41, v1
	s_delay_alu instid0(VALU_DEP_1)
	s_and_b32 s54, s10, exec_lo
; %bb.23:
	s_or_b32 exec_lo, exec_lo, s11
	v_add_nc_u32_e32 v1, s17, v9
	v_add_nc_u32_e32 v2, s19, v9
	s_mov_b32 s12, exec_lo
	s_delay_alu instid0(VALU_DEP_2) | instskip(NEXT) | instid1(VALU_DEP_2)
	v_mul_lo_u32 v1, v1, s16
	v_mul_lo_u32 v2, v2, s18
	s_delay_alu instid0(VALU_DEP_1) | instskip(NEXT) | instid1(VALU_DEP_1)
	v_sub_nc_u32_e32 v1, v1, v2
	v_cmp_lt_u32_e64 s10, s20, v1
	v_cmpx_ge_u32_e64 s20, v1
; %bb.24:
	v_add_nc_u32_e32 v1, s22, v9
	v_add_nc_u32_e32 v2, s40, v9
	s_delay_alu instid0(VALU_DEP_2) | instskip(NEXT) | instid1(VALU_DEP_2)
	v_mul_lo_u32 v1, v1, s21
	v_mul_lo_u32 v2, v2, s23
	s_delay_alu instid0(VALU_DEP_1) | instskip(NEXT) | instid1(VALU_DEP_1)
	v_sub_nc_u32_e32 v1, v1, v2
	v_cmp_lt_u32_e64 s11, s41, v1
	s_delay_alu instid0(VALU_DEP_1)
	s_and_b32 s55, s11, exec_lo
; %bb.25:
	s_or_b32 exec_lo, exec_lo, s12
	v_add_nc_u32_e32 v1, s17, v6
	v_add_nc_u32_e32 v2, s19, v6
	s_mov_b32 s56, 0
	s_mov_b32 s57, 0
	s_mov_b32 s13, exec_lo
	v_mul_lo_u32 v1, v1, s16
	v_mul_lo_u32 v2, v2, s18
	s_delay_alu instid0(VALU_DEP_1) | instskip(NEXT) | instid1(VALU_DEP_1)
	v_sub_nc_u32_e32 v1, v1, v2
	v_cmp_lt_u32_e64 s11, s20, v1
	v_cmpx_ge_u32_e64 s20, v1
; %bb.26:
	v_add_nc_u32_e32 v1, s22, v6
	v_add_nc_u32_e32 v2, s40, v6
	s_delay_alu instid0(VALU_DEP_2) | instskip(NEXT) | instid1(VALU_DEP_2)
	v_mul_lo_u32 v1, v1, s21
	v_mul_lo_u32 v2, v2, s23
	s_delay_alu instid0(VALU_DEP_1) | instskip(NEXT) | instid1(VALU_DEP_1)
	v_sub_nc_u32_e32 v1, v1, v2
	v_cmp_lt_u32_e64 s12, s41, v1
	s_delay_alu instid0(VALU_DEP_1)
	s_and_b32 s57, s12, exec_lo
; %bb.27:
	s_or_b32 exec_lo, exec_lo, s13
	v_add_nc_u32_e32 v1, s17, v7
	v_add_nc_u32_e32 v2, s19, v7
	s_mov_b32 s42, exec_lo
	s_delay_alu instid0(VALU_DEP_2) | instskip(NEXT) | instid1(VALU_DEP_2)
	v_mul_lo_u32 v1, v1, s16
	v_mul_lo_u32 v2, v2, s18
	s_delay_alu instid0(VALU_DEP_1) | instskip(NEXT) | instid1(VALU_DEP_1)
	v_sub_nc_u32_e32 v1, v1, v2
	v_cmp_lt_u32_e64 s12, s20, v1
	v_cmpx_ge_u32_e64 s20, v1
; %bb.28:
	v_add_nc_u32_e32 v1, s22, v7
	v_add_nc_u32_e32 v2, s40, v7
	s_delay_alu instid0(VALU_DEP_2) | instskip(NEXT) | instid1(VALU_DEP_2)
	v_mul_lo_u32 v1, v1, s21
	v_mul_lo_u32 v2, v2, s23
	s_delay_alu instid0(VALU_DEP_1) | instskip(NEXT) | instid1(VALU_DEP_1)
	v_sub_nc_u32_e32 v1, v1, v2
	v_cmp_lt_u32_e64 s13, s41, v1
	s_delay_alu instid0(VALU_DEP_1)
	s_and_b32 s56, s13, exec_lo
; %bb.29:
	s_or_b32 exec_lo, exec_lo, s42
	v_add_nc_u32_e32 v1, s17, v27
	v_add_nc_u32_e32 v2, s19, v27
	s_mov_b32 s42, -1
	s_mov_b32 s53, 0
	s_mov_b32 s43, 0
	v_mul_lo_u32 v1, v1, s16
	v_mul_lo_u32 v2, v2, s18
	s_mov_b32 s58, exec_lo
	s_delay_alu instid0(VALU_DEP_1) | instskip(NEXT) | instid1(VALU_DEP_1)
	v_sub_nc_u32_e32 v1, v1, v2
	v_cmpx_ge_u32_e64 s20, v1
; %bb.30:
	v_add_nc_u32_e32 v1, s22, v27
	v_add_nc_u32_e32 v2, s40, v27
	s_xor_b32 s42, exec_lo, -1
	s_delay_alu instid0(VALU_DEP_2) | instskip(NEXT) | instid1(VALU_DEP_2)
	v_mul_lo_u32 v1, v1, s21
	v_mul_lo_u32 v2, v2, s23
	s_delay_alu instid0(VALU_DEP_1) | instskip(NEXT) | instid1(VALU_DEP_1)
	v_sub_nc_u32_e32 v1, v1, v2
	v_cmp_lt_u32_e64 s13, s41, v1
	s_delay_alu instid0(VALU_DEP_1)
	s_and_b32 s43, s13, exec_lo
; %bb.31:
	s_or_b32 exec_lo, exec_lo, s58
	v_cndmask_b32_e64 v48, 0, 1, s57
	v_cndmask_b32_e64 v51, 0, 1, s12
	;; [unrolled: 1-line block ×22, first 2 shown]
	v_cndmask_b32_e64 v29, 0, 1, vcc_lo
	v_cndmask_b32_e64 v52, 0, 1, s56
	s_load_b64 s[4:5], s[0:1], 0x78
	s_and_b32 vcc_lo, exec_lo, s53
	s_add_i32 s3, s44, 0xd00
	s_cbranch_vccnz .LBB1490_33
	s_branch .LBB1490_86
.LBB1490_32:
                                        ; implicit-def: $sgpr42
                                        ; implicit-def: $sgpr43
                                        ; implicit-def: $vgpr52
                                        ; implicit-def: $vgpr48
                                        ; implicit-def: $vgpr47
                                        ; implicit-def: $vgpr45
                                        ; implicit-def: $vgpr43
                                        ; implicit-def: $vgpr40
                                        ; implicit-def: $vgpr39
                                        ; implicit-def: $vgpr37
                                        ; implicit-def: $vgpr35
                                        ; implicit-def: $vgpr29
                                        ; implicit-def: $vgpr33
                                        ; implicit-def: $vgpr31
                                        ; implicit-def: $vgpr32
                                        ; implicit-def: $vgpr38
                                        ; implicit-def: $vgpr41
                                        ; implicit-def: $vgpr42
                                        ; implicit-def: $vgpr44
                                        ; implicit-def: $vgpr46
                                        ; implicit-def: $vgpr49
                                        ; implicit-def: $vgpr50
                                        ; implicit-def: $vgpr51
                                        ; implicit-def: $vgpr30
                                        ; implicit-def: $vgpr34
                                        ; implicit-def: $vgpr36
	s_load_b64 s[4:5], s[0:1], 0x78
	s_add_i32 s3, s44, 0xd00
	s_cbranch_execz .LBB1490_86
.LBB1490_33:
	v_dual_mov_b32 v30, 0 :: v_dual_mov_b32 v29, 0
	s_mov_b32 s2, 0
	s_mov_b32 s1, exec_lo
	v_cmpx_gt_u32_e64 s3, v28
	s_cbranch_execz .LBB1490_37
; %bb.34:
	v_add_nc_u32_e32 v1, s17, v16
	v_add_nc_u32_e32 v2, s19, v16
	s_mov_b32 s6, exec_lo
	s_delay_alu instid0(VALU_DEP_2) | instskip(NEXT) | instid1(VALU_DEP_2)
	v_mul_lo_u32 v1, v1, s16
	v_mul_lo_u32 v2, v2, s18
	s_delay_alu instid0(VALU_DEP_1) | instskip(NEXT) | instid1(VALU_DEP_1)
	v_sub_nc_u32_e32 v1, v1, v2
	v_cmp_lt_u32_e32 vcc_lo, s20, v1
	v_cmpx_ge_u32_e64 s20, v1
; %bb.35:
	v_add_nc_u32_e32 v1, s22, v16
	v_add_nc_u32_e32 v2, s40, v16
	s_delay_alu instid0(VALU_DEP_2) | instskip(NEXT) | instid1(VALU_DEP_2)
	v_mul_lo_u32 v1, v1, s21
	v_mul_lo_u32 v2, v2, s23
	s_delay_alu instid0(VALU_DEP_1) | instskip(NEXT) | instid1(VALU_DEP_1)
	v_sub_nc_u32_e32 v1, v1, v2
	v_cmp_lt_u32_e64 s0, s41, v1
	s_delay_alu instid0(VALU_DEP_1)
	s_and_b32 s2, s0, exec_lo
; %bb.36:
	s_or_b32 exec_lo, exec_lo, s6
	v_cndmask_b32_e64 v29, 0, 1, vcc_lo
	v_cndmask_b32_e64 v30, 0, 1, s2
.LBB1490_37:
	s_or_b32 exec_lo, exec_lo, s1
	v_dual_mov_b32 v34, 0 :: v_dual_add_nc_u32 v1, 1, v28
	v_mov_b32_e32 v33, 0
	s_mov_b32 s2, 0
	s_mov_b32 s1, exec_lo
	s_delay_alu instid0(VALU_DEP_2)
	v_cmpx_gt_u32_e64 s3, v1
	s_cbranch_execz .LBB1490_41
; %bb.38:
	v_add_nc_u32_e32 v1, s17, v17
	v_add_nc_u32_e32 v2, s19, v17
	s_mov_b32 s6, exec_lo
	s_delay_alu instid0(VALU_DEP_2) | instskip(NEXT) | instid1(VALU_DEP_2)
	v_mul_lo_u32 v1, v1, s16
	v_mul_lo_u32 v2, v2, s18
	s_delay_alu instid0(VALU_DEP_1) | instskip(NEXT) | instid1(VALU_DEP_1)
	v_sub_nc_u32_e32 v1, v1, v2
	v_cmp_lt_u32_e32 vcc_lo, s20, v1
	v_cmpx_ge_u32_e64 s20, v1
; %bb.39:
	v_add_nc_u32_e32 v1, s22, v17
	v_add_nc_u32_e32 v2, s40, v17
	s_delay_alu instid0(VALU_DEP_2) | instskip(NEXT) | instid1(VALU_DEP_2)
	v_mul_lo_u32 v1, v1, s21
	v_mul_lo_u32 v2, v2, s23
	s_delay_alu instid0(VALU_DEP_1) | instskip(NEXT) | instid1(VALU_DEP_1)
	v_sub_nc_u32_e32 v1, v1, v2
	v_cmp_lt_u32_e64 s0, s41, v1
	s_delay_alu instid0(VALU_DEP_1)
	s_and_b32 s2, s0, exec_lo
; %bb.40:
	s_or_b32 exec_lo, exec_lo, s6
	v_cndmask_b32_e64 v33, 0, 1, vcc_lo
	v_cndmask_b32_e64 v34, 0, 1, s2
.LBB1490_41:
	s_or_b32 exec_lo, exec_lo, s1
	v_dual_mov_b32 v36, 0 :: v_dual_add_nc_u32 v1, 2, v28
	v_mov_b32_e32 v31, 0
	s_mov_b32 s2, 0
	s_mov_b32 s1, exec_lo
	s_delay_alu instid0(VALU_DEP_2)
	;; [unrolled: 35-line block ×4, first 2 shown]
	v_cmpx_gt_u32_e64 s3, v1
	s_cbranch_execz .LBB1490_53
; %bb.50:
	v_add_nc_u32_e32 v1, s17, v12
	v_add_nc_u32_e32 v2, s19, v12
	s_mov_b32 s6, exec_lo
	s_delay_alu instid0(VALU_DEP_2) | instskip(NEXT) | instid1(VALU_DEP_2)
	v_mul_lo_u32 v1, v1, s16
	v_mul_lo_u32 v2, v2, s18
	s_delay_alu instid0(VALU_DEP_1) | instskip(NEXT) | instid1(VALU_DEP_1)
	v_sub_nc_u32_e32 v1, v1, v2
	v_cmp_lt_u32_e32 vcc_lo, s20, v1
	v_cmpx_ge_u32_e64 s20, v1
; %bb.51:
	v_add_nc_u32_e32 v1, s22, v12
	v_add_nc_u32_e32 v2, s40, v12
	s_delay_alu instid0(VALU_DEP_2) | instskip(NEXT) | instid1(VALU_DEP_2)
	v_mul_lo_u32 v1, v1, s21
	v_mul_lo_u32 v2, v2, s23
	s_delay_alu instid0(VALU_DEP_1) | instskip(NEXT) | instid1(VALU_DEP_1)
	v_sub_nc_u32_e32 v1, v1, v2
	v_cmp_lt_u32_e64 s0, s41, v1
	s_delay_alu instid0(VALU_DEP_1)
	s_and_b32 s2, s0, exec_lo
; %bb.52:
	s_or_b32 exec_lo, exec_lo, s6
	v_cndmask_b32_e64 v38, 0, 1, vcc_lo
	v_cndmask_b32_e64 v37, 0, 1, s2
.LBB1490_53:
	s_or_b32 exec_lo, exec_lo, s1
	v_add_nc_u32_e32 v1, 5, v28
	v_mov_b32_e32 v39, 0
	v_mov_b32_e32 v41, 0
	s_mov_b32 s2, 0
	s_mov_b32 s1, exec_lo
	v_cmpx_gt_u32_e64 s3, v1
	s_cbranch_execz .LBB1490_57
; %bb.54:
	v_add_nc_u32_e32 v1, s17, v13
	v_add_nc_u32_e32 v2, s19, v13
	s_mov_b32 s6, exec_lo
	s_delay_alu instid0(VALU_DEP_2) | instskip(NEXT) | instid1(VALU_DEP_2)
	v_mul_lo_u32 v1, v1, s16
	v_mul_lo_u32 v2, v2, s18
	s_delay_alu instid0(VALU_DEP_1) | instskip(NEXT) | instid1(VALU_DEP_1)
	v_sub_nc_u32_e32 v1, v1, v2
	v_cmp_lt_u32_e32 vcc_lo, s20, v1
	v_cmpx_ge_u32_e64 s20, v1
; %bb.55:
	v_add_nc_u32_e32 v1, s22, v13
	v_add_nc_u32_e32 v2, s40, v13
	s_delay_alu instid0(VALU_DEP_2) | instskip(NEXT) | instid1(VALU_DEP_2)
	v_mul_lo_u32 v1, v1, s21
	v_mul_lo_u32 v2, v2, s23
	s_delay_alu instid0(VALU_DEP_1) | instskip(NEXT) | instid1(VALU_DEP_1)
	v_sub_nc_u32_e32 v1, v1, v2
	v_cmp_lt_u32_e64 s0, s41, v1
	s_delay_alu instid0(VALU_DEP_1)
	s_and_b32 s2, s0, exec_lo
; %bb.56:
	s_or_b32 exec_lo, exec_lo, s6
	v_cndmask_b32_e64 v41, 0, 1, vcc_lo
	v_cndmask_b32_e64 v39, 0, 1, s2
.LBB1490_57:
	s_or_b32 exec_lo, exec_lo, s1
	v_dual_mov_b32 v40, 0 :: v_dual_add_nc_u32 v1, 6, v28
	v_mov_b32_e32 v42, 0
	s_mov_b32 s2, 0
	s_mov_b32 s1, exec_lo
	s_delay_alu instid0(VALU_DEP_2)
	v_cmpx_gt_u32_e64 s3, v1
	s_cbranch_execz .LBB1490_61
; %bb.58:
	v_add_nc_u32_e32 v1, s17, v10
	v_add_nc_u32_e32 v2, s19, v10
	s_mov_b32 s6, exec_lo
	s_delay_alu instid0(VALU_DEP_2) | instskip(NEXT) | instid1(VALU_DEP_2)
	v_mul_lo_u32 v1, v1, s16
	v_mul_lo_u32 v2, v2, s18
	s_delay_alu instid0(VALU_DEP_1) | instskip(NEXT) | instid1(VALU_DEP_1)
	v_sub_nc_u32_e32 v1, v1, v2
	v_cmp_lt_u32_e32 vcc_lo, s20, v1
	v_cmpx_ge_u32_e64 s20, v1
; %bb.59:
	v_add_nc_u32_e32 v1, s22, v10
	v_add_nc_u32_e32 v2, s40, v10
	s_delay_alu instid0(VALU_DEP_2) | instskip(NEXT) | instid1(VALU_DEP_2)
	v_mul_lo_u32 v1, v1, s21
	v_mul_lo_u32 v2, v2, s23
	s_delay_alu instid0(VALU_DEP_1) | instskip(NEXT) | instid1(VALU_DEP_1)
	v_sub_nc_u32_e32 v1, v1, v2
	v_cmp_lt_u32_e64 s0, s41, v1
	s_delay_alu instid0(VALU_DEP_1)
	s_and_b32 s2, s0, exec_lo
; %bb.60:
	s_or_b32 exec_lo, exec_lo, s6
	v_cndmask_b32_e64 v42, 0, 1, vcc_lo
	v_cndmask_b32_e64 v40, 0, 1, s2
.LBB1490_61:
	s_or_b32 exec_lo, exec_lo, s1
	v_dual_mov_b32 v44, 0 :: v_dual_add_nc_u32 v1, 7, v28
	v_mov_b32_e32 v43, 0
	s_mov_b32 s2, 0
	s_mov_b32 s1, exec_lo
	s_delay_alu instid0(VALU_DEP_2)
	;; [unrolled: 35-line block ×3, first 2 shown]
	v_cmpx_gt_u32_e64 s3, v1
	s_cbranch_execz .LBB1490_69
; %bb.66:
	v_add_nc_u32_e32 v1, s17, v8
	v_add_nc_u32_e32 v2, s19, v8
	s_mov_b32 s6, exec_lo
	s_delay_alu instid0(VALU_DEP_2) | instskip(NEXT) | instid1(VALU_DEP_2)
	v_mul_lo_u32 v1, v1, s16
	v_mul_lo_u32 v2, v2, s18
	s_delay_alu instid0(VALU_DEP_1) | instskip(NEXT) | instid1(VALU_DEP_1)
	v_sub_nc_u32_e32 v1, v1, v2
	v_cmp_lt_u32_e32 vcc_lo, s20, v1
	v_cmpx_ge_u32_e64 s20, v1
; %bb.67:
	v_add_nc_u32_e32 v1, s22, v8
	v_add_nc_u32_e32 v2, s40, v8
	s_delay_alu instid0(VALU_DEP_2) | instskip(NEXT) | instid1(VALU_DEP_2)
	v_mul_lo_u32 v1, v1, s21
	v_mul_lo_u32 v2, v2, s23
	s_delay_alu instid0(VALU_DEP_1) | instskip(NEXT) | instid1(VALU_DEP_1)
	v_sub_nc_u32_e32 v1, v1, v2
	v_cmp_lt_u32_e64 s0, s41, v1
	s_delay_alu instid0(VALU_DEP_1)
	s_and_b32 s2, s0, exec_lo
; %bb.68:
	s_or_b32 exec_lo, exec_lo, s6
	v_cndmask_b32_e64 v46, 0, 1, vcc_lo
	v_cndmask_b32_e64 v45, 0, 1, s2
.LBB1490_69:
	s_or_b32 exec_lo, exec_lo, s1
	v_add_nc_u32_e32 v1, 9, v28
	v_mov_b32_e32 v47, 0
	v_mov_b32_e32 v49, 0
	s_mov_b32 s2, 0
	s_mov_b32 s1, exec_lo
	v_cmpx_gt_u32_e64 s3, v1
	s_cbranch_execz .LBB1490_73
; %bb.70:
	v_add_nc_u32_e32 v1, s17, v9
	v_add_nc_u32_e32 v2, s19, v9
	s_mov_b32 s6, exec_lo
	s_delay_alu instid0(VALU_DEP_2) | instskip(NEXT) | instid1(VALU_DEP_2)
	v_mul_lo_u32 v1, v1, s16
	v_mul_lo_u32 v2, v2, s18
	s_delay_alu instid0(VALU_DEP_1) | instskip(NEXT) | instid1(VALU_DEP_1)
	v_sub_nc_u32_e32 v1, v1, v2
	v_cmp_lt_u32_e32 vcc_lo, s20, v1
	v_cmpx_ge_u32_e64 s20, v1
; %bb.71:
	v_add_nc_u32_e32 v1, s22, v9
	v_add_nc_u32_e32 v2, s40, v9
	s_delay_alu instid0(VALU_DEP_2) | instskip(NEXT) | instid1(VALU_DEP_2)
	v_mul_lo_u32 v1, v1, s21
	v_mul_lo_u32 v2, v2, s23
	s_delay_alu instid0(VALU_DEP_1) | instskip(NEXT) | instid1(VALU_DEP_1)
	v_sub_nc_u32_e32 v1, v1, v2
	v_cmp_lt_u32_e64 s0, s41, v1
	s_delay_alu instid0(VALU_DEP_1)
	s_and_b32 s2, s0, exec_lo
; %bb.72:
	s_or_b32 exec_lo, exec_lo, s6
	v_cndmask_b32_e64 v49, 0, 1, vcc_lo
	v_cndmask_b32_e64 v47, 0, 1, s2
.LBB1490_73:
	s_or_b32 exec_lo, exec_lo, s1
	v_dual_mov_b32 v48, 0 :: v_dual_add_nc_u32 v1, 10, v28
	v_mov_b32_e32 v50, 0
	s_mov_b32 s2, 0
	s_mov_b32 s1, exec_lo
	s_delay_alu instid0(VALU_DEP_2)
	v_cmpx_gt_u32_e64 s3, v1
	s_cbranch_execz .LBB1490_77
; %bb.74:
	v_add_nc_u32_e32 v1, s17, v6
	v_add_nc_u32_e32 v2, s19, v6
	s_mov_b32 s6, exec_lo
	s_delay_alu instid0(VALU_DEP_2) | instskip(NEXT) | instid1(VALU_DEP_2)
	v_mul_lo_u32 v1, v1, s16
	v_mul_lo_u32 v2, v2, s18
	s_delay_alu instid0(VALU_DEP_1) | instskip(NEXT) | instid1(VALU_DEP_1)
	v_sub_nc_u32_e32 v1, v1, v2
	v_cmp_lt_u32_e32 vcc_lo, s20, v1
	v_cmpx_ge_u32_e64 s20, v1
; %bb.75:
	v_add_nc_u32_e32 v1, s22, v6
	v_add_nc_u32_e32 v2, s40, v6
	s_delay_alu instid0(VALU_DEP_2) | instskip(NEXT) | instid1(VALU_DEP_2)
	v_mul_lo_u32 v1, v1, s21
	v_mul_lo_u32 v2, v2, s23
	s_delay_alu instid0(VALU_DEP_1) | instskip(NEXT) | instid1(VALU_DEP_1)
	v_sub_nc_u32_e32 v1, v1, v2
	v_cmp_lt_u32_e64 s0, s41, v1
	s_delay_alu instid0(VALU_DEP_1)
	s_and_b32 s2, s0, exec_lo
; %bb.76:
	s_or_b32 exec_lo, exec_lo, s6
	v_cndmask_b32_e64 v50, 0, 1, vcc_lo
	v_cndmask_b32_e64 v48, 0, 1, s2
.LBB1490_77:
	s_or_b32 exec_lo, exec_lo, s1
	v_dual_mov_b32 v52, 0 :: v_dual_add_nc_u32 v1, 11, v28
	v_mov_b32_e32 v51, 0
	s_mov_b32 s2, 0
	s_mov_b32 s1, exec_lo
	s_delay_alu instid0(VALU_DEP_2)
	v_cmpx_gt_u32_e64 s3, v1
	s_cbranch_execz .LBB1490_81
; %bb.78:
	v_add_nc_u32_e32 v1, s17, v7
	v_add_nc_u32_e32 v2, s19, v7
	s_mov_b32 s6, exec_lo
	s_delay_alu instid0(VALU_DEP_2) | instskip(NEXT) | instid1(VALU_DEP_2)
	v_mul_lo_u32 v1, v1, s16
	v_mul_lo_u32 v2, v2, s18
	s_delay_alu instid0(VALU_DEP_1) | instskip(NEXT) | instid1(VALU_DEP_1)
	v_sub_nc_u32_e32 v1, v1, v2
	v_cmp_lt_u32_e32 vcc_lo, s20, v1
	v_cmpx_ge_u32_e64 s20, v1
; %bb.79:
	v_add_nc_u32_e32 v1, s22, v7
	v_add_nc_u32_e32 v2, s40, v7
	s_delay_alu instid0(VALU_DEP_2) | instskip(NEXT) | instid1(VALU_DEP_2)
	v_mul_lo_u32 v1, v1, s21
	v_mul_lo_u32 v2, v2, s23
	s_delay_alu instid0(VALU_DEP_1) | instskip(NEXT) | instid1(VALU_DEP_1)
	v_sub_nc_u32_e32 v1, v1, v2
	v_cmp_lt_u32_e64 s0, s41, v1
	s_delay_alu instid0(VALU_DEP_1)
	s_and_b32 s2, s0, exec_lo
; %bb.80:
	s_or_b32 exec_lo, exec_lo, s6
	v_cndmask_b32_e64 v51, 0, 1, vcc_lo
	v_cndmask_b32_e64 v52, 0, 1, s2
.LBB1490_81:
	s_or_b32 exec_lo, exec_lo, s1
	v_add_nc_u32_e32 v1, 12, v28
	s_mov_b32 s42, 0
	s_mov_b32 s43, 0
	s_mov_b32 s0, exec_lo
	s_delay_alu instid0(VALU_DEP_1)
	v_cmpx_gt_u32_e64 s3, v1
	s_cbranch_execz .LBB1490_85
; %bb.82:
	v_add_nc_u32_e32 v1, s17, v27
	v_add_nc_u32_e32 v2, s19, v27
	s_mov_b32 s2, -1
	s_mov_b32 s6, 0
	s_mov_b32 s1, exec_lo
	v_mul_lo_u32 v1, v1, s16
	v_mul_lo_u32 v2, v2, s18
	s_delay_alu instid0(VALU_DEP_1) | instskip(NEXT) | instid1(VALU_DEP_1)
	v_sub_nc_u32_e32 v1, v1, v2
	v_cmpx_ge_u32_e64 s20, v1
; %bb.83:
	v_add_nc_u32_e32 v1, s22, v27
	v_add_nc_u32_e32 v2, s40, v27
	s_xor_b32 s2, exec_lo, -1
	s_delay_alu instid0(VALU_DEP_2) | instskip(NEXT) | instid1(VALU_DEP_2)
	v_mul_lo_u32 v1, v1, s21
	v_mul_lo_u32 v2, v2, s23
	s_delay_alu instid0(VALU_DEP_1) | instskip(NEXT) | instid1(VALU_DEP_1)
	v_sub_nc_u32_e32 v1, v1, v2
	v_cmp_lt_u32_e32 vcc_lo, s41, v1
	s_and_b32 s6, vcc_lo, exec_lo
; %bb.84:
	s_or_b32 exec_lo, exec_lo, s1
	s_delay_alu instid0(SALU_CYCLE_1)
	s_and_b32 s43, s6, exec_lo
	s_and_b32 s42, s2, exec_lo
.LBB1490_85:
	s_or_b32 exec_lo, exec_lo, s0
.LBB1490_86:
	v_and_b32_e32 v75, 0xff, v29
	v_and_b32_e32 v76, 0xff, v30
	;; [unrolled: 1-line block ×10, first 2 shown]
	v_add3_u32 v1, v71, v73, v75
	v_add3_u32 v2, v72, v74, v76
	v_and_b32_e32 v65, 0xff, v41
	v_and_b32_e32 v66, 0xff, v39
	v_and_b32_e32 v61, 0xff, v42
	v_and_b32_e32 v62, 0xff, v40
	v_add3_u32 v1, v1, v69, v67
	v_add3_u32 v2, v2, v70, v68
	v_and_b32_e32 v63, 0xff, v44
	v_and_b32_e32 v64, 0xff, v43
	v_and_b32_e32 v59, 0xff, v46
	v_and_b32_e32 v60, 0xff, v45
	;; [unrolled: 6-line block ×3, first 2 shown]
	v_add3_u32 v1, v1, v63, v59
	v_add3_u32 v2, v2, v64, v60
	v_mbcnt_lo_u32_b32 v77, -1, 0
	v_and_b32_e32 v53, 0xff, v51
	v_and_b32_e32 v54, 0xff, v52
	v_cndmask_b32_e64 v3, 0, 1, s43
	v_add3_u32 v1, v1, v57, v55
	v_cndmask_b32_e64 v4, 0, 1, s42
	v_add3_u32 v2, v2, v58, v56
	v_and_b32_e32 v81, 15, v77
	v_and_b32_e32 v80, 16, v77
	v_lshrrev_b32_e32 v78, 5, v0
	v_add3_u32 v82, v1, v53, v4
	v_add3_u32 v83, v2, v54, v3
	v_cmp_eq_u32_e64 s1, 0, v81
	v_cmp_lt_u32_e64 s0, 1, v81
	v_cmp_lt_u32_e64 s2, 3, v81
	v_cmp_lt_u32_e32 vcc_lo, 7, v81
	v_or_b32_e32 v79, 31, v0
	s_cmp_lg_u32 s15, 0
	s_mov_b32 s6, -1
	s_cbranch_scc0 .LBB1490_119
; %bb.87:
	v_mov_b32_dpp v1, v83 row_shr:1 row_mask:0xf bank_mask:0xf
	v_mov_b32_dpp v2, v82 row_shr:1 row_mask:0xf bank_mask:0xf
	s_delay_alu instid0(VALU_DEP_2) | instskip(NEXT) | instid1(VALU_DEP_1)
	v_add_nc_u32_e32 v1, v1, v83
	v_cndmask_b32_e64 v1, v1, v83, s1
	s_delay_alu instid0(VALU_DEP_1) | instskip(NEXT) | instid1(VALU_DEP_1)
	v_mov_b32_dpp v3, v1 row_shr:2 row_mask:0xf bank_mask:0xf
	v_add_nc_u32_e32 v3, v1, v3
	s_delay_alu instid0(VALU_DEP_1) | instskip(NEXT) | instid1(VALU_DEP_1)
	v_cndmask_b32_e64 v1, v1, v3, s0
	v_mov_b32_dpp v3, v1 row_shr:4 row_mask:0xf bank_mask:0xf
	s_delay_alu instid0(VALU_DEP_1) | instskip(NEXT) | instid1(VALU_DEP_1)
	v_add_nc_u32_e32 v3, v1, v3
	v_cndmask_b32_e64 v1, v1, v3, s2
	s_delay_alu instid0(VALU_DEP_1) | instskip(NEXT) | instid1(VALU_DEP_1)
	v_mov_b32_dpp v3, v1 row_shr:8 row_mask:0xf bank_mask:0xf
	v_add_nc_u32_e32 v3, v1, v3
	s_delay_alu instid0(VALU_DEP_1) | instskip(NEXT) | instid1(VALU_DEP_1)
	v_dual_cndmask_b32 v1, v1, v3 :: v_dual_add_nc_u32 v2, v2, v82
	v_cndmask_b32_e64 v2, v2, v82, s1
	s_delay_alu instid0(VALU_DEP_1) | instskip(NEXT) | instid1(VALU_DEP_1)
	v_mov_b32_dpp v4, v2 row_shr:2 row_mask:0xf bank_mask:0xf
	v_add_nc_u32_e32 v4, v2, v4
	s_delay_alu instid0(VALU_DEP_1) | instskip(NEXT) | instid1(VALU_DEP_1)
	v_cndmask_b32_e64 v2, v2, v4, s0
	v_mov_b32_dpp v4, v2 row_shr:4 row_mask:0xf bank_mask:0xf
	s_delay_alu instid0(VALU_DEP_1) | instskip(NEXT) | instid1(VALU_DEP_1)
	v_add_nc_u32_e32 v4, v2, v4
	v_cndmask_b32_e64 v2, v2, v4, s2
	s_mov_b32 s2, exec_lo
	s_delay_alu instid0(VALU_DEP_1) | instskip(NEXT) | instid1(VALU_DEP_1)
	v_mov_b32_dpp v4, v2 row_shr:8 row_mask:0xf bank_mask:0xf
	v_add_nc_u32_e32 v4, v2, v4
	s_delay_alu instid0(VALU_DEP_1)
	v_cndmask_b32_e32 v3, v2, v4, vcc_lo
	ds_swizzle_b32 v2, v1 offset:swizzle(BROADCAST,32,15)
	v_cmp_eq_u32_e32 vcc_lo, 0, v80
	s_waitcnt lgkmcnt(0)
	v_add_nc_u32_e32 v2, v1, v2
	ds_swizzle_b32 v4, v3 offset:swizzle(BROADCAST,32,15)
	v_cndmask_b32_e32 v2, v2, v1, vcc_lo
	s_waitcnt lgkmcnt(0)
	v_add_nc_u32_e32 v4, v3, v4
	s_delay_alu instid0(VALU_DEP_1)
	v_cndmask_b32_e32 v1, v4, v3, vcc_lo
	v_cmpx_eq_u32_e64 v79, v0
	s_cbranch_execz .LBB1490_89
; %bb.88:
	v_lshlrev_b32_e32 v3, 3, v78
	ds_store_b64 v3, v[1:2]
.LBB1490_89:
	s_or_b32 exec_lo, exec_lo, s2
	s_delay_alu instid0(SALU_CYCLE_1)
	s_mov_b32 s2, exec_lo
	s_waitcnt lgkmcnt(0)
	s_barrier
	buffer_gl0_inv
	v_cmpx_gt_u32_e32 8, v0
	s_cbranch_execz .LBB1490_91
; %bb.90:
	v_lshlrev_b32_e32 v5, 3, v0
	ds_load_b64 v[3:4], v5
	s_waitcnt lgkmcnt(0)
	v_mov_b32_dpp v18, v3 row_shr:1 row_mask:0xf bank_mask:0xf
	v_mov_b32_dpp v19, v4 row_shr:1 row_mask:0xf bank_mask:0xf
	s_delay_alu instid0(VALU_DEP_2) | instskip(SKIP_1) | instid1(VALU_DEP_3)
	v_add_nc_u32_e32 v18, v18, v3
	v_and_b32_e32 v20, 7, v77
	v_add_nc_u32_e32 v19, v19, v4
	s_delay_alu instid0(VALU_DEP_2) | instskip(NEXT) | instid1(VALU_DEP_2)
	v_cmp_eq_u32_e32 vcc_lo, 0, v20
	v_dual_cndmask_b32 v4, v19, v4 :: v_dual_cndmask_b32 v3, v18, v3
	v_cmp_lt_u32_e32 vcc_lo, 1, v20
	s_delay_alu instid0(VALU_DEP_2) | instskip(NEXT) | instid1(VALU_DEP_3)
	v_mov_b32_dpp v19, v4 row_shr:2 row_mask:0xf bank_mask:0xf
	v_mov_b32_dpp v18, v3 row_shr:2 row_mask:0xf bank_mask:0xf
	s_delay_alu instid0(VALU_DEP_2) | instskip(NEXT) | instid1(VALU_DEP_2)
	v_add_nc_u32_e32 v19, v4, v19
	v_add_nc_u32_e32 v18, v3, v18
	s_delay_alu instid0(VALU_DEP_1) | instskip(SKIP_1) | instid1(VALU_DEP_2)
	v_dual_cndmask_b32 v4, v4, v19 :: v_dual_cndmask_b32 v3, v3, v18
	v_cmp_lt_u32_e32 vcc_lo, 3, v20
	v_mov_b32_dpp v19, v4 row_shr:4 row_mask:0xf bank_mask:0xf
	s_delay_alu instid0(VALU_DEP_3) | instskip(NEXT) | instid1(VALU_DEP_1)
	v_mov_b32_dpp v18, v3 row_shr:4 row_mask:0xf bank_mask:0xf
	v_dual_cndmask_b32 v19, 0, v19 :: v_dual_cndmask_b32 v18, 0, v18
	s_delay_alu instid0(VALU_DEP_1) | instskip(NEXT) | instid1(VALU_DEP_2)
	v_add_nc_u32_e32 v4, v19, v4
	v_add_nc_u32_e32 v3, v18, v3
	ds_store_b64 v5, v[3:4]
.LBB1490_91:
	s_or_b32 exec_lo, exec_lo, s2
	v_cmp_gt_u32_e32 vcc_lo, 32, v0
	v_cmp_lt_u32_e64 s2, 31, v0
	s_waitcnt lgkmcnt(0)
	s_barrier
	buffer_gl0_inv
                                        ; implicit-def: $vgpr19
	s_and_saveexec_b32 s6, s2
	s_delay_alu instid0(SALU_CYCLE_1)
	s_xor_b32 s2, exec_lo, s6
	s_cbranch_execz .LBB1490_93
; %bb.92:
	v_lshl_add_u32 v3, v78, 3, -8
	ds_load_b64 v[18:19], v3
	s_waitcnt lgkmcnt(0)
	v_add_nc_u32_e32 v2, v19, v2
	v_add_nc_u32_e32 v1, v18, v1
.LBB1490_93:
	s_and_not1_saveexec_b32 s2, s2
; %bb.94:
                                        ; implicit-def: $vgpr18
; %bb.95:
	s_delay_alu instid0(SALU_CYCLE_1) | instskip(SKIP_1) | instid1(VALU_DEP_1)
	s_or_b32 exec_lo, exec_lo, s2
	v_add_nc_u32_e32 v3, -1, v77
	v_cmp_gt_i32_e64 s2, 0, v3
	s_delay_alu instid0(VALU_DEP_1) | instskip(SKIP_1) | instid1(VALU_DEP_2)
	v_cndmask_b32_e64 v3, v3, v77, s2
	v_cmp_eq_u32_e64 s2, 0, v77
	v_lshlrev_b32_e32 v3, 2, v3
	ds_bpermute_b32 v84, v3, v1
	ds_bpermute_b32 v85, v3, v2
	s_and_saveexec_b32 s6, vcc_lo
	s_cbranch_execz .LBB1490_118
; %bb.96:
	v_mov_b32_e32 v4, 0
	ds_load_b64 v[1:2], v4 offset:56
	s_waitcnt lgkmcnt(0)
	v_readfirstlane_b32 s7, v2
	s_and_saveexec_b32 s8, s2
	s_cbranch_execz .LBB1490_98
; %bb.97:
	s_add_i32 s10, s15, 32
	s_mov_b32 s11, 0
	v_mov_b32_e32 v3, 1
	s_lshl_b64 s[12:13], s[10:11], 4
	s_mov_b32 s16, s11
	s_add_u32 s12, s4, s12
	s_addc_u32 s13, s5, s13
	s_and_b32 s17, s7, 0xff000000
	s_and_b32 s19, s7, 0xff0000
	s_mov_b32 s18, s11
	v_dual_mov_b32 v21, s13 :: v_dual_mov_b32 v20, s12
	s_or_b64 s[16:17], s[18:19], s[16:17]
	s_and_b32 s19, s7, 0xff00
	s_delay_alu instid0(SALU_CYCLE_1) | instskip(SKIP_1) | instid1(SALU_CYCLE_1)
	s_or_b64 s[16:17], s[16:17], s[18:19]
	s_and_b32 s19, s7, 0xff
	s_or_b64 s[10:11], s[16:17], s[18:19]
	s_delay_alu instid0(SALU_CYCLE_1)
	v_mov_b32_e32 v2, s11
	;;#ASMSTART
	global_store_dwordx4 v[20:21], v[1:4] off	
s_waitcnt vmcnt(0)
	;;#ASMEND
.LBB1490_98:
	s_or_b32 exec_lo, exec_lo, s8
	v_xad_u32 v20, v77, -1, s15
	s_mov_b32 s9, 0
	s_mov_b32 s8, exec_lo
	s_delay_alu instid0(VALU_DEP_1) | instskip(NEXT) | instid1(VALU_DEP_1)
	v_add_nc_u32_e32 v3, 32, v20
	v_lshlrev_b64 v[2:3], 4, v[3:4]
	s_delay_alu instid0(VALU_DEP_1) | instskip(NEXT) | instid1(VALU_DEP_2)
	v_add_co_u32 v21, vcc_lo, s4, v2
	v_add_co_ci_u32_e32 v22, vcc_lo, s5, v3, vcc_lo
	;;#ASMSTART
	global_load_dwordx4 v[2:5], v[21:22] off glc	
s_waitcnt vmcnt(0)
	;;#ASMEND
	v_and_b32_e32 v5, 0xff, v3
	v_and_b32_e32 v23, 0xff00, v3
	v_or3_b32 v2, v2, 0, 0
	v_and_b32_e32 v24, 0xff000000, v3
	v_and_b32_e32 v3, 0xff0000, v3
	s_delay_alu instid0(VALU_DEP_4) | instskip(SKIP_2) | instid1(VALU_DEP_3)
	v_or3_b32 v5, 0, v5, v23
	v_and_b32_e32 v23, 0xff, v4
	v_or3_b32 v2, v2, 0, 0
	v_or3_b32 v3, v5, v3, v24
	s_delay_alu instid0(VALU_DEP_3)
	v_cmpx_eq_u16_e32 0, v23
	s_cbranch_execz .LBB1490_104
; %bb.99:
	s_mov_b32 s10, 1
	.p2align	6
.LBB1490_100:                           ; =>This Loop Header: Depth=1
                                        ;     Child Loop BB1490_101 Depth 2
	s_delay_alu instid0(SALU_CYCLE_1)
	s_max_u32 s11, s10, 1
.LBB1490_101:                           ;   Parent Loop BB1490_100 Depth=1
                                        ; =>  This Inner Loop Header: Depth=2
	s_delay_alu instid0(SALU_CYCLE_1)
	s_add_i32 s11, s11, -1
	s_sleep 1
	s_cmp_eq_u32 s11, 0
	s_cbranch_scc0 .LBB1490_101
; %bb.102:                              ;   in Loop: Header=BB1490_100 Depth=1
	;;#ASMSTART
	global_load_dwordx4 v[2:5], v[21:22] off glc	
s_waitcnt vmcnt(0)
	;;#ASMEND
	v_and_b32_e32 v5, 0xff, v4
	s_cmp_lt_u32 s10, 32
	s_cselect_b32 s11, -1, 0
	s_delay_alu instid0(SALU_CYCLE_1) | instskip(NEXT) | instid1(VALU_DEP_1)
	s_cmp_lg_u32 s11, 0
	v_cmp_ne_u16_e32 vcc_lo, 0, v5
	s_addc_u32 s10, s10, 0
	s_or_b32 s9, vcc_lo, s9
	s_delay_alu instid0(SALU_CYCLE_1)
	s_and_not1_b32 exec_lo, exec_lo, s9
	s_cbranch_execnz .LBB1490_100
; %bb.103:
	s_or_b32 exec_lo, exec_lo, s9
.LBB1490_104:
	s_delay_alu instid0(SALU_CYCLE_1)
	s_or_b32 exec_lo, exec_lo, s8
	v_cmp_ne_u32_e32 vcc_lo, 31, v77
	v_lshlrev_b32_e64 v87, v77, -1
	v_add_nc_u32_e32 v91, 4, v77
	v_add_nc_u32_e32 v93, 8, v77
	;; [unrolled: 1-line block ×3, first 2 shown]
	v_add_co_ci_u32_e32 v5, vcc_lo, 0, v77, vcc_lo
	s_delay_alu instid0(VALU_DEP_1)
	v_lshlrev_b32_e32 v86, 2, v5
	ds_bpermute_b32 v21, v86, v3
	ds_bpermute_b32 v5, v86, v2
	s_waitcnt lgkmcnt(1)
	v_add_nc_u32_e32 v21, v21, v3
	v_and_b32_e32 v22, 0xff, v4
	s_waitcnt lgkmcnt(0)
	v_add_nc_u32_e32 v5, v5, v2
	s_delay_alu instid0(VALU_DEP_2) | instskip(SKIP_2) | instid1(VALU_DEP_2)
	v_cmp_eq_u16_e32 vcc_lo, 2, v22
	v_and_or_b32 v22, vcc_lo, v87, 0x80000000
	v_cmp_gt_u32_e32 vcc_lo, 30, v77
	v_ctz_i32_b32_e32 v22, v22
	v_cndmask_b32_e64 v23, 0, 1, vcc_lo
	s_delay_alu instid0(VALU_DEP_2) | instskip(NEXT) | instid1(VALU_DEP_2)
	v_cmp_lt_u32_e32 vcc_lo, v77, v22
	v_dual_cndmask_b32 v2, v2, v5 :: v_dual_lshlrev_b32 v23, 1, v23
	s_delay_alu instid0(VALU_DEP_1)
	v_add_lshl_u32 v88, v23, v77, 2
	v_cndmask_b32_e32 v3, v3, v21, vcc_lo
	v_cmp_gt_u32_e32 vcc_lo, 28, v77
	ds_bpermute_b32 v5, v88, v2
	ds_bpermute_b32 v21, v88, v3
	v_cndmask_b32_e64 v23, 0, 1, vcc_lo
	s_waitcnt lgkmcnt(1)
	v_add_nc_u32_e32 v5, v2, v5
	v_add_nc_u32_e32 v89, 2, v77
	s_waitcnt lgkmcnt(0)
	v_add_nc_u32_e32 v21, v3, v21
	s_delay_alu instid0(VALU_DEP_2) | instskip(SKIP_1) | instid1(VALU_DEP_3)
	v_cmp_gt_u32_e32 vcc_lo, v89, v22
	v_dual_cndmask_b32 v2, v5, v2 :: v_dual_lshlrev_b32 v23, 2, v23
	v_cndmask_b32_e32 v3, v21, v3, vcc_lo
	v_cmp_gt_u32_e32 vcc_lo, 24, v77
	s_delay_alu instid0(VALU_DEP_3)
	v_add_lshl_u32 v90, v23, v77, 2
	v_cndmask_b32_e64 v23, 0, 1, vcc_lo
	v_cmp_gt_u32_e32 vcc_lo, v91, v22
	ds_bpermute_b32 v5, v90, v2
	ds_bpermute_b32 v21, v90, v3
	v_lshlrev_b32_e32 v23, 3, v23
	s_delay_alu instid0(VALU_DEP_1) | instskip(SKIP_3) | instid1(VALU_DEP_1)
	v_add_lshl_u32 v92, v23, v77, 2
	s_waitcnt lgkmcnt(1)
	v_add_nc_u32_e32 v5, v2, v5
	s_waitcnt lgkmcnt(0)
	v_dual_cndmask_b32 v2, v5, v2 :: v_dual_add_nc_u32 v21, v3, v21
	s_delay_alu instid0(VALU_DEP_1)
	v_cndmask_b32_e32 v3, v21, v3, vcc_lo
	v_cmp_gt_u32_e32 vcc_lo, 16, v77
	ds_bpermute_b32 v5, v92, v2
	ds_bpermute_b32 v21, v92, v3
	v_cndmask_b32_e64 v23, 0, 1, vcc_lo
	v_cmp_gt_u32_e32 vcc_lo, v93, v22
	s_delay_alu instid0(VALU_DEP_2) | instskip(NEXT) | instid1(VALU_DEP_1)
	v_lshlrev_b32_e32 v23, 4, v23
	v_add_lshl_u32 v94, v23, v77, 2
	s_waitcnt lgkmcnt(1)
	v_add_nc_u32_e32 v5, v2, v5
	s_waitcnt lgkmcnt(0)
	s_delay_alu instid0(VALU_DEP_1) | instskip(NEXT) | instid1(VALU_DEP_1)
	v_dual_cndmask_b32 v2, v5, v2 :: v_dual_add_nc_u32 v21, v3, v21
	v_cndmask_b32_e32 v3, v21, v3, vcc_lo
	v_cmp_le_u32_e32 vcc_lo, v95, v22
	ds_bpermute_b32 v5, v94, v2
	ds_bpermute_b32 v21, v94, v3
	s_waitcnt lgkmcnt(1)
	v_cndmask_b32_e32 v5, 0, v5, vcc_lo
	s_waitcnt lgkmcnt(0)
	s_delay_alu instid0(VALU_DEP_1) | instskip(NEXT) | instid1(VALU_DEP_1)
	v_dual_cndmask_b32 v21, 0, v21 :: v_dual_add_nc_u32 v2, v5, v2
	v_add_nc_u32_e32 v3, v21, v3
	v_mov_b32_e32 v21, 0
	s_branch .LBB1490_106
.LBB1490_105:                           ;   in Loop: Header=BB1490_106 Depth=1
	s_or_b32 exec_lo, exec_lo, s8
	ds_bpermute_b32 v5, v86, v2
	ds_bpermute_b32 v24, v86, v3
	v_subrev_nc_u32_e32 v20, 32, v20
	s_waitcnt lgkmcnt(1)
	v_add_nc_u32_e32 v5, v5, v2
	v_and_b32_e32 v25, 0xff, v4
	s_waitcnt lgkmcnt(0)
	v_add_nc_u32_e32 v24, v24, v3
	s_delay_alu instid0(VALU_DEP_2) | instskip(SKIP_1) | instid1(VALU_DEP_1)
	v_cmp_eq_u16_e32 vcc_lo, 2, v25
	v_and_or_b32 v25, vcc_lo, v87, 0x80000000
	v_ctz_i32_b32_e32 v25, v25
	s_delay_alu instid0(VALU_DEP_1)
	v_cmp_lt_u32_e32 vcc_lo, v77, v25
	v_cndmask_b32_e32 v2, v2, v5, vcc_lo
	ds_bpermute_b32 v5, v88, v2
	s_waitcnt lgkmcnt(0)
	v_add_nc_u32_e32 v5, v2, v5
	v_cndmask_b32_e32 v3, v3, v24, vcc_lo
	v_cmp_gt_u32_e32 vcc_lo, v89, v25
	s_delay_alu instid0(VALU_DEP_3)
	v_cndmask_b32_e32 v2, v5, v2, vcc_lo
	ds_bpermute_b32 v24, v88, v3
	ds_bpermute_b32 v5, v90, v2
	s_waitcnt lgkmcnt(1)
	v_add_nc_u32_e32 v24, v3, v24
	s_waitcnt lgkmcnt(0)
	v_add_nc_u32_e32 v5, v2, v5
	s_delay_alu instid0(VALU_DEP_2) | instskip(SKIP_1) | instid1(VALU_DEP_3)
	v_cndmask_b32_e32 v3, v24, v3, vcc_lo
	v_cmp_gt_u32_e32 vcc_lo, v91, v25
	v_cndmask_b32_e32 v2, v5, v2, vcc_lo
	ds_bpermute_b32 v24, v90, v3
	ds_bpermute_b32 v5, v92, v2
	s_waitcnt lgkmcnt(1)
	v_add_nc_u32_e32 v24, v3, v24
	s_waitcnt lgkmcnt(0)
	v_add_nc_u32_e32 v5, v2, v5
	s_delay_alu instid0(VALU_DEP_2) | instskip(SKIP_1) | instid1(VALU_DEP_3)
	v_cndmask_b32_e32 v3, v24, v3, vcc_lo
	v_cmp_gt_u32_e32 vcc_lo, v93, v25
	v_cndmask_b32_e32 v2, v5, v2, vcc_lo
	ds_bpermute_b32 v24, v92, v3
	ds_bpermute_b32 v5, v94, v2
	s_waitcnt lgkmcnt(1)
	v_add_nc_u32_e32 v24, v3, v24
	s_delay_alu instid0(VALU_DEP_1) | instskip(SKIP_4) | instid1(VALU_DEP_1)
	v_cndmask_b32_e32 v3, v24, v3, vcc_lo
	v_cmp_le_u32_e32 vcc_lo, v95, v25
	ds_bpermute_b32 v24, v94, v3
	s_waitcnt lgkmcnt(1)
	v_cndmask_b32_e32 v5, 0, v5, vcc_lo
	v_add3_u32 v2, v2, v22, v5
	s_waitcnt lgkmcnt(0)
	v_cndmask_b32_e32 v24, 0, v24, vcc_lo
	s_delay_alu instid0(VALU_DEP_1)
	v_add3_u32 v3, v3, v23, v24
.LBB1490_106:                           ; =>This Loop Header: Depth=1
                                        ;     Child Loop BB1490_109 Depth 2
                                        ;       Child Loop BB1490_110 Depth 3
	s_delay_alu instid0(VALU_DEP_1) | instskip(SKIP_1) | instid1(VALU_DEP_2)
	v_dual_mov_b32 v23, v3 :: v_dual_and_b32 v4, 0xff, v4
	v_mov_b32_e32 v22, v2
	v_cmp_ne_u16_e32 vcc_lo, 2, v4
	v_cndmask_b32_e64 v4, 0, 1, vcc_lo
	;;#ASMSTART
	;;#ASMEND
	s_delay_alu instid0(VALU_DEP_1)
	v_cmp_ne_u32_e32 vcc_lo, 0, v4
	s_cmp_lg_u32 vcc_lo, exec_lo
	s_cbranch_scc1 .LBB1490_113
; %bb.107:                              ;   in Loop: Header=BB1490_106 Depth=1
	v_lshlrev_b64 v[2:3], 4, v[20:21]
	s_mov_b32 s8, exec_lo
	s_delay_alu instid0(VALU_DEP_1) | instskip(NEXT) | instid1(VALU_DEP_2)
	v_add_co_u32 v24, vcc_lo, s4, v2
	v_add_co_ci_u32_e32 v25, vcc_lo, s5, v3, vcc_lo
	;;#ASMSTART
	global_load_dwordx4 v[2:5], v[24:25] off glc	
s_waitcnt vmcnt(0)
	;;#ASMEND
	v_and_b32_e32 v5, 0xff, v3
	v_and_b32_e32 v96, 0xff00, v3
	v_or3_b32 v2, v2, 0, 0
	v_and_b32_e32 v97, 0xff000000, v3
	v_and_b32_e32 v3, 0xff0000, v3
	s_delay_alu instid0(VALU_DEP_4) | instskip(SKIP_2) | instid1(VALU_DEP_3)
	v_or3_b32 v5, 0, v5, v96
	v_and_b32_e32 v96, 0xff, v4
	v_or3_b32 v2, v2, 0, 0
	v_or3_b32 v3, v5, v3, v97
	s_delay_alu instid0(VALU_DEP_3)
	v_cmpx_eq_u16_e32 0, v96
	s_cbranch_execz .LBB1490_105
; %bb.108:                              ;   in Loop: Header=BB1490_106 Depth=1
	s_mov_b32 s10, 1
	s_mov_b32 s9, 0
	.p2align	6
.LBB1490_109:                           ;   Parent Loop BB1490_106 Depth=1
                                        ; =>  This Loop Header: Depth=2
                                        ;       Child Loop BB1490_110 Depth 3
	s_max_u32 s11, s10, 1
.LBB1490_110:                           ;   Parent Loop BB1490_106 Depth=1
                                        ;     Parent Loop BB1490_109 Depth=2
                                        ; =>    This Inner Loop Header: Depth=3
	s_delay_alu instid0(SALU_CYCLE_1)
	s_add_i32 s11, s11, -1
	s_sleep 1
	s_cmp_eq_u32 s11, 0
	s_cbranch_scc0 .LBB1490_110
; %bb.111:                              ;   in Loop: Header=BB1490_109 Depth=2
	;;#ASMSTART
	global_load_dwordx4 v[2:5], v[24:25] off glc	
s_waitcnt vmcnt(0)
	;;#ASMEND
	v_and_b32_e32 v5, 0xff, v4
	s_cmp_lt_u32 s10, 32
	s_cselect_b32 s11, -1, 0
	s_delay_alu instid0(SALU_CYCLE_1) | instskip(NEXT) | instid1(VALU_DEP_1)
	s_cmp_lg_u32 s11, 0
	v_cmp_ne_u16_e32 vcc_lo, 0, v5
	s_addc_u32 s10, s10, 0
	s_or_b32 s9, vcc_lo, s9
	s_delay_alu instid0(SALU_CYCLE_1)
	s_and_not1_b32 exec_lo, exec_lo, s9
	s_cbranch_execnz .LBB1490_109
; %bb.112:                              ;   in Loop: Header=BB1490_106 Depth=1
	s_or_b32 exec_lo, exec_lo, s9
	s_branch .LBB1490_105
.LBB1490_113:                           ;   in Loop: Header=BB1490_106 Depth=1
                                        ; implicit-def: $vgpr4
                                        ; implicit-def: $vgpr2_vgpr3
	s_cbranch_execz .LBB1490_106
; %bb.114:
	s_and_saveexec_b32 s8, s2
	s_cbranch_execnz .LBB1490_357
; %bb.115:
	s_or_b32 exec_lo, exec_lo, s8
	s_and_saveexec_b32 s8, s2
	s_cbranch_execnz .LBB1490_358
.LBB1490_116:
	s_or_b32 exec_lo, exec_lo, s8
	v_cmp_eq_u32_e32 vcc_lo, 0, v0
	s_and_b32 exec_lo, exec_lo, vcc_lo
	s_cbranch_execz .LBB1490_118
.LBB1490_117:
	v_mov_b32_e32 v1, 0
	ds_store_b64 v1, v[22:23] offset:56
.LBB1490_118:
	s_or_b32 exec_lo, exec_lo, s6
	v_cmp_eq_u32_e32 vcc_lo, 0, v0
	v_mov_b32_e32 v1, 0
	s_waitcnt lgkmcnt(0)
	s_barrier
	buffer_gl0_inv
	v_add_nc_u32_e64 v3, 0x3400, 0
	ds_load_b64 v[20:21], v1 offset:56
	s_waitcnt lgkmcnt(0)
	s_barrier
	buffer_gl0_inv
	ds_load_2addr_b32 v[1:2], v3 offset1:2
	ds_load_2addr_b32 v[3:4], v3 offset0:4 offset1:6
	v_cndmask_b32_e64 v5, v84, v18, s2
	v_cndmask_b32_e64 v18, v85, v19, s2
	s_delay_alu instid0(VALU_DEP_2) | instskip(NEXT) | instid1(VALU_DEP_1)
	v_add_nc_u32_e32 v19, v20, v5
	v_dual_cndmask_b32 v20, v19, v20 :: v_dual_add_nc_u32 v5, v21, v18
	s_delay_alu instid0(VALU_DEP_1)
	v_cndmask_b32_e32 v5, v5, v21, vcc_lo
	s_branch .LBB1490_129
.LBB1490_119:
                                        ; implicit-def: $vgpr5
                                        ; implicit-def: $vgpr3
                                        ; implicit-def: $vgpr1
                                        ; implicit-def: $vgpr20_vgpr21
	s_and_b32 vcc_lo, exec_lo, s6
	s_cbranch_vccz .LBB1490_129
; %bb.120:
	s_waitcnt lgkmcnt(0)
	v_mov_b32_dpp v2, v83 row_shr:1 row_mask:0xf bank_mask:0xf
	v_cmp_lt_u32_e32 vcc_lo, 3, v81
	v_mov_b32_dpp v1, v82 row_shr:1 row_mask:0xf bank_mask:0xf
	s_delay_alu instid0(VALU_DEP_3) | instskip(NEXT) | instid1(VALU_DEP_1)
	v_add_nc_u32_e32 v2, v2, v83
	v_cndmask_b32_e64 v2, v2, v83, s1
	s_delay_alu instid0(VALU_DEP_1) | instskip(NEXT) | instid1(VALU_DEP_1)
	v_mov_b32_dpp v4, v2 row_shr:2 row_mask:0xf bank_mask:0xf
	v_add_nc_u32_e32 v4, v2, v4
	s_delay_alu instid0(VALU_DEP_1) | instskip(NEXT) | instid1(VALU_DEP_1)
	v_cndmask_b32_e64 v2, v2, v4, s0
	v_mov_b32_dpp v4, v2 row_shr:4 row_mask:0xf bank_mask:0xf
	s_delay_alu instid0(VALU_DEP_1) | instskip(NEXT) | instid1(VALU_DEP_1)
	v_add_nc_u32_e32 v4, v2, v4
	v_dual_cndmask_b32 v2, v2, v4 :: v_dual_add_nc_u32 v1, v1, v82
	s_delay_alu instid0(VALU_DEP_1) | instskip(NEXT) | instid1(VALU_DEP_2)
	v_cndmask_b32_e64 v1, v1, v82, s1
	v_mov_b32_dpp v4, v2 row_shr:8 row_mask:0xf bank_mask:0xf
	s_delay_alu instid0(VALU_DEP_2) | instskip(NEXT) | instid1(VALU_DEP_2)
	v_mov_b32_dpp v3, v1 row_shr:2 row_mask:0xf bank_mask:0xf
	v_add_nc_u32_e32 v4, v2, v4
	s_delay_alu instid0(VALU_DEP_2) | instskip(NEXT) | instid1(VALU_DEP_1)
	v_add_nc_u32_e32 v3, v1, v3
	v_cndmask_b32_e64 v1, v1, v3, s0
	s_mov_b32 s0, exec_lo
	s_delay_alu instid0(VALU_DEP_1) | instskip(NEXT) | instid1(VALU_DEP_1)
	v_mov_b32_dpp v3, v1 row_shr:4 row_mask:0xf bank_mask:0xf
	v_add_nc_u32_e32 v3, v1, v3
	s_delay_alu instid0(VALU_DEP_1) | instskip(SKIP_1) | instid1(VALU_DEP_2)
	v_cndmask_b32_e32 v1, v1, v3, vcc_lo
	v_cmp_lt_u32_e32 vcc_lo, 7, v81
	v_mov_b32_dpp v3, v1 row_shr:8 row_mask:0xf bank_mask:0xf
	s_delay_alu instid0(VALU_DEP_1) | instskip(NEXT) | instid1(VALU_DEP_1)
	v_dual_cndmask_b32 v2, v2, v4 :: v_dual_add_nc_u32 v3, v1, v3
	v_cndmask_b32_e32 v1, v1, v3, vcc_lo
	ds_swizzle_b32 v3, v2 offset:swizzle(BROADCAST,32,15)
	v_cmp_eq_u32_e32 vcc_lo, 0, v80
	ds_swizzle_b32 v4, v1 offset:swizzle(BROADCAST,32,15)
	s_waitcnt lgkmcnt(1)
	v_add_nc_u32_e32 v3, v2, v3
	s_waitcnt lgkmcnt(0)
	v_add_nc_u32_e32 v4, v1, v4
	s_delay_alu instid0(VALU_DEP_1)
	v_dual_cndmask_b32 v2, v3, v2 :: v_dual_cndmask_b32 v1, v4, v1
	v_cmpx_eq_u32_e64 v79, v0
	s_cbranch_execz .LBB1490_122
; %bb.121:
	v_lshlrev_b32_e32 v3, 3, v78
	ds_store_b64 v3, v[1:2]
.LBB1490_122:
	s_or_b32 exec_lo, exec_lo, s0
	s_delay_alu instid0(SALU_CYCLE_1)
	s_mov_b32 s0, exec_lo
	s_waitcnt lgkmcnt(0)
	s_barrier
	buffer_gl0_inv
	v_cmpx_gt_u32_e32 8, v0
	s_cbranch_execz .LBB1490_124
; %bb.123:
	v_lshlrev_b32_e32 v5, 3, v0
	ds_load_b64 v[3:4], v5
	s_waitcnt lgkmcnt(0)
	v_mov_b32_dpp v18, v3 row_shr:1 row_mask:0xf bank_mask:0xf
	v_mov_b32_dpp v19, v4 row_shr:1 row_mask:0xf bank_mask:0xf
	s_delay_alu instid0(VALU_DEP_2) | instskip(SKIP_1) | instid1(VALU_DEP_3)
	v_add_nc_u32_e32 v18, v18, v3
	v_and_b32_e32 v20, 7, v77
	v_add_nc_u32_e32 v19, v19, v4
	s_delay_alu instid0(VALU_DEP_2) | instskip(NEXT) | instid1(VALU_DEP_2)
	v_cmp_eq_u32_e32 vcc_lo, 0, v20
	v_dual_cndmask_b32 v4, v19, v4 :: v_dual_cndmask_b32 v3, v18, v3
	v_cmp_lt_u32_e32 vcc_lo, 1, v20
	s_delay_alu instid0(VALU_DEP_2) | instskip(NEXT) | instid1(VALU_DEP_3)
	v_mov_b32_dpp v19, v4 row_shr:2 row_mask:0xf bank_mask:0xf
	v_mov_b32_dpp v18, v3 row_shr:2 row_mask:0xf bank_mask:0xf
	s_delay_alu instid0(VALU_DEP_2) | instskip(NEXT) | instid1(VALU_DEP_2)
	v_add_nc_u32_e32 v19, v4, v19
	v_add_nc_u32_e32 v18, v3, v18
	s_delay_alu instid0(VALU_DEP_1) | instskip(SKIP_1) | instid1(VALU_DEP_2)
	v_dual_cndmask_b32 v4, v4, v19 :: v_dual_cndmask_b32 v3, v3, v18
	v_cmp_lt_u32_e32 vcc_lo, 3, v20
	v_mov_b32_dpp v19, v4 row_shr:4 row_mask:0xf bank_mask:0xf
	s_delay_alu instid0(VALU_DEP_3) | instskip(NEXT) | instid1(VALU_DEP_1)
	v_mov_b32_dpp v18, v3 row_shr:4 row_mask:0xf bank_mask:0xf
	v_dual_cndmask_b32 v19, 0, v19 :: v_dual_cndmask_b32 v18, 0, v18
	s_delay_alu instid0(VALU_DEP_1) | instskip(NEXT) | instid1(VALU_DEP_2)
	v_add_nc_u32_e32 v4, v19, v4
	v_add_nc_u32_e32 v3, v18, v3
	ds_store_b64 v5, v[3:4]
.LBB1490_124:
	s_or_b32 exec_lo, exec_lo, s0
	v_dual_mov_b32 v3, 0 :: v_dual_mov_b32 v18, 0
	v_mov_b32_e32 v19, 0
	s_mov_b32 s0, exec_lo
	s_waitcnt lgkmcnt(0)
	s_barrier
	buffer_gl0_inv
	v_cmpx_lt_u32_e32 31, v0
	s_cbranch_execz .LBB1490_126
; %bb.125:
	v_lshl_add_u32 v4, v78, 3, -8
	ds_load_b64 v[18:19], v4
.LBB1490_126:
	s_or_b32 exec_lo, exec_lo, s0
	v_add_nc_u32_e32 v4, -1, v77
	s_waitcnt lgkmcnt(0)
	v_add_nc_u32_e32 v20, v19, v2
	v_add_nc_u32_e32 v5, v18, v1
	ds_load_b64 v[1:2], v3 offset:56
	v_cmp_gt_i32_e32 vcc_lo, 0, v4
	v_cndmask_b32_e32 v4, v4, v77, vcc_lo
	v_cmp_eq_u32_e32 vcc_lo, 0, v0
	s_delay_alu instid0(VALU_DEP_2)
	v_lshlrev_b32_e32 v4, 2, v4
	ds_bpermute_b32 v5, v4, v5
	ds_bpermute_b32 v20, v4, v20
	s_waitcnt lgkmcnt(2)
	v_readfirstlane_b32 s1, v2
	s_and_saveexec_b32 s0, vcc_lo
	s_cbranch_execz .LBB1490_128
; %bb.127:
	s_mov_b32 s6, 0
	s_add_u32 s4, s4, 0x200
	s_addc_u32 s5, s5, 0
	s_and_b32 s7, s1, 0xff000000
	s_and_b32 s9, s1, 0xff0000
	s_mov_b32 s8, s6
	v_mov_b32_e32 v22, s5
	s_or_b64 s[8:9], s[8:9], s[6:7]
	s_and_b32 s7, s1, 0xff00
	v_dual_mov_b32 v4, 0 :: v_dual_mov_b32 v21, s4
	s_or_b64 s[8:9], s[8:9], s[6:7]
	s_and_b32 s7, s1, 0xff
	v_mov_b32_e32 v3, 2
	s_or_b64 s[6:7], s[8:9], s[6:7]
	s_delay_alu instid0(SALU_CYCLE_1)
	v_mov_b32_e32 v2, s7
	;;#ASMSTART
	global_store_dwordx4 v[21:22], v[1:4] off	
s_waitcnt vmcnt(0)
	;;#ASMEND
.LBB1490_128:
	s_or_b32 exec_lo, exec_lo, s0
	v_cmp_eq_u32_e64 s0, 0, v77
	v_dual_mov_b32 v3, 0 :: v_dual_mov_b32 v2, s1
	s_waitcnt lgkmcnt(0)
	s_barrier
	s_delay_alu instid0(VALU_DEP_2)
	v_cndmask_b32_e64 v4, v5, v18, s0
	v_cndmask_b32_e64 v5, v20, v19, s0
	buffer_gl0_inv
	v_cndmask_b32_e64 v20, v4, 0, vcc_lo
	v_cndmask_b32_e64 v5, v5, 0, vcc_lo
	v_mov_b32_e32 v4, 0
.LBB1490_129:
	v_and_b32_e32 v30, 1, v30
	v_and_b32_e32 v34, 1, v34
	;; [unrolled: 1-line block ×4, first 2 shown]
	s_waitcnt lgkmcnt(0)
	v_add_co_u32 v18, s0, s28, v3
	v_cmp_eq_u32_e32 vcc_lo, 1, v30
	v_add_nc_u32_e32 v22, v5, v76
	v_sub_nc_u32_e32 v5, v5, v4
	v_add_co_ci_u32_e64 v19, null, s29, 0, s0
	s_mov_b32 s2, -1
	s_delay_alu instid0(VALU_DEP_3) | instskip(SKIP_3) | instid1(VALU_DEP_3)
	v_add_nc_u32_e32 v24, v22, v72
	v_sub_nc_u32_e32 v22, v22, v4
	v_add_nc_u32_e32 v5, v5, v1
	v_sub_co_u32 v72, s0, s30, v1
	v_add_nc_u32_e32 v22, v22, v1
	v_add_nc_u32_e32 v21, v20, v75
	v_sub_nc_u32_e32 v20, v20, v3
	s_delay_alu instid0(VALU_DEP_2)
	v_add_nc_u32_e32 v23, v21, v71
	v_add_nc_u32_e32 v71, v24, v74
	v_lshlrev_b32_e32 v74, 1, v1
	v_sub_nc_u32_e32 v21, v21, v3
	v_add_nc_u32_e32 v75, v20, v5
	v_sub_nc_u32_e32 v24, v24, v4
	s_delay_alu instid0(VALU_DEP_4) | instskip(NEXT) | instid1(VALU_DEP_4)
	v_add3_u32 v28, v74, v2, v28
	v_add_nc_u32_e32 v76, v22, v21
	s_delay_alu instid0(VALU_DEP_3) | instskip(NEXT) | instid1(VALU_DEP_3)
	v_add_nc_u32_e32 v24, v24, v1
	v_sub_nc_u32_e32 v75, v28, v75
	s_delay_alu instid0(VALU_DEP_3) | instskip(NEXT) | instid1(VALU_DEP_1)
	v_sub_nc_u32_e32 v76, v28, v76
	v_dual_cndmask_b32 v5, v75, v5 :: v_dual_add_nc_u32 v30, 1, v76
	v_cmp_eq_u32_e32 vcc_lo, 1, v34
	s_delay_alu instid0(VALU_DEP_2) | instskip(SKIP_1) | instid1(VALU_DEP_4)
	v_cndmask_b32_e32 v22, v30, v22, vcc_lo
	v_cmp_eq_u32_e32 vcc_lo, 1, v29
	v_cndmask_b32_e32 v5, v5, v20, vcc_lo
	v_and_b32_e32 v20, 1, v36
	v_cmp_eq_u32_e32 vcc_lo, 1, v33
	s_delay_alu instid0(VALU_DEP_3) | instskip(SKIP_1) | instid1(VALU_DEP_4)
	v_lshlrev_b32_e32 v5, 2, v5
	v_cndmask_b32_e32 v21, v22, v21, vcc_lo
	v_cmp_eq_u32_e32 vcc_lo, 1, v20
	v_add_nc_u32_e32 v25, v23, v73
	v_sub_nc_u32_e32 v23, v23, v3
	v_and_b32_e32 v22, 1, v31
	v_sub_co_ci_u32_e64 v73, null, s31, 0, s0
	v_and_b32_e32 v31, 1, v32
	s_delay_alu instid0(VALU_DEP_4) | instskip(NEXT) | instid1(VALU_DEP_1)
	v_add_nc_u32_e32 v77, v24, v23
	v_sub_nc_u32_e32 v75, v28, v77
	s_delay_alu instid0(VALU_DEP_1) | instskip(NEXT) | instid1(VALU_DEP_1)
	v_add_nc_u32_e32 v29, 2, v75
	v_cndmask_b32_e32 v20, v29, v24, vcc_lo
	v_sub_nc_u32_e32 v24, v71, v4
	v_cmp_eq_u32_e32 vcc_lo, 1, v22
	v_add_nc_u32_e32 v69, v25, v69
	v_lshlrev_b32_e32 v29, 2, v21
	ds_store_b32 v5, v16
	ds_store_b32 v29, v17
	v_cndmask_b32_e32 v22, v20, v23, vcc_lo
	v_sub_nc_u32_e32 v23, v25, v3
	v_add_nc_u32_e32 v24, v24, v1
	v_add_co_u32 v20, vcc_lo, v72, v4
	s_delay_alu instid0(VALU_DEP_4) | instskip(SKIP_1) | instid1(VALU_DEP_4)
	v_lshlrev_b32_e32 v5, 2, v22
	v_and_b32_e32 v22, 1, v35
	v_add_nc_u32_e32 v25, v23, v24
	v_add_co_ci_u32_e32 v21, vcc_lo, 0, v73, vcc_lo
	ds_store_b32 v5, v14
	v_cmp_eq_u32_e32 vcc_lo, 1, v22
	v_sub_nc_u32_e32 v17, v28, v25
	v_sub_nc_u32_e32 v29, v69, v3
	v_add_nc_u32_e32 v67, v69, v67
	s_delay_alu instid0(VALU_DEP_3) | instskip(NEXT) | instid1(VALU_DEP_2)
	v_add_nc_u32_e32 v17, 3, v17
	v_sub_nc_u32_e32 v30, v67, v3
	s_delay_alu instid0(VALU_DEP_2) | instskip(SKIP_2) | instid1(VALU_DEP_3)
	v_cndmask_b32_e32 v17, v17, v24, vcc_lo
	v_cmp_eq_u32_e32 vcc_lo, 1, v31
	v_and_b32_e32 v24, 1, v39
	v_cndmask_b32_e32 v14, v17, v23, vcc_lo
	v_add_nc_u32_e32 v70, v71, v70
	v_and_b32_e32 v23, 1, v38
	s_delay_alu instid0(VALU_DEP_3) | instskip(NEXT) | instid1(VALU_DEP_3)
	v_lshlrev_b32_e32 v14, 2, v14
	v_add_nc_u32_e32 v68, v70, v68
	v_sub_nc_u32_e32 v16, v70, v4
	ds_store_b32 v14, v15
	v_sub_nc_u32_e32 v25, v68, v4
	v_add_nc_u32_e32 v16, v16, v1
	s_delay_alu instid0(VALU_DEP_2) | instskip(NEXT) | instid1(VALU_DEP_2)
	v_add_nc_u32_e32 v25, v25, v1
	v_add_nc_u32_e32 v32, v29, v16
	s_delay_alu instid0(VALU_DEP_2) | instskip(NEXT) | instid1(VALU_DEP_2)
	v_add_nc_u32_e32 v22, v30, v25
	v_sub_nc_u32_e32 v5, v28, v32
	s_delay_alu instid0(VALU_DEP_2) | instskip(SKIP_1) | instid1(VALU_DEP_3)
	v_sub_nc_u32_e32 v17, v28, v22
	v_and_b32_e32 v22, 1, v37
	v_add_nc_u32_e32 v5, 4, v5
	s_delay_alu instid0(VALU_DEP_3) | instskip(NEXT) | instid1(VALU_DEP_3)
	v_add_nc_u32_e32 v17, 5, v17
	v_cmp_eq_u32_e32 vcc_lo, 1, v22
	s_delay_alu instid0(VALU_DEP_3)
	v_cndmask_b32_e32 v5, v5, v16, vcc_lo
	v_cmp_eq_u32_e32 vcc_lo, 1, v24
	v_and_b32_e32 v16, 1, v41
	v_cndmask_b32_e32 v17, v17, v25, vcc_lo
	v_cmp_eq_u32_e32 vcc_lo, 1, v23
	v_cndmask_b32_e32 v5, v5, v29, vcc_lo
	s_delay_alu instid0(VALU_DEP_4) | instskip(SKIP_1) | instid1(VALU_DEP_3)
	v_cmp_eq_u32_e32 vcc_lo, 1, v16
	v_add_nc_u32_e32 v66, v68, v66
	v_dual_cndmask_b32 v16, v17, v30 :: v_dual_lshlrev_b32 v5, 2, v5
	s_delay_alu instid0(VALU_DEP_2) | instskip(SKIP_1) | instid1(VALU_DEP_3)
	v_sub_nc_u32_e32 v22, v66, v4
	v_add_nc_u32_e32 v62, v66, v62
	v_lshlrev_b32_e32 v16, 2, v16
	ds_store_b32 v5, v12
	ds_store_b32 v16, v13
	v_and_b32_e32 v12, 1, v40
	v_add_nc_u32_e32 v22, v22, v1
	v_add_nc_u32_e32 v64, v62, v64
	v_sub_nc_u32_e32 v17, v62, v4
	v_and_b32_e32 v16, 1, v43
	v_cmp_eq_u32_e32 vcc_lo, 1, v12
	v_add_nc_u32_e32 v65, v67, v65
	v_sub_nc_u32_e32 v15, v64, v4
	v_add_nc_u32_e32 v17, v17, v1
	s_delay_alu instid0(VALU_DEP_3) | instskip(NEXT) | instid1(VALU_DEP_3)
	v_sub_nc_u32_e32 v23, v65, v3
	v_add_nc_u32_e32 v15, v15, v1
	s_delay_alu instid0(VALU_DEP_2) | instskip(NEXT) | instid1(VALU_DEP_1)
	v_add_nc_u32_e32 v24, v23, v22
	v_sub_nc_u32_e32 v14, v28, v24
	v_and_b32_e32 v24, 1, v48
	s_delay_alu instid0(VALU_DEP_2) | instskip(SKIP_1) | instid1(VALU_DEP_2)
	v_add_nc_u32_e32 v13, 6, v14
	v_and_b32_e32 v14, 1, v42
	v_cndmask_b32_e32 v12, v13, v22, vcc_lo
	v_add_nc_u32_e32 v61, v65, v61
	s_delay_alu instid0(VALU_DEP_3) | instskip(SKIP_1) | instid1(VALU_DEP_3)
	v_cmp_eq_u32_e32 vcc_lo, 1, v14
	v_and_b32_e32 v22, 1, v44
	v_sub_nc_u32_e32 v25, v61, v3
	v_add_nc_u32_e32 v63, v61, v63
	v_cndmask_b32_e32 v12, v12, v23, vcc_lo
	v_cmp_eq_u32_e32 vcc_lo, 1, v16
	v_and_b32_e32 v23, 1, v46
	v_add_nc_u32_e32 v5, v25, v17
	v_sub_nc_u32_e32 v13, v63, v3
	v_lshlrev_b32_e32 v12, 2, v12
	v_add_nc_u32_e32 v59, v63, v59
	s_delay_alu instid0(VALU_DEP_4) | instskip(NEXT) | instid1(VALU_DEP_4)
	v_sub_nc_u32_e32 v5, v28, v5
	v_add_nc_u32_e32 v14, v13, v15
	s_delay_alu instid0(VALU_DEP_3) | instskip(NEXT) | instid1(VALU_DEP_3)
	v_add_nc_u32_e32 v57, v59, v57
	v_add_nc_u32_e32 v5, 7, v5
	s_delay_alu instid0(VALU_DEP_3) | instskip(NEXT) | instid1(VALU_DEP_3)
	v_sub_nc_u32_e32 v14, v28, v14
	v_add_nc_u32_e32 v55, v57, v55
	s_delay_alu instid0(VALU_DEP_3)
	v_cndmask_b32_e32 v5, v5, v17, vcc_lo
	v_cmp_eq_u32_e32 vcc_lo, 1, v22
	v_and_b32_e32 v17, 1, v45
	v_add_nc_u32_e32 v14, 8, v14
	v_sub_nc_u32_e32 v22, v59, v3
	v_add_nc_u32_e32 v53, v55, v53
	v_cndmask_b32_e32 v5, v5, v25, vcc_lo
	v_cmp_eq_u32_e32 vcc_lo, 1, v17
	v_sub_nc_u32_e32 v17, v55, v3
	v_and_b32_e32 v25, 1, v52
	s_delay_alu instid0(VALU_DEP_4)
	v_dual_cndmask_b32 v14, v14, v15 :: v_dual_lshlrev_b32 v5, 2, v5
	v_cmp_eq_u32_e32 vcc_lo, 1, v23
	v_add_nc_u32_e32 v60, v64, v60
	ds_store_b32 v12, v10
	ds_store_b32 v5, v11
	v_and_b32_e32 v11, 1, v49
	v_cndmask_b32_e32 v5, v14, v13, vcc_lo
	v_sub_nc_u32_e32 v16, v60, v4
	v_add_nc_u32_e32 v58, v60, v58
	v_and_b32_e32 v13, 1, v47
	s_delay_alu instid0(VALU_DEP_4) | instskip(NEXT) | instid1(VALU_DEP_4)
	v_lshlrev_b32_e32 v5, 2, v5
	v_add_nc_u32_e32 v16, v16, v1
	s_delay_alu instid0(VALU_DEP_4) | instskip(SKIP_2) | instid1(VALU_DEP_4)
	v_add_nc_u32_e32 v56, v58, v56
	v_sub_nc_u32_e32 v12, v58, v4
	v_cmp_eq_u32_e32 vcc_lo, 1, v13
	v_add_nc_u32_e32 v15, v22, v16
	s_delay_alu instid0(VALU_DEP_4) | instskip(NEXT) | instid1(VALU_DEP_4)
	v_sub_nc_u32_e32 v14, v56, v4
	v_add_nc_u32_e32 v12, v12, v1
	v_add_nc_u32_e32 v54, v56, v54
	s_delay_alu instid0(VALU_DEP_4) | instskip(SKIP_2) | instid1(VALU_DEP_4)
	v_sub_nc_u32_e32 v10, v28, v15
	v_sub_nc_u32_e32 v15, v57, v3
	v_add_nc_u32_e32 v14, v14, v1
	v_sub_nc_u32_e32 v23, v54, v4
	v_sub_nc_u32_e32 v3, v53, v3
	v_add_nc_u32_e32 v10, 9, v10
	v_add_nc_u32_e32 v13, v15, v12
	s_delay_alu instid0(VALU_DEP_2) | instskip(SKIP_2) | instid1(VALU_DEP_4)
	v_dual_cndmask_b32 v10, v10, v16 :: v_dual_add_nc_u32 v23, v23, v1
	v_add_nc_u32_e32 v16, v17, v14
	v_cmp_eq_u32_e32 vcc_lo, 1, v11
	v_sub_nc_u32_e32 v11, v28, v13
	v_and_b32_e32 v13, 1, v50
	s_delay_alu instid0(VALU_DEP_4) | instskip(NEXT) | instid1(VALU_DEP_3)
	v_sub_nc_u32_e32 v16, v28, v16
	v_dual_cndmask_b32 v10, v10, v22 :: v_dual_add_nc_u32 v11, 10, v11
	v_cmp_eq_u32_e32 vcc_lo, 1, v24
	v_add_nc_u32_e32 v22, v3, v23
	s_delay_alu instid0(VALU_DEP_4) | instskip(NEXT) | instid1(VALU_DEP_4)
	v_add_nc_u32_e32 v16, 11, v16
	v_dual_cndmask_b32 v11, v11, v12 :: v_dual_lshlrev_b32 v10, 2, v10
	v_cmp_eq_u32_e32 vcc_lo, 1, v25
	s_delay_alu instid0(VALU_DEP_4) | instskip(SKIP_3) | instid1(VALU_DEP_4)
	v_sub_nc_u32_e32 v22, v28, v22
	v_and_b32_e32 v12, 1, v51
	v_cndmask_b32_e32 v14, v16, v14, vcc_lo
	v_cmp_eq_u32_e32 vcc_lo, 1, v13
	v_dual_cndmask_b32 v11, v11, v15 :: v_dual_add_nc_u32 v16, 12, v22
	s_delay_alu instid0(VALU_DEP_4) | instskip(NEXT) | instid1(VALU_DEP_2)
	v_cmp_eq_u32_e32 vcc_lo, 1, v12
	v_cndmask_b32_e64 v13, v16, v23, s43
	s_delay_alu instid0(VALU_DEP_3) | instskip(NEXT) | instid1(VALU_DEP_2)
	v_dual_cndmask_b32 v12, v14, v17 :: v_dual_lshlrev_b32 v11, 2, v11
	v_cndmask_b32_e64 v3, v13, v3, s42
	s_delay_alu instid0(VALU_DEP_2)
	v_lshlrev_b32_e32 v12, 2, v12
	ds_store_b32 v5, v8
	ds_store_b32 v10, v9
	;; [unrolled: 1-line block ×4, first 2 shown]
	v_lshlrev_b32_e32 v3, 2, v3
	v_add_co_u32 v5, s0, v2, v74
	s_delay_alu instid0(VALU_DEP_1) | instskip(SKIP_4) | instid1(VALU_DEP_2)
	v_add_co_ci_u32_e64 v6, null, 0, 0, s0
	ds_store_b32 v3, v27
	v_add_co_u32 v3, vcc_lo, v5, v20
	v_add_co_ci_u32_e32 v5, vcc_lo, v6, v21, vcc_lo
	s_add_u32 s0, s34, s33
	v_add_co_u32 v3, vcc_lo, v3, v18
	s_delay_alu instid0(VALU_DEP_2) | instskip(SKIP_1) | instid1(VALU_DEP_2)
	v_add_co_ci_u32_e32 v5, vcc_lo, v5, v19, vcc_lo
	s_addc_u32 s1, s35, 0
	v_sub_co_u32 v3, vcc_lo, s0, v3
	s_delay_alu instid0(VALU_DEP_2)
	v_sub_co_ci_u32_e32 v9, vcc_lo, s1, v5, vcc_lo
	v_lshlrev_b64 v[5:6], 2, v[20:21]
	v_lshlrev_b64 v[7:8], 2, v[18:19]
	v_add_nc_u32_e32 v10, v1, v2
	s_add_u32 s1, s26, -4
	s_waitcnt lgkmcnt(0)
	s_barrier
	v_add_co_u32 v5, vcc_lo, s38, v5
	v_add_co_ci_u32_e32 v6, vcc_lo, s39, v6, vcc_lo
	v_cmp_ne_u32_e32 vcc_lo, 1, v26
	v_add_co_u32 v7, s0, s36, v7
	s_delay_alu instid0(VALU_DEP_1)
	v_add_co_ci_u32_e64 v8, s0, s37, v8, s0
	s_addc_u32 s0, s27, -1
	buffer_gl0_inv
	s_cbranch_vccz .LBB1490_133
; %bb.130:
	s_and_b32 vcc_lo, exec_lo, s2
	s_cbranch_vccnz .LBB1490_238
.LBB1490_131:
	v_cmp_eq_u32_e32 vcc_lo, 0, v0
	s_and_b32 s0, vcc_lo, s14
	s_delay_alu instid0(SALU_CYCLE_1)
	s_and_saveexec_b32 s1, s0
	s_cbranch_execnz .LBB1490_356
.LBB1490_132:
	s_nop 0
	s_sendmsg sendmsg(MSG_DEALLOC_VGPRS)
	s_endpgm
.LBB1490_133:
	s_mov_b32 s2, exec_lo
	v_cmpx_le_u32_e64 v1, v0
	s_xor_b32 s2, exec_lo, s2
	s_cbranch_execz .LBB1490_139
; %bb.134:
	s_mov_b32 s4, exec_lo
	v_cmpx_le_u32_e64 v10, v0
	s_xor_b32 s4, exec_lo, s4
	s_cbranch_execz .LBB1490_136
; %bb.135:
	v_lshlrev_b32_e32 v11, 2, v0
	ds_load_b32 v13, v11
	v_add_co_u32 v11, vcc_lo, v3, v0
	v_add_co_ci_u32_e32 v12, vcc_lo, 0, v9, vcc_lo
	s_delay_alu instid0(VALU_DEP_1) | instskip(NEXT) | instid1(VALU_DEP_1)
	v_lshlrev_b64 v[11:12], 2, v[11:12]
	v_sub_co_u32 v11, vcc_lo, s26, v11
	s_delay_alu instid0(VALU_DEP_2)
	v_sub_co_ci_u32_e32 v12, vcc_lo, s27, v12, vcc_lo
	s_waitcnt lgkmcnt(0)
	global_store_b32 v[11:12], v13, off offset:-4
.LBB1490_136:
	s_and_not1_saveexec_b32 s4, s4
	s_cbranch_execz .LBB1490_138
; %bb.137:
	v_lshlrev_b32_e32 v11, 2, v0
	v_readfirstlane_b32 s6, v5
	v_readfirstlane_b32 s7, v6
	ds_load_b32 v12, v11
	s_waitcnt lgkmcnt(0)
	global_store_b32 v11, v12, s[6:7]
.LBB1490_138:
	s_or_b32 exec_lo, exec_lo, s4
.LBB1490_139:
	s_and_not1_saveexec_b32 s2, s2
	s_cbranch_execz .LBB1490_141
; %bb.140:
	v_lshlrev_b32_e32 v11, 2, v0
	v_readfirstlane_b32 s4, v7
	v_readfirstlane_b32 s5, v8
	ds_load_b32 v12, v11
	s_waitcnt lgkmcnt(0)
	global_store_b32 v11, v12, s[4:5]
.LBB1490_141:
	s_or_b32 exec_lo, exec_lo, s2
	v_or_b32_e32 v11, 0x100, v0
	s_mov_b32 s2, exec_lo
	s_delay_alu instid0(VALU_DEP_1)
	v_cmpx_le_u32_e64 v1, v11
	s_xor_b32 s2, exec_lo, s2
	s_cbranch_execz .LBB1490_147
; %bb.142:
	s_mov_b32 s4, exec_lo
	v_cmpx_le_u32_e64 v10, v11
	s_xor_b32 s4, exec_lo, s4
	s_cbranch_execz .LBB1490_144
; %bb.143:
	v_lshlrev_b32_e32 v11, 2, v0
	ds_load_b32 v13, v11 offset:1024
	v_add_co_u32 v11, vcc_lo, v3, v0
	v_add_co_ci_u32_e32 v12, vcc_lo, 0, v9, vcc_lo
	s_delay_alu instid0(VALU_DEP_1) | instskip(NEXT) | instid1(VALU_DEP_1)
	v_lshlrev_b64 v[11:12], 2, v[11:12]
	v_sub_co_u32 v11, vcc_lo, s1, v11
	s_delay_alu instid0(VALU_DEP_2)
	v_sub_co_ci_u32_e32 v12, vcc_lo, s0, v12, vcc_lo
	s_waitcnt lgkmcnt(0)
	global_store_b32 v[11:12], v13, off offset:-1024
.LBB1490_144:
	s_and_not1_saveexec_b32 s4, s4
	s_cbranch_execz .LBB1490_146
; %bb.145:
	v_lshlrev_b32_e32 v11, 2, v0
	v_readfirstlane_b32 s6, v5
	v_readfirstlane_b32 s7, v6
	ds_load_b32 v12, v11 offset:1024
	s_waitcnt lgkmcnt(0)
	global_store_b32 v11, v12, s[6:7] offset:1024
.LBB1490_146:
	s_or_b32 exec_lo, exec_lo, s4
.LBB1490_147:
	s_and_not1_saveexec_b32 s2, s2
	s_cbranch_execz .LBB1490_149
; %bb.148:
	v_lshlrev_b32_e32 v11, 2, v0
	v_readfirstlane_b32 s4, v7
	v_readfirstlane_b32 s5, v8
	ds_load_b32 v12, v11 offset:1024
	s_waitcnt lgkmcnt(0)
	global_store_b32 v11, v12, s[4:5] offset:1024
.LBB1490_149:
	s_or_b32 exec_lo, exec_lo, s2
	v_or_b32_e32 v11, 0x200, v0
	s_mov_b32 s2, exec_lo
	s_delay_alu instid0(VALU_DEP_1)
	v_cmpx_le_u32_e64 v1, v11
	s_xor_b32 s2, exec_lo, s2
	s_cbranch_execz .LBB1490_155
; %bb.150:
	s_mov_b32 s4, exec_lo
	v_cmpx_le_u32_e64 v10, v11
	s_xor_b32 s4, exec_lo, s4
	s_cbranch_execz .LBB1490_152
; %bb.151:
	v_lshlrev_b32_e32 v11, 2, v0
	ds_load_b32 v13, v11 offset:2048
	v_add_co_u32 v11, vcc_lo, v3, v0
	v_add_co_ci_u32_e32 v12, vcc_lo, 0, v9, vcc_lo
	s_delay_alu instid0(VALU_DEP_1) | instskip(NEXT) | instid1(VALU_DEP_1)
	v_lshlrev_b64 v[11:12], 2, v[11:12]
	v_sub_co_u32 v11, vcc_lo, s1, v11
	s_delay_alu instid0(VALU_DEP_2)
	v_sub_co_ci_u32_e32 v12, vcc_lo, s0, v12, vcc_lo
	s_waitcnt lgkmcnt(0)
	global_store_b32 v[11:12], v13, off offset:-2048
.LBB1490_152:
	s_and_not1_saveexec_b32 s4, s4
	s_cbranch_execz .LBB1490_154
; %bb.153:
	v_lshlrev_b32_e32 v11, 2, v0
	v_readfirstlane_b32 s6, v5
	v_readfirstlane_b32 s7, v6
	ds_load_b32 v12, v11 offset:2048
	s_waitcnt lgkmcnt(0)
	global_store_b32 v11, v12, s[6:7] offset:2048
.LBB1490_154:
	s_or_b32 exec_lo, exec_lo, s4
.LBB1490_155:
	s_and_not1_saveexec_b32 s2, s2
	s_cbranch_execz .LBB1490_157
; %bb.156:
	v_lshlrev_b32_e32 v11, 2, v0
	v_readfirstlane_b32 s4, v7
	v_readfirstlane_b32 s5, v8
	ds_load_b32 v12, v11 offset:2048
	s_waitcnt lgkmcnt(0)
	global_store_b32 v11, v12, s[4:5] offset:2048
.LBB1490_157:
	;; [unrolled: 47-line block ×3, first 2 shown]
	s_or_b32 exec_lo, exec_lo, s2
	v_or_b32_e32 v11, 0x400, v0
	s_mov_b32 s2, exec_lo
	s_delay_alu instid0(VALU_DEP_1)
	v_cmpx_le_u32_e64 v1, v11
	s_xor_b32 s2, exec_lo, s2
	s_cbranch_execz .LBB1490_171
; %bb.166:
	s_mov_b32 s4, exec_lo
	v_cmpx_le_u32_e64 v10, v11
	s_xor_b32 s4, exec_lo, s4
	s_cbranch_execz .LBB1490_168
; %bb.167:
	v_lshlrev_b32_e32 v11, 2, v0
	ds_load_b32 v13, v11 offset:4096
	v_add_co_u32 v11, vcc_lo, v3, v0
	v_add_co_ci_u32_e32 v12, vcc_lo, 0, v9, vcc_lo
	s_delay_alu instid0(VALU_DEP_1) | instskip(NEXT) | instid1(VALU_DEP_1)
	v_lshlrev_b64 v[11:12], 2, v[11:12]
	v_sub_co_u32 v11, vcc_lo, s1, v11
	s_delay_alu instid0(VALU_DEP_2)
	v_sub_co_ci_u32_e32 v12, vcc_lo, s0, v12, vcc_lo
	s_waitcnt lgkmcnt(0)
	global_store_b32 v[11:12], v13, off offset:-4096
                                        ; implicit-def: $vgpr11
.LBB1490_168:
	s_and_not1_saveexec_b32 s4, s4
	s_cbranch_execz .LBB1490_170
; %bb.169:
	v_lshlrev_b32_e32 v12, 2, v0
	v_lshlrev_b32_e32 v11, 2, v11
	v_readfirstlane_b32 s6, v5
	v_readfirstlane_b32 s7, v6
	ds_load_b32 v12, v12 offset:4096
	s_waitcnt lgkmcnt(0)
	global_store_b32 v11, v12, s[6:7]
.LBB1490_170:
	s_or_b32 exec_lo, exec_lo, s4
                                        ; implicit-def: $vgpr11
.LBB1490_171:
	s_and_not1_saveexec_b32 s2, s2
	s_cbranch_execz .LBB1490_173
; %bb.172:
	v_lshlrev_b32_e32 v12, 2, v0
	v_lshlrev_b32_e32 v11, 2, v11
	v_readfirstlane_b32 s4, v7
	v_readfirstlane_b32 s5, v8
	ds_load_b32 v12, v12 offset:4096
	s_waitcnt lgkmcnt(0)
	global_store_b32 v11, v12, s[4:5]
.LBB1490_173:
	s_or_b32 exec_lo, exec_lo, s2
	v_or_b32_e32 v11, 0x500, v0
	s_mov_b32 s2, exec_lo
	s_delay_alu instid0(VALU_DEP_1)
	v_cmpx_le_u32_e64 v1, v11
	s_xor_b32 s2, exec_lo, s2
	s_cbranch_execz .LBB1490_179
; %bb.174:
	s_mov_b32 s4, exec_lo
	v_cmpx_le_u32_e64 v10, v11
	s_xor_b32 s4, exec_lo, s4
	s_cbranch_execz .LBB1490_176
; %bb.175:
	v_lshlrev_b32_e32 v12, 2, v0
	v_add_co_u32 v11, vcc_lo, v3, v11
	ds_load_b32 v13, v12 offset:5120
	v_add_co_ci_u32_e32 v12, vcc_lo, 0, v9, vcc_lo
	s_delay_alu instid0(VALU_DEP_1) | instskip(NEXT) | instid1(VALU_DEP_1)
	v_lshlrev_b64 v[11:12], 2, v[11:12]
	v_sub_co_u32 v11, vcc_lo, s1, v11
	s_delay_alu instid0(VALU_DEP_2)
	v_sub_co_ci_u32_e32 v12, vcc_lo, s0, v12, vcc_lo
	s_waitcnt lgkmcnt(0)
	global_store_b32 v[11:12], v13, off
                                        ; implicit-def: $vgpr11
.LBB1490_176:
	s_and_not1_saveexec_b32 s4, s4
	s_cbranch_execz .LBB1490_178
; %bb.177:
	v_lshlrev_b32_e32 v12, 2, v0
	v_lshlrev_b32_e32 v11, 2, v11
	v_readfirstlane_b32 s6, v5
	v_readfirstlane_b32 s7, v6
	ds_load_b32 v12, v12 offset:5120
	s_waitcnt lgkmcnt(0)
	global_store_b32 v11, v12, s[6:7]
.LBB1490_178:
	s_or_b32 exec_lo, exec_lo, s4
                                        ; implicit-def: $vgpr11
.LBB1490_179:
	s_and_not1_saveexec_b32 s2, s2
	s_cbranch_execz .LBB1490_181
; %bb.180:
	v_lshlrev_b32_e32 v12, 2, v0
	v_lshlrev_b32_e32 v11, 2, v11
	v_readfirstlane_b32 s4, v7
	v_readfirstlane_b32 s5, v8
	ds_load_b32 v12, v12 offset:5120
	s_waitcnt lgkmcnt(0)
	global_store_b32 v11, v12, s[4:5]
.LBB1490_181:
	s_or_b32 exec_lo, exec_lo, s2
	v_or_b32_e32 v11, 0x600, v0
	s_mov_b32 s2, exec_lo
	s_delay_alu instid0(VALU_DEP_1)
	v_cmpx_le_u32_e64 v1, v11
	s_xor_b32 s2, exec_lo, s2
	s_cbranch_execz .LBB1490_187
; %bb.182:
	s_mov_b32 s4, exec_lo
	v_cmpx_le_u32_e64 v10, v11
	s_xor_b32 s4, exec_lo, s4
	s_cbranch_execz .LBB1490_184
; %bb.183:
	v_lshlrev_b32_e32 v12, 2, v0
	v_add_co_u32 v11, vcc_lo, v3, v11
	ds_load_b32 v13, v12 offset:6144
	v_add_co_ci_u32_e32 v12, vcc_lo, 0, v9, vcc_lo
	s_delay_alu instid0(VALU_DEP_1) | instskip(NEXT) | instid1(VALU_DEP_1)
	v_lshlrev_b64 v[11:12], 2, v[11:12]
	v_sub_co_u32 v11, vcc_lo, s1, v11
	s_delay_alu instid0(VALU_DEP_2)
	v_sub_co_ci_u32_e32 v12, vcc_lo, s0, v12, vcc_lo
	s_waitcnt lgkmcnt(0)
	global_store_b32 v[11:12], v13, off
                                        ; implicit-def: $vgpr11
.LBB1490_184:
	s_and_not1_saveexec_b32 s4, s4
	s_cbranch_execz .LBB1490_186
; %bb.185:
	v_lshlrev_b32_e32 v12, 2, v0
	v_lshlrev_b32_e32 v11, 2, v11
	v_readfirstlane_b32 s6, v5
	v_readfirstlane_b32 s7, v6
	ds_load_b32 v12, v12 offset:6144
	s_waitcnt lgkmcnt(0)
	global_store_b32 v11, v12, s[6:7]
.LBB1490_186:
	s_or_b32 exec_lo, exec_lo, s4
                                        ; implicit-def: $vgpr11
.LBB1490_187:
	;; [unrolled: 51-line block ×8, first 2 shown]
	s_and_not1_saveexec_b32 s2, s2
	s_cbranch_execz .LBB1490_237
; %bb.236:
	v_lshlrev_b32_e32 v12, 2, v0
	v_lshlrev_b32_e32 v11, 2, v11
	v_readfirstlane_b32 s4, v7
	v_readfirstlane_b32 s5, v8
	ds_load_b32 v12, v12 offset:12288
	s_waitcnt lgkmcnt(0)
	global_store_b32 v11, v12, s[4:5]
.LBB1490_237:
	s_or_b32 exec_lo, exec_lo, s2
	s_branch .LBB1490_131
.LBB1490_238:
	s_mov_b32 s2, exec_lo
	v_cmpx_gt_u32_e64 s3, v0
	s_cbranch_execz .LBB1490_247
; %bb.239:
	s_mov_b32 s4, exec_lo
	v_cmpx_le_u32_e64 v1, v0
	s_xor_b32 s4, exec_lo, s4
	s_cbranch_execz .LBB1490_245
; %bb.240:
	s_mov_b32 s5, exec_lo
	v_cmpx_le_u32_e64 v10, v0
	s_xor_b32 s5, exec_lo, s5
	s_cbranch_execz .LBB1490_242
; %bb.241:
	v_lshlrev_b32_e32 v11, 2, v0
	ds_load_b32 v13, v11
	v_add_co_u32 v11, vcc_lo, v3, v0
	v_add_co_ci_u32_e32 v12, vcc_lo, 0, v9, vcc_lo
	s_delay_alu instid0(VALU_DEP_1) | instskip(NEXT) | instid1(VALU_DEP_1)
	v_lshlrev_b64 v[11:12], 2, v[11:12]
	v_sub_co_u32 v11, vcc_lo, s26, v11
	s_delay_alu instid0(VALU_DEP_2)
	v_sub_co_ci_u32_e32 v12, vcc_lo, s27, v12, vcc_lo
	s_waitcnt lgkmcnt(0)
	global_store_b32 v[11:12], v13, off offset:-4
.LBB1490_242:
	s_and_not1_saveexec_b32 s5, s5
	s_cbranch_execz .LBB1490_244
; %bb.243:
	v_lshlrev_b32_e32 v11, 2, v0
	v_readfirstlane_b32 s6, v5
	v_readfirstlane_b32 s7, v6
	ds_load_b32 v12, v11
	s_waitcnt lgkmcnt(0)
	global_store_b32 v11, v12, s[6:7]
.LBB1490_244:
	s_or_b32 exec_lo, exec_lo, s5
.LBB1490_245:
	s_and_not1_saveexec_b32 s4, s4
	s_cbranch_execz .LBB1490_247
; %bb.246:
	v_lshlrev_b32_e32 v11, 2, v0
	v_readfirstlane_b32 s4, v7
	v_readfirstlane_b32 s5, v8
	ds_load_b32 v12, v11
	s_waitcnt lgkmcnt(0)
	global_store_b32 v11, v12, s[4:5]
.LBB1490_247:
	s_or_b32 exec_lo, exec_lo, s2
	v_or_b32_e32 v11, 0x100, v0
	s_mov_b32 s2, exec_lo
	s_delay_alu instid0(VALU_DEP_1)
	v_cmpx_gt_u32_e64 s3, v11
	s_cbranch_execz .LBB1490_256
; %bb.248:
	s_mov_b32 s4, exec_lo
	v_cmpx_le_u32_e64 v1, v11
	s_xor_b32 s4, exec_lo, s4
	s_cbranch_execz .LBB1490_254
; %bb.249:
	s_mov_b32 s5, exec_lo
	v_cmpx_le_u32_e64 v10, v11
	s_xor_b32 s5, exec_lo, s5
	s_cbranch_execz .LBB1490_251
; %bb.250:
	v_lshlrev_b32_e32 v11, 2, v0
	ds_load_b32 v13, v11 offset:1024
	v_add_co_u32 v11, vcc_lo, v3, v0
	v_add_co_ci_u32_e32 v12, vcc_lo, 0, v9, vcc_lo
	s_delay_alu instid0(VALU_DEP_1) | instskip(NEXT) | instid1(VALU_DEP_1)
	v_lshlrev_b64 v[11:12], 2, v[11:12]
	v_sub_co_u32 v11, vcc_lo, s1, v11
	s_delay_alu instid0(VALU_DEP_2)
	v_sub_co_ci_u32_e32 v12, vcc_lo, s0, v12, vcc_lo
	s_waitcnt lgkmcnt(0)
	global_store_b32 v[11:12], v13, off offset:-1024
.LBB1490_251:
	s_and_not1_saveexec_b32 s5, s5
	s_cbranch_execz .LBB1490_253
; %bb.252:
	v_lshlrev_b32_e32 v11, 2, v0
	v_readfirstlane_b32 s6, v5
	v_readfirstlane_b32 s7, v6
	ds_load_b32 v12, v11 offset:1024
	s_waitcnt lgkmcnt(0)
	global_store_b32 v11, v12, s[6:7] offset:1024
.LBB1490_253:
	s_or_b32 exec_lo, exec_lo, s5
.LBB1490_254:
	s_and_not1_saveexec_b32 s4, s4
	s_cbranch_execz .LBB1490_256
; %bb.255:
	v_lshlrev_b32_e32 v11, 2, v0
	v_readfirstlane_b32 s4, v7
	v_readfirstlane_b32 s5, v8
	ds_load_b32 v12, v11 offset:1024
	s_waitcnt lgkmcnt(0)
	global_store_b32 v11, v12, s[4:5] offset:1024
.LBB1490_256:
	s_or_b32 exec_lo, exec_lo, s2
	v_or_b32_e32 v11, 0x200, v0
	s_mov_b32 s2, exec_lo
	s_delay_alu instid0(VALU_DEP_1)
	v_cmpx_gt_u32_e64 s3, v11
	s_cbranch_execz .LBB1490_265
; %bb.257:
	s_mov_b32 s4, exec_lo
	v_cmpx_le_u32_e64 v1, v11
	s_xor_b32 s4, exec_lo, s4
	s_cbranch_execz .LBB1490_263
; %bb.258:
	s_mov_b32 s5, exec_lo
	v_cmpx_le_u32_e64 v10, v11
	s_xor_b32 s5, exec_lo, s5
	s_cbranch_execz .LBB1490_260
; %bb.259:
	v_lshlrev_b32_e32 v11, 2, v0
	ds_load_b32 v13, v11 offset:2048
	v_add_co_u32 v11, vcc_lo, v3, v0
	v_add_co_ci_u32_e32 v12, vcc_lo, 0, v9, vcc_lo
	s_delay_alu instid0(VALU_DEP_1) | instskip(NEXT) | instid1(VALU_DEP_1)
	v_lshlrev_b64 v[11:12], 2, v[11:12]
	v_sub_co_u32 v11, vcc_lo, s1, v11
	s_delay_alu instid0(VALU_DEP_2)
	v_sub_co_ci_u32_e32 v12, vcc_lo, s0, v12, vcc_lo
	s_waitcnt lgkmcnt(0)
	global_store_b32 v[11:12], v13, off offset:-2048
.LBB1490_260:
	s_and_not1_saveexec_b32 s5, s5
	s_cbranch_execz .LBB1490_262
; %bb.261:
	v_lshlrev_b32_e32 v11, 2, v0
	v_readfirstlane_b32 s6, v5
	v_readfirstlane_b32 s7, v6
	ds_load_b32 v12, v11 offset:2048
	s_waitcnt lgkmcnt(0)
	global_store_b32 v11, v12, s[6:7] offset:2048
.LBB1490_262:
	s_or_b32 exec_lo, exec_lo, s5
.LBB1490_263:
	s_and_not1_saveexec_b32 s4, s4
	s_cbranch_execz .LBB1490_265
; %bb.264:
	v_lshlrev_b32_e32 v11, 2, v0
	v_readfirstlane_b32 s4, v7
	v_readfirstlane_b32 s5, v8
	ds_load_b32 v12, v11 offset:2048
	s_waitcnt lgkmcnt(0)
	global_store_b32 v11, v12, s[4:5] offset:2048
.LBB1490_265:
	;; [unrolled: 51-line block ×3, first 2 shown]
	s_or_b32 exec_lo, exec_lo, s2
	v_or_b32_e32 v11, 0x400, v0
	s_mov_b32 s2, exec_lo
	s_delay_alu instid0(VALU_DEP_1)
	v_cmpx_gt_u32_e64 s3, v11
	s_cbranch_execz .LBB1490_283
; %bb.275:
	s_mov_b32 s4, exec_lo
	v_cmpx_le_u32_e64 v1, v11
	s_xor_b32 s4, exec_lo, s4
	s_cbranch_execz .LBB1490_281
; %bb.276:
	s_mov_b32 s5, exec_lo
	v_cmpx_le_u32_e64 v10, v11
	s_xor_b32 s5, exec_lo, s5
	s_cbranch_execz .LBB1490_278
; %bb.277:
	v_lshlrev_b32_e32 v11, 2, v0
	ds_load_b32 v13, v11 offset:4096
	v_add_co_u32 v11, vcc_lo, v3, v0
	v_add_co_ci_u32_e32 v12, vcc_lo, 0, v9, vcc_lo
	s_delay_alu instid0(VALU_DEP_1) | instskip(NEXT) | instid1(VALU_DEP_1)
	v_lshlrev_b64 v[11:12], 2, v[11:12]
	v_sub_co_u32 v11, vcc_lo, s1, v11
	s_delay_alu instid0(VALU_DEP_2)
	v_sub_co_ci_u32_e32 v12, vcc_lo, s0, v12, vcc_lo
	s_waitcnt lgkmcnt(0)
	global_store_b32 v[11:12], v13, off offset:-4096
                                        ; implicit-def: $vgpr11
.LBB1490_278:
	s_and_not1_saveexec_b32 s5, s5
	s_cbranch_execz .LBB1490_280
; %bb.279:
	v_lshlrev_b32_e32 v12, 2, v0
	v_lshlrev_b32_e32 v11, 2, v11
	v_readfirstlane_b32 s6, v5
	v_readfirstlane_b32 s7, v6
	ds_load_b32 v12, v12 offset:4096
	s_waitcnt lgkmcnt(0)
	global_store_b32 v11, v12, s[6:7]
.LBB1490_280:
	s_or_b32 exec_lo, exec_lo, s5
                                        ; implicit-def: $vgpr11
.LBB1490_281:
	s_and_not1_saveexec_b32 s4, s4
	s_cbranch_execz .LBB1490_283
; %bb.282:
	v_lshlrev_b32_e32 v12, 2, v0
	v_lshlrev_b32_e32 v11, 2, v11
	v_readfirstlane_b32 s4, v7
	v_readfirstlane_b32 s5, v8
	ds_load_b32 v12, v12 offset:4096
	s_waitcnt lgkmcnt(0)
	global_store_b32 v11, v12, s[4:5]
.LBB1490_283:
	s_or_b32 exec_lo, exec_lo, s2
	v_or_b32_e32 v11, 0x500, v0
	s_mov_b32 s2, exec_lo
	s_delay_alu instid0(VALU_DEP_1)
	v_cmpx_gt_u32_e64 s3, v11
	s_cbranch_execz .LBB1490_292
; %bb.284:
	s_mov_b32 s4, exec_lo
	v_cmpx_le_u32_e64 v1, v11
	s_xor_b32 s4, exec_lo, s4
	s_cbranch_execz .LBB1490_290
; %bb.285:
	s_mov_b32 s5, exec_lo
	v_cmpx_le_u32_e64 v10, v11
	s_xor_b32 s5, exec_lo, s5
	s_cbranch_execz .LBB1490_287
; %bb.286:
	v_lshlrev_b32_e32 v12, 2, v0
	v_add_co_u32 v11, vcc_lo, v3, v11
	ds_load_b32 v13, v12 offset:5120
	v_add_co_ci_u32_e32 v12, vcc_lo, 0, v9, vcc_lo
	s_delay_alu instid0(VALU_DEP_1) | instskip(NEXT) | instid1(VALU_DEP_1)
	v_lshlrev_b64 v[11:12], 2, v[11:12]
	v_sub_co_u32 v11, vcc_lo, s1, v11
	s_delay_alu instid0(VALU_DEP_2)
	v_sub_co_ci_u32_e32 v12, vcc_lo, s0, v12, vcc_lo
	s_waitcnt lgkmcnt(0)
	global_store_b32 v[11:12], v13, off
                                        ; implicit-def: $vgpr11
.LBB1490_287:
	s_and_not1_saveexec_b32 s5, s5
	s_cbranch_execz .LBB1490_289
; %bb.288:
	v_lshlrev_b32_e32 v12, 2, v0
	v_lshlrev_b32_e32 v11, 2, v11
	v_readfirstlane_b32 s6, v5
	v_readfirstlane_b32 s7, v6
	ds_load_b32 v12, v12 offset:5120
	s_waitcnt lgkmcnt(0)
	global_store_b32 v11, v12, s[6:7]
.LBB1490_289:
	s_or_b32 exec_lo, exec_lo, s5
                                        ; implicit-def: $vgpr11
.LBB1490_290:
	s_and_not1_saveexec_b32 s4, s4
	s_cbranch_execz .LBB1490_292
; %bb.291:
	v_lshlrev_b32_e32 v12, 2, v0
	v_lshlrev_b32_e32 v11, 2, v11
	v_readfirstlane_b32 s4, v7
	v_readfirstlane_b32 s5, v8
	ds_load_b32 v12, v12 offset:5120
	s_waitcnt lgkmcnt(0)
	global_store_b32 v11, v12, s[4:5]
.LBB1490_292:
	s_or_b32 exec_lo, exec_lo, s2
	v_or_b32_e32 v11, 0x600, v0
	s_mov_b32 s2, exec_lo
	s_delay_alu instid0(VALU_DEP_1)
	v_cmpx_gt_u32_e64 s3, v11
	s_cbranch_execz .LBB1490_301
; %bb.293:
	s_mov_b32 s4, exec_lo
	v_cmpx_le_u32_e64 v1, v11
	s_xor_b32 s4, exec_lo, s4
	s_cbranch_execz .LBB1490_299
; %bb.294:
	s_mov_b32 s5, exec_lo
	v_cmpx_le_u32_e64 v10, v11
	s_xor_b32 s5, exec_lo, s5
	s_cbranch_execz .LBB1490_296
; %bb.295:
	v_lshlrev_b32_e32 v12, 2, v0
	v_add_co_u32 v11, vcc_lo, v3, v11
	ds_load_b32 v13, v12 offset:6144
	v_add_co_ci_u32_e32 v12, vcc_lo, 0, v9, vcc_lo
	s_delay_alu instid0(VALU_DEP_1) | instskip(NEXT) | instid1(VALU_DEP_1)
	v_lshlrev_b64 v[11:12], 2, v[11:12]
	v_sub_co_u32 v11, vcc_lo, s1, v11
	s_delay_alu instid0(VALU_DEP_2)
	v_sub_co_ci_u32_e32 v12, vcc_lo, s0, v12, vcc_lo
	s_waitcnt lgkmcnt(0)
	global_store_b32 v[11:12], v13, off
                                        ; implicit-def: $vgpr11
.LBB1490_296:
	s_and_not1_saveexec_b32 s5, s5
	s_cbranch_execz .LBB1490_298
; %bb.297:
	v_lshlrev_b32_e32 v12, 2, v0
	v_lshlrev_b32_e32 v11, 2, v11
	v_readfirstlane_b32 s6, v5
	v_readfirstlane_b32 s7, v6
	ds_load_b32 v12, v12 offset:6144
	s_waitcnt lgkmcnt(0)
	global_store_b32 v11, v12, s[6:7]
.LBB1490_298:
	s_or_b32 exec_lo, exec_lo, s5
                                        ; implicit-def: $vgpr11
.LBB1490_299:
	s_and_not1_saveexec_b32 s4, s4
	s_cbranch_execz .LBB1490_301
; %bb.300:
	v_lshlrev_b32_e32 v12, 2, v0
	v_lshlrev_b32_e32 v11, 2, v11
	v_readfirstlane_b32 s4, v7
	v_readfirstlane_b32 s5, v8
	ds_load_b32 v12, v12 offset:6144
	s_waitcnt lgkmcnt(0)
	global_store_b32 v11, v12, s[4:5]
.LBB1490_301:
	;; [unrolled: 55-line block ×7, first 2 shown]
	s_or_b32 exec_lo, exec_lo, s2
	v_or_b32_e32 v11, 0xc00, v0
	s_mov_b32 s2, exec_lo
	s_delay_alu instid0(VALU_DEP_1)
	v_cmpx_gt_u32_e64 s3, v11
	s_cbranch_execz .LBB1490_355
; %bb.347:
	s_mov_b32 s3, exec_lo
	v_cmpx_le_u32_e64 v1, v11
	s_xor_b32 s3, exec_lo, s3
	s_cbranch_execz .LBB1490_353
; %bb.348:
	s_mov_b32 s4, exec_lo
	v_cmpx_le_u32_e64 v10, v11
	s_xor_b32 s4, exec_lo, s4
	s_cbranch_execz .LBB1490_350
; %bb.349:
	v_lshlrev_b32_e32 v5, 2, v0
	ds_load_b32 v7, v5 offset:12288
	v_add_co_u32 v5, vcc_lo, v3, v11
	v_add_co_ci_u32_e32 v6, vcc_lo, 0, v9, vcc_lo
                                        ; implicit-def: $vgpr11
	s_delay_alu instid0(VALU_DEP_1) | instskip(NEXT) | instid1(VALU_DEP_1)
	v_lshlrev_b64 v[5:6], 2, v[5:6]
	v_sub_co_u32 v5, vcc_lo, s1, v5
	s_delay_alu instid0(VALU_DEP_2)
	v_sub_co_ci_u32_e32 v6, vcc_lo, s0, v6, vcc_lo
	s_waitcnt lgkmcnt(0)
	global_store_b32 v[5:6], v7, off
                                        ; implicit-def: $vgpr5_vgpr6
.LBB1490_350:
	s_and_not1_saveexec_b32 s0, s4
	s_cbranch_execz .LBB1490_352
; %bb.351:
	v_lshlrev_b32_e32 v3, 2, v0
	v_lshlrev_b32_e32 v7, 2, v11
	v_readfirstlane_b32 s4, v5
	v_readfirstlane_b32 s5, v6
	ds_load_b32 v3, v3 offset:12288
	s_waitcnt lgkmcnt(0)
	global_store_b32 v7, v3, s[4:5]
.LBB1490_352:
	s_or_b32 exec_lo, exec_lo, s0
                                        ; implicit-def: $vgpr11
                                        ; implicit-def: $vgpr7_vgpr8
.LBB1490_353:
	s_and_not1_saveexec_b32 s0, s3
	s_cbranch_execz .LBB1490_355
; %bb.354:
	v_lshlrev_b32_e32 v3, 2, v0
	v_lshlrev_b32_e32 v5, 2, v11
	v_readfirstlane_b32 s0, v7
	v_readfirstlane_b32 s1, v8
	ds_load_b32 v3, v3 offset:12288
	s_waitcnt lgkmcnt(0)
	global_store_b32 v5, v3, s[0:1]
.LBB1490_355:
	s_or_b32 exec_lo, exec_lo, s2
	v_cmp_eq_u32_e32 vcc_lo, 0, v0
	s_and_b32 s0, vcc_lo, s14
	s_delay_alu instid0(SALU_CYCLE_1)
	s_and_saveexec_b32 s1, s0
	s_cbranch_execz .LBB1490_132
.LBB1490_356:
	v_add_co_u32 v2, s0, s30, v2
	s_delay_alu instid0(VALU_DEP_1) | instskip(SKIP_2) | instid1(VALU_DEP_4)
	v_add_co_ci_u32_e64 v3, null, s31, 0, s0
	v_add_co_u32 v0, vcc_lo, v18, v1
	v_add_co_ci_u32_e32 v1, vcc_lo, 0, v19, vcc_lo
	v_add_co_u32 v2, vcc_lo, v2, v4
	v_mov_b32_e32 v5, 0
	v_add_co_ci_u32_e32 v3, vcc_lo, 0, v3, vcc_lo
	global_store_b128 v5, v[0:3], s[24:25]
	s_nop 0
	s_sendmsg sendmsg(MSG_DEALLOC_VGPRS)
	s_endpgm
.LBB1490_357:
	v_add_nc_u32_e32 v3, s7, v23
	s_add_i32 s10, s15, 32
	s_mov_b32 s11, 0
	v_dual_mov_b32 v5, 0 :: v_dual_add_nc_u32 v2, v22, v1
	s_lshl_b64 s[10:11], s[10:11], 4
	v_and_b32_e32 v20, 0xff0000, v3
	s_add_u32 s10, s4, s10
	s_addc_u32 s11, s5, s11
	v_and_b32_e32 v4, 0xff000000, v3
	s_delay_alu instid0(VALU_DEP_1) | instskip(SKIP_2) | instid1(VALU_DEP_1)
	v_or_b32_e32 v20, v20, v4
	v_dual_mov_b32 v4, 2 :: v_dual_and_b32 v21, 0xff00, v3
	v_and_b32_e32 v3, 0xff, v3
	v_or3_b32 v3, v20, v21, v3
	v_dual_mov_b32 v21, s11 :: v_dual_mov_b32 v20, s10
	;;#ASMSTART
	global_store_dwordx4 v[20:21], v[2:5] off	
s_waitcnt vmcnt(0)
	;;#ASMEND
	s_or_b32 exec_lo, exec_lo, s8
	s_and_saveexec_b32 s8, s2
	s_cbranch_execz .LBB1490_116
.LBB1490_358:
	v_mov_b32_e32 v2, s7
	v_add_nc_u32_e64 v3, 0x3400, 0
	ds_store_2addr_b32 v3, v1, v2 offset1:2
	ds_store_2addr_b32 v3, v22, v23 offset0:4 offset1:6
	s_or_b32 exec_lo, exec_lo, s8
	v_cmp_eq_u32_e32 vcc_lo, 0, v0
	s_and_b32 exec_lo, exec_lo, vcc_lo
	s_cbranch_execnz .LBB1490_117
	s_branch .LBB1490_118
	.section	.rodata,"a",@progbits
	.p2align	6, 0x0
	.amdhsa_kernel _ZN7rocprim17ROCPRIM_400000_NS6detail17trampoline_kernelINS0_13select_configILj256ELj13ELNS0_17block_load_methodE3ELS4_3ELS4_3ELNS0_20block_scan_algorithmE0ELj4294967295EEENS1_25partition_config_selectorILNS1_17partition_subalgoE4EjNS0_10empty_typeEbEEZZNS1_14partition_implILS8_4ELb0ES6_15HIP_vector_typeIjLj2EENS0_17counting_iteratorIjlEEPS9_SG_NS0_5tupleIJPjSI_NS0_16reverse_iteratorISI_EEEEENSH_IJSG_SG_SG_EEES9_SI_JZNS1_25segmented_radix_sort_implINS0_14default_configELb1EPKbPbPKlPlN2at6native12_GLOBAL__N_18offset_tEEE10hipError_tPvRmT1_PNSt15iterator_traitsIS12_E10value_typeET2_T3_PNS13_IS18_E10value_typeET4_jRbjT5_S1E_jjP12ihipStream_tbEUljE_ZNSN_ISO_Lb1ESQ_SR_ST_SU_SY_EESZ_S10_S11_S12_S16_S17_S18_S1B_S1C_jS1D_jS1E_S1E_jjS1G_bEUljE0_EEESZ_S10_S11_S18_S1C_S1E_T6_T7_T9_mT8_S1G_bDpT10_ENKUlT_T0_E_clISt17integral_constantIbLb1EES1T_IbLb0EEEEDaS1P_S1Q_EUlS1P_E_NS1_11comp_targetILNS1_3genE9ELNS1_11target_archE1100ELNS1_3gpuE3ELNS1_3repE0EEENS1_30default_config_static_selectorELNS0_4arch9wavefront6targetE0EEEvS12_
		.amdhsa_group_segment_fixed_size 13340
		.amdhsa_private_segment_fixed_size 0
		.amdhsa_kernarg_size 176
		.amdhsa_user_sgpr_count 15
		.amdhsa_user_sgpr_dispatch_ptr 0
		.amdhsa_user_sgpr_queue_ptr 0
		.amdhsa_user_sgpr_kernarg_segment_ptr 1
		.amdhsa_user_sgpr_dispatch_id 0
		.amdhsa_user_sgpr_private_segment_size 0
		.amdhsa_wavefront_size32 1
		.amdhsa_uses_dynamic_stack 0
		.amdhsa_enable_private_segment 0
		.amdhsa_system_sgpr_workgroup_id_x 1
		.amdhsa_system_sgpr_workgroup_id_y 0
		.amdhsa_system_sgpr_workgroup_id_z 0
		.amdhsa_system_sgpr_workgroup_info 0
		.amdhsa_system_vgpr_workitem_id 0
		.amdhsa_next_free_vgpr 98
		.amdhsa_next_free_sgpr 59
		.amdhsa_reserve_vcc 1
		.amdhsa_float_round_mode_32 0
		.amdhsa_float_round_mode_16_64 0
		.amdhsa_float_denorm_mode_32 3
		.amdhsa_float_denorm_mode_16_64 3
		.amdhsa_dx10_clamp 1
		.amdhsa_ieee_mode 1
		.amdhsa_fp16_overflow 0
		.amdhsa_workgroup_processor_mode 1
		.amdhsa_memory_ordered 1
		.amdhsa_forward_progress 0
		.amdhsa_shared_vgpr_count 0
		.amdhsa_exception_fp_ieee_invalid_op 0
		.amdhsa_exception_fp_denorm_src 0
		.amdhsa_exception_fp_ieee_div_zero 0
		.amdhsa_exception_fp_ieee_overflow 0
		.amdhsa_exception_fp_ieee_underflow 0
		.amdhsa_exception_fp_ieee_inexact 0
		.amdhsa_exception_int_div_zero 0
	.end_amdhsa_kernel
	.section	.text._ZN7rocprim17ROCPRIM_400000_NS6detail17trampoline_kernelINS0_13select_configILj256ELj13ELNS0_17block_load_methodE3ELS4_3ELS4_3ELNS0_20block_scan_algorithmE0ELj4294967295EEENS1_25partition_config_selectorILNS1_17partition_subalgoE4EjNS0_10empty_typeEbEEZZNS1_14partition_implILS8_4ELb0ES6_15HIP_vector_typeIjLj2EENS0_17counting_iteratorIjlEEPS9_SG_NS0_5tupleIJPjSI_NS0_16reverse_iteratorISI_EEEEENSH_IJSG_SG_SG_EEES9_SI_JZNS1_25segmented_radix_sort_implINS0_14default_configELb1EPKbPbPKlPlN2at6native12_GLOBAL__N_18offset_tEEE10hipError_tPvRmT1_PNSt15iterator_traitsIS12_E10value_typeET2_T3_PNS13_IS18_E10value_typeET4_jRbjT5_S1E_jjP12ihipStream_tbEUljE_ZNSN_ISO_Lb1ESQ_SR_ST_SU_SY_EESZ_S10_S11_S12_S16_S17_S18_S1B_S1C_jS1D_jS1E_S1E_jjS1G_bEUljE0_EEESZ_S10_S11_S18_S1C_S1E_T6_T7_T9_mT8_S1G_bDpT10_ENKUlT_T0_E_clISt17integral_constantIbLb1EES1T_IbLb0EEEEDaS1P_S1Q_EUlS1P_E_NS1_11comp_targetILNS1_3genE9ELNS1_11target_archE1100ELNS1_3gpuE3ELNS1_3repE0EEENS1_30default_config_static_selectorELNS0_4arch9wavefront6targetE0EEEvS12_,"axG",@progbits,_ZN7rocprim17ROCPRIM_400000_NS6detail17trampoline_kernelINS0_13select_configILj256ELj13ELNS0_17block_load_methodE3ELS4_3ELS4_3ELNS0_20block_scan_algorithmE0ELj4294967295EEENS1_25partition_config_selectorILNS1_17partition_subalgoE4EjNS0_10empty_typeEbEEZZNS1_14partition_implILS8_4ELb0ES6_15HIP_vector_typeIjLj2EENS0_17counting_iteratorIjlEEPS9_SG_NS0_5tupleIJPjSI_NS0_16reverse_iteratorISI_EEEEENSH_IJSG_SG_SG_EEES9_SI_JZNS1_25segmented_radix_sort_implINS0_14default_configELb1EPKbPbPKlPlN2at6native12_GLOBAL__N_18offset_tEEE10hipError_tPvRmT1_PNSt15iterator_traitsIS12_E10value_typeET2_T3_PNS13_IS18_E10value_typeET4_jRbjT5_S1E_jjP12ihipStream_tbEUljE_ZNSN_ISO_Lb1ESQ_SR_ST_SU_SY_EESZ_S10_S11_S12_S16_S17_S18_S1B_S1C_jS1D_jS1E_S1E_jjS1G_bEUljE0_EEESZ_S10_S11_S18_S1C_S1E_T6_T7_T9_mT8_S1G_bDpT10_ENKUlT_T0_E_clISt17integral_constantIbLb1EES1T_IbLb0EEEEDaS1P_S1Q_EUlS1P_E_NS1_11comp_targetILNS1_3genE9ELNS1_11target_archE1100ELNS1_3gpuE3ELNS1_3repE0EEENS1_30default_config_static_selectorELNS0_4arch9wavefront6targetE0EEEvS12_,comdat
.Lfunc_end1490:
	.size	_ZN7rocprim17ROCPRIM_400000_NS6detail17trampoline_kernelINS0_13select_configILj256ELj13ELNS0_17block_load_methodE3ELS4_3ELS4_3ELNS0_20block_scan_algorithmE0ELj4294967295EEENS1_25partition_config_selectorILNS1_17partition_subalgoE4EjNS0_10empty_typeEbEEZZNS1_14partition_implILS8_4ELb0ES6_15HIP_vector_typeIjLj2EENS0_17counting_iteratorIjlEEPS9_SG_NS0_5tupleIJPjSI_NS0_16reverse_iteratorISI_EEEEENSH_IJSG_SG_SG_EEES9_SI_JZNS1_25segmented_radix_sort_implINS0_14default_configELb1EPKbPbPKlPlN2at6native12_GLOBAL__N_18offset_tEEE10hipError_tPvRmT1_PNSt15iterator_traitsIS12_E10value_typeET2_T3_PNS13_IS18_E10value_typeET4_jRbjT5_S1E_jjP12ihipStream_tbEUljE_ZNSN_ISO_Lb1ESQ_SR_ST_SU_SY_EESZ_S10_S11_S12_S16_S17_S18_S1B_S1C_jS1D_jS1E_S1E_jjS1G_bEUljE0_EEESZ_S10_S11_S18_S1C_S1E_T6_T7_T9_mT8_S1G_bDpT10_ENKUlT_T0_E_clISt17integral_constantIbLb1EES1T_IbLb0EEEEDaS1P_S1Q_EUlS1P_E_NS1_11comp_targetILNS1_3genE9ELNS1_11target_archE1100ELNS1_3gpuE3ELNS1_3repE0EEENS1_30default_config_static_selectorELNS0_4arch9wavefront6targetE0EEEvS12_, .Lfunc_end1490-_ZN7rocprim17ROCPRIM_400000_NS6detail17trampoline_kernelINS0_13select_configILj256ELj13ELNS0_17block_load_methodE3ELS4_3ELS4_3ELNS0_20block_scan_algorithmE0ELj4294967295EEENS1_25partition_config_selectorILNS1_17partition_subalgoE4EjNS0_10empty_typeEbEEZZNS1_14partition_implILS8_4ELb0ES6_15HIP_vector_typeIjLj2EENS0_17counting_iteratorIjlEEPS9_SG_NS0_5tupleIJPjSI_NS0_16reverse_iteratorISI_EEEEENSH_IJSG_SG_SG_EEES9_SI_JZNS1_25segmented_radix_sort_implINS0_14default_configELb1EPKbPbPKlPlN2at6native12_GLOBAL__N_18offset_tEEE10hipError_tPvRmT1_PNSt15iterator_traitsIS12_E10value_typeET2_T3_PNS13_IS18_E10value_typeET4_jRbjT5_S1E_jjP12ihipStream_tbEUljE_ZNSN_ISO_Lb1ESQ_SR_ST_SU_SY_EESZ_S10_S11_S12_S16_S17_S18_S1B_S1C_jS1D_jS1E_S1E_jjS1G_bEUljE0_EEESZ_S10_S11_S18_S1C_S1E_T6_T7_T9_mT8_S1G_bDpT10_ENKUlT_T0_E_clISt17integral_constantIbLb1EES1T_IbLb0EEEEDaS1P_S1Q_EUlS1P_E_NS1_11comp_targetILNS1_3genE9ELNS1_11target_archE1100ELNS1_3gpuE3ELNS1_3repE0EEENS1_30default_config_static_selectorELNS0_4arch9wavefront6targetE0EEEvS12_
                                        ; -- End function
	.section	.AMDGPU.csdata,"",@progbits
; Kernel info:
; codeLenInByte = 15084
; NumSgprs: 61
; NumVgprs: 98
; ScratchSize: 0
; MemoryBound: 0
; FloatMode: 240
; IeeeMode: 1
; LDSByteSize: 13340 bytes/workgroup (compile time only)
; SGPRBlocks: 7
; VGPRBlocks: 12
; NumSGPRsForWavesPerEU: 61
; NumVGPRsForWavesPerEU: 98
; Occupancy: 12
; WaveLimiterHint : 1
; COMPUTE_PGM_RSRC2:SCRATCH_EN: 0
; COMPUTE_PGM_RSRC2:USER_SGPR: 15
; COMPUTE_PGM_RSRC2:TRAP_HANDLER: 0
; COMPUTE_PGM_RSRC2:TGID_X_EN: 1
; COMPUTE_PGM_RSRC2:TGID_Y_EN: 0
; COMPUTE_PGM_RSRC2:TGID_Z_EN: 0
; COMPUTE_PGM_RSRC2:TIDIG_COMP_CNT: 0
	.section	.text._ZN7rocprim17ROCPRIM_400000_NS6detail17trampoline_kernelINS0_13select_configILj256ELj13ELNS0_17block_load_methodE3ELS4_3ELS4_3ELNS0_20block_scan_algorithmE0ELj4294967295EEENS1_25partition_config_selectorILNS1_17partition_subalgoE4EjNS0_10empty_typeEbEEZZNS1_14partition_implILS8_4ELb0ES6_15HIP_vector_typeIjLj2EENS0_17counting_iteratorIjlEEPS9_SG_NS0_5tupleIJPjSI_NS0_16reverse_iteratorISI_EEEEENSH_IJSG_SG_SG_EEES9_SI_JZNS1_25segmented_radix_sort_implINS0_14default_configELb1EPKbPbPKlPlN2at6native12_GLOBAL__N_18offset_tEEE10hipError_tPvRmT1_PNSt15iterator_traitsIS12_E10value_typeET2_T3_PNS13_IS18_E10value_typeET4_jRbjT5_S1E_jjP12ihipStream_tbEUljE_ZNSN_ISO_Lb1ESQ_SR_ST_SU_SY_EESZ_S10_S11_S12_S16_S17_S18_S1B_S1C_jS1D_jS1E_S1E_jjS1G_bEUljE0_EEESZ_S10_S11_S18_S1C_S1E_T6_T7_T9_mT8_S1G_bDpT10_ENKUlT_T0_E_clISt17integral_constantIbLb1EES1T_IbLb0EEEEDaS1P_S1Q_EUlS1P_E_NS1_11comp_targetILNS1_3genE8ELNS1_11target_archE1030ELNS1_3gpuE2ELNS1_3repE0EEENS1_30default_config_static_selectorELNS0_4arch9wavefront6targetE0EEEvS12_,"axG",@progbits,_ZN7rocprim17ROCPRIM_400000_NS6detail17trampoline_kernelINS0_13select_configILj256ELj13ELNS0_17block_load_methodE3ELS4_3ELS4_3ELNS0_20block_scan_algorithmE0ELj4294967295EEENS1_25partition_config_selectorILNS1_17partition_subalgoE4EjNS0_10empty_typeEbEEZZNS1_14partition_implILS8_4ELb0ES6_15HIP_vector_typeIjLj2EENS0_17counting_iteratorIjlEEPS9_SG_NS0_5tupleIJPjSI_NS0_16reverse_iteratorISI_EEEEENSH_IJSG_SG_SG_EEES9_SI_JZNS1_25segmented_radix_sort_implINS0_14default_configELb1EPKbPbPKlPlN2at6native12_GLOBAL__N_18offset_tEEE10hipError_tPvRmT1_PNSt15iterator_traitsIS12_E10value_typeET2_T3_PNS13_IS18_E10value_typeET4_jRbjT5_S1E_jjP12ihipStream_tbEUljE_ZNSN_ISO_Lb1ESQ_SR_ST_SU_SY_EESZ_S10_S11_S12_S16_S17_S18_S1B_S1C_jS1D_jS1E_S1E_jjS1G_bEUljE0_EEESZ_S10_S11_S18_S1C_S1E_T6_T7_T9_mT8_S1G_bDpT10_ENKUlT_T0_E_clISt17integral_constantIbLb1EES1T_IbLb0EEEEDaS1P_S1Q_EUlS1P_E_NS1_11comp_targetILNS1_3genE8ELNS1_11target_archE1030ELNS1_3gpuE2ELNS1_3repE0EEENS1_30default_config_static_selectorELNS0_4arch9wavefront6targetE0EEEvS12_,comdat
	.globl	_ZN7rocprim17ROCPRIM_400000_NS6detail17trampoline_kernelINS0_13select_configILj256ELj13ELNS0_17block_load_methodE3ELS4_3ELS4_3ELNS0_20block_scan_algorithmE0ELj4294967295EEENS1_25partition_config_selectorILNS1_17partition_subalgoE4EjNS0_10empty_typeEbEEZZNS1_14partition_implILS8_4ELb0ES6_15HIP_vector_typeIjLj2EENS0_17counting_iteratorIjlEEPS9_SG_NS0_5tupleIJPjSI_NS0_16reverse_iteratorISI_EEEEENSH_IJSG_SG_SG_EEES9_SI_JZNS1_25segmented_radix_sort_implINS0_14default_configELb1EPKbPbPKlPlN2at6native12_GLOBAL__N_18offset_tEEE10hipError_tPvRmT1_PNSt15iterator_traitsIS12_E10value_typeET2_T3_PNS13_IS18_E10value_typeET4_jRbjT5_S1E_jjP12ihipStream_tbEUljE_ZNSN_ISO_Lb1ESQ_SR_ST_SU_SY_EESZ_S10_S11_S12_S16_S17_S18_S1B_S1C_jS1D_jS1E_S1E_jjS1G_bEUljE0_EEESZ_S10_S11_S18_S1C_S1E_T6_T7_T9_mT8_S1G_bDpT10_ENKUlT_T0_E_clISt17integral_constantIbLb1EES1T_IbLb0EEEEDaS1P_S1Q_EUlS1P_E_NS1_11comp_targetILNS1_3genE8ELNS1_11target_archE1030ELNS1_3gpuE2ELNS1_3repE0EEENS1_30default_config_static_selectorELNS0_4arch9wavefront6targetE0EEEvS12_ ; -- Begin function _ZN7rocprim17ROCPRIM_400000_NS6detail17trampoline_kernelINS0_13select_configILj256ELj13ELNS0_17block_load_methodE3ELS4_3ELS4_3ELNS0_20block_scan_algorithmE0ELj4294967295EEENS1_25partition_config_selectorILNS1_17partition_subalgoE4EjNS0_10empty_typeEbEEZZNS1_14partition_implILS8_4ELb0ES6_15HIP_vector_typeIjLj2EENS0_17counting_iteratorIjlEEPS9_SG_NS0_5tupleIJPjSI_NS0_16reverse_iteratorISI_EEEEENSH_IJSG_SG_SG_EEES9_SI_JZNS1_25segmented_radix_sort_implINS0_14default_configELb1EPKbPbPKlPlN2at6native12_GLOBAL__N_18offset_tEEE10hipError_tPvRmT1_PNSt15iterator_traitsIS12_E10value_typeET2_T3_PNS13_IS18_E10value_typeET4_jRbjT5_S1E_jjP12ihipStream_tbEUljE_ZNSN_ISO_Lb1ESQ_SR_ST_SU_SY_EESZ_S10_S11_S12_S16_S17_S18_S1B_S1C_jS1D_jS1E_S1E_jjS1G_bEUljE0_EEESZ_S10_S11_S18_S1C_S1E_T6_T7_T9_mT8_S1G_bDpT10_ENKUlT_T0_E_clISt17integral_constantIbLb1EES1T_IbLb0EEEEDaS1P_S1Q_EUlS1P_E_NS1_11comp_targetILNS1_3genE8ELNS1_11target_archE1030ELNS1_3gpuE2ELNS1_3repE0EEENS1_30default_config_static_selectorELNS0_4arch9wavefront6targetE0EEEvS12_
	.p2align	8
	.type	_ZN7rocprim17ROCPRIM_400000_NS6detail17trampoline_kernelINS0_13select_configILj256ELj13ELNS0_17block_load_methodE3ELS4_3ELS4_3ELNS0_20block_scan_algorithmE0ELj4294967295EEENS1_25partition_config_selectorILNS1_17partition_subalgoE4EjNS0_10empty_typeEbEEZZNS1_14partition_implILS8_4ELb0ES6_15HIP_vector_typeIjLj2EENS0_17counting_iteratorIjlEEPS9_SG_NS0_5tupleIJPjSI_NS0_16reverse_iteratorISI_EEEEENSH_IJSG_SG_SG_EEES9_SI_JZNS1_25segmented_radix_sort_implINS0_14default_configELb1EPKbPbPKlPlN2at6native12_GLOBAL__N_18offset_tEEE10hipError_tPvRmT1_PNSt15iterator_traitsIS12_E10value_typeET2_T3_PNS13_IS18_E10value_typeET4_jRbjT5_S1E_jjP12ihipStream_tbEUljE_ZNSN_ISO_Lb1ESQ_SR_ST_SU_SY_EESZ_S10_S11_S12_S16_S17_S18_S1B_S1C_jS1D_jS1E_S1E_jjS1G_bEUljE0_EEESZ_S10_S11_S18_S1C_S1E_T6_T7_T9_mT8_S1G_bDpT10_ENKUlT_T0_E_clISt17integral_constantIbLb1EES1T_IbLb0EEEEDaS1P_S1Q_EUlS1P_E_NS1_11comp_targetILNS1_3genE8ELNS1_11target_archE1030ELNS1_3gpuE2ELNS1_3repE0EEENS1_30default_config_static_selectorELNS0_4arch9wavefront6targetE0EEEvS12_,@function
_ZN7rocprim17ROCPRIM_400000_NS6detail17trampoline_kernelINS0_13select_configILj256ELj13ELNS0_17block_load_methodE3ELS4_3ELS4_3ELNS0_20block_scan_algorithmE0ELj4294967295EEENS1_25partition_config_selectorILNS1_17partition_subalgoE4EjNS0_10empty_typeEbEEZZNS1_14partition_implILS8_4ELb0ES6_15HIP_vector_typeIjLj2EENS0_17counting_iteratorIjlEEPS9_SG_NS0_5tupleIJPjSI_NS0_16reverse_iteratorISI_EEEEENSH_IJSG_SG_SG_EEES9_SI_JZNS1_25segmented_radix_sort_implINS0_14default_configELb1EPKbPbPKlPlN2at6native12_GLOBAL__N_18offset_tEEE10hipError_tPvRmT1_PNSt15iterator_traitsIS12_E10value_typeET2_T3_PNS13_IS18_E10value_typeET4_jRbjT5_S1E_jjP12ihipStream_tbEUljE_ZNSN_ISO_Lb1ESQ_SR_ST_SU_SY_EESZ_S10_S11_S12_S16_S17_S18_S1B_S1C_jS1D_jS1E_S1E_jjS1G_bEUljE0_EEESZ_S10_S11_S18_S1C_S1E_T6_T7_T9_mT8_S1G_bDpT10_ENKUlT_T0_E_clISt17integral_constantIbLb1EES1T_IbLb0EEEEDaS1P_S1Q_EUlS1P_E_NS1_11comp_targetILNS1_3genE8ELNS1_11target_archE1030ELNS1_3gpuE2ELNS1_3repE0EEENS1_30default_config_static_selectorELNS0_4arch9wavefront6targetE0EEEvS12_: ; @_ZN7rocprim17ROCPRIM_400000_NS6detail17trampoline_kernelINS0_13select_configILj256ELj13ELNS0_17block_load_methodE3ELS4_3ELS4_3ELNS0_20block_scan_algorithmE0ELj4294967295EEENS1_25partition_config_selectorILNS1_17partition_subalgoE4EjNS0_10empty_typeEbEEZZNS1_14partition_implILS8_4ELb0ES6_15HIP_vector_typeIjLj2EENS0_17counting_iteratorIjlEEPS9_SG_NS0_5tupleIJPjSI_NS0_16reverse_iteratorISI_EEEEENSH_IJSG_SG_SG_EEES9_SI_JZNS1_25segmented_radix_sort_implINS0_14default_configELb1EPKbPbPKlPlN2at6native12_GLOBAL__N_18offset_tEEE10hipError_tPvRmT1_PNSt15iterator_traitsIS12_E10value_typeET2_T3_PNS13_IS18_E10value_typeET4_jRbjT5_S1E_jjP12ihipStream_tbEUljE_ZNSN_ISO_Lb1ESQ_SR_ST_SU_SY_EESZ_S10_S11_S12_S16_S17_S18_S1B_S1C_jS1D_jS1E_S1E_jjS1G_bEUljE0_EEESZ_S10_S11_S18_S1C_S1E_T6_T7_T9_mT8_S1G_bDpT10_ENKUlT_T0_E_clISt17integral_constantIbLb1EES1T_IbLb0EEEEDaS1P_S1Q_EUlS1P_E_NS1_11comp_targetILNS1_3genE8ELNS1_11target_archE1030ELNS1_3gpuE2ELNS1_3repE0EEENS1_30default_config_static_selectorELNS0_4arch9wavefront6targetE0EEEvS12_
; %bb.0:
	.section	.rodata,"a",@progbits
	.p2align	6, 0x0
	.amdhsa_kernel _ZN7rocprim17ROCPRIM_400000_NS6detail17trampoline_kernelINS0_13select_configILj256ELj13ELNS0_17block_load_methodE3ELS4_3ELS4_3ELNS0_20block_scan_algorithmE0ELj4294967295EEENS1_25partition_config_selectorILNS1_17partition_subalgoE4EjNS0_10empty_typeEbEEZZNS1_14partition_implILS8_4ELb0ES6_15HIP_vector_typeIjLj2EENS0_17counting_iteratorIjlEEPS9_SG_NS0_5tupleIJPjSI_NS0_16reverse_iteratorISI_EEEEENSH_IJSG_SG_SG_EEES9_SI_JZNS1_25segmented_radix_sort_implINS0_14default_configELb1EPKbPbPKlPlN2at6native12_GLOBAL__N_18offset_tEEE10hipError_tPvRmT1_PNSt15iterator_traitsIS12_E10value_typeET2_T3_PNS13_IS18_E10value_typeET4_jRbjT5_S1E_jjP12ihipStream_tbEUljE_ZNSN_ISO_Lb1ESQ_SR_ST_SU_SY_EESZ_S10_S11_S12_S16_S17_S18_S1B_S1C_jS1D_jS1E_S1E_jjS1G_bEUljE0_EEESZ_S10_S11_S18_S1C_S1E_T6_T7_T9_mT8_S1G_bDpT10_ENKUlT_T0_E_clISt17integral_constantIbLb1EES1T_IbLb0EEEEDaS1P_S1Q_EUlS1P_E_NS1_11comp_targetILNS1_3genE8ELNS1_11target_archE1030ELNS1_3gpuE2ELNS1_3repE0EEENS1_30default_config_static_selectorELNS0_4arch9wavefront6targetE0EEEvS12_
		.amdhsa_group_segment_fixed_size 0
		.amdhsa_private_segment_fixed_size 0
		.amdhsa_kernarg_size 176
		.amdhsa_user_sgpr_count 15
		.amdhsa_user_sgpr_dispatch_ptr 0
		.amdhsa_user_sgpr_queue_ptr 0
		.amdhsa_user_sgpr_kernarg_segment_ptr 1
		.amdhsa_user_sgpr_dispatch_id 0
		.amdhsa_user_sgpr_private_segment_size 0
		.amdhsa_wavefront_size32 1
		.amdhsa_uses_dynamic_stack 0
		.amdhsa_enable_private_segment 0
		.amdhsa_system_sgpr_workgroup_id_x 1
		.amdhsa_system_sgpr_workgroup_id_y 0
		.amdhsa_system_sgpr_workgroup_id_z 0
		.amdhsa_system_sgpr_workgroup_info 0
		.amdhsa_system_vgpr_workitem_id 0
		.amdhsa_next_free_vgpr 1
		.amdhsa_next_free_sgpr 1
		.amdhsa_reserve_vcc 0
		.amdhsa_float_round_mode_32 0
		.amdhsa_float_round_mode_16_64 0
		.amdhsa_float_denorm_mode_32 3
		.amdhsa_float_denorm_mode_16_64 3
		.amdhsa_dx10_clamp 1
		.amdhsa_ieee_mode 1
		.amdhsa_fp16_overflow 0
		.amdhsa_workgroup_processor_mode 1
		.amdhsa_memory_ordered 1
		.amdhsa_forward_progress 0
		.amdhsa_shared_vgpr_count 0
		.amdhsa_exception_fp_ieee_invalid_op 0
		.amdhsa_exception_fp_denorm_src 0
		.amdhsa_exception_fp_ieee_div_zero 0
		.amdhsa_exception_fp_ieee_overflow 0
		.amdhsa_exception_fp_ieee_underflow 0
		.amdhsa_exception_fp_ieee_inexact 0
		.amdhsa_exception_int_div_zero 0
	.end_amdhsa_kernel
	.section	.text._ZN7rocprim17ROCPRIM_400000_NS6detail17trampoline_kernelINS0_13select_configILj256ELj13ELNS0_17block_load_methodE3ELS4_3ELS4_3ELNS0_20block_scan_algorithmE0ELj4294967295EEENS1_25partition_config_selectorILNS1_17partition_subalgoE4EjNS0_10empty_typeEbEEZZNS1_14partition_implILS8_4ELb0ES6_15HIP_vector_typeIjLj2EENS0_17counting_iteratorIjlEEPS9_SG_NS0_5tupleIJPjSI_NS0_16reverse_iteratorISI_EEEEENSH_IJSG_SG_SG_EEES9_SI_JZNS1_25segmented_radix_sort_implINS0_14default_configELb1EPKbPbPKlPlN2at6native12_GLOBAL__N_18offset_tEEE10hipError_tPvRmT1_PNSt15iterator_traitsIS12_E10value_typeET2_T3_PNS13_IS18_E10value_typeET4_jRbjT5_S1E_jjP12ihipStream_tbEUljE_ZNSN_ISO_Lb1ESQ_SR_ST_SU_SY_EESZ_S10_S11_S12_S16_S17_S18_S1B_S1C_jS1D_jS1E_S1E_jjS1G_bEUljE0_EEESZ_S10_S11_S18_S1C_S1E_T6_T7_T9_mT8_S1G_bDpT10_ENKUlT_T0_E_clISt17integral_constantIbLb1EES1T_IbLb0EEEEDaS1P_S1Q_EUlS1P_E_NS1_11comp_targetILNS1_3genE8ELNS1_11target_archE1030ELNS1_3gpuE2ELNS1_3repE0EEENS1_30default_config_static_selectorELNS0_4arch9wavefront6targetE0EEEvS12_,"axG",@progbits,_ZN7rocprim17ROCPRIM_400000_NS6detail17trampoline_kernelINS0_13select_configILj256ELj13ELNS0_17block_load_methodE3ELS4_3ELS4_3ELNS0_20block_scan_algorithmE0ELj4294967295EEENS1_25partition_config_selectorILNS1_17partition_subalgoE4EjNS0_10empty_typeEbEEZZNS1_14partition_implILS8_4ELb0ES6_15HIP_vector_typeIjLj2EENS0_17counting_iteratorIjlEEPS9_SG_NS0_5tupleIJPjSI_NS0_16reverse_iteratorISI_EEEEENSH_IJSG_SG_SG_EEES9_SI_JZNS1_25segmented_radix_sort_implINS0_14default_configELb1EPKbPbPKlPlN2at6native12_GLOBAL__N_18offset_tEEE10hipError_tPvRmT1_PNSt15iterator_traitsIS12_E10value_typeET2_T3_PNS13_IS18_E10value_typeET4_jRbjT5_S1E_jjP12ihipStream_tbEUljE_ZNSN_ISO_Lb1ESQ_SR_ST_SU_SY_EESZ_S10_S11_S12_S16_S17_S18_S1B_S1C_jS1D_jS1E_S1E_jjS1G_bEUljE0_EEESZ_S10_S11_S18_S1C_S1E_T6_T7_T9_mT8_S1G_bDpT10_ENKUlT_T0_E_clISt17integral_constantIbLb1EES1T_IbLb0EEEEDaS1P_S1Q_EUlS1P_E_NS1_11comp_targetILNS1_3genE8ELNS1_11target_archE1030ELNS1_3gpuE2ELNS1_3repE0EEENS1_30default_config_static_selectorELNS0_4arch9wavefront6targetE0EEEvS12_,comdat
.Lfunc_end1491:
	.size	_ZN7rocprim17ROCPRIM_400000_NS6detail17trampoline_kernelINS0_13select_configILj256ELj13ELNS0_17block_load_methodE3ELS4_3ELS4_3ELNS0_20block_scan_algorithmE0ELj4294967295EEENS1_25partition_config_selectorILNS1_17partition_subalgoE4EjNS0_10empty_typeEbEEZZNS1_14partition_implILS8_4ELb0ES6_15HIP_vector_typeIjLj2EENS0_17counting_iteratorIjlEEPS9_SG_NS0_5tupleIJPjSI_NS0_16reverse_iteratorISI_EEEEENSH_IJSG_SG_SG_EEES9_SI_JZNS1_25segmented_radix_sort_implINS0_14default_configELb1EPKbPbPKlPlN2at6native12_GLOBAL__N_18offset_tEEE10hipError_tPvRmT1_PNSt15iterator_traitsIS12_E10value_typeET2_T3_PNS13_IS18_E10value_typeET4_jRbjT5_S1E_jjP12ihipStream_tbEUljE_ZNSN_ISO_Lb1ESQ_SR_ST_SU_SY_EESZ_S10_S11_S12_S16_S17_S18_S1B_S1C_jS1D_jS1E_S1E_jjS1G_bEUljE0_EEESZ_S10_S11_S18_S1C_S1E_T6_T7_T9_mT8_S1G_bDpT10_ENKUlT_T0_E_clISt17integral_constantIbLb1EES1T_IbLb0EEEEDaS1P_S1Q_EUlS1P_E_NS1_11comp_targetILNS1_3genE8ELNS1_11target_archE1030ELNS1_3gpuE2ELNS1_3repE0EEENS1_30default_config_static_selectorELNS0_4arch9wavefront6targetE0EEEvS12_, .Lfunc_end1491-_ZN7rocprim17ROCPRIM_400000_NS6detail17trampoline_kernelINS0_13select_configILj256ELj13ELNS0_17block_load_methodE3ELS4_3ELS4_3ELNS0_20block_scan_algorithmE0ELj4294967295EEENS1_25partition_config_selectorILNS1_17partition_subalgoE4EjNS0_10empty_typeEbEEZZNS1_14partition_implILS8_4ELb0ES6_15HIP_vector_typeIjLj2EENS0_17counting_iteratorIjlEEPS9_SG_NS0_5tupleIJPjSI_NS0_16reverse_iteratorISI_EEEEENSH_IJSG_SG_SG_EEES9_SI_JZNS1_25segmented_radix_sort_implINS0_14default_configELb1EPKbPbPKlPlN2at6native12_GLOBAL__N_18offset_tEEE10hipError_tPvRmT1_PNSt15iterator_traitsIS12_E10value_typeET2_T3_PNS13_IS18_E10value_typeET4_jRbjT5_S1E_jjP12ihipStream_tbEUljE_ZNSN_ISO_Lb1ESQ_SR_ST_SU_SY_EESZ_S10_S11_S12_S16_S17_S18_S1B_S1C_jS1D_jS1E_S1E_jjS1G_bEUljE0_EEESZ_S10_S11_S18_S1C_S1E_T6_T7_T9_mT8_S1G_bDpT10_ENKUlT_T0_E_clISt17integral_constantIbLb1EES1T_IbLb0EEEEDaS1P_S1Q_EUlS1P_E_NS1_11comp_targetILNS1_3genE8ELNS1_11target_archE1030ELNS1_3gpuE2ELNS1_3repE0EEENS1_30default_config_static_selectorELNS0_4arch9wavefront6targetE0EEEvS12_
                                        ; -- End function
	.section	.AMDGPU.csdata,"",@progbits
; Kernel info:
; codeLenInByte = 0
; NumSgprs: 0
; NumVgprs: 0
; ScratchSize: 0
; MemoryBound: 0
; FloatMode: 240
; IeeeMode: 1
; LDSByteSize: 0 bytes/workgroup (compile time only)
; SGPRBlocks: 0
; VGPRBlocks: 0
; NumSGPRsForWavesPerEU: 1
; NumVGPRsForWavesPerEU: 1
; Occupancy: 16
; WaveLimiterHint : 0
; COMPUTE_PGM_RSRC2:SCRATCH_EN: 0
; COMPUTE_PGM_RSRC2:USER_SGPR: 15
; COMPUTE_PGM_RSRC2:TRAP_HANDLER: 0
; COMPUTE_PGM_RSRC2:TGID_X_EN: 1
; COMPUTE_PGM_RSRC2:TGID_Y_EN: 0
; COMPUTE_PGM_RSRC2:TGID_Z_EN: 0
; COMPUTE_PGM_RSRC2:TIDIG_COMP_CNT: 0
	.section	.text._ZN7rocprim17ROCPRIM_400000_NS6detail17trampoline_kernelINS0_13select_configILj256ELj13ELNS0_17block_load_methodE3ELS4_3ELS4_3ELNS0_20block_scan_algorithmE0ELj4294967295EEENS1_25partition_config_selectorILNS1_17partition_subalgoE4EjNS0_10empty_typeEbEEZZNS1_14partition_implILS8_4ELb0ES6_15HIP_vector_typeIjLj2EENS0_17counting_iteratorIjlEEPS9_SG_NS0_5tupleIJPjSI_NS0_16reverse_iteratorISI_EEEEENSH_IJSG_SG_SG_EEES9_SI_JZNS1_25segmented_radix_sort_implINS0_14default_configELb1EPKbPbPKlPlN2at6native12_GLOBAL__N_18offset_tEEE10hipError_tPvRmT1_PNSt15iterator_traitsIS12_E10value_typeET2_T3_PNS13_IS18_E10value_typeET4_jRbjT5_S1E_jjP12ihipStream_tbEUljE_ZNSN_ISO_Lb1ESQ_SR_ST_SU_SY_EESZ_S10_S11_S12_S16_S17_S18_S1B_S1C_jS1D_jS1E_S1E_jjS1G_bEUljE0_EEESZ_S10_S11_S18_S1C_S1E_T6_T7_T9_mT8_S1G_bDpT10_ENKUlT_T0_E_clISt17integral_constantIbLb0EES1T_IbLb1EEEEDaS1P_S1Q_EUlS1P_E_NS1_11comp_targetILNS1_3genE0ELNS1_11target_archE4294967295ELNS1_3gpuE0ELNS1_3repE0EEENS1_30default_config_static_selectorELNS0_4arch9wavefront6targetE0EEEvS12_,"axG",@progbits,_ZN7rocprim17ROCPRIM_400000_NS6detail17trampoline_kernelINS0_13select_configILj256ELj13ELNS0_17block_load_methodE3ELS4_3ELS4_3ELNS0_20block_scan_algorithmE0ELj4294967295EEENS1_25partition_config_selectorILNS1_17partition_subalgoE4EjNS0_10empty_typeEbEEZZNS1_14partition_implILS8_4ELb0ES6_15HIP_vector_typeIjLj2EENS0_17counting_iteratorIjlEEPS9_SG_NS0_5tupleIJPjSI_NS0_16reverse_iteratorISI_EEEEENSH_IJSG_SG_SG_EEES9_SI_JZNS1_25segmented_radix_sort_implINS0_14default_configELb1EPKbPbPKlPlN2at6native12_GLOBAL__N_18offset_tEEE10hipError_tPvRmT1_PNSt15iterator_traitsIS12_E10value_typeET2_T3_PNS13_IS18_E10value_typeET4_jRbjT5_S1E_jjP12ihipStream_tbEUljE_ZNSN_ISO_Lb1ESQ_SR_ST_SU_SY_EESZ_S10_S11_S12_S16_S17_S18_S1B_S1C_jS1D_jS1E_S1E_jjS1G_bEUljE0_EEESZ_S10_S11_S18_S1C_S1E_T6_T7_T9_mT8_S1G_bDpT10_ENKUlT_T0_E_clISt17integral_constantIbLb0EES1T_IbLb1EEEEDaS1P_S1Q_EUlS1P_E_NS1_11comp_targetILNS1_3genE0ELNS1_11target_archE4294967295ELNS1_3gpuE0ELNS1_3repE0EEENS1_30default_config_static_selectorELNS0_4arch9wavefront6targetE0EEEvS12_,comdat
	.globl	_ZN7rocprim17ROCPRIM_400000_NS6detail17trampoline_kernelINS0_13select_configILj256ELj13ELNS0_17block_load_methodE3ELS4_3ELS4_3ELNS0_20block_scan_algorithmE0ELj4294967295EEENS1_25partition_config_selectorILNS1_17partition_subalgoE4EjNS0_10empty_typeEbEEZZNS1_14partition_implILS8_4ELb0ES6_15HIP_vector_typeIjLj2EENS0_17counting_iteratorIjlEEPS9_SG_NS0_5tupleIJPjSI_NS0_16reverse_iteratorISI_EEEEENSH_IJSG_SG_SG_EEES9_SI_JZNS1_25segmented_radix_sort_implINS0_14default_configELb1EPKbPbPKlPlN2at6native12_GLOBAL__N_18offset_tEEE10hipError_tPvRmT1_PNSt15iterator_traitsIS12_E10value_typeET2_T3_PNS13_IS18_E10value_typeET4_jRbjT5_S1E_jjP12ihipStream_tbEUljE_ZNSN_ISO_Lb1ESQ_SR_ST_SU_SY_EESZ_S10_S11_S12_S16_S17_S18_S1B_S1C_jS1D_jS1E_S1E_jjS1G_bEUljE0_EEESZ_S10_S11_S18_S1C_S1E_T6_T7_T9_mT8_S1G_bDpT10_ENKUlT_T0_E_clISt17integral_constantIbLb0EES1T_IbLb1EEEEDaS1P_S1Q_EUlS1P_E_NS1_11comp_targetILNS1_3genE0ELNS1_11target_archE4294967295ELNS1_3gpuE0ELNS1_3repE0EEENS1_30default_config_static_selectorELNS0_4arch9wavefront6targetE0EEEvS12_ ; -- Begin function _ZN7rocprim17ROCPRIM_400000_NS6detail17trampoline_kernelINS0_13select_configILj256ELj13ELNS0_17block_load_methodE3ELS4_3ELS4_3ELNS0_20block_scan_algorithmE0ELj4294967295EEENS1_25partition_config_selectorILNS1_17partition_subalgoE4EjNS0_10empty_typeEbEEZZNS1_14partition_implILS8_4ELb0ES6_15HIP_vector_typeIjLj2EENS0_17counting_iteratorIjlEEPS9_SG_NS0_5tupleIJPjSI_NS0_16reverse_iteratorISI_EEEEENSH_IJSG_SG_SG_EEES9_SI_JZNS1_25segmented_radix_sort_implINS0_14default_configELb1EPKbPbPKlPlN2at6native12_GLOBAL__N_18offset_tEEE10hipError_tPvRmT1_PNSt15iterator_traitsIS12_E10value_typeET2_T3_PNS13_IS18_E10value_typeET4_jRbjT5_S1E_jjP12ihipStream_tbEUljE_ZNSN_ISO_Lb1ESQ_SR_ST_SU_SY_EESZ_S10_S11_S12_S16_S17_S18_S1B_S1C_jS1D_jS1E_S1E_jjS1G_bEUljE0_EEESZ_S10_S11_S18_S1C_S1E_T6_T7_T9_mT8_S1G_bDpT10_ENKUlT_T0_E_clISt17integral_constantIbLb0EES1T_IbLb1EEEEDaS1P_S1Q_EUlS1P_E_NS1_11comp_targetILNS1_3genE0ELNS1_11target_archE4294967295ELNS1_3gpuE0ELNS1_3repE0EEENS1_30default_config_static_selectorELNS0_4arch9wavefront6targetE0EEEvS12_
	.p2align	8
	.type	_ZN7rocprim17ROCPRIM_400000_NS6detail17trampoline_kernelINS0_13select_configILj256ELj13ELNS0_17block_load_methodE3ELS4_3ELS4_3ELNS0_20block_scan_algorithmE0ELj4294967295EEENS1_25partition_config_selectorILNS1_17partition_subalgoE4EjNS0_10empty_typeEbEEZZNS1_14partition_implILS8_4ELb0ES6_15HIP_vector_typeIjLj2EENS0_17counting_iteratorIjlEEPS9_SG_NS0_5tupleIJPjSI_NS0_16reverse_iteratorISI_EEEEENSH_IJSG_SG_SG_EEES9_SI_JZNS1_25segmented_radix_sort_implINS0_14default_configELb1EPKbPbPKlPlN2at6native12_GLOBAL__N_18offset_tEEE10hipError_tPvRmT1_PNSt15iterator_traitsIS12_E10value_typeET2_T3_PNS13_IS18_E10value_typeET4_jRbjT5_S1E_jjP12ihipStream_tbEUljE_ZNSN_ISO_Lb1ESQ_SR_ST_SU_SY_EESZ_S10_S11_S12_S16_S17_S18_S1B_S1C_jS1D_jS1E_S1E_jjS1G_bEUljE0_EEESZ_S10_S11_S18_S1C_S1E_T6_T7_T9_mT8_S1G_bDpT10_ENKUlT_T0_E_clISt17integral_constantIbLb0EES1T_IbLb1EEEEDaS1P_S1Q_EUlS1P_E_NS1_11comp_targetILNS1_3genE0ELNS1_11target_archE4294967295ELNS1_3gpuE0ELNS1_3repE0EEENS1_30default_config_static_selectorELNS0_4arch9wavefront6targetE0EEEvS12_,@function
_ZN7rocprim17ROCPRIM_400000_NS6detail17trampoline_kernelINS0_13select_configILj256ELj13ELNS0_17block_load_methodE3ELS4_3ELS4_3ELNS0_20block_scan_algorithmE0ELj4294967295EEENS1_25partition_config_selectorILNS1_17partition_subalgoE4EjNS0_10empty_typeEbEEZZNS1_14partition_implILS8_4ELb0ES6_15HIP_vector_typeIjLj2EENS0_17counting_iteratorIjlEEPS9_SG_NS0_5tupleIJPjSI_NS0_16reverse_iteratorISI_EEEEENSH_IJSG_SG_SG_EEES9_SI_JZNS1_25segmented_radix_sort_implINS0_14default_configELb1EPKbPbPKlPlN2at6native12_GLOBAL__N_18offset_tEEE10hipError_tPvRmT1_PNSt15iterator_traitsIS12_E10value_typeET2_T3_PNS13_IS18_E10value_typeET4_jRbjT5_S1E_jjP12ihipStream_tbEUljE_ZNSN_ISO_Lb1ESQ_SR_ST_SU_SY_EESZ_S10_S11_S12_S16_S17_S18_S1B_S1C_jS1D_jS1E_S1E_jjS1G_bEUljE0_EEESZ_S10_S11_S18_S1C_S1E_T6_T7_T9_mT8_S1G_bDpT10_ENKUlT_T0_E_clISt17integral_constantIbLb0EES1T_IbLb1EEEEDaS1P_S1Q_EUlS1P_E_NS1_11comp_targetILNS1_3genE0ELNS1_11target_archE4294967295ELNS1_3gpuE0ELNS1_3repE0EEENS1_30default_config_static_selectorELNS0_4arch9wavefront6targetE0EEEvS12_: ; @_ZN7rocprim17ROCPRIM_400000_NS6detail17trampoline_kernelINS0_13select_configILj256ELj13ELNS0_17block_load_methodE3ELS4_3ELS4_3ELNS0_20block_scan_algorithmE0ELj4294967295EEENS1_25partition_config_selectorILNS1_17partition_subalgoE4EjNS0_10empty_typeEbEEZZNS1_14partition_implILS8_4ELb0ES6_15HIP_vector_typeIjLj2EENS0_17counting_iteratorIjlEEPS9_SG_NS0_5tupleIJPjSI_NS0_16reverse_iteratorISI_EEEEENSH_IJSG_SG_SG_EEES9_SI_JZNS1_25segmented_radix_sort_implINS0_14default_configELb1EPKbPbPKlPlN2at6native12_GLOBAL__N_18offset_tEEE10hipError_tPvRmT1_PNSt15iterator_traitsIS12_E10value_typeET2_T3_PNS13_IS18_E10value_typeET4_jRbjT5_S1E_jjP12ihipStream_tbEUljE_ZNSN_ISO_Lb1ESQ_SR_ST_SU_SY_EESZ_S10_S11_S12_S16_S17_S18_S1B_S1C_jS1D_jS1E_S1E_jjS1G_bEUljE0_EEESZ_S10_S11_S18_S1C_S1E_T6_T7_T9_mT8_S1G_bDpT10_ENKUlT_T0_E_clISt17integral_constantIbLb0EES1T_IbLb1EEEEDaS1P_S1Q_EUlS1P_E_NS1_11comp_targetILNS1_3genE0ELNS1_11target_archE4294967295ELNS1_3gpuE0ELNS1_3repE0EEENS1_30default_config_static_selectorELNS0_4arch9wavefront6targetE0EEEvS12_
; %bb.0:
	.section	.rodata,"a",@progbits
	.p2align	6, 0x0
	.amdhsa_kernel _ZN7rocprim17ROCPRIM_400000_NS6detail17trampoline_kernelINS0_13select_configILj256ELj13ELNS0_17block_load_methodE3ELS4_3ELS4_3ELNS0_20block_scan_algorithmE0ELj4294967295EEENS1_25partition_config_selectorILNS1_17partition_subalgoE4EjNS0_10empty_typeEbEEZZNS1_14partition_implILS8_4ELb0ES6_15HIP_vector_typeIjLj2EENS0_17counting_iteratorIjlEEPS9_SG_NS0_5tupleIJPjSI_NS0_16reverse_iteratorISI_EEEEENSH_IJSG_SG_SG_EEES9_SI_JZNS1_25segmented_radix_sort_implINS0_14default_configELb1EPKbPbPKlPlN2at6native12_GLOBAL__N_18offset_tEEE10hipError_tPvRmT1_PNSt15iterator_traitsIS12_E10value_typeET2_T3_PNS13_IS18_E10value_typeET4_jRbjT5_S1E_jjP12ihipStream_tbEUljE_ZNSN_ISO_Lb1ESQ_SR_ST_SU_SY_EESZ_S10_S11_S12_S16_S17_S18_S1B_S1C_jS1D_jS1E_S1E_jjS1G_bEUljE0_EEESZ_S10_S11_S18_S1C_S1E_T6_T7_T9_mT8_S1G_bDpT10_ENKUlT_T0_E_clISt17integral_constantIbLb0EES1T_IbLb1EEEEDaS1P_S1Q_EUlS1P_E_NS1_11comp_targetILNS1_3genE0ELNS1_11target_archE4294967295ELNS1_3gpuE0ELNS1_3repE0EEENS1_30default_config_static_selectorELNS0_4arch9wavefront6targetE0EEEvS12_
		.amdhsa_group_segment_fixed_size 0
		.amdhsa_private_segment_fixed_size 0
		.amdhsa_kernarg_size 184
		.amdhsa_user_sgpr_count 15
		.amdhsa_user_sgpr_dispatch_ptr 0
		.amdhsa_user_sgpr_queue_ptr 0
		.amdhsa_user_sgpr_kernarg_segment_ptr 1
		.amdhsa_user_sgpr_dispatch_id 0
		.amdhsa_user_sgpr_private_segment_size 0
		.amdhsa_wavefront_size32 1
		.amdhsa_uses_dynamic_stack 0
		.amdhsa_enable_private_segment 0
		.amdhsa_system_sgpr_workgroup_id_x 1
		.amdhsa_system_sgpr_workgroup_id_y 0
		.amdhsa_system_sgpr_workgroup_id_z 0
		.amdhsa_system_sgpr_workgroup_info 0
		.amdhsa_system_vgpr_workitem_id 0
		.amdhsa_next_free_vgpr 1
		.amdhsa_next_free_sgpr 1
		.amdhsa_reserve_vcc 0
		.amdhsa_float_round_mode_32 0
		.amdhsa_float_round_mode_16_64 0
		.amdhsa_float_denorm_mode_32 3
		.amdhsa_float_denorm_mode_16_64 3
		.amdhsa_dx10_clamp 1
		.amdhsa_ieee_mode 1
		.amdhsa_fp16_overflow 0
		.amdhsa_workgroup_processor_mode 1
		.amdhsa_memory_ordered 1
		.amdhsa_forward_progress 0
		.amdhsa_shared_vgpr_count 0
		.amdhsa_exception_fp_ieee_invalid_op 0
		.amdhsa_exception_fp_denorm_src 0
		.amdhsa_exception_fp_ieee_div_zero 0
		.amdhsa_exception_fp_ieee_overflow 0
		.amdhsa_exception_fp_ieee_underflow 0
		.amdhsa_exception_fp_ieee_inexact 0
		.amdhsa_exception_int_div_zero 0
	.end_amdhsa_kernel
	.section	.text._ZN7rocprim17ROCPRIM_400000_NS6detail17trampoline_kernelINS0_13select_configILj256ELj13ELNS0_17block_load_methodE3ELS4_3ELS4_3ELNS0_20block_scan_algorithmE0ELj4294967295EEENS1_25partition_config_selectorILNS1_17partition_subalgoE4EjNS0_10empty_typeEbEEZZNS1_14partition_implILS8_4ELb0ES6_15HIP_vector_typeIjLj2EENS0_17counting_iteratorIjlEEPS9_SG_NS0_5tupleIJPjSI_NS0_16reverse_iteratorISI_EEEEENSH_IJSG_SG_SG_EEES9_SI_JZNS1_25segmented_radix_sort_implINS0_14default_configELb1EPKbPbPKlPlN2at6native12_GLOBAL__N_18offset_tEEE10hipError_tPvRmT1_PNSt15iterator_traitsIS12_E10value_typeET2_T3_PNS13_IS18_E10value_typeET4_jRbjT5_S1E_jjP12ihipStream_tbEUljE_ZNSN_ISO_Lb1ESQ_SR_ST_SU_SY_EESZ_S10_S11_S12_S16_S17_S18_S1B_S1C_jS1D_jS1E_S1E_jjS1G_bEUljE0_EEESZ_S10_S11_S18_S1C_S1E_T6_T7_T9_mT8_S1G_bDpT10_ENKUlT_T0_E_clISt17integral_constantIbLb0EES1T_IbLb1EEEEDaS1P_S1Q_EUlS1P_E_NS1_11comp_targetILNS1_3genE0ELNS1_11target_archE4294967295ELNS1_3gpuE0ELNS1_3repE0EEENS1_30default_config_static_selectorELNS0_4arch9wavefront6targetE0EEEvS12_,"axG",@progbits,_ZN7rocprim17ROCPRIM_400000_NS6detail17trampoline_kernelINS0_13select_configILj256ELj13ELNS0_17block_load_methodE3ELS4_3ELS4_3ELNS0_20block_scan_algorithmE0ELj4294967295EEENS1_25partition_config_selectorILNS1_17partition_subalgoE4EjNS0_10empty_typeEbEEZZNS1_14partition_implILS8_4ELb0ES6_15HIP_vector_typeIjLj2EENS0_17counting_iteratorIjlEEPS9_SG_NS0_5tupleIJPjSI_NS0_16reverse_iteratorISI_EEEEENSH_IJSG_SG_SG_EEES9_SI_JZNS1_25segmented_radix_sort_implINS0_14default_configELb1EPKbPbPKlPlN2at6native12_GLOBAL__N_18offset_tEEE10hipError_tPvRmT1_PNSt15iterator_traitsIS12_E10value_typeET2_T3_PNS13_IS18_E10value_typeET4_jRbjT5_S1E_jjP12ihipStream_tbEUljE_ZNSN_ISO_Lb1ESQ_SR_ST_SU_SY_EESZ_S10_S11_S12_S16_S17_S18_S1B_S1C_jS1D_jS1E_S1E_jjS1G_bEUljE0_EEESZ_S10_S11_S18_S1C_S1E_T6_T7_T9_mT8_S1G_bDpT10_ENKUlT_T0_E_clISt17integral_constantIbLb0EES1T_IbLb1EEEEDaS1P_S1Q_EUlS1P_E_NS1_11comp_targetILNS1_3genE0ELNS1_11target_archE4294967295ELNS1_3gpuE0ELNS1_3repE0EEENS1_30default_config_static_selectorELNS0_4arch9wavefront6targetE0EEEvS12_,comdat
.Lfunc_end1492:
	.size	_ZN7rocprim17ROCPRIM_400000_NS6detail17trampoline_kernelINS0_13select_configILj256ELj13ELNS0_17block_load_methodE3ELS4_3ELS4_3ELNS0_20block_scan_algorithmE0ELj4294967295EEENS1_25partition_config_selectorILNS1_17partition_subalgoE4EjNS0_10empty_typeEbEEZZNS1_14partition_implILS8_4ELb0ES6_15HIP_vector_typeIjLj2EENS0_17counting_iteratorIjlEEPS9_SG_NS0_5tupleIJPjSI_NS0_16reverse_iteratorISI_EEEEENSH_IJSG_SG_SG_EEES9_SI_JZNS1_25segmented_radix_sort_implINS0_14default_configELb1EPKbPbPKlPlN2at6native12_GLOBAL__N_18offset_tEEE10hipError_tPvRmT1_PNSt15iterator_traitsIS12_E10value_typeET2_T3_PNS13_IS18_E10value_typeET4_jRbjT5_S1E_jjP12ihipStream_tbEUljE_ZNSN_ISO_Lb1ESQ_SR_ST_SU_SY_EESZ_S10_S11_S12_S16_S17_S18_S1B_S1C_jS1D_jS1E_S1E_jjS1G_bEUljE0_EEESZ_S10_S11_S18_S1C_S1E_T6_T7_T9_mT8_S1G_bDpT10_ENKUlT_T0_E_clISt17integral_constantIbLb0EES1T_IbLb1EEEEDaS1P_S1Q_EUlS1P_E_NS1_11comp_targetILNS1_3genE0ELNS1_11target_archE4294967295ELNS1_3gpuE0ELNS1_3repE0EEENS1_30default_config_static_selectorELNS0_4arch9wavefront6targetE0EEEvS12_, .Lfunc_end1492-_ZN7rocprim17ROCPRIM_400000_NS6detail17trampoline_kernelINS0_13select_configILj256ELj13ELNS0_17block_load_methodE3ELS4_3ELS4_3ELNS0_20block_scan_algorithmE0ELj4294967295EEENS1_25partition_config_selectorILNS1_17partition_subalgoE4EjNS0_10empty_typeEbEEZZNS1_14partition_implILS8_4ELb0ES6_15HIP_vector_typeIjLj2EENS0_17counting_iteratorIjlEEPS9_SG_NS0_5tupleIJPjSI_NS0_16reverse_iteratorISI_EEEEENSH_IJSG_SG_SG_EEES9_SI_JZNS1_25segmented_radix_sort_implINS0_14default_configELb1EPKbPbPKlPlN2at6native12_GLOBAL__N_18offset_tEEE10hipError_tPvRmT1_PNSt15iterator_traitsIS12_E10value_typeET2_T3_PNS13_IS18_E10value_typeET4_jRbjT5_S1E_jjP12ihipStream_tbEUljE_ZNSN_ISO_Lb1ESQ_SR_ST_SU_SY_EESZ_S10_S11_S12_S16_S17_S18_S1B_S1C_jS1D_jS1E_S1E_jjS1G_bEUljE0_EEESZ_S10_S11_S18_S1C_S1E_T6_T7_T9_mT8_S1G_bDpT10_ENKUlT_T0_E_clISt17integral_constantIbLb0EES1T_IbLb1EEEEDaS1P_S1Q_EUlS1P_E_NS1_11comp_targetILNS1_3genE0ELNS1_11target_archE4294967295ELNS1_3gpuE0ELNS1_3repE0EEENS1_30default_config_static_selectorELNS0_4arch9wavefront6targetE0EEEvS12_
                                        ; -- End function
	.section	.AMDGPU.csdata,"",@progbits
; Kernel info:
; codeLenInByte = 0
; NumSgprs: 0
; NumVgprs: 0
; ScratchSize: 0
; MemoryBound: 0
; FloatMode: 240
; IeeeMode: 1
; LDSByteSize: 0 bytes/workgroup (compile time only)
; SGPRBlocks: 0
; VGPRBlocks: 0
; NumSGPRsForWavesPerEU: 1
; NumVGPRsForWavesPerEU: 1
; Occupancy: 16
; WaveLimiterHint : 0
; COMPUTE_PGM_RSRC2:SCRATCH_EN: 0
; COMPUTE_PGM_RSRC2:USER_SGPR: 15
; COMPUTE_PGM_RSRC2:TRAP_HANDLER: 0
; COMPUTE_PGM_RSRC2:TGID_X_EN: 1
; COMPUTE_PGM_RSRC2:TGID_Y_EN: 0
; COMPUTE_PGM_RSRC2:TGID_Z_EN: 0
; COMPUTE_PGM_RSRC2:TIDIG_COMP_CNT: 0
	.section	.text._ZN7rocprim17ROCPRIM_400000_NS6detail17trampoline_kernelINS0_13select_configILj256ELj13ELNS0_17block_load_methodE3ELS4_3ELS4_3ELNS0_20block_scan_algorithmE0ELj4294967295EEENS1_25partition_config_selectorILNS1_17partition_subalgoE4EjNS0_10empty_typeEbEEZZNS1_14partition_implILS8_4ELb0ES6_15HIP_vector_typeIjLj2EENS0_17counting_iteratorIjlEEPS9_SG_NS0_5tupleIJPjSI_NS0_16reverse_iteratorISI_EEEEENSH_IJSG_SG_SG_EEES9_SI_JZNS1_25segmented_radix_sort_implINS0_14default_configELb1EPKbPbPKlPlN2at6native12_GLOBAL__N_18offset_tEEE10hipError_tPvRmT1_PNSt15iterator_traitsIS12_E10value_typeET2_T3_PNS13_IS18_E10value_typeET4_jRbjT5_S1E_jjP12ihipStream_tbEUljE_ZNSN_ISO_Lb1ESQ_SR_ST_SU_SY_EESZ_S10_S11_S12_S16_S17_S18_S1B_S1C_jS1D_jS1E_S1E_jjS1G_bEUljE0_EEESZ_S10_S11_S18_S1C_S1E_T6_T7_T9_mT8_S1G_bDpT10_ENKUlT_T0_E_clISt17integral_constantIbLb0EES1T_IbLb1EEEEDaS1P_S1Q_EUlS1P_E_NS1_11comp_targetILNS1_3genE5ELNS1_11target_archE942ELNS1_3gpuE9ELNS1_3repE0EEENS1_30default_config_static_selectorELNS0_4arch9wavefront6targetE0EEEvS12_,"axG",@progbits,_ZN7rocprim17ROCPRIM_400000_NS6detail17trampoline_kernelINS0_13select_configILj256ELj13ELNS0_17block_load_methodE3ELS4_3ELS4_3ELNS0_20block_scan_algorithmE0ELj4294967295EEENS1_25partition_config_selectorILNS1_17partition_subalgoE4EjNS0_10empty_typeEbEEZZNS1_14partition_implILS8_4ELb0ES6_15HIP_vector_typeIjLj2EENS0_17counting_iteratorIjlEEPS9_SG_NS0_5tupleIJPjSI_NS0_16reverse_iteratorISI_EEEEENSH_IJSG_SG_SG_EEES9_SI_JZNS1_25segmented_radix_sort_implINS0_14default_configELb1EPKbPbPKlPlN2at6native12_GLOBAL__N_18offset_tEEE10hipError_tPvRmT1_PNSt15iterator_traitsIS12_E10value_typeET2_T3_PNS13_IS18_E10value_typeET4_jRbjT5_S1E_jjP12ihipStream_tbEUljE_ZNSN_ISO_Lb1ESQ_SR_ST_SU_SY_EESZ_S10_S11_S12_S16_S17_S18_S1B_S1C_jS1D_jS1E_S1E_jjS1G_bEUljE0_EEESZ_S10_S11_S18_S1C_S1E_T6_T7_T9_mT8_S1G_bDpT10_ENKUlT_T0_E_clISt17integral_constantIbLb0EES1T_IbLb1EEEEDaS1P_S1Q_EUlS1P_E_NS1_11comp_targetILNS1_3genE5ELNS1_11target_archE942ELNS1_3gpuE9ELNS1_3repE0EEENS1_30default_config_static_selectorELNS0_4arch9wavefront6targetE0EEEvS12_,comdat
	.globl	_ZN7rocprim17ROCPRIM_400000_NS6detail17trampoline_kernelINS0_13select_configILj256ELj13ELNS0_17block_load_methodE3ELS4_3ELS4_3ELNS0_20block_scan_algorithmE0ELj4294967295EEENS1_25partition_config_selectorILNS1_17partition_subalgoE4EjNS0_10empty_typeEbEEZZNS1_14partition_implILS8_4ELb0ES6_15HIP_vector_typeIjLj2EENS0_17counting_iteratorIjlEEPS9_SG_NS0_5tupleIJPjSI_NS0_16reverse_iteratorISI_EEEEENSH_IJSG_SG_SG_EEES9_SI_JZNS1_25segmented_radix_sort_implINS0_14default_configELb1EPKbPbPKlPlN2at6native12_GLOBAL__N_18offset_tEEE10hipError_tPvRmT1_PNSt15iterator_traitsIS12_E10value_typeET2_T3_PNS13_IS18_E10value_typeET4_jRbjT5_S1E_jjP12ihipStream_tbEUljE_ZNSN_ISO_Lb1ESQ_SR_ST_SU_SY_EESZ_S10_S11_S12_S16_S17_S18_S1B_S1C_jS1D_jS1E_S1E_jjS1G_bEUljE0_EEESZ_S10_S11_S18_S1C_S1E_T6_T7_T9_mT8_S1G_bDpT10_ENKUlT_T0_E_clISt17integral_constantIbLb0EES1T_IbLb1EEEEDaS1P_S1Q_EUlS1P_E_NS1_11comp_targetILNS1_3genE5ELNS1_11target_archE942ELNS1_3gpuE9ELNS1_3repE0EEENS1_30default_config_static_selectorELNS0_4arch9wavefront6targetE0EEEvS12_ ; -- Begin function _ZN7rocprim17ROCPRIM_400000_NS6detail17trampoline_kernelINS0_13select_configILj256ELj13ELNS0_17block_load_methodE3ELS4_3ELS4_3ELNS0_20block_scan_algorithmE0ELj4294967295EEENS1_25partition_config_selectorILNS1_17partition_subalgoE4EjNS0_10empty_typeEbEEZZNS1_14partition_implILS8_4ELb0ES6_15HIP_vector_typeIjLj2EENS0_17counting_iteratorIjlEEPS9_SG_NS0_5tupleIJPjSI_NS0_16reverse_iteratorISI_EEEEENSH_IJSG_SG_SG_EEES9_SI_JZNS1_25segmented_radix_sort_implINS0_14default_configELb1EPKbPbPKlPlN2at6native12_GLOBAL__N_18offset_tEEE10hipError_tPvRmT1_PNSt15iterator_traitsIS12_E10value_typeET2_T3_PNS13_IS18_E10value_typeET4_jRbjT5_S1E_jjP12ihipStream_tbEUljE_ZNSN_ISO_Lb1ESQ_SR_ST_SU_SY_EESZ_S10_S11_S12_S16_S17_S18_S1B_S1C_jS1D_jS1E_S1E_jjS1G_bEUljE0_EEESZ_S10_S11_S18_S1C_S1E_T6_T7_T9_mT8_S1G_bDpT10_ENKUlT_T0_E_clISt17integral_constantIbLb0EES1T_IbLb1EEEEDaS1P_S1Q_EUlS1P_E_NS1_11comp_targetILNS1_3genE5ELNS1_11target_archE942ELNS1_3gpuE9ELNS1_3repE0EEENS1_30default_config_static_selectorELNS0_4arch9wavefront6targetE0EEEvS12_
	.p2align	8
	.type	_ZN7rocprim17ROCPRIM_400000_NS6detail17trampoline_kernelINS0_13select_configILj256ELj13ELNS0_17block_load_methodE3ELS4_3ELS4_3ELNS0_20block_scan_algorithmE0ELj4294967295EEENS1_25partition_config_selectorILNS1_17partition_subalgoE4EjNS0_10empty_typeEbEEZZNS1_14partition_implILS8_4ELb0ES6_15HIP_vector_typeIjLj2EENS0_17counting_iteratorIjlEEPS9_SG_NS0_5tupleIJPjSI_NS0_16reverse_iteratorISI_EEEEENSH_IJSG_SG_SG_EEES9_SI_JZNS1_25segmented_radix_sort_implINS0_14default_configELb1EPKbPbPKlPlN2at6native12_GLOBAL__N_18offset_tEEE10hipError_tPvRmT1_PNSt15iterator_traitsIS12_E10value_typeET2_T3_PNS13_IS18_E10value_typeET4_jRbjT5_S1E_jjP12ihipStream_tbEUljE_ZNSN_ISO_Lb1ESQ_SR_ST_SU_SY_EESZ_S10_S11_S12_S16_S17_S18_S1B_S1C_jS1D_jS1E_S1E_jjS1G_bEUljE0_EEESZ_S10_S11_S18_S1C_S1E_T6_T7_T9_mT8_S1G_bDpT10_ENKUlT_T0_E_clISt17integral_constantIbLb0EES1T_IbLb1EEEEDaS1P_S1Q_EUlS1P_E_NS1_11comp_targetILNS1_3genE5ELNS1_11target_archE942ELNS1_3gpuE9ELNS1_3repE0EEENS1_30default_config_static_selectorELNS0_4arch9wavefront6targetE0EEEvS12_,@function
_ZN7rocprim17ROCPRIM_400000_NS6detail17trampoline_kernelINS0_13select_configILj256ELj13ELNS0_17block_load_methodE3ELS4_3ELS4_3ELNS0_20block_scan_algorithmE0ELj4294967295EEENS1_25partition_config_selectorILNS1_17partition_subalgoE4EjNS0_10empty_typeEbEEZZNS1_14partition_implILS8_4ELb0ES6_15HIP_vector_typeIjLj2EENS0_17counting_iteratorIjlEEPS9_SG_NS0_5tupleIJPjSI_NS0_16reverse_iteratorISI_EEEEENSH_IJSG_SG_SG_EEES9_SI_JZNS1_25segmented_radix_sort_implINS0_14default_configELb1EPKbPbPKlPlN2at6native12_GLOBAL__N_18offset_tEEE10hipError_tPvRmT1_PNSt15iterator_traitsIS12_E10value_typeET2_T3_PNS13_IS18_E10value_typeET4_jRbjT5_S1E_jjP12ihipStream_tbEUljE_ZNSN_ISO_Lb1ESQ_SR_ST_SU_SY_EESZ_S10_S11_S12_S16_S17_S18_S1B_S1C_jS1D_jS1E_S1E_jjS1G_bEUljE0_EEESZ_S10_S11_S18_S1C_S1E_T6_T7_T9_mT8_S1G_bDpT10_ENKUlT_T0_E_clISt17integral_constantIbLb0EES1T_IbLb1EEEEDaS1P_S1Q_EUlS1P_E_NS1_11comp_targetILNS1_3genE5ELNS1_11target_archE942ELNS1_3gpuE9ELNS1_3repE0EEENS1_30default_config_static_selectorELNS0_4arch9wavefront6targetE0EEEvS12_: ; @_ZN7rocprim17ROCPRIM_400000_NS6detail17trampoline_kernelINS0_13select_configILj256ELj13ELNS0_17block_load_methodE3ELS4_3ELS4_3ELNS0_20block_scan_algorithmE0ELj4294967295EEENS1_25partition_config_selectorILNS1_17partition_subalgoE4EjNS0_10empty_typeEbEEZZNS1_14partition_implILS8_4ELb0ES6_15HIP_vector_typeIjLj2EENS0_17counting_iteratorIjlEEPS9_SG_NS0_5tupleIJPjSI_NS0_16reverse_iteratorISI_EEEEENSH_IJSG_SG_SG_EEES9_SI_JZNS1_25segmented_radix_sort_implINS0_14default_configELb1EPKbPbPKlPlN2at6native12_GLOBAL__N_18offset_tEEE10hipError_tPvRmT1_PNSt15iterator_traitsIS12_E10value_typeET2_T3_PNS13_IS18_E10value_typeET4_jRbjT5_S1E_jjP12ihipStream_tbEUljE_ZNSN_ISO_Lb1ESQ_SR_ST_SU_SY_EESZ_S10_S11_S12_S16_S17_S18_S1B_S1C_jS1D_jS1E_S1E_jjS1G_bEUljE0_EEESZ_S10_S11_S18_S1C_S1E_T6_T7_T9_mT8_S1G_bDpT10_ENKUlT_T0_E_clISt17integral_constantIbLb0EES1T_IbLb1EEEEDaS1P_S1Q_EUlS1P_E_NS1_11comp_targetILNS1_3genE5ELNS1_11target_archE942ELNS1_3gpuE9ELNS1_3repE0EEENS1_30default_config_static_selectorELNS0_4arch9wavefront6targetE0EEEvS12_
; %bb.0:
	.section	.rodata,"a",@progbits
	.p2align	6, 0x0
	.amdhsa_kernel _ZN7rocprim17ROCPRIM_400000_NS6detail17trampoline_kernelINS0_13select_configILj256ELj13ELNS0_17block_load_methodE3ELS4_3ELS4_3ELNS0_20block_scan_algorithmE0ELj4294967295EEENS1_25partition_config_selectorILNS1_17partition_subalgoE4EjNS0_10empty_typeEbEEZZNS1_14partition_implILS8_4ELb0ES6_15HIP_vector_typeIjLj2EENS0_17counting_iteratorIjlEEPS9_SG_NS0_5tupleIJPjSI_NS0_16reverse_iteratorISI_EEEEENSH_IJSG_SG_SG_EEES9_SI_JZNS1_25segmented_radix_sort_implINS0_14default_configELb1EPKbPbPKlPlN2at6native12_GLOBAL__N_18offset_tEEE10hipError_tPvRmT1_PNSt15iterator_traitsIS12_E10value_typeET2_T3_PNS13_IS18_E10value_typeET4_jRbjT5_S1E_jjP12ihipStream_tbEUljE_ZNSN_ISO_Lb1ESQ_SR_ST_SU_SY_EESZ_S10_S11_S12_S16_S17_S18_S1B_S1C_jS1D_jS1E_S1E_jjS1G_bEUljE0_EEESZ_S10_S11_S18_S1C_S1E_T6_T7_T9_mT8_S1G_bDpT10_ENKUlT_T0_E_clISt17integral_constantIbLb0EES1T_IbLb1EEEEDaS1P_S1Q_EUlS1P_E_NS1_11comp_targetILNS1_3genE5ELNS1_11target_archE942ELNS1_3gpuE9ELNS1_3repE0EEENS1_30default_config_static_selectorELNS0_4arch9wavefront6targetE0EEEvS12_
		.amdhsa_group_segment_fixed_size 0
		.amdhsa_private_segment_fixed_size 0
		.amdhsa_kernarg_size 184
		.amdhsa_user_sgpr_count 15
		.amdhsa_user_sgpr_dispatch_ptr 0
		.amdhsa_user_sgpr_queue_ptr 0
		.amdhsa_user_sgpr_kernarg_segment_ptr 1
		.amdhsa_user_sgpr_dispatch_id 0
		.amdhsa_user_sgpr_private_segment_size 0
		.amdhsa_wavefront_size32 1
		.amdhsa_uses_dynamic_stack 0
		.amdhsa_enable_private_segment 0
		.amdhsa_system_sgpr_workgroup_id_x 1
		.amdhsa_system_sgpr_workgroup_id_y 0
		.amdhsa_system_sgpr_workgroup_id_z 0
		.amdhsa_system_sgpr_workgroup_info 0
		.amdhsa_system_vgpr_workitem_id 0
		.amdhsa_next_free_vgpr 1
		.amdhsa_next_free_sgpr 1
		.amdhsa_reserve_vcc 0
		.amdhsa_float_round_mode_32 0
		.amdhsa_float_round_mode_16_64 0
		.amdhsa_float_denorm_mode_32 3
		.amdhsa_float_denorm_mode_16_64 3
		.amdhsa_dx10_clamp 1
		.amdhsa_ieee_mode 1
		.amdhsa_fp16_overflow 0
		.amdhsa_workgroup_processor_mode 1
		.amdhsa_memory_ordered 1
		.amdhsa_forward_progress 0
		.amdhsa_shared_vgpr_count 0
		.amdhsa_exception_fp_ieee_invalid_op 0
		.amdhsa_exception_fp_denorm_src 0
		.amdhsa_exception_fp_ieee_div_zero 0
		.amdhsa_exception_fp_ieee_overflow 0
		.amdhsa_exception_fp_ieee_underflow 0
		.amdhsa_exception_fp_ieee_inexact 0
		.amdhsa_exception_int_div_zero 0
	.end_amdhsa_kernel
	.section	.text._ZN7rocprim17ROCPRIM_400000_NS6detail17trampoline_kernelINS0_13select_configILj256ELj13ELNS0_17block_load_methodE3ELS4_3ELS4_3ELNS0_20block_scan_algorithmE0ELj4294967295EEENS1_25partition_config_selectorILNS1_17partition_subalgoE4EjNS0_10empty_typeEbEEZZNS1_14partition_implILS8_4ELb0ES6_15HIP_vector_typeIjLj2EENS0_17counting_iteratorIjlEEPS9_SG_NS0_5tupleIJPjSI_NS0_16reverse_iteratorISI_EEEEENSH_IJSG_SG_SG_EEES9_SI_JZNS1_25segmented_radix_sort_implINS0_14default_configELb1EPKbPbPKlPlN2at6native12_GLOBAL__N_18offset_tEEE10hipError_tPvRmT1_PNSt15iterator_traitsIS12_E10value_typeET2_T3_PNS13_IS18_E10value_typeET4_jRbjT5_S1E_jjP12ihipStream_tbEUljE_ZNSN_ISO_Lb1ESQ_SR_ST_SU_SY_EESZ_S10_S11_S12_S16_S17_S18_S1B_S1C_jS1D_jS1E_S1E_jjS1G_bEUljE0_EEESZ_S10_S11_S18_S1C_S1E_T6_T7_T9_mT8_S1G_bDpT10_ENKUlT_T0_E_clISt17integral_constantIbLb0EES1T_IbLb1EEEEDaS1P_S1Q_EUlS1P_E_NS1_11comp_targetILNS1_3genE5ELNS1_11target_archE942ELNS1_3gpuE9ELNS1_3repE0EEENS1_30default_config_static_selectorELNS0_4arch9wavefront6targetE0EEEvS12_,"axG",@progbits,_ZN7rocprim17ROCPRIM_400000_NS6detail17trampoline_kernelINS0_13select_configILj256ELj13ELNS0_17block_load_methodE3ELS4_3ELS4_3ELNS0_20block_scan_algorithmE0ELj4294967295EEENS1_25partition_config_selectorILNS1_17partition_subalgoE4EjNS0_10empty_typeEbEEZZNS1_14partition_implILS8_4ELb0ES6_15HIP_vector_typeIjLj2EENS0_17counting_iteratorIjlEEPS9_SG_NS0_5tupleIJPjSI_NS0_16reverse_iteratorISI_EEEEENSH_IJSG_SG_SG_EEES9_SI_JZNS1_25segmented_radix_sort_implINS0_14default_configELb1EPKbPbPKlPlN2at6native12_GLOBAL__N_18offset_tEEE10hipError_tPvRmT1_PNSt15iterator_traitsIS12_E10value_typeET2_T3_PNS13_IS18_E10value_typeET4_jRbjT5_S1E_jjP12ihipStream_tbEUljE_ZNSN_ISO_Lb1ESQ_SR_ST_SU_SY_EESZ_S10_S11_S12_S16_S17_S18_S1B_S1C_jS1D_jS1E_S1E_jjS1G_bEUljE0_EEESZ_S10_S11_S18_S1C_S1E_T6_T7_T9_mT8_S1G_bDpT10_ENKUlT_T0_E_clISt17integral_constantIbLb0EES1T_IbLb1EEEEDaS1P_S1Q_EUlS1P_E_NS1_11comp_targetILNS1_3genE5ELNS1_11target_archE942ELNS1_3gpuE9ELNS1_3repE0EEENS1_30default_config_static_selectorELNS0_4arch9wavefront6targetE0EEEvS12_,comdat
.Lfunc_end1493:
	.size	_ZN7rocprim17ROCPRIM_400000_NS6detail17trampoline_kernelINS0_13select_configILj256ELj13ELNS0_17block_load_methodE3ELS4_3ELS4_3ELNS0_20block_scan_algorithmE0ELj4294967295EEENS1_25partition_config_selectorILNS1_17partition_subalgoE4EjNS0_10empty_typeEbEEZZNS1_14partition_implILS8_4ELb0ES6_15HIP_vector_typeIjLj2EENS0_17counting_iteratorIjlEEPS9_SG_NS0_5tupleIJPjSI_NS0_16reverse_iteratorISI_EEEEENSH_IJSG_SG_SG_EEES9_SI_JZNS1_25segmented_radix_sort_implINS0_14default_configELb1EPKbPbPKlPlN2at6native12_GLOBAL__N_18offset_tEEE10hipError_tPvRmT1_PNSt15iterator_traitsIS12_E10value_typeET2_T3_PNS13_IS18_E10value_typeET4_jRbjT5_S1E_jjP12ihipStream_tbEUljE_ZNSN_ISO_Lb1ESQ_SR_ST_SU_SY_EESZ_S10_S11_S12_S16_S17_S18_S1B_S1C_jS1D_jS1E_S1E_jjS1G_bEUljE0_EEESZ_S10_S11_S18_S1C_S1E_T6_T7_T9_mT8_S1G_bDpT10_ENKUlT_T0_E_clISt17integral_constantIbLb0EES1T_IbLb1EEEEDaS1P_S1Q_EUlS1P_E_NS1_11comp_targetILNS1_3genE5ELNS1_11target_archE942ELNS1_3gpuE9ELNS1_3repE0EEENS1_30default_config_static_selectorELNS0_4arch9wavefront6targetE0EEEvS12_, .Lfunc_end1493-_ZN7rocprim17ROCPRIM_400000_NS6detail17trampoline_kernelINS0_13select_configILj256ELj13ELNS0_17block_load_methodE3ELS4_3ELS4_3ELNS0_20block_scan_algorithmE0ELj4294967295EEENS1_25partition_config_selectorILNS1_17partition_subalgoE4EjNS0_10empty_typeEbEEZZNS1_14partition_implILS8_4ELb0ES6_15HIP_vector_typeIjLj2EENS0_17counting_iteratorIjlEEPS9_SG_NS0_5tupleIJPjSI_NS0_16reverse_iteratorISI_EEEEENSH_IJSG_SG_SG_EEES9_SI_JZNS1_25segmented_radix_sort_implINS0_14default_configELb1EPKbPbPKlPlN2at6native12_GLOBAL__N_18offset_tEEE10hipError_tPvRmT1_PNSt15iterator_traitsIS12_E10value_typeET2_T3_PNS13_IS18_E10value_typeET4_jRbjT5_S1E_jjP12ihipStream_tbEUljE_ZNSN_ISO_Lb1ESQ_SR_ST_SU_SY_EESZ_S10_S11_S12_S16_S17_S18_S1B_S1C_jS1D_jS1E_S1E_jjS1G_bEUljE0_EEESZ_S10_S11_S18_S1C_S1E_T6_T7_T9_mT8_S1G_bDpT10_ENKUlT_T0_E_clISt17integral_constantIbLb0EES1T_IbLb1EEEEDaS1P_S1Q_EUlS1P_E_NS1_11comp_targetILNS1_3genE5ELNS1_11target_archE942ELNS1_3gpuE9ELNS1_3repE0EEENS1_30default_config_static_selectorELNS0_4arch9wavefront6targetE0EEEvS12_
                                        ; -- End function
	.section	.AMDGPU.csdata,"",@progbits
; Kernel info:
; codeLenInByte = 0
; NumSgprs: 0
; NumVgprs: 0
; ScratchSize: 0
; MemoryBound: 0
; FloatMode: 240
; IeeeMode: 1
; LDSByteSize: 0 bytes/workgroup (compile time only)
; SGPRBlocks: 0
; VGPRBlocks: 0
; NumSGPRsForWavesPerEU: 1
; NumVGPRsForWavesPerEU: 1
; Occupancy: 16
; WaveLimiterHint : 0
; COMPUTE_PGM_RSRC2:SCRATCH_EN: 0
; COMPUTE_PGM_RSRC2:USER_SGPR: 15
; COMPUTE_PGM_RSRC2:TRAP_HANDLER: 0
; COMPUTE_PGM_RSRC2:TGID_X_EN: 1
; COMPUTE_PGM_RSRC2:TGID_Y_EN: 0
; COMPUTE_PGM_RSRC2:TGID_Z_EN: 0
; COMPUTE_PGM_RSRC2:TIDIG_COMP_CNT: 0
	.section	.text._ZN7rocprim17ROCPRIM_400000_NS6detail17trampoline_kernelINS0_13select_configILj256ELj13ELNS0_17block_load_methodE3ELS4_3ELS4_3ELNS0_20block_scan_algorithmE0ELj4294967295EEENS1_25partition_config_selectorILNS1_17partition_subalgoE4EjNS0_10empty_typeEbEEZZNS1_14partition_implILS8_4ELb0ES6_15HIP_vector_typeIjLj2EENS0_17counting_iteratorIjlEEPS9_SG_NS0_5tupleIJPjSI_NS0_16reverse_iteratorISI_EEEEENSH_IJSG_SG_SG_EEES9_SI_JZNS1_25segmented_radix_sort_implINS0_14default_configELb1EPKbPbPKlPlN2at6native12_GLOBAL__N_18offset_tEEE10hipError_tPvRmT1_PNSt15iterator_traitsIS12_E10value_typeET2_T3_PNS13_IS18_E10value_typeET4_jRbjT5_S1E_jjP12ihipStream_tbEUljE_ZNSN_ISO_Lb1ESQ_SR_ST_SU_SY_EESZ_S10_S11_S12_S16_S17_S18_S1B_S1C_jS1D_jS1E_S1E_jjS1G_bEUljE0_EEESZ_S10_S11_S18_S1C_S1E_T6_T7_T9_mT8_S1G_bDpT10_ENKUlT_T0_E_clISt17integral_constantIbLb0EES1T_IbLb1EEEEDaS1P_S1Q_EUlS1P_E_NS1_11comp_targetILNS1_3genE4ELNS1_11target_archE910ELNS1_3gpuE8ELNS1_3repE0EEENS1_30default_config_static_selectorELNS0_4arch9wavefront6targetE0EEEvS12_,"axG",@progbits,_ZN7rocprim17ROCPRIM_400000_NS6detail17trampoline_kernelINS0_13select_configILj256ELj13ELNS0_17block_load_methodE3ELS4_3ELS4_3ELNS0_20block_scan_algorithmE0ELj4294967295EEENS1_25partition_config_selectorILNS1_17partition_subalgoE4EjNS0_10empty_typeEbEEZZNS1_14partition_implILS8_4ELb0ES6_15HIP_vector_typeIjLj2EENS0_17counting_iteratorIjlEEPS9_SG_NS0_5tupleIJPjSI_NS0_16reverse_iteratorISI_EEEEENSH_IJSG_SG_SG_EEES9_SI_JZNS1_25segmented_radix_sort_implINS0_14default_configELb1EPKbPbPKlPlN2at6native12_GLOBAL__N_18offset_tEEE10hipError_tPvRmT1_PNSt15iterator_traitsIS12_E10value_typeET2_T3_PNS13_IS18_E10value_typeET4_jRbjT5_S1E_jjP12ihipStream_tbEUljE_ZNSN_ISO_Lb1ESQ_SR_ST_SU_SY_EESZ_S10_S11_S12_S16_S17_S18_S1B_S1C_jS1D_jS1E_S1E_jjS1G_bEUljE0_EEESZ_S10_S11_S18_S1C_S1E_T6_T7_T9_mT8_S1G_bDpT10_ENKUlT_T0_E_clISt17integral_constantIbLb0EES1T_IbLb1EEEEDaS1P_S1Q_EUlS1P_E_NS1_11comp_targetILNS1_3genE4ELNS1_11target_archE910ELNS1_3gpuE8ELNS1_3repE0EEENS1_30default_config_static_selectorELNS0_4arch9wavefront6targetE0EEEvS12_,comdat
	.globl	_ZN7rocprim17ROCPRIM_400000_NS6detail17trampoline_kernelINS0_13select_configILj256ELj13ELNS0_17block_load_methodE3ELS4_3ELS4_3ELNS0_20block_scan_algorithmE0ELj4294967295EEENS1_25partition_config_selectorILNS1_17partition_subalgoE4EjNS0_10empty_typeEbEEZZNS1_14partition_implILS8_4ELb0ES6_15HIP_vector_typeIjLj2EENS0_17counting_iteratorIjlEEPS9_SG_NS0_5tupleIJPjSI_NS0_16reverse_iteratorISI_EEEEENSH_IJSG_SG_SG_EEES9_SI_JZNS1_25segmented_radix_sort_implINS0_14default_configELb1EPKbPbPKlPlN2at6native12_GLOBAL__N_18offset_tEEE10hipError_tPvRmT1_PNSt15iterator_traitsIS12_E10value_typeET2_T3_PNS13_IS18_E10value_typeET4_jRbjT5_S1E_jjP12ihipStream_tbEUljE_ZNSN_ISO_Lb1ESQ_SR_ST_SU_SY_EESZ_S10_S11_S12_S16_S17_S18_S1B_S1C_jS1D_jS1E_S1E_jjS1G_bEUljE0_EEESZ_S10_S11_S18_S1C_S1E_T6_T7_T9_mT8_S1G_bDpT10_ENKUlT_T0_E_clISt17integral_constantIbLb0EES1T_IbLb1EEEEDaS1P_S1Q_EUlS1P_E_NS1_11comp_targetILNS1_3genE4ELNS1_11target_archE910ELNS1_3gpuE8ELNS1_3repE0EEENS1_30default_config_static_selectorELNS0_4arch9wavefront6targetE0EEEvS12_ ; -- Begin function _ZN7rocprim17ROCPRIM_400000_NS6detail17trampoline_kernelINS0_13select_configILj256ELj13ELNS0_17block_load_methodE3ELS4_3ELS4_3ELNS0_20block_scan_algorithmE0ELj4294967295EEENS1_25partition_config_selectorILNS1_17partition_subalgoE4EjNS0_10empty_typeEbEEZZNS1_14partition_implILS8_4ELb0ES6_15HIP_vector_typeIjLj2EENS0_17counting_iteratorIjlEEPS9_SG_NS0_5tupleIJPjSI_NS0_16reverse_iteratorISI_EEEEENSH_IJSG_SG_SG_EEES9_SI_JZNS1_25segmented_radix_sort_implINS0_14default_configELb1EPKbPbPKlPlN2at6native12_GLOBAL__N_18offset_tEEE10hipError_tPvRmT1_PNSt15iterator_traitsIS12_E10value_typeET2_T3_PNS13_IS18_E10value_typeET4_jRbjT5_S1E_jjP12ihipStream_tbEUljE_ZNSN_ISO_Lb1ESQ_SR_ST_SU_SY_EESZ_S10_S11_S12_S16_S17_S18_S1B_S1C_jS1D_jS1E_S1E_jjS1G_bEUljE0_EEESZ_S10_S11_S18_S1C_S1E_T6_T7_T9_mT8_S1G_bDpT10_ENKUlT_T0_E_clISt17integral_constantIbLb0EES1T_IbLb1EEEEDaS1P_S1Q_EUlS1P_E_NS1_11comp_targetILNS1_3genE4ELNS1_11target_archE910ELNS1_3gpuE8ELNS1_3repE0EEENS1_30default_config_static_selectorELNS0_4arch9wavefront6targetE0EEEvS12_
	.p2align	8
	.type	_ZN7rocprim17ROCPRIM_400000_NS6detail17trampoline_kernelINS0_13select_configILj256ELj13ELNS0_17block_load_methodE3ELS4_3ELS4_3ELNS0_20block_scan_algorithmE0ELj4294967295EEENS1_25partition_config_selectorILNS1_17partition_subalgoE4EjNS0_10empty_typeEbEEZZNS1_14partition_implILS8_4ELb0ES6_15HIP_vector_typeIjLj2EENS0_17counting_iteratorIjlEEPS9_SG_NS0_5tupleIJPjSI_NS0_16reverse_iteratorISI_EEEEENSH_IJSG_SG_SG_EEES9_SI_JZNS1_25segmented_radix_sort_implINS0_14default_configELb1EPKbPbPKlPlN2at6native12_GLOBAL__N_18offset_tEEE10hipError_tPvRmT1_PNSt15iterator_traitsIS12_E10value_typeET2_T3_PNS13_IS18_E10value_typeET4_jRbjT5_S1E_jjP12ihipStream_tbEUljE_ZNSN_ISO_Lb1ESQ_SR_ST_SU_SY_EESZ_S10_S11_S12_S16_S17_S18_S1B_S1C_jS1D_jS1E_S1E_jjS1G_bEUljE0_EEESZ_S10_S11_S18_S1C_S1E_T6_T7_T9_mT8_S1G_bDpT10_ENKUlT_T0_E_clISt17integral_constantIbLb0EES1T_IbLb1EEEEDaS1P_S1Q_EUlS1P_E_NS1_11comp_targetILNS1_3genE4ELNS1_11target_archE910ELNS1_3gpuE8ELNS1_3repE0EEENS1_30default_config_static_selectorELNS0_4arch9wavefront6targetE0EEEvS12_,@function
_ZN7rocprim17ROCPRIM_400000_NS6detail17trampoline_kernelINS0_13select_configILj256ELj13ELNS0_17block_load_methodE3ELS4_3ELS4_3ELNS0_20block_scan_algorithmE0ELj4294967295EEENS1_25partition_config_selectorILNS1_17partition_subalgoE4EjNS0_10empty_typeEbEEZZNS1_14partition_implILS8_4ELb0ES6_15HIP_vector_typeIjLj2EENS0_17counting_iteratorIjlEEPS9_SG_NS0_5tupleIJPjSI_NS0_16reverse_iteratorISI_EEEEENSH_IJSG_SG_SG_EEES9_SI_JZNS1_25segmented_radix_sort_implINS0_14default_configELb1EPKbPbPKlPlN2at6native12_GLOBAL__N_18offset_tEEE10hipError_tPvRmT1_PNSt15iterator_traitsIS12_E10value_typeET2_T3_PNS13_IS18_E10value_typeET4_jRbjT5_S1E_jjP12ihipStream_tbEUljE_ZNSN_ISO_Lb1ESQ_SR_ST_SU_SY_EESZ_S10_S11_S12_S16_S17_S18_S1B_S1C_jS1D_jS1E_S1E_jjS1G_bEUljE0_EEESZ_S10_S11_S18_S1C_S1E_T6_T7_T9_mT8_S1G_bDpT10_ENKUlT_T0_E_clISt17integral_constantIbLb0EES1T_IbLb1EEEEDaS1P_S1Q_EUlS1P_E_NS1_11comp_targetILNS1_3genE4ELNS1_11target_archE910ELNS1_3gpuE8ELNS1_3repE0EEENS1_30default_config_static_selectorELNS0_4arch9wavefront6targetE0EEEvS12_: ; @_ZN7rocprim17ROCPRIM_400000_NS6detail17trampoline_kernelINS0_13select_configILj256ELj13ELNS0_17block_load_methodE3ELS4_3ELS4_3ELNS0_20block_scan_algorithmE0ELj4294967295EEENS1_25partition_config_selectorILNS1_17partition_subalgoE4EjNS0_10empty_typeEbEEZZNS1_14partition_implILS8_4ELb0ES6_15HIP_vector_typeIjLj2EENS0_17counting_iteratorIjlEEPS9_SG_NS0_5tupleIJPjSI_NS0_16reverse_iteratorISI_EEEEENSH_IJSG_SG_SG_EEES9_SI_JZNS1_25segmented_radix_sort_implINS0_14default_configELb1EPKbPbPKlPlN2at6native12_GLOBAL__N_18offset_tEEE10hipError_tPvRmT1_PNSt15iterator_traitsIS12_E10value_typeET2_T3_PNS13_IS18_E10value_typeET4_jRbjT5_S1E_jjP12ihipStream_tbEUljE_ZNSN_ISO_Lb1ESQ_SR_ST_SU_SY_EESZ_S10_S11_S12_S16_S17_S18_S1B_S1C_jS1D_jS1E_S1E_jjS1G_bEUljE0_EEESZ_S10_S11_S18_S1C_S1E_T6_T7_T9_mT8_S1G_bDpT10_ENKUlT_T0_E_clISt17integral_constantIbLb0EES1T_IbLb1EEEEDaS1P_S1Q_EUlS1P_E_NS1_11comp_targetILNS1_3genE4ELNS1_11target_archE910ELNS1_3gpuE8ELNS1_3repE0EEENS1_30default_config_static_selectorELNS0_4arch9wavefront6targetE0EEEvS12_
; %bb.0:
	.section	.rodata,"a",@progbits
	.p2align	6, 0x0
	.amdhsa_kernel _ZN7rocprim17ROCPRIM_400000_NS6detail17trampoline_kernelINS0_13select_configILj256ELj13ELNS0_17block_load_methodE3ELS4_3ELS4_3ELNS0_20block_scan_algorithmE0ELj4294967295EEENS1_25partition_config_selectorILNS1_17partition_subalgoE4EjNS0_10empty_typeEbEEZZNS1_14partition_implILS8_4ELb0ES6_15HIP_vector_typeIjLj2EENS0_17counting_iteratorIjlEEPS9_SG_NS0_5tupleIJPjSI_NS0_16reverse_iteratorISI_EEEEENSH_IJSG_SG_SG_EEES9_SI_JZNS1_25segmented_radix_sort_implINS0_14default_configELb1EPKbPbPKlPlN2at6native12_GLOBAL__N_18offset_tEEE10hipError_tPvRmT1_PNSt15iterator_traitsIS12_E10value_typeET2_T3_PNS13_IS18_E10value_typeET4_jRbjT5_S1E_jjP12ihipStream_tbEUljE_ZNSN_ISO_Lb1ESQ_SR_ST_SU_SY_EESZ_S10_S11_S12_S16_S17_S18_S1B_S1C_jS1D_jS1E_S1E_jjS1G_bEUljE0_EEESZ_S10_S11_S18_S1C_S1E_T6_T7_T9_mT8_S1G_bDpT10_ENKUlT_T0_E_clISt17integral_constantIbLb0EES1T_IbLb1EEEEDaS1P_S1Q_EUlS1P_E_NS1_11comp_targetILNS1_3genE4ELNS1_11target_archE910ELNS1_3gpuE8ELNS1_3repE0EEENS1_30default_config_static_selectorELNS0_4arch9wavefront6targetE0EEEvS12_
		.amdhsa_group_segment_fixed_size 0
		.amdhsa_private_segment_fixed_size 0
		.amdhsa_kernarg_size 184
		.amdhsa_user_sgpr_count 15
		.amdhsa_user_sgpr_dispatch_ptr 0
		.amdhsa_user_sgpr_queue_ptr 0
		.amdhsa_user_sgpr_kernarg_segment_ptr 1
		.amdhsa_user_sgpr_dispatch_id 0
		.amdhsa_user_sgpr_private_segment_size 0
		.amdhsa_wavefront_size32 1
		.amdhsa_uses_dynamic_stack 0
		.amdhsa_enable_private_segment 0
		.amdhsa_system_sgpr_workgroup_id_x 1
		.amdhsa_system_sgpr_workgroup_id_y 0
		.amdhsa_system_sgpr_workgroup_id_z 0
		.amdhsa_system_sgpr_workgroup_info 0
		.amdhsa_system_vgpr_workitem_id 0
		.amdhsa_next_free_vgpr 1
		.amdhsa_next_free_sgpr 1
		.amdhsa_reserve_vcc 0
		.amdhsa_float_round_mode_32 0
		.amdhsa_float_round_mode_16_64 0
		.amdhsa_float_denorm_mode_32 3
		.amdhsa_float_denorm_mode_16_64 3
		.amdhsa_dx10_clamp 1
		.amdhsa_ieee_mode 1
		.amdhsa_fp16_overflow 0
		.amdhsa_workgroup_processor_mode 1
		.amdhsa_memory_ordered 1
		.amdhsa_forward_progress 0
		.amdhsa_shared_vgpr_count 0
		.amdhsa_exception_fp_ieee_invalid_op 0
		.amdhsa_exception_fp_denorm_src 0
		.amdhsa_exception_fp_ieee_div_zero 0
		.amdhsa_exception_fp_ieee_overflow 0
		.amdhsa_exception_fp_ieee_underflow 0
		.amdhsa_exception_fp_ieee_inexact 0
		.amdhsa_exception_int_div_zero 0
	.end_amdhsa_kernel
	.section	.text._ZN7rocprim17ROCPRIM_400000_NS6detail17trampoline_kernelINS0_13select_configILj256ELj13ELNS0_17block_load_methodE3ELS4_3ELS4_3ELNS0_20block_scan_algorithmE0ELj4294967295EEENS1_25partition_config_selectorILNS1_17partition_subalgoE4EjNS0_10empty_typeEbEEZZNS1_14partition_implILS8_4ELb0ES6_15HIP_vector_typeIjLj2EENS0_17counting_iteratorIjlEEPS9_SG_NS0_5tupleIJPjSI_NS0_16reverse_iteratorISI_EEEEENSH_IJSG_SG_SG_EEES9_SI_JZNS1_25segmented_radix_sort_implINS0_14default_configELb1EPKbPbPKlPlN2at6native12_GLOBAL__N_18offset_tEEE10hipError_tPvRmT1_PNSt15iterator_traitsIS12_E10value_typeET2_T3_PNS13_IS18_E10value_typeET4_jRbjT5_S1E_jjP12ihipStream_tbEUljE_ZNSN_ISO_Lb1ESQ_SR_ST_SU_SY_EESZ_S10_S11_S12_S16_S17_S18_S1B_S1C_jS1D_jS1E_S1E_jjS1G_bEUljE0_EEESZ_S10_S11_S18_S1C_S1E_T6_T7_T9_mT8_S1G_bDpT10_ENKUlT_T0_E_clISt17integral_constantIbLb0EES1T_IbLb1EEEEDaS1P_S1Q_EUlS1P_E_NS1_11comp_targetILNS1_3genE4ELNS1_11target_archE910ELNS1_3gpuE8ELNS1_3repE0EEENS1_30default_config_static_selectorELNS0_4arch9wavefront6targetE0EEEvS12_,"axG",@progbits,_ZN7rocprim17ROCPRIM_400000_NS6detail17trampoline_kernelINS0_13select_configILj256ELj13ELNS0_17block_load_methodE3ELS4_3ELS4_3ELNS0_20block_scan_algorithmE0ELj4294967295EEENS1_25partition_config_selectorILNS1_17partition_subalgoE4EjNS0_10empty_typeEbEEZZNS1_14partition_implILS8_4ELb0ES6_15HIP_vector_typeIjLj2EENS0_17counting_iteratorIjlEEPS9_SG_NS0_5tupleIJPjSI_NS0_16reverse_iteratorISI_EEEEENSH_IJSG_SG_SG_EEES9_SI_JZNS1_25segmented_radix_sort_implINS0_14default_configELb1EPKbPbPKlPlN2at6native12_GLOBAL__N_18offset_tEEE10hipError_tPvRmT1_PNSt15iterator_traitsIS12_E10value_typeET2_T3_PNS13_IS18_E10value_typeET4_jRbjT5_S1E_jjP12ihipStream_tbEUljE_ZNSN_ISO_Lb1ESQ_SR_ST_SU_SY_EESZ_S10_S11_S12_S16_S17_S18_S1B_S1C_jS1D_jS1E_S1E_jjS1G_bEUljE0_EEESZ_S10_S11_S18_S1C_S1E_T6_T7_T9_mT8_S1G_bDpT10_ENKUlT_T0_E_clISt17integral_constantIbLb0EES1T_IbLb1EEEEDaS1P_S1Q_EUlS1P_E_NS1_11comp_targetILNS1_3genE4ELNS1_11target_archE910ELNS1_3gpuE8ELNS1_3repE0EEENS1_30default_config_static_selectorELNS0_4arch9wavefront6targetE0EEEvS12_,comdat
.Lfunc_end1494:
	.size	_ZN7rocprim17ROCPRIM_400000_NS6detail17trampoline_kernelINS0_13select_configILj256ELj13ELNS0_17block_load_methodE3ELS4_3ELS4_3ELNS0_20block_scan_algorithmE0ELj4294967295EEENS1_25partition_config_selectorILNS1_17partition_subalgoE4EjNS0_10empty_typeEbEEZZNS1_14partition_implILS8_4ELb0ES6_15HIP_vector_typeIjLj2EENS0_17counting_iteratorIjlEEPS9_SG_NS0_5tupleIJPjSI_NS0_16reverse_iteratorISI_EEEEENSH_IJSG_SG_SG_EEES9_SI_JZNS1_25segmented_radix_sort_implINS0_14default_configELb1EPKbPbPKlPlN2at6native12_GLOBAL__N_18offset_tEEE10hipError_tPvRmT1_PNSt15iterator_traitsIS12_E10value_typeET2_T3_PNS13_IS18_E10value_typeET4_jRbjT5_S1E_jjP12ihipStream_tbEUljE_ZNSN_ISO_Lb1ESQ_SR_ST_SU_SY_EESZ_S10_S11_S12_S16_S17_S18_S1B_S1C_jS1D_jS1E_S1E_jjS1G_bEUljE0_EEESZ_S10_S11_S18_S1C_S1E_T6_T7_T9_mT8_S1G_bDpT10_ENKUlT_T0_E_clISt17integral_constantIbLb0EES1T_IbLb1EEEEDaS1P_S1Q_EUlS1P_E_NS1_11comp_targetILNS1_3genE4ELNS1_11target_archE910ELNS1_3gpuE8ELNS1_3repE0EEENS1_30default_config_static_selectorELNS0_4arch9wavefront6targetE0EEEvS12_, .Lfunc_end1494-_ZN7rocprim17ROCPRIM_400000_NS6detail17trampoline_kernelINS0_13select_configILj256ELj13ELNS0_17block_load_methodE3ELS4_3ELS4_3ELNS0_20block_scan_algorithmE0ELj4294967295EEENS1_25partition_config_selectorILNS1_17partition_subalgoE4EjNS0_10empty_typeEbEEZZNS1_14partition_implILS8_4ELb0ES6_15HIP_vector_typeIjLj2EENS0_17counting_iteratorIjlEEPS9_SG_NS0_5tupleIJPjSI_NS0_16reverse_iteratorISI_EEEEENSH_IJSG_SG_SG_EEES9_SI_JZNS1_25segmented_radix_sort_implINS0_14default_configELb1EPKbPbPKlPlN2at6native12_GLOBAL__N_18offset_tEEE10hipError_tPvRmT1_PNSt15iterator_traitsIS12_E10value_typeET2_T3_PNS13_IS18_E10value_typeET4_jRbjT5_S1E_jjP12ihipStream_tbEUljE_ZNSN_ISO_Lb1ESQ_SR_ST_SU_SY_EESZ_S10_S11_S12_S16_S17_S18_S1B_S1C_jS1D_jS1E_S1E_jjS1G_bEUljE0_EEESZ_S10_S11_S18_S1C_S1E_T6_T7_T9_mT8_S1G_bDpT10_ENKUlT_T0_E_clISt17integral_constantIbLb0EES1T_IbLb1EEEEDaS1P_S1Q_EUlS1P_E_NS1_11comp_targetILNS1_3genE4ELNS1_11target_archE910ELNS1_3gpuE8ELNS1_3repE0EEENS1_30default_config_static_selectorELNS0_4arch9wavefront6targetE0EEEvS12_
                                        ; -- End function
	.section	.AMDGPU.csdata,"",@progbits
; Kernel info:
; codeLenInByte = 0
; NumSgprs: 0
; NumVgprs: 0
; ScratchSize: 0
; MemoryBound: 0
; FloatMode: 240
; IeeeMode: 1
; LDSByteSize: 0 bytes/workgroup (compile time only)
; SGPRBlocks: 0
; VGPRBlocks: 0
; NumSGPRsForWavesPerEU: 1
; NumVGPRsForWavesPerEU: 1
; Occupancy: 16
; WaveLimiterHint : 0
; COMPUTE_PGM_RSRC2:SCRATCH_EN: 0
; COMPUTE_PGM_RSRC2:USER_SGPR: 15
; COMPUTE_PGM_RSRC2:TRAP_HANDLER: 0
; COMPUTE_PGM_RSRC2:TGID_X_EN: 1
; COMPUTE_PGM_RSRC2:TGID_Y_EN: 0
; COMPUTE_PGM_RSRC2:TGID_Z_EN: 0
; COMPUTE_PGM_RSRC2:TIDIG_COMP_CNT: 0
	.section	.text._ZN7rocprim17ROCPRIM_400000_NS6detail17trampoline_kernelINS0_13select_configILj256ELj13ELNS0_17block_load_methodE3ELS4_3ELS4_3ELNS0_20block_scan_algorithmE0ELj4294967295EEENS1_25partition_config_selectorILNS1_17partition_subalgoE4EjNS0_10empty_typeEbEEZZNS1_14partition_implILS8_4ELb0ES6_15HIP_vector_typeIjLj2EENS0_17counting_iteratorIjlEEPS9_SG_NS0_5tupleIJPjSI_NS0_16reverse_iteratorISI_EEEEENSH_IJSG_SG_SG_EEES9_SI_JZNS1_25segmented_radix_sort_implINS0_14default_configELb1EPKbPbPKlPlN2at6native12_GLOBAL__N_18offset_tEEE10hipError_tPvRmT1_PNSt15iterator_traitsIS12_E10value_typeET2_T3_PNS13_IS18_E10value_typeET4_jRbjT5_S1E_jjP12ihipStream_tbEUljE_ZNSN_ISO_Lb1ESQ_SR_ST_SU_SY_EESZ_S10_S11_S12_S16_S17_S18_S1B_S1C_jS1D_jS1E_S1E_jjS1G_bEUljE0_EEESZ_S10_S11_S18_S1C_S1E_T6_T7_T9_mT8_S1G_bDpT10_ENKUlT_T0_E_clISt17integral_constantIbLb0EES1T_IbLb1EEEEDaS1P_S1Q_EUlS1P_E_NS1_11comp_targetILNS1_3genE3ELNS1_11target_archE908ELNS1_3gpuE7ELNS1_3repE0EEENS1_30default_config_static_selectorELNS0_4arch9wavefront6targetE0EEEvS12_,"axG",@progbits,_ZN7rocprim17ROCPRIM_400000_NS6detail17trampoline_kernelINS0_13select_configILj256ELj13ELNS0_17block_load_methodE3ELS4_3ELS4_3ELNS0_20block_scan_algorithmE0ELj4294967295EEENS1_25partition_config_selectorILNS1_17partition_subalgoE4EjNS0_10empty_typeEbEEZZNS1_14partition_implILS8_4ELb0ES6_15HIP_vector_typeIjLj2EENS0_17counting_iteratorIjlEEPS9_SG_NS0_5tupleIJPjSI_NS0_16reverse_iteratorISI_EEEEENSH_IJSG_SG_SG_EEES9_SI_JZNS1_25segmented_radix_sort_implINS0_14default_configELb1EPKbPbPKlPlN2at6native12_GLOBAL__N_18offset_tEEE10hipError_tPvRmT1_PNSt15iterator_traitsIS12_E10value_typeET2_T3_PNS13_IS18_E10value_typeET4_jRbjT5_S1E_jjP12ihipStream_tbEUljE_ZNSN_ISO_Lb1ESQ_SR_ST_SU_SY_EESZ_S10_S11_S12_S16_S17_S18_S1B_S1C_jS1D_jS1E_S1E_jjS1G_bEUljE0_EEESZ_S10_S11_S18_S1C_S1E_T6_T7_T9_mT8_S1G_bDpT10_ENKUlT_T0_E_clISt17integral_constantIbLb0EES1T_IbLb1EEEEDaS1P_S1Q_EUlS1P_E_NS1_11comp_targetILNS1_3genE3ELNS1_11target_archE908ELNS1_3gpuE7ELNS1_3repE0EEENS1_30default_config_static_selectorELNS0_4arch9wavefront6targetE0EEEvS12_,comdat
	.globl	_ZN7rocprim17ROCPRIM_400000_NS6detail17trampoline_kernelINS0_13select_configILj256ELj13ELNS0_17block_load_methodE3ELS4_3ELS4_3ELNS0_20block_scan_algorithmE0ELj4294967295EEENS1_25partition_config_selectorILNS1_17partition_subalgoE4EjNS0_10empty_typeEbEEZZNS1_14partition_implILS8_4ELb0ES6_15HIP_vector_typeIjLj2EENS0_17counting_iteratorIjlEEPS9_SG_NS0_5tupleIJPjSI_NS0_16reverse_iteratorISI_EEEEENSH_IJSG_SG_SG_EEES9_SI_JZNS1_25segmented_radix_sort_implINS0_14default_configELb1EPKbPbPKlPlN2at6native12_GLOBAL__N_18offset_tEEE10hipError_tPvRmT1_PNSt15iterator_traitsIS12_E10value_typeET2_T3_PNS13_IS18_E10value_typeET4_jRbjT5_S1E_jjP12ihipStream_tbEUljE_ZNSN_ISO_Lb1ESQ_SR_ST_SU_SY_EESZ_S10_S11_S12_S16_S17_S18_S1B_S1C_jS1D_jS1E_S1E_jjS1G_bEUljE0_EEESZ_S10_S11_S18_S1C_S1E_T6_T7_T9_mT8_S1G_bDpT10_ENKUlT_T0_E_clISt17integral_constantIbLb0EES1T_IbLb1EEEEDaS1P_S1Q_EUlS1P_E_NS1_11comp_targetILNS1_3genE3ELNS1_11target_archE908ELNS1_3gpuE7ELNS1_3repE0EEENS1_30default_config_static_selectorELNS0_4arch9wavefront6targetE0EEEvS12_ ; -- Begin function _ZN7rocprim17ROCPRIM_400000_NS6detail17trampoline_kernelINS0_13select_configILj256ELj13ELNS0_17block_load_methodE3ELS4_3ELS4_3ELNS0_20block_scan_algorithmE0ELj4294967295EEENS1_25partition_config_selectorILNS1_17partition_subalgoE4EjNS0_10empty_typeEbEEZZNS1_14partition_implILS8_4ELb0ES6_15HIP_vector_typeIjLj2EENS0_17counting_iteratorIjlEEPS9_SG_NS0_5tupleIJPjSI_NS0_16reverse_iteratorISI_EEEEENSH_IJSG_SG_SG_EEES9_SI_JZNS1_25segmented_radix_sort_implINS0_14default_configELb1EPKbPbPKlPlN2at6native12_GLOBAL__N_18offset_tEEE10hipError_tPvRmT1_PNSt15iterator_traitsIS12_E10value_typeET2_T3_PNS13_IS18_E10value_typeET4_jRbjT5_S1E_jjP12ihipStream_tbEUljE_ZNSN_ISO_Lb1ESQ_SR_ST_SU_SY_EESZ_S10_S11_S12_S16_S17_S18_S1B_S1C_jS1D_jS1E_S1E_jjS1G_bEUljE0_EEESZ_S10_S11_S18_S1C_S1E_T6_T7_T9_mT8_S1G_bDpT10_ENKUlT_T0_E_clISt17integral_constantIbLb0EES1T_IbLb1EEEEDaS1P_S1Q_EUlS1P_E_NS1_11comp_targetILNS1_3genE3ELNS1_11target_archE908ELNS1_3gpuE7ELNS1_3repE0EEENS1_30default_config_static_selectorELNS0_4arch9wavefront6targetE0EEEvS12_
	.p2align	8
	.type	_ZN7rocprim17ROCPRIM_400000_NS6detail17trampoline_kernelINS0_13select_configILj256ELj13ELNS0_17block_load_methodE3ELS4_3ELS4_3ELNS0_20block_scan_algorithmE0ELj4294967295EEENS1_25partition_config_selectorILNS1_17partition_subalgoE4EjNS0_10empty_typeEbEEZZNS1_14partition_implILS8_4ELb0ES6_15HIP_vector_typeIjLj2EENS0_17counting_iteratorIjlEEPS9_SG_NS0_5tupleIJPjSI_NS0_16reverse_iteratorISI_EEEEENSH_IJSG_SG_SG_EEES9_SI_JZNS1_25segmented_radix_sort_implINS0_14default_configELb1EPKbPbPKlPlN2at6native12_GLOBAL__N_18offset_tEEE10hipError_tPvRmT1_PNSt15iterator_traitsIS12_E10value_typeET2_T3_PNS13_IS18_E10value_typeET4_jRbjT5_S1E_jjP12ihipStream_tbEUljE_ZNSN_ISO_Lb1ESQ_SR_ST_SU_SY_EESZ_S10_S11_S12_S16_S17_S18_S1B_S1C_jS1D_jS1E_S1E_jjS1G_bEUljE0_EEESZ_S10_S11_S18_S1C_S1E_T6_T7_T9_mT8_S1G_bDpT10_ENKUlT_T0_E_clISt17integral_constantIbLb0EES1T_IbLb1EEEEDaS1P_S1Q_EUlS1P_E_NS1_11comp_targetILNS1_3genE3ELNS1_11target_archE908ELNS1_3gpuE7ELNS1_3repE0EEENS1_30default_config_static_selectorELNS0_4arch9wavefront6targetE0EEEvS12_,@function
_ZN7rocprim17ROCPRIM_400000_NS6detail17trampoline_kernelINS0_13select_configILj256ELj13ELNS0_17block_load_methodE3ELS4_3ELS4_3ELNS0_20block_scan_algorithmE0ELj4294967295EEENS1_25partition_config_selectorILNS1_17partition_subalgoE4EjNS0_10empty_typeEbEEZZNS1_14partition_implILS8_4ELb0ES6_15HIP_vector_typeIjLj2EENS0_17counting_iteratorIjlEEPS9_SG_NS0_5tupleIJPjSI_NS0_16reverse_iteratorISI_EEEEENSH_IJSG_SG_SG_EEES9_SI_JZNS1_25segmented_radix_sort_implINS0_14default_configELb1EPKbPbPKlPlN2at6native12_GLOBAL__N_18offset_tEEE10hipError_tPvRmT1_PNSt15iterator_traitsIS12_E10value_typeET2_T3_PNS13_IS18_E10value_typeET4_jRbjT5_S1E_jjP12ihipStream_tbEUljE_ZNSN_ISO_Lb1ESQ_SR_ST_SU_SY_EESZ_S10_S11_S12_S16_S17_S18_S1B_S1C_jS1D_jS1E_S1E_jjS1G_bEUljE0_EEESZ_S10_S11_S18_S1C_S1E_T6_T7_T9_mT8_S1G_bDpT10_ENKUlT_T0_E_clISt17integral_constantIbLb0EES1T_IbLb1EEEEDaS1P_S1Q_EUlS1P_E_NS1_11comp_targetILNS1_3genE3ELNS1_11target_archE908ELNS1_3gpuE7ELNS1_3repE0EEENS1_30default_config_static_selectorELNS0_4arch9wavefront6targetE0EEEvS12_: ; @_ZN7rocprim17ROCPRIM_400000_NS6detail17trampoline_kernelINS0_13select_configILj256ELj13ELNS0_17block_load_methodE3ELS4_3ELS4_3ELNS0_20block_scan_algorithmE0ELj4294967295EEENS1_25partition_config_selectorILNS1_17partition_subalgoE4EjNS0_10empty_typeEbEEZZNS1_14partition_implILS8_4ELb0ES6_15HIP_vector_typeIjLj2EENS0_17counting_iteratorIjlEEPS9_SG_NS0_5tupleIJPjSI_NS0_16reverse_iteratorISI_EEEEENSH_IJSG_SG_SG_EEES9_SI_JZNS1_25segmented_radix_sort_implINS0_14default_configELb1EPKbPbPKlPlN2at6native12_GLOBAL__N_18offset_tEEE10hipError_tPvRmT1_PNSt15iterator_traitsIS12_E10value_typeET2_T3_PNS13_IS18_E10value_typeET4_jRbjT5_S1E_jjP12ihipStream_tbEUljE_ZNSN_ISO_Lb1ESQ_SR_ST_SU_SY_EESZ_S10_S11_S12_S16_S17_S18_S1B_S1C_jS1D_jS1E_S1E_jjS1G_bEUljE0_EEESZ_S10_S11_S18_S1C_S1E_T6_T7_T9_mT8_S1G_bDpT10_ENKUlT_T0_E_clISt17integral_constantIbLb0EES1T_IbLb1EEEEDaS1P_S1Q_EUlS1P_E_NS1_11comp_targetILNS1_3genE3ELNS1_11target_archE908ELNS1_3gpuE7ELNS1_3repE0EEENS1_30default_config_static_selectorELNS0_4arch9wavefront6targetE0EEEvS12_
; %bb.0:
	.section	.rodata,"a",@progbits
	.p2align	6, 0x0
	.amdhsa_kernel _ZN7rocprim17ROCPRIM_400000_NS6detail17trampoline_kernelINS0_13select_configILj256ELj13ELNS0_17block_load_methodE3ELS4_3ELS4_3ELNS0_20block_scan_algorithmE0ELj4294967295EEENS1_25partition_config_selectorILNS1_17partition_subalgoE4EjNS0_10empty_typeEbEEZZNS1_14partition_implILS8_4ELb0ES6_15HIP_vector_typeIjLj2EENS0_17counting_iteratorIjlEEPS9_SG_NS0_5tupleIJPjSI_NS0_16reverse_iteratorISI_EEEEENSH_IJSG_SG_SG_EEES9_SI_JZNS1_25segmented_radix_sort_implINS0_14default_configELb1EPKbPbPKlPlN2at6native12_GLOBAL__N_18offset_tEEE10hipError_tPvRmT1_PNSt15iterator_traitsIS12_E10value_typeET2_T3_PNS13_IS18_E10value_typeET4_jRbjT5_S1E_jjP12ihipStream_tbEUljE_ZNSN_ISO_Lb1ESQ_SR_ST_SU_SY_EESZ_S10_S11_S12_S16_S17_S18_S1B_S1C_jS1D_jS1E_S1E_jjS1G_bEUljE0_EEESZ_S10_S11_S18_S1C_S1E_T6_T7_T9_mT8_S1G_bDpT10_ENKUlT_T0_E_clISt17integral_constantIbLb0EES1T_IbLb1EEEEDaS1P_S1Q_EUlS1P_E_NS1_11comp_targetILNS1_3genE3ELNS1_11target_archE908ELNS1_3gpuE7ELNS1_3repE0EEENS1_30default_config_static_selectorELNS0_4arch9wavefront6targetE0EEEvS12_
		.amdhsa_group_segment_fixed_size 0
		.amdhsa_private_segment_fixed_size 0
		.amdhsa_kernarg_size 184
		.amdhsa_user_sgpr_count 15
		.amdhsa_user_sgpr_dispatch_ptr 0
		.amdhsa_user_sgpr_queue_ptr 0
		.amdhsa_user_sgpr_kernarg_segment_ptr 1
		.amdhsa_user_sgpr_dispatch_id 0
		.amdhsa_user_sgpr_private_segment_size 0
		.amdhsa_wavefront_size32 1
		.amdhsa_uses_dynamic_stack 0
		.amdhsa_enable_private_segment 0
		.amdhsa_system_sgpr_workgroup_id_x 1
		.amdhsa_system_sgpr_workgroup_id_y 0
		.amdhsa_system_sgpr_workgroup_id_z 0
		.amdhsa_system_sgpr_workgroup_info 0
		.amdhsa_system_vgpr_workitem_id 0
		.amdhsa_next_free_vgpr 1
		.amdhsa_next_free_sgpr 1
		.amdhsa_reserve_vcc 0
		.amdhsa_float_round_mode_32 0
		.amdhsa_float_round_mode_16_64 0
		.amdhsa_float_denorm_mode_32 3
		.amdhsa_float_denorm_mode_16_64 3
		.amdhsa_dx10_clamp 1
		.amdhsa_ieee_mode 1
		.amdhsa_fp16_overflow 0
		.amdhsa_workgroup_processor_mode 1
		.amdhsa_memory_ordered 1
		.amdhsa_forward_progress 0
		.amdhsa_shared_vgpr_count 0
		.amdhsa_exception_fp_ieee_invalid_op 0
		.amdhsa_exception_fp_denorm_src 0
		.amdhsa_exception_fp_ieee_div_zero 0
		.amdhsa_exception_fp_ieee_overflow 0
		.amdhsa_exception_fp_ieee_underflow 0
		.amdhsa_exception_fp_ieee_inexact 0
		.amdhsa_exception_int_div_zero 0
	.end_amdhsa_kernel
	.section	.text._ZN7rocprim17ROCPRIM_400000_NS6detail17trampoline_kernelINS0_13select_configILj256ELj13ELNS0_17block_load_methodE3ELS4_3ELS4_3ELNS0_20block_scan_algorithmE0ELj4294967295EEENS1_25partition_config_selectorILNS1_17partition_subalgoE4EjNS0_10empty_typeEbEEZZNS1_14partition_implILS8_4ELb0ES6_15HIP_vector_typeIjLj2EENS0_17counting_iteratorIjlEEPS9_SG_NS0_5tupleIJPjSI_NS0_16reverse_iteratorISI_EEEEENSH_IJSG_SG_SG_EEES9_SI_JZNS1_25segmented_radix_sort_implINS0_14default_configELb1EPKbPbPKlPlN2at6native12_GLOBAL__N_18offset_tEEE10hipError_tPvRmT1_PNSt15iterator_traitsIS12_E10value_typeET2_T3_PNS13_IS18_E10value_typeET4_jRbjT5_S1E_jjP12ihipStream_tbEUljE_ZNSN_ISO_Lb1ESQ_SR_ST_SU_SY_EESZ_S10_S11_S12_S16_S17_S18_S1B_S1C_jS1D_jS1E_S1E_jjS1G_bEUljE0_EEESZ_S10_S11_S18_S1C_S1E_T6_T7_T9_mT8_S1G_bDpT10_ENKUlT_T0_E_clISt17integral_constantIbLb0EES1T_IbLb1EEEEDaS1P_S1Q_EUlS1P_E_NS1_11comp_targetILNS1_3genE3ELNS1_11target_archE908ELNS1_3gpuE7ELNS1_3repE0EEENS1_30default_config_static_selectorELNS0_4arch9wavefront6targetE0EEEvS12_,"axG",@progbits,_ZN7rocprim17ROCPRIM_400000_NS6detail17trampoline_kernelINS0_13select_configILj256ELj13ELNS0_17block_load_methodE3ELS4_3ELS4_3ELNS0_20block_scan_algorithmE0ELj4294967295EEENS1_25partition_config_selectorILNS1_17partition_subalgoE4EjNS0_10empty_typeEbEEZZNS1_14partition_implILS8_4ELb0ES6_15HIP_vector_typeIjLj2EENS0_17counting_iteratorIjlEEPS9_SG_NS0_5tupleIJPjSI_NS0_16reverse_iteratorISI_EEEEENSH_IJSG_SG_SG_EEES9_SI_JZNS1_25segmented_radix_sort_implINS0_14default_configELb1EPKbPbPKlPlN2at6native12_GLOBAL__N_18offset_tEEE10hipError_tPvRmT1_PNSt15iterator_traitsIS12_E10value_typeET2_T3_PNS13_IS18_E10value_typeET4_jRbjT5_S1E_jjP12ihipStream_tbEUljE_ZNSN_ISO_Lb1ESQ_SR_ST_SU_SY_EESZ_S10_S11_S12_S16_S17_S18_S1B_S1C_jS1D_jS1E_S1E_jjS1G_bEUljE0_EEESZ_S10_S11_S18_S1C_S1E_T6_T7_T9_mT8_S1G_bDpT10_ENKUlT_T0_E_clISt17integral_constantIbLb0EES1T_IbLb1EEEEDaS1P_S1Q_EUlS1P_E_NS1_11comp_targetILNS1_3genE3ELNS1_11target_archE908ELNS1_3gpuE7ELNS1_3repE0EEENS1_30default_config_static_selectorELNS0_4arch9wavefront6targetE0EEEvS12_,comdat
.Lfunc_end1495:
	.size	_ZN7rocprim17ROCPRIM_400000_NS6detail17trampoline_kernelINS0_13select_configILj256ELj13ELNS0_17block_load_methodE3ELS4_3ELS4_3ELNS0_20block_scan_algorithmE0ELj4294967295EEENS1_25partition_config_selectorILNS1_17partition_subalgoE4EjNS0_10empty_typeEbEEZZNS1_14partition_implILS8_4ELb0ES6_15HIP_vector_typeIjLj2EENS0_17counting_iteratorIjlEEPS9_SG_NS0_5tupleIJPjSI_NS0_16reverse_iteratorISI_EEEEENSH_IJSG_SG_SG_EEES9_SI_JZNS1_25segmented_radix_sort_implINS0_14default_configELb1EPKbPbPKlPlN2at6native12_GLOBAL__N_18offset_tEEE10hipError_tPvRmT1_PNSt15iterator_traitsIS12_E10value_typeET2_T3_PNS13_IS18_E10value_typeET4_jRbjT5_S1E_jjP12ihipStream_tbEUljE_ZNSN_ISO_Lb1ESQ_SR_ST_SU_SY_EESZ_S10_S11_S12_S16_S17_S18_S1B_S1C_jS1D_jS1E_S1E_jjS1G_bEUljE0_EEESZ_S10_S11_S18_S1C_S1E_T6_T7_T9_mT8_S1G_bDpT10_ENKUlT_T0_E_clISt17integral_constantIbLb0EES1T_IbLb1EEEEDaS1P_S1Q_EUlS1P_E_NS1_11comp_targetILNS1_3genE3ELNS1_11target_archE908ELNS1_3gpuE7ELNS1_3repE0EEENS1_30default_config_static_selectorELNS0_4arch9wavefront6targetE0EEEvS12_, .Lfunc_end1495-_ZN7rocprim17ROCPRIM_400000_NS6detail17trampoline_kernelINS0_13select_configILj256ELj13ELNS0_17block_load_methodE3ELS4_3ELS4_3ELNS0_20block_scan_algorithmE0ELj4294967295EEENS1_25partition_config_selectorILNS1_17partition_subalgoE4EjNS0_10empty_typeEbEEZZNS1_14partition_implILS8_4ELb0ES6_15HIP_vector_typeIjLj2EENS0_17counting_iteratorIjlEEPS9_SG_NS0_5tupleIJPjSI_NS0_16reverse_iteratorISI_EEEEENSH_IJSG_SG_SG_EEES9_SI_JZNS1_25segmented_radix_sort_implINS0_14default_configELb1EPKbPbPKlPlN2at6native12_GLOBAL__N_18offset_tEEE10hipError_tPvRmT1_PNSt15iterator_traitsIS12_E10value_typeET2_T3_PNS13_IS18_E10value_typeET4_jRbjT5_S1E_jjP12ihipStream_tbEUljE_ZNSN_ISO_Lb1ESQ_SR_ST_SU_SY_EESZ_S10_S11_S12_S16_S17_S18_S1B_S1C_jS1D_jS1E_S1E_jjS1G_bEUljE0_EEESZ_S10_S11_S18_S1C_S1E_T6_T7_T9_mT8_S1G_bDpT10_ENKUlT_T0_E_clISt17integral_constantIbLb0EES1T_IbLb1EEEEDaS1P_S1Q_EUlS1P_E_NS1_11comp_targetILNS1_3genE3ELNS1_11target_archE908ELNS1_3gpuE7ELNS1_3repE0EEENS1_30default_config_static_selectorELNS0_4arch9wavefront6targetE0EEEvS12_
                                        ; -- End function
	.section	.AMDGPU.csdata,"",@progbits
; Kernel info:
; codeLenInByte = 0
; NumSgprs: 0
; NumVgprs: 0
; ScratchSize: 0
; MemoryBound: 0
; FloatMode: 240
; IeeeMode: 1
; LDSByteSize: 0 bytes/workgroup (compile time only)
; SGPRBlocks: 0
; VGPRBlocks: 0
; NumSGPRsForWavesPerEU: 1
; NumVGPRsForWavesPerEU: 1
; Occupancy: 16
; WaveLimiterHint : 0
; COMPUTE_PGM_RSRC2:SCRATCH_EN: 0
; COMPUTE_PGM_RSRC2:USER_SGPR: 15
; COMPUTE_PGM_RSRC2:TRAP_HANDLER: 0
; COMPUTE_PGM_RSRC2:TGID_X_EN: 1
; COMPUTE_PGM_RSRC2:TGID_Y_EN: 0
; COMPUTE_PGM_RSRC2:TGID_Z_EN: 0
; COMPUTE_PGM_RSRC2:TIDIG_COMP_CNT: 0
	.section	.text._ZN7rocprim17ROCPRIM_400000_NS6detail17trampoline_kernelINS0_13select_configILj256ELj13ELNS0_17block_load_methodE3ELS4_3ELS4_3ELNS0_20block_scan_algorithmE0ELj4294967295EEENS1_25partition_config_selectorILNS1_17partition_subalgoE4EjNS0_10empty_typeEbEEZZNS1_14partition_implILS8_4ELb0ES6_15HIP_vector_typeIjLj2EENS0_17counting_iteratorIjlEEPS9_SG_NS0_5tupleIJPjSI_NS0_16reverse_iteratorISI_EEEEENSH_IJSG_SG_SG_EEES9_SI_JZNS1_25segmented_radix_sort_implINS0_14default_configELb1EPKbPbPKlPlN2at6native12_GLOBAL__N_18offset_tEEE10hipError_tPvRmT1_PNSt15iterator_traitsIS12_E10value_typeET2_T3_PNS13_IS18_E10value_typeET4_jRbjT5_S1E_jjP12ihipStream_tbEUljE_ZNSN_ISO_Lb1ESQ_SR_ST_SU_SY_EESZ_S10_S11_S12_S16_S17_S18_S1B_S1C_jS1D_jS1E_S1E_jjS1G_bEUljE0_EEESZ_S10_S11_S18_S1C_S1E_T6_T7_T9_mT8_S1G_bDpT10_ENKUlT_T0_E_clISt17integral_constantIbLb0EES1T_IbLb1EEEEDaS1P_S1Q_EUlS1P_E_NS1_11comp_targetILNS1_3genE2ELNS1_11target_archE906ELNS1_3gpuE6ELNS1_3repE0EEENS1_30default_config_static_selectorELNS0_4arch9wavefront6targetE0EEEvS12_,"axG",@progbits,_ZN7rocprim17ROCPRIM_400000_NS6detail17trampoline_kernelINS0_13select_configILj256ELj13ELNS0_17block_load_methodE3ELS4_3ELS4_3ELNS0_20block_scan_algorithmE0ELj4294967295EEENS1_25partition_config_selectorILNS1_17partition_subalgoE4EjNS0_10empty_typeEbEEZZNS1_14partition_implILS8_4ELb0ES6_15HIP_vector_typeIjLj2EENS0_17counting_iteratorIjlEEPS9_SG_NS0_5tupleIJPjSI_NS0_16reverse_iteratorISI_EEEEENSH_IJSG_SG_SG_EEES9_SI_JZNS1_25segmented_radix_sort_implINS0_14default_configELb1EPKbPbPKlPlN2at6native12_GLOBAL__N_18offset_tEEE10hipError_tPvRmT1_PNSt15iterator_traitsIS12_E10value_typeET2_T3_PNS13_IS18_E10value_typeET4_jRbjT5_S1E_jjP12ihipStream_tbEUljE_ZNSN_ISO_Lb1ESQ_SR_ST_SU_SY_EESZ_S10_S11_S12_S16_S17_S18_S1B_S1C_jS1D_jS1E_S1E_jjS1G_bEUljE0_EEESZ_S10_S11_S18_S1C_S1E_T6_T7_T9_mT8_S1G_bDpT10_ENKUlT_T0_E_clISt17integral_constantIbLb0EES1T_IbLb1EEEEDaS1P_S1Q_EUlS1P_E_NS1_11comp_targetILNS1_3genE2ELNS1_11target_archE906ELNS1_3gpuE6ELNS1_3repE0EEENS1_30default_config_static_selectorELNS0_4arch9wavefront6targetE0EEEvS12_,comdat
	.globl	_ZN7rocprim17ROCPRIM_400000_NS6detail17trampoline_kernelINS0_13select_configILj256ELj13ELNS0_17block_load_methodE3ELS4_3ELS4_3ELNS0_20block_scan_algorithmE0ELj4294967295EEENS1_25partition_config_selectorILNS1_17partition_subalgoE4EjNS0_10empty_typeEbEEZZNS1_14partition_implILS8_4ELb0ES6_15HIP_vector_typeIjLj2EENS0_17counting_iteratorIjlEEPS9_SG_NS0_5tupleIJPjSI_NS0_16reverse_iteratorISI_EEEEENSH_IJSG_SG_SG_EEES9_SI_JZNS1_25segmented_radix_sort_implINS0_14default_configELb1EPKbPbPKlPlN2at6native12_GLOBAL__N_18offset_tEEE10hipError_tPvRmT1_PNSt15iterator_traitsIS12_E10value_typeET2_T3_PNS13_IS18_E10value_typeET4_jRbjT5_S1E_jjP12ihipStream_tbEUljE_ZNSN_ISO_Lb1ESQ_SR_ST_SU_SY_EESZ_S10_S11_S12_S16_S17_S18_S1B_S1C_jS1D_jS1E_S1E_jjS1G_bEUljE0_EEESZ_S10_S11_S18_S1C_S1E_T6_T7_T9_mT8_S1G_bDpT10_ENKUlT_T0_E_clISt17integral_constantIbLb0EES1T_IbLb1EEEEDaS1P_S1Q_EUlS1P_E_NS1_11comp_targetILNS1_3genE2ELNS1_11target_archE906ELNS1_3gpuE6ELNS1_3repE0EEENS1_30default_config_static_selectorELNS0_4arch9wavefront6targetE0EEEvS12_ ; -- Begin function _ZN7rocprim17ROCPRIM_400000_NS6detail17trampoline_kernelINS0_13select_configILj256ELj13ELNS0_17block_load_methodE3ELS4_3ELS4_3ELNS0_20block_scan_algorithmE0ELj4294967295EEENS1_25partition_config_selectorILNS1_17partition_subalgoE4EjNS0_10empty_typeEbEEZZNS1_14partition_implILS8_4ELb0ES6_15HIP_vector_typeIjLj2EENS0_17counting_iteratorIjlEEPS9_SG_NS0_5tupleIJPjSI_NS0_16reverse_iteratorISI_EEEEENSH_IJSG_SG_SG_EEES9_SI_JZNS1_25segmented_radix_sort_implINS0_14default_configELb1EPKbPbPKlPlN2at6native12_GLOBAL__N_18offset_tEEE10hipError_tPvRmT1_PNSt15iterator_traitsIS12_E10value_typeET2_T3_PNS13_IS18_E10value_typeET4_jRbjT5_S1E_jjP12ihipStream_tbEUljE_ZNSN_ISO_Lb1ESQ_SR_ST_SU_SY_EESZ_S10_S11_S12_S16_S17_S18_S1B_S1C_jS1D_jS1E_S1E_jjS1G_bEUljE0_EEESZ_S10_S11_S18_S1C_S1E_T6_T7_T9_mT8_S1G_bDpT10_ENKUlT_T0_E_clISt17integral_constantIbLb0EES1T_IbLb1EEEEDaS1P_S1Q_EUlS1P_E_NS1_11comp_targetILNS1_3genE2ELNS1_11target_archE906ELNS1_3gpuE6ELNS1_3repE0EEENS1_30default_config_static_selectorELNS0_4arch9wavefront6targetE0EEEvS12_
	.p2align	8
	.type	_ZN7rocprim17ROCPRIM_400000_NS6detail17trampoline_kernelINS0_13select_configILj256ELj13ELNS0_17block_load_methodE3ELS4_3ELS4_3ELNS0_20block_scan_algorithmE0ELj4294967295EEENS1_25partition_config_selectorILNS1_17partition_subalgoE4EjNS0_10empty_typeEbEEZZNS1_14partition_implILS8_4ELb0ES6_15HIP_vector_typeIjLj2EENS0_17counting_iteratorIjlEEPS9_SG_NS0_5tupleIJPjSI_NS0_16reverse_iteratorISI_EEEEENSH_IJSG_SG_SG_EEES9_SI_JZNS1_25segmented_radix_sort_implINS0_14default_configELb1EPKbPbPKlPlN2at6native12_GLOBAL__N_18offset_tEEE10hipError_tPvRmT1_PNSt15iterator_traitsIS12_E10value_typeET2_T3_PNS13_IS18_E10value_typeET4_jRbjT5_S1E_jjP12ihipStream_tbEUljE_ZNSN_ISO_Lb1ESQ_SR_ST_SU_SY_EESZ_S10_S11_S12_S16_S17_S18_S1B_S1C_jS1D_jS1E_S1E_jjS1G_bEUljE0_EEESZ_S10_S11_S18_S1C_S1E_T6_T7_T9_mT8_S1G_bDpT10_ENKUlT_T0_E_clISt17integral_constantIbLb0EES1T_IbLb1EEEEDaS1P_S1Q_EUlS1P_E_NS1_11comp_targetILNS1_3genE2ELNS1_11target_archE906ELNS1_3gpuE6ELNS1_3repE0EEENS1_30default_config_static_selectorELNS0_4arch9wavefront6targetE0EEEvS12_,@function
_ZN7rocprim17ROCPRIM_400000_NS6detail17trampoline_kernelINS0_13select_configILj256ELj13ELNS0_17block_load_methodE3ELS4_3ELS4_3ELNS0_20block_scan_algorithmE0ELj4294967295EEENS1_25partition_config_selectorILNS1_17partition_subalgoE4EjNS0_10empty_typeEbEEZZNS1_14partition_implILS8_4ELb0ES6_15HIP_vector_typeIjLj2EENS0_17counting_iteratorIjlEEPS9_SG_NS0_5tupleIJPjSI_NS0_16reverse_iteratorISI_EEEEENSH_IJSG_SG_SG_EEES9_SI_JZNS1_25segmented_radix_sort_implINS0_14default_configELb1EPKbPbPKlPlN2at6native12_GLOBAL__N_18offset_tEEE10hipError_tPvRmT1_PNSt15iterator_traitsIS12_E10value_typeET2_T3_PNS13_IS18_E10value_typeET4_jRbjT5_S1E_jjP12ihipStream_tbEUljE_ZNSN_ISO_Lb1ESQ_SR_ST_SU_SY_EESZ_S10_S11_S12_S16_S17_S18_S1B_S1C_jS1D_jS1E_S1E_jjS1G_bEUljE0_EEESZ_S10_S11_S18_S1C_S1E_T6_T7_T9_mT8_S1G_bDpT10_ENKUlT_T0_E_clISt17integral_constantIbLb0EES1T_IbLb1EEEEDaS1P_S1Q_EUlS1P_E_NS1_11comp_targetILNS1_3genE2ELNS1_11target_archE906ELNS1_3gpuE6ELNS1_3repE0EEENS1_30default_config_static_selectorELNS0_4arch9wavefront6targetE0EEEvS12_: ; @_ZN7rocprim17ROCPRIM_400000_NS6detail17trampoline_kernelINS0_13select_configILj256ELj13ELNS0_17block_load_methodE3ELS4_3ELS4_3ELNS0_20block_scan_algorithmE0ELj4294967295EEENS1_25partition_config_selectorILNS1_17partition_subalgoE4EjNS0_10empty_typeEbEEZZNS1_14partition_implILS8_4ELb0ES6_15HIP_vector_typeIjLj2EENS0_17counting_iteratorIjlEEPS9_SG_NS0_5tupleIJPjSI_NS0_16reverse_iteratorISI_EEEEENSH_IJSG_SG_SG_EEES9_SI_JZNS1_25segmented_radix_sort_implINS0_14default_configELb1EPKbPbPKlPlN2at6native12_GLOBAL__N_18offset_tEEE10hipError_tPvRmT1_PNSt15iterator_traitsIS12_E10value_typeET2_T3_PNS13_IS18_E10value_typeET4_jRbjT5_S1E_jjP12ihipStream_tbEUljE_ZNSN_ISO_Lb1ESQ_SR_ST_SU_SY_EESZ_S10_S11_S12_S16_S17_S18_S1B_S1C_jS1D_jS1E_S1E_jjS1G_bEUljE0_EEESZ_S10_S11_S18_S1C_S1E_T6_T7_T9_mT8_S1G_bDpT10_ENKUlT_T0_E_clISt17integral_constantIbLb0EES1T_IbLb1EEEEDaS1P_S1Q_EUlS1P_E_NS1_11comp_targetILNS1_3genE2ELNS1_11target_archE906ELNS1_3gpuE6ELNS1_3repE0EEENS1_30default_config_static_selectorELNS0_4arch9wavefront6targetE0EEEvS12_
; %bb.0:
	.section	.rodata,"a",@progbits
	.p2align	6, 0x0
	.amdhsa_kernel _ZN7rocprim17ROCPRIM_400000_NS6detail17trampoline_kernelINS0_13select_configILj256ELj13ELNS0_17block_load_methodE3ELS4_3ELS4_3ELNS0_20block_scan_algorithmE0ELj4294967295EEENS1_25partition_config_selectorILNS1_17partition_subalgoE4EjNS0_10empty_typeEbEEZZNS1_14partition_implILS8_4ELb0ES6_15HIP_vector_typeIjLj2EENS0_17counting_iteratorIjlEEPS9_SG_NS0_5tupleIJPjSI_NS0_16reverse_iteratorISI_EEEEENSH_IJSG_SG_SG_EEES9_SI_JZNS1_25segmented_radix_sort_implINS0_14default_configELb1EPKbPbPKlPlN2at6native12_GLOBAL__N_18offset_tEEE10hipError_tPvRmT1_PNSt15iterator_traitsIS12_E10value_typeET2_T3_PNS13_IS18_E10value_typeET4_jRbjT5_S1E_jjP12ihipStream_tbEUljE_ZNSN_ISO_Lb1ESQ_SR_ST_SU_SY_EESZ_S10_S11_S12_S16_S17_S18_S1B_S1C_jS1D_jS1E_S1E_jjS1G_bEUljE0_EEESZ_S10_S11_S18_S1C_S1E_T6_T7_T9_mT8_S1G_bDpT10_ENKUlT_T0_E_clISt17integral_constantIbLb0EES1T_IbLb1EEEEDaS1P_S1Q_EUlS1P_E_NS1_11comp_targetILNS1_3genE2ELNS1_11target_archE906ELNS1_3gpuE6ELNS1_3repE0EEENS1_30default_config_static_selectorELNS0_4arch9wavefront6targetE0EEEvS12_
		.amdhsa_group_segment_fixed_size 0
		.amdhsa_private_segment_fixed_size 0
		.amdhsa_kernarg_size 184
		.amdhsa_user_sgpr_count 15
		.amdhsa_user_sgpr_dispatch_ptr 0
		.amdhsa_user_sgpr_queue_ptr 0
		.amdhsa_user_sgpr_kernarg_segment_ptr 1
		.amdhsa_user_sgpr_dispatch_id 0
		.amdhsa_user_sgpr_private_segment_size 0
		.amdhsa_wavefront_size32 1
		.amdhsa_uses_dynamic_stack 0
		.amdhsa_enable_private_segment 0
		.amdhsa_system_sgpr_workgroup_id_x 1
		.amdhsa_system_sgpr_workgroup_id_y 0
		.amdhsa_system_sgpr_workgroup_id_z 0
		.amdhsa_system_sgpr_workgroup_info 0
		.amdhsa_system_vgpr_workitem_id 0
		.amdhsa_next_free_vgpr 1
		.amdhsa_next_free_sgpr 1
		.amdhsa_reserve_vcc 0
		.amdhsa_float_round_mode_32 0
		.amdhsa_float_round_mode_16_64 0
		.amdhsa_float_denorm_mode_32 3
		.amdhsa_float_denorm_mode_16_64 3
		.amdhsa_dx10_clamp 1
		.amdhsa_ieee_mode 1
		.amdhsa_fp16_overflow 0
		.amdhsa_workgroup_processor_mode 1
		.amdhsa_memory_ordered 1
		.amdhsa_forward_progress 0
		.amdhsa_shared_vgpr_count 0
		.amdhsa_exception_fp_ieee_invalid_op 0
		.amdhsa_exception_fp_denorm_src 0
		.amdhsa_exception_fp_ieee_div_zero 0
		.amdhsa_exception_fp_ieee_overflow 0
		.amdhsa_exception_fp_ieee_underflow 0
		.amdhsa_exception_fp_ieee_inexact 0
		.amdhsa_exception_int_div_zero 0
	.end_amdhsa_kernel
	.section	.text._ZN7rocprim17ROCPRIM_400000_NS6detail17trampoline_kernelINS0_13select_configILj256ELj13ELNS0_17block_load_methodE3ELS4_3ELS4_3ELNS0_20block_scan_algorithmE0ELj4294967295EEENS1_25partition_config_selectorILNS1_17partition_subalgoE4EjNS0_10empty_typeEbEEZZNS1_14partition_implILS8_4ELb0ES6_15HIP_vector_typeIjLj2EENS0_17counting_iteratorIjlEEPS9_SG_NS0_5tupleIJPjSI_NS0_16reverse_iteratorISI_EEEEENSH_IJSG_SG_SG_EEES9_SI_JZNS1_25segmented_radix_sort_implINS0_14default_configELb1EPKbPbPKlPlN2at6native12_GLOBAL__N_18offset_tEEE10hipError_tPvRmT1_PNSt15iterator_traitsIS12_E10value_typeET2_T3_PNS13_IS18_E10value_typeET4_jRbjT5_S1E_jjP12ihipStream_tbEUljE_ZNSN_ISO_Lb1ESQ_SR_ST_SU_SY_EESZ_S10_S11_S12_S16_S17_S18_S1B_S1C_jS1D_jS1E_S1E_jjS1G_bEUljE0_EEESZ_S10_S11_S18_S1C_S1E_T6_T7_T9_mT8_S1G_bDpT10_ENKUlT_T0_E_clISt17integral_constantIbLb0EES1T_IbLb1EEEEDaS1P_S1Q_EUlS1P_E_NS1_11comp_targetILNS1_3genE2ELNS1_11target_archE906ELNS1_3gpuE6ELNS1_3repE0EEENS1_30default_config_static_selectorELNS0_4arch9wavefront6targetE0EEEvS12_,"axG",@progbits,_ZN7rocprim17ROCPRIM_400000_NS6detail17trampoline_kernelINS0_13select_configILj256ELj13ELNS0_17block_load_methodE3ELS4_3ELS4_3ELNS0_20block_scan_algorithmE0ELj4294967295EEENS1_25partition_config_selectorILNS1_17partition_subalgoE4EjNS0_10empty_typeEbEEZZNS1_14partition_implILS8_4ELb0ES6_15HIP_vector_typeIjLj2EENS0_17counting_iteratorIjlEEPS9_SG_NS0_5tupleIJPjSI_NS0_16reverse_iteratorISI_EEEEENSH_IJSG_SG_SG_EEES9_SI_JZNS1_25segmented_radix_sort_implINS0_14default_configELb1EPKbPbPKlPlN2at6native12_GLOBAL__N_18offset_tEEE10hipError_tPvRmT1_PNSt15iterator_traitsIS12_E10value_typeET2_T3_PNS13_IS18_E10value_typeET4_jRbjT5_S1E_jjP12ihipStream_tbEUljE_ZNSN_ISO_Lb1ESQ_SR_ST_SU_SY_EESZ_S10_S11_S12_S16_S17_S18_S1B_S1C_jS1D_jS1E_S1E_jjS1G_bEUljE0_EEESZ_S10_S11_S18_S1C_S1E_T6_T7_T9_mT8_S1G_bDpT10_ENKUlT_T0_E_clISt17integral_constantIbLb0EES1T_IbLb1EEEEDaS1P_S1Q_EUlS1P_E_NS1_11comp_targetILNS1_3genE2ELNS1_11target_archE906ELNS1_3gpuE6ELNS1_3repE0EEENS1_30default_config_static_selectorELNS0_4arch9wavefront6targetE0EEEvS12_,comdat
.Lfunc_end1496:
	.size	_ZN7rocprim17ROCPRIM_400000_NS6detail17trampoline_kernelINS0_13select_configILj256ELj13ELNS0_17block_load_methodE3ELS4_3ELS4_3ELNS0_20block_scan_algorithmE0ELj4294967295EEENS1_25partition_config_selectorILNS1_17partition_subalgoE4EjNS0_10empty_typeEbEEZZNS1_14partition_implILS8_4ELb0ES6_15HIP_vector_typeIjLj2EENS0_17counting_iteratorIjlEEPS9_SG_NS0_5tupleIJPjSI_NS0_16reverse_iteratorISI_EEEEENSH_IJSG_SG_SG_EEES9_SI_JZNS1_25segmented_radix_sort_implINS0_14default_configELb1EPKbPbPKlPlN2at6native12_GLOBAL__N_18offset_tEEE10hipError_tPvRmT1_PNSt15iterator_traitsIS12_E10value_typeET2_T3_PNS13_IS18_E10value_typeET4_jRbjT5_S1E_jjP12ihipStream_tbEUljE_ZNSN_ISO_Lb1ESQ_SR_ST_SU_SY_EESZ_S10_S11_S12_S16_S17_S18_S1B_S1C_jS1D_jS1E_S1E_jjS1G_bEUljE0_EEESZ_S10_S11_S18_S1C_S1E_T6_T7_T9_mT8_S1G_bDpT10_ENKUlT_T0_E_clISt17integral_constantIbLb0EES1T_IbLb1EEEEDaS1P_S1Q_EUlS1P_E_NS1_11comp_targetILNS1_3genE2ELNS1_11target_archE906ELNS1_3gpuE6ELNS1_3repE0EEENS1_30default_config_static_selectorELNS0_4arch9wavefront6targetE0EEEvS12_, .Lfunc_end1496-_ZN7rocprim17ROCPRIM_400000_NS6detail17trampoline_kernelINS0_13select_configILj256ELj13ELNS0_17block_load_methodE3ELS4_3ELS4_3ELNS0_20block_scan_algorithmE0ELj4294967295EEENS1_25partition_config_selectorILNS1_17partition_subalgoE4EjNS0_10empty_typeEbEEZZNS1_14partition_implILS8_4ELb0ES6_15HIP_vector_typeIjLj2EENS0_17counting_iteratorIjlEEPS9_SG_NS0_5tupleIJPjSI_NS0_16reverse_iteratorISI_EEEEENSH_IJSG_SG_SG_EEES9_SI_JZNS1_25segmented_radix_sort_implINS0_14default_configELb1EPKbPbPKlPlN2at6native12_GLOBAL__N_18offset_tEEE10hipError_tPvRmT1_PNSt15iterator_traitsIS12_E10value_typeET2_T3_PNS13_IS18_E10value_typeET4_jRbjT5_S1E_jjP12ihipStream_tbEUljE_ZNSN_ISO_Lb1ESQ_SR_ST_SU_SY_EESZ_S10_S11_S12_S16_S17_S18_S1B_S1C_jS1D_jS1E_S1E_jjS1G_bEUljE0_EEESZ_S10_S11_S18_S1C_S1E_T6_T7_T9_mT8_S1G_bDpT10_ENKUlT_T0_E_clISt17integral_constantIbLb0EES1T_IbLb1EEEEDaS1P_S1Q_EUlS1P_E_NS1_11comp_targetILNS1_3genE2ELNS1_11target_archE906ELNS1_3gpuE6ELNS1_3repE0EEENS1_30default_config_static_selectorELNS0_4arch9wavefront6targetE0EEEvS12_
                                        ; -- End function
	.section	.AMDGPU.csdata,"",@progbits
; Kernel info:
; codeLenInByte = 0
; NumSgprs: 0
; NumVgprs: 0
; ScratchSize: 0
; MemoryBound: 0
; FloatMode: 240
; IeeeMode: 1
; LDSByteSize: 0 bytes/workgroup (compile time only)
; SGPRBlocks: 0
; VGPRBlocks: 0
; NumSGPRsForWavesPerEU: 1
; NumVGPRsForWavesPerEU: 1
; Occupancy: 16
; WaveLimiterHint : 0
; COMPUTE_PGM_RSRC2:SCRATCH_EN: 0
; COMPUTE_PGM_RSRC2:USER_SGPR: 15
; COMPUTE_PGM_RSRC2:TRAP_HANDLER: 0
; COMPUTE_PGM_RSRC2:TGID_X_EN: 1
; COMPUTE_PGM_RSRC2:TGID_Y_EN: 0
; COMPUTE_PGM_RSRC2:TGID_Z_EN: 0
; COMPUTE_PGM_RSRC2:TIDIG_COMP_CNT: 0
	.section	.text._ZN7rocprim17ROCPRIM_400000_NS6detail17trampoline_kernelINS0_13select_configILj256ELj13ELNS0_17block_load_methodE3ELS4_3ELS4_3ELNS0_20block_scan_algorithmE0ELj4294967295EEENS1_25partition_config_selectorILNS1_17partition_subalgoE4EjNS0_10empty_typeEbEEZZNS1_14partition_implILS8_4ELb0ES6_15HIP_vector_typeIjLj2EENS0_17counting_iteratorIjlEEPS9_SG_NS0_5tupleIJPjSI_NS0_16reverse_iteratorISI_EEEEENSH_IJSG_SG_SG_EEES9_SI_JZNS1_25segmented_radix_sort_implINS0_14default_configELb1EPKbPbPKlPlN2at6native12_GLOBAL__N_18offset_tEEE10hipError_tPvRmT1_PNSt15iterator_traitsIS12_E10value_typeET2_T3_PNS13_IS18_E10value_typeET4_jRbjT5_S1E_jjP12ihipStream_tbEUljE_ZNSN_ISO_Lb1ESQ_SR_ST_SU_SY_EESZ_S10_S11_S12_S16_S17_S18_S1B_S1C_jS1D_jS1E_S1E_jjS1G_bEUljE0_EEESZ_S10_S11_S18_S1C_S1E_T6_T7_T9_mT8_S1G_bDpT10_ENKUlT_T0_E_clISt17integral_constantIbLb0EES1T_IbLb1EEEEDaS1P_S1Q_EUlS1P_E_NS1_11comp_targetILNS1_3genE10ELNS1_11target_archE1200ELNS1_3gpuE4ELNS1_3repE0EEENS1_30default_config_static_selectorELNS0_4arch9wavefront6targetE0EEEvS12_,"axG",@progbits,_ZN7rocprim17ROCPRIM_400000_NS6detail17trampoline_kernelINS0_13select_configILj256ELj13ELNS0_17block_load_methodE3ELS4_3ELS4_3ELNS0_20block_scan_algorithmE0ELj4294967295EEENS1_25partition_config_selectorILNS1_17partition_subalgoE4EjNS0_10empty_typeEbEEZZNS1_14partition_implILS8_4ELb0ES6_15HIP_vector_typeIjLj2EENS0_17counting_iteratorIjlEEPS9_SG_NS0_5tupleIJPjSI_NS0_16reverse_iteratorISI_EEEEENSH_IJSG_SG_SG_EEES9_SI_JZNS1_25segmented_radix_sort_implINS0_14default_configELb1EPKbPbPKlPlN2at6native12_GLOBAL__N_18offset_tEEE10hipError_tPvRmT1_PNSt15iterator_traitsIS12_E10value_typeET2_T3_PNS13_IS18_E10value_typeET4_jRbjT5_S1E_jjP12ihipStream_tbEUljE_ZNSN_ISO_Lb1ESQ_SR_ST_SU_SY_EESZ_S10_S11_S12_S16_S17_S18_S1B_S1C_jS1D_jS1E_S1E_jjS1G_bEUljE0_EEESZ_S10_S11_S18_S1C_S1E_T6_T7_T9_mT8_S1G_bDpT10_ENKUlT_T0_E_clISt17integral_constantIbLb0EES1T_IbLb1EEEEDaS1P_S1Q_EUlS1P_E_NS1_11comp_targetILNS1_3genE10ELNS1_11target_archE1200ELNS1_3gpuE4ELNS1_3repE0EEENS1_30default_config_static_selectorELNS0_4arch9wavefront6targetE0EEEvS12_,comdat
	.globl	_ZN7rocprim17ROCPRIM_400000_NS6detail17trampoline_kernelINS0_13select_configILj256ELj13ELNS0_17block_load_methodE3ELS4_3ELS4_3ELNS0_20block_scan_algorithmE0ELj4294967295EEENS1_25partition_config_selectorILNS1_17partition_subalgoE4EjNS0_10empty_typeEbEEZZNS1_14partition_implILS8_4ELb0ES6_15HIP_vector_typeIjLj2EENS0_17counting_iteratorIjlEEPS9_SG_NS0_5tupleIJPjSI_NS0_16reverse_iteratorISI_EEEEENSH_IJSG_SG_SG_EEES9_SI_JZNS1_25segmented_radix_sort_implINS0_14default_configELb1EPKbPbPKlPlN2at6native12_GLOBAL__N_18offset_tEEE10hipError_tPvRmT1_PNSt15iterator_traitsIS12_E10value_typeET2_T3_PNS13_IS18_E10value_typeET4_jRbjT5_S1E_jjP12ihipStream_tbEUljE_ZNSN_ISO_Lb1ESQ_SR_ST_SU_SY_EESZ_S10_S11_S12_S16_S17_S18_S1B_S1C_jS1D_jS1E_S1E_jjS1G_bEUljE0_EEESZ_S10_S11_S18_S1C_S1E_T6_T7_T9_mT8_S1G_bDpT10_ENKUlT_T0_E_clISt17integral_constantIbLb0EES1T_IbLb1EEEEDaS1P_S1Q_EUlS1P_E_NS1_11comp_targetILNS1_3genE10ELNS1_11target_archE1200ELNS1_3gpuE4ELNS1_3repE0EEENS1_30default_config_static_selectorELNS0_4arch9wavefront6targetE0EEEvS12_ ; -- Begin function _ZN7rocprim17ROCPRIM_400000_NS6detail17trampoline_kernelINS0_13select_configILj256ELj13ELNS0_17block_load_methodE3ELS4_3ELS4_3ELNS0_20block_scan_algorithmE0ELj4294967295EEENS1_25partition_config_selectorILNS1_17partition_subalgoE4EjNS0_10empty_typeEbEEZZNS1_14partition_implILS8_4ELb0ES6_15HIP_vector_typeIjLj2EENS0_17counting_iteratorIjlEEPS9_SG_NS0_5tupleIJPjSI_NS0_16reverse_iteratorISI_EEEEENSH_IJSG_SG_SG_EEES9_SI_JZNS1_25segmented_radix_sort_implINS0_14default_configELb1EPKbPbPKlPlN2at6native12_GLOBAL__N_18offset_tEEE10hipError_tPvRmT1_PNSt15iterator_traitsIS12_E10value_typeET2_T3_PNS13_IS18_E10value_typeET4_jRbjT5_S1E_jjP12ihipStream_tbEUljE_ZNSN_ISO_Lb1ESQ_SR_ST_SU_SY_EESZ_S10_S11_S12_S16_S17_S18_S1B_S1C_jS1D_jS1E_S1E_jjS1G_bEUljE0_EEESZ_S10_S11_S18_S1C_S1E_T6_T7_T9_mT8_S1G_bDpT10_ENKUlT_T0_E_clISt17integral_constantIbLb0EES1T_IbLb1EEEEDaS1P_S1Q_EUlS1P_E_NS1_11comp_targetILNS1_3genE10ELNS1_11target_archE1200ELNS1_3gpuE4ELNS1_3repE0EEENS1_30default_config_static_selectorELNS0_4arch9wavefront6targetE0EEEvS12_
	.p2align	8
	.type	_ZN7rocprim17ROCPRIM_400000_NS6detail17trampoline_kernelINS0_13select_configILj256ELj13ELNS0_17block_load_methodE3ELS4_3ELS4_3ELNS0_20block_scan_algorithmE0ELj4294967295EEENS1_25partition_config_selectorILNS1_17partition_subalgoE4EjNS0_10empty_typeEbEEZZNS1_14partition_implILS8_4ELb0ES6_15HIP_vector_typeIjLj2EENS0_17counting_iteratorIjlEEPS9_SG_NS0_5tupleIJPjSI_NS0_16reverse_iteratorISI_EEEEENSH_IJSG_SG_SG_EEES9_SI_JZNS1_25segmented_radix_sort_implINS0_14default_configELb1EPKbPbPKlPlN2at6native12_GLOBAL__N_18offset_tEEE10hipError_tPvRmT1_PNSt15iterator_traitsIS12_E10value_typeET2_T3_PNS13_IS18_E10value_typeET4_jRbjT5_S1E_jjP12ihipStream_tbEUljE_ZNSN_ISO_Lb1ESQ_SR_ST_SU_SY_EESZ_S10_S11_S12_S16_S17_S18_S1B_S1C_jS1D_jS1E_S1E_jjS1G_bEUljE0_EEESZ_S10_S11_S18_S1C_S1E_T6_T7_T9_mT8_S1G_bDpT10_ENKUlT_T0_E_clISt17integral_constantIbLb0EES1T_IbLb1EEEEDaS1P_S1Q_EUlS1P_E_NS1_11comp_targetILNS1_3genE10ELNS1_11target_archE1200ELNS1_3gpuE4ELNS1_3repE0EEENS1_30default_config_static_selectorELNS0_4arch9wavefront6targetE0EEEvS12_,@function
_ZN7rocprim17ROCPRIM_400000_NS6detail17trampoline_kernelINS0_13select_configILj256ELj13ELNS0_17block_load_methodE3ELS4_3ELS4_3ELNS0_20block_scan_algorithmE0ELj4294967295EEENS1_25partition_config_selectorILNS1_17partition_subalgoE4EjNS0_10empty_typeEbEEZZNS1_14partition_implILS8_4ELb0ES6_15HIP_vector_typeIjLj2EENS0_17counting_iteratorIjlEEPS9_SG_NS0_5tupleIJPjSI_NS0_16reverse_iteratorISI_EEEEENSH_IJSG_SG_SG_EEES9_SI_JZNS1_25segmented_radix_sort_implINS0_14default_configELb1EPKbPbPKlPlN2at6native12_GLOBAL__N_18offset_tEEE10hipError_tPvRmT1_PNSt15iterator_traitsIS12_E10value_typeET2_T3_PNS13_IS18_E10value_typeET4_jRbjT5_S1E_jjP12ihipStream_tbEUljE_ZNSN_ISO_Lb1ESQ_SR_ST_SU_SY_EESZ_S10_S11_S12_S16_S17_S18_S1B_S1C_jS1D_jS1E_S1E_jjS1G_bEUljE0_EEESZ_S10_S11_S18_S1C_S1E_T6_T7_T9_mT8_S1G_bDpT10_ENKUlT_T0_E_clISt17integral_constantIbLb0EES1T_IbLb1EEEEDaS1P_S1Q_EUlS1P_E_NS1_11comp_targetILNS1_3genE10ELNS1_11target_archE1200ELNS1_3gpuE4ELNS1_3repE0EEENS1_30default_config_static_selectorELNS0_4arch9wavefront6targetE0EEEvS12_: ; @_ZN7rocprim17ROCPRIM_400000_NS6detail17trampoline_kernelINS0_13select_configILj256ELj13ELNS0_17block_load_methodE3ELS4_3ELS4_3ELNS0_20block_scan_algorithmE0ELj4294967295EEENS1_25partition_config_selectorILNS1_17partition_subalgoE4EjNS0_10empty_typeEbEEZZNS1_14partition_implILS8_4ELb0ES6_15HIP_vector_typeIjLj2EENS0_17counting_iteratorIjlEEPS9_SG_NS0_5tupleIJPjSI_NS0_16reverse_iteratorISI_EEEEENSH_IJSG_SG_SG_EEES9_SI_JZNS1_25segmented_radix_sort_implINS0_14default_configELb1EPKbPbPKlPlN2at6native12_GLOBAL__N_18offset_tEEE10hipError_tPvRmT1_PNSt15iterator_traitsIS12_E10value_typeET2_T3_PNS13_IS18_E10value_typeET4_jRbjT5_S1E_jjP12ihipStream_tbEUljE_ZNSN_ISO_Lb1ESQ_SR_ST_SU_SY_EESZ_S10_S11_S12_S16_S17_S18_S1B_S1C_jS1D_jS1E_S1E_jjS1G_bEUljE0_EEESZ_S10_S11_S18_S1C_S1E_T6_T7_T9_mT8_S1G_bDpT10_ENKUlT_T0_E_clISt17integral_constantIbLb0EES1T_IbLb1EEEEDaS1P_S1Q_EUlS1P_E_NS1_11comp_targetILNS1_3genE10ELNS1_11target_archE1200ELNS1_3gpuE4ELNS1_3repE0EEENS1_30default_config_static_selectorELNS0_4arch9wavefront6targetE0EEEvS12_
; %bb.0:
	.section	.rodata,"a",@progbits
	.p2align	6, 0x0
	.amdhsa_kernel _ZN7rocprim17ROCPRIM_400000_NS6detail17trampoline_kernelINS0_13select_configILj256ELj13ELNS0_17block_load_methodE3ELS4_3ELS4_3ELNS0_20block_scan_algorithmE0ELj4294967295EEENS1_25partition_config_selectorILNS1_17partition_subalgoE4EjNS0_10empty_typeEbEEZZNS1_14partition_implILS8_4ELb0ES6_15HIP_vector_typeIjLj2EENS0_17counting_iteratorIjlEEPS9_SG_NS0_5tupleIJPjSI_NS0_16reverse_iteratorISI_EEEEENSH_IJSG_SG_SG_EEES9_SI_JZNS1_25segmented_radix_sort_implINS0_14default_configELb1EPKbPbPKlPlN2at6native12_GLOBAL__N_18offset_tEEE10hipError_tPvRmT1_PNSt15iterator_traitsIS12_E10value_typeET2_T3_PNS13_IS18_E10value_typeET4_jRbjT5_S1E_jjP12ihipStream_tbEUljE_ZNSN_ISO_Lb1ESQ_SR_ST_SU_SY_EESZ_S10_S11_S12_S16_S17_S18_S1B_S1C_jS1D_jS1E_S1E_jjS1G_bEUljE0_EEESZ_S10_S11_S18_S1C_S1E_T6_T7_T9_mT8_S1G_bDpT10_ENKUlT_T0_E_clISt17integral_constantIbLb0EES1T_IbLb1EEEEDaS1P_S1Q_EUlS1P_E_NS1_11comp_targetILNS1_3genE10ELNS1_11target_archE1200ELNS1_3gpuE4ELNS1_3repE0EEENS1_30default_config_static_selectorELNS0_4arch9wavefront6targetE0EEEvS12_
		.amdhsa_group_segment_fixed_size 0
		.amdhsa_private_segment_fixed_size 0
		.amdhsa_kernarg_size 184
		.amdhsa_user_sgpr_count 15
		.amdhsa_user_sgpr_dispatch_ptr 0
		.amdhsa_user_sgpr_queue_ptr 0
		.amdhsa_user_sgpr_kernarg_segment_ptr 1
		.amdhsa_user_sgpr_dispatch_id 0
		.amdhsa_user_sgpr_private_segment_size 0
		.amdhsa_wavefront_size32 1
		.amdhsa_uses_dynamic_stack 0
		.amdhsa_enable_private_segment 0
		.amdhsa_system_sgpr_workgroup_id_x 1
		.amdhsa_system_sgpr_workgroup_id_y 0
		.amdhsa_system_sgpr_workgroup_id_z 0
		.amdhsa_system_sgpr_workgroup_info 0
		.amdhsa_system_vgpr_workitem_id 0
		.amdhsa_next_free_vgpr 1
		.amdhsa_next_free_sgpr 1
		.amdhsa_reserve_vcc 0
		.amdhsa_float_round_mode_32 0
		.amdhsa_float_round_mode_16_64 0
		.amdhsa_float_denorm_mode_32 3
		.amdhsa_float_denorm_mode_16_64 3
		.amdhsa_dx10_clamp 1
		.amdhsa_ieee_mode 1
		.amdhsa_fp16_overflow 0
		.amdhsa_workgroup_processor_mode 1
		.amdhsa_memory_ordered 1
		.amdhsa_forward_progress 0
		.amdhsa_shared_vgpr_count 0
		.amdhsa_exception_fp_ieee_invalid_op 0
		.amdhsa_exception_fp_denorm_src 0
		.amdhsa_exception_fp_ieee_div_zero 0
		.amdhsa_exception_fp_ieee_overflow 0
		.amdhsa_exception_fp_ieee_underflow 0
		.amdhsa_exception_fp_ieee_inexact 0
		.amdhsa_exception_int_div_zero 0
	.end_amdhsa_kernel
	.section	.text._ZN7rocprim17ROCPRIM_400000_NS6detail17trampoline_kernelINS0_13select_configILj256ELj13ELNS0_17block_load_methodE3ELS4_3ELS4_3ELNS0_20block_scan_algorithmE0ELj4294967295EEENS1_25partition_config_selectorILNS1_17partition_subalgoE4EjNS0_10empty_typeEbEEZZNS1_14partition_implILS8_4ELb0ES6_15HIP_vector_typeIjLj2EENS0_17counting_iteratorIjlEEPS9_SG_NS0_5tupleIJPjSI_NS0_16reverse_iteratorISI_EEEEENSH_IJSG_SG_SG_EEES9_SI_JZNS1_25segmented_radix_sort_implINS0_14default_configELb1EPKbPbPKlPlN2at6native12_GLOBAL__N_18offset_tEEE10hipError_tPvRmT1_PNSt15iterator_traitsIS12_E10value_typeET2_T3_PNS13_IS18_E10value_typeET4_jRbjT5_S1E_jjP12ihipStream_tbEUljE_ZNSN_ISO_Lb1ESQ_SR_ST_SU_SY_EESZ_S10_S11_S12_S16_S17_S18_S1B_S1C_jS1D_jS1E_S1E_jjS1G_bEUljE0_EEESZ_S10_S11_S18_S1C_S1E_T6_T7_T9_mT8_S1G_bDpT10_ENKUlT_T0_E_clISt17integral_constantIbLb0EES1T_IbLb1EEEEDaS1P_S1Q_EUlS1P_E_NS1_11comp_targetILNS1_3genE10ELNS1_11target_archE1200ELNS1_3gpuE4ELNS1_3repE0EEENS1_30default_config_static_selectorELNS0_4arch9wavefront6targetE0EEEvS12_,"axG",@progbits,_ZN7rocprim17ROCPRIM_400000_NS6detail17trampoline_kernelINS0_13select_configILj256ELj13ELNS0_17block_load_methodE3ELS4_3ELS4_3ELNS0_20block_scan_algorithmE0ELj4294967295EEENS1_25partition_config_selectorILNS1_17partition_subalgoE4EjNS0_10empty_typeEbEEZZNS1_14partition_implILS8_4ELb0ES6_15HIP_vector_typeIjLj2EENS0_17counting_iteratorIjlEEPS9_SG_NS0_5tupleIJPjSI_NS0_16reverse_iteratorISI_EEEEENSH_IJSG_SG_SG_EEES9_SI_JZNS1_25segmented_radix_sort_implINS0_14default_configELb1EPKbPbPKlPlN2at6native12_GLOBAL__N_18offset_tEEE10hipError_tPvRmT1_PNSt15iterator_traitsIS12_E10value_typeET2_T3_PNS13_IS18_E10value_typeET4_jRbjT5_S1E_jjP12ihipStream_tbEUljE_ZNSN_ISO_Lb1ESQ_SR_ST_SU_SY_EESZ_S10_S11_S12_S16_S17_S18_S1B_S1C_jS1D_jS1E_S1E_jjS1G_bEUljE0_EEESZ_S10_S11_S18_S1C_S1E_T6_T7_T9_mT8_S1G_bDpT10_ENKUlT_T0_E_clISt17integral_constantIbLb0EES1T_IbLb1EEEEDaS1P_S1Q_EUlS1P_E_NS1_11comp_targetILNS1_3genE10ELNS1_11target_archE1200ELNS1_3gpuE4ELNS1_3repE0EEENS1_30default_config_static_selectorELNS0_4arch9wavefront6targetE0EEEvS12_,comdat
.Lfunc_end1497:
	.size	_ZN7rocprim17ROCPRIM_400000_NS6detail17trampoline_kernelINS0_13select_configILj256ELj13ELNS0_17block_load_methodE3ELS4_3ELS4_3ELNS0_20block_scan_algorithmE0ELj4294967295EEENS1_25partition_config_selectorILNS1_17partition_subalgoE4EjNS0_10empty_typeEbEEZZNS1_14partition_implILS8_4ELb0ES6_15HIP_vector_typeIjLj2EENS0_17counting_iteratorIjlEEPS9_SG_NS0_5tupleIJPjSI_NS0_16reverse_iteratorISI_EEEEENSH_IJSG_SG_SG_EEES9_SI_JZNS1_25segmented_radix_sort_implINS0_14default_configELb1EPKbPbPKlPlN2at6native12_GLOBAL__N_18offset_tEEE10hipError_tPvRmT1_PNSt15iterator_traitsIS12_E10value_typeET2_T3_PNS13_IS18_E10value_typeET4_jRbjT5_S1E_jjP12ihipStream_tbEUljE_ZNSN_ISO_Lb1ESQ_SR_ST_SU_SY_EESZ_S10_S11_S12_S16_S17_S18_S1B_S1C_jS1D_jS1E_S1E_jjS1G_bEUljE0_EEESZ_S10_S11_S18_S1C_S1E_T6_T7_T9_mT8_S1G_bDpT10_ENKUlT_T0_E_clISt17integral_constantIbLb0EES1T_IbLb1EEEEDaS1P_S1Q_EUlS1P_E_NS1_11comp_targetILNS1_3genE10ELNS1_11target_archE1200ELNS1_3gpuE4ELNS1_3repE0EEENS1_30default_config_static_selectorELNS0_4arch9wavefront6targetE0EEEvS12_, .Lfunc_end1497-_ZN7rocprim17ROCPRIM_400000_NS6detail17trampoline_kernelINS0_13select_configILj256ELj13ELNS0_17block_load_methodE3ELS4_3ELS4_3ELNS0_20block_scan_algorithmE0ELj4294967295EEENS1_25partition_config_selectorILNS1_17partition_subalgoE4EjNS0_10empty_typeEbEEZZNS1_14partition_implILS8_4ELb0ES6_15HIP_vector_typeIjLj2EENS0_17counting_iteratorIjlEEPS9_SG_NS0_5tupleIJPjSI_NS0_16reverse_iteratorISI_EEEEENSH_IJSG_SG_SG_EEES9_SI_JZNS1_25segmented_radix_sort_implINS0_14default_configELb1EPKbPbPKlPlN2at6native12_GLOBAL__N_18offset_tEEE10hipError_tPvRmT1_PNSt15iterator_traitsIS12_E10value_typeET2_T3_PNS13_IS18_E10value_typeET4_jRbjT5_S1E_jjP12ihipStream_tbEUljE_ZNSN_ISO_Lb1ESQ_SR_ST_SU_SY_EESZ_S10_S11_S12_S16_S17_S18_S1B_S1C_jS1D_jS1E_S1E_jjS1G_bEUljE0_EEESZ_S10_S11_S18_S1C_S1E_T6_T7_T9_mT8_S1G_bDpT10_ENKUlT_T0_E_clISt17integral_constantIbLb0EES1T_IbLb1EEEEDaS1P_S1Q_EUlS1P_E_NS1_11comp_targetILNS1_3genE10ELNS1_11target_archE1200ELNS1_3gpuE4ELNS1_3repE0EEENS1_30default_config_static_selectorELNS0_4arch9wavefront6targetE0EEEvS12_
                                        ; -- End function
	.section	.AMDGPU.csdata,"",@progbits
; Kernel info:
; codeLenInByte = 0
; NumSgprs: 0
; NumVgprs: 0
; ScratchSize: 0
; MemoryBound: 0
; FloatMode: 240
; IeeeMode: 1
; LDSByteSize: 0 bytes/workgroup (compile time only)
; SGPRBlocks: 0
; VGPRBlocks: 0
; NumSGPRsForWavesPerEU: 1
; NumVGPRsForWavesPerEU: 1
; Occupancy: 16
; WaveLimiterHint : 0
; COMPUTE_PGM_RSRC2:SCRATCH_EN: 0
; COMPUTE_PGM_RSRC2:USER_SGPR: 15
; COMPUTE_PGM_RSRC2:TRAP_HANDLER: 0
; COMPUTE_PGM_RSRC2:TGID_X_EN: 1
; COMPUTE_PGM_RSRC2:TGID_Y_EN: 0
; COMPUTE_PGM_RSRC2:TGID_Z_EN: 0
; COMPUTE_PGM_RSRC2:TIDIG_COMP_CNT: 0
	.section	.text._ZN7rocprim17ROCPRIM_400000_NS6detail17trampoline_kernelINS0_13select_configILj256ELj13ELNS0_17block_load_methodE3ELS4_3ELS4_3ELNS0_20block_scan_algorithmE0ELj4294967295EEENS1_25partition_config_selectorILNS1_17partition_subalgoE4EjNS0_10empty_typeEbEEZZNS1_14partition_implILS8_4ELb0ES6_15HIP_vector_typeIjLj2EENS0_17counting_iteratorIjlEEPS9_SG_NS0_5tupleIJPjSI_NS0_16reverse_iteratorISI_EEEEENSH_IJSG_SG_SG_EEES9_SI_JZNS1_25segmented_radix_sort_implINS0_14default_configELb1EPKbPbPKlPlN2at6native12_GLOBAL__N_18offset_tEEE10hipError_tPvRmT1_PNSt15iterator_traitsIS12_E10value_typeET2_T3_PNS13_IS18_E10value_typeET4_jRbjT5_S1E_jjP12ihipStream_tbEUljE_ZNSN_ISO_Lb1ESQ_SR_ST_SU_SY_EESZ_S10_S11_S12_S16_S17_S18_S1B_S1C_jS1D_jS1E_S1E_jjS1G_bEUljE0_EEESZ_S10_S11_S18_S1C_S1E_T6_T7_T9_mT8_S1G_bDpT10_ENKUlT_T0_E_clISt17integral_constantIbLb0EES1T_IbLb1EEEEDaS1P_S1Q_EUlS1P_E_NS1_11comp_targetILNS1_3genE9ELNS1_11target_archE1100ELNS1_3gpuE3ELNS1_3repE0EEENS1_30default_config_static_selectorELNS0_4arch9wavefront6targetE0EEEvS12_,"axG",@progbits,_ZN7rocprim17ROCPRIM_400000_NS6detail17trampoline_kernelINS0_13select_configILj256ELj13ELNS0_17block_load_methodE3ELS4_3ELS4_3ELNS0_20block_scan_algorithmE0ELj4294967295EEENS1_25partition_config_selectorILNS1_17partition_subalgoE4EjNS0_10empty_typeEbEEZZNS1_14partition_implILS8_4ELb0ES6_15HIP_vector_typeIjLj2EENS0_17counting_iteratorIjlEEPS9_SG_NS0_5tupleIJPjSI_NS0_16reverse_iteratorISI_EEEEENSH_IJSG_SG_SG_EEES9_SI_JZNS1_25segmented_radix_sort_implINS0_14default_configELb1EPKbPbPKlPlN2at6native12_GLOBAL__N_18offset_tEEE10hipError_tPvRmT1_PNSt15iterator_traitsIS12_E10value_typeET2_T3_PNS13_IS18_E10value_typeET4_jRbjT5_S1E_jjP12ihipStream_tbEUljE_ZNSN_ISO_Lb1ESQ_SR_ST_SU_SY_EESZ_S10_S11_S12_S16_S17_S18_S1B_S1C_jS1D_jS1E_S1E_jjS1G_bEUljE0_EEESZ_S10_S11_S18_S1C_S1E_T6_T7_T9_mT8_S1G_bDpT10_ENKUlT_T0_E_clISt17integral_constantIbLb0EES1T_IbLb1EEEEDaS1P_S1Q_EUlS1P_E_NS1_11comp_targetILNS1_3genE9ELNS1_11target_archE1100ELNS1_3gpuE3ELNS1_3repE0EEENS1_30default_config_static_selectorELNS0_4arch9wavefront6targetE0EEEvS12_,comdat
	.globl	_ZN7rocprim17ROCPRIM_400000_NS6detail17trampoline_kernelINS0_13select_configILj256ELj13ELNS0_17block_load_methodE3ELS4_3ELS4_3ELNS0_20block_scan_algorithmE0ELj4294967295EEENS1_25partition_config_selectorILNS1_17partition_subalgoE4EjNS0_10empty_typeEbEEZZNS1_14partition_implILS8_4ELb0ES6_15HIP_vector_typeIjLj2EENS0_17counting_iteratorIjlEEPS9_SG_NS0_5tupleIJPjSI_NS0_16reverse_iteratorISI_EEEEENSH_IJSG_SG_SG_EEES9_SI_JZNS1_25segmented_radix_sort_implINS0_14default_configELb1EPKbPbPKlPlN2at6native12_GLOBAL__N_18offset_tEEE10hipError_tPvRmT1_PNSt15iterator_traitsIS12_E10value_typeET2_T3_PNS13_IS18_E10value_typeET4_jRbjT5_S1E_jjP12ihipStream_tbEUljE_ZNSN_ISO_Lb1ESQ_SR_ST_SU_SY_EESZ_S10_S11_S12_S16_S17_S18_S1B_S1C_jS1D_jS1E_S1E_jjS1G_bEUljE0_EEESZ_S10_S11_S18_S1C_S1E_T6_T7_T9_mT8_S1G_bDpT10_ENKUlT_T0_E_clISt17integral_constantIbLb0EES1T_IbLb1EEEEDaS1P_S1Q_EUlS1P_E_NS1_11comp_targetILNS1_3genE9ELNS1_11target_archE1100ELNS1_3gpuE3ELNS1_3repE0EEENS1_30default_config_static_selectorELNS0_4arch9wavefront6targetE0EEEvS12_ ; -- Begin function _ZN7rocprim17ROCPRIM_400000_NS6detail17trampoline_kernelINS0_13select_configILj256ELj13ELNS0_17block_load_methodE3ELS4_3ELS4_3ELNS0_20block_scan_algorithmE0ELj4294967295EEENS1_25partition_config_selectorILNS1_17partition_subalgoE4EjNS0_10empty_typeEbEEZZNS1_14partition_implILS8_4ELb0ES6_15HIP_vector_typeIjLj2EENS0_17counting_iteratorIjlEEPS9_SG_NS0_5tupleIJPjSI_NS0_16reverse_iteratorISI_EEEEENSH_IJSG_SG_SG_EEES9_SI_JZNS1_25segmented_radix_sort_implINS0_14default_configELb1EPKbPbPKlPlN2at6native12_GLOBAL__N_18offset_tEEE10hipError_tPvRmT1_PNSt15iterator_traitsIS12_E10value_typeET2_T3_PNS13_IS18_E10value_typeET4_jRbjT5_S1E_jjP12ihipStream_tbEUljE_ZNSN_ISO_Lb1ESQ_SR_ST_SU_SY_EESZ_S10_S11_S12_S16_S17_S18_S1B_S1C_jS1D_jS1E_S1E_jjS1G_bEUljE0_EEESZ_S10_S11_S18_S1C_S1E_T6_T7_T9_mT8_S1G_bDpT10_ENKUlT_T0_E_clISt17integral_constantIbLb0EES1T_IbLb1EEEEDaS1P_S1Q_EUlS1P_E_NS1_11comp_targetILNS1_3genE9ELNS1_11target_archE1100ELNS1_3gpuE3ELNS1_3repE0EEENS1_30default_config_static_selectorELNS0_4arch9wavefront6targetE0EEEvS12_
	.p2align	8
	.type	_ZN7rocprim17ROCPRIM_400000_NS6detail17trampoline_kernelINS0_13select_configILj256ELj13ELNS0_17block_load_methodE3ELS4_3ELS4_3ELNS0_20block_scan_algorithmE0ELj4294967295EEENS1_25partition_config_selectorILNS1_17partition_subalgoE4EjNS0_10empty_typeEbEEZZNS1_14partition_implILS8_4ELb0ES6_15HIP_vector_typeIjLj2EENS0_17counting_iteratorIjlEEPS9_SG_NS0_5tupleIJPjSI_NS0_16reverse_iteratorISI_EEEEENSH_IJSG_SG_SG_EEES9_SI_JZNS1_25segmented_radix_sort_implINS0_14default_configELb1EPKbPbPKlPlN2at6native12_GLOBAL__N_18offset_tEEE10hipError_tPvRmT1_PNSt15iterator_traitsIS12_E10value_typeET2_T3_PNS13_IS18_E10value_typeET4_jRbjT5_S1E_jjP12ihipStream_tbEUljE_ZNSN_ISO_Lb1ESQ_SR_ST_SU_SY_EESZ_S10_S11_S12_S16_S17_S18_S1B_S1C_jS1D_jS1E_S1E_jjS1G_bEUljE0_EEESZ_S10_S11_S18_S1C_S1E_T6_T7_T9_mT8_S1G_bDpT10_ENKUlT_T0_E_clISt17integral_constantIbLb0EES1T_IbLb1EEEEDaS1P_S1Q_EUlS1P_E_NS1_11comp_targetILNS1_3genE9ELNS1_11target_archE1100ELNS1_3gpuE3ELNS1_3repE0EEENS1_30default_config_static_selectorELNS0_4arch9wavefront6targetE0EEEvS12_,@function
_ZN7rocprim17ROCPRIM_400000_NS6detail17trampoline_kernelINS0_13select_configILj256ELj13ELNS0_17block_load_methodE3ELS4_3ELS4_3ELNS0_20block_scan_algorithmE0ELj4294967295EEENS1_25partition_config_selectorILNS1_17partition_subalgoE4EjNS0_10empty_typeEbEEZZNS1_14partition_implILS8_4ELb0ES6_15HIP_vector_typeIjLj2EENS0_17counting_iteratorIjlEEPS9_SG_NS0_5tupleIJPjSI_NS0_16reverse_iteratorISI_EEEEENSH_IJSG_SG_SG_EEES9_SI_JZNS1_25segmented_radix_sort_implINS0_14default_configELb1EPKbPbPKlPlN2at6native12_GLOBAL__N_18offset_tEEE10hipError_tPvRmT1_PNSt15iterator_traitsIS12_E10value_typeET2_T3_PNS13_IS18_E10value_typeET4_jRbjT5_S1E_jjP12ihipStream_tbEUljE_ZNSN_ISO_Lb1ESQ_SR_ST_SU_SY_EESZ_S10_S11_S12_S16_S17_S18_S1B_S1C_jS1D_jS1E_S1E_jjS1G_bEUljE0_EEESZ_S10_S11_S18_S1C_S1E_T6_T7_T9_mT8_S1G_bDpT10_ENKUlT_T0_E_clISt17integral_constantIbLb0EES1T_IbLb1EEEEDaS1P_S1Q_EUlS1P_E_NS1_11comp_targetILNS1_3genE9ELNS1_11target_archE1100ELNS1_3gpuE3ELNS1_3repE0EEENS1_30default_config_static_selectorELNS0_4arch9wavefront6targetE0EEEvS12_: ; @_ZN7rocprim17ROCPRIM_400000_NS6detail17trampoline_kernelINS0_13select_configILj256ELj13ELNS0_17block_load_methodE3ELS4_3ELS4_3ELNS0_20block_scan_algorithmE0ELj4294967295EEENS1_25partition_config_selectorILNS1_17partition_subalgoE4EjNS0_10empty_typeEbEEZZNS1_14partition_implILS8_4ELb0ES6_15HIP_vector_typeIjLj2EENS0_17counting_iteratorIjlEEPS9_SG_NS0_5tupleIJPjSI_NS0_16reverse_iteratorISI_EEEEENSH_IJSG_SG_SG_EEES9_SI_JZNS1_25segmented_radix_sort_implINS0_14default_configELb1EPKbPbPKlPlN2at6native12_GLOBAL__N_18offset_tEEE10hipError_tPvRmT1_PNSt15iterator_traitsIS12_E10value_typeET2_T3_PNS13_IS18_E10value_typeET4_jRbjT5_S1E_jjP12ihipStream_tbEUljE_ZNSN_ISO_Lb1ESQ_SR_ST_SU_SY_EESZ_S10_S11_S12_S16_S17_S18_S1B_S1C_jS1D_jS1E_S1E_jjS1G_bEUljE0_EEESZ_S10_S11_S18_S1C_S1E_T6_T7_T9_mT8_S1G_bDpT10_ENKUlT_T0_E_clISt17integral_constantIbLb0EES1T_IbLb1EEEEDaS1P_S1Q_EUlS1P_E_NS1_11comp_targetILNS1_3genE9ELNS1_11target_archE1100ELNS1_3gpuE3ELNS1_3repE0EEENS1_30default_config_static_selectorELNS0_4arch9wavefront6targetE0EEEvS12_
; %bb.0:
	s_clause 0x7
	s_load_b64 s[34:35], s[0:1], 0x10
	s_load_b128 s[28:31], s[0:1], 0x28
	s_load_b64 s[14:15], s[0:1], 0x38
	s_load_b128 s[24:27], s[0:1], 0x58
	s_load_b64 s[4:5], s[0:1], 0x68
	s_load_b64 s[36:37], s[0:1], 0x78
	s_load_b64 s[38:39], s[0:1], 0xb0
	s_load_b256 s[16:23], s[0:1], 0x90
	v_cmp_eq_u32_e64 s2, 0, v0
	s_delay_alu instid0(VALU_DEP_1)
	s_and_saveexec_b32 s3, s2
	s_cbranch_execz .LBB1498_4
; %bb.1:
	s_mov_b32 s7, exec_lo
	s_mov_b32 s6, exec_lo
	v_mbcnt_lo_u32_b32 v1, s7, 0
                                        ; implicit-def: $vgpr2
	s_delay_alu instid0(VALU_DEP_1)
	v_cmpx_eq_u32_e32 0, v1
	s_cbranch_execz .LBB1498_3
; %bb.2:
	s_load_b64 s[8:9], s[0:1], 0x88
	s_bcnt1_i32_b32 s7, s7
	s_delay_alu instid0(SALU_CYCLE_1)
	v_dual_mov_b32 v2, 0 :: v_dual_mov_b32 v3, s7
	s_waitcnt lgkmcnt(0)
	global_atomic_add_u32 v2, v2, v3, s[8:9] glc
.LBB1498_3:
	s_or_b32 exec_lo, exec_lo, s6
	s_waitcnt vmcnt(0)
	v_readfirstlane_b32 s6, v2
	s_delay_alu instid0(VALU_DEP_1)
	v_dual_mov_b32 v2, 0 :: v_dual_add_nc_u32 v1, s6, v1
	ds_store_b32 v2, v1
.LBB1498_4:
	s_or_b32 exec_lo, exec_lo, s3
	v_mov_b32_e32 v1, 0
	s_clause 0x1
	s_load_b32 s3, s[0:1], 0x8
	s_load_b32 s0, s[0:1], 0x80
	s_waitcnt lgkmcnt(0)
	s_barrier
	buffer_gl0_inv
	ds_load_b32 v5, v1
	s_waitcnt lgkmcnt(0)
	s_barrier
	buffer_gl0_inv
	global_load_b128 v[1:4], v1, s[26:27]
	s_add_i32 s3, s3, s34
	s_mul_i32 s1, s0, 0xd00
	s_add_i32 s0, s0, -1
	s_add_u32 s6, s34, s1
	s_addc_u32 s7, s35, 0
	v_mul_lo_u32 v30, 0xd00, v5
	v_readfirstlane_b32 s26, v5
	v_cmp_lt_u64_e64 s5, s[6:7], s[4:5]
	v_cmp_ne_u32_e32 vcc_lo, s0, v5
	s_delay_alu instid0(VALU_DEP_3) | instskip(SKIP_1) | instid1(VALU_DEP_4)
	s_cmp_eq_u32 s26, s0
	s_cselect_b32 s13, -1, 0
	v_add3_u32 v5, v30, s3, v0
	s_delay_alu instid0(VALU_DEP_3) | instskip(SKIP_2) | instid1(VALU_DEP_1)
	s_or_b32 s0, s5, vcc_lo
	s_mov_b32 s3, -1
	s_and_b32 vcc_lo, exec_lo, s0
	v_add_nc_u32_e32 v6, 0x100, v5
	v_add_nc_u32_e32 v7, 0x200, v5
	;; [unrolled: 1-line block ×12, first 2 shown]
	s_cbranch_vccz .LBB1498_6
; %bb.5:
	v_lshlrev_b32_e32 v18, 2, v0
	s_mov_b32 s3, 0
	ds_store_2addr_stride64_b32 v18, v5, v6 offset1:4
	ds_store_2addr_stride64_b32 v18, v7, v8 offset0:8 offset1:12
	ds_store_2addr_stride64_b32 v18, v9, v10 offset0:16 offset1:20
	;; [unrolled: 1-line block ×5, first 2 shown]
	ds_store_b32 v18, v17 offset:12288
	s_waitcnt vmcnt(0) lgkmcnt(0)
	s_barrier
.LBB1498_6:
	s_and_not1_b32 vcc_lo, exec_lo, s3
	s_add_i32 s1, s1, s34
	s_cbranch_vccnz .LBB1498_8
; %bb.7:
	v_lshlrev_b32_e32 v18, 2, v0
	ds_store_2addr_stride64_b32 v18, v5, v6 offset1:4
	ds_store_2addr_stride64_b32 v18, v7, v8 offset0:8 offset1:12
	ds_store_2addr_stride64_b32 v18, v9, v10 offset0:16 offset1:20
	;; [unrolled: 1-line block ×5, first 2 shown]
	ds_store_b32 v18, v17 offset:12288
	s_waitcnt vmcnt(0) lgkmcnt(0)
	s_barrier
.LBB1498_8:
	v_mul_u32_u24_e32 v33, 13, v0
	s_waitcnt vmcnt(0)
	buffer_gl0_inv
	v_cndmask_b32_e64 v31, 0, 1, s0
	s_sub_i32 s40, s4, s1
	s_and_not1_b32 vcc_lo, exec_lo, s0
	v_lshlrev_b32_e32 v5, 2, v33
	ds_load_2addr_b32 v[20:21], v5 offset1:1
	ds_load_2addr_b32 v[18:19], v5 offset0:2 offset1:3
	ds_load_2addr_b32 v[16:17], v5 offset0:4 offset1:5
	;; [unrolled: 1-line block ×5, first 2 shown]
	ds_load_b32 v32, v5 offset:48
	s_waitcnt lgkmcnt(0)
	s_barrier
	buffer_gl0_inv
	s_cbranch_vccnz .LBB1498_36
; %bb.9:
	v_add_nc_u32_e32 v5, s17, v20
	v_add_nc_u32_e32 v6, s19, v20
	s_mov_b32 s42, 0
	s_mov_b32 s41, 0
	s_mov_b32 s1, exec_lo
	v_mul_lo_u32 v5, v5, s16
	v_mul_lo_u32 v6, v6, s18
	s_delay_alu instid0(VALU_DEP_1) | instskip(NEXT) | instid1(VALU_DEP_1)
	v_sub_nc_u32_e32 v5, v5, v6
	v_cmp_lt_u32_e32 vcc_lo, s20, v5
	v_cmpx_ge_u32_e64 s20, v5
; %bb.10:
	v_add_nc_u32_e32 v5, s22, v20
	v_add_nc_u32_e32 v6, s38, v20
	s_delay_alu instid0(VALU_DEP_2) | instskip(NEXT) | instid1(VALU_DEP_2)
	v_mul_lo_u32 v5, v5, s21
	v_mul_lo_u32 v6, v6, s23
	s_delay_alu instid0(VALU_DEP_1) | instskip(NEXT) | instid1(VALU_DEP_1)
	v_sub_nc_u32_e32 v5, v5, v6
	v_cmp_lt_u32_e64 s0, s39, v5
	s_delay_alu instid0(VALU_DEP_1)
	s_and_b32 s41, s0, exec_lo
; %bb.11:
	s_or_b32 exec_lo, exec_lo, s1
	v_add_nc_u32_e32 v5, s17, v21
	v_add_nc_u32_e32 v6, s19, v21
	s_mov_b32 s3, exec_lo
	s_delay_alu instid0(VALU_DEP_2) | instskip(NEXT) | instid1(VALU_DEP_2)
	v_mul_lo_u32 v5, v5, s16
	v_mul_lo_u32 v6, v6, s18
	s_delay_alu instid0(VALU_DEP_1) | instskip(NEXT) | instid1(VALU_DEP_1)
	v_sub_nc_u32_e32 v5, v5, v6
	v_cmp_lt_u32_e64 s0, s20, v5
	v_cmpx_ge_u32_e64 s20, v5
; %bb.12:
	v_add_nc_u32_e32 v5, s22, v21
	v_add_nc_u32_e32 v6, s38, v21
	s_delay_alu instid0(VALU_DEP_2) | instskip(NEXT) | instid1(VALU_DEP_2)
	v_mul_lo_u32 v5, v5, s21
	v_mul_lo_u32 v6, v6, s23
	s_delay_alu instid0(VALU_DEP_1) | instskip(NEXT) | instid1(VALU_DEP_1)
	v_sub_nc_u32_e32 v5, v5, v6
	v_cmp_lt_u32_e64 s1, s39, v5
	s_delay_alu instid0(VALU_DEP_1)
	s_and_b32 s42, s1, exec_lo
; %bb.13:
	s_or_b32 exec_lo, exec_lo, s3
	v_add_nc_u32_e32 v5, s17, v18
	v_add_nc_u32_e32 v6, s19, v18
	s_mov_b32 s44, 0
	s_mov_b32 s43, 0
	s_mov_b32 s4, exec_lo
	v_mul_lo_u32 v5, v5, s16
	v_mul_lo_u32 v6, v6, s18
	s_delay_alu instid0(VALU_DEP_1) | instskip(NEXT) | instid1(VALU_DEP_1)
	v_sub_nc_u32_e32 v5, v5, v6
	v_cmp_lt_u32_e64 s1, s20, v5
	v_cmpx_ge_u32_e64 s20, v5
; %bb.14:
	v_add_nc_u32_e32 v5, s22, v18
	v_add_nc_u32_e32 v6, s38, v18
	s_delay_alu instid0(VALU_DEP_2) | instskip(NEXT) | instid1(VALU_DEP_2)
	v_mul_lo_u32 v5, v5, s21
	v_mul_lo_u32 v6, v6, s23
	s_delay_alu instid0(VALU_DEP_1) | instskip(NEXT) | instid1(VALU_DEP_1)
	v_sub_nc_u32_e32 v5, v5, v6
	v_cmp_lt_u32_e64 s3, s39, v5
	s_delay_alu instid0(VALU_DEP_1)
	s_and_b32 s43, s3, exec_lo
; %bb.15:
	s_or_b32 exec_lo, exec_lo, s4
	v_add_nc_u32_e32 v5, s17, v19
	v_add_nc_u32_e32 v6, s19, v19
	s_mov_b32 s5, exec_lo
	s_delay_alu instid0(VALU_DEP_2) | instskip(NEXT) | instid1(VALU_DEP_2)
	v_mul_lo_u32 v5, v5, s16
	v_mul_lo_u32 v6, v6, s18
	s_delay_alu instid0(VALU_DEP_1) | instskip(NEXT) | instid1(VALU_DEP_1)
	v_sub_nc_u32_e32 v5, v5, v6
	v_cmp_lt_u32_e64 s3, s20, v5
	v_cmpx_ge_u32_e64 s20, v5
; %bb.16:
	v_add_nc_u32_e32 v5, s22, v19
	v_add_nc_u32_e32 v6, s38, v19
	s_delay_alu instid0(VALU_DEP_2) | instskip(NEXT) | instid1(VALU_DEP_2)
	v_mul_lo_u32 v5, v5, s21
	v_mul_lo_u32 v6, v6, s23
	s_delay_alu instid0(VALU_DEP_1) | instskip(NEXT) | instid1(VALU_DEP_1)
	v_sub_nc_u32_e32 v5, v5, v6
	v_cmp_lt_u32_e64 s4, s39, v5
	s_delay_alu instid0(VALU_DEP_1)
	s_and_b32 s44, s4, exec_lo
; %bb.17:
	s_or_b32 exec_lo, exec_lo, s5
	v_add_nc_u32_e32 v5, s17, v16
	v_add_nc_u32_e32 v6, s19, v16
	s_mov_b32 s46, 0
	s_mov_b32 s45, 0
	s_mov_b32 s6, exec_lo
	v_mul_lo_u32 v5, v5, s16
	v_mul_lo_u32 v6, v6, s18
	s_delay_alu instid0(VALU_DEP_1) | instskip(NEXT) | instid1(VALU_DEP_1)
	v_sub_nc_u32_e32 v5, v5, v6
	v_cmp_lt_u32_e64 s4, s20, v5
	;; [unrolled: 47-line block ×5, first 2 shown]
	v_cmpx_ge_u32_e64 s20, v5
; %bb.30:
	v_add_nc_u32_e32 v5, s22, v10
	v_add_nc_u32_e32 v6, s38, v10
	s_delay_alu instid0(VALU_DEP_2) | instskip(NEXT) | instid1(VALU_DEP_2)
	v_mul_lo_u32 v5, v5, s21
	v_mul_lo_u32 v6, v6, s23
	s_delay_alu instid0(VALU_DEP_1) | instskip(NEXT) | instid1(VALU_DEP_1)
	v_sub_nc_u32_e32 v5, v5, v6
	v_cmp_lt_u32_e64 s11, s39, v5
	s_delay_alu instid0(VALU_DEP_1)
	s_and_b32 s53, s11, exec_lo
; %bb.31:
	s_or_b32 exec_lo, exec_lo, s12
	v_add_nc_u32_e32 v5, s17, v11
	v_add_nc_u32_e32 v6, s19, v11
	s_mov_b32 s27, exec_lo
	s_delay_alu instid0(VALU_DEP_2) | instskip(NEXT) | instid1(VALU_DEP_2)
	v_mul_lo_u32 v5, v5, s16
	v_mul_lo_u32 v6, v6, s18
	s_delay_alu instid0(VALU_DEP_1) | instskip(NEXT) | instid1(VALU_DEP_1)
	v_sub_nc_u32_e32 v5, v5, v6
	v_cmp_lt_u32_e64 s11, s20, v5
	v_cmpx_ge_u32_e64 s20, v5
; %bb.32:
	v_add_nc_u32_e32 v5, s22, v11
	v_add_nc_u32_e32 v6, s38, v11
	s_delay_alu instid0(VALU_DEP_2) | instskip(NEXT) | instid1(VALU_DEP_2)
	v_mul_lo_u32 v5, v5, s21
	v_mul_lo_u32 v6, v6, s23
	s_delay_alu instid0(VALU_DEP_1) | instskip(NEXT) | instid1(VALU_DEP_1)
	v_sub_nc_u32_e32 v5, v5, v6
	v_cmp_lt_u32_e64 s12, s39, v5
	s_delay_alu instid0(VALU_DEP_1)
	s_and_b32 s52, s12, exec_lo
; %bb.33:
	s_or_b32 exec_lo, exec_lo, s27
	v_add_nc_u32_e32 v5, s17, v32
	v_add_nc_u32_e32 v6, s19, v32
	s_mov_b32 s27, -1
	s_mov_b32 s49, 0
	s_mov_b32 s33, 0
	v_mul_lo_u32 v5, v5, s16
	v_mul_lo_u32 v6, v6, s18
	s_mov_b32 s54, exec_lo
	s_delay_alu instid0(VALU_DEP_1) | instskip(NEXT) | instid1(VALU_DEP_1)
	v_sub_nc_u32_e32 v5, v5, v6
	v_cmpx_ge_u32_e64 s20, v5
; %bb.34:
	v_add_nc_u32_e32 v5, s22, v32
	v_add_nc_u32_e32 v6, s38, v32
	s_xor_b32 s27, exec_lo, -1
	s_delay_alu instid0(VALU_DEP_2) | instskip(NEXT) | instid1(VALU_DEP_2)
	v_mul_lo_u32 v5, v5, s21
	v_mul_lo_u32 v6, v6, s23
	s_delay_alu instid0(VALU_DEP_1) | instskip(NEXT) | instid1(VALU_DEP_1)
	v_sub_nc_u32_e32 v5, v5, v6
	v_cmp_lt_u32_e64 s12, s39, v5
	s_delay_alu instid0(VALU_DEP_1)
	s_and_b32 s33, s12, exec_lo
; %bb.35:
	s_or_b32 exec_lo, exec_lo, s54
	v_cndmask_b32_e64 v53, 0, 1, s53
	v_cndmask_b32_e64 v56, 0, 1, s11
	;; [unrolled: 1-line block ×22, first 2 shown]
	v_cndmask_b32_e64 v34, 0, 1, vcc_lo
	v_cndmask_b32_e64 v57, 0, 1, s52
	s_and_b32 vcc_lo, exec_lo, s49
	s_add_i32 s4, s40, 0xd00
	s_cbranch_vccnz .LBB1498_37
	s_branch .LBB1498_90
.LBB1498_36:
                                        ; implicit-def: $sgpr27
                                        ; implicit-def: $sgpr33
                                        ; implicit-def: $vgpr57
                                        ; implicit-def: $vgpr53
                                        ; implicit-def: $vgpr52
                                        ; implicit-def: $vgpr50
                                        ; implicit-def: $vgpr48
                                        ; implicit-def: $vgpr46
                                        ; implicit-def: $vgpr44
                                        ; implicit-def: $vgpr42
                                        ; implicit-def: $vgpr39
                                        ; implicit-def: $vgpr34
                                        ; implicit-def: $vgpr37
                                        ; implicit-def: $vgpr36
                                        ; implicit-def: $vgpr41
                                        ; implicit-def: $vgpr43
                                        ; implicit-def: $vgpr45
                                        ; implicit-def: $vgpr47
                                        ; implicit-def: $vgpr49
                                        ; implicit-def: $vgpr51
                                        ; implicit-def: $vgpr54
                                        ; implicit-def: $vgpr55
                                        ; implicit-def: $vgpr56
                                        ; implicit-def: $vgpr35
                                        ; implicit-def: $vgpr40
                                        ; implicit-def: $vgpr38
	s_add_i32 s4, s40, 0xd00
	s_cbranch_execz .LBB1498_90
.LBB1498_37:
	v_dual_mov_b32 v35, 0 :: v_dual_mov_b32 v34, 0
	s_mov_b32 s3, 0
	s_mov_b32 s1, exec_lo
	v_cmpx_gt_u32_e64 s4, v33
	s_cbranch_execz .LBB1498_41
; %bb.38:
	v_add_nc_u32_e32 v5, s17, v20
	v_add_nc_u32_e32 v6, s19, v20
	s_mov_b32 s5, exec_lo
	s_delay_alu instid0(VALU_DEP_2) | instskip(NEXT) | instid1(VALU_DEP_2)
	v_mul_lo_u32 v5, v5, s16
	v_mul_lo_u32 v6, v6, s18
	s_delay_alu instid0(VALU_DEP_1) | instskip(NEXT) | instid1(VALU_DEP_1)
	v_sub_nc_u32_e32 v5, v5, v6
	v_cmp_lt_u32_e32 vcc_lo, s20, v5
	v_cmpx_ge_u32_e64 s20, v5
; %bb.39:
	v_add_nc_u32_e32 v5, s22, v20
	v_add_nc_u32_e32 v6, s38, v20
	s_delay_alu instid0(VALU_DEP_2) | instskip(NEXT) | instid1(VALU_DEP_2)
	v_mul_lo_u32 v5, v5, s21
	v_mul_lo_u32 v6, v6, s23
	s_delay_alu instid0(VALU_DEP_1) | instskip(NEXT) | instid1(VALU_DEP_1)
	v_sub_nc_u32_e32 v5, v5, v6
	v_cmp_lt_u32_e64 s0, s39, v5
	s_delay_alu instid0(VALU_DEP_1)
	s_and_b32 s3, s0, exec_lo
; %bb.40:
	s_or_b32 exec_lo, exec_lo, s5
	v_cndmask_b32_e64 v34, 0, 1, vcc_lo
	v_cndmask_b32_e64 v35, 0, 1, s3
.LBB1498_41:
	s_or_b32 exec_lo, exec_lo, s1
	v_dual_mov_b32 v40, 0 :: v_dual_add_nc_u32 v5, 1, v33
	v_mov_b32_e32 v37, 0
	s_mov_b32 s3, 0
	s_mov_b32 s1, exec_lo
	s_delay_alu instid0(VALU_DEP_2)
	v_cmpx_gt_u32_e64 s4, v5
	s_cbranch_execz .LBB1498_45
; %bb.42:
	v_add_nc_u32_e32 v5, s17, v21
	v_add_nc_u32_e32 v6, s19, v21
	s_mov_b32 s5, exec_lo
	s_delay_alu instid0(VALU_DEP_2) | instskip(NEXT) | instid1(VALU_DEP_2)
	v_mul_lo_u32 v5, v5, s16
	v_mul_lo_u32 v6, v6, s18
	s_delay_alu instid0(VALU_DEP_1) | instskip(NEXT) | instid1(VALU_DEP_1)
	v_sub_nc_u32_e32 v5, v5, v6
	v_cmp_lt_u32_e32 vcc_lo, s20, v5
	v_cmpx_ge_u32_e64 s20, v5
; %bb.43:
	v_add_nc_u32_e32 v5, s22, v21
	v_add_nc_u32_e32 v6, s38, v21
	s_delay_alu instid0(VALU_DEP_2) | instskip(NEXT) | instid1(VALU_DEP_2)
	v_mul_lo_u32 v5, v5, s21
	v_mul_lo_u32 v6, v6, s23
	s_delay_alu instid0(VALU_DEP_1) | instskip(NEXT) | instid1(VALU_DEP_1)
	v_sub_nc_u32_e32 v5, v5, v6
	v_cmp_lt_u32_e64 s0, s39, v5
	s_delay_alu instid0(VALU_DEP_1)
	s_and_b32 s3, s0, exec_lo
; %bb.44:
	s_or_b32 exec_lo, exec_lo, s5
	v_cndmask_b32_e64 v37, 0, 1, vcc_lo
	v_cndmask_b32_e64 v40, 0, 1, s3
.LBB1498_45:
	s_or_b32 exec_lo, exec_lo, s1
	v_dual_mov_b32 v36, 0 :: v_dual_add_nc_u32 v5, 2, v33
	v_mov_b32_e32 v38, 0
	s_mov_b32 s3, 0
	s_mov_b32 s1, exec_lo
	s_delay_alu instid0(VALU_DEP_2)
	v_cmpx_gt_u32_e64 s4, v5
	s_cbranch_execz .LBB1498_49
; %bb.46:
	v_add_nc_u32_e32 v5, s17, v18
	v_add_nc_u32_e32 v6, s19, v18
	s_mov_b32 s5, exec_lo
	s_delay_alu instid0(VALU_DEP_2) | instskip(NEXT) | instid1(VALU_DEP_2)
	v_mul_lo_u32 v5, v5, s16
	v_mul_lo_u32 v6, v6, s18
	s_delay_alu instid0(VALU_DEP_1) | instskip(NEXT) | instid1(VALU_DEP_1)
	v_sub_nc_u32_e32 v5, v5, v6
	v_cmp_lt_u32_e32 vcc_lo, s20, v5
	v_cmpx_ge_u32_e64 s20, v5
; %bb.47:
	v_add_nc_u32_e32 v5, s22, v18
	v_add_nc_u32_e32 v6, s38, v18
	s_delay_alu instid0(VALU_DEP_2) | instskip(NEXT) | instid1(VALU_DEP_2)
	v_mul_lo_u32 v5, v5, s21
	v_mul_lo_u32 v6, v6, s23
	s_delay_alu instid0(VALU_DEP_1) | instskip(NEXT) | instid1(VALU_DEP_1)
	v_sub_nc_u32_e32 v5, v5, v6
	v_cmp_lt_u32_e64 s0, s39, v5
	s_delay_alu instid0(VALU_DEP_1)
	s_and_b32 s3, s0, exec_lo
; %bb.48:
	s_or_b32 exec_lo, exec_lo, s5
	v_cndmask_b32_e64 v36, 0, 1, vcc_lo
	v_cndmask_b32_e64 v38, 0, 1, s3
.LBB1498_49:
	s_or_b32 exec_lo, exec_lo, s1
	v_add_nc_u32_e32 v5, 3, v33
	v_mov_b32_e32 v39, 0
	v_mov_b32_e32 v41, 0
	s_mov_b32 s3, 0
	s_mov_b32 s1, exec_lo
	v_cmpx_gt_u32_e64 s4, v5
	s_cbranch_execz .LBB1498_53
; %bb.50:
	v_add_nc_u32_e32 v5, s17, v19
	v_add_nc_u32_e32 v6, s19, v19
	s_mov_b32 s5, exec_lo
	s_delay_alu instid0(VALU_DEP_2) | instskip(NEXT) | instid1(VALU_DEP_2)
	v_mul_lo_u32 v5, v5, s16
	v_mul_lo_u32 v6, v6, s18
	s_delay_alu instid0(VALU_DEP_1) | instskip(NEXT) | instid1(VALU_DEP_1)
	v_sub_nc_u32_e32 v5, v5, v6
	v_cmp_lt_u32_e32 vcc_lo, s20, v5
	v_cmpx_ge_u32_e64 s20, v5
; %bb.51:
	v_add_nc_u32_e32 v5, s22, v19
	v_add_nc_u32_e32 v6, s38, v19
	s_delay_alu instid0(VALU_DEP_2) | instskip(NEXT) | instid1(VALU_DEP_2)
	v_mul_lo_u32 v5, v5, s21
	v_mul_lo_u32 v6, v6, s23
	s_delay_alu instid0(VALU_DEP_1) | instskip(NEXT) | instid1(VALU_DEP_1)
	v_sub_nc_u32_e32 v5, v5, v6
	v_cmp_lt_u32_e64 s0, s39, v5
	s_delay_alu instid0(VALU_DEP_1)
	s_and_b32 s3, s0, exec_lo
; %bb.52:
	s_or_b32 exec_lo, exec_lo, s5
	v_cndmask_b32_e64 v41, 0, 1, vcc_lo
	v_cndmask_b32_e64 v39, 0, 1, s3
.LBB1498_53:
	s_or_b32 exec_lo, exec_lo, s1
	v_dual_mov_b32 v42, 0 :: v_dual_add_nc_u32 v5, 4, v33
	v_mov_b32_e32 v43, 0
	s_mov_b32 s3, 0
	s_mov_b32 s1, exec_lo
	s_delay_alu instid0(VALU_DEP_2)
	v_cmpx_gt_u32_e64 s4, v5
	s_cbranch_execz .LBB1498_57
; %bb.54:
	v_add_nc_u32_e32 v5, s17, v16
	v_add_nc_u32_e32 v6, s19, v16
	s_mov_b32 s5, exec_lo
	s_delay_alu instid0(VALU_DEP_2) | instskip(NEXT) | instid1(VALU_DEP_2)
	v_mul_lo_u32 v5, v5, s16
	v_mul_lo_u32 v6, v6, s18
	s_delay_alu instid0(VALU_DEP_1) | instskip(NEXT) | instid1(VALU_DEP_1)
	v_sub_nc_u32_e32 v5, v5, v6
	v_cmp_lt_u32_e32 vcc_lo, s20, v5
	v_cmpx_ge_u32_e64 s20, v5
; %bb.55:
	v_add_nc_u32_e32 v5, s22, v16
	v_add_nc_u32_e32 v6, s38, v16
	s_delay_alu instid0(VALU_DEP_2) | instskip(NEXT) | instid1(VALU_DEP_2)
	v_mul_lo_u32 v5, v5, s21
	v_mul_lo_u32 v6, v6, s23
	s_delay_alu instid0(VALU_DEP_1) | instskip(NEXT) | instid1(VALU_DEP_1)
	v_sub_nc_u32_e32 v5, v5, v6
	v_cmp_lt_u32_e64 s0, s39, v5
	s_delay_alu instid0(VALU_DEP_1)
	s_and_b32 s3, s0, exec_lo
; %bb.56:
	s_or_b32 exec_lo, exec_lo, s5
	v_cndmask_b32_e64 v43, 0, 1, vcc_lo
	v_cndmask_b32_e64 v42, 0, 1, s3
.LBB1498_57:
	s_or_b32 exec_lo, exec_lo, s1
	v_dual_mov_b32 v44, 0 :: v_dual_add_nc_u32 v5, 5, v33
	v_mov_b32_e32 v45, 0
	s_mov_b32 s3, 0
	s_mov_b32 s1, exec_lo
	s_delay_alu instid0(VALU_DEP_2)
	;; [unrolled: 35-line block ×6, first 2 shown]
	v_cmpx_gt_u32_e64 s4, v5
	s_cbranch_execz .LBB1498_77
; %bb.74:
	v_add_nc_u32_e32 v5, s17, v13
	v_add_nc_u32_e32 v6, s19, v13
	s_mov_b32 s5, exec_lo
	s_delay_alu instid0(VALU_DEP_2) | instskip(NEXT) | instid1(VALU_DEP_2)
	v_mul_lo_u32 v5, v5, s16
	v_mul_lo_u32 v6, v6, s18
	s_delay_alu instid0(VALU_DEP_1) | instskip(NEXT) | instid1(VALU_DEP_1)
	v_sub_nc_u32_e32 v5, v5, v6
	v_cmp_lt_u32_e32 vcc_lo, s20, v5
	v_cmpx_ge_u32_e64 s20, v5
; %bb.75:
	v_add_nc_u32_e32 v5, s22, v13
	v_add_nc_u32_e32 v6, s38, v13
	s_delay_alu instid0(VALU_DEP_2) | instskip(NEXT) | instid1(VALU_DEP_2)
	v_mul_lo_u32 v5, v5, s21
	v_mul_lo_u32 v6, v6, s23
	s_delay_alu instid0(VALU_DEP_1) | instskip(NEXT) | instid1(VALU_DEP_1)
	v_sub_nc_u32_e32 v5, v5, v6
	v_cmp_lt_u32_e64 s0, s39, v5
	s_delay_alu instid0(VALU_DEP_1)
	s_and_b32 s3, s0, exec_lo
; %bb.76:
	s_or_b32 exec_lo, exec_lo, s5
	v_cndmask_b32_e64 v54, 0, 1, vcc_lo
	v_cndmask_b32_e64 v52, 0, 1, s3
.LBB1498_77:
	s_or_b32 exec_lo, exec_lo, s1
	v_add_nc_u32_e32 v5, 10, v33
	v_mov_b32_e32 v53, 0
	v_mov_b32_e32 v55, 0
	s_mov_b32 s3, 0
	s_mov_b32 s1, exec_lo
	v_cmpx_gt_u32_e64 s4, v5
	s_cbranch_execz .LBB1498_81
; %bb.78:
	v_add_nc_u32_e32 v5, s17, v10
	v_add_nc_u32_e32 v6, s19, v10
	s_mov_b32 s5, exec_lo
	s_delay_alu instid0(VALU_DEP_2) | instskip(NEXT) | instid1(VALU_DEP_2)
	v_mul_lo_u32 v5, v5, s16
	v_mul_lo_u32 v6, v6, s18
	s_delay_alu instid0(VALU_DEP_1) | instskip(NEXT) | instid1(VALU_DEP_1)
	v_sub_nc_u32_e32 v5, v5, v6
	v_cmp_lt_u32_e32 vcc_lo, s20, v5
	v_cmpx_ge_u32_e64 s20, v5
; %bb.79:
	v_add_nc_u32_e32 v5, s22, v10
	v_add_nc_u32_e32 v6, s38, v10
	s_delay_alu instid0(VALU_DEP_2) | instskip(NEXT) | instid1(VALU_DEP_2)
	v_mul_lo_u32 v5, v5, s21
	v_mul_lo_u32 v6, v6, s23
	s_delay_alu instid0(VALU_DEP_1) | instskip(NEXT) | instid1(VALU_DEP_1)
	v_sub_nc_u32_e32 v5, v5, v6
	v_cmp_lt_u32_e64 s0, s39, v5
	s_delay_alu instid0(VALU_DEP_1)
	s_and_b32 s3, s0, exec_lo
; %bb.80:
	s_or_b32 exec_lo, exec_lo, s5
	v_cndmask_b32_e64 v55, 0, 1, vcc_lo
	v_cndmask_b32_e64 v53, 0, 1, s3
.LBB1498_81:
	s_or_b32 exec_lo, exec_lo, s1
	v_dual_mov_b32 v56, 0 :: v_dual_add_nc_u32 v5, 11, v33
	v_mov_b32_e32 v57, 0
	s_mov_b32 s3, 0
	s_mov_b32 s1, exec_lo
	s_delay_alu instid0(VALU_DEP_2)
	v_cmpx_gt_u32_e64 s4, v5
	s_cbranch_execz .LBB1498_85
; %bb.82:
	v_add_nc_u32_e32 v5, s17, v11
	v_add_nc_u32_e32 v6, s19, v11
	s_mov_b32 s5, exec_lo
	s_delay_alu instid0(VALU_DEP_2) | instskip(NEXT) | instid1(VALU_DEP_2)
	v_mul_lo_u32 v5, v5, s16
	v_mul_lo_u32 v6, v6, s18
	s_delay_alu instid0(VALU_DEP_1) | instskip(NEXT) | instid1(VALU_DEP_1)
	v_sub_nc_u32_e32 v5, v5, v6
	v_cmp_lt_u32_e32 vcc_lo, s20, v5
	v_cmpx_ge_u32_e64 s20, v5
; %bb.83:
	v_add_nc_u32_e32 v5, s22, v11
	v_add_nc_u32_e32 v6, s38, v11
	s_delay_alu instid0(VALU_DEP_2) | instskip(NEXT) | instid1(VALU_DEP_2)
	v_mul_lo_u32 v5, v5, s21
	v_mul_lo_u32 v6, v6, s23
	s_delay_alu instid0(VALU_DEP_1) | instskip(NEXT) | instid1(VALU_DEP_1)
	v_sub_nc_u32_e32 v5, v5, v6
	v_cmp_lt_u32_e64 s0, s39, v5
	s_delay_alu instid0(VALU_DEP_1)
	s_and_b32 s3, s0, exec_lo
; %bb.84:
	s_or_b32 exec_lo, exec_lo, s5
	v_cndmask_b32_e64 v56, 0, 1, vcc_lo
	v_cndmask_b32_e64 v57, 0, 1, s3
.LBB1498_85:
	s_or_b32 exec_lo, exec_lo, s1
	v_add_nc_u32_e32 v5, 12, v33
	s_mov_b32 s27, 0
	s_mov_b32 s33, 0
	s_mov_b32 s0, exec_lo
	s_delay_alu instid0(VALU_DEP_1)
	v_cmpx_gt_u32_e64 s4, v5
	s_cbranch_execz .LBB1498_89
; %bb.86:
	v_add_nc_u32_e32 v5, s17, v32
	v_add_nc_u32_e32 v6, s19, v32
	s_mov_b32 s3, -1
	s_mov_b32 s5, 0
	s_mov_b32 s1, exec_lo
	v_mul_lo_u32 v5, v5, s16
	v_mul_lo_u32 v6, v6, s18
	s_delay_alu instid0(VALU_DEP_1) | instskip(NEXT) | instid1(VALU_DEP_1)
	v_sub_nc_u32_e32 v5, v5, v6
	v_cmpx_ge_u32_e64 s20, v5
; %bb.87:
	v_add_nc_u32_e32 v5, s22, v32
	v_add_nc_u32_e32 v6, s38, v32
	s_xor_b32 s3, exec_lo, -1
	s_delay_alu instid0(VALU_DEP_2) | instskip(NEXT) | instid1(VALU_DEP_2)
	v_mul_lo_u32 v5, v5, s21
	v_mul_lo_u32 v6, v6, s23
	s_delay_alu instid0(VALU_DEP_1) | instskip(NEXT) | instid1(VALU_DEP_1)
	v_sub_nc_u32_e32 v5, v5, v6
	v_cmp_lt_u32_e32 vcc_lo, s39, v5
	s_and_b32 s5, vcc_lo, exec_lo
; %bb.88:
	s_or_b32 exec_lo, exec_lo, s1
	s_delay_alu instid0(SALU_CYCLE_1)
	s_and_b32 s33, s5, exec_lo
	s_and_b32 s27, s3, exec_lo
.LBB1498_89:
	s_or_b32 exec_lo, exec_lo, s0
.LBB1498_90:
	v_and_b32_e32 v80, 0xff, v34
	v_and_b32_e32 v81, 0xff, v35
	v_and_b32_e32 v76, 0xff, v37
	v_and_b32_e32 v77, 0xff, v40
	v_and_b32_e32 v78, 0xff, v36
	v_and_b32_e32 v79, 0xff, v38
	v_and_b32_e32 v74, 0xff, v41
	v_and_b32_e32 v75, 0xff, v39
	v_and_b32_e32 v72, 0xff, v43
	v_and_b32_e32 v73, 0xff, v42
	v_add3_u32 v5, v76, v78, v80
	v_add3_u32 v6, v77, v79, v81
	v_and_b32_e32 v70, 0xff, v45
	v_and_b32_e32 v71, 0xff, v44
	v_and_b32_e32 v64, 0xff, v47
	v_and_b32_e32 v65, 0xff, v46
	v_add3_u32 v5, v5, v74, v72
	v_add3_u32 v6, v6, v75, v73
	v_and_b32_e32 v68, 0xff, v49
	v_and_b32_e32 v69, 0xff, v48
	v_and_b32_e32 v66, 0xff, v51
	v_and_b32_e32 v67, 0xff, v50
	;; [unrolled: 6-line block ×3, first 2 shown]
	v_add3_u32 v5, v5, v68, v66
	v_add3_u32 v6, v6, v69, v67
	v_mbcnt_lo_u32_b32 v82, -1, 0
	v_and_b32_e32 v58, 0xff, v56
	v_and_b32_e32 v59, 0xff, v57
	v_cndmask_b32_e64 v7, 0, 1, s33
	v_add3_u32 v5, v5, v61, v60
	v_cndmask_b32_e64 v8, 0, 1, s27
	v_add3_u32 v6, v6, v62, v63
	v_and_b32_e32 v86, 15, v82
	v_and_b32_e32 v85, 16, v82
	v_lshrrev_b32_e32 v83, 5, v0
	v_add3_u32 v87, v5, v58, v8
	v_add3_u32 v88, v6, v59, v7
	v_cmp_eq_u32_e64 s1, 0, v86
	v_cmp_lt_u32_e64 s0, 1, v86
	v_cmp_lt_u32_e64 s3, 3, v86
	v_cmp_lt_u32_e32 vcc_lo, 7, v86
	v_or_b32_e32 v84, 31, v0
	s_cmp_lg_u32 s26, 0
	s_mov_b32 s5, -1
	s_cbranch_scc0 .LBB1498_118
; %bb.91:
	v_mov_b32_dpp v5, v88 row_shr:1 row_mask:0xf bank_mask:0xf
	v_mov_b32_dpp v6, v87 row_shr:1 row_mask:0xf bank_mask:0xf
	s_delay_alu instid0(VALU_DEP_2) | instskip(NEXT) | instid1(VALU_DEP_2)
	v_add_nc_u32_e32 v5, v5, v88
	v_add_nc_u32_e32 v6, v6, v87
	s_delay_alu instid0(VALU_DEP_2) | instskip(NEXT) | instid1(VALU_DEP_2)
	v_cndmask_b32_e64 v5, v5, v88, s1
	v_cndmask_b32_e64 v6, v6, v87, s1
	s_delay_alu instid0(VALU_DEP_2) | instskip(NEXT) | instid1(VALU_DEP_2)
	v_mov_b32_dpp v7, v5 row_shr:2 row_mask:0xf bank_mask:0xf
	v_mov_b32_dpp v8, v6 row_shr:2 row_mask:0xf bank_mask:0xf
	s_delay_alu instid0(VALU_DEP_2) | instskip(NEXT) | instid1(VALU_DEP_1)
	v_add_nc_u32_e32 v7, v5, v7
	v_cndmask_b32_e64 v5, v5, v7, s0
	s_delay_alu instid0(VALU_DEP_1) | instskip(NEXT) | instid1(VALU_DEP_1)
	v_mov_b32_dpp v7, v5 row_shr:4 row_mask:0xf bank_mask:0xf
	v_add_nc_u32_e32 v7, v5, v7
	s_delay_alu instid0(VALU_DEP_1) | instskip(NEXT) | instid1(VALU_DEP_1)
	v_cndmask_b32_e64 v5, v5, v7, s3
	v_mov_b32_dpp v7, v5 row_shr:8 row_mask:0xf bank_mask:0xf
	s_delay_alu instid0(VALU_DEP_1) | instskip(NEXT) | instid1(VALU_DEP_1)
	v_add_nc_u32_e32 v7, v5, v7
	v_dual_cndmask_b32 v5, v5, v7 :: v_dual_add_nc_u32 v8, v6, v8
	s_delay_alu instid0(VALU_DEP_1) | instskip(NEXT) | instid1(VALU_DEP_1)
	v_cndmask_b32_e64 v6, v6, v8, s0
	v_mov_b32_dpp v8, v6 row_shr:4 row_mask:0xf bank_mask:0xf
	s_delay_alu instid0(VALU_DEP_1) | instskip(NEXT) | instid1(VALU_DEP_1)
	v_add_nc_u32_e32 v8, v6, v8
	v_cndmask_b32_e64 v6, v6, v8, s3
	s_mov_b32 s3, exec_lo
	s_delay_alu instid0(VALU_DEP_1) | instskip(NEXT) | instid1(VALU_DEP_1)
	v_mov_b32_dpp v8, v6 row_shr:8 row_mask:0xf bank_mask:0xf
	v_add_nc_u32_e32 v8, v6, v8
	s_delay_alu instid0(VALU_DEP_1)
	v_cndmask_b32_e32 v7, v6, v8, vcc_lo
	ds_swizzle_b32 v6, v5 offset:swizzle(BROADCAST,32,15)
	v_cmp_eq_u32_e32 vcc_lo, 0, v85
	s_waitcnt lgkmcnt(0)
	v_add_nc_u32_e32 v6, v5, v6
	ds_swizzle_b32 v8, v7 offset:swizzle(BROADCAST,32,15)
	v_cndmask_b32_e32 v6, v6, v5, vcc_lo
	s_waitcnt lgkmcnt(0)
	v_add_nc_u32_e32 v8, v7, v8
	s_delay_alu instid0(VALU_DEP_1)
	v_cndmask_b32_e32 v5, v8, v7, vcc_lo
	v_cmpx_eq_u32_e64 v84, v0
	s_cbranch_execz .LBB1498_93
; %bb.92:
	v_lshlrev_b32_e32 v7, 3, v83
	ds_store_b64 v7, v[5:6]
.LBB1498_93:
	s_or_b32 exec_lo, exec_lo, s3
	s_delay_alu instid0(SALU_CYCLE_1)
	s_mov_b32 s3, exec_lo
	s_waitcnt lgkmcnt(0)
	s_barrier
	buffer_gl0_inv
	v_cmpx_gt_u32_e32 8, v0
	s_cbranch_execz .LBB1498_95
; %bb.94:
	v_lshlrev_b32_e32 v9, 3, v0
	ds_load_b64 v[7:8], v9
	s_waitcnt lgkmcnt(0)
	v_mov_b32_dpp v22, v7 row_shr:1 row_mask:0xf bank_mask:0xf
	v_mov_b32_dpp v23, v8 row_shr:1 row_mask:0xf bank_mask:0xf
	s_delay_alu instid0(VALU_DEP_2) | instskip(SKIP_1) | instid1(VALU_DEP_3)
	v_add_nc_u32_e32 v22, v22, v7
	v_and_b32_e32 v24, 7, v82
	v_add_nc_u32_e32 v23, v23, v8
	s_delay_alu instid0(VALU_DEP_2) | instskip(NEXT) | instid1(VALU_DEP_2)
	v_cmp_eq_u32_e32 vcc_lo, 0, v24
	v_dual_cndmask_b32 v8, v23, v8 :: v_dual_cndmask_b32 v7, v22, v7
	v_cmp_lt_u32_e32 vcc_lo, 1, v24
	s_delay_alu instid0(VALU_DEP_2) | instskip(NEXT) | instid1(VALU_DEP_3)
	v_mov_b32_dpp v23, v8 row_shr:2 row_mask:0xf bank_mask:0xf
	v_mov_b32_dpp v22, v7 row_shr:2 row_mask:0xf bank_mask:0xf
	s_delay_alu instid0(VALU_DEP_2) | instskip(NEXT) | instid1(VALU_DEP_2)
	v_add_nc_u32_e32 v23, v8, v23
	v_add_nc_u32_e32 v22, v7, v22
	s_delay_alu instid0(VALU_DEP_1) | instskip(SKIP_1) | instid1(VALU_DEP_2)
	v_dual_cndmask_b32 v8, v8, v23 :: v_dual_cndmask_b32 v7, v7, v22
	v_cmp_lt_u32_e32 vcc_lo, 3, v24
	v_mov_b32_dpp v23, v8 row_shr:4 row_mask:0xf bank_mask:0xf
	s_delay_alu instid0(VALU_DEP_3) | instskip(NEXT) | instid1(VALU_DEP_1)
	v_mov_b32_dpp v22, v7 row_shr:4 row_mask:0xf bank_mask:0xf
	v_dual_cndmask_b32 v23, 0, v23 :: v_dual_cndmask_b32 v22, 0, v22
	s_delay_alu instid0(VALU_DEP_1) | instskip(NEXT) | instid1(VALU_DEP_2)
	v_add_nc_u32_e32 v8, v23, v8
	v_add_nc_u32_e32 v7, v22, v7
	ds_store_b64 v9, v[7:8]
.LBB1498_95:
	s_or_b32 exec_lo, exec_lo, s3
	v_cmp_gt_u32_e32 vcc_lo, 32, v0
	v_cmp_lt_u32_e64 s3, 31, v0
	s_waitcnt lgkmcnt(0)
	s_barrier
	buffer_gl0_inv
                                        ; implicit-def: $vgpr23
	s_and_saveexec_b32 s5, s3
	s_delay_alu instid0(SALU_CYCLE_1)
	s_xor_b32 s3, exec_lo, s5
	s_cbranch_execz .LBB1498_97
; %bb.96:
	v_lshl_add_u32 v7, v83, 3, -8
	ds_load_b64 v[22:23], v7
	s_waitcnt lgkmcnt(0)
	v_add_nc_u32_e32 v6, v23, v6
	v_add_nc_u32_e32 v5, v22, v5
.LBB1498_97:
	s_and_not1_saveexec_b32 s3, s3
; %bb.98:
                                        ; implicit-def: $vgpr22
; %bb.99:
	s_delay_alu instid0(SALU_CYCLE_1) | instskip(SKIP_1) | instid1(VALU_DEP_1)
	s_or_b32 exec_lo, exec_lo, s3
	v_add_nc_u32_e32 v7, -1, v82
	v_cmp_gt_i32_e64 s3, 0, v7
	s_delay_alu instid0(VALU_DEP_1) | instskip(SKIP_1) | instid1(VALU_DEP_2)
	v_cndmask_b32_e64 v7, v7, v82, s3
	v_cmp_eq_u32_e64 s3, 0, v82
	v_lshlrev_b32_e32 v7, 2, v7
	ds_bpermute_b32 v89, v7, v5
	ds_bpermute_b32 v90, v7, v6
	s_and_saveexec_b32 s5, vcc_lo
	s_cbranch_execz .LBB1498_117
; %bb.100:
	v_mov_b32_e32 v8, 0
	ds_load_b64 v[5:6], v8 offset:56
	s_waitcnt lgkmcnt(0)
	v_readfirstlane_b32 s6, v6
	s_and_saveexec_b32 s7, s3
	s_cbranch_execz .LBB1498_102
; %bb.101:
	s_add_i32 s8, s26, 32
	s_mov_b32 s9, 0
	v_mov_b32_e32 v7, 1
	s_lshl_b64 s[10:11], s[8:9], 4
	s_mov_b32 s16, s9
	s_add_u32 s10, s36, s10
	s_addc_u32 s11, s37, s11
	s_and_b32 s17, s6, 0xff000000
	s_and_b32 s19, s6, 0xff0000
	s_mov_b32 s18, s9
	v_dual_mov_b32 v25, s11 :: v_dual_mov_b32 v24, s10
	s_or_b64 s[16:17], s[18:19], s[16:17]
	s_and_b32 s19, s6, 0xff00
	s_delay_alu instid0(SALU_CYCLE_1) | instskip(SKIP_1) | instid1(SALU_CYCLE_1)
	s_or_b64 s[16:17], s[16:17], s[18:19]
	s_and_b32 s19, s6, 0xff
	s_or_b64 s[8:9], s[16:17], s[18:19]
	s_delay_alu instid0(SALU_CYCLE_1)
	v_mov_b32_e32 v6, s9
	;;#ASMSTART
	global_store_dwordx4 v[24:25], v[5:8] off	
s_waitcnt vmcnt(0)
	;;#ASMEND
.LBB1498_102:
	s_or_b32 exec_lo, exec_lo, s7
	v_xad_u32 v24, v82, -1, s26
	s_mov_b32 s8, 0
	s_mov_b32 s7, exec_lo
	s_delay_alu instid0(VALU_DEP_1) | instskip(NEXT) | instid1(VALU_DEP_1)
	v_add_nc_u32_e32 v7, 32, v24
	v_lshlrev_b64 v[6:7], 4, v[7:8]
	s_delay_alu instid0(VALU_DEP_1) | instskip(NEXT) | instid1(VALU_DEP_2)
	v_add_co_u32 v25, vcc_lo, s36, v6
	v_add_co_ci_u32_e32 v26, vcc_lo, s37, v7, vcc_lo
	;;#ASMSTART
	global_load_dwordx4 v[6:9], v[25:26] off glc	
s_waitcnt vmcnt(0)
	;;#ASMEND
	v_and_b32_e32 v9, 0xff, v7
	v_and_b32_e32 v27, 0xff00, v7
	v_or3_b32 v6, v6, 0, 0
	v_and_b32_e32 v28, 0xff000000, v7
	v_and_b32_e32 v7, 0xff0000, v7
	s_delay_alu instid0(VALU_DEP_4) | instskip(SKIP_2) | instid1(VALU_DEP_3)
	v_or3_b32 v9, 0, v9, v27
	v_and_b32_e32 v27, 0xff, v8
	v_or3_b32 v6, v6, 0, 0
	v_or3_b32 v7, v9, v7, v28
	s_delay_alu instid0(VALU_DEP_3)
	v_cmpx_eq_u16_e32 0, v27
	s_cbranch_execz .LBB1498_105
.LBB1498_103:                           ; =>This Inner Loop Header: Depth=1
	;;#ASMSTART
	global_load_dwordx4 v[6:9], v[25:26] off glc	
s_waitcnt vmcnt(0)
	;;#ASMEND
	v_and_b32_e32 v9, 0xff, v8
	s_delay_alu instid0(VALU_DEP_1) | instskip(SKIP_1) | instid1(SALU_CYCLE_1)
	v_cmp_ne_u16_e32 vcc_lo, 0, v9
	s_or_b32 s8, vcc_lo, s8
	s_and_not1_b32 exec_lo, exec_lo, s8
	s_cbranch_execnz .LBB1498_103
; %bb.104:
	s_or_b32 exec_lo, exec_lo, s8
.LBB1498_105:
	s_delay_alu instid0(SALU_CYCLE_1) | instskip(SKIP_3) | instid1(VALU_DEP_1)
	s_or_b32 exec_lo, exec_lo, s7
	v_cmp_ne_u32_e32 vcc_lo, 31, v82
	v_lshlrev_b32_e64 v92, v82, -1
	v_add_co_ci_u32_e32 v9, vcc_lo, 0, v82, vcc_lo
	v_lshlrev_b32_e32 v91, 2, v9
	ds_bpermute_b32 v25, v91, v7
	ds_bpermute_b32 v9, v91, v6
	s_waitcnt lgkmcnt(1)
	v_add_nc_u32_e32 v25, v25, v7
	v_and_b32_e32 v26, 0xff, v8
	s_waitcnt lgkmcnt(0)
	v_add_nc_u32_e32 v9, v9, v6
	s_delay_alu instid0(VALU_DEP_2) | instskip(SKIP_2) | instid1(VALU_DEP_2)
	v_cmp_eq_u16_e32 vcc_lo, 2, v26
	v_and_or_b32 v26, vcc_lo, v92, 0x80000000
	v_cmp_gt_u32_e32 vcc_lo, 30, v82
	v_ctz_i32_b32_e32 v26, v26
	v_cndmask_b32_e64 v27, 0, 1, vcc_lo
	s_delay_alu instid0(VALU_DEP_2) | instskip(NEXT) | instid1(VALU_DEP_2)
	v_cmp_lt_u32_e32 vcc_lo, v82, v26
	v_dual_cndmask_b32 v6, v6, v9 :: v_dual_lshlrev_b32 v27, 1, v27
	s_delay_alu instid0(VALU_DEP_1)
	v_add_lshl_u32 v93, v27, v82, 2
	v_cndmask_b32_e32 v7, v7, v25, vcc_lo
	v_cmp_gt_u32_e32 vcc_lo, 28, v82
	ds_bpermute_b32 v9, v93, v6
	ds_bpermute_b32 v25, v93, v7
	v_cndmask_b32_e64 v27, 0, 1, vcc_lo
	s_waitcnt lgkmcnt(1)
	v_add_nc_u32_e32 v9, v6, v9
	s_waitcnt lgkmcnt(0)
	v_add_nc_u32_e32 v25, v7, v25
	v_add_nc_u32_e32 v94, 2, v82
	s_delay_alu instid0(VALU_DEP_1) | instskip(NEXT) | instid1(VALU_DEP_3)
	v_cmp_gt_u32_e32 vcc_lo, v94, v26
	v_cndmask_b32_e32 v7, v25, v7, vcc_lo
	v_dual_cndmask_b32 v6, v9, v6 :: v_dual_lshlrev_b32 v27, 2, v27
	v_cmp_gt_u32_e32 vcc_lo, 24, v82
	s_delay_alu instid0(VALU_DEP_2) | instskip(SKIP_4) | instid1(VALU_DEP_1)
	v_add_lshl_u32 v95, v27, v82, 2
	v_cndmask_b32_e64 v27, 0, 1, vcc_lo
	ds_bpermute_b32 v25, v95, v7
	ds_bpermute_b32 v9, v95, v6
	v_lshlrev_b32_e32 v27, 3, v27
	v_add_lshl_u32 v97, v27, v82, 2
	s_waitcnt lgkmcnt(1)
	v_add_nc_u32_e32 v25, v7, v25
	v_add_nc_u32_e32 v96, 4, v82
	s_waitcnt lgkmcnt(0)
	v_add_nc_u32_e32 v9, v6, v9
	s_delay_alu instid0(VALU_DEP_2) | instskip(SKIP_1) | instid1(VALU_DEP_3)
	v_cmp_gt_u32_e32 vcc_lo, v96, v26
	v_cndmask_b32_e32 v7, v25, v7, vcc_lo
	v_cndmask_b32_e32 v6, v9, v6, vcc_lo
	v_cmp_gt_u32_e32 vcc_lo, 16, v82
	ds_bpermute_b32 v25, v97, v7
	ds_bpermute_b32 v9, v97, v6
	v_cndmask_b32_e64 v27, 0, 1, vcc_lo
	s_delay_alu instid0(VALU_DEP_1) | instskip(NEXT) | instid1(VALU_DEP_1)
	v_lshlrev_b32_e32 v27, 4, v27
	v_add_lshl_u32 v99, v27, v82, 2
	s_waitcnt lgkmcnt(1)
	v_add_nc_u32_e32 v25, v7, v25
	v_add_nc_u32_e32 v98, 8, v82
	s_waitcnt lgkmcnt(0)
	v_add_nc_u32_e32 v9, v6, v9
	s_delay_alu instid0(VALU_DEP_2) | instskip(SKIP_1) | instid1(VALU_DEP_3)
	v_cmp_gt_u32_e32 vcc_lo, v98, v26
	v_cndmask_b32_e32 v7, v25, v7, vcc_lo
	v_cndmask_b32_e32 v6, v9, v6, vcc_lo
	ds_bpermute_b32 v25, v99, v7
	ds_bpermute_b32 v9, v99, v6
	v_add_nc_u32_e32 v100, 16, v82
	s_delay_alu instid0(VALU_DEP_1) | instskip(SKIP_2) | instid1(VALU_DEP_1)
	v_cmp_le_u32_e32 vcc_lo, v100, v26
	s_waitcnt lgkmcnt(0)
	v_cndmask_b32_e32 v9, 0, v9, vcc_lo
	v_dual_cndmask_b32 v25, 0, v25 :: v_dual_add_nc_u32 v6, v9, v6
	s_delay_alu instid0(VALU_DEP_1)
	v_add_nc_u32_e32 v7, v25, v7
	v_mov_b32_e32 v25, 0
	s_branch .LBB1498_107
.LBB1498_106:                           ;   in Loop: Header=BB1498_107 Depth=1
	s_or_b32 exec_lo, exec_lo, s7
	ds_bpermute_b32 v9, v91, v6
	ds_bpermute_b32 v28, v91, v7
	v_subrev_nc_u32_e32 v24, 32, v24
	s_waitcnt lgkmcnt(1)
	v_add_nc_u32_e32 v9, v9, v6
	v_and_b32_e32 v29, 0xff, v8
	s_waitcnt lgkmcnt(0)
	v_add_nc_u32_e32 v28, v28, v7
	s_delay_alu instid0(VALU_DEP_2) | instskip(SKIP_1) | instid1(VALU_DEP_1)
	v_cmp_eq_u16_e32 vcc_lo, 2, v29
	v_and_or_b32 v29, vcc_lo, v92, 0x80000000
	v_ctz_i32_b32_e32 v29, v29
	s_delay_alu instid0(VALU_DEP_1)
	v_cmp_lt_u32_e32 vcc_lo, v82, v29
	v_cndmask_b32_e32 v6, v6, v9, vcc_lo
	ds_bpermute_b32 v9, v93, v6
	s_waitcnt lgkmcnt(0)
	v_add_nc_u32_e32 v9, v6, v9
	v_cndmask_b32_e32 v7, v7, v28, vcc_lo
	v_cmp_gt_u32_e32 vcc_lo, v94, v29
	s_delay_alu instid0(VALU_DEP_3)
	v_cndmask_b32_e32 v6, v9, v6, vcc_lo
	ds_bpermute_b32 v28, v93, v7
	ds_bpermute_b32 v9, v95, v6
	s_waitcnt lgkmcnt(1)
	v_add_nc_u32_e32 v28, v7, v28
	s_waitcnt lgkmcnt(0)
	v_add_nc_u32_e32 v9, v6, v9
	s_delay_alu instid0(VALU_DEP_2) | instskip(SKIP_1) | instid1(VALU_DEP_3)
	v_cndmask_b32_e32 v7, v28, v7, vcc_lo
	v_cmp_gt_u32_e32 vcc_lo, v96, v29
	v_cndmask_b32_e32 v6, v9, v6, vcc_lo
	ds_bpermute_b32 v28, v95, v7
	ds_bpermute_b32 v9, v97, v6
	s_waitcnt lgkmcnt(1)
	v_add_nc_u32_e32 v28, v7, v28
	s_waitcnt lgkmcnt(0)
	v_add_nc_u32_e32 v9, v6, v9
	s_delay_alu instid0(VALU_DEP_2) | instskip(SKIP_1) | instid1(VALU_DEP_3)
	v_cndmask_b32_e32 v7, v28, v7, vcc_lo
	v_cmp_gt_u32_e32 vcc_lo, v98, v29
	v_cndmask_b32_e32 v6, v9, v6, vcc_lo
	ds_bpermute_b32 v28, v97, v7
	ds_bpermute_b32 v9, v99, v6
	s_waitcnt lgkmcnt(1)
	v_add_nc_u32_e32 v28, v7, v28
	s_delay_alu instid0(VALU_DEP_1) | instskip(SKIP_4) | instid1(VALU_DEP_1)
	v_cndmask_b32_e32 v7, v28, v7, vcc_lo
	v_cmp_le_u32_e32 vcc_lo, v100, v29
	ds_bpermute_b32 v28, v99, v7
	s_waitcnt lgkmcnt(1)
	v_cndmask_b32_e32 v9, 0, v9, vcc_lo
	v_add3_u32 v6, v6, v26, v9
	s_waitcnt lgkmcnt(0)
	v_cndmask_b32_e32 v28, 0, v28, vcc_lo
	s_delay_alu instid0(VALU_DEP_1)
	v_add3_u32 v7, v7, v27, v28
.LBB1498_107:                           ; =>This Loop Header: Depth=1
                                        ;     Child Loop BB1498_110 Depth 2
	s_delay_alu instid0(VALU_DEP_1) | instskip(SKIP_1) | instid1(VALU_DEP_2)
	v_dual_mov_b32 v27, v7 :: v_dual_and_b32 v8, 0xff, v8
	v_mov_b32_e32 v26, v6
	v_cmp_ne_u16_e32 vcc_lo, 2, v8
	v_cndmask_b32_e64 v8, 0, 1, vcc_lo
	;;#ASMSTART
	;;#ASMEND
	s_delay_alu instid0(VALU_DEP_1)
	v_cmp_ne_u32_e32 vcc_lo, 0, v8
	s_cmp_lg_u32 vcc_lo, exec_lo
	s_cbranch_scc1 .LBB1498_112
; %bb.108:                              ;   in Loop: Header=BB1498_107 Depth=1
	v_lshlrev_b64 v[6:7], 4, v[24:25]
	s_mov_b32 s7, exec_lo
	s_delay_alu instid0(VALU_DEP_1) | instskip(NEXT) | instid1(VALU_DEP_2)
	v_add_co_u32 v28, vcc_lo, s36, v6
	v_add_co_ci_u32_e32 v29, vcc_lo, s37, v7, vcc_lo
	;;#ASMSTART
	global_load_dwordx4 v[6:9], v[28:29] off glc	
s_waitcnt vmcnt(0)
	;;#ASMEND
	v_and_b32_e32 v9, 0xff, v7
	v_and_b32_e32 v101, 0xff00, v7
	v_or3_b32 v6, v6, 0, 0
	v_and_b32_e32 v102, 0xff000000, v7
	v_and_b32_e32 v7, 0xff0000, v7
	s_delay_alu instid0(VALU_DEP_4) | instskip(SKIP_2) | instid1(VALU_DEP_3)
	v_or3_b32 v9, 0, v9, v101
	v_and_b32_e32 v101, 0xff, v8
	v_or3_b32 v6, v6, 0, 0
	v_or3_b32 v7, v9, v7, v102
	s_delay_alu instid0(VALU_DEP_3)
	v_cmpx_eq_u16_e32 0, v101
	s_cbranch_execz .LBB1498_106
; %bb.109:                              ;   in Loop: Header=BB1498_107 Depth=1
	s_mov_b32 s8, 0
.LBB1498_110:                           ;   Parent Loop BB1498_107 Depth=1
                                        ; =>  This Inner Loop Header: Depth=2
	;;#ASMSTART
	global_load_dwordx4 v[6:9], v[28:29] off glc	
s_waitcnt vmcnt(0)
	;;#ASMEND
	v_and_b32_e32 v9, 0xff, v8
	s_delay_alu instid0(VALU_DEP_1) | instskip(SKIP_1) | instid1(SALU_CYCLE_1)
	v_cmp_ne_u16_e32 vcc_lo, 0, v9
	s_or_b32 s8, vcc_lo, s8
	s_and_not1_b32 exec_lo, exec_lo, s8
	s_cbranch_execnz .LBB1498_110
; %bb.111:                              ;   in Loop: Header=BB1498_107 Depth=1
	s_or_b32 exec_lo, exec_lo, s8
	s_branch .LBB1498_106
.LBB1498_112:                           ;   in Loop: Header=BB1498_107 Depth=1
                                        ; implicit-def: $vgpr8
                                        ; implicit-def: $vgpr6_vgpr7
	s_cbranch_execz .LBB1498_107
; %bb.113:
	s_and_saveexec_b32 s7, s3
	s_cbranch_execnz .LBB1498_356
; %bb.114:
	s_or_b32 exec_lo, exec_lo, s7
	s_and_saveexec_b32 s7, s3
	s_cbranch_execnz .LBB1498_357
.LBB1498_115:
	s_or_b32 exec_lo, exec_lo, s7
	s_delay_alu instid0(SALU_CYCLE_1)
	s_and_b32 exec_lo, exec_lo, s2
	s_cbranch_execz .LBB1498_117
.LBB1498_116:
	v_mov_b32_e32 v5, 0
	ds_store_b64 v5, v[26:27] offset:56
.LBB1498_117:
	s_or_b32 exec_lo, exec_lo, s5
	s_waitcnt lgkmcnt(1)
	v_cndmask_b32_e64 v22, v89, v22, s3
	v_mov_b32_e32 v5, 0
	s_waitcnt lgkmcnt(0)
	s_barrier
	buffer_gl0_inv
	v_add_nc_u32_e64 v7, 0x3400, 0
	ds_load_b64 v[24:25], v5 offset:56
	s_waitcnt lgkmcnt(0)
	s_barrier
	buffer_gl0_inv
	ds_load_2addr_b32 v[5:6], v7 offset1:2
	ds_load_2addr_b32 v[7:8], v7 offset0:4 offset1:6
	v_cndmask_b32_e64 v9, v90, v23, s3
	v_add_nc_u32_e32 v22, v24, v22
	s_delay_alu instid0(VALU_DEP_2) | instskip(NEXT) | instid1(VALU_DEP_2)
	v_add_nc_u32_e32 v9, v25, v9
	v_cndmask_b32_e64 v22, v22, v24, s2
	s_delay_alu instid0(VALU_DEP_2)
	v_cndmask_b32_e64 v9, v9, v25, s2
	s_branch .LBB1498_128
.LBB1498_118:
                                        ; implicit-def: $vgpr9
                                        ; implicit-def: $vgpr7
                                        ; implicit-def: $vgpr5
                                        ; implicit-def: $vgpr22_vgpr23
	s_and_b32 vcc_lo, exec_lo, s5
	s_cbranch_vccz .LBB1498_128
; %bb.119:
	s_waitcnt lgkmcnt(1)
	v_mov_b32_dpp v6, v88 row_shr:1 row_mask:0xf bank_mask:0xf
	v_cmp_lt_u32_e32 vcc_lo, 3, v86
	v_mov_b32_dpp v5, v87 row_shr:1 row_mask:0xf bank_mask:0xf
	s_delay_alu instid0(VALU_DEP_3) | instskip(NEXT) | instid1(VALU_DEP_1)
	v_add_nc_u32_e32 v6, v6, v88
	v_cndmask_b32_e64 v6, v6, v88, s1
	s_waitcnt lgkmcnt(0)
	s_delay_alu instid0(VALU_DEP_1) | instskip(NEXT) | instid1(VALU_DEP_1)
	v_mov_b32_dpp v8, v6 row_shr:2 row_mask:0xf bank_mask:0xf
	v_add_nc_u32_e32 v8, v6, v8
	s_delay_alu instid0(VALU_DEP_1) | instskip(NEXT) | instid1(VALU_DEP_1)
	v_cndmask_b32_e64 v6, v6, v8, s0
	v_mov_b32_dpp v8, v6 row_shr:4 row_mask:0xf bank_mask:0xf
	s_delay_alu instid0(VALU_DEP_1) | instskip(NEXT) | instid1(VALU_DEP_1)
	v_add_nc_u32_e32 v8, v6, v8
	v_dual_cndmask_b32 v6, v6, v8 :: v_dual_add_nc_u32 v5, v5, v87
	s_delay_alu instid0(VALU_DEP_1) | instskip(NEXT) | instid1(VALU_DEP_2)
	v_cndmask_b32_e64 v5, v5, v87, s1
	v_mov_b32_dpp v8, v6 row_shr:8 row_mask:0xf bank_mask:0xf
	s_delay_alu instid0(VALU_DEP_2) | instskip(NEXT) | instid1(VALU_DEP_2)
	v_mov_b32_dpp v7, v5 row_shr:2 row_mask:0xf bank_mask:0xf
	v_add_nc_u32_e32 v8, v6, v8
	s_delay_alu instid0(VALU_DEP_2) | instskip(NEXT) | instid1(VALU_DEP_1)
	v_add_nc_u32_e32 v7, v5, v7
	v_cndmask_b32_e64 v5, v5, v7, s0
	s_mov_b32 s0, exec_lo
	s_delay_alu instid0(VALU_DEP_1) | instskip(NEXT) | instid1(VALU_DEP_1)
	v_mov_b32_dpp v7, v5 row_shr:4 row_mask:0xf bank_mask:0xf
	v_add_nc_u32_e32 v7, v5, v7
	s_delay_alu instid0(VALU_DEP_1) | instskip(SKIP_1) | instid1(VALU_DEP_2)
	v_cndmask_b32_e32 v5, v5, v7, vcc_lo
	v_cmp_lt_u32_e32 vcc_lo, 7, v86
	v_mov_b32_dpp v7, v5 row_shr:8 row_mask:0xf bank_mask:0xf
	s_delay_alu instid0(VALU_DEP_1) | instskip(NEXT) | instid1(VALU_DEP_1)
	v_dual_cndmask_b32 v6, v6, v8 :: v_dual_add_nc_u32 v7, v5, v7
	v_cndmask_b32_e32 v5, v5, v7, vcc_lo
	ds_swizzle_b32 v7, v6 offset:swizzle(BROADCAST,32,15)
	v_cmp_eq_u32_e32 vcc_lo, 0, v85
	ds_swizzle_b32 v8, v5 offset:swizzle(BROADCAST,32,15)
	s_waitcnt lgkmcnt(1)
	v_add_nc_u32_e32 v7, v6, v7
	s_waitcnt lgkmcnt(0)
	v_add_nc_u32_e32 v8, v5, v8
	s_delay_alu instid0(VALU_DEP_1)
	v_dual_cndmask_b32 v6, v7, v6 :: v_dual_cndmask_b32 v5, v8, v5
	v_cmpx_eq_u32_e64 v84, v0
	s_cbranch_execz .LBB1498_121
; %bb.120:
	v_lshlrev_b32_e32 v7, 3, v83
	ds_store_b64 v7, v[5:6]
.LBB1498_121:
	s_or_b32 exec_lo, exec_lo, s0
	s_delay_alu instid0(SALU_CYCLE_1)
	s_mov_b32 s0, exec_lo
	s_waitcnt lgkmcnt(0)
	s_barrier
	buffer_gl0_inv
	v_cmpx_gt_u32_e32 8, v0
	s_cbranch_execz .LBB1498_123
; %bb.122:
	v_lshlrev_b32_e32 v9, 3, v0
	ds_load_b64 v[7:8], v9
	s_waitcnt lgkmcnt(0)
	v_mov_b32_dpp v22, v7 row_shr:1 row_mask:0xf bank_mask:0xf
	v_mov_b32_dpp v23, v8 row_shr:1 row_mask:0xf bank_mask:0xf
	s_delay_alu instid0(VALU_DEP_2) | instskip(SKIP_1) | instid1(VALU_DEP_3)
	v_add_nc_u32_e32 v22, v22, v7
	v_and_b32_e32 v24, 7, v82
	v_add_nc_u32_e32 v23, v23, v8
	s_delay_alu instid0(VALU_DEP_2) | instskip(NEXT) | instid1(VALU_DEP_2)
	v_cmp_eq_u32_e32 vcc_lo, 0, v24
	v_dual_cndmask_b32 v8, v23, v8 :: v_dual_cndmask_b32 v7, v22, v7
	v_cmp_lt_u32_e32 vcc_lo, 1, v24
	s_delay_alu instid0(VALU_DEP_2) | instskip(NEXT) | instid1(VALU_DEP_3)
	v_mov_b32_dpp v23, v8 row_shr:2 row_mask:0xf bank_mask:0xf
	v_mov_b32_dpp v22, v7 row_shr:2 row_mask:0xf bank_mask:0xf
	s_delay_alu instid0(VALU_DEP_2) | instskip(NEXT) | instid1(VALU_DEP_2)
	v_add_nc_u32_e32 v23, v8, v23
	v_add_nc_u32_e32 v22, v7, v22
	s_delay_alu instid0(VALU_DEP_1) | instskip(SKIP_1) | instid1(VALU_DEP_2)
	v_dual_cndmask_b32 v8, v8, v23 :: v_dual_cndmask_b32 v7, v7, v22
	v_cmp_lt_u32_e32 vcc_lo, 3, v24
	v_mov_b32_dpp v23, v8 row_shr:4 row_mask:0xf bank_mask:0xf
	s_delay_alu instid0(VALU_DEP_3) | instskip(NEXT) | instid1(VALU_DEP_1)
	v_mov_b32_dpp v22, v7 row_shr:4 row_mask:0xf bank_mask:0xf
	v_dual_cndmask_b32 v23, 0, v23 :: v_dual_cndmask_b32 v22, 0, v22
	s_delay_alu instid0(VALU_DEP_1) | instskip(NEXT) | instid1(VALU_DEP_2)
	v_add_nc_u32_e32 v8, v23, v8
	v_add_nc_u32_e32 v7, v22, v7
	ds_store_b64 v9, v[7:8]
.LBB1498_123:
	s_or_b32 exec_lo, exec_lo, s0
	v_dual_mov_b32 v7, 0 :: v_dual_mov_b32 v22, 0
	v_mov_b32_e32 v23, 0
	s_mov_b32 s0, exec_lo
	s_waitcnt lgkmcnt(0)
	s_barrier
	buffer_gl0_inv
	v_cmpx_lt_u32_e32 31, v0
	s_cbranch_execz .LBB1498_125
; %bb.124:
	v_lshl_add_u32 v8, v83, 3, -8
	ds_load_b64 v[22:23], v8
.LBB1498_125:
	s_or_b32 exec_lo, exec_lo, s0
	v_add_nc_u32_e32 v8, -1, v82
	s_waitcnt lgkmcnt(0)
	v_add_nc_u32_e32 v24, v23, v6
	v_add_nc_u32_e32 v9, v22, v5
	ds_load_b64 v[5:6], v7 offset:56
	v_cmp_gt_i32_e32 vcc_lo, 0, v8
	v_cndmask_b32_e32 v8, v8, v82, vcc_lo
	s_delay_alu instid0(VALU_DEP_1)
	v_lshlrev_b32_e32 v8, 2, v8
	ds_bpermute_b32 v9, v8, v9
	ds_bpermute_b32 v24, v8, v24
	s_waitcnt lgkmcnt(2)
	v_readfirstlane_b32 s0, v6
	s_and_saveexec_b32 s1, s2
	s_cbranch_execz .LBB1498_127
; %bb.126:
	s_mov_b32 s8, 0
	s_add_u32 s6, s36, 0x200
	s_addc_u32 s7, s37, 0
	s_and_b32 s9, s0, 0xff000000
	s_and_b32 s11, s0, 0xff0000
	s_mov_b32 s10, s8
	v_mov_b32_e32 v26, s7
	s_or_b64 s[10:11], s[10:11], s[8:9]
	s_and_b32 s9, s0, 0xff00
	v_dual_mov_b32 v8, 0 :: v_dual_mov_b32 v25, s6
	s_or_b64 s[10:11], s[10:11], s[8:9]
	s_and_b32 s9, s0, 0xff
	v_mov_b32_e32 v7, 2
	s_or_b64 s[8:9], s[10:11], s[8:9]
	s_delay_alu instid0(SALU_CYCLE_1)
	v_mov_b32_e32 v6, s9
	;;#ASMSTART
	global_store_dwordx4 v[25:26], v[5:8] off	
s_waitcnt vmcnt(0)
	;;#ASMEND
.LBB1498_127:
	s_or_b32 exec_lo, exec_lo, s1
	v_cmp_eq_u32_e32 vcc_lo, 0, v82
	v_dual_mov_b32 v7, 0 :: v_dual_mov_b32 v6, s0
	s_waitcnt lgkmcnt(0)
	s_barrier
	v_dual_cndmask_b32 v8, v9, v22 :: v_dual_cndmask_b32 v9, v24, v23
	buffer_gl0_inv
	v_cndmask_b32_e64 v22, v8, 0, s2
	v_cndmask_b32_e64 v9, v9, 0, s2
	v_mov_b32_e32 v8, 0
.LBB1498_128:
	s_delay_alu instid0(VALU_DEP_1) | instskip(SKIP_1) | instid1(VALU_DEP_2)
	v_add_nc_u32_e32 v24, v9, v81
	s_waitcnt lgkmcnt(0)
	v_sub_nc_u32_e32 v9, v9, v8
	v_add_co_u32 v1, vcc_lo, v1, v7
	v_and_b32_e32 v35, 1, v35
	v_add_nc_u32_e32 v26, v24, v77
	v_sub_nc_u32_e32 v24, v24, v8
	v_lshlrev_b32_e32 v77, 1, v5
	v_add_nc_u32_e32 v9, v9, v5
	v_add_co_ci_u32_e32 v2, vcc_lo, 0, v2, vcc_lo
	v_add_nc_u32_e32 v28, v26, v79
	s_delay_alu instid0(VALU_DEP_4)
	v_add3_u32 v33, v77, v6, v33
	v_and_b32_e32 v40, 1, v40
	v_and_b32_e32 v37, 1, v37
	;; [unrolled: 1-line block ×3, first 2 shown]
	v_add_nc_u32_e32 v29, v28, v75
	v_sub_nc_u32_e32 v28, v28, v8
	v_sub_co_u32 v75, vcc_lo, v3, v5
	s_add_u32 s1, s14, -4
	s_delay_alu instid0(VALU_DEP_3) | instskip(SKIP_4) | instid1(VALU_DEP_3)
	v_add_nc_u32_e32 v73, v29, v73
	v_sub_nc_u32_e32 v29, v29, v8
	v_add_nc_u32_e32 v28, v28, v5
	v_add_nc_u32_e32 v24, v24, v5
	s_mov_b32 s3, -1
	v_add_nc_u32_e32 v29, v29, v5
	v_add_nc_u32_e32 v23, v22, v80
	v_sub_nc_u32_e32 v22, v22, v7
	s_delay_alu instid0(VALU_DEP_2) | instskip(SKIP_3) | instid1(VALU_DEP_3)
	v_add_nc_u32_e32 v25, v23, v76
	v_sub_nc_u32_e32 v23, v23, v7
	v_subrev_co_ci_u32_e32 v76, vcc_lo, 0, v4, vcc_lo
	v_cmp_eq_u32_e32 vcc_lo, 1, v35
	v_add_nc_u32_e32 v79, v24, v23
	s_delay_alu instid0(VALU_DEP_1) | instskip(NEXT) | instid1(VALU_DEP_1)
	v_sub_nc_u32_e32 v79, v33, v79
	v_add_nc_u32_e32 v79, 1, v79
	v_add_nc_u32_e32 v27, v25, v78
	;; [unrolled: 1-line block ×3, first 2 shown]
	s_delay_alu instid0(VALU_DEP_1) | instskip(NEXT) | instid1(VALU_DEP_1)
	v_sub_nc_u32_e32 v78, v33, v78
	v_dual_cndmask_b32 v9, v78, v9 :: v_dual_and_b32 v34, 1, v34
	v_cmp_eq_u32_e32 vcc_lo, 1, v40
	v_cndmask_b32_e32 v24, v79, v24, vcc_lo
	s_delay_alu instid0(VALU_DEP_3) | instskip(NEXT) | instid1(VALU_DEP_4)
	v_cmp_eq_u32_e32 vcc_lo, 1, v34
	v_cndmask_b32_e32 v9, v9, v22, vcc_lo
	v_sub_nc_u32_e32 v26, v26, v8
	v_cmp_eq_u32_e32 vcc_lo, 1, v37
	v_and_b32_e32 v37, 1, v38
	s_delay_alu instid0(VALU_DEP_4) | instskip(NEXT) | instid1(VALU_DEP_4)
	v_lshlrev_b32_e32 v9, 2, v9
	v_add_nc_u32_e32 v26, v26, v5
	v_cndmask_b32_e32 v24, v24, v23, vcc_lo
	v_sub_nc_u32_e32 v25, v25, v7
	v_add_co_u32 v22, vcc_lo, v75, v8
	v_add_co_ci_u32_e32 v23, vcc_lo, 0, v76, vcc_lo
	s_delay_alu instid0(VALU_DEP_3)
	v_add_nc_u32_e32 v34, v26, v25
	v_cmp_eq_u32_e32 vcc_lo, 1, v37
	v_lshlrev_b32_e32 v24, 2, v24
	ds_store_b32 v9, v20
	v_sub_nc_u32_e32 v34, v33, v34
	ds_store_b32 v24, v21
	v_and_b32_e32 v24, 1, v39
	v_add_nc_u32_e32 v34, 2, v34
	s_delay_alu instid0(VALU_DEP_1) | instskip(SKIP_3) | instid1(VALU_DEP_4)
	v_cndmask_b32_e32 v26, v34, v26, vcc_lo
	v_cmp_eq_u32_e32 vcc_lo, 1, v36
	v_add_nc_u32_e32 v74, v27, v74
	v_sub_nc_u32_e32 v27, v27, v7
	v_cndmask_b32_e32 v25, v26, v25, vcc_lo
	s_delay_alu instid0(VALU_DEP_3) | instskip(NEXT) | instid1(VALU_DEP_3)
	v_sub_nc_u32_e32 v37, v74, v7
	v_add_nc_u32_e32 v34, v27, v28
	v_cmp_eq_u32_e32 vcc_lo, 1, v24
	v_sub_nc_u32_e32 v26, v73, v8
	v_lshlrev_b32_e32 v21, 2, v25
	v_and_b32_e32 v25, 1, v41
	v_sub_nc_u32_e32 v9, v33, v34
	v_add_nc_u32_e32 v20, v37, v29
	v_and_b32_e32 v24, 1, v42
	v_add_nc_u32_e32 v26, v26, v5
	ds_store_b32 v21, v18
	v_add_nc_u32_e32 v9, 3, v9
	v_sub_nc_u32_e32 v20, v33, v20
	s_delay_alu instid0(VALU_DEP_2) | instskip(SKIP_2) | instid1(VALU_DEP_4)
	v_cndmask_b32_e32 v9, v9, v28, vcc_lo
	v_cmp_eq_u32_e32 vcc_lo, 1, v25
	v_add_nc_u32_e32 v72, v74, v72
	v_add_nc_u32_e32 v20, 4, v20
	v_and_b32_e32 v25, 1, v43
	v_cndmask_b32_e32 v9, v9, v27, vcc_lo
	s_delay_alu instid0(VALU_DEP_4)
	v_sub_nc_u32_e32 v28, v72, v7
	v_cmp_eq_u32_e32 vcc_lo, 1, v24
	v_and_b32_e32 v24, 1, v44
	v_add_nc_u32_e32 v70, v72, v70
	v_lshlrev_b32_e32 v9, 2, v9
	v_add_nc_u32_e32 v27, v28, v26
	v_cndmask_b32_e32 v20, v20, v29, vcc_lo
	v_cmp_eq_u32_e32 vcc_lo, 1, v25
	v_and_b32_e32 v25, 1, v45
	v_add_nc_u32_e32 v64, v70, v64
	v_sub_nc_u32_e32 v18, v33, v27
	v_sub_nc_u32_e32 v27, v70, v7
	v_cndmask_b32_e32 v20, v20, v37, vcc_lo
	v_cmp_eq_u32_e32 vcc_lo, 1, v24
	ds_store_b32 v9, v19
	v_add_nc_u32_e32 v18, 5, v18
	v_and_b32_e32 v19, 1, v46
	v_lshlrev_b32_e32 v20, 2, v20
	v_add_nc_u32_e32 v68, v64, v68
	s_delay_alu instid0(VALU_DEP_4)
	v_cndmask_b32_e32 v18, v18, v26, vcc_lo
	v_cmp_eq_u32_e32 vcc_lo, 1, v25
	v_sub_nc_u32_e32 v25, v64, v7
	ds_store_b32 v20, v16
	v_and_b32_e32 v20, 1, v49
	v_add_nc_u32_e32 v66, v68, v66
	v_dual_cndmask_b32 v18, v18, v28 :: v_dual_add_nc_u32 v71, v73, v71
	v_cmp_eq_u32_e32 vcc_lo, 1, v19
	v_and_b32_e32 v19, 1, v48
	s_delay_alu instid0(VALU_DEP_4) | instskip(NEXT) | instid1(VALU_DEP_4)
	v_add_nc_u32_e32 v61, v66, v61
	v_lshlrev_b32_e32 v18, 2, v18
	v_add_nc_u32_e32 v65, v71, v65
	v_sub_nc_u32_e32 v21, v71, v8
	s_delay_alu instid0(VALU_DEP_4)
	v_add_nc_u32_e32 v60, v61, v60
	ds_store_b32 v18, v17
	v_sub_nc_u32_e32 v24, v65, v8
	v_add_nc_u32_e32 v21, v21, v5
	v_add_nc_u32_e32 v69, v65, v69
	v_and_b32_e32 v17, 1, v47
	s_delay_alu instid0(VALU_DEP_4) | instskip(NEXT) | instid1(VALU_DEP_4)
	v_add_nc_u32_e32 v24, v24, v5
	v_add_nc_u32_e32 v26, v27, v21
	s_delay_alu instid0(VALU_DEP_4) | instskip(NEXT) | instid1(VALU_DEP_3)
	v_sub_nc_u32_e32 v18, v69, v8
	v_add_nc_u32_e32 v16, v25, v24
	s_delay_alu instid0(VALU_DEP_3) | instskip(NEXT) | instid1(VALU_DEP_3)
	v_sub_nc_u32_e32 v9, v33, v26
	v_add_nc_u32_e32 v18, v18, v5
	v_sub_nc_u32_e32 v26, v60, v7
	s_delay_alu instid0(VALU_DEP_4) | instskip(NEXT) | instid1(VALU_DEP_4)
	v_sub_nc_u32_e32 v16, v33, v16
	v_add_nc_u32_e32 v9, 6, v9
	s_delay_alu instid0(VALU_DEP_1) | instskip(SKIP_2) | instid1(VALU_DEP_3)
	v_dual_cndmask_b32 v9, v9, v21 :: v_dual_add_nc_u32 v16, 7, v16
	v_cmp_eq_u32_e32 vcc_lo, 1, v19
	v_sub_nc_u32_e32 v21, v68, v7
	v_cndmask_b32_e32 v16, v16, v24, vcc_lo
	v_cmp_eq_u32_e32 vcc_lo, 1, v17
	s_delay_alu instid0(VALU_DEP_3) | instskip(SKIP_3) | instid1(VALU_DEP_4)
	v_add_nc_u32_e32 v17, v21, v18
	v_cndmask_b32_e32 v9, v9, v27, vcc_lo
	v_cmp_eq_u32_e32 vcc_lo, 1, v20
	v_add_nc_u32_e32 v67, v69, v67
	v_sub_nc_u32_e32 v17, v33, v17
	v_sub_nc_u32_e32 v20, v66, v7
	v_lshlrev_b32_e32 v9, 2, v9
	v_cndmask_b32_e32 v16, v16, v25, vcc_lo
	v_sub_nc_u32_e32 v19, v67, v8
	v_add_nc_u32_e32 v62, v67, v62
	v_sub_nc_u32_e32 v25, v61, v7
	ds_store_b32 v9, v14
	v_and_b32_e32 v9, 1, v50
	v_add_nc_u32_e32 v19, v19, v5
	v_add_nc_u32_e32 v14, 8, v17
	v_lshlrev_b32_e32 v16, 2, v16
	v_add_nc_u32_e32 v63, v62, v63
	v_cmp_eq_u32_e32 vcc_lo, 1, v9
	v_add_nc_u32_e32 v17, v20, v19
	ds_store_b32 v16, v15
	v_and_b32_e32 v15, 1, v51
	v_cndmask_b32_e32 v9, v14, v18, vcc_lo
	v_sub_nc_u32_e32 v14, v33, v17
	v_and_b32_e32 v18, 1, v52
	v_sub_nc_u32_e32 v17, v62, v8
	v_and_b32_e32 v16, 1, v54
	v_sub_nc_u32_e32 v24, v63, v8
	v_add_nc_u32_e32 v14, 9, v14
	v_cmp_eq_u32_e32 vcc_lo, 1, v18
	v_add_nc_u32_e32 v17, v17, v5
	v_add_nc_u32_e32 v35, v63, v59
	;; [unrolled: 1-line block ×3, first 2 shown]
	v_cndmask_b32_e32 v14, v14, v19, vcc_lo
	v_cmp_eq_u32_e32 vcc_lo, 1, v15
	v_add_nc_u32_e32 v15, v25, v17
	s_delay_alu instid0(VALU_DEP_4)
	v_add_nc_u32_e32 v18, v26, v24
	v_and_b32_e32 v19, 1, v55
	v_cndmask_b32_e32 v9, v9, v21, vcc_lo
	v_cmp_eq_u32_e32 vcc_lo, 1, v16
	v_sub_nc_u32_e32 v15, v33, v15
	v_sub_nc_u32_e32 v18, v33, v18
	v_and_b32_e32 v21, 1, v57
	v_sub_nc_u32_e32 v16, v35, v8
	v_cndmask_b32_e32 v14, v14, v20, vcc_lo
	v_and_b32_e32 v20, 1, v53
	v_add_nc_u32_e32 v15, 10, v15
	v_add_nc_u32_e32 v18, 11, v18
	;; [unrolled: 1-line block ×3, first 2 shown]
	v_lshlrev_b32_e32 v9, 2, v9
	v_cmp_eq_u32_e32 vcc_lo, 1, v20
	v_dual_cndmask_b32 v15, v15, v17 :: v_dual_lshlrev_b32 v14, 2, v14
	v_cmp_eq_u32_e32 vcc_lo, 1, v21
	v_and_b32_e32 v17, 1, v56
	v_cndmask_b32_e32 v18, v18, v24, vcc_lo
	v_cmp_eq_u32_e32 vcc_lo, 1, v19
	v_cndmask_b32_e32 v15, v15, v25, vcc_lo
	s_delay_alu instid0(VALU_DEP_4) | instskip(NEXT) | instid1(VALU_DEP_2)
	v_cmp_eq_u32_e32 vcc_lo, 1, v17
	v_lshlrev_b32_e32 v15, 2, v15
	v_cndmask_b32_e32 v17, v18, v26, vcc_lo
	v_add_nc_u32_e32 v40, v60, v58
	s_delay_alu instid0(VALU_DEP_2) | instskip(NEXT) | instid1(VALU_DEP_2)
	v_lshlrev_b32_e32 v17, 2, v17
	v_sub_nc_u32_e32 v7, v40, v7
	ds_store_b32 v9, v12
	ds_store_b32 v14, v13
	;; [unrolled: 1-line block ×4, first 2 shown]
	v_add_co_u32 v9, s0, v6, v77
	s_delay_alu instid0(VALU_DEP_1) | instskip(SKIP_1) | instid1(VALU_DEP_3)
	v_add_co_ci_u32_e64 v10, null, 0, 0, s0
	v_add_nc_u32_e32 v27, v7, v16
	v_add_co_u32 v9, vcc_lo, v9, v22
	s_delay_alu instid0(VALU_DEP_3) | instskip(NEXT) | instid1(VALU_DEP_3)
	v_add_co_ci_u32_e32 v10, vcc_lo, v10, v23, vcc_lo
	v_sub_nc_u32_e32 v20, v33, v27
	v_add_co_u32 v11, s0, s34, v30
	s_delay_alu instid0(VALU_DEP_4) | instskip(NEXT) | instid1(VALU_DEP_3)
	v_add_co_u32 v9, vcc_lo, v9, v1
	v_add_nc_u32_e32 v18, 12, v20
	v_add_co_ci_u32_e64 v12, null, s35, 0, s0
	v_add_co_ci_u32_e32 v10, vcc_lo, v10, v2, vcc_lo
	s_delay_alu instid0(VALU_DEP_3) | instskip(SKIP_1) | instid1(VALU_DEP_2)
	v_cndmask_b32_e64 v16, v18, v16, s33
	v_add_nc_u32_e32 v14, v5, v6
	v_cndmask_b32_e64 v7, v16, v7, s27
	s_delay_alu instid0(VALU_DEP_1)
	v_lshlrev_b32_e32 v7, 2, v7
	ds_store_b32 v7, v32
	v_sub_co_u32 v7, vcc_lo, v11, v9
	v_sub_co_ci_u32_e32 v13, vcc_lo, v12, v10, vcc_lo
	v_lshlrev_b64 v[9:10], 2, v[22:23]
	v_lshlrev_b64 v[11:12], 2, v[1:2]
	s_waitcnt lgkmcnt(0)
	s_barrier
	buffer_gl0_inv
	v_add_co_u32 v9, vcc_lo, s30, v9
	v_add_co_ci_u32_e32 v10, vcc_lo, s31, v10, vcc_lo
	v_cmp_ne_u32_e32 vcc_lo, 1, v31
	v_add_co_u32 v11, s0, s28, v11
	s_delay_alu instid0(VALU_DEP_1)
	v_add_co_ci_u32_e64 v12, s0, s29, v12, s0
	s_addc_u32 s0, s15, -1
	s_cbranch_vccz .LBB1498_132
; %bb.129:
	s_and_b32 vcc_lo, exec_lo, s3
	s_cbranch_vccnz .LBB1498_237
.LBB1498_130:
	s_and_b32 s0, s2, s13
	s_delay_alu instid0(SALU_CYCLE_1)
	s_and_saveexec_b32 s1, s0
	s_cbranch_execnz .LBB1498_355
.LBB1498_131:
	s_nop 0
	s_sendmsg sendmsg(MSG_DEALLOC_VGPRS)
	s_endpgm
.LBB1498_132:
	s_mov_b32 s3, exec_lo
	v_cmpx_le_u32_e64 v5, v0
	s_xor_b32 s3, exec_lo, s3
	s_cbranch_execz .LBB1498_138
; %bb.133:
	s_mov_b32 s5, exec_lo
	v_cmpx_le_u32_e64 v14, v0
	s_xor_b32 s5, exec_lo, s5
	s_cbranch_execz .LBB1498_135
; %bb.134:
	v_lshlrev_b32_e32 v15, 2, v0
	ds_load_b32 v17, v15
	v_add_co_u32 v15, vcc_lo, v7, v0
	v_add_co_ci_u32_e32 v16, vcc_lo, 0, v13, vcc_lo
	s_delay_alu instid0(VALU_DEP_1) | instskip(NEXT) | instid1(VALU_DEP_1)
	v_lshlrev_b64 v[15:16], 2, v[15:16]
	v_sub_co_u32 v15, vcc_lo, s14, v15
	s_delay_alu instid0(VALU_DEP_2)
	v_sub_co_ci_u32_e32 v16, vcc_lo, s15, v16, vcc_lo
	s_waitcnt lgkmcnt(0)
	global_store_b32 v[15:16], v17, off offset:-4
.LBB1498_135:
	s_and_not1_saveexec_b32 s5, s5
	s_cbranch_execz .LBB1498_137
; %bb.136:
	v_lshlrev_b32_e32 v15, 2, v0
	v_readfirstlane_b32 s6, v9
	v_readfirstlane_b32 s7, v10
	ds_load_b32 v16, v15
	s_waitcnt lgkmcnt(0)
	global_store_b32 v15, v16, s[6:7]
.LBB1498_137:
	s_or_b32 exec_lo, exec_lo, s5
.LBB1498_138:
	s_and_not1_saveexec_b32 s3, s3
	s_cbranch_execz .LBB1498_140
; %bb.139:
	v_lshlrev_b32_e32 v15, 2, v0
	v_readfirstlane_b32 s6, v11
	v_readfirstlane_b32 s7, v12
	ds_load_b32 v16, v15
	s_waitcnt lgkmcnt(0)
	global_store_b32 v15, v16, s[6:7]
.LBB1498_140:
	s_or_b32 exec_lo, exec_lo, s3
	v_or_b32_e32 v15, 0x100, v0
	s_mov_b32 s3, exec_lo
	s_delay_alu instid0(VALU_DEP_1)
	v_cmpx_le_u32_e64 v5, v15
	s_xor_b32 s3, exec_lo, s3
	s_cbranch_execz .LBB1498_146
; %bb.141:
	s_mov_b32 s5, exec_lo
	v_cmpx_le_u32_e64 v14, v15
	s_xor_b32 s5, exec_lo, s5
	s_cbranch_execz .LBB1498_143
; %bb.142:
	v_lshlrev_b32_e32 v15, 2, v0
	ds_load_b32 v17, v15 offset:1024
	v_add_co_u32 v15, vcc_lo, v7, v0
	v_add_co_ci_u32_e32 v16, vcc_lo, 0, v13, vcc_lo
	s_delay_alu instid0(VALU_DEP_1) | instskip(NEXT) | instid1(VALU_DEP_1)
	v_lshlrev_b64 v[15:16], 2, v[15:16]
	v_sub_co_u32 v15, vcc_lo, s1, v15
	s_delay_alu instid0(VALU_DEP_2)
	v_sub_co_ci_u32_e32 v16, vcc_lo, s0, v16, vcc_lo
	s_waitcnt lgkmcnt(0)
	global_store_b32 v[15:16], v17, off offset:-1024
.LBB1498_143:
	s_and_not1_saveexec_b32 s5, s5
	s_cbranch_execz .LBB1498_145
; %bb.144:
	v_lshlrev_b32_e32 v15, 2, v0
	v_readfirstlane_b32 s6, v9
	v_readfirstlane_b32 s7, v10
	ds_load_b32 v16, v15 offset:1024
	s_waitcnt lgkmcnt(0)
	global_store_b32 v15, v16, s[6:7] offset:1024
.LBB1498_145:
	s_or_b32 exec_lo, exec_lo, s5
.LBB1498_146:
	s_and_not1_saveexec_b32 s3, s3
	s_cbranch_execz .LBB1498_148
; %bb.147:
	v_lshlrev_b32_e32 v15, 2, v0
	v_readfirstlane_b32 s6, v11
	v_readfirstlane_b32 s7, v12
	ds_load_b32 v16, v15 offset:1024
	s_waitcnt lgkmcnt(0)
	global_store_b32 v15, v16, s[6:7] offset:1024
.LBB1498_148:
	s_or_b32 exec_lo, exec_lo, s3
	v_or_b32_e32 v15, 0x200, v0
	s_mov_b32 s3, exec_lo
	s_delay_alu instid0(VALU_DEP_1)
	v_cmpx_le_u32_e64 v5, v15
	s_xor_b32 s3, exec_lo, s3
	s_cbranch_execz .LBB1498_154
; %bb.149:
	s_mov_b32 s5, exec_lo
	v_cmpx_le_u32_e64 v14, v15
	s_xor_b32 s5, exec_lo, s5
	s_cbranch_execz .LBB1498_151
; %bb.150:
	v_lshlrev_b32_e32 v15, 2, v0
	ds_load_b32 v17, v15 offset:2048
	v_add_co_u32 v15, vcc_lo, v7, v0
	v_add_co_ci_u32_e32 v16, vcc_lo, 0, v13, vcc_lo
	s_delay_alu instid0(VALU_DEP_1) | instskip(NEXT) | instid1(VALU_DEP_1)
	v_lshlrev_b64 v[15:16], 2, v[15:16]
	v_sub_co_u32 v15, vcc_lo, s1, v15
	s_delay_alu instid0(VALU_DEP_2)
	v_sub_co_ci_u32_e32 v16, vcc_lo, s0, v16, vcc_lo
	s_waitcnt lgkmcnt(0)
	global_store_b32 v[15:16], v17, off offset:-2048
.LBB1498_151:
	s_and_not1_saveexec_b32 s5, s5
	s_cbranch_execz .LBB1498_153
; %bb.152:
	v_lshlrev_b32_e32 v15, 2, v0
	v_readfirstlane_b32 s6, v9
	v_readfirstlane_b32 s7, v10
	ds_load_b32 v16, v15 offset:2048
	s_waitcnt lgkmcnt(0)
	global_store_b32 v15, v16, s[6:7] offset:2048
.LBB1498_153:
	s_or_b32 exec_lo, exec_lo, s5
.LBB1498_154:
	s_and_not1_saveexec_b32 s3, s3
	s_cbranch_execz .LBB1498_156
; %bb.155:
	v_lshlrev_b32_e32 v15, 2, v0
	v_readfirstlane_b32 s6, v11
	v_readfirstlane_b32 s7, v12
	ds_load_b32 v16, v15 offset:2048
	s_waitcnt lgkmcnt(0)
	global_store_b32 v15, v16, s[6:7] offset:2048
.LBB1498_156:
	;; [unrolled: 47-line block ×3, first 2 shown]
	s_or_b32 exec_lo, exec_lo, s3
	v_or_b32_e32 v15, 0x400, v0
	s_mov_b32 s3, exec_lo
	s_delay_alu instid0(VALU_DEP_1)
	v_cmpx_le_u32_e64 v5, v15
	s_xor_b32 s3, exec_lo, s3
	s_cbranch_execz .LBB1498_170
; %bb.165:
	s_mov_b32 s5, exec_lo
	v_cmpx_le_u32_e64 v14, v15
	s_xor_b32 s5, exec_lo, s5
	s_cbranch_execz .LBB1498_167
; %bb.166:
	v_lshlrev_b32_e32 v15, 2, v0
	ds_load_b32 v17, v15 offset:4096
	v_add_co_u32 v15, vcc_lo, v7, v0
	v_add_co_ci_u32_e32 v16, vcc_lo, 0, v13, vcc_lo
	s_delay_alu instid0(VALU_DEP_1) | instskip(NEXT) | instid1(VALU_DEP_1)
	v_lshlrev_b64 v[15:16], 2, v[15:16]
	v_sub_co_u32 v15, vcc_lo, s1, v15
	s_delay_alu instid0(VALU_DEP_2)
	v_sub_co_ci_u32_e32 v16, vcc_lo, s0, v16, vcc_lo
	s_waitcnt lgkmcnt(0)
	global_store_b32 v[15:16], v17, off offset:-4096
                                        ; implicit-def: $vgpr15
.LBB1498_167:
	s_and_not1_saveexec_b32 s5, s5
	s_cbranch_execz .LBB1498_169
; %bb.168:
	v_lshlrev_b32_e32 v16, 2, v0
	v_lshlrev_b32_e32 v15, 2, v15
	v_readfirstlane_b32 s6, v9
	v_readfirstlane_b32 s7, v10
	ds_load_b32 v16, v16 offset:4096
	s_waitcnt lgkmcnt(0)
	global_store_b32 v15, v16, s[6:7]
.LBB1498_169:
	s_or_b32 exec_lo, exec_lo, s5
                                        ; implicit-def: $vgpr15
.LBB1498_170:
	s_and_not1_saveexec_b32 s3, s3
	s_cbranch_execz .LBB1498_172
; %bb.171:
	v_lshlrev_b32_e32 v16, 2, v0
	v_lshlrev_b32_e32 v15, 2, v15
	v_readfirstlane_b32 s6, v11
	v_readfirstlane_b32 s7, v12
	ds_load_b32 v16, v16 offset:4096
	s_waitcnt lgkmcnt(0)
	global_store_b32 v15, v16, s[6:7]
.LBB1498_172:
	s_or_b32 exec_lo, exec_lo, s3
	v_or_b32_e32 v15, 0x500, v0
	s_mov_b32 s3, exec_lo
	s_delay_alu instid0(VALU_DEP_1)
	v_cmpx_le_u32_e64 v5, v15
	s_xor_b32 s3, exec_lo, s3
	s_cbranch_execz .LBB1498_178
; %bb.173:
	s_mov_b32 s5, exec_lo
	v_cmpx_le_u32_e64 v14, v15
	s_xor_b32 s5, exec_lo, s5
	s_cbranch_execz .LBB1498_175
; %bb.174:
	v_lshlrev_b32_e32 v16, 2, v0
	v_add_co_u32 v15, vcc_lo, v7, v15
	ds_load_b32 v17, v16 offset:5120
	v_add_co_ci_u32_e32 v16, vcc_lo, 0, v13, vcc_lo
	s_delay_alu instid0(VALU_DEP_1) | instskip(NEXT) | instid1(VALU_DEP_1)
	v_lshlrev_b64 v[15:16], 2, v[15:16]
	v_sub_co_u32 v15, vcc_lo, s1, v15
	s_delay_alu instid0(VALU_DEP_2)
	v_sub_co_ci_u32_e32 v16, vcc_lo, s0, v16, vcc_lo
	s_waitcnt lgkmcnt(0)
	global_store_b32 v[15:16], v17, off
                                        ; implicit-def: $vgpr15
.LBB1498_175:
	s_and_not1_saveexec_b32 s5, s5
	s_cbranch_execz .LBB1498_177
; %bb.176:
	v_lshlrev_b32_e32 v16, 2, v0
	v_lshlrev_b32_e32 v15, 2, v15
	v_readfirstlane_b32 s6, v9
	v_readfirstlane_b32 s7, v10
	ds_load_b32 v16, v16 offset:5120
	s_waitcnt lgkmcnt(0)
	global_store_b32 v15, v16, s[6:7]
.LBB1498_177:
	s_or_b32 exec_lo, exec_lo, s5
                                        ; implicit-def: $vgpr15
.LBB1498_178:
	s_and_not1_saveexec_b32 s3, s3
	s_cbranch_execz .LBB1498_180
; %bb.179:
	v_lshlrev_b32_e32 v16, 2, v0
	v_lshlrev_b32_e32 v15, 2, v15
	v_readfirstlane_b32 s6, v11
	v_readfirstlane_b32 s7, v12
	ds_load_b32 v16, v16 offset:5120
	s_waitcnt lgkmcnt(0)
	global_store_b32 v15, v16, s[6:7]
.LBB1498_180:
	s_or_b32 exec_lo, exec_lo, s3
	v_or_b32_e32 v15, 0x600, v0
	s_mov_b32 s3, exec_lo
	s_delay_alu instid0(VALU_DEP_1)
	v_cmpx_le_u32_e64 v5, v15
	s_xor_b32 s3, exec_lo, s3
	s_cbranch_execz .LBB1498_186
; %bb.181:
	s_mov_b32 s5, exec_lo
	v_cmpx_le_u32_e64 v14, v15
	s_xor_b32 s5, exec_lo, s5
	s_cbranch_execz .LBB1498_183
; %bb.182:
	v_lshlrev_b32_e32 v16, 2, v0
	v_add_co_u32 v15, vcc_lo, v7, v15
	ds_load_b32 v17, v16 offset:6144
	v_add_co_ci_u32_e32 v16, vcc_lo, 0, v13, vcc_lo
	s_delay_alu instid0(VALU_DEP_1) | instskip(NEXT) | instid1(VALU_DEP_1)
	v_lshlrev_b64 v[15:16], 2, v[15:16]
	v_sub_co_u32 v15, vcc_lo, s1, v15
	s_delay_alu instid0(VALU_DEP_2)
	v_sub_co_ci_u32_e32 v16, vcc_lo, s0, v16, vcc_lo
	s_waitcnt lgkmcnt(0)
	global_store_b32 v[15:16], v17, off
                                        ; implicit-def: $vgpr15
.LBB1498_183:
	s_and_not1_saveexec_b32 s5, s5
	s_cbranch_execz .LBB1498_185
; %bb.184:
	v_lshlrev_b32_e32 v16, 2, v0
	v_lshlrev_b32_e32 v15, 2, v15
	v_readfirstlane_b32 s6, v9
	v_readfirstlane_b32 s7, v10
	ds_load_b32 v16, v16 offset:6144
	s_waitcnt lgkmcnt(0)
	global_store_b32 v15, v16, s[6:7]
.LBB1498_185:
	s_or_b32 exec_lo, exec_lo, s5
                                        ; implicit-def: $vgpr15
.LBB1498_186:
	;; [unrolled: 51-line block ×8, first 2 shown]
	s_and_not1_saveexec_b32 s3, s3
	s_cbranch_execz .LBB1498_236
; %bb.235:
	v_lshlrev_b32_e32 v16, 2, v0
	v_lshlrev_b32_e32 v15, 2, v15
	v_readfirstlane_b32 s6, v11
	v_readfirstlane_b32 s7, v12
	ds_load_b32 v16, v16 offset:12288
	s_waitcnt lgkmcnt(0)
	global_store_b32 v15, v16, s[6:7]
.LBB1498_236:
	s_or_b32 exec_lo, exec_lo, s3
	s_branch .LBB1498_130
.LBB1498_237:
	s_mov_b32 s3, exec_lo
	v_cmpx_gt_u32_e64 s4, v0
	s_cbranch_execz .LBB1498_246
; %bb.238:
	s_mov_b32 s5, exec_lo
	v_cmpx_le_u32_e64 v5, v0
	s_xor_b32 s5, exec_lo, s5
	s_cbranch_execz .LBB1498_244
; %bb.239:
	s_mov_b32 s6, exec_lo
	v_cmpx_le_u32_e64 v14, v0
	s_xor_b32 s6, exec_lo, s6
	s_cbranch_execz .LBB1498_241
; %bb.240:
	v_lshlrev_b32_e32 v15, 2, v0
	ds_load_b32 v17, v15
	v_add_co_u32 v15, vcc_lo, v7, v0
	v_add_co_ci_u32_e32 v16, vcc_lo, 0, v13, vcc_lo
	s_delay_alu instid0(VALU_DEP_1) | instskip(NEXT) | instid1(VALU_DEP_1)
	v_lshlrev_b64 v[15:16], 2, v[15:16]
	v_sub_co_u32 v15, vcc_lo, s14, v15
	s_delay_alu instid0(VALU_DEP_2)
	v_sub_co_ci_u32_e32 v16, vcc_lo, s15, v16, vcc_lo
	s_waitcnt lgkmcnt(0)
	global_store_b32 v[15:16], v17, off offset:-4
.LBB1498_241:
	s_and_not1_saveexec_b32 s6, s6
	s_cbranch_execz .LBB1498_243
; %bb.242:
	v_lshlrev_b32_e32 v15, 2, v0
	v_readfirstlane_b32 s8, v9
	v_readfirstlane_b32 s9, v10
	ds_load_b32 v16, v15
	s_waitcnt lgkmcnt(0)
	global_store_b32 v15, v16, s[8:9]
.LBB1498_243:
	s_or_b32 exec_lo, exec_lo, s6
.LBB1498_244:
	s_and_not1_saveexec_b32 s5, s5
	s_cbranch_execz .LBB1498_246
; %bb.245:
	v_lshlrev_b32_e32 v15, 2, v0
	v_readfirstlane_b32 s6, v11
	v_readfirstlane_b32 s7, v12
	ds_load_b32 v16, v15
	s_waitcnt lgkmcnt(0)
	global_store_b32 v15, v16, s[6:7]
.LBB1498_246:
	s_or_b32 exec_lo, exec_lo, s3
	v_or_b32_e32 v15, 0x100, v0
	s_mov_b32 s3, exec_lo
	s_delay_alu instid0(VALU_DEP_1)
	v_cmpx_gt_u32_e64 s4, v15
	s_cbranch_execz .LBB1498_255
; %bb.247:
	s_mov_b32 s5, exec_lo
	v_cmpx_le_u32_e64 v5, v15
	s_xor_b32 s5, exec_lo, s5
	s_cbranch_execz .LBB1498_253
; %bb.248:
	s_mov_b32 s6, exec_lo
	v_cmpx_le_u32_e64 v14, v15
	s_xor_b32 s6, exec_lo, s6
	s_cbranch_execz .LBB1498_250
; %bb.249:
	v_lshlrev_b32_e32 v15, 2, v0
	ds_load_b32 v17, v15 offset:1024
	v_add_co_u32 v15, vcc_lo, v7, v0
	v_add_co_ci_u32_e32 v16, vcc_lo, 0, v13, vcc_lo
	s_delay_alu instid0(VALU_DEP_1) | instskip(NEXT) | instid1(VALU_DEP_1)
	v_lshlrev_b64 v[15:16], 2, v[15:16]
	v_sub_co_u32 v15, vcc_lo, s1, v15
	s_delay_alu instid0(VALU_DEP_2)
	v_sub_co_ci_u32_e32 v16, vcc_lo, s0, v16, vcc_lo
	s_waitcnt lgkmcnt(0)
	global_store_b32 v[15:16], v17, off offset:-1024
.LBB1498_250:
	s_and_not1_saveexec_b32 s6, s6
	s_cbranch_execz .LBB1498_252
; %bb.251:
	v_lshlrev_b32_e32 v15, 2, v0
	v_readfirstlane_b32 s8, v9
	v_readfirstlane_b32 s9, v10
	ds_load_b32 v16, v15 offset:1024
	s_waitcnt lgkmcnt(0)
	global_store_b32 v15, v16, s[8:9] offset:1024
.LBB1498_252:
	s_or_b32 exec_lo, exec_lo, s6
.LBB1498_253:
	s_and_not1_saveexec_b32 s5, s5
	s_cbranch_execz .LBB1498_255
; %bb.254:
	v_lshlrev_b32_e32 v15, 2, v0
	v_readfirstlane_b32 s6, v11
	v_readfirstlane_b32 s7, v12
	ds_load_b32 v16, v15 offset:1024
	s_waitcnt lgkmcnt(0)
	global_store_b32 v15, v16, s[6:7] offset:1024
.LBB1498_255:
	s_or_b32 exec_lo, exec_lo, s3
	v_or_b32_e32 v15, 0x200, v0
	s_mov_b32 s3, exec_lo
	s_delay_alu instid0(VALU_DEP_1)
	v_cmpx_gt_u32_e64 s4, v15
	s_cbranch_execz .LBB1498_264
; %bb.256:
	s_mov_b32 s5, exec_lo
	v_cmpx_le_u32_e64 v5, v15
	s_xor_b32 s5, exec_lo, s5
	s_cbranch_execz .LBB1498_262
; %bb.257:
	s_mov_b32 s6, exec_lo
	v_cmpx_le_u32_e64 v14, v15
	s_xor_b32 s6, exec_lo, s6
	s_cbranch_execz .LBB1498_259
; %bb.258:
	v_lshlrev_b32_e32 v15, 2, v0
	ds_load_b32 v17, v15 offset:2048
	v_add_co_u32 v15, vcc_lo, v7, v0
	v_add_co_ci_u32_e32 v16, vcc_lo, 0, v13, vcc_lo
	s_delay_alu instid0(VALU_DEP_1) | instskip(NEXT) | instid1(VALU_DEP_1)
	v_lshlrev_b64 v[15:16], 2, v[15:16]
	v_sub_co_u32 v15, vcc_lo, s1, v15
	s_delay_alu instid0(VALU_DEP_2)
	v_sub_co_ci_u32_e32 v16, vcc_lo, s0, v16, vcc_lo
	s_waitcnt lgkmcnt(0)
	global_store_b32 v[15:16], v17, off offset:-2048
.LBB1498_259:
	s_and_not1_saveexec_b32 s6, s6
	s_cbranch_execz .LBB1498_261
; %bb.260:
	v_lshlrev_b32_e32 v15, 2, v0
	v_readfirstlane_b32 s8, v9
	v_readfirstlane_b32 s9, v10
	ds_load_b32 v16, v15 offset:2048
	s_waitcnt lgkmcnt(0)
	global_store_b32 v15, v16, s[8:9] offset:2048
.LBB1498_261:
	s_or_b32 exec_lo, exec_lo, s6
.LBB1498_262:
	s_and_not1_saveexec_b32 s5, s5
	s_cbranch_execz .LBB1498_264
; %bb.263:
	v_lshlrev_b32_e32 v15, 2, v0
	v_readfirstlane_b32 s6, v11
	v_readfirstlane_b32 s7, v12
	ds_load_b32 v16, v15 offset:2048
	s_waitcnt lgkmcnt(0)
	global_store_b32 v15, v16, s[6:7] offset:2048
.LBB1498_264:
	;; [unrolled: 51-line block ×3, first 2 shown]
	s_or_b32 exec_lo, exec_lo, s3
	v_or_b32_e32 v15, 0x400, v0
	s_mov_b32 s3, exec_lo
	s_delay_alu instid0(VALU_DEP_1)
	v_cmpx_gt_u32_e64 s4, v15
	s_cbranch_execz .LBB1498_282
; %bb.274:
	s_mov_b32 s5, exec_lo
	v_cmpx_le_u32_e64 v5, v15
	s_xor_b32 s5, exec_lo, s5
	s_cbranch_execz .LBB1498_280
; %bb.275:
	s_mov_b32 s6, exec_lo
	v_cmpx_le_u32_e64 v14, v15
	s_xor_b32 s6, exec_lo, s6
	s_cbranch_execz .LBB1498_277
; %bb.276:
	v_lshlrev_b32_e32 v15, 2, v0
	ds_load_b32 v17, v15 offset:4096
	v_add_co_u32 v15, vcc_lo, v7, v0
	v_add_co_ci_u32_e32 v16, vcc_lo, 0, v13, vcc_lo
	s_delay_alu instid0(VALU_DEP_1) | instskip(NEXT) | instid1(VALU_DEP_1)
	v_lshlrev_b64 v[15:16], 2, v[15:16]
	v_sub_co_u32 v15, vcc_lo, s1, v15
	s_delay_alu instid0(VALU_DEP_2)
	v_sub_co_ci_u32_e32 v16, vcc_lo, s0, v16, vcc_lo
	s_waitcnt lgkmcnt(0)
	global_store_b32 v[15:16], v17, off offset:-4096
                                        ; implicit-def: $vgpr15
.LBB1498_277:
	s_and_not1_saveexec_b32 s6, s6
	s_cbranch_execz .LBB1498_279
; %bb.278:
	v_lshlrev_b32_e32 v16, 2, v0
	v_lshlrev_b32_e32 v15, 2, v15
	v_readfirstlane_b32 s8, v9
	v_readfirstlane_b32 s9, v10
	ds_load_b32 v16, v16 offset:4096
	s_waitcnt lgkmcnt(0)
	global_store_b32 v15, v16, s[8:9]
.LBB1498_279:
	s_or_b32 exec_lo, exec_lo, s6
                                        ; implicit-def: $vgpr15
.LBB1498_280:
	s_and_not1_saveexec_b32 s5, s5
	s_cbranch_execz .LBB1498_282
; %bb.281:
	v_lshlrev_b32_e32 v16, 2, v0
	v_lshlrev_b32_e32 v15, 2, v15
	v_readfirstlane_b32 s6, v11
	v_readfirstlane_b32 s7, v12
	ds_load_b32 v16, v16 offset:4096
	s_waitcnt lgkmcnt(0)
	global_store_b32 v15, v16, s[6:7]
.LBB1498_282:
	s_or_b32 exec_lo, exec_lo, s3
	v_or_b32_e32 v15, 0x500, v0
	s_mov_b32 s3, exec_lo
	s_delay_alu instid0(VALU_DEP_1)
	v_cmpx_gt_u32_e64 s4, v15
	s_cbranch_execz .LBB1498_291
; %bb.283:
	s_mov_b32 s5, exec_lo
	v_cmpx_le_u32_e64 v5, v15
	s_xor_b32 s5, exec_lo, s5
	s_cbranch_execz .LBB1498_289
; %bb.284:
	s_mov_b32 s6, exec_lo
	v_cmpx_le_u32_e64 v14, v15
	s_xor_b32 s6, exec_lo, s6
	s_cbranch_execz .LBB1498_286
; %bb.285:
	v_lshlrev_b32_e32 v16, 2, v0
	v_add_co_u32 v15, vcc_lo, v7, v15
	ds_load_b32 v17, v16 offset:5120
	v_add_co_ci_u32_e32 v16, vcc_lo, 0, v13, vcc_lo
	s_delay_alu instid0(VALU_DEP_1) | instskip(NEXT) | instid1(VALU_DEP_1)
	v_lshlrev_b64 v[15:16], 2, v[15:16]
	v_sub_co_u32 v15, vcc_lo, s1, v15
	s_delay_alu instid0(VALU_DEP_2)
	v_sub_co_ci_u32_e32 v16, vcc_lo, s0, v16, vcc_lo
	s_waitcnt lgkmcnt(0)
	global_store_b32 v[15:16], v17, off
                                        ; implicit-def: $vgpr15
.LBB1498_286:
	s_and_not1_saveexec_b32 s6, s6
	s_cbranch_execz .LBB1498_288
; %bb.287:
	v_lshlrev_b32_e32 v16, 2, v0
	v_lshlrev_b32_e32 v15, 2, v15
	v_readfirstlane_b32 s8, v9
	v_readfirstlane_b32 s9, v10
	ds_load_b32 v16, v16 offset:5120
	s_waitcnt lgkmcnt(0)
	global_store_b32 v15, v16, s[8:9]
.LBB1498_288:
	s_or_b32 exec_lo, exec_lo, s6
                                        ; implicit-def: $vgpr15
.LBB1498_289:
	s_and_not1_saveexec_b32 s5, s5
	s_cbranch_execz .LBB1498_291
; %bb.290:
	v_lshlrev_b32_e32 v16, 2, v0
	v_lshlrev_b32_e32 v15, 2, v15
	v_readfirstlane_b32 s6, v11
	v_readfirstlane_b32 s7, v12
	ds_load_b32 v16, v16 offset:5120
	s_waitcnt lgkmcnt(0)
	global_store_b32 v15, v16, s[6:7]
.LBB1498_291:
	s_or_b32 exec_lo, exec_lo, s3
	v_or_b32_e32 v15, 0x600, v0
	s_mov_b32 s3, exec_lo
	s_delay_alu instid0(VALU_DEP_1)
	v_cmpx_gt_u32_e64 s4, v15
	s_cbranch_execz .LBB1498_300
; %bb.292:
	s_mov_b32 s5, exec_lo
	v_cmpx_le_u32_e64 v5, v15
	s_xor_b32 s5, exec_lo, s5
	s_cbranch_execz .LBB1498_298
; %bb.293:
	s_mov_b32 s6, exec_lo
	v_cmpx_le_u32_e64 v14, v15
	s_xor_b32 s6, exec_lo, s6
	s_cbranch_execz .LBB1498_295
; %bb.294:
	v_lshlrev_b32_e32 v16, 2, v0
	v_add_co_u32 v15, vcc_lo, v7, v15
	ds_load_b32 v17, v16 offset:6144
	v_add_co_ci_u32_e32 v16, vcc_lo, 0, v13, vcc_lo
	s_delay_alu instid0(VALU_DEP_1) | instskip(NEXT) | instid1(VALU_DEP_1)
	v_lshlrev_b64 v[15:16], 2, v[15:16]
	v_sub_co_u32 v15, vcc_lo, s1, v15
	s_delay_alu instid0(VALU_DEP_2)
	v_sub_co_ci_u32_e32 v16, vcc_lo, s0, v16, vcc_lo
	s_waitcnt lgkmcnt(0)
	global_store_b32 v[15:16], v17, off
                                        ; implicit-def: $vgpr15
.LBB1498_295:
	s_and_not1_saveexec_b32 s6, s6
	s_cbranch_execz .LBB1498_297
; %bb.296:
	v_lshlrev_b32_e32 v16, 2, v0
	v_lshlrev_b32_e32 v15, 2, v15
	v_readfirstlane_b32 s8, v9
	v_readfirstlane_b32 s9, v10
	ds_load_b32 v16, v16 offset:6144
	s_waitcnt lgkmcnt(0)
	global_store_b32 v15, v16, s[8:9]
.LBB1498_297:
	s_or_b32 exec_lo, exec_lo, s6
                                        ; implicit-def: $vgpr15
.LBB1498_298:
	s_and_not1_saveexec_b32 s5, s5
	s_cbranch_execz .LBB1498_300
; %bb.299:
	v_lshlrev_b32_e32 v16, 2, v0
	v_lshlrev_b32_e32 v15, 2, v15
	v_readfirstlane_b32 s6, v11
	v_readfirstlane_b32 s7, v12
	ds_load_b32 v16, v16 offset:6144
	s_waitcnt lgkmcnt(0)
	global_store_b32 v15, v16, s[6:7]
.LBB1498_300:
	;; [unrolled: 55-line block ×7, first 2 shown]
	s_or_b32 exec_lo, exec_lo, s3
	v_or_b32_e32 v15, 0xc00, v0
	s_mov_b32 s3, exec_lo
	s_delay_alu instid0(VALU_DEP_1)
	v_cmpx_gt_u32_e64 s4, v15
	s_cbranch_execz .LBB1498_354
; %bb.346:
	s_mov_b32 s4, exec_lo
	v_cmpx_le_u32_e64 v5, v15
	s_xor_b32 s4, exec_lo, s4
	s_cbranch_execz .LBB1498_352
; %bb.347:
	s_mov_b32 s5, exec_lo
	v_cmpx_le_u32_e64 v14, v15
	s_xor_b32 s5, exec_lo, s5
	s_cbranch_execz .LBB1498_349
; %bb.348:
	v_lshlrev_b32_e32 v0, 2, v0
	v_add_co_u32 v9, vcc_lo, v7, v15
	v_add_co_ci_u32_e32 v10, vcc_lo, 0, v13, vcc_lo
	ds_load_b32 v0, v0 offset:12288
                                        ; implicit-def: $vgpr15
	v_lshlrev_b64 v[9:10], 2, v[9:10]
	s_delay_alu instid0(VALU_DEP_1) | instskip(NEXT) | instid1(VALU_DEP_2)
	v_sub_co_u32 v9, vcc_lo, s1, v9
	v_sub_co_ci_u32_e32 v10, vcc_lo, s0, v10, vcc_lo
	s_waitcnt lgkmcnt(0)
	global_store_b32 v[9:10], v0, off
                                        ; implicit-def: $vgpr0
                                        ; implicit-def: $vgpr9_vgpr10
.LBB1498_349:
	s_and_not1_saveexec_b32 s0, s5
	s_cbranch_execz .LBB1498_351
; %bb.350:
	v_lshlrev_b32_e32 v0, 2, v0
	v_lshlrev_b32_e32 v7, 2, v15
	v_readfirstlane_b32 s6, v9
	v_readfirstlane_b32 s7, v10
	ds_load_b32 v0, v0 offset:12288
	s_waitcnt lgkmcnt(0)
	global_store_b32 v7, v0, s[6:7]
.LBB1498_351:
	s_or_b32 exec_lo, exec_lo, s0
                                        ; implicit-def: $vgpr0
                                        ; implicit-def: $vgpr15
                                        ; implicit-def: $vgpr11_vgpr12
.LBB1498_352:
	s_and_not1_saveexec_b32 s0, s4
	s_cbranch_execz .LBB1498_354
; %bb.353:
	v_lshlrev_b32_e32 v0, 2, v0
	v_lshlrev_b32_e32 v7, 2, v15
	v_readfirstlane_b32 s0, v11
	v_readfirstlane_b32 s1, v12
	ds_load_b32 v0, v0 offset:12288
	s_waitcnt lgkmcnt(0)
	global_store_b32 v7, v0, s[0:1]
.LBB1498_354:
	s_or_b32 exec_lo, exec_lo, s3
	s_and_b32 s0, s2, s13
	s_delay_alu instid0(SALU_CYCLE_1)
	s_and_saveexec_b32 s1, s0
	s_cbranch_execz .LBB1498_131
.LBB1498_355:
	v_add_co_u32 v3, vcc_lo, v3, v6
	v_add_co_ci_u32_e32 v4, vcc_lo, 0, v4, vcc_lo
	v_add_co_u32 v0, vcc_lo, v1, v5
	v_add_co_ci_u32_e32 v1, vcc_lo, 0, v2, vcc_lo
	s_delay_alu instid0(VALU_DEP_4)
	v_add_co_u32 v2, vcc_lo, v3, v8
	v_mov_b32_e32 v7, 0
	v_add_co_ci_u32_e32 v3, vcc_lo, 0, v4, vcc_lo
	global_store_b128 v7, v[0:3], s[24:25]
	s_nop 0
	s_sendmsg sendmsg(MSG_DEALLOC_VGPRS)
	s_endpgm
.LBB1498_356:
	v_add_nc_u32_e32 v7, s6, v27
	s_add_i32 s8, s26, 32
	s_mov_b32 s9, 0
	v_dual_mov_b32 v9, 0 :: v_dual_add_nc_u32 v6, v26, v5
	s_lshl_b64 s[8:9], s[8:9], 4
	v_and_b32_e32 v24, 0xff0000, v7
	s_add_u32 s8, s36, s8
	s_addc_u32 s9, s37, s9
	v_and_b32_e32 v8, 0xff000000, v7
	s_delay_alu instid0(VALU_DEP_1) | instskip(SKIP_2) | instid1(VALU_DEP_1)
	v_or_b32_e32 v24, v24, v8
	v_dual_mov_b32 v8, 2 :: v_dual_and_b32 v25, 0xff00, v7
	v_and_b32_e32 v7, 0xff, v7
	v_or3_b32 v7, v24, v25, v7
	v_dual_mov_b32 v25, s9 :: v_dual_mov_b32 v24, s8
	;;#ASMSTART
	global_store_dwordx4 v[24:25], v[6:9] off	
s_waitcnt vmcnt(0)
	;;#ASMEND
	s_or_b32 exec_lo, exec_lo, s7
	s_and_saveexec_b32 s7, s3
	s_cbranch_execz .LBB1498_115
.LBB1498_357:
	v_mov_b32_e32 v6, s6
	v_add_nc_u32_e64 v7, 0x3400, 0
	ds_store_2addr_b32 v7, v5, v6 offset1:2
	ds_store_2addr_b32 v7, v26, v27 offset0:4 offset1:6
	s_or_b32 exec_lo, exec_lo, s7
	s_delay_alu instid0(SALU_CYCLE_1)
	s_and_b32 exec_lo, exec_lo, s2
	s_cbranch_execnz .LBB1498_116
	s_branch .LBB1498_117
	.section	.rodata,"a",@progbits
	.p2align	6, 0x0
	.amdhsa_kernel _ZN7rocprim17ROCPRIM_400000_NS6detail17trampoline_kernelINS0_13select_configILj256ELj13ELNS0_17block_load_methodE3ELS4_3ELS4_3ELNS0_20block_scan_algorithmE0ELj4294967295EEENS1_25partition_config_selectorILNS1_17partition_subalgoE4EjNS0_10empty_typeEbEEZZNS1_14partition_implILS8_4ELb0ES6_15HIP_vector_typeIjLj2EENS0_17counting_iteratorIjlEEPS9_SG_NS0_5tupleIJPjSI_NS0_16reverse_iteratorISI_EEEEENSH_IJSG_SG_SG_EEES9_SI_JZNS1_25segmented_radix_sort_implINS0_14default_configELb1EPKbPbPKlPlN2at6native12_GLOBAL__N_18offset_tEEE10hipError_tPvRmT1_PNSt15iterator_traitsIS12_E10value_typeET2_T3_PNS13_IS18_E10value_typeET4_jRbjT5_S1E_jjP12ihipStream_tbEUljE_ZNSN_ISO_Lb1ESQ_SR_ST_SU_SY_EESZ_S10_S11_S12_S16_S17_S18_S1B_S1C_jS1D_jS1E_S1E_jjS1G_bEUljE0_EEESZ_S10_S11_S18_S1C_S1E_T6_T7_T9_mT8_S1G_bDpT10_ENKUlT_T0_E_clISt17integral_constantIbLb0EES1T_IbLb1EEEEDaS1P_S1Q_EUlS1P_E_NS1_11comp_targetILNS1_3genE9ELNS1_11target_archE1100ELNS1_3gpuE3ELNS1_3repE0EEENS1_30default_config_static_selectorELNS0_4arch9wavefront6targetE0EEEvS12_
		.amdhsa_group_segment_fixed_size 13340
		.amdhsa_private_segment_fixed_size 0
		.amdhsa_kernarg_size 184
		.amdhsa_user_sgpr_count 15
		.amdhsa_user_sgpr_dispatch_ptr 0
		.amdhsa_user_sgpr_queue_ptr 0
		.amdhsa_user_sgpr_kernarg_segment_ptr 1
		.amdhsa_user_sgpr_dispatch_id 0
		.amdhsa_user_sgpr_private_segment_size 0
		.amdhsa_wavefront_size32 1
		.amdhsa_uses_dynamic_stack 0
		.amdhsa_enable_private_segment 0
		.amdhsa_system_sgpr_workgroup_id_x 1
		.amdhsa_system_sgpr_workgroup_id_y 0
		.amdhsa_system_sgpr_workgroup_id_z 0
		.amdhsa_system_sgpr_workgroup_info 0
		.amdhsa_system_vgpr_workitem_id 0
		.amdhsa_next_free_vgpr 103
		.amdhsa_next_free_sgpr 55
		.amdhsa_reserve_vcc 1
		.amdhsa_float_round_mode_32 0
		.amdhsa_float_round_mode_16_64 0
		.amdhsa_float_denorm_mode_32 3
		.amdhsa_float_denorm_mode_16_64 3
		.amdhsa_dx10_clamp 1
		.amdhsa_ieee_mode 1
		.amdhsa_fp16_overflow 0
		.amdhsa_workgroup_processor_mode 1
		.amdhsa_memory_ordered 1
		.amdhsa_forward_progress 0
		.amdhsa_shared_vgpr_count 0
		.amdhsa_exception_fp_ieee_invalid_op 0
		.amdhsa_exception_fp_denorm_src 0
		.amdhsa_exception_fp_ieee_div_zero 0
		.amdhsa_exception_fp_ieee_overflow 0
		.amdhsa_exception_fp_ieee_underflow 0
		.amdhsa_exception_fp_ieee_inexact 0
		.amdhsa_exception_int_div_zero 0
	.end_amdhsa_kernel
	.section	.text._ZN7rocprim17ROCPRIM_400000_NS6detail17trampoline_kernelINS0_13select_configILj256ELj13ELNS0_17block_load_methodE3ELS4_3ELS4_3ELNS0_20block_scan_algorithmE0ELj4294967295EEENS1_25partition_config_selectorILNS1_17partition_subalgoE4EjNS0_10empty_typeEbEEZZNS1_14partition_implILS8_4ELb0ES6_15HIP_vector_typeIjLj2EENS0_17counting_iteratorIjlEEPS9_SG_NS0_5tupleIJPjSI_NS0_16reverse_iteratorISI_EEEEENSH_IJSG_SG_SG_EEES9_SI_JZNS1_25segmented_radix_sort_implINS0_14default_configELb1EPKbPbPKlPlN2at6native12_GLOBAL__N_18offset_tEEE10hipError_tPvRmT1_PNSt15iterator_traitsIS12_E10value_typeET2_T3_PNS13_IS18_E10value_typeET4_jRbjT5_S1E_jjP12ihipStream_tbEUljE_ZNSN_ISO_Lb1ESQ_SR_ST_SU_SY_EESZ_S10_S11_S12_S16_S17_S18_S1B_S1C_jS1D_jS1E_S1E_jjS1G_bEUljE0_EEESZ_S10_S11_S18_S1C_S1E_T6_T7_T9_mT8_S1G_bDpT10_ENKUlT_T0_E_clISt17integral_constantIbLb0EES1T_IbLb1EEEEDaS1P_S1Q_EUlS1P_E_NS1_11comp_targetILNS1_3genE9ELNS1_11target_archE1100ELNS1_3gpuE3ELNS1_3repE0EEENS1_30default_config_static_selectorELNS0_4arch9wavefront6targetE0EEEvS12_,"axG",@progbits,_ZN7rocprim17ROCPRIM_400000_NS6detail17trampoline_kernelINS0_13select_configILj256ELj13ELNS0_17block_load_methodE3ELS4_3ELS4_3ELNS0_20block_scan_algorithmE0ELj4294967295EEENS1_25partition_config_selectorILNS1_17partition_subalgoE4EjNS0_10empty_typeEbEEZZNS1_14partition_implILS8_4ELb0ES6_15HIP_vector_typeIjLj2EENS0_17counting_iteratorIjlEEPS9_SG_NS0_5tupleIJPjSI_NS0_16reverse_iteratorISI_EEEEENSH_IJSG_SG_SG_EEES9_SI_JZNS1_25segmented_radix_sort_implINS0_14default_configELb1EPKbPbPKlPlN2at6native12_GLOBAL__N_18offset_tEEE10hipError_tPvRmT1_PNSt15iterator_traitsIS12_E10value_typeET2_T3_PNS13_IS18_E10value_typeET4_jRbjT5_S1E_jjP12ihipStream_tbEUljE_ZNSN_ISO_Lb1ESQ_SR_ST_SU_SY_EESZ_S10_S11_S12_S16_S17_S18_S1B_S1C_jS1D_jS1E_S1E_jjS1G_bEUljE0_EEESZ_S10_S11_S18_S1C_S1E_T6_T7_T9_mT8_S1G_bDpT10_ENKUlT_T0_E_clISt17integral_constantIbLb0EES1T_IbLb1EEEEDaS1P_S1Q_EUlS1P_E_NS1_11comp_targetILNS1_3genE9ELNS1_11target_archE1100ELNS1_3gpuE3ELNS1_3repE0EEENS1_30default_config_static_selectorELNS0_4arch9wavefront6targetE0EEEvS12_,comdat
.Lfunc_end1498:
	.size	_ZN7rocprim17ROCPRIM_400000_NS6detail17trampoline_kernelINS0_13select_configILj256ELj13ELNS0_17block_load_methodE3ELS4_3ELS4_3ELNS0_20block_scan_algorithmE0ELj4294967295EEENS1_25partition_config_selectorILNS1_17partition_subalgoE4EjNS0_10empty_typeEbEEZZNS1_14partition_implILS8_4ELb0ES6_15HIP_vector_typeIjLj2EENS0_17counting_iteratorIjlEEPS9_SG_NS0_5tupleIJPjSI_NS0_16reverse_iteratorISI_EEEEENSH_IJSG_SG_SG_EEES9_SI_JZNS1_25segmented_radix_sort_implINS0_14default_configELb1EPKbPbPKlPlN2at6native12_GLOBAL__N_18offset_tEEE10hipError_tPvRmT1_PNSt15iterator_traitsIS12_E10value_typeET2_T3_PNS13_IS18_E10value_typeET4_jRbjT5_S1E_jjP12ihipStream_tbEUljE_ZNSN_ISO_Lb1ESQ_SR_ST_SU_SY_EESZ_S10_S11_S12_S16_S17_S18_S1B_S1C_jS1D_jS1E_S1E_jjS1G_bEUljE0_EEESZ_S10_S11_S18_S1C_S1E_T6_T7_T9_mT8_S1G_bDpT10_ENKUlT_T0_E_clISt17integral_constantIbLb0EES1T_IbLb1EEEEDaS1P_S1Q_EUlS1P_E_NS1_11comp_targetILNS1_3genE9ELNS1_11target_archE1100ELNS1_3gpuE3ELNS1_3repE0EEENS1_30default_config_static_selectorELNS0_4arch9wavefront6targetE0EEEvS12_, .Lfunc_end1498-_ZN7rocprim17ROCPRIM_400000_NS6detail17trampoline_kernelINS0_13select_configILj256ELj13ELNS0_17block_load_methodE3ELS4_3ELS4_3ELNS0_20block_scan_algorithmE0ELj4294967295EEENS1_25partition_config_selectorILNS1_17partition_subalgoE4EjNS0_10empty_typeEbEEZZNS1_14partition_implILS8_4ELb0ES6_15HIP_vector_typeIjLj2EENS0_17counting_iteratorIjlEEPS9_SG_NS0_5tupleIJPjSI_NS0_16reverse_iteratorISI_EEEEENSH_IJSG_SG_SG_EEES9_SI_JZNS1_25segmented_radix_sort_implINS0_14default_configELb1EPKbPbPKlPlN2at6native12_GLOBAL__N_18offset_tEEE10hipError_tPvRmT1_PNSt15iterator_traitsIS12_E10value_typeET2_T3_PNS13_IS18_E10value_typeET4_jRbjT5_S1E_jjP12ihipStream_tbEUljE_ZNSN_ISO_Lb1ESQ_SR_ST_SU_SY_EESZ_S10_S11_S12_S16_S17_S18_S1B_S1C_jS1D_jS1E_S1E_jjS1G_bEUljE0_EEESZ_S10_S11_S18_S1C_S1E_T6_T7_T9_mT8_S1G_bDpT10_ENKUlT_T0_E_clISt17integral_constantIbLb0EES1T_IbLb1EEEEDaS1P_S1Q_EUlS1P_E_NS1_11comp_targetILNS1_3genE9ELNS1_11target_archE1100ELNS1_3gpuE3ELNS1_3repE0EEENS1_30default_config_static_selectorELNS0_4arch9wavefront6targetE0EEEvS12_
                                        ; -- End function
	.section	.AMDGPU.csdata,"",@progbits
; Kernel info:
; codeLenInByte = 15060
; NumSgprs: 57
; NumVgprs: 103
; ScratchSize: 0
; MemoryBound: 0
; FloatMode: 240
; IeeeMode: 1
; LDSByteSize: 13340 bytes/workgroup (compile time only)
; SGPRBlocks: 7
; VGPRBlocks: 12
; NumSGPRsForWavesPerEU: 57
; NumVGPRsForWavesPerEU: 103
; Occupancy: 12
; WaveLimiterHint : 1
; COMPUTE_PGM_RSRC2:SCRATCH_EN: 0
; COMPUTE_PGM_RSRC2:USER_SGPR: 15
; COMPUTE_PGM_RSRC2:TRAP_HANDLER: 0
; COMPUTE_PGM_RSRC2:TGID_X_EN: 1
; COMPUTE_PGM_RSRC2:TGID_Y_EN: 0
; COMPUTE_PGM_RSRC2:TGID_Z_EN: 0
; COMPUTE_PGM_RSRC2:TIDIG_COMP_CNT: 0
	.section	.text._ZN7rocprim17ROCPRIM_400000_NS6detail17trampoline_kernelINS0_13select_configILj256ELj13ELNS0_17block_load_methodE3ELS4_3ELS4_3ELNS0_20block_scan_algorithmE0ELj4294967295EEENS1_25partition_config_selectorILNS1_17partition_subalgoE4EjNS0_10empty_typeEbEEZZNS1_14partition_implILS8_4ELb0ES6_15HIP_vector_typeIjLj2EENS0_17counting_iteratorIjlEEPS9_SG_NS0_5tupleIJPjSI_NS0_16reverse_iteratorISI_EEEEENSH_IJSG_SG_SG_EEES9_SI_JZNS1_25segmented_radix_sort_implINS0_14default_configELb1EPKbPbPKlPlN2at6native12_GLOBAL__N_18offset_tEEE10hipError_tPvRmT1_PNSt15iterator_traitsIS12_E10value_typeET2_T3_PNS13_IS18_E10value_typeET4_jRbjT5_S1E_jjP12ihipStream_tbEUljE_ZNSN_ISO_Lb1ESQ_SR_ST_SU_SY_EESZ_S10_S11_S12_S16_S17_S18_S1B_S1C_jS1D_jS1E_S1E_jjS1G_bEUljE0_EEESZ_S10_S11_S18_S1C_S1E_T6_T7_T9_mT8_S1G_bDpT10_ENKUlT_T0_E_clISt17integral_constantIbLb0EES1T_IbLb1EEEEDaS1P_S1Q_EUlS1P_E_NS1_11comp_targetILNS1_3genE8ELNS1_11target_archE1030ELNS1_3gpuE2ELNS1_3repE0EEENS1_30default_config_static_selectorELNS0_4arch9wavefront6targetE0EEEvS12_,"axG",@progbits,_ZN7rocprim17ROCPRIM_400000_NS6detail17trampoline_kernelINS0_13select_configILj256ELj13ELNS0_17block_load_methodE3ELS4_3ELS4_3ELNS0_20block_scan_algorithmE0ELj4294967295EEENS1_25partition_config_selectorILNS1_17partition_subalgoE4EjNS0_10empty_typeEbEEZZNS1_14partition_implILS8_4ELb0ES6_15HIP_vector_typeIjLj2EENS0_17counting_iteratorIjlEEPS9_SG_NS0_5tupleIJPjSI_NS0_16reverse_iteratorISI_EEEEENSH_IJSG_SG_SG_EEES9_SI_JZNS1_25segmented_radix_sort_implINS0_14default_configELb1EPKbPbPKlPlN2at6native12_GLOBAL__N_18offset_tEEE10hipError_tPvRmT1_PNSt15iterator_traitsIS12_E10value_typeET2_T3_PNS13_IS18_E10value_typeET4_jRbjT5_S1E_jjP12ihipStream_tbEUljE_ZNSN_ISO_Lb1ESQ_SR_ST_SU_SY_EESZ_S10_S11_S12_S16_S17_S18_S1B_S1C_jS1D_jS1E_S1E_jjS1G_bEUljE0_EEESZ_S10_S11_S18_S1C_S1E_T6_T7_T9_mT8_S1G_bDpT10_ENKUlT_T0_E_clISt17integral_constantIbLb0EES1T_IbLb1EEEEDaS1P_S1Q_EUlS1P_E_NS1_11comp_targetILNS1_3genE8ELNS1_11target_archE1030ELNS1_3gpuE2ELNS1_3repE0EEENS1_30default_config_static_selectorELNS0_4arch9wavefront6targetE0EEEvS12_,comdat
	.globl	_ZN7rocprim17ROCPRIM_400000_NS6detail17trampoline_kernelINS0_13select_configILj256ELj13ELNS0_17block_load_methodE3ELS4_3ELS4_3ELNS0_20block_scan_algorithmE0ELj4294967295EEENS1_25partition_config_selectorILNS1_17partition_subalgoE4EjNS0_10empty_typeEbEEZZNS1_14partition_implILS8_4ELb0ES6_15HIP_vector_typeIjLj2EENS0_17counting_iteratorIjlEEPS9_SG_NS0_5tupleIJPjSI_NS0_16reverse_iteratorISI_EEEEENSH_IJSG_SG_SG_EEES9_SI_JZNS1_25segmented_radix_sort_implINS0_14default_configELb1EPKbPbPKlPlN2at6native12_GLOBAL__N_18offset_tEEE10hipError_tPvRmT1_PNSt15iterator_traitsIS12_E10value_typeET2_T3_PNS13_IS18_E10value_typeET4_jRbjT5_S1E_jjP12ihipStream_tbEUljE_ZNSN_ISO_Lb1ESQ_SR_ST_SU_SY_EESZ_S10_S11_S12_S16_S17_S18_S1B_S1C_jS1D_jS1E_S1E_jjS1G_bEUljE0_EEESZ_S10_S11_S18_S1C_S1E_T6_T7_T9_mT8_S1G_bDpT10_ENKUlT_T0_E_clISt17integral_constantIbLb0EES1T_IbLb1EEEEDaS1P_S1Q_EUlS1P_E_NS1_11comp_targetILNS1_3genE8ELNS1_11target_archE1030ELNS1_3gpuE2ELNS1_3repE0EEENS1_30default_config_static_selectorELNS0_4arch9wavefront6targetE0EEEvS12_ ; -- Begin function _ZN7rocprim17ROCPRIM_400000_NS6detail17trampoline_kernelINS0_13select_configILj256ELj13ELNS0_17block_load_methodE3ELS4_3ELS4_3ELNS0_20block_scan_algorithmE0ELj4294967295EEENS1_25partition_config_selectorILNS1_17partition_subalgoE4EjNS0_10empty_typeEbEEZZNS1_14partition_implILS8_4ELb0ES6_15HIP_vector_typeIjLj2EENS0_17counting_iteratorIjlEEPS9_SG_NS0_5tupleIJPjSI_NS0_16reverse_iteratorISI_EEEEENSH_IJSG_SG_SG_EEES9_SI_JZNS1_25segmented_radix_sort_implINS0_14default_configELb1EPKbPbPKlPlN2at6native12_GLOBAL__N_18offset_tEEE10hipError_tPvRmT1_PNSt15iterator_traitsIS12_E10value_typeET2_T3_PNS13_IS18_E10value_typeET4_jRbjT5_S1E_jjP12ihipStream_tbEUljE_ZNSN_ISO_Lb1ESQ_SR_ST_SU_SY_EESZ_S10_S11_S12_S16_S17_S18_S1B_S1C_jS1D_jS1E_S1E_jjS1G_bEUljE0_EEESZ_S10_S11_S18_S1C_S1E_T6_T7_T9_mT8_S1G_bDpT10_ENKUlT_T0_E_clISt17integral_constantIbLb0EES1T_IbLb1EEEEDaS1P_S1Q_EUlS1P_E_NS1_11comp_targetILNS1_3genE8ELNS1_11target_archE1030ELNS1_3gpuE2ELNS1_3repE0EEENS1_30default_config_static_selectorELNS0_4arch9wavefront6targetE0EEEvS12_
	.p2align	8
	.type	_ZN7rocprim17ROCPRIM_400000_NS6detail17trampoline_kernelINS0_13select_configILj256ELj13ELNS0_17block_load_methodE3ELS4_3ELS4_3ELNS0_20block_scan_algorithmE0ELj4294967295EEENS1_25partition_config_selectorILNS1_17partition_subalgoE4EjNS0_10empty_typeEbEEZZNS1_14partition_implILS8_4ELb0ES6_15HIP_vector_typeIjLj2EENS0_17counting_iteratorIjlEEPS9_SG_NS0_5tupleIJPjSI_NS0_16reverse_iteratorISI_EEEEENSH_IJSG_SG_SG_EEES9_SI_JZNS1_25segmented_radix_sort_implINS0_14default_configELb1EPKbPbPKlPlN2at6native12_GLOBAL__N_18offset_tEEE10hipError_tPvRmT1_PNSt15iterator_traitsIS12_E10value_typeET2_T3_PNS13_IS18_E10value_typeET4_jRbjT5_S1E_jjP12ihipStream_tbEUljE_ZNSN_ISO_Lb1ESQ_SR_ST_SU_SY_EESZ_S10_S11_S12_S16_S17_S18_S1B_S1C_jS1D_jS1E_S1E_jjS1G_bEUljE0_EEESZ_S10_S11_S18_S1C_S1E_T6_T7_T9_mT8_S1G_bDpT10_ENKUlT_T0_E_clISt17integral_constantIbLb0EES1T_IbLb1EEEEDaS1P_S1Q_EUlS1P_E_NS1_11comp_targetILNS1_3genE8ELNS1_11target_archE1030ELNS1_3gpuE2ELNS1_3repE0EEENS1_30default_config_static_selectorELNS0_4arch9wavefront6targetE0EEEvS12_,@function
_ZN7rocprim17ROCPRIM_400000_NS6detail17trampoline_kernelINS0_13select_configILj256ELj13ELNS0_17block_load_methodE3ELS4_3ELS4_3ELNS0_20block_scan_algorithmE0ELj4294967295EEENS1_25partition_config_selectorILNS1_17partition_subalgoE4EjNS0_10empty_typeEbEEZZNS1_14partition_implILS8_4ELb0ES6_15HIP_vector_typeIjLj2EENS0_17counting_iteratorIjlEEPS9_SG_NS0_5tupleIJPjSI_NS0_16reverse_iteratorISI_EEEEENSH_IJSG_SG_SG_EEES9_SI_JZNS1_25segmented_radix_sort_implINS0_14default_configELb1EPKbPbPKlPlN2at6native12_GLOBAL__N_18offset_tEEE10hipError_tPvRmT1_PNSt15iterator_traitsIS12_E10value_typeET2_T3_PNS13_IS18_E10value_typeET4_jRbjT5_S1E_jjP12ihipStream_tbEUljE_ZNSN_ISO_Lb1ESQ_SR_ST_SU_SY_EESZ_S10_S11_S12_S16_S17_S18_S1B_S1C_jS1D_jS1E_S1E_jjS1G_bEUljE0_EEESZ_S10_S11_S18_S1C_S1E_T6_T7_T9_mT8_S1G_bDpT10_ENKUlT_T0_E_clISt17integral_constantIbLb0EES1T_IbLb1EEEEDaS1P_S1Q_EUlS1P_E_NS1_11comp_targetILNS1_3genE8ELNS1_11target_archE1030ELNS1_3gpuE2ELNS1_3repE0EEENS1_30default_config_static_selectorELNS0_4arch9wavefront6targetE0EEEvS12_: ; @_ZN7rocprim17ROCPRIM_400000_NS6detail17trampoline_kernelINS0_13select_configILj256ELj13ELNS0_17block_load_methodE3ELS4_3ELS4_3ELNS0_20block_scan_algorithmE0ELj4294967295EEENS1_25partition_config_selectorILNS1_17partition_subalgoE4EjNS0_10empty_typeEbEEZZNS1_14partition_implILS8_4ELb0ES6_15HIP_vector_typeIjLj2EENS0_17counting_iteratorIjlEEPS9_SG_NS0_5tupleIJPjSI_NS0_16reverse_iteratorISI_EEEEENSH_IJSG_SG_SG_EEES9_SI_JZNS1_25segmented_radix_sort_implINS0_14default_configELb1EPKbPbPKlPlN2at6native12_GLOBAL__N_18offset_tEEE10hipError_tPvRmT1_PNSt15iterator_traitsIS12_E10value_typeET2_T3_PNS13_IS18_E10value_typeET4_jRbjT5_S1E_jjP12ihipStream_tbEUljE_ZNSN_ISO_Lb1ESQ_SR_ST_SU_SY_EESZ_S10_S11_S12_S16_S17_S18_S1B_S1C_jS1D_jS1E_S1E_jjS1G_bEUljE0_EEESZ_S10_S11_S18_S1C_S1E_T6_T7_T9_mT8_S1G_bDpT10_ENKUlT_T0_E_clISt17integral_constantIbLb0EES1T_IbLb1EEEEDaS1P_S1Q_EUlS1P_E_NS1_11comp_targetILNS1_3genE8ELNS1_11target_archE1030ELNS1_3gpuE2ELNS1_3repE0EEENS1_30default_config_static_selectorELNS0_4arch9wavefront6targetE0EEEvS12_
; %bb.0:
	.section	.rodata,"a",@progbits
	.p2align	6, 0x0
	.amdhsa_kernel _ZN7rocprim17ROCPRIM_400000_NS6detail17trampoline_kernelINS0_13select_configILj256ELj13ELNS0_17block_load_methodE3ELS4_3ELS4_3ELNS0_20block_scan_algorithmE0ELj4294967295EEENS1_25partition_config_selectorILNS1_17partition_subalgoE4EjNS0_10empty_typeEbEEZZNS1_14partition_implILS8_4ELb0ES6_15HIP_vector_typeIjLj2EENS0_17counting_iteratorIjlEEPS9_SG_NS0_5tupleIJPjSI_NS0_16reverse_iteratorISI_EEEEENSH_IJSG_SG_SG_EEES9_SI_JZNS1_25segmented_radix_sort_implINS0_14default_configELb1EPKbPbPKlPlN2at6native12_GLOBAL__N_18offset_tEEE10hipError_tPvRmT1_PNSt15iterator_traitsIS12_E10value_typeET2_T3_PNS13_IS18_E10value_typeET4_jRbjT5_S1E_jjP12ihipStream_tbEUljE_ZNSN_ISO_Lb1ESQ_SR_ST_SU_SY_EESZ_S10_S11_S12_S16_S17_S18_S1B_S1C_jS1D_jS1E_S1E_jjS1G_bEUljE0_EEESZ_S10_S11_S18_S1C_S1E_T6_T7_T9_mT8_S1G_bDpT10_ENKUlT_T0_E_clISt17integral_constantIbLb0EES1T_IbLb1EEEEDaS1P_S1Q_EUlS1P_E_NS1_11comp_targetILNS1_3genE8ELNS1_11target_archE1030ELNS1_3gpuE2ELNS1_3repE0EEENS1_30default_config_static_selectorELNS0_4arch9wavefront6targetE0EEEvS12_
		.amdhsa_group_segment_fixed_size 0
		.amdhsa_private_segment_fixed_size 0
		.amdhsa_kernarg_size 184
		.amdhsa_user_sgpr_count 15
		.amdhsa_user_sgpr_dispatch_ptr 0
		.amdhsa_user_sgpr_queue_ptr 0
		.amdhsa_user_sgpr_kernarg_segment_ptr 1
		.amdhsa_user_sgpr_dispatch_id 0
		.amdhsa_user_sgpr_private_segment_size 0
		.amdhsa_wavefront_size32 1
		.amdhsa_uses_dynamic_stack 0
		.amdhsa_enable_private_segment 0
		.amdhsa_system_sgpr_workgroup_id_x 1
		.amdhsa_system_sgpr_workgroup_id_y 0
		.amdhsa_system_sgpr_workgroup_id_z 0
		.amdhsa_system_sgpr_workgroup_info 0
		.amdhsa_system_vgpr_workitem_id 0
		.amdhsa_next_free_vgpr 1
		.amdhsa_next_free_sgpr 1
		.amdhsa_reserve_vcc 0
		.amdhsa_float_round_mode_32 0
		.amdhsa_float_round_mode_16_64 0
		.amdhsa_float_denorm_mode_32 3
		.amdhsa_float_denorm_mode_16_64 3
		.amdhsa_dx10_clamp 1
		.amdhsa_ieee_mode 1
		.amdhsa_fp16_overflow 0
		.amdhsa_workgroup_processor_mode 1
		.amdhsa_memory_ordered 1
		.amdhsa_forward_progress 0
		.amdhsa_shared_vgpr_count 0
		.amdhsa_exception_fp_ieee_invalid_op 0
		.amdhsa_exception_fp_denorm_src 0
		.amdhsa_exception_fp_ieee_div_zero 0
		.amdhsa_exception_fp_ieee_overflow 0
		.amdhsa_exception_fp_ieee_underflow 0
		.amdhsa_exception_fp_ieee_inexact 0
		.amdhsa_exception_int_div_zero 0
	.end_amdhsa_kernel
	.section	.text._ZN7rocprim17ROCPRIM_400000_NS6detail17trampoline_kernelINS0_13select_configILj256ELj13ELNS0_17block_load_methodE3ELS4_3ELS4_3ELNS0_20block_scan_algorithmE0ELj4294967295EEENS1_25partition_config_selectorILNS1_17partition_subalgoE4EjNS0_10empty_typeEbEEZZNS1_14partition_implILS8_4ELb0ES6_15HIP_vector_typeIjLj2EENS0_17counting_iteratorIjlEEPS9_SG_NS0_5tupleIJPjSI_NS0_16reverse_iteratorISI_EEEEENSH_IJSG_SG_SG_EEES9_SI_JZNS1_25segmented_radix_sort_implINS0_14default_configELb1EPKbPbPKlPlN2at6native12_GLOBAL__N_18offset_tEEE10hipError_tPvRmT1_PNSt15iterator_traitsIS12_E10value_typeET2_T3_PNS13_IS18_E10value_typeET4_jRbjT5_S1E_jjP12ihipStream_tbEUljE_ZNSN_ISO_Lb1ESQ_SR_ST_SU_SY_EESZ_S10_S11_S12_S16_S17_S18_S1B_S1C_jS1D_jS1E_S1E_jjS1G_bEUljE0_EEESZ_S10_S11_S18_S1C_S1E_T6_T7_T9_mT8_S1G_bDpT10_ENKUlT_T0_E_clISt17integral_constantIbLb0EES1T_IbLb1EEEEDaS1P_S1Q_EUlS1P_E_NS1_11comp_targetILNS1_3genE8ELNS1_11target_archE1030ELNS1_3gpuE2ELNS1_3repE0EEENS1_30default_config_static_selectorELNS0_4arch9wavefront6targetE0EEEvS12_,"axG",@progbits,_ZN7rocprim17ROCPRIM_400000_NS6detail17trampoline_kernelINS0_13select_configILj256ELj13ELNS0_17block_load_methodE3ELS4_3ELS4_3ELNS0_20block_scan_algorithmE0ELj4294967295EEENS1_25partition_config_selectorILNS1_17partition_subalgoE4EjNS0_10empty_typeEbEEZZNS1_14partition_implILS8_4ELb0ES6_15HIP_vector_typeIjLj2EENS0_17counting_iteratorIjlEEPS9_SG_NS0_5tupleIJPjSI_NS0_16reverse_iteratorISI_EEEEENSH_IJSG_SG_SG_EEES9_SI_JZNS1_25segmented_radix_sort_implINS0_14default_configELb1EPKbPbPKlPlN2at6native12_GLOBAL__N_18offset_tEEE10hipError_tPvRmT1_PNSt15iterator_traitsIS12_E10value_typeET2_T3_PNS13_IS18_E10value_typeET4_jRbjT5_S1E_jjP12ihipStream_tbEUljE_ZNSN_ISO_Lb1ESQ_SR_ST_SU_SY_EESZ_S10_S11_S12_S16_S17_S18_S1B_S1C_jS1D_jS1E_S1E_jjS1G_bEUljE0_EEESZ_S10_S11_S18_S1C_S1E_T6_T7_T9_mT8_S1G_bDpT10_ENKUlT_T0_E_clISt17integral_constantIbLb0EES1T_IbLb1EEEEDaS1P_S1Q_EUlS1P_E_NS1_11comp_targetILNS1_3genE8ELNS1_11target_archE1030ELNS1_3gpuE2ELNS1_3repE0EEENS1_30default_config_static_selectorELNS0_4arch9wavefront6targetE0EEEvS12_,comdat
.Lfunc_end1499:
	.size	_ZN7rocprim17ROCPRIM_400000_NS6detail17trampoline_kernelINS0_13select_configILj256ELj13ELNS0_17block_load_methodE3ELS4_3ELS4_3ELNS0_20block_scan_algorithmE0ELj4294967295EEENS1_25partition_config_selectorILNS1_17partition_subalgoE4EjNS0_10empty_typeEbEEZZNS1_14partition_implILS8_4ELb0ES6_15HIP_vector_typeIjLj2EENS0_17counting_iteratorIjlEEPS9_SG_NS0_5tupleIJPjSI_NS0_16reverse_iteratorISI_EEEEENSH_IJSG_SG_SG_EEES9_SI_JZNS1_25segmented_radix_sort_implINS0_14default_configELb1EPKbPbPKlPlN2at6native12_GLOBAL__N_18offset_tEEE10hipError_tPvRmT1_PNSt15iterator_traitsIS12_E10value_typeET2_T3_PNS13_IS18_E10value_typeET4_jRbjT5_S1E_jjP12ihipStream_tbEUljE_ZNSN_ISO_Lb1ESQ_SR_ST_SU_SY_EESZ_S10_S11_S12_S16_S17_S18_S1B_S1C_jS1D_jS1E_S1E_jjS1G_bEUljE0_EEESZ_S10_S11_S18_S1C_S1E_T6_T7_T9_mT8_S1G_bDpT10_ENKUlT_T0_E_clISt17integral_constantIbLb0EES1T_IbLb1EEEEDaS1P_S1Q_EUlS1P_E_NS1_11comp_targetILNS1_3genE8ELNS1_11target_archE1030ELNS1_3gpuE2ELNS1_3repE0EEENS1_30default_config_static_selectorELNS0_4arch9wavefront6targetE0EEEvS12_, .Lfunc_end1499-_ZN7rocprim17ROCPRIM_400000_NS6detail17trampoline_kernelINS0_13select_configILj256ELj13ELNS0_17block_load_methodE3ELS4_3ELS4_3ELNS0_20block_scan_algorithmE0ELj4294967295EEENS1_25partition_config_selectorILNS1_17partition_subalgoE4EjNS0_10empty_typeEbEEZZNS1_14partition_implILS8_4ELb0ES6_15HIP_vector_typeIjLj2EENS0_17counting_iteratorIjlEEPS9_SG_NS0_5tupleIJPjSI_NS0_16reverse_iteratorISI_EEEEENSH_IJSG_SG_SG_EEES9_SI_JZNS1_25segmented_radix_sort_implINS0_14default_configELb1EPKbPbPKlPlN2at6native12_GLOBAL__N_18offset_tEEE10hipError_tPvRmT1_PNSt15iterator_traitsIS12_E10value_typeET2_T3_PNS13_IS18_E10value_typeET4_jRbjT5_S1E_jjP12ihipStream_tbEUljE_ZNSN_ISO_Lb1ESQ_SR_ST_SU_SY_EESZ_S10_S11_S12_S16_S17_S18_S1B_S1C_jS1D_jS1E_S1E_jjS1G_bEUljE0_EEESZ_S10_S11_S18_S1C_S1E_T6_T7_T9_mT8_S1G_bDpT10_ENKUlT_T0_E_clISt17integral_constantIbLb0EES1T_IbLb1EEEEDaS1P_S1Q_EUlS1P_E_NS1_11comp_targetILNS1_3genE8ELNS1_11target_archE1030ELNS1_3gpuE2ELNS1_3repE0EEENS1_30default_config_static_selectorELNS0_4arch9wavefront6targetE0EEEvS12_
                                        ; -- End function
	.section	.AMDGPU.csdata,"",@progbits
; Kernel info:
; codeLenInByte = 0
; NumSgprs: 0
; NumVgprs: 0
; ScratchSize: 0
; MemoryBound: 0
; FloatMode: 240
; IeeeMode: 1
; LDSByteSize: 0 bytes/workgroup (compile time only)
; SGPRBlocks: 0
; VGPRBlocks: 0
; NumSGPRsForWavesPerEU: 1
; NumVGPRsForWavesPerEU: 1
; Occupancy: 16
; WaveLimiterHint : 0
; COMPUTE_PGM_RSRC2:SCRATCH_EN: 0
; COMPUTE_PGM_RSRC2:USER_SGPR: 15
; COMPUTE_PGM_RSRC2:TRAP_HANDLER: 0
; COMPUTE_PGM_RSRC2:TGID_X_EN: 1
; COMPUTE_PGM_RSRC2:TGID_Y_EN: 0
; COMPUTE_PGM_RSRC2:TGID_Z_EN: 0
; COMPUTE_PGM_RSRC2:TIDIG_COMP_CNT: 0
	.section	.text._ZN7rocprim17ROCPRIM_400000_NS6detail17trampoline_kernelINS0_13select_configILj256ELj13ELNS0_17block_load_methodE3ELS4_3ELS4_3ELNS0_20block_scan_algorithmE0ELj4294967295EEENS1_25partition_config_selectorILNS1_17partition_subalgoE3EjNS0_10empty_typeEbEEZZNS1_14partition_implILS8_3ELb0ES6_jNS0_17counting_iteratorIjlEEPS9_SE_NS0_5tupleIJPjSE_EEENSF_IJSE_SE_EEES9_SG_JZNS1_25segmented_radix_sort_implINS0_14default_configELb1EPKbPbPKlPlN2at6native12_GLOBAL__N_18offset_tEEE10hipError_tPvRmT1_PNSt15iterator_traitsISY_E10value_typeET2_T3_PNSZ_IS14_E10value_typeET4_jRbjT5_S1A_jjP12ihipStream_tbEUljE_EEESV_SW_SX_S14_S18_S1A_T6_T7_T9_mT8_S1C_bDpT10_ENKUlT_T0_E_clISt17integral_constantIbLb0EES1P_EEDaS1K_S1L_EUlS1K_E_NS1_11comp_targetILNS1_3genE0ELNS1_11target_archE4294967295ELNS1_3gpuE0ELNS1_3repE0EEENS1_30default_config_static_selectorELNS0_4arch9wavefront6targetE0EEEvSY_,"axG",@progbits,_ZN7rocprim17ROCPRIM_400000_NS6detail17trampoline_kernelINS0_13select_configILj256ELj13ELNS0_17block_load_methodE3ELS4_3ELS4_3ELNS0_20block_scan_algorithmE0ELj4294967295EEENS1_25partition_config_selectorILNS1_17partition_subalgoE3EjNS0_10empty_typeEbEEZZNS1_14partition_implILS8_3ELb0ES6_jNS0_17counting_iteratorIjlEEPS9_SE_NS0_5tupleIJPjSE_EEENSF_IJSE_SE_EEES9_SG_JZNS1_25segmented_radix_sort_implINS0_14default_configELb1EPKbPbPKlPlN2at6native12_GLOBAL__N_18offset_tEEE10hipError_tPvRmT1_PNSt15iterator_traitsISY_E10value_typeET2_T3_PNSZ_IS14_E10value_typeET4_jRbjT5_S1A_jjP12ihipStream_tbEUljE_EEESV_SW_SX_S14_S18_S1A_T6_T7_T9_mT8_S1C_bDpT10_ENKUlT_T0_E_clISt17integral_constantIbLb0EES1P_EEDaS1K_S1L_EUlS1K_E_NS1_11comp_targetILNS1_3genE0ELNS1_11target_archE4294967295ELNS1_3gpuE0ELNS1_3repE0EEENS1_30default_config_static_selectorELNS0_4arch9wavefront6targetE0EEEvSY_,comdat
	.globl	_ZN7rocprim17ROCPRIM_400000_NS6detail17trampoline_kernelINS0_13select_configILj256ELj13ELNS0_17block_load_methodE3ELS4_3ELS4_3ELNS0_20block_scan_algorithmE0ELj4294967295EEENS1_25partition_config_selectorILNS1_17partition_subalgoE3EjNS0_10empty_typeEbEEZZNS1_14partition_implILS8_3ELb0ES6_jNS0_17counting_iteratorIjlEEPS9_SE_NS0_5tupleIJPjSE_EEENSF_IJSE_SE_EEES9_SG_JZNS1_25segmented_radix_sort_implINS0_14default_configELb1EPKbPbPKlPlN2at6native12_GLOBAL__N_18offset_tEEE10hipError_tPvRmT1_PNSt15iterator_traitsISY_E10value_typeET2_T3_PNSZ_IS14_E10value_typeET4_jRbjT5_S1A_jjP12ihipStream_tbEUljE_EEESV_SW_SX_S14_S18_S1A_T6_T7_T9_mT8_S1C_bDpT10_ENKUlT_T0_E_clISt17integral_constantIbLb0EES1P_EEDaS1K_S1L_EUlS1K_E_NS1_11comp_targetILNS1_3genE0ELNS1_11target_archE4294967295ELNS1_3gpuE0ELNS1_3repE0EEENS1_30default_config_static_selectorELNS0_4arch9wavefront6targetE0EEEvSY_ ; -- Begin function _ZN7rocprim17ROCPRIM_400000_NS6detail17trampoline_kernelINS0_13select_configILj256ELj13ELNS0_17block_load_methodE3ELS4_3ELS4_3ELNS0_20block_scan_algorithmE0ELj4294967295EEENS1_25partition_config_selectorILNS1_17partition_subalgoE3EjNS0_10empty_typeEbEEZZNS1_14partition_implILS8_3ELb0ES6_jNS0_17counting_iteratorIjlEEPS9_SE_NS0_5tupleIJPjSE_EEENSF_IJSE_SE_EEES9_SG_JZNS1_25segmented_radix_sort_implINS0_14default_configELb1EPKbPbPKlPlN2at6native12_GLOBAL__N_18offset_tEEE10hipError_tPvRmT1_PNSt15iterator_traitsISY_E10value_typeET2_T3_PNSZ_IS14_E10value_typeET4_jRbjT5_S1A_jjP12ihipStream_tbEUljE_EEESV_SW_SX_S14_S18_S1A_T6_T7_T9_mT8_S1C_bDpT10_ENKUlT_T0_E_clISt17integral_constantIbLb0EES1P_EEDaS1K_S1L_EUlS1K_E_NS1_11comp_targetILNS1_3genE0ELNS1_11target_archE4294967295ELNS1_3gpuE0ELNS1_3repE0EEENS1_30default_config_static_selectorELNS0_4arch9wavefront6targetE0EEEvSY_
	.p2align	8
	.type	_ZN7rocprim17ROCPRIM_400000_NS6detail17trampoline_kernelINS0_13select_configILj256ELj13ELNS0_17block_load_methodE3ELS4_3ELS4_3ELNS0_20block_scan_algorithmE0ELj4294967295EEENS1_25partition_config_selectorILNS1_17partition_subalgoE3EjNS0_10empty_typeEbEEZZNS1_14partition_implILS8_3ELb0ES6_jNS0_17counting_iteratorIjlEEPS9_SE_NS0_5tupleIJPjSE_EEENSF_IJSE_SE_EEES9_SG_JZNS1_25segmented_radix_sort_implINS0_14default_configELb1EPKbPbPKlPlN2at6native12_GLOBAL__N_18offset_tEEE10hipError_tPvRmT1_PNSt15iterator_traitsISY_E10value_typeET2_T3_PNSZ_IS14_E10value_typeET4_jRbjT5_S1A_jjP12ihipStream_tbEUljE_EEESV_SW_SX_S14_S18_S1A_T6_T7_T9_mT8_S1C_bDpT10_ENKUlT_T0_E_clISt17integral_constantIbLb0EES1P_EEDaS1K_S1L_EUlS1K_E_NS1_11comp_targetILNS1_3genE0ELNS1_11target_archE4294967295ELNS1_3gpuE0ELNS1_3repE0EEENS1_30default_config_static_selectorELNS0_4arch9wavefront6targetE0EEEvSY_,@function
_ZN7rocprim17ROCPRIM_400000_NS6detail17trampoline_kernelINS0_13select_configILj256ELj13ELNS0_17block_load_methodE3ELS4_3ELS4_3ELNS0_20block_scan_algorithmE0ELj4294967295EEENS1_25partition_config_selectorILNS1_17partition_subalgoE3EjNS0_10empty_typeEbEEZZNS1_14partition_implILS8_3ELb0ES6_jNS0_17counting_iteratorIjlEEPS9_SE_NS0_5tupleIJPjSE_EEENSF_IJSE_SE_EEES9_SG_JZNS1_25segmented_radix_sort_implINS0_14default_configELb1EPKbPbPKlPlN2at6native12_GLOBAL__N_18offset_tEEE10hipError_tPvRmT1_PNSt15iterator_traitsISY_E10value_typeET2_T3_PNSZ_IS14_E10value_typeET4_jRbjT5_S1A_jjP12ihipStream_tbEUljE_EEESV_SW_SX_S14_S18_S1A_T6_T7_T9_mT8_S1C_bDpT10_ENKUlT_T0_E_clISt17integral_constantIbLb0EES1P_EEDaS1K_S1L_EUlS1K_E_NS1_11comp_targetILNS1_3genE0ELNS1_11target_archE4294967295ELNS1_3gpuE0ELNS1_3repE0EEENS1_30default_config_static_selectorELNS0_4arch9wavefront6targetE0EEEvSY_: ; @_ZN7rocprim17ROCPRIM_400000_NS6detail17trampoline_kernelINS0_13select_configILj256ELj13ELNS0_17block_load_methodE3ELS4_3ELS4_3ELNS0_20block_scan_algorithmE0ELj4294967295EEENS1_25partition_config_selectorILNS1_17partition_subalgoE3EjNS0_10empty_typeEbEEZZNS1_14partition_implILS8_3ELb0ES6_jNS0_17counting_iteratorIjlEEPS9_SE_NS0_5tupleIJPjSE_EEENSF_IJSE_SE_EEES9_SG_JZNS1_25segmented_radix_sort_implINS0_14default_configELb1EPKbPbPKlPlN2at6native12_GLOBAL__N_18offset_tEEE10hipError_tPvRmT1_PNSt15iterator_traitsISY_E10value_typeET2_T3_PNSZ_IS14_E10value_typeET4_jRbjT5_S1A_jjP12ihipStream_tbEUljE_EEESV_SW_SX_S14_S18_S1A_T6_T7_T9_mT8_S1C_bDpT10_ENKUlT_T0_E_clISt17integral_constantIbLb0EES1P_EEDaS1K_S1L_EUlS1K_E_NS1_11comp_targetILNS1_3genE0ELNS1_11target_archE4294967295ELNS1_3gpuE0ELNS1_3repE0EEENS1_30default_config_static_selectorELNS0_4arch9wavefront6targetE0EEEvSY_
; %bb.0:
	.section	.rodata,"a",@progbits
	.p2align	6, 0x0
	.amdhsa_kernel _ZN7rocprim17ROCPRIM_400000_NS6detail17trampoline_kernelINS0_13select_configILj256ELj13ELNS0_17block_load_methodE3ELS4_3ELS4_3ELNS0_20block_scan_algorithmE0ELj4294967295EEENS1_25partition_config_selectorILNS1_17partition_subalgoE3EjNS0_10empty_typeEbEEZZNS1_14partition_implILS8_3ELb0ES6_jNS0_17counting_iteratorIjlEEPS9_SE_NS0_5tupleIJPjSE_EEENSF_IJSE_SE_EEES9_SG_JZNS1_25segmented_radix_sort_implINS0_14default_configELb1EPKbPbPKlPlN2at6native12_GLOBAL__N_18offset_tEEE10hipError_tPvRmT1_PNSt15iterator_traitsISY_E10value_typeET2_T3_PNSZ_IS14_E10value_typeET4_jRbjT5_S1A_jjP12ihipStream_tbEUljE_EEESV_SW_SX_S14_S18_S1A_T6_T7_T9_mT8_S1C_bDpT10_ENKUlT_T0_E_clISt17integral_constantIbLb0EES1P_EEDaS1K_S1L_EUlS1K_E_NS1_11comp_targetILNS1_3genE0ELNS1_11target_archE4294967295ELNS1_3gpuE0ELNS1_3repE0EEENS1_30default_config_static_selectorELNS0_4arch9wavefront6targetE0EEEvSY_
		.amdhsa_group_segment_fixed_size 0
		.amdhsa_private_segment_fixed_size 0
		.amdhsa_kernarg_size 144
		.amdhsa_user_sgpr_count 15
		.amdhsa_user_sgpr_dispatch_ptr 0
		.amdhsa_user_sgpr_queue_ptr 0
		.amdhsa_user_sgpr_kernarg_segment_ptr 1
		.amdhsa_user_sgpr_dispatch_id 0
		.amdhsa_user_sgpr_private_segment_size 0
		.amdhsa_wavefront_size32 1
		.amdhsa_uses_dynamic_stack 0
		.amdhsa_enable_private_segment 0
		.amdhsa_system_sgpr_workgroup_id_x 1
		.amdhsa_system_sgpr_workgroup_id_y 0
		.amdhsa_system_sgpr_workgroup_id_z 0
		.amdhsa_system_sgpr_workgroup_info 0
		.amdhsa_system_vgpr_workitem_id 0
		.amdhsa_next_free_vgpr 1
		.amdhsa_next_free_sgpr 1
		.amdhsa_reserve_vcc 0
		.amdhsa_float_round_mode_32 0
		.amdhsa_float_round_mode_16_64 0
		.amdhsa_float_denorm_mode_32 3
		.amdhsa_float_denorm_mode_16_64 3
		.amdhsa_dx10_clamp 1
		.amdhsa_ieee_mode 1
		.amdhsa_fp16_overflow 0
		.amdhsa_workgroup_processor_mode 1
		.amdhsa_memory_ordered 1
		.amdhsa_forward_progress 0
		.amdhsa_shared_vgpr_count 0
		.amdhsa_exception_fp_ieee_invalid_op 0
		.amdhsa_exception_fp_denorm_src 0
		.amdhsa_exception_fp_ieee_div_zero 0
		.amdhsa_exception_fp_ieee_overflow 0
		.amdhsa_exception_fp_ieee_underflow 0
		.amdhsa_exception_fp_ieee_inexact 0
		.amdhsa_exception_int_div_zero 0
	.end_amdhsa_kernel
	.section	.text._ZN7rocprim17ROCPRIM_400000_NS6detail17trampoline_kernelINS0_13select_configILj256ELj13ELNS0_17block_load_methodE3ELS4_3ELS4_3ELNS0_20block_scan_algorithmE0ELj4294967295EEENS1_25partition_config_selectorILNS1_17partition_subalgoE3EjNS0_10empty_typeEbEEZZNS1_14partition_implILS8_3ELb0ES6_jNS0_17counting_iteratorIjlEEPS9_SE_NS0_5tupleIJPjSE_EEENSF_IJSE_SE_EEES9_SG_JZNS1_25segmented_radix_sort_implINS0_14default_configELb1EPKbPbPKlPlN2at6native12_GLOBAL__N_18offset_tEEE10hipError_tPvRmT1_PNSt15iterator_traitsISY_E10value_typeET2_T3_PNSZ_IS14_E10value_typeET4_jRbjT5_S1A_jjP12ihipStream_tbEUljE_EEESV_SW_SX_S14_S18_S1A_T6_T7_T9_mT8_S1C_bDpT10_ENKUlT_T0_E_clISt17integral_constantIbLb0EES1P_EEDaS1K_S1L_EUlS1K_E_NS1_11comp_targetILNS1_3genE0ELNS1_11target_archE4294967295ELNS1_3gpuE0ELNS1_3repE0EEENS1_30default_config_static_selectorELNS0_4arch9wavefront6targetE0EEEvSY_,"axG",@progbits,_ZN7rocprim17ROCPRIM_400000_NS6detail17trampoline_kernelINS0_13select_configILj256ELj13ELNS0_17block_load_methodE3ELS4_3ELS4_3ELNS0_20block_scan_algorithmE0ELj4294967295EEENS1_25partition_config_selectorILNS1_17partition_subalgoE3EjNS0_10empty_typeEbEEZZNS1_14partition_implILS8_3ELb0ES6_jNS0_17counting_iteratorIjlEEPS9_SE_NS0_5tupleIJPjSE_EEENSF_IJSE_SE_EEES9_SG_JZNS1_25segmented_radix_sort_implINS0_14default_configELb1EPKbPbPKlPlN2at6native12_GLOBAL__N_18offset_tEEE10hipError_tPvRmT1_PNSt15iterator_traitsISY_E10value_typeET2_T3_PNSZ_IS14_E10value_typeET4_jRbjT5_S1A_jjP12ihipStream_tbEUljE_EEESV_SW_SX_S14_S18_S1A_T6_T7_T9_mT8_S1C_bDpT10_ENKUlT_T0_E_clISt17integral_constantIbLb0EES1P_EEDaS1K_S1L_EUlS1K_E_NS1_11comp_targetILNS1_3genE0ELNS1_11target_archE4294967295ELNS1_3gpuE0ELNS1_3repE0EEENS1_30default_config_static_selectorELNS0_4arch9wavefront6targetE0EEEvSY_,comdat
.Lfunc_end1500:
	.size	_ZN7rocprim17ROCPRIM_400000_NS6detail17trampoline_kernelINS0_13select_configILj256ELj13ELNS0_17block_load_methodE3ELS4_3ELS4_3ELNS0_20block_scan_algorithmE0ELj4294967295EEENS1_25partition_config_selectorILNS1_17partition_subalgoE3EjNS0_10empty_typeEbEEZZNS1_14partition_implILS8_3ELb0ES6_jNS0_17counting_iteratorIjlEEPS9_SE_NS0_5tupleIJPjSE_EEENSF_IJSE_SE_EEES9_SG_JZNS1_25segmented_radix_sort_implINS0_14default_configELb1EPKbPbPKlPlN2at6native12_GLOBAL__N_18offset_tEEE10hipError_tPvRmT1_PNSt15iterator_traitsISY_E10value_typeET2_T3_PNSZ_IS14_E10value_typeET4_jRbjT5_S1A_jjP12ihipStream_tbEUljE_EEESV_SW_SX_S14_S18_S1A_T6_T7_T9_mT8_S1C_bDpT10_ENKUlT_T0_E_clISt17integral_constantIbLb0EES1P_EEDaS1K_S1L_EUlS1K_E_NS1_11comp_targetILNS1_3genE0ELNS1_11target_archE4294967295ELNS1_3gpuE0ELNS1_3repE0EEENS1_30default_config_static_selectorELNS0_4arch9wavefront6targetE0EEEvSY_, .Lfunc_end1500-_ZN7rocprim17ROCPRIM_400000_NS6detail17trampoline_kernelINS0_13select_configILj256ELj13ELNS0_17block_load_methodE3ELS4_3ELS4_3ELNS0_20block_scan_algorithmE0ELj4294967295EEENS1_25partition_config_selectorILNS1_17partition_subalgoE3EjNS0_10empty_typeEbEEZZNS1_14partition_implILS8_3ELb0ES6_jNS0_17counting_iteratorIjlEEPS9_SE_NS0_5tupleIJPjSE_EEENSF_IJSE_SE_EEES9_SG_JZNS1_25segmented_radix_sort_implINS0_14default_configELb1EPKbPbPKlPlN2at6native12_GLOBAL__N_18offset_tEEE10hipError_tPvRmT1_PNSt15iterator_traitsISY_E10value_typeET2_T3_PNSZ_IS14_E10value_typeET4_jRbjT5_S1A_jjP12ihipStream_tbEUljE_EEESV_SW_SX_S14_S18_S1A_T6_T7_T9_mT8_S1C_bDpT10_ENKUlT_T0_E_clISt17integral_constantIbLb0EES1P_EEDaS1K_S1L_EUlS1K_E_NS1_11comp_targetILNS1_3genE0ELNS1_11target_archE4294967295ELNS1_3gpuE0ELNS1_3repE0EEENS1_30default_config_static_selectorELNS0_4arch9wavefront6targetE0EEEvSY_
                                        ; -- End function
	.section	.AMDGPU.csdata,"",@progbits
; Kernel info:
; codeLenInByte = 0
; NumSgprs: 0
; NumVgprs: 0
; ScratchSize: 0
; MemoryBound: 0
; FloatMode: 240
; IeeeMode: 1
; LDSByteSize: 0 bytes/workgroup (compile time only)
; SGPRBlocks: 0
; VGPRBlocks: 0
; NumSGPRsForWavesPerEU: 1
; NumVGPRsForWavesPerEU: 1
; Occupancy: 16
; WaveLimiterHint : 0
; COMPUTE_PGM_RSRC2:SCRATCH_EN: 0
; COMPUTE_PGM_RSRC2:USER_SGPR: 15
; COMPUTE_PGM_RSRC2:TRAP_HANDLER: 0
; COMPUTE_PGM_RSRC2:TGID_X_EN: 1
; COMPUTE_PGM_RSRC2:TGID_Y_EN: 0
; COMPUTE_PGM_RSRC2:TGID_Z_EN: 0
; COMPUTE_PGM_RSRC2:TIDIG_COMP_CNT: 0
	.section	.text._ZN7rocprim17ROCPRIM_400000_NS6detail17trampoline_kernelINS0_13select_configILj256ELj13ELNS0_17block_load_methodE3ELS4_3ELS4_3ELNS0_20block_scan_algorithmE0ELj4294967295EEENS1_25partition_config_selectorILNS1_17partition_subalgoE3EjNS0_10empty_typeEbEEZZNS1_14partition_implILS8_3ELb0ES6_jNS0_17counting_iteratorIjlEEPS9_SE_NS0_5tupleIJPjSE_EEENSF_IJSE_SE_EEES9_SG_JZNS1_25segmented_radix_sort_implINS0_14default_configELb1EPKbPbPKlPlN2at6native12_GLOBAL__N_18offset_tEEE10hipError_tPvRmT1_PNSt15iterator_traitsISY_E10value_typeET2_T3_PNSZ_IS14_E10value_typeET4_jRbjT5_S1A_jjP12ihipStream_tbEUljE_EEESV_SW_SX_S14_S18_S1A_T6_T7_T9_mT8_S1C_bDpT10_ENKUlT_T0_E_clISt17integral_constantIbLb0EES1P_EEDaS1K_S1L_EUlS1K_E_NS1_11comp_targetILNS1_3genE5ELNS1_11target_archE942ELNS1_3gpuE9ELNS1_3repE0EEENS1_30default_config_static_selectorELNS0_4arch9wavefront6targetE0EEEvSY_,"axG",@progbits,_ZN7rocprim17ROCPRIM_400000_NS6detail17trampoline_kernelINS0_13select_configILj256ELj13ELNS0_17block_load_methodE3ELS4_3ELS4_3ELNS0_20block_scan_algorithmE0ELj4294967295EEENS1_25partition_config_selectorILNS1_17partition_subalgoE3EjNS0_10empty_typeEbEEZZNS1_14partition_implILS8_3ELb0ES6_jNS0_17counting_iteratorIjlEEPS9_SE_NS0_5tupleIJPjSE_EEENSF_IJSE_SE_EEES9_SG_JZNS1_25segmented_radix_sort_implINS0_14default_configELb1EPKbPbPKlPlN2at6native12_GLOBAL__N_18offset_tEEE10hipError_tPvRmT1_PNSt15iterator_traitsISY_E10value_typeET2_T3_PNSZ_IS14_E10value_typeET4_jRbjT5_S1A_jjP12ihipStream_tbEUljE_EEESV_SW_SX_S14_S18_S1A_T6_T7_T9_mT8_S1C_bDpT10_ENKUlT_T0_E_clISt17integral_constantIbLb0EES1P_EEDaS1K_S1L_EUlS1K_E_NS1_11comp_targetILNS1_3genE5ELNS1_11target_archE942ELNS1_3gpuE9ELNS1_3repE0EEENS1_30default_config_static_selectorELNS0_4arch9wavefront6targetE0EEEvSY_,comdat
	.globl	_ZN7rocprim17ROCPRIM_400000_NS6detail17trampoline_kernelINS0_13select_configILj256ELj13ELNS0_17block_load_methodE3ELS4_3ELS4_3ELNS0_20block_scan_algorithmE0ELj4294967295EEENS1_25partition_config_selectorILNS1_17partition_subalgoE3EjNS0_10empty_typeEbEEZZNS1_14partition_implILS8_3ELb0ES6_jNS0_17counting_iteratorIjlEEPS9_SE_NS0_5tupleIJPjSE_EEENSF_IJSE_SE_EEES9_SG_JZNS1_25segmented_radix_sort_implINS0_14default_configELb1EPKbPbPKlPlN2at6native12_GLOBAL__N_18offset_tEEE10hipError_tPvRmT1_PNSt15iterator_traitsISY_E10value_typeET2_T3_PNSZ_IS14_E10value_typeET4_jRbjT5_S1A_jjP12ihipStream_tbEUljE_EEESV_SW_SX_S14_S18_S1A_T6_T7_T9_mT8_S1C_bDpT10_ENKUlT_T0_E_clISt17integral_constantIbLb0EES1P_EEDaS1K_S1L_EUlS1K_E_NS1_11comp_targetILNS1_3genE5ELNS1_11target_archE942ELNS1_3gpuE9ELNS1_3repE0EEENS1_30default_config_static_selectorELNS0_4arch9wavefront6targetE0EEEvSY_ ; -- Begin function _ZN7rocprim17ROCPRIM_400000_NS6detail17trampoline_kernelINS0_13select_configILj256ELj13ELNS0_17block_load_methodE3ELS4_3ELS4_3ELNS0_20block_scan_algorithmE0ELj4294967295EEENS1_25partition_config_selectorILNS1_17partition_subalgoE3EjNS0_10empty_typeEbEEZZNS1_14partition_implILS8_3ELb0ES6_jNS0_17counting_iteratorIjlEEPS9_SE_NS0_5tupleIJPjSE_EEENSF_IJSE_SE_EEES9_SG_JZNS1_25segmented_radix_sort_implINS0_14default_configELb1EPKbPbPKlPlN2at6native12_GLOBAL__N_18offset_tEEE10hipError_tPvRmT1_PNSt15iterator_traitsISY_E10value_typeET2_T3_PNSZ_IS14_E10value_typeET4_jRbjT5_S1A_jjP12ihipStream_tbEUljE_EEESV_SW_SX_S14_S18_S1A_T6_T7_T9_mT8_S1C_bDpT10_ENKUlT_T0_E_clISt17integral_constantIbLb0EES1P_EEDaS1K_S1L_EUlS1K_E_NS1_11comp_targetILNS1_3genE5ELNS1_11target_archE942ELNS1_3gpuE9ELNS1_3repE0EEENS1_30default_config_static_selectorELNS0_4arch9wavefront6targetE0EEEvSY_
	.p2align	8
	.type	_ZN7rocprim17ROCPRIM_400000_NS6detail17trampoline_kernelINS0_13select_configILj256ELj13ELNS0_17block_load_methodE3ELS4_3ELS4_3ELNS0_20block_scan_algorithmE0ELj4294967295EEENS1_25partition_config_selectorILNS1_17partition_subalgoE3EjNS0_10empty_typeEbEEZZNS1_14partition_implILS8_3ELb0ES6_jNS0_17counting_iteratorIjlEEPS9_SE_NS0_5tupleIJPjSE_EEENSF_IJSE_SE_EEES9_SG_JZNS1_25segmented_radix_sort_implINS0_14default_configELb1EPKbPbPKlPlN2at6native12_GLOBAL__N_18offset_tEEE10hipError_tPvRmT1_PNSt15iterator_traitsISY_E10value_typeET2_T3_PNSZ_IS14_E10value_typeET4_jRbjT5_S1A_jjP12ihipStream_tbEUljE_EEESV_SW_SX_S14_S18_S1A_T6_T7_T9_mT8_S1C_bDpT10_ENKUlT_T0_E_clISt17integral_constantIbLb0EES1P_EEDaS1K_S1L_EUlS1K_E_NS1_11comp_targetILNS1_3genE5ELNS1_11target_archE942ELNS1_3gpuE9ELNS1_3repE0EEENS1_30default_config_static_selectorELNS0_4arch9wavefront6targetE0EEEvSY_,@function
_ZN7rocprim17ROCPRIM_400000_NS6detail17trampoline_kernelINS0_13select_configILj256ELj13ELNS0_17block_load_methodE3ELS4_3ELS4_3ELNS0_20block_scan_algorithmE0ELj4294967295EEENS1_25partition_config_selectorILNS1_17partition_subalgoE3EjNS0_10empty_typeEbEEZZNS1_14partition_implILS8_3ELb0ES6_jNS0_17counting_iteratorIjlEEPS9_SE_NS0_5tupleIJPjSE_EEENSF_IJSE_SE_EEES9_SG_JZNS1_25segmented_radix_sort_implINS0_14default_configELb1EPKbPbPKlPlN2at6native12_GLOBAL__N_18offset_tEEE10hipError_tPvRmT1_PNSt15iterator_traitsISY_E10value_typeET2_T3_PNSZ_IS14_E10value_typeET4_jRbjT5_S1A_jjP12ihipStream_tbEUljE_EEESV_SW_SX_S14_S18_S1A_T6_T7_T9_mT8_S1C_bDpT10_ENKUlT_T0_E_clISt17integral_constantIbLb0EES1P_EEDaS1K_S1L_EUlS1K_E_NS1_11comp_targetILNS1_3genE5ELNS1_11target_archE942ELNS1_3gpuE9ELNS1_3repE0EEENS1_30default_config_static_selectorELNS0_4arch9wavefront6targetE0EEEvSY_: ; @_ZN7rocprim17ROCPRIM_400000_NS6detail17trampoline_kernelINS0_13select_configILj256ELj13ELNS0_17block_load_methodE3ELS4_3ELS4_3ELNS0_20block_scan_algorithmE0ELj4294967295EEENS1_25partition_config_selectorILNS1_17partition_subalgoE3EjNS0_10empty_typeEbEEZZNS1_14partition_implILS8_3ELb0ES6_jNS0_17counting_iteratorIjlEEPS9_SE_NS0_5tupleIJPjSE_EEENSF_IJSE_SE_EEES9_SG_JZNS1_25segmented_radix_sort_implINS0_14default_configELb1EPKbPbPKlPlN2at6native12_GLOBAL__N_18offset_tEEE10hipError_tPvRmT1_PNSt15iterator_traitsISY_E10value_typeET2_T3_PNSZ_IS14_E10value_typeET4_jRbjT5_S1A_jjP12ihipStream_tbEUljE_EEESV_SW_SX_S14_S18_S1A_T6_T7_T9_mT8_S1C_bDpT10_ENKUlT_T0_E_clISt17integral_constantIbLb0EES1P_EEDaS1K_S1L_EUlS1K_E_NS1_11comp_targetILNS1_3genE5ELNS1_11target_archE942ELNS1_3gpuE9ELNS1_3repE0EEENS1_30default_config_static_selectorELNS0_4arch9wavefront6targetE0EEEvSY_
; %bb.0:
	.section	.rodata,"a",@progbits
	.p2align	6, 0x0
	.amdhsa_kernel _ZN7rocprim17ROCPRIM_400000_NS6detail17trampoline_kernelINS0_13select_configILj256ELj13ELNS0_17block_load_methodE3ELS4_3ELS4_3ELNS0_20block_scan_algorithmE0ELj4294967295EEENS1_25partition_config_selectorILNS1_17partition_subalgoE3EjNS0_10empty_typeEbEEZZNS1_14partition_implILS8_3ELb0ES6_jNS0_17counting_iteratorIjlEEPS9_SE_NS0_5tupleIJPjSE_EEENSF_IJSE_SE_EEES9_SG_JZNS1_25segmented_radix_sort_implINS0_14default_configELb1EPKbPbPKlPlN2at6native12_GLOBAL__N_18offset_tEEE10hipError_tPvRmT1_PNSt15iterator_traitsISY_E10value_typeET2_T3_PNSZ_IS14_E10value_typeET4_jRbjT5_S1A_jjP12ihipStream_tbEUljE_EEESV_SW_SX_S14_S18_S1A_T6_T7_T9_mT8_S1C_bDpT10_ENKUlT_T0_E_clISt17integral_constantIbLb0EES1P_EEDaS1K_S1L_EUlS1K_E_NS1_11comp_targetILNS1_3genE5ELNS1_11target_archE942ELNS1_3gpuE9ELNS1_3repE0EEENS1_30default_config_static_selectorELNS0_4arch9wavefront6targetE0EEEvSY_
		.amdhsa_group_segment_fixed_size 0
		.amdhsa_private_segment_fixed_size 0
		.amdhsa_kernarg_size 144
		.amdhsa_user_sgpr_count 15
		.amdhsa_user_sgpr_dispatch_ptr 0
		.amdhsa_user_sgpr_queue_ptr 0
		.amdhsa_user_sgpr_kernarg_segment_ptr 1
		.amdhsa_user_sgpr_dispatch_id 0
		.amdhsa_user_sgpr_private_segment_size 0
		.amdhsa_wavefront_size32 1
		.amdhsa_uses_dynamic_stack 0
		.amdhsa_enable_private_segment 0
		.amdhsa_system_sgpr_workgroup_id_x 1
		.amdhsa_system_sgpr_workgroup_id_y 0
		.amdhsa_system_sgpr_workgroup_id_z 0
		.amdhsa_system_sgpr_workgroup_info 0
		.amdhsa_system_vgpr_workitem_id 0
		.amdhsa_next_free_vgpr 1
		.amdhsa_next_free_sgpr 1
		.amdhsa_reserve_vcc 0
		.amdhsa_float_round_mode_32 0
		.amdhsa_float_round_mode_16_64 0
		.amdhsa_float_denorm_mode_32 3
		.amdhsa_float_denorm_mode_16_64 3
		.amdhsa_dx10_clamp 1
		.amdhsa_ieee_mode 1
		.amdhsa_fp16_overflow 0
		.amdhsa_workgroup_processor_mode 1
		.amdhsa_memory_ordered 1
		.amdhsa_forward_progress 0
		.amdhsa_shared_vgpr_count 0
		.amdhsa_exception_fp_ieee_invalid_op 0
		.amdhsa_exception_fp_denorm_src 0
		.amdhsa_exception_fp_ieee_div_zero 0
		.amdhsa_exception_fp_ieee_overflow 0
		.amdhsa_exception_fp_ieee_underflow 0
		.amdhsa_exception_fp_ieee_inexact 0
		.amdhsa_exception_int_div_zero 0
	.end_amdhsa_kernel
	.section	.text._ZN7rocprim17ROCPRIM_400000_NS6detail17trampoline_kernelINS0_13select_configILj256ELj13ELNS0_17block_load_methodE3ELS4_3ELS4_3ELNS0_20block_scan_algorithmE0ELj4294967295EEENS1_25partition_config_selectorILNS1_17partition_subalgoE3EjNS0_10empty_typeEbEEZZNS1_14partition_implILS8_3ELb0ES6_jNS0_17counting_iteratorIjlEEPS9_SE_NS0_5tupleIJPjSE_EEENSF_IJSE_SE_EEES9_SG_JZNS1_25segmented_radix_sort_implINS0_14default_configELb1EPKbPbPKlPlN2at6native12_GLOBAL__N_18offset_tEEE10hipError_tPvRmT1_PNSt15iterator_traitsISY_E10value_typeET2_T3_PNSZ_IS14_E10value_typeET4_jRbjT5_S1A_jjP12ihipStream_tbEUljE_EEESV_SW_SX_S14_S18_S1A_T6_T7_T9_mT8_S1C_bDpT10_ENKUlT_T0_E_clISt17integral_constantIbLb0EES1P_EEDaS1K_S1L_EUlS1K_E_NS1_11comp_targetILNS1_3genE5ELNS1_11target_archE942ELNS1_3gpuE9ELNS1_3repE0EEENS1_30default_config_static_selectorELNS0_4arch9wavefront6targetE0EEEvSY_,"axG",@progbits,_ZN7rocprim17ROCPRIM_400000_NS6detail17trampoline_kernelINS0_13select_configILj256ELj13ELNS0_17block_load_methodE3ELS4_3ELS4_3ELNS0_20block_scan_algorithmE0ELj4294967295EEENS1_25partition_config_selectorILNS1_17partition_subalgoE3EjNS0_10empty_typeEbEEZZNS1_14partition_implILS8_3ELb0ES6_jNS0_17counting_iteratorIjlEEPS9_SE_NS0_5tupleIJPjSE_EEENSF_IJSE_SE_EEES9_SG_JZNS1_25segmented_radix_sort_implINS0_14default_configELb1EPKbPbPKlPlN2at6native12_GLOBAL__N_18offset_tEEE10hipError_tPvRmT1_PNSt15iterator_traitsISY_E10value_typeET2_T3_PNSZ_IS14_E10value_typeET4_jRbjT5_S1A_jjP12ihipStream_tbEUljE_EEESV_SW_SX_S14_S18_S1A_T6_T7_T9_mT8_S1C_bDpT10_ENKUlT_T0_E_clISt17integral_constantIbLb0EES1P_EEDaS1K_S1L_EUlS1K_E_NS1_11comp_targetILNS1_3genE5ELNS1_11target_archE942ELNS1_3gpuE9ELNS1_3repE0EEENS1_30default_config_static_selectorELNS0_4arch9wavefront6targetE0EEEvSY_,comdat
.Lfunc_end1501:
	.size	_ZN7rocprim17ROCPRIM_400000_NS6detail17trampoline_kernelINS0_13select_configILj256ELj13ELNS0_17block_load_methodE3ELS4_3ELS4_3ELNS0_20block_scan_algorithmE0ELj4294967295EEENS1_25partition_config_selectorILNS1_17partition_subalgoE3EjNS0_10empty_typeEbEEZZNS1_14partition_implILS8_3ELb0ES6_jNS0_17counting_iteratorIjlEEPS9_SE_NS0_5tupleIJPjSE_EEENSF_IJSE_SE_EEES9_SG_JZNS1_25segmented_radix_sort_implINS0_14default_configELb1EPKbPbPKlPlN2at6native12_GLOBAL__N_18offset_tEEE10hipError_tPvRmT1_PNSt15iterator_traitsISY_E10value_typeET2_T3_PNSZ_IS14_E10value_typeET4_jRbjT5_S1A_jjP12ihipStream_tbEUljE_EEESV_SW_SX_S14_S18_S1A_T6_T7_T9_mT8_S1C_bDpT10_ENKUlT_T0_E_clISt17integral_constantIbLb0EES1P_EEDaS1K_S1L_EUlS1K_E_NS1_11comp_targetILNS1_3genE5ELNS1_11target_archE942ELNS1_3gpuE9ELNS1_3repE0EEENS1_30default_config_static_selectorELNS0_4arch9wavefront6targetE0EEEvSY_, .Lfunc_end1501-_ZN7rocprim17ROCPRIM_400000_NS6detail17trampoline_kernelINS0_13select_configILj256ELj13ELNS0_17block_load_methodE3ELS4_3ELS4_3ELNS0_20block_scan_algorithmE0ELj4294967295EEENS1_25partition_config_selectorILNS1_17partition_subalgoE3EjNS0_10empty_typeEbEEZZNS1_14partition_implILS8_3ELb0ES6_jNS0_17counting_iteratorIjlEEPS9_SE_NS0_5tupleIJPjSE_EEENSF_IJSE_SE_EEES9_SG_JZNS1_25segmented_radix_sort_implINS0_14default_configELb1EPKbPbPKlPlN2at6native12_GLOBAL__N_18offset_tEEE10hipError_tPvRmT1_PNSt15iterator_traitsISY_E10value_typeET2_T3_PNSZ_IS14_E10value_typeET4_jRbjT5_S1A_jjP12ihipStream_tbEUljE_EEESV_SW_SX_S14_S18_S1A_T6_T7_T9_mT8_S1C_bDpT10_ENKUlT_T0_E_clISt17integral_constantIbLb0EES1P_EEDaS1K_S1L_EUlS1K_E_NS1_11comp_targetILNS1_3genE5ELNS1_11target_archE942ELNS1_3gpuE9ELNS1_3repE0EEENS1_30default_config_static_selectorELNS0_4arch9wavefront6targetE0EEEvSY_
                                        ; -- End function
	.section	.AMDGPU.csdata,"",@progbits
; Kernel info:
; codeLenInByte = 0
; NumSgprs: 0
; NumVgprs: 0
; ScratchSize: 0
; MemoryBound: 0
; FloatMode: 240
; IeeeMode: 1
; LDSByteSize: 0 bytes/workgroup (compile time only)
; SGPRBlocks: 0
; VGPRBlocks: 0
; NumSGPRsForWavesPerEU: 1
; NumVGPRsForWavesPerEU: 1
; Occupancy: 16
; WaveLimiterHint : 0
; COMPUTE_PGM_RSRC2:SCRATCH_EN: 0
; COMPUTE_PGM_RSRC2:USER_SGPR: 15
; COMPUTE_PGM_RSRC2:TRAP_HANDLER: 0
; COMPUTE_PGM_RSRC2:TGID_X_EN: 1
; COMPUTE_PGM_RSRC2:TGID_Y_EN: 0
; COMPUTE_PGM_RSRC2:TGID_Z_EN: 0
; COMPUTE_PGM_RSRC2:TIDIG_COMP_CNT: 0
	.section	.text._ZN7rocprim17ROCPRIM_400000_NS6detail17trampoline_kernelINS0_13select_configILj256ELj13ELNS0_17block_load_methodE3ELS4_3ELS4_3ELNS0_20block_scan_algorithmE0ELj4294967295EEENS1_25partition_config_selectorILNS1_17partition_subalgoE3EjNS0_10empty_typeEbEEZZNS1_14partition_implILS8_3ELb0ES6_jNS0_17counting_iteratorIjlEEPS9_SE_NS0_5tupleIJPjSE_EEENSF_IJSE_SE_EEES9_SG_JZNS1_25segmented_radix_sort_implINS0_14default_configELb1EPKbPbPKlPlN2at6native12_GLOBAL__N_18offset_tEEE10hipError_tPvRmT1_PNSt15iterator_traitsISY_E10value_typeET2_T3_PNSZ_IS14_E10value_typeET4_jRbjT5_S1A_jjP12ihipStream_tbEUljE_EEESV_SW_SX_S14_S18_S1A_T6_T7_T9_mT8_S1C_bDpT10_ENKUlT_T0_E_clISt17integral_constantIbLb0EES1P_EEDaS1K_S1L_EUlS1K_E_NS1_11comp_targetILNS1_3genE4ELNS1_11target_archE910ELNS1_3gpuE8ELNS1_3repE0EEENS1_30default_config_static_selectorELNS0_4arch9wavefront6targetE0EEEvSY_,"axG",@progbits,_ZN7rocprim17ROCPRIM_400000_NS6detail17trampoline_kernelINS0_13select_configILj256ELj13ELNS0_17block_load_methodE3ELS4_3ELS4_3ELNS0_20block_scan_algorithmE0ELj4294967295EEENS1_25partition_config_selectorILNS1_17partition_subalgoE3EjNS0_10empty_typeEbEEZZNS1_14partition_implILS8_3ELb0ES6_jNS0_17counting_iteratorIjlEEPS9_SE_NS0_5tupleIJPjSE_EEENSF_IJSE_SE_EEES9_SG_JZNS1_25segmented_radix_sort_implINS0_14default_configELb1EPKbPbPKlPlN2at6native12_GLOBAL__N_18offset_tEEE10hipError_tPvRmT1_PNSt15iterator_traitsISY_E10value_typeET2_T3_PNSZ_IS14_E10value_typeET4_jRbjT5_S1A_jjP12ihipStream_tbEUljE_EEESV_SW_SX_S14_S18_S1A_T6_T7_T9_mT8_S1C_bDpT10_ENKUlT_T0_E_clISt17integral_constantIbLb0EES1P_EEDaS1K_S1L_EUlS1K_E_NS1_11comp_targetILNS1_3genE4ELNS1_11target_archE910ELNS1_3gpuE8ELNS1_3repE0EEENS1_30default_config_static_selectorELNS0_4arch9wavefront6targetE0EEEvSY_,comdat
	.globl	_ZN7rocprim17ROCPRIM_400000_NS6detail17trampoline_kernelINS0_13select_configILj256ELj13ELNS0_17block_load_methodE3ELS4_3ELS4_3ELNS0_20block_scan_algorithmE0ELj4294967295EEENS1_25partition_config_selectorILNS1_17partition_subalgoE3EjNS0_10empty_typeEbEEZZNS1_14partition_implILS8_3ELb0ES6_jNS0_17counting_iteratorIjlEEPS9_SE_NS0_5tupleIJPjSE_EEENSF_IJSE_SE_EEES9_SG_JZNS1_25segmented_radix_sort_implINS0_14default_configELb1EPKbPbPKlPlN2at6native12_GLOBAL__N_18offset_tEEE10hipError_tPvRmT1_PNSt15iterator_traitsISY_E10value_typeET2_T3_PNSZ_IS14_E10value_typeET4_jRbjT5_S1A_jjP12ihipStream_tbEUljE_EEESV_SW_SX_S14_S18_S1A_T6_T7_T9_mT8_S1C_bDpT10_ENKUlT_T0_E_clISt17integral_constantIbLb0EES1P_EEDaS1K_S1L_EUlS1K_E_NS1_11comp_targetILNS1_3genE4ELNS1_11target_archE910ELNS1_3gpuE8ELNS1_3repE0EEENS1_30default_config_static_selectorELNS0_4arch9wavefront6targetE0EEEvSY_ ; -- Begin function _ZN7rocprim17ROCPRIM_400000_NS6detail17trampoline_kernelINS0_13select_configILj256ELj13ELNS0_17block_load_methodE3ELS4_3ELS4_3ELNS0_20block_scan_algorithmE0ELj4294967295EEENS1_25partition_config_selectorILNS1_17partition_subalgoE3EjNS0_10empty_typeEbEEZZNS1_14partition_implILS8_3ELb0ES6_jNS0_17counting_iteratorIjlEEPS9_SE_NS0_5tupleIJPjSE_EEENSF_IJSE_SE_EEES9_SG_JZNS1_25segmented_radix_sort_implINS0_14default_configELb1EPKbPbPKlPlN2at6native12_GLOBAL__N_18offset_tEEE10hipError_tPvRmT1_PNSt15iterator_traitsISY_E10value_typeET2_T3_PNSZ_IS14_E10value_typeET4_jRbjT5_S1A_jjP12ihipStream_tbEUljE_EEESV_SW_SX_S14_S18_S1A_T6_T7_T9_mT8_S1C_bDpT10_ENKUlT_T0_E_clISt17integral_constantIbLb0EES1P_EEDaS1K_S1L_EUlS1K_E_NS1_11comp_targetILNS1_3genE4ELNS1_11target_archE910ELNS1_3gpuE8ELNS1_3repE0EEENS1_30default_config_static_selectorELNS0_4arch9wavefront6targetE0EEEvSY_
	.p2align	8
	.type	_ZN7rocprim17ROCPRIM_400000_NS6detail17trampoline_kernelINS0_13select_configILj256ELj13ELNS0_17block_load_methodE3ELS4_3ELS4_3ELNS0_20block_scan_algorithmE0ELj4294967295EEENS1_25partition_config_selectorILNS1_17partition_subalgoE3EjNS0_10empty_typeEbEEZZNS1_14partition_implILS8_3ELb0ES6_jNS0_17counting_iteratorIjlEEPS9_SE_NS0_5tupleIJPjSE_EEENSF_IJSE_SE_EEES9_SG_JZNS1_25segmented_radix_sort_implINS0_14default_configELb1EPKbPbPKlPlN2at6native12_GLOBAL__N_18offset_tEEE10hipError_tPvRmT1_PNSt15iterator_traitsISY_E10value_typeET2_T3_PNSZ_IS14_E10value_typeET4_jRbjT5_S1A_jjP12ihipStream_tbEUljE_EEESV_SW_SX_S14_S18_S1A_T6_T7_T9_mT8_S1C_bDpT10_ENKUlT_T0_E_clISt17integral_constantIbLb0EES1P_EEDaS1K_S1L_EUlS1K_E_NS1_11comp_targetILNS1_3genE4ELNS1_11target_archE910ELNS1_3gpuE8ELNS1_3repE0EEENS1_30default_config_static_selectorELNS0_4arch9wavefront6targetE0EEEvSY_,@function
_ZN7rocprim17ROCPRIM_400000_NS6detail17trampoline_kernelINS0_13select_configILj256ELj13ELNS0_17block_load_methodE3ELS4_3ELS4_3ELNS0_20block_scan_algorithmE0ELj4294967295EEENS1_25partition_config_selectorILNS1_17partition_subalgoE3EjNS0_10empty_typeEbEEZZNS1_14partition_implILS8_3ELb0ES6_jNS0_17counting_iteratorIjlEEPS9_SE_NS0_5tupleIJPjSE_EEENSF_IJSE_SE_EEES9_SG_JZNS1_25segmented_radix_sort_implINS0_14default_configELb1EPKbPbPKlPlN2at6native12_GLOBAL__N_18offset_tEEE10hipError_tPvRmT1_PNSt15iterator_traitsISY_E10value_typeET2_T3_PNSZ_IS14_E10value_typeET4_jRbjT5_S1A_jjP12ihipStream_tbEUljE_EEESV_SW_SX_S14_S18_S1A_T6_T7_T9_mT8_S1C_bDpT10_ENKUlT_T0_E_clISt17integral_constantIbLb0EES1P_EEDaS1K_S1L_EUlS1K_E_NS1_11comp_targetILNS1_3genE4ELNS1_11target_archE910ELNS1_3gpuE8ELNS1_3repE0EEENS1_30default_config_static_selectorELNS0_4arch9wavefront6targetE0EEEvSY_: ; @_ZN7rocprim17ROCPRIM_400000_NS6detail17trampoline_kernelINS0_13select_configILj256ELj13ELNS0_17block_load_methodE3ELS4_3ELS4_3ELNS0_20block_scan_algorithmE0ELj4294967295EEENS1_25partition_config_selectorILNS1_17partition_subalgoE3EjNS0_10empty_typeEbEEZZNS1_14partition_implILS8_3ELb0ES6_jNS0_17counting_iteratorIjlEEPS9_SE_NS0_5tupleIJPjSE_EEENSF_IJSE_SE_EEES9_SG_JZNS1_25segmented_radix_sort_implINS0_14default_configELb1EPKbPbPKlPlN2at6native12_GLOBAL__N_18offset_tEEE10hipError_tPvRmT1_PNSt15iterator_traitsISY_E10value_typeET2_T3_PNSZ_IS14_E10value_typeET4_jRbjT5_S1A_jjP12ihipStream_tbEUljE_EEESV_SW_SX_S14_S18_S1A_T6_T7_T9_mT8_S1C_bDpT10_ENKUlT_T0_E_clISt17integral_constantIbLb0EES1P_EEDaS1K_S1L_EUlS1K_E_NS1_11comp_targetILNS1_3genE4ELNS1_11target_archE910ELNS1_3gpuE8ELNS1_3repE0EEENS1_30default_config_static_selectorELNS0_4arch9wavefront6targetE0EEEvSY_
; %bb.0:
	.section	.rodata,"a",@progbits
	.p2align	6, 0x0
	.amdhsa_kernel _ZN7rocprim17ROCPRIM_400000_NS6detail17trampoline_kernelINS0_13select_configILj256ELj13ELNS0_17block_load_methodE3ELS4_3ELS4_3ELNS0_20block_scan_algorithmE0ELj4294967295EEENS1_25partition_config_selectorILNS1_17partition_subalgoE3EjNS0_10empty_typeEbEEZZNS1_14partition_implILS8_3ELb0ES6_jNS0_17counting_iteratorIjlEEPS9_SE_NS0_5tupleIJPjSE_EEENSF_IJSE_SE_EEES9_SG_JZNS1_25segmented_radix_sort_implINS0_14default_configELb1EPKbPbPKlPlN2at6native12_GLOBAL__N_18offset_tEEE10hipError_tPvRmT1_PNSt15iterator_traitsISY_E10value_typeET2_T3_PNSZ_IS14_E10value_typeET4_jRbjT5_S1A_jjP12ihipStream_tbEUljE_EEESV_SW_SX_S14_S18_S1A_T6_T7_T9_mT8_S1C_bDpT10_ENKUlT_T0_E_clISt17integral_constantIbLb0EES1P_EEDaS1K_S1L_EUlS1K_E_NS1_11comp_targetILNS1_3genE4ELNS1_11target_archE910ELNS1_3gpuE8ELNS1_3repE0EEENS1_30default_config_static_selectorELNS0_4arch9wavefront6targetE0EEEvSY_
		.amdhsa_group_segment_fixed_size 0
		.amdhsa_private_segment_fixed_size 0
		.amdhsa_kernarg_size 144
		.amdhsa_user_sgpr_count 15
		.amdhsa_user_sgpr_dispatch_ptr 0
		.amdhsa_user_sgpr_queue_ptr 0
		.amdhsa_user_sgpr_kernarg_segment_ptr 1
		.amdhsa_user_sgpr_dispatch_id 0
		.amdhsa_user_sgpr_private_segment_size 0
		.amdhsa_wavefront_size32 1
		.amdhsa_uses_dynamic_stack 0
		.amdhsa_enable_private_segment 0
		.amdhsa_system_sgpr_workgroup_id_x 1
		.amdhsa_system_sgpr_workgroup_id_y 0
		.amdhsa_system_sgpr_workgroup_id_z 0
		.amdhsa_system_sgpr_workgroup_info 0
		.amdhsa_system_vgpr_workitem_id 0
		.amdhsa_next_free_vgpr 1
		.amdhsa_next_free_sgpr 1
		.amdhsa_reserve_vcc 0
		.amdhsa_float_round_mode_32 0
		.amdhsa_float_round_mode_16_64 0
		.amdhsa_float_denorm_mode_32 3
		.amdhsa_float_denorm_mode_16_64 3
		.amdhsa_dx10_clamp 1
		.amdhsa_ieee_mode 1
		.amdhsa_fp16_overflow 0
		.amdhsa_workgroup_processor_mode 1
		.amdhsa_memory_ordered 1
		.amdhsa_forward_progress 0
		.amdhsa_shared_vgpr_count 0
		.amdhsa_exception_fp_ieee_invalid_op 0
		.amdhsa_exception_fp_denorm_src 0
		.amdhsa_exception_fp_ieee_div_zero 0
		.amdhsa_exception_fp_ieee_overflow 0
		.amdhsa_exception_fp_ieee_underflow 0
		.amdhsa_exception_fp_ieee_inexact 0
		.amdhsa_exception_int_div_zero 0
	.end_amdhsa_kernel
	.section	.text._ZN7rocprim17ROCPRIM_400000_NS6detail17trampoline_kernelINS0_13select_configILj256ELj13ELNS0_17block_load_methodE3ELS4_3ELS4_3ELNS0_20block_scan_algorithmE0ELj4294967295EEENS1_25partition_config_selectorILNS1_17partition_subalgoE3EjNS0_10empty_typeEbEEZZNS1_14partition_implILS8_3ELb0ES6_jNS0_17counting_iteratorIjlEEPS9_SE_NS0_5tupleIJPjSE_EEENSF_IJSE_SE_EEES9_SG_JZNS1_25segmented_radix_sort_implINS0_14default_configELb1EPKbPbPKlPlN2at6native12_GLOBAL__N_18offset_tEEE10hipError_tPvRmT1_PNSt15iterator_traitsISY_E10value_typeET2_T3_PNSZ_IS14_E10value_typeET4_jRbjT5_S1A_jjP12ihipStream_tbEUljE_EEESV_SW_SX_S14_S18_S1A_T6_T7_T9_mT8_S1C_bDpT10_ENKUlT_T0_E_clISt17integral_constantIbLb0EES1P_EEDaS1K_S1L_EUlS1K_E_NS1_11comp_targetILNS1_3genE4ELNS1_11target_archE910ELNS1_3gpuE8ELNS1_3repE0EEENS1_30default_config_static_selectorELNS0_4arch9wavefront6targetE0EEEvSY_,"axG",@progbits,_ZN7rocprim17ROCPRIM_400000_NS6detail17trampoline_kernelINS0_13select_configILj256ELj13ELNS0_17block_load_methodE3ELS4_3ELS4_3ELNS0_20block_scan_algorithmE0ELj4294967295EEENS1_25partition_config_selectorILNS1_17partition_subalgoE3EjNS0_10empty_typeEbEEZZNS1_14partition_implILS8_3ELb0ES6_jNS0_17counting_iteratorIjlEEPS9_SE_NS0_5tupleIJPjSE_EEENSF_IJSE_SE_EEES9_SG_JZNS1_25segmented_radix_sort_implINS0_14default_configELb1EPKbPbPKlPlN2at6native12_GLOBAL__N_18offset_tEEE10hipError_tPvRmT1_PNSt15iterator_traitsISY_E10value_typeET2_T3_PNSZ_IS14_E10value_typeET4_jRbjT5_S1A_jjP12ihipStream_tbEUljE_EEESV_SW_SX_S14_S18_S1A_T6_T7_T9_mT8_S1C_bDpT10_ENKUlT_T0_E_clISt17integral_constantIbLb0EES1P_EEDaS1K_S1L_EUlS1K_E_NS1_11comp_targetILNS1_3genE4ELNS1_11target_archE910ELNS1_3gpuE8ELNS1_3repE0EEENS1_30default_config_static_selectorELNS0_4arch9wavefront6targetE0EEEvSY_,comdat
.Lfunc_end1502:
	.size	_ZN7rocprim17ROCPRIM_400000_NS6detail17trampoline_kernelINS0_13select_configILj256ELj13ELNS0_17block_load_methodE3ELS4_3ELS4_3ELNS0_20block_scan_algorithmE0ELj4294967295EEENS1_25partition_config_selectorILNS1_17partition_subalgoE3EjNS0_10empty_typeEbEEZZNS1_14partition_implILS8_3ELb0ES6_jNS0_17counting_iteratorIjlEEPS9_SE_NS0_5tupleIJPjSE_EEENSF_IJSE_SE_EEES9_SG_JZNS1_25segmented_radix_sort_implINS0_14default_configELb1EPKbPbPKlPlN2at6native12_GLOBAL__N_18offset_tEEE10hipError_tPvRmT1_PNSt15iterator_traitsISY_E10value_typeET2_T3_PNSZ_IS14_E10value_typeET4_jRbjT5_S1A_jjP12ihipStream_tbEUljE_EEESV_SW_SX_S14_S18_S1A_T6_T7_T9_mT8_S1C_bDpT10_ENKUlT_T0_E_clISt17integral_constantIbLb0EES1P_EEDaS1K_S1L_EUlS1K_E_NS1_11comp_targetILNS1_3genE4ELNS1_11target_archE910ELNS1_3gpuE8ELNS1_3repE0EEENS1_30default_config_static_selectorELNS0_4arch9wavefront6targetE0EEEvSY_, .Lfunc_end1502-_ZN7rocprim17ROCPRIM_400000_NS6detail17trampoline_kernelINS0_13select_configILj256ELj13ELNS0_17block_load_methodE3ELS4_3ELS4_3ELNS0_20block_scan_algorithmE0ELj4294967295EEENS1_25partition_config_selectorILNS1_17partition_subalgoE3EjNS0_10empty_typeEbEEZZNS1_14partition_implILS8_3ELb0ES6_jNS0_17counting_iteratorIjlEEPS9_SE_NS0_5tupleIJPjSE_EEENSF_IJSE_SE_EEES9_SG_JZNS1_25segmented_radix_sort_implINS0_14default_configELb1EPKbPbPKlPlN2at6native12_GLOBAL__N_18offset_tEEE10hipError_tPvRmT1_PNSt15iterator_traitsISY_E10value_typeET2_T3_PNSZ_IS14_E10value_typeET4_jRbjT5_S1A_jjP12ihipStream_tbEUljE_EEESV_SW_SX_S14_S18_S1A_T6_T7_T9_mT8_S1C_bDpT10_ENKUlT_T0_E_clISt17integral_constantIbLb0EES1P_EEDaS1K_S1L_EUlS1K_E_NS1_11comp_targetILNS1_3genE4ELNS1_11target_archE910ELNS1_3gpuE8ELNS1_3repE0EEENS1_30default_config_static_selectorELNS0_4arch9wavefront6targetE0EEEvSY_
                                        ; -- End function
	.section	.AMDGPU.csdata,"",@progbits
; Kernel info:
; codeLenInByte = 0
; NumSgprs: 0
; NumVgprs: 0
; ScratchSize: 0
; MemoryBound: 0
; FloatMode: 240
; IeeeMode: 1
; LDSByteSize: 0 bytes/workgroup (compile time only)
; SGPRBlocks: 0
; VGPRBlocks: 0
; NumSGPRsForWavesPerEU: 1
; NumVGPRsForWavesPerEU: 1
; Occupancy: 16
; WaveLimiterHint : 0
; COMPUTE_PGM_RSRC2:SCRATCH_EN: 0
; COMPUTE_PGM_RSRC2:USER_SGPR: 15
; COMPUTE_PGM_RSRC2:TRAP_HANDLER: 0
; COMPUTE_PGM_RSRC2:TGID_X_EN: 1
; COMPUTE_PGM_RSRC2:TGID_Y_EN: 0
; COMPUTE_PGM_RSRC2:TGID_Z_EN: 0
; COMPUTE_PGM_RSRC2:TIDIG_COMP_CNT: 0
	.section	.text._ZN7rocprim17ROCPRIM_400000_NS6detail17trampoline_kernelINS0_13select_configILj256ELj13ELNS0_17block_load_methodE3ELS4_3ELS4_3ELNS0_20block_scan_algorithmE0ELj4294967295EEENS1_25partition_config_selectorILNS1_17partition_subalgoE3EjNS0_10empty_typeEbEEZZNS1_14partition_implILS8_3ELb0ES6_jNS0_17counting_iteratorIjlEEPS9_SE_NS0_5tupleIJPjSE_EEENSF_IJSE_SE_EEES9_SG_JZNS1_25segmented_radix_sort_implINS0_14default_configELb1EPKbPbPKlPlN2at6native12_GLOBAL__N_18offset_tEEE10hipError_tPvRmT1_PNSt15iterator_traitsISY_E10value_typeET2_T3_PNSZ_IS14_E10value_typeET4_jRbjT5_S1A_jjP12ihipStream_tbEUljE_EEESV_SW_SX_S14_S18_S1A_T6_T7_T9_mT8_S1C_bDpT10_ENKUlT_T0_E_clISt17integral_constantIbLb0EES1P_EEDaS1K_S1L_EUlS1K_E_NS1_11comp_targetILNS1_3genE3ELNS1_11target_archE908ELNS1_3gpuE7ELNS1_3repE0EEENS1_30default_config_static_selectorELNS0_4arch9wavefront6targetE0EEEvSY_,"axG",@progbits,_ZN7rocprim17ROCPRIM_400000_NS6detail17trampoline_kernelINS0_13select_configILj256ELj13ELNS0_17block_load_methodE3ELS4_3ELS4_3ELNS0_20block_scan_algorithmE0ELj4294967295EEENS1_25partition_config_selectorILNS1_17partition_subalgoE3EjNS0_10empty_typeEbEEZZNS1_14partition_implILS8_3ELb0ES6_jNS0_17counting_iteratorIjlEEPS9_SE_NS0_5tupleIJPjSE_EEENSF_IJSE_SE_EEES9_SG_JZNS1_25segmented_radix_sort_implINS0_14default_configELb1EPKbPbPKlPlN2at6native12_GLOBAL__N_18offset_tEEE10hipError_tPvRmT1_PNSt15iterator_traitsISY_E10value_typeET2_T3_PNSZ_IS14_E10value_typeET4_jRbjT5_S1A_jjP12ihipStream_tbEUljE_EEESV_SW_SX_S14_S18_S1A_T6_T7_T9_mT8_S1C_bDpT10_ENKUlT_T0_E_clISt17integral_constantIbLb0EES1P_EEDaS1K_S1L_EUlS1K_E_NS1_11comp_targetILNS1_3genE3ELNS1_11target_archE908ELNS1_3gpuE7ELNS1_3repE0EEENS1_30default_config_static_selectorELNS0_4arch9wavefront6targetE0EEEvSY_,comdat
	.globl	_ZN7rocprim17ROCPRIM_400000_NS6detail17trampoline_kernelINS0_13select_configILj256ELj13ELNS0_17block_load_methodE3ELS4_3ELS4_3ELNS0_20block_scan_algorithmE0ELj4294967295EEENS1_25partition_config_selectorILNS1_17partition_subalgoE3EjNS0_10empty_typeEbEEZZNS1_14partition_implILS8_3ELb0ES6_jNS0_17counting_iteratorIjlEEPS9_SE_NS0_5tupleIJPjSE_EEENSF_IJSE_SE_EEES9_SG_JZNS1_25segmented_radix_sort_implINS0_14default_configELb1EPKbPbPKlPlN2at6native12_GLOBAL__N_18offset_tEEE10hipError_tPvRmT1_PNSt15iterator_traitsISY_E10value_typeET2_T3_PNSZ_IS14_E10value_typeET4_jRbjT5_S1A_jjP12ihipStream_tbEUljE_EEESV_SW_SX_S14_S18_S1A_T6_T7_T9_mT8_S1C_bDpT10_ENKUlT_T0_E_clISt17integral_constantIbLb0EES1P_EEDaS1K_S1L_EUlS1K_E_NS1_11comp_targetILNS1_3genE3ELNS1_11target_archE908ELNS1_3gpuE7ELNS1_3repE0EEENS1_30default_config_static_selectorELNS0_4arch9wavefront6targetE0EEEvSY_ ; -- Begin function _ZN7rocprim17ROCPRIM_400000_NS6detail17trampoline_kernelINS0_13select_configILj256ELj13ELNS0_17block_load_methodE3ELS4_3ELS4_3ELNS0_20block_scan_algorithmE0ELj4294967295EEENS1_25partition_config_selectorILNS1_17partition_subalgoE3EjNS0_10empty_typeEbEEZZNS1_14partition_implILS8_3ELb0ES6_jNS0_17counting_iteratorIjlEEPS9_SE_NS0_5tupleIJPjSE_EEENSF_IJSE_SE_EEES9_SG_JZNS1_25segmented_radix_sort_implINS0_14default_configELb1EPKbPbPKlPlN2at6native12_GLOBAL__N_18offset_tEEE10hipError_tPvRmT1_PNSt15iterator_traitsISY_E10value_typeET2_T3_PNSZ_IS14_E10value_typeET4_jRbjT5_S1A_jjP12ihipStream_tbEUljE_EEESV_SW_SX_S14_S18_S1A_T6_T7_T9_mT8_S1C_bDpT10_ENKUlT_T0_E_clISt17integral_constantIbLb0EES1P_EEDaS1K_S1L_EUlS1K_E_NS1_11comp_targetILNS1_3genE3ELNS1_11target_archE908ELNS1_3gpuE7ELNS1_3repE0EEENS1_30default_config_static_selectorELNS0_4arch9wavefront6targetE0EEEvSY_
	.p2align	8
	.type	_ZN7rocprim17ROCPRIM_400000_NS6detail17trampoline_kernelINS0_13select_configILj256ELj13ELNS0_17block_load_methodE3ELS4_3ELS4_3ELNS0_20block_scan_algorithmE0ELj4294967295EEENS1_25partition_config_selectorILNS1_17partition_subalgoE3EjNS0_10empty_typeEbEEZZNS1_14partition_implILS8_3ELb0ES6_jNS0_17counting_iteratorIjlEEPS9_SE_NS0_5tupleIJPjSE_EEENSF_IJSE_SE_EEES9_SG_JZNS1_25segmented_radix_sort_implINS0_14default_configELb1EPKbPbPKlPlN2at6native12_GLOBAL__N_18offset_tEEE10hipError_tPvRmT1_PNSt15iterator_traitsISY_E10value_typeET2_T3_PNSZ_IS14_E10value_typeET4_jRbjT5_S1A_jjP12ihipStream_tbEUljE_EEESV_SW_SX_S14_S18_S1A_T6_T7_T9_mT8_S1C_bDpT10_ENKUlT_T0_E_clISt17integral_constantIbLb0EES1P_EEDaS1K_S1L_EUlS1K_E_NS1_11comp_targetILNS1_3genE3ELNS1_11target_archE908ELNS1_3gpuE7ELNS1_3repE0EEENS1_30default_config_static_selectorELNS0_4arch9wavefront6targetE0EEEvSY_,@function
_ZN7rocprim17ROCPRIM_400000_NS6detail17trampoline_kernelINS0_13select_configILj256ELj13ELNS0_17block_load_methodE3ELS4_3ELS4_3ELNS0_20block_scan_algorithmE0ELj4294967295EEENS1_25partition_config_selectorILNS1_17partition_subalgoE3EjNS0_10empty_typeEbEEZZNS1_14partition_implILS8_3ELb0ES6_jNS0_17counting_iteratorIjlEEPS9_SE_NS0_5tupleIJPjSE_EEENSF_IJSE_SE_EEES9_SG_JZNS1_25segmented_radix_sort_implINS0_14default_configELb1EPKbPbPKlPlN2at6native12_GLOBAL__N_18offset_tEEE10hipError_tPvRmT1_PNSt15iterator_traitsISY_E10value_typeET2_T3_PNSZ_IS14_E10value_typeET4_jRbjT5_S1A_jjP12ihipStream_tbEUljE_EEESV_SW_SX_S14_S18_S1A_T6_T7_T9_mT8_S1C_bDpT10_ENKUlT_T0_E_clISt17integral_constantIbLb0EES1P_EEDaS1K_S1L_EUlS1K_E_NS1_11comp_targetILNS1_3genE3ELNS1_11target_archE908ELNS1_3gpuE7ELNS1_3repE0EEENS1_30default_config_static_selectorELNS0_4arch9wavefront6targetE0EEEvSY_: ; @_ZN7rocprim17ROCPRIM_400000_NS6detail17trampoline_kernelINS0_13select_configILj256ELj13ELNS0_17block_load_methodE3ELS4_3ELS4_3ELNS0_20block_scan_algorithmE0ELj4294967295EEENS1_25partition_config_selectorILNS1_17partition_subalgoE3EjNS0_10empty_typeEbEEZZNS1_14partition_implILS8_3ELb0ES6_jNS0_17counting_iteratorIjlEEPS9_SE_NS0_5tupleIJPjSE_EEENSF_IJSE_SE_EEES9_SG_JZNS1_25segmented_radix_sort_implINS0_14default_configELb1EPKbPbPKlPlN2at6native12_GLOBAL__N_18offset_tEEE10hipError_tPvRmT1_PNSt15iterator_traitsISY_E10value_typeET2_T3_PNSZ_IS14_E10value_typeET4_jRbjT5_S1A_jjP12ihipStream_tbEUljE_EEESV_SW_SX_S14_S18_S1A_T6_T7_T9_mT8_S1C_bDpT10_ENKUlT_T0_E_clISt17integral_constantIbLb0EES1P_EEDaS1K_S1L_EUlS1K_E_NS1_11comp_targetILNS1_3genE3ELNS1_11target_archE908ELNS1_3gpuE7ELNS1_3repE0EEENS1_30default_config_static_selectorELNS0_4arch9wavefront6targetE0EEEvSY_
; %bb.0:
	.section	.rodata,"a",@progbits
	.p2align	6, 0x0
	.amdhsa_kernel _ZN7rocprim17ROCPRIM_400000_NS6detail17trampoline_kernelINS0_13select_configILj256ELj13ELNS0_17block_load_methodE3ELS4_3ELS4_3ELNS0_20block_scan_algorithmE0ELj4294967295EEENS1_25partition_config_selectorILNS1_17partition_subalgoE3EjNS0_10empty_typeEbEEZZNS1_14partition_implILS8_3ELb0ES6_jNS0_17counting_iteratorIjlEEPS9_SE_NS0_5tupleIJPjSE_EEENSF_IJSE_SE_EEES9_SG_JZNS1_25segmented_radix_sort_implINS0_14default_configELb1EPKbPbPKlPlN2at6native12_GLOBAL__N_18offset_tEEE10hipError_tPvRmT1_PNSt15iterator_traitsISY_E10value_typeET2_T3_PNSZ_IS14_E10value_typeET4_jRbjT5_S1A_jjP12ihipStream_tbEUljE_EEESV_SW_SX_S14_S18_S1A_T6_T7_T9_mT8_S1C_bDpT10_ENKUlT_T0_E_clISt17integral_constantIbLb0EES1P_EEDaS1K_S1L_EUlS1K_E_NS1_11comp_targetILNS1_3genE3ELNS1_11target_archE908ELNS1_3gpuE7ELNS1_3repE0EEENS1_30default_config_static_selectorELNS0_4arch9wavefront6targetE0EEEvSY_
		.amdhsa_group_segment_fixed_size 0
		.amdhsa_private_segment_fixed_size 0
		.amdhsa_kernarg_size 144
		.amdhsa_user_sgpr_count 15
		.amdhsa_user_sgpr_dispatch_ptr 0
		.amdhsa_user_sgpr_queue_ptr 0
		.amdhsa_user_sgpr_kernarg_segment_ptr 1
		.amdhsa_user_sgpr_dispatch_id 0
		.amdhsa_user_sgpr_private_segment_size 0
		.amdhsa_wavefront_size32 1
		.amdhsa_uses_dynamic_stack 0
		.amdhsa_enable_private_segment 0
		.amdhsa_system_sgpr_workgroup_id_x 1
		.amdhsa_system_sgpr_workgroup_id_y 0
		.amdhsa_system_sgpr_workgroup_id_z 0
		.amdhsa_system_sgpr_workgroup_info 0
		.amdhsa_system_vgpr_workitem_id 0
		.amdhsa_next_free_vgpr 1
		.amdhsa_next_free_sgpr 1
		.amdhsa_reserve_vcc 0
		.amdhsa_float_round_mode_32 0
		.amdhsa_float_round_mode_16_64 0
		.amdhsa_float_denorm_mode_32 3
		.amdhsa_float_denorm_mode_16_64 3
		.amdhsa_dx10_clamp 1
		.amdhsa_ieee_mode 1
		.amdhsa_fp16_overflow 0
		.amdhsa_workgroup_processor_mode 1
		.amdhsa_memory_ordered 1
		.amdhsa_forward_progress 0
		.amdhsa_shared_vgpr_count 0
		.amdhsa_exception_fp_ieee_invalid_op 0
		.amdhsa_exception_fp_denorm_src 0
		.amdhsa_exception_fp_ieee_div_zero 0
		.amdhsa_exception_fp_ieee_overflow 0
		.amdhsa_exception_fp_ieee_underflow 0
		.amdhsa_exception_fp_ieee_inexact 0
		.amdhsa_exception_int_div_zero 0
	.end_amdhsa_kernel
	.section	.text._ZN7rocprim17ROCPRIM_400000_NS6detail17trampoline_kernelINS0_13select_configILj256ELj13ELNS0_17block_load_methodE3ELS4_3ELS4_3ELNS0_20block_scan_algorithmE0ELj4294967295EEENS1_25partition_config_selectorILNS1_17partition_subalgoE3EjNS0_10empty_typeEbEEZZNS1_14partition_implILS8_3ELb0ES6_jNS0_17counting_iteratorIjlEEPS9_SE_NS0_5tupleIJPjSE_EEENSF_IJSE_SE_EEES9_SG_JZNS1_25segmented_radix_sort_implINS0_14default_configELb1EPKbPbPKlPlN2at6native12_GLOBAL__N_18offset_tEEE10hipError_tPvRmT1_PNSt15iterator_traitsISY_E10value_typeET2_T3_PNSZ_IS14_E10value_typeET4_jRbjT5_S1A_jjP12ihipStream_tbEUljE_EEESV_SW_SX_S14_S18_S1A_T6_T7_T9_mT8_S1C_bDpT10_ENKUlT_T0_E_clISt17integral_constantIbLb0EES1P_EEDaS1K_S1L_EUlS1K_E_NS1_11comp_targetILNS1_3genE3ELNS1_11target_archE908ELNS1_3gpuE7ELNS1_3repE0EEENS1_30default_config_static_selectorELNS0_4arch9wavefront6targetE0EEEvSY_,"axG",@progbits,_ZN7rocprim17ROCPRIM_400000_NS6detail17trampoline_kernelINS0_13select_configILj256ELj13ELNS0_17block_load_methodE3ELS4_3ELS4_3ELNS0_20block_scan_algorithmE0ELj4294967295EEENS1_25partition_config_selectorILNS1_17partition_subalgoE3EjNS0_10empty_typeEbEEZZNS1_14partition_implILS8_3ELb0ES6_jNS0_17counting_iteratorIjlEEPS9_SE_NS0_5tupleIJPjSE_EEENSF_IJSE_SE_EEES9_SG_JZNS1_25segmented_radix_sort_implINS0_14default_configELb1EPKbPbPKlPlN2at6native12_GLOBAL__N_18offset_tEEE10hipError_tPvRmT1_PNSt15iterator_traitsISY_E10value_typeET2_T3_PNSZ_IS14_E10value_typeET4_jRbjT5_S1A_jjP12ihipStream_tbEUljE_EEESV_SW_SX_S14_S18_S1A_T6_T7_T9_mT8_S1C_bDpT10_ENKUlT_T0_E_clISt17integral_constantIbLb0EES1P_EEDaS1K_S1L_EUlS1K_E_NS1_11comp_targetILNS1_3genE3ELNS1_11target_archE908ELNS1_3gpuE7ELNS1_3repE0EEENS1_30default_config_static_selectorELNS0_4arch9wavefront6targetE0EEEvSY_,comdat
.Lfunc_end1503:
	.size	_ZN7rocprim17ROCPRIM_400000_NS6detail17trampoline_kernelINS0_13select_configILj256ELj13ELNS0_17block_load_methodE3ELS4_3ELS4_3ELNS0_20block_scan_algorithmE0ELj4294967295EEENS1_25partition_config_selectorILNS1_17partition_subalgoE3EjNS0_10empty_typeEbEEZZNS1_14partition_implILS8_3ELb0ES6_jNS0_17counting_iteratorIjlEEPS9_SE_NS0_5tupleIJPjSE_EEENSF_IJSE_SE_EEES9_SG_JZNS1_25segmented_radix_sort_implINS0_14default_configELb1EPKbPbPKlPlN2at6native12_GLOBAL__N_18offset_tEEE10hipError_tPvRmT1_PNSt15iterator_traitsISY_E10value_typeET2_T3_PNSZ_IS14_E10value_typeET4_jRbjT5_S1A_jjP12ihipStream_tbEUljE_EEESV_SW_SX_S14_S18_S1A_T6_T7_T9_mT8_S1C_bDpT10_ENKUlT_T0_E_clISt17integral_constantIbLb0EES1P_EEDaS1K_S1L_EUlS1K_E_NS1_11comp_targetILNS1_3genE3ELNS1_11target_archE908ELNS1_3gpuE7ELNS1_3repE0EEENS1_30default_config_static_selectorELNS0_4arch9wavefront6targetE0EEEvSY_, .Lfunc_end1503-_ZN7rocprim17ROCPRIM_400000_NS6detail17trampoline_kernelINS0_13select_configILj256ELj13ELNS0_17block_load_methodE3ELS4_3ELS4_3ELNS0_20block_scan_algorithmE0ELj4294967295EEENS1_25partition_config_selectorILNS1_17partition_subalgoE3EjNS0_10empty_typeEbEEZZNS1_14partition_implILS8_3ELb0ES6_jNS0_17counting_iteratorIjlEEPS9_SE_NS0_5tupleIJPjSE_EEENSF_IJSE_SE_EEES9_SG_JZNS1_25segmented_radix_sort_implINS0_14default_configELb1EPKbPbPKlPlN2at6native12_GLOBAL__N_18offset_tEEE10hipError_tPvRmT1_PNSt15iterator_traitsISY_E10value_typeET2_T3_PNSZ_IS14_E10value_typeET4_jRbjT5_S1A_jjP12ihipStream_tbEUljE_EEESV_SW_SX_S14_S18_S1A_T6_T7_T9_mT8_S1C_bDpT10_ENKUlT_T0_E_clISt17integral_constantIbLb0EES1P_EEDaS1K_S1L_EUlS1K_E_NS1_11comp_targetILNS1_3genE3ELNS1_11target_archE908ELNS1_3gpuE7ELNS1_3repE0EEENS1_30default_config_static_selectorELNS0_4arch9wavefront6targetE0EEEvSY_
                                        ; -- End function
	.section	.AMDGPU.csdata,"",@progbits
; Kernel info:
; codeLenInByte = 0
; NumSgprs: 0
; NumVgprs: 0
; ScratchSize: 0
; MemoryBound: 0
; FloatMode: 240
; IeeeMode: 1
; LDSByteSize: 0 bytes/workgroup (compile time only)
; SGPRBlocks: 0
; VGPRBlocks: 0
; NumSGPRsForWavesPerEU: 1
; NumVGPRsForWavesPerEU: 1
; Occupancy: 16
; WaveLimiterHint : 0
; COMPUTE_PGM_RSRC2:SCRATCH_EN: 0
; COMPUTE_PGM_RSRC2:USER_SGPR: 15
; COMPUTE_PGM_RSRC2:TRAP_HANDLER: 0
; COMPUTE_PGM_RSRC2:TGID_X_EN: 1
; COMPUTE_PGM_RSRC2:TGID_Y_EN: 0
; COMPUTE_PGM_RSRC2:TGID_Z_EN: 0
; COMPUTE_PGM_RSRC2:TIDIG_COMP_CNT: 0
	.section	.text._ZN7rocprim17ROCPRIM_400000_NS6detail17trampoline_kernelINS0_13select_configILj256ELj13ELNS0_17block_load_methodE3ELS4_3ELS4_3ELNS0_20block_scan_algorithmE0ELj4294967295EEENS1_25partition_config_selectorILNS1_17partition_subalgoE3EjNS0_10empty_typeEbEEZZNS1_14partition_implILS8_3ELb0ES6_jNS0_17counting_iteratorIjlEEPS9_SE_NS0_5tupleIJPjSE_EEENSF_IJSE_SE_EEES9_SG_JZNS1_25segmented_radix_sort_implINS0_14default_configELb1EPKbPbPKlPlN2at6native12_GLOBAL__N_18offset_tEEE10hipError_tPvRmT1_PNSt15iterator_traitsISY_E10value_typeET2_T3_PNSZ_IS14_E10value_typeET4_jRbjT5_S1A_jjP12ihipStream_tbEUljE_EEESV_SW_SX_S14_S18_S1A_T6_T7_T9_mT8_S1C_bDpT10_ENKUlT_T0_E_clISt17integral_constantIbLb0EES1P_EEDaS1K_S1L_EUlS1K_E_NS1_11comp_targetILNS1_3genE2ELNS1_11target_archE906ELNS1_3gpuE6ELNS1_3repE0EEENS1_30default_config_static_selectorELNS0_4arch9wavefront6targetE0EEEvSY_,"axG",@progbits,_ZN7rocprim17ROCPRIM_400000_NS6detail17trampoline_kernelINS0_13select_configILj256ELj13ELNS0_17block_load_methodE3ELS4_3ELS4_3ELNS0_20block_scan_algorithmE0ELj4294967295EEENS1_25partition_config_selectorILNS1_17partition_subalgoE3EjNS0_10empty_typeEbEEZZNS1_14partition_implILS8_3ELb0ES6_jNS0_17counting_iteratorIjlEEPS9_SE_NS0_5tupleIJPjSE_EEENSF_IJSE_SE_EEES9_SG_JZNS1_25segmented_radix_sort_implINS0_14default_configELb1EPKbPbPKlPlN2at6native12_GLOBAL__N_18offset_tEEE10hipError_tPvRmT1_PNSt15iterator_traitsISY_E10value_typeET2_T3_PNSZ_IS14_E10value_typeET4_jRbjT5_S1A_jjP12ihipStream_tbEUljE_EEESV_SW_SX_S14_S18_S1A_T6_T7_T9_mT8_S1C_bDpT10_ENKUlT_T0_E_clISt17integral_constantIbLb0EES1P_EEDaS1K_S1L_EUlS1K_E_NS1_11comp_targetILNS1_3genE2ELNS1_11target_archE906ELNS1_3gpuE6ELNS1_3repE0EEENS1_30default_config_static_selectorELNS0_4arch9wavefront6targetE0EEEvSY_,comdat
	.globl	_ZN7rocprim17ROCPRIM_400000_NS6detail17trampoline_kernelINS0_13select_configILj256ELj13ELNS0_17block_load_methodE3ELS4_3ELS4_3ELNS0_20block_scan_algorithmE0ELj4294967295EEENS1_25partition_config_selectorILNS1_17partition_subalgoE3EjNS0_10empty_typeEbEEZZNS1_14partition_implILS8_3ELb0ES6_jNS0_17counting_iteratorIjlEEPS9_SE_NS0_5tupleIJPjSE_EEENSF_IJSE_SE_EEES9_SG_JZNS1_25segmented_radix_sort_implINS0_14default_configELb1EPKbPbPKlPlN2at6native12_GLOBAL__N_18offset_tEEE10hipError_tPvRmT1_PNSt15iterator_traitsISY_E10value_typeET2_T3_PNSZ_IS14_E10value_typeET4_jRbjT5_S1A_jjP12ihipStream_tbEUljE_EEESV_SW_SX_S14_S18_S1A_T6_T7_T9_mT8_S1C_bDpT10_ENKUlT_T0_E_clISt17integral_constantIbLb0EES1P_EEDaS1K_S1L_EUlS1K_E_NS1_11comp_targetILNS1_3genE2ELNS1_11target_archE906ELNS1_3gpuE6ELNS1_3repE0EEENS1_30default_config_static_selectorELNS0_4arch9wavefront6targetE0EEEvSY_ ; -- Begin function _ZN7rocprim17ROCPRIM_400000_NS6detail17trampoline_kernelINS0_13select_configILj256ELj13ELNS0_17block_load_methodE3ELS4_3ELS4_3ELNS0_20block_scan_algorithmE0ELj4294967295EEENS1_25partition_config_selectorILNS1_17partition_subalgoE3EjNS0_10empty_typeEbEEZZNS1_14partition_implILS8_3ELb0ES6_jNS0_17counting_iteratorIjlEEPS9_SE_NS0_5tupleIJPjSE_EEENSF_IJSE_SE_EEES9_SG_JZNS1_25segmented_radix_sort_implINS0_14default_configELb1EPKbPbPKlPlN2at6native12_GLOBAL__N_18offset_tEEE10hipError_tPvRmT1_PNSt15iterator_traitsISY_E10value_typeET2_T3_PNSZ_IS14_E10value_typeET4_jRbjT5_S1A_jjP12ihipStream_tbEUljE_EEESV_SW_SX_S14_S18_S1A_T6_T7_T9_mT8_S1C_bDpT10_ENKUlT_T0_E_clISt17integral_constantIbLb0EES1P_EEDaS1K_S1L_EUlS1K_E_NS1_11comp_targetILNS1_3genE2ELNS1_11target_archE906ELNS1_3gpuE6ELNS1_3repE0EEENS1_30default_config_static_selectorELNS0_4arch9wavefront6targetE0EEEvSY_
	.p2align	8
	.type	_ZN7rocprim17ROCPRIM_400000_NS6detail17trampoline_kernelINS0_13select_configILj256ELj13ELNS0_17block_load_methodE3ELS4_3ELS4_3ELNS0_20block_scan_algorithmE0ELj4294967295EEENS1_25partition_config_selectorILNS1_17partition_subalgoE3EjNS0_10empty_typeEbEEZZNS1_14partition_implILS8_3ELb0ES6_jNS0_17counting_iteratorIjlEEPS9_SE_NS0_5tupleIJPjSE_EEENSF_IJSE_SE_EEES9_SG_JZNS1_25segmented_radix_sort_implINS0_14default_configELb1EPKbPbPKlPlN2at6native12_GLOBAL__N_18offset_tEEE10hipError_tPvRmT1_PNSt15iterator_traitsISY_E10value_typeET2_T3_PNSZ_IS14_E10value_typeET4_jRbjT5_S1A_jjP12ihipStream_tbEUljE_EEESV_SW_SX_S14_S18_S1A_T6_T7_T9_mT8_S1C_bDpT10_ENKUlT_T0_E_clISt17integral_constantIbLb0EES1P_EEDaS1K_S1L_EUlS1K_E_NS1_11comp_targetILNS1_3genE2ELNS1_11target_archE906ELNS1_3gpuE6ELNS1_3repE0EEENS1_30default_config_static_selectorELNS0_4arch9wavefront6targetE0EEEvSY_,@function
_ZN7rocprim17ROCPRIM_400000_NS6detail17trampoline_kernelINS0_13select_configILj256ELj13ELNS0_17block_load_methodE3ELS4_3ELS4_3ELNS0_20block_scan_algorithmE0ELj4294967295EEENS1_25partition_config_selectorILNS1_17partition_subalgoE3EjNS0_10empty_typeEbEEZZNS1_14partition_implILS8_3ELb0ES6_jNS0_17counting_iteratorIjlEEPS9_SE_NS0_5tupleIJPjSE_EEENSF_IJSE_SE_EEES9_SG_JZNS1_25segmented_radix_sort_implINS0_14default_configELb1EPKbPbPKlPlN2at6native12_GLOBAL__N_18offset_tEEE10hipError_tPvRmT1_PNSt15iterator_traitsISY_E10value_typeET2_T3_PNSZ_IS14_E10value_typeET4_jRbjT5_S1A_jjP12ihipStream_tbEUljE_EEESV_SW_SX_S14_S18_S1A_T6_T7_T9_mT8_S1C_bDpT10_ENKUlT_T0_E_clISt17integral_constantIbLb0EES1P_EEDaS1K_S1L_EUlS1K_E_NS1_11comp_targetILNS1_3genE2ELNS1_11target_archE906ELNS1_3gpuE6ELNS1_3repE0EEENS1_30default_config_static_selectorELNS0_4arch9wavefront6targetE0EEEvSY_: ; @_ZN7rocprim17ROCPRIM_400000_NS6detail17trampoline_kernelINS0_13select_configILj256ELj13ELNS0_17block_load_methodE3ELS4_3ELS4_3ELNS0_20block_scan_algorithmE0ELj4294967295EEENS1_25partition_config_selectorILNS1_17partition_subalgoE3EjNS0_10empty_typeEbEEZZNS1_14partition_implILS8_3ELb0ES6_jNS0_17counting_iteratorIjlEEPS9_SE_NS0_5tupleIJPjSE_EEENSF_IJSE_SE_EEES9_SG_JZNS1_25segmented_radix_sort_implINS0_14default_configELb1EPKbPbPKlPlN2at6native12_GLOBAL__N_18offset_tEEE10hipError_tPvRmT1_PNSt15iterator_traitsISY_E10value_typeET2_T3_PNSZ_IS14_E10value_typeET4_jRbjT5_S1A_jjP12ihipStream_tbEUljE_EEESV_SW_SX_S14_S18_S1A_T6_T7_T9_mT8_S1C_bDpT10_ENKUlT_T0_E_clISt17integral_constantIbLb0EES1P_EEDaS1K_S1L_EUlS1K_E_NS1_11comp_targetILNS1_3genE2ELNS1_11target_archE906ELNS1_3gpuE6ELNS1_3repE0EEENS1_30default_config_static_selectorELNS0_4arch9wavefront6targetE0EEEvSY_
; %bb.0:
	.section	.rodata,"a",@progbits
	.p2align	6, 0x0
	.amdhsa_kernel _ZN7rocprim17ROCPRIM_400000_NS6detail17trampoline_kernelINS0_13select_configILj256ELj13ELNS0_17block_load_methodE3ELS4_3ELS4_3ELNS0_20block_scan_algorithmE0ELj4294967295EEENS1_25partition_config_selectorILNS1_17partition_subalgoE3EjNS0_10empty_typeEbEEZZNS1_14partition_implILS8_3ELb0ES6_jNS0_17counting_iteratorIjlEEPS9_SE_NS0_5tupleIJPjSE_EEENSF_IJSE_SE_EEES9_SG_JZNS1_25segmented_radix_sort_implINS0_14default_configELb1EPKbPbPKlPlN2at6native12_GLOBAL__N_18offset_tEEE10hipError_tPvRmT1_PNSt15iterator_traitsISY_E10value_typeET2_T3_PNSZ_IS14_E10value_typeET4_jRbjT5_S1A_jjP12ihipStream_tbEUljE_EEESV_SW_SX_S14_S18_S1A_T6_T7_T9_mT8_S1C_bDpT10_ENKUlT_T0_E_clISt17integral_constantIbLb0EES1P_EEDaS1K_S1L_EUlS1K_E_NS1_11comp_targetILNS1_3genE2ELNS1_11target_archE906ELNS1_3gpuE6ELNS1_3repE0EEENS1_30default_config_static_selectorELNS0_4arch9wavefront6targetE0EEEvSY_
		.amdhsa_group_segment_fixed_size 0
		.amdhsa_private_segment_fixed_size 0
		.amdhsa_kernarg_size 144
		.amdhsa_user_sgpr_count 15
		.amdhsa_user_sgpr_dispatch_ptr 0
		.amdhsa_user_sgpr_queue_ptr 0
		.amdhsa_user_sgpr_kernarg_segment_ptr 1
		.amdhsa_user_sgpr_dispatch_id 0
		.amdhsa_user_sgpr_private_segment_size 0
		.amdhsa_wavefront_size32 1
		.amdhsa_uses_dynamic_stack 0
		.amdhsa_enable_private_segment 0
		.amdhsa_system_sgpr_workgroup_id_x 1
		.amdhsa_system_sgpr_workgroup_id_y 0
		.amdhsa_system_sgpr_workgroup_id_z 0
		.amdhsa_system_sgpr_workgroup_info 0
		.amdhsa_system_vgpr_workitem_id 0
		.amdhsa_next_free_vgpr 1
		.amdhsa_next_free_sgpr 1
		.amdhsa_reserve_vcc 0
		.amdhsa_float_round_mode_32 0
		.amdhsa_float_round_mode_16_64 0
		.amdhsa_float_denorm_mode_32 3
		.amdhsa_float_denorm_mode_16_64 3
		.amdhsa_dx10_clamp 1
		.amdhsa_ieee_mode 1
		.amdhsa_fp16_overflow 0
		.amdhsa_workgroup_processor_mode 1
		.amdhsa_memory_ordered 1
		.amdhsa_forward_progress 0
		.amdhsa_shared_vgpr_count 0
		.amdhsa_exception_fp_ieee_invalid_op 0
		.amdhsa_exception_fp_denorm_src 0
		.amdhsa_exception_fp_ieee_div_zero 0
		.amdhsa_exception_fp_ieee_overflow 0
		.amdhsa_exception_fp_ieee_underflow 0
		.amdhsa_exception_fp_ieee_inexact 0
		.amdhsa_exception_int_div_zero 0
	.end_amdhsa_kernel
	.section	.text._ZN7rocprim17ROCPRIM_400000_NS6detail17trampoline_kernelINS0_13select_configILj256ELj13ELNS0_17block_load_methodE3ELS4_3ELS4_3ELNS0_20block_scan_algorithmE0ELj4294967295EEENS1_25partition_config_selectorILNS1_17partition_subalgoE3EjNS0_10empty_typeEbEEZZNS1_14partition_implILS8_3ELb0ES6_jNS0_17counting_iteratorIjlEEPS9_SE_NS0_5tupleIJPjSE_EEENSF_IJSE_SE_EEES9_SG_JZNS1_25segmented_radix_sort_implINS0_14default_configELb1EPKbPbPKlPlN2at6native12_GLOBAL__N_18offset_tEEE10hipError_tPvRmT1_PNSt15iterator_traitsISY_E10value_typeET2_T3_PNSZ_IS14_E10value_typeET4_jRbjT5_S1A_jjP12ihipStream_tbEUljE_EEESV_SW_SX_S14_S18_S1A_T6_T7_T9_mT8_S1C_bDpT10_ENKUlT_T0_E_clISt17integral_constantIbLb0EES1P_EEDaS1K_S1L_EUlS1K_E_NS1_11comp_targetILNS1_3genE2ELNS1_11target_archE906ELNS1_3gpuE6ELNS1_3repE0EEENS1_30default_config_static_selectorELNS0_4arch9wavefront6targetE0EEEvSY_,"axG",@progbits,_ZN7rocprim17ROCPRIM_400000_NS6detail17trampoline_kernelINS0_13select_configILj256ELj13ELNS0_17block_load_methodE3ELS4_3ELS4_3ELNS0_20block_scan_algorithmE0ELj4294967295EEENS1_25partition_config_selectorILNS1_17partition_subalgoE3EjNS0_10empty_typeEbEEZZNS1_14partition_implILS8_3ELb0ES6_jNS0_17counting_iteratorIjlEEPS9_SE_NS0_5tupleIJPjSE_EEENSF_IJSE_SE_EEES9_SG_JZNS1_25segmented_radix_sort_implINS0_14default_configELb1EPKbPbPKlPlN2at6native12_GLOBAL__N_18offset_tEEE10hipError_tPvRmT1_PNSt15iterator_traitsISY_E10value_typeET2_T3_PNSZ_IS14_E10value_typeET4_jRbjT5_S1A_jjP12ihipStream_tbEUljE_EEESV_SW_SX_S14_S18_S1A_T6_T7_T9_mT8_S1C_bDpT10_ENKUlT_T0_E_clISt17integral_constantIbLb0EES1P_EEDaS1K_S1L_EUlS1K_E_NS1_11comp_targetILNS1_3genE2ELNS1_11target_archE906ELNS1_3gpuE6ELNS1_3repE0EEENS1_30default_config_static_selectorELNS0_4arch9wavefront6targetE0EEEvSY_,comdat
.Lfunc_end1504:
	.size	_ZN7rocprim17ROCPRIM_400000_NS6detail17trampoline_kernelINS0_13select_configILj256ELj13ELNS0_17block_load_methodE3ELS4_3ELS4_3ELNS0_20block_scan_algorithmE0ELj4294967295EEENS1_25partition_config_selectorILNS1_17partition_subalgoE3EjNS0_10empty_typeEbEEZZNS1_14partition_implILS8_3ELb0ES6_jNS0_17counting_iteratorIjlEEPS9_SE_NS0_5tupleIJPjSE_EEENSF_IJSE_SE_EEES9_SG_JZNS1_25segmented_radix_sort_implINS0_14default_configELb1EPKbPbPKlPlN2at6native12_GLOBAL__N_18offset_tEEE10hipError_tPvRmT1_PNSt15iterator_traitsISY_E10value_typeET2_T3_PNSZ_IS14_E10value_typeET4_jRbjT5_S1A_jjP12ihipStream_tbEUljE_EEESV_SW_SX_S14_S18_S1A_T6_T7_T9_mT8_S1C_bDpT10_ENKUlT_T0_E_clISt17integral_constantIbLb0EES1P_EEDaS1K_S1L_EUlS1K_E_NS1_11comp_targetILNS1_3genE2ELNS1_11target_archE906ELNS1_3gpuE6ELNS1_3repE0EEENS1_30default_config_static_selectorELNS0_4arch9wavefront6targetE0EEEvSY_, .Lfunc_end1504-_ZN7rocprim17ROCPRIM_400000_NS6detail17trampoline_kernelINS0_13select_configILj256ELj13ELNS0_17block_load_methodE3ELS4_3ELS4_3ELNS0_20block_scan_algorithmE0ELj4294967295EEENS1_25partition_config_selectorILNS1_17partition_subalgoE3EjNS0_10empty_typeEbEEZZNS1_14partition_implILS8_3ELb0ES6_jNS0_17counting_iteratorIjlEEPS9_SE_NS0_5tupleIJPjSE_EEENSF_IJSE_SE_EEES9_SG_JZNS1_25segmented_radix_sort_implINS0_14default_configELb1EPKbPbPKlPlN2at6native12_GLOBAL__N_18offset_tEEE10hipError_tPvRmT1_PNSt15iterator_traitsISY_E10value_typeET2_T3_PNSZ_IS14_E10value_typeET4_jRbjT5_S1A_jjP12ihipStream_tbEUljE_EEESV_SW_SX_S14_S18_S1A_T6_T7_T9_mT8_S1C_bDpT10_ENKUlT_T0_E_clISt17integral_constantIbLb0EES1P_EEDaS1K_S1L_EUlS1K_E_NS1_11comp_targetILNS1_3genE2ELNS1_11target_archE906ELNS1_3gpuE6ELNS1_3repE0EEENS1_30default_config_static_selectorELNS0_4arch9wavefront6targetE0EEEvSY_
                                        ; -- End function
	.section	.AMDGPU.csdata,"",@progbits
; Kernel info:
; codeLenInByte = 0
; NumSgprs: 0
; NumVgprs: 0
; ScratchSize: 0
; MemoryBound: 0
; FloatMode: 240
; IeeeMode: 1
; LDSByteSize: 0 bytes/workgroup (compile time only)
; SGPRBlocks: 0
; VGPRBlocks: 0
; NumSGPRsForWavesPerEU: 1
; NumVGPRsForWavesPerEU: 1
; Occupancy: 16
; WaveLimiterHint : 0
; COMPUTE_PGM_RSRC2:SCRATCH_EN: 0
; COMPUTE_PGM_RSRC2:USER_SGPR: 15
; COMPUTE_PGM_RSRC2:TRAP_HANDLER: 0
; COMPUTE_PGM_RSRC2:TGID_X_EN: 1
; COMPUTE_PGM_RSRC2:TGID_Y_EN: 0
; COMPUTE_PGM_RSRC2:TGID_Z_EN: 0
; COMPUTE_PGM_RSRC2:TIDIG_COMP_CNT: 0
	.section	.text._ZN7rocprim17ROCPRIM_400000_NS6detail17trampoline_kernelINS0_13select_configILj256ELj13ELNS0_17block_load_methodE3ELS4_3ELS4_3ELNS0_20block_scan_algorithmE0ELj4294967295EEENS1_25partition_config_selectorILNS1_17partition_subalgoE3EjNS0_10empty_typeEbEEZZNS1_14partition_implILS8_3ELb0ES6_jNS0_17counting_iteratorIjlEEPS9_SE_NS0_5tupleIJPjSE_EEENSF_IJSE_SE_EEES9_SG_JZNS1_25segmented_radix_sort_implINS0_14default_configELb1EPKbPbPKlPlN2at6native12_GLOBAL__N_18offset_tEEE10hipError_tPvRmT1_PNSt15iterator_traitsISY_E10value_typeET2_T3_PNSZ_IS14_E10value_typeET4_jRbjT5_S1A_jjP12ihipStream_tbEUljE_EEESV_SW_SX_S14_S18_S1A_T6_T7_T9_mT8_S1C_bDpT10_ENKUlT_T0_E_clISt17integral_constantIbLb0EES1P_EEDaS1K_S1L_EUlS1K_E_NS1_11comp_targetILNS1_3genE10ELNS1_11target_archE1200ELNS1_3gpuE4ELNS1_3repE0EEENS1_30default_config_static_selectorELNS0_4arch9wavefront6targetE0EEEvSY_,"axG",@progbits,_ZN7rocprim17ROCPRIM_400000_NS6detail17trampoline_kernelINS0_13select_configILj256ELj13ELNS0_17block_load_methodE3ELS4_3ELS4_3ELNS0_20block_scan_algorithmE0ELj4294967295EEENS1_25partition_config_selectorILNS1_17partition_subalgoE3EjNS0_10empty_typeEbEEZZNS1_14partition_implILS8_3ELb0ES6_jNS0_17counting_iteratorIjlEEPS9_SE_NS0_5tupleIJPjSE_EEENSF_IJSE_SE_EEES9_SG_JZNS1_25segmented_radix_sort_implINS0_14default_configELb1EPKbPbPKlPlN2at6native12_GLOBAL__N_18offset_tEEE10hipError_tPvRmT1_PNSt15iterator_traitsISY_E10value_typeET2_T3_PNSZ_IS14_E10value_typeET4_jRbjT5_S1A_jjP12ihipStream_tbEUljE_EEESV_SW_SX_S14_S18_S1A_T6_T7_T9_mT8_S1C_bDpT10_ENKUlT_T0_E_clISt17integral_constantIbLb0EES1P_EEDaS1K_S1L_EUlS1K_E_NS1_11comp_targetILNS1_3genE10ELNS1_11target_archE1200ELNS1_3gpuE4ELNS1_3repE0EEENS1_30default_config_static_selectorELNS0_4arch9wavefront6targetE0EEEvSY_,comdat
	.globl	_ZN7rocprim17ROCPRIM_400000_NS6detail17trampoline_kernelINS0_13select_configILj256ELj13ELNS0_17block_load_methodE3ELS4_3ELS4_3ELNS0_20block_scan_algorithmE0ELj4294967295EEENS1_25partition_config_selectorILNS1_17partition_subalgoE3EjNS0_10empty_typeEbEEZZNS1_14partition_implILS8_3ELb0ES6_jNS0_17counting_iteratorIjlEEPS9_SE_NS0_5tupleIJPjSE_EEENSF_IJSE_SE_EEES9_SG_JZNS1_25segmented_radix_sort_implINS0_14default_configELb1EPKbPbPKlPlN2at6native12_GLOBAL__N_18offset_tEEE10hipError_tPvRmT1_PNSt15iterator_traitsISY_E10value_typeET2_T3_PNSZ_IS14_E10value_typeET4_jRbjT5_S1A_jjP12ihipStream_tbEUljE_EEESV_SW_SX_S14_S18_S1A_T6_T7_T9_mT8_S1C_bDpT10_ENKUlT_T0_E_clISt17integral_constantIbLb0EES1P_EEDaS1K_S1L_EUlS1K_E_NS1_11comp_targetILNS1_3genE10ELNS1_11target_archE1200ELNS1_3gpuE4ELNS1_3repE0EEENS1_30default_config_static_selectorELNS0_4arch9wavefront6targetE0EEEvSY_ ; -- Begin function _ZN7rocprim17ROCPRIM_400000_NS6detail17trampoline_kernelINS0_13select_configILj256ELj13ELNS0_17block_load_methodE3ELS4_3ELS4_3ELNS0_20block_scan_algorithmE0ELj4294967295EEENS1_25partition_config_selectorILNS1_17partition_subalgoE3EjNS0_10empty_typeEbEEZZNS1_14partition_implILS8_3ELb0ES6_jNS0_17counting_iteratorIjlEEPS9_SE_NS0_5tupleIJPjSE_EEENSF_IJSE_SE_EEES9_SG_JZNS1_25segmented_radix_sort_implINS0_14default_configELb1EPKbPbPKlPlN2at6native12_GLOBAL__N_18offset_tEEE10hipError_tPvRmT1_PNSt15iterator_traitsISY_E10value_typeET2_T3_PNSZ_IS14_E10value_typeET4_jRbjT5_S1A_jjP12ihipStream_tbEUljE_EEESV_SW_SX_S14_S18_S1A_T6_T7_T9_mT8_S1C_bDpT10_ENKUlT_T0_E_clISt17integral_constantIbLb0EES1P_EEDaS1K_S1L_EUlS1K_E_NS1_11comp_targetILNS1_3genE10ELNS1_11target_archE1200ELNS1_3gpuE4ELNS1_3repE0EEENS1_30default_config_static_selectorELNS0_4arch9wavefront6targetE0EEEvSY_
	.p2align	8
	.type	_ZN7rocprim17ROCPRIM_400000_NS6detail17trampoline_kernelINS0_13select_configILj256ELj13ELNS0_17block_load_methodE3ELS4_3ELS4_3ELNS0_20block_scan_algorithmE0ELj4294967295EEENS1_25partition_config_selectorILNS1_17partition_subalgoE3EjNS0_10empty_typeEbEEZZNS1_14partition_implILS8_3ELb0ES6_jNS0_17counting_iteratorIjlEEPS9_SE_NS0_5tupleIJPjSE_EEENSF_IJSE_SE_EEES9_SG_JZNS1_25segmented_radix_sort_implINS0_14default_configELb1EPKbPbPKlPlN2at6native12_GLOBAL__N_18offset_tEEE10hipError_tPvRmT1_PNSt15iterator_traitsISY_E10value_typeET2_T3_PNSZ_IS14_E10value_typeET4_jRbjT5_S1A_jjP12ihipStream_tbEUljE_EEESV_SW_SX_S14_S18_S1A_T6_T7_T9_mT8_S1C_bDpT10_ENKUlT_T0_E_clISt17integral_constantIbLb0EES1P_EEDaS1K_S1L_EUlS1K_E_NS1_11comp_targetILNS1_3genE10ELNS1_11target_archE1200ELNS1_3gpuE4ELNS1_3repE0EEENS1_30default_config_static_selectorELNS0_4arch9wavefront6targetE0EEEvSY_,@function
_ZN7rocprim17ROCPRIM_400000_NS6detail17trampoline_kernelINS0_13select_configILj256ELj13ELNS0_17block_load_methodE3ELS4_3ELS4_3ELNS0_20block_scan_algorithmE0ELj4294967295EEENS1_25partition_config_selectorILNS1_17partition_subalgoE3EjNS0_10empty_typeEbEEZZNS1_14partition_implILS8_3ELb0ES6_jNS0_17counting_iteratorIjlEEPS9_SE_NS0_5tupleIJPjSE_EEENSF_IJSE_SE_EEES9_SG_JZNS1_25segmented_radix_sort_implINS0_14default_configELb1EPKbPbPKlPlN2at6native12_GLOBAL__N_18offset_tEEE10hipError_tPvRmT1_PNSt15iterator_traitsISY_E10value_typeET2_T3_PNSZ_IS14_E10value_typeET4_jRbjT5_S1A_jjP12ihipStream_tbEUljE_EEESV_SW_SX_S14_S18_S1A_T6_T7_T9_mT8_S1C_bDpT10_ENKUlT_T0_E_clISt17integral_constantIbLb0EES1P_EEDaS1K_S1L_EUlS1K_E_NS1_11comp_targetILNS1_3genE10ELNS1_11target_archE1200ELNS1_3gpuE4ELNS1_3repE0EEENS1_30default_config_static_selectorELNS0_4arch9wavefront6targetE0EEEvSY_: ; @_ZN7rocprim17ROCPRIM_400000_NS6detail17trampoline_kernelINS0_13select_configILj256ELj13ELNS0_17block_load_methodE3ELS4_3ELS4_3ELNS0_20block_scan_algorithmE0ELj4294967295EEENS1_25partition_config_selectorILNS1_17partition_subalgoE3EjNS0_10empty_typeEbEEZZNS1_14partition_implILS8_3ELb0ES6_jNS0_17counting_iteratorIjlEEPS9_SE_NS0_5tupleIJPjSE_EEENSF_IJSE_SE_EEES9_SG_JZNS1_25segmented_radix_sort_implINS0_14default_configELb1EPKbPbPKlPlN2at6native12_GLOBAL__N_18offset_tEEE10hipError_tPvRmT1_PNSt15iterator_traitsISY_E10value_typeET2_T3_PNSZ_IS14_E10value_typeET4_jRbjT5_S1A_jjP12ihipStream_tbEUljE_EEESV_SW_SX_S14_S18_S1A_T6_T7_T9_mT8_S1C_bDpT10_ENKUlT_T0_E_clISt17integral_constantIbLb0EES1P_EEDaS1K_S1L_EUlS1K_E_NS1_11comp_targetILNS1_3genE10ELNS1_11target_archE1200ELNS1_3gpuE4ELNS1_3repE0EEENS1_30default_config_static_selectorELNS0_4arch9wavefront6targetE0EEEvSY_
; %bb.0:
	.section	.rodata,"a",@progbits
	.p2align	6, 0x0
	.amdhsa_kernel _ZN7rocprim17ROCPRIM_400000_NS6detail17trampoline_kernelINS0_13select_configILj256ELj13ELNS0_17block_load_methodE3ELS4_3ELS4_3ELNS0_20block_scan_algorithmE0ELj4294967295EEENS1_25partition_config_selectorILNS1_17partition_subalgoE3EjNS0_10empty_typeEbEEZZNS1_14partition_implILS8_3ELb0ES6_jNS0_17counting_iteratorIjlEEPS9_SE_NS0_5tupleIJPjSE_EEENSF_IJSE_SE_EEES9_SG_JZNS1_25segmented_radix_sort_implINS0_14default_configELb1EPKbPbPKlPlN2at6native12_GLOBAL__N_18offset_tEEE10hipError_tPvRmT1_PNSt15iterator_traitsISY_E10value_typeET2_T3_PNSZ_IS14_E10value_typeET4_jRbjT5_S1A_jjP12ihipStream_tbEUljE_EEESV_SW_SX_S14_S18_S1A_T6_T7_T9_mT8_S1C_bDpT10_ENKUlT_T0_E_clISt17integral_constantIbLb0EES1P_EEDaS1K_S1L_EUlS1K_E_NS1_11comp_targetILNS1_3genE10ELNS1_11target_archE1200ELNS1_3gpuE4ELNS1_3repE0EEENS1_30default_config_static_selectorELNS0_4arch9wavefront6targetE0EEEvSY_
		.amdhsa_group_segment_fixed_size 0
		.amdhsa_private_segment_fixed_size 0
		.amdhsa_kernarg_size 144
		.amdhsa_user_sgpr_count 15
		.amdhsa_user_sgpr_dispatch_ptr 0
		.amdhsa_user_sgpr_queue_ptr 0
		.amdhsa_user_sgpr_kernarg_segment_ptr 1
		.amdhsa_user_sgpr_dispatch_id 0
		.amdhsa_user_sgpr_private_segment_size 0
		.amdhsa_wavefront_size32 1
		.amdhsa_uses_dynamic_stack 0
		.amdhsa_enable_private_segment 0
		.amdhsa_system_sgpr_workgroup_id_x 1
		.amdhsa_system_sgpr_workgroup_id_y 0
		.amdhsa_system_sgpr_workgroup_id_z 0
		.amdhsa_system_sgpr_workgroup_info 0
		.amdhsa_system_vgpr_workitem_id 0
		.amdhsa_next_free_vgpr 1
		.amdhsa_next_free_sgpr 1
		.amdhsa_reserve_vcc 0
		.amdhsa_float_round_mode_32 0
		.amdhsa_float_round_mode_16_64 0
		.amdhsa_float_denorm_mode_32 3
		.amdhsa_float_denorm_mode_16_64 3
		.amdhsa_dx10_clamp 1
		.amdhsa_ieee_mode 1
		.amdhsa_fp16_overflow 0
		.amdhsa_workgroup_processor_mode 1
		.amdhsa_memory_ordered 1
		.amdhsa_forward_progress 0
		.amdhsa_shared_vgpr_count 0
		.amdhsa_exception_fp_ieee_invalid_op 0
		.amdhsa_exception_fp_denorm_src 0
		.amdhsa_exception_fp_ieee_div_zero 0
		.amdhsa_exception_fp_ieee_overflow 0
		.amdhsa_exception_fp_ieee_underflow 0
		.amdhsa_exception_fp_ieee_inexact 0
		.amdhsa_exception_int_div_zero 0
	.end_amdhsa_kernel
	.section	.text._ZN7rocprim17ROCPRIM_400000_NS6detail17trampoline_kernelINS0_13select_configILj256ELj13ELNS0_17block_load_methodE3ELS4_3ELS4_3ELNS0_20block_scan_algorithmE0ELj4294967295EEENS1_25partition_config_selectorILNS1_17partition_subalgoE3EjNS0_10empty_typeEbEEZZNS1_14partition_implILS8_3ELb0ES6_jNS0_17counting_iteratorIjlEEPS9_SE_NS0_5tupleIJPjSE_EEENSF_IJSE_SE_EEES9_SG_JZNS1_25segmented_radix_sort_implINS0_14default_configELb1EPKbPbPKlPlN2at6native12_GLOBAL__N_18offset_tEEE10hipError_tPvRmT1_PNSt15iterator_traitsISY_E10value_typeET2_T3_PNSZ_IS14_E10value_typeET4_jRbjT5_S1A_jjP12ihipStream_tbEUljE_EEESV_SW_SX_S14_S18_S1A_T6_T7_T9_mT8_S1C_bDpT10_ENKUlT_T0_E_clISt17integral_constantIbLb0EES1P_EEDaS1K_S1L_EUlS1K_E_NS1_11comp_targetILNS1_3genE10ELNS1_11target_archE1200ELNS1_3gpuE4ELNS1_3repE0EEENS1_30default_config_static_selectorELNS0_4arch9wavefront6targetE0EEEvSY_,"axG",@progbits,_ZN7rocprim17ROCPRIM_400000_NS6detail17trampoline_kernelINS0_13select_configILj256ELj13ELNS0_17block_load_methodE3ELS4_3ELS4_3ELNS0_20block_scan_algorithmE0ELj4294967295EEENS1_25partition_config_selectorILNS1_17partition_subalgoE3EjNS0_10empty_typeEbEEZZNS1_14partition_implILS8_3ELb0ES6_jNS0_17counting_iteratorIjlEEPS9_SE_NS0_5tupleIJPjSE_EEENSF_IJSE_SE_EEES9_SG_JZNS1_25segmented_radix_sort_implINS0_14default_configELb1EPKbPbPKlPlN2at6native12_GLOBAL__N_18offset_tEEE10hipError_tPvRmT1_PNSt15iterator_traitsISY_E10value_typeET2_T3_PNSZ_IS14_E10value_typeET4_jRbjT5_S1A_jjP12ihipStream_tbEUljE_EEESV_SW_SX_S14_S18_S1A_T6_T7_T9_mT8_S1C_bDpT10_ENKUlT_T0_E_clISt17integral_constantIbLb0EES1P_EEDaS1K_S1L_EUlS1K_E_NS1_11comp_targetILNS1_3genE10ELNS1_11target_archE1200ELNS1_3gpuE4ELNS1_3repE0EEENS1_30default_config_static_selectorELNS0_4arch9wavefront6targetE0EEEvSY_,comdat
.Lfunc_end1505:
	.size	_ZN7rocprim17ROCPRIM_400000_NS6detail17trampoline_kernelINS0_13select_configILj256ELj13ELNS0_17block_load_methodE3ELS4_3ELS4_3ELNS0_20block_scan_algorithmE0ELj4294967295EEENS1_25partition_config_selectorILNS1_17partition_subalgoE3EjNS0_10empty_typeEbEEZZNS1_14partition_implILS8_3ELb0ES6_jNS0_17counting_iteratorIjlEEPS9_SE_NS0_5tupleIJPjSE_EEENSF_IJSE_SE_EEES9_SG_JZNS1_25segmented_radix_sort_implINS0_14default_configELb1EPKbPbPKlPlN2at6native12_GLOBAL__N_18offset_tEEE10hipError_tPvRmT1_PNSt15iterator_traitsISY_E10value_typeET2_T3_PNSZ_IS14_E10value_typeET4_jRbjT5_S1A_jjP12ihipStream_tbEUljE_EEESV_SW_SX_S14_S18_S1A_T6_T7_T9_mT8_S1C_bDpT10_ENKUlT_T0_E_clISt17integral_constantIbLb0EES1P_EEDaS1K_S1L_EUlS1K_E_NS1_11comp_targetILNS1_3genE10ELNS1_11target_archE1200ELNS1_3gpuE4ELNS1_3repE0EEENS1_30default_config_static_selectorELNS0_4arch9wavefront6targetE0EEEvSY_, .Lfunc_end1505-_ZN7rocprim17ROCPRIM_400000_NS6detail17trampoline_kernelINS0_13select_configILj256ELj13ELNS0_17block_load_methodE3ELS4_3ELS4_3ELNS0_20block_scan_algorithmE0ELj4294967295EEENS1_25partition_config_selectorILNS1_17partition_subalgoE3EjNS0_10empty_typeEbEEZZNS1_14partition_implILS8_3ELb0ES6_jNS0_17counting_iteratorIjlEEPS9_SE_NS0_5tupleIJPjSE_EEENSF_IJSE_SE_EEES9_SG_JZNS1_25segmented_radix_sort_implINS0_14default_configELb1EPKbPbPKlPlN2at6native12_GLOBAL__N_18offset_tEEE10hipError_tPvRmT1_PNSt15iterator_traitsISY_E10value_typeET2_T3_PNSZ_IS14_E10value_typeET4_jRbjT5_S1A_jjP12ihipStream_tbEUljE_EEESV_SW_SX_S14_S18_S1A_T6_T7_T9_mT8_S1C_bDpT10_ENKUlT_T0_E_clISt17integral_constantIbLb0EES1P_EEDaS1K_S1L_EUlS1K_E_NS1_11comp_targetILNS1_3genE10ELNS1_11target_archE1200ELNS1_3gpuE4ELNS1_3repE0EEENS1_30default_config_static_selectorELNS0_4arch9wavefront6targetE0EEEvSY_
                                        ; -- End function
	.section	.AMDGPU.csdata,"",@progbits
; Kernel info:
; codeLenInByte = 0
; NumSgprs: 0
; NumVgprs: 0
; ScratchSize: 0
; MemoryBound: 0
; FloatMode: 240
; IeeeMode: 1
; LDSByteSize: 0 bytes/workgroup (compile time only)
; SGPRBlocks: 0
; VGPRBlocks: 0
; NumSGPRsForWavesPerEU: 1
; NumVGPRsForWavesPerEU: 1
; Occupancy: 16
; WaveLimiterHint : 0
; COMPUTE_PGM_RSRC2:SCRATCH_EN: 0
; COMPUTE_PGM_RSRC2:USER_SGPR: 15
; COMPUTE_PGM_RSRC2:TRAP_HANDLER: 0
; COMPUTE_PGM_RSRC2:TGID_X_EN: 1
; COMPUTE_PGM_RSRC2:TGID_Y_EN: 0
; COMPUTE_PGM_RSRC2:TGID_Z_EN: 0
; COMPUTE_PGM_RSRC2:TIDIG_COMP_CNT: 0
	.section	.text._ZN7rocprim17ROCPRIM_400000_NS6detail17trampoline_kernelINS0_13select_configILj256ELj13ELNS0_17block_load_methodE3ELS4_3ELS4_3ELNS0_20block_scan_algorithmE0ELj4294967295EEENS1_25partition_config_selectorILNS1_17partition_subalgoE3EjNS0_10empty_typeEbEEZZNS1_14partition_implILS8_3ELb0ES6_jNS0_17counting_iteratorIjlEEPS9_SE_NS0_5tupleIJPjSE_EEENSF_IJSE_SE_EEES9_SG_JZNS1_25segmented_radix_sort_implINS0_14default_configELb1EPKbPbPKlPlN2at6native12_GLOBAL__N_18offset_tEEE10hipError_tPvRmT1_PNSt15iterator_traitsISY_E10value_typeET2_T3_PNSZ_IS14_E10value_typeET4_jRbjT5_S1A_jjP12ihipStream_tbEUljE_EEESV_SW_SX_S14_S18_S1A_T6_T7_T9_mT8_S1C_bDpT10_ENKUlT_T0_E_clISt17integral_constantIbLb0EES1P_EEDaS1K_S1L_EUlS1K_E_NS1_11comp_targetILNS1_3genE9ELNS1_11target_archE1100ELNS1_3gpuE3ELNS1_3repE0EEENS1_30default_config_static_selectorELNS0_4arch9wavefront6targetE0EEEvSY_,"axG",@progbits,_ZN7rocprim17ROCPRIM_400000_NS6detail17trampoline_kernelINS0_13select_configILj256ELj13ELNS0_17block_load_methodE3ELS4_3ELS4_3ELNS0_20block_scan_algorithmE0ELj4294967295EEENS1_25partition_config_selectorILNS1_17partition_subalgoE3EjNS0_10empty_typeEbEEZZNS1_14partition_implILS8_3ELb0ES6_jNS0_17counting_iteratorIjlEEPS9_SE_NS0_5tupleIJPjSE_EEENSF_IJSE_SE_EEES9_SG_JZNS1_25segmented_radix_sort_implINS0_14default_configELb1EPKbPbPKlPlN2at6native12_GLOBAL__N_18offset_tEEE10hipError_tPvRmT1_PNSt15iterator_traitsISY_E10value_typeET2_T3_PNSZ_IS14_E10value_typeET4_jRbjT5_S1A_jjP12ihipStream_tbEUljE_EEESV_SW_SX_S14_S18_S1A_T6_T7_T9_mT8_S1C_bDpT10_ENKUlT_T0_E_clISt17integral_constantIbLb0EES1P_EEDaS1K_S1L_EUlS1K_E_NS1_11comp_targetILNS1_3genE9ELNS1_11target_archE1100ELNS1_3gpuE3ELNS1_3repE0EEENS1_30default_config_static_selectorELNS0_4arch9wavefront6targetE0EEEvSY_,comdat
	.globl	_ZN7rocprim17ROCPRIM_400000_NS6detail17trampoline_kernelINS0_13select_configILj256ELj13ELNS0_17block_load_methodE3ELS4_3ELS4_3ELNS0_20block_scan_algorithmE0ELj4294967295EEENS1_25partition_config_selectorILNS1_17partition_subalgoE3EjNS0_10empty_typeEbEEZZNS1_14partition_implILS8_3ELb0ES6_jNS0_17counting_iteratorIjlEEPS9_SE_NS0_5tupleIJPjSE_EEENSF_IJSE_SE_EEES9_SG_JZNS1_25segmented_radix_sort_implINS0_14default_configELb1EPKbPbPKlPlN2at6native12_GLOBAL__N_18offset_tEEE10hipError_tPvRmT1_PNSt15iterator_traitsISY_E10value_typeET2_T3_PNSZ_IS14_E10value_typeET4_jRbjT5_S1A_jjP12ihipStream_tbEUljE_EEESV_SW_SX_S14_S18_S1A_T6_T7_T9_mT8_S1C_bDpT10_ENKUlT_T0_E_clISt17integral_constantIbLb0EES1P_EEDaS1K_S1L_EUlS1K_E_NS1_11comp_targetILNS1_3genE9ELNS1_11target_archE1100ELNS1_3gpuE3ELNS1_3repE0EEENS1_30default_config_static_selectorELNS0_4arch9wavefront6targetE0EEEvSY_ ; -- Begin function _ZN7rocprim17ROCPRIM_400000_NS6detail17trampoline_kernelINS0_13select_configILj256ELj13ELNS0_17block_load_methodE3ELS4_3ELS4_3ELNS0_20block_scan_algorithmE0ELj4294967295EEENS1_25partition_config_selectorILNS1_17partition_subalgoE3EjNS0_10empty_typeEbEEZZNS1_14partition_implILS8_3ELb0ES6_jNS0_17counting_iteratorIjlEEPS9_SE_NS0_5tupleIJPjSE_EEENSF_IJSE_SE_EEES9_SG_JZNS1_25segmented_radix_sort_implINS0_14default_configELb1EPKbPbPKlPlN2at6native12_GLOBAL__N_18offset_tEEE10hipError_tPvRmT1_PNSt15iterator_traitsISY_E10value_typeET2_T3_PNSZ_IS14_E10value_typeET4_jRbjT5_S1A_jjP12ihipStream_tbEUljE_EEESV_SW_SX_S14_S18_S1A_T6_T7_T9_mT8_S1C_bDpT10_ENKUlT_T0_E_clISt17integral_constantIbLb0EES1P_EEDaS1K_S1L_EUlS1K_E_NS1_11comp_targetILNS1_3genE9ELNS1_11target_archE1100ELNS1_3gpuE3ELNS1_3repE0EEENS1_30default_config_static_selectorELNS0_4arch9wavefront6targetE0EEEvSY_
	.p2align	8
	.type	_ZN7rocprim17ROCPRIM_400000_NS6detail17trampoline_kernelINS0_13select_configILj256ELj13ELNS0_17block_load_methodE3ELS4_3ELS4_3ELNS0_20block_scan_algorithmE0ELj4294967295EEENS1_25partition_config_selectorILNS1_17partition_subalgoE3EjNS0_10empty_typeEbEEZZNS1_14partition_implILS8_3ELb0ES6_jNS0_17counting_iteratorIjlEEPS9_SE_NS0_5tupleIJPjSE_EEENSF_IJSE_SE_EEES9_SG_JZNS1_25segmented_radix_sort_implINS0_14default_configELb1EPKbPbPKlPlN2at6native12_GLOBAL__N_18offset_tEEE10hipError_tPvRmT1_PNSt15iterator_traitsISY_E10value_typeET2_T3_PNSZ_IS14_E10value_typeET4_jRbjT5_S1A_jjP12ihipStream_tbEUljE_EEESV_SW_SX_S14_S18_S1A_T6_T7_T9_mT8_S1C_bDpT10_ENKUlT_T0_E_clISt17integral_constantIbLb0EES1P_EEDaS1K_S1L_EUlS1K_E_NS1_11comp_targetILNS1_3genE9ELNS1_11target_archE1100ELNS1_3gpuE3ELNS1_3repE0EEENS1_30default_config_static_selectorELNS0_4arch9wavefront6targetE0EEEvSY_,@function
_ZN7rocprim17ROCPRIM_400000_NS6detail17trampoline_kernelINS0_13select_configILj256ELj13ELNS0_17block_load_methodE3ELS4_3ELS4_3ELNS0_20block_scan_algorithmE0ELj4294967295EEENS1_25partition_config_selectorILNS1_17partition_subalgoE3EjNS0_10empty_typeEbEEZZNS1_14partition_implILS8_3ELb0ES6_jNS0_17counting_iteratorIjlEEPS9_SE_NS0_5tupleIJPjSE_EEENSF_IJSE_SE_EEES9_SG_JZNS1_25segmented_radix_sort_implINS0_14default_configELb1EPKbPbPKlPlN2at6native12_GLOBAL__N_18offset_tEEE10hipError_tPvRmT1_PNSt15iterator_traitsISY_E10value_typeET2_T3_PNSZ_IS14_E10value_typeET4_jRbjT5_S1A_jjP12ihipStream_tbEUljE_EEESV_SW_SX_S14_S18_S1A_T6_T7_T9_mT8_S1C_bDpT10_ENKUlT_T0_E_clISt17integral_constantIbLb0EES1P_EEDaS1K_S1L_EUlS1K_E_NS1_11comp_targetILNS1_3genE9ELNS1_11target_archE1100ELNS1_3gpuE3ELNS1_3repE0EEENS1_30default_config_static_selectorELNS0_4arch9wavefront6targetE0EEEvSY_: ; @_ZN7rocprim17ROCPRIM_400000_NS6detail17trampoline_kernelINS0_13select_configILj256ELj13ELNS0_17block_load_methodE3ELS4_3ELS4_3ELNS0_20block_scan_algorithmE0ELj4294967295EEENS1_25partition_config_selectorILNS1_17partition_subalgoE3EjNS0_10empty_typeEbEEZZNS1_14partition_implILS8_3ELb0ES6_jNS0_17counting_iteratorIjlEEPS9_SE_NS0_5tupleIJPjSE_EEENSF_IJSE_SE_EEES9_SG_JZNS1_25segmented_radix_sort_implINS0_14default_configELb1EPKbPbPKlPlN2at6native12_GLOBAL__N_18offset_tEEE10hipError_tPvRmT1_PNSt15iterator_traitsISY_E10value_typeET2_T3_PNSZ_IS14_E10value_typeET4_jRbjT5_S1A_jjP12ihipStream_tbEUljE_EEESV_SW_SX_S14_S18_S1A_T6_T7_T9_mT8_S1C_bDpT10_ENKUlT_T0_E_clISt17integral_constantIbLb0EES1P_EEDaS1K_S1L_EUlS1K_E_NS1_11comp_targetILNS1_3genE9ELNS1_11target_archE1100ELNS1_3gpuE3ELNS1_3repE0EEENS1_30default_config_static_selectorELNS0_4arch9wavefront6targetE0EEEvSY_
; %bb.0:
	s_clause 0x5
	s_load_b32 s2, s[0:1], 0x70
	s_load_b64 s[16:17], s[0:1], 0x10
	s_load_b64 s[12:13], s[0:1], 0x58
	s_load_b32 s18, s[0:1], 0x8
	s_load_b128 s[8:11], s[0:1], 0x48
	s_load_b128 s[4:7], s[0:1], 0x78
	s_mul_i32 s23, s15, 0xd00
	v_lshlrev_b32_e32 v30, 2, v0
	s_waitcnt lgkmcnt(0)
	s_mul_i32 s20, s2, 0xd00
	s_add_i32 s19, s2, -1
	s_add_u32 s2, s16, s20
	s_addc_u32 s3, s17, 0
	s_cmp_eq_u32 s15, s19
	v_cmp_lt_u64_e64 s3, s[2:3], s[12:13]
	s_cselect_b32 s14, -1, 0
	s_cmp_lg_u32 s15, s19
	s_cselect_b32 s21, -1, 0
	s_add_i32 s2, s18, s23
	s_delay_alu instid0(VALU_DEP_1)
	s_or_b32 s3, s21, s3
	s_add_i32 s18, s2, s16
	s_load_b32 s2, s[0:1], 0x88
	v_add_nc_u32_e32 v1, s18, v0
	s_load_b64 s[18:19], s[10:11], 0x0
	s_and_b32 vcc_lo, exec_lo, s3
	s_mov_b32 s10, -1
	s_delay_alu instid0(VALU_DEP_1)
	v_add_nc_u32_e32 v2, 0x100, v1
	v_add_nc_u32_e32 v3, 0x200, v1
	v_add_nc_u32_e32 v4, 0x300, v1
	v_add_nc_u32_e32 v5, 0x400, v1
	v_add_nc_u32_e32 v6, 0x500, v1
	v_add_nc_u32_e32 v7, 0x600, v1
	v_add_nc_u32_e32 v8, 0x700, v1
	v_add_nc_u32_e32 v9, 0x800, v1
	v_add_nc_u32_e32 v10, 0x900, v1
	v_add_nc_u32_e32 v11, 0xa00, v1
	v_add_nc_u32_e32 v12, 0xb00, v1
	v_add_nc_u32_e32 v13, 0xc00, v1
	s_cbranch_vccz .LBB1506_2
; %bb.1:
	ds_store_2addr_stride64_b32 v30, v1, v2 offset1:4
	ds_store_2addr_stride64_b32 v30, v3, v4 offset0:8 offset1:12
	ds_store_2addr_stride64_b32 v30, v5, v6 offset0:16 offset1:20
	;; [unrolled: 1-line block ×5, first 2 shown]
	ds_store_b32 v30, v13 offset:12288
	s_waitcnt lgkmcnt(0)
	s_mov_b32 s10, 0
	s_barrier
.LBB1506_2:
	s_and_not1_b32 vcc_lo, exec_lo, s10
	s_add_i32 s20, s20, s16
	s_cbranch_vccnz .LBB1506_4
; %bb.3:
	ds_store_2addr_stride64_b32 v30, v1, v2 offset1:4
	ds_store_2addr_stride64_b32 v30, v3, v4 offset0:8 offset1:12
	ds_store_2addr_stride64_b32 v30, v5, v6 offset0:16 offset1:20
	;; [unrolled: 1-line block ×5, first 2 shown]
	ds_store_b32 v30, v13 offset:12288
	s_waitcnt lgkmcnt(0)
	s_barrier
.LBB1506_4:
	v_mul_u32_u24_e32 v33, 13, v0
	s_waitcnt lgkmcnt(0)
	buffer_gl0_inv
	v_cndmask_b32_e64 v31, 0, 1, s3
	s_sub_i32 s22, s12, s20
	s_and_not1_b32 vcc_lo, exec_lo, s3
	v_lshlrev_b32_e32 v1, 2, v33
	ds_load_2addr_b32 v[28:29], v1 offset1:1
	ds_load_2addr_b32 v[26:27], v1 offset0:2 offset1:3
	ds_load_2addr_b32 v[24:25], v1 offset0:4 offset1:5
	ds_load_2addr_b32 v[22:23], v1 offset0:6 offset1:7
	ds_load_2addr_b32 v[20:21], v1 offset0:8 offset1:9
	ds_load_2addr_b32 v[18:19], v1 offset0:10 offset1:11
	ds_load_b32 v32, v1 offset:48
	s_waitcnt lgkmcnt(0)
	s_barrier
	buffer_gl0_inv
	s_cbranch_vccnz .LBB1506_6
; %bb.5:
	v_add_nc_u32_e32 v1, s5, v28
	v_add_nc_u32_e32 v2, s7, v28
	;; [unrolled: 1-line block ×5, first 2 shown]
	v_mul_lo_u32 v1, v1, s4
	v_mul_lo_u32 v2, v2, s6
	;; [unrolled: 1-line block ×4, first 2 shown]
	v_add_nc_u32_e32 v6, s7, v26
	v_add_nc_u32_e32 v7, s5, v27
	;; [unrolled: 1-line block ×3, first 2 shown]
	v_mul_lo_u32 v5, v5, s4
	v_add_nc_u32_e32 v9, s5, v22
	v_sub_nc_u32_e32 v1, v1, v2
	v_mul_lo_u32 v2, v6, s6
	v_sub_nc_u32_e32 v3, v3, v4
	v_mul_lo_u32 v4, v7, s4
	v_mul_lo_u32 v6, v8, s6
	v_add_nc_u32_e32 v7, s5, v24
	v_cmp_lt_u32_e32 vcc_lo, s2, v1
	v_add_nc_u32_e32 v8, s5, v25
	v_add_nc_u32_e32 v10, s7, v22
	v_sub_nc_u32_e32 v2, v5, v2
	v_add_nc_u32_e32 v5, s7, v24
	v_cndmask_b32_e64 v1, 0, 1, vcc_lo
	v_sub_nc_u32_e32 v4, v4, v6
	v_mul_lo_u32 v6, v7, s4
	v_add_nc_u32_e32 v7, s7, v25
	v_cmp_lt_u32_e32 vcc_lo, s2, v3
	v_mul_lo_u32 v5, v5, s6
	v_mul_lo_u32 v8, v8, s4
	;; [unrolled: 1-line block ×4, first 2 shown]
	v_cndmask_b32_e64 v3, 0, 1, vcc_lo
	v_cmp_lt_u32_e32 vcc_lo, s2, v2
	v_mul_lo_u32 v10, v10, s6
	v_add_nc_u32_e32 v11, s5, v20
	v_sub_nc_u32_e32 v5, v6, v5
	v_add_nc_u32_e32 v12, s7, v20
	v_cndmask_b32_e64 v2, 0, 1, vcc_lo
	v_sub_nc_u32_e32 v6, v8, v7
	v_add_nc_u32_e32 v7, s5, v23
	v_add_nc_u32_e32 v8, s7, v23
	v_cmp_lt_u32_e32 vcc_lo, s2, v4
	v_sub_nc_u32_e32 v9, v9, v10
	v_mul_lo_u32 v10, v11, s4
	v_mul_lo_u32 v7, v7, s4
	;; [unrolled: 1-line block ×4, first 2 shown]
	v_cndmask_b32_e64 v4, 0, 1, vcc_lo
	v_cmp_lt_u32_e32 vcc_lo, s2, v5
	v_add_nc_u32_e32 v12, s5, v21
	v_add_nc_u32_e32 v13, s7, v18
	;; [unrolled: 1-line block ×4, first 2 shown]
	v_cndmask_b32_e64 v5, 0, 1, vcc_lo
	v_cmp_lt_u32_e32 vcc_lo, s2, v6
	v_sub_nc_u32_e32 v7, v7, v8
	v_sub_nc_u32_e32 v8, v10, v11
	v_add_nc_u32_e32 v11, s7, v21
	v_mul_lo_u32 v10, v12, s4
	v_cndmask_b32_e64 v6, 0, 1, vcc_lo
	v_cmp_lt_u32_e32 vcc_lo, s2, v9
	v_add_nc_u32_e32 v12, s5, v18
	v_mul_lo_u32 v11, v11, s6
	v_mul_lo_u32 v13, v13, s6
	;; [unrolled: 1-line block ×3, first 2 shown]
	v_cndmask_b32_e64 v9, 0, 1, vcc_lo
	v_cmp_lt_u32_e32 vcc_lo, s2, v7
	v_mul_lo_u32 v12, v12, s4
	v_mul_lo_u32 v15, v15, s6
	v_lshlrev_b16 v3, 8, v3
	v_sub_nc_u32_e32 v10, v10, v11
	v_cndmask_b32_e64 v7, 0, 1, vcc_lo
	v_cmp_lt_u32_e32 vcc_lo, s2, v8
	v_add_nc_u32_e32 v11, s5, v32
	v_or_b32_e32 v1, v1, v3
	v_sub_nc_u32_e32 v12, v12, v13
	v_sub_nc_u32_e32 v13, v14, v15
	v_cndmask_b32_e64 v8, 0, 1, vcc_lo
	v_cmp_lt_u32_e32 vcc_lo, s2, v10
	v_add_nc_u32_e32 v16, s7, v32
	v_mul_lo_u32 v11, v11, s4
	v_lshlrev_b16 v4, 8, v4
	v_lshlrev_b16 v6, 8, v6
	v_cndmask_b32_e64 v10, 0, 1, vcc_lo
	v_cmp_lt_u32_e32 vcc_lo, s2, v12
	v_mul_lo_u32 v14, v16, s6
	v_lshlrev_b16 v7, 8, v7
	v_or_b32_e32 v2, v2, v4
	v_lshlrev_b16 v10, 8, v10
	v_cndmask_b32_e64 v3, 0, 1, vcc_lo
	v_cmp_lt_u32_e32 vcc_lo, s2, v13
	v_or_b32_e32 v4, v5, v6
	v_or_b32_e32 v5, v9, v7
	v_sub_nc_u32_e32 v11, v11, v14
	v_or_b32_e32 v6, v8, v10
	v_cndmask_b32_e64 v12, 0, 1, vcc_lo
	v_and_b32_e32 v1, 0xffff, v1
	v_lshlrev_b32_e32 v2, 16, v2
	v_and_b32_e32 v4, 0xffff, v4
	v_lshlrev_b32_e32 v5, 16, v5
	v_lshlrev_b16 v12, 8, v12
	v_and_b32_e32 v6, 0xffff, v6
	v_cmp_lt_u32_e32 vcc_lo, s2, v11
	v_or_b32_e32 v39, v1, v2
	v_or_b32_e32 v37, v4, v5
	;; [unrolled: 1-line block ×3, first 2 shown]
	s_mov_b32 s3, 0
	v_cndmask_b32_e64 v34, 0, 1, vcc_lo
	s_delay_alu instid0(VALU_DEP_2) | instskip(NEXT) | instid1(VALU_DEP_1)
	v_lshlrev_b32_e32 v3, 16, v3
	v_or_b32_e32 v35, v6, v3
	s_branch .LBB1506_7
.LBB1506_6:
	s_mov_b32 s3, -1
                                        ; implicit-def: $vgpr34
                                        ; implicit-def: $vgpr35
                                        ; implicit-def: $vgpr37
                                        ; implicit-def: $vgpr39
.LBB1506_7:
	s_clause 0x1
	s_load_b64 s[10:11], s[0:1], 0x28
	s_load_b64 s[20:21], s[0:1], 0x68
	s_and_not1_b32 vcc_lo, exec_lo, s3
	s_addk_i32 s22, 0xd00
	s_cbranch_vccnz .LBB1506_35
; %bb.8:
	v_dual_mov_b32 v2, 0 :: v_dual_mov_b32 v1, 0
	s_mov_b32 s0, exec_lo
	v_cmpx_gt_u32_e64 s22, v33
; %bb.9:
	v_add_nc_u32_e32 v1, s5, v28
	v_add_nc_u32_e32 v3, s7, v28
	s_delay_alu instid0(VALU_DEP_2) | instskip(NEXT) | instid1(VALU_DEP_2)
	v_mul_lo_u32 v1, v1, s4
	v_mul_lo_u32 v3, v3, s6
	s_delay_alu instid0(VALU_DEP_1) | instskip(NEXT) | instid1(VALU_DEP_1)
	v_sub_nc_u32_e32 v1, v1, v3
	v_cmp_lt_u32_e32 vcc_lo, s2, v1
	v_cndmask_b32_e64 v1, 0, 1, vcc_lo
; %bb.10:
	s_or_b32 exec_lo, exec_lo, s0
	v_add_nc_u32_e32 v3, 1, v33
	s_mov_b32 s0, exec_lo
	s_delay_alu instid0(VALU_DEP_1)
	v_cmpx_gt_u32_e64 s22, v3
; %bb.11:
	v_add_nc_u32_e32 v2, s5, v29
	v_add_nc_u32_e32 v3, s7, v29
	s_delay_alu instid0(VALU_DEP_2) | instskip(NEXT) | instid1(VALU_DEP_2)
	v_mul_lo_u32 v2, v2, s4
	v_mul_lo_u32 v3, v3, s6
	s_delay_alu instid0(VALU_DEP_1) | instskip(NEXT) | instid1(VALU_DEP_1)
	v_sub_nc_u32_e32 v2, v2, v3
	v_cmp_lt_u32_e32 vcc_lo, s2, v2
	v_cndmask_b32_e64 v2, 0, 1, vcc_lo
; %bb.12:
	s_or_b32 exec_lo, exec_lo, s0
	v_dual_mov_b32 v4, 0 :: v_dual_add_nc_u32 v3, 2, v33
	s_delay_alu instid0(VALU_DEP_1)
	v_cmp_gt_u32_e32 vcc_lo, s22, v3
	v_mov_b32_e32 v3, 0
	s_and_saveexec_b32 s0, vcc_lo
; %bb.13:
	v_add_nc_u32_e32 v3, s5, v26
	v_add_nc_u32_e32 v5, s7, v26
	s_delay_alu instid0(VALU_DEP_2) | instskip(NEXT) | instid1(VALU_DEP_2)
	v_mul_lo_u32 v3, v3, s4
	v_mul_lo_u32 v5, v5, s6
	s_delay_alu instid0(VALU_DEP_1) | instskip(NEXT) | instid1(VALU_DEP_1)
	v_sub_nc_u32_e32 v3, v3, v5
	v_cmp_lt_u32_e32 vcc_lo, s2, v3
	v_cndmask_b32_e64 v3, 0, 1, vcc_lo
; %bb.14:
	s_or_b32 exec_lo, exec_lo, s0
	v_add_nc_u32_e32 v5, 3, v33
	s_mov_b32 s0, exec_lo
	s_delay_alu instid0(VALU_DEP_1)
	v_cmpx_gt_u32_e64 s22, v5
; %bb.15:
	v_add_nc_u32_e32 v4, s5, v27
	v_add_nc_u32_e32 v5, s7, v27
	s_delay_alu instid0(VALU_DEP_2) | instskip(NEXT) | instid1(VALU_DEP_2)
	v_mul_lo_u32 v4, v4, s4
	v_mul_lo_u32 v5, v5, s6
	s_delay_alu instid0(VALU_DEP_1) | instskip(NEXT) | instid1(VALU_DEP_1)
	v_sub_nc_u32_e32 v4, v4, v5
	v_cmp_lt_u32_e32 vcc_lo, s2, v4
	v_cndmask_b32_e64 v4, 0, 1, vcc_lo
; %bb.16:
	s_or_b32 exec_lo, exec_lo, s0
	v_dual_mov_b32 v6, 0 :: v_dual_add_nc_u32 v5, 4, v33
	s_delay_alu instid0(VALU_DEP_1)
	v_cmp_gt_u32_e32 vcc_lo, s22, v5
	v_mov_b32_e32 v5, 0
	s_and_saveexec_b32 s0, vcc_lo
	;; [unrolled: 33-line block ×5, first 2 shown]
; %bb.29:
	v_add_nc_u32_e32 v11, s5, v18
	v_add_nc_u32_e32 v13, s7, v18
	s_delay_alu instid0(VALU_DEP_2) | instskip(NEXT) | instid1(VALU_DEP_2)
	v_mul_lo_u32 v11, v11, s4
	v_mul_lo_u32 v13, v13, s6
	s_delay_alu instid0(VALU_DEP_1) | instskip(NEXT) | instid1(VALU_DEP_1)
	v_sub_nc_u32_e32 v11, v11, v13
	v_cmp_lt_u32_e32 vcc_lo, s2, v11
	v_cndmask_b32_e64 v11, 0, 1, vcc_lo
; %bb.30:
	s_or_b32 exec_lo, exec_lo, s0
	v_add_nc_u32_e32 v13, 11, v33
	s_mov_b32 s0, exec_lo
	s_delay_alu instid0(VALU_DEP_1)
	v_cmpx_gt_u32_e64 s22, v13
; %bb.31:
	v_add_nc_u32_e32 v12, s5, v19
	v_add_nc_u32_e32 v13, s7, v19
	s_delay_alu instid0(VALU_DEP_2) | instskip(NEXT) | instid1(VALU_DEP_2)
	v_mul_lo_u32 v12, v12, s4
	v_mul_lo_u32 v13, v13, s6
	s_delay_alu instid0(VALU_DEP_1) | instskip(NEXT) | instid1(VALU_DEP_1)
	v_sub_nc_u32_e32 v12, v12, v13
	v_cmp_lt_u32_e32 vcc_lo, s2, v12
	v_cndmask_b32_e64 v12, 0, 1, vcc_lo
; %bb.32:
	s_or_b32 exec_lo, exec_lo, s0
	v_dual_mov_b32 v34, 0 :: v_dual_add_nc_u32 v13, 12, v33
	s_mov_b32 s0, exec_lo
	s_delay_alu instid0(VALU_DEP_1)
	v_cmpx_gt_u32_e64 s22, v13
; %bb.33:
	v_add_nc_u32_e32 v13, s5, v32
	v_add_nc_u32_e32 v14, s7, v32
	s_delay_alu instid0(VALU_DEP_2) | instskip(NEXT) | instid1(VALU_DEP_2)
	v_mul_lo_u32 v13, v13, s4
	v_mul_lo_u32 v14, v14, s6
	s_delay_alu instid0(VALU_DEP_1) | instskip(NEXT) | instid1(VALU_DEP_1)
	v_sub_nc_u32_e32 v13, v13, v14
	v_cmp_lt_u32_e32 vcc_lo, s2, v13
	v_cndmask_b32_e64 v34, 0, 1, vcc_lo
; %bb.34:
	s_or_b32 exec_lo, exec_lo, s0
	v_lshlrev_b16 v2, 8, v2
	v_lshlrev_b16 v4, 8, v4
	;; [unrolled: 1-line block ×5, first 2 shown]
	v_or_b32_e32 v1, v1, v2
	v_lshlrev_b16 v2, 8, v12
	v_or_b32_e32 v3, v3, v4
	v_or_b32_e32 v4, v5, v6
	;; [unrolled: 1-line block ×5, first 2 shown]
	v_and_b32_e32 v1, 0xffff, v1
	v_lshlrev_b32_e32 v3, 16, v3
	v_and_b32_e32 v4, 0xffff, v4
	v_lshlrev_b32_e32 v5, 16, v5
	;; [unrolled: 2-line block ×3, first 2 shown]
	v_or_b32_e32 v39, v1, v3
	s_delay_alu instid0(VALU_DEP_4) | instskip(NEXT) | instid1(VALU_DEP_3)
	v_or_b32_e32 v37, v4, v5
	v_or_b32_e32 v35, v6, v2
.LBB1506_35:
	s_delay_alu instid0(VALU_DEP_3)
	v_and_b32_e32 v41, 0xff, v39
	v_bfe_u32 v42, v39, 8, 8
	v_bfe_u32 v43, v39, 16, 8
	v_lshrrev_b32_e32 v40, 24, v39
	v_and_b32_e32 v44, 0xff, v37
	v_bfe_u32 v45, v37, 8, 8
	v_bfe_u32 v46, v37, 16, 8
	v_add3_u32 v1, v42, v41, v43
	v_lshrrev_b32_e32 v38, 24, v37
	v_and_b32_e32 v47, 0xff, v35
	v_bfe_u32 v48, v35, 8, 8
	v_mbcnt_lo_u32_b32 v50, -1, 0
	v_add3_u32 v1, v1, v40, v44
	v_bfe_u32 v49, v35, 16, 8
	v_lshrrev_b32_e32 v36, 24, v35
	v_and_b32_e32 v2, 0xff, v34
	v_and_b32_e32 v3, 15, v50
	v_add3_u32 v1, v1, v45, v46
	v_or_b32_e32 v4, 31, v0
	v_and_b32_e32 v5, 16, v50
	v_lshrrev_b32_e32 v51, 5, v0
	v_cmp_eq_u32_e64 s5, 0, v3
	v_add3_u32 v1, v1, v38, v47
	v_cmp_lt_u32_e64 s4, 1, v3
	v_cmp_lt_u32_e64 s3, 3, v3
	;; [unrolled: 1-line block ×3, first 2 shown]
	v_cmp_eq_u32_e64 s1, 0, v5
	v_add3_u32 v1, v1, v48, v49
	v_cmp_eq_u32_e64 s0, v4, v0
	s_cmp_lg_u32 s15, 0
	s_mov_b32 s6, -1
	s_delay_alu instid0(VALU_DEP_2)
	v_add3_u32 v52, v1, v36, v2
	s_cbranch_scc0 .LBB1506_61
; %bb.36:
	s_delay_alu instid0(VALU_DEP_1) | instskip(NEXT) | instid1(VALU_DEP_1)
	v_mov_b32_dpp v1, v52 row_shr:1 row_mask:0xf bank_mask:0xf
	v_cndmask_b32_e64 v1, v1, 0, s5
	s_delay_alu instid0(VALU_DEP_1) | instskip(NEXT) | instid1(VALU_DEP_1)
	v_add_nc_u32_e32 v1, v1, v52
	v_mov_b32_dpp v2, v1 row_shr:2 row_mask:0xf bank_mask:0xf
	s_delay_alu instid0(VALU_DEP_1) | instskip(NEXT) | instid1(VALU_DEP_1)
	v_cndmask_b32_e64 v2, 0, v2, s4
	v_add_nc_u32_e32 v1, v1, v2
	s_delay_alu instid0(VALU_DEP_1) | instskip(NEXT) | instid1(VALU_DEP_1)
	v_mov_b32_dpp v2, v1 row_shr:4 row_mask:0xf bank_mask:0xf
	v_cndmask_b32_e64 v2, 0, v2, s3
	s_delay_alu instid0(VALU_DEP_1) | instskip(NEXT) | instid1(VALU_DEP_1)
	v_add_nc_u32_e32 v1, v1, v2
	v_mov_b32_dpp v2, v1 row_shr:8 row_mask:0xf bank_mask:0xf
	s_delay_alu instid0(VALU_DEP_1) | instskip(NEXT) | instid1(VALU_DEP_1)
	v_cndmask_b32_e64 v2, 0, v2, s2
	v_add_nc_u32_e32 v1, v1, v2
	ds_swizzle_b32 v2, v1 offset:swizzle(BROADCAST,32,15)
	s_waitcnt lgkmcnt(0)
	v_cndmask_b32_e64 v2, v2, 0, s1
	s_delay_alu instid0(VALU_DEP_1)
	v_add_nc_u32_e32 v1, v1, v2
	s_and_saveexec_b32 s6, s0
	s_cbranch_execz .LBB1506_38
; %bb.37:
	v_lshlrev_b32_e32 v2, 2, v51
	ds_store_b32 v2, v1
.LBB1506_38:
	s_or_b32 exec_lo, exec_lo, s6
	s_delay_alu instid0(SALU_CYCLE_1)
	s_mov_b32 s6, exec_lo
	s_waitcnt lgkmcnt(0)
	s_barrier
	buffer_gl0_inv
	v_cmpx_gt_u32_e32 8, v0
	s_cbranch_execz .LBB1506_40
; %bb.39:
	ds_load_b32 v2, v30
	s_waitcnt lgkmcnt(0)
	v_mov_b32_dpp v4, v2 row_shr:1 row_mask:0xf bank_mask:0xf
	v_and_b32_e32 v3, 7, v50
	s_delay_alu instid0(VALU_DEP_1) | instskip(NEXT) | instid1(VALU_DEP_3)
	v_cmp_ne_u32_e32 vcc_lo, 0, v3
	v_cndmask_b32_e32 v4, 0, v4, vcc_lo
	v_cmp_lt_u32_e32 vcc_lo, 1, v3
	s_delay_alu instid0(VALU_DEP_2) | instskip(NEXT) | instid1(VALU_DEP_1)
	v_add_nc_u32_e32 v2, v4, v2
	v_mov_b32_dpp v4, v2 row_shr:2 row_mask:0xf bank_mask:0xf
	s_delay_alu instid0(VALU_DEP_1) | instskip(SKIP_1) | instid1(VALU_DEP_2)
	v_cndmask_b32_e32 v4, 0, v4, vcc_lo
	v_cmp_lt_u32_e32 vcc_lo, 3, v3
	v_add_nc_u32_e32 v2, v2, v4
	s_delay_alu instid0(VALU_DEP_1) | instskip(NEXT) | instid1(VALU_DEP_1)
	v_mov_b32_dpp v4, v2 row_shr:4 row_mask:0xf bank_mask:0xf
	v_cndmask_b32_e32 v3, 0, v4, vcc_lo
	s_delay_alu instid0(VALU_DEP_1)
	v_add_nc_u32_e32 v2, v2, v3
	ds_store_b32 v30, v2
.LBB1506_40:
	s_or_b32 exec_lo, exec_lo, s6
	v_cmp_gt_u32_e32 vcc_lo, 32, v0
	s_mov_b32 s7, exec_lo
	s_waitcnt lgkmcnt(0)
	s_barrier
	buffer_gl0_inv
                                        ; implicit-def: $vgpr8
	v_cmpx_lt_u32_e32 31, v0
	s_cbranch_execz .LBB1506_42
; %bb.41:
	v_lshl_add_u32 v2, v51, 2, -4
	ds_load_b32 v8, v2
	s_waitcnt lgkmcnt(0)
	v_add_nc_u32_e32 v1, v8, v1
.LBB1506_42:
	s_or_b32 exec_lo, exec_lo, s7
	v_add_nc_u32_e32 v2, -1, v50
	s_delay_alu instid0(VALU_DEP_1) | instskip(NEXT) | instid1(VALU_DEP_1)
	v_cmp_gt_i32_e64 s6, 0, v2
	v_cndmask_b32_e64 v2, v2, v50, s6
	v_cmp_eq_u32_e64 s6, 0, v50
	s_delay_alu instid0(VALU_DEP_2)
	v_lshlrev_b32_e32 v2, 2, v2
	ds_bpermute_b32 v9, v2, v1
	s_and_saveexec_b32 s7, vcc_lo
	s_cbranch_execz .LBB1506_60
; %bb.43:
	v_mov_b32_e32 v4, 0
	ds_load_b32 v1, v4 offset:28
	s_and_saveexec_b32 s24, s6
	s_cbranch_execz .LBB1506_45
; %bb.44:
	s_add_i32 s26, s15, 32
	s_mov_b32 s27, 0
	v_mov_b32_e32 v2, 1
	s_lshl_b64 s[26:27], s[26:27], 3
	s_delay_alu instid0(SALU_CYCLE_1)
	s_add_u32 s26, s20, s26
	s_addc_u32 s27, s21, s27
	s_waitcnt lgkmcnt(0)
	global_store_b64 v4, v[1:2], s[26:27]
.LBB1506_45:
	s_or_b32 exec_lo, exec_lo, s24
	v_xad_u32 v2, v50, -1, s15
	s_mov_b32 s25, 0
	s_mov_b32 s24, exec_lo
	s_delay_alu instid0(VALU_DEP_1) | instskip(NEXT) | instid1(VALU_DEP_1)
	v_add_nc_u32_e32 v3, 32, v2
	v_lshlrev_b64 v[3:4], 3, v[3:4]
	s_delay_alu instid0(VALU_DEP_1) | instskip(NEXT) | instid1(VALU_DEP_2)
	v_add_co_u32 v6, vcc_lo, s20, v3
	v_add_co_ci_u32_e32 v7, vcc_lo, s21, v4, vcc_lo
	global_load_b64 v[4:5], v[6:7], off glc
	s_waitcnt vmcnt(0)
	v_and_b32_e32 v3, 0xff, v5
	s_delay_alu instid0(VALU_DEP_1)
	v_cmpx_eq_u16_e32 0, v3
	s_cbranch_execz .LBB1506_48
.LBB1506_46:                            ; =>This Inner Loop Header: Depth=1
	global_load_b64 v[4:5], v[6:7], off glc
	s_waitcnt vmcnt(0)
	v_and_b32_e32 v3, 0xff, v5
	s_delay_alu instid0(VALU_DEP_1) | instskip(SKIP_1) | instid1(SALU_CYCLE_1)
	v_cmp_ne_u16_e32 vcc_lo, 0, v3
	s_or_b32 s25, vcc_lo, s25
	s_and_not1_b32 exec_lo, exec_lo, s25
	s_cbranch_execnz .LBB1506_46
; %bb.47:
	s_or_b32 exec_lo, exec_lo, s25
.LBB1506_48:
	s_delay_alu instid0(SALU_CYCLE_1)
	s_or_b32 exec_lo, exec_lo, s24
	v_cmp_ne_u32_e32 vcc_lo, 31, v50
	v_lshlrev_b32_e64 v11, v50, -1
	v_add_nc_u32_e32 v13, 2, v50
	v_add_nc_u32_e32 v16, 4, v50
	;; [unrolled: 1-line block ×3, first 2 shown]
	v_add_co_ci_u32_e32 v3, vcc_lo, 0, v50, vcc_lo
	v_add_nc_u32_e32 v55, 16, v50
	s_delay_alu instid0(VALU_DEP_2) | instskip(SKIP_2) | instid1(VALU_DEP_1)
	v_lshlrev_b32_e32 v10, 2, v3
	ds_bpermute_b32 v6, v10, v4
	v_and_b32_e32 v3, 0xff, v5
	v_cmp_eq_u16_e32 vcc_lo, 2, v3
	v_and_or_b32 v3, vcc_lo, v11, 0x80000000
	v_cmp_gt_u32_e32 vcc_lo, 30, v50
	s_delay_alu instid0(VALU_DEP_2) | instskip(SKIP_1) | instid1(VALU_DEP_2)
	v_ctz_i32_b32_e32 v3, v3
	v_cndmask_b32_e64 v7, 0, 1, vcc_lo
	v_cmp_lt_u32_e32 vcc_lo, v50, v3
	s_waitcnt lgkmcnt(0)
	s_delay_alu instid0(VALU_DEP_2) | instskip(NEXT) | instid1(VALU_DEP_1)
	v_dual_cndmask_b32 v6, 0, v6 :: v_dual_lshlrev_b32 v7, 1, v7
	v_add_lshl_u32 v12, v7, v50, 2
	v_cmp_gt_u32_e32 vcc_lo, 28, v50
	s_delay_alu instid0(VALU_DEP_3) | instskip(SKIP_4) | instid1(VALU_DEP_1)
	v_add_nc_u32_e32 v4, v6, v4
	v_cndmask_b32_e64 v7, 0, 1, vcc_lo
	v_cmp_le_u32_e32 vcc_lo, v13, v3
	ds_bpermute_b32 v6, v12, v4
	v_lshlrev_b32_e32 v7, 2, v7
	v_add_lshl_u32 v14, v7, v50, 2
	s_waitcnt lgkmcnt(0)
	v_cndmask_b32_e32 v6, 0, v6, vcc_lo
	v_cmp_gt_u32_e32 vcc_lo, 24, v50
	s_delay_alu instid0(VALU_DEP_2) | instskip(SKIP_4) | instid1(VALU_DEP_1)
	v_add_nc_u32_e32 v4, v4, v6
	v_cndmask_b32_e64 v7, 0, 1, vcc_lo
	v_cmp_le_u32_e32 vcc_lo, v16, v3
	ds_bpermute_b32 v6, v14, v4
	v_lshlrev_b32_e32 v7, 3, v7
	v_add_lshl_u32 v17, v7, v50, 2
	s_waitcnt lgkmcnt(0)
	v_cndmask_b32_e32 v6, 0, v6, vcc_lo
	v_cmp_gt_u32_e32 vcc_lo, 16, v50
	s_delay_alu instid0(VALU_DEP_2) | instskip(SKIP_4) | instid1(VALU_DEP_1)
	v_add_nc_u32_e32 v4, v4, v6
	v_cndmask_b32_e64 v7, 0, 1, vcc_lo
	v_cmp_le_u32_e32 vcc_lo, v53, v3
	ds_bpermute_b32 v6, v17, v4
	v_lshlrev_b32_e32 v7, 4, v7
	v_add_lshl_u32 v54, v7, v50, 2
	s_waitcnt lgkmcnt(0)
	v_cndmask_b32_e32 v6, 0, v6, vcc_lo
	v_cmp_le_u32_e32 vcc_lo, v55, v3
	s_delay_alu instid0(VALU_DEP_2) | instskip(SKIP_3) | instid1(VALU_DEP_1)
	v_add_nc_u32_e32 v4, v4, v6
	ds_bpermute_b32 v6, v54, v4
	s_waitcnt lgkmcnt(0)
	v_cndmask_b32_e32 v3, 0, v6, vcc_lo
	v_dual_mov_b32 v3, 0 :: v_dual_add_nc_u32 v4, v4, v3
	s_branch .LBB1506_50
.LBB1506_49:                            ;   in Loop: Header=BB1506_50 Depth=1
	s_or_b32 exec_lo, exec_lo, s24
	ds_bpermute_b32 v7, v10, v4
	v_and_b32_e32 v6, 0xff, v5
	v_subrev_nc_u32_e32 v2, 32, v2
	s_delay_alu instid0(VALU_DEP_2) | instskip(SKIP_1) | instid1(VALU_DEP_1)
	v_cmp_eq_u16_e32 vcc_lo, 2, v6
	v_and_or_b32 v6, vcc_lo, v11, 0x80000000
	v_ctz_i32_b32_e32 v6, v6
	s_delay_alu instid0(VALU_DEP_1) | instskip(SKIP_3) | instid1(VALU_DEP_2)
	v_cmp_lt_u32_e32 vcc_lo, v50, v6
	s_waitcnt lgkmcnt(0)
	v_cndmask_b32_e32 v7, 0, v7, vcc_lo
	v_cmp_le_u32_e32 vcc_lo, v13, v6
	v_add_nc_u32_e32 v4, v7, v4
	ds_bpermute_b32 v7, v12, v4
	s_waitcnt lgkmcnt(0)
	v_cndmask_b32_e32 v7, 0, v7, vcc_lo
	v_cmp_le_u32_e32 vcc_lo, v16, v6
	s_delay_alu instid0(VALU_DEP_2) | instskip(SKIP_4) | instid1(VALU_DEP_2)
	v_add_nc_u32_e32 v4, v4, v7
	ds_bpermute_b32 v7, v14, v4
	s_waitcnt lgkmcnt(0)
	v_cndmask_b32_e32 v7, 0, v7, vcc_lo
	v_cmp_le_u32_e32 vcc_lo, v53, v6
	v_add_nc_u32_e32 v4, v4, v7
	ds_bpermute_b32 v7, v17, v4
	s_waitcnt lgkmcnt(0)
	v_cndmask_b32_e32 v7, 0, v7, vcc_lo
	v_cmp_le_u32_e32 vcc_lo, v55, v6
	s_delay_alu instid0(VALU_DEP_2) | instskip(SKIP_3) | instid1(VALU_DEP_1)
	v_add_nc_u32_e32 v4, v4, v7
	ds_bpermute_b32 v7, v54, v4
	s_waitcnt lgkmcnt(0)
	v_cndmask_b32_e32 v6, 0, v7, vcc_lo
	v_add3_u32 v4, v6, v15, v4
.LBB1506_50:                            ; =>This Loop Header: Depth=1
                                        ;     Child Loop BB1506_53 Depth 2
	v_and_b32_e32 v5, 0xff, v5
	s_delay_alu instid0(VALU_DEP_2) | instskip(NEXT) | instid1(VALU_DEP_2)
	v_mov_b32_e32 v15, v4
	v_cmp_ne_u16_e32 vcc_lo, 2, v5
	v_cndmask_b32_e64 v5, 0, 1, vcc_lo
	;;#ASMSTART
	;;#ASMEND
	s_delay_alu instid0(VALU_DEP_1)
	v_cmp_ne_u32_e32 vcc_lo, 0, v5
	s_cmp_lg_u32 vcc_lo, exec_lo
	s_cbranch_scc1 .LBB1506_55
; %bb.51:                               ;   in Loop: Header=BB1506_50 Depth=1
	v_lshlrev_b64 v[4:5], 3, v[2:3]
	s_mov_b32 s24, exec_lo
	s_delay_alu instid0(VALU_DEP_1) | instskip(NEXT) | instid1(VALU_DEP_2)
	v_add_co_u32 v6, vcc_lo, s20, v4
	v_add_co_ci_u32_e32 v7, vcc_lo, s21, v5, vcc_lo
	global_load_b64 v[4:5], v[6:7], off glc
	s_waitcnt vmcnt(0)
	v_and_b32_e32 v56, 0xff, v5
	s_delay_alu instid0(VALU_DEP_1)
	v_cmpx_eq_u16_e32 0, v56
	s_cbranch_execz .LBB1506_49
; %bb.52:                               ;   in Loop: Header=BB1506_50 Depth=1
	s_mov_b32 s25, 0
.LBB1506_53:                            ;   Parent Loop BB1506_50 Depth=1
                                        ; =>  This Inner Loop Header: Depth=2
	global_load_b64 v[4:5], v[6:7], off glc
	s_waitcnt vmcnt(0)
	v_and_b32_e32 v56, 0xff, v5
	s_delay_alu instid0(VALU_DEP_1) | instskip(SKIP_1) | instid1(SALU_CYCLE_1)
	v_cmp_ne_u16_e32 vcc_lo, 0, v56
	s_or_b32 s25, vcc_lo, s25
	s_and_not1_b32 exec_lo, exec_lo, s25
	s_cbranch_execnz .LBB1506_53
; %bb.54:                               ;   in Loop: Header=BB1506_50 Depth=1
	s_or_b32 exec_lo, exec_lo, s25
	s_branch .LBB1506_49
.LBB1506_55:                            ;   in Loop: Header=BB1506_50 Depth=1
                                        ; implicit-def: $vgpr4
                                        ; implicit-def: $vgpr5
	s_cbranch_execz .LBB1506_50
; %bb.56:
	s_and_saveexec_b32 s24, s6
	s_cbranch_execz .LBB1506_58
; %bb.57:
	s_add_i32 s26, s15, 32
	s_mov_b32 s27, 0
	v_dual_mov_b32 v3, 2 :: v_dual_add_nc_u32 v2, v15, v1
	s_lshl_b64 s[26:27], s[26:27], 3
	v_mov_b32_e32 v4, 0
	v_add_nc_u32_e64 v5, 0x3400, 0
	s_add_u32 s26, s20, s26
	s_addc_u32 s27, s21, s27
	global_store_b64 v4, v[2:3], s[26:27]
	ds_store_2addr_b32 v5, v1, v15 offset1:2
.LBB1506_58:
	s_or_b32 exec_lo, exec_lo, s24
	v_cmp_eq_u32_e32 vcc_lo, 0, v0
	s_and_b32 exec_lo, exec_lo, vcc_lo
	s_cbranch_execz .LBB1506_60
; %bb.59:
	v_mov_b32_e32 v1, 0
	ds_store_b32 v1, v15 offset:28
.LBB1506_60:
	s_or_b32 exec_lo, exec_lo, s7
	s_waitcnt lgkmcnt(0)
	v_cndmask_b32_e64 v2, v9, v8, s6
	v_cmp_ne_u32_e32 vcc_lo, 0, v0
	v_mov_b32_e32 v1, 0
	s_waitcnt_vscnt null, 0x0
	s_barrier
	buffer_gl0_inv
	v_cndmask_b32_e32 v2, 0, v2, vcc_lo
	ds_load_b32 v1, v1 offset:28
	v_add_nc_u32_e64 v11, 0x3400, 0
	s_waitcnt lgkmcnt(0)
	s_barrier
	buffer_gl0_inv
	ds_load_2addr_b32 v[16:17], v11 offset1:2
	v_add_nc_u32_e32 v1, v1, v2
	s_delay_alu instid0(VALU_DEP_1) | instskip(NEXT) | instid1(VALU_DEP_1)
	v_add_nc_u32_e32 v2, v1, v41
	v_add_nc_u32_e32 v3, v2, v42
	s_delay_alu instid0(VALU_DEP_1) | instskip(NEXT) | instid1(VALU_DEP_1)
	v_add_nc_u32_e32 v4, v3, v43
	;; [unrolled: 3-line block ×6, first 2 shown]
	v_add_nc_u32_e32 v13, v12, v36
	s_branch .LBB1506_71
.LBB1506_61:
                                        ; implicit-def: $vgpr17
                                        ; implicit-def: $vgpr1_vgpr2_vgpr3_vgpr4_vgpr5_vgpr6_vgpr7_vgpr8_vgpr9_vgpr10_vgpr11_vgpr12_vgpr13_vgpr14_vgpr15_vgpr16
	s_and_b32 vcc_lo, exec_lo, s6
	s_cbranch_vccz .LBB1506_71
; %bb.62:
	s_delay_alu instid0(VALU_DEP_1) | instskip(NEXT) | instid1(VALU_DEP_1)
	v_mov_b32_dpp v1, v52 row_shr:1 row_mask:0xf bank_mask:0xf
	v_cndmask_b32_e64 v1, v1, 0, s5
	s_delay_alu instid0(VALU_DEP_1) | instskip(NEXT) | instid1(VALU_DEP_1)
	v_add_nc_u32_e32 v1, v1, v52
	v_mov_b32_dpp v2, v1 row_shr:2 row_mask:0xf bank_mask:0xf
	s_delay_alu instid0(VALU_DEP_1) | instskip(NEXT) | instid1(VALU_DEP_1)
	v_cndmask_b32_e64 v2, 0, v2, s4
	v_add_nc_u32_e32 v1, v1, v2
	s_delay_alu instid0(VALU_DEP_1) | instskip(NEXT) | instid1(VALU_DEP_1)
	v_mov_b32_dpp v2, v1 row_shr:4 row_mask:0xf bank_mask:0xf
	v_cndmask_b32_e64 v2, 0, v2, s3
	s_delay_alu instid0(VALU_DEP_1) | instskip(NEXT) | instid1(VALU_DEP_1)
	v_add_nc_u32_e32 v1, v1, v2
	v_mov_b32_dpp v2, v1 row_shr:8 row_mask:0xf bank_mask:0xf
	s_delay_alu instid0(VALU_DEP_1) | instskip(NEXT) | instid1(VALU_DEP_1)
	v_cndmask_b32_e64 v2, 0, v2, s2
	v_add_nc_u32_e32 v1, v1, v2
	ds_swizzle_b32 v2, v1 offset:swizzle(BROADCAST,32,15)
	s_waitcnt lgkmcnt(0)
	v_cndmask_b32_e64 v2, v2, 0, s1
	s_delay_alu instid0(VALU_DEP_1)
	v_add_nc_u32_e32 v1, v1, v2
	s_and_saveexec_b32 s1, s0
	s_cbranch_execz .LBB1506_64
; %bb.63:
	v_lshlrev_b32_e32 v2, 2, v51
	ds_store_b32 v2, v1
.LBB1506_64:
	s_or_b32 exec_lo, exec_lo, s1
	s_delay_alu instid0(SALU_CYCLE_1)
	s_mov_b32 s0, exec_lo
	s_waitcnt lgkmcnt(0)
	s_barrier
	buffer_gl0_inv
	v_cmpx_gt_u32_e32 8, v0
	s_cbranch_execz .LBB1506_66
; %bb.65:
	ds_load_b32 v2, v30
	s_waitcnt lgkmcnt(0)
	v_mov_b32_dpp v4, v2 row_shr:1 row_mask:0xf bank_mask:0xf
	v_and_b32_e32 v3, 7, v50
	s_delay_alu instid0(VALU_DEP_1) | instskip(NEXT) | instid1(VALU_DEP_3)
	v_cmp_ne_u32_e32 vcc_lo, 0, v3
	v_cndmask_b32_e32 v4, 0, v4, vcc_lo
	v_cmp_lt_u32_e32 vcc_lo, 1, v3
	s_delay_alu instid0(VALU_DEP_2) | instskip(NEXT) | instid1(VALU_DEP_1)
	v_add_nc_u32_e32 v2, v4, v2
	v_mov_b32_dpp v4, v2 row_shr:2 row_mask:0xf bank_mask:0xf
	s_delay_alu instid0(VALU_DEP_1) | instskip(SKIP_1) | instid1(VALU_DEP_2)
	v_cndmask_b32_e32 v4, 0, v4, vcc_lo
	v_cmp_lt_u32_e32 vcc_lo, 3, v3
	v_add_nc_u32_e32 v2, v2, v4
	s_delay_alu instid0(VALU_DEP_1) | instskip(NEXT) | instid1(VALU_DEP_1)
	v_mov_b32_dpp v4, v2 row_shr:4 row_mask:0xf bank_mask:0xf
	v_cndmask_b32_e32 v3, 0, v4, vcc_lo
	s_delay_alu instid0(VALU_DEP_1)
	v_add_nc_u32_e32 v2, v2, v3
	ds_store_b32 v30, v2
.LBB1506_66:
	s_or_b32 exec_lo, exec_lo, s0
	v_dual_mov_b32 v3, 0 :: v_dual_mov_b32 v2, 0
	s_mov_b32 s0, exec_lo
	s_waitcnt lgkmcnt(0)
	s_barrier
	buffer_gl0_inv
	v_cmpx_lt_u32_e32 31, v0
	s_cbranch_execz .LBB1506_68
; %bb.67:
	v_lshl_add_u32 v2, v51, 2, -4
	ds_load_b32 v2, v2
.LBB1506_68:
	s_or_b32 exec_lo, exec_lo, s0
	v_add_nc_u32_e32 v4, -1, v50
	ds_load_b32 v16, v3 offset:28
	s_waitcnt lgkmcnt(1)
	v_add_nc_u32_e32 v1, v2, v1
	v_cmp_gt_i32_e32 vcc_lo, 0, v4
	v_cndmask_b32_e32 v4, v4, v50, vcc_lo
	v_cmp_eq_u32_e32 vcc_lo, 0, v0
	s_delay_alu instid0(VALU_DEP_2)
	v_lshlrev_b32_e32 v4, 2, v4
	ds_bpermute_b32 v1, v4, v1
	s_and_saveexec_b32 s0, vcc_lo
	s_cbranch_execz .LBB1506_70
; %bb.69:
	v_mov_b32_e32 v3, 0
	v_mov_b32_e32 v17, 2
	s_waitcnt lgkmcnt(1)
	global_store_b64 v3, v[16:17], s[20:21] offset:256
.LBB1506_70:
	s_or_b32 exec_lo, exec_lo, s0
	v_cmp_eq_u32_e64 s0, 0, v50
	s_waitcnt lgkmcnt(0)
	s_waitcnt_vscnt null, 0x0
	s_barrier
	buffer_gl0_inv
	v_mov_b32_e32 v17, 0
	v_cndmask_b32_e64 v1, v1, v2, s0
	s_delay_alu instid0(VALU_DEP_1) | instskip(NEXT) | instid1(VALU_DEP_1)
	v_cndmask_b32_e64 v1, v1, 0, vcc_lo
	v_add_nc_u32_e32 v2, v1, v41
	s_delay_alu instid0(VALU_DEP_1) | instskip(NEXT) | instid1(VALU_DEP_1)
	v_add_nc_u32_e32 v3, v2, v42
	v_add_nc_u32_e32 v4, v3, v43
	s_delay_alu instid0(VALU_DEP_1) | instskip(NEXT) | instid1(VALU_DEP_1)
	v_add_nc_u32_e32 v5, v4, v40
	;; [unrolled: 3-line block ×5, first 2 shown]
	v_add_nc_u32_e32 v12, v11, v49
	s_delay_alu instid0(VALU_DEP_1)
	v_add_nc_u32_e32 v13, v12, v36
.LBB1506_71:
	v_lshrrev_b32_e32 v44, 8, v39
	v_lshrrev_b32_e32 v43, 16, v39
	s_waitcnt lgkmcnt(0)
	v_sub_nc_u32_e32 v1, v1, v17
	v_and_b32_e32 v39, 1, v39
	v_sub_nc_u32_e32 v3, v3, v17
	v_add_nc_u32_e32 v33, v16, v33
	v_sub_nc_u32_e32 v2, v2, v17
	v_sub_nc_u32_e32 v4, v4, v17
	v_cmp_eq_u32_e32 vcc_lo, 1, v39
	v_and_b32_e32 v39, 1, v43
	v_sub_nc_u32_e32 v45, v33, v1
	v_and_b32_e32 v44, 1, v44
	v_sub_nc_u32_e32 v43, v33, v2
	v_lshrrev_b32_e32 v42, 8, v37
	v_lshrrev_b32_e32 v41, 16, v37
	v_cndmask_b32_e32 v1, v45, v1, vcc_lo
	v_sub_nc_u32_e32 v45, v33, v3
	v_add_nc_u32_e32 v43, 1, v43
	v_cmp_eq_u32_e32 vcc_lo, 1, v44
	v_and_b32_e32 v40, 1, v40
	v_lshlrev_b32_e32 v1, 2, v1
	v_add_nc_u32_e32 v45, 2, v45
	v_lshrrev_b32_e32 v15, 8, v35
	v_lshrrev_b32_e32 v14, 16, v35
	ds_store_b32 v1, v28
	v_cndmask_b32_e32 v1, v43, v2, vcc_lo
	v_cmp_eq_u32_e32 vcc_lo, 1, v39
	v_or_b32_e32 v28, 0x500, v0
	s_delay_alu instid0(VALU_DEP_3)
	v_dual_cndmask_b32 v2, v45, v3 :: v_dual_lshlrev_b32 v1, 2, v1
	v_sub_nc_u32_e32 v46, v33, v4
	v_cmp_eq_u32_e32 vcc_lo, 1, v40
	ds_store_b32 v1, v29
	v_lshlrev_b32_e32 v2, 2, v2
	v_add_nc_u32_e32 v46, 3, v46
	v_or_b32_e32 v29, 0x400, v0
	s_delay_alu instid0(VALU_DEP_2) | instskip(SKIP_2) | instid1(VALU_DEP_3)
	v_cndmask_b32_e32 v3, v46, v4, vcc_lo
	v_sub_nc_u32_e32 v4, v5, v17
	v_sub_nc_u32_e32 v5, v6, v17
	v_lshlrev_b32_e32 v3, 2, v3
	s_delay_alu instid0(VALU_DEP_3) | instskip(NEXT) | instid1(VALU_DEP_3)
	v_sub_nc_u32_e32 v1, v33, v4
	v_sub_nc_u32_e32 v6, v33, v5
	ds_store_b32 v2, v26
	ds_store_b32 v3, v27
	v_and_b32_e32 v2, 1, v37
	v_add_nc_u32_e32 v1, 4, v1
	v_add_nc_u32_e32 v3, 5, v6
	v_sub_nc_u32_e32 v6, v7, v17
	v_and_b32_e32 v7, 1, v42
	v_cmp_eq_u32_e32 vcc_lo, 1, v2
	v_sub_nc_u32_e32 v2, v8, v17
	v_and_b32_e32 v8, 1, v38
	v_or_b32_e32 v27, 0x600, v0
	v_or_b32_e32 v26, 0x700, v0
	v_cndmask_b32_e32 v1, v1, v4, vcc_lo
	v_sub_nc_u32_e32 v4, v33, v6
	v_cmp_eq_u32_e32 vcc_lo, 1, v7
	v_and_b32_e32 v7, 1, v41
	s_delay_alu instid0(VALU_DEP_4) | instskip(NEXT) | instid1(VALU_DEP_4)
	v_lshlrev_b32_e32 v1, 2, v1
	v_dual_cndmask_b32 v3, v3, v5 :: v_dual_add_nc_u32 v4, 6, v4
	v_sub_nc_u32_e32 v5, v33, v2
	s_delay_alu instid0(VALU_DEP_4) | instskip(SKIP_1) | instid1(VALU_DEP_4)
	v_cmp_eq_u32_e32 vcc_lo, 1, v7
	v_sub_nc_u32_e32 v7, v13, v17
	v_lshlrev_b32_e32 v3, 2, v3
	s_delay_alu instid0(VALU_DEP_4)
	v_dual_cndmask_b32 v4, v4, v6 :: v_dual_add_nc_u32 v5, 7, v5
	v_cmp_eq_u32_e32 vcc_lo, 1, v8
	v_sub_nc_u32_e32 v6, v9, v17
	ds_store_b32 v1, v24
	ds_store_b32 v3, v25
	v_or_b32_e32 v25, 0x800, v0
	v_dual_cndmask_b32 v2, v5, v2 :: v_dual_lshlrev_b32 v3, 2, v4
	v_and_b32_e32 v5, 1, v35
	v_sub_nc_u32_e32 v1, v33, v6
	v_sub_nc_u32_e32 v4, v10, v17
	v_and_b32_e32 v10, 1, v36
	v_or_b32_e32 v24, 0x900, v0
	v_cmp_eq_u32_e32 vcc_lo, 1, v5
	v_sub_nc_u32_e32 v5, v12, v17
	v_add_nc_u32_e32 v1, 8, v1
	s_delay_alu instid0(VALU_DEP_2) | instskip(NEXT) | instid1(VALU_DEP_2)
	v_sub_nc_u32_e32 v9, v33, v5
	v_dual_cndmask_b32 v1, v1, v6 :: v_dual_and_b32 v6, 1, v15
	v_add_co_u32 v15, s0, s18, v17
	s_delay_alu instid0(VALU_DEP_3)
	v_add_nc_u32_e32 v9, 11, v9
	v_lshlrev_b32_e32 v2, 2, v2
	ds_store_b32 v3, v22
	ds_store_b32 v2, v23
	v_sub_nc_u32_e32 v3, v11, v17
	v_sub_nc_u32_e32 v2, v33, v4
	v_cmp_eq_u32_e32 vcc_lo, 1, v6
	v_and_b32_e32 v11, 1, v34
	v_lshlrev_b32_e32 v1, 2, v1
	v_sub_nc_u32_e32 v8, v33, v3
	v_add_nc_u32_e32 v2, 9, v2
	v_add_co_ci_u32_e64 v17, null, s19, 0, s0
	s_add_u32 s0, s16, s23
	s_delay_alu instid0(VALU_DEP_3)
	v_add_nc_u32_e32 v6, 10, v8
	v_and_b32_e32 v8, 1, v14
	v_cndmask_b32_e32 v2, v2, v4, vcc_lo
	v_sub_nc_u32_e32 v4, v33, v7
	s_addc_u32 s1, s17, 0
	s_sub_u32 s0, s12, s0
	v_cmp_eq_u32_e32 vcc_lo, 1, v8
	v_lshlrev_b32_e32 v2, 2, v2
	v_add_nc_u32_e32 v4, 12, v4
	s_subb_u32 s1, s13, s1
	v_add_co_u32 v13, s0, s0, v16
	v_cndmask_b32_e32 v3, v6, v3, vcc_lo
	v_cmp_eq_u32_e32 vcc_lo, 1, v10
	v_add_co_ci_u32_e64 v14, null, s1, 0, s0
	v_or_b32_e32 v34, 0x100, v0
	s_delay_alu instid0(VALU_DEP_4)
	v_lshlrev_b32_e32 v3, 2, v3
	v_cndmask_b32_e32 v5, v9, v5, vcc_lo
	v_cmp_eq_u32_e32 vcc_lo, 1, v11
	v_or_b32_e32 v33, 0x200, v0
	v_or_b32_e32 v23, 0xa00, v0
	;; [unrolled: 1-line block ×3, first 2 shown]
	v_dual_cndmask_b32 v4, v4, v7 :: v_dual_lshlrev_b32 v5, 2, v5
	v_cmp_ne_u32_e32 vcc_lo, 1, v31
	s_delay_alu instid0(VALU_DEP_2)
	v_lshlrev_b32_e32 v4, 2, v4
	ds_store_b32 v1, v20
	ds_store_b32 v2, v21
	;; [unrolled: 1-line block ×5, first 2 shown]
	s_waitcnt lgkmcnt(0)
	s_barrier
	buffer_gl0_inv
	ds_load_2addr_stride64_b32 v[11:12], v30 offset1:4
	ds_load_2addr_stride64_b32 v[9:10], v30 offset0:8 offset1:12
	ds_load_2addr_stride64_b32 v[7:8], v30 offset0:16 offset1:20
	;; [unrolled: 1-line block ×5, first 2 shown]
	ds_load_b32 v18, v30 offset:12288
	v_add_co_u32 v20, s0, v13, v15
	v_or_b32_e32 v32, 0x300, v0
	v_or_b32_e32 v19, 0xc00, v0
	v_add_co_ci_u32_e64 v21, s0, v14, v17, s0
	s_mov_b32 s0, 0
	s_cbranch_vccnz .LBB1506_125
; %bb.72:
	s_mov_b32 s0, exec_lo
                                        ; implicit-def: $vgpr13_vgpr14
	v_cmpx_ge_u32_e64 v0, v16
	s_xor_b32 s0, exec_lo, s0
; %bb.73:
	v_not_b32_e32 v13, v0
	s_delay_alu instid0(VALU_DEP_1) | instskip(SKIP_1) | instid1(VALU_DEP_2)
	v_ashrrev_i32_e32 v14, 31, v13
	v_add_co_u32 v13, vcc_lo, v20, v13
	v_add_co_ci_u32_e32 v14, vcc_lo, v21, v14, vcc_lo
; %bb.74:
	s_and_not1_saveexec_b32 s0, s0
; %bb.75:
	v_add_co_u32 v13, vcc_lo, v15, v0
	v_add_co_ci_u32_e32 v14, vcc_lo, 0, v17, vcc_lo
; %bb.76:
	s_or_b32 exec_lo, exec_lo, s0
	s_delay_alu instid0(VALU_DEP_1) | instskip(SKIP_1) | instid1(VALU_DEP_1)
	v_lshlrev_b64 v[13:14], 2, v[13:14]
	s_mov_b32 s0, exec_lo
	v_add_co_u32 v13, vcc_lo, s10, v13
	s_delay_alu instid0(VALU_DEP_2)
	v_add_co_ci_u32_e32 v14, vcc_lo, s11, v14, vcc_lo
	s_waitcnt lgkmcnt(6)
	global_store_b32 v[13:14], v11, off
                                        ; implicit-def: $vgpr13_vgpr14
	v_cmpx_ge_u32_e64 v34, v16
	s_xor_b32 s0, exec_lo, s0
; %bb.77:
	v_xor_b32_e32 v13, 0xfffffeff, v0
	s_delay_alu instid0(VALU_DEP_1) | instskip(SKIP_1) | instid1(VALU_DEP_2)
	v_ashrrev_i32_e32 v14, 31, v13
	v_add_co_u32 v13, vcc_lo, v20, v13
	v_add_co_ci_u32_e32 v14, vcc_lo, v21, v14, vcc_lo
; %bb.78:
	s_and_not1_saveexec_b32 s0, s0
; %bb.79:
	v_add_co_u32 v13, vcc_lo, v15, v34
	v_add_co_ci_u32_e32 v14, vcc_lo, 0, v17, vcc_lo
; %bb.80:
	s_or_b32 exec_lo, exec_lo, s0
	s_delay_alu instid0(VALU_DEP_1) | instskip(SKIP_1) | instid1(VALU_DEP_1)
	v_lshlrev_b64 v[13:14], 2, v[13:14]
	s_mov_b32 s0, exec_lo
	v_add_co_u32 v13, vcc_lo, s10, v13
	s_delay_alu instid0(VALU_DEP_2)
	v_add_co_ci_u32_e32 v14, vcc_lo, s11, v14, vcc_lo
	global_store_b32 v[13:14], v12, off
                                        ; implicit-def: $vgpr13_vgpr14
	v_cmpx_ge_u32_e64 v33, v16
	s_xor_b32 s0, exec_lo, s0
; %bb.81:
	v_xor_b32_e32 v13, 0xfffffdff, v0
	s_delay_alu instid0(VALU_DEP_1) | instskip(SKIP_1) | instid1(VALU_DEP_2)
	v_ashrrev_i32_e32 v14, 31, v13
	v_add_co_u32 v13, vcc_lo, v20, v13
	v_add_co_ci_u32_e32 v14, vcc_lo, v21, v14, vcc_lo
; %bb.82:
	s_and_not1_saveexec_b32 s0, s0
; %bb.83:
	v_add_co_u32 v13, vcc_lo, v15, v33
	v_add_co_ci_u32_e32 v14, vcc_lo, 0, v17, vcc_lo
; %bb.84:
	s_or_b32 exec_lo, exec_lo, s0
	s_delay_alu instid0(VALU_DEP_1) | instskip(SKIP_1) | instid1(VALU_DEP_1)
	v_lshlrev_b64 v[13:14], 2, v[13:14]
	s_mov_b32 s0, exec_lo
	v_add_co_u32 v13, vcc_lo, s10, v13
	s_delay_alu instid0(VALU_DEP_2)
	v_add_co_ci_u32_e32 v14, vcc_lo, s11, v14, vcc_lo
	s_waitcnt lgkmcnt(5)
	global_store_b32 v[13:14], v9, off
                                        ; implicit-def: $vgpr13_vgpr14
	v_cmpx_ge_u32_e64 v32, v16
	s_xor_b32 s0, exec_lo, s0
; %bb.85:
	v_xor_b32_e32 v13, 0xfffffcff, v0
	s_delay_alu instid0(VALU_DEP_1) | instskip(SKIP_1) | instid1(VALU_DEP_2)
	v_ashrrev_i32_e32 v14, 31, v13
	v_add_co_u32 v13, vcc_lo, v20, v13
	v_add_co_ci_u32_e32 v14, vcc_lo, v21, v14, vcc_lo
; %bb.86:
	s_and_not1_saveexec_b32 s0, s0
; %bb.87:
	v_add_co_u32 v13, vcc_lo, v15, v32
	v_add_co_ci_u32_e32 v14, vcc_lo, 0, v17, vcc_lo
; %bb.88:
	s_or_b32 exec_lo, exec_lo, s0
	s_delay_alu instid0(VALU_DEP_1) | instskip(SKIP_1) | instid1(VALU_DEP_1)
	v_lshlrev_b64 v[13:14], 2, v[13:14]
	s_mov_b32 s0, exec_lo
	v_add_co_u32 v13, vcc_lo, s10, v13
	s_delay_alu instid0(VALU_DEP_2)
	v_add_co_ci_u32_e32 v14, vcc_lo, s11, v14, vcc_lo
	global_store_b32 v[13:14], v10, off
                                        ; implicit-def: $vgpr13_vgpr14
	v_cmpx_ge_u32_e64 v29, v16
	s_xor_b32 s0, exec_lo, s0
; %bb.89:
	v_xor_b32_e32 v13, 0xfffffbff, v0
	;; [unrolled: 47-line block ×6, first 2 shown]
	s_delay_alu instid0(VALU_DEP_1) | instskip(SKIP_1) | instid1(VALU_DEP_2)
	v_ashrrev_i32_e32 v14, 31, v13
	v_add_co_u32 v13, vcc_lo, v20, v13
	v_add_co_ci_u32_e32 v14, vcc_lo, v21, v14, vcc_lo
; %bb.122:
	s_and_not1_saveexec_b32 s0, s0
; %bb.123:
	v_add_co_u32 v13, vcc_lo, v15, v19
	v_add_co_ci_u32_e32 v14, vcc_lo, 0, v17, vcc_lo
; %bb.124:
	s_or_b32 exec_lo, exec_lo, s0
	s_mov_b32 s0, -1
	s_branch .LBB1506_205
.LBB1506_125:
                                        ; implicit-def: $vgpr13_vgpr14
	s_cbranch_execz .LBB1506_205
; %bb.126:
	s_mov_b32 s1, exec_lo
	v_cmpx_gt_u32_e64 s22, v0
	s_cbranch_execz .LBB1506_162
; %bb.127:
	s_mov_b32 s2, exec_lo
                                        ; implicit-def: $vgpr13_vgpr14
	v_cmpx_ge_u32_e64 v0, v16
	s_xor_b32 s2, exec_lo, s2
; %bb.128:
	v_not_b32_e32 v13, v0
	s_delay_alu instid0(VALU_DEP_1) | instskip(SKIP_1) | instid1(VALU_DEP_2)
	v_ashrrev_i32_e32 v14, 31, v13
	v_add_co_u32 v13, vcc_lo, v20, v13
	v_add_co_ci_u32_e32 v14, vcc_lo, v21, v14, vcc_lo
; %bb.129:
	s_and_not1_saveexec_b32 s2, s2
; %bb.130:
	v_add_co_u32 v13, vcc_lo, v15, v0
	v_add_co_ci_u32_e32 v14, vcc_lo, 0, v17, vcc_lo
; %bb.131:
	s_or_b32 exec_lo, exec_lo, s2
	s_delay_alu instid0(VALU_DEP_1) | instskip(NEXT) | instid1(VALU_DEP_1)
	v_lshlrev_b64 v[13:14], 2, v[13:14]
	v_add_co_u32 v13, vcc_lo, s10, v13
	s_delay_alu instid0(VALU_DEP_2) | instskip(SKIP_3) | instid1(SALU_CYCLE_1)
	v_add_co_ci_u32_e32 v14, vcc_lo, s11, v14, vcc_lo
	s_waitcnt lgkmcnt(6)
	global_store_b32 v[13:14], v11, off
	s_or_b32 exec_lo, exec_lo, s1
	s_mov_b32 s1, exec_lo
	v_cmpx_gt_u32_e64 s22, v34
	s_cbranch_execnz .LBB1506_163
.LBB1506_132:
	s_or_b32 exec_lo, exec_lo, s1
	s_delay_alu instid0(SALU_CYCLE_1)
	s_mov_b32 s1, exec_lo
	v_cmpx_gt_u32_e64 s22, v33
	s_cbranch_execz .LBB1506_168
.LBB1506_133:
	s_mov_b32 s2, exec_lo
                                        ; implicit-def: $vgpr11_vgpr12
	v_cmpx_ge_u32_e64 v33, v16
	s_xor_b32 s2, exec_lo, s2
	s_cbranch_execz .LBB1506_135
; %bb.134:
	s_waitcnt lgkmcnt(6)
	v_xor_b32_e32 v11, 0xfffffdff, v0
                                        ; implicit-def: $vgpr33
	s_delay_alu instid0(VALU_DEP_1) | instskip(SKIP_1) | instid1(VALU_DEP_2)
	v_ashrrev_i32_e32 v12, 31, v11
	v_add_co_u32 v11, vcc_lo, v20, v11
	v_add_co_ci_u32_e32 v12, vcc_lo, v21, v12, vcc_lo
.LBB1506_135:
	s_and_not1_saveexec_b32 s2, s2
	s_cbranch_execz .LBB1506_137
; %bb.136:
	s_waitcnt lgkmcnt(6)
	v_add_co_u32 v11, vcc_lo, v15, v33
	v_add_co_ci_u32_e32 v12, vcc_lo, 0, v17, vcc_lo
.LBB1506_137:
	s_or_b32 exec_lo, exec_lo, s2
	s_waitcnt lgkmcnt(6)
	s_delay_alu instid0(VALU_DEP_1) | instskip(NEXT) | instid1(VALU_DEP_1)
	v_lshlrev_b64 v[11:12], 2, v[11:12]
	v_add_co_u32 v11, vcc_lo, s10, v11
	s_delay_alu instid0(VALU_DEP_2) | instskip(SKIP_3) | instid1(SALU_CYCLE_1)
	v_add_co_ci_u32_e32 v12, vcc_lo, s11, v12, vcc_lo
	s_waitcnt lgkmcnt(5)
	global_store_b32 v[11:12], v9, off
	s_or_b32 exec_lo, exec_lo, s1
	s_mov_b32 s1, exec_lo
	v_cmpx_gt_u32_e64 s22, v32
	s_cbranch_execnz .LBB1506_169
.LBB1506_138:
	s_or_b32 exec_lo, exec_lo, s1
	s_delay_alu instid0(SALU_CYCLE_1)
	s_mov_b32 s1, exec_lo
	v_cmpx_gt_u32_e64 s22, v29
	s_cbranch_execz .LBB1506_174
.LBB1506_139:
	s_mov_b32 s2, exec_lo
                                        ; implicit-def: $vgpr9_vgpr10
	v_cmpx_ge_u32_e64 v29, v16
	s_xor_b32 s2, exec_lo, s2
	s_cbranch_execz .LBB1506_141
; %bb.140:
	s_waitcnt lgkmcnt(5)
	v_xor_b32_e32 v9, 0xfffffbff, v0
                                        ; implicit-def: $vgpr29
	s_delay_alu instid0(VALU_DEP_1) | instskip(SKIP_1) | instid1(VALU_DEP_2)
	v_ashrrev_i32_e32 v10, 31, v9
	v_add_co_u32 v9, vcc_lo, v20, v9
	v_add_co_ci_u32_e32 v10, vcc_lo, v21, v10, vcc_lo
.LBB1506_141:
	s_and_not1_saveexec_b32 s2, s2
	s_cbranch_execz .LBB1506_143
; %bb.142:
	s_waitcnt lgkmcnt(5)
	v_add_co_u32 v9, vcc_lo, v15, v29
	v_add_co_ci_u32_e32 v10, vcc_lo, 0, v17, vcc_lo
.LBB1506_143:
	s_or_b32 exec_lo, exec_lo, s2
	s_waitcnt lgkmcnt(5)
	s_delay_alu instid0(VALU_DEP_1) | instskip(NEXT) | instid1(VALU_DEP_1)
	v_lshlrev_b64 v[9:10], 2, v[9:10]
	v_add_co_u32 v9, vcc_lo, s10, v9
	s_delay_alu instid0(VALU_DEP_2) | instskip(SKIP_3) | instid1(SALU_CYCLE_1)
	v_add_co_ci_u32_e32 v10, vcc_lo, s11, v10, vcc_lo
	s_waitcnt lgkmcnt(4)
	global_store_b32 v[9:10], v7, off
	s_or_b32 exec_lo, exec_lo, s1
	s_mov_b32 s1, exec_lo
	v_cmpx_gt_u32_e64 s22, v28
	s_cbranch_execnz .LBB1506_175
.LBB1506_144:
	s_or_b32 exec_lo, exec_lo, s1
	s_delay_alu instid0(SALU_CYCLE_1)
	s_mov_b32 s1, exec_lo
	v_cmpx_gt_u32_e64 s22, v27
	s_cbranch_execz .LBB1506_180
.LBB1506_145:
	s_mov_b32 s2, exec_lo
                                        ; implicit-def: $vgpr7_vgpr8
	v_cmpx_ge_u32_e64 v27, v16
	s_xor_b32 s2, exec_lo, s2
	s_cbranch_execz .LBB1506_147
; %bb.146:
	s_waitcnt lgkmcnt(4)
	v_xor_b32_e32 v7, 0xfffff9ff, v0
                                        ; implicit-def: $vgpr27
	s_delay_alu instid0(VALU_DEP_1) | instskip(SKIP_1) | instid1(VALU_DEP_2)
	v_ashrrev_i32_e32 v8, 31, v7
	v_add_co_u32 v7, vcc_lo, v20, v7
	v_add_co_ci_u32_e32 v8, vcc_lo, v21, v8, vcc_lo
.LBB1506_147:
	s_and_not1_saveexec_b32 s2, s2
	s_cbranch_execz .LBB1506_149
; %bb.148:
	s_waitcnt lgkmcnt(4)
	v_add_co_u32 v7, vcc_lo, v15, v27
	v_add_co_ci_u32_e32 v8, vcc_lo, 0, v17, vcc_lo
.LBB1506_149:
	s_or_b32 exec_lo, exec_lo, s2
	s_waitcnt lgkmcnt(4)
	s_delay_alu instid0(VALU_DEP_1) | instskip(NEXT) | instid1(VALU_DEP_1)
	v_lshlrev_b64 v[7:8], 2, v[7:8]
	v_add_co_u32 v7, vcc_lo, s10, v7
	s_delay_alu instid0(VALU_DEP_2) | instskip(SKIP_3) | instid1(SALU_CYCLE_1)
	v_add_co_ci_u32_e32 v8, vcc_lo, s11, v8, vcc_lo
	s_waitcnt lgkmcnt(3)
	global_store_b32 v[7:8], v5, off
	s_or_b32 exec_lo, exec_lo, s1
	s_mov_b32 s1, exec_lo
	v_cmpx_gt_u32_e64 s22, v26
	s_cbranch_execnz .LBB1506_181
.LBB1506_150:
	s_or_b32 exec_lo, exec_lo, s1
	s_delay_alu instid0(SALU_CYCLE_1)
	s_mov_b32 s1, exec_lo
	v_cmpx_gt_u32_e64 s22, v25
	s_cbranch_execz .LBB1506_186
.LBB1506_151:
	s_mov_b32 s2, exec_lo
                                        ; implicit-def: $vgpr5_vgpr6
	v_cmpx_ge_u32_e64 v25, v16
	s_xor_b32 s2, exec_lo, s2
	s_cbranch_execz .LBB1506_153
; %bb.152:
	s_waitcnt lgkmcnt(3)
	v_xor_b32_e32 v5, 0xfffff7ff, v0
                                        ; implicit-def: $vgpr25
	s_delay_alu instid0(VALU_DEP_1) | instskip(SKIP_1) | instid1(VALU_DEP_2)
	v_ashrrev_i32_e32 v6, 31, v5
	v_add_co_u32 v5, vcc_lo, v20, v5
	v_add_co_ci_u32_e32 v6, vcc_lo, v21, v6, vcc_lo
.LBB1506_153:
	s_and_not1_saveexec_b32 s2, s2
	s_cbranch_execz .LBB1506_155
; %bb.154:
	s_waitcnt lgkmcnt(3)
	v_add_co_u32 v5, vcc_lo, v15, v25
	v_add_co_ci_u32_e32 v6, vcc_lo, 0, v17, vcc_lo
.LBB1506_155:
	s_or_b32 exec_lo, exec_lo, s2
	s_waitcnt lgkmcnt(3)
	s_delay_alu instid0(VALU_DEP_1) | instskip(NEXT) | instid1(VALU_DEP_1)
	v_lshlrev_b64 v[5:6], 2, v[5:6]
	v_add_co_u32 v5, vcc_lo, s10, v5
	s_delay_alu instid0(VALU_DEP_2) | instskip(SKIP_3) | instid1(SALU_CYCLE_1)
	v_add_co_ci_u32_e32 v6, vcc_lo, s11, v6, vcc_lo
	s_waitcnt lgkmcnt(2)
	global_store_b32 v[5:6], v3, off
	s_or_b32 exec_lo, exec_lo, s1
	s_mov_b32 s1, exec_lo
	v_cmpx_gt_u32_e64 s22, v24
	s_cbranch_execnz .LBB1506_187
.LBB1506_156:
	s_or_b32 exec_lo, exec_lo, s1
	s_delay_alu instid0(SALU_CYCLE_1)
	s_mov_b32 s1, exec_lo
	v_cmpx_gt_u32_e64 s22, v23
	s_cbranch_execz .LBB1506_192
.LBB1506_157:
	s_mov_b32 s2, exec_lo
                                        ; implicit-def: $vgpr3_vgpr4
	v_cmpx_ge_u32_e64 v23, v16
	s_xor_b32 s2, exec_lo, s2
	s_cbranch_execz .LBB1506_159
; %bb.158:
	s_waitcnt lgkmcnt(2)
	v_xor_b32_e32 v3, 0xfffff5ff, v0
                                        ; implicit-def: $vgpr23
	s_delay_alu instid0(VALU_DEP_1) | instskip(SKIP_1) | instid1(VALU_DEP_2)
	v_ashrrev_i32_e32 v4, 31, v3
	v_add_co_u32 v3, vcc_lo, v20, v3
	v_add_co_ci_u32_e32 v4, vcc_lo, v21, v4, vcc_lo
.LBB1506_159:
	s_and_not1_saveexec_b32 s2, s2
	s_cbranch_execz .LBB1506_161
; %bb.160:
	s_waitcnt lgkmcnt(2)
	v_add_co_u32 v3, vcc_lo, v15, v23
	v_add_co_ci_u32_e32 v4, vcc_lo, 0, v17, vcc_lo
.LBB1506_161:
	s_or_b32 exec_lo, exec_lo, s2
	s_waitcnt lgkmcnt(2)
	s_delay_alu instid0(VALU_DEP_1) | instskip(NEXT) | instid1(VALU_DEP_1)
	v_lshlrev_b64 v[3:4], 2, v[3:4]
	v_add_co_u32 v3, vcc_lo, s10, v3
	s_delay_alu instid0(VALU_DEP_2) | instskip(SKIP_3) | instid1(SALU_CYCLE_1)
	v_add_co_ci_u32_e32 v4, vcc_lo, s11, v4, vcc_lo
	s_waitcnt lgkmcnt(1)
	global_store_b32 v[3:4], v1, off
	s_or_b32 exec_lo, exec_lo, s1
	s_mov_b32 s1, exec_lo
	v_cmpx_gt_u32_e64 s22, v22
	s_cbranch_execz .LBB1506_198
	s_branch .LBB1506_193
.LBB1506_162:
	s_or_b32 exec_lo, exec_lo, s1
	s_delay_alu instid0(SALU_CYCLE_1)
	s_mov_b32 s1, exec_lo
	v_cmpx_gt_u32_e64 s22, v34
	s_cbranch_execz .LBB1506_132
.LBB1506_163:
	s_mov_b32 s2, exec_lo
                                        ; implicit-def: $vgpr13_vgpr14
	v_cmpx_ge_u32_e64 v34, v16
	s_xor_b32 s2, exec_lo, s2
	s_cbranch_execz .LBB1506_165
; %bb.164:
	s_waitcnt lgkmcnt(6)
	v_xor_b32_e32 v11, 0xfffffeff, v0
                                        ; implicit-def: $vgpr34
	s_delay_alu instid0(VALU_DEP_1) | instskip(SKIP_1) | instid1(VALU_DEP_2)
	v_ashrrev_i32_e32 v14, 31, v11
	v_add_co_u32 v13, vcc_lo, v20, v11
	v_add_co_ci_u32_e32 v14, vcc_lo, v21, v14, vcc_lo
.LBB1506_165:
	s_and_not1_saveexec_b32 s2, s2
; %bb.166:
	v_add_co_u32 v13, vcc_lo, v15, v34
	v_add_co_ci_u32_e32 v14, vcc_lo, 0, v17, vcc_lo
; %bb.167:
	s_or_b32 exec_lo, exec_lo, s2
	s_delay_alu instid0(VALU_DEP_1) | instskip(NEXT) | instid1(VALU_DEP_1)
	v_lshlrev_b64 v[13:14], 2, v[13:14]
	v_add_co_u32 v13, vcc_lo, s10, v13
	s_delay_alu instid0(VALU_DEP_2) | instskip(SKIP_3) | instid1(SALU_CYCLE_1)
	v_add_co_ci_u32_e32 v14, vcc_lo, s11, v14, vcc_lo
	s_waitcnt lgkmcnt(6)
	global_store_b32 v[13:14], v12, off
	s_or_b32 exec_lo, exec_lo, s1
	s_mov_b32 s1, exec_lo
	v_cmpx_gt_u32_e64 s22, v33
	s_cbranch_execnz .LBB1506_133
.LBB1506_168:
	s_or_b32 exec_lo, exec_lo, s1
	s_delay_alu instid0(SALU_CYCLE_1)
	s_mov_b32 s1, exec_lo
	v_cmpx_gt_u32_e64 s22, v32
	s_cbranch_execz .LBB1506_138
.LBB1506_169:
	s_mov_b32 s2, exec_lo
                                        ; implicit-def: $vgpr11_vgpr12
	v_cmpx_ge_u32_e64 v32, v16
	s_xor_b32 s2, exec_lo, s2
	s_cbranch_execz .LBB1506_171
; %bb.170:
	s_waitcnt lgkmcnt(5)
	v_xor_b32_e32 v9, 0xfffffcff, v0
                                        ; implicit-def: $vgpr32
	s_delay_alu instid0(VALU_DEP_1) | instskip(SKIP_1) | instid1(VALU_DEP_2)
	v_ashrrev_i32_e32 v12, 31, v9
	v_add_co_u32 v11, vcc_lo, v20, v9
	v_add_co_ci_u32_e32 v12, vcc_lo, v21, v12, vcc_lo
.LBB1506_171:
	s_and_not1_saveexec_b32 s2, s2
	s_cbranch_execz .LBB1506_173
; %bb.172:
	s_waitcnt lgkmcnt(6)
	v_add_co_u32 v11, vcc_lo, v15, v32
	v_add_co_ci_u32_e32 v12, vcc_lo, 0, v17, vcc_lo
.LBB1506_173:
	s_or_b32 exec_lo, exec_lo, s2
	s_waitcnt lgkmcnt(6)
	s_delay_alu instid0(VALU_DEP_1) | instskip(NEXT) | instid1(VALU_DEP_1)
	v_lshlrev_b64 v[11:12], 2, v[11:12]
	v_add_co_u32 v11, vcc_lo, s10, v11
	s_delay_alu instid0(VALU_DEP_2) | instskip(SKIP_3) | instid1(SALU_CYCLE_1)
	v_add_co_ci_u32_e32 v12, vcc_lo, s11, v12, vcc_lo
	s_waitcnt lgkmcnt(5)
	global_store_b32 v[11:12], v10, off
	s_or_b32 exec_lo, exec_lo, s1
	s_mov_b32 s1, exec_lo
	v_cmpx_gt_u32_e64 s22, v29
	s_cbranch_execnz .LBB1506_139
.LBB1506_174:
	s_or_b32 exec_lo, exec_lo, s1
	s_delay_alu instid0(SALU_CYCLE_1)
	s_mov_b32 s1, exec_lo
	v_cmpx_gt_u32_e64 s22, v28
	s_cbranch_execz .LBB1506_144
.LBB1506_175:
	s_mov_b32 s2, exec_lo
                                        ; implicit-def: $vgpr9_vgpr10
	v_cmpx_ge_u32_e64 v28, v16
	s_xor_b32 s2, exec_lo, s2
	s_cbranch_execz .LBB1506_177
; %bb.176:
	s_waitcnt lgkmcnt(4)
	v_xor_b32_e32 v7, 0xfffffaff, v0
                                        ; implicit-def: $vgpr28
	s_delay_alu instid0(VALU_DEP_1) | instskip(SKIP_1) | instid1(VALU_DEP_2)
	v_ashrrev_i32_e32 v10, 31, v7
	v_add_co_u32 v9, vcc_lo, v20, v7
	v_add_co_ci_u32_e32 v10, vcc_lo, v21, v10, vcc_lo
.LBB1506_177:
	s_and_not1_saveexec_b32 s2, s2
	s_cbranch_execz .LBB1506_179
; %bb.178:
	s_waitcnt lgkmcnt(5)
	v_add_co_u32 v9, vcc_lo, v15, v28
	v_add_co_ci_u32_e32 v10, vcc_lo, 0, v17, vcc_lo
.LBB1506_179:
	s_or_b32 exec_lo, exec_lo, s2
	s_waitcnt lgkmcnt(5)
	s_delay_alu instid0(VALU_DEP_1) | instskip(NEXT) | instid1(VALU_DEP_1)
	v_lshlrev_b64 v[9:10], 2, v[9:10]
	v_add_co_u32 v9, vcc_lo, s10, v9
	s_delay_alu instid0(VALU_DEP_2) | instskip(SKIP_3) | instid1(SALU_CYCLE_1)
	v_add_co_ci_u32_e32 v10, vcc_lo, s11, v10, vcc_lo
	s_waitcnt lgkmcnt(4)
	global_store_b32 v[9:10], v8, off
	s_or_b32 exec_lo, exec_lo, s1
	s_mov_b32 s1, exec_lo
	v_cmpx_gt_u32_e64 s22, v27
	s_cbranch_execnz .LBB1506_145
.LBB1506_180:
	s_or_b32 exec_lo, exec_lo, s1
	s_delay_alu instid0(SALU_CYCLE_1)
	s_mov_b32 s1, exec_lo
	v_cmpx_gt_u32_e64 s22, v26
	s_cbranch_execz .LBB1506_150
.LBB1506_181:
	s_mov_b32 s2, exec_lo
                                        ; implicit-def: $vgpr7_vgpr8
	v_cmpx_ge_u32_e64 v26, v16
	s_xor_b32 s2, exec_lo, s2
	s_cbranch_execz .LBB1506_183
; %bb.182:
	s_waitcnt lgkmcnt(3)
	v_xor_b32_e32 v5, 0xfffff8ff, v0
                                        ; implicit-def: $vgpr26
	s_delay_alu instid0(VALU_DEP_1) | instskip(SKIP_1) | instid1(VALU_DEP_2)
	v_ashrrev_i32_e32 v8, 31, v5
	v_add_co_u32 v7, vcc_lo, v20, v5
	v_add_co_ci_u32_e32 v8, vcc_lo, v21, v8, vcc_lo
.LBB1506_183:
	s_and_not1_saveexec_b32 s2, s2
	s_cbranch_execz .LBB1506_185
; %bb.184:
	s_waitcnt lgkmcnt(4)
	v_add_co_u32 v7, vcc_lo, v15, v26
	v_add_co_ci_u32_e32 v8, vcc_lo, 0, v17, vcc_lo
.LBB1506_185:
	s_or_b32 exec_lo, exec_lo, s2
	s_waitcnt lgkmcnt(4)
	s_delay_alu instid0(VALU_DEP_1) | instskip(NEXT) | instid1(VALU_DEP_1)
	v_lshlrev_b64 v[7:8], 2, v[7:8]
	v_add_co_u32 v7, vcc_lo, s10, v7
	s_delay_alu instid0(VALU_DEP_2) | instskip(SKIP_3) | instid1(SALU_CYCLE_1)
	v_add_co_ci_u32_e32 v8, vcc_lo, s11, v8, vcc_lo
	s_waitcnt lgkmcnt(3)
	global_store_b32 v[7:8], v6, off
	s_or_b32 exec_lo, exec_lo, s1
	s_mov_b32 s1, exec_lo
	v_cmpx_gt_u32_e64 s22, v25
	s_cbranch_execnz .LBB1506_151
.LBB1506_186:
	s_or_b32 exec_lo, exec_lo, s1
	s_delay_alu instid0(SALU_CYCLE_1)
	s_mov_b32 s1, exec_lo
	v_cmpx_gt_u32_e64 s22, v24
	s_cbranch_execz .LBB1506_156
.LBB1506_187:
	s_mov_b32 s2, exec_lo
                                        ; implicit-def: $vgpr5_vgpr6
	v_cmpx_ge_u32_e64 v24, v16
	s_xor_b32 s2, exec_lo, s2
	s_cbranch_execz .LBB1506_189
; %bb.188:
	s_waitcnt lgkmcnt(2)
	v_xor_b32_e32 v3, 0xfffff6ff, v0
                                        ; implicit-def: $vgpr24
	s_delay_alu instid0(VALU_DEP_1) | instskip(SKIP_1) | instid1(VALU_DEP_2)
	v_ashrrev_i32_e32 v6, 31, v3
	v_add_co_u32 v5, vcc_lo, v20, v3
	v_add_co_ci_u32_e32 v6, vcc_lo, v21, v6, vcc_lo
.LBB1506_189:
	s_and_not1_saveexec_b32 s2, s2
	s_cbranch_execz .LBB1506_191
; %bb.190:
	s_waitcnt lgkmcnt(3)
	v_add_co_u32 v5, vcc_lo, v15, v24
	v_add_co_ci_u32_e32 v6, vcc_lo, 0, v17, vcc_lo
.LBB1506_191:
	s_or_b32 exec_lo, exec_lo, s2
	s_waitcnt lgkmcnt(3)
	s_delay_alu instid0(VALU_DEP_1) | instskip(NEXT) | instid1(VALU_DEP_1)
	v_lshlrev_b64 v[5:6], 2, v[5:6]
	v_add_co_u32 v5, vcc_lo, s10, v5
	s_delay_alu instid0(VALU_DEP_2) | instskip(SKIP_3) | instid1(SALU_CYCLE_1)
	v_add_co_ci_u32_e32 v6, vcc_lo, s11, v6, vcc_lo
	s_waitcnt lgkmcnt(2)
	global_store_b32 v[5:6], v4, off
	s_or_b32 exec_lo, exec_lo, s1
	s_mov_b32 s1, exec_lo
	v_cmpx_gt_u32_e64 s22, v23
	s_cbranch_execnz .LBB1506_157
.LBB1506_192:
	s_or_b32 exec_lo, exec_lo, s1
	s_delay_alu instid0(SALU_CYCLE_1)
	s_mov_b32 s1, exec_lo
	v_cmpx_gt_u32_e64 s22, v22
	s_cbranch_execz .LBB1506_198
.LBB1506_193:
	s_mov_b32 s2, exec_lo
                                        ; implicit-def: $vgpr3_vgpr4
	v_cmpx_ge_u32_e64 v22, v16
	s_xor_b32 s2, exec_lo, s2
	s_cbranch_execz .LBB1506_195
; %bb.194:
	s_waitcnt lgkmcnt(1)
	v_xor_b32_e32 v1, 0xfffff4ff, v0
                                        ; implicit-def: $vgpr22
	s_delay_alu instid0(VALU_DEP_1) | instskip(SKIP_1) | instid1(VALU_DEP_2)
	v_ashrrev_i32_e32 v4, 31, v1
	v_add_co_u32 v3, vcc_lo, v20, v1
	v_add_co_ci_u32_e32 v4, vcc_lo, v21, v4, vcc_lo
.LBB1506_195:
	s_and_not1_saveexec_b32 s2, s2
	s_cbranch_execz .LBB1506_197
; %bb.196:
	s_waitcnt lgkmcnt(2)
	v_add_co_u32 v3, vcc_lo, v15, v22
	v_add_co_ci_u32_e32 v4, vcc_lo, 0, v17, vcc_lo
.LBB1506_197:
	s_or_b32 exec_lo, exec_lo, s2
	s_waitcnt lgkmcnt(2)
	s_delay_alu instid0(VALU_DEP_1) | instskip(NEXT) | instid1(VALU_DEP_1)
	v_lshlrev_b64 v[3:4], 2, v[3:4]
	v_add_co_u32 v3, vcc_lo, s10, v3
	s_delay_alu instid0(VALU_DEP_2)
	v_add_co_ci_u32_e32 v4, vcc_lo, s11, v4, vcc_lo
	s_waitcnt lgkmcnt(1)
	global_store_b32 v[3:4], v2, off
.LBB1506_198:
	s_or_b32 exec_lo, exec_lo, s1
	s_delay_alu instid0(SALU_CYCLE_1)
	s_mov_b32 s1, exec_lo
                                        ; implicit-def: $vgpr13_vgpr14
	v_cmpx_gt_u32_e64 s22, v19
	s_cbranch_execz .LBB1506_204
; %bb.199:
	s_mov_b32 s2, exec_lo
                                        ; implicit-def: $vgpr13_vgpr14
	v_cmpx_ge_u32_e64 v19, v16
	s_xor_b32 s2, exec_lo, s2
	s_cbranch_execz .LBB1506_201
; %bb.200:
	s_waitcnt lgkmcnt(1)
	v_xor_b32_e32 v1, 0xfffff3ff, v0
                                        ; implicit-def: $vgpr19
	s_delay_alu instid0(VALU_DEP_1) | instskip(SKIP_1) | instid1(VALU_DEP_2)
	v_ashrrev_i32_e32 v2, 31, v1
	v_add_co_u32 v13, vcc_lo, v20, v1
	v_add_co_ci_u32_e32 v14, vcc_lo, v21, v2, vcc_lo
.LBB1506_201:
	s_and_not1_saveexec_b32 s2, s2
; %bb.202:
	v_add_co_u32 v13, vcc_lo, v15, v19
	v_add_co_ci_u32_e32 v14, vcc_lo, 0, v17, vcc_lo
; %bb.203:
	s_or_b32 exec_lo, exec_lo, s2
	s_delay_alu instid0(SALU_CYCLE_1)
	s_or_b32 s0, s0, exec_lo
.LBB1506_204:
	s_or_b32 exec_lo, exec_lo, s1
.LBB1506_205:
	s_and_saveexec_b32 s1, s0
	s_cbranch_execz .LBB1506_207
; %bb.206:
	s_waitcnt lgkmcnt(1)
	v_lshlrev_b64 v[1:2], 2, v[13:14]
	s_delay_alu instid0(VALU_DEP_1) | instskip(NEXT) | instid1(VALU_DEP_2)
	v_add_co_u32 v1, vcc_lo, s10, v1
	v_add_co_ci_u32_e32 v2, vcc_lo, s11, v2, vcc_lo
	s_waitcnt lgkmcnt(0)
	global_store_b32 v[1:2], v18, off
.LBB1506_207:
	s_or_b32 exec_lo, exec_lo, s1
	v_cmp_eq_u32_e32 vcc_lo, 0, v0
	s_and_b32 s0, vcc_lo, s14
	s_delay_alu instid0(SALU_CYCLE_1)
	s_and_saveexec_b32 s1, s0
	s_cbranch_execz .LBB1506_209
; %bb.208:
	v_add_co_u32 v0, vcc_lo, v15, v16
	s_waitcnt lgkmcnt(1)
	v_mov_b32_e32 v2, 0
	v_add_co_ci_u32_e32 v1, vcc_lo, 0, v17, vcc_lo
	global_store_b64 v2, v[0:1], s[8:9]
.LBB1506_209:
	s_nop 0
	s_sendmsg sendmsg(MSG_DEALLOC_VGPRS)
	s_endpgm
	.section	.rodata,"a",@progbits
	.p2align	6, 0x0
	.amdhsa_kernel _ZN7rocprim17ROCPRIM_400000_NS6detail17trampoline_kernelINS0_13select_configILj256ELj13ELNS0_17block_load_methodE3ELS4_3ELS4_3ELNS0_20block_scan_algorithmE0ELj4294967295EEENS1_25partition_config_selectorILNS1_17partition_subalgoE3EjNS0_10empty_typeEbEEZZNS1_14partition_implILS8_3ELb0ES6_jNS0_17counting_iteratorIjlEEPS9_SE_NS0_5tupleIJPjSE_EEENSF_IJSE_SE_EEES9_SG_JZNS1_25segmented_radix_sort_implINS0_14default_configELb1EPKbPbPKlPlN2at6native12_GLOBAL__N_18offset_tEEE10hipError_tPvRmT1_PNSt15iterator_traitsISY_E10value_typeET2_T3_PNSZ_IS14_E10value_typeET4_jRbjT5_S1A_jjP12ihipStream_tbEUljE_EEESV_SW_SX_S14_S18_S1A_T6_T7_T9_mT8_S1C_bDpT10_ENKUlT_T0_E_clISt17integral_constantIbLb0EES1P_EEDaS1K_S1L_EUlS1K_E_NS1_11comp_targetILNS1_3genE9ELNS1_11target_archE1100ELNS1_3gpuE3ELNS1_3repE0EEENS1_30default_config_static_selectorELNS0_4arch9wavefront6targetE0EEEvSY_
		.amdhsa_group_segment_fixed_size 13324
		.amdhsa_private_segment_fixed_size 0
		.amdhsa_kernarg_size 144
		.amdhsa_user_sgpr_count 15
		.amdhsa_user_sgpr_dispatch_ptr 0
		.amdhsa_user_sgpr_queue_ptr 0
		.amdhsa_user_sgpr_kernarg_segment_ptr 1
		.amdhsa_user_sgpr_dispatch_id 0
		.amdhsa_user_sgpr_private_segment_size 0
		.amdhsa_wavefront_size32 1
		.amdhsa_uses_dynamic_stack 0
		.amdhsa_enable_private_segment 0
		.amdhsa_system_sgpr_workgroup_id_x 1
		.amdhsa_system_sgpr_workgroup_id_y 0
		.amdhsa_system_sgpr_workgroup_id_z 0
		.amdhsa_system_sgpr_workgroup_info 0
		.amdhsa_system_vgpr_workitem_id 0
		.amdhsa_next_free_vgpr 57
		.amdhsa_next_free_sgpr 28
		.amdhsa_reserve_vcc 1
		.amdhsa_float_round_mode_32 0
		.amdhsa_float_round_mode_16_64 0
		.amdhsa_float_denorm_mode_32 3
		.amdhsa_float_denorm_mode_16_64 3
		.amdhsa_dx10_clamp 1
		.amdhsa_ieee_mode 1
		.amdhsa_fp16_overflow 0
		.amdhsa_workgroup_processor_mode 1
		.amdhsa_memory_ordered 1
		.amdhsa_forward_progress 0
		.amdhsa_shared_vgpr_count 0
		.amdhsa_exception_fp_ieee_invalid_op 0
		.amdhsa_exception_fp_denorm_src 0
		.amdhsa_exception_fp_ieee_div_zero 0
		.amdhsa_exception_fp_ieee_overflow 0
		.amdhsa_exception_fp_ieee_underflow 0
		.amdhsa_exception_fp_ieee_inexact 0
		.amdhsa_exception_int_div_zero 0
	.end_amdhsa_kernel
	.section	.text._ZN7rocprim17ROCPRIM_400000_NS6detail17trampoline_kernelINS0_13select_configILj256ELj13ELNS0_17block_load_methodE3ELS4_3ELS4_3ELNS0_20block_scan_algorithmE0ELj4294967295EEENS1_25partition_config_selectorILNS1_17partition_subalgoE3EjNS0_10empty_typeEbEEZZNS1_14partition_implILS8_3ELb0ES6_jNS0_17counting_iteratorIjlEEPS9_SE_NS0_5tupleIJPjSE_EEENSF_IJSE_SE_EEES9_SG_JZNS1_25segmented_radix_sort_implINS0_14default_configELb1EPKbPbPKlPlN2at6native12_GLOBAL__N_18offset_tEEE10hipError_tPvRmT1_PNSt15iterator_traitsISY_E10value_typeET2_T3_PNSZ_IS14_E10value_typeET4_jRbjT5_S1A_jjP12ihipStream_tbEUljE_EEESV_SW_SX_S14_S18_S1A_T6_T7_T9_mT8_S1C_bDpT10_ENKUlT_T0_E_clISt17integral_constantIbLb0EES1P_EEDaS1K_S1L_EUlS1K_E_NS1_11comp_targetILNS1_3genE9ELNS1_11target_archE1100ELNS1_3gpuE3ELNS1_3repE0EEENS1_30default_config_static_selectorELNS0_4arch9wavefront6targetE0EEEvSY_,"axG",@progbits,_ZN7rocprim17ROCPRIM_400000_NS6detail17trampoline_kernelINS0_13select_configILj256ELj13ELNS0_17block_load_methodE3ELS4_3ELS4_3ELNS0_20block_scan_algorithmE0ELj4294967295EEENS1_25partition_config_selectorILNS1_17partition_subalgoE3EjNS0_10empty_typeEbEEZZNS1_14partition_implILS8_3ELb0ES6_jNS0_17counting_iteratorIjlEEPS9_SE_NS0_5tupleIJPjSE_EEENSF_IJSE_SE_EEES9_SG_JZNS1_25segmented_radix_sort_implINS0_14default_configELb1EPKbPbPKlPlN2at6native12_GLOBAL__N_18offset_tEEE10hipError_tPvRmT1_PNSt15iterator_traitsISY_E10value_typeET2_T3_PNSZ_IS14_E10value_typeET4_jRbjT5_S1A_jjP12ihipStream_tbEUljE_EEESV_SW_SX_S14_S18_S1A_T6_T7_T9_mT8_S1C_bDpT10_ENKUlT_T0_E_clISt17integral_constantIbLb0EES1P_EEDaS1K_S1L_EUlS1K_E_NS1_11comp_targetILNS1_3genE9ELNS1_11target_archE1100ELNS1_3gpuE3ELNS1_3repE0EEENS1_30default_config_static_selectorELNS0_4arch9wavefront6targetE0EEEvSY_,comdat
.Lfunc_end1506:
	.size	_ZN7rocprim17ROCPRIM_400000_NS6detail17trampoline_kernelINS0_13select_configILj256ELj13ELNS0_17block_load_methodE3ELS4_3ELS4_3ELNS0_20block_scan_algorithmE0ELj4294967295EEENS1_25partition_config_selectorILNS1_17partition_subalgoE3EjNS0_10empty_typeEbEEZZNS1_14partition_implILS8_3ELb0ES6_jNS0_17counting_iteratorIjlEEPS9_SE_NS0_5tupleIJPjSE_EEENSF_IJSE_SE_EEES9_SG_JZNS1_25segmented_radix_sort_implINS0_14default_configELb1EPKbPbPKlPlN2at6native12_GLOBAL__N_18offset_tEEE10hipError_tPvRmT1_PNSt15iterator_traitsISY_E10value_typeET2_T3_PNSZ_IS14_E10value_typeET4_jRbjT5_S1A_jjP12ihipStream_tbEUljE_EEESV_SW_SX_S14_S18_S1A_T6_T7_T9_mT8_S1C_bDpT10_ENKUlT_T0_E_clISt17integral_constantIbLb0EES1P_EEDaS1K_S1L_EUlS1K_E_NS1_11comp_targetILNS1_3genE9ELNS1_11target_archE1100ELNS1_3gpuE3ELNS1_3repE0EEENS1_30default_config_static_selectorELNS0_4arch9wavefront6targetE0EEEvSY_, .Lfunc_end1506-_ZN7rocprim17ROCPRIM_400000_NS6detail17trampoline_kernelINS0_13select_configILj256ELj13ELNS0_17block_load_methodE3ELS4_3ELS4_3ELNS0_20block_scan_algorithmE0ELj4294967295EEENS1_25partition_config_selectorILNS1_17partition_subalgoE3EjNS0_10empty_typeEbEEZZNS1_14partition_implILS8_3ELb0ES6_jNS0_17counting_iteratorIjlEEPS9_SE_NS0_5tupleIJPjSE_EEENSF_IJSE_SE_EEES9_SG_JZNS1_25segmented_radix_sort_implINS0_14default_configELb1EPKbPbPKlPlN2at6native12_GLOBAL__N_18offset_tEEE10hipError_tPvRmT1_PNSt15iterator_traitsISY_E10value_typeET2_T3_PNSZ_IS14_E10value_typeET4_jRbjT5_S1A_jjP12ihipStream_tbEUljE_EEESV_SW_SX_S14_S18_S1A_T6_T7_T9_mT8_S1C_bDpT10_ENKUlT_T0_E_clISt17integral_constantIbLb0EES1P_EEDaS1K_S1L_EUlS1K_E_NS1_11comp_targetILNS1_3genE9ELNS1_11target_archE1100ELNS1_3gpuE3ELNS1_3repE0EEENS1_30default_config_static_selectorELNS0_4arch9wavefront6targetE0EEEvSY_
                                        ; -- End function
	.section	.AMDGPU.csdata,"",@progbits
; Kernel info:
; codeLenInByte = 8864
; NumSgprs: 30
; NumVgprs: 57
; ScratchSize: 0
; MemoryBound: 0
; FloatMode: 240
; IeeeMode: 1
; LDSByteSize: 13324 bytes/workgroup (compile time only)
; SGPRBlocks: 3
; VGPRBlocks: 7
; NumSGPRsForWavesPerEU: 30
; NumVGPRsForWavesPerEU: 57
; Occupancy: 16
; WaveLimiterHint : 0
; COMPUTE_PGM_RSRC2:SCRATCH_EN: 0
; COMPUTE_PGM_RSRC2:USER_SGPR: 15
; COMPUTE_PGM_RSRC2:TRAP_HANDLER: 0
; COMPUTE_PGM_RSRC2:TGID_X_EN: 1
; COMPUTE_PGM_RSRC2:TGID_Y_EN: 0
; COMPUTE_PGM_RSRC2:TGID_Z_EN: 0
; COMPUTE_PGM_RSRC2:TIDIG_COMP_CNT: 0
	.section	.text._ZN7rocprim17ROCPRIM_400000_NS6detail17trampoline_kernelINS0_13select_configILj256ELj13ELNS0_17block_load_methodE3ELS4_3ELS4_3ELNS0_20block_scan_algorithmE0ELj4294967295EEENS1_25partition_config_selectorILNS1_17partition_subalgoE3EjNS0_10empty_typeEbEEZZNS1_14partition_implILS8_3ELb0ES6_jNS0_17counting_iteratorIjlEEPS9_SE_NS0_5tupleIJPjSE_EEENSF_IJSE_SE_EEES9_SG_JZNS1_25segmented_radix_sort_implINS0_14default_configELb1EPKbPbPKlPlN2at6native12_GLOBAL__N_18offset_tEEE10hipError_tPvRmT1_PNSt15iterator_traitsISY_E10value_typeET2_T3_PNSZ_IS14_E10value_typeET4_jRbjT5_S1A_jjP12ihipStream_tbEUljE_EEESV_SW_SX_S14_S18_S1A_T6_T7_T9_mT8_S1C_bDpT10_ENKUlT_T0_E_clISt17integral_constantIbLb0EES1P_EEDaS1K_S1L_EUlS1K_E_NS1_11comp_targetILNS1_3genE8ELNS1_11target_archE1030ELNS1_3gpuE2ELNS1_3repE0EEENS1_30default_config_static_selectorELNS0_4arch9wavefront6targetE0EEEvSY_,"axG",@progbits,_ZN7rocprim17ROCPRIM_400000_NS6detail17trampoline_kernelINS0_13select_configILj256ELj13ELNS0_17block_load_methodE3ELS4_3ELS4_3ELNS0_20block_scan_algorithmE0ELj4294967295EEENS1_25partition_config_selectorILNS1_17partition_subalgoE3EjNS0_10empty_typeEbEEZZNS1_14partition_implILS8_3ELb0ES6_jNS0_17counting_iteratorIjlEEPS9_SE_NS0_5tupleIJPjSE_EEENSF_IJSE_SE_EEES9_SG_JZNS1_25segmented_radix_sort_implINS0_14default_configELb1EPKbPbPKlPlN2at6native12_GLOBAL__N_18offset_tEEE10hipError_tPvRmT1_PNSt15iterator_traitsISY_E10value_typeET2_T3_PNSZ_IS14_E10value_typeET4_jRbjT5_S1A_jjP12ihipStream_tbEUljE_EEESV_SW_SX_S14_S18_S1A_T6_T7_T9_mT8_S1C_bDpT10_ENKUlT_T0_E_clISt17integral_constantIbLb0EES1P_EEDaS1K_S1L_EUlS1K_E_NS1_11comp_targetILNS1_3genE8ELNS1_11target_archE1030ELNS1_3gpuE2ELNS1_3repE0EEENS1_30default_config_static_selectorELNS0_4arch9wavefront6targetE0EEEvSY_,comdat
	.globl	_ZN7rocprim17ROCPRIM_400000_NS6detail17trampoline_kernelINS0_13select_configILj256ELj13ELNS0_17block_load_methodE3ELS4_3ELS4_3ELNS0_20block_scan_algorithmE0ELj4294967295EEENS1_25partition_config_selectorILNS1_17partition_subalgoE3EjNS0_10empty_typeEbEEZZNS1_14partition_implILS8_3ELb0ES6_jNS0_17counting_iteratorIjlEEPS9_SE_NS0_5tupleIJPjSE_EEENSF_IJSE_SE_EEES9_SG_JZNS1_25segmented_radix_sort_implINS0_14default_configELb1EPKbPbPKlPlN2at6native12_GLOBAL__N_18offset_tEEE10hipError_tPvRmT1_PNSt15iterator_traitsISY_E10value_typeET2_T3_PNSZ_IS14_E10value_typeET4_jRbjT5_S1A_jjP12ihipStream_tbEUljE_EEESV_SW_SX_S14_S18_S1A_T6_T7_T9_mT8_S1C_bDpT10_ENKUlT_T0_E_clISt17integral_constantIbLb0EES1P_EEDaS1K_S1L_EUlS1K_E_NS1_11comp_targetILNS1_3genE8ELNS1_11target_archE1030ELNS1_3gpuE2ELNS1_3repE0EEENS1_30default_config_static_selectorELNS0_4arch9wavefront6targetE0EEEvSY_ ; -- Begin function _ZN7rocprim17ROCPRIM_400000_NS6detail17trampoline_kernelINS0_13select_configILj256ELj13ELNS0_17block_load_methodE3ELS4_3ELS4_3ELNS0_20block_scan_algorithmE0ELj4294967295EEENS1_25partition_config_selectorILNS1_17partition_subalgoE3EjNS0_10empty_typeEbEEZZNS1_14partition_implILS8_3ELb0ES6_jNS0_17counting_iteratorIjlEEPS9_SE_NS0_5tupleIJPjSE_EEENSF_IJSE_SE_EEES9_SG_JZNS1_25segmented_radix_sort_implINS0_14default_configELb1EPKbPbPKlPlN2at6native12_GLOBAL__N_18offset_tEEE10hipError_tPvRmT1_PNSt15iterator_traitsISY_E10value_typeET2_T3_PNSZ_IS14_E10value_typeET4_jRbjT5_S1A_jjP12ihipStream_tbEUljE_EEESV_SW_SX_S14_S18_S1A_T6_T7_T9_mT8_S1C_bDpT10_ENKUlT_T0_E_clISt17integral_constantIbLb0EES1P_EEDaS1K_S1L_EUlS1K_E_NS1_11comp_targetILNS1_3genE8ELNS1_11target_archE1030ELNS1_3gpuE2ELNS1_3repE0EEENS1_30default_config_static_selectorELNS0_4arch9wavefront6targetE0EEEvSY_
	.p2align	8
	.type	_ZN7rocprim17ROCPRIM_400000_NS6detail17trampoline_kernelINS0_13select_configILj256ELj13ELNS0_17block_load_methodE3ELS4_3ELS4_3ELNS0_20block_scan_algorithmE0ELj4294967295EEENS1_25partition_config_selectorILNS1_17partition_subalgoE3EjNS0_10empty_typeEbEEZZNS1_14partition_implILS8_3ELb0ES6_jNS0_17counting_iteratorIjlEEPS9_SE_NS0_5tupleIJPjSE_EEENSF_IJSE_SE_EEES9_SG_JZNS1_25segmented_radix_sort_implINS0_14default_configELb1EPKbPbPKlPlN2at6native12_GLOBAL__N_18offset_tEEE10hipError_tPvRmT1_PNSt15iterator_traitsISY_E10value_typeET2_T3_PNSZ_IS14_E10value_typeET4_jRbjT5_S1A_jjP12ihipStream_tbEUljE_EEESV_SW_SX_S14_S18_S1A_T6_T7_T9_mT8_S1C_bDpT10_ENKUlT_T0_E_clISt17integral_constantIbLb0EES1P_EEDaS1K_S1L_EUlS1K_E_NS1_11comp_targetILNS1_3genE8ELNS1_11target_archE1030ELNS1_3gpuE2ELNS1_3repE0EEENS1_30default_config_static_selectorELNS0_4arch9wavefront6targetE0EEEvSY_,@function
_ZN7rocprim17ROCPRIM_400000_NS6detail17trampoline_kernelINS0_13select_configILj256ELj13ELNS0_17block_load_methodE3ELS4_3ELS4_3ELNS0_20block_scan_algorithmE0ELj4294967295EEENS1_25partition_config_selectorILNS1_17partition_subalgoE3EjNS0_10empty_typeEbEEZZNS1_14partition_implILS8_3ELb0ES6_jNS0_17counting_iteratorIjlEEPS9_SE_NS0_5tupleIJPjSE_EEENSF_IJSE_SE_EEES9_SG_JZNS1_25segmented_radix_sort_implINS0_14default_configELb1EPKbPbPKlPlN2at6native12_GLOBAL__N_18offset_tEEE10hipError_tPvRmT1_PNSt15iterator_traitsISY_E10value_typeET2_T3_PNSZ_IS14_E10value_typeET4_jRbjT5_S1A_jjP12ihipStream_tbEUljE_EEESV_SW_SX_S14_S18_S1A_T6_T7_T9_mT8_S1C_bDpT10_ENKUlT_T0_E_clISt17integral_constantIbLb0EES1P_EEDaS1K_S1L_EUlS1K_E_NS1_11comp_targetILNS1_3genE8ELNS1_11target_archE1030ELNS1_3gpuE2ELNS1_3repE0EEENS1_30default_config_static_selectorELNS0_4arch9wavefront6targetE0EEEvSY_: ; @_ZN7rocprim17ROCPRIM_400000_NS6detail17trampoline_kernelINS0_13select_configILj256ELj13ELNS0_17block_load_methodE3ELS4_3ELS4_3ELNS0_20block_scan_algorithmE0ELj4294967295EEENS1_25partition_config_selectorILNS1_17partition_subalgoE3EjNS0_10empty_typeEbEEZZNS1_14partition_implILS8_3ELb0ES6_jNS0_17counting_iteratorIjlEEPS9_SE_NS0_5tupleIJPjSE_EEENSF_IJSE_SE_EEES9_SG_JZNS1_25segmented_radix_sort_implINS0_14default_configELb1EPKbPbPKlPlN2at6native12_GLOBAL__N_18offset_tEEE10hipError_tPvRmT1_PNSt15iterator_traitsISY_E10value_typeET2_T3_PNSZ_IS14_E10value_typeET4_jRbjT5_S1A_jjP12ihipStream_tbEUljE_EEESV_SW_SX_S14_S18_S1A_T6_T7_T9_mT8_S1C_bDpT10_ENKUlT_T0_E_clISt17integral_constantIbLb0EES1P_EEDaS1K_S1L_EUlS1K_E_NS1_11comp_targetILNS1_3genE8ELNS1_11target_archE1030ELNS1_3gpuE2ELNS1_3repE0EEENS1_30default_config_static_selectorELNS0_4arch9wavefront6targetE0EEEvSY_
; %bb.0:
	.section	.rodata,"a",@progbits
	.p2align	6, 0x0
	.amdhsa_kernel _ZN7rocprim17ROCPRIM_400000_NS6detail17trampoline_kernelINS0_13select_configILj256ELj13ELNS0_17block_load_methodE3ELS4_3ELS4_3ELNS0_20block_scan_algorithmE0ELj4294967295EEENS1_25partition_config_selectorILNS1_17partition_subalgoE3EjNS0_10empty_typeEbEEZZNS1_14partition_implILS8_3ELb0ES6_jNS0_17counting_iteratorIjlEEPS9_SE_NS0_5tupleIJPjSE_EEENSF_IJSE_SE_EEES9_SG_JZNS1_25segmented_radix_sort_implINS0_14default_configELb1EPKbPbPKlPlN2at6native12_GLOBAL__N_18offset_tEEE10hipError_tPvRmT1_PNSt15iterator_traitsISY_E10value_typeET2_T3_PNSZ_IS14_E10value_typeET4_jRbjT5_S1A_jjP12ihipStream_tbEUljE_EEESV_SW_SX_S14_S18_S1A_T6_T7_T9_mT8_S1C_bDpT10_ENKUlT_T0_E_clISt17integral_constantIbLb0EES1P_EEDaS1K_S1L_EUlS1K_E_NS1_11comp_targetILNS1_3genE8ELNS1_11target_archE1030ELNS1_3gpuE2ELNS1_3repE0EEENS1_30default_config_static_selectorELNS0_4arch9wavefront6targetE0EEEvSY_
		.amdhsa_group_segment_fixed_size 0
		.amdhsa_private_segment_fixed_size 0
		.amdhsa_kernarg_size 144
		.amdhsa_user_sgpr_count 15
		.amdhsa_user_sgpr_dispatch_ptr 0
		.amdhsa_user_sgpr_queue_ptr 0
		.amdhsa_user_sgpr_kernarg_segment_ptr 1
		.amdhsa_user_sgpr_dispatch_id 0
		.amdhsa_user_sgpr_private_segment_size 0
		.amdhsa_wavefront_size32 1
		.amdhsa_uses_dynamic_stack 0
		.amdhsa_enable_private_segment 0
		.amdhsa_system_sgpr_workgroup_id_x 1
		.amdhsa_system_sgpr_workgroup_id_y 0
		.amdhsa_system_sgpr_workgroup_id_z 0
		.amdhsa_system_sgpr_workgroup_info 0
		.amdhsa_system_vgpr_workitem_id 0
		.amdhsa_next_free_vgpr 1
		.amdhsa_next_free_sgpr 1
		.amdhsa_reserve_vcc 0
		.amdhsa_float_round_mode_32 0
		.amdhsa_float_round_mode_16_64 0
		.amdhsa_float_denorm_mode_32 3
		.amdhsa_float_denorm_mode_16_64 3
		.amdhsa_dx10_clamp 1
		.amdhsa_ieee_mode 1
		.amdhsa_fp16_overflow 0
		.amdhsa_workgroup_processor_mode 1
		.amdhsa_memory_ordered 1
		.amdhsa_forward_progress 0
		.amdhsa_shared_vgpr_count 0
		.amdhsa_exception_fp_ieee_invalid_op 0
		.amdhsa_exception_fp_denorm_src 0
		.amdhsa_exception_fp_ieee_div_zero 0
		.amdhsa_exception_fp_ieee_overflow 0
		.amdhsa_exception_fp_ieee_underflow 0
		.amdhsa_exception_fp_ieee_inexact 0
		.amdhsa_exception_int_div_zero 0
	.end_amdhsa_kernel
	.section	.text._ZN7rocprim17ROCPRIM_400000_NS6detail17trampoline_kernelINS0_13select_configILj256ELj13ELNS0_17block_load_methodE3ELS4_3ELS4_3ELNS0_20block_scan_algorithmE0ELj4294967295EEENS1_25partition_config_selectorILNS1_17partition_subalgoE3EjNS0_10empty_typeEbEEZZNS1_14partition_implILS8_3ELb0ES6_jNS0_17counting_iteratorIjlEEPS9_SE_NS0_5tupleIJPjSE_EEENSF_IJSE_SE_EEES9_SG_JZNS1_25segmented_radix_sort_implINS0_14default_configELb1EPKbPbPKlPlN2at6native12_GLOBAL__N_18offset_tEEE10hipError_tPvRmT1_PNSt15iterator_traitsISY_E10value_typeET2_T3_PNSZ_IS14_E10value_typeET4_jRbjT5_S1A_jjP12ihipStream_tbEUljE_EEESV_SW_SX_S14_S18_S1A_T6_T7_T9_mT8_S1C_bDpT10_ENKUlT_T0_E_clISt17integral_constantIbLb0EES1P_EEDaS1K_S1L_EUlS1K_E_NS1_11comp_targetILNS1_3genE8ELNS1_11target_archE1030ELNS1_3gpuE2ELNS1_3repE0EEENS1_30default_config_static_selectorELNS0_4arch9wavefront6targetE0EEEvSY_,"axG",@progbits,_ZN7rocprim17ROCPRIM_400000_NS6detail17trampoline_kernelINS0_13select_configILj256ELj13ELNS0_17block_load_methodE3ELS4_3ELS4_3ELNS0_20block_scan_algorithmE0ELj4294967295EEENS1_25partition_config_selectorILNS1_17partition_subalgoE3EjNS0_10empty_typeEbEEZZNS1_14partition_implILS8_3ELb0ES6_jNS0_17counting_iteratorIjlEEPS9_SE_NS0_5tupleIJPjSE_EEENSF_IJSE_SE_EEES9_SG_JZNS1_25segmented_radix_sort_implINS0_14default_configELb1EPKbPbPKlPlN2at6native12_GLOBAL__N_18offset_tEEE10hipError_tPvRmT1_PNSt15iterator_traitsISY_E10value_typeET2_T3_PNSZ_IS14_E10value_typeET4_jRbjT5_S1A_jjP12ihipStream_tbEUljE_EEESV_SW_SX_S14_S18_S1A_T6_T7_T9_mT8_S1C_bDpT10_ENKUlT_T0_E_clISt17integral_constantIbLb0EES1P_EEDaS1K_S1L_EUlS1K_E_NS1_11comp_targetILNS1_3genE8ELNS1_11target_archE1030ELNS1_3gpuE2ELNS1_3repE0EEENS1_30default_config_static_selectorELNS0_4arch9wavefront6targetE0EEEvSY_,comdat
.Lfunc_end1507:
	.size	_ZN7rocprim17ROCPRIM_400000_NS6detail17trampoline_kernelINS0_13select_configILj256ELj13ELNS0_17block_load_methodE3ELS4_3ELS4_3ELNS0_20block_scan_algorithmE0ELj4294967295EEENS1_25partition_config_selectorILNS1_17partition_subalgoE3EjNS0_10empty_typeEbEEZZNS1_14partition_implILS8_3ELb0ES6_jNS0_17counting_iteratorIjlEEPS9_SE_NS0_5tupleIJPjSE_EEENSF_IJSE_SE_EEES9_SG_JZNS1_25segmented_radix_sort_implINS0_14default_configELb1EPKbPbPKlPlN2at6native12_GLOBAL__N_18offset_tEEE10hipError_tPvRmT1_PNSt15iterator_traitsISY_E10value_typeET2_T3_PNSZ_IS14_E10value_typeET4_jRbjT5_S1A_jjP12ihipStream_tbEUljE_EEESV_SW_SX_S14_S18_S1A_T6_T7_T9_mT8_S1C_bDpT10_ENKUlT_T0_E_clISt17integral_constantIbLb0EES1P_EEDaS1K_S1L_EUlS1K_E_NS1_11comp_targetILNS1_3genE8ELNS1_11target_archE1030ELNS1_3gpuE2ELNS1_3repE0EEENS1_30default_config_static_selectorELNS0_4arch9wavefront6targetE0EEEvSY_, .Lfunc_end1507-_ZN7rocprim17ROCPRIM_400000_NS6detail17trampoline_kernelINS0_13select_configILj256ELj13ELNS0_17block_load_methodE3ELS4_3ELS4_3ELNS0_20block_scan_algorithmE0ELj4294967295EEENS1_25partition_config_selectorILNS1_17partition_subalgoE3EjNS0_10empty_typeEbEEZZNS1_14partition_implILS8_3ELb0ES6_jNS0_17counting_iteratorIjlEEPS9_SE_NS0_5tupleIJPjSE_EEENSF_IJSE_SE_EEES9_SG_JZNS1_25segmented_radix_sort_implINS0_14default_configELb1EPKbPbPKlPlN2at6native12_GLOBAL__N_18offset_tEEE10hipError_tPvRmT1_PNSt15iterator_traitsISY_E10value_typeET2_T3_PNSZ_IS14_E10value_typeET4_jRbjT5_S1A_jjP12ihipStream_tbEUljE_EEESV_SW_SX_S14_S18_S1A_T6_T7_T9_mT8_S1C_bDpT10_ENKUlT_T0_E_clISt17integral_constantIbLb0EES1P_EEDaS1K_S1L_EUlS1K_E_NS1_11comp_targetILNS1_3genE8ELNS1_11target_archE1030ELNS1_3gpuE2ELNS1_3repE0EEENS1_30default_config_static_selectorELNS0_4arch9wavefront6targetE0EEEvSY_
                                        ; -- End function
	.section	.AMDGPU.csdata,"",@progbits
; Kernel info:
; codeLenInByte = 0
; NumSgprs: 0
; NumVgprs: 0
; ScratchSize: 0
; MemoryBound: 0
; FloatMode: 240
; IeeeMode: 1
; LDSByteSize: 0 bytes/workgroup (compile time only)
; SGPRBlocks: 0
; VGPRBlocks: 0
; NumSGPRsForWavesPerEU: 1
; NumVGPRsForWavesPerEU: 1
; Occupancy: 16
; WaveLimiterHint : 0
; COMPUTE_PGM_RSRC2:SCRATCH_EN: 0
; COMPUTE_PGM_RSRC2:USER_SGPR: 15
; COMPUTE_PGM_RSRC2:TRAP_HANDLER: 0
; COMPUTE_PGM_RSRC2:TGID_X_EN: 1
; COMPUTE_PGM_RSRC2:TGID_Y_EN: 0
; COMPUTE_PGM_RSRC2:TGID_Z_EN: 0
; COMPUTE_PGM_RSRC2:TIDIG_COMP_CNT: 0
	.section	.text._ZN7rocprim17ROCPRIM_400000_NS6detail17trampoline_kernelINS0_13select_configILj256ELj13ELNS0_17block_load_methodE3ELS4_3ELS4_3ELNS0_20block_scan_algorithmE0ELj4294967295EEENS1_25partition_config_selectorILNS1_17partition_subalgoE3EjNS0_10empty_typeEbEEZZNS1_14partition_implILS8_3ELb0ES6_jNS0_17counting_iteratorIjlEEPS9_SE_NS0_5tupleIJPjSE_EEENSF_IJSE_SE_EEES9_SG_JZNS1_25segmented_radix_sort_implINS0_14default_configELb1EPKbPbPKlPlN2at6native12_GLOBAL__N_18offset_tEEE10hipError_tPvRmT1_PNSt15iterator_traitsISY_E10value_typeET2_T3_PNSZ_IS14_E10value_typeET4_jRbjT5_S1A_jjP12ihipStream_tbEUljE_EEESV_SW_SX_S14_S18_S1A_T6_T7_T9_mT8_S1C_bDpT10_ENKUlT_T0_E_clISt17integral_constantIbLb1EES1P_EEDaS1K_S1L_EUlS1K_E_NS1_11comp_targetILNS1_3genE0ELNS1_11target_archE4294967295ELNS1_3gpuE0ELNS1_3repE0EEENS1_30default_config_static_selectorELNS0_4arch9wavefront6targetE0EEEvSY_,"axG",@progbits,_ZN7rocprim17ROCPRIM_400000_NS6detail17trampoline_kernelINS0_13select_configILj256ELj13ELNS0_17block_load_methodE3ELS4_3ELS4_3ELNS0_20block_scan_algorithmE0ELj4294967295EEENS1_25partition_config_selectorILNS1_17partition_subalgoE3EjNS0_10empty_typeEbEEZZNS1_14partition_implILS8_3ELb0ES6_jNS0_17counting_iteratorIjlEEPS9_SE_NS0_5tupleIJPjSE_EEENSF_IJSE_SE_EEES9_SG_JZNS1_25segmented_radix_sort_implINS0_14default_configELb1EPKbPbPKlPlN2at6native12_GLOBAL__N_18offset_tEEE10hipError_tPvRmT1_PNSt15iterator_traitsISY_E10value_typeET2_T3_PNSZ_IS14_E10value_typeET4_jRbjT5_S1A_jjP12ihipStream_tbEUljE_EEESV_SW_SX_S14_S18_S1A_T6_T7_T9_mT8_S1C_bDpT10_ENKUlT_T0_E_clISt17integral_constantIbLb1EES1P_EEDaS1K_S1L_EUlS1K_E_NS1_11comp_targetILNS1_3genE0ELNS1_11target_archE4294967295ELNS1_3gpuE0ELNS1_3repE0EEENS1_30default_config_static_selectorELNS0_4arch9wavefront6targetE0EEEvSY_,comdat
	.globl	_ZN7rocprim17ROCPRIM_400000_NS6detail17trampoline_kernelINS0_13select_configILj256ELj13ELNS0_17block_load_methodE3ELS4_3ELS4_3ELNS0_20block_scan_algorithmE0ELj4294967295EEENS1_25partition_config_selectorILNS1_17partition_subalgoE3EjNS0_10empty_typeEbEEZZNS1_14partition_implILS8_3ELb0ES6_jNS0_17counting_iteratorIjlEEPS9_SE_NS0_5tupleIJPjSE_EEENSF_IJSE_SE_EEES9_SG_JZNS1_25segmented_radix_sort_implINS0_14default_configELb1EPKbPbPKlPlN2at6native12_GLOBAL__N_18offset_tEEE10hipError_tPvRmT1_PNSt15iterator_traitsISY_E10value_typeET2_T3_PNSZ_IS14_E10value_typeET4_jRbjT5_S1A_jjP12ihipStream_tbEUljE_EEESV_SW_SX_S14_S18_S1A_T6_T7_T9_mT8_S1C_bDpT10_ENKUlT_T0_E_clISt17integral_constantIbLb1EES1P_EEDaS1K_S1L_EUlS1K_E_NS1_11comp_targetILNS1_3genE0ELNS1_11target_archE4294967295ELNS1_3gpuE0ELNS1_3repE0EEENS1_30default_config_static_selectorELNS0_4arch9wavefront6targetE0EEEvSY_ ; -- Begin function _ZN7rocprim17ROCPRIM_400000_NS6detail17trampoline_kernelINS0_13select_configILj256ELj13ELNS0_17block_load_methodE3ELS4_3ELS4_3ELNS0_20block_scan_algorithmE0ELj4294967295EEENS1_25partition_config_selectorILNS1_17partition_subalgoE3EjNS0_10empty_typeEbEEZZNS1_14partition_implILS8_3ELb0ES6_jNS0_17counting_iteratorIjlEEPS9_SE_NS0_5tupleIJPjSE_EEENSF_IJSE_SE_EEES9_SG_JZNS1_25segmented_radix_sort_implINS0_14default_configELb1EPKbPbPKlPlN2at6native12_GLOBAL__N_18offset_tEEE10hipError_tPvRmT1_PNSt15iterator_traitsISY_E10value_typeET2_T3_PNSZ_IS14_E10value_typeET4_jRbjT5_S1A_jjP12ihipStream_tbEUljE_EEESV_SW_SX_S14_S18_S1A_T6_T7_T9_mT8_S1C_bDpT10_ENKUlT_T0_E_clISt17integral_constantIbLb1EES1P_EEDaS1K_S1L_EUlS1K_E_NS1_11comp_targetILNS1_3genE0ELNS1_11target_archE4294967295ELNS1_3gpuE0ELNS1_3repE0EEENS1_30default_config_static_selectorELNS0_4arch9wavefront6targetE0EEEvSY_
	.p2align	8
	.type	_ZN7rocprim17ROCPRIM_400000_NS6detail17trampoline_kernelINS0_13select_configILj256ELj13ELNS0_17block_load_methodE3ELS4_3ELS4_3ELNS0_20block_scan_algorithmE0ELj4294967295EEENS1_25partition_config_selectorILNS1_17partition_subalgoE3EjNS0_10empty_typeEbEEZZNS1_14partition_implILS8_3ELb0ES6_jNS0_17counting_iteratorIjlEEPS9_SE_NS0_5tupleIJPjSE_EEENSF_IJSE_SE_EEES9_SG_JZNS1_25segmented_radix_sort_implINS0_14default_configELb1EPKbPbPKlPlN2at6native12_GLOBAL__N_18offset_tEEE10hipError_tPvRmT1_PNSt15iterator_traitsISY_E10value_typeET2_T3_PNSZ_IS14_E10value_typeET4_jRbjT5_S1A_jjP12ihipStream_tbEUljE_EEESV_SW_SX_S14_S18_S1A_T6_T7_T9_mT8_S1C_bDpT10_ENKUlT_T0_E_clISt17integral_constantIbLb1EES1P_EEDaS1K_S1L_EUlS1K_E_NS1_11comp_targetILNS1_3genE0ELNS1_11target_archE4294967295ELNS1_3gpuE0ELNS1_3repE0EEENS1_30default_config_static_selectorELNS0_4arch9wavefront6targetE0EEEvSY_,@function
_ZN7rocprim17ROCPRIM_400000_NS6detail17trampoline_kernelINS0_13select_configILj256ELj13ELNS0_17block_load_methodE3ELS4_3ELS4_3ELNS0_20block_scan_algorithmE0ELj4294967295EEENS1_25partition_config_selectorILNS1_17partition_subalgoE3EjNS0_10empty_typeEbEEZZNS1_14partition_implILS8_3ELb0ES6_jNS0_17counting_iteratorIjlEEPS9_SE_NS0_5tupleIJPjSE_EEENSF_IJSE_SE_EEES9_SG_JZNS1_25segmented_radix_sort_implINS0_14default_configELb1EPKbPbPKlPlN2at6native12_GLOBAL__N_18offset_tEEE10hipError_tPvRmT1_PNSt15iterator_traitsISY_E10value_typeET2_T3_PNSZ_IS14_E10value_typeET4_jRbjT5_S1A_jjP12ihipStream_tbEUljE_EEESV_SW_SX_S14_S18_S1A_T6_T7_T9_mT8_S1C_bDpT10_ENKUlT_T0_E_clISt17integral_constantIbLb1EES1P_EEDaS1K_S1L_EUlS1K_E_NS1_11comp_targetILNS1_3genE0ELNS1_11target_archE4294967295ELNS1_3gpuE0ELNS1_3repE0EEENS1_30default_config_static_selectorELNS0_4arch9wavefront6targetE0EEEvSY_: ; @_ZN7rocprim17ROCPRIM_400000_NS6detail17trampoline_kernelINS0_13select_configILj256ELj13ELNS0_17block_load_methodE3ELS4_3ELS4_3ELNS0_20block_scan_algorithmE0ELj4294967295EEENS1_25partition_config_selectorILNS1_17partition_subalgoE3EjNS0_10empty_typeEbEEZZNS1_14partition_implILS8_3ELb0ES6_jNS0_17counting_iteratorIjlEEPS9_SE_NS0_5tupleIJPjSE_EEENSF_IJSE_SE_EEES9_SG_JZNS1_25segmented_radix_sort_implINS0_14default_configELb1EPKbPbPKlPlN2at6native12_GLOBAL__N_18offset_tEEE10hipError_tPvRmT1_PNSt15iterator_traitsISY_E10value_typeET2_T3_PNSZ_IS14_E10value_typeET4_jRbjT5_S1A_jjP12ihipStream_tbEUljE_EEESV_SW_SX_S14_S18_S1A_T6_T7_T9_mT8_S1C_bDpT10_ENKUlT_T0_E_clISt17integral_constantIbLb1EES1P_EEDaS1K_S1L_EUlS1K_E_NS1_11comp_targetILNS1_3genE0ELNS1_11target_archE4294967295ELNS1_3gpuE0ELNS1_3repE0EEENS1_30default_config_static_selectorELNS0_4arch9wavefront6targetE0EEEvSY_
; %bb.0:
	.section	.rodata,"a",@progbits
	.p2align	6, 0x0
	.amdhsa_kernel _ZN7rocprim17ROCPRIM_400000_NS6detail17trampoline_kernelINS0_13select_configILj256ELj13ELNS0_17block_load_methodE3ELS4_3ELS4_3ELNS0_20block_scan_algorithmE0ELj4294967295EEENS1_25partition_config_selectorILNS1_17partition_subalgoE3EjNS0_10empty_typeEbEEZZNS1_14partition_implILS8_3ELb0ES6_jNS0_17counting_iteratorIjlEEPS9_SE_NS0_5tupleIJPjSE_EEENSF_IJSE_SE_EEES9_SG_JZNS1_25segmented_radix_sort_implINS0_14default_configELb1EPKbPbPKlPlN2at6native12_GLOBAL__N_18offset_tEEE10hipError_tPvRmT1_PNSt15iterator_traitsISY_E10value_typeET2_T3_PNSZ_IS14_E10value_typeET4_jRbjT5_S1A_jjP12ihipStream_tbEUljE_EEESV_SW_SX_S14_S18_S1A_T6_T7_T9_mT8_S1C_bDpT10_ENKUlT_T0_E_clISt17integral_constantIbLb1EES1P_EEDaS1K_S1L_EUlS1K_E_NS1_11comp_targetILNS1_3genE0ELNS1_11target_archE4294967295ELNS1_3gpuE0ELNS1_3repE0EEENS1_30default_config_static_selectorELNS0_4arch9wavefront6targetE0EEEvSY_
		.amdhsa_group_segment_fixed_size 0
		.amdhsa_private_segment_fixed_size 0
		.amdhsa_kernarg_size 152
		.amdhsa_user_sgpr_count 15
		.amdhsa_user_sgpr_dispatch_ptr 0
		.amdhsa_user_sgpr_queue_ptr 0
		.amdhsa_user_sgpr_kernarg_segment_ptr 1
		.amdhsa_user_sgpr_dispatch_id 0
		.amdhsa_user_sgpr_private_segment_size 0
		.amdhsa_wavefront_size32 1
		.amdhsa_uses_dynamic_stack 0
		.amdhsa_enable_private_segment 0
		.amdhsa_system_sgpr_workgroup_id_x 1
		.amdhsa_system_sgpr_workgroup_id_y 0
		.amdhsa_system_sgpr_workgroup_id_z 0
		.amdhsa_system_sgpr_workgroup_info 0
		.amdhsa_system_vgpr_workitem_id 0
		.amdhsa_next_free_vgpr 1
		.amdhsa_next_free_sgpr 1
		.amdhsa_reserve_vcc 0
		.amdhsa_float_round_mode_32 0
		.amdhsa_float_round_mode_16_64 0
		.amdhsa_float_denorm_mode_32 3
		.amdhsa_float_denorm_mode_16_64 3
		.amdhsa_dx10_clamp 1
		.amdhsa_ieee_mode 1
		.amdhsa_fp16_overflow 0
		.amdhsa_workgroup_processor_mode 1
		.amdhsa_memory_ordered 1
		.amdhsa_forward_progress 0
		.amdhsa_shared_vgpr_count 0
		.amdhsa_exception_fp_ieee_invalid_op 0
		.amdhsa_exception_fp_denorm_src 0
		.amdhsa_exception_fp_ieee_div_zero 0
		.amdhsa_exception_fp_ieee_overflow 0
		.amdhsa_exception_fp_ieee_underflow 0
		.amdhsa_exception_fp_ieee_inexact 0
		.amdhsa_exception_int_div_zero 0
	.end_amdhsa_kernel
	.section	.text._ZN7rocprim17ROCPRIM_400000_NS6detail17trampoline_kernelINS0_13select_configILj256ELj13ELNS0_17block_load_methodE3ELS4_3ELS4_3ELNS0_20block_scan_algorithmE0ELj4294967295EEENS1_25partition_config_selectorILNS1_17partition_subalgoE3EjNS0_10empty_typeEbEEZZNS1_14partition_implILS8_3ELb0ES6_jNS0_17counting_iteratorIjlEEPS9_SE_NS0_5tupleIJPjSE_EEENSF_IJSE_SE_EEES9_SG_JZNS1_25segmented_radix_sort_implINS0_14default_configELb1EPKbPbPKlPlN2at6native12_GLOBAL__N_18offset_tEEE10hipError_tPvRmT1_PNSt15iterator_traitsISY_E10value_typeET2_T3_PNSZ_IS14_E10value_typeET4_jRbjT5_S1A_jjP12ihipStream_tbEUljE_EEESV_SW_SX_S14_S18_S1A_T6_T7_T9_mT8_S1C_bDpT10_ENKUlT_T0_E_clISt17integral_constantIbLb1EES1P_EEDaS1K_S1L_EUlS1K_E_NS1_11comp_targetILNS1_3genE0ELNS1_11target_archE4294967295ELNS1_3gpuE0ELNS1_3repE0EEENS1_30default_config_static_selectorELNS0_4arch9wavefront6targetE0EEEvSY_,"axG",@progbits,_ZN7rocprim17ROCPRIM_400000_NS6detail17trampoline_kernelINS0_13select_configILj256ELj13ELNS0_17block_load_methodE3ELS4_3ELS4_3ELNS0_20block_scan_algorithmE0ELj4294967295EEENS1_25partition_config_selectorILNS1_17partition_subalgoE3EjNS0_10empty_typeEbEEZZNS1_14partition_implILS8_3ELb0ES6_jNS0_17counting_iteratorIjlEEPS9_SE_NS0_5tupleIJPjSE_EEENSF_IJSE_SE_EEES9_SG_JZNS1_25segmented_radix_sort_implINS0_14default_configELb1EPKbPbPKlPlN2at6native12_GLOBAL__N_18offset_tEEE10hipError_tPvRmT1_PNSt15iterator_traitsISY_E10value_typeET2_T3_PNSZ_IS14_E10value_typeET4_jRbjT5_S1A_jjP12ihipStream_tbEUljE_EEESV_SW_SX_S14_S18_S1A_T6_T7_T9_mT8_S1C_bDpT10_ENKUlT_T0_E_clISt17integral_constantIbLb1EES1P_EEDaS1K_S1L_EUlS1K_E_NS1_11comp_targetILNS1_3genE0ELNS1_11target_archE4294967295ELNS1_3gpuE0ELNS1_3repE0EEENS1_30default_config_static_selectorELNS0_4arch9wavefront6targetE0EEEvSY_,comdat
.Lfunc_end1508:
	.size	_ZN7rocprim17ROCPRIM_400000_NS6detail17trampoline_kernelINS0_13select_configILj256ELj13ELNS0_17block_load_methodE3ELS4_3ELS4_3ELNS0_20block_scan_algorithmE0ELj4294967295EEENS1_25partition_config_selectorILNS1_17partition_subalgoE3EjNS0_10empty_typeEbEEZZNS1_14partition_implILS8_3ELb0ES6_jNS0_17counting_iteratorIjlEEPS9_SE_NS0_5tupleIJPjSE_EEENSF_IJSE_SE_EEES9_SG_JZNS1_25segmented_radix_sort_implINS0_14default_configELb1EPKbPbPKlPlN2at6native12_GLOBAL__N_18offset_tEEE10hipError_tPvRmT1_PNSt15iterator_traitsISY_E10value_typeET2_T3_PNSZ_IS14_E10value_typeET4_jRbjT5_S1A_jjP12ihipStream_tbEUljE_EEESV_SW_SX_S14_S18_S1A_T6_T7_T9_mT8_S1C_bDpT10_ENKUlT_T0_E_clISt17integral_constantIbLb1EES1P_EEDaS1K_S1L_EUlS1K_E_NS1_11comp_targetILNS1_3genE0ELNS1_11target_archE4294967295ELNS1_3gpuE0ELNS1_3repE0EEENS1_30default_config_static_selectorELNS0_4arch9wavefront6targetE0EEEvSY_, .Lfunc_end1508-_ZN7rocprim17ROCPRIM_400000_NS6detail17trampoline_kernelINS0_13select_configILj256ELj13ELNS0_17block_load_methodE3ELS4_3ELS4_3ELNS0_20block_scan_algorithmE0ELj4294967295EEENS1_25partition_config_selectorILNS1_17partition_subalgoE3EjNS0_10empty_typeEbEEZZNS1_14partition_implILS8_3ELb0ES6_jNS0_17counting_iteratorIjlEEPS9_SE_NS0_5tupleIJPjSE_EEENSF_IJSE_SE_EEES9_SG_JZNS1_25segmented_radix_sort_implINS0_14default_configELb1EPKbPbPKlPlN2at6native12_GLOBAL__N_18offset_tEEE10hipError_tPvRmT1_PNSt15iterator_traitsISY_E10value_typeET2_T3_PNSZ_IS14_E10value_typeET4_jRbjT5_S1A_jjP12ihipStream_tbEUljE_EEESV_SW_SX_S14_S18_S1A_T6_T7_T9_mT8_S1C_bDpT10_ENKUlT_T0_E_clISt17integral_constantIbLb1EES1P_EEDaS1K_S1L_EUlS1K_E_NS1_11comp_targetILNS1_3genE0ELNS1_11target_archE4294967295ELNS1_3gpuE0ELNS1_3repE0EEENS1_30default_config_static_selectorELNS0_4arch9wavefront6targetE0EEEvSY_
                                        ; -- End function
	.section	.AMDGPU.csdata,"",@progbits
; Kernel info:
; codeLenInByte = 0
; NumSgprs: 0
; NumVgprs: 0
; ScratchSize: 0
; MemoryBound: 0
; FloatMode: 240
; IeeeMode: 1
; LDSByteSize: 0 bytes/workgroup (compile time only)
; SGPRBlocks: 0
; VGPRBlocks: 0
; NumSGPRsForWavesPerEU: 1
; NumVGPRsForWavesPerEU: 1
; Occupancy: 16
; WaveLimiterHint : 0
; COMPUTE_PGM_RSRC2:SCRATCH_EN: 0
; COMPUTE_PGM_RSRC2:USER_SGPR: 15
; COMPUTE_PGM_RSRC2:TRAP_HANDLER: 0
; COMPUTE_PGM_RSRC2:TGID_X_EN: 1
; COMPUTE_PGM_RSRC2:TGID_Y_EN: 0
; COMPUTE_PGM_RSRC2:TGID_Z_EN: 0
; COMPUTE_PGM_RSRC2:TIDIG_COMP_CNT: 0
	.section	.text._ZN7rocprim17ROCPRIM_400000_NS6detail17trampoline_kernelINS0_13select_configILj256ELj13ELNS0_17block_load_methodE3ELS4_3ELS4_3ELNS0_20block_scan_algorithmE0ELj4294967295EEENS1_25partition_config_selectorILNS1_17partition_subalgoE3EjNS0_10empty_typeEbEEZZNS1_14partition_implILS8_3ELb0ES6_jNS0_17counting_iteratorIjlEEPS9_SE_NS0_5tupleIJPjSE_EEENSF_IJSE_SE_EEES9_SG_JZNS1_25segmented_radix_sort_implINS0_14default_configELb1EPKbPbPKlPlN2at6native12_GLOBAL__N_18offset_tEEE10hipError_tPvRmT1_PNSt15iterator_traitsISY_E10value_typeET2_T3_PNSZ_IS14_E10value_typeET4_jRbjT5_S1A_jjP12ihipStream_tbEUljE_EEESV_SW_SX_S14_S18_S1A_T6_T7_T9_mT8_S1C_bDpT10_ENKUlT_T0_E_clISt17integral_constantIbLb1EES1P_EEDaS1K_S1L_EUlS1K_E_NS1_11comp_targetILNS1_3genE5ELNS1_11target_archE942ELNS1_3gpuE9ELNS1_3repE0EEENS1_30default_config_static_selectorELNS0_4arch9wavefront6targetE0EEEvSY_,"axG",@progbits,_ZN7rocprim17ROCPRIM_400000_NS6detail17trampoline_kernelINS0_13select_configILj256ELj13ELNS0_17block_load_methodE3ELS4_3ELS4_3ELNS0_20block_scan_algorithmE0ELj4294967295EEENS1_25partition_config_selectorILNS1_17partition_subalgoE3EjNS0_10empty_typeEbEEZZNS1_14partition_implILS8_3ELb0ES6_jNS0_17counting_iteratorIjlEEPS9_SE_NS0_5tupleIJPjSE_EEENSF_IJSE_SE_EEES9_SG_JZNS1_25segmented_radix_sort_implINS0_14default_configELb1EPKbPbPKlPlN2at6native12_GLOBAL__N_18offset_tEEE10hipError_tPvRmT1_PNSt15iterator_traitsISY_E10value_typeET2_T3_PNSZ_IS14_E10value_typeET4_jRbjT5_S1A_jjP12ihipStream_tbEUljE_EEESV_SW_SX_S14_S18_S1A_T6_T7_T9_mT8_S1C_bDpT10_ENKUlT_T0_E_clISt17integral_constantIbLb1EES1P_EEDaS1K_S1L_EUlS1K_E_NS1_11comp_targetILNS1_3genE5ELNS1_11target_archE942ELNS1_3gpuE9ELNS1_3repE0EEENS1_30default_config_static_selectorELNS0_4arch9wavefront6targetE0EEEvSY_,comdat
	.globl	_ZN7rocprim17ROCPRIM_400000_NS6detail17trampoline_kernelINS0_13select_configILj256ELj13ELNS0_17block_load_methodE3ELS4_3ELS4_3ELNS0_20block_scan_algorithmE0ELj4294967295EEENS1_25partition_config_selectorILNS1_17partition_subalgoE3EjNS0_10empty_typeEbEEZZNS1_14partition_implILS8_3ELb0ES6_jNS0_17counting_iteratorIjlEEPS9_SE_NS0_5tupleIJPjSE_EEENSF_IJSE_SE_EEES9_SG_JZNS1_25segmented_radix_sort_implINS0_14default_configELb1EPKbPbPKlPlN2at6native12_GLOBAL__N_18offset_tEEE10hipError_tPvRmT1_PNSt15iterator_traitsISY_E10value_typeET2_T3_PNSZ_IS14_E10value_typeET4_jRbjT5_S1A_jjP12ihipStream_tbEUljE_EEESV_SW_SX_S14_S18_S1A_T6_T7_T9_mT8_S1C_bDpT10_ENKUlT_T0_E_clISt17integral_constantIbLb1EES1P_EEDaS1K_S1L_EUlS1K_E_NS1_11comp_targetILNS1_3genE5ELNS1_11target_archE942ELNS1_3gpuE9ELNS1_3repE0EEENS1_30default_config_static_selectorELNS0_4arch9wavefront6targetE0EEEvSY_ ; -- Begin function _ZN7rocprim17ROCPRIM_400000_NS6detail17trampoline_kernelINS0_13select_configILj256ELj13ELNS0_17block_load_methodE3ELS4_3ELS4_3ELNS0_20block_scan_algorithmE0ELj4294967295EEENS1_25partition_config_selectorILNS1_17partition_subalgoE3EjNS0_10empty_typeEbEEZZNS1_14partition_implILS8_3ELb0ES6_jNS0_17counting_iteratorIjlEEPS9_SE_NS0_5tupleIJPjSE_EEENSF_IJSE_SE_EEES9_SG_JZNS1_25segmented_radix_sort_implINS0_14default_configELb1EPKbPbPKlPlN2at6native12_GLOBAL__N_18offset_tEEE10hipError_tPvRmT1_PNSt15iterator_traitsISY_E10value_typeET2_T3_PNSZ_IS14_E10value_typeET4_jRbjT5_S1A_jjP12ihipStream_tbEUljE_EEESV_SW_SX_S14_S18_S1A_T6_T7_T9_mT8_S1C_bDpT10_ENKUlT_T0_E_clISt17integral_constantIbLb1EES1P_EEDaS1K_S1L_EUlS1K_E_NS1_11comp_targetILNS1_3genE5ELNS1_11target_archE942ELNS1_3gpuE9ELNS1_3repE0EEENS1_30default_config_static_selectorELNS0_4arch9wavefront6targetE0EEEvSY_
	.p2align	8
	.type	_ZN7rocprim17ROCPRIM_400000_NS6detail17trampoline_kernelINS0_13select_configILj256ELj13ELNS0_17block_load_methodE3ELS4_3ELS4_3ELNS0_20block_scan_algorithmE0ELj4294967295EEENS1_25partition_config_selectorILNS1_17partition_subalgoE3EjNS0_10empty_typeEbEEZZNS1_14partition_implILS8_3ELb0ES6_jNS0_17counting_iteratorIjlEEPS9_SE_NS0_5tupleIJPjSE_EEENSF_IJSE_SE_EEES9_SG_JZNS1_25segmented_radix_sort_implINS0_14default_configELb1EPKbPbPKlPlN2at6native12_GLOBAL__N_18offset_tEEE10hipError_tPvRmT1_PNSt15iterator_traitsISY_E10value_typeET2_T3_PNSZ_IS14_E10value_typeET4_jRbjT5_S1A_jjP12ihipStream_tbEUljE_EEESV_SW_SX_S14_S18_S1A_T6_T7_T9_mT8_S1C_bDpT10_ENKUlT_T0_E_clISt17integral_constantIbLb1EES1P_EEDaS1K_S1L_EUlS1K_E_NS1_11comp_targetILNS1_3genE5ELNS1_11target_archE942ELNS1_3gpuE9ELNS1_3repE0EEENS1_30default_config_static_selectorELNS0_4arch9wavefront6targetE0EEEvSY_,@function
_ZN7rocprim17ROCPRIM_400000_NS6detail17trampoline_kernelINS0_13select_configILj256ELj13ELNS0_17block_load_methodE3ELS4_3ELS4_3ELNS0_20block_scan_algorithmE0ELj4294967295EEENS1_25partition_config_selectorILNS1_17partition_subalgoE3EjNS0_10empty_typeEbEEZZNS1_14partition_implILS8_3ELb0ES6_jNS0_17counting_iteratorIjlEEPS9_SE_NS0_5tupleIJPjSE_EEENSF_IJSE_SE_EEES9_SG_JZNS1_25segmented_radix_sort_implINS0_14default_configELb1EPKbPbPKlPlN2at6native12_GLOBAL__N_18offset_tEEE10hipError_tPvRmT1_PNSt15iterator_traitsISY_E10value_typeET2_T3_PNSZ_IS14_E10value_typeET4_jRbjT5_S1A_jjP12ihipStream_tbEUljE_EEESV_SW_SX_S14_S18_S1A_T6_T7_T9_mT8_S1C_bDpT10_ENKUlT_T0_E_clISt17integral_constantIbLb1EES1P_EEDaS1K_S1L_EUlS1K_E_NS1_11comp_targetILNS1_3genE5ELNS1_11target_archE942ELNS1_3gpuE9ELNS1_3repE0EEENS1_30default_config_static_selectorELNS0_4arch9wavefront6targetE0EEEvSY_: ; @_ZN7rocprim17ROCPRIM_400000_NS6detail17trampoline_kernelINS0_13select_configILj256ELj13ELNS0_17block_load_methodE3ELS4_3ELS4_3ELNS0_20block_scan_algorithmE0ELj4294967295EEENS1_25partition_config_selectorILNS1_17partition_subalgoE3EjNS0_10empty_typeEbEEZZNS1_14partition_implILS8_3ELb0ES6_jNS0_17counting_iteratorIjlEEPS9_SE_NS0_5tupleIJPjSE_EEENSF_IJSE_SE_EEES9_SG_JZNS1_25segmented_radix_sort_implINS0_14default_configELb1EPKbPbPKlPlN2at6native12_GLOBAL__N_18offset_tEEE10hipError_tPvRmT1_PNSt15iterator_traitsISY_E10value_typeET2_T3_PNSZ_IS14_E10value_typeET4_jRbjT5_S1A_jjP12ihipStream_tbEUljE_EEESV_SW_SX_S14_S18_S1A_T6_T7_T9_mT8_S1C_bDpT10_ENKUlT_T0_E_clISt17integral_constantIbLb1EES1P_EEDaS1K_S1L_EUlS1K_E_NS1_11comp_targetILNS1_3genE5ELNS1_11target_archE942ELNS1_3gpuE9ELNS1_3repE0EEENS1_30default_config_static_selectorELNS0_4arch9wavefront6targetE0EEEvSY_
; %bb.0:
	.section	.rodata,"a",@progbits
	.p2align	6, 0x0
	.amdhsa_kernel _ZN7rocprim17ROCPRIM_400000_NS6detail17trampoline_kernelINS0_13select_configILj256ELj13ELNS0_17block_load_methodE3ELS4_3ELS4_3ELNS0_20block_scan_algorithmE0ELj4294967295EEENS1_25partition_config_selectorILNS1_17partition_subalgoE3EjNS0_10empty_typeEbEEZZNS1_14partition_implILS8_3ELb0ES6_jNS0_17counting_iteratorIjlEEPS9_SE_NS0_5tupleIJPjSE_EEENSF_IJSE_SE_EEES9_SG_JZNS1_25segmented_radix_sort_implINS0_14default_configELb1EPKbPbPKlPlN2at6native12_GLOBAL__N_18offset_tEEE10hipError_tPvRmT1_PNSt15iterator_traitsISY_E10value_typeET2_T3_PNSZ_IS14_E10value_typeET4_jRbjT5_S1A_jjP12ihipStream_tbEUljE_EEESV_SW_SX_S14_S18_S1A_T6_T7_T9_mT8_S1C_bDpT10_ENKUlT_T0_E_clISt17integral_constantIbLb1EES1P_EEDaS1K_S1L_EUlS1K_E_NS1_11comp_targetILNS1_3genE5ELNS1_11target_archE942ELNS1_3gpuE9ELNS1_3repE0EEENS1_30default_config_static_selectorELNS0_4arch9wavefront6targetE0EEEvSY_
		.amdhsa_group_segment_fixed_size 0
		.amdhsa_private_segment_fixed_size 0
		.amdhsa_kernarg_size 152
		.amdhsa_user_sgpr_count 15
		.amdhsa_user_sgpr_dispatch_ptr 0
		.amdhsa_user_sgpr_queue_ptr 0
		.amdhsa_user_sgpr_kernarg_segment_ptr 1
		.amdhsa_user_sgpr_dispatch_id 0
		.amdhsa_user_sgpr_private_segment_size 0
		.amdhsa_wavefront_size32 1
		.amdhsa_uses_dynamic_stack 0
		.amdhsa_enable_private_segment 0
		.amdhsa_system_sgpr_workgroup_id_x 1
		.amdhsa_system_sgpr_workgroup_id_y 0
		.amdhsa_system_sgpr_workgroup_id_z 0
		.amdhsa_system_sgpr_workgroup_info 0
		.amdhsa_system_vgpr_workitem_id 0
		.amdhsa_next_free_vgpr 1
		.amdhsa_next_free_sgpr 1
		.amdhsa_reserve_vcc 0
		.amdhsa_float_round_mode_32 0
		.amdhsa_float_round_mode_16_64 0
		.amdhsa_float_denorm_mode_32 3
		.amdhsa_float_denorm_mode_16_64 3
		.amdhsa_dx10_clamp 1
		.amdhsa_ieee_mode 1
		.amdhsa_fp16_overflow 0
		.amdhsa_workgroup_processor_mode 1
		.amdhsa_memory_ordered 1
		.amdhsa_forward_progress 0
		.amdhsa_shared_vgpr_count 0
		.amdhsa_exception_fp_ieee_invalid_op 0
		.amdhsa_exception_fp_denorm_src 0
		.amdhsa_exception_fp_ieee_div_zero 0
		.amdhsa_exception_fp_ieee_overflow 0
		.amdhsa_exception_fp_ieee_underflow 0
		.amdhsa_exception_fp_ieee_inexact 0
		.amdhsa_exception_int_div_zero 0
	.end_amdhsa_kernel
	.section	.text._ZN7rocprim17ROCPRIM_400000_NS6detail17trampoline_kernelINS0_13select_configILj256ELj13ELNS0_17block_load_methodE3ELS4_3ELS4_3ELNS0_20block_scan_algorithmE0ELj4294967295EEENS1_25partition_config_selectorILNS1_17partition_subalgoE3EjNS0_10empty_typeEbEEZZNS1_14partition_implILS8_3ELb0ES6_jNS0_17counting_iteratorIjlEEPS9_SE_NS0_5tupleIJPjSE_EEENSF_IJSE_SE_EEES9_SG_JZNS1_25segmented_radix_sort_implINS0_14default_configELb1EPKbPbPKlPlN2at6native12_GLOBAL__N_18offset_tEEE10hipError_tPvRmT1_PNSt15iterator_traitsISY_E10value_typeET2_T3_PNSZ_IS14_E10value_typeET4_jRbjT5_S1A_jjP12ihipStream_tbEUljE_EEESV_SW_SX_S14_S18_S1A_T6_T7_T9_mT8_S1C_bDpT10_ENKUlT_T0_E_clISt17integral_constantIbLb1EES1P_EEDaS1K_S1L_EUlS1K_E_NS1_11comp_targetILNS1_3genE5ELNS1_11target_archE942ELNS1_3gpuE9ELNS1_3repE0EEENS1_30default_config_static_selectorELNS0_4arch9wavefront6targetE0EEEvSY_,"axG",@progbits,_ZN7rocprim17ROCPRIM_400000_NS6detail17trampoline_kernelINS0_13select_configILj256ELj13ELNS0_17block_load_methodE3ELS4_3ELS4_3ELNS0_20block_scan_algorithmE0ELj4294967295EEENS1_25partition_config_selectorILNS1_17partition_subalgoE3EjNS0_10empty_typeEbEEZZNS1_14partition_implILS8_3ELb0ES6_jNS0_17counting_iteratorIjlEEPS9_SE_NS0_5tupleIJPjSE_EEENSF_IJSE_SE_EEES9_SG_JZNS1_25segmented_radix_sort_implINS0_14default_configELb1EPKbPbPKlPlN2at6native12_GLOBAL__N_18offset_tEEE10hipError_tPvRmT1_PNSt15iterator_traitsISY_E10value_typeET2_T3_PNSZ_IS14_E10value_typeET4_jRbjT5_S1A_jjP12ihipStream_tbEUljE_EEESV_SW_SX_S14_S18_S1A_T6_T7_T9_mT8_S1C_bDpT10_ENKUlT_T0_E_clISt17integral_constantIbLb1EES1P_EEDaS1K_S1L_EUlS1K_E_NS1_11comp_targetILNS1_3genE5ELNS1_11target_archE942ELNS1_3gpuE9ELNS1_3repE0EEENS1_30default_config_static_selectorELNS0_4arch9wavefront6targetE0EEEvSY_,comdat
.Lfunc_end1509:
	.size	_ZN7rocprim17ROCPRIM_400000_NS6detail17trampoline_kernelINS0_13select_configILj256ELj13ELNS0_17block_load_methodE3ELS4_3ELS4_3ELNS0_20block_scan_algorithmE0ELj4294967295EEENS1_25partition_config_selectorILNS1_17partition_subalgoE3EjNS0_10empty_typeEbEEZZNS1_14partition_implILS8_3ELb0ES6_jNS0_17counting_iteratorIjlEEPS9_SE_NS0_5tupleIJPjSE_EEENSF_IJSE_SE_EEES9_SG_JZNS1_25segmented_radix_sort_implINS0_14default_configELb1EPKbPbPKlPlN2at6native12_GLOBAL__N_18offset_tEEE10hipError_tPvRmT1_PNSt15iterator_traitsISY_E10value_typeET2_T3_PNSZ_IS14_E10value_typeET4_jRbjT5_S1A_jjP12ihipStream_tbEUljE_EEESV_SW_SX_S14_S18_S1A_T6_T7_T9_mT8_S1C_bDpT10_ENKUlT_T0_E_clISt17integral_constantIbLb1EES1P_EEDaS1K_S1L_EUlS1K_E_NS1_11comp_targetILNS1_3genE5ELNS1_11target_archE942ELNS1_3gpuE9ELNS1_3repE0EEENS1_30default_config_static_selectorELNS0_4arch9wavefront6targetE0EEEvSY_, .Lfunc_end1509-_ZN7rocprim17ROCPRIM_400000_NS6detail17trampoline_kernelINS0_13select_configILj256ELj13ELNS0_17block_load_methodE3ELS4_3ELS4_3ELNS0_20block_scan_algorithmE0ELj4294967295EEENS1_25partition_config_selectorILNS1_17partition_subalgoE3EjNS0_10empty_typeEbEEZZNS1_14partition_implILS8_3ELb0ES6_jNS0_17counting_iteratorIjlEEPS9_SE_NS0_5tupleIJPjSE_EEENSF_IJSE_SE_EEES9_SG_JZNS1_25segmented_radix_sort_implINS0_14default_configELb1EPKbPbPKlPlN2at6native12_GLOBAL__N_18offset_tEEE10hipError_tPvRmT1_PNSt15iterator_traitsISY_E10value_typeET2_T3_PNSZ_IS14_E10value_typeET4_jRbjT5_S1A_jjP12ihipStream_tbEUljE_EEESV_SW_SX_S14_S18_S1A_T6_T7_T9_mT8_S1C_bDpT10_ENKUlT_T0_E_clISt17integral_constantIbLb1EES1P_EEDaS1K_S1L_EUlS1K_E_NS1_11comp_targetILNS1_3genE5ELNS1_11target_archE942ELNS1_3gpuE9ELNS1_3repE0EEENS1_30default_config_static_selectorELNS0_4arch9wavefront6targetE0EEEvSY_
                                        ; -- End function
	.section	.AMDGPU.csdata,"",@progbits
; Kernel info:
; codeLenInByte = 0
; NumSgprs: 0
; NumVgprs: 0
; ScratchSize: 0
; MemoryBound: 0
; FloatMode: 240
; IeeeMode: 1
; LDSByteSize: 0 bytes/workgroup (compile time only)
; SGPRBlocks: 0
; VGPRBlocks: 0
; NumSGPRsForWavesPerEU: 1
; NumVGPRsForWavesPerEU: 1
; Occupancy: 16
; WaveLimiterHint : 0
; COMPUTE_PGM_RSRC2:SCRATCH_EN: 0
; COMPUTE_PGM_RSRC2:USER_SGPR: 15
; COMPUTE_PGM_RSRC2:TRAP_HANDLER: 0
; COMPUTE_PGM_RSRC2:TGID_X_EN: 1
; COMPUTE_PGM_RSRC2:TGID_Y_EN: 0
; COMPUTE_PGM_RSRC2:TGID_Z_EN: 0
; COMPUTE_PGM_RSRC2:TIDIG_COMP_CNT: 0
	.section	.text._ZN7rocprim17ROCPRIM_400000_NS6detail17trampoline_kernelINS0_13select_configILj256ELj13ELNS0_17block_load_methodE3ELS4_3ELS4_3ELNS0_20block_scan_algorithmE0ELj4294967295EEENS1_25partition_config_selectorILNS1_17partition_subalgoE3EjNS0_10empty_typeEbEEZZNS1_14partition_implILS8_3ELb0ES6_jNS0_17counting_iteratorIjlEEPS9_SE_NS0_5tupleIJPjSE_EEENSF_IJSE_SE_EEES9_SG_JZNS1_25segmented_radix_sort_implINS0_14default_configELb1EPKbPbPKlPlN2at6native12_GLOBAL__N_18offset_tEEE10hipError_tPvRmT1_PNSt15iterator_traitsISY_E10value_typeET2_T3_PNSZ_IS14_E10value_typeET4_jRbjT5_S1A_jjP12ihipStream_tbEUljE_EEESV_SW_SX_S14_S18_S1A_T6_T7_T9_mT8_S1C_bDpT10_ENKUlT_T0_E_clISt17integral_constantIbLb1EES1P_EEDaS1K_S1L_EUlS1K_E_NS1_11comp_targetILNS1_3genE4ELNS1_11target_archE910ELNS1_3gpuE8ELNS1_3repE0EEENS1_30default_config_static_selectorELNS0_4arch9wavefront6targetE0EEEvSY_,"axG",@progbits,_ZN7rocprim17ROCPRIM_400000_NS6detail17trampoline_kernelINS0_13select_configILj256ELj13ELNS0_17block_load_methodE3ELS4_3ELS4_3ELNS0_20block_scan_algorithmE0ELj4294967295EEENS1_25partition_config_selectorILNS1_17partition_subalgoE3EjNS0_10empty_typeEbEEZZNS1_14partition_implILS8_3ELb0ES6_jNS0_17counting_iteratorIjlEEPS9_SE_NS0_5tupleIJPjSE_EEENSF_IJSE_SE_EEES9_SG_JZNS1_25segmented_radix_sort_implINS0_14default_configELb1EPKbPbPKlPlN2at6native12_GLOBAL__N_18offset_tEEE10hipError_tPvRmT1_PNSt15iterator_traitsISY_E10value_typeET2_T3_PNSZ_IS14_E10value_typeET4_jRbjT5_S1A_jjP12ihipStream_tbEUljE_EEESV_SW_SX_S14_S18_S1A_T6_T7_T9_mT8_S1C_bDpT10_ENKUlT_T0_E_clISt17integral_constantIbLb1EES1P_EEDaS1K_S1L_EUlS1K_E_NS1_11comp_targetILNS1_3genE4ELNS1_11target_archE910ELNS1_3gpuE8ELNS1_3repE0EEENS1_30default_config_static_selectorELNS0_4arch9wavefront6targetE0EEEvSY_,comdat
	.globl	_ZN7rocprim17ROCPRIM_400000_NS6detail17trampoline_kernelINS0_13select_configILj256ELj13ELNS0_17block_load_methodE3ELS4_3ELS4_3ELNS0_20block_scan_algorithmE0ELj4294967295EEENS1_25partition_config_selectorILNS1_17partition_subalgoE3EjNS0_10empty_typeEbEEZZNS1_14partition_implILS8_3ELb0ES6_jNS0_17counting_iteratorIjlEEPS9_SE_NS0_5tupleIJPjSE_EEENSF_IJSE_SE_EEES9_SG_JZNS1_25segmented_radix_sort_implINS0_14default_configELb1EPKbPbPKlPlN2at6native12_GLOBAL__N_18offset_tEEE10hipError_tPvRmT1_PNSt15iterator_traitsISY_E10value_typeET2_T3_PNSZ_IS14_E10value_typeET4_jRbjT5_S1A_jjP12ihipStream_tbEUljE_EEESV_SW_SX_S14_S18_S1A_T6_T7_T9_mT8_S1C_bDpT10_ENKUlT_T0_E_clISt17integral_constantIbLb1EES1P_EEDaS1K_S1L_EUlS1K_E_NS1_11comp_targetILNS1_3genE4ELNS1_11target_archE910ELNS1_3gpuE8ELNS1_3repE0EEENS1_30default_config_static_selectorELNS0_4arch9wavefront6targetE0EEEvSY_ ; -- Begin function _ZN7rocprim17ROCPRIM_400000_NS6detail17trampoline_kernelINS0_13select_configILj256ELj13ELNS0_17block_load_methodE3ELS4_3ELS4_3ELNS0_20block_scan_algorithmE0ELj4294967295EEENS1_25partition_config_selectorILNS1_17partition_subalgoE3EjNS0_10empty_typeEbEEZZNS1_14partition_implILS8_3ELb0ES6_jNS0_17counting_iteratorIjlEEPS9_SE_NS0_5tupleIJPjSE_EEENSF_IJSE_SE_EEES9_SG_JZNS1_25segmented_radix_sort_implINS0_14default_configELb1EPKbPbPKlPlN2at6native12_GLOBAL__N_18offset_tEEE10hipError_tPvRmT1_PNSt15iterator_traitsISY_E10value_typeET2_T3_PNSZ_IS14_E10value_typeET4_jRbjT5_S1A_jjP12ihipStream_tbEUljE_EEESV_SW_SX_S14_S18_S1A_T6_T7_T9_mT8_S1C_bDpT10_ENKUlT_T0_E_clISt17integral_constantIbLb1EES1P_EEDaS1K_S1L_EUlS1K_E_NS1_11comp_targetILNS1_3genE4ELNS1_11target_archE910ELNS1_3gpuE8ELNS1_3repE0EEENS1_30default_config_static_selectorELNS0_4arch9wavefront6targetE0EEEvSY_
	.p2align	8
	.type	_ZN7rocprim17ROCPRIM_400000_NS6detail17trampoline_kernelINS0_13select_configILj256ELj13ELNS0_17block_load_methodE3ELS4_3ELS4_3ELNS0_20block_scan_algorithmE0ELj4294967295EEENS1_25partition_config_selectorILNS1_17partition_subalgoE3EjNS0_10empty_typeEbEEZZNS1_14partition_implILS8_3ELb0ES6_jNS0_17counting_iteratorIjlEEPS9_SE_NS0_5tupleIJPjSE_EEENSF_IJSE_SE_EEES9_SG_JZNS1_25segmented_radix_sort_implINS0_14default_configELb1EPKbPbPKlPlN2at6native12_GLOBAL__N_18offset_tEEE10hipError_tPvRmT1_PNSt15iterator_traitsISY_E10value_typeET2_T3_PNSZ_IS14_E10value_typeET4_jRbjT5_S1A_jjP12ihipStream_tbEUljE_EEESV_SW_SX_S14_S18_S1A_T6_T7_T9_mT8_S1C_bDpT10_ENKUlT_T0_E_clISt17integral_constantIbLb1EES1P_EEDaS1K_S1L_EUlS1K_E_NS1_11comp_targetILNS1_3genE4ELNS1_11target_archE910ELNS1_3gpuE8ELNS1_3repE0EEENS1_30default_config_static_selectorELNS0_4arch9wavefront6targetE0EEEvSY_,@function
_ZN7rocprim17ROCPRIM_400000_NS6detail17trampoline_kernelINS0_13select_configILj256ELj13ELNS0_17block_load_methodE3ELS4_3ELS4_3ELNS0_20block_scan_algorithmE0ELj4294967295EEENS1_25partition_config_selectorILNS1_17partition_subalgoE3EjNS0_10empty_typeEbEEZZNS1_14partition_implILS8_3ELb0ES6_jNS0_17counting_iteratorIjlEEPS9_SE_NS0_5tupleIJPjSE_EEENSF_IJSE_SE_EEES9_SG_JZNS1_25segmented_radix_sort_implINS0_14default_configELb1EPKbPbPKlPlN2at6native12_GLOBAL__N_18offset_tEEE10hipError_tPvRmT1_PNSt15iterator_traitsISY_E10value_typeET2_T3_PNSZ_IS14_E10value_typeET4_jRbjT5_S1A_jjP12ihipStream_tbEUljE_EEESV_SW_SX_S14_S18_S1A_T6_T7_T9_mT8_S1C_bDpT10_ENKUlT_T0_E_clISt17integral_constantIbLb1EES1P_EEDaS1K_S1L_EUlS1K_E_NS1_11comp_targetILNS1_3genE4ELNS1_11target_archE910ELNS1_3gpuE8ELNS1_3repE0EEENS1_30default_config_static_selectorELNS0_4arch9wavefront6targetE0EEEvSY_: ; @_ZN7rocprim17ROCPRIM_400000_NS6detail17trampoline_kernelINS0_13select_configILj256ELj13ELNS0_17block_load_methodE3ELS4_3ELS4_3ELNS0_20block_scan_algorithmE0ELj4294967295EEENS1_25partition_config_selectorILNS1_17partition_subalgoE3EjNS0_10empty_typeEbEEZZNS1_14partition_implILS8_3ELb0ES6_jNS0_17counting_iteratorIjlEEPS9_SE_NS0_5tupleIJPjSE_EEENSF_IJSE_SE_EEES9_SG_JZNS1_25segmented_radix_sort_implINS0_14default_configELb1EPKbPbPKlPlN2at6native12_GLOBAL__N_18offset_tEEE10hipError_tPvRmT1_PNSt15iterator_traitsISY_E10value_typeET2_T3_PNSZ_IS14_E10value_typeET4_jRbjT5_S1A_jjP12ihipStream_tbEUljE_EEESV_SW_SX_S14_S18_S1A_T6_T7_T9_mT8_S1C_bDpT10_ENKUlT_T0_E_clISt17integral_constantIbLb1EES1P_EEDaS1K_S1L_EUlS1K_E_NS1_11comp_targetILNS1_3genE4ELNS1_11target_archE910ELNS1_3gpuE8ELNS1_3repE0EEENS1_30default_config_static_selectorELNS0_4arch9wavefront6targetE0EEEvSY_
; %bb.0:
	.section	.rodata,"a",@progbits
	.p2align	6, 0x0
	.amdhsa_kernel _ZN7rocprim17ROCPRIM_400000_NS6detail17trampoline_kernelINS0_13select_configILj256ELj13ELNS0_17block_load_methodE3ELS4_3ELS4_3ELNS0_20block_scan_algorithmE0ELj4294967295EEENS1_25partition_config_selectorILNS1_17partition_subalgoE3EjNS0_10empty_typeEbEEZZNS1_14partition_implILS8_3ELb0ES6_jNS0_17counting_iteratorIjlEEPS9_SE_NS0_5tupleIJPjSE_EEENSF_IJSE_SE_EEES9_SG_JZNS1_25segmented_radix_sort_implINS0_14default_configELb1EPKbPbPKlPlN2at6native12_GLOBAL__N_18offset_tEEE10hipError_tPvRmT1_PNSt15iterator_traitsISY_E10value_typeET2_T3_PNSZ_IS14_E10value_typeET4_jRbjT5_S1A_jjP12ihipStream_tbEUljE_EEESV_SW_SX_S14_S18_S1A_T6_T7_T9_mT8_S1C_bDpT10_ENKUlT_T0_E_clISt17integral_constantIbLb1EES1P_EEDaS1K_S1L_EUlS1K_E_NS1_11comp_targetILNS1_3genE4ELNS1_11target_archE910ELNS1_3gpuE8ELNS1_3repE0EEENS1_30default_config_static_selectorELNS0_4arch9wavefront6targetE0EEEvSY_
		.amdhsa_group_segment_fixed_size 0
		.amdhsa_private_segment_fixed_size 0
		.amdhsa_kernarg_size 152
		.amdhsa_user_sgpr_count 15
		.amdhsa_user_sgpr_dispatch_ptr 0
		.amdhsa_user_sgpr_queue_ptr 0
		.amdhsa_user_sgpr_kernarg_segment_ptr 1
		.amdhsa_user_sgpr_dispatch_id 0
		.amdhsa_user_sgpr_private_segment_size 0
		.amdhsa_wavefront_size32 1
		.amdhsa_uses_dynamic_stack 0
		.amdhsa_enable_private_segment 0
		.amdhsa_system_sgpr_workgroup_id_x 1
		.amdhsa_system_sgpr_workgroup_id_y 0
		.amdhsa_system_sgpr_workgroup_id_z 0
		.amdhsa_system_sgpr_workgroup_info 0
		.amdhsa_system_vgpr_workitem_id 0
		.amdhsa_next_free_vgpr 1
		.amdhsa_next_free_sgpr 1
		.amdhsa_reserve_vcc 0
		.amdhsa_float_round_mode_32 0
		.amdhsa_float_round_mode_16_64 0
		.amdhsa_float_denorm_mode_32 3
		.amdhsa_float_denorm_mode_16_64 3
		.amdhsa_dx10_clamp 1
		.amdhsa_ieee_mode 1
		.amdhsa_fp16_overflow 0
		.amdhsa_workgroup_processor_mode 1
		.amdhsa_memory_ordered 1
		.amdhsa_forward_progress 0
		.amdhsa_shared_vgpr_count 0
		.amdhsa_exception_fp_ieee_invalid_op 0
		.amdhsa_exception_fp_denorm_src 0
		.amdhsa_exception_fp_ieee_div_zero 0
		.amdhsa_exception_fp_ieee_overflow 0
		.amdhsa_exception_fp_ieee_underflow 0
		.amdhsa_exception_fp_ieee_inexact 0
		.amdhsa_exception_int_div_zero 0
	.end_amdhsa_kernel
	.section	.text._ZN7rocprim17ROCPRIM_400000_NS6detail17trampoline_kernelINS0_13select_configILj256ELj13ELNS0_17block_load_methodE3ELS4_3ELS4_3ELNS0_20block_scan_algorithmE0ELj4294967295EEENS1_25partition_config_selectorILNS1_17partition_subalgoE3EjNS0_10empty_typeEbEEZZNS1_14partition_implILS8_3ELb0ES6_jNS0_17counting_iteratorIjlEEPS9_SE_NS0_5tupleIJPjSE_EEENSF_IJSE_SE_EEES9_SG_JZNS1_25segmented_radix_sort_implINS0_14default_configELb1EPKbPbPKlPlN2at6native12_GLOBAL__N_18offset_tEEE10hipError_tPvRmT1_PNSt15iterator_traitsISY_E10value_typeET2_T3_PNSZ_IS14_E10value_typeET4_jRbjT5_S1A_jjP12ihipStream_tbEUljE_EEESV_SW_SX_S14_S18_S1A_T6_T7_T9_mT8_S1C_bDpT10_ENKUlT_T0_E_clISt17integral_constantIbLb1EES1P_EEDaS1K_S1L_EUlS1K_E_NS1_11comp_targetILNS1_3genE4ELNS1_11target_archE910ELNS1_3gpuE8ELNS1_3repE0EEENS1_30default_config_static_selectorELNS0_4arch9wavefront6targetE0EEEvSY_,"axG",@progbits,_ZN7rocprim17ROCPRIM_400000_NS6detail17trampoline_kernelINS0_13select_configILj256ELj13ELNS0_17block_load_methodE3ELS4_3ELS4_3ELNS0_20block_scan_algorithmE0ELj4294967295EEENS1_25partition_config_selectorILNS1_17partition_subalgoE3EjNS0_10empty_typeEbEEZZNS1_14partition_implILS8_3ELb0ES6_jNS0_17counting_iteratorIjlEEPS9_SE_NS0_5tupleIJPjSE_EEENSF_IJSE_SE_EEES9_SG_JZNS1_25segmented_radix_sort_implINS0_14default_configELb1EPKbPbPKlPlN2at6native12_GLOBAL__N_18offset_tEEE10hipError_tPvRmT1_PNSt15iterator_traitsISY_E10value_typeET2_T3_PNSZ_IS14_E10value_typeET4_jRbjT5_S1A_jjP12ihipStream_tbEUljE_EEESV_SW_SX_S14_S18_S1A_T6_T7_T9_mT8_S1C_bDpT10_ENKUlT_T0_E_clISt17integral_constantIbLb1EES1P_EEDaS1K_S1L_EUlS1K_E_NS1_11comp_targetILNS1_3genE4ELNS1_11target_archE910ELNS1_3gpuE8ELNS1_3repE0EEENS1_30default_config_static_selectorELNS0_4arch9wavefront6targetE0EEEvSY_,comdat
.Lfunc_end1510:
	.size	_ZN7rocprim17ROCPRIM_400000_NS6detail17trampoline_kernelINS0_13select_configILj256ELj13ELNS0_17block_load_methodE3ELS4_3ELS4_3ELNS0_20block_scan_algorithmE0ELj4294967295EEENS1_25partition_config_selectorILNS1_17partition_subalgoE3EjNS0_10empty_typeEbEEZZNS1_14partition_implILS8_3ELb0ES6_jNS0_17counting_iteratorIjlEEPS9_SE_NS0_5tupleIJPjSE_EEENSF_IJSE_SE_EEES9_SG_JZNS1_25segmented_radix_sort_implINS0_14default_configELb1EPKbPbPKlPlN2at6native12_GLOBAL__N_18offset_tEEE10hipError_tPvRmT1_PNSt15iterator_traitsISY_E10value_typeET2_T3_PNSZ_IS14_E10value_typeET4_jRbjT5_S1A_jjP12ihipStream_tbEUljE_EEESV_SW_SX_S14_S18_S1A_T6_T7_T9_mT8_S1C_bDpT10_ENKUlT_T0_E_clISt17integral_constantIbLb1EES1P_EEDaS1K_S1L_EUlS1K_E_NS1_11comp_targetILNS1_3genE4ELNS1_11target_archE910ELNS1_3gpuE8ELNS1_3repE0EEENS1_30default_config_static_selectorELNS0_4arch9wavefront6targetE0EEEvSY_, .Lfunc_end1510-_ZN7rocprim17ROCPRIM_400000_NS6detail17trampoline_kernelINS0_13select_configILj256ELj13ELNS0_17block_load_methodE3ELS4_3ELS4_3ELNS0_20block_scan_algorithmE0ELj4294967295EEENS1_25partition_config_selectorILNS1_17partition_subalgoE3EjNS0_10empty_typeEbEEZZNS1_14partition_implILS8_3ELb0ES6_jNS0_17counting_iteratorIjlEEPS9_SE_NS0_5tupleIJPjSE_EEENSF_IJSE_SE_EEES9_SG_JZNS1_25segmented_radix_sort_implINS0_14default_configELb1EPKbPbPKlPlN2at6native12_GLOBAL__N_18offset_tEEE10hipError_tPvRmT1_PNSt15iterator_traitsISY_E10value_typeET2_T3_PNSZ_IS14_E10value_typeET4_jRbjT5_S1A_jjP12ihipStream_tbEUljE_EEESV_SW_SX_S14_S18_S1A_T6_T7_T9_mT8_S1C_bDpT10_ENKUlT_T0_E_clISt17integral_constantIbLb1EES1P_EEDaS1K_S1L_EUlS1K_E_NS1_11comp_targetILNS1_3genE4ELNS1_11target_archE910ELNS1_3gpuE8ELNS1_3repE0EEENS1_30default_config_static_selectorELNS0_4arch9wavefront6targetE0EEEvSY_
                                        ; -- End function
	.section	.AMDGPU.csdata,"",@progbits
; Kernel info:
; codeLenInByte = 0
; NumSgprs: 0
; NumVgprs: 0
; ScratchSize: 0
; MemoryBound: 0
; FloatMode: 240
; IeeeMode: 1
; LDSByteSize: 0 bytes/workgroup (compile time only)
; SGPRBlocks: 0
; VGPRBlocks: 0
; NumSGPRsForWavesPerEU: 1
; NumVGPRsForWavesPerEU: 1
; Occupancy: 16
; WaveLimiterHint : 0
; COMPUTE_PGM_RSRC2:SCRATCH_EN: 0
; COMPUTE_PGM_RSRC2:USER_SGPR: 15
; COMPUTE_PGM_RSRC2:TRAP_HANDLER: 0
; COMPUTE_PGM_RSRC2:TGID_X_EN: 1
; COMPUTE_PGM_RSRC2:TGID_Y_EN: 0
; COMPUTE_PGM_RSRC2:TGID_Z_EN: 0
; COMPUTE_PGM_RSRC2:TIDIG_COMP_CNT: 0
	.section	.text._ZN7rocprim17ROCPRIM_400000_NS6detail17trampoline_kernelINS0_13select_configILj256ELj13ELNS0_17block_load_methodE3ELS4_3ELS4_3ELNS0_20block_scan_algorithmE0ELj4294967295EEENS1_25partition_config_selectorILNS1_17partition_subalgoE3EjNS0_10empty_typeEbEEZZNS1_14partition_implILS8_3ELb0ES6_jNS0_17counting_iteratorIjlEEPS9_SE_NS0_5tupleIJPjSE_EEENSF_IJSE_SE_EEES9_SG_JZNS1_25segmented_radix_sort_implINS0_14default_configELb1EPKbPbPKlPlN2at6native12_GLOBAL__N_18offset_tEEE10hipError_tPvRmT1_PNSt15iterator_traitsISY_E10value_typeET2_T3_PNSZ_IS14_E10value_typeET4_jRbjT5_S1A_jjP12ihipStream_tbEUljE_EEESV_SW_SX_S14_S18_S1A_T6_T7_T9_mT8_S1C_bDpT10_ENKUlT_T0_E_clISt17integral_constantIbLb1EES1P_EEDaS1K_S1L_EUlS1K_E_NS1_11comp_targetILNS1_3genE3ELNS1_11target_archE908ELNS1_3gpuE7ELNS1_3repE0EEENS1_30default_config_static_selectorELNS0_4arch9wavefront6targetE0EEEvSY_,"axG",@progbits,_ZN7rocprim17ROCPRIM_400000_NS6detail17trampoline_kernelINS0_13select_configILj256ELj13ELNS0_17block_load_methodE3ELS4_3ELS4_3ELNS0_20block_scan_algorithmE0ELj4294967295EEENS1_25partition_config_selectorILNS1_17partition_subalgoE3EjNS0_10empty_typeEbEEZZNS1_14partition_implILS8_3ELb0ES6_jNS0_17counting_iteratorIjlEEPS9_SE_NS0_5tupleIJPjSE_EEENSF_IJSE_SE_EEES9_SG_JZNS1_25segmented_radix_sort_implINS0_14default_configELb1EPKbPbPKlPlN2at6native12_GLOBAL__N_18offset_tEEE10hipError_tPvRmT1_PNSt15iterator_traitsISY_E10value_typeET2_T3_PNSZ_IS14_E10value_typeET4_jRbjT5_S1A_jjP12ihipStream_tbEUljE_EEESV_SW_SX_S14_S18_S1A_T6_T7_T9_mT8_S1C_bDpT10_ENKUlT_T0_E_clISt17integral_constantIbLb1EES1P_EEDaS1K_S1L_EUlS1K_E_NS1_11comp_targetILNS1_3genE3ELNS1_11target_archE908ELNS1_3gpuE7ELNS1_3repE0EEENS1_30default_config_static_selectorELNS0_4arch9wavefront6targetE0EEEvSY_,comdat
	.globl	_ZN7rocprim17ROCPRIM_400000_NS6detail17trampoline_kernelINS0_13select_configILj256ELj13ELNS0_17block_load_methodE3ELS4_3ELS4_3ELNS0_20block_scan_algorithmE0ELj4294967295EEENS1_25partition_config_selectorILNS1_17partition_subalgoE3EjNS0_10empty_typeEbEEZZNS1_14partition_implILS8_3ELb0ES6_jNS0_17counting_iteratorIjlEEPS9_SE_NS0_5tupleIJPjSE_EEENSF_IJSE_SE_EEES9_SG_JZNS1_25segmented_radix_sort_implINS0_14default_configELb1EPKbPbPKlPlN2at6native12_GLOBAL__N_18offset_tEEE10hipError_tPvRmT1_PNSt15iterator_traitsISY_E10value_typeET2_T3_PNSZ_IS14_E10value_typeET4_jRbjT5_S1A_jjP12ihipStream_tbEUljE_EEESV_SW_SX_S14_S18_S1A_T6_T7_T9_mT8_S1C_bDpT10_ENKUlT_T0_E_clISt17integral_constantIbLb1EES1P_EEDaS1K_S1L_EUlS1K_E_NS1_11comp_targetILNS1_3genE3ELNS1_11target_archE908ELNS1_3gpuE7ELNS1_3repE0EEENS1_30default_config_static_selectorELNS0_4arch9wavefront6targetE0EEEvSY_ ; -- Begin function _ZN7rocprim17ROCPRIM_400000_NS6detail17trampoline_kernelINS0_13select_configILj256ELj13ELNS0_17block_load_methodE3ELS4_3ELS4_3ELNS0_20block_scan_algorithmE0ELj4294967295EEENS1_25partition_config_selectorILNS1_17partition_subalgoE3EjNS0_10empty_typeEbEEZZNS1_14partition_implILS8_3ELb0ES6_jNS0_17counting_iteratorIjlEEPS9_SE_NS0_5tupleIJPjSE_EEENSF_IJSE_SE_EEES9_SG_JZNS1_25segmented_radix_sort_implINS0_14default_configELb1EPKbPbPKlPlN2at6native12_GLOBAL__N_18offset_tEEE10hipError_tPvRmT1_PNSt15iterator_traitsISY_E10value_typeET2_T3_PNSZ_IS14_E10value_typeET4_jRbjT5_S1A_jjP12ihipStream_tbEUljE_EEESV_SW_SX_S14_S18_S1A_T6_T7_T9_mT8_S1C_bDpT10_ENKUlT_T0_E_clISt17integral_constantIbLb1EES1P_EEDaS1K_S1L_EUlS1K_E_NS1_11comp_targetILNS1_3genE3ELNS1_11target_archE908ELNS1_3gpuE7ELNS1_3repE0EEENS1_30default_config_static_selectorELNS0_4arch9wavefront6targetE0EEEvSY_
	.p2align	8
	.type	_ZN7rocprim17ROCPRIM_400000_NS6detail17trampoline_kernelINS0_13select_configILj256ELj13ELNS0_17block_load_methodE3ELS4_3ELS4_3ELNS0_20block_scan_algorithmE0ELj4294967295EEENS1_25partition_config_selectorILNS1_17partition_subalgoE3EjNS0_10empty_typeEbEEZZNS1_14partition_implILS8_3ELb0ES6_jNS0_17counting_iteratorIjlEEPS9_SE_NS0_5tupleIJPjSE_EEENSF_IJSE_SE_EEES9_SG_JZNS1_25segmented_radix_sort_implINS0_14default_configELb1EPKbPbPKlPlN2at6native12_GLOBAL__N_18offset_tEEE10hipError_tPvRmT1_PNSt15iterator_traitsISY_E10value_typeET2_T3_PNSZ_IS14_E10value_typeET4_jRbjT5_S1A_jjP12ihipStream_tbEUljE_EEESV_SW_SX_S14_S18_S1A_T6_T7_T9_mT8_S1C_bDpT10_ENKUlT_T0_E_clISt17integral_constantIbLb1EES1P_EEDaS1K_S1L_EUlS1K_E_NS1_11comp_targetILNS1_3genE3ELNS1_11target_archE908ELNS1_3gpuE7ELNS1_3repE0EEENS1_30default_config_static_selectorELNS0_4arch9wavefront6targetE0EEEvSY_,@function
_ZN7rocprim17ROCPRIM_400000_NS6detail17trampoline_kernelINS0_13select_configILj256ELj13ELNS0_17block_load_methodE3ELS4_3ELS4_3ELNS0_20block_scan_algorithmE0ELj4294967295EEENS1_25partition_config_selectorILNS1_17partition_subalgoE3EjNS0_10empty_typeEbEEZZNS1_14partition_implILS8_3ELb0ES6_jNS0_17counting_iteratorIjlEEPS9_SE_NS0_5tupleIJPjSE_EEENSF_IJSE_SE_EEES9_SG_JZNS1_25segmented_radix_sort_implINS0_14default_configELb1EPKbPbPKlPlN2at6native12_GLOBAL__N_18offset_tEEE10hipError_tPvRmT1_PNSt15iterator_traitsISY_E10value_typeET2_T3_PNSZ_IS14_E10value_typeET4_jRbjT5_S1A_jjP12ihipStream_tbEUljE_EEESV_SW_SX_S14_S18_S1A_T6_T7_T9_mT8_S1C_bDpT10_ENKUlT_T0_E_clISt17integral_constantIbLb1EES1P_EEDaS1K_S1L_EUlS1K_E_NS1_11comp_targetILNS1_3genE3ELNS1_11target_archE908ELNS1_3gpuE7ELNS1_3repE0EEENS1_30default_config_static_selectorELNS0_4arch9wavefront6targetE0EEEvSY_: ; @_ZN7rocprim17ROCPRIM_400000_NS6detail17trampoline_kernelINS0_13select_configILj256ELj13ELNS0_17block_load_methodE3ELS4_3ELS4_3ELNS0_20block_scan_algorithmE0ELj4294967295EEENS1_25partition_config_selectorILNS1_17partition_subalgoE3EjNS0_10empty_typeEbEEZZNS1_14partition_implILS8_3ELb0ES6_jNS0_17counting_iteratorIjlEEPS9_SE_NS0_5tupleIJPjSE_EEENSF_IJSE_SE_EEES9_SG_JZNS1_25segmented_radix_sort_implINS0_14default_configELb1EPKbPbPKlPlN2at6native12_GLOBAL__N_18offset_tEEE10hipError_tPvRmT1_PNSt15iterator_traitsISY_E10value_typeET2_T3_PNSZ_IS14_E10value_typeET4_jRbjT5_S1A_jjP12ihipStream_tbEUljE_EEESV_SW_SX_S14_S18_S1A_T6_T7_T9_mT8_S1C_bDpT10_ENKUlT_T0_E_clISt17integral_constantIbLb1EES1P_EEDaS1K_S1L_EUlS1K_E_NS1_11comp_targetILNS1_3genE3ELNS1_11target_archE908ELNS1_3gpuE7ELNS1_3repE0EEENS1_30default_config_static_selectorELNS0_4arch9wavefront6targetE0EEEvSY_
; %bb.0:
	.section	.rodata,"a",@progbits
	.p2align	6, 0x0
	.amdhsa_kernel _ZN7rocprim17ROCPRIM_400000_NS6detail17trampoline_kernelINS0_13select_configILj256ELj13ELNS0_17block_load_methodE3ELS4_3ELS4_3ELNS0_20block_scan_algorithmE0ELj4294967295EEENS1_25partition_config_selectorILNS1_17partition_subalgoE3EjNS0_10empty_typeEbEEZZNS1_14partition_implILS8_3ELb0ES6_jNS0_17counting_iteratorIjlEEPS9_SE_NS0_5tupleIJPjSE_EEENSF_IJSE_SE_EEES9_SG_JZNS1_25segmented_radix_sort_implINS0_14default_configELb1EPKbPbPKlPlN2at6native12_GLOBAL__N_18offset_tEEE10hipError_tPvRmT1_PNSt15iterator_traitsISY_E10value_typeET2_T3_PNSZ_IS14_E10value_typeET4_jRbjT5_S1A_jjP12ihipStream_tbEUljE_EEESV_SW_SX_S14_S18_S1A_T6_T7_T9_mT8_S1C_bDpT10_ENKUlT_T0_E_clISt17integral_constantIbLb1EES1P_EEDaS1K_S1L_EUlS1K_E_NS1_11comp_targetILNS1_3genE3ELNS1_11target_archE908ELNS1_3gpuE7ELNS1_3repE0EEENS1_30default_config_static_selectorELNS0_4arch9wavefront6targetE0EEEvSY_
		.amdhsa_group_segment_fixed_size 0
		.amdhsa_private_segment_fixed_size 0
		.amdhsa_kernarg_size 152
		.amdhsa_user_sgpr_count 15
		.amdhsa_user_sgpr_dispatch_ptr 0
		.amdhsa_user_sgpr_queue_ptr 0
		.amdhsa_user_sgpr_kernarg_segment_ptr 1
		.amdhsa_user_sgpr_dispatch_id 0
		.amdhsa_user_sgpr_private_segment_size 0
		.amdhsa_wavefront_size32 1
		.amdhsa_uses_dynamic_stack 0
		.amdhsa_enable_private_segment 0
		.amdhsa_system_sgpr_workgroup_id_x 1
		.amdhsa_system_sgpr_workgroup_id_y 0
		.amdhsa_system_sgpr_workgroup_id_z 0
		.amdhsa_system_sgpr_workgroup_info 0
		.amdhsa_system_vgpr_workitem_id 0
		.amdhsa_next_free_vgpr 1
		.amdhsa_next_free_sgpr 1
		.amdhsa_reserve_vcc 0
		.amdhsa_float_round_mode_32 0
		.amdhsa_float_round_mode_16_64 0
		.amdhsa_float_denorm_mode_32 3
		.amdhsa_float_denorm_mode_16_64 3
		.amdhsa_dx10_clamp 1
		.amdhsa_ieee_mode 1
		.amdhsa_fp16_overflow 0
		.amdhsa_workgroup_processor_mode 1
		.amdhsa_memory_ordered 1
		.amdhsa_forward_progress 0
		.amdhsa_shared_vgpr_count 0
		.amdhsa_exception_fp_ieee_invalid_op 0
		.amdhsa_exception_fp_denorm_src 0
		.amdhsa_exception_fp_ieee_div_zero 0
		.amdhsa_exception_fp_ieee_overflow 0
		.amdhsa_exception_fp_ieee_underflow 0
		.amdhsa_exception_fp_ieee_inexact 0
		.amdhsa_exception_int_div_zero 0
	.end_amdhsa_kernel
	.section	.text._ZN7rocprim17ROCPRIM_400000_NS6detail17trampoline_kernelINS0_13select_configILj256ELj13ELNS0_17block_load_methodE3ELS4_3ELS4_3ELNS0_20block_scan_algorithmE0ELj4294967295EEENS1_25partition_config_selectorILNS1_17partition_subalgoE3EjNS0_10empty_typeEbEEZZNS1_14partition_implILS8_3ELb0ES6_jNS0_17counting_iteratorIjlEEPS9_SE_NS0_5tupleIJPjSE_EEENSF_IJSE_SE_EEES9_SG_JZNS1_25segmented_radix_sort_implINS0_14default_configELb1EPKbPbPKlPlN2at6native12_GLOBAL__N_18offset_tEEE10hipError_tPvRmT1_PNSt15iterator_traitsISY_E10value_typeET2_T3_PNSZ_IS14_E10value_typeET4_jRbjT5_S1A_jjP12ihipStream_tbEUljE_EEESV_SW_SX_S14_S18_S1A_T6_T7_T9_mT8_S1C_bDpT10_ENKUlT_T0_E_clISt17integral_constantIbLb1EES1P_EEDaS1K_S1L_EUlS1K_E_NS1_11comp_targetILNS1_3genE3ELNS1_11target_archE908ELNS1_3gpuE7ELNS1_3repE0EEENS1_30default_config_static_selectorELNS0_4arch9wavefront6targetE0EEEvSY_,"axG",@progbits,_ZN7rocprim17ROCPRIM_400000_NS6detail17trampoline_kernelINS0_13select_configILj256ELj13ELNS0_17block_load_methodE3ELS4_3ELS4_3ELNS0_20block_scan_algorithmE0ELj4294967295EEENS1_25partition_config_selectorILNS1_17partition_subalgoE3EjNS0_10empty_typeEbEEZZNS1_14partition_implILS8_3ELb0ES6_jNS0_17counting_iteratorIjlEEPS9_SE_NS0_5tupleIJPjSE_EEENSF_IJSE_SE_EEES9_SG_JZNS1_25segmented_radix_sort_implINS0_14default_configELb1EPKbPbPKlPlN2at6native12_GLOBAL__N_18offset_tEEE10hipError_tPvRmT1_PNSt15iterator_traitsISY_E10value_typeET2_T3_PNSZ_IS14_E10value_typeET4_jRbjT5_S1A_jjP12ihipStream_tbEUljE_EEESV_SW_SX_S14_S18_S1A_T6_T7_T9_mT8_S1C_bDpT10_ENKUlT_T0_E_clISt17integral_constantIbLb1EES1P_EEDaS1K_S1L_EUlS1K_E_NS1_11comp_targetILNS1_3genE3ELNS1_11target_archE908ELNS1_3gpuE7ELNS1_3repE0EEENS1_30default_config_static_selectorELNS0_4arch9wavefront6targetE0EEEvSY_,comdat
.Lfunc_end1511:
	.size	_ZN7rocprim17ROCPRIM_400000_NS6detail17trampoline_kernelINS0_13select_configILj256ELj13ELNS0_17block_load_methodE3ELS4_3ELS4_3ELNS0_20block_scan_algorithmE0ELj4294967295EEENS1_25partition_config_selectorILNS1_17partition_subalgoE3EjNS0_10empty_typeEbEEZZNS1_14partition_implILS8_3ELb0ES6_jNS0_17counting_iteratorIjlEEPS9_SE_NS0_5tupleIJPjSE_EEENSF_IJSE_SE_EEES9_SG_JZNS1_25segmented_radix_sort_implINS0_14default_configELb1EPKbPbPKlPlN2at6native12_GLOBAL__N_18offset_tEEE10hipError_tPvRmT1_PNSt15iterator_traitsISY_E10value_typeET2_T3_PNSZ_IS14_E10value_typeET4_jRbjT5_S1A_jjP12ihipStream_tbEUljE_EEESV_SW_SX_S14_S18_S1A_T6_T7_T9_mT8_S1C_bDpT10_ENKUlT_T0_E_clISt17integral_constantIbLb1EES1P_EEDaS1K_S1L_EUlS1K_E_NS1_11comp_targetILNS1_3genE3ELNS1_11target_archE908ELNS1_3gpuE7ELNS1_3repE0EEENS1_30default_config_static_selectorELNS0_4arch9wavefront6targetE0EEEvSY_, .Lfunc_end1511-_ZN7rocprim17ROCPRIM_400000_NS6detail17trampoline_kernelINS0_13select_configILj256ELj13ELNS0_17block_load_methodE3ELS4_3ELS4_3ELNS0_20block_scan_algorithmE0ELj4294967295EEENS1_25partition_config_selectorILNS1_17partition_subalgoE3EjNS0_10empty_typeEbEEZZNS1_14partition_implILS8_3ELb0ES6_jNS0_17counting_iteratorIjlEEPS9_SE_NS0_5tupleIJPjSE_EEENSF_IJSE_SE_EEES9_SG_JZNS1_25segmented_radix_sort_implINS0_14default_configELb1EPKbPbPKlPlN2at6native12_GLOBAL__N_18offset_tEEE10hipError_tPvRmT1_PNSt15iterator_traitsISY_E10value_typeET2_T3_PNSZ_IS14_E10value_typeET4_jRbjT5_S1A_jjP12ihipStream_tbEUljE_EEESV_SW_SX_S14_S18_S1A_T6_T7_T9_mT8_S1C_bDpT10_ENKUlT_T0_E_clISt17integral_constantIbLb1EES1P_EEDaS1K_S1L_EUlS1K_E_NS1_11comp_targetILNS1_3genE3ELNS1_11target_archE908ELNS1_3gpuE7ELNS1_3repE0EEENS1_30default_config_static_selectorELNS0_4arch9wavefront6targetE0EEEvSY_
                                        ; -- End function
	.section	.AMDGPU.csdata,"",@progbits
; Kernel info:
; codeLenInByte = 0
; NumSgprs: 0
; NumVgprs: 0
; ScratchSize: 0
; MemoryBound: 0
; FloatMode: 240
; IeeeMode: 1
; LDSByteSize: 0 bytes/workgroup (compile time only)
; SGPRBlocks: 0
; VGPRBlocks: 0
; NumSGPRsForWavesPerEU: 1
; NumVGPRsForWavesPerEU: 1
; Occupancy: 16
; WaveLimiterHint : 0
; COMPUTE_PGM_RSRC2:SCRATCH_EN: 0
; COMPUTE_PGM_RSRC2:USER_SGPR: 15
; COMPUTE_PGM_RSRC2:TRAP_HANDLER: 0
; COMPUTE_PGM_RSRC2:TGID_X_EN: 1
; COMPUTE_PGM_RSRC2:TGID_Y_EN: 0
; COMPUTE_PGM_RSRC2:TGID_Z_EN: 0
; COMPUTE_PGM_RSRC2:TIDIG_COMP_CNT: 0
	.section	.text._ZN7rocprim17ROCPRIM_400000_NS6detail17trampoline_kernelINS0_13select_configILj256ELj13ELNS0_17block_load_methodE3ELS4_3ELS4_3ELNS0_20block_scan_algorithmE0ELj4294967295EEENS1_25partition_config_selectorILNS1_17partition_subalgoE3EjNS0_10empty_typeEbEEZZNS1_14partition_implILS8_3ELb0ES6_jNS0_17counting_iteratorIjlEEPS9_SE_NS0_5tupleIJPjSE_EEENSF_IJSE_SE_EEES9_SG_JZNS1_25segmented_radix_sort_implINS0_14default_configELb1EPKbPbPKlPlN2at6native12_GLOBAL__N_18offset_tEEE10hipError_tPvRmT1_PNSt15iterator_traitsISY_E10value_typeET2_T3_PNSZ_IS14_E10value_typeET4_jRbjT5_S1A_jjP12ihipStream_tbEUljE_EEESV_SW_SX_S14_S18_S1A_T6_T7_T9_mT8_S1C_bDpT10_ENKUlT_T0_E_clISt17integral_constantIbLb1EES1P_EEDaS1K_S1L_EUlS1K_E_NS1_11comp_targetILNS1_3genE2ELNS1_11target_archE906ELNS1_3gpuE6ELNS1_3repE0EEENS1_30default_config_static_selectorELNS0_4arch9wavefront6targetE0EEEvSY_,"axG",@progbits,_ZN7rocprim17ROCPRIM_400000_NS6detail17trampoline_kernelINS0_13select_configILj256ELj13ELNS0_17block_load_methodE3ELS4_3ELS4_3ELNS0_20block_scan_algorithmE0ELj4294967295EEENS1_25partition_config_selectorILNS1_17partition_subalgoE3EjNS0_10empty_typeEbEEZZNS1_14partition_implILS8_3ELb0ES6_jNS0_17counting_iteratorIjlEEPS9_SE_NS0_5tupleIJPjSE_EEENSF_IJSE_SE_EEES9_SG_JZNS1_25segmented_radix_sort_implINS0_14default_configELb1EPKbPbPKlPlN2at6native12_GLOBAL__N_18offset_tEEE10hipError_tPvRmT1_PNSt15iterator_traitsISY_E10value_typeET2_T3_PNSZ_IS14_E10value_typeET4_jRbjT5_S1A_jjP12ihipStream_tbEUljE_EEESV_SW_SX_S14_S18_S1A_T6_T7_T9_mT8_S1C_bDpT10_ENKUlT_T0_E_clISt17integral_constantIbLb1EES1P_EEDaS1K_S1L_EUlS1K_E_NS1_11comp_targetILNS1_3genE2ELNS1_11target_archE906ELNS1_3gpuE6ELNS1_3repE0EEENS1_30default_config_static_selectorELNS0_4arch9wavefront6targetE0EEEvSY_,comdat
	.globl	_ZN7rocprim17ROCPRIM_400000_NS6detail17trampoline_kernelINS0_13select_configILj256ELj13ELNS0_17block_load_methodE3ELS4_3ELS4_3ELNS0_20block_scan_algorithmE0ELj4294967295EEENS1_25partition_config_selectorILNS1_17partition_subalgoE3EjNS0_10empty_typeEbEEZZNS1_14partition_implILS8_3ELb0ES6_jNS0_17counting_iteratorIjlEEPS9_SE_NS0_5tupleIJPjSE_EEENSF_IJSE_SE_EEES9_SG_JZNS1_25segmented_radix_sort_implINS0_14default_configELb1EPKbPbPKlPlN2at6native12_GLOBAL__N_18offset_tEEE10hipError_tPvRmT1_PNSt15iterator_traitsISY_E10value_typeET2_T3_PNSZ_IS14_E10value_typeET4_jRbjT5_S1A_jjP12ihipStream_tbEUljE_EEESV_SW_SX_S14_S18_S1A_T6_T7_T9_mT8_S1C_bDpT10_ENKUlT_T0_E_clISt17integral_constantIbLb1EES1P_EEDaS1K_S1L_EUlS1K_E_NS1_11comp_targetILNS1_3genE2ELNS1_11target_archE906ELNS1_3gpuE6ELNS1_3repE0EEENS1_30default_config_static_selectorELNS0_4arch9wavefront6targetE0EEEvSY_ ; -- Begin function _ZN7rocprim17ROCPRIM_400000_NS6detail17trampoline_kernelINS0_13select_configILj256ELj13ELNS0_17block_load_methodE3ELS4_3ELS4_3ELNS0_20block_scan_algorithmE0ELj4294967295EEENS1_25partition_config_selectorILNS1_17partition_subalgoE3EjNS0_10empty_typeEbEEZZNS1_14partition_implILS8_3ELb0ES6_jNS0_17counting_iteratorIjlEEPS9_SE_NS0_5tupleIJPjSE_EEENSF_IJSE_SE_EEES9_SG_JZNS1_25segmented_radix_sort_implINS0_14default_configELb1EPKbPbPKlPlN2at6native12_GLOBAL__N_18offset_tEEE10hipError_tPvRmT1_PNSt15iterator_traitsISY_E10value_typeET2_T3_PNSZ_IS14_E10value_typeET4_jRbjT5_S1A_jjP12ihipStream_tbEUljE_EEESV_SW_SX_S14_S18_S1A_T6_T7_T9_mT8_S1C_bDpT10_ENKUlT_T0_E_clISt17integral_constantIbLb1EES1P_EEDaS1K_S1L_EUlS1K_E_NS1_11comp_targetILNS1_3genE2ELNS1_11target_archE906ELNS1_3gpuE6ELNS1_3repE0EEENS1_30default_config_static_selectorELNS0_4arch9wavefront6targetE0EEEvSY_
	.p2align	8
	.type	_ZN7rocprim17ROCPRIM_400000_NS6detail17trampoline_kernelINS0_13select_configILj256ELj13ELNS0_17block_load_methodE3ELS4_3ELS4_3ELNS0_20block_scan_algorithmE0ELj4294967295EEENS1_25partition_config_selectorILNS1_17partition_subalgoE3EjNS0_10empty_typeEbEEZZNS1_14partition_implILS8_3ELb0ES6_jNS0_17counting_iteratorIjlEEPS9_SE_NS0_5tupleIJPjSE_EEENSF_IJSE_SE_EEES9_SG_JZNS1_25segmented_radix_sort_implINS0_14default_configELb1EPKbPbPKlPlN2at6native12_GLOBAL__N_18offset_tEEE10hipError_tPvRmT1_PNSt15iterator_traitsISY_E10value_typeET2_T3_PNSZ_IS14_E10value_typeET4_jRbjT5_S1A_jjP12ihipStream_tbEUljE_EEESV_SW_SX_S14_S18_S1A_T6_T7_T9_mT8_S1C_bDpT10_ENKUlT_T0_E_clISt17integral_constantIbLb1EES1P_EEDaS1K_S1L_EUlS1K_E_NS1_11comp_targetILNS1_3genE2ELNS1_11target_archE906ELNS1_3gpuE6ELNS1_3repE0EEENS1_30default_config_static_selectorELNS0_4arch9wavefront6targetE0EEEvSY_,@function
_ZN7rocprim17ROCPRIM_400000_NS6detail17trampoline_kernelINS0_13select_configILj256ELj13ELNS0_17block_load_methodE3ELS4_3ELS4_3ELNS0_20block_scan_algorithmE0ELj4294967295EEENS1_25partition_config_selectorILNS1_17partition_subalgoE3EjNS0_10empty_typeEbEEZZNS1_14partition_implILS8_3ELb0ES6_jNS0_17counting_iteratorIjlEEPS9_SE_NS0_5tupleIJPjSE_EEENSF_IJSE_SE_EEES9_SG_JZNS1_25segmented_radix_sort_implINS0_14default_configELb1EPKbPbPKlPlN2at6native12_GLOBAL__N_18offset_tEEE10hipError_tPvRmT1_PNSt15iterator_traitsISY_E10value_typeET2_T3_PNSZ_IS14_E10value_typeET4_jRbjT5_S1A_jjP12ihipStream_tbEUljE_EEESV_SW_SX_S14_S18_S1A_T6_T7_T9_mT8_S1C_bDpT10_ENKUlT_T0_E_clISt17integral_constantIbLb1EES1P_EEDaS1K_S1L_EUlS1K_E_NS1_11comp_targetILNS1_3genE2ELNS1_11target_archE906ELNS1_3gpuE6ELNS1_3repE0EEENS1_30default_config_static_selectorELNS0_4arch9wavefront6targetE0EEEvSY_: ; @_ZN7rocprim17ROCPRIM_400000_NS6detail17trampoline_kernelINS0_13select_configILj256ELj13ELNS0_17block_load_methodE3ELS4_3ELS4_3ELNS0_20block_scan_algorithmE0ELj4294967295EEENS1_25partition_config_selectorILNS1_17partition_subalgoE3EjNS0_10empty_typeEbEEZZNS1_14partition_implILS8_3ELb0ES6_jNS0_17counting_iteratorIjlEEPS9_SE_NS0_5tupleIJPjSE_EEENSF_IJSE_SE_EEES9_SG_JZNS1_25segmented_radix_sort_implINS0_14default_configELb1EPKbPbPKlPlN2at6native12_GLOBAL__N_18offset_tEEE10hipError_tPvRmT1_PNSt15iterator_traitsISY_E10value_typeET2_T3_PNSZ_IS14_E10value_typeET4_jRbjT5_S1A_jjP12ihipStream_tbEUljE_EEESV_SW_SX_S14_S18_S1A_T6_T7_T9_mT8_S1C_bDpT10_ENKUlT_T0_E_clISt17integral_constantIbLb1EES1P_EEDaS1K_S1L_EUlS1K_E_NS1_11comp_targetILNS1_3genE2ELNS1_11target_archE906ELNS1_3gpuE6ELNS1_3repE0EEENS1_30default_config_static_selectorELNS0_4arch9wavefront6targetE0EEEvSY_
; %bb.0:
	.section	.rodata,"a",@progbits
	.p2align	6, 0x0
	.amdhsa_kernel _ZN7rocprim17ROCPRIM_400000_NS6detail17trampoline_kernelINS0_13select_configILj256ELj13ELNS0_17block_load_methodE3ELS4_3ELS4_3ELNS0_20block_scan_algorithmE0ELj4294967295EEENS1_25partition_config_selectorILNS1_17partition_subalgoE3EjNS0_10empty_typeEbEEZZNS1_14partition_implILS8_3ELb0ES6_jNS0_17counting_iteratorIjlEEPS9_SE_NS0_5tupleIJPjSE_EEENSF_IJSE_SE_EEES9_SG_JZNS1_25segmented_radix_sort_implINS0_14default_configELb1EPKbPbPKlPlN2at6native12_GLOBAL__N_18offset_tEEE10hipError_tPvRmT1_PNSt15iterator_traitsISY_E10value_typeET2_T3_PNSZ_IS14_E10value_typeET4_jRbjT5_S1A_jjP12ihipStream_tbEUljE_EEESV_SW_SX_S14_S18_S1A_T6_T7_T9_mT8_S1C_bDpT10_ENKUlT_T0_E_clISt17integral_constantIbLb1EES1P_EEDaS1K_S1L_EUlS1K_E_NS1_11comp_targetILNS1_3genE2ELNS1_11target_archE906ELNS1_3gpuE6ELNS1_3repE0EEENS1_30default_config_static_selectorELNS0_4arch9wavefront6targetE0EEEvSY_
		.amdhsa_group_segment_fixed_size 0
		.amdhsa_private_segment_fixed_size 0
		.amdhsa_kernarg_size 152
		.amdhsa_user_sgpr_count 15
		.amdhsa_user_sgpr_dispatch_ptr 0
		.amdhsa_user_sgpr_queue_ptr 0
		.amdhsa_user_sgpr_kernarg_segment_ptr 1
		.amdhsa_user_sgpr_dispatch_id 0
		.amdhsa_user_sgpr_private_segment_size 0
		.amdhsa_wavefront_size32 1
		.amdhsa_uses_dynamic_stack 0
		.amdhsa_enable_private_segment 0
		.amdhsa_system_sgpr_workgroup_id_x 1
		.amdhsa_system_sgpr_workgroup_id_y 0
		.amdhsa_system_sgpr_workgroup_id_z 0
		.amdhsa_system_sgpr_workgroup_info 0
		.amdhsa_system_vgpr_workitem_id 0
		.amdhsa_next_free_vgpr 1
		.amdhsa_next_free_sgpr 1
		.amdhsa_reserve_vcc 0
		.amdhsa_float_round_mode_32 0
		.amdhsa_float_round_mode_16_64 0
		.amdhsa_float_denorm_mode_32 3
		.amdhsa_float_denorm_mode_16_64 3
		.amdhsa_dx10_clamp 1
		.amdhsa_ieee_mode 1
		.amdhsa_fp16_overflow 0
		.amdhsa_workgroup_processor_mode 1
		.amdhsa_memory_ordered 1
		.amdhsa_forward_progress 0
		.amdhsa_shared_vgpr_count 0
		.amdhsa_exception_fp_ieee_invalid_op 0
		.amdhsa_exception_fp_denorm_src 0
		.amdhsa_exception_fp_ieee_div_zero 0
		.amdhsa_exception_fp_ieee_overflow 0
		.amdhsa_exception_fp_ieee_underflow 0
		.amdhsa_exception_fp_ieee_inexact 0
		.amdhsa_exception_int_div_zero 0
	.end_amdhsa_kernel
	.section	.text._ZN7rocprim17ROCPRIM_400000_NS6detail17trampoline_kernelINS0_13select_configILj256ELj13ELNS0_17block_load_methodE3ELS4_3ELS4_3ELNS0_20block_scan_algorithmE0ELj4294967295EEENS1_25partition_config_selectorILNS1_17partition_subalgoE3EjNS0_10empty_typeEbEEZZNS1_14partition_implILS8_3ELb0ES6_jNS0_17counting_iteratorIjlEEPS9_SE_NS0_5tupleIJPjSE_EEENSF_IJSE_SE_EEES9_SG_JZNS1_25segmented_radix_sort_implINS0_14default_configELb1EPKbPbPKlPlN2at6native12_GLOBAL__N_18offset_tEEE10hipError_tPvRmT1_PNSt15iterator_traitsISY_E10value_typeET2_T3_PNSZ_IS14_E10value_typeET4_jRbjT5_S1A_jjP12ihipStream_tbEUljE_EEESV_SW_SX_S14_S18_S1A_T6_T7_T9_mT8_S1C_bDpT10_ENKUlT_T0_E_clISt17integral_constantIbLb1EES1P_EEDaS1K_S1L_EUlS1K_E_NS1_11comp_targetILNS1_3genE2ELNS1_11target_archE906ELNS1_3gpuE6ELNS1_3repE0EEENS1_30default_config_static_selectorELNS0_4arch9wavefront6targetE0EEEvSY_,"axG",@progbits,_ZN7rocprim17ROCPRIM_400000_NS6detail17trampoline_kernelINS0_13select_configILj256ELj13ELNS0_17block_load_methodE3ELS4_3ELS4_3ELNS0_20block_scan_algorithmE0ELj4294967295EEENS1_25partition_config_selectorILNS1_17partition_subalgoE3EjNS0_10empty_typeEbEEZZNS1_14partition_implILS8_3ELb0ES6_jNS0_17counting_iteratorIjlEEPS9_SE_NS0_5tupleIJPjSE_EEENSF_IJSE_SE_EEES9_SG_JZNS1_25segmented_radix_sort_implINS0_14default_configELb1EPKbPbPKlPlN2at6native12_GLOBAL__N_18offset_tEEE10hipError_tPvRmT1_PNSt15iterator_traitsISY_E10value_typeET2_T3_PNSZ_IS14_E10value_typeET4_jRbjT5_S1A_jjP12ihipStream_tbEUljE_EEESV_SW_SX_S14_S18_S1A_T6_T7_T9_mT8_S1C_bDpT10_ENKUlT_T0_E_clISt17integral_constantIbLb1EES1P_EEDaS1K_S1L_EUlS1K_E_NS1_11comp_targetILNS1_3genE2ELNS1_11target_archE906ELNS1_3gpuE6ELNS1_3repE0EEENS1_30default_config_static_selectorELNS0_4arch9wavefront6targetE0EEEvSY_,comdat
.Lfunc_end1512:
	.size	_ZN7rocprim17ROCPRIM_400000_NS6detail17trampoline_kernelINS0_13select_configILj256ELj13ELNS0_17block_load_methodE3ELS4_3ELS4_3ELNS0_20block_scan_algorithmE0ELj4294967295EEENS1_25partition_config_selectorILNS1_17partition_subalgoE3EjNS0_10empty_typeEbEEZZNS1_14partition_implILS8_3ELb0ES6_jNS0_17counting_iteratorIjlEEPS9_SE_NS0_5tupleIJPjSE_EEENSF_IJSE_SE_EEES9_SG_JZNS1_25segmented_radix_sort_implINS0_14default_configELb1EPKbPbPKlPlN2at6native12_GLOBAL__N_18offset_tEEE10hipError_tPvRmT1_PNSt15iterator_traitsISY_E10value_typeET2_T3_PNSZ_IS14_E10value_typeET4_jRbjT5_S1A_jjP12ihipStream_tbEUljE_EEESV_SW_SX_S14_S18_S1A_T6_T7_T9_mT8_S1C_bDpT10_ENKUlT_T0_E_clISt17integral_constantIbLb1EES1P_EEDaS1K_S1L_EUlS1K_E_NS1_11comp_targetILNS1_3genE2ELNS1_11target_archE906ELNS1_3gpuE6ELNS1_3repE0EEENS1_30default_config_static_selectorELNS0_4arch9wavefront6targetE0EEEvSY_, .Lfunc_end1512-_ZN7rocprim17ROCPRIM_400000_NS6detail17trampoline_kernelINS0_13select_configILj256ELj13ELNS0_17block_load_methodE3ELS4_3ELS4_3ELNS0_20block_scan_algorithmE0ELj4294967295EEENS1_25partition_config_selectorILNS1_17partition_subalgoE3EjNS0_10empty_typeEbEEZZNS1_14partition_implILS8_3ELb0ES6_jNS0_17counting_iteratorIjlEEPS9_SE_NS0_5tupleIJPjSE_EEENSF_IJSE_SE_EEES9_SG_JZNS1_25segmented_radix_sort_implINS0_14default_configELb1EPKbPbPKlPlN2at6native12_GLOBAL__N_18offset_tEEE10hipError_tPvRmT1_PNSt15iterator_traitsISY_E10value_typeET2_T3_PNSZ_IS14_E10value_typeET4_jRbjT5_S1A_jjP12ihipStream_tbEUljE_EEESV_SW_SX_S14_S18_S1A_T6_T7_T9_mT8_S1C_bDpT10_ENKUlT_T0_E_clISt17integral_constantIbLb1EES1P_EEDaS1K_S1L_EUlS1K_E_NS1_11comp_targetILNS1_3genE2ELNS1_11target_archE906ELNS1_3gpuE6ELNS1_3repE0EEENS1_30default_config_static_selectorELNS0_4arch9wavefront6targetE0EEEvSY_
                                        ; -- End function
	.section	.AMDGPU.csdata,"",@progbits
; Kernel info:
; codeLenInByte = 0
; NumSgprs: 0
; NumVgprs: 0
; ScratchSize: 0
; MemoryBound: 0
; FloatMode: 240
; IeeeMode: 1
; LDSByteSize: 0 bytes/workgroup (compile time only)
; SGPRBlocks: 0
; VGPRBlocks: 0
; NumSGPRsForWavesPerEU: 1
; NumVGPRsForWavesPerEU: 1
; Occupancy: 16
; WaveLimiterHint : 0
; COMPUTE_PGM_RSRC2:SCRATCH_EN: 0
; COMPUTE_PGM_RSRC2:USER_SGPR: 15
; COMPUTE_PGM_RSRC2:TRAP_HANDLER: 0
; COMPUTE_PGM_RSRC2:TGID_X_EN: 1
; COMPUTE_PGM_RSRC2:TGID_Y_EN: 0
; COMPUTE_PGM_RSRC2:TGID_Z_EN: 0
; COMPUTE_PGM_RSRC2:TIDIG_COMP_CNT: 0
	.section	.text._ZN7rocprim17ROCPRIM_400000_NS6detail17trampoline_kernelINS0_13select_configILj256ELj13ELNS0_17block_load_methodE3ELS4_3ELS4_3ELNS0_20block_scan_algorithmE0ELj4294967295EEENS1_25partition_config_selectorILNS1_17partition_subalgoE3EjNS0_10empty_typeEbEEZZNS1_14partition_implILS8_3ELb0ES6_jNS0_17counting_iteratorIjlEEPS9_SE_NS0_5tupleIJPjSE_EEENSF_IJSE_SE_EEES9_SG_JZNS1_25segmented_radix_sort_implINS0_14default_configELb1EPKbPbPKlPlN2at6native12_GLOBAL__N_18offset_tEEE10hipError_tPvRmT1_PNSt15iterator_traitsISY_E10value_typeET2_T3_PNSZ_IS14_E10value_typeET4_jRbjT5_S1A_jjP12ihipStream_tbEUljE_EEESV_SW_SX_S14_S18_S1A_T6_T7_T9_mT8_S1C_bDpT10_ENKUlT_T0_E_clISt17integral_constantIbLb1EES1P_EEDaS1K_S1L_EUlS1K_E_NS1_11comp_targetILNS1_3genE10ELNS1_11target_archE1200ELNS1_3gpuE4ELNS1_3repE0EEENS1_30default_config_static_selectorELNS0_4arch9wavefront6targetE0EEEvSY_,"axG",@progbits,_ZN7rocprim17ROCPRIM_400000_NS6detail17trampoline_kernelINS0_13select_configILj256ELj13ELNS0_17block_load_methodE3ELS4_3ELS4_3ELNS0_20block_scan_algorithmE0ELj4294967295EEENS1_25partition_config_selectorILNS1_17partition_subalgoE3EjNS0_10empty_typeEbEEZZNS1_14partition_implILS8_3ELb0ES6_jNS0_17counting_iteratorIjlEEPS9_SE_NS0_5tupleIJPjSE_EEENSF_IJSE_SE_EEES9_SG_JZNS1_25segmented_radix_sort_implINS0_14default_configELb1EPKbPbPKlPlN2at6native12_GLOBAL__N_18offset_tEEE10hipError_tPvRmT1_PNSt15iterator_traitsISY_E10value_typeET2_T3_PNSZ_IS14_E10value_typeET4_jRbjT5_S1A_jjP12ihipStream_tbEUljE_EEESV_SW_SX_S14_S18_S1A_T6_T7_T9_mT8_S1C_bDpT10_ENKUlT_T0_E_clISt17integral_constantIbLb1EES1P_EEDaS1K_S1L_EUlS1K_E_NS1_11comp_targetILNS1_3genE10ELNS1_11target_archE1200ELNS1_3gpuE4ELNS1_3repE0EEENS1_30default_config_static_selectorELNS0_4arch9wavefront6targetE0EEEvSY_,comdat
	.globl	_ZN7rocprim17ROCPRIM_400000_NS6detail17trampoline_kernelINS0_13select_configILj256ELj13ELNS0_17block_load_methodE3ELS4_3ELS4_3ELNS0_20block_scan_algorithmE0ELj4294967295EEENS1_25partition_config_selectorILNS1_17partition_subalgoE3EjNS0_10empty_typeEbEEZZNS1_14partition_implILS8_3ELb0ES6_jNS0_17counting_iteratorIjlEEPS9_SE_NS0_5tupleIJPjSE_EEENSF_IJSE_SE_EEES9_SG_JZNS1_25segmented_radix_sort_implINS0_14default_configELb1EPKbPbPKlPlN2at6native12_GLOBAL__N_18offset_tEEE10hipError_tPvRmT1_PNSt15iterator_traitsISY_E10value_typeET2_T3_PNSZ_IS14_E10value_typeET4_jRbjT5_S1A_jjP12ihipStream_tbEUljE_EEESV_SW_SX_S14_S18_S1A_T6_T7_T9_mT8_S1C_bDpT10_ENKUlT_T0_E_clISt17integral_constantIbLb1EES1P_EEDaS1K_S1L_EUlS1K_E_NS1_11comp_targetILNS1_3genE10ELNS1_11target_archE1200ELNS1_3gpuE4ELNS1_3repE0EEENS1_30default_config_static_selectorELNS0_4arch9wavefront6targetE0EEEvSY_ ; -- Begin function _ZN7rocprim17ROCPRIM_400000_NS6detail17trampoline_kernelINS0_13select_configILj256ELj13ELNS0_17block_load_methodE3ELS4_3ELS4_3ELNS0_20block_scan_algorithmE0ELj4294967295EEENS1_25partition_config_selectorILNS1_17partition_subalgoE3EjNS0_10empty_typeEbEEZZNS1_14partition_implILS8_3ELb0ES6_jNS0_17counting_iteratorIjlEEPS9_SE_NS0_5tupleIJPjSE_EEENSF_IJSE_SE_EEES9_SG_JZNS1_25segmented_radix_sort_implINS0_14default_configELb1EPKbPbPKlPlN2at6native12_GLOBAL__N_18offset_tEEE10hipError_tPvRmT1_PNSt15iterator_traitsISY_E10value_typeET2_T3_PNSZ_IS14_E10value_typeET4_jRbjT5_S1A_jjP12ihipStream_tbEUljE_EEESV_SW_SX_S14_S18_S1A_T6_T7_T9_mT8_S1C_bDpT10_ENKUlT_T0_E_clISt17integral_constantIbLb1EES1P_EEDaS1K_S1L_EUlS1K_E_NS1_11comp_targetILNS1_3genE10ELNS1_11target_archE1200ELNS1_3gpuE4ELNS1_3repE0EEENS1_30default_config_static_selectorELNS0_4arch9wavefront6targetE0EEEvSY_
	.p2align	8
	.type	_ZN7rocprim17ROCPRIM_400000_NS6detail17trampoline_kernelINS0_13select_configILj256ELj13ELNS0_17block_load_methodE3ELS4_3ELS4_3ELNS0_20block_scan_algorithmE0ELj4294967295EEENS1_25partition_config_selectorILNS1_17partition_subalgoE3EjNS0_10empty_typeEbEEZZNS1_14partition_implILS8_3ELb0ES6_jNS0_17counting_iteratorIjlEEPS9_SE_NS0_5tupleIJPjSE_EEENSF_IJSE_SE_EEES9_SG_JZNS1_25segmented_radix_sort_implINS0_14default_configELb1EPKbPbPKlPlN2at6native12_GLOBAL__N_18offset_tEEE10hipError_tPvRmT1_PNSt15iterator_traitsISY_E10value_typeET2_T3_PNSZ_IS14_E10value_typeET4_jRbjT5_S1A_jjP12ihipStream_tbEUljE_EEESV_SW_SX_S14_S18_S1A_T6_T7_T9_mT8_S1C_bDpT10_ENKUlT_T0_E_clISt17integral_constantIbLb1EES1P_EEDaS1K_S1L_EUlS1K_E_NS1_11comp_targetILNS1_3genE10ELNS1_11target_archE1200ELNS1_3gpuE4ELNS1_3repE0EEENS1_30default_config_static_selectorELNS0_4arch9wavefront6targetE0EEEvSY_,@function
_ZN7rocprim17ROCPRIM_400000_NS6detail17trampoline_kernelINS0_13select_configILj256ELj13ELNS0_17block_load_methodE3ELS4_3ELS4_3ELNS0_20block_scan_algorithmE0ELj4294967295EEENS1_25partition_config_selectorILNS1_17partition_subalgoE3EjNS0_10empty_typeEbEEZZNS1_14partition_implILS8_3ELb0ES6_jNS0_17counting_iteratorIjlEEPS9_SE_NS0_5tupleIJPjSE_EEENSF_IJSE_SE_EEES9_SG_JZNS1_25segmented_radix_sort_implINS0_14default_configELb1EPKbPbPKlPlN2at6native12_GLOBAL__N_18offset_tEEE10hipError_tPvRmT1_PNSt15iterator_traitsISY_E10value_typeET2_T3_PNSZ_IS14_E10value_typeET4_jRbjT5_S1A_jjP12ihipStream_tbEUljE_EEESV_SW_SX_S14_S18_S1A_T6_T7_T9_mT8_S1C_bDpT10_ENKUlT_T0_E_clISt17integral_constantIbLb1EES1P_EEDaS1K_S1L_EUlS1K_E_NS1_11comp_targetILNS1_3genE10ELNS1_11target_archE1200ELNS1_3gpuE4ELNS1_3repE0EEENS1_30default_config_static_selectorELNS0_4arch9wavefront6targetE0EEEvSY_: ; @_ZN7rocprim17ROCPRIM_400000_NS6detail17trampoline_kernelINS0_13select_configILj256ELj13ELNS0_17block_load_methodE3ELS4_3ELS4_3ELNS0_20block_scan_algorithmE0ELj4294967295EEENS1_25partition_config_selectorILNS1_17partition_subalgoE3EjNS0_10empty_typeEbEEZZNS1_14partition_implILS8_3ELb0ES6_jNS0_17counting_iteratorIjlEEPS9_SE_NS0_5tupleIJPjSE_EEENSF_IJSE_SE_EEES9_SG_JZNS1_25segmented_radix_sort_implINS0_14default_configELb1EPKbPbPKlPlN2at6native12_GLOBAL__N_18offset_tEEE10hipError_tPvRmT1_PNSt15iterator_traitsISY_E10value_typeET2_T3_PNSZ_IS14_E10value_typeET4_jRbjT5_S1A_jjP12ihipStream_tbEUljE_EEESV_SW_SX_S14_S18_S1A_T6_T7_T9_mT8_S1C_bDpT10_ENKUlT_T0_E_clISt17integral_constantIbLb1EES1P_EEDaS1K_S1L_EUlS1K_E_NS1_11comp_targetILNS1_3genE10ELNS1_11target_archE1200ELNS1_3gpuE4ELNS1_3repE0EEENS1_30default_config_static_selectorELNS0_4arch9wavefront6targetE0EEEvSY_
; %bb.0:
	.section	.rodata,"a",@progbits
	.p2align	6, 0x0
	.amdhsa_kernel _ZN7rocprim17ROCPRIM_400000_NS6detail17trampoline_kernelINS0_13select_configILj256ELj13ELNS0_17block_load_methodE3ELS4_3ELS4_3ELNS0_20block_scan_algorithmE0ELj4294967295EEENS1_25partition_config_selectorILNS1_17partition_subalgoE3EjNS0_10empty_typeEbEEZZNS1_14partition_implILS8_3ELb0ES6_jNS0_17counting_iteratorIjlEEPS9_SE_NS0_5tupleIJPjSE_EEENSF_IJSE_SE_EEES9_SG_JZNS1_25segmented_radix_sort_implINS0_14default_configELb1EPKbPbPKlPlN2at6native12_GLOBAL__N_18offset_tEEE10hipError_tPvRmT1_PNSt15iterator_traitsISY_E10value_typeET2_T3_PNSZ_IS14_E10value_typeET4_jRbjT5_S1A_jjP12ihipStream_tbEUljE_EEESV_SW_SX_S14_S18_S1A_T6_T7_T9_mT8_S1C_bDpT10_ENKUlT_T0_E_clISt17integral_constantIbLb1EES1P_EEDaS1K_S1L_EUlS1K_E_NS1_11comp_targetILNS1_3genE10ELNS1_11target_archE1200ELNS1_3gpuE4ELNS1_3repE0EEENS1_30default_config_static_selectorELNS0_4arch9wavefront6targetE0EEEvSY_
		.amdhsa_group_segment_fixed_size 0
		.amdhsa_private_segment_fixed_size 0
		.amdhsa_kernarg_size 152
		.amdhsa_user_sgpr_count 15
		.amdhsa_user_sgpr_dispatch_ptr 0
		.amdhsa_user_sgpr_queue_ptr 0
		.amdhsa_user_sgpr_kernarg_segment_ptr 1
		.amdhsa_user_sgpr_dispatch_id 0
		.amdhsa_user_sgpr_private_segment_size 0
		.amdhsa_wavefront_size32 1
		.amdhsa_uses_dynamic_stack 0
		.amdhsa_enable_private_segment 0
		.amdhsa_system_sgpr_workgroup_id_x 1
		.amdhsa_system_sgpr_workgroup_id_y 0
		.amdhsa_system_sgpr_workgroup_id_z 0
		.amdhsa_system_sgpr_workgroup_info 0
		.amdhsa_system_vgpr_workitem_id 0
		.amdhsa_next_free_vgpr 1
		.amdhsa_next_free_sgpr 1
		.amdhsa_reserve_vcc 0
		.amdhsa_float_round_mode_32 0
		.amdhsa_float_round_mode_16_64 0
		.amdhsa_float_denorm_mode_32 3
		.amdhsa_float_denorm_mode_16_64 3
		.amdhsa_dx10_clamp 1
		.amdhsa_ieee_mode 1
		.amdhsa_fp16_overflow 0
		.amdhsa_workgroup_processor_mode 1
		.amdhsa_memory_ordered 1
		.amdhsa_forward_progress 0
		.amdhsa_shared_vgpr_count 0
		.amdhsa_exception_fp_ieee_invalid_op 0
		.amdhsa_exception_fp_denorm_src 0
		.amdhsa_exception_fp_ieee_div_zero 0
		.amdhsa_exception_fp_ieee_overflow 0
		.amdhsa_exception_fp_ieee_underflow 0
		.amdhsa_exception_fp_ieee_inexact 0
		.amdhsa_exception_int_div_zero 0
	.end_amdhsa_kernel
	.section	.text._ZN7rocprim17ROCPRIM_400000_NS6detail17trampoline_kernelINS0_13select_configILj256ELj13ELNS0_17block_load_methodE3ELS4_3ELS4_3ELNS0_20block_scan_algorithmE0ELj4294967295EEENS1_25partition_config_selectorILNS1_17partition_subalgoE3EjNS0_10empty_typeEbEEZZNS1_14partition_implILS8_3ELb0ES6_jNS0_17counting_iteratorIjlEEPS9_SE_NS0_5tupleIJPjSE_EEENSF_IJSE_SE_EEES9_SG_JZNS1_25segmented_radix_sort_implINS0_14default_configELb1EPKbPbPKlPlN2at6native12_GLOBAL__N_18offset_tEEE10hipError_tPvRmT1_PNSt15iterator_traitsISY_E10value_typeET2_T3_PNSZ_IS14_E10value_typeET4_jRbjT5_S1A_jjP12ihipStream_tbEUljE_EEESV_SW_SX_S14_S18_S1A_T6_T7_T9_mT8_S1C_bDpT10_ENKUlT_T0_E_clISt17integral_constantIbLb1EES1P_EEDaS1K_S1L_EUlS1K_E_NS1_11comp_targetILNS1_3genE10ELNS1_11target_archE1200ELNS1_3gpuE4ELNS1_3repE0EEENS1_30default_config_static_selectorELNS0_4arch9wavefront6targetE0EEEvSY_,"axG",@progbits,_ZN7rocprim17ROCPRIM_400000_NS6detail17trampoline_kernelINS0_13select_configILj256ELj13ELNS0_17block_load_methodE3ELS4_3ELS4_3ELNS0_20block_scan_algorithmE0ELj4294967295EEENS1_25partition_config_selectorILNS1_17partition_subalgoE3EjNS0_10empty_typeEbEEZZNS1_14partition_implILS8_3ELb0ES6_jNS0_17counting_iteratorIjlEEPS9_SE_NS0_5tupleIJPjSE_EEENSF_IJSE_SE_EEES9_SG_JZNS1_25segmented_radix_sort_implINS0_14default_configELb1EPKbPbPKlPlN2at6native12_GLOBAL__N_18offset_tEEE10hipError_tPvRmT1_PNSt15iterator_traitsISY_E10value_typeET2_T3_PNSZ_IS14_E10value_typeET4_jRbjT5_S1A_jjP12ihipStream_tbEUljE_EEESV_SW_SX_S14_S18_S1A_T6_T7_T9_mT8_S1C_bDpT10_ENKUlT_T0_E_clISt17integral_constantIbLb1EES1P_EEDaS1K_S1L_EUlS1K_E_NS1_11comp_targetILNS1_3genE10ELNS1_11target_archE1200ELNS1_3gpuE4ELNS1_3repE0EEENS1_30default_config_static_selectorELNS0_4arch9wavefront6targetE0EEEvSY_,comdat
.Lfunc_end1513:
	.size	_ZN7rocprim17ROCPRIM_400000_NS6detail17trampoline_kernelINS0_13select_configILj256ELj13ELNS0_17block_load_methodE3ELS4_3ELS4_3ELNS0_20block_scan_algorithmE0ELj4294967295EEENS1_25partition_config_selectorILNS1_17partition_subalgoE3EjNS0_10empty_typeEbEEZZNS1_14partition_implILS8_3ELb0ES6_jNS0_17counting_iteratorIjlEEPS9_SE_NS0_5tupleIJPjSE_EEENSF_IJSE_SE_EEES9_SG_JZNS1_25segmented_radix_sort_implINS0_14default_configELb1EPKbPbPKlPlN2at6native12_GLOBAL__N_18offset_tEEE10hipError_tPvRmT1_PNSt15iterator_traitsISY_E10value_typeET2_T3_PNSZ_IS14_E10value_typeET4_jRbjT5_S1A_jjP12ihipStream_tbEUljE_EEESV_SW_SX_S14_S18_S1A_T6_T7_T9_mT8_S1C_bDpT10_ENKUlT_T0_E_clISt17integral_constantIbLb1EES1P_EEDaS1K_S1L_EUlS1K_E_NS1_11comp_targetILNS1_3genE10ELNS1_11target_archE1200ELNS1_3gpuE4ELNS1_3repE0EEENS1_30default_config_static_selectorELNS0_4arch9wavefront6targetE0EEEvSY_, .Lfunc_end1513-_ZN7rocprim17ROCPRIM_400000_NS6detail17trampoline_kernelINS0_13select_configILj256ELj13ELNS0_17block_load_methodE3ELS4_3ELS4_3ELNS0_20block_scan_algorithmE0ELj4294967295EEENS1_25partition_config_selectorILNS1_17partition_subalgoE3EjNS0_10empty_typeEbEEZZNS1_14partition_implILS8_3ELb0ES6_jNS0_17counting_iteratorIjlEEPS9_SE_NS0_5tupleIJPjSE_EEENSF_IJSE_SE_EEES9_SG_JZNS1_25segmented_radix_sort_implINS0_14default_configELb1EPKbPbPKlPlN2at6native12_GLOBAL__N_18offset_tEEE10hipError_tPvRmT1_PNSt15iterator_traitsISY_E10value_typeET2_T3_PNSZ_IS14_E10value_typeET4_jRbjT5_S1A_jjP12ihipStream_tbEUljE_EEESV_SW_SX_S14_S18_S1A_T6_T7_T9_mT8_S1C_bDpT10_ENKUlT_T0_E_clISt17integral_constantIbLb1EES1P_EEDaS1K_S1L_EUlS1K_E_NS1_11comp_targetILNS1_3genE10ELNS1_11target_archE1200ELNS1_3gpuE4ELNS1_3repE0EEENS1_30default_config_static_selectorELNS0_4arch9wavefront6targetE0EEEvSY_
                                        ; -- End function
	.section	.AMDGPU.csdata,"",@progbits
; Kernel info:
; codeLenInByte = 0
; NumSgprs: 0
; NumVgprs: 0
; ScratchSize: 0
; MemoryBound: 0
; FloatMode: 240
; IeeeMode: 1
; LDSByteSize: 0 bytes/workgroup (compile time only)
; SGPRBlocks: 0
; VGPRBlocks: 0
; NumSGPRsForWavesPerEU: 1
; NumVGPRsForWavesPerEU: 1
; Occupancy: 16
; WaveLimiterHint : 0
; COMPUTE_PGM_RSRC2:SCRATCH_EN: 0
; COMPUTE_PGM_RSRC2:USER_SGPR: 15
; COMPUTE_PGM_RSRC2:TRAP_HANDLER: 0
; COMPUTE_PGM_RSRC2:TGID_X_EN: 1
; COMPUTE_PGM_RSRC2:TGID_Y_EN: 0
; COMPUTE_PGM_RSRC2:TGID_Z_EN: 0
; COMPUTE_PGM_RSRC2:TIDIG_COMP_CNT: 0
	.section	.text._ZN7rocprim17ROCPRIM_400000_NS6detail17trampoline_kernelINS0_13select_configILj256ELj13ELNS0_17block_load_methodE3ELS4_3ELS4_3ELNS0_20block_scan_algorithmE0ELj4294967295EEENS1_25partition_config_selectorILNS1_17partition_subalgoE3EjNS0_10empty_typeEbEEZZNS1_14partition_implILS8_3ELb0ES6_jNS0_17counting_iteratorIjlEEPS9_SE_NS0_5tupleIJPjSE_EEENSF_IJSE_SE_EEES9_SG_JZNS1_25segmented_radix_sort_implINS0_14default_configELb1EPKbPbPKlPlN2at6native12_GLOBAL__N_18offset_tEEE10hipError_tPvRmT1_PNSt15iterator_traitsISY_E10value_typeET2_T3_PNSZ_IS14_E10value_typeET4_jRbjT5_S1A_jjP12ihipStream_tbEUljE_EEESV_SW_SX_S14_S18_S1A_T6_T7_T9_mT8_S1C_bDpT10_ENKUlT_T0_E_clISt17integral_constantIbLb1EES1P_EEDaS1K_S1L_EUlS1K_E_NS1_11comp_targetILNS1_3genE9ELNS1_11target_archE1100ELNS1_3gpuE3ELNS1_3repE0EEENS1_30default_config_static_selectorELNS0_4arch9wavefront6targetE0EEEvSY_,"axG",@progbits,_ZN7rocprim17ROCPRIM_400000_NS6detail17trampoline_kernelINS0_13select_configILj256ELj13ELNS0_17block_load_methodE3ELS4_3ELS4_3ELNS0_20block_scan_algorithmE0ELj4294967295EEENS1_25partition_config_selectorILNS1_17partition_subalgoE3EjNS0_10empty_typeEbEEZZNS1_14partition_implILS8_3ELb0ES6_jNS0_17counting_iteratorIjlEEPS9_SE_NS0_5tupleIJPjSE_EEENSF_IJSE_SE_EEES9_SG_JZNS1_25segmented_radix_sort_implINS0_14default_configELb1EPKbPbPKlPlN2at6native12_GLOBAL__N_18offset_tEEE10hipError_tPvRmT1_PNSt15iterator_traitsISY_E10value_typeET2_T3_PNSZ_IS14_E10value_typeET4_jRbjT5_S1A_jjP12ihipStream_tbEUljE_EEESV_SW_SX_S14_S18_S1A_T6_T7_T9_mT8_S1C_bDpT10_ENKUlT_T0_E_clISt17integral_constantIbLb1EES1P_EEDaS1K_S1L_EUlS1K_E_NS1_11comp_targetILNS1_3genE9ELNS1_11target_archE1100ELNS1_3gpuE3ELNS1_3repE0EEENS1_30default_config_static_selectorELNS0_4arch9wavefront6targetE0EEEvSY_,comdat
	.globl	_ZN7rocprim17ROCPRIM_400000_NS6detail17trampoline_kernelINS0_13select_configILj256ELj13ELNS0_17block_load_methodE3ELS4_3ELS4_3ELNS0_20block_scan_algorithmE0ELj4294967295EEENS1_25partition_config_selectorILNS1_17partition_subalgoE3EjNS0_10empty_typeEbEEZZNS1_14partition_implILS8_3ELb0ES6_jNS0_17counting_iteratorIjlEEPS9_SE_NS0_5tupleIJPjSE_EEENSF_IJSE_SE_EEES9_SG_JZNS1_25segmented_radix_sort_implINS0_14default_configELb1EPKbPbPKlPlN2at6native12_GLOBAL__N_18offset_tEEE10hipError_tPvRmT1_PNSt15iterator_traitsISY_E10value_typeET2_T3_PNSZ_IS14_E10value_typeET4_jRbjT5_S1A_jjP12ihipStream_tbEUljE_EEESV_SW_SX_S14_S18_S1A_T6_T7_T9_mT8_S1C_bDpT10_ENKUlT_T0_E_clISt17integral_constantIbLb1EES1P_EEDaS1K_S1L_EUlS1K_E_NS1_11comp_targetILNS1_3genE9ELNS1_11target_archE1100ELNS1_3gpuE3ELNS1_3repE0EEENS1_30default_config_static_selectorELNS0_4arch9wavefront6targetE0EEEvSY_ ; -- Begin function _ZN7rocprim17ROCPRIM_400000_NS6detail17trampoline_kernelINS0_13select_configILj256ELj13ELNS0_17block_load_methodE3ELS4_3ELS4_3ELNS0_20block_scan_algorithmE0ELj4294967295EEENS1_25partition_config_selectorILNS1_17partition_subalgoE3EjNS0_10empty_typeEbEEZZNS1_14partition_implILS8_3ELb0ES6_jNS0_17counting_iteratorIjlEEPS9_SE_NS0_5tupleIJPjSE_EEENSF_IJSE_SE_EEES9_SG_JZNS1_25segmented_radix_sort_implINS0_14default_configELb1EPKbPbPKlPlN2at6native12_GLOBAL__N_18offset_tEEE10hipError_tPvRmT1_PNSt15iterator_traitsISY_E10value_typeET2_T3_PNSZ_IS14_E10value_typeET4_jRbjT5_S1A_jjP12ihipStream_tbEUljE_EEESV_SW_SX_S14_S18_S1A_T6_T7_T9_mT8_S1C_bDpT10_ENKUlT_T0_E_clISt17integral_constantIbLb1EES1P_EEDaS1K_S1L_EUlS1K_E_NS1_11comp_targetILNS1_3genE9ELNS1_11target_archE1100ELNS1_3gpuE3ELNS1_3repE0EEENS1_30default_config_static_selectorELNS0_4arch9wavefront6targetE0EEEvSY_
	.p2align	8
	.type	_ZN7rocprim17ROCPRIM_400000_NS6detail17trampoline_kernelINS0_13select_configILj256ELj13ELNS0_17block_load_methodE3ELS4_3ELS4_3ELNS0_20block_scan_algorithmE0ELj4294967295EEENS1_25partition_config_selectorILNS1_17partition_subalgoE3EjNS0_10empty_typeEbEEZZNS1_14partition_implILS8_3ELb0ES6_jNS0_17counting_iteratorIjlEEPS9_SE_NS0_5tupleIJPjSE_EEENSF_IJSE_SE_EEES9_SG_JZNS1_25segmented_radix_sort_implINS0_14default_configELb1EPKbPbPKlPlN2at6native12_GLOBAL__N_18offset_tEEE10hipError_tPvRmT1_PNSt15iterator_traitsISY_E10value_typeET2_T3_PNSZ_IS14_E10value_typeET4_jRbjT5_S1A_jjP12ihipStream_tbEUljE_EEESV_SW_SX_S14_S18_S1A_T6_T7_T9_mT8_S1C_bDpT10_ENKUlT_T0_E_clISt17integral_constantIbLb1EES1P_EEDaS1K_S1L_EUlS1K_E_NS1_11comp_targetILNS1_3genE9ELNS1_11target_archE1100ELNS1_3gpuE3ELNS1_3repE0EEENS1_30default_config_static_selectorELNS0_4arch9wavefront6targetE0EEEvSY_,@function
_ZN7rocprim17ROCPRIM_400000_NS6detail17trampoline_kernelINS0_13select_configILj256ELj13ELNS0_17block_load_methodE3ELS4_3ELS4_3ELNS0_20block_scan_algorithmE0ELj4294967295EEENS1_25partition_config_selectorILNS1_17partition_subalgoE3EjNS0_10empty_typeEbEEZZNS1_14partition_implILS8_3ELb0ES6_jNS0_17counting_iteratorIjlEEPS9_SE_NS0_5tupleIJPjSE_EEENSF_IJSE_SE_EEES9_SG_JZNS1_25segmented_radix_sort_implINS0_14default_configELb1EPKbPbPKlPlN2at6native12_GLOBAL__N_18offset_tEEE10hipError_tPvRmT1_PNSt15iterator_traitsISY_E10value_typeET2_T3_PNSZ_IS14_E10value_typeET4_jRbjT5_S1A_jjP12ihipStream_tbEUljE_EEESV_SW_SX_S14_S18_S1A_T6_T7_T9_mT8_S1C_bDpT10_ENKUlT_T0_E_clISt17integral_constantIbLb1EES1P_EEDaS1K_S1L_EUlS1K_E_NS1_11comp_targetILNS1_3genE9ELNS1_11target_archE1100ELNS1_3gpuE3ELNS1_3repE0EEENS1_30default_config_static_selectorELNS0_4arch9wavefront6targetE0EEEvSY_: ; @_ZN7rocprim17ROCPRIM_400000_NS6detail17trampoline_kernelINS0_13select_configILj256ELj13ELNS0_17block_load_methodE3ELS4_3ELS4_3ELNS0_20block_scan_algorithmE0ELj4294967295EEENS1_25partition_config_selectorILNS1_17partition_subalgoE3EjNS0_10empty_typeEbEEZZNS1_14partition_implILS8_3ELb0ES6_jNS0_17counting_iteratorIjlEEPS9_SE_NS0_5tupleIJPjSE_EEENSF_IJSE_SE_EEES9_SG_JZNS1_25segmented_radix_sort_implINS0_14default_configELb1EPKbPbPKlPlN2at6native12_GLOBAL__N_18offset_tEEE10hipError_tPvRmT1_PNSt15iterator_traitsISY_E10value_typeET2_T3_PNSZ_IS14_E10value_typeET4_jRbjT5_S1A_jjP12ihipStream_tbEUljE_EEESV_SW_SX_S14_S18_S1A_T6_T7_T9_mT8_S1C_bDpT10_ENKUlT_T0_E_clISt17integral_constantIbLb1EES1P_EEDaS1K_S1L_EUlS1K_E_NS1_11comp_targetILNS1_3genE9ELNS1_11target_archE1100ELNS1_3gpuE3ELNS1_3repE0EEENS1_30default_config_static_selectorELNS0_4arch9wavefront6targetE0EEEvSY_
; %bb.0:
	s_clause 0x6
	s_load_b64 s[16:17], s[0:1], 0x10
	s_load_b64 s[12:13], s[0:1], 0x28
	s_load_b64 s[14:15], s[0:1], 0x58
	s_load_b128 s[8:11], s[0:1], 0x48
	s_load_b32 s3, s[0:1], 0x90
	s_load_b64 s[18:19], s[0:1], 0x68
	s_load_b128 s[4:7], s[0:1], 0x80
	v_cmp_eq_u32_e64 s2, 0, v0
	s_delay_alu instid0(VALU_DEP_1)
	s_and_saveexec_b32 s20, s2
	s_cbranch_execz .LBB1514_4
; %bb.1:
	s_mov_b32 s22, exec_lo
	s_mov_b32 s21, exec_lo
	v_mbcnt_lo_u32_b32 v1, s22, 0
                                        ; implicit-def: $vgpr2
	s_delay_alu instid0(VALU_DEP_1)
	v_cmpx_eq_u32_e32 0, v1
	s_cbranch_execz .LBB1514_3
; %bb.2:
	s_load_b64 s[24:25], s[0:1], 0x78
	s_bcnt1_i32_b32 s22, s22
	s_delay_alu instid0(SALU_CYCLE_1)
	v_dual_mov_b32 v2, 0 :: v_dual_mov_b32 v3, s22
	s_waitcnt lgkmcnt(0)
	global_atomic_add_u32 v2, v2, v3, s[24:25] glc
.LBB1514_3:
	s_or_b32 exec_lo, exec_lo, s21
	s_waitcnt vmcnt(0)
	v_readfirstlane_b32 s21, v2
	s_delay_alu instid0(VALU_DEP_1)
	v_dual_mov_b32 v2, 0 :: v_dual_add_nc_u32 v1, s21, v1
	ds_store_b32 v2, v1
.LBB1514_4:
	s_or_b32 exec_lo, exec_lo, s20
	v_mov_b32_e32 v1, 0
	s_clause 0x1
	s_load_b32 s20, s[0:1], 0x8
	s_load_b32 s0, s[0:1], 0x70
	s_waitcnt lgkmcnt(0)
	s_barrier
	buffer_gl0_inv
	ds_load_b32 v2, v1
	s_waitcnt lgkmcnt(0)
	s_barrier
	buffer_gl0_inv
	global_load_b64 v[18:19], v1, s[10:11]
	v_lshlrev_b32_e32 v33, 2, v0
	s_add_i32 s21, s20, s16
	s_mul_i32 s1, s0, 0xd00
	s_add_i32 s0, s0, -1
	s_add_u32 s10, s16, s1
	s_addc_u32 s11, s17, 0
	v_mul_lo_u32 v32, 0xd00, v2
	v_readfirstlane_b32 s20, v2
	v_cmp_lt_u64_e64 s11, s[10:11], s[14:15]
	v_cmp_ne_u32_e32 vcc_lo, s0, v2
	s_delay_alu instid0(VALU_DEP_3) | instskip(SKIP_1) | instid1(VALU_DEP_4)
	s_cmp_eq_u32 s20, s0
	s_cselect_b32 s10, -1, 0
	v_add3_u32 v1, v32, s21, v0
	s_delay_alu instid0(VALU_DEP_3) | instskip(SKIP_2) | instid1(VALU_DEP_1)
	s_or_b32 s0, s11, vcc_lo
	s_mov_b32 s11, -1
	s_and_b32 vcc_lo, exec_lo, s0
	v_add_nc_u32_e32 v2, 0x100, v1
	v_add_nc_u32_e32 v3, 0x200, v1
	;; [unrolled: 1-line block ×12, first 2 shown]
	s_cbranch_vccz .LBB1514_6
; %bb.5:
	ds_store_2addr_stride64_b32 v33, v1, v2 offset1:4
	ds_store_2addr_stride64_b32 v33, v3, v4 offset0:8 offset1:12
	ds_store_2addr_stride64_b32 v33, v5, v6 offset0:16 offset1:20
	;; [unrolled: 1-line block ×5, first 2 shown]
	ds_store_b32 v33, v13 offset:12288
	s_waitcnt vmcnt(0) lgkmcnt(0)
	s_mov_b32 s11, 0
	s_barrier
.LBB1514_6:
	s_and_not1_b32 vcc_lo, exec_lo, s11
	s_add_i32 s1, s1, s16
	s_cbranch_vccnz .LBB1514_8
; %bb.7:
	ds_store_2addr_stride64_b32 v33, v1, v2 offset1:4
	ds_store_2addr_stride64_b32 v33, v3, v4 offset0:8 offset1:12
	ds_store_2addr_stride64_b32 v33, v5, v6 offset0:16 offset1:20
	;; [unrolled: 1-line block ×5, first 2 shown]
	ds_store_b32 v33, v13 offset:12288
	s_waitcnt vmcnt(0) lgkmcnt(0)
	s_barrier
.LBB1514_8:
	v_mul_u32_u24_e32 v36, 13, v0
	s_waitcnt vmcnt(0)
	buffer_gl0_inv
	v_cndmask_b32_e64 v34, 0, 1, s0
	s_sub_i32 s11, s14, s1
	s_and_not1_b32 vcc_lo, exec_lo, s0
	v_lshlrev_b32_e32 v1, 2, v36
	ds_load_2addr_b32 v[30:31], v1 offset1:1
	ds_load_2addr_b32 v[28:29], v1 offset0:2 offset1:3
	ds_load_2addr_b32 v[26:27], v1 offset0:4 offset1:5
	;; [unrolled: 1-line block ×5, first 2 shown]
	ds_load_b32 v35, v1 offset:48
	s_waitcnt lgkmcnt(0)
	s_barrier
	buffer_gl0_inv
	s_cbranch_vccnz .LBB1514_10
; %bb.9:
	v_add_nc_u32_e32 v1, s5, v30
	v_add_nc_u32_e32 v2, s7, v30
	;; [unrolled: 1-line block ×5, first 2 shown]
	v_mul_lo_u32 v1, v1, s4
	v_mul_lo_u32 v2, v2, s6
	;; [unrolled: 1-line block ×4, first 2 shown]
	v_add_nc_u32_e32 v6, s7, v28
	v_add_nc_u32_e32 v7, s5, v29
	;; [unrolled: 1-line block ×3, first 2 shown]
	v_mul_lo_u32 v5, v5, s4
	v_add_nc_u32_e32 v9, s5, v24
	v_sub_nc_u32_e32 v1, v1, v2
	v_mul_lo_u32 v2, v6, s6
	v_sub_nc_u32_e32 v3, v3, v4
	v_mul_lo_u32 v4, v7, s4
	v_mul_lo_u32 v6, v8, s6
	v_add_nc_u32_e32 v7, s5, v26
	v_cmp_lt_u32_e32 vcc_lo, s3, v1
	v_add_nc_u32_e32 v8, s5, v27
	v_add_nc_u32_e32 v10, s7, v24
	v_sub_nc_u32_e32 v2, v5, v2
	v_add_nc_u32_e32 v5, s7, v26
	v_cndmask_b32_e64 v1, 0, 1, vcc_lo
	v_sub_nc_u32_e32 v4, v4, v6
	v_mul_lo_u32 v6, v7, s4
	v_add_nc_u32_e32 v7, s7, v27
	v_cmp_lt_u32_e32 vcc_lo, s3, v3
	v_mul_lo_u32 v5, v5, s6
	v_mul_lo_u32 v8, v8, s4
	;; [unrolled: 1-line block ×4, first 2 shown]
	v_cndmask_b32_e64 v3, 0, 1, vcc_lo
	v_cmp_lt_u32_e32 vcc_lo, s3, v2
	v_mul_lo_u32 v10, v10, s6
	v_add_nc_u32_e32 v11, s5, v22
	v_sub_nc_u32_e32 v5, v6, v5
	v_add_nc_u32_e32 v12, s7, v22
	v_cndmask_b32_e64 v2, 0, 1, vcc_lo
	v_sub_nc_u32_e32 v6, v8, v7
	v_add_nc_u32_e32 v7, s5, v25
	v_add_nc_u32_e32 v8, s7, v25
	v_cmp_lt_u32_e32 vcc_lo, s3, v4
	v_sub_nc_u32_e32 v9, v9, v10
	v_mul_lo_u32 v10, v11, s4
	v_mul_lo_u32 v7, v7, s4
	;; [unrolled: 1-line block ×4, first 2 shown]
	v_cndmask_b32_e64 v4, 0, 1, vcc_lo
	v_cmp_lt_u32_e32 vcc_lo, s3, v5
	v_add_nc_u32_e32 v12, s5, v23
	v_add_nc_u32_e32 v13, s7, v20
	v_add_nc_u32_e32 v14, s5, v21
	v_add_nc_u32_e32 v15, s7, v21
	v_cndmask_b32_e64 v5, 0, 1, vcc_lo
	v_cmp_lt_u32_e32 vcc_lo, s3, v6
	v_sub_nc_u32_e32 v7, v7, v8
	v_sub_nc_u32_e32 v8, v10, v11
	v_add_nc_u32_e32 v11, s7, v23
	v_mul_lo_u32 v10, v12, s4
	v_cndmask_b32_e64 v6, 0, 1, vcc_lo
	v_cmp_lt_u32_e32 vcc_lo, s3, v9
	v_add_nc_u32_e32 v12, s5, v20
	v_mul_lo_u32 v11, v11, s6
	v_mul_lo_u32 v13, v13, s6
	;; [unrolled: 1-line block ×3, first 2 shown]
	v_cndmask_b32_e64 v9, 0, 1, vcc_lo
	v_cmp_lt_u32_e32 vcc_lo, s3, v7
	v_mul_lo_u32 v12, v12, s4
	v_mul_lo_u32 v15, v15, s6
	v_lshlrev_b16 v3, 8, v3
	v_sub_nc_u32_e32 v10, v10, v11
	v_cndmask_b32_e64 v7, 0, 1, vcc_lo
	v_cmp_lt_u32_e32 vcc_lo, s3, v8
	v_add_nc_u32_e32 v11, s5, v35
	v_or_b32_e32 v1, v1, v3
	v_sub_nc_u32_e32 v12, v12, v13
	v_sub_nc_u32_e32 v13, v14, v15
	v_cndmask_b32_e64 v8, 0, 1, vcc_lo
	v_cmp_lt_u32_e32 vcc_lo, s3, v10
	v_add_nc_u32_e32 v16, s7, v35
	v_mul_lo_u32 v11, v11, s4
	v_lshlrev_b16 v4, 8, v4
	v_lshlrev_b16 v6, 8, v6
	v_cndmask_b32_e64 v10, 0, 1, vcc_lo
	v_cmp_lt_u32_e32 vcc_lo, s3, v12
	v_mul_lo_u32 v14, v16, s6
	v_lshlrev_b16 v7, 8, v7
	v_or_b32_e32 v2, v2, v4
	v_lshlrev_b16 v10, 8, v10
	v_cndmask_b32_e64 v3, 0, 1, vcc_lo
	v_cmp_lt_u32_e32 vcc_lo, s3, v13
	v_or_b32_e32 v4, v5, v6
	v_or_b32_e32 v5, v9, v7
	v_sub_nc_u32_e32 v11, v11, v14
	v_or_b32_e32 v6, v8, v10
	v_cndmask_b32_e64 v12, 0, 1, vcc_lo
	v_and_b32_e32 v1, 0xffff, v1
	v_lshlrev_b32_e32 v2, 16, v2
	v_and_b32_e32 v4, 0xffff, v4
	v_lshlrev_b32_e32 v5, 16, v5
	v_lshlrev_b16 v12, 8, v12
	v_and_b32_e32 v6, 0xffff, v6
	v_cmp_lt_u32_e32 vcc_lo, s3, v11
	v_or_b32_e32 v42, v1, v2
	v_or_b32_e32 v40, v4, v5
	;; [unrolled: 1-line block ×3, first 2 shown]
	v_cndmask_b32_e64 v37, 0, 1, vcc_lo
	s_delay_alu instid0(VALU_DEP_2) | instskip(NEXT) | instid1(VALU_DEP_1)
	v_lshlrev_b32_e32 v3, 16, v3
	v_or_b32_e32 v38, v6, v3
	s_addk_i32 s11, 0xd00
	s_cbranch_execz .LBB1514_11
	s_branch .LBB1514_38
.LBB1514_10:
                                        ; implicit-def: $vgpr37
                                        ; implicit-def: $vgpr38
                                        ; implicit-def: $vgpr40
                                        ; implicit-def: $vgpr42
	s_addk_i32 s11, 0xd00
.LBB1514_11:
	v_dual_mov_b32 v2, 0 :: v_dual_mov_b32 v1, 0
	s_mov_b32 s0, exec_lo
	v_cmpx_gt_u32_e64 s11, v36
; %bb.12:
	v_add_nc_u32_e32 v1, s5, v30
	v_add_nc_u32_e32 v3, s7, v30
	s_delay_alu instid0(VALU_DEP_2) | instskip(NEXT) | instid1(VALU_DEP_2)
	v_mul_lo_u32 v1, v1, s4
	v_mul_lo_u32 v3, v3, s6
	s_delay_alu instid0(VALU_DEP_1) | instskip(NEXT) | instid1(VALU_DEP_1)
	v_sub_nc_u32_e32 v1, v1, v3
	v_cmp_lt_u32_e32 vcc_lo, s3, v1
	v_cndmask_b32_e64 v1, 0, 1, vcc_lo
; %bb.13:
	s_or_b32 exec_lo, exec_lo, s0
	v_add_nc_u32_e32 v3, 1, v36
	s_mov_b32 s0, exec_lo
	s_delay_alu instid0(VALU_DEP_1)
	v_cmpx_gt_u32_e64 s11, v3
; %bb.14:
	v_add_nc_u32_e32 v2, s5, v31
	v_add_nc_u32_e32 v3, s7, v31
	s_delay_alu instid0(VALU_DEP_2) | instskip(NEXT) | instid1(VALU_DEP_2)
	v_mul_lo_u32 v2, v2, s4
	v_mul_lo_u32 v3, v3, s6
	s_delay_alu instid0(VALU_DEP_1) | instskip(NEXT) | instid1(VALU_DEP_1)
	v_sub_nc_u32_e32 v2, v2, v3
	v_cmp_lt_u32_e32 vcc_lo, s3, v2
	v_cndmask_b32_e64 v2, 0, 1, vcc_lo
; %bb.15:
	s_or_b32 exec_lo, exec_lo, s0
	v_dual_mov_b32 v4, 0 :: v_dual_add_nc_u32 v3, 2, v36
	s_delay_alu instid0(VALU_DEP_1)
	v_cmp_gt_u32_e32 vcc_lo, s11, v3
	v_mov_b32_e32 v3, 0
	s_and_saveexec_b32 s0, vcc_lo
; %bb.16:
	v_add_nc_u32_e32 v3, s5, v28
	v_add_nc_u32_e32 v5, s7, v28
	s_delay_alu instid0(VALU_DEP_2) | instskip(NEXT) | instid1(VALU_DEP_2)
	v_mul_lo_u32 v3, v3, s4
	v_mul_lo_u32 v5, v5, s6
	s_delay_alu instid0(VALU_DEP_1) | instskip(NEXT) | instid1(VALU_DEP_1)
	v_sub_nc_u32_e32 v3, v3, v5
	v_cmp_lt_u32_e32 vcc_lo, s3, v3
	v_cndmask_b32_e64 v3, 0, 1, vcc_lo
; %bb.17:
	s_or_b32 exec_lo, exec_lo, s0
	v_add_nc_u32_e32 v5, 3, v36
	s_mov_b32 s0, exec_lo
	s_delay_alu instid0(VALU_DEP_1)
	v_cmpx_gt_u32_e64 s11, v5
; %bb.18:
	v_add_nc_u32_e32 v4, s5, v29
	v_add_nc_u32_e32 v5, s7, v29
	s_delay_alu instid0(VALU_DEP_2) | instskip(NEXT) | instid1(VALU_DEP_2)
	v_mul_lo_u32 v4, v4, s4
	v_mul_lo_u32 v5, v5, s6
	s_delay_alu instid0(VALU_DEP_1) | instskip(NEXT) | instid1(VALU_DEP_1)
	v_sub_nc_u32_e32 v4, v4, v5
	v_cmp_lt_u32_e32 vcc_lo, s3, v4
	v_cndmask_b32_e64 v4, 0, 1, vcc_lo
; %bb.19:
	s_or_b32 exec_lo, exec_lo, s0
	v_dual_mov_b32 v6, 0 :: v_dual_add_nc_u32 v5, 4, v36
	s_delay_alu instid0(VALU_DEP_1)
	v_cmp_gt_u32_e32 vcc_lo, s11, v5
	v_mov_b32_e32 v5, 0
	s_and_saveexec_b32 s0, vcc_lo
	;; [unrolled: 33-line block ×5, first 2 shown]
; %bb.32:
	v_add_nc_u32_e32 v11, s5, v20
	v_add_nc_u32_e32 v13, s7, v20
	s_delay_alu instid0(VALU_DEP_2) | instskip(NEXT) | instid1(VALU_DEP_2)
	v_mul_lo_u32 v11, v11, s4
	v_mul_lo_u32 v13, v13, s6
	s_delay_alu instid0(VALU_DEP_1) | instskip(NEXT) | instid1(VALU_DEP_1)
	v_sub_nc_u32_e32 v11, v11, v13
	v_cmp_lt_u32_e32 vcc_lo, s3, v11
	v_cndmask_b32_e64 v11, 0, 1, vcc_lo
; %bb.33:
	s_or_b32 exec_lo, exec_lo, s0
	v_add_nc_u32_e32 v13, 11, v36
	s_mov_b32 s0, exec_lo
	s_delay_alu instid0(VALU_DEP_1)
	v_cmpx_gt_u32_e64 s11, v13
; %bb.34:
	v_add_nc_u32_e32 v12, s5, v21
	v_add_nc_u32_e32 v13, s7, v21
	s_delay_alu instid0(VALU_DEP_2) | instskip(NEXT) | instid1(VALU_DEP_2)
	v_mul_lo_u32 v12, v12, s4
	v_mul_lo_u32 v13, v13, s6
	s_delay_alu instid0(VALU_DEP_1) | instskip(NEXT) | instid1(VALU_DEP_1)
	v_sub_nc_u32_e32 v12, v12, v13
	v_cmp_lt_u32_e32 vcc_lo, s3, v12
	v_cndmask_b32_e64 v12, 0, 1, vcc_lo
; %bb.35:
	s_or_b32 exec_lo, exec_lo, s0
	v_add_nc_u32_e32 v13, 12, v36
	v_mov_b32_e32 v37, 0
	s_mov_b32 s0, exec_lo
	s_delay_alu instid0(VALU_DEP_2)
	v_cmpx_gt_u32_e64 s11, v13
; %bb.36:
	v_add_nc_u32_e32 v13, s5, v35
	v_add_nc_u32_e32 v14, s7, v35
	s_delay_alu instid0(VALU_DEP_2) | instskip(NEXT) | instid1(VALU_DEP_2)
	v_mul_lo_u32 v13, v13, s4
	v_mul_lo_u32 v14, v14, s6
	s_delay_alu instid0(VALU_DEP_1) | instskip(NEXT) | instid1(VALU_DEP_1)
	v_sub_nc_u32_e32 v13, v13, v14
	v_cmp_lt_u32_e32 vcc_lo, s3, v13
	v_cndmask_b32_e64 v37, 0, 1, vcc_lo
; %bb.37:
	s_or_b32 exec_lo, exec_lo, s0
	v_lshlrev_b16 v2, 8, v2
	v_lshlrev_b16 v4, 8, v4
	;; [unrolled: 1-line block ×5, first 2 shown]
	v_or_b32_e32 v1, v1, v2
	v_lshlrev_b16 v2, 8, v12
	v_or_b32_e32 v3, v3, v4
	v_or_b32_e32 v4, v5, v6
	;; [unrolled: 1-line block ×5, first 2 shown]
	v_and_b32_e32 v1, 0xffff, v1
	v_lshlrev_b32_e32 v3, 16, v3
	v_and_b32_e32 v4, 0xffff, v4
	v_lshlrev_b32_e32 v5, 16, v5
	;; [unrolled: 2-line block ×3, first 2 shown]
	v_or_b32_e32 v42, v1, v3
	s_delay_alu instid0(VALU_DEP_4) | instskip(NEXT) | instid1(VALU_DEP_3)
	v_or_b32_e32 v40, v4, v5
	v_or_b32_e32 v38, v6, v2
.LBB1514_38:
	s_delay_alu instid0(VALU_DEP_3)
	v_and_b32_e32 v44, 0xff, v42
	v_bfe_u32 v45, v42, 8, 8
	v_bfe_u32 v46, v42, 16, 8
	v_lshrrev_b32_e32 v43, 24, v42
	v_and_b32_e32 v47, 0xff, v40
	v_bfe_u32 v48, v40, 8, 8
	v_bfe_u32 v49, v40, 16, 8
	v_add3_u32 v1, v45, v44, v46
	v_lshrrev_b32_e32 v41, 24, v40
	v_and_b32_e32 v50, 0xff, v38
	v_bfe_u32 v51, v38, 8, 8
	v_mbcnt_lo_u32_b32 v53, -1, 0
	v_add3_u32 v1, v1, v43, v47
	v_bfe_u32 v52, v38, 16, 8
	v_lshrrev_b32_e32 v39, 24, v38
	v_and_b32_e32 v2, 0xff, v37
	v_and_b32_e32 v3, 15, v53
	v_add3_u32 v1, v1, v48, v49
	v_or_b32_e32 v4, 31, v0
	v_and_b32_e32 v5, 16, v53
	v_lshrrev_b32_e32 v54, 5, v0
	v_cmp_eq_u32_e64 s6, 0, v3
	v_add3_u32 v1, v1, v41, v50
	v_cmp_lt_u32_e64 s5, 1, v3
	v_cmp_lt_u32_e64 s4, 3, v3
	v_cmp_lt_u32_e64 s3, 7, v3
	v_cmp_eq_u32_e64 s1, 0, v5
	v_add3_u32 v1, v1, v51, v52
	v_cmp_eq_u32_e64 s0, v4, v0
	s_cmp_lg_u32 s20, 0
	s_mov_b32 s7, -1
	s_delay_alu instid0(VALU_DEP_2)
	v_add3_u32 v55, v1, v39, v2
	s_cbranch_scc0 .LBB1514_69
; %bb.39:
	s_delay_alu instid0(VALU_DEP_1) | instskip(NEXT) | instid1(VALU_DEP_1)
	v_mov_b32_dpp v1, v55 row_shr:1 row_mask:0xf bank_mask:0xf
	v_cndmask_b32_e64 v1, v1, 0, s6
	s_delay_alu instid0(VALU_DEP_1) | instskip(NEXT) | instid1(VALU_DEP_1)
	v_add_nc_u32_e32 v1, v1, v55
	v_mov_b32_dpp v2, v1 row_shr:2 row_mask:0xf bank_mask:0xf
	s_delay_alu instid0(VALU_DEP_1) | instskip(NEXT) | instid1(VALU_DEP_1)
	v_cndmask_b32_e64 v2, 0, v2, s5
	v_add_nc_u32_e32 v1, v1, v2
	s_delay_alu instid0(VALU_DEP_1) | instskip(NEXT) | instid1(VALU_DEP_1)
	v_mov_b32_dpp v2, v1 row_shr:4 row_mask:0xf bank_mask:0xf
	v_cndmask_b32_e64 v2, 0, v2, s4
	s_delay_alu instid0(VALU_DEP_1) | instskip(NEXT) | instid1(VALU_DEP_1)
	v_add_nc_u32_e32 v1, v1, v2
	v_mov_b32_dpp v2, v1 row_shr:8 row_mask:0xf bank_mask:0xf
	s_delay_alu instid0(VALU_DEP_1) | instskip(NEXT) | instid1(VALU_DEP_1)
	v_cndmask_b32_e64 v2, 0, v2, s3
	v_add_nc_u32_e32 v1, v1, v2
	ds_swizzle_b32 v2, v1 offset:swizzle(BROADCAST,32,15)
	s_waitcnt lgkmcnt(0)
	v_cndmask_b32_e64 v2, v2, 0, s1
	s_delay_alu instid0(VALU_DEP_1)
	v_add_nc_u32_e32 v1, v1, v2
	s_and_saveexec_b32 s7, s0
	s_cbranch_execz .LBB1514_41
; %bb.40:
	v_lshlrev_b32_e32 v2, 2, v54
	ds_store_b32 v2, v1
.LBB1514_41:
	s_or_b32 exec_lo, exec_lo, s7
	s_delay_alu instid0(SALU_CYCLE_1)
	s_mov_b32 s7, exec_lo
	s_waitcnt lgkmcnt(0)
	s_barrier
	buffer_gl0_inv
	v_cmpx_gt_u32_e32 8, v0
	s_cbranch_execz .LBB1514_43
; %bb.42:
	ds_load_b32 v2, v33
	s_waitcnt lgkmcnt(0)
	v_mov_b32_dpp v4, v2 row_shr:1 row_mask:0xf bank_mask:0xf
	v_and_b32_e32 v3, 7, v53
	s_delay_alu instid0(VALU_DEP_1) | instskip(NEXT) | instid1(VALU_DEP_3)
	v_cmp_ne_u32_e32 vcc_lo, 0, v3
	v_cndmask_b32_e32 v4, 0, v4, vcc_lo
	v_cmp_lt_u32_e32 vcc_lo, 1, v3
	s_delay_alu instid0(VALU_DEP_2) | instskip(NEXT) | instid1(VALU_DEP_1)
	v_add_nc_u32_e32 v2, v4, v2
	v_mov_b32_dpp v4, v2 row_shr:2 row_mask:0xf bank_mask:0xf
	s_delay_alu instid0(VALU_DEP_1) | instskip(SKIP_1) | instid1(VALU_DEP_2)
	v_cndmask_b32_e32 v4, 0, v4, vcc_lo
	v_cmp_lt_u32_e32 vcc_lo, 3, v3
	v_add_nc_u32_e32 v2, v2, v4
	s_delay_alu instid0(VALU_DEP_1) | instskip(NEXT) | instid1(VALU_DEP_1)
	v_mov_b32_dpp v4, v2 row_shr:4 row_mask:0xf bank_mask:0xf
	v_cndmask_b32_e32 v3, 0, v4, vcc_lo
	s_delay_alu instid0(VALU_DEP_1)
	v_add_nc_u32_e32 v2, v2, v3
	ds_store_b32 v33, v2
.LBB1514_43:
	s_or_b32 exec_lo, exec_lo, s7
	v_cmp_gt_u32_e32 vcc_lo, 32, v0
	s_mov_b32 s21, exec_lo
	s_waitcnt lgkmcnt(0)
	s_barrier
	buffer_gl0_inv
                                        ; implicit-def: $vgpr8
	v_cmpx_lt_u32_e32 31, v0
	s_cbranch_execz .LBB1514_45
; %bb.44:
	v_lshl_add_u32 v2, v54, 2, -4
	ds_load_b32 v8, v2
	s_waitcnt lgkmcnt(0)
	v_add_nc_u32_e32 v1, v8, v1
.LBB1514_45:
	s_or_b32 exec_lo, exec_lo, s21
	v_add_nc_u32_e32 v2, -1, v53
	s_delay_alu instid0(VALU_DEP_1) | instskip(NEXT) | instid1(VALU_DEP_1)
	v_cmp_gt_i32_e64 s7, 0, v2
	v_cndmask_b32_e64 v2, v2, v53, s7
	v_cmp_eq_u32_e64 s7, 0, v53
	s_delay_alu instid0(VALU_DEP_2)
	v_lshlrev_b32_e32 v2, 2, v2
	ds_bpermute_b32 v9, v2, v1
	s_and_saveexec_b32 s21, vcc_lo
	s_cbranch_execz .LBB1514_68
; %bb.46:
	v_mov_b32_e32 v4, 0
	ds_load_b32 v1, v4 offset:28
	s_and_saveexec_b32 s22, s7
	s_cbranch_execz .LBB1514_48
; %bb.47:
	s_add_i32 s24, s20, 32
	s_mov_b32 s25, 0
	v_mov_b32_e32 v2, 1
	s_lshl_b64 s[24:25], s[24:25], 3
	s_delay_alu instid0(SALU_CYCLE_1)
	s_add_u32 s24, s18, s24
	s_addc_u32 s25, s19, s25
	s_waitcnt lgkmcnt(0)
	global_store_b64 v4, v[1:2], s[24:25]
.LBB1514_48:
	s_or_b32 exec_lo, exec_lo, s22
	v_xad_u32 v2, v53, -1, s20
	s_mov_b32 s23, 0
	s_mov_b32 s22, exec_lo
	s_delay_alu instid0(VALU_DEP_1) | instskip(NEXT) | instid1(VALU_DEP_1)
	v_add_nc_u32_e32 v3, 32, v2
	v_lshlrev_b64 v[3:4], 3, v[3:4]
	s_delay_alu instid0(VALU_DEP_1) | instskip(NEXT) | instid1(VALU_DEP_2)
	v_add_co_u32 v6, vcc_lo, s18, v3
	v_add_co_ci_u32_e32 v7, vcc_lo, s19, v4, vcc_lo
	global_load_b64 v[4:5], v[6:7], off glc
	s_waitcnt vmcnt(0)
	v_and_b32_e32 v3, 0xff, v5
	s_delay_alu instid0(VALU_DEP_1)
	v_cmpx_eq_u16_e32 0, v3
	s_cbranch_execz .LBB1514_54
; %bb.49:
	s_mov_b32 s24, 1
	.p2align	6
.LBB1514_50:                            ; =>This Loop Header: Depth=1
                                        ;     Child Loop BB1514_51 Depth 2
	s_delay_alu instid0(SALU_CYCLE_1)
	s_max_u32 s25, s24, 1
.LBB1514_51:                            ;   Parent Loop BB1514_50 Depth=1
                                        ; =>  This Inner Loop Header: Depth=2
	s_delay_alu instid0(SALU_CYCLE_1)
	s_add_i32 s25, s25, -1
	s_sleep 1
	s_cmp_eq_u32 s25, 0
	s_cbranch_scc0 .LBB1514_51
; %bb.52:                               ;   in Loop: Header=BB1514_50 Depth=1
	global_load_b64 v[4:5], v[6:7], off glc
	s_cmp_lt_u32 s24, 32
	s_cselect_b32 s25, -1, 0
	s_delay_alu instid0(SALU_CYCLE_1) | instskip(SKIP_3) | instid1(VALU_DEP_1)
	s_cmp_lg_u32 s25, 0
	s_addc_u32 s24, s24, 0
	s_waitcnt vmcnt(0)
	v_and_b32_e32 v3, 0xff, v5
	v_cmp_ne_u16_e32 vcc_lo, 0, v3
	s_or_b32 s23, vcc_lo, s23
	s_delay_alu instid0(SALU_CYCLE_1)
	s_and_not1_b32 exec_lo, exec_lo, s23
	s_cbranch_execnz .LBB1514_50
; %bb.53:
	s_or_b32 exec_lo, exec_lo, s23
.LBB1514_54:
	s_delay_alu instid0(SALU_CYCLE_1)
	s_or_b32 exec_lo, exec_lo, s22
	v_cmp_ne_u32_e32 vcc_lo, 31, v53
	v_lshlrev_b32_e64 v11, v53, -1
	v_add_nc_u32_e32 v13, 2, v53
	v_add_nc_u32_e32 v15, 4, v53
	;; [unrolled: 1-line block ×3, first 2 shown]
	v_add_co_ci_u32_e32 v3, vcc_lo, 0, v53, vcc_lo
	v_add_nc_u32_e32 v58, 16, v53
	s_delay_alu instid0(VALU_DEP_2) | instskip(SKIP_2) | instid1(VALU_DEP_1)
	v_lshlrev_b32_e32 v10, 2, v3
	ds_bpermute_b32 v6, v10, v4
	v_and_b32_e32 v3, 0xff, v5
	v_cmp_eq_u16_e32 vcc_lo, 2, v3
	v_and_or_b32 v3, vcc_lo, v11, 0x80000000
	v_cmp_gt_u32_e32 vcc_lo, 30, v53
	s_delay_alu instid0(VALU_DEP_2) | instskip(SKIP_1) | instid1(VALU_DEP_2)
	v_ctz_i32_b32_e32 v3, v3
	v_cndmask_b32_e64 v7, 0, 1, vcc_lo
	v_cmp_lt_u32_e32 vcc_lo, v53, v3
	s_waitcnt lgkmcnt(0)
	s_delay_alu instid0(VALU_DEP_2) | instskip(NEXT) | instid1(VALU_DEP_1)
	v_dual_cndmask_b32 v6, 0, v6 :: v_dual_lshlrev_b32 v7, 1, v7
	v_add_lshl_u32 v12, v7, v53, 2
	v_cmp_gt_u32_e32 vcc_lo, 28, v53
	s_delay_alu instid0(VALU_DEP_3) | instskip(SKIP_4) | instid1(VALU_DEP_1)
	v_add_nc_u32_e32 v4, v6, v4
	v_cndmask_b32_e64 v7, 0, 1, vcc_lo
	v_cmp_le_u32_e32 vcc_lo, v13, v3
	ds_bpermute_b32 v6, v12, v4
	v_lshlrev_b32_e32 v7, 2, v7
	v_add_lshl_u32 v14, v7, v53, 2
	s_waitcnt lgkmcnt(0)
	v_cndmask_b32_e32 v6, 0, v6, vcc_lo
	v_cmp_gt_u32_e32 vcc_lo, 24, v53
	s_delay_alu instid0(VALU_DEP_2) | instskip(SKIP_4) | instid1(VALU_DEP_1)
	v_add_nc_u32_e32 v4, v4, v6
	v_cndmask_b32_e64 v7, 0, 1, vcc_lo
	v_cmp_le_u32_e32 vcc_lo, v15, v3
	ds_bpermute_b32 v6, v14, v4
	v_lshlrev_b32_e32 v7, 3, v7
	v_add_lshl_u32 v17, v7, v53, 2
	s_waitcnt lgkmcnt(0)
	v_cndmask_b32_e32 v6, 0, v6, vcc_lo
	v_cmp_gt_u32_e32 vcc_lo, 16, v53
	s_delay_alu instid0(VALU_DEP_2) | instskip(SKIP_4) | instid1(VALU_DEP_1)
	v_add_nc_u32_e32 v4, v4, v6
	v_cndmask_b32_e64 v7, 0, 1, vcc_lo
	v_cmp_le_u32_e32 vcc_lo, v56, v3
	ds_bpermute_b32 v6, v17, v4
	v_lshlrev_b32_e32 v7, 4, v7
	v_add_lshl_u32 v57, v7, v53, 2
	s_waitcnt lgkmcnt(0)
	v_cndmask_b32_e32 v6, 0, v6, vcc_lo
	v_cmp_le_u32_e32 vcc_lo, v58, v3
	s_delay_alu instid0(VALU_DEP_2) | instskip(SKIP_3) | instid1(VALU_DEP_1)
	v_add_nc_u32_e32 v4, v4, v6
	ds_bpermute_b32 v6, v57, v4
	s_waitcnt lgkmcnt(0)
	v_cndmask_b32_e32 v3, 0, v6, vcc_lo
	v_dual_mov_b32 v3, 0 :: v_dual_add_nc_u32 v4, v4, v3
	s_branch .LBB1514_56
.LBB1514_55:                            ;   in Loop: Header=BB1514_56 Depth=1
	s_or_b32 exec_lo, exec_lo, s22
	ds_bpermute_b32 v7, v10, v4
	v_and_b32_e32 v6, 0xff, v5
	v_subrev_nc_u32_e32 v2, 32, v2
	s_delay_alu instid0(VALU_DEP_2) | instskip(SKIP_1) | instid1(VALU_DEP_1)
	v_cmp_eq_u16_e32 vcc_lo, 2, v6
	v_and_or_b32 v6, vcc_lo, v11, 0x80000000
	v_ctz_i32_b32_e32 v6, v6
	s_delay_alu instid0(VALU_DEP_1) | instskip(SKIP_3) | instid1(VALU_DEP_2)
	v_cmp_lt_u32_e32 vcc_lo, v53, v6
	s_waitcnt lgkmcnt(0)
	v_cndmask_b32_e32 v7, 0, v7, vcc_lo
	v_cmp_le_u32_e32 vcc_lo, v13, v6
	v_add_nc_u32_e32 v4, v7, v4
	ds_bpermute_b32 v7, v12, v4
	s_waitcnt lgkmcnt(0)
	v_cndmask_b32_e32 v7, 0, v7, vcc_lo
	v_cmp_le_u32_e32 vcc_lo, v15, v6
	s_delay_alu instid0(VALU_DEP_2) | instskip(SKIP_4) | instid1(VALU_DEP_2)
	v_add_nc_u32_e32 v4, v4, v7
	ds_bpermute_b32 v7, v14, v4
	s_waitcnt lgkmcnt(0)
	v_cndmask_b32_e32 v7, 0, v7, vcc_lo
	v_cmp_le_u32_e32 vcc_lo, v56, v6
	v_add_nc_u32_e32 v4, v4, v7
	ds_bpermute_b32 v7, v17, v4
	s_waitcnt lgkmcnt(0)
	v_cndmask_b32_e32 v7, 0, v7, vcc_lo
	v_cmp_le_u32_e32 vcc_lo, v58, v6
	s_delay_alu instid0(VALU_DEP_2) | instskip(SKIP_3) | instid1(VALU_DEP_1)
	v_add_nc_u32_e32 v4, v4, v7
	ds_bpermute_b32 v7, v57, v4
	s_waitcnt lgkmcnt(0)
	v_cndmask_b32_e32 v6, 0, v7, vcc_lo
	v_add3_u32 v4, v6, v16, v4
.LBB1514_56:                            ; =>This Loop Header: Depth=1
                                        ;     Child Loop BB1514_59 Depth 2
                                        ;       Child Loop BB1514_60 Depth 3
	s_delay_alu instid0(VALU_DEP_1) | instskip(NEXT) | instid1(VALU_DEP_1)
	v_dual_mov_b32 v16, v4 :: v_dual_and_b32 v5, 0xff, v5
	v_cmp_ne_u16_e32 vcc_lo, 2, v5
	v_cndmask_b32_e64 v5, 0, 1, vcc_lo
	;;#ASMSTART
	;;#ASMEND
	s_delay_alu instid0(VALU_DEP_1)
	v_cmp_ne_u32_e32 vcc_lo, 0, v5
	s_cmp_lg_u32 vcc_lo, exec_lo
	s_cbranch_scc1 .LBB1514_63
; %bb.57:                               ;   in Loop: Header=BB1514_56 Depth=1
	v_lshlrev_b64 v[4:5], 3, v[2:3]
	s_mov_b32 s22, exec_lo
	s_delay_alu instid0(VALU_DEP_1) | instskip(NEXT) | instid1(VALU_DEP_2)
	v_add_co_u32 v6, vcc_lo, s18, v4
	v_add_co_ci_u32_e32 v7, vcc_lo, s19, v5, vcc_lo
	global_load_b64 v[4:5], v[6:7], off glc
	s_waitcnt vmcnt(0)
	v_and_b32_e32 v59, 0xff, v5
	s_delay_alu instid0(VALU_DEP_1)
	v_cmpx_eq_u16_e32 0, v59
	s_cbranch_execz .LBB1514_55
; %bb.58:                               ;   in Loop: Header=BB1514_56 Depth=1
	s_mov_b32 s24, 1
	s_mov_b32 s23, 0
	.p2align	6
.LBB1514_59:                            ;   Parent Loop BB1514_56 Depth=1
                                        ; =>  This Loop Header: Depth=2
                                        ;       Child Loop BB1514_60 Depth 3
	s_max_u32 s25, s24, 1
.LBB1514_60:                            ;   Parent Loop BB1514_56 Depth=1
                                        ;     Parent Loop BB1514_59 Depth=2
                                        ; =>    This Inner Loop Header: Depth=3
	s_delay_alu instid0(SALU_CYCLE_1)
	s_add_i32 s25, s25, -1
	s_sleep 1
	s_cmp_eq_u32 s25, 0
	s_cbranch_scc0 .LBB1514_60
; %bb.61:                               ;   in Loop: Header=BB1514_59 Depth=2
	global_load_b64 v[4:5], v[6:7], off glc
	s_cmp_lt_u32 s24, 32
	s_cselect_b32 s25, -1, 0
	s_delay_alu instid0(SALU_CYCLE_1) | instskip(SKIP_3) | instid1(VALU_DEP_1)
	s_cmp_lg_u32 s25, 0
	s_addc_u32 s24, s24, 0
	s_waitcnt vmcnt(0)
	v_and_b32_e32 v59, 0xff, v5
	v_cmp_ne_u16_e32 vcc_lo, 0, v59
	s_or_b32 s23, vcc_lo, s23
	s_delay_alu instid0(SALU_CYCLE_1)
	s_and_not1_b32 exec_lo, exec_lo, s23
	s_cbranch_execnz .LBB1514_59
; %bb.62:                               ;   in Loop: Header=BB1514_56 Depth=1
	s_or_b32 exec_lo, exec_lo, s23
	s_branch .LBB1514_55
.LBB1514_63:                            ;   in Loop: Header=BB1514_56 Depth=1
                                        ; implicit-def: $vgpr4
                                        ; implicit-def: $vgpr5
	s_cbranch_execz .LBB1514_56
; %bb.64:
	s_and_saveexec_b32 s22, s7
	s_cbranch_execz .LBB1514_66
; %bb.65:
	s_add_i32 s24, s20, 32
	s_mov_b32 s25, 0
	v_dual_mov_b32 v3, 2 :: v_dual_add_nc_u32 v2, v16, v1
	s_lshl_b64 s[24:25], s[24:25], 3
	v_mov_b32_e32 v4, 0
	v_add_nc_u32_e64 v5, 0x3400, 0
	s_add_u32 s24, s18, s24
	s_addc_u32 s25, s19, s25
	global_store_b64 v4, v[2:3], s[24:25]
	ds_store_2addr_b32 v5, v1, v16 offset1:2
.LBB1514_66:
	s_or_b32 exec_lo, exec_lo, s22
	s_delay_alu instid0(SALU_CYCLE_1)
	s_and_b32 exec_lo, exec_lo, s2
	s_cbranch_execz .LBB1514_68
; %bb.67:
	v_mov_b32_e32 v1, 0
	ds_store_b32 v1, v16 offset:28
.LBB1514_68:
	s_or_b32 exec_lo, exec_lo, s21
	v_mov_b32_e32 v1, 0
	s_waitcnt lgkmcnt(0)
	s_waitcnt_vscnt null, 0x0
	s_barrier
	buffer_gl0_inv
	v_cndmask_b32_e64 v2, v9, v8, s7
	ds_load_b32 v1, v1 offset:28
	v_add_nc_u32_e64 v11, 0x3400, 0
	s_waitcnt lgkmcnt(0)
	s_barrier
	v_cndmask_b32_e64 v2, v2, 0, s2
	buffer_gl0_inv
	ds_load_2addr_b32 v[16:17], v11 offset1:2
	v_add_nc_u32_e32 v1, v1, v2
	s_delay_alu instid0(VALU_DEP_1) | instskip(NEXT) | instid1(VALU_DEP_1)
	v_add_nc_u32_e32 v2, v1, v44
	v_add_nc_u32_e32 v3, v2, v45
	s_delay_alu instid0(VALU_DEP_1) | instskip(NEXT) | instid1(VALU_DEP_1)
	v_add_nc_u32_e32 v4, v3, v46
	;; [unrolled: 3-line block ×6, first 2 shown]
	v_add_nc_u32_e32 v13, v12, v39
	s_branch .LBB1514_79
.LBB1514_69:
                                        ; implicit-def: $vgpr17
                                        ; implicit-def: $vgpr1_vgpr2_vgpr3_vgpr4_vgpr5_vgpr6_vgpr7_vgpr8_vgpr9_vgpr10_vgpr11_vgpr12_vgpr13_vgpr14_vgpr15_vgpr16
	s_and_b32 vcc_lo, exec_lo, s7
	s_cbranch_vccz .LBB1514_79
; %bb.70:
	s_delay_alu instid0(VALU_DEP_1) | instskip(NEXT) | instid1(VALU_DEP_1)
	v_mov_b32_dpp v1, v55 row_shr:1 row_mask:0xf bank_mask:0xf
	v_cndmask_b32_e64 v1, v1, 0, s6
	s_delay_alu instid0(VALU_DEP_1) | instskip(NEXT) | instid1(VALU_DEP_1)
	v_add_nc_u32_e32 v1, v1, v55
	v_mov_b32_dpp v2, v1 row_shr:2 row_mask:0xf bank_mask:0xf
	s_delay_alu instid0(VALU_DEP_1) | instskip(NEXT) | instid1(VALU_DEP_1)
	v_cndmask_b32_e64 v2, 0, v2, s5
	v_add_nc_u32_e32 v1, v1, v2
	s_delay_alu instid0(VALU_DEP_1) | instskip(NEXT) | instid1(VALU_DEP_1)
	v_mov_b32_dpp v2, v1 row_shr:4 row_mask:0xf bank_mask:0xf
	v_cndmask_b32_e64 v2, 0, v2, s4
	s_delay_alu instid0(VALU_DEP_1) | instskip(NEXT) | instid1(VALU_DEP_1)
	v_add_nc_u32_e32 v1, v1, v2
	v_mov_b32_dpp v2, v1 row_shr:8 row_mask:0xf bank_mask:0xf
	s_delay_alu instid0(VALU_DEP_1) | instskip(NEXT) | instid1(VALU_DEP_1)
	v_cndmask_b32_e64 v2, 0, v2, s3
	v_add_nc_u32_e32 v1, v1, v2
	ds_swizzle_b32 v2, v1 offset:swizzle(BROADCAST,32,15)
	s_waitcnt lgkmcnt(0)
	v_cndmask_b32_e64 v2, v2, 0, s1
	s_delay_alu instid0(VALU_DEP_1)
	v_add_nc_u32_e32 v1, v1, v2
	s_and_saveexec_b32 s1, s0
	s_cbranch_execz .LBB1514_72
; %bb.71:
	v_lshlrev_b32_e32 v2, 2, v54
	ds_store_b32 v2, v1
.LBB1514_72:
	s_or_b32 exec_lo, exec_lo, s1
	s_delay_alu instid0(SALU_CYCLE_1)
	s_mov_b32 s0, exec_lo
	s_waitcnt lgkmcnt(0)
	s_barrier
	buffer_gl0_inv
	v_cmpx_gt_u32_e32 8, v0
	s_cbranch_execz .LBB1514_74
; %bb.73:
	ds_load_b32 v2, v33
	s_waitcnt lgkmcnt(0)
	v_mov_b32_dpp v4, v2 row_shr:1 row_mask:0xf bank_mask:0xf
	v_and_b32_e32 v3, 7, v53
	s_delay_alu instid0(VALU_DEP_1) | instskip(NEXT) | instid1(VALU_DEP_3)
	v_cmp_ne_u32_e32 vcc_lo, 0, v3
	v_cndmask_b32_e32 v4, 0, v4, vcc_lo
	v_cmp_lt_u32_e32 vcc_lo, 1, v3
	s_delay_alu instid0(VALU_DEP_2) | instskip(NEXT) | instid1(VALU_DEP_1)
	v_add_nc_u32_e32 v2, v4, v2
	v_mov_b32_dpp v4, v2 row_shr:2 row_mask:0xf bank_mask:0xf
	s_delay_alu instid0(VALU_DEP_1) | instskip(SKIP_1) | instid1(VALU_DEP_2)
	v_cndmask_b32_e32 v4, 0, v4, vcc_lo
	v_cmp_lt_u32_e32 vcc_lo, 3, v3
	v_add_nc_u32_e32 v2, v2, v4
	s_delay_alu instid0(VALU_DEP_1) | instskip(NEXT) | instid1(VALU_DEP_1)
	v_mov_b32_dpp v4, v2 row_shr:4 row_mask:0xf bank_mask:0xf
	v_cndmask_b32_e32 v3, 0, v4, vcc_lo
	s_delay_alu instid0(VALU_DEP_1)
	v_add_nc_u32_e32 v2, v2, v3
	ds_store_b32 v33, v2
.LBB1514_74:
	s_or_b32 exec_lo, exec_lo, s0
	v_dual_mov_b32 v3, 0 :: v_dual_mov_b32 v2, 0
	s_mov_b32 s0, exec_lo
	s_waitcnt lgkmcnt(0)
	s_barrier
	buffer_gl0_inv
	v_cmpx_lt_u32_e32 31, v0
	s_cbranch_execz .LBB1514_76
; %bb.75:
	v_lshl_add_u32 v2, v54, 2, -4
	ds_load_b32 v2, v2
.LBB1514_76:
	s_or_b32 exec_lo, exec_lo, s0
	v_add_nc_u32_e32 v4, -1, v53
	s_waitcnt lgkmcnt(0)
	v_add_nc_u32_e32 v1, v2, v1
	ds_load_b32 v16, v3 offset:28
	v_cmp_gt_i32_e32 vcc_lo, 0, v4
	v_cndmask_b32_e32 v4, v4, v53, vcc_lo
	s_delay_alu instid0(VALU_DEP_1)
	v_lshlrev_b32_e32 v4, 2, v4
	ds_bpermute_b32 v1, v4, v1
	s_and_saveexec_b32 s0, s2
	s_cbranch_execz .LBB1514_78
; %bb.77:
	v_mov_b32_e32 v3, 0
	v_mov_b32_e32 v17, 2
	s_waitcnt lgkmcnt(1)
	global_store_b64 v3, v[16:17], s[18:19] offset:256
.LBB1514_78:
	s_or_b32 exec_lo, exec_lo, s0
	v_cmp_eq_u32_e32 vcc_lo, 0, v53
	s_waitcnt lgkmcnt(0)
	s_waitcnt_vscnt null, 0x0
	s_barrier
	buffer_gl0_inv
	v_mov_b32_e32 v17, 0
	v_cndmask_b32_e32 v1, v1, v2, vcc_lo
	s_delay_alu instid0(VALU_DEP_1) | instskip(NEXT) | instid1(VALU_DEP_1)
	v_cndmask_b32_e64 v1, v1, 0, s2
	v_add_nc_u32_e32 v2, v1, v44
	s_delay_alu instid0(VALU_DEP_1) | instskip(NEXT) | instid1(VALU_DEP_1)
	v_add_nc_u32_e32 v3, v2, v45
	v_add_nc_u32_e32 v4, v3, v46
	s_delay_alu instid0(VALU_DEP_1) | instskip(NEXT) | instid1(VALU_DEP_1)
	v_add_nc_u32_e32 v5, v4, v43
	;; [unrolled: 3-line block ×5, first 2 shown]
	v_add_nc_u32_e32 v12, v11, v52
	s_delay_alu instid0(VALU_DEP_1)
	v_add_nc_u32_e32 v13, v12, v39
.LBB1514_79:
	s_waitcnt lgkmcnt(0)
	v_sub_nc_u32_e32 v1, v1, v17
	v_sub_nc_u32_e32 v2, v2, v17
	v_add_nc_u32_e32 v36, v16, v36
	v_lshrrev_b32_e32 v47, 8, v42
	v_lshrrev_b32_e32 v46, 16, v42
	v_sub_nc_u32_e32 v4, v4, v17
	v_sub_nc_u32_e32 v3, v3, v17
	;; [unrolled: 1-line block ×3, first 2 shown]
	v_and_b32_e32 v42, 1, v42
	v_and_b32_e32 v47, 1, v47
	;; [unrolled: 1-line block ×3, first 2 shown]
	v_lshrrev_b32_e32 v45, 8, v40
	v_lshrrev_b32_e32 v44, 16, v40
	v_cmp_eq_u32_e32 vcc_lo, 1, v42
	v_and_b32_e32 v42, 1, v46
	v_sub_nc_u32_e32 v46, v36, v2
	v_lshrrev_b32_e32 v15, 8, v38
	v_lshrrev_b32_e32 v14, 16, v38
	v_cndmask_b32_e32 v1, v48, v1, vcc_lo
	v_cmp_eq_u32_e32 vcc_lo, 1, v47
	v_add_nc_u32_e32 v46, 1, v46
	s_delay_alu instid0(VALU_DEP_3)
	v_lshlrev_b32_e32 v1, 2, v1
	ds_store_b32 v1, v30
	v_cndmask_b32_e32 v1, v46, v2, vcc_lo
	v_sub_nc_u32_e32 v48, v36, v3
	v_sub_nc_u32_e32 v49, v36, v4
	v_cmp_eq_u32_e32 vcc_lo, 1, v42
	v_or_b32_e32 v30, 0x300, v0
	v_lshlrev_b32_e32 v1, 2, v1
	v_add_nc_u32_e32 v48, 2, v48
	v_add_nc_u32_e32 v49, 3, v49
	ds_store_b32 v1, v31
	v_cndmask_b32_e32 v2, v48, v3, vcc_lo
	v_cmp_eq_u32_e32 vcc_lo, 1, v43
	v_or_b32_e32 v31, 0x200, v0
	s_delay_alu instid0(VALU_DEP_3) | instskip(SKIP_2) | instid1(VALU_DEP_3)
	v_dual_cndmask_b32 v3, v49, v4 :: v_dual_lshlrev_b32 v2, 2, v2
	v_sub_nc_u32_e32 v4, v5, v17
	v_sub_nc_u32_e32 v5, v6, v17
	v_lshlrev_b32_e32 v3, 2, v3
	s_delay_alu instid0(VALU_DEP_3) | instskip(NEXT) | instid1(VALU_DEP_3)
	v_sub_nc_u32_e32 v1, v36, v4
	v_sub_nc_u32_e32 v6, v36, v5
	ds_store_b32 v2, v28
	ds_store_b32 v3, v29
	v_and_b32_e32 v2, 1, v40
	v_add_nc_u32_e32 v1, 4, v1
	v_add_nc_u32_e32 v3, 5, v6
	v_sub_nc_u32_e32 v6, v7, v17
	v_and_b32_e32 v7, 1, v45
	v_cmp_eq_u32_e32 vcc_lo, 1, v2
	v_sub_nc_u32_e32 v2, v8, v17
	v_and_b32_e32 v8, 1, v41
	v_or_b32_e32 v29, 0x400, v0
	v_or_b32_e32 v28, 0x500, v0
	v_cndmask_b32_e32 v1, v1, v4, vcc_lo
	v_sub_nc_u32_e32 v4, v36, v6
	v_cmp_eq_u32_e32 vcc_lo, 1, v7
	v_and_b32_e32 v7, 1, v44
	s_delay_alu instid0(VALU_DEP_4) | instskip(NEXT) | instid1(VALU_DEP_4)
	v_lshlrev_b32_e32 v1, 2, v1
	v_dual_cndmask_b32 v3, v3, v5 :: v_dual_add_nc_u32 v4, 6, v4
	v_sub_nc_u32_e32 v5, v36, v2
	s_delay_alu instid0(VALU_DEP_4) | instskip(SKIP_2) | instid1(VALU_DEP_4)
	v_cmp_eq_u32_e32 vcc_lo, 1, v7
	v_sub_nc_u32_e32 v7, v13, v17
	v_add_co_u32 v13, s0, s16, v32
	v_dual_cndmask_b32 v4, v4, v6 :: v_dual_add_nc_u32 v5, 7, v5
	v_cmp_eq_u32_e32 vcc_lo, 1, v8
	v_sub_nc_u32_e32 v6, v9, v17
	v_lshlrev_b32_e32 v3, 2, v3
	ds_store_b32 v1, v26
	ds_store_b32 v3, v27
	v_cndmask_b32_e32 v2, v5, v2, vcc_lo
	v_sub_nc_u32_e32 v1, v36, v6
	v_lshlrev_b32_e32 v3, 2, v4
	v_and_b32_e32 v5, 1, v38
	v_sub_nc_u32_e32 v4, v10, v17
	v_lshlrev_b32_e32 v2, 2, v2
	v_add_nc_u32_e32 v1, 8, v1
	ds_store_b32 v3, v24
	ds_store_b32 v2, v25
	v_cmp_eq_u32_e32 vcc_lo, 1, v5
	v_sub_nc_u32_e32 v3, v11, v17
	v_sub_nc_u32_e32 v2, v36, v4
	;; [unrolled: 1-line block ×3, first 2 shown]
	v_dual_cndmask_b32 v1, v1, v6 :: v_dual_and_b32 v10, 1, v39
	v_and_b32_e32 v6, 1, v15
	v_sub_nc_u32_e32 v8, v36, v3
	v_add_nc_u32_e32 v2, 9, v2
	v_sub_nc_u32_e32 v9, v36, v5
	v_and_b32_e32 v11, 1, v37
	v_cmp_eq_u32_e32 vcc_lo, 1, v6
	v_add_nc_u32_e32 v6, 10, v8
	v_and_b32_e32 v8, 1, v14
	v_add_nc_u32_e32 v9, 11, v9
	v_dual_cndmask_b32 v2, v2, v4 :: v_dual_lshlrev_b32 v1, 2, v1
	v_sub_nc_u32_e32 v4, v36, v7
	s_delay_alu instid0(VALU_DEP_4) | instskip(SKIP_1) | instid1(VALU_DEP_4)
	v_cmp_eq_u32_e32 vcc_lo, 1, v8
	v_add_co_ci_u32_e64 v14, null, s17, 0, s0
	v_lshlrev_b32_e32 v2, 2, v2
	s_delay_alu instid0(VALU_DEP_4)
	v_dual_cndmask_b32 v3, v6, v3 :: v_dual_add_nc_u32 v4, 12, v4
	v_cmp_eq_u32_e32 vcc_lo, 1, v10
	v_or_b32_e32 v27, 0x600, v0
	v_or_b32_e32 v26, 0x700, v0
	;; [unrolled: 1-line block ×3, first 2 shown]
	v_lshlrev_b32_e32 v3, 2, v3
	v_cndmask_b32_e32 v5, v9, v5, vcc_lo
	v_cmp_eq_u32_e32 vcc_lo, 1, v11
	v_or_b32_e32 v24, 0x900, v0
	s_delay_alu instid0(VALU_DEP_3) | instskip(SKIP_2) | instid1(VALU_DEP_3)
	v_dual_cndmask_b32 v4, v4, v7 :: v_dual_lshlrev_b32 v5, 2, v5
	v_sub_co_u32 v13, vcc_lo, s14, v13
	v_sub_co_ci_u32_e32 v14, vcc_lo, s15, v14, vcc_lo
	v_lshlrev_b32_e32 v4, 2, v4
	ds_store_b32 v1, v22
	ds_store_b32 v2, v23
	;; [unrolled: 1-line block ×5, first 2 shown]
	s_waitcnt lgkmcnt(0)
	s_barrier
	buffer_gl0_inv
	ds_load_2addr_stride64_b32 v[11:12], v33 offset1:4
	ds_load_2addr_stride64_b32 v[9:10], v33 offset0:8 offset1:12
	ds_load_2addr_stride64_b32 v[7:8], v33 offset0:16 offset1:20
	;; [unrolled: 1-line block ×5, first 2 shown]
	ds_load_b32 v20, v33 offset:12288
	v_add_co_u32 v15, vcc_lo, v18, v17
	v_add_co_ci_u32_e32 v17, vcc_lo, 0, v19, vcc_lo
	v_add_co_u32 v13, vcc_lo, v13, v16
	v_add_co_ci_u32_e32 v14, vcc_lo, 0, v14, vcc_lo
	v_cmp_ne_u32_e32 vcc_lo, 1, v34
	s_delay_alu instid0(VALU_DEP_3)
	v_add_co_u32 v18, s0, v13, v15
	v_or_b32_e32 v35, 0x100, v0
	v_or_b32_e32 v23, 0xa00, v0
	;; [unrolled: 1-line block ×4, first 2 shown]
	v_add_co_ci_u32_e64 v19, s0, v14, v17, s0
	s_mov_b32 s0, 0
	s_cbranch_vccnz .LBB1514_136
; %bb.80:
	s_mov_b32 s0, exec_lo
                                        ; implicit-def: $vgpr13_vgpr14
	v_cmpx_ge_u32_e64 v0, v16
	s_xor_b32 s0, exec_lo, s0
; %bb.81:
	v_not_b32_e32 v13, v0
	s_delay_alu instid0(VALU_DEP_1) | instskip(SKIP_1) | instid1(VALU_DEP_2)
	v_ashrrev_i32_e32 v14, 31, v13
	v_add_co_u32 v13, vcc_lo, v18, v13
	v_add_co_ci_u32_e32 v14, vcc_lo, v19, v14, vcc_lo
; %bb.82:
	s_and_not1_saveexec_b32 s0, s0
; %bb.83:
	v_add_co_u32 v13, vcc_lo, v15, v0
	v_add_co_ci_u32_e32 v14, vcc_lo, 0, v17, vcc_lo
; %bb.84:
	s_or_b32 exec_lo, exec_lo, s0
	s_delay_alu instid0(VALU_DEP_1) | instskip(SKIP_1) | instid1(VALU_DEP_1)
	v_lshlrev_b64 v[13:14], 2, v[13:14]
	s_mov_b32 s0, exec_lo
	v_add_co_u32 v13, vcc_lo, s12, v13
	s_delay_alu instid0(VALU_DEP_2)
	v_add_co_ci_u32_e32 v14, vcc_lo, s13, v14, vcc_lo
	s_waitcnt lgkmcnt(6)
	global_store_b32 v[13:14], v11, off
                                        ; implicit-def: $vgpr13_vgpr14
	v_cmpx_ge_u32_e64 v35, v16
	s_xor_b32 s0, exec_lo, s0
; %bb.85:
	v_xor_b32_e32 v13, 0xfffffeff, v0
	s_delay_alu instid0(VALU_DEP_1) | instskip(SKIP_1) | instid1(VALU_DEP_2)
	v_ashrrev_i32_e32 v14, 31, v13
	v_add_co_u32 v13, vcc_lo, v18, v13
	v_add_co_ci_u32_e32 v14, vcc_lo, v19, v14, vcc_lo
; %bb.86:
	s_and_not1_saveexec_b32 s0, s0
; %bb.87:
	v_add_co_u32 v13, vcc_lo, v15, v35
	v_add_co_ci_u32_e32 v14, vcc_lo, 0, v17, vcc_lo
; %bb.88:
	s_or_b32 exec_lo, exec_lo, s0
	s_delay_alu instid0(VALU_DEP_1) | instskip(SKIP_1) | instid1(VALU_DEP_1)
	v_lshlrev_b64 v[13:14], 2, v[13:14]
	s_mov_b32 s0, exec_lo
	v_add_co_u32 v13, vcc_lo, s12, v13
	s_delay_alu instid0(VALU_DEP_2)
	v_add_co_ci_u32_e32 v14, vcc_lo, s13, v14, vcc_lo
	global_store_b32 v[13:14], v12, off
                                        ; implicit-def: $vgpr13_vgpr14
	v_cmpx_ge_u32_e64 v31, v16
	s_xor_b32 s0, exec_lo, s0
; %bb.89:
	v_xor_b32_e32 v13, 0xfffffdff, v0
	s_delay_alu instid0(VALU_DEP_1) | instskip(SKIP_1) | instid1(VALU_DEP_2)
	v_ashrrev_i32_e32 v14, 31, v13
	v_add_co_u32 v13, vcc_lo, v18, v13
	v_add_co_ci_u32_e32 v14, vcc_lo, v19, v14, vcc_lo
; %bb.90:
	s_and_not1_saveexec_b32 s0, s0
; %bb.91:
	v_add_co_u32 v13, vcc_lo, v15, v31
	v_add_co_ci_u32_e32 v14, vcc_lo, 0, v17, vcc_lo
; %bb.92:
	s_or_b32 exec_lo, exec_lo, s0
	s_delay_alu instid0(VALU_DEP_1) | instskip(SKIP_1) | instid1(VALU_DEP_1)
	v_lshlrev_b64 v[13:14], 2, v[13:14]
	s_mov_b32 s0, exec_lo
	v_add_co_u32 v13, vcc_lo, s12, v13
	s_delay_alu instid0(VALU_DEP_2)
	v_add_co_ci_u32_e32 v14, vcc_lo, s13, v14, vcc_lo
	s_waitcnt lgkmcnt(5)
	global_store_b32 v[13:14], v9, off
                                        ; implicit-def: $vgpr13_vgpr14
	v_cmpx_ge_u32_e64 v30, v16
	s_xor_b32 s0, exec_lo, s0
; %bb.93:
	v_xor_b32_e32 v13, 0xfffffcff, v0
	s_delay_alu instid0(VALU_DEP_1) | instskip(SKIP_1) | instid1(VALU_DEP_2)
	v_ashrrev_i32_e32 v14, 31, v13
	v_add_co_u32 v13, vcc_lo, v18, v13
	v_add_co_ci_u32_e32 v14, vcc_lo, v19, v14, vcc_lo
; %bb.94:
	s_and_not1_saveexec_b32 s0, s0
; %bb.95:
	v_add_co_u32 v13, vcc_lo, v15, v30
	v_add_co_ci_u32_e32 v14, vcc_lo, 0, v17, vcc_lo
; %bb.96:
	s_or_b32 exec_lo, exec_lo, s0
	s_delay_alu instid0(VALU_DEP_1) | instskip(SKIP_1) | instid1(VALU_DEP_1)
	v_lshlrev_b64 v[13:14], 2, v[13:14]
	s_mov_b32 s0, exec_lo
	v_add_co_u32 v13, vcc_lo, s12, v13
	s_delay_alu instid0(VALU_DEP_2)
	v_add_co_ci_u32_e32 v14, vcc_lo, s13, v14, vcc_lo
	global_store_b32 v[13:14], v10, off
                                        ; implicit-def: $vgpr13_vgpr14
	v_cmpx_ge_u32_e64 v29, v16
	s_xor_b32 s0, exec_lo, s0
; %bb.97:
	v_xor_b32_e32 v13, 0xfffffbff, v0
	;; [unrolled: 47-line block ×6, first 2 shown]
	s_delay_alu instid0(VALU_DEP_1) | instskip(SKIP_1) | instid1(VALU_DEP_2)
	v_ashrrev_i32_e32 v14, 31, v13
	v_add_co_u32 v13, vcc_lo, v18, v13
	v_add_co_ci_u32_e32 v14, vcc_lo, v19, v14, vcc_lo
; %bb.130:
	s_and_not1_saveexec_b32 s0, s0
; %bb.131:
	v_add_co_u32 v13, vcc_lo, v15, v21
	v_add_co_ci_u32_e32 v14, vcc_lo, 0, v17, vcc_lo
; %bb.132:
	s_or_b32 exec_lo, exec_lo, s0
	s_mov_b32 s0, -1
.LBB1514_133:
	s_delay_alu instid0(SALU_CYCLE_1)
	s_and_saveexec_b32 s1, s0
	s_cbranch_execz .LBB1514_216
.LBB1514_134:
	s_waitcnt lgkmcnt(1)
	v_lshlrev_b64 v[0:1], 2, v[13:14]
	s_delay_alu instid0(VALU_DEP_1) | instskip(NEXT) | instid1(VALU_DEP_2)
	v_add_co_u32 v0, vcc_lo, s12, v0
	v_add_co_ci_u32_e32 v1, vcc_lo, s13, v1, vcc_lo
	s_waitcnt lgkmcnt(0)
	global_store_b32 v[0:1], v20, off
	s_or_b32 exec_lo, exec_lo, s1
	s_and_b32 s0, s2, s10
	s_delay_alu instid0(SALU_CYCLE_1)
	s_and_saveexec_b32 s1, s0
	s_cbranch_execnz .LBB1514_217
.LBB1514_135:
	s_nop 0
	s_sendmsg sendmsg(MSG_DEALLOC_VGPRS)
	s_endpgm
.LBB1514_136:
                                        ; implicit-def: $vgpr13_vgpr14
	s_cbranch_execz .LBB1514_133
; %bb.137:
	s_mov_b32 s1, exec_lo
	v_cmpx_gt_u32_e64 s11, v0
	s_cbranch_execz .LBB1514_173
; %bb.138:
	s_mov_b32 s3, exec_lo
                                        ; implicit-def: $vgpr13_vgpr14
	v_cmpx_ge_u32_e64 v0, v16
	s_xor_b32 s3, exec_lo, s3
; %bb.139:
	v_not_b32_e32 v13, v0
	s_delay_alu instid0(VALU_DEP_1) | instskip(SKIP_1) | instid1(VALU_DEP_2)
	v_ashrrev_i32_e32 v14, 31, v13
	v_add_co_u32 v13, vcc_lo, v18, v13
	v_add_co_ci_u32_e32 v14, vcc_lo, v19, v14, vcc_lo
; %bb.140:
	s_and_not1_saveexec_b32 s3, s3
; %bb.141:
	v_add_co_u32 v13, vcc_lo, v15, v0
	v_add_co_ci_u32_e32 v14, vcc_lo, 0, v17, vcc_lo
; %bb.142:
	s_or_b32 exec_lo, exec_lo, s3
	s_delay_alu instid0(VALU_DEP_1) | instskip(NEXT) | instid1(VALU_DEP_1)
	v_lshlrev_b64 v[13:14], 2, v[13:14]
	v_add_co_u32 v13, vcc_lo, s12, v13
	s_delay_alu instid0(VALU_DEP_2) | instskip(SKIP_3) | instid1(SALU_CYCLE_1)
	v_add_co_ci_u32_e32 v14, vcc_lo, s13, v14, vcc_lo
	s_waitcnt lgkmcnt(6)
	global_store_b32 v[13:14], v11, off
	s_or_b32 exec_lo, exec_lo, s1
	s_mov_b32 s1, exec_lo
	v_cmpx_gt_u32_e64 s11, v35
	s_cbranch_execnz .LBB1514_174
.LBB1514_143:
	s_or_b32 exec_lo, exec_lo, s1
	s_delay_alu instid0(SALU_CYCLE_1)
	s_mov_b32 s1, exec_lo
	v_cmpx_gt_u32_e64 s11, v31
	s_cbranch_execz .LBB1514_179
.LBB1514_144:
	s_mov_b32 s3, exec_lo
                                        ; implicit-def: $vgpr11_vgpr12
	v_cmpx_ge_u32_e64 v31, v16
	s_xor_b32 s3, exec_lo, s3
	s_cbranch_execz .LBB1514_146
; %bb.145:
	s_waitcnt lgkmcnt(6)
	v_xor_b32_e32 v11, 0xfffffdff, v0
                                        ; implicit-def: $vgpr31
	s_delay_alu instid0(VALU_DEP_1) | instskip(SKIP_1) | instid1(VALU_DEP_2)
	v_ashrrev_i32_e32 v12, 31, v11
	v_add_co_u32 v11, vcc_lo, v18, v11
	v_add_co_ci_u32_e32 v12, vcc_lo, v19, v12, vcc_lo
.LBB1514_146:
	s_and_not1_saveexec_b32 s3, s3
	s_cbranch_execz .LBB1514_148
; %bb.147:
	s_waitcnt lgkmcnt(6)
	v_add_co_u32 v11, vcc_lo, v15, v31
	v_add_co_ci_u32_e32 v12, vcc_lo, 0, v17, vcc_lo
.LBB1514_148:
	s_or_b32 exec_lo, exec_lo, s3
	s_waitcnt lgkmcnt(6)
	s_delay_alu instid0(VALU_DEP_1) | instskip(NEXT) | instid1(VALU_DEP_1)
	v_lshlrev_b64 v[11:12], 2, v[11:12]
	v_add_co_u32 v11, vcc_lo, s12, v11
	s_delay_alu instid0(VALU_DEP_2) | instskip(SKIP_3) | instid1(SALU_CYCLE_1)
	v_add_co_ci_u32_e32 v12, vcc_lo, s13, v12, vcc_lo
	s_waitcnt lgkmcnt(5)
	global_store_b32 v[11:12], v9, off
	s_or_b32 exec_lo, exec_lo, s1
	s_mov_b32 s1, exec_lo
	v_cmpx_gt_u32_e64 s11, v30
	s_cbranch_execnz .LBB1514_180
.LBB1514_149:
	s_or_b32 exec_lo, exec_lo, s1
	s_delay_alu instid0(SALU_CYCLE_1)
	s_mov_b32 s1, exec_lo
	v_cmpx_gt_u32_e64 s11, v29
	s_cbranch_execz .LBB1514_185
.LBB1514_150:
	s_mov_b32 s3, exec_lo
                                        ; implicit-def: $vgpr9_vgpr10
	v_cmpx_ge_u32_e64 v29, v16
	s_xor_b32 s3, exec_lo, s3
	s_cbranch_execz .LBB1514_152
; %bb.151:
	s_waitcnt lgkmcnt(5)
	v_xor_b32_e32 v9, 0xfffffbff, v0
                                        ; implicit-def: $vgpr29
	s_delay_alu instid0(VALU_DEP_1) | instskip(SKIP_1) | instid1(VALU_DEP_2)
	v_ashrrev_i32_e32 v10, 31, v9
	v_add_co_u32 v9, vcc_lo, v18, v9
	v_add_co_ci_u32_e32 v10, vcc_lo, v19, v10, vcc_lo
.LBB1514_152:
	s_and_not1_saveexec_b32 s3, s3
	s_cbranch_execz .LBB1514_154
; %bb.153:
	s_waitcnt lgkmcnt(5)
	v_add_co_u32 v9, vcc_lo, v15, v29
	v_add_co_ci_u32_e32 v10, vcc_lo, 0, v17, vcc_lo
.LBB1514_154:
	s_or_b32 exec_lo, exec_lo, s3
	s_waitcnt lgkmcnt(5)
	s_delay_alu instid0(VALU_DEP_1) | instskip(NEXT) | instid1(VALU_DEP_1)
	v_lshlrev_b64 v[9:10], 2, v[9:10]
	v_add_co_u32 v9, vcc_lo, s12, v9
	s_delay_alu instid0(VALU_DEP_2) | instskip(SKIP_3) | instid1(SALU_CYCLE_1)
	v_add_co_ci_u32_e32 v10, vcc_lo, s13, v10, vcc_lo
	s_waitcnt lgkmcnt(4)
	global_store_b32 v[9:10], v7, off
	s_or_b32 exec_lo, exec_lo, s1
	s_mov_b32 s1, exec_lo
	v_cmpx_gt_u32_e64 s11, v28
	s_cbranch_execnz .LBB1514_186
.LBB1514_155:
	s_or_b32 exec_lo, exec_lo, s1
	s_delay_alu instid0(SALU_CYCLE_1)
	s_mov_b32 s1, exec_lo
	v_cmpx_gt_u32_e64 s11, v27
	s_cbranch_execz .LBB1514_191
.LBB1514_156:
	s_mov_b32 s3, exec_lo
                                        ; implicit-def: $vgpr7_vgpr8
	v_cmpx_ge_u32_e64 v27, v16
	s_xor_b32 s3, exec_lo, s3
	s_cbranch_execz .LBB1514_158
; %bb.157:
	s_waitcnt lgkmcnt(4)
	v_xor_b32_e32 v7, 0xfffff9ff, v0
                                        ; implicit-def: $vgpr27
	s_delay_alu instid0(VALU_DEP_1) | instskip(SKIP_1) | instid1(VALU_DEP_2)
	v_ashrrev_i32_e32 v8, 31, v7
	v_add_co_u32 v7, vcc_lo, v18, v7
	v_add_co_ci_u32_e32 v8, vcc_lo, v19, v8, vcc_lo
.LBB1514_158:
	s_and_not1_saveexec_b32 s3, s3
	s_cbranch_execz .LBB1514_160
; %bb.159:
	s_waitcnt lgkmcnt(4)
	v_add_co_u32 v7, vcc_lo, v15, v27
	v_add_co_ci_u32_e32 v8, vcc_lo, 0, v17, vcc_lo
.LBB1514_160:
	s_or_b32 exec_lo, exec_lo, s3
	s_waitcnt lgkmcnt(4)
	s_delay_alu instid0(VALU_DEP_1) | instskip(NEXT) | instid1(VALU_DEP_1)
	v_lshlrev_b64 v[7:8], 2, v[7:8]
	v_add_co_u32 v7, vcc_lo, s12, v7
	s_delay_alu instid0(VALU_DEP_2) | instskip(SKIP_3) | instid1(SALU_CYCLE_1)
	v_add_co_ci_u32_e32 v8, vcc_lo, s13, v8, vcc_lo
	s_waitcnt lgkmcnt(3)
	global_store_b32 v[7:8], v5, off
	s_or_b32 exec_lo, exec_lo, s1
	s_mov_b32 s1, exec_lo
	v_cmpx_gt_u32_e64 s11, v26
	s_cbranch_execnz .LBB1514_192
.LBB1514_161:
	s_or_b32 exec_lo, exec_lo, s1
	s_delay_alu instid0(SALU_CYCLE_1)
	s_mov_b32 s1, exec_lo
	v_cmpx_gt_u32_e64 s11, v25
	s_cbranch_execz .LBB1514_197
.LBB1514_162:
	s_mov_b32 s3, exec_lo
                                        ; implicit-def: $vgpr5_vgpr6
	v_cmpx_ge_u32_e64 v25, v16
	s_xor_b32 s3, exec_lo, s3
	s_cbranch_execz .LBB1514_164
; %bb.163:
	s_waitcnt lgkmcnt(3)
	v_xor_b32_e32 v5, 0xfffff7ff, v0
                                        ; implicit-def: $vgpr25
	s_delay_alu instid0(VALU_DEP_1) | instskip(SKIP_1) | instid1(VALU_DEP_2)
	v_ashrrev_i32_e32 v6, 31, v5
	v_add_co_u32 v5, vcc_lo, v18, v5
	v_add_co_ci_u32_e32 v6, vcc_lo, v19, v6, vcc_lo
.LBB1514_164:
	s_and_not1_saveexec_b32 s3, s3
	s_cbranch_execz .LBB1514_166
; %bb.165:
	s_waitcnt lgkmcnt(3)
	v_add_co_u32 v5, vcc_lo, v15, v25
	v_add_co_ci_u32_e32 v6, vcc_lo, 0, v17, vcc_lo
.LBB1514_166:
	s_or_b32 exec_lo, exec_lo, s3
	s_waitcnt lgkmcnt(3)
	s_delay_alu instid0(VALU_DEP_1) | instskip(NEXT) | instid1(VALU_DEP_1)
	v_lshlrev_b64 v[5:6], 2, v[5:6]
	v_add_co_u32 v5, vcc_lo, s12, v5
	s_delay_alu instid0(VALU_DEP_2) | instskip(SKIP_3) | instid1(SALU_CYCLE_1)
	v_add_co_ci_u32_e32 v6, vcc_lo, s13, v6, vcc_lo
	s_waitcnt lgkmcnt(2)
	global_store_b32 v[5:6], v3, off
	s_or_b32 exec_lo, exec_lo, s1
	s_mov_b32 s1, exec_lo
	v_cmpx_gt_u32_e64 s11, v24
	s_cbranch_execnz .LBB1514_198
.LBB1514_167:
	s_or_b32 exec_lo, exec_lo, s1
	s_delay_alu instid0(SALU_CYCLE_1)
	s_mov_b32 s1, exec_lo
	v_cmpx_gt_u32_e64 s11, v23
	s_cbranch_execz .LBB1514_203
.LBB1514_168:
	s_mov_b32 s3, exec_lo
                                        ; implicit-def: $vgpr3_vgpr4
	v_cmpx_ge_u32_e64 v23, v16
	s_xor_b32 s3, exec_lo, s3
	s_cbranch_execz .LBB1514_170
; %bb.169:
	s_waitcnt lgkmcnt(2)
	v_xor_b32_e32 v3, 0xfffff5ff, v0
                                        ; implicit-def: $vgpr23
	s_delay_alu instid0(VALU_DEP_1) | instskip(SKIP_1) | instid1(VALU_DEP_2)
	v_ashrrev_i32_e32 v4, 31, v3
	v_add_co_u32 v3, vcc_lo, v18, v3
	v_add_co_ci_u32_e32 v4, vcc_lo, v19, v4, vcc_lo
.LBB1514_170:
	s_and_not1_saveexec_b32 s3, s3
	s_cbranch_execz .LBB1514_172
; %bb.171:
	s_waitcnt lgkmcnt(2)
	v_add_co_u32 v3, vcc_lo, v15, v23
	v_add_co_ci_u32_e32 v4, vcc_lo, 0, v17, vcc_lo
.LBB1514_172:
	s_or_b32 exec_lo, exec_lo, s3
	s_waitcnt lgkmcnt(2)
	s_delay_alu instid0(VALU_DEP_1) | instskip(NEXT) | instid1(VALU_DEP_1)
	v_lshlrev_b64 v[3:4], 2, v[3:4]
	v_add_co_u32 v3, vcc_lo, s12, v3
	s_delay_alu instid0(VALU_DEP_2) | instskip(SKIP_3) | instid1(SALU_CYCLE_1)
	v_add_co_ci_u32_e32 v4, vcc_lo, s13, v4, vcc_lo
	s_waitcnt lgkmcnt(1)
	global_store_b32 v[3:4], v1, off
	s_or_b32 exec_lo, exec_lo, s1
	s_mov_b32 s1, exec_lo
	v_cmpx_gt_u32_e64 s11, v22
	s_cbranch_execz .LBB1514_209
	s_branch .LBB1514_204
.LBB1514_173:
	s_or_b32 exec_lo, exec_lo, s1
	s_delay_alu instid0(SALU_CYCLE_1)
	s_mov_b32 s1, exec_lo
	v_cmpx_gt_u32_e64 s11, v35
	s_cbranch_execz .LBB1514_143
.LBB1514_174:
	s_mov_b32 s3, exec_lo
                                        ; implicit-def: $vgpr13_vgpr14
	v_cmpx_ge_u32_e64 v35, v16
	s_xor_b32 s3, exec_lo, s3
	s_cbranch_execz .LBB1514_176
; %bb.175:
	s_waitcnt lgkmcnt(6)
	v_xor_b32_e32 v11, 0xfffffeff, v0
                                        ; implicit-def: $vgpr35
	s_delay_alu instid0(VALU_DEP_1) | instskip(SKIP_1) | instid1(VALU_DEP_2)
	v_ashrrev_i32_e32 v14, 31, v11
	v_add_co_u32 v13, vcc_lo, v18, v11
	v_add_co_ci_u32_e32 v14, vcc_lo, v19, v14, vcc_lo
.LBB1514_176:
	s_and_not1_saveexec_b32 s3, s3
; %bb.177:
	v_add_co_u32 v13, vcc_lo, v15, v35
	v_add_co_ci_u32_e32 v14, vcc_lo, 0, v17, vcc_lo
; %bb.178:
	s_or_b32 exec_lo, exec_lo, s3
	s_delay_alu instid0(VALU_DEP_1) | instskip(NEXT) | instid1(VALU_DEP_1)
	v_lshlrev_b64 v[13:14], 2, v[13:14]
	v_add_co_u32 v13, vcc_lo, s12, v13
	s_delay_alu instid0(VALU_DEP_2) | instskip(SKIP_3) | instid1(SALU_CYCLE_1)
	v_add_co_ci_u32_e32 v14, vcc_lo, s13, v14, vcc_lo
	s_waitcnt lgkmcnt(6)
	global_store_b32 v[13:14], v12, off
	s_or_b32 exec_lo, exec_lo, s1
	s_mov_b32 s1, exec_lo
	v_cmpx_gt_u32_e64 s11, v31
	s_cbranch_execnz .LBB1514_144
.LBB1514_179:
	s_or_b32 exec_lo, exec_lo, s1
	s_delay_alu instid0(SALU_CYCLE_1)
	s_mov_b32 s1, exec_lo
	v_cmpx_gt_u32_e64 s11, v30
	s_cbranch_execz .LBB1514_149
.LBB1514_180:
	s_mov_b32 s3, exec_lo
                                        ; implicit-def: $vgpr11_vgpr12
	v_cmpx_ge_u32_e64 v30, v16
	s_xor_b32 s3, exec_lo, s3
	s_cbranch_execz .LBB1514_182
; %bb.181:
	s_waitcnt lgkmcnt(5)
	v_xor_b32_e32 v9, 0xfffffcff, v0
                                        ; implicit-def: $vgpr30
	s_delay_alu instid0(VALU_DEP_1) | instskip(SKIP_1) | instid1(VALU_DEP_2)
	v_ashrrev_i32_e32 v12, 31, v9
	v_add_co_u32 v11, vcc_lo, v18, v9
	v_add_co_ci_u32_e32 v12, vcc_lo, v19, v12, vcc_lo
.LBB1514_182:
	s_and_not1_saveexec_b32 s3, s3
	s_cbranch_execz .LBB1514_184
; %bb.183:
	s_waitcnt lgkmcnt(6)
	v_add_co_u32 v11, vcc_lo, v15, v30
	v_add_co_ci_u32_e32 v12, vcc_lo, 0, v17, vcc_lo
.LBB1514_184:
	s_or_b32 exec_lo, exec_lo, s3
	s_waitcnt lgkmcnt(6)
	s_delay_alu instid0(VALU_DEP_1) | instskip(NEXT) | instid1(VALU_DEP_1)
	v_lshlrev_b64 v[11:12], 2, v[11:12]
	v_add_co_u32 v11, vcc_lo, s12, v11
	s_delay_alu instid0(VALU_DEP_2) | instskip(SKIP_3) | instid1(SALU_CYCLE_1)
	v_add_co_ci_u32_e32 v12, vcc_lo, s13, v12, vcc_lo
	s_waitcnt lgkmcnt(5)
	global_store_b32 v[11:12], v10, off
	s_or_b32 exec_lo, exec_lo, s1
	s_mov_b32 s1, exec_lo
	v_cmpx_gt_u32_e64 s11, v29
	s_cbranch_execnz .LBB1514_150
.LBB1514_185:
	s_or_b32 exec_lo, exec_lo, s1
	s_delay_alu instid0(SALU_CYCLE_1)
	s_mov_b32 s1, exec_lo
	v_cmpx_gt_u32_e64 s11, v28
	s_cbranch_execz .LBB1514_155
.LBB1514_186:
	s_mov_b32 s3, exec_lo
                                        ; implicit-def: $vgpr9_vgpr10
	v_cmpx_ge_u32_e64 v28, v16
	s_xor_b32 s3, exec_lo, s3
	s_cbranch_execz .LBB1514_188
; %bb.187:
	s_waitcnt lgkmcnt(4)
	v_xor_b32_e32 v7, 0xfffffaff, v0
                                        ; implicit-def: $vgpr28
	s_delay_alu instid0(VALU_DEP_1) | instskip(SKIP_1) | instid1(VALU_DEP_2)
	v_ashrrev_i32_e32 v10, 31, v7
	v_add_co_u32 v9, vcc_lo, v18, v7
	v_add_co_ci_u32_e32 v10, vcc_lo, v19, v10, vcc_lo
.LBB1514_188:
	s_and_not1_saveexec_b32 s3, s3
	s_cbranch_execz .LBB1514_190
; %bb.189:
	s_waitcnt lgkmcnt(5)
	v_add_co_u32 v9, vcc_lo, v15, v28
	v_add_co_ci_u32_e32 v10, vcc_lo, 0, v17, vcc_lo
.LBB1514_190:
	s_or_b32 exec_lo, exec_lo, s3
	s_waitcnt lgkmcnt(5)
	s_delay_alu instid0(VALU_DEP_1) | instskip(NEXT) | instid1(VALU_DEP_1)
	v_lshlrev_b64 v[9:10], 2, v[9:10]
	v_add_co_u32 v9, vcc_lo, s12, v9
	s_delay_alu instid0(VALU_DEP_2) | instskip(SKIP_3) | instid1(SALU_CYCLE_1)
	v_add_co_ci_u32_e32 v10, vcc_lo, s13, v10, vcc_lo
	s_waitcnt lgkmcnt(4)
	global_store_b32 v[9:10], v8, off
	s_or_b32 exec_lo, exec_lo, s1
	s_mov_b32 s1, exec_lo
	v_cmpx_gt_u32_e64 s11, v27
	s_cbranch_execnz .LBB1514_156
.LBB1514_191:
	s_or_b32 exec_lo, exec_lo, s1
	s_delay_alu instid0(SALU_CYCLE_1)
	s_mov_b32 s1, exec_lo
	v_cmpx_gt_u32_e64 s11, v26
	s_cbranch_execz .LBB1514_161
.LBB1514_192:
	s_mov_b32 s3, exec_lo
                                        ; implicit-def: $vgpr7_vgpr8
	v_cmpx_ge_u32_e64 v26, v16
	s_xor_b32 s3, exec_lo, s3
	s_cbranch_execz .LBB1514_194
; %bb.193:
	s_waitcnt lgkmcnt(3)
	v_xor_b32_e32 v5, 0xfffff8ff, v0
                                        ; implicit-def: $vgpr26
	s_delay_alu instid0(VALU_DEP_1) | instskip(SKIP_1) | instid1(VALU_DEP_2)
	v_ashrrev_i32_e32 v8, 31, v5
	v_add_co_u32 v7, vcc_lo, v18, v5
	v_add_co_ci_u32_e32 v8, vcc_lo, v19, v8, vcc_lo
.LBB1514_194:
	s_and_not1_saveexec_b32 s3, s3
	s_cbranch_execz .LBB1514_196
; %bb.195:
	s_waitcnt lgkmcnt(4)
	v_add_co_u32 v7, vcc_lo, v15, v26
	v_add_co_ci_u32_e32 v8, vcc_lo, 0, v17, vcc_lo
.LBB1514_196:
	s_or_b32 exec_lo, exec_lo, s3
	s_waitcnt lgkmcnt(4)
	s_delay_alu instid0(VALU_DEP_1) | instskip(NEXT) | instid1(VALU_DEP_1)
	v_lshlrev_b64 v[7:8], 2, v[7:8]
	v_add_co_u32 v7, vcc_lo, s12, v7
	s_delay_alu instid0(VALU_DEP_2) | instskip(SKIP_3) | instid1(SALU_CYCLE_1)
	v_add_co_ci_u32_e32 v8, vcc_lo, s13, v8, vcc_lo
	s_waitcnt lgkmcnt(3)
	global_store_b32 v[7:8], v6, off
	s_or_b32 exec_lo, exec_lo, s1
	s_mov_b32 s1, exec_lo
	v_cmpx_gt_u32_e64 s11, v25
	s_cbranch_execnz .LBB1514_162
.LBB1514_197:
	s_or_b32 exec_lo, exec_lo, s1
	s_delay_alu instid0(SALU_CYCLE_1)
	s_mov_b32 s1, exec_lo
	v_cmpx_gt_u32_e64 s11, v24
	s_cbranch_execz .LBB1514_167
.LBB1514_198:
	s_mov_b32 s3, exec_lo
                                        ; implicit-def: $vgpr5_vgpr6
	v_cmpx_ge_u32_e64 v24, v16
	s_xor_b32 s3, exec_lo, s3
	s_cbranch_execz .LBB1514_200
; %bb.199:
	s_waitcnt lgkmcnt(2)
	v_xor_b32_e32 v3, 0xfffff6ff, v0
                                        ; implicit-def: $vgpr24
	s_delay_alu instid0(VALU_DEP_1) | instskip(SKIP_1) | instid1(VALU_DEP_2)
	v_ashrrev_i32_e32 v6, 31, v3
	v_add_co_u32 v5, vcc_lo, v18, v3
	v_add_co_ci_u32_e32 v6, vcc_lo, v19, v6, vcc_lo
.LBB1514_200:
	s_and_not1_saveexec_b32 s3, s3
	s_cbranch_execz .LBB1514_202
; %bb.201:
	s_waitcnt lgkmcnt(3)
	v_add_co_u32 v5, vcc_lo, v15, v24
	v_add_co_ci_u32_e32 v6, vcc_lo, 0, v17, vcc_lo
.LBB1514_202:
	s_or_b32 exec_lo, exec_lo, s3
	s_waitcnt lgkmcnt(3)
	s_delay_alu instid0(VALU_DEP_1) | instskip(NEXT) | instid1(VALU_DEP_1)
	v_lshlrev_b64 v[5:6], 2, v[5:6]
	v_add_co_u32 v5, vcc_lo, s12, v5
	s_delay_alu instid0(VALU_DEP_2) | instskip(SKIP_3) | instid1(SALU_CYCLE_1)
	v_add_co_ci_u32_e32 v6, vcc_lo, s13, v6, vcc_lo
	s_waitcnt lgkmcnt(2)
	global_store_b32 v[5:6], v4, off
	s_or_b32 exec_lo, exec_lo, s1
	s_mov_b32 s1, exec_lo
	v_cmpx_gt_u32_e64 s11, v23
	s_cbranch_execnz .LBB1514_168
.LBB1514_203:
	s_or_b32 exec_lo, exec_lo, s1
	s_delay_alu instid0(SALU_CYCLE_1)
	s_mov_b32 s1, exec_lo
	v_cmpx_gt_u32_e64 s11, v22
	s_cbranch_execz .LBB1514_209
.LBB1514_204:
	s_mov_b32 s3, exec_lo
                                        ; implicit-def: $vgpr3_vgpr4
	v_cmpx_ge_u32_e64 v22, v16
	s_xor_b32 s3, exec_lo, s3
	s_cbranch_execz .LBB1514_206
; %bb.205:
	s_waitcnt lgkmcnt(1)
	v_xor_b32_e32 v1, 0xfffff4ff, v0
                                        ; implicit-def: $vgpr22
	s_delay_alu instid0(VALU_DEP_1) | instskip(SKIP_1) | instid1(VALU_DEP_2)
	v_ashrrev_i32_e32 v4, 31, v1
	v_add_co_u32 v3, vcc_lo, v18, v1
	v_add_co_ci_u32_e32 v4, vcc_lo, v19, v4, vcc_lo
.LBB1514_206:
	s_and_not1_saveexec_b32 s3, s3
	s_cbranch_execz .LBB1514_208
; %bb.207:
	s_waitcnt lgkmcnt(2)
	v_add_co_u32 v3, vcc_lo, v15, v22
	v_add_co_ci_u32_e32 v4, vcc_lo, 0, v17, vcc_lo
.LBB1514_208:
	s_or_b32 exec_lo, exec_lo, s3
	s_waitcnt lgkmcnt(2)
	s_delay_alu instid0(VALU_DEP_1) | instskip(NEXT) | instid1(VALU_DEP_1)
	v_lshlrev_b64 v[3:4], 2, v[3:4]
	v_add_co_u32 v3, vcc_lo, s12, v3
	s_delay_alu instid0(VALU_DEP_2)
	v_add_co_ci_u32_e32 v4, vcc_lo, s13, v4, vcc_lo
	s_waitcnt lgkmcnt(1)
	global_store_b32 v[3:4], v2, off
.LBB1514_209:
	s_or_b32 exec_lo, exec_lo, s1
	s_delay_alu instid0(SALU_CYCLE_1)
	s_mov_b32 s1, exec_lo
                                        ; implicit-def: $vgpr13_vgpr14
	v_cmpx_gt_u32_e64 s11, v21
	s_cbranch_execz .LBB1514_215
; %bb.210:
	s_mov_b32 s3, exec_lo
                                        ; implicit-def: $vgpr13_vgpr14
	v_cmpx_ge_u32_e64 v21, v16
	s_xor_b32 s3, exec_lo, s3
	s_cbranch_execz .LBB1514_212
; %bb.211:
	v_xor_b32_e32 v0, 0xfffff3ff, v0
                                        ; implicit-def: $vgpr21
	s_waitcnt lgkmcnt(1)
	s_delay_alu instid0(VALU_DEP_1) | instskip(SKIP_1) | instid1(VALU_DEP_2)
	v_ashrrev_i32_e32 v1, 31, v0
	v_add_co_u32 v13, vcc_lo, v18, v0
	v_add_co_ci_u32_e32 v14, vcc_lo, v19, v1, vcc_lo
.LBB1514_212:
	s_and_not1_saveexec_b32 s3, s3
; %bb.213:
	v_add_co_u32 v13, vcc_lo, v15, v21
	v_add_co_ci_u32_e32 v14, vcc_lo, 0, v17, vcc_lo
; %bb.214:
	s_or_b32 exec_lo, exec_lo, s3
	s_delay_alu instid0(SALU_CYCLE_1)
	s_or_b32 s0, s0, exec_lo
.LBB1514_215:
	s_or_b32 exec_lo, exec_lo, s1
	s_and_saveexec_b32 s1, s0
	s_cbranch_execnz .LBB1514_134
.LBB1514_216:
	s_or_b32 exec_lo, exec_lo, s1
	s_and_b32 s0, s2, s10
	s_delay_alu instid0(SALU_CYCLE_1)
	s_and_saveexec_b32 s1, s0
	s_cbranch_execz .LBB1514_135
.LBB1514_217:
	v_add_co_u32 v0, vcc_lo, v15, v16
	s_waitcnt lgkmcnt(1)
	v_mov_b32_e32 v2, 0
	v_add_co_ci_u32_e32 v1, vcc_lo, 0, v17, vcc_lo
	global_store_b64 v2, v[0:1], s[8:9]
	s_nop 0
	s_sendmsg sendmsg(MSG_DEALLOC_VGPRS)
	s_endpgm
	.section	.rodata,"a",@progbits
	.p2align	6, 0x0
	.amdhsa_kernel _ZN7rocprim17ROCPRIM_400000_NS6detail17trampoline_kernelINS0_13select_configILj256ELj13ELNS0_17block_load_methodE3ELS4_3ELS4_3ELNS0_20block_scan_algorithmE0ELj4294967295EEENS1_25partition_config_selectorILNS1_17partition_subalgoE3EjNS0_10empty_typeEbEEZZNS1_14partition_implILS8_3ELb0ES6_jNS0_17counting_iteratorIjlEEPS9_SE_NS0_5tupleIJPjSE_EEENSF_IJSE_SE_EEES9_SG_JZNS1_25segmented_radix_sort_implINS0_14default_configELb1EPKbPbPKlPlN2at6native12_GLOBAL__N_18offset_tEEE10hipError_tPvRmT1_PNSt15iterator_traitsISY_E10value_typeET2_T3_PNSZ_IS14_E10value_typeET4_jRbjT5_S1A_jjP12ihipStream_tbEUljE_EEESV_SW_SX_S14_S18_S1A_T6_T7_T9_mT8_S1C_bDpT10_ENKUlT_T0_E_clISt17integral_constantIbLb1EES1P_EEDaS1K_S1L_EUlS1K_E_NS1_11comp_targetILNS1_3genE9ELNS1_11target_archE1100ELNS1_3gpuE3ELNS1_3repE0EEENS1_30default_config_static_selectorELNS0_4arch9wavefront6targetE0EEEvSY_
		.amdhsa_group_segment_fixed_size 13324
		.amdhsa_private_segment_fixed_size 0
		.amdhsa_kernarg_size 152
		.amdhsa_user_sgpr_count 15
		.amdhsa_user_sgpr_dispatch_ptr 0
		.amdhsa_user_sgpr_queue_ptr 0
		.amdhsa_user_sgpr_kernarg_segment_ptr 1
		.amdhsa_user_sgpr_dispatch_id 0
		.amdhsa_user_sgpr_private_segment_size 0
		.amdhsa_wavefront_size32 1
		.amdhsa_uses_dynamic_stack 0
		.amdhsa_enable_private_segment 0
		.amdhsa_system_sgpr_workgroup_id_x 1
		.amdhsa_system_sgpr_workgroup_id_y 0
		.amdhsa_system_sgpr_workgroup_id_z 0
		.amdhsa_system_sgpr_workgroup_info 0
		.amdhsa_system_vgpr_workitem_id 0
		.amdhsa_next_free_vgpr 60
		.amdhsa_next_free_sgpr 26
		.amdhsa_reserve_vcc 1
		.amdhsa_float_round_mode_32 0
		.amdhsa_float_round_mode_16_64 0
		.amdhsa_float_denorm_mode_32 3
		.amdhsa_float_denorm_mode_16_64 3
		.amdhsa_dx10_clamp 1
		.amdhsa_ieee_mode 1
		.amdhsa_fp16_overflow 0
		.amdhsa_workgroup_processor_mode 1
		.amdhsa_memory_ordered 1
		.amdhsa_forward_progress 0
		.amdhsa_shared_vgpr_count 0
		.amdhsa_exception_fp_ieee_invalid_op 0
		.amdhsa_exception_fp_denorm_src 0
		.amdhsa_exception_fp_ieee_div_zero 0
		.amdhsa_exception_fp_ieee_overflow 0
		.amdhsa_exception_fp_ieee_underflow 0
		.amdhsa_exception_fp_ieee_inexact 0
		.amdhsa_exception_int_div_zero 0
	.end_amdhsa_kernel
	.section	.text._ZN7rocprim17ROCPRIM_400000_NS6detail17trampoline_kernelINS0_13select_configILj256ELj13ELNS0_17block_load_methodE3ELS4_3ELS4_3ELNS0_20block_scan_algorithmE0ELj4294967295EEENS1_25partition_config_selectorILNS1_17partition_subalgoE3EjNS0_10empty_typeEbEEZZNS1_14partition_implILS8_3ELb0ES6_jNS0_17counting_iteratorIjlEEPS9_SE_NS0_5tupleIJPjSE_EEENSF_IJSE_SE_EEES9_SG_JZNS1_25segmented_radix_sort_implINS0_14default_configELb1EPKbPbPKlPlN2at6native12_GLOBAL__N_18offset_tEEE10hipError_tPvRmT1_PNSt15iterator_traitsISY_E10value_typeET2_T3_PNSZ_IS14_E10value_typeET4_jRbjT5_S1A_jjP12ihipStream_tbEUljE_EEESV_SW_SX_S14_S18_S1A_T6_T7_T9_mT8_S1C_bDpT10_ENKUlT_T0_E_clISt17integral_constantIbLb1EES1P_EEDaS1K_S1L_EUlS1K_E_NS1_11comp_targetILNS1_3genE9ELNS1_11target_archE1100ELNS1_3gpuE3ELNS1_3repE0EEENS1_30default_config_static_selectorELNS0_4arch9wavefront6targetE0EEEvSY_,"axG",@progbits,_ZN7rocprim17ROCPRIM_400000_NS6detail17trampoline_kernelINS0_13select_configILj256ELj13ELNS0_17block_load_methodE3ELS4_3ELS4_3ELNS0_20block_scan_algorithmE0ELj4294967295EEENS1_25partition_config_selectorILNS1_17partition_subalgoE3EjNS0_10empty_typeEbEEZZNS1_14partition_implILS8_3ELb0ES6_jNS0_17counting_iteratorIjlEEPS9_SE_NS0_5tupleIJPjSE_EEENSF_IJSE_SE_EEES9_SG_JZNS1_25segmented_radix_sort_implINS0_14default_configELb1EPKbPbPKlPlN2at6native12_GLOBAL__N_18offset_tEEE10hipError_tPvRmT1_PNSt15iterator_traitsISY_E10value_typeET2_T3_PNSZ_IS14_E10value_typeET4_jRbjT5_S1A_jjP12ihipStream_tbEUljE_EEESV_SW_SX_S14_S18_S1A_T6_T7_T9_mT8_S1C_bDpT10_ENKUlT_T0_E_clISt17integral_constantIbLb1EES1P_EEDaS1K_S1L_EUlS1K_E_NS1_11comp_targetILNS1_3genE9ELNS1_11target_archE1100ELNS1_3gpuE3ELNS1_3repE0EEENS1_30default_config_static_selectorELNS0_4arch9wavefront6targetE0EEEvSY_,comdat
.Lfunc_end1514:
	.size	_ZN7rocprim17ROCPRIM_400000_NS6detail17trampoline_kernelINS0_13select_configILj256ELj13ELNS0_17block_load_methodE3ELS4_3ELS4_3ELNS0_20block_scan_algorithmE0ELj4294967295EEENS1_25partition_config_selectorILNS1_17partition_subalgoE3EjNS0_10empty_typeEbEEZZNS1_14partition_implILS8_3ELb0ES6_jNS0_17counting_iteratorIjlEEPS9_SE_NS0_5tupleIJPjSE_EEENSF_IJSE_SE_EEES9_SG_JZNS1_25segmented_radix_sort_implINS0_14default_configELb1EPKbPbPKlPlN2at6native12_GLOBAL__N_18offset_tEEE10hipError_tPvRmT1_PNSt15iterator_traitsISY_E10value_typeET2_T3_PNSZ_IS14_E10value_typeET4_jRbjT5_S1A_jjP12ihipStream_tbEUljE_EEESV_SW_SX_S14_S18_S1A_T6_T7_T9_mT8_S1C_bDpT10_ENKUlT_T0_E_clISt17integral_constantIbLb1EES1P_EEDaS1K_S1L_EUlS1K_E_NS1_11comp_targetILNS1_3genE9ELNS1_11target_archE1100ELNS1_3gpuE3ELNS1_3repE0EEENS1_30default_config_static_selectorELNS0_4arch9wavefront6targetE0EEEvSY_, .Lfunc_end1514-_ZN7rocprim17ROCPRIM_400000_NS6detail17trampoline_kernelINS0_13select_configILj256ELj13ELNS0_17block_load_methodE3ELS4_3ELS4_3ELNS0_20block_scan_algorithmE0ELj4294967295EEENS1_25partition_config_selectorILNS1_17partition_subalgoE3EjNS0_10empty_typeEbEEZZNS1_14partition_implILS8_3ELb0ES6_jNS0_17counting_iteratorIjlEEPS9_SE_NS0_5tupleIJPjSE_EEENSF_IJSE_SE_EEES9_SG_JZNS1_25segmented_radix_sort_implINS0_14default_configELb1EPKbPbPKlPlN2at6native12_GLOBAL__N_18offset_tEEE10hipError_tPvRmT1_PNSt15iterator_traitsISY_E10value_typeET2_T3_PNSZ_IS14_E10value_typeET4_jRbjT5_S1A_jjP12ihipStream_tbEUljE_EEESV_SW_SX_S14_S18_S1A_T6_T7_T9_mT8_S1C_bDpT10_ENKUlT_T0_E_clISt17integral_constantIbLb1EES1P_EEDaS1K_S1L_EUlS1K_E_NS1_11comp_targetILNS1_3genE9ELNS1_11target_archE1100ELNS1_3gpuE3ELNS1_3repE0EEENS1_30default_config_static_selectorELNS0_4arch9wavefront6targetE0EEEvSY_
                                        ; -- End function
	.section	.AMDGPU.csdata,"",@progbits
; Kernel info:
; codeLenInByte = 9140
; NumSgprs: 28
; NumVgprs: 60
; ScratchSize: 0
; MemoryBound: 0
; FloatMode: 240
; IeeeMode: 1
; LDSByteSize: 13324 bytes/workgroup (compile time only)
; SGPRBlocks: 3
; VGPRBlocks: 7
; NumSGPRsForWavesPerEU: 28
; NumVGPRsForWavesPerEU: 60
; Occupancy: 16
; WaveLimiterHint : 0
; COMPUTE_PGM_RSRC2:SCRATCH_EN: 0
; COMPUTE_PGM_RSRC2:USER_SGPR: 15
; COMPUTE_PGM_RSRC2:TRAP_HANDLER: 0
; COMPUTE_PGM_RSRC2:TGID_X_EN: 1
; COMPUTE_PGM_RSRC2:TGID_Y_EN: 0
; COMPUTE_PGM_RSRC2:TGID_Z_EN: 0
; COMPUTE_PGM_RSRC2:TIDIG_COMP_CNT: 0
	.section	.text._ZN7rocprim17ROCPRIM_400000_NS6detail17trampoline_kernelINS0_13select_configILj256ELj13ELNS0_17block_load_methodE3ELS4_3ELS4_3ELNS0_20block_scan_algorithmE0ELj4294967295EEENS1_25partition_config_selectorILNS1_17partition_subalgoE3EjNS0_10empty_typeEbEEZZNS1_14partition_implILS8_3ELb0ES6_jNS0_17counting_iteratorIjlEEPS9_SE_NS0_5tupleIJPjSE_EEENSF_IJSE_SE_EEES9_SG_JZNS1_25segmented_radix_sort_implINS0_14default_configELb1EPKbPbPKlPlN2at6native12_GLOBAL__N_18offset_tEEE10hipError_tPvRmT1_PNSt15iterator_traitsISY_E10value_typeET2_T3_PNSZ_IS14_E10value_typeET4_jRbjT5_S1A_jjP12ihipStream_tbEUljE_EEESV_SW_SX_S14_S18_S1A_T6_T7_T9_mT8_S1C_bDpT10_ENKUlT_T0_E_clISt17integral_constantIbLb1EES1P_EEDaS1K_S1L_EUlS1K_E_NS1_11comp_targetILNS1_3genE8ELNS1_11target_archE1030ELNS1_3gpuE2ELNS1_3repE0EEENS1_30default_config_static_selectorELNS0_4arch9wavefront6targetE0EEEvSY_,"axG",@progbits,_ZN7rocprim17ROCPRIM_400000_NS6detail17trampoline_kernelINS0_13select_configILj256ELj13ELNS0_17block_load_methodE3ELS4_3ELS4_3ELNS0_20block_scan_algorithmE0ELj4294967295EEENS1_25partition_config_selectorILNS1_17partition_subalgoE3EjNS0_10empty_typeEbEEZZNS1_14partition_implILS8_3ELb0ES6_jNS0_17counting_iteratorIjlEEPS9_SE_NS0_5tupleIJPjSE_EEENSF_IJSE_SE_EEES9_SG_JZNS1_25segmented_radix_sort_implINS0_14default_configELb1EPKbPbPKlPlN2at6native12_GLOBAL__N_18offset_tEEE10hipError_tPvRmT1_PNSt15iterator_traitsISY_E10value_typeET2_T3_PNSZ_IS14_E10value_typeET4_jRbjT5_S1A_jjP12ihipStream_tbEUljE_EEESV_SW_SX_S14_S18_S1A_T6_T7_T9_mT8_S1C_bDpT10_ENKUlT_T0_E_clISt17integral_constantIbLb1EES1P_EEDaS1K_S1L_EUlS1K_E_NS1_11comp_targetILNS1_3genE8ELNS1_11target_archE1030ELNS1_3gpuE2ELNS1_3repE0EEENS1_30default_config_static_selectorELNS0_4arch9wavefront6targetE0EEEvSY_,comdat
	.globl	_ZN7rocprim17ROCPRIM_400000_NS6detail17trampoline_kernelINS0_13select_configILj256ELj13ELNS0_17block_load_methodE3ELS4_3ELS4_3ELNS0_20block_scan_algorithmE0ELj4294967295EEENS1_25partition_config_selectorILNS1_17partition_subalgoE3EjNS0_10empty_typeEbEEZZNS1_14partition_implILS8_3ELb0ES6_jNS0_17counting_iteratorIjlEEPS9_SE_NS0_5tupleIJPjSE_EEENSF_IJSE_SE_EEES9_SG_JZNS1_25segmented_radix_sort_implINS0_14default_configELb1EPKbPbPKlPlN2at6native12_GLOBAL__N_18offset_tEEE10hipError_tPvRmT1_PNSt15iterator_traitsISY_E10value_typeET2_T3_PNSZ_IS14_E10value_typeET4_jRbjT5_S1A_jjP12ihipStream_tbEUljE_EEESV_SW_SX_S14_S18_S1A_T6_T7_T9_mT8_S1C_bDpT10_ENKUlT_T0_E_clISt17integral_constantIbLb1EES1P_EEDaS1K_S1L_EUlS1K_E_NS1_11comp_targetILNS1_3genE8ELNS1_11target_archE1030ELNS1_3gpuE2ELNS1_3repE0EEENS1_30default_config_static_selectorELNS0_4arch9wavefront6targetE0EEEvSY_ ; -- Begin function _ZN7rocprim17ROCPRIM_400000_NS6detail17trampoline_kernelINS0_13select_configILj256ELj13ELNS0_17block_load_methodE3ELS4_3ELS4_3ELNS0_20block_scan_algorithmE0ELj4294967295EEENS1_25partition_config_selectorILNS1_17partition_subalgoE3EjNS0_10empty_typeEbEEZZNS1_14partition_implILS8_3ELb0ES6_jNS0_17counting_iteratorIjlEEPS9_SE_NS0_5tupleIJPjSE_EEENSF_IJSE_SE_EEES9_SG_JZNS1_25segmented_radix_sort_implINS0_14default_configELb1EPKbPbPKlPlN2at6native12_GLOBAL__N_18offset_tEEE10hipError_tPvRmT1_PNSt15iterator_traitsISY_E10value_typeET2_T3_PNSZ_IS14_E10value_typeET4_jRbjT5_S1A_jjP12ihipStream_tbEUljE_EEESV_SW_SX_S14_S18_S1A_T6_T7_T9_mT8_S1C_bDpT10_ENKUlT_T0_E_clISt17integral_constantIbLb1EES1P_EEDaS1K_S1L_EUlS1K_E_NS1_11comp_targetILNS1_3genE8ELNS1_11target_archE1030ELNS1_3gpuE2ELNS1_3repE0EEENS1_30default_config_static_selectorELNS0_4arch9wavefront6targetE0EEEvSY_
	.p2align	8
	.type	_ZN7rocprim17ROCPRIM_400000_NS6detail17trampoline_kernelINS0_13select_configILj256ELj13ELNS0_17block_load_methodE3ELS4_3ELS4_3ELNS0_20block_scan_algorithmE0ELj4294967295EEENS1_25partition_config_selectorILNS1_17partition_subalgoE3EjNS0_10empty_typeEbEEZZNS1_14partition_implILS8_3ELb0ES6_jNS0_17counting_iteratorIjlEEPS9_SE_NS0_5tupleIJPjSE_EEENSF_IJSE_SE_EEES9_SG_JZNS1_25segmented_radix_sort_implINS0_14default_configELb1EPKbPbPKlPlN2at6native12_GLOBAL__N_18offset_tEEE10hipError_tPvRmT1_PNSt15iterator_traitsISY_E10value_typeET2_T3_PNSZ_IS14_E10value_typeET4_jRbjT5_S1A_jjP12ihipStream_tbEUljE_EEESV_SW_SX_S14_S18_S1A_T6_T7_T9_mT8_S1C_bDpT10_ENKUlT_T0_E_clISt17integral_constantIbLb1EES1P_EEDaS1K_S1L_EUlS1K_E_NS1_11comp_targetILNS1_3genE8ELNS1_11target_archE1030ELNS1_3gpuE2ELNS1_3repE0EEENS1_30default_config_static_selectorELNS0_4arch9wavefront6targetE0EEEvSY_,@function
_ZN7rocprim17ROCPRIM_400000_NS6detail17trampoline_kernelINS0_13select_configILj256ELj13ELNS0_17block_load_methodE3ELS4_3ELS4_3ELNS0_20block_scan_algorithmE0ELj4294967295EEENS1_25partition_config_selectorILNS1_17partition_subalgoE3EjNS0_10empty_typeEbEEZZNS1_14partition_implILS8_3ELb0ES6_jNS0_17counting_iteratorIjlEEPS9_SE_NS0_5tupleIJPjSE_EEENSF_IJSE_SE_EEES9_SG_JZNS1_25segmented_radix_sort_implINS0_14default_configELb1EPKbPbPKlPlN2at6native12_GLOBAL__N_18offset_tEEE10hipError_tPvRmT1_PNSt15iterator_traitsISY_E10value_typeET2_T3_PNSZ_IS14_E10value_typeET4_jRbjT5_S1A_jjP12ihipStream_tbEUljE_EEESV_SW_SX_S14_S18_S1A_T6_T7_T9_mT8_S1C_bDpT10_ENKUlT_T0_E_clISt17integral_constantIbLb1EES1P_EEDaS1K_S1L_EUlS1K_E_NS1_11comp_targetILNS1_3genE8ELNS1_11target_archE1030ELNS1_3gpuE2ELNS1_3repE0EEENS1_30default_config_static_selectorELNS0_4arch9wavefront6targetE0EEEvSY_: ; @_ZN7rocprim17ROCPRIM_400000_NS6detail17trampoline_kernelINS0_13select_configILj256ELj13ELNS0_17block_load_methodE3ELS4_3ELS4_3ELNS0_20block_scan_algorithmE0ELj4294967295EEENS1_25partition_config_selectorILNS1_17partition_subalgoE3EjNS0_10empty_typeEbEEZZNS1_14partition_implILS8_3ELb0ES6_jNS0_17counting_iteratorIjlEEPS9_SE_NS0_5tupleIJPjSE_EEENSF_IJSE_SE_EEES9_SG_JZNS1_25segmented_radix_sort_implINS0_14default_configELb1EPKbPbPKlPlN2at6native12_GLOBAL__N_18offset_tEEE10hipError_tPvRmT1_PNSt15iterator_traitsISY_E10value_typeET2_T3_PNSZ_IS14_E10value_typeET4_jRbjT5_S1A_jjP12ihipStream_tbEUljE_EEESV_SW_SX_S14_S18_S1A_T6_T7_T9_mT8_S1C_bDpT10_ENKUlT_T0_E_clISt17integral_constantIbLb1EES1P_EEDaS1K_S1L_EUlS1K_E_NS1_11comp_targetILNS1_3genE8ELNS1_11target_archE1030ELNS1_3gpuE2ELNS1_3repE0EEENS1_30default_config_static_selectorELNS0_4arch9wavefront6targetE0EEEvSY_
; %bb.0:
	.section	.rodata,"a",@progbits
	.p2align	6, 0x0
	.amdhsa_kernel _ZN7rocprim17ROCPRIM_400000_NS6detail17trampoline_kernelINS0_13select_configILj256ELj13ELNS0_17block_load_methodE3ELS4_3ELS4_3ELNS0_20block_scan_algorithmE0ELj4294967295EEENS1_25partition_config_selectorILNS1_17partition_subalgoE3EjNS0_10empty_typeEbEEZZNS1_14partition_implILS8_3ELb0ES6_jNS0_17counting_iteratorIjlEEPS9_SE_NS0_5tupleIJPjSE_EEENSF_IJSE_SE_EEES9_SG_JZNS1_25segmented_radix_sort_implINS0_14default_configELb1EPKbPbPKlPlN2at6native12_GLOBAL__N_18offset_tEEE10hipError_tPvRmT1_PNSt15iterator_traitsISY_E10value_typeET2_T3_PNSZ_IS14_E10value_typeET4_jRbjT5_S1A_jjP12ihipStream_tbEUljE_EEESV_SW_SX_S14_S18_S1A_T6_T7_T9_mT8_S1C_bDpT10_ENKUlT_T0_E_clISt17integral_constantIbLb1EES1P_EEDaS1K_S1L_EUlS1K_E_NS1_11comp_targetILNS1_3genE8ELNS1_11target_archE1030ELNS1_3gpuE2ELNS1_3repE0EEENS1_30default_config_static_selectorELNS0_4arch9wavefront6targetE0EEEvSY_
		.amdhsa_group_segment_fixed_size 0
		.amdhsa_private_segment_fixed_size 0
		.amdhsa_kernarg_size 152
		.amdhsa_user_sgpr_count 15
		.amdhsa_user_sgpr_dispatch_ptr 0
		.amdhsa_user_sgpr_queue_ptr 0
		.amdhsa_user_sgpr_kernarg_segment_ptr 1
		.amdhsa_user_sgpr_dispatch_id 0
		.amdhsa_user_sgpr_private_segment_size 0
		.amdhsa_wavefront_size32 1
		.amdhsa_uses_dynamic_stack 0
		.amdhsa_enable_private_segment 0
		.amdhsa_system_sgpr_workgroup_id_x 1
		.amdhsa_system_sgpr_workgroup_id_y 0
		.amdhsa_system_sgpr_workgroup_id_z 0
		.amdhsa_system_sgpr_workgroup_info 0
		.amdhsa_system_vgpr_workitem_id 0
		.amdhsa_next_free_vgpr 1
		.amdhsa_next_free_sgpr 1
		.amdhsa_reserve_vcc 0
		.amdhsa_float_round_mode_32 0
		.amdhsa_float_round_mode_16_64 0
		.amdhsa_float_denorm_mode_32 3
		.amdhsa_float_denorm_mode_16_64 3
		.amdhsa_dx10_clamp 1
		.amdhsa_ieee_mode 1
		.amdhsa_fp16_overflow 0
		.amdhsa_workgroup_processor_mode 1
		.amdhsa_memory_ordered 1
		.amdhsa_forward_progress 0
		.amdhsa_shared_vgpr_count 0
		.amdhsa_exception_fp_ieee_invalid_op 0
		.amdhsa_exception_fp_denorm_src 0
		.amdhsa_exception_fp_ieee_div_zero 0
		.amdhsa_exception_fp_ieee_overflow 0
		.amdhsa_exception_fp_ieee_underflow 0
		.amdhsa_exception_fp_ieee_inexact 0
		.amdhsa_exception_int_div_zero 0
	.end_amdhsa_kernel
	.section	.text._ZN7rocprim17ROCPRIM_400000_NS6detail17trampoline_kernelINS0_13select_configILj256ELj13ELNS0_17block_load_methodE3ELS4_3ELS4_3ELNS0_20block_scan_algorithmE0ELj4294967295EEENS1_25partition_config_selectorILNS1_17partition_subalgoE3EjNS0_10empty_typeEbEEZZNS1_14partition_implILS8_3ELb0ES6_jNS0_17counting_iteratorIjlEEPS9_SE_NS0_5tupleIJPjSE_EEENSF_IJSE_SE_EEES9_SG_JZNS1_25segmented_radix_sort_implINS0_14default_configELb1EPKbPbPKlPlN2at6native12_GLOBAL__N_18offset_tEEE10hipError_tPvRmT1_PNSt15iterator_traitsISY_E10value_typeET2_T3_PNSZ_IS14_E10value_typeET4_jRbjT5_S1A_jjP12ihipStream_tbEUljE_EEESV_SW_SX_S14_S18_S1A_T6_T7_T9_mT8_S1C_bDpT10_ENKUlT_T0_E_clISt17integral_constantIbLb1EES1P_EEDaS1K_S1L_EUlS1K_E_NS1_11comp_targetILNS1_3genE8ELNS1_11target_archE1030ELNS1_3gpuE2ELNS1_3repE0EEENS1_30default_config_static_selectorELNS0_4arch9wavefront6targetE0EEEvSY_,"axG",@progbits,_ZN7rocprim17ROCPRIM_400000_NS6detail17trampoline_kernelINS0_13select_configILj256ELj13ELNS0_17block_load_methodE3ELS4_3ELS4_3ELNS0_20block_scan_algorithmE0ELj4294967295EEENS1_25partition_config_selectorILNS1_17partition_subalgoE3EjNS0_10empty_typeEbEEZZNS1_14partition_implILS8_3ELb0ES6_jNS0_17counting_iteratorIjlEEPS9_SE_NS0_5tupleIJPjSE_EEENSF_IJSE_SE_EEES9_SG_JZNS1_25segmented_radix_sort_implINS0_14default_configELb1EPKbPbPKlPlN2at6native12_GLOBAL__N_18offset_tEEE10hipError_tPvRmT1_PNSt15iterator_traitsISY_E10value_typeET2_T3_PNSZ_IS14_E10value_typeET4_jRbjT5_S1A_jjP12ihipStream_tbEUljE_EEESV_SW_SX_S14_S18_S1A_T6_T7_T9_mT8_S1C_bDpT10_ENKUlT_T0_E_clISt17integral_constantIbLb1EES1P_EEDaS1K_S1L_EUlS1K_E_NS1_11comp_targetILNS1_3genE8ELNS1_11target_archE1030ELNS1_3gpuE2ELNS1_3repE0EEENS1_30default_config_static_selectorELNS0_4arch9wavefront6targetE0EEEvSY_,comdat
.Lfunc_end1515:
	.size	_ZN7rocprim17ROCPRIM_400000_NS6detail17trampoline_kernelINS0_13select_configILj256ELj13ELNS0_17block_load_methodE3ELS4_3ELS4_3ELNS0_20block_scan_algorithmE0ELj4294967295EEENS1_25partition_config_selectorILNS1_17partition_subalgoE3EjNS0_10empty_typeEbEEZZNS1_14partition_implILS8_3ELb0ES6_jNS0_17counting_iteratorIjlEEPS9_SE_NS0_5tupleIJPjSE_EEENSF_IJSE_SE_EEES9_SG_JZNS1_25segmented_radix_sort_implINS0_14default_configELb1EPKbPbPKlPlN2at6native12_GLOBAL__N_18offset_tEEE10hipError_tPvRmT1_PNSt15iterator_traitsISY_E10value_typeET2_T3_PNSZ_IS14_E10value_typeET4_jRbjT5_S1A_jjP12ihipStream_tbEUljE_EEESV_SW_SX_S14_S18_S1A_T6_T7_T9_mT8_S1C_bDpT10_ENKUlT_T0_E_clISt17integral_constantIbLb1EES1P_EEDaS1K_S1L_EUlS1K_E_NS1_11comp_targetILNS1_3genE8ELNS1_11target_archE1030ELNS1_3gpuE2ELNS1_3repE0EEENS1_30default_config_static_selectorELNS0_4arch9wavefront6targetE0EEEvSY_, .Lfunc_end1515-_ZN7rocprim17ROCPRIM_400000_NS6detail17trampoline_kernelINS0_13select_configILj256ELj13ELNS0_17block_load_methodE3ELS4_3ELS4_3ELNS0_20block_scan_algorithmE0ELj4294967295EEENS1_25partition_config_selectorILNS1_17partition_subalgoE3EjNS0_10empty_typeEbEEZZNS1_14partition_implILS8_3ELb0ES6_jNS0_17counting_iteratorIjlEEPS9_SE_NS0_5tupleIJPjSE_EEENSF_IJSE_SE_EEES9_SG_JZNS1_25segmented_radix_sort_implINS0_14default_configELb1EPKbPbPKlPlN2at6native12_GLOBAL__N_18offset_tEEE10hipError_tPvRmT1_PNSt15iterator_traitsISY_E10value_typeET2_T3_PNSZ_IS14_E10value_typeET4_jRbjT5_S1A_jjP12ihipStream_tbEUljE_EEESV_SW_SX_S14_S18_S1A_T6_T7_T9_mT8_S1C_bDpT10_ENKUlT_T0_E_clISt17integral_constantIbLb1EES1P_EEDaS1K_S1L_EUlS1K_E_NS1_11comp_targetILNS1_3genE8ELNS1_11target_archE1030ELNS1_3gpuE2ELNS1_3repE0EEENS1_30default_config_static_selectorELNS0_4arch9wavefront6targetE0EEEvSY_
                                        ; -- End function
	.section	.AMDGPU.csdata,"",@progbits
; Kernel info:
; codeLenInByte = 0
; NumSgprs: 0
; NumVgprs: 0
; ScratchSize: 0
; MemoryBound: 0
; FloatMode: 240
; IeeeMode: 1
; LDSByteSize: 0 bytes/workgroup (compile time only)
; SGPRBlocks: 0
; VGPRBlocks: 0
; NumSGPRsForWavesPerEU: 1
; NumVGPRsForWavesPerEU: 1
; Occupancy: 16
; WaveLimiterHint : 0
; COMPUTE_PGM_RSRC2:SCRATCH_EN: 0
; COMPUTE_PGM_RSRC2:USER_SGPR: 15
; COMPUTE_PGM_RSRC2:TRAP_HANDLER: 0
; COMPUTE_PGM_RSRC2:TGID_X_EN: 1
; COMPUTE_PGM_RSRC2:TGID_Y_EN: 0
; COMPUTE_PGM_RSRC2:TGID_Z_EN: 0
; COMPUTE_PGM_RSRC2:TIDIG_COMP_CNT: 0
	.section	.text._ZN7rocprim17ROCPRIM_400000_NS6detail17trampoline_kernelINS0_13select_configILj256ELj13ELNS0_17block_load_methodE3ELS4_3ELS4_3ELNS0_20block_scan_algorithmE0ELj4294967295EEENS1_25partition_config_selectorILNS1_17partition_subalgoE3EjNS0_10empty_typeEbEEZZNS1_14partition_implILS8_3ELb0ES6_jNS0_17counting_iteratorIjlEEPS9_SE_NS0_5tupleIJPjSE_EEENSF_IJSE_SE_EEES9_SG_JZNS1_25segmented_radix_sort_implINS0_14default_configELb1EPKbPbPKlPlN2at6native12_GLOBAL__N_18offset_tEEE10hipError_tPvRmT1_PNSt15iterator_traitsISY_E10value_typeET2_T3_PNSZ_IS14_E10value_typeET4_jRbjT5_S1A_jjP12ihipStream_tbEUljE_EEESV_SW_SX_S14_S18_S1A_T6_T7_T9_mT8_S1C_bDpT10_ENKUlT_T0_E_clISt17integral_constantIbLb1EES1O_IbLb0EEEEDaS1K_S1L_EUlS1K_E_NS1_11comp_targetILNS1_3genE0ELNS1_11target_archE4294967295ELNS1_3gpuE0ELNS1_3repE0EEENS1_30default_config_static_selectorELNS0_4arch9wavefront6targetE0EEEvSY_,"axG",@progbits,_ZN7rocprim17ROCPRIM_400000_NS6detail17trampoline_kernelINS0_13select_configILj256ELj13ELNS0_17block_load_methodE3ELS4_3ELS4_3ELNS0_20block_scan_algorithmE0ELj4294967295EEENS1_25partition_config_selectorILNS1_17partition_subalgoE3EjNS0_10empty_typeEbEEZZNS1_14partition_implILS8_3ELb0ES6_jNS0_17counting_iteratorIjlEEPS9_SE_NS0_5tupleIJPjSE_EEENSF_IJSE_SE_EEES9_SG_JZNS1_25segmented_radix_sort_implINS0_14default_configELb1EPKbPbPKlPlN2at6native12_GLOBAL__N_18offset_tEEE10hipError_tPvRmT1_PNSt15iterator_traitsISY_E10value_typeET2_T3_PNSZ_IS14_E10value_typeET4_jRbjT5_S1A_jjP12ihipStream_tbEUljE_EEESV_SW_SX_S14_S18_S1A_T6_T7_T9_mT8_S1C_bDpT10_ENKUlT_T0_E_clISt17integral_constantIbLb1EES1O_IbLb0EEEEDaS1K_S1L_EUlS1K_E_NS1_11comp_targetILNS1_3genE0ELNS1_11target_archE4294967295ELNS1_3gpuE0ELNS1_3repE0EEENS1_30default_config_static_selectorELNS0_4arch9wavefront6targetE0EEEvSY_,comdat
	.globl	_ZN7rocprim17ROCPRIM_400000_NS6detail17trampoline_kernelINS0_13select_configILj256ELj13ELNS0_17block_load_methodE3ELS4_3ELS4_3ELNS0_20block_scan_algorithmE0ELj4294967295EEENS1_25partition_config_selectorILNS1_17partition_subalgoE3EjNS0_10empty_typeEbEEZZNS1_14partition_implILS8_3ELb0ES6_jNS0_17counting_iteratorIjlEEPS9_SE_NS0_5tupleIJPjSE_EEENSF_IJSE_SE_EEES9_SG_JZNS1_25segmented_radix_sort_implINS0_14default_configELb1EPKbPbPKlPlN2at6native12_GLOBAL__N_18offset_tEEE10hipError_tPvRmT1_PNSt15iterator_traitsISY_E10value_typeET2_T3_PNSZ_IS14_E10value_typeET4_jRbjT5_S1A_jjP12ihipStream_tbEUljE_EEESV_SW_SX_S14_S18_S1A_T6_T7_T9_mT8_S1C_bDpT10_ENKUlT_T0_E_clISt17integral_constantIbLb1EES1O_IbLb0EEEEDaS1K_S1L_EUlS1K_E_NS1_11comp_targetILNS1_3genE0ELNS1_11target_archE4294967295ELNS1_3gpuE0ELNS1_3repE0EEENS1_30default_config_static_selectorELNS0_4arch9wavefront6targetE0EEEvSY_ ; -- Begin function _ZN7rocprim17ROCPRIM_400000_NS6detail17trampoline_kernelINS0_13select_configILj256ELj13ELNS0_17block_load_methodE3ELS4_3ELS4_3ELNS0_20block_scan_algorithmE0ELj4294967295EEENS1_25partition_config_selectorILNS1_17partition_subalgoE3EjNS0_10empty_typeEbEEZZNS1_14partition_implILS8_3ELb0ES6_jNS0_17counting_iteratorIjlEEPS9_SE_NS0_5tupleIJPjSE_EEENSF_IJSE_SE_EEES9_SG_JZNS1_25segmented_radix_sort_implINS0_14default_configELb1EPKbPbPKlPlN2at6native12_GLOBAL__N_18offset_tEEE10hipError_tPvRmT1_PNSt15iterator_traitsISY_E10value_typeET2_T3_PNSZ_IS14_E10value_typeET4_jRbjT5_S1A_jjP12ihipStream_tbEUljE_EEESV_SW_SX_S14_S18_S1A_T6_T7_T9_mT8_S1C_bDpT10_ENKUlT_T0_E_clISt17integral_constantIbLb1EES1O_IbLb0EEEEDaS1K_S1L_EUlS1K_E_NS1_11comp_targetILNS1_3genE0ELNS1_11target_archE4294967295ELNS1_3gpuE0ELNS1_3repE0EEENS1_30default_config_static_selectorELNS0_4arch9wavefront6targetE0EEEvSY_
	.p2align	8
	.type	_ZN7rocprim17ROCPRIM_400000_NS6detail17trampoline_kernelINS0_13select_configILj256ELj13ELNS0_17block_load_methodE3ELS4_3ELS4_3ELNS0_20block_scan_algorithmE0ELj4294967295EEENS1_25partition_config_selectorILNS1_17partition_subalgoE3EjNS0_10empty_typeEbEEZZNS1_14partition_implILS8_3ELb0ES6_jNS0_17counting_iteratorIjlEEPS9_SE_NS0_5tupleIJPjSE_EEENSF_IJSE_SE_EEES9_SG_JZNS1_25segmented_radix_sort_implINS0_14default_configELb1EPKbPbPKlPlN2at6native12_GLOBAL__N_18offset_tEEE10hipError_tPvRmT1_PNSt15iterator_traitsISY_E10value_typeET2_T3_PNSZ_IS14_E10value_typeET4_jRbjT5_S1A_jjP12ihipStream_tbEUljE_EEESV_SW_SX_S14_S18_S1A_T6_T7_T9_mT8_S1C_bDpT10_ENKUlT_T0_E_clISt17integral_constantIbLb1EES1O_IbLb0EEEEDaS1K_S1L_EUlS1K_E_NS1_11comp_targetILNS1_3genE0ELNS1_11target_archE4294967295ELNS1_3gpuE0ELNS1_3repE0EEENS1_30default_config_static_selectorELNS0_4arch9wavefront6targetE0EEEvSY_,@function
_ZN7rocprim17ROCPRIM_400000_NS6detail17trampoline_kernelINS0_13select_configILj256ELj13ELNS0_17block_load_methodE3ELS4_3ELS4_3ELNS0_20block_scan_algorithmE0ELj4294967295EEENS1_25partition_config_selectorILNS1_17partition_subalgoE3EjNS0_10empty_typeEbEEZZNS1_14partition_implILS8_3ELb0ES6_jNS0_17counting_iteratorIjlEEPS9_SE_NS0_5tupleIJPjSE_EEENSF_IJSE_SE_EEES9_SG_JZNS1_25segmented_radix_sort_implINS0_14default_configELb1EPKbPbPKlPlN2at6native12_GLOBAL__N_18offset_tEEE10hipError_tPvRmT1_PNSt15iterator_traitsISY_E10value_typeET2_T3_PNSZ_IS14_E10value_typeET4_jRbjT5_S1A_jjP12ihipStream_tbEUljE_EEESV_SW_SX_S14_S18_S1A_T6_T7_T9_mT8_S1C_bDpT10_ENKUlT_T0_E_clISt17integral_constantIbLb1EES1O_IbLb0EEEEDaS1K_S1L_EUlS1K_E_NS1_11comp_targetILNS1_3genE0ELNS1_11target_archE4294967295ELNS1_3gpuE0ELNS1_3repE0EEENS1_30default_config_static_selectorELNS0_4arch9wavefront6targetE0EEEvSY_: ; @_ZN7rocprim17ROCPRIM_400000_NS6detail17trampoline_kernelINS0_13select_configILj256ELj13ELNS0_17block_load_methodE3ELS4_3ELS4_3ELNS0_20block_scan_algorithmE0ELj4294967295EEENS1_25partition_config_selectorILNS1_17partition_subalgoE3EjNS0_10empty_typeEbEEZZNS1_14partition_implILS8_3ELb0ES6_jNS0_17counting_iteratorIjlEEPS9_SE_NS0_5tupleIJPjSE_EEENSF_IJSE_SE_EEES9_SG_JZNS1_25segmented_radix_sort_implINS0_14default_configELb1EPKbPbPKlPlN2at6native12_GLOBAL__N_18offset_tEEE10hipError_tPvRmT1_PNSt15iterator_traitsISY_E10value_typeET2_T3_PNSZ_IS14_E10value_typeET4_jRbjT5_S1A_jjP12ihipStream_tbEUljE_EEESV_SW_SX_S14_S18_S1A_T6_T7_T9_mT8_S1C_bDpT10_ENKUlT_T0_E_clISt17integral_constantIbLb1EES1O_IbLb0EEEEDaS1K_S1L_EUlS1K_E_NS1_11comp_targetILNS1_3genE0ELNS1_11target_archE4294967295ELNS1_3gpuE0ELNS1_3repE0EEENS1_30default_config_static_selectorELNS0_4arch9wavefront6targetE0EEEvSY_
; %bb.0:
	.section	.rodata,"a",@progbits
	.p2align	6, 0x0
	.amdhsa_kernel _ZN7rocprim17ROCPRIM_400000_NS6detail17trampoline_kernelINS0_13select_configILj256ELj13ELNS0_17block_load_methodE3ELS4_3ELS4_3ELNS0_20block_scan_algorithmE0ELj4294967295EEENS1_25partition_config_selectorILNS1_17partition_subalgoE3EjNS0_10empty_typeEbEEZZNS1_14partition_implILS8_3ELb0ES6_jNS0_17counting_iteratorIjlEEPS9_SE_NS0_5tupleIJPjSE_EEENSF_IJSE_SE_EEES9_SG_JZNS1_25segmented_radix_sort_implINS0_14default_configELb1EPKbPbPKlPlN2at6native12_GLOBAL__N_18offset_tEEE10hipError_tPvRmT1_PNSt15iterator_traitsISY_E10value_typeET2_T3_PNSZ_IS14_E10value_typeET4_jRbjT5_S1A_jjP12ihipStream_tbEUljE_EEESV_SW_SX_S14_S18_S1A_T6_T7_T9_mT8_S1C_bDpT10_ENKUlT_T0_E_clISt17integral_constantIbLb1EES1O_IbLb0EEEEDaS1K_S1L_EUlS1K_E_NS1_11comp_targetILNS1_3genE0ELNS1_11target_archE4294967295ELNS1_3gpuE0ELNS1_3repE0EEENS1_30default_config_static_selectorELNS0_4arch9wavefront6targetE0EEEvSY_
		.amdhsa_group_segment_fixed_size 0
		.amdhsa_private_segment_fixed_size 0
		.amdhsa_kernarg_size 144
		.amdhsa_user_sgpr_count 15
		.amdhsa_user_sgpr_dispatch_ptr 0
		.amdhsa_user_sgpr_queue_ptr 0
		.amdhsa_user_sgpr_kernarg_segment_ptr 1
		.amdhsa_user_sgpr_dispatch_id 0
		.amdhsa_user_sgpr_private_segment_size 0
		.amdhsa_wavefront_size32 1
		.amdhsa_uses_dynamic_stack 0
		.amdhsa_enable_private_segment 0
		.amdhsa_system_sgpr_workgroup_id_x 1
		.amdhsa_system_sgpr_workgroup_id_y 0
		.amdhsa_system_sgpr_workgroup_id_z 0
		.amdhsa_system_sgpr_workgroup_info 0
		.amdhsa_system_vgpr_workitem_id 0
		.amdhsa_next_free_vgpr 1
		.amdhsa_next_free_sgpr 1
		.amdhsa_reserve_vcc 0
		.amdhsa_float_round_mode_32 0
		.amdhsa_float_round_mode_16_64 0
		.amdhsa_float_denorm_mode_32 3
		.amdhsa_float_denorm_mode_16_64 3
		.amdhsa_dx10_clamp 1
		.amdhsa_ieee_mode 1
		.amdhsa_fp16_overflow 0
		.amdhsa_workgroup_processor_mode 1
		.amdhsa_memory_ordered 1
		.amdhsa_forward_progress 0
		.amdhsa_shared_vgpr_count 0
		.amdhsa_exception_fp_ieee_invalid_op 0
		.amdhsa_exception_fp_denorm_src 0
		.amdhsa_exception_fp_ieee_div_zero 0
		.amdhsa_exception_fp_ieee_overflow 0
		.amdhsa_exception_fp_ieee_underflow 0
		.amdhsa_exception_fp_ieee_inexact 0
		.amdhsa_exception_int_div_zero 0
	.end_amdhsa_kernel
	.section	.text._ZN7rocprim17ROCPRIM_400000_NS6detail17trampoline_kernelINS0_13select_configILj256ELj13ELNS0_17block_load_methodE3ELS4_3ELS4_3ELNS0_20block_scan_algorithmE0ELj4294967295EEENS1_25partition_config_selectorILNS1_17partition_subalgoE3EjNS0_10empty_typeEbEEZZNS1_14partition_implILS8_3ELb0ES6_jNS0_17counting_iteratorIjlEEPS9_SE_NS0_5tupleIJPjSE_EEENSF_IJSE_SE_EEES9_SG_JZNS1_25segmented_radix_sort_implINS0_14default_configELb1EPKbPbPKlPlN2at6native12_GLOBAL__N_18offset_tEEE10hipError_tPvRmT1_PNSt15iterator_traitsISY_E10value_typeET2_T3_PNSZ_IS14_E10value_typeET4_jRbjT5_S1A_jjP12ihipStream_tbEUljE_EEESV_SW_SX_S14_S18_S1A_T6_T7_T9_mT8_S1C_bDpT10_ENKUlT_T0_E_clISt17integral_constantIbLb1EES1O_IbLb0EEEEDaS1K_S1L_EUlS1K_E_NS1_11comp_targetILNS1_3genE0ELNS1_11target_archE4294967295ELNS1_3gpuE0ELNS1_3repE0EEENS1_30default_config_static_selectorELNS0_4arch9wavefront6targetE0EEEvSY_,"axG",@progbits,_ZN7rocprim17ROCPRIM_400000_NS6detail17trampoline_kernelINS0_13select_configILj256ELj13ELNS0_17block_load_methodE3ELS4_3ELS4_3ELNS0_20block_scan_algorithmE0ELj4294967295EEENS1_25partition_config_selectorILNS1_17partition_subalgoE3EjNS0_10empty_typeEbEEZZNS1_14partition_implILS8_3ELb0ES6_jNS0_17counting_iteratorIjlEEPS9_SE_NS0_5tupleIJPjSE_EEENSF_IJSE_SE_EEES9_SG_JZNS1_25segmented_radix_sort_implINS0_14default_configELb1EPKbPbPKlPlN2at6native12_GLOBAL__N_18offset_tEEE10hipError_tPvRmT1_PNSt15iterator_traitsISY_E10value_typeET2_T3_PNSZ_IS14_E10value_typeET4_jRbjT5_S1A_jjP12ihipStream_tbEUljE_EEESV_SW_SX_S14_S18_S1A_T6_T7_T9_mT8_S1C_bDpT10_ENKUlT_T0_E_clISt17integral_constantIbLb1EES1O_IbLb0EEEEDaS1K_S1L_EUlS1K_E_NS1_11comp_targetILNS1_3genE0ELNS1_11target_archE4294967295ELNS1_3gpuE0ELNS1_3repE0EEENS1_30default_config_static_selectorELNS0_4arch9wavefront6targetE0EEEvSY_,comdat
.Lfunc_end1516:
	.size	_ZN7rocprim17ROCPRIM_400000_NS6detail17trampoline_kernelINS0_13select_configILj256ELj13ELNS0_17block_load_methodE3ELS4_3ELS4_3ELNS0_20block_scan_algorithmE0ELj4294967295EEENS1_25partition_config_selectorILNS1_17partition_subalgoE3EjNS0_10empty_typeEbEEZZNS1_14partition_implILS8_3ELb0ES6_jNS0_17counting_iteratorIjlEEPS9_SE_NS0_5tupleIJPjSE_EEENSF_IJSE_SE_EEES9_SG_JZNS1_25segmented_radix_sort_implINS0_14default_configELb1EPKbPbPKlPlN2at6native12_GLOBAL__N_18offset_tEEE10hipError_tPvRmT1_PNSt15iterator_traitsISY_E10value_typeET2_T3_PNSZ_IS14_E10value_typeET4_jRbjT5_S1A_jjP12ihipStream_tbEUljE_EEESV_SW_SX_S14_S18_S1A_T6_T7_T9_mT8_S1C_bDpT10_ENKUlT_T0_E_clISt17integral_constantIbLb1EES1O_IbLb0EEEEDaS1K_S1L_EUlS1K_E_NS1_11comp_targetILNS1_3genE0ELNS1_11target_archE4294967295ELNS1_3gpuE0ELNS1_3repE0EEENS1_30default_config_static_selectorELNS0_4arch9wavefront6targetE0EEEvSY_, .Lfunc_end1516-_ZN7rocprim17ROCPRIM_400000_NS6detail17trampoline_kernelINS0_13select_configILj256ELj13ELNS0_17block_load_methodE3ELS4_3ELS4_3ELNS0_20block_scan_algorithmE0ELj4294967295EEENS1_25partition_config_selectorILNS1_17partition_subalgoE3EjNS0_10empty_typeEbEEZZNS1_14partition_implILS8_3ELb0ES6_jNS0_17counting_iteratorIjlEEPS9_SE_NS0_5tupleIJPjSE_EEENSF_IJSE_SE_EEES9_SG_JZNS1_25segmented_radix_sort_implINS0_14default_configELb1EPKbPbPKlPlN2at6native12_GLOBAL__N_18offset_tEEE10hipError_tPvRmT1_PNSt15iterator_traitsISY_E10value_typeET2_T3_PNSZ_IS14_E10value_typeET4_jRbjT5_S1A_jjP12ihipStream_tbEUljE_EEESV_SW_SX_S14_S18_S1A_T6_T7_T9_mT8_S1C_bDpT10_ENKUlT_T0_E_clISt17integral_constantIbLb1EES1O_IbLb0EEEEDaS1K_S1L_EUlS1K_E_NS1_11comp_targetILNS1_3genE0ELNS1_11target_archE4294967295ELNS1_3gpuE0ELNS1_3repE0EEENS1_30default_config_static_selectorELNS0_4arch9wavefront6targetE0EEEvSY_
                                        ; -- End function
	.section	.AMDGPU.csdata,"",@progbits
; Kernel info:
; codeLenInByte = 0
; NumSgprs: 0
; NumVgprs: 0
; ScratchSize: 0
; MemoryBound: 0
; FloatMode: 240
; IeeeMode: 1
; LDSByteSize: 0 bytes/workgroup (compile time only)
; SGPRBlocks: 0
; VGPRBlocks: 0
; NumSGPRsForWavesPerEU: 1
; NumVGPRsForWavesPerEU: 1
; Occupancy: 16
; WaveLimiterHint : 0
; COMPUTE_PGM_RSRC2:SCRATCH_EN: 0
; COMPUTE_PGM_RSRC2:USER_SGPR: 15
; COMPUTE_PGM_RSRC2:TRAP_HANDLER: 0
; COMPUTE_PGM_RSRC2:TGID_X_EN: 1
; COMPUTE_PGM_RSRC2:TGID_Y_EN: 0
; COMPUTE_PGM_RSRC2:TGID_Z_EN: 0
; COMPUTE_PGM_RSRC2:TIDIG_COMP_CNT: 0
	.section	.text._ZN7rocprim17ROCPRIM_400000_NS6detail17trampoline_kernelINS0_13select_configILj256ELj13ELNS0_17block_load_methodE3ELS4_3ELS4_3ELNS0_20block_scan_algorithmE0ELj4294967295EEENS1_25partition_config_selectorILNS1_17partition_subalgoE3EjNS0_10empty_typeEbEEZZNS1_14partition_implILS8_3ELb0ES6_jNS0_17counting_iteratorIjlEEPS9_SE_NS0_5tupleIJPjSE_EEENSF_IJSE_SE_EEES9_SG_JZNS1_25segmented_radix_sort_implINS0_14default_configELb1EPKbPbPKlPlN2at6native12_GLOBAL__N_18offset_tEEE10hipError_tPvRmT1_PNSt15iterator_traitsISY_E10value_typeET2_T3_PNSZ_IS14_E10value_typeET4_jRbjT5_S1A_jjP12ihipStream_tbEUljE_EEESV_SW_SX_S14_S18_S1A_T6_T7_T9_mT8_S1C_bDpT10_ENKUlT_T0_E_clISt17integral_constantIbLb1EES1O_IbLb0EEEEDaS1K_S1L_EUlS1K_E_NS1_11comp_targetILNS1_3genE5ELNS1_11target_archE942ELNS1_3gpuE9ELNS1_3repE0EEENS1_30default_config_static_selectorELNS0_4arch9wavefront6targetE0EEEvSY_,"axG",@progbits,_ZN7rocprim17ROCPRIM_400000_NS6detail17trampoline_kernelINS0_13select_configILj256ELj13ELNS0_17block_load_methodE3ELS4_3ELS4_3ELNS0_20block_scan_algorithmE0ELj4294967295EEENS1_25partition_config_selectorILNS1_17partition_subalgoE3EjNS0_10empty_typeEbEEZZNS1_14partition_implILS8_3ELb0ES6_jNS0_17counting_iteratorIjlEEPS9_SE_NS0_5tupleIJPjSE_EEENSF_IJSE_SE_EEES9_SG_JZNS1_25segmented_radix_sort_implINS0_14default_configELb1EPKbPbPKlPlN2at6native12_GLOBAL__N_18offset_tEEE10hipError_tPvRmT1_PNSt15iterator_traitsISY_E10value_typeET2_T3_PNSZ_IS14_E10value_typeET4_jRbjT5_S1A_jjP12ihipStream_tbEUljE_EEESV_SW_SX_S14_S18_S1A_T6_T7_T9_mT8_S1C_bDpT10_ENKUlT_T0_E_clISt17integral_constantIbLb1EES1O_IbLb0EEEEDaS1K_S1L_EUlS1K_E_NS1_11comp_targetILNS1_3genE5ELNS1_11target_archE942ELNS1_3gpuE9ELNS1_3repE0EEENS1_30default_config_static_selectorELNS0_4arch9wavefront6targetE0EEEvSY_,comdat
	.globl	_ZN7rocprim17ROCPRIM_400000_NS6detail17trampoline_kernelINS0_13select_configILj256ELj13ELNS0_17block_load_methodE3ELS4_3ELS4_3ELNS0_20block_scan_algorithmE0ELj4294967295EEENS1_25partition_config_selectorILNS1_17partition_subalgoE3EjNS0_10empty_typeEbEEZZNS1_14partition_implILS8_3ELb0ES6_jNS0_17counting_iteratorIjlEEPS9_SE_NS0_5tupleIJPjSE_EEENSF_IJSE_SE_EEES9_SG_JZNS1_25segmented_radix_sort_implINS0_14default_configELb1EPKbPbPKlPlN2at6native12_GLOBAL__N_18offset_tEEE10hipError_tPvRmT1_PNSt15iterator_traitsISY_E10value_typeET2_T3_PNSZ_IS14_E10value_typeET4_jRbjT5_S1A_jjP12ihipStream_tbEUljE_EEESV_SW_SX_S14_S18_S1A_T6_T7_T9_mT8_S1C_bDpT10_ENKUlT_T0_E_clISt17integral_constantIbLb1EES1O_IbLb0EEEEDaS1K_S1L_EUlS1K_E_NS1_11comp_targetILNS1_3genE5ELNS1_11target_archE942ELNS1_3gpuE9ELNS1_3repE0EEENS1_30default_config_static_selectorELNS0_4arch9wavefront6targetE0EEEvSY_ ; -- Begin function _ZN7rocprim17ROCPRIM_400000_NS6detail17trampoline_kernelINS0_13select_configILj256ELj13ELNS0_17block_load_methodE3ELS4_3ELS4_3ELNS0_20block_scan_algorithmE0ELj4294967295EEENS1_25partition_config_selectorILNS1_17partition_subalgoE3EjNS0_10empty_typeEbEEZZNS1_14partition_implILS8_3ELb0ES6_jNS0_17counting_iteratorIjlEEPS9_SE_NS0_5tupleIJPjSE_EEENSF_IJSE_SE_EEES9_SG_JZNS1_25segmented_radix_sort_implINS0_14default_configELb1EPKbPbPKlPlN2at6native12_GLOBAL__N_18offset_tEEE10hipError_tPvRmT1_PNSt15iterator_traitsISY_E10value_typeET2_T3_PNSZ_IS14_E10value_typeET4_jRbjT5_S1A_jjP12ihipStream_tbEUljE_EEESV_SW_SX_S14_S18_S1A_T6_T7_T9_mT8_S1C_bDpT10_ENKUlT_T0_E_clISt17integral_constantIbLb1EES1O_IbLb0EEEEDaS1K_S1L_EUlS1K_E_NS1_11comp_targetILNS1_3genE5ELNS1_11target_archE942ELNS1_3gpuE9ELNS1_3repE0EEENS1_30default_config_static_selectorELNS0_4arch9wavefront6targetE0EEEvSY_
	.p2align	8
	.type	_ZN7rocprim17ROCPRIM_400000_NS6detail17trampoline_kernelINS0_13select_configILj256ELj13ELNS0_17block_load_methodE3ELS4_3ELS4_3ELNS0_20block_scan_algorithmE0ELj4294967295EEENS1_25partition_config_selectorILNS1_17partition_subalgoE3EjNS0_10empty_typeEbEEZZNS1_14partition_implILS8_3ELb0ES6_jNS0_17counting_iteratorIjlEEPS9_SE_NS0_5tupleIJPjSE_EEENSF_IJSE_SE_EEES9_SG_JZNS1_25segmented_radix_sort_implINS0_14default_configELb1EPKbPbPKlPlN2at6native12_GLOBAL__N_18offset_tEEE10hipError_tPvRmT1_PNSt15iterator_traitsISY_E10value_typeET2_T3_PNSZ_IS14_E10value_typeET4_jRbjT5_S1A_jjP12ihipStream_tbEUljE_EEESV_SW_SX_S14_S18_S1A_T6_T7_T9_mT8_S1C_bDpT10_ENKUlT_T0_E_clISt17integral_constantIbLb1EES1O_IbLb0EEEEDaS1K_S1L_EUlS1K_E_NS1_11comp_targetILNS1_3genE5ELNS1_11target_archE942ELNS1_3gpuE9ELNS1_3repE0EEENS1_30default_config_static_selectorELNS0_4arch9wavefront6targetE0EEEvSY_,@function
_ZN7rocprim17ROCPRIM_400000_NS6detail17trampoline_kernelINS0_13select_configILj256ELj13ELNS0_17block_load_methodE3ELS4_3ELS4_3ELNS0_20block_scan_algorithmE0ELj4294967295EEENS1_25partition_config_selectorILNS1_17partition_subalgoE3EjNS0_10empty_typeEbEEZZNS1_14partition_implILS8_3ELb0ES6_jNS0_17counting_iteratorIjlEEPS9_SE_NS0_5tupleIJPjSE_EEENSF_IJSE_SE_EEES9_SG_JZNS1_25segmented_radix_sort_implINS0_14default_configELb1EPKbPbPKlPlN2at6native12_GLOBAL__N_18offset_tEEE10hipError_tPvRmT1_PNSt15iterator_traitsISY_E10value_typeET2_T3_PNSZ_IS14_E10value_typeET4_jRbjT5_S1A_jjP12ihipStream_tbEUljE_EEESV_SW_SX_S14_S18_S1A_T6_T7_T9_mT8_S1C_bDpT10_ENKUlT_T0_E_clISt17integral_constantIbLb1EES1O_IbLb0EEEEDaS1K_S1L_EUlS1K_E_NS1_11comp_targetILNS1_3genE5ELNS1_11target_archE942ELNS1_3gpuE9ELNS1_3repE0EEENS1_30default_config_static_selectorELNS0_4arch9wavefront6targetE0EEEvSY_: ; @_ZN7rocprim17ROCPRIM_400000_NS6detail17trampoline_kernelINS0_13select_configILj256ELj13ELNS0_17block_load_methodE3ELS4_3ELS4_3ELNS0_20block_scan_algorithmE0ELj4294967295EEENS1_25partition_config_selectorILNS1_17partition_subalgoE3EjNS0_10empty_typeEbEEZZNS1_14partition_implILS8_3ELb0ES6_jNS0_17counting_iteratorIjlEEPS9_SE_NS0_5tupleIJPjSE_EEENSF_IJSE_SE_EEES9_SG_JZNS1_25segmented_radix_sort_implINS0_14default_configELb1EPKbPbPKlPlN2at6native12_GLOBAL__N_18offset_tEEE10hipError_tPvRmT1_PNSt15iterator_traitsISY_E10value_typeET2_T3_PNSZ_IS14_E10value_typeET4_jRbjT5_S1A_jjP12ihipStream_tbEUljE_EEESV_SW_SX_S14_S18_S1A_T6_T7_T9_mT8_S1C_bDpT10_ENKUlT_T0_E_clISt17integral_constantIbLb1EES1O_IbLb0EEEEDaS1K_S1L_EUlS1K_E_NS1_11comp_targetILNS1_3genE5ELNS1_11target_archE942ELNS1_3gpuE9ELNS1_3repE0EEENS1_30default_config_static_selectorELNS0_4arch9wavefront6targetE0EEEvSY_
; %bb.0:
	.section	.rodata,"a",@progbits
	.p2align	6, 0x0
	.amdhsa_kernel _ZN7rocprim17ROCPRIM_400000_NS6detail17trampoline_kernelINS0_13select_configILj256ELj13ELNS0_17block_load_methodE3ELS4_3ELS4_3ELNS0_20block_scan_algorithmE0ELj4294967295EEENS1_25partition_config_selectorILNS1_17partition_subalgoE3EjNS0_10empty_typeEbEEZZNS1_14partition_implILS8_3ELb0ES6_jNS0_17counting_iteratorIjlEEPS9_SE_NS0_5tupleIJPjSE_EEENSF_IJSE_SE_EEES9_SG_JZNS1_25segmented_radix_sort_implINS0_14default_configELb1EPKbPbPKlPlN2at6native12_GLOBAL__N_18offset_tEEE10hipError_tPvRmT1_PNSt15iterator_traitsISY_E10value_typeET2_T3_PNSZ_IS14_E10value_typeET4_jRbjT5_S1A_jjP12ihipStream_tbEUljE_EEESV_SW_SX_S14_S18_S1A_T6_T7_T9_mT8_S1C_bDpT10_ENKUlT_T0_E_clISt17integral_constantIbLb1EES1O_IbLb0EEEEDaS1K_S1L_EUlS1K_E_NS1_11comp_targetILNS1_3genE5ELNS1_11target_archE942ELNS1_3gpuE9ELNS1_3repE0EEENS1_30default_config_static_selectorELNS0_4arch9wavefront6targetE0EEEvSY_
		.amdhsa_group_segment_fixed_size 0
		.amdhsa_private_segment_fixed_size 0
		.amdhsa_kernarg_size 144
		.amdhsa_user_sgpr_count 15
		.amdhsa_user_sgpr_dispatch_ptr 0
		.amdhsa_user_sgpr_queue_ptr 0
		.amdhsa_user_sgpr_kernarg_segment_ptr 1
		.amdhsa_user_sgpr_dispatch_id 0
		.amdhsa_user_sgpr_private_segment_size 0
		.amdhsa_wavefront_size32 1
		.amdhsa_uses_dynamic_stack 0
		.amdhsa_enable_private_segment 0
		.amdhsa_system_sgpr_workgroup_id_x 1
		.amdhsa_system_sgpr_workgroup_id_y 0
		.amdhsa_system_sgpr_workgroup_id_z 0
		.amdhsa_system_sgpr_workgroup_info 0
		.amdhsa_system_vgpr_workitem_id 0
		.amdhsa_next_free_vgpr 1
		.amdhsa_next_free_sgpr 1
		.amdhsa_reserve_vcc 0
		.amdhsa_float_round_mode_32 0
		.amdhsa_float_round_mode_16_64 0
		.amdhsa_float_denorm_mode_32 3
		.amdhsa_float_denorm_mode_16_64 3
		.amdhsa_dx10_clamp 1
		.amdhsa_ieee_mode 1
		.amdhsa_fp16_overflow 0
		.amdhsa_workgroup_processor_mode 1
		.amdhsa_memory_ordered 1
		.amdhsa_forward_progress 0
		.amdhsa_shared_vgpr_count 0
		.amdhsa_exception_fp_ieee_invalid_op 0
		.amdhsa_exception_fp_denorm_src 0
		.amdhsa_exception_fp_ieee_div_zero 0
		.amdhsa_exception_fp_ieee_overflow 0
		.amdhsa_exception_fp_ieee_underflow 0
		.amdhsa_exception_fp_ieee_inexact 0
		.amdhsa_exception_int_div_zero 0
	.end_amdhsa_kernel
	.section	.text._ZN7rocprim17ROCPRIM_400000_NS6detail17trampoline_kernelINS0_13select_configILj256ELj13ELNS0_17block_load_methodE3ELS4_3ELS4_3ELNS0_20block_scan_algorithmE0ELj4294967295EEENS1_25partition_config_selectorILNS1_17partition_subalgoE3EjNS0_10empty_typeEbEEZZNS1_14partition_implILS8_3ELb0ES6_jNS0_17counting_iteratorIjlEEPS9_SE_NS0_5tupleIJPjSE_EEENSF_IJSE_SE_EEES9_SG_JZNS1_25segmented_radix_sort_implINS0_14default_configELb1EPKbPbPKlPlN2at6native12_GLOBAL__N_18offset_tEEE10hipError_tPvRmT1_PNSt15iterator_traitsISY_E10value_typeET2_T3_PNSZ_IS14_E10value_typeET4_jRbjT5_S1A_jjP12ihipStream_tbEUljE_EEESV_SW_SX_S14_S18_S1A_T6_T7_T9_mT8_S1C_bDpT10_ENKUlT_T0_E_clISt17integral_constantIbLb1EES1O_IbLb0EEEEDaS1K_S1L_EUlS1K_E_NS1_11comp_targetILNS1_3genE5ELNS1_11target_archE942ELNS1_3gpuE9ELNS1_3repE0EEENS1_30default_config_static_selectorELNS0_4arch9wavefront6targetE0EEEvSY_,"axG",@progbits,_ZN7rocprim17ROCPRIM_400000_NS6detail17trampoline_kernelINS0_13select_configILj256ELj13ELNS0_17block_load_methodE3ELS4_3ELS4_3ELNS0_20block_scan_algorithmE0ELj4294967295EEENS1_25partition_config_selectorILNS1_17partition_subalgoE3EjNS0_10empty_typeEbEEZZNS1_14partition_implILS8_3ELb0ES6_jNS0_17counting_iteratorIjlEEPS9_SE_NS0_5tupleIJPjSE_EEENSF_IJSE_SE_EEES9_SG_JZNS1_25segmented_radix_sort_implINS0_14default_configELb1EPKbPbPKlPlN2at6native12_GLOBAL__N_18offset_tEEE10hipError_tPvRmT1_PNSt15iterator_traitsISY_E10value_typeET2_T3_PNSZ_IS14_E10value_typeET4_jRbjT5_S1A_jjP12ihipStream_tbEUljE_EEESV_SW_SX_S14_S18_S1A_T6_T7_T9_mT8_S1C_bDpT10_ENKUlT_T0_E_clISt17integral_constantIbLb1EES1O_IbLb0EEEEDaS1K_S1L_EUlS1K_E_NS1_11comp_targetILNS1_3genE5ELNS1_11target_archE942ELNS1_3gpuE9ELNS1_3repE0EEENS1_30default_config_static_selectorELNS0_4arch9wavefront6targetE0EEEvSY_,comdat
.Lfunc_end1517:
	.size	_ZN7rocprim17ROCPRIM_400000_NS6detail17trampoline_kernelINS0_13select_configILj256ELj13ELNS0_17block_load_methodE3ELS4_3ELS4_3ELNS0_20block_scan_algorithmE0ELj4294967295EEENS1_25partition_config_selectorILNS1_17partition_subalgoE3EjNS0_10empty_typeEbEEZZNS1_14partition_implILS8_3ELb0ES6_jNS0_17counting_iteratorIjlEEPS9_SE_NS0_5tupleIJPjSE_EEENSF_IJSE_SE_EEES9_SG_JZNS1_25segmented_radix_sort_implINS0_14default_configELb1EPKbPbPKlPlN2at6native12_GLOBAL__N_18offset_tEEE10hipError_tPvRmT1_PNSt15iterator_traitsISY_E10value_typeET2_T3_PNSZ_IS14_E10value_typeET4_jRbjT5_S1A_jjP12ihipStream_tbEUljE_EEESV_SW_SX_S14_S18_S1A_T6_T7_T9_mT8_S1C_bDpT10_ENKUlT_T0_E_clISt17integral_constantIbLb1EES1O_IbLb0EEEEDaS1K_S1L_EUlS1K_E_NS1_11comp_targetILNS1_3genE5ELNS1_11target_archE942ELNS1_3gpuE9ELNS1_3repE0EEENS1_30default_config_static_selectorELNS0_4arch9wavefront6targetE0EEEvSY_, .Lfunc_end1517-_ZN7rocprim17ROCPRIM_400000_NS6detail17trampoline_kernelINS0_13select_configILj256ELj13ELNS0_17block_load_methodE3ELS4_3ELS4_3ELNS0_20block_scan_algorithmE0ELj4294967295EEENS1_25partition_config_selectorILNS1_17partition_subalgoE3EjNS0_10empty_typeEbEEZZNS1_14partition_implILS8_3ELb0ES6_jNS0_17counting_iteratorIjlEEPS9_SE_NS0_5tupleIJPjSE_EEENSF_IJSE_SE_EEES9_SG_JZNS1_25segmented_radix_sort_implINS0_14default_configELb1EPKbPbPKlPlN2at6native12_GLOBAL__N_18offset_tEEE10hipError_tPvRmT1_PNSt15iterator_traitsISY_E10value_typeET2_T3_PNSZ_IS14_E10value_typeET4_jRbjT5_S1A_jjP12ihipStream_tbEUljE_EEESV_SW_SX_S14_S18_S1A_T6_T7_T9_mT8_S1C_bDpT10_ENKUlT_T0_E_clISt17integral_constantIbLb1EES1O_IbLb0EEEEDaS1K_S1L_EUlS1K_E_NS1_11comp_targetILNS1_3genE5ELNS1_11target_archE942ELNS1_3gpuE9ELNS1_3repE0EEENS1_30default_config_static_selectorELNS0_4arch9wavefront6targetE0EEEvSY_
                                        ; -- End function
	.section	.AMDGPU.csdata,"",@progbits
; Kernel info:
; codeLenInByte = 0
; NumSgprs: 0
; NumVgprs: 0
; ScratchSize: 0
; MemoryBound: 0
; FloatMode: 240
; IeeeMode: 1
; LDSByteSize: 0 bytes/workgroup (compile time only)
; SGPRBlocks: 0
; VGPRBlocks: 0
; NumSGPRsForWavesPerEU: 1
; NumVGPRsForWavesPerEU: 1
; Occupancy: 16
; WaveLimiterHint : 0
; COMPUTE_PGM_RSRC2:SCRATCH_EN: 0
; COMPUTE_PGM_RSRC2:USER_SGPR: 15
; COMPUTE_PGM_RSRC2:TRAP_HANDLER: 0
; COMPUTE_PGM_RSRC2:TGID_X_EN: 1
; COMPUTE_PGM_RSRC2:TGID_Y_EN: 0
; COMPUTE_PGM_RSRC2:TGID_Z_EN: 0
; COMPUTE_PGM_RSRC2:TIDIG_COMP_CNT: 0
	.section	.text._ZN7rocprim17ROCPRIM_400000_NS6detail17trampoline_kernelINS0_13select_configILj256ELj13ELNS0_17block_load_methodE3ELS4_3ELS4_3ELNS0_20block_scan_algorithmE0ELj4294967295EEENS1_25partition_config_selectorILNS1_17partition_subalgoE3EjNS0_10empty_typeEbEEZZNS1_14partition_implILS8_3ELb0ES6_jNS0_17counting_iteratorIjlEEPS9_SE_NS0_5tupleIJPjSE_EEENSF_IJSE_SE_EEES9_SG_JZNS1_25segmented_radix_sort_implINS0_14default_configELb1EPKbPbPKlPlN2at6native12_GLOBAL__N_18offset_tEEE10hipError_tPvRmT1_PNSt15iterator_traitsISY_E10value_typeET2_T3_PNSZ_IS14_E10value_typeET4_jRbjT5_S1A_jjP12ihipStream_tbEUljE_EEESV_SW_SX_S14_S18_S1A_T6_T7_T9_mT8_S1C_bDpT10_ENKUlT_T0_E_clISt17integral_constantIbLb1EES1O_IbLb0EEEEDaS1K_S1L_EUlS1K_E_NS1_11comp_targetILNS1_3genE4ELNS1_11target_archE910ELNS1_3gpuE8ELNS1_3repE0EEENS1_30default_config_static_selectorELNS0_4arch9wavefront6targetE0EEEvSY_,"axG",@progbits,_ZN7rocprim17ROCPRIM_400000_NS6detail17trampoline_kernelINS0_13select_configILj256ELj13ELNS0_17block_load_methodE3ELS4_3ELS4_3ELNS0_20block_scan_algorithmE0ELj4294967295EEENS1_25partition_config_selectorILNS1_17partition_subalgoE3EjNS0_10empty_typeEbEEZZNS1_14partition_implILS8_3ELb0ES6_jNS0_17counting_iteratorIjlEEPS9_SE_NS0_5tupleIJPjSE_EEENSF_IJSE_SE_EEES9_SG_JZNS1_25segmented_radix_sort_implINS0_14default_configELb1EPKbPbPKlPlN2at6native12_GLOBAL__N_18offset_tEEE10hipError_tPvRmT1_PNSt15iterator_traitsISY_E10value_typeET2_T3_PNSZ_IS14_E10value_typeET4_jRbjT5_S1A_jjP12ihipStream_tbEUljE_EEESV_SW_SX_S14_S18_S1A_T6_T7_T9_mT8_S1C_bDpT10_ENKUlT_T0_E_clISt17integral_constantIbLb1EES1O_IbLb0EEEEDaS1K_S1L_EUlS1K_E_NS1_11comp_targetILNS1_3genE4ELNS1_11target_archE910ELNS1_3gpuE8ELNS1_3repE0EEENS1_30default_config_static_selectorELNS0_4arch9wavefront6targetE0EEEvSY_,comdat
	.globl	_ZN7rocprim17ROCPRIM_400000_NS6detail17trampoline_kernelINS0_13select_configILj256ELj13ELNS0_17block_load_methodE3ELS4_3ELS4_3ELNS0_20block_scan_algorithmE0ELj4294967295EEENS1_25partition_config_selectorILNS1_17partition_subalgoE3EjNS0_10empty_typeEbEEZZNS1_14partition_implILS8_3ELb0ES6_jNS0_17counting_iteratorIjlEEPS9_SE_NS0_5tupleIJPjSE_EEENSF_IJSE_SE_EEES9_SG_JZNS1_25segmented_radix_sort_implINS0_14default_configELb1EPKbPbPKlPlN2at6native12_GLOBAL__N_18offset_tEEE10hipError_tPvRmT1_PNSt15iterator_traitsISY_E10value_typeET2_T3_PNSZ_IS14_E10value_typeET4_jRbjT5_S1A_jjP12ihipStream_tbEUljE_EEESV_SW_SX_S14_S18_S1A_T6_T7_T9_mT8_S1C_bDpT10_ENKUlT_T0_E_clISt17integral_constantIbLb1EES1O_IbLb0EEEEDaS1K_S1L_EUlS1K_E_NS1_11comp_targetILNS1_3genE4ELNS1_11target_archE910ELNS1_3gpuE8ELNS1_3repE0EEENS1_30default_config_static_selectorELNS0_4arch9wavefront6targetE0EEEvSY_ ; -- Begin function _ZN7rocprim17ROCPRIM_400000_NS6detail17trampoline_kernelINS0_13select_configILj256ELj13ELNS0_17block_load_methodE3ELS4_3ELS4_3ELNS0_20block_scan_algorithmE0ELj4294967295EEENS1_25partition_config_selectorILNS1_17partition_subalgoE3EjNS0_10empty_typeEbEEZZNS1_14partition_implILS8_3ELb0ES6_jNS0_17counting_iteratorIjlEEPS9_SE_NS0_5tupleIJPjSE_EEENSF_IJSE_SE_EEES9_SG_JZNS1_25segmented_radix_sort_implINS0_14default_configELb1EPKbPbPKlPlN2at6native12_GLOBAL__N_18offset_tEEE10hipError_tPvRmT1_PNSt15iterator_traitsISY_E10value_typeET2_T3_PNSZ_IS14_E10value_typeET4_jRbjT5_S1A_jjP12ihipStream_tbEUljE_EEESV_SW_SX_S14_S18_S1A_T6_T7_T9_mT8_S1C_bDpT10_ENKUlT_T0_E_clISt17integral_constantIbLb1EES1O_IbLb0EEEEDaS1K_S1L_EUlS1K_E_NS1_11comp_targetILNS1_3genE4ELNS1_11target_archE910ELNS1_3gpuE8ELNS1_3repE0EEENS1_30default_config_static_selectorELNS0_4arch9wavefront6targetE0EEEvSY_
	.p2align	8
	.type	_ZN7rocprim17ROCPRIM_400000_NS6detail17trampoline_kernelINS0_13select_configILj256ELj13ELNS0_17block_load_methodE3ELS4_3ELS4_3ELNS0_20block_scan_algorithmE0ELj4294967295EEENS1_25partition_config_selectorILNS1_17partition_subalgoE3EjNS0_10empty_typeEbEEZZNS1_14partition_implILS8_3ELb0ES6_jNS0_17counting_iteratorIjlEEPS9_SE_NS0_5tupleIJPjSE_EEENSF_IJSE_SE_EEES9_SG_JZNS1_25segmented_radix_sort_implINS0_14default_configELb1EPKbPbPKlPlN2at6native12_GLOBAL__N_18offset_tEEE10hipError_tPvRmT1_PNSt15iterator_traitsISY_E10value_typeET2_T3_PNSZ_IS14_E10value_typeET4_jRbjT5_S1A_jjP12ihipStream_tbEUljE_EEESV_SW_SX_S14_S18_S1A_T6_T7_T9_mT8_S1C_bDpT10_ENKUlT_T0_E_clISt17integral_constantIbLb1EES1O_IbLb0EEEEDaS1K_S1L_EUlS1K_E_NS1_11comp_targetILNS1_3genE4ELNS1_11target_archE910ELNS1_3gpuE8ELNS1_3repE0EEENS1_30default_config_static_selectorELNS0_4arch9wavefront6targetE0EEEvSY_,@function
_ZN7rocprim17ROCPRIM_400000_NS6detail17trampoline_kernelINS0_13select_configILj256ELj13ELNS0_17block_load_methodE3ELS4_3ELS4_3ELNS0_20block_scan_algorithmE0ELj4294967295EEENS1_25partition_config_selectorILNS1_17partition_subalgoE3EjNS0_10empty_typeEbEEZZNS1_14partition_implILS8_3ELb0ES6_jNS0_17counting_iteratorIjlEEPS9_SE_NS0_5tupleIJPjSE_EEENSF_IJSE_SE_EEES9_SG_JZNS1_25segmented_radix_sort_implINS0_14default_configELb1EPKbPbPKlPlN2at6native12_GLOBAL__N_18offset_tEEE10hipError_tPvRmT1_PNSt15iterator_traitsISY_E10value_typeET2_T3_PNSZ_IS14_E10value_typeET4_jRbjT5_S1A_jjP12ihipStream_tbEUljE_EEESV_SW_SX_S14_S18_S1A_T6_T7_T9_mT8_S1C_bDpT10_ENKUlT_T0_E_clISt17integral_constantIbLb1EES1O_IbLb0EEEEDaS1K_S1L_EUlS1K_E_NS1_11comp_targetILNS1_3genE4ELNS1_11target_archE910ELNS1_3gpuE8ELNS1_3repE0EEENS1_30default_config_static_selectorELNS0_4arch9wavefront6targetE0EEEvSY_: ; @_ZN7rocprim17ROCPRIM_400000_NS6detail17trampoline_kernelINS0_13select_configILj256ELj13ELNS0_17block_load_methodE3ELS4_3ELS4_3ELNS0_20block_scan_algorithmE0ELj4294967295EEENS1_25partition_config_selectorILNS1_17partition_subalgoE3EjNS0_10empty_typeEbEEZZNS1_14partition_implILS8_3ELb0ES6_jNS0_17counting_iteratorIjlEEPS9_SE_NS0_5tupleIJPjSE_EEENSF_IJSE_SE_EEES9_SG_JZNS1_25segmented_radix_sort_implINS0_14default_configELb1EPKbPbPKlPlN2at6native12_GLOBAL__N_18offset_tEEE10hipError_tPvRmT1_PNSt15iterator_traitsISY_E10value_typeET2_T3_PNSZ_IS14_E10value_typeET4_jRbjT5_S1A_jjP12ihipStream_tbEUljE_EEESV_SW_SX_S14_S18_S1A_T6_T7_T9_mT8_S1C_bDpT10_ENKUlT_T0_E_clISt17integral_constantIbLb1EES1O_IbLb0EEEEDaS1K_S1L_EUlS1K_E_NS1_11comp_targetILNS1_3genE4ELNS1_11target_archE910ELNS1_3gpuE8ELNS1_3repE0EEENS1_30default_config_static_selectorELNS0_4arch9wavefront6targetE0EEEvSY_
; %bb.0:
	.section	.rodata,"a",@progbits
	.p2align	6, 0x0
	.amdhsa_kernel _ZN7rocprim17ROCPRIM_400000_NS6detail17trampoline_kernelINS0_13select_configILj256ELj13ELNS0_17block_load_methodE3ELS4_3ELS4_3ELNS0_20block_scan_algorithmE0ELj4294967295EEENS1_25partition_config_selectorILNS1_17partition_subalgoE3EjNS0_10empty_typeEbEEZZNS1_14partition_implILS8_3ELb0ES6_jNS0_17counting_iteratorIjlEEPS9_SE_NS0_5tupleIJPjSE_EEENSF_IJSE_SE_EEES9_SG_JZNS1_25segmented_radix_sort_implINS0_14default_configELb1EPKbPbPKlPlN2at6native12_GLOBAL__N_18offset_tEEE10hipError_tPvRmT1_PNSt15iterator_traitsISY_E10value_typeET2_T3_PNSZ_IS14_E10value_typeET4_jRbjT5_S1A_jjP12ihipStream_tbEUljE_EEESV_SW_SX_S14_S18_S1A_T6_T7_T9_mT8_S1C_bDpT10_ENKUlT_T0_E_clISt17integral_constantIbLb1EES1O_IbLb0EEEEDaS1K_S1L_EUlS1K_E_NS1_11comp_targetILNS1_3genE4ELNS1_11target_archE910ELNS1_3gpuE8ELNS1_3repE0EEENS1_30default_config_static_selectorELNS0_4arch9wavefront6targetE0EEEvSY_
		.amdhsa_group_segment_fixed_size 0
		.amdhsa_private_segment_fixed_size 0
		.amdhsa_kernarg_size 144
		.amdhsa_user_sgpr_count 15
		.amdhsa_user_sgpr_dispatch_ptr 0
		.amdhsa_user_sgpr_queue_ptr 0
		.amdhsa_user_sgpr_kernarg_segment_ptr 1
		.amdhsa_user_sgpr_dispatch_id 0
		.amdhsa_user_sgpr_private_segment_size 0
		.amdhsa_wavefront_size32 1
		.amdhsa_uses_dynamic_stack 0
		.amdhsa_enable_private_segment 0
		.amdhsa_system_sgpr_workgroup_id_x 1
		.amdhsa_system_sgpr_workgroup_id_y 0
		.amdhsa_system_sgpr_workgroup_id_z 0
		.amdhsa_system_sgpr_workgroup_info 0
		.amdhsa_system_vgpr_workitem_id 0
		.amdhsa_next_free_vgpr 1
		.amdhsa_next_free_sgpr 1
		.amdhsa_reserve_vcc 0
		.amdhsa_float_round_mode_32 0
		.amdhsa_float_round_mode_16_64 0
		.amdhsa_float_denorm_mode_32 3
		.amdhsa_float_denorm_mode_16_64 3
		.amdhsa_dx10_clamp 1
		.amdhsa_ieee_mode 1
		.amdhsa_fp16_overflow 0
		.amdhsa_workgroup_processor_mode 1
		.amdhsa_memory_ordered 1
		.amdhsa_forward_progress 0
		.amdhsa_shared_vgpr_count 0
		.amdhsa_exception_fp_ieee_invalid_op 0
		.amdhsa_exception_fp_denorm_src 0
		.amdhsa_exception_fp_ieee_div_zero 0
		.amdhsa_exception_fp_ieee_overflow 0
		.amdhsa_exception_fp_ieee_underflow 0
		.amdhsa_exception_fp_ieee_inexact 0
		.amdhsa_exception_int_div_zero 0
	.end_amdhsa_kernel
	.section	.text._ZN7rocprim17ROCPRIM_400000_NS6detail17trampoline_kernelINS0_13select_configILj256ELj13ELNS0_17block_load_methodE3ELS4_3ELS4_3ELNS0_20block_scan_algorithmE0ELj4294967295EEENS1_25partition_config_selectorILNS1_17partition_subalgoE3EjNS0_10empty_typeEbEEZZNS1_14partition_implILS8_3ELb0ES6_jNS0_17counting_iteratorIjlEEPS9_SE_NS0_5tupleIJPjSE_EEENSF_IJSE_SE_EEES9_SG_JZNS1_25segmented_radix_sort_implINS0_14default_configELb1EPKbPbPKlPlN2at6native12_GLOBAL__N_18offset_tEEE10hipError_tPvRmT1_PNSt15iterator_traitsISY_E10value_typeET2_T3_PNSZ_IS14_E10value_typeET4_jRbjT5_S1A_jjP12ihipStream_tbEUljE_EEESV_SW_SX_S14_S18_S1A_T6_T7_T9_mT8_S1C_bDpT10_ENKUlT_T0_E_clISt17integral_constantIbLb1EES1O_IbLb0EEEEDaS1K_S1L_EUlS1K_E_NS1_11comp_targetILNS1_3genE4ELNS1_11target_archE910ELNS1_3gpuE8ELNS1_3repE0EEENS1_30default_config_static_selectorELNS0_4arch9wavefront6targetE0EEEvSY_,"axG",@progbits,_ZN7rocprim17ROCPRIM_400000_NS6detail17trampoline_kernelINS0_13select_configILj256ELj13ELNS0_17block_load_methodE3ELS4_3ELS4_3ELNS0_20block_scan_algorithmE0ELj4294967295EEENS1_25partition_config_selectorILNS1_17partition_subalgoE3EjNS0_10empty_typeEbEEZZNS1_14partition_implILS8_3ELb0ES6_jNS0_17counting_iteratorIjlEEPS9_SE_NS0_5tupleIJPjSE_EEENSF_IJSE_SE_EEES9_SG_JZNS1_25segmented_radix_sort_implINS0_14default_configELb1EPKbPbPKlPlN2at6native12_GLOBAL__N_18offset_tEEE10hipError_tPvRmT1_PNSt15iterator_traitsISY_E10value_typeET2_T3_PNSZ_IS14_E10value_typeET4_jRbjT5_S1A_jjP12ihipStream_tbEUljE_EEESV_SW_SX_S14_S18_S1A_T6_T7_T9_mT8_S1C_bDpT10_ENKUlT_T0_E_clISt17integral_constantIbLb1EES1O_IbLb0EEEEDaS1K_S1L_EUlS1K_E_NS1_11comp_targetILNS1_3genE4ELNS1_11target_archE910ELNS1_3gpuE8ELNS1_3repE0EEENS1_30default_config_static_selectorELNS0_4arch9wavefront6targetE0EEEvSY_,comdat
.Lfunc_end1518:
	.size	_ZN7rocprim17ROCPRIM_400000_NS6detail17trampoline_kernelINS0_13select_configILj256ELj13ELNS0_17block_load_methodE3ELS4_3ELS4_3ELNS0_20block_scan_algorithmE0ELj4294967295EEENS1_25partition_config_selectorILNS1_17partition_subalgoE3EjNS0_10empty_typeEbEEZZNS1_14partition_implILS8_3ELb0ES6_jNS0_17counting_iteratorIjlEEPS9_SE_NS0_5tupleIJPjSE_EEENSF_IJSE_SE_EEES9_SG_JZNS1_25segmented_radix_sort_implINS0_14default_configELb1EPKbPbPKlPlN2at6native12_GLOBAL__N_18offset_tEEE10hipError_tPvRmT1_PNSt15iterator_traitsISY_E10value_typeET2_T3_PNSZ_IS14_E10value_typeET4_jRbjT5_S1A_jjP12ihipStream_tbEUljE_EEESV_SW_SX_S14_S18_S1A_T6_T7_T9_mT8_S1C_bDpT10_ENKUlT_T0_E_clISt17integral_constantIbLb1EES1O_IbLb0EEEEDaS1K_S1L_EUlS1K_E_NS1_11comp_targetILNS1_3genE4ELNS1_11target_archE910ELNS1_3gpuE8ELNS1_3repE0EEENS1_30default_config_static_selectorELNS0_4arch9wavefront6targetE0EEEvSY_, .Lfunc_end1518-_ZN7rocprim17ROCPRIM_400000_NS6detail17trampoline_kernelINS0_13select_configILj256ELj13ELNS0_17block_load_methodE3ELS4_3ELS4_3ELNS0_20block_scan_algorithmE0ELj4294967295EEENS1_25partition_config_selectorILNS1_17partition_subalgoE3EjNS0_10empty_typeEbEEZZNS1_14partition_implILS8_3ELb0ES6_jNS0_17counting_iteratorIjlEEPS9_SE_NS0_5tupleIJPjSE_EEENSF_IJSE_SE_EEES9_SG_JZNS1_25segmented_radix_sort_implINS0_14default_configELb1EPKbPbPKlPlN2at6native12_GLOBAL__N_18offset_tEEE10hipError_tPvRmT1_PNSt15iterator_traitsISY_E10value_typeET2_T3_PNSZ_IS14_E10value_typeET4_jRbjT5_S1A_jjP12ihipStream_tbEUljE_EEESV_SW_SX_S14_S18_S1A_T6_T7_T9_mT8_S1C_bDpT10_ENKUlT_T0_E_clISt17integral_constantIbLb1EES1O_IbLb0EEEEDaS1K_S1L_EUlS1K_E_NS1_11comp_targetILNS1_3genE4ELNS1_11target_archE910ELNS1_3gpuE8ELNS1_3repE0EEENS1_30default_config_static_selectorELNS0_4arch9wavefront6targetE0EEEvSY_
                                        ; -- End function
	.section	.AMDGPU.csdata,"",@progbits
; Kernel info:
; codeLenInByte = 0
; NumSgprs: 0
; NumVgprs: 0
; ScratchSize: 0
; MemoryBound: 0
; FloatMode: 240
; IeeeMode: 1
; LDSByteSize: 0 bytes/workgroup (compile time only)
; SGPRBlocks: 0
; VGPRBlocks: 0
; NumSGPRsForWavesPerEU: 1
; NumVGPRsForWavesPerEU: 1
; Occupancy: 16
; WaveLimiterHint : 0
; COMPUTE_PGM_RSRC2:SCRATCH_EN: 0
; COMPUTE_PGM_RSRC2:USER_SGPR: 15
; COMPUTE_PGM_RSRC2:TRAP_HANDLER: 0
; COMPUTE_PGM_RSRC2:TGID_X_EN: 1
; COMPUTE_PGM_RSRC2:TGID_Y_EN: 0
; COMPUTE_PGM_RSRC2:TGID_Z_EN: 0
; COMPUTE_PGM_RSRC2:TIDIG_COMP_CNT: 0
	.section	.text._ZN7rocprim17ROCPRIM_400000_NS6detail17trampoline_kernelINS0_13select_configILj256ELj13ELNS0_17block_load_methodE3ELS4_3ELS4_3ELNS0_20block_scan_algorithmE0ELj4294967295EEENS1_25partition_config_selectorILNS1_17partition_subalgoE3EjNS0_10empty_typeEbEEZZNS1_14partition_implILS8_3ELb0ES6_jNS0_17counting_iteratorIjlEEPS9_SE_NS0_5tupleIJPjSE_EEENSF_IJSE_SE_EEES9_SG_JZNS1_25segmented_radix_sort_implINS0_14default_configELb1EPKbPbPKlPlN2at6native12_GLOBAL__N_18offset_tEEE10hipError_tPvRmT1_PNSt15iterator_traitsISY_E10value_typeET2_T3_PNSZ_IS14_E10value_typeET4_jRbjT5_S1A_jjP12ihipStream_tbEUljE_EEESV_SW_SX_S14_S18_S1A_T6_T7_T9_mT8_S1C_bDpT10_ENKUlT_T0_E_clISt17integral_constantIbLb1EES1O_IbLb0EEEEDaS1K_S1L_EUlS1K_E_NS1_11comp_targetILNS1_3genE3ELNS1_11target_archE908ELNS1_3gpuE7ELNS1_3repE0EEENS1_30default_config_static_selectorELNS0_4arch9wavefront6targetE0EEEvSY_,"axG",@progbits,_ZN7rocprim17ROCPRIM_400000_NS6detail17trampoline_kernelINS0_13select_configILj256ELj13ELNS0_17block_load_methodE3ELS4_3ELS4_3ELNS0_20block_scan_algorithmE0ELj4294967295EEENS1_25partition_config_selectorILNS1_17partition_subalgoE3EjNS0_10empty_typeEbEEZZNS1_14partition_implILS8_3ELb0ES6_jNS0_17counting_iteratorIjlEEPS9_SE_NS0_5tupleIJPjSE_EEENSF_IJSE_SE_EEES9_SG_JZNS1_25segmented_radix_sort_implINS0_14default_configELb1EPKbPbPKlPlN2at6native12_GLOBAL__N_18offset_tEEE10hipError_tPvRmT1_PNSt15iterator_traitsISY_E10value_typeET2_T3_PNSZ_IS14_E10value_typeET4_jRbjT5_S1A_jjP12ihipStream_tbEUljE_EEESV_SW_SX_S14_S18_S1A_T6_T7_T9_mT8_S1C_bDpT10_ENKUlT_T0_E_clISt17integral_constantIbLb1EES1O_IbLb0EEEEDaS1K_S1L_EUlS1K_E_NS1_11comp_targetILNS1_3genE3ELNS1_11target_archE908ELNS1_3gpuE7ELNS1_3repE0EEENS1_30default_config_static_selectorELNS0_4arch9wavefront6targetE0EEEvSY_,comdat
	.globl	_ZN7rocprim17ROCPRIM_400000_NS6detail17trampoline_kernelINS0_13select_configILj256ELj13ELNS0_17block_load_methodE3ELS4_3ELS4_3ELNS0_20block_scan_algorithmE0ELj4294967295EEENS1_25partition_config_selectorILNS1_17partition_subalgoE3EjNS0_10empty_typeEbEEZZNS1_14partition_implILS8_3ELb0ES6_jNS0_17counting_iteratorIjlEEPS9_SE_NS0_5tupleIJPjSE_EEENSF_IJSE_SE_EEES9_SG_JZNS1_25segmented_radix_sort_implINS0_14default_configELb1EPKbPbPKlPlN2at6native12_GLOBAL__N_18offset_tEEE10hipError_tPvRmT1_PNSt15iterator_traitsISY_E10value_typeET2_T3_PNSZ_IS14_E10value_typeET4_jRbjT5_S1A_jjP12ihipStream_tbEUljE_EEESV_SW_SX_S14_S18_S1A_T6_T7_T9_mT8_S1C_bDpT10_ENKUlT_T0_E_clISt17integral_constantIbLb1EES1O_IbLb0EEEEDaS1K_S1L_EUlS1K_E_NS1_11comp_targetILNS1_3genE3ELNS1_11target_archE908ELNS1_3gpuE7ELNS1_3repE0EEENS1_30default_config_static_selectorELNS0_4arch9wavefront6targetE0EEEvSY_ ; -- Begin function _ZN7rocprim17ROCPRIM_400000_NS6detail17trampoline_kernelINS0_13select_configILj256ELj13ELNS0_17block_load_methodE3ELS4_3ELS4_3ELNS0_20block_scan_algorithmE0ELj4294967295EEENS1_25partition_config_selectorILNS1_17partition_subalgoE3EjNS0_10empty_typeEbEEZZNS1_14partition_implILS8_3ELb0ES6_jNS0_17counting_iteratorIjlEEPS9_SE_NS0_5tupleIJPjSE_EEENSF_IJSE_SE_EEES9_SG_JZNS1_25segmented_radix_sort_implINS0_14default_configELb1EPKbPbPKlPlN2at6native12_GLOBAL__N_18offset_tEEE10hipError_tPvRmT1_PNSt15iterator_traitsISY_E10value_typeET2_T3_PNSZ_IS14_E10value_typeET4_jRbjT5_S1A_jjP12ihipStream_tbEUljE_EEESV_SW_SX_S14_S18_S1A_T6_T7_T9_mT8_S1C_bDpT10_ENKUlT_T0_E_clISt17integral_constantIbLb1EES1O_IbLb0EEEEDaS1K_S1L_EUlS1K_E_NS1_11comp_targetILNS1_3genE3ELNS1_11target_archE908ELNS1_3gpuE7ELNS1_3repE0EEENS1_30default_config_static_selectorELNS0_4arch9wavefront6targetE0EEEvSY_
	.p2align	8
	.type	_ZN7rocprim17ROCPRIM_400000_NS6detail17trampoline_kernelINS0_13select_configILj256ELj13ELNS0_17block_load_methodE3ELS4_3ELS4_3ELNS0_20block_scan_algorithmE0ELj4294967295EEENS1_25partition_config_selectorILNS1_17partition_subalgoE3EjNS0_10empty_typeEbEEZZNS1_14partition_implILS8_3ELb0ES6_jNS0_17counting_iteratorIjlEEPS9_SE_NS0_5tupleIJPjSE_EEENSF_IJSE_SE_EEES9_SG_JZNS1_25segmented_radix_sort_implINS0_14default_configELb1EPKbPbPKlPlN2at6native12_GLOBAL__N_18offset_tEEE10hipError_tPvRmT1_PNSt15iterator_traitsISY_E10value_typeET2_T3_PNSZ_IS14_E10value_typeET4_jRbjT5_S1A_jjP12ihipStream_tbEUljE_EEESV_SW_SX_S14_S18_S1A_T6_T7_T9_mT8_S1C_bDpT10_ENKUlT_T0_E_clISt17integral_constantIbLb1EES1O_IbLb0EEEEDaS1K_S1L_EUlS1K_E_NS1_11comp_targetILNS1_3genE3ELNS1_11target_archE908ELNS1_3gpuE7ELNS1_3repE0EEENS1_30default_config_static_selectorELNS0_4arch9wavefront6targetE0EEEvSY_,@function
_ZN7rocprim17ROCPRIM_400000_NS6detail17trampoline_kernelINS0_13select_configILj256ELj13ELNS0_17block_load_methodE3ELS4_3ELS4_3ELNS0_20block_scan_algorithmE0ELj4294967295EEENS1_25partition_config_selectorILNS1_17partition_subalgoE3EjNS0_10empty_typeEbEEZZNS1_14partition_implILS8_3ELb0ES6_jNS0_17counting_iteratorIjlEEPS9_SE_NS0_5tupleIJPjSE_EEENSF_IJSE_SE_EEES9_SG_JZNS1_25segmented_radix_sort_implINS0_14default_configELb1EPKbPbPKlPlN2at6native12_GLOBAL__N_18offset_tEEE10hipError_tPvRmT1_PNSt15iterator_traitsISY_E10value_typeET2_T3_PNSZ_IS14_E10value_typeET4_jRbjT5_S1A_jjP12ihipStream_tbEUljE_EEESV_SW_SX_S14_S18_S1A_T6_T7_T9_mT8_S1C_bDpT10_ENKUlT_T0_E_clISt17integral_constantIbLb1EES1O_IbLb0EEEEDaS1K_S1L_EUlS1K_E_NS1_11comp_targetILNS1_3genE3ELNS1_11target_archE908ELNS1_3gpuE7ELNS1_3repE0EEENS1_30default_config_static_selectorELNS0_4arch9wavefront6targetE0EEEvSY_: ; @_ZN7rocprim17ROCPRIM_400000_NS6detail17trampoline_kernelINS0_13select_configILj256ELj13ELNS0_17block_load_methodE3ELS4_3ELS4_3ELNS0_20block_scan_algorithmE0ELj4294967295EEENS1_25partition_config_selectorILNS1_17partition_subalgoE3EjNS0_10empty_typeEbEEZZNS1_14partition_implILS8_3ELb0ES6_jNS0_17counting_iteratorIjlEEPS9_SE_NS0_5tupleIJPjSE_EEENSF_IJSE_SE_EEES9_SG_JZNS1_25segmented_radix_sort_implINS0_14default_configELb1EPKbPbPKlPlN2at6native12_GLOBAL__N_18offset_tEEE10hipError_tPvRmT1_PNSt15iterator_traitsISY_E10value_typeET2_T3_PNSZ_IS14_E10value_typeET4_jRbjT5_S1A_jjP12ihipStream_tbEUljE_EEESV_SW_SX_S14_S18_S1A_T6_T7_T9_mT8_S1C_bDpT10_ENKUlT_T0_E_clISt17integral_constantIbLb1EES1O_IbLb0EEEEDaS1K_S1L_EUlS1K_E_NS1_11comp_targetILNS1_3genE3ELNS1_11target_archE908ELNS1_3gpuE7ELNS1_3repE0EEENS1_30default_config_static_selectorELNS0_4arch9wavefront6targetE0EEEvSY_
; %bb.0:
	.section	.rodata,"a",@progbits
	.p2align	6, 0x0
	.amdhsa_kernel _ZN7rocprim17ROCPRIM_400000_NS6detail17trampoline_kernelINS0_13select_configILj256ELj13ELNS0_17block_load_methodE3ELS4_3ELS4_3ELNS0_20block_scan_algorithmE0ELj4294967295EEENS1_25partition_config_selectorILNS1_17partition_subalgoE3EjNS0_10empty_typeEbEEZZNS1_14partition_implILS8_3ELb0ES6_jNS0_17counting_iteratorIjlEEPS9_SE_NS0_5tupleIJPjSE_EEENSF_IJSE_SE_EEES9_SG_JZNS1_25segmented_radix_sort_implINS0_14default_configELb1EPKbPbPKlPlN2at6native12_GLOBAL__N_18offset_tEEE10hipError_tPvRmT1_PNSt15iterator_traitsISY_E10value_typeET2_T3_PNSZ_IS14_E10value_typeET4_jRbjT5_S1A_jjP12ihipStream_tbEUljE_EEESV_SW_SX_S14_S18_S1A_T6_T7_T9_mT8_S1C_bDpT10_ENKUlT_T0_E_clISt17integral_constantIbLb1EES1O_IbLb0EEEEDaS1K_S1L_EUlS1K_E_NS1_11comp_targetILNS1_3genE3ELNS1_11target_archE908ELNS1_3gpuE7ELNS1_3repE0EEENS1_30default_config_static_selectorELNS0_4arch9wavefront6targetE0EEEvSY_
		.amdhsa_group_segment_fixed_size 0
		.amdhsa_private_segment_fixed_size 0
		.amdhsa_kernarg_size 144
		.amdhsa_user_sgpr_count 15
		.amdhsa_user_sgpr_dispatch_ptr 0
		.amdhsa_user_sgpr_queue_ptr 0
		.amdhsa_user_sgpr_kernarg_segment_ptr 1
		.amdhsa_user_sgpr_dispatch_id 0
		.amdhsa_user_sgpr_private_segment_size 0
		.amdhsa_wavefront_size32 1
		.amdhsa_uses_dynamic_stack 0
		.amdhsa_enable_private_segment 0
		.amdhsa_system_sgpr_workgroup_id_x 1
		.amdhsa_system_sgpr_workgroup_id_y 0
		.amdhsa_system_sgpr_workgroup_id_z 0
		.amdhsa_system_sgpr_workgroup_info 0
		.amdhsa_system_vgpr_workitem_id 0
		.amdhsa_next_free_vgpr 1
		.amdhsa_next_free_sgpr 1
		.amdhsa_reserve_vcc 0
		.amdhsa_float_round_mode_32 0
		.amdhsa_float_round_mode_16_64 0
		.amdhsa_float_denorm_mode_32 3
		.amdhsa_float_denorm_mode_16_64 3
		.amdhsa_dx10_clamp 1
		.amdhsa_ieee_mode 1
		.amdhsa_fp16_overflow 0
		.amdhsa_workgroup_processor_mode 1
		.amdhsa_memory_ordered 1
		.amdhsa_forward_progress 0
		.amdhsa_shared_vgpr_count 0
		.amdhsa_exception_fp_ieee_invalid_op 0
		.amdhsa_exception_fp_denorm_src 0
		.amdhsa_exception_fp_ieee_div_zero 0
		.amdhsa_exception_fp_ieee_overflow 0
		.amdhsa_exception_fp_ieee_underflow 0
		.amdhsa_exception_fp_ieee_inexact 0
		.amdhsa_exception_int_div_zero 0
	.end_amdhsa_kernel
	.section	.text._ZN7rocprim17ROCPRIM_400000_NS6detail17trampoline_kernelINS0_13select_configILj256ELj13ELNS0_17block_load_methodE3ELS4_3ELS4_3ELNS0_20block_scan_algorithmE0ELj4294967295EEENS1_25partition_config_selectorILNS1_17partition_subalgoE3EjNS0_10empty_typeEbEEZZNS1_14partition_implILS8_3ELb0ES6_jNS0_17counting_iteratorIjlEEPS9_SE_NS0_5tupleIJPjSE_EEENSF_IJSE_SE_EEES9_SG_JZNS1_25segmented_radix_sort_implINS0_14default_configELb1EPKbPbPKlPlN2at6native12_GLOBAL__N_18offset_tEEE10hipError_tPvRmT1_PNSt15iterator_traitsISY_E10value_typeET2_T3_PNSZ_IS14_E10value_typeET4_jRbjT5_S1A_jjP12ihipStream_tbEUljE_EEESV_SW_SX_S14_S18_S1A_T6_T7_T9_mT8_S1C_bDpT10_ENKUlT_T0_E_clISt17integral_constantIbLb1EES1O_IbLb0EEEEDaS1K_S1L_EUlS1K_E_NS1_11comp_targetILNS1_3genE3ELNS1_11target_archE908ELNS1_3gpuE7ELNS1_3repE0EEENS1_30default_config_static_selectorELNS0_4arch9wavefront6targetE0EEEvSY_,"axG",@progbits,_ZN7rocprim17ROCPRIM_400000_NS6detail17trampoline_kernelINS0_13select_configILj256ELj13ELNS0_17block_load_methodE3ELS4_3ELS4_3ELNS0_20block_scan_algorithmE0ELj4294967295EEENS1_25partition_config_selectorILNS1_17partition_subalgoE3EjNS0_10empty_typeEbEEZZNS1_14partition_implILS8_3ELb0ES6_jNS0_17counting_iteratorIjlEEPS9_SE_NS0_5tupleIJPjSE_EEENSF_IJSE_SE_EEES9_SG_JZNS1_25segmented_radix_sort_implINS0_14default_configELb1EPKbPbPKlPlN2at6native12_GLOBAL__N_18offset_tEEE10hipError_tPvRmT1_PNSt15iterator_traitsISY_E10value_typeET2_T3_PNSZ_IS14_E10value_typeET4_jRbjT5_S1A_jjP12ihipStream_tbEUljE_EEESV_SW_SX_S14_S18_S1A_T6_T7_T9_mT8_S1C_bDpT10_ENKUlT_T0_E_clISt17integral_constantIbLb1EES1O_IbLb0EEEEDaS1K_S1L_EUlS1K_E_NS1_11comp_targetILNS1_3genE3ELNS1_11target_archE908ELNS1_3gpuE7ELNS1_3repE0EEENS1_30default_config_static_selectorELNS0_4arch9wavefront6targetE0EEEvSY_,comdat
.Lfunc_end1519:
	.size	_ZN7rocprim17ROCPRIM_400000_NS6detail17trampoline_kernelINS0_13select_configILj256ELj13ELNS0_17block_load_methodE3ELS4_3ELS4_3ELNS0_20block_scan_algorithmE0ELj4294967295EEENS1_25partition_config_selectorILNS1_17partition_subalgoE3EjNS0_10empty_typeEbEEZZNS1_14partition_implILS8_3ELb0ES6_jNS0_17counting_iteratorIjlEEPS9_SE_NS0_5tupleIJPjSE_EEENSF_IJSE_SE_EEES9_SG_JZNS1_25segmented_radix_sort_implINS0_14default_configELb1EPKbPbPKlPlN2at6native12_GLOBAL__N_18offset_tEEE10hipError_tPvRmT1_PNSt15iterator_traitsISY_E10value_typeET2_T3_PNSZ_IS14_E10value_typeET4_jRbjT5_S1A_jjP12ihipStream_tbEUljE_EEESV_SW_SX_S14_S18_S1A_T6_T7_T9_mT8_S1C_bDpT10_ENKUlT_T0_E_clISt17integral_constantIbLb1EES1O_IbLb0EEEEDaS1K_S1L_EUlS1K_E_NS1_11comp_targetILNS1_3genE3ELNS1_11target_archE908ELNS1_3gpuE7ELNS1_3repE0EEENS1_30default_config_static_selectorELNS0_4arch9wavefront6targetE0EEEvSY_, .Lfunc_end1519-_ZN7rocprim17ROCPRIM_400000_NS6detail17trampoline_kernelINS0_13select_configILj256ELj13ELNS0_17block_load_methodE3ELS4_3ELS4_3ELNS0_20block_scan_algorithmE0ELj4294967295EEENS1_25partition_config_selectorILNS1_17partition_subalgoE3EjNS0_10empty_typeEbEEZZNS1_14partition_implILS8_3ELb0ES6_jNS0_17counting_iteratorIjlEEPS9_SE_NS0_5tupleIJPjSE_EEENSF_IJSE_SE_EEES9_SG_JZNS1_25segmented_radix_sort_implINS0_14default_configELb1EPKbPbPKlPlN2at6native12_GLOBAL__N_18offset_tEEE10hipError_tPvRmT1_PNSt15iterator_traitsISY_E10value_typeET2_T3_PNSZ_IS14_E10value_typeET4_jRbjT5_S1A_jjP12ihipStream_tbEUljE_EEESV_SW_SX_S14_S18_S1A_T6_T7_T9_mT8_S1C_bDpT10_ENKUlT_T0_E_clISt17integral_constantIbLb1EES1O_IbLb0EEEEDaS1K_S1L_EUlS1K_E_NS1_11comp_targetILNS1_3genE3ELNS1_11target_archE908ELNS1_3gpuE7ELNS1_3repE0EEENS1_30default_config_static_selectorELNS0_4arch9wavefront6targetE0EEEvSY_
                                        ; -- End function
	.section	.AMDGPU.csdata,"",@progbits
; Kernel info:
; codeLenInByte = 0
; NumSgprs: 0
; NumVgprs: 0
; ScratchSize: 0
; MemoryBound: 0
; FloatMode: 240
; IeeeMode: 1
; LDSByteSize: 0 bytes/workgroup (compile time only)
; SGPRBlocks: 0
; VGPRBlocks: 0
; NumSGPRsForWavesPerEU: 1
; NumVGPRsForWavesPerEU: 1
; Occupancy: 16
; WaveLimiterHint : 0
; COMPUTE_PGM_RSRC2:SCRATCH_EN: 0
; COMPUTE_PGM_RSRC2:USER_SGPR: 15
; COMPUTE_PGM_RSRC2:TRAP_HANDLER: 0
; COMPUTE_PGM_RSRC2:TGID_X_EN: 1
; COMPUTE_PGM_RSRC2:TGID_Y_EN: 0
; COMPUTE_PGM_RSRC2:TGID_Z_EN: 0
; COMPUTE_PGM_RSRC2:TIDIG_COMP_CNT: 0
	.section	.text._ZN7rocprim17ROCPRIM_400000_NS6detail17trampoline_kernelINS0_13select_configILj256ELj13ELNS0_17block_load_methodE3ELS4_3ELS4_3ELNS0_20block_scan_algorithmE0ELj4294967295EEENS1_25partition_config_selectorILNS1_17partition_subalgoE3EjNS0_10empty_typeEbEEZZNS1_14partition_implILS8_3ELb0ES6_jNS0_17counting_iteratorIjlEEPS9_SE_NS0_5tupleIJPjSE_EEENSF_IJSE_SE_EEES9_SG_JZNS1_25segmented_radix_sort_implINS0_14default_configELb1EPKbPbPKlPlN2at6native12_GLOBAL__N_18offset_tEEE10hipError_tPvRmT1_PNSt15iterator_traitsISY_E10value_typeET2_T3_PNSZ_IS14_E10value_typeET4_jRbjT5_S1A_jjP12ihipStream_tbEUljE_EEESV_SW_SX_S14_S18_S1A_T6_T7_T9_mT8_S1C_bDpT10_ENKUlT_T0_E_clISt17integral_constantIbLb1EES1O_IbLb0EEEEDaS1K_S1L_EUlS1K_E_NS1_11comp_targetILNS1_3genE2ELNS1_11target_archE906ELNS1_3gpuE6ELNS1_3repE0EEENS1_30default_config_static_selectorELNS0_4arch9wavefront6targetE0EEEvSY_,"axG",@progbits,_ZN7rocprim17ROCPRIM_400000_NS6detail17trampoline_kernelINS0_13select_configILj256ELj13ELNS0_17block_load_methodE3ELS4_3ELS4_3ELNS0_20block_scan_algorithmE0ELj4294967295EEENS1_25partition_config_selectorILNS1_17partition_subalgoE3EjNS0_10empty_typeEbEEZZNS1_14partition_implILS8_3ELb0ES6_jNS0_17counting_iteratorIjlEEPS9_SE_NS0_5tupleIJPjSE_EEENSF_IJSE_SE_EEES9_SG_JZNS1_25segmented_radix_sort_implINS0_14default_configELb1EPKbPbPKlPlN2at6native12_GLOBAL__N_18offset_tEEE10hipError_tPvRmT1_PNSt15iterator_traitsISY_E10value_typeET2_T3_PNSZ_IS14_E10value_typeET4_jRbjT5_S1A_jjP12ihipStream_tbEUljE_EEESV_SW_SX_S14_S18_S1A_T6_T7_T9_mT8_S1C_bDpT10_ENKUlT_T0_E_clISt17integral_constantIbLb1EES1O_IbLb0EEEEDaS1K_S1L_EUlS1K_E_NS1_11comp_targetILNS1_3genE2ELNS1_11target_archE906ELNS1_3gpuE6ELNS1_3repE0EEENS1_30default_config_static_selectorELNS0_4arch9wavefront6targetE0EEEvSY_,comdat
	.globl	_ZN7rocprim17ROCPRIM_400000_NS6detail17trampoline_kernelINS0_13select_configILj256ELj13ELNS0_17block_load_methodE3ELS4_3ELS4_3ELNS0_20block_scan_algorithmE0ELj4294967295EEENS1_25partition_config_selectorILNS1_17partition_subalgoE3EjNS0_10empty_typeEbEEZZNS1_14partition_implILS8_3ELb0ES6_jNS0_17counting_iteratorIjlEEPS9_SE_NS0_5tupleIJPjSE_EEENSF_IJSE_SE_EEES9_SG_JZNS1_25segmented_radix_sort_implINS0_14default_configELb1EPKbPbPKlPlN2at6native12_GLOBAL__N_18offset_tEEE10hipError_tPvRmT1_PNSt15iterator_traitsISY_E10value_typeET2_T3_PNSZ_IS14_E10value_typeET4_jRbjT5_S1A_jjP12ihipStream_tbEUljE_EEESV_SW_SX_S14_S18_S1A_T6_T7_T9_mT8_S1C_bDpT10_ENKUlT_T0_E_clISt17integral_constantIbLb1EES1O_IbLb0EEEEDaS1K_S1L_EUlS1K_E_NS1_11comp_targetILNS1_3genE2ELNS1_11target_archE906ELNS1_3gpuE6ELNS1_3repE0EEENS1_30default_config_static_selectorELNS0_4arch9wavefront6targetE0EEEvSY_ ; -- Begin function _ZN7rocprim17ROCPRIM_400000_NS6detail17trampoline_kernelINS0_13select_configILj256ELj13ELNS0_17block_load_methodE3ELS4_3ELS4_3ELNS0_20block_scan_algorithmE0ELj4294967295EEENS1_25partition_config_selectorILNS1_17partition_subalgoE3EjNS0_10empty_typeEbEEZZNS1_14partition_implILS8_3ELb0ES6_jNS0_17counting_iteratorIjlEEPS9_SE_NS0_5tupleIJPjSE_EEENSF_IJSE_SE_EEES9_SG_JZNS1_25segmented_radix_sort_implINS0_14default_configELb1EPKbPbPKlPlN2at6native12_GLOBAL__N_18offset_tEEE10hipError_tPvRmT1_PNSt15iterator_traitsISY_E10value_typeET2_T3_PNSZ_IS14_E10value_typeET4_jRbjT5_S1A_jjP12ihipStream_tbEUljE_EEESV_SW_SX_S14_S18_S1A_T6_T7_T9_mT8_S1C_bDpT10_ENKUlT_T0_E_clISt17integral_constantIbLb1EES1O_IbLb0EEEEDaS1K_S1L_EUlS1K_E_NS1_11comp_targetILNS1_3genE2ELNS1_11target_archE906ELNS1_3gpuE6ELNS1_3repE0EEENS1_30default_config_static_selectorELNS0_4arch9wavefront6targetE0EEEvSY_
	.p2align	8
	.type	_ZN7rocprim17ROCPRIM_400000_NS6detail17trampoline_kernelINS0_13select_configILj256ELj13ELNS0_17block_load_methodE3ELS4_3ELS4_3ELNS0_20block_scan_algorithmE0ELj4294967295EEENS1_25partition_config_selectorILNS1_17partition_subalgoE3EjNS0_10empty_typeEbEEZZNS1_14partition_implILS8_3ELb0ES6_jNS0_17counting_iteratorIjlEEPS9_SE_NS0_5tupleIJPjSE_EEENSF_IJSE_SE_EEES9_SG_JZNS1_25segmented_radix_sort_implINS0_14default_configELb1EPKbPbPKlPlN2at6native12_GLOBAL__N_18offset_tEEE10hipError_tPvRmT1_PNSt15iterator_traitsISY_E10value_typeET2_T3_PNSZ_IS14_E10value_typeET4_jRbjT5_S1A_jjP12ihipStream_tbEUljE_EEESV_SW_SX_S14_S18_S1A_T6_T7_T9_mT8_S1C_bDpT10_ENKUlT_T0_E_clISt17integral_constantIbLb1EES1O_IbLb0EEEEDaS1K_S1L_EUlS1K_E_NS1_11comp_targetILNS1_3genE2ELNS1_11target_archE906ELNS1_3gpuE6ELNS1_3repE0EEENS1_30default_config_static_selectorELNS0_4arch9wavefront6targetE0EEEvSY_,@function
_ZN7rocprim17ROCPRIM_400000_NS6detail17trampoline_kernelINS0_13select_configILj256ELj13ELNS0_17block_load_methodE3ELS4_3ELS4_3ELNS0_20block_scan_algorithmE0ELj4294967295EEENS1_25partition_config_selectorILNS1_17partition_subalgoE3EjNS0_10empty_typeEbEEZZNS1_14partition_implILS8_3ELb0ES6_jNS0_17counting_iteratorIjlEEPS9_SE_NS0_5tupleIJPjSE_EEENSF_IJSE_SE_EEES9_SG_JZNS1_25segmented_radix_sort_implINS0_14default_configELb1EPKbPbPKlPlN2at6native12_GLOBAL__N_18offset_tEEE10hipError_tPvRmT1_PNSt15iterator_traitsISY_E10value_typeET2_T3_PNSZ_IS14_E10value_typeET4_jRbjT5_S1A_jjP12ihipStream_tbEUljE_EEESV_SW_SX_S14_S18_S1A_T6_T7_T9_mT8_S1C_bDpT10_ENKUlT_T0_E_clISt17integral_constantIbLb1EES1O_IbLb0EEEEDaS1K_S1L_EUlS1K_E_NS1_11comp_targetILNS1_3genE2ELNS1_11target_archE906ELNS1_3gpuE6ELNS1_3repE0EEENS1_30default_config_static_selectorELNS0_4arch9wavefront6targetE0EEEvSY_: ; @_ZN7rocprim17ROCPRIM_400000_NS6detail17trampoline_kernelINS0_13select_configILj256ELj13ELNS0_17block_load_methodE3ELS4_3ELS4_3ELNS0_20block_scan_algorithmE0ELj4294967295EEENS1_25partition_config_selectorILNS1_17partition_subalgoE3EjNS0_10empty_typeEbEEZZNS1_14partition_implILS8_3ELb0ES6_jNS0_17counting_iteratorIjlEEPS9_SE_NS0_5tupleIJPjSE_EEENSF_IJSE_SE_EEES9_SG_JZNS1_25segmented_radix_sort_implINS0_14default_configELb1EPKbPbPKlPlN2at6native12_GLOBAL__N_18offset_tEEE10hipError_tPvRmT1_PNSt15iterator_traitsISY_E10value_typeET2_T3_PNSZ_IS14_E10value_typeET4_jRbjT5_S1A_jjP12ihipStream_tbEUljE_EEESV_SW_SX_S14_S18_S1A_T6_T7_T9_mT8_S1C_bDpT10_ENKUlT_T0_E_clISt17integral_constantIbLb1EES1O_IbLb0EEEEDaS1K_S1L_EUlS1K_E_NS1_11comp_targetILNS1_3genE2ELNS1_11target_archE906ELNS1_3gpuE6ELNS1_3repE0EEENS1_30default_config_static_selectorELNS0_4arch9wavefront6targetE0EEEvSY_
; %bb.0:
	.section	.rodata,"a",@progbits
	.p2align	6, 0x0
	.amdhsa_kernel _ZN7rocprim17ROCPRIM_400000_NS6detail17trampoline_kernelINS0_13select_configILj256ELj13ELNS0_17block_load_methodE3ELS4_3ELS4_3ELNS0_20block_scan_algorithmE0ELj4294967295EEENS1_25partition_config_selectorILNS1_17partition_subalgoE3EjNS0_10empty_typeEbEEZZNS1_14partition_implILS8_3ELb0ES6_jNS0_17counting_iteratorIjlEEPS9_SE_NS0_5tupleIJPjSE_EEENSF_IJSE_SE_EEES9_SG_JZNS1_25segmented_radix_sort_implINS0_14default_configELb1EPKbPbPKlPlN2at6native12_GLOBAL__N_18offset_tEEE10hipError_tPvRmT1_PNSt15iterator_traitsISY_E10value_typeET2_T3_PNSZ_IS14_E10value_typeET4_jRbjT5_S1A_jjP12ihipStream_tbEUljE_EEESV_SW_SX_S14_S18_S1A_T6_T7_T9_mT8_S1C_bDpT10_ENKUlT_T0_E_clISt17integral_constantIbLb1EES1O_IbLb0EEEEDaS1K_S1L_EUlS1K_E_NS1_11comp_targetILNS1_3genE2ELNS1_11target_archE906ELNS1_3gpuE6ELNS1_3repE0EEENS1_30default_config_static_selectorELNS0_4arch9wavefront6targetE0EEEvSY_
		.amdhsa_group_segment_fixed_size 0
		.amdhsa_private_segment_fixed_size 0
		.amdhsa_kernarg_size 144
		.amdhsa_user_sgpr_count 15
		.amdhsa_user_sgpr_dispatch_ptr 0
		.amdhsa_user_sgpr_queue_ptr 0
		.amdhsa_user_sgpr_kernarg_segment_ptr 1
		.amdhsa_user_sgpr_dispatch_id 0
		.amdhsa_user_sgpr_private_segment_size 0
		.amdhsa_wavefront_size32 1
		.amdhsa_uses_dynamic_stack 0
		.amdhsa_enable_private_segment 0
		.amdhsa_system_sgpr_workgroup_id_x 1
		.amdhsa_system_sgpr_workgroup_id_y 0
		.amdhsa_system_sgpr_workgroup_id_z 0
		.amdhsa_system_sgpr_workgroup_info 0
		.amdhsa_system_vgpr_workitem_id 0
		.amdhsa_next_free_vgpr 1
		.amdhsa_next_free_sgpr 1
		.amdhsa_reserve_vcc 0
		.amdhsa_float_round_mode_32 0
		.amdhsa_float_round_mode_16_64 0
		.amdhsa_float_denorm_mode_32 3
		.amdhsa_float_denorm_mode_16_64 3
		.amdhsa_dx10_clamp 1
		.amdhsa_ieee_mode 1
		.amdhsa_fp16_overflow 0
		.amdhsa_workgroup_processor_mode 1
		.amdhsa_memory_ordered 1
		.amdhsa_forward_progress 0
		.amdhsa_shared_vgpr_count 0
		.amdhsa_exception_fp_ieee_invalid_op 0
		.amdhsa_exception_fp_denorm_src 0
		.amdhsa_exception_fp_ieee_div_zero 0
		.amdhsa_exception_fp_ieee_overflow 0
		.amdhsa_exception_fp_ieee_underflow 0
		.amdhsa_exception_fp_ieee_inexact 0
		.amdhsa_exception_int_div_zero 0
	.end_amdhsa_kernel
	.section	.text._ZN7rocprim17ROCPRIM_400000_NS6detail17trampoline_kernelINS0_13select_configILj256ELj13ELNS0_17block_load_methodE3ELS4_3ELS4_3ELNS0_20block_scan_algorithmE0ELj4294967295EEENS1_25partition_config_selectorILNS1_17partition_subalgoE3EjNS0_10empty_typeEbEEZZNS1_14partition_implILS8_3ELb0ES6_jNS0_17counting_iteratorIjlEEPS9_SE_NS0_5tupleIJPjSE_EEENSF_IJSE_SE_EEES9_SG_JZNS1_25segmented_radix_sort_implINS0_14default_configELb1EPKbPbPKlPlN2at6native12_GLOBAL__N_18offset_tEEE10hipError_tPvRmT1_PNSt15iterator_traitsISY_E10value_typeET2_T3_PNSZ_IS14_E10value_typeET4_jRbjT5_S1A_jjP12ihipStream_tbEUljE_EEESV_SW_SX_S14_S18_S1A_T6_T7_T9_mT8_S1C_bDpT10_ENKUlT_T0_E_clISt17integral_constantIbLb1EES1O_IbLb0EEEEDaS1K_S1L_EUlS1K_E_NS1_11comp_targetILNS1_3genE2ELNS1_11target_archE906ELNS1_3gpuE6ELNS1_3repE0EEENS1_30default_config_static_selectorELNS0_4arch9wavefront6targetE0EEEvSY_,"axG",@progbits,_ZN7rocprim17ROCPRIM_400000_NS6detail17trampoline_kernelINS0_13select_configILj256ELj13ELNS0_17block_load_methodE3ELS4_3ELS4_3ELNS0_20block_scan_algorithmE0ELj4294967295EEENS1_25partition_config_selectorILNS1_17partition_subalgoE3EjNS0_10empty_typeEbEEZZNS1_14partition_implILS8_3ELb0ES6_jNS0_17counting_iteratorIjlEEPS9_SE_NS0_5tupleIJPjSE_EEENSF_IJSE_SE_EEES9_SG_JZNS1_25segmented_radix_sort_implINS0_14default_configELb1EPKbPbPKlPlN2at6native12_GLOBAL__N_18offset_tEEE10hipError_tPvRmT1_PNSt15iterator_traitsISY_E10value_typeET2_T3_PNSZ_IS14_E10value_typeET4_jRbjT5_S1A_jjP12ihipStream_tbEUljE_EEESV_SW_SX_S14_S18_S1A_T6_T7_T9_mT8_S1C_bDpT10_ENKUlT_T0_E_clISt17integral_constantIbLb1EES1O_IbLb0EEEEDaS1K_S1L_EUlS1K_E_NS1_11comp_targetILNS1_3genE2ELNS1_11target_archE906ELNS1_3gpuE6ELNS1_3repE0EEENS1_30default_config_static_selectorELNS0_4arch9wavefront6targetE0EEEvSY_,comdat
.Lfunc_end1520:
	.size	_ZN7rocprim17ROCPRIM_400000_NS6detail17trampoline_kernelINS0_13select_configILj256ELj13ELNS0_17block_load_methodE3ELS4_3ELS4_3ELNS0_20block_scan_algorithmE0ELj4294967295EEENS1_25partition_config_selectorILNS1_17partition_subalgoE3EjNS0_10empty_typeEbEEZZNS1_14partition_implILS8_3ELb0ES6_jNS0_17counting_iteratorIjlEEPS9_SE_NS0_5tupleIJPjSE_EEENSF_IJSE_SE_EEES9_SG_JZNS1_25segmented_radix_sort_implINS0_14default_configELb1EPKbPbPKlPlN2at6native12_GLOBAL__N_18offset_tEEE10hipError_tPvRmT1_PNSt15iterator_traitsISY_E10value_typeET2_T3_PNSZ_IS14_E10value_typeET4_jRbjT5_S1A_jjP12ihipStream_tbEUljE_EEESV_SW_SX_S14_S18_S1A_T6_T7_T9_mT8_S1C_bDpT10_ENKUlT_T0_E_clISt17integral_constantIbLb1EES1O_IbLb0EEEEDaS1K_S1L_EUlS1K_E_NS1_11comp_targetILNS1_3genE2ELNS1_11target_archE906ELNS1_3gpuE6ELNS1_3repE0EEENS1_30default_config_static_selectorELNS0_4arch9wavefront6targetE0EEEvSY_, .Lfunc_end1520-_ZN7rocprim17ROCPRIM_400000_NS6detail17trampoline_kernelINS0_13select_configILj256ELj13ELNS0_17block_load_methodE3ELS4_3ELS4_3ELNS0_20block_scan_algorithmE0ELj4294967295EEENS1_25partition_config_selectorILNS1_17partition_subalgoE3EjNS0_10empty_typeEbEEZZNS1_14partition_implILS8_3ELb0ES6_jNS0_17counting_iteratorIjlEEPS9_SE_NS0_5tupleIJPjSE_EEENSF_IJSE_SE_EEES9_SG_JZNS1_25segmented_radix_sort_implINS0_14default_configELb1EPKbPbPKlPlN2at6native12_GLOBAL__N_18offset_tEEE10hipError_tPvRmT1_PNSt15iterator_traitsISY_E10value_typeET2_T3_PNSZ_IS14_E10value_typeET4_jRbjT5_S1A_jjP12ihipStream_tbEUljE_EEESV_SW_SX_S14_S18_S1A_T6_T7_T9_mT8_S1C_bDpT10_ENKUlT_T0_E_clISt17integral_constantIbLb1EES1O_IbLb0EEEEDaS1K_S1L_EUlS1K_E_NS1_11comp_targetILNS1_3genE2ELNS1_11target_archE906ELNS1_3gpuE6ELNS1_3repE0EEENS1_30default_config_static_selectorELNS0_4arch9wavefront6targetE0EEEvSY_
                                        ; -- End function
	.section	.AMDGPU.csdata,"",@progbits
; Kernel info:
; codeLenInByte = 0
; NumSgprs: 0
; NumVgprs: 0
; ScratchSize: 0
; MemoryBound: 0
; FloatMode: 240
; IeeeMode: 1
; LDSByteSize: 0 bytes/workgroup (compile time only)
; SGPRBlocks: 0
; VGPRBlocks: 0
; NumSGPRsForWavesPerEU: 1
; NumVGPRsForWavesPerEU: 1
; Occupancy: 16
; WaveLimiterHint : 0
; COMPUTE_PGM_RSRC2:SCRATCH_EN: 0
; COMPUTE_PGM_RSRC2:USER_SGPR: 15
; COMPUTE_PGM_RSRC2:TRAP_HANDLER: 0
; COMPUTE_PGM_RSRC2:TGID_X_EN: 1
; COMPUTE_PGM_RSRC2:TGID_Y_EN: 0
; COMPUTE_PGM_RSRC2:TGID_Z_EN: 0
; COMPUTE_PGM_RSRC2:TIDIG_COMP_CNT: 0
	.section	.text._ZN7rocprim17ROCPRIM_400000_NS6detail17trampoline_kernelINS0_13select_configILj256ELj13ELNS0_17block_load_methodE3ELS4_3ELS4_3ELNS0_20block_scan_algorithmE0ELj4294967295EEENS1_25partition_config_selectorILNS1_17partition_subalgoE3EjNS0_10empty_typeEbEEZZNS1_14partition_implILS8_3ELb0ES6_jNS0_17counting_iteratorIjlEEPS9_SE_NS0_5tupleIJPjSE_EEENSF_IJSE_SE_EEES9_SG_JZNS1_25segmented_radix_sort_implINS0_14default_configELb1EPKbPbPKlPlN2at6native12_GLOBAL__N_18offset_tEEE10hipError_tPvRmT1_PNSt15iterator_traitsISY_E10value_typeET2_T3_PNSZ_IS14_E10value_typeET4_jRbjT5_S1A_jjP12ihipStream_tbEUljE_EEESV_SW_SX_S14_S18_S1A_T6_T7_T9_mT8_S1C_bDpT10_ENKUlT_T0_E_clISt17integral_constantIbLb1EES1O_IbLb0EEEEDaS1K_S1L_EUlS1K_E_NS1_11comp_targetILNS1_3genE10ELNS1_11target_archE1200ELNS1_3gpuE4ELNS1_3repE0EEENS1_30default_config_static_selectorELNS0_4arch9wavefront6targetE0EEEvSY_,"axG",@progbits,_ZN7rocprim17ROCPRIM_400000_NS6detail17trampoline_kernelINS0_13select_configILj256ELj13ELNS0_17block_load_methodE3ELS4_3ELS4_3ELNS0_20block_scan_algorithmE0ELj4294967295EEENS1_25partition_config_selectorILNS1_17partition_subalgoE3EjNS0_10empty_typeEbEEZZNS1_14partition_implILS8_3ELb0ES6_jNS0_17counting_iteratorIjlEEPS9_SE_NS0_5tupleIJPjSE_EEENSF_IJSE_SE_EEES9_SG_JZNS1_25segmented_radix_sort_implINS0_14default_configELb1EPKbPbPKlPlN2at6native12_GLOBAL__N_18offset_tEEE10hipError_tPvRmT1_PNSt15iterator_traitsISY_E10value_typeET2_T3_PNSZ_IS14_E10value_typeET4_jRbjT5_S1A_jjP12ihipStream_tbEUljE_EEESV_SW_SX_S14_S18_S1A_T6_T7_T9_mT8_S1C_bDpT10_ENKUlT_T0_E_clISt17integral_constantIbLb1EES1O_IbLb0EEEEDaS1K_S1L_EUlS1K_E_NS1_11comp_targetILNS1_3genE10ELNS1_11target_archE1200ELNS1_3gpuE4ELNS1_3repE0EEENS1_30default_config_static_selectorELNS0_4arch9wavefront6targetE0EEEvSY_,comdat
	.globl	_ZN7rocprim17ROCPRIM_400000_NS6detail17trampoline_kernelINS0_13select_configILj256ELj13ELNS0_17block_load_methodE3ELS4_3ELS4_3ELNS0_20block_scan_algorithmE0ELj4294967295EEENS1_25partition_config_selectorILNS1_17partition_subalgoE3EjNS0_10empty_typeEbEEZZNS1_14partition_implILS8_3ELb0ES6_jNS0_17counting_iteratorIjlEEPS9_SE_NS0_5tupleIJPjSE_EEENSF_IJSE_SE_EEES9_SG_JZNS1_25segmented_radix_sort_implINS0_14default_configELb1EPKbPbPKlPlN2at6native12_GLOBAL__N_18offset_tEEE10hipError_tPvRmT1_PNSt15iterator_traitsISY_E10value_typeET2_T3_PNSZ_IS14_E10value_typeET4_jRbjT5_S1A_jjP12ihipStream_tbEUljE_EEESV_SW_SX_S14_S18_S1A_T6_T7_T9_mT8_S1C_bDpT10_ENKUlT_T0_E_clISt17integral_constantIbLb1EES1O_IbLb0EEEEDaS1K_S1L_EUlS1K_E_NS1_11comp_targetILNS1_3genE10ELNS1_11target_archE1200ELNS1_3gpuE4ELNS1_3repE0EEENS1_30default_config_static_selectorELNS0_4arch9wavefront6targetE0EEEvSY_ ; -- Begin function _ZN7rocprim17ROCPRIM_400000_NS6detail17trampoline_kernelINS0_13select_configILj256ELj13ELNS0_17block_load_methodE3ELS4_3ELS4_3ELNS0_20block_scan_algorithmE0ELj4294967295EEENS1_25partition_config_selectorILNS1_17partition_subalgoE3EjNS0_10empty_typeEbEEZZNS1_14partition_implILS8_3ELb0ES6_jNS0_17counting_iteratorIjlEEPS9_SE_NS0_5tupleIJPjSE_EEENSF_IJSE_SE_EEES9_SG_JZNS1_25segmented_radix_sort_implINS0_14default_configELb1EPKbPbPKlPlN2at6native12_GLOBAL__N_18offset_tEEE10hipError_tPvRmT1_PNSt15iterator_traitsISY_E10value_typeET2_T3_PNSZ_IS14_E10value_typeET4_jRbjT5_S1A_jjP12ihipStream_tbEUljE_EEESV_SW_SX_S14_S18_S1A_T6_T7_T9_mT8_S1C_bDpT10_ENKUlT_T0_E_clISt17integral_constantIbLb1EES1O_IbLb0EEEEDaS1K_S1L_EUlS1K_E_NS1_11comp_targetILNS1_3genE10ELNS1_11target_archE1200ELNS1_3gpuE4ELNS1_3repE0EEENS1_30default_config_static_selectorELNS0_4arch9wavefront6targetE0EEEvSY_
	.p2align	8
	.type	_ZN7rocprim17ROCPRIM_400000_NS6detail17trampoline_kernelINS0_13select_configILj256ELj13ELNS0_17block_load_methodE3ELS4_3ELS4_3ELNS0_20block_scan_algorithmE0ELj4294967295EEENS1_25partition_config_selectorILNS1_17partition_subalgoE3EjNS0_10empty_typeEbEEZZNS1_14partition_implILS8_3ELb0ES6_jNS0_17counting_iteratorIjlEEPS9_SE_NS0_5tupleIJPjSE_EEENSF_IJSE_SE_EEES9_SG_JZNS1_25segmented_radix_sort_implINS0_14default_configELb1EPKbPbPKlPlN2at6native12_GLOBAL__N_18offset_tEEE10hipError_tPvRmT1_PNSt15iterator_traitsISY_E10value_typeET2_T3_PNSZ_IS14_E10value_typeET4_jRbjT5_S1A_jjP12ihipStream_tbEUljE_EEESV_SW_SX_S14_S18_S1A_T6_T7_T9_mT8_S1C_bDpT10_ENKUlT_T0_E_clISt17integral_constantIbLb1EES1O_IbLb0EEEEDaS1K_S1L_EUlS1K_E_NS1_11comp_targetILNS1_3genE10ELNS1_11target_archE1200ELNS1_3gpuE4ELNS1_3repE0EEENS1_30default_config_static_selectorELNS0_4arch9wavefront6targetE0EEEvSY_,@function
_ZN7rocprim17ROCPRIM_400000_NS6detail17trampoline_kernelINS0_13select_configILj256ELj13ELNS0_17block_load_methodE3ELS4_3ELS4_3ELNS0_20block_scan_algorithmE0ELj4294967295EEENS1_25partition_config_selectorILNS1_17partition_subalgoE3EjNS0_10empty_typeEbEEZZNS1_14partition_implILS8_3ELb0ES6_jNS0_17counting_iteratorIjlEEPS9_SE_NS0_5tupleIJPjSE_EEENSF_IJSE_SE_EEES9_SG_JZNS1_25segmented_radix_sort_implINS0_14default_configELb1EPKbPbPKlPlN2at6native12_GLOBAL__N_18offset_tEEE10hipError_tPvRmT1_PNSt15iterator_traitsISY_E10value_typeET2_T3_PNSZ_IS14_E10value_typeET4_jRbjT5_S1A_jjP12ihipStream_tbEUljE_EEESV_SW_SX_S14_S18_S1A_T6_T7_T9_mT8_S1C_bDpT10_ENKUlT_T0_E_clISt17integral_constantIbLb1EES1O_IbLb0EEEEDaS1K_S1L_EUlS1K_E_NS1_11comp_targetILNS1_3genE10ELNS1_11target_archE1200ELNS1_3gpuE4ELNS1_3repE0EEENS1_30default_config_static_selectorELNS0_4arch9wavefront6targetE0EEEvSY_: ; @_ZN7rocprim17ROCPRIM_400000_NS6detail17trampoline_kernelINS0_13select_configILj256ELj13ELNS0_17block_load_methodE3ELS4_3ELS4_3ELNS0_20block_scan_algorithmE0ELj4294967295EEENS1_25partition_config_selectorILNS1_17partition_subalgoE3EjNS0_10empty_typeEbEEZZNS1_14partition_implILS8_3ELb0ES6_jNS0_17counting_iteratorIjlEEPS9_SE_NS0_5tupleIJPjSE_EEENSF_IJSE_SE_EEES9_SG_JZNS1_25segmented_radix_sort_implINS0_14default_configELb1EPKbPbPKlPlN2at6native12_GLOBAL__N_18offset_tEEE10hipError_tPvRmT1_PNSt15iterator_traitsISY_E10value_typeET2_T3_PNSZ_IS14_E10value_typeET4_jRbjT5_S1A_jjP12ihipStream_tbEUljE_EEESV_SW_SX_S14_S18_S1A_T6_T7_T9_mT8_S1C_bDpT10_ENKUlT_T0_E_clISt17integral_constantIbLb1EES1O_IbLb0EEEEDaS1K_S1L_EUlS1K_E_NS1_11comp_targetILNS1_3genE10ELNS1_11target_archE1200ELNS1_3gpuE4ELNS1_3repE0EEENS1_30default_config_static_selectorELNS0_4arch9wavefront6targetE0EEEvSY_
; %bb.0:
	.section	.rodata,"a",@progbits
	.p2align	6, 0x0
	.amdhsa_kernel _ZN7rocprim17ROCPRIM_400000_NS6detail17trampoline_kernelINS0_13select_configILj256ELj13ELNS0_17block_load_methodE3ELS4_3ELS4_3ELNS0_20block_scan_algorithmE0ELj4294967295EEENS1_25partition_config_selectorILNS1_17partition_subalgoE3EjNS0_10empty_typeEbEEZZNS1_14partition_implILS8_3ELb0ES6_jNS0_17counting_iteratorIjlEEPS9_SE_NS0_5tupleIJPjSE_EEENSF_IJSE_SE_EEES9_SG_JZNS1_25segmented_radix_sort_implINS0_14default_configELb1EPKbPbPKlPlN2at6native12_GLOBAL__N_18offset_tEEE10hipError_tPvRmT1_PNSt15iterator_traitsISY_E10value_typeET2_T3_PNSZ_IS14_E10value_typeET4_jRbjT5_S1A_jjP12ihipStream_tbEUljE_EEESV_SW_SX_S14_S18_S1A_T6_T7_T9_mT8_S1C_bDpT10_ENKUlT_T0_E_clISt17integral_constantIbLb1EES1O_IbLb0EEEEDaS1K_S1L_EUlS1K_E_NS1_11comp_targetILNS1_3genE10ELNS1_11target_archE1200ELNS1_3gpuE4ELNS1_3repE0EEENS1_30default_config_static_selectorELNS0_4arch9wavefront6targetE0EEEvSY_
		.amdhsa_group_segment_fixed_size 0
		.amdhsa_private_segment_fixed_size 0
		.amdhsa_kernarg_size 144
		.amdhsa_user_sgpr_count 15
		.amdhsa_user_sgpr_dispatch_ptr 0
		.amdhsa_user_sgpr_queue_ptr 0
		.amdhsa_user_sgpr_kernarg_segment_ptr 1
		.amdhsa_user_sgpr_dispatch_id 0
		.amdhsa_user_sgpr_private_segment_size 0
		.amdhsa_wavefront_size32 1
		.amdhsa_uses_dynamic_stack 0
		.amdhsa_enable_private_segment 0
		.amdhsa_system_sgpr_workgroup_id_x 1
		.amdhsa_system_sgpr_workgroup_id_y 0
		.amdhsa_system_sgpr_workgroup_id_z 0
		.amdhsa_system_sgpr_workgroup_info 0
		.amdhsa_system_vgpr_workitem_id 0
		.amdhsa_next_free_vgpr 1
		.amdhsa_next_free_sgpr 1
		.amdhsa_reserve_vcc 0
		.amdhsa_float_round_mode_32 0
		.amdhsa_float_round_mode_16_64 0
		.amdhsa_float_denorm_mode_32 3
		.amdhsa_float_denorm_mode_16_64 3
		.amdhsa_dx10_clamp 1
		.amdhsa_ieee_mode 1
		.amdhsa_fp16_overflow 0
		.amdhsa_workgroup_processor_mode 1
		.amdhsa_memory_ordered 1
		.amdhsa_forward_progress 0
		.amdhsa_shared_vgpr_count 0
		.amdhsa_exception_fp_ieee_invalid_op 0
		.amdhsa_exception_fp_denorm_src 0
		.amdhsa_exception_fp_ieee_div_zero 0
		.amdhsa_exception_fp_ieee_overflow 0
		.amdhsa_exception_fp_ieee_underflow 0
		.amdhsa_exception_fp_ieee_inexact 0
		.amdhsa_exception_int_div_zero 0
	.end_amdhsa_kernel
	.section	.text._ZN7rocprim17ROCPRIM_400000_NS6detail17trampoline_kernelINS0_13select_configILj256ELj13ELNS0_17block_load_methodE3ELS4_3ELS4_3ELNS0_20block_scan_algorithmE0ELj4294967295EEENS1_25partition_config_selectorILNS1_17partition_subalgoE3EjNS0_10empty_typeEbEEZZNS1_14partition_implILS8_3ELb0ES6_jNS0_17counting_iteratorIjlEEPS9_SE_NS0_5tupleIJPjSE_EEENSF_IJSE_SE_EEES9_SG_JZNS1_25segmented_radix_sort_implINS0_14default_configELb1EPKbPbPKlPlN2at6native12_GLOBAL__N_18offset_tEEE10hipError_tPvRmT1_PNSt15iterator_traitsISY_E10value_typeET2_T3_PNSZ_IS14_E10value_typeET4_jRbjT5_S1A_jjP12ihipStream_tbEUljE_EEESV_SW_SX_S14_S18_S1A_T6_T7_T9_mT8_S1C_bDpT10_ENKUlT_T0_E_clISt17integral_constantIbLb1EES1O_IbLb0EEEEDaS1K_S1L_EUlS1K_E_NS1_11comp_targetILNS1_3genE10ELNS1_11target_archE1200ELNS1_3gpuE4ELNS1_3repE0EEENS1_30default_config_static_selectorELNS0_4arch9wavefront6targetE0EEEvSY_,"axG",@progbits,_ZN7rocprim17ROCPRIM_400000_NS6detail17trampoline_kernelINS0_13select_configILj256ELj13ELNS0_17block_load_methodE3ELS4_3ELS4_3ELNS0_20block_scan_algorithmE0ELj4294967295EEENS1_25partition_config_selectorILNS1_17partition_subalgoE3EjNS0_10empty_typeEbEEZZNS1_14partition_implILS8_3ELb0ES6_jNS0_17counting_iteratorIjlEEPS9_SE_NS0_5tupleIJPjSE_EEENSF_IJSE_SE_EEES9_SG_JZNS1_25segmented_radix_sort_implINS0_14default_configELb1EPKbPbPKlPlN2at6native12_GLOBAL__N_18offset_tEEE10hipError_tPvRmT1_PNSt15iterator_traitsISY_E10value_typeET2_T3_PNSZ_IS14_E10value_typeET4_jRbjT5_S1A_jjP12ihipStream_tbEUljE_EEESV_SW_SX_S14_S18_S1A_T6_T7_T9_mT8_S1C_bDpT10_ENKUlT_T0_E_clISt17integral_constantIbLb1EES1O_IbLb0EEEEDaS1K_S1L_EUlS1K_E_NS1_11comp_targetILNS1_3genE10ELNS1_11target_archE1200ELNS1_3gpuE4ELNS1_3repE0EEENS1_30default_config_static_selectorELNS0_4arch9wavefront6targetE0EEEvSY_,comdat
.Lfunc_end1521:
	.size	_ZN7rocprim17ROCPRIM_400000_NS6detail17trampoline_kernelINS0_13select_configILj256ELj13ELNS0_17block_load_methodE3ELS4_3ELS4_3ELNS0_20block_scan_algorithmE0ELj4294967295EEENS1_25partition_config_selectorILNS1_17partition_subalgoE3EjNS0_10empty_typeEbEEZZNS1_14partition_implILS8_3ELb0ES6_jNS0_17counting_iteratorIjlEEPS9_SE_NS0_5tupleIJPjSE_EEENSF_IJSE_SE_EEES9_SG_JZNS1_25segmented_radix_sort_implINS0_14default_configELb1EPKbPbPKlPlN2at6native12_GLOBAL__N_18offset_tEEE10hipError_tPvRmT1_PNSt15iterator_traitsISY_E10value_typeET2_T3_PNSZ_IS14_E10value_typeET4_jRbjT5_S1A_jjP12ihipStream_tbEUljE_EEESV_SW_SX_S14_S18_S1A_T6_T7_T9_mT8_S1C_bDpT10_ENKUlT_T0_E_clISt17integral_constantIbLb1EES1O_IbLb0EEEEDaS1K_S1L_EUlS1K_E_NS1_11comp_targetILNS1_3genE10ELNS1_11target_archE1200ELNS1_3gpuE4ELNS1_3repE0EEENS1_30default_config_static_selectorELNS0_4arch9wavefront6targetE0EEEvSY_, .Lfunc_end1521-_ZN7rocprim17ROCPRIM_400000_NS6detail17trampoline_kernelINS0_13select_configILj256ELj13ELNS0_17block_load_methodE3ELS4_3ELS4_3ELNS0_20block_scan_algorithmE0ELj4294967295EEENS1_25partition_config_selectorILNS1_17partition_subalgoE3EjNS0_10empty_typeEbEEZZNS1_14partition_implILS8_3ELb0ES6_jNS0_17counting_iteratorIjlEEPS9_SE_NS0_5tupleIJPjSE_EEENSF_IJSE_SE_EEES9_SG_JZNS1_25segmented_radix_sort_implINS0_14default_configELb1EPKbPbPKlPlN2at6native12_GLOBAL__N_18offset_tEEE10hipError_tPvRmT1_PNSt15iterator_traitsISY_E10value_typeET2_T3_PNSZ_IS14_E10value_typeET4_jRbjT5_S1A_jjP12ihipStream_tbEUljE_EEESV_SW_SX_S14_S18_S1A_T6_T7_T9_mT8_S1C_bDpT10_ENKUlT_T0_E_clISt17integral_constantIbLb1EES1O_IbLb0EEEEDaS1K_S1L_EUlS1K_E_NS1_11comp_targetILNS1_3genE10ELNS1_11target_archE1200ELNS1_3gpuE4ELNS1_3repE0EEENS1_30default_config_static_selectorELNS0_4arch9wavefront6targetE0EEEvSY_
                                        ; -- End function
	.section	.AMDGPU.csdata,"",@progbits
; Kernel info:
; codeLenInByte = 0
; NumSgprs: 0
; NumVgprs: 0
; ScratchSize: 0
; MemoryBound: 0
; FloatMode: 240
; IeeeMode: 1
; LDSByteSize: 0 bytes/workgroup (compile time only)
; SGPRBlocks: 0
; VGPRBlocks: 0
; NumSGPRsForWavesPerEU: 1
; NumVGPRsForWavesPerEU: 1
; Occupancy: 16
; WaveLimiterHint : 0
; COMPUTE_PGM_RSRC2:SCRATCH_EN: 0
; COMPUTE_PGM_RSRC2:USER_SGPR: 15
; COMPUTE_PGM_RSRC2:TRAP_HANDLER: 0
; COMPUTE_PGM_RSRC2:TGID_X_EN: 1
; COMPUTE_PGM_RSRC2:TGID_Y_EN: 0
; COMPUTE_PGM_RSRC2:TGID_Z_EN: 0
; COMPUTE_PGM_RSRC2:TIDIG_COMP_CNT: 0
	.section	.text._ZN7rocprim17ROCPRIM_400000_NS6detail17trampoline_kernelINS0_13select_configILj256ELj13ELNS0_17block_load_methodE3ELS4_3ELS4_3ELNS0_20block_scan_algorithmE0ELj4294967295EEENS1_25partition_config_selectorILNS1_17partition_subalgoE3EjNS0_10empty_typeEbEEZZNS1_14partition_implILS8_3ELb0ES6_jNS0_17counting_iteratorIjlEEPS9_SE_NS0_5tupleIJPjSE_EEENSF_IJSE_SE_EEES9_SG_JZNS1_25segmented_radix_sort_implINS0_14default_configELb1EPKbPbPKlPlN2at6native12_GLOBAL__N_18offset_tEEE10hipError_tPvRmT1_PNSt15iterator_traitsISY_E10value_typeET2_T3_PNSZ_IS14_E10value_typeET4_jRbjT5_S1A_jjP12ihipStream_tbEUljE_EEESV_SW_SX_S14_S18_S1A_T6_T7_T9_mT8_S1C_bDpT10_ENKUlT_T0_E_clISt17integral_constantIbLb1EES1O_IbLb0EEEEDaS1K_S1L_EUlS1K_E_NS1_11comp_targetILNS1_3genE9ELNS1_11target_archE1100ELNS1_3gpuE3ELNS1_3repE0EEENS1_30default_config_static_selectorELNS0_4arch9wavefront6targetE0EEEvSY_,"axG",@progbits,_ZN7rocprim17ROCPRIM_400000_NS6detail17trampoline_kernelINS0_13select_configILj256ELj13ELNS0_17block_load_methodE3ELS4_3ELS4_3ELNS0_20block_scan_algorithmE0ELj4294967295EEENS1_25partition_config_selectorILNS1_17partition_subalgoE3EjNS0_10empty_typeEbEEZZNS1_14partition_implILS8_3ELb0ES6_jNS0_17counting_iteratorIjlEEPS9_SE_NS0_5tupleIJPjSE_EEENSF_IJSE_SE_EEES9_SG_JZNS1_25segmented_radix_sort_implINS0_14default_configELb1EPKbPbPKlPlN2at6native12_GLOBAL__N_18offset_tEEE10hipError_tPvRmT1_PNSt15iterator_traitsISY_E10value_typeET2_T3_PNSZ_IS14_E10value_typeET4_jRbjT5_S1A_jjP12ihipStream_tbEUljE_EEESV_SW_SX_S14_S18_S1A_T6_T7_T9_mT8_S1C_bDpT10_ENKUlT_T0_E_clISt17integral_constantIbLb1EES1O_IbLb0EEEEDaS1K_S1L_EUlS1K_E_NS1_11comp_targetILNS1_3genE9ELNS1_11target_archE1100ELNS1_3gpuE3ELNS1_3repE0EEENS1_30default_config_static_selectorELNS0_4arch9wavefront6targetE0EEEvSY_,comdat
	.globl	_ZN7rocprim17ROCPRIM_400000_NS6detail17trampoline_kernelINS0_13select_configILj256ELj13ELNS0_17block_load_methodE3ELS4_3ELS4_3ELNS0_20block_scan_algorithmE0ELj4294967295EEENS1_25partition_config_selectorILNS1_17partition_subalgoE3EjNS0_10empty_typeEbEEZZNS1_14partition_implILS8_3ELb0ES6_jNS0_17counting_iteratorIjlEEPS9_SE_NS0_5tupleIJPjSE_EEENSF_IJSE_SE_EEES9_SG_JZNS1_25segmented_radix_sort_implINS0_14default_configELb1EPKbPbPKlPlN2at6native12_GLOBAL__N_18offset_tEEE10hipError_tPvRmT1_PNSt15iterator_traitsISY_E10value_typeET2_T3_PNSZ_IS14_E10value_typeET4_jRbjT5_S1A_jjP12ihipStream_tbEUljE_EEESV_SW_SX_S14_S18_S1A_T6_T7_T9_mT8_S1C_bDpT10_ENKUlT_T0_E_clISt17integral_constantIbLb1EES1O_IbLb0EEEEDaS1K_S1L_EUlS1K_E_NS1_11comp_targetILNS1_3genE9ELNS1_11target_archE1100ELNS1_3gpuE3ELNS1_3repE0EEENS1_30default_config_static_selectorELNS0_4arch9wavefront6targetE0EEEvSY_ ; -- Begin function _ZN7rocprim17ROCPRIM_400000_NS6detail17trampoline_kernelINS0_13select_configILj256ELj13ELNS0_17block_load_methodE3ELS4_3ELS4_3ELNS0_20block_scan_algorithmE0ELj4294967295EEENS1_25partition_config_selectorILNS1_17partition_subalgoE3EjNS0_10empty_typeEbEEZZNS1_14partition_implILS8_3ELb0ES6_jNS0_17counting_iteratorIjlEEPS9_SE_NS0_5tupleIJPjSE_EEENSF_IJSE_SE_EEES9_SG_JZNS1_25segmented_radix_sort_implINS0_14default_configELb1EPKbPbPKlPlN2at6native12_GLOBAL__N_18offset_tEEE10hipError_tPvRmT1_PNSt15iterator_traitsISY_E10value_typeET2_T3_PNSZ_IS14_E10value_typeET4_jRbjT5_S1A_jjP12ihipStream_tbEUljE_EEESV_SW_SX_S14_S18_S1A_T6_T7_T9_mT8_S1C_bDpT10_ENKUlT_T0_E_clISt17integral_constantIbLb1EES1O_IbLb0EEEEDaS1K_S1L_EUlS1K_E_NS1_11comp_targetILNS1_3genE9ELNS1_11target_archE1100ELNS1_3gpuE3ELNS1_3repE0EEENS1_30default_config_static_selectorELNS0_4arch9wavefront6targetE0EEEvSY_
	.p2align	8
	.type	_ZN7rocprim17ROCPRIM_400000_NS6detail17trampoline_kernelINS0_13select_configILj256ELj13ELNS0_17block_load_methodE3ELS4_3ELS4_3ELNS0_20block_scan_algorithmE0ELj4294967295EEENS1_25partition_config_selectorILNS1_17partition_subalgoE3EjNS0_10empty_typeEbEEZZNS1_14partition_implILS8_3ELb0ES6_jNS0_17counting_iteratorIjlEEPS9_SE_NS0_5tupleIJPjSE_EEENSF_IJSE_SE_EEES9_SG_JZNS1_25segmented_radix_sort_implINS0_14default_configELb1EPKbPbPKlPlN2at6native12_GLOBAL__N_18offset_tEEE10hipError_tPvRmT1_PNSt15iterator_traitsISY_E10value_typeET2_T3_PNSZ_IS14_E10value_typeET4_jRbjT5_S1A_jjP12ihipStream_tbEUljE_EEESV_SW_SX_S14_S18_S1A_T6_T7_T9_mT8_S1C_bDpT10_ENKUlT_T0_E_clISt17integral_constantIbLb1EES1O_IbLb0EEEEDaS1K_S1L_EUlS1K_E_NS1_11comp_targetILNS1_3genE9ELNS1_11target_archE1100ELNS1_3gpuE3ELNS1_3repE0EEENS1_30default_config_static_selectorELNS0_4arch9wavefront6targetE0EEEvSY_,@function
_ZN7rocprim17ROCPRIM_400000_NS6detail17trampoline_kernelINS0_13select_configILj256ELj13ELNS0_17block_load_methodE3ELS4_3ELS4_3ELNS0_20block_scan_algorithmE0ELj4294967295EEENS1_25partition_config_selectorILNS1_17partition_subalgoE3EjNS0_10empty_typeEbEEZZNS1_14partition_implILS8_3ELb0ES6_jNS0_17counting_iteratorIjlEEPS9_SE_NS0_5tupleIJPjSE_EEENSF_IJSE_SE_EEES9_SG_JZNS1_25segmented_radix_sort_implINS0_14default_configELb1EPKbPbPKlPlN2at6native12_GLOBAL__N_18offset_tEEE10hipError_tPvRmT1_PNSt15iterator_traitsISY_E10value_typeET2_T3_PNSZ_IS14_E10value_typeET4_jRbjT5_S1A_jjP12ihipStream_tbEUljE_EEESV_SW_SX_S14_S18_S1A_T6_T7_T9_mT8_S1C_bDpT10_ENKUlT_T0_E_clISt17integral_constantIbLb1EES1O_IbLb0EEEEDaS1K_S1L_EUlS1K_E_NS1_11comp_targetILNS1_3genE9ELNS1_11target_archE1100ELNS1_3gpuE3ELNS1_3repE0EEENS1_30default_config_static_selectorELNS0_4arch9wavefront6targetE0EEEvSY_: ; @_ZN7rocprim17ROCPRIM_400000_NS6detail17trampoline_kernelINS0_13select_configILj256ELj13ELNS0_17block_load_methodE3ELS4_3ELS4_3ELNS0_20block_scan_algorithmE0ELj4294967295EEENS1_25partition_config_selectorILNS1_17partition_subalgoE3EjNS0_10empty_typeEbEEZZNS1_14partition_implILS8_3ELb0ES6_jNS0_17counting_iteratorIjlEEPS9_SE_NS0_5tupleIJPjSE_EEENSF_IJSE_SE_EEES9_SG_JZNS1_25segmented_radix_sort_implINS0_14default_configELb1EPKbPbPKlPlN2at6native12_GLOBAL__N_18offset_tEEE10hipError_tPvRmT1_PNSt15iterator_traitsISY_E10value_typeET2_T3_PNSZ_IS14_E10value_typeET4_jRbjT5_S1A_jjP12ihipStream_tbEUljE_EEESV_SW_SX_S14_S18_S1A_T6_T7_T9_mT8_S1C_bDpT10_ENKUlT_T0_E_clISt17integral_constantIbLb1EES1O_IbLb0EEEEDaS1K_S1L_EUlS1K_E_NS1_11comp_targetILNS1_3genE9ELNS1_11target_archE1100ELNS1_3gpuE3ELNS1_3repE0EEENS1_30default_config_static_selectorELNS0_4arch9wavefront6targetE0EEEvSY_
; %bb.0:
	s_clause 0x5
	s_load_b32 s2, s[0:1], 0x70
	s_load_b64 s[16:17], s[0:1], 0x10
	s_load_b64 s[12:13], s[0:1], 0x58
	s_load_b32 s18, s[0:1], 0x8
	s_load_b128 s[8:11], s[0:1], 0x48
	s_load_b128 s[4:7], s[0:1], 0x78
	s_mul_i32 s23, s15, 0xd00
	v_lshlrev_b32_e32 v30, 2, v0
	s_waitcnt lgkmcnt(0)
	s_mul_i32 s20, s2, 0xd00
	s_add_i32 s19, s2, -1
	s_add_u32 s2, s16, s20
	s_addc_u32 s3, s17, 0
	s_cmp_eq_u32 s15, s19
	v_cmp_lt_u64_e64 s3, s[2:3], s[12:13]
	s_cselect_b32 s14, -1, 0
	s_cmp_lg_u32 s15, s19
	s_cselect_b32 s21, -1, 0
	s_add_i32 s2, s18, s23
	s_delay_alu instid0(VALU_DEP_1)
	s_or_b32 s3, s21, s3
	s_add_i32 s18, s2, s16
	s_load_b32 s2, s[0:1], 0x88
	v_add_nc_u32_e32 v1, s18, v0
	s_load_b64 s[18:19], s[10:11], 0x0
	s_and_b32 vcc_lo, exec_lo, s3
	s_mov_b32 s10, -1
	s_delay_alu instid0(VALU_DEP_1)
	v_add_nc_u32_e32 v2, 0x100, v1
	v_add_nc_u32_e32 v3, 0x200, v1
	;; [unrolled: 1-line block ×12, first 2 shown]
	s_cbranch_vccz .LBB1522_2
; %bb.1:
	ds_store_2addr_stride64_b32 v30, v1, v2 offset1:4
	ds_store_2addr_stride64_b32 v30, v3, v4 offset0:8 offset1:12
	ds_store_2addr_stride64_b32 v30, v5, v6 offset0:16 offset1:20
	ds_store_2addr_stride64_b32 v30, v7, v8 offset0:24 offset1:28
	ds_store_2addr_stride64_b32 v30, v9, v10 offset0:32 offset1:36
	ds_store_2addr_stride64_b32 v30, v11, v12 offset0:40 offset1:44
	ds_store_b32 v30, v13 offset:12288
	s_waitcnt lgkmcnt(0)
	s_mov_b32 s10, 0
	s_barrier
.LBB1522_2:
	s_and_not1_b32 vcc_lo, exec_lo, s10
	s_add_i32 s20, s20, s16
	s_cbranch_vccnz .LBB1522_4
; %bb.3:
	ds_store_2addr_stride64_b32 v30, v1, v2 offset1:4
	ds_store_2addr_stride64_b32 v30, v3, v4 offset0:8 offset1:12
	ds_store_2addr_stride64_b32 v30, v5, v6 offset0:16 offset1:20
	;; [unrolled: 1-line block ×5, first 2 shown]
	ds_store_b32 v30, v13 offset:12288
	s_waitcnt lgkmcnt(0)
	s_barrier
.LBB1522_4:
	v_mul_u32_u24_e32 v33, 13, v0
	s_waitcnt lgkmcnt(0)
	buffer_gl0_inv
	v_cndmask_b32_e64 v31, 0, 1, s3
	s_sub_i32 s22, s12, s20
	s_and_not1_b32 vcc_lo, exec_lo, s3
	v_lshlrev_b32_e32 v1, 2, v33
	ds_load_2addr_b32 v[28:29], v1 offset1:1
	ds_load_2addr_b32 v[26:27], v1 offset0:2 offset1:3
	ds_load_2addr_b32 v[24:25], v1 offset0:4 offset1:5
	;; [unrolled: 1-line block ×5, first 2 shown]
	ds_load_b32 v32, v1 offset:48
	s_waitcnt lgkmcnt(0)
	s_barrier
	buffer_gl0_inv
	s_cbranch_vccnz .LBB1522_6
; %bb.5:
	v_add_nc_u32_e32 v1, s5, v28
	v_add_nc_u32_e32 v2, s7, v28
	;; [unrolled: 1-line block ×5, first 2 shown]
	v_mul_lo_u32 v1, v1, s4
	v_mul_lo_u32 v2, v2, s6
	;; [unrolled: 1-line block ×4, first 2 shown]
	v_add_nc_u32_e32 v6, s7, v26
	v_add_nc_u32_e32 v7, s5, v27
	v_add_nc_u32_e32 v8, s7, v27
	v_mul_lo_u32 v5, v5, s4
	v_add_nc_u32_e32 v9, s5, v22
	v_sub_nc_u32_e32 v1, v1, v2
	v_mul_lo_u32 v2, v6, s6
	v_sub_nc_u32_e32 v3, v3, v4
	v_mul_lo_u32 v4, v7, s4
	v_mul_lo_u32 v6, v8, s6
	v_add_nc_u32_e32 v7, s5, v24
	v_cmp_lt_u32_e32 vcc_lo, s2, v1
	v_add_nc_u32_e32 v8, s5, v25
	v_add_nc_u32_e32 v10, s7, v22
	v_sub_nc_u32_e32 v2, v5, v2
	v_add_nc_u32_e32 v5, s7, v24
	v_cndmask_b32_e64 v1, 0, 1, vcc_lo
	v_sub_nc_u32_e32 v4, v4, v6
	v_mul_lo_u32 v6, v7, s4
	v_add_nc_u32_e32 v7, s7, v25
	v_cmp_lt_u32_e32 vcc_lo, s2, v3
	v_mul_lo_u32 v5, v5, s6
	v_mul_lo_u32 v8, v8, s4
	;; [unrolled: 1-line block ×4, first 2 shown]
	v_cndmask_b32_e64 v3, 0, 1, vcc_lo
	v_cmp_lt_u32_e32 vcc_lo, s2, v2
	v_mul_lo_u32 v10, v10, s6
	v_add_nc_u32_e32 v11, s5, v20
	v_sub_nc_u32_e32 v5, v6, v5
	v_add_nc_u32_e32 v12, s7, v20
	v_cndmask_b32_e64 v2, 0, 1, vcc_lo
	v_sub_nc_u32_e32 v6, v8, v7
	v_add_nc_u32_e32 v7, s5, v23
	v_add_nc_u32_e32 v8, s7, v23
	v_cmp_lt_u32_e32 vcc_lo, s2, v4
	v_sub_nc_u32_e32 v9, v9, v10
	v_mul_lo_u32 v10, v11, s4
	v_mul_lo_u32 v7, v7, s4
	;; [unrolled: 1-line block ×4, first 2 shown]
	v_cndmask_b32_e64 v4, 0, 1, vcc_lo
	v_cmp_lt_u32_e32 vcc_lo, s2, v5
	v_add_nc_u32_e32 v12, s5, v21
	v_add_nc_u32_e32 v13, s7, v18
	;; [unrolled: 1-line block ×4, first 2 shown]
	v_cndmask_b32_e64 v5, 0, 1, vcc_lo
	v_cmp_lt_u32_e32 vcc_lo, s2, v6
	v_sub_nc_u32_e32 v7, v7, v8
	v_sub_nc_u32_e32 v8, v10, v11
	v_add_nc_u32_e32 v11, s7, v21
	v_mul_lo_u32 v10, v12, s4
	v_cndmask_b32_e64 v6, 0, 1, vcc_lo
	v_cmp_lt_u32_e32 vcc_lo, s2, v9
	v_add_nc_u32_e32 v12, s5, v18
	v_mul_lo_u32 v11, v11, s6
	v_mul_lo_u32 v13, v13, s6
	;; [unrolled: 1-line block ×3, first 2 shown]
	v_cndmask_b32_e64 v9, 0, 1, vcc_lo
	v_cmp_lt_u32_e32 vcc_lo, s2, v7
	v_mul_lo_u32 v12, v12, s4
	v_mul_lo_u32 v15, v15, s6
	v_lshlrev_b16 v3, 8, v3
	v_sub_nc_u32_e32 v10, v10, v11
	v_cndmask_b32_e64 v7, 0, 1, vcc_lo
	v_cmp_lt_u32_e32 vcc_lo, s2, v8
	v_add_nc_u32_e32 v11, s5, v32
	v_or_b32_e32 v1, v1, v3
	v_sub_nc_u32_e32 v12, v12, v13
	v_sub_nc_u32_e32 v13, v14, v15
	v_cndmask_b32_e64 v8, 0, 1, vcc_lo
	v_cmp_lt_u32_e32 vcc_lo, s2, v10
	v_add_nc_u32_e32 v16, s7, v32
	v_mul_lo_u32 v11, v11, s4
	v_lshlrev_b16 v4, 8, v4
	v_lshlrev_b16 v6, 8, v6
	v_cndmask_b32_e64 v10, 0, 1, vcc_lo
	v_cmp_lt_u32_e32 vcc_lo, s2, v12
	v_mul_lo_u32 v14, v16, s6
	v_lshlrev_b16 v7, 8, v7
	v_or_b32_e32 v2, v2, v4
	v_lshlrev_b16 v10, 8, v10
	v_cndmask_b32_e64 v3, 0, 1, vcc_lo
	v_cmp_lt_u32_e32 vcc_lo, s2, v13
	v_or_b32_e32 v4, v5, v6
	v_or_b32_e32 v5, v9, v7
	v_sub_nc_u32_e32 v11, v11, v14
	v_or_b32_e32 v6, v8, v10
	v_cndmask_b32_e64 v12, 0, 1, vcc_lo
	v_and_b32_e32 v1, 0xffff, v1
	v_lshlrev_b32_e32 v2, 16, v2
	v_and_b32_e32 v4, 0xffff, v4
	v_lshlrev_b32_e32 v5, 16, v5
	v_lshlrev_b16 v12, 8, v12
	v_and_b32_e32 v6, 0xffff, v6
	v_cmp_lt_u32_e32 vcc_lo, s2, v11
	v_or_b32_e32 v39, v1, v2
	v_or_b32_e32 v37, v4, v5
	;; [unrolled: 1-line block ×3, first 2 shown]
	s_mov_b32 s3, 0
	v_cndmask_b32_e64 v34, 0, 1, vcc_lo
	s_delay_alu instid0(VALU_DEP_2) | instskip(NEXT) | instid1(VALU_DEP_1)
	v_lshlrev_b32_e32 v3, 16, v3
	v_or_b32_e32 v35, v6, v3
	s_branch .LBB1522_7
.LBB1522_6:
	s_mov_b32 s3, -1
                                        ; implicit-def: $vgpr34
                                        ; implicit-def: $vgpr35
                                        ; implicit-def: $vgpr37
                                        ; implicit-def: $vgpr39
.LBB1522_7:
	s_clause 0x1
	s_load_b64 s[10:11], s[0:1], 0x28
	s_load_b64 s[20:21], s[0:1], 0x68
	s_and_not1_b32 vcc_lo, exec_lo, s3
	s_addk_i32 s22, 0xd00
	s_cbranch_vccnz .LBB1522_35
; %bb.8:
	v_dual_mov_b32 v2, 0 :: v_dual_mov_b32 v1, 0
	s_mov_b32 s0, exec_lo
	v_cmpx_gt_u32_e64 s22, v33
; %bb.9:
	v_add_nc_u32_e32 v1, s5, v28
	v_add_nc_u32_e32 v3, s7, v28
	s_delay_alu instid0(VALU_DEP_2) | instskip(NEXT) | instid1(VALU_DEP_2)
	v_mul_lo_u32 v1, v1, s4
	v_mul_lo_u32 v3, v3, s6
	s_delay_alu instid0(VALU_DEP_1) | instskip(NEXT) | instid1(VALU_DEP_1)
	v_sub_nc_u32_e32 v1, v1, v3
	v_cmp_lt_u32_e32 vcc_lo, s2, v1
	v_cndmask_b32_e64 v1, 0, 1, vcc_lo
; %bb.10:
	s_or_b32 exec_lo, exec_lo, s0
	v_add_nc_u32_e32 v3, 1, v33
	s_mov_b32 s0, exec_lo
	s_delay_alu instid0(VALU_DEP_1)
	v_cmpx_gt_u32_e64 s22, v3
; %bb.11:
	v_add_nc_u32_e32 v2, s5, v29
	v_add_nc_u32_e32 v3, s7, v29
	s_delay_alu instid0(VALU_DEP_2) | instskip(NEXT) | instid1(VALU_DEP_2)
	v_mul_lo_u32 v2, v2, s4
	v_mul_lo_u32 v3, v3, s6
	s_delay_alu instid0(VALU_DEP_1) | instskip(NEXT) | instid1(VALU_DEP_1)
	v_sub_nc_u32_e32 v2, v2, v3
	v_cmp_lt_u32_e32 vcc_lo, s2, v2
	v_cndmask_b32_e64 v2, 0, 1, vcc_lo
; %bb.12:
	s_or_b32 exec_lo, exec_lo, s0
	v_dual_mov_b32 v4, 0 :: v_dual_add_nc_u32 v3, 2, v33
	s_delay_alu instid0(VALU_DEP_1)
	v_cmp_gt_u32_e32 vcc_lo, s22, v3
	v_mov_b32_e32 v3, 0
	s_and_saveexec_b32 s0, vcc_lo
; %bb.13:
	v_add_nc_u32_e32 v3, s5, v26
	v_add_nc_u32_e32 v5, s7, v26
	s_delay_alu instid0(VALU_DEP_2) | instskip(NEXT) | instid1(VALU_DEP_2)
	v_mul_lo_u32 v3, v3, s4
	v_mul_lo_u32 v5, v5, s6
	s_delay_alu instid0(VALU_DEP_1) | instskip(NEXT) | instid1(VALU_DEP_1)
	v_sub_nc_u32_e32 v3, v3, v5
	v_cmp_lt_u32_e32 vcc_lo, s2, v3
	v_cndmask_b32_e64 v3, 0, 1, vcc_lo
; %bb.14:
	s_or_b32 exec_lo, exec_lo, s0
	v_add_nc_u32_e32 v5, 3, v33
	s_mov_b32 s0, exec_lo
	s_delay_alu instid0(VALU_DEP_1)
	v_cmpx_gt_u32_e64 s22, v5
; %bb.15:
	v_add_nc_u32_e32 v4, s5, v27
	v_add_nc_u32_e32 v5, s7, v27
	s_delay_alu instid0(VALU_DEP_2) | instskip(NEXT) | instid1(VALU_DEP_2)
	v_mul_lo_u32 v4, v4, s4
	v_mul_lo_u32 v5, v5, s6
	s_delay_alu instid0(VALU_DEP_1) | instskip(NEXT) | instid1(VALU_DEP_1)
	v_sub_nc_u32_e32 v4, v4, v5
	v_cmp_lt_u32_e32 vcc_lo, s2, v4
	v_cndmask_b32_e64 v4, 0, 1, vcc_lo
; %bb.16:
	s_or_b32 exec_lo, exec_lo, s0
	v_dual_mov_b32 v6, 0 :: v_dual_add_nc_u32 v5, 4, v33
	s_delay_alu instid0(VALU_DEP_1)
	v_cmp_gt_u32_e32 vcc_lo, s22, v5
	v_mov_b32_e32 v5, 0
	s_and_saveexec_b32 s0, vcc_lo
	;; [unrolled: 33-line block ×5, first 2 shown]
; %bb.29:
	v_add_nc_u32_e32 v11, s5, v18
	v_add_nc_u32_e32 v13, s7, v18
	s_delay_alu instid0(VALU_DEP_2) | instskip(NEXT) | instid1(VALU_DEP_2)
	v_mul_lo_u32 v11, v11, s4
	v_mul_lo_u32 v13, v13, s6
	s_delay_alu instid0(VALU_DEP_1) | instskip(NEXT) | instid1(VALU_DEP_1)
	v_sub_nc_u32_e32 v11, v11, v13
	v_cmp_lt_u32_e32 vcc_lo, s2, v11
	v_cndmask_b32_e64 v11, 0, 1, vcc_lo
; %bb.30:
	s_or_b32 exec_lo, exec_lo, s0
	v_add_nc_u32_e32 v13, 11, v33
	s_mov_b32 s0, exec_lo
	s_delay_alu instid0(VALU_DEP_1)
	v_cmpx_gt_u32_e64 s22, v13
; %bb.31:
	v_add_nc_u32_e32 v12, s5, v19
	v_add_nc_u32_e32 v13, s7, v19
	s_delay_alu instid0(VALU_DEP_2) | instskip(NEXT) | instid1(VALU_DEP_2)
	v_mul_lo_u32 v12, v12, s4
	v_mul_lo_u32 v13, v13, s6
	s_delay_alu instid0(VALU_DEP_1) | instskip(NEXT) | instid1(VALU_DEP_1)
	v_sub_nc_u32_e32 v12, v12, v13
	v_cmp_lt_u32_e32 vcc_lo, s2, v12
	v_cndmask_b32_e64 v12, 0, 1, vcc_lo
; %bb.32:
	s_or_b32 exec_lo, exec_lo, s0
	v_dual_mov_b32 v34, 0 :: v_dual_add_nc_u32 v13, 12, v33
	s_mov_b32 s0, exec_lo
	s_delay_alu instid0(VALU_DEP_1)
	v_cmpx_gt_u32_e64 s22, v13
; %bb.33:
	v_add_nc_u32_e32 v13, s5, v32
	v_add_nc_u32_e32 v14, s7, v32
	s_delay_alu instid0(VALU_DEP_2) | instskip(NEXT) | instid1(VALU_DEP_2)
	v_mul_lo_u32 v13, v13, s4
	v_mul_lo_u32 v14, v14, s6
	s_delay_alu instid0(VALU_DEP_1) | instskip(NEXT) | instid1(VALU_DEP_1)
	v_sub_nc_u32_e32 v13, v13, v14
	v_cmp_lt_u32_e32 vcc_lo, s2, v13
	v_cndmask_b32_e64 v34, 0, 1, vcc_lo
; %bb.34:
	s_or_b32 exec_lo, exec_lo, s0
	v_lshlrev_b16 v2, 8, v2
	v_lshlrev_b16 v4, 8, v4
	;; [unrolled: 1-line block ×5, first 2 shown]
	v_or_b32_e32 v1, v1, v2
	v_lshlrev_b16 v2, 8, v12
	v_or_b32_e32 v3, v3, v4
	v_or_b32_e32 v4, v5, v6
	;; [unrolled: 1-line block ×5, first 2 shown]
	v_and_b32_e32 v1, 0xffff, v1
	v_lshlrev_b32_e32 v3, 16, v3
	v_and_b32_e32 v4, 0xffff, v4
	v_lshlrev_b32_e32 v5, 16, v5
	;; [unrolled: 2-line block ×3, first 2 shown]
	v_or_b32_e32 v39, v1, v3
	s_delay_alu instid0(VALU_DEP_4) | instskip(NEXT) | instid1(VALU_DEP_3)
	v_or_b32_e32 v37, v4, v5
	v_or_b32_e32 v35, v6, v2
.LBB1522_35:
	s_delay_alu instid0(VALU_DEP_3)
	v_and_b32_e32 v41, 0xff, v39
	v_bfe_u32 v42, v39, 8, 8
	v_bfe_u32 v43, v39, 16, 8
	v_lshrrev_b32_e32 v40, 24, v39
	v_and_b32_e32 v44, 0xff, v37
	v_bfe_u32 v45, v37, 8, 8
	v_bfe_u32 v46, v37, 16, 8
	v_add3_u32 v1, v42, v41, v43
	v_lshrrev_b32_e32 v38, 24, v37
	v_and_b32_e32 v47, 0xff, v35
	v_bfe_u32 v48, v35, 8, 8
	v_mbcnt_lo_u32_b32 v50, -1, 0
	v_add3_u32 v1, v1, v40, v44
	v_bfe_u32 v49, v35, 16, 8
	v_lshrrev_b32_e32 v36, 24, v35
	v_and_b32_e32 v2, 0xff, v34
	v_and_b32_e32 v3, 15, v50
	v_add3_u32 v1, v1, v45, v46
	v_or_b32_e32 v4, 31, v0
	v_and_b32_e32 v5, 16, v50
	v_lshrrev_b32_e32 v51, 5, v0
	v_cmp_eq_u32_e64 s5, 0, v3
	v_add3_u32 v1, v1, v38, v47
	v_cmp_lt_u32_e64 s4, 1, v3
	v_cmp_lt_u32_e64 s3, 3, v3
	v_cmp_lt_u32_e64 s2, 7, v3
	v_cmp_eq_u32_e64 s1, 0, v5
	v_add3_u32 v1, v1, v48, v49
	v_cmp_eq_u32_e64 s0, v4, v0
	s_cmp_lg_u32 s15, 0
	s_mov_b32 s6, -1
	s_delay_alu instid0(VALU_DEP_2)
	v_add3_u32 v52, v1, v36, v2
	s_cbranch_scc0 .LBB1522_66
; %bb.36:
	s_delay_alu instid0(VALU_DEP_1) | instskip(NEXT) | instid1(VALU_DEP_1)
	v_mov_b32_dpp v1, v52 row_shr:1 row_mask:0xf bank_mask:0xf
	v_cndmask_b32_e64 v1, v1, 0, s5
	s_delay_alu instid0(VALU_DEP_1) | instskip(NEXT) | instid1(VALU_DEP_1)
	v_add_nc_u32_e32 v1, v1, v52
	v_mov_b32_dpp v2, v1 row_shr:2 row_mask:0xf bank_mask:0xf
	s_delay_alu instid0(VALU_DEP_1) | instskip(NEXT) | instid1(VALU_DEP_1)
	v_cndmask_b32_e64 v2, 0, v2, s4
	v_add_nc_u32_e32 v1, v1, v2
	s_delay_alu instid0(VALU_DEP_1) | instskip(NEXT) | instid1(VALU_DEP_1)
	v_mov_b32_dpp v2, v1 row_shr:4 row_mask:0xf bank_mask:0xf
	v_cndmask_b32_e64 v2, 0, v2, s3
	s_delay_alu instid0(VALU_DEP_1) | instskip(NEXT) | instid1(VALU_DEP_1)
	v_add_nc_u32_e32 v1, v1, v2
	v_mov_b32_dpp v2, v1 row_shr:8 row_mask:0xf bank_mask:0xf
	s_delay_alu instid0(VALU_DEP_1) | instskip(NEXT) | instid1(VALU_DEP_1)
	v_cndmask_b32_e64 v2, 0, v2, s2
	v_add_nc_u32_e32 v1, v1, v2
	ds_swizzle_b32 v2, v1 offset:swizzle(BROADCAST,32,15)
	s_waitcnt lgkmcnt(0)
	v_cndmask_b32_e64 v2, v2, 0, s1
	s_delay_alu instid0(VALU_DEP_1)
	v_add_nc_u32_e32 v1, v1, v2
	s_and_saveexec_b32 s6, s0
	s_cbranch_execz .LBB1522_38
; %bb.37:
	v_lshlrev_b32_e32 v2, 2, v51
	ds_store_b32 v2, v1
.LBB1522_38:
	s_or_b32 exec_lo, exec_lo, s6
	s_delay_alu instid0(SALU_CYCLE_1)
	s_mov_b32 s6, exec_lo
	s_waitcnt lgkmcnt(0)
	s_barrier
	buffer_gl0_inv
	v_cmpx_gt_u32_e32 8, v0
	s_cbranch_execz .LBB1522_40
; %bb.39:
	ds_load_b32 v2, v30
	s_waitcnt lgkmcnt(0)
	v_mov_b32_dpp v4, v2 row_shr:1 row_mask:0xf bank_mask:0xf
	v_and_b32_e32 v3, 7, v50
	s_delay_alu instid0(VALU_DEP_1) | instskip(NEXT) | instid1(VALU_DEP_3)
	v_cmp_ne_u32_e32 vcc_lo, 0, v3
	v_cndmask_b32_e32 v4, 0, v4, vcc_lo
	v_cmp_lt_u32_e32 vcc_lo, 1, v3
	s_delay_alu instid0(VALU_DEP_2) | instskip(NEXT) | instid1(VALU_DEP_1)
	v_add_nc_u32_e32 v2, v4, v2
	v_mov_b32_dpp v4, v2 row_shr:2 row_mask:0xf bank_mask:0xf
	s_delay_alu instid0(VALU_DEP_1) | instskip(SKIP_1) | instid1(VALU_DEP_2)
	v_cndmask_b32_e32 v4, 0, v4, vcc_lo
	v_cmp_lt_u32_e32 vcc_lo, 3, v3
	v_add_nc_u32_e32 v2, v2, v4
	s_delay_alu instid0(VALU_DEP_1) | instskip(NEXT) | instid1(VALU_DEP_1)
	v_mov_b32_dpp v4, v2 row_shr:4 row_mask:0xf bank_mask:0xf
	v_cndmask_b32_e32 v3, 0, v4, vcc_lo
	s_delay_alu instid0(VALU_DEP_1)
	v_add_nc_u32_e32 v2, v2, v3
	ds_store_b32 v30, v2
.LBB1522_40:
	s_or_b32 exec_lo, exec_lo, s6
	v_cmp_gt_u32_e32 vcc_lo, 32, v0
	s_mov_b32 s7, exec_lo
	s_waitcnt lgkmcnt(0)
	s_barrier
	buffer_gl0_inv
                                        ; implicit-def: $vgpr8
	v_cmpx_lt_u32_e32 31, v0
	s_cbranch_execz .LBB1522_42
; %bb.41:
	v_lshl_add_u32 v2, v51, 2, -4
	ds_load_b32 v8, v2
	s_waitcnt lgkmcnt(0)
	v_add_nc_u32_e32 v1, v8, v1
.LBB1522_42:
	s_or_b32 exec_lo, exec_lo, s7
	v_add_nc_u32_e32 v2, -1, v50
	s_delay_alu instid0(VALU_DEP_1) | instskip(NEXT) | instid1(VALU_DEP_1)
	v_cmp_gt_i32_e64 s6, 0, v2
	v_cndmask_b32_e64 v2, v2, v50, s6
	v_cmp_eq_u32_e64 s6, 0, v50
	s_delay_alu instid0(VALU_DEP_2)
	v_lshlrev_b32_e32 v2, 2, v2
	ds_bpermute_b32 v9, v2, v1
	s_and_saveexec_b32 s7, vcc_lo
	s_cbranch_execz .LBB1522_65
; %bb.43:
	v_mov_b32_e32 v4, 0
	ds_load_b32 v1, v4 offset:28
	s_and_saveexec_b32 s24, s6
	s_cbranch_execz .LBB1522_45
; %bb.44:
	s_add_i32 s26, s15, 32
	s_mov_b32 s27, 0
	v_mov_b32_e32 v2, 1
	s_lshl_b64 s[26:27], s[26:27], 3
	s_delay_alu instid0(SALU_CYCLE_1)
	s_add_u32 s26, s20, s26
	s_addc_u32 s27, s21, s27
	s_waitcnt lgkmcnt(0)
	global_store_b64 v4, v[1:2], s[26:27]
.LBB1522_45:
	s_or_b32 exec_lo, exec_lo, s24
	v_xad_u32 v2, v50, -1, s15
	s_mov_b32 s25, 0
	s_mov_b32 s24, exec_lo
	s_delay_alu instid0(VALU_DEP_1) | instskip(NEXT) | instid1(VALU_DEP_1)
	v_add_nc_u32_e32 v3, 32, v2
	v_lshlrev_b64 v[3:4], 3, v[3:4]
	s_delay_alu instid0(VALU_DEP_1) | instskip(NEXT) | instid1(VALU_DEP_2)
	v_add_co_u32 v6, vcc_lo, s20, v3
	v_add_co_ci_u32_e32 v7, vcc_lo, s21, v4, vcc_lo
	global_load_b64 v[4:5], v[6:7], off glc
	s_waitcnt vmcnt(0)
	v_and_b32_e32 v3, 0xff, v5
	s_delay_alu instid0(VALU_DEP_1)
	v_cmpx_eq_u16_e32 0, v3
	s_cbranch_execz .LBB1522_51
; %bb.46:
	s_mov_b32 s26, 1
	.p2align	6
.LBB1522_47:                            ; =>This Loop Header: Depth=1
                                        ;     Child Loop BB1522_48 Depth 2
	s_delay_alu instid0(SALU_CYCLE_1)
	s_max_u32 s27, s26, 1
.LBB1522_48:                            ;   Parent Loop BB1522_47 Depth=1
                                        ; =>  This Inner Loop Header: Depth=2
	s_delay_alu instid0(SALU_CYCLE_1)
	s_add_i32 s27, s27, -1
	s_sleep 1
	s_cmp_eq_u32 s27, 0
	s_cbranch_scc0 .LBB1522_48
; %bb.49:                               ;   in Loop: Header=BB1522_47 Depth=1
	global_load_b64 v[4:5], v[6:7], off glc
	s_cmp_lt_u32 s26, 32
	s_cselect_b32 s27, -1, 0
	s_delay_alu instid0(SALU_CYCLE_1) | instskip(SKIP_3) | instid1(VALU_DEP_1)
	s_cmp_lg_u32 s27, 0
	s_addc_u32 s26, s26, 0
	s_waitcnt vmcnt(0)
	v_and_b32_e32 v3, 0xff, v5
	v_cmp_ne_u16_e32 vcc_lo, 0, v3
	s_or_b32 s25, vcc_lo, s25
	s_delay_alu instid0(SALU_CYCLE_1)
	s_and_not1_b32 exec_lo, exec_lo, s25
	s_cbranch_execnz .LBB1522_47
; %bb.50:
	s_or_b32 exec_lo, exec_lo, s25
.LBB1522_51:
	s_delay_alu instid0(SALU_CYCLE_1)
	s_or_b32 exec_lo, exec_lo, s24
	v_cmp_ne_u32_e32 vcc_lo, 31, v50
	v_lshlrev_b32_e64 v11, v50, -1
	v_add_nc_u32_e32 v13, 2, v50
	v_add_nc_u32_e32 v16, 4, v50
	;; [unrolled: 1-line block ×3, first 2 shown]
	v_add_co_ci_u32_e32 v3, vcc_lo, 0, v50, vcc_lo
	v_add_nc_u32_e32 v55, 16, v50
	s_delay_alu instid0(VALU_DEP_2) | instskip(SKIP_2) | instid1(VALU_DEP_1)
	v_lshlrev_b32_e32 v10, 2, v3
	ds_bpermute_b32 v6, v10, v4
	v_and_b32_e32 v3, 0xff, v5
	v_cmp_eq_u16_e32 vcc_lo, 2, v3
	v_and_or_b32 v3, vcc_lo, v11, 0x80000000
	v_cmp_gt_u32_e32 vcc_lo, 30, v50
	s_delay_alu instid0(VALU_DEP_2) | instskip(SKIP_1) | instid1(VALU_DEP_2)
	v_ctz_i32_b32_e32 v3, v3
	v_cndmask_b32_e64 v7, 0, 1, vcc_lo
	v_cmp_lt_u32_e32 vcc_lo, v50, v3
	s_waitcnt lgkmcnt(0)
	s_delay_alu instid0(VALU_DEP_2) | instskip(NEXT) | instid1(VALU_DEP_1)
	v_dual_cndmask_b32 v6, 0, v6 :: v_dual_lshlrev_b32 v7, 1, v7
	v_add_lshl_u32 v12, v7, v50, 2
	v_cmp_gt_u32_e32 vcc_lo, 28, v50
	s_delay_alu instid0(VALU_DEP_3) | instskip(SKIP_4) | instid1(VALU_DEP_1)
	v_add_nc_u32_e32 v4, v6, v4
	v_cndmask_b32_e64 v7, 0, 1, vcc_lo
	v_cmp_le_u32_e32 vcc_lo, v13, v3
	ds_bpermute_b32 v6, v12, v4
	v_lshlrev_b32_e32 v7, 2, v7
	v_add_lshl_u32 v14, v7, v50, 2
	s_waitcnt lgkmcnt(0)
	v_cndmask_b32_e32 v6, 0, v6, vcc_lo
	v_cmp_gt_u32_e32 vcc_lo, 24, v50
	s_delay_alu instid0(VALU_DEP_2) | instskip(SKIP_4) | instid1(VALU_DEP_1)
	v_add_nc_u32_e32 v4, v4, v6
	v_cndmask_b32_e64 v7, 0, 1, vcc_lo
	v_cmp_le_u32_e32 vcc_lo, v16, v3
	ds_bpermute_b32 v6, v14, v4
	v_lshlrev_b32_e32 v7, 3, v7
	v_add_lshl_u32 v17, v7, v50, 2
	s_waitcnt lgkmcnt(0)
	v_cndmask_b32_e32 v6, 0, v6, vcc_lo
	v_cmp_gt_u32_e32 vcc_lo, 16, v50
	s_delay_alu instid0(VALU_DEP_2) | instskip(SKIP_4) | instid1(VALU_DEP_1)
	v_add_nc_u32_e32 v4, v4, v6
	v_cndmask_b32_e64 v7, 0, 1, vcc_lo
	v_cmp_le_u32_e32 vcc_lo, v53, v3
	ds_bpermute_b32 v6, v17, v4
	v_lshlrev_b32_e32 v7, 4, v7
	v_add_lshl_u32 v54, v7, v50, 2
	s_waitcnt lgkmcnt(0)
	v_cndmask_b32_e32 v6, 0, v6, vcc_lo
	v_cmp_le_u32_e32 vcc_lo, v55, v3
	s_delay_alu instid0(VALU_DEP_2) | instskip(SKIP_3) | instid1(VALU_DEP_1)
	v_add_nc_u32_e32 v4, v4, v6
	ds_bpermute_b32 v6, v54, v4
	s_waitcnt lgkmcnt(0)
	v_cndmask_b32_e32 v3, 0, v6, vcc_lo
	v_dual_mov_b32 v3, 0 :: v_dual_add_nc_u32 v4, v4, v3
	s_branch .LBB1522_53
.LBB1522_52:                            ;   in Loop: Header=BB1522_53 Depth=1
	s_or_b32 exec_lo, exec_lo, s24
	ds_bpermute_b32 v7, v10, v4
	v_and_b32_e32 v6, 0xff, v5
	v_subrev_nc_u32_e32 v2, 32, v2
	s_delay_alu instid0(VALU_DEP_2) | instskip(SKIP_1) | instid1(VALU_DEP_1)
	v_cmp_eq_u16_e32 vcc_lo, 2, v6
	v_and_or_b32 v6, vcc_lo, v11, 0x80000000
	v_ctz_i32_b32_e32 v6, v6
	s_delay_alu instid0(VALU_DEP_1) | instskip(SKIP_3) | instid1(VALU_DEP_2)
	v_cmp_lt_u32_e32 vcc_lo, v50, v6
	s_waitcnt lgkmcnt(0)
	v_cndmask_b32_e32 v7, 0, v7, vcc_lo
	v_cmp_le_u32_e32 vcc_lo, v13, v6
	v_add_nc_u32_e32 v4, v7, v4
	ds_bpermute_b32 v7, v12, v4
	s_waitcnt lgkmcnt(0)
	v_cndmask_b32_e32 v7, 0, v7, vcc_lo
	v_cmp_le_u32_e32 vcc_lo, v16, v6
	s_delay_alu instid0(VALU_DEP_2) | instskip(SKIP_4) | instid1(VALU_DEP_2)
	v_add_nc_u32_e32 v4, v4, v7
	ds_bpermute_b32 v7, v14, v4
	s_waitcnt lgkmcnt(0)
	v_cndmask_b32_e32 v7, 0, v7, vcc_lo
	v_cmp_le_u32_e32 vcc_lo, v53, v6
	v_add_nc_u32_e32 v4, v4, v7
	ds_bpermute_b32 v7, v17, v4
	s_waitcnt lgkmcnt(0)
	v_cndmask_b32_e32 v7, 0, v7, vcc_lo
	v_cmp_le_u32_e32 vcc_lo, v55, v6
	s_delay_alu instid0(VALU_DEP_2) | instskip(SKIP_3) | instid1(VALU_DEP_1)
	v_add_nc_u32_e32 v4, v4, v7
	ds_bpermute_b32 v7, v54, v4
	s_waitcnt lgkmcnt(0)
	v_cndmask_b32_e32 v6, 0, v7, vcc_lo
	v_add3_u32 v4, v6, v15, v4
.LBB1522_53:                            ; =>This Loop Header: Depth=1
                                        ;     Child Loop BB1522_56 Depth 2
                                        ;       Child Loop BB1522_57 Depth 3
	v_and_b32_e32 v5, 0xff, v5
	s_delay_alu instid0(VALU_DEP_2) | instskip(NEXT) | instid1(VALU_DEP_2)
	v_mov_b32_e32 v15, v4
	v_cmp_ne_u16_e32 vcc_lo, 2, v5
	v_cndmask_b32_e64 v5, 0, 1, vcc_lo
	;;#ASMSTART
	;;#ASMEND
	s_delay_alu instid0(VALU_DEP_1)
	v_cmp_ne_u32_e32 vcc_lo, 0, v5
	s_cmp_lg_u32 vcc_lo, exec_lo
	s_cbranch_scc1 .LBB1522_60
; %bb.54:                               ;   in Loop: Header=BB1522_53 Depth=1
	v_lshlrev_b64 v[4:5], 3, v[2:3]
	s_mov_b32 s24, exec_lo
	s_delay_alu instid0(VALU_DEP_1) | instskip(NEXT) | instid1(VALU_DEP_2)
	v_add_co_u32 v6, vcc_lo, s20, v4
	v_add_co_ci_u32_e32 v7, vcc_lo, s21, v5, vcc_lo
	global_load_b64 v[4:5], v[6:7], off glc
	s_waitcnt vmcnt(0)
	v_and_b32_e32 v56, 0xff, v5
	s_delay_alu instid0(VALU_DEP_1)
	v_cmpx_eq_u16_e32 0, v56
	s_cbranch_execz .LBB1522_52
; %bb.55:                               ;   in Loop: Header=BB1522_53 Depth=1
	s_mov_b32 s26, 1
	s_mov_b32 s25, 0
	.p2align	6
.LBB1522_56:                            ;   Parent Loop BB1522_53 Depth=1
                                        ; =>  This Loop Header: Depth=2
                                        ;       Child Loop BB1522_57 Depth 3
	s_max_u32 s27, s26, 1
.LBB1522_57:                            ;   Parent Loop BB1522_53 Depth=1
                                        ;     Parent Loop BB1522_56 Depth=2
                                        ; =>    This Inner Loop Header: Depth=3
	s_delay_alu instid0(SALU_CYCLE_1)
	s_add_i32 s27, s27, -1
	s_sleep 1
	s_cmp_eq_u32 s27, 0
	s_cbranch_scc0 .LBB1522_57
; %bb.58:                               ;   in Loop: Header=BB1522_56 Depth=2
	global_load_b64 v[4:5], v[6:7], off glc
	s_cmp_lt_u32 s26, 32
	s_cselect_b32 s27, -1, 0
	s_delay_alu instid0(SALU_CYCLE_1) | instskip(SKIP_3) | instid1(VALU_DEP_1)
	s_cmp_lg_u32 s27, 0
	s_addc_u32 s26, s26, 0
	s_waitcnt vmcnt(0)
	v_and_b32_e32 v56, 0xff, v5
	v_cmp_ne_u16_e32 vcc_lo, 0, v56
	s_or_b32 s25, vcc_lo, s25
	s_delay_alu instid0(SALU_CYCLE_1)
	s_and_not1_b32 exec_lo, exec_lo, s25
	s_cbranch_execnz .LBB1522_56
; %bb.59:                               ;   in Loop: Header=BB1522_53 Depth=1
	s_or_b32 exec_lo, exec_lo, s25
	s_branch .LBB1522_52
.LBB1522_60:                            ;   in Loop: Header=BB1522_53 Depth=1
                                        ; implicit-def: $vgpr4
                                        ; implicit-def: $vgpr5
	s_cbranch_execz .LBB1522_53
; %bb.61:
	s_and_saveexec_b32 s24, s6
	s_cbranch_execz .LBB1522_63
; %bb.62:
	s_add_i32 s26, s15, 32
	s_mov_b32 s27, 0
	v_dual_mov_b32 v3, 2 :: v_dual_add_nc_u32 v2, v15, v1
	s_lshl_b64 s[26:27], s[26:27], 3
	v_mov_b32_e32 v4, 0
	v_add_nc_u32_e64 v5, 0x3400, 0
	s_add_u32 s26, s20, s26
	s_addc_u32 s27, s21, s27
	global_store_b64 v4, v[2:3], s[26:27]
	ds_store_2addr_b32 v5, v1, v15 offset1:2
.LBB1522_63:
	s_or_b32 exec_lo, exec_lo, s24
	v_cmp_eq_u32_e32 vcc_lo, 0, v0
	s_and_b32 exec_lo, exec_lo, vcc_lo
	s_cbranch_execz .LBB1522_65
; %bb.64:
	v_mov_b32_e32 v1, 0
	ds_store_b32 v1, v15 offset:28
.LBB1522_65:
	s_or_b32 exec_lo, exec_lo, s7
	s_waitcnt lgkmcnt(0)
	v_cndmask_b32_e64 v2, v9, v8, s6
	v_cmp_ne_u32_e32 vcc_lo, 0, v0
	v_mov_b32_e32 v1, 0
	s_waitcnt_vscnt null, 0x0
	s_barrier
	buffer_gl0_inv
	v_cndmask_b32_e32 v2, 0, v2, vcc_lo
	ds_load_b32 v1, v1 offset:28
	v_add_nc_u32_e64 v11, 0x3400, 0
	s_waitcnt lgkmcnt(0)
	s_barrier
	buffer_gl0_inv
	ds_load_2addr_b32 v[16:17], v11 offset1:2
	v_add_nc_u32_e32 v1, v1, v2
	s_delay_alu instid0(VALU_DEP_1) | instskip(NEXT) | instid1(VALU_DEP_1)
	v_add_nc_u32_e32 v2, v1, v41
	v_add_nc_u32_e32 v3, v2, v42
	s_delay_alu instid0(VALU_DEP_1) | instskip(NEXT) | instid1(VALU_DEP_1)
	v_add_nc_u32_e32 v4, v3, v43
	;; [unrolled: 3-line block ×6, first 2 shown]
	v_add_nc_u32_e32 v13, v12, v36
	s_branch .LBB1522_76
.LBB1522_66:
                                        ; implicit-def: $vgpr17
                                        ; implicit-def: $vgpr1_vgpr2_vgpr3_vgpr4_vgpr5_vgpr6_vgpr7_vgpr8_vgpr9_vgpr10_vgpr11_vgpr12_vgpr13_vgpr14_vgpr15_vgpr16
	s_and_b32 vcc_lo, exec_lo, s6
	s_cbranch_vccz .LBB1522_76
; %bb.67:
	s_delay_alu instid0(VALU_DEP_1) | instskip(NEXT) | instid1(VALU_DEP_1)
	v_mov_b32_dpp v1, v52 row_shr:1 row_mask:0xf bank_mask:0xf
	v_cndmask_b32_e64 v1, v1, 0, s5
	s_delay_alu instid0(VALU_DEP_1) | instskip(NEXT) | instid1(VALU_DEP_1)
	v_add_nc_u32_e32 v1, v1, v52
	v_mov_b32_dpp v2, v1 row_shr:2 row_mask:0xf bank_mask:0xf
	s_delay_alu instid0(VALU_DEP_1) | instskip(NEXT) | instid1(VALU_DEP_1)
	v_cndmask_b32_e64 v2, 0, v2, s4
	v_add_nc_u32_e32 v1, v1, v2
	s_delay_alu instid0(VALU_DEP_1) | instskip(NEXT) | instid1(VALU_DEP_1)
	v_mov_b32_dpp v2, v1 row_shr:4 row_mask:0xf bank_mask:0xf
	v_cndmask_b32_e64 v2, 0, v2, s3
	s_delay_alu instid0(VALU_DEP_1) | instskip(NEXT) | instid1(VALU_DEP_1)
	v_add_nc_u32_e32 v1, v1, v2
	v_mov_b32_dpp v2, v1 row_shr:8 row_mask:0xf bank_mask:0xf
	s_delay_alu instid0(VALU_DEP_1) | instskip(NEXT) | instid1(VALU_DEP_1)
	v_cndmask_b32_e64 v2, 0, v2, s2
	v_add_nc_u32_e32 v1, v1, v2
	ds_swizzle_b32 v2, v1 offset:swizzle(BROADCAST,32,15)
	s_waitcnt lgkmcnt(0)
	v_cndmask_b32_e64 v2, v2, 0, s1
	s_delay_alu instid0(VALU_DEP_1)
	v_add_nc_u32_e32 v1, v1, v2
	s_and_saveexec_b32 s1, s0
	s_cbranch_execz .LBB1522_69
; %bb.68:
	v_lshlrev_b32_e32 v2, 2, v51
	ds_store_b32 v2, v1
.LBB1522_69:
	s_or_b32 exec_lo, exec_lo, s1
	s_delay_alu instid0(SALU_CYCLE_1)
	s_mov_b32 s0, exec_lo
	s_waitcnt lgkmcnt(0)
	s_barrier
	buffer_gl0_inv
	v_cmpx_gt_u32_e32 8, v0
	s_cbranch_execz .LBB1522_71
; %bb.70:
	ds_load_b32 v2, v30
	s_waitcnt lgkmcnt(0)
	v_mov_b32_dpp v4, v2 row_shr:1 row_mask:0xf bank_mask:0xf
	v_and_b32_e32 v3, 7, v50
	s_delay_alu instid0(VALU_DEP_1) | instskip(NEXT) | instid1(VALU_DEP_3)
	v_cmp_ne_u32_e32 vcc_lo, 0, v3
	v_cndmask_b32_e32 v4, 0, v4, vcc_lo
	v_cmp_lt_u32_e32 vcc_lo, 1, v3
	s_delay_alu instid0(VALU_DEP_2) | instskip(NEXT) | instid1(VALU_DEP_1)
	v_add_nc_u32_e32 v2, v4, v2
	v_mov_b32_dpp v4, v2 row_shr:2 row_mask:0xf bank_mask:0xf
	s_delay_alu instid0(VALU_DEP_1) | instskip(SKIP_1) | instid1(VALU_DEP_2)
	v_cndmask_b32_e32 v4, 0, v4, vcc_lo
	v_cmp_lt_u32_e32 vcc_lo, 3, v3
	v_add_nc_u32_e32 v2, v2, v4
	s_delay_alu instid0(VALU_DEP_1) | instskip(NEXT) | instid1(VALU_DEP_1)
	v_mov_b32_dpp v4, v2 row_shr:4 row_mask:0xf bank_mask:0xf
	v_cndmask_b32_e32 v3, 0, v4, vcc_lo
	s_delay_alu instid0(VALU_DEP_1)
	v_add_nc_u32_e32 v2, v2, v3
	ds_store_b32 v30, v2
.LBB1522_71:
	s_or_b32 exec_lo, exec_lo, s0
	v_dual_mov_b32 v3, 0 :: v_dual_mov_b32 v2, 0
	s_mov_b32 s0, exec_lo
	s_waitcnt lgkmcnt(0)
	s_barrier
	buffer_gl0_inv
	v_cmpx_lt_u32_e32 31, v0
	s_cbranch_execz .LBB1522_73
; %bb.72:
	v_lshl_add_u32 v2, v51, 2, -4
	ds_load_b32 v2, v2
.LBB1522_73:
	s_or_b32 exec_lo, exec_lo, s0
	v_add_nc_u32_e32 v4, -1, v50
	ds_load_b32 v16, v3 offset:28
	s_waitcnt lgkmcnt(1)
	v_add_nc_u32_e32 v1, v2, v1
	v_cmp_gt_i32_e32 vcc_lo, 0, v4
	v_cndmask_b32_e32 v4, v4, v50, vcc_lo
	v_cmp_eq_u32_e32 vcc_lo, 0, v0
	s_delay_alu instid0(VALU_DEP_2)
	v_lshlrev_b32_e32 v4, 2, v4
	ds_bpermute_b32 v1, v4, v1
	s_and_saveexec_b32 s0, vcc_lo
	s_cbranch_execz .LBB1522_75
; %bb.74:
	v_mov_b32_e32 v3, 0
	v_mov_b32_e32 v17, 2
	s_waitcnt lgkmcnt(1)
	global_store_b64 v3, v[16:17], s[20:21] offset:256
.LBB1522_75:
	s_or_b32 exec_lo, exec_lo, s0
	v_cmp_eq_u32_e64 s0, 0, v50
	s_waitcnt lgkmcnt(0)
	s_waitcnt_vscnt null, 0x0
	s_barrier
	buffer_gl0_inv
	v_mov_b32_e32 v17, 0
	v_cndmask_b32_e64 v1, v1, v2, s0
	s_delay_alu instid0(VALU_DEP_1) | instskip(NEXT) | instid1(VALU_DEP_1)
	v_cndmask_b32_e64 v1, v1, 0, vcc_lo
	v_add_nc_u32_e32 v2, v1, v41
	s_delay_alu instid0(VALU_DEP_1) | instskip(NEXT) | instid1(VALU_DEP_1)
	v_add_nc_u32_e32 v3, v2, v42
	v_add_nc_u32_e32 v4, v3, v43
	s_delay_alu instid0(VALU_DEP_1) | instskip(NEXT) | instid1(VALU_DEP_1)
	v_add_nc_u32_e32 v5, v4, v40
	;; [unrolled: 3-line block ×5, first 2 shown]
	v_add_nc_u32_e32 v12, v11, v49
	s_delay_alu instid0(VALU_DEP_1)
	v_add_nc_u32_e32 v13, v12, v36
.LBB1522_76:
	v_lshrrev_b32_e32 v44, 8, v39
	v_lshrrev_b32_e32 v43, 16, v39
	s_waitcnt lgkmcnt(0)
	v_sub_nc_u32_e32 v1, v1, v17
	v_and_b32_e32 v39, 1, v39
	v_sub_nc_u32_e32 v3, v3, v17
	v_add_nc_u32_e32 v33, v16, v33
	v_sub_nc_u32_e32 v2, v2, v17
	v_sub_nc_u32_e32 v4, v4, v17
	v_cmp_eq_u32_e32 vcc_lo, 1, v39
	v_and_b32_e32 v39, 1, v43
	v_sub_nc_u32_e32 v45, v33, v1
	v_and_b32_e32 v44, 1, v44
	v_sub_nc_u32_e32 v43, v33, v2
	v_lshrrev_b32_e32 v42, 8, v37
	v_lshrrev_b32_e32 v41, 16, v37
	v_cndmask_b32_e32 v1, v45, v1, vcc_lo
	v_sub_nc_u32_e32 v45, v33, v3
	v_add_nc_u32_e32 v43, 1, v43
	v_cmp_eq_u32_e32 vcc_lo, 1, v44
	v_and_b32_e32 v40, 1, v40
	v_lshlrev_b32_e32 v1, 2, v1
	v_add_nc_u32_e32 v45, 2, v45
	v_lshrrev_b32_e32 v15, 8, v35
	v_lshrrev_b32_e32 v14, 16, v35
	ds_store_b32 v1, v28
	v_cndmask_b32_e32 v1, v43, v2, vcc_lo
	v_cmp_eq_u32_e32 vcc_lo, 1, v39
	v_or_b32_e32 v28, 0x500, v0
	s_delay_alu instid0(VALU_DEP_3)
	v_dual_cndmask_b32 v2, v45, v3 :: v_dual_lshlrev_b32 v1, 2, v1
	v_sub_nc_u32_e32 v46, v33, v4
	v_cmp_eq_u32_e32 vcc_lo, 1, v40
	ds_store_b32 v1, v29
	v_lshlrev_b32_e32 v2, 2, v2
	v_add_nc_u32_e32 v46, 3, v46
	v_or_b32_e32 v29, 0x400, v0
	s_delay_alu instid0(VALU_DEP_2) | instskip(SKIP_2) | instid1(VALU_DEP_3)
	v_cndmask_b32_e32 v3, v46, v4, vcc_lo
	v_sub_nc_u32_e32 v4, v5, v17
	v_sub_nc_u32_e32 v5, v6, v17
	v_lshlrev_b32_e32 v3, 2, v3
	s_delay_alu instid0(VALU_DEP_3) | instskip(NEXT) | instid1(VALU_DEP_3)
	v_sub_nc_u32_e32 v1, v33, v4
	v_sub_nc_u32_e32 v6, v33, v5
	ds_store_b32 v2, v26
	ds_store_b32 v3, v27
	v_and_b32_e32 v2, 1, v37
	v_add_nc_u32_e32 v1, 4, v1
	v_add_nc_u32_e32 v3, 5, v6
	v_sub_nc_u32_e32 v6, v7, v17
	v_and_b32_e32 v7, 1, v42
	v_cmp_eq_u32_e32 vcc_lo, 1, v2
	v_sub_nc_u32_e32 v2, v8, v17
	v_and_b32_e32 v8, 1, v38
	v_or_b32_e32 v27, 0x600, v0
	v_or_b32_e32 v26, 0x700, v0
	v_cndmask_b32_e32 v1, v1, v4, vcc_lo
	v_sub_nc_u32_e32 v4, v33, v6
	v_cmp_eq_u32_e32 vcc_lo, 1, v7
	v_and_b32_e32 v7, 1, v41
	s_delay_alu instid0(VALU_DEP_4) | instskip(NEXT) | instid1(VALU_DEP_4)
	v_lshlrev_b32_e32 v1, 2, v1
	v_dual_cndmask_b32 v3, v3, v5 :: v_dual_add_nc_u32 v4, 6, v4
	v_sub_nc_u32_e32 v5, v33, v2
	s_delay_alu instid0(VALU_DEP_4) | instskip(SKIP_1) | instid1(VALU_DEP_4)
	v_cmp_eq_u32_e32 vcc_lo, 1, v7
	v_sub_nc_u32_e32 v7, v13, v17
	v_lshlrev_b32_e32 v3, 2, v3
	s_delay_alu instid0(VALU_DEP_4)
	v_dual_cndmask_b32 v4, v4, v6 :: v_dual_add_nc_u32 v5, 7, v5
	v_cmp_eq_u32_e32 vcc_lo, 1, v8
	v_sub_nc_u32_e32 v6, v9, v17
	ds_store_b32 v1, v24
	ds_store_b32 v3, v25
	v_or_b32_e32 v25, 0x800, v0
	v_dual_cndmask_b32 v2, v5, v2 :: v_dual_lshlrev_b32 v3, 2, v4
	v_and_b32_e32 v5, 1, v35
	v_sub_nc_u32_e32 v1, v33, v6
	v_sub_nc_u32_e32 v4, v10, v17
	v_and_b32_e32 v10, 1, v36
	v_or_b32_e32 v24, 0x900, v0
	v_cmp_eq_u32_e32 vcc_lo, 1, v5
	v_sub_nc_u32_e32 v5, v12, v17
	v_add_nc_u32_e32 v1, 8, v1
	s_delay_alu instid0(VALU_DEP_2) | instskip(NEXT) | instid1(VALU_DEP_2)
	v_sub_nc_u32_e32 v9, v33, v5
	v_dual_cndmask_b32 v1, v1, v6 :: v_dual_and_b32 v6, 1, v15
	v_add_co_u32 v15, s0, s18, v17
	s_delay_alu instid0(VALU_DEP_3)
	v_add_nc_u32_e32 v9, 11, v9
	v_lshlrev_b32_e32 v2, 2, v2
	ds_store_b32 v3, v22
	ds_store_b32 v2, v23
	v_sub_nc_u32_e32 v3, v11, v17
	v_sub_nc_u32_e32 v2, v33, v4
	v_cmp_eq_u32_e32 vcc_lo, 1, v6
	v_and_b32_e32 v11, 1, v34
	v_lshlrev_b32_e32 v1, 2, v1
	v_sub_nc_u32_e32 v8, v33, v3
	v_add_nc_u32_e32 v2, 9, v2
	v_add_co_ci_u32_e64 v17, null, s19, 0, s0
	s_add_u32 s0, s16, s23
	s_delay_alu instid0(VALU_DEP_3)
	v_add_nc_u32_e32 v6, 10, v8
	v_and_b32_e32 v8, 1, v14
	v_cndmask_b32_e32 v2, v2, v4, vcc_lo
	v_sub_nc_u32_e32 v4, v33, v7
	s_addc_u32 s1, s17, 0
	s_sub_u32 s0, s12, s0
	v_cmp_eq_u32_e32 vcc_lo, 1, v8
	v_lshlrev_b32_e32 v2, 2, v2
	v_add_nc_u32_e32 v4, 12, v4
	s_subb_u32 s1, s13, s1
	v_add_co_u32 v13, s0, s0, v16
	v_cndmask_b32_e32 v3, v6, v3, vcc_lo
	v_cmp_eq_u32_e32 vcc_lo, 1, v10
	v_add_co_ci_u32_e64 v14, null, s1, 0, s0
	v_or_b32_e32 v34, 0x100, v0
	s_delay_alu instid0(VALU_DEP_4)
	v_lshlrev_b32_e32 v3, 2, v3
	v_cndmask_b32_e32 v5, v9, v5, vcc_lo
	v_cmp_eq_u32_e32 vcc_lo, 1, v11
	v_or_b32_e32 v33, 0x200, v0
	v_or_b32_e32 v23, 0xa00, v0
	;; [unrolled: 1-line block ×3, first 2 shown]
	v_dual_cndmask_b32 v4, v4, v7 :: v_dual_lshlrev_b32 v5, 2, v5
	v_cmp_ne_u32_e32 vcc_lo, 1, v31
	s_delay_alu instid0(VALU_DEP_2)
	v_lshlrev_b32_e32 v4, 2, v4
	ds_store_b32 v1, v20
	ds_store_b32 v2, v21
	;; [unrolled: 1-line block ×5, first 2 shown]
	s_waitcnt lgkmcnt(0)
	s_barrier
	buffer_gl0_inv
	ds_load_2addr_stride64_b32 v[11:12], v30 offset1:4
	ds_load_2addr_stride64_b32 v[9:10], v30 offset0:8 offset1:12
	ds_load_2addr_stride64_b32 v[7:8], v30 offset0:16 offset1:20
	;; [unrolled: 1-line block ×5, first 2 shown]
	ds_load_b32 v18, v30 offset:12288
	v_add_co_u32 v20, s0, v13, v15
	v_or_b32_e32 v32, 0x300, v0
	v_or_b32_e32 v19, 0xc00, v0
	v_add_co_ci_u32_e64 v21, s0, v14, v17, s0
	s_mov_b32 s0, 0
	s_cbranch_vccnz .LBB1522_130
; %bb.77:
	s_mov_b32 s0, exec_lo
                                        ; implicit-def: $vgpr13_vgpr14
	v_cmpx_ge_u32_e64 v0, v16
	s_xor_b32 s0, exec_lo, s0
; %bb.78:
	v_not_b32_e32 v13, v0
	s_delay_alu instid0(VALU_DEP_1) | instskip(SKIP_1) | instid1(VALU_DEP_2)
	v_ashrrev_i32_e32 v14, 31, v13
	v_add_co_u32 v13, vcc_lo, v20, v13
	v_add_co_ci_u32_e32 v14, vcc_lo, v21, v14, vcc_lo
; %bb.79:
	s_and_not1_saveexec_b32 s0, s0
; %bb.80:
	v_add_co_u32 v13, vcc_lo, v15, v0
	v_add_co_ci_u32_e32 v14, vcc_lo, 0, v17, vcc_lo
; %bb.81:
	s_or_b32 exec_lo, exec_lo, s0
	s_delay_alu instid0(VALU_DEP_1) | instskip(SKIP_1) | instid1(VALU_DEP_1)
	v_lshlrev_b64 v[13:14], 2, v[13:14]
	s_mov_b32 s0, exec_lo
	v_add_co_u32 v13, vcc_lo, s10, v13
	s_delay_alu instid0(VALU_DEP_2)
	v_add_co_ci_u32_e32 v14, vcc_lo, s11, v14, vcc_lo
	s_waitcnt lgkmcnt(6)
	global_store_b32 v[13:14], v11, off
                                        ; implicit-def: $vgpr13_vgpr14
	v_cmpx_ge_u32_e64 v34, v16
	s_xor_b32 s0, exec_lo, s0
; %bb.82:
	v_xor_b32_e32 v13, 0xfffffeff, v0
	s_delay_alu instid0(VALU_DEP_1) | instskip(SKIP_1) | instid1(VALU_DEP_2)
	v_ashrrev_i32_e32 v14, 31, v13
	v_add_co_u32 v13, vcc_lo, v20, v13
	v_add_co_ci_u32_e32 v14, vcc_lo, v21, v14, vcc_lo
; %bb.83:
	s_and_not1_saveexec_b32 s0, s0
; %bb.84:
	v_add_co_u32 v13, vcc_lo, v15, v34
	v_add_co_ci_u32_e32 v14, vcc_lo, 0, v17, vcc_lo
; %bb.85:
	s_or_b32 exec_lo, exec_lo, s0
	s_delay_alu instid0(VALU_DEP_1) | instskip(SKIP_1) | instid1(VALU_DEP_1)
	v_lshlrev_b64 v[13:14], 2, v[13:14]
	s_mov_b32 s0, exec_lo
	v_add_co_u32 v13, vcc_lo, s10, v13
	s_delay_alu instid0(VALU_DEP_2)
	v_add_co_ci_u32_e32 v14, vcc_lo, s11, v14, vcc_lo
	global_store_b32 v[13:14], v12, off
                                        ; implicit-def: $vgpr13_vgpr14
	v_cmpx_ge_u32_e64 v33, v16
	s_xor_b32 s0, exec_lo, s0
; %bb.86:
	v_xor_b32_e32 v13, 0xfffffdff, v0
	s_delay_alu instid0(VALU_DEP_1) | instskip(SKIP_1) | instid1(VALU_DEP_2)
	v_ashrrev_i32_e32 v14, 31, v13
	v_add_co_u32 v13, vcc_lo, v20, v13
	v_add_co_ci_u32_e32 v14, vcc_lo, v21, v14, vcc_lo
; %bb.87:
	s_and_not1_saveexec_b32 s0, s0
; %bb.88:
	v_add_co_u32 v13, vcc_lo, v15, v33
	v_add_co_ci_u32_e32 v14, vcc_lo, 0, v17, vcc_lo
; %bb.89:
	s_or_b32 exec_lo, exec_lo, s0
	s_delay_alu instid0(VALU_DEP_1) | instskip(SKIP_1) | instid1(VALU_DEP_1)
	v_lshlrev_b64 v[13:14], 2, v[13:14]
	s_mov_b32 s0, exec_lo
	v_add_co_u32 v13, vcc_lo, s10, v13
	s_delay_alu instid0(VALU_DEP_2)
	v_add_co_ci_u32_e32 v14, vcc_lo, s11, v14, vcc_lo
	s_waitcnt lgkmcnt(5)
	global_store_b32 v[13:14], v9, off
                                        ; implicit-def: $vgpr13_vgpr14
	v_cmpx_ge_u32_e64 v32, v16
	s_xor_b32 s0, exec_lo, s0
; %bb.90:
	v_xor_b32_e32 v13, 0xfffffcff, v0
	s_delay_alu instid0(VALU_DEP_1) | instskip(SKIP_1) | instid1(VALU_DEP_2)
	v_ashrrev_i32_e32 v14, 31, v13
	v_add_co_u32 v13, vcc_lo, v20, v13
	v_add_co_ci_u32_e32 v14, vcc_lo, v21, v14, vcc_lo
; %bb.91:
	s_and_not1_saveexec_b32 s0, s0
; %bb.92:
	v_add_co_u32 v13, vcc_lo, v15, v32
	v_add_co_ci_u32_e32 v14, vcc_lo, 0, v17, vcc_lo
; %bb.93:
	s_or_b32 exec_lo, exec_lo, s0
	s_delay_alu instid0(VALU_DEP_1) | instskip(SKIP_1) | instid1(VALU_DEP_1)
	v_lshlrev_b64 v[13:14], 2, v[13:14]
	s_mov_b32 s0, exec_lo
	v_add_co_u32 v13, vcc_lo, s10, v13
	s_delay_alu instid0(VALU_DEP_2)
	v_add_co_ci_u32_e32 v14, vcc_lo, s11, v14, vcc_lo
	global_store_b32 v[13:14], v10, off
                                        ; implicit-def: $vgpr13_vgpr14
	v_cmpx_ge_u32_e64 v29, v16
	s_xor_b32 s0, exec_lo, s0
; %bb.94:
	v_xor_b32_e32 v13, 0xfffffbff, v0
	;; [unrolled: 47-line block ×6, first 2 shown]
	s_delay_alu instid0(VALU_DEP_1) | instskip(SKIP_1) | instid1(VALU_DEP_2)
	v_ashrrev_i32_e32 v14, 31, v13
	v_add_co_u32 v13, vcc_lo, v20, v13
	v_add_co_ci_u32_e32 v14, vcc_lo, v21, v14, vcc_lo
; %bb.127:
	s_and_not1_saveexec_b32 s0, s0
; %bb.128:
	v_add_co_u32 v13, vcc_lo, v15, v19
	v_add_co_ci_u32_e32 v14, vcc_lo, 0, v17, vcc_lo
; %bb.129:
	s_or_b32 exec_lo, exec_lo, s0
	s_mov_b32 s0, -1
	s_branch .LBB1522_210
.LBB1522_130:
                                        ; implicit-def: $vgpr13_vgpr14
	s_cbranch_execz .LBB1522_210
; %bb.131:
	s_mov_b32 s1, exec_lo
	v_cmpx_gt_u32_e64 s22, v0
	s_cbranch_execz .LBB1522_167
; %bb.132:
	s_mov_b32 s2, exec_lo
                                        ; implicit-def: $vgpr13_vgpr14
	v_cmpx_ge_u32_e64 v0, v16
	s_xor_b32 s2, exec_lo, s2
; %bb.133:
	v_not_b32_e32 v13, v0
	s_delay_alu instid0(VALU_DEP_1) | instskip(SKIP_1) | instid1(VALU_DEP_2)
	v_ashrrev_i32_e32 v14, 31, v13
	v_add_co_u32 v13, vcc_lo, v20, v13
	v_add_co_ci_u32_e32 v14, vcc_lo, v21, v14, vcc_lo
; %bb.134:
	s_and_not1_saveexec_b32 s2, s2
; %bb.135:
	v_add_co_u32 v13, vcc_lo, v15, v0
	v_add_co_ci_u32_e32 v14, vcc_lo, 0, v17, vcc_lo
; %bb.136:
	s_or_b32 exec_lo, exec_lo, s2
	s_delay_alu instid0(VALU_DEP_1) | instskip(NEXT) | instid1(VALU_DEP_1)
	v_lshlrev_b64 v[13:14], 2, v[13:14]
	v_add_co_u32 v13, vcc_lo, s10, v13
	s_delay_alu instid0(VALU_DEP_2) | instskip(SKIP_3) | instid1(SALU_CYCLE_1)
	v_add_co_ci_u32_e32 v14, vcc_lo, s11, v14, vcc_lo
	s_waitcnt lgkmcnt(6)
	global_store_b32 v[13:14], v11, off
	s_or_b32 exec_lo, exec_lo, s1
	s_mov_b32 s1, exec_lo
	v_cmpx_gt_u32_e64 s22, v34
	s_cbranch_execnz .LBB1522_168
.LBB1522_137:
	s_or_b32 exec_lo, exec_lo, s1
	s_delay_alu instid0(SALU_CYCLE_1)
	s_mov_b32 s1, exec_lo
	v_cmpx_gt_u32_e64 s22, v33
	s_cbranch_execz .LBB1522_173
.LBB1522_138:
	s_mov_b32 s2, exec_lo
                                        ; implicit-def: $vgpr11_vgpr12
	v_cmpx_ge_u32_e64 v33, v16
	s_xor_b32 s2, exec_lo, s2
	s_cbranch_execz .LBB1522_140
; %bb.139:
	s_waitcnt lgkmcnt(6)
	v_xor_b32_e32 v11, 0xfffffdff, v0
                                        ; implicit-def: $vgpr33
	s_delay_alu instid0(VALU_DEP_1) | instskip(SKIP_1) | instid1(VALU_DEP_2)
	v_ashrrev_i32_e32 v12, 31, v11
	v_add_co_u32 v11, vcc_lo, v20, v11
	v_add_co_ci_u32_e32 v12, vcc_lo, v21, v12, vcc_lo
.LBB1522_140:
	s_and_not1_saveexec_b32 s2, s2
	s_cbranch_execz .LBB1522_142
; %bb.141:
	s_waitcnt lgkmcnt(6)
	v_add_co_u32 v11, vcc_lo, v15, v33
	v_add_co_ci_u32_e32 v12, vcc_lo, 0, v17, vcc_lo
.LBB1522_142:
	s_or_b32 exec_lo, exec_lo, s2
	s_waitcnt lgkmcnt(6)
	s_delay_alu instid0(VALU_DEP_1) | instskip(NEXT) | instid1(VALU_DEP_1)
	v_lshlrev_b64 v[11:12], 2, v[11:12]
	v_add_co_u32 v11, vcc_lo, s10, v11
	s_delay_alu instid0(VALU_DEP_2) | instskip(SKIP_3) | instid1(SALU_CYCLE_1)
	v_add_co_ci_u32_e32 v12, vcc_lo, s11, v12, vcc_lo
	s_waitcnt lgkmcnt(5)
	global_store_b32 v[11:12], v9, off
	s_or_b32 exec_lo, exec_lo, s1
	s_mov_b32 s1, exec_lo
	v_cmpx_gt_u32_e64 s22, v32
	s_cbranch_execnz .LBB1522_174
.LBB1522_143:
	s_or_b32 exec_lo, exec_lo, s1
	s_delay_alu instid0(SALU_CYCLE_1)
	s_mov_b32 s1, exec_lo
	v_cmpx_gt_u32_e64 s22, v29
	s_cbranch_execz .LBB1522_179
.LBB1522_144:
	s_mov_b32 s2, exec_lo
                                        ; implicit-def: $vgpr9_vgpr10
	v_cmpx_ge_u32_e64 v29, v16
	s_xor_b32 s2, exec_lo, s2
	s_cbranch_execz .LBB1522_146
; %bb.145:
	s_waitcnt lgkmcnt(5)
	v_xor_b32_e32 v9, 0xfffffbff, v0
                                        ; implicit-def: $vgpr29
	s_delay_alu instid0(VALU_DEP_1) | instskip(SKIP_1) | instid1(VALU_DEP_2)
	v_ashrrev_i32_e32 v10, 31, v9
	v_add_co_u32 v9, vcc_lo, v20, v9
	v_add_co_ci_u32_e32 v10, vcc_lo, v21, v10, vcc_lo
.LBB1522_146:
	s_and_not1_saveexec_b32 s2, s2
	s_cbranch_execz .LBB1522_148
; %bb.147:
	s_waitcnt lgkmcnt(5)
	v_add_co_u32 v9, vcc_lo, v15, v29
	v_add_co_ci_u32_e32 v10, vcc_lo, 0, v17, vcc_lo
.LBB1522_148:
	s_or_b32 exec_lo, exec_lo, s2
	s_waitcnt lgkmcnt(5)
	s_delay_alu instid0(VALU_DEP_1) | instskip(NEXT) | instid1(VALU_DEP_1)
	v_lshlrev_b64 v[9:10], 2, v[9:10]
	v_add_co_u32 v9, vcc_lo, s10, v9
	s_delay_alu instid0(VALU_DEP_2) | instskip(SKIP_3) | instid1(SALU_CYCLE_1)
	v_add_co_ci_u32_e32 v10, vcc_lo, s11, v10, vcc_lo
	s_waitcnt lgkmcnt(4)
	global_store_b32 v[9:10], v7, off
	s_or_b32 exec_lo, exec_lo, s1
	s_mov_b32 s1, exec_lo
	v_cmpx_gt_u32_e64 s22, v28
	s_cbranch_execnz .LBB1522_180
.LBB1522_149:
	s_or_b32 exec_lo, exec_lo, s1
	s_delay_alu instid0(SALU_CYCLE_1)
	s_mov_b32 s1, exec_lo
	v_cmpx_gt_u32_e64 s22, v27
	s_cbranch_execz .LBB1522_185
.LBB1522_150:
	s_mov_b32 s2, exec_lo
                                        ; implicit-def: $vgpr7_vgpr8
	v_cmpx_ge_u32_e64 v27, v16
	s_xor_b32 s2, exec_lo, s2
	s_cbranch_execz .LBB1522_152
; %bb.151:
	s_waitcnt lgkmcnt(4)
	v_xor_b32_e32 v7, 0xfffff9ff, v0
                                        ; implicit-def: $vgpr27
	s_delay_alu instid0(VALU_DEP_1) | instskip(SKIP_1) | instid1(VALU_DEP_2)
	v_ashrrev_i32_e32 v8, 31, v7
	v_add_co_u32 v7, vcc_lo, v20, v7
	v_add_co_ci_u32_e32 v8, vcc_lo, v21, v8, vcc_lo
.LBB1522_152:
	s_and_not1_saveexec_b32 s2, s2
	s_cbranch_execz .LBB1522_154
; %bb.153:
	s_waitcnt lgkmcnt(4)
	v_add_co_u32 v7, vcc_lo, v15, v27
	v_add_co_ci_u32_e32 v8, vcc_lo, 0, v17, vcc_lo
.LBB1522_154:
	s_or_b32 exec_lo, exec_lo, s2
	s_waitcnt lgkmcnt(4)
	s_delay_alu instid0(VALU_DEP_1) | instskip(NEXT) | instid1(VALU_DEP_1)
	v_lshlrev_b64 v[7:8], 2, v[7:8]
	v_add_co_u32 v7, vcc_lo, s10, v7
	s_delay_alu instid0(VALU_DEP_2) | instskip(SKIP_3) | instid1(SALU_CYCLE_1)
	v_add_co_ci_u32_e32 v8, vcc_lo, s11, v8, vcc_lo
	s_waitcnt lgkmcnt(3)
	global_store_b32 v[7:8], v5, off
	s_or_b32 exec_lo, exec_lo, s1
	s_mov_b32 s1, exec_lo
	v_cmpx_gt_u32_e64 s22, v26
	s_cbranch_execnz .LBB1522_186
.LBB1522_155:
	s_or_b32 exec_lo, exec_lo, s1
	s_delay_alu instid0(SALU_CYCLE_1)
	s_mov_b32 s1, exec_lo
	v_cmpx_gt_u32_e64 s22, v25
	s_cbranch_execz .LBB1522_191
.LBB1522_156:
	s_mov_b32 s2, exec_lo
                                        ; implicit-def: $vgpr5_vgpr6
	v_cmpx_ge_u32_e64 v25, v16
	s_xor_b32 s2, exec_lo, s2
	s_cbranch_execz .LBB1522_158
; %bb.157:
	s_waitcnt lgkmcnt(3)
	v_xor_b32_e32 v5, 0xfffff7ff, v0
                                        ; implicit-def: $vgpr25
	s_delay_alu instid0(VALU_DEP_1) | instskip(SKIP_1) | instid1(VALU_DEP_2)
	v_ashrrev_i32_e32 v6, 31, v5
	v_add_co_u32 v5, vcc_lo, v20, v5
	v_add_co_ci_u32_e32 v6, vcc_lo, v21, v6, vcc_lo
.LBB1522_158:
	s_and_not1_saveexec_b32 s2, s2
	s_cbranch_execz .LBB1522_160
; %bb.159:
	s_waitcnt lgkmcnt(3)
	v_add_co_u32 v5, vcc_lo, v15, v25
	v_add_co_ci_u32_e32 v6, vcc_lo, 0, v17, vcc_lo
.LBB1522_160:
	s_or_b32 exec_lo, exec_lo, s2
	s_waitcnt lgkmcnt(3)
	s_delay_alu instid0(VALU_DEP_1) | instskip(NEXT) | instid1(VALU_DEP_1)
	v_lshlrev_b64 v[5:6], 2, v[5:6]
	v_add_co_u32 v5, vcc_lo, s10, v5
	s_delay_alu instid0(VALU_DEP_2) | instskip(SKIP_3) | instid1(SALU_CYCLE_1)
	v_add_co_ci_u32_e32 v6, vcc_lo, s11, v6, vcc_lo
	s_waitcnt lgkmcnt(2)
	global_store_b32 v[5:6], v3, off
	s_or_b32 exec_lo, exec_lo, s1
	s_mov_b32 s1, exec_lo
	v_cmpx_gt_u32_e64 s22, v24
	s_cbranch_execnz .LBB1522_192
.LBB1522_161:
	s_or_b32 exec_lo, exec_lo, s1
	s_delay_alu instid0(SALU_CYCLE_1)
	s_mov_b32 s1, exec_lo
	v_cmpx_gt_u32_e64 s22, v23
	s_cbranch_execz .LBB1522_197
.LBB1522_162:
	s_mov_b32 s2, exec_lo
                                        ; implicit-def: $vgpr3_vgpr4
	v_cmpx_ge_u32_e64 v23, v16
	s_xor_b32 s2, exec_lo, s2
	s_cbranch_execz .LBB1522_164
; %bb.163:
	s_waitcnt lgkmcnt(2)
	v_xor_b32_e32 v3, 0xfffff5ff, v0
                                        ; implicit-def: $vgpr23
	s_delay_alu instid0(VALU_DEP_1) | instskip(SKIP_1) | instid1(VALU_DEP_2)
	v_ashrrev_i32_e32 v4, 31, v3
	v_add_co_u32 v3, vcc_lo, v20, v3
	v_add_co_ci_u32_e32 v4, vcc_lo, v21, v4, vcc_lo
.LBB1522_164:
	s_and_not1_saveexec_b32 s2, s2
	s_cbranch_execz .LBB1522_166
; %bb.165:
	s_waitcnt lgkmcnt(2)
	v_add_co_u32 v3, vcc_lo, v15, v23
	v_add_co_ci_u32_e32 v4, vcc_lo, 0, v17, vcc_lo
.LBB1522_166:
	s_or_b32 exec_lo, exec_lo, s2
	s_waitcnt lgkmcnt(2)
	s_delay_alu instid0(VALU_DEP_1) | instskip(NEXT) | instid1(VALU_DEP_1)
	v_lshlrev_b64 v[3:4], 2, v[3:4]
	v_add_co_u32 v3, vcc_lo, s10, v3
	s_delay_alu instid0(VALU_DEP_2) | instskip(SKIP_3) | instid1(SALU_CYCLE_1)
	v_add_co_ci_u32_e32 v4, vcc_lo, s11, v4, vcc_lo
	s_waitcnt lgkmcnt(1)
	global_store_b32 v[3:4], v1, off
	s_or_b32 exec_lo, exec_lo, s1
	s_mov_b32 s1, exec_lo
	v_cmpx_gt_u32_e64 s22, v22
	s_cbranch_execz .LBB1522_203
	s_branch .LBB1522_198
.LBB1522_167:
	s_or_b32 exec_lo, exec_lo, s1
	s_delay_alu instid0(SALU_CYCLE_1)
	s_mov_b32 s1, exec_lo
	v_cmpx_gt_u32_e64 s22, v34
	s_cbranch_execz .LBB1522_137
.LBB1522_168:
	s_mov_b32 s2, exec_lo
                                        ; implicit-def: $vgpr13_vgpr14
	v_cmpx_ge_u32_e64 v34, v16
	s_xor_b32 s2, exec_lo, s2
	s_cbranch_execz .LBB1522_170
; %bb.169:
	s_waitcnt lgkmcnt(6)
	v_xor_b32_e32 v11, 0xfffffeff, v0
                                        ; implicit-def: $vgpr34
	s_delay_alu instid0(VALU_DEP_1) | instskip(SKIP_1) | instid1(VALU_DEP_2)
	v_ashrrev_i32_e32 v14, 31, v11
	v_add_co_u32 v13, vcc_lo, v20, v11
	v_add_co_ci_u32_e32 v14, vcc_lo, v21, v14, vcc_lo
.LBB1522_170:
	s_and_not1_saveexec_b32 s2, s2
; %bb.171:
	v_add_co_u32 v13, vcc_lo, v15, v34
	v_add_co_ci_u32_e32 v14, vcc_lo, 0, v17, vcc_lo
; %bb.172:
	s_or_b32 exec_lo, exec_lo, s2
	s_delay_alu instid0(VALU_DEP_1) | instskip(NEXT) | instid1(VALU_DEP_1)
	v_lshlrev_b64 v[13:14], 2, v[13:14]
	v_add_co_u32 v13, vcc_lo, s10, v13
	s_delay_alu instid0(VALU_DEP_2) | instskip(SKIP_3) | instid1(SALU_CYCLE_1)
	v_add_co_ci_u32_e32 v14, vcc_lo, s11, v14, vcc_lo
	s_waitcnt lgkmcnt(6)
	global_store_b32 v[13:14], v12, off
	s_or_b32 exec_lo, exec_lo, s1
	s_mov_b32 s1, exec_lo
	v_cmpx_gt_u32_e64 s22, v33
	s_cbranch_execnz .LBB1522_138
.LBB1522_173:
	s_or_b32 exec_lo, exec_lo, s1
	s_delay_alu instid0(SALU_CYCLE_1)
	s_mov_b32 s1, exec_lo
	v_cmpx_gt_u32_e64 s22, v32
	s_cbranch_execz .LBB1522_143
.LBB1522_174:
	s_mov_b32 s2, exec_lo
                                        ; implicit-def: $vgpr11_vgpr12
	v_cmpx_ge_u32_e64 v32, v16
	s_xor_b32 s2, exec_lo, s2
	s_cbranch_execz .LBB1522_176
; %bb.175:
	s_waitcnt lgkmcnt(5)
	v_xor_b32_e32 v9, 0xfffffcff, v0
                                        ; implicit-def: $vgpr32
	s_delay_alu instid0(VALU_DEP_1) | instskip(SKIP_1) | instid1(VALU_DEP_2)
	v_ashrrev_i32_e32 v12, 31, v9
	v_add_co_u32 v11, vcc_lo, v20, v9
	v_add_co_ci_u32_e32 v12, vcc_lo, v21, v12, vcc_lo
.LBB1522_176:
	s_and_not1_saveexec_b32 s2, s2
	s_cbranch_execz .LBB1522_178
; %bb.177:
	s_waitcnt lgkmcnt(6)
	v_add_co_u32 v11, vcc_lo, v15, v32
	v_add_co_ci_u32_e32 v12, vcc_lo, 0, v17, vcc_lo
.LBB1522_178:
	s_or_b32 exec_lo, exec_lo, s2
	s_waitcnt lgkmcnt(6)
	s_delay_alu instid0(VALU_DEP_1) | instskip(NEXT) | instid1(VALU_DEP_1)
	v_lshlrev_b64 v[11:12], 2, v[11:12]
	v_add_co_u32 v11, vcc_lo, s10, v11
	s_delay_alu instid0(VALU_DEP_2) | instskip(SKIP_3) | instid1(SALU_CYCLE_1)
	v_add_co_ci_u32_e32 v12, vcc_lo, s11, v12, vcc_lo
	s_waitcnt lgkmcnt(5)
	global_store_b32 v[11:12], v10, off
	s_or_b32 exec_lo, exec_lo, s1
	s_mov_b32 s1, exec_lo
	v_cmpx_gt_u32_e64 s22, v29
	s_cbranch_execnz .LBB1522_144
.LBB1522_179:
	s_or_b32 exec_lo, exec_lo, s1
	s_delay_alu instid0(SALU_CYCLE_1)
	s_mov_b32 s1, exec_lo
	v_cmpx_gt_u32_e64 s22, v28
	s_cbranch_execz .LBB1522_149
.LBB1522_180:
	s_mov_b32 s2, exec_lo
                                        ; implicit-def: $vgpr9_vgpr10
	v_cmpx_ge_u32_e64 v28, v16
	s_xor_b32 s2, exec_lo, s2
	s_cbranch_execz .LBB1522_182
; %bb.181:
	s_waitcnt lgkmcnt(4)
	v_xor_b32_e32 v7, 0xfffffaff, v0
                                        ; implicit-def: $vgpr28
	s_delay_alu instid0(VALU_DEP_1) | instskip(SKIP_1) | instid1(VALU_DEP_2)
	v_ashrrev_i32_e32 v10, 31, v7
	v_add_co_u32 v9, vcc_lo, v20, v7
	v_add_co_ci_u32_e32 v10, vcc_lo, v21, v10, vcc_lo
.LBB1522_182:
	s_and_not1_saveexec_b32 s2, s2
	s_cbranch_execz .LBB1522_184
; %bb.183:
	s_waitcnt lgkmcnt(5)
	v_add_co_u32 v9, vcc_lo, v15, v28
	v_add_co_ci_u32_e32 v10, vcc_lo, 0, v17, vcc_lo
.LBB1522_184:
	s_or_b32 exec_lo, exec_lo, s2
	s_waitcnt lgkmcnt(5)
	s_delay_alu instid0(VALU_DEP_1) | instskip(NEXT) | instid1(VALU_DEP_1)
	v_lshlrev_b64 v[9:10], 2, v[9:10]
	v_add_co_u32 v9, vcc_lo, s10, v9
	s_delay_alu instid0(VALU_DEP_2) | instskip(SKIP_3) | instid1(SALU_CYCLE_1)
	v_add_co_ci_u32_e32 v10, vcc_lo, s11, v10, vcc_lo
	s_waitcnt lgkmcnt(4)
	global_store_b32 v[9:10], v8, off
	s_or_b32 exec_lo, exec_lo, s1
	s_mov_b32 s1, exec_lo
	v_cmpx_gt_u32_e64 s22, v27
	s_cbranch_execnz .LBB1522_150
.LBB1522_185:
	s_or_b32 exec_lo, exec_lo, s1
	s_delay_alu instid0(SALU_CYCLE_1)
	s_mov_b32 s1, exec_lo
	v_cmpx_gt_u32_e64 s22, v26
	s_cbranch_execz .LBB1522_155
.LBB1522_186:
	s_mov_b32 s2, exec_lo
                                        ; implicit-def: $vgpr7_vgpr8
	v_cmpx_ge_u32_e64 v26, v16
	s_xor_b32 s2, exec_lo, s2
	s_cbranch_execz .LBB1522_188
; %bb.187:
	s_waitcnt lgkmcnt(3)
	v_xor_b32_e32 v5, 0xfffff8ff, v0
                                        ; implicit-def: $vgpr26
	s_delay_alu instid0(VALU_DEP_1) | instskip(SKIP_1) | instid1(VALU_DEP_2)
	v_ashrrev_i32_e32 v8, 31, v5
	v_add_co_u32 v7, vcc_lo, v20, v5
	v_add_co_ci_u32_e32 v8, vcc_lo, v21, v8, vcc_lo
.LBB1522_188:
	s_and_not1_saveexec_b32 s2, s2
	s_cbranch_execz .LBB1522_190
; %bb.189:
	s_waitcnt lgkmcnt(4)
	v_add_co_u32 v7, vcc_lo, v15, v26
	v_add_co_ci_u32_e32 v8, vcc_lo, 0, v17, vcc_lo
.LBB1522_190:
	s_or_b32 exec_lo, exec_lo, s2
	s_waitcnt lgkmcnt(4)
	s_delay_alu instid0(VALU_DEP_1) | instskip(NEXT) | instid1(VALU_DEP_1)
	v_lshlrev_b64 v[7:8], 2, v[7:8]
	v_add_co_u32 v7, vcc_lo, s10, v7
	s_delay_alu instid0(VALU_DEP_2) | instskip(SKIP_3) | instid1(SALU_CYCLE_1)
	v_add_co_ci_u32_e32 v8, vcc_lo, s11, v8, vcc_lo
	s_waitcnt lgkmcnt(3)
	global_store_b32 v[7:8], v6, off
	s_or_b32 exec_lo, exec_lo, s1
	s_mov_b32 s1, exec_lo
	v_cmpx_gt_u32_e64 s22, v25
	s_cbranch_execnz .LBB1522_156
.LBB1522_191:
	s_or_b32 exec_lo, exec_lo, s1
	s_delay_alu instid0(SALU_CYCLE_1)
	s_mov_b32 s1, exec_lo
	v_cmpx_gt_u32_e64 s22, v24
	s_cbranch_execz .LBB1522_161
.LBB1522_192:
	s_mov_b32 s2, exec_lo
                                        ; implicit-def: $vgpr5_vgpr6
	v_cmpx_ge_u32_e64 v24, v16
	s_xor_b32 s2, exec_lo, s2
	s_cbranch_execz .LBB1522_194
; %bb.193:
	s_waitcnt lgkmcnt(2)
	v_xor_b32_e32 v3, 0xfffff6ff, v0
                                        ; implicit-def: $vgpr24
	s_delay_alu instid0(VALU_DEP_1) | instskip(SKIP_1) | instid1(VALU_DEP_2)
	v_ashrrev_i32_e32 v6, 31, v3
	v_add_co_u32 v5, vcc_lo, v20, v3
	v_add_co_ci_u32_e32 v6, vcc_lo, v21, v6, vcc_lo
.LBB1522_194:
	s_and_not1_saveexec_b32 s2, s2
	s_cbranch_execz .LBB1522_196
; %bb.195:
	s_waitcnt lgkmcnt(3)
	v_add_co_u32 v5, vcc_lo, v15, v24
	v_add_co_ci_u32_e32 v6, vcc_lo, 0, v17, vcc_lo
.LBB1522_196:
	s_or_b32 exec_lo, exec_lo, s2
	s_waitcnt lgkmcnt(3)
	s_delay_alu instid0(VALU_DEP_1) | instskip(NEXT) | instid1(VALU_DEP_1)
	v_lshlrev_b64 v[5:6], 2, v[5:6]
	v_add_co_u32 v5, vcc_lo, s10, v5
	s_delay_alu instid0(VALU_DEP_2) | instskip(SKIP_3) | instid1(SALU_CYCLE_1)
	v_add_co_ci_u32_e32 v6, vcc_lo, s11, v6, vcc_lo
	s_waitcnt lgkmcnt(2)
	global_store_b32 v[5:6], v4, off
	s_or_b32 exec_lo, exec_lo, s1
	s_mov_b32 s1, exec_lo
	v_cmpx_gt_u32_e64 s22, v23
	s_cbranch_execnz .LBB1522_162
.LBB1522_197:
	s_or_b32 exec_lo, exec_lo, s1
	s_delay_alu instid0(SALU_CYCLE_1)
	s_mov_b32 s1, exec_lo
	v_cmpx_gt_u32_e64 s22, v22
	s_cbranch_execz .LBB1522_203
.LBB1522_198:
	s_mov_b32 s2, exec_lo
                                        ; implicit-def: $vgpr3_vgpr4
	v_cmpx_ge_u32_e64 v22, v16
	s_xor_b32 s2, exec_lo, s2
	s_cbranch_execz .LBB1522_200
; %bb.199:
	s_waitcnt lgkmcnt(1)
	v_xor_b32_e32 v1, 0xfffff4ff, v0
                                        ; implicit-def: $vgpr22
	s_delay_alu instid0(VALU_DEP_1) | instskip(SKIP_1) | instid1(VALU_DEP_2)
	v_ashrrev_i32_e32 v4, 31, v1
	v_add_co_u32 v3, vcc_lo, v20, v1
	v_add_co_ci_u32_e32 v4, vcc_lo, v21, v4, vcc_lo
.LBB1522_200:
	s_and_not1_saveexec_b32 s2, s2
	s_cbranch_execz .LBB1522_202
; %bb.201:
	s_waitcnt lgkmcnt(2)
	v_add_co_u32 v3, vcc_lo, v15, v22
	v_add_co_ci_u32_e32 v4, vcc_lo, 0, v17, vcc_lo
.LBB1522_202:
	s_or_b32 exec_lo, exec_lo, s2
	s_waitcnt lgkmcnt(2)
	s_delay_alu instid0(VALU_DEP_1) | instskip(NEXT) | instid1(VALU_DEP_1)
	v_lshlrev_b64 v[3:4], 2, v[3:4]
	v_add_co_u32 v3, vcc_lo, s10, v3
	s_delay_alu instid0(VALU_DEP_2)
	v_add_co_ci_u32_e32 v4, vcc_lo, s11, v4, vcc_lo
	s_waitcnt lgkmcnt(1)
	global_store_b32 v[3:4], v2, off
.LBB1522_203:
	s_or_b32 exec_lo, exec_lo, s1
	s_delay_alu instid0(SALU_CYCLE_1)
	s_mov_b32 s1, exec_lo
                                        ; implicit-def: $vgpr13_vgpr14
	v_cmpx_gt_u32_e64 s22, v19
	s_cbranch_execz .LBB1522_209
; %bb.204:
	s_mov_b32 s2, exec_lo
                                        ; implicit-def: $vgpr13_vgpr14
	v_cmpx_ge_u32_e64 v19, v16
	s_xor_b32 s2, exec_lo, s2
	s_cbranch_execz .LBB1522_206
; %bb.205:
	s_waitcnt lgkmcnt(1)
	v_xor_b32_e32 v1, 0xfffff3ff, v0
                                        ; implicit-def: $vgpr19
	s_delay_alu instid0(VALU_DEP_1) | instskip(SKIP_1) | instid1(VALU_DEP_2)
	v_ashrrev_i32_e32 v2, 31, v1
	v_add_co_u32 v13, vcc_lo, v20, v1
	v_add_co_ci_u32_e32 v14, vcc_lo, v21, v2, vcc_lo
.LBB1522_206:
	s_and_not1_saveexec_b32 s2, s2
; %bb.207:
	v_add_co_u32 v13, vcc_lo, v15, v19
	v_add_co_ci_u32_e32 v14, vcc_lo, 0, v17, vcc_lo
; %bb.208:
	s_or_b32 exec_lo, exec_lo, s2
	s_delay_alu instid0(SALU_CYCLE_1)
	s_or_b32 s0, s0, exec_lo
.LBB1522_209:
	s_or_b32 exec_lo, exec_lo, s1
.LBB1522_210:
	s_and_saveexec_b32 s1, s0
	s_cbranch_execz .LBB1522_212
; %bb.211:
	s_waitcnt lgkmcnt(1)
	v_lshlrev_b64 v[1:2], 2, v[13:14]
	s_delay_alu instid0(VALU_DEP_1) | instskip(NEXT) | instid1(VALU_DEP_2)
	v_add_co_u32 v1, vcc_lo, s10, v1
	v_add_co_ci_u32_e32 v2, vcc_lo, s11, v2, vcc_lo
	s_waitcnt lgkmcnt(0)
	global_store_b32 v[1:2], v18, off
.LBB1522_212:
	s_or_b32 exec_lo, exec_lo, s1
	v_cmp_eq_u32_e32 vcc_lo, 0, v0
	s_and_b32 s0, vcc_lo, s14
	s_delay_alu instid0(SALU_CYCLE_1)
	s_and_saveexec_b32 s1, s0
	s_cbranch_execz .LBB1522_214
; %bb.213:
	v_add_co_u32 v0, vcc_lo, v15, v16
	s_waitcnt lgkmcnt(1)
	v_mov_b32_e32 v2, 0
	v_add_co_ci_u32_e32 v1, vcc_lo, 0, v17, vcc_lo
	global_store_b64 v2, v[0:1], s[8:9]
.LBB1522_214:
	s_nop 0
	s_sendmsg sendmsg(MSG_DEALLOC_VGPRS)
	s_endpgm
	.section	.rodata,"a",@progbits
	.p2align	6, 0x0
	.amdhsa_kernel _ZN7rocprim17ROCPRIM_400000_NS6detail17trampoline_kernelINS0_13select_configILj256ELj13ELNS0_17block_load_methodE3ELS4_3ELS4_3ELNS0_20block_scan_algorithmE0ELj4294967295EEENS1_25partition_config_selectorILNS1_17partition_subalgoE3EjNS0_10empty_typeEbEEZZNS1_14partition_implILS8_3ELb0ES6_jNS0_17counting_iteratorIjlEEPS9_SE_NS0_5tupleIJPjSE_EEENSF_IJSE_SE_EEES9_SG_JZNS1_25segmented_radix_sort_implINS0_14default_configELb1EPKbPbPKlPlN2at6native12_GLOBAL__N_18offset_tEEE10hipError_tPvRmT1_PNSt15iterator_traitsISY_E10value_typeET2_T3_PNSZ_IS14_E10value_typeET4_jRbjT5_S1A_jjP12ihipStream_tbEUljE_EEESV_SW_SX_S14_S18_S1A_T6_T7_T9_mT8_S1C_bDpT10_ENKUlT_T0_E_clISt17integral_constantIbLb1EES1O_IbLb0EEEEDaS1K_S1L_EUlS1K_E_NS1_11comp_targetILNS1_3genE9ELNS1_11target_archE1100ELNS1_3gpuE3ELNS1_3repE0EEENS1_30default_config_static_selectorELNS0_4arch9wavefront6targetE0EEEvSY_
		.amdhsa_group_segment_fixed_size 13324
		.amdhsa_private_segment_fixed_size 0
		.amdhsa_kernarg_size 144
		.amdhsa_user_sgpr_count 15
		.amdhsa_user_sgpr_dispatch_ptr 0
		.amdhsa_user_sgpr_queue_ptr 0
		.amdhsa_user_sgpr_kernarg_segment_ptr 1
		.amdhsa_user_sgpr_dispatch_id 0
		.amdhsa_user_sgpr_private_segment_size 0
		.amdhsa_wavefront_size32 1
		.amdhsa_uses_dynamic_stack 0
		.amdhsa_enable_private_segment 0
		.amdhsa_system_sgpr_workgroup_id_x 1
		.amdhsa_system_sgpr_workgroup_id_y 0
		.amdhsa_system_sgpr_workgroup_id_z 0
		.amdhsa_system_sgpr_workgroup_info 0
		.amdhsa_system_vgpr_workitem_id 0
		.amdhsa_next_free_vgpr 57
		.amdhsa_next_free_sgpr 28
		.amdhsa_reserve_vcc 1
		.amdhsa_float_round_mode_32 0
		.amdhsa_float_round_mode_16_64 0
		.amdhsa_float_denorm_mode_32 3
		.amdhsa_float_denorm_mode_16_64 3
		.amdhsa_dx10_clamp 1
		.amdhsa_ieee_mode 1
		.amdhsa_fp16_overflow 0
		.amdhsa_workgroup_processor_mode 1
		.amdhsa_memory_ordered 1
		.amdhsa_forward_progress 0
		.amdhsa_shared_vgpr_count 0
		.amdhsa_exception_fp_ieee_invalid_op 0
		.amdhsa_exception_fp_denorm_src 0
		.amdhsa_exception_fp_ieee_div_zero 0
		.amdhsa_exception_fp_ieee_overflow 0
		.amdhsa_exception_fp_ieee_underflow 0
		.amdhsa_exception_fp_ieee_inexact 0
		.amdhsa_exception_int_div_zero 0
	.end_amdhsa_kernel
	.section	.text._ZN7rocprim17ROCPRIM_400000_NS6detail17trampoline_kernelINS0_13select_configILj256ELj13ELNS0_17block_load_methodE3ELS4_3ELS4_3ELNS0_20block_scan_algorithmE0ELj4294967295EEENS1_25partition_config_selectorILNS1_17partition_subalgoE3EjNS0_10empty_typeEbEEZZNS1_14partition_implILS8_3ELb0ES6_jNS0_17counting_iteratorIjlEEPS9_SE_NS0_5tupleIJPjSE_EEENSF_IJSE_SE_EEES9_SG_JZNS1_25segmented_radix_sort_implINS0_14default_configELb1EPKbPbPKlPlN2at6native12_GLOBAL__N_18offset_tEEE10hipError_tPvRmT1_PNSt15iterator_traitsISY_E10value_typeET2_T3_PNSZ_IS14_E10value_typeET4_jRbjT5_S1A_jjP12ihipStream_tbEUljE_EEESV_SW_SX_S14_S18_S1A_T6_T7_T9_mT8_S1C_bDpT10_ENKUlT_T0_E_clISt17integral_constantIbLb1EES1O_IbLb0EEEEDaS1K_S1L_EUlS1K_E_NS1_11comp_targetILNS1_3genE9ELNS1_11target_archE1100ELNS1_3gpuE3ELNS1_3repE0EEENS1_30default_config_static_selectorELNS0_4arch9wavefront6targetE0EEEvSY_,"axG",@progbits,_ZN7rocprim17ROCPRIM_400000_NS6detail17trampoline_kernelINS0_13select_configILj256ELj13ELNS0_17block_load_methodE3ELS4_3ELS4_3ELNS0_20block_scan_algorithmE0ELj4294967295EEENS1_25partition_config_selectorILNS1_17partition_subalgoE3EjNS0_10empty_typeEbEEZZNS1_14partition_implILS8_3ELb0ES6_jNS0_17counting_iteratorIjlEEPS9_SE_NS0_5tupleIJPjSE_EEENSF_IJSE_SE_EEES9_SG_JZNS1_25segmented_radix_sort_implINS0_14default_configELb1EPKbPbPKlPlN2at6native12_GLOBAL__N_18offset_tEEE10hipError_tPvRmT1_PNSt15iterator_traitsISY_E10value_typeET2_T3_PNSZ_IS14_E10value_typeET4_jRbjT5_S1A_jjP12ihipStream_tbEUljE_EEESV_SW_SX_S14_S18_S1A_T6_T7_T9_mT8_S1C_bDpT10_ENKUlT_T0_E_clISt17integral_constantIbLb1EES1O_IbLb0EEEEDaS1K_S1L_EUlS1K_E_NS1_11comp_targetILNS1_3genE9ELNS1_11target_archE1100ELNS1_3gpuE3ELNS1_3repE0EEENS1_30default_config_static_selectorELNS0_4arch9wavefront6targetE0EEEvSY_,comdat
.Lfunc_end1522:
	.size	_ZN7rocprim17ROCPRIM_400000_NS6detail17trampoline_kernelINS0_13select_configILj256ELj13ELNS0_17block_load_methodE3ELS4_3ELS4_3ELNS0_20block_scan_algorithmE0ELj4294967295EEENS1_25partition_config_selectorILNS1_17partition_subalgoE3EjNS0_10empty_typeEbEEZZNS1_14partition_implILS8_3ELb0ES6_jNS0_17counting_iteratorIjlEEPS9_SE_NS0_5tupleIJPjSE_EEENSF_IJSE_SE_EEES9_SG_JZNS1_25segmented_radix_sort_implINS0_14default_configELb1EPKbPbPKlPlN2at6native12_GLOBAL__N_18offset_tEEE10hipError_tPvRmT1_PNSt15iterator_traitsISY_E10value_typeET2_T3_PNSZ_IS14_E10value_typeET4_jRbjT5_S1A_jjP12ihipStream_tbEUljE_EEESV_SW_SX_S14_S18_S1A_T6_T7_T9_mT8_S1C_bDpT10_ENKUlT_T0_E_clISt17integral_constantIbLb1EES1O_IbLb0EEEEDaS1K_S1L_EUlS1K_E_NS1_11comp_targetILNS1_3genE9ELNS1_11target_archE1100ELNS1_3gpuE3ELNS1_3repE0EEENS1_30default_config_static_selectorELNS0_4arch9wavefront6targetE0EEEvSY_, .Lfunc_end1522-_ZN7rocprim17ROCPRIM_400000_NS6detail17trampoline_kernelINS0_13select_configILj256ELj13ELNS0_17block_load_methodE3ELS4_3ELS4_3ELNS0_20block_scan_algorithmE0ELj4294967295EEENS1_25partition_config_selectorILNS1_17partition_subalgoE3EjNS0_10empty_typeEbEEZZNS1_14partition_implILS8_3ELb0ES6_jNS0_17counting_iteratorIjlEEPS9_SE_NS0_5tupleIJPjSE_EEENSF_IJSE_SE_EEES9_SG_JZNS1_25segmented_radix_sort_implINS0_14default_configELb1EPKbPbPKlPlN2at6native12_GLOBAL__N_18offset_tEEE10hipError_tPvRmT1_PNSt15iterator_traitsISY_E10value_typeET2_T3_PNSZ_IS14_E10value_typeET4_jRbjT5_S1A_jjP12ihipStream_tbEUljE_EEESV_SW_SX_S14_S18_S1A_T6_T7_T9_mT8_S1C_bDpT10_ENKUlT_T0_E_clISt17integral_constantIbLb1EES1O_IbLb0EEEEDaS1K_S1L_EUlS1K_E_NS1_11comp_targetILNS1_3genE9ELNS1_11target_archE1100ELNS1_3gpuE3ELNS1_3repE0EEENS1_30default_config_static_selectorELNS0_4arch9wavefront6targetE0EEEvSY_
                                        ; -- End function
	.section	.AMDGPU.csdata,"",@progbits
; Kernel info:
; codeLenInByte = 8964
; NumSgprs: 30
; NumVgprs: 57
; ScratchSize: 0
; MemoryBound: 0
; FloatMode: 240
; IeeeMode: 1
; LDSByteSize: 13324 bytes/workgroup (compile time only)
; SGPRBlocks: 3
; VGPRBlocks: 7
; NumSGPRsForWavesPerEU: 30
; NumVGPRsForWavesPerEU: 57
; Occupancy: 16
; WaveLimiterHint : 0
; COMPUTE_PGM_RSRC2:SCRATCH_EN: 0
; COMPUTE_PGM_RSRC2:USER_SGPR: 15
; COMPUTE_PGM_RSRC2:TRAP_HANDLER: 0
; COMPUTE_PGM_RSRC2:TGID_X_EN: 1
; COMPUTE_PGM_RSRC2:TGID_Y_EN: 0
; COMPUTE_PGM_RSRC2:TGID_Z_EN: 0
; COMPUTE_PGM_RSRC2:TIDIG_COMP_CNT: 0
	.section	.text._ZN7rocprim17ROCPRIM_400000_NS6detail17trampoline_kernelINS0_13select_configILj256ELj13ELNS0_17block_load_methodE3ELS4_3ELS4_3ELNS0_20block_scan_algorithmE0ELj4294967295EEENS1_25partition_config_selectorILNS1_17partition_subalgoE3EjNS0_10empty_typeEbEEZZNS1_14partition_implILS8_3ELb0ES6_jNS0_17counting_iteratorIjlEEPS9_SE_NS0_5tupleIJPjSE_EEENSF_IJSE_SE_EEES9_SG_JZNS1_25segmented_radix_sort_implINS0_14default_configELb1EPKbPbPKlPlN2at6native12_GLOBAL__N_18offset_tEEE10hipError_tPvRmT1_PNSt15iterator_traitsISY_E10value_typeET2_T3_PNSZ_IS14_E10value_typeET4_jRbjT5_S1A_jjP12ihipStream_tbEUljE_EEESV_SW_SX_S14_S18_S1A_T6_T7_T9_mT8_S1C_bDpT10_ENKUlT_T0_E_clISt17integral_constantIbLb1EES1O_IbLb0EEEEDaS1K_S1L_EUlS1K_E_NS1_11comp_targetILNS1_3genE8ELNS1_11target_archE1030ELNS1_3gpuE2ELNS1_3repE0EEENS1_30default_config_static_selectorELNS0_4arch9wavefront6targetE0EEEvSY_,"axG",@progbits,_ZN7rocprim17ROCPRIM_400000_NS6detail17trampoline_kernelINS0_13select_configILj256ELj13ELNS0_17block_load_methodE3ELS4_3ELS4_3ELNS0_20block_scan_algorithmE0ELj4294967295EEENS1_25partition_config_selectorILNS1_17partition_subalgoE3EjNS0_10empty_typeEbEEZZNS1_14partition_implILS8_3ELb0ES6_jNS0_17counting_iteratorIjlEEPS9_SE_NS0_5tupleIJPjSE_EEENSF_IJSE_SE_EEES9_SG_JZNS1_25segmented_radix_sort_implINS0_14default_configELb1EPKbPbPKlPlN2at6native12_GLOBAL__N_18offset_tEEE10hipError_tPvRmT1_PNSt15iterator_traitsISY_E10value_typeET2_T3_PNSZ_IS14_E10value_typeET4_jRbjT5_S1A_jjP12ihipStream_tbEUljE_EEESV_SW_SX_S14_S18_S1A_T6_T7_T9_mT8_S1C_bDpT10_ENKUlT_T0_E_clISt17integral_constantIbLb1EES1O_IbLb0EEEEDaS1K_S1L_EUlS1K_E_NS1_11comp_targetILNS1_3genE8ELNS1_11target_archE1030ELNS1_3gpuE2ELNS1_3repE0EEENS1_30default_config_static_selectorELNS0_4arch9wavefront6targetE0EEEvSY_,comdat
	.globl	_ZN7rocprim17ROCPRIM_400000_NS6detail17trampoline_kernelINS0_13select_configILj256ELj13ELNS0_17block_load_methodE3ELS4_3ELS4_3ELNS0_20block_scan_algorithmE0ELj4294967295EEENS1_25partition_config_selectorILNS1_17partition_subalgoE3EjNS0_10empty_typeEbEEZZNS1_14partition_implILS8_3ELb0ES6_jNS0_17counting_iteratorIjlEEPS9_SE_NS0_5tupleIJPjSE_EEENSF_IJSE_SE_EEES9_SG_JZNS1_25segmented_radix_sort_implINS0_14default_configELb1EPKbPbPKlPlN2at6native12_GLOBAL__N_18offset_tEEE10hipError_tPvRmT1_PNSt15iterator_traitsISY_E10value_typeET2_T3_PNSZ_IS14_E10value_typeET4_jRbjT5_S1A_jjP12ihipStream_tbEUljE_EEESV_SW_SX_S14_S18_S1A_T6_T7_T9_mT8_S1C_bDpT10_ENKUlT_T0_E_clISt17integral_constantIbLb1EES1O_IbLb0EEEEDaS1K_S1L_EUlS1K_E_NS1_11comp_targetILNS1_3genE8ELNS1_11target_archE1030ELNS1_3gpuE2ELNS1_3repE0EEENS1_30default_config_static_selectorELNS0_4arch9wavefront6targetE0EEEvSY_ ; -- Begin function _ZN7rocprim17ROCPRIM_400000_NS6detail17trampoline_kernelINS0_13select_configILj256ELj13ELNS0_17block_load_methodE3ELS4_3ELS4_3ELNS0_20block_scan_algorithmE0ELj4294967295EEENS1_25partition_config_selectorILNS1_17partition_subalgoE3EjNS0_10empty_typeEbEEZZNS1_14partition_implILS8_3ELb0ES6_jNS0_17counting_iteratorIjlEEPS9_SE_NS0_5tupleIJPjSE_EEENSF_IJSE_SE_EEES9_SG_JZNS1_25segmented_radix_sort_implINS0_14default_configELb1EPKbPbPKlPlN2at6native12_GLOBAL__N_18offset_tEEE10hipError_tPvRmT1_PNSt15iterator_traitsISY_E10value_typeET2_T3_PNSZ_IS14_E10value_typeET4_jRbjT5_S1A_jjP12ihipStream_tbEUljE_EEESV_SW_SX_S14_S18_S1A_T6_T7_T9_mT8_S1C_bDpT10_ENKUlT_T0_E_clISt17integral_constantIbLb1EES1O_IbLb0EEEEDaS1K_S1L_EUlS1K_E_NS1_11comp_targetILNS1_3genE8ELNS1_11target_archE1030ELNS1_3gpuE2ELNS1_3repE0EEENS1_30default_config_static_selectorELNS0_4arch9wavefront6targetE0EEEvSY_
	.p2align	8
	.type	_ZN7rocprim17ROCPRIM_400000_NS6detail17trampoline_kernelINS0_13select_configILj256ELj13ELNS0_17block_load_methodE3ELS4_3ELS4_3ELNS0_20block_scan_algorithmE0ELj4294967295EEENS1_25partition_config_selectorILNS1_17partition_subalgoE3EjNS0_10empty_typeEbEEZZNS1_14partition_implILS8_3ELb0ES6_jNS0_17counting_iteratorIjlEEPS9_SE_NS0_5tupleIJPjSE_EEENSF_IJSE_SE_EEES9_SG_JZNS1_25segmented_radix_sort_implINS0_14default_configELb1EPKbPbPKlPlN2at6native12_GLOBAL__N_18offset_tEEE10hipError_tPvRmT1_PNSt15iterator_traitsISY_E10value_typeET2_T3_PNSZ_IS14_E10value_typeET4_jRbjT5_S1A_jjP12ihipStream_tbEUljE_EEESV_SW_SX_S14_S18_S1A_T6_T7_T9_mT8_S1C_bDpT10_ENKUlT_T0_E_clISt17integral_constantIbLb1EES1O_IbLb0EEEEDaS1K_S1L_EUlS1K_E_NS1_11comp_targetILNS1_3genE8ELNS1_11target_archE1030ELNS1_3gpuE2ELNS1_3repE0EEENS1_30default_config_static_selectorELNS0_4arch9wavefront6targetE0EEEvSY_,@function
_ZN7rocprim17ROCPRIM_400000_NS6detail17trampoline_kernelINS0_13select_configILj256ELj13ELNS0_17block_load_methodE3ELS4_3ELS4_3ELNS0_20block_scan_algorithmE0ELj4294967295EEENS1_25partition_config_selectorILNS1_17partition_subalgoE3EjNS0_10empty_typeEbEEZZNS1_14partition_implILS8_3ELb0ES6_jNS0_17counting_iteratorIjlEEPS9_SE_NS0_5tupleIJPjSE_EEENSF_IJSE_SE_EEES9_SG_JZNS1_25segmented_radix_sort_implINS0_14default_configELb1EPKbPbPKlPlN2at6native12_GLOBAL__N_18offset_tEEE10hipError_tPvRmT1_PNSt15iterator_traitsISY_E10value_typeET2_T3_PNSZ_IS14_E10value_typeET4_jRbjT5_S1A_jjP12ihipStream_tbEUljE_EEESV_SW_SX_S14_S18_S1A_T6_T7_T9_mT8_S1C_bDpT10_ENKUlT_T0_E_clISt17integral_constantIbLb1EES1O_IbLb0EEEEDaS1K_S1L_EUlS1K_E_NS1_11comp_targetILNS1_3genE8ELNS1_11target_archE1030ELNS1_3gpuE2ELNS1_3repE0EEENS1_30default_config_static_selectorELNS0_4arch9wavefront6targetE0EEEvSY_: ; @_ZN7rocprim17ROCPRIM_400000_NS6detail17trampoline_kernelINS0_13select_configILj256ELj13ELNS0_17block_load_methodE3ELS4_3ELS4_3ELNS0_20block_scan_algorithmE0ELj4294967295EEENS1_25partition_config_selectorILNS1_17partition_subalgoE3EjNS0_10empty_typeEbEEZZNS1_14partition_implILS8_3ELb0ES6_jNS0_17counting_iteratorIjlEEPS9_SE_NS0_5tupleIJPjSE_EEENSF_IJSE_SE_EEES9_SG_JZNS1_25segmented_radix_sort_implINS0_14default_configELb1EPKbPbPKlPlN2at6native12_GLOBAL__N_18offset_tEEE10hipError_tPvRmT1_PNSt15iterator_traitsISY_E10value_typeET2_T3_PNSZ_IS14_E10value_typeET4_jRbjT5_S1A_jjP12ihipStream_tbEUljE_EEESV_SW_SX_S14_S18_S1A_T6_T7_T9_mT8_S1C_bDpT10_ENKUlT_T0_E_clISt17integral_constantIbLb1EES1O_IbLb0EEEEDaS1K_S1L_EUlS1K_E_NS1_11comp_targetILNS1_3genE8ELNS1_11target_archE1030ELNS1_3gpuE2ELNS1_3repE0EEENS1_30default_config_static_selectorELNS0_4arch9wavefront6targetE0EEEvSY_
; %bb.0:
	.section	.rodata,"a",@progbits
	.p2align	6, 0x0
	.amdhsa_kernel _ZN7rocprim17ROCPRIM_400000_NS6detail17trampoline_kernelINS0_13select_configILj256ELj13ELNS0_17block_load_methodE3ELS4_3ELS4_3ELNS0_20block_scan_algorithmE0ELj4294967295EEENS1_25partition_config_selectorILNS1_17partition_subalgoE3EjNS0_10empty_typeEbEEZZNS1_14partition_implILS8_3ELb0ES6_jNS0_17counting_iteratorIjlEEPS9_SE_NS0_5tupleIJPjSE_EEENSF_IJSE_SE_EEES9_SG_JZNS1_25segmented_radix_sort_implINS0_14default_configELb1EPKbPbPKlPlN2at6native12_GLOBAL__N_18offset_tEEE10hipError_tPvRmT1_PNSt15iterator_traitsISY_E10value_typeET2_T3_PNSZ_IS14_E10value_typeET4_jRbjT5_S1A_jjP12ihipStream_tbEUljE_EEESV_SW_SX_S14_S18_S1A_T6_T7_T9_mT8_S1C_bDpT10_ENKUlT_T0_E_clISt17integral_constantIbLb1EES1O_IbLb0EEEEDaS1K_S1L_EUlS1K_E_NS1_11comp_targetILNS1_3genE8ELNS1_11target_archE1030ELNS1_3gpuE2ELNS1_3repE0EEENS1_30default_config_static_selectorELNS0_4arch9wavefront6targetE0EEEvSY_
		.amdhsa_group_segment_fixed_size 0
		.amdhsa_private_segment_fixed_size 0
		.amdhsa_kernarg_size 144
		.amdhsa_user_sgpr_count 15
		.amdhsa_user_sgpr_dispatch_ptr 0
		.amdhsa_user_sgpr_queue_ptr 0
		.amdhsa_user_sgpr_kernarg_segment_ptr 1
		.amdhsa_user_sgpr_dispatch_id 0
		.amdhsa_user_sgpr_private_segment_size 0
		.amdhsa_wavefront_size32 1
		.amdhsa_uses_dynamic_stack 0
		.amdhsa_enable_private_segment 0
		.amdhsa_system_sgpr_workgroup_id_x 1
		.amdhsa_system_sgpr_workgroup_id_y 0
		.amdhsa_system_sgpr_workgroup_id_z 0
		.amdhsa_system_sgpr_workgroup_info 0
		.amdhsa_system_vgpr_workitem_id 0
		.amdhsa_next_free_vgpr 1
		.amdhsa_next_free_sgpr 1
		.amdhsa_reserve_vcc 0
		.amdhsa_float_round_mode_32 0
		.amdhsa_float_round_mode_16_64 0
		.amdhsa_float_denorm_mode_32 3
		.amdhsa_float_denorm_mode_16_64 3
		.amdhsa_dx10_clamp 1
		.amdhsa_ieee_mode 1
		.amdhsa_fp16_overflow 0
		.amdhsa_workgroup_processor_mode 1
		.amdhsa_memory_ordered 1
		.amdhsa_forward_progress 0
		.amdhsa_shared_vgpr_count 0
		.amdhsa_exception_fp_ieee_invalid_op 0
		.amdhsa_exception_fp_denorm_src 0
		.amdhsa_exception_fp_ieee_div_zero 0
		.amdhsa_exception_fp_ieee_overflow 0
		.amdhsa_exception_fp_ieee_underflow 0
		.amdhsa_exception_fp_ieee_inexact 0
		.amdhsa_exception_int_div_zero 0
	.end_amdhsa_kernel
	.section	.text._ZN7rocprim17ROCPRIM_400000_NS6detail17trampoline_kernelINS0_13select_configILj256ELj13ELNS0_17block_load_methodE3ELS4_3ELS4_3ELNS0_20block_scan_algorithmE0ELj4294967295EEENS1_25partition_config_selectorILNS1_17partition_subalgoE3EjNS0_10empty_typeEbEEZZNS1_14partition_implILS8_3ELb0ES6_jNS0_17counting_iteratorIjlEEPS9_SE_NS0_5tupleIJPjSE_EEENSF_IJSE_SE_EEES9_SG_JZNS1_25segmented_radix_sort_implINS0_14default_configELb1EPKbPbPKlPlN2at6native12_GLOBAL__N_18offset_tEEE10hipError_tPvRmT1_PNSt15iterator_traitsISY_E10value_typeET2_T3_PNSZ_IS14_E10value_typeET4_jRbjT5_S1A_jjP12ihipStream_tbEUljE_EEESV_SW_SX_S14_S18_S1A_T6_T7_T9_mT8_S1C_bDpT10_ENKUlT_T0_E_clISt17integral_constantIbLb1EES1O_IbLb0EEEEDaS1K_S1L_EUlS1K_E_NS1_11comp_targetILNS1_3genE8ELNS1_11target_archE1030ELNS1_3gpuE2ELNS1_3repE0EEENS1_30default_config_static_selectorELNS0_4arch9wavefront6targetE0EEEvSY_,"axG",@progbits,_ZN7rocprim17ROCPRIM_400000_NS6detail17trampoline_kernelINS0_13select_configILj256ELj13ELNS0_17block_load_methodE3ELS4_3ELS4_3ELNS0_20block_scan_algorithmE0ELj4294967295EEENS1_25partition_config_selectorILNS1_17partition_subalgoE3EjNS0_10empty_typeEbEEZZNS1_14partition_implILS8_3ELb0ES6_jNS0_17counting_iteratorIjlEEPS9_SE_NS0_5tupleIJPjSE_EEENSF_IJSE_SE_EEES9_SG_JZNS1_25segmented_radix_sort_implINS0_14default_configELb1EPKbPbPKlPlN2at6native12_GLOBAL__N_18offset_tEEE10hipError_tPvRmT1_PNSt15iterator_traitsISY_E10value_typeET2_T3_PNSZ_IS14_E10value_typeET4_jRbjT5_S1A_jjP12ihipStream_tbEUljE_EEESV_SW_SX_S14_S18_S1A_T6_T7_T9_mT8_S1C_bDpT10_ENKUlT_T0_E_clISt17integral_constantIbLb1EES1O_IbLb0EEEEDaS1K_S1L_EUlS1K_E_NS1_11comp_targetILNS1_3genE8ELNS1_11target_archE1030ELNS1_3gpuE2ELNS1_3repE0EEENS1_30default_config_static_selectorELNS0_4arch9wavefront6targetE0EEEvSY_,comdat
.Lfunc_end1523:
	.size	_ZN7rocprim17ROCPRIM_400000_NS6detail17trampoline_kernelINS0_13select_configILj256ELj13ELNS0_17block_load_methodE3ELS4_3ELS4_3ELNS0_20block_scan_algorithmE0ELj4294967295EEENS1_25partition_config_selectorILNS1_17partition_subalgoE3EjNS0_10empty_typeEbEEZZNS1_14partition_implILS8_3ELb0ES6_jNS0_17counting_iteratorIjlEEPS9_SE_NS0_5tupleIJPjSE_EEENSF_IJSE_SE_EEES9_SG_JZNS1_25segmented_radix_sort_implINS0_14default_configELb1EPKbPbPKlPlN2at6native12_GLOBAL__N_18offset_tEEE10hipError_tPvRmT1_PNSt15iterator_traitsISY_E10value_typeET2_T3_PNSZ_IS14_E10value_typeET4_jRbjT5_S1A_jjP12ihipStream_tbEUljE_EEESV_SW_SX_S14_S18_S1A_T6_T7_T9_mT8_S1C_bDpT10_ENKUlT_T0_E_clISt17integral_constantIbLb1EES1O_IbLb0EEEEDaS1K_S1L_EUlS1K_E_NS1_11comp_targetILNS1_3genE8ELNS1_11target_archE1030ELNS1_3gpuE2ELNS1_3repE0EEENS1_30default_config_static_selectorELNS0_4arch9wavefront6targetE0EEEvSY_, .Lfunc_end1523-_ZN7rocprim17ROCPRIM_400000_NS6detail17trampoline_kernelINS0_13select_configILj256ELj13ELNS0_17block_load_methodE3ELS4_3ELS4_3ELNS0_20block_scan_algorithmE0ELj4294967295EEENS1_25partition_config_selectorILNS1_17partition_subalgoE3EjNS0_10empty_typeEbEEZZNS1_14partition_implILS8_3ELb0ES6_jNS0_17counting_iteratorIjlEEPS9_SE_NS0_5tupleIJPjSE_EEENSF_IJSE_SE_EEES9_SG_JZNS1_25segmented_radix_sort_implINS0_14default_configELb1EPKbPbPKlPlN2at6native12_GLOBAL__N_18offset_tEEE10hipError_tPvRmT1_PNSt15iterator_traitsISY_E10value_typeET2_T3_PNSZ_IS14_E10value_typeET4_jRbjT5_S1A_jjP12ihipStream_tbEUljE_EEESV_SW_SX_S14_S18_S1A_T6_T7_T9_mT8_S1C_bDpT10_ENKUlT_T0_E_clISt17integral_constantIbLb1EES1O_IbLb0EEEEDaS1K_S1L_EUlS1K_E_NS1_11comp_targetILNS1_3genE8ELNS1_11target_archE1030ELNS1_3gpuE2ELNS1_3repE0EEENS1_30default_config_static_selectorELNS0_4arch9wavefront6targetE0EEEvSY_
                                        ; -- End function
	.section	.AMDGPU.csdata,"",@progbits
; Kernel info:
; codeLenInByte = 0
; NumSgprs: 0
; NumVgprs: 0
; ScratchSize: 0
; MemoryBound: 0
; FloatMode: 240
; IeeeMode: 1
; LDSByteSize: 0 bytes/workgroup (compile time only)
; SGPRBlocks: 0
; VGPRBlocks: 0
; NumSGPRsForWavesPerEU: 1
; NumVGPRsForWavesPerEU: 1
; Occupancy: 16
; WaveLimiterHint : 0
; COMPUTE_PGM_RSRC2:SCRATCH_EN: 0
; COMPUTE_PGM_RSRC2:USER_SGPR: 15
; COMPUTE_PGM_RSRC2:TRAP_HANDLER: 0
; COMPUTE_PGM_RSRC2:TGID_X_EN: 1
; COMPUTE_PGM_RSRC2:TGID_Y_EN: 0
; COMPUTE_PGM_RSRC2:TGID_Z_EN: 0
; COMPUTE_PGM_RSRC2:TIDIG_COMP_CNT: 0
	.section	.text._ZN7rocprim17ROCPRIM_400000_NS6detail17trampoline_kernelINS0_13select_configILj256ELj13ELNS0_17block_load_methodE3ELS4_3ELS4_3ELNS0_20block_scan_algorithmE0ELj4294967295EEENS1_25partition_config_selectorILNS1_17partition_subalgoE3EjNS0_10empty_typeEbEEZZNS1_14partition_implILS8_3ELb0ES6_jNS0_17counting_iteratorIjlEEPS9_SE_NS0_5tupleIJPjSE_EEENSF_IJSE_SE_EEES9_SG_JZNS1_25segmented_radix_sort_implINS0_14default_configELb1EPKbPbPKlPlN2at6native12_GLOBAL__N_18offset_tEEE10hipError_tPvRmT1_PNSt15iterator_traitsISY_E10value_typeET2_T3_PNSZ_IS14_E10value_typeET4_jRbjT5_S1A_jjP12ihipStream_tbEUljE_EEESV_SW_SX_S14_S18_S1A_T6_T7_T9_mT8_S1C_bDpT10_ENKUlT_T0_E_clISt17integral_constantIbLb0EES1O_IbLb1EEEEDaS1K_S1L_EUlS1K_E_NS1_11comp_targetILNS1_3genE0ELNS1_11target_archE4294967295ELNS1_3gpuE0ELNS1_3repE0EEENS1_30default_config_static_selectorELNS0_4arch9wavefront6targetE0EEEvSY_,"axG",@progbits,_ZN7rocprim17ROCPRIM_400000_NS6detail17trampoline_kernelINS0_13select_configILj256ELj13ELNS0_17block_load_methodE3ELS4_3ELS4_3ELNS0_20block_scan_algorithmE0ELj4294967295EEENS1_25partition_config_selectorILNS1_17partition_subalgoE3EjNS0_10empty_typeEbEEZZNS1_14partition_implILS8_3ELb0ES6_jNS0_17counting_iteratorIjlEEPS9_SE_NS0_5tupleIJPjSE_EEENSF_IJSE_SE_EEES9_SG_JZNS1_25segmented_radix_sort_implINS0_14default_configELb1EPKbPbPKlPlN2at6native12_GLOBAL__N_18offset_tEEE10hipError_tPvRmT1_PNSt15iterator_traitsISY_E10value_typeET2_T3_PNSZ_IS14_E10value_typeET4_jRbjT5_S1A_jjP12ihipStream_tbEUljE_EEESV_SW_SX_S14_S18_S1A_T6_T7_T9_mT8_S1C_bDpT10_ENKUlT_T0_E_clISt17integral_constantIbLb0EES1O_IbLb1EEEEDaS1K_S1L_EUlS1K_E_NS1_11comp_targetILNS1_3genE0ELNS1_11target_archE4294967295ELNS1_3gpuE0ELNS1_3repE0EEENS1_30default_config_static_selectorELNS0_4arch9wavefront6targetE0EEEvSY_,comdat
	.globl	_ZN7rocprim17ROCPRIM_400000_NS6detail17trampoline_kernelINS0_13select_configILj256ELj13ELNS0_17block_load_methodE3ELS4_3ELS4_3ELNS0_20block_scan_algorithmE0ELj4294967295EEENS1_25partition_config_selectorILNS1_17partition_subalgoE3EjNS0_10empty_typeEbEEZZNS1_14partition_implILS8_3ELb0ES6_jNS0_17counting_iteratorIjlEEPS9_SE_NS0_5tupleIJPjSE_EEENSF_IJSE_SE_EEES9_SG_JZNS1_25segmented_radix_sort_implINS0_14default_configELb1EPKbPbPKlPlN2at6native12_GLOBAL__N_18offset_tEEE10hipError_tPvRmT1_PNSt15iterator_traitsISY_E10value_typeET2_T3_PNSZ_IS14_E10value_typeET4_jRbjT5_S1A_jjP12ihipStream_tbEUljE_EEESV_SW_SX_S14_S18_S1A_T6_T7_T9_mT8_S1C_bDpT10_ENKUlT_T0_E_clISt17integral_constantIbLb0EES1O_IbLb1EEEEDaS1K_S1L_EUlS1K_E_NS1_11comp_targetILNS1_3genE0ELNS1_11target_archE4294967295ELNS1_3gpuE0ELNS1_3repE0EEENS1_30default_config_static_selectorELNS0_4arch9wavefront6targetE0EEEvSY_ ; -- Begin function _ZN7rocprim17ROCPRIM_400000_NS6detail17trampoline_kernelINS0_13select_configILj256ELj13ELNS0_17block_load_methodE3ELS4_3ELS4_3ELNS0_20block_scan_algorithmE0ELj4294967295EEENS1_25partition_config_selectorILNS1_17partition_subalgoE3EjNS0_10empty_typeEbEEZZNS1_14partition_implILS8_3ELb0ES6_jNS0_17counting_iteratorIjlEEPS9_SE_NS0_5tupleIJPjSE_EEENSF_IJSE_SE_EEES9_SG_JZNS1_25segmented_radix_sort_implINS0_14default_configELb1EPKbPbPKlPlN2at6native12_GLOBAL__N_18offset_tEEE10hipError_tPvRmT1_PNSt15iterator_traitsISY_E10value_typeET2_T3_PNSZ_IS14_E10value_typeET4_jRbjT5_S1A_jjP12ihipStream_tbEUljE_EEESV_SW_SX_S14_S18_S1A_T6_T7_T9_mT8_S1C_bDpT10_ENKUlT_T0_E_clISt17integral_constantIbLb0EES1O_IbLb1EEEEDaS1K_S1L_EUlS1K_E_NS1_11comp_targetILNS1_3genE0ELNS1_11target_archE4294967295ELNS1_3gpuE0ELNS1_3repE0EEENS1_30default_config_static_selectorELNS0_4arch9wavefront6targetE0EEEvSY_
	.p2align	8
	.type	_ZN7rocprim17ROCPRIM_400000_NS6detail17trampoline_kernelINS0_13select_configILj256ELj13ELNS0_17block_load_methodE3ELS4_3ELS4_3ELNS0_20block_scan_algorithmE0ELj4294967295EEENS1_25partition_config_selectorILNS1_17partition_subalgoE3EjNS0_10empty_typeEbEEZZNS1_14partition_implILS8_3ELb0ES6_jNS0_17counting_iteratorIjlEEPS9_SE_NS0_5tupleIJPjSE_EEENSF_IJSE_SE_EEES9_SG_JZNS1_25segmented_radix_sort_implINS0_14default_configELb1EPKbPbPKlPlN2at6native12_GLOBAL__N_18offset_tEEE10hipError_tPvRmT1_PNSt15iterator_traitsISY_E10value_typeET2_T3_PNSZ_IS14_E10value_typeET4_jRbjT5_S1A_jjP12ihipStream_tbEUljE_EEESV_SW_SX_S14_S18_S1A_T6_T7_T9_mT8_S1C_bDpT10_ENKUlT_T0_E_clISt17integral_constantIbLb0EES1O_IbLb1EEEEDaS1K_S1L_EUlS1K_E_NS1_11comp_targetILNS1_3genE0ELNS1_11target_archE4294967295ELNS1_3gpuE0ELNS1_3repE0EEENS1_30default_config_static_selectorELNS0_4arch9wavefront6targetE0EEEvSY_,@function
_ZN7rocprim17ROCPRIM_400000_NS6detail17trampoline_kernelINS0_13select_configILj256ELj13ELNS0_17block_load_methodE3ELS4_3ELS4_3ELNS0_20block_scan_algorithmE0ELj4294967295EEENS1_25partition_config_selectorILNS1_17partition_subalgoE3EjNS0_10empty_typeEbEEZZNS1_14partition_implILS8_3ELb0ES6_jNS0_17counting_iteratorIjlEEPS9_SE_NS0_5tupleIJPjSE_EEENSF_IJSE_SE_EEES9_SG_JZNS1_25segmented_radix_sort_implINS0_14default_configELb1EPKbPbPKlPlN2at6native12_GLOBAL__N_18offset_tEEE10hipError_tPvRmT1_PNSt15iterator_traitsISY_E10value_typeET2_T3_PNSZ_IS14_E10value_typeET4_jRbjT5_S1A_jjP12ihipStream_tbEUljE_EEESV_SW_SX_S14_S18_S1A_T6_T7_T9_mT8_S1C_bDpT10_ENKUlT_T0_E_clISt17integral_constantIbLb0EES1O_IbLb1EEEEDaS1K_S1L_EUlS1K_E_NS1_11comp_targetILNS1_3genE0ELNS1_11target_archE4294967295ELNS1_3gpuE0ELNS1_3repE0EEENS1_30default_config_static_selectorELNS0_4arch9wavefront6targetE0EEEvSY_: ; @_ZN7rocprim17ROCPRIM_400000_NS6detail17trampoline_kernelINS0_13select_configILj256ELj13ELNS0_17block_load_methodE3ELS4_3ELS4_3ELNS0_20block_scan_algorithmE0ELj4294967295EEENS1_25partition_config_selectorILNS1_17partition_subalgoE3EjNS0_10empty_typeEbEEZZNS1_14partition_implILS8_3ELb0ES6_jNS0_17counting_iteratorIjlEEPS9_SE_NS0_5tupleIJPjSE_EEENSF_IJSE_SE_EEES9_SG_JZNS1_25segmented_radix_sort_implINS0_14default_configELb1EPKbPbPKlPlN2at6native12_GLOBAL__N_18offset_tEEE10hipError_tPvRmT1_PNSt15iterator_traitsISY_E10value_typeET2_T3_PNSZ_IS14_E10value_typeET4_jRbjT5_S1A_jjP12ihipStream_tbEUljE_EEESV_SW_SX_S14_S18_S1A_T6_T7_T9_mT8_S1C_bDpT10_ENKUlT_T0_E_clISt17integral_constantIbLb0EES1O_IbLb1EEEEDaS1K_S1L_EUlS1K_E_NS1_11comp_targetILNS1_3genE0ELNS1_11target_archE4294967295ELNS1_3gpuE0ELNS1_3repE0EEENS1_30default_config_static_selectorELNS0_4arch9wavefront6targetE0EEEvSY_
; %bb.0:
	.section	.rodata,"a",@progbits
	.p2align	6, 0x0
	.amdhsa_kernel _ZN7rocprim17ROCPRIM_400000_NS6detail17trampoline_kernelINS0_13select_configILj256ELj13ELNS0_17block_load_methodE3ELS4_3ELS4_3ELNS0_20block_scan_algorithmE0ELj4294967295EEENS1_25partition_config_selectorILNS1_17partition_subalgoE3EjNS0_10empty_typeEbEEZZNS1_14partition_implILS8_3ELb0ES6_jNS0_17counting_iteratorIjlEEPS9_SE_NS0_5tupleIJPjSE_EEENSF_IJSE_SE_EEES9_SG_JZNS1_25segmented_radix_sort_implINS0_14default_configELb1EPKbPbPKlPlN2at6native12_GLOBAL__N_18offset_tEEE10hipError_tPvRmT1_PNSt15iterator_traitsISY_E10value_typeET2_T3_PNSZ_IS14_E10value_typeET4_jRbjT5_S1A_jjP12ihipStream_tbEUljE_EEESV_SW_SX_S14_S18_S1A_T6_T7_T9_mT8_S1C_bDpT10_ENKUlT_T0_E_clISt17integral_constantIbLb0EES1O_IbLb1EEEEDaS1K_S1L_EUlS1K_E_NS1_11comp_targetILNS1_3genE0ELNS1_11target_archE4294967295ELNS1_3gpuE0ELNS1_3repE0EEENS1_30default_config_static_selectorELNS0_4arch9wavefront6targetE0EEEvSY_
		.amdhsa_group_segment_fixed_size 0
		.amdhsa_private_segment_fixed_size 0
		.amdhsa_kernarg_size 152
		.amdhsa_user_sgpr_count 15
		.amdhsa_user_sgpr_dispatch_ptr 0
		.amdhsa_user_sgpr_queue_ptr 0
		.amdhsa_user_sgpr_kernarg_segment_ptr 1
		.amdhsa_user_sgpr_dispatch_id 0
		.amdhsa_user_sgpr_private_segment_size 0
		.amdhsa_wavefront_size32 1
		.amdhsa_uses_dynamic_stack 0
		.amdhsa_enable_private_segment 0
		.amdhsa_system_sgpr_workgroup_id_x 1
		.amdhsa_system_sgpr_workgroup_id_y 0
		.amdhsa_system_sgpr_workgroup_id_z 0
		.amdhsa_system_sgpr_workgroup_info 0
		.amdhsa_system_vgpr_workitem_id 0
		.amdhsa_next_free_vgpr 1
		.amdhsa_next_free_sgpr 1
		.amdhsa_reserve_vcc 0
		.amdhsa_float_round_mode_32 0
		.amdhsa_float_round_mode_16_64 0
		.amdhsa_float_denorm_mode_32 3
		.amdhsa_float_denorm_mode_16_64 3
		.amdhsa_dx10_clamp 1
		.amdhsa_ieee_mode 1
		.amdhsa_fp16_overflow 0
		.amdhsa_workgroup_processor_mode 1
		.amdhsa_memory_ordered 1
		.amdhsa_forward_progress 0
		.amdhsa_shared_vgpr_count 0
		.amdhsa_exception_fp_ieee_invalid_op 0
		.amdhsa_exception_fp_denorm_src 0
		.amdhsa_exception_fp_ieee_div_zero 0
		.amdhsa_exception_fp_ieee_overflow 0
		.amdhsa_exception_fp_ieee_underflow 0
		.amdhsa_exception_fp_ieee_inexact 0
		.amdhsa_exception_int_div_zero 0
	.end_amdhsa_kernel
	.section	.text._ZN7rocprim17ROCPRIM_400000_NS6detail17trampoline_kernelINS0_13select_configILj256ELj13ELNS0_17block_load_methodE3ELS4_3ELS4_3ELNS0_20block_scan_algorithmE0ELj4294967295EEENS1_25partition_config_selectorILNS1_17partition_subalgoE3EjNS0_10empty_typeEbEEZZNS1_14partition_implILS8_3ELb0ES6_jNS0_17counting_iteratorIjlEEPS9_SE_NS0_5tupleIJPjSE_EEENSF_IJSE_SE_EEES9_SG_JZNS1_25segmented_radix_sort_implINS0_14default_configELb1EPKbPbPKlPlN2at6native12_GLOBAL__N_18offset_tEEE10hipError_tPvRmT1_PNSt15iterator_traitsISY_E10value_typeET2_T3_PNSZ_IS14_E10value_typeET4_jRbjT5_S1A_jjP12ihipStream_tbEUljE_EEESV_SW_SX_S14_S18_S1A_T6_T7_T9_mT8_S1C_bDpT10_ENKUlT_T0_E_clISt17integral_constantIbLb0EES1O_IbLb1EEEEDaS1K_S1L_EUlS1K_E_NS1_11comp_targetILNS1_3genE0ELNS1_11target_archE4294967295ELNS1_3gpuE0ELNS1_3repE0EEENS1_30default_config_static_selectorELNS0_4arch9wavefront6targetE0EEEvSY_,"axG",@progbits,_ZN7rocprim17ROCPRIM_400000_NS6detail17trampoline_kernelINS0_13select_configILj256ELj13ELNS0_17block_load_methodE3ELS4_3ELS4_3ELNS0_20block_scan_algorithmE0ELj4294967295EEENS1_25partition_config_selectorILNS1_17partition_subalgoE3EjNS0_10empty_typeEbEEZZNS1_14partition_implILS8_3ELb0ES6_jNS0_17counting_iteratorIjlEEPS9_SE_NS0_5tupleIJPjSE_EEENSF_IJSE_SE_EEES9_SG_JZNS1_25segmented_radix_sort_implINS0_14default_configELb1EPKbPbPKlPlN2at6native12_GLOBAL__N_18offset_tEEE10hipError_tPvRmT1_PNSt15iterator_traitsISY_E10value_typeET2_T3_PNSZ_IS14_E10value_typeET4_jRbjT5_S1A_jjP12ihipStream_tbEUljE_EEESV_SW_SX_S14_S18_S1A_T6_T7_T9_mT8_S1C_bDpT10_ENKUlT_T0_E_clISt17integral_constantIbLb0EES1O_IbLb1EEEEDaS1K_S1L_EUlS1K_E_NS1_11comp_targetILNS1_3genE0ELNS1_11target_archE4294967295ELNS1_3gpuE0ELNS1_3repE0EEENS1_30default_config_static_selectorELNS0_4arch9wavefront6targetE0EEEvSY_,comdat
.Lfunc_end1524:
	.size	_ZN7rocprim17ROCPRIM_400000_NS6detail17trampoline_kernelINS0_13select_configILj256ELj13ELNS0_17block_load_methodE3ELS4_3ELS4_3ELNS0_20block_scan_algorithmE0ELj4294967295EEENS1_25partition_config_selectorILNS1_17partition_subalgoE3EjNS0_10empty_typeEbEEZZNS1_14partition_implILS8_3ELb0ES6_jNS0_17counting_iteratorIjlEEPS9_SE_NS0_5tupleIJPjSE_EEENSF_IJSE_SE_EEES9_SG_JZNS1_25segmented_radix_sort_implINS0_14default_configELb1EPKbPbPKlPlN2at6native12_GLOBAL__N_18offset_tEEE10hipError_tPvRmT1_PNSt15iterator_traitsISY_E10value_typeET2_T3_PNSZ_IS14_E10value_typeET4_jRbjT5_S1A_jjP12ihipStream_tbEUljE_EEESV_SW_SX_S14_S18_S1A_T6_T7_T9_mT8_S1C_bDpT10_ENKUlT_T0_E_clISt17integral_constantIbLb0EES1O_IbLb1EEEEDaS1K_S1L_EUlS1K_E_NS1_11comp_targetILNS1_3genE0ELNS1_11target_archE4294967295ELNS1_3gpuE0ELNS1_3repE0EEENS1_30default_config_static_selectorELNS0_4arch9wavefront6targetE0EEEvSY_, .Lfunc_end1524-_ZN7rocprim17ROCPRIM_400000_NS6detail17trampoline_kernelINS0_13select_configILj256ELj13ELNS0_17block_load_methodE3ELS4_3ELS4_3ELNS0_20block_scan_algorithmE0ELj4294967295EEENS1_25partition_config_selectorILNS1_17partition_subalgoE3EjNS0_10empty_typeEbEEZZNS1_14partition_implILS8_3ELb0ES6_jNS0_17counting_iteratorIjlEEPS9_SE_NS0_5tupleIJPjSE_EEENSF_IJSE_SE_EEES9_SG_JZNS1_25segmented_radix_sort_implINS0_14default_configELb1EPKbPbPKlPlN2at6native12_GLOBAL__N_18offset_tEEE10hipError_tPvRmT1_PNSt15iterator_traitsISY_E10value_typeET2_T3_PNSZ_IS14_E10value_typeET4_jRbjT5_S1A_jjP12ihipStream_tbEUljE_EEESV_SW_SX_S14_S18_S1A_T6_T7_T9_mT8_S1C_bDpT10_ENKUlT_T0_E_clISt17integral_constantIbLb0EES1O_IbLb1EEEEDaS1K_S1L_EUlS1K_E_NS1_11comp_targetILNS1_3genE0ELNS1_11target_archE4294967295ELNS1_3gpuE0ELNS1_3repE0EEENS1_30default_config_static_selectorELNS0_4arch9wavefront6targetE0EEEvSY_
                                        ; -- End function
	.section	.AMDGPU.csdata,"",@progbits
; Kernel info:
; codeLenInByte = 0
; NumSgprs: 0
; NumVgprs: 0
; ScratchSize: 0
; MemoryBound: 0
; FloatMode: 240
; IeeeMode: 1
; LDSByteSize: 0 bytes/workgroup (compile time only)
; SGPRBlocks: 0
; VGPRBlocks: 0
; NumSGPRsForWavesPerEU: 1
; NumVGPRsForWavesPerEU: 1
; Occupancy: 16
; WaveLimiterHint : 0
; COMPUTE_PGM_RSRC2:SCRATCH_EN: 0
; COMPUTE_PGM_RSRC2:USER_SGPR: 15
; COMPUTE_PGM_RSRC2:TRAP_HANDLER: 0
; COMPUTE_PGM_RSRC2:TGID_X_EN: 1
; COMPUTE_PGM_RSRC2:TGID_Y_EN: 0
; COMPUTE_PGM_RSRC2:TGID_Z_EN: 0
; COMPUTE_PGM_RSRC2:TIDIG_COMP_CNT: 0
	.section	.text._ZN7rocprim17ROCPRIM_400000_NS6detail17trampoline_kernelINS0_13select_configILj256ELj13ELNS0_17block_load_methodE3ELS4_3ELS4_3ELNS0_20block_scan_algorithmE0ELj4294967295EEENS1_25partition_config_selectorILNS1_17partition_subalgoE3EjNS0_10empty_typeEbEEZZNS1_14partition_implILS8_3ELb0ES6_jNS0_17counting_iteratorIjlEEPS9_SE_NS0_5tupleIJPjSE_EEENSF_IJSE_SE_EEES9_SG_JZNS1_25segmented_radix_sort_implINS0_14default_configELb1EPKbPbPKlPlN2at6native12_GLOBAL__N_18offset_tEEE10hipError_tPvRmT1_PNSt15iterator_traitsISY_E10value_typeET2_T3_PNSZ_IS14_E10value_typeET4_jRbjT5_S1A_jjP12ihipStream_tbEUljE_EEESV_SW_SX_S14_S18_S1A_T6_T7_T9_mT8_S1C_bDpT10_ENKUlT_T0_E_clISt17integral_constantIbLb0EES1O_IbLb1EEEEDaS1K_S1L_EUlS1K_E_NS1_11comp_targetILNS1_3genE5ELNS1_11target_archE942ELNS1_3gpuE9ELNS1_3repE0EEENS1_30default_config_static_selectorELNS0_4arch9wavefront6targetE0EEEvSY_,"axG",@progbits,_ZN7rocprim17ROCPRIM_400000_NS6detail17trampoline_kernelINS0_13select_configILj256ELj13ELNS0_17block_load_methodE3ELS4_3ELS4_3ELNS0_20block_scan_algorithmE0ELj4294967295EEENS1_25partition_config_selectorILNS1_17partition_subalgoE3EjNS0_10empty_typeEbEEZZNS1_14partition_implILS8_3ELb0ES6_jNS0_17counting_iteratorIjlEEPS9_SE_NS0_5tupleIJPjSE_EEENSF_IJSE_SE_EEES9_SG_JZNS1_25segmented_radix_sort_implINS0_14default_configELb1EPKbPbPKlPlN2at6native12_GLOBAL__N_18offset_tEEE10hipError_tPvRmT1_PNSt15iterator_traitsISY_E10value_typeET2_T3_PNSZ_IS14_E10value_typeET4_jRbjT5_S1A_jjP12ihipStream_tbEUljE_EEESV_SW_SX_S14_S18_S1A_T6_T7_T9_mT8_S1C_bDpT10_ENKUlT_T0_E_clISt17integral_constantIbLb0EES1O_IbLb1EEEEDaS1K_S1L_EUlS1K_E_NS1_11comp_targetILNS1_3genE5ELNS1_11target_archE942ELNS1_3gpuE9ELNS1_3repE0EEENS1_30default_config_static_selectorELNS0_4arch9wavefront6targetE0EEEvSY_,comdat
	.globl	_ZN7rocprim17ROCPRIM_400000_NS6detail17trampoline_kernelINS0_13select_configILj256ELj13ELNS0_17block_load_methodE3ELS4_3ELS4_3ELNS0_20block_scan_algorithmE0ELj4294967295EEENS1_25partition_config_selectorILNS1_17partition_subalgoE3EjNS0_10empty_typeEbEEZZNS1_14partition_implILS8_3ELb0ES6_jNS0_17counting_iteratorIjlEEPS9_SE_NS0_5tupleIJPjSE_EEENSF_IJSE_SE_EEES9_SG_JZNS1_25segmented_radix_sort_implINS0_14default_configELb1EPKbPbPKlPlN2at6native12_GLOBAL__N_18offset_tEEE10hipError_tPvRmT1_PNSt15iterator_traitsISY_E10value_typeET2_T3_PNSZ_IS14_E10value_typeET4_jRbjT5_S1A_jjP12ihipStream_tbEUljE_EEESV_SW_SX_S14_S18_S1A_T6_T7_T9_mT8_S1C_bDpT10_ENKUlT_T0_E_clISt17integral_constantIbLb0EES1O_IbLb1EEEEDaS1K_S1L_EUlS1K_E_NS1_11comp_targetILNS1_3genE5ELNS1_11target_archE942ELNS1_3gpuE9ELNS1_3repE0EEENS1_30default_config_static_selectorELNS0_4arch9wavefront6targetE0EEEvSY_ ; -- Begin function _ZN7rocprim17ROCPRIM_400000_NS6detail17trampoline_kernelINS0_13select_configILj256ELj13ELNS0_17block_load_methodE3ELS4_3ELS4_3ELNS0_20block_scan_algorithmE0ELj4294967295EEENS1_25partition_config_selectorILNS1_17partition_subalgoE3EjNS0_10empty_typeEbEEZZNS1_14partition_implILS8_3ELb0ES6_jNS0_17counting_iteratorIjlEEPS9_SE_NS0_5tupleIJPjSE_EEENSF_IJSE_SE_EEES9_SG_JZNS1_25segmented_radix_sort_implINS0_14default_configELb1EPKbPbPKlPlN2at6native12_GLOBAL__N_18offset_tEEE10hipError_tPvRmT1_PNSt15iterator_traitsISY_E10value_typeET2_T3_PNSZ_IS14_E10value_typeET4_jRbjT5_S1A_jjP12ihipStream_tbEUljE_EEESV_SW_SX_S14_S18_S1A_T6_T7_T9_mT8_S1C_bDpT10_ENKUlT_T0_E_clISt17integral_constantIbLb0EES1O_IbLb1EEEEDaS1K_S1L_EUlS1K_E_NS1_11comp_targetILNS1_3genE5ELNS1_11target_archE942ELNS1_3gpuE9ELNS1_3repE0EEENS1_30default_config_static_selectorELNS0_4arch9wavefront6targetE0EEEvSY_
	.p2align	8
	.type	_ZN7rocprim17ROCPRIM_400000_NS6detail17trampoline_kernelINS0_13select_configILj256ELj13ELNS0_17block_load_methodE3ELS4_3ELS4_3ELNS0_20block_scan_algorithmE0ELj4294967295EEENS1_25partition_config_selectorILNS1_17partition_subalgoE3EjNS0_10empty_typeEbEEZZNS1_14partition_implILS8_3ELb0ES6_jNS0_17counting_iteratorIjlEEPS9_SE_NS0_5tupleIJPjSE_EEENSF_IJSE_SE_EEES9_SG_JZNS1_25segmented_radix_sort_implINS0_14default_configELb1EPKbPbPKlPlN2at6native12_GLOBAL__N_18offset_tEEE10hipError_tPvRmT1_PNSt15iterator_traitsISY_E10value_typeET2_T3_PNSZ_IS14_E10value_typeET4_jRbjT5_S1A_jjP12ihipStream_tbEUljE_EEESV_SW_SX_S14_S18_S1A_T6_T7_T9_mT8_S1C_bDpT10_ENKUlT_T0_E_clISt17integral_constantIbLb0EES1O_IbLb1EEEEDaS1K_S1L_EUlS1K_E_NS1_11comp_targetILNS1_3genE5ELNS1_11target_archE942ELNS1_3gpuE9ELNS1_3repE0EEENS1_30default_config_static_selectorELNS0_4arch9wavefront6targetE0EEEvSY_,@function
_ZN7rocprim17ROCPRIM_400000_NS6detail17trampoline_kernelINS0_13select_configILj256ELj13ELNS0_17block_load_methodE3ELS4_3ELS4_3ELNS0_20block_scan_algorithmE0ELj4294967295EEENS1_25partition_config_selectorILNS1_17partition_subalgoE3EjNS0_10empty_typeEbEEZZNS1_14partition_implILS8_3ELb0ES6_jNS0_17counting_iteratorIjlEEPS9_SE_NS0_5tupleIJPjSE_EEENSF_IJSE_SE_EEES9_SG_JZNS1_25segmented_radix_sort_implINS0_14default_configELb1EPKbPbPKlPlN2at6native12_GLOBAL__N_18offset_tEEE10hipError_tPvRmT1_PNSt15iterator_traitsISY_E10value_typeET2_T3_PNSZ_IS14_E10value_typeET4_jRbjT5_S1A_jjP12ihipStream_tbEUljE_EEESV_SW_SX_S14_S18_S1A_T6_T7_T9_mT8_S1C_bDpT10_ENKUlT_T0_E_clISt17integral_constantIbLb0EES1O_IbLb1EEEEDaS1K_S1L_EUlS1K_E_NS1_11comp_targetILNS1_3genE5ELNS1_11target_archE942ELNS1_3gpuE9ELNS1_3repE0EEENS1_30default_config_static_selectorELNS0_4arch9wavefront6targetE0EEEvSY_: ; @_ZN7rocprim17ROCPRIM_400000_NS6detail17trampoline_kernelINS0_13select_configILj256ELj13ELNS0_17block_load_methodE3ELS4_3ELS4_3ELNS0_20block_scan_algorithmE0ELj4294967295EEENS1_25partition_config_selectorILNS1_17partition_subalgoE3EjNS0_10empty_typeEbEEZZNS1_14partition_implILS8_3ELb0ES6_jNS0_17counting_iteratorIjlEEPS9_SE_NS0_5tupleIJPjSE_EEENSF_IJSE_SE_EEES9_SG_JZNS1_25segmented_radix_sort_implINS0_14default_configELb1EPKbPbPKlPlN2at6native12_GLOBAL__N_18offset_tEEE10hipError_tPvRmT1_PNSt15iterator_traitsISY_E10value_typeET2_T3_PNSZ_IS14_E10value_typeET4_jRbjT5_S1A_jjP12ihipStream_tbEUljE_EEESV_SW_SX_S14_S18_S1A_T6_T7_T9_mT8_S1C_bDpT10_ENKUlT_T0_E_clISt17integral_constantIbLb0EES1O_IbLb1EEEEDaS1K_S1L_EUlS1K_E_NS1_11comp_targetILNS1_3genE5ELNS1_11target_archE942ELNS1_3gpuE9ELNS1_3repE0EEENS1_30default_config_static_selectorELNS0_4arch9wavefront6targetE0EEEvSY_
; %bb.0:
	.section	.rodata,"a",@progbits
	.p2align	6, 0x0
	.amdhsa_kernel _ZN7rocprim17ROCPRIM_400000_NS6detail17trampoline_kernelINS0_13select_configILj256ELj13ELNS0_17block_load_methodE3ELS4_3ELS4_3ELNS0_20block_scan_algorithmE0ELj4294967295EEENS1_25partition_config_selectorILNS1_17partition_subalgoE3EjNS0_10empty_typeEbEEZZNS1_14partition_implILS8_3ELb0ES6_jNS0_17counting_iteratorIjlEEPS9_SE_NS0_5tupleIJPjSE_EEENSF_IJSE_SE_EEES9_SG_JZNS1_25segmented_radix_sort_implINS0_14default_configELb1EPKbPbPKlPlN2at6native12_GLOBAL__N_18offset_tEEE10hipError_tPvRmT1_PNSt15iterator_traitsISY_E10value_typeET2_T3_PNSZ_IS14_E10value_typeET4_jRbjT5_S1A_jjP12ihipStream_tbEUljE_EEESV_SW_SX_S14_S18_S1A_T6_T7_T9_mT8_S1C_bDpT10_ENKUlT_T0_E_clISt17integral_constantIbLb0EES1O_IbLb1EEEEDaS1K_S1L_EUlS1K_E_NS1_11comp_targetILNS1_3genE5ELNS1_11target_archE942ELNS1_3gpuE9ELNS1_3repE0EEENS1_30default_config_static_selectorELNS0_4arch9wavefront6targetE0EEEvSY_
		.amdhsa_group_segment_fixed_size 0
		.amdhsa_private_segment_fixed_size 0
		.amdhsa_kernarg_size 152
		.amdhsa_user_sgpr_count 15
		.amdhsa_user_sgpr_dispatch_ptr 0
		.amdhsa_user_sgpr_queue_ptr 0
		.amdhsa_user_sgpr_kernarg_segment_ptr 1
		.amdhsa_user_sgpr_dispatch_id 0
		.amdhsa_user_sgpr_private_segment_size 0
		.amdhsa_wavefront_size32 1
		.amdhsa_uses_dynamic_stack 0
		.amdhsa_enable_private_segment 0
		.amdhsa_system_sgpr_workgroup_id_x 1
		.amdhsa_system_sgpr_workgroup_id_y 0
		.amdhsa_system_sgpr_workgroup_id_z 0
		.amdhsa_system_sgpr_workgroup_info 0
		.amdhsa_system_vgpr_workitem_id 0
		.amdhsa_next_free_vgpr 1
		.amdhsa_next_free_sgpr 1
		.amdhsa_reserve_vcc 0
		.amdhsa_float_round_mode_32 0
		.amdhsa_float_round_mode_16_64 0
		.amdhsa_float_denorm_mode_32 3
		.amdhsa_float_denorm_mode_16_64 3
		.amdhsa_dx10_clamp 1
		.amdhsa_ieee_mode 1
		.amdhsa_fp16_overflow 0
		.amdhsa_workgroup_processor_mode 1
		.amdhsa_memory_ordered 1
		.amdhsa_forward_progress 0
		.amdhsa_shared_vgpr_count 0
		.amdhsa_exception_fp_ieee_invalid_op 0
		.amdhsa_exception_fp_denorm_src 0
		.amdhsa_exception_fp_ieee_div_zero 0
		.amdhsa_exception_fp_ieee_overflow 0
		.amdhsa_exception_fp_ieee_underflow 0
		.amdhsa_exception_fp_ieee_inexact 0
		.amdhsa_exception_int_div_zero 0
	.end_amdhsa_kernel
	.section	.text._ZN7rocprim17ROCPRIM_400000_NS6detail17trampoline_kernelINS0_13select_configILj256ELj13ELNS0_17block_load_methodE3ELS4_3ELS4_3ELNS0_20block_scan_algorithmE0ELj4294967295EEENS1_25partition_config_selectorILNS1_17partition_subalgoE3EjNS0_10empty_typeEbEEZZNS1_14partition_implILS8_3ELb0ES6_jNS0_17counting_iteratorIjlEEPS9_SE_NS0_5tupleIJPjSE_EEENSF_IJSE_SE_EEES9_SG_JZNS1_25segmented_radix_sort_implINS0_14default_configELb1EPKbPbPKlPlN2at6native12_GLOBAL__N_18offset_tEEE10hipError_tPvRmT1_PNSt15iterator_traitsISY_E10value_typeET2_T3_PNSZ_IS14_E10value_typeET4_jRbjT5_S1A_jjP12ihipStream_tbEUljE_EEESV_SW_SX_S14_S18_S1A_T6_T7_T9_mT8_S1C_bDpT10_ENKUlT_T0_E_clISt17integral_constantIbLb0EES1O_IbLb1EEEEDaS1K_S1L_EUlS1K_E_NS1_11comp_targetILNS1_3genE5ELNS1_11target_archE942ELNS1_3gpuE9ELNS1_3repE0EEENS1_30default_config_static_selectorELNS0_4arch9wavefront6targetE0EEEvSY_,"axG",@progbits,_ZN7rocprim17ROCPRIM_400000_NS6detail17trampoline_kernelINS0_13select_configILj256ELj13ELNS0_17block_load_methodE3ELS4_3ELS4_3ELNS0_20block_scan_algorithmE0ELj4294967295EEENS1_25partition_config_selectorILNS1_17partition_subalgoE3EjNS0_10empty_typeEbEEZZNS1_14partition_implILS8_3ELb0ES6_jNS0_17counting_iteratorIjlEEPS9_SE_NS0_5tupleIJPjSE_EEENSF_IJSE_SE_EEES9_SG_JZNS1_25segmented_radix_sort_implINS0_14default_configELb1EPKbPbPKlPlN2at6native12_GLOBAL__N_18offset_tEEE10hipError_tPvRmT1_PNSt15iterator_traitsISY_E10value_typeET2_T3_PNSZ_IS14_E10value_typeET4_jRbjT5_S1A_jjP12ihipStream_tbEUljE_EEESV_SW_SX_S14_S18_S1A_T6_T7_T9_mT8_S1C_bDpT10_ENKUlT_T0_E_clISt17integral_constantIbLb0EES1O_IbLb1EEEEDaS1K_S1L_EUlS1K_E_NS1_11comp_targetILNS1_3genE5ELNS1_11target_archE942ELNS1_3gpuE9ELNS1_3repE0EEENS1_30default_config_static_selectorELNS0_4arch9wavefront6targetE0EEEvSY_,comdat
.Lfunc_end1525:
	.size	_ZN7rocprim17ROCPRIM_400000_NS6detail17trampoline_kernelINS0_13select_configILj256ELj13ELNS0_17block_load_methodE3ELS4_3ELS4_3ELNS0_20block_scan_algorithmE0ELj4294967295EEENS1_25partition_config_selectorILNS1_17partition_subalgoE3EjNS0_10empty_typeEbEEZZNS1_14partition_implILS8_3ELb0ES6_jNS0_17counting_iteratorIjlEEPS9_SE_NS0_5tupleIJPjSE_EEENSF_IJSE_SE_EEES9_SG_JZNS1_25segmented_radix_sort_implINS0_14default_configELb1EPKbPbPKlPlN2at6native12_GLOBAL__N_18offset_tEEE10hipError_tPvRmT1_PNSt15iterator_traitsISY_E10value_typeET2_T3_PNSZ_IS14_E10value_typeET4_jRbjT5_S1A_jjP12ihipStream_tbEUljE_EEESV_SW_SX_S14_S18_S1A_T6_T7_T9_mT8_S1C_bDpT10_ENKUlT_T0_E_clISt17integral_constantIbLb0EES1O_IbLb1EEEEDaS1K_S1L_EUlS1K_E_NS1_11comp_targetILNS1_3genE5ELNS1_11target_archE942ELNS1_3gpuE9ELNS1_3repE0EEENS1_30default_config_static_selectorELNS0_4arch9wavefront6targetE0EEEvSY_, .Lfunc_end1525-_ZN7rocprim17ROCPRIM_400000_NS6detail17trampoline_kernelINS0_13select_configILj256ELj13ELNS0_17block_load_methodE3ELS4_3ELS4_3ELNS0_20block_scan_algorithmE0ELj4294967295EEENS1_25partition_config_selectorILNS1_17partition_subalgoE3EjNS0_10empty_typeEbEEZZNS1_14partition_implILS8_3ELb0ES6_jNS0_17counting_iteratorIjlEEPS9_SE_NS0_5tupleIJPjSE_EEENSF_IJSE_SE_EEES9_SG_JZNS1_25segmented_radix_sort_implINS0_14default_configELb1EPKbPbPKlPlN2at6native12_GLOBAL__N_18offset_tEEE10hipError_tPvRmT1_PNSt15iterator_traitsISY_E10value_typeET2_T3_PNSZ_IS14_E10value_typeET4_jRbjT5_S1A_jjP12ihipStream_tbEUljE_EEESV_SW_SX_S14_S18_S1A_T6_T7_T9_mT8_S1C_bDpT10_ENKUlT_T0_E_clISt17integral_constantIbLb0EES1O_IbLb1EEEEDaS1K_S1L_EUlS1K_E_NS1_11comp_targetILNS1_3genE5ELNS1_11target_archE942ELNS1_3gpuE9ELNS1_3repE0EEENS1_30default_config_static_selectorELNS0_4arch9wavefront6targetE0EEEvSY_
                                        ; -- End function
	.section	.AMDGPU.csdata,"",@progbits
; Kernel info:
; codeLenInByte = 0
; NumSgprs: 0
; NumVgprs: 0
; ScratchSize: 0
; MemoryBound: 0
; FloatMode: 240
; IeeeMode: 1
; LDSByteSize: 0 bytes/workgroup (compile time only)
; SGPRBlocks: 0
; VGPRBlocks: 0
; NumSGPRsForWavesPerEU: 1
; NumVGPRsForWavesPerEU: 1
; Occupancy: 16
; WaveLimiterHint : 0
; COMPUTE_PGM_RSRC2:SCRATCH_EN: 0
; COMPUTE_PGM_RSRC2:USER_SGPR: 15
; COMPUTE_PGM_RSRC2:TRAP_HANDLER: 0
; COMPUTE_PGM_RSRC2:TGID_X_EN: 1
; COMPUTE_PGM_RSRC2:TGID_Y_EN: 0
; COMPUTE_PGM_RSRC2:TGID_Z_EN: 0
; COMPUTE_PGM_RSRC2:TIDIG_COMP_CNT: 0
	.section	.text._ZN7rocprim17ROCPRIM_400000_NS6detail17trampoline_kernelINS0_13select_configILj256ELj13ELNS0_17block_load_methodE3ELS4_3ELS4_3ELNS0_20block_scan_algorithmE0ELj4294967295EEENS1_25partition_config_selectorILNS1_17partition_subalgoE3EjNS0_10empty_typeEbEEZZNS1_14partition_implILS8_3ELb0ES6_jNS0_17counting_iteratorIjlEEPS9_SE_NS0_5tupleIJPjSE_EEENSF_IJSE_SE_EEES9_SG_JZNS1_25segmented_radix_sort_implINS0_14default_configELb1EPKbPbPKlPlN2at6native12_GLOBAL__N_18offset_tEEE10hipError_tPvRmT1_PNSt15iterator_traitsISY_E10value_typeET2_T3_PNSZ_IS14_E10value_typeET4_jRbjT5_S1A_jjP12ihipStream_tbEUljE_EEESV_SW_SX_S14_S18_S1A_T6_T7_T9_mT8_S1C_bDpT10_ENKUlT_T0_E_clISt17integral_constantIbLb0EES1O_IbLb1EEEEDaS1K_S1L_EUlS1K_E_NS1_11comp_targetILNS1_3genE4ELNS1_11target_archE910ELNS1_3gpuE8ELNS1_3repE0EEENS1_30default_config_static_selectorELNS0_4arch9wavefront6targetE0EEEvSY_,"axG",@progbits,_ZN7rocprim17ROCPRIM_400000_NS6detail17trampoline_kernelINS0_13select_configILj256ELj13ELNS0_17block_load_methodE3ELS4_3ELS4_3ELNS0_20block_scan_algorithmE0ELj4294967295EEENS1_25partition_config_selectorILNS1_17partition_subalgoE3EjNS0_10empty_typeEbEEZZNS1_14partition_implILS8_3ELb0ES6_jNS0_17counting_iteratorIjlEEPS9_SE_NS0_5tupleIJPjSE_EEENSF_IJSE_SE_EEES9_SG_JZNS1_25segmented_radix_sort_implINS0_14default_configELb1EPKbPbPKlPlN2at6native12_GLOBAL__N_18offset_tEEE10hipError_tPvRmT1_PNSt15iterator_traitsISY_E10value_typeET2_T3_PNSZ_IS14_E10value_typeET4_jRbjT5_S1A_jjP12ihipStream_tbEUljE_EEESV_SW_SX_S14_S18_S1A_T6_T7_T9_mT8_S1C_bDpT10_ENKUlT_T0_E_clISt17integral_constantIbLb0EES1O_IbLb1EEEEDaS1K_S1L_EUlS1K_E_NS1_11comp_targetILNS1_3genE4ELNS1_11target_archE910ELNS1_3gpuE8ELNS1_3repE0EEENS1_30default_config_static_selectorELNS0_4arch9wavefront6targetE0EEEvSY_,comdat
	.globl	_ZN7rocprim17ROCPRIM_400000_NS6detail17trampoline_kernelINS0_13select_configILj256ELj13ELNS0_17block_load_methodE3ELS4_3ELS4_3ELNS0_20block_scan_algorithmE0ELj4294967295EEENS1_25partition_config_selectorILNS1_17partition_subalgoE3EjNS0_10empty_typeEbEEZZNS1_14partition_implILS8_3ELb0ES6_jNS0_17counting_iteratorIjlEEPS9_SE_NS0_5tupleIJPjSE_EEENSF_IJSE_SE_EEES9_SG_JZNS1_25segmented_radix_sort_implINS0_14default_configELb1EPKbPbPKlPlN2at6native12_GLOBAL__N_18offset_tEEE10hipError_tPvRmT1_PNSt15iterator_traitsISY_E10value_typeET2_T3_PNSZ_IS14_E10value_typeET4_jRbjT5_S1A_jjP12ihipStream_tbEUljE_EEESV_SW_SX_S14_S18_S1A_T6_T7_T9_mT8_S1C_bDpT10_ENKUlT_T0_E_clISt17integral_constantIbLb0EES1O_IbLb1EEEEDaS1K_S1L_EUlS1K_E_NS1_11comp_targetILNS1_3genE4ELNS1_11target_archE910ELNS1_3gpuE8ELNS1_3repE0EEENS1_30default_config_static_selectorELNS0_4arch9wavefront6targetE0EEEvSY_ ; -- Begin function _ZN7rocprim17ROCPRIM_400000_NS6detail17trampoline_kernelINS0_13select_configILj256ELj13ELNS0_17block_load_methodE3ELS4_3ELS4_3ELNS0_20block_scan_algorithmE0ELj4294967295EEENS1_25partition_config_selectorILNS1_17partition_subalgoE3EjNS0_10empty_typeEbEEZZNS1_14partition_implILS8_3ELb0ES6_jNS0_17counting_iteratorIjlEEPS9_SE_NS0_5tupleIJPjSE_EEENSF_IJSE_SE_EEES9_SG_JZNS1_25segmented_radix_sort_implINS0_14default_configELb1EPKbPbPKlPlN2at6native12_GLOBAL__N_18offset_tEEE10hipError_tPvRmT1_PNSt15iterator_traitsISY_E10value_typeET2_T3_PNSZ_IS14_E10value_typeET4_jRbjT5_S1A_jjP12ihipStream_tbEUljE_EEESV_SW_SX_S14_S18_S1A_T6_T7_T9_mT8_S1C_bDpT10_ENKUlT_T0_E_clISt17integral_constantIbLb0EES1O_IbLb1EEEEDaS1K_S1L_EUlS1K_E_NS1_11comp_targetILNS1_3genE4ELNS1_11target_archE910ELNS1_3gpuE8ELNS1_3repE0EEENS1_30default_config_static_selectorELNS0_4arch9wavefront6targetE0EEEvSY_
	.p2align	8
	.type	_ZN7rocprim17ROCPRIM_400000_NS6detail17trampoline_kernelINS0_13select_configILj256ELj13ELNS0_17block_load_methodE3ELS4_3ELS4_3ELNS0_20block_scan_algorithmE0ELj4294967295EEENS1_25partition_config_selectorILNS1_17partition_subalgoE3EjNS0_10empty_typeEbEEZZNS1_14partition_implILS8_3ELb0ES6_jNS0_17counting_iteratorIjlEEPS9_SE_NS0_5tupleIJPjSE_EEENSF_IJSE_SE_EEES9_SG_JZNS1_25segmented_radix_sort_implINS0_14default_configELb1EPKbPbPKlPlN2at6native12_GLOBAL__N_18offset_tEEE10hipError_tPvRmT1_PNSt15iterator_traitsISY_E10value_typeET2_T3_PNSZ_IS14_E10value_typeET4_jRbjT5_S1A_jjP12ihipStream_tbEUljE_EEESV_SW_SX_S14_S18_S1A_T6_T7_T9_mT8_S1C_bDpT10_ENKUlT_T0_E_clISt17integral_constantIbLb0EES1O_IbLb1EEEEDaS1K_S1L_EUlS1K_E_NS1_11comp_targetILNS1_3genE4ELNS1_11target_archE910ELNS1_3gpuE8ELNS1_3repE0EEENS1_30default_config_static_selectorELNS0_4arch9wavefront6targetE0EEEvSY_,@function
_ZN7rocprim17ROCPRIM_400000_NS6detail17trampoline_kernelINS0_13select_configILj256ELj13ELNS0_17block_load_methodE3ELS4_3ELS4_3ELNS0_20block_scan_algorithmE0ELj4294967295EEENS1_25partition_config_selectorILNS1_17partition_subalgoE3EjNS0_10empty_typeEbEEZZNS1_14partition_implILS8_3ELb0ES6_jNS0_17counting_iteratorIjlEEPS9_SE_NS0_5tupleIJPjSE_EEENSF_IJSE_SE_EEES9_SG_JZNS1_25segmented_radix_sort_implINS0_14default_configELb1EPKbPbPKlPlN2at6native12_GLOBAL__N_18offset_tEEE10hipError_tPvRmT1_PNSt15iterator_traitsISY_E10value_typeET2_T3_PNSZ_IS14_E10value_typeET4_jRbjT5_S1A_jjP12ihipStream_tbEUljE_EEESV_SW_SX_S14_S18_S1A_T6_T7_T9_mT8_S1C_bDpT10_ENKUlT_T0_E_clISt17integral_constantIbLb0EES1O_IbLb1EEEEDaS1K_S1L_EUlS1K_E_NS1_11comp_targetILNS1_3genE4ELNS1_11target_archE910ELNS1_3gpuE8ELNS1_3repE0EEENS1_30default_config_static_selectorELNS0_4arch9wavefront6targetE0EEEvSY_: ; @_ZN7rocprim17ROCPRIM_400000_NS6detail17trampoline_kernelINS0_13select_configILj256ELj13ELNS0_17block_load_methodE3ELS4_3ELS4_3ELNS0_20block_scan_algorithmE0ELj4294967295EEENS1_25partition_config_selectorILNS1_17partition_subalgoE3EjNS0_10empty_typeEbEEZZNS1_14partition_implILS8_3ELb0ES6_jNS0_17counting_iteratorIjlEEPS9_SE_NS0_5tupleIJPjSE_EEENSF_IJSE_SE_EEES9_SG_JZNS1_25segmented_radix_sort_implINS0_14default_configELb1EPKbPbPKlPlN2at6native12_GLOBAL__N_18offset_tEEE10hipError_tPvRmT1_PNSt15iterator_traitsISY_E10value_typeET2_T3_PNSZ_IS14_E10value_typeET4_jRbjT5_S1A_jjP12ihipStream_tbEUljE_EEESV_SW_SX_S14_S18_S1A_T6_T7_T9_mT8_S1C_bDpT10_ENKUlT_T0_E_clISt17integral_constantIbLb0EES1O_IbLb1EEEEDaS1K_S1L_EUlS1K_E_NS1_11comp_targetILNS1_3genE4ELNS1_11target_archE910ELNS1_3gpuE8ELNS1_3repE0EEENS1_30default_config_static_selectorELNS0_4arch9wavefront6targetE0EEEvSY_
; %bb.0:
	.section	.rodata,"a",@progbits
	.p2align	6, 0x0
	.amdhsa_kernel _ZN7rocprim17ROCPRIM_400000_NS6detail17trampoline_kernelINS0_13select_configILj256ELj13ELNS0_17block_load_methodE3ELS4_3ELS4_3ELNS0_20block_scan_algorithmE0ELj4294967295EEENS1_25partition_config_selectorILNS1_17partition_subalgoE3EjNS0_10empty_typeEbEEZZNS1_14partition_implILS8_3ELb0ES6_jNS0_17counting_iteratorIjlEEPS9_SE_NS0_5tupleIJPjSE_EEENSF_IJSE_SE_EEES9_SG_JZNS1_25segmented_radix_sort_implINS0_14default_configELb1EPKbPbPKlPlN2at6native12_GLOBAL__N_18offset_tEEE10hipError_tPvRmT1_PNSt15iterator_traitsISY_E10value_typeET2_T3_PNSZ_IS14_E10value_typeET4_jRbjT5_S1A_jjP12ihipStream_tbEUljE_EEESV_SW_SX_S14_S18_S1A_T6_T7_T9_mT8_S1C_bDpT10_ENKUlT_T0_E_clISt17integral_constantIbLb0EES1O_IbLb1EEEEDaS1K_S1L_EUlS1K_E_NS1_11comp_targetILNS1_3genE4ELNS1_11target_archE910ELNS1_3gpuE8ELNS1_3repE0EEENS1_30default_config_static_selectorELNS0_4arch9wavefront6targetE0EEEvSY_
		.amdhsa_group_segment_fixed_size 0
		.amdhsa_private_segment_fixed_size 0
		.amdhsa_kernarg_size 152
		.amdhsa_user_sgpr_count 15
		.amdhsa_user_sgpr_dispatch_ptr 0
		.amdhsa_user_sgpr_queue_ptr 0
		.amdhsa_user_sgpr_kernarg_segment_ptr 1
		.amdhsa_user_sgpr_dispatch_id 0
		.amdhsa_user_sgpr_private_segment_size 0
		.amdhsa_wavefront_size32 1
		.amdhsa_uses_dynamic_stack 0
		.amdhsa_enable_private_segment 0
		.amdhsa_system_sgpr_workgroup_id_x 1
		.amdhsa_system_sgpr_workgroup_id_y 0
		.amdhsa_system_sgpr_workgroup_id_z 0
		.amdhsa_system_sgpr_workgroup_info 0
		.amdhsa_system_vgpr_workitem_id 0
		.amdhsa_next_free_vgpr 1
		.amdhsa_next_free_sgpr 1
		.amdhsa_reserve_vcc 0
		.amdhsa_float_round_mode_32 0
		.amdhsa_float_round_mode_16_64 0
		.amdhsa_float_denorm_mode_32 3
		.amdhsa_float_denorm_mode_16_64 3
		.amdhsa_dx10_clamp 1
		.amdhsa_ieee_mode 1
		.amdhsa_fp16_overflow 0
		.amdhsa_workgroup_processor_mode 1
		.amdhsa_memory_ordered 1
		.amdhsa_forward_progress 0
		.amdhsa_shared_vgpr_count 0
		.amdhsa_exception_fp_ieee_invalid_op 0
		.amdhsa_exception_fp_denorm_src 0
		.amdhsa_exception_fp_ieee_div_zero 0
		.amdhsa_exception_fp_ieee_overflow 0
		.amdhsa_exception_fp_ieee_underflow 0
		.amdhsa_exception_fp_ieee_inexact 0
		.amdhsa_exception_int_div_zero 0
	.end_amdhsa_kernel
	.section	.text._ZN7rocprim17ROCPRIM_400000_NS6detail17trampoline_kernelINS0_13select_configILj256ELj13ELNS0_17block_load_methodE3ELS4_3ELS4_3ELNS0_20block_scan_algorithmE0ELj4294967295EEENS1_25partition_config_selectorILNS1_17partition_subalgoE3EjNS0_10empty_typeEbEEZZNS1_14partition_implILS8_3ELb0ES6_jNS0_17counting_iteratorIjlEEPS9_SE_NS0_5tupleIJPjSE_EEENSF_IJSE_SE_EEES9_SG_JZNS1_25segmented_radix_sort_implINS0_14default_configELb1EPKbPbPKlPlN2at6native12_GLOBAL__N_18offset_tEEE10hipError_tPvRmT1_PNSt15iterator_traitsISY_E10value_typeET2_T3_PNSZ_IS14_E10value_typeET4_jRbjT5_S1A_jjP12ihipStream_tbEUljE_EEESV_SW_SX_S14_S18_S1A_T6_T7_T9_mT8_S1C_bDpT10_ENKUlT_T0_E_clISt17integral_constantIbLb0EES1O_IbLb1EEEEDaS1K_S1L_EUlS1K_E_NS1_11comp_targetILNS1_3genE4ELNS1_11target_archE910ELNS1_3gpuE8ELNS1_3repE0EEENS1_30default_config_static_selectorELNS0_4arch9wavefront6targetE0EEEvSY_,"axG",@progbits,_ZN7rocprim17ROCPRIM_400000_NS6detail17trampoline_kernelINS0_13select_configILj256ELj13ELNS0_17block_load_methodE3ELS4_3ELS4_3ELNS0_20block_scan_algorithmE0ELj4294967295EEENS1_25partition_config_selectorILNS1_17partition_subalgoE3EjNS0_10empty_typeEbEEZZNS1_14partition_implILS8_3ELb0ES6_jNS0_17counting_iteratorIjlEEPS9_SE_NS0_5tupleIJPjSE_EEENSF_IJSE_SE_EEES9_SG_JZNS1_25segmented_radix_sort_implINS0_14default_configELb1EPKbPbPKlPlN2at6native12_GLOBAL__N_18offset_tEEE10hipError_tPvRmT1_PNSt15iterator_traitsISY_E10value_typeET2_T3_PNSZ_IS14_E10value_typeET4_jRbjT5_S1A_jjP12ihipStream_tbEUljE_EEESV_SW_SX_S14_S18_S1A_T6_T7_T9_mT8_S1C_bDpT10_ENKUlT_T0_E_clISt17integral_constantIbLb0EES1O_IbLb1EEEEDaS1K_S1L_EUlS1K_E_NS1_11comp_targetILNS1_3genE4ELNS1_11target_archE910ELNS1_3gpuE8ELNS1_3repE0EEENS1_30default_config_static_selectorELNS0_4arch9wavefront6targetE0EEEvSY_,comdat
.Lfunc_end1526:
	.size	_ZN7rocprim17ROCPRIM_400000_NS6detail17trampoline_kernelINS0_13select_configILj256ELj13ELNS0_17block_load_methodE3ELS4_3ELS4_3ELNS0_20block_scan_algorithmE0ELj4294967295EEENS1_25partition_config_selectorILNS1_17partition_subalgoE3EjNS0_10empty_typeEbEEZZNS1_14partition_implILS8_3ELb0ES6_jNS0_17counting_iteratorIjlEEPS9_SE_NS0_5tupleIJPjSE_EEENSF_IJSE_SE_EEES9_SG_JZNS1_25segmented_radix_sort_implINS0_14default_configELb1EPKbPbPKlPlN2at6native12_GLOBAL__N_18offset_tEEE10hipError_tPvRmT1_PNSt15iterator_traitsISY_E10value_typeET2_T3_PNSZ_IS14_E10value_typeET4_jRbjT5_S1A_jjP12ihipStream_tbEUljE_EEESV_SW_SX_S14_S18_S1A_T6_T7_T9_mT8_S1C_bDpT10_ENKUlT_T0_E_clISt17integral_constantIbLb0EES1O_IbLb1EEEEDaS1K_S1L_EUlS1K_E_NS1_11comp_targetILNS1_3genE4ELNS1_11target_archE910ELNS1_3gpuE8ELNS1_3repE0EEENS1_30default_config_static_selectorELNS0_4arch9wavefront6targetE0EEEvSY_, .Lfunc_end1526-_ZN7rocprim17ROCPRIM_400000_NS6detail17trampoline_kernelINS0_13select_configILj256ELj13ELNS0_17block_load_methodE3ELS4_3ELS4_3ELNS0_20block_scan_algorithmE0ELj4294967295EEENS1_25partition_config_selectorILNS1_17partition_subalgoE3EjNS0_10empty_typeEbEEZZNS1_14partition_implILS8_3ELb0ES6_jNS0_17counting_iteratorIjlEEPS9_SE_NS0_5tupleIJPjSE_EEENSF_IJSE_SE_EEES9_SG_JZNS1_25segmented_radix_sort_implINS0_14default_configELb1EPKbPbPKlPlN2at6native12_GLOBAL__N_18offset_tEEE10hipError_tPvRmT1_PNSt15iterator_traitsISY_E10value_typeET2_T3_PNSZ_IS14_E10value_typeET4_jRbjT5_S1A_jjP12ihipStream_tbEUljE_EEESV_SW_SX_S14_S18_S1A_T6_T7_T9_mT8_S1C_bDpT10_ENKUlT_T0_E_clISt17integral_constantIbLb0EES1O_IbLb1EEEEDaS1K_S1L_EUlS1K_E_NS1_11comp_targetILNS1_3genE4ELNS1_11target_archE910ELNS1_3gpuE8ELNS1_3repE0EEENS1_30default_config_static_selectorELNS0_4arch9wavefront6targetE0EEEvSY_
                                        ; -- End function
	.section	.AMDGPU.csdata,"",@progbits
; Kernel info:
; codeLenInByte = 0
; NumSgprs: 0
; NumVgprs: 0
; ScratchSize: 0
; MemoryBound: 0
; FloatMode: 240
; IeeeMode: 1
; LDSByteSize: 0 bytes/workgroup (compile time only)
; SGPRBlocks: 0
; VGPRBlocks: 0
; NumSGPRsForWavesPerEU: 1
; NumVGPRsForWavesPerEU: 1
; Occupancy: 16
; WaveLimiterHint : 0
; COMPUTE_PGM_RSRC2:SCRATCH_EN: 0
; COMPUTE_PGM_RSRC2:USER_SGPR: 15
; COMPUTE_PGM_RSRC2:TRAP_HANDLER: 0
; COMPUTE_PGM_RSRC2:TGID_X_EN: 1
; COMPUTE_PGM_RSRC2:TGID_Y_EN: 0
; COMPUTE_PGM_RSRC2:TGID_Z_EN: 0
; COMPUTE_PGM_RSRC2:TIDIG_COMP_CNT: 0
	.section	.text._ZN7rocprim17ROCPRIM_400000_NS6detail17trampoline_kernelINS0_13select_configILj256ELj13ELNS0_17block_load_methodE3ELS4_3ELS4_3ELNS0_20block_scan_algorithmE0ELj4294967295EEENS1_25partition_config_selectorILNS1_17partition_subalgoE3EjNS0_10empty_typeEbEEZZNS1_14partition_implILS8_3ELb0ES6_jNS0_17counting_iteratorIjlEEPS9_SE_NS0_5tupleIJPjSE_EEENSF_IJSE_SE_EEES9_SG_JZNS1_25segmented_radix_sort_implINS0_14default_configELb1EPKbPbPKlPlN2at6native12_GLOBAL__N_18offset_tEEE10hipError_tPvRmT1_PNSt15iterator_traitsISY_E10value_typeET2_T3_PNSZ_IS14_E10value_typeET4_jRbjT5_S1A_jjP12ihipStream_tbEUljE_EEESV_SW_SX_S14_S18_S1A_T6_T7_T9_mT8_S1C_bDpT10_ENKUlT_T0_E_clISt17integral_constantIbLb0EES1O_IbLb1EEEEDaS1K_S1L_EUlS1K_E_NS1_11comp_targetILNS1_3genE3ELNS1_11target_archE908ELNS1_3gpuE7ELNS1_3repE0EEENS1_30default_config_static_selectorELNS0_4arch9wavefront6targetE0EEEvSY_,"axG",@progbits,_ZN7rocprim17ROCPRIM_400000_NS6detail17trampoline_kernelINS0_13select_configILj256ELj13ELNS0_17block_load_methodE3ELS4_3ELS4_3ELNS0_20block_scan_algorithmE0ELj4294967295EEENS1_25partition_config_selectorILNS1_17partition_subalgoE3EjNS0_10empty_typeEbEEZZNS1_14partition_implILS8_3ELb0ES6_jNS0_17counting_iteratorIjlEEPS9_SE_NS0_5tupleIJPjSE_EEENSF_IJSE_SE_EEES9_SG_JZNS1_25segmented_radix_sort_implINS0_14default_configELb1EPKbPbPKlPlN2at6native12_GLOBAL__N_18offset_tEEE10hipError_tPvRmT1_PNSt15iterator_traitsISY_E10value_typeET2_T3_PNSZ_IS14_E10value_typeET4_jRbjT5_S1A_jjP12ihipStream_tbEUljE_EEESV_SW_SX_S14_S18_S1A_T6_T7_T9_mT8_S1C_bDpT10_ENKUlT_T0_E_clISt17integral_constantIbLb0EES1O_IbLb1EEEEDaS1K_S1L_EUlS1K_E_NS1_11comp_targetILNS1_3genE3ELNS1_11target_archE908ELNS1_3gpuE7ELNS1_3repE0EEENS1_30default_config_static_selectorELNS0_4arch9wavefront6targetE0EEEvSY_,comdat
	.globl	_ZN7rocprim17ROCPRIM_400000_NS6detail17trampoline_kernelINS0_13select_configILj256ELj13ELNS0_17block_load_methodE3ELS4_3ELS4_3ELNS0_20block_scan_algorithmE0ELj4294967295EEENS1_25partition_config_selectorILNS1_17partition_subalgoE3EjNS0_10empty_typeEbEEZZNS1_14partition_implILS8_3ELb0ES6_jNS0_17counting_iteratorIjlEEPS9_SE_NS0_5tupleIJPjSE_EEENSF_IJSE_SE_EEES9_SG_JZNS1_25segmented_radix_sort_implINS0_14default_configELb1EPKbPbPKlPlN2at6native12_GLOBAL__N_18offset_tEEE10hipError_tPvRmT1_PNSt15iterator_traitsISY_E10value_typeET2_T3_PNSZ_IS14_E10value_typeET4_jRbjT5_S1A_jjP12ihipStream_tbEUljE_EEESV_SW_SX_S14_S18_S1A_T6_T7_T9_mT8_S1C_bDpT10_ENKUlT_T0_E_clISt17integral_constantIbLb0EES1O_IbLb1EEEEDaS1K_S1L_EUlS1K_E_NS1_11comp_targetILNS1_3genE3ELNS1_11target_archE908ELNS1_3gpuE7ELNS1_3repE0EEENS1_30default_config_static_selectorELNS0_4arch9wavefront6targetE0EEEvSY_ ; -- Begin function _ZN7rocprim17ROCPRIM_400000_NS6detail17trampoline_kernelINS0_13select_configILj256ELj13ELNS0_17block_load_methodE3ELS4_3ELS4_3ELNS0_20block_scan_algorithmE0ELj4294967295EEENS1_25partition_config_selectorILNS1_17partition_subalgoE3EjNS0_10empty_typeEbEEZZNS1_14partition_implILS8_3ELb0ES6_jNS0_17counting_iteratorIjlEEPS9_SE_NS0_5tupleIJPjSE_EEENSF_IJSE_SE_EEES9_SG_JZNS1_25segmented_radix_sort_implINS0_14default_configELb1EPKbPbPKlPlN2at6native12_GLOBAL__N_18offset_tEEE10hipError_tPvRmT1_PNSt15iterator_traitsISY_E10value_typeET2_T3_PNSZ_IS14_E10value_typeET4_jRbjT5_S1A_jjP12ihipStream_tbEUljE_EEESV_SW_SX_S14_S18_S1A_T6_T7_T9_mT8_S1C_bDpT10_ENKUlT_T0_E_clISt17integral_constantIbLb0EES1O_IbLb1EEEEDaS1K_S1L_EUlS1K_E_NS1_11comp_targetILNS1_3genE3ELNS1_11target_archE908ELNS1_3gpuE7ELNS1_3repE0EEENS1_30default_config_static_selectorELNS0_4arch9wavefront6targetE0EEEvSY_
	.p2align	8
	.type	_ZN7rocprim17ROCPRIM_400000_NS6detail17trampoline_kernelINS0_13select_configILj256ELj13ELNS0_17block_load_methodE3ELS4_3ELS4_3ELNS0_20block_scan_algorithmE0ELj4294967295EEENS1_25partition_config_selectorILNS1_17partition_subalgoE3EjNS0_10empty_typeEbEEZZNS1_14partition_implILS8_3ELb0ES6_jNS0_17counting_iteratorIjlEEPS9_SE_NS0_5tupleIJPjSE_EEENSF_IJSE_SE_EEES9_SG_JZNS1_25segmented_radix_sort_implINS0_14default_configELb1EPKbPbPKlPlN2at6native12_GLOBAL__N_18offset_tEEE10hipError_tPvRmT1_PNSt15iterator_traitsISY_E10value_typeET2_T3_PNSZ_IS14_E10value_typeET4_jRbjT5_S1A_jjP12ihipStream_tbEUljE_EEESV_SW_SX_S14_S18_S1A_T6_T7_T9_mT8_S1C_bDpT10_ENKUlT_T0_E_clISt17integral_constantIbLb0EES1O_IbLb1EEEEDaS1K_S1L_EUlS1K_E_NS1_11comp_targetILNS1_3genE3ELNS1_11target_archE908ELNS1_3gpuE7ELNS1_3repE0EEENS1_30default_config_static_selectorELNS0_4arch9wavefront6targetE0EEEvSY_,@function
_ZN7rocprim17ROCPRIM_400000_NS6detail17trampoline_kernelINS0_13select_configILj256ELj13ELNS0_17block_load_methodE3ELS4_3ELS4_3ELNS0_20block_scan_algorithmE0ELj4294967295EEENS1_25partition_config_selectorILNS1_17partition_subalgoE3EjNS0_10empty_typeEbEEZZNS1_14partition_implILS8_3ELb0ES6_jNS0_17counting_iteratorIjlEEPS9_SE_NS0_5tupleIJPjSE_EEENSF_IJSE_SE_EEES9_SG_JZNS1_25segmented_radix_sort_implINS0_14default_configELb1EPKbPbPKlPlN2at6native12_GLOBAL__N_18offset_tEEE10hipError_tPvRmT1_PNSt15iterator_traitsISY_E10value_typeET2_T3_PNSZ_IS14_E10value_typeET4_jRbjT5_S1A_jjP12ihipStream_tbEUljE_EEESV_SW_SX_S14_S18_S1A_T6_T7_T9_mT8_S1C_bDpT10_ENKUlT_T0_E_clISt17integral_constantIbLb0EES1O_IbLb1EEEEDaS1K_S1L_EUlS1K_E_NS1_11comp_targetILNS1_3genE3ELNS1_11target_archE908ELNS1_3gpuE7ELNS1_3repE0EEENS1_30default_config_static_selectorELNS0_4arch9wavefront6targetE0EEEvSY_: ; @_ZN7rocprim17ROCPRIM_400000_NS6detail17trampoline_kernelINS0_13select_configILj256ELj13ELNS0_17block_load_methodE3ELS4_3ELS4_3ELNS0_20block_scan_algorithmE0ELj4294967295EEENS1_25partition_config_selectorILNS1_17partition_subalgoE3EjNS0_10empty_typeEbEEZZNS1_14partition_implILS8_3ELb0ES6_jNS0_17counting_iteratorIjlEEPS9_SE_NS0_5tupleIJPjSE_EEENSF_IJSE_SE_EEES9_SG_JZNS1_25segmented_radix_sort_implINS0_14default_configELb1EPKbPbPKlPlN2at6native12_GLOBAL__N_18offset_tEEE10hipError_tPvRmT1_PNSt15iterator_traitsISY_E10value_typeET2_T3_PNSZ_IS14_E10value_typeET4_jRbjT5_S1A_jjP12ihipStream_tbEUljE_EEESV_SW_SX_S14_S18_S1A_T6_T7_T9_mT8_S1C_bDpT10_ENKUlT_T0_E_clISt17integral_constantIbLb0EES1O_IbLb1EEEEDaS1K_S1L_EUlS1K_E_NS1_11comp_targetILNS1_3genE3ELNS1_11target_archE908ELNS1_3gpuE7ELNS1_3repE0EEENS1_30default_config_static_selectorELNS0_4arch9wavefront6targetE0EEEvSY_
; %bb.0:
	.section	.rodata,"a",@progbits
	.p2align	6, 0x0
	.amdhsa_kernel _ZN7rocprim17ROCPRIM_400000_NS6detail17trampoline_kernelINS0_13select_configILj256ELj13ELNS0_17block_load_methodE3ELS4_3ELS4_3ELNS0_20block_scan_algorithmE0ELj4294967295EEENS1_25partition_config_selectorILNS1_17partition_subalgoE3EjNS0_10empty_typeEbEEZZNS1_14partition_implILS8_3ELb0ES6_jNS0_17counting_iteratorIjlEEPS9_SE_NS0_5tupleIJPjSE_EEENSF_IJSE_SE_EEES9_SG_JZNS1_25segmented_radix_sort_implINS0_14default_configELb1EPKbPbPKlPlN2at6native12_GLOBAL__N_18offset_tEEE10hipError_tPvRmT1_PNSt15iterator_traitsISY_E10value_typeET2_T3_PNSZ_IS14_E10value_typeET4_jRbjT5_S1A_jjP12ihipStream_tbEUljE_EEESV_SW_SX_S14_S18_S1A_T6_T7_T9_mT8_S1C_bDpT10_ENKUlT_T0_E_clISt17integral_constantIbLb0EES1O_IbLb1EEEEDaS1K_S1L_EUlS1K_E_NS1_11comp_targetILNS1_3genE3ELNS1_11target_archE908ELNS1_3gpuE7ELNS1_3repE0EEENS1_30default_config_static_selectorELNS0_4arch9wavefront6targetE0EEEvSY_
		.amdhsa_group_segment_fixed_size 0
		.amdhsa_private_segment_fixed_size 0
		.amdhsa_kernarg_size 152
		.amdhsa_user_sgpr_count 15
		.amdhsa_user_sgpr_dispatch_ptr 0
		.amdhsa_user_sgpr_queue_ptr 0
		.amdhsa_user_sgpr_kernarg_segment_ptr 1
		.amdhsa_user_sgpr_dispatch_id 0
		.amdhsa_user_sgpr_private_segment_size 0
		.amdhsa_wavefront_size32 1
		.amdhsa_uses_dynamic_stack 0
		.amdhsa_enable_private_segment 0
		.amdhsa_system_sgpr_workgroup_id_x 1
		.amdhsa_system_sgpr_workgroup_id_y 0
		.amdhsa_system_sgpr_workgroup_id_z 0
		.amdhsa_system_sgpr_workgroup_info 0
		.amdhsa_system_vgpr_workitem_id 0
		.amdhsa_next_free_vgpr 1
		.amdhsa_next_free_sgpr 1
		.amdhsa_reserve_vcc 0
		.amdhsa_float_round_mode_32 0
		.amdhsa_float_round_mode_16_64 0
		.amdhsa_float_denorm_mode_32 3
		.amdhsa_float_denorm_mode_16_64 3
		.amdhsa_dx10_clamp 1
		.amdhsa_ieee_mode 1
		.amdhsa_fp16_overflow 0
		.amdhsa_workgroup_processor_mode 1
		.amdhsa_memory_ordered 1
		.amdhsa_forward_progress 0
		.amdhsa_shared_vgpr_count 0
		.amdhsa_exception_fp_ieee_invalid_op 0
		.amdhsa_exception_fp_denorm_src 0
		.amdhsa_exception_fp_ieee_div_zero 0
		.amdhsa_exception_fp_ieee_overflow 0
		.amdhsa_exception_fp_ieee_underflow 0
		.amdhsa_exception_fp_ieee_inexact 0
		.amdhsa_exception_int_div_zero 0
	.end_amdhsa_kernel
	.section	.text._ZN7rocprim17ROCPRIM_400000_NS6detail17trampoline_kernelINS0_13select_configILj256ELj13ELNS0_17block_load_methodE3ELS4_3ELS4_3ELNS0_20block_scan_algorithmE0ELj4294967295EEENS1_25partition_config_selectorILNS1_17partition_subalgoE3EjNS0_10empty_typeEbEEZZNS1_14partition_implILS8_3ELb0ES6_jNS0_17counting_iteratorIjlEEPS9_SE_NS0_5tupleIJPjSE_EEENSF_IJSE_SE_EEES9_SG_JZNS1_25segmented_radix_sort_implINS0_14default_configELb1EPKbPbPKlPlN2at6native12_GLOBAL__N_18offset_tEEE10hipError_tPvRmT1_PNSt15iterator_traitsISY_E10value_typeET2_T3_PNSZ_IS14_E10value_typeET4_jRbjT5_S1A_jjP12ihipStream_tbEUljE_EEESV_SW_SX_S14_S18_S1A_T6_T7_T9_mT8_S1C_bDpT10_ENKUlT_T0_E_clISt17integral_constantIbLb0EES1O_IbLb1EEEEDaS1K_S1L_EUlS1K_E_NS1_11comp_targetILNS1_3genE3ELNS1_11target_archE908ELNS1_3gpuE7ELNS1_3repE0EEENS1_30default_config_static_selectorELNS0_4arch9wavefront6targetE0EEEvSY_,"axG",@progbits,_ZN7rocprim17ROCPRIM_400000_NS6detail17trampoline_kernelINS0_13select_configILj256ELj13ELNS0_17block_load_methodE3ELS4_3ELS4_3ELNS0_20block_scan_algorithmE0ELj4294967295EEENS1_25partition_config_selectorILNS1_17partition_subalgoE3EjNS0_10empty_typeEbEEZZNS1_14partition_implILS8_3ELb0ES6_jNS0_17counting_iteratorIjlEEPS9_SE_NS0_5tupleIJPjSE_EEENSF_IJSE_SE_EEES9_SG_JZNS1_25segmented_radix_sort_implINS0_14default_configELb1EPKbPbPKlPlN2at6native12_GLOBAL__N_18offset_tEEE10hipError_tPvRmT1_PNSt15iterator_traitsISY_E10value_typeET2_T3_PNSZ_IS14_E10value_typeET4_jRbjT5_S1A_jjP12ihipStream_tbEUljE_EEESV_SW_SX_S14_S18_S1A_T6_T7_T9_mT8_S1C_bDpT10_ENKUlT_T0_E_clISt17integral_constantIbLb0EES1O_IbLb1EEEEDaS1K_S1L_EUlS1K_E_NS1_11comp_targetILNS1_3genE3ELNS1_11target_archE908ELNS1_3gpuE7ELNS1_3repE0EEENS1_30default_config_static_selectorELNS0_4arch9wavefront6targetE0EEEvSY_,comdat
.Lfunc_end1527:
	.size	_ZN7rocprim17ROCPRIM_400000_NS6detail17trampoline_kernelINS0_13select_configILj256ELj13ELNS0_17block_load_methodE3ELS4_3ELS4_3ELNS0_20block_scan_algorithmE0ELj4294967295EEENS1_25partition_config_selectorILNS1_17partition_subalgoE3EjNS0_10empty_typeEbEEZZNS1_14partition_implILS8_3ELb0ES6_jNS0_17counting_iteratorIjlEEPS9_SE_NS0_5tupleIJPjSE_EEENSF_IJSE_SE_EEES9_SG_JZNS1_25segmented_radix_sort_implINS0_14default_configELb1EPKbPbPKlPlN2at6native12_GLOBAL__N_18offset_tEEE10hipError_tPvRmT1_PNSt15iterator_traitsISY_E10value_typeET2_T3_PNSZ_IS14_E10value_typeET4_jRbjT5_S1A_jjP12ihipStream_tbEUljE_EEESV_SW_SX_S14_S18_S1A_T6_T7_T9_mT8_S1C_bDpT10_ENKUlT_T0_E_clISt17integral_constantIbLb0EES1O_IbLb1EEEEDaS1K_S1L_EUlS1K_E_NS1_11comp_targetILNS1_3genE3ELNS1_11target_archE908ELNS1_3gpuE7ELNS1_3repE0EEENS1_30default_config_static_selectorELNS0_4arch9wavefront6targetE0EEEvSY_, .Lfunc_end1527-_ZN7rocprim17ROCPRIM_400000_NS6detail17trampoline_kernelINS0_13select_configILj256ELj13ELNS0_17block_load_methodE3ELS4_3ELS4_3ELNS0_20block_scan_algorithmE0ELj4294967295EEENS1_25partition_config_selectorILNS1_17partition_subalgoE3EjNS0_10empty_typeEbEEZZNS1_14partition_implILS8_3ELb0ES6_jNS0_17counting_iteratorIjlEEPS9_SE_NS0_5tupleIJPjSE_EEENSF_IJSE_SE_EEES9_SG_JZNS1_25segmented_radix_sort_implINS0_14default_configELb1EPKbPbPKlPlN2at6native12_GLOBAL__N_18offset_tEEE10hipError_tPvRmT1_PNSt15iterator_traitsISY_E10value_typeET2_T3_PNSZ_IS14_E10value_typeET4_jRbjT5_S1A_jjP12ihipStream_tbEUljE_EEESV_SW_SX_S14_S18_S1A_T6_T7_T9_mT8_S1C_bDpT10_ENKUlT_T0_E_clISt17integral_constantIbLb0EES1O_IbLb1EEEEDaS1K_S1L_EUlS1K_E_NS1_11comp_targetILNS1_3genE3ELNS1_11target_archE908ELNS1_3gpuE7ELNS1_3repE0EEENS1_30default_config_static_selectorELNS0_4arch9wavefront6targetE0EEEvSY_
                                        ; -- End function
	.section	.AMDGPU.csdata,"",@progbits
; Kernel info:
; codeLenInByte = 0
; NumSgprs: 0
; NumVgprs: 0
; ScratchSize: 0
; MemoryBound: 0
; FloatMode: 240
; IeeeMode: 1
; LDSByteSize: 0 bytes/workgroup (compile time only)
; SGPRBlocks: 0
; VGPRBlocks: 0
; NumSGPRsForWavesPerEU: 1
; NumVGPRsForWavesPerEU: 1
; Occupancy: 16
; WaveLimiterHint : 0
; COMPUTE_PGM_RSRC2:SCRATCH_EN: 0
; COMPUTE_PGM_RSRC2:USER_SGPR: 15
; COMPUTE_PGM_RSRC2:TRAP_HANDLER: 0
; COMPUTE_PGM_RSRC2:TGID_X_EN: 1
; COMPUTE_PGM_RSRC2:TGID_Y_EN: 0
; COMPUTE_PGM_RSRC2:TGID_Z_EN: 0
; COMPUTE_PGM_RSRC2:TIDIG_COMP_CNT: 0
	.section	.text._ZN7rocprim17ROCPRIM_400000_NS6detail17trampoline_kernelINS0_13select_configILj256ELj13ELNS0_17block_load_methodE3ELS4_3ELS4_3ELNS0_20block_scan_algorithmE0ELj4294967295EEENS1_25partition_config_selectorILNS1_17partition_subalgoE3EjNS0_10empty_typeEbEEZZNS1_14partition_implILS8_3ELb0ES6_jNS0_17counting_iteratorIjlEEPS9_SE_NS0_5tupleIJPjSE_EEENSF_IJSE_SE_EEES9_SG_JZNS1_25segmented_radix_sort_implINS0_14default_configELb1EPKbPbPKlPlN2at6native12_GLOBAL__N_18offset_tEEE10hipError_tPvRmT1_PNSt15iterator_traitsISY_E10value_typeET2_T3_PNSZ_IS14_E10value_typeET4_jRbjT5_S1A_jjP12ihipStream_tbEUljE_EEESV_SW_SX_S14_S18_S1A_T6_T7_T9_mT8_S1C_bDpT10_ENKUlT_T0_E_clISt17integral_constantIbLb0EES1O_IbLb1EEEEDaS1K_S1L_EUlS1K_E_NS1_11comp_targetILNS1_3genE2ELNS1_11target_archE906ELNS1_3gpuE6ELNS1_3repE0EEENS1_30default_config_static_selectorELNS0_4arch9wavefront6targetE0EEEvSY_,"axG",@progbits,_ZN7rocprim17ROCPRIM_400000_NS6detail17trampoline_kernelINS0_13select_configILj256ELj13ELNS0_17block_load_methodE3ELS4_3ELS4_3ELNS0_20block_scan_algorithmE0ELj4294967295EEENS1_25partition_config_selectorILNS1_17partition_subalgoE3EjNS0_10empty_typeEbEEZZNS1_14partition_implILS8_3ELb0ES6_jNS0_17counting_iteratorIjlEEPS9_SE_NS0_5tupleIJPjSE_EEENSF_IJSE_SE_EEES9_SG_JZNS1_25segmented_radix_sort_implINS0_14default_configELb1EPKbPbPKlPlN2at6native12_GLOBAL__N_18offset_tEEE10hipError_tPvRmT1_PNSt15iterator_traitsISY_E10value_typeET2_T3_PNSZ_IS14_E10value_typeET4_jRbjT5_S1A_jjP12ihipStream_tbEUljE_EEESV_SW_SX_S14_S18_S1A_T6_T7_T9_mT8_S1C_bDpT10_ENKUlT_T0_E_clISt17integral_constantIbLb0EES1O_IbLb1EEEEDaS1K_S1L_EUlS1K_E_NS1_11comp_targetILNS1_3genE2ELNS1_11target_archE906ELNS1_3gpuE6ELNS1_3repE0EEENS1_30default_config_static_selectorELNS0_4arch9wavefront6targetE0EEEvSY_,comdat
	.globl	_ZN7rocprim17ROCPRIM_400000_NS6detail17trampoline_kernelINS0_13select_configILj256ELj13ELNS0_17block_load_methodE3ELS4_3ELS4_3ELNS0_20block_scan_algorithmE0ELj4294967295EEENS1_25partition_config_selectorILNS1_17partition_subalgoE3EjNS0_10empty_typeEbEEZZNS1_14partition_implILS8_3ELb0ES6_jNS0_17counting_iteratorIjlEEPS9_SE_NS0_5tupleIJPjSE_EEENSF_IJSE_SE_EEES9_SG_JZNS1_25segmented_radix_sort_implINS0_14default_configELb1EPKbPbPKlPlN2at6native12_GLOBAL__N_18offset_tEEE10hipError_tPvRmT1_PNSt15iterator_traitsISY_E10value_typeET2_T3_PNSZ_IS14_E10value_typeET4_jRbjT5_S1A_jjP12ihipStream_tbEUljE_EEESV_SW_SX_S14_S18_S1A_T6_T7_T9_mT8_S1C_bDpT10_ENKUlT_T0_E_clISt17integral_constantIbLb0EES1O_IbLb1EEEEDaS1K_S1L_EUlS1K_E_NS1_11comp_targetILNS1_3genE2ELNS1_11target_archE906ELNS1_3gpuE6ELNS1_3repE0EEENS1_30default_config_static_selectorELNS0_4arch9wavefront6targetE0EEEvSY_ ; -- Begin function _ZN7rocprim17ROCPRIM_400000_NS6detail17trampoline_kernelINS0_13select_configILj256ELj13ELNS0_17block_load_methodE3ELS4_3ELS4_3ELNS0_20block_scan_algorithmE0ELj4294967295EEENS1_25partition_config_selectorILNS1_17partition_subalgoE3EjNS0_10empty_typeEbEEZZNS1_14partition_implILS8_3ELb0ES6_jNS0_17counting_iteratorIjlEEPS9_SE_NS0_5tupleIJPjSE_EEENSF_IJSE_SE_EEES9_SG_JZNS1_25segmented_radix_sort_implINS0_14default_configELb1EPKbPbPKlPlN2at6native12_GLOBAL__N_18offset_tEEE10hipError_tPvRmT1_PNSt15iterator_traitsISY_E10value_typeET2_T3_PNSZ_IS14_E10value_typeET4_jRbjT5_S1A_jjP12ihipStream_tbEUljE_EEESV_SW_SX_S14_S18_S1A_T6_T7_T9_mT8_S1C_bDpT10_ENKUlT_T0_E_clISt17integral_constantIbLb0EES1O_IbLb1EEEEDaS1K_S1L_EUlS1K_E_NS1_11comp_targetILNS1_3genE2ELNS1_11target_archE906ELNS1_3gpuE6ELNS1_3repE0EEENS1_30default_config_static_selectorELNS0_4arch9wavefront6targetE0EEEvSY_
	.p2align	8
	.type	_ZN7rocprim17ROCPRIM_400000_NS6detail17trampoline_kernelINS0_13select_configILj256ELj13ELNS0_17block_load_methodE3ELS4_3ELS4_3ELNS0_20block_scan_algorithmE0ELj4294967295EEENS1_25partition_config_selectorILNS1_17partition_subalgoE3EjNS0_10empty_typeEbEEZZNS1_14partition_implILS8_3ELb0ES6_jNS0_17counting_iteratorIjlEEPS9_SE_NS0_5tupleIJPjSE_EEENSF_IJSE_SE_EEES9_SG_JZNS1_25segmented_radix_sort_implINS0_14default_configELb1EPKbPbPKlPlN2at6native12_GLOBAL__N_18offset_tEEE10hipError_tPvRmT1_PNSt15iterator_traitsISY_E10value_typeET2_T3_PNSZ_IS14_E10value_typeET4_jRbjT5_S1A_jjP12ihipStream_tbEUljE_EEESV_SW_SX_S14_S18_S1A_T6_T7_T9_mT8_S1C_bDpT10_ENKUlT_T0_E_clISt17integral_constantIbLb0EES1O_IbLb1EEEEDaS1K_S1L_EUlS1K_E_NS1_11comp_targetILNS1_3genE2ELNS1_11target_archE906ELNS1_3gpuE6ELNS1_3repE0EEENS1_30default_config_static_selectorELNS0_4arch9wavefront6targetE0EEEvSY_,@function
_ZN7rocprim17ROCPRIM_400000_NS6detail17trampoline_kernelINS0_13select_configILj256ELj13ELNS0_17block_load_methodE3ELS4_3ELS4_3ELNS0_20block_scan_algorithmE0ELj4294967295EEENS1_25partition_config_selectorILNS1_17partition_subalgoE3EjNS0_10empty_typeEbEEZZNS1_14partition_implILS8_3ELb0ES6_jNS0_17counting_iteratorIjlEEPS9_SE_NS0_5tupleIJPjSE_EEENSF_IJSE_SE_EEES9_SG_JZNS1_25segmented_radix_sort_implINS0_14default_configELb1EPKbPbPKlPlN2at6native12_GLOBAL__N_18offset_tEEE10hipError_tPvRmT1_PNSt15iterator_traitsISY_E10value_typeET2_T3_PNSZ_IS14_E10value_typeET4_jRbjT5_S1A_jjP12ihipStream_tbEUljE_EEESV_SW_SX_S14_S18_S1A_T6_T7_T9_mT8_S1C_bDpT10_ENKUlT_T0_E_clISt17integral_constantIbLb0EES1O_IbLb1EEEEDaS1K_S1L_EUlS1K_E_NS1_11comp_targetILNS1_3genE2ELNS1_11target_archE906ELNS1_3gpuE6ELNS1_3repE0EEENS1_30default_config_static_selectorELNS0_4arch9wavefront6targetE0EEEvSY_: ; @_ZN7rocprim17ROCPRIM_400000_NS6detail17trampoline_kernelINS0_13select_configILj256ELj13ELNS0_17block_load_methodE3ELS4_3ELS4_3ELNS0_20block_scan_algorithmE0ELj4294967295EEENS1_25partition_config_selectorILNS1_17partition_subalgoE3EjNS0_10empty_typeEbEEZZNS1_14partition_implILS8_3ELb0ES6_jNS0_17counting_iteratorIjlEEPS9_SE_NS0_5tupleIJPjSE_EEENSF_IJSE_SE_EEES9_SG_JZNS1_25segmented_radix_sort_implINS0_14default_configELb1EPKbPbPKlPlN2at6native12_GLOBAL__N_18offset_tEEE10hipError_tPvRmT1_PNSt15iterator_traitsISY_E10value_typeET2_T3_PNSZ_IS14_E10value_typeET4_jRbjT5_S1A_jjP12ihipStream_tbEUljE_EEESV_SW_SX_S14_S18_S1A_T6_T7_T9_mT8_S1C_bDpT10_ENKUlT_T0_E_clISt17integral_constantIbLb0EES1O_IbLb1EEEEDaS1K_S1L_EUlS1K_E_NS1_11comp_targetILNS1_3genE2ELNS1_11target_archE906ELNS1_3gpuE6ELNS1_3repE0EEENS1_30default_config_static_selectorELNS0_4arch9wavefront6targetE0EEEvSY_
; %bb.0:
	.section	.rodata,"a",@progbits
	.p2align	6, 0x0
	.amdhsa_kernel _ZN7rocprim17ROCPRIM_400000_NS6detail17trampoline_kernelINS0_13select_configILj256ELj13ELNS0_17block_load_methodE3ELS4_3ELS4_3ELNS0_20block_scan_algorithmE0ELj4294967295EEENS1_25partition_config_selectorILNS1_17partition_subalgoE3EjNS0_10empty_typeEbEEZZNS1_14partition_implILS8_3ELb0ES6_jNS0_17counting_iteratorIjlEEPS9_SE_NS0_5tupleIJPjSE_EEENSF_IJSE_SE_EEES9_SG_JZNS1_25segmented_radix_sort_implINS0_14default_configELb1EPKbPbPKlPlN2at6native12_GLOBAL__N_18offset_tEEE10hipError_tPvRmT1_PNSt15iterator_traitsISY_E10value_typeET2_T3_PNSZ_IS14_E10value_typeET4_jRbjT5_S1A_jjP12ihipStream_tbEUljE_EEESV_SW_SX_S14_S18_S1A_T6_T7_T9_mT8_S1C_bDpT10_ENKUlT_T0_E_clISt17integral_constantIbLb0EES1O_IbLb1EEEEDaS1K_S1L_EUlS1K_E_NS1_11comp_targetILNS1_3genE2ELNS1_11target_archE906ELNS1_3gpuE6ELNS1_3repE0EEENS1_30default_config_static_selectorELNS0_4arch9wavefront6targetE0EEEvSY_
		.amdhsa_group_segment_fixed_size 0
		.amdhsa_private_segment_fixed_size 0
		.amdhsa_kernarg_size 152
		.amdhsa_user_sgpr_count 15
		.amdhsa_user_sgpr_dispatch_ptr 0
		.amdhsa_user_sgpr_queue_ptr 0
		.amdhsa_user_sgpr_kernarg_segment_ptr 1
		.amdhsa_user_sgpr_dispatch_id 0
		.amdhsa_user_sgpr_private_segment_size 0
		.amdhsa_wavefront_size32 1
		.amdhsa_uses_dynamic_stack 0
		.amdhsa_enable_private_segment 0
		.amdhsa_system_sgpr_workgroup_id_x 1
		.amdhsa_system_sgpr_workgroup_id_y 0
		.amdhsa_system_sgpr_workgroup_id_z 0
		.amdhsa_system_sgpr_workgroup_info 0
		.amdhsa_system_vgpr_workitem_id 0
		.amdhsa_next_free_vgpr 1
		.amdhsa_next_free_sgpr 1
		.amdhsa_reserve_vcc 0
		.amdhsa_float_round_mode_32 0
		.amdhsa_float_round_mode_16_64 0
		.amdhsa_float_denorm_mode_32 3
		.amdhsa_float_denorm_mode_16_64 3
		.amdhsa_dx10_clamp 1
		.amdhsa_ieee_mode 1
		.amdhsa_fp16_overflow 0
		.amdhsa_workgroup_processor_mode 1
		.amdhsa_memory_ordered 1
		.amdhsa_forward_progress 0
		.amdhsa_shared_vgpr_count 0
		.amdhsa_exception_fp_ieee_invalid_op 0
		.amdhsa_exception_fp_denorm_src 0
		.amdhsa_exception_fp_ieee_div_zero 0
		.amdhsa_exception_fp_ieee_overflow 0
		.amdhsa_exception_fp_ieee_underflow 0
		.amdhsa_exception_fp_ieee_inexact 0
		.amdhsa_exception_int_div_zero 0
	.end_amdhsa_kernel
	.section	.text._ZN7rocprim17ROCPRIM_400000_NS6detail17trampoline_kernelINS0_13select_configILj256ELj13ELNS0_17block_load_methodE3ELS4_3ELS4_3ELNS0_20block_scan_algorithmE0ELj4294967295EEENS1_25partition_config_selectorILNS1_17partition_subalgoE3EjNS0_10empty_typeEbEEZZNS1_14partition_implILS8_3ELb0ES6_jNS0_17counting_iteratorIjlEEPS9_SE_NS0_5tupleIJPjSE_EEENSF_IJSE_SE_EEES9_SG_JZNS1_25segmented_radix_sort_implINS0_14default_configELb1EPKbPbPKlPlN2at6native12_GLOBAL__N_18offset_tEEE10hipError_tPvRmT1_PNSt15iterator_traitsISY_E10value_typeET2_T3_PNSZ_IS14_E10value_typeET4_jRbjT5_S1A_jjP12ihipStream_tbEUljE_EEESV_SW_SX_S14_S18_S1A_T6_T7_T9_mT8_S1C_bDpT10_ENKUlT_T0_E_clISt17integral_constantIbLb0EES1O_IbLb1EEEEDaS1K_S1L_EUlS1K_E_NS1_11comp_targetILNS1_3genE2ELNS1_11target_archE906ELNS1_3gpuE6ELNS1_3repE0EEENS1_30default_config_static_selectorELNS0_4arch9wavefront6targetE0EEEvSY_,"axG",@progbits,_ZN7rocprim17ROCPRIM_400000_NS6detail17trampoline_kernelINS0_13select_configILj256ELj13ELNS0_17block_load_methodE3ELS4_3ELS4_3ELNS0_20block_scan_algorithmE0ELj4294967295EEENS1_25partition_config_selectorILNS1_17partition_subalgoE3EjNS0_10empty_typeEbEEZZNS1_14partition_implILS8_3ELb0ES6_jNS0_17counting_iteratorIjlEEPS9_SE_NS0_5tupleIJPjSE_EEENSF_IJSE_SE_EEES9_SG_JZNS1_25segmented_radix_sort_implINS0_14default_configELb1EPKbPbPKlPlN2at6native12_GLOBAL__N_18offset_tEEE10hipError_tPvRmT1_PNSt15iterator_traitsISY_E10value_typeET2_T3_PNSZ_IS14_E10value_typeET4_jRbjT5_S1A_jjP12ihipStream_tbEUljE_EEESV_SW_SX_S14_S18_S1A_T6_T7_T9_mT8_S1C_bDpT10_ENKUlT_T0_E_clISt17integral_constantIbLb0EES1O_IbLb1EEEEDaS1K_S1L_EUlS1K_E_NS1_11comp_targetILNS1_3genE2ELNS1_11target_archE906ELNS1_3gpuE6ELNS1_3repE0EEENS1_30default_config_static_selectorELNS0_4arch9wavefront6targetE0EEEvSY_,comdat
.Lfunc_end1528:
	.size	_ZN7rocprim17ROCPRIM_400000_NS6detail17trampoline_kernelINS0_13select_configILj256ELj13ELNS0_17block_load_methodE3ELS4_3ELS4_3ELNS0_20block_scan_algorithmE0ELj4294967295EEENS1_25partition_config_selectorILNS1_17partition_subalgoE3EjNS0_10empty_typeEbEEZZNS1_14partition_implILS8_3ELb0ES6_jNS0_17counting_iteratorIjlEEPS9_SE_NS0_5tupleIJPjSE_EEENSF_IJSE_SE_EEES9_SG_JZNS1_25segmented_radix_sort_implINS0_14default_configELb1EPKbPbPKlPlN2at6native12_GLOBAL__N_18offset_tEEE10hipError_tPvRmT1_PNSt15iterator_traitsISY_E10value_typeET2_T3_PNSZ_IS14_E10value_typeET4_jRbjT5_S1A_jjP12ihipStream_tbEUljE_EEESV_SW_SX_S14_S18_S1A_T6_T7_T9_mT8_S1C_bDpT10_ENKUlT_T0_E_clISt17integral_constantIbLb0EES1O_IbLb1EEEEDaS1K_S1L_EUlS1K_E_NS1_11comp_targetILNS1_3genE2ELNS1_11target_archE906ELNS1_3gpuE6ELNS1_3repE0EEENS1_30default_config_static_selectorELNS0_4arch9wavefront6targetE0EEEvSY_, .Lfunc_end1528-_ZN7rocprim17ROCPRIM_400000_NS6detail17trampoline_kernelINS0_13select_configILj256ELj13ELNS0_17block_load_methodE3ELS4_3ELS4_3ELNS0_20block_scan_algorithmE0ELj4294967295EEENS1_25partition_config_selectorILNS1_17partition_subalgoE3EjNS0_10empty_typeEbEEZZNS1_14partition_implILS8_3ELb0ES6_jNS0_17counting_iteratorIjlEEPS9_SE_NS0_5tupleIJPjSE_EEENSF_IJSE_SE_EEES9_SG_JZNS1_25segmented_radix_sort_implINS0_14default_configELb1EPKbPbPKlPlN2at6native12_GLOBAL__N_18offset_tEEE10hipError_tPvRmT1_PNSt15iterator_traitsISY_E10value_typeET2_T3_PNSZ_IS14_E10value_typeET4_jRbjT5_S1A_jjP12ihipStream_tbEUljE_EEESV_SW_SX_S14_S18_S1A_T6_T7_T9_mT8_S1C_bDpT10_ENKUlT_T0_E_clISt17integral_constantIbLb0EES1O_IbLb1EEEEDaS1K_S1L_EUlS1K_E_NS1_11comp_targetILNS1_3genE2ELNS1_11target_archE906ELNS1_3gpuE6ELNS1_3repE0EEENS1_30default_config_static_selectorELNS0_4arch9wavefront6targetE0EEEvSY_
                                        ; -- End function
	.section	.AMDGPU.csdata,"",@progbits
; Kernel info:
; codeLenInByte = 0
; NumSgprs: 0
; NumVgprs: 0
; ScratchSize: 0
; MemoryBound: 0
; FloatMode: 240
; IeeeMode: 1
; LDSByteSize: 0 bytes/workgroup (compile time only)
; SGPRBlocks: 0
; VGPRBlocks: 0
; NumSGPRsForWavesPerEU: 1
; NumVGPRsForWavesPerEU: 1
; Occupancy: 16
; WaveLimiterHint : 0
; COMPUTE_PGM_RSRC2:SCRATCH_EN: 0
; COMPUTE_PGM_RSRC2:USER_SGPR: 15
; COMPUTE_PGM_RSRC2:TRAP_HANDLER: 0
; COMPUTE_PGM_RSRC2:TGID_X_EN: 1
; COMPUTE_PGM_RSRC2:TGID_Y_EN: 0
; COMPUTE_PGM_RSRC2:TGID_Z_EN: 0
; COMPUTE_PGM_RSRC2:TIDIG_COMP_CNT: 0
	.section	.text._ZN7rocprim17ROCPRIM_400000_NS6detail17trampoline_kernelINS0_13select_configILj256ELj13ELNS0_17block_load_methodE3ELS4_3ELS4_3ELNS0_20block_scan_algorithmE0ELj4294967295EEENS1_25partition_config_selectorILNS1_17partition_subalgoE3EjNS0_10empty_typeEbEEZZNS1_14partition_implILS8_3ELb0ES6_jNS0_17counting_iteratorIjlEEPS9_SE_NS0_5tupleIJPjSE_EEENSF_IJSE_SE_EEES9_SG_JZNS1_25segmented_radix_sort_implINS0_14default_configELb1EPKbPbPKlPlN2at6native12_GLOBAL__N_18offset_tEEE10hipError_tPvRmT1_PNSt15iterator_traitsISY_E10value_typeET2_T3_PNSZ_IS14_E10value_typeET4_jRbjT5_S1A_jjP12ihipStream_tbEUljE_EEESV_SW_SX_S14_S18_S1A_T6_T7_T9_mT8_S1C_bDpT10_ENKUlT_T0_E_clISt17integral_constantIbLb0EES1O_IbLb1EEEEDaS1K_S1L_EUlS1K_E_NS1_11comp_targetILNS1_3genE10ELNS1_11target_archE1200ELNS1_3gpuE4ELNS1_3repE0EEENS1_30default_config_static_selectorELNS0_4arch9wavefront6targetE0EEEvSY_,"axG",@progbits,_ZN7rocprim17ROCPRIM_400000_NS6detail17trampoline_kernelINS0_13select_configILj256ELj13ELNS0_17block_load_methodE3ELS4_3ELS4_3ELNS0_20block_scan_algorithmE0ELj4294967295EEENS1_25partition_config_selectorILNS1_17partition_subalgoE3EjNS0_10empty_typeEbEEZZNS1_14partition_implILS8_3ELb0ES6_jNS0_17counting_iteratorIjlEEPS9_SE_NS0_5tupleIJPjSE_EEENSF_IJSE_SE_EEES9_SG_JZNS1_25segmented_radix_sort_implINS0_14default_configELb1EPKbPbPKlPlN2at6native12_GLOBAL__N_18offset_tEEE10hipError_tPvRmT1_PNSt15iterator_traitsISY_E10value_typeET2_T3_PNSZ_IS14_E10value_typeET4_jRbjT5_S1A_jjP12ihipStream_tbEUljE_EEESV_SW_SX_S14_S18_S1A_T6_T7_T9_mT8_S1C_bDpT10_ENKUlT_T0_E_clISt17integral_constantIbLb0EES1O_IbLb1EEEEDaS1K_S1L_EUlS1K_E_NS1_11comp_targetILNS1_3genE10ELNS1_11target_archE1200ELNS1_3gpuE4ELNS1_3repE0EEENS1_30default_config_static_selectorELNS0_4arch9wavefront6targetE0EEEvSY_,comdat
	.globl	_ZN7rocprim17ROCPRIM_400000_NS6detail17trampoline_kernelINS0_13select_configILj256ELj13ELNS0_17block_load_methodE3ELS4_3ELS4_3ELNS0_20block_scan_algorithmE0ELj4294967295EEENS1_25partition_config_selectorILNS1_17partition_subalgoE3EjNS0_10empty_typeEbEEZZNS1_14partition_implILS8_3ELb0ES6_jNS0_17counting_iteratorIjlEEPS9_SE_NS0_5tupleIJPjSE_EEENSF_IJSE_SE_EEES9_SG_JZNS1_25segmented_radix_sort_implINS0_14default_configELb1EPKbPbPKlPlN2at6native12_GLOBAL__N_18offset_tEEE10hipError_tPvRmT1_PNSt15iterator_traitsISY_E10value_typeET2_T3_PNSZ_IS14_E10value_typeET4_jRbjT5_S1A_jjP12ihipStream_tbEUljE_EEESV_SW_SX_S14_S18_S1A_T6_T7_T9_mT8_S1C_bDpT10_ENKUlT_T0_E_clISt17integral_constantIbLb0EES1O_IbLb1EEEEDaS1K_S1L_EUlS1K_E_NS1_11comp_targetILNS1_3genE10ELNS1_11target_archE1200ELNS1_3gpuE4ELNS1_3repE0EEENS1_30default_config_static_selectorELNS0_4arch9wavefront6targetE0EEEvSY_ ; -- Begin function _ZN7rocprim17ROCPRIM_400000_NS6detail17trampoline_kernelINS0_13select_configILj256ELj13ELNS0_17block_load_methodE3ELS4_3ELS4_3ELNS0_20block_scan_algorithmE0ELj4294967295EEENS1_25partition_config_selectorILNS1_17partition_subalgoE3EjNS0_10empty_typeEbEEZZNS1_14partition_implILS8_3ELb0ES6_jNS0_17counting_iteratorIjlEEPS9_SE_NS0_5tupleIJPjSE_EEENSF_IJSE_SE_EEES9_SG_JZNS1_25segmented_radix_sort_implINS0_14default_configELb1EPKbPbPKlPlN2at6native12_GLOBAL__N_18offset_tEEE10hipError_tPvRmT1_PNSt15iterator_traitsISY_E10value_typeET2_T3_PNSZ_IS14_E10value_typeET4_jRbjT5_S1A_jjP12ihipStream_tbEUljE_EEESV_SW_SX_S14_S18_S1A_T6_T7_T9_mT8_S1C_bDpT10_ENKUlT_T0_E_clISt17integral_constantIbLb0EES1O_IbLb1EEEEDaS1K_S1L_EUlS1K_E_NS1_11comp_targetILNS1_3genE10ELNS1_11target_archE1200ELNS1_3gpuE4ELNS1_3repE0EEENS1_30default_config_static_selectorELNS0_4arch9wavefront6targetE0EEEvSY_
	.p2align	8
	.type	_ZN7rocprim17ROCPRIM_400000_NS6detail17trampoline_kernelINS0_13select_configILj256ELj13ELNS0_17block_load_methodE3ELS4_3ELS4_3ELNS0_20block_scan_algorithmE0ELj4294967295EEENS1_25partition_config_selectorILNS1_17partition_subalgoE3EjNS0_10empty_typeEbEEZZNS1_14partition_implILS8_3ELb0ES6_jNS0_17counting_iteratorIjlEEPS9_SE_NS0_5tupleIJPjSE_EEENSF_IJSE_SE_EEES9_SG_JZNS1_25segmented_radix_sort_implINS0_14default_configELb1EPKbPbPKlPlN2at6native12_GLOBAL__N_18offset_tEEE10hipError_tPvRmT1_PNSt15iterator_traitsISY_E10value_typeET2_T3_PNSZ_IS14_E10value_typeET4_jRbjT5_S1A_jjP12ihipStream_tbEUljE_EEESV_SW_SX_S14_S18_S1A_T6_T7_T9_mT8_S1C_bDpT10_ENKUlT_T0_E_clISt17integral_constantIbLb0EES1O_IbLb1EEEEDaS1K_S1L_EUlS1K_E_NS1_11comp_targetILNS1_3genE10ELNS1_11target_archE1200ELNS1_3gpuE4ELNS1_3repE0EEENS1_30default_config_static_selectorELNS0_4arch9wavefront6targetE0EEEvSY_,@function
_ZN7rocprim17ROCPRIM_400000_NS6detail17trampoline_kernelINS0_13select_configILj256ELj13ELNS0_17block_load_methodE3ELS4_3ELS4_3ELNS0_20block_scan_algorithmE0ELj4294967295EEENS1_25partition_config_selectorILNS1_17partition_subalgoE3EjNS0_10empty_typeEbEEZZNS1_14partition_implILS8_3ELb0ES6_jNS0_17counting_iteratorIjlEEPS9_SE_NS0_5tupleIJPjSE_EEENSF_IJSE_SE_EEES9_SG_JZNS1_25segmented_radix_sort_implINS0_14default_configELb1EPKbPbPKlPlN2at6native12_GLOBAL__N_18offset_tEEE10hipError_tPvRmT1_PNSt15iterator_traitsISY_E10value_typeET2_T3_PNSZ_IS14_E10value_typeET4_jRbjT5_S1A_jjP12ihipStream_tbEUljE_EEESV_SW_SX_S14_S18_S1A_T6_T7_T9_mT8_S1C_bDpT10_ENKUlT_T0_E_clISt17integral_constantIbLb0EES1O_IbLb1EEEEDaS1K_S1L_EUlS1K_E_NS1_11comp_targetILNS1_3genE10ELNS1_11target_archE1200ELNS1_3gpuE4ELNS1_3repE0EEENS1_30default_config_static_selectorELNS0_4arch9wavefront6targetE0EEEvSY_: ; @_ZN7rocprim17ROCPRIM_400000_NS6detail17trampoline_kernelINS0_13select_configILj256ELj13ELNS0_17block_load_methodE3ELS4_3ELS4_3ELNS0_20block_scan_algorithmE0ELj4294967295EEENS1_25partition_config_selectorILNS1_17partition_subalgoE3EjNS0_10empty_typeEbEEZZNS1_14partition_implILS8_3ELb0ES6_jNS0_17counting_iteratorIjlEEPS9_SE_NS0_5tupleIJPjSE_EEENSF_IJSE_SE_EEES9_SG_JZNS1_25segmented_radix_sort_implINS0_14default_configELb1EPKbPbPKlPlN2at6native12_GLOBAL__N_18offset_tEEE10hipError_tPvRmT1_PNSt15iterator_traitsISY_E10value_typeET2_T3_PNSZ_IS14_E10value_typeET4_jRbjT5_S1A_jjP12ihipStream_tbEUljE_EEESV_SW_SX_S14_S18_S1A_T6_T7_T9_mT8_S1C_bDpT10_ENKUlT_T0_E_clISt17integral_constantIbLb0EES1O_IbLb1EEEEDaS1K_S1L_EUlS1K_E_NS1_11comp_targetILNS1_3genE10ELNS1_11target_archE1200ELNS1_3gpuE4ELNS1_3repE0EEENS1_30default_config_static_selectorELNS0_4arch9wavefront6targetE0EEEvSY_
; %bb.0:
	.section	.rodata,"a",@progbits
	.p2align	6, 0x0
	.amdhsa_kernel _ZN7rocprim17ROCPRIM_400000_NS6detail17trampoline_kernelINS0_13select_configILj256ELj13ELNS0_17block_load_methodE3ELS4_3ELS4_3ELNS0_20block_scan_algorithmE0ELj4294967295EEENS1_25partition_config_selectorILNS1_17partition_subalgoE3EjNS0_10empty_typeEbEEZZNS1_14partition_implILS8_3ELb0ES6_jNS0_17counting_iteratorIjlEEPS9_SE_NS0_5tupleIJPjSE_EEENSF_IJSE_SE_EEES9_SG_JZNS1_25segmented_radix_sort_implINS0_14default_configELb1EPKbPbPKlPlN2at6native12_GLOBAL__N_18offset_tEEE10hipError_tPvRmT1_PNSt15iterator_traitsISY_E10value_typeET2_T3_PNSZ_IS14_E10value_typeET4_jRbjT5_S1A_jjP12ihipStream_tbEUljE_EEESV_SW_SX_S14_S18_S1A_T6_T7_T9_mT8_S1C_bDpT10_ENKUlT_T0_E_clISt17integral_constantIbLb0EES1O_IbLb1EEEEDaS1K_S1L_EUlS1K_E_NS1_11comp_targetILNS1_3genE10ELNS1_11target_archE1200ELNS1_3gpuE4ELNS1_3repE0EEENS1_30default_config_static_selectorELNS0_4arch9wavefront6targetE0EEEvSY_
		.amdhsa_group_segment_fixed_size 0
		.amdhsa_private_segment_fixed_size 0
		.amdhsa_kernarg_size 152
		.amdhsa_user_sgpr_count 15
		.amdhsa_user_sgpr_dispatch_ptr 0
		.amdhsa_user_sgpr_queue_ptr 0
		.amdhsa_user_sgpr_kernarg_segment_ptr 1
		.amdhsa_user_sgpr_dispatch_id 0
		.amdhsa_user_sgpr_private_segment_size 0
		.amdhsa_wavefront_size32 1
		.amdhsa_uses_dynamic_stack 0
		.amdhsa_enable_private_segment 0
		.amdhsa_system_sgpr_workgroup_id_x 1
		.amdhsa_system_sgpr_workgroup_id_y 0
		.amdhsa_system_sgpr_workgroup_id_z 0
		.amdhsa_system_sgpr_workgroup_info 0
		.amdhsa_system_vgpr_workitem_id 0
		.amdhsa_next_free_vgpr 1
		.amdhsa_next_free_sgpr 1
		.amdhsa_reserve_vcc 0
		.amdhsa_float_round_mode_32 0
		.amdhsa_float_round_mode_16_64 0
		.amdhsa_float_denorm_mode_32 3
		.amdhsa_float_denorm_mode_16_64 3
		.amdhsa_dx10_clamp 1
		.amdhsa_ieee_mode 1
		.amdhsa_fp16_overflow 0
		.amdhsa_workgroup_processor_mode 1
		.amdhsa_memory_ordered 1
		.amdhsa_forward_progress 0
		.amdhsa_shared_vgpr_count 0
		.amdhsa_exception_fp_ieee_invalid_op 0
		.amdhsa_exception_fp_denorm_src 0
		.amdhsa_exception_fp_ieee_div_zero 0
		.amdhsa_exception_fp_ieee_overflow 0
		.amdhsa_exception_fp_ieee_underflow 0
		.amdhsa_exception_fp_ieee_inexact 0
		.amdhsa_exception_int_div_zero 0
	.end_amdhsa_kernel
	.section	.text._ZN7rocprim17ROCPRIM_400000_NS6detail17trampoline_kernelINS0_13select_configILj256ELj13ELNS0_17block_load_methodE3ELS4_3ELS4_3ELNS0_20block_scan_algorithmE0ELj4294967295EEENS1_25partition_config_selectorILNS1_17partition_subalgoE3EjNS0_10empty_typeEbEEZZNS1_14partition_implILS8_3ELb0ES6_jNS0_17counting_iteratorIjlEEPS9_SE_NS0_5tupleIJPjSE_EEENSF_IJSE_SE_EEES9_SG_JZNS1_25segmented_radix_sort_implINS0_14default_configELb1EPKbPbPKlPlN2at6native12_GLOBAL__N_18offset_tEEE10hipError_tPvRmT1_PNSt15iterator_traitsISY_E10value_typeET2_T3_PNSZ_IS14_E10value_typeET4_jRbjT5_S1A_jjP12ihipStream_tbEUljE_EEESV_SW_SX_S14_S18_S1A_T6_T7_T9_mT8_S1C_bDpT10_ENKUlT_T0_E_clISt17integral_constantIbLb0EES1O_IbLb1EEEEDaS1K_S1L_EUlS1K_E_NS1_11comp_targetILNS1_3genE10ELNS1_11target_archE1200ELNS1_3gpuE4ELNS1_3repE0EEENS1_30default_config_static_selectorELNS0_4arch9wavefront6targetE0EEEvSY_,"axG",@progbits,_ZN7rocprim17ROCPRIM_400000_NS6detail17trampoline_kernelINS0_13select_configILj256ELj13ELNS0_17block_load_methodE3ELS4_3ELS4_3ELNS0_20block_scan_algorithmE0ELj4294967295EEENS1_25partition_config_selectorILNS1_17partition_subalgoE3EjNS0_10empty_typeEbEEZZNS1_14partition_implILS8_3ELb0ES6_jNS0_17counting_iteratorIjlEEPS9_SE_NS0_5tupleIJPjSE_EEENSF_IJSE_SE_EEES9_SG_JZNS1_25segmented_radix_sort_implINS0_14default_configELb1EPKbPbPKlPlN2at6native12_GLOBAL__N_18offset_tEEE10hipError_tPvRmT1_PNSt15iterator_traitsISY_E10value_typeET2_T3_PNSZ_IS14_E10value_typeET4_jRbjT5_S1A_jjP12ihipStream_tbEUljE_EEESV_SW_SX_S14_S18_S1A_T6_T7_T9_mT8_S1C_bDpT10_ENKUlT_T0_E_clISt17integral_constantIbLb0EES1O_IbLb1EEEEDaS1K_S1L_EUlS1K_E_NS1_11comp_targetILNS1_3genE10ELNS1_11target_archE1200ELNS1_3gpuE4ELNS1_3repE0EEENS1_30default_config_static_selectorELNS0_4arch9wavefront6targetE0EEEvSY_,comdat
.Lfunc_end1529:
	.size	_ZN7rocprim17ROCPRIM_400000_NS6detail17trampoline_kernelINS0_13select_configILj256ELj13ELNS0_17block_load_methodE3ELS4_3ELS4_3ELNS0_20block_scan_algorithmE0ELj4294967295EEENS1_25partition_config_selectorILNS1_17partition_subalgoE3EjNS0_10empty_typeEbEEZZNS1_14partition_implILS8_3ELb0ES6_jNS0_17counting_iteratorIjlEEPS9_SE_NS0_5tupleIJPjSE_EEENSF_IJSE_SE_EEES9_SG_JZNS1_25segmented_radix_sort_implINS0_14default_configELb1EPKbPbPKlPlN2at6native12_GLOBAL__N_18offset_tEEE10hipError_tPvRmT1_PNSt15iterator_traitsISY_E10value_typeET2_T3_PNSZ_IS14_E10value_typeET4_jRbjT5_S1A_jjP12ihipStream_tbEUljE_EEESV_SW_SX_S14_S18_S1A_T6_T7_T9_mT8_S1C_bDpT10_ENKUlT_T0_E_clISt17integral_constantIbLb0EES1O_IbLb1EEEEDaS1K_S1L_EUlS1K_E_NS1_11comp_targetILNS1_3genE10ELNS1_11target_archE1200ELNS1_3gpuE4ELNS1_3repE0EEENS1_30default_config_static_selectorELNS0_4arch9wavefront6targetE0EEEvSY_, .Lfunc_end1529-_ZN7rocprim17ROCPRIM_400000_NS6detail17trampoline_kernelINS0_13select_configILj256ELj13ELNS0_17block_load_methodE3ELS4_3ELS4_3ELNS0_20block_scan_algorithmE0ELj4294967295EEENS1_25partition_config_selectorILNS1_17partition_subalgoE3EjNS0_10empty_typeEbEEZZNS1_14partition_implILS8_3ELb0ES6_jNS0_17counting_iteratorIjlEEPS9_SE_NS0_5tupleIJPjSE_EEENSF_IJSE_SE_EEES9_SG_JZNS1_25segmented_radix_sort_implINS0_14default_configELb1EPKbPbPKlPlN2at6native12_GLOBAL__N_18offset_tEEE10hipError_tPvRmT1_PNSt15iterator_traitsISY_E10value_typeET2_T3_PNSZ_IS14_E10value_typeET4_jRbjT5_S1A_jjP12ihipStream_tbEUljE_EEESV_SW_SX_S14_S18_S1A_T6_T7_T9_mT8_S1C_bDpT10_ENKUlT_T0_E_clISt17integral_constantIbLb0EES1O_IbLb1EEEEDaS1K_S1L_EUlS1K_E_NS1_11comp_targetILNS1_3genE10ELNS1_11target_archE1200ELNS1_3gpuE4ELNS1_3repE0EEENS1_30default_config_static_selectorELNS0_4arch9wavefront6targetE0EEEvSY_
                                        ; -- End function
	.section	.AMDGPU.csdata,"",@progbits
; Kernel info:
; codeLenInByte = 0
; NumSgprs: 0
; NumVgprs: 0
; ScratchSize: 0
; MemoryBound: 0
; FloatMode: 240
; IeeeMode: 1
; LDSByteSize: 0 bytes/workgroup (compile time only)
; SGPRBlocks: 0
; VGPRBlocks: 0
; NumSGPRsForWavesPerEU: 1
; NumVGPRsForWavesPerEU: 1
; Occupancy: 16
; WaveLimiterHint : 0
; COMPUTE_PGM_RSRC2:SCRATCH_EN: 0
; COMPUTE_PGM_RSRC2:USER_SGPR: 15
; COMPUTE_PGM_RSRC2:TRAP_HANDLER: 0
; COMPUTE_PGM_RSRC2:TGID_X_EN: 1
; COMPUTE_PGM_RSRC2:TGID_Y_EN: 0
; COMPUTE_PGM_RSRC2:TGID_Z_EN: 0
; COMPUTE_PGM_RSRC2:TIDIG_COMP_CNT: 0
	.section	.text._ZN7rocprim17ROCPRIM_400000_NS6detail17trampoline_kernelINS0_13select_configILj256ELj13ELNS0_17block_load_methodE3ELS4_3ELS4_3ELNS0_20block_scan_algorithmE0ELj4294967295EEENS1_25partition_config_selectorILNS1_17partition_subalgoE3EjNS0_10empty_typeEbEEZZNS1_14partition_implILS8_3ELb0ES6_jNS0_17counting_iteratorIjlEEPS9_SE_NS0_5tupleIJPjSE_EEENSF_IJSE_SE_EEES9_SG_JZNS1_25segmented_radix_sort_implINS0_14default_configELb1EPKbPbPKlPlN2at6native12_GLOBAL__N_18offset_tEEE10hipError_tPvRmT1_PNSt15iterator_traitsISY_E10value_typeET2_T3_PNSZ_IS14_E10value_typeET4_jRbjT5_S1A_jjP12ihipStream_tbEUljE_EEESV_SW_SX_S14_S18_S1A_T6_T7_T9_mT8_S1C_bDpT10_ENKUlT_T0_E_clISt17integral_constantIbLb0EES1O_IbLb1EEEEDaS1K_S1L_EUlS1K_E_NS1_11comp_targetILNS1_3genE9ELNS1_11target_archE1100ELNS1_3gpuE3ELNS1_3repE0EEENS1_30default_config_static_selectorELNS0_4arch9wavefront6targetE0EEEvSY_,"axG",@progbits,_ZN7rocprim17ROCPRIM_400000_NS6detail17trampoline_kernelINS0_13select_configILj256ELj13ELNS0_17block_load_methodE3ELS4_3ELS4_3ELNS0_20block_scan_algorithmE0ELj4294967295EEENS1_25partition_config_selectorILNS1_17partition_subalgoE3EjNS0_10empty_typeEbEEZZNS1_14partition_implILS8_3ELb0ES6_jNS0_17counting_iteratorIjlEEPS9_SE_NS0_5tupleIJPjSE_EEENSF_IJSE_SE_EEES9_SG_JZNS1_25segmented_radix_sort_implINS0_14default_configELb1EPKbPbPKlPlN2at6native12_GLOBAL__N_18offset_tEEE10hipError_tPvRmT1_PNSt15iterator_traitsISY_E10value_typeET2_T3_PNSZ_IS14_E10value_typeET4_jRbjT5_S1A_jjP12ihipStream_tbEUljE_EEESV_SW_SX_S14_S18_S1A_T6_T7_T9_mT8_S1C_bDpT10_ENKUlT_T0_E_clISt17integral_constantIbLb0EES1O_IbLb1EEEEDaS1K_S1L_EUlS1K_E_NS1_11comp_targetILNS1_3genE9ELNS1_11target_archE1100ELNS1_3gpuE3ELNS1_3repE0EEENS1_30default_config_static_selectorELNS0_4arch9wavefront6targetE0EEEvSY_,comdat
	.globl	_ZN7rocprim17ROCPRIM_400000_NS6detail17trampoline_kernelINS0_13select_configILj256ELj13ELNS0_17block_load_methodE3ELS4_3ELS4_3ELNS0_20block_scan_algorithmE0ELj4294967295EEENS1_25partition_config_selectorILNS1_17partition_subalgoE3EjNS0_10empty_typeEbEEZZNS1_14partition_implILS8_3ELb0ES6_jNS0_17counting_iteratorIjlEEPS9_SE_NS0_5tupleIJPjSE_EEENSF_IJSE_SE_EEES9_SG_JZNS1_25segmented_radix_sort_implINS0_14default_configELb1EPKbPbPKlPlN2at6native12_GLOBAL__N_18offset_tEEE10hipError_tPvRmT1_PNSt15iterator_traitsISY_E10value_typeET2_T3_PNSZ_IS14_E10value_typeET4_jRbjT5_S1A_jjP12ihipStream_tbEUljE_EEESV_SW_SX_S14_S18_S1A_T6_T7_T9_mT8_S1C_bDpT10_ENKUlT_T0_E_clISt17integral_constantIbLb0EES1O_IbLb1EEEEDaS1K_S1L_EUlS1K_E_NS1_11comp_targetILNS1_3genE9ELNS1_11target_archE1100ELNS1_3gpuE3ELNS1_3repE0EEENS1_30default_config_static_selectorELNS0_4arch9wavefront6targetE0EEEvSY_ ; -- Begin function _ZN7rocprim17ROCPRIM_400000_NS6detail17trampoline_kernelINS0_13select_configILj256ELj13ELNS0_17block_load_methodE3ELS4_3ELS4_3ELNS0_20block_scan_algorithmE0ELj4294967295EEENS1_25partition_config_selectorILNS1_17partition_subalgoE3EjNS0_10empty_typeEbEEZZNS1_14partition_implILS8_3ELb0ES6_jNS0_17counting_iteratorIjlEEPS9_SE_NS0_5tupleIJPjSE_EEENSF_IJSE_SE_EEES9_SG_JZNS1_25segmented_radix_sort_implINS0_14default_configELb1EPKbPbPKlPlN2at6native12_GLOBAL__N_18offset_tEEE10hipError_tPvRmT1_PNSt15iterator_traitsISY_E10value_typeET2_T3_PNSZ_IS14_E10value_typeET4_jRbjT5_S1A_jjP12ihipStream_tbEUljE_EEESV_SW_SX_S14_S18_S1A_T6_T7_T9_mT8_S1C_bDpT10_ENKUlT_T0_E_clISt17integral_constantIbLb0EES1O_IbLb1EEEEDaS1K_S1L_EUlS1K_E_NS1_11comp_targetILNS1_3genE9ELNS1_11target_archE1100ELNS1_3gpuE3ELNS1_3repE0EEENS1_30default_config_static_selectorELNS0_4arch9wavefront6targetE0EEEvSY_
	.p2align	8
	.type	_ZN7rocprim17ROCPRIM_400000_NS6detail17trampoline_kernelINS0_13select_configILj256ELj13ELNS0_17block_load_methodE3ELS4_3ELS4_3ELNS0_20block_scan_algorithmE0ELj4294967295EEENS1_25partition_config_selectorILNS1_17partition_subalgoE3EjNS0_10empty_typeEbEEZZNS1_14partition_implILS8_3ELb0ES6_jNS0_17counting_iteratorIjlEEPS9_SE_NS0_5tupleIJPjSE_EEENSF_IJSE_SE_EEES9_SG_JZNS1_25segmented_radix_sort_implINS0_14default_configELb1EPKbPbPKlPlN2at6native12_GLOBAL__N_18offset_tEEE10hipError_tPvRmT1_PNSt15iterator_traitsISY_E10value_typeET2_T3_PNSZ_IS14_E10value_typeET4_jRbjT5_S1A_jjP12ihipStream_tbEUljE_EEESV_SW_SX_S14_S18_S1A_T6_T7_T9_mT8_S1C_bDpT10_ENKUlT_T0_E_clISt17integral_constantIbLb0EES1O_IbLb1EEEEDaS1K_S1L_EUlS1K_E_NS1_11comp_targetILNS1_3genE9ELNS1_11target_archE1100ELNS1_3gpuE3ELNS1_3repE0EEENS1_30default_config_static_selectorELNS0_4arch9wavefront6targetE0EEEvSY_,@function
_ZN7rocprim17ROCPRIM_400000_NS6detail17trampoline_kernelINS0_13select_configILj256ELj13ELNS0_17block_load_methodE3ELS4_3ELS4_3ELNS0_20block_scan_algorithmE0ELj4294967295EEENS1_25partition_config_selectorILNS1_17partition_subalgoE3EjNS0_10empty_typeEbEEZZNS1_14partition_implILS8_3ELb0ES6_jNS0_17counting_iteratorIjlEEPS9_SE_NS0_5tupleIJPjSE_EEENSF_IJSE_SE_EEES9_SG_JZNS1_25segmented_radix_sort_implINS0_14default_configELb1EPKbPbPKlPlN2at6native12_GLOBAL__N_18offset_tEEE10hipError_tPvRmT1_PNSt15iterator_traitsISY_E10value_typeET2_T3_PNSZ_IS14_E10value_typeET4_jRbjT5_S1A_jjP12ihipStream_tbEUljE_EEESV_SW_SX_S14_S18_S1A_T6_T7_T9_mT8_S1C_bDpT10_ENKUlT_T0_E_clISt17integral_constantIbLb0EES1O_IbLb1EEEEDaS1K_S1L_EUlS1K_E_NS1_11comp_targetILNS1_3genE9ELNS1_11target_archE1100ELNS1_3gpuE3ELNS1_3repE0EEENS1_30default_config_static_selectorELNS0_4arch9wavefront6targetE0EEEvSY_: ; @_ZN7rocprim17ROCPRIM_400000_NS6detail17trampoline_kernelINS0_13select_configILj256ELj13ELNS0_17block_load_methodE3ELS4_3ELS4_3ELNS0_20block_scan_algorithmE0ELj4294967295EEENS1_25partition_config_selectorILNS1_17partition_subalgoE3EjNS0_10empty_typeEbEEZZNS1_14partition_implILS8_3ELb0ES6_jNS0_17counting_iteratorIjlEEPS9_SE_NS0_5tupleIJPjSE_EEENSF_IJSE_SE_EEES9_SG_JZNS1_25segmented_radix_sort_implINS0_14default_configELb1EPKbPbPKlPlN2at6native12_GLOBAL__N_18offset_tEEE10hipError_tPvRmT1_PNSt15iterator_traitsISY_E10value_typeET2_T3_PNSZ_IS14_E10value_typeET4_jRbjT5_S1A_jjP12ihipStream_tbEUljE_EEESV_SW_SX_S14_S18_S1A_T6_T7_T9_mT8_S1C_bDpT10_ENKUlT_T0_E_clISt17integral_constantIbLb0EES1O_IbLb1EEEEDaS1K_S1L_EUlS1K_E_NS1_11comp_targetILNS1_3genE9ELNS1_11target_archE1100ELNS1_3gpuE3ELNS1_3repE0EEENS1_30default_config_static_selectorELNS0_4arch9wavefront6targetE0EEEvSY_
; %bb.0:
	s_clause 0x6
	s_load_b64 s[16:17], s[0:1], 0x10
	s_load_b64 s[12:13], s[0:1], 0x28
	;; [unrolled: 1-line block ×3, first 2 shown]
	s_load_b128 s[8:11], s[0:1], 0x48
	s_load_b32 s3, s[0:1], 0x90
	s_load_b64 s[18:19], s[0:1], 0x68
	s_load_b128 s[4:7], s[0:1], 0x80
	v_cmp_eq_u32_e64 s2, 0, v0
	s_delay_alu instid0(VALU_DEP_1)
	s_and_saveexec_b32 s20, s2
	s_cbranch_execz .LBB1530_4
; %bb.1:
	s_mov_b32 s22, exec_lo
	s_mov_b32 s21, exec_lo
	v_mbcnt_lo_u32_b32 v1, s22, 0
                                        ; implicit-def: $vgpr2
	s_delay_alu instid0(VALU_DEP_1)
	v_cmpx_eq_u32_e32 0, v1
	s_cbranch_execz .LBB1530_3
; %bb.2:
	s_load_b64 s[24:25], s[0:1], 0x78
	s_bcnt1_i32_b32 s22, s22
	s_delay_alu instid0(SALU_CYCLE_1)
	v_dual_mov_b32 v2, 0 :: v_dual_mov_b32 v3, s22
	s_waitcnt lgkmcnt(0)
	global_atomic_add_u32 v2, v2, v3, s[24:25] glc
.LBB1530_3:
	s_or_b32 exec_lo, exec_lo, s21
	s_waitcnt vmcnt(0)
	v_readfirstlane_b32 s21, v2
	s_delay_alu instid0(VALU_DEP_1)
	v_dual_mov_b32 v2, 0 :: v_dual_add_nc_u32 v1, s21, v1
	ds_store_b32 v2, v1
.LBB1530_4:
	s_or_b32 exec_lo, exec_lo, s20
	v_mov_b32_e32 v1, 0
	s_clause 0x1
	s_load_b32 s20, s[0:1], 0x8
	s_load_b32 s0, s[0:1], 0x70
	s_waitcnt lgkmcnt(0)
	s_barrier
	buffer_gl0_inv
	ds_load_b32 v2, v1
	s_waitcnt lgkmcnt(0)
	s_barrier
	buffer_gl0_inv
	global_load_b64 v[18:19], v1, s[10:11]
	v_lshlrev_b32_e32 v33, 2, v0
	s_add_i32 s21, s20, s16
	s_mul_i32 s1, s0, 0xd00
	s_add_i32 s0, s0, -1
	s_add_u32 s10, s16, s1
	s_addc_u32 s11, s17, 0
	v_mul_lo_u32 v32, 0xd00, v2
	v_readfirstlane_b32 s20, v2
	v_cmp_lt_u64_e64 s11, s[10:11], s[14:15]
	v_cmp_ne_u32_e32 vcc_lo, s0, v2
	s_delay_alu instid0(VALU_DEP_3) | instskip(SKIP_1) | instid1(VALU_DEP_4)
	s_cmp_eq_u32 s20, s0
	s_cselect_b32 s10, -1, 0
	v_add3_u32 v1, v32, s21, v0
	s_delay_alu instid0(VALU_DEP_3) | instskip(SKIP_2) | instid1(VALU_DEP_1)
	s_or_b32 s0, s11, vcc_lo
	s_mov_b32 s11, -1
	s_and_b32 vcc_lo, exec_lo, s0
	v_add_nc_u32_e32 v2, 0x100, v1
	v_add_nc_u32_e32 v3, 0x200, v1
	v_add_nc_u32_e32 v4, 0x300, v1
	v_add_nc_u32_e32 v5, 0x400, v1
	v_add_nc_u32_e32 v6, 0x500, v1
	v_add_nc_u32_e32 v7, 0x600, v1
	v_add_nc_u32_e32 v8, 0x700, v1
	v_add_nc_u32_e32 v9, 0x800, v1
	v_add_nc_u32_e32 v10, 0x900, v1
	v_add_nc_u32_e32 v11, 0xa00, v1
	v_add_nc_u32_e32 v12, 0xb00, v1
	v_add_nc_u32_e32 v13, 0xc00, v1
	s_cbranch_vccz .LBB1530_6
; %bb.5:
	ds_store_2addr_stride64_b32 v33, v1, v2 offset1:4
	ds_store_2addr_stride64_b32 v33, v3, v4 offset0:8 offset1:12
	ds_store_2addr_stride64_b32 v33, v5, v6 offset0:16 offset1:20
	;; [unrolled: 1-line block ×5, first 2 shown]
	ds_store_b32 v33, v13 offset:12288
	s_waitcnt vmcnt(0) lgkmcnt(0)
	s_mov_b32 s11, 0
	s_barrier
.LBB1530_6:
	s_and_not1_b32 vcc_lo, exec_lo, s11
	s_add_i32 s1, s1, s16
	s_cbranch_vccnz .LBB1530_8
; %bb.7:
	ds_store_2addr_stride64_b32 v33, v1, v2 offset1:4
	ds_store_2addr_stride64_b32 v33, v3, v4 offset0:8 offset1:12
	ds_store_2addr_stride64_b32 v33, v5, v6 offset0:16 offset1:20
	;; [unrolled: 1-line block ×5, first 2 shown]
	ds_store_b32 v33, v13 offset:12288
	s_waitcnt vmcnt(0) lgkmcnt(0)
	s_barrier
.LBB1530_8:
	v_mul_u32_u24_e32 v36, 13, v0
	s_waitcnt vmcnt(0)
	buffer_gl0_inv
	v_cndmask_b32_e64 v34, 0, 1, s0
	s_sub_i32 s11, s14, s1
	s_and_not1_b32 vcc_lo, exec_lo, s0
	v_lshlrev_b32_e32 v1, 2, v36
	ds_load_2addr_b32 v[30:31], v1 offset1:1
	ds_load_2addr_b32 v[28:29], v1 offset0:2 offset1:3
	ds_load_2addr_b32 v[26:27], v1 offset0:4 offset1:5
	;; [unrolled: 1-line block ×5, first 2 shown]
	ds_load_b32 v35, v1 offset:48
	s_waitcnt lgkmcnt(0)
	s_barrier
	buffer_gl0_inv
	s_cbranch_vccnz .LBB1530_10
; %bb.9:
	v_add_nc_u32_e32 v1, s5, v30
	v_add_nc_u32_e32 v2, s7, v30
	;; [unrolled: 1-line block ×5, first 2 shown]
	v_mul_lo_u32 v1, v1, s4
	v_mul_lo_u32 v2, v2, s6
	;; [unrolled: 1-line block ×4, first 2 shown]
	v_add_nc_u32_e32 v6, s7, v28
	v_add_nc_u32_e32 v7, s5, v29
	;; [unrolled: 1-line block ×3, first 2 shown]
	v_mul_lo_u32 v5, v5, s4
	v_add_nc_u32_e32 v9, s5, v24
	v_sub_nc_u32_e32 v1, v1, v2
	v_mul_lo_u32 v2, v6, s6
	v_sub_nc_u32_e32 v3, v3, v4
	v_mul_lo_u32 v4, v7, s4
	v_mul_lo_u32 v6, v8, s6
	v_add_nc_u32_e32 v7, s5, v26
	v_cmp_lt_u32_e32 vcc_lo, s3, v1
	v_add_nc_u32_e32 v8, s5, v27
	v_add_nc_u32_e32 v10, s7, v24
	v_sub_nc_u32_e32 v2, v5, v2
	v_add_nc_u32_e32 v5, s7, v26
	v_cndmask_b32_e64 v1, 0, 1, vcc_lo
	v_sub_nc_u32_e32 v4, v4, v6
	v_mul_lo_u32 v6, v7, s4
	v_add_nc_u32_e32 v7, s7, v27
	v_cmp_lt_u32_e32 vcc_lo, s3, v3
	v_mul_lo_u32 v5, v5, s6
	v_mul_lo_u32 v8, v8, s4
	;; [unrolled: 1-line block ×4, first 2 shown]
	v_cndmask_b32_e64 v3, 0, 1, vcc_lo
	v_cmp_lt_u32_e32 vcc_lo, s3, v2
	v_mul_lo_u32 v10, v10, s6
	v_add_nc_u32_e32 v11, s5, v22
	v_sub_nc_u32_e32 v5, v6, v5
	v_add_nc_u32_e32 v12, s7, v22
	v_cndmask_b32_e64 v2, 0, 1, vcc_lo
	v_sub_nc_u32_e32 v6, v8, v7
	v_add_nc_u32_e32 v7, s5, v25
	v_add_nc_u32_e32 v8, s7, v25
	v_cmp_lt_u32_e32 vcc_lo, s3, v4
	v_sub_nc_u32_e32 v9, v9, v10
	v_mul_lo_u32 v10, v11, s4
	v_mul_lo_u32 v7, v7, s4
	;; [unrolled: 1-line block ×4, first 2 shown]
	v_cndmask_b32_e64 v4, 0, 1, vcc_lo
	v_cmp_lt_u32_e32 vcc_lo, s3, v5
	v_add_nc_u32_e32 v12, s5, v23
	v_add_nc_u32_e32 v13, s7, v20
	;; [unrolled: 1-line block ×4, first 2 shown]
	v_cndmask_b32_e64 v5, 0, 1, vcc_lo
	v_cmp_lt_u32_e32 vcc_lo, s3, v6
	v_sub_nc_u32_e32 v7, v7, v8
	v_sub_nc_u32_e32 v8, v10, v11
	v_add_nc_u32_e32 v11, s7, v23
	v_mul_lo_u32 v10, v12, s4
	v_cndmask_b32_e64 v6, 0, 1, vcc_lo
	v_cmp_lt_u32_e32 vcc_lo, s3, v9
	v_add_nc_u32_e32 v12, s5, v20
	v_mul_lo_u32 v11, v11, s6
	v_mul_lo_u32 v13, v13, s6
	;; [unrolled: 1-line block ×3, first 2 shown]
	v_cndmask_b32_e64 v9, 0, 1, vcc_lo
	v_cmp_lt_u32_e32 vcc_lo, s3, v7
	v_mul_lo_u32 v12, v12, s4
	v_mul_lo_u32 v15, v15, s6
	v_lshlrev_b16 v3, 8, v3
	v_sub_nc_u32_e32 v10, v10, v11
	v_cndmask_b32_e64 v7, 0, 1, vcc_lo
	v_cmp_lt_u32_e32 vcc_lo, s3, v8
	v_add_nc_u32_e32 v11, s5, v35
	v_or_b32_e32 v1, v1, v3
	v_sub_nc_u32_e32 v12, v12, v13
	v_sub_nc_u32_e32 v13, v14, v15
	v_cndmask_b32_e64 v8, 0, 1, vcc_lo
	v_cmp_lt_u32_e32 vcc_lo, s3, v10
	v_add_nc_u32_e32 v16, s7, v35
	v_mul_lo_u32 v11, v11, s4
	v_lshlrev_b16 v4, 8, v4
	v_lshlrev_b16 v6, 8, v6
	v_cndmask_b32_e64 v10, 0, 1, vcc_lo
	v_cmp_lt_u32_e32 vcc_lo, s3, v12
	v_mul_lo_u32 v14, v16, s6
	v_lshlrev_b16 v7, 8, v7
	v_or_b32_e32 v2, v2, v4
	v_lshlrev_b16 v10, 8, v10
	v_cndmask_b32_e64 v3, 0, 1, vcc_lo
	v_cmp_lt_u32_e32 vcc_lo, s3, v13
	v_or_b32_e32 v4, v5, v6
	v_or_b32_e32 v5, v9, v7
	v_sub_nc_u32_e32 v11, v11, v14
	v_or_b32_e32 v6, v8, v10
	v_cndmask_b32_e64 v12, 0, 1, vcc_lo
	v_and_b32_e32 v1, 0xffff, v1
	v_lshlrev_b32_e32 v2, 16, v2
	v_and_b32_e32 v4, 0xffff, v4
	v_lshlrev_b32_e32 v5, 16, v5
	v_lshlrev_b16 v12, 8, v12
	v_and_b32_e32 v6, 0xffff, v6
	v_cmp_lt_u32_e32 vcc_lo, s3, v11
	v_or_b32_e32 v42, v1, v2
	v_or_b32_e32 v40, v4, v5
	;; [unrolled: 1-line block ×3, first 2 shown]
	v_cndmask_b32_e64 v37, 0, 1, vcc_lo
	s_delay_alu instid0(VALU_DEP_2) | instskip(NEXT) | instid1(VALU_DEP_1)
	v_lshlrev_b32_e32 v3, 16, v3
	v_or_b32_e32 v38, v6, v3
	s_addk_i32 s11, 0xd00
	s_cbranch_execz .LBB1530_11
	s_branch .LBB1530_38
.LBB1530_10:
                                        ; implicit-def: $vgpr37
                                        ; implicit-def: $vgpr38
                                        ; implicit-def: $vgpr40
                                        ; implicit-def: $vgpr42
	s_addk_i32 s11, 0xd00
.LBB1530_11:
	v_dual_mov_b32 v2, 0 :: v_dual_mov_b32 v1, 0
	s_mov_b32 s0, exec_lo
	v_cmpx_gt_u32_e64 s11, v36
; %bb.12:
	v_add_nc_u32_e32 v1, s5, v30
	v_add_nc_u32_e32 v3, s7, v30
	s_delay_alu instid0(VALU_DEP_2) | instskip(NEXT) | instid1(VALU_DEP_2)
	v_mul_lo_u32 v1, v1, s4
	v_mul_lo_u32 v3, v3, s6
	s_delay_alu instid0(VALU_DEP_1) | instskip(NEXT) | instid1(VALU_DEP_1)
	v_sub_nc_u32_e32 v1, v1, v3
	v_cmp_lt_u32_e32 vcc_lo, s3, v1
	v_cndmask_b32_e64 v1, 0, 1, vcc_lo
; %bb.13:
	s_or_b32 exec_lo, exec_lo, s0
	v_add_nc_u32_e32 v3, 1, v36
	s_mov_b32 s0, exec_lo
	s_delay_alu instid0(VALU_DEP_1)
	v_cmpx_gt_u32_e64 s11, v3
; %bb.14:
	v_add_nc_u32_e32 v2, s5, v31
	v_add_nc_u32_e32 v3, s7, v31
	s_delay_alu instid0(VALU_DEP_2) | instskip(NEXT) | instid1(VALU_DEP_2)
	v_mul_lo_u32 v2, v2, s4
	v_mul_lo_u32 v3, v3, s6
	s_delay_alu instid0(VALU_DEP_1) | instskip(NEXT) | instid1(VALU_DEP_1)
	v_sub_nc_u32_e32 v2, v2, v3
	v_cmp_lt_u32_e32 vcc_lo, s3, v2
	v_cndmask_b32_e64 v2, 0, 1, vcc_lo
; %bb.15:
	s_or_b32 exec_lo, exec_lo, s0
	v_dual_mov_b32 v4, 0 :: v_dual_add_nc_u32 v3, 2, v36
	s_delay_alu instid0(VALU_DEP_1)
	v_cmp_gt_u32_e32 vcc_lo, s11, v3
	v_mov_b32_e32 v3, 0
	s_and_saveexec_b32 s0, vcc_lo
; %bb.16:
	v_add_nc_u32_e32 v3, s5, v28
	v_add_nc_u32_e32 v5, s7, v28
	s_delay_alu instid0(VALU_DEP_2) | instskip(NEXT) | instid1(VALU_DEP_2)
	v_mul_lo_u32 v3, v3, s4
	v_mul_lo_u32 v5, v5, s6
	s_delay_alu instid0(VALU_DEP_1) | instskip(NEXT) | instid1(VALU_DEP_1)
	v_sub_nc_u32_e32 v3, v3, v5
	v_cmp_lt_u32_e32 vcc_lo, s3, v3
	v_cndmask_b32_e64 v3, 0, 1, vcc_lo
; %bb.17:
	s_or_b32 exec_lo, exec_lo, s0
	v_add_nc_u32_e32 v5, 3, v36
	s_mov_b32 s0, exec_lo
	s_delay_alu instid0(VALU_DEP_1)
	v_cmpx_gt_u32_e64 s11, v5
; %bb.18:
	v_add_nc_u32_e32 v4, s5, v29
	v_add_nc_u32_e32 v5, s7, v29
	s_delay_alu instid0(VALU_DEP_2) | instskip(NEXT) | instid1(VALU_DEP_2)
	v_mul_lo_u32 v4, v4, s4
	v_mul_lo_u32 v5, v5, s6
	s_delay_alu instid0(VALU_DEP_1) | instskip(NEXT) | instid1(VALU_DEP_1)
	v_sub_nc_u32_e32 v4, v4, v5
	v_cmp_lt_u32_e32 vcc_lo, s3, v4
	v_cndmask_b32_e64 v4, 0, 1, vcc_lo
; %bb.19:
	s_or_b32 exec_lo, exec_lo, s0
	v_dual_mov_b32 v6, 0 :: v_dual_add_nc_u32 v5, 4, v36
	s_delay_alu instid0(VALU_DEP_1)
	v_cmp_gt_u32_e32 vcc_lo, s11, v5
	v_mov_b32_e32 v5, 0
	s_and_saveexec_b32 s0, vcc_lo
	;; [unrolled: 33-line block ×5, first 2 shown]
; %bb.32:
	v_add_nc_u32_e32 v11, s5, v20
	v_add_nc_u32_e32 v13, s7, v20
	s_delay_alu instid0(VALU_DEP_2) | instskip(NEXT) | instid1(VALU_DEP_2)
	v_mul_lo_u32 v11, v11, s4
	v_mul_lo_u32 v13, v13, s6
	s_delay_alu instid0(VALU_DEP_1) | instskip(NEXT) | instid1(VALU_DEP_1)
	v_sub_nc_u32_e32 v11, v11, v13
	v_cmp_lt_u32_e32 vcc_lo, s3, v11
	v_cndmask_b32_e64 v11, 0, 1, vcc_lo
; %bb.33:
	s_or_b32 exec_lo, exec_lo, s0
	v_add_nc_u32_e32 v13, 11, v36
	s_mov_b32 s0, exec_lo
	s_delay_alu instid0(VALU_DEP_1)
	v_cmpx_gt_u32_e64 s11, v13
; %bb.34:
	v_add_nc_u32_e32 v12, s5, v21
	v_add_nc_u32_e32 v13, s7, v21
	s_delay_alu instid0(VALU_DEP_2) | instskip(NEXT) | instid1(VALU_DEP_2)
	v_mul_lo_u32 v12, v12, s4
	v_mul_lo_u32 v13, v13, s6
	s_delay_alu instid0(VALU_DEP_1) | instskip(NEXT) | instid1(VALU_DEP_1)
	v_sub_nc_u32_e32 v12, v12, v13
	v_cmp_lt_u32_e32 vcc_lo, s3, v12
	v_cndmask_b32_e64 v12, 0, 1, vcc_lo
; %bb.35:
	s_or_b32 exec_lo, exec_lo, s0
	v_add_nc_u32_e32 v13, 12, v36
	v_mov_b32_e32 v37, 0
	s_mov_b32 s0, exec_lo
	s_delay_alu instid0(VALU_DEP_2)
	v_cmpx_gt_u32_e64 s11, v13
; %bb.36:
	v_add_nc_u32_e32 v13, s5, v35
	v_add_nc_u32_e32 v14, s7, v35
	s_delay_alu instid0(VALU_DEP_2) | instskip(NEXT) | instid1(VALU_DEP_2)
	v_mul_lo_u32 v13, v13, s4
	v_mul_lo_u32 v14, v14, s6
	s_delay_alu instid0(VALU_DEP_1) | instskip(NEXT) | instid1(VALU_DEP_1)
	v_sub_nc_u32_e32 v13, v13, v14
	v_cmp_lt_u32_e32 vcc_lo, s3, v13
	v_cndmask_b32_e64 v37, 0, 1, vcc_lo
; %bb.37:
	s_or_b32 exec_lo, exec_lo, s0
	v_lshlrev_b16 v2, 8, v2
	v_lshlrev_b16 v4, 8, v4
	;; [unrolled: 1-line block ×5, first 2 shown]
	v_or_b32_e32 v1, v1, v2
	v_lshlrev_b16 v2, 8, v12
	v_or_b32_e32 v3, v3, v4
	v_or_b32_e32 v4, v5, v6
	;; [unrolled: 1-line block ×5, first 2 shown]
	v_and_b32_e32 v1, 0xffff, v1
	v_lshlrev_b32_e32 v3, 16, v3
	v_and_b32_e32 v4, 0xffff, v4
	v_lshlrev_b32_e32 v5, 16, v5
	;; [unrolled: 2-line block ×3, first 2 shown]
	v_or_b32_e32 v42, v1, v3
	s_delay_alu instid0(VALU_DEP_4) | instskip(NEXT) | instid1(VALU_DEP_3)
	v_or_b32_e32 v40, v4, v5
	v_or_b32_e32 v38, v6, v2
.LBB1530_38:
	s_delay_alu instid0(VALU_DEP_3)
	v_and_b32_e32 v44, 0xff, v42
	v_bfe_u32 v45, v42, 8, 8
	v_bfe_u32 v46, v42, 16, 8
	v_lshrrev_b32_e32 v43, 24, v42
	v_and_b32_e32 v47, 0xff, v40
	v_bfe_u32 v48, v40, 8, 8
	v_bfe_u32 v49, v40, 16, 8
	v_add3_u32 v1, v45, v44, v46
	v_lshrrev_b32_e32 v41, 24, v40
	v_and_b32_e32 v50, 0xff, v38
	v_bfe_u32 v51, v38, 8, 8
	v_mbcnt_lo_u32_b32 v53, -1, 0
	v_add3_u32 v1, v1, v43, v47
	v_bfe_u32 v52, v38, 16, 8
	v_lshrrev_b32_e32 v39, 24, v38
	v_and_b32_e32 v2, 0xff, v37
	v_and_b32_e32 v3, 15, v53
	v_add3_u32 v1, v1, v48, v49
	v_or_b32_e32 v4, 31, v0
	v_and_b32_e32 v5, 16, v53
	v_lshrrev_b32_e32 v54, 5, v0
	v_cmp_eq_u32_e64 s6, 0, v3
	v_add3_u32 v1, v1, v41, v50
	v_cmp_lt_u32_e64 s5, 1, v3
	v_cmp_lt_u32_e64 s4, 3, v3
	;; [unrolled: 1-line block ×3, first 2 shown]
	v_cmp_eq_u32_e64 s1, 0, v5
	v_add3_u32 v1, v1, v51, v52
	v_cmp_eq_u32_e64 s0, v4, v0
	s_cmp_lg_u32 s20, 0
	s_mov_b32 s7, -1
	s_delay_alu instid0(VALU_DEP_2)
	v_add3_u32 v55, v1, v39, v2
	s_cbranch_scc0 .LBB1530_64
; %bb.39:
	s_delay_alu instid0(VALU_DEP_1) | instskip(NEXT) | instid1(VALU_DEP_1)
	v_mov_b32_dpp v1, v55 row_shr:1 row_mask:0xf bank_mask:0xf
	v_cndmask_b32_e64 v1, v1, 0, s6
	s_delay_alu instid0(VALU_DEP_1) | instskip(NEXT) | instid1(VALU_DEP_1)
	v_add_nc_u32_e32 v1, v1, v55
	v_mov_b32_dpp v2, v1 row_shr:2 row_mask:0xf bank_mask:0xf
	s_delay_alu instid0(VALU_DEP_1) | instskip(NEXT) | instid1(VALU_DEP_1)
	v_cndmask_b32_e64 v2, 0, v2, s5
	v_add_nc_u32_e32 v1, v1, v2
	s_delay_alu instid0(VALU_DEP_1) | instskip(NEXT) | instid1(VALU_DEP_1)
	v_mov_b32_dpp v2, v1 row_shr:4 row_mask:0xf bank_mask:0xf
	v_cndmask_b32_e64 v2, 0, v2, s4
	s_delay_alu instid0(VALU_DEP_1) | instskip(NEXT) | instid1(VALU_DEP_1)
	v_add_nc_u32_e32 v1, v1, v2
	v_mov_b32_dpp v2, v1 row_shr:8 row_mask:0xf bank_mask:0xf
	s_delay_alu instid0(VALU_DEP_1) | instskip(NEXT) | instid1(VALU_DEP_1)
	v_cndmask_b32_e64 v2, 0, v2, s3
	v_add_nc_u32_e32 v1, v1, v2
	ds_swizzle_b32 v2, v1 offset:swizzle(BROADCAST,32,15)
	s_waitcnt lgkmcnt(0)
	v_cndmask_b32_e64 v2, v2, 0, s1
	s_delay_alu instid0(VALU_DEP_1)
	v_add_nc_u32_e32 v1, v1, v2
	s_and_saveexec_b32 s7, s0
	s_cbranch_execz .LBB1530_41
; %bb.40:
	v_lshlrev_b32_e32 v2, 2, v54
	ds_store_b32 v2, v1
.LBB1530_41:
	s_or_b32 exec_lo, exec_lo, s7
	s_delay_alu instid0(SALU_CYCLE_1)
	s_mov_b32 s7, exec_lo
	s_waitcnt lgkmcnt(0)
	s_barrier
	buffer_gl0_inv
	v_cmpx_gt_u32_e32 8, v0
	s_cbranch_execz .LBB1530_43
; %bb.42:
	ds_load_b32 v2, v33
	s_waitcnt lgkmcnt(0)
	v_mov_b32_dpp v4, v2 row_shr:1 row_mask:0xf bank_mask:0xf
	v_and_b32_e32 v3, 7, v53
	s_delay_alu instid0(VALU_DEP_1) | instskip(NEXT) | instid1(VALU_DEP_3)
	v_cmp_ne_u32_e32 vcc_lo, 0, v3
	v_cndmask_b32_e32 v4, 0, v4, vcc_lo
	v_cmp_lt_u32_e32 vcc_lo, 1, v3
	s_delay_alu instid0(VALU_DEP_2) | instskip(NEXT) | instid1(VALU_DEP_1)
	v_add_nc_u32_e32 v2, v4, v2
	v_mov_b32_dpp v4, v2 row_shr:2 row_mask:0xf bank_mask:0xf
	s_delay_alu instid0(VALU_DEP_1) | instskip(SKIP_1) | instid1(VALU_DEP_2)
	v_cndmask_b32_e32 v4, 0, v4, vcc_lo
	v_cmp_lt_u32_e32 vcc_lo, 3, v3
	v_add_nc_u32_e32 v2, v2, v4
	s_delay_alu instid0(VALU_DEP_1) | instskip(NEXT) | instid1(VALU_DEP_1)
	v_mov_b32_dpp v4, v2 row_shr:4 row_mask:0xf bank_mask:0xf
	v_cndmask_b32_e32 v3, 0, v4, vcc_lo
	s_delay_alu instid0(VALU_DEP_1)
	v_add_nc_u32_e32 v2, v2, v3
	ds_store_b32 v33, v2
.LBB1530_43:
	s_or_b32 exec_lo, exec_lo, s7
	v_cmp_gt_u32_e32 vcc_lo, 32, v0
	s_mov_b32 s21, exec_lo
	s_waitcnt lgkmcnt(0)
	s_barrier
	buffer_gl0_inv
                                        ; implicit-def: $vgpr8
	v_cmpx_lt_u32_e32 31, v0
	s_cbranch_execz .LBB1530_45
; %bb.44:
	v_lshl_add_u32 v2, v54, 2, -4
	ds_load_b32 v8, v2
	s_waitcnt lgkmcnt(0)
	v_add_nc_u32_e32 v1, v8, v1
.LBB1530_45:
	s_or_b32 exec_lo, exec_lo, s21
	v_add_nc_u32_e32 v2, -1, v53
	s_delay_alu instid0(VALU_DEP_1) | instskip(NEXT) | instid1(VALU_DEP_1)
	v_cmp_gt_i32_e64 s7, 0, v2
	v_cndmask_b32_e64 v2, v2, v53, s7
	v_cmp_eq_u32_e64 s7, 0, v53
	s_delay_alu instid0(VALU_DEP_2)
	v_lshlrev_b32_e32 v2, 2, v2
	ds_bpermute_b32 v9, v2, v1
	s_and_saveexec_b32 s21, vcc_lo
	s_cbranch_execz .LBB1530_63
; %bb.46:
	v_mov_b32_e32 v4, 0
	ds_load_b32 v1, v4 offset:28
	s_and_saveexec_b32 s22, s7
	s_cbranch_execz .LBB1530_48
; %bb.47:
	s_add_i32 s24, s20, 32
	s_mov_b32 s25, 0
	v_mov_b32_e32 v2, 1
	s_lshl_b64 s[24:25], s[24:25], 3
	s_delay_alu instid0(SALU_CYCLE_1)
	s_add_u32 s24, s18, s24
	s_addc_u32 s25, s19, s25
	s_waitcnt lgkmcnt(0)
	global_store_b64 v4, v[1:2], s[24:25]
.LBB1530_48:
	s_or_b32 exec_lo, exec_lo, s22
	v_xad_u32 v2, v53, -1, s20
	s_mov_b32 s23, 0
	s_mov_b32 s22, exec_lo
	s_delay_alu instid0(VALU_DEP_1) | instskip(NEXT) | instid1(VALU_DEP_1)
	v_add_nc_u32_e32 v3, 32, v2
	v_lshlrev_b64 v[3:4], 3, v[3:4]
	s_delay_alu instid0(VALU_DEP_1) | instskip(NEXT) | instid1(VALU_DEP_2)
	v_add_co_u32 v6, vcc_lo, s18, v3
	v_add_co_ci_u32_e32 v7, vcc_lo, s19, v4, vcc_lo
	global_load_b64 v[4:5], v[6:7], off glc
	s_waitcnt vmcnt(0)
	v_and_b32_e32 v3, 0xff, v5
	s_delay_alu instid0(VALU_DEP_1)
	v_cmpx_eq_u16_e32 0, v3
	s_cbranch_execz .LBB1530_51
.LBB1530_49:                            ; =>This Inner Loop Header: Depth=1
	global_load_b64 v[4:5], v[6:7], off glc
	s_waitcnt vmcnt(0)
	v_and_b32_e32 v3, 0xff, v5
	s_delay_alu instid0(VALU_DEP_1) | instskip(SKIP_1) | instid1(SALU_CYCLE_1)
	v_cmp_ne_u16_e32 vcc_lo, 0, v3
	s_or_b32 s23, vcc_lo, s23
	s_and_not1_b32 exec_lo, exec_lo, s23
	s_cbranch_execnz .LBB1530_49
; %bb.50:
	s_or_b32 exec_lo, exec_lo, s23
.LBB1530_51:
	s_delay_alu instid0(SALU_CYCLE_1)
	s_or_b32 exec_lo, exec_lo, s22
	v_cmp_ne_u32_e32 vcc_lo, 31, v53
	v_lshlrev_b32_e64 v11, v53, -1
	v_add_nc_u32_e32 v13, 2, v53
	v_add_nc_u32_e32 v15, 4, v53
	;; [unrolled: 1-line block ×3, first 2 shown]
	v_add_co_ci_u32_e32 v3, vcc_lo, 0, v53, vcc_lo
	v_add_nc_u32_e32 v58, 16, v53
	s_delay_alu instid0(VALU_DEP_2) | instskip(SKIP_2) | instid1(VALU_DEP_1)
	v_lshlrev_b32_e32 v10, 2, v3
	ds_bpermute_b32 v6, v10, v4
	v_and_b32_e32 v3, 0xff, v5
	v_cmp_eq_u16_e32 vcc_lo, 2, v3
	v_and_or_b32 v3, vcc_lo, v11, 0x80000000
	v_cmp_gt_u32_e32 vcc_lo, 30, v53
	s_delay_alu instid0(VALU_DEP_2) | instskip(SKIP_1) | instid1(VALU_DEP_2)
	v_ctz_i32_b32_e32 v3, v3
	v_cndmask_b32_e64 v7, 0, 1, vcc_lo
	v_cmp_lt_u32_e32 vcc_lo, v53, v3
	s_waitcnt lgkmcnt(0)
	s_delay_alu instid0(VALU_DEP_2) | instskip(NEXT) | instid1(VALU_DEP_1)
	v_dual_cndmask_b32 v6, 0, v6 :: v_dual_lshlrev_b32 v7, 1, v7
	v_add_lshl_u32 v12, v7, v53, 2
	v_cmp_gt_u32_e32 vcc_lo, 28, v53
	s_delay_alu instid0(VALU_DEP_3) | instskip(SKIP_4) | instid1(VALU_DEP_1)
	v_add_nc_u32_e32 v4, v6, v4
	v_cndmask_b32_e64 v7, 0, 1, vcc_lo
	v_cmp_le_u32_e32 vcc_lo, v13, v3
	ds_bpermute_b32 v6, v12, v4
	v_lshlrev_b32_e32 v7, 2, v7
	v_add_lshl_u32 v14, v7, v53, 2
	s_waitcnt lgkmcnt(0)
	v_cndmask_b32_e32 v6, 0, v6, vcc_lo
	v_cmp_gt_u32_e32 vcc_lo, 24, v53
	s_delay_alu instid0(VALU_DEP_2) | instskip(SKIP_4) | instid1(VALU_DEP_1)
	v_add_nc_u32_e32 v4, v4, v6
	v_cndmask_b32_e64 v7, 0, 1, vcc_lo
	v_cmp_le_u32_e32 vcc_lo, v15, v3
	ds_bpermute_b32 v6, v14, v4
	v_lshlrev_b32_e32 v7, 3, v7
	v_add_lshl_u32 v17, v7, v53, 2
	s_waitcnt lgkmcnt(0)
	v_cndmask_b32_e32 v6, 0, v6, vcc_lo
	v_cmp_gt_u32_e32 vcc_lo, 16, v53
	s_delay_alu instid0(VALU_DEP_2) | instskip(SKIP_4) | instid1(VALU_DEP_1)
	v_add_nc_u32_e32 v4, v4, v6
	v_cndmask_b32_e64 v7, 0, 1, vcc_lo
	v_cmp_le_u32_e32 vcc_lo, v56, v3
	ds_bpermute_b32 v6, v17, v4
	v_lshlrev_b32_e32 v7, 4, v7
	v_add_lshl_u32 v57, v7, v53, 2
	s_waitcnt lgkmcnt(0)
	v_cndmask_b32_e32 v6, 0, v6, vcc_lo
	v_cmp_le_u32_e32 vcc_lo, v58, v3
	s_delay_alu instid0(VALU_DEP_2) | instskip(SKIP_3) | instid1(VALU_DEP_1)
	v_add_nc_u32_e32 v4, v4, v6
	ds_bpermute_b32 v6, v57, v4
	s_waitcnt lgkmcnt(0)
	v_cndmask_b32_e32 v3, 0, v6, vcc_lo
	v_dual_mov_b32 v3, 0 :: v_dual_add_nc_u32 v4, v4, v3
	s_branch .LBB1530_53
.LBB1530_52:                            ;   in Loop: Header=BB1530_53 Depth=1
	s_or_b32 exec_lo, exec_lo, s22
	ds_bpermute_b32 v7, v10, v4
	v_and_b32_e32 v6, 0xff, v5
	v_subrev_nc_u32_e32 v2, 32, v2
	s_delay_alu instid0(VALU_DEP_2) | instskip(SKIP_1) | instid1(VALU_DEP_1)
	v_cmp_eq_u16_e32 vcc_lo, 2, v6
	v_and_or_b32 v6, vcc_lo, v11, 0x80000000
	v_ctz_i32_b32_e32 v6, v6
	s_delay_alu instid0(VALU_DEP_1) | instskip(SKIP_3) | instid1(VALU_DEP_2)
	v_cmp_lt_u32_e32 vcc_lo, v53, v6
	s_waitcnt lgkmcnt(0)
	v_cndmask_b32_e32 v7, 0, v7, vcc_lo
	v_cmp_le_u32_e32 vcc_lo, v13, v6
	v_add_nc_u32_e32 v4, v7, v4
	ds_bpermute_b32 v7, v12, v4
	s_waitcnt lgkmcnt(0)
	v_cndmask_b32_e32 v7, 0, v7, vcc_lo
	v_cmp_le_u32_e32 vcc_lo, v15, v6
	s_delay_alu instid0(VALU_DEP_2) | instskip(SKIP_4) | instid1(VALU_DEP_2)
	v_add_nc_u32_e32 v4, v4, v7
	ds_bpermute_b32 v7, v14, v4
	s_waitcnt lgkmcnt(0)
	v_cndmask_b32_e32 v7, 0, v7, vcc_lo
	v_cmp_le_u32_e32 vcc_lo, v56, v6
	v_add_nc_u32_e32 v4, v4, v7
	ds_bpermute_b32 v7, v17, v4
	s_waitcnt lgkmcnt(0)
	v_cndmask_b32_e32 v7, 0, v7, vcc_lo
	v_cmp_le_u32_e32 vcc_lo, v58, v6
	s_delay_alu instid0(VALU_DEP_2) | instskip(SKIP_3) | instid1(VALU_DEP_1)
	v_add_nc_u32_e32 v4, v4, v7
	ds_bpermute_b32 v7, v57, v4
	s_waitcnt lgkmcnt(0)
	v_cndmask_b32_e32 v6, 0, v7, vcc_lo
	v_add3_u32 v4, v6, v16, v4
.LBB1530_53:                            ; =>This Loop Header: Depth=1
                                        ;     Child Loop BB1530_56 Depth 2
	s_delay_alu instid0(VALU_DEP_1) | instskip(NEXT) | instid1(VALU_DEP_1)
	v_dual_mov_b32 v16, v4 :: v_dual_and_b32 v5, 0xff, v5
	v_cmp_ne_u16_e32 vcc_lo, 2, v5
	v_cndmask_b32_e64 v5, 0, 1, vcc_lo
	;;#ASMSTART
	;;#ASMEND
	s_delay_alu instid0(VALU_DEP_1)
	v_cmp_ne_u32_e32 vcc_lo, 0, v5
	s_cmp_lg_u32 vcc_lo, exec_lo
	s_cbranch_scc1 .LBB1530_58
; %bb.54:                               ;   in Loop: Header=BB1530_53 Depth=1
	v_lshlrev_b64 v[4:5], 3, v[2:3]
	s_mov_b32 s22, exec_lo
	s_delay_alu instid0(VALU_DEP_1) | instskip(NEXT) | instid1(VALU_DEP_2)
	v_add_co_u32 v6, vcc_lo, s18, v4
	v_add_co_ci_u32_e32 v7, vcc_lo, s19, v5, vcc_lo
	global_load_b64 v[4:5], v[6:7], off glc
	s_waitcnt vmcnt(0)
	v_and_b32_e32 v59, 0xff, v5
	s_delay_alu instid0(VALU_DEP_1)
	v_cmpx_eq_u16_e32 0, v59
	s_cbranch_execz .LBB1530_52
; %bb.55:                               ;   in Loop: Header=BB1530_53 Depth=1
	s_mov_b32 s23, 0
.LBB1530_56:                            ;   Parent Loop BB1530_53 Depth=1
                                        ; =>  This Inner Loop Header: Depth=2
	global_load_b64 v[4:5], v[6:7], off glc
	s_waitcnt vmcnt(0)
	v_and_b32_e32 v59, 0xff, v5
	s_delay_alu instid0(VALU_DEP_1) | instskip(SKIP_1) | instid1(SALU_CYCLE_1)
	v_cmp_ne_u16_e32 vcc_lo, 0, v59
	s_or_b32 s23, vcc_lo, s23
	s_and_not1_b32 exec_lo, exec_lo, s23
	s_cbranch_execnz .LBB1530_56
; %bb.57:                               ;   in Loop: Header=BB1530_53 Depth=1
	s_or_b32 exec_lo, exec_lo, s23
	s_branch .LBB1530_52
.LBB1530_58:                            ;   in Loop: Header=BB1530_53 Depth=1
                                        ; implicit-def: $vgpr4
                                        ; implicit-def: $vgpr5
	s_cbranch_execz .LBB1530_53
; %bb.59:
	s_and_saveexec_b32 s22, s7
	s_cbranch_execz .LBB1530_61
; %bb.60:
	s_add_i32 s24, s20, 32
	s_mov_b32 s25, 0
	v_dual_mov_b32 v3, 2 :: v_dual_add_nc_u32 v2, v16, v1
	s_lshl_b64 s[24:25], s[24:25], 3
	v_mov_b32_e32 v4, 0
	v_add_nc_u32_e64 v5, 0x3400, 0
	s_add_u32 s24, s18, s24
	s_addc_u32 s25, s19, s25
	global_store_b64 v4, v[2:3], s[24:25]
	ds_store_2addr_b32 v5, v1, v16 offset1:2
.LBB1530_61:
	s_or_b32 exec_lo, exec_lo, s22
	s_delay_alu instid0(SALU_CYCLE_1)
	s_and_b32 exec_lo, exec_lo, s2
	s_cbranch_execz .LBB1530_63
; %bb.62:
	v_mov_b32_e32 v1, 0
	ds_store_b32 v1, v16 offset:28
.LBB1530_63:
	s_or_b32 exec_lo, exec_lo, s21
	v_mov_b32_e32 v1, 0
	s_waitcnt lgkmcnt(0)
	s_waitcnt_vscnt null, 0x0
	s_barrier
	buffer_gl0_inv
	v_cndmask_b32_e64 v2, v9, v8, s7
	ds_load_b32 v1, v1 offset:28
	v_add_nc_u32_e64 v11, 0x3400, 0
	s_waitcnt lgkmcnt(0)
	s_barrier
	v_cndmask_b32_e64 v2, v2, 0, s2
	buffer_gl0_inv
	ds_load_2addr_b32 v[16:17], v11 offset1:2
	v_add_nc_u32_e32 v1, v1, v2
	s_delay_alu instid0(VALU_DEP_1) | instskip(NEXT) | instid1(VALU_DEP_1)
	v_add_nc_u32_e32 v2, v1, v44
	v_add_nc_u32_e32 v3, v2, v45
	s_delay_alu instid0(VALU_DEP_1) | instskip(NEXT) | instid1(VALU_DEP_1)
	v_add_nc_u32_e32 v4, v3, v46
	;; [unrolled: 3-line block ×6, first 2 shown]
	v_add_nc_u32_e32 v13, v12, v39
	s_branch .LBB1530_74
.LBB1530_64:
                                        ; implicit-def: $vgpr17
                                        ; implicit-def: $vgpr1_vgpr2_vgpr3_vgpr4_vgpr5_vgpr6_vgpr7_vgpr8_vgpr9_vgpr10_vgpr11_vgpr12_vgpr13_vgpr14_vgpr15_vgpr16
	s_and_b32 vcc_lo, exec_lo, s7
	s_cbranch_vccz .LBB1530_74
; %bb.65:
	s_delay_alu instid0(VALU_DEP_1) | instskip(NEXT) | instid1(VALU_DEP_1)
	v_mov_b32_dpp v1, v55 row_shr:1 row_mask:0xf bank_mask:0xf
	v_cndmask_b32_e64 v1, v1, 0, s6
	s_delay_alu instid0(VALU_DEP_1) | instskip(NEXT) | instid1(VALU_DEP_1)
	v_add_nc_u32_e32 v1, v1, v55
	v_mov_b32_dpp v2, v1 row_shr:2 row_mask:0xf bank_mask:0xf
	s_delay_alu instid0(VALU_DEP_1) | instskip(NEXT) | instid1(VALU_DEP_1)
	v_cndmask_b32_e64 v2, 0, v2, s5
	v_add_nc_u32_e32 v1, v1, v2
	s_delay_alu instid0(VALU_DEP_1) | instskip(NEXT) | instid1(VALU_DEP_1)
	v_mov_b32_dpp v2, v1 row_shr:4 row_mask:0xf bank_mask:0xf
	v_cndmask_b32_e64 v2, 0, v2, s4
	s_delay_alu instid0(VALU_DEP_1) | instskip(NEXT) | instid1(VALU_DEP_1)
	v_add_nc_u32_e32 v1, v1, v2
	v_mov_b32_dpp v2, v1 row_shr:8 row_mask:0xf bank_mask:0xf
	s_delay_alu instid0(VALU_DEP_1) | instskip(NEXT) | instid1(VALU_DEP_1)
	v_cndmask_b32_e64 v2, 0, v2, s3
	v_add_nc_u32_e32 v1, v1, v2
	ds_swizzle_b32 v2, v1 offset:swizzle(BROADCAST,32,15)
	s_waitcnt lgkmcnt(0)
	v_cndmask_b32_e64 v2, v2, 0, s1
	s_delay_alu instid0(VALU_DEP_1)
	v_add_nc_u32_e32 v1, v1, v2
	s_and_saveexec_b32 s1, s0
	s_cbranch_execz .LBB1530_67
; %bb.66:
	v_lshlrev_b32_e32 v2, 2, v54
	ds_store_b32 v2, v1
.LBB1530_67:
	s_or_b32 exec_lo, exec_lo, s1
	s_delay_alu instid0(SALU_CYCLE_1)
	s_mov_b32 s0, exec_lo
	s_waitcnt lgkmcnt(0)
	s_barrier
	buffer_gl0_inv
	v_cmpx_gt_u32_e32 8, v0
	s_cbranch_execz .LBB1530_69
; %bb.68:
	ds_load_b32 v2, v33
	s_waitcnt lgkmcnt(0)
	v_mov_b32_dpp v4, v2 row_shr:1 row_mask:0xf bank_mask:0xf
	v_and_b32_e32 v3, 7, v53
	s_delay_alu instid0(VALU_DEP_1) | instskip(NEXT) | instid1(VALU_DEP_3)
	v_cmp_ne_u32_e32 vcc_lo, 0, v3
	v_cndmask_b32_e32 v4, 0, v4, vcc_lo
	v_cmp_lt_u32_e32 vcc_lo, 1, v3
	s_delay_alu instid0(VALU_DEP_2) | instskip(NEXT) | instid1(VALU_DEP_1)
	v_add_nc_u32_e32 v2, v4, v2
	v_mov_b32_dpp v4, v2 row_shr:2 row_mask:0xf bank_mask:0xf
	s_delay_alu instid0(VALU_DEP_1) | instskip(SKIP_1) | instid1(VALU_DEP_2)
	v_cndmask_b32_e32 v4, 0, v4, vcc_lo
	v_cmp_lt_u32_e32 vcc_lo, 3, v3
	v_add_nc_u32_e32 v2, v2, v4
	s_delay_alu instid0(VALU_DEP_1) | instskip(NEXT) | instid1(VALU_DEP_1)
	v_mov_b32_dpp v4, v2 row_shr:4 row_mask:0xf bank_mask:0xf
	v_cndmask_b32_e32 v3, 0, v4, vcc_lo
	s_delay_alu instid0(VALU_DEP_1)
	v_add_nc_u32_e32 v2, v2, v3
	ds_store_b32 v33, v2
.LBB1530_69:
	s_or_b32 exec_lo, exec_lo, s0
	v_dual_mov_b32 v3, 0 :: v_dual_mov_b32 v2, 0
	s_mov_b32 s0, exec_lo
	s_waitcnt lgkmcnt(0)
	s_barrier
	buffer_gl0_inv
	v_cmpx_lt_u32_e32 31, v0
	s_cbranch_execz .LBB1530_71
; %bb.70:
	v_lshl_add_u32 v2, v54, 2, -4
	ds_load_b32 v2, v2
.LBB1530_71:
	s_or_b32 exec_lo, exec_lo, s0
	v_add_nc_u32_e32 v4, -1, v53
	s_waitcnt lgkmcnt(0)
	v_add_nc_u32_e32 v1, v2, v1
	ds_load_b32 v16, v3 offset:28
	v_cmp_gt_i32_e32 vcc_lo, 0, v4
	v_cndmask_b32_e32 v4, v4, v53, vcc_lo
	s_delay_alu instid0(VALU_DEP_1)
	v_lshlrev_b32_e32 v4, 2, v4
	ds_bpermute_b32 v1, v4, v1
	s_and_saveexec_b32 s0, s2
	s_cbranch_execz .LBB1530_73
; %bb.72:
	v_mov_b32_e32 v3, 0
	v_mov_b32_e32 v17, 2
	s_waitcnt lgkmcnt(1)
	global_store_b64 v3, v[16:17], s[18:19] offset:256
.LBB1530_73:
	s_or_b32 exec_lo, exec_lo, s0
	v_cmp_eq_u32_e32 vcc_lo, 0, v53
	s_waitcnt lgkmcnt(0)
	s_waitcnt_vscnt null, 0x0
	s_barrier
	buffer_gl0_inv
	v_mov_b32_e32 v17, 0
	v_cndmask_b32_e32 v1, v1, v2, vcc_lo
	s_delay_alu instid0(VALU_DEP_1) | instskip(NEXT) | instid1(VALU_DEP_1)
	v_cndmask_b32_e64 v1, v1, 0, s2
	v_add_nc_u32_e32 v2, v1, v44
	s_delay_alu instid0(VALU_DEP_1) | instskip(NEXT) | instid1(VALU_DEP_1)
	v_add_nc_u32_e32 v3, v2, v45
	v_add_nc_u32_e32 v4, v3, v46
	s_delay_alu instid0(VALU_DEP_1) | instskip(NEXT) | instid1(VALU_DEP_1)
	v_add_nc_u32_e32 v5, v4, v43
	;; [unrolled: 3-line block ×5, first 2 shown]
	v_add_nc_u32_e32 v12, v11, v52
	s_delay_alu instid0(VALU_DEP_1)
	v_add_nc_u32_e32 v13, v12, v39
.LBB1530_74:
	s_waitcnt lgkmcnt(0)
	v_sub_nc_u32_e32 v1, v1, v17
	v_sub_nc_u32_e32 v2, v2, v17
	v_add_nc_u32_e32 v36, v16, v36
	v_lshrrev_b32_e32 v47, 8, v42
	v_lshrrev_b32_e32 v46, 16, v42
	v_sub_nc_u32_e32 v4, v4, v17
	v_sub_nc_u32_e32 v3, v3, v17
	;; [unrolled: 1-line block ×3, first 2 shown]
	v_and_b32_e32 v42, 1, v42
	v_and_b32_e32 v47, 1, v47
	;; [unrolled: 1-line block ×3, first 2 shown]
	v_lshrrev_b32_e32 v45, 8, v40
	v_lshrrev_b32_e32 v44, 16, v40
	v_cmp_eq_u32_e32 vcc_lo, 1, v42
	v_and_b32_e32 v42, 1, v46
	v_sub_nc_u32_e32 v46, v36, v2
	v_lshrrev_b32_e32 v15, 8, v38
	v_lshrrev_b32_e32 v14, 16, v38
	v_cndmask_b32_e32 v1, v48, v1, vcc_lo
	v_cmp_eq_u32_e32 vcc_lo, 1, v47
	v_add_nc_u32_e32 v46, 1, v46
	s_delay_alu instid0(VALU_DEP_3)
	v_lshlrev_b32_e32 v1, 2, v1
	ds_store_b32 v1, v30
	v_cndmask_b32_e32 v1, v46, v2, vcc_lo
	v_sub_nc_u32_e32 v48, v36, v3
	v_sub_nc_u32_e32 v49, v36, v4
	v_cmp_eq_u32_e32 vcc_lo, 1, v42
	v_or_b32_e32 v30, 0x300, v0
	v_lshlrev_b32_e32 v1, 2, v1
	v_add_nc_u32_e32 v48, 2, v48
	v_add_nc_u32_e32 v49, 3, v49
	ds_store_b32 v1, v31
	v_cndmask_b32_e32 v2, v48, v3, vcc_lo
	v_cmp_eq_u32_e32 vcc_lo, 1, v43
	v_or_b32_e32 v31, 0x200, v0
	s_delay_alu instid0(VALU_DEP_3) | instskip(SKIP_2) | instid1(VALU_DEP_3)
	v_dual_cndmask_b32 v3, v49, v4 :: v_dual_lshlrev_b32 v2, 2, v2
	v_sub_nc_u32_e32 v4, v5, v17
	v_sub_nc_u32_e32 v5, v6, v17
	v_lshlrev_b32_e32 v3, 2, v3
	s_delay_alu instid0(VALU_DEP_3) | instskip(NEXT) | instid1(VALU_DEP_3)
	v_sub_nc_u32_e32 v1, v36, v4
	v_sub_nc_u32_e32 v6, v36, v5
	ds_store_b32 v2, v28
	ds_store_b32 v3, v29
	v_and_b32_e32 v2, 1, v40
	v_add_nc_u32_e32 v1, 4, v1
	v_add_nc_u32_e32 v3, 5, v6
	v_sub_nc_u32_e32 v6, v7, v17
	v_and_b32_e32 v7, 1, v45
	v_cmp_eq_u32_e32 vcc_lo, 1, v2
	v_sub_nc_u32_e32 v2, v8, v17
	v_and_b32_e32 v8, 1, v41
	v_or_b32_e32 v29, 0x400, v0
	v_or_b32_e32 v28, 0x500, v0
	v_cndmask_b32_e32 v1, v1, v4, vcc_lo
	v_sub_nc_u32_e32 v4, v36, v6
	v_cmp_eq_u32_e32 vcc_lo, 1, v7
	v_and_b32_e32 v7, 1, v44
	s_delay_alu instid0(VALU_DEP_4) | instskip(NEXT) | instid1(VALU_DEP_4)
	v_lshlrev_b32_e32 v1, 2, v1
	v_dual_cndmask_b32 v3, v3, v5 :: v_dual_add_nc_u32 v4, 6, v4
	v_sub_nc_u32_e32 v5, v36, v2
	s_delay_alu instid0(VALU_DEP_4) | instskip(SKIP_2) | instid1(VALU_DEP_4)
	v_cmp_eq_u32_e32 vcc_lo, 1, v7
	v_sub_nc_u32_e32 v7, v13, v17
	v_add_co_u32 v13, s0, s16, v32
	v_dual_cndmask_b32 v4, v4, v6 :: v_dual_add_nc_u32 v5, 7, v5
	v_cmp_eq_u32_e32 vcc_lo, 1, v8
	v_sub_nc_u32_e32 v6, v9, v17
	v_lshlrev_b32_e32 v3, 2, v3
	ds_store_b32 v1, v26
	ds_store_b32 v3, v27
	v_cndmask_b32_e32 v2, v5, v2, vcc_lo
	v_sub_nc_u32_e32 v1, v36, v6
	v_lshlrev_b32_e32 v3, 2, v4
	v_and_b32_e32 v5, 1, v38
	v_sub_nc_u32_e32 v4, v10, v17
	v_lshlrev_b32_e32 v2, 2, v2
	v_add_nc_u32_e32 v1, 8, v1
	ds_store_b32 v3, v24
	ds_store_b32 v2, v25
	v_cmp_eq_u32_e32 vcc_lo, 1, v5
	v_sub_nc_u32_e32 v3, v11, v17
	v_sub_nc_u32_e32 v2, v36, v4
	;; [unrolled: 1-line block ×3, first 2 shown]
	v_dual_cndmask_b32 v1, v1, v6 :: v_dual_and_b32 v10, 1, v39
	v_and_b32_e32 v6, 1, v15
	v_sub_nc_u32_e32 v8, v36, v3
	v_add_nc_u32_e32 v2, 9, v2
	v_sub_nc_u32_e32 v9, v36, v5
	v_and_b32_e32 v11, 1, v37
	v_cmp_eq_u32_e32 vcc_lo, 1, v6
	v_add_nc_u32_e32 v6, 10, v8
	v_and_b32_e32 v8, 1, v14
	v_add_nc_u32_e32 v9, 11, v9
	v_dual_cndmask_b32 v2, v2, v4 :: v_dual_lshlrev_b32 v1, 2, v1
	v_sub_nc_u32_e32 v4, v36, v7
	s_delay_alu instid0(VALU_DEP_4) | instskip(SKIP_1) | instid1(VALU_DEP_4)
	v_cmp_eq_u32_e32 vcc_lo, 1, v8
	v_add_co_ci_u32_e64 v14, null, s17, 0, s0
	v_lshlrev_b32_e32 v2, 2, v2
	s_delay_alu instid0(VALU_DEP_4)
	v_dual_cndmask_b32 v3, v6, v3 :: v_dual_add_nc_u32 v4, 12, v4
	v_cmp_eq_u32_e32 vcc_lo, 1, v10
	v_or_b32_e32 v27, 0x600, v0
	v_or_b32_e32 v26, 0x700, v0
	;; [unrolled: 1-line block ×3, first 2 shown]
	v_lshlrev_b32_e32 v3, 2, v3
	v_cndmask_b32_e32 v5, v9, v5, vcc_lo
	v_cmp_eq_u32_e32 vcc_lo, 1, v11
	v_or_b32_e32 v24, 0x900, v0
	s_delay_alu instid0(VALU_DEP_3) | instskip(SKIP_2) | instid1(VALU_DEP_3)
	v_dual_cndmask_b32 v4, v4, v7 :: v_dual_lshlrev_b32 v5, 2, v5
	v_sub_co_u32 v13, vcc_lo, s14, v13
	v_sub_co_ci_u32_e32 v14, vcc_lo, s15, v14, vcc_lo
	v_lshlrev_b32_e32 v4, 2, v4
	ds_store_b32 v1, v22
	ds_store_b32 v2, v23
	;; [unrolled: 1-line block ×5, first 2 shown]
	s_waitcnt lgkmcnt(0)
	s_barrier
	buffer_gl0_inv
	ds_load_2addr_stride64_b32 v[11:12], v33 offset1:4
	ds_load_2addr_stride64_b32 v[9:10], v33 offset0:8 offset1:12
	ds_load_2addr_stride64_b32 v[7:8], v33 offset0:16 offset1:20
	;; [unrolled: 1-line block ×5, first 2 shown]
	ds_load_b32 v20, v33 offset:12288
	v_add_co_u32 v15, vcc_lo, v18, v17
	v_add_co_ci_u32_e32 v17, vcc_lo, 0, v19, vcc_lo
	v_add_co_u32 v13, vcc_lo, v13, v16
	v_add_co_ci_u32_e32 v14, vcc_lo, 0, v14, vcc_lo
	v_cmp_ne_u32_e32 vcc_lo, 1, v34
	s_delay_alu instid0(VALU_DEP_3)
	v_add_co_u32 v18, s0, v13, v15
	v_or_b32_e32 v35, 0x100, v0
	v_or_b32_e32 v23, 0xa00, v0
	v_or_b32_e32 v22, 0xb00, v0
	v_or_b32_e32 v21, 0xc00, v0
	v_add_co_ci_u32_e64 v19, s0, v14, v17, s0
	s_mov_b32 s0, 0
	s_cbranch_vccnz .LBB1530_131
; %bb.75:
	s_mov_b32 s0, exec_lo
                                        ; implicit-def: $vgpr13_vgpr14
	v_cmpx_ge_u32_e64 v0, v16
	s_xor_b32 s0, exec_lo, s0
; %bb.76:
	v_not_b32_e32 v13, v0
	s_delay_alu instid0(VALU_DEP_1) | instskip(SKIP_1) | instid1(VALU_DEP_2)
	v_ashrrev_i32_e32 v14, 31, v13
	v_add_co_u32 v13, vcc_lo, v18, v13
	v_add_co_ci_u32_e32 v14, vcc_lo, v19, v14, vcc_lo
; %bb.77:
	s_and_not1_saveexec_b32 s0, s0
; %bb.78:
	v_add_co_u32 v13, vcc_lo, v15, v0
	v_add_co_ci_u32_e32 v14, vcc_lo, 0, v17, vcc_lo
; %bb.79:
	s_or_b32 exec_lo, exec_lo, s0
	s_delay_alu instid0(VALU_DEP_1) | instskip(SKIP_1) | instid1(VALU_DEP_1)
	v_lshlrev_b64 v[13:14], 2, v[13:14]
	s_mov_b32 s0, exec_lo
	v_add_co_u32 v13, vcc_lo, s12, v13
	s_delay_alu instid0(VALU_DEP_2)
	v_add_co_ci_u32_e32 v14, vcc_lo, s13, v14, vcc_lo
	s_waitcnt lgkmcnt(6)
	global_store_b32 v[13:14], v11, off
                                        ; implicit-def: $vgpr13_vgpr14
	v_cmpx_ge_u32_e64 v35, v16
	s_xor_b32 s0, exec_lo, s0
; %bb.80:
	v_xor_b32_e32 v13, 0xfffffeff, v0
	s_delay_alu instid0(VALU_DEP_1) | instskip(SKIP_1) | instid1(VALU_DEP_2)
	v_ashrrev_i32_e32 v14, 31, v13
	v_add_co_u32 v13, vcc_lo, v18, v13
	v_add_co_ci_u32_e32 v14, vcc_lo, v19, v14, vcc_lo
; %bb.81:
	s_and_not1_saveexec_b32 s0, s0
; %bb.82:
	v_add_co_u32 v13, vcc_lo, v15, v35
	v_add_co_ci_u32_e32 v14, vcc_lo, 0, v17, vcc_lo
; %bb.83:
	s_or_b32 exec_lo, exec_lo, s0
	s_delay_alu instid0(VALU_DEP_1) | instskip(SKIP_1) | instid1(VALU_DEP_1)
	v_lshlrev_b64 v[13:14], 2, v[13:14]
	s_mov_b32 s0, exec_lo
	v_add_co_u32 v13, vcc_lo, s12, v13
	s_delay_alu instid0(VALU_DEP_2)
	v_add_co_ci_u32_e32 v14, vcc_lo, s13, v14, vcc_lo
	global_store_b32 v[13:14], v12, off
                                        ; implicit-def: $vgpr13_vgpr14
	v_cmpx_ge_u32_e64 v31, v16
	s_xor_b32 s0, exec_lo, s0
; %bb.84:
	v_xor_b32_e32 v13, 0xfffffdff, v0
	s_delay_alu instid0(VALU_DEP_1) | instskip(SKIP_1) | instid1(VALU_DEP_2)
	v_ashrrev_i32_e32 v14, 31, v13
	v_add_co_u32 v13, vcc_lo, v18, v13
	v_add_co_ci_u32_e32 v14, vcc_lo, v19, v14, vcc_lo
; %bb.85:
	s_and_not1_saveexec_b32 s0, s0
; %bb.86:
	v_add_co_u32 v13, vcc_lo, v15, v31
	v_add_co_ci_u32_e32 v14, vcc_lo, 0, v17, vcc_lo
; %bb.87:
	s_or_b32 exec_lo, exec_lo, s0
	s_delay_alu instid0(VALU_DEP_1) | instskip(SKIP_1) | instid1(VALU_DEP_1)
	v_lshlrev_b64 v[13:14], 2, v[13:14]
	s_mov_b32 s0, exec_lo
	v_add_co_u32 v13, vcc_lo, s12, v13
	s_delay_alu instid0(VALU_DEP_2)
	v_add_co_ci_u32_e32 v14, vcc_lo, s13, v14, vcc_lo
	s_waitcnt lgkmcnt(5)
	global_store_b32 v[13:14], v9, off
                                        ; implicit-def: $vgpr13_vgpr14
	v_cmpx_ge_u32_e64 v30, v16
	s_xor_b32 s0, exec_lo, s0
; %bb.88:
	v_xor_b32_e32 v13, 0xfffffcff, v0
	s_delay_alu instid0(VALU_DEP_1) | instskip(SKIP_1) | instid1(VALU_DEP_2)
	v_ashrrev_i32_e32 v14, 31, v13
	v_add_co_u32 v13, vcc_lo, v18, v13
	v_add_co_ci_u32_e32 v14, vcc_lo, v19, v14, vcc_lo
; %bb.89:
	s_and_not1_saveexec_b32 s0, s0
; %bb.90:
	v_add_co_u32 v13, vcc_lo, v15, v30
	v_add_co_ci_u32_e32 v14, vcc_lo, 0, v17, vcc_lo
; %bb.91:
	s_or_b32 exec_lo, exec_lo, s0
	s_delay_alu instid0(VALU_DEP_1) | instskip(SKIP_1) | instid1(VALU_DEP_1)
	v_lshlrev_b64 v[13:14], 2, v[13:14]
	s_mov_b32 s0, exec_lo
	v_add_co_u32 v13, vcc_lo, s12, v13
	s_delay_alu instid0(VALU_DEP_2)
	v_add_co_ci_u32_e32 v14, vcc_lo, s13, v14, vcc_lo
	global_store_b32 v[13:14], v10, off
                                        ; implicit-def: $vgpr13_vgpr14
	v_cmpx_ge_u32_e64 v29, v16
	s_xor_b32 s0, exec_lo, s0
; %bb.92:
	v_xor_b32_e32 v13, 0xfffffbff, v0
	;; [unrolled: 47-line block ×6, first 2 shown]
	s_delay_alu instid0(VALU_DEP_1) | instskip(SKIP_1) | instid1(VALU_DEP_2)
	v_ashrrev_i32_e32 v14, 31, v13
	v_add_co_u32 v13, vcc_lo, v18, v13
	v_add_co_ci_u32_e32 v14, vcc_lo, v19, v14, vcc_lo
; %bb.125:
	s_and_not1_saveexec_b32 s0, s0
; %bb.126:
	v_add_co_u32 v13, vcc_lo, v15, v21
	v_add_co_ci_u32_e32 v14, vcc_lo, 0, v17, vcc_lo
; %bb.127:
	s_or_b32 exec_lo, exec_lo, s0
	s_mov_b32 s0, -1
.LBB1530_128:
	s_delay_alu instid0(SALU_CYCLE_1)
	s_and_saveexec_b32 s1, s0
	s_cbranch_execz .LBB1530_211
.LBB1530_129:
	s_waitcnt lgkmcnt(1)
	v_lshlrev_b64 v[0:1], 2, v[13:14]
	s_delay_alu instid0(VALU_DEP_1) | instskip(NEXT) | instid1(VALU_DEP_2)
	v_add_co_u32 v0, vcc_lo, s12, v0
	v_add_co_ci_u32_e32 v1, vcc_lo, s13, v1, vcc_lo
	s_waitcnt lgkmcnt(0)
	global_store_b32 v[0:1], v20, off
	s_or_b32 exec_lo, exec_lo, s1
	s_and_b32 s0, s2, s10
	s_delay_alu instid0(SALU_CYCLE_1)
	s_and_saveexec_b32 s1, s0
	s_cbranch_execnz .LBB1530_212
.LBB1530_130:
	s_nop 0
	s_sendmsg sendmsg(MSG_DEALLOC_VGPRS)
	s_endpgm
.LBB1530_131:
                                        ; implicit-def: $vgpr13_vgpr14
	s_cbranch_execz .LBB1530_128
; %bb.132:
	s_mov_b32 s1, exec_lo
	v_cmpx_gt_u32_e64 s11, v0
	s_cbranch_execz .LBB1530_168
; %bb.133:
	s_mov_b32 s3, exec_lo
                                        ; implicit-def: $vgpr13_vgpr14
	v_cmpx_ge_u32_e64 v0, v16
	s_xor_b32 s3, exec_lo, s3
; %bb.134:
	v_not_b32_e32 v13, v0
	s_delay_alu instid0(VALU_DEP_1) | instskip(SKIP_1) | instid1(VALU_DEP_2)
	v_ashrrev_i32_e32 v14, 31, v13
	v_add_co_u32 v13, vcc_lo, v18, v13
	v_add_co_ci_u32_e32 v14, vcc_lo, v19, v14, vcc_lo
; %bb.135:
	s_and_not1_saveexec_b32 s3, s3
; %bb.136:
	v_add_co_u32 v13, vcc_lo, v15, v0
	v_add_co_ci_u32_e32 v14, vcc_lo, 0, v17, vcc_lo
; %bb.137:
	s_or_b32 exec_lo, exec_lo, s3
	s_delay_alu instid0(VALU_DEP_1) | instskip(NEXT) | instid1(VALU_DEP_1)
	v_lshlrev_b64 v[13:14], 2, v[13:14]
	v_add_co_u32 v13, vcc_lo, s12, v13
	s_delay_alu instid0(VALU_DEP_2) | instskip(SKIP_3) | instid1(SALU_CYCLE_1)
	v_add_co_ci_u32_e32 v14, vcc_lo, s13, v14, vcc_lo
	s_waitcnt lgkmcnt(6)
	global_store_b32 v[13:14], v11, off
	s_or_b32 exec_lo, exec_lo, s1
	s_mov_b32 s1, exec_lo
	v_cmpx_gt_u32_e64 s11, v35
	s_cbranch_execnz .LBB1530_169
.LBB1530_138:
	s_or_b32 exec_lo, exec_lo, s1
	s_delay_alu instid0(SALU_CYCLE_1)
	s_mov_b32 s1, exec_lo
	v_cmpx_gt_u32_e64 s11, v31
	s_cbranch_execz .LBB1530_174
.LBB1530_139:
	s_mov_b32 s3, exec_lo
                                        ; implicit-def: $vgpr11_vgpr12
	v_cmpx_ge_u32_e64 v31, v16
	s_xor_b32 s3, exec_lo, s3
	s_cbranch_execz .LBB1530_141
; %bb.140:
	s_waitcnt lgkmcnt(6)
	v_xor_b32_e32 v11, 0xfffffdff, v0
                                        ; implicit-def: $vgpr31
	s_delay_alu instid0(VALU_DEP_1) | instskip(SKIP_1) | instid1(VALU_DEP_2)
	v_ashrrev_i32_e32 v12, 31, v11
	v_add_co_u32 v11, vcc_lo, v18, v11
	v_add_co_ci_u32_e32 v12, vcc_lo, v19, v12, vcc_lo
.LBB1530_141:
	s_and_not1_saveexec_b32 s3, s3
	s_cbranch_execz .LBB1530_143
; %bb.142:
	s_waitcnt lgkmcnt(6)
	v_add_co_u32 v11, vcc_lo, v15, v31
	v_add_co_ci_u32_e32 v12, vcc_lo, 0, v17, vcc_lo
.LBB1530_143:
	s_or_b32 exec_lo, exec_lo, s3
	s_waitcnt lgkmcnt(6)
	s_delay_alu instid0(VALU_DEP_1) | instskip(NEXT) | instid1(VALU_DEP_1)
	v_lshlrev_b64 v[11:12], 2, v[11:12]
	v_add_co_u32 v11, vcc_lo, s12, v11
	s_delay_alu instid0(VALU_DEP_2) | instskip(SKIP_3) | instid1(SALU_CYCLE_1)
	v_add_co_ci_u32_e32 v12, vcc_lo, s13, v12, vcc_lo
	s_waitcnt lgkmcnt(5)
	global_store_b32 v[11:12], v9, off
	s_or_b32 exec_lo, exec_lo, s1
	s_mov_b32 s1, exec_lo
	v_cmpx_gt_u32_e64 s11, v30
	s_cbranch_execnz .LBB1530_175
.LBB1530_144:
	s_or_b32 exec_lo, exec_lo, s1
	s_delay_alu instid0(SALU_CYCLE_1)
	s_mov_b32 s1, exec_lo
	v_cmpx_gt_u32_e64 s11, v29
	s_cbranch_execz .LBB1530_180
.LBB1530_145:
	s_mov_b32 s3, exec_lo
                                        ; implicit-def: $vgpr9_vgpr10
	v_cmpx_ge_u32_e64 v29, v16
	s_xor_b32 s3, exec_lo, s3
	s_cbranch_execz .LBB1530_147
; %bb.146:
	s_waitcnt lgkmcnt(5)
	v_xor_b32_e32 v9, 0xfffffbff, v0
                                        ; implicit-def: $vgpr29
	s_delay_alu instid0(VALU_DEP_1) | instskip(SKIP_1) | instid1(VALU_DEP_2)
	v_ashrrev_i32_e32 v10, 31, v9
	v_add_co_u32 v9, vcc_lo, v18, v9
	v_add_co_ci_u32_e32 v10, vcc_lo, v19, v10, vcc_lo
.LBB1530_147:
	s_and_not1_saveexec_b32 s3, s3
	s_cbranch_execz .LBB1530_149
; %bb.148:
	s_waitcnt lgkmcnt(5)
	v_add_co_u32 v9, vcc_lo, v15, v29
	v_add_co_ci_u32_e32 v10, vcc_lo, 0, v17, vcc_lo
.LBB1530_149:
	s_or_b32 exec_lo, exec_lo, s3
	s_waitcnt lgkmcnt(5)
	s_delay_alu instid0(VALU_DEP_1) | instskip(NEXT) | instid1(VALU_DEP_1)
	v_lshlrev_b64 v[9:10], 2, v[9:10]
	v_add_co_u32 v9, vcc_lo, s12, v9
	s_delay_alu instid0(VALU_DEP_2) | instskip(SKIP_3) | instid1(SALU_CYCLE_1)
	v_add_co_ci_u32_e32 v10, vcc_lo, s13, v10, vcc_lo
	s_waitcnt lgkmcnt(4)
	global_store_b32 v[9:10], v7, off
	s_or_b32 exec_lo, exec_lo, s1
	s_mov_b32 s1, exec_lo
	v_cmpx_gt_u32_e64 s11, v28
	s_cbranch_execnz .LBB1530_181
.LBB1530_150:
	s_or_b32 exec_lo, exec_lo, s1
	s_delay_alu instid0(SALU_CYCLE_1)
	s_mov_b32 s1, exec_lo
	v_cmpx_gt_u32_e64 s11, v27
	s_cbranch_execz .LBB1530_186
.LBB1530_151:
	s_mov_b32 s3, exec_lo
                                        ; implicit-def: $vgpr7_vgpr8
	v_cmpx_ge_u32_e64 v27, v16
	s_xor_b32 s3, exec_lo, s3
	s_cbranch_execz .LBB1530_153
; %bb.152:
	s_waitcnt lgkmcnt(4)
	v_xor_b32_e32 v7, 0xfffff9ff, v0
                                        ; implicit-def: $vgpr27
	s_delay_alu instid0(VALU_DEP_1) | instskip(SKIP_1) | instid1(VALU_DEP_2)
	v_ashrrev_i32_e32 v8, 31, v7
	v_add_co_u32 v7, vcc_lo, v18, v7
	v_add_co_ci_u32_e32 v8, vcc_lo, v19, v8, vcc_lo
.LBB1530_153:
	s_and_not1_saveexec_b32 s3, s3
	s_cbranch_execz .LBB1530_155
; %bb.154:
	s_waitcnt lgkmcnt(4)
	v_add_co_u32 v7, vcc_lo, v15, v27
	v_add_co_ci_u32_e32 v8, vcc_lo, 0, v17, vcc_lo
.LBB1530_155:
	s_or_b32 exec_lo, exec_lo, s3
	s_waitcnt lgkmcnt(4)
	s_delay_alu instid0(VALU_DEP_1) | instskip(NEXT) | instid1(VALU_DEP_1)
	v_lshlrev_b64 v[7:8], 2, v[7:8]
	v_add_co_u32 v7, vcc_lo, s12, v7
	s_delay_alu instid0(VALU_DEP_2) | instskip(SKIP_3) | instid1(SALU_CYCLE_1)
	v_add_co_ci_u32_e32 v8, vcc_lo, s13, v8, vcc_lo
	s_waitcnt lgkmcnt(3)
	global_store_b32 v[7:8], v5, off
	s_or_b32 exec_lo, exec_lo, s1
	s_mov_b32 s1, exec_lo
	v_cmpx_gt_u32_e64 s11, v26
	s_cbranch_execnz .LBB1530_187
.LBB1530_156:
	s_or_b32 exec_lo, exec_lo, s1
	s_delay_alu instid0(SALU_CYCLE_1)
	s_mov_b32 s1, exec_lo
	v_cmpx_gt_u32_e64 s11, v25
	s_cbranch_execz .LBB1530_192
.LBB1530_157:
	s_mov_b32 s3, exec_lo
                                        ; implicit-def: $vgpr5_vgpr6
	v_cmpx_ge_u32_e64 v25, v16
	s_xor_b32 s3, exec_lo, s3
	s_cbranch_execz .LBB1530_159
; %bb.158:
	s_waitcnt lgkmcnt(3)
	v_xor_b32_e32 v5, 0xfffff7ff, v0
                                        ; implicit-def: $vgpr25
	s_delay_alu instid0(VALU_DEP_1) | instskip(SKIP_1) | instid1(VALU_DEP_2)
	v_ashrrev_i32_e32 v6, 31, v5
	v_add_co_u32 v5, vcc_lo, v18, v5
	v_add_co_ci_u32_e32 v6, vcc_lo, v19, v6, vcc_lo
.LBB1530_159:
	s_and_not1_saveexec_b32 s3, s3
	s_cbranch_execz .LBB1530_161
; %bb.160:
	s_waitcnt lgkmcnt(3)
	v_add_co_u32 v5, vcc_lo, v15, v25
	v_add_co_ci_u32_e32 v6, vcc_lo, 0, v17, vcc_lo
.LBB1530_161:
	s_or_b32 exec_lo, exec_lo, s3
	s_waitcnt lgkmcnt(3)
	s_delay_alu instid0(VALU_DEP_1) | instskip(NEXT) | instid1(VALU_DEP_1)
	v_lshlrev_b64 v[5:6], 2, v[5:6]
	v_add_co_u32 v5, vcc_lo, s12, v5
	s_delay_alu instid0(VALU_DEP_2) | instskip(SKIP_3) | instid1(SALU_CYCLE_1)
	v_add_co_ci_u32_e32 v6, vcc_lo, s13, v6, vcc_lo
	s_waitcnt lgkmcnt(2)
	global_store_b32 v[5:6], v3, off
	s_or_b32 exec_lo, exec_lo, s1
	s_mov_b32 s1, exec_lo
	v_cmpx_gt_u32_e64 s11, v24
	s_cbranch_execnz .LBB1530_193
.LBB1530_162:
	s_or_b32 exec_lo, exec_lo, s1
	s_delay_alu instid0(SALU_CYCLE_1)
	s_mov_b32 s1, exec_lo
	v_cmpx_gt_u32_e64 s11, v23
	s_cbranch_execz .LBB1530_198
.LBB1530_163:
	s_mov_b32 s3, exec_lo
                                        ; implicit-def: $vgpr3_vgpr4
	v_cmpx_ge_u32_e64 v23, v16
	s_xor_b32 s3, exec_lo, s3
	s_cbranch_execz .LBB1530_165
; %bb.164:
	s_waitcnt lgkmcnt(2)
	v_xor_b32_e32 v3, 0xfffff5ff, v0
                                        ; implicit-def: $vgpr23
	s_delay_alu instid0(VALU_DEP_1) | instskip(SKIP_1) | instid1(VALU_DEP_2)
	v_ashrrev_i32_e32 v4, 31, v3
	v_add_co_u32 v3, vcc_lo, v18, v3
	v_add_co_ci_u32_e32 v4, vcc_lo, v19, v4, vcc_lo
.LBB1530_165:
	s_and_not1_saveexec_b32 s3, s3
	s_cbranch_execz .LBB1530_167
; %bb.166:
	s_waitcnt lgkmcnt(2)
	v_add_co_u32 v3, vcc_lo, v15, v23
	v_add_co_ci_u32_e32 v4, vcc_lo, 0, v17, vcc_lo
.LBB1530_167:
	s_or_b32 exec_lo, exec_lo, s3
	s_waitcnt lgkmcnt(2)
	s_delay_alu instid0(VALU_DEP_1) | instskip(NEXT) | instid1(VALU_DEP_1)
	v_lshlrev_b64 v[3:4], 2, v[3:4]
	v_add_co_u32 v3, vcc_lo, s12, v3
	s_delay_alu instid0(VALU_DEP_2) | instskip(SKIP_3) | instid1(SALU_CYCLE_1)
	v_add_co_ci_u32_e32 v4, vcc_lo, s13, v4, vcc_lo
	s_waitcnt lgkmcnt(1)
	global_store_b32 v[3:4], v1, off
	s_or_b32 exec_lo, exec_lo, s1
	s_mov_b32 s1, exec_lo
	v_cmpx_gt_u32_e64 s11, v22
	s_cbranch_execz .LBB1530_204
	s_branch .LBB1530_199
.LBB1530_168:
	s_or_b32 exec_lo, exec_lo, s1
	s_delay_alu instid0(SALU_CYCLE_1)
	s_mov_b32 s1, exec_lo
	v_cmpx_gt_u32_e64 s11, v35
	s_cbranch_execz .LBB1530_138
.LBB1530_169:
	s_mov_b32 s3, exec_lo
                                        ; implicit-def: $vgpr13_vgpr14
	v_cmpx_ge_u32_e64 v35, v16
	s_xor_b32 s3, exec_lo, s3
	s_cbranch_execz .LBB1530_171
; %bb.170:
	s_waitcnt lgkmcnt(6)
	v_xor_b32_e32 v11, 0xfffffeff, v0
                                        ; implicit-def: $vgpr35
	s_delay_alu instid0(VALU_DEP_1) | instskip(SKIP_1) | instid1(VALU_DEP_2)
	v_ashrrev_i32_e32 v14, 31, v11
	v_add_co_u32 v13, vcc_lo, v18, v11
	v_add_co_ci_u32_e32 v14, vcc_lo, v19, v14, vcc_lo
.LBB1530_171:
	s_and_not1_saveexec_b32 s3, s3
; %bb.172:
	v_add_co_u32 v13, vcc_lo, v15, v35
	v_add_co_ci_u32_e32 v14, vcc_lo, 0, v17, vcc_lo
; %bb.173:
	s_or_b32 exec_lo, exec_lo, s3
	s_delay_alu instid0(VALU_DEP_1) | instskip(NEXT) | instid1(VALU_DEP_1)
	v_lshlrev_b64 v[13:14], 2, v[13:14]
	v_add_co_u32 v13, vcc_lo, s12, v13
	s_delay_alu instid0(VALU_DEP_2) | instskip(SKIP_3) | instid1(SALU_CYCLE_1)
	v_add_co_ci_u32_e32 v14, vcc_lo, s13, v14, vcc_lo
	s_waitcnt lgkmcnt(6)
	global_store_b32 v[13:14], v12, off
	s_or_b32 exec_lo, exec_lo, s1
	s_mov_b32 s1, exec_lo
	v_cmpx_gt_u32_e64 s11, v31
	s_cbranch_execnz .LBB1530_139
.LBB1530_174:
	s_or_b32 exec_lo, exec_lo, s1
	s_delay_alu instid0(SALU_CYCLE_1)
	s_mov_b32 s1, exec_lo
	v_cmpx_gt_u32_e64 s11, v30
	s_cbranch_execz .LBB1530_144
.LBB1530_175:
	s_mov_b32 s3, exec_lo
                                        ; implicit-def: $vgpr11_vgpr12
	v_cmpx_ge_u32_e64 v30, v16
	s_xor_b32 s3, exec_lo, s3
	s_cbranch_execz .LBB1530_177
; %bb.176:
	s_waitcnt lgkmcnt(5)
	v_xor_b32_e32 v9, 0xfffffcff, v0
                                        ; implicit-def: $vgpr30
	s_delay_alu instid0(VALU_DEP_1) | instskip(SKIP_1) | instid1(VALU_DEP_2)
	v_ashrrev_i32_e32 v12, 31, v9
	v_add_co_u32 v11, vcc_lo, v18, v9
	v_add_co_ci_u32_e32 v12, vcc_lo, v19, v12, vcc_lo
.LBB1530_177:
	s_and_not1_saveexec_b32 s3, s3
	s_cbranch_execz .LBB1530_179
; %bb.178:
	s_waitcnt lgkmcnt(6)
	v_add_co_u32 v11, vcc_lo, v15, v30
	v_add_co_ci_u32_e32 v12, vcc_lo, 0, v17, vcc_lo
.LBB1530_179:
	s_or_b32 exec_lo, exec_lo, s3
	s_waitcnt lgkmcnt(6)
	s_delay_alu instid0(VALU_DEP_1) | instskip(NEXT) | instid1(VALU_DEP_1)
	v_lshlrev_b64 v[11:12], 2, v[11:12]
	v_add_co_u32 v11, vcc_lo, s12, v11
	s_delay_alu instid0(VALU_DEP_2) | instskip(SKIP_3) | instid1(SALU_CYCLE_1)
	v_add_co_ci_u32_e32 v12, vcc_lo, s13, v12, vcc_lo
	s_waitcnt lgkmcnt(5)
	global_store_b32 v[11:12], v10, off
	s_or_b32 exec_lo, exec_lo, s1
	s_mov_b32 s1, exec_lo
	v_cmpx_gt_u32_e64 s11, v29
	s_cbranch_execnz .LBB1530_145
.LBB1530_180:
	s_or_b32 exec_lo, exec_lo, s1
	s_delay_alu instid0(SALU_CYCLE_1)
	s_mov_b32 s1, exec_lo
	v_cmpx_gt_u32_e64 s11, v28
	s_cbranch_execz .LBB1530_150
.LBB1530_181:
	s_mov_b32 s3, exec_lo
                                        ; implicit-def: $vgpr9_vgpr10
	v_cmpx_ge_u32_e64 v28, v16
	s_xor_b32 s3, exec_lo, s3
	s_cbranch_execz .LBB1530_183
; %bb.182:
	s_waitcnt lgkmcnt(4)
	v_xor_b32_e32 v7, 0xfffffaff, v0
                                        ; implicit-def: $vgpr28
	s_delay_alu instid0(VALU_DEP_1) | instskip(SKIP_1) | instid1(VALU_DEP_2)
	v_ashrrev_i32_e32 v10, 31, v7
	v_add_co_u32 v9, vcc_lo, v18, v7
	v_add_co_ci_u32_e32 v10, vcc_lo, v19, v10, vcc_lo
.LBB1530_183:
	s_and_not1_saveexec_b32 s3, s3
	s_cbranch_execz .LBB1530_185
; %bb.184:
	s_waitcnt lgkmcnt(5)
	v_add_co_u32 v9, vcc_lo, v15, v28
	v_add_co_ci_u32_e32 v10, vcc_lo, 0, v17, vcc_lo
.LBB1530_185:
	s_or_b32 exec_lo, exec_lo, s3
	s_waitcnt lgkmcnt(5)
	s_delay_alu instid0(VALU_DEP_1) | instskip(NEXT) | instid1(VALU_DEP_1)
	v_lshlrev_b64 v[9:10], 2, v[9:10]
	v_add_co_u32 v9, vcc_lo, s12, v9
	s_delay_alu instid0(VALU_DEP_2) | instskip(SKIP_3) | instid1(SALU_CYCLE_1)
	v_add_co_ci_u32_e32 v10, vcc_lo, s13, v10, vcc_lo
	s_waitcnt lgkmcnt(4)
	global_store_b32 v[9:10], v8, off
	s_or_b32 exec_lo, exec_lo, s1
	s_mov_b32 s1, exec_lo
	v_cmpx_gt_u32_e64 s11, v27
	s_cbranch_execnz .LBB1530_151
.LBB1530_186:
	s_or_b32 exec_lo, exec_lo, s1
	s_delay_alu instid0(SALU_CYCLE_1)
	s_mov_b32 s1, exec_lo
	v_cmpx_gt_u32_e64 s11, v26
	s_cbranch_execz .LBB1530_156
.LBB1530_187:
	s_mov_b32 s3, exec_lo
                                        ; implicit-def: $vgpr7_vgpr8
	v_cmpx_ge_u32_e64 v26, v16
	s_xor_b32 s3, exec_lo, s3
	s_cbranch_execz .LBB1530_189
; %bb.188:
	s_waitcnt lgkmcnt(3)
	v_xor_b32_e32 v5, 0xfffff8ff, v0
                                        ; implicit-def: $vgpr26
	s_delay_alu instid0(VALU_DEP_1) | instskip(SKIP_1) | instid1(VALU_DEP_2)
	v_ashrrev_i32_e32 v8, 31, v5
	v_add_co_u32 v7, vcc_lo, v18, v5
	v_add_co_ci_u32_e32 v8, vcc_lo, v19, v8, vcc_lo
.LBB1530_189:
	s_and_not1_saveexec_b32 s3, s3
	s_cbranch_execz .LBB1530_191
; %bb.190:
	s_waitcnt lgkmcnt(4)
	v_add_co_u32 v7, vcc_lo, v15, v26
	v_add_co_ci_u32_e32 v8, vcc_lo, 0, v17, vcc_lo
.LBB1530_191:
	s_or_b32 exec_lo, exec_lo, s3
	s_waitcnt lgkmcnt(4)
	s_delay_alu instid0(VALU_DEP_1) | instskip(NEXT) | instid1(VALU_DEP_1)
	v_lshlrev_b64 v[7:8], 2, v[7:8]
	v_add_co_u32 v7, vcc_lo, s12, v7
	s_delay_alu instid0(VALU_DEP_2) | instskip(SKIP_3) | instid1(SALU_CYCLE_1)
	v_add_co_ci_u32_e32 v8, vcc_lo, s13, v8, vcc_lo
	s_waitcnt lgkmcnt(3)
	global_store_b32 v[7:8], v6, off
	s_or_b32 exec_lo, exec_lo, s1
	s_mov_b32 s1, exec_lo
	v_cmpx_gt_u32_e64 s11, v25
	s_cbranch_execnz .LBB1530_157
.LBB1530_192:
	s_or_b32 exec_lo, exec_lo, s1
	s_delay_alu instid0(SALU_CYCLE_1)
	s_mov_b32 s1, exec_lo
	v_cmpx_gt_u32_e64 s11, v24
	s_cbranch_execz .LBB1530_162
.LBB1530_193:
	s_mov_b32 s3, exec_lo
                                        ; implicit-def: $vgpr5_vgpr6
	v_cmpx_ge_u32_e64 v24, v16
	s_xor_b32 s3, exec_lo, s3
	s_cbranch_execz .LBB1530_195
; %bb.194:
	s_waitcnt lgkmcnt(2)
	v_xor_b32_e32 v3, 0xfffff6ff, v0
                                        ; implicit-def: $vgpr24
	s_delay_alu instid0(VALU_DEP_1) | instskip(SKIP_1) | instid1(VALU_DEP_2)
	v_ashrrev_i32_e32 v6, 31, v3
	v_add_co_u32 v5, vcc_lo, v18, v3
	v_add_co_ci_u32_e32 v6, vcc_lo, v19, v6, vcc_lo
.LBB1530_195:
	s_and_not1_saveexec_b32 s3, s3
	s_cbranch_execz .LBB1530_197
; %bb.196:
	s_waitcnt lgkmcnt(3)
	v_add_co_u32 v5, vcc_lo, v15, v24
	v_add_co_ci_u32_e32 v6, vcc_lo, 0, v17, vcc_lo
.LBB1530_197:
	s_or_b32 exec_lo, exec_lo, s3
	s_waitcnt lgkmcnt(3)
	s_delay_alu instid0(VALU_DEP_1) | instskip(NEXT) | instid1(VALU_DEP_1)
	v_lshlrev_b64 v[5:6], 2, v[5:6]
	v_add_co_u32 v5, vcc_lo, s12, v5
	s_delay_alu instid0(VALU_DEP_2) | instskip(SKIP_3) | instid1(SALU_CYCLE_1)
	v_add_co_ci_u32_e32 v6, vcc_lo, s13, v6, vcc_lo
	s_waitcnt lgkmcnt(2)
	global_store_b32 v[5:6], v4, off
	s_or_b32 exec_lo, exec_lo, s1
	s_mov_b32 s1, exec_lo
	v_cmpx_gt_u32_e64 s11, v23
	s_cbranch_execnz .LBB1530_163
.LBB1530_198:
	s_or_b32 exec_lo, exec_lo, s1
	s_delay_alu instid0(SALU_CYCLE_1)
	s_mov_b32 s1, exec_lo
	v_cmpx_gt_u32_e64 s11, v22
	s_cbranch_execz .LBB1530_204
.LBB1530_199:
	s_mov_b32 s3, exec_lo
                                        ; implicit-def: $vgpr3_vgpr4
	v_cmpx_ge_u32_e64 v22, v16
	s_xor_b32 s3, exec_lo, s3
	s_cbranch_execz .LBB1530_201
; %bb.200:
	s_waitcnt lgkmcnt(1)
	v_xor_b32_e32 v1, 0xfffff4ff, v0
                                        ; implicit-def: $vgpr22
	s_delay_alu instid0(VALU_DEP_1) | instskip(SKIP_1) | instid1(VALU_DEP_2)
	v_ashrrev_i32_e32 v4, 31, v1
	v_add_co_u32 v3, vcc_lo, v18, v1
	v_add_co_ci_u32_e32 v4, vcc_lo, v19, v4, vcc_lo
.LBB1530_201:
	s_and_not1_saveexec_b32 s3, s3
	s_cbranch_execz .LBB1530_203
; %bb.202:
	s_waitcnt lgkmcnt(2)
	v_add_co_u32 v3, vcc_lo, v15, v22
	v_add_co_ci_u32_e32 v4, vcc_lo, 0, v17, vcc_lo
.LBB1530_203:
	s_or_b32 exec_lo, exec_lo, s3
	s_waitcnt lgkmcnt(2)
	s_delay_alu instid0(VALU_DEP_1) | instskip(NEXT) | instid1(VALU_DEP_1)
	v_lshlrev_b64 v[3:4], 2, v[3:4]
	v_add_co_u32 v3, vcc_lo, s12, v3
	s_delay_alu instid0(VALU_DEP_2)
	v_add_co_ci_u32_e32 v4, vcc_lo, s13, v4, vcc_lo
	s_waitcnt lgkmcnt(1)
	global_store_b32 v[3:4], v2, off
.LBB1530_204:
	s_or_b32 exec_lo, exec_lo, s1
	s_delay_alu instid0(SALU_CYCLE_1)
	s_mov_b32 s1, exec_lo
                                        ; implicit-def: $vgpr13_vgpr14
	v_cmpx_gt_u32_e64 s11, v21
	s_cbranch_execz .LBB1530_210
; %bb.205:
	s_mov_b32 s3, exec_lo
                                        ; implicit-def: $vgpr13_vgpr14
	v_cmpx_ge_u32_e64 v21, v16
	s_xor_b32 s3, exec_lo, s3
	s_cbranch_execz .LBB1530_207
; %bb.206:
	v_xor_b32_e32 v0, 0xfffff3ff, v0
                                        ; implicit-def: $vgpr21
	s_waitcnt lgkmcnt(1)
	s_delay_alu instid0(VALU_DEP_1) | instskip(SKIP_1) | instid1(VALU_DEP_2)
	v_ashrrev_i32_e32 v1, 31, v0
	v_add_co_u32 v13, vcc_lo, v18, v0
	v_add_co_ci_u32_e32 v14, vcc_lo, v19, v1, vcc_lo
.LBB1530_207:
	s_and_not1_saveexec_b32 s3, s3
; %bb.208:
	v_add_co_u32 v13, vcc_lo, v15, v21
	v_add_co_ci_u32_e32 v14, vcc_lo, 0, v17, vcc_lo
; %bb.209:
	s_or_b32 exec_lo, exec_lo, s3
	s_delay_alu instid0(SALU_CYCLE_1)
	s_or_b32 s0, s0, exec_lo
.LBB1530_210:
	s_or_b32 exec_lo, exec_lo, s1
	s_and_saveexec_b32 s1, s0
	s_cbranch_execnz .LBB1530_129
.LBB1530_211:
	s_or_b32 exec_lo, exec_lo, s1
	s_and_b32 s0, s2, s10
	s_delay_alu instid0(SALU_CYCLE_1)
	s_and_saveexec_b32 s1, s0
	s_cbranch_execz .LBB1530_130
.LBB1530_212:
	v_add_co_u32 v0, vcc_lo, v15, v16
	s_waitcnt lgkmcnt(1)
	v_mov_b32_e32 v2, 0
	v_add_co_ci_u32_e32 v1, vcc_lo, 0, v17, vcc_lo
	global_store_b64 v2, v[0:1], s[8:9]
	s_nop 0
	s_sendmsg sendmsg(MSG_DEALLOC_VGPRS)
	s_endpgm
	.section	.rodata,"a",@progbits
	.p2align	6, 0x0
	.amdhsa_kernel _ZN7rocprim17ROCPRIM_400000_NS6detail17trampoline_kernelINS0_13select_configILj256ELj13ELNS0_17block_load_methodE3ELS4_3ELS4_3ELNS0_20block_scan_algorithmE0ELj4294967295EEENS1_25partition_config_selectorILNS1_17partition_subalgoE3EjNS0_10empty_typeEbEEZZNS1_14partition_implILS8_3ELb0ES6_jNS0_17counting_iteratorIjlEEPS9_SE_NS0_5tupleIJPjSE_EEENSF_IJSE_SE_EEES9_SG_JZNS1_25segmented_radix_sort_implINS0_14default_configELb1EPKbPbPKlPlN2at6native12_GLOBAL__N_18offset_tEEE10hipError_tPvRmT1_PNSt15iterator_traitsISY_E10value_typeET2_T3_PNSZ_IS14_E10value_typeET4_jRbjT5_S1A_jjP12ihipStream_tbEUljE_EEESV_SW_SX_S14_S18_S1A_T6_T7_T9_mT8_S1C_bDpT10_ENKUlT_T0_E_clISt17integral_constantIbLb0EES1O_IbLb1EEEEDaS1K_S1L_EUlS1K_E_NS1_11comp_targetILNS1_3genE9ELNS1_11target_archE1100ELNS1_3gpuE3ELNS1_3repE0EEENS1_30default_config_static_selectorELNS0_4arch9wavefront6targetE0EEEvSY_
		.amdhsa_group_segment_fixed_size 13324
		.amdhsa_private_segment_fixed_size 0
		.amdhsa_kernarg_size 152
		.amdhsa_user_sgpr_count 15
		.amdhsa_user_sgpr_dispatch_ptr 0
		.amdhsa_user_sgpr_queue_ptr 0
		.amdhsa_user_sgpr_kernarg_segment_ptr 1
		.amdhsa_user_sgpr_dispatch_id 0
		.amdhsa_user_sgpr_private_segment_size 0
		.amdhsa_wavefront_size32 1
		.amdhsa_uses_dynamic_stack 0
		.amdhsa_enable_private_segment 0
		.amdhsa_system_sgpr_workgroup_id_x 1
		.amdhsa_system_sgpr_workgroup_id_y 0
		.amdhsa_system_sgpr_workgroup_id_z 0
		.amdhsa_system_sgpr_workgroup_info 0
		.amdhsa_system_vgpr_workitem_id 0
		.amdhsa_next_free_vgpr 60
		.amdhsa_next_free_sgpr 26
		.amdhsa_reserve_vcc 1
		.amdhsa_float_round_mode_32 0
		.amdhsa_float_round_mode_16_64 0
		.amdhsa_float_denorm_mode_32 3
		.amdhsa_float_denorm_mode_16_64 3
		.amdhsa_dx10_clamp 1
		.amdhsa_ieee_mode 1
		.amdhsa_fp16_overflow 0
		.amdhsa_workgroup_processor_mode 1
		.amdhsa_memory_ordered 1
		.amdhsa_forward_progress 0
		.amdhsa_shared_vgpr_count 0
		.amdhsa_exception_fp_ieee_invalid_op 0
		.amdhsa_exception_fp_denorm_src 0
		.amdhsa_exception_fp_ieee_div_zero 0
		.amdhsa_exception_fp_ieee_overflow 0
		.amdhsa_exception_fp_ieee_underflow 0
		.amdhsa_exception_fp_ieee_inexact 0
		.amdhsa_exception_int_div_zero 0
	.end_amdhsa_kernel
	.section	.text._ZN7rocprim17ROCPRIM_400000_NS6detail17trampoline_kernelINS0_13select_configILj256ELj13ELNS0_17block_load_methodE3ELS4_3ELS4_3ELNS0_20block_scan_algorithmE0ELj4294967295EEENS1_25partition_config_selectorILNS1_17partition_subalgoE3EjNS0_10empty_typeEbEEZZNS1_14partition_implILS8_3ELb0ES6_jNS0_17counting_iteratorIjlEEPS9_SE_NS0_5tupleIJPjSE_EEENSF_IJSE_SE_EEES9_SG_JZNS1_25segmented_radix_sort_implINS0_14default_configELb1EPKbPbPKlPlN2at6native12_GLOBAL__N_18offset_tEEE10hipError_tPvRmT1_PNSt15iterator_traitsISY_E10value_typeET2_T3_PNSZ_IS14_E10value_typeET4_jRbjT5_S1A_jjP12ihipStream_tbEUljE_EEESV_SW_SX_S14_S18_S1A_T6_T7_T9_mT8_S1C_bDpT10_ENKUlT_T0_E_clISt17integral_constantIbLb0EES1O_IbLb1EEEEDaS1K_S1L_EUlS1K_E_NS1_11comp_targetILNS1_3genE9ELNS1_11target_archE1100ELNS1_3gpuE3ELNS1_3repE0EEENS1_30default_config_static_selectorELNS0_4arch9wavefront6targetE0EEEvSY_,"axG",@progbits,_ZN7rocprim17ROCPRIM_400000_NS6detail17trampoline_kernelINS0_13select_configILj256ELj13ELNS0_17block_load_methodE3ELS4_3ELS4_3ELNS0_20block_scan_algorithmE0ELj4294967295EEENS1_25partition_config_selectorILNS1_17partition_subalgoE3EjNS0_10empty_typeEbEEZZNS1_14partition_implILS8_3ELb0ES6_jNS0_17counting_iteratorIjlEEPS9_SE_NS0_5tupleIJPjSE_EEENSF_IJSE_SE_EEES9_SG_JZNS1_25segmented_radix_sort_implINS0_14default_configELb1EPKbPbPKlPlN2at6native12_GLOBAL__N_18offset_tEEE10hipError_tPvRmT1_PNSt15iterator_traitsISY_E10value_typeET2_T3_PNSZ_IS14_E10value_typeET4_jRbjT5_S1A_jjP12ihipStream_tbEUljE_EEESV_SW_SX_S14_S18_S1A_T6_T7_T9_mT8_S1C_bDpT10_ENKUlT_T0_E_clISt17integral_constantIbLb0EES1O_IbLb1EEEEDaS1K_S1L_EUlS1K_E_NS1_11comp_targetILNS1_3genE9ELNS1_11target_archE1100ELNS1_3gpuE3ELNS1_3repE0EEENS1_30default_config_static_selectorELNS0_4arch9wavefront6targetE0EEEvSY_,comdat
.Lfunc_end1530:
	.size	_ZN7rocprim17ROCPRIM_400000_NS6detail17trampoline_kernelINS0_13select_configILj256ELj13ELNS0_17block_load_methodE3ELS4_3ELS4_3ELNS0_20block_scan_algorithmE0ELj4294967295EEENS1_25partition_config_selectorILNS1_17partition_subalgoE3EjNS0_10empty_typeEbEEZZNS1_14partition_implILS8_3ELb0ES6_jNS0_17counting_iteratorIjlEEPS9_SE_NS0_5tupleIJPjSE_EEENSF_IJSE_SE_EEES9_SG_JZNS1_25segmented_radix_sort_implINS0_14default_configELb1EPKbPbPKlPlN2at6native12_GLOBAL__N_18offset_tEEE10hipError_tPvRmT1_PNSt15iterator_traitsISY_E10value_typeET2_T3_PNSZ_IS14_E10value_typeET4_jRbjT5_S1A_jjP12ihipStream_tbEUljE_EEESV_SW_SX_S14_S18_S1A_T6_T7_T9_mT8_S1C_bDpT10_ENKUlT_T0_E_clISt17integral_constantIbLb0EES1O_IbLb1EEEEDaS1K_S1L_EUlS1K_E_NS1_11comp_targetILNS1_3genE9ELNS1_11target_archE1100ELNS1_3gpuE3ELNS1_3repE0EEENS1_30default_config_static_selectorELNS0_4arch9wavefront6targetE0EEEvSY_, .Lfunc_end1530-_ZN7rocprim17ROCPRIM_400000_NS6detail17trampoline_kernelINS0_13select_configILj256ELj13ELNS0_17block_load_methodE3ELS4_3ELS4_3ELNS0_20block_scan_algorithmE0ELj4294967295EEENS1_25partition_config_selectorILNS1_17partition_subalgoE3EjNS0_10empty_typeEbEEZZNS1_14partition_implILS8_3ELb0ES6_jNS0_17counting_iteratorIjlEEPS9_SE_NS0_5tupleIJPjSE_EEENSF_IJSE_SE_EEES9_SG_JZNS1_25segmented_radix_sort_implINS0_14default_configELb1EPKbPbPKlPlN2at6native12_GLOBAL__N_18offset_tEEE10hipError_tPvRmT1_PNSt15iterator_traitsISY_E10value_typeET2_T3_PNSZ_IS14_E10value_typeET4_jRbjT5_S1A_jjP12ihipStream_tbEUljE_EEESV_SW_SX_S14_S18_S1A_T6_T7_T9_mT8_S1C_bDpT10_ENKUlT_T0_E_clISt17integral_constantIbLb0EES1O_IbLb1EEEEDaS1K_S1L_EUlS1K_E_NS1_11comp_targetILNS1_3genE9ELNS1_11target_archE1100ELNS1_3gpuE3ELNS1_3repE0EEENS1_30default_config_static_selectorELNS0_4arch9wavefront6targetE0EEEvSY_
                                        ; -- End function
	.section	.AMDGPU.csdata,"",@progbits
; Kernel info:
; codeLenInByte = 9040
; NumSgprs: 28
; NumVgprs: 60
; ScratchSize: 0
; MemoryBound: 0
; FloatMode: 240
; IeeeMode: 1
; LDSByteSize: 13324 bytes/workgroup (compile time only)
; SGPRBlocks: 3
; VGPRBlocks: 7
; NumSGPRsForWavesPerEU: 28
; NumVGPRsForWavesPerEU: 60
; Occupancy: 16
; WaveLimiterHint : 0
; COMPUTE_PGM_RSRC2:SCRATCH_EN: 0
; COMPUTE_PGM_RSRC2:USER_SGPR: 15
; COMPUTE_PGM_RSRC2:TRAP_HANDLER: 0
; COMPUTE_PGM_RSRC2:TGID_X_EN: 1
; COMPUTE_PGM_RSRC2:TGID_Y_EN: 0
; COMPUTE_PGM_RSRC2:TGID_Z_EN: 0
; COMPUTE_PGM_RSRC2:TIDIG_COMP_CNT: 0
	.section	.text._ZN7rocprim17ROCPRIM_400000_NS6detail17trampoline_kernelINS0_13select_configILj256ELj13ELNS0_17block_load_methodE3ELS4_3ELS4_3ELNS0_20block_scan_algorithmE0ELj4294967295EEENS1_25partition_config_selectorILNS1_17partition_subalgoE3EjNS0_10empty_typeEbEEZZNS1_14partition_implILS8_3ELb0ES6_jNS0_17counting_iteratorIjlEEPS9_SE_NS0_5tupleIJPjSE_EEENSF_IJSE_SE_EEES9_SG_JZNS1_25segmented_radix_sort_implINS0_14default_configELb1EPKbPbPKlPlN2at6native12_GLOBAL__N_18offset_tEEE10hipError_tPvRmT1_PNSt15iterator_traitsISY_E10value_typeET2_T3_PNSZ_IS14_E10value_typeET4_jRbjT5_S1A_jjP12ihipStream_tbEUljE_EEESV_SW_SX_S14_S18_S1A_T6_T7_T9_mT8_S1C_bDpT10_ENKUlT_T0_E_clISt17integral_constantIbLb0EES1O_IbLb1EEEEDaS1K_S1L_EUlS1K_E_NS1_11comp_targetILNS1_3genE8ELNS1_11target_archE1030ELNS1_3gpuE2ELNS1_3repE0EEENS1_30default_config_static_selectorELNS0_4arch9wavefront6targetE0EEEvSY_,"axG",@progbits,_ZN7rocprim17ROCPRIM_400000_NS6detail17trampoline_kernelINS0_13select_configILj256ELj13ELNS0_17block_load_methodE3ELS4_3ELS4_3ELNS0_20block_scan_algorithmE0ELj4294967295EEENS1_25partition_config_selectorILNS1_17partition_subalgoE3EjNS0_10empty_typeEbEEZZNS1_14partition_implILS8_3ELb0ES6_jNS0_17counting_iteratorIjlEEPS9_SE_NS0_5tupleIJPjSE_EEENSF_IJSE_SE_EEES9_SG_JZNS1_25segmented_radix_sort_implINS0_14default_configELb1EPKbPbPKlPlN2at6native12_GLOBAL__N_18offset_tEEE10hipError_tPvRmT1_PNSt15iterator_traitsISY_E10value_typeET2_T3_PNSZ_IS14_E10value_typeET4_jRbjT5_S1A_jjP12ihipStream_tbEUljE_EEESV_SW_SX_S14_S18_S1A_T6_T7_T9_mT8_S1C_bDpT10_ENKUlT_T0_E_clISt17integral_constantIbLb0EES1O_IbLb1EEEEDaS1K_S1L_EUlS1K_E_NS1_11comp_targetILNS1_3genE8ELNS1_11target_archE1030ELNS1_3gpuE2ELNS1_3repE0EEENS1_30default_config_static_selectorELNS0_4arch9wavefront6targetE0EEEvSY_,comdat
	.globl	_ZN7rocprim17ROCPRIM_400000_NS6detail17trampoline_kernelINS0_13select_configILj256ELj13ELNS0_17block_load_methodE3ELS4_3ELS4_3ELNS0_20block_scan_algorithmE0ELj4294967295EEENS1_25partition_config_selectorILNS1_17partition_subalgoE3EjNS0_10empty_typeEbEEZZNS1_14partition_implILS8_3ELb0ES6_jNS0_17counting_iteratorIjlEEPS9_SE_NS0_5tupleIJPjSE_EEENSF_IJSE_SE_EEES9_SG_JZNS1_25segmented_radix_sort_implINS0_14default_configELb1EPKbPbPKlPlN2at6native12_GLOBAL__N_18offset_tEEE10hipError_tPvRmT1_PNSt15iterator_traitsISY_E10value_typeET2_T3_PNSZ_IS14_E10value_typeET4_jRbjT5_S1A_jjP12ihipStream_tbEUljE_EEESV_SW_SX_S14_S18_S1A_T6_T7_T9_mT8_S1C_bDpT10_ENKUlT_T0_E_clISt17integral_constantIbLb0EES1O_IbLb1EEEEDaS1K_S1L_EUlS1K_E_NS1_11comp_targetILNS1_3genE8ELNS1_11target_archE1030ELNS1_3gpuE2ELNS1_3repE0EEENS1_30default_config_static_selectorELNS0_4arch9wavefront6targetE0EEEvSY_ ; -- Begin function _ZN7rocprim17ROCPRIM_400000_NS6detail17trampoline_kernelINS0_13select_configILj256ELj13ELNS0_17block_load_methodE3ELS4_3ELS4_3ELNS0_20block_scan_algorithmE0ELj4294967295EEENS1_25partition_config_selectorILNS1_17partition_subalgoE3EjNS0_10empty_typeEbEEZZNS1_14partition_implILS8_3ELb0ES6_jNS0_17counting_iteratorIjlEEPS9_SE_NS0_5tupleIJPjSE_EEENSF_IJSE_SE_EEES9_SG_JZNS1_25segmented_radix_sort_implINS0_14default_configELb1EPKbPbPKlPlN2at6native12_GLOBAL__N_18offset_tEEE10hipError_tPvRmT1_PNSt15iterator_traitsISY_E10value_typeET2_T3_PNSZ_IS14_E10value_typeET4_jRbjT5_S1A_jjP12ihipStream_tbEUljE_EEESV_SW_SX_S14_S18_S1A_T6_T7_T9_mT8_S1C_bDpT10_ENKUlT_T0_E_clISt17integral_constantIbLb0EES1O_IbLb1EEEEDaS1K_S1L_EUlS1K_E_NS1_11comp_targetILNS1_3genE8ELNS1_11target_archE1030ELNS1_3gpuE2ELNS1_3repE0EEENS1_30default_config_static_selectorELNS0_4arch9wavefront6targetE0EEEvSY_
	.p2align	8
	.type	_ZN7rocprim17ROCPRIM_400000_NS6detail17trampoline_kernelINS0_13select_configILj256ELj13ELNS0_17block_load_methodE3ELS4_3ELS4_3ELNS0_20block_scan_algorithmE0ELj4294967295EEENS1_25partition_config_selectorILNS1_17partition_subalgoE3EjNS0_10empty_typeEbEEZZNS1_14partition_implILS8_3ELb0ES6_jNS0_17counting_iteratorIjlEEPS9_SE_NS0_5tupleIJPjSE_EEENSF_IJSE_SE_EEES9_SG_JZNS1_25segmented_radix_sort_implINS0_14default_configELb1EPKbPbPKlPlN2at6native12_GLOBAL__N_18offset_tEEE10hipError_tPvRmT1_PNSt15iterator_traitsISY_E10value_typeET2_T3_PNSZ_IS14_E10value_typeET4_jRbjT5_S1A_jjP12ihipStream_tbEUljE_EEESV_SW_SX_S14_S18_S1A_T6_T7_T9_mT8_S1C_bDpT10_ENKUlT_T0_E_clISt17integral_constantIbLb0EES1O_IbLb1EEEEDaS1K_S1L_EUlS1K_E_NS1_11comp_targetILNS1_3genE8ELNS1_11target_archE1030ELNS1_3gpuE2ELNS1_3repE0EEENS1_30default_config_static_selectorELNS0_4arch9wavefront6targetE0EEEvSY_,@function
_ZN7rocprim17ROCPRIM_400000_NS6detail17trampoline_kernelINS0_13select_configILj256ELj13ELNS0_17block_load_methodE3ELS4_3ELS4_3ELNS0_20block_scan_algorithmE0ELj4294967295EEENS1_25partition_config_selectorILNS1_17partition_subalgoE3EjNS0_10empty_typeEbEEZZNS1_14partition_implILS8_3ELb0ES6_jNS0_17counting_iteratorIjlEEPS9_SE_NS0_5tupleIJPjSE_EEENSF_IJSE_SE_EEES9_SG_JZNS1_25segmented_radix_sort_implINS0_14default_configELb1EPKbPbPKlPlN2at6native12_GLOBAL__N_18offset_tEEE10hipError_tPvRmT1_PNSt15iterator_traitsISY_E10value_typeET2_T3_PNSZ_IS14_E10value_typeET4_jRbjT5_S1A_jjP12ihipStream_tbEUljE_EEESV_SW_SX_S14_S18_S1A_T6_T7_T9_mT8_S1C_bDpT10_ENKUlT_T0_E_clISt17integral_constantIbLb0EES1O_IbLb1EEEEDaS1K_S1L_EUlS1K_E_NS1_11comp_targetILNS1_3genE8ELNS1_11target_archE1030ELNS1_3gpuE2ELNS1_3repE0EEENS1_30default_config_static_selectorELNS0_4arch9wavefront6targetE0EEEvSY_: ; @_ZN7rocprim17ROCPRIM_400000_NS6detail17trampoline_kernelINS0_13select_configILj256ELj13ELNS0_17block_load_methodE3ELS4_3ELS4_3ELNS0_20block_scan_algorithmE0ELj4294967295EEENS1_25partition_config_selectorILNS1_17partition_subalgoE3EjNS0_10empty_typeEbEEZZNS1_14partition_implILS8_3ELb0ES6_jNS0_17counting_iteratorIjlEEPS9_SE_NS0_5tupleIJPjSE_EEENSF_IJSE_SE_EEES9_SG_JZNS1_25segmented_radix_sort_implINS0_14default_configELb1EPKbPbPKlPlN2at6native12_GLOBAL__N_18offset_tEEE10hipError_tPvRmT1_PNSt15iterator_traitsISY_E10value_typeET2_T3_PNSZ_IS14_E10value_typeET4_jRbjT5_S1A_jjP12ihipStream_tbEUljE_EEESV_SW_SX_S14_S18_S1A_T6_T7_T9_mT8_S1C_bDpT10_ENKUlT_T0_E_clISt17integral_constantIbLb0EES1O_IbLb1EEEEDaS1K_S1L_EUlS1K_E_NS1_11comp_targetILNS1_3genE8ELNS1_11target_archE1030ELNS1_3gpuE2ELNS1_3repE0EEENS1_30default_config_static_selectorELNS0_4arch9wavefront6targetE0EEEvSY_
; %bb.0:
	.section	.rodata,"a",@progbits
	.p2align	6, 0x0
	.amdhsa_kernel _ZN7rocprim17ROCPRIM_400000_NS6detail17trampoline_kernelINS0_13select_configILj256ELj13ELNS0_17block_load_methodE3ELS4_3ELS4_3ELNS0_20block_scan_algorithmE0ELj4294967295EEENS1_25partition_config_selectorILNS1_17partition_subalgoE3EjNS0_10empty_typeEbEEZZNS1_14partition_implILS8_3ELb0ES6_jNS0_17counting_iteratorIjlEEPS9_SE_NS0_5tupleIJPjSE_EEENSF_IJSE_SE_EEES9_SG_JZNS1_25segmented_radix_sort_implINS0_14default_configELb1EPKbPbPKlPlN2at6native12_GLOBAL__N_18offset_tEEE10hipError_tPvRmT1_PNSt15iterator_traitsISY_E10value_typeET2_T3_PNSZ_IS14_E10value_typeET4_jRbjT5_S1A_jjP12ihipStream_tbEUljE_EEESV_SW_SX_S14_S18_S1A_T6_T7_T9_mT8_S1C_bDpT10_ENKUlT_T0_E_clISt17integral_constantIbLb0EES1O_IbLb1EEEEDaS1K_S1L_EUlS1K_E_NS1_11comp_targetILNS1_3genE8ELNS1_11target_archE1030ELNS1_3gpuE2ELNS1_3repE0EEENS1_30default_config_static_selectorELNS0_4arch9wavefront6targetE0EEEvSY_
		.amdhsa_group_segment_fixed_size 0
		.amdhsa_private_segment_fixed_size 0
		.amdhsa_kernarg_size 152
		.amdhsa_user_sgpr_count 15
		.amdhsa_user_sgpr_dispatch_ptr 0
		.amdhsa_user_sgpr_queue_ptr 0
		.amdhsa_user_sgpr_kernarg_segment_ptr 1
		.amdhsa_user_sgpr_dispatch_id 0
		.amdhsa_user_sgpr_private_segment_size 0
		.amdhsa_wavefront_size32 1
		.amdhsa_uses_dynamic_stack 0
		.amdhsa_enable_private_segment 0
		.amdhsa_system_sgpr_workgroup_id_x 1
		.amdhsa_system_sgpr_workgroup_id_y 0
		.amdhsa_system_sgpr_workgroup_id_z 0
		.amdhsa_system_sgpr_workgroup_info 0
		.amdhsa_system_vgpr_workitem_id 0
		.amdhsa_next_free_vgpr 1
		.amdhsa_next_free_sgpr 1
		.amdhsa_reserve_vcc 0
		.amdhsa_float_round_mode_32 0
		.amdhsa_float_round_mode_16_64 0
		.amdhsa_float_denorm_mode_32 3
		.amdhsa_float_denorm_mode_16_64 3
		.amdhsa_dx10_clamp 1
		.amdhsa_ieee_mode 1
		.amdhsa_fp16_overflow 0
		.amdhsa_workgroup_processor_mode 1
		.amdhsa_memory_ordered 1
		.amdhsa_forward_progress 0
		.amdhsa_shared_vgpr_count 0
		.amdhsa_exception_fp_ieee_invalid_op 0
		.amdhsa_exception_fp_denorm_src 0
		.amdhsa_exception_fp_ieee_div_zero 0
		.amdhsa_exception_fp_ieee_overflow 0
		.amdhsa_exception_fp_ieee_underflow 0
		.amdhsa_exception_fp_ieee_inexact 0
		.amdhsa_exception_int_div_zero 0
	.end_amdhsa_kernel
	.section	.text._ZN7rocprim17ROCPRIM_400000_NS6detail17trampoline_kernelINS0_13select_configILj256ELj13ELNS0_17block_load_methodE3ELS4_3ELS4_3ELNS0_20block_scan_algorithmE0ELj4294967295EEENS1_25partition_config_selectorILNS1_17partition_subalgoE3EjNS0_10empty_typeEbEEZZNS1_14partition_implILS8_3ELb0ES6_jNS0_17counting_iteratorIjlEEPS9_SE_NS0_5tupleIJPjSE_EEENSF_IJSE_SE_EEES9_SG_JZNS1_25segmented_radix_sort_implINS0_14default_configELb1EPKbPbPKlPlN2at6native12_GLOBAL__N_18offset_tEEE10hipError_tPvRmT1_PNSt15iterator_traitsISY_E10value_typeET2_T3_PNSZ_IS14_E10value_typeET4_jRbjT5_S1A_jjP12ihipStream_tbEUljE_EEESV_SW_SX_S14_S18_S1A_T6_T7_T9_mT8_S1C_bDpT10_ENKUlT_T0_E_clISt17integral_constantIbLb0EES1O_IbLb1EEEEDaS1K_S1L_EUlS1K_E_NS1_11comp_targetILNS1_3genE8ELNS1_11target_archE1030ELNS1_3gpuE2ELNS1_3repE0EEENS1_30default_config_static_selectorELNS0_4arch9wavefront6targetE0EEEvSY_,"axG",@progbits,_ZN7rocprim17ROCPRIM_400000_NS6detail17trampoline_kernelINS0_13select_configILj256ELj13ELNS0_17block_load_methodE3ELS4_3ELS4_3ELNS0_20block_scan_algorithmE0ELj4294967295EEENS1_25partition_config_selectorILNS1_17partition_subalgoE3EjNS0_10empty_typeEbEEZZNS1_14partition_implILS8_3ELb0ES6_jNS0_17counting_iteratorIjlEEPS9_SE_NS0_5tupleIJPjSE_EEENSF_IJSE_SE_EEES9_SG_JZNS1_25segmented_radix_sort_implINS0_14default_configELb1EPKbPbPKlPlN2at6native12_GLOBAL__N_18offset_tEEE10hipError_tPvRmT1_PNSt15iterator_traitsISY_E10value_typeET2_T3_PNSZ_IS14_E10value_typeET4_jRbjT5_S1A_jjP12ihipStream_tbEUljE_EEESV_SW_SX_S14_S18_S1A_T6_T7_T9_mT8_S1C_bDpT10_ENKUlT_T0_E_clISt17integral_constantIbLb0EES1O_IbLb1EEEEDaS1K_S1L_EUlS1K_E_NS1_11comp_targetILNS1_3genE8ELNS1_11target_archE1030ELNS1_3gpuE2ELNS1_3repE0EEENS1_30default_config_static_selectorELNS0_4arch9wavefront6targetE0EEEvSY_,comdat
.Lfunc_end1531:
	.size	_ZN7rocprim17ROCPRIM_400000_NS6detail17trampoline_kernelINS0_13select_configILj256ELj13ELNS0_17block_load_methodE3ELS4_3ELS4_3ELNS0_20block_scan_algorithmE0ELj4294967295EEENS1_25partition_config_selectorILNS1_17partition_subalgoE3EjNS0_10empty_typeEbEEZZNS1_14partition_implILS8_3ELb0ES6_jNS0_17counting_iteratorIjlEEPS9_SE_NS0_5tupleIJPjSE_EEENSF_IJSE_SE_EEES9_SG_JZNS1_25segmented_radix_sort_implINS0_14default_configELb1EPKbPbPKlPlN2at6native12_GLOBAL__N_18offset_tEEE10hipError_tPvRmT1_PNSt15iterator_traitsISY_E10value_typeET2_T3_PNSZ_IS14_E10value_typeET4_jRbjT5_S1A_jjP12ihipStream_tbEUljE_EEESV_SW_SX_S14_S18_S1A_T6_T7_T9_mT8_S1C_bDpT10_ENKUlT_T0_E_clISt17integral_constantIbLb0EES1O_IbLb1EEEEDaS1K_S1L_EUlS1K_E_NS1_11comp_targetILNS1_3genE8ELNS1_11target_archE1030ELNS1_3gpuE2ELNS1_3repE0EEENS1_30default_config_static_selectorELNS0_4arch9wavefront6targetE0EEEvSY_, .Lfunc_end1531-_ZN7rocprim17ROCPRIM_400000_NS6detail17trampoline_kernelINS0_13select_configILj256ELj13ELNS0_17block_load_methodE3ELS4_3ELS4_3ELNS0_20block_scan_algorithmE0ELj4294967295EEENS1_25partition_config_selectorILNS1_17partition_subalgoE3EjNS0_10empty_typeEbEEZZNS1_14partition_implILS8_3ELb0ES6_jNS0_17counting_iteratorIjlEEPS9_SE_NS0_5tupleIJPjSE_EEENSF_IJSE_SE_EEES9_SG_JZNS1_25segmented_radix_sort_implINS0_14default_configELb1EPKbPbPKlPlN2at6native12_GLOBAL__N_18offset_tEEE10hipError_tPvRmT1_PNSt15iterator_traitsISY_E10value_typeET2_T3_PNSZ_IS14_E10value_typeET4_jRbjT5_S1A_jjP12ihipStream_tbEUljE_EEESV_SW_SX_S14_S18_S1A_T6_T7_T9_mT8_S1C_bDpT10_ENKUlT_T0_E_clISt17integral_constantIbLb0EES1O_IbLb1EEEEDaS1K_S1L_EUlS1K_E_NS1_11comp_targetILNS1_3genE8ELNS1_11target_archE1030ELNS1_3gpuE2ELNS1_3repE0EEENS1_30default_config_static_selectorELNS0_4arch9wavefront6targetE0EEEvSY_
                                        ; -- End function
	.section	.AMDGPU.csdata,"",@progbits
; Kernel info:
; codeLenInByte = 0
; NumSgprs: 0
; NumVgprs: 0
; ScratchSize: 0
; MemoryBound: 0
; FloatMode: 240
; IeeeMode: 1
; LDSByteSize: 0 bytes/workgroup (compile time only)
; SGPRBlocks: 0
; VGPRBlocks: 0
; NumSGPRsForWavesPerEU: 1
; NumVGPRsForWavesPerEU: 1
; Occupancy: 16
; WaveLimiterHint : 0
; COMPUTE_PGM_RSRC2:SCRATCH_EN: 0
; COMPUTE_PGM_RSRC2:USER_SGPR: 15
; COMPUTE_PGM_RSRC2:TRAP_HANDLER: 0
; COMPUTE_PGM_RSRC2:TGID_X_EN: 1
; COMPUTE_PGM_RSRC2:TGID_Y_EN: 0
; COMPUTE_PGM_RSRC2:TGID_Z_EN: 0
; COMPUTE_PGM_RSRC2:TIDIG_COMP_CNT: 0
	.section	.text._ZN7rocprim17ROCPRIM_400000_NS6detail17trampoline_kernelINS0_14default_configENS1_36segmented_radix_sort_config_selectorIblEEZNS1_25segmented_radix_sort_implIS3_Lb1EPKbPbPKlPlN2at6native12_GLOBAL__N_18offset_tEEE10hipError_tPvRmT1_PNSt15iterator_traitsISK_E10value_typeET2_T3_PNSL_ISQ_E10value_typeET4_jRbjT5_SW_jjP12ihipStream_tbEUlT_E_NS1_11comp_targetILNS1_3genE0ELNS1_11target_archE4294967295ELNS1_3gpuE0ELNS1_3repE0EEENS1_30default_config_static_selectorELNS0_4arch9wavefront6targetE0EEEvSK_,"axG",@progbits,_ZN7rocprim17ROCPRIM_400000_NS6detail17trampoline_kernelINS0_14default_configENS1_36segmented_radix_sort_config_selectorIblEEZNS1_25segmented_radix_sort_implIS3_Lb1EPKbPbPKlPlN2at6native12_GLOBAL__N_18offset_tEEE10hipError_tPvRmT1_PNSt15iterator_traitsISK_E10value_typeET2_T3_PNSL_ISQ_E10value_typeET4_jRbjT5_SW_jjP12ihipStream_tbEUlT_E_NS1_11comp_targetILNS1_3genE0ELNS1_11target_archE4294967295ELNS1_3gpuE0ELNS1_3repE0EEENS1_30default_config_static_selectorELNS0_4arch9wavefront6targetE0EEEvSK_,comdat
	.globl	_ZN7rocprim17ROCPRIM_400000_NS6detail17trampoline_kernelINS0_14default_configENS1_36segmented_radix_sort_config_selectorIblEEZNS1_25segmented_radix_sort_implIS3_Lb1EPKbPbPKlPlN2at6native12_GLOBAL__N_18offset_tEEE10hipError_tPvRmT1_PNSt15iterator_traitsISK_E10value_typeET2_T3_PNSL_ISQ_E10value_typeET4_jRbjT5_SW_jjP12ihipStream_tbEUlT_E_NS1_11comp_targetILNS1_3genE0ELNS1_11target_archE4294967295ELNS1_3gpuE0ELNS1_3repE0EEENS1_30default_config_static_selectorELNS0_4arch9wavefront6targetE0EEEvSK_ ; -- Begin function _ZN7rocprim17ROCPRIM_400000_NS6detail17trampoline_kernelINS0_14default_configENS1_36segmented_radix_sort_config_selectorIblEEZNS1_25segmented_radix_sort_implIS3_Lb1EPKbPbPKlPlN2at6native12_GLOBAL__N_18offset_tEEE10hipError_tPvRmT1_PNSt15iterator_traitsISK_E10value_typeET2_T3_PNSL_ISQ_E10value_typeET4_jRbjT5_SW_jjP12ihipStream_tbEUlT_E_NS1_11comp_targetILNS1_3genE0ELNS1_11target_archE4294967295ELNS1_3gpuE0ELNS1_3repE0EEENS1_30default_config_static_selectorELNS0_4arch9wavefront6targetE0EEEvSK_
	.p2align	8
	.type	_ZN7rocprim17ROCPRIM_400000_NS6detail17trampoline_kernelINS0_14default_configENS1_36segmented_radix_sort_config_selectorIblEEZNS1_25segmented_radix_sort_implIS3_Lb1EPKbPbPKlPlN2at6native12_GLOBAL__N_18offset_tEEE10hipError_tPvRmT1_PNSt15iterator_traitsISK_E10value_typeET2_T3_PNSL_ISQ_E10value_typeET4_jRbjT5_SW_jjP12ihipStream_tbEUlT_E_NS1_11comp_targetILNS1_3genE0ELNS1_11target_archE4294967295ELNS1_3gpuE0ELNS1_3repE0EEENS1_30default_config_static_selectorELNS0_4arch9wavefront6targetE0EEEvSK_,@function
_ZN7rocprim17ROCPRIM_400000_NS6detail17trampoline_kernelINS0_14default_configENS1_36segmented_radix_sort_config_selectorIblEEZNS1_25segmented_radix_sort_implIS3_Lb1EPKbPbPKlPlN2at6native12_GLOBAL__N_18offset_tEEE10hipError_tPvRmT1_PNSt15iterator_traitsISK_E10value_typeET2_T3_PNSL_ISQ_E10value_typeET4_jRbjT5_SW_jjP12ihipStream_tbEUlT_E_NS1_11comp_targetILNS1_3genE0ELNS1_11target_archE4294967295ELNS1_3gpuE0ELNS1_3repE0EEENS1_30default_config_static_selectorELNS0_4arch9wavefront6targetE0EEEvSK_: ; @_ZN7rocprim17ROCPRIM_400000_NS6detail17trampoline_kernelINS0_14default_configENS1_36segmented_radix_sort_config_selectorIblEEZNS1_25segmented_radix_sort_implIS3_Lb1EPKbPbPKlPlN2at6native12_GLOBAL__N_18offset_tEEE10hipError_tPvRmT1_PNSt15iterator_traitsISK_E10value_typeET2_T3_PNSL_ISQ_E10value_typeET4_jRbjT5_SW_jjP12ihipStream_tbEUlT_E_NS1_11comp_targetILNS1_3genE0ELNS1_11target_archE4294967295ELNS1_3gpuE0ELNS1_3repE0EEENS1_30default_config_static_selectorELNS0_4arch9wavefront6targetE0EEEvSK_
; %bb.0:
	.section	.rodata,"a",@progbits
	.p2align	6, 0x0
	.amdhsa_kernel _ZN7rocprim17ROCPRIM_400000_NS6detail17trampoline_kernelINS0_14default_configENS1_36segmented_radix_sort_config_selectorIblEEZNS1_25segmented_radix_sort_implIS3_Lb1EPKbPbPKlPlN2at6native12_GLOBAL__N_18offset_tEEE10hipError_tPvRmT1_PNSt15iterator_traitsISK_E10value_typeET2_T3_PNSL_ISQ_E10value_typeET4_jRbjT5_SW_jjP12ihipStream_tbEUlT_E_NS1_11comp_targetILNS1_3genE0ELNS1_11target_archE4294967295ELNS1_3gpuE0ELNS1_3repE0EEENS1_30default_config_static_selectorELNS0_4arch9wavefront6targetE0EEEvSK_
		.amdhsa_group_segment_fixed_size 0
		.amdhsa_private_segment_fixed_size 0
		.amdhsa_kernarg_size 96
		.amdhsa_user_sgpr_count 15
		.amdhsa_user_sgpr_dispatch_ptr 0
		.amdhsa_user_sgpr_queue_ptr 0
		.amdhsa_user_sgpr_kernarg_segment_ptr 1
		.amdhsa_user_sgpr_dispatch_id 0
		.amdhsa_user_sgpr_private_segment_size 0
		.amdhsa_wavefront_size32 1
		.amdhsa_uses_dynamic_stack 0
		.amdhsa_enable_private_segment 0
		.amdhsa_system_sgpr_workgroup_id_x 1
		.amdhsa_system_sgpr_workgroup_id_y 0
		.amdhsa_system_sgpr_workgroup_id_z 0
		.amdhsa_system_sgpr_workgroup_info 0
		.amdhsa_system_vgpr_workitem_id 0
		.amdhsa_next_free_vgpr 1
		.amdhsa_next_free_sgpr 1
		.amdhsa_reserve_vcc 0
		.amdhsa_float_round_mode_32 0
		.amdhsa_float_round_mode_16_64 0
		.amdhsa_float_denorm_mode_32 3
		.amdhsa_float_denorm_mode_16_64 3
		.amdhsa_dx10_clamp 1
		.amdhsa_ieee_mode 1
		.amdhsa_fp16_overflow 0
		.amdhsa_workgroup_processor_mode 1
		.amdhsa_memory_ordered 1
		.amdhsa_forward_progress 0
		.amdhsa_shared_vgpr_count 0
		.amdhsa_exception_fp_ieee_invalid_op 0
		.amdhsa_exception_fp_denorm_src 0
		.amdhsa_exception_fp_ieee_div_zero 0
		.amdhsa_exception_fp_ieee_overflow 0
		.amdhsa_exception_fp_ieee_underflow 0
		.amdhsa_exception_fp_ieee_inexact 0
		.amdhsa_exception_int_div_zero 0
	.end_amdhsa_kernel
	.section	.text._ZN7rocprim17ROCPRIM_400000_NS6detail17trampoline_kernelINS0_14default_configENS1_36segmented_radix_sort_config_selectorIblEEZNS1_25segmented_radix_sort_implIS3_Lb1EPKbPbPKlPlN2at6native12_GLOBAL__N_18offset_tEEE10hipError_tPvRmT1_PNSt15iterator_traitsISK_E10value_typeET2_T3_PNSL_ISQ_E10value_typeET4_jRbjT5_SW_jjP12ihipStream_tbEUlT_E_NS1_11comp_targetILNS1_3genE0ELNS1_11target_archE4294967295ELNS1_3gpuE0ELNS1_3repE0EEENS1_30default_config_static_selectorELNS0_4arch9wavefront6targetE0EEEvSK_,"axG",@progbits,_ZN7rocprim17ROCPRIM_400000_NS6detail17trampoline_kernelINS0_14default_configENS1_36segmented_radix_sort_config_selectorIblEEZNS1_25segmented_radix_sort_implIS3_Lb1EPKbPbPKlPlN2at6native12_GLOBAL__N_18offset_tEEE10hipError_tPvRmT1_PNSt15iterator_traitsISK_E10value_typeET2_T3_PNSL_ISQ_E10value_typeET4_jRbjT5_SW_jjP12ihipStream_tbEUlT_E_NS1_11comp_targetILNS1_3genE0ELNS1_11target_archE4294967295ELNS1_3gpuE0ELNS1_3repE0EEENS1_30default_config_static_selectorELNS0_4arch9wavefront6targetE0EEEvSK_,comdat
.Lfunc_end1532:
	.size	_ZN7rocprim17ROCPRIM_400000_NS6detail17trampoline_kernelINS0_14default_configENS1_36segmented_radix_sort_config_selectorIblEEZNS1_25segmented_radix_sort_implIS3_Lb1EPKbPbPKlPlN2at6native12_GLOBAL__N_18offset_tEEE10hipError_tPvRmT1_PNSt15iterator_traitsISK_E10value_typeET2_T3_PNSL_ISQ_E10value_typeET4_jRbjT5_SW_jjP12ihipStream_tbEUlT_E_NS1_11comp_targetILNS1_3genE0ELNS1_11target_archE4294967295ELNS1_3gpuE0ELNS1_3repE0EEENS1_30default_config_static_selectorELNS0_4arch9wavefront6targetE0EEEvSK_, .Lfunc_end1532-_ZN7rocprim17ROCPRIM_400000_NS6detail17trampoline_kernelINS0_14default_configENS1_36segmented_radix_sort_config_selectorIblEEZNS1_25segmented_radix_sort_implIS3_Lb1EPKbPbPKlPlN2at6native12_GLOBAL__N_18offset_tEEE10hipError_tPvRmT1_PNSt15iterator_traitsISK_E10value_typeET2_T3_PNSL_ISQ_E10value_typeET4_jRbjT5_SW_jjP12ihipStream_tbEUlT_E_NS1_11comp_targetILNS1_3genE0ELNS1_11target_archE4294967295ELNS1_3gpuE0ELNS1_3repE0EEENS1_30default_config_static_selectorELNS0_4arch9wavefront6targetE0EEEvSK_
                                        ; -- End function
	.section	.AMDGPU.csdata,"",@progbits
; Kernel info:
; codeLenInByte = 0
; NumSgprs: 0
; NumVgprs: 0
; ScratchSize: 0
; MemoryBound: 0
; FloatMode: 240
; IeeeMode: 1
; LDSByteSize: 0 bytes/workgroup (compile time only)
; SGPRBlocks: 0
; VGPRBlocks: 0
; NumSGPRsForWavesPerEU: 1
; NumVGPRsForWavesPerEU: 1
; Occupancy: 16
; WaveLimiterHint : 0
; COMPUTE_PGM_RSRC2:SCRATCH_EN: 0
; COMPUTE_PGM_RSRC2:USER_SGPR: 15
; COMPUTE_PGM_RSRC2:TRAP_HANDLER: 0
; COMPUTE_PGM_RSRC2:TGID_X_EN: 1
; COMPUTE_PGM_RSRC2:TGID_Y_EN: 0
; COMPUTE_PGM_RSRC2:TGID_Z_EN: 0
; COMPUTE_PGM_RSRC2:TIDIG_COMP_CNT: 0
	.section	.text._ZN7rocprim17ROCPRIM_400000_NS6detail17trampoline_kernelINS0_14default_configENS1_36segmented_radix_sort_config_selectorIblEEZNS1_25segmented_radix_sort_implIS3_Lb1EPKbPbPKlPlN2at6native12_GLOBAL__N_18offset_tEEE10hipError_tPvRmT1_PNSt15iterator_traitsISK_E10value_typeET2_T3_PNSL_ISQ_E10value_typeET4_jRbjT5_SW_jjP12ihipStream_tbEUlT_E_NS1_11comp_targetILNS1_3genE5ELNS1_11target_archE942ELNS1_3gpuE9ELNS1_3repE0EEENS1_30default_config_static_selectorELNS0_4arch9wavefront6targetE0EEEvSK_,"axG",@progbits,_ZN7rocprim17ROCPRIM_400000_NS6detail17trampoline_kernelINS0_14default_configENS1_36segmented_radix_sort_config_selectorIblEEZNS1_25segmented_radix_sort_implIS3_Lb1EPKbPbPKlPlN2at6native12_GLOBAL__N_18offset_tEEE10hipError_tPvRmT1_PNSt15iterator_traitsISK_E10value_typeET2_T3_PNSL_ISQ_E10value_typeET4_jRbjT5_SW_jjP12ihipStream_tbEUlT_E_NS1_11comp_targetILNS1_3genE5ELNS1_11target_archE942ELNS1_3gpuE9ELNS1_3repE0EEENS1_30default_config_static_selectorELNS0_4arch9wavefront6targetE0EEEvSK_,comdat
	.globl	_ZN7rocprim17ROCPRIM_400000_NS6detail17trampoline_kernelINS0_14default_configENS1_36segmented_radix_sort_config_selectorIblEEZNS1_25segmented_radix_sort_implIS3_Lb1EPKbPbPKlPlN2at6native12_GLOBAL__N_18offset_tEEE10hipError_tPvRmT1_PNSt15iterator_traitsISK_E10value_typeET2_T3_PNSL_ISQ_E10value_typeET4_jRbjT5_SW_jjP12ihipStream_tbEUlT_E_NS1_11comp_targetILNS1_3genE5ELNS1_11target_archE942ELNS1_3gpuE9ELNS1_3repE0EEENS1_30default_config_static_selectorELNS0_4arch9wavefront6targetE0EEEvSK_ ; -- Begin function _ZN7rocprim17ROCPRIM_400000_NS6detail17trampoline_kernelINS0_14default_configENS1_36segmented_radix_sort_config_selectorIblEEZNS1_25segmented_radix_sort_implIS3_Lb1EPKbPbPKlPlN2at6native12_GLOBAL__N_18offset_tEEE10hipError_tPvRmT1_PNSt15iterator_traitsISK_E10value_typeET2_T3_PNSL_ISQ_E10value_typeET4_jRbjT5_SW_jjP12ihipStream_tbEUlT_E_NS1_11comp_targetILNS1_3genE5ELNS1_11target_archE942ELNS1_3gpuE9ELNS1_3repE0EEENS1_30default_config_static_selectorELNS0_4arch9wavefront6targetE0EEEvSK_
	.p2align	8
	.type	_ZN7rocprim17ROCPRIM_400000_NS6detail17trampoline_kernelINS0_14default_configENS1_36segmented_radix_sort_config_selectorIblEEZNS1_25segmented_radix_sort_implIS3_Lb1EPKbPbPKlPlN2at6native12_GLOBAL__N_18offset_tEEE10hipError_tPvRmT1_PNSt15iterator_traitsISK_E10value_typeET2_T3_PNSL_ISQ_E10value_typeET4_jRbjT5_SW_jjP12ihipStream_tbEUlT_E_NS1_11comp_targetILNS1_3genE5ELNS1_11target_archE942ELNS1_3gpuE9ELNS1_3repE0EEENS1_30default_config_static_selectorELNS0_4arch9wavefront6targetE0EEEvSK_,@function
_ZN7rocprim17ROCPRIM_400000_NS6detail17trampoline_kernelINS0_14default_configENS1_36segmented_radix_sort_config_selectorIblEEZNS1_25segmented_radix_sort_implIS3_Lb1EPKbPbPKlPlN2at6native12_GLOBAL__N_18offset_tEEE10hipError_tPvRmT1_PNSt15iterator_traitsISK_E10value_typeET2_T3_PNSL_ISQ_E10value_typeET4_jRbjT5_SW_jjP12ihipStream_tbEUlT_E_NS1_11comp_targetILNS1_3genE5ELNS1_11target_archE942ELNS1_3gpuE9ELNS1_3repE0EEENS1_30default_config_static_selectorELNS0_4arch9wavefront6targetE0EEEvSK_: ; @_ZN7rocprim17ROCPRIM_400000_NS6detail17trampoline_kernelINS0_14default_configENS1_36segmented_radix_sort_config_selectorIblEEZNS1_25segmented_radix_sort_implIS3_Lb1EPKbPbPKlPlN2at6native12_GLOBAL__N_18offset_tEEE10hipError_tPvRmT1_PNSt15iterator_traitsISK_E10value_typeET2_T3_PNSL_ISQ_E10value_typeET4_jRbjT5_SW_jjP12ihipStream_tbEUlT_E_NS1_11comp_targetILNS1_3genE5ELNS1_11target_archE942ELNS1_3gpuE9ELNS1_3repE0EEENS1_30default_config_static_selectorELNS0_4arch9wavefront6targetE0EEEvSK_
; %bb.0:
	.section	.rodata,"a",@progbits
	.p2align	6, 0x0
	.amdhsa_kernel _ZN7rocprim17ROCPRIM_400000_NS6detail17trampoline_kernelINS0_14default_configENS1_36segmented_radix_sort_config_selectorIblEEZNS1_25segmented_radix_sort_implIS3_Lb1EPKbPbPKlPlN2at6native12_GLOBAL__N_18offset_tEEE10hipError_tPvRmT1_PNSt15iterator_traitsISK_E10value_typeET2_T3_PNSL_ISQ_E10value_typeET4_jRbjT5_SW_jjP12ihipStream_tbEUlT_E_NS1_11comp_targetILNS1_3genE5ELNS1_11target_archE942ELNS1_3gpuE9ELNS1_3repE0EEENS1_30default_config_static_selectorELNS0_4arch9wavefront6targetE0EEEvSK_
		.amdhsa_group_segment_fixed_size 0
		.amdhsa_private_segment_fixed_size 0
		.amdhsa_kernarg_size 96
		.amdhsa_user_sgpr_count 15
		.amdhsa_user_sgpr_dispatch_ptr 0
		.amdhsa_user_sgpr_queue_ptr 0
		.amdhsa_user_sgpr_kernarg_segment_ptr 1
		.amdhsa_user_sgpr_dispatch_id 0
		.amdhsa_user_sgpr_private_segment_size 0
		.amdhsa_wavefront_size32 1
		.amdhsa_uses_dynamic_stack 0
		.amdhsa_enable_private_segment 0
		.amdhsa_system_sgpr_workgroup_id_x 1
		.amdhsa_system_sgpr_workgroup_id_y 0
		.amdhsa_system_sgpr_workgroup_id_z 0
		.amdhsa_system_sgpr_workgroup_info 0
		.amdhsa_system_vgpr_workitem_id 0
		.amdhsa_next_free_vgpr 1
		.amdhsa_next_free_sgpr 1
		.amdhsa_reserve_vcc 0
		.amdhsa_float_round_mode_32 0
		.amdhsa_float_round_mode_16_64 0
		.amdhsa_float_denorm_mode_32 3
		.amdhsa_float_denorm_mode_16_64 3
		.amdhsa_dx10_clamp 1
		.amdhsa_ieee_mode 1
		.amdhsa_fp16_overflow 0
		.amdhsa_workgroup_processor_mode 1
		.amdhsa_memory_ordered 1
		.amdhsa_forward_progress 0
		.amdhsa_shared_vgpr_count 0
		.amdhsa_exception_fp_ieee_invalid_op 0
		.amdhsa_exception_fp_denorm_src 0
		.amdhsa_exception_fp_ieee_div_zero 0
		.amdhsa_exception_fp_ieee_overflow 0
		.amdhsa_exception_fp_ieee_underflow 0
		.amdhsa_exception_fp_ieee_inexact 0
		.amdhsa_exception_int_div_zero 0
	.end_amdhsa_kernel
	.section	.text._ZN7rocprim17ROCPRIM_400000_NS6detail17trampoline_kernelINS0_14default_configENS1_36segmented_radix_sort_config_selectorIblEEZNS1_25segmented_radix_sort_implIS3_Lb1EPKbPbPKlPlN2at6native12_GLOBAL__N_18offset_tEEE10hipError_tPvRmT1_PNSt15iterator_traitsISK_E10value_typeET2_T3_PNSL_ISQ_E10value_typeET4_jRbjT5_SW_jjP12ihipStream_tbEUlT_E_NS1_11comp_targetILNS1_3genE5ELNS1_11target_archE942ELNS1_3gpuE9ELNS1_3repE0EEENS1_30default_config_static_selectorELNS0_4arch9wavefront6targetE0EEEvSK_,"axG",@progbits,_ZN7rocprim17ROCPRIM_400000_NS6detail17trampoline_kernelINS0_14default_configENS1_36segmented_radix_sort_config_selectorIblEEZNS1_25segmented_radix_sort_implIS3_Lb1EPKbPbPKlPlN2at6native12_GLOBAL__N_18offset_tEEE10hipError_tPvRmT1_PNSt15iterator_traitsISK_E10value_typeET2_T3_PNSL_ISQ_E10value_typeET4_jRbjT5_SW_jjP12ihipStream_tbEUlT_E_NS1_11comp_targetILNS1_3genE5ELNS1_11target_archE942ELNS1_3gpuE9ELNS1_3repE0EEENS1_30default_config_static_selectorELNS0_4arch9wavefront6targetE0EEEvSK_,comdat
.Lfunc_end1533:
	.size	_ZN7rocprim17ROCPRIM_400000_NS6detail17trampoline_kernelINS0_14default_configENS1_36segmented_radix_sort_config_selectorIblEEZNS1_25segmented_radix_sort_implIS3_Lb1EPKbPbPKlPlN2at6native12_GLOBAL__N_18offset_tEEE10hipError_tPvRmT1_PNSt15iterator_traitsISK_E10value_typeET2_T3_PNSL_ISQ_E10value_typeET4_jRbjT5_SW_jjP12ihipStream_tbEUlT_E_NS1_11comp_targetILNS1_3genE5ELNS1_11target_archE942ELNS1_3gpuE9ELNS1_3repE0EEENS1_30default_config_static_selectorELNS0_4arch9wavefront6targetE0EEEvSK_, .Lfunc_end1533-_ZN7rocprim17ROCPRIM_400000_NS6detail17trampoline_kernelINS0_14default_configENS1_36segmented_radix_sort_config_selectorIblEEZNS1_25segmented_radix_sort_implIS3_Lb1EPKbPbPKlPlN2at6native12_GLOBAL__N_18offset_tEEE10hipError_tPvRmT1_PNSt15iterator_traitsISK_E10value_typeET2_T3_PNSL_ISQ_E10value_typeET4_jRbjT5_SW_jjP12ihipStream_tbEUlT_E_NS1_11comp_targetILNS1_3genE5ELNS1_11target_archE942ELNS1_3gpuE9ELNS1_3repE0EEENS1_30default_config_static_selectorELNS0_4arch9wavefront6targetE0EEEvSK_
                                        ; -- End function
	.section	.AMDGPU.csdata,"",@progbits
; Kernel info:
; codeLenInByte = 0
; NumSgprs: 0
; NumVgprs: 0
; ScratchSize: 0
; MemoryBound: 0
; FloatMode: 240
; IeeeMode: 1
; LDSByteSize: 0 bytes/workgroup (compile time only)
; SGPRBlocks: 0
; VGPRBlocks: 0
; NumSGPRsForWavesPerEU: 1
; NumVGPRsForWavesPerEU: 1
; Occupancy: 16
; WaveLimiterHint : 0
; COMPUTE_PGM_RSRC2:SCRATCH_EN: 0
; COMPUTE_PGM_RSRC2:USER_SGPR: 15
; COMPUTE_PGM_RSRC2:TRAP_HANDLER: 0
; COMPUTE_PGM_RSRC2:TGID_X_EN: 1
; COMPUTE_PGM_RSRC2:TGID_Y_EN: 0
; COMPUTE_PGM_RSRC2:TGID_Z_EN: 0
; COMPUTE_PGM_RSRC2:TIDIG_COMP_CNT: 0
	.section	.text._ZN7rocprim17ROCPRIM_400000_NS6detail17trampoline_kernelINS0_14default_configENS1_36segmented_radix_sort_config_selectorIblEEZNS1_25segmented_radix_sort_implIS3_Lb1EPKbPbPKlPlN2at6native12_GLOBAL__N_18offset_tEEE10hipError_tPvRmT1_PNSt15iterator_traitsISK_E10value_typeET2_T3_PNSL_ISQ_E10value_typeET4_jRbjT5_SW_jjP12ihipStream_tbEUlT_E_NS1_11comp_targetILNS1_3genE4ELNS1_11target_archE910ELNS1_3gpuE8ELNS1_3repE0EEENS1_30default_config_static_selectorELNS0_4arch9wavefront6targetE0EEEvSK_,"axG",@progbits,_ZN7rocprim17ROCPRIM_400000_NS6detail17trampoline_kernelINS0_14default_configENS1_36segmented_radix_sort_config_selectorIblEEZNS1_25segmented_radix_sort_implIS3_Lb1EPKbPbPKlPlN2at6native12_GLOBAL__N_18offset_tEEE10hipError_tPvRmT1_PNSt15iterator_traitsISK_E10value_typeET2_T3_PNSL_ISQ_E10value_typeET4_jRbjT5_SW_jjP12ihipStream_tbEUlT_E_NS1_11comp_targetILNS1_3genE4ELNS1_11target_archE910ELNS1_3gpuE8ELNS1_3repE0EEENS1_30default_config_static_selectorELNS0_4arch9wavefront6targetE0EEEvSK_,comdat
	.globl	_ZN7rocprim17ROCPRIM_400000_NS6detail17trampoline_kernelINS0_14default_configENS1_36segmented_radix_sort_config_selectorIblEEZNS1_25segmented_radix_sort_implIS3_Lb1EPKbPbPKlPlN2at6native12_GLOBAL__N_18offset_tEEE10hipError_tPvRmT1_PNSt15iterator_traitsISK_E10value_typeET2_T3_PNSL_ISQ_E10value_typeET4_jRbjT5_SW_jjP12ihipStream_tbEUlT_E_NS1_11comp_targetILNS1_3genE4ELNS1_11target_archE910ELNS1_3gpuE8ELNS1_3repE0EEENS1_30default_config_static_selectorELNS0_4arch9wavefront6targetE0EEEvSK_ ; -- Begin function _ZN7rocprim17ROCPRIM_400000_NS6detail17trampoline_kernelINS0_14default_configENS1_36segmented_radix_sort_config_selectorIblEEZNS1_25segmented_radix_sort_implIS3_Lb1EPKbPbPKlPlN2at6native12_GLOBAL__N_18offset_tEEE10hipError_tPvRmT1_PNSt15iterator_traitsISK_E10value_typeET2_T3_PNSL_ISQ_E10value_typeET4_jRbjT5_SW_jjP12ihipStream_tbEUlT_E_NS1_11comp_targetILNS1_3genE4ELNS1_11target_archE910ELNS1_3gpuE8ELNS1_3repE0EEENS1_30default_config_static_selectorELNS0_4arch9wavefront6targetE0EEEvSK_
	.p2align	8
	.type	_ZN7rocprim17ROCPRIM_400000_NS6detail17trampoline_kernelINS0_14default_configENS1_36segmented_radix_sort_config_selectorIblEEZNS1_25segmented_radix_sort_implIS3_Lb1EPKbPbPKlPlN2at6native12_GLOBAL__N_18offset_tEEE10hipError_tPvRmT1_PNSt15iterator_traitsISK_E10value_typeET2_T3_PNSL_ISQ_E10value_typeET4_jRbjT5_SW_jjP12ihipStream_tbEUlT_E_NS1_11comp_targetILNS1_3genE4ELNS1_11target_archE910ELNS1_3gpuE8ELNS1_3repE0EEENS1_30default_config_static_selectorELNS0_4arch9wavefront6targetE0EEEvSK_,@function
_ZN7rocprim17ROCPRIM_400000_NS6detail17trampoline_kernelINS0_14default_configENS1_36segmented_radix_sort_config_selectorIblEEZNS1_25segmented_radix_sort_implIS3_Lb1EPKbPbPKlPlN2at6native12_GLOBAL__N_18offset_tEEE10hipError_tPvRmT1_PNSt15iterator_traitsISK_E10value_typeET2_T3_PNSL_ISQ_E10value_typeET4_jRbjT5_SW_jjP12ihipStream_tbEUlT_E_NS1_11comp_targetILNS1_3genE4ELNS1_11target_archE910ELNS1_3gpuE8ELNS1_3repE0EEENS1_30default_config_static_selectorELNS0_4arch9wavefront6targetE0EEEvSK_: ; @_ZN7rocprim17ROCPRIM_400000_NS6detail17trampoline_kernelINS0_14default_configENS1_36segmented_radix_sort_config_selectorIblEEZNS1_25segmented_radix_sort_implIS3_Lb1EPKbPbPKlPlN2at6native12_GLOBAL__N_18offset_tEEE10hipError_tPvRmT1_PNSt15iterator_traitsISK_E10value_typeET2_T3_PNSL_ISQ_E10value_typeET4_jRbjT5_SW_jjP12ihipStream_tbEUlT_E_NS1_11comp_targetILNS1_3genE4ELNS1_11target_archE910ELNS1_3gpuE8ELNS1_3repE0EEENS1_30default_config_static_selectorELNS0_4arch9wavefront6targetE0EEEvSK_
; %bb.0:
	.section	.rodata,"a",@progbits
	.p2align	6, 0x0
	.amdhsa_kernel _ZN7rocprim17ROCPRIM_400000_NS6detail17trampoline_kernelINS0_14default_configENS1_36segmented_radix_sort_config_selectorIblEEZNS1_25segmented_radix_sort_implIS3_Lb1EPKbPbPKlPlN2at6native12_GLOBAL__N_18offset_tEEE10hipError_tPvRmT1_PNSt15iterator_traitsISK_E10value_typeET2_T3_PNSL_ISQ_E10value_typeET4_jRbjT5_SW_jjP12ihipStream_tbEUlT_E_NS1_11comp_targetILNS1_3genE4ELNS1_11target_archE910ELNS1_3gpuE8ELNS1_3repE0EEENS1_30default_config_static_selectorELNS0_4arch9wavefront6targetE0EEEvSK_
		.amdhsa_group_segment_fixed_size 0
		.amdhsa_private_segment_fixed_size 0
		.amdhsa_kernarg_size 96
		.amdhsa_user_sgpr_count 15
		.amdhsa_user_sgpr_dispatch_ptr 0
		.amdhsa_user_sgpr_queue_ptr 0
		.amdhsa_user_sgpr_kernarg_segment_ptr 1
		.amdhsa_user_sgpr_dispatch_id 0
		.amdhsa_user_sgpr_private_segment_size 0
		.amdhsa_wavefront_size32 1
		.amdhsa_uses_dynamic_stack 0
		.amdhsa_enable_private_segment 0
		.amdhsa_system_sgpr_workgroup_id_x 1
		.amdhsa_system_sgpr_workgroup_id_y 0
		.amdhsa_system_sgpr_workgroup_id_z 0
		.amdhsa_system_sgpr_workgroup_info 0
		.amdhsa_system_vgpr_workitem_id 0
		.amdhsa_next_free_vgpr 1
		.amdhsa_next_free_sgpr 1
		.amdhsa_reserve_vcc 0
		.amdhsa_float_round_mode_32 0
		.amdhsa_float_round_mode_16_64 0
		.amdhsa_float_denorm_mode_32 3
		.amdhsa_float_denorm_mode_16_64 3
		.amdhsa_dx10_clamp 1
		.amdhsa_ieee_mode 1
		.amdhsa_fp16_overflow 0
		.amdhsa_workgroup_processor_mode 1
		.amdhsa_memory_ordered 1
		.amdhsa_forward_progress 0
		.amdhsa_shared_vgpr_count 0
		.amdhsa_exception_fp_ieee_invalid_op 0
		.amdhsa_exception_fp_denorm_src 0
		.amdhsa_exception_fp_ieee_div_zero 0
		.amdhsa_exception_fp_ieee_overflow 0
		.amdhsa_exception_fp_ieee_underflow 0
		.amdhsa_exception_fp_ieee_inexact 0
		.amdhsa_exception_int_div_zero 0
	.end_amdhsa_kernel
	.section	.text._ZN7rocprim17ROCPRIM_400000_NS6detail17trampoline_kernelINS0_14default_configENS1_36segmented_radix_sort_config_selectorIblEEZNS1_25segmented_radix_sort_implIS3_Lb1EPKbPbPKlPlN2at6native12_GLOBAL__N_18offset_tEEE10hipError_tPvRmT1_PNSt15iterator_traitsISK_E10value_typeET2_T3_PNSL_ISQ_E10value_typeET4_jRbjT5_SW_jjP12ihipStream_tbEUlT_E_NS1_11comp_targetILNS1_3genE4ELNS1_11target_archE910ELNS1_3gpuE8ELNS1_3repE0EEENS1_30default_config_static_selectorELNS0_4arch9wavefront6targetE0EEEvSK_,"axG",@progbits,_ZN7rocprim17ROCPRIM_400000_NS6detail17trampoline_kernelINS0_14default_configENS1_36segmented_radix_sort_config_selectorIblEEZNS1_25segmented_radix_sort_implIS3_Lb1EPKbPbPKlPlN2at6native12_GLOBAL__N_18offset_tEEE10hipError_tPvRmT1_PNSt15iterator_traitsISK_E10value_typeET2_T3_PNSL_ISQ_E10value_typeET4_jRbjT5_SW_jjP12ihipStream_tbEUlT_E_NS1_11comp_targetILNS1_3genE4ELNS1_11target_archE910ELNS1_3gpuE8ELNS1_3repE0EEENS1_30default_config_static_selectorELNS0_4arch9wavefront6targetE0EEEvSK_,comdat
.Lfunc_end1534:
	.size	_ZN7rocprim17ROCPRIM_400000_NS6detail17trampoline_kernelINS0_14default_configENS1_36segmented_radix_sort_config_selectorIblEEZNS1_25segmented_radix_sort_implIS3_Lb1EPKbPbPKlPlN2at6native12_GLOBAL__N_18offset_tEEE10hipError_tPvRmT1_PNSt15iterator_traitsISK_E10value_typeET2_T3_PNSL_ISQ_E10value_typeET4_jRbjT5_SW_jjP12ihipStream_tbEUlT_E_NS1_11comp_targetILNS1_3genE4ELNS1_11target_archE910ELNS1_3gpuE8ELNS1_3repE0EEENS1_30default_config_static_selectorELNS0_4arch9wavefront6targetE0EEEvSK_, .Lfunc_end1534-_ZN7rocprim17ROCPRIM_400000_NS6detail17trampoline_kernelINS0_14default_configENS1_36segmented_radix_sort_config_selectorIblEEZNS1_25segmented_radix_sort_implIS3_Lb1EPKbPbPKlPlN2at6native12_GLOBAL__N_18offset_tEEE10hipError_tPvRmT1_PNSt15iterator_traitsISK_E10value_typeET2_T3_PNSL_ISQ_E10value_typeET4_jRbjT5_SW_jjP12ihipStream_tbEUlT_E_NS1_11comp_targetILNS1_3genE4ELNS1_11target_archE910ELNS1_3gpuE8ELNS1_3repE0EEENS1_30default_config_static_selectorELNS0_4arch9wavefront6targetE0EEEvSK_
                                        ; -- End function
	.section	.AMDGPU.csdata,"",@progbits
; Kernel info:
; codeLenInByte = 0
; NumSgprs: 0
; NumVgprs: 0
; ScratchSize: 0
; MemoryBound: 0
; FloatMode: 240
; IeeeMode: 1
; LDSByteSize: 0 bytes/workgroup (compile time only)
; SGPRBlocks: 0
; VGPRBlocks: 0
; NumSGPRsForWavesPerEU: 1
; NumVGPRsForWavesPerEU: 1
; Occupancy: 16
; WaveLimiterHint : 0
; COMPUTE_PGM_RSRC2:SCRATCH_EN: 0
; COMPUTE_PGM_RSRC2:USER_SGPR: 15
; COMPUTE_PGM_RSRC2:TRAP_HANDLER: 0
; COMPUTE_PGM_RSRC2:TGID_X_EN: 1
; COMPUTE_PGM_RSRC2:TGID_Y_EN: 0
; COMPUTE_PGM_RSRC2:TGID_Z_EN: 0
; COMPUTE_PGM_RSRC2:TIDIG_COMP_CNT: 0
	.section	.text._ZN7rocprim17ROCPRIM_400000_NS6detail17trampoline_kernelINS0_14default_configENS1_36segmented_radix_sort_config_selectorIblEEZNS1_25segmented_radix_sort_implIS3_Lb1EPKbPbPKlPlN2at6native12_GLOBAL__N_18offset_tEEE10hipError_tPvRmT1_PNSt15iterator_traitsISK_E10value_typeET2_T3_PNSL_ISQ_E10value_typeET4_jRbjT5_SW_jjP12ihipStream_tbEUlT_E_NS1_11comp_targetILNS1_3genE3ELNS1_11target_archE908ELNS1_3gpuE7ELNS1_3repE0EEENS1_30default_config_static_selectorELNS0_4arch9wavefront6targetE0EEEvSK_,"axG",@progbits,_ZN7rocprim17ROCPRIM_400000_NS6detail17trampoline_kernelINS0_14default_configENS1_36segmented_radix_sort_config_selectorIblEEZNS1_25segmented_radix_sort_implIS3_Lb1EPKbPbPKlPlN2at6native12_GLOBAL__N_18offset_tEEE10hipError_tPvRmT1_PNSt15iterator_traitsISK_E10value_typeET2_T3_PNSL_ISQ_E10value_typeET4_jRbjT5_SW_jjP12ihipStream_tbEUlT_E_NS1_11comp_targetILNS1_3genE3ELNS1_11target_archE908ELNS1_3gpuE7ELNS1_3repE0EEENS1_30default_config_static_selectorELNS0_4arch9wavefront6targetE0EEEvSK_,comdat
	.globl	_ZN7rocprim17ROCPRIM_400000_NS6detail17trampoline_kernelINS0_14default_configENS1_36segmented_radix_sort_config_selectorIblEEZNS1_25segmented_radix_sort_implIS3_Lb1EPKbPbPKlPlN2at6native12_GLOBAL__N_18offset_tEEE10hipError_tPvRmT1_PNSt15iterator_traitsISK_E10value_typeET2_T3_PNSL_ISQ_E10value_typeET4_jRbjT5_SW_jjP12ihipStream_tbEUlT_E_NS1_11comp_targetILNS1_3genE3ELNS1_11target_archE908ELNS1_3gpuE7ELNS1_3repE0EEENS1_30default_config_static_selectorELNS0_4arch9wavefront6targetE0EEEvSK_ ; -- Begin function _ZN7rocprim17ROCPRIM_400000_NS6detail17trampoline_kernelINS0_14default_configENS1_36segmented_radix_sort_config_selectorIblEEZNS1_25segmented_radix_sort_implIS3_Lb1EPKbPbPKlPlN2at6native12_GLOBAL__N_18offset_tEEE10hipError_tPvRmT1_PNSt15iterator_traitsISK_E10value_typeET2_T3_PNSL_ISQ_E10value_typeET4_jRbjT5_SW_jjP12ihipStream_tbEUlT_E_NS1_11comp_targetILNS1_3genE3ELNS1_11target_archE908ELNS1_3gpuE7ELNS1_3repE0EEENS1_30default_config_static_selectorELNS0_4arch9wavefront6targetE0EEEvSK_
	.p2align	8
	.type	_ZN7rocprim17ROCPRIM_400000_NS6detail17trampoline_kernelINS0_14default_configENS1_36segmented_radix_sort_config_selectorIblEEZNS1_25segmented_radix_sort_implIS3_Lb1EPKbPbPKlPlN2at6native12_GLOBAL__N_18offset_tEEE10hipError_tPvRmT1_PNSt15iterator_traitsISK_E10value_typeET2_T3_PNSL_ISQ_E10value_typeET4_jRbjT5_SW_jjP12ihipStream_tbEUlT_E_NS1_11comp_targetILNS1_3genE3ELNS1_11target_archE908ELNS1_3gpuE7ELNS1_3repE0EEENS1_30default_config_static_selectorELNS0_4arch9wavefront6targetE0EEEvSK_,@function
_ZN7rocprim17ROCPRIM_400000_NS6detail17trampoline_kernelINS0_14default_configENS1_36segmented_radix_sort_config_selectorIblEEZNS1_25segmented_radix_sort_implIS3_Lb1EPKbPbPKlPlN2at6native12_GLOBAL__N_18offset_tEEE10hipError_tPvRmT1_PNSt15iterator_traitsISK_E10value_typeET2_T3_PNSL_ISQ_E10value_typeET4_jRbjT5_SW_jjP12ihipStream_tbEUlT_E_NS1_11comp_targetILNS1_3genE3ELNS1_11target_archE908ELNS1_3gpuE7ELNS1_3repE0EEENS1_30default_config_static_selectorELNS0_4arch9wavefront6targetE0EEEvSK_: ; @_ZN7rocprim17ROCPRIM_400000_NS6detail17trampoline_kernelINS0_14default_configENS1_36segmented_radix_sort_config_selectorIblEEZNS1_25segmented_radix_sort_implIS3_Lb1EPKbPbPKlPlN2at6native12_GLOBAL__N_18offset_tEEE10hipError_tPvRmT1_PNSt15iterator_traitsISK_E10value_typeET2_T3_PNSL_ISQ_E10value_typeET4_jRbjT5_SW_jjP12ihipStream_tbEUlT_E_NS1_11comp_targetILNS1_3genE3ELNS1_11target_archE908ELNS1_3gpuE7ELNS1_3repE0EEENS1_30default_config_static_selectorELNS0_4arch9wavefront6targetE0EEEvSK_
; %bb.0:
	.section	.rodata,"a",@progbits
	.p2align	6, 0x0
	.amdhsa_kernel _ZN7rocprim17ROCPRIM_400000_NS6detail17trampoline_kernelINS0_14default_configENS1_36segmented_radix_sort_config_selectorIblEEZNS1_25segmented_radix_sort_implIS3_Lb1EPKbPbPKlPlN2at6native12_GLOBAL__N_18offset_tEEE10hipError_tPvRmT1_PNSt15iterator_traitsISK_E10value_typeET2_T3_PNSL_ISQ_E10value_typeET4_jRbjT5_SW_jjP12ihipStream_tbEUlT_E_NS1_11comp_targetILNS1_3genE3ELNS1_11target_archE908ELNS1_3gpuE7ELNS1_3repE0EEENS1_30default_config_static_selectorELNS0_4arch9wavefront6targetE0EEEvSK_
		.amdhsa_group_segment_fixed_size 0
		.amdhsa_private_segment_fixed_size 0
		.amdhsa_kernarg_size 96
		.amdhsa_user_sgpr_count 15
		.amdhsa_user_sgpr_dispatch_ptr 0
		.amdhsa_user_sgpr_queue_ptr 0
		.amdhsa_user_sgpr_kernarg_segment_ptr 1
		.amdhsa_user_sgpr_dispatch_id 0
		.amdhsa_user_sgpr_private_segment_size 0
		.amdhsa_wavefront_size32 1
		.amdhsa_uses_dynamic_stack 0
		.amdhsa_enable_private_segment 0
		.amdhsa_system_sgpr_workgroup_id_x 1
		.amdhsa_system_sgpr_workgroup_id_y 0
		.amdhsa_system_sgpr_workgroup_id_z 0
		.amdhsa_system_sgpr_workgroup_info 0
		.amdhsa_system_vgpr_workitem_id 0
		.amdhsa_next_free_vgpr 1
		.amdhsa_next_free_sgpr 1
		.amdhsa_reserve_vcc 0
		.amdhsa_float_round_mode_32 0
		.amdhsa_float_round_mode_16_64 0
		.amdhsa_float_denorm_mode_32 3
		.amdhsa_float_denorm_mode_16_64 3
		.amdhsa_dx10_clamp 1
		.amdhsa_ieee_mode 1
		.amdhsa_fp16_overflow 0
		.amdhsa_workgroup_processor_mode 1
		.amdhsa_memory_ordered 1
		.amdhsa_forward_progress 0
		.amdhsa_shared_vgpr_count 0
		.amdhsa_exception_fp_ieee_invalid_op 0
		.amdhsa_exception_fp_denorm_src 0
		.amdhsa_exception_fp_ieee_div_zero 0
		.amdhsa_exception_fp_ieee_overflow 0
		.amdhsa_exception_fp_ieee_underflow 0
		.amdhsa_exception_fp_ieee_inexact 0
		.amdhsa_exception_int_div_zero 0
	.end_amdhsa_kernel
	.section	.text._ZN7rocprim17ROCPRIM_400000_NS6detail17trampoline_kernelINS0_14default_configENS1_36segmented_radix_sort_config_selectorIblEEZNS1_25segmented_radix_sort_implIS3_Lb1EPKbPbPKlPlN2at6native12_GLOBAL__N_18offset_tEEE10hipError_tPvRmT1_PNSt15iterator_traitsISK_E10value_typeET2_T3_PNSL_ISQ_E10value_typeET4_jRbjT5_SW_jjP12ihipStream_tbEUlT_E_NS1_11comp_targetILNS1_3genE3ELNS1_11target_archE908ELNS1_3gpuE7ELNS1_3repE0EEENS1_30default_config_static_selectorELNS0_4arch9wavefront6targetE0EEEvSK_,"axG",@progbits,_ZN7rocprim17ROCPRIM_400000_NS6detail17trampoline_kernelINS0_14default_configENS1_36segmented_radix_sort_config_selectorIblEEZNS1_25segmented_radix_sort_implIS3_Lb1EPKbPbPKlPlN2at6native12_GLOBAL__N_18offset_tEEE10hipError_tPvRmT1_PNSt15iterator_traitsISK_E10value_typeET2_T3_PNSL_ISQ_E10value_typeET4_jRbjT5_SW_jjP12ihipStream_tbEUlT_E_NS1_11comp_targetILNS1_3genE3ELNS1_11target_archE908ELNS1_3gpuE7ELNS1_3repE0EEENS1_30default_config_static_selectorELNS0_4arch9wavefront6targetE0EEEvSK_,comdat
.Lfunc_end1535:
	.size	_ZN7rocprim17ROCPRIM_400000_NS6detail17trampoline_kernelINS0_14default_configENS1_36segmented_radix_sort_config_selectorIblEEZNS1_25segmented_radix_sort_implIS3_Lb1EPKbPbPKlPlN2at6native12_GLOBAL__N_18offset_tEEE10hipError_tPvRmT1_PNSt15iterator_traitsISK_E10value_typeET2_T3_PNSL_ISQ_E10value_typeET4_jRbjT5_SW_jjP12ihipStream_tbEUlT_E_NS1_11comp_targetILNS1_3genE3ELNS1_11target_archE908ELNS1_3gpuE7ELNS1_3repE0EEENS1_30default_config_static_selectorELNS0_4arch9wavefront6targetE0EEEvSK_, .Lfunc_end1535-_ZN7rocprim17ROCPRIM_400000_NS6detail17trampoline_kernelINS0_14default_configENS1_36segmented_radix_sort_config_selectorIblEEZNS1_25segmented_radix_sort_implIS3_Lb1EPKbPbPKlPlN2at6native12_GLOBAL__N_18offset_tEEE10hipError_tPvRmT1_PNSt15iterator_traitsISK_E10value_typeET2_T3_PNSL_ISQ_E10value_typeET4_jRbjT5_SW_jjP12ihipStream_tbEUlT_E_NS1_11comp_targetILNS1_3genE3ELNS1_11target_archE908ELNS1_3gpuE7ELNS1_3repE0EEENS1_30default_config_static_selectorELNS0_4arch9wavefront6targetE0EEEvSK_
                                        ; -- End function
	.section	.AMDGPU.csdata,"",@progbits
; Kernel info:
; codeLenInByte = 0
; NumSgprs: 0
; NumVgprs: 0
; ScratchSize: 0
; MemoryBound: 0
; FloatMode: 240
; IeeeMode: 1
; LDSByteSize: 0 bytes/workgroup (compile time only)
; SGPRBlocks: 0
; VGPRBlocks: 0
; NumSGPRsForWavesPerEU: 1
; NumVGPRsForWavesPerEU: 1
; Occupancy: 16
; WaveLimiterHint : 0
; COMPUTE_PGM_RSRC2:SCRATCH_EN: 0
; COMPUTE_PGM_RSRC2:USER_SGPR: 15
; COMPUTE_PGM_RSRC2:TRAP_HANDLER: 0
; COMPUTE_PGM_RSRC2:TGID_X_EN: 1
; COMPUTE_PGM_RSRC2:TGID_Y_EN: 0
; COMPUTE_PGM_RSRC2:TGID_Z_EN: 0
; COMPUTE_PGM_RSRC2:TIDIG_COMP_CNT: 0
	.section	.text._ZN7rocprim17ROCPRIM_400000_NS6detail17trampoline_kernelINS0_14default_configENS1_36segmented_radix_sort_config_selectorIblEEZNS1_25segmented_radix_sort_implIS3_Lb1EPKbPbPKlPlN2at6native12_GLOBAL__N_18offset_tEEE10hipError_tPvRmT1_PNSt15iterator_traitsISK_E10value_typeET2_T3_PNSL_ISQ_E10value_typeET4_jRbjT5_SW_jjP12ihipStream_tbEUlT_E_NS1_11comp_targetILNS1_3genE2ELNS1_11target_archE906ELNS1_3gpuE6ELNS1_3repE0EEENS1_30default_config_static_selectorELNS0_4arch9wavefront6targetE0EEEvSK_,"axG",@progbits,_ZN7rocprim17ROCPRIM_400000_NS6detail17trampoline_kernelINS0_14default_configENS1_36segmented_radix_sort_config_selectorIblEEZNS1_25segmented_radix_sort_implIS3_Lb1EPKbPbPKlPlN2at6native12_GLOBAL__N_18offset_tEEE10hipError_tPvRmT1_PNSt15iterator_traitsISK_E10value_typeET2_T3_PNSL_ISQ_E10value_typeET4_jRbjT5_SW_jjP12ihipStream_tbEUlT_E_NS1_11comp_targetILNS1_3genE2ELNS1_11target_archE906ELNS1_3gpuE6ELNS1_3repE0EEENS1_30default_config_static_selectorELNS0_4arch9wavefront6targetE0EEEvSK_,comdat
	.globl	_ZN7rocprim17ROCPRIM_400000_NS6detail17trampoline_kernelINS0_14default_configENS1_36segmented_radix_sort_config_selectorIblEEZNS1_25segmented_radix_sort_implIS3_Lb1EPKbPbPKlPlN2at6native12_GLOBAL__N_18offset_tEEE10hipError_tPvRmT1_PNSt15iterator_traitsISK_E10value_typeET2_T3_PNSL_ISQ_E10value_typeET4_jRbjT5_SW_jjP12ihipStream_tbEUlT_E_NS1_11comp_targetILNS1_3genE2ELNS1_11target_archE906ELNS1_3gpuE6ELNS1_3repE0EEENS1_30default_config_static_selectorELNS0_4arch9wavefront6targetE0EEEvSK_ ; -- Begin function _ZN7rocprim17ROCPRIM_400000_NS6detail17trampoline_kernelINS0_14default_configENS1_36segmented_radix_sort_config_selectorIblEEZNS1_25segmented_radix_sort_implIS3_Lb1EPKbPbPKlPlN2at6native12_GLOBAL__N_18offset_tEEE10hipError_tPvRmT1_PNSt15iterator_traitsISK_E10value_typeET2_T3_PNSL_ISQ_E10value_typeET4_jRbjT5_SW_jjP12ihipStream_tbEUlT_E_NS1_11comp_targetILNS1_3genE2ELNS1_11target_archE906ELNS1_3gpuE6ELNS1_3repE0EEENS1_30default_config_static_selectorELNS0_4arch9wavefront6targetE0EEEvSK_
	.p2align	8
	.type	_ZN7rocprim17ROCPRIM_400000_NS6detail17trampoline_kernelINS0_14default_configENS1_36segmented_radix_sort_config_selectorIblEEZNS1_25segmented_radix_sort_implIS3_Lb1EPKbPbPKlPlN2at6native12_GLOBAL__N_18offset_tEEE10hipError_tPvRmT1_PNSt15iterator_traitsISK_E10value_typeET2_T3_PNSL_ISQ_E10value_typeET4_jRbjT5_SW_jjP12ihipStream_tbEUlT_E_NS1_11comp_targetILNS1_3genE2ELNS1_11target_archE906ELNS1_3gpuE6ELNS1_3repE0EEENS1_30default_config_static_selectorELNS0_4arch9wavefront6targetE0EEEvSK_,@function
_ZN7rocprim17ROCPRIM_400000_NS6detail17trampoline_kernelINS0_14default_configENS1_36segmented_radix_sort_config_selectorIblEEZNS1_25segmented_radix_sort_implIS3_Lb1EPKbPbPKlPlN2at6native12_GLOBAL__N_18offset_tEEE10hipError_tPvRmT1_PNSt15iterator_traitsISK_E10value_typeET2_T3_PNSL_ISQ_E10value_typeET4_jRbjT5_SW_jjP12ihipStream_tbEUlT_E_NS1_11comp_targetILNS1_3genE2ELNS1_11target_archE906ELNS1_3gpuE6ELNS1_3repE0EEENS1_30default_config_static_selectorELNS0_4arch9wavefront6targetE0EEEvSK_: ; @_ZN7rocprim17ROCPRIM_400000_NS6detail17trampoline_kernelINS0_14default_configENS1_36segmented_radix_sort_config_selectorIblEEZNS1_25segmented_radix_sort_implIS3_Lb1EPKbPbPKlPlN2at6native12_GLOBAL__N_18offset_tEEE10hipError_tPvRmT1_PNSt15iterator_traitsISK_E10value_typeET2_T3_PNSL_ISQ_E10value_typeET4_jRbjT5_SW_jjP12ihipStream_tbEUlT_E_NS1_11comp_targetILNS1_3genE2ELNS1_11target_archE906ELNS1_3gpuE6ELNS1_3repE0EEENS1_30default_config_static_selectorELNS0_4arch9wavefront6targetE0EEEvSK_
; %bb.0:
	.section	.rodata,"a",@progbits
	.p2align	6, 0x0
	.amdhsa_kernel _ZN7rocprim17ROCPRIM_400000_NS6detail17trampoline_kernelINS0_14default_configENS1_36segmented_radix_sort_config_selectorIblEEZNS1_25segmented_radix_sort_implIS3_Lb1EPKbPbPKlPlN2at6native12_GLOBAL__N_18offset_tEEE10hipError_tPvRmT1_PNSt15iterator_traitsISK_E10value_typeET2_T3_PNSL_ISQ_E10value_typeET4_jRbjT5_SW_jjP12ihipStream_tbEUlT_E_NS1_11comp_targetILNS1_3genE2ELNS1_11target_archE906ELNS1_3gpuE6ELNS1_3repE0EEENS1_30default_config_static_selectorELNS0_4arch9wavefront6targetE0EEEvSK_
		.amdhsa_group_segment_fixed_size 0
		.amdhsa_private_segment_fixed_size 0
		.amdhsa_kernarg_size 96
		.amdhsa_user_sgpr_count 15
		.amdhsa_user_sgpr_dispatch_ptr 0
		.amdhsa_user_sgpr_queue_ptr 0
		.amdhsa_user_sgpr_kernarg_segment_ptr 1
		.amdhsa_user_sgpr_dispatch_id 0
		.amdhsa_user_sgpr_private_segment_size 0
		.amdhsa_wavefront_size32 1
		.amdhsa_uses_dynamic_stack 0
		.amdhsa_enable_private_segment 0
		.amdhsa_system_sgpr_workgroup_id_x 1
		.amdhsa_system_sgpr_workgroup_id_y 0
		.amdhsa_system_sgpr_workgroup_id_z 0
		.amdhsa_system_sgpr_workgroup_info 0
		.amdhsa_system_vgpr_workitem_id 0
		.amdhsa_next_free_vgpr 1
		.amdhsa_next_free_sgpr 1
		.amdhsa_reserve_vcc 0
		.amdhsa_float_round_mode_32 0
		.amdhsa_float_round_mode_16_64 0
		.amdhsa_float_denorm_mode_32 3
		.amdhsa_float_denorm_mode_16_64 3
		.amdhsa_dx10_clamp 1
		.amdhsa_ieee_mode 1
		.amdhsa_fp16_overflow 0
		.amdhsa_workgroup_processor_mode 1
		.amdhsa_memory_ordered 1
		.amdhsa_forward_progress 0
		.amdhsa_shared_vgpr_count 0
		.amdhsa_exception_fp_ieee_invalid_op 0
		.amdhsa_exception_fp_denorm_src 0
		.amdhsa_exception_fp_ieee_div_zero 0
		.amdhsa_exception_fp_ieee_overflow 0
		.amdhsa_exception_fp_ieee_underflow 0
		.amdhsa_exception_fp_ieee_inexact 0
		.amdhsa_exception_int_div_zero 0
	.end_amdhsa_kernel
	.section	.text._ZN7rocprim17ROCPRIM_400000_NS6detail17trampoline_kernelINS0_14default_configENS1_36segmented_radix_sort_config_selectorIblEEZNS1_25segmented_radix_sort_implIS3_Lb1EPKbPbPKlPlN2at6native12_GLOBAL__N_18offset_tEEE10hipError_tPvRmT1_PNSt15iterator_traitsISK_E10value_typeET2_T3_PNSL_ISQ_E10value_typeET4_jRbjT5_SW_jjP12ihipStream_tbEUlT_E_NS1_11comp_targetILNS1_3genE2ELNS1_11target_archE906ELNS1_3gpuE6ELNS1_3repE0EEENS1_30default_config_static_selectorELNS0_4arch9wavefront6targetE0EEEvSK_,"axG",@progbits,_ZN7rocprim17ROCPRIM_400000_NS6detail17trampoline_kernelINS0_14default_configENS1_36segmented_radix_sort_config_selectorIblEEZNS1_25segmented_radix_sort_implIS3_Lb1EPKbPbPKlPlN2at6native12_GLOBAL__N_18offset_tEEE10hipError_tPvRmT1_PNSt15iterator_traitsISK_E10value_typeET2_T3_PNSL_ISQ_E10value_typeET4_jRbjT5_SW_jjP12ihipStream_tbEUlT_E_NS1_11comp_targetILNS1_3genE2ELNS1_11target_archE906ELNS1_3gpuE6ELNS1_3repE0EEENS1_30default_config_static_selectorELNS0_4arch9wavefront6targetE0EEEvSK_,comdat
.Lfunc_end1536:
	.size	_ZN7rocprim17ROCPRIM_400000_NS6detail17trampoline_kernelINS0_14default_configENS1_36segmented_radix_sort_config_selectorIblEEZNS1_25segmented_radix_sort_implIS3_Lb1EPKbPbPKlPlN2at6native12_GLOBAL__N_18offset_tEEE10hipError_tPvRmT1_PNSt15iterator_traitsISK_E10value_typeET2_T3_PNSL_ISQ_E10value_typeET4_jRbjT5_SW_jjP12ihipStream_tbEUlT_E_NS1_11comp_targetILNS1_3genE2ELNS1_11target_archE906ELNS1_3gpuE6ELNS1_3repE0EEENS1_30default_config_static_selectorELNS0_4arch9wavefront6targetE0EEEvSK_, .Lfunc_end1536-_ZN7rocprim17ROCPRIM_400000_NS6detail17trampoline_kernelINS0_14default_configENS1_36segmented_radix_sort_config_selectorIblEEZNS1_25segmented_radix_sort_implIS3_Lb1EPKbPbPKlPlN2at6native12_GLOBAL__N_18offset_tEEE10hipError_tPvRmT1_PNSt15iterator_traitsISK_E10value_typeET2_T3_PNSL_ISQ_E10value_typeET4_jRbjT5_SW_jjP12ihipStream_tbEUlT_E_NS1_11comp_targetILNS1_3genE2ELNS1_11target_archE906ELNS1_3gpuE6ELNS1_3repE0EEENS1_30default_config_static_selectorELNS0_4arch9wavefront6targetE0EEEvSK_
                                        ; -- End function
	.section	.AMDGPU.csdata,"",@progbits
; Kernel info:
; codeLenInByte = 0
; NumSgprs: 0
; NumVgprs: 0
; ScratchSize: 0
; MemoryBound: 0
; FloatMode: 240
; IeeeMode: 1
; LDSByteSize: 0 bytes/workgroup (compile time only)
; SGPRBlocks: 0
; VGPRBlocks: 0
; NumSGPRsForWavesPerEU: 1
; NumVGPRsForWavesPerEU: 1
; Occupancy: 16
; WaveLimiterHint : 0
; COMPUTE_PGM_RSRC2:SCRATCH_EN: 0
; COMPUTE_PGM_RSRC2:USER_SGPR: 15
; COMPUTE_PGM_RSRC2:TRAP_HANDLER: 0
; COMPUTE_PGM_RSRC2:TGID_X_EN: 1
; COMPUTE_PGM_RSRC2:TGID_Y_EN: 0
; COMPUTE_PGM_RSRC2:TGID_Z_EN: 0
; COMPUTE_PGM_RSRC2:TIDIG_COMP_CNT: 0
	.section	.text._ZN7rocprim17ROCPRIM_400000_NS6detail17trampoline_kernelINS0_14default_configENS1_36segmented_radix_sort_config_selectorIblEEZNS1_25segmented_radix_sort_implIS3_Lb1EPKbPbPKlPlN2at6native12_GLOBAL__N_18offset_tEEE10hipError_tPvRmT1_PNSt15iterator_traitsISK_E10value_typeET2_T3_PNSL_ISQ_E10value_typeET4_jRbjT5_SW_jjP12ihipStream_tbEUlT_E_NS1_11comp_targetILNS1_3genE10ELNS1_11target_archE1201ELNS1_3gpuE5ELNS1_3repE0EEENS1_30default_config_static_selectorELNS0_4arch9wavefront6targetE0EEEvSK_,"axG",@progbits,_ZN7rocprim17ROCPRIM_400000_NS6detail17trampoline_kernelINS0_14default_configENS1_36segmented_radix_sort_config_selectorIblEEZNS1_25segmented_radix_sort_implIS3_Lb1EPKbPbPKlPlN2at6native12_GLOBAL__N_18offset_tEEE10hipError_tPvRmT1_PNSt15iterator_traitsISK_E10value_typeET2_T3_PNSL_ISQ_E10value_typeET4_jRbjT5_SW_jjP12ihipStream_tbEUlT_E_NS1_11comp_targetILNS1_3genE10ELNS1_11target_archE1201ELNS1_3gpuE5ELNS1_3repE0EEENS1_30default_config_static_selectorELNS0_4arch9wavefront6targetE0EEEvSK_,comdat
	.globl	_ZN7rocprim17ROCPRIM_400000_NS6detail17trampoline_kernelINS0_14default_configENS1_36segmented_radix_sort_config_selectorIblEEZNS1_25segmented_radix_sort_implIS3_Lb1EPKbPbPKlPlN2at6native12_GLOBAL__N_18offset_tEEE10hipError_tPvRmT1_PNSt15iterator_traitsISK_E10value_typeET2_T3_PNSL_ISQ_E10value_typeET4_jRbjT5_SW_jjP12ihipStream_tbEUlT_E_NS1_11comp_targetILNS1_3genE10ELNS1_11target_archE1201ELNS1_3gpuE5ELNS1_3repE0EEENS1_30default_config_static_selectorELNS0_4arch9wavefront6targetE0EEEvSK_ ; -- Begin function _ZN7rocprim17ROCPRIM_400000_NS6detail17trampoline_kernelINS0_14default_configENS1_36segmented_radix_sort_config_selectorIblEEZNS1_25segmented_radix_sort_implIS3_Lb1EPKbPbPKlPlN2at6native12_GLOBAL__N_18offset_tEEE10hipError_tPvRmT1_PNSt15iterator_traitsISK_E10value_typeET2_T3_PNSL_ISQ_E10value_typeET4_jRbjT5_SW_jjP12ihipStream_tbEUlT_E_NS1_11comp_targetILNS1_3genE10ELNS1_11target_archE1201ELNS1_3gpuE5ELNS1_3repE0EEENS1_30default_config_static_selectorELNS0_4arch9wavefront6targetE0EEEvSK_
	.p2align	8
	.type	_ZN7rocprim17ROCPRIM_400000_NS6detail17trampoline_kernelINS0_14default_configENS1_36segmented_radix_sort_config_selectorIblEEZNS1_25segmented_radix_sort_implIS3_Lb1EPKbPbPKlPlN2at6native12_GLOBAL__N_18offset_tEEE10hipError_tPvRmT1_PNSt15iterator_traitsISK_E10value_typeET2_T3_PNSL_ISQ_E10value_typeET4_jRbjT5_SW_jjP12ihipStream_tbEUlT_E_NS1_11comp_targetILNS1_3genE10ELNS1_11target_archE1201ELNS1_3gpuE5ELNS1_3repE0EEENS1_30default_config_static_selectorELNS0_4arch9wavefront6targetE0EEEvSK_,@function
_ZN7rocprim17ROCPRIM_400000_NS6detail17trampoline_kernelINS0_14default_configENS1_36segmented_radix_sort_config_selectorIblEEZNS1_25segmented_radix_sort_implIS3_Lb1EPKbPbPKlPlN2at6native12_GLOBAL__N_18offset_tEEE10hipError_tPvRmT1_PNSt15iterator_traitsISK_E10value_typeET2_T3_PNSL_ISQ_E10value_typeET4_jRbjT5_SW_jjP12ihipStream_tbEUlT_E_NS1_11comp_targetILNS1_3genE10ELNS1_11target_archE1201ELNS1_3gpuE5ELNS1_3repE0EEENS1_30default_config_static_selectorELNS0_4arch9wavefront6targetE0EEEvSK_: ; @_ZN7rocprim17ROCPRIM_400000_NS6detail17trampoline_kernelINS0_14default_configENS1_36segmented_radix_sort_config_selectorIblEEZNS1_25segmented_radix_sort_implIS3_Lb1EPKbPbPKlPlN2at6native12_GLOBAL__N_18offset_tEEE10hipError_tPvRmT1_PNSt15iterator_traitsISK_E10value_typeET2_T3_PNSL_ISQ_E10value_typeET4_jRbjT5_SW_jjP12ihipStream_tbEUlT_E_NS1_11comp_targetILNS1_3genE10ELNS1_11target_archE1201ELNS1_3gpuE5ELNS1_3repE0EEENS1_30default_config_static_selectorELNS0_4arch9wavefront6targetE0EEEvSK_
; %bb.0:
	.section	.rodata,"a",@progbits
	.p2align	6, 0x0
	.amdhsa_kernel _ZN7rocprim17ROCPRIM_400000_NS6detail17trampoline_kernelINS0_14default_configENS1_36segmented_radix_sort_config_selectorIblEEZNS1_25segmented_radix_sort_implIS3_Lb1EPKbPbPKlPlN2at6native12_GLOBAL__N_18offset_tEEE10hipError_tPvRmT1_PNSt15iterator_traitsISK_E10value_typeET2_T3_PNSL_ISQ_E10value_typeET4_jRbjT5_SW_jjP12ihipStream_tbEUlT_E_NS1_11comp_targetILNS1_3genE10ELNS1_11target_archE1201ELNS1_3gpuE5ELNS1_3repE0EEENS1_30default_config_static_selectorELNS0_4arch9wavefront6targetE0EEEvSK_
		.amdhsa_group_segment_fixed_size 0
		.amdhsa_private_segment_fixed_size 0
		.amdhsa_kernarg_size 96
		.amdhsa_user_sgpr_count 15
		.amdhsa_user_sgpr_dispatch_ptr 0
		.amdhsa_user_sgpr_queue_ptr 0
		.amdhsa_user_sgpr_kernarg_segment_ptr 1
		.amdhsa_user_sgpr_dispatch_id 0
		.amdhsa_user_sgpr_private_segment_size 0
		.amdhsa_wavefront_size32 1
		.amdhsa_uses_dynamic_stack 0
		.amdhsa_enable_private_segment 0
		.amdhsa_system_sgpr_workgroup_id_x 1
		.amdhsa_system_sgpr_workgroup_id_y 0
		.amdhsa_system_sgpr_workgroup_id_z 0
		.amdhsa_system_sgpr_workgroup_info 0
		.amdhsa_system_vgpr_workitem_id 0
		.amdhsa_next_free_vgpr 1
		.amdhsa_next_free_sgpr 1
		.amdhsa_reserve_vcc 0
		.amdhsa_float_round_mode_32 0
		.amdhsa_float_round_mode_16_64 0
		.amdhsa_float_denorm_mode_32 3
		.amdhsa_float_denorm_mode_16_64 3
		.amdhsa_dx10_clamp 1
		.amdhsa_ieee_mode 1
		.amdhsa_fp16_overflow 0
		.amdhsa_workgroup_processor_mode 1
		.amdhsa_memory_ordered 1
		.amdhsa_forward_progress 0
		.amdhsa_shared_vgpr_count 0
		.amdhsa_exception_fp_ieee_invalid_op 0
		.amdhsa_exception_fp_denorm_src 0
		.amdhsa_exception_fp_ieee_div_zero 0
		.amdhsa_exception_fp_ieee_overflow 0
		.amdhsa_exception_fp_ieee_underflow 0
		.amdhsa_exception_fp_ieee_inexact 0
		.amdhsa_exception_int_div_zero 0
	.end_amdhsa_kernel
	.section	.text._ZN7rocprim17ROCPRIM_400000_NS6detail17trampoline_kernelINS0_14default_configENS1_36segmented_radix_sort_config_selectorIblEEZNS1_25segmented_radix_sort_implIS3_Lb1EPKbPbPKlPlN2at6native12_GLOBAL__N_18offset_tEEE10hipError_tPvRmT1_PNSt15iterator_traitsISK_E10value_typeET2_T3_PNSL_ISQ_E10value_typeET4_jRbjT5_SW_jjP12ihipStream_tbEUlT_E_NS1_11comp_targetILNS1_3genE10ELNS1_11target_archE1201ELNS1_3gpuE5ELNS1_3repE0EEENS1_30default_config_static_selectorELNS0_4arch9wavefront6targetE0EEEvSK_,"axG",@progbits,_ZN7rocprim17ROCPRIM_400000_NS6detail17trampoline_kernelINS0_14default_configENS1_36segmented_radix_sort_config_selectorIblEEZNS1_25segmented_radix_sort_implIS3_Lb1EPKbPbPKlPlN2at6native12_GLOBAL__N_18offset_tEEE10hipError_tPvRmT1_PNSt15iterator_traitsISK_E10value_typeET2_T3_PNSL_ISQ_E10value_typeET4_jRbjT5_SW_jjP12ihipStream_tbEUlT_E_NS1_11comp_targetILNS1_3genE10ELNS1_11target_archE1201ELNS1_3gpuE5ELNS1_3repE0EEENS1_30default_config_static_selectorELNS0_4arch9wavefront6targetE0EEEvSK_,comdat
.Lfunc_end1537:
	.size	_ZN7rocprim17ROCPRIM_400000_NS6detail17trampoline_kernelINS0_14default_configENS1_36segmented_radix_sort_config_selectorIblEEZNS1_25segmented_radix_sort_implIS3_Lb1EPKbPbPKlPlN2at6native12_GLOBAL__N_18offset_tEEE10hipError_tPvRmT1_PNSt15iterator_traitsISK_E10value_typeET2_T3_PNSL_ISQ_E10value_typeET4_jRbjT5_SW_jjP12ihipStream_tbEUlT_E_NS1_11comp_targetILNS1_3genE10ELNS1_11target_archE1201ELNS1_3gpuE5ELNS1_3repE0EEENS1_30default_config_static_selectorELNS0_4arch9wavefront6targetE0EEEvSK_, .Lfunc_end1537-_ZN7rocprim17ROCPRIM_400000_NS6detail17trampoline_kernelINS0_14default_configENS1_36segmented_radix_sort_config_selectorIblEEZNS1_25segmented_radix_sort_implIS3_Lb1EPKbPbPKlPlN2at6native12_GLOBAL__N_18offset_tEEE10hipError_tPvRmT1_PNSt15iterator_traitsISK_E10value_typeET2_T3_PNSL_ISQ_E10value_typeET4_jRbjT5_SW_jjP12ihipStream_tbEUlT_E_NS1_11comp_targetILNS1_3genE10ELNS1_11target_archE1201ELNS1_3gpuE5ELNS1_3repE0EEENS1_30default_config_static_selectorELNS0_4arch9wavefront6targetE0EEEvSK_
                                        ; -- End function
	.section	.AMDGPU.csdata,"",@progbits
; Kernel info:
; codeLenInByte = 0
; NumSgprs: 0
; NumVgprs: 0
; ScratchSize: 0
; MemoryBound: 0
; FloatMode: 240
; IeeeMode: 1
; LDSByteSize: 0 bytes/workgroup (compile time only)
; SGPRBlocks: 0
; VGPRBlocks: 0
; NumSGPRsForWavesPerEU: 1
; NumVGPRsForWavesPerEU: 1
; Occupancy: 16
; WaveLimiterHint : 0
; COMPUTE_PGM_RSRC2:SCRATCH_EN: 0
; COMPUTE_PGM_RSRC2:USER_SGPR: 15
; COMPUTE_PGM_RSRC2:TRAP_HANDLER: 0
; COMPUTE_PGM_RSRC2:TGID_X_EN: 1
; COMPUTE_PGM_RSRC2:TGID_Y_EN: 0
; COMPUTE_PGM_RSRC2:TGID_Z_EN: 0
; COMPUTE_PGM_RSRC2:TIDIG_COMP_CNT: 0
	.section	.text._ZN7rocprim17ROCPRIM_400000_NS6detail17trampoline_kernelINS0_14default_configENS1_36segmented_radix_sort_config_selectorIblEEZNS1_25segmented_radix_sort_implIS3_Lb1EPKbPbPKlPlN2at6native12_GLOBAL__N_18offset_tEEE10hipError_tPvRmT1_PNSt15iterator_traitsISK_E10value_typeET2_T3_PNSL_ISQ_E10value_typeET4_jRbjT5_SW_jjP12ihipStream_tbEUlT_E_NS1_11comp_targetILNS1_3genE10ELNS1_11target_archE1200ELNS1_3gpuE4ELNS1_3repE0EEENS1_30default_config_static_selectorELNS0_4arch9wavefront6targetE0EEEvSK_,"axG",@progbits,_ZN7rocprim17ROCPRIM_400000_NS6detail17trampoline_kernelINS0_14default_configENS1_36segmented_radix_sort_config_selectorIblEEZNS1_25segmented_radix_sort_implIS3_Lb1EPKbPbPKlPlN2at6native12_GLOBAL__N_18offset_tEEE10hipError_tPvRmT1_PNSt15iterator_traitsISK_E10value_typeET2_T3_PNSL_ISQ_E10value_typeET4_jRbjT5_SW_jjP12ihipStream_tbEUlT_E_NS1_11comp_targetILNS1_3genE10ELNS1_11target_archE1200ELNS1_3gpuE4ELNS1_3repE0EEENS1_30default_config_static_selectorELNS0_4arch9wavefront6targetE0EEEvSK_,comdat
	.globl	_ZN7rocprim17ROCPRIM_400000_NS6detail17trampoline_kernelINS0_14default_configENS1_36segmented_radix_sort_config_selectorIblEEZNS1_25segmented_radix_sort_implIS3_Lb1EPKbPbPKlPlN2at6native12_GLOBAL__N_18offset_tEEE10hipError_tPvRmT1_PNSt15iterator_traitsISK_E10value_typeET2_T3_PNSL_ISQ_E10value_typeET4_jRbjT5_SW_jjP12ihipStream_tbEUlT_E_NS1_11comp_targetILNS1_3genE10ELNS1_11target_archE1200ELNS1_3gpuE4ELNS1_3repE0EEENS1_30default_config_static_selectorELNS0_4arch9wavefront6targetE0EEEvSK_ ; -- Begin function _ZN7rocprim17ROCPRIM_400000_NS6detail17trampoline_kernelINS0_14default_configENS1_36segmented_radix_sort_config_selectorIblEEZNS1_25segmented_radix_sort_implIS3_Lb1EPKbPbPKlPlN2at6native12_GLOBAL__N_18offset_tEEE10hipError_tPvRmT1_PNSt15iterator_traitsISK_E10value_typeET2_T3_PNSL_ISQ_E10value_typeET4_jRbjT5_SW_jjP12ihipStream_tbEUlT_E_NS1_11comp_targetILNS1_3genE10ELNS1_11target_archE1200ELNS1_3gpuE4ELNS1_3repE0EEENS1_30default_config_static_selectorELNS0_4arch9wavefront6targetE0EEEvSK_
	.p2align	8
	.type	_ZN7rocprim17ROCPRIM_400000_NS6detail17trampoline_kernelINS0_14default_configENS1_36segmented_radix_sort_config_selectorIblEEZNS1_25segmented_radix_sort_implIS3_Lb1EPKbPbPKlPlN2at6native12_GLOBAL__N_18offset_tEEE10hipError_tPvRmT1_PNSt15iterator_traitsISK_E10value_typeET2_T3_PNSL_ISQ_E10value_typeET4_jRbjT5_SW_jjP12ihipStream_tbEUlT_E_NS1_11comp_targetILNS1_3genE10ELNS1_11target_archE1200ELNS1_3gpuE4ELNS1_3repE0EEENS1_30default_config_static_selectorELNS0_4arch9wavefront6targetE0EEEvSK_,@function
_ZN7rocprim17ROCPRIM_400000_NS6detail17trampoline_kernelINS0_14default_configENS1_36segmented_radix_sort_config_selectorIblEEZNS1_25segmented_radix_sort_implIS3_Lb1EPKbPbPKlPlN2at6native12_GLOBAL__N_18offset_tEEE10hipError_tPvRmT1_PNSt15iterator_traitsISK_E10value_typeET2_T3_PNSL_ISQ_E10value_typeET4_jRbjT5_SW_jjP12ihipStream_tbEUlT_E_NS1_11comp_targetILNS1_3genE10ELNS1_11target_archE1200ELNS1_3gpuE4ELNS1_3repE0EEENS1_30default_config_static_selectorELNS0_4arch9wavefront6targetE0EEEvSK_: ; @_ZN7rocprim17ROCPRIM_400000_NS6detail17trampoline_kernelINS0_14default_configENS1_36segmented_radix_sort_config_selectorIblEEZNS1_25segmented_radix_sort_implIS3_Lb1EPKbPbPKlPlN2at6native12_GLOBAL__N_18offset_tEEE10hipError_tPvRmT1_PNSt15iterator_traitsISK_E10value_typeET2_T3_PNSL_ISQ_E10value_typeET4_jRbjT5_SW_jjP12ihipStream_tbEUlT_E_NS1_11comp_targetILNS1_3genE10ELNS1_11target_archE1200ELNS1_3gpuE4ELNS1_3repE0EEENS1_30default_config_static_selectorELNS0_4arch9wavefront6targetE0EEEvSK_
; %bb.0:
	.section	.rodata,"a",@progbits
	.p2align	6, 0x0
	.amdhsa_kernel _ZN7rocprim17ROCPRIM_400000_NS6detail17trampoline_kernelINS0_14default_configENS1_36segmented_radix_sort_config_selectorIblEEZNS1_25segmented_radix_sort_implIS3_Lb1EPKbPbPKlPlN2at6native12_GLOBAL__N_18offset_tEEE10hipError_tPvRmT1_PNSt15iterator_traitsISK_E10value_typeET2_T3_PNSL_ISQ_E10value_typeET4_jRbjT5_SW_jjP12ihipStream_tbEUlT_E_NS1_11comp_targetILNS1_3genE10ELNS1_11target_archE1200ELNS1_3gpuE4ELNS1_3repE0EEENS1_30default_config_static_selectorELNS0_4arch9wavefront6targetE0EEEvSK_
		.amdhsa_group_segment_fixed_size 0
		.amdhsa_private_segment_fixed_size 0
		.amdhsa_kernarg_size 96
		.amdhsa_user_sgpr_count 15
		.amdhsa_user_sgpr_dispatch_ptr 0
		.amdhsa_user_sgpr_queue_ptr 0
		.amdhsa_user_sgpr_kernarg_segment_ptr 1
		.amdhsa_user_sgpr_dispatch_id 0
		.amdhsa_user_sgpr_private_segment_size 0
		.amdhsa_wavefront_size32 1
		.amdhsa_uses_dynamic_stack 0
		.amdhsa_enable_private_segment 0
		.amdhsa_system_sgpr_workgroup_id_x 1
		.amdhsa_system_sgpr_workgroup_id_y 0
		.amdhsa_system_sgpr_workgroup_id_z 0
		.amdhsa_system_sgpr_workgroup_info 0
		.amdhsa_system_vgpr_workitem_id 0
		.amdhsa_next_free_vgpr 1
		.amdhsa_next_free_sgpr 1
		.amdhsa_reserve_vcc 0
		.amdhsa_float_round_mode_32 0
		.amdhsa_float_round_mode_16_64 0
		.amdhsa_float_denorm_mode_32 3
		.amdhsa_float_denorm_mode_16_64 3
		.amdhsa_dx10_clamp 1
		.amdhsa_ieee_mode 1
		.amdhsa_fp16_overflow 0
		.amdhsa_workgroup_processor_mode 1
		.amdhsa_memory_ordered 1
		.amdhsa_forward_progress 0
		.amdhsa_shared_vgpr_count 0
		.amdhsa_exception_fp_ieee_invalid_op 0
		.amdhsa_exception_fp_denorm_src 0
		.amdhsa_exception_fp_ieee_div_zero 0
		.amdhsa_exception_fp_ieee_overflow 0
		.amdhsa_exception_fp_ieee_underflow 0
		.amdhsa_exception_fp_ieee_inexact 0
		.amdhsa_exception_int_div_zero 0
	.end_amdhsa_kernel
	.section	.text._ZN7rocprim17ROCPRIM_400000_NS6detail17trampoline_kernelINS0_14default_configENS1_36segmented_radix_sort_config_selectorIblEEZNS1_25segmented_radix_sort_implIS3_Lb1EPKbPbPKlPlN2at6native12_GLOBAL__N_18offset_tEEE10hipError_tPvRmT1_PNSt15iterator_traitsISK_E10value_typeET2_T3_PNSL_ISQ_E10value_typeET4_jRbjT5_SW_jjP12ihipStream_tbEUlT_E_NS1_11comp_targetILNS1_3genE10ELNS1_11target_archE1200ELNS1_3gpuE4ELNS1_3repE0EEENS1_30default_config_static_selectorELNS0_4arch9wavefront6targetE0EEEvSK_,"axG",@progbits,_ZN7rocprim17ROCPRIM_400000_NS6detail17trampoline_kernelINS0_14default_configENS1_36segmented_radix_sort_config_selectorIblEEZNS1_25segmented_radix_sort_implIS3_Lb1EPKbPbPKlPlN2at6native12_GLOBAL__N_18offset_tEEE10hipError_tPvRmT1_PNSt15iterator_traitsISK_E10value_typeET2_T3_PNSL_ISQ_E10value_typeET4_jRbjT5_SW_jjP12ihipStream_tbEUlT_E_NS1_11comp_targetILNS1_3genE10ELNS1_11target_archE1200ELNS1_3gpuE4ELNS1_3repE0EEENS1_30default_config_static_selectorELNS0_4arch9wavefront6targetE0EEEvSK_,comdat
.Lfunc_end1538:
	.size	_ZN7rocprim17ROCPRIM_400000_NS6detail17trampoline_kernelINS0_14default_configENS1_36segmented_radix_sort_config_selectorIblEEZNS1_25segmented_radix_sort_implIS3_Lb1EPKbPbPKlPlN2at6native12_GLOBAL__N_18offset_tEEE10hipError_tPvRmT1_PNSt15iterator_traitsISK_E10value_typeET2_T3_PNSL_ISQ_E10value_typeET4_jRbjT5_SW_jjP12ihipStream_tbEUlT_E_NS1_11comp_targetILNS1_3genE10ELNS1_11target_archE1200ELNS1_3gpuE4ELNS1_3repE0EEENS1_30default_config_static_selectorELNS0_4arch9wavefront6targetE0EEEvSK_, .Lfunc_end1538-_ZN7rocprim17ROCPRIM_400000_NS6detail17trampoline_kernelINS0_14default_configENS1_36segmented_radix_sort_config_selectorIblEEZNS1_25segmented_radix_sort_implIS3_Lb1EPKbPbPKlPlN2at6native12_GLOBAL__N_18offset_tEEE10hipError_tPvRmT1_PNSt15iterator_traitsISK_E10value_typeET2_T3_PNSL_ISQ_E10value_typeET4_jRbjT5_SW_jjP12ihipStream_tbEUlT_E_NS1_11comp_targetILNS1_3genE10ELNS1_11target_archE1200ELNS1_3gpuE4ELNS1_3repE0EEENS1_30default_config_static_selectorELNS0_4arch9wavefront6targetE0EEEvSK_
                                        ; -- End function
	.section	.AMDGPU.csdata,"",@progbits
; Kernel info:
; codeLenInByte = 0
; NumSgprs: 0
; NumVgprs: 0
; ScratchSize: 0
; MemoryBound: 0
; FloatMode: 240
; IeeeMode: 1
; LDSByteSize: 0 bytes/workgroup (compile time only)
; SGPRBlocks: 0
; VGPRBlocks: 0
; NumSGPRsForWavesPerEU: 1
; NumVGPRsForWavesPerEU: 1
; Occupancy: 16
; WaveLimiterHint : 0
; COMPUTE_PGM_RSRC2:SCRATCH_EN: 0
; COMPUTE_PGM_RSRC2:USER_SGPR: 15
; COMPUTE_PGM_RSRC2:TRAP_HANDLER: 0
; COMPUTE_PGM_RSRC2:TGID_X_EN: 1
; COMPUTE_PGM_RSRC2:TGID_Y_EN: 0
; COMPUTE_PGM_RSRC2:TGID_Z_EN: 0
; COMPUTE_PGM_RSRC2:TIDIG_COMP_CNT: 0
	.text
	.p2align	2                               ; -- Begin function _ZN7rocprim17ROCPRIM_400000_NS6detail40segmented_radix_sort_single_block_helperIblLj256ELj8ELb1EE4sortIPKbPbPKlPlEEbT_T0_T1_T2_jjjjRNS3_12storage_typeE
	.type	_ZN7rocprim17ROCPRIM_400000_NS6detail40segmented_radix_sort_single_block_helperIblLj256ELj8ELb1EE4sortIPKbPbPKlPlEEbT_T0_T1_T2_jjjjRNS3_12storage_typeE,@function
_ZN7rocprim17ROCPRIM_400000_NS6detail40segmented_radix_sort_single_block_helperIblLj256ELj8ELb1EE4sortIPKbPbPKlPlEEbT_T0_T1_T2_jjjjRNS3_12storage_typeE: ; @_ZN7rocprim17ROCPRIM_400000_NS6detail40segmented_radix_sort_single_block_helperIblLj256ELj8ELb1EE4sortIPKbPbPKlPlEEbT_T0_T1_T2_jjjjRNS3_12storage_typeE
; %bb.0:
	s_waitcnt vmcnt(0) expcnt(0) lgkmcnt(0)
	v_sub_nc_u32_e32 v134, v9, v8
	s_mov_b32 s24, exec_lo
	s_delay_alu instid0(VALU_DEP_1)
	v_cmpx_gt_u32_e32 0x801, v134
	s_cbranch_execz .LBB1539_199
; %bb.1:
	v_bfe_u32 v14, v31, 10, 10
	v_bfe_u32 v15, v31, 20, 10
	v_and_b32_e32 v26, 0x3ff, v31
	v_mbcnt_lo_u32_b32 v34, -1, 0
	s_mov_b32 s0, exec_lo
	v_cmpx_lt_u32_e32 0x400, v134
	s_xor_b32 s19, exec_lo, s0
	s_cbranch_execz .LBB1539_79
; %bb.2:
	s_load_b64 s[0:1], s[8:9], 0x0
	v_mov_b32_e32 v9, 0
	v_add_co_u32 v0, vcc_lo, v0, v8
	v_add_co_ci_u32_e32 v1, vcc_lo, 0, v1, vcc_lo
	s_delay_alu instid0(VALU_DEP_2) | instskip(NEXT) | instid1(VALU_DEP_2)
	v_add_co_u32 v0, vcc_lo, v0, v34
	v_add_co_ci_u32_e32 v1, vcc_lo, 0, v1, vcc_lo
	s_waitcnt lgkmcnt(0)
	s_cmp_lt_u32 s13, s1
	s_cselect_b32 s1, 14, 20
	s_delay_alu instid0(SALU_CYCLE_1) | instskip(SKIP_4) | instid1(SALU_CYCLE_1)
	s_add_u32 s2, s8, s1
	s_addc_u32 s3, s9, 0
	s_cmp_lt_u32 s12, s0
	global_load_u16 v16, v9, s[2:3]
	s_cselect_b32 s0, 12, 18
	s_add_u32 s0, s8, s0
	s_addc_u32 s1, s9, 0
	global_load_u16 v17, v9, s[0:1]
	s_mov_b32 s0, 0
	s_delay_alu instid0(SALU_CYCLE_1) | instskip(SKIP_3) | instid1(VALU_DEP_1)
	s_mov_b32 s1, s0
	s_waitcnt vmcnt(1)
	v_mad_u32_u24 v14, v15, v16, v14
	s_waitcnt vmcnt(0)
	v_mad_u64_u32 v[27:28], null, v14, v17, v[26:27]
	s_delay_alu instid0(VALU_DEP_1) | instskip(NEXT) | instid1(VALU_DEP_1)
	v_dual_mov_b32 v17, v9 :: v_dual_lshlrev_b32 v14, 3, v27
	v_dual_mov_b32 v15, s1 :: v_dual_and_b32 v16, 0xffffff00, v14
	v_mov_b32_e32 v14, s0
	s_delay_alu instid0(VALU_DEP_2) | instskip(SKIP_2) | instid1(VALU_DEP_3)
	v_or_b32_e32 v18, v16, v34
	v_add_co_u32 v0, vcc_lo, v0, v16
	v_add_co_ci_u32_e32 v1, vcc_lo, 0, v1, vcc_lo
	v_cmp_lt_u32_e32 vcc_lo, v18, v134
	s_and_saveexec_b32 s1, vcc_lo
	s_cbranch_execz .LBB1539_4
; %bb.3:
	flat_load_u8 v14, v[0:1]
	s_waitcnt vmcnt(0) lgkmcnt(0)
	v_dual_mov_b32 v15, s0 :: v_dual_and_b32 v14, 0xffff, v14
.LBB1539_4:
	s_or_b32 exec_lo, exec_lo, s1
	v_or_b32_e32 v19, 32, v18
	s_delay_alu instid0(VALU_DEP_1) | instskip(NEXT) | instid1(VALU_DEP_1)
	v_cmp_lt_u32_e64 s0, v19, v134
	s_and_saveexec_b32 s1, s0
	s_cbranch_execz .LBB1539_6
; %bb.5:
	flat_load_u8 v19, v[0:1] offset:32
	s_waitcnt vmcnt(0) lgkmcnt(0)
	v_perm_b32 v14, v14, v19, 0x7060004
.LBB1539_6:
	s_or_b32 exec_lo, exec_lo, s1
	v_or_b32_e32 v19, 64, v18
	s_delay_alu instid0(VALU_DEP_1) | instskip(NEXT) | instid1(VALU_DEP_1)
	v_cmp_lt_u32_e64 s1, v19, v134
	s_and_saveexec_b32 s2, s1
	s_cbranch_execz .LBB1539_8
; %bb.7:
	flat_load_u8 v19, v[0:1] offset:64
	v_lshrrev_b32_e32 v20, 16, v14
	s_delay_alu instid0(VALU_DEP_1) | instskip(SKIP_1) | instid1(VALU_DEP_1)
	v_and_b32_e32 v20, 0xffffff00, v20
	s_waitcnt vmcnt(0) lgkmcnt(0)
	v_or_b32_e32 v19, v19, v20
	s_delay_alu instid0(VALU_DEP_1) | instskip(NEXT) | instid1(VALU_DEP_1)
	v_lshlrev_b32_e32 v19, 16, v19
	v_and_or_b32 v14, 0xffff, v14, v19
.LBB1539_8:
	s_or_b32 exec_lo, exec_lo, s2
	v_or_b32_e32 v19, 0x60, v18
	s_delay_alu instid0(VALU_DEP_1) | instskip(NEXT) | instid1(VALU_DEP_1)
	v_cmp_lt_u32_e64 s2, v19, v134
	s_and_saveexec_b32 s3, s2
	s_cbranch_execz .LBB1539_10
; %bb.9:
	flat_load_u8 v19, v[0:1] offset:96
	v_lshrrev_b32_e32 v20, 16, v14
	s_delay_alu instid0(VALU_DEP_1) | instskip(SKIP_2) | instid1(VALU_DEP_1)
	v_and_b32_e32 v20, 0xff, v20
	s_waitcnt vmcnt(0) lgkmcnt(0)
	v_lshlrev_b16 v19, 8, v19
	v_or_b32_e32 v19, v20, v19
	s_delay_alu instid0(VALU_DEP_1) | instskip(NEXT) | instid1(VALU_DEP_1)
	v_lshlrev_b32_e32 v19, 16, v19
	v_and_or_b32 v14, 0xffff, v14, v19
.LBB1539_10:
	s_or_b32 exec_lo, exec_lo, s3
	v_or_b32_e32 v19, 0x80, v18
	s_delay_alu instid0(VALU_DEP_1) | instskip(NEXT) | instid1(VALU_DEP_1)
	v_cmp_lt_u32_e64 s3, v19, v134
	s_and_saveexec_b32 s4, s3
	s_cbranch_execz .LBB1539_12
; %bb.11:
	flat_load_u8 v19, v[0:1] offset:128
	s_waitcnt vmcnt(0) lgkmcnt(0)
	v_perm_b32 v15, v19, v15, 0x3020104
.LBB1539_12:
	s_or_b32 exec_lo, exec_lo, s4
	v_or_b32_e32 v19, 0xa0, v18
	s_delay_alu instid0(VALU_DEP_1) | instskip(NEXT) | instid1(VALU_DEP_1)
	v_cmp_lt_u32_e64 s4, v19, v134
	s_and_saveexec_b32 s5, s4
	s_cbranch_execz .LBB1539_14
; %bb.13:
	flat_load_u8 v19, v[0:1] offset:160
	s_waitcnt vmcnt(0) lgkmcnt(0)
	v_perm_b32 v15, v15, v19, 0x7060004
.LBB1539_14:
	;; [unrolled: 11-line block ×4, first 2 shown]
	s_or_b32 exec_lo, exec_lo, s7
	v_lshlrev_b64 v[0:1], 3, v[8:9]
	v_lshlrev_b32_e32 v9, 3, v34
	s_delay_alu instid0(VALU_DEP_2) | instskip(NEXT) | instid1(VALU_DEP_1)
	v_add_co_u32 v18, s7, v4, v0
	v_add_co_ci_u32_e64 v19, s7, v5, v1, s7
	v_lshlrev_b64 v[4:5], 3, v[16:17]
	s_delay_alu instid0(VALU_DEP_3) | instskip(NEXT) | instid1(VALU_DEP_1)
	v_add_co_u32 v9, s7, v18, v9
	v_add_co_ci_u32_e64 v16, s7, 0, v19, s7
                                        ; implicit-def: $vgpr18_vgpr19
	s_delay_alu instid0(VALU_DEP_2) | instskip(NEXT) | instid1(VALU_DEP_1)
	v_add_co_u32 v4, s7, v9, v4
	v_add_co_ci_u32_e64 v5, s7, v16, v5, s7
	s_and_saveexec_b32 s7, vcc_lo
	s_cbranch_execnz .LBB1539_112
; %bb.19:
	s_or_b32 exec_lo, exec_lo, s7
                                        ; implicit-def: $vgpr20_vgpr21
	s_and_saveexec_b32 s7, s0
	s_cbranch_execnz .LBB1539_113
.LBB1539_20:
	s_or_b32 exec_lo, exec_lo, s7
                                        ; implicit-def: $vgpr22_vgpr23
	s_and_saveexec_b32 s0, s1
	s_cbranch_execnz .LBB1539_114
.LBB1539_21:
	s_or_b32 exec_lo, exec_lo, s0
                                        ; implicit-def: $vgpr24_vgpr25
	s_and_saveexec_b32 s0, s2
	s_cbranch_execnz .LBB1539_115
.LBB1539_22:
	s_or_b32 exec_lo, exec_lo, s0
                                        ; implicit-def: $vgpr84_vgpr85
	s_and_saveexec_b32 s0, s3
	s_cbranch_execnz .LBB1539_116
.LBB1539_23:
	s_or_b32 exec_lo, exec_lo, s0
                                        ; implicit-def: $vgpr86_vgpr87
	s_and_saveexec_b32 s0, s4
	s_cbranch_execnz .LBB1539_117
.LBB1539_24:
	s_or_b32 exec_lo, exec_lo, s0
                                        ; implicit-def: $vgpr96_vgpr97
	s_and_saveexec_b32 s0, s5
	s_cbranch_execnz .LBB1539_118
.LBB1539_25:
	s_or_b32 exec_lo, exec_lo, s0
                                        ; implicit-def: $vgpr98_vgpr99
	s_and_saveexec_b32 s0, s6
	s_cbranch_execz .LBB1539_27
.LBB1539_26:
	flat_load_b64 v[98:99], v[4:5] offset:1792
.LBB1539_27:
	s_or_b32 exec_lo, exec_lo, s0
	v_lshrrev_b16 v5, 8, v14
	v_lshrrev_b16 v4, 8, v15
	s_mov_b32 s20, 0
	v_and_b32_e32 v16, 0x10000, v15
	s_mov_b32 s21, s20
	s_mov_b32 s22, s20
	s_mov_b32 s23, s20
	v_and_b32_e32 v5, 1, v5
	v_and_b32_e32 v4, 1, v4
	;; [unrolled: 1-line block ×5, first 2 shown]
	v_cmp_eq_u32_e64 s1, 1, v5
	v_and_b32_e32 v5, 0x10000, v14
	v_cmp_eq_u32_e64 s0, 1, v4
	v_and_b32_e32 v4, 0x1000000, v14
	v_cmp_eq_u32_e64 s4, 1, v15
	s_xor_b32 s1, s1, -1
	v_cmp_ne_u32_e64 s6, 0, v5
	v_cmp_eq_u32_e64 s2, 1, v17
	v_cmp_ne_u32_e64 s5, 0, v4
	v_cndmask_b32_e64 v17, 0, 1, s1
	v_mov_b32_e32 v15, 0
	s_xor_b32 s1, s6, -1
	v_cmp_ne_u32_e64 s3, 0, v16
	v_cndmask_b32_e64 v35, 0, 1, s1
	s_xor_b32 s1, s5, -1
	v_cmp_ne_u32_e32 vcc_lo, 0, v9
	v_cndmask_b32_e64 v36, 0, 1, s1
	s_xor_b32 s1, s4, -1
	s_xor_b32 s0, s0, -1
	;; [unrolled: 1-line block ×3, first 2 shown]
	v_cndmask_b32_e64 v37, 0, 1, s1
	v_cndmask_b32_e64 v38, 0, 1, s0
	s_getpc_b64 s[0:1]
	s_add_u32 s0, s0, _ZN7rocprim17ROCPRIM_400000_NS16block_radix_sortIbLj256ELj8ElLj1ELj1ELj8ELNS0_26block_radix_rank_algorithmE2ELNS0_18block_padding_hintE2ELNS0_4arch9wavefront6targetE0EE19radix_bits_per_passE@rel32@lo+4
	s_addc_u32 s1, s1, _ZN7rocprim17ROCPRIM_400000_NS16block_radix_sortIbLj256ELj8ElLj1ELj1ELj8ELNS0_26block_radix_rank_algorithmE2ELNS0_18block_padding_hintE2ELNS0_4arch9wavefront6targetE0EE19radix_bits_per_passE@rel32@hi+12
	v_cndmask_b32_e64 v16, 0, 1, s2
	s_xor_b32 s2, s3, -1
	v_lshlrev_b32_e32 v14, 5, v26
	v_cndmask_b32_e64 v39, 0, 1, s2
	s_xor_b32 s2, vcc_lo, -1
	v_add_co_u32 v9, vcc_lo, v12, 32
	v_and_b32_e32 v31, 0x3e0, v26
	v_add_nc_u32_e32 v32, -1, v34
	v_add_co_ci_u32_e32 v135, vcc_lo, 0, v13, vcc_lo
	v_add_co_u32 v4, vcc_lo, v12, v14
	v_add_co_ci_u32_e32 v5, vcc_lo, 0, v13, vcc_lo
	v_and_b32_e32 v30, 15, v34
	v_add_co_u32 v28, vcc_lo, v9, v14
	v_min_u32_e32 v14, 0xe0, v31
	v_cmp_gt_i32_e64 s4, 0, v32
	v_add_co_ci_u32_e32 v29, vcc_lo, 0, v135, vcc_lo
	v_cndmask_b32_e64 v48, 0, 1, s2
	s_load_b32 s25, s[0:1], 0x0
	v_cmp_eq_u32_e32 vcc_lo, 0, v30
	v_cmp_lt_u32_e64 s0, 1, v30
	v_cmp_lt_u32_e64 s1, 3, v30
	;; [unrolled: 1-line block ×3, first 2 shown]
	v_or_b32_e32 v14, 31, v14
	v_cndmask_b32_e64 v30, v32, v34, s4
	v_lshrrev_b32_e32 v32, 5, v26
	v_lshlrev_b32_e32 v49, 3, v26
	v_lshlrev_b16 v17, 8, v17
	v_cmp_eq_u32_e64 s4, v14, v26
	v_lshlrev_b16 v36, 8, v36
	v_lshlrev_b32_e32 v14, 2, v32
	v_lshlrev_b16 v38, 8, v38
	v_lshlrev_b16 v48, 8, v48
	v_and_or_b32 v49, 0x1f00, v49, v34
	v_and_b32_e32 v31, 16, v34
	v_lshlrev_b32_e32 v145, 2, v30
	v_add_co_u32 v30, s11, v12, v14
	v_add_nc_u32_e32 v14, -1, v32
	v_lshlrev_b32_e32 v33, 2, v26
	v_or_b32_e32 v16, v16, v17
	v_or_b32_e32 v17, v35, v36
	v_cmp_eq_u32_e64 s7, 0, v34
	v_and_b32_e32 v50, 7, v34
	v_or_b32_e32 v36, v37, v38
	v_or_b32_e32 v37, v39, v48
	v_add_co_u32 v34, s16, v12, v49
	v_cmp_eq_u32_e64 s3, 0, v31
	v_add_co_ci_u32_e64 v31, s11, 0, v13, s11
	v_lshlrev_b64 v[14:15], 2, v[14:15]
	v_add_co_u32 v32, s11, v12, v33
	v_add_co_ci_u32_e64 v35, s16, 0, v13, s16
	v_add_co_ci_u32_e64 v33, s11, 0, v13, s11
	v_and_b32_e32 v16, 0xffff, v16
	v_lshlrev_b32_e32 v17, 16, v17
	v_cmp_eq_u32_e64 s11, 0, v50
	v_cmp_lt_u32_e64 s14, 1, v50
	v_cmp_lt_u32_e64 s15, 3, v50
	v_and_b32_e32 v48, 0xffff, v36
	v_lshlrev_b32_e32 v50, 16, v37
	v_add_co_u32 v36, s16, v12, v14
	v_mad_u64_u32 v[38:39], null, v49, 7, v[34:35]
	v_add_co_ci_u32_e64 v37, s16, v13, v15, s16
	v_or_b32_e32 v80, v16, v17
	v_dual_mov_b32 v14, s20 :: v_dual_mov_b32 v17, s23
	v_lshrrev_b32_e32 v144, 5, v27
	v_cmp_gt_u32_e64 s5, 8, v26
	v_cmp_lt_u32_e64 s6, 31, v26
	v_cmp_eq_u32_e64 s10, 0, v26
	v_or_b32_e32 v81, v48, v50
	v_sub_nc_u32_e32 v146, v11, v10
	v_dual_mov_b32 v15, s21 :: v_dual_mov_b32 v16, s22
	s_waitcnt vmcnt(0) lgkmcnt(0)
	s_waitcnt_vscnt null, 0x0
	s_barrier
	buffer_gl0_inv
	s_branch .LBB1539_29
.LBB1539_28:                            ;   in Loop: Header=BB1539_29 Depth=1
	s_or_b32 exec_lo, exec_lo, s17
	s_delay_alu instid0(SALU_CYCLE_1) | instskip(NEXT) | instid1(SALU_CYCLE_1)
	s_and_b32 s16, exec_lo, s18
	s_or_b32 s20, s16, s20
	s_delay_alu instid0(SALU_CYCLE_1)
	s_and_not1_b32 exec_lo, exec_lo, s20
	s_cbranch_execz .LBB1539_53
.LBB1539_29:                            ; =>This Inner Loop Header: Depth=1
	v_min_u32_e32 v48, s25, v146
	v_and_b32_e32 v49, 0xff, v80
	v_dual_mov_b32 v71, v19 :: v_dual_mov_b32 v70, v18
	v_dual_mov_b32 v64, v84 :: v_dual_mov_b32 v65, v85
	s_delay_alu instid0(VALU_DEP_4) | instskip(NEXT) | instid1(VALU_DEP_4)
	v_lshlrev_b32_e64 v48, v48, -1
	v_lshrrev_b32_e32 v49, v10, v49
	v_dual_mov_b32 v69, v21 :: v_dual_mov_b32 v68, v20
	v_dual_mov_b32 v67, v25 :: v_dual_mov_b32 v66, v24
	s_delay_alu instid0(VALU_DEP_4) | instskip(SKIP_2) | instid1(VALU_DEP_3)
	v_not_b32_e32 v114, v48
	v_dual_mov_b32 v54, v86 :: v_dual_mov_b32 v55, v87
	v_dual_mov_b32 v53, v23 :: v_dual_mov_b32 v52, v22
	v_and_b32_e32 v82, v49, v114
	v_mov_b32_e32 v50, v98
	s_clause 0x1
	flat_store_b128 v[4:5], v[14:17] offset:32
	flat_store_b128 v[28:29], v[14:17] offset:16
	s_waitcnt lgkmcnt(0)
	s_waitcnt_vscnt null, 0x0
	s_barrier
	v_lshlrev_b32_e32 v19, 3, v82
	v_add_co_u32 v48, s16, v82, -1
	s_delay_alu instid0(VALU_DEP_1) | instskip(SKIP_4) | instid1(VALU_DEP_3)
	v_cndmask_b32_e64 v49, 0, 1, s16
	buffer_gl0_inv
	v_add_lshl_u32 v19, v19, v144, 2
	; wave barrier
	v_cmp_ne_u32_e64 s16, 0, v49
	v_mov_b32_e32 v51, v99
	v_add_co_u32 v84, s18, v9, v19
	s_delay_alu instid0(VALU_DEP_1) | instskip(NEXT) | instid1(VALU_DEP_4)
	v_add_co_ci_u32_e64 v85, s18, 0, v135, s18
	v_xor_b32_e32 v18, s16, v48
	v_dual_mov_b32 v48, v96 :: v_dual_mov_b32 v49, v97
	s_delay_alu instid0(VALU_DEP_2) | instskip(NEXT) | instid1(VALU_DEP_1)
	v_and_b32_e32 v18, exec_lo, v18
	v_mbcnt_lo_u32_b32 v116, v18, 0
	v_cmp_ne_u32_e64 s16, 0, v18
	s_delay_alu instid0(VALU_DEP_2) | instskip(NEXT) | instid1(VALU_DEP_1)
	v_cmp_eq_u32_e64 s17, 0, v116
	s_and_b32 s17, s16, s17
	s_delay_alu instid0(SALU_CYCLE_1)
	s_and_saveexec_b32 s16, s17
	s_cbranch_execz .LBB1539_31
; %bb.30:                               ;   in Loop: Header=BB1539_29 Depth=1
	v_bcnt_u32_b32 v18, v18, 0
	flat_store_b32 v[84:85], v18
.LBB1539_31:                            ;   in Loop: Header=BB1539_29 Depth=1
	s_or_b32 exec_lo, exec_lo, s16
	v_bfe_u32 v18, v80, 8, 8
	; wave barrier
	v_dual_mov_b32 v83, v81 :: v_dual_mov_b32 v82, v80
	s_delay_alu instid0(VALU_DEP_2) | instskip(NEXT) | instid1(VALU_DEP_1)
	v_lshrrev_b32_e32 v18, v10, v18
	v_and_b32_e32 v18, v18, v114
	s_delay_alu instid0(VALU_DEP_1) | instskip(NEXT) | instid1(VALU_DEP_1)
	v_lshlrev_b32_e32 v19, 3, v18
	v_add_lshl_u32 v19, v19, v144, 2
	s_delay_alu instid0(VALU_DEP_1) | instskip(NEXT) | instid1(VALU_DEP_1)
	v_add_co_u32 v86, s16, v9, v19
	v_add_co_ci_u32_e64 v87, s16, 0, v135, s16
	v_add_co_u32 v18, s16, v18, -1
	s_delay_alu instid0(VALU_DEP_1) | instskip(SKIP_2) | instid1(VALU_DEP_1)
	v_cndmask_b32_e64 v19, 0, 1, s16
	flat_load_b32 v117, v[86:87]
	; wave barrier
	v_cmp_ne_u32_e64 s16, 0, v19
	v_xor_b32_e32 v18, s16, v18
	s_delay_alu instid0(VALU_DEP_1) | instskip(NEXT) | instid1(VALU_DEP_1)
	v_and_b32_e32 v18, exec_lo, v18
	v_mbcnt_lo_u32_b32 v118, v18, 0
	v_cmp_ne_u32_e64 s17, 0, v18
	s_delay_alu instid0(VALU_DEP_2) | instskip(NEXT) | instid1(VALU_DEP_1)
	v_cmp_eq_u32_e64 s16, 0, v118
	s_and_b32 s17, s17, s16
	s_delay_alu instid0(SALU_CYCLE_1)
	s_and_saveexec_b32 s16, s17
	s_cbranch_execz .LBB1539_33
; %bb.32:                               ;   in Loop: Header=BB1539_29 Depth=1
	s_waitcnt vmcnt(0) lgkmcnt(0)
	v_bcnt_u32_b32 v18, v18, v117
	flat_store_b32 v[86:87], v18
.LBB1539_33:                            ;   in Loop: Header=BB1539_29 Depth=1
	s_or_b32 exec_lo, exec_lo, s16
	v_bfe_u32 v18, v80, 16, 8
	; wave barrier
	s_delay_alu instid0(VALU_DEP_1) | instskip(NEXT) | instid1(VALU_DEP_1)
	v_lshrrev_b32_e32 v18, v10, v18
	v_and_b32_e32 v18, v18, v114
	s_delay_alu instid0(VALU_DEP_1) | instskip(NEXT) | instid1(VALU_DEP_1)
	v_lshlrev_b32_e32 v19, 3, v18
	v_add_lshl_u32 v19, v19, v144, 2
	s_delay_alu instid0(VALU_DEP_1) | instskip(NEXT) | instid1(VALU_DEP_1)
	v_add_co_u32 v96, s16, v9, v19
	v_add_co_ci_u32_e64 v97, s16, 0, v135, s16
	v_add_co_u32 v18, s16, v18, -1
	s_delay_alu instid0(VALU_DEP_1) | instskip(SKIP_2) | instid1(VALU_DEP_1)
	v_cndmask_b32_e64 v19, 0, 1, s16
	flat_load_b32 v119, v[96:97]
	; wave barrier
	v_cmp_ne_u32_e64 s16, 0, v19
	v_xor_b32_e32 v18, s16, v18
	s_delay_alu instid0(VALU_DEP_1) | instskip(NEXT) | instid1(VALU_DEP_1)
	v_and_b32_e32 v18, exec_lo, v18
	v_mbcnt_lo_u32_b32 v128, v18, 0
	v_cmp_ne_u32_e64 s17, 0, v18
	s_delay_alu instid0(VALU_DEP_2) | instskip(NEXT) | instid1(VALU_DEP_1)
	v_cmp_eq_u32_e64 s16, 0, v128
	s_and_b32 s17, s17, s16
	s_delay_alu instid0(SALU_CYCLE_1)
	s_and_saveexec_b32 s16, s17
	s_cbranch_execz .LBB1539_35
; %bb.34:                               ;   in Loop: Header=BB1539_29 Depth=1
	s_waitcnt vmcnt(0) lgkmcnt(0)
	v_bcnt_u32_b32 v18, v18, v119
	flat_store_b32 v[96:97], v18
.LBB1539_35:                            ;   in Loop: Header=BB1539_29 Depth=1
	s_or_b32 exec_lo, exec_lo, s16
	v_alignbit_b32 v18, v81, v80, 24
	; wave barrier
	s_delay_alu instid0(VALU_DEP_1) | instskip(NEXT) | instid1(VALU_DEP_1)
	v_and_b32_e32 v18, 0xff, v18
	v_lshrrev_b32_e32 v18, v10, v18
	s_delay_alu instid0(VALU_DEP_1) | instskip(NEXT) | instid1(VALU_DEP_1)
	v_and_b32_e32 v18, v18, v114
	v_lshlrev_b32_e32 v19, 3, v18
	s_delay_alu instid0(VALU_DEP_1) | instskip(NEXT) | instid1(VALU_DEP_1)
	v_add_lshl_u32 v19, v19, v144, 2
	v_add_co_u32 v98, s16, v9, v19
	s_delay_alu instid0(VALU_DEP_1) | instskip(SKIP_1) | instid1(VALU_DEP_1)
	v_add_co_ci_u32_e64 v99, s16, 0, v135, s16
	v_add_co_u32 v18, s16, v18, -1
	v_cndmask_b32_e64 v19, 0, 1, s16
	flat_load_b32 v129, v[98:99]
	; wave barrier
	v_cmp_ne_u32_e64 s16, 0, v19
	s_delay_alu instid0(VALU_DEP_1) | instskip(NEXT) | instid1(VALU_DEP_1)
	v_xor_b32_e32 v18, s16, v18
	v_and_b32_e32 v18, exec_lo, v18
	s_delay_alu instid0(VALU_DEP_1) | instskip(SKIP_1) | instid1(VALU_DEP_2)
	v_mbcnt_lo_u32_b32 v130, v18, 0
	v_cmp_ne_u32_e64 s17, 0, v18
	v_cmp_eq_u32_e64 s16, 0, v130
	s_delay_alu instid0(VALU_DEP_1) | instskip(NEXT) | instid1(SALU_CYCLE_1)
	s_and_b32 s17, s17, s16
	s_and_saveexec_b32 s16, s17
	s_cbranch_execz .LBB1539_37
; %bb.36:                               ;   in Loop: Header=BB1539_29 Depth=1
	s_waitcnt vmcnt(0) lgkmcnt(0)
	v_bcnt_u32_b32 v18, v18, v129
	flat_store_b32 v[98:99], v18
.LBB1539_37:                            ;   in Loop: Header=BB1539_29 Depth=1
	s_or_b32 exec_lo, exec_lo, s16
	v_and_b32_e32 v18, 0xff, v81
	; wave barrier
	s_delay_alu instid0(VALU_DEP_1) | instskip(NEXT) | instid1(VALU_DEP_1)
	v_lshrrev_b32_e32 v18, v10, v18
	v_and_b32_e32 v18, v18, v114
	s_delay_alu instid0(VALU_DEP_1) | instskip(NEXT) | instid1(VALU_DEP_1)
	v_lshlrev_b32_e32 v19, 3, v18
	v_add_lshl_u32 v19, v19, v144, 2
	s_delay_alu instid0(VALU_DEP_1) | instskip(NEXT) | instid1(VALU_DEP_1)
	v_add_co_u32 v100, s16, v9, v19
	v_add_co_ci_u32_e64 v101, s16, 0, v135, s16
	v_add_co_u32 v18, s16, v18, -1
	s_delay_alu instid0(VALU_DEP_1) | instskip(SKIP_2) | instid1(VALU_DEP_1)
	v_cndmask_b32_e64 v19, 0, 1, s16
	flat_load_b32 v131, v[100:101]
	; wave barrier
	v_cmp_ne_u32_e64 s16, 0, v19
	v_xor_b32_e32 v18, s16, v18
	s_delay_alu instid0(VALU_DEP_1) | instskip(NEXT) | instid1(VALU_DEP_1)
	v_and_b32_e32 v18, exec_lo, v18
	v_mbcnt_lo_u32_b32 v147, v18, 0
	v_cmp_ne_u32_e64 s17, 0, v18
	s_delay_alu instid0(VALU_DEP_2) | instskip(NEXT) | instid1(VALU_DEP_1)
	v_cmp_eq_u32_e64 s16, 0, v147
	s_and_b32 s17, s17, s16
	s_delay_alu instid0(SALU_CYCLE_1)
	s_and_saveexec_b32 s16, s17
	s_cbranch_execz .LBB1539_39
; %bb.38:                               ;   in Loop: Header=BB1539_29 Depth=1
	s_waitcnt vmcnt(0) lgkmcnt(0)
	v_bcnt_u32_b32 v18, v18, v131
	flat_store_b32 v[100:101], v18
.LBB1539_39:                            ;   in Loop: Header=BB1539_29 Depth=1
	s_or_b32 exec_lo, exec_lo, s16
	v_bfe_u32 v18, v81, 8, 8
	; wave barrier
	s_delay_alu instid0(VALU_DEP_1) | instskip(NEXT) | instid1(VALU_DEP_1)
	v_lshrrev_b32_e32 v18, v10, v18
	v_and_b32_e32 v18, v18, v114
	s_delay_alu instid0(VALU_DEP_1) | instskip(NEXT) | instid1(VALU_DEP_1)
	v_lshlrev_b32_e32 v19, 3, v18
	v_add_lshl_u32 v19, v19, v144, 2
	s_delay_alu instid0(VALU_DEP_1) | instskip(NEXT) | instid1(VALU_DEP_1)
	v_add_co_u32 v102, s16, v9, v19
	v_add_co_ci_u32_e64 v103, s16, 0, v135, s16
	v_add_co_u32 v18, s16, v18, -1
	s_delay_alu instid0(VALU_DEP_1) | instskip(SKIP_2) | instid1(VALU_DEP_1)
	v_cndmask_b32_e64 v19, 0, 1, s16
	flat_load_b32 v148, v[102:103]
	; wave barrier
	v_cmp_ne_u32_e64 s16, 0, v19
	v_xor_b32_e32 v18, s16, v18
	s_delay_alu instid0(VALU_DEP_1) | instskip(NEXT) | instid1(VALU_DEP_1)
	v_and_b32_e32 v18, exec_lo, v18
	v_mbcnt_lo_u32_b32 v160, v18, 0
	v_cmp_ne_u32_e64 s17, 0, v18
	s_delay_alu instid0(VALU_DEP_2) | instskip(NEXT) | instid1(VALU_DEP_1)
	v_cmp_eq_u32_e64 s16, 0, v160
	s_and_b32 s17, s17, s16
	s_delay_alu instid0(SALU_CYCLE_1)
	s_and_saveexec_b32 s16, s17
	s_cbranch_execz .LBB1539_41
; %bb.40:                               ;   in Loop: Header=BB1539_29 Depth=1
	s_waitcnt vmcnt(0) lgkmcnt(0)
	v_bcnt_u32_b32 v18, v18, v148
	flat_store_b32 v[102:103], v18
.LBB1539_41:                            ;   in Loop: Header=BB1539_29 Depth=1
	s_or_b32 exec_lo, exec_lo, s16
	v_bfe_u32 v18, v81, 16, 8
	; wave barrier
	s_delay_alu instid0(VALU_DEP_1) | instskip(NEXT) | instid1(VALU_DEP_1)
	v_lshrrev_b32_e32 v18, v10, v18
	v_and_b32_e32 v18, v18, v114
	s_delay_alu instid0(VALU_DEP_1) | instskip(NEXT) | instid1(VALU_DEP_1)
	v_lshlrev_b32_e32 v19, 3, v18
	v_add_lshl_u32 v19, v19, v144, 2
	s_delay_alu instid0(VALU_DEP_1) | instskip(NEXT) | instid1(VALU_DEP_1)
	v_add_co_u32 v112, s16, v9, v19
	v_add_co_ci_u32_e64 v113, s16, 0, v135, s16
	v_add_co_u32 v18, s16, v18, -1
	s_delay_alu instid0(VALU_DEP_1) | instskip(SKIP_2) | instid1(VALU_DEP_1)
	v_cndmask_b32_e64 v19, 0, 1, s16
	flat_load_b32 v176, v[112:113]
	; wave barrier
	v_cmp_ne_u32_e64 s16, 0, v19
	v_xor_b32_e32 v18, s16, v18
	s_delay_alu instid0(VALU_DEP_1) | instskip(NEXT) | instid1(VALU_DEP_1)
	v_and_b32_e32 v18, exec_lo, v18
	v_mbcnt_lo_u32_b32 v177, v18, 0
	v_cmp_ne_u32_e64 s17, 0, v18
	s_delay_alu instid0(VALU_DEP_2) | instskip(NEXT) | instid1(VALU_DEP_1)
	v_cmp_eq_u32_e64 s16, 0, v177
	s_and_b32 s17, s17, s16
	s_delay_alu instid0(SALU_CYCLE_1)
	s_and_saveexec_b32 s16, s17
	s_cbranch_execz .LBB1539_43
; %bb.42:                               ;   in Loop: Header=BB1539_29 Depth=1
	s_waitcnt vmcnt(0) lgkmcnt(0)
	v_bcnt_u32_b32 v18, v18, v176
	flat_store_b32 v[112:113], v18
.LBB1539_43:                            ;   in Loop: Header=BB1539_29 Depth=1
	s_or_b32 exec_lo, exec_lo, s16
	v_lshrrev_b32_e32 v82, 24, v81
	; wave barrier
	s_delay_alu instid0(VALU_DEP_1) | instskip(NEXT) | instid1(VALU_DEP_1)
	v_lshrrev_b32_e32 v18, v10, v82
	v_and_b32_e32 v18, v18, v114
	s_delay_alu instid0(VALU_DEP_1) | instskip(NEXT) | instid1(VALU_DEP_1)
	v_lshlrev_b32_e32 v19, 3, v18
	v_add_lshl_u32 v19, v19, v144, 2
	s_delay_alu instid0(VALU_DEP_1) | instskip(NEXT) | instid1(VALU_DEP_1)
	v_add_co_u32 v114, s16, v9, v19
	v_add_co_ci_u32_e64 v115, s16, 0, v135, s16
	v_add_co_u32 v18, s16, v18, -1
	s_delay_alu instid0(VALU_DEP_1) | instskip(SKIP_2) | instid1(VALU_DEP_1)
	v_cndmask_b32_e64 v19, 0, 1, s16
	flat_load_b32 v178, v[114:115]
	; wave barrier
	v_cmp_ne_u32_e64 s16, 0, v19
	v_xor_b32_e32 v18, s16, v18
	s_delay_alu instid0(VALU_DEP_1) | instskip(NEXT) | instid1(VALU_DEP_1)
	v_and_b32_e32 v18, exec_lo, v18
	v_mbcnt_lo_u32_b32 v179, v18, 0
	v_cmp_ne_u32_e64 s17, 0, v18
	s_delay_alu instid0(VALU_DEP_2) | instskip(NEXT) | instid1(VALU_DEP_1)
	v_cmp_eq_u32_e64 s16, 0, v179
	s_and_b32 s17, s17, s16
	s_delay_alu instid0(SALU_CYCLE_1)
	s_and_saveexec_b32 s16, s17
	s_cbranch_execz .LBB1539_45
; %bb.44:                               ;   in Loop: Header=BB1539_29 Depth=1
	s_waitcnt vmcnt(0) lgkmcnt(0)
	v_bcnt_u32_b32 v18, v18, v178
	flat_store_b32 v[114:115], v18
.LBB1539_45:                            ;   in Loop: Header=BB1539_29 Depth=1
	s_or_b32 exec_lo, exec_lo, s16
	; wave barrier
	s_waitcnt vmcnt(0) lgkmcnt(0)
	s_waitcnt_vscnt null, 0x0
	s_barrier
	buffer_gl0_inv
	s_clause 0x1
	flat_load_b128 v[22:25], v[4:5] offset:32
	flat_load_b128 v[18:21], v[28:29] offset:16
	s_waitcnt vmcnt(1) lgkmcnt(1)
	v_add_nc_u32_e32 v132, v23, v22
	s_delay_alu instid0(VALU_DEP_1) | instskip(SKIP_1) | instid1(VALU_DEP_1)
	v_add3_u32 v132, v132, v24, v25
	s_waitcnt vmcnt(0) lgkmcnt(0)
	v_add3_u32 v132, v132, v18, v19
	s_delay_alu instid0(VALU_DEP_1) | instskip(NEXT) | instid1(VALU_DEP_1)
	v_add3_u32 v21, v132, v20, v21
	v_mov_b32_dpp v132, v21 row_shr:1 row_mask:0xf bank_mask:0xf
	s_delay_alu instid0(VALU_DEP_1) | instskip(NEXT) | instid1(VALU_DEP_1)
	v_cndmask_b32_e64 v132, v132, 0, vcc_lo
	v_add_nc_u32_e32 v21, v132, v21
	s_delay_alu instid0(VALU_DEP_1) | instskip(NEXT) | instid1(VALU_DEP_1)
	v_mov_b32_dpp v132, v21 row_shr:2 row_mask:0xf bank_mask:0xf
	v_cndmask_b32_e64 v132, 0, v132, s0
	s_delay_alu instid0(VALU_DEP_1) | instskip(NEXT) | instid1(VALU_DEP_1)
	v_add_nc_u32_e32 v21, v21, v132
	v_mov_b32_dpp v132, v21 row_shr:4 row_mask:0xf bank_mask:0xf
	s_delay_alu instid0(VALU_DEP_1) | instskip(NEXT) | instid1(VALU_DEP_1)
	v_cndmask_b32_e64 v132, 0, v132, s1
	v_add_nc_u32_e32 v21, v21, v132
	s_delay_alu instid0(VALU_DEP_1) | instskip(NEXT) | instid1(VALU_DEP_1)
	v_mov_b32_dpp v132, v21 row_shr:8 row_mask:0xf bank_mask:0xf
	v_cndmask_b32_e64 v132, 0, v132, s2
	s_delay_alu instid0(VALU_DEP_1) | instskip(SKIP_3) | instid1(VALU_DEP_1)
	v_add_nc_u32_e32 v21, v21, v132
	ds_swizzle_b32 v132, v21 offset:swizzle(BROADCAST,32,15)
	s_waitcnt lgkmcnt(0)
	v_cndmask_b32_e64 v132, v132, 0, s3
	v_add_nc_u32_e32 v21, v21, v132
	s_and_saveexec_b32 s16, s4
	s_cbranch_execz .LBB1539_47
; %bb.46:                               ;   in Loop: Header=BB1539_29 Depth=1
	flat_store_b32 v[30:31], v21
.LBB1539_47:                            ;   in Loop: Header=BB1539_29 Depth=1
	s_or_b32 exec_lo, exec_lo, s16
	s_waitcnt lgkmcnt(0)
	s_waitcnt_vscnt null, 0x0
	s_barrier
	buffer_gl0_inv
	s_and_saveexec_b32 s16, s5
	s_cbranch_execz .LBB1539_49
; %bb.48:                               ;   in Loop: Header=BB1539_29 Depth=1
	flat_load_b32 v132, v[32:33]
	s_waitcnt vmcnt(0) lgkmcnt(0)
	v_mov_b32_dpp v133, v132 row_shr:1 row_mask:0xf bank_mask:0xf
	s_delay_alu instid0(VALU_DEP_1) | instskip(NEXT) | instid1(VALU_DEP_1)
	v_cndmask_b32_e64 v133, v133, 0, s11
	v_add_nc_u32_e32 v132, v133, v132
	s_delay_alu instid0(VALU_DEP_1) | instskip(NEXT) | instid1(VALU_DEP_1)
	v_mov_b32_dpp v133, v132 row_shr:2 row_mask:0xf bank_mask:0xf
	v_cndmask_b32_e64 v133, 0, v133, s14
	s_delay_alu instid0(VALU_DEP_1) | instskip(NEXT) | instid1(VALU_DEP_1)
	v_add_nc_u32_e32 v132, v132, v133
	v_mov_b32_dpp v133, v132 row_shr:4 row_mask:0xf bank_mask:0xf
	s_delay_alu instid0(VALU_DEP_1) | instskip(NEXT) | instid1(VALU_DEP_1)
	v_cndmask_b32_e64 v133, 0, v133, s15
	v_add_nc_u32_e32 v132, v132, v133
	flat_store_b32 v[32:33], v132
.LBB1539_49:                            ;   in Loop: Header=BB1539_29 Depth=1
	s_or_b32 exec_lo, exec_lo, s16
	v_mov_b32_e32 v132, 0
	s_waitcnt lgkmcnt(0)
	s_waitcnt_vscnt null, 0x0
	s_barrier
	buffer_gl0_inv
	s_and_saveexec_b32 s16, s6
	s_cbranch_execz .LBB1539_51
; %bb.50:                               ;   in Loop: Header=BB1539_29 Depth=1
	flat_load_b32 v132, v[36:37]
.LBB1539_51:                            ;   in Loop: Header=BB1539_29 Depth=1
	s_or_b32 exec_lo, exec_lo, s16
	s_waitcnt vmcnt(0) lgkmcnt(0)
	v_add_nc_u32_e32 v21, v132, v21
	v_add_nc_u32_e32 v10, 8, v10
	v_lshrrev_b32_e32 v167, 16, v80
	v_lshrrev_b32_e32 v165, 8, v81
	v_lshrrev_b32_e32 v166, 16, v81
	ds_bpermute_b32 v21, v145, v21
	v_cmp_lt_u32_e64 s16, v10, v11
	s_mov_b32 s18, -1
	s_waitcnt lgkmcnt(0)
	v_cndmask_b32_e64 v21, v21, v132, s7
	v_lshrrev_b64 v[132:133], 24, v[80:81]
	s_delay_alu instid0(VALU_DEP_2) | instskip(NEXT) | instid1(VALU_DEP_1)
	v_cndmask_b32_e64 v21, v21, 0, s10
	v_add_nc_u32_e32 v22, v21, v22
	s_delay_alu instid0(VALU_DEP_1) | instskip(NEXT) | instid1(VALU_DEP_1)
	v_add_nc_u32_e32 v23, v22, v23
	v_add_nc_u32_e32 v24, v23, v24
	s_delay_alu instid0(VALU_DEP_1) | instskip(NEXT) | instid1(VALU_DEP_1)
	v_add_nc_u32_e32 v161, v24, v25
	v_add_nc_u32_e32 v162, v161, v18
	s_delay_alu instid0(VALU_DEP_1) | instskip(NEXT) | instid1(VALU_DEP_1)
	v_add_nc_u32_e32 v163, v162, v19
	v_add_nc_u32_e32 v164, v163, v20
	s_clause 0x1
	flat_store_b128 v[4:5], v[21:24] offset:32
	flat_store_b128 v[28:29], v[161:164] offset:16
	v_mov_b32_e32 v163, v80
	s_waitcnt lgkmcnt(0)
	s_waitcnt_vscnt null, 0x0
	s_barrier
	buffer_gl0_inv
	s_clause 0x7
	flat_load_b32 v18, v[84:85]
	flat_load_b32 v19, v[86:87]
	;; [unrolled: 1-line block ×8, first 2 shown]
	v_lshrrev_b32_e32 v164, 8, v80
	s_waitcnt vmcnt(0) lgkmcnt(0)
	s_waitcnt_vscnt null, 0x0
                                        ; implicit-def: $vgpr84_vgpr85
                                        ; implicit-def: $vgpr86_vgpr87
                                        ; implicit-def: $vgpr96_vgpr97
                                        ; implicit-def: $vgpr98_vgpr99
	s_waitcnt vmcnt(7) lgkmcnt(7)
	v_add_nc_u32_e32 v162, v18, v116
	s_waitcnt vmcnt(6) lgkmcnt(6)
	v_add3_u32 v161, v118, v117, v19
	s_waitcnt vmcnt(5) lgkmcnt(5)
	v_add3_u32 v151, v128, v119, v20
	;; [unrolled: 2-line block ×4, first 2 shown]
	v_add_co_u32 v112, s17, v12, v162
	s_delay_alu instid0(VALU_DEP_1) | instskip(SKIP_1) | instid1(VALU_DEP_1)
	v_add_co_ci_u32_e64 v113, s17, 0, v13, s17
	v_add_co_u32 v116, s17, v12, v161
	v_add_co_ci_u32_e64 v117, s17, 0, v13, s17
	v_add_co_u32 v100, s17, v12, v151
	s_delay_alu instid0(VALU_DEP_1)
	v_add_co_ci_u32_e64 v101, s17, 0, v13, s17
	v_add_co_u32 v102, s17, v12, v150
	s_waitcnt vmcnt(2) lgkmcnt(2)
	v_add3_u32 v148, v160, v148, v23
	v_add_co_ci_u32_e64 v103, s17, 0, v13, s17
	v_add_co_u32 v114, s17, v12, v149
	s_waitcnt vmcnt(1) lgkmcnt(1)
	v_add3_u32 v147, v177, v176, v24
	;; [unrolled: 4-line block ×3, first 2 shown]
	v_add_co_ci_u32_e64 v119, s17, 0, v13, s17
	v_add_co_u32 v128, s17, v12, v147
	s_delay_alu instid0(VALU_DEP_1) | instskip(NEXT) | instid1(VALU_DEP_4)
	v_add_co_ci_u32_e64 v129, s17, 0, v13, s17
	v_add_co_u32 v130, s17, v12, v133
	s_delay_alu instid0(VALU_DEP_1)
	v_add_co_ci_u32_e64 v131, s17, 0, v13, s17
                                        ; implicit-def: $vgpr18_vgpr19
                                        ; implicit-def: $vgpr20_vgpr21
                                        ; implicit-def: $vgpr22_vgpr23
                                        ; implicit-def: $vgpr24_vgpr25
	s_and_saveexec_b32 s17, s16
	s_cbranch_execz .LBB1539_28
; %bb.52:                               ;   in Loop: Header=BB1539_29 Depth=1
	s_barrier
	buffer_gl0_inv
	s_clause 0x7
	flat_store_b8 v[112:113], v80
	flat_store_b8 v[116:117], v164
	;; [unrolled: 1-line block ×8, first 2 shown]
	s_waitcnt lgkmcnt(0)
	s_waitcnt_vscnt null, 0x0
	s_barrier
	buffer_gl0_inv
	s_clause 0x7
	flat_load_u8 v160, v[34:35]
	flat_load_u8 v176, v[34:35] offset:32
	flat_load_u8 v177, v[34:35] offset:64
	;; [unrolled: 1-line block ×7, first 2 shown]
	v_mad_u64_u32 v[18:19], null, v162, 7, v[112:113]
	v_mad_u64_u32 v[20:21], null, v161, 7, v[116:117]
	;; [unrolled: 1-line block ×8, first 2 shown]
	s_waitcnt vmcnt(0) lgkmcnt(0)
	s_barrier
	buffer_gl0_inv
	s_clause 0x7
	flat_store_b64 v[18:19], v[70:71]
	flat_store_b64 v[20:21], v[68:69]
	flat_store_b64 v[22:23], v[52:53]
	flat_store_b64 v[24:25], v[66:67]
	flat_store_b64 v[80:81], v[64:65]
	flat_store_b64 v[84:85], v[54:55]
	flat_store_b64 v[86:87], v[48:49]
	flat_store_b64 v[96:97], v[50:51]
	s_waitcnt lgkmcnt(0)
	s_waitcnt_vscnt null, 0x0
	s_barrier
	buffer_gl0_inv
	s_clause 0x7
	flat_load_b64 v[18:19], v[38:39]
	flat_load_b64 v[20:21], v[38:39] offset:256
	flat_load_b64 v[22:23], v[38:39] offset:512
	;; [unrolled: 1-line block ×7, first 2 shown]
	v_add_nc_u32_e32 v146, -8, v146
	s_xor_b32 s18, exec_lo, -1
	s_waitcnt vmcnt(0) lgkmcnt(0)
	s_barrier
	buffer_gl0_inv
	v_lshlrev_b16 v80, 8, v176
	v_lshlrev_b16 v81, 8, v178
	;; [unrolled: 1-line block ×3, first 2 shown]
	s_delay_alu instid0(VALU_DEP_3) | instskip(SKIP_1) | instid1(VALU_DEP_4)
	v_or_b32_e32 v80, v160, v80
	v_lshlrev_b16 v178, 8, v182
	v_or_b32_e32 v81, v177, v81
	s_delay_alu instid0(VALU_DEP_4) | instskip(NEXT) | instid1(VALU_DEP_4)
	v_or_b32_e32 v160, v179, v176
	v_and_b32_e32 v80, 0xffff, v80
	s_delay_alu instid0(VALU_DEP_4) | instskip(NEXT) | instid1(VALU_DEP_4)
	v_or_b32_e32 v176, v181, v178
	v_lshlrev_b32_e32 v81, 16, v81
	s_delay_alu instid0(VALU_DEP_4) | instskip(NEXT) | instid1(VALU_DEP_3)
	v_and_b32_e32 v160, 0xffff, v160
	v_lshlrev_b32_e32 v176, 16, v176
	s_delay_alu instid0(VALU_DEP_3) | instskip(NEXT) | instid1(VALU_DEP_2)
	v_or_b32_e32 v80, v80, v81
	v_or_b32_e32 v81, v160, v176
	s_branch .LBB1539_28
.LBB1539_53:
	s_or_b32 exec_lo, exec_lo, s20
	v_mad_u64_u32 v[9:10], null, v162, 7, v[112:113]
	v_add_co_u32 v4, vcc_lo, v12, v26
	v_mad_u64_u32 v[14:15], null, v161, 7, v[116:117]
	v_add_co_ci_u32_e32 v5, vcc_lo, 0, v13, vcc_lo
	s_barrier
	buffer_gl0_inv
	s_clause 0x7
	flat_store_b8 v[112:113], v163
	flat_store_b8 v[116:117], v164
	flat_store_b8 v[100:101], v167
	flat_store_b8 v[102:103], v132
	flat_store_b8 v[114:115], v83
	flat_store_b8 v[118:119], v165
	flat_store_b8 v[128:129], v166
	flat_store_b8 v[130:131], v82
	s_waitcnt lgkmcnt(0)
	s_waitcnt_vscnt null, 0x0
	s_barrier
	buffer_gl0_inv
	s_clause 0x7
	flat_load_u8 v33, v[4:5]
	flat_load_u8 v32, v[4:5] offset:256
	flat_load_u8 v31, v[4:5] offset:512
	;; [unrolled: 1-line block ×7, first 2 shown]
	s_waitcnt vmcnt(0) lgkmcnt(0)
	s_barrier
	buffer_gl0_inv
	s_clause 0x1
	flat_store_b64 v[9:10], v[70:71]
	flat_store_b64 v[14:15], v[68:69]
	v_mad_u64_u32 v[9:10], null, v151, 7, v[100:101]
	v_mad_u64_u32 v[14:15], null, v150, 7, v[102:103]
	;; [unrolled: 1-line block ×4, first 2 shown]
	s_clause 0x3
	flat_store_b64 v[9:10], v[52:53]
	flat_store_b64 v[14:15], v[66:67]
	;; [unrolled: 1-line block ×4, first 2 shown]
	v_mad_u64_u32 v[9:10], null, v26, 7, v[4:5]
	v_mad_u64_u32 v[20:21], null, v147, 7, v[128:129]
	v_lshl_or_b32 v11, v26, 3, 0x2000
	v_mad_u64_u32 v[34:35], null, v133, 7, v[130:131]
	s_clause 0x1
	flat_store_b64 v[20:21], v[48:49]
	flat_store_b64 v[34:35], v[50:51]
	v_add_co_u32 v4, vcc_lo, 0x1000, v9
	v_add_co_ci_u32_e32 v5, vcc_lo, 0, v10, vcc_lo
	v_add_co_u32 v11, vcc_lo, v12, v11
	v_add_co_ci_u32_e32 v12, vcc_lo, 0, v13, vcc_lo
	;; [unrolled: 2-line block ×3, first 2 shown]
	v_add_co_u32 v36, vcc_lo, 0x3000, v9
	s_waitcnt lgkmcnt(0)
	s_waitcnt_vscnt null, 0x0
	s_barrier
	buffer_gl0_inv
	v_add_co_ci_u32_e32 v37, vcc_lo, 0, v10, vcc_lo
	s_clause 0x7
	flat_load_b64 v[21:22], v[9:10]
	flat_load_b64 v[19:20], v[9:10] offset:2048
	flat_load_b64 v[17:18], v[4:5]
	flat_load_b64 v[15:16], v[4:5] offset:2048
	;; [unrolled: 2-line block ×4, first 2 shown]
	v_add_co_u32 v2, vcc_lo, v2, v8
	v_add_co_ci_u32_e32 v3, vcc_lo, 0, v3, vcc_lo
	v_mov_b32_e32 v28, 0
	s_delay_alu instid0(VALU_DEP_3) | instskip(NEXT) | instid1(VALU_DEP_3)
	v_add_co_u32 v2, vcc_lo, v2, v27
	v_add_co_ci_u32_e32 v3, vcc_lo, 0, v3, vcc_lo
	v_cmp_lt_u32_e32 vcc_lo, v27, v134
	s_waitcnt vmcnt(0) lgkmcnt(0)
	s_barrier
	buffer_gl0_inv
	s_and_saveexec_b32 s0, vcc_lo
	s_cbranch_execz .LBB1539_55
; %bb.54:
	v_xor_b32_e32 v8, 1, v33
	flat_store_b8 v[2:3], v8
.LBB1539_55:
	s_or_b32 exec_lo, exec_lo, s0
	v_add_nc_u32_e32 v8, 0x100, v27
	s_delay_alu instid0(VALU_DEP_1) | instskip(NEXT) | instid1(VALU_DEP_1)
	v_cmp_lt_u32_e64 s2, v8, v134
	s_and_saveexec_b32 s0, s2
	s_cbranch_execz .LBB1539_57
; %bb.56:
	v_xor_b32_e32 v8, 1, v32
	flat_store_b8 v[2:3], v8 offset:256
.LBB1539_57:
	s_or_b32 exec_lo, exec_lo, s0
	v_add_nc_u32_e32 v8, 0x200, v27
	s_delay_alu instid0(VALU_DEP_1) | instskip(NEXT) | instid1(VALU_DEP_1)
	v_cmp_lt_u32_e64 s6, v8, v134
	s_and_saveexec_b32 s0, s6
	s_cbranch_execz .LBB1539_59
; %bb.58:
	v_xor_b32_e32 v8, 1, v31
	flat_store_b8 v[2:3], v8 offset:512
.LBB1539_59:
	;; [unrolled: 10-line block ×7, first 2 shown]
	s_or_b32 exec_lo, exec_lo, s7
	v_lshlrev_b64 v[2:3], 3, v[27:28]
	v_add_co_u32 v0, s7, v6, v0
	s_delay_alu instid0(VALU_DEP_1) | instskip(NEXT) | instid1(VALU_DEP_2)
	v_add_co_ci_u32_e64 v1, s7, v7, v1, s7
	v_add_co_u32 v0, s7, v0, v2
	s_delay_alu instid0(VALU_DEP_1)
	v_add_co_ci_u32_e64 v1, s7, v1, v3, s7
	s_and_saveexec_b32 s7, vcc_lo
	s_cbranch_execnz .LBB1539_119
; %bb.70:
	s_or_b32 exec_lo, exec_lo, s7
	s_and_saveexec_b32 s7, s2
	s_cbranch_execnz .LBB1539_120
.LBB1539_71:
	s_or_b32 exec_lo, exec_lo, s7
	s_and_saveexec_b32 s2, s6
	s_cbranch_execnz .LBB1539_121
.LBB1539_72:
	s_or_b32 exec_lo, exec_lo, s2
	s_and_saveexec_b32 s2, s5
	s_cbranch_execnz .LBB1539_122
.LBB1539_73:
	s_or_b32 exec_lo, exec_lo, s2
	s_and_saveexec_b32 s2, s4
	s_cbranch_execnz .LBB1539_123
.LBB1539_74:
	s_or_b32 exec_lo, exec_lo, s2
	s_and_saveexec_b32 s2, s3
	s_cbranch_execnz .LBB1539_124
.LBB1539_75:
	s_or_b32 exec_lo, exec_lo, s2
	s_and_saveexec_b32 s2, s1
	s_cbranch_execnz .LBB1539_125
.LBB1539_76:
	s_or_b32 exec_lo, exec_lo, s2
	s_and_saveexec_b32 s1, s0
	s_cbranch_execz .LBB1539_78
.LBB1539_77:
	v_add_co_u32 v0, vcc_lo, 0x3000, v0
	v_add_co_ci_u32_e32 v1, vcc_lo, 0, v1, vcc_lo
	flat_store_b64 v[0:1], v[4:5] offset:2048
.LBB1539_78:
	s_or_b32 exec_lo, exec_lo, s1
                                        ; implicit-def: $vgpr134
                                        ; implicit-def: $vgpr0
                                        ; implicit-def: $vgpr1
                                        ; implicit-def: $vgpr2
                                        ; implicit-def: $vgpr3
                                        ; implicit-def: $vgpr4
                                        ; implicit-def: $vgpr5
                                        ; implicit-def: $vgpr6
                                        ; implicit-def: $vgpr7
                                        ; implicit-def: $vgpr8
                                        ; implicit-def: $vgpr10
                                        ; implicit-def: $vgpr11
                                        ; implicit-def: $vgpr12
                                        ; implicit-def: $vgpr13
                                        ; implicit-def: $vgpr14
                                        ; implicit-def: $vgpr15
                                        ; implicit-def: $vgpr26
                                        ; implicit-def: $vgpr34
.LBB1539_79:
	s_and_not1_saveexec_b32 s0, s19
	s_cbranch_execz .LBB1539_199
; %bb.80:
	s_mov_b32 s0, exec_lo
	v_cmpx_lt_u32_e32 0x200, v134
	s_xor_b32 s19, exec_lo, s0
	s_cbranch_execz .LBB1539_140
; %bb.81:
	s_load_b64 s[0:1], s[8:9], 0x0
	v_mov_b32_e32 v9, 0
	v_add_co_u32 v0, vcc_lo, v0, v8
	v_add_co_ci_u32_e32 v1, vcc_lo, 0, v1, vcc_lo
	s_delay_alu instid0(VALU_DEP_2) | instskip(NEXT) | instid1(VALU_DEP_2)
	v_add_co_u32 v0, vcc_lo, v0, v34
	v_add_co_ci_u32_e32 v1, vcc_lo, 0, v1, vcc_lo
	s_waitcnt lgkmcnt(0)
	s_cmp_lt_u32 s13, s1
	s_cselect_b32 s1, 14, 20
	s_delay_alu instid0(SALU_CYCLE_1) | instskip(SKIP_4) | instid1(SALU_CYCLE_1)
	s_add_u32 s2, s8, s1
	s_addc_u32 s3, s9, 0
	s_cmp_lt_u32 s12, s0
	global_load_u16 v16, v9, s[2:3]
	s_cselect_b32 s0, 12, 18
	s_add_u32 s0, s8, s0
	s_addc_u32 s1, s9, 0
	global_load_u16 v17, v9, s[0:1]
	s_waitcnt vmcnt(1)
	v_mad_u32_u24 v14, v15, v16, v14
	s_waitcnt vmcnt(0)
	s_delay_alu instid0(VALU_DEP_1) | instskip(NEXT) | instid1(VALU_DEP_1)
	v_mad_u64_u32 v[27:28], null, v14, v17, v[26:27]
	v_lshlrev_b32_e32 v14, 2, v27
	v_mov_b32_e32 v16, v9
	s_delay_alu instid0(VALU_DEP_2) | instskip(NEXT) | instid1(VALU_DEP_1)
	v_dual_mov_b32 v15, v9 :: v_dual_and_b32 v14, 0xffffff80, v14
	v_or_b32_e32 v17, v14, v34
	v_add_co_u32 v0, vcc_lo, v0, v14
	v_add_co_ci_u32_e32 v1, vcc_lo, 0, v1, vcc_lo
	s_delay_alu instid0(VALU_DEP_3)
	v_cmp_lt_u32_e32 vcc_lo, v17, v134
	s_and_saveexec_b32 s0, vcc_lo
	s_cbranch_execz .LBB1539_83
; %bb.82:
	flat_load_u8 v16, v[0:1]
.LBB1539_83:
	s_or_b32 exec_lo, exec_lo, s0
	v_or_b32_e32 v18, 32, v17
	s_delay_alu instid0(VALU_DEP_1) | instskip(NEXT) | instid1(VALU_DEP_1)
	v_cmp_lt_u32_e64 s0, v18, v134
	s_and_saveexec_b32 s1, s0
	s_cbranch_execz .LBB1539_85
; %bb.84:
	flat_load_u8 v18, v[0:1] offset:32
	s_waitcnt vmcnt(0) lgkmcnt(0)
	v_lshlrev_b16 v18, 8, v18
	s_delay_alu instid0(VALU_DEP_1) | instskip(NEXT) | instid1(VALU_DEP_1)
	v_or_b32_e32 v16, v16, v18
	v_and_b32_e32 v16, 0xffff, v16
.LBB1539_85:
	s_or_b32 exec_lo, exec_lo, s1
	v_or_b32_e32 v18, 64, v17
	s_delay_alu instid0(VALU_DEP_1) | instskip(NEXT) | instid1(VALU_DEP_1)
	v_cmp_lt_u32_e64 s1, v18, v134
	s_and_saveexec_b32 s2, s1
	s_cbranch_execz .LBB1539_87
; %bb.86:
	flat_load_u8 v18, v[0:1] offset:64
	s_waitcnt vmcnt(0) lgkmcnt(0)
	v_lshl_or_b32 v16, v18, 16, v16
.LBB1539_87:
	s_or_b32 exec_lo, exec_lo, s2
	v_or_b32_e32 v17, 0x60, v17
	s_delay_alu instid0(VALU_DEP_1) | instskip(NEXT) | instid1(VALU_DEP_1)
	v_cmp_lt_u32_e64 s2, v17, v134
	s_and_saveexec_b32 s3, s2
	s_cbranch_execz .LBB1539_89
; %bb.88:
	flat_load_u8 v0, v[0:1] offset:96
	s_waitcnt vmcnt(1) lgkmcnt(1)
	v_lshrrev_b32_e32 v1, 16, v16
	s_waitcnt vmcnt(0) lgkmcnt(0)
	v_lshlrev_b16 v0, 8, v0
	s_delay_alu instid0(VALU_DEP_1) | instskip(NEXT) | instid1(VALU_DEP_1)
	v_or_b32_e32 v0, v1, v0
	v_lshlrev_b32_e32 v0, 16, v0
	s_delay_alu instid0(VALU_DEP_1)
	v_and_or_b32 v16, 0xffff, v16, v0
.LBB1539_89:
	s_or_b32 exec_lo, exec_lo, s3
	v_lshlrev_b64 v[0:1], 3, v[8:9]
	v_lshlrev_b32_e32 v9, 3, v34
	s_delay_alu instid0(VALU_DEP_2) | instskip(NEXT) | instid1(VALU_DEP_1)
	v_add_co_u32 v17, s3, v4, v0
	v_add_co_ci_u32_e64 v18, s3, v5, v1, s3
	v_lshlrev_b64 v[4:5], 3, v[14:15]
	s_delay_alu instid0(VALU_DEP_3) | instskip(NEXT) | instid1(VALU_DEP_1)
	v_add_co_u32 v9, s3, v17, v9
	v_add_co_ci_u32_e64 v14, s3, 0, v18, s3
                                        ; implicit-def: $vgpr18_vgpr19
	s_delay_alu instid0(VALU_DEP_2) | instskip(NEXT) | instid1(VALU_DEP_1)
	v_add_co_u32 v4, s3, v9, v4
	v_add_co_ci_u32_e64 v5, s3, v14, v5, s3
	s_and_saveexec_b32 s3, vcc_lo
	s_cbranch_execnz .LBB1539_164
; %bb.90:
	s_or_b32 exec_lo, exec_lo, s3
                                        ; implicit-def: $vgpr20_vgpr21
	s_and_saveexec_b32 s3, s0
	s_cbranch_execnz .LBB1539_165
.LBB1539_91:
	s_or_b32 exec_lo, exec_lo, s3
                                        ; implicit-def: $vgpr22_vgpr23
	s_and_saveexec_b32 s0, s1
	s_cbranch_execnz .LBB1539_166
.LBB1539_92:
	s_or_b32 exec_lo, exec_lo, s0
                                        ; implicit-def: $vgpr24_vgpr25
	s_and_saveexec_b32 s0, s2
	s_cbranch_execz .LBB1539_94
.LBB1539_93:
	flat_load_b64 v[24:25], v[4:5] offset:768
.LBB1539_94:
	s_or_b32 exec_lo, exec_lo, s0
	s_waitcnt vmcnt(0) lgkmcnt(0)
	v_lshrrev_b16 v4, 8, v16
	s_mov_b32 s20, 0
	v_and_b32_e32 v17, 0x3e0, v26
	s_mov_b32 s21, s20
	s_mov_b32 s22, s20
	v_dual_mov_b32 v15, 0 :: v_dual_and_b32 v4, 1, v4
	s_mov_b32 s23, s20
	v_and_b32_e32 v5, 0x1000000, v16
	v_and_b32_e32 v14, 1, v16
	;; [unrolled: 1-line block ×3, first 2 shown]
	v_cmp_eq_u32_e64 s0, 1, v4
	v_add_nc_u32_e32 v30, -1, v34
	v_cmp_ne_u32_e32 vcc_lo, 0, v5
	v_cmp_eq_u32_e64 s2, 1, v14
	v_cmp_ne_u32_e64 s1, 0, v9
	s_xor_b32 s0, s0, -1
	v_and_b32_e32 v16, 15, v34
	s_xor_b32 s3, vcc_lo, -1
	v_cndmask_b32_e64 v5, 0, 1, s0
	v_cndmask_b32_e64 v4, 0, 1, s3
	s_xor_b32 s0, s2, -1
	v_cmp_gt_i32_e64 s4, 0, v30
	v_cndmask_b32_e64 v9, 0, 1, s0
	s_xor_b32 s0, s1, -1
	v_lshlrev_b16 v4, 8, v4
	v_cndmask_b32_e64 v14, 0, 1, s0
	v_lshlrev_b16 v5, 8, v5
	s_getpc_b64 s[0:1]
	s_add_u32 s0, s0, _ZN7rocprim17ROCPRIM_400000_NS16block_radix_sortIbLj256ELj4ElLj1ELj1ELj8ELNS0_26block_radix_rank_algorithmE2ELNS0_18block_padding_hintE2ELNS0_4arch9wavefront6targetE0EE19radix_bits_per_passE@rel32@lo+4
	s_addc_u32 s1, s1, _ZN7rocprim17ROCPRIM_400000_NS16block_radix_sortIbLj256ELj4ElLj1ELj1ELj8ELNS0_26block_radix_rank_algorithmE2ELNS0_18block_padding_hintE2ELNS0_4arch9wavefront6targetE0EE19radix_bits_per_passE@rel32@hi+12
	v_cmp_lt_u32_e64 s2, 7, v16
	s_load_b32 s25, s[0:1], 0x0
	v_or_b32_e32 v4, v14, v4
	v_or_b32_e32 v5, v9, v5
	v_lshlrev_b32_e32 v14, 5, v26
	v_add_co_u32 v9, vcc_lo, v12, 32
	s_delay_alu instid0(VALU_DEP_4) | instskip(NEXT) | instid1(VALU_DEP_4)
	v_lshlrev_b32_e32 v4, 16, v4
	v_and_b32_e32 v5, 0xffff, v5
	v_add_co_ci_u32_e32 v80, vcc_lo, 0, v13, vcc_lo
	v_cmp_lt_u32_e64 s0, 1, v16
	v_cmp_lt_u32_e64 s1, 3, v16
	s_delay_alu instid0(VALU_DEP_4)
	v_or_b32_e32 v83, v5, v4
	v_add_co_u32 v4, vcc_lo, v12, v14
	v_add_co_ci_u32_e32 v5, vcc_lo, 0, v13, vcc_lo
	v_add_co_u32 v28, vcc_lo, v9, v14
	v_min_u32_e32 v14, 0xe0, v17
	v_and_b32_e32 v17, 16, v34
	v_add_co_ci_u32_e32 v29, vcc_lo, 0, v80, vcc_lo
	v_cmp_eq_u32_e32 vcc_lo, 0, v16
	s_delay_alu instid0(VALU_DEP_4) | instskip(NEXT) | instid1(VALU_DEP_4)
	v_or_b32_e32 v14, 31, v14
	v_cmp_eq_u32_e64 s3, 0, v17
	v_lshrrev_b32_e32 v17, 5, v26
	v_cndmask_b32_e64 v16, v30, v34, s4
	v_and_b32_e32 v35, 7, v34
	v_cmp_eq_u32_e64 s4, v14, v26
	v_cmp_eq_u32_e64 s7, 0, v34
	v_lshlrev_b32_e32 v14, 2, v17
	v_lshlrev_b32_e32 v82, 2, v16
	;; [unrolled: 1-line block ×3, first 2 shown]
	v_cmp_lt_u32_e64 s14, 1, v35
	v_cmp_lt_u32_e64 s15, 3, v35
	v_add_co_u32 v30, s11, v12, v14
	s_delay_alu instid0(VALU_DEP_1)
	v_add_co_ci_u32_e64 v31, s11, 0, v13, s11
	v_add_co_u32 v32, s11, v12, v16
	v_and_or_b32 v16, 0xf80, v16, v34
	v_add_nc_u32_e32 v14, -1, v17
	v_add_co_ci_u32_e64 v33, s11, 0, v13, s11
	v_cmp_eq_u32_e64 s11, 0, v35
	s_delay_alu instid0(VALU_DEP_4) | instskip(NEXT) | instid1(VALU_DEP_4)
	v_add_co_u32 v34, s16, v12, v16
	v_lshlrev_b64 v[14:15], 2, v[14:15]
	v_add_co_ci_u32_e64 v35, s16, 0, v13, s16
	v_lshrrev_b32_e32 v81, 5, v27
	v_cmp_gt_u32_e64 s5, 8, v26
	v_cmp_lt_u32_e64 s6, 31, v26
	v_add_co_u32 v36, s16, v12, v14
	v_mad_u64_u32 v[38:39], null, v16, 7, v[34:35]
	v_add_co_ci_u32_e64 v37, s16, v13, v15, s16
	v_dual_mov_b32 v14, s20 :: v_dual_mov_b32 v17, s23
	v_cmp_eq_u32_e64 s10, 0, v26
	v_sub_nc_u32_e32 v84, v11, v10
	v_dual_mov_b32 v15, s21 :: v_dual_mov_b32 v16, s22
	s_waitcnt lgkmcnt(0)
	s_waitcnt_vscnt null, 0x0
	s_barrier
	buffer_gl0_inv
	s_branch .LBB1539_96
.LBB1539_95:                            ;   in Loop: Header=BB1539_96 Depth=1
	s_or_b32 exec_lo, exec_lo, s17
	s_delay_alu instid0(SALU_CYCLE_1) | instskip(NEXT) | instid1(SALU_CYCLE_1)
	s_and_b32 s16, exec_lo, s18
	s_or_b32 s20, s16, s20
	s_delay_alu instid0(SALU_CYCLE_1)
	s_and_not1_b32 exec_lo, exec_lo, s20
	s_cbranch_execz .LBB1539_126
.LBB1539_96:                            ; =>This Inner Loop Header: Depth=1
	v_min_u32_e32 v48, s25, v84
	v_and_b32_e32 v49, 0xff, v83
	v_dual_mov_b32 v53, v19 :: v_dual_mov_b32 v52, v18
	v_mov_b32_e32 v51, v21
	s_delay_alu instid0(VALU_DEP_4) | instskip(NEXT) | instid1(VALU_DEP_4)
	v_lshlrev_b32_e64 v48, v48, -1
	v_lshrrev_b32_e32 v49, v10, v49
	v_mov_b32_e32 v50, v20
	s_clause 0x1
	flat_store_b128 v[4:5], v[14:17] offset:32
	flat_store_b128 v[28:29], v[14:17] offset:16
	s_waitcnt lgkmcnt(0)
	s_waitcnt_vscnt null, 0x0
	v_not_b32_e32 v70, v48
	s_barrier
	buffer_gl0_inv
	; wave barrier
	v_and_b32_e32 v64, v49, v70
	s_delay_alu instid0(VALU_DEP_1) | instskip(NEXT) | instid1(VALU_DEP_1)
	v_add_co_u32 v48, s16, v64, -1
	v_cndmask_b32_e64 v49, 0, 1, s16
	s_delay_alu instid0(VALU_DEP_1) | instskip(NEXT) | instid1(VALU_DEP_1)
	v_cmp_ne_u32_e64 s16, 0, v49
	v_xor_b32_e32 v54, s16, v48
	v_dual_mov_b32 v49, v23 :: v_dual_mov_b32 v48, v22
	v_lshlrev_b32_e32 v19, 3, v64
	s_delay_alu instid0(VALU_DEP_3) | instskip(SKIP_1) | instid1(VALU_DEP_3)
	v_dual_mov_b32 v55, v25 :: v_dual_and_b32 v18, exec_lo, v54
	v_mov_b32_e32 v54, v24
	v_add_lshl_u32 v19, v19, v81, 2
	s_delay_alu instid0(VALU_DEP_3) | instskip(SKIP_1) | instid1(VALU_DEP_3)
	v_mbcnt_lo_u32_b32 v86, v18, 0
	v_cmp_ne_u32_e64 s16, 0, v18
	v_add_co_u32 v64, s18, v9, v19
	s_delay_alu instid0(VALU_DEP_3) | instskip(SKIP_1) | instid1(VALU_DEP_2)
	v_cmp_eq_u32_e64 s17, 0, v86
	v_add_co_ci_u32_e64 v65, s18, 0, v80, s18
	s_and_b32 s17, s16, s17
	s_delay_alu instid0(SALU_CYCLE_1)
	s_and_saveexec_b32 s16, s17
	s_cbranch_execz .LBB1539_98
; %bb.97:                               ;   in Loop: Header=BB1539_96 Depth=1
	v_bcnt_u32_b32 v18, v18, 0
	flat_store_b32 v[64:65], v18
.LBB1539_98:                            ;   in Loop: Header=BB1539_96 Depth=1
	s_or_b32 exec_lo, exec_lo, s16
	v_bfe_u32 v18, v83, 8, 8
	; wave barrier
	s_delay_alu instid0(VALU_DEP_1) | instskip(NEXT) | instid1(VALU_DEP_1)
	v_lshrrev_b32_e32 v18, v10, v18
	v_and_b32_e32 v18, v18, v70
	s_delay_alu instid0(VALU_DEP_1) | instskip(NEXT) | instid1(VALU_DEP_1)
	v_lshlrev_b32_e32 v19, 3, v18
	v_add_lshl_u32 v19, v19, v81, 2
	s_delay_alu instid0(VALU_DEP_1) | instskip(NEXT) | instid1(VALU_DEP_1)
	v_add_co_u32 v66, s16, v9, v19
	v_add_co_ci_u32_e64 v67, s16, 0, v80, s16
	v_add_co_u32 v18, s16, v18, -1
	s_delay_alu instid0(VALU_DEP_1) | instskip(SKIP_2) | instid1(VALU_DEP_1)
	v_cndmask_b32_e64 v19, 0, 1, s16
	flat_load_b32 v87, v[66:67]
	; wave barrier
	v_cmp_ne_u32_e64 s16, 0, v19
	v_xor_b32_e32 v18, s16, v18
	s_delay_alu instid0(VALU_DEP_1) | instskip(NEXT) | instid1(VALU_DEP_1)
	v_and_b32_e32 v18, exec_lo, v18
	v_mbcnt_lo_u32_b32 v96, v18, 0
	v_cmp_ne_u32_e64 s17, 0, v18
	s_delay_alu instid0(VALU_DEP_2) | instskip(NEXT) | instid1(VALU_DEP_1)
	v_cmp_eq_u32_e64 s16, 0, v96
	s_and_b32 s17, s17, s16
	s_delay_alu instid0(SALU_CYCLE_1)
	s_and_saveexec_b32 s16, s17
	s_cbranch_execz .LBB1539_100
; %bb.99:                               ;   in Loop: Header=BB1539_96 Depth=1
	s_waitcnt vmcnt(0) lgkmcnt(0)
	v_bcnt_u32_b32 v18, v18, v87
	flat_store_b32 v[66:67], v18
.LBB1539_100:                           ;   in Loop: Header=BB1539_96 Depth=1
	s_or_b32 exec_lo, exec_lo, s16
	v_bfe_u32 v18, v83, 16, 8
	; wave barrier
	s_delay_alu instid0(VALU_DEP_1) | instskip(NEXT) | instid1(VALU_DEP_1)
	v_lshrrev_b32_e32 v18, v10, v18
	v_and_b32_e32 v18, v18, v70
	s_delay_alu instid0(VALU_DEP_1) | instskip(NEXT) | instid1(VALU_DEP_1)
	v_lshlrev_b32_e32 v19, 3, v18
	v_add_lshl_u32 v19, v19, v81, 2
	s_delay_alu instid0(VALU_DEP_1) | instskip(NEXT) | instid1(VALU_DEP_1)
	v_add_co_u32 v68, s16, v9, v19
	v_add_co_ci_u32_e64 v69, s16, 0, v80, s16
	v_add_co_u32 v18, s16, v18, -1
	s_delay_alu instid0(VALU_DEP_1) | instskip(SKIP_2) | instid1(VALU_DEP_1)
	v_cndmask_b32_e64 v19, 0, 1, s16
	flat_load_b32 v97, v[68:69]
	; wave barrier
	v_cmp_ne_u32_e64 s16, 0, v19
	v_xor_b32_e32 v18, s16, v18
	s_delay_alu instid0(VALU_DEP_1) | instskip(NEXT) | instid1(VALU_DEP_1)
	v_and_b32_e32 v18, exec_lo, v18
	v_mbcnt_lo_u32_b32 v98, v18, 0
	v_cmp_ne_u32_e64 s17, 0, v18
	s_delay_alu instid0(VALU_DEP_2) | instskip(NEXT) | instid1(VALU_DEP_1)
	v_cmp_eq_u32_e64 s16, 0, v98
	s_and_b32 s17, s17, s16
	s_delay_alu instid0(SALU_CYCLE_1)
	s_and_saveexec_b32 s16, s17
	s_cbranch_execz .LBB1539_102
; %bb.101:                              ;   in Loop: Header=BB1539_96 Depth=1
	s_waitcnt vmcnt(0) lgkmcnt(0)
	v_bcnt_u32_b32 v18, v18, v97
	flat_store_b32 v[68:69], v18
.LBB1539_102:                           ;   in Loop: Header=BB1539_96 Depth=1
	s_or_b32 exec_lo, exec_lo, s16
	v_lshrrev_b32_e32 v85, 24, v83
	; wave barrier
	s_delay_alu instid0(VALU_DEP_1) | instskip(NEXT) | instid1(VALU_DEP_1)
	v_lshrrev_b32_e32 v18, v10, v85
	v_and_b32_e32 v18, v18, v70
	s_delay_alu instid0(VALU_DEP_1) | instskip(NEXT) | instid1(VALU_DEP_1)
	v_lshlrev_b32_e32 v19, 3, v18
	v_add_lshl_u32 v19, v19, v81, 2
	s_delay_alu instid0(VALU_DEP_1) | instskip(NEXT) | instid1(VALU_DEP_1)
	v_add_co_u32 v70, s16, v9, v19
	v_add_co_ci_u32_e64 v71, s16, 0, v80, s16
	v_add_co_u32 v18, s16, v18, -1
	s_delay_alu instid0(VALU_DEP_1) | instskip(SKIP_2) | instid1(VALU_DEP_1)
	v_cndmask_b32_e64 v19, 0, 1, s16
	flat_load_b32 v100, v[70:71]
	; wave barrier
	v_cmp_ne_u32_e64 s16, 0, v19
	v_xor_b32_e32 v18, s16, v18
	s_delay_alu instid0(VALU_DEP_1) | instskip(NEXT) | instid1(VALU_DEP_1)
	v_and_b32_e32 v18, exec_lo, v18
	v_mbcnt_lo_u32_b32 v112, v18, 0
	v_cmp_ne_u32_e64 s17, 0, v18
	s_delay_alu instid0(VALU_DEP_2) | instskip(NEXT) | instid1(VALU_DEP_1)
	v_cmp_eq_u32_e64 s16, 0, v112
	s_and_b32 s17, s17, s16
	s_delay_alu instid0(SALU_CYCLE_1)
	s_and_saveexec_b32 s16, s17
	s_cbranch_execz .LBB1539_104
; %bb.103:                              ;   in Loop: Header=BB1539_96 Depth=1
	s_waitcnt vmcnt(0) lgkmcnt(0)
	v_bcnt_u32_b32 v18, v18, v100
	flat_store_b32 v[70:71], v18
.LBB1539_104:                           ;   in Loop: Header=BB1539_96 Depth=1
	s_or_b32 exec_lo, exec_lo, s16
	; wave barrier
	s_waitcnt vmcnt(0) lgkmcnt(0)
	s_waitcnt_vscnt null, 0x0
	s_barrier
	buffer_gl0_inv
	s_clause 0x1
	flat_load_b128 v[22:25], v[4:5] offset:32
	flat_load_b128 v[18:21], v[28:29] offset:16
	s_waitcnt vmcnt(1) lgkmcnt(1)
	v_add_nc_u32_e32 v99, v23, v22
	s_delay_alu instid0(VALU_DEP_1) | instskip(SKIP_1) | instid1(VALU_DEP_1)
	v_add3_u32 v99, v99, v24, v25
	s_waitcnt vmcnt(0) lgkmcnt(0)
	v_add3_u32 v99, v99, v18, v19
	s_delay_alu instid0(VALU_DEP_1) | instskip(NEXT) | instid1(VALU_DEP_1)
	v_add3_u32 v21, v99, v20, v21
	v_mov_b32_dpp v99, v21 row_shr:1 row_mask:0xf bank_mask:0xf
	s_delay_alu instid0(VALU_DEP_1) | instskip(NEXT) | instid1(VALU_DEP_1)
	v_cndmask_b32_e64 v99, v99, 0, vcc_lo
	v_add_nc_u32_e32 v21, v99, v21
	s_delay_alu instid0(VALU_DEP_1) | instskip(NEXT) | instid1(VALU_DEP_1)
	v_mov_b32_dpp v99, v21 row_shr:2 row_mask:0xf bank_mask:0xf
	v_cndmask_b32_e64 v99, 0, v99, s0
	s_delay_alu instid0(VALU_DEP_1) | instskip(NEXT) | instid1(VALU_DEP_1)
	v_add_nc_u32_e32 v21, v21, v99
	v_mov_b32_dpp v99, v21 row_shr:4 row_mask:0xf bank_mask:0xf
	s_delay_alu instid0(VALU_DEP_1) | instskip(NEXT) | instid1(VALU_DEP_1)
	v_cndmask_b32_e64 v99, 0, v99, s1
	v_add_nc_u32_e32 v21, v21, v99
	s_delay_alu instid0(VALU_DEP_1) | instskip(NEXT) | instid1(VALU_DEP_1)
	v_mov_b32_dpp v99, v21 row_shr:8 row_mask:0xf bank_mask:0xf
	v_cndmask_b32_e64 v99, 0, v99, s2
	s_delay_alu instid0(VALU_DEP_1) | instskip(SKIP_3) | instid1(VALU_DEP_1)
	v_add_nc_u32_e32 v21, v21, v99
	ds_swizzle_b32 v99, v21 offset:swizzle(BROADCAST,32,15)
	s_waitcnt lgkmcnt(0)
	v_cndmask_b32_e64 v99, v99, 0, s3
	v_add_nc_u32_e32 v21, v21, v99
	s_and_saveexec_b32 s16, s4
	s_cbranch_execz .LBB1539_106
; %bb.105:                              ;   in Loop: Header=BB1539_96 Depth=1
	flat_store_b32 v[30:31], v21
.LBB1539_106:                           ;   in Loop: Header=BB1539_96 Depth=1
	s_or_b32 exec_lo, exec_lo, s16
	s_waitcnt lgkmcnt(0)
	s_waitcnt_vscnt null, 0x0
	s_barrier
	buffer_gl0_inv
	s_and_saveexec_b32 s16, s5
	s_cbranch_execz .LBB1539_108
; %bb.107:                              ;   in Loop: Header=BB1539_96 Depth=1
	flat_load_b32 v99, v[32:33]
	s_waitcnt vmcnt(0) lgkmcnt(0)
	v_mov_b32_dpp v101, v99 row_shr:1 row_mask:0xf bank_mask:0xf
	s_delay_alu instid0(VALU_DEP_1) | instskip(NEXT) | instid1(VALU_DEP_1)
	v_cndmask_b32_e64 v101, v101, 0, s11
	v_add_nc_u32_e32 v99, v101, v99
	s_delay_alu instid0(VALU_DEP_1) | instskip(NEXT) | instid1(VALU_DEP_1)
	v_mov_b32_dpp v101, v99 row_shr:2 row_mask:0xf bank_mask:0xf
	v_cndmask_b32_e64 v101, 0, v101, s14
	s_delay_alu instid0(VALU_DEP_1) | instskip(NEXT) | instid1(VALU_DEP_1)
	v_add_nc_u32_e32 v99, v99, v101
	v_mov_b32_dpp v101, v99 row_shr:4 row_mask:0xf bank_mask:0xf
	s_delay_alu instid0(VALU_DEP_1) | instskip(NEXT) | instid1(VALU_DEP_1)
	v_cndmask_b32_e64 v101, 0, v101, s15
	v_add_nc_u32_e32 v99, v99, v101
	flat_store_b32 v[32:33], v99
.LBB1539_108:                           ;   in Loop: Header=BB1539_96 Depth=1
	s_or_b32 exec_lo, exec_lo, s16
	v_mov_b32_e32 v99, 0
	s_waitcnt lgkmcnt(0)
	s_waitcnt_vscnt null, 0x0
	s_barrier
	buffer_gl0_inv
	s_and_saveexec_b32 s16, s6
	s_cbranch_execz .LBB1539_110
; %bb.109:                              ;   in Loop: Header=BB1539_96 Depth=1
	flat_load_b32 v99, v[36:37]
.LBB1539_110:                           ;   in Loop: Header=BB1539_96 Depth=1
	s_or_b32 exec_lo, exec_lo, s16
	s_waitcnt vmcnt(0) lgkmcnt(0)
	v_add_nc_u32_e32 v21, v99, v21
	v_add_nc_u32_e32 v10, 8, v10
	v_lshrrev_b32_e32 v102, 8, v83
	v_lshrrev_b32_e32 v103, 16, v83
	s_mov_b32 s18, -1
	ds_bpermute_b32 v21, v82, v21
	v_mov_b32_e32 v101, v83
	s_waitcnt lgkmcnt(0)
	v_cndmask_b32_e64 v21, v21, v99, s7
	s_delay_alu instid0(VALU_DEP_1) | instskip(NEXT) | instid1(VALU_DEP_1)
	v_cndmask_b32_e64 v21, v21, 0, s10
	v_add_nc_u32_e32 v22, v21, v22
	s_delay_alu instid0(VALU_DEP_1) | instskip(NEXT) | instid1(VALU_DEP_1)
	v_add_nc_u32_e32 v23, v22, v23
	v_add_nc_u32_e32 v24, v23, v24
	s_delay_alu instid0(VALU_DEP_1) | instskip(NEXT) | instid1(VALU_DEP_1)
	v_add_nc_u32_e32 v113, v24, v25
	v_add_nc_u32_e32 v114, v113, v18
	s_delay_alu instid0(VALU_DEP_1) | instskip(NEXT) | instid1(VALU_DEP_1)
	v_add_nc_u32_e32 v115, v114, v19
	v_add_nc_u32_e32 v116, v115, v20
	s_clause 0x1
	flat_store_b128 v[4:5], v[21:24] offset:32
	flat_store_b128 v[28:29], v[113:116] offset:16
	s_waitcnt lgkmcnt(0)
	s_waitcnt_vscnt null, 0x0
	s_barrier
	buffer_gl0_inv
	s_clause 0x3
	flat_load_b32 v18, v[64:65]
	flat_load_b32 v19, v[66:67]
	;; [unrolled: 1-line block ×4, first 2 shown]
	s_waitcnt vmcnt(0) lgkmcnt(0)
	s_waitcnt_vscnt null, 0x0
                                        ; implicit-def: $vgpr22_vgpr23
                                        ; implicit-def: $vgpr24_vgpr25
	s_waitcnt vmcnt(3) lgkmcnt(3)
	v_add_nc_u32_e32 v99, v18, v86
	s_waitcnt vmcnt(2) lgkmcnt(2)
	v_add3_u32 v96, v96, v87, v19
	s_waitcnt vmcnt(1) lgkmcnt(1)
	v_add3_u32 v87, v98, v97, v20
	;; [unrolled: 2-line block ×3, first 2 shown]
                                        ; implicit-def: $vgpr18_vgpr19
                                        ; implicit-def: $vgpr20_vgpr21
	v_add_co_u32 v64, s17, v12, v99
	s_delay_alu instid0(VALU_DEP_1) | instskip(SKIP_1) | instid1(VALU_DEP_1)
	v_add_co_ci_u32_e64 v65, s17, 0, v13, s17
	v_add_co_u32 v66, s17, v12, v96
	v_add_co_ci_u32_e64 v67, s17, 0, v13, s17
	v_add_co_u32 v68, s17, v12, v87
	s_delay_alu instid0(VALU_DEP_1) | instskip(SKIP_1) | instid1(VALU_DEP_1)
	v_add_co_ci_u32_e64 v69, s17, 0, v13, s17
	v_add_co_u32 v70, s17, v12, v86
	v_add_co_ci_u32_e64 v71, s17, 0, v13, s17
	s_mov_b32 s17, exec_lo
	v_cmpx_lt_u32_e64 v10, v11
	s_cbranch_execz .LBB1539_95
; %bb.111:                              ;   in Loop: Header=BB1539_96 Depth=1
	s_barrier
	buffer_gl0_inv
	s_clause 0x3
	flat_store_b8 v[64:65], v83
	flat_store_b8 v[66:67], v102
	;; [unrolled: 1-line block ×4, first 2 shown]
	s_waitcnt lgkmcnt(0)
	s_waitcnt_vscnt null, 0x0
	s_barrier
	buffer_gl0_inv
	s_clause 0x3
	flat_load_u8 v83, v[34:35]
	flat_load_u8 v97, v[34:35] offset:32
	flat_load_u8 v98, v[34:35] offset:64
	;; [unrolled: 1-line block ×3, first 2 shown]
	v_mad_u64_u32 v[18:19], null, v99, 7, v[64:65]
	v_mad_u64_u32 v[20:21], null, v96, 7, v[66:67]
	;; [unrolled: 1-line block ×4, first 2 shown]
	s_waitcnt vmcnt(0) lgkmcnt(0)
	s_barrier
	buffer_gl0_inv
	s_clause 0x3
	flat_store_b64 v[18:19], v[52:53]
	flat_store_b64 v[20:21], v[50:51]
	flat_store_b64 v[22:23], v[48:49]
	flat_store_b64 v[24:25], v[54:55]
	s_waitcnt lgkmcnt(0)
	s_waitcnt_vscnt null, 0x0
	s_barrier
	buffer_gl0_inv
	s_clause 0x3
	flat_load_b64 v[18:19], v[38:39]
	flat_load_b64 v[20:21], v[38:39] offset:256
	flat_load_b64 v[22:23], v[38:39] offset:512
	;; [unrolled: 1-line block ×3, first 2 shown]
	v_add_nc_u32_e32 v84, -8, v84
	s_xor_b32 s18, exec_lo, -1
	s_waitcnt vmcnt(0) lgkmcnt(0)
	s_barrier
	buffer_gl0_inv
	v_lshlrev_b16 v97, 8, v97
	v_lshlrev_b16 v100, 8, v100
	s_delay_alu instid0(VALU_DEP_2) | instskip(NEXT) | instid1(VALU_DEP_2)
	v_or_b32_e32 v83, v83, v97
	v_or_b32_e32 v97, v98, v100
	s_delay_alu instid0(VALU_DEP_2) | instskip(NEXT) | instid1(VALU_DEP_2)
	v_and_b32_e32 v83, 0xffff, v83
	v_lshlrev_b32_e32 v97, 16, v97
	s_delay_alu instid0(VALU_DEP_1)
	v_or_b32_e32 v83, v83, v97
	s_branch .LBB1539_95
.LBB1539_112:
	flat_load_b64 v[18:19], v[4:5]
	s_or_b32 exec_lo, exec_lo, s7
                                        ; implicit-def: $vgpr20_vgpr21
	s_and_saveexec_b32 s7, s0
	s_cbranch_execz .LBB1539_20
.LBB1539_113:
	flat_load_b64 v[20:21], v[4:5] offset:256
	s_or_b32 exec_lo, exec_lo, s7
                                        ; implicit-def: $vgpr22_vgpr23
	s_and_saveexec_b32 s0, s1
	s_cbranch_execz .LBB1539_21
.LBB1539_114:
	flat_load_b64 v[22:23], v[4:5] offset:512
	s_or_b32 exec_lo, exec_lo, s0
                                        ; implicit-def: $vgpr24_vgpr25
	s_and_saveexec_b32 s0, s2
	s_cbranch_execz .LBB1539_22
.LBB1539_115:
	flat_load_b64 v[24:25], v[4:5] offset:768
	s_or_b32 exec_lo, exec_lo, s0
                                        ; implicit-def: $vgpr84_vgpr85
	s_and_saveexec_b32 s0, s3
	s_cbranch_execz .LBB1539_23
.LBB1539_116:
	flat_load_b64 v[84:85], v[4:5] offset:1024
	s_or_b32 exec_lo, exec_lo, s0
                                        ; implicit-def: $vgpr86_vgpr87
	s_and_saveexec_b32 s0, s4
	s_cbranch_execz .LBB1539_24
.LBB1539_117:
	flat_load_b64 v[86:87], v[4:5] offset:1280
	s_or_b32 exec_lo, exec_lo, s0
                                        ; implicit-def: $vgpr96_vgpr97
	s_and_saveexec_b32 s0, s5
	s_cbranch_execz .LBB1539_25
.LBB1539_118:
	flat_load_b64 v[96:97], v[4:5] offset:1536
	s_or_b32 exec_lo, exec_lo, s0
                                        ; implicit-def: $vgpr98_vgpr99
	s_and_saveexec_b32 s0, s6
	s_cbranch_execnz .LBB1539_26
	s_branch .LBB1539_27
.LBB1539_119:
	flat_store_b64 v[0:1], v[21:22]
	s_or_b32 exec_lo, exec_lo, s7
	s_and_saveexec_b32 s7, s2
	s_cbranch_execz .LBB1539_71
.LBB1539_120:
	flat_store_b64 v[0:1], v[19:20] offset:2048
	s_or_b32 exec_lo, exec_lo, s7
	s_and_saveexec_b32 s2, s6
	s_cbranch_execz .LBB1539_72
.LBB1539_121:
	v_add_co_u32 v2, vcc_lo, 0x1000, v0
	v_add_co_ci_u32_e32 v3, vcc_lo, 0, v1, vcc_lo
	flat_store_b64 v[2:3], v[17:18]
	s_or_b32 exec_lo, exec_lo, s2
	s_and_saveexec_b32 s2, s5
	s_cbranch_execz .LBB1539_73
.LBB1539_122:
	v_add_co_u32 v2, vcc_lo, 0x1000, v0
	v_add_co_ci_u32_e32 v3, vcc_lo, 0, v1, vcc_lo
	flat_store_b64 v[2:3], v[15:16] offset:2048
	s_or_b32 exec_lo, exec_lo, s2
	s_and_saveexec_b32 s2, s4
	s_cbranch_execz .LBB1539_74
.LBB1539_123:
	v_add_co_u32 v2, vcc_lo, 0x2000, v0
	v_add_co_ci_u32_e32 v3, vcc_lo, 0, v1, vcc_lo
	flat_store_b64 v[2:3], v[13:14]
	s_or_b32 exec_lo, exec_lo, s2
	s_and_saveexec_b32 s2, s3
	s_cbranch_execz .LBB1539_75
.LBB1539_124:
	v_add_co_u32 v2, vcc_lo, 0x2000, v0
	v_add_co_ci_u32_e32 v3, vcc_lo, 0, v1, vcc_lo
	flat_store_b64 v[2:3], v[11:12] offset:2048
	s_or_b32 exec_lo, exec_lo, s2
	s_and_saveexec_b32 s2, s1
	s_cbranch_execz .LBB1539_76
.LBB1539_125:
	v_add_co_u32 v2, vcc_lo, 0x3000, v0
	v_add_co_ci_u32_e32 v3, vcc_lo, 0, v1, vcc_lo
	flat_store_b64 v[2:3], v[9:10]
	s_or_b32 exec_lo, exec_lo, s2
	s_and_saveexec_b32 s1, s0
	s_cbranch_execnz .LBB1539_77
	s_branch .LBB1539_78
.LBB1539_126:
	s_or_b32 exec_lo, exec_lo, s20
	v_add_co_u32 v4, vcc_lo, v12, v26
	v_add_co_ci_u32_e32 v5, vcc_lo, 0, v13, vcc_lo
	v_mad_u64_u32 v[9:10], null, v99, 7, v[64:65]
	v_mad_u64_u32 v[11:12], null, v96, 7, v[66:67]
	s_delay_alu instid0(VALU_DEP_3)
	v_mad_u64_u32 v[21:22], null, v26, 7, v[4:5]
	v_mad_u64_u32 v[13:14], null, v87, 7, v[68:69]
	s_barrier
	buffer_gl0_inv
	s_clause 0x3
	flat_store_b8 v[64:65], v101
	flat_store_b8 v[66:67], v102
	;; [unrolled: 1-line block ×4, first 2 shown]
	s_waitcnt lgkmcnt(0)
	s_waitcnt_vscnt null, 0x0
	s_barrier
	buffer_gl0_inv
	s_clause 0x3
	flat_load_u8 v18, v[4:5]
	flat_load_u8 v17, v[4:5] offset:256
	flat_load_u8 v16, v[4:5] offset:512
	;; [unrolled: 1-line block ×3, first 2 shown]
	v_mad_u64_u32 v[19:20], null, v86, 7, v[70:71]
	v_add_co_u32 v4, vcc_lo, 0x1000, v21
	v_add_co_ci_u32_e32 v5, vcc_lo, 0, v22, vcc_lo
	s_waitcnt vmcnt(0) lgkmcnt(0)
	s_barrier
	buffer_gl0_inv
	s_clause 0x3
	flat_store_b64 v[9:10], v[52:53]
	flat_store_b64 v[11:12], v[50:51]
	;; [unrolled: 1-line block ×4, first 2 shown]
	s_waitcnt lgkmcnt(0)
	s_waitcnt_vscnt null, 0x0
	s_barrier
	buffer_gl0_inv
	s_clause 0x3
	flat_load_b64 v[13:14], v[21:22]
	flat_load_b64 v[11:12], v[21:22] offset:2048
	flat_load_b64 v[9:10], v[4:5]
	flat_load_b64 v[4:5], v[4:5] offset:2048
	v_add_co_u32 v2, vcc_lo, v2, v8
	v_add_co_ci_u32_e32 v3, vcc_lo, 0, v3, vcc_lo
	v_mov_b32_e32 v28, 0
	s_delay_alu instid0(VALU_DEP_3) | instskip(NEXT) | instid1(VALU_DEP_3)
	v_add_co_u32 v2, vcc_lo, v2, v27
	v_add_co_ci_u32_e32 v3, vcc_lo, 0, v3, vcc_lo
	v_cmp_lt_u32_e32 vcc_lo, v27, v134
	s_waitcnt vmcnt(0) lgkmcnt(0)
	s_barrier
	buffer_gl0_inv
	s_and_saveexec_b32 s0, vcc_lo
	s_cbranch_execz .LBB1539_128
; %bb.127:
	v_xor_b32_e32 v8, 1, v18
	flat_store_b8 v[2:3], v8
.LBB1539_128:
	s_or_b32 exec_lo, exec_lo, s0
	v_add_nc_u32_e32 v8, 0x100, v27
	s_delay_alu instid0(VALU_DEP_1) | instskip(NEXT) | instid1(VALU_DEP_1)
	v_cmp_lt_u32_e64 s0, v8, v134
	s_and_saveexec_b32 s1, s0
	s_cbranch_execz .LBB1539_130
; %bb.129:
	v_xor_b32_e32 v8, 1, v17
	flat_store_b8 v[2:3], v8 offset:256
.LBB1539_130:
	s_or_b32 exec_lo, exec_lo, s1
	v_add_nc_u32_e32 v8, 0x200, v27
	s_delay_alu instid0(VALU_DEP_1) | instskip(NEXT) | instid1(VALU_DEP_1)
	v_cmp_lt_u32_e64 s2, v8, v134
	s_and_saveexec_b32 s1, s2
	s_cbranch_execz .LBB1539_132
; %bb.131:
	v_xor_b32_e32 v8, 1, v16
	flat_store_b8 v[2:3], v8 offset:512
.LBB1539_132:
	;; [unrolled: 10-line block ×3, first 2 shown]
	s_or_b32 exec_lo, exec_lo, s3
	v_lshlrev_b64 v[2:3], 3, v[27:28]
	v_add_co_u32 v0, s3, v6, v0
	s_delay_alu instid0(VALU_DEP_1) | instskip(NEXT) | instid1(VALU_DEP_2)
	v_add_co_ci_u32_e64 v1, s3, v7, v1, s3
	v_add_co_u32 v0, s3, v0, v2
	s_delay_alu instid0(VALU_DEP_1)
	v_add_co_ci_u32_e64 v1, s3, v1, v3, s3
	s_and_saveexec_b32 s3, vcc_lo
	s_cbranch_execnz .LBB1539_167
; %bb.135:
	s_or_b32 exec_lo, exec_lo, s3
	s_and_saveexec_b32 s3, s0
	s_cbranch_execnz .LBB1539_168
.LBB1539_136:
	s_or_b32 exec_lo, exec_lo, s3
	s_and_saveexec_b32 s0, s2
	s_cbranch_execnz .LBB1539_169
.LBB1539_137:
	s_or_b32 exec_lo, exec_lo, s0
	s_and_saveexec_b32 s0, s1
	s_cbranch_execz .LBB1539_139
.LBB1539_138:
	v_add_co_u32 v0, vcc_lo, 0x1000, v0
	v_add_co_ci_u32_e32 v1, vcc_lo, 0, v1, vcc_lo
	flat_store_b64 v[0:1], v[4:5] offset:2048
.LBB1539_139:
	s_or_b32 exec_lo, exec_lo, s0
                                        ; implicit-def: $vgpr134
                                        ; implicit-def: $vgpr0
                                        ; implicit-def: $vgpr1
                                        ; implicit-def: $vgpr2
                                        ; implicit-def: $vgpr3
                                        ; implicit-def: $vgpr4
                                        ; implicit-def: $vgpr5
                                        ; implicit-def: $vgpr6
                                        ; implicit-def: $vgpr7
                                        ; implicit-def: $vgpr8
                                        ; implicit-def: $vgpr10
                                        ; implicit-def: $vgpr11
                                        ; implicit-def: $vgpr12
                                        ; implicit-def: $vgpr13
                                        ; implicit-def: $vgpr14
                                        ; implicit-def: $vgpr15
                                        ; implicit-def: $vgpr26
                                        ; implicit-def: $vgpr34
.LBB1539_140:
	s_and_not1_saveexec_b32 s0, s19
	s_cbranch_execz .LBB1539_199
; %bb.141:
	s_load_b64 s[0:1], s[8:9], 0x0
	v_mov_b32_e32 v9, 0
	s_waitcnt lgkmcnt(0)
	s_cmp_lt_u32 s13, s1
	s_cselect_b32 s1, 14, 20
	s_delay_alu instid0(SALU_CYCLE_1) | instskip(SKIP_4) | instid1(SALU_CYCLE_1)
	s_add_u32 s2, s8, s1
	s_addc_u32 s3, s9, 0
	s_cmp_lt_u32 s12, s0
	global_load_u16 v16, v9, s[2:3]
	s_cselect_b32 s0, 12, 18
	s_add_u32 s0, s8, s0
	s_addc_u32 s1, s9, 0
	global_load_u16 v17, v9, s[0:1]
	s_mov_b32 s0, exec_lo
	s_waitcnt vmcnt(1)
	v_mad_u32_u24 v14, v15, v16, v14
	s_waitcnt vmcnt(0)
	s_delay_alu instid0(VALU_DEP_1)
	v_mad_u64_u32 v[27:28], null, v14, v17, v[26:27]
	v_cmpx_lt_u32_e32 0x100, v134
	s_xor_b32 s15, exec_lo, s0
	s_cbranch_execz .LBB1539_179
; %bb.142:
	s_delay_alu instid0(VALU_DEP_2) | instskip(SKIP_2) | instid1(VALU_DEP_3)
	v_dual_mov_b32 v15, v9 :: v_dual_lshlrev_b32 v14, 1, v27
	v_add_co_u32 v0, vcc_lo, v0, v8
	v_add_co_ci_u32_e32 v1, vcc_lo, 0, v1, vcc_lo
	v_and_b32_e32 v14, 0xffffffc0, v14
	s_delay_alu instid0(VALU_DEP_3) | instskip(NEXT) | instid1(VALU_DEP_3)
	v_add_co_u32 v0, vcc_lo, v0, v34
	v_add_co_ci_u32_e32 v1, vcc_lo, 0, v1, vcc_lo
	s_delay_alu instid0(VALU_DEP_3) | instskip(NEXT) | instid1(VALU_DEP_3)
	v_or_b32_e32 v17, v34, v14
	v_add_co_u32 v0, vcc_lo, v0, v14
	s_delay_alu instid0(VALU_DEP_3) | instskip(NEXT) | instid1(VALU_DEP_3)
	v_add_co_ci_u32_e32 v1, vcc_lo, 0, v1, vcc_lo
	v_cmp_lt_u32_e32 vcc_lo, v17, v134
	v_mov_b32_e32 v16, v9
	s_and_saveexec_b32 s0, vcc_lo
	s_cbranch_execz .LBB1539_144
; %bb.143:
	flat_load_u8 v16, v[0:1]
.LBB1539_144:
	s_or_b32 exec_lo, exec_lo, s0
	v_or_b32_e32 v17, 32, v17
	s_delay_alu instid0(VALU_DEP_1) | instskip(NEXT) | instid1(VALU_DEP_1)
	v_cmp_lt_u32_e64 s0, v17, v134
	s_and_saveexec_b32 s1, s0
	s_cbranch_execz .LBB1539_146
; %bb.145:
	flat_load_u8 v0, v[0:1] offset:32
	s_waitcnt vmcnt(0) lgkmcnt(0)
	v_lshlrev_b16 v0, 8, v0
	s_delay_alu instid0(VALU_DEP_1) | instskip(NEXT) | instid1(VALU_DEP_1)
	v_or_b32_e32 v0, v16, v0
	v_and_b32_e32 v16, 0xffff, v0
.LBB1539_146:
	s_or_b32 exec_lo, exec_lo, s1
	v_lshlrev_b64 v[0:1], 3, v[8:9]
	v_lshlrev_b32_e32 v9, 3, v34
	s_delay_alu instid0(VALU_DEP_2) | instskip(NEXT) | instid1(VALU_DEP_1)
	v_add_co_u32 v17, s1, v4, v0
	v_add_co_ci_u32_e64 v18, s1, v5, v1, s1
	v_lshlrev_b64 v[4:5], 3, v[14:15]
	s_delay_alu instid0(VALU_DEP_3) | instskip(NEXT) | instid1(VALU_DEP_1)
	v_add_co_u32 v9, s1, v17, v9
	v_add_co_ci_u32_e64 v14, s1, 0, v18, s1
                                        ; implicit-def: $vgpr18_vgpr19
	s_delay_alu instid0(VALU_DEP_2) | instskip(NEXT) | instid1(VALU_DEP_1)
	v_add_co_u32 v4, s1, v9, v4
	v_add_co_ci_u32_e64 v5, s1, v14, v5, s1
	s_and_saveexec_b32 s1, vcc_lo
	s_cbranch_execz .LBB1539_148
; %bb.147:
	flat_load_b64 v[18:19], v[4:5]
.LBB1539_148:
	s_or_b32 exec_lo, exec_lo, s1
                                        ; implicit-def: $vgpr20_vgpr21
	s_and_saveexec_b32 s1, s0
	s_cbranch_execz .LBB1539_150
; %bb.149:
	flat_load_b64 v[20:21], v[4:5] offset:256
.LBB1539_150:
	s_or_b32 exec_lo, exec_lo, s1
	s_waitcnt vmcnt(0) lgkmcnt(0)
	v_lshrrev_b16 v4, 8, v16
	v_add_co_u32 v9, vcc_lo, v12, 32
	s_mov_b32 s16, 0
	v_add_co_ci_u32_e32 v64, vcc_lo, 0, v13, vcc_lo
	s_delay_alu instid0(VALU_DEP_3)
	v_dual_mov_b32 v15, 0 :: v_dual_and_b32 v4, 1, v4
	s_mov_b32 s17, s16
	s_mov_b32 s18, s16
	;; [unrolled: 1-line block ×3, first 2 shown]
	v_and_b32_e32 v5, 1, v16
	v_cmp_eq_u32_e32 vcc_lo, 1, v4
	s_getpc_b64 s[2:3]
	s_add_u32 s2, s2, _ZN7rocprim17ROCPRIM_400000_NS16block_radix_sortIbLj256ELj2ElLj1ELj1ELj8ELNS0_26block_radix_rank_algorithmE2ELNS0_18block_padding_hintE2ELNS0_4arch9wavefront6targetE0EE19radix_bits_per_passE@rel32@lo+4
	s_addc_u32 s3, s3, _ZN7rocprim17ROCPRIM_400000_NS16block_radix_sortIbLj256ELj2ElLj1ELj1ELj8ELNS0_26block_radix_rank_algorithmE2ELNS0_18block_padding_hintE2ELNS0_4arch9wavefront6targetE0EE19radix_bits_per_passE@rel32@hi+12
	v_lshlrev_b32_e32 v14, 5, v26
	v_and_b32_e32 v17, 0x3e0, v26
	v_cmp_eq_u32_e64 s0, 1, v5
	s_xor_b32 s1, vcc_lo, -1
	v_and_b32_e32 v16, 15, v34
	v_cndmask_b32_e64 v4, 0, 1, s1
	s_load_b32 s20, s[2:3], 0x0
	s_xor_b32 s0, s0, -1
	v_cmp_eq_u32_e64 s7, 0, v34
	v_cndmask_b32_e64 v22, 0, 1, s0
	v_lshlrev_b16 v23, 8, v4
	v_add_co_u32 v4, vcc_lo, v12, v14
	v_add_co_ci_u32_e32 v5, vcc_lo, 0, v13, vcc_lo
	s_delay_alu instid0(VALU_DEP_3) | instskip(SKIP_3) | instid1(VALU_DEP_4)
	v_or_b32_e32 v22, v22, v23
	v_add_co_u32 v28, vcc_lo, v9, v14
	v_min_u32_e32 v14, 0xe0, v17
	v_and_b32_e32 v17, 16, v34
	v_and_b32_e32 v67, 0xffff, v22
	v_add_nc_u32_e32 v22, -1, v34
	v_add_co_ci_u32_e32 v29, vcc_lo, 0, v64, vcc_lo
	v_or_b32_e32 v14, 31, v14
	v_cmp_eq_u32_e64 s3, 0, v17
	s_delay_alu instid0(VALU_DEP_4)
	v_cmp_gt_i32_e64 s4, 0, v22
	v_lshrrev_b32_e32 v17, 5, v26
	v_cmp_eq_u32_e32 vcc_lo, 0, v16
	v_cmp_lt_u32_e64 s0, 1, v16
	v_cmp_lt_u32_e64 s1, 3, v16
	;; [unrolled: 1-line block ×3, first 2 shown]
	v_cndmask_b32_e64 v16, v22, v34, s4
	v_cmp_eq_u32_e64 s4, v14, v26
	v_lshlrev_b32_e32 v14, 2, v17
	v_lshlrev_b32_e32 v23, 1, v26
	v_and_b32_e32 v22, 7, v34
	v_lshlrev_b32_e32 v66, 2, v16
	v_lshlrev_b32_e32 v16, 2, v26
	v_add_co_u32 v30, s9, v12, v14
	s_delay_alu instid0(VALU_DEP_1) | instskip(NEXT) | instid1(VALU_DEP_3)
	v_add_co_ci_u32_e64 v31, s9, 0, v13, s9
	v_add_co_u32 v32, s9, v12, v16
	v_and_or_b32 v16, 0x7c0, v23, v34
	v_add_nc_u32_e32 v14, -1, v17
	v_add_co_ci_u32_e64 v33, s9, 0, v13, s9
	v_lshrrev_b32_e32 v65, 5, v27
	s_delay_alu instid0(VALU_DEP_4) | instskip(NEXT) | instid1(VALU_DEP_4)
	v_add_co_u32 v34, s12, v12, v16
	v_lshlrev_b64 v[14:15], 2, v[14:15]
	v_add_co_ci_u32_e64 v35, s12, 0, v13, s12
	v_cmp_gt_u32_e64 s5, 8, v26
	v_cmp_lt_u32_e64 s6, 31, v26
	v_cmp_eq_u32_e64 s8, 0, v26
	v_add_co_u32 v36, s12, v12, v14
	v_mad_u64_u32 v[38:39], null, v16, 7, v[34:35]
	v_add_co_ci_u32_e64 v37, s12, v13, v15, s12
	v_dual_mov_b32 v14, s16 :: v_dual_mov_b32 v17, s19
	v_cmp_eq_u32_e64 s9, 0, v22
	v_cmp_lt_u32_e64 s10, 1, v22
	v_cmp_lt_u32_e64 s11, 3, v22
	v_sub_nc_u32_e32 v68, v11, v10
	v_dual_mov_b32 v15, s17 :: v_dual_mov_b32 v16, s18
	s_waitcnt lgkmcnt(0)
	s_waitcnt_vscnt null, 0x0
	s_barrier
	buffer_gl0_inv
	s_branch .LBB1539_152
.LBB1539_151:                           ;   in Loop: Header=BB1539_152 Depth=1
	s_or_b32 exec_lo, exec_lo, s13
	s_delay_alu instid0(SALU_CYCLE_1) | instskip(NEXT) | instid1(SALU_CYCLE_1)
	s_and_b32 s12, exec_lo, s14
	s_or_b32 s16, s12, s16
	s_delay_alu instid0(SALU_CYCLE_1)
	s_and_not1_b32 exec_lo, exec_lo, s16
	s_cbranch_execz .LBB1539_170
.LBB1539_152:                           ; =>This Inner Loop Header: Depth=1
	v_min_u32_e32 v22, s20, v68
	v_and_b32_e32 v23, 0xff, v67
	v_dual_mov_b32 v49, v21 :: v_dual_mov_b32 v48, v20
	s_clause 0x1
	flat_store_b128 v[4:5], v[14:17] offset:32
	flat_store_b128 v[28:29], v[14:17] offset:16
	v_lshlrev_b32_e64 v22, v22, -1
	v_lshrrev_b32_e32 v23, v10, v23
	s_waitcnt lgkmcnt(0)
	s_waitcnt_vscnt null, 0x0
	s_barrier
	buffer_gl0_inv
	v_not_b32_e32 v22, v22
	; wave barrier
	s_delay_alu instid0(VALU_DEP_1) | instskip(SKIP_1) | instid1(VALU_DEP_2)
	v_and_b32_e32 v23, v23, v22
	v_dual_mov_b32 v51, v19 :: v_dual_mov_b32 v50, v18
	v_lshlrev_b32_e32 v18, 3, v23
	v_add_co_u32 v24, s12, v23, -1
	s_delay_alu instid0(VALU_DEP_1) | instskip(NEXT) | instid1(VALU_DEP_3)
	v_cndmask_b32_e64 v25, 0, 1, s12
	v_add_lshl_u32 v18, v18, v65, 2
	s_delay_alu instid0(VALU_DEP_2) | instskip(NEXT) | instid1(VALU_DEP_2)
	v_cmp_ne_u32_e64 s12, 0, v25
	v_add_co_u32 v52, s14, v9, v18
	s_delay_alu instid0(VALU_DEP_1) | instskip(NEXT) | instid1(VALU_DEP_3)
	v_add_co_ci_u32_e64 v53, s14, 0, v64, s14
	v_xor_b32_e32 v24, s12, v24
	s_delay_alu instid0(VALU_DEP_1) | instskip(NEXT) | instid1(VALU_DEP_1)
	v_and_b32_e32 v20, exec_lo, v24
	v_mbcnt_lo_u32_b32 v70, v20, 0
	v_cmp_ne_u32_e64 s12, 0, v20
	s_delay_alu instid0(VALU_DEP_2) | instskip(NEXT) | instid1(VALU_DEP_1)
	v_cmp_eq_u32_e64 s13, 0, v70
	s_and_b32 s13, s12, s13
	s_delay_alu instid0(SALU_CYCLE_1)
	s_and_saveexec_b32 s12, s13
	s_cbranch_execz .LBB1539_154
; %bb.153:                              ;   in Loop: Header=BB1539_152 Depth=1
	v_bcnt_u32_b32 v18, v20, 0
	flat_store_b32 v[52:53], v18
.LBB1539_154:                           ;   in Loop: Header=BB1539_152 Depth=1
	s_or_b32 exec_lo, exec_lo, s12
	v_lshrrev_b16 v69, 8, v67
	; wave barrier
	s_delay_alu instid0(VALU_DEP_1) | instskip(NEXT) | instid1(VALU_DEP_1)
	v_and_b32_e32 v18, 0xffff, v69
	v_lshrrev_b32_e32 v18, v10, v18
	s_delay_alu instid0(VALU_DEP_1) | instskip(NEXT) | instid1(VALU_DEP_1)
	v_and_b32_e32 v18, v18, v22
	v_lshlrev_b32_e32 v19, 3, v18
	s_delay_alu instid0(VALU_DEP_1) | instskip(NEXT) | instid1(VALU_DEP_1)
	v_add_lshl_u32 v19, v19, v65, 2
	v_add_co_u32 v54, s12, v9, v19
	s_delay_alu instid0(VALU_DEP_1) | instskip(SKIP_1) | instid1(VALU_DEP_1)
	v_add_co_ci_u32_e64 v55, s12, 0, v64, s12
	v_add_co_u32 v18, s12, v18, -1
	v_cndmask_b32_e64 v19, 0, 1, s12
	flat_load_b32 v71, v[54:55]
	; wave barrier
	v_cmp_ne_u32_e64 s12, 0, v19
	s_delay_alu instid0(VALU_DEP_1) | instskip(NEXT) | instid1(VALU_DEP_1)
	v_xor_b32_e32 v18, s12, v18
	v_and_b32_e32 v18, exec_lo, v18
	s_delay_alu instid0(VALU_DEP_1) | instskip(SKIP_1) | instid1(VALU_DEP_2)
	v_mbcnt_lo_u32_b32 v80, v18, 0
	v_cmp_ne_u32_e64 s13, 0, v18
	v_cmp_eq_u32_e64 s12, 0, v80
	s_delay_alu instid0(VALU_DEP_1) | instskip(NEXT) | instid1(SALU_CYCLE_1)
	s_and_b32 s13, s13, s12
	s_and_saveexec_b32 s12, s13
	s_cbranch_execz .LBB1539_156
; %bb.155:                              ;   in Loop: Header=BB1539_152 Depth=1
	s_waitcnt vmcnt(0) lgkmcnt(0)
	v_bcnt_u32_b32 v18, v18, v71
	flat_store_b32 v[54:55], v18
.LBB1539_156:                           ;   in Loop: Header=BB1539_152 Depth=1
	s_or_b32 exec_lo, exec_lo, s12
	; wave barrier
	s_waitcnt vmcnt(0) lgkmcnt(0)
	s_waitcnt_vscnt null, 0x0
	s_barrier
	buffer_gl0_inv
	s_clause 0x1
	flat_load_b128 v[22:25], v[4:5] offset:32
	flat_load_b128 v[18:21], v[28:29] offset:16
	s_waitcnt vmcnt(1) lgkmcnt(1)
	v_add_nc_u32_e32 v81, v23, v22
	s_delay_alu instid0(VALU_DEP_1) | instskip(SKIP_1) | instid1(VALU_DEP_1)
	v_add3_u32 v81, v81, v24, v25
	s_waitcnt vmcnt(0) lgkmcnt(0)
	v_add3_u32 v81, v81, v18, v19
	s_delay_alu instid0(VALU_DEP_1) | instskip(NEXT) | instid1(VALU_DEP_1)
	v_add3_u32 v21, v81, v20, v21
	v_mov_b32_dpp v81, v21 row_shr:1 row_mask:0xf bank_mask:0xf
	s_delay_alu instid0(VALU_DEP_1) | instskip(NEXT) | instid1(VALU_DEP_1)
	v_cndmask_b32_e64 v81, v81, 0, vcc_lo
	v_add_nc_u32_e32 v21, v81, v21
	s_delay_alu instid0(VALU_DEP_1) | instskip(NEXT) | instid1(VALU_DEP_1)
	v_mov_b32_dpp v81, v21 row_shr:2 row_mask:0xf bank_mask:0xf
	v_cndmask_b32_e64 v81, 0, v81, s0
	s_delay_alu instid0(VALU_DEP_1) | instskip(NEXT) | instid1(VALU_DEP_1)
	v_add_nc_u32_e32 v21, v21, v81
	v_mov_b32_dpp v81, v21 row_shr:4 row_mask:0xf bank_mask:0xf
	s_delay_alu instid0(VALU_DEP_1) | instskip(NEXT) | instid1(VALU_DEP_1)
	v_cndmask_b32_e64 v81, 0, v81, s1
	v_add_nc_u32_e32 v21, v21, v81
	s_delay_alu instid0(VALU_DEP_1) | instskip(NEXT) | instid1(VALU_DEP_1)
	v_mov_b32_dpp v81, v21 row_shr:8 row_mask:0xf bank_mask:0xf
	v_cndmask_b32_e64 v81, 0, v81, s2
	s_delay_alu instid0(VALU_DEP_1) | instskip(SKIP_3) | instid1(VALU_DEP_1)
	v_add_nc_u32_e32 v21, v21, v81
	ds_swizzle_b32 v81, v21 offset:swizzle(BROADCAST,32,15)
	s_waitcnt lgkmcnt(0)
	v_cndmask_b32_e64 v81, v81, 0, s3
	v_add_nc_u32_e32 v21, v21, v81
	s_and_saveexec_b32 s12, s4
	s_cbranch_execz .LBB1539_158
; %bb.157:                              ;   in Loop: Header=BB1539_152 Depth=1
	flat_store_b32 v[30:31], v21
.LBB1539_158:                           ;   in Loop: Header=BB1539_152 Depth=1
	s_or_b32 exec_lo, exec_lo, s12
	s_waitcnt lgkmcnt(0)
	s_waitcnt_vscnt null, 0x0
	s_barrier
	buffer_gl0_inv
	s_and_saveexec_b32 s12, s5
	s_cbranch_execz .LBB1539_160
; %bb.159:                              ;   in Loop: Header=BB1539_152 Depth=1
	flat_load_b32 v81, v[32:33]
	s_waitcnt vmcnt(0) lgkmcnt(0)
	v_mov_b32_dpp v82, v81 row_shr:1 row_mask:0xf bank_mask:0xf
	s_delay_alu instid0(VALU_DEP_1) | instskip(NEXT) | instid1(VALU_DEP_1)
	v_cndmask_b32_e64 v82, v82, 0, s9
	v_add_nc_u32_e32 v81, v82, v81
	s_delay_alu instid0(VALU_DEP_1) | instskip(NEXT) | instid1(VALU_DEP_1)
	v_mov_b32_dpp v82, v81 row_shr:2 row_mask:0xf bank_mask:0xf
	v_cndmask_b32_e64 v82, 0, v82, s10
	s_delay_alu instid0(VALU_DEP_1) | instskip(NEXT) | instid1(VALU_DEP_1)
	v_add_nc_u32_e32 v81, v81, v82
	v_mov_b32_dpp v82, v81 row_shr:4 row_mask:0xf bank_mask:0xf
	s_delay_alu instid0(VALU_DEP_1) | instskip(NEXT) | instid1(VALU_DEP_1)
	v_cndmask_b32_e64 v82, 0, v82, s11
	v_add_nc_u32_e32 v81, v81, v82
	flat_store_b32 v[32:33], v81
.LBB1539_160:                           ;   in Loop: Header=BB1539_152 Depth=1
	s_or_b32 exec_lo, exec_lo, s12
	v_mov_b32_e32 v81, 0
	s_waitcnt lgkmcnt(0)
	s_waitcnt_vscnt null, 0x0
	s_barrier
	buffer_gl0_inv
	s_and_saveexec_b32 s12, s6
	s_cbranch_execz .LBB1539_162
; %bb.161:                              ;   in Loop: Header=BB1539_152 Depth=1
	flat_load_b32 v81, v[36:37]
.LBB1539_162:                           ;   in Loop: Header=BB1539_152 Depth=1
	s_or_b32 exec_lo, exec_lo, s12
	s_waitcnt vmcnt(0) lgkmcnt(0)
	v_add_nc_u32_e32 v21, v81, v21
	v_add_nc_u32_e32 v10, 8, v10
	s_mov_b32 s14, -1
	ds_bpermute_b32 v21, v66, v21
	s_waitcnt lgkmcnt(0)
	v_cndmask_b32_e64 v21, v21, v81, s7
	s_delay_alu instid0(VALU_DEP_1) | instskip(NEXT) | instid1(VALU_DEP_1)
	v_cndmask_b32_e64 v21, v21, 0, s8
	v_add_nc_u32_e32 v22, v21, v22
	s_delay_alu instid0(VALU_DEP_1) | instskip(NEXT) | instid1(VALU_DEP_1)
	v_add_nc_u32_e32 v23, v22, v23
	v_add_nc_u32_e32 v24, v23, v24
	s_delay_alu instid0(VALU_DEP_1) | instskip(NEXT) | instid1(VALU_DEP_1)
	v_add_nc_u32_e32 v81, v24, v25
	;; [unrolled: 3-line block ×3, first 2 shown]
	v_add_nc_u32_e32 v84, v83, v20
	s_clause 0x1
	flat_store_b128 v[4:5], v[21:24] offset:32
	flat_store_b128 v[28:29], v[81:84] offset:16
	s_waitcnt lgkmcnt(0)
	s_waitcnt_vscnt null, 0x0
	s_barrier
	buffer_gl0_inv
	s_clause 0x1
	flat_load_b32 v18, v[52:53]
	flat_load_b32 v19, v[54:55]
	v_mov_b32_e32 v54, v67
	s_waitcnt vmcnt(0) lgkmcnt(0)
	s_waitcnt_vscnt null, 0x0
                                        ; implicit-def: $vgpr20_vgpr21
	s_waitcnt vmcnt(1) lgkmcnt(1)
	v_add_nc_u32_e32 v52, v18, v70
	s_waitcnt vmcnt(0) lgkmcnt(0)
	v_add3_u32 v53, v80, v71, v19
                                        ; implicit-def: $vgpr18_vgpr19
	s_delay_alu instid0(VALU_DEP_2) | instskip(NEXT) | instid1(VALU_DEP_1)
	v_add_co_u32 v22, s13, v12, v52
	v_add_co_ci_u32_e64 v23, s13, 0, v13, s13
	s_delay_alu instid0(VALU_DEP_3) | instskip(NEXT) | instid1(VALU_DEP_1)
	v_add_co_u32 v24, s13, v12, v53
	v_add_co_ci_u32_e64 v25, s13, 0, v13, s13
	s_mov_b32 s13, exec_lo
	v_cmpx_lt_u32_e64 v10, v11
	s_cbranch_execz .LBB1539_151
; %bb.163:                              ;   in Loop: Header=BB1539_152 Depth=1
	s_barrier
	buffer_gl0_inv
	s_clause 0x1
	flat_store_b8 v[22:23], v67
	flat_store_b8 v[24:25], v69
	s_waitcnt lgkmcnt(0)
	s_waitcnt_vscnt null, 0x0
	s_barrier
	buffer_gl0_inv
	s_clause 0x1
	flat_load_u8 v55, v[34:35] offset:32
	flat_load_u8 v67, v[34:35]
	v_mad_u64_u32 v[18:19], null, v52, 7, v[22:23]
	v_mad_u64_u32 v[20:21], null, v53, 7, v[24:25]
	s_waitcnt vmcnt(0) lgkmcnt(0)
	s_barrier
	buffer_gl0_inv
	s_clause 0x1
	flat_store_b64 v[18:19], v[50:51]
	flat_store_b64 v[20:21], v[48:49]
	s_waitcnt lgkmcnt(0)
	s_waitcnt_vscnt null, 0x0
	s_barrier
	buffer_gl0_inv
	s_clause 0x1
	flat_load_b64 v[18:19], v[38:39]
	flat_load_b64 v[20:21], v[38:39] offset:256
	v_add_nc_u32_e32 v68, -8, v68
	s_xor_b32 s14, exec_lo, -1
	s_waitcnt vmcnt(0) lgkmcnt(0)
	s_barrier
	buffer_gl0_inv
	v_lshlrev_b16 v55, 8, v55
	s_delay_alu instid0(VALU_DEP_1) | instskip(NEXT) | instid1(VALU_DEP_1)
	v_or_b32_e32 v55, v67, v55
	v_and_b32_e32 v67, 0xffff, v55
	s_branch .LBB1539_151
.LBB1539_164:
	flat_load_b64 v[18:19], v[4:5]
	s_or_b32 exec_lo, exec_lo, s3
                                        ; implicit-def: $vgpr20_vgpr21
	s_and_saveexec_b32 s3, s0
	s_cbranch_execz .LBB1539_91
.LBB1539_165:
	flat_load_b64 v[20:21], v[4:5] offset:256
	s_or_b32 exec_lo, exec_lo, s3
                                        ; implicit-def: $vgpr22_vgpr23
	s_and_saveexec_b32 s0, s1
	s_cbranch_execz .LBB1539_92
.LBB1539_166:
	flat_load_b64 v[22:23], v[4:5] offset:512
	s_or_b32 exec_lo, exec_lo, s0
                                        ; implicit-def: $vgpr24_vgpr25
	s_and_saveexec_b32 s0, s2
	s_cbranch_execnz .LBB1539_93
	s_branch .LBB1539_94
.LBB1539_167:
	flat_store_b64 v[0:1], v[13:14]
	s_or_b32 exec_lo, exec_lo, s3
	s_and_saveexec_b32 s3, s0
	s_cbranch_execz .LBB1539_136
.LBB1539_168:
	flat_store_b64 v[0:1], v[11:12] offset:2048
	s_or_b32 exec_lo, exec_lo, s3
	s_and_saveexec_b32 s0, s2
	s_cbranch_execz .LBB1539_137
.LBB1539_169:
	v_add_co_u32 v2, vcc_lo, 0x1000, v0
	v_add_co_ci_u32_e32 v3, vcc_lo, 0, v1, vcc_lo
	flat_store_b64 v[2:3], v[9:10]
	s_or_b32 exec_lo, exec_lo, s0
	s_and_saveexec_b32 s0, s1
	s_cbranch_execnz .LBB1539_138
	s_branch .LBB1539_139
.LBB1539_170:
	s_or_b32 exec_lo, exec_lo, s16
	v_add_co_u32 v4, vcc_lo, v12, v26
	v_add_co_ci_u32_e32 v5, vcc_lo, 0, v13, vcc_lo
	v_mad_u64_u32 v[9:10], null, v52, 7, v[22:23]
	v_mad_u64_u32 v[13:14], null, v53, 7, v[24:25]
	s_delay_alu instid0(VALU_DEP_3)
	v_mad_u64_u32 v[15:16], null, v26, 7, v[4:5]
	s_barrier
	buffer_gl0_inv
	s_clause 0x1
	flat_store_b8 v[22:23], v54
	flat_store_b8 v[24:25], v69
	s_waitcnt lgkmcnt(0)
	s_waitcnt_vscnt null, 0x0
	s_barrier
	buffer_gl0_inv
	s_clause 0x1
	flat_load_u8 v12, v[4:5]
	flat_load_u8 v11, v[4:5] offset:256
	s_waitcnt vmcnt(0) lgkmcnt(0)
	s_barrier
	buffer_gl0_inv
	s_clause 0x1
	flat_store_b64 v[9:10], v[50:51]
	flat_store_b64 v[13:14], v[48:49]
	s_waitcnt lgkmcnt(0)
	s_waitcnt_vscnt null, 0x0
	s_barrier
	buffer_gl0_inv
	s_clause 0x1
	flat_load_b64 v[9:10], v[15:16]
	flat_load_b64 v[4:5], v[15:16] offset:2048
	v_add_co_u32 v2, vcc_lo, v2, v8
	v_add_co_ci_u32_e32 v3, vcc_lo, 0, v3, vcc_lo
	v_mov_b32_e32 v28, 0
	s_delay_alu instid0(VALU_DEP_3) | instskip(NEXT) | instid1(VALU_DEP_3)
	v_add_co_u32 v2, vcc_lo, v2, v27
	v_add_co_ci_u32_e32 v3, vcc_lo, 0, v3, vcc_lo
	v_cmp_lt_u32_e32 vcc_lo, v27, v134
	s_waitcnt vmcnt(0) lgkmcnt(0)
	s_barrier
	buffer_gl0_inv
	s_and_saveexec_b32 s0, vcc_lo
	s_cbranch_execz .LBB1539_172
; %bb.171:
	v_xor_b32_e32 v8, 1, v12
	flat_store_b8 v[2:3], v8
.LBB1539_172:
	s_or_b32 exec_lo, exec_lo, s0
	v_add_nc_u32_e32 v8, 0x100, v27
	s_delay_alu instid0(VALU_DEP_1) | instskip(NEXT) | instid1(VALU_DEP_1)
	v_cmp_lt_u32_e64 s0, v8, v134
	s_and_saveexec_b32 s1, s0
	s_cbranch_execz .LBB1539_174
; %bb.173:
	v_xor_b32_e32 v8, 1, v11
	flat_store_b8 v[2:3], v8 offset:256
.LBB1539_174:
	s_or_b32 exec_lo, exec_lo, s1
	v_lshlrev_b64 v[2:3], 3, v[27:28]
	v_add_co_u32 v0, s1, v6, v0
	s_delay_alu instid0(VALU_DEP_1) | instskip(NEXT) | instid1(VALU_DEP_2)
	v_add_co_ci_u32_e64 v1, s1, v7, v1, s1
	v_add_co_u32 v0, s1, v0, v2
	s_delay_alu instid0(VALU_DEP_1)
	v_add_co_ci_u32_e64 v1, s1, v1, v3, s1
	s_and_saveexec_b32 s1, vcc_lo
	s_cbranch_execz .LBB1539_176
; %bb.175:
	flat_store_b64 v[0:1], v[9:10]
.LBB1539_176:
	s_or_b32 exec_lo, exec_lo, s1
	s_and_saveexec_b32 s1, s0
	s_cbranch_execz .LBB1539_178
; %bb.177:
	flat_store_b64 v[0:1], v[4:5] offset:2048
.LBB1539_178:
	s_or_b32 exec_lo, exec_lo, s1
                                        ; implicit-def: $vgpr27_vgpr28
                                        ; implicit-def: $vgpr8_vgpr9
                                        ; implicit-def: $vgpr134
                                        ; implicit-def: $vgpr0
                                        ; implicit-def: $vgpr1
                                        ; implicit-def: $vgpr2
                                        ; implicit-def: $vgpr3
                                        ; implicit-def: $vgpr4
                                        ; implicit-def: $vgpr5
                                        ; implicit-def: $vgpr6
                                        ; implicit-def: $vgpr7
                                        ; implicit-def: $vgpr10
                                        ; implicit-def: $vgpr11
                                        ; implicit-def: $vgpr12
                                        ; implicit-def: $vgpr13
                                        ; implicit-def: $vgpr26
                                        ; implicit-def: $vgpr34
.LBB1539_179:
	s_and_not1_saveexec_b32 s0, s15
	s_cbranch_execz .LBB1539_199
; %bb.180:
	s_delay_alu instid0(VALU_DEP_2) | instskip(SKIP_1) | instid1(VALU_DEP_1)
	v_and_b32_e32 v14, 0xffffffe0, v27
	s_mov_b32 s0, -1
	v_or_b32_e32 v15, v34, v14
	s_delay_alu instid0(VALU_DEP_1)
	v_cmp_lt_u32_e32 vcc_lo, v15, v134
	s_and_saveexec_b32 s1, vcc_lo
	s_cbranch_execz .LBB1539_182
; %bb.181:
	v_add_co_u32 v0, s0, v0, v8
	s_delay_alu instid0(VALU_DEP_1) | instskip(NEXT) | instid1(VALU_DEP_2)
	v_add_co_ci_u32_e64 v1, s0, 0, v1, s0
	v_add_co_u32 v0, s0, v0, v34
	s_delay_alu instid0(VALU_DEP_1) | instskip(NEXT) | instid1(VALU_DEP_2)
	v_add_co_ci_u32_e64 v1, s0, 0, v1, s0
	v_add_co_u32 v0, s0, v0, v14
	s_delay_alu instid0(VALU_DEP_1) | instskip(SKIP_3) | instid1(VALU_DEP_1)
	v_add_co_ci_u32_e64 v1, s0, 0, v1, s0
	flat_load_u8 v0, v[0:1]
	s_waitcnt vmcnt(0) lgkmcnt(0)
	v_and_b32_e32 v0, 1, v0
	v_cmp_eq_u32_e64 s0, 1, v0
	s_delay_alu instid0(VALU_DEP_1) | instskip(NEXT) | instid1(SALU_CYCLE_1)
	s_xor_b32 s0, s0, -1
	s_or_not1_b32 s0, s0, exec_lo
.LBB1539_182:
	s_or_b32 exec_lo, exec_lo, s1
	v_lshlrev_b64 v[0:1], 3, v[8:9]
                                        ; implicit-def: $vgpr18_vgpr19
	s_and_saveexec_b32 s1, vcc_lo
	s_cbranch_execz .LBB1539_184
; %bb.183:
	v_mov_b32_e32 v15, 0
	v_lshlrev_b32_e32 v9, 3, v34
	s_delay_alu instid0(VALU_DEP_3) | instskip(SKIP_1) | instid1(VALU_DEP_4)
	v_add_co_u32 v16, vcc_lo, v4, v0
	v_add_co_ci_u32_e32 v17, vcc_lo, v5, v1, vcc_lo
	v_lshlrev_b64 v[4:5], 3, v[14:15]
	s_delay_alu instid0(VALU_DEP_3) | instskip(NEXT) | instid1(VALU_DEP_3)
	v_add_co_u32 v9, vcc_lo, v16, v9
	v_add_co_ci_u32_e32 v14, vcc_lo, 0, v17, vcc_lo
	s_delay_alu instid0(VALU_DEP_2) | instskip(NEXT) | instid1(VALU_DEP_2)
	v_add_co_u32 v4, vcc_lo, v9, v4
	v_add_co_ci_u32_e32 v5, vcc_lo, v14, v5, vcc_lo
	flat_load_b64 v[18:19], v[4:5]
.LBB1539_184:
	s_or_b32 exec_lo, exec_lo, s1
	v_dual_mov_b32 v15, 0 :: v_dual_lshlrev_b32 v14, 5, v26
	s_mov_b32 s16, 0
	v_add_co_u32 v9, vcc_lo, v12, 32
	s_mov_b32 s17, s16
	s_mov_b32 s18, s16
	s_mov_b32 s19, s16
	v_and_b32_e32 v17, 0x3e0, v26
	v_add_co_ci_u32_e32 v52, vcc_lo, 0, v13, vcc_lo
	v_add_co_u32 v4, vcc_lo, v12, v14
	v_add_nc_u32_e32 v21, -1, v34
	v_add_co_ci_u32_e32 v5, vcc_lo, 0, v13, vcc_lo
	v_add_co_u32 v28, vcc_lo, v9, v14
	v_min_u32_e32 v14, 0xe0, v17
	v_and_b32_e32 v20, 16, v34
	s_getpc_b64 s[2:3]
	s_add_u32 s2, s2, _ZN7rocprim17ROCPRIM_400000_NS16block_radix_sortIbLj256ELj1ElLj1ELj1ELj8ELNS0_26block_radix_rank_algorithmE2ELNS0_18block_padding_hintE2ELNS0_4arch9wavefront6targetE0EE19radix_bits_per_passE@rel32@lo+4
	s_addc_u32 s3, s3, _ZN7rocprim17ROCPRIM_400000_NS16block_radix_sortIbLj256ELj1ElLj1ELj1ELj8ELNS0_26block_radix_rank_algorithmE2ELNS0_18block_padding_hintE2ELNS0_4arch9wavefront6targetE0EE19radix_bits_per_passE@rel32@hi+12
	v_and_b32_e32 v16, 15, v34
	v_cmp_gt_i32_e64 s4, 0, v21
	s_load_b32 s15, s[2:3], 0x0
	v_or_b32_e32 v14, 31, v14
	v_cmp_eq_u32_e64 s3, 0, v20
	v_lshrrev_b32_e32 v20, 5, v26
	v_add_co_ci_u32_e32 v29, vcc_lo, 0, v52, vcc_lo
	v_cndmask_b32_e64 v22, 0, 1, s0
	v_cmp_eq_u32_e32 vcc_lo, 0, v16
	v_cmp_lt_u32_e64 s0, 1, v16
	v_cmp_lt_u32_e64 s1, 3, v16
	;; [unrolled: 1-line block ×3, first 2 shown]
	v_cndmask_b32_e64 v16, v21, v34, s4
	v_cmp_eq_u32_e64 s4, v14, v26
	v_lshlrev_b32_e32 v14, 2, v20
	v_cmp_eq_u32_e64 s7, 0, v34
	v_and_b32_e32 v21, 7, v34
	v_lshlrev_b32_e32 v54, 2, v16
	v_lshlrev_b32_e32 v16, 2, v26
	v_add_co_u32 v30, s9, v12, v14
	s_delay_alu instid0(VALU_DEP_1) | instskip(NEXT) | instid1(VALU_DEP_3)
	v_add_co_ci_u32_e64 v31, s9, 0, v13, s9
	v_add_co_u32 v32, s9, v12, v16
	v_or_b32_e32 v16, v34, v17
	v_add_nc_u32_e32 v14, -1, v20
	v_add_co_ci_u32_e64 v33, s9, 0, v13, s9
	v_lshrrev_b32_e32 v53, 5, v27
	s_delay_alu instid0(VALU_DEP_4) | instskip(NEXT) | instid1(VALU_DEP_4)
	v_add_co_u32 v34, s12, v12, v16
	v_lshlrev_b64 v[14:15], 2, v[14:15]
	v_add_co_ci_u32_e64 v35, s12, 0, v13, s12
	v_cmp_gt_u32_e64 s5, 8, v26
	v_cmp_lt_u32_e64 s6, 31, v26
	v_cmp_eq_u32_e64 s8, 0, v26
	v_add_co_u32 v36, s12, v12, v14
	v_mad_u64_u32 v[38:39], null, v16, 7, v[34:35]
	v_add_co_ci_u32_e64 v37, s12, v13, v15, s12
	v_dual_mov_b32 v14, s16 :: v_dual_mov_b32 v15, s17
	v_cmp_eq_u32_e64 s9, 0, v21
	v_cmp_lt_u32_e64 s10, 1, v21
	v_cmp_lt_u32_e64 s11, 3, v21
	v_sub_nc_u32_e32 v55, v11, v10
	v_dual_mov_b32 v16, s18 :: v_dual_mov_b32 v17, s19
	s_waitcnt vmcnt(0) lgkmcnt(0)
	s_waitcnt_vscnt null, 0x0
	s_barrier
	buffer_gl0_inv
	s_branch .LBB1539_186
.LBB1539_185:                           ;   in Loop: Header=BB1539_186 Depth=1
	s_or_b32 exec_lo, exec_lo, s13
	s_delay_alu instid0(SALU_CYCLE_1) | instskip(NEXT) | instid1(SALU_CYCLE_1)
	s_and_b32 s12, exec_lo, s14
	s_or_b32 s16, s12, s16
	s_delay_alu instid0(SALU_CYCLE_1)
	s_and_not1_b32 exec_lo, exec_lo, s16
	s_cbranch_execz .LBB1539_196
.LBB1539_186:                           ; =>This Inner Loop Header: Depth=1
	v_dual_mov_b32 v64, v22 :: v_dual_mov_b32 v49, v19
	v_min_u32_e32 v21, s15, v55
	v_mov_b32_e32 v48, v18
	s_clause 0x1
	flat_store_b128 v[4:5], v[14:17] offset:32
	flat_store_b128 v[28:29], v[14:17] offset:16
	v_and_b32_e32 v20, 0xff, v64
	s_waitcnt lgkmcnt(0)
	s_waitcnt_vscnt null, 0x0
	s_barrier
	buffer_gl0_inv
	v_lshrrev_b32_e32 v20, v10, v20
	; wave barrier
	s_delay_alu instid0(VALU_DEP_1) | instskip(NEXT) | instid1(VALU_DEP_1)
	v_bfe_u32 v21, v20, 0, v21
	v_add_co_u32 v20, s12, v21, -1
	s_delay_alu instid0(VALU_DEP_1) | instskip(SKIP_1) | instid1(VALU_DEP_2)
	v_cndmask_b32_e64 v22, 0, 1, s12
	v_lshlrev_b32_e32 v18, 3, v21
	v_cmp_ne_u32_e64 s12, 0, v22
	s_delay_alu instid0(VALU_DEP_2) | instskip(NEXT) | instid1(VALU_DEP_2)
	v_add_lshl_u32 v18, v18, v53, 2
	v_xor_b32_e32 v20, s12, v20
	s_delay_alu instid0(VALU_DEP_2) | instskip(NEXT) | instid1(VALU_DEP_1)
	v_add_co_u32 v50, s14, v9, v18
	v_add_co_ci_u32_e64 v51, s14, 0, v52, s14
	s_delay_alu instid0(VALU_DEP_3) | instskip(NEXT) | instid1(VALU_DEP_1)
	v_and_b32_e32 v20, exec_lo, v20
	v_mbcnt_lo_u32_b32 v65, v20, 0
	v_cmp_ne_u32_e64 s12, 0, v20
	s_delay_alu instid0(VALU_DEP_2) | instskip(NEXT) | instid1(VALU_DEP_1)
	v_cmp_eq_u32_e64 s13, 0, v65
	s_and_b32 s13, s12, s13
	s_delay_alu instid0(SALU_CYCLE_1)
	s_and_saveexec_b32 s12, s13
	s_cbranch_execz .LBB1539_188
; %bb.187:                              ;   in Loop: Header=BB1539_186 Depth=1
	v_bcnt_u32_b32 v18, v20, 0
	flat_store_b32 v[50:51], v18
.LBB1539_188:                           ;   in Loop: Header=BB1539_186 Depth=1
	s_or_b32 exec_lo, exec_lo, s12
	; wave barrier
	s_waitcnt lgkmcnt(0)
	s_waitcnt_vscnt null, 0x0
	s_barrier
	buffer_gl0_inv
	s_clause 0x1
	flat_load_b128 v[22:25], v[4:5] offset:32
	flat_load_b128 v[18:21], v[28:29] offset:16
	s_waitcnt vmcnt(1) lgkmcnt(1)
	v_add_nc_u32_e32 v66, v23, v22
	s_delay_alu instid0(VALU_DEP_1) | instskip(SKIP_1) | instid1(VALU_DEP_1)
	v_add3_u32 v66, v66, v24, v25
	s_waitcnt vmcnt(0) lgkmcnt(0)
	v_add3_u32 v66, v66, v18, v19
	s_delay_alu instid0(VALU_DEP_1) | instskip(NEXT) | instid1(VALU_DEP_1)
	v_add3_u32 v21, v66, v20, v21
	v_mov_b32_dpp v66, v21 row_shr:1 row_mask:0xf bank_mask:0xf
	s_delay_alu instid0(VALU_DEP_1) | instskip(NEXT) | instid1(VALU_DEP_1)
	v_cndmask_b32_e64 v66, v66, 0, vcc_lo
	v_add_nc_u32_e32 v21, v66, v21
	s_delay_alu instid0(VALU_DEP_1) | instskip(NEXT) | instid1(VALU_DEP_1)
	v_mov_b32_dpp v66, v21 row_shr:2 row_mask:0xf bank_mask:0xf
	v_cndmask_b32_e64 v66, 0, v66, s0
	s_delay_alu instid0(VALU_DEP_1) | instskip(NEXT) | instid1(VALU_DEP_1)
	v_add_nc_u32_e32 v21, v21, v66
	v_mov_b32_dpp v66, v21 row_shr:4 row_mask:0xf bank_mask:0xf
	s_delay_alu instid0(VALU_DEP_1) | instskip(NEXT) | instid1(VALU_DEP_1)
	v_cndmask_b32_e64 v66, 0, v66, s1
	v_add_nc_u32_e32 v21, v21, v66
	s_delay_alu instid0(VALU_DEP_1) | instskip(NEXT) | instid1(VALU_DEP_1)
	v_mov_b32_dpp v66, v21 row_shr:8 row_mask:0xf bank_mask:0xf
	v_cndmask_b32_e64 v66, 0, v66, s2
	s_delay_alu instid0(VALU_DEP_1) | instskip(SKIP_3) | instid1(VALU_DEP_1)
	v_add_nc_u32_e32 v21, v21, v66
	ds_swizzle_b32 v66, v21 offset:swizzle(BROADCAST,32,15)
	s_waitcnt lgkmcnt(0)
	v_cndmask_b32_e64 v66, v66, 0, s3
	v_add_nc_u32_e32 v21, v21, v66
	s_and_saveexec_b32 s12, s4
	s_cbranch_execz .LBB1539_190
; %bb.189:                              ;   in Loop: Header=BB1539_186 Depth=1
	flat_store_b32 v[30:31], v21
.LBB1539_190:                           ;   in Loop: Header=BB1539_186 Depth=1
	s_or_b32 exec_lo, exec_lo, s12
	s_waitcnt lgkmcnt(0)
	s_waitcnt_vscnt null, 0x0
	s_barrier
	buffer_gl0_inv
	s_and_saveexec_b32 s12, s5
	s_cbranch_execz .LBB1539_192
; %bb.191:                              ;   in Loop: Header=BB1539_186 Depth=1
	flat_load_b32 v66, v[32:33]
	s_waitcnt vmcnt(0) lgkmcnt(0)
	v_mov_b32_dpp v67, v66 row_shr:1 row_mask:0xf bank_mask:0xf
	s_delay_alu instid0(VALU_DEP_1) | instskip(NEXT) | instid1(VALU_DEP_1)
	v_cndmask_b32_e64 v67, v67, 0, s9
	v_add_nc_u32_e32 v66, v67, v66
	s_delay_alu instid0(VALU_DEP_1) | instskip(NEXT) | instid1(VALU_DEP_1)
	v_mov_b32_dpp v67, v66 row_shr:2 row_mask:0xf bank_mask:0xf
	v_cndmask_b32_e64 v67, 0, v67, s10
	s_delay_alu instid0(VALU_DEP_1) | instskip(NEXT) | instid1(VALU_DEP_1)
	v_add_nc_u32_e32 v66, v66, v67
	v_mov_b32_dpp v67, v66 row_shr:4 row_mask:0xf bank_mask:0xf
	s_delay_alu instid0(VALU_DEP_1) | instskip(NEXT) | instid1(VALU_DEP_1)
	v_cndmask_b32_e64 v67, 0, v67, s11
	v_add_nc_u32_e32 v66, v66, v67
	flat_store_b32 v[32:33], v66
.LBB1539_192:                           ;   in Loop: Header=BB1539_186 Depth=1
	s_or_b32 exec_lo, exec_lo, s12
	v_mov_b32_e32 v66, 0
	s_waitcnt lgkmcnt(0)
	s_waitcnt_vscnt null, 0x0
	s_barrier
	buffer_gl0_inv
	s_and_saveexec_b32 s12, s6
	s_cbranch_execz .LBB1539_194
; %bb.193:                              ;   in Loop: Header=BB1539_186 Depth=1
	flat_load_b32 v66, v[36:37]
.LBB1539_194:                           ;   in Loop: Header=BB1539_186 Depth=1
	s_or_b32 exec_lo, exec_lo, s12
	s_waitcnt vmcnt(0) lgkmcnt(0)
	v_add_nc_u32_e32 v21, v66, v21
	v_add_nc_u32_e32 v10, 8, v10
	s_mov_b32 s14, -1
	ds_bpermute_b32 v21, v54, v21
	s_waitcnt lgkmcnt(0)
	v_cndmask_b32_e64 v21, v21, v66, s7
	s_delay_alu instid0(VALU_DEP_1) | instskip(NEXT) | instid1(VALU_DEP_1)
	v_cndmask_b32_e64 v21, v21, 0, s8
	v_add_nc_u32_e32 v22, v21, v22
	s_delay_alu instid0(VALU_DEP_1) | instskip(NEXT) | instid1(VALU_DEP_1)
	v_add_nc_u32_e32 v23, v22, v23
	v_add_nc_u32_e32 v24, v23, v24
	s_delay_alu instid0(VALU_DEP_1) | instskip(NEXT) | instid1(VALU_DEP_1)
	v_add_nc_u32_e32 v66, v24, v25
	;; [unrolled: 3-line block ×3, first 2 shown]
	v_add_nc_u32_e32 v69, v68, v20
	s_clause 0x1
	flat_store_b128 v[4:5], v[21:24] offset:32
	flat_store_b128 v[28:29], v[66:69] offset:16
	s_waitcnt lgkmcnt(0)
	s_waitcnt_vscnt null, 0x0
	s_barrier
	buffer_gl0_inv
	flat_load_b32 v18, v[50:51]
	s_waitcnt vmcnt(0) lgkmcnt(0)
	s_waitcnt_vscnt null, 0x0
                                        ; implicit-def: $vgpr22
	s_waitcnt vmcnt(0) lgkmcnt(0)
	v_add_nc_u32_e32 v23, v18, v65
                                        ; implicit-def: $vgpr18_vgpr19
	s_delay_alu instid0(VALU_DEP_1) | instskip(NEXT) | instid1(VALU_DEP_1)
	v_add_co_u32 v20, s13, v12, v23
	v_add_co_ci_u32_e64 v21, s13, 0, v13, s13
	s_mov_b32 s13, exec_lo
	v_cmpx_lt_u32_e64 v10, v11
	s_cbranch_execz .LBB1539_185
; %bb.195:                              ;   in Loop: Header=BB1539_186 Depth=1
	s_delay_alu instid0(VALU_DEP_2)
	v_mad_u64_u32 v[18:19], null, v23, 7, v[20:21]
	s_barrier
	buffer_gl0_inv
	flat_store_b8 v[20:21], v64
	s_waitcnt lgkmcnt(0)
	s_waitcnt_vscnt null, 0x0
	s_barrier
	buffer_gl0_inv
	flat_load_u8 v22, v[34:35]
	s_waitcnt vmcnt(0) lgkmcnt(0)
	s_barrier
	buffer_gl0_inv
	flat_store_b64 v[18:19], v[48:49]
	s_waitcnt lgkmcnt(0)
	s_waitcnt_vscnt null, 0x0
	s_barrier
	buffer_gl0_inv
	flat_load_b64 v[18:19], v[38:39]
	v_add_nc_u32_e32 v55, -8, v55
	s_xor_b32 s14, exec_lo, -1
	s_waitcnt vmcnt(0) lgkmcnt(0)
	s_barrier
	buffer_gl0_inv
	s_branch .LBB1539_185
.LBB1539_196:
	s_or_b32 exec_lo, exec_lo, s16
	v_add_co_u32 v4, vcc_lo, v12, v26
	v_add_co_ci_u32_e32 v5, vcc_lo, 0, v13, vcc_lo
	v_mad_u64_u32 v[10:11], null, v23, 7, v[20:21]
	s_barrier
	s_delay_alu instid0(VALU_DEP_2)
	v_mad_u64_u32 v[12:13], null, v26, 7, v[4:5]
	buffer_gl0_inv
	flat_store_b8 v[20:21], v64
	s_waitcnt lgkmcnt(0)
	s_waitcnt_vscnt null, 0x0
	s_barrier
	buffer_gl0_inv
	flat_load_u8 v9, v[4:5]
	s_waitcnt vmcnt(0) lgkmcnt(0)
	s_barrier
	buffer_gl0_inv
	flat_store_b64 v[10:11], v[48:49]
	s_waitcnt lgkmcnt(0)
	s_waitcnt_vscnt null, 0x0
	s_barrier
	buffer_gl0_inv
	flat_load_b64 v[4:5], v[12:13]
	s_mov_b32 s0, exec_lo
	s_waitcnt vmcnt(0) lgkmcnt(0)
	s_barrier
	buffer_gl0_inv
	v_cmpx_lt_u32_e64 v27, v134
	s_cbranch_execz .LBB1539_198
; %bb.197:
	v_mov_b32_e32 v28, 0
	v_add_co_u32 v6, vcc_lo, v6, v0
	v_add_co_ci_u32_e32 v7, vcc_lo, v7, v1, vcc_lo
	v_add_co_u32 v2, vcc_lo, v2, v8
	s_delay_alu instid0(VALU_DEP_4) | instskip(SKIP_1) | instid1(VALU_DEP_3)
	v_lshlrev_b64 v[0:1], 3, v[27:28]
	v_add_co_ci_u32_e32 v3, vcc_lo, 0, v3, vcc_lo
	v_add_co_u32 v2, vcc_lo, v2, v27
	v_xor_b32_e32 v8, 1, v9
	s_delay_alu instid0(VALU_DEP_3)
	v_add_co_ci_u32_e32 v3, vcc_lo, 0, v3, vcc_lo
	v_add_co_u32 v0, vcc_lo, v6, v0
	v_add_co_ci_u32_e32 v1, vcc_lo, v7, v1, vcc_lo
	flat_store_b8 v[2:3], v8
	flat_store_b64 v[0:1], v[4:5]
.LBB1539_198:
	s_or_b32 exec_lo, exec_lo, s0
.LBB1539_199:
	s_delay_alu instid0(SALU_CYCLE_1)
	s_or_b32 exec_lo, exec_lo, s24
	s_waitcnt lgkmcnt(0)
	s_setpc_b64 s[30:31]
.Lfunc_end1539:
	.size	_ZN7rocprim17ROCPRIM_400000_NS6detail40segmented_radix_sort_single_block_helperIblLj256ELj8ELb1EE4sortIPKbPbPKlPlEEbT_T0_T1_T2_jjjjRNS3_12storage_typeE, .Lfunc_end1539-_ZN7rocprim17ROCPRIM_400000_NS6detail40segmented_radix_sort_single_block_helperIblLj256ELj8ELb1EE4sortIPKbPbPKlPlEEbT_T0_T1_T2_jjjjRNS3_12storage_typeE
                                        ; -- End function
	.section	.AMDGPU.csdata,"",@progbits
; Function info:
; codeLenInByte = 14232
; NumSgprs: 34
; NumVgprs: 183
; ScratchSize: 0
; MemoryBound: 1
	.section	.text._ZN7rocprim17ROCPRIM_400000_NS6detail17trampoline_kernelINS0_14default_configENS1_36segmented_radix_sort_config_selectorIblEEZNS1_25segmented_radix_sort_implIS3_Lb1EPKbPbPKlPlN2at6native12_GLOBAL__N_18offset_tEEE10hipError_tPvRmT1_PNSt15iterator_traitsISK_E10value_typeET2_T3_PNSL_ISQ_E10value_typeET4_jRbjT5_SW_jjP12ihipStream_tbEUlT_E_NS1_11comp_targetILNS1_3genE9ELNS1_11target_archE1100ELNS1_3gpuE3ELNS1_3repE0EEENS1_30default_config_static_selectorELNS0_4arch9wavefront6targetE0EEEvSK_,"axG",@progbits,_ZN7rocprim17ROCPRIM_400000_NS6detail17trampoline_kernelINS0_14default_configENS1_36segmented_radix_sort_config_selectorIblEEZNS1_25segmented_radix_sort_implIS3_Lb1EPKbPbPKlPlN2at6native12_GLOBAL__N_18offset_tEEE10hipError_tPvRmT1_PNSt15iterator_traitsISK_E10value_typeET2_T3_PNSL_ISQ_E10value_typeET4_jRbjT5_SW_jjP12ihipStream_tbEUlT_E_NS1_11comp_targetILNS1_3genE9ELNS1_11target_archE1100ELNS1_3gpuE3ELNS1_3repE0EEENS1_30default_config_static_selectorELNS0_4arch9wavefront6targetE0EEEvSK_,comdat
	.globl	_ZN7rocprim17ROCPRIM_400000_NS6detail17trampoline_kernelINS0_14default_configENS1_36segmented_radix_sort_config_selectorIblEEZNS1_25segmented_radix_sort_implIS3_Lb1EPKbPbPKlPlN2at6native12_GLOBAL__N_18offset_tEEE10hipError_tPvRmT1_PNSt15iterator_traitsISK_E10value_typeET2_T3_PNSL_ISQ_E10value_typeET4_jRbjT5_SW_jjP12ihipStream_tbEUlT_E_NS1_11comp_targetILNS1_3genE9ELNS1_11target_archE1100ELNS1_3gpuE3ELNS1_3repE0EEENS1_30default_config_static_selectorELNS0_4arch9wavefront6targetE0EEEvSK_ ; -- Begin function _ZN7rocprim17ROCPRIM_400000_NS6detail17trampoline_kernelINS0_14default_configENS1_36segmented_radix_sort_config_selectorIblEEZNS1_25segmented_radix_sort_implIS3_Lb1EPKbPbPKlPlN2at6native12_GLOBAL__N_18offset_tEEE10hipError_tPvRmT1_PNSt15iterator_traitsISK_E10value_typeET2_T3_PNSL_ISQ_E10value_typeET4_jRbjT5_SW_jjP12ihipStream_tbEUlT_E_NS1_11comp_targetILNS1_3genE9ELNS1_11target_archE1100ELNS1_3gpuE3ELNS1_3repE0EEENS1_30default_config_static_selectorELNS0_4arch9wavefront6targetE0EEEvSK_
	.p2align	8
	.type	_ZN7rocprim17ROCPRIM_400000_NS6detail17trampoline_kernelINS0_14default_configENS1_36segmented_radix_sort_config_selectorIblEEZNS1_25segmented_radix_sort_implIS3_Lb1EPKbPbPKlPlN2at6native12_GLOBAL__N_18offset_tEEE10hipError_tPvRmT1_PNSt15iterator_traitsISK_E10value_typeET2_T3_PNSL_ISQ_E10value_typeET4_jRbjT5_SW_jjP12ihipStream_tbEUlT_E_NS1_11comp_targetILNS1_3genE9ELNS1_11target_archE1100ELNS1_3gpuE3ELNS1_3repE0EEENS1_30default_config_static_selectorELNS0_4arch9wavefront6targetE0EEEvSK_,@function
_ZN7rocprim17ROCPRIM_400000_NS6detail17trampoline_kernelINS0_14default_configENS1_36segmented_radix_sort_config_selectorIblEEZNS1_25segmented_radix_sort_implIS3_Lb1EPKbPbPKlPlN2at6native12_GLOBAL__N_18offset_tEEE10hipError_tPvRmT1_PNSt15iterator_traitsISK_E10value_typeET2_T3_PNSL_ISQ_E10value_typeET4_jRbjT5_SW_jjP12ihipStream_tbEUlT_E_NS1_11comp_targetILNS1_3genE9ELNS1_11target_archE1100ELNS1_3gpuE3ELNS1_3repE0EEENS1_30default_config_static_selectorELNS0_4arch9wavefront6targetE0EEEvSK_: ; @_ZN7rocprim17ROCPRIM_400000_NS6detail17trampoline_kernelINS0_14default_configENS1_36segmented_radix_sort_config_selectorIblEEZNS1_25segmented_radix_sort_implIS3_Lb1EPKbPbPKlPlN2at6native12_GLOBAL__N_18offset_tEEE10hipError_tPvRmT1_PNSt15iterator_traitsISK_E10value_typeET2_T3_PNSL_ISQ_E10value_typeET4_jRbjT5_SW_jjP12ihipStream_tbEUlT_E_NS1_11comp_targetILNS1_3genE9ELNS1_11target_archE1100ELNS1_3gpuE3ELNS1_3repE0EEENS1_30default_config_static_selectorELNS0_4arch9wavefront6targetE0EEEvSK_
; %bb.0:
	s_clause 0x1
	s_load_b64 s[2:3], s[0:1], 0x38
	s_load_b128 s[4:7], s[0:1], 0x40
	s_mov_b32 s26, s14
	s_mov_b32 s27, 0
	;; [unrolled: 1-line block ×3, first 2 shown]
	s_lshl_b64 s[8:9], s[26:27], 2
	s_waitcnt lgkmcnt(0)
	s_add_u32 s2, s2, s8
	s_addc_u32 s3, s3, s9
	s_load_b32 s2, s[2:3], 0x0
	s_waitcnt lgkmcnt(0)
	s_add_i32 s27, s2, s5
	s_add_i32 s33, s2, s7
	s_mul_i32 s27, s27, s4
	s_mul_i32 s33, s33, s6
	s_delay_alu instid0(SALU_CYCLE_1)
	s_cmp_le_u32 s33, s27
	s_cbranch_scc1 .LBB1540_678
; %bb.1:
	s_clause 0x3
	s_load_b32 s2, s[0:1], 0x30
	s_load_b128 s[44:47], s[0:1], 0x20
	s_load_b128 s[48:51], s[0:1], 0x50
	s_load_b256 s[36:43], s[0:1], 0x0
	s_waitcnt lgkmcnt(0)
	s_bitcmp1_b32 s2, 0
	s_mov_b32 s2, -1
	s_cselect_b32 s34, -1, 0
	s_sub_i32 s35, s33, s27
	s_delay_alu instid0(SALU_CYCLE_1)
	s_cmpk_lt_u32 s35, 0x801
	s_cbranch_scc0 .LBB1540_7
; %bb.2:
	v_cndmask_b32_e64 v1, 0, 1, s34
	s_and_b32 s2, s48, 1
	s_delay_alu instid0(VALU_DEP_1) | instid1(SALU_CYCLE_1)
	v_cmp_ne_u32_e32 vcc_lo, s2, v1
	s_mov_b32 s2, -1
	s_cbranch_vccnz .LBB1540_4
; %bb.3:
	s_mov_b64 s[2:3], src_shared_base
	v_mov_b32_e32 v31, v0
	v_dual_mov_b32 v40, v0 :: v_dual_mov_b32 v1, s37
	v_mov_b32_e32 v0, s36
	v_dual_mov_b32 v2, s40 :: v_dual_mov_b32 v3, s41
	v_dual_mov_b32 v4, s42 :: v_dual_mov_b32 v5, s43
	;; [unrolled: 1-line block ×6, first 2 shown]
	s_add_u32 s8, s0, 0x60
	s_addc_u32 s9, s1, 0
	s_mov_b32 s12, s26
	s_mov_b32 s13, s15
	s_getpc_b64 s[4:5]
	s_add_u32 s4, s4, _ZN7rocprim17ROCPRIM_400000_NS6detail40segmented_radix_sort_single_block_helperIblLj256ELj8ELb1EE4sortIPKbPbPKlPlEEbT_T0_T1_T2_jjjjRNS3_12storage_typeE@rel32@lo+4
	s_addc_u32 s5, s5, _ZN7rocprim17ROCPRIM_400000_NS6detail40segmented_radix_sort_single_block_helperIblLj256ELj8ELb1EE4sortIPKbPbPKlPlEEbT_T0_T1_T2_jjjjRNS3_12storage_typeE@rel32@hi+12
	s_mov_b64 s[28:29], s[0:1]
	s_mov_b32 s48, s15
	s_swappc_b64 s[30:31], s[4:5]
	v_mov_b32_e32 v0, v40
	s_mov_b32 s15, s48
	s_mov_b64 s[0:1], s[28:29]
	s_mov_b32 s2, 0
.LBB1540_4:
	s_delay_alu instid0(SALU_CYCLE_1)
	s_and_not1_b32 vcc_lo, exec_lo, s2
	s_cbranch_vccnz .LBB1540_6
; %bb.5:
	s_mov_b64 s[2:3], src_shared_base
	v_mov_b32_e32 v31, v0
	v_dual_mov_b32 v40, v0 :: v_dual_mov_b32 v1, s37
	v_mov_b32_e32 v0, s36
	v_dual_mov_b32 v2, s38 :: v_dual_mov_b32 v3, s39
	v_dual_mov_b32 v4, s42 :: v_dual_mov_b32 v5, s43
	;; [unrolled: 1-line block ×6, first 2 shown]
	s_add_u32 s8, s0, 0x60
	s_addc_u32 s9, s1, 0
	s_mov_b32 s12, s26
	s_mov_b32 s13, s15
	s_getpc_b64 s[4:5]
	s_add_u32 s4, s4, _ZN7rocprim17ROCPRIM_400000_NS6detail40segmented_radix_sort_single_block_helperIblLj256ELj8ELb1EE4sortIPKbPbPKlPlEEbT_T0_T1_T2_jjjjRNS3_12storage_typeE@rel32@lo+4
	s_addc_u32 s5, s5, _ZN7rocprim17ROCPRIM_400000_NS6detail40segmented_radix_sort_single_block_helperIblLj256ELj8ELb1EE4sortIPKbPbPKlPlEEbT_T0_T1_T2_jjjjRNS3_12storage_typeE@rel32@hi+12
	s_mov_b64 s[28:29], s[0:1]
	s_mov_b32 s48, s15
	s_swappc_b64 s[30:31], s[4:5]
	v_mov_b32_e32 v0, v40
	s_mov_b32 s15, s48
	s_mov_b64 s[0:1], s[28:29]
.LBB1540_6:
	s_mov_b32 s2, 0
.LBB1540_7:
	s_delay_alu instid0(SALU_CYCLE_1)
	s_and_not1_b32 vcc_lo, exec_lo, s2
	s_cbranch_vccnz .LBB1540_678
; %bb.8:
	s_cmp_ge_u32 s49, s50
	s_cbranch_scc1 .LBB1540_678
; %bb.9:
	v_dual_mov_b32 v66, 1 :: v_dual_and_b32 v1, 0x3ff, v0
	v_mov_b32_e32 v3, 0
	v_mbcnt_lo_u32_b32 v63, -1, 0
	v_bfe_u32 v45, v0, 20, 10
	s_delay_alu instid0(VALU_DEP_4) | instskip(SKIP_4) | instid1(VALU_DEP_4)
	v_lshlrev_b32_e32 v28, 2, v1
	v_lshrrev_b32_e32 v2, 3, v1
	v_or_b32_e32 v4, 31, v1
	v_lshlrev_b32_e32 v5, 5, v1
	v_add_co_u32 v33, s2, s40, v1
	v_and_b32_e32 v38, 28, v2
	v_lshlrev_b32_e32 v2, 3, v1
	v_cmp_eq_u32_e64 s3, v4, v1
	v_add_nc_u32_e32 v4, 1, v1
	v_sub_nc_u32_e32 v48, 0, v5
	v_mad_u32_u24 v40, v1, 12, v28
	v_and_b32_e32 v44, 0x700, v2
	v_mul_u32_u24_e32 v2, 9, v1
	v_cmp_ne_u32_e64 s7, 0x100, v4
	v_or_b32_e32 v29, 0x100, v1
	v_or_b32_e32 v30, 0x200, v1
	v_lshlrev_b32_e32 v5, 3, v44
	v_lshl_add_u32 v47, v2, 2, 0x420
	v_mul_u32_u24_e32 v2, 9, v4
	v_or_b32_e32 v31, 0x300, v1
	v_and_b32_e32 v32, 3, v1
	v_add_co_u32 v50, s8, s46, v5
	s_delay_alu instid0(VALU_DEP_4) | instskip(SKIP_2) | instid1(VALU_DEP_1)
	v_lshlrev_b32_e32 v49, 2, v2
	v_add_co_ci_u32_e64 v51, null, s47, 0, s8
	v_add_co_u32 v2, s8, s40, v44
	v_add_co_ci_u32_e64 v4, null, s41, 0, s8
	v_add_co_u32 v53, s8, s38, v1
	s_delay_alu instid0(VALU_DEP_1) | instskip(SKIP_1) | instid1(VALU_DEP_1)
	v_add_co_ci_u32_e64 v54, null, s39, 0, s8
	v_add_co_u32 v55, s8, s44, v5
	v_add_co_ci_u32_e64 v56, null, s45, 0, s8
	v_add_co_u32 v57, s8, s38, v44
	s_delay_alu instid0(VALU_DEP_1) | instskip(SKIP_1) | instid1(VALU_DEP_1)
	v_add_co_ci_u32_e64 v58, null, s39, 0, s8
	v_add_co_u32 v59, s8, s36, v1
	v_add_co_ci_u32_e64 v60, null, s37, 0, s8
	v_add_co_u32 v61, s8, s42, v5
	s_delay_alu instid0(VALU_DEP_1)
	v_add_co_ci_u32_e64 v62, null, s43, 0, s8
	v_add_co_u32 v64, s8, s36, v44
	v_add_co_u32 v67, vcc_lo, v2, v63
	v_add_co_ci_u32_e64 v34, null, s41, 0, s2
	v_or_b32_e32 v35, 0x400, v1
	v_or_b32_e32 v36, 0x500, v1
	;; [unrolled: 1-line block ×4, first 2 shown]
	v_cmp_gt_u32_e64 s2, 0x100, v1
	v_or_b32_e32 v41, 0x4400, v38
	v_cmp_gt_u32_e64 s4, 8, v1
	v_add_nc_u32_e32 v42, 0x4400, v28
	v_cmp_lt_u32_e64 s5, 31, v1
	v_add_nc_u32_e32 v43, 0x43fc, v38
	v_bfe_u32 v0, v0, 10, 10
	v_mad_u32_u24 v46, v1, 20, v40
	v_cmp_eq_u32_e64 s6, 0, v1
	v_mul_u32_u24_e32 v52, 7, v1
	v_add_co_ci_u32_e64 v65, null, s37, 0, s8
	v_add_co_ci_u32_e32 v68, vcc_lo, 0, v4, vcc_lo
	s_add_u32 s28, s0, 0x60
	s_mov_b32 s25, 0
	s_addc_u32 s29, s1, 0
	s_mov_b32 s30, s49
	s_branch .LBB1540_12
.LBB1540_10:                            ;   in Loop: Header=BB1540_12 Depth=1
	s_waitcnt lgkmcnt(0)
	s_barrier
.LBB1540_11:                            ;   in Loop: Header=BB1540_12 Depth=1
	s_add_i32 s30, s30, 8
	buffer_gl0_inv
	s_cmp_ge_u32 s30, s50
	s_cbranch_scc1 .LBB1540_678
.LBB1540_12:                            ; =>This Loop Header: Depth=1
                                        ;     Child Loop BB1540_16 Depth 2
                                        ;     Child Loop BB1540_66 Depth 2
	;; [unrolled: 1-line block ×8, first 2 shown]
	s_sub_i32 s0, s50, s30
	s_xor_b32 s34, s34, -1
	s_min_u32 s0, s0, 8
	ds_store_2addr_stride64_b32 v28, v3, v3 offset1:4
	s_lshl_b32 s0, -1, s0
	ds_store_2addr_stride64_b32 v28, v3, v3 offset0:8 offset1:12
	s_not_b32 s31, s0
	s_cmp_lg_u32 s30, s49
	s_mov_b32 s0, -1
	s_waitcnt lgkmcnt(0)
	s_waitcnt_vscnt null, 0x0
	s_cbranch_scc0 .LBB1540_346
; %bb.13:                               ;   in Loop: Header=BB1540_12 Depth=1
	s_and_b32 vcc_lo, exec_lo, s34
	s_cbranch_vccz .LBB1540_179
; %bb.14:                               ;   in Loop: Header=BB1540_12 Depth=1
	s_mov_b32 s0, s35
	s_mov_b32 s9, s27
	s_barrier
	buffer_gl0_inv
                                        ; implicit-def: $vgpr2
                                        ; implicit-def: $vgpr6
                                        ; implicit-def: $vgpr7
                                        ; implicit-def: $vgpr8
                                        ; implicit-def: $vgpr9
                                        ; implicit-def: $vgpr10
                                        ; implicit-def: $vgpr11
                                        ; implicit-def: $vgpr12
	s_branch .LBB1540_16
.LBB1540_15:                            ;   in Loop: Header=BB1540_16 Depth=2
	s_or_b32 exec_lo, exec_lo, s8
	s_addk_i32 s0, 0xf800
	s_cmp_ge_u32 s1, s33
	s_mov_b32 s9, s1
	s_cbranch_scc1 .LBB1540_54
.LBB1540_16:                            ;   Parent Loop BB1540_12 Depth=1
                                        ; =>  This Inner Loop Header: Depth=2
	s_add_i32 s1, s9, 0x800
	s_delay_alu instid0(SALU_CYCLE_1)
	s_cmp_gt_u32 s1, s33
	s_cbranch_scc1 .LBB1540_19
; %bb.17:                               ;   in Loop: Header=BB1540_16 Depth=2
	v_add_co_u32 v4, vcc_lo, v33, s9
	v_add_co_ci_u32_e32 v5, vcc_lo, 0, v34, vcc_lo
	s_mov_b32 s8, -1
	s_movk_i32 s12, 0x800
	s_clause 0x6
	global_load_u8 v20, v[4:5], off offset:1536
	global_load_u8 v19, v[4:5], off offset:1280
	;; [unrolled: 1-line block ×6, first 2 shown]
	global_load_u8 v14, v[4:5], off
	v_add_co_u32 v4, vcc_lo, 0x700, v4
	v_add_co_ci_u32_e32 v5, vcc_lo, 0, v5, vcc_lo
	s_cbranch_execz .LBB1540_20
; %bb.18:                               ;   in Loop: Header=BB1540_16 Depth=2
                                        ; implicit-def: $vgpr2
                                        ; implicit-def: $vgpr6
                                        ; implicit-def: $vgpr7
                                        ; implicit-def: $vgpr8
                                        ; implicit-def: $vgpr9
                                        ; implicit-def: $vgpr10
                                        ; implicit-def: $vgpr11
                                        ; implicit-def: $vgpr12
	v_mov_b32_e32 v13, s0
	s_and_saveexec_b32 s9, s8
	s_cbranch_execnz .LBB1540_31
	s_branch .LBB1540_32
.LBB1540_19:                            ;   in Loop: Header=BB1540_16 Depth=2
	s_mov_b32 s8, 0
                                        ; implicit-def: $sgpr12
                                        ; implicit-def: $vgpr14
                                        ; implicit-def: $vgpr15
                                        ; implicit-def: $vgpr16
                                        ; implicit-def: $vgpr17
                                        ; implicit-def: $vgpr18
                                        ; implicit-def: $vgpr19
                                        ; implicit-def: $vgpr20
                                        ; implicit-def: $vgpr4_vgpr5
.LBB1540_20:                            ;   in Loop: Header=BB1540_16 Depth=2
	s_add_u32 s10, s40, s9
	s_addc_u32 s11, s41, 0
	s_mov_b32 s12, exec_lo
	v_cmpx_gt_u32_e64 s0, v1
	s_cbranch_execz .LBB1540_48
; %bb.21:                               ;   in Loop: Header=BB1540_16 Depth=2
	v_add_co_u32 v4, s13, s10, v1
	s_delay_alu instid0(VALU_DEP_1) | instskip(SKIP_2) | instid1(SALU_CYCLE_1)
	v_add_co_ci_u32_e64 v5, null, s11, 0, s13
	global_load_u8 v2, v[4:5], off
	s_or_b32 exec_lo, exec_lo, s12
	s_mov_b32 s12, exec_lo
	v_cmpx_gt_u32_e64 s0, v29
	s_cbranch_execnz .LBB1540_49
.LBB1540_22:                            ;   in Loop: Header=BB1540_16 Depth=2
	s_or_b32 exec_lo, exec_lo, s12
	s_delay_alu instid0(SALU_CYCLE_1)
	s_mov_b32 s12, exec_lo
	v_cmpx_gt_u32_e64 s0, v30
	s_cbranch_execz .LBB1540_50
.LBB1540_23:                            ;   in Loop: Header=BB1540_16 Depth=2
	v_add_co_u32 v4, s13, s10, v1
	s_delay_alu instid0(VALU_DEP_1) | instskip(SKIP_2) | instid1(SALU_CYCLE_1)
	v_add_co_ci_u32_e64 v5, null, s11, 0, s13
	global_load_u8 v7, v[4:5], off offset:512
	s_or_b32 exec_lo, exec_lo, s12
	s_mov_b32 s12, exec_lo
	v_cmpx_gt_u32_e64 s0, v31
	s_cbranch_execnz .LBB1540_51
.LBB1540_24:                            ;   in Loop: Header=BB1540_16 Depth=2
	s_or_b32 exec_lo, exec_lo, s12
	s_delay_alu instid0(SALU_CYCLE_1)
	s_mov_b32 s12, exec_lo
	v_cmpx_gt_u32_e64 s0, v35
	s_cbranch_execz .LBB1540_52
.LBB1540_25:                            ;   in Loop: Header=BB1540_16 Depth=2
	v_add_co_u32 v4, s13, s10, v1
	s_delay_alu instid0(VALU_DEP_1) | instskip(SKIP_2) | instid1(SALU_CYCLE_1)
	v_add_co_ci_u32_e64 v5, null, s11, 0, s13
	global_load_u8 v9, v[4:5], off offset:1024
	s_or_b32 exec_lo, exec_lo, s12
	s_mov_b32 s12, exec_lo
	v_cmpx_gt_u32_e64 s0, v36
	s_cbranch_execnz .LBB1540_53
.LBB1540_26:                            ;   in Loop: Header=BB1540_16 Depth=2
	s_or_b32 exec_lo, exec_lo, s12
	s_delay_alu instid0(SALU_CYCLE_1)
	s_mov_b32 s12, exec_lo
	v_cmpx_gt_u32_e64 s0, v37
	s_cbranch_execz .LBB1540_28
.LBB1540_27:                            ;   in Loop: Header=BB1540_16 Depth=2
	v_add_co_u32 v4, s13, s10, v1
	s_delay_alu instid0(VALU_DEP_1)
	v_add_co_ci_u32_e64 v5, null, s11, 0, s13
	global_load_u8 v11, v[4:5], off offset:1536
.LBB1540_28:                            ;   in Loop: Header=BB1540_16 Depth=2
	s_or_b32 exec_lo, exec_lo, s12
	s_delay_alu instid0(SALU_CYCLE_1)
	s_mov_b32 s13, exec_lo
                                        ; implicit-def: $sgpr12
                                        ; implicit-def: $vgpr4_vgpr5
	v_cmpx_gt_u32_e64 s0, v39
; %bb.29:                               ;   in Loop: Header=BB1540_16 Depth=2
	v_add_co_u32 v4, s10, s10, v1
	s_delay_alu instid0(VALU_DEP_1) | instskip(SKIP_1) | instid1(VALU_DEP_2)
	v_add_co_ci_u32_e64 v5, null, s11, 0, s10
	s_sub_i32 s12, s33, s9
	v_add_co_u32 v4, vcc_lo, 0x700, v4
	s_delay_alu instid0(VALU_DEP_2)
	v_add_co_ci_u32_e32 v5, vcc_lo, 0, v5, vcc_lo
	s_or_b32 s8, s8, exec_lo
                                        ; implicit-def: $vgpr12
; %bb.30:                               ;   in Loop: Header=BB1540_16 Depth=2
	s_or_b32 exec_lo, exec_lo, s13
	s_waitcnt vmcnt(0)
	v_dual_mov_b32 v14, v2 :: v_dual_mov_b32 v17, v8
	v_dual_mov_b32 v15, v6 :: v_dual_mov_b32 v16, v7
	;; [unrolled: 1-line block ×4, first 2 shown]
	s_and_saveexec_b32 s9, s8
	s_cbranch_execz .LBB1540_32
.LBB1540_31:                            ;   in Loop: Header=BB1540_16 Depth=2
	global_load_u8 v12, v[4:5], off
	s_waitcnt vmcnt(1)
	v_dual_mov_b32 v13, s12 :: v_dual_mov_b32 v2, v14
	v_dual_mov_b32 v6, v15 :: v_dual_mov_b32 v7, v16
	v_dual_mov_b32 v8, v17 :: v_dual_mov_b32 v9, v18
	v_dual_mov_b32 v10, v19 :: v_dual_mov_b32 v11, v20
.LBB1540_32:                            ;   in Loop: Header=BB1540_16 Depth=2
	s_or_b32 exec_lo, exec_lo, s9
	s_delay_alu instid0(SALU_CYCLE_1)
	s_mov_b32 s8, exec_lo
	v_cmpx_lt_u32_e64 v1, v13
	s_cbranch_execz .LBB1540_40
; %bb.33:                               ;   in Loop: Header=BB1540_16 Depth=2
	v_xor_b32_e32 v4, -1, v2
	v_lshlrev_b32_e32 v5, 2, v32
	s_delay_alu instid0(VALU_DEP_2) | instskip(NEXT) | instid1(VALU_DEP_1)
	v_and_b32_e32 v4, 1, v4
	v_and_b32_e32 v4, 0xffff, v4
	s_delay_alu instid0(VALU_DEP_1) | instskip(NEXT) | instid1(VALU_DEP_1)
	v_lshrrev_b32_e32 v4, s30, v4
	v_and_b32_e32 v4, s31, v4
	s_delay_alu instid0(VALU_DEP_1) | instskip(SKIP_2) | instid1(SALU_CYCLE_1)
	v_lshl_or_b32 v4, v4, 4, v5
	ds_add_u32 v4, v66
	s_or_b32 exec_lo, exec_lo, s8
	s_mov_b32 s8, exec_lo
	v_cmpx_lt_u32_e64 v29, v13
	s_cbranch_execnz .LBB1540_41
.LBB1540_34:                            ;   in Loop: Header=BB1540_16 Depth=2
	s_or_b32 exec_lo, exec_lo, s8
	s_delay_alu instid0(SALU_CYCLE_1)
	s_mov_b32 s8, exec_lo
	v_cmpx_lt_u32_e64 v30, v13
	s_cbranch_execz .LBB1540_42
.LBB1540_35:                            ;   in Loop: Header=BB1540_16 Depth=2
	v_xor_b32_e32 v4, -1, v7
	v_lshlrev_b32_e32 v5, 2, v32
	s_delay_alu instid0(VALU_DEP_2) | instskip(NEXT) | instid1(VALU_DEP_1)
	v_and_b32_e32 v4, 1, v4
	v_and_b32_e32 v4, 0xffff, v4
	s_delay_alu instid0(VALU_DEP_1) | instskip(NEXT) | instid1(VALU_DEP_1)
	v_lshrrev_b32_e32 v4, s30, v4
	v_and_b32_e32 v4, s31, v4
	s_delay_alu instid0(VALU_DEP_1) | instskip(SKIP_2) | instid1(SALU_CYCLE_1)
	v_lshl_or_b32 v4, v4, 4, v5
	ds_add_u32 v4, v66
	s_or_b32 exec_lo, exec_lo, s8
	s_mov_b32 s8, exec_lo
	v_cmpx_lt_u32_e64 v31, v13
	s_cbranch_execnz .LBB1540_43
.LBB1540_36:                            ;   in Loop: Header=BB1540_16 Depth=2
	s_or_b32 exec_lo, exec_lo, s8
	s_delay_alu instid0(SALU_CYCLE_1)
	s_mov_b32 s8, exec_lo
	v_cmpx_lt_u32_e64 v35, v13
	s_cbranch_execz .LBB1540_44
.LBB1540_37:                            ;   in Loop: Header=BB1540_16 Depth=2
	v_xor_b32_e32 v4, -1, v9
	v_lshlrev_b32_e32 v5, 2, v32
	s_delay_alu instid0(VALU_DEP_2) | instskip(NEXT) | instid1(VALU_DEP_1)
	v_and_b32_e32 v4, 1, v4
	v_and_b32_e32 v4, 0xffff, v4
	s_delay_alu instid0(VALU_DEP_1) | instskip(NEXT) | instid1(VALU_DEP_1)
	v_lshrrev_b32_e32 v4, s30, v4
	v_and_b32_e32 v4, s31, v4
	s_delay_alu instid0(VALU_DEP_1) | instskip(SKIP_2) | instid1(SALU_CYCLE_1)
	v_lshl_or_b32 v4, v4, 4, v5
	ds_add_u32 v4, v66
	s_or_b32 exec_lo, exec_lo, s8
	s_mov_b32 s8, exec_lo
	v_cmpx_lt_u32_e64 v36, v13
	s_cbranch_execnz .LBB1540_45
.LBB1540_38:                            ;   in Loop: Header=BB1540_16 Depth=2
	s_or_b32 exec_lo, exec_lo, s8
	s_delay_alu instid0(SALU_CYCLE_1)
	s_mov_b32 s8, exec_lo
	v_cmpx_lt_u32_e64 v37, v13
	s_cbranch_execz .LBB1540_46
.LBB1540_39:                            ;   in Loop: Header=BB1540_16 Depth=2
	v_xor_b32_e32 v4, -1, v11
	v_lshlrev_b32_e32 v5, 2, v32
	s_delay_alu instid0(VALU_DEP_2) | instskip(NEXT) | instid1(VALU_DEP_1)
	v_and_b32_e32 v4, 1, v4
	v_and_b32_e32 v4, 0xffff, v4
	s_delay_alu instid0(VALU_DEP_1) | instskip(NEXT) | instid1(VALU_DEP_1)
	v_lshrrev_b32_e32 v4, s30, v4
	v_and_b32_e32 v4, s31, v4
	s_delay_alu instid0(VALU_DEP_1) | instskip(SKIP_2) | instid1(SALU_CYCLE_1)
	v_lshl_or_b32 v4, v4, 4, v5
	ds_add_u32 v4, v66
	s_or_b32 exec_lo, exec_lo, s8
	s_mov_b32 s8, exec_lo
	v_cmpx_lt_u32_e64 v39, v13
	s_cbranch_execz .LBB1540_15
	s_branch .LBB1540_47
.LBB1540_40:                            ;   in Loop: Header=BB1540_16 Depth=2
	s_or_b32 exec_lo, exec_lo, s8
	s_delay_alu instid0(SALU_CYCLE_1)
	s_mov_b32 s8, exec_lo
	v_cmpx_lt_u32_e64 v29, v13
	s_cbranch_execz .LBB1540_34
.LBB1540_41:                            ;   in Loop: Header=BB1540_16 Depth=2
	v_xor_b32_e32 v4, -1, v6
	v_lshlrev_b32_e32 v5, 2, v32
	s_delay_alu instid0(VALU_DEP_2) | instskip(NEXT) | instid1(VALU_DEP_1)
	v_and_b32_e32 v4, 1, v4
	v_and_b32_e32 v4, 0xffff, v4
	s_delay_alu instid0(VALU_DEP_1) | instskip(NEXT) | instid1(VALU_DEP_1)
	v_lshrrev_b32_e32 v4, s30, v4
	v_and_b32_e32 v4, s31, v4
	s_delay_alu instid0(VALU_DEP_1) | instskip(SKIP_2) | instid1(SALU_CYCLE_1)
	v_lshl_or_b32 v4, v4, 4, v5
	ds_add_u32 v4, v66
	s_or_b32 exec_lo, exec_lo, s8
	s_mov_b32 s8, exec_lo
	v_cmpx_lt_u32_e64 v30, v13
	s_cbranch_execnz .LBB1540_35
.LBB1540_42:                            ;   in Loop: Header=BB1540_16 Depth=2
	s_or_b32 exec_lo, exec_lo, s8
	s_delay_alu instid0(SALU_CYCLE_1)
	s_mov_b32 s8, exec_lo
	v_cmpx_lt_u32_e64 v31, v13
	s_cbranch_execz .LBB1540_36
.LBB1540_43:                            ;   in Loop: Header=BB1540_16 Depth=2
	v_xor_b32_e32 v4, -1, v8
	v_lshlrev_b32_e32 v5, 2, v32
	s_delay_alu instid0(VALU_DEP_2) | instskip(NEXT) | instid1(VALU_DEP_1)
	v_and_b32_e32 v4, 1, v4
	v_and_b32_e32 v4, 0xffff, v4
	s_delay_alu instid0(VALU_DEP_1) | instskip(NEXT) | instid1(VALU_DEP_1)
	v_lshrrev_b32_e32 v4, s30, v4
	v_and_b32_e32 v4, s31, v4
	s_delay_alu instid0(VALU_DEP_1) | instskip(SKIP_2) | instid1(SALU_CYCLE_1)
	v_lshl_or_b32 v4, v4, 4, v5
	ds_add_u32 v4, v66
	s_or_b32 exec_lo, exec_lo, s8
	s_mov_b32 s8, exec_lo
	v_cmpx_lt_u32_e64 v35, v13
	s_cbranch_execnz .LBB1540_37
.LBB1540_44:                            ;   in Loop: Header=BB1540_16 Depth=2
	s_or_b32 exec_lo, exec_lo, s8
	s_delay_alu instid0(SALU_CYCLE_1)
	s_mov_b32 s8, exec_lo
	v_cmpx_lt_u32_e64 v36, v13
	s_cbranch_execz .LBB1540_38
.LBB1540_45:                            ;   in Loop: Header=BB1540_16 Depth=2
	v_xor_b32_e32 v4, -1, v10
	v_lshlrev_b32_e32 v5, 2, v32
	s_delay_alu instid0(VALU_DEP_2) | instskip(NEXT) | instid1(VALU_DEP_1)
	v_and_b32_e32 v4, 1, v4
	v_and_b32_e32 v4, 0xffff, v4
	s_delay_alu instid0(VALU_DEP_1) | instskip(NEXT) | instid1(VALU_DEP_1)
	v_lshrrev_b32_e32 v4, s30, v4
	v_and_b32_e32 v4, s31, v4
	s_delay_alu instid0(VALU_DEP_1) | instskip(SKIP_2) | instid1(SALU_CYCLE_1)
	v_lshl_or_b32 v4, v4, 4, v5
	ds_add_u32 v4, v66
	s_or_b32 exec_lo, exec_lo, s8
	s_mov_b32 s8, exec_lo
	v_cmpx_lt_u32_e64 v37, v13
	s_cbranch_execnz .LBB1540_39
.LBB1540_46:                            ;   in Loop: Header=BB1540_16 Depth=2
	s_or_b32 exec_lo, exec_lo, s8
	s_delay_alu instid0(SALU_CYCLE_1)
	s_mov_b32 s8, exec_lo
	v_cmpx_lt_u32_e64 v39, v13
	s_cbranch_execz .LBB1540_15
.LBB1540_47:                            ;   in Loop: Header=BB1540_16 Depth=2
	s_waitcnt vmcnt(0)
	v_xor_b32_e32 v4, -1, v12
	v_lshlrev_b32_e32 v5, 2, v32
	s_delay_alu instid0(VALU_DEP_2) | instskip(NEXT) | instid1(VALU_DEP_1)
	v_and_b32_e32 v4, 1, v4
	v_and_b32_e32 v4, 0xffff, v4
	s_delay_alu instid0(VALU_DEP_1) | instskip(NEXT) | instid1(VALU_DEP_1)
	v_lshrrev_b32_e32 v4, s30, v4
	v_and_b32_e32 v4, s31, v4
	s_delay_alu instid0(VALU_DEP_1)
	v_lshl_or_b32 v4, v4, 4, v5
	ds_add_u32 v4, v66
	s_branch .LBB1540_15
.LBB1540_48:                            ;   in Loop: Header=BB1540_16 Depth=2
	s_or_b32 exec_lo, exec_lo, s12
	s_delay_alu instid0(SALU_CYCLE_1)
	s_mov_b32 s12, exec_lo
	v_cmpx_gt_u32_e64 s0, v29
	s_cbranch_execz .LBB1540_22
.LBB1540_49:                            ;   in Loop: Header=BB1540_16 Depth=2
	v_add_co_u32 v4, s13, s10, v1
	s_delay_alu instid0(VALU_DEP_1) | instskip(SKIP_2) | instid1(SALU_CYCLE_1)
	v_add_co_ci_u32_e64 v5, null, s11, 0, s13
	global_load_u8 v6, v[4:5], off offset:256
	s_or_b32 exec_lo, exec_lo, s12
	s_mov_b32 s12, exec_lo
	v_cmpx_gt_u32_e64 s0, v30
	s_cbranch_execnz .LBB1540_23
.LBB1540_50:                            ;   in Loop: Header=BB1540_16 Depth=2
	s_or_b32 exec_lo, exec_lo, s12
	s_delay_alu instid0(SALU_CYCLE_1)
	s_mov_b32 s12, exec_lo
	v_cmpx_gt_u32_e64 s0, v31
	s_cbranch_execz .LBB1540_24
.LBB1540_51:                            ;   in Loop: Header=BB1540_16 Depth=2
	v_add_co_u32 v4, s13, s10, v1
	s_delay_alu instid0(VALU_DEP_1) | instskip(SKIP_2) | instid1(SALU_CYCLE_1)
	v_add_co_ci_u32_e64 v5, null, s11, 0, s13
	global_load_u8 v8, v[4:5], off offset:768
	s_or_b32 exec_lo, exec_lo, s12
	s_mov_b32 s12, exec_lo
	v_cmpx_gt_u32_e64 s0, v35
	s_cbranch_execnz .LBB1540_25
.LBB1540_52:                            ;   in Loop: Header=BB1540_16 Depth=2
	s_or_b32 exec_lo, exec_lo, s12
	s_delay_alu instid0(SALU_CYCLE_1)
	s_mov_b32 s12, exec_lo
	v_cmpx_gt_u32_e64 s0, v36
	s_cbranch_execz .LBB1540_26
.LBB1540_53:                            ;   in Loop: Header=BB1540_16 Depth=2
	v_add_co_u32 v4, s13, s10, v1
	s_delay_alu instid0(VALU_DEP_1) | instskip(SKIP_2) | instid1(SALU_CYCLE_1)
	v_add_co_ci_u32_e64 v5, null, s11, 0, s13
	global_load_u8 v10, v[4:5], off offset:1280
	s_or_b32 exec_lo, exec_lo, s12
	s_mov_b32 s12, exec_lo
	v_cmpx_gt_u32_e64 s0, v37
	s_cbranch_execz .LBB1540_28
	s_branch .LBB1540_27
.LBB1540_54:                            ;   in Loop: Header=BB1540_12 Depth=1
	v_mov_b32_e32 v2, 0
	s_waitcnt vmcnt(0) lgkmcnt(0)
	s_barrier
	buffer_gl0_inv
	s_and_saveexec_b32 s0, s2
	s_cbranch_execz .LBB1540_56
; %bb.55:                               ;   in Loop: Header=BB1540_12 Depth=1
	ds_load_2addr_b64 v[4:7], v40 offset1:1
	s_waitcnt lgkmcnt(0)
	v_add_nc_u32_e32 v2, v5, v4
	s_delay_alu instid0(VALU_DEP_1)
	v_add3_u32 v2, v2, v6, v7
.LBB1540_56:                            ;   in Loop: Header=BB1540_12 Depth=1
	s_or_b32 exec_lo, exec_lo, s0
	v_and_b32_e32 v4, 15, v63
	s_delay_alu instid0(VALU_DEP_2) | instskip(SKIP_1) | instid1(VALU_DEP_3)
	v_mov_b32_dpp v5, v2 row_shr:1 row_mask:0xf bank_mask:0xf
	v_and_b32_e32 v6, 16, v63
	v_cmp_eq_u32_e64 s0, 0, v4
	v_cmp_lt_u32_e64 s1, 1, v4
	v_cmp_lt_u32_e64 s8, 3, v4
	;; [unrolled: 1-line block ×3, first 2 shown]
	v_cmp_eq_u32_e64 s10, 0, v6
	v_cndmask_b32_e64 v5, v5, 0, s0
	s_delay_alu instid0(VALU_DEP_1) | instskip(NEXT) | instid1(VALU_DEP_1)
	v_add_nc_u32_e32 v2, v5, v2
	v_mov_b32_dpp v5, v2 row_shr:2 row_mask:0xf bank_mask:0xf
	s_delay_alu instid0(VALU_DEP_1) | instskip(NEXT) | instid1(VALU_DEP_1)
	v_cndmask_b32_e64 v5, 0, v5, s1
	v_add_nc_u32_e32 v2, v2, v5
	s_delay_alu instid0(VALU_DEP_1) | instskip(NEXT) | instid1(VALU_DEP_1)
	v_mov_b32_dpp v5, v2 row_shr:4 row_mask:0xf bank_mask:0xf
	v_cndmask_b32_e64 v5, 0, v5, s8
	s_delay_alu instid0(VALU_DEP_1) | instskip(NEXT) | instid1(VALU_DEP_1)
	v_add_nc_u32_e32 v2, v2, v5
	v_mov_b32_dpp v5, v2 row_shr:8 row_mask:0xf bank_mask:0xf
	s_delay_alu instid0(VALU_DEP_1) | instskip(SKIP_1) | instid1(VALU_DEP_2)
	v_cndmask_b32_e64 v4, 0, v5, s9
	v_bfe_i32 v5, v63, 4, 1
	v_add_nc_u32_e32 v2, v2, v4
	ds_swizzle_b32 v4, v2 offset:swizzle(BROADCAST,32,15)
	s_waitcnt lgkmcnt(0)
	v_and_b32_e32 v4, v5, v4
	s_delay_alu instid0(VALU_DEP_1)
	v_add_nc_u32_e32 v4, v2, v4
	s_and_saveexec_b32 s11, s3
	s_cbranch_execz .LBB1540_58
; %bb.57:                               ;   in Loop: Header=BB1540_12 Depth=1
	ds_store_b32 v41, v4
.LBB1540_58:                            ;   in Loop: Header=BB1540_12 Depth=1
	s_or_b32 exec_lo, exec_lo, s11
	v_and_b32_e32 v2, 7, v63
	s_waitcnt lgkmcnt(0)
	s_barrier
	buffer_gl0_inv
	s_and_saveexec_b32 s11, s4
	s_cbranch_execz .LBB1540_60
; %bb.59:                               ;   in Loop: Header=BB1540_12 Depth=1
	ds_load_b32 v5, v42
	v_cmp_ne_u32_e32 vcc_lo, 0, v2
	s_waitcnt lgkmcnt(0)
	v_mov_b32_dpp v6, v5 row_shr:1 row_mask:0xf bank_mask:0xf
	s_delay_alu instid0(VALU_DEP_1) | instskip(SKIP_1) | instid1(VALU_DEP_2)
	v_cndmask_b32_e32 v6, 0, v6, vcc_lo
	v_cmp_lt_u32_e32 vcc_lo, 1, v2
	v_add_nc_u32_e32 v5, v6, v5
	s_delay_alu instid0(VALU_DEP_1) | instskip(NEXT) | instid1(VALU_DEP_1)
	v_mov_b32_dpp v6, v5 row_shr:2 row_mask:0xf bank_mask:0xf
	v_cndmask_b32_e32 v6, 0, v6, vcc_lo
	v_cmp_lt_u32_e32 vcc_lo, 3, v2
	s_delay_alu instid0(VALU_DEP_2) | instskip(NEXT) | instid1(VALU_DEP_1)
	v_add_nc_u32_e32 v5, v5, v6
	v_mov_b32_dpp v6, v5 row_shr:4 row_mask:0xf bank_mask:0xf
	s_delay_alu instid0(VALU_DEP_1) | instskip(NEXT) | instid1(VALU_DEP_1)
	v_cndmask_b32_e32 v6, 0, v6, vcc_lo
	v_add_nc_u32_e32 v5, v5, v6
	ds_store_b32 v42, v5
.LBB1540_60:                            ;   in Loop: Header=BB1540_12 Depth=1
	s_or_b32 exec_lo, exec_lo, s11
	v_mov_b32_e32 v5, 0
	s_waitcnt lgkmcnt(0)
	s_barrier
	buffer_gl0_inv
	s_and_saveexec_b32 s11, s5
	s_cbranch_execz .LBB1540_62
; %bb.61:                               ;   in Loop: Header=BB1540_12 Depth=1
	ds_load_b32 v5, v43
.LBB1540_62:                            ;   in Loop: Header=BB1540_12 Depth=1
	s_or_b32 exec_lo, exec_lo, s11
	v_add_nc_u32_e32 v6, -1, v63
	s_waitcnt lgkmcnt(0)
	v_add_nc_u32_e32 v4, v5, v4
	v_cmp_eq_u32_e64 s11, 0, v63
	s_barrier
	v_cmp_gt_i32_e32 vcc_lo, 0, v6
	buffer_gl0_inv
	v_cndmask_b32_e32 v6, v6, v63, vcc_lo
	s_delay_alu instid0(VALU_DEP_1)
	v_lshlrev_b32_e32 v69, 2, v6
	ds_bpermute_b32 v4, v69, v4
	s_and_saveexec_b32 s12, s2
	s_cbranch_execz .LBB1540_64
; %bb.63:                               ;   in Loop: Header=BB1540_12 Depth=1
	s_waitcnt lgkmcnt(0)
	v_cndmask_b32_e64 v4, v4, v5, s11
	s_delay_alu instid0(VALU_DEP_1)
	v_add_nc_u32_e32 v4, s27, v4
	ds_store_b32 v28, v4
.LBB1540_64:                            ;   in Loop: Header=BB1540_12 Depth=1
	s_or_b32 exec_lo, exec_lo, s12
	s_clause 0x1
	s_load_b32 s12, s[28:29], 0x4
	s_load_b32 s16, s[28:29], 0xc
	v_lshlrev_b32_e32 v5, 3, v63
	v_cmp_lt_u32_e64 s14, 3, v2
	v_or_b32_e32 v70, v63, v44
	s_mov_b32 s42, s35
	s_mov_b32 s24, s27
	v_add_co_u32 v71, vcc_lo, v50, v5
	v_add_co_ci_u32_e32 v72, vcc_lo, 0, v51, vcc_lo
	v_add_co_u32 v81, vcc_lo, 0xe0, v67
	v_or_b32_e32 v73, 32, v70
	v_or_b32_e32 v74, 64, v70
	;; [unrolled: 1-line block ×7, first 2 shown]
	s_waitcnt lgkmcnt(0)
	s_cmp_lt_u32 s15, s12
	v_add_co_ci_u32_e32 v82, vcc_lo, 0, v68, vcc_lo
	s_cselect_b32 s12, 14, 20
                                        ; implicit-def: $vgpr6_vgpr7
                                        ; implicit-def: $vgpr8_vgpr9
                                        ; implicit-def: $vgpr10_vgpr11
                                        ; implicit-def: $vgpr12_vgpr13
                                        ; implicit-def: $vgpr14_vgpr15
                                        ; implicit-def: $vgpr16_vgpr17
                                        ; implicit-def: $vgpr18_vgpr19
                                        ; implicit-def: $vgpr83
                                        ; implicit-def: $vgpr84
                                        ; implicit-def: $vgpr85
                                        ; implicit-def: $vgpr86
                                        ; implicit-def: $vgpr87
                                        ; implicit-def: $vgpr88
                                        ; implicit-def: $vgpr89
                                        ; implicit-def: $vgpr90
	s_delay_alu instid0(SALU_CYCLE_1)
	s_add_u32 s12, s28, s12
	s_addc_u32 s13, s29, 0
	s_and_b32 s16, s16, 0xffff
	global_load_u16 v4, v3, s[12:13]
	v_cmp_eq_u32_e64 s12, 0, v2
	v_cmp_lt_u32_e64 s13, 1, v2
	s_waitcnt vmcnt(0)
	v_mad_u32_u24 v2, v45, v4, v0
	s_delay_alu instid0(VALU_DEP_1) | instskip(NEXT) | instid1(VALU_DEP_1)
	v_mad_u64_u32 v[4:5], null, v2, s16, v[1:2]
	v_lshrrev_b32_e32 v80, 5, v4
                                        ; implicit-def: $vgpr4_vgpr5
	s_branch .LBB1540_66
.LBB1540_65:                            ;   in Loop: Header=BB1540_66 Depth=2
	s_or_b32 exec_lo, exec_lo, s16
	s_addk_i32 s42, 0xf800
	s_cmp_lt_u32 s43, s33
	s_mov_b32 s24, s43
	s_cbranch_scc0 .LBB1540_178
.LBB1540_66:                            ;   Parent Loop BB1540_12 Depth=1
                                        ; =>  This Inner Loop Header: Depth=2
	s_add_i32 s43, s24, 0x800
	s_delay_alu instid0(SALU_CYCLE_1)
	s_cmp_gt_u32 s43, s33
	s_cbranch_scc1 .LBB1540_68
; %bb.67:                               ;   in Loop: Header=BB1540_66 Depth=2
	v_add_co_u32 v20, vcc_lo, v67, s24
	v_add_co_ci_u32_e32 v21, vcc_lo, 0, v68, vcc_lo
	s_mov_b32 s17, 0
	s_mov_b32 s16, s24
	s_mov_b32 s19, -1
	s_clause 0x6
	global_load_u8 v2, v[20:21], off offset:32
	global_load_u8 v22, v[20:21], off offset:96
	;; [unrolled: 1-line block ×3, first 2 shown]
	global_load_u8 v24, v[20:21], off
	global_load_u8 v25, v[20:21], off offset:64
	global_load_u8 v26, v[20:21], off offset:128
	;; [unrolled: 1-line block ×3, first 2 shown]
	s_movk_i32 s18, 0x800
	s_waitcnt vmcnt(6)
	v_lshlrev_b16 v2, 8, v2
	s_waitcnt vmcnt(5)
	v_lshlrev_b16 v20, 8, v22
	;; [unrolled: 2-line block ×3, first 2 shown]
	s_waitcnt vmcnt(3)
	v_or_b32_e32 v2, v24, v2
	s_waitcnt vmcnt(2)
	v_or_b32_e32 v20, v25, v20
	;; [unrolled: 2-line block ×3, first 2 shown]
	v_and_b32_e32 v2, 0xffff, v2
	s_delay_alu instid0(VALU_DEP_3) | instskip(NEXT) | instid1(VALU_DEP_3)
	v_lshlrev_b32_e32 v20, 16, v20
	v_and_b32_e32 v22, 0xffff, v22
	s_delay_alu instid0(VALU_DEP_2) | instskip(SKIP_1) | instid1(VALU_DEP_2)
	v_or_b32_e32 v20, v2, v20
	s_waitcnt vmcnt(0)
	v_lshl_or_b32 v21, v21, 16, v22
	s_cbranch_execz .LBB1540_69
	s_branch .LBB1540_78
.LBB1540_68:                            ;   in Loop: Header=BB1540_66 Depth=2
	s_mov_b32 s17, -1
	s_mov_b32 s19, 0
                                        ; implicit-def: $sgpr18
                                        ; implicit-def: $vgpr20_vgpr21
.LBB1540_69:                            ;   in Loop: Header=BB1540_66 Depth=2
	v_add_co_u32 v22, vcc_lo, v67, s24
	s_mov_b32 s16, s25
	s_mov_b32 s17, s25
	v_add_co_ci_u32_e32 v23, vcc_lo, 0, v68, vcc_lo
	v_dual_mov_b32 v21, s17 :: v_dual_mov_b32 v20, s16
	s_mov_b32 s16, exec_lo
	v_cmpx_gt_u32_e64 s42, v70
	s_cbranch_execz .LBB1540_172
; %bb.70:                               ;   in Loop: Header=BB1540_66 Depth=2
	global_load_u8 v2, v[22:23], off
	s_waitcnt vmcnt(0)
	v_dual_mov_b32 v21, s25 :: v_dual_and_b32 v20, 0xffff, v2
	s_or_b32 exec_lo, exec_lo, s16
	s_delay_alu instid0(SALU_CYCLE_1)
	s_mov_b32 s16, exec_lo
	v_cmpx_gt_u32_e64 s42, v73
	s_cbranch_execnz .LBB1540_173
.LBB1540_71:                            ;   in Loop: Header=BB1540_66 Depth=2
	s_or_b32 exec_lo, exec_lo, s16
	s_delay_alu instid0(SALU_CYCLE_1)
	s_mov_b32 s16, exec_lo
	v_cmpx_gt_u32_e64 s42, v74
	s_cbranch_execz .LBB1540_174
.LBB1540_72:                            ;   in Loop: Header=BB1540_66 Depth=2
	global_load_u8 v2, v[22:23], off offset:64
	v_lshrrev_b32_e32 v24, 16, v20
	s_delay_alu instid0(VALU_DEP_1) | instskip(SKIP_1) | instid1(VALU_DEP_1)
	v_and_b32_e32 v24, 0xffffff00, v24
	s_waitcnt vmcnt(0)
	v_or_b32_e32 v2, v2, v24
	s_delay_alu instid0(VALU_DEP_1) | instskip(NEXT) | instid1(VALU_DEP_1)
	v_lshlrev_b32_e32 v2, 16, v2
	v_and_or_b32 v20, 0xffff, v20, v2
	s_or_b32 exec_lo, exec_lo, s16
	s_delay_alu instid0(SALU_CYCLE_1)
	s_mov_b32 s16, exec_lo
	v_cmpx_gt_u32_e64 s42, v75
	s_cbranch_execnz .LBB1540_175
.LBB1540_73:                            ;   in Loop: Header=BB1540_66 Depth=2
	s_or_b32 exec_lo, exec_lo, s16
	s_delay_alu instid0(SALU_CYCLE_1)
	s_mov_b32 s16, exec_lo
	v_cmpx_gt_u32_e64 s42, v76
	s_cbranch_execz .LBB1540_176
.LBB1540_74:                            ;   in Loop: Header=BB1540_66 Depth=2
	global_load_u8 v2, v[22:23], off offset:128
	s_waitcnt vmcnt(0)
	v_perm_b32 v21, v2, v21, 0x3020104
	s_or_b32 exec_lo, exec_lo, s16
	s_delay_alu instid0(SALU_CYCLE_1)
	s_mov_b32 s16, exec_lo
	v_cmpx_gt_u32_e64 s42, v77
	s_cbranch_execnz .LBB1540_177
.LBB1540_75:                            ;   in Loop: Header=BB1540_66 Depth=2
	s_or_b32 exec_lo, exec_lo, s16
	s_delay_alu instid0(SALU_CYCLE_1)
	s_mov_b32 s16, exec_lo
	v_cmpx_gt_u32_e64 s42, v78
	s_cbranch_execz .LBB1540_77
.LBB1540_76:                            ;   in Loop: Header=BB1540_66 Depth=2
	global_load_u8 v2, v[22:23], off offset:192
	s_waitcnt vmcnt(0)
	v_perm_b32 v21, v21, v2, 0x7000504
.LBB1540_77:                            ;   in Loop: Header=BB1540_66 Depth=2
	s_or_b32 exec_lo, exec_lo, s16
	v_cmp_gt_u32_e64 s19, s42, v79
	s_sub_i32 s18, s33, s24
	s_mov_b64 s[16:17], s[24:25]
.LBB1540_78:                            ;   in Loop: Header=BB1540_66 Depth=2
	v_mov_b32_e32 v2, s42
	s_delay_alu instid0(VALU_DEP_2)
	s_and_saveexec_b32 s20, s19
	s_cbranch_execz .LBB1540_80
; %bb.79:                               ;   in Loop: Header=BB1540_66 Depth=2
	v_add_co_u32 v22, vcc_lo, v81, s16
	v_add_co_ci_u32_e32 v23, vcc_lo, s17, v82, vcc_lo
	global_load_u8 v2, v[22:23], off
	s_waitcnt vmcnt(0)
	v_perm_b32 v21, v21, v2, 0x60504
	v_mov_b32_e32 v2, s18
.LBB1540_80:                            ;   in Loop: Header=BB1540_66 Depth=2
	s_or_b32 exec_lo, exec_lo, s20
	v_and_b32_e32 v22, 1, v20
	v_lshrrev_b16 v25, 8, v20
	v_and_b32_e32 v93, 0x10000, v20
	v_and_b32_e32 v92, 0x10000, v21
	v_lshrrev_b16 v26, 8, v21
	v_cmp_eq_u32_e32 vcc_lo, 1, v22
	v_and_b32_e32 v27, 0x1000000, v21
	v_and_b32_e32 v21, 1, v21
	v_cmp_ne_u32_e64 s20, 0, v93
	ds_store_b32 v46, v3 offset:1056
	s_xor_b32 s16, vcc_lo, -1
	ds_store_2addr_b32 v47, v3, v3 offset0:1 offset1:2
	ds_store_2addr_b32 v47, v3, v3 offset0:3 offset1:4
	;; [unrolled: 1-line block ×4, first 2 shown]
	v_cndmask_b32_e64 v91, 0, 1, s16
	v_cmp_eq_u32_e64 s18, 1, v21
	s_waitcnt lgkmcnt(0)
	s_barrier
	buffer_gl0_inv
	v_lshrrev_b32_e32 v22, s30, v91
	; wave barrier
	s_delay_alu instid0(VALU_DEP_1) | instskip(NEXT) | instid1(VALU_DEP_1)
	v_and_b32_e32 v22, s31, v22
	v_add_co_u32 v23, s16, v22, -1
	s_delay_alu instid0(VALU_DEP_1) | instskip(SKIP_2) | instid1(VALU_DEP_3)
	v_cndmask_b32_e64 v24, 0, 1, s16
	v_cmp_ne_u32_e64 s16, 0, v92
	v_mad_u32_u24 v21, v22, 9, v80
	v_cmp_ne_u32_e32 vcc_lo, 0, v24
	v_and_b32_e32 v24, 0x1000000, v20
	s_delay_alu instid0(VALU_DEP_3)
	v_lshl_add_u32 v94, v21, 2, 0x420
	v_xor_b32_e32 v20, vcc_lo, v23
	v_and_b32_e32 v23, 1, v25
	v_and_b32_e32 v25, 1, v26
	v_cmp_ne_u32_e32 vcc_lo, 0, v27
	v_cmp_ne_u32_e64 s19, 0, v24
	v_and_b32_e32 v20, exec_lo, v20
	v_cmp_eq_u32_e64 s21, 1, v23
	v_cmp_eq_u32_e64 s17, 1, v25
	s_delay_alu instid0(VALU_DEP_3) | instskip(SKIP_1) | instid1(VALU_DEP_2)
	v_mbcnt_lo_u32_b32 v92, v20, 0
	v_cmp_ne_u32_e64 s23, 0, v20
	v_cmp_eq_u32_e64 s22, 0, v92
	s_delay_alu instid0(VALU_DEP_1) | instskip(NEXT) | instid1(SALU_CYCLE_1)
	s_and_b32 s23, s23, s22
	s_and_saveexec_b32 s22, s23
	s_cbranch_execz .LBB1540_82
; %bb.81:                               ;   in Loop: Header=BB1540_66 Depth=2
	v_bcnt_u32_b32 v20, v20, 0
	ds_store_b32 v94, v20
.LBB1540_82:                            ;   in Loop: Header=BB1540_66 Depth=2
	s_or_b32 exec_lo, exec_lo, s22
	s_xor_b32 s21, s21, -1
	s_delay_alu instid0(SALU_CYCLE_1) | instskip(NEXT) | instid1(VALU_DEP_1)
	v_cndmask_b32_e64 v93, 0, 1, s21
	; wave barrier
	v_lshrrev_b32_e32 v20, s30, v93
	s_delay_alu instid0(VALU_DEP_1) | instskip(NEXT) | instid1(VALU_DEP_1)
	v_and_b32_e32 v20, s31, v20
	v_add_co_u32 v21, s21, v20, -1
	s_delay_alu instid0(VALU_DEP_1) | instskip(SKIP_1) | instid1(VALU_DEP_2)
	v_cndmask_b32_e64 v22, 0, 1, s21
	v_mul_u32_u24_e32 v20, 9, v20
	v_cmp_ne_u32_e64 s21, 0, v22
	s_delay_alu instid0(VALU_DEP_2) | instskip(NEXT) | instid1(VALU_DEP_2)
	v_add_lshl_u32 v22, v20, v80, 2
	v_xor_b32_e32 v20, s21, v21
	ds_load_b32 v95, v22 offset:1056
	v_add_nc_u32_e32 v98, 0x420, v22
	; wave barrier
	v_and_b32_e32 v20, exec_lo, v20
	s_delay_alu instid0(VALU_DEP_1) | instskip(SKIP_1) | instid1(VALU_DEP_2)
	v_mbcnt_lo_u32_b32 v96, v20, 0
	v_cmp_ne_u32_e64 s22, 0, v20
	v_cmp_eq_u32_e64 s21, 0, v96
	s_delay_alu instid0(VALU_DEP_1) | instskip(NEXT) | instid1(SALU_CYCLE_1)
	s_and_b32 s22, s22, s21
	s_and_saveexec_b32 s21, s22
	s_cbranch_execz .LBB1540_84
; %bb.83:                               ;   in Loop: Header=BB1540_66 Depth=2
	s_waitcnt lgkmcnt(0)
	v_bcnt_u32_b32 v20, v20, v95
	ds_store_b32 v98, v20
.LBB1540_84:                            ;   in Loop: Header=BB1540_66 Depth=2
	s_or_b32 exec_lo, exec_lo, s21
	s_xor_b32 s20, s20, -1
	s_delay_alu instid0(SALU_CYCLE_1) | instskip(NEXT) | instid1(VALU_DEP_1)
	v_cndmask_b32_e64 v97, 0, 1, s20
	; wave barrier
	v_lshrrev_b32_e32 v20, s30, v97
	s_delay_alu instid0(VALU_DEP_1) | instskip(NEXT) | instid1(VALU_DEP_1)
	v_and_b32_e32 v20, s31, v20
	v_add_co_u32 v21, s20, v20, -1
	s_delay_alu instid0(VALU_DEP_1) | instskip(SKIP_1) | instid1(VALU_DEP_2)
	v_cndmask_b32_e64 v22, 0, 1, s20
	v_mul_u32_u24_e32 v20, 9, v20
	v_cmp_ne_u32_e64 s20, 0, v22
	s_delay_alu instid0(VALU_DEP_2) | instskip(NEXT) | instid1(VALU_DEP_2)
	v_add_lshl_u32 v22, v20, v80, 2
	v_xor_b32_e32 v20, s20, v21
	ds_load_b32 v99, v22 offset:1056
	v_add_nc_u32_e32 v103, 0x420, v22
	; wave barrier
	v_and_b32_e32 v20, exec_lo, v20
	s_delay_alu instid0(VALU_DEP_1) | instskip(SKIP_1) | instid1(VALU_DEP_2)
	v_mbcnt_lo_u32_b32 v100, v20, 0
	v_cmp_ne_u32_e64 s21, 0, v20
	v_cmp_eq_u32_e64 s20, 0, v100
	s_delay_alu instid0(VALU_DEP_1) | instskip(NEXT) | instid1(SALU_CYCLE_1)
	s_and_b32 s21, s21, s20
	s_and_saveexec_b32 s20, s21
	s_cbranch_execz .LBB1540_86
; %bb.85:                               ;   in Loop: Header=BB1540_66 Depth=2
	s_waitcnt lgkmcnt(0)
	v_bcnt_u32_b32 v20, v20, v99
	ds_store_b32 v103, v20
.LBB1540_86:                            ;   in Loop: Header=BB1540_66 Depth=2
	;; [unrolled: 33-line block ×6, first 2 shown]
	s_or_b32 exec_lo, exec_lo, s16
	s_xor_b32 s16, vcc_lo, -1
	s_delay_alu instid0(SALU_CYCLE_1) | instskip(NEXT) | instid1(VALU_DEP_1)
	v_cndmask_b32_e64 v117, 0, 1, s16
	; wave barrier
	v_lshrrev_b32_e32 v20, s30, v117
	s_delay_alu instid0(VALU_DEP_1) | instskip(NEXT) | instid1(VALU_DEP_1)
	v_and_b32_e32 v20, s31, v20
	v_add_co_u32 v21, s16, v20, -1
	s_delay_alu instid0(VALU_DEP_1) | instskip(SKIP_1) | instid1(VALU_DEP_2)
	v_cndmask_b32_e64 v22, 0, 1, s16
	v_mul_u32_u24_e32 v20, 9, v20
	v_cmp_ne_u32_e32 vcc_lo, 0, v22
	s_delay_alu instid0(VALU_DEP_2) | instskip(SKIP_4) | instid1(VALU_DEP_1)
	v_add_lshl_u32 v22, v20, v80, 2
	v_xor_b32_e32 v20, vcc_lo, v21
	ds_load_b32 v118, v22 offset:1056
	v_add_nc_u32_e32 v121, 0x420, v22
	; wave barrier
	v_and_b32_e32 v20, exec_lo, v20
	v_mbcnt_lo_u32_b32 v120, v20, 0
	v_cmp_ne_u32_e64 s16, 0, v20
	s_delay_alu instid0(VALU_DEP_2) | instskip(NEXT) | instid1(VALU_DEP_2)
	v_cmp_eq_u32_e32 vcc_lo, 0, v120
	s_and_b32 s17, s16, vcc_lo
	s_delay_alu instid0(SALU_CYCLE_1)
	s_and_saveexec_b32 s16, s17
	s_cbranch_execz .LBB1540_96
; %bb.95:                               ;   in Loop: Header=BB1540_66 Depth=2
	s_waitcnt lgkmcnt(0)
	v_bcnt_u32_b32 v20, v20, v118
	ds_store_b32 v121, v20
.LBB1540_96:                            ;   in Loop: Header=BB1540_66 Depth=2
	s_or_b32 exec_lo, exec_lo, s16
	; wave barrier
	s_waitcnt lgkmcnt(0)
	s_barrier
	buffer_gl0_inv
	ds_load_b32 v122, v46 offset:1056
	ds_load_2addr_b32 v[26:27], v47 offset0:1 offset1:2
	ds_load_2addr_b32 v[24:25], v47 offset0:3 offset1:4
	;; [unrolled: 1-line block ×4, first 2 shown]
	s_waitcnt lgkmcnt(3)
	v_add3_u32 v123, v26, v122, v27
	s_waitcnt lgkmcnt(2)
	s_delay_alu instid0(VALU_DEP_1) | instskip(SKIP_1) | instid1(VALU_DEP_1)
	v_add3_u32 v123, v123, v24, v25
	s_waitcnt lgkmcnt(1)
	v_add3_u32 v123, v123, v20, v21
	s_waitcnt lgkmcnt(0)
	s_delay_alu instid0(VALU_DEP_1) | instskip(NEXT) | instid1(VALU_DEP_1)
	v_add3_u32 v23, v123, v22, v23
	v_mov_b32_dpp v123, v23 row_shr:1 row_mask:0xf bank_mask:0xf
	s_delay_alu instid0(VALU_DEP_1) | instskip(NEXT) | instid1(VALU_DEP_1)
	v_cndmask_b32_e64 v123, v123, 0, s0
	v_add_nc_u32_e32 v23, v123, v23
	s_delay_alu instid0(VALU_DEP_1) | instskip(NEXT) | instid1(VALU_DEP_1)
	v_mov_b32_dpp v123, v23 row_shr:2 row_mask:0xf bank_mask:0xf
	v_cndmask_b32_e64 v123, 0, v123, s1
	s_delay_alu instid0(VALU_DEP_1) | instskip(NEXT) | instid1(VALU_DEP_1)
	v_add_nc_u32_e32 v23, v23, v123
	v_mov_b32_dpp v123, v23 row_shr:4 row_mask:0xf bank_mask:0xf
	s_delay_alu instid0(VALU_DEP_1) | instskip(NEXT) | instid1(VALU_DEP_1)
	v_cndmask_b32_e64 v123, 0, v123, s8
	v_add_nc_u32_e32 v23, v23, v123
	s_delay_alu instid0(VALU_DEP_1) | instskip(NEXT) | instid1(VALU_DEP_1)
	v_mov_b32_dpp v123, v23 row_shr:8 row_mask:0xf bank_mask:0xf
	v_cndmask_b32_e64 v123, 0, v123, s9
	s_delay_alu instid0(VALU_DEP_1) | instskip(SKIP_3) | instid1(VALU_DEP_1)
	v_add_nc_u32_e32 v23, v23, v123
	ds_swizzle_b32 v123, v23 offset:swizzle(BROADCAST,32,15)
	s_waitcnt lgkmcnt(0)
	v_cndmask_b32_e64 v123, v123, 0, s10
	v_add_nc_u32_e32 v23, v23, v123
	s_and_saveexec_b32 s16, s3
	s_cbranch_execz .LBB1540_98
; %bb.97:                               ;   in Loop: Header=BB1540_66 Depth=2
	ds_store_b32 v38, v23 offset:1024
.LBB1540_98:                            ;   in Loop: Header=BB1540_66 Depth=2
	s_or_b32 exec_lo, exec_lo, s16
	s_waitcnt lgkmcnt(0)
	s_barrier
	buffer_gl0_inv
	s_and_saveexec_b32 s16, s4
	s_cbranch_execz .LBB1540_100
; %bb.99:                               ;   in Loop: Header=BB1540_66 Depth=2
	v_add_nc_u32_e32 v123, v46, v48
	ds_load_b32 v124, v123 offset:1024
	s_waitcnt lgkmcnt(0)
	v_mov_b32_dpp v125, v124 row_shr:1 row_mask:0xf bank_mask:0xf
	s_delay_alu instid0(VALU_DEP_1) | instskip(NEXT) | instid1(VALU_DEP_1)
	v_cndmask_b32_e64 v125, v125, 0, s12
	v_add_nc_u32_e32 v124, v125, v124
	s_delay_alu instid0(VALU_DEP_1) | instskip(NEXT) | instid1(VALU_DEP_1)
	v_mov_b32_dpp v125, v124 row_shr:2 row_mask:0xf bank_mask:0xf
	v_cndmask_b32_e64 v125, 0, v125, s13
	s_delay_alu instid0(VALU_DEP_1) | instskip(NEXT) | instid1(VALU_DEP_1)
	v_add_nc_u32_e32 v124, v124, v125
	v_mov_b32_dpp v125, v124 row_shr:4 row_mask:0xf bank_mask:0xf
	s_delay_alu instid0(VALU_DEP_1) | instskip(NEXT) | instid1(VALU_DEP_1)
	v_cndmask_b32_e64 v125, 0, v125, s14
	v_add_nc_u32_e32 v124, v124, v125
	ds_store_b32 v123, v124 offset:1024
.LBB1540_100:                           ;   in Loop: Header=BB1540_66 Depth=2
	s_or_b32 exec_lo, exec_lo, s16
	v_mov_b32_e32 v123, 0
	s_waitcnt lgkmcnt(0)
	s_barrier
	buffer_gl0_inv
	s_and_saveexec_b32 s16, s5
	s_cbranch_execz .LBB1540_102
; %bb.101:                              ;   in Loop: Header=BB1540_66 Depth=2
	ds_load_b32 v123, v38 offset:1020
.LBB1540_102:                           ;   in Loop: Header=BB1540_66 Depth=2
	s_or_b32 exec_lo, exec_lo, s16
	s_waitcnt lgkmcnt(0)
	v_add_nc_u32_e32 v23, v123, v23
	ds_bpermute_b32 v23, v69, v23
	s_waitcnt lgkmcnt(0)
	v_cndmask_b32_e64 v23, v23, v123, s11
	s_delay_alu instid0(VALU_DEP_1) | instskip(NEXT) | instid1(VALU_DEP_1)
	v_cndmask_b32_e64 v23, v23, 0, s6
	v_add_nc_u32_e32 v122, v23, v122
	s_delay_alu instid0(VALU_DEP_1) | instskip(NEXT) | instid1(VALU_DEP_1)
	v_add_nc_u32_e32 v26, v122, v26
	v_add_nc_u32_e32 v27, v26, v27
	s_delay_alu instid0(VALU_DEP_1) | instskip(NEXT) | instid1(VALU_DEP_1)
	v_add_nc_u32_e32 v24, v27, v24
	v_add_nc_u32_e32 v25, v24, v25
	s_delay_alu instid0(VALU_DEP_1) | instskip(NEXT) | instid1(VALU_DEP_1)
	v_add_nc_u32_e32 v20, v25, v20
	v_add_nc_u32_e32 v21, v20, v21
	s_delay_alu instid0(VALU_DEP_1)
	v_add_nc_u32_e32 v22, v21, v22
	ds_store_b32 v46, v23 offset:1056
	ds_store_2addr_b32 v47, v122, v26 offset0:1 offset1:2
	ds_store_2addr_b32 v47, v27, v24 offset0:3 offset1:4
	;; [unrolled: 1-line block ×4, first 2 shown]
	v_mov_b32_e32 v22, 0x800
	s_waitcnt lgkmcnt(0)
	s_barrier
	buffer_gl0_inv
	ds_load_b32 v20, v98
	ds_load_b32 v21, v103
	;; [unrolled: 1-line block ×8, first 2 shown]
	ds_load_b32 v27, v46 offset:1056
	s_and_saveexec_b32 s16, s7
	s_cbranch_execz .LBB1540_104
; %bb.103:                              ;   in Loop: Header=BB1540_66 Depth=2
	ds_load_b32 v22, v49 offset:1056
.LBB1540_104:                           ;   in Loop: Header=BB1540_66 Depth=2
	s_or_b32 exec_lo, exec_lo, s16
	s_waitcnt lgkmcnt(0)
	s_barrier
	buffer_gl0_inv
	s_and_saveexec_b32 s16, s2
	s_cbranch_execz .LBB1540_106
; %bb.105:                              ;   in Loop: Header=BB1540_66 Depth=2
	ds_load_b32 v94, v28
	s_waitcnt lgkmcnt(0)
	v_sub_nc_u32_e32 v27, v94, v27
	ds_store_b32 v28, v27
.LBB1540_106:                           ;   in Loop: Header=BB1540_66 Depth=2
	s_or_b32 exec_lo, exec_lo, s16
	v_add_nc_u32_e32 v98, v26, v92
	v_add3_u32 v94, v96, v95, v20
	v_add3_u32 v92, v100, v99, v21
	;; [unrolled: 1-line block ×7, first 2 shown]
	v_cmp_lt_u32_e64 s21, v1, v2
	ds_store_b8 v98, v91 offset:1024
	ds_store_b8 v94, v93 offset:1024
	ds_store_b8 v92, v97 offset:1024
	ds_store_b8 v27, v101 offset:1024
	ds_store_b8 v26, v105 offset:1024
	ds_store_b8 v25, v109 offset:1024
	ds_store_b8 v24, v113 offset:1024
	ds_store_b8 v23, v117 offset:1024
	s_waitcnt lgkmcnt(0)
	s_barrier
	buffer_gl0_inv
	s_and_saveexec_b32 s16, s21
	s_cbranch_execz .LBB1540_114
; %bb.107:                              ;   in Loop: Header=BB1540_66 Depth=2
	ds_load_u8 v20, v1 offset:1024
	s_waitcnt lgkmcnt(0)
	v_and_b32_e32 v21, 1, v20
	v_xor_b32_e32 v20, 1, v20
	s_delay_alu instid0(VALU_DEP_2) | instskip(NEXT) | instid1(VALU_DEP_1)
	v_lshrrev_b32_e32 v21, s30, v21
	v_and_b32_e32 v21, s31, v21
	s_delay_alu instid0(VALU_DEP_1)
	v_lshlrev_b32_e32 v21, 2, v21
	ds_load_b32 v21, v21
	s_waitcnt lgkmcnt(0)
	v_add_nc_u32_e32 v21, v21, v1
	global_store_b8 v21, v20, s[38:39]
	s_or_b32 exec_lo, exec_lo, s16
	v_cmp_lt_u32_e64 s22, v29, v2
	s_delay_alu instid0(VALU_DEP_1)
	s_and_saveexec_b32 s16, s22
	s_cbranch_execnz .LBB1540_115
.LBB1540_108:                           ;   in Loop: Header=BB1540_66 Depth=2
	s_or_b32 exec_lo, exec_lo, s16
	v_cmp_lt_u32_e64 s20, v30, v2
	s_delay_alu instid0(VALU_DEP_1)
	s_and_saveexec_b32 s16, s20
	s_cbranch_execz .LBB1540_116
.LBB1540_109:                           ;   in Loop: Header=BB1540_66 Depth=2
	ds_load_u8 v20, v35 offset:512
	s_waitcnt lgkmcnt(0)
	v_and_b32_e32 v21, 1, v20
	v_xor_b32_e32 v20, 1, v20
	s_delay_alu instid0(VALU_DEP_2) | instskip(NEXT) | instid1(VALU_DEP_1)
	v_lshrrev_b32_e32 v21, s30, v21
	v_and_b32_e32 v21, s31, v21
	s_delay_alu instid0(VALU_DEP_1)
	v_lshlrev_b32_e32 v21, 2, v21
	ds_load_b32 v21, v21
	s_waitcnt lgkmcnt(0)
	v_add_nc_u32_e32 v21, v21, v30
	global_store_b8 v21, v20, s[38:39]
	s_or_b32 exec_lo, exec_lo, s16
	v_cmp_lt_u32_e64 s19, v31, v2
	s_delay_alu instid0(VALU_DEP_1)
	s_and_saveexec_b32 s16, s19
	s_cbranch_execnz .LBB1540_117
.LBB1540_110:                           ;   in Loop: Header=BB1540_66 Depth=2
	s_or_b32 exec_lo, exec_lo, s16
	v_cmp_lt_u32_e64 s18, v35, v2
	s_delay_alu instid0(VALU_DEP_1)
	s_and_saveexec_b32 s16, s18
	s_cbranch_execz .LBB1540_118
.LBB1540_111:                           ;   in Loop: Header=BB1540_66 Depth=2
	ds_load_u8 v20, v35 offset:1024
	s_waitcnt lgkmcnt(0)
	v_and_b32_e32 v21, 1, v20
	v_xor_b32_e32 v20, 1, v20
	s_delay_alu instid0(VALU_DEP_2) | instskip(NEXT) | instid1(VALU_DEP_1)
	v_lshrrev_b32_e32 v21, s30, v21
	v_and_b32_e32 v21, s31, v21
	s_delay_alu instid0(VALU_DEP_1)
	v_lshlrev_b32_e32 v21, 2, v21
	ds_load_b32 v21, v21
	s_waitcnt lgkmcnt(0)
	v_add_nc_u32_e32 v21, v21, v35
	global_store_b8 v21, v20, s[38:39]
	s_or_b32 exec_lo, exec_lo, s16
	v_cmp_lt_u32_e64 s17, v36, v2
	s_delay_alu instid0(VALU_DEP_1)
	s_and_saveexec_b32 s16, s17
	s_cbranch_execnz .LBB1540_119
.LBB1540_112:                           ;   in Loop: Header=BB1540_66 Depth=2
	s_or_b32 exec_lo, exec_lo, s16
	v_cmp_lt_u32_e64 s16, v37, v2
	s_delay_alu instid0(VALU_DEP_1)
	s_and_saveexec_b32 s23, s16
	s_cbranch_execz .LBB1540_120
.LBB1540_113:                           ;   in Loop: Header=BB1540_66 Depth=2
	ds_load_u8 v20, v35 offset:1536
	s_waitcnt lgkmcnt(0)
	v_and_b32_e32 v21, 1, v20
	v_xor_b32_e32 v20, 1, v20
	s_delay_alu instid0(VALU_DEP_2) | instskip(NEXT) | instid1(VALU_DEP_1)
	v_lshrrev_b32_e32 v21, s30, v21
	v_and_b32_e32 v21, s31, v21
	s_delay_alu instid0(VALU_DEP_1)
	v_lshlrev_b32_e32 v21, 2, v21
	ds_load_b32 v21, v21
	s_waitcnt lgkmcnt(0)
	v_add_nc_u32_e32 v21, v21, v37
	global_store_b8 v21, v20, s[38:39]
	s_or_b32 exec_lo, exec_lo, s23
	v_cmp_lt_u32_e32 vcc_lo, v39, v2
	s_and_saveexec_b32 s23, vcc_lo
	s_cbranch_execnz .LBB1540_121
	s_branch .LBB1540_122
.LBB1540_114:                           ;   in Loop: Header=BB1540_66 Depth=2
	s_or_b32 exec_lo, exec_lo, s16
	v_cmp_lt_u32_e64 s22, v29, v2
	s_delay_alu instid0(VALU_DEP_1)
	s_and_saveexec_b32 s16, s22
	s_cbranch_execz .LBB1540_108
.LBB1540_115:                           ;   in Loop: Header=BB1540_66 Depth=2
	ds_load_u8 v20, v35 offset:256
	s_waitcnt lgkmcnt(0)
	v_and_b32_e32 v21, 1, v20
	v_xor_b32_e32 v20, 1, v20
	s_delay_alu instid0(VALU_DEP_2) | instskip(NEXT) | instid1(VALU_DEP_1)
	v_lshrrev_b32_e32 v21, s30, v21
	v_and_b32_e32 v21, s31, v21
	s_delay_alu instid0(VALU_DEP_1)
	v_lshlrev_b32_e32 v21, 2, v21
	ds_load_b32 v21, v21
	s_waitcnt lgkmcnt(0)
	v_add_nc_u32_e32 v21, v21, v29
	global_store_b8 v21, v20, s[38:39]
	s_or_b32 exec_lo, exec_lo, s16
	v_cmp_lt_u32_e64 s20, v30, v2
	s_delay_alu instid0(VALU_DEP_1)
	s_and_saveexec_b32 s16, s20
	s_cbranch_execnz .LBB1540_109
.LBB1540_116:                           ;   in Loop: Header=BB1540_66 Depth=2
	s_or_b32 exec_lo, exec_lo, s16
	v_cmp_lt_u32_e64 s19, v31, v2
	s_delay_alu instid0(VALU_DEP_1)
	s_and_saveexec_b32 s16, s19
	s_cbranch_execz .LBB1540_110
.LBB1540_117:                           ;   in Loop: Header=BB1540_66 Depth=2
	ds_load_u8 v20, v35 offset:768
	s_waitcnt lgkmcnt(0)
	v_and_b32_e32 v21, 1, v20
	v_xor_b32_e32 v20, 1, v20
	s_delay_alu instid0(VALU_DEP_2) | instskip(NEXT) | instid1(VALU_DEP_1)
	v_lshrrev_b32_e32 v21, s30, v21
	v_and_b32_e32 v21, s31, v21
	s_delay_alu instid0(VALU_DEP_1)
	v_lshlrev_b32_e32 v21, 2, v21
	ds_load_b32 v21, v21
	s_waitcnt lgkmcnt(0)
	v_add_nc_u32_e32 v21, v21, v31
	global_store_b8 v21, v20, s[38:39]
	s_or_b32 exec_lo, exec_lo, s16
	v_cmp_lt_u32_e64 s18, v35, v2
	s_delay_alu instid0(VALU_DEP_1)
	s_and_saveexec_b32 s16, s18
	s_cbranch_execnz .LBB1540_111
.LBB1540_118:                           ;   in Loop: Header=BB1540_66 Depth=2
	s_or_b32 exec_lo, exec_lo, s16
	v_cmp_lt_u32_e64 s17, v36, v2
	s_delay_alu instid0(VALU_DEP_1)
	s_and_saveexec_b32 s16, s17
	s_cbranch_execz .LBB1540_112
.LBB1540_119:                           ;   in Loop: Header=BB1540_66 Depth=2
	ds_load_u8 v20, v35 offset:1280
	s_waitcnt lgkmcnt(0)
	v_and_b32_e32 v21, 1, v20
	v_xor_b32_e32 v20, 1, v20
	s_delay_alu instid0(VALU_DEP_2) | instskip(NEXT) | instid1(VALU_DEP_1)
	v_lshrrev_b32_e32 v21, s30, v21
	v_and_b32_e32 v21, s31, v21
	s_delay_alu instid0(VALU_DEP_1)
	v_lshlrev_b32_e32 v21, 2, v21
	ds_load_b32 v21, v21
	s_waitcnt lgkmcnt(0)
	v_add_nc_u32_e32 v21, v21, v36
	global_store_b8 v21, v20, s[38:39]
	s_or_b32 exec_lo, exec_lo, s16
	v_cmp_lt_u32_e64 s16, v37, v2
	s_delay_alu instid0(VALU_DEP_1)
	s_and_saveexec_b32 s23, s16
	s_cbranch_execnz .LBB1540_113
.LBB1540_120:                           ;   in Loop: Header=BB1540_66 Depth=2
	s_or_b32 exec_lo, exec_lo, s23
	v_cmp_lt_u32_e32 vcc_lo, v39, v2
	s_and_saveexec_b32 s23, vcc_lo
	s_cbranch_execz .LBB1540_122
.LBB1540_121:                           ;   in Loop: Header=BB1540_66 Depth=2
	ds_load_u8 v20, v35 offset:1792
	s_waitcnt lgkmcnt(0)
	v_and_b32_e32 v21, 1, v20
	v_xor_b32_e32 v20, 1, v20
	s_delay_alu instid0(VALU_DEP_2) | instskip(NEXT) | instid1(VALU_DEP_1)
	v_lshrrev_b32_e32 v21, s30, v21
	v_and_b32_e32 v21, s31, v21
	s_delay_alu instid0(VALU_DEP_1)
	v_lshlrev_b32_e32 v21, 2, v21
	ds_load_b32 v21, v21
	s_waitcnt lgkmcnt(0)
	v_add_nc_u32_e32 v21, v21, v39
	global_store_b8 v21, v20, s[38:39]
.LBB1540_122:                           ;   in Loop: Header=BB1540_66 Depth=2
	s_or_b32 exec_lo, exec_lo, s23
	s_lshl_b64 s[52:53], s[24:25], 3
	s_delay_alu instid0(SALU_CYCLE_1) | instskip(NEXT) | instid1(VALU_DEP_1)
	v_add_co_u32 v20, s23, v71, s52
	v_add_co_ci_u32_e64 v21, s23, s53, v72, s23
	v_cmp_lt_u32_e64 s23, v70, v2
	s_delay_alu instid0(VALU_DEP_1) | instskip(NEXT) | instid1(SALU_CYCLE_1)
	s_and_saveexec_b32 s24, s23
	s_xor_b32 s23, exec_lo, s24
	s_cbranch_execz .LBB1540_138
; %bb.123:                              ;   in Loop: Header=BB1540_66 Depth=2
	global_load_b64 v[18:19], v[20:21], off
	s_or_b32 exec_lo, exec_lo, s23
	s_delay_alu instid0(SALU_CYCLE_1)
	s_mov_b32 s24, exec_lo
	v_cmpx_lt_u32_e64 v73, v2
	s_cbranch_execnz .LBB1540_139
.LBB1540_124:                           ;   in Loop: Header=BB1540_66 Depth=2
	s_or_b32 exec_lo, exec_lo, s24
	s_delay_alu instid0(SALU_CYCLE_1)
	s_mov_b32 s24, exec_lo
	v_cmpx_lt_u32_e64 v74, v2
	s_cbranch_execz .LBB1540_140
.LBB1540_125:                           ;   in Loop: Header=BB1540_66 Depth=2
	global_load_b64 v[14:15], v[20:21], off offset:512
	s_or_b32 exec_lo, exec_lo, s24
	s_delay_alu instid0(SALU_CYCLE_1)
	s_mov_b32 s24, exec_lo
	v_cmpx_lt_u32_e64 v75, v2
	s_cbranch_execnz .LBB1540_141
.LBB1540_126:                           ;   in Loop: Header=BB1540_66 Depth=2
	s_or_b32 exec_lo, exec_lo, s24
	s_delay_alu instid0(SALU_CYCLE_1)
	s_mov_b32 s24, exec_lo
	v_cmpx_lt_u32_e64 v76, v2
	s_cbranch_execz .LBB1540_142
.LBB1540_127:                           ;   in Loop: Header=BB1540_66 Depth=2
	global_load_b64 v[10:11], v[20:21], off offset:1024
	s_or_b32 exec_lo, exec_lo, s24
	s_delay_alu instid0(SALU_CYCLE_1)
	s_mov_b32 s24, exec_lo
	v_cmpx_lt_u32_e64 v77, v2
	s_cbranch_execnz .LBB1540_143
.LBB1540_128:                           ;   in Loop: Header=BB1540_66 Depth=2
	s_or_b32 exec_lo, exec_lo, s24
	s_delay_alu instid0(SALU_CYCLE_1)
	s_mov_b32 s24, exec_lo
	v_cmpx_lt_u32_e64 v78, v2
	s_cbranch_execz .LBB1540_144
.LBB1540_129:                           ;   in Loop: Header=BB1540_66 Depth=2
	global_load_b64 v[6:7], v[20:21], off offset:1536
	s_or_b32 exec_lo, exec_lo, s24
	s_delay_alu instid0(SALU_CYCLE_1)
	s_mov_b32 s24, exec_lo
	v_cmpx_lt_u32_e64 v79, v2
	s_cbranch_execnz .LBB1540_145
.LBB1540_130:                           ;   in Loop: Header=BB1540_66 Depth=2
	s_or_b32 exec_lo, exec_lo, s24
	s_and_saveexec_b32 s23, s21
	s_cbranch_execz .LBB1540_146
.LBB1540_131:                           ;   in Loop: Header=BB1540_66 Depth=2
	ds_load_u8 v2, v1 offset:1024
	s_waitcnt lgkmcnt(0)
	v_lshrrev_b32_e32 v2, s30, v2
	s_delay_alu instid0(VALU_DEP_1)
	v_and_b32_e32 v90, s31, v2
	s_or_b32 exec_lo, exec_lo, s23
	s_and_saveexec_b32 s23, s22
	s_cbranch_execnz .LBB1540_147
.LBB1540_132:                           ;   in Loop: Header=BB1540_66 Depth=2
	s_or_b32 exec_lo, exec_lo, s23
	s_and_saveexec_b32 s23, s20
	s_cbranch_execz .LBB1540_148
.LBB1540_133:                           ;   in Loop: Header=BB1540_66 Depth=2
	ds_load_u8 v2, v35 offset:512
	s_waitcnt lgkmcnt(0)
	v_lshrrev_b32_e32 v2, s30, v2
	s_delay_alu instid0(VALU_DEP_1)
	v_and_b32_e32 v88, s31, v2
	s_or_b32 exec_lo, exec_lo, s23
	s_and_saveexec_b32 s23, s19
	s_cbranch_execnz .LBB1540_149
.LBB1540_134:                           ;   in Loop: Header=BB1540_66 Depth=2
	s_or_b32 exec_lo, exec_lo, s23
	s_and_saveexec_b32 s23, s18
	s_cbranch_execz .LBB1540_150
.LBB1540_135:                           ;   in Loop: Header=BB1540_66 Depth=2
	ds_load_u8 v2, v35 offset:1024
	s_waitcnt lgkmcnt(0)
	v_lshrrev_b32_e32 v2, s30, v2
	s_delay_alu instid0(VALU_DEP_1)
	v_and_b32_e32 v86, s31, v2
	s_or_b32 exec_lo, exec_lo, s23
	s_and_saveexec_b32 s23, s17
	s_cbranch_execnz .LBB1540_151
.LBB1540_136:                           ;   in Loop: Header=BB1540_66 Depth=2
	s_or_b32 exec_lo, exec_lo, s23
	s_and_saveexec_b32 s23, s16
	s_cbranch_execz .LBB1540_152
.LBB1540_137:                           ;   in Loop: Header=BB1540_66 Depth=2
	ds_load_u8 v2, v35 offset:1536
	s_waitcnt lgkmcnt(0)
	v_lshrrev_b32_e32 v2, s30, v2
	s_delay_alu instid0(VALU_DEP_1)
	v_and_b32_e32 v84, s31, v2
	s_or_b32 exec_lo, exec_lo, s23
	s_and_saveexec_b32 s23, vcc_lo
	s_cbranch_execnz .LBB1540_153
	s_branch .LBB1540_154
.LBB1540_138:                           ;   in Loop: Header=BB1540_66 Depth=2
	s_or_b32 exec_lo, exec_lo, s23
	s_delay_alu instid0(SALU_CYCLE_1)
	s_mov_b32 s24, exec_lo
	v_cmpx_lt_u32_e64 v73, v2
	s_cbranch_execz .LBB1540_124
.LBB1540_139:                           ;   in Loop: Header=BB1540_66 Depth=2
	global_load_b64 v[16:17], v[20:21], off offset:256
	s_or_b32 exec_lo, exec_lo, s24
	s_delay_alu instid0(SALU_CYCLE_1)
	s_mov_b32 s24, exec_lo
	v_cmpx_lt_u32_e64 v74, v2
	s_cbranch_execnz .LBB1540_125
.LBB1540_140:                           ;   in Loop: Header=BB1540_66 Depth=2
	s_or_b32 exec_lo, exec_lo, s24
	s_delay_alu instid0(SALU_CYCLE_1)
	s_mov_b32 s24, exec_lo
	v_cmpx_lt_u32_e64 v75, v2
	s_cbranch_execz .LBB1540_126
.LBB1540_141:                           ;   in Loop: Header=BB1540_66 Depth=2
	global_load_b64 v[12:13], v[20:21], off offset:768
	s_or_b32 exec_lo, exec_lo, s24
	s_delay_alu instid0(SALU_CYCLE_1)
	s_mov_b32 s24, exec_lo
	v_cmpx_lt_u32_e64 v76, v2
	s_cbranch_execnz .LBB1540_127
.LBB1540_142:                           ;   in Loop: Header=BB1540_66 Depth=2
	s_or_b32 exec_lo, exec_lo, s24
	s_delay_alu instid0(SALU_CYCLE_1)
	s_mov_b32 s24, exec_lo
	v_cmpx_lt_u32_e64 v77, v2
	s_cbranch_execz .LBB1540_128
.LBB1540_143:                           ;   in Loop: Header=BB1540_66 Depth=2
	global_load_b64 v[8:9], v[20:21], off offset:1280
	s_or_b32 exec_lo, exec_lo, s24
	s_delay_alu instid0(SALU_CYCLE_1)
	s_mov_b32 s24, exec_lo
	v_cmpx_lt_u32_e64 v78, v2
	s_cbranch_execnz .LBB1540_129
.LBB1540_144:                           ;   in Loop: Header=BB1540_66 Depth=2
	s_or_b32 exec_lo, exec_lo, s24
	s_delay_alu instid0(SALU_CYCLE_1)
	s_mov_b32 s24, exec_lo
	v_cmpx_lt_u32_e64 v79, v2
	s_cbranch_execz .LBB1540_130
.LBB1540_145:                           ;   in Loop: Header=BB1540_66 Depth=2
	global_load_b64 v[4:5], v[20:21], off offset:1792
	s_or_b32 exec_lo, exec_lo, s24
	s_and_saveexec_b32 s23, s21
	s_cbranch_execnz .LBB1540_131
.LBB1540_146:                           ;   in Loop: Header=BB1540_66 Depth=2
	s_or_b32 exec_lo, exec_lo, s23
	s_and_saveexec_b32 s23, s22
	s_cbranch_execz .LBB1540_132
.LBB1540_147:                           ;   in Loop: Header=BB1540_66 Depth=2
	ds_load_u8 v2, v35 offset:256
	s_waitcnt lgkmcnt(0)
	v_lshrrev_b32_e32 v2, s30, v2
	s_delay_alu instid0(VALU_DEP_1)
	v_and_b32_e32 v89, s31, v2
	s_or_b32 exec_lo, exec_lo, s23
	s_and_saveexec_b32 s23, s20
	s_cbranch_execnz .LBB1540_133
.LBB1540_148:                           ;   in Loop: Header=BB1540_66 Depth=2
	s_or_b32 exec_lo, exec_lo, s23
	s_and_saveexec_b32 s23, s19
	s_cbranch_execz .LBB1540_134
.LBB1540_149:                           ;   in Loop: Header=BB1540_66 Depth=2
	ds_load_u8 v2, v35 offset:768
	s_waitcnt lgkmcnt(0)
	v_lshrrev_b32_e32 v2, s30, v2
	s_delay_alu instid0(VALU_DEP_1)
	v_and_b32_e32 v87, s31, v2
	s_or_b32 exec_lo, exec_lo, s23
	s_and_saveexec_b32 s23, s18
	s_cbranch_execnz .LBB1540_135
.LBB1540_150:                           ;   in Loop: Header=BB1540_66 Depth=2
	s_or_b32 exec_lo, exec_lo, s23
	s_and_saveexec_b32 s23, s17
	s_cbranch_execz .LBB1540_136
.LBB1540_151:                           ;   in Loop: Header=BB1540_66 Depth=2
	ds_load_u8 v2, v35 offset:1280
	s_waitcnt lgkmcnt(0)
	v_lshrrev_b32_e32 v2, s30, v2
	s_delay_alu instid0(VALU_DEP_1)
	v_and_b32_e32 v85, s31, v2
	s_or_b32 exec_lo, exec_lo, s23
	s_and_saveexec_b32 s23, s16
	s_cbranch_execnz .LBB1540_137
.LBB1540_152:                           ;   in Loop: Header=BB1540_66 Depth=2
	s_or_b32 exec_lo, exec_lo, s23
	s_and_saveexec_b32 s23, vcc_lo
	s_cbranch_execz .LBB1540_154
.LBB1540_153:                           ;   in Loop: Header=BB1540_66 Depth=2
	ds_load_u8 v2, v35 offset:1792
	s_waitcnt lgkmcnt(0)
	v_lshrrev_b32_e32 v2, s30, v2
	s_delay_alu instid0(VALU_DEP_1)
	v_and_b32_e32 v83, s31, v2
.LBB1540_154:                           ;   in Loop: Header=BB1540_66 Depth=2
	s_or_b32 exec_lo, exec_lo, s23
	v_lshlrev_b32_e32 v2, 3, v98
	v_lshlrev_b32_e32 v20, 3, v94
	;; [unrolled: 1-line block ×3, first 2 shown]
	s_waitcnt vmcnt(0)
	s_waitcnt_vscnt null, 0x0
	s_barrier
	buffer_gl0_inv
	ds_store_b64 v2, v[18:19] offset:1024
	ds_store_b64 v20, v[16:17] offset:1024
	;; [unrolled: 1-line block ×3, first 2 shown]
	v_lshlrev_b32_e32 v2, 3, v27
	v_lshlrev_b32_e32 v20, 3, v26
	;; [unrolled: 1-line block ×5, first 2 shown]
	ds_store_b64 v2, v[12:13] offset:1024
	ds_store_b64 v20, v[10:11] offset:1024
	;; [unrolled: 1-line block ×5, first 2 shown]
	s_waitcnt lgkmcnt(0)
	s_barrier
	buffer_gl0_inv
	s_and_saveexec_b32 s23, s21
	s_cbranch_execz .LBB1540_162
; %bb.155:                              ;   in Loop: Header=BB1540_66 Depth=2
	v_lshlrev_b32_e32 v2, 2, v90
	v_add_nc_u32_e32 v20, v1, v52
	ds_load_b32 v2, v2
	ds_load_b64 v[20:21], v20 offset:1024
	s_waitcnt lgkmcnt(1)
	v_add_nc_u32_e32 v2, v2, v1
	s_delay_alu instid0(VALU_DEP_1) | instskip(NEXT) | instid1(VALU_DEP_1)
	v_lshlrev_b64 v[23:24], 3, v[2:3]
	v_add_co_u32 v23, s21, s44, v23
	s_delay_alu instid0(VALU_DEP_1)
	v_add_co_ci_u32_e64 v24, s21, s45, v24, s21
	s_waitcnt lgkmcnt(0)
	global_store_b64 v[23:24], v[20:21], off
	s_or_b32 exec_lo, exec_lo, s23
	s_and_saveexec_b32 s23, s22
	s_cbranch_execnz .LBB1540_163
.LBB1540_156:                           ;   in Loop: Header=BB1540_66 Depth=2
	s_or_b32 exec_lo, exec_lo, s23
	s_and_saveexec_b32 s21, s20
	s_cbranch_execz .LBB1540_164
.LBB1540_157:                           ;   in Loop: Header=BB1540_66 Depth=2
	v_lshlrev_b32_e32 v2, 2, v88
	v_add_nc_u32_e32 v20, v35, v52
	ds_load_b32 v2, v2
	ds_load_b64 v[20:21], v20 offset:4096
	s_waitcnt lgkmcnt(1)
	v_add_nc_u32_e32 v2, v2, v30
	s_delay_alu instid0(VALU_DEP_1) | instskip(NEXT) | instid1(VALU_DEP_1)
	v_lshlrev_b64 v[23:24], 3, v[2:3]
	v_add_co_u32 v23, s20, s44, v23
	s_delay_alu instid0(VALU_DEP_1)
	v_add_co_ci_u32_e64 v24, s20, s45, v24, s20
	s_waitcnt lgkmcnt(0)
	global_store_b64 v[23:24], v[20:21], off
	s_or_b32 exec_lo, exec_lo, s21
	s_and_saveexec_b32 s20, s19
	s_cbranch_execnz .LBB1540_165
.LBB1540_158:                           ;   in Loop: Header=BB1540_66 Depth=2
	s_or_b32 exec_lo, exec_lo, s20
	s_and_saveexec_b32 s19, s18
	s_cbranch_execz .LBB1540_166
.LBB1540_159:                           ;   in Loop: Header=BB1540_66 Depth=2
	v_lshlrev_b32_e32 v2, 2, v86
	v_add_nc_u32_e32 v20, v35, v52
	ds_load_b32 v2, v2
	ds_load_b64 v[20:21], v20 offset:8192
	s_waitcnt lgkmcnt(1)
	v_add_nc_u32_e32 v2, v2, v35
	s_delay_alu instid0(VALU_DEP_1) | instskip(NEXT) | instid1(VALU_DEP_1)
	v_lshlrev_b64 v[23:24], 3, v[2:3]
	v_add_co_u32 v23, s18, s44, v23
	s_delay_alu instid0(VALU_DEP_1)
	v_add_co_ci_u32_e64 v24, s18, s45, v24, s18
	s_waitcnt lgkmcnt(0)
	global_store_b64 v[23:24], v[20:21], off
	s_or_b32 exec_lo, exec_lo, s19
	s_and_saveexec_b32 s18, s17
	s_cbranch_execnz .LBB1540_167
.LBB1540_160:                           ;   in Loop: Header=BB1540_66 Depth=2
	s_or_b32 exec_lo, exec_lo, s18
	s_and_saveexec_b32 s17, s16
	s_cbranch_execz .LBB1540_168
.LBB1540_161:                           ;   in Loop: Header=BB1540_66 Depth=2
	v_lshlrev_b32_e32 v2, 2, v84
	v_add_nc_u32_e32 v20, v35, v52
	ds_load_b32 v2, v2
	ds_load_b64 v[20:21], v20 offset:12288
	s_waitcnt lgkmcnt(1)
	v_add_nc_u32_e32 v2, v2, v37
	s_delay_alu instid0(VALU_DEP_1) | instskip(NEXT) | instid1(VALU_DEP_1)
	v_lshlrev_b64 v[23:24], 3, v[2:3]
	v_add_co_u32 v23, s16, s44, v23
	s_delay_alu instid0(VALU_DEP_1)
	v_add_co_ci_u32_e64 v24, s16, s45, v24, s16
	s_waitcnt lgkmcnt(0)
	global_store_b64 v[23:24], v[20:21], off
	s_or_b32 exec_lo, exec_lo, s17
	s_and_saveexec_b32 s16, vcc_lo
	s_cbranch_execnz .LBB1540_169
	s_branch .LBB1540_170
.LBB1540_162:                           ;   in Loop: Header=BB1540_66 Depth=2
	s_or_b32 exec_lo, exec_lo, s23
	s_and_saveexec_b32 s23, s22
	s_cbranch_execz .LBB1540_156
.LBB1540_163:                           ;   in Loop: Header=BB1540_66 Depth=2
	v_lshlrev_b32_e32 v2, 2, v89
	v_add_nc_u32_e32 v20, v35, v52
	ds_load_b32 v2, v2
	ds_load_b64 v[20:21], v20 offset:2048
	s_waitcnt lgkmcnt(1)
	v_add_nc_u32_e32 v2, v2, v29
	s_delay_alu instid0(VALU_DEP_1) | instskip(NEXT) | instid1(VALU_DEP_1)
	v_lshlrev_b64 v[23:24], 3, v[2:3]
	v_add_co_u32 v23, s21, s44, v23
	s_delay_alu instid0(VALU_DEP_1)
	v_add_co_ci_u32_e64 v24, s21, s45, v24, s21
	s_waitcnt lgkmcnt(0)
	global_store_b64 v[23:24], v[20:21], off
	s_or_b32 exec_lo, exec_lo, s23
	s_and_saveexec_b32 s21, s20
	s_cbranch_execnz .LBB1540_157
.LBB1540_164:                           ;   in Loop: Header=BB1540_66 Depth=2
	s_or_b32 exec_lo, exec_lo, s21
	s_and_saveexec_b32 s20, s19
	s_cbranch_execz .LBB1540_158
.LBB1540_165:                           ;   in Loop: Header=BB1540_66 Depth=2
	v_lshlrev_b32_e32 v2, 2, v87
	v_add_nc_u32_e32 v20, v35, v52
	ds_load_b32 v2, v2
	ds_load_b64 v[20:21], v20 offset:6144
	s_waitcnt lgkmcnt(1)
	v_add_nc_u32_e32 v2, v2, v31
	s_delay_alu instid0(VALU_DEP_1) | instskip(NEXT) | instid1(VALU_DEP_1)
	v_lshlrev_b64 v[23:24], 3, v[2:3]
	v_add_co_u32 v23, s19, s44, v23
	s_delay_alu instid0(VALU_DEP_1)
	v_add_co_ci_u32_e64 v24, s19, s45, v24, s19
	s_waitcnt lgkmcnt(0)
	global_store_b64 v[23:24], v[20:21], off
	s_or_b32 exec_lo, exec_lo, s20
	s_and_saveexec_b32 s19, s18
	s_cbranch_execnz .LBB1540_159
.LBB1540_166:                           ;   in Loop: Header=BB1540_66 Depth=2
	s_or_b32 exec_lo, exec_lo, s19
	s_and_saveexec_b32 s18, s17
	s_cbranch_execz .LBB1540_160
.LBB1540_167:                           ;   in Loop: Header=BB1540_66 Depth=2
	v_lshlrev_b32_e32 v2, 2, v85
	v_add_nc_u32_e32 v20, v35, v52
	ds_load_b32 v2, v2
	ds_load_b64 v[20:21], v20 offset:10240
	s_waitcnt lgkmcnt(1)
	v_add_nc_u32_e32 v2, v2, v36
	s_delay_alu instid0(VALU_DEP_1) | instskip(NEXT) | instid1(VALU_DEP_1)
	v_lshlrev_b64 v[23:24], 3, v[2:3]
	v_add_co_u32 v23, s17, s44, v23
	s_delay_alu instid0(VALU_DEP_1)
	v_add_co_ci_u32_e64 v24, s17, s45, v24, s17
	s_waitcnt lgkmcnt(0)
	global_store_b64 v[23:24], v[20:21], off
	s_or_b32 exec_lo, exec_lo, s18
	s_and_saveexec_b32 s17, s16
	s_cbranch_execnz .LBB1540_161
.LBB1540_168:                           ;   in Loop: Header=BB1540_66 Depth=2
	s_or_b32 exec_lo, exec_lo, s17
	s_and_saveexec_b32 s16, vcc_lo
	s_cbranch_execz .LBB1540_170
.LBB1540_169:                           ;   in Loop: Header=BB1540_66 Depth=2
	v_lshlrev_b32_e32 v2, 2, v83
	v_add_nc_u32_e32 v20, v35, v52
	ds_load_b32 v2, v2
	ds_load_b64 v[20:21], v20 offset:14336
	s_waitcnt lgkmcnt(1)
	v_add_nc_u32_e32 v2, v2, v39
	s_delay_alu instid0(VALU_DEP_1) | instskip(NEXT) | instid1(VALU_DEP_1)
	v_lshlrev_b64 v[23:24], 3, v[2:3]
	v_add_co_u32 v23, vcc_lo, s44, v23
	s_delay_alu instid0(VALU_DEP_2)
	v_add_co_ci_u32_e32 v24, vcc_lo, s45, v24, vcc_lo
	s_waitcnt lgkmcnt(0)
	global_store_b64 v[23:24], v[20:21], off
.LBB1540_170:                           ;   in Loop: Header=BB1540_66 Depth=2
	s_or_b32 exec_lo, exec_lo, s16
	s_waitcnt_vscnt null, 0x0
	s_barrier
	buffer_gl0_inv
	s_and_saveexec_b32 s16, s2
	s_cbranch_execz .LBB1540_65
; %bb.171:                              ;   in Loop: Header=BB1540_66 Depth=2
	ds_load_b32 v2, v28
	s_waitcnt lgkmcnt(0)
	v_add_nc_u32_e32 v2, v2, v22
	ds_store_b32 v28, v2
	s_branch .LBB1540_65
.LBB1540_172:                           ;   in Loop: Header=BB1540_66 Depth=2
	s_or_b32 exec_lo, exec_lo, s16
	s_delay_alu instid0(SALU_CYCLE_1)
	s_mov_b32 s16, exec_lo
	v_cmpx_gt_u32_e64 s42, v73
	s_cbranch_execz .LBB1540_71
.LBB1540_173:                           ;   in Loop: Header=BB1540_66 Depth=2
	global_load_u8 v2, v[22:23], off offset:32
	s_waitcnt vmcnt(0)
	v_perm_b32 v20, v20, v2, 0x7060004
	s_or_b32 exec_lo, exec_lo, s16
	s_delay_alu instid0(SALU_CYCLE_1)
	s_mov_b32 s16, exec_lo
	v_cmpx_gt_u32_e64 s42, v74
	s_cbranch_execnz .LBB1540_72
.LBB1540_174:                           ;   in Loop: Header=BB1540_66 Depth=2
	s_or_b32 exec_lo, exec_lo, s16
	s_delay_alu instid0(SALU_CYCLE_1)
	s_mov_b32 s16, exec_lo
	v_cmpx_gt_u32_e64 s42, v75
	s_cbranch_execz .LBB1540_73
.LBB1540_175:                           ;   in Loop: Header=BB1540_66 Depth=2
	global_load_u8 v2, v[22:23], off offset:96
	v_lshrrev_b32_e32 v24, 16, v20
	s_delay_alu instid0(VALU_DEP_1) | instskip(SKIP_2) | instid1(VALU_DEP_1)
	v_and_b32_e32 v24, 0xff, v24
	s_waitcnt vmcnt(0)
	v_lshlrev_b16 v2, 8, v2
	v_or_b32_e32 v2, v24, v2
	s_delay_alu instid0(VALU_DEP_1) | instskip(NEXT) | instid1(VALU_DEP_1)
	v_lshlrev_b32_e32 v2, 16, v2
	v_and_or_b32 v20, 0xffff, v20, v2
	s_or_b32 exec_lo, exec_lo, s16
	s_delay_alu instid0(SALU_CYCLE_1)
	s_mov_b32 s16, exec_lo
	v_cmpx_gt_u32_e64 s42, v76
	s_cbranch_execnz .LBB1540_74
.LBB1540_176:                           ;   in Loop: Header=BB1540_66 Depth=2
	s_or_b32 exec_lo, exec_lo, s16
	s_delay_alu instid0(SALU_CYCLE_1)
	s_mov_b32 s16, exec_lo
	v_cmpx_gt_u32_e64 s42, v77
	s_cbranch_execz .LBB1540_75
.LBB1540_177:                           ;   in Loop: Header=BB1540_66 Depth=2
	global_load_u8 v2, v[22:23], off offset:160
	s_waitcnt vmcnt(0)
	v_perm_b32 v21, v21, v2, 0x7060004
	s_or_b32 exec_lo, exec_lo, s16
	s_delay_alu instid0(SALU_CYCLE_1)
	s_mov_b32 s16, exec_lo
	v_cmpx_gt_u32_e64 s42, v78
	s_cbranch_execnz .LBB1540_76
	s_branch .LBB1540_77
.LBB1540_178:                           ;   in Loop: Header=BB1540_12 Depth=1
	s_waitcnt lgkmcnt(0)
	s_mov_b32 s0, 0
	s_barrier
.LBB1540_179:                           ;   in Loop: Header=BB1540_12 Depth=1
	s_and_b32 vcc_lo, exec_lo, s0
	s_cbranch_vccz .LBB1540_345
; %bb.180:                              ;   in Loop: Header=BB1540_12 Depth=1
	s_mov_b32 s0, s35
	s_mov_b32 s9, s27
	s_barrier
	buffer_gl0_inv
                                        ; implicit-def: $vgpr2
                                        ; implicit-def: $vgpr6
                                        ; implicit-def: $vgpr7
                                        ; implicit-def: $vgpr8
                                        ; implicit-def: $vgpr9
                                        ; implicit-def: $vgpr10
                                        ; implicit-def: $vgpr11
                                        ; implicit-def: $vgpr12
	s_branch .LBB1540_182
.LBB1540_181:                           ;   in Loop: Header=BB1540_182 Depth=2
	s_or_b32 exec_lo, exec_lo, s8
	s_addk_i32 s0, 0xf800
	s_cmp_ge_u32 s1, s33
	s_mov_b32 s9, s1
	s_cbranch_scc1 .LBB1540_220
.LBB1540_182:                           ;   Parent Loop BB1540_12 Depth=1
                                        ; =>  This Inner Loop Header: Depth=2
	s_add_i32 s1, s9, 0x800
	s_delay_alu instid0(SALU_CYCLE_1)
	s_cmp_gt_u32 s1, s33
	s_cbranch_scc1 .LBB1540_185
; %bb.183:                              ;   in Loop: Header=BB1540_182 Depth=2
	v_add_co_u32 v4, vcc_lo, v53, s9
	v_add_co_ci_u32_e32 v5, vcc_lo, 0, v54, vcc_lo
	s_mov_b32 s8, -1
	s_movk_i32 s12, 0x800
	s_clause 0x6
	global_load_u8 v20, v[4:5], off offset:1536
	global_load_u8 v19, v[4:5], off offset:1280
	;; [unrolled: 1-line block ×6, first 2 shown]
	global_load_u8 v14, v[4:5], off
	v_add_co_u32 v4, vcc_lo, 0x700, v4
	v_add_co_ci_u32_e32 v5, vcc_lo, 0, v5, vcc_lo
	s_cbranch_execz .LBB1540_186
; %bb.184:                              ;   in Loop: Header=BB1540_182 Depth=2
                                        ; implicit-def: $vgpr2
                                        ; implicit-def: $vgpr6
                                        ; implicit-def: $vgpr7
                                        ; implicit-def: $vgpr8
                                        ; implicit-def: $vgpr9
                                        ; implicit-def: $vgpr10
                                        ; implicit-def: $vgpr11
                                        ; implicit-def: $vgpr12
	v_mov_b32_e32 v13, s0
	s_and_saveexec_b32 s9, s8
	s_cbranch_execnz .LBB1540_197
	s_branch .LBB1540_198
.LBB1540_185:                           ;   in Loop: Header=BB1540_182 Depth=2
	s_mov_b32 s8, 0
                                        ; implicit-def: $sgpr12
                                        ; implicit-def: $vgpr14
                                        ; implicit-def: $vgpr15
                                        ; implicit-def: $vgpr16
                                        ; implicit-def: $vgpr17
                                        ; implicit-def: $vgpr18
                                        ; implicit-def: $vgpr19
                                        ; implicit-def: $vgpr20
                                        ; implicit-def: $vgpr4_vgpr5
.LBB1540_186:                           ;   in Loop: Header=BB1540_182 Depth=2
	s_add_u32 s10, s38, s9
	s_addc_u32 s11, s39, 0
	s_mov_b32 s12, exec_lo
	v_cmpx_gt_u32_e64 s0, v1
	s_cbranch_execz .LBB1540_214
; %bb.187:                              ;   in Loop: Header=BB1540_182 Depth=2
	v_add_co_u32 v4, s13, s10, v1
	s_delay_alu instid0(VALU_DEP_1) | instskip(SKIP_2) | instid1(SALU_CYCLE_1)
	v_add_co_ci_u32_e64 v5, null, s11, 0, s13
	global_load_u8 v2, v[4:5], off
	s_or_b32 exec_lo, exec_lo, s12
	s_mov_b32 s12, exec_lo
	v_cmpx_gt_u32_e64 s0, v29
	s_cbranch_execnz .LBB1540_215
.LBB1540_188:                           ;   in Loop: Header=BB1540_182 Depth=2
	s_or_b32 exec_lo, exec_lo, s12
	s_delay_alu instid0(SALU_CYCLE_1)
	s_mov_b32 s12, exec_lo
	v_cmpx_gt_u32_e64 s0, v30
	s_cbranch_execz .LBB1540_216
.LBB1540_189:                           ;   in Loop: Header=BB1540_182 Depth=2
	v_add_co_u32 v4, s13, s10, v1
	s_delay_alu instid0(VALU_DEP_1) | instskip(SKIP_2) | instid1(SALU_CYCLE_1)
	v_add_co_ci_u32_e64 v5, null, s11, 0, s13
	global_load_u8 v7, v[4:5], off offset:512
	s_or_b32 exec_lo, exec_lo, s12
	s_mov_b32 s12, exec_lo
	v_cmpx_gt_u32_e64 s0, v31
	s_cbranch_execnz .LBB1540_217
.LBB1540_190:                           ;   in Loop: Header=BB1540_182 Depth=2
	s_or_b32 exec_lo, exec_lo, s12
	s_delay_alu instid0(SALU_CYCLE_1)
	s_mov_b32 s12, exec_lo
	v_cmpx_gt_u32_e64 s0, v35
	s_cbranch_execz .LBB1540_218
.LBB1540_191:                           ;   in Loop: Header=BB1540_182 Depth=2
	v_add_co_u32 v4, s13, s10, v1
	s_delay_alu instid0(VALU_DEP_1) | instskip(SKIP_2) | instid1(SALU_CYCLE_1)
	v_add_co_ci_u32_e64 v5, null, s11, 0, s13
	global_load_u8 v9, v[4:5], off offset:1024
	s_or_b32 exec_lo, exec_lo, s12
	s_mov_b32 s12, exec_lo
	v_cmpx_gt_u32_e64 s0, v36
	s_cbranch_execnz .LBB1540_219
.LBB1540_192:                           ;   in Loop: Header=BB1540_182 Depth=2
	s_or_b32 exec_lo, exec_lo, s12
	s_delay_alu instid0(SALU_CYCLE_1)
	s_mov_b32 s12, exec_lo
	v_cmpx_gt_u32_e64 s0, v37
	s_cbranch_execz .LBB1540_194
.LBB1540_193:                           ;   in Loop: Header=BB1540_182 Depth=2
	v_add_co_u32 v4, s13, s10, v1
	s_delay_alu instid0(VALU_DEP_1)
	v_add_co_ci_u32_e64 v5, null, s11, 0, s13
	global_load_u8 v11, v[4:5], off offset:1536
.LBB1540_194:                           ;   in Loop: Header=BB1540_182 Depth=2
	s_or_b32 exec_lo, exec_lo, s12
	s_delay_alu instid0(SALU_CYCLE_1)
	s_mov_b32 s13, exec_lo
                                        ; implicit-def: $sgpr12
                                        ; implicit-def: $vgpr4_vgpr5
	v_cmpx_gt_u32_e64 s0, v39
; %bb.195:                              ;   in Loop: Header=BB1540_182 Depth=2
	v_add_co_u32 v4, s10, s10, v1
	s_delay_alu instid0(VALU_DEP_1) | instskip(SKIP_1) | instid1(VALU_DEP_2)
	v_add_co_ci_u32_e64 v5, null, s11, 0, s10
	s_sub_i32 s12, s33, s9
	v_add_co_u32 v4, vcc_lo, 0x700, v4
	s_delay_alu instid0(VALU_DEP_2)
	v_add_co_ci_u32_e32 v5, vcc_lo, 0, v5, vcc_lo
	s_or_b32 s8, s8, exec_lo
                                        ; implicit-def: $vgpr12
; %bb.196:                              ;   in Loop: Header=BB1540_182 Depth=2
	s_or_b32 exec_lo, exec_lo, s13
	s_waitcnt vmcnt(0)
	v_dual_mov_b32 v14, v2 :: v_dual_mov_b32 v17, v8
	v_dual_mov_b32 v15, v6 :: v_dual_mov_b32 v16, v7
	;; [unrolled: 1-line block ×4, first 2 shown]
	s_and_saveexec_b32 s9, s8
	s_cbranch_execz .LBB1540_198
.LBB1540_197:                           ;   in Loop: Header=BB1540_182 Depth=2
	global_load_u8 v12, v[4:5], off
	s_waitcnt vmcnt(1)
	v_dual_mov_b32 v13, s12 :: v_dual_mov_b32 v2, v14
	v_dual_mov_b32 v6, v15 :: v_dual_mov_b32 v7, v16
	;; [unrolled: 1-line block ×4, first 2 shown]
.LBB1540_198:                           ;   in Loop: Header=BB1540_182 Depth=2
	s_or_b32 exec_lo, exec_lo, s9
	s_delay_alu instid0(SALU_CYCLE_1)
	s_mov_b32 s8, exec_lo
	v_cmpx_lt_u32_e64 v1, v13
	s_cbranch_execz .LBB1540_206
; %bb.199:                              ;   in Loop: Header=BB1540_182 Depth=2
	v_xor_b32_e32 v4, -1, v2
	v_lshlrev_b32_e32 v5, 2, v32
	s_delay_alu instid0(VALU_DEP_2) | instskip(NEXT) | instid1(VALU_DEP_1)
	v_and_b32_e32 v4, 1, v4
	v_and_b32_e32 v4, 0xffff, v4
	s_delay_alu instid0(VALU_DEP_1) | instskip(NEXT) | instid1(VALU_DEP_1)
	v_lshrrev_b32_e32 v4, s30, v4
	v_and_b32_e32 v4, s31, v4
	s_delay_alu instid0(VALU_DEP_1) | instskip(SKIP_2) | instid1(SALU_CYCLE_1)
	v_lshl_or_b32 v4, v4, 4, v5
	ds_add_u32 v4, v66
	s_or_b32 exec_lo, exec_lo, s8
	s_mov_b32 s8, exec_lo
	v_cmpx_lt_u32_e64 v29, v13
	s_cbranch_execnz .LBB1540_207
.LBB1540_200:                           ;   in Loop: Header=BB1540_182 Depth=2
	s_or_b32 exec_lo, exec_lo, s8
	s_delay_alu instid0(SALU_CYCLE_1)
	s_mov_b32 s8, exec_lo
	v_cmpx_lt_u32_e64 v30, v13
	s_cbranch_execz .LBB1540_208
.LBB1540_201:                           ;   in Loop: Header=BB1540_182 Depth=2
	v_xor_b32_e32 v4, -1, v7
	v_lshlrev_b32_e32 v5, 2, v32
	s_delay_alu instid0(VALU_DEP_2) | instskip(NEXT) | instid1(VALU_DEP_1)
	v_and_b32_e32 v4, 1, v4
	v_and_b32_e32 v4, 0xffff, v4
	s_delay_alu instid0(VALU_DEP_1) | instskip(NEXT) | instid1(VALU_DEP_1)
	v_lshrrev_b32_e32 v4, s30, v4
	v_and_b32_e32 v4, s31, v4
	s_delay_alu instid0(VALU_DEP_1) | instskip(SKIP_2) | instid1(SALU_CYCLE_1)
	v_lshl_or_b32 v4, v4, 4, v5
	ds_add_u32 v4, v66
	s_or_b32 exec_lo, exec_lo, s8
	s_mov_b32 s8, exec_lo
	v_cmpx_lt_u32_e64 v31, v13
	s_cbranch_execnz .LBB1540_209
.LBB1540_202:                           ;   in Loop: Header=BB1540_182 Depth=2
	s_or_b32 exec_lo, exec_lo, s8
	s_delay_alu instid0(SALU_CYCLE_1)
	s_mov_b32 s8, exec_lo
	v_cmpx_lt_u32_e64 v35, v13
	s_cbranch_execz .LBB1540_210
.LBB1540_203:                           ;   in Loop: Header=BB1540_182 Depth=2
	v_xor_b32_e32 v4, -1, v9
	v_lshlrev_b32_e32 v5, 2, v32
	s_delay_alu instid0(VALU_DEP_2) | instskip(NEXT) | instid1(VALU_DEP_1)
	v_and_b32_e32 v4, 1, v4
	v_and_b32_e32 v4, 0xffff, v4
	s_delay_alu instid0(VALU_DEP_1) | instskip(NEXT) | instid1(VALU_DEP_1)
	v_lshrrev_b32_e32 v4, s30, v4
	v_and_b32_e32 v4, s31, v4
	s_delay_alu instid0(VALU_DEP_1) | instskip(SKIP_2) | instid1(SALU_CYCLE_1)
	v_lshl_or_b32 v4, v4, 4, v5
	ds_add_u32 v4, v66
	s_or_b32 exec_lo, exec_lo, s8
	s_mov_b32 s8, exec_lo
	v_cmpx_lt_u32_e64 v36, v13
	s_cbranch_execnz .LBB1540_211
.LBB1540_204:                           ;   in Loop: Header=BB1540_182 Depth=2
	s_or_b32 exec_lo, exec_lo, s8
	s_delay_alu instid0(SALU_CYCLE_1)
	s_mov_b32 s8, exec_lo
	v_cmpx_lt_u32_e64 v37, v13
	s_cbranch_execz .LBB1540_212
.LBB1540_205:                           ;   in Loop: Header=BB1540_182 Depth=2
	v_xor_b32_e32 v4, -1, v11
	v_lshlrev_b32_e32 v5, 2, v32
	s_delay_alu instid0(VALU_DEP_2) | instskip(NEXT) | instid1(VALU_DEP_1)
	v_and_b32_e32 v4, 1, v4
	v_and_b32_e32 v4, 0xffff, v4
	s_delay_alu instid0(VALU_DEP_1) | instskip(NEXT) | instid1(VALU_DEP_1)
	v_lshrrev_b32_e32 v4, s30, v4
	v_and_b32_e32 v4, s31, v4
	s_delay_alu instid0(VALU_DEP_1) | instskip(SKIP_2) | instid1(SALU_CYCLE_1)
	v_lshl_or_b32 v4, v4, 4, v5
	ds_add_u32 v4, v66
	s_or_b32 exec_lo, exec_lo, s8
	s_mov_b32 s8, exec_lo
	v_cmpx_lt_u32_e64 v39, v13
	s_cbranch_execz .LBB1540_181
	s_branch .LBB1540_213
.LBB1540_206:                           ;   in Loop: Header=BB1540_182 Depth=2
	s_or_b32 exec_lo, exec_lo, s8
	s_delay_alu instid0(SALU_CYCLE_1)
	s_mov_b32 s8, exec_lo
	v_cmpx_lt_u32_e64 v29, v13
	s_cbranch_execz .LBB1540_200
.LBB1540_207:                           ;   in Loop: Header=BB1540_182 Depth=2
	v_xor_b32_e32 v4, -1, v6
	v_lshlrev_b32_e32 v5, 2, v32
	s_delay_alu instid0(VALU_DEP_2) | instskip(NEXT) | instid1(VALU_DEP_1)
	v_and_b32_e32 v4, 1, v4
	v_and_b32_e32 v4, 0xffff, v4
	s_delay_alu instid0(VALU_DEP_1) | instskip(NEXT) | instid1(VALU_DEP_1)
	v_lshrrev_b32_e32 v4, s30, v4
	v_and_b32_e32 v4, s31, v4
	s_delay_alu instid0(VALU_DEP_1) | instskip(SKIP_2) | instid1(SALU_CYCLE_1)
	v_lshl_or_b32 v4, v4, 4, v5
	ds_add_u32 v4, v66
	s_or_b32 exec_lo, exec_lo, s8
	s_mov_b32 s8, exec_lo
	v_cmpx_lt_u32_e64 v30, v13
	s_cbranch_execnz .LBB1540_201
.LBB1540_208:                           ;   in Loop: Header=BB1540_182 Depth=2
	s_or_b32 exec_lo, exec_lo, s8
	s_delay_alu instid0(SALU_CYCLE_1)
	s_mov_b32 s8, exec_lo
	v_cmpx_lt_u32_e64 v31, v13
	s_cbranch_execz .LBB1540_202
.LBB1540_209:                           ;   in Loop: Header=BB1540_182 Depth=2
	v_xor_b32_e32 v4, -1, v8
	v_lshlrev_b32_e32 v5, 2, v32
	s_delay_alu instid0(VALU_DEP_2) | instskip(NEXT) | instid1(VALU_DEP_1)
	v_and_b32_e32 v4, 1, v4
	v_and_b32_e32 v4, 0xffff, v4
	s_delay_alu instid0(VALU_DEP_1) | instskip(NEXT) | instid1(VALU_DEP_1)
	v_lshrrev_b32_e32 v4, s30, v4
	v_and_b32_e32 v4, s31, v4
	s_delay_alu instid0(VALU_DEP_1) | instskip(SKIP_2) | instid1(SALU_CYCLE_1)
	v_lshl_or_b32 v4, v4, 4, v5
	ds_add_u32 v4, v66
	s_or_b32 exec_lo, exec_lo, s8
	s_mov_b32 s8, exec_lo
	v_cmpx_lt_u32_e64 v35, v13
	s_cbranch_execnz .LBB1540_203
.LBB1540_210:                           ;   in Loop: Header=BB1540_182 Depth=2
	s_or_b32 exec_lo, exec_lo, s8
	s_delay_alu instid0(SALU_CYCLE_1)
	s_mov_b32 s8, exec_lo
	v_cmpx_lt_u32_e64 v36, v13
	s_cbranch_execz .LBB1540_204
.LBB1540_211:                           ;   in Loop: Header=BB1540_182 Depth=2
	v_xor_b32_e32 v4, -1, v10
	v_lshlrev_b32_e32 v5, 2, v32
	s_delay_alu instid0(VALU_DEP_2) | instskip(NEXT) | instid1(VALU_DEP_1)
	v_and_b32_e32 v4, 1, v4
	v_and_b32_e32 v4, 0xffff, v4
	s_delay_alu instid0(VALU_DEP_1) | instskip(NEXT) | instid1(VALU_DEP_1)
	v_lshrrev_b32_e32 v4, s30, v4
	v_and_b32_e32 v4, s31, v4
	s_delay_alu instid0(VALU_DEP_1) | instskip(SKIP_2) | instid1(SALU_CYCLE_1)
	v_lshl_or_b32 v4, v4, 4, v5
	ds_add_u32 v4, v66
	s_or_b32 exec_lo, exec_lo, s8
	s_mov_b32 s8, exec_lo
	v_cmpx_lt_u32_e64 v37, v13
	s_cbranch_execnz .LBB1540_205
.LBB1540_212:                           ;   in Loop: Header=BB1540_182 Depth=2
	s_or_b32 exec_lo, exec_lo, s8
	s_delay_alu instid0(SALU_CYCLE_1)
	s_mov_b32 s8, exec_lo
	v_cmpx_lt_u32_e64 v39, v13
	s_cbranch_execz .LBB1540_181
.LBB1540_213:                           ;   in Loop: Header=BB1540_182 Depth=2
	s_waitcnt vmcnt(0)
	v_xor_b32_e32 v4, -1, v12
	v_lshlrev_b32_e32 v5, 2, v32
	s_delay_alu instid0(VALU_DEP_2) | instskip(NEXT) | instid1(VALU_DEP_1)
	v_and_b32_e32 v4, 1, v4
	v_and_b32_e32 v4, 0xffff, v4
	s_delay_alu instid0(VALU_DEP_1) | instskip(NEXT) | instid1(VALU_DEP_1)
	v_lshrrev_b32_e32 v4, s30, v4
	v_and_b32_e32 v4, s31, v4
	s_delay_alu instid0(VALU_DEP_1)
	v_lshl_or_b32 v4, v4, 4, v5
	ds_add_u32 v4, v66
	s_branch .LBB1540_181
.LBB1540_214:                           ;   in Loop: Header=BB1540_182 Depth=2
	s_or_b32 exec_lo, exec_lo, s12
	s_delay_alu instid0(SALU_CYCLE_1)
	s_mov_b32 s12, exec_lo
	v_cmpx_gt_u32_e64 s0, v29
	s_cbranch_execz .LBB1540_188
.LBB1540_215:                           ;   in Loop: Header=BB1540_182 Depth=2
	v_add_co_u32 v4, s13, s10, v1
	s_delay_alu instid0(VALU_DEP_1) | instskip(SKIP_2) | instid1(SALU_CYCLE_1)
	v_add_co_ci_u32_e64 v5, null, s11, 0, s13
	global_load_u8 v6, v[4:5], off offset:256
	s_or_b32 exec_lo, exec_lo, s12
	s_mov_b32 s12, exec_lo
	v_cmpx_gt_u32_e64 s0, v30
	s_cbranch_execnz .LBB1540_189
.LBB1540_216:                           ;   in Loop: Header=BB1540_182 Depth=2
	s_or_b32 exec_lo, exec_lo, s12
	s_delay_alu instid0(SALU_CYCLE_1)
	s_mov_b32 s12, exec_lo
	v_cmpx_gt_u32_e64 s0, v31
	s_cbranch_execz .LBB1540_190
.LBB1540_217:                           ;   in Loop: Header=BB1540_182 Depth=2
	v_add_co_u32 v4, s13, s10, v1
	s_delay_alu instid0(VALU_DEP_1) | instskip(SKIP_2) | instid1(SALU_CYCLE_1)
	v_add_co_ci_u32_e64 v5, null, s11, 0, s13
	global_load_u8 v8, v[4:5], off offset:768
	s_or_b32 exec_lo, exec_lo, s12
	s_mov_b32 s12, exec_lo
	v_cmpx_gt_u32_e64 s0, v35
	s_cbranch_execnz .LBB1540_191
.LBB1540_218:                           ;   in Loop: Header=BB1540_182 Depth=2
	s_or_b32 exec_lo, exec_lo, s12
	s_delay_alu instid0(SALU_CYCLE_1)
	s_mov_b32 s12, exec_lo
	v_cmpx_gt_u32_e64 s0, v36
	s_cbranch_execz .LBB1540_192
.LBB1540_219:                           ;   in Loop: Header=BB1540_182 Depth=2
	v_add_co_u32 v4, s13, s10, v1
	s_delay_alu instid0(VALU_DEP_1) | instskip(SKIP_2) | instid1(SALU_CYCLE_1)
	v_add_co_ci_u32_e64 v5, null, s11, 0, s13
	global_load_u8 v10, v[4:5], off offset:1280
	s_or_b32 exec_lo, exec_lo, s12
	s_mov_b32 s12, exec_lo
	v_cmpx_gt_u32_e64 s0, v37
	s_cbranch_execz .LBB1540_194
	s_branch .LBB1540_193
.LBB1540_220:                           ;   in Loop: Header=BB1540_12 Depth=1
	v_mov_b32_e32 v2, 0
	s_waitcnt vmcnt(0) lgkmcnt(0)
	s_barrier
	buffer_gl0_inv
	s_and_saveexec_b32 s0, s2
	s_cbranch_execz .LBB1540_222
; %bb.221:                              ;   in Loop: Header=BB1540_12 Depth=1
	ds_load_2addr_b64 v[4:7], v40 offset1:1
	s_waitcnt lgkmcnt(0)
	v_add_nc_u32_e32 v2, v5, v4
	s_delay_alu instid0(VALU_DEP_1)
	v_add3_u32 v2, v2, v6, v7
.LBB1540_222:                           ;   in Loop: Header=BB1540_12 Depth=1
	s_or_b32 exec_lo, exec_lo, s0
	v_and_b32_e32 v4, 15, v63
	s_delay_alu instid0(VALU_DEP_2) | instskip(SKIP_1) | instid1(VALU_DEP_3)
	v_mov_b32_dpp v5, v2 row_shr:1 row_mask:0xf bank_mask:0xf
	v_and_b32_e32 v6, 16, v63
	v_cmp_eq_u32_e64 s0, 0, v4
	v_cmp_lt_u32_e64 s1, 1, v4
	v_cmp_lt_u32_e64 s8, 3, v4
	;; [unrolled: 1-line block ×3, first 2 shown]
	v_cmp_eq_u32_e64 s10, 0, v6
	v_cndmask_b32_e64 v5, v5, 0, s0
	s_delay_alu instid0(VALU_DEP_1) | instskip(NEXT) | instid1(VALU_DEP_1)
	v_add_nc_u32_e32 v2, v5, v2
	v_mov_b32_dpp v5, v2 row_shr:2 row_mask:0xf bank_mask:0xf
	s_delay_alu instid0(VALU_DEP_1) | instskip(NEXT) | instid1(VALU_DEP_1)
	v_cndmask_b32_e64 v5, 0, v5, s1
	v_add_nc_u32_e32 v2, v2, v5
	s_delay_alu instid0(VALU_DEP_1) | instskip(NEXT) | instid1(VALU_DEP_1)
	v_mov_b32_dpp v5, v2 row_shr:4 row_mask:0xf bank_mask:0xf
	v_cndmask_b32_e64 v5, 0, v5, s8
	s_delay_alu instid0(VALU_DEP_1) | instskip(NEXT) | instid1(VALU_DEP_1)
	v_add_nc_u32_e32 v2, v2, v5
	v_mov_b32_dpp v5, v2 row_shr:8 row_mask:0xf bank_mask:0xf
	s_delay_alu instid0(VALU_DEP_1) | instskip(SKIP_1) | instid1(VALU_DEP_2)
	v_cndmask_b32_e64 v4, 0, v5, s9
	v_bfe_i32 v5, v63, 4, 1
	v_add_nc_u32_e32 v2, v2, v4
	ds_swizzle_b32 v4, v2 offset:swizzle(BROADCAST,32,15)
	s_waitcnt lgkmcnt(0)
	v_and_b32_e32 v4, v5, v4
	s_delay_alu instid0(VALU_DEP_1)
	v_add_nc_u32_e32 v4, v2, v4
	s_and_saveexec_b32 s11, s3
	s_cbranch_execz .LBB1540_224
; %bb.223:                              ;   in Loop: Header=BB1540_12 Depth=1
	ds_store_b32 v41, v4
.LBB1540_224:                           ;   in Loop: Header=BB1540_12 Depth=1
	s_or_b32 exec_lo, exec_lo, s11
	v_and_b32_e32 v2, 7, v63
	s_waitcnt lgkmcnt(0)
	s_barrier
	buffer_gl0_inv
	s_and_saveexec_b32 s11, s4
	s_cbranch_execz .LBB1540_226
; %bb.225:                              ;   in Loop: Header=BB1540_12 Depth=1
	ds_load_b32 v5, v42
	v_cmp_ne_u32_e32 vcc_lo, 0, v2
	s_waitcnt lgkmcnt(0)
	v_mov_b32_dpp v6, v5 row_shr:1 row_mask:0xf bank_mask:0xf
	s_delay_alu instid0(VALU_DEP_1) | instskip(SKIP_1) | instid1(VALU_DEP_2)
	v_cndmask_b32_e32 v6, 0, v6, vcc_lo
	v_cmp_lt_u32_e32 vcc_lo, 1, v2
	v_add_nc_u32_e32 v5, v6, v5
	s_delay_alu instid0(VALU_DEP_1) | instskip(NEXT) | instid1(VALU_DEP_1)
	v_mov_b32_dpp v6, v5 row_shr:2 row_mask:0xf bank_mask:0xf
	v_cndmask_b32_e32 v6, 0, v6, vcc_lo
	v_cmp_lt_u32_e32 vcc_lo, 3, v2
	s_delay_alu instid0(VALU_DEP_2) | instskip(NEXT) | instid1(VALU_DEP_1)
	v_add_nc_u32_e32 v5, v5, v6
	v_mov_b32_dpp v6, v5 row_shr:4 row_mask:0xf bank_mask:0xf
	s_delay_alu instid0(VALU_DEP_1) | instskip(NEXT) | instid1(VALU_DEP_1)
	v_cndmask_b32_e32 v6, 0, v6, vcc_lo
	v_add_nc_u32_e32 v5, v5, v6
	ds_store_b32 v42, v5
.LBB1540_226:                           ;   in Loop: Header=BB1540_12 Depth=1
	s_or_b32 exec_lo, exec_lo, s11
	v_mov_b32_e32 v5, 0
	s_waitcnt lgkmcnt(0)
	s_barrier
	buffer_gl0_inv
	s_and_saveexec_b32 s11, s5
	s_cbranch_execz .LBB1540_228
; %bb.227:                              ;   in Loop: Header=BB1540_12 Depth=1
	ds_load_b32 v5, v43
.LBB1540_228:                           ;   in Loop: Header=BB1540_12 Depth=1
	s_or_b32 exec_lo, exec_lo, s11
	v_add_nc_u32_e32 v6, -1, v63
	s_waitcnt lgkmcnt(0)
	v_add_nc_u32_e32 v4, v5, v4
	v_cmp_eq_u32_e64 s11, 0, v63
	s_barrier
	v_cmp_gt_i32_e32 vcc_lo, 0, v6
	buffer_gl0_inv
	v_cndmask_b32_e32 v6, v6, v63, vcc_lo
	s_delay_alu instid0(VALU_DEP_1)
	v_lshlrev_b32_e32 v69, 2, v6
	ds_bpermute_b32 v4, v69, v4
	s_and_saveexec_b32 s12, s2
	s_cbranch_execz .LBB1540_230
; %bb.229:                              ;   in Loop: Header=BB1540_12 Depth=1
	s_waitcnt lgkmcnt(0)
	v_cndmask_b32_e64 v4, v4, v5, s11
	s_delay_alu instid0(VALU_DEP_1)
	v_add_nc_u32_e32 v4, s27, v4
	ds_store_b32 v28, v4
.LBB1540_230:                           ;   in Loop: Header=BB1540_12 Depth=1
	s_or_b32 exec_lo, exec_lo, s12
	s_load_b64 s[12:13], s[28:29], 0x0
	v_cmp_lt_u32_e64 s14, 3, v2
	v_add_co_u32 v71, vcc_lo, v57, v63
	v_add_co_ci_u32_e32 v72, vcc_lo, 0, v58, vcc_lo
	v_or_b32_e32 v70, v63, v44
	s_mov_b32 s42, s35
	s_mov_b32 s24, s27
                                        ; implicit-def: $vgpr8_vgpr9
                                        ; implicit-def: $vgpr10_vgpr11
                                        ; implicit-def: $vgpr12_vgpr13
                                        ; implicit-def: $vgpr14_vgpr15
                                        ; implicit-def: $vgpr16_vgpr17
                                        ; implicit-def: $vgpr18_vgpr19
                                        ; implicit-def: $vgpr85
                                        ; implicit-def: $vgpr86
                                        ; implicit-def: $vgpr87
                                        ; implicit-def: $vgpr88
                                        ; implicit-def: $vgpr89
                                        ; implicit-def: $vgpr90
                                        ; implicit-def: $vgpr91
                                        ; implicit-def: $vgpr92
	s_delay_alu instid0(VALU_DEP_1)
	v_or_b32_e32 v75, 32, v70
	v_or_b32_e32 v76, 64, v70
	;; [unrolled: 1-line block ×7, first 2 shown]
	s_waitcnt lgkmcnt(0)
	s_cmp_lt_u32 s15, s13
	s_cselect_b32 s13, 14, 20
	s_delay_alu instid0(SALU_CYCLE_1) | instskip(SKIP_4) | instid1(SALU_CYCLE_1)
	s_add_u32 s16, s28, s13
	s_addc_u32 s17, s29, 0
	s_cmp_lt_u32 s26, s12
	global_load_u16 v4, v3, s[16:17]
	s_cselect_b32 s12, 12, 18
	s_add_u32 s12, s28, s12
	s_addc_u32 s13, s29, 0
	global_load_u16 v6, v3, s[12:13]
	v_cmp_eq_u32_e64 s12, 0, v2
	v_cmp_lt_u32_e64 s13, 1, v2
	v_lshlrev_b32_e32 v2, 3, v63
	s_delay_alu instid0(VALU_DEP_1)
	v_add_co_u32 v73, vcc_lo, v55, v2
	v_add_co_ci_u32_e32 v74, vcc_lo, 0, v56, vcc_lo
	v_add_co_u32 v83, vcc_lo, 0xe0, v71
	v_add_co_ci_u32_e32 v84, vcc_lo, 0, v72, vcc_lo
	s_waitcnt vmcnt(1)
	v_mad_u32_u24 v7, v45, v4, v0
	s_waitcnt vmcnt(0)
	s_delay_alu instid0(VALU_DEP_1) | instskip(NEXT) | instid1(VALU_DEP_1)
	v_mad_u64_u32 v[4:5], null, v7, v6, v[1:2]
                                        ; implicit-def: $vgpr6_vgpr7
	v_lshrrev_b32_e32 v82, 5, v4
                                        ; implicit-def: $vgpr4_vgpr5
	s_branch .LBB1540_232
.LBB1540_231:                           ;   in Loop: Header=BB1540_232 Depth=2
	s_or_b32 exec_lo, exec_lo, s16
	s_addk_i32 s42, 0xf800
	s_cmp_lt_u32 s43, s33
	s_mov_b32 s24, s43
	s_cbranch_scc0 .LBB1540_344
.LBB1540_232:                           ;   Parent Loop BB1540_12 Depth=1
                                        ; =>  This Inner Loop Header: Depth=2
	s_add_i32 s43, s24, 0x800
	s_delay_alu instid0(SALU_CYCLE_1)
	s_cmp_gt_u32 s43, s33
	s_cbranch_scc1 .LBB1540_234
; %bb.233:                              ;   in Loop: Header=BB1540_232 Depth=2
	v_add_co_u32 v20, vcc_lo, v71, s24
	v_add_co_ci_u32_e32 v21, vcc_lo, 0, v72, vcc_lo
	s_mov_b32 s17, 0
	s_mov_b32 s16, s24
	s_mov_b32 s19, -1
	s_clause 0x6
	global_load_u8 v2, v[20:21], off offset:32
	global_load_u8 v22, v[20:21], off offset:96
	;; [unrolled: 1-line block ×3, first 2 shown]
	global_load_u8 v24, v[20:21], off
	global_load_u8 v25, v[20:21], off offset:64
	global_load_u8 v26, v[20:21], off offset:128
	;; [unrolled: 1-line block ×3, first 2 shown]
	s_movk_i32 s18, 0x800
	s_waitcnt vmcnt(6)
	v_lshlrev_b16 v2, 8, v2
	s_waitcnt vmcnt(5)
	v_lshlrev_b16 v20, 8, v22
	;; [unrolled: 2-line block ×3, first 2 shown]
	s_waitcnt vmcnt(3)
	v_or_b32_e32 v2, v24, v2
	s_waitcnt vmcnt(2)
	v_or_b32_e32 v20, v25, v20
	;; [unrolled: 2-line block ×3, first 2 shown]
	v_and_b32_e32 v2, 0xffff, v2
	s_delay_alu instid0(VALU_DEP_3) | instskip(NEXT) | instid1(VALU_DEP_3)
	v_lshlrev_b32_e32 v20, 16, v20
	v_and_b32_e32 v22, 0xffff, v22
	s_delay_alu instid0(VALU_DEP_2) | instskip(SKIP_1) | instid1(VALU_DEP_2)
	v_or_b32_e32 v20, v2, v20
	s_waitcnt vmcnt(0)
	v_lshl_or_b32 v21, v21, 16, v22
	s_cbranch_execz .LBB1540_235
	s_branch .LBB1540_244
.LBB1540_234:                           ;   in Loop: Header=BB1540_232 Depth=2
	s_mov_b32 s17, -1
	s_mov_b32 s19, 0
                                        ; implicit-def: $sgpr18
                                        ; implicit-def: $vgpr20_vgpr21
.LBB1540_235:                           ;   in Loop: Header=BB1540_232 Depth=2
	v_add_co_u32 v22, vcc_lo, v71, s24
	s_mov_b32 s16, s25
	s_mov_b32 s17, s25
	v_add_co_ci_u32_e32 v23, vcc_lo, 0, v72, vcc_lo
	v_dual_mov_b32 v21, s17 :: v_dual_mov_b32 v20, s16
	s_mov_b32 s16, exec_lo
	v_cmpx_gt_u32_e64 s42, v70
	s_cbranch_execz .LBB1540_338
; %bb.236:                              ;   in Loop: Header=BB1540_232 Depth=2
	global_load_u8 v2, v[22:23], off
	s_waitcnt vmcnt(0)
	v_dual_mov_b32 v21, s25 :: v_dual_and_b32 v20, 0xffff, v2
	s_or_b32 exec_lo, exec_lo, s16
	s_delay_alu instid0(SALU_CYCLE_1)
	s_mov_b32 s16, exec_lo
	v_cmpx_gt_u32_e64 s42, v75
	s_cbranch_execnz .LBB1540_339
.LBB1540_237:                           ;   in Loop: Header=BB1540_232 Depth=2
	s_or_b32 exec_lo, exec_lo, s16
	s_delay_alu instid0(SALU_CYCLE_1)
	s_mov_b32 s16, exec_lo
	v_cmpx_gt_u32_e64 s42, v76
	s_cbranch_execz .LBB1540_340
.LBB1540_238:                           ;   in Loop: Header=BB1540_232 Depth=2
	global_load_u8 v2, v[22:23], off offset:64
	v_lshrrev_b32_e32 v24, 16, v20
	s_delay_alu instid0(VALU_DEP_1) | instskip(SKIP_1) | instid1(VALU_DEP_1)
	v_and_b32_e32 v24, 0xffffff00, v24
	s_waitcnt vmcnt(0)
	v_or_b32_e32 v2, v2, v24
	s_delay_alu instid0(VALU_DEP_1) | instskip(NEXT) | instid1(VALU_DEP_1)
	v_lshlrev_b32_e32 v2, 16, v2
	v_and_or_b32 v20, 0xffff, v20, v2
	s_or_b32 exec_lo, exec_lo, s16
	s_delay_alu instid0(SALU_CYCLE_1)
	s_mov_b32 s16, exec_lo
	v_cmpx_gt_u32_e64 s42, v77
	s_cbranch_execnz .LBB1540_341
.LBB1540_239:                           ;   in Loop: Header=BB1540_232 Depth=2
	s_or_b32 exec_lo, exec_lo, s16
	s_delay_alu instid0(SALU_CYCLE_1)
	s_mov_b32 s16, exec_lo
	v_cmpx_gt_u32_e64 s42, v78
	s_cbranch_execz .LBB1540_342
.LBB1540_240:                           ;   in Loop: Header=BB1540_232 Depth=2
	global_load_u8 v2, v[22:23], off offset:128
	s_waitcnt vmcnt(0)
	v_perm_b32 v21, v2, v21, 0x3020104
	s_or_b32 exec_lo, exec_lo, s16
	s_delay_alu instid0(SALU_CYCLE_1)
	s_mov_b32 s16, exec_lo
	v_cmpx_gt_u32_e64 s42, v79
	s_cbranch_execnz .LBB1540_343
.LBB1540_241:                           ;   in Loop: Header=BB1540_232 Depth=2
	s_or_b32 exec_lo, exec_lo, s16
	s_delay_alu instid0(SALU_CYCLE_1)
	s_mov_b32 s16, exec_lo
	v_cmpx_gt_u32_e64 s42, v80
	s_cbranch_execz .LBB1540_243
.LBB1540_242:                           ;   in Loop: Header=BB1540_232 Depth=2
	global_load_u8 v2, v[22:23], off offset:192
	s_waitcnt vmcnt(0)
	v_perm_b32 v21, v21, v2, 0x7000504
.LBB1540_243:                           ;   in Loop: Header=BB1540_232 Depth=2
	s_or_b32 exec_lo, exec_lo, s16
	v_cmp_gt_u32_e64 s19, s42, v81
	s_sub_i32 s18, s33, s24
	s_mov_b64 s[16:17], s[24:25]
.LBB1540_244:                           ;   in Loop: Header=BB1540_232 Depth=2
	v_mov_b32_e32 v2, s42
	s_delay_alu instid0(VALU_DEP_2)
	s_and_saveexec_b32 s20, s19
	s_cbranch_execz .LBB1540_246
; %bb.245:                              ;   in Loop: Header=BB1540_232 Depth=2
	v_add_co_u32 v22, vcc_lo, v83, s16
	v_add_co_ci_u32_e32 v23, vcc_lo, s17, v84, vcc_lo
	global_load_u8 v2, v[22:23], off
	s_waitcnt vmcnt(0)
	v_perm_b32 v21, v21, v2, 0x60504
	v_mov_b32_e32 v2, s18
.LBB1540_246:                           ;   in Loop: Header=BB1540_232 Depth=2
	s_or_b32 exec_lo, exec_lo, s20
	v_and_b32_e32 v22, 1, v20
	v_lshrrev_b16 v25, 8, v20
	v_and_b32_e32 v95, 0x10000, v20
	v_and_b32_e32 v94, 0x10000, v21
	v_lshrrev_b16 v26, 8, v21
	v_cmp_eq_u32_e32 vcc_lo, 1, v22
	v_and_b32_e32 v27, 0x1000000, v21
	v_and_b32_e32 v21, 1, v21
	v_cmp_ne_u32_e64 s20, 0, v95
	ds_store_b32 v46, v3 offset:1056
	s_xor_b32 s16, vcc_lo, -1
	ds_store_2addr_b32 v47, v3, v3 offset0:1 offset1:2
	ds_store_2addr_b32 v47, v3, v3 offset0:3 offset1:4
	;; [unrolled: 1-line block ×4, first 2 shown]
	v_cndmask_b32_e64 v93, 0, 1, s16
	v_cmp_eq_u32_e64 s18, 1, v21
	s_waitcnt lgkmcnt(0)
	s_barrier
	buffer_gl0_inv
	v_lshrrev_b32_e32 v22, s30, v93
	; wave barrier
	s_delay_alu instid0(VALU_DEP_1) | instskip(NEXT) | instid1(VALU_DEP_1)
	v_and_b32_e32 v22, s31, v22
	v_add_co_u32 v23, s16, v22, -1
	s_delay_alu instid0(VALU_DEP_1) | instskip(SKIP_2) | instid1(VALU_DEP_3)
	v_cndmask_b32_e64 v24, 0, 1, s16
	v_cmp_ne_u32_e64 s16, 0, v94
	v_mad_u32_u24 v21, v22, 9, v82
	v_cmp_ne_u32_e32 vcc_lo, 0, v24
	v_and_b32_e32 v24, 0x1000000, v20
	s_delay_alu instid0(VALU_DEP_3)
	v_lshl_add_u32 v96, v21, 2, 0x420
	v_xor_b32_e32 v20, vcc_lo, v23
	v_and_b32_e32 v23, 1, v25
	v_and_b32_e32 v25, 1, v26
	v_cmp_ne_u32_e32 vcc_lo, 0, v27
	v_cmp_ne_u32_e64 s19, 0, v24
	v_and_b32_e32 v20, exec_lo, v20
	v_cmp_eq_u32_e64 s21, 1, v23
	v_cmp_eq_u32_e64 s17, 1, v25
	s_delay_alu instid0(VALU_DEP_3) | instskip(SKIP_1) | instid1(VALU_DEP_2)
	v_mbcnt_lo_u32_b32 v94, v20, 0
	v_cmp_ne_u32_e64 s23, 0, v20
	v_cmp_eq_u32_e64 s22, 0, v94
	s_delay_alu instid0(VALU_DEP_1) | instskip(NEXT) | instid1(SALU_CYCLE_1)
	s_and_b32 s23, s23, s22
	s_and_saveexec_b32 s22, s23
	s_cbranch_execz .LBB1540_248
; %bb.247:                              ;   in Loop: Header=BB1540_232 Depth=2
	v_bcnt_u32_b32 v20, v20, 0
	ds_store_b32 v96, v20
.LBB1540_248:                           ;   in Loop: Header=BB1540_232 Depth=2
	s_or_b32 exec_lo, exec_lo, s22
	s_xor_b32 s21, s21, -1
	s_delay_alu instid0(SALU_CYCLE_1) | instskip(NEXT) | instid1(VALU_DEP_1)
	v_cndmask_b32_e64 v95, 0, 1, s21
	; wave barrier
	v_lshrrev_b32_e32 v20, s30, v95
	s_delay_alu instid0(VALU_DEP_1) | instskip(NEXT) | instid1(VALU_DEP_1)
	v_and_b32_e32 v20, s31, v20
	v_add_co_u32 v21, s21, v20, -1
	s_delay_alu instid0(VALU_DEP_1) | instskip(SKIP_1) | instid1(VALU_DEP_2)
	v_cndmask_b32_e64 v22, 0, 1, s21
	v_mul_u32_u24_e32 v20, 9, v20
	v_cmp_ne_u32_e64 s21, 0, v22
	s_delay_alu instid0(VALU_DEP_2) | instskip(NEXT) | instid1(VALU_DEP_2)
	v_add_lshl_u32 v22, v20, v82, 2
	v_xor_b32_e32 v20, s21, v21
	ds_load_b32 v97, v22 offset:1056
	v_add_nc_u32_e32 v100, 0x420, v22
	; wave barrier
	v_and_b32_e32 v20, exec_lo, v20
	s_delay_alu instid0(VALU_DEP_1) | instskip(SKIP_1) | instid1(VALU_DEP_2)
	v_mbcnt_lo_u32_b32 v98, v20, 0
	v_cmp_ne_u32_e64 s22, 0, v20
	v_cmp_eq_u32_e64 s21, 0, v98
	s_delay_alu instid0(VALU_DEP_1) | instskip(NEXT) | instid1(SALU_CYCLE_1)
	s_and_b32 s22, s22, s21
	s_and_saveexec_b32 s21, s22
	s_cbranch_execz .LBB1540_250
; %bb.249:                              ;   in Loop: Header=BB1540_232 Depth=2
	s_waitcnt lgkmcnt(0)
	v_bcnt_u32_b32 v20, v20, v97
	ds_store_b32 v100, v20
.LBB1540_250:                           ;   in Loop: Header=BB1540_232 Depth=2
	s_or_b32 exec_lo, exec_lo, s21
	s_xor_b32 s20, s20, -1
	s_delay_alu instid0(SALU_CYCLE_1) | instskip(NEXT) | instid1(VALU_DEP_1)
	v_cndmask_b32_e64 v99, 0, 1, s20
	; wave barrier
	v_lshrrev_b32_e32 v20, s30, v99
	s_delay_alu instid0(VALU_DEP_1) | instskip(NEXT) | instid1(VALU_DEP_1)
	v_and_b32_e32 v20, s31, v20
	v_add_co_u32 v21, s20, v20, -1
	s_delay_alu instid0(VALU_DEP_1) | instskip(SKIP_1) | instid1(VALU_DEP_2)
	v_cndmask_b32_e64 v22, 0, 1, s20
	v_mul_u32_u24_e32 v20, 9, v20
	v_cmp_ne_u32_e64 s20, 0, v22
	s_delay_alu instid0(VALU_DEP_2) | instskip(NEXT) | instid1(VALU_DEP_2)
	v_add_lshl_u32 v22, v20, v82, 2
	v_xor_b32_e32 v20, s20, v21
	ds_load_b32 v101, v22 offset:1056
	v_add_nc_u32_e32 v105, 0x420, v22
	; wave barrier
	v_and_b32_e32 v20, exec_lo, v20
	s_delay_alu instid0(VALU_DEP_1) | instskip(SKIP_1) | instid1(VALU_DEP_2)
	v_mbcnt_lo_u32_b32 v102, v20, 0
	v_cmp_ne_u32_e64 s21, 0, v20
	v_cmp_eq_u32_e64 s20, 0, v102
	s_delay_alu instid0(VALU_DEP_1) | instskip(NEXT) | instid1(SALU_CYCLE_1)
	s_and_b32 s21, s21, s20
	s_and_saveexec_b32 s20, s21
	s_cbranch_execz .LBB1540_252
; %bb.251:                              ;   in Loop: Header=BB1540_232 Depth=2
	s_waitcnt lgkmcnt(0)
	v_bcnt_u32_b32 v20, v20, v101
	ds_store_b32 v105, v20
.LBB1540_252:                           ;   in Loop: Header=BB1540_232 Depth=2
	;; [unrolled: 33-line block ×6, first 2 shown]
	s_or_b32 exec_lo, exec_lo, s16
	s_xor_b32 s16, vcc_lo, -1
	s_delay_alu instid0(SALU_CYCLE_1) | instskip(NEXT) | instid1(VALU_DEP_1)
	v_cndmask_b32_e64 v119, 0, 1, s16
	; wave barrier
	v_lshrrev_b32_e32 v20, s30, v119
	s_delay_alu instid0(VALU_DEP_1) | instskip(NEXT) | instid1(VALU_DEP_1)
	v_and_b32_e32 v20, s31, v20
	v_add_co_u32 v21, s16, v20, -1
	s_delay_alu instid0(VALU_DEP_1) | instskip(SKIP_1) | instid1(VALU_DEP_2)
	v_cndmask_b32_e64 v22, 0, 1, s16
	v_mul_u32_u24_e32 v20, 9, v20
	v_cmp_ne_u32_e32 vcc_lo, 0, v22
	s_delay_alu instid0(VALU_DEP_2) | instskip(SKIP_4) | instid1(VALU_DEP_1)
	v_add_lshl_u32 v22, v20, v82, 2
	v_xor_b32_e32 v20, vcc_lo, v21
	ds_load_b32 v120, v22 offset:1056
	v_add_nc_u32_e32 v123, 0x420, v22
	; wave barrier
	v_and_b32_e32 v20, exec_lo, v20
	v_mbcnt_lo_u32_b32 v122, v20, 0
	v_cmp_ne_u32_e64 s16, 0, v20
	s_delay_alu instid0(VALU_DEP_2) | instskip(NEXT) | instid1(VALU_DEP_2)
	v_cmp_eq_u32_e32 vcc_lo, 0, v122
	s_and_b32 s17, s16, vcc_lo
	s_delay_alu instid0(SALU_CYCLE_1)
	s_and_saveexec_b32 s16, s17
	s_cbranch_execz .LBB1540_262
; %bb.261:                              ;   in Loop: Header=BB1540_232 Depth=2
	s_waitcnt lgkmcnt(0)
	v_bcnt_u32_b32 v20, v20, v120
	ds_store_b32 v123, v20
.LBB1540_262:                           ;   in Loop: Header=BB1540_232 Depth=2
	s_or_b32 exec_lo, exec_lo, s16
	; wave barrier
	s_waitcnt lgkmcnt(0)
	s_barrier
	buffer_gl0_inv
	ds_load_b32 v124, v46 offset:1056
	ds_load_2addr_b32 v[26:27], v47 offset0:1 offset1:2
	ds_load_2addr_b32 v[24:25], v47 offset0:3 offset1:4
	;; [unrolled: 1-line block ×4, first 2 shown]
	s_waitcnt lgkmcnt(3)
	v_add3_u32 v125, v26, v124, v27
	s_waitcnt lgkmcnt(2)
	s_delay_alu instid0(VALU_DEP_1) | instskip(SKIP_1) | instid1(VALU_DEP_1)
	v_add3_u32 v125, v125, v24, v25
	s_waitcnt lgkmcnt(1)
	v_add3_u32 v125, v125, v20, v21
	s_waitcnt lgkmcnt(0)
	s_delay_alu instid0(VALU_DEP_1) | instskip(NEXT) | instid1(VALU_DEP_1)
	v_add3_u32 v23, v125, v22, v23
	v_mov_b32_dpp v125, v23 row_shr:1 row_mask:0xf bank_mask:0xf
	s_delay_alu instid0(VALU_DEP_1) | instskip(NEXT) | instid1(VALU_DEP_1)
	v_cndmask_b32_e64 v125, v125, 0, s0
	v_add_nc_u32_e32 v23, v125, v23
	s_delay_alu instid0(VALU_DEP_1) | instskip(NEXT) | instid1(VALU_DEP_1)
	v_mov_b32_dpp v125, v23 row_shr:2 row_mask:0xf bank_mask:0xf
	v_cndmask_b32_e64 v125, 0, v125, s1
	s_delay_alu instid0(VALU_DEP_1) | instskip(NEXT) | instid1(VALU_DEP_1)
	v_add_nc_u32_e32 v23, v23, v125
	v_mov_b32_dpp v125, v23 row_shr:4 row_mask:0xf bank_mask:0xf
	s_delay_alu instid0(VALU_DEP_1) | instskip(NEXT) | instid1(VALU_DEP_1)
	v_cndmask_b32_e64 v125, 0, v125, s8
	v_add_nc_u32_e32 v23, v23, v125
	s_delay_alu instid0(VALU_DEP_1) | instskip(NEXT) | instid1(VALU_DEP_1)
	v_mov_b32_dpp v125, v23 row_shr:8 row_mask:0xf bank_mask:0xf
	v_cndmask_b32_e64 v125, 0, v125, s9
	s_delay_alu instid0(VALU_DEP_1) | instskip(SKIP_3) | instid1(VALU_DEP_1)
	v_add_nc_u32_e32 v23, v23, v125
	ds_swizzle_b32 v125, v23 offset:swizzle(BROADCAST,32,15)
	s_waitcnt lgkmcnt(0)
	v_cndmask_b32_e64 v125, v125, 0, s10
	v_add_nc_u32_e32 v23, v23, v125
	s_and_saveexec_b32 s16, s3
	s_cbranch_execz .LBB1540_264
; %bb.263:                              ;   in Loop: Header=BB1540_232 Depth=2
	ds_store_b32 v38, v23 offset:1024
.LBB1540_264:                           ;   in Loop: Header=BB1540_232 Depth=2
	s_or_b32 exec_lo, exec_lo, s16
	s_waitcnt lgkmcnt(0)
	s_barrier
	buffer_gl0_inv
	s_and_saveexec_b32 s16, s4
	s_cbranch_execz .LBB1540_266
; %bb.265:                              ;   in Loop: Header=BB1540_232 Depth=2
	v_add_nc_u32_e32 v125, v46, v48
	ds_load_b32 v126, v125 offset:1024
	s_waitcnt lgkmcnt(0)
	v_mov_b32_dpp v127, v126 row_shr:1 row_mask:0xf bank_mask:0xf
	s_delay_alu instid0(VALU_DEP_1) | instskip(NEXT) | instid1(VALU_DEP_1)
	v_cndmask_b32_e64 v127, v127, 0, s12
	v_add_nc_u32_e32 v126, v127, v126
	s_delay_alu instid0(VALU_DEP_1) | instskip(NEXT) | instid1(VALU_DEP_1)
	v_mov_b32_dpp v127, v126 row_shr:2 row_mask:0xf bank_mask:0xf
	v_cndmask_b32_e64 v127, 0, v127, s13
	s_delay_alu instid0(VALU_DEP_1) | instskip(NEXT) | instid1(VALU_DEP_1)
	v_add_nc_u32_e32 v126, v126, v127
	v_mov_b32_dpp v127, v126 row_shr:4 row_mask:0xf bank_mask:0xf
	s_delay_alu instid0(VALU_DEP_1) | instskip(NEXT) | instid1(VALU_DEP_1)
	v_cndmask_b32_e64 v127, 0, v127, s14
	v_add_nc_u32_e32 v126, v126, v127
	ds_store_b32 v125, v126 offset:1024
.LBB1540_266:                           ;   in Loop: Header=BB1540_232 Depth=2
	s_or_b32 exec_lo, exec_lo, s16
	v_mov_b32_e32 v125, 0
	s_waitcnt lgkmcnt(0)
	s_barrier
	buffer_gl0_inv
	s_and_saveexec_b32 s16, s5
	s_cbranch_execz .LBB1540_268
; %bb.267:                              ;   in Loop: Header=BB1540_232 Depth=2
	ds_load_b32 v125, v38 offset:1020
.LBB1540_268:                           ;   in Loop: Header=BB1540_232 Depth=2
	s_or_b32 exec_lo, exec_lo, s16
	s_waitcnt lgkmcnt(0)
	v_add_nc_u32_e32 v23, v125, v23
	ds_bpermute_b32 v23, v69, v23
	s_waitcnt lgkmcnt(0)
	v_cndmask_b32_e64 v23, v23, v125, s11
	s_delay_alu instid0(VALU_DEP_1) | instskip(NEXT) | instid1(VALU_DEP_1)
	v_cndmask_b32_e64 v23, v23, 0, s6
	v_add_nc_u32_e32 v124, v23, v124
	s_delay_alu instid0(VALU_DEP_1) | instskip(NEXT) | instid1(VALU_DEP_1)
	v_add_nc_u32_e32 v26, v124, v26
	v_add_nc_u32_e32 v27, v26, v27
	s_delay_alu instid0(VALU_DEP_1) | instskip(NEXT) | instid1(VALU_DEP_1)
	v_add_nc_u32_e32 v24, v27, v24
	;; [unrolled: 3-line block ×3, first 2 shown]
	v_add_nc_u32_e32 v21, v20, v21
	s_delay_alu instid0(VALU_DEP_1)
	v_add_nc_u32_e32 v22, v21, v22
	ds_store_b32 v46, v23 offset:1056
	ds_store_2addr_b32 v47, v124, v26 offset0:1 offset1:2
	ds_store_2addr_b32 v47, v27, v24 offset0:3 offset1:4
	;; [unrolled: 1-line block ×4, first 2 shown]
	v_mov_b32_e32 v22, 0x800
	s_waitcnt lgkmcnt(0)
	s_barrier
	buffer_gl0_inv
	ds_load_b32 v20, v100
	ds_load_b32 v21, v105
	;; [unrolled: 1-line block ×8, first 2 shown]
	ds_load_b32 v27, v46 offset:1056
	s_and_saveexec_b32 s16, s7
	s_cbranch_execz .LBB1540_270
; %bb.269:                              ;   in Loop: Header=BB1540_232 Depth=2
	ds_load_b32 v22, v49 offset:1056
.LBB1540_270:                           ;   in Loop: Header=BB1540_232 Depth=2
	s_or_b32 exec_lo, exec_lo, s16
	s_waitcnt lgkmcnt(0)
	s_barrier
	buffer_gl0_inv
	s_and_saveexec_b32 s16, s2
	s_cbranch_execz .LBB1540_272
; %bb.271:                              ;   in Loop: Header=BB1540_232 Depth=2
	ds_load_b32 v96, v28
	s_waitcnt lgkmcnt(0)
	v_sub_nc_u32_e32 v27, v96, v27
	ds_store_b32 v28, v27
.LBB1540_272:                           ;   in Loop: Header=BB1540_232 Depth=2
	s_or_b32 exec_lo, exec_lo, s16
	v_add_nc_u32_e32 v100, v26, v94
	v_add3_u32 v96, v98, v97, v20
	v_add3_u32 v94, v102, v101, v21
	;; [unrolled: 1-line block ×7, first 2 shown]
	v_cmp_lt_u32_e64 s21, v1, v2
	ds_store_b8 v100, v93 offset:1024
	ds_store_b8 v96, v95 offset:1024
	ds_store_b8 v94, v99 offset:1024
	ds_store_b8 v27, v103 offset:1024
	ds_store_b8 v26, v107 offset:1024
	ds_store_b8 v25, v111 offset:1024
	ds_store_b8 v24, v115 offset:1024
	ds_store_b8 v23, v119 offset:1024
	s_waitcnt lgkmcnt(0)
	s_barrier
	buffer_gl0_inv
	s_and_saveexec_b32 s16, s21
	s_cbranch_execz .LBB1540_280
; %bb.273:                              ;   in Loop: Header=BB1540_232 Depth=2
	ds_load_u8 v20, v1 offset:1024
	s_waitcnt lgkmcnt(0)
	v_and_b32_e32 v21, 1, v20
	v_xor_b32_e32 v20, 1, v20
	s_delay_alu instid0(VALU_DEP_2) | instskip(NEXT) | instid1(VALU_DEP_1)
	v_lshrrev_b32_e32 v21, s30, v21
	v_and_b32_e32 v21, s31, v21
	s_delay_alu instid0(VALU_DEP_1)
	v_lshlrev_b32_e32 v21, 2, v21
	ds_load_b32 v21, v21
	s_waitcnt lgkmcnt(0)
	v_add_nc_u32_e32 v21, v21, v1
	global_store_b8 v21, v20, s[40:41]
	s_or_b32 exec_lo, exec_lo, s16
	v_cmp_lt_u32_e64 s22, v29, v2
	s_delay_alu instid0(VALU_DEP_1)
	s_and_saveexec_b32 s16, s22
	s_cbranch_execnz .LBB1540_281
.LBB1540_274:                           ;   in Loop: Header=BB1540_232 Depth=2
	s_or_b32 exec_lo, exec_lo, s16
	v_cmp_lt_u32_e64 s20, v30, v2
	s_delay_alu instid0(VALU_DEP_1)
	s_and_saveexec_b32 s16, s20
	s_cbranch_execz .LBB1540_282
.LBB1540_275:                           ;   in Loop: Header=BB1540_232 Depth=2
	ds_load_u8 v20, v35 offset:512
	s_waitcnt lgkmcnt(0)
	v_and_b32_e32 v21, 1, v20
	v_xor_b32_e32 v20, 1, v20
	s_delay_alu instid0(VALU_DEP_2) | instskip(NEXT) | instid1(VALU_DEP_1)
	v_lshrrev_b32_e32 v21, s30, v21
	v_and_b32_e32 v21, s31, v21
	s_delay_alu instid0(VALU_DEP_1)
	v_lshlrev_b32_e32 v21, 2, v21
	ds_load_b32 v21, v21
	s_waitcnt lgkmcnt(0)
	v_add_nc_u32_e32 v21, v21, v30
	global_store_b8 v21, v20, s[40:41]
	s_or_b32 exec_lo, exec_lo, s16
	v_cmp_lt_u32_e64 s19, v31, v2
	s_delay_alu instid0(VALU_DEP_1)
	s_and_saveexec_b32 s16, s19
	s_cbranch_execnz .LBB1540_283
.LBB1540_276:                           ;   in Loop: Header=BB1540_232 Depth=2
	s_or_b32 exec_lo, exec_lo, s16
	v_cmp_lt_u32_e64 s18, v35, v2
	s_delay_alu instid0(VALU_DEP_1)
	s_and_saveexec_b32 s16, s18
	s_cbranch_execz .LBB1540_284
.LBB1540_277:                           ;   in Loop: Header=BB1540_232 Depth=2
	ds_load_u8 v20, v35 offset:1024
	s_waitcnt lgkmcnt(0)
	v_and_b32_e32 v21, 1, v20
	v_xor_b32_e32 v20, 1, v20
	s_delay_alu instid0(VALU_DEP_2) | instskip(NEXT) | instid1(VALU_DEP_1)
	v_lshrrev_b32_e32 v21, s30, v21
	v_and_b32_e32 v21, s31, v21
	s_delay_alu instid0(VALU_DEP_1)
	v_lshlrev_b32_e32 v21, 2, v21
	ds_load_b32 v21, v21
	s_waitcnt lgkmcnt(0)
	v_add_nc_u32_e32 v21, v21, v35
	global_store_b8 v21, v20, s[40:41]
	s_or_b32 exec_lo, exec_lo, s16
	v_cmp_lt_u32_e64 s17, v36, v2
	s_delay_alu instid0(VALU_DEP_1)
	s_and_saveexec_b32 s16, s17
	s_cbranch_execnz .LBB1540_285
.LBB1540_278:                           ;   in Loop: Header=BB1540_232 Depth=2
	s_or_b32 exec_lo, exec_lo, s16
	v_cmp_lt_u32_e64 s16, v37, v2
	s_delay_alu instid0(VALU_DEP_1)
	s_and_saveexec_b32 s23, s16
	s_cbranch_execz .LBB1540_286
.LBB1540_279:                           ;   in Loop: Header=BB1540_232 Depth=2
	ds_load_u8 v20, v35 offset:1536
	s_waitcnt lgkmcnt(0)
	v_and_b32_e32 v21, 1, v20
	v_xor_b32_e32 v20, 1, v20
	s_delay_alu instid0(VALU_DEP_2) | instskip(NEXT) | instid1(VALU_DEP_1)
	v_lshrrev_b32_e32 v21, s30, v21
	v_and_b32_e32 v21, s31, v21
	s_delay_alu instid0(VALU_DEP_1)
	v_lshlrev_b32_e32 v21, 2, v21
	ds_load_b32 v21, v21
	s_waitcnt lgkmcnt(0)
	v_add_nc_u32_e32 v21, v21, v37
	global_store_b8 v21, v20, s[40:41]
	s_or_b32 exec_lo, exec_lo, s23
	v_cmp_lt_u32_e32 vcc_lo, v39, v2
	s_and_saveexec_b32 s23, vcc_lo
	s_cbranch_execnz .LBB1540_287
	s_branch .LBB1540_288
.LBB1540_280:                           ;   in Loop: Header=BB1540_232 Depth=2
	s_or_b32 exec_lo, exec_lo, s16
	v_cmp_lt_u32_e64 s22, v29, v2
	s_delay_alu instid0(VALU_DEP_1)
	s_and_saveexec_b32 s16, s22
	s_cbranch_execz .LBB1540_274
.LBB1540_281:                           ;   in Loop: Header=BB1540_232 Depth=2
	ds_load_u8 v20, v35 offset:256
	s_waitcnt lgkmcnt(0)
	v_and_b32_e32 v21, 1, v20
	v_xor_b32_e32 v20, 1, v20
	s_delay_alu instid0(VALU_DEP_2) | instskip(NEXT) | instid1(VALU_DEP_1)
	v_lshrrev_b32_e32 v21, s30, v21
	v_and_b32_e32 v21, s31, v21
	s_delay_alu instid0(VALU_DEP_1)
	v_lshlrev_b32_e32 v21, 2, v21
	ds_load_b32 v21, v21
	s_waitcnt lgkmcnt(0)
	v_add_nc_u32_e32 v21, v21, v29
	global_store_b8 v21, v20, s[40:41]
	s_or_b32 exec_lo, exec_lo, s16
	v_cmp_lt_u32_e64 s20, v30, v2
	s_delay_alu instid0(VALU_DEP_1)
	s_and_saveexec_b32 s16, s20
	s_cbranch_execnz .LBB1540_275
.LBB1540_282:                           ;   in Loop: Header=BB1540_232 Depth=2
	s_or_b32 exec_lo, exec_lo, s16
	v_cmp_lt_u32_e64 s19, v31, v2
	s_delay_alu instid0(VALU_DEP_1)
	s_and_saveexec_b32 s16, s19
	s_cbranch_execz .LBB1540_276
.LBB1540_283:                           ;   in Loop: Header=BB1540_232 Depth=2
	ds_load_u8 v20, v35 offset:768
	s_waitcnt lgkmcnt(0)
	v_and_b32_e32 v21, 1, v20
	v_xor_b32_e32 v20, 1, v20
	s_delay_alu instid0(VALU_DEP_2) | instskip(NEXT) | instid1(VALU_DEP_1)
	v_lshrrev_b32_e32 v21, s30, v21
	v_and_b32_e32 v21, s31, v21
	s_delay_alu instid0(VALU_DEP_1)
	v_lshlrev_b32_e32 v21, 2, v21
	ds_load_b32 v21, v21
	s_waitcnt lgkmcnt(0)
	v_add_nc_u32_e32 v21, v21, v31
	global_store_b8 v21, v20, s[40:41]
	s_or_b32 exec_lo, exec_lo, s16
	v_cmp_lt_u32_e64 s18, v35, v2
	s_delay_alu instid0(VALU_DEP_1)
	s_and_saveexec_b32 s16, s18
	s_cbranch_execnz .LBB1540_277
.LBB1540_284:                           ;   in Loop: Header=BB1540_232 Depth=2
	s_or_b32 exec_lo, exec_lo, s16
	v_cmp_lt_u32_e64 s17, v36, v2
	s_delay_alu instid0(VALU_DEP_1)
	s_and_saveexec_b32 s16, s17
	s_cbranch_execz .LBB1540_278
.LBB1540_285:                           ;   in Loop: Header=BB1540_232 Depth=2
	ds_load_u8 v20, v35 offset:1280
	s_waitcnt lgkmcnt(0)
	v_and_b32_e32 v21, 1, v20
	v_xor_b32_e32 v20, 1, v20
	s_delay_alu instid0(VALU_DEP_2) | instskip(NEXT) | instid1(VALU_DEP_1)
	v_lshrrev_b32_e32 v21, s30, v21
	v_and_b32_e32 v21, s31, v21
	s_delay_alu instid0(VALU_DEP_1)
	v_lshlrev_b32_e32 v21, 2, v21
	ds_load_b32 v21, v21
	s_waitcnt lgkmcnt(0)
	v_add_nc_u32_e32 v21, v21, v36
	global_store_b8 v21, v20, s[40:41]
	s_or_b32 exec_lo, exec_lo, s16
	v_cmp_lt_u32_e64 s16, v37, v2
	s_delay_alu instid0(VALU_DEP_1)
	s_and_saveexec_b32 s23, s16
	s_cbranch_execnz .LBB1540_279
.LBB1540_286:                           ;   in Loop: Header=BB1540_232 Depth=2
	s_or_b32 exec_lo, exec_lo, s23
	v_cmp_lt_u32_e32 vcc_lo, v39, v2
	s_and_saveexec_b32 s23, vcc_lo
	s_cbranch_execz .LBB1540_288
.LBB1540_287:                           ;   in Loop: Header=BB1540_232 Depth=2
	ds_load_u8 v20, v35 offset:1792
	s_waitcnt lgkmcnt(0)
	v_and_b32_e32 v21, 1, v20
	v_xor_b32_e32 v20, 1, v20
	s_delay_alu instid0(VALU_DEP_2) | instskip(NEXT) | instid1(VALU_DEP_1)
	v_lshrrev_b32_e32 v21, s30, v21
	v_and_b32_e32 v21, s31, v21
	s_delay_alu instid0(VALU_DEP_1)
	v_lshlrev_b32_e32 v21, 2, v21
	ds_load_b32 v21, v21
	s_waitcnt lgkmcnt(0)
	v_add_nc_u32_e32 v21, v21, v39
	global_store_b8 v21, v20, s[40:41]
.LBB1540_288:                           ;   in Loop: Header=BB1540_232 Depth=2
	s_or_b32 exec_lo, exec_lo, s23
	s_lshl_b64 s[52:53], s[24:25], 3
	s_delay_alu instid0(SALU_CYCLE_1) | instskip(NEXT) | instid1(VALU_DEP_1)
	v_add_co_u32 v20, s23, v73, s52
	v_add_co_ci_u32_e64 v21, s23, s53, v74, s23
	v_cmp_lt_u32_e64 s23, v70, v2
	s_delay_alu instid0(VALU_DEP_1) | instskip(NEXT) | instid1(SALU_CYCLE_1)
	s_and_saveexec_b32 s24, s23
	s_xor_b32 s23, exec_lo, s24
	s_cbranch_execz .LBB1540_304
; %bb.289:                              ;   in Loop: Header=BB1540_232 Depth=2
	global_load_b64 v[18:19], v[20:21], off
	s_or_b32 exec_lo, exec_lo, s23
	s_delay_alu instid0(SALU_CYCLE_1)
	s_mov_b32 s24, exec_lo
	v_cmpx_lt_u32_e64 v75, v2
	s_cbranch_execnz .LBB1540_305
.LBB1540_290:                           ;   in Loop: Header=BB1540_232 Depth=2
	s_or_b32 exec_lo, exec_lo, s24
	s_delay_alu instid0(SALU_CYCLE_1)
	s_mov_b32 s24, exec_lo
	v_cmpx_lt_u32_e64 v76, v2
	s_cbranch_execz .LBB1540_306
.LBB1540_291:                           ;   in Loop: Header=BB1540_232 Depth=2
	global_load_b64 v[14:15], v[20:21], off offset:512
	s_or_b32 exec_lo, exec_lo, s24
	s_delay_alu instid0(SALU_CYCLE_1)
	s_mov_b32 s24, exec_lo
	v_cmpx_lt_u32_e64 v77, v2
	s_cbranch_execnz .LBB1540_307
.LBB1540_292:                           ;   in Loop: Header=BB1540_232 Depth=2
	s_or_b32 exec_lo, exec_lo, s24
	s_delay_alu instid0(SALU_CYCLE_1)
	s_mov_b32 s24, exec_lo
	v_cmpx_lt_u32_e64 v78, v2
	s_cbranch_execz .LBB1540_308
.LBB1540_293:                           ;   in Loop: Header=BB1540_232 Depth=2
	global_load_b64 v[10:11], v[20:21], off offset:1024
	s_or_b32 exec_lo, exec_lo, s24
	s_delay_alu instid0(SALU_CYCLE_1)
	s_mov_b32 s24, exec_lo
	v_cmpx_lt_u32_e64 v79, v2
	s_cbranch_execnz .LBB1540_309
.LBB1540_294:                           ;   in Loop: Header=BB1540_232 Depth=2
	s_or_b32 exec_lo, exec_lo, s24
	s_delay_alu instid0(SALU_CYCLE_1)
	s_mov_b32 s24, exec_lo
	v_cmpx_lt_u32_e64 v80, v2
	s_cbranch_execz .LBB1540_310
.LBB1540_295:                           ;   in Loop: Header=BB1540_232 Depth=2
	global_load_b64 v[6:7], v[20:21], off offset:1536
	s_or_b32 exec_lo, exec_lo, s24
	s_delay_alu instid0(SALU_CYCLE_1)
	s_mov_b32 s24, exec_lo
	v_cmpx_lt_u32_e64 v81, v2
	s_cbranch_execnz .LBB1540_311
.LBB1540_296:                           ;   in Loop: Header=BB1540_232 Depth=2
	s_or_b32 exec_lo, exec_lo, s24
	s_and_saveexec_b32 s23, s21
	s_cbranch_execz .LBB1540_312
.LBB1540_297:                           ;   in Loop: Header=BB1540_232 Depth=2
	ds_load_u8 v2, v1 offset:1024
	s_waitcnt lgkmcnt(0)
	v_lshrrev_b32_e32 v2, s30, v2
	s_delay_alu instid0(VALU_DEP_1)
	v_and_b32_e32 v92, s31, v2
	s_or_b32 exec_lo, exec_lo, s23
	s_and_saveexec_b32 s23, s22
	s_cbranch_execnz .LBB1540_313
.LBB1540_298:                           ;   in Loop: Header=BB1540_232 Depth=2
	s_or_b32 exec_lo, exec_lo, s23
	s_and_saveexec_b32 s23, s20
	s_cbranch_execz .LBB1540_314
.LBB1540_299:                           ;   in Loop: Header=BB1540_232 Depth=2
	ds_load_u8 v2, v35 offset:512
	s_waitcnt lgkmcnt(0)
	v_lshrrev_b32_e32 v2, s30, v2
	s_delay_alu instid0(VALU_DEP_1)
	v_and_b32_e32 v90, s31, v2
	s_or_b32 exec_lo, exec_lo, s23
	s_and_saveexec_b32 s23, s19
	s_cbranch_execnz .LBB1540_315
.LBB1540_300:                           ;   in Loop: Header=BB1540_232 Depth=2
	s_or_b32 exec_lo, exec_lo, s23
	s_and_saveexec_b32 s23, s18
	s_cbranch_execz .LBB1540_316
.LBB1540_301:                           ;   in Loop: Header=BB1540_232 Depth=2
	ds_load_u8 v2, v35 offset:1024
	s_waitcnt lgkmcnt(0)
	v_lshrrev_b32_e32 v2, s30, v2
	s_delay_alu instid0(VALU_DEP_1)
	v_and_b32_e32 v88, s31, v2
	s_or_b32 exec_lo, exec_lo, s23
	s_and_saveexec_b32 s23, s17
	s_cbranch_execnz .LBB1540_317
.LBB1540_302:                           ;   in Loop: Header=BB1540_232 Depth=2
	s_or_b32 exec_lo, exec_lo, s23
	s_and_saveexec_b32 s23, s16
	s_cbranch_execz .LBB1540_318
.LBB1540_303:                           ;   in Loop: Header=BB1540_232 Depth=2
	ds_load_u8 v2, v35 offset:1536
	s_waitcnt lgkmcnt(0)
	v_lshrrev_b32_e32 v2, s30, v2
	s_delay_alu instid0(VALU_DEP_1)
	v_and_b32_e32 v86, s31, v2
	s_or_b32 exec_lo, exec_lo, s23
	s_and_saveexec_b32 s23, vcc_lo
	s_cbranch_execnz .LBB1540_319
	s_branch .LBB1540_320
.LBB1540_304:                           ;   in Loop: Header=BB1540_232 Depth=2
	s_or_b32 exec_lo, exec_lo, s23
	s_delay_alu instid0(SALU_CYCLE_1)
	s_mov_b32 s24, exec_lo
	v_cmpx_lt_u32_e64 v75, v2
	s_cbranch_execz .LBB1540_290
.LBB1540_305:                           ;   in Loop: Header=BB1540_232 Depth=2
	global_load_b64 v[16:17], v[20:21], off offset:256
	s_or_b32 exec_lo, exec_lo, s24
	s_delay_alu instid0(SALU_CYCLE_1)
	s_mov_b32 s24, exec_lo
	v_cmpx_lt_u32_e64 v76, v2
	s_cbranch_execnz .LBB1540_291
.LBB1540_306:                           ;   in Loop: Header=BB1540_232 Depth=2
	s_or_b32 exec_lo, exec_lo, s24
	s_delay_alu instid0(SALU_CYCLE_1)
	s_mov_b32 s24, exec_lo
	v_cmpx_lt_u32_e64 v77, v2
	s_cbranch_execz .LBB1540_292
.LBB1540_307:                           ;   in Loop: Header=BB1540_232 Depth=2
	global_load_b64 v[12:13], v[20:21], off offset:768
	s_or_b32 exec_lo, exec_lo, s24
	s_delay_alu instid0(SALU_CYCLE_1)
	s_mov_b32 s24, exec_lo
	v_cmpx_lt_u32_e64 v78, v2
	s_cbranch_execnz .LBB1540_293
.LBB1540_308:                           ;   in Loop: Header=BB1540_232 Depth=2
	s_or_b32 exec_lo, exec_lo, s24
	s_delay_alu instid0(SALU_CYCLE_1)
	s_mov_b32 s24, exec_lo
	v_cmpx_lt_u32_e64 v79, v2
	s_cbranch_execz .LBB1540_294
.LBB1540_309:                           ;   in Loop: Header=BB1540_232 Depth=2
	global_load_b64 v[8:9], v[20:21], off offset:1280
	s_or_b32 exec_lo, exec_lo, s24
	s_delay_alu instid0(SALU_CYCLE_1)
	s_mov_b32 s24, exec_lo
	v_cmpx_lt_u32_e64 v80, v2
	s_cbranch_execnz .LBB1540_295
.LBB1540_310:                           ;   in Loop: Header=BB1540_232 Depth=2
	s_or_b32 exec_lo, exec_lo, s24
	s_delay_alu instid0(SALU_CYCLE_1)
	s_mov_b32 s24, exec_lo
	v_cmpx_lt_u32_e64 v81, v2
	s_cbranch_execz .LBB1540_296
.LBB1540_311:                           ;   in Loop: Header=BB1540_232 Depth=2
	global_load_b64 v[4:5], v[20:21], off offset:1792
	s_or_b32 exec_lo, exec_lo, s24
	s_and_saveexec_b32 s23, s21
	s_cbranch_execnz .LBB1540_297
.LBB1540_312:                           ;   in Loop: Header=BB1540_232 Depth=2
	s_or_b32 exec_lo, exec_lo, s23
	s_and_saveexec_b32 s23, s22
	s_cbranch_execz .LBB1540_298
.LBB1540_313:                           ;   in Loop: Header=BB1540_232 Depth=2
	ds_load_u8 v2, v35 offset:256
	s_waitcnt lgkmcnt(0)
	v_lshrrev_b32_e32 v2, s30, v2
	s_delay_alu instid0(VALU_DEP_1)
	v_and_b32_e32 v91, s31, v2
	s_or_b32 exec_lo, exec_lo, s23
	s_and_saveexec_b32 s23, s20
	s_cbranch_execnz .LBB1540_299
.LBB1540_314:                           ;   in Loop: Header=BB1540_232 Depth=2
	s_or_b32 exec_lo, exec_lo, s23
	s_and_saveexec_b32 s23, s19
	s_cbranch_execz .LBB1540_300
.LBB1540_315:                           ;   in Loop: Header=BB1540_232 Depth=2
	ds_load_u8 v2, v35 offset:768
	s_waitcnt lgkmcnt(0)
	v_lshrrev_b32_e32 v2, s30, v2
	s_delay_alu instid0(VALU_DEP_1)
	v_and_b32_e32 v89, s31, v2
	s_or_b32 exec_lo, exec_lo, s23
	s_and_saveexec_b32 s23, s18
	s_cbranch_execnz .LBB1540_301
.LBB1540_316:                           ;   in Loop: Header=BB1540_232 Depth=2
	s_or_b32 exec_lo, exec_lo, s23
	s_and_saveexec_b32 s23, s17
	s_cbranch_execz .LBB1540_302
.LBB1540_317:                           ;   in Loop: Header=BB1540_232 Depth=2
	ds_load_u8 v2, v35 offset:1280
	s_waitcnt lgkmcnt(0)
	v_lshrrev_b32_e32 v2, s30, v2
	s_delay_alu instid0(VALU_DEP_1)
	v_and_b32_e32 v87, s31, v2
	s_or_b32 exec_lo, exec_lo, s23
	s_and_saveexec_b32 s23, s16
	s_cbranch_execnz .LBB1540_303
.LBB1540_318:                           ;   in Loop: Header=BB1540_232 Depth=2
	s_or_b32 exec_lo, exec_lo, s23
	s_and_saveexec_b32 s23, vcc_lo
	s_cbranch_execz .LBB1540_320
.LBB1540_319:                           ;   in Loop: Header=BB1540_232 Depth=2
	ds_load_u8 v2, v35 offset:1792
	s_waitcnt lgkmcnt(0)
	v_lshrrev_b32_e32 v2, s30, v2
	s_delay_alu instid0(VALU_DEP_1)
	v_and_b32_e32 v85, s31, v2
.LBB1540_320:                           ;   in Loop: Header=BB1540_232 Depth=2
	s_or_b32 exec_lo, exec_lo, s23
	v_lshlrev_b32_e32 v2, 3, v100
	v_lshlrev_b32_e32 v20, 3, v96
	;; [unrolled: 1-line block ×3, first 2 shown]
	s_waitcnt vmcnt(0)
	s_waitcnt_vscnt null, 0x0
	s_barrier
	buffer_gl0_inv
	ds_store_b64 v2, v[18:19] offset:1024
	ds_store_b64 v20, v[16:17] offset:1024
	;; [unrolled: 1-line block ×3, first 2 shown]
	v_lshlrev_b32_e32 v2, 3, v27
	v_lshlrev_b32_e32 v20, 3, v26
	;; [unrolled: 1-line block ×5, first 2 shown]
	ds_store_b64 v2, v[12:13] offset:1024
	ds_store_b64 v20, v[10:11] offset:1024
	;; [unrolled: 1-line block ×5, first 2 shown]
	s_waitcnt lgkmcnt(0)
	s_barrier
	buffer_gl0_inv
	s_and_saveexec_b32 s23, s21
	s_cbranch_execz .LBB1540_328
; %bb.321:                              ;   in Loop: Header=BB1540_232 Depth=2
	v_lshlrev_b32_e32 v2, 2, v92
	v_add_nc_u32_e32 v20, v1, v52
	ds_load_b32 v2, v2
	ds_load_b64 v[20:21], v20 offset:1024
	s_waitcnt lgkmcnt(1)
	v_add_nc_u32_e32 v2, v2, v1
	s_delay_alu instid0(VALU_DEP_1) | instskip(NEXT) | instid1(VALU_DEP_1)
	v_lshlrev_b64 v[23:24], 3, v[2:3]
	v_add_co_u32 v23, s21, s46, v23
	s_delay_alu instid0(VALU_DEP_1)
	v_add_co_ci_u32_e64 v24, s21, s47, v24, s21
	s_waitcnt lgkmcnt(0)
	global_store_b64 v[23:24], v[20:21], off
	s_or_b32 exec_lo, exec_lo, s23
	s_and_saveexec_b32 s23, s22
	s_cbranch_execnz .LBB1540_329
.LBB1540_322:                           ;   in Loop: Header=BB1540_232 Depth=2
	s_or_b32 exec_lo, exec_lo, s23
	s_and_saveexec_b32 s21, s20
	s_cbranch_execz .LBB1540_330
.LBB1540_323:                           ;   in Loop: Header=BB1540_232 Depth=2
	v_lshlrev_b32_e32 v2, 2, v90
	v_add_nc_u32_e32 v20, v35, v52
	ds_load_b32 v2, v2
	ds_load_b64 v[20:21], v20 offset:4096
	s_waitcnt lgkmcnt(1)
	v_add_nc_u32_e32 v2, v2, v30
	s_delay_alu instid0(VALU_DEP_1) | instskip(NEXT) | instid1(VALU_DEP_1)
	v_lshlrev_b64 v[23:24], 3, v[2:3]
	v_add_co_u32 v23, s20, s46, v23
	s_delay_alu instid0(VALU_DEP_1)
	v_add_co_ci_u32_e64 v24, s20, s47, v24, s20
	s_waitcnt lgkmcnt(0)
	global_store_b64 v[23:24], v[20:21], off
	s_or_b32 exec_lo, exec_lo, s21
	s_and_saveexec_b32 s20, s19
	s_cbranch_execnz .LBB1540_331
.LBB1540_324:                           ;   in Loop: Header=BB1540_232 Depth=2
	s_or_b32 exec_lo, exec_lo, s20
	s_and_saveexec_b32 s19, s18
	s_cbranch_execz .LBB1540_332
.LBB1540_325:                           ;   in Loop: Header=BB1540_232 Depth=2
	v_lshlrev_b32_e32 v2, 2, v88
	v_add_nc_u32_e32 v20, v35, v52
	ds_load_b32 v2, v2
	ds_load_b64 v[20:21], v20 offset:8192
	s_waitcnt lgkmcnt(1)
	v_add_nc_u32_e32 v2, v2, v35
	s_delay_alu instid0(VALU_DEP_1) | instskip(NEXT) | instid1(VALU_DEP_1)
	v_lshlrev_b64 v[23:24], 3, v[2:3]
	v_add_co_u32 v23, s18, s46, v23
	s_delay_alu instid0(VALU_DEP_1)
	v_add_co_ci_u32_e64 v24, s18, s47, v24, s18
	s_waitcnt lgkmcnt(0)
	global_store_b64 v[23:24], v[20:21], off
	s_or_b32 exec_lo, exec_lo, s19
	s_and_saveexec_b32 s18, s17
	s_cbranch_execnz .LBB1540_333
.LBB1540_326:                           ;   in Loop: Header=BB1540_232 Depth=2
	s_or_b32 exec_lo, exec_lo, s18
	s_and_saveexec_b32 s17, s16
	s_cbranch_execz .LBB1540_334
.LBB1540_327:                           ;   in Loop: Header=BB1540_232 Depth=2
	v_lshlrev_b32_e32 v2, 2, v86
	v_add_nc_u32_e32 v20, v35, v52
	ds_load_b32 v2, v2
	ds_load_b64 v[20:21], v20 offset:12288
	s_waitcnt lgkmcnt(1)
	v_add_nc_u32_e32 v2, v2, v37
	s_delay_alu instid0(VALU_DEP_1) | instskip(NEXT) | instid1(VALU_DEP_1)
	v_lshlrev_b64 v[23:24], 3, v[2:3]
	v_add_co_u32 v23, s16, s46, v23
	s_delay_alu instid0(VALU_DEP_1)
	v_add_co_ci_u32_e64 v24, s16, s47, v24, s16
	s_waitcnt lgkmcnt(0)
	global_store_b64 v[23:24], v[20:21], off
	s_or_b32 exec_lo, exec_lo, s17
	s_and_saveexec_b32 s16, vcc_lo
	s_cbranch_execnz .LBB1540_335
	s_branch .LBB1540_336
.LBB1540_328:                           ;   in Loop: Header=BB1540_232 Depth=2
	s_or_b32 exec_lo, exec_lo, s23
	s_and_saveexec_b32 s23, s22
	s_cbranch_execz .LBB1540_322
.LBB1540_329:                           ;   in Loop: Header=BB1540_232 Depth=2
	v_lshlrev_b32_e32 v2, 2, v91
	v_add_nc_u32_e32 v20, v35, v52
	ds_load_b32 v2, v2
	ds_load_b64 v[20:21], v20 offset:2048
	s_waitcnt lgkmcnt(1)
	v_add_nc_u32_e32 v2, v2, v29
	s_delay_alu instid0(VALU_DEP_1) | instskip(NEXT) | instid1(VALU_DEP_1)
	v_lshlrev_b64 v[23:24], 3, v[2:3]
	v_add_co_u32 v23, s21, s46, v23
	s_delay_alu instid0(VALU_DEP_1)
	v_add_co_ci_u32_e64 v24, s21, s47, v24, s21
	s_waitcnt lgkmcnt(0)
	global_store_b64 v[23:24], v[20:21], off
	s_or_b32 exec_lo, exec_lo, s23
	s_and_saveexec_b32 s21, s20
	s_cbranch_execnz .LBB1540_323
.LBB1540_330:                           ;   in Loop: Header=BB1540_232 Depth=2
	s_or_b32 exec_lo, exec_lo, s21
	s_and_saveexec_b32 s20, s19
	s_cbranch_execz .LBB1540_324
.LBB1540_331:                           ;   in Loop: Header=BB1540_232 Depth=2
	v_lshlrev_b32_e32 v2, 2, v89
	v_add_nc_u32_e32 v20, v35, v52
	ds_load_b32 v2, v2
	ds_load_b64 v[20:21], v20 offset:6144
	s_waitcnt lgkmcnt(1)
	v_add_nc_u32_e32 v2, v2, v31
	s_delay_alu instid0(VALU_DEP_1) | instskip(NEXT) | instid1(VALU_DEP_1)
	v_lshlrev_b64 v[23:24], 3, v[2:3]
	v_add_co_u32 v23, s19, s46, v23
	s_delay_alu instid0(VALU_DEP_1)
	v_add_co_ci_u32_e64 v24, s19, s47, v24, s19
	s_waitcnt lgkmcnt(0)
	global_store_b64 v[23:24], v[20:21], off
	s_or_b32 exec_lo, exec_lo, s20
	s_and_saveexec_b32 s19, s18
	s_cbranch_execnz .LBB1540_325
.LBB1540_332:                           ;   in Loop: Header=BB1540_232 Depth=2
	s_or_b32 exec_lo, exec_lo, s19
	s_and_saveexec_b32 s18, s17
	s_cbranch_execz .LBB1540_326
.LBB1540_333:                           ;   in Loop: Header=BB1540_232 Depth=2
	v_lshlrev_b32_e32 v2, 2, v87
	v_add_nc_u32_e32 v20, v35, v52
	ds_load_b32 v2, v2
	ds_load_b64 v[20:21], v20 offset:10240
	s_waitcnt lgkmcnt(1)
	v_add_nc_u32_e32 v2, v2, v36
	s_delay_alu instid0(VALU_DEP_1) | instskip(NEXT) | instid1(VALU_DEP_1)
	v_lshlrev_b64 v[23:24], 3, v[2:3]
	v_add_co_u32 v23, s17, s46, v23
	s_delay_alu instid0(VALU_DEP_1)
	v_add_co_ci_u32_e64 v24, s17, s47, v24, s17
	s_waitcnt lgkmcnt(0)
	global_store_b64 v[23:24], v[20:21], off
	s_or_b32 exec_lo, exec_lo, s18
	s_and_saveexec_b32 s17, s16
	s_cbranch_execnz .LBB1540_327
.LBB1540_334:                           ;   in Loop: Header=BB1540_232 Depth=2
	s_or_b32 exec_lo, exec_lo, s17
	s_and_saveexec_b32 s16, vcc_lo
	s_cbranch_execz .LBB1540_336
.LBB1540_335:                           ;   in Loop: Header=BB1540_232 Depth=2
	v_lshlrev_b32_e32 v2, 2, v85
	v_add_nc_u32_e32 v20, v35, v52
	ds_load_b32 v2, v2
	ds_load_b64 v[20:21], v20 offset:14336
	s_waitcnt lgkmcnt(1)
	v_add_nc_u32_e32 v2, v2, v39
	s_delay_alu instid0(VALU_DEP_1) | instskip(NEXT) | instid1(VALU_DEP_1)
	v_lshlrev_b64 v[23:24], 3, v[2:3]
	v_add_co_u32 v23, vcc_lo, s46, v23
	s_delay_alu instid0(VALU_DEP_2)
	v_add_co_ci_u32_e32 v24, vcc_lo, s47, v24, vcc_lo
	s_waitcnt lgkmcnt(0)
	global_store_b64 v[23:24], v[20:21], off
.LBB1540_336:                           ;   in Loop: Header=BB1540_232 Depth=2
	s_or_b32 exec_lo, exec_lo, s16
	s_waitcnt_vscnt null, 0x0
	s_barrier
	buffer_gl0_inv
	s_and_saveexec_b32 s16, s2
	s_cbranch_execz .LBB1540_231
; %bb.337:                              ;   in Loop: Header=BB1540_232 Depth=2
	ds_load_b32 v2, v28
	s_waitcnt lgkmcnt(0)
	v_add_nc_u32_e32 v2, v2, v22
	ds_store_b32 v28, v2
	s_branch .LBB1540_231
.LBB1540_338:                           ;   in Loop: Header=BB1540_232 Depth=2
	s_or_b32 exec_lo, exec_lo, s16
	s_delay_alu instid0(SALU_CYCLE_1)
	s_mov_b32 s16, exec_lo
	v_cmpx_gt_u32_e64 s42, v75
	s_cbranch_execz .LBB1540_237
.LBB1540_339:                           ;   in Loop: Header=BB1540_232 Depth=2
	global_load_u8 v2, v[22:23], off offset:32
	s_waitcnt vmcnt(0)
	v_perm_b32 v20, v20, v2, 0x7060004
	s_or_b32 exec_lo, exec_lo, s16
	s_delay_alu instid0(SALU_CYCLE_1)
	s_mov_b32 s16, exec_lo
	v_cmpx_gt_u32_e64 s42, v76
	s_cbranch_execnz .LBB1540_238
.LBB1540_340:                           ;   in Loop: Header=BB1540_232 Depth=2
	s_or_b32 exec_lo, exec_lo, s16
	s_delay_alu instid0(SALU_CYCLE_1)
	s_mov_b32 s16, exec_lo
	v_cmpx_gt_u32_e64 s42, v77
	s_cbranch_execz .LBB1540_239
.LBB1540_341:                           ;   in Loop: Header=BB1540_232 Depth=2
	global_load_u8 v2, v[22:23], off offset:96
	v_lshrrev_b32_e32 v24, 16, v20
	s_delay_alu instid0(VALU_DEP_1) | instskip(SKIP_2) | instid1(VALU_DEP_1)
	v_and_b32_e32 v24, 0xff, v24
	s_waitcnt vmcnt(0)
	v_lshlrev_b16 v2, 8, v2
	v_or_b32_e32 v2, v24, v2
	s_delay_alu instid0(VALU_DEP_1) | instskip(NEXT) | instid1(VALU_DEP_1)
	v_lshlrev_b32_e32 v2, 16, v2
	v_and_or_b32 v20, 0xffff, v20, v2
	s_or_b32 exec_lo, exec_lo, s16
	s_delay_alu instid0(SALU_CYCLE_1)
	s_mov_b32 s16, exec_lo
	v_cmpx_gt_u32_e64 s42, v78
	s_cbranch_execnz .LBB1540_240
.LBB1540_342:                           ;   in Loop: Header=BB1540_232 Depth=2
	s_or_b32 exec_lo, exec_lo, s16
	s_delay_alu instid0(SALU_CYCLE_1)
	s_mov_b32 s16, exec_lo
	v_cmpx_gt_u32_e64 s42, v79
	s_cbranch_execz .LBB1540_241
.LBB1540_343:                           ;   in Loop: Header=BB1540_232 Depth=2
	global_load_u8 v2, v[22:23], off offset:160
	s_waitcnt vmcnt(0)
	v_perm_b32 v21, v21, v2, 0x7060004
	s_or_b32 exec_lo, exec_lo, s16
	s_delay_alu instid0(SALU_CYCLE_1)
	s_mov_b32 s16, exec_lo
	v_cmpx_gt_u32_e64 s42, v80
	s_cbranch_execnz .LBB1540_242
	s_branch .LBB1540_243
.LBB1540_344:                           ;   in Loop: Header=BB1540_12 Depth=1
	s_waitcnt lgkmcnt(0)
	s_barrier
.LBB1540_345:                           ;   in Loop: Header=BB1540_12 Depth=1
	s_mov_b32 s0, 0
.LBB1540_346:                           ;   in Loop: Header=BB1540_12 Depth=1
	s_delay_alu instid0(SALU_CYCLE_1)
	s_and_not1_b32 vcc_lo, exec_lo, s0
	s_cbranch_vccnz .LBB1540_11
; %bb.347:                              ;   in Loop: Header=BB1540_12 Depth=1
	s_and_b32 vcc_lo, exec_lo, s34
	s_mov_b32 s0, -1
	s_cbranch_vccz .LBB1540_513
; %bb.348:                              ;   in Loop: Header=BB1540_12 Depth=1
	s_mov_b32 s0, s35
	s_mov_b32 s9, s27
	s_barrier
	buffer_gl0_inv
                                        ; implicit-def: $vgpr2
                                        ; implicit-def: $vgpr6
                                        ; implicit-def: $vgpr7
                                        ; implicit-def: $vgpr8
                                        ; implicit-def: $vgpr9
                                        ; implicit-def: $vgpr10
                                        ; implicit-def: $vgpr11
                                        ; implicit-def: $vgpr12
	s_branch .LBB1540_350
.LBB1540_349:                           ;   in Loop: Header=BB1540_350 Depth=2
	s_or_b32 exec_lo, exec_lo, s8
	s_addk_i32 s0, 0xf800
	s_cmp_ge_u32 s1, s33
	s_mov_b32 s9, s1
	s_cbranch_scc1 .LBB1540_388
.LBB1540_350:                           ;   Parent Loop BB1540_12 Depth=1
                                        ; =>  This Inner Loop Header: Depth=2
	s_add_i32 s1, s9, 0x800
	s_delay_alu instid0(SALU_CYCLE_1)
	s_cmp_gt_u32 s1, s33
	s_cbranch_scc1 .LBB1540_353
; %bb.351:                              ;   in Loop: Header=BB1540_350 Depth=2
	v_add_co_u32 v4, vcc_lo, v59, s9
	v_add_co_ci_u32_e32 v5, vcc_lo, 0, v60, vcc_lo
	s_mov_b32 s8, -1
	s_movk_i32 s12, 0x800
	s_clause 0x6
	global_load_u8 v20, v[4:5], off offset:1536
	global_load_u8 v19, v[4:5], off offset:1280
	;; [unrolled: 1-line block ×6, first 2 shown]
	global_load_u8 v14, v[4:5], off
	v_add_co_u32 v4, vcc_lo, 0x700, v4
	v_add_co_ci_u32_e32 v5, vcc_lo, 0, v5, vcc_lo
	s_cbranch_execz .LBB1540_354
; %bb.352:                              ;   in Loop: Header=BB1540_350 Depth=2
                                        ; implicit-def: $vgpr2
                                        ; implicit-def: $vgpr6
                                        ; implicit-def: $vgpr7
                                        ; implicit-def: $vgpr8
                                        ; implicit-def: $vgpr9
                                        ; implicit-def: $vgpr10
                                        ; implicit-def: $vgpr11
                                        ; implicit-def: $vgpr12
	v_mov_b32_e32 v13, s0
	s_and_saveexec_b32 s9, s8
	s_cbranch_execnz .LBB1540_365
	s_branch .LBB1540_366
.LBB1540_353:                           ;   in Loop: Header=BB1540_350 Depth=2
	s_mov_b32 s8, 0
                                        ; implicit-def: $sgpr12
                                        ; implicit-def: $vgpr14
                                        ; implicit-def: $vgpr15
                                        ; implicit-def: $vgpr16
                                        ; implicit-def: $vgpr17
                                        ; implicit-def: $vgpr18
                                        ; implicit-def: $vgpr19
                                        ; implicit-def: $vgpr20
                                        ; implicit-def: $vgpr4_vgpr5
.LBB1540_354:                           ;   in Loop: Header=BB1540_350 Depth=2
	s_add_u32 s10, s36, s9
	s_addc_u32 s11, s37, 0
	s_mov_b32 s12, exec_lo
	v_cmpx_gt_u32_e64 s0, v1
	s_cbranch_execz .LBB1540_382
; %bb.355:                              ;   in Loop: Header=BB1540_350 Depth=2
	v_add_co_u32 v4, s13, s10, v1
	s_delay_alu instid0(VALU_DEP_1) | instskip(SKIP_2) | instid1(SALU_CYCLE_1)
	v_add_co_ci_u32_e64 v5, null, s11, 0, s13
	global_load_u8 v2, v[4:5], off
	s_or_b32 exec_lo, exec_lo, s12
	s_mov_b32 s12, exec_lo
	v_cmpx_gt_u32_e64 s0, v29
	s_cbranch_execnz .LBB1540_383
.LBB1540_356:                           ;   in Loop: Header=BB1540_350 Depth=2
	s_or_b32 exec_lo, exec_lo, s12
	s_delay_alu instid0(SALU_CYCLE_1)
	s_mov_b32 s12, exec_lo
	v_cmpx_gt_u32_e64 s0, v30
	s_cbranch_execz .LBB1540_384
.LBB1540_357:                           ;   in Loop: Header=BB1540_350 Depth=2
	v_add_co_u32 v4, s13, s10, v1
	s_delay_alu instid0(VALU_DEP_1) | instskip(SKIP_2) | instid1(SALU_CYCLE_1)
	v_add_co_ci_u32_e64 v5, null, s11, 0, s13
	global_load_u8 v7, v[4:5], off offset:512
	s_or_b32 exec_lo, exec_lo, s12
	s_mov_b32 s12, exec_lo
	v_cmpx_gt_u32_e64 s0, v31
	s_cbranch_execnz .LBB1540_385
.LBB1540_358:                           ;   in Loop: Header=BB1540_350 Depth=2
	s_or_b32 exec_lo, exec_lo, s12
	s_delay_alu instid0(SALU_CYCLE_1)
	s_mov_b32 s12, exec_lo
	v_cmpx_gt_u32_e64 s0, v35
	s_cbranch_execz .LBB1540_386
.LBB1540_359:                           ;   in Loop: Header=BB1540_350 Depth=2
	v_add_co_u32 v4, s13, s10, v1
	s_delay_alu instid0(VALU_DEP_1) | instskip(SKIP_2) | instid1(SALU_CYCLE_1)
	v_add_co_ci_u32_e64 v5, null, s11, 0, s13
	global_load_u8 v9, v[4:5], off offset:1024
	s_or_b32 exec_lo, exec_lo, s12
	s_mov_b32 s12, exec_lo
	v_cmpx_gt_u32_e64 s0, v36
	s_cbranch_execnz .LBB1540_387
.LBB1540_360:                           ;   in Loop: Header=BB1540_350 Depth=2
	s_or_b32 exec_lo, exec_lo, s12
	s_delay_alu instid0(SALU_CYCLE_1)
	s_mov_b32 s12, exec_lo
	v_cmpx_gt_u32_e64 s0, v37
	s_cbranch_execz .LBB1540_362
.LBB1540_361:                           ;   in Loop: Header=BB1540_350 Depth=2
	v_add_co_u32 v4, s13, s10, v1
	s_delay_alu instid0(VALU_DEP_1)
	v_add_co_ci_u32_e64 v5, null, s11, 0, s13
	global_load_u8 v11, v[4:5], off offset:1536
.LBB1540_362:                           ;   in Loop: Header=BB1540_350 Depth=2
	s_or_b32 exec_lo, exec_lo, s12
	s_delay_alu instid0(SALU_CYCLE_1)
	s_mov_b32 s13, exec_lo
                                        ; implicit-def: $sgpr12
                                        ; implicit-def: $vgpr4_vgpr5
	v_cmpx_gt_u32_e64 s0, v39
; %bb.363:                              ;   in Loop: Header=BB1540_350 Depth=2
	v_add_co_u32 v4, s10, s10, v1
	s_delay_alu instid0(VALU_DEP_1) | instskip(SKIP_1) | instid1(VALU_DEP_2)
	v_add_co_ci_u32_e64 v5, null, s11, 0, s10
	s_sub_i32 s12, s33, s9
	v_add_co_u32 v4, vcc_lo, 0x700, v4
	s_delay_alu instid0(VALU_DEP_2)
	v_add_co_ci_u32_e32 v5, vcc_lo, 0, v5, vcc_lo
	s_or_b32 s8, s8, exec_lo
                                        ; implicit-def: $vgpr12
; %bb.364:                              ;   in Loop: Header=BB1540_350 Depth=2
	s_or_b32 exec_lo, exec_lo, s13
	s_waitcnt vmcnt(0)
	v_dual_mov_b32 v14, v2 :: v_dual_mov_b32 v17, v8
	v_dual_mov_b32 v15, v6 :: v_dual_mov_b32 v16, v7
	;; [unrolled: 1-line block ×4, first 2 shown]
	s_and_saveexec_b32 s9, s8
	s_cbranch_execz .LBB1540_366
.LBB1540_365:                           ;   in Loop: Header=BB1540_350 Depth=2
	global_load_u8 v12, v[4:5], off
	s_waitcnt vmcnt(1)
	v_dual_mov_b32 v13, s12 :: v_dual_mov_b32 v2, v14
	v_dual_mov_b32 v6, v15 :: v_dual_mov_b32 v7, v16
	;; [unrolled: 1-line block ×4, first 2 shown]
.LBB1540_366:                           ;   in Loop: Header=BB1540_350 Depth=2
	s_or_b32 exec_lo, exec_lo, s9
	s_delay_alu instid0(SALU_CYCLE_1)
	s_mov_b32 s8, exec_lo
	v_cmpx_lt_u32_e64 v1, v13
	s_cbranch_execz .LBB1540_374
; %bb.367:                              ;   in Loop: Header=BB1540_350 Depth=2
	v_xor_b32_e32 v4, -1, v2
	v_lshlrev_b32_e32 v5, 2, v32
	s_delay_alu instid0(VALU_DEP_2) | instskip(NEXT) | instid1(VALU_DEP_1)
	v_and_b32_e32 v4, 1, v4
	v_and_b32_e32 v4, 0xffff, v4
	s_delay_alu instid0(VALU_DEP_1) | instskip(NEXT) | instid1(VALU_DEP_1)
	v_lshrrev_b32_e32 v4, s49, v4
	v_and_b32_e32 v4, s31, v4
	s_delay_alu instid0(VALU_DEP_1) | instskip(SKIP_2) | instid1(SALU_CYCLE_1)
	v_lshl_or_b32 v4, v4, 4, v5
	ds_add_u32 v4, v66
	s_or_b32 exec_lo, exec_lo, s8
	s_mov_b32 s8, exec_lo
	v_cmpx_lt_u32_e64 v29, v13
	s_cbranch_execnz .LBB1540_375
.LBB1540_368:                           ;   in Loop: Header=BB1540_350 Depth=2
	s_or_b32 exec_lo, exec_lo, s8
	s_delay_alu instid0(SALU_CYCLE_1)
	s_mov_b32 s8, exec_lo
	v_cmpx_lt_u32_e64 v30, v13
	s_cbranch_execz .LBB1540_376
.LBB1540_369:                           ;   in Loop: Header=BB1540_350 Depth=2
	v_xor_b32_e32 v4, -1, v7
	v_lshlrev_b32_e32 v5, 2, v32
	s_delay_alu instid0(VALU_DEP_2) | instskip(NEXT) | instid1(VALU_DEP_1)
	v_and_b32_e32 v4, 1, v4
	v_and_b32_e32 v4, 0xffff, v4
	s_delay_alu instid0(VALU_DEP_1) | instskip(NEXT) | instid1(VALU_DEP_1)
	v_lshrrev_b32_e32 v4, s49, v4
	v_and_b32_e32 v4, s31, v4
	s_delay_alu instid0(VALU_DEP_1) | instskip(SKIP_2) | instid1(SALU_CYCLE_1)
	v_lshl_or_b32 v4, v4, 4, v5
	ds_add_u32 v4, v66
	s_or_b32 exec_lo, exec_lo, s8
	s_mov_b32 s8, exec_lo
	v_cmpx_lt_u32_e64 v31, v13
	s_cbranch_execnz .LBB1540_377
.LBB1540_370:                           ;   in Loop: Header=BB1540_350 Depth=2
	s_or_b32 exec_lo, exec_lo, s8
	s_delay_alu instid0(SALU_CYCLE_1)
	s_mov_b32 s8, exec_lo
	v_cmpx_lt_u32_e64 v35, v13
	s_cbranch_execz .LBB1540_378
.LBB1540_371:                           ;   in Loop: Header=BB1540_350 Depth=2
	v_xor_b32_e32 v4, -1, v9
	v_lshlrev_b32_e32 v5, 2, v32
	s_delay_alu instid0(VALU_DEP_2) | instskip(NEXT) | instid1(VALU_DEP_1)
	v_and_b32_e32 v4, 1, v4
	v_and_b32_e32 v4, 0xffff, v4
	s_delay_alu instid0(VALU_DEP_1) | instskip(NEXT) | instid1(VALU_DEP_1)
	v_lshrrev_b32_e32 v4, s49, v4
	v_and_b32_e32 v4, s31, v4
	s_delay_alu instid0(VALU_DEP_1) | instskip(SKIP_2) | instid1(SALU_CYCLE_1)
	v_lshl_or_b32 v4, v4, 4, v5
	ds_add_u32 v4, v66
	s_or_b32 exec_lo, exec_lo, s8
	s_mov_b32 s8, exec_lo
	v_cmpx_lt_u32_e64 v36, v13
	s_cbranch_execnz .LBB1540_379
.LBB1540_372:                           ;   in Loop: Header=BB1540_350 Depth=2
	s_or_b32 exec_lo, exec_lo, s8
	s_delay_alu instid0(SALU_CYCLE_1)
	s_mov_b32 s8, exec_lo
	v_cmpx_lt_u32_e64 v37, v13
	s_cbranch_execz .LBB1540_380
.LBB1540_373:                           ;   in Loop: Header=BB1540_350 Depth=2
	v_xor_b32_e32 v4, -1, v11
	v_lshlrev_b32_e32 v5, 2, v32
	s_delay_alu instid0(VALU_DEP_2) | instskip(NEXT) | instid1(VALU_DEP_1)
	v_and_b32_e32 v4, 1, v4
	v_and_b32_e32 v4, 0xffff, v4
	s_delay_alu instid0(VALU_DEP_1) | instskip(NEXT) | instid1(VALU_DEP_1)
	v_lshrrev_b32_e32 v4, s49, v4
	v_and_b32_e32 v4, s31, v4
	s_delay_alu instid0(VALU_DEP_1) | instskip(SKIP_2) | instid1(SALU_CYCLE_1)
	v_lshl_or_b32 v4, v4, 4, v5
	ds_add_u32 v4, v66
	s_or_b32 exec_lo, exec_lo, s8
	s_mov_b32 s8, exec_lo
	v_cmpx_lt_u32_e64 v39, v13
	s_cbranch_execz .LBB1540_349
	s_branch .LBB1540_381
.LBB1540_374:                           ;   in Loop: Header=BB1540_350 Depth=2
	s_or_b32 exec_lo, exec_lo, s8
	s_delay_alu instid0(SALU_CYCLE_1)
	s_mov_b32 s8, exec_lo
	v_cmpx_lt_u32_e64 v29, v13
	s_cbranch_execz .LBB1540_368
.LBB1540_375:                           ;   in Loop: Header=BB1540_350 Depth=2
	v_xor_b32_e32 v4, -1, v6
	v_lshlrev_b32_e32 v5, 2, v32
	s_delay_alu instid0(VALU_DEP_2) | instskip(NEXT) | instid1(VALU_DEP_1)
	v_and_b32_e32 v4, 1, v4
	v_and_b32_e32 v4, 0xffff, v4
	s_delay_alu instid0(VALU_DEP_1) | instskip(NEXT) | instid1(VALU_DEP_1)
	v_lshrrev_b32_e32 v4, s49, v4
	v_and_b32_e32 v4, s31, v4
	s_delay_alu instid0(VALU_DEP_1) | instskip(SKIP_2) | instid1(SALU_CYCLE_1)
	v_lshl_or_b32 v4, v4, 4, v5
	ds_add_u32 v4, v66
	s_or_b32 exec_lo, exec_lo, s8
	s_mov_b32 s8, exec_lo
	v_cmpx_lt_u32_e64 v30, v13
	s_cbranch_execnz .LBB1540_369
.LBB1540_376:                           ;   in Loop: Header=BB1540_350 Depth=2
	s_or_b32 exec_lo, exec_lo, s8
	s_delay_alu instid0(SALU_CYCLE_1)
	s_mov_b32 s8, exec_lo
	v_cmpx_lt_u32_e64 v31, v13
	s_cbranch_execz .LBB1540_370
.LBB1540_377:                           ;   in Loop: Header=BB1540_350 Depth=2
	v_xor_b32_e32 v4, -1, v8
	v_lshlrev_b32_e32 v5, 2, v32
	s_delay_alu instid0(VALU_DEP_2) | instskip(NEXT) | instid1(VALU_DEP_1)
	v_and_b32_e32 v4, 1, v4
	v_and_b32_e32 v4, 0xffff, v4
	s_delay_alu instid0(VALU_DEP_1) | instskip(NEXT) | instid1(VALU_DEP_1)
	v_lshrrev_b32_e32 v4, s49, v4
	v_and_b32_e32 v4, s31, v4
	s_delay_alu instid0(VALU_DEP_1) | instskip(SKIP_2) | instid1(SALU_CYCLE_1)
	v_lshl_or_b32 v4, v4, 4, v5
	ds_add_u32 v4, v66
	s_or_b32 exec_lo, exec_lo, s8
	s_mov_b32 s8, exec_lo
	v_cmpx_lt_u32_e64 v35, v13
	s_cbranch_execnz .LBB1540_371
.LBB1540_378:                           ;   in Loop: Header=BB1540_350 Depth=2
	s_or_b32 exec_lo, exec_lo, s8
	s_delay_alu instid0(SALU_CYCLE_1)
	s_mov_b32 s8, exec_lo
	v_cmpx_lt_u32_e64 v36, v13
	s_cbranch_execz .LBB1540_372
.LBB1540_379:                           ;   in Loop: Header=BB1540_350 Depth=2
	v_xor_b32_e32 v4, -1, v10
	v_lshlrev_b32_e32 v5, 2, v32
	s_delay_alu instid0(VALU_DEP_2) | instskip(NEXT) | instid1(VALU_DEP_1)
	v_and_b32_e32 v4, 1, v4
	v_and_b32_e32 v4, 0xffff, v4
	s_delay_alu instid0(VALU_DEP_1) | instskip(NEXT) | instid1(VALU_DEP_1)
	v_lshrrev_b32_e32 v4, s49, v4
	v_and_b32_e32 v4, s31, v4
	s_delay_alu instid0(VALU_DEP_1) | instskip(SKIP_2) | instid1(SALU_CYCLE_1)
	v_lshl_or_b32 v4, v4, 4, v5
	ds_add_u32 v4, v66
	s_or_b32 exec_lo, exec_lo, s8
	s_mov_b32 s8, exec_lo
	v_cmpx_lt_u32_e64 v37, v13
	s_cbranch_execnz .LBB1540_373
.LBB1540_380:                           ;   in Loop: Header=BB1540_350 Depth=2
	s_or_b32 exec_lo, exec_lo, s8
	s_delay_alu instid0(SALU_CYCLE_1)
	s_mov_b32 s8, exec_lo
	v_cmpx_lt_u32_e64 v39, v13
	s_cbranch_execz .LBB1540_349
.LBB1540_381:                           ;   in Loop: Header=BB1540_350 Depth=2
	s_waitcnt vmcnt(0)
	v_xor_b32_e32 v4, -1, v12
	v_lshlrev_b32_e32 v5, 2, v32
	s_delay_alu instid0(VALU_DEP_2) | instskip(NEXT) | instid1(VALU_DEP_1)
	v_and_b32_e32 v4, 1, v4
	v_and_b32_e32 v4, 0xffff, v4
	s_delay_alu instid0(VALU_DEP_1) | instskip(NEXT) | instid1(VALU_DEP_1)
	v_lshrrev_b32_e32 v4, s49, v4
	v_and_b32_e32 v4, s31, v4
	s_delay_alu instid0(VALU_DEP_1)
	v_lshl_or_b32 v4, v4, 4, v5
	ds_add_u32 v4, v66
	s_branch .LBB1540_349
.LBB1540_382:                           ;   in Loop: Header=BB1540_350 Depth=2
	s_or_b32 exec_lo, exec_lo, s12
	s_delay_alu instid0(SALU_CYCLE_1)
	s_mov_b32 s12, exec_lo
	v_cmpx_gt_u32_e64 s0, v29
	s_cbranch_execz .LBB1540_356
.LBB1540_383:                           ;   in Loop: Header=BB1540_350 Depth=2
	v_add_co_u32 v4, s13, s10, v1
	s_delay_alu instid0(VALU_DEP_1) | instskip(SKIP_2) | instid1(SALU_CYCLE_1)
	v_add_co_ci_u32_e64 v5, null, s11, 0, s13
	global_load_u8 v6, v[4:5], off offset:256
	s_or_b32 exec_lo, exec_lo, s12
	s_mov_b32 s12, exec_lo
	v_cmpx_gt_u32_e64 s0, v30
	s_cbranch_execnz .LBB1540_357
.LBB1540_384:                           ;   in Loop: Header=BB1540_350 Depth=2
	s_or_b32 exec_lo, exec_lo, s12
	s_delay_alu instid0(SALU_CYCLE_1)
	s_mov_b32 s12, exec_lo
	v_cmpx_gt_u32_e64 s0, v31
	s_cbranch_execz .LBB1540_358
.LBB1540_385:                           ;   in Loop: Header=BB1540_350 Depth=2
	v_add_co_u32 v4, s13, s10, v1
	s_delay_alu instid0(VALU_DEP_1) | instskip(SKIP_2) | instid1(SALU_CYCLE_1)
	v_add_co_ci_u32_e64 v5, null, s11, 0, s13
	global_load_u8 v8, v[4:5], off offset:768
	s_or_b32 exec_lo, exec_lo, s12
	s_mov_b32 s12, exec_lo
	v_cmpx_gt_u32_e64 s0, v35
	s_cbranch_execnz .LBB1540_359
.LBB1540_386:                           ;   in Loop: Header=BB1540_350 Depth=2
	s_or_b32 exec_lo, exec_lo, s12
	s_delay_alu instid0(SALU_CYCLE_1)
	s_mov_b32 s12, exec_lo
	v_cmpx_gt_u32_e64 s0, v36
	s_cbranch_execz .LBB1540_360
.LBB1540_387:                           ;   in Loop: Header=BB1540_350 Depth=2
	v_add_co_u32 v4, s13, s10, v1
	s_delay_alu instid0(VALU_DEP_1) | instskip(SKIP_2) | instid1(SALU_CYCLE_1)
	v_add_co_ci_u32_e64 v5, null, s11, 0, s13
	global_load_u8 v10, v[4:5], off offset:1280
	s_or_b32 exec_lo, exec_lo, s12
	s_mov_b32 s12, exec_lo
	v_cmpx_gt_u32_e64 s0, v37
	s_cbranch_execz .LBB1540_362
	s_branch .LBB1540_361
.LBB1540_388:                           ;   in Loop: Header=BB1540_12 Depth=1
	v_mov_b32_e32 v2, 0
	s_waitcnt vmcnt(0) lgkmcnt(0)
	s_barrier
	buffer_gl0_inv
	s_and_saveexec_b32 s0, s2
	s_cbranch_execz .LBB1540_390
; %bb.389:                              ;   in Loop: Header=BB1540_12 Depth=1
	ds_load_2addr_b64 v[4:7], v40 offset1:1
	s_waitcnt lgkmcnt(0)
	v_add_nc_u32_e32 v2, v5, v4
	s_delay_alu instid0(VALU_DEP_1)
	v_add3_u32 v2, v2, v6, v7
.LBB1540_390:                           ;   in Loop: Header=BB1540_12 Depth=1
	s_or_b32 exec_lo, exec_lo, s0
	v_and_b32_e32 v4, 15, v63
	s_delay_alu instid0(VALU_DEP_2) | instskip(SKIP_1) | instid1(VALU_DEP_3)
	v_mov_b32_dpp v5, v2 row_shr:1 row_mask:0xf bank_mask:0xf
	v_and_b32_e32 v6, 16, v63
	v_cmp_eq_u32_e64 s0, 0, v4
	v_cmp_lt_u32_e64 s1, 1, v4
	v_cmp_lt_u32_e64 s8, 3, v4
	;; [unrolled: 1-line block ×3, first 2 shown]
	v_cmp_eq_u32_e64 s10, 0, v6
	v_cndmask_b32_e64 v5, v5, 0, s0
	s_delay_alu instid0(VALU_DEP_1) | instskip(NEXT) | instid1(VALU_DEP_1)
	v_add_nc_u32_e32 v2, v5, v2
	v_mov_b32_dpp v5, v2 row_shr:2 row_mask:0xf bank_mask:0xf
	s_delay_alu instid0(VALU_DEP_1) | instskip(NEXT) | instid1(VALU_DEP_1)
	v_cndmask_b32_e64 v5, 0, v5, s1
	v_add_nc_u32_e32 v2, v2, v5
	s_delay_alu instid0(VALU_DEP_1) | instskip(NEXT) | instid1(VALU_DEP_1)
	v_mov_b32_dpp v5, v2 row_shr:4 row_mask:0xf bank_mask:0xf
	v_cndmask_b32_e64 v5, 0, v5, s8
	s_delay_alu instid0(VALU_DEP_1) | instskip(NEXT) | instid1(VALU_DEP_1)
	v_add_nc_u32_e32 v2, v2, v5
	v_mov_b32_dpp v5, v2 row_shr:8 row_mask:0xf bank_mask:0xf
	s_delay_alu instid0(VALU_DEP_1) | instskip(SKIP_1) | instid1(VALU_DEP_2)
	v_cndmask_b32_e64 v4, 0, v5, s9
	v_bfe_i32 v5, v63, 4, 1
	v_add_nc_u32_e32 v2, v2, v4
	ds_swizzle_b32 v4, v2 offset:swizzle(BROADCAST,32,15)
	s_waitcnt lgkmcnt(0)
	v_and_b32_e32 v4, v5, v4
	s_delay_alu instid0(VALU_DEP_1)
	v_add_nc_u32_e32 v4, v2, v4
	s_and_saveexec_b32 s11, s3
	s_cbranch_execz .LBB1540_392
; %bb.391:                              ;   in Loop: Header=BB1540_12 Depth=1
	ds_store_b32 v41, v4
.LBB1540_392:                           ;   in Loop: Header=BB1540_12 Depth=1
	s_or_b32 exec_lo, exec_lo, s11
	v_and_b32_e32 v2, 7, v63
	s_waitcnt lgkmcnt(0)
	s_barrier
	buffer_gl0_inv
	s_and_saveexec_b32 s11, s4
	s_cbranch_execz .LBB1540_394
; %bb.393:                              ;   in Loop: Header=BB1540_12 Depth=1
	ds_load_b32 v5, v42
	v_cmp_ne_u32_e32 vcc_lo, 0, v2
	s_waitcnt lgkmcnt(0)
	v_mov_b32_dpp v6, v5 row_shr:1 row_mask:0xf bank_mask:0xf
	s_delay_alu instid0(VALU_DEP_1) | instskip(SKIP_1) | instid1(VALU_DEP_2)
	v_cndmask_b32_e32 v6, 0, v6, vcc_lo
	v_cmp_lt_u32_e32 vcc_lo, 1, v2
	v_add_nc_u32_e32 v5, v6, v5
	s_delay_alu instid0(VALU_DEP_1) | instskip(NEXT) | instid1(VALU_DEP_1)
	v_mov_b32_dpp v6, v5 row_shr:2 row_mask:0xf bank_mask:0xf
	v_cndmask_b32_e32 v6, 0, v6, vcc_lo
	v_cmp_lt_u32_e32 vcc_lo, 3, v2
	s_delay_alu instid0(VALU_DEP_2) | instskip(NEXT) | instid1(VALU_DEP_1)
	v_add_nc_u32_e32 v5, v5, v6
	v_mov_b32_dpp v6, v5 row_shr:4 row_mask:0xf bank_mask:0xf
	s_delay_alu instid0(VALU_DEP_1) | instskip(NEXT) | instid1(VALU_DEP_1)
	v_cndmask_b32_e32 v6, 0, v6, vcc_lo
	v_add_nc_u32_e32 v5, v5, v6
	ds_store_b32 v42, v5
.LBB1540_394:                           ;   in Loop: Header=BB1540_12 Depth=1
	s_or_b32 exec_lo, exec_lo, s11
	v_mov_b32_e32 v5, 0
	s_waitcnt lgkmcnt(0)
	s_barrier
	buffer_gl0_inv
	s_and_saveexec_b32 s11, s5
	s_cbranch_execz .LBB1540_396
; %bb.395:                              ;   in Loop: Header=BB1540_12 Depth=1
	ds_load_b32 v5, v43
.LBB1540_396:                           ;   in Loop: Header=BB1540_12 Depth=1
	s_or_b32 exec_lo, exec_lo, s11
	v_add_nc_u32_e32 v6, -1, v63
	s_waitcnt lgkmcnt(0)
	v_add_nc_u32_e32 v4, v5, v4
	v_cmp_eq_u32_e64 s11, 0, v63
	s_barrier
	v_cmp_gt_i32_e32 vcc_lo, 0, v6
	buffer_gl0_inv
	v_cndmask_b32_e32 v6, v6, v63, vcc_lo
	s_delay_alu instid0(VALU_DEP_1)
	v_lshlrev_b32_e32 v69, 2, v6
	ds_bpermute_b32 v4, v69, v4
	s_and_saveexec_b32 s12, s2
	s_cbranch_execz .LBB1540_398
; %bb.397:                              ;   in Loop: Header=BB1540_12 Depth=1
	s_waitcnt lgkmcnt(0)
	v_cndmask_b32_e64 v4, v4, v5, s11
	s_delay_alu instid0(VALU_DEP_1)
	v_add_nc_u32_e32 v4, s27, v4
	ds_store_b32 v28, v4
.LBB1540_398:                           ;   in Loop: Header=BB1540_12 Depth=1
	s_or_b32 exec_lo, exec_lo, s12
	s_load_b64 s[12:13], s[28:29], 0x0
	v_cmp_lt_u32_e64 s14, 3, v2
	v_add_co_u32 v71, vcc_lo, v64, v63
	v_add_co_ci_u32_e32 v72, vcc_lo, 0, v65, vcc_lo
	v_or_b32_e32 v70, v63, v44
	s_mov_b32 s42, s35
	s_mov_b32 s24, s27
                                        ; implicit-def: $vgpr8_vgpr9
                                        ; implicit-def: $vgpr10_vgpr11
                                        ; implicit-def: $vgpr12_vgpr13
                                        ; implicit-def: $vgpr14_vgpr15
                                        ; implicit-def: $vgpr16_vgpr17
                                        ; implicit-def: $vgpr18_vgpr19
                                        ; implicit-def: $vgpr85
                                        ; implicit-def: $vgpr86
                                        ; implicit-def: $vgpr87
                                        ; implicit-def: $vgpr88
                                        ; implicit-def: $vgpr89
                                        ; implicit-def: $vgpr90
                                        ; implicit-def: $vgpr91
                                        ; implicit-def: $vgpr92
	s_delay_alu instid0(VALU_DEP_1)
	v_or_b32_e32 v75, 32, v70
	v_or_b32_e32 v76, 64, v70
	;; [unrolled: 1-line block ×7, first 2 shown]
	s_waitcnt lgkmcnt(0)
	s_cmp_lt_u32 s15, s13
	s_cselect_b32 s13, 14, 20
	s_delay_alu instid0(SALU_CYCLE_1) | instskip(SKIP_4) | instid1(SALU_CYCLE_1)
	s_add_u32 s16, s28, s13
	s_addc_u32 s17, s29, 0
	s_cmp_lt_u32 s26, s12
	global_load_u16 v4, v3, s[16:17]
	s_cselect_b32 s12, 12, 18
	s_add_u32 s12, s28, s12
	s_addc_u32 s13, s29, 0
	global_load_u16 v6, v3, s[12:13]
	v_cmp_eq_u32_e64 s12, 0, v2
	v_cmp_lt_u32_e64 s13, 1, v2
	v_lshlrev_b32_e32 v2, 3, v63
	s_delay_alu instid0(VALU_DEP_1)
	v_add_co_u32 v73, vcc_lo, v61, v2
	v_add_co_ci_u32_e32 v74, vcc_lo, 0, v62, vcc_lo
	v_add_co_u32 v83, vcc_lo, 0xe0, v71
	v_add_co_ci_u32_e32 v84, vcc_lo, 0, v72, vcc_lo
	s_waitcnt vmcnt(1)
	v_mad_u32_u24 v7, v45, v4, v0
	s_waitcnt vmcnt(0)
	s_delay_alu instid0(VALU_DEP_1) | instskip(NEXT) | instid1(VALU_DEP_1)
	v_mad_u64_u32 v[4:5], null, v7, v6, v[1:2]
                                        ; implicit-def: $vgpr6_vgpr7
	v_lshrrev_b32_e32 v82, 5, v4
                                        ; implicit-def: $vgpr4_vgpr5
	s_branch .LBB1540_400
.LBB1540_399:                           ;   in Loop: Header=BB1540_400 Depth=2
	s_or_b32 exec_lo, exec_lo, s16
	s_addk_i32 s42, 0xf800
	s_cmp_lt_u32 s43, s33
	s_mov_b32 s24, s43
	s_cbranch_scc0 .LBB1540_512
.LBB1540_400:                           ;   Parent Loop BB1540_12 Depth=1
                                        ; =>  This Inner Loop Header: Depth=2
	s_add_i32 s43, s24, 0x800
	s_delay_alu instid0(SALU_CYCLE_1)
	s_cmp_gt_u32 s43, s33
	s_cbranch_scc1 .LBB1540_402
; %bb.401:                              ;   in Loop: Header=BB1540_400 Depth=2
	v_add_co_u32 v20, vcc_lo, v71, s24
	v_add_co_ci_u32_e32 v21, vcc_lo, 0, v72, vcc_lo
	s_mov_b32 s17, 0
	s_mov_b32 s16, s24
	s_mov_b32 s19, -1
	s_clause 0x6
	global_load_u8 v2, v[20:21], off offset:32
	global_load_u8 v22, v[20:21], off offset:96
	global_load_u8 v23, v[20:21], off offset:160
	global_load_u8 v24, v[20:21], off
	global_load_u8 v25, v[20:21], off offset:64
	global_load_u8 v26, v[20:21], off offset:128
	;; [unrolled: 1-line block ×3, first 2 shown]
	s_movk_i32 s18, 0x800
	s_waitcnt vmcnt(6)
	v_lshlrev_b16 v2, 8, v2
	s_waitcnt vmcnt(5)
	v_lshlrev_b16 v20, 8, v22
	;; [unrolled: 2-line block ×3, first 2 shown]
	s_waitcnt vmcnt(3)
	v_or_b32_e32 v2, v24, v2
	s_waitcnt vmcnt(2)
	v_or_b32_e32 v20, v25, v20
	;; [unrolled: 2-line block ×3, first 2 shown]
	v_and_b32_e32 v2, 0xffff, v2
	s_delay_alu instid0(VALU_DEP_3) | instskip(NEXT) | instid1(VALU_DEP_3)
	v_lshlrev_b32_e32 v20, 16, v20
	v_and_b32_e32 v22, 0xffff, v22
	s_delay_alu instid0(VALU_DEP_2) | instskip(SKIP_1) | instid1(VALU_DEP_2)
	v_or_b32_e32 v20, v2, v20
	s_waitcnt vmcnt(0)
	v_lshl_or_b32 v21, v21, 16, v22
	s_cbranch_execz .LBB1540_403
	s_branch .LBB1540_412
.LBB1540_402:                           ;   in Loop: Header=BB1540_400 Depth=2
	s_mov_b32 s17, -1
	s_mov_b32 s19, 0
                                        ; implicit-def: $sgpr18
                                        ; implicit-def: $vgpr20_vgpr21
.LBB1540_403:                           ;   in Loop: Header=BB1540_400 Depth=2
	v_add_co_u32 v22, vcc_lo, v71, s24
	s_mov_b32 s16, s25
	s_mov_b32 s17, s25
	v_add_co_ci_u32_e32 v23, vcc_lo, 0, v72, vcc_lo
	v_dual_mov_b32 v21, s17 :: v_dual_mov_b32 v20, s16
	s_mov_b32 s16, exec_lo
	v_cmpx_gt_u32_e64 s42, v70
	s_cbranch_execz .LBB1540_506
; %bb.404:                              ;   in Loop: Header=BB1540_400 Depth=2
	global_load_u8 v2, v[22:23], off
	s_waitcnt vmcnt(0)
	v_dual_mov_b32 v21, s25 :: v_dual_and_b32 v20, 0xffff, v2
	s_or_b32 exec_lo, exec_lo, s16
	s_delay_alu instid0(SALU_CYCLE_1)
	s_mov_b32 s16, exec_lo
	v_cmpx_gt_u32_e64 s42, v75
	s_cbranch_execnz .LBB1540_507
.LBB1540_405:                           ;   in Loop: Header=BB1540_400 Depth=2
	s_or_b32 exec_lo, exec_lo, s16
	s_delay_alu instid0(SALU_CYCLE_1)
	s_mov_b32 s16, exec_lo
	v_cmpx_gt_u32_e64 s42, v76
	s_cbranch_execz .LBB1540_508
.LBB1540_406:                           ;   in Loop: Header=BB1540_400 Depth=2
	global_load_u8 v2, v[22:23], off offset:64
	v_lshrrev_b32_e32 v24, 16, v20
	s_delay_alu instid0(VALU_DEP_1) | instskip(SKIP_1) | instid1(VALU_DEP_1)
	v_and_b32_e32 v24, 0xffffff00, v24
	s_waitcnt vmcnt(0)
	v_or_b32_e32 v2, v2, v24
	s_delay_alu instid0(VALU_DEP_1) | instskip(NEXT) | instid1(VALU_DEP_1)
	v_lshlrev_b32_e32 v2, 16, v2
	v_and_or_b32 v20, 0xffff, v20, v2
	s_or_b32 exec_lo, exec_lo, s16
	s_delay_alu instid0(SALU_CYCLE_1)
	s_mov_b32 s16, exec_lo
	v_cmpx_gt_u32_e64 s42, v77
	s_cbranch_execnz .LBB1540_509
.LBB1540_407:                           ;   in Loop: Header=BB1540_400 Depth=2
	s_or_b32 exec_lo, exec_lo, s16
	s_delay_alu instid0(SALU_CYCLE_1)
	s_mov_b32 s16, exec_lo
	v_cmpx_gt_u32_e64 s42, v78
	s_cbranch_execz .LBB1540_510
.LBB1540_408:                           ;   in Loop: Header=BB1540_400 Depth=2
	global_load_u8 v2, v[22:23], off offset:128
	s_waitcnt vmcnt(0)
	v_perm_b32 v21, v2, v21, 0x3020104
	s_or_b32 exec_lo, exec_lo, s16
	s_delay_alu instid0(SALU_CYCLE_1)
	s_mov_b32 s16, exec_lo
	v_cmpx_gt_u32_e64 s42, v79
	s_cbranch_execnz .LBB1540_511
.LBB1540_409:                           ;   in Loop: Header=BB1540_400 Depth=2
	s_or_b32 exec_lo, exec_lo, s16
	s_delay_alu instid0(SALU_CYCLE_1)
	s_mov_b32 s16, exec_lo
	v_cmpx_gt_u32_e64 s42, v80
	s_cbranch_execz .LBB1540_411
.LBB1540_410:                           ;   in Loop: Header=BB1540_400 Depth=2
	global_load_u8 v2, v[22:23], off offset:192
	s_waitcnt vmcnt(0)
	v_perm_b32 v21, v21, v2, 0x7000504
.LBB1540_411:                           ;   in Loop: Header=BB1540_400 Depth=2
	s_or_b32 exec_lo, exec_lo, s16
	v_cmp_gt_u32_e64 s19, s42, v81
	s_sub_i32 s18, s33, s24
	s_mov_b64 s[16:17], s[24:25]
.LBB1540_412:                           ;   in Loop: Header=BB1540_400 Depth=2
	v_mov_b32_e32 v2, s42
	s_delay_alu instid0(VALU_DEP_2)
	s_and_saveexec_b32 s20, s19
	s_cbranch_execz .LBB1540_414
; %bb.413:                              ;   in Loop: Header=BB1540_400 Depth=2
	v_add_co_u32 v22, vcc_lo, v83, s16
	v_add_co_ci_u32_e32 v23, vcc_lo, s17, v84, vcc_lo
	global_load_u8 v2, v[22:23], off
	s_waitcnt vmcnt(0)
	v_perm_b32 v21, v21, v2, 0x60504
	v_mov_b32_e32 v2, s18
.LBB1540_414:                           ;   in Loop: Header=BB1540_400 Depth=2
	s_or_b32 exec_lo, exec_lo, s20
	v_and_b32_e32 v22, 1, v20
	v_lshrrev_b16 v25, 8, v20
	v_and_b32_e32 v95, 0x10000, v20
	v_and_b32_e32 v94, 0x10000, v21
	v_lshrrev_b16 v26, 8, v21
	v_cmp_eq_u32_e32 vcc_lo, 1, v22
	v_and_b32_e32 v27, 0x1000000, v21
	v_and_b32_e32 v21, 1, v21
	v_cmp_ne_u32_e64 s20, 0, v95
	ds_store_b32 v46, v3 offset:1056
	s_xor_b32 s16, vcc_lo, -1
	ds_store_2addr_b32 v47, v3, v3 offset0:1 offset1:2
	ds_store_2addr_b32 v47, v3, v3 offset0:3 offset1:4
	;; [unrolled: 1-line block ×4, first 2 shown]
	v_cndmask_b32_e64 v93, 0, 1, s16
	v_cmp_eq_u32_e64 s18, 1, v21
	s_waitcnt lgkmcnt(0)
	s_barrier
	buffer_gl0_inv
	v_lshrrev_b32_e32 v22, s49, v93
	; wave barrier
	s_delay_alu instid0(VALU_DEP_1) | instskip(NEXT) | instid1(VALU_DEP_1)
	v_and_b32_e32 v22, s31, v22
	v_add_co_u32 v23, s16, v22, -1
	s_delay_alu instid0(VALU_DEP_1) | instskip(SKIP_2) | instid1(VALU_DEP_3)
	v_cndmask_b32_e64 v24, 0, 1, s16
	v_cmp_ne_u32_e64 s16, 0, v94
	v_mad_u32_u24 v21, v22, 9, v82
	v_cmp_ne_u32_e32 vcc_lo, 0, v24
	v_and_b32_e32 v24, 0x1000000, v20
	s_delay_alu instid0(VALU_DEP_3)
	v_lshl_add_u32 v96, v21, 2, 0x420
	v_xor_b32_e32 v20, vcc_lo, v23
	v_and_b32_e32 v23, 1, v25
	v_and_b32_e32 v25, 1, v26
	v_cmp_ne_u32_e32 vcc_lo, 0, v27
	v_cmp_ne_u32_e64 s19, 0, v24
	v_and_b32_e32 v20, exec_lo, v20
	v_cmp_eq_u32_e64 s21, 1, v23
	v_cmp_eq_u32_e64 s17, 1, v25
	s_delay_alu instid0(VALU_DEP_3) | instskip(SKIP_1) | instid1(VALU_DEP_2)
	v_mbcnt_lo_u32_b32 v94, v20, 0
	v_cmp_ne_u32_e64 s23, 0, v20
	v_cmp_eq_u32_e64 s22, 0, v94
	s_delay_alu instid0(VALU_DEP_1) | instskip(NEXT) | instid1(SALU_CYCLE_1)
	s_and_b32 s23, s23, s22
	s_and_saveexec_b32 s22, s23
	s_cbranch_execz .LBB1540_416
; %bb.415:                              ;   in Loop: Header=BB1540_400 Depth=2
	v_bcnt_u32_b32 v20, v20, 0
	ds_store_b32 v96, v20
.LBB1540_416:                           ;   in Loop: Header=BB1540_400 Depth=2
	s_or_b32 exec_lo, exec_lo, s22
	s_xor_b32 s21, s21, -1
	s_delay_alu instid0(SALU_CYCLE_1) | instskip(NEXT) | instid1(VALU_DEP_1)
	v_cndmask_b32_e64 v95, 0, 1, s21
	; wave barrier
	v_lshrrev_b32_e32 v20, s49, v95
	s_delay_alu instid0(VALU_DEP_1) | instskip(NEXT) | instid1(VALU_DEP_1)
	v_and_b32_e32 v20, s31, v20
	v_add_co_u32 v21, s21, v20, -1
	s_delay_alu instid0(VALU_DEP_1) | instskip(SKIP_1) | instid1(VALU_DEP_2)
	v_cndmask_b32_e64 v22, 0, 1, s21
	v_mul_u32_u24_e32 v20, 9, v20
	v_cmp_ne_u32_e64 s21, 0, v22
	s_delay_alu instid0(VALU_DEP_2) | instskip(NEXT) | instid1(VALU_DEP_2)
	v_add_lshl_u32 v22, v20, v82, 2
	v_xor_b32_e32 v20, s21, v21
	ds_load_b32 v97, v22 offset:1056
	v_add_nc_u32_e32 v100, 0x420, v22
	; wave barrier
	v_and_b32_e32 v20, exec_lo, v20
	s_delay_alu instid0(VALU_DEP_1) | instskip(SKIP_1) | instid1(VALU_DEP_2)
	v_mbcnt_lo_u32_b32 v98, v20, 0
	v_cmp_ne_u32_e64 s22, 0, v20
	v_cmp_eq_u32_e64 s21, 0, v98
	s_delay_alu instid0(VALU_DEP_1) | instskip(NEXT) | instid1(SALU_CYCLE_1)
	s_and_b32 s22, s22, s21
	s_and_saveexec_b32 s21, s22
	s_cbranch_execz .LBB1540_418
; %bb.417:                              ;   in Loop: Header=BB1540_400 Depth=2
	s_waitcnt lgkmcnt(0)
	v_bcnt_u32_b32 v20, v20, v97
	ds_store_b32 v100, v20
.LBB1540_418:                           ;   in Loop: Header=BB1540_400 Depth=2
	s_or_b32 exec_lo, exec_lo, s21
	s_xor_b32 s20, s20, -1
	s_delay_alu instid0(SALU_CYCLE_1) | instskip(NEXT) | instid1(VALU_DEP_1)
	v_cndmask_b32_e64 v99, 0, 1, s20
	; wave barrier
	v_lshrrev_b32_e32 v20, s49, v99
	s_delay_alu instid0(VALU_DEP_1) | instskip(NEXT) | instid1(VALU_DEP_1)
	v_and_b32_e32 v20, s31, v20
	v_add_co_u32 v21, s20, v20, -1
	s_delay_alu instid0(VALU_DEP_1) | instskip(SKIP_1) | instid1(VALU_DEP_2)
	v_cndmask_b32_e64 v22, 0, 1, s20
	v_mul_u32_u24_e32 v20, 9, v20
	v_cmp_ne_u32_e64 s20, 0, v22
	s_delay_alu instid0(VALU_DEP_2) | instskip(NEXT) | instid1(VALU_DEP_2)
	v_add_lshl_u32 v22, v20, v82, 2
	v_xor_b32_e32 v20, s20, v21
	ds_load_b32 v101, v22 offset:1056
	v_add_nc_u32_e32 v105, 0x420, v22
	; wave barrier
	v_and_b32_e32 v20, exec_lo, v20
	s_delay_alu instid0(VALU_DEP_1) | instskip(SKIP_1) | instid1(VALU_DEP_2)
	v_mbcnt_lo_u32_b32 v102, v20, 0
	v_cmp_ne_u32_e64 s21, 0, v20
	v_cmp_eq_u32_e64 s20, 0, v102
	s_delay_alu instid0(VALU_DEP_1) | instskip(NEXT) | instid1(SALU_CYCLE_1)
	s_and_b32 s21, s21, s20
	s_and_saveexec_b32 s20, s21
	s_cbranch_execz .LBB1540_420
; %bb.419:                              ;   in Loop: Header=BB1540_400 Depth=2
	s_waitcnt lgkmcnt(0)
	v_bcnt_u32_b32 v20, v20, v101
	ds_store_b32 v105, v20
.LBB1540_420:                           ;   in Loop: Header=BB1540_400 Depth=2
	;; [unrolled: 33-line block ×6, first 2 shown]
	s_or_b32 exec_lo, exec_lo, s16
	s_xor_b32 s16, vcc_lo, -1
	s_delay_alu instid0(SALU_CYCLE_1) | instskip(NEXT) | instid1(VALU_DEP_1)
	v_cndmask_b32_e64 v119, 0, 1, s16
	; wave barrier
	v_lshrrev_b32_e32 v20, s49, v119
	s_delay_alu instid0(VALU_DEP_1) | instskip(NEXT) | instid1(VALU_DEP_1)
	v_and_b32_e32 v20, s31, v20
	v_add_co_u32 v21, s16, v20, -1
	s_delay_alu instid0(VALU_DEP_1) | instskip(SKIP_1) | instid1(VALU_DEP_2)
	v_cndmask_b32_e64 v22, 0, 1, s16
	v_mul_u32_u24_e32 v20, 9, v20
	v_cmp_ne_u32_e32 vcc_lo, 0, v22
	s_delay_alu instid0(VALU_DEP_2) | instskip(SKIP_4) | instid1(VALU_DEP_1)
	v_add_lshl_u32 v22, v20, v82, 2
	v_xor_b32_e32 v20, vcc_lo, v21
	ds_load_b32 v120, v22 offset:1056
	v_add_nc_u32_e32 v123, 0x420, v22
	; wave barrier
	v_and_b32_e32 v20, exec_lo, v20
	v_mbcnt_lo_u32_b32 v122, v20, 0
	v_cmp_ne_u32_e64 s16, 0, v20
	s_delay_alu instid0(VALU_DEP_2) | instskip(NEXT) | instid1(VALU_DEP_2)
	v_cmp_eq_u32_e32 vcc_lo, 0, v122
	s_and_b32 s17, s16, vcc_lo
	s_delay_alu instid0(SALU_CYCLE_1)
	s_and_saveexec_b32 s16, s17
	s_cbranch_execz .LBB1540_430
; %bb.429:                              ;   in Loop: Header=BB1540_400 Depth=2
	s_waitcnt lgkmcnt(0)
	v_bcnt_u32_b32 v20, v20, v120
	ds_store_b32 v123, v20
.LBB1540_430:                           ;   in Loop: Header=BB1540_400 Depth=2
	s_or_b32 exec_lo, exec_lo, s16
	; wave barrier
	s_waitcnt lgkmcnt(0)
	s_barrier
	buffer_gl0_inv
	ds_load_b32 v124, v46 offset:1056
	ds_load_2addr_b32 v[26:27], v47 offset0:1 offset1:2
	ds_load_2addr_b32 v[24:25], v47 offset0:3 offset1:4
	;; [unrolled: 1-line block ×4, first 2 shown]
	s_waitcnt lgkmcnt(3)
	v_add3_u32 v125, v26, v124, v27
	s_waitcnt lgkmcnt(2)
	s_delay_alu instid0(VALU_DEP_1) | instskip(SKIP_1) | instid1(VALU_DEP_1)
	v_add3_u32 v125, v125, v24, v25
	s_waitcnt lgkmcnt(1)
	v_add3_u32 v125, v125, v20, v21
	s_waitcnt lgkmcnt(0)
	s_delay_alu instid0(VALU_DEP_1) | instskip(NEXT) | instid1(VALU_DEP_1)
	v_add3_u32 v23, v125, v22, v23
	v_mov_b32_dpp v125, v23 row_shr:1 row_mask:0xf bank_mask:0xf
	s_delay_alu instid0(VALU_DEP_1) | instskip(NEXT) | instid1(VALU_DEP_1)
	v_cndmask_b32_e64 v125, v125, 0, s0
	v_add_nc_u32_e32 v23, v125, v23
	s_delay_alu instid0(VALU_DEP_1) | instskip(NEXT) | instid1(VALU_DEP_1)
	v_mov_b32_dpp v125, v23 row_shr:2 row_mask:0xf bank_mask:0xf
	v_cndmask_b32_e64 v125, 0, v125, s1
	s_delay_alu instid0(VALU_DEP_1) | instskip(NEXT) | instid1(VALU_DEP_1)
	v_add_nc_u32_e32 v23, v23, v125
	v_mov_b32_dpp v125, v23 row_shr:4 row_mask:0xf bank_mask:0xf
	s_delay_alu instid0(VALU_DEP_1) | instskip(NEXT) | instid1(VALU_DEP_1)
	v_cndmask_b32_e64 v125, 0, v125, s8
	v_add_nc_u32_e32 v23, v23, v125
	s_delay_alu instid0(VALU_DEP_1) | instskip(NEXT) | instid1(VALU_DEP_1)
	v_mov_b32_dpp v125, v23 row_shr:8 row_mask:0xf bank_mask:0xf
	v_cndmask_b32_e64 v125, 0, v125, s9
	s_delay_alu instid0(VALU_DEP_1) | instskip(SKIP_3) | instid1(VALU_DEP_1)
	v_add_nc_u32_e32 v23, v23, v125
	ds_swizzle_b32 v125, v23 offset:swizzle(BROADCAST,32,15)
	s_waitcnt lgkmcnt(0)
	v_cndmask_b32_e64 v125, v125, 0, s10
	v_add_nc_u32_e32 v23, v23, v125
	s_and_saveexec_b32 s16, s3
	s_cbranch_execz .LBB1540_432
; %bb.431:                              ;   in Loop: Header=BB1540_400 Depth=2
	ds_store_b32 v38, v23 offset:1024
.LBB1540_432:                           ;   in Loop: Header=BB1540_400 Depth=2
	s_or_b32 exec_lo, exec_lo, s16
	s_waitcnt lgkmcnt(0)
	s_barrier
	buffer_gl0_inv
	s_and_saveexec_b32 s16, s4
	s_cbranch_execz .LBB1540_434
; %bb.433:                              ;   in Loop: Header=BB1540_400 Depth=2
	v_add_nc_u32_e32 v125, v46, v48
	ds_load_b32 v126, v125 offset:1024
	s_waitcnt lgkmcnt(0)
	v_mov_b32_dpp v127, v126 row_shr:1 row_mask:0xf bank_mask:0xf
	s_delay_alu instid0(VALU_DEP_1) | instskip(NEXT) | instid1(VALU_DEP_1)
	v_cndmask_b32_e64 v127, v127, 0, s12
	v_add_nc_u32_e32 v126, v127, v126
	s_delay_alu instid0(VALU_DEP_1) | instskip(NEXT) | instid1(VALU_DEP_1)
	v_mov_b32_dpp v127, v126 row_shr:2 row_mask:0xf bank_mask:0xf
	v_cndmask_b32_e64 v127, 0, v127, s13
	s_delay_alu instid0(VALU_DEP_1) | instskip(NEXT) | instid1(VALU_DEP_1)
	v_add_nc_u32_e32 v126, v126, v127
	v_mov_b32_dpp v127, v126 row_shr:4 row_mask:0xf bank_mask:0xf
	s_delay_alu instid0(VALU_DEP_1) | instskip(NEXT) | instid1(VALU_DEP_1)
	v_cndmask_b32_e64 v127, 0, v127, s14
	v_add_nc_u32_e32 v126, v126, v127
	ds_store_b32 v125, v126 offset:1024
.LBB1540_434:                           ;   in Loop: Header=BB1540_400 Depth=2
	s_or_b32 exec_lo, exec_lo, s16
	v_mov_b32_e32 v125, 0
	s_waitcnt lgkmcnt(0)
	s_barrier
	buffer_gl0_inv
	s_and_saveexec_b32 s16, s5
	s_cbranch_execz .LBB1540_436
; %bb.435:                              ;   in Loop: Header=BB1540_400 Depth=2
	ds_load_b32 v125, v38 offset:1020
.LBB1540_436:                           ;   in Loop: Header=BB1540_400 Depth=2
	s_or_b32 exec_lo, exec_lo, s16
	s_waitcnt lgkmcnt(0)
	v_add_nc_u32_e32 v23, v125, v23
	ds_bpermute_b32 v23, v69, v23
	s_waitcnt lgkmcnt(0)
	v_cndmask_b32_e64 v23, v23, v125, s11
	s_delay_alu instid0(VALU_DEP_1) | instskip(NEXT) | instid1(VALU_DEP_1)
	v_cndmask_b32_e64 v23, v23, 0, s6
	v_add_nc_u32_e32 v124, v23, v124
	s_delay_alu instid0(VALU_DEP_1) | instskip(NEXT) | instid1(VALU_DEP_1)
	v_add_nc_u32_e32 v26, v124, v26
	v_add_nc_u32_e32 v27, v26, v27
	s_delay_alu instid0(VALU_DEP_1) | instskip(NEXT) | instid1(VALU_DEP_1)
	v_add_nc_u32_e32 v24, v27, v24
	;; [unrolled: 3-line block ×3, first 2 shown]
	v_add_nc_u32_e32 v21, v20, v21
	s_delay_alu instid0(VALU_DEP_1)
	v_add_nc_u32_e32 v22, v21, v22
	ds_store_b32 v46, v23 offset:1056
	ds_store_2addr_b32 v47, v124, v26 offset0:1 offset1:2
	ds_store_2addr_b32 v47, v27, v24 offset0:3 offset1:4
	;; [unrolled: 1-line block ×4, first 2 shown]
	v_mov_b32_e32 v22, 0x800
	s_waitcnt lgkmcnt(0)
	s_barrier
	buffer_gl0_inv
	ds_load_b32 v20, v100
	ds_load_b32 v21, v105
	;; [unrolled: 1-line block ×8, first 2 shown]
	ds_load_b32 v27, v46 offset:1056
	s_and_saveexec_b32 s16, s7
	s_cbranch_execz .LBB1540_438
; %bb.437:                              ;   in Loop: Header=BB1540_400 Depth=2
	ds_load_b32 v22, v49 offset:1056
.LBB1540_438:                           ;   in Loop: Header=BB1540_400 Depth=2
	s_or_b32 exec_lo, exec_lo, s16
	s_waitcnt lgkmcnt(0)
	s_barrier
	buffer_gl0_inv
	s_and_saveexec_b32 s16, s2
	s_cbranch_execz .LBB1540_440
; %bb.439:                              ;   in Loop: Header=BB1540_400 Depth=2
	ds_load_b32 v96, v28
	s_waitcnt lgkmcnt(0)
	v_sub_nc_u32_e32 v27, v96, v27
	ds_store_b32 v28, v27
.LBB1540_440:                           ;   in Loop: Header=BB1540_400 Depth=2
	s_or_b32 exec_lo, exec_lo, s16
	v_add_nc_u32_e32 v100, v26, v94
	v_add3_u32 v96, v98, v97, v20
	v_add3_u32 v94, v102, v101, v21
	v_add3_u32 v27, v106, v104, v23
	v_add3_u32 v26, v110, v108, v24
	v_add3_u32 v25, v114, v112, v25
	v_add3_u32 v24, v118, v116, v105
	v_add3_u32 v23, v122, v120, v109
	v_cmp_lt_u32_e64 s21, v1, v2
	ds_store_b8 v100, v93 offset:1024
	ds_store_b8 v96, v95 offset:1024
	;; [unrolled: 1-line block ×8, first 2 shown]
	s_waitcnt lgkmcnt(0)
	s_barrier
	buffer_gl0_inv
	s_and_saveexec_b32 s16, s21
	s_cbranch_execz .LBB1540_448
; %bb.441:                              ;   in Loop: Header=BB1540_400 Depth=2
	ds_load_u8 v20, v1 offset:1024
	s_waitcnt lgkmcnt(0)
	v_and_b32_e32 v21, 1, v20
	v_xor_b32_e32 v20, 1, v20
	s_delay_alu instid0(VALU_DEP_2) | instskip(NEXT) | instid1(VALU_DEP_1)
	v_lshrrev_b32_e32 v21, s49, v21
	v_and_b32_e32 v21, s31, v21
	s_delay_alu instid0(VALU_DEP_1)
	v_lshlrev_b32_e32 v21, 2, v21
	ds_load_b32 v21, v21
	s_waitcnt lgkmcnt(0)
	v_add_nc_u32_e32 v21, v21, v1
	global_store_b8 v21, v20, s[38:39]
	s_or_b32 exec_lo, exec_lo, s16
	v_cmp_lt_u32_e64 s22, v29, v2
	s_delay_alu instid0(VALU_DEP_1)
	s_and_saveexec_b32 s16, s22
	s_cbranch_execnz .LBB1540_449
.LBB1540_442:                           ;   in Loop: Header=BB1540_400 Depth=2
	s_or_b32 exec_lo, exec_lo, s16
	v_cmp_lt_u32_e64 s20, v30, v2
	s_delay_alu instid0(VALU_DEP_1)
	s_and_saveexec_b32 s16, s20
	s_cbranch_execz .LBB1540_450
.LBB1540_443:                           ;   in Loop: Header=BB1540_400 Depth=2
	ds_load_u8 v20, v35 offset:512
	s_waitcnt lgkmcnt(0)
	v_and_b32_e32 v21, 1, v20
	v_xor_b32_e32 v20, 1, v20
	s_delay_alu instid0(VALU_DEP_2) | instskip(NEXT) | instid1(VALU_DEP_1)
	v_lshrrev_b32_e32 v21, s49, v21
	v_and_b32_e32 v21, s31, v21
	s_delay_alu instid0(VALU_DEP_1)
	v_lshlrev_b32_e32 v21, 2, v21
	ds_load_b32 v21, v21
	s_waitcnt lgkmcnt(0)
	v_add_nc_u32_e32 v21, v21, v30
	global_store_b8 v21, v20, s[38:39]
	s_or_b32 exec_lo, exec_lo, s16
	v_cmp_lt_u32_e64 s19, v31, v2
	s_delay_alu instid0(VALU_DEP_1)
	s_and_saveexec_b32 s16, s19
	s_cbranch_execnz .LBB1540_451
.LBB1540_444:                           ;   in Loop: Header=BB1540_400 Depth=2
	s_or_b32 exec_lo, exec_lo, s16
	v_cmp_lt_u32_e64 s18, v35, v2
	s_delay_alu instid0(VALU_DEP_1)
	s_and_saveexec_b32 s16, s18
	s_cbranch_execz .LBB1540_452
.LBB1540_445:                           ;   in Loop: Header=BB1540_400 Depth=2
	ds_load_u8 v20, v35 offset:1024
	s_waitcnt lgkmcnt(0)
	v_and_b32_e32 v21, 1, v20
	v_xor_b32_e32 v20, 1, v20
	s_delay_alu instid0(VALU_DEP_2) | instskip(NEXT) | instid1(VALU_DEP_1)
	v_lshrrev_b32_e32 v21, s49, v21
	v_and_b32_e32 v21, s31, v21
	s_delay_alu instid0(VALU_DEP_1)
	v_lshlrev_b32_e32 v21, 2, v21
	ds_load_b32 v21, v21
	s_waitcnt lgkmcnt(0)
	v_add_nc_u32_e32 v21, v21, v35
	global_store_b8 v21, v20, s[38:39]
	s_or_b32 exec_lo, exec_lo, s16
	v_cmp_lt_u32_e64 s17, v36, v2
	s_delay_alu instid0(VALU_DEP_1)
	s_and_saveexec_b32 s16, s17
	s_cbranch_execnz .LBB1540_453
.LBB1540_446:                           ;   in Loop: Header=BB1540_400 Depth=2
	s_or_b32 exec_lo, exec_lo, s16
	v_cmp_lt_u32_e64 s16, v37, v2
	s_delay_alu instid0(VALU_DEP_1)
	s_and_saveexec_b32 s23, s16
	s_cbranch_execz .LBB1540_454
.LBB1540_447:                           ;   in Loop: Header=BB1540_400 Depth=2
	ds_load_u8 v20, v35 offset:1536
	s_waitcnt lgkmcnt(0)
	v_and_b32_e32 v21, 1, v20
	v_xor_b32_e32 v20, 1, v20
	s_delay_alu instid0(VALU_DEP_2) | instskip(NEXT) | instid1(VALU_DEP_1)
	v_lshrrev_b32_e32 v21, s49, v21
	v_and_b32_e32 v21, s31, v21
	s_delay_alu instid0(VALU_DEP_1)
	v_lshlrev_b32_e32 v21, 2, v21
	ds_load_b32 v21, v21
	s_waitcnt lgkmcnt(0)
	v_add_nc_u32_e32 v21, v21, v37
	global_store_b8 v21, v20, s[38:39]
	s_or_b32 exec_lo, exec_lo, s23
	v_cmp_lt_u32_e32 vcc_lo, v39, v2
	s_and_saveexec_b32 s23, vcc_lo
	s_cbranch_execnz .LBB1540_455
	s_branch .LBB1540_456
.LBB1540_448:                           ;   in Loop: Header=BB1540_400 Depth=2
	s_or_b32 exec_lo, exec_lo, s16
	v_cmp_lt_u32_e64 s22, v29, v2
	s_delay_alu instid0(VALU_DEP_1)
	s_and_saveexec_b32 s16, s22
	s_cbranch_execz .LBB1540_442
.LBB1540_449:                           ;   in Loop: Header=BB1540_400 Depth=2
	ds_load_u8 v20, v35 offset:256
	s_waitcnt lgkmcnt(0)
	v_and_b32_e32 v21, 1, v20
	v_xor_b32_e32 v20, 1, v20
	s_delay_alu instid0(VALU_DEP_2) | instskip(NEXT) | instid1(VALU_DEP_1)
	v_lshrrev_b32_e32 v21, s49, v21
	v_and_b32_e32 v21, s31, v21
	s_delay_alu instid0(VALU_DEP_1)
	v_lshlrev_b32_e32 v21, 2, v21
	ds_load_b32 v21, v21
	s_waitcnt lgkmcnt(0)
	v_add_nc_u32_e32 v21, v21, v29
	global_store_b8 v21, v20, s[38:39]
	s_or_b32 exec_lo, exec_lo, s16
	v_cmp_lt_u32_e64 s20, v30, v2
	s_delay_alu instid0(VALU_DEP_1)
	s_and_saveexec_b32 s16, s20
	s_cbranch_execnz .LBB1540_443
.LBB1540_450:                           ;   in Loop: Header=BB1540_400 Depth=2
	s_or_b32 exec_lo, exec_lo, s16
	v_cmp_lt_u32_e64 s19, v31, v2
	s_delay_alu instid0(VALU_DEP_1)
	s_and_saveexec_b32 s16, s19
	s_cbranch_execz .LBB1540_444
.LBB1540_451:                           ;   in Loop: Header=BB1540_400 Depth=2
	ds_load_u8 v20, v35 offset:768
	s_waitcnt lgkmcnt(0)
	v_and_b32_e32 v21, 1, v20
	v_xor_b32_e32 v20, 1, v20
	s_delay_alu instid0(VALU_DEP_2) | instskip(NEXT) | instid1(VALU_DEP_1)
	v_lshrrev_b32_e32 v21, s49, v21
	v_and_b32_e32 v21, s31, v21
	s_delay_alu instid0(VALU_DEP_1)
	v_lshlrev_b32_e32 v21, 2, v21
	ds_load_b32 v21, v21
	s_waitcnt lgkmcnt(0)
	v_add_nc_u32_e32 v21, v21, v31
	global_store_b8 v21, v20, s[38:39]
	s_or_b32 exec_lo, exec_lo, s16
	v_cmp_lt_u32_e64 s18, v35, v2
	s_delay_alu instid0(VALU_DEP_1)
	s_and_saveexec_b32 s16, s18
	s_cbranch_execnz .LBB1540_445
.LBB1540_452:                           ;   in Loop: Header=BB1540_400 Depth=2
	s_or_b32 exec_lo, exec_lo, s16
	v_cmp_lt_u32_e64 s17, v36, v2
	s_delay_alu instid0(VALU_DEP_1)
	s_and_saveexec_b32 s16, s17
	s_cbranch_execz .LBB1540_446
.LBB1540_453:                           ;   in Loop: Header=BB1540_400 Depth=2
	ds_load_u8 v20, v35 offset:1280
	s_waitcnt lgkmcnt(0)
	v_and_b32_e32 v21, 1, v20
	v_xor_b32_e32 v20, 1, v20
	s_delay_alu instid0(VALU_DEP_2) | instskip(NEXT) | instid1(VALU_DEP_1)
	v_lshrrev_b32_e32 v21, s49, v21
	v_and_b32_e32 v21, s31, v21
	s_delay_alu instid0(VALU_DEP_1)
	v_lshlrev_b32_e32 v21, 2, v21
	ds_load_b32 v21, v21
	s_waitcnt lgkmcnt(0)
	v_add_nc_u32_e32 v21, v21, v36
	global_store_b8 v21, v20, s[38:39]
	s_or_b32 exec_lo, exec_lo, s16
	v_cmp_lt_u32_e64 s16, v37, v2
	s_delay_alu instid0(VALU_DEP_1)
	s_and_saveexec_b32 s23, s16
	s_cbranch_execnz .LBB1540_447
.LBB1540_454:                           ;   in Loop: Header=BB1540_400 Depth=2
	s_or_b32 exec_lo, exec_lo, s23
	v_cmp_lt_u32_e32 vcc_lo, v39, v2
	s_and_saveexec_b32 s23, vcc_lo
	s_cbranch_execz .LBB1540_456
.LBB1540_455:                           ;   in Loop: Header=BB1540_400 Depth=2
	ds_load_u8 v20, v35 offset:1792
	s_waitcnt lgkmcnt(0)
	v_and_b32_e32 v21, 1, v20
	v_xor_b32_e32 v20, 1, v20
	s_delay_alu instid0(VALU_DEP_2) | instskip(NEXT) | instid1(VALU_DEP_1)
	v_lshrrev_b32_e32 v21, s49, v21
	v_and_b32_e32 v21, s31, v21
	s_delay_alu instid0(VALU_DEP_1)
	v_lshlrev_b32_e32 v21, 2, v21
	ds_load_b32 v21, v21
	s_waitcnt lgkmcnt(0)
	v_add_nc_u32_e32 v21, v21, v39
	global_store_b8 v21, v20, s[38:39]
.LBB1540_456:                           ;   in Loop: Header=BB1540_400 Depth=2
	s_or_b32 exec_lo, exec_lo, s23
	s_lshl_b64 s[52:53], s[24:25], 3
	s_delay_alu instid0(SALU_CYCLE_1) | instskip(NEXT) | instid1(VALU_DEP_1)
	v_add_co_u32 v20, s23, v73, s52
	v_add_co_ci_u32_e64 v21, s23, s53, v74, s23
	v_cmp_lt_u32_e64 s23, v70, v2
	s_delay_alu instid0(VALU_DEP_1) | instskip(NEXT) | instid1(SALU_CYCLE_1)
	s_and_saveexec_b32 s24, s23
	s_xor_b32 s23, exec_lo, s24
	s_cbranch_execz .LBB1540_472
; %bb.457:                              ;   in Loop: Header=BB1540_400 Depth=2
	global_load_b64 v[18:19], v[20:21], off
	s_or_b32 exec_lo, exec_lo, s23
	s_delay_alu instid0(SALU_CYCLE_1)
	s_mov_b32 s24, exec_lo
	v_cmpx_lt_u32_e64 v75, v2
	s_cbranch_execnz .LBB1540_473
.LBB1540_458:                           ;   in Loop: Header=BB1540_400 Depth=2
	s_or_b32 exec_lo, exec_lo, s24
	s_delay_alu instid0(SALU_CYCLE_1)
	s_mov_b32 s24, exec_lo
	v_cmpx_lt_u32_e64 v76, v2
	s_cbranch_execz .LBB1540_474
.LBB1540_459:                           ;   in Loop: Header=BB1540_400 Depth=2
	global_load_b64 v[14:15], v[20:21], off offset:512
	s_or_b32 exec_lo, exec_lo, s24
	s_delay_alu instid0(SALU_CYCLE_1)
	s_mov_b32 s24, exec_lo
	v_cmpx_lt_u32_e64 v77, v2
	s_cbranch_execnz .LBB1540_475
.LBB1540_460:                           ;   in Loop: Header=BB1540_400 Depth=2
	s_or_b32 exec_lo, exec_lo, s24
	s_delay_alu instid0(SALU_CYCLE_1)
	s_mov_b32 s24, exec_lo
	v_cmpx_lt_u32_e64 v78, v2
	s_cbranch_execz .LBB1540_476
.LBB1540_461:                           ;   in Loop: Header=BB1540_400 Depth=2
	global_load_b64 v[10:11], v[20:21], off offset:1024
	s_or_b32 exec_lo, exec_lo, s24
	s_delay_alu instid0(SALU_CYCLE_1)
	s_mov_b32 s24, exec_lo
	v_cmpx_lt_u32_e64 v79, v2
	s_cbranch_execnz .LBB1540_477
.LBB1540_462:                           ;   in Loop: Header=BB1540_400 Depth=2
	s_or_b32 exec_lo, exec_lo, s24
	s_delay_alu instid0(SALU_CYCLE_1)
	s_mov_b32 s24, exec_lo
	v_cmpx_lt_u32_e64 v80, v2
	s_cbranch_execz .LBB1540_478
.LBB1540_463:                           ;   in Loop: Header=BB1540_400 Depth=2
	global_load_b64 v[6:7], v[20:21], off offset:1536
	s_or_b32 exec_lo, exec_lo, s24
	s_delay_alu instid0(SALU_CYCLE_1)
	s_mov_b32 s24, exec_lo
	v_cmpx_lt_u32_e64 v81, v2
	s_cbranch_execnz .LBB1540_479
.LBB1540_464:                           ;   in Loop: Header=BB1540_400 Depth=2
	s_or_b32 exec_lo, exec_lo, s24
	s_and_saveexec_b32 s23, s21
	s_cbranch_execz .LBB1540_480
.LBB1540_465:                           ;   in Loop: Header=BB1540_400 Depth=2
	ds_load_u8 v2, v1 offset:1024
	s_waitcnt lgkmcnt(0)
	v_lshrrev_b32_e32 v2, s49, v2
	s_delay_alu instid0(VALU_DEP_1)
	v_and_b32_e32 v92, s31, v2
	s_or_b32 exec_lo, exec_lo, s23
	s_and_saveexec_b32 s23, s22
	s_cbranch_execnz .LBB1540_481
.LBB1540_466:                           ;   in Loop: Header=BB1540_400 Depth=2
	s_or_b32 exec_lo, exec_lo, s23
	s_and_saveexec_b32 s23, s20
	s_cbranch_execz .LBB1540_482
.LBB1540_467:                           ;   in Loop: Header=BB1540_400 Depth=2
	ds_load_u8 v2, v35 offset:512
	s_waitcnt lgkmcnt(0)
	v_lshrrev_b32_e32 v2, s49, v2
	s_delay_alu instid0(VALU_DEP_1)
	v_and_b32_e32 v90, s31, v2
	s_or_b32 exec_lo, exec_lo, s23
	s_and_saveexec_b32 s23, s19
	s_cbranch_execnz .LBB1540_483
.LBB1540_468:                           ;   in Loop: Header=BB1540_400 Depth=2
	s_or_b32 exec_lo, exec_lo, s23
	s_and_saveexec_b32 s23, s18
	s_cbranch_execz .LBB1540_484
.LBB1540_469:                           ;   in Loop: Header=BB1540_400 Depth=2
	ds_load_u8 v2, v35 offset:1024
	s_waitcnt lgkmcnt(0)
	v_lshrrev_b32_e32 v2, s49, v2
	s_delay_alu instid0(VALU_DEP_1)
	v_and_b32_e32 v88, s31, v2
	s_or_b32 exec_lo, exec_lo, s23
	s_and_saveexec_b32 s23, s17
	s_cbranch_execnz .LBB1540_485
.LBB1540_470:                           ;   in Loop: Header=BB1540_400 Depth=2
	s_or_b32 exec_lo, exec_lo, s23
	s_and_saveexec_b32 s23, s16
	s_cbranch_execz .LBB1540_486
.LBB1540_471:                           ;   in Loop: Header=BB1540_400 Depth=2
	ds_load_u8 v2, v35 offset:1536
	s_waitcnt lgkmcnt(0)
	v_lshrrev_b32_e32 v2, s49, v2
	s_delay_alu instid0(VALU_DEP_1)
	v_and_b32_e32 v86, s31, v2
	s_or_b32 exec_lo, exec_lo, s23
	s_and_saveexec_b32 s23, vcc_lo
	s_cbranch_execnz .LBB1540_487
	s_branch .LBB1540_488
.LBB1540_472:                           ;   in Loop: Header=BB1540_400 Depth=2
	s_or_b32 exec_lo, exec_lo, s23
	s_delay_alu instid0(SALU_CYCLE_1)
	s_mov_b32 s24, exec_lo
	v_cmpx_lt_u32_e64 v75, v2
	s_cbranch_execz .LBB1540_458
.LBB1540_473:                           ;   in Loop: Header=BB1540_400 Depth=2
	global_load_b64 v[16:17], v[20:21], off offset:256
	s_or_b32 exec_lo, exec_lo, s24
	s_delay_alu instid0(SALU_CYCLE_1)
	s_mov_b32 s24, exec_lo
	v_cmpx_lt_u32_e64 v76, v2
	s_cbranch_execnz .LBB1540_459
.LBB1540_474:                           ;   in Loop: Header=BB1540_400 Depth=2
	s_or_b32 exec_lo, exec_lo, s24
	s_delay_alu instid0(SALU_CYCLE_1)
	s_mov_b32 s24, exec_lo
	v_cmpx_lt_u32_e64 v77, v2
	s_cbranch_execz .LBB1540_460
.LBB1540_475:                           ;   in Loop: Header=BB1540_400 Depth=2
	global_load_b64 v[12:13], v[20:21], off offset:768
	s_or_b32 exec_lo, exec_lo, s24
	s_delay_alu instid0(SALU_CYCLE_1)
	s_mov_b32 s24, exec_lo
	v_cmpx_lt_u32_e64 v78, v2
	s_cbranch_execnz .LBB1540_461
.LBB1540_476:                           ;   in Loop: Header=BB1540_400 Depth=2
	s_or_b32 exec_lo, exec_lo, s24
	s_delay_alu instid0(SALU_CYCLE_1)
	s_mov_b32 s24, exec_lo
	v_cmpx_lt_u32_e64 v79, v2
	s_cbranch_execz .LBB1540_462
.LBB1540_477:                           ;   in Loop: Header=BB1540_400 Depth=2
	global_load_b64 v[8:9], v[20:21], off offset:1280
	s_or_b32 exec_lo, exec_lo, s24
	s_delay_alu instid0(SALU_CYCLE_1)
	s_mov_b32 s24, exec_lo
	v_cmpx_lt_u32_e64 v80, v2
	s_cbranch_execnz .LBB1540_463
.LBB1540_478:                           ;   in Loop: Header=BB1540_400 Depth=2
	s_or_b32 exec_lo, exec_lo, s24
	s_delay_alu instid0(SALU_CYCLE_1)
	s_mov_b32 s24, exec_lo
	v_cmpx_lt_u32_e64 v81, v2
	s_cbranch_execz .LBB1540_464
.LBB1540_479:                           ;   in Loop: Header=BB1540_400 Depth=2
	global_load_b64 v[4:5], v[20:21], off offset:1792
	s_or_b32 exec_lo, exec_lo, s24
	s_and_saveexec_b32 s23, s21
	s_cbranch_execnz .LBB1540_465
.LBB1540_480:                           ;   in Loop: Header=BB1540_400 Depth=2
	s_or_b32 exec_lo, exec_lo, s23
	s_and_saveexec_b32 s23, s22
	s_cbranch_execz .LBB1540_466
.LBB1540_481:                           ;   in Loop: Header=BB1540_400 Depth=2
	ds_load_u8 v2, v35 offset:256
	s_waitcnt lgkmcnt(0)
	v_lshrrev_b32_e32 v2, s49, v2
	s_delay_alu instid0(VALU_DEP_1)
	v_and_b32_e32 v91, s31, v2
	s_or_b32 exec_lo, exec_lo, s23
	s_and_saveexec_b32 s23, s20
	s_cbranch_execnz .LBB1540_467
.LBB1540_482:                           ;   in Loop: Header=BB1540_400 Depth=2
	s_or_b32 exec_lo, exec_lo, s23
	s_and_saveexec_b32 s23, s19
	s_cbranch_execz .LBB1540_468
.LBB1540_483:                           ;   in Loop: Header=BB1540_400 Depth=2
	ds_load_u8 v2, v35 offset:768
	s_waitcnt lgkmcnt(0)
	v_lshrrev_b32_e32 v2, s49, v2
	s_delay_alu instid0(VALU_DEP_1)
	v_and_b32_e32 v89, s31, v2
	s_or_b32 exec_lo, exec_lo, s23
	s_and_saveexec_b32 s23, s18
	s_cbranch_execnz .LBB1540_469
.LBB1540_484:                           ;   in Loop: Header=BB1540_400 Depth=2
	s_or_b32 exec_lo, exec_lo, s23
	s_and_saveexec_b32 s23, s17
	s_cbranch_execz .LBB1540_470
.LBB1540_485:                           ;   in Loop: Header=BB1540_400 Depth=2
	ds_load_u8 v2, v35 offset:1280
	s_waitcnt lgkmcnt(0)
	v_lshrrev_b32_e32 v2, s49, v2
	s_delay_alu instid0(VALU_DEP_1)
	v_and_b32_e32 v87, s31, v2
	s_or_b32 exec_lo, exec_lo, s23
	s_and_saveexec_b32 s23, s16
	s_cbranch_execnz .LBB1540_471
.LBB1540_486:                           ;   in Loop: Header=BB1540_400 Depth=2
	s_or_b32 exec_lo, exec_lo, s23
	s_and_saveexec_b32 s23, vcc_lo
	s_cbranch_execz .LBB1540_488
.LBB1540_487:                           ;   in Loop: Header=BB1540_400 Depth=2
	ds_load_u8 v2, v35 offset:1792
	s_waitcnt lgkmcnt(0)
	v_lshrrev_b32_e32 v2, s49, v2
	s_delay_alu instid0(VALU_DEP_1)
	v_and_b32_e32 v85, s31, v2
.LBB1540_488:                           ;   in Loop: Header=BB1540_400 Depth=2
	s_or_b32 exec_lo, exec_lo, s23
	v_lshlrev_b32_e32 v2, 3, v100
	v_lshlrev_b32_e32 v20, 3, v96
	;; [unrolled: 1-line block ×3, first 2 shown]
	s_waitcnt vmcnt(0)
	s_waitcnt_vscnt null, 0x0
	s_barrier
	buffer_gl0_inv
	ds_store_b64 v2, v[18:19] offset:1024
	ds_store_b64 v20, v[16:17] offset:1024
	ds_store_b64 v21, v[14:15] offset:1024
	v_lshlrev_b32_e32 v2, 3, v27
	v_lshlrev_b32_e32 v20, 3, v26
	;; [unrolled: 1-line block ×5, first 2 shown]
	ds_store_b64 v2, v[12:13] offset:1024
	ds_store_b64 v20, v[10:11] offset:1024
	;; [unrolled: 1-line block ×5, first 2 shown]
	s_waitcnt lgkmcnt(0)
	s_barrier
	buffer_gl0_inv
	s_and_saveexec_b32 s23, s21
	s_cbranch_execz .LBB1540_496
; %bb.489:                              ;   in Loop: Header=BB1540_400 Depth=2
	v_lshlrev_b32_e32 v2, 2, v92
	v_add_nc_u32_e32 v20, v1, v52
	ds_load_b32 v2, v2
	ds_load_b64 v[20:21], v20 offset:1024
	s_waitcnt lgkmcnt(1)
	v_add_nc_u32_e32 v2, v2, v1
	s_delay_alu instid0(VALU_DEP_1) | instskip(NEXT) | instid1(VALU_DEP_1)
	v_lshlrev_b64 v[23:24], 3, v[2:3]
	v_add_co_u32 v23, s21, s44, v23
	s_delay_alu instid0(VALU_DEP_1)
	v_add_co_ci_u32_e64 v24, s21, s45, v24, s21
	s_waitcnt lgkmcnt(0)
	global_store_b64 v[23:24], v[20:21], off
	s_or_b32 exec_lo, exec_lo, s23
	s_and_saveexec_b32 s23, s22
	s_cbranch_execnz .LBB1540_497
.LBB1540_490:                           ;   in Loop: Header=BB1540_400 Depth=2
	s_or_b32 exec_lo, exec_lo, s23
	s_and_saveexec_b32 s21, s20
	s_cbranch_execz .LBB1540_498
.LBB1540_491:                           ;   in Loop: Header=BB1540_400 Depth=2
	v_lshlrev_b32_e32 v2, 2, v90
	v_add_nc_u32_e32 v20, v35, v52
	ds_load_b32 v2, v2
	ds_load_b64 v[20:21], v20 offset:4096
	s_waitcnt lgkmcnt(1)
	v_add_nc_u32_e32 v2, v2, v30
	s_delay_alu instid0(VALU_DEP_1) | instskip(NEXT) | instid1(VALU_DEP_1)
	v_lshlrev_b64 v[23:24], 3, v[2:3]
	v_add_co_u32 v23, s20, s44, v23
	s_delay_alu instid0(VALU_DEP_1)
	v_add_co_ci_u32_e64 v24, s20, s45, v24, s20
	s_waitcnt lgkmcnt(0)
	global_store_b64 v[23:24], v[20:21], off
	s_or_b32 exec_lo, exec_lo, s21
	s_and_saveexec_b32 s20, s19
	s_cbranch_execnz .LBB1540_499
.LBB1540_492:                           ;   in Loop: Header=BB1540_400 Depth=2
	s_or_b32 exec_lo, exec_lo, s20
	s_and_saveexec_b32 s19, s18
	s_cbranch_execz .LBB1540_500
.LBB1540_493:                           ;   in Loop: Header=BB1540_400 Depth=2
	v_lshlrev_b32_e32 v2, 2, v88
	v_add_nc_u32_e32 v20, v35, v52
	ds_load_b32 v2, v2
	ds_load_b64 v[20:21], v20 offset:8192
	s_waitcnt lgkmcnt(1)
	v_add_nc_u32_e32 v2, v2, v35
	s_delay_alu instid0(VALU_DEP_1) | instskip(NEXT) | instid1(VALU_DEP_1)
	v_lshlrev_b64 v[23:24], 3, v[2:3]
	v_add_co_u32 v23, s18, s44, v23
	s_delay_alu instid0(VALU_DEP_1)
	v_add_co_ci_u32_e64 v24, s18, s45, v24, s18
	s_waitcnt lgkmcnt(0)
	global_store_b64 v[23:24], v[20:21], off
	s_or_b32 exec_lo, exec_lo, s19
	s_and_saveexec_b32 s18, s17
	s_cbranch_execnz .LBB1540_501
.LBB1540_494:                           ;   in Loop: Header=BB1540_400 Depth=2
	s_or_b32 exec_lo, exec_lo, s18
	s_and_saveexec_b32 s17, s16
	s_cbranch_execz .LBB1540_502
.LBB1540_495:                           ;   in Loop: Header=BB1540_400 Depth=2
	v_lshlrev_b32_e32 v2, 2, v86
	v_add_nc_u32_e32 v20, v35, v52
	ds_load_b32 v2, v2
	ds_load_b64 v[20:21], v20 offset:12288
	s_waitcnt lgkmcnt(1)
	v_add_nc_u32_e32 v2, v2, v37
	s_delay_alu instid0(VALU_DEP_1) | instskip(NEXT) | instid1(VALU_DEP_1)
	v_lshlrev_b64 v[23:24], 3, v[2:3]
	v_add_co_u32 v23, s16, s44, v23
	s_delay_alu instid0(VALU_DEP_1)
	v_add_co_ci_u32_e64 v24, s16, s45, v24, s16
	s_waitcnt lgkmcnt(0)
	global_store_b64 v[23:24], v[20:21], off
	s_or_b32 exec_lo, exec_lo, s17
	s_and_saveexec_b32 s16, vcc_lo
	s_cbranch_execnz .LBB1540_503
	s_branch .LBB1540_504
.LBB1540_496:                           ;   in Loop: Header=BB1540_400 Depth=2
	s_or_b32 exec_lo, exec_lo, s23
	s_and_saveexec_b32 s23, s22
	s_cbranch_execz .LBB1540_490
.LBB1540_497:                           ;   in Loop: Header=BB1540_400 Depth=2
	v_lshlrev_b32_e32 v2, 2, v91
	v_add_nc_u32_e32 v20, v35, v52
	ds_load_b32 v2, v2
	ds_load_b64 v[20:21], v20 offset:2048
	s_waitcnt lgkmcnt(1)
	v_add_nc_u32_e32 v2, v2, v29
	s_delay_alu instid0(VALU_DEP_1) | instskip(NEXT) | instid1(VALU_DEP_1)
	v_lshlrev_b64 v[23:24], 3, v[2:3]
	v_add_co_u32 v23, s21, s44, v23
	s_delay_alu instid0(VALU_DEP_1)
	v_add_co_ci_u32_e64 v24, s21, s45, v24, s21
	s_waitcnt lgkmcnt(0)
	global_store_b64 v[23:24], v[20:21], off
	s_or_b32 exec_lo, exec_lo, s23
	s_and_saveexec_b32 s21, s20
	s_cbranch_execnz .LBB1540_491
.LBB1540_498:                           ;   in Loop: Header=BB1540_400 Depth=2
	s_or_b32 exec_lo, exec_lo, s21
	s_and_saveexec_b32 s20, s19
	s_cbranch_execz .LBB1540_492
.LBB1540_499:                           ;   in Loop: Header=BB1540_400 Depth=2
	v_lshlrev_b32_e32 v2, 2, v89
	v_add_nc_u32_e32 v20, v35, v52
	ds_load_b32 v2, v2
	ds_load_b64 v[20:21], v20 offset:6144
	s_waitcnt lgkmcnt(1)
	v_add_nc_u32_e32 v2, v2, v31
	s_delay_alu instid0(VALU_DEP_1) | instskip(NEXT) | instid1(VALU_DEP_1)
	v_lshlrev_b64 v[23:24], 3, v[2:3]
	v_add_co_u32 v23, s19, s44, v23
	s_delay_alu instid0(VALU_DEP_1)
	v_add_co_ci_u32_e64 v24, s19, s45, v24, s19
	s_waitcnt lgkmcnt(0)
	global_store_b64 v[23:24], v[20:21], off
	s_or_b32 exec_lo, exec_lo, s20
	s_and_saveexec_b32 s19, s18
	s_cbranch_execnz .LBB1540_493
.LBB1540_500:                           ;   in Loop: Header=BB1540_400 Depth=2
	s_or_b32 exec_lo, exec_lo, s19
	s_and_saveexec_b32 s18, s17
	s_cbranch_execz .LBB1540_494
.LBB1540_501:                           ;   in Loop: Header=BB1540_400 Depth=2
	v_lshlrev_b32_e32 v2, 2, v87
	v_add_nc_u32_e32 v20, v35, v52
	ds_load_b32 v2, v2
	ds_load_b64 v[20:21], v20 offset:10240
	s_waitcnt lgkmcnt(1)
	v_add_nc_u32_e32 v2, v2, v36
	s_delay_alu instid0(VALU_DEP_1) | instskip(NEXT) | instid1(VALU_DEP_1)
	v_lshlrev_b64 v[23:24], 3, v[2:3]
	v_add_co_u32 v23, s17, s44, v23
	s_delay_alu instid0(VALU_DEP_1)
	v_add_co_ci_u32_e64 v24, s17, s45, v24, s17
	s_waitcnt lgkmcnt(0)
	global_store_b64 v[23:24], v[20:21], off
	s_or_b32 exec_lo, exec_lo, s18
	s_and_saveexec_b32 s17, s16
	s_cbranch_execnz .LBB1540_495
.LBB1540_502:                           ;   in Loop: Header=BB1540_400 Depth=2
	s_or_b32 exec_lo, exec_lo, s17
	s_and_saveexec_b32 s16, vcc_lo
	s_cbranch_execz .LBB1540_504
.LBB1540_503:                           ;   in Loop: Header=BB1540_400 Depth=2
	v_lshlrev_b32_e32 v2, 2, v85
	v_add_nc_u32_e32 v20, v35, v52
	ds_load_b32 v2, v2
	ds_load_b64 v[20:21], v20 offset:14336
	s_waitcnt lgkmcnt(1)
	v_add_nc_u32_e32 v2, v2, v39
	s_delay_alu instid0(VALU_DEP_1) | instskip(NEXT) | instid1(VALU_DEP_1)
	v_lshlrev_b64 v[23:24], 3, v[2:3]
	v_add_co_u32 v23, vcc_lo, s44, v23
	s_delay_alu instid0(VALU_DEP_2)
	v_add_co_ci_u32_e32 v24, vcc_lo, s45, v24, vcc_lo
	s_waitcnt lgkmcnt(0)
	global_store_b64 v[23:24], v[20:21], off
.LBB1540_504:                           ;   in Loop: Header=BB1540_400 Depth=2
	s_or_b32 exec_lo, exec_lo, s16
	s_waitcnt_vscnt null, 0x0
	s_barrier
	buffer_gl0_inv
	s_and_saveexec_b32 s16, s2
	s_cbranch_execz .LBB1540_399
; %bb.505:                              ;   in Loop: Header=BB1540_400 Depth=2
	ds_load_b32 v2, v28
	s_waitcnt lgkmcnt(0)
	v_add_nc_u32_e32 v2, v2, v22
	ds_store_b32 v28, v2
	s_branch .LBB1540_399
.LBB1540_506:                           ;   in Loop: Header=BB1540_400 Depth=2
	s_or_b32 exec_lo, exec_lo, s16
	s_delay_alu instid0(SALU_CYCLE_1)
	s_mov_b32 s16, exec_lo
	v_cmpx_gt_u32_e64 s42, v75
	s_cbranch_execz .LBB1540_405
.LBB1540_507:                           ;   in Loop: Header=BB1540_400 Depth=2
	global_load_u8 v2, v[22:23], off offset:32
	s_waitcnt vmcnt(0)
	v_perm_b32 v20, v20, v2, 0x7060004
	s_or_b32 exec_lo, exec_lo, s16
	s_delay_alu instid0(SALU_CYCLE_1)
	s_mov_b32 s16, exec_lo
	v_cmpx_gt_u32_e64 s42, v76
	s_cbranch_execnz .LBB1540_406
.LBB1540_508:                           ;   in Loop: Header=BB1540_400 Depth=2
	s_or_b32 exec_lo, exec_lo, s16
	s_delay_alu instid0(SALU_CYCLE_1)
	s_mov_b32 s16, exec_lo
	v_cmpx_gt_u32_e64 s42, v77
	s_cbranch_execz .LBB1540_407
.LBB1540_509:                           ;   in Loop: Header=BB1540_400 Depth=2
	global_load_u8 v2, v[22:23], off offset:96
	v_lshrrev_b32_e32 v24, 16, v20
	s_delay_alu instid0(VALU_DEP_1) | instskip(SKIP_2) | instid1(VALU_DEP_1)
	v_and_b32_e32 v24, 0xff, v24
	s_waitcnt vmcnt(0)
	v_lshlrev_b16 v2, 8, v2
	v_or_b32_e32 v2, v24, v2
	s_delay_alu instid0(VALU_DEP_1) | instskip(NEXT) | instid1(VALU_DEP_1)
	v_lshlrev_b32_e32 v2, 16, v2
	v_and_or_b32 v20, 0xffff, v20, v2
	s_or_b32 exec_lo, exec_lo, s16
	s_delay_alu instid0(SALU_CYCLE_1)
	s_mov_b32 s16, exec_lo
	v_cmpx_gt_u32_e64 s42, v78
	s_cbranch_execnz .LBB1540_408
.LBB1540_510:                           ;   in Loop: Header=BB1540_400 Depth=2
	s_or_b32 exec_lo, exec_lo, s16
	s_delay_alu instid0(SALU_CYCLE_1)
	s_mov_b32 s16, exec_lo
	v_cmpx_gt_u32_e64 s42, v79
	s_cbranch_execz .LBB1540_409
.LBB1540_511:                           ;   in Loop: Header=BB1540_400 Depth=2
	global_load_u8 v2, v[22:23], off offset:160
	s_waitcnt vmcnt(0)
	v_perm_b32 v21, v21, v2, 0x7060004
	s_or_b32 exec_lo, exec_lo, s16
	s_delay_alu instid0(SALU_CYCLE_1)
	s_mov_b32 s16, exec_lo
	v_cmpx_gt_u32_e64 s42, v80
	s_cbranch_execnz .LBB1540_410
	s_branch .LBB1540_411
.LBB1540_512:                           ;   in Loop: Header=BB1540_12 Depth=1
	s_waitcnt lgkmcnt(0)
	s_mov_b32 s0, 0
	s_barrier
.LBB1540_513:                           ;   in Loop: Header=BB1540_12 Depth=1
	s_and_b32 vcc_lo, exec_lo, s0
	s_cbranch_vccz .LBB1540_11
; %bb.514:                              ;   in Loop: Header=BB1540_12 Depth=1
	s_mov_b32 s0, s35
	s_mov_b32 s9, s27
	s_barrier
	buffer_gl0_inv
                                        ; implicit-def: $vgpr2
                                        ; implicit-def: $vgpr6
                                        ; implicit-def: $vgpr7
                                        ; implicit-def: $vgpr8
                                        ; implicit-def: $vgpr9
                                        ; implicit-def: $vgpr10
                                        ; implicit-def: $vgpr11
                                        ; implicit-def: $vgpr12
	s_branch .LBB1540_516
.LBB1540_515:                           ;   in Loop: Header=BB1540_516 Depth=2
	s_or_b32 exec_lo, exec_lo, s8
	s_addk_i32 s0, 0xf800
	s_cmp_ge_u32 s1, s33
	s_mov_b32 s9, s1
	s_cbranch_scc1 .LBB1540_554
.LBB1540_516:                           ;   Parent Loop BB1540_12 Depth=1
                                        ; =>  This Inner Loop Header: Depth=2
	s_add_i32 s1, s9, 0x800
	s_delay_alu instid0(SALU_CYCLE_1)
	s_cmp_gt_u32 s1, s33
	s_cbranch_scc1 .LBB1540_519
; %bb.517:                              ;   in Loop: Header=BB1540_516 Depth=2
	v_add_co_u32 v4, vcc_lo, v59, s9
	v_add_co_ci_u32_e32 v5, vcc_lo, 0, v60, vcc_lo
	s_mov_b32 s8, -1
	s_movk_i32 s12, 0x800
	s_clause 0x6
	global_load_u8 v20, v[4:5], off offset:1536
	global_load_u8 v19, v[4:5], off offset:1280
	;; [unrolled: 1-line block ×6, first 2 shown]
	global_load_u8 v14, v[4:5], off
	v_add_co_u32 v4, vcc_lo, 0x700, v4
	v_add_co_ci_u32_e32 v5, vcc_lo, 0, v5, vcc_lo
	s_cbranch_execz .LBB1540_520
; %bb.518:                              ;   in Loop: Header=BB1540_516 Depth=2
                                        ; implicit-def: $vgpr2
                                        ; implicit-def: $vgpr6
                                        ; implicit-def: $vgpr7
                                        ; implicit-def: $vgpr8
                                        ; implicit-def: $vgpr9
                                        ; implicit-def: $vgpr10
                                        ; implicit-def: $vgpr11
                                        ; implicit-def: $vgpr12
	v_mov_b32_e32 v13, s0
	s_and_saveexec_b32 s9, s8
	s_cbranch_execnz .LBB1540_531
	s_branch .LBB1540_532
.LBB1540_519:                           ;   in Loop: Header=BB1540_516 Depth=2
	s_mov_b32 s8, 0
                                        ; implicit-def: $sgpr12
                                        ; implicit-def: $vgpr14
                                        ; implicit-def: $vgpr15
                                        ; implicit-def: $vgpr16
                                        ; implicit-def: $vgpr17
                                        ; implicit-def: $vgpr18
                                        ; implicit-def: $vgpr19
                                        ; implicit-def: $vgpr20
                                        ; implicit-def: $vgpr4_vgpr5
.LBB1540_520:                           ;   in Loop: Header=BB1540_516 Depth=2
	s_add_u32 s10, s36, s9
	s_addc_u32 s11, s37, 0
	s_mov_b32 s12, exec_lo
	v_cmpx_gt_u32_e64 s0, v1
	s_cbranch_execz .LBB1540_548
; %bb.521:                              ;   in Loop: Header=BB1540_516 Depth=2
	v_add_co_u32 v4, s13, s10, v1
	s_delay_alu instid0(VALU_DEP_1) | instskip(SKIP_2) | instid1(SALU_CYCLE_1)
	v_add_co_ci_u32_e64 v5, null, s11, 0, s13
	global_load_u8 v2, v[4:5], off
	s_or_b32 exec_lo, exec_lo, s12
	s_mov_b32 s12, exec_lo
	v_cmpx_gt_u32_e64 s0, v29
	s_cbranch_execnz .LBB1540_549
.LBB1540_522:                           ;   in Loop: Header=BB1540_516 Depth=2
	s_or_b32 exec_lo, exec_lo, s12
	s_delay_alu instid0(SALU_CYCLE_1)
	s_mov_b32 s12, exec_lo
	v_cmpx_gt_u32_e64 s0, v30
	s_cbranch_execz .LBB1540_550
.LBB1540_523:                           ;   in Loop: Header=BB1540_516 Depth=2
	v_add_co_u32 v4, s13, s10, v1
	s_delay_alu instid0(VALU_DEP_1) | instskip(SKIP_2) | instid1(SALU_CYCLE_1)
	v_add_co_ci_u32_e64 v5, null, s11, 0, s13
	global_load_u8 v7, v[4:5], off offset:512
	s_or_b32 exec_lo, exec_lo, s12
	s_mov_b32 s12, exec_lo
	v_cmpx_gt_u32_e64 s0, v31
	s_cbranch_execnz .LBB1540_551
.LBB1540_524:                           ;   in Loop: Header=BB1540_516 Depth=2
	s_or_b32 exec_lo, exec_lo, s12
	s_delay_alu instid0(SALU_CYCLE_1)
	s_mov_b32 s12, exec_lo
	v_cmpx_gt_u32_e64 s0, v35
	s_cbranch_execz .LBB1540_552
.LBB1540_525:                           ;   in Loop: Header=BB1540_516 Depth=2
	v_add_co_u32 v4, s13, s10, v1
	s_delay_alu instid0(VALU_DEP_1) | instskip(SKIP_2) | instid1(SALU_CYCLE_1)
	v_add_co_ci_u32_e64 v5, null, s11, 0, s13
	global_load_u8 v9, v[4:5], off offset:1024
	s_or_b32 exec_lo, exec_lo, s12
	s_mov_b32 s12, exec_lo
	v_cmpx_gt_u32_e64 s0, v36
	s_cbranch_execnz .LBB1540_553
.LBB1540_526:                           ;   in Loop: Header=BB1540_516 Depth=2
	s_or_b32 exec_lo, exec_lo, s12
	s_delay_alu instid0(SALU_CYCLE_1)
	s_mov_b32 s12, exec_lo
	v_cmpx_gt_u32_e64 s0, v37
	s_cbranch_execz .LBB1540_528
.LBB1540_527:                           ;   in Loop: Header=BB1540_516 Depth=2
	v_add_co_u32 v4, s13, s10, v1
	s_delay_alu instid0(VALU_DEP_1)
	v_add_co_ci_u32_e64 v5, null, s11, 0, s13
	global_load_u8 v11, v[4:5], off offset:1536
.LBB1540_528:                           ;   in Loop: Header=BB1540_516 Depth=2
	s_or_b32 exec_lo, exec_lo, s12
	s_delay_alu instid0(SALU_CYCLE_1)
	s_mov_b32 s13, exec_lo
                                        ; implicit-def: $sgpr12
                                        ; implicit-def: $vgpr4_vgpr5
	v_cmpx_gt_u32_e64 s0, v39
; %bb.529:                              ;   in Loop: Header=BB1540_516 Depth=2
	v_add_co_u32 v4, s10, s10, v1
	s_delay_alu instid0(VALU_DEP_1) | instskip(SKIP_1) | instid1(VALU_DEP_2)
	v_add_co_ci_u32_e64 v5, null, s11, 0, s10
	s_sub_i32 s12, s33, s9
	v_add_co_u32 v4, vcc_lo, 0x700, v4
	s_delay_alu instid0(VALU_DEP_2)
	v_add_co_ci_u32_e32 v5, vcc_lo, 0, v5, vcc_lo
	s_or_b32 s8, s8, exec_lo
                                        ; implicit-def: $vgpr12
; %bb.530:                              ;   in Loop: Header=BB1540_516 Depth=2
	s_or_b32 exec_lo, exec_lo, s13
	s_waitcnt vmcnt(0)
	v_dual_mov_b32 v14, v2 :: v_dual_mov_b32 v17, v8
	v_dual_mov_b32 v15, v6 :: v_dual_mov_b32 v16, v7
	;; [unrolled: 1-line block ×4, first 2 shown]
	s_and_saveexec_b32 s9, s8
	s_cbranch_execz .LBB1540_532
.LBB1540_531:                           ;   in Loop: Header=BB1540_516 Depth=2
	global_load_u8 v12, v[4:5], off
	s_waitcnt vmcnt(1)
	v_dual_mov_b32 v13, s12 :: v_dual_mov_b32 v2, v14
	v_dual_mov_b32 v6, v15 :: v_dual_mov_b32 v7, v16
	;; [unrolled: 1-line block ×4, first 2 shown]
.LBB1540_532:                           ;   in Loop: Header=BB1540_516 Depth=2
	s_or_b32 exec_lo, exec_lo, s9
	v_lshlrev_b32_e32 v4, 2, v32
	s_mov_b32 s8, exec_lo
	v_cmpx_lt_u32_e64 v1, v13
	s_cbranch_execz .LBB1540_540
; %bb.533:                              ;   in Loop: Header=BB1540_516 Depth=2
	v_xor_b32_e32 v5, -1, v2
	s_delay_alu instid0(VALU_DEP_1) | instskip(NEXT) | instid1(VALU_DEP_1)
	v_and_b32_e32 v5, 1, v5
	v_and_b32_e32 v5, 0xffff, v5
	s_delay_alu instid0(VALU_DEP_1) | instskip(NEXT) | instid1(VALU_DEP_1)
	v_lshrrev_b32_e32 v5, s49, v5
	v_and_b32_e32 v5, s31, v5
	s_delay_alu instid0(VALU_DEP_1) | instskip(SKIP_2) | instid1(SALU_CYCLE_1)
	v_lshl_or_b32 v5, v5, 4, v4
	ds_add_u32 v5, v66
	s_or_b32 exec_lo, exec_lo, s8
	s_mov_b32 s8, exec_lo
	v_cmpx_lt_u32_e64 v29, v13
	s_cbranch_execnz .LBB1540_541
.LBB1540_534:                           ;   in Loop: Header=BB1540_516 Depth=2
	s_or_b32 exec_lo, exec_lo, s8
	s_delay_alu instid0(SALU_CYCLE_1)
	s_mov_b32 s8, exec_lo
	v_cmpx_lt_u32_e64 v30, v13
	s_cbranch_execz .LBB1540_542
.LBB1540_535:                           ;   in Loop: Header=BB1540_516 Depth=2
	v_xor_b32_e32 v5, -1, v7
	s_delay_alu instid0(VALU_DEP_1) | instskip(NEXT) | instid1(VALU_DEP_1)
	v_and_b32_e32 v5, 1, v5
	v_and_b32_e32 v5, 0xffff, v5
	s_delay_alu instid0(VALU_DEP_1) | instskip(NEXT) | instid1(VALU_DEP_1)
	v_lshrrev_b32_e32 v5, s49, v5
	v_and_b32_e32 v5, s31, v5
	s_delay_alu instid0(VALU_DEP_1) | instskip(SKIP_2) | instid1(SALU_CYCLE_1)
	v_lshl_or_b32 v5, v5, 4, v4
	ds_add_u32 v5, v66
	s_or_b32 exec_lo, exec_lo, s8
	s_mov_b32 s8, exec_lo
	v_cmpx_lt_u32_e64 v31, v13
	s_cbranch_execnz .LBB1540_543
.LBB1540_536:                           ;   in Loop: Header=BB1540_516 Depth=2
	s_or_b32 exec_lo, exec_lo, s8
	s_delay_alu instid0(SALU_CYCLE_1)
	s_mov_b32 s8, exec_lo
	v_cmpx_lt_u32_e64 v35, v13
	s_cbranch_execz .LBB1540_544
.LBB1540_537:                           ;   in Loop: Header=BB1540_516 Depth=2
	v_xor_b32_e32 v5, -1, v9
	s_delay_alu instid0(VALU_DEP_1) | instskip(NEXT) | instid1(VALU_DEP_1)
	v_and_b32_e32 v5, 1, v5
	v_and_b32_e32 v5, 0xffff, v5
	s_delay_alu instid0(VALU_DEP_1) | instskip(NEXT) | instid1(VALU_DEP_1)
	v_lshrrev_b32_e32 v5, s49, v5
	v_and_b32_e32 v5, s31, v5
	s_delay_alu instid0(VALU_DEP_1) | instskip(SKIP_2) | instid1(SALU_CYCLE_1)
	v_lshl_or_b32 v5, v5, 4, v4
	ds_add_u32 v5, v66
	s_or_b32 exec_lo, exec_lo, s8
	s_mov_b32 s8, exec_lo
	v_cmpx_lt_u32_e64 v36, v13
	s_cbranch_execnz .LBB1540_545
.LBB1540_538:                           ;   in Loop: Header=BB1540_516 Depth=2
	s_or_b32 exec_lo, exec_lo, s8
	s_delay_alu instid0(SALU_CYCLE_1)
	s_mov_b32 s8, exec_lo
	v_cmpx_lt_u32_e64 v37, v13
	s_cbranch_execz .LBB1540_546
.LBB1540_539:                           ;   in Loop: Header=BB1540_516 Depth=2
	v_xor_b32_e32 v5, -1, v11
	s_delay_alu instid0(VALU_DEP_1) | instskip(NEXT) | instid1(VALU_DEP_1)
	v_and_b32_e32 v5, 1, v5
	v_and_b32_e32 v5, 0xffff, v5
	s_delay_alu instid0(VALU_DEP_1) | instskip(NEXT) | instid1(VALU_DEP_1)
	v_lshrrev_b32_e32 v5, s49, v5
	v_and_b32_e32 v5, s31, v5
	s_delay_alu instid0(VALU_DEP_1) | instskip(SKIP_2) | instid1(SALU_CYCLE_1)
	v_lshl_or_b32 v5, v5, 4, v4
	ds_add_u32 v5, v66
	s_or_b32 exec_lo, exec_lo, s8
	s_mov_b32 s8, exec_lo
	v_cmpx_lt_u32_e64 v39, v13
	s_cbranch_execz .LBB1540_515
	s_branch .LBB1540_547
.LBB1540_540:                           ;   in Loop: Header=BB1540_516 Depth=2
	s_or_b32 exec_lo, exec_lo, s8
	s_delay_alu instid0(SALU_CYCLE_1)
	s_mov_b32 s8, exec_lo
	v_cmpx_lt_u32_e64 v29, v13
	s_cbranch_execz .LBB1540_534
.LBB1540_541:                           ;   in Loop: Header=BB1540_516 Depth=2
	v_xor_b32_e32 v5, -1, v6
	s_delay_alu instid0(VALU_DEP_1) | instskip(NEXT) | instid1(VALU_DEP_1)
	v_and_b32_e32 v5, 1, v5
	v_and_b32_e32 v5, 0xffff, v5
	s_delay_alu instid0(VALU_DEP_1) | instskip(NEXT) | instid1(VALU_DEP_1)
	v_lshrrev_b32_e32 v5, s49, v5
	v_and_b32_e32 v5, s31, v5
	s_delay_alu instid0(VALU_DEP_1) | instskip(SKIP_2) | instid1(SALU_CYCLE_1)
	v_lshl_or_b32 v5, v5, 4, v4
	ds_add_u32 v5, v66
	s_or_b32 exec_lo, exec_lo, s8
	s_mov_b32 s8, exec_lo
	v_cmpx_lt_u32_e64 v30, v13
	s_cbranch_execnz .LBB1540_535
.LBB1540_542:                           ;   in Loop: Header=BB1540_516 Depth=2
	s_or_b32 exec_lo, exec_lo, s8
	s_delay_alu instid0(SALU_CYCLE_1)
	s_mov_b32 s8, exec_lo
	v_cmpx_lt_u32_e64 v31, v13
	s_cbranch_execz .LBB1540_536
.LBB1540_543:                           ;   in Loop: Header=BB1540_516 Depth=2
	v_xor_b32_e32 v5, -1, v8
	s_delay_alu instid0(VALU_DEP_1) | instskip(NEXT) | instid1(VALU_DEP_1)
	v_and_b32_e32 v5, 1, v5
	v_and_b32_e32 v5, 0xffff, v5
	s_delay_alu instid0(VALU_DEP_1) | instskip(NEXT) | instid1(VALU_DEP_1)
	v_lshrrev_b32_e32 v5, s49, v5
	v_and_b32_e32 v5, s31, v5
	s_delay_alu instid0(VALU_DEP_1) | instskip(SKIP_2) | instid1(SALU_CYCLE_1)
	v_lshl_or_b32 v5, v5, 4, v4
	ds_add_u32 v5, v66
	s_or_b32 exec_lo, exec_lo, s8
	s_mov_b32 s8, exec_lo
	v_cmpx_lt_u32_e64 v35, v13
	s_cbranch_execnz .LBB1540_537
.LBB1540_544:                           ;   in Loop: Header=BB1540_516 Depth=2
	s_or_b32 exec_lo, exec_lo, s8
	s_delay_alu instid0(SALU_CYCLE_1)
	s_mov_b32 s8, exec_lo
	v_cmpx_lt_u32_e64 v36, v13
	s_cbranch_execz .LBB1540_538
.LBB1540_545:                           ;   in Loop: Header=BB1540_516 Depth=2
	v_xor_b32_e32 v5, -1, v10
	s_delay_alu instid0(VALU_DEP_1) | instskip(NEXT) | instid1(VALU_DEP_1)
	v_and_b32_e32 v5, 1, v5
	v_and_b32_e32 v5, 0xffff, v5
	s_delay_alu instid0(VALU_DEP_1) | instskip(NEXT) | instid1(VALU_DEP_1)
	v_lshrrev_b32_e32 v5, s49, v5
	v_and_b32_e32 v5, s31, v5
	s_delay_alu instid0(VALU_DEP_1) | instskip(SKIP_2) | instid1(SALU_CYCLE_1)
	v_lshl_or_b32 v5, v5, 4, v4
	ds_add_u32 v5, v66
	s_or_b32 exec_lo, exec_lo, s8
	s_mov_b32 s8, exec_lo
	v_cmpx_lt_u32_e64 v37, v13
	s_cbranch_execnz .LBB1540_539
.LBB1540_546:                           ;   in Loop: Header=BB1540_516 Depth=2
	s_or_b32 exec_lo, exec_lo, s8
	s_delay_alu instid0(SALU_CYCLE_1)
	s_mov_b32 s8, exec_lo
	v_cmpx_lt_u32_e64 v39, v13
	s_cbranch_execz .LBB1540_515
.LBB1540_547:                           ;   in Loop: Header=BB1540_516 Depth=2
	s_waitcnt vmcnt(0)
	v_xor_b32_e32 v5, -1, v12
	s_delay_alu instid0(VALU_DEP_1) | instskip(NEXT) | instid1(VALU_DEP_1)
	v_and_b32_e32 v5, 1, v5
	v_and_b32_e32 v5, 0xffff, v5
	s_delay_alu instid0(VALU_DEP_1) | instskip(NEXT) | instid1(VALU_DEP_1)
	v_lshrrev_b32_e32 v5, s49, v5
	v_and_b32_e32 v5, s31, v5
	s_delay_alu instid0(VALU_DEP_1)
	v_lshl_or_b32 v4, v5, 4, v4
	ds_add_u32 v4, v66
	s_branch .LBB1540_515
.LBB1540_548:                           ;   in Loop: Header=BB1540_516 Depth=2
	s_or_b32 exec_lo, exec_lo, s12
	s_delay_alu instid0(SALU_CYCLE_1)
	s_mov_b32 s12, exec_lo
	v_cmpx_gt_u32_e64 s0, v29
	s_cbranch_execz .LBB1540_522
.LBB1540_549:                           ;   in Loop: Header=BB1540_516 Depth=2
	v_add_co_u32 v4, s13, s10, v1
	s_delay_alu instid0(VALU_DEP_1) | instskip(SKIP_2) | instid1(SALU_CYCLE_1)
	v_add_co_ci_u32_e64 v5, null, s11, 0, s13
	global_load_u8 v6, v[4:5], off offset:256
	s_or_b32 exec_lo, exec_lo, s12
	s_mov_b32 s12, exec_lo
	v_cmpx_gt_u32_e64 s0, v30
	s_cbranch_execnz .LBB1540_523
.LBB1540_550:                           ;   in Loop: Header=BB1540_516 Depth=2
	s_or_b32 exec_lo, exec_lo, s12
	s_delay_alu instid0(SALU_CYCLE_1)
	s_mov_b32 s12, exec_lo
	v_cmpx_gt_u32_e64 s0, v31
	s_cbranch_execz .LBB1540_524
.LBB1540_551:                           ;   in Loop: Header=BB1540_516 Depth=2
	v_add_co_u32 v4, s13, s10, v1
	s_delay_alu instid0(VALU_DEP_1) | instskip(SKIP_2) | instid1(SALU_CYCLE_1)
	v_add_co_ci_u32_e64 v5, null, s11, 0, s13
	global_load_u8 v8, v[4:5], off offset:768
	s_or_b32 exec_lo, exec_lo, s12
	s_mov_b32 s12, exec_lo
	v_cmpx_gt_u32_e64 s0, v35
	s_cbranch_execnz .LBB1540_525
.LBB1540_552:                           ;   in Loop: Header=BB1540_516 Depth=2
	s_or_b32 exec_lo, exec_lo, s12
	s_delay_alu instid0(SALU_CYCLE_1)
	s_mov_b32 s12, exec_lo
	v_cmpx_gt_u32_e64 s0, v36
	s_cbranch_execz .LBB1540_526
.LBB1540_553:                           ;   in Loop: Header=BB1540_516 Depth=2
	v_add_co_u32 v4, s13, s10, v1
	s_delay_alu instid0(VALU_DEP_1) | instskip(SKIP_2) | instid1(SALU_CYCLE_1)
	v_add_co_ci_u32_e64 v5, null, s11, 0, s13
	global_load_u8 v10, v[4:5], off offset:1280
	s_or_b32 exec_lo, exec_lo, s12
	s_mov_b32 s12, exec_lo
	v_cmpx_gt_u32_e64 s0, v37
	s_cbranch_execz .LBB1540_528
	s_branch .LBB1540_527
.LBB1540_554:                           ;   in Loop: Header=BB1540_12 Depth=1
	v_mov_b32_e32 v2, 0
	s_waitcnt vmcnt(0) lgkmcnt(0)
	s_barrier
	buffer_gl0_inv
	s_and_saveexec_b32 s0, s2
	s_cbranch_execz .LBB1540_556
; %bb.555:                              ;   in Loop: Header=BB1540_12 Depth=1
	ds_load_2addr_b64 v[4:7], v40 offset1:1
	s_waitcnt lgkmcnt(0)
	v_add_nc_u32_e32 v2, v5, v4
	s_delay_alu instid0(VALU_DEP_1)
	v_add3_u32 v2, v2, v6, v7
.LBB1540_556:                           ;   in Loop: Header=BB1540_12 Depth=1
	s_or_b32 exec_lo, exec_lo, s0
	v_and_b32_e32 v4, 15, v63
	s_delay_alu instid0(VALU_DEP_2) | instskip(SKIP_1) | instid1(VALU_DEP_3)
	v_mov_b32_dpp v5, v2 row_shr:1 row_mask:0xf bank_mask:0xf
	v_and_b32_e32 v6, 16, v63
	v_cmp_eq_u32_e64 s0, 0, v4
	v_cmp_lt_u32_e64 s1, 1, v4
	v_cmp_lt_u32_e64 s8, 3, v4
	;; [unrolled: 1-line block ×3, first 2 shown]
	v_cmp_eq_u32_e64 s10, 0, v6
	v_cndmask_b32_e64 v5, v5, 0, s0
	s_delay_alu instid0(VALU_DEP_1) | instskip(NEXT) | instid1(VALU_DEP_1)
	v_add_nc_u32_e32 v2, v5, v2
	v_mov_b32_dpp v5, v2 row_shr:2 row_mask:0xf bank_mask:0xf
	s_delay_alu instid0(VALU_DEP_1) | instskip(NEXT) | instid1(VALU_DEP_1)
	v_cndmask_b32_e64 v5, 0, v5, s1
	v_add_nc_u32_e32 v2, v2, v5
	s_delay_alu instid0(VALU_DEP_1) | instskip(NEXT) | instid1(VALU_DEP_1)
	v_mov_b32_dpp v5, v2 row_shr:4 row_mask:0xf bank_mask:0xf
	v_cndmask_b32_e64 v5, 0, v5, s8
	s_delay_alu instid0(VALU_DEP_1) | instskip(NEXT) | instid1(VALU_DEP_1)
	v_add_nc_u32_e32 v2, v2, v5
	v_mov_b32_dpp v5, v2 row_shr:8 row_mask:0xf bank_mask:0xf
	s_delay_alu instid0(VALU_DEP_1) | instskip(SKIP_1) | instid1(VALU_DEP_2)
	v_cndmask_b32_e64 v4, 0, v5, s9
	v_bfe_i32 v5, v63, 4, 1
	v_add_nc_u32_e32 v2, v2, v4
	ds_swizzle_b32 v4, v2 offset:swizzle(BROADCAST,32,15)
	s_waitcnt lgkmcnt(0)
	v_and_b32_e32 v4, v5, v4
	s_delay_alu instid0(VALU_DEP_1)
	v_add_nc_u32_e32 v4, v2, v4
	s_and_saveexec_b32 s11, s3
	s_cbranch_execz .LBB1540_558
; %bb.557:                              ;   in Loop: Header=BB1540_12 Depth=1
	ds_store_b32 v41, v4
.LBB1540_558:                           ;   in Loop: Header=BB1540_12 Depth=1
	s_or_b32 exec_lo, exec_lo, s11
	v_and_b32_e32 v2, 7, v63
	s_waitcnt lgkmcnt(0)
	s_barrier
	buffer_gl0_inv
	s_and_saveexec_b32 s11, s4
	s_cbranch_execz .LBB1540_560
; %bb.559:                              ;   in Loop: Header=BB1540_12 Depth=1
	ds_load_b32 v5, v42
	v_cmp_ne_u32_e32 vcc_lo, 0, v2
	s_waitcnt lgkmcnt(0)
	v_mov_b32_dpp v6, v5 row_shr:1 row_mask:0xf bank_mask:0xf
	s_delay_alu instid0(VALU_DEP_1) | instskip(SKIP_1) | instid1(VALU_DEP_2)
	v_cndmask_b32_e32 v6, 0, v6, vcc_lo
	v_cmp_lt_u32_e32 vcc_lo, 1, v2
	v_add_nc_u32_e32 v5, v6, v5
	s_delay_alu instid0(VALU_DEP_1) | instskip(NEXT) | instid1(VALU_DEP_1)
	v_mov_b32_dpp v6, v5 row_shr:2 row_mask:0xf bank_mask:0xf
	v_cndmask_b32_e32 v6, 0, v6, vcc_lo
	v_cmp_lt_u32_e32 vcc_lo, 3, v2
	s_delay_alu instid0(VALU_DEP_2) | instskip(NEXT) | instid1(VALU_DEP_1)
	v_add_nc_u32_e32 v5, v5, v6
	v_mov_b32_dpp v6, v5 row_shr:4 row_mask:0xf bank_mask:0xf
	s_delay_alu instid0(VALU_DEP_1) | instskip(NEXT) | instid1(VALU_DEP_1)
	v_cndmask_b32_e32 v6, 0, v6, vcc_lo
	v_add_nc_u32_e32 v5, v5, v6
	ds_store_b32 v42, v5
.LBB1540_560:                           ;   in Loop: Header=BB1540_12 Depth=1
	s_or_b32 exec_lo, exec_lo, s11
	v_mov_b32_e32 v5, 0
	s_waitcnt lgkmcnt(0)
	s_barrier
	buffer_gl0_inv
	s_and_saveexec_b32 s11, s5
	s_cbranch_execz .LBB1540_562
; %bb.561:                              ;   in Loop: Header=BB1540_12 Depth=1
	ds_load_b32 v5, v43
.LBB1540_562:                           ;   in Loop: Header=BB1540_12 Depth=1
	s_or_b32 exec_lo, exec_lo, s11
	v_add_nc_u32_e32 v6, -1, v63
	s_waitcnt lgkmcnt(0)
	v_add_nc_u32_e32 v4, v5, v4
	v_cmp_eq_u32_e64 s11, 0, v63
	s_barrier
	v_cmp_gt_i32_e32 vcc_lo, 0, v6
	buffer_gl0_inv
	v_cndmask_b32_e32 v6, v6, v63, vcc_lo
	s_delay_alu instid0(VALU_DEP_1)
	v_lshlrev_b32_e32 v69, 2, v6
	ds_bpermute_b32 v4, v69, v4
	s_and_saveexec_b32 s12, s2
	s_cbranch_execz .LBB1540_564
; %bb.563:                              ;   in Loop: Header=BB1540_12 Depth=1
	s_waitcnt lgkmcnt(0)
	v_cndmask_b32_e64 v4, v4, v5, s11
	s_delay_alu instid0(VALU_DEP_1)
	v_add_nc_u32_e32 v4, s27, v4
	ds_store_b32 v28, v4
.LBB1540_564:                           ;   in Loop: Header=BB1540_12 Depth=1
	s_or_b32 exec_lo, exec_lo, s12
	s_load_b64 s[12:13], s[28:29], 0x0
	v_cmp_lt_u32_e64 s14, 3, v2
	v_add_co_u32 v71, vcc_lo, v64, v63
	v_add_co_ci_u32_e32 v72, vcc_lo, 0, v65, vcc_lo
	v_or_b32_e32 v70, v63, v44
	s_mov_b32 s42, s35
	s_mov_b32 s24, s27
                                        ; implicit-def: $vgpr8_vgpr9
                                        ; implicit-def: $vgpr10_vgpr11
                                        ; implicit-def: $vgpr12_vgpr13
                                        ; implicit-def: $vgpr14_vgpr15
                                        ; implicit-def: $vgpr16_vgpr17
                                        ; implicit-def: $vgpr18_vgpr19
                                        ; implicit-def: $vgpr85
                                        ; implicit-def: $vgpr86
                                        ; implicit-def: $vgpr87
                                        ; implicit-def: $vgpr88
                                        ; implicit-def: $vgpr89
                                        ; implicit-def: $vgpr90
                                        ; implicit-def: $vgpr91
                                        ; implicit-def: $vgpr92
	s_delay_alu instid0(VALU_DEP_1)
	v_or_b32_e32 v75, 32, v70
	v_or_b32_e32 v76, 64, v70
	;; [unrolled: 1-line block ×7, first 2 shown]
	s_waitcnt lgkmcnt(0)
	s_cmp_lt_u32 s15, s13
	s_cselect_b32 s13, 14, 20
	s_delay_alu instid0(SALU_CYCLE_1) | instskip(SKIP_4) | instid1(SALU_CYCLE_1)
	s_add_u32 s16, s28, s13
	s_addc_u32 s17, s29, 0
	s_cmp_lt_u32 s26, s12
	global_load_u16 v4, v3, s[16:17]
	s_cselect_b32 s12, 12, 18
	s_add_u32 s12, s28, s12
	s_addc_u32 s13, s29, 0
	global_load_u16 v6, v3, s[12:13]
	v_cmp_eq_u32_e64 s12, 0, v2
	v_cmp_lt_u32_e64 s13, 1, v2
	v_lshlrev_b32_e32 v2, 3, v63
	s_delay_alu instid0(VALU_DEP_1)
	v_add_co_u32 v73, vcc_lo, v61, v2
	v_add_co_ci_u32_e32 v74, vcc_lo, 0, v62, vcc_lo
	v_add_co_u32 v83, vcc_lo, 0xe0, v71
	v_add_co_ci_u32_e32 v84, vcc_lo, 0, v72, vcc_lo
	s_waitcnt vmcnt(1)
	v_mad_u32_u24 v7, v45, v4, v0
	s_waitcnt vmcnt(0)
	s_delay_alu instid0(VALU_DEP_1) | instskip(NEXT) | instid1(VALU_DEP_1)
	v_mad_u64_u32 v[4:5], null, v7, v6, v[1:2]
                                        ; implicit-def: $vgpr6_vgpr7
	v_lshrrev_b32_e32 v82, 5, v4
                                        ; implicit-def: $vgpr4_vgpr5
	s_branch .LBB1540_566
.LBB1540_565:                           ;   in Loop: Header=BB1540_566 Depth=2
	s_or_b32 exec_lo, exec_lo, s16
	s_addk_i32 s42, 0xf800
	s_cmp_lt_u32 s43, s33
	s_mov_b32 s24, s43
	s_cbranch_scc0 .LBB1540_10
.LBB1540_566:                           ;   Parent Loop BB1540_12 Depth=1
                                        ; =>  This Inner Loop Header: Depth=2
	s_add_i32 s43, s24, 0x800
	s_delay_alu instid0(SALU_CYCLE_1)
	s_cmp_gt_u32 s43, s33
	s_cbranch_scc1 .LBB1540_568
; %bb.567:                              ;   in Loop: Header=BB1540_566 Depth=2
	v_add_co_u32 v20, vcc_lo, v71, s24
	v_add_co_ci_u32_e32 v21, vcc_lo, 0, v72, vcc_lo
	s_mov_b32 s17, 0
	s_mov_b32 s16, s24
	s_mov_b32 s19, -1
	s_clause 0x6
	global_load_u8 v2, v[20:21], off offset:32
	global_load_u8 v22, v[20:21], off offset:96
	;; [unrolled: 1-line block ×3, first 2 shown]
	global_load_u8 v24, v[20:21], off
	global_load_u8 v25, v[20:21], off offset:64
	global_load_u8 v26, v[20:21], off offset:128
	;; [unrolled: 1-line block ×3, first 2 shown]
	s_movk_i32 s18, 0x800
	s_waitcnt vmcnt(6)
	v_lshlrev_b16 v2, 8, v2
	s_waitcnt vmcnt(5)
	v_lshlrev_b16 v20, 8, v22
	;; [unrolled: 2-line block ×3, first 2 shown]
	s_waitcnt vmcnt(3)
	v_or_b32_e32 v2, v24, v2
	s_waitcnt vmcnt(2)
	v_or_b32_e32 v20, v25, v20
	s_waitcnt vmcnt(1)
	v_or_b32_e32 v22, v26, v22
	v_and_b32_e32 v2, 0xffff, v2
	s_delay_alu instid0(VALU_DEP_3) | instskip(NEXT) | instid1(VALU_DEP_3)
	v_lshlrev_b32_e32 v20, 16, v20
	v_and_b32_e32 v22, 0xffff, v22
	s_delay_alu instid0(VALU_DEP_2) | instskip(SKIP_1) | instid1(VALU_DEP_2)
	v_or_b32_e32 v20, v2, v20
	s_waitcnt vmcnt(0)
	v_lshl_or_b32 v21, v21, 16, v22
	s_cbranch_execz .LBB1540_569
	s_branch .LBB1540_578
.LBB1540_568:                           ;   in Loop: Header=BB1540_566 Depth=2
	s_mov_b32 s17, -1
	s_mov_b32 s19, 0
                                        ; implicit-def: $sgpr18
                                        ; implicit-def: $vgpr20_vgpr21
.LBB1540_569:                           ;   in Loop: Header=BB1540_566 Depth=2
	v_add_co_u32 v22, vcc_lo, v71, s24
	s_mov_b32 s16, s25
	s_mov_b32 s17, s25
	v_add_co_ci_u32_e32 v23, vcc_lo, 0, v72, vcc_lo
	v_dual_mov_b32 v21, s17 :: v_dual_mov_b32 v20, s16
	s_mov_b32 s16, exec_lo
	v_cmpx_gt_u32_e64 s42, v70
	s_cbranch_execz .LBB1540_672
; %bb.570:                              ;   in Loop: Header=BB1540_566 Depth=2
	global_load_u8 v2, v[22:23], off
	s_waitcnt vmcnt(0)
	v_dual_mov_b32 v21, s25 :: v_dual_and_b32 v20, 0xffff, v2
	s_or_b32 exec_lo, exec_lo, s16
	s_delay_alu instid0(SALU_CYCLE_1)
	s_mov_b32 s16, exec_lo
	v_cmpx_gt_u32_e64 s42, v75
	s_cbranch_execnz .LBB1540_673
.LBB1540_571:                           ;   in Loop: Header=BB1540_566 Depth=2
	s_or_b32 exec_lo, exec_lo, s16
	s_delay_alu instid0(SALU_CYCLE_1)
	s_mov_b32 s16, exec_lo
	v_cmpx_gt_u32_e64 s42, v76
	s_cbranch_execz .LBB1540_674
.LBB1540_572:                           ;   in Loop: Header=BB1540_566 Depth=2
	global_load_u8 v2, v[22:23], off offset:64
	v_lshrrev_b32_e32 v24, 16, v20
	s_delay_alu instid0(VALU_DEP_1) | instskip(SKIP_1) | instid1(VALU_DEP_1)
	v_and_b32_e32 v24, 0xffffff00, v24
	s_waitcnt vmcnt(0)
	v_or_b32_e32 v2, v2, v24
	s_delay_alu instid0(VALU_DEP_1) | instskip(NEXT) | instid1(VALU_DEP_1)
	v_lshlrev_b32_e32 v2, 16, v2
	v_and_or_b32 v20, 0xffff, v20, v2
	s_or_b32 exec_lo, exec_lo, s16
	s_delay_alu instid0(SALU_CYCLE_1)
	s_mov_b32 s16, exec_lo
	v_cmpx_gt_u32_e64 s42, v77
	s_cbranch_execnz .LBB1540_675
.LBB1540_573:                           ;   in Loop: Header=BB1540_566 Depth=2
	s_or_b32 exec_lo, exec_lo, s16
	s_delay_alu instid0(SALU_CYCLE_1)
	s_mov_b32 s16, exec_lo
	v_cmpx_gt_u32_e64 s42, v78
	s_cbranch_execz .LBB1540_676
.LBB1540_574:                           ;   in Loop: Header=BB1540_566 Depth=2
	global_load_u8 v2, v[22:23], off offset:128
	s_waitcnt vmcnt(0)
	v_perm_b32 v21, v2, v21, 0x3020104
	s_or_b32 exec_lo, exec_lo, s16
	s_delay_alu instid0(SALU_CYCLE_1)
	s_mov_b32 s16, exec_lo
	v_cmpx_gt_u32_e64 s42, v79
	s_cbranch_execnz .LBB1540_677
.LBB1540_575:                           ;   in Loop: Header=BB1540_566 Depth=2
	s_or_b32 exec_lo, exec_lo, s16
	s_delay_alu instid0(SALU_CYCLE_1)
	s_mov_b32 s16, exec_lo
	v_cmpx_gt_u32_e64 s42, v80
	s_cbranch_execz .LBB1540_577
.LBB1540_576:                           ;   in Loop: Header=BB1540_566 Depth=2
	global_load_u8 v2, v[22:23], off offset:192
	s_waitcnt vmcnt(0)
	v_perm_b32 v21, v21, v2, 0x7000504
.LBB1540_577:                           ;   in Loop: Header=BB1540_566 Depth=2
	s_or_b32 exec_lo, exec_lo, s16
	v_cmp_gt_u32_e64 s19, s42, v81
	s_sub_i32 s18, s33, s24
	s_mov_b64 s[16:17], s[24:25]
.LBB1540_578:                           ;   in Loop: Header=BB1540_566 Depth=2
	v_mov_b32_e32 v2, s42
	s_delay_alu instid0(VALU_DEP_2)
	s_and_saveexec_b32 s20, s19
	s_cbranch_execz .LBB1540_580
; %bb.579:                              ;   in Loop: Header=BB1540_566 Depth=2
	v_add_co_u32 v22, vcc_lo, v83, s16
	v_add_co_ci_u32_e32 v23, vcc_lo, s17, v84, vcc_lo
	global_load_u8 v2, v[22:23], off
	s_waitcnt vmcnt(0)
	v_perm_b32 v21, v21, v2, 0x60504
	v_mov_b32_e32 v2, s18
.LBB1540_580:                           ;   in Loop: Header=BB1540_566 Depth=2
	s_or_b32 exec_lo, exec_lo, s20
	v_and_b32_e32 v22, 1, v20
	v_lshrrev_b16 v25, 8, v20
	v_and_b32_e32 v95, 0x10000, v20
	v_and_b32_e32 v94, 0x10000, v21
	v_lshrrev_b16 v26, 8, v21
	v_cmp_eq_u32_e32 vcc_lo, 1, v22
	v_and_b32_e32 v27, 0x1000000, v21
	v_and_b32_e32 v21, 1, v21
	v_cmp_ne_u32_e64 s20, 0, v95
	ds_store_b32 v46, v3 offset:1056
	s_xor_b32 s16, vcc_lo, -1
	ds_store_2addr_b32 v47, v3, v3 offset0:1 offset1:2
	ds_store_2addr_b32 v47, v3, v3 offset0:3 offset1:4
	;; [unrolled: 1-line block ×4, first 2 shown]
	v_cndmask_b32_e64 v93, 0, 1, s16
	v_cmp_eq_u32_e64 s18, 1, v21
	s_waitcnt lgkmcnt(0)
	s_barrier
	buffer_gl0_inv
	v_lshrrev_b32_e32 v22, s49, v93
	; wave barrier
	s_delay_alu instid0(VALU_DEP_1) | instskip(NEXT) | instid1(VALU_DEP_1)
	v_and_b32_e32 v22, s31, v22
	v_add_co_u32 v23, s16, v22, -1
	s_delay_alu instid0(VALU_DEP_1) | instskip(SKIP_2) | instid1(VALU_DEP_3)
	v_cndmask_b32_e64 v24, 0, 1, s16
	v_cmp_ne_u32_e64 s16, 0, v94
	v_mad_u32_u24 v21, v22, 9, v82
	v_cmp_ne_u32_e32 vcc_lo, 0, v24
	v_and_b32_e32 v24, 0x1000000, v20
	s_delay_alu instid0(VALU_DEP_3)
	v_lshl_add_u32 v96, v21, 2, 0x420
	v_xor_b32_e32 v20, vcc_lo, v23
	v_and_b32_e32 v23, 1, v25
	v_and_b32_e32 v25, 1, v26
	v_cmp_ne_u32_e32 vcc_lo, 0, v27
	v_cmp_ne_u32_e64 s19, 0, v24
	v_and_b32_e32 v20, exec_lo, v20
	v_cmp_eq_u32_e64 s21, 1, v23
	v_cmp_eq_u32_e64 s17, 1, v25
	s_delay_alu instid0(VALU_DEP_3) | instskip(SKIP_1) | instid1(VALU_DEP_2)
	v_mbcnt_lo_u32_b32 v94, v20, 0
	v_cmp_ne_u32_e64 s23, 0, v20
	v_cmp_eq_u32_e64 s22, 0, v94
	s_delay_alu instid0(VALU_DEP_1) | instskip(NEXT) | instid1(SALU_CYCLE_1)
	s_and_b32 s23, s23, s22
	s_and_saveexec_b32 s22, s23
	s_cbranch_execz .LBB1540_582
; %bb.581:                              ;   in Loop: Header=BB1540_566 Depth=2
	v_bcnt_u32_b32 v20, v20, 0
	ds_store_b32 v96, v20
.LBB1540_582:                           ;   in Loop: Header=BB1540_566 Depth=2
	s_or_b32 exec_lo, exec_lo, s22
	s_xor_b32 s21, s21, -1
	s_delay_alu instid0(SALU_CYCLE_1) | instskip(NEXT) | instid1(VALU_DEP_1)
	v_cndmask_b32_e64 v95, 0, 1, s21
	; wave barrier
	v_lshrrev_b32_e32 v20, s49, v95
	s_delay_alu instid0(VALU_DEP_1) | instskip(NEXT) | instid1(VALU_DEP_1)
	v_and_b32_e32 v20, s31, v20
	v_add_co_u32 v21, s21, v20, -1
	s_delay_alu instid0(VALU_DEP_1) | instskip(SKIP_1) | instid1(VALU_DEP_2)
	v_cndmask_b32_e64 v22, 0, 1, s21
	v_mul_u32_u24_e32 v20, 9, v20
	v_cmp_ne_u32_e64 s21, 0, v22
	s_delay_alu instid0(VALU_DEP_2) | instskip(NEXT) | instid1(VALU_DEP_2)
	v_add_lshl_u32 v22, v20, v82, 2
	v_xor_b32_e32 v20, s21, v21
	ds_load_b32 v97, v22 offset:1056
	v_add_nc_u32_e32 v100, 0x420, v22
	; wave barrier
	v_and_b32_e32 v20, exec_lo, v20
	s_delay_alu instid0(VALU_DEP_1) | instskip(SKIP_1) | instid1(VALU_DEP_2)
	v_mbcnt_lo_u32_b32 v98, v20, 0
	v_cmp_ne_u32_e64 s22, 0, v20
	v_cmp_eq_u32_e64 s21, 0, v98
	s_delay_alu instid0(VALU_DEP_1) | instskip(NEXT) | instid1(SALU_CYCLE_1)
	s_and_b32 s22, s22, s21
	s_and_saveexec_b32 s21, s22
	s_cbranch_execz .LBB1540_584
; %bb.583:                              ;   in Loop: Header=BB1540_566 Depth=2
	s_waitcnt lgkmcnt(0)
	v_bcnt_u32_b32 v20, v20, v97
	ds_store_b32 v100, v20
.LBB1540_584:                           ;   in Loop: Header=BB1540_566 Depth=2
	s_or_b32 exec_lo, exec_lo, s21
	s_xor_b32 s20, s20, -1
	s_delay_alu instid0(SALU_CYCLE_1) | instskip(NEXT) | instid1(VALU_DEP_1)
	v_cndmask_b32_e64 v99, 0, 1, s20
	; wave barrier
	v_lshrrev_b32_e32 v20, s49, v99
	s_delay_alu instid0(VALU_DEP_1) | instskip(NEXT) | instid1(VALU_DEP_1)
	v_and_b32_e32 v20, s31, v20
	v_add_co_u32 v21, s20, v20, -1
	s_delay_alu instid0(VALU_DEP_1) | instskip(SKIP_1) | instid1(VALU_DEP_2)
	v_cndmask_b32_e64 v22, 0, 1, s20
	v_mul_u32_u24_e32 v20, 9, v20
	v_cmp_ne_u32_e64 s20, 0, v22
	s_delay_alu instid0(VALU_DEP_2) | instskip(NEXT) | instid1(VALU_DEP_2)
	v_add_lshl_u32 v22, v20, v82, 2
	v_xor_b32_e32 v20, s20, v21
	ds_load_b32 v101, v22 offset:1056
	v_add_nc_u32_e32 v105, 0x420, v22
	; wave barrier
	v_and_b32_e32 v20, exec_lo, v20
	s_delay_alu instid0(VALU_DEP_1) | instskip(SKIP_1) | instid1(VALU_DEP_2)
	v_mbcnt_lo_u32_b32 v102, v20, 0
	v_cmp_ne_u32_e64 s21, 0, v20
	v_cmp_eq_u32_e64 s20, 0, v102
	s_delay_alu instid0(VALU_DEP_1) | instskip(NEXT) | instid1(SALU_CYCLE_1)
	s_and_b32 s21, s21, s20
	s_and_saveexec_b32 s20, s21
	s_cbranch_execz .LBB1540_586
; %bb.585:                              ;   in Loop: Header=BB1540_566 Depth=2
	s_waitcnt lgkmcnt(0)
	v_bcnt_u32_b32 v20, v20, v101
	ds_store_b32 v105, v20
.LBB1540_586:                           ;   in Loop: Header=BB1540_566 Depth=2
	;; [unrolled: 33-line block ×6, first 2 shown]
	s_or_b32 exec_lo, exec_lo, s16
	s_xor_b32 s16, vcc_lo, -1
	s_delay_alu instid0(SALU_CYCLE_1) | instskip(NEXT) | instid1(VALU_DEP_1)
	v_cndmask_b32_e64 v119, 0, 1, s16
	; wave barrier
	v_lshrrev_b32_e32 v20, s49, v119
	s_delay_alu instid0(VALU_DEP_1) | instskip(NEXT) | instid1(VALU_DEP_1)
	v_and_b32_e32 v20, s31, v20
	v_add_co_u32 v21, s16, v20, -1
	s_delay_alu instid0(VALU_DEP_1) | instskip(SKIP_1) | instid1(VALU_DEP_2)
	v_cndmask_b32_e64 v22, 0, 1, s16
	v_mul_u32_u24_e32 v20, 9, v20
	v_cmp_ne_u32_e32 vcc_lo, 0, v22
	s_delay_alu instid0(VALU_DEP_2) | instskip(SKIP_4) | instid1(VALU_DEP_1)
	v_add_lshl_u32 v22, v20, v82, 2
	v_xor_b32_e32 v20, vcc_lo, v21
	ds_load_b32 v120, v22 offset:1056
	v_add_nc_u32_e32 v123, 0x420, v22
	; wave barrier
	v_and_b32_e32 v20, exec_lo, v20
	v_mbcnt_lo_u32_b32 v122, v20, 0
	v_cmp_ne_u32_e64 s16, 0, v20
	s_delay_alu instid0(VALU_DEP_2) | instskip(NEXT) | instid1(VALU_DEP_2)
	v_cmp_eq_u32_e32 vcc_lo, 0, v122
	s_and_b32 s17, s16, vcc_lo
	s_delay_alu instid0(SALU_CYCLE_1)
	s_and_saveexec_b32 s16, s17
	s_cbranch_execz .LBB1540_596
; %bb.595:                              ;   in Loop: Header=BB1540_566 Depth=2
	s_waitcnt lgkmcnt(0)
	v_bcnt_u32_b32 v20, v20, v120
	ds_store_b32 v123, v20
.LBB1540_596:                           ;   in Loop: Header=BB1540_566 Depth=2
	s_or_b32 exec_lo, exec_lo, s16
	; wave barrier
	s_waitcnt lgkmcnt(0)
	s_barrier
	buffer_gl0_inv
	ds_load_b32 v124, v46 offset:1056
	ds_load_2addr_b32 v[26:27], v47 offset0:1 offset1:2
	ds_load_2addr_b32 v[24:25], v47 offset0:3 offset1:4
	;; [unrolled: 1-line block ×4, first 2 shown]
	s_waitcnt lgkmcnt(3)
	v_add3_u32 v125, v26, v124, v27
	s_waitcnt lgkmcnt(2)
	s_delay_alu instid0(VALU_DEP_1) | instskip(SKIP_1) | instid1(VALU_DEP_1)
	v_add3_u32 v125, v125, v24, v25
	s_waitcnt lgkmcnt(1)
	v_add3_u32 v125, v125, v20, v21
	s_waitcnt lgkmcnt(0)
	s_delay_alu instid0(VALU_DEP_1) | instskip(NEXT) | instid1(VALU_DEP_1)
	v_add3_u32 v23, v125, v22, v23
	v_mov_b32_dpp v125, v23 row_shr:1 row_mask:0xf bank_mask:0xf
	s_delay_alu instid0(VALU_DEP_1) | instskip(NEXT) | instid1(VALU_DEP_1)
	v_cndmask_b32_e64 v125, v125, 0, s0
	v_add_nc_u32_e32 v23, v125, v23
	s_delay_alu instid0(VALU_DEP_1) | instskip(NEXT) | instid1(VALU_DEP_1)
	v_mov_b32_dpp v125, v23 row_shr:2 row_mask:0xf bank_mask:0xf
	v_cndmask_b32_e64 v125, 0, v125, s1
	s_delay_alu instid0(VALU_DEP_1) | instskip(NEXT) | instid1(VALU_DEP_1)
	v_add_nc_u32_e32 v23, v23, v125
	v_mov_b32_dpp v125, v23 row_shr:4 row_mask:0xf bank_mask:0xf
	s_delay_alu instid0(VALU_DEP_1) | instskip(NEXT) | instid1(VALU_DEP_1)
	v_cndmask_b32_e64 v125, 0, v125, s8
	v_add_nc_u32_e32 v23, v23, v125
	s_delay_alu instid0(VALU_DEP_1) | instskip(NEXT) | instid1(VALU_DEP_1)
	v_mov_b32_dpp v125, v23 row_shr:8 row_mask:0xf bank_mask:0xf
	v_cndmask_b32_e64 v125, 0, v125, s9
	s_delay_alu instid0(VALU_DEP_1) | instskip(SKIP_3) | instid1(VALU_DEP_1)
	v_add_nc_u32_e32 v23, v23, v125
	ds_swizzle_b32 v125, v23 offset:swizzle(BROADCAST,32,15)
	s_waitcnt lgkmcnt(0)
	v_cndmask_b32_e64 v125, v125, 0, s10
	v_add_nc_u32_e32 v23, v23, v125
	s_and_saveexec_b32 s16, s3
	s_cbranch_execz .LBB1540_598
; %bb.597:                              ;   in Loop: Header=BB1540_566 Depth=2
	ds_store_b32 v38, v23 offset:1024
.LBB1540_598:                           ;   in Loop: Header=BB1540_566 Depth=2
	s_or_b32 exec_lo, exec_lo, s16
	s_waitcnt lgkmcnt(0)
	s_barrier
	buffer_gl0_inv
	s_and_saveexec_b32 s16, s4
	s_cbranch_execz .LBB1540_600
; %bb.599:                              ;   in Loop: Header=BB1540_566 Depth=2
	v_add_nc_u32_e32 v125, v46, v48
	ds_load_b32 v126, v125 offset:1024
	s_waitcnt lgkmcnt(0)
	v_mov_b32_dpp v127, v126 row_shr:1 row_mask:0xf bank_mask:0xf
	s_delay_alu instid0(VALU_DEP_1) | instskip(NEXT) | instid1(VALU_DEP_1)
	v_cndmask_b32_e64 v127, v127, 0, s12
	v_add_nc_u32_e32 v126, v127, v126
	s_delay_alu instid0(VALU_DEP_1) | instskip(NEXT) | instid1(VALU_DEP_1)
	v_mov_b32_dpp v127, v126 row_shr:2 row_mask:0xf bank_mask:0xf
	v_cndmask_b32_e64 v127, 0, v127, s13
	s_delay_alu instid0(VALU_DEP_1) | instskip(NEXT) | instid1(VALU_DEP_1)
	v_add_nc_u32_e32 v126, v126, v127
	v_mov_b32_dpp v127, v126 row_shr:4 row_mask:0xf bank_mask:0xf
	s_delay_alu instid0(VALU_DEP_1) | instskip(NEXT) | instid1(VALU_DEP_1)
	v_cndmask_b32_e64 v127, 0, v127, s14
	v_add_nc_u32_e32 v126, v126, v127
	ds_store_b32 v125, v126 offset:1024
.LBB1540_600:                           ;   in Loop: Header=BB1540_566 Depth=2
	s_or_b32 exec_lo, exec_lo, s16
	v_mov_b32_e32 v125, 0
	s_waitcnt lgkmcnt(0)
	s_barrier
	buffer_gl0_inv
	s_and_saveexec_b32 s16, s5
	s_cbranch_execz .LBB1540_602
; %bb.601:                              ;   in Loop: Header=BB1540_566 Depth=2
	ds_load_b32 v125, v38 offset:1020
.LBB1540_602:                           ;   in Loop: Header=BB1540_566 Depth=2
	s_or_b32 exec_lo, exec_lo, s16
	s_waitcnt lgkmcnt(0)
	v_add_nc_u32_e32 v23, v125, v23
	ds_bpermute_b32 v23, v69, v23
	s_waitcnt lgkmcnt(0)
	v_cndmask_b32_e64 v23, v23, v125, s11
	s_delay_alu instid0(VALU_DEP_1) | instskip(NEXT) | instid1(VALU_DEP_1)
	v_cndmask_b32_e64 v23, v23, 0, s6
	v_add_nc_u32_e32 v124, v23, v124
	s_delay_alu instid0(VALU_DEP_1) | instskip(NEXT) | instid1(VALU_DEP_1)
	v_add_nc_u32_e32 v26, v124, v26
	v_add_nc_u32_e32 v27, v26, v27
	s_delay_alu instid0(VALU_DEP_1) | instskip(NEXT) | instid1(VALU_DEP_1)
	v_add_nc_u32_e32 v24, v27, v24
	;; [unrolled: 3-line block ×3, first 2 shown]
	v_add_nc_u32_e32 v21, v20, v21
	s_delay_alu instid0(VALU_DEP_1)
	v_add_nc_u32_e32 v22, v21, v22
	ds_store_b32 v46, v23 offset:1056
	ds_store_2addr_b32 v47, v124, v26 offset0:1 offset1:2
	ds_store_2addr_b32 v47, v27, v24 offset0:3 offset1:4
	;; [unrolled: 1-line block ×4, first 2 shown]
	v_mov_b32_e32 v22, 0x800
	s_waitcnt lgkmcnt(0)
	s_barrier
	buffer_gl0_inv
	ds_load_b32 v20, v100
	ds_load_b32 v21, v105
	;; [unrolled: 1-line block ×8, first 2 shown]
	ds_load_b32 v27, v46 offset:1056
	s_and_saveexec_b32 s16, s7
	s_cbranch_execz .LBB1540_604
; %bb.603:                              ;   in Loop: Header=BB1540_566 Depth=2
	ds_load_b32 v22, v49 offset:1056
.LBB1540_604:                           ;   in Loop: Header=BB1540_566 Depth=2
	s_or_b32 exec_lo, exec_lo, s16
	s_waitcnt lgkmcnt(0)
	s_barrier
	buffer_gl0_inv
	s_and_saveexec_b32 s16, s2
	s_cbranch_execz .LBB1540_606
; %bb.605:                              ;   in Loop: Header=BB1540_566 Depth=2
	ds_load_b32 v96, v28
	s_waitcnt lgkmcnt(0)
	v_sub_nc_u32_e32 v27, v96, v27
	ds_store_b32 v28, v27
.LBB1540_606:                           ;   in Loop: Header=BB1540_566 Depth=2
	s_or_b32 exec_lo, exec_lo, s16
	v_add_nc_u32_e32 v100, v26, v94
	v_add3_u32 v96, v98, v97, v20
	v_add3_u32 v94, v102, v101, v21
	;; [unrolled: 1-line block ×7, first 2 shown]
	v_cmp_lt_u32_e64 s22, v1, v2
	ds_store_b8 v100, v93 offset:1024
	ds_store_b8 v96, v95 offset:1024
	;; [unrolled: 1-line block ×8, first 2 shown]
	s_waitcnt lgkmcnt(0)
	s_barrier
	buffer_gl0_inv
	s_and_saveexec_b32 s16, s22
	s_cbranch_execz .LBB1540_614
; %bb.607:                              ;   in Loop: Header=BB1540_566 Depth=2
	ds_load_u8 v20, v1 offset:1024
	s_waitcnt lgkmcnt(0)
	v_and_b32_e32 v21, 1, v20
	v_xor_b32_e32 v20, 1, v20
	s_delay_alu instid0(VALU_DEP_2) | instskip(NEXT) | instid1(VALU_DEP_1)
	v_lshrrev_b32_e32 v21, s49, v21
	v_and_b32_e32 v21, s31, v21
	s_delay_alu instid0(VALU_DEP_1)
	v_lshlrev_b32_e32 v21, 2, v21
	ds_load_b32 v21, v21
	s_waitcnt lgkmcnt(0)
	v_add_nc_u32_e32 v21, v21, v1
	global_store_b8 v21, v20, s[40:41]
	s_or_b32 exec_lo, exec_lo, s16
	v_cmp_lt_u32_e64 s21, v29, v2
	s_delay_alu instid0(VALU_DEP_1)
	s_and_saveexec_b32 s16, s21
	s_cbranch_execnz .LBB1540_615
.LBB1540_608:                           ;   in Loop: Header=BB1540_566 Depth=2
	s_or_b32 exec_lo, exec_lo, s16
	v_cmp_lt_u32_e64 s20, v30, v2
	s_delay_alu instid0(VALU_DEP_1)
	s_and_saveexec_b32 s16, s20
	s_cbranch_execz .LBB1540_616
.LBB1540_609:                           ;   in Loop: Header=BB1540_566 Depth=2
	ds_load_u8 v20, v35 offset:512
	s_waitcnt lgkmcnt(0)
	v_and_b32_e32 v21, 1, v20
	v_xor_b32_e32 v20, 1, v20
	s_delay_alu instid0(VALU_DEP_2) | instskip(NEXT) | instid1(VALU_DEP_1)
	v_lshrrev_b32_e32 v21, s49, v21
	v_and_b32_e32 v21, s31, v21
	s_delay_alu instid0(VALU_DEP_1)
	v_lshlrev_b32_e32 v21, 2, v21
	ds_load_b32 v21, v21
	s_waitcnt lgkmcnt(0)
	v_add_nc_u32_e32 v21, v21, v30
	global_store_b8 v21, v20, s[40:41]
	s_or_b32 exec_lo, exec_lo, s16
	v_cmp_lt_u32_e64 s19, v31, v2
	s_delay_alu instid0(VALU_DEP_1)
	s_and_saveexec_b32 s16, s19
	s_cbranch_execnz .LBB1540_617
.LBB1540_610:                           ;   in Loop: Header=BB1540_566 Depth=2
	s_or_b32 exec_lo, exec_lo, s16
	v_cmp_lt_u32_e64 s18, v35, v2
	s_delay_alu instid0(VALU_DEP_1)
	s_and_saveexec_b32 s16, s18
	s_cbranch_execz .LBB1540_618
.LBB1540_611:                           ;   in Loop: Header=BB1540_566 Depth=2
	ds_load_u8 v20, v35 offset:1024
	s_waitcnt lgkmcnt(0)
	v_and_b32_e32 v21, 1, v20
	v_xor_b32_e32 v20, 1, v20
	s_delay_alu instid0(VALU_DEP_2) | instskip(NEXT) | instid1(VALU_DEP_1)
	v_lshrrev_b32_e32 v21, s49, v21
	v_and_b32_e32 v21, s31, v21
	s_delay_alu instid0(VALU_DEP_1)
	v_lshlrev_b32_e32 v21, 2, v21
	ds_load_b32 v21, v21
	s_waitcnt lgkmcnt(0)
	v_add_nc_u32_e32 v21, v21, v35
	global_store_b8 v21, v20, s[40:41]
	s_or_b32 exec_lo, exec_lo, s16
	v_cmp_lt_u32_e64 s17, v36, v2
	s_delay_alu instid0(VALU_DEP_1)
	s_and_saveexec_b32 s16, s17
	s_cbranch_execnz .LBB1540_619
.LBB1540_612:                           ;   in Loop: Header=BB1540_566 Depth=2
	s_or_b32 exec_lo, exec_lo, s16
	v_cmp_lt_u32_e64 s16, v37, v2
	s_delay_alu instid0(VALU_DEP_1)
	s_and_saveexec_b32 s23, s16
	s_cbranch_execz .LBB1540_620
.LBB1540_613:                           ;   in Loop: Header=BB1540_566 Depth=2
	ds_load_u8 v20, v35 offset:1536
	s_waitcnt lgkmcnt(0)
	v_and_b32_e32 v21, 1, v20
	v_xor_b32_e32 v20, 1, v20
	s_delay_alu instid0(VALU_DEP_2) | instskip(NEXT) | instid1(VALU_DEP_1)
	v_lshrrev_b32_e32 v21, s49, v21
	v_and_b32_e32 v21, s31, v21
	s_delay_alu instid0(VALU_DEP_1)
	v_lshlrev_b32_e32 v21, 2, v21
	ds_load_b32 v21, v21
	s_waitcnt lgkmcnt(0)
	v_add_nc_u32_e32 v21, v21, v37
	global_store_b8 v21, v20, s[40:41]
	s_or_b32 exec_lo, exec_lo, s23
	v_cmp_lt_u32_e32 vcc_lo, v39, v2
	s_and_saveexec_b32 s23, vcc_lo
	s_cbranch_execnz .LBB1540_621
	s_branch .LBB1540_622
.LBB1540_614:                           ;   in Loop: Header=BB1540_566 Depth=2
	s_or_b32 exec_lo, exec_lo, s16
	v_cmp_lt_u32_e64 s21, v29, v2
	s_delay_alu instid0(VALU_DEP_1)
	s_and_saveexec_b32 s16, s21
	s_cbranch_execz .LBB1540_608
.LBB1540_615:                           ;   in Loop: Header=BB1540_566 Depth=2
	ds_load_u8 v20, v35 offset:256
	s_waitcnt lgkmcnt(0)
	v_and_b32_e32 v21, 1, v20
	v_xor_b32_e32 v20, 1, v20
	s_delay_alu instid0(VALU_DEP_2) | instskip(NEXT) | instid1(VALU_DEP_1)
	v_lshrrev_b32_e32 v21, s49, v21
	v_and_b32_e32 v21, s31, v21
	s_delay_alu instid0(VALU_DEP_1)
	v_lshlrev_b32_e32 v21, 2, v21
	ds_load_b32 v21, v21
	s_waitcnt lgkmcnt(0)
	v_add_nc_u32_e32 v21, v21, v29
	global_store_b8 v21, v20, s[40:41]
	s_or_b32 exec_lo, exec_lo, s16
	v_cmp_lt_u32_e64 s20, v30, v2
	s_delay_alu instid0(VALU_DEP_1)
	s_and_saveexec_b32 s16, s20
	s_cbranch_execnz .LBB1540_609
.LBB1540_616:                           ;   in Loop: Header=BB1540_566 Depth=2
	s_or_b32 exec_lo, exec_lo, s16
	v_cmp_lt_u32_e64 s19, v31, v2
	s_delay_alu instid0(VALU_DEP_1)
	s_and_saveexec_b32 s16, s19
	s_cbranch_execz .LBB1540_610
.LBB1540_617:                           ;   in Loop: Header=BB1540_566 Depth=2
	ds_load_u8 v20, v35 offset:768
	s_waitcnt lgkmcnt(0)
	v_and_b32_e32 v21, 1, v20
	v_xor_b32_e32 v20, 1, v20
	s_delay_alu instid0(VALU_DEP_2) | instskip(NEXT) | instid1(VALU_DEP_1)
	v_lshrrev_b32_e32 v21, s49, v21
	v_and_b32_e32 v21, s31, v21
	s_delay_alu instid0(VALU_DEP_1)
	v_lshlrev_b32_e32 v21, 2, v21
	ds_load_b32 v21, v21
	s_waitcnt lgkmcnt(0)
	v_add_nc_u32_e32 v21, v21, v31
	global_store_b8 v21, v20, s[40:41]
	s_or_b32 exec_lo, exec_lo, s16
	v_cmp_lt_u32_e64 s18, v35, v2
	s_delay_alu instid0(VALU_DEP_1)
	s_and_saveexec_b32 s16, s18
	s_cbranch_execnz .LBB1540_611
.LBB1540_618:                           ;   in Loop: Header=BB1540_566 Depth=2
	s_or_b32 exec_lo, exec_lo, s16
	v_cmp_lt_u32_e64 s17, v36, v2
	s_delay_alu instid0(VALU_DEP_1)
	s_and_saveexec_b32 s16, s17
	s_cbranch_execz .LBB1540_612
.LBB1540_619:                           ;   in Loop: Header=BB1540_566 Depth=2
	ds_load_u8 v20, v35 offset:1280
	s_waitcnt lgkmcnt(0)
	v_and_b32_e32 v21, 1, v20
	v_xor_b32_e32 v20, 1, v20
	s_delay_alu instid0(VALU_DEP_2) | instskip(NEXT) | instid1(VALU_DEP_1)
	v_lshrrev_b32_e32 v21, s49, v21
	v_and_b32_e32 v21, s31, v21
	s_delay_alu instid0(VALU_DEP_1)
	v_lshlrev_b32_e32 v21, 2, v21
	ds_load_b32 v21, v21
	s_waitcnt lgkmcnt(0)
	v_add_nc_u32_e32 v21, v21, v36
	global_store_b8 v21, v20, s[40:41]
	s_or_b32 exec_lo, exec_lo, s16
	v_cmp_lt_u32_e64 s16, v37, v2
	s_delay_alu instid0(VALU_DEP_1)
	s_and_saveexec_b32 s23, s16
	s_cbranch_execnz .LBB1540_613
.LBB1540_620:                           ;   in Loop: Header=BB1540_566 Depth=2
	s_or_b32 exec_lo, exec_lo, s23
	v_cmp_lt_u32_e32 vcc_lo, v39, v2
	s_and_saveexec_b32 s23, vcc_lo
	s_cbranch_execz .LBB1540_622
.LBB1540_621:                           ;   in Loop: Header=BB1540_566 Depth=2
	ds_load_u8 v20, v35 offset:1792
	s_waitcnt lgkmcnt(0)
	v_and_b32_e32 v21, 1, v20
	v_xor_b32_e32 v20, 1, v20
	s_delay_alu instid0(VALU_DEP_2) | instskip(NEXT) | instid1(VALU_DEP_1)
	v_lshrrev_b32_e32 v21, s49, v21
	v_and_b32_e32 v21, s31, v21
	s_delay_alu instid0(VALU_DEP_1)
	v_lshlrev_b32_e32 v21, 2, v21
	ds_load_b32 v21, v21
	s_waitcnt lgkmcnt(0)
	v_add_nc_u32_e32 v21, v21, v39
	global_store_b8 v21, v20, s[40:41]
.LBB1540_622:                           ;   in Loop: Header=BB1540_566 Depth=2
	s_or_b32 exec_lo, exec_lo, s23
	s_lshl_b64 s[52:53], s[24:25], 3
	s_delay_alu instid0(SALU_CYCLE_1) | instskip(NEXT) | instid1(VALU_DEP_1)
	v_add_co_u32 v20, s23, v73, s52
	v_add_co_ci_u32_e64 v21, s23, s53, v74, s23
	v_cmp_lt_u32_e64 s23, v70, v2
	s_delay_alu instid0(VALU_DEP_1) | instskip(NEXT) | instid1(SALU_CYCLE_1)
	s_and_saveexec_b32 s24, s23
	s_xor_b32 s23, exec_lo, s24
	s_cbranch_execz .LBB1540_638
; %bb.623:                              ;   in Loop: Header=BB1540_566 Depth=2
	global_load_b64 v[18:19], v[20:21], off
	s_or_b32 exec_lo, exec_lo, s23
	s_delay_alu instid0(SALU_CYCLE_1)
	s_mov_b32 s24, exec_lo
	v_cmpx_lt_u32_e64 v75, v2
	s_cbranch_execnz .LBB1540_639
.LBB1540_624:                           ;   in Loop: Header=BB1540_566 Depth=2
	s_or_b32 exec_lo, exec_lo, s24
	s_delay_alu instid0(SALU_CYCLE_1)
	s_mov_b32 s24, exec_lo
	v_cmpx_lt_u32_e64 v76, v2
	s_cbranch_execz .LBB1540_640
.LBB1540_625:                           ;   in Loop: Header=BB1540_566 Depth=2
	global_load_b64 v[14:15], v[20:21], off offset:512
	s_or_b32 exec_lo, exec_lo, s24
	s_delay_alu instid0(SALU_CYCLE_1)
	s_mov_b32 s24, exec_lo
	v_cmpx_lt_u32_e64 v77, v2
	s_cbranch_execnz .LBB1540_641
.LBB1540_626:                           ;   in Loop: Header=BB1540_566 Depth=2
	s_or_b32 exec_lo, exec_lo, s24
	s_delay_alu instid0(SALU_CYCLE_1)
	s_mov_b32 s24, exec_lo
	v_cmpx_lt_u32_e64 v78, v2
	s_cbranch_execz .LBB1540_642
.LBB1540_627:                           ;   in Loop: Header=BB1540_566 Depth=2
	global_load_b64 v[10:11], v[20:21], off offset:1024
	s_or_b32 exec_lo, exec_lo, s24
	s_delay_alu instid0(SALU_CYCLE_1)
	s_mov_b32 s24, exec_lo
	v_cmpx_lt_u32_e64 v79, v2
	s_cbranch_execnz .LBB1540_643
.LBB1540_628:                           ;   in Loop: Header=BB1540_566 Depth=2
	s_or_b32 exec_lo, exec_lo, s24
	s_delay_alu instid0(SALU_CYCLE_1)
	s_mov_b32 s24, exec_lo
	v_cmpx_lt_u32_e64 v80, v2
	s_cbranch_execz .LBB1540_644
.LBB1540_629:                           ;   in Loop: Header=BB1540_566 Depth=2
	global_load_b64 v[6:7], v[20:21], off offset:1536
	s_or_b32 exec_lo, exec_lo, s24
	s_delay_alu instid0(SALU_CYCLE_1)
	s_mov_b32 s24, exec_lo
	v_cmpx_lt_u32_e64 v81, v2
	s_cbranch_execnz .LBB1540_645
.LBB1540_630:                           ;   in Loop: Header=BB1540_566 Depth=2
	s_or_b32 exec_lo, exec_lo, s24
	s_and_saveexec_b32 s23, s22
	s_cbranch_execz .LBB1540_646
.LBB1540_631:                           ;   in Loop: Header=BB1540_566 Depth=2
	ds_load_u8 v2, v1 offset:1024
	s_waitcnt lgkmcnt(0)
	v_lshrrev_b32_e32 v2, s49, v2
	s_delay_alu instid0(VALU_DEP_1)
	v_and_b32_e32 v92, s31, v2
	s_or_b32 exec_lo, exec_lo, s23
	s_and_saveexec_b32 s23, s21
	s_cbranch_execnz .LBB1540_647
.LBB1540_632:                           ;   in Loop: Header=BB1540_566 Depth=2
	s_or_b32 exec_lo, exec_lo, s23
	s_and_saveexec_b32 s23, s20
	s_cbranch_execz .LBB1540_648
.LBB1540_633:                           ;   in Loop: Header=BB1540_566 Depth=2
	ds_load_u8 v2, v35 offset:512
	s_waitcnt lgkmcnt(0)
	v_lshrrev_b32_e32 v2, s49, v2
	s_delay_alu instid0(VALU_DEP_1)
	v_and_b32_e32 v90, s31, v2
	s_or_b32 exec_lo, exec_lo, s23
	s_and_saveexec_b32 s23, s19
	s_cbranch_execnz .LBB1540_649
.LBB1540_634:                           ;   in Loop: Header=BB1540_566 Depth=2
	s_or_b32 exec_lo, exec_lo, s23
	s_and_saveexec_b32 s23, s18
	s_cbranch_execz .LBB1540_650
.LBB1540_635:                           ;   in Loop: Header=BB1540_566 Depth=2
	ds_load_u8 v2, v35 offset:1024
	s_waitcnt lgkmcnt(0)
	v_lshrrev_b32_e32 v2, s49, v2
	s_delay_alu instid0(VALU_DEP_1)
	v_and_b32_e32 v88, s31, v2
	s_or_b32 exec_lo, exec_lo, s23
	s_and_saveexec_b32 s23, s17
	s_cbranch_execnz .LBB1540_651
.LBB1540_636:                           ;   in Loop: Header=BB1540_566 Depth=2
	s_or_b32 exec_lo, exec_lo, s23
	s_and_saveexec_b32 s23, s16
	s_cbranch_execz .LBB1540_652
.LBB1540_637:                           ;   in Loop: Header=BB1540_566 Depth=2
	ds_load_u8 v2, v35 offset:1536
	s_waitcnt lgkmcnt(0)
	v_lshrrev_b32_e32 v2, s49, v2
	s_delay_alu instid0(VALU_DEP_1)
	v_and_b32_e32 v86, s31, v2
	s_or_b32 exec_lo, exec_lo, s23
	s_and_saveexec_b32 s23, vcc_lo
	s_cbranch_execnz .LBB1540_653
	s_branch .LBB1540_654
.LBB1540_638:                           ;   in Loop: Header=BB1540_566 Depth=2
	s_or_b32 exec_lo, exec_lo, s23
	s_delay_alu instid0(SALU_CYCLE_1)
	s_mov_b32 s24, exec_lo
	v_cmpx_lt_u32_e64 v75, v2
	s_cbranch_execz .LBB1540_624
.LBB1540_639:                           ;   in Loop: Header=BB1540_566 Depth=2
	global_load_b64 v[16:17], v[20:21], off offset:256
	s_or_b32 exec_lo, exec_lo, s24
	s_delay_alu instid0(SALU_CYCLE_1)
	s_mov_b32 s24, exec_lo
	v_cmpx_lt_u32_e64 v76, v2
	s_cbranch_execnz .LBB1540_625
.LBB1540_640:                           ;   in Loop: Header=BB1540_566 Depth=2
	s_or_b32 exec_lo, exec_lo, s24
	s_delay_alu instid0(SALU_CYCLE_1)
	s_mov_b32 s24, exec_lo
	v_cmpx_lt_u32_e64 v77, v2
	s_cbranch_execz .LBB1540_626
.LBB1540_641:                           ;   in Loop: Header=BB1540_566 Depth=2
	global_load_b64 v[12:13], v[20:21], off offset:768
	s_or_b32 exec_lo, exec_lo, s24
	s_delay_alu instid0(SALU_CYCLE_1)
	s_mov_b32 s24, exec_lo
	v_cmpx_lt_u32_e64 v78, v2
	s_cbranch_execnz .LBB1540_627
.LBB1540_642:                           ;   in Loop: Header=BB1540_566 Depth=2
	s_or_b32 exec_lo, exec_lo, s24
	s_delay_alu instid0(SALU_CYCLE_1)
	s_mov_b32 s24, exec_lo
	v_cmpx_lt_u32_e64 v79, v2
	s_cbranch_execz .LBB1540_628
.LBB1540_643:                           ;   in Loop: Header=BB1540_566 Depth=2
	global_load_b64 v[8:9], v[20:21], off offset:1280
	s_or_b32 exec_lo, exec_lo, s24
	s_delay_alu instid0(SALU_CYCLE_1)
	s_mov_b32 s24, exec_lo
	v_cmpx_lt_u32_e64 v80, v2
	s_cbranch_execnz .LBB1540_629
.LBB1540_644:                           ;   in Loop: Header=BB1540_566 Depth=2
	s_or_b32 exec_lo, exec_lo, s24
	s_delay_alu instid0(SALU_CYCLE_1)
	s_mov_b32 s24, exec_lo
	v_cmpx_lt_u32_e64 v81, v2
	s_cbranch_execz .LBB1540_630
.LBB1540_645:                           ;   in Loop: Header=BB1540_566 Depth=2
	global_load_b64 v[4:5], v[20:21], off offset:1792
	s_or_b32 exec_lo, exec_lo, s24
	s_and_saveexec_b32 s23, s22
	s_cbranch_execnz .LBB1540_631
.LBB1540_646:                           ;   in Loop: Header=BB1540_566 Depth=2
	s_or_b32 exec_lo, exec_lo, s23
	s_and_saveexec_b32 s23, s21
	s_cbranch_execz .LBB1540_632
.LBB1540_647:                           ;   in Loop: Header=BB1540_566 Depth=2
	ds_load_u8 v2, v35 offset:256
	s_waitcnt lgkmcnt(0)
	v_lshrrev_b32_e32 v2, s49, v2
	s_delay_alu instid0(VALU_DEP_1)
	v_and_b32_e32 v91, s31, v2
	s_or_b32 exec_lo, exec_lo, s23
	s_and_saveexec_b32 s23, s20
	s_cbranch_execnz .LBB1540_633
.LBB1540_648:                           ;   in Loop: Header=BB1540_566 Depth=2
	s_or_b32 exec_lo, exec_lo, s23
	s_and_saveexec_b32 s23, s19
	s_cbranch_execz .LBB1540_634
.LBB1540_649:                           ;   in Loop: Header=BB1540_566 Depth=2
	ds_load_u8 v2, v35 offset:768
	s_waitcnt lgkmcnt(0)
	v_lshrrev_b32_e32 v2, s49, v2
	s_delay_alu instid0(VALU_DEP_1)
	v_and_b32_e32 v89, s31, v2
	s_or_b32 exec_lo, exec_lo, s23
	s_and_saveexec_b32 s23, s18
	s_cbranch_execnz .LBB1540_635
.LBB1540_650:                           ;   in Loop: Header=BB1540_566 Depth=2
	s_or_b32 exec_lo, exec_lo, s23
	s_and_saveexec_b32 s23, s17
	s_cbranch_execz .LBB1540_636
.LBB1540_651:                           ;   in Loop: Header=BB1540_566 Depth=2
	ds_load_u8 v2, v35 offset:1280
	s_waitcnt lgkmcnt(0)
	v_lshrrev_b32_e32 v2, s49, v2
	s_delay_alu instid0(VALU_DEP_1)
	v_and_b32_e32 v87, s31, v2
	s_or_b32 exec_lo, exec_lo, s23
	s_and_saveexec_b32 s23, s16
	s_cbranch_execnz .LBB1540_637
.LBB1540_652:                           ;   in Loop: Header=BB1540_566 Depth=2
	s_or_b32 exec_lo, exec_lo, s23
	s_and_saveexec_b32 s23, vcc_lo
	s_cbranch_execz .LBB1540_654
.LBB1540_653:                           ;   in Loop: Header=BB1540_566 Depth=2
	ds_load_u8 v2, v35 offset:1792
	s_waitcnt lgkmcnt(0)
	v_lshrrev_b32_e32 v2, s49, v2
	s_delay_alu instid0(VALU_DEP_1)
	v_and_b32_e32 v85, s31, v2
.LBB1540_654:                           ;   in Loop: Header=BB1540_566 Depth=2
	s_or_b32 exec_lo, exec_lo, s23
	v_lshlrev_b32_e32 v2, 3, v100
	v_lshlrev_b32_e32 v20, 3, v96
	;; [unrolled: 1-line block ×3, first 2 shown]
	s_waitcnt vmcnt(0)
	s_waitcnt_vscnt null, 0x0
	s_barrier
	buffer_gl0_inv
	ds_store_b64 v2, v[18:19] offset:1024
	ds_store_b64 v20, v[16:17] offset:1024
	;; [unrolled: 1-line block ×3, first 2 shown]
	v_lshlrev_b32_e32 v2, 3, v27
	v_lshlrev_b32_e32 v20, 3, v26
	;; [unrolled: 1-line block ×5, first 2 shown]
	ds_store_b64 v2, v[12:13] offset:1024
	ds_store_b64 v20, v[10:11] offset:1024
	;; [unrolled: 1-line block ×5, first 2 shown]
	s_waitcnt lgkmcnt(0)
	s_barrier
	buffer_gl0_inv
	s_and_saveexec_b32 s23, s22
	s_cbranch_execz .LBB1540_662
; %bb.655:                              ;   in Loop: Header=BB1540_566 Depth=2
	v_lshlrev_b32_e32 v2, 2, v92
	v_add_nc_u32_e32 v20, v1, v52
	ds_load_b32 v2, v2
	ds_load_b64 v[20:21], v20 offset:1024
	s_waitcnt lgkmcnt(1)
	v_add_nc_u32_e32 v2, v2, v1
	s_delay_alu instid0(VALU_DEP_1) | instskip(NEXT) | instid1(VALU_DEP_1)
	v_lshlrev_b64 v[23:24], 3, v[2:3]
	v_add_co_u32 v23, s22, s46, v23
	s_delay_alu instid0(VALU_DEP_1)
	v_add_co_ci_u32_e64 v24, s22, s47, v24, s22
	s_waitcnt lgkmcnt(0)
	global_store_b64 v[23:24], v[20:21], off
	s_or_b32 exec_lo, exec_lo, s23
	v_add_nc_u32_e32 v20, v35, v52
	s_and_saveexec_b32 s22, s21
	s_cbranch_execnz .LBB1540_663
.LBB1540_656:                           ;   in Loop: Header=BB1540_566 Depth=2
	s_or_b32 exec_lo, exec_lo, s22
	s_and_saveexec_b32 s21, s20
	s_cbranch_execz .LBB1540_664
.LBB1540_657:                           ;   in Loop: Header=BB1540_566 Depth=2
	v_lshlrev_b32_e32 v2, 2, v90
	ds_load_b32 v2, v2
	ds_load_b64 v[23:24], v20 offset:4096
	s_waitcnt lgkmcnt(1)
	v_add_nc_u32_e32 v2, v2, v30
	s_delay_alu instid0(VALU_DEP_1) | instskip(NEXT) | instid1(VALU_DEP_1)
	v_lshlrev_b64 v[25:26], 3, v[2:3]
	v_add_co_u32 v25, s20, s46, v25
	s_delay_alu instid0(VALU_DEP_1)
	v_add_co_ci_u32_e64 v26, s20, s47, v26, s20
	s_waitcnt lgkmcnt(0)
	global_store_b64 v[25:26], v[23:24], off
	s_or_b32 exec_lo, exec_lo, s21
	s_and_saveexec_b32 s20, s19
	s_cbranch_execnz .LBB1540_665
.LBB1540_658:                           ;   in Loop: Header=BB1540_566 Depth=2
	s_or_b32 exec_lo, exec_lo, s20
	s_and_saveexec_b32 s19, s18
	s_cbranch_execz .LBB1540_666
.LBB1540_659:                           ;   in Loop: Header=BB1540_566 Depth=2
	v_lshlrev_b32_e32 v2, 2, v88
	ds_load_b32 v2, v2
	ds_load_b64 v[23:24], v20 offset:8192
	s_waitcnt lgkmcnt(1)
	v_add_nc_u32_e32 v2, v2, v35
	s_delay_alu instid0(VALU_DEP_1) | instskip(NEXT) | instid1(VALU_DEP_1)
	v_lshlrev_b64 v[25:26], 3, v[2:3]
	v_add_co_u32 v25, s18, s46, v25
	s_delay_alu instid0(VALU_DEP_1)
	v_add_co_ci_u32_e64 v26, s18, s47, v26, s18
	s_waitcnt lgkmcnt(0)
	global_store_b64 v[25:26], v[23:24], off
	s_or_b32 exec_lo, exec_lo, s19
	s_and_saveexec_b32 s18, s17
	s_cbranch_execnz .LBB1540_667
.LBB1540_660:                           ;   in Loop: Header=BB1540_566 Depth=2
	s_or_b32 exec_lo, exec_lo, s18
	s_and_saveexec_b32 s17, s16
	s_cbranch_execz .LBB1540_668
.LBB1540_661:                           ;   in Loop: Header=BB1540_566 Depth=2
	v_lshlrev_b32_e32 v2, 2, v86
	ds_load_b32 v2, v2
	ds_load_b64 v[23:24], v20 offset:12288
	s_waitcnt lgkmcnt(1)
	v_add_nc_u32_e32 v2, v2, v37
	s_delay_alu instid0(VALU_DEP_1) | instskip(NEXT) | instid1(VALU_DEP_1)
	v_lshlrev_b64 v[25:26], 3, v[2:3]
	v_add_co_u32 v25, s16, s46, v25
	s_delay_alu instid0(VALU_DEP_1)
	v_add_co_ci_u32_e64 v26, s16, s47, v26, s16
	s_waitcnt lgkmcnt(0)
	global_store_b64 v[25:26], v[23:24], off
	s_or_b32 exec_lo, exec_lo, s17
	s_and_saveexec_b32 s16, vcc_lo
	s_cbranch_execnz .LBB1540_669
	s_branch .LBB1540_670
.LBB1540_662:                           ;   in Loop: Header=BB1540_566 Depth=2
	s_or_b32 exec_lo, exec_lo, s23
	v_add_nc_u32_e32 v20, v35, v52
	s_and_saveexec_b32 s22, s21
	s_cbranch_execz .LBB1540_656
.LBB1540_663:                           ;   in Loop: Header=BB1540_566 Depth=2
	v_lshlrev_b32_e32 v2, 2, v91
	ds_load_b32 v2, v2
	ds_load_b64 v[23:24], v20 offset:2048
	s_waitcnt lgkmcnt(1)
	v_add_nc_u32_e32 v2, v2, v29
	s_delay_alu instid0(VALU_DEP_1) | instskip(NEXT) | instid1(VALU_DEP_1)
	v_lshlrev_b64 v[25:26], 3, v[2:3]
	v_add_co_u32 v25, s21, s46, v25
	s_delay_alu instid0(VALU_DEP_1)
	v_add_co_ci_u32_e64 v26, s21, s47, v26, s21
	s_waitcnt lgkmcnt(0)
	global_store_b64 v[25:26], v[23:24], off
	s_or_b32 exec_lo, exec_lo, s22
	s_and_saveexec_b32 s21, s20
	s_cbranch_execnz .LBB1540_657
.LBB1540_664:                           ;   in Loop: Header=BB1540_566 Depth=2
	s_or_b32 exec_lo, exec_lo, s21
	s_and_saveexec_b32 s20, s19
	s_cbranch_execz .LBB1540_658
.LBB1540_665:                           ;   in Loop: Header=BB1540_566 Depth=2
	v_lshlrev_b32_e32 v2, 2, v89
	ds_load_b32 v2, v2
	ds_load_b64 v[23:24], v20 offset:6144
	s_waitcnt lgkmcnt(1)
	v_add_nc_u32_e32 v2, v2, v31
	s_delay_alu instid0(VALU_DEP_1) | instskip(NEXT) | instid1(VALU_DEP_1)
	v_lshlrev_b64 v[25:26], 3, v[2:3]
	v_add_co_u32 v25, s19, s46, v25
	s_delay_alu instid0(VALU_DEP_1)
	v_add_co_ci_u32_e64 v26, s19, s47, v26, s19
	s_waitcnt lgkmcnt(0)
	global_store_b64 v[25:26], v[23:24], off
	s_or_b32 exec_lo, exec_lo, s20
	s_and_saveexec_b32 s19, s18
	s_cbranch_execnz .LBB1540_659
.LBB1540_666:                           ;   in Loop: Header=BB1540_566 Depth=2
	s_or_b32 exec_lo, exec_lo, s19
	s_and_saveexec_b32 s18, s17
	s_cbranch_execz .LBB1540_660
.LBB1540_667:                           ;   in Loop: Header=BB1540_566 Depth=2
	v_lshlrev_b32_e32 v2, 2, v87
	ds_load_b32 v2, v2
	ds_load_b64 v[23:24], v20 offset:10240
	s_waitcnt lgkmcnt(1)
	v_add_nc_u32_e32 v2, v2, v36
	s_delay_alu instid0(VALU_DEP_1) | instskip(NEXT) | instid1(VALU_DEP_1)
	v_lshlrev_b64 v[25:26], 3, v[2:3]
	v_add_co_u32 v25, s17, s46, v25
	s_delay_alu instid0(VALU_DEP_1)
	v_add_co_ci_u32_e64 v26, s17, s47, v26, s17
	s_waitcnt lgkmcnt(0)
	global_store_b64 v[25:26], v[23:24], off
	s_or_b32 exec_lo, exec_lo, s18
	s_and_saveexec_b32 s17, s16
	s_cbranch_execnz .LBB1540_661
.LBB1540_668:                           ;   in Loop: Header=BB1540_566 Depth=2
	s_or_b32 exec_lo, exec_lo, s17
	s_and_saveexec_b32 s16, vcc_lo
	s_cbranch_execz .LBB1540_670
.LBB1540_669:                           ;   in Loop: Header=BB1540_566 Depth=2
	v_lshlrev_b32_e32 v2, 2, v85
	ds_load_b32 v2, v2
	ds_load_b64 v[20:21], v20 offset:14336
	s_waitcnt lgkmcnt(1)
	v_add_nc_u32_e32 v2, v2, v39
	s_delay_alu instid0(VALU_DEP_1) | instskip(NEXT) | instid1(VALU_DEP_1)
	v_lshlrev_b64 v[23:24], 3, v[2:3]
	v_add_co_u32 v23, vcc_lo, s46, v23
	s_delay_alu instid0(VALU_DEP_2)
	v_add_co_ci_u32_e32 v24, vcc_lo, s47, v24, vcc_lo
	s_waitcnt lgkmcnt(0)
	global_store_b64 v[23:24], v[20:21], off
.LBB1540_670:                           ;   in Loop: Header=BB1540_566 Depth=2
	s_or_b32 exec_lo, exec_lo, s16
	s_waitcnt_vscnt null, 0x0
	s_barrier
	buffer_gl0_inv
	s_and_saveexec_b32 s16, s2
	s_cbranch_execz .LBB1540_565
; %bb.671:                              ;   in Loop: Header=BB1540_566 Depth=2
	ds_load_b32 v2, v28
	s_waitcnt lgkmcnt(0)
	v_add_nc_u32_e32 v2, v2, v22
	ds_store_b32 v28, v2
	s_branch .LBB1540_565
.LBB1540_672:                           ;   in Loop: Header=BB1540_566 Depth=2
	s_or_b32 exec_lo, exec_lo, s16
	s_delay_alu instid0(SALU_CYCLE_1)
	s_mov_b32 s16, exec_lo
	v_cmpx_gt_u32_e64 s42, v75
	s_cbranch_execz .LBB1540_571
.LBB1540_673:                           ;   in Loop: Header=BB1540_566 Depth=2
	global_load_u8 v2, v[22:23], off offset:32
	s_waitcnt vmcnt(0)
	v_perm_b32 v20, v20, v2, 0x7060004
	s_or_b32 exec_lo, exec_lo, s16
	s_delay_alu instid0(SALU_CYCLE_1)
	s_mov_b32 s16, exec_lo
	v_cmpx_gt_u32_e64 s42, v76
	s_cbranch_execnz .LBB1540_572
.LBB1540_674:                           ;   in Loop: Header=BB1540_566 Depth=2
	s_or_b32 exec_lo, exec_lo, s16
	s_delay_alu instid0(SALU_CYCLE_1)
	s_mov_b32 s16, exec_lo
	v_cmpx_gt_u32_e64 s42, v77
	s_cbranch_execz .LBB1540_573
.LBB1540_675:                           ;   in Loop: Header=BB1540_566 Depth=2
	global_load_u8 v2, v[22:23], off offset:96
	v_lshrrev_b32_e32 v24, 16, v20
	s_delay_alu instid0(VALU_DEP_1) | instskip(SKIP_2) | instid1(VALU_DEP_1)
	v_and_b32_e32 v24, 0xff, v24
	s_waitcnt vmcnt(0)
	v_lshlrev_b16 v2, 8, v2
	v_or_b32_e32 v2, v24, v2
	s_delay_alu instid0(VALU_DEP_1) | instskip(NEXT) | instid1(VALU_DEP_1)
	v_lshlrev_b32_e32 v2, 16, v2
	v_and_or_b32 v20, 0xffff, v20, v2
	s_or_b32 exec_lo, exec_lo, s16
	s_delay_alu instid0(SALU_CYCLE_1)
	s_mov_b32 s16, exec_lo
	v_cmpx_gt_u32_e64 s42, v78
	s_cbranch_execnz .LBB1540_574
.LBB1540_676:                           ;   in Loop: Header=BB1540_566 Depth=2
	s_or_b32 exec_lo, exec_lo, s16
	s_delay_alu instid0(SALU_CYCLE_1)
	s_mov_b32 s16, exec_lo
	v_cmpx_gt_u32_e64 s42, v79
	s_cbranch_execz .LBB1540_575
.LBB1540_677:                           ;   in Loop: Header=BB1540_566 Depth=2
	global_load_u8 v2, v[22:23], off offset:160
	s_waitcnt vmcnt(0)
	v_perm_b32 v21, v21, v2, 0x7060004
	s_or_b32 exec_lo, exec_lo, s16
	s_delay_alu instid0(SALU_CYCLE_1)
	s_mov_b32 s16, exec_lo
	v_cmpx_gt_u32_e64 s42, v80
	s_cbranch_execnz .LBB1540_576
	s_branch .LBB1540_577
.LBB1540_678:
	s_endpgm
	.section	.rodata,"a",@progbits
	.p2align	6, 0x0
	.amdhsa_kernel _ZN7rocprim17ROCPRIM_400000_NS6detail17trampoline_kernelINS0_14default_configENS1_36segmented_radix_sort_config_selectorIblEEZNS1_25segmented_radix_sort_implIS3_Lb1EPKbPbPKlPlN2at6native12_GLOBAL__N_18offset_tEEE10hipError_tPvRmT1_PNSt15iterator_traitsISK_E10value_typeET2_T3_PNSL_ISQ_E10value_typeET4_jRbjT5_SW_jjP12ihipStream_tbEUlT_E_NS1_11comp_targetILNS1_3genE9ELNS1_11target_archE1100ELNS1_3gpuE3ELNS1_3repE0EEENS1_30default_config_static_selectorELNS0_4arch9wavefront6targetE0EEEvSK_
		.amdhsa_group_segment_fixed_size 17440
		.amdhsa_private_segment_fixed_size 0
		.amdhsa_kernarg_size 352
		.amdhsa_user_sgpr_count 14
		.amdhsa_user_sgpr_dispatch_ptr 0
		.amdhsa_user_sgpr_queue_ptr 0
		.amdhsa_user_sgpr_kernarg_segment_ptr 1
		.amdhsa_user_sgpr_dispatch_id 0
		.amdhsa_user_sgpr_private_segment_size 0
		.amdhsa_wavefront_size32 1
		.amdhsa_uses_dynamic_stack 0
		.amdhsa_enable_private_segment 0
		.amdhsa_system_sgpr_workgroup_id_x 1
		.amdhsa_system_sgpr_workgroup_id_y 1
		.amdhsa_system_sgpr_workgroup_id_z 0
		.amdhsa_system_sgpr_workgroup_info 0
		.amdhsa_system_vgpr_workitem_id 2
		.amdhsa_next_free_vgpr 183
		.amdhsa_next_free_sgpr 54
		.amdhsa_reserve_vcc 1
		.amdhsa_float_round_mode_32 0
		.amdhsa_float_round_mode_16_64 0
		.amdhsa_float_denorm_mode_32 3
		.amdhsa_float_denorm_mode_16_64 3
		.amdhsa_dx10_clamp 1
		.amdhsa_ieee_mode 1
		.amdhsa_fp16_overflow 0
		.amdhsa_workgroup_processor_mode 1
		.amdhsa_memory_ordered 1
		.amdhsa_forward_progress 0
		.amdhsa_shared_vgpr_count 0
		.amdhsa_exception_fp_ieee_invalid_op 0
		.amdhsa_exception_fp_denorm_src 0
		.amdhsa_exception_fp_ieee_div_zero 0
		.amdhsa_exception_fp_ieee_overflow 0
		.amdhsa_exception_fp_ieee_underflow 0
		.amdhsa_exception_fp_ieee_inexact 0
		.amdhsa_exception_int_div_zero 0
	.end_amdhsa_kernel
	.section	.text._ZN7rocprim17ROCPRIM_400000_NS6detail17trampoline_kernelINS0_14default_configENS1_36segmented_radix_sort_config_selectorIblEEZNS1_25segmented_radix_sort_implIS3_Lb1EPKbPbPKlPlN2at6native12_GLOBAL__N_18offset_tEEE10hipError_tPvRmT1_PNSt15iterator_traitsISK_E10value_typeET2_T3_PNSL_ISQ_E10value_typeET4_jRbjT5_SW_jjP12ihipStream_tbEUlT_E_NS1_11comp_targetILNS1_3genE9ELNS1_11target_archE1100ELNS1_3gpuE3ELNS1_3repE0EEENS1_30default_config_static_selectorELNS0_4arch9wavefront6targetE0EEEvSK_,"axG",@progbits,_ZN7rocprim17ROCPRIM_400000_NS6detail17trampoline_kernelINS0_14default_configENS1_36segmented_radix_sort_config_selectorIblEEZNS1_25segmented_radix_sort_implIS3_Lb1EPKbPbPKlPlN2at6native12_GLOBAL__N_18offset_tEEE10hipError_tPvRmT1_PNSt15iterator_traitsISK_E10value_typeET2_T3_PNSL_ISQ_E10value_typeET4_jRbjT5_SW_jjP12ihipStream_tbEUlT_E_NS1_11comp_targetILNS1_3genE9ELNS1_11target_archE1100ELNS1_3gpuE3ELNS1_3repE0EEENS1_30default_config_static_selectorELNS0_4arch9wavefront6targetE0EEEvSK_,comdat
.Lfunc_end1540:
	.size	_ZN7rocprim17ROCPRIM_400000_NS6detail17trampoline_kernelINS0_14default_configENS1_36segmented_radix_sort_config_selectorIblEEZNS1_25segmented_radix_sort_implIS3_Lb1EPKbPbPKlPlN2at6native12_GLOBAL__N_18offset_tEEE10hipError_tPvRmT1_PNSt15iterator_traitsISK_E10value_typeET2_T3_PNSL_ISQ_E10value_typeET4_jRbjT5_SW_jjP12ihipStream_tbEUlT_E_NS1_11comp_targetILNS1_3genE9ELNS1_11target_archE1100ELNS1_3gpuE3ELNS1_3repE0EEENS1_30default_config_static_selectorELNS0_4arch9wavefront6targetE0EEEvSK_, .Lfunc_end1540-_ZN7rocprim17ROCPRIM_400000_NS6detail17trampoline_kernelINS0_14default_configENS1_36segmented_radix_sort_config_selectorIblEEZNS1_25segmented_radix_sort_implIS3_Lb1EPKbPbPKlPlN2at6native12_GLOBAL__N_18offset_tEEE10hipError_tPvRmT1_PNSt15iterator_traitsISK_E10value_typeET2_T3_PNSL_ISQ_E10value_typeET4_jRbjT5_SW_jjP12ihipStream_tbEUlT_E_NS1_11comp_targetILNS1_3genE9ELNS1_11target_archE1100ELNS1_3gpuE3ELNS1_3repE0EEENS1_30default_config_static_selectorELNS0_4arch9wavefront6targetE0EEEvSK_
                                        ; -- End function
	.section	.AMDGPU.csdata,"",@progbits
; Kernel info:
; codeLenInByte = 34152
; NumSgprs: 56
; NumVgprs: 183
; ScratchSize: 0
; MemoryBound: 0
; FloatMode: 240
; IeeeMode: 1
; LDSByteSize: 17440 bytes/workgroup (compile time only)
; SGPRBlocks: 6
; VGPRBlocks: 22
; NumSGPRsForWavesPerEU: 56
; NumVGPRsForWavesPerEU: 183
; Occupancy: 8
; WaveLimiterHint : 1
; COMPUTE_PGM_RSRC2:SCRATCH_EN: 0
; COMPUTE_PGM_RSRC2:USER_SGPR: 14
; COMPUTE_PGM_RSRC2:TRAP_HANDLER: 0
; COMPUTE_PGM_RSRC2:TGID_X_EN: 1
; COMPUTE_PGM_RSRC2:TGID_Y_EN: 1
; COMPUTE_PGM_RSRC2:TGID_Z_EN: 0
; COMPUTE_PGM_RSRC2:TIDIG_COMP_CNT: 2
	.section	.text._ZN7rocprim17ROCPRIM_400000_NS6detail17trampoline_kernelINS0_14default_configENS1_36segmented_radix_sort_config_selectorIblEEZNS1_25segmented_radix_sort_implIS3_Lb1EPKbPbPKlPlN2at6native12_GLOBAL__N_18offset_tEEE10hipError_tPvRmT1_PNSt15iterator_traitsISK_E10value_typeET2_T3_PNSL_ISQ_E10value_typeET4_jRbjT5_SW_jjP12ihipStream_tbEUlT_E_NS1_11comp_targetILNS1_3genE8ELNS1_11target_archE1030ELNS1_3gpuE2ELNS1_3repE0EEENS1_30default_config_static_selectorELNS0_4arch9wavefront6targetE0EEEvSK_,"axG",@progbits,_ZN7rocprim17ROCPRIM_400000_NS6detail17trampoline_kernelINS0_14default_configENS1_36segmented_radix_sort_config_selectorIblEEZNS1_25segmented_radix_sort_implIS3_Lb1EPKbPbPKlPlN2at6native12_GLOBAL__N_18offset_tEEE10hipError_tPvRmT1_PNSt15iterator_traitsISK_E10value_typeET2_T3_PNSL_ISQ_E10value_typeET4_jRbjT5_SW_jjP12ihipStream_tbEUlT_E_NS1_11comp_targetILNS1_3genE8ELNS1_11target_archE1030ELNS1_3gpuE2ELNS1_3repE0EEENS1_30default_config_static_selectorELNS0_4arch9wavefront6targetE0EEEvSK_,comdat
	.globl	_ZN7rocprim17ROCPRIM_400000_NS6detail17trampoline_kernelINS0_14default_configENS1_36segmented_radix_sort_config_selectorIblEEZNS1_25segmented_radix_sort_implIS3_Lb1EPKbPbPKlPlN2at6native12_GLOBAL__N_18offset_tEEE10hipError_tPvRmT1_PNSt15iterator_traitsISK_E10value_typeET2_T3_PNSL_ISQ_E10value_typeET4_jRbjT5_SW_jjP12ihipStream_tbEUlT_E_NS1_11comp_targetILNS1_3genE8ELNS1_11target_archE1030ELNS1_3gpuE2ELNS1_3repE0EEENS1_30default_config_static_selectorELNS0_4arch9wavefront6targetE0EEEvSK_ ; -- Begin function _ZN7rocprim17ROCPRIM_400000_NS6detail17trampoline_kernelINS0_14default_configENS1_36segmented_radix_sort_config_selectorIblEEZNS1_25segmented_radix_sort_implIS3_Lb1EPKbPbPKlPlN2at6native12_GLOBAL__N_18offset_tEEE10hipError_tPvRmT1_PNSt15iterator_traitsISK_E10value_typeET2_T3_PNSL_ISQ_E10value_typeET4_jRbjT5_SW_jjP12ihipStream_tbEUlT_E_NS1_11comp_targetILNS1_3genE8ELNS1_11target_archE1030ELNS1_3gpuE2ELNS1_3repE0EEENS1_30default_config_static_selectorELNS0_4arch9wavefront6targetE0EEEvSK_
	.p2align	8
	.type	_ZN7rocprim17ROCPRIM_400000_NS6detail17trampoline_kernelINS0_14default_configENS1_36segmented_radix_sort_config_selectorIblEEZNS1_25segmented_radix_sort_implIS3_Lb1EPKbPbPKlPlN2at6native12_GLOBAL__N_18offset_tEEE10hipError_tPvRmT1_PNSt15iterator_traitsISK_E10value_typeET2_T3_PNSL_ISQ_E10value_typeET4_jRbjT5_SW_jjP12ihipStream_tbEUlT_E_NS1_11comp_targetILNS1_3genE8ELNS1_11target_archE1030ELNS1_3gpuE2ELNS1_3repE0EEENS1_30default_config_static_selectorELNS0_4arch9wavefront6targetE0EEEvSK_,@function
_ZN7rocprim17ROCPRIM_400000_NS6detail17trampoline_kernelINS0_14default_configENS1_36segmented_radix_sort_config_selectorIblEEZNS1_25segmented_radix_sort_implIS3_Lb1EPKbPbPKlPlN2at6native12_GLOBAL__N_18offset_tEEE10hipError_tPvRmT1_PNSt15iterator_traitsISK_E10value_typeET2_T3_PNSL_ISQ_E10value_typeET4_jRbjT5_SW_jjP12ihipStream_tbEUlT_E_NS1_11comp_targetILNS1_3genE8ELNS1_11target_archE1030ELNS1_3gpuE2ELNS1_3repE0EEENS1_30default_config_static_selectorELNS0_4arch9wavefront6targetE0EEEvSK_: ; @_ZN7rocprim17ROCPRIM_400000_NS6detail17trampoline_kernelINS0_14default_configENS1_36segmented_radix_sort_config_selectorIblEEZNS1_25segmented_radix_sort_implIS3_Lb1EPKbPbPKlPlN2at6native12_GLOBAL__N_18offset_tEEE10hipError_tPvRmT1_PNSt15iterator_traitsISK_E10value_typeET2_T3_PNSL_ISQ_E10value_typeET4_jRbjT5_SW_jjP12ihipStream_tbEUlT_E_NS1_11comp_targetILNS1_3genE8ELNS1_11target_archE1030ELNS1_3gpuE2ELNS1_3repE0EEENS1_30default_config_static_selectorELNS0_4arch9wavefront6targetE0EEEvSK_
; %bb.0:
	.section	.rodata,"a",@progbits
	.p2align	6, 0x0
	.amdhsa_kernel _ZN7rocprim17ROCPRIM_400000_NS6detail17trampoline_kernelINS0_14default_configENS1_36segmented_radix_sort_config_selectorIblEEZNS1_25segmented_radix_sort_implIS3_Lb1EPKbPbPKlPlN2at6native12_GLOBAL__N_18offset_tEEE10hipError_tPvRmT1_PNSt15iterator_traitsISK_E10value_typeET2_T3_PNSL_ISQ_E10value_typeET4_jRbjT5_SW_jjP12ihipStream_tbEUlT_E_NS1_11comp_targetILNS1_3genE8ELNS1_11target_archE1030ELNS1_3gpuE2ELNS1_3repE0EEENS1_30default_config_static_selectorELNS0_4arch9wavefront6targetE0EEEvSK_
		.amdhsa_group_segment_fixed_size 0
		.amdhsa_private_segment_fixed_size 0
		.amdhsa_kernarg_size 96
		.amdhsa_user_sgpr_count 15
		.amdhsa_user_sgpr_dispatch_ptr 0
		.amdhsa_user_sgpr_queue_ptr 0
		.amdhsa_user_sgpr_kernarg_segment_ptr 1
		.amdhsa_user_sgpr_dispatch_id 0
		.amdhsa_user_sgpr_private_segment_size 0
		.amdhsa_wavefront_size32 1
		.amdhsa_uses_dynamic_stack 0
		.amdhsa_enable_private_segment 0
		.amdhsa_system_sgpr_workgroup_id_x 1
		.amdhsa_system_sgpr_workgroup_id_y 0
		.amdhsa_system_sgpr_workgroup_id_z 0
		.amdhsa_system_sgpr_workgroup_info 0
		.amdhsa_system_vgpr_workitem_id 0
		.amdhsa_next_free_vgpr 1
		.amdhsa_next_free_sgpr 1
		.amdhsa_reserve_vcc 0
		.amdhsa_float_round_mode_32 0
		.amdhsa_float_round_mode_16_64 0
		.amdhsa_float_denorm_mode_32 3
		.amdhsa_float_denorm_mode_16_64 3
		.amdhsa_dx10_clamp 1
		.amdhsa_ieee_mode 1
		.amdhsa_fp16_overflow 0
		.amdhsa_workgroup_processor_mode 1
		.amdhsa_memory_ordered 1
		.amdhsa_forward_progress 0
		.amdhsa_shared_vgpr_count 0
		.amdhsa_exception_fp_ieee_invalid_op 0
		.amdhsa_exception_fp_denorm_src 0
		.amdhsa_exception_fp_ieee_div_zero 0
		.amdhsa_exception_fp_ieee_overflow 0
		.amdhsa_exception_fp_ieee_underflow 0
		.amdhsa_exception_fp_ieee_inexact 0
		.amdhsa_exception_int_div_zero 0
	.end_amdhsa_kernel
	.section	.text._ZN7rocprim17ROCPRIM_400000_NS6detail17trampoline_kernelINS0_14default_configENS1_36segmented_radix_sort_config_selectorIblEEZNS1_25segmented_radix_sort_implIS3_Lb1EPKbPbPKlPlN2at6native12_GLOBAL__N_18offset_tEEE10hipError_tPvRmT1_PNSt15iterator_traitsISK_E10value_typeET2_T3_PNSL_ISQ_E10value_typeET4_jRbjT5_SW_jjP12ihipStream_tbEUlT_E_NS1_11comp_targetILNS1_3genE8ELNS1_11target_archE1030ELNS1_3gpuE2ELNS1_3repE0EEENS1_30default_config_static_selectorELNS0_4arch9wavefront6targetE0EEEvSK_,"axG",@progbits,_ZN7rocprim17ROCPRIM_400000_NS6detail17trampoline_kernelINS0_14default_configENS1_36segmented_radix_sort_config_selectorIblEEZNS1_25segmented_radix_sort_implIS3_Lb1EPKbPbPKlPlN2at6native12_GLOBAL__N_18offset_tEEE10hipError_tPvRmT1_PNSt15iterator_traitsISK_E10value_typeET2_T3_PNSL_ISQ_E10value_typeET4_jRbjT5_SW_jjP12ihipStream_tbEUlT_E_NS1_11comp_targetILNS1_3genE8ELNS1_11target_archE1030ELNS1_3gpuE2ELNS1_3repE0EEENS1_30default_config_static_selectorELNS0_4arch9wavefront6targetE0EEEvSK_,comdat
.Lfunc_end1541:
	.size	_ZN7rocprim17ROCPRIM_400000_NS6detail17trampoline_kernelINS0_14default_configENS1_36segmented_radix_sort_config_selectorIblEEZNS1_25segmented_radix_sort_implIS3_Lb1EPKbPbPKlPlN2at6native12_GLOBAL__N_18offset_tEEE10hipError_tPvRmT1_PNSt15iterator_traitsISK_E10value_typeET2_T3_PNSL_ISQ_E10value_typeET4_jRbjT5_SW_jjP12ihipStream_tbEUlT_E_NS1_11comp_targetILNS1_3genE8ELNS1_11target_archE1030ELNS1_3gpuE2ELNS1_3repE0EEENS1_30default_config_static_selectorELNS0_4arch9wavefront6targetE0EEEvSK_, .Lfunc_end1541-_ZN7rocprim17ROCPRIM_400000_NS6detail17trampoline_kernelINS0_14default_configENS1_36segmented_radix_sort_config_selectorIblEEZNS1_25segmented_radix_sort_implIS3_Lb1EPKbPbPKlPlN2at6native12_GLOBAL__N_18offset_tEEE10hipError_tPvRmT1_PNSt15iterator_traitsISK_E10value_typeET2_T3_PNSL_ISQ_E10value_typeET4_jRbjT5_SW_jjP12ihipStream_tbEUlT_E_NS1_11comp_targetILNS1_3genE8ELNS1_11target_archE1030ELNS1_3gpuE2ELNS1_3repE0EEENS1_30default_config_static_selectorELNS0_4arch9wavefront6targetE0EEEvSK_
                                        ; -- End function
	.section	.AMDGPU.csdata,"",@progbits
; Kernel info:
; codeLenInByte = 0
; NumSgprs: 0
; NumVgprs: 0
; ScratchSize: 0
; MemoryBound: 0
; FloatMode: 240
; IeeeMode: 1
; LDSByteSize: 0 bytes/workgroup (compile time only)
; SGPRBlocks: 0
; VGPRBlocks: 0
; NumSGPRsForWavesPerEU: 1
; NumVGPRsForWavesPerEU: 1
; Occupancy: 16
; WaveLimiterHint : 0
; COMPUTE_PGM_RSRC2:SCRATCH_EN: 0
; COMPUTE_PGM_RSRC2:USER_SGPR: 15
; COMPUTE_PGM_RSRC2:TRAP_HANDLER: 0
; COMPUTE_PGM_RSRC2:TGID_X_EN: 1
; COMPUTE_PGM_RSRC2:TGID_Y_EN: 0
; COMPUTE_PGM_RSRC2:TGID_Z_EN: 0
; COMPUTE_PGM_RSRC2:TIDIG_COMP_CNT: 0
	.section	.text._ZN7rocprim17ROCPRIM_400000_NS6detail17trampoline_kernelINS0_14default_configENS1_36segmented_radix_sort_config_selectorIblEEZNS1_25segmented_radix_sort_implIS3_Lb1EPKbPbPKlPlN2at6native12_GLOBAL__N_18offset_tEEE10hipError_tPvRmT1_PNSt15iterator_traitsISK_E10value_typeET2_T3_PNSL_ISQ_E10value_typeET4_jRbjT5_SW_jjP12ihipStream_tbEUlT_E0_NS1_11comp_targetILNS1_3genE0ELNS1_11target_archE4294967295ELNS1_3gpuE0ELNS1_3repE0EEENS1_60segmented_radix_sort_warp_sort_medium_config_static_selectorELNS0_4arch9wavefront6targetE0EEEvSK_,"axG",@progbits,_ZN7rocprim17ROCPRIM_400000_NS6detail17trampoline_kernelINS0_14default_configENS1_36segmented_radix_sort_config_selectorIblEEZNS1_25segmented_radix_sort_implIS3_Lb1EPKbPbPKlPlN2at6native12_GLOBAL__N_18offset_tEEE10hipError_tPvRmT1_PNSt15iterator_traitsISK_E10value_typeET2_T3_PNSL_ISQ_E10value_typeET4_jRbjT5_SW_jjP12ihipStream_tbEUlT_E0_NS1_11comp_targetILNS1_3genE0ELNS1_11target_archE4294967295ELNS1_3gpuE0ELNS1_3repE0EEENS1_60segmented_radix_sort_warp_sort_medium_config_static_selectorELNS0_4arch9wavefront6targetE0EEEvSK_,comdat
	.globl	_ZN7rocprim17ROCPRIM_400000_NS6detail17trampoline_kernelINS0_14default_configENS1_36segmented_radix_sort_config_selectorIblEEZNS1_25segmented_radix_sort_implIS3_Lb1EPKbPbPKlPlN2at6native12_GLOBAL__N_18offset_tEEE10hipError_tPvRmT1_PNSt15iterator_traitsISK_E10value_typeET2_T3_PNSL_ISQ_E10value_typeET4_jRbjT5_SW_jjP12ihipStream_tbEUlT_E0_NS1_11comp_targetILNS1_3genE0ELNS1_11target_archE4294967295ELNS1_3gpuE0ELNS1_3repE0EEENS1_60segmented_radix_sort_warp_sort_medium_config_static_selectorELNS0_4arch9wavefront6targetE0EEEvSK_ ; -- Begin function _ZN7rocprim17ROCPRIM_400000_NS6detail17trampoline_kernelINS0_14default_configENS1_36segmented_radix_sort_config_selectorIblEEZNS1_25segmented_radix_sort_implIS3_Lb1EPKbPbPKlPlN2at6native12_GLOBAL__N_18offset_tEEE10hipError_tPvRmT1_PNSt15iterator_traitsISK_E10value_typeET2_T3_PNSL_ISQ_E10value_typeET4_jRbjT5_SW_jjP12ihipStream_tbEUlT_E0_NS1_11comp_targetILNS1_3genE0ELNS1_11target_archE4294967295ELNS1_3gpuE0ELNS1_3repE0EEENS1_60segmented_radix_sort_warp_sort_medium_config_static_selectorELNS0_4arch9wavefront6targetE0EEEvSK_
	.p2align	8
	.type	_ZN7rocprim17ROCPRIM_400000_NS6detail17trampoline_kernelINS0_14default_configENS1_36segmented_radix_sort_config_selectorIblEEZNS1_25segmented_radix_sort_implIS3_Lb1EPKbPbPKlPlN2at6native12_GLOBAL__N_18offset_tEEE10hipError_tPvRmT1_PNSt15iterator_traitsISK_E10value_typeET2_T3_PNSL_ISQ_E10value_typeET4_jRbjT5_SW_jjP12ihipStream_tbEUlT_E0_NS1_11comp_targetILNS1_3genE0ELNS1_11target_archE4294967295ELNS1_3gpuE0ELNS1_3repE0EEENS1_60segmented_radix_sort_warp_sort_medium_config_static_selectorELNS0_4arch9wavefront6targetE0EEEvSK_,@function
_ZN7rocprim17ROCPRIM_400000_NS6detail17trampoline_kernelINS0_14default_configENS1_36segmented_radix_sort_config_selectorIblEEZNS1_25segmented_radix_sort_implIS3_Lb1EPKbPbPKlPlN2at6native12_GLOBAL__N_18offset_tEEE10hipError_tPvRmT1_PNSt15iterator_traitsISK_E10value_typeET2_T3_PNSL_ISQ_E10value_typeET4_jRbjT5_SW_jjP12ihipStream_tbEUlT_E0_NS1_11comp_targetILNS1_3genE0ELNS1_11target_archE4294967295ELNS1_3gpuE0ELNS1_3repE0EEENS1_60segmented_radix_sort_warp_sort_medium_config_static_selectorELNS0_4arch9wavefront6targetE0EEEvSK_: ; @_ZN7rocprim17ROCPRIM_400000_NS6detail17trampoline_kernelINS0_14default_configENS1_36segmented_radix_sort_config_selectorIblEEZNS1_25segmented_radix_sort_implIS3_Lb1EPKbPbPKlPlN2at6native12_GLOBAL__N_18offset_tEEE10hipError_tPvRmT1_PNSt15iterator_traitsISK_E10value_typeET2_T3_PNSL_ISQ_E10value_typeET4_jRbjT5_SW_jjP12ihipStream_tbEUlT_E0_NS1_11comp_targetILNS1_3genE0ELNS1_11target_archE4294967295ELNS1_3gpuE0ELNS1_3repE0EEENS1_60segmented_radix_sort_warp_sort_medium_config_static_selectorELNS0_4arch9wavefront6targetE0EEEvSK_
; %bb.0:
	.section	.rodata,"a",@progbits
	.p2align	6, 0x0
	.amdhsa_kernel _ZN7rocprim17ROCPRIM_400000_NS6detail17trampoline_kernelINS0_14default_configENS1_36segmented_radix_sort_config_selectorIblEEZNS1_25segmented_radix_sort_implIS3_Lb1EPKbPbPKlPlN2at6native12_GLOBAL__N_18offset_tEEE10hipError_tPvRmT1_PNSt15iterator_traitsISK_E10value_typeET2_T3_PNSL_ISQ_E10value_typeET4_jRbjT5_SW_jjP12ihipStream_tbEUlT_E0_NS1_11comp_targetILNS1_3genE0ELNS1_11target_archE4294967295ELNS1_3gpuE0ELNS1_3repE0EEENS1_60segmented_radix_sort_warp_sort_medium_config_static_selectorELNS0_4arch9wavefront6targetE0EEEvSK_
		.amdhsa_group_segment_fixed_size 0
		.amdhsa_private_segment_fixed_size 0
		.amdhsa_kernarg_size 88
		.amdhsa_user_sgpr_count 15
		.amdhsa_user_sgpr_dispatch_ptr 0
		.amdhsa_user_sgpr_queue_ptr 0
		.amdhsa_user_sgpr_kernarg_segment_ptr 1
		.amdhsa_user_sgpr_dispatch_id 0
		.amdhsa_user_sgpr_private_segment_size 0
		.amdhsa_wavefront_size32 1
		.amdhsa_uses_dynamic_stack 0
		.amdhsa_enable_private_segment 0
		.amdhsa_system_sgpr_workgroup_id_x 1
		.amdhsa_system_sgpr_workgroup_id_y 0
		.amdhsa_system_sgpr_workgroup_id_z 0
		.amdhsa_system_sgpr_workgroup_info 0
		.amdhsa_system_vgpr_workitem_id 0
		.amdhsa_next_free_vgpr 1
		.amdhsa_next_free_sgpr 1
		.amdhsa_reserve_vcc 0
		.amdhsa_float_round_mode_32 0
		.amdhsa_float_round_mode_16_64 0
		.amdhsa_float_denorm_mode_32 3
		.amdhsa_float_denorm_mode_16_64 3
		.amdhsa_dx10_clamp 1
		.amdhsa_ieee_mode 1
		.amdhsa_fp16_overflow 0
		.amdhsa_workgroup_processor_mode 1
		.amdhsa_memory_ordered 1
		.amdhsa_forward_progress 0
		.amdhsa_shared_vgpr_count 0
		.amdhsa_exception_fp_ieee_invalid_op 0
		.amdhsa_exception_fp_denorm_src 0
		.amdhsa_exception_fp_ieee_div_zero 0
		.amdhsa_exception_fp_ieee_overflow 0
		.amdhsa_exception_fp_ieee_underflow 0
		.amdhsa_exception_fp_ieee_inexact 0
		.amdhsa_exception_int_div_zero 0
	.end_amdhsa_kernel
	.section	.text._ZN7rocprim17ROCPRIM_400000_NS6detail17trampoline_kernelINS0_14default_configENS1_36segmented_radix_sort_config_selectorIblEEZNS1_25segmented_radix_sort_implIS3_Lb1EPKbPbPKlPlN2at6native12_GLOBAL__N_18offset_tEEE10hipError_tPvRmT1_PNSt15iterator_traitsISK_E10value_typeET2_T3_PNSL_ISQ_E10value_typeET4_jRbjT5_SW_jjP12ihipStream_tbEUlT_E0_NS1_11comp_targetILNS1_3genE0ELNS1_11target_archE4294967295ELNS1_3gpuE0ELNS1_3repE0EEENS1_60segmented_radix_sort_warp_sort_medium_config_static_selectorELNS0_4arch9wavefront6targetE0EEEvSK_,"axG",@progbits,_ZN7rocprim17ROCPRIM_400000_NS6detail17trampoline_kernelINS0_14default_configENS1_36segmented_radix_sort_config_selectorIblEEZNS1_25segmented_radix_sort_implIS3_Lb1EPKbPbPKlPlN2at6native12_GLOBAL__N_18offset_tEEE10hipError_tPvRmT1_PNSt15iterator_traitsISK_E10value_typeET2_T3_PNSL_ISQ_E10value_typeET4_jRbjT5_SW_jjP12ihipStream_tbEUlT_E0_NS1_11comp_targetILNS1_3genE0ELNS1_11target_archE4294967295ELNS1_3gpuE0ELNS1_3repE0EEENS1_60segmented_radix_sort_warp_sort_medium_config_static_selectorELNS0_4arch9wavefront6targetE0EEEvSK_,comdat
.Lfunc_end1542:
	.size	_ZN7rocprim17ROCPRIM_400000_NS6detail17trampoline_kernelINS0_14default_configENS1_36segmented_radix_sort_config_selectorIblEEZNS1_25segmented_radix_sort_implIS3_Lb1EPKbPbPKlPlN2at6native12_GLOBAL__N_18offset_tEEE10hipError_tPvRmT1_PNSt15iterator_traitsISK_E10value_typeET2_T3_PNSL_ISQ_E10value_typeET4_jRbjT5_SW_jjP12ihipStream_tbEUlT_E0_NS1_11comp_targetILNS1_3genE0ELNS1_11target_archE4294967295ELNS1_3gpuE0ELNS1_3repE0EEENS1_60segmented_radix_sort_warp_sort_medium_config_static_selectorELNS0_4arch9wavefront6targetE0EEEvSK_, .Lfunc_end1542-_ZN7rocprim17ROCPRIM_400000_NS6detail17trampoline_kernelINS0_14default_configENS1_36segmented_radix_sort_config_selectorIblEEZNS1_25segmented_radix_sort_implIS3_Lb1EPKbPbPKlPlN2at6native12_GLOBAL__N_18offset_tEEE10hipError_tPvRmT1_PNSt15iterator_traitsISK_E10value_typeET2_T3_PNSL_ISQ_E10value_typeET4_jRbjT5_SW_jjP12ihipStream_tbEUlT_E0_NS1_11comp_targetILNS1_3genE0ELNS1_11target_archE4294967295ELNS1_3gpuE0ELNS1_3repE0EEENS1_60segmented_radix_sort_warp_sort_medium_config_static_selectorELNS0_4arch9wavefront6targetE0EEEvSK_
                                        ; -- End function
	.section	.AMDGPU.csdata,"",@progbits
; Kernel info:
; codeLenInByte = 0
; NumSgprs: 0
; NumVgprs: 0
; ScratchSize: 0
; MemoryBound: 0
; FloatMode: 240
; IeeeMode: 1
; LDSByteSize: 0 bytes/workgroup (compile time only)
; SGPRBlocks: 0
; VGPRBlocks: 0
; NumSGPRsForWavesPerEU: 1
; NumVGPRsForWavesPerEU: 1
; Occupancy: 16
; WaveLimiterHint : 0
; COMPUTE_PGM_RSRC2:SCRATCH_EN: 0
; COMPUTE_PGM_RSRC2:USER_SGPR: 15
; COMPUTE_PGM_RSRC2:TRAP_HANDLER: 0
; COMPUTE_PGM_RSRC2:TGID_X_EN: 1
; COMPUTE_PGM_RSRC2:TGID_Y_EN: 0
; COMPUTE_PGM_RSRC2:TGID_Z_EN: 0
; COMPUTE_PGM_RSRC2:TIDIG_COMP_CNT: 0
	.section	.text._ZN7rocprim17ROCPRIM_400000_NS6detail17trampoline_kernelINS0_14default_configENS1_36segmented_radix_sort_config_selectorIblEEZNS1_25segmented_radix_sort_implIS3_Lb1EPKbPbPKlPlN2at6native12_GLOBAL__N_18offset_tEEE10hipError_tPvRmT1_PNSt15iterator_traitsISK_E10value_typeET2_T3_PNSL_ISQ_E10value_typeET4_jRbjT5_SW_jjP12ihipStream_tbEUlT_E0_NS1_11comp_targetILNS1_3genE5ELNS1_11target_archE942ELNS1_3gpuE9ELNS1_3repE0EEENS1_60segmented_radix_sort_warp_sort_medium_config_static_selectorELNS0_4arch9wavefront6targetE0EEEvSK_,"axG",@progbits,_ZN7rocprim17ROCPRIM_400000_NS6detail17trampoline_kernelINS0_14default_configENS1_36segmented_radix_sort_config_selectorIblEEZNS1_25segmented_radix_sort_implIS3_Lb1EPKbPbPKlPlN2at6native12_GLOBAL__N_18offset_tEEE10hipError_tPvRmT1_PNSt15iterator_traitsISK_E10value_typeET2_T3_PNSL_ISQ_E10value_typeET4_jRbjT5_SW_jjP12ihipStream_tbEUlT_E0_NS1_11comp_targetILNS1_3genE5ELNS1_11target_archE942ELNS1_3gpuE9ELNS1_3repE0EEENS1_60segmented_radix_sort_warp_sort_medium_config_static_selectorELNS0_4arch9wavefront6targetE0EEEvSK_,comdat
	.globl	_ZN7rocprim17ROCPRIM_400000_NS6detail17trampoline_kernelINS0_14default_configENS1_36segmented_radix_sort_config_selectorIblEEZNS1_25segmented_radix_sort_implIS3_Lb1EPKbPbPKlPlN2at6native12_GLOBAL__N_18offset_tEEE10hipError_tPvRmT1_PNSt15iterator_traitsISK_E10value_typeET2_T3_PNSL_ISQ_E10value_typeET4_jRbjT5_SW_jjP12ihipStream_tbEUlT_E0_NS1_11comp_targetILNS1_3genE5ELNS1_11target_archE942ELNS1_3gpuE9ELNS1_3repE0EEENS1_60segmented_radix_sort_warp_sort_medium_config_static_selectorELNS0_4arch9wavefront6targetE0EEEvSK_ ; -- Begin function _ZN7rocprim17ROCPRIM_400000_NS6detail17trampoline_kernelINS0_14default_configENS1_36segmented_radix_sort_config_selectorIblEEZNS1_25segmented_radix_sort_implIS3_Lb1EPKbPbPKlPlN2at6native12_GLOBAL__N_18offset_tEEE10hipError_tPvRmT1_PNSt15iterator_traitsISK_E10value_typeET2_T3_PNSL_ISQ_E10value_typeET4_jRbjT5_SW_jjP12ihipStream_tbEUlT_E0_NS1_11comp_targetILNS1_3genE5ELNS1_11target_archE942ELNS1_3gpuE9ELNS1_3repE0EEENS1_60segmented_radix_sort_warp_sort_medium_config_static_selectorELNS0_4arch9wavefront6targetE0EEEvSK_
	.p2align	8
	.type	_ZN7rocprim17ROCPRIM_400000_NS6detail17trampoline_kernelINS0_14default_configENS1_36segmented_radix_sort_config_selectorIblEEZNS1_25segmented_radix_sort_implIS3_Lb1EPKbPbPKlPlN2at6native12_GLOBAL__N_18offset_tEEE10hipError_tPvRmT1_PNSt15iterator_traitsISK_E10value_typeET2_T3_PNSL_ISQ_E10value_typeET4_jRbjT5_SW_jjP12ihipStream_tbEUlT_E0_NS1_11comp_targetILNS1_3genE5ELNS1_11target_archE942ELNS1_3gpuE9ELNS1_3repE0EEENS1_60segmented_radix_sort_warp_sort_medium_config_static_selectorELNS0_4arch9wavefront6targetE0EEEvSK_,@function
_ZN7rocprim17ROCPRIM_400000_NS6detail17trampoline_kernelINS0_14default_configENS1_36segmented_radix_sort_config_selectorIblEEZNS1_25segmented_radix_sort_implIS3_Lb1EPKbPbPKlPlN2at6native12_GLOBAL__N_18offset_tEEE10hipError_tPvRmT1_PNSt15iterator_traitsISK_E10value_typeET2_T3_PNSL_ISQ_E10value_typeET4_jRbjT5_SW_jjP12ihipStream_tbEUlT_E0_NS1_11comp_targetILNS1_3genE5ELNS1_11target_archE942ELNS1_3gpuE9ELNS1_3repE0EEENS1_60segmented_radix_sort_warp_sort_medium_config_static_selectorELNS0_4arch9wavefront6targetE0EEEvSK_: ; @_ZN7rocprim17ROCPRIM_400000_NS6detail17trampoline_kernelINS0_14default_configENS1_36segmented_radix_sort_config_selectorIblEEZNS1_25segmented_radix_sort_implIS3_Lb1EPKbPbPKlPlN2at6native12_GLOBAL__N_18offset_tEEE10hipError_tPvRmT1_PNSt15iterator_traitsISK_E10value_typeET2_T3_PNSL_ISQ_E10value_typeET4_jRbjT5_SW_jjP12ihipStream_tbEUlT_E0_NS1_11comp_targetILNS1_3genE5ELNS1_11target_archE942ELNS1_3gpuE9ELNS1_3repE0EEENS1_60segmented_radix_sort_warp_sort_medium_config_static_selectorELNS0_4arch9wavefront6targetE0EEEvSK_
; %bb.0:
	.section	.rodata,"a",@progbits
	.p2align	6, 0x0
	.amdhsa_kernel _ZN7rocprim17ROCPRIM_400000_NS6detail17trampoline_kernelINS0_14default_configENS1_36segmented_radix_sort_config_selectorIblEEZNS1_25segmented_radix_sort_implIS3_Lb1EPKbPbPKlPlN2at6native12_GLOBAL__N_18offset_tEEE10hipError_tPvRmT1_PNSt15iterator_traitsISK_E10value_typeET2_T3_PNSL_ISQ_E10value_typeET4_jRbjT5_SW_jjP12ihipStream_tbEUlT_E0_NS1_11comp_targetILNS1_3genE5ELNS1_11target_archE942ELNS1_3gpuE9ELNS1_3repE0EEENS1_60segmented_radix_sort_warp_sort_medium_config_static_selectorELNS0_4arch9wavefront6targetE0EEEvSK_
		.amdhsa_group_segment_fixed_size 0
		.amdhsa_private_segment_fixed_size 0
		.amdhsa_kernarg_size 88
		.amdhsa_user_sgpr_count 15
		.amdhsa_user_sgpr_dispatch_ptr 0
		.amdhsa_user_sgpr_queue_ptr 0
		.amdhsa_user_sgpr_kernarg_segment_ptr 1
		.amdhsa_user_sgpr_dispatch_id 0
		.amdhsa_user_sgpr_private_segment_size 0
		.amdhsa_wavefront_size32 1
		.amdhsa_uses_dynamic_stack 0
		.amdhsa_enable_private_segment 0
		.amdhsa_system_sgpr_workgroup_id_x 1
		.amdhsa_system_sgpr_workgroup_id_y 0
		.amdhsa_system_sgpr_workgroup_id_z 0
		.amdhsa_system_sgpr_workgroup_info 0
		.amdhsa_system_vgpr_workitem_id 0
		.amdhsa_next_free_vgpr 1
		.amdhsa_next_free_sgpr 1
		.amdhsa_reserve_vcc 0
		.amdhsa_float_round_mode_32 0
		.amdhsa_float_round_mode_16_64 0
		.amdhsa_float_denorm_mode_32 3
		.amdhsa_float_denorm_mode_16_64 3
		.amdhsa_dx10_clamp 1
		.amdhsa_ieee_mode 1
		.amdhsa_fp16_overflow 0
		.amdhsa_workgroup_processor_mode 1
		.amdhsa_memory_ordered 1
		.amdhsa_forward_progress 0
		.amdhsa_shared_vgpr_count 0
		.amdhsa_exception_fp_ieee_invalid_op 0
		.amdhsa_exception_fp_denorm_src 0
		.amdhsa_exception_fp_ieee_div_zero 0
		.amdhsa_exception_fp_ieee_overflow 0
		.amdhsa_exception_fp_ieee_underflow 0
		.amdhsa_exception_fp_ieee_inexact 0
		.amdhsa_exception_int_div_zero 0
	.end_amdhsa_kernel
	.section	.text._ZN7rocprim17ROCPRIM_400000_NS6detail17trampoline_kernelINS0_14default_configENS1_36segmented_radix_sort_config_selectorIblEEZNS1_25segmented_radix_sort_implIS3_Lb1EPKbPbPKlPlN2at6native12_GLOBAL__N_18offset_tEEE10hipError_tPvRmT1_PNSt15iterator_traitsISK_E10value_typeET2_T3_PNSL_ISQ_E10value_typeET4_jRbjT5_SW_jjP12ihipStream_tbEUlT_E0_NS1_11comp_targetILNS1_3genE5ELNS1_11target_archE942ELNS1_3gpuE9ELNS1_3repE0EEENS1_60segmented_radix_sort_warp_sort_medium_config_static_selectorELNS0_4arch9wavefront6targetE0EEEvSK_,"axG",@progbits,_ZN7rocprim17ROCPRIM_400000_NS6detail17trampoline_kernelINS0_14default_configENS1_36segmented_radix_sort_config_selectorIblEEZNS1_25segmented_radix_sort_implIS3_Lb1EPKbPbPKlPlN2at6native12_GLOBAL__N_18offset_tEEE10hipError_tPvRmT1_PNSt15iterator_traitsISK_E10value_typeET2_T3_PNSL_ISQ_E10value_typeET4_jRbjT5_SW_jjP12ihipStream_tbEUlT_E0_NS1_11comp_targetILNS1_3genE5ELNS1_11target_archE942ELNS1_3gpuE9ELNS1_3repE0EEENS1_60segmented_radix_sort_warp_sort_medium_config_static_selectorELNS0_4arch9wavefront6targetE0EEEvSK_,comdat
.Lfunc_end1543:
	.size	_ZN7rocprim17ROCPRIM_400000_NS6detail17trampoline_kernelINS0_14default_configENS1_36segmented_radix_sort_config_selectorIblEEZNS1_25segmented_radix_sort_implIS3_Lb1EPKbPbPKlPlN2at6native12_GLOBAL__N_18offset_tEEE10hipError_tPvRmT1_PNSt15iterator_traitsISK_E10value_typeET2_T3_PNSL_ISQ_E10value_typeET4_jRbjT5_SW_jjP12ihipStream_tbEUlT_E0_NS1_11comp_targetILNS1_3genE5ELNS1_11target_archE942ELNS1_3gpuE9ELNS1_3repE0EEENS1_60segmented_radix_sort_warp_sort_medium_config_static_selectorELNS0_4arch9wavefront6targetE0EEEvSK_, .Lfunc_end1543-_ZN7rocprim17ROCPRIM_400000_NS6detail17trampoline_kernelINS0_14default_configENS1_36segmented_radix_sort_config_selectorIblEEZNS1_25segmented_radix_sort_implIS3_Lb1EPKbPbPKlPlN2at6native12_GLOBAL__N_18offset_tEEE10hipError_tPvRmT1_PNSt15iterator_traitsISK_E10value_typeET2_T3_PNSL_ISQ_E10value_typeET4_jRbjT5_SW_jjP12ihipStream_tbEUlT_E0_NS1_11comp_targetILNS1_3genE5ELNS1_11target_archE942ELNS1_3gpuE9ELNS1_3repE0EEENS1_60segmented_radix_sort_warp_sort_medium_config_static_selectorELNS0_4arch9wavefront6targetE0EEEvSK_
                                        ; -- End function
	.section	.AMDGPU.csdata,"",@progbits
; Kernel info:
; codeLenInByte = 0
; NumSgprs: 0
; NumVgprs: 0
; ScratchSize: 0
; MemoryBound: 0
; FloatMode: 240
; IeeeMode: 1
; LDSByteSize: 0 bytes/workgroup (compile time only)
; SGPRBlocks: 0
; VGPRBlocks: 0
; NumSGPRsForWavesPerEU: 1
; NumVGPRsForWavesPerEU: 1
; Occupancy: 16
; WaveLimiterHint : 0
; COMPUTE_PGM_RSRC2:SCRATCH_EN: 0
; COMPUTE_PGM_RSRC2:USER_SGPR: 15
; COMPUTE_PGM_RSRC2:TRAP_HANDLER: 0
; COMPUTE_PGM_RSRC2:TGID_X_EN: 1
; COMPUTE_PGM_RSRC2:TGID_Y_EN: 0
; COMPUTE_PGM_RSRC2:TGID_Z_EN: 0
; COMPUTE_PGM_RSRC2:TIDIG_COMP_CNT: 0
	.section	.text._ZN7rocprim17ROCPRIM_400000_NS6detail17trampoline_kernelINS0_14default_configENS1_36segmented_radix_sort_config_selectorIblEEZNS1_25segmented_radix_sort_implIS3_Lb1EPKbPbPKlPlN2at6native12_GLOBAL__N_18offset_tEEE10hipError_tPvRmT1_PNSt15iterator_traitsISK_E10value_typeET2_T3_PNSL_ISQ_E10value_typeET4_jRbjT5_SW_jjP12ihipStream_tbEUlT_E0_NS1_11comp_targetILNS1_3genE4ELNS1_11target_archE910ELNS1_3gpuE8ELNS1_3repE0EEENS1_60segmented_radix_sort_warp_sort_medium_config_static_selectorELNS0_4arch9wavefront6targetE0EEEvSK_,"axG",@progbits,_ZN7rocprim17ROCPRIM_400000_NS6detail17trampoline_kernelINS0_14default_configENS1_36segmented_radix_sort_config_selectorIblEEZNS1_25segmented_radix_sort_implIS3_Lb1EPKbPbPKlPlN2at6native12_GLOBAL__N_18offset_tEEE10hipError_tPvRmT1_PNSt15iterator_traitsISK_E10value_typeET2_T3_PNSL_ISQ_E10value_typeET4_jRbjT5_SW_jjP12ihipStream_tbEUlT_E0_NS1_11comp_targetILNS1_3genE4ELNS1_11target_archE910ELNS1_3gpuE8ELNS1_3repE0EEENS1_60segmented_radix_sort_warp_sort_medium_config_static_selectorELNS0_4arch9wavefront6targetE0EEEvSK_,comdat
	.globl	_ZN7rocprim17ROCPRIM_400000_NS6detail17trampoline_kernelINS0_14default_configENS1_36segmented_radix_sort_config_selectorIblEEZNS1_25segmented_radix_sort_implIS3_Lb1EPKbPbPKlPlN2at6native12_GLOBAL__N_18offset_tEEE10hipError_tPvRmT1_PNSt15iterator_traitsISK_E10value_typeET2_T3_PNSL_ISQ_E10value_typeET4_jRbjT5_SW_jjP12ihipStream_tbEUlT_E0_NS1_11comp_targetILNS1_3genE4ELNS1_11target_archE910ELNS1_3gpuE8ELNS1_3repE0EEENS1_60segmented_radix_sort_warp_sort_medium_config_static_selectorELNS0_4arch9wavefront6targetE0EEEvSK_ ; -- Begin function _ZN7rocprim17ROCPRIM_400000_NS6detail17trampoline_kernelINS0_14default_configENS1_36segmented_radix_sort_config_selectorIblEEZNS1_25segmented_radix_sort_implIS3_Lb1EPKbPbPKlPlN2at6native12_GLOBAL__N_18offset_tEEE10hipError_tPvRmT1_PNSt15iterator_traitsISK_E10value_typeET2_T3_PNSL_ISQ_E10value_typeET4_jRbjT5_SW_jjP12ihipStream_tbEUlT_E0_NS1_11comp_targetILNS1_3genE4ELNS1_11target_archE910ELNS1_3gpuE8ELNS1_3repE0EEENS1_60segmented_radix_sort_warp_sort_medium_config_static_selectorELNS0_4arch9wavefront6targetE0EEEvSK_
	.p2align	8
	.type	_ZN7rocprim17ROCPRIM_400000_NS6detail17trampoline_kernelINS0_14default_configENS1_36segmented_radix_sort_config_selectorIblEEZNS1_25segmented_radix_sort_implIS3_Lb1EPKbPbPKlPlN2at6native12_GLOBAL__N_18offset_tEEE10hipError_tPvRmT1_PNSt15iterator_traitsISK_E10value_typeET2_T3_PNSL_ISQ_E10value_typeET4_jRbjT5_SW_jjP12ihipStream_tbEUlT_E0_NS1_11comp_targetILNS1_3genE4ELNS1_11target_archE910ELNS1_3gpuE8ELNS1_3repE0EEENS1_60segmented_radix_sort_warp_sort_medium_config_static_selectorELNS0_4arch9wavefront6targetE0EEEvSK_,@function
_ZN7rocprim17ROCPRIM_400000_NS6detail17trampoline_kernelINS0_14default_configENS1_36segmented_radix_sort_config_selectorIblEEZNS1_25segmented_radix_sort_implIS3_Lb1EPKbPbPKlPlN2at6native12_GLOBAL__N_18offset_tEEE10hipError_tPvRmT1_PNSt15iterator_traitsISK_E10value_typeET2_T3_PNSL_ISQ_E10value_typeET4_jRbjT5_SW_jjP12ihipStream_tbEUlT_E0_NS1_11comp_targetILNS1_3genE4ELNS1_11target_archE910ELNS1_3gpuE8ELNS1_3repE0EEENS1_60segmented_radix_sort_warp_sort_medium_config_static_selectorELNS0_4arch9wavefront6targetE0EEEvSK_: ; @_ZN7rocprim17ROCPRIM_400000_NS6detail17trampoline_kernelINS0_14default_configENS1_36segmented_radix_sort_config_selectorIblEEZNS1_25segmented_radix_sort_implIS3_Lb1EPKbPbPKlPlN2at6native12_GLOBAL__N_18offset_tEEE10hipError_tPvRmT1_PNSt15iterator_traitsISK_E10value_typeET2_T3_PNSL_ISQ_E10value_typeET4_jRbjT5_SW_jjP12ihipStream_tbEUlT_E0_NS1_11comp_targetILNS1_3genE4ELNS1_11target_archE910ELNS1_3gpuE8ELNS1_3repE0EEENS1_60segmented_radix_sort_warp_sort_medium_config_static_selectorELNS0_4arch9wavefront6targetE0EEEvSK_
; %bb.0:
	.section	.rodata,"a",@progbits
	.p2align	6, 0x0
	.amdhsa_kernel _ZN7rocprim17ROCPRIM_400000_NS6detail17trampoline_kernelINS0_14default_configENS1_36segmented_radix_sort_config_selectorIblEEZNS1_25segmented_radix_sort_implIS3_Lb1EPKbPbPKlPlN2at6native12_GLOBAL__N_18offset_tEEE10hipError_tPvRmT1_PNSt15iterator_traitsISK_E10value_typeET2_T3_PNSL_ISQ_E10value_typeET4_jRbjT5_SW_jjP12ihipStream_tbEUlT_E0_NS1_11comp_targetILNS1_3genE4ELNS1_11target_archE910ELNS1_3gpuE8ELNS1_3repE0EEENS1_60segmented_radix_sort_warp_sort_medium_config_static_selectorELNS0_4arch9wavefront6targetE0EEEvSK_
		.amdhsa_group_segment_fixed_size 0
		.amdhsa_private_segment_fixed_size 0
		.amdhsa_kernarg_size 88
		.amdhsa_user_sgpr_count 15
		.amdhsa_user_sgpr_dispatch_ptr 0
		.amdhsa_user_sgpr_queue_ptr 0
		.amdhsa_user_sgpr_kernarg_segment_ptr 1
		.amdhsa_user_sgpr_dispatch_id 0
		.amdhsa_user_sgpr_private_segment_size 0
		.amdhsa_wavefront_size32 1
		.amdhsa_uses_dynamic_stack 0
		.amdhsa_enable_private_segment 0
		.amdhsa_system_sgpr_workgroup_id_x 1
		.amdhsa_system_sgpr_workgroup_id_y 0
		.amdhsa_system_sgpr_workgroup_id_z 0
		.amdhsa_system_sgpr_workgroup_info 0
		.amdhsa_system_vgpr_workitem_id 0
		.amdhsa_next_free_vgpr 1
		.amdhsa_next_free_sgpr 1
		.amdhsa_reserve_vcc 0
		.amdhsa_float_round_mode_32 0
		.amdhsa_float_round_mode_16_64 0
		.amdhsa_float_denorm_mode_32 3
		.amdhsa_float_denorm_mode_16_64 3
		.amdhsa_dx10_clamp 1
		.amdhsa_ieee_mode 1
		.amdhsa_fp16_overflow 0
		.amdhsa_workgroup_processor_mode 1
		.amdhsa_memory_ordered 1
		.amdhsa_forward_progress 0
		.amdhsa_shared_vgpr_count 0
		.amdhsa_exception_fp_ieee_invalid_op 0
		.amdhsa_exception_fp_denorm_src 0
		.amdhsa_exception_fp_ieee_div_zero 0
		.amdhsa_exception_fp_ieee_overflow 0
		.amdhsa_exception_fp_ieee_underflow 0
		.amdhsa_exception_fp_ieee_inexact 0
		.amdhsa_exception_int_div_zero 0
	.end_amdhsa_kernel
	.section	.text._ZN7rocprim17ROCPRIM_400000_NS6detail17trampoline_kernelINS0_14default_configENS1_36segmented_radix_sort_config_selectorIblEEZNS1_25segmented_radix_sort_implIS3_Lb1EPKbPbPKlPlN2at6native12_GLOBAL__N_18offset_tEEE10hipError_tPvRmT1_PNSt15iterator_traitsISK_E10value_typeET2_T3_PNSL_ISQ_E10value_typeET4_jRbjT5_SW_jjP12ihipStream_tbEUlT_E0_NS1_11comp_targetILNS1_3genE4ELNS1_11target_archE910ELNS1_3gpuE8ELNS1_3repE0EEENS1_60segmented_radix_sort_warp_sort_medium_config_static_selectorELNS0_4arch9wavefront6targetE0EEEvSK_,"axG",@progbits,_ZN7rocprim17ROCPRIM_400000_NS6detail17trampoline_kernelINS0_14default_configENS1_36segmented_radix_sort_config_selectorIblEEZNS1_25segmented_radix_sort_implIS3_Lb1EPKbPbPKlPlN2at6native12_GLOBAL__N_18offset_tEEE10hipError_tPvRmT1_PNSt15iterator_traitsISK_E10value_typeET2_T3_PNSL_ISQ_E10value_typeET4_jRbjT5_SW_jjP12ihipStream_tbEUlT_E0_NS1_11comp_targetILNS1_3genE4ELNS1_11target_archE910ELNS1_3gpuE8ELNS1_3repE0EEENS1_60segmented_radix_sort_warp_sort_medium_config_static_selectorELNS0_4arch9wavefront6targetE0EEEvSK_,comdat
.Lfunc_end1544:
	.size	_ZN7rocprim17ROCPRIM_400000_NS6detail17trampoline_kernelINS0_14default_configENS1_36segmented_radix_sort_config_selectorIblEEZNS1_25segmented_radix_sort_implIS3_Lb1EPKbPbPKlPlN2at6native12_GLOBAL__N_18offset_tEEE10hipError_tPvRmT1_PNSt15iterator_traitsISK_E10value_typeET2_T3_PNSL_ISQ_E10value_typeET4_jRbjT5_SW_jjP12ihipStream_tbEUlT_E0_NS1_11comp_targetILNS1_3genE4ELNS1_11target_archE910ELNS1_3gpuE8ELNS1_3repE0EEENS1_60segmented_radix_sort_warp_sort_medium_config_static_selectorELNS0_4arch9wavefront6targetE0EEEvSK_, .Lfunc_end1544-_ZN7rocprim17ROCPRIM_400000_NS6detail17trampoline_kernelINS0_14default_configENS1_36segmented_radix_sort_config_selectorIblEEZNS1_25segmented_radix_sort_implIS3_Lb1EPKbPbPKlPlN2at6native12_GLOBAL__N_18offset_tEEE10hipError_tPvRmT1_PNSt15iterator_traitsISK_E10value_typeET2_T3_PNSL_ISQ_E10value_typeET4_jRbjT5_SW_jjP12ihipStream_tbEUlT_E0_NS1_11comp_targetILNS1_3genE4ELNS1_11target_archE910ELNS1_3gpuE8ELNS1_3repE0EEENS1_60segmented_radix_sort_warp_sort_medium_config_static_selectorELNS0_4arch9wavefront6targetE0EEEvSK_
                                        ; -- End function
	.section	.AMDGPU.csdata,"",@progbits
; Kernel info:
; codeLenInByte = 0
; NumSgprs: 0
; NumVgprs: 0
; ScratchSize: 0
; MemoryBound: 0
; FloatMode: 240
; IeeeMode: 1
; LDSByteSize: 0 bytes/workgroup (compile time only)
; SGPRBlocks: 0
; VGPRBlocks: 0
; NumSGPRsForWavesPerEU: 1
; NumVGPRsForWavesPerEU: 1
; Occupancy: 16
; WaveLimiterHint : 0
; COMPUTE_PGM_RSRC2:SCRATCH_EN: 0
; COMPUTE_PGM_RSRC2:USER_SGPR: 15
; COMPUTE_PGM_RSRC2:TRAP_HANDLER: 0
; COMPUTE_PGM_RSRC2:TGID_X_EN: 1
; COMPUTE_PGM_RSRC2:TGID_Y_EN: 0
; COMPUTE_PGM_RSRC2:TGID_Z_EN: 0
; COMPUTE_PGM_RSRC2:TIDIG_COMP_CNT: 0
	.section	.text._ZN7rocprim17ROCPRIM_400000_NS6detail17trampoline_kernelINS0_14default_configENS1_36segmented_radix_sort_config_selectorIblEEZNS1_25segmented_radix_sort_implIS3_Lb1EPKbPbPKlPlN2at6native12_GLOBAL__N_18offset_tEEE10hipError_tPvRmT1_PNSt15iterator_traitsISK_E10value_typeET2_T3_PNSL_ISQ_E10value_typeET4_jRbjT5_SW_jjP12ihipStream_tbEUlT_E0_NS1_11comp_targetILNS1_3genE3ELNS1_11target_archE908ELNS1_3gpuE7ELNS1_3repE0EEENS1_60segmented_radix_sort_warp_sort_medium_config_static_selectorELNS0_4arch9wavefront6targetE0EEEvSK_,"axG",@progbits,_ZN7rocprim17ROCPRIM_400000_NS6detail17trampoline_kernelINS0_14default_configENS1_36segmented_radix_sort_config_selectorIblEEZNS1_25segmented_radix_sort_implIS3_Lb1EPKbPbPKlPlN2at6native12_GLOBAL__N_18offset_tEEE10hipError_tPvRmT1_PNSt15iterator_traitsISK_E10value_typeET2_T3_PNSL_ISQ_E10value_typeET4_jRbjT5_SW_jjP12ihipStream_tbEUlT_E0_NS1_11comp_targetILNS1_3genE3ELNS1_11target_archE908ELNS1_3gpuE7ELNS1_3repE0EEENS1_60segmented_radix_sort_warp_sort_medium_config_static_selectorELNS0_4arch9wavefront6targetE0EEEvSK_,comdat
	.globl	_ZN7rocprim17ROCPRIM_400000_NS6detail17trampoline_kernelINS0_14default_configENS1_36segmented_radix_sort_config_selectorIblEEZNS1_25segmented_radix_sort_implIS3_Lb1EPKbPbPKlPlN2at6native12_GLOBAL__N_18offset_tEEE10hipError_tPvRmT1_PNSt15iterator_traitsISK_E10value_typeET2_T3_PNSL_ISQ_E10value_typeET4_jRbjT5_SW_jjP12ihipStream_tbEUlT_E0_NS1_11comp_targetILNS1_3genE3ELNS1_11target_archE908ELNS1_3gpuE7ELNS1_3repE0EEENS1_60segmented_radix_sort_warp_sort_medium_config_static_selectorELNS0_4arch9wavefront6targetE0EEEvSK_ ; -- Begin function _ZN7rocprim17ROCPRIM_400000_NS6detail17trampoline_kernelINS0_14default_configENS1_36segmented_radix_sort_config_selectorIblEEZNS1_25segmented_radix_sort_implIS3_Lb1EPKbPbPKlPlN2at6native12_GLOBAL__N_18offset_tEEE10hipError_tPvRmT1_PNSt15iterator_traitsISK_E10value_typeET2_T3_PNSL_ISQ_E10value_typeET4_jRbjT5_SW_jjP12ihipStream_tbEUlT_E0_NS1_11comp_targetILNS1_3genE3ELNS1_11target_archE908ELNS1_3gpuE7ELNS1_3repE0EEENS1_60segmented_radix_sort_warp_sort_medium_config_static_selectorELNS0_4arch9wavefront6targetE0EEEvSK_
	.p2align	8
	.type	_ZN7rocprim17ROCPRIM_400000_NS6detail17trampoline_kernelINS0_14default_configENS1_36segmented_radix_sort_config_selectorIblEEZNS1_25segmented_radix_sort_implIS3_Lb1EPKbPbPKlPlN2at6native12_GLOBAL__N_18offset_tEEE10hipError_tPvRmT1_PNSt15iterator_traitsISK_E10value_typeET2_T3_PNSL_ISQ_E10value_typeET4_jRbjT5_SW_jjP12ihipStream_tbEUlT_E0_NS1_11comp_targetILNS1_3genE3ELNS1_11target_archE908ELNS1_3gpuE7ELNS1_3repE0EEENS1_60segmented_radix_sort_warp_sort_medium_config_static_selectorELNS0_4arch9wavefront6targetE0EEEvSK_,@function
_ZN7rocprim17ROCPRIM_400000_NS6detail17trampoline_kernelINS0_14default_configENS1_36segmented_radix_sort_config_selectorIblEEZNS1_25segmented_radix_sort_implIS3_Lb1EPKbPbPKlPlN2at6native12_GLOBAL__N_18offset_tEEE10hipError_tPvRmT1_PNSt15iterator_traitsISK_E10value_typeET2_T3_PNSL_ISQ_E10value_typeET4_jRbjT5_SW_jjP12ihipStream_tbEUlT_E0_NS1_11comp_targetILNS1_3genE3ELNS1_11target_archE908ELNS1_3gpuE7ELNS1_3repE0EEENS1_60segmented_radix_sort_warp_sort_medium_config_static_selectorELNS0_4arch9wavefront6targetE0EEEvSK_: ; @_ZN7rocprim17ROCPRIM_400000_NS6detail17trampoline_kernelINS0_14default_configENS1_36segmented_radix_sort_config_selectorIblEEZNS1_25segmented_radix_sort_implIS3_Lb1EPKbPbPKlPlN2at6native12_GLOBAL__N_18offset_tEEE10hipError_tPvRmT1_PNSt15iterator_traitsISK_E10value_typeET2_T3_PNSL_ISQ_E10value_typeET4_jRbjT5_SW_jjP12ihipStream_tbEUlT_E0_NS1_11comp_targetILNS1_3genE3ELNS1_11target_archE908ELNS1_3gpuE7ELNS1_3repE0EEENS1_60segmented_radix_sort_warp_sort_medium_config_static_selectorELNS0_4arch9wavefront6targetE0EEEvSK_
; %bb.0:
	.section	.rodata,"a",@progbits
	.p2align	6, 0x0
	.amdhsa_kernel _ZN7rocprim17ROCPRIM_400000_NS6detail17trampoline_kernelINS0_14default_configENS1_36segmented_radix_sort_config_selectorIblEEZNS1_25segmented_radix_sort_implIS3_Lb1EPKbPbPKlPlN2at6native12_GLOBAL__N_18offset_tEEE10hipError_tPvRmT1_PNSt15iterator_traitsISK_E10value_typeET2_T3_PNSL_ISQ_E10value_typeET4_jRbjT5_SW_jjP12ihipStream_tbEUlT_E0_NS1_11comp_targetILNS1_3genE3ELNS1_11target_archE908ELNS1_3gpuE7ELNS1_3repE0EEENS1_60segmented_radix_sort_warp_sort_medium_config_static_selectorELNS0_4arch9wavefront6targetE0EEEvSK_
		.amdhsa_group_segment_fixed_size 0
		.amdhsa_private_segment_fixed_size 0
		.amdhsa_kernarg_size 88
		.amdhsa_user_sgpr_count 15
		.amdhsa_user_sgpr_dispatch_ptr 0
		.amdhsa_user_sgpr_queue_ptr 0
		.amdhsa_user_sgpr_kernarg_segment_ptr 1
		.amdhsa_user_sgpr_dispatch_id 0
		.amdhsa_user_sgpr_private_segment_size 0
		.amdhsa_wavefront_size32 1
		.amdhsa_uses_dynamic_stack 0
		.amdhsa_enable_private_segment 0
		.amdhsa_system_sgpr_workgroup_id_x 1
		.amdhsa_system_sgpr_workgroup_id_y 0
		.amdhsa_system_sgpr_workgroup_id_z 0
		.amdhsa_system_sgpr_workgroup_info 0
		.amdhsa_system_vgpr_workitem_id 0
		.amdhsa_next_free_vgpr 1
		.amdhsa_next_free_sgpr 1
		.amdhsa_reserve_vcc 0
		.amdhsa_float_round_mode_32 0
		.amdhsa_float_round_mode_16_64 0
		.amdhsa_float_denorm_mode_32 3
		.amdhsa_float_denorm_mode_16_64 3
		.amdhsa_dx10_clamp 1
		.amdhsa_ieee_mode 1
		.amdhsa_fp16_overflow 0
		.amdhsa_workgroup_processor_mode 1
		.amdhsa_memory_ordered 1
		.amdhsa_forward_progress 0
		.amdhsa_shared_vgpr_count 0
		.amdhsa_exception_fp_ieee_invalid_op 0
		.amdhsa_exception_fp_denorm_src 0
		.amdhsa_exception_fp_ieee_div_zero 0
		.amdhsa_exception_fp_ieee_overflow 0
		.amdhsa_exception_fp_ieee_underflow 0
		.amdhsa_exception_fp_ieee_inexact 0
		.amdhsa_exception_int_div_zero 0
	.end_amdhsa_kernel
	.section	.text._ZN7rocprim17ROCPRIM_400000_NS6detail17trampoline_kernelINS0_14default_configENS1_36segmented_radix_sort_config_selectorIblEEZNS1_25segmented_radix_sort_implIS3_Lb1EPKbPbPKlPlN2at6native12_GLOBAL__N_18offset_tEEE10hipError_tPvRmT1_PNSt15iterator_traitsISK_E10value_typeET2_T3_PNSL_ISQ_E10value_typeET4_jRbjT5_SW_jjP12ihipStream_tbEUlT_E0_NS1_11comp_targetILNS1_3genE3ELNS1_11target_archE908ELNS1_3gpuE7ELNS1_3repE0EEENS1_60segmented_radix_sort_warp_sort_medium_config_static_selectorELNS0_4arch9wavefront6targetE0EEEvSK_,"axG",@progbits,_ZN7rocprim17ROCPRIM_400000_NS6detail17trampoline_kernelINS0_14default_configENS1_36segmented_radix_sort_config_selectorIblEEZNS1_25segmented_radix_sort_implIS3_Lb1EPKbPbPKlPlN2at6native12_GLOBAL__N_18offset_tEEE10hipError_tPvRmT1_PNSt15iterator_traitsISK_E10value_typeET2_T3_PNSL_ISQ_E10value_typeET4_jRbjT5_SW_jjP12ihipStream_tbEUlT_E0_NS1_11comp_targetILNS1_3genE3ELNS1_11target_archE908ELNS1_3gpuE7ELNS1_3repE0EEENS1_60segmented_radix_sort_warp_sort_medium_config_static_selectorELNS0_4arch9wavefront6targetE0EEEvSK_,comdat
.Lfunc_end1545:
	.size	_ZN7rocprim17ROCPRIM_400000_NS6detail17trampoline_kernelINS0_14default_configENS1_36segmented_radix_sort_config_selectorIblEEZNS1_25segmented_radix_sort_implIS3_Lb1EPKbPbPKlPlN2at6native12_GLOBAL__N_18offset_tEEE10hipError_tPvRmT1_PNSt15iterator_traitsISK_E10value_typeET2_T3_PNSL_ISQ_E10value_typeET4_jRbjT5_SW_jjP12ihipStream_tbEUlT_E0_NS1_11comp_targetILNS1_3genE3ELNS1_11target_archE908ELNS1_3gpuE7ELNS1_3repE0EEENS1_60segmented_radix_sort_warp_sort_medium_config_static_selectorELNS0_4arch9wavefront6targetE0EEEvSK_, .Lfunc_end1545-_ZN7rocprim17ROCPRIM_400000_NS6detail17trampoline_kernelINS0_14default_configENS1_36segmented_radix_sort_config_selectorIblEEZNS1_25segmented_radix_sort_implIS3_Lb1EPKbPbPKlPlN2at6native12_GLOBAL__N_18offset_tEEE10hipError_tPvRmT1_PNSt15iterator_traitsISK_E10value_typeET2_T3_PNSL_ISQ_E10value_typeET4_jRbjT5_SW_jjP12ihipStream_tbEUlT_E0_NS1_11comp_targetILNS1_3genE3ELNS1_11target_archE908ELNS1_3gpuE7ELNS1_3repE0EEENS1_60segmented_radix_sort_warp_sort_medium_config_static_selectorELNS0_4arch9wavefront6targetE0EEEvSK_
                                        ; -- End function
	.section	.AMDGPU.csdata,"",@progbits
; Kernel info:
; codeLenInByte = 0
; NumSgprs: 0
; NumVgprs: 0
; ScratchSize: 0
; MemoryBound: 0
; FloatMode: 240
; IeeeMode: 1
; LDSByteSize: 0 bytes/workgroup (compile time only)
; SGPRBlocks: 0
; VGPRBlocks: 0
; NumSGPRsForWavesPerEU: 1
; NumVGPRsForWavesPerEU: 1
; Occupancy: 16
; WaveLimiterHint : 0
; COMPUTE_PGM_RSRC2:SCRATCH_EN: 0
; COMPUTE_PGM_RSRC2:USER_SGPR: 15
; COMPUTE_PGM_RSRC2:TRAP_HANDLER: 0
; COMPUTE_PGM_RSRC2:TGID_X_EN: 1
; COMPUTE_PGM_RSRC2:TGID_Y_EN: 0
; COMPUTE_PGM_RSRC2:TGID_Z_EN: 0
; COMPUTE_PGM_RSRC2:TIDIG_COMP_CNT: 0
	.section	.text._ZN7rocprim17ROCPRIM_400000_NS6detail17trampoline_kernelINS0_14default_configENS1_36segmented_radix_sort_config_selectorIblEEZNS1_25segmented_radix_sort_implIS3_Lb1EPKbPbPKlPlN2at6native12_GLOBAL__N_18offset_tEEE10hipError_tPvRmT1_PNSt15iterator_traitsISK_E10value_typeET2_T3_PNSL_ISQ_E10value_typeET4_jRbjT5_SW_jjP12ihipStream_tbEUlT_E0_NS1_11comp_targetILNS1_3genE2ELNS1_11target_archE906ELNS1_3gpuE6ELNS1_3repE0EEENS1_60segmented_radix_sort_warp_sort_medium_config_static_selectorELNS0_4arch9wavefront6targetE0EEEvSK_,"axG",@progbits,_ZN7rocprim17ROCPRIM_400000_NS6detail17trampoline_kernelINS0_14default_configENS1_36segmented_radix_sort_config_selectorIblEEZNS1_25segmented_radix_sort_implIS3_Lb1EPKbPbPKlPlN2at6native12_GLOBAL__N_18offset_tEEE10hipError_tPvRmT1_PNSt15iterator_traitsISK_E10value_typeET2_T3_PNSL_ISQ_E10value_typeET4_jRbjT5_SW_jjP12ihipStream_tbEUlT_E0_NS1_11comp_targetILNS1_3genE2ELNS1_11target_archE906ELNS1_3gpuE6ELNS1_3repE0EEENS1_60segmented_radix_sort_warp_sort_medium_config_static_selectorELNS0_4arch9wavefront6targetE0EEEvSK_,comdat
	.globl	_ZN7rocprim17ROCPRIM_400000_NS6detail17trampoline_kernelINS0_14default_configENS1_36segmented_radix_sort_config_selectorIblEEZNS1_25segmented_radix_sort_implIS3_Lb1EPKbPbPKlPlN2at6native12_GLOBAL__N_18offset_tEEE10hipError_tPvRmT1_PNSt15iterator_traitsISK_E10value_typeET2_T3_PNSL_ISQ_E10value_typeET4_jRbjT5_SW_jjP12ihipStream_tbEUlT_E0_NS1_11comp_targetILNS1_3genE2ELNS1_11target_archE906ELNS1_3gpuE6ELNS1_3repE0EEENS1_60segmented_radix_sort_warp_sort_medium_config_static_selectorELNS0_4arch9wavefront6targetE0EEEvSK_ ; -- Begin function _ZN7rocprim17ROCPRIM_400000_NS6detail17trampoline_kernelINS0_14default_configENS1_36segmented_radix_sort_config_selectorIblEEZNS1_25segmented_radix_sort_implIS3_Lb1EPKbPbPKlPlN2at6native12_GLOBAL__N_18offset_tEEE10hipError_tPvRmT1_PNSt15iterator_traitsISK_E10value_typeET2_T3_PNSL_ISQ_E10value_typeET4_jRbjT5_SW_jjP12ihipStream_tbEUlT_E0_NS1_11comp_targetILNS1_3genE2ELNS1_11target_archE906ELNS1_3gpuE6ELNS1_3repE0EEENS1_60segmented_radix_sort_warp_sort_medium_config_static_selectorELNS0_4arch9wavefront6targetE0EEEvSK_
	.p2align	8
	.type	_ZN7rocprim17ROCPRIM_400000_NS6detail17trampoline_kernelINS0_14default_configENS1_36segmented_radix_sort_config_selectorIblEEZNS1_25segmented_radix_sort_implIS3_Lb1EPKbPbPKlPlN2at6native12_GLOBAL__N_18offset_tEEE10hipError_tPvRmT1_PNSt15iterator_traitsISK_E10value_typeET2_T3_PNSL_ISQ_E10value_typeET4_jRbjT5_SW_jjP12ihipStream_tbEUlT_E0_NS1_11comp_targetILNS1_3genE2ELNS1_11target_archE906ELNS1_3gpuE6ELNS1_3repE0EEENS1_60segmented_radix_sort_warp_sort_medium_config_static_selectorELNS0_4arch9wavefront6targetE0EEEvSK_,@function
_ZN7rocprim17ROCPRIM_400000_NS6detail17trampoline_kernelINS0_14default_configENS1_36segmented_radix_sort_config_selectorIblEEZNS1_25segmented_radix_sort_implIS3_Lb1EPKbPbPKlPlN2at6native12_GLOBAL__N_18offset_tEEE10hipError_tPvRmT1_PNSt15iterator_traitsISK_E10value_typeET2_T3_PNSL_ISQ_E10value_typeET4_jRbjT5_SW_jjP12ihipStream_tbEUlT_E0_NS1_11comp_targetILNS1_3genE2ELNS1_11target_archE906ELNS1_3gpuE6ELNS1_3repE0EEENS1_60segmented_radix_sort_warp_sort_medium_config_static_selectorELNS0_4arch9wavefront6targetE0EEEvSK_: ; @_ZN7rocprim17ROCPRIM_400000_NS6detail17trampoline_kernelINS0_14default_configENS1_36segmented_radix_sort_config_selectorIblEEZNS1_25segmented_radix_sort_implIS3_Lb1EPKbPbPKlPlN2at6native12_GLOBAL__N_18offset_tEEE10hipError_tPvRmT1_PNSt15iterator_traitsISK_E10value_typeET2_T3_PNSL_ISQ_E10value_typeET4_jRbjT5_SW_jjP12ihipStream_tbEUlT_E0_NS1_11comp_targetILNS1_3genE2ELNS1_11target_archE906ELNS1_3gpuE6ELNS1_3repE0EEENS1_60segmented_radix_sort_warp_sort_medium_config_static_selectorELNS0_4arch9wavefront6targetE0EEEvSK_
; %bb.0:
	.section	.rodata,"a",@progbits
	.p2align	6, 0x0
	.amdhsa_kernel _ZN7rocprim17ROCPRIM_400000_NS6detail17trampoline_kernelINS0_14default_configENS1_36segmented_radix_sort_config_selectorIblEEZNS1_25segmented_radix_sort_implIS3_Lb1EPKbPbPKlPlN2at6native12_GLOBAL__N_18offset_tEEE10hipError_tPvRmT1_PNSt15iterator_traitsISK_E10value_typeET2_T3_PNSL_ISQ_E10value_typeET4_jRbjT5_SW_jjP12ihipStream_tbEUlT_E0_NS1_11comp_targetILNS1_3genE2ELNS1_11target_archE906ELNS1_3gpuE6ELNS1_3repE0EEENS1_60segmented_radix_sort_warp_sort_medium_config_static_selectorELNS0_4arch9wavefront6targetE0EEEvSK_
		.amdhsa_group_segment_fixed_size 0
		.amdhsa_private_segment_fixed_size 0
		.amdhsa_kernarg_size 88
		.amdhsa_user_sgpr_count 15
		.amdhsa_user_sgpr_dispatch_ptr 0
		.amdhsa_user_sgpr_queue_ptr 0
		.amdhsa_user_sgpr_kernarg_segment_ptr 1
		.amdhsa_user_sgpr_dispatch_id 0
		.amdhsa_user_sgpr_private_segment_size 0
		.amdhsa_wavefront_size32 1
		.amdhsa_uses_dynamic_stack 0
		.amdhsa_enable_private_segment 0
		.amdhsa_system_sgpr_workgroup_id_x 1
		.amdhsa_system_sgpr_workgroup_id_y 0
		.amdhsa_system_sgpr_workgroup_id_z 0
		.amdhsa_system_sgpr_workgroup_info 0
		.amdhsa_system_vgpr_workitem_id 0
		.amdhsa_next_free_vgpr 1
		.amdhsa_next_free_sgpr 1
		.amdhsa_reserve_vcc 0
		.amdhsa_float_round_mode_32 0
		.amdhsa_float_round_mode_16_64 0
		.amdhsa_float_denorm_mode_32 3
		.amdhsa_float_denorm_mode_16_64 3
		.amdhsa_dx10_clamp 1
		.amdhsa_ieee_mode 1
		.amdhsa_fp16_overflow 0
		.amdhsa_workgroup_processor_mode 1
		.amdhsa_memory_ordered 1
		.amdhsa_forward_progress 0
		.amdhsa_shared_vgpr_count 0
		.amdhsa_exception_fp_ieee_invalid_op 0
		.amdhsa_exception_fp_denorm_src 0
		.amdhsa_exception_fp_ieee_div_zero 0
		.amdhsa_exception_fp_ieee_overflow 0
		.amdhsa_exception_fp_ieee_underflow 0
		.amdhsa_exception_fp_ieee_inexact 0
		.amdhsa_exception_int_div_zero 0
	.end_amdhsa_kernel
	.section	.text._ZN7rocprim17ROCPRIM_400000_NS6detail17trampoline_kernelINS0_14default_configENS1_36segmented_radix_sort_config_selectorIblEEZNS1_25segmented_radix_sort_implIS3_Lb1EPKbPbPKlPlN2at6native12_GLOBAL__N_18offset_tEEE10hipError_tPvRmT1_PNSt15iterator_traitsISK_E10value_typeET2_T3_PNSL_ISQ_E10value_typeET4_jRbjT5_SW_jjP12ihipStream_tbEUlT_E0_NS1_11comp_targetILNS1_3genE2ELNS1_11target_archE906ELNS1_3gpuE6ELNS1_3repE0EEENS1_60segmented_radix_sort_warp_sort_medium_config_static_selectorELNS0_4arch9wavefront6targetE0EEEvSK_,"axG",@progbits,_ZN7rocprim17ROCPRIM_400000_NS6detail17trampoline_kernelINS0_14default_configENS1_36segmented_radix_sort_config_selectorIblEEZNS1_25segmented_radix_sort_implIS3_Lb1EPKbPbPKlPlN2at6native12_GLOBAL__N_18offset_tEEE10hipError_tPvRmT1_PNSt15iterator_traitsISK_E10value_typeET2_T3_PNSL_ISQ_E10value_typeET4_jRbjT5_SW_jjP12ihipStream_tbEUlT_E0_NS1_11comp_targetILNS1_3genE2ELNS1_11target_archE906ELNS1_3gpuE6ELNS1_3repE0EEENS1_60segmented_radix_sort_warp_sort_medium_config_static_selectorELNS0_4arch9wavefront6targetE0EEEvSK_,comdat
.Lfunc_end1546:
	.size	_ZN7rocprim17ROCPRIM_400000_NS6detail17trampoline_kernelINS0_14default_configENS1_36segmented_radix_sort_config_selectorIblEEZNS1_25segmented_radix_sort_implIS3_Lb1EPKbPbPKlPlN2at6native12_GLOBAL__N_18offset_tEEE10hipError_tPvRmT1_PNSt15iterator_traitsISK_E10value_typeET2_T3_PNSL_ISQ_E10value_typeET4_jRbjT5_SW_jjP12ihipStream_tbEUlT_E0_NS1_11comp_targetILNS1_3genE2ELNS1_11target_archE906ELNS1_3gpuE6ELNS1_3repE0EEENS1_60segmented_radix_sort_warp_sort_medium_config_static_selectorELNS0_4arch9wavefront6targetE0EEEvSK_, .Lfunc_end1546-_ZN7rocprim17ROCPRIM_400000_NS6detail17trampoline_kernelINS0_14default_configENS1_36segmented_radix_sort_config_selectorIblEEZNS1_25segmented_radix_sort_implIS3_Lb1EPKbPbPKlPlN2at6native12_GLOBAL__N_18offset_tEEE10hipError_tPvRmT1_PNSt15iterator_traitsISK_E10value_typeET2_T3_PNSL_ISQ_E10value_typeET4_jRbjT5_SW_jjP12ihipStream_tbEUlT_E0_NS1_11comp_targetILNS1_3genE2ELNS1_11target_archE906ELNS1_3gpuE6ELNS1_3repE0EEENS1_60segmented_radix_sort_warp_sort_medium_config_static_selectorELNS0_4arch9wavefront6targetE0EEEvSK_
                                        ; -- End function
	.section	.AMDGPU.csdata,"",@progbits
; Kernel info:
; codeLenInByte = 0
; NumSgprs: 0
; NumVgprs: 0
; ScratchSize: 0
; MemoryBound: 0
; FloatMode: 240
; IeeeMode: 1
; LDSByteSize: 0 bytes/workgroup (compile time only)
; SGPRBlocks: 0
; VGPRBlocks: 0
; NumSGPRsForWavesPerEU: 1
; NumVGPRsForWavesPerEU: 1
; Occupancy: 16
; WaveLimiterHint : 0
; COMPUTE_PGM_RSRC2:SCRATCH_EN: 0
; COMPUTE_PGM_RSRC2:USER_SGPR: 15
; COMPUTE_PGM_RSRC2:TRAP_HANDLER: 0
; COMPUTE_PGM_RSRC2:TGID_X_EN: 1
; COMPUTE_PGM_RSRC2:TGID_Y_EN: 0
; COMPUTE_PGM_RSRC2:TGID_Z_EN: 0
; COMPUTE_PGM_RSRC2:TIDIG_COMP_CNT: 0
	.section	.text._ZN7rocprim17ROCPRIM_400000_NS6detail17trampoline_kernelINS0_14default_configENS1_36segmented_radix_sort_config_selectorIblEEZNS1_25segmented_radix_sort_implIS3_Lb1EPKbPbPKlPlN2at6native12_GLOBAL__N_18offset_tEEE10hipError_tPvRmT1_PNSt15iterator_traitsISK_E10value_typeET2_T3_PNSL_ISQ_E10value_typeET4_jRbjT5_SW_jjP12ihipStream_tbEUlT_E0_NS1_11comp_targetILNS1_3genE10ELNS1_11target_archE1201ELNS1_3gpuE5ELNS1_3repE0EEENS1_60segmented_radix_sort_warp_sort_medium_config_static_selectorELNS0_4arch9wavefront6targetE0EEEvSK_,"axG",@progbits,_ZN7rocprim17ROCPRIM_400000_NS6detail17trampoline_kernelINS0_14default_configENS1_36segmented_radix_sort_config_selectorIblEEZNS1_25segmented_radix_sort_implIS3_Lb1EPKbPbPKlPlN2at6native12_GLOBAL__N_18offset_tEEE10hipError_tPvRmT1_PNSt15iterator_traitsISK_E10value_typeET2_T3_PNSL_ISQ_E10value_typeET4_jRbjT5_SW_jjP12ihipStream_tbEUlT_E0_NS1_11comp_targetILNS1_3genE10ELNS1_11target_archE1201ELNS1_3gpuE5ELNS1_3repE0EEENS1_60segmented_radix_sort_warp_sort_medium_config_static_selectorELNS0_4arch9wavefront6targetE0EEEvSK_,comdat
	.globl	_ZN7rocprim17ROCPRIM_400000_NS6detail17trampoline_kernelINS0_14default_configENS1_36segmented_radix_sort_config_selectorIblEEZNS1_25segmented_radix_sort_implIS3_Lb1EPKbPbPKlPlN2at6native12_GLOBAL__N_18offset_tEEE10hipError_tPvRmT1_PNSt15iterator_traitsISK_E10value_typeET2_T3_PNSL_ISQ_E10value_typeET4_jRbjT5_SW_jjP12ihipStream_tbEUlT_E0_NS1_11comp_targetILNS1_3genE10ELNS1_11target_archE1201ELNS1_3gpuE5ELNS1_3repE0EEENS1_60segmented_radix_sort_warp_sort_medium_config_static_selectorELNS0_4arch9wavefront6targetE0EEEvSK_ ; -- Begin function _ZN7rocprim17ROCPRIM_400000_NS6detail17trampoline_kernelINS0_14default_configENS1_36segmented_radix_sort_config_selectorIblEEZNS1_25segmented_radix_sort_implIS3_Lb1EPKbPbPKlPlN2at6native12_GLOBAL__N_18offset_tEEE10hipError_tPvRmT1_PNSt15iterator_traitsISK_E10value_typeET2_T3_PNSL_ISQ_E10value_typeET4_jRbjT5_SW_jjP12ihipStream_tbEUlT_E0_NS1_11comp_targetILNS1_3genE10ELNS1_11target_archE1201ELNS1_3gpuE5ELNS1_3repE0EEENS1_60segmented_radix_sort_warp_sort_medium_config_static_selectorELNS0_4arch9wavefront6targetE0EEEvSK_
	.p2align	8
	.type	_ZN7rocprim17ROCPRIM_400000_NS6detail17trampoline_kernelINS0_14default_configENS1_36segmented_radix_sort_config_selectorIblEEZNS1_25segmented_radix_sort_implIS3_Lb1EPKbPbPKlPlN2at6native12_GLOBAL__N_18offset_tEEE10hipError_tPvRmT1_PNSt15iterator_traitsISK_E10value_typeET2_T3_PNSL_ISQ_E10value_typeET4_jRbjT5_SW_jjP12ihipStream_tbEUlT_E0_NS1_11comp_targetILNS1_3genE10ELNS1_11target_archE1201ELNS1_3gpuE5ELNS1_3repE0EEENS1_60segmented_radix_sort_warp_sort_medium_config_static_selectorELNS0_4arch9wavefront6targetE0EEEvSK_,@function
_ZN7rocprim17ROCPRIM_400000_NS6detail17trampoline_kernelINS0_14default_configENS1_36segmented_radix_sort_config_selectorIblEEZNS1_25segmented_radix_sort_implIS3_Lb1EPKbPbPKlPlN2at6native12_GLOBAL__N_18offset_tEEE10hipError_tPvRmT1_PNSt15iterator_traitsISK_E10value_typeET2_T3_PNSL_ISQ_E10value_typeET4_jRbjT5_SW_jjP12ihipStream_tbEUlT_E0_NS1_11comp_targetILNS1_3genE10ELNS1_11target_archE1201ELNS1_3gpuE5ELNS1_3repE0EEENS1_60segmented_radix_sort_warp_sort_medium_config_static_selectorELNS0_4arch9wavefront6targetE0EEEvSK_: ; @_ZN7rocprim17ROCPRIM_400000_NS6detail17trampoline_kernelINS0_14default_configENS1_36segmented_radix_sort_config_selectorIblEEZNS1_25segmented_radix_sort_implIS3_Lb1EPKbPbPKlPlN2at6native12_GLOBAL__N_18offset_tEEE10hipError_tPvRmT1_PNSt15iterator_traitsISK_E10value_typeET2_T3_PNSL_ISQ_E10value_typeET4_jRbjT5_SW_jjP12ihipStream_tbEUlT_E0_NS1_11comp_targetILNS1_3genE10ELNS1_11target_archE1201ELNS1_3gpuE5ELNS1_3repE0EEENS1_60segmented_radix_sort_warp_sort_medium_config_static_selectorELNS0_4arch9wavefront6targetE0EEEvSK_
; %bb.0:
	.section	.rodata,"a",@progbits
	.p2align	6, 0x0
	.amdhsa_kernel _ZN7rocprim17ROCPRIM_400000_NS6detail17trampoline_kernelINS0_14default_configENS1_36segmented_radix_sort_config_selectorIblEEZNS1_25segmented_radix_sort_implIS3_Lb1EPKbPbPKlPlN2at6native12_GLOBAL__N_18offset_tEEE10hipError_tPvRmT1_PNSt15iterator_traitsISK_E10value_typeET2_T3_PNSL_ISQ_E10value_typeET4_jRbjT5_SW_jjP12ihipStream_tbEUlT_E0_NS1_11comp_targetILNS1_3genE10ELNS1_11target_archE1201ELNS1_3gpuE5ELNS1_3repE0EEENS1_60segmented_radix_sort_warp_sort_medium_config_static_selectorELNS0_4arch9wavefront6targetE0EEEvSK_
		.amdhsa_group_segment_fixed_size 0
		.amdhsa_private_segment_fixed_size 0
		.amdhsa_kernarg_size 88
		.amdhsa_user_sgpr_count 15
		.amdhsa_user_sgpr_dispatch_ptr 0
		.amdhsa_user_sgpr_queue_ptr 0
		.amdhsa_user_sgpr_kernarg_segment_ptr 1
		.amdhsa_user_sgpr_dispatch_id 0
		.amdhsa_user_sgpr_private_segment_size 0
		.amdhsa_wavefront_size32 1
		.amdhsa_uses_dynamic_stack 0
		.amdhsa_enable_private_segment 0
		.amdhsa_system_sgpr_workgroup_id_x 1
		.amdhsa_system_sgpr_workgroup_id_y 0
		.amdhsa_system_sgpr_workgroup_id_z 0
		.amdhsa_system_sgpr_workgroup_info 0
		.amdhsa_system_vgpr_workitem_id 0
		.amdhsa_next_free_vgpr 1
		.amdhsa_next_free_sgpr 1
		.amdhsa_reserve_vcc 0
		.amdhsa_float_round_mode_32 0
		.amdhsa_float_round_mode_16_64 0
		.amdhsa_float_denorm_mode_32 3
		.amdhsa_float_denorm_mode_16_64 3
		.amdhsa_dx10_clamp 1
		.amdhsa_ieee_mode 1
		.amdhsa_fp16_overflow 0
		.amdhsa_workgroup_processor_mode 1
		.amdhsa_memory_ordered 1
		.amdhsa_forward_progress 0
		.amdhsa_shared_vgpr_count 0
		.amdhsa_exception_fp_ieee_invalid_op 0
		.amdhsa_exception_fp_denorm_src 0
		.amdhsa_exception_fp_ieee_div_zero 0
		.amdhsa_exception_fp_ieee_overflow 0
		.amdhsa_exception_fp_ieee_underflow 0
		.amdhsa_exception_fp_ieee_inexact 0
		.amdhsa_exception_int_div_zero 0
	.end_amdhsa_kernel
	.section	.text._ZN7rocprim17ROCPRIM_400000_NS6detail17trampoline_kernelINS0_14default_configENS1_36segmented_radix_sort_config_selectorIblEEZNS1_25segmented_radix_sort_implIS3_Lb1EPKbPbPKlPlN2at6native12_GLOBAL__N_18offset_tEEE10hipError_tPvRmT1_PNSt15iterator_traitsISK_E10value_typeET2_T3_PNSL_ISQ_E10value_typeET4_jRbjT5_SW_jjP12ihipStream_tbEUlT_E0_NS1_11comp_targetILNS1_3genE10ELNS1_11target_archE1201ELNS1_3gpuE5ELNS1_3repE0EEENS1_60segmented_radix_sort_warp_sort_medium_config_static_selectorELNS0_4arch9wavefront6targetE0EEEvSK_,"axG",@progbits,_ZN7rocprim17ROCPRIM_400000_NS6detail17trampoline_kernelINS0_14default_configENS1_36segmented_radix_sort_config_selectorIblEEZNS1_25segmented_radix_sort_implIS3_Lb1EPKbPbPKlPlN2at6native12_GLOBAL__N_18offset_tEEE10hipError_tPvRmT1_PNSt15iterator_traitsISK_E10value_typeET2_T3_PNSL_ISQ_E10value_typeET4_jRbjT5_SW_jjP12ihipStream_tbEUlT_E0_NS1_11comp_targetILNS1_3genE10ELNS1_11target_archE1201ELNS1_3gpuE5ELNS1_3repE0EEENS1_60segmented_radix_sort_warp_sort_medium_config_static_selectorELNS0_4arch9wavefront6targetE0EEEvSK_,comdat
.Lfunc_end1547:
	.size	_ZN7rocprim17ROCPRIM_400000_NS6detail17trampoline_kernelINS0_14default_configENS1_36segmented_radix_sort_config_selectorIblEEZNS1_25segmented_radix_sort_implIS3_Lb1EPKbPbPKlPlN2at6native12_GLOBAL__N_18offset_tEEE10hipError_tPvRmT1_PNSt15iterator_traitsISK_E10value_typeET2_T3_PNSL_ISQ_E10value_typeET4_jRbjT5_SW_jjP12ihipStream_tbEUlT_E0_NS1_11comp_targetILNS1_3genE10ELNS1_11target_archE1201ELNS1_3gpuE5ELNS1_3repE0EEENS1_60segmented_radix_sort_warp_sort_medium_config_static_selectorELNS0_4arch9wavefront6targetE0EEEvSK_, .Lfunc_end1547-_ZN7rocprim17ROCPRIM_400000_NS6detail17trampoline_kernelINS0_14default_configENS1_36segmented_radix_sort_config_selectorIblEEZNS1_25segmented_radix_sort_implIS3_Lb1EPKbPbPKlPlN2at6native12_GLOBAL__N_18offset_tEEE10hipError_tPvRmT1_PNSt15iterator_traitsISK_E10value_typeET2_T3_PNSL_ISQ_E10value_typeET4_jRbjT5_SW_jjP12ihipStream_tbEUlT_E0_NS1_11comp_targetILNS1_3genE10ELNS1_11target_archE1201ELNS1_3gpuE5ELNS1_3repE0EEENS1_60segmented_radix_sort_warp_sort_medium_config_static_selectorELNS0_4arch9wavefront6targetE0EEEvSK_
                                        ; -- End function
	.section	.AMDGPU.csdata,"",@progbits
; Kernel info:
; codeLenInByte = 0
; NumSgprs: 0
; NumVgprs: 0
; ScratchSize: 0
; MemoryBound: 0
; FloatMode: 240
; IeeeMode: 1
; LDSByteSize: 0 bytes/workgroup (compile time only)
; SGPRBlocks: 0
; VGPRBlocks: 0
; NumSGPRsForWavesPerEU: 1
; NumVGPRsForWavesPerEU: 1
; Occupancy: 16
; WaveLimiterHint : 0
; COMPUTE_PGM_RSRC2:SCRATCH_EN: 0
; COMPUTE_PGM_RSRC2:USER_SGPR: 15
; COMPUTE_PGM_RSRC2:TRAP_HANDLER: 0
; COMPUTE_PGM_RSRC2:TGID_X_EN: 1
; COMPUTE_PGM_RSRC2:TGID_Y_EN: 0
; COMPUTE_PGM_RSRC2:TGID_Z_EN: 0
; COMPUTE_PGM_RSRC2:TIDIG_COMP_CNT: 0
	.section	.text._ZN7rocprim17ROCPRIM_400000_NS6detail17trampoline_kernelINS0_14default_configENS1_36segmented_radix_sort_config_selectorIblEEZNS1_25segmented_radix_sort_implIS3_Lb1EPKbPbPKlPlN2at6native12_GLOBAL__N_18offset_tEEE10hipError_tPvRmT1_PNSt15iterator_traitsISK_E10value_typeET2_T3_PNSL_ISQ_E10value_typeET4_jRbjT5_SW_jjP12ihipStream_tbEUlT_E0_NS1_11comp_targetILNS1_3genE10ELNS1_11target_archE1200ELNS1_3gpuE4ELNS1_3repE0EEENS1_60segmented_radix_sort_warp_sort_medium_config_static_selectorELNS0_4arch9wavefront6targetE0EEEvSK_,"axG",@progbits,_ZN7rocprim17ROCPRIM_400000_NS6detail17trampoline_kernelINS0_14default_configENS1_36segmented_radix_sort_config_selectorIblEEZNS1_25segmented_radix_sort_implIS3_Lb1EPKbPbPKlPlN2at6native12_GLOBAL__N_18offset_tEEE10hipError_tPvRmT1_PNSt15iterator_traitsISK_E10value_typeET2_T3_PNSL_ISQ_E10value_typeET4_jRbjT5_SW_jjP12ihipStream_tbEUlT_E0_NS1_11comp_targetILNS1_3genE10ELNS1_11target_archE1200ELNS1_3gpuE4ELNS1_3repE0EEENS1_60segmented_radix_sort_warp_sort_medium_config_static_selectorELNS0_4arch9wavefront6targetE0EEEvSK_,comdat
	.globl	_ZN7rocprim17ROCPRIM_400000_NS6detail17trampoline_kernelINS0_14default_configENS1_36segmented_radix_sort_config_selectorIblEEZNS1_25segmented_radix_sort_implIS3_Lb1EPKbPbPKlPlN2at6native12_GLOBAL__N_18offset_tEEE10hipError_tPvRmT1_PNSt15iterator_traitsISK_E10value_typeET2_T3_PNSL_ISQ_E10value_typeET4_jRbjT5_SW_jjP12ihipStream_tbEUlT_E0_NS1_11comp_targetILNS1_3genE10ELNS1_11target_archE1200ELNS1_3gpuE4ELNS1_3repE0EEENS1_60segmented_radix_sort_warp_sort_medium_config_static_selectorELNS0_4arch9wavefront6targetE0EEEvSK_ ; -- Begin function _ZN7rocprim17ROCPRIM_400000_NS6detail17trampoline_kernelINS0_14default_configENS1_36segmented_radix_sort_config_selectorIblEEZNS1_25segmented_radix_sort_implIS3_Lb1EPKbPbPKlPlN2at6native12_GLOBAL__N_18offset_tEEE10hipError_tPvRmT1_PNSt15iterator_traitsISK_E10value_typeET2_T3_PNSL_ISQ_E10value_typeET4_jRbjT5_SW_jjP12ihipStream_tbEUlT_E0_NS1_11comp_targetILNS1_3genE10ELNS1_11target_archE1200ELNS1_3gpuE4ELNS1_3repE0EEENS1_60segmented_radix_sort_warp_sort_medium_config_static_selectorELNS0_4arch9wavefront6targetE0EEEvSK_
	.p2align	8
	.type	_ZN7rocprim17ROCPRIM_400000_NS6detail17trampoline_kernelINS0_14default_configENS1_36segmented_radix_sort_config_selectorIblEEZNS1_25segmented_radix_sort_implIS3_Lb1EPKbPbPKlPlN2at6native12_GLOBAL__N_18offset_tEEE10hipError_tPvRmT1_PNSt15iterator_traitsISK_E10value_typeET2_T3_PNSL_ISQ_E10value_typeET4_jRbjT5_SW_jjP12ihipStream_tbEUlT_E0_NS1_11comp_targetILNS1_3genE10ELNS1_11target_archE1200ELNS1_3gpuE4ELNS1_3repE0EEENS1_60segmented_radix_sort_warp_sort_medium_config_static_selectorELNS0_4arch9wavefront6targetE0EEEvSK_,@function
_ZN7rocprim17ROCPRIM_400000_NS6detail17trampoline_kernelINS0_14default_configENS1_36segmented_radix_sort_config_selectorIblEEZNS1_25segmented_radix_sort_implIS3_Lb1EPKbPbPKlPlN2at6native12_GLOBAL__N_18offset_tEEE10hipError_tPvRmT1_PNSt15iterator_traitsISK_E10value_typeET2_T3_PNSL_ISQ_E10value_typeET4_jRbjT5_SW_jjP12ihipStream_tbEUlT_E0_NS1_11comp_targetILNS1_3genE10ELNS1_11target_archE1200ELNS1_3gpuE4ELNS1_3repE0EEENS1_60segmented_radix_sort_warp_sort_medium_config_static_selectorELNS0_4arch9wavefront6targetE0EEEvSK_: ; @_ZN7rocprim17ROCPRIM_400000_NS6detail17trampoline_kernelINS0_14default_configENS1_36segmented_radix_sort_config_selectorIblEEZNS1_25segmented_radix_sort_implIS3_Lb1EPKbPbPKlPlN2at6native12_GLOBAL__N_18offset_tEEE10hipError_tPvRmT1_PNSt15iterator_traitsISK_E10value_typeET2_T3_PNSL_ISQ_E10value_typeET4_jRbjT5_SW_jjP12ihipStream_tbEUlT_E0_NS1_11comp_targetILNS1_3genE10ELNS1_11target_archE1200ELNS1_3gpuE4ELNS1_3repE0EEENS1_60segmented_radix_sort_warp_sort_medium_config_static_selectorELNS0_4arch9wavefront6targetE0EEEvSK_
; %bb.0:
	.section	.rodata,"a",@progbits
	.p2align	6, 0x0
	.amdhsa_kernel _ZN7rocprim17ROCPRIM_400000_NS6detail17trampoline_kernelINS0_14default_configENS1_36segmented_radix_sort_config_selectorIblEEZNS1_25segmented_radix_sort_implIS3_Lb1EPKbPbPKlPlN2at6native12_GLOBAL__N_18offset_tEEE10hipError_tPvRmT1_PNSt15iterator_traitsISK_E10value_typeET2_T3_PNSL_ISQ_E10value_typeET4_jRbjT5_SW_jjP12ihipStream_tbEUlT_E0_NS1_11comp_targetILNS1_3genE10ELNS1_11target_archE1200ELNS1_3gpuE4ELNS1_3repE0EEENS1_60segmented_radix_sort_warp_sort_medium_config_static_selectorELNS0_4arch9wavefront6targetE0EEEvSK_
		.amdhsa_group_segment_fixed_size 0
		.amdhsa_private_segment_fixed_size 0
		.amdhsa_kernarg_size 88
		.amdhsa_user_sgpr_count 15
		.amdhsa_user_sgpr_dispatch_ptr 0
		.amdhsa_user_sgpr_queue_ptr 0
		.amdhsa_user_sgpr_kernarg_segment_ptr 1
		.amdhsa_user_sgpr_dispatch_id 0
		.amdhsa_user_sgpr_private_segment_size 0
		.amdhsa_wavefront_size32 1
		.amdhsa_uses_dynamic_stack 0
		.amdhsa_enable_private_segment 0
		.amdhsa_system_sgpr_workgroup_id_x 1
		.amdhsa_system_sgpr_workgroup_id_y 0
		.amdhsa_system_sgpr_workgroup_id_z 0
		.amdhsa_system_sgpr_workgroup_info 0
		.amdhsa_system_vgpr_workitem_id 0
		.amdhsa_next_free_vgpr 1
		.amdhsa_next_free_sgpr 1
		.amdhsa_reserve_vcc 0
		.amdhsa_float_round_mode_32 0
		.amdhsa_float_round_mode_16_64 0
		.amdhsa_float_denorm_mode_32 3
		.amdhsa_float_denorm_mode_16_64 3
		.amdhsa_dx10_clamp 1
		.amdhsa_ieee_mode 1
		.amdhsa_fp16_overflow 0
		.amdhsa_workgroup_processor_mode 1
		.amdhsa_memory_ordered 1
		.amdhsa_forward_progress 0
		.amdhsa_shared_vgpr_count 0
		.amdhsa_exception_fp_ieee_invalid_op 0
		.amdhsa_exception_fp_denorm_src 0
		.amdhsa_exception_fp_ieee_div_zero 0
		.amdhsa_exception_fp_ieee_overflow 0
		.amdhsa_exception_fp_ieee_underflow 0
		.amdhsa_exception_fp_ieee_inexact 0
		.amdhsa_exception_int_div_zero 0
	.end_amdhsa_kernel
	.section	.text._ZN7rocprim17ROCPRIM_400000_NS6detail17trampoline_kernelINS0_14default_configENS1_36segmented_radix_sort_config_selectorIblEEZNS1_25segmented_radix_sort_implIS3_Lb1EPKbPbPKlPlN2at6native12_GLOBAL__N_18offset_tEEE10hipError_tPvRmT1_PNSt15iterator_traitsISK_E10value_typeET2_T3_PNSL_ISQ_E10value_typeET4_jRbjT5_SW_jjP12ihipStream_tbEUlT_E0_NS1_11comp_targetILNS1_3genE10ELNS1_11target_archE1200ELNS1_3gpuE4ELNS1_3repE0EEENS1_60segmented_radix_sort_warp_sort_medium_config_static_selectorELNS0_4arch9wavefront6targetE0EEEvSK_,"axG",@progbits,_ZN7rocprim17ROCPRIM_400000_NS6detail17trampoline_kernelINS0_14default_configENS1_36segmented_radix_sort_config_selectorIblEEZNS1_25segmented_radix_sort_implIS3_Lb1EPKbPbPKlPlN2at6native12_GLOBAL__N_18offset_tEEE10hipError_tPvRmT1_PNSt15iterator_traitsISK_E10value_typeET2_T3_PNSL_ISQ_E10value_typeET4_jRbjT5_SW_jjP12ihipStream_tbEUlT_E0_NS1_11comp_targetILNS1_3genE10ELNS1_11target_archE1200ELNS1_3gpuE4ELNS1_3repE0EEENS1_60segmented_radix_sort_warp_sort_medium_config_static_selectorELNS0_4arch9wavefront6targetE0EEEvSK_,comdat
.Lfunc_end1548:
	.size	_ZN7rocprim17ROCPRIM_400000_NS6detail17trampoline_kernelINS0_14default_configENS1_36segmented_radix_sort_config_selectorIblEEZNS1_25segmented_radix_sort_implIS3_Lb1EPKbPbPKlPlN2at6native12_GLOBAL__N_18offset_tEEE10hipError_tPvRmT1_PNSt15iterator_traitsISK_E10value_typeET2_T3_PNSL_ISQ_E10value_typeET4_jRbjT5_SW_jjP12ihipStream_tbEUlT_E0_NS1_11comp_targetILNS1_3genE10ELNS1_11target_archE1200ELNS1_3gpuE4ELNS1_3repE0EEENS1_60segmented_radix_sort_warp_sort_medium_config_static_selectorELNS0_4arch9wavefront6targetE0EEEvSK_, .Lfunc_end1548-_ZN7rocprim17ROCPRIM_400000_NS6detail17trampoline_kernelINS0_14default_configENS1_36segmented_radix_sort_config_selectorIblEEZNS1_25segmented_radix_sort_implIS3_Lb1EPKbPbPKlPlN2at6native12_GLOBAL__N_18offset_tEEE10hipError_tPvRmT1_PNSt15iterator_traitsISK_E10value_typeET2_T3_PNSL_ISQ_E10value_typeET4_jRbjT5_SW_jjP12ihipStream_tbEUlT_E0_NS1_11comp_targetILNS1_3genE10ELNS1_11target_archE1200ELNS1_3gpuE4ELNS1_3repE0EEENS1_60segmented_radix_sort_warp_sort_medium_config_static_selectorELNS0_4arch9wavefront6targetE0EEEvSK_
                                        ; -- End function
	.section	.AMDGPU.csdata,"",@progbits
; Kernel info:
; codeLenInByte = 0
; NumSgprs: 0
; NumVgprs: 0
; ScratchSize: 0
; MemoryBound: 0
; FloatMode: 240
; IeeeMode: 1
; LDSByteSize: 0 bytes/workgroup (compile time only)
; SGPRBlocks: 0
; VGPRBlocks: 0
; NumSGPRsForWavesPerEU: 1
; NumVGPRsForWavesPerEU: 1
; Occupancy: 16
; WaveLimiterHint : 0
; COMPUTE_PGM_RSRC2:SCRATCH_EN: 0
; COMPUTE_PGM_RSRC2:USER_SGPR: 15
; COMPUTE_PGM_RSRC2:TRAP_HANDLER: 0
; COMPUTE_PGM_RSRC2:TGID_X_EN: 1
; COMPUTE_PGM_RSRC2:TGID_Y_EN: 0
; COMPUTE_PGM_RSRC2:TGID_Z_EN: 0
; COMPUTE_PGM_RSRC2:TIDIG_COMP_CNT: 0
	.text
	.p2align	2                               ; -- Begin function _ZN7rocprim17ROCPRIM_400000_NS6detail26segmented_warp_sort_helperINS1_20WarpSortHelperConfigILj16ELj8ELj256EEEblLi256ELb1EvE4sortIPKbPbPKlPlEEvT_T0_T1_T2_jjjjRNS5_12storage_typeE
	.type	_ZN7rocprim17ROCPRIM_400000_NS6detail26segmented_warp_sort_helperINS1_20WarpSortHelperConfigILj16ELj8ELj256EEEblLi256ELb1EvE4sortIPKbPbPKlPlEEvT_T0_T1_T2_jjjjRNS5_12storage_typeE,@function
_ZN7rocprim17ROCPRIM_400000_NS6detail26segmented_warp_sort_helperINS1_20WarpSortHelperConfigILj16ELj8ELj256EEEblLi256ELb1EvE4sortIPKbPbPKlPlEEvT_T0_T1_T2_jjjjRNS5_12storage_typeE: ; @_ZN7rocprim17ROCPRIM_400000_NS6detail26segmented_warp_sort_helperINS1_20WarpSortHelperConfigILj16ELj8ELj256EEEblLi256ELb1EvE4sortIPKbPbPKlPlEEvT_T0_T1_T2_jjjjRNS5_12storage_typeE
; %bb.0:
	s_waitcnt vmcnt(0) expcnt(0) lgkmcnt(0)
	v_mbcnt_lo_u32_b32 v12, -1, 0
	s_mov_b32 s0, 0
	v_add_co_u32 v0, vcc_lo, v0, v8
	s_mov_b32 s1, s0
	s_delay_alu instid0(VALU_DEP_2) | instskip(SKIP_3) | instid1(VALU_DEP_4)
	v_lshlrev_b32_e32 v48, 3, v12
	v_sub_nc_u32_e32 v12, v9, v8
	v_mov_b32_e32 v9, 0
	v_add_co_ci_u32_e32 v1, vcc_lo, 0, v1, vcc_lo
	v_dual_mov_b32 v29, s1 :: v_dual_and_b32 v38, 0x78, v48
	v_mov_b32_e32 v28, s0
	s_delay_alu instid0(VALU_DEP_2) | instskip(NEXT) | instid1(VALU_DEP_4)
	v_add_co_u32 v0, vcc_lo, v0, v38
	v_add_co_ci_u32_e32 v1, vcc_lo, 0, v1, vcc_lo
	v_cmp_lt_u32_e32 vcc_lo, v38, v12
	s_and_saveexec_b32 s1, vcc_lo
	s_cbranch_execz .LBB1549_2
; %bb.1:
	flat_load_u8 v13, v[0:1]
	s_waitcnt vmcnt(0) lgkmcnt(0)
	v_dual_mov_b32 v29, s0 :: v_dual_and_b32 v28, 0xffff, v13
.LBB1549_2:
	s_or_b32 exec_lo, exec_lo, s1
	v_or_b32_e32 v13, 1, v38
	s_delay_alu instid0(VALU_DEP_1) | instskip(NEXT) | instid1(VALU_DEP_1)
	v_cmp_lt_u32_e64 s0, v13, v12
	s_and_saveexec_b32 s1, s0
	s_cbranch_execz .LBB1549_4
; %bb.3:
	flat_load_u8 v13, v[0:1] offset:1
	s_waitcnt vmcnt(0) lgkmcnt(0)
	v_perm_b32 v28, v28, v13, 0x7060004
.LBB1549_4:
	s_or_b32 exec_lo, exec_lo, s1
	v_or_b32_e32 v13, 2, v38
	s_delay_alu instid0(VALU_DEP_1) | instskip(NEXT) | instid1(VALU_DEP_1)
	v_cmp_lt_u32_e64 s1, v13, v12
	s_and_saveexec_b32 s2, s1
	s_cbranch_execz .LBB1549_6
; %bb.5:
	flat_load_u8 v13, v[0:1] offset:2
	v_lshrrev_b32_e32 v14, 16, v28
	s_delay_alu instid0(VALU_DEP_1) | instskip(SKIP_1) | instid1(VALU_DEP_1)
	v_and_b32_e32 v14, 0xffffff00, v14
	s_waitcnt vmcnt(0) lgkmcnt(0)
	v_or_b32_e32 v13, v13, v14
	s_delay_alu instid0(VALU_DEP_1) | instskip(NEXT) | instid1(VALU_DEP_1)
	v_lshlrev_b32_e32 v13, 16, v13
	v_and_or_b32 v28, 0xffff, v28, v13
.LBB1549_6:
	s_or_b32 exec_lo, exec_lo, s2
	v_or_b32_e32 v13, 3, v38
	s_delay_alu instid0(VALU_DEP_1) | instskip(NEXT) | instid1(VALU_DEP_1)
	v_cmp_lt_u32_e64 s2, v13, v12
	s_and_saveexec_b32 s3, s2
	s_cbranch_execz .LBB1549_8
; %bb.7:
	flat_load_u8 v13, v[0:1] offset:3
	v_lshrrev_b32_e32 v14, 16, v28
	s_delay_alu instid0(VALU_DEP_1) | instskip(SKIP_2) | instid1(VALU_DEP_1)
	v_and_b32_e32 v14, 0xff, v14
	s_waitcnt vmcnt(0) lgkmcnt(0)
	v_lshlrev_b16 v13, 8, v13
	v_or_b32_e32 v13, v14, v13
	s_delay_alu instid0(VALU_DEP_1) | instskip(NEXT) | instid1(VALU_DEP_1)
	v_lshlrev_b32_e32 v13, 16, v13
	v_and_or_b32 v28, 0xffff, v28, v13
.LBB1549_8:
	s_or_b32 exec_lo, exec_lo, s3
	v_or_b32_e32 v13, 4, v38
	s_delay_alu instid0(VALU_DEP_1) | instskip(NEXT) | instid1(VALU_DEP_1)
	v_cmp_lt_u32_e64 s3, v13, v12
	s_and_saveexec_b32 s4, s3
	s_cbranch_execz .LBB1549_10
; %bb.9:
	flat_load_u8 v13, v[0:1] offset:4
	s_waitcnt vmcnt(0) lgkmcnt(0)
	v_perm_b32 v29, v13, v29, 0x3020104
.LBB1549_10:
	s_or_b32 exec_lo, exec_lo, s4
	v_or_b32_e32 v13, 5, v38
	s_delay_alu instid0(VALU_DEP_1) | instskip(NEXT) | instid1(VALU_DEP_1)
	v_cmp_lt_u32_e64 s4, v13, v12
	s_and_saveexec_b32 s5, s4
	s_cbranch_execz .LBB1549_12
; %bb.11:
	flat_load_u8 v13, v[0:1] offset:5
	s_waitcnt vmcnt(0) lgkmcnt(0)
	v_perm_b32 v29, v29, v13, 0x7060004
.LBB1549_12:
	;; [unrolled: 11-line block ×4, first 2 shown]
	s_or_b32 exec_lo, exec_lo, s7
	v_lshlrev_b64 v[0:1], 3, v[8:9]
	v_lshlrev_b32_e32 v39, 3, v38
	; wave barrier
	s_delay_alu instid0(VALU_DEP_2) | instskip(NEXT) | instid1(VALU_DEP_1)
	v_add_co_u32 v4, s7, v4, v0
	v_add_co_ci_u32_e64 v5, s7, v5, v1, s7
	s_delay_alu instid0(VALU_DEP_2) | instskip(NEXT) | instid1(VALU_DEP_1)
	v_add_co_u32 v32, s7, v4, v39
	v_add_co_ci_u32_e64 v33, s7, 0, v5, s7
                                        ; implicit-def: $vgpr4_vgpr5
	s_and_saveexec_b32 s7, vcc_lo
	s_cbranch_execnz .LBB1549_235
; %bb.17:
	s_or_b32 exec_lo, exec_lo, s7
	s_and_saveexec_b32 s7, s0
                                        ; implicit-def: $vgpr18_vgpr19_vgpr20_vgpr21
	s_cbranch_execnz .LBB1549_236
.LBB1549_18:
	s_or_b32 exec_lo, exec_lo, s7
                                        ; implicit-def: $vgpr22_vgpr23
	s_and_saveexec_b32 s7, s1
	s_cbranch_execnz .LBB1549_237
.LBB1549_19:
	s_or_b32 exec_lo, exec_lo, s7
	s_and_saveexec_b32 s7, s2
                                        ; implicit-def: $vgpr16_vgpr17_vgpr18_vgpr19
	s_cbranch_execnz .LBB1549_238
.LBB1549_20:
	s_or_b32 exec_lo, exec_lo, s7
                                        ; implicit-def: $vgpr26_vgpr27
	s_and_saveexec_b32 s7, s3
	s_cbranch_execnz .LBB1549_239
.LBB1549_21:
	s_or_b32 exec_lo, exec_lo, s7
	s_and_saveexec_b32 s7, s4
                                        ; implicit-def: $vgpr14_vgpr15_vgpr16_vgpr17
	s_cbranch_execnz .LBB1549_240
.LBB1549_22:
	s_or_b32 exec_lo, exec_lo, s7
                                        ; implicit-def: $vgpr24_vgpr25
	s_and_saveexec_b32 s7, s5
	s_cbranch_execnz .LBB1549_241
.LBB1549_23:
	s_or_b32 exec_lo, exec_lo, s7
	s_and_saveexec_b32 s7, s6
                                        ; implicit-def: $vgpr12_vgpr13_vgpr14_vgpr15
	s_cbranch_execz .LBB1549_25
.LBB1549_24:
	flat_load_b64 v[14:15], v[32:33] offset:56
.LBB1549_25:
	s_or_b32 exec_lo, exec_lo, s7
	v_cmp_ne_u32_e64 s7, 0, v10
	v_cmp_ne_u32_e64 s10, 8, v11
	v_bfe_u32 v9, v31, 10, 10
	v_bfe_u32 v32, v31, 20, 10
	v_and_b32_e32 v30, 0x3ff, v31
	s_delay_alu instid0(VALU_DEP_4) | instskip(NEXT) | instid1(SALU_CYCLE_1)
	s_or_b32 s7, s7, s10
	; wave barrier
                                        ; implicit-def: $vgpr12_vgpr13
	s_and_saveexec_b32 s10, s7
	s_delay_alu instid0(SALU_CYCLE_1)
	s_xor_b32 s20, exec_lo, s10
	s_cbranch_execz .LBB1549_121
; %bb.26:
	s_load_b64 s[14:15], s[8:9], 0x0
	v_cmp_ne_u32_e64 s7, 0, v11
	v_cmp_ne_u32_e64 s10, 0, v10
	v_mov_b32_e32 v10, 0
	v_dual_mov_b32 v12, v28 :: v_dual_mov_b32 v13, v29
	s_delay_alu instid0(VALU_DEP_3) | instskip(NEXT) | instid1(SALU_CYCLE_1)
	s_xor_b32 s7, s10, s7
	v_cndmask_b32_e64 v49, 0, 1, s7
	s_waitcnt lgkmcnt(0)
	s_cmp_lt_u32 s13, s15
	s_cselect_b32 s10, 14, 20
	s_delay_alu instid0(SALU_CYCLE_1) | instskip(SKIP_4) | instid1(SALU_CYCLE_1)
	s_add_u32 s10, s8, s10
	s_addc_u32 s11, s9, 0
	s_cmp_lt_u32 s12, s14
	global_load_u16 v11, v10, s[10:11]
	s_cselect_b32 s14, 12, 18
	s_add_u32 s10, s8, s14
	s_addc_u32 s11, s9, 0
	s_mov_b32 s14, exec_lo
	global_load_u16 v10, v10, s[10:11]
	s_waitcnt vmcnt(1)
	v_mad_u32_u24 v9, v32, v11, v9
	s_waitcnt vmcnt(0)
	s_delay_alu instid0(VALU_DEP_1) | instskip(NEXT) | instid1(VALU_DEP_1)
	v_mul_lo_u32 v9, v9, v10
	v_add_lshl_u32 v50, v9, v30, 3
	s_delay_alu instid0(VALU_DEP_1)
	v_cmpx_gt_u32_e32 0x800, v50
	s_cbranch_execz .LBB1549_80
; %bb.27:
	v_lshrrev_b32_e32 v13, 8, v28
	v_and_b32_e32 v11, v28, v49
	v_dual_mov_b32 v31, v21 :: v_dual_mov_b32 v30, v20
	v_mov_b32_e32 v34, v28
	s_delay_alu instid0(VALU_DEP_4) | instskip(SKIP_2) | instid1(VALU_DEP_2)
	v_dual_mov_b32 v9, v28 :: v_dual_and_b32 v12, v13, v49
	v_mov_b32_e32 v10, v29
	s_mov_b32 s10, exec_lo
	v_cmpx_gt_u16_e64 v12, v11
; %bb.28:
	v_perm_b32 v9, 0, v28, 0xc0c0001
	v_dual_mov_b32 v34, 1 :: v_dual_mov_b32 v31, v5
	v_mov_b32_e32 v30, v4
	v_dual_mov_b32 v4, v20 :: v_dual_mov_b32 v5, v21
	v_dual_mov_b32 v10, v29 :: v_dual_mov_b32 v13, v28
	v_and_or_b32 v9, 0xffff0000, v28, v9
; %bb.29:
	s_or_b32 exec_lo, exec_lo, s10
	s_delay_alu instid0(VALU_DEP_1) | instskip(SKIP_3) | instid1(VALU_DEP_3)
	v_lshrrev_b64 v[20:21], 24, v[9:10]
	v_lshrrev_b32_e32 v52, 16, v9
	s_mov_b32 s10, exec_lo
	v_dual_mov_b32 v33, v19 :: v_dual_mov_b32 v32, v18
	v_and_b32_e32 v12, v20, v49
	s_delay_alu instid0(VALU_DEP_3) | instskip(NEXT) | instid1(VALU_DEP_1)
	v_and_b32_e32 v11, v52, v49
	v_cmpx_gt_u16_e64 v12, v11
; %bb.30:
	v_perm_b32 v11, 0, v52, 0xc0c0001
	v_dual_mov_b32 v33, v23 :: v_dual_mov_b32 v32, v22
	v_dual_mov_b32 v23, v19 :: v_dual_mov_b32 v20, v52
	s_delay_alu instid0(VALU_DEP_3) | instskip(SKIP_1) | instid1(VALU_DEP_2)
	v_dual_mov_b32 v22, v18 :: v_dual_lshlrev_b32 v11, 16, v11
	v_mov_b32_e32 v52, 1
	v_and_or_b32 v9, 0xffff, v9, v11
; %bb.31:
	s_or_b32 exec_lo, exec_lo, s10
	v_lshrrev_b32_e32 v51, 8, v10
	v_and_b32_e32 v11, v10, v49
	v_dual_mov_b32 v29, v27 :: v_dual_mov_b32 v28, v26
	s_delay_alu instid0(VALU_DEP_3) | instskip(NEXT) | instid1(VALU_DEP_1)
	v_and_b32_e32 v12, v51, v49
	v_cmp_gt_u16_e64 s7, v12, v11
	v_dual_mov_b32 v12, v10 :: v_dual_mov_b32 v11, v9
	s_delay_alu instid0(VALU_DEP_2)
	s_and_saveexec_b32 s10, s7
; %bb.32:
	v_mov_b32_e32 v29, v17
	v_dual_mov_b32 v11, v9 :: v_dual_mov_b32 v28, v16
	v_mov_b32_e32 v16, v26
	v_perm_b32 v12, v10, v10, 0x7060405
	v_mov_b32_e32 v17, v27
	v_dual_mov_b32 v51, v10 :: v_dual_mov_b32 v10, 1
; %bb.33:
	s_or_b32 exec_lo, exec_lo, s10
	s_delay_alu instid0(VALU_DEP_3)
	v_lshrrev_b32_e32 v53, 24, v12
	v_lshrrev_b32_e32 v9, 16, v12
	v_mov_b32_e32 v27, v25
	s_mov_b32 s10, exec_lo
	v_mov_b32_e32 v26, v24
	v_and_b32_e32 v18, v53, v49
	v_and_b32_e32 v19, v9, v49
	s_delay_alu instid0(VALU_DEP_1)
	v_cmpx_gt_u16_e64 v18, v19
; %bb.34:
	v_perm_b32 v12, v12, v12, 0x6070504
	v_dual_mov_b32 v27, v15 :: v_dual_mov_b32 v26, v14
	v_dual_mov_b32 v14, v24 :: v_dual_mov_b32 v15, v25
	v_mov_b32_e32 v53, v9
	v_mov_b32_e32 v9, 1
; %bb.35:
	s_or_b32 exec_lo, exec_lo, s10
	v_and_b32_e32 v18, v52, v49
	v_and_b32_e32 v19, v13, v49
	s_delay_alu instid0(VALU_DEP_1) | instskip(SKIP_1) | instid1(VALU_DEP_2)
	v_cmp_gt_u16_e64 s7, v18, v19
	v_dual_mov_b32 v18, v22 :: v_dual_mov_b32 v19, v23
	s_and_saveexec_b32 s10, s7
	s_delay_alu instid0(SALU_CYCLE_1)
	s_xor_b32 s7, exec_lo, s10
	s_cbranch_execz .LBB1549_37
; %bb.36:
	v_lshrrev_b32_e32 v18, 16, v11
	v_and_b32_e32 v19, 0xff, v13
	v_and_b32_e32 v11, 0xff, v11
	v_lshlrev_b16 v21, 8, v52
	v_mov_b32_e32 v52, v13
	v_dual_mov_b32 v13, 1 :: v_dual_and_b32 v18, 0xffffff00, v18
	s_delay_alu instid0(VALU_DEP_3) | instskip(NEXT) | instid1(VALU_DEP_2)
	v_or_b32_e32 v11, v11, v21
	v_or_b32_e32 v18, v19, v18
	s_delay_alu instid0(VALU_DEP_2) | instskip(NEXT) | instid1(VALU_DEP_2)
	v_and_b32_e32 v11, 0xffff, v11
	v_dual_mov_b32 v18, v30 :: v_dual_lshlrev_b32 v21, 16, v18
	v_mov_b32_e32 v19, v31
	v_dual_mov_b32 v31, v23 :: v_dual_mov_b32 v30, v22
	s_delay_alu instid0(VALU_DEP_3)
	v_or_b32_e32 v11, v11, v21
.LBB1549_37:
	s_or_b32 exec_lo, exec_lo, s7
	v_mov_b32_e32 v23, v32
	v_dual_mov_b32 v24, v33 :: v_dual_and_b32 v21, v10, v49
	v_and_b32_e32 v22, v20, v49
	s_mov_b32 s10, exec_lo
	s_delay_alu instid0(VALU_DEP_1)
	v_cmpx_gt_u16_e64 v21, v22
; %bb.38:
	v_lshrrev_b32_e32 v21, 16, v11
	v_lshlrev_b16 v10, 8, v10
	v_mov_b32_e32 v23, v28
	v_perm_b32 v12, v20, v12, 0x3020104
	s_delay_alu instid0(VALU_DEP_4) | instskip(SKIP_1) | instid1(VALU_DEP_2)
	v_dual_mov_b32 v24, v29 :: v_dual_and_b32 v21, 0xff, v21
	v_dual_mov_b32 v28, v32 :: v_dual_mov_b32 v29, v33
	v_or_b32_e32 v10, v21, v10
	s_delay_alu instid0(VALU_DEP_1) | instskip(SKIP_1) | instid1(VALU_DEP_2)
	v_dual_mov_b32 v10, v20 :: v_dual_lshlrev_b32 v21, 16, v10
	v_mov_b32_e32 v20, 1
	v_and_or_b32 v11, 0xffff, v11, v21
; %bb.39:
	s_or_b32 exec_lo, exec_lo, s10
	v_and_b32_e32 v21, v9, v49
	v_and_b32_e32 v22, v51, v49
	s_delay_alu instid0(VALU_DEP_1) | instskip(SKIP_1) | instid1(VALU_DEP_2)
	v_cmp_gt_u16_e64 s7, v21, v22
	v_dual_mov_b32 v22, v17 :: v_dual_mov_b32 v21, v16
	s_and_saveexec_b32 s10, s7
	s_cbranch_execz .LBB1549_41
; %bb.40:
	v_lshrrev_b32_e32 v21, 16, v12
	v_and_b32_e32 v22, 0xff, v51
	v_and_b32_e32 v12, 0xff, v12
	v_lshlrev_b16 v9, 8, v9
	s_delay_alu instid0(VALU_DEP_4) | instskip(NEXT) | instid1(VALU_DEP_2)
	v_and_b32_e32 v21, 0xffffff00, v21
	v_or_b32_e32 v9, v12, v9
	s_delay_alu instid0(VALU_DEP_2) | instskip(SKIP_1) | instid1(VALU_DEP_3)
	v_or_b32_e32 v12, v22, v21
	v_dual_mov_b32 v21, v26 :: v_dual_mov_b32 v22, v27
	v_and_b32_e32 v25, 0xffff, v9
	v_dual_mov_b32 v27, v17 :: v_dual_mov_b32 v26, v16
	s_delay_alu instid0(VALU_DEP_4) | instskip(SKIP_1) | instid1(VALU_DEP_2)
	v_dual_mov_b32 v9, v51 :: v_dual_lshlrev_b32 v12, 16, v12
	v_mov_b32_e32 v51, 1
	v_or_b32_e32 v12, v25, v12
.LBB1549_41:
	s_or_b32 exec_lo, exec_lo, s10
	v_dual_mov_b32 v16, v30 :: v_dual_and_b32 v25, v13, v49
	v_dual_mov_b32 v17, v31 :: v_dual_and_b32 v32, v34, v49
	s_delay_alu instid0(VALU_DEP_1) | instskip(SKIP_1) | instid1(VALU_DEP_2)
	v_cmp_gt_u16_e64 s7, v25, v32
	v_mov_b32_e32 v25, v34
	s_and_saveexec_b32 s10, s7
; %bb.42:
	v_and_b32_e32 v13, 0xff, v13
	v_lshlrev_b16 v16, 8, v34
	v_mov_b32_e32 v25, 1
	s_delay_alu instid0(VALU_DEP_2) | instskip(SKIP_2) | instid1(VALU_DEP_3)
	v_or_b32_e32 v13, v13, v16
	v_dual_mov_b32 v17, v5 :: v_dual_mov_b32 v16, v4
	v_dual_mov_b32 v4, v30 :: v_dual_mov_b32 v5, v31
	v_and_b32_e32 v13, 0xffff, v13
	s_delay_alu instid0(VALU_DEP_1)
	v_and_or_b32 v11, 0xffff0000, v11, v13
	v_mov_b32_e32 v13, v34
; %bb.43:
	s_or_b32 exec_lo, exec_lo, s10
	v_and_b32_e32 v30, v20, v49
	v_and_b32_e32 v31, v52, v49
	s_delay_alu instid0(VALU_DEP_1) | instskip(SKIP_1) | instid1(VALU_DEP_2)
	v_cmp_gt_u16_e64 s7, v30, v31
	v_dual_mov_b32 v31, v24 :: v_dual_mov_b32 v30, v23
	s_and_saveexec_b32 s10, s7
; %bb.44:
	v_and_b32_e32 v20, 0xff, v20
	v_lshlrev_b16 v30, 8, v52
	s_delay_alu instid0(VALU_DEP_1) | instskip(SKIP_2) | instid1(VALU_DEP_3)
	v_or_b32_e32 v20, v20, v30
	v_dual_mov_b32 v31, v19 :: v_dual_mov_b32 v30, v18
	v_dual_mov_b32 v18, v23 :: v_dual_mov_b32 v19, v24
	v_lshlrev_b32_e32 v32, 16, v20
	v_mov_b32_e32 v20, v52
	v_mov_b32_e32 v52, 1
	s_delay_alu instid0(VALU_DEP_3)
	v_and_or_b32 v11, 0xffff, v11, v32
; %bb.45:
	s_or_b32 exec_lo, exec_lo, s10
	v_and_b32_e32 v23, v51, v49
	v_and_b32_e32 v24, v10, v49
	s_delay_alu instid0(VALU_DEP_1) | instskip(SKIP_1) | instid1(VALU_DEP_2)
	v_cmp_gt_u16_e64 s7, v23, v24
	v_dual_mov_b32 v23, v28 :: v_dual_mov_b32 v24, v29
	s_and_saveexec_b32 s10, s7
; %bb.46:
	v_and_b32_e32 v23, 0xff, v51
	v_lshlrev_b16 v24, 8, v10
	v_dual_mov_b32 v51, v10 :: v_dual_mov_b32 v10, 1
	s_delay_alu instid0(VALU_DEP_2) | instskip(NEXT) | instid1(VALU_DEP_1)
	v_or_b32_e32 v23, v23, v24
	v_and_b32_e32 v32, 0xffff, v23
	v_dual_mov_b32 v24, v22 :: v_dual_mov_b32 v23, v21
	v_dual_mov_b32 v21, v28 :: v_dual_mov_b32 v22, v29
	s_delay_alu instid0(VALU_DEP_3)
	v_and_or_b32 v12, 0xffff0000, v12, v32
; %bb.47:
	s_or_b32 exec_lo, exec_lo, s10
	v_and_b32_e32 v28, v53, v49
	v_and_b32_e32 v29, v9, v49
	s_delay_alu instid0(VALU_DEP_1) | instskip(SKIP_1) | instid1(VALU_DEP_2)
	v_cmp_gt_u16_e64 s7, v28, v29
	v_dual_mov_b32 v29, v27 :: v_dual_mov_b32 v28, v26
	s_and_saveexec_b32 s10, s7
; %bb.48:
	v_and_b32_e32 v28, 0xff, v53
	v_lshlrev_b16 v29, 8, v9
	v_mov_b32_e32 v53, v9
	v_mov_b32_e32 v9, 1
	s_delay_alu instid0(VALU_DEP_3) | instskip(NEXT) | instid1(VALU_DEP_1)
	v_or_b32_e32 v28, v28, v29
	v_dual_mov_b32 v29, v15 :: v_dual_lshlrev_b32 v32, 16, v28
	v_mov_b32_e32 v28, v14
	v_dual_mov_b32 v14, v26 :: v_dual_mov_b32 v15, v27
	s_delay_alu instid0(VALU_DEP_3)
	v_and_or_b32 v12, 0xffff, v12, v32
; %bb.49:
	s_or_b32 exec_lo, exec_lo, s10
	v_and_b32_e32 v26, v52, v49
	v_and_b32_e32 v27, v13, v49
	s_delay_alu instid0(VALU_DEP_1) | instskip(SKIP_1) | instid1(VALU_DEP_2)
	v_cmp_gt_u16_e64 s7, v26, v27
	v_dual_mov_b32 v27, v19 :: v_dual_mov_b32 v26, v18
	s_and_saveexec_b32 s10, s7
	s_cbranch_execz .LBB1549_51
; %bb.50:
	v_lshrrev_b32_e32 v26, 16, v11
	v_and_b32_e32 v27, 0xff, v13
	v_and_b32_e32 v11, 0xff, v11
	v_lshlrev_b16 v32, 8, v52
	v_mov_b32_e32 v52, v13
	v_dual_mov_b32 v13, 1 :: v_dual_and_b32 v26, 0xffffff00, v26
	s_delay_alu instid0(VALU_DEP_3) | instskip(NEXT) | instid1(VALU_DEP_2)
	v_or_b32_e32 v11, v11, v32
	v_or_b32_e32 v26, v27, v26
	s_delay_alu instid0(VALU_DEP_2) | instskip(NEXT) | instid1(VALU_DEP_2)
	v_and_b32_e32 v11, 0xffff, v11
	v_dual_mov_b32 v27, v17 :: v_dual_lshlrev_b32 v32, 16, v26
	v_mov_b32_e32 v26, v16
	v_dual_mov_b32 v16, v18 :: v_dual_mov_b32 v17, v19
	s_delay_alu instid0(VALU_DEP_3)
	v_or_b32_e32 v11, v11, v32
.LBB1549_51:
	s_or_b32 exec_lo, exec_lo, s10
	v_dual_mov_b32 v33, v31 :: v_dual_and_b32 v18, v10, v49
	v_dual_mov_b32 v32, v30 :: v_dual_and_b32 v19, v20, v49
	s_mov_b32 s10, exec_lo
	s_delay_alu instid0(VALU_DEP_1)
	v_cmpx_gt_u16_e64 v18, v19
; %bb.52:
	v_lshrrev_b32_e32 v18, 16, v11
	v_lshlrev_b16 v10, 8, v10
	v_perm_b32 v12, v20, v12, 0x3020104
	v_dual_mov_b32 v33, v24 :: v_dual_mov_b32 v32, v23
	s_delay_alu instid0(VALU_DEP_4) | instskip(SKIP_1) | instid1(VALU_DEP_2)
	v_dual_mov_b32 v23, v30 :: v_dual_and_b32 v18, 0xff, v18
	v_mov_b32_e32 v24, v31
	v_or_b32_e32 v10, v18, v10
	s_delay_alu instid0(VALU_DEP_1) | instskip(SKIP_2) | instid1(VALU_DEP_3)
	v_lshlrev_b32_e32 v18, 16, v10
	v_mov_b32_e32 v10, v20
	v_mov_b32_e32 v20, 1
	v_and_or_b32 v11, 0xffff, v11, v18
; %bb.53:
	s_or_b32 exec_lo, exec_lo, s10
	v_dual_mov_b32 v31, v22 :: v_dual_and_b32 v18, v9, v49
	v_dual_mov_b32 v30, v21 :: v_dual_and_b32 v19, v51, v49
	s_mov_b32 s10, exec_lo
	s_delay_alu instid0(VALU_DEP_1)
	v_cmpx_gt_u16_e64 v18, v19
	s_cbranch_execz .LBB1549_55
; %bb.54:
	v_lshrrev_b32_e32 v18, 16, v12
	v_and_b32_e32 v19, 0xff, v51
	v_dual_mov_b32 v31, v29 :: v_dual_and_b32 v12, 0xff, v12
	v_lshlrev_b16 v9, 8, v9
	s_delay_alu instid0(VALU_DEP_4) | instskip(SKIP_2) | instid1(VALU_DEP_4)
	v_and_b32_e32 v18, 0xffffff00, v18
	v_dual_mov_b32 v30, v28 :: v_dual_mov_b32 v29, v22
	v_mov_b32_e32 v28, v21
	v_or_b32_e32 v9, v12, v9
	s_delay_alu instid0(VALU_DEP_4) | instskip(NEXT) | instid1(VALU_DEP_2)
	v_or_b32_e32 v12, v19, v18
	v_dual_mov_b32 v9, v51 :: v_dual_and_b32 v18, 0xffff, v9
	s_delay_alu instid0(VALU_DEP_2) | instskip(NEXT) | instid1(VALU_DEP_1)
	v_dual_mov_b32 v51, 1 :: v_dual_lshlrev_b32 v12, 16, v12
	v_or_b32_e32 v12, v18, v12
.LBB1549_55:
	s_or_b32 exec_lo, exec_lo, s10
	v_mov_b32_e32 v19, v17
	v_dual_mov_b32 v18, v16 :: v_dual_and_b32 v21, v13, v49
	v_and_b32_e32 v22, v25, v49
	v_mov_b32_e32 v36, v25
	s_mov_b32 s10, exec_lo
	s_delay_alu instid0(VALU_DEP_2)
	v_cmpx_gt_u16_e64 v21, v22
; %bb.56:
	v_dual_mov_b32 v36, 1 :: v_dual_and_b32 v13, 0xff, v13
	v_lshlrev_b16 v18, 8, v25
	s_delay_alu instid0(VALU_DEP_1) | instskip(SKIP_2) | instid1(VALU_DEP_3)
	v_or_b32_e32 v13, v13, v18
	v_dual_mov_b32 v19, v5 :: v_dual_mov_b32 v18, v4
	v_dual_mov_b32 v4, v16 :: v_dual_mov_b32 v5, v17
	v_and_b32_e32 v13, 0xffff, v13
	s_delay_alu instid0(VALU_DEP_1)
	v_and_or_b32 v11, 0xffff0000, v11, v13
	v_mov_b32_e32 v13, v25
; %bb.57:
	s_or_b32 exec_lo, exec_lo, s10
	v_and_b32_e32 v16, v20, v49
	v_and_b32_e32 v17, v52, v49
	s_delay_alu instid0(VALU_DEP_1) | instskip(SKIP_1) | instid1(VALU_DEP_2)
	v_cmp_gt_u16_e64 s7, v16, v17
	v_dual_mov_b32 v16, v32 :: v_dual_mov_b32 v17, v33
	s_and_saveexec_b32 s10, s7
; %bb.58:
	v_and_b32_e32 v16, 0xff, v20
	v_lshlrev_b16 v17, 8, v52
	v_mov_b32_e32 v20, v52
	v_mov_b32_e32 v52, 1
	s_delay_alu instid0(VALU_DEP_3) | instskip(NEXT) | instid1(VALU_DEP_1)
	v_or_b32_e32 v16, v16, v17
	v_dual_mov_b32 v16, v26 :: v_dual_lshlrev_b32 v21, 16, v16
	v_dual_mov_b32 v17, v27 :: v_dual_mov_b32 v26, v32
	v_mov_b32_e32 v27, v33
	s_delay_alu instid0(VALU_DEP_3)
	v_and_or_b32 v11, 0xffff, v11, v21
; %bb.59:
	s_or_b32 exec_lo, exec_lo, s10
	v_and_b32_e32 v21, v51, v49
	v_and_b32_e32 v22, v10, v49
	s_delay_alu instid0(VALU_DEP_1) | instskip(SKIP_1) | instid1(VALU_DEP_2)
	v_cmp_gt_u16_e64 s7, v21, v22
	v_dual_mov_b32 v21, v23 :: v_dual_mov_b32 v22, v24
	s_and_saveexec_b32 s10, s7
; %bb.60:
	v_and_b32_e32 v21, 0xff, v51
	v_lshlrev_b16 v22, 8, v10
	v_dual_mov_b32 v51, v10 :: v_dual_mov_b32 v10, 1
	s_delay_alu instid0(VALU_DEP_2) | instskip(NEXT) | instid1(VALU_DEP_1)
	v_or_b32_e32 v21, v21, v22
	v_and_b32_e32 v25, 0xffff, v21
	v_dual_mov_b32 v21, v30 :: v_dual_mov_b32 v22, v31
	v_dual_mov_b32 v31, v24 :: v_dual_mov_b32 v30, v23
	s_delay_alu instid0(VALU_DEP_3)
	v_and_or_b32 v12, 0xffff0000, v12, v25
; %bb.61:
	s_or_b32 exec_lo, exec_lo, s10
	v_mov_b32_e32 v33, v29
	v_dual_mov_b32 v32, v28 :: v_dual_and_b32 v23, v53, v49
	v_and_b32_e32 v24, v9, v49
	s_mov_b32 s10, exec_lo
	s_delay_alu instid0(VALU_DEP_1)
	v_cmpx_gt_u16_e64 v23, v24
; %bb.62:
	v_and_b32_e32 v23, 0xff, v53
	v_lshlrev_b16 v24, 8, v9
	v_dual_mov_b32 v33, v15 :: v_dual_mov_b32 v32, v14
	v_mov_b32_e32 v53, v9
	v_mov_b32_e32 v9, 1
	s_delay_alu instid0(VALU_DEP_4) | instskip(SKIP_1) | instid1(VALU_DEP_2)
	v_or_b32_e32 v23, v23, v24
	v_dual_mov_b32 v14, v28 :: v_dual_mov_b32 v15, v29
	v_lshlrev_b32_e32 v23, 16, v23
	s_delay_alu instid0(VALU_DEP_1)
	v_and_or_b32 v12, 0xffff, v12, v23
; %bb.63:
	s_or_b32 exec_lo, exec_lo, s10
	v_and_b32_e32 v23, v52, v49
	v_and_b32_e32 v24, v13, v49
	s_delay_alu instid0(VALU_DEP_1) | instskip(SKIP_1) | instid1(VALU_DEP_2)
	v_cmp_gt_u16_e64 s7, v23, v24
	v_dual_mov_b32 v24, v26 :: v_dual_mov_b32 v25, v27
	s_and_saveexec_b32 s10, s7
	s_cbranch_execz .LBB1549_65
; %bb.64:
	v_lshrrev_b32_e32 v23, 16, v11
	v_and_b32_e32 v24, 0xff, v13
	v_and_b32_e32 v11, 0xff, v11
	v_lshlrev_b16 v25, 8, v52
	s_delay_alu instid0(VALU_DEP_4) | instskip(SKIP_1) | instid1(VALU_DEP_3)
	v_dual_mov_b32 v52, v13 :: v_dual_and_b32 v23, 0xffffff00, v23
	v_mov_b32_e32 v13, 1
	v_or_b32_e32 v11, v11, v25
	s_delay_alu instid0(VALU_DEP_3) | instskip(SKIP_1) | instid1(VALU_DEP_3)
	v_or_b32_e32 v23, v24, v23
	v_dual_mov_b32 v25, v19 :: v_dual_mov_b32 v24, v18
	v_dual_mov_b32 v18, v26 :: v_dual_and_b32 v11, 0xffff, v11
	s_delay_alu instid0(VALU_DEP_3) | instskip(SKIP_1) | instid1(VALU_DEP_2)
	v_lshlrev_b32_e32 v23, 16, v23
	v_mov_b32_e32 v19, v27
	v_or_b32_e32 v11, v11, v23
.LBB1549_65:
	s_or_b32 exec_lo, exec_lo, s10
	v_dual_mov_b32 v35, v17 :: v_dual_and_b32 v26, v20, v49
	v_dual_mov_b32 v34, v16 :: v_dual_and_b32 v23, v10, v49
	s_mov_b32 s10, exec_lo
	s_delay_alu instid0(VALU_DEP_1)
	v_cmpx_gt_u16_e64 v23, v26
; %bb.66:
	v_lshrrev_b32_e32 v23, 16, v11
	v_lshlrev_b16 v10, 8, v10
	v_mov_b32_e32 v35, v22
	v_perm_b32 v12, v20, v12, 0x3020104
	s_delay_alu instid0(VALU_DEP_4) | instskip(SKIP_1) | instid1(VALU_DEP_2)
	v_dual_mov_b32 v34, v21 :: v_dual_and_b32 v23, 0xff, v23
	v_dual_mov_b32 v22, v17 :: v_dual_mov_b32 v21, v16
	v_or_b32_e32 v10, v23, v10
	s_delay_alu instid0(VALU_DEP_1) | instskip(SKIP_1) | instid1(VALU_DEP_2)
	v_dual_mov_b32 v10, v20 :: v_dual_lshlrev_b32 v23, 16, v10
	v_mov_b32_e32 v20, 1
	v_and_or_b32 v11, 0xffff, v11, v23
; %bb.67:
	s_or_b32 exec_lo, exec_lo, s10
	v_and_b32_e32 v16, v9, v49
	v_and_b32_e32 v17, v51, v49
	s_delay_alu instid0(VALU_DEP_1) | instskip(SKIP_1) | instid1(VALU_DEP_2)
	v_cmp_gt_u16_e64 s7, v16, v17
	v_dual_mov_b32 v16, v30 :: v_dual_mov_b32 v17, v31
	s_and_saveexec_b32 s10, s7
	s_cbranch_execz .LBB1549_69
; %bb.68:
	v_lshrrev_b32_e32 v16, 16, v12
	v_and_b32_e32 v17, 0xff, v51
	v_and_b32_e32 v12, 0xff, v12
	v_lshlrev_b16 v9, 8, v9
	s_delay_alu instid0(VALU_DEP_4) | instskip(NEXT) | instid1(VALU_DEP_2)
	v_and_b32_e32 v16, 0xffffff00, v16
	v_or_b32_e32 v9, v12, v9
	s_delay_alu instid0(VALU_DEP_2) | instskip(SKIP_2) | instid1(VALU_DEP_4)
	v_or_b32_e32 v12, v17, v16
	v_dual_mov_b32 v16, v32 :: v_dual_mov_b32 v17, v33
	v_mov_b32_e32 v33, v31
	v_and_b32_e32 v23, 0xffff, v9
	s_delay_alu instid0(VALU_DEP_4) | instskip(SKIP_1) | instid1(VALU_DEP_2)
	v_dual_mov_b32 v9, v51 :: v_dual_lshlrev_b32 v12, 16, v12
	v_dual_mov_b32 v32, v30 :: v_dual_mov_b32 v51, 1
	v_or_b32_e32 v12, v23, v12
.LBB1549_69:
	s_or_b32 exec_lo, exec_lo, s10
	v_and_b32_e32 v23, v13, v49
	v_dual_mov_b32 v27, v19 :: v_dual_and_b32 v28, v36, v49
	v_mov_b32_e32 v26, v18
	s_delay_alu instid0(VALU_DEP_2) | instskip(SKIP_1) | instid1(VALU_DEP_2)
	v_cmp_gt_u16_e64 s7, v23, v28
	v_mov_b32_e32 v28, v36
	s_and_saveexec_b32 s10, s7
; %bb.70:
	v_dual_mov_b32 v28, 1 :: v_dual_and_b32 v13, 0xff, v13
	v_lshlrev_b16 v23, 8, v36
	v_dual_mov_b32 v27, v5 :: v_dual_mov_b32 v26, v4
	v_dual_mov_b32 v4, v18 :: v_dual_mov_b32 v5, v19
	s_delay_alu instid0(VALU_DEP_3) | instskip(NEXT) | instid1(VALU_DEP_1)
	v_or_b32_e32 v13, v13, v23
	v_and_b32_e32 v13, 0xffff, v13
	s_delay_alu instid0(VALU_DEP_1)
	v_and_or_b32 v11, 0xffff0000, v11, v13
	v_mov_b32_e32 v13, v36
; %bb.71:
	s_or_b32 exec_lo, exec_lo, s10
	v_dual_mov_b32 v29, v34 :: v_dual_and_b32 v18, v20, v49
	v_dual_mov_b32 v30, v35 :: v_dual_and_b32 v19, v52, v49
	s_mov_b32 s10, exec_lo
	s_delay_alu instid0(VALU_DEP_1)
	v_cmpx_gt_u16_e64 v18, v19
; %bb.72:
	v_and_b32_e32 v18, 0xff, v20
	v_lshlrev_b16 v19, 8, v52
	v_dual_mov_b32 v30, v25 :: v_dual_mov_b32 v29, v24
	v_mov_b32_e32 v24, v34
	v_mov_b32_e32 v20, v52
	s_delay_alu instid0(VALU_DEP_4) | instskip(SKIP_1) | instid1(VALU_DEP_2)
	v_or_b32_e32 v18, v18, v19
	v_dual_mov_b32 v52, 1 :: v_dual_mov_b32 v25, v35
	v_lshlrev_b32_e32 v18, 16, v18
	s_delay_alu instid0(VALU_DEP_1)
	v_and_or_b32 v11, 0xffff, v11, v18
; %bb.73:
	s_or_b32 exec_lo, exec_lo, s10
	v_dual_mov_b32 v35, v22 :: v_dual_and_b32 v18, v51, v49
	v_dual_mov_b32 v34, v21 :: v_dual_and_b32 v19, v10, v49
	s_mov_b32 s10, exec_lo
	s_delay_alu instid0(VALU_DEP_1)
	v_cmpx_gt_u16_e64 v18, v19
; %bb.74:
	v_dual_mov_b32 v35, v17 :: v_dual_and_b32 v18, 0xff, v51
	v_lshlrev_b16 v19, 8, v10
	v_dual_mov_b32 v34, v16 :: v_dual_mov_b32 v51, v10
	v_mov_b32_e32 v16, v21
	v_mov_b32_e32 v10, 1
	s_delay_alu instid0(VALU_DEP_4) | instskip(NEXT) | instid1(VALU_DEP_1)
	v_or_b32_e32 v18, v18, v19
	v_dual_mov_b32 v17, v22 :: v_dual_and_b32 v18, 0xffff, v18
	s_delay_alu instid0(VALU_DEP_1)
	v_and_or_b32 v12, 0xffff0000, v12, v18
; %bb.75:
	s_or_b32 exec_lo, exec_lo, s10
	v_mov_b32_e32 v37, v33
	v_and_b32_e32 v18, v53, v49
	v_dual_mov_b32 v36, v32 :: v_dual_and_b32 v19, v9, v49
	s_mov_b32 s10, exec_lo
	s_delay_alu instid0(VALU_DEP_1)
	v_cmpx_gt_u16_e64 v18, v19
; %bb.76:
	v_and_b32_e32 v18, 0xff, v53
	v_lshlrev_b16 v9, 8, v9
	v_dual_mov_b32 v37, v15 :: v_dual_mov_b32 v36, v14
	v_dual_mov_b32 v14, v32 :: v_dual_mov_b32 v15, v33
	s_delay_alu instid0(VALU_DEP_3) | instskip(NEXT) | instid1(VALU_DEP_1)
	v_or_b32_e32 v9, v18, v9
	v_dual_mov_b32 v9, 1 :: v_dual_lshlrev_b32 v18, 16, v9
	s_delay_alu instid0(VALU_DEP_1)
	v_and_or_b32 v12, 0xffff, v12, v18
; %bb.77:
	s_or_b32 exec_lo, exec_lo, s10
	v_lshrrev_b32_e32 v18, 16, v11
	v_and_b32_e32 v19, 0xff, v13
	v_and_b32_e32 v21, 0xff, v11
	v_lshlrev_b16 v22, 8, v52
	v_and_b32_e32 v13, v13, v49
	v_and_b32_e32 v18, 0xffffff00, v18
	v_perm_b32 v31, v20, v12, 0x3020104
	s_delay_alu instid0(VALU_DEP_4) | instskip(NEXT) | instid1(VALU_DEP_3)
	v_or_b32_e32 v21, v21, v22
	v_or_b32_e32 v18, v19, v18
	v_and_b32_e32 v19, v52, v49
	s_delay_alu instid0(VALU_DEP_3) | instskip(NEXT) | instid1(VALU_DEP_3)
	v_and_b32_e32 v21, 0xffff, v21
	v_lshlrev_b32_e32 v18, 16, v18
	s_delay_alu instid0(VALU_DEP_3) | instskip(SKIP_1) | instid1(VALU_DEP_3)
	v_cmp_gt_u16_e64 s7, v19, v13
	v_and_b32_e32 v19, v20, v49
	v_or_b32_e32 v18, v21, v18
	v_and_b32_e32 v21, v9, v49
	s_delay_alu instid0(VALU_DEP_4)
	v_cndmask_b32_e64 v23, v25, v27, s7
	v_cndmask_b32_e64 v22, v24, v26, s7
	;; [unrolled: 1-line block ×4, first 2 shown]
	v_lshlrev_b16 v18, 8, v10
	v_and_b32_e32 v10, v10, v49
	s_delay_alu instid0(VALU_DEP_3) | instskip(NEXT) | instid1(VALU_DEP_2)
	v_lshrrev_b32_e32 v13, 16, v11
	v_cmp_gt_u16_e64 s10, v10, v19
	s_delay_alu instid0(VALU_DEP_2) | instskip(NEXT) | instid1(VALU_DEP_2)
	v_and_b32_e32 v13, 0xff, v13
	v_cndmask_b32_e64 v19, v30, v35, s10
	v_cndmask_b32_e64 v26, v34, v29, s10
	s_delay_alu instid0(VALU_DEP_3) | instskip(SKIP_1) | instid1(VALU_DEP_2)
	v_or_b32_e32 v13, v13, v18
	v_and_b32_e32 v18, v51, v49
	v_lshlrev_b32_e32 v10, 16, v13
	s_delay_alu instid0(VALU_DEP_2) | instskip(SKIP_2) | instid1(VALU_DEP_4)
	v_cmp_gt_u16_e64 s11, v21, v18
	v_cndmask_b32_e64 v21, v27, v25, s7
	v_dual_mov_b32 v24, v36 :: v_dual_mov_b32 v25, v37
	v_and_or_b32 v10, 0xffff, v11, v10
	v_cndmask_b32_e64 v18, v29, v34, s10
	v_cndmask_b32_e64 v27, v35, v30, s10
	;; [unrolled: 1-line block ×3, first 2 shown]
	s_delay_alu instid0(VALU_DEP_4)
	v_cndmask_b32_e64 v12, v11, v10, s10
	s_and_saveexec_b32 s7, s11
	s_cbranch_execz .LBB1549_79
; %bb.78:
	s_delay_alu instid0(VALU_DEP_2) | instskip(SKIP_3) | instid1(VALU_DEP_4)
	v_lshrrev_b32_e32 v10, 16, v13
	v_and_b32_e32 v11, 0xff, v51
	v_and_b32_e32 v13, 0xff, v13
	v_lshlrev_b16 v9, 8, v9
	v_dual_mov_b32 v25, v17 :: v_dual_and_b32 v10, 0xffffff00, v10
	v_mov_b32_e32 v24, v16
	v_mov_b32_e32 v16, v36
	s_delay_alu instid0(VALU_DEP_4) | instskip(SKIP_2) | instid1(VALU_DEP_3)
	v_or_b32_e32 v9, v13, v9
	v_mov_b32_e32 v17, v37
	v_or_b32_e32 v10, v11, v10
	v_and_b32_e32 v9, 0xffff, v9
	s_delay_alu instid0(VALU_DEP_2) | instskip(NEXT) | instid1(VALU_DEP_1)
	v_lshlrev_b32_e32 v10, 16, v10
	v_or_b32_e32 v13, v9, v10
.LBB1549_79:
	s_or_b32 exec_lo, exec_lo, s7
.LBB1549_80:
	s_delay_alu instid0(SALU_CYCLE_1) | instskip(SKIP_1) | instid1(VALU_DEP_2)
	s_or_b32 exec_lo, exec_lo, s14
	v_and_b32_e32 v11, 0xffffff00, v50
	v_lshrrev_b64 v[9:10], 24, v[12:13]
	v_or_b32_e32 v10, 8, v48
	v_lshrrev_b32_e32 v31, 8, v12
	v_lshrrev_b32_e32 v32, 16, v12
	v_sub_nc_u32_e64 v29, 0x800, v11 clamp
	v_and_b32_e32 v30, 8, v48
	v_dual_mov_b32 v35, v13 :: v_dual_and_b32 v28, 0xff, v28
	v_lshlrev_b16 v33, 8, v31
	s_delay_alu instid0(VALU_DEP_4)
	v_min_u32_e32 v37, v29, v10
	v_and_b32_e32 v34, 0xff, v32
	v_lshlrev_b16 v53, 8, v9
	v_and_b32_e32 v36, 0xf0, v48
	v_lshlrev_b32_e32 v10, 3, v11
	v_add_nc_u32_e32 v52, 8, v37
	v_min_u32_e32 v50, v29, v30
	v_or_b32_e32 v33, v28, v33
	v_or_b32_e32 v34, v34, v53
	v_lshl_or_b32 v54, v48, 3, v10
	v_min_u32_e32 v30, v29, v52
	v_sub_nc_u32_e32 v52, v37, v36
	v_and_b32_e32 v64, 0xffff, v33
	v_lshlrev_b32_e32 v34, 16, v34
	v_add_nc_u32_e32 v28, 0x800, v54
	v_sub_nc_u32_e32 v55, v30, v37
	v_add_nc_u32_e32 v53, 0x810, v54
	v_min_u32_e32 v33, v50, v52
	v_add_nc_u32_e32 v65, 0x820, v54
	v_or_b32_e32 v51, v11, v48
	v_sub_nc_u32_e64 v52, v50, v55 clamp
	v_or_b32_e32 v34, v64, v34
	s_mov_b32 s10, exec_lo
	v_add_nc_u32_e32 v54, 0x830, v54
	ds_store_2addr_b64 v53, v[22:23], v[18:19] offset1:1
	ds_store_2addr_b64 v65, v[26:27], v[16:17] offset1:1
	ds_store_2addr_b64 v28, v[4:5], v[20:21] offset1:1
	ds_store_b64 v51, v[34:35]
	ds_store_2addr_b64 v54, v[24:25], v[14:15] offset1:1
	; wave barrier
	v_cmpx_lt_u32_e64 v52, v33
	s_cbranch_execz .LBB1549_84
; %bb.81:
	v_add_nc_u32_e32 v34, v11, v36
	v_add3_u32 v35, v11, v37, v50
	s_mov_b32 s11, 0
	.p2align	6
.LBB1549_82:                            ; =>This Inner Loop Header: Depth=1
	v_add_nc_u32_e32 v51, v33, v52
	s_delay_alu instid0(VALU_DEP_1) | instskip(NEXT) | instid1(VALU_DEP_1)
	v_lshrrev_b32_e32 v51, 1, v51
	v_xad_u32 v53, v51, -1, v35
	v_add_nc_u32_e32 v54, v34, v51
	v_add_nc_u32_e32 v55, 1, v51
	ds_load_u8 v53, v53
	ds_load_u8 v54, v54
	s_waitcnt lgkmcnt(1)
	v_and_b32_e32 v53, v53, v49
	s_waitcnt lgkmcnt(0)
	v_and_b32_e32 v54, v54, v49
	s_delay_alu instid0(VALU_DEP_1) | instskip(NEXT) | instid1(VALU_DEP_1)
	v_cmp_gt_u16_e64 s7, v53, v54
	v_cndmask_b32_e64 v33, v33, v51, s7
	v_cndmask_b32_e64 v52, v55, v52, s7
	s_delay_alu instid0(VALU_DEP_1) | instskip(NEXT) | instid1(VALU_DEP_1)
	v_cmp_ge_u32_e64 s7, v52, v33
	s_or_b32 s11, s7, s11
	s_delay_alu instid0(SALU_CYCLE_1)
	s_and_not1_b32 exec_lo, exec_lo, s11
	s_cbranch_execnz .LBB1549_82
; %bb.83:
	s_or_b32 exec_lo, exec_lo, s11
.LBB1549_84:
	s_delay_alu instid0(SALU_CYCLE_1) | instskip(SKIP_4) | instid1(VALU_DEP_4)
	s_or_b32 exec_lo, exec_lo, s10
	v_add_nc_u32_e32 v50, v37, v50
	v_dual_mov_b32 v36, v13 :: v_dual_add_nc_u32 v51, v52, v36
	v_lshrrev_b32_e32 v33, 8, v13
	v_lshrrev_b32_e32 v34, 16, v13
	v_sub_nc_u32_e32 v50, v50, v52
	s_delay_alu instid0(VALU_DEP_4) | instskip(SKIP_1) | instid1(VALU_DEP_3)
	v_cmp_le_u32_e64 s7, v51, v37
	v_lshrrev_b32_e32 v35, 24, v13
	v_cmp_le_u32_e64 s10, v50, v30
	s_delay_alu instid0(VALU_DEP_1) | instskip(NEXT) | instid1(SALU_CYCLE_1)
	s_or_b32 s7, s7, s10
	s_and_saveexec_b32 s21, s7
	s_cbranch_execz .LBB1549_90
; %bb.85:
	v_cmp_lt_u32_e64 s7, v51, v37
                                        ; implicit-def: $vgpr9
	s_delay_alu instid0(VALU_DEP_1)
	s_and_saveexec_b32 s10, s7
	s_cbranch_execz .LBB1549_87
; %bb.86:
	v_add_nc_u32_e32 v4, v11, v51
	ds_load_u8 v9, v4
.LBB1549_87:
	s_or_b32 exec_lo, exec_lo, s10
	v_cmp_ge_u32_e64 s10, v50, v30
	s_mov_b32 s14, exec_lo
                                        ; implicit-def: $vgpr12
	v_cmpx_lt_u32_e64 v50, v30
	s_cbranch_execz .LBB1549_89
; %bb.88:
	v_add_nc_u32_e32 v4, v11, v50
	ds_load_u8 v12, v4
.LBB1549_89:
	s_or_b32 exec_lo, exec_lo, s14
	s_waitcnt lgkmcnt(0)
	v_and_b32_e32 v4, v12, v49
	v_and_b32_e32 v5, v9, v49
	s_delay_alu instid0(VALU_DEP_1) | instskip(NEXT) | instid1(VALU_DEP_1)
	v_cmp_le_u16_e64 s11, v4, v5
	s_and_b32 s7, s7, s11
	s_delay_alu instid0(SALU_CYCLE_1) | instskip(NEXT) | instid1(SALU_CYCLE_1)
	s_or_b32 s7, s10, s7
	v_cndmask_b32_e64 v4, v50, v51, s7
	v_cndmask_b32_e64 v5, v30, v37, s7
	s_delay_alu instid0(VALU_DEP_2) | instskip(NEXT) | instid1(VALU_DEP_2)
	v_add_nc_u32_e32 v13, 1, v4
	v_add_nc_u32_e32 v5, -1, v5
	v_lshl_add_u32 v4, v4, 3, v10
	s_delay_alu instid0(VALU_DEP_2) | instskip(NEXT) | instid1(VALU_DEP_1)
	v_min_u32_e32 v5, v13, v5
	v_add_nc_u32_e32 v5, v11, v5
	ds_load_u8 v5, v5
	s_waitcnt lgkmcnt(0)
	v_cndmask_b32_e64 v14, v5, v12, s7
	v_cndmask_b32_e64 v15, v9, v5, s7
	;; [unrolled: 1-line block ×5, first 2 shown]
	v_and_b32_e32 v16, v14, v49
	v_and_b32_e32 v17, v15, v49
	v_cmp_lt_u32_e64 s10, v5, v37
	v_cmp_ge_u32_e64 s14, v13, v30
	v_and_b32_e32 v12, 0xff, v12
	s_delay_alu instid0(VALU_DEP_4) | instskip(NEXT) | instid1(VALU_DEP_1)
	v_cmp_le_u16_e64 s11, v16, v17
	s_and_b32 s10, s11, s10
	s_delay_alu instid0(VALU_DEP_3) | instid1(SALU_CYCLE_1)
	s_or_b32 s10, s14, s10
	s_delay_alu instid0(SALU_CYCLE_1) | instskip(SKIP_1) | instid1(VALU_DEP_2)
	v_cndmask_b32_e64 v16, v13, v5, s10
	v_cndmask_b32_e64 v17, v30, v37, s10
	v_add_nc_u32_e32 v18, 1, v16
	s_delay_alu instid0(VALU_DEP_2) | instskip(SKIP_1) | instid1(VALU_DEP_3)
	v_add_nc_u32_e32 v17, -1, v17
	v_lshl_add_u32 v16, v16, 3, v10
	v_cndmask_b32_e64 v5, v5, v18, s10
	s_delay_alu instid0(VALU_DEP_3) | instskip(SKIP_1) | instid1(VALU_DEP_3)
	v_min_u32_e32 v17, v18, v17
	v_cndmask_b32_e64 v13, v18, v13, s10
	v_cmp_lt_u32_e64 s11, v5, v37
	s_delay_alu instid0(VALU_DEP_3) | instskip(NEXT) | instid1(VALU_DEP_3)
	v_add_nc_u32_e32 v17, v11, v17
	v_cmp_ge_u32_e64 s15, v13, v30
	ds_load_u8 v17, v17
	s_waitcnt lgkmcnt(0)
	v_cndmask_b32_e64 v32, v17, v14, s10
	v_cndmask_b32_e64 v33, v15, v17, s10
	s_delay_alu instid0(VALU_DEP_2) | instskip(NEXT) | instid1(VALU_DEP_2)
	v_and_b32_e32 v17, v32, v49
	v_and_b32_e32 v19, v33, v49
	s_delay_alu instid0(VALU_DEP_1) | instskip(NEXT) | instid1(VALU_DEP_1)
	v_cmp_le_u16_e64 s14, v17, v19
	s_and_b32 s11, s14, s11
	s_delay_alu instid0(SALU_CYCLE_1) | instskip(NEXT) | instid1(SALU_CYCLE_1)
	s_or_b32 s11, s15, s11
	v_cndmask_b32_e64 v17, v13, v5, s11
	v_cndmask_b32_e64 v18, v30, v37, s11
	s_delay_alu instid0(VALU_DEP_2) | instskip(NEXT) | instid1(VALU_DEP_2)
	v_add_nc_u32_e32 v19, 1, v17
	v_add_nc_u32_e32 v18, -1, v18
	s_delay_alu instid0(VALU_DEP_2) | instskip(NEXT) | instid1(VALU_DEP_2)
	v_cndmask_b32_e64 v5, v5, v19, s11
	v_min_u32_e32 v18, v19, v18
	v_cndmask_b32_e64 v13, v19, v13, s11
	s_delay_alu instid0(VALU_DEP_3) | instskip(NEXT) | instid1(VALU_DEP_3)
	v_cmp_lt_u32_e64 s14, v5, v37
	v_add_nc_u32_e32 v18, v11, v18
	s_delay_alu instid0(VALU_DEP_3)
	v_cmp_ge_u32_e64 s16, v13, v30
	ds_load_u8 v18, v18
	s_waitcnt lgkmcnt(0)
	v_cndmask_b32_e64 v34, v18, v32, s11
	v_cndmask_b32_e64 v35, v33, v18, s11
	;; [unrolled: 1-line block ×3, first 2 shown]
	s_delay_alu instid0(VALU_DEP_3) | instskip(NEXT) | instid1(VALU_DEP_3)
	v_and_b32_e32 v18, v34, v49
	v_and_b32_e32 v20, v35, v49
	s_delay_alu instid0(VALU_DEP_1) | instskip(NEXT) | instid1(VALU_DEP_1)
	v_cmp_le_u16_e64 s15, v18, v20
	s_and_b32 s14, s15, s14
	s_delay_alu instid0(SALU_CYCLE_1) | instskip(NEXT) | instid1(SALU_CYCLE_1)
	s_or_b32 s14, s16, s14
	v_cndmask_b32_e64 v18, v13, v5, s14
	v_cndmask_b32_e64 v19, v30, v37, s14
	;; [unrolled: 1-line block ×3, first 2 shown]
	s_delay_alu instid0(VALU_DEP_3) | instskip(NEXT) | instid1(VALU_DEP_3)
	v_add_nc_u32_e32 v20, 1, v18
	v_add_nc_u32_e32 v19, -1, v19
	s_delay_alu instid0(VALU_DEP_2) | instskip(NEXT) | instid1(VALU_DEP_2)
	v_cndmask_b32_e64 v5, v5, v20, s14
	v_min_u32_e32 v19, v20, v19
	v_cndmask_b32_e64 v13, v20, v13, s14
	s_delay_alu instid0(VALU_DEP_3) | instskip(NEXT) | instid1(VALU_DEP_3)
	v_cmp_lt_u32_e64 s15, v5, v37
	v_add_nc_u32_e32 v19, v11, v19
	s_delay_alu instid0(VALU_DEP_3) | instskip(SKIP_4) | instid1(VALU_DEP_2)
	v_cmp_ge_u32_e64 s17, v13, v30
	ds_load_u8 v19, v19
	s_waitcnt lgkmcnt(0)
	v_cndmask_b32_e64 v36, v19, v34, s14
	v_cndmask_b32_e64 v50, v35, v19, s14
	v_and_b32_e32 v19, v36, v49
	s_delay_alu instid0(VALU_DEP_2) | instskip(NEXT) | instid1(VALU_DEP_1)
	v_and_b32_e32 v21, v50, v49
	v_cmp_le_u16_e64 s16, v19, v21
	s_delay_alu instid0(VALU_DEP_1) | instskip(NEXT) | instid1(SALU_CYCLE_1)
	s_and_b32 s15, s16, s15
	s_or_b32 s15, s17, s15
	s_delay_alu instid0(SALU_CYCLE_1) | instskip(SKIP_1) | instid1(VALU_DEP_2)
	v_cndmask_b32_e64 v19, v13, v5, s15
	v_cndmask_b32_e64 v20, v30, v37, s15
	v_add_nc_u32_e32 v21, 1, v19
	s_delay_alu instid0(VALU_DEP_2) | instskip(SKIP_1) | instid1(VALU_DEP_3)
	v_add_nc_u32_e32 v20, -1, v20
	v_lshl_add_u32 v24, v19, 3, v10
	v_cndmask_b32_e64 v5, v5, v21, s15
	s_delay_alu instid0(VALU_DEP_3) | instskip(SKIP_1) | instid1(VALU_DEP_3)
	v_min_u32_e32 v20, v21, v20
	v_cndmask_b32_e64 v13, v21, v13, s15
	v_cmp_lt_u32_e64 s16, v5, v37
	s_delay_alu instid0(VALU_DEP_3) | instskip(NEXT) | instid1(VALU_DEP_3)
	v_add_nc_u32_e32 v20, v11, v20
	v_cmp_ge_u32_e64 s18, v13, v30
	ds_load_u8 v20, v20
	s_waitcnt lgkmcnt(0)
	v_cndmask_b32_e64 v51, v20, v36, s15
	v_cndmask_b32_e64 v52, v50, v20, s15
	;; [unrolled: 1-line block ×3, first 2 shown]
	s_delay_alu instid0(VALU_DEP_3) | instskip(NEXT) | instid1(VALU_DEP_3)
	v_and_b32_e32 v20, v51, v49
	v_and_b32_e32 v22, v52, v49
	s_delay_alu instid0(VALU_DEP_1) | instskip(NEXT) | instid1(VALU_DEP_1)
	v_cmp_le_u16_e64 s17, v20, v22
	s_and_b32 s16, s17, s16
	s_delay_alu instid0(SALU_CYCLE_1) | instskip(NEXT) | instid1(SALU_CYCLE_1)
	s_or_b32 s16, s18, s16
	v_cndmask_b32_e64 v22, v13, v5, s16
	v_cndmask_b32_e64 v20, v30, v37, s16
	;; [unrolled: 1-line block ×3, first 2 shown]
	s_delay_alu instid0(VALU_DEP_3) | instskip(NEXT) | instid1(VALU_DEP_3)
	v_add_nc_u32_e32 v21, 1, v22
	v_add_nc_u32_e32 v20, -1, v20
	v_lshl_add_u32 v25, v22, 3, v10
	s_delay_alu instid0(VALU_DEP_4) | instskip(NEXT) | instid1(VALU_DEP_4)
	v_lshlrev_b16 v50, 8, v33
	v_cndmask_b32_e64 v55, v5, v21, s16
	s_delay_alu instid0(VALU_DEP_4) | instskip(SKIP_1) | instid1(VALU_DEP_3)
	v_min_u32_e32 v20, v21, v20
	v_cndmask_b32_e64 v13, v21, v13, s16
	v_cmp_lt_u32_e64 s17, v55, v37
	s_delay_alu instid0(VALU_DEP_3) | instskip(NEXT) | instid1(VALU_DEP_3)
	v_add_nc_u32_e32 v20, v11, v20
	v_cmp_ge_u32_e64 s19, v13, v30
	ds_load_u8 v20, v20
	s_waitcnt lgkmcnt(0)
	v_cndmask_b32_e64 v53, v20, v51, s16
	v_cndmask_b32_e64 v54, v52, v20, s16
	s_delay_alu instid0(VALU_DEP_2) | instskip(NEXT) | instid1(VALU_DEP_2)
	v_and_b32_e32 v5, v53, v49
	v_and_b32_e32 v20, v54, v49
	s_delay_alu instid0(VALU_DEP_1) | instskip(NEXT) | instid1(VALU_DEP_1)
	v_cmp_le_u16_e64 s18, v5, v20
	s_and_b32 s17, s18, s17
	s_delay_alu instid0(SALU_CYCLE_1) | instskip(NEXT) | instid1(SALU_CYCLE_1)
	s_or_b32 s17, s19, s17
	v_cndmask_b32_e64 v23, v13, v55, s17
	v_cndmask_b32_e64 v5, v30, v37, s17
	v_cndmask_b32_e64 v34, v53, v54, s17
	s_delay_alu instid0(VALU_DEP_3) | instskip(NEXT) | instid1(VALU_DEP_3)
	v_add_nc_u32_e32 v64, 1, v23
	v_add_nc_u32_e32 v5, -1, v5
	v_lshl_add_u32 v65, v23, 3, v10
	s_delay_alu instid0(VALU_DEP_4) | instskip(NEXT) | instid1(VALU_DEP_4)
	v_and_b32_e32 v51, 0xff, v34
	v_cndmask_b32_e64 v13, v64, v13, s17
	s_delay_alu instid0(VALU_DEP_4) | instskip(NEXT) | instid1(VALU_DEP_2)
	v_min_u32_e32 v5, v64, v5
	v_cmp_ge_u32_e64 s11, v13, v30
	s_delay_alu instid0(VALU_DEP_2)
	v_add_nc_u32_e32 v5, v11, v5
	v_and_b32_e32 v30, 0xff, v36
	ds_load_u8 v31, v5
	ds_load_b64 v[4:5], v4 offset:2048
	ds_load_b64 v[20:21], v16 offset:2048
	v_lshl_add_u32 v16, v17, 3, v10
	v_lshl_add_u32 v17, v18, 3, v10
	ds_load_b64 v[22:23], v16 offset:2048
	ds_load_b64 v[18:19], v17 offset:2048
	;; [unrolled: 1-line block ×5, first 2 shown]
	v_or_b32_e32 v30, v30, v50
	s_delay_alu instid0(VALU_DEP_1)
	v_and_b32_e32 v30, 0xffff, v30
	s_waitcnt lgkmcnt(7)
	v_cndmask_b32_e64 v65, v31, v53, s17
	v_cndmask_b32_e64 v66, v54, v31, s17
	;; [unrolled: 1-line block ×4, first 2 shown]
	v_and_b32_e32 v53, 0xff, v32
	v_and_b32_e32 v15, v65, v49
	;; [unrolled: 1-line block ×3, first 2 shown]
	v_lshlrev_b16 v54, 8, v31
	v_cmp_lt_u32_e64 s7, v14, v37
	v_lshlrev_b16 v37, 8, v9
	s_delay_alu instid0(VALU_DEP_4) | instskip(NEXT) | instid1(VALU_DEP_4)
	v_cmp_le_u16_e64 s10, v15, v55
	v_or_b32_e32 v12, v12, v54
	s_delay_alu instid0(VALU_DEP_3) | instskip(NEXT) | instid1(VALU_DEP_3)
	v_or_b32_e32 v37, v53, v37
	s_and_b32 s7, s10, s7
	s_delay_alu instid0(VALU_DEP_2) | instskip(SKIP_1) | instid1(VALU_DEP_2)
	v_and_b32_e32 v12, 0xffff, v12
	s_or_b32 s7, s11, s7
	v_lshlrev_b32_e32 v37, 16, v37
	v_cndmask_b32_e64 v13, v13, v14, s7
	v_cndmask_b32_e64 v35, v65, v66, s7
	s_delay_alu instid0(VALU_DEP_3) | instskip(NEXT) | instid1(VALU_DEP_3)
	v_or_b32_e32 v12, v12, v37
	v_lshl_add_u32 v13, v13, 3, v10
	s_delay_alu instid0(VALU_DEP_3) | instskip(SKIP_2) | instid1(VALU_DEP_1)
	v_lshlrev_b16 v52, 8, v35
	ds_load_b64 v[14:15], v13 offset:2048
	v_or_b32_e32 v13, v51, v52
	v_lshlrev_b32_e32 v13, 16, v13
	s_delay_alu instid0(VALU_DEP_1)
	v_or_b32_e32 v13, v30, v13
.LBB1549_90:
	s_or_b32 exec_lo, exec_lo, s21
	v_and_b32_e32 v37, 0xe0, v48
	v_lshlrev_b16 v30, 8, v33
	v_and_b32_e32 v50, 0xff, v36
	v_lshlrev_b16 v52, 8, v35
	v_and_b32_e32 v53, 0xff, v34
	v_or_b32_e32 v51, 16, v37
	v_lshlrev_b16 v54, 8, v31
	v_and_b32_e32 v55, 0xff, v12
	v_lshlrev_b16 v64, 8, v9
	v_and_b32_e32 v65, 0xff, v32
	v_min_u32_e32 v51, v29, v51
	v_or_b32_e32 v30, v50, v30
	v_and_b32_e32 v66, 24, v48
	v_or_b32_e32 v53, v53, v52
	v_or_b32_e32 v54, v55, v54
	v_add_nc_u32_e32 v50, 16, v51
	v_or_b32_e32 v55, v65, v64
	v_min_u32_e32 v52, v29, v66
	v_and_b32_e32 v64, 0xffff, v30
	v_lshlrev_b32_e32 v53, 16, v53
	v_min_u32_e32 v50, v29, v50
	v_and_b32_e32 v54, 0xffff, v54
	v_lshlrev_b32_e32 v55, 16, v55
	v_sub_nc_u32_e32 v67, v51, v37
	v_add_nc_u32_e32 v30, v11, v48
	v_sub_nc_u32_e32 v66, v50, v51
	v_or_b32_e32 v65, v64, v53
	v_or_b32_e32 v64, v54, v55
	v_min_u32_e32 v53, v52, v67
	s_mov_b32 s10, exec_lo
	v_sub_nc_u32_e64 v54, v52, v66 clamp
	; wave barrier
	s_waitcnt lgkmcnt(6)
	ds_store_2addr_b64 v28, v[4:5], v[20:21] offset1:1
	s_waitcnt lgkmcnt(5)
	ds_store_2addr_b64 v28, v[22:23], v[18:19] offset0:2 offset1:3
	ds_store_b64 v30, v[64:65]
	s_waitcnt lgkmcnt(5)
	ds_store_2addr_b64 v28, v[26:27], v[16:17] offset0:4 offset1:5
	s_waitcnt lgkmcnt(4)
	ds_store_2addr_b64 v28, v[24:25], v[14:15] offset0:6 offset1:7
	; wave barrier
	v_cmpx_lt_u32_e64 v54, v53
	s_cbranch_execz .LBB1549_94
; %bb.91:
	v_add_nc_u32_e32 v55, v11, v37
	v_add3_u32 v64, v11, v51, v52
	s_mov_b32 s11, 0
	.p2align	6
.LBB1549_92:                            ; =>This Inner Loop Header: Depth=1
	v_add_nc_u32_e32 v65, v53, v54
	s_delay_alu instid0(VALU_DEP_1) | instskip(NEXT) | instid1(VALU_DEP_1)
	v_lshrrev_b32_e32 v65, 1, v65
	v_xad_u32 v66, v65, -1, v64
	v_add_nc_u32_e32 v67, v55, v65
	v_add_nc_u32_e32 v68, 1, v65
	ds_load_u8 v66, v66
	ds_load_u8 v67, v67
	s_waitcnt lgkmcnt(1)
	v_and_b32_e32 v66, v66, v49
	s_waitcnt lgkmcnt(0)
	v_and_b32_e32 v67, v67, v49
	s_delay_alu instid0(VALU_DEP_1) | instskip(NEXT) | instid1(VALU_DEP_1)
	v_cmp_gt_u16_e64 s7, v66, v67
	v_cndmask_b32_e64 v53, v53, v65, s7
	v_cndmask_b32_e64 v54, v68, v54, s7
	s_delay_alu instid0(VALU_DEP_1) | instskip(NEXT) | instid1(VALU_DEP_1)
	v_cmp_ge_u32_e64 s7, v54, v53
	s_or_b32 s11, s7, s11
	s_delay_alu instid0(SALU_CYCLE_1)
	s_and_not1_b32 exec_lo, exec_lo, s11
	s_cbranch_execnz .LBB1549_92
; %bb.93:
	s_or_b32 exec_lo, exec_lo, s11
.LBB1549_94:
	s_delay_alu instid0(SALU_CYCLE_1) | instskip(SKIP_3) | instid1(VALU_DEP_3)
	s_or_b32 exec_lo, exec_lo, s10
	v_add_nc_u32_e32 v52, v51, v52
	v_add_nc_u32_e32 v53, v54, v37
	v_mov_b32_e32 v37, v12
	v_sub_nc_u32_e32 v52, v52, v54
	s_delay_alu instid0(VALU_DEP_3) | instskip(NEXT) | instid1(VALU_DEP_2)
	v_cmp_le_u32_e64 s7, v53, v51
	v_cmp_le_u32_e64 s10, v52, v50
	s_delay_alu instid0(VALU_DEP_1) | instskip(NEXT) | instid1(SALU_CYCLE_1)
	s_or_b32 s7, s7, s10
	s_and_saveexec_b32 s21, s7
	s_cbranch_execz .LBB1549_100
; %bb.95:
	v_cmp_lt_u32_e64 s7, v53, v51
                                        ; implicit-def: $vgpr9
	s_delay_alu instid0(VALU_DEP_1)
	s_and_saveexec_b32 s10, s7
	s_cbranch_execz .LBB1549_97
; %bb.96:
	v_add_nc_u32_e32 v4, v11, v53
	ds_load_u8 v9, v4
.LBB1549_97:
	s_or_b32 exec_lo, exec_lo, s10
	v_cmp_ge_u32_e64 s10, v52, v50
	s_mov_b32 s14, exec_lo
                                        ; implicit-def: $vgpr12
	v_cmpx_lt_u32_e64 v52, v50
	s_cbranch_execz .LBB1549_99
; %bb.98:
	v_add_nc_u32_e32 v4, v11, v52
	ds_load_u8 v12, v4
.LBB1549_99:
	s_or_b32 exec_lo, exec_lo, s14
	s_waitcnt lgkmcnt(0)
	v_and_b32_e32 v4, v12, v49
	v_and_b32_e32 v5, v9, v49
	s_delay_alu instid0(VALU_DEP_1) | instskip(NEXT) | instid1(VALU_DEP_1)
	v_cmp_le_u16_e64 s11, v4, v5
	s_and_b32 s7, s7, s11
	s_delay_alu instid0(SALU_CYCLE_1) | instskip(NEXT) | instid1(SALU_CYCLE_1)
	s_or_b32 s7, s10, s7
	v_cndmask_b32_e64 v4, v52, v53, s7
	v_cndmask_b32_e64 v5, v50, v51, s7
	s_delay_alu instid0(VALU_DEP_2) | instskip(NEXT) | instid1(VALU_DEP_2)
	v_add_nc_u32_e32 v13, 1, v4
	v_add_nc_u32_e32 v5, -1, v5
	v_lshl_add_u32 v4, v4, 3, v10
	s_delay_alu instid0(VALU_DEP_2) | instskip(NEXT) | instid1(VALU_DEP_1)
	v_min_u32_e32 v5, v13, v5
	v_add_nc_u32_e32 v5, v11, v5
	ds_load_u8 v5, v5
	s_waitcnt lgkmcnt(0)
	v_cndmask_b32_e64 v14, v5, v12, s7
	v_cndmask_b32_e64 v15, v9, v5, s7
	;; [unrolled: 1-line block ×4, first 2 shown]
	s_delay_alu instid0(VALU_DEP_4) | instskip(NEXT) | instid1(VALU_DEP_4)
	v_and_b32_e32 v16, v14, v49
	v_and_b32_e32 v17, v15, v49
	s_delay_alu instid0(VALU_DEP_4) | instskip(NEXT) | instid1(VALU_DEP_4)
	v_cmp_lt_u32_e64 s10, v5, v51
	v_cmp_ge_u32_e64 s14, v13, v50
	s_delay_alu instid0(VALU_DEP_3) | instskip(NEXT) | instid1(VALU_DEP_1)
	v_cmp_le_u16_e64 s11, v16, v17
	s_and_b32 s10, s11, s10
	s_delay_alu instid0(VALU_DEP_2) | instid1(SALU_CYCLE_1)
	s_or_b32 s10, s14, s10
	s_delay_alu instid0(SALU_CYCLE_1) | instskip(SKIP_1) | instid1(VALU_DEP_2)
	v_cndmask_b32_e64 v16, v13, v5, s10
	v_cndmask_b32_e64 v17, v50, v51, s10
	v_add_nc_u32_e32 v18, 1, v16
	s_delay_alu instid0(VALU_DEP_2) | instskip(SKIP_1) | instid1(VALU_DEP_3)
	v_add_nc_u32_e32 v17, -1, v17
	v_lshl_add_u32 v16, v16, 3, v10
	v_cndmask_b32_e64 v5, v5, v18, s10
	s_delay_alu instid0(VALU_DEP_3) | instskip(SKIP_1) | instid1(VALU_DEP_3)
	v_min_u32_e32 v17, v18, v17
	v_cndmask_b32_e64 v13, v18, v13, s10
	v_cmp_lt_u32_e64 s11, v5, v51
	s_delay_alu instid0(VALU_DEP_3) | instskip(NEXT) | instid1(VALU_DEP_3)
	v_add_nc_u32_e32 v17, v11, v17
	v_cmp_ge_u32_e64 s15, v13, v50
	ds_load_u8 v17, v17
	s_waitcnt lgkmcnt(0)
	v_cndmask_b32_e64 v32, v17, v14, s10
	v_cndmask_b32_e64 v33, v15, v17, s10
	s_delay_alu instid0(VALU_DEP_2) | instskip(NEXT) | instid1(VALU_DEP_2)
	v_and_b32_e32 v17, v32, v49
	v_and_b32_e32 v19, v33, v49
	s_delay_alu instid0(VALU_DEP_1) | instskip(NEXT) | instid1(VALU_DEP_1)
	v_cmp_le_u16_e64 s14, v17, v19
	s_and_b32 s11, s14, s11
	s_delay_alu instid0(SALU_CYCLE_1) | instskip(NEXT) | instid1(SALU_CYCLE_1)
	s_or_b32 s11, s15, s11
	v_cndmask_b32_e64 v17, v13, v5, s11
	v_cndmask_b32_e64 v18, v50, v51, s11
	s_delay_alu instid0(VALU_DEP_2) | instskip(NEXT) | instid1(VALU_DEP_2)
	v_add_nc_u32_e32 v19, 1, v17
	v_add_nc_u32_e32 v18, -1, v18
	s_delay_alu instid0(VALU_DEP_2) | instskip(NEXT) | instid1(VALU_DEP_2)
	v_cndmask_b32_e64 v5, v5, v19, s11
	v_min_u32_e32 v18, v19, v18
	v_cndmask_b32_e64 v13, v19, v13, s11
	s_delay_alu instid0(VALU_DEP_3) | instskip(NEXT) | instid1(VALU_DEP_3)
	v_cmp_lt_u32_e64 s14, v5, v51
	v_add_nc_u32_e32 v18, v11, v18
	s_delay_alu instid0(VALU_DEP_3)
	v_cmp_ge_u32_e64 s16, v13, v50
	ds_load_u8 v18, v18
	s_waitcnt lgkmcnt(0)
	v_cndmask_b32_e64 v34, v18, v32, s11
	v_cndmask_b32_e64 v35, v33, v18, s11
	;; [unrolled: 1-line block ×3, first 2 shown]
	s_delay_alu instid0(VALU_DEP_3) | instskip(NEXT) | instid1(VALU_DEP_3)
	v_and_b32_e32 v18, v34, v49
	v_and_b32_e32 v20, v35, v49
	s_delay_alu instid0(VALU_DEP_1) | instskip(NEXT) | instid1(VALU_DEP_1)
	v_cmp_le_u16_e64 s15, v18, v20
	s_and_b32 s14, s15, s14
	s_delay_alu instid0(SALU_CYCLE_1) | instskip(NEXT) | instid1(SALU_CYCLE_1)
	s_or_b32 s14, s16, s14
	v_cndmask_b32_e64 v18, v13, v5, s14
	v_cndmask_b32_e64 v19, v50, v51, s14
	s_delay_alu instid0(VALU_DEP_2) | instskip(NEXT) | instid1(VALU_DEP_2)
	v_add_nc_u32_e32 v20, 1, v18
	v_add_nc_u32_e32 v19, -1, v19
	s_delay_alu instid0(VALU_DEP_2) | instskip(NEXT) | instid1(VALU_DEP_2)
	v_cndmask_b32_e64 v5, v5, v20, s14
	v_min_u32_e32 v19, v20, v19
	v_cndmask_b32_e64 v13, v20, v13, s14
	s_delay_alu instid0(VALU_DEP_3) | instskip(NEXT) | instid1(VALU_DEP_3)
	v_cmp_lt_u32_e64 s15, v5, v51
	v_add_nc_u32_e32 v19, v11, v19
	s_delay_alu instid0(VALU_DEP_3) | instskip(SKIP_4) | instid1(VALU_DEP_2)
	v_cmp_ge_u32_e64 s17, v13, v50
	ds_load_u8 v19, v19
	s_waitcnt lgkmcnt(0)
	v_cndmask_b32_e64 v36, v19, v34, s14
	v_cndmask_b32_e64 v52, v35, v19, s14
	v_and_b32_e32 v19, v36, v49
	s_delay_alu instid0(VALU_DEP_2) | instskip(NEXT) | instid1(VALU_DEP_1)
	v_and_b32_e32 v21, v52, v49
	v_cmp_le_u16_e64 s16, v19, v21
	s_delay_alu instid0(VALU_DEP_1) | instskip(NEXT) | instid1(SALU_CYCLE_1)
	s_and_b32 s15, s16, s15
	s_or_b32 s15, s17, s15
	s_delay_alu instid0(SALU_CYCLE_1) | instskip(SKIP_1) | instid1(VALU_DEP_2)
	v_cndmask_b32_e64 v19, v13, v5, s15
	v_cndmask_b32_e64 v20, v50, v51, s15
	v_add_nc_u32_e32 v21, 1, v19
	s_delay_alu instid0(VALU_DEP_2) | instskip(SKIP_1) | instid1(VALU_DEP_3)
	v_add_nc_u32_e32 v20, -1, v20
	v_lshl_add_u32 v24, v19, 3, v10
	v_cndmask_b32_e64 v5, v5, v21, s15
	s_delay_alu instid0(VALU_DEP_3) | instskip(SKIP_1) | instid1(VALU_DEP_3)
	v_min_u32_e32 v20, v21, v20
	v_cndmask_b32_e64 v13, v21, v13, s15
	v_cmp_lt_u32_e64 s16, v5, v51
	s_delay_alu instid0(VALU_DEP_3) | instskip(NEXT) | instid1(VALU_DEP_3)
	v_add_nc_u32_e32 v20, v11, v20
	v_cmp_ge_u32_e64 s18, v13, v50
	ds_load_u8 v20, v20
	s_waitcnt lgkmcnt(0)
	v_cndmask_b32_e64 v53, v20, v36, s15
	v_cndmask_b32_e64 v54, v52, v20, s15
	;; [unrolled: 1-line block ×3, first 2 shown]
	s_delay_alu instid0(VALU_DEP_3) | instskip(NEXT) | instid1(VALU_DEP_3)
	v_and_b32_e32 v20, v53, v49
	v_and_b32_e32 v22, v54, v49
	s_delay_alu instid0(VALU_DEP_1) | instskip(NEXT) | instid1(VALU_DEP_1)
	v_cmp_le_u16_e64 s17, v20, v22
	s_and_b32 s16, s17, s16
	s_delay_alu instid0(SALU_CYCLE_1) | instskip(NEXT) | instid1(SALU_CYCLE_1)
	s_or_b32 s16, s18, s16
	v_cndmask_b32_e64 v22, v13, v5, s16
	v_cndmask_b32_e64 v20, v50, v51, s16
	v_cndmask_b32_e64 v33, v53, v54, s16
	s_delay_alu instid0(VALU_DEP_3) | instskip(NEXT) | instid1(VALU_DEP_3)
	v_add_nc_u32_e32 v21, 1, v22
	v_add_nc_u32_e32 v20, -1, v20
	v_lshl_add_u32 v25, v22, 3, v10
	s_delay_alu instid0(VALU_DEP_3) | instskip(NEXT) | instid1(VALU_DEP_3)
	v_cndmask_b32_e64 v65, v5, v21, s16
	v_min_u32_e32 v20, v21, v20
	v_cndmask_b32_e64 v13, v21, v13, s16
	s_delay_alu instid0(VALU_DEP_3) | instskip(NEXT) | instid1(VALU_DEP_3)
	v_cmp_lt_u32_e64 s17, v65, v51
	v_add_nc_u32_e32 v20, v11, v20
	s_delay_alu instid0(VALU_DEP_3)
	v_cmp_ge_u32_e64 s19, v13, v50
	ds_load_u8 v20, v20
	s_waitcnt lgkmcnt(0)
	v_cndmask_b32_e64 v55, v20, v53, s16
	v_cndmask_b32_e64 v64, v54, v20, s16
	v_and_b32_e32 v54, 0xff, v32
	s_delay_alu instid0(VALU_DEP_3) | instskip(NEXT) | instid1(VALU_DEP_3)
	v_and_b32_e32 v5, v55, v49
	v_and_b32_e32 v20, v64, v49
	s_delay_alu instid0(VALU_DEP_1) | instskip(NEXT) | instid1(VALU_DEP_1)
	v_cmp_le_u16_e64 s18, v5, v20
	s_and_b32 s17, s18, s17
	s_delay_alu instid0(SALU_CYCLE_1) | instskip(NEXT) | instid1(SALU_CYCLE_1)
	s_or_b32 s17, s19, s17
	v_cndmask_b32_e64 v23, v13, v65, s17
	v_cndmask_b32_e64 v5, v50, v51, s17
	s_delay_alu instid0(VALU_DEP_2) | instskip(NEXT) | instid1(VALU_DEP_2)
	v_add_nc_u32_e32 v66, 1, v23
	v_add_nc_u32_e32 v5, -1, v5
	v_lshl_add_u32 v37, v23, 3, v10
	s_delay_alu instid0(VALU_DEP_3) | instskip(NEXT) | instid1(VALU_DEP_3)
	v_cndmask_b32_e64 v13, v66, v13, s17
	v_min_u32_e32 v5, v66, v5
	s_delay_alu instid0(VALU_DEP_2) | instskip(NEXT) | instid1(VALU_DEP_2)
	v_cmp_ge_u32_e64 s11, v13, v50
	v_add_nc_u32_e32 v5, v11, v5
	v_lshlrev_b16 v50, 8, v33
	ds_load_u8 v31, v5
	ds_load_b64 v[4:5], v4 offset:2048
	ds_load_b64 v[20:21], v16 offset:2048
	v_lshl_add_u32 v16, v17, 3, v10
	v_lshl_add_u32 v17, v18, 3, v10
	ds_load_b64 v[22:23], v16 offset:2048
	ds_load_b64 v[18:19], v17 offset:2048
	;; [unrolled: 1-line block ×5, first 2 shown]
	v_cndmask_b32_e64 v37, v12, v9, s7
	v_cndmask_b32_e64 v12, v65, v66, s17
	v_cndmask_b32_e64 v9, v34, v35, s14
	v_cndmask_b32_e64 v34, v55, v64, s17
	s_delay_alu instid0(VALU_DEP_3) | instskip(NEXT) | instid1(VALU_DEP_3)
	v_cmp_lt_u32_e64 s7, v12, v51
	v_lshlrev_b16 v51, 8, v9
	s_delay_alu instid0(VALU_DEP_3)
	v_and_b32_e32 v52, 0xff, v34
	s_waitcnt lgkmcnt(7)
	v_cndmask_b32_e64 v67, v31, v55, s17
	v_cndmask_b32_e64 v68, v64, v31, s17
	;; [unrolled: 1-line block ×3, first 2 shown]
	v_and_b32_e32 v64, 0xff, v37
	s_delay_alu instid0(VALU_DEP_4) | instskip(NEXT) | instid1(VALU_DEP_4)
	v_and_b32_e32 v14, v67, v49
	v_and_b32_e32 v15, v68, v49
	s_delay_alu instid0(VALU_DEP_4) | instskip(NEXT) | instid1(VALU_DEP_2)
	v_lshlrev_b16 v55, 8, v31
	v_cmp_le_u16_e64 s10, v14, v15
	s_delay_alu instid0(VALU_DEP_1) | instskip(NEXT) | instid1(SALU_CYCLE_1)
	s_and_b32 s7, s10, s7
	s_or_b32 s7, s11, s7
	s_delay_alu instid0(SALU_CYCLE_1) | instskip(SKIP_2) | instid1(VALU_DEP_3)
	v_cndmask_b32_e64 v12, v13, v12, s7
	v_cndmask_b32_e64 v35, v67, v68, s7
	v_and_b32_e32 v13, 0xff, v36
	v_lshl_add_u32 v12, v12, 3, v10
	s_delay_alu instid0(VALU_DEP_3) | instskip(NEXT) | instid1(VALU_DEP_3)
	v_lshlrev_b16 v53, 8, v35
	v_or_b32_e32 v13, v13, v50
	v_or_b32_e32 v50, v54, v51
	;; [unrolled: 1-line block ×3, first 2 shown]
	ds_load_b64 v[14:15], v12 offset:2048
	v_or_b32_e32 v12, v52, v53
	v_and_b32_e32 v13, 0xffff, v13
	v_lshlrev_b32_e32 v50, 16, v50
	v_and_b32_e32 v51, 0xffff, v51
	s_delay_alu instid0(VALU_DEP_4) | instskip(NEXT) | instid1(VALU_DEP_1)
	v_lshlrev_b32_e32 v12, 16, v12
	v_or_b32_e32 v13, v13, v12
	s_delay_alu instid0(VALU_DEP_3)
	v_or_b32_e32 v12, v51, v50
.LBB1549_100:
	s_or_b32 exec_lo, exec_lo, s21
	v_and_b32_e32 v52, 0xc0, v48
	v_lshlrev_b16 v50, 8, v33
	v_and_b32_e32 v53, 0xff, v36
	v_lshlrev_b16 v54, 8, v35
	v_and_b32_e32 v55, 0xff, v34
	v_or_b32_e32 v51, 32, v52
	v_lshlrev_b16 v64, 8, v31
	v_and_b32_e32 v65, 0xff, v37
	v_lshlrev_b16 v66, 8, v9
	v_and_b32_e32 v67, 0xff, v32
	v_min_u32_e32 v51, v29, v51
	v_or_b32_e32 v69, v53, v50
	v_and_b32_e32 v68, 56, v48
	v_or_b32_e32 v54, v55, v54
	v_or_b32_e32 v55, v65, v64
	v_add_nc_u32_e32 v50, 32, v51
	v_or_b32_e32 v64, v67, v66
	v_min_u32_e32 v53, v29, v68
	v_and_b32_e32 v65, 0xffff, v69
	v_lshlrev_b32_e32 v54, 16, v54
	v_min_u32_e32 v50, v29, v50
	v_and_b32_e32 v55, 0xffff, v55
	v_lshlrev_b32_e32 v64, 16, v64
	v_sub_nc_u32_e32 v67, v51, v52
	v_or_b32_e32 v65, v65, v54
	v_sub_nc_u32_e32 v66, v50, v51
	s_mov_b32 s10, exec_lo
	v_or_b32_e32 v64, v55, v64
	v_min_u32_e32 v55, v53, v67
	s_delay_alu instid0(VALU_DEP_3)
	v_sub_nc_u32_e64 v54, v53, v66 clamp
	; wave barrier
	s_waitcnt lgkmcnt(6)
	ds_store_2addr_b64 v28, v[4:5], v[20:21] offset1:1
	s_waitcnt lgkmcnt(5)
	ds_store_2addr_b64 v28, v[22:23], v[18:19] offset0:2 offset1:3
	ds_store_b64 v30, v[64:65]
	s_waitcnt lgkmcnt(5)
	ds_store_2addr_b64 v28, v[26:27], v[16:17] offset0:4 offset1:5
	s_waitcnt lgkmcnt(4)
	ds_store_2addr_b64 v28, v[24:25], v[14:15] offset0:6 offset1:7
	; wave barrier
	v_cmpx_lt_u32_e64 v54, v55
	s_cbranch_execz .LBB1549_104
; %bb.101:
	v_add_nc_u32_e32 v64, v11, v52
	v_add3_u32 v65, v11, v51, v53
	s_mov_b32 s11, 0
	.p2align	6
.LBB1549_102:                           ; =>This Inner Loop Header: Depth=1
	v_add_nc_u32_e32 v66, v55, v54
	s_delay_alu instid0(VALU_DEP_1) | instskip(NEXT) | instid1(VALU_DEP_1)
	v_lshrrev_b32_e32 v66, 1, v66
	v_xad_u32 v67, v66, -1, v65
	v_add_nc_u32_e32 v68, v64, v66
	v_add_nc_u32_e32 v69, 1, v66
	ds_load_u8 v67, v67
	ds_load_u8 v68, v68
	s_waitcnt lgkmcnt(1)
	v_and_b32_e32 v67, v67, v49
	s_waitcnt lgkmcnt(0)
	v_and_b32_e32 v68, v68, v49
	s_delay_alu instid0(VALU_DEP_1) | instskip(NEXT) | instid1(VALU_DEP_1)
	v_cmp_gt_u16_e64 s7, v67, v68
	v_cndmask_b32_e64 v55, v55, v66, s7
	v_cndmask_b32_e64 v54, v69, v54, s7
	s_delay_alu instid0(VALU_DEP_1) | instskip(NEXT) | instid1(VALU_DEP_1)
	v_cmp_ge_u32_e64 s7, v54, v55
	s_or_b32 s11, s7, s11
	s_delay_alu instid0(SALU_CYCLE_1)
	s_and_not1_b32 exec_lo, exec_lo, s11
	s_cbranch_execnz .LBB1549_102
; %bb.103:
	s_or_b32 exec_lo, exec_lo, s11
.LBB1549_104:
	s_delay_alu instid0(SALU_CYCLE_1) | instskip(SKIP_2) | instid1(VALU_DEP_2)
	s_or_b32 exec_lo, exec_lo, s10
	v_add_nc_u32_e32 v55, v51, v53
	v_add_nc_u32_e32 v53, v54, v52
	v_sub_nc_u32_e32 v52, v55, v54
	s_delay_alu instid0(VALU_DEP_2) | instskip(NEXT) | instid1(VALU_DEP_2)
	v_cmp_le_u32_e64 s7, v53, v51
	v_cmp_le_u32_e64 s10, v52, v50
	s_delay_alu instid0(VALU_DEP_1) | instskip(NEXT) | instid1(SALU_CYCLE_1)
	s_or_b32 s7, s7, s10
	s_and_saveexec_b32 s21, s7
	s_cbranch_execz .LBB1549_110
; %bb.105:
	v_cmp_lt_u32_e64 s7, v53, v51
                                        ; implicit-def: $vgpr9
	s_delay_alu instid0(VALU_DEP_1)
	s_and_saveexec_b32 s10, s7
	s_cbranch_execz .LBB1549_107
; %bb.106:
	v_add_nc_u32_e32 v4, v11, v53
	ds_load_u8 v9, v4
.LBB1549_107:
	s_or_b32 exec_lo, exec_lo, s10
	v_cmp_ge_u32_e64 s10, v52, v50
	s_mov_b32 s14, exec_lo
                                        ; implicit-def: $vgpr12
	v_cmpx_lt_u32_e64 v52, v50
	s_cbranch_execz .LBB1549_109
; %bb.108:
	v_add_nc_u32_e32 v4, v11, v52
	ds_load_u8 v12, v4
.LBB1549_109:
	s_or_b32 exec_lo, exec_lo, s14
	s_waitcnt lgkmcnt(0)
	v_and_b32_e32 v4, v12, v49
	v_and_b32_e32 v5, v9, v49
	s_delay_alu instid0(VALU_DEP_1) | instskip(NEXT) | instid1(VALU_DEP_1)
	v_cmp_le_u16_e64 s11, v4, v5
	s_and_b32 s7, s7, s11
	s_delay_alu instid0(SALU_CYCLE_1) | instskip(NEXT) | instid1(SALU_CYCLE_1)
	s_or_b32 s7, s10, s7
	v_cndmask_b32_e64 v4, v52, v53, s7
	v_cndmask_b32_e64 v5, v50, v51, s7
	s_delay_alu instid0(VALU_DEP_2) | instskip(NEXT) | instid1(VALU_DEP_2)
	v_add_nc_u32_e32 v13, 1, v4
	v_add_nc_u32_e32 v5, -1, v5
	v_lshl_add_u32 v4, v4, 3, v10
	s_delay_alu instid0(VALU_DEP_2) | instskip(NEXT) | instid1(VALU_DEP_1)
	v_min_u32_e32 v5, v13, v5
	v_add_nc_u32_e32 v5, v11, v5
	ds_load_u8 v5, v5
	s_waitcnt lgkmcnt(0)
	v_cndmask_b32_e64 v14, v5, v12, s7
	v_cndmask_b32_e64 v15, v9, v5, s7
	;; [unrolled: 1-line block ×4, first 2 shown]
	s_delay_alu instid0(VALU_DEP_4) | instskip(NEXT) | instid1(VALU_DEP_4)
	v_and_b32_e32 v16, v14, v49
	v_and_b32_e32 v17, v15, v49
	s_delay_alu instid0(VALU_DEP_4) | instskip(NEXT) | instid1(VALU_DEP_4)
	v_cmp_lt_u32_e64 s10, v5, v51
	v_cmp_ge_u32_e64 s14, v13, v50
	s_delay_alu instid0(VALU_DEP_3) | instskip(NEXT) | instid1(VALU_DEP_1)
	v_cmp_le_u16_e64 s11, v16, v17
	s_and_b32 s10, s11, s10
	s_delay_alu instid0(VALU_DEP_2) | instid1(SALU_CYCLE_1)
	s_or_b32 s10, s14, s10
	s_delay_alu instid0(SALU_CYCLE_1) | instskip(SKIP_1) | instid1(VALU_DEP_2)
	v_cndmask_b32_e64 v16, v13, v5, s10
	v_cndmask_b32_e64 v17, v50, v51, s10
	v_add_nc_u32_e32 v18, 1, v16
	s_delay_alu instid0(VALU_DEP_2) | instskip(SKIP_1) | instid1(VALU_DEP_3)
	v_add_nc_u32_e32 v17, -1, v17
	v_lshl_add_u32 v16, v16, 3, v10
	v_cndmask_b32_e64 v5, v5, v18, s10
	s_delay_alu instid0(VALU_DEP_3) | instskip(SKIP_1) | instid1(VALU_DEP_3)
	v_min_u32_e32 v17, v18, v17
	v_cndmask_b32_e64 v13, v18, v13, s10
	v_cmp_lt_u32_e64 s11, v5, v51
	s_delay_alu instid0(VALU_DEP_3) | instskip(NEXT) | instid1(VALU_DEP_3)
	v_add_nc_u32_e32 v17, v11, v17
	v_cmp_ge_u32_e64 s15, v13, v50
	ds_load_u8 v17, v17
	s_waitcnt lgkmcnt(0)
	v_cndmask_b32_e64 v32, v17, v14, s10
	v_cndmask_b32_e64 v33, v15, v17, s10
	s_delay_alu instid0(VALU_DEP_2) | instskip(NEXT) | instid1(VALU_DEP_2)
	v_and_b32_e32 v17, v32, v49
	v_and_b32_e32 v19, v33, v49
	s_delay_alu instid0(VALU_DEP_1) | instskip(NEXT) | instid1(VALU_DEP_1)
	v_cmp_le_u16_e64 s14, v17, v19
	s_and_b32 s11, s14, s11
	s_delay_alu instid0(SALU_CYCLE_1) | instskip(NEXT) | instid1(SALU_CYCLE_1)
	s_or_b32 s11, s15, s11
	v_cndmask_b32_e64 v17, v13, v5, s11
	v_cndmask_b32_e64 v18, v50, v51, s11
	s_delay_alu instid0(VALU_DEP_2) | instskip(NEXT) | instid1(VALU_DEP_2)
	v_add_nc_u32_e32 v19, 1, v17
	v_add_nc_u32_e32 v18, -1, v18
	s_delay_alu instid0(VALU_DEP_2) | instskip(NEXT) | instid1(VALU_DEP_2)
	v_cndmask_b32_e64 v5, v5, v19, s11
	v_min_u32_e32 v18, v19, v18
	v_cndmask_b32_e64 v13, v19, v13, s11
	s_delay_alu instid0(VALU_DEP_3) | instskip(NEXT) | instid1(VALU_DEP_3)
	v_cmp_lt_u32_e64 s14, v5, v51
	v_add_nc_u32_e32 v18, v11, v18
	s_delay_alu instid0(VALU_DEP_3)
	v_cmp_ge_u32_e64 s16, v13, v50
	ds_load_u8 v18, v18
	s_waitcnt lgkmcnt(0)
	v_cndmask_b32_e64 v34, v18, v32, s11
	v_cndmask_b32_e64 v35, v33, v18, s11
	;; [unrolled: 1-line block ×3, first 2 shown]
	s_delay_alu instid0(VALU_DEP_3) | instskip(NEXT) | instid1(VALU_DEP_3)
	v_and_b32_e32 v18, v34, v49
	v_and_b32_e32 v20, v35, v49
	s_delay_alu instid0(VALU_DEP_1) | instskip(NEXT) | instid1(VALU_DEP_1)
	v_cmp_le_u16_e64 s15, v18, v20
	s_and_b32 s14, s15, s14
	s_delay_alu instid0(SALU_CYCLE_1) | instskip(NEXT) | instid1(SALU_CYCLE_1)
	s_or_b32 s14, s16, s14
	v_cndmask_b32_e64 v18, v13, v5, s14
	v_cndmask_b32_e64 v19, v50, v51, s14
	s_delay_alu instid0(VALU_DEP_2) | instskip(NEXT) | instid1(VALU_DEP_2)
	v_add_nc_u32_e32 v20, 1, v18
	v_add_nc_u32_e32 v19, -1, v19
	s_delay_alu instid0(VALU_DEP_2) | instskip(NEXT) | instid1(VALU_DEP_2)
	v_cndmask_b32_e64 v5, v5, v20, s14
	v_min_u32_e32 v19, v20, v19
	v_cndmask_b32_e64 v13, v20, v13, s14
	s_delay_alu instid0(VALU_DEP_3) | instskip(NEXT) | instid1(VALU_DEP_3)
	v_cmp_lt_u32_e64 s15, v5, v51
	v_add_nc_u32_e32 v19, v11, v19
	s_delay_alu instid0(VALU_DEP_3) | instskip(SKIP_4) | instid1(VALU_DEP_2)
	v_cmp_ge_u32_e64 s17, v13, v50
	ds_load_u8 v19, v19
	s_waitcnt lgkmcnt(0)
	v_cndmask_b32_e64 v36, v19, v34, s14
	v_cndmask_b32_e64 v52, v35, v19, s14
	v_and_b32_e32 v19, v36, v49
	s_delay_alu instid0(VALU_DEP_2) | instskip(NEXT) | instid1(VALU_DEP_1)
	v_and_b32_e32 v21, v52, v49
	v_cmp_le_u16_e64 s16, v19, v21
	s_delay_alu instid0(VALU_DEP_1) | instskip(NEXT) | instid1(SALU_CYCLE_1)
	s_and_b32 s15, s16, s15
	s_or_b32 s15, s17, s15
	s_delay_alu instid0(SALU_CYCLE_1) | instskip(SKIP_1) | instid1(VALU_DEP_2)
	v_cndmask_b32_e64 v19, v13, v5, s15
	v_cndmask_b32_e64 v20, v50, v51, s15
	v_add_nc_u32_e32 v21, 1, v19
	s_delay_alu instid0(VALU_DEP_2) | instskip(SKIP_1) | instid1(VALU_DEP_3)
	v_add_nc_u32_e32 v20, -1, v20
	v_lshl_add_u32 v24, v19, 3, v10
	v_cndmask_b32_e64 v5, v5, v21, s15
	s_delay_alu instid0(VALU_DEP_3) | instskip(SKIP_1) | instid1(VALU_DEP_3)
	v_min_u32_e32 v20, v21, v20
	v_cndmask_b32_e64 v13, v21, v13, s15
	v_cmp_lt_u32_e64 s16, v5, v51
	s_delay_alu instid0(VALU_DEP_3) | instskip(NEXT) | instid1(VALU_DEP_3)
	v_add_nc_u32_e32 v20, v11, v20
	v_cmp_ge_u32_e64 s18, v13, v50
	ds_load_u8 v20, v20
	s_waitcnt lgkmcnt(0)
	v_cndmask_b32_e64 v53, v20, v36, s15
	v_cndmask_b32_e64 v54, v52, v20, s15
	;; [unrolled: 1-line block ×3, first 2 shown]
	s_delay_alu instid0(VALU_DEP_3) | instskip(NEXT) | instid1(VALU_DEP_3)
	v_and_b32_e32 v20, v53, v49
	v_and_b32_e32 v22, v54, v49
	s_delay_alu instid0(VALU_DEP_1) | instskip(NEXT) | instid1(VALU_DEP_1)
	v_cmp_le_u16_e64 s17, v20, v22
	s_and_b32 s16, s17, s16
	s_delay_alu instid0(SALU_CYCLE_1) | instskip(NEXT) | instid1(SALU_CYCLE_1)
	s_or_b32 s16, s18, s16
	v_cndmask_b32_e64 v22, v13, v5, s16
	v_cndmask_b32_e64 v20, v50, v51, s16
	;; [unrolled: 1-line block ×3, first 2 shown]
	s_delay_alu instid0(VALU_DEP_3) | instskip(NEXT) | instid1(VALU_DEP_3)
	v_add_nc_u32_e32 v21, 1, v22
	v_add_nc_u32_e32 v20, -1, v20
	v_lshl_add_u32 v25, v22, 3, v10
	s_delay_alu instid0(VALU_DEP_3) | instskip(NEXT) | instid1(VALU_DEP_3)
	v_cndmask_b32_e64 v65, v5, v21, s16
	v_min_u32_e32 v20, v21, v20
	v_cndmask_b32_e64 v13, v21, v13, s16
	s_delay_alu instid0(VALU_DEP_3) | instskip(NEXT) | instid1(VALU_DEP_3)
	v_cmp_lt_u32_e64 s17, v65, v51
	v_add_nc_u32_e32 v20, v11, v20
	s_delay_alu instid0(VALU_DEP_3)
	v_cmp_ge_u32_e64 s19, v13, v50
	ds_load_u8 v20, v20
	s_waitcnt lgkmcnt(0)
	v_cndmask_b32_e64 v55, v20, v53, s16
	v_cndmask_b32_e64 v64, v54, v20, s16
	v_and_b32_e32 v54, 0xff, v32
	s_delay_alu instid0(VALU_DEP_3) | instskip(NEXT) | instid1(VALU_DEP_3)
	v_and_b32_e32 v5, v55, v49
	v_and_b32_e32 v20, v64, v49
	s_delay_alu instid0(VALU_DEP_1) | instskip(NEXT) | instid1(VALU_DEP_1)
	v_cmp_le_u16_e64 s18, v5, v20
	s_and_b32 s17, s18, s17
	s_delay_alu instid0(SALU_CYCLE_1) | instskip(NEXT) | instid1(SALU_CYCLE_1)
	s_or_b32 s17, s19, s17
	v_cndmask_b32_e64 v23, v13, v65, s17
	v_cndmask_b32_e64 v5, v50, v51, s17
	s_delay_alu instid0(VALU_DEP_2) | instskip(NEXT) | instid1(VALU_DEP_2)
	v_add_nc_u32_e32 v66, 1, v23
	v_add_nc_u32_e32 v5, -1, v5
	v_lshl_add_u32 v37, v23, 3, v10
	s_delay_alu instid0(VALU_DEP_3) | instskip(NEXT) | instid1(VALU_DEP_3)
	v_cndmask_b32_e64 v13, v66, v13, s17
	v_min_u32_e32 v5, v66, v5
	s_delay_alu instid0(VALU_DEP_2) | instskip(NEXT) | instid1(VALU_DEP_2)
	v_cmp_ge_u32_e64 s11, v13, v50
	v_add_nc_u32_e32 v5, v11, v5
	v_lshlrev_b16 v50, 8, v33
	ds_load_u8 v31, v5
	ds_load_b64 v[4:5], v4 offset:2048
	ds_load_b64 v[20:21], v16 offset:2048
	v_lshl_add_u32 v16, v17, 3, v10
	v_lshl_add_u32 v17, v18, 3, v10
	ds_load_b64 v[22:23], v16 offset:2048
	ds_load_b64 v[18:19], v17 offset:2048
	;; [unrolled: 1-line block ×5, first 2 shown]
	v_cndmask_b32_e64 v37, v12, v9, s7
	v_cndmask_b32_e64 v12, v65, v66, s17
	;; [unrolled: 1-line block ×4, first 2 shown]
	s_delay_alu instid0(VALU_DEP_3) | instskip(NEXT) | instid1(VALU_DEP_3)
	v_cmp_lt_u32_e64 s7, v12, v51
	v_lshlrev_b16 v51, 8, v9
	s_delay_alu instid0(VALU_DEP_3)
	v_and_b32_e32 v52, 0xff, v34
	s_waitcnt lgkmcnt(7)
	v_cndmask_b32_e64 v67, v31, v55, s17
	v_cndmask_b32_e64 v68, v64, v31, s17
	;; [unrolled: 1-line block ×3, first 2 shown]
	v_and_b32_e32 v64, 0xff, v37
	s_delay_alu instid0(VALU_DEP_4) | instskip(NEXT) | instid1(VALU_DEP_4)
	v_and_b32_e32 v14, v67, v49
	v_and_b32_e32 v15, v68, v49
	s_delay_alu instid0(VALU_DEP_4) | instskip(NEXT) | instid1(VALU_DEP_2)
	v_lshlrev_b16 v55, 8, v31
	v_cmp_le_u16_e64 s10, v14, v15
	s_delay_alu instid0(VALU_DEP_1) | instskip(NEXT) | instid1(SALU_CYCLE_1)
	s_and_b32 s7, s10, s7
	s_or_b32 s7, s11, s7
	s_delay_alu instid0(SALU_CYCLE_1) | instskip(SKIP_2) | instid1(VALU_DEP_3)
	v_cndmask_b32_e64 v12, v13, v12, s7
	v_cndmask_b32_e64 v35, v67, v68, s7
	v_and_b32_e32 v13, 0xff, v36
	v_lshl_add_u32 v12, v12, 3, v10
	s_delay_alu instid0(VALU_DEP_3) | instskip(NEXT) | instid1(VALU_DEP_3)
	v_lshlrev_b16 v53, 8, v35
	v_or_b32_e32 v13, v13, v50
	v_or_b32_e32 v50, v54, v51
	;; [unrolled: 1-line block ×3, first 2 shown]
	ds_load_b64 v[14:15], v12 offset:2048
	v_or_b32_e32 v12, v52, v53
	v_and_b32_e32 v13, 0xffff, v13
	v_lshlrev_b32_e32 v50, 16, v50
	v_and_b32_e32 v51, 0xffff, v51
	s_delay_alu instid0(VALU_DEP_4) | instskip(NEXT) | instid1(VALU_DEP_1)
	v_lshlrev_b32_e32 v12, 16, v12
	v_or_b32_e32 v13, v13, v12
	s_delay_alu instid0(VALU_DEP_3)
	v_or_b32_e32 v12, v51, v50
.LBB1549_110:
	s_or_b32 exec_lo, exec_lo, s21
	v_and_b32_e32 v48, 0x80, v48
	v_lshlrev_b16 v51, 8, v31
	v_lshlrev_b16 v33, 8, v33
	v_and_b32_e32 v36, 0xff, v36
	v_lshlrev_b16 v35, 8, v35
	v_or_b32_e32 v50, 64, v48
	v_and_b32_e32 v34, 0xff, v34
	v_lshlrev_b16 v9, 8, v9
	v_and_b32_e32 v37, 0xff, v37
	v_or_b32_e32 v33, v36, v33
	v_min_u32_e32 v31, v29, v50
	v_and_b32_e32 v50, 0xff, v32
	v_or_b32_e32 v34, v34, v35
	v_or_b32_e32 v35, v37, v51
	v_min_u32_e32 v32, v29, v38
	v_add_nc_u32_e32 v52, 64, v31
	v_or_b32_e32 v36, v50, v9
	v_sub_nc_u32_e32 v50, v31, v48
	s_mov_b32 s10, exec_lo
	s_delay_alu instid0(VALU_DEP_3)
	v_min_u32_e32 v9, v29, v52
	v_and_b32_e32 v29, 0xffff, v33
	v_lshlrev_b32_e32 v33, 16, v34
	v_and_b32_e32 v34, 0xffff, v35
	v_lshlrev_b32_e32 v36, 16, v36
	v_sub_nc_u32_e32 v37, v9, v31
	; wave barrier
	s_delay_alu instid0(VALU_DEP_4) | instskip(SKIP_1) | instid1(VALU_DEP_4)
	v_or_b32_e32 v35, v29, v33
	v_min_u32_e32 v29, v32, v50
	v_or_b32_e32 v34, v34, v36
	s_delay_alu instid0(VALU_DEP_4)
	v_sub_nc_u32_e64 v33, v32, v37 clamp
	s_waitcnt lgkmcnt(6)
	ds_store_2addr_b64 v28, v[4:5], v[20:21] offset1:1
	s_waitcnt lgkmcnt(5)
	ds_store_2addr_b64 v28, v[22:23], v[18:19] offset0:2 offset1:3
	ds_store_b64 v30, v[34:35]
	s_waitcnt lgkmcnt(5)
	ds_store_2addr_b64 v28, v[26:27], v[16:17] offset0:4 offset1:5
	s_waitcnt lgkmcnt(4)
	ds_store_2addr_b64 v28, v[24:25], v[14:15] offset0:6 offset1:7
	; wave barrier
	v_cmpx_lt_u32_e64 v33, v29
	s_cbranch_execz .LBB1549_114
; %bb.111:
	v_add_nc_u32_e32 v28, v11, v48
	v_add3_u32 v30, v11, v31, v32
	s_mov_b32 s11, 0
	.p2align	6
.LBB1549_112:                           ; =>This Inner Loop Header: Depth=1
	v_add_nc_u32_e32 v34, v29, v33
	s_delay_alu instid0(VALU_DEP_1) | instskip(NEXT) | instid1(VALU_DEP_1)
	v_lshrrev_b32_e32 v34, 1, v34
	v_xad_u32 v35, v34, -1, v30
	v_add_nc_u32_e32 v36, v28, v34
	v_add_nc_u32_e32 v37, 1, v34
	ds_load_u8 v35, v35
	ds_load_u8 v36, v36
	s_waitcnt lgkmcnt(1)
	v_and_b32_e32 v35, v35, v49
	s_waitcnt lgkmcnt(0)
	v_and_b32_e32 v36, v36, v49
	s_delay_alu instid0(VALU_DEP_1) | instskip(NEXT) | instid1(VALU_DEP_1)
	v_cmp_gt_u16_e64 s7, v35, v36
	v_cndmask_b32_e64 v29, v29, v34, s7
	v_cndmask_b32_e64 v33, v37, v33, s7
	s_delay_alu instid0(VALU_DEP_1) | instskip(NEXT) | instid1(VALU_DEP_1)
	v_cmp_ge_u32_e64 s7, v33, v29
	s_or_b32 s11, s7, s11
	s_delay_alu instid0(SALU_CYCLE_1)
	s_and_not1_b32 exec_lo, exec_lo, s11
	s_cbranch_execnz .LBB1549_112
; %bb.113:
	s_or_b32 exec_lo, exec_lo, s11
.LBB1549_114:
	s_delay_alu instid0(SALU_CYCLE_1) | instskip(SKIP_2) | instid1(VALU_DEP_2)
	s_or_b32 exec_lo, exec_lo, s10
	v_add_nc_u32_e32 v28, v31, v32
	v_add_nc_u32_e32 v29, v33, v48
	v_sub_nc_u32_e32 v28, v28, v33
	s_delay_alu instid0(VALU_DEP_2) | instskip(NEXT) | instid1(VALU_DEP_2)
	v_cmp_le_u32_e64 s7, v29, v31
	v_cmp_le_u32_e64 s10, v28, v9
	s_delay_alu instid0(VALU_DEP_1) | instskip(NEXT) | instid1(SALU_CYCLE_1)
	s_or_b32 s7, s7, s10
	s_and_saveexec_b32 s21, s7
	s_cbranch_execz .LBB1549_120
; %bb.115:
	v_cmp_lt_u32_e64 s7, v29, v31
                                        ; implicit-def: $vgpr12
	s_delay_alu instid0(VALU_DEP_1)
	s_and_saveexec_b32 s10, s7
	s_cbranch_execz .LBB1549_117
; %bb.116:
	v_add_nc_u32_e32 v4, v11, v29
	ds_load_u8 v12, v4
.LBB1549_117:
	s_or_b32 exec_lo, exec_lo, s10
	v_cmp_ge_u32_e64 s10, v28, v9
	s_mov_b32 s14, exec_lo
                                        ; implicit-def: $vgpr13
	v_cmpx_lt_u32_e64 v28, v9
	s_cbranch_execz .LBB1549_119
; %bb.118:
	v_add_nc_u32_e32 v4, v11, v28
	ds_load_u8 v13, v4
.LBB1549_119:
	s_or_b32 exec_lo, exec_lo, s14
	s_waitcnt lgkmcnt(0)
	v_and_b32_e32 v4, v13, v49
	v_and_b32_e32 v5, v12, v49
	s_delay_alu instid0(VALU_DEP_1) | instskip(NEXT) | instid1(VALU_DEP_1)
	v_cmp_le_u16_e64 s11, v4, v5
	s_and_b32 s7, s7, s11
	s_delay_alu instid0(SALU_CYCLE_1) | instskip(NEXT) | instid1(SALU_CYCLE_1)
	s_or_b32 s7, s10, s7
	v_cndmask_b32_e64 v4, v28, v29, s7
	v_cndmask_b32_e64 v5, v9, v31, s7
	s_delay_alu instid0(VALU_DEP_2) | instskip(NEXT) | instid1(VALU_DEP_2)
	v_add_nc_u32_e32 v14, 1, v4
	v_add_nc_u32_e32 v5, -1, v5
	v_lshl_add_u32 v4, v4, 3, v10
	s_delay_alu instid0(VALU_DEP_2) | instskip(NEXT) | instid1(VALU_DEP_1)
	v_min_u32_e32 v5, v14, v5
	v_add_nc_u32_e32 v5, v11, v5
	ds_load_u8 v5, v5
	s_waitcnt lgkmcnt(0)
	v_cndmask_b32_e64 v15, v5, v13, s7
	v_cndmask_b32_e64 v30, v12, v5, s7
	;; [unrolled: 1-line block ×5, first 2 shown]
	v_and_b32_e32 v16, v15, v49
	v_and_b32_e32 v17, v30, v49
	v_cmp_lt_u32_e64 s10, v5, v31
	v_cmp_ge_u32_e64 s14, v14, v9
	v_and_b32_e32 v12, 0xff, v12
	s_delay_alu instid0(VALU_DEP_4) | instskip(NEXT) | instid1(VALU_DEP_1)
	v_cmp_le_u16_e64 s11, v16, v17
	s_and_b32 s10, s11, s10
	s_delay_alu instid0(VALU_DEP_3) | instid1(SALU_CYCLE_1)
	s_or_b32 s10, s14, s10
	s_delay_alu instid0(SALU_CYCLE_1) | instskip(SKIP_2) | instid1(VALU_DEP_3)
	v_cndmask_b32_e64 v16, v14, v5, s10
	v_cndmask_b32_e64 v17, v9, v31, s10
	;; [unrolled: 1-line block ×3, first 2 shown]
	v_add_nc_u32_e32 v18, 1, v16
	s_delay_alu instid0(VALU_DEP_3) | instskip(SKIP_1) | instid1(VALU_DEP_4)
	v_add_nc_u32_e32 v17, -1, v17
	v_lshl_add_u32 v16, v16, 3, v10
	v_lshlrev_b16 v13, 8, v13
	s_delay_alu instid0(VALU_DEP_4) | instskip(NEXT) | instid1(VALU_DEP_4)
	v_cndmask_b32_e64 v5, v5, v18, s10
	v_min_u32_e32 v17, v18, v17
	v_cndmask_b32_e64 v14, v18, v14, s10
	s_delay_alu instid0(VALU_DEP_4) | instskip(NEXT) | instid1(VALU_DEP_4)
	v_or_b32_e32 v12, v12, v13
	v_cmp_lt_u32_e64 s11, v5, v31
	s_delay_alu instid0(VALU_DEP_4) | instskip(NEXT) | instid1(VALU_DEP_4)
	v_add_nc_u32_e32 v17, v11, v17
	v_cmp_ge_u32_e64 s15, v14, v9
	s_delay_alu instid0(VALU_DEP_4) | instskip(SKIP_4) | instid1(VALU_DEP_2)
	v_and_b32_e32 v12, 0xffff, v12
	ds_load_u8 v17, v17
	s_waitcnt lgkmcnt(0)
	v_cndmask_b32_e64 v28, v17, v15, s10
	v_cndmask_b32_e64 v29, v30, v17, s10
	v_and_b32_e32 v17, v28, v49
	s_delay_alu instid0(VALU_DEP_2) | instskip(NEXT) | instid1(VALU_DEP_1)
	v_and_b32_e32 v19, v29, v49
	v_cmp_le_u16_e64 s14, v17, v19
	s_delay_alu instid0(VALU_DEP_1) | instskip(NEXT) | instid1(SALU_CYCLE_1)
	s_and_b32 s11, s14, s11
	s_or_b32 s11, s15, s11
	s_delay_alu instid0(SALU_CYCLE_1) | instskip(SKIP_1) | instid1(VALU_DEP_2)
	v_cndmask_b32_e64 v17, v14, v5, s11
	v_cndmask_b32_e64 v18, v9, v31, s11
	v_add_nc_u32_e32 v19, 1, v17
	s_delay_alu instid0(VALU_DEP_2) | instskip(NEXT) | instid1(VALU_DEP_2)
	v_add_nc_u32_e32 v18, -1, v18
	v_cndmask_b32_e64 v5, v5, v19, s11
	s_delay_alu instid0(VALU_DEP_2) | instskip(SKIP_1) | instid1(VALU_DEP_3)
	v_min_u32_e32 v18, v19, v18
	v_cndmask_b32_e64 v14, v19, v14, s11
	v_cmp_lt_u32_e64 s14, v5, v31
	s_delay_alu instid0(VALU_DEP_3) | instskip(NEXT) | instid1(VALU_DEP_3)
	v_add_nc_u32_e32 v18, v11, v18
	v_cmp_ge_u32_e64 s16, v14, v9
	ds_load_u8 v18, v18
	s_waitcnt lgkmcnt(0)
	v_cndmask_b32_e64 v32, v18, v28, s11
	v_cndmask_b32_e64 v33, v29, v18, s11
	;; [unrolled: 1-line block ×3, first 2 shown]
	s_delay_alu instid0(VALU_DEP_3) | instskip(NEXT) | instid1(VALU_DEP_3)
	v_and_b32_e32 v18, v32, v49
	v_and_b32_e32 v20, v33, v49
	s_delay_alu instid0(VALU_DEP_3) | instskip(NEXT) | instid1(VALU_DEP_2)
	v_and_b32_e32 v28, 0xff, v28
	v_cmp_le_u16_e64 s15, v18, v20
	s_delay_alu instid0(VALU_DEP_1) | instskip(NEXT) | instid1(SALU_CYCLE_1)
	s_and_b32 s14, s15, s14
	s_or_b32 s14, s16, s14
	s_delay_alu instid0(SALU_CYCLE_1) | instskip(SKIP_1) | instid1(VALU_DEP_2)
	v_cndmask_b32_e64 v18, v14, v5, s14
	v_cndmask_b32_e64 v19, v9, v31, s14
	v_add_nc_u32_e32 v20, 1, v18
	s_delay_alu instid0(VALU_DEP_2) | instskip(NEXT) | instid1(VALU_DEP_2)
	v_add_nc_u32_e32 v19, -1, v19
	v_cndmask_b32_e64 v5, v5, v20, s14
	s_delay_alu instid0(VALU_DEP_2) | instskip(SKIP_1) | instid1(VALU_DEP_3)
	v_min_u32_e32 v19, v20, v19
	v_cndmask_b32_e64 v14, v20, v14, s14
	v_cmp_lt_u32_e64 s15, v5, v31
	s_delay_alu instid0(VALU_DEP_3) | instskip(NEXT) | instid1(VALU_DEP_3)
	v_add_nc_u32_e32 v19, v11, v19
	v_cmp_ge_u32_e64 s17, v14, v9
	ds_load_u8 v19, v19
	s_waitcnt lgkmcnt(0)
	v_cndmask_b32_e64 v34, v19, v32, s14
	v_cndmask_b32_e64 v35, v33, v19, s14
	;; [unrolled: 1-line block ×3, first 2 shown]
	s_delay_alu instid0(VALU_DEP_3) | instskip(NEXT) | instid1(VALU_DEP_3)
	v_and_b32_e32 v19, v34, v49
	v_and_b32_e32 v21, v35, v49
	s_delay_alu instid0(VALU_DEP_3) | instskip(NEXT) | instid1(VALU_DEP_2)
	v_lshlrev_b16 v29, 8, v32
	v_cmp_le_u16_e64 s16, v19, v21
	s_delay_alu instid0(VALU_DEP_1) | instskip(NEXT) | instid1(SALU_CYCLE_1)
	s_and_b32 s15, s16, s15
	s_or_b32 s15, s17, s15
	s_delay_alu instid0(SALU_CYCLE_1) | instskip(SKIP_1) | instid1(VALU_DEP_2)
	v_cndmask_b32_e64 v19, v14, v5, s15
	v_cndmask_b32_e64 v20, v9, v31, s15
	v_add_nc_u32_e32 v21, 1, v19
	s_delay_alu instid0(VALU_DEP_2) | instskip(SKIP_1) | instid1(VALU_DEP_3)
	v_add_nc_u32_e32 v20, -1, v20
	v_lshl_add_u32 v24, v19, 3, v10
	v_cndmask_b32_e64 v5, v5, v21, s15
	s_delay_alu instid0(VALU_DEP_3) | instskip(SKIP_1) | instid1(VALU_DEP_3)
	v_min_u32_e32 v20, v21, v20
	v_cndmask_b32_e64 v14, v21, v14, s15
	v_cmp_lt_u32_e64 s16, v5, v31
	s_delay_alu instid0(VALU_DEP_3) | instskip(NEXT) | instid1(VALU_DEP_3)
	v_add_nc_u32_e32 v20, v11, v20
	v_cmp_ge_u32_e64 s18, v14, v9
	ds_load_u8 v20, v20
	s_waitcnt lgkmcnt(0)
	v_cndmask_b32_e64 v36, v20, v34, s15
	v_cndmask_b32_e64 v37, v35, v20, s15
	s_delay_alu instid0(VALU_DEP_2) | instskip(NEXT) | instid1(VALU_DEP_2)
	v_and_b32_e32 v20, v36, v49
	v_and_b32_e32 v22, v37, v49
	s_delay_alu instid0(VALU_DEP_1) | instskip(NEXT) | instid1(VALU_DEP_1)
	v_cmp_le_u16_e64 s17, v20, v22
	s_and_b32 s16, s17, s16
	s_delay_alu instid0(SALU_CYCLE_1) | instskip(NEXT) | instid1(SALU_CYCLE_1)
	s_or_b32 s16, s18, s16
	v_cndmask_b32_e64 v22, v14, v5, s16
	v_cndmask_b32_e64 v20, v9, v31, s16
	s_delay_alu instid0(VALU_DEP_2) | instskip(NEXT) | instid1(VALU_DEP_2)
	v_add_nc_u32_e32 v21, 1, v22
	v_add_nc_u32_e32 v20, -1, v20
	v_lshl_add_u32 v25, v22, 3, v10
	s_delay_alu instid0(VALU_DEP_3) | instskip(NEXT) | instid1(VALU_DEP_3)
	v_cndmask_b32_e64 v51, v5, v21, s16
	v_min_u32_e32 v20, v21, v20
	v_cndmask_b32_e64 v14, v21, v14, s16
	s_delay_alu instid0(VALU_DEP_3) | instskip(NEXT) | instid1(VALU_DEP_3)
	v_cmp_lt_u32_e64 s17, v51, v31
	v_add_nc_u32_e32 v20, v11, v20
	s_delay_alu instid0(VALU_DEP_3) | instskip(SKIP_4) | instid1(VALU_DEP_2)
	v_cmp_ge_u32_e64 s19, v14, v9
	ds_load_u8 v20, v20
	s_waitcnt lgkmcnt(0)
	v_cndmask_b32_e64 v48, v20, v36, s16
	v_cndmask_b32_e64 v50, v37, v20, s16
	v_and_b32_e32 v5, v48, v49
	s_delay_alu instid0(VALU_DEP_2) | instskip(NEXT) | instid1(VALU_DEP_1)
	v_and_b32_e32 v20, v50, v49
	v_cmp_le_u16_e64 s18, v5, v20
	s_delay_alu instid0(VALU_DEP_1) | instskip(NEXT) | instid1(SALU_CYCLE_1)
	s_and_b32 s17, s18, s17
	s_or_b32 s17, s19, s17
	s_delay_alu instid0(SALU_CYCLE_1) | instskip(SKIP_1) | instid1(VALU_DEP_2)
	v_cndmask_b32_e64 v23, v14, v51, s17
	v_cndmask_b32_e64 v5, v9, v31, s17
	v_add_nc_u32_e32 v52, 1, v23
	s_delay_alu instid0(VALU_DEP_2) | instskip(SKIP_1) | instid1(VALU_DEP_3)
	v_add_nc_u32_e32 v5, -1, v5
	v_lshl_add_u32 v53, v23, 3, v10
	v_cndmask_b32_e64 v15, v51, v52, s17
	s_delay_alu instid0(VALU_DEP_3) | instskip(SKIP_1) | instid1(VALU_DEP_3)
	v_min_u32_e32 v5, v52, v5
	v_cndmask_b32_e64 v14, v52, v14, s17
	v_cmp_lt_u32_e64 s7, v15, v31
	s_delay_alu instid0(VALU_DEP_3) | instskip(NEXT) | instid1(VALU_DEP_3)
	v_add_nc_u32_e32 v5, v11, v5
	v_cmp_ge_u32_e64 s11, v14, v9
	v_cndmask_b32_e64 v9, v34, v35, s15
	v_cndmask_b32_e64 v31, v48, v50, s17
	ds_load_u8 v11, v5
	ds_load_b64 v[4:5], v4 offset:2048
	ds_load_b64 v[20:21], v16 offset:2048
	v_lshl_add_u32 v16, v17, 3, v10
	v_lshl_add_u32 v17, v18, 3, v10
	ds_load_b64 v[22:23], v16 offset:2048
	ds_load_b64 v[18:19], v17 offset:2048
	;; [unrolled: 1-line block ×5, first 2 shown]
	v_and_b32_e32 v9, 0xff, v9
	v_and_b32_e32 v31, 0xff, v31
	s_waitcnt lgkmcnt(7)
	v_cndmask_b32_e64 v53, v11, v48, s17
	v_cndmask_b32_e64 v11, v50, v11, s17
	s_delay_alu instid0(VALU_DEP_2) | instskip(NEXT) | instid1(VALU_DEP_2)
	v_and_b32_e32 v30, v53, v49
	v_and_b32_e32 v49, v11, v49
	s_delay_alu instid0(VALU_DEP_1) | instskip(SKIP_1) | instid1(VALU_DEP_2)
	v_cmp_le_u16_e64 s10, v30, v49
	v_cndmask_b32_e64 v30, v36, v37, s16
	s_and_b32 s7, s10, s7
	s_delay_alu instid0(VALU_DEP_1) | instskip(SKIP_1) | instid1(SALU_CYCLE_1)
	v_lshlrev_b16 v30, 8, v30
	s_or_b32 s7, s11, s7
	v_cndmask_b32_e64 v14, v14, v15, s7
	v_cndmask_b32_e64 v11, v53, v11, s7
	s_delay_alu instid0(VALU_DEP_3) | instskip(NEXT) | instid1(VALU_DEP_3)
	v_or_b32_e32 v9, v9, v30
	v_lshl_add_u32 v10, v14, 3, v10
	s_delay_alu instid0(VALU_DEP_3) | instskip(NEXT) | instid1(VALU_DEP_3)
	v_lshlrev_b16 v11, 8, v11
	v_and_b32_e32 v9, 0xffff, v9
	ds_load_b64 v[14:15], v10 offset:2048
	v_or_b32_e32 v10, v31, v11
	v_or_b32_e32 v11, v28, v29
	s_delay_alu instid0(VALU_DEP_2) | instskip(NEXT) | instid1(VALU_DEP_2)
	v_lshlrev_b32_e32 v10, 16, v10
	v_lshlrev_b32_e32 v11, 16, v11
	s_delay_alu instid0(VALU_DEP_2) | instskip(NEXT) | instid1(VALU_DEP_2)
	v_or_b32_e32 v13, v9, v10
	v_or_b32_e32 v12, v12, v11
.LBB1549_120:
	s_or_b32 exec_lo, exec_lo, s21
	; wave barrier
	s_waitcnt lgkmcnt(0)
	s_waitcnt_vscnt null, 0x0
	s_barrier
                                        ; implicit-def: $vgpr48
                                        ; implicit-def: $vgpr28_vgpr29
                                        ; implicit-def: $vgpr9
                                        ; implicit-def: $vgpr32
                                        ; implicit-def: $vgpr30
.LBB1549_121:
	s_and_not1_saveexec_b32 s16, s20
	s_cbranch_execz .LBB1549_217
; %bb.122:
	s_load_b64 s[10:11], s[8:9], 0x0
	v_mov_b32_e32 v10, 0
	v_dual_mov_b32 v12, v28 :: v_dual_mov_b32 v13, v29
	s_waitcnt lgkmcnt(0)
	s_cmp_lt_u32 s13, s11
	s_cselect_b32 s7, 14, 20
	s_delay_alu instid0(SALU_CYCLE_1)
	s_add_u32 s14, s8, s7
	s_addc_u32 s15, s9, 0
	s_cmp_lt_u32 s12, s10
	global_load_u16 v11, v10, s[14:15]
	s_cselect_b32 s7, 12, 18
	s_mov_b32 s10, exec_lo
	s_add_u32 s8, s8, s7
	s_addc_u32 s9, s9, 0
	global_load_u16 v10, v10, s[8:9]
	s_waitcnt vmcnt(1)
	v_mad_u32_u24 v9, v32, v11, v9
	s_waitcnt vmcnt(0)
	s_delay_alu instid0(VALU_DEP_1) | instskip(NEXT) | instid1(VALU_DEP_1)
	v_mul_lo_u32 v9, v9, v10
	v_add_lshl_u32 v34, v9, v30, 3
	s_delay_alu instid0(VALU_DEP_1)
	v_cmpx_gt_u32_e32 0x800, v34
	s_cbranch_execz .LBB1549_176
; %bb.123:
	v_lshrrev_b32_e32 v36, 8, v28
	v_and_b32_e32 v9, 0xff, v28
	v_mov_b32_e32 v35, v28
	s_mov_b32 s8, exec_lo
	v_dual_mov_b32 v11, v20 :: v_dual_mov_b32 v12, v21
	v_and_b32_e32 v10, 0xff, v36
	s_delay_alu instid0(VALU_DEP_1)
	v_cmpx_gt_u16_e64 v10, v9
; %bb.124:
	v_perm_b32 v9, 0, v28, 0xc0c0001
	v_dual_mov_b32 v35, 1 :: v_dual_mov_b32 v36, 0
	v_dual_mov_b32 v12, v5 :: v_dual_mov_b32 v11, v4
	s_delay_alu instid0(VALU_DEP_3)
	v_and_or_b32 v28, 0xffff0000, v28, v9
	v_dual_mov_b32 v4, v20 :: v_dual_mov_b32 v5, v21
; %bb.125:
	s_or_b32 exec_lo, exec_lo, s8
	s_delay_alu instid0(VALU_DEP_2) | instskip(SKIP_3) | instid1(VALU_DEP_2)
	v_lshrrev_b64 v[9:10], 24, v[28:29]
	v_lshrrev_b32_e32 v37, 16, v28
	s_mov_b32 s8, exec_lo
	v_dual_mov_b32 v31, v19 :: v_dual_mov_b32 v30, v18
	v_and_b32_e32 v10, 0xff, v37
	s_delay_alu instid0(VALU_DEP_4) | instskip(NEXT) | instid1(VALU_DEP_1)
	v_and_b32_e32 v13, 0xff, v9
	v_cmpx_gt_u16_e64 v13, v10
; %bb.126:
	v_perm_b32 v9, 0, v37, 0xc0c0001
	v_mov_b32_e32 v31, v23
	v_dual_mov_b32 v37, 1 :: v_dual_mov_b32 v30, v22
	s_delay_alu instid0(VALU_DEP_3) | instskip(SKIP_1) | instid1(VALU_DEP_2)
	v_dual_mov_b32 v23, v19 :: v_dual_lshlrev_b32 v10, 16, v9
	v_dual_mov_b32 v9, 0 :: v_dual_mov_b32 v22, v18
	v_and_or_b32 v28, 0xffff, v28, v10
; %bb.127:
	s_or_b32 exec_lo, exec_lo, s8
	v_lshrrev_b32_e32 v49, 8, v29
	v_and_b32_e32 v10, 0xff, v29
	v_mov_b32_e32 v50, v29
	s_mov_b32 s8, exec_lo
	v_dual_mov_b32 v18, v26 :: v_dual_mov_b32 v19, v27
	v_and_b32_e32 v13, 0xff, v49
	s_delay_alu instid0(VALU_DEP_1)
	v_cmpx_gt_u16_e64 v13, v10
; %bb.128:
	v_perm_b32 v29, v29, v29, 0x7060405
	v_dual_mov_b32 v49, 0 :: v_dual_mov_b32 v50, 1
	v_dual_mov_b32 v19, v17 :: v_dual_mov_b32 v18, v16
	;; [unrolled: 1-line block ×3, first 2 shown]
; %bb.129:
	s_or_b32 exec_lo, exec_lo, s8
	v_lshrrev_b32_e32 v51, 16, v29
	v_lshrrev_b32_e32 v52, 24, v29
	s_mov_b32 s8, exec_lo
	v_dual_mov_b32 v27, v25 :: v_dual_mov_b32 v26, v24
	s_delay_alu instid0(VALU_DEP_3) | instskip(NEXT) | instid1(VALU_DEP_1)
	v_and_b32_e32 v10, 0xff, v51
	v_cmpx_gt_u16_e64 v52, v10
; %bb.130:
	v_dual_mov_b32 v52, 0 :: v_dual_mov_b32 v51, 1
	v_perm_b32 v29, v29, v29, 0x6070504
	v_dual_mov_b32 v27, v15 :: v_dual_mov_b32 v26, v14
	v_dual_mov_b32 v14, v24 :: v_dual_mov_b32 v15, v25
; %bb.131:
	s_or_b32 exec_lo, exec_lo, s8
	v_and_b32_e32 v10, 0xff, v36
	v_dual_mov_b32 v20, v22 :: v_dual_and_b32 v13, 0xff, v37
	v_mov_b32_e32 v21, v23
	s_delay_alu instid0(VALU_DEP_2) | instskip(NEXT) | instid1(VALU_DEP_1)
	v_cmp_gt_u16_e64 s7, v13, v10
	s_and_saveexec_b32 s8, s7
	s_delay_alu instid0(SALU_CYCLE_1)
	s_xor_b32 s7, exec_lo, s8
	s_cbranch_execz .LBB1549_133
; %bb.132:
	v_lshrrev_b32_e32 v13, 16, v28
	v_and_b32_e32 v20, 0xff, v28
	v_lshlrev_b16 v21, 8, v37
	v_dual_mov_b32 v37, 0 :: v_dual_mov_b32 v36, 1
	s_delay_alu instid0(VALU_DEP_4) | instskip(NEXT) | instid1(VALU_DEP_3)
	v_and_b32_e32 v13, 0xffffff00, v13
	v_or_b32_e32 v20, v20, v21
	s_delay_alu instid0(VALU_DEP_2) | instskip(NEXT) | instid1(VALU_DEP_2)
	v_or_b32_e32 v10, v10, v13
	v_and_b32_e32 v13, 0xffff, v20
	v_dual_mov_b32 v21, v12 :: v_dual_mov_b32 v20, v11
	s_delay_alu instid0(VALU_DEP_3) | instskip(SKIP_1) | instid1(VALU_DEP_2)
	v_dual_mov_b32 v11, v22 :: v_dual_lshlrev_b32 v10, 16, v10
	v_mov_b32_e32 v12, v23
	v_or_b32_e32 v28, v13, v10
.LBB1549_133:
	s_or_b32 exec_lo, exec_lo, s7
	v_dual_mov_b32 v33, v31 :: v_dual_and_b32 v10, 0xff, v9
	v_dual_mov_b32 v32, v30 :: v_dual_and_b32 v13, 0xff, v50
	s_mov_b32 s8, exec_lo
	s_delay_alu instid0(VALU_DEP_1)
	v_cmpx_gt_u16_e64 v13, v10
; %bb.134:
	v_lshrrev_b32_e32 v10, 16, v28
	v_lshlrev_b16 v13, 8, v50
	v_perm_b32 v29, v9, v29, 0x3020104
	v_dual_mov_b32 v50, 0 :: v_dual_mov_b32 v9, 1
	s_delay_alu instid0(VALU_DEP_4) | instskip(SKIP_2) | instid1(VALU_DEP_3)
	v_dual_mov_b32 v33, v19 :: v_dual_and_b32 v10, 0xff, v10
	v_mov_b32_e32 v32, v18
	v_dual_mov_b32 v18, v30 :: v_dual_mov_b32 v19, v31
	v_or_b32_e32 v10, v10, v13
	s_delay_alu instid0(VALU_DEP_1) | instskip(NEXT) | instid1(VALU_DEP_1)
	v_lshlrev_b32_e32 v10, 16, v10
	v_and_or_b32 v28, 0xffff, v28, v10
; %bb.135:
	s_or_b32 exec_lo, exec_lo, s8
	v_dual_mov_b32 v23, v17 :: v_dual_and_b32 v10, 0xff, v49
	v_dual_mov_b32 v22, v16 :: v_dual_and_b32 v13, 0xff, v51
	s_mov_b32 s8, exec_lo
	s_delay_alu instid0(VALU_DEP_1)
	v_cmpx_gt_u16_e64 v13, v10
; %bb.136:
	v_lshrrev_b32_e32 v13, 16, v29
	v_dual_mov_b32 v49, 1 :: v_dual_and_b32 v22, 0xff, v29
	v_lshlrev_b16 v23, 8, v51
	v_mov_b32_e32 v51, 0
	s_delay_alu instid0(VALU_DEP_4) | instskip(NEXT) | instid1(VALU_DEP_3)
	v_and_b32_e32 v13, 0xffffff00, v13
	v_or_b32_e32 v22, v22, v23
	s_delay_alu instid0(VALU_DEP_2) | instskip(NEXT) | instid1(VALU_DEP_2)
	v_or_b32_e32 v10, v10, v13
	v_dual_mov_b32 v22, v26 :: v_dual_and_b32 v13, 0xffff, v22
	s_delay_alu instid0(VALU_DEP_2) | instskip(SKIP_1) | instid1(VALU_DEP_2)
	v_dual_mov_b32 v23, v27 :: v_dual_lshlrev_b32 v10, 16, v10
	v_dual_mov_b32 v27, v17 :: v_dual_mov_b32 v26, v16
	v_or_b32_e32 v29, v13, v10
; %bb.137:
	s_or_b32 exec_lo, exec_lo, s8
	v_dual_mov_b32 v17, v12 :: v_dual_and_b32 v10, 0xff, v36
	v_dual_mov_b32 v16, v11 :: v_dual_and_b32 v13, 0xff, v35
	s_mov_b32 s8, exec_lo
	s_delay_alu instid0(VALU_DEP_1)
	v_cmpx_gt_u16_e64 v10, v13
; %bb.138:
	v_lshlrev_b16 v13, 8, v35
	v_dual_mov_b32 v36, 0 :: v_dual_mov_b32 v17, v5
	v_mov_b32_e32 v16, v4
	v_dual_mov_b32 v4, v11 :: v_dual_mov_b32 v5, v12
	s_delay_alu instid0(VALU_DEP_4) | instskip(NEXT) | instid1(VALU_DEP_1)
	v_or_b32_e32 v10, v10, v13
	v_dual_mov_b32 v35, 1 :: v_dual_and_b32 v10, 0xffff, v10
	s_delay_alu instid0(VALU_DEP_1)
	v_and_or_b32 v28, 0xffff0000, v28, v10
; %bb.139:
	s_or_b32 exec_lo, exec_lo, s8
	v_dual_mov_b32 v24, v32 :: v_dual_and_b32 v11, 0xff, v37
	v_dual_mov_b32 v25, v33 :: v_dual_and_b32 v10, 0xff, v9
	s_mov_b32 s8, exec_lo
	s_delay_alu instid0(VALU_DEP_1)
	v_cmpx_gt_u16_e64 v10, v11
; %bb.140:
	v_lshlrev_b16 v9, 8, v37
	v_mov_b32_e32 v25, v21
	v_dual_mov_b32 v37, 1 :: v_dual_mov_b32 v24, v20
	v_mov_b32_e32 v20, v32
	s_delay_alu instid0(VALU_DEP_4) | instskip(NEXT) | instid1(VALU_DEP_1)
	v_or_b32_e32 v9, v10, v9
	v_dual_mov_b32 v21, v33 :: v_dual_lshlrev_b32 v10, 16, v9
	v_mov_b32_e32 v9, 0
	s_delay_alu instid0(VALU_DEP_2)
	v_and_or_b32 v28, 0xffff, v28, v10
; %bb.141:
	s_or_b32 exec_lo, exec_lo, s8
	v_and_b32_e32 v10, 0xff, v50
	v_and_b32_e32 v12, 0xff, v49
	s_delay_alu instid0(VALU_DEP_1) | instskip(SKIP_1) | instid1(VALU_DEP_2)
	v_cmp_gt_u16_e64 s7, v12, v10
	v_dual_mov_b32 v10, v18 :: v_dual_mov_b32 v11, v19
	s_and_saveexec_b32 s8, s7
; %bb.142:
	v_lshlrev_b16 v10, 8, v50
	v_dual_mov_b32 v50, 1 :: v_dual_mov_b32 v49, 0
	s_delay_alu instid0(VALU_DEP_2) | instskip(NEXT) | instid1(VALU_DEP_1)
	v_or_b32_e32 v10, v12, v10
	v_and_b32_e32 v12, 0xffff, v10
	v_dual_mov_b32 v10, v22 :: v_dual_mov_b32 v11, v23
	v_dual_mov_b32 v23, v19 :: v_dual_mov_b32 v22, v18
	s_delay_alu instid0(VALU_DEP_3)
	v_and_or_b32 v29, 0xffff0000, v29, v12
; %bb.143:
	s_or_b32 exec_lo, exec_lo, s8
	v_and_b32_e32 v12, 0xff, v51
	s_delay_alu instid0(VALU_DEP_1) | instskip(SKIP_1) | instid1(VALU_DEP_2)
	v_cmp_gt_u16_e64 s7, v52, v12
	v_dual_mov_b32 v12, v26 :: v_dual_mov_b32 v13, v27
	s_and_saveexec_b32 s8, s7
; %bb.144:
	v_lshlrev_b16 v12, 8, v51
	v_mov_b32_e32 v51, 1
	s_delay_alu instid0(VALU_DEP_2) | instskip(SKIP_1) | instid1(VALU_DEP_2)
	v_or_b32_e32 v12, v52, v12
	v_mov_b32_e32 v52, 0
	v_lshlrev_b32_e32 v18, 16, v12
	v_dual_mov_b32 v12, v14 :: v_dual_mov_b32 v13, v15
	v_dual_mov_b32 v14, v26 :: v_dual_mov_b32 v15, v27
	s_delay_alu instid0(VALU_DEP_3)
	v_and_or_b32 v29, 0xffff, v29, v18
; %bb.145:
	s_or_b32 exec_lo, exec_lo, s8
	v_and_b32_e32 v26, 0xff, v36
	v_and_b32_e32 v18, 0xff, v37
	s_delay_alu instid0(VALU_DEP_1) | instskip(SKIP_1) | instid1(VALU_DEP_2)
	v_cmp_gt_u16_e64 s7, v18, v26
	v_dual_mov_b32 v18, v20 :: v_dual_mov_b32 v19, v21
	s_and_saveexec_b32 s8, s7
; %bb.146:
	v_lshrrev_b32_e32 v18, 16, v28
	v_dual_mov_b32 v36, 1 :: v_dual_and_b32 v19, 0xff, v28
	v_lshlrev_b16 v27, 8, v37
	s_delay_alu instid0(VALU_DEP_3) | instskip(NEXT) | instid1(VALU_DEP_2)
	v_dual_mov_b32 v37, 0 :: v_dual_and_b32 v18, 0xffffff00, v18
	v_or_b32_e32 v19, v19, v27
	s_delay_alu instid0(VALU_DEP_2) | instskip(NEXT) | instid1(VALU_DEP_2)
	v_or_b32_e32 v18, v26, v18
	v_and_b32_e32 v26, 0xffff, v19
	s_delay_alu instid0(VALU_DEP_2) | instskip(SKIP_2) | instid1(VALU_DEP_3)
	v_lshlrev_b32_e32 v27, 16, v18
	v_dual_mov_b32 v19, v17 :: v_dual_mov_b32 v18, v16
	v_dual_mov_b32 v16, v20 :: v_dual_mov_b32 v17, v21
	v_or_b32_e32 v28, v26, v27
; %bb.147:
	s_or_b32 exec_lo, exec_lo, s8
	v_dual_mov_b32 v27, v25 :: v_dual_and_b32 v20, 0xff, v9
	v_dual_mov_b32 v26, v24 :: v_dual_and_b32 v21, 0xff, v50
	s_mov_b32 s8, exec_lo
	s_delay_alu instid0(VALU_DEP_1)
	v_cmpx_gt_u16_e64 v21, v20
; %bb.148:
	v_lshrrev_b32_e32 v20, 16, v28
	v_lshlrev_b16 v21, 8, v50
	v_perm_b32 v29, v9, v29, 0x3020104
	v_dual_mov_b32 v50, 0 :: v_dual_mov_b32 v9, 1
	s_delay_alu instid0(VALU_DEP_4) | instskip(SKIP_2) | instid1(VALU_DEP_3)
	v_dual_mov_b32 v27, v11 :: v_dual_and_b32 v20, 0xff, v20
	v_mov_b32_e32 v26, v10
	v_dual_mov_b32 v10, v24 :: v_dual_mov_b32 v11, v25
	v_or_b32_e32 v20, v20, v21
	s_delay_alu instid0(VALU_DEP_1) | instskip(NEXT) | instid1(VALU_DEP_1)
	v_lshlrev_b32_e32 v20, 16, v20
	v_and_or_b32 v28, 0xffff, v28, v20
; %bb.149:
	s_or_b32 exec_lo, exec_lo, s8
	v_dual_mov_b32 v25, v23 :: v_dual_and_b32 v20, 0xff, v49
	v_dual_mov_b32 v24, v22 :: v_dual_and_b32 v21, 0xff, v51
	s_mov_b32 s8, exec_lo
	s_delay_alu instid0(VALU_DEP_1)
	v_cmpx_gt_u16_e64 v21, v20
	s_cbranch_execz .LBB1549_151
; %bb.150:
	v_lshrrev_b32_e32 v21, 16, v29
	v_dual_mov_b32 v49, 1 :: v_dual_and_b32 v24, 0xff, v29
	v_lshlrev_b16 v25, 8, v51
	v_mov_b32_e32 v51, 0
	s_delay_alu instid0(VALU_DEP_4) | instskip(NEXT) | instid1(VALU_DEP_3)
	v_and_b32_e32 v21, 0xffffff00, v21
	v_or_b32_e32 v24, v24, v25
	s_delay_alu instid0(VALU_DEP_2) | instskip(NEXT) | instid1(VALU_DEP_2)
	v_or_b32_e32 v20, v20, v21
	v_and_b32_e32 v21, 0xffff, v24
	s_delay_alu instid0(VALU_DEP_2) | instskip(SKIP_2) | instid1(VALU_DEP_3)
	v_dual_mov_b32 v25, v13 :: v_dual_lshlrev_b32 v20, 16, v20
	v_mov_b32_e32 v24, v12
	v_dual_mov_b32 v12, v22 :: v_dual_mov_b32 v13, v23
	v_or_b32_e32 v29, v21, v20
.LBB1549_151:
	s_or_b32 exec_lo, exec_lo, s8
	v_and_b32_e32 v20, 0xff, v35
	v_and_b32_e32 v22, 0xff, v36
	s_delay_alu instid0(VALU_DEP_1) | instskip(SKIP_1) | instid1(VALU_DEP_2)
	v_cmp_gt_u16_e64 s7, v22, v20
	v_dual_mov_b32 v21, v17 :: v_dual_mov_b32 v20, v16
	s_and_saveexec_b32 s8, s7
; %bb.152:
	v_lshlrev_b16 v20, 8, v35
	v_dual_mov_b32 v36, 0 :: v_dual_mov_b32 v35, 1
	s_delay_alu instid0(VALU_DEP_2) | instskip(NEXT) | instid1(VALU_DEP_1)
	v_or_b32_e32 v20, v22, v20
	v_dual_mov_b32 v21, v5 :: v_dual_and_b32 v22, 0xffff, v20
	v_mov_b32_e32 v20, v4
	v_dual_mov_b32 v4, v16 :: v_dual_mov_b32 v5, v17
	s_delay_alu instid0(VALU_DEP_3)
	v_and_or_b32 v28, 0xffff0000, v28, v22
; %bb.153:
	s_or_b32 exec_lo, exec_lo, s8
	v_and_b32_e32 v16, 0xff, v37
	v_and_b32_e32 v22, 0xff, v9
	s_delay_alu instid0(VALU_DEP_1) | instskip(SKIP_1) | instid1(VALU_DEP_2)
	v_cmp_gt_u16_e64 s7, v22, v16
	v_dual_mov_b32 v16, v26 :: v_dual_mov_b32 v17, v27
	s_and_saveexec_b32 s8, s7
; %bb.154:
	v_lshlrev_b16 v9, 8, v37
	v_dual_mov_b32 v37, 1 :: v_dual_mov_b32 v16, v18
	v_dual_mov_b32 v17, v19 :: v_dual_mov_b32 v18, v26
	s_delay_alu instid0(VALU_DEP_3) | instskip(NEXT) | instid1(VALU_DEP_1)
	v_or_b32_e32 v9, v22, v9
	v_dual_mov_b32 v19, v27 :: v_dual_lshlrev_b32 v22, 16, v9
	v_mov_b32_e32 v9, 0
	s_delay_alu instid0(VALU_DEP_2)
	v_and_or_b32 v28, 0xffff, v28, v22
; %bb.155:
	s_or_b32 exec_lo, exec_lo, s8
	v_and_b32_e32 v22, 0xff, v50
	v_and_b32_e32 v26, 0xff, v49
	s_delay_alu instid0(VALU_DEP_1) | instskip(SKIP_1) | instid1(VALU_DEP_2)
	v_cmp_gt_u16_e64 s7, v26, v22
	v_dual_mov_b32 v23, v11 :: v_dual_mov_b32 v22, v10
	s_and_saveexec_b32 s8, s7
; %bb.156:
	v_lshlrev_b16 v22, 8, v50
	v_dual_mov_b32 v50, 1 :: v_dual_mov_b32 v49, 0
	s_delay_alu instid0(VALU_DEP_2) | instskip(NEXT) | instid1(VALU_DEP_1)
	v_or_b32_e32 v22, v26, v22
	v_and_b32_e32 v26, 0xffff, v22
	v_dual_mov_b32 v22, v24 :: v_dual_mov_b32 v23, v25
	v_dual_mov_b32 v25, v11 :: v_dual_mov_b32 v24, v10
	s_delay_alu instid0(VALU_DEP_3)
	v_and_or_b32 v29, 0xffff0000, v29, v26
; %bb.157:
	s_or_b32 exec_lo, exec_lo, s8
	v_dual_mov_b32 v27, v13 :: v_dual_and_b32 v10, 0xff, v51
	v_mov_b32_e32 v26, v12
	s_mov_b32 s8, exec_lo
	s_delay_alu instid0(VALU_DEP_2)
	v_cmpx_gt_u16_e64 v52, v10
; %bb.158:
	v_lshlrev_b16 v10, 8, v51
	v_dual_mov_b32 v27, v15 :: v_dual_mov_b32 v26, v14
	v_dual_mov_b32 v15, v13 :: v_dual_mov_b32 v14, v12
	s_delay_alu instid0(VALU_DEP_3) | instskip(SKIP_1) | instid1(VALU_DEP_2)
	v_or_b32_e32 v10, v52, v10
	v_dual_mov_b32 v52, 0 :: v_dual_mov_b32 v51, 1
	v_lshlrev_b32_e32 v10, 16, v10
	s_delay_alu instid0(VALU_DEP_1)
	v_and_or_b32 v29, 0xffff, v29, v10
; %bb.159:
	s_or_b32 exec_lo, exec_lo, s8
	v_and_b32_e32 v12, 0xff, v36
	v_and_b32_e32 v10, 0xff, v37
	s_delay_alu instid0(VALU_DEP_1) | instskip(SKIP_1) | instid1(VALU_DEP_2)
	v_cmp_gt_u16_e64 s7, v10, v12
	v_dual_mov_b32 v10, v18 :: v_dual_mov_b32 v11, v19
	s_and_saveexec_b32 s8, s7
; %bb.160:
	v_lshrrev_b32_e32 v10, 16, v28
	v_dual_mov_b32 v36, 1 :: v_dual_and_b32 v11, 0xff, v28
	v_lshlrev_b16 v13, 8, v37
	s_delay_alu instid0(VALU_DEP_3) | instskip(NEXT) | instid1(VALU_DEP_2)
	v_dual_mov_b32 v37, 0 :: v_dual_and_b32 v10, 0xffffff00, v10
	v_or_b32_e32 v11, v11, v13
	s_delay_alu instid0(VALU_DEP_2) | instskip(NEXT) | instid1(VALU_DEP_2)
	v_or_b32_e32 v10, v12, v10
	v_and_b32_e32 v12, 0xffff, v11
	s_delay_alu instid0(VALU_DEP_2) | instskip(SKIP_2) | instid1(VALU_DEP_3)
	v_dual_mov_b32 v10, v20 :: v_dual_lshlrev_b32 v13, 16, v10
	v_mov_b32_e32 v11, v21
	v_dual_mov_b32 v21, v19 :: v_dual_mov_b32 v20, v18
	v_or_b32_e32 v28, v12, v13
; %bb.161:
	s_or_b32 exec_lo, exec_lo, s8
	v_dual_mov_b32 v19, v17 :: v_dual_and_b32 v12, 0xff, v9
	v_dual_mov_b32 v18, v16 :: v_dual_and_b32 v13, 0xff, v50
	s_mov_b32 s8, exec_lo
	s_delay_alu instid0(VALU_DEP_1)
	v_cmpx_gt_u16_e64 v13, v12
; %bb.162:
	v_lshrrev_b32_e32 v12, 16, v28
	v_lshlrev_b16 v13, 8, v50
	v_perm_b32 v29, v9, v29, 0x3020104
	v_mov_b32_e32 v18, v22
	v_mov_b32_e32 v50, 0
	v_dual_mov_b32 v9, 1 :: v_dual_and_b32 v12, 0xff, v12
	v_mov_b32_e32 v19, v23
	v_dual_mov_b32 v23, v17 :: v_dual_mov_b32 v22, v16
	s_delay_alu instid0(VALU_DEP_3) | instskip(NEXT) | instid1(VALU_DEP_1)
	v_or_b32_e32 v12, v12, v13
	v_lshlrev_b32_e32 v12, 16, v12
	s_delay_alu instid0(VALU_DEP_1)
	v_and_or_b32 v28, 0xffff, v28, v12
; %bb.163:
	s_or_b32 exec_lo, exec_lo, s8
	v_dual_mov_b32 v16, v24 :: v_dual_and_b32 v13, 0xff, v51
	v_dual_mov_b32 v17, v25 :: v_dual_and_b32 v12, 0xff, v49
	s_mov_b32 s8, exec_lo
	s_delay_alu instid0(VALU_DEP_1)
	v_cmpx_gt_u16_e64 v13, v12
; %bb.164:
	v_lshrrev_b32_e32 v13, 16, v29
	v_dual_mov_b32 v49, 1 :: v_dual_and_b32 v16, 0xff, v29
	v_lshlrev_b16 v17, 8, v51
	v_mov_b32_e32 v51, 0
	s_delay_alu instid0(VALU_DEP_4) | instskip(NEXT) | instid1(VALU_DEP_3)
	v_and_b32_e32 v13, 0xffffff00, v13
	v_or_b32_e32 v16, v16, v17
	s_delay_alu instid0(VALU_DEP_2) | instskip(NEXT) | instid1(VALU_DEP_2)
	v_or_b32_e32 v12, v12, v13
	v_dual_mov_b32 v16, v26 :: v_dual_and_b32 v13, 0xffff, v16
	s_delay_alu instid0(VALU_DEP_2) | instskip(SKIP_1) | instid1(VALU_DEP_2)
	v_dual_mov_b32 v17, v27 :: v_dual_lshlrev_b32 v12, 16, v12
	v_dual_mov_b32 v27, v25 :: v_dual_mov_b32 v26, v24
	v_or_b32_e32 v29, v13, v12
; %bb.165:
	s_or_b32 exec_lo, exec_lo, s8
	v_and_b32_e32 v12, 0xff, v35
	v_and_b32_e32 v24, 0xff, v36
	s_delay_alu instid0(VALU_DEP_1) | instskip(SKIP_1) | instid1(VALU_DEP_2)
	v_cmp_gt_u16_e64 s7, v24, v12
	v_dual_mov_b32 v12, v20 :: v_dual_mov_b32 v13, v21
	s_and_saveexec_b32 s8, s7
; %bb.166:
	v_lshlrev_b16 v12, 8, v35
	v_dual_mov_b32 v36, 0 :: v_dual_mov_b32 v35, 1
	s_delay_alu instid0(VALU_DEP_2) | instskip(NEXT) | instid1(VALU_DEP_1)
	v_or_b32_e32 v12, v24, v12
	v_dual_mov_b32 v13, v5 :: v_dual_and_b32 v24, 0xffff, v12
	v_mov_b32_e32 v12, v4
	v_dual_mov_b32 v4, v20 :: v_dual_mov_b32 v5, v21
	s_delay_alu instid0(VALU_DEP_3)
	v_and_or_b32 v28, 0xffff0000, v28, v24
; %bb.167:
	s_or_b32 exec_lo, exec_lo, s8
	v_dual_mov_b32 v25, v19 :: v_dual_and_b32 v20, 0xff, v9
	v_dual_mov_b32 v24, v18 :: v_dual_and_b32 v21, 0xff, v37
	s_mov_b32 s8, exec_lo
	s_delay_alu instid0(VALU_DEP_1)
	v_cmpx_gt_u16_e64 v20, v21
; %bb.168:
	v_lshlrev_b16 v9, 8, v37
	v_mov_b32_e32 v25, v11
	v_dual_mov_b32 v37, 1 :: v_dual_mov_b32 v24, v10
	v_mov_b32_e32 v10, v18
	s_delay_alu instid0(VALU_DEP_4) | instskip(NEXT) | instid1(VALU_DEP_1)
	v_or_b32_e32 v9, v20, v9
	v_dual_mov_b32 v11, v19 :: v_dual_lshlrev_b32 v20, 16, v9
	v_mov_b32_e32 v9, 0
	s_delay_alu instid0(VALU_DEP_2)
	v_and_or_b32 v28, 0xffff, v28, v20
; %bb.169:
	s_or_b32 exec_lo, exec_lo, s8
	v_dual_mov_b32 v31, v23 :: v_dual_and_b32 v18, 0xff, v49
	v_dual_mov_b32 v30, v22 :: v_dual_and_b32 v19, 0xff, v50
	s_mov_b32 s8, exec_lo
	s_delay_alu instid0(VALU_DEP_1)
	v_cmpx_gt_u16_e64 v18, v19
; %bb.170:
	v_lshlrev_b16 v19, 8, v50
	v_dual_mov_b32 v50, 1 :: v_dual_mov_b32 v31, v17
	v_mov_b32_e32 v30, v16
	v_dual_mov_b32 v16, v22 :: v_dual_mov_b32 v17, v23
	s_delay_alu instid0(VALU_DEP_4) | instskip(NEXT) | instid1(VALU_DEP_1)
	v_or_b32_e32 v18, v18, v19
	v_dual_mov_b32 v49, 0 :: v_dual_and_b32 v18, 0xffff, v18
	s_delay_alu instid0(VALU_DEP_1)
	v_and_or_b32 v29, 0xffff0000, v29, v18
; %bb.171:
	s_or_b32 exec_lo, exec_lo, s8
	v_dual_mov_b32 v33, v27 :: v_dual_and_b32 v18, 0xff, v51
	v_mov_b32_e32 v32, v26
	s_mov_b32 s8, exec_lo
	s_delay_alu instid0(VALU_DEP_2)
	v_cmpx_gt_u16_e64 v52, v18
; %bb.172:
	v_lshlrev_b16 v18, 8, v51
	v_dual_mov_b32 v33, v15 :: v_dual_mov_b32 v32, v14
	v_dual_mov_b32 v14, v26 :: v_dual_mov_b32 v15, v27
	s_delay_alu instid0(VALU_DEP_3) | instskip(NEXT) | instid1(VALU_DEP_1)
	v_or_b32_e32 v18, v52, v18
	v_dual_mov_b32 v51, 1 :: v_dual_lshlrev_b32 v18, 16, v18
	s_delay_alu instid0(VALU_DEP_1)
	v_and_or_b32 v29, 0xffff, v29, v18
; %bb.173:
	s_or_b32 exec_lo, exec_lo, s8
	v_lshrrev_b32_e32 v18, 16, v28
	v_and_b32_e32 v19, 0xff, v36
	v_and_b32_e32 v20, 0xff, v28
	v_lshlrev_b16 v21, 8, v37
	v_and_b32_e32 v22, 0xff, v51
	v_and_b32_e32 v18, 0xffffff00, v18
	s_delay_alu instid0(VALU_DEP_3) | instskip(SKIP_1) | instid1(VALU_DEP_3)
	v_or_b32_e32 v20, v20, v21
	v_and_b32_e32 v21, 0xff, v37
	v_or_b32_e32 v18, v19, v18
	s_delay_alu instid0(VALU_DEP_3) | instskip(NEXT) | instid1(VALU_DEP_3)
	v_and_b32_e32 v20, 0xffff, v20
	v_cmp_gt_u16_e64 s7, v21, v19
	s_delay_alu instid0(VALU_DEP_3) | instskip(SKIP_2) | instid1(VALU_DEP_4)
	v_lshlrev_b32_e32 v18, 16, v18
	v_lshlrev_b16 v19, 8, v50
	v_and_b32_e32 v21, 0xff, v50
	v_cndmask_b32_e64 v23, v11, v13, s7
	s_delay_alu instid0(VALU_DEP_4) | instskip(SKIP_2) | instid1(VALU_DEP_3)
	v_or_b32_e32 v18, v20, v18
	v_and_b32_e32 v20, 0xff, v9
	v_perm_b32 v9, v9, v29, 0x3020104
	v_cndmask_b32_e64 v36, v28, v18, s7
	v_and_b32_e32 v28, 0xff, v49
	s_delay_alu instid0(VALU_DEP_4)
	v_cmp_gt_u16_e64 s8, v21, v20
	v_cndmask_b32_e64 v20, v12, v10, s7
	v_cndmask_b32_e64 v21, v13, v11, s7
	v_lshrrev_b32_e32 v18, 16, v36
	v_cmp_gt_u16_e64 s9, v22, v28
	v_cndmask_b32_e64 v22, v10, v12, s7
	v_cndmask_b32_e64 v27, v31, v25, s8
	v_cndmask_b32_e64 v26, v30, v24, s8
	v_and_b32_e32 v18, 0xff, v18
	v_cndmask_b32_e64 v13, v29, v9, s8
	s_delay_alu instid0(VALU_DEP_2) | instskip(SKIP_1) | instid1(VALU_DEP_2)
	v_or_b32_e32 v18, v18, v19
	v_cndmask_b32_e64 v19, v25, v31, s8
	v_lshlrev_b32_e32 v18, 16, v18
	s_delay_alu instid0(VALU_DEP_1) | instskip(SKIP_2) | instid1(VALU_DEP_3)
	v_and_or_b32 v10, 0xffff, v36, v18
	v_cndmask_b32_e64 v18, v24, v30, s8
	v_dual_mov_b32 v24, v32 :: v_dual_mov_b32 v25, v33
	v_cndmask_b32_e64 v12, v36, v10, s8
	s_and_saveexec_b32 s7, s9
; %bb.174:
	v_lshrrev_b32_e32 v9, 16, v13
	v_dual_mov_b32 v25, v17 :: v_dual_and_b32 v10, 0xff, v13
	v_lshlrev_b16 v11, 8, v51
	s_delay_alu instid0(VALU_DEP_3) | instskip(SKIP_1) | instid1(VALU_DEP_3)
	v_dual_mov_b32 v24, v16 :: v_dual_and_b32 v9, 0xffffff00, v9
	v_dual_mov_b32 v16, v32 :: v_dual_mov_b32 v17, v33
	v_or_b32_e32 v10, v10, v11
	s_delay_alu instid0(VALU_DEP_3) | instskip(NEXT) | instid1(VALU_DEP_2)
	v_or_b32_e32 v9, v28, v9
	v_and_b32_e32 v10, 0xffff, v10
	s_delay_alu instid0(VALU_DEP_2) | instskip(NEXT) | instid1(VALU_DEP_1)
	v_lshlrev_b32_e32 v9, 16, v9
	v_or_b32_e32 v13, v10, v9
; %bb.175:
	s_or_b32 exec_lo, exec_lo, s7
	v_mov_b32_e32 v28, v35
.LBB1549_176:
	s_or_b32 exec_lo, exec_lo, s10
	v_and_b32_e32 v11, 0xffffff00, v34
	v_lshrrev_b64 v[9:10], 24, v[12:13]
	v_or_b32_e32 v10, 8, v48
	v_lshrrev_b32_e32 v31, 8, v12
	v_lshrrev_b32_e32 v32, 16, v12
	v_sub_nc_u32_e64 v29, 0x800, v11 clamp
	v_and_b32_e32 v30, 8, v48
	v_dual_mov_b32 v35, v13 :: v_dual_and_b32 v28, 0xff, v28
	v_lshlrev_b16 v33, 8, v31
	s_delay_alu instid0(VALU_DEP_4)
	v_min_u32_e32 v37, v29, v10
	v_and_b32_e32 v34, 0xff, v32
	v_lshlrev_b16 v52, 8, v9
	v_and_b32_e32 v36, 0xf0, v48
	v_lshlrev_b32_e32 v10, 3, v11
	v_add_nc_u32_e32 v51, 8, v37
	v_min_u32_e32 v49, v29, v30
	v_or_b32_e32 v33, v28, v33
	v_or_b32_e32 v34, v34, v52
	v_lshl_or_b32 v53, v48, 3, v10
	v_min_u32_e32 v30, v29, v51
	v_sub_nc_u32_e32 v51, v37, v36
	v_and_b32_e32 v55, 0xffff, v33
	v_lshlrev_b32_e32 v34, 16, v34
	v_add_nc_u32_e32 v28, 0x800, v53
	v_sub_nc_u32_e32 v54, v30, v37
	v_add_nc_u32_e32 v52, 0x810, v53
	v_min_u32_e32 v33, v49, v51
	v_add_nc_u32_e32 v64, 0x820, v53
	v_or_b32_e32 v50, v11, v48
	v_sub_nc_u32_e64 v51, v49, v54 clamp
	v_or_b32_e32 v34, v55, v34
	s_mov_b32 s8, exec_lo
	v_add_nc_u32_e32 v53, 0x830, v53
	ds_store_2addr_b64 v52, v[22:23], v[18:19] offset1:1
	ds_store_2addr_b64 v64, v[26:27], v[16:17] offset1:1
	;; [unrolled: 1-line block ×3, first 2 shown]
	ds_store_b64 v50, v[34:35]
	ds_store_2addr_b64 v53, v[24:25], v[14:15] offset1:1
	; wave barrier
	v_cmpx_lt_u32_e64 v51, v33
	s_cbranch_execz .LBB1549_180
; %bb.177:
	v_add_nc_u32_e32 v34, v11, v36
	v_add3_u32 v35, v11, v37, v49
	s_mov_b32 s9, 0
	.p2align	6
.LBB1549_178:                           ; =>This Inner Loop Header: Depth=1
	v_add_nc_u32_e32 v50, v33, v51
	s_delay_alu instid0(VALU_DEP_1) | instskip(NEXT) | instid1(VALU_DEP_1)
	v_lshrrev_b32_e32 v50, 1, v50
	v_add_nc_u32_e32 v52, v34, v50
	v_xad_u32 v53, v50, -1, v35
	v_add_nc_u32_e32 v54, 1, v50
	ds_load_u8 v52, v52
	ds_load_u8 v53, v53
	s_waitcnt lgkmcnt(0)
	v_cmp_gt_u16_e64 s7, v53, v52
	s_delay_alu instid0(VALU_DEP_1) | instskip(SKIP_1) | instid1(VALU_DEP_1)
	v_cndmask_b32_e64 v33, v33, v50, s7
	v_cndmask_b32_e64 v51, v54, v51, s7
	v_cmp_ge_u32_e64 s7, v51, v33
	s_delay_alu instid0(VALU_DEP_1) | instskip(NEXT) | instid1(SALU_CYCLE_1)
	s_or_b32 s9, s7, s9
	s_and_not1_b32 exec_lo, exec_lo, s9
	s_cbranch_execnz .LBB1549_178
; %bb.179:
	s_or_b32 exec_lo, exec_lo, s9
.LBB1549_180:
	s_delay_alu instid0(SALU_CYCLE_1)
	s_or_b32 exec_lo, exec_lo, s8
	v_add_nc_u32_e32 v49, v37, v49
	v_add_nc_u32_e32 v50, v51, v36
	v_lshrrev_b32_e32 v33, 8, v13
	v_lshrrev_b32_e32 v34, 16, v13
	;; [unrolled: 1-line block ×3, first 2 shown]
	v_sub_nc_u32_e32 v49, v49, v51
	v_cmp_le_u32_e64 s7, v50, v37
	v_mov_b32_e32 v36, v13
	s_delay_alu instid0(VALU_DEP_3) | instskip(NEXT) | instid1(VALU_DEP_1)
	v_cmp_le_u32_e64 s8, v49, v30
	s_or_b32 s7, s7, s8
	s_delay_alu instid0(SALU_CYCLE_1)
	s_and_saveexec_b32 s17, s7
	s_cbranch_execz .LBB1549_186
; %bb.181:
	v_cmp_lt_u32_e64 s7, v50, v37
                                        ; implicit-def: $vgpr9
	s_delay_alu instid0(VALU_DEP_1)
	s_and_saveexec_b32 s8, s7
	s_cbranch_execz .LBB1549_183
; %bb.182:
	v_add_nc_u32_e32 v4, v11, v50
	ds_load_u8 v9, v4
.LBB1549_183:
	s_or_b32 exec_lo, exec_lo, s8
	v_cmp_ge_u32_e64 s8, v49, v30
	s_mov_b32 s10, exec_lo
                                        ; implicit-def: $vgpr12
	v_cmpx_lt_u32_e64 v49, v30
	s_cbranch_execz .LBB1549_185
; %bb.184:
	v_add_nc_u32_e32 v4, v11, v49
	ds_load_u8 v12, v4
.LBB1549_185:
	s_or_b32 exec_lo, exec_lo, s10
	s_waitcnt lgkmcnt(0)
	v_and_b32_e32 v4, 0xff, v9
	v_and_b32_e32 v5, 0xff, v12
	s_delay_alu instid0(VALU_DEP_1) | instskip(NEXT) | instid1(VALU_DEP_1)
	v_cmp_le_u16_e64 s9, v5, v4
	s_and_b32 s7, s7, s9
	s_delay_alu instid0(SALU_CYCLE_1) | instskip(NEXT) | instid1(SALU_CYCLE_1)
	s_or_b32 s7, s8, s7
	v_cndmask_b32_e64 v4, v49, v50, s7
	v_cndmask_b32_e64 v5, v30, v37, s7
	s_delay_alu instid0(VALU_DEP_2) | instskip(NEXT) | instid1(VALU_DEP_2)
	v_add_nc_u32_e32 v13, 1, v4
	v_add_nc_u32_e32 v5, -1, v5
	v_lshl_add_u32 v4, v4, 3, v10
	s_delay_alu instid0(VALU_DEP_2) | instskip(NEXT) | instid1(VALU_DEP_1)
	v_min_u32_e32 v5, v13, v5
	v_add_nc_u32_e32 v5, v11, v5
	ds_load_u8 v5, v5
	s_waitcnt lgkmcnt(0)
	v_cndmask_b32_e64 v14, v5, v12, s7
	v_cndmask_b32_e64 v15, v9, v5, s7
	;; [unrolled: 1-line block ×5, first 2 shown]
	v_and_b32_e32 v16, 0xff, v14
	v_and_b32_e32 v17, 0xff, v15
	v_cmp_lt_u32_e64 s8, v5, v37
	v_cmp_ge_u32_e64 s10, v13, v30
	v_and_b32_e32 v12, 0xff, v12
	s_delay_alu instid0(VALU_DEP_4) | instskip(NEXT) | instid1(VALU_DEP_1)
	v_cmp_le_u16_e64 s9, v16, v17
	s_and_b32 s8, s9, s8
	s_delay_alu instid0(VALU_DEP_3) | instid1(SALU_CYCLE_1)
	s_or_b32 s8, s10, s8
	s_delay_alu instid0(SALU_CYCLE_1) | instskip(SKIP_1) | instid1(VALU_DEP_2)
	v_cndmask_b32_e64 v16, v13, v5, s8
	v_cndmask_b32_e64 v17, v30, v37, s8
	v_add_nc_u32_e32 v18, 1, v16
	s_delay_alu instid0(VALU_DEP_2) | instskip(SKIP_1) | instid1(VALU_DEP_3)
	v_add_nc_u32_e32 v17, -1, v17
	v_lshl_add_u32 v16, v16, 3, v10
	v_cndmask_b32_e64 v5, v5, v18, s8
	s_delay_alu instid0(VALU_DEP_3) | instskip(SKIP_1) | instid1(VALU_DEP_3)
	v_min_u32_e32 v17, v18, v17
	v_cndmask_b32_e64 v13, v18, v13, s8
	v_cmp_lt_u32_e64 s9, v5, v37
	s_delay_alu instid0(VALU_DEP_3) | instskip(NEXT) | instid1(VALU_DEP_3)
	v_add_nc_u32_e32 v17, v11, v17
	v_cmp_ge_u32_e64 s11, v13, v30
	ds_load_u8 v17, v17
	s_waitcnt lgkmcnt(0)
	v_cndmask_b32_e64 v32, v17, v14, s8
	v_cndmask_b32_e64 v33, v15, v17, s8
	s_delay_alu instid0(VALU_DEP_2) | instskip(NEXT) | instid1(VALU_DEP_2)
	v_and_b32_e32 v17, 0xff, v32
	v_and_b32_e32 v19, 0xff, v33
	s_delay_alu instid0(VALU_DEP_1) | instskip(NEXT) | instid1(VALU_DEP_1)
	v_cmp_le_u16_e64 s10, v17, v19
	s_and_b32 s9, s10, s9
	s_delay_alu instid0(SALU_CYCLE_1) | instskip(NEXT) | instid1(SALU_CYCLE_1)
	s_or_b32 s9, s11, s9
	v_cndmask_b32_e64 v17, v13, v5, s9
	v_cndmask_b32_e64 v18, v30, v37, s9
	s_delay_alu instid0(VALU_DEP_2) | instskip(NEXT) | instid1(VALU_DEP_2)
	v_add_nc_u32_e32 v19, 1, v17
	v_add_nc_u32_e32 v18, -1, v18
	s_delay_alu instid0(VALU_DEP_2) | instskip(NEXT) | instid1(VALU_DEP_2)
	v_cndmask_b32_e64 v5, v5, v19, s9
	v_min_u32_e32 v18, v19, v18
	v_cndmask_b32_e64 v13, v19, v13, s9
	s_delay_alu instid0(VALU_DEP_3) | instskip(NEXT) | instid1(VALU_DEP_3)
	v_cmp_lt_u32_e64 s10, v5, v37
	v_add_nc_u32_e32 v18, v11, v18
	s_delay_alu instid0(VALU_DEP_3)
	v_cmp_ge_u32_e64 s12, v13, v30
	ds_load_u8 v18, v18
	s_waitcnt lgkmcnt(0)
	v_cndmask_b32_e64 v34, v18, v32, s9
	v_cndmask_b32_e64 v35, v33, v18, s9
	;; [unrolled: 1-line block ×3, first 2 shown]
	s_delay_alu instid0(VALU_DEP_3) | instskip(NEXT) | instid1(VALU_DEP_3)
	v_and_b32_e32 v18, 0xff, v34
	v_and_b32_e32 v20, 0xff, v35
	s_delay_alu instid0(VALU_DEP_1) | instskip(NEXT) | instid1(VALU_DEP_1)
	v_cmp_le_u16_e64 s11, v18, v20
	s_and_b32 s10, s11, s10
	s_delay_alu instid0(SALU_CYCLE_1) | instskip(NEXT) | instid1(SALU_CYCLE_1)
	s_or_b32 s10, s12, s10
	v_cndmask_b32_e64 v18, v13, v5, s10
	v_cndmask_b32_e64 v19, v30, v37, s10
	;; [unrolled: 1-line block ×3, first 2 shown]
	s_delay_alu instid0(VALU_DEP_3) | instskip(NEXT) | instid1(VALU_DEP_3)
	v_add_nc_u32_e32 v20, 1, v18
	v_add_nc_u32_e32 v19, -1, v19
	s_delay_alu instid0(VALU_DEP_2) | instskip(NEXT) | instid1(VALU_DEP_2)
	v_cndmask_b32_e64 v5, v5, v20, s10
	v_min_u32_e32 v19, v20, v19
	v_cndmask_b32_e64 v13, v20, v13, s10
	s_delay_alu instid0(VALU_DEP_3) | instskip(NEXT) | instid1(VALU_DEP_3)
	v_cmp_lt_u32_e64 s11, v5, v37
	v_add_nc_u32_e32 v19, v11, v19
	s_delay_alu instid0(VALU_DEP_3) | instskip(SKIP_4) | instid1(VALU_DEP_2)
	v_cmp_ge_u32_e64 s13, v13, v30
	ds_load_u8 v19, v19
	s_waitcnt lgkmcnt(0)
	v_cndmask_b32_e64 v36, v19, v34, s10
	v_cndmask_b32_e64 v49, v35, v19, s10
	v_and_b32_e32 v19, 0xff, v36
	s_delay_alu instid0(VALU_DEP_2) | instskip(NEXT) | instid1(VALU_DEP_1)
	v_and_b32_e32 v21, 0xff, v49
	v_cmp_le_u16_e64 s12, v19, v21
	s_delay_alu instid0(VALU_DEP_1) | instskip(NEXT) | instid1(SALU_CYCLE_1)
	s_and_b32 s11, s12, s11
	s_or_b32 s11, s13, s11
	s_delay_alu instid0(SALU_CYCLE_1) | instskip(SKIP_1) | instid1(VALU_DEP_2)
	v_cndmask_b32_e64 v19, v13, v5, s11
	v_cndmask_b32_e64 v20, v30, v37, s11
	v_add_nc_u32_e32 v21, 1, v19
	s_delay_alu instid0(VALU_DEP_2) | instskip(SKIP_1) | instid1(VALU_DEP_3)
	v_add_nc_u32_e32 v20, -1, v20
	v_lshl_add_u32 v24, v19, 3, v10
	v_cndmask_b32_e64 v5, v5, v21, s11
	s_delay_alu instid0(VALU_DEP_3) | instskip(SKIP_1) | instid1(VALU_DEP_3)
	v_min_u32_e32 v20, v21, v20
	v_cndmask_b32_e64 v13, v21, v13, s11
	v_cmp_lt_u32_e64 s12, v5, v37
	s_delay_alu instid0(VALU_DEP_3) | instskip(NEXT) | instid1(VALU_DEP_3)
	v_add_nc_u32_e32 v20, v11, v20
	v_cmp_ge_u32_e64 s14, v13, v30
	ds_load_u8 v20, v20
	s_waitcnt lgkmcnt(0)
	v_cndmask_b32_e64 v50, v20, v36, s11
	v_cndmask_b32_e64 v51, v49, v20, s11
	;; [unrolled: 1-line block ×3, first 2 shown]
	s_delay_alu instid0(VALU_DEP_3) | instskip(NEXT) | instid1(VALU_DEP_3)
	v_and_b32_e32 v20, 0xff, v50
	v_and_b32_e32 v22, 0xff, v51
	s_delay_alu instid0(VALU_DEP_1) | instskip(NEXT) | instid1(VALU_DEP_1)
	v_cmp_le_u16_e64 s13, v20, v22
	s_and_b32 s12, s13, s12
	s_delay_alu instid0(SALU_CYCLE_1) | instskip(NEXT) | instid1(SALU_CYCLE_1)
	s_or_b32 s12, s14, s12
	v_cndmask_b32_e64 v22, v13, v5, s12
	v_cndmask_b32_e64 v20, v30, v37, s12
	;; [unrolled: 1-line block ×3, first 2 shown]
	s_delay_alu instid0(VALU_DEP_3) | instskip(NEXT) | instid1(VALU_DEP_3)
	v_add_nc_u32_e32 v21, 1, v22
	v_add_nc_u32_e32 v20, -1, v20
	v_lshl_add_u32 v25, v22, 3, v10
	s_delay_alu instid0(VALU_DEP_4) | instskip(NEXT) | instid1(VALU_DEP_4)
	v_lshlrev_b16 v49, 8, v33
	v_cndmask_b32_e64 v54, v5, v21, s12
	s_delay_alu instid0(VALU_DEP_4) | instskip(SKIP_1) | instid1(VALU_DEP_3)
	v_min_u32_e32 v20, v21, v20
	v_cndmask_b32_e64 v13, v21, v13, s12
	v_cmp_lt_u32_e64 s13, v54, v37
	s_delay_alu instid0(VALU_DEP_3) | instskip(NEXT) | instid1(VALU_DEP_3)
	v_add_nc_u32_e32 v20, v11, v20
	v_cmp_ge_u32_e64 s15, v13, v30
	ds_load_u8 v20, v20
	s_waitcnt lgkmcnt(0)
	v_cndmask_b32_e64 v52, v20, v50, s12
	v_cndmask_b32_e64 v53, v51, v20, s12
	s_delay_alu instid0(VALU_DEP_2) | instskip(NEXT) | instid1(VALU_DEP_2)
	v_and_b32_e32 v5, 0xff, v52
	v_and_b32_e32 v20, 0xff, v53
	s_delay_alu instid0(VALU_DEP_1) | instskip(NEXT) | instid1(VALU_DEP_1)
	v_cmp_le_u16_e64 s14, v5, v20
	s_and_b32 s13, s14, s13
	s_delay_alu instid0(SALU_CYCLE_1) | instskip(NEXT) | instid1(SALU_CYCLE_1)
	s_or_b32 s13, s15, s13
	v_cndmask_b32_e64 v23, v13, v54, s13
	v_cndmask_b32_e64 v5, v30, v37, s13
	;; [unrolled: 1-line block ×3, first 2 shown]
	s_delay_alu instid0(VALU_DEP_3) | instskip(NEXT) | instid1(VALU_DEP_3)
	v_add_nc_u32_e32 v55, 1, v23
	v_add_nc_u32_e32 v5, -1, v5
	v_lshl_add_u32 v64, v23, 3, v10
	s_delay_alu instid0(VALU_DEP_4) | instskip(NEXT) | instid1(VALU_DEP_4)
	v_and_b32_e32 v50, 0xff, v34
	v_cndmask_b32_e64 v13, v55, v13, s13
	s_delay_alu instid0(VALU_DEP_4) | instskip(NEXT) | instid1(VALU_DEP_2)
	v_min_u32_e32 v5, v55, v5
	v_cmp_ge_u32_e64 s9, v13, v30
	s_delay_alu instid0(VALU_DEP_2)
	v_add_nc_u32_e32 v5, v11, v5
	v_and_b32_e32 v30, 0xff, v36
	ds_load_u8 v31, v5
	ds_load_b64 v[4:5], v4 offset:2048
	ds_load_b64 v[20:21], v16 offset:2048
	v_lshl_add_u32 v16, v17, 3, v10
	v_lshl_add_u32 v17, v18, 3, v10
	ds_load_b64 v[22:23], v16 offset:2048
	ds_load_b64 v[18:19], v17 offset:2048
	;; [unrolled: 1-line block ×5, first 2 shown]
	v_or_b32_e32 v30, v30, v49
	s_delay_alu instid0(VALU_DEP_1)
	v_and_b32_e32 v30, 0xffff, v30
	s_waitcnt lgkmcnt(7)
	v_cndmask_b32_e64 v64, v31, v52, s13
	v_cndmask_b32_e64 v65, v53, v31, s13
	;; [unrolled: 1-line block ×4, first 2 shown]
	v_and_b32_e32 v52, 0xff, v32
	v_and_b32_e32 v15, 0xff, v64
	;; [unrolled: 1-line block ×3, first 2 shown]
	v_lshlrev_b16 v53, 8, v31
	v_cmp_lt_u32_e64 s7, v14, v37
	v_lshlrev_b16 v37, 8, v9
	s_delay_alu instid0(VALU_DEP_4) | instskip(NEXT) | instid1(VALU_DEP_4)
	v_cmp_le_u16_e64 s8, v15, v54
	v_or_b32_e32 v12, v12, v53
	s_delay_alu instid0(VALU_DEP_3) | instskip(NEXT) | instid1(VALU_DEP_3)
	v_or_b32_e32 v37, v52, v37
	s_and_b32 s7, s8, s7
	s_delay_alu instid0(VALU_DEP_2) | instskip(SKIP_1) | instid1(VALU_DEP_2)
	v_and_b32_e32 v12, 0xffff, v12
	s_or_b32 s7, s9, s7
	v_lshlrev_b32_e32 v37, 16, v37
	v_cndmask_b32_e64 v13, v13, v14, s7
	v_cndmask_b32_e64 v35, v64, v65, s7
	s_delay_alu instid0(VALU_DEP_3) | instskip(NEXT) | instid1(VALU_DEP_3)
	v_or_b32_e32 v12, v12, v37
	v_lshl_add_u32 v13, v13, 3, v10
	s_delay_alu instid0(VALU_DEP_3) | instskip(SKIP_2) | instid1(VALU_DEP_1)
	v_lshlrev_b16 v51, 8, v35
	ds_load_b64 v[14:15], v13 offset:2048
	v_or_b32_e32 v13, v50, v51
	v_lshlrev_b32_e32 v13, 16, v13
	s_delay_alu instid0(VALU_DEP_1)
	v_or_b32_e32 v13, v30, v13
.LBB1549_186:
	s_or_b32 exec_lo, exec_lo, s17
	v_and_b32_e32 v37, 0xe0, v48
	v_lshlrev_b16 v30, 8, v33
	v_and_b32_e32 v49, 0xff, v36
	v_lshlrev_b16 v51, 8, v35
	v_and_b32_e32 v52, 0xff, v34
	v_or_b32_e32 v50, 16, v37
	v_lshlrev_b16 v53, 8, v31
	v_and_b32_e32 v54, 0xff, v12
	v_lshlrev_b16 v55, 8, v9
	v_and_b32_e32 v64, 0xff, v32
	v_min_u32_e32 v50, v29, v50
	v_or_b32_e32 v30, v49, v30
	v_and_b32_e32 v65, 24, v48
	v_or_b32_e32 v52, v52, v51
	v_or_b32_e32 v53, v54, v53
	v_add_nc_u32_e32 v49, 16, v50
	v_or_b32_e32 v54, v64, v55
	v_min_u32_e32 v51, v29, v65
	v_and_b32_e32 v55, 0xffff, v30
	v_lshlrev_b32_e32 v52, 16, v52
	v_min_u32_e32 v49, v29, v49
	v_and_b32_e32 v53, 0xffff, v53
	v_lshlrev_b32_e32 v54, 16, v54
	v_sub_nc_u32_e32 v65, v50, v37
	v_add_nc_u32_e32 v30, v11, v48
	v_sub_nc_u32_e32 v64, v49, v50
	v_or_b32_e32 v55, v55, v52
	v_or_b32_e32 v54, v53, v54
	v_min_u32_e32 v52, v51, v65
	s_mov_b32 s8, exec_lo
	v_sub_nc_u32_e64 v53, v51, v64 clamp
	; wave barrier
	s_waitcnt lgkmcnt(6)
	ds_store_2addr_b64 v28, v[4:5], v[20:21] offset1:1
	s_waitcnt lgkmcnt(5)
	ds_store_2addr_b64 v28, v[22:23], v[18:19] offset0:2 offset1:3
	ds_store_b64 v30, v[54:55]
	s_waitcnt lgkmcnt(5)
	ds_store_2addr_b64 v28, v[26:27], v[16:17] offset0:4 offset1:5
	s_waitcnt lgkmcnt(4)
	ds_store_2addr_b64 v28, v[24:25], v[14:15] offset0:6 offset1:7
	; wave barrier
	v_cmpx_lt_u32_e64 v53, v52
	s_cbranch_execz .LBB1549_190
; %bb.187:
	v_add_nc_u32_e32 v54, v11, v37
	v_add3_u32 v55, v11, v50, v51
	s_mov_b32 s9, 0
	.p2align	6
.LBB1549_188:                           ; =>This Inner Loop Header: Depth=1
	v_add_nc_u32_e32 v64, v52, v53
	s_delay_alu instid0(VALU_DEP_1) | instskip(NEXT) | instid1(VALU_DEP_1)
	v_lshrrev_b32_e32 v64, 1, v64
	v_add_nc_u32_e32 v65, v54, v64
	v_xad_u32 v66, v64, -1, v55
	v_add_nc_u32_e32 v67, 1, v64
	ds_load_u8 v65, v65
	ds_load_u8 v66, v66
	s_waitcnt lgkmcnt(0)
	v_cmp_gt_u16_e64 s7, v66, v65
	s_delay_alu instid0(VALU_DEP_1) | instskip(SKIP_1) | instid1(VALU_DEP_1)
	v_cndmask_b32_e64 v52, v52, v64, s7
	v_cndmask_b32_e64 v53, v67, v53, s7
	v_cmp_ge_u32_e64 s7, v53, v52
	s_delay_alu instid0(VALU_DEP_1) | instskip(NEXT) | instid1(SALU_CYCLE_1)
	s_or_b32 s9, s7, s9
	s_and_not1_b32 exec_lo, exec_lo, s9
	s_cbranch_execnz .LBB1549_188
; %bb.189:
	s_or_b32 exec_lo, exec_lo, s9
.LBB1549_190:
	s_delay_alu instid0(SALU_CYCLE_1) | instskip(SKIP_2) | instid1(VALU_DEP_2)
	s_or_b32 exec_lo, exec_lo, s8
	v_add_nc_u32_e32 v51, v50, v51
	v_dual_mov_b32 v37, v12 :: v_dual_add_nc_u32 v52, v53, v37
	v_sub_nc_u32_e32 v51, v51, v53
	s_delay_alu instid0(VALU_DEP_2) | instskip(NEXT) | instid1(VALU_DEP_2)
	v_cmp_le_u32_e64 s7, v52, v50
	v_cmp_le_u32_e64 s8, v51, v49
	s_delay_alu instid0(VALU_DEP_1) | instskip(NEXT) | instid1(SALU_CYCLE_1)
	s_or_b32 s7, s7, s8
	s_and_saveexec_b32 s17, s7
	s_cbranch_execz .LBB1549_196
; %bb.191:
	v_cmp_lt_u32_e64 s7, v52, v50
                                        ; implicit-def: $vgpr9
	s_delay_alu instid0(VALU_DEP_1)
	s_and_saveexec_b32 s8, s7
	s_cbranch_execz .LBB1549_193
; %bb.192:
	v_add_nc_u32_e32 v4, v11, v52
	ds_load_u8 v9, v4
.LBB1549_193:
	s_or_b32 exec_lo, exec_lo, s8
	v_cmp_ge_u32_e64 s8, v51, v49
	s_mov_b32 s10, exec_lo
                                        ; implicit-def: $vgpr12
	v_cmpx_lt_u32_e64 v51, v49
	s_cbranch_execz .LBB1549_195
; %bb.194:
	v_add_nc_u32_e32 v4, v11, v51
	ds_load_u8 v12, v4
.LBB1549_195:
	s_or_b32 exec_lo, exec_lo, s10
	s_waitcnt lgkmcnt(0)
	v_and_b32_e32 v4, 0xff, v9
	v_and_b32_e32 v5, 0xff, v12
	s_delay_alu instid0(VALU_DEP_1) | instskip(NEXT) | instid1(VALU_DEP_1)
	v_cmp_le_u16_e64 s9, v5, v4
	s_and_b32 s7, s7, s9
	s_delay_alu instid0(SALU_CYCLE_1) | instskip(NEXT) | instid1(SALU_CYCLE_1)
	s_or_b32 s7, s8, s7
	v_cndmask_b32_e64 v4, v51, v52, s7
	v_cndmask_b32_e64 v5, v49, v50, s7
	s_delay_alu instid0(VALU_DEP_2) | instskip(NEXT) | instid1(VALU_DEP_2)
	v_add_nc_u32_e32 v13, 1, v4
	v_add_nc_u32_e32 v5, -1, v5
	v_lshl_add_u32 v4, v4, 3, v10
	s_delay_alu instid0(VALU_DEP_2) | instskip(NEXT) | instid1(VALU_DEP_1)
	v_min_u32_e32 v5, v13, v5
	v_add_nc_u32_e32 v5, v11, v5
	ds_load_u8 v5, v5
	s_waitcnt lgkmcnt(0)
	v_cndmask_b32_e64 v14, v5, v12, s7
	v_cndmask_b32_e64 v15, v9, v5, s7
	v_cndmask_b32_e64 v5, v52, v13, s7
	v_cndmask_b32_e64 v13, v13, v51, s7
	s_delay_alu instid0(VALU_DEP_4) | instskip(NEXT) | instid1(VALU_DEP_4)
	v_and_b32_e32 v16, 0xff, v14
	v_and_b32_e32 v17, 0xff, v15
	s_delay_alu instid0(VALU_DEP_4) | instskip(NEXT) | instid1(VALU_DEP_4)
	v_cmp_lt_u32_e64 s8, v5, v50
	v_cmp_ge_u32_e64 s10, v13, v49
	s_delay_alu instid0(VALU_DEP_3) | instskip(NEXT) | instid1(VALU_DEP_1)
	v_cmp_le_u16_e64 s9, v16, v17
	s_and_b32 s8, s9, s8
	s_delay_alu instid0(VALU_DEP_2) | instid1(SALU_CYCLE_1)
	s_or_b32 s8, s10, s8
	s_delay_alu instid0(SALU_CYCLE_1) | instskip(SKIP_1) | instid1(VALU_DEP_2)
	v_cndmask_b32_e64 v16, v13, v5, s8
	v_cndmask_b32_e64 v17, v49, v50, s8
	v_add_nc_u32_e32 v18, 1, v16
	s_delay_alu instid0(VALU_DEP_2) | instskip(SKIP_1) | instid1(VALU_DEP_3)
	v_add_nc_u32_e32 v17, -1, v17
	v_lshl_add_u32 v16, v16, 3, v10
	v_cndmask_b32_e64 v5, v5, v18, s8
	s_delay_alu instid0(VALU_DEP_3) | instskip(SKIP_1) | instid1(VALU_DEP_3)
	v_min_u32_e32 v17, v18, v17
	v_cndmask_b32_e64 v13, v18, v13, s8
	v_cmp_lt_u32_e64 s9, v5, v50
	s_delay_alu instid0(VALU_DEP_3) | instskip(NEXT) | instid1(VALU_DEP_3)
	v_add_nc_u32_e32 v17, v11, v17
	v_cmp_ge_u32_e64 s11, v13, v49
	ds_load_u8 v17, v17
	s_waitcnt lgkmcnt(0)
	v_cndmask_b32_e64 v32, v17, v14, s8
	v_cndmask_b32_e64 v33, v15, v17, s8
	s_delay_alu instid0(VALU_DEP_2) | instskip(NEXT) | instid1(VALU_DEP_2)
	v_and_b32_e32 v17, 0xff, v32
	v_and_b32_e32 v19, 0xff, v33
	s_delay_alu instid0(VALU_DEP_1) | instskip(NEXT) | instid1(VALU_DEP_1)
	v_cmp_le_u16_e64 s10, v17, v19
	s_and_b32 s9, s10, s9
	s_delay_alu instid0(SALU_CYCLE_1) | instskip(NEXT) | instid1(SALU_CYCLE_1)
	s_or_b32 s9, s11, s9
	v_cndmask_b32_e64 v17, v13, v5, s9
	v_cndmask_b32_e64 v18, v49, v50, s9
	s_delay_alu instid0(VALU_DEP_2) | instskip(NEXT) | instid1(VALU_DEP_2)
	v_add_nc_u32_e32 v19, 1, v17
	v_add_nc_u32_e32 v18, -1, v18
	s_delay_alu instid0(VALU_DEP_2) | instskip(NEXT) | instid1(VALU_DEP_2)
	v_cndmask_b32_e64 v5, v5, v19, s9
	v_min_u32_e32 v18, v19, v18
	v_cndmask_b32_e64 v13, v19, v13, s9
	s_delay_alu instid0(VALU_DEP_3) | instskip(NEXT) | instid1(VALU_DEP_3)
	v_cmp_lt_u32_e64 s10, v5, v50
	v_add_nc_u32_e32 v18, v11, v18
	s_delay_alu instid0(VALU_DEP_3)
	v_cmp_ge_u32_e64 s12, v13, v49
	ds_load_u8 v18, v18
	s_waitcnt lgkmcnt(0)
	v_cndmask_b32_e64 v34, v18, v32, s9
	v_cndmask_b32_e64 v35, v33, v18, s9
	;; [unrolled: 1-line block ×3, first 2 shown]
	s_delay_alu instid0(VALU_DEP_3) | instskip(NEXT) | instid1(VALU_DEP_3)
	v_and_b32_e32 v18, 0xff, v34
	v_and_b32_e32 v20, 0xff, v35
	s_delay_alu instid0(VALU_DEP_1) | instskip(NEXT) | instid1(VALU_DEP_1)
	v_cmp_le_u16_e64 s11, v18, v20
	s_and_b32 s10, s11, s10
	s_delay_alu instid0(SALU_CYCLE_1) | instskip(NEXT) | instid1(SALU_CYCLE_1)
	s_or_b32 s10, s12, s10
	v_cndmask_b32_e64 v18, v13, v5, s10
	v_cndmask_b32_e64 v19, v49, v50, s10
	s_delay_alu instid0(VALU_DEP_2) | instskip(NEXT) | instid1(VALU_DEP_2)
	v_add_nc_u32_e32 v20, 1, v18
	v_add_nc_u32_e32 v19, -1, v19
	s_delay_alu instid0(VALU_DEP_2) | instskip(NEXT) | instid1(VALU_DEP_2)
	v_cndmask_b32_e64 v5, v5, v20, s10
	v_min_u32_e32 v19, v20, v19
	v_cndmask_b32_e64 v13, v20, v13, s10
	s_delay_alu instid0(VALU_DEP_3) | instskip(NEXT) | instid1(VALU_DEP_3)
	v_cmp_lt_u32_e64 s11, v5, v50
	v_add_nc_u32_e32 v19, v11, v19
	s_delay_alu instid0(VALU_DEP_3) | instskip(SKIP_4) | instid1(VALU_DEP_2)
	v_cmp_ge_u32_e64 s13, v13, v49
	ds_load_u8 v19, v19
	s_waitcnt lgkmcnt(0)
	v_cndmask_b32_e64 v36, v19, v34, s10
	v_cndmask_b32_e64 v51, v35, v19, s10
	v_and_b32_e32 v19, 0xff, v36
	s_delay_alu instid0(VALU_DEP_2) | instskip(NEXT) | instid1(VALU_DEP_1)
	v_and_b32_e32 v21, 0xff, v51
	v_cmp_le_u16_e64 s12, v19, v21
	s_delay_alu instid0(VALU_DEP_1) | instskip(NEXT) | instid1(SALU_CYCLE_1)
	s_and_b32 s11, s12, s11
	s_or_b32 s11, s13, s11
	s_delay_alu instid0(SALU_CYCLE_1) | instskip(SKIP_1) | instid1(VALU_DEP_2)
	v_cndmask_b32_e64 v19, v13, v5, s11
	v_cndmask_b32_e64 v20, v49, v50, s11
	v_add_nc_u32_e32 v21, 1, v19
	s_delay_alu instid0(VALU_DEP_2) | instskip(SKIP_1) | instid1(VALU_DEP_3)
	v_add_nc_u32_e32 v20, -1, v20
	v_lshl_add_u32 v24, v19, 3, v10
	v_cndmask_b32_e64 v5, v5, v21, s11
	s_delay_alu instid0(VALU_DEP_3) | instskip(SKIP_1) | instid1(VALU_DEP_3)
	v_min_u32_e32 v20, v21, v20
	v_cndmask_b32_e64 v13, v21, v13, s11
	v_cmp_lt_u32_e64 s12, v5, v50
	s_delay_alu instid0(VALU_DEP_3) | instskip(NEXT) | instid1(VALU_DEP_3)
	v_add_nc_u32_e32 v20, v11, v20
	v_cmp_ge_u32_e64 s14, v13, v49
	ds_load_u8 v20, v20
	s_waitcnt lgkmcnt(0)
	v_cndmask_b32_e64 v52, v20, v36, s11
	v_cndmask_b32_e64 v53, v51, v20, s11
	;; [unrolled: 1-line block ×3, first 2 shown]
	s_delay_alu instid0(VALU_DEP_3) | instskip(NEXT) | instid1(VALU_DEP_3)
	v_and_b32_e32 v20, 0xff, v52
	v_and_b32_e32 v22, 0xff, v53
	s_delay_alu instid0(VALU_DEP_1) | instskip(NEXT) | instid1(VALU_DEP_1)
	v_cmp_le_u16_e64 s13, v20, v22
	s_and_b32 s12, s13, s12
	s_delay_alu instid0(SALU_CYCLE_1) | instskip(NEXT) | instid1(SALU_CYCLE_1)
	s_or_b32 s12, s14, s12
	v_cndmask_b32_e64 v22, v13, v5, s12
	v_cndmask_b32_e64 v20, v49, v50, s12
	;; [unrolled: 1-line block ×3, first 2 shown]
	s_delay_alu instid0(VALU_DEP_3) | instskip(NEXT) | instid1(VALU_DEP_3)
	v_add_nc_u32_e32 v21, 1, v22
	v_add_nc_u32_e32 v20, -1, v20
	v_lshl_add_u32 v25, v22, 3, v10
	s_delay_alu instid0(VALU_DEP_3) | instskip(NEXT) | instid1(VALU_DEP_3)
	v_cndmask_b32_e64 v64, v5, v21, s12
	v_min_u32_e32 v20, v21, v20
	v_cndmask_b32_e64 v13, v21, v13, s12
	s_delay_alu instid0(VALU_DEP_3) | instskip(NEXT) | instid1(VALU_DEP_3)
	v_cmp_lt_u32_e64 s13, v64, v50
	v_add_nc_u32_e32 v20, v11, v20
	s_delay_alu instid0(VALU_DEP_3)
	v_cmp_ge_u32_e64 s15, v13, v49
	ds_load_u8 v20, v20
	s_waitcnt lgkmcnt(0)
	v_cndmask_b32_e64 v54, v20, v52, s12
	v_cndmask_b32_e64 v55, v53, v20, s12
	v_and_b32_e32 v53, 0xff, v32
	s_delay_alu instid0(VALU_DEP_3) | instskip(NEXT) | instid1(VALU_DEP_3)
	v_and_b32_e32 v5, 0xff, v54
	v_and_b32_e32 v20, 0xff, v55
	s_delay_alu instid0(VALU_DEP_1) | instskip(NEXT) | instid1(VALU_DEP_1)
	v_cmp_le_u16_e64 s14, v5, v20
	s_and_b32 s13, s14, s13
	s_delay_alu instid0(SALU_CYCLE_1) | instskip(NEXT) | instid1(SALU_CYCLE_1)
	s_or_b32 s13, s15, s13
	v_cndmask_b32_e64 v23, v13, v64, s13
	v_cndmask_b32_e64 v5, v49, v50, s13
	s_delay_alu instid0(VALU_DEP_2) | instskip(NEXT) | instid1(VALU_DEP_2)
	v_add_nc_u32_e32 v65, 1, v23
	v_add_nc_u32_e32 v5, -1, v5
	v_lshl_add_u32 v37, v23, 3, v10
	s_delay_alu instid0(VALU_DEP_3) | instskip(NEXT) | instid1(VALU_DEP_3)
	v_cndmask_b32_e64 v13, v65, v13, s13
	v_min_u32_e32 v5, v65, v5
	s_delay_alu instid0(VALU_DEP_2) | instskip(NEXT) | instid1(VALU_DEP_2)
	v_cmp_ge_u32_e64 s9, v13, v49
	v_add_nc_u32_e32 v5, v11, v5
	v_lshlrev_b16 v49, 8, v33
	ds_load_u8 v31, v5
	ds_load_b64 v[4:5], v4 offset:2048
	ds_load_b64 v[20:21], v16 offset:2048
	v_lshl_add_u32 v16, v17, 3, v10
	v_lshl_add_u32 v17, v18, 3, v10
	ds_load_b64 v[22:23], v16 offset:2048
	ds_load_b64 v[18:19], v17 offset:2048
	;; [unrolled: 1-line block ×5, first 2 shown]
	v_cndmask_b32_e64 v37, v12, v9, s7
	v_cndmask_b32_e64 v12, v64, v65, s13
	;; [unrolled: 1-line block ×4, first 2 shown]
	s_delay_alu instid0(VALU_DEP_3) | instskip(NEXT) | instid1(VALU_DEP_3)
	v_cmp_lt_u32_e64 s7, v12, v50
	v_lshlrev_b16 v50, 8, v9
	s_delay_alu instid0(VALU_DEP_3)
	v_and_b32_e32 v51, 0xff, v34
	s_waitcnt lgkmcnt(7)
	v_cndmask_b32_e64 v66, v31, v54, s13
	v_cndmask_b32_e64 v67, v55, v31, s13
	;; [unrolled: 1-line block ×3, first 2 shown]
	v_and_b32_e32 v55, 0xff, v37
	s_delay_alu instid0(VALU_DEP_4) | instskip(NEXT) | instid1(VALU_DEP_4)
	v_and_b32_e32 v14, 0xff, v66
	v_and_b32_e32 v15, 0xff, v67
	s_delay_alu instid0(VALU_DEP_4) | instskip(NEXT) | instid1(VALU_DEP_2)
	v_lshlrev_b16 v54, 8, v31
	v_cmp_le_u16_e64 s8, v14, v15
	s_delay_alu instid0(VALU_DEP_1) | instskip(NEXT) | instid1(SALU_CYCLE_1)
	s_and_b32 s7, s8, s7
	s_or_b32 s7, s9, s7
	s_delay_alu instid0(SALU_CYCLE_1) | instskip(SKIP_2) | instid1(VALU_DEP_3)
	v_cndmask_b32_e64 v12, v13, v12, s7
	v_cndmask_b32_e64 v35, v66, v67, s7
	v_and_b32_e32 v13, 0xff, v36
	v_lshl_add_u32 v12, v12, 3, v10
	s_delay_alu instid0(VALU_DEP_3) | instskip(NEXT) | instid1(VALU_DEP_3)
	v_lshlrev_b16 v52, 8, v35
	v_or_b32_e32 v13, v13, v49
	v_or_b32_e32 v49, v53, v50
	;; [unrolled: 1-line block ×3, first 2 shown]
	ds_load_b64 v[14:15], v12 offset:2048
	v_or_b32_e32 v12, v51, v52
	v_and_b32_e32 v13, 0xffff, v13
	v_lshlrev_b32_e32 v49, 16, v49
	v_and_b32_e32 v50, 0xffff, v50
	s_delay_alu instid0(VALU_DEP_4) | instskip(NEXT) | instid1(VALU_DEP_1)
	v_lshlrev_b32_e32 v12, 16, v12
	v_or_b32_e32 v13, v13, v12
	s_delay_alu instid0(VALU_DEP_3)
	v_or_b32_e32 v12, v50, v49
.LBB1549_196:
	s_or_b32 exec_lo, exec_lo, s17
	v_and_b32_e32 v51, 0xc0, v48
	v_lshlrev_b16 v49, 8, v33
	v_and_b32_e32 v52, 0xff, v36
	v_lshlrev_b16 v53, 8, v35
	v_and_b32_e32 v54, 0xff, v34
	v_or_b32_e32 v50, 32, v51
	v_lshlrev_b16 v55, 8, v31
	v_and_b32_e32 v64, 0xff, v37
	v_lshlrev_b16 v65, 8, v9
	v_and_b32_e32 v66, 0xff, v32
	v_min_u32_e32 v50, v29, v50
	v_or_b32_e32 v68, v52, v49
	v_and_b32_e32 v67, 56, v48
	v_or_b32_e32 v53, v54, v53
	v_or_b32_e32 v54, v64, v55
	v_add_nc_u32_e32 v49, 32, v50
	v_or_b32_e32 v55, v66, v65
	v_min_u32_e32 v52, v29, v67
	v_and_b32_e32 v64, 0xffff, v68
	v_lshlrev_b32_e32 v53, 16, v53
	v_min_u32_e32 v49, v29, v49
	v_and_b32_e32 v54, 0xffff, v54
	v_lshlrev_b32_e32 v55, 16, v55
	v_sub_nc_u32_e32 v67, v50, v51
	v_or_b32_e32 v65, v64, v53
	v_sub_nc_u32_e32 v66, v49, v50
	s_mov_b32 s8, exec_lo
	v_or_b32_e32 v64, v54, v55
	v_min_u32_e32 v54, v52, v67
	s_delay_alu instid0(VALU_DEP_3)
	v_sub_nc_u32_e64 v53, v52, v66 clamp
	; wave barrier
	s_waitcnt lgkmcnt(6)
	ds_store_2addr_b64 v28, v[4:5], v[20:21] offset1:1
	s_waitcnt lgkmcnt(5)
	ds_store_2addr_b64 v28, v[22:23], v[18:19] offset0:2 offset1:3
	ds_store_b64 v30, v[64:65]
	s_waitcnt lgkmcnt(5)
	ds_store_2addr_b64 v28, v[26:27], v[16:17] offset0:4 offset1:5
	s_waitcnt lgkmcnt(4)
	ds_store_2addr_b64 v28, v[24:25], v[14:15] offset0:6 offset1:7
	; wave barrier
	v_cmpx_lt_u32_e64 v53, v54
	s_cbranch_execz .LBB1549_200
; %bb.197:
	v_add_nc_u32_e32 v55, v11, v51
	v_add3_u32 v64, v11, v50, v52
	s_mov_b32 s9, 0
	.p2align	6
.LBB1549_198:                           ; =>This Inner Loop Header: Depth=1
	v_add_nc_u32_e32 v65, v54, v53
	s_delay_alu instid0(VALU_DEP_1) | instskip(NEXT) | instid1(VALU_DEP_1)
	v_lshrrev_b32_e32 v65, 1, v65
	v_add_nc_u32_e32 v66, v55, v65
	v_xad_u32 v67, v65, -1, v64
	v_add_nc_u32_e32 v68, 1, v65
	ds_load_u8 v66, v66
	ds_load_u8 v67, v67
	s_waitcnt lgkmcnt(0)
	v_cmp_gt_u16_e64 s7, v67, v66
	s_delay_alu instid0(VALU_DEP_1) | instskip(SKIP_1) | instid1(VALU_DEP_1)
	v_cndmask_b32_e64 v54, v54, v65, s7
	v_cndmask_b32_e64 v53, v68, v53, s7
	v_cmp_ge_u32_e64 s7, v53, v54
	s_delay_alu instid0(VALU_DEP_1) | instskip(NEXT) | instid1(SALU_CYCLE_1)
	s_or_b32 s9, s7, s9
	s_and_not1_b32 exec_lo, exec_lo, s9
	s_cbranch_execnz .LBB1549_198
; %bb.199:
	s_or_b32 exec_lo, exec_lo, s9
.LBB1549_200:
	s_delay_alu instid0(SALU_CYCLE_1) | instskip(SKIP_2) | instid1(VALU_DEP_2)
	s_or_b32 exec_lo, exec_lo, s8
	v_add_nc_u32_e32 v54, v50, v52
	v_add_nc_u32_e32 v52, v53, v51
	v_sub_nc_u32_e32 v51, v54, v53
	s_delay_alu instid0(VALU_DEP_2) | instskip(NEXT) | instid1(VALU_DEP_2)
	v_cmp_le_u32_e64 s7, v52, v50
	v_cmp_le_u32_e64 s8, v51, v49
	s_delay_alu instid0(VALU_DEP_1) | instskip(NEXT) | instid1(SALU_CYCLE_1)
	s_or_b32 s7, s7, s8
	s_and_saveexec_b32 s17, s7
	s_cbranch_execz .LBB1549_206
; %bb.201:
	v_cmp_lt_u32_e64 s7, v52, v50
                                        ; implicit-def: $vgpr9
	s_delay_alu instid0(VALU_DEP_1)
	s_and_saveexec_b32 s8, s7
	s_cbranch_execz .LBB1549_203
; %bb.202:
	v_add_nc_u32_e32 v4, v11, v52
	ds_load_u8 v9, v4
.LBB1549_203:
	s_or_b32 exec_lo, exec_lo, s8
	v_cmp_ge_u32_e64 s8, v51, v49
	s_mov_b32 s10, exec_lo
                                        ; implicit-def: $vgpr12
	v_cmpx_lt_u32_e64 v51, v49
	s_cbranch_execz .LBB1549_205
; %bb.204:
	v_add_nc_u32_e32 v4, v11, v51
	ds_load_u8 v12, v4
.LBB1549_205:
	s_or_b32 exec_lo, exec_lo, s10
	s_waitcnt lgkmcnt(0)
	v_and_b32_e32 v4, 0xff, v9
	v_and_b32_e32 v5, 0xff, v12
	s_delay_alu instid0(VALU_DEP_1) | instskip(NEXT) | instid1(VALU_DEP_1)
	v_cmp_le_u16_e64 s9, v5, v4
	s_and_b32 s7, s7, s9
	s_delay_alu instid0(SALU_CYCLE_1) | instskip(NEXT) | instid1(SALU_CYCLE_1)
	s_or_b32 s7, s8, s7
	v_cndmask_b32_e64 v4, v51, v52, s7
	v_cndmask_b32_e64 v5, v49, v50, s7
	s_delay_alu instid0(VALU_DEP_2) | instskip(NEXT) | instid1(VALU_DEP_2)
	v_add_nc_u32_e32 v13, 1, v4
	v_add_nc_u32_e32 v5, -1, v5
	v_lshl_add_u32 v4, v4, 3, v10
	s_delay_alu instid0(VALU_DEP_2) | instskip(NEXT) | instid1(VALU_DEP_1)
	v_min_u32_e32 v5, v13, v5
	v_add_nc_u32_e32 v5, v11, v5
	ds_load_u8 v5, v5
	s_waitcnt lgkmcnt(0)
	v_cndmask_b32_e64 v14, v5, v12, s7
	v_cndmask_b32_e64 v15, v9, v5, s7
	;; [unrolled: 1-line block ×4, first 2 shown]
	s_delay_alu instid0(VALU_DEP_4) | instskip(NEXT) | instid1(VALU_DEP_4)
	v_and_b32_e32 v16, 0xff, v14
	v_and_b32_e32 v17, 0xff, v15
	s_delay_alu instid0(VALU_DEP_4) | instskip(NEXT) | instid1(VALU_DEP_4)
	v_cmp_lt_u32_e64 s8, v5, v50
	v_cmp_ge_u32_e64 s10, v13, v49
	s_delay_alu instid0(VALU_DEP_3) | instskip(NEXT) | instid1(VALU_DEP_1)
	v_cmp_le_u16_e64 s9, v16, v17
	s_and_b32 s8, s9, s8
	s_delay_alu instid0(VALU_DEP_2) | instid1(SALU_CYCLE_1)
	s_or_b32 s8, s10, s8
	s_delay_alu instid0(SALU_CYCLE_1) | instskip(SKIP_1) | instid1(VALU_DEP_2)
	v_cndmask_b32_e64 v16, v13, v5, s8
	v_cndmask_b32_e64 v17, v49, v50, s8
	v_add_nc_u32_e32 v18, 1, v16
	s_delay_alu instid0(VALU_DEP_2) | instskip(SKIP_1) | instid1(VALU_DEP_3)
	v_add_nc_u32_e32 v17, -1, v17
	v_lshl_add_u32 v16, v16, 3, v10
	v_cndmask_b32_e64 v5, v5, v18, s8
	s_delay_alu instid0(VALU_DEP_3) | instskip(SKIP_1) | instid1(VALU_DEP_3)
	v_min_u32_e32 v17, v18, v17
	v_cndmask_b32_e64 v13, v18, v13, s8
	v_cmp_lt_u32_e64 s9, v5, v50
	s_delay_alu instid0(VALU_DEP_3) | instskip(NEXT) | instid1(VALU_DEP_3)
	v_add_nc_u32_e32 v17, v11, v17
	v_cmp_ge_u32_e64 s11, v13, v49
	ds_load_u8 v17, v17
	s_waitcnt lgkmcnt(0)
	v_cndmask_b32_e64 v32, v17, v14, s8
	v_cndmask_b32_e64 v33, v15, v17, s8
	s_delay_alu instid0(VALU_DEP_2) | instskip(NEXT) | instid1(VALU_DEP_2)
	v_and_b32_e32 v17, 0xff, v32
	v_and_b32_e32 v19, 0xff, v33
	s_delay_alu instid0(VALU_DEP_1) | instskip(NEXT) | instid1(VALU_DEP_1)
	v_cmp_le_u16_e64 s10, v17, v19
	s_and_b32 s9, s10, s9
	s_delay_alu instid0(SALU_CYCLE_1) | instskip(NEXT) | instid1(SALU_CYCLE_1)
	s_or_b32 s9, s11, s9
	v_cndmask_b32_e64 v17, v13, v5, s9
	v_cndmask_b32_e64 v18, v49, v50, s9
	s_delay_alu instid0(VALU_DEP_2) | instskip(NEXT) | instid1(VALU_DEP_2)
	v_add_nc_u32_e32 v19, 1, v17
	v_add_nc_u32_e32 v18, -1, v18
	s_delay_alu instid0(VALU_DEP_2) | instskip(NEXT) | instid1(VALU_DEP_2)
	v_cndmask_b32_e64 v5, v5, v19, s9
	v_min_u32_e32 v18, v19, v18
	v_cndmask_b32_e64 v13, v19, v13, s9
	s_delay_alu instid0(VALU_DEP_3) | instskip(NEXT) | instid1(VALU_DEP_3)
	v_cmp_lt_u32_e64 s10, v5, v50
	v_add_nc_u32_e32 v18, v11, v18
	s_delay_alu instid0(VALU_DEP_3)
	v_cmp_ge_u32_e64 s12, v13, v49
	ds_load_u8 v18, v18
	s_waitcnt lgkmcnt(0)
	v_cndmask_b32_e64 v34, v18, v32, s9
	v_cndmask_b32_e64 v35, v33, v18, s9
	;; [unrolled: 1-line block ×3, first 2 shown]
	s_delay_alu instid0(VALU_DEP_3) | instskip(NEXT) | instid1(VALU_DEP_3)
	v_and_b32_e32 v18, 0xff, v34
	v_and_b32_e32 v20, 0xff, v35
	s_delay_alu instid0(VALU_DEP_1) | instskip(NEXT) | instid1(VALU_DEP_1)
	v_cmp_le_u16_e64 s11, v18, v20
	s_and_b32 s10, s11, s10
	s_delay_alu instid0(SALU_CYCLE_1) | instskip(NEXT) | instid1(SALU_CYCLE_1)
	s_or_b32 s10, s12, s10
	v_cndmask_b32_e64 v18, v13, v5, s10
	v_cndmask_b32_e64 v19, v49, v50, s10
	s_delay_alu instid0(VALU_DEP_2) | instskip(NEXT) | instid1(VALU_DEP_2)
	v_add_nc_u32_e32 v20, 1, v18
	v_add_nc_u32_e32 v19, -1, v19
	s_delay_alu instid0(VALU_DEP_2) | instskip(NEXT) | instid1(VALU_DEP_2)
	v_cndmask_b32_e64 v5, v5, v20, s10
	v_min_u32_e32 v19, v20, v19
	v_cndmask_b32_e64 v13, v20, v13, s10
	s_delay_alu instid0(VALU_DEP_3) | instskip(NEXT) | instid1(VALU_DEP_3)
	v_cmp_lt_u32_e64 s11, v5, v50
	v_add_nc_u32_e32 v19, v11, v19
	s_delay_alu instid0(VALU_DEP_3) | instskip(SKIP_4) | instid1(VALU_DEP_2)
	v_cmp_ge_u32_e64 s13, v13, v49
	ds_load_u8 v19, v19
	s_waitcnt lgkmcnt(0)
	v_cndmask_b32_e64 v36, v19, v34, s10
	v_cndmask_b32_e64 v51, v35, v19, s10
	v_and_b32_e32 v19, 0xff, v36
	s_delay_alu instid0(VALU_DEP_2) | instskip(NEXT) | instid1(VALU_DEP_1)
	v_and_b32_e32 v21, 0xff, v51
	v_cmp_le_u16_e64 s12, v19, v21
	s_delay_alu instid0(VALU_DEP_1) | instskip(NEXT) | instid1(SALU_CYCLE_1)
	s_and_b32 s11, s12, s11
	s_or_b32 s11, s13, s11
	s_delay_alu instid0(SALU_CYCLE_1) | instskip(SKIP_1) | instid1(VALU_DEP_2)
	v_cndmask_b32_e64 v19, v13, v5, s11
	v_cndmask_b32_e64 v20, v49, v50, s11
	v_add_nc_u32_e32 v21, 1, v19
	s_delay_alu instid0(VALU_DEP_2) | instskip(SKIP_1) | instid1(VALU_DEP_3)
	v_add_nc_u32_e32 v20, -1, v20
	v_lshl_add_u32 v24, v19, 3, v10
	v_cndmask_b32_e64 v5, v5, v21, s11
	s_delay_alu instid0(VALU_DEP_3) | instskip(SKIP_1) | instid1(VALU_DEP_3)
	v_min_u32_e32 v20, v21, v20
	v_cndmask_b32_e64 v13, v21, v13, s11
	v_cmp_lt_u32_e64 s12, v5, v50
	s_delay_alu instid0(VALU_DEP_3) | instskip(NEXT) | instid1(VALU_DEP_3)
	v_add_nc_u32_e32 v20, v11, v20
	v_cmp_ge_u32_e64 s14, v13, v49
	ds_load_u8 v20, v20
	s_waitcnt lgkmcnt(0)
	v_cndmask_b32_e64 v52, v20, v36, s11
	v_cndmask_b32_e64 v53, v51, v20, s11
	;; [unrolled: 1-line block ×3, first 2 shown]
	s_delay_alu instid0(VALU_DEP_3) | instskip(NEXT) | instid1(VALU_DEP_3)
	v_and_b32_e32 v20, 0xff, v52
	v_and_b32_e32 v22, 0xff, v53
	s_delay_alu instid0(VALU_DEP_1) | instskip(NEXT) | instid1(VALU_DEP_1)
	v_cmp_le_u16_e64 s13, v20, v22
	s_and_b32 s12, s13, s12
	s_delay_alu instid0(SALU_CYCLE_1) | instskip(NEXT) | instid1(SALU_CYCLE_1)
	s_or_b32 s12, s14, s12
	v_cndmask_b32_e64 v22, v13, v5, s12
	v_cndmask_b32_e64 v20, v49, v50, s12
	v_cndmask_b32_e64 v33, v52, v53, s12
	s_delay_alu instid0(VALU_DEP_3) | instskip(NEXT) | instid1(VALU_DEP_3)
	v_add_nc_u32_e32 v21, 1, v22
	v_add_nc_u32_e32 v20, -1, v20
	v_lshl_add_u32 v25, v22, 3, v10
	s_delay_alu instid0(VALU_DEP_3) | instskip(NEXT) | instid1(VALU_DEP_3)
	v_cndmask_b32_e64 v64, v5, v21, s12
	v_min_u32_e32 v20, v21, v20
	v_cndmask_b32_e64 v13, v21, v13, s12
	s_delay_alu instid0(VALU_DEP_3) | instskip(NEXT) | instid1(VALU_DEP_3)
	v_cmp_lt_u32_e64 s13, v64, v50
	v_add_nc_u32_e32 v20, v11, v20
	s_delay_alu instid0(VALU_DEP_3)
	v_cmp_ge_u32_e64 s15, v13, v49
	ds_load_u8 v20, v20
	s_waitcnt lgkmcnt(0)
	v_cndmask_b32_e64 v54, v20, v52, s12
	v_cndmask_b32_e64 v55, v53, v20, s12
	v_and_b32_e32 v53, 0xff, v32
	s_delay_alu instid0(VALU_DEP_3) | instskip(NEXT) | instid1(VALU_DEP_3)
	v_and_b32_e32 v5, 0xff, v54
	v_and_b32_e32 v20, 0xff, v55
	s_delay_alu instid0(VALU_DEP_1) | instskip(NEXT) | instid1(VALU_DEP_1)
	v_cmp_le_u16_e64 s14, v5, v20
	s_and_b32 s13, s14, s13
	s_delay_alu instid0(SALU_CYCLE_1) | instskip(NEXT) | instid1(SALU_CYCLE_1)
	s_or_b32 s13, s15, s13
	v_cndmask_b32_e64 v23, v13, v64, s13
	v_cndmask_b32_e64 v5, v49, v50, s13
	s_delay_alu instid0(VALU_DEP_2) | instskip(NEXT) | instid1(VALU_DEP_2)
	v_add_nc_u32_e32 v65, 1, v23
	v_add_nc_u32_e32 v5, -1, v5
	v_lshl_add_u32 v37, v23, 3, v10
	s_delay_alu instid0(VALU_DEP_3) | instskip(NEXT) | instid1(VALU_DEP_3)
	v_cndmask_b32_e64 v13, v65, v13, s13
	v_min_u32_e32 v5, v65, v5
	s_delay_alu instid0(VALU_DEP_2) | instskip(NEXT) | instid1(VALU_DEP_2)
	v_cmp_ge_u32_e64 s9, v13, v49
	v_add_nc_u32_e32 v5, v11, v5
	v_lshlrev_b16 v49, 8, v33
	ds_load_u8 v31, v5
	ds_load_b64 v[4:5], v4 offset:2048
	ds_load_b64 v[20:21], v16 offset:2048
	v_lshl_add_u32 v16, v17, 3, v10
	v_lshl_add_u32 v17, v18, 3, v10
	ds_load_b64 v[22:23], v16 offset:2048
	ds_load_b64 v[18:19], v17 offset:2048
	;; [unrolled: 1-line block ×5, first 2 shown]
	v_cndmask_b32_e64 v37, v12, v9, s7
	v_cndmask_b32_e64 v12, v64, v65, s13
	;; [unrolled: 1-line block ×4, first 2 shown]
	s_delay_alu instid0(VALU_DEP_3) | instskip(NEXT) | instid1(VALU_DEP_3)
	v_cmp_lt_u32_e64 s7, v12, v50
	v_lshlrev_b16 v50, 8, v9
	s_delay_alu instid0(VALU_DEP_3)
	v_and_b32_e32 v51, 0xff, v34
	s_waitcnt lgkmcnt(7)
	v_cndmask_b32_e64 v66, v31, v54, s13
	v_cndmask_b32_e64 v67, v55, v31, s13
	;; [unrolled: 1-line block ×3, first 2 shown]
	v_and_b32_e32 v55, 0xff, v37
	s_delay_alu instid0(VALU_DEP_4) | instskip(NEXT) | instid1(VALU_DEP_4)
	v_and_b32_e32 v14, 0xff, v66
	v_and_b32_e32 v15, 0xff, v67
	s_delay_alu instid0(VALU_DEP_4) | instskip(NEXT) | instid1(VALU_DEP_2)
	v_lshlrev_b16 v54, 8, v31
	v_cmp_le_u16_e64 s8, v14, v15
	s_delay_alu instid0(VALU_DEP_1) | instskip(NEXT) | instid1(SALU_CYCLE_1)
	s_and_b32 s7, s8, s7
	s_or_b32 s7, s9, s7
	s_delay_alu instid0(SALU_CYCLE_1) | instskip(SKIP_2) | instid1(VALU_DEP_3)
	v_cndmask_b32_e64 v12, v13, v12, s7
	v_cndmask_b32_e64 v35, v66, v67, s7
	v_and_b32_e32 v13, 0xff, v36
	v_lshl_add_u32 v12, v12, 3, v10
	s_delay_alu instid0(VALU_DEP_3) | instskip(NEXT) | instid1(VALU_DEP_3)
	v_lshlrev_b16 v52, 8, v35
	v_or_b32_e32 v13, v13, v49
	v_or_b32_e32 v49, v53, v50
	;; [unrolled: 1-line block ×3, first 2 shown]
	ds_load_b64 v[14:15], v12 offset:2048
	v_or_b32_e32 v12, v51, v52
	v_and_b32_e32 v13, 0xffff, v13
	v_lshlrev_b32_e32 v49, 16, v49
	v_and_b32_e32 v50, 0xffff, v50
	s_delay_alu instid0(VALU_DEP_4) | instskip(NEXT) | instid1(VALU_DEP_1)
	v_lshlrev_b32_e32 v12, 16, v12
	v_or_b32_e32 v13, v13, v12
	s_delay_alu instid0(VALU_DEP_3)
	v_or_b32_e32 v12, v50, v49
.LBB1549_206:
	s_or_b32 exec_lo, exec_lo, s17
	v_and_b32_e32 v48, 0x80, v48
	v_lshlrev_b16 v50, 8, v31
	v_lshlrev_b16 v33, 8, v33
	v_and_b32_e32 v36, 0xff, v36
	v_lshlrev_b16 v35, 8, v35
	v_or_b32_e32 v49, 64, v48
	v_and_b32_e32 v34, 0xff, v34
	v_lshlrev_b16 v9, 8, v9
	v_and_b32_e32 v37, 0xff, v37
	v_or_b32_e32 v33, v36, v33
	v_min_u32_e32 v31, v29, v49
	v_and_b32_e32 v49, 0xff, v32
	v_or_b32_e32 v34, v34, v35
	v_or_b32_e32 v35, v37, v50
	v_min_u32_e32 v32, v29, v38
	v_add_nc_u32_e32 v51, 64, v31
	v_or_b32_e32 v36, v49, v9
	v_sub_nc_u32_e32 v49, v31, v48
	s_mov_b32 s8, exec_lo
	s_delay_alu instid0(VALU_DEP_3)
	v_min_u32_e32 v9, v29, v51
	v_and_b32_e32 v29, 0xffff, v33
	v_lshlrev_b32_e32 v33, 16, v34
	v_and_b32_e32 v34, 0xffff, v35
	v_lshlrev_b32_e32 v36, 16, v36
	v_sub_nc_u32_e32 v37, v9, v31
	; wave barrier
	s_delay_alu instid0(VALU_DEP_4) | instskip(SKIP_1) | instid1(VALU_DEP_4)
	v_or_b32_e32 v35, v29, v33
	v_min_u32_e32 v29, v32, v49
	v_or_b32_e32 v34, v34, v36
	s_delay_alu instid0(VALU_DEP_4)
	v_sub_nc_u32_e64 v33, v32, v37 clamp
	s_waitcnt lgkmcnt(6)
	ds_store_2addr_b64 v28, v[4:5], v[20:21] offset1:1
	s_waitcnt lgkmcnt(5)
	ds_store_2addr_b64 v28, v[22:23], v[18:19] offset0:2 offset1:3
	ds_store_b64 v30, v[34:35]
	s_waitcnt lgkmcnt(5)
	ds_store_2addr_b64 v28, v[26:27], v[16:17] offset0:4 offset1:5
	s_waitcnt lgkmcnt(4)
	ds_store_2addr_b64 v28, v[24:25], v[14:15] offset0:6 offset1:7
	; wave barrier
	v_cmpx_lt_u32_e64 v33, v29
	s_cbranch_execz .LBB1549_210
; %bb.207:
	v_add_nc_u32_e32 v28, v11, v48
	v_add3_u32 v30, v11, v31, v32
	s_mov_b32 s9, 0
	.p2align	6
.LBB1549_208:                           ; =>This Inner Loop Header: Depth=1
	v_add_nc_u32_e32 v34, v29, v33
	s_delay_alu instid0(VALU_DEP_1) | instskip(NEXT) | instid1(VALU_DEP_1)
	v_lshrrev_b32_e32 v34, 1, v34
	v_add_nc_u32_e32 v35, v28, v34
	v_xad_u32 v36, v34, -1, v30
	v_add_nc_u32_e32 v37, 1, v34
	ds_load_u8 v35, v35
	ds_load_u8 v36, v36
	s_waitcnt lgkmcnt(0)
	v_cmp_gt_u16_e64 s7, v36, v35
	s_delay_alu instid0(VALU_DEP_1) | instskip(SKIP_1) | instid1(VALU_DEP_1)
	v_cndmask_b32_e64 v29, v29, v34, s7
	v_cndmask_b32_e64 v33, v37, v33, s7
	v_cmp_ge_u32_e64 s7, v33, v29
	s_delay_alu instid0(VALU_DEP_1) | instskip(NEXT) | instid1(SALU_CYCLE_1)
	s_or_b32 s9, s7, s9
	s_and_not1_b32 exec_lo, exec_lo, s9
	s_cbranch_execnz .LBB1549_208
; %bb.209:
	s_or_b32 exec_lo, exec_lo, s9
.LBB1549_210:
	s_delay_alu instid0(SALU_CYCLE_1) | instskip(SKIP_2) | instid1(VALU_DEP_2)
	s_or_b32 exec_lo, exec_lo, s8
	v_add_nc_u32_e32 v28, v31, v32
	v_add_nc_u32_e32 v29, v33, v48
	v_sub_nc_u32_e32 v28, v28, v33
	s_delay_alu instid0(VALU_DEP_2) | instskip(NEXT) | instid1(VALU_DEP_2)
	v_cmp_le_u32_e64 s7, v29, v31
	v_cmp_le_u32_e64 s8, v28, v9
	s_delay_alu instid0(VALU_DEP_1) | instskip(NEXT) | instid1(SALU_CYCLE_1)
	s_or_b32 s7, s7, s8
	s_and_saveexec_b32 s17, s7
	s_cbranch_execz .LBB1549_216
; %bb.211:
	v_cmp_lt_u32_e64 s7, v29, v31
                                        ; implicit-def: $vgpr12
	s_delay_alu instid0(VALU_DEP_1)
	s_and_saveexec_b32 s8, s7
	s_cbranch_execz .LBB1549_213
; %bb.212:
	v_add_nc_u32_e32 v4, v11, v29
	ds_load_u8 v12, v4
.LBB1549_213:
	s_or_b32 exec_lo, exec_lo, s8
	v_cmp_ge_u32_e64 s8, v28, v9
	s_mov_b32 s10, exec_lo
                                        ; implicit-def: $vgpr13
	v_cmpx_lt_u32_e64 v28, v9
	s_cbranch_execz .LBB1549_215
; %bb.214:
	v_add_nc_u32_e32 v4, v11, v28
	ds_load_u8 v13, v4
.LBB1549_215:
	s_or_b32 exec_lo, exec_lo, s10
	s_waitcnt lgkmcnt(0)
	v_and_b32_e32 v4, 0xff, v12
	v_and_b32_e32 v5, 0xff, v13
	s_delay_alu instid0(VALU_DEP_1) | instskip(NEXT) | instid1(VALU_DEP_1)
	v_cmp_le_u16_e64 s9, v5, v4
	s_and_b32 s7, s7, s9
	s_delay_alu instid0(SALU_CYCLE_1) | instskip(NEXT) | instid1(SALU_CYCLE_1)
	s_or_b32 s7, s8, s7
	v_cndmask_b32_e64 v4, v28, v29, s7
	v_cndmask_b32_e64 v5, v9, v31, s7
	s_delay_alu instid0(VALU_DEP_2) | instskip(NEXT) | instid1(VALU_DEP_2)
	v_add_nc_u32_e32 v14, 1, v4
	v_add_nc_u32_e32 v5, -1, v5
	v_lshl_add_u32 v4, v4, 3, v10
	s_delay_alu instid0(VALU_DEP_2) | instskip(NEXT) | instid1(VALU_DEP_1)
	v_min_u32_e32 v5, v14, v5
	v_add_nc_u32_e32 v5, v11, v5
	ds_load_u8 v5, v5
	s_waitcnt lgkmcnt(0)
	v_cndmask_b32_e64 v15, v5, v13, s7
	v_cndmask_b32_e64 v30, v12, v5, s7
	;; [unrolled: 1-line block ×5, first 2 shown]
	v_and_b32_e32 v16, 0xff, v15
	v_and_b32_e32 v17, 0xff, v30
	v_cmp_lt_u32_e64 s8, v5, v31
	v_cmp_ge_u32_e64 s10, v14, v9
	v_and_b32_e32 v12, 0xff, v12
	s_delay_alu instid0(VALU_DEP_4) | instskip(NEXT) | instid1(VALU_DEP_1)
	v_cmp_le_u16_e64 s9, v16, v17
	s_and_b32 s8, s9, s8
	s_delay_alu instid0(VALU_DEP_3) | instid1(SALU_CYCLE_1)
	s_or_b32 s8, s10, s8
	s_delay_alu instid0(SALU_CYCLE_1) | instskip(SKIP_2) | instid1(VALU_DEP_3)
	v_cndmask_b32_e64 v16, v14, v5, s8
	v_cndmask_b32_e64 v17, v9, v31, s8
	;; [unrolled: 1-line block ×3, first 2 shown]
	v_add_nc_u32_e32 v18, 1, v16
	s_delay_alu instid0(VALU_DEP_3) | instskip(SKIP_1) | instid1(VALU_DEP_4)
	v_add_nc_u32_e32 v17, -1, v17
	v_lshl_add_u32 v16, v16, 3, v10
	v_lshlrev_b16 v13, 8, v13
	s_delay_alu instid0(VALU_DEP_4) | instskip(NEXT) | instid1(VALU_DEP_4)
	v_cndmask_b32_e64 v5, v5, v18, s8
	v_min_u32_e32 v17, v18, v17
	v_cndmask_b32_e64 v14, v18, v14, s8
	s_delay_alu instid0(VALU_DEP_4) | instskip(NEXT) | instid1(VALU_DEP_4)
	v_or_b32_e32 v12, v12, v13
	v_cmp_lt_u32_e64 s9, v5, v31
	s_delay_alu instid0(VALU_DEP_4) | instskip(NEXT) | instid1(VALU_DEP_4)
	v_add_nc_u32_e32 v17, v11, v17
	v_cmp_ge_u32_e64 s11, v14, v9
	s_delay_alu instid0(VALU_DEP_4) | instskip(SKIP_4) | instid1(VALU_DEP_2)
	v_and_b32_e32 v12, 0xffff, v12
	ds_load_u8 v17, v17
	s_waitcnt lgkmcnt(0)
	v_cndmask_b32_e64 v28, v17, v15, s8
	v_cndmask_b32_e64 v29, v30, v17, s8
	v_and_b32_e32 v17, 0xff, v28
	s_delay_alu instid0(VALU_DEP_2) | instskip(NEXT) | instid1(VALU_DEP_1)
	v_and_b32_e32 v19, 0xff, v29
	v_cmp_le_u16_e64 s10, v17, v19
	s_delay_alu instid0(VALU_DEP_1) | instskip(NEXT) | instid1(SALU_CYCLE_1)
	s_and_b32 s9, s10, s9
	s_or_b32 s9, s11, s9
	s_delay_alu instid0(SALU_CYCLE_1) | instskip(SKIP_1) | instid1(VALU_DEP_2)
	v_cndmask_b32_e64 v17, v14, v5, s9
	v_cndmask_b32_e64 v18, v9, v31, s9
	v_add_nc_u32_e32 v19, 1, v17
	s_delay_alu instid0(VALU_DEP_2) | instskip(NEXT) | instid1(VALU_DEP_2)
	v_add_nc_u32_e32 v18, -1, v18
	v_cndmask_b32_e64 v5, v5, v19, s9
	s_delay_alu instid0(VALU_DEP_2) | instskip(SKIP_1) | instid1(VALU_DEP_3)
	v_min_u32_e32 v18, v19, v18
	v_cndmask_b32_e64 v14, v19, v14, s9
	v_cmp_lt_u32_e64 s10, v5, v31
	s_delay_alu instid0(VALU_DEP_3) | instskip(NEXT) | instid1(VALU_DEP_3)
	v_add_nc_u32_e32 v18, v11, v18
	v_cmp_ge_u32_e64 s12, v14, v9
	ds_load_u8 v18, v18
	s_waitcnt lgkmcnt(0)
	v_cndmask_b32_e64 v32, v18, v28, s9
	v_cndmask_b32_e64 v33, v29, v18, s9
	;; [unrolled: 1-line block ×3, first 2 shown]
	s_delay_alu instid0(VALU_DEP_3) | instskip(NEXT) | instid1(VALU_DEP_3)
	v_and_b32_e32 v18, 0xff, v32
	v_and_b32_e32 v20, 0xff, v33
	s_delay_alu instid0(VALU_DEP_3) | instskip(NEXT) | instid1(VALU_DEP_2)
	v_and_b32_e32 v28, 0xff, v28
	v_cmp_le_u16_e64 s11, v18, v20
	s_delay_alu instid0(VALU_DEP_1) | instskip(NEXT) | instid1(SALU_CYCLE_1)
	s_and_b32 s10, s11, s10
	s_or_b32 s10, s12, s10
	s_delay_alu instid0(SALU_CYCLE_1) | instskip(SKIP_1) | instid1(VALU_DEP_2)
	v_cndmask_b32_e64 v18, v14, v5, s10
	v_cndmask_b32_e64 v19, v9, v31, s10
	v_add_nc_u32_e32 v20, 1, v18
	s_delay_alu instid0(VALU_DEP_2) | instskip(NEXT) | instid1(VALU_DEP_2)
	v_add_nc_u32_e32 v19, -1, v19
	v_cndmask_b32_e64 v5, v5, v20, s10
	s_delay_alu instid0(VALU_DEP_2) | instskip(SKIP_1) | instid1(VALU_DEP_3)
	v_min_u32_e32 v19, v20, v19
	v_cndmask_b32_e64 v14, v20, v14, s10
	v_cmp_lt_u32_e64 s11, v5, v31
	s_delay_alu instid0(VALU_DEP_3) | instskip(NEXT) | instid1(VALU_DEP_3)
	v_add_nc_u32_e32 v19, v11, v19
	v_cmp_ge_u32_e64 s13, v14, v9
	ds_load_u8 v19, v19
	s_waitcnt lgkmcnt(0)
	v_cndmask_b32_e64 v34, v19, v32, s10
	v_cndmask_b32_e64 v35, v33, v19, s10
	;; [unrolled: 1-line block ×3, first 2 shown]
	s_delay_alu instid0(VALU_DEP_3) | instskip(NEXT) | instid1(VALU_DEP_3)
	v_and_b32_e32 v19, 0xff, v34
	v_and_b32_e32 v21, 0xff, v35
	s_delay_alu instid0(VALU_DEP_3) | instskip(NEXT) | instid1(VALU_DEP_2)
	v_lshlrev_b16 v29, 8, v32
	v_cmp_le_u16_e64 s12, v19, v21
	s_delay_alu instid0(VALU_DEP_1) | instskip(NEXT) | instid1(SALU_CYCLE_1)
	s_and_b32 s11, s12, s11
	s_or_b32 s11, s13, s11
	s_delay_alu instid0(SALU_CYCLE_1) | instskip(SKIP_1) | instid1(VALU_DEP_2)
	v_cndmask_b32_e64 v19, v14, v5, s11
	v_cndmask_b32_e64 v20, v9, v31, s11
	v_add_nc_u32_e32 v21, 1, v19
	s_delay_alu instid0(VALU_DEP_2) | instskip(SKIP_1) | instid1(VALU_DEP_3)
	v_add_nc_u32_e32 v20, -1, v20
	v_lshl_add_u32 v24, v19, 3, v10
	v_cndmask_b32_e64 v5, v5, v21, s11
	s_delay_alu instid0(VALU_DEP_3) | instskip(SKIP_1) | instid1(VALU_DEP_3)
	v_min_u32_e32 v20, v21, v20
	v_cndmask_b32_e64 v14, v21, v14, s11
	v_cmp_lt_u32_e64 s12, v5, v31
	s_delay_alu instid0(VALU_DEP_3) | instskip(NEXT) | instid1(VALU_DEP_3)
	v_add_nc_u32_e32 v20, v11, v20
	v_cmp_ge_u32_e64 s14, v14, v9
	ds_load_u8 v20, v20
	s_waitcnt lgkmcnt(0)
	v_cndmask_b32_e64 v36, v20, v34, s11
	v_cndmask_b32_e64 v37, v35, v20, s11
	s_delay_alu instid0(VALU_DEP_2) | instskip(NEXT) | instid1(VALU_DEP_2)
	v_and_b32_e32 v20, 0xff, v36
	v_and_b32_e32 v22, 0xff, v37
	s_delay_alu instid0(VALU_DEP_1) | instskip(NEXT) | instid1(VALU_DEP_1)
	v_cmp_le_u16_e64 s13, v20, v22
	s_and_b32 s12, s13, s12
	s_delay_alu instid0(SALU_CYCLE_1) | instskip(NEXT) | instid1(SALU_CYCLE_1)
	s_or_b32 s12, s14, s12
	v_cndmask_b32_e64 v22, v14, v5, s12
	v_cndmask_b32_e64 v20, v9, v31, s12
	s_delay_alu instid0(VALU_DEP_2) | instskip(NEXT) | instid1(VALU_DEP_2)
	v_add_nc_u32_e32 v21, 1, v22
	v_add_nc_u32_e32 v20, -1, v20
	v_lshl_add_u32 v25, v22, 3, v10
	s_delay_alu instid0(VALU_DEP_3) | instskip(NEXT) | instid1(VALU_DEP_3)
	v_cndmask_b32_e64 v50, v5, v21, s12
	v_min_u32_e32 v20, v21, v20
	v_cndmask_b32_e64 v14, v21, v14, s12
	s_delay_alu instid0(VALU_DEP_3) | instskip(NEXT) | instid1(VALU_DEP_3)
	v_cmp_lt_u32_e64 s13, v50, v31
	v_add_nc_u32_e32 v20, v11, v20
	s_delay_alu instid0(VALU_DEP_3) | instskip(SKIP_4) | instid1(VALU_DEP_2)
	v_cmp_ge_u32_e64 s15, v14, v9
	ds_load_u8 v20, v20
	s_waitcnt lgkmcnt(0)
	v_cndmask_b32_e64 v48, v20, v36, s12
	v_cndmask_b32_e64 v49, v37, v20, s12
	v_and_b32_e32 v5, 0xff, v48
	s_delay_alu instid0(VALU_DEP_2) | instskip(NEXT) | instid1(VALU_DEP_1)
	v_and_b32_e32 v20, 0xff, v49
	v_cmp_le_u16_e64 s14, v5, v20
	s_delay_alu instid0(VALU_DEP_1) | instskip(NEXT) | instid1(SALU_CYCLE_1)
	s_and_b32 s13, s14, s13
	s_or_b32 s13, s15, s13
	s_delay_alu instid0(SALU_CYCLE_1) | instskip(SKIP_1) | instid1(VALU_DEP_2)
	v_cndmask_b32_e64 v23, v14, v50, s13
	v_cndmask_b32_e64 v5, v9, v31, s13
	v_add_nc_u32_e32 v51, 1, v23
	s_delay_alu instid0(VALU_DEP_2) | instskip(SKIP_1) | instid1(VALU_DEP_3)
	v_add_nc_u32_e32 v5, -1, v5
	v_lshl_add_u32 v52, v23, 3, v10
	v_cndmask_b32_e64 v15, v50, v51, s13
	s_delay_alu instid0(VALU_DEP_3) | instskip(SKIP_1) | instid1(VALU_DEP_3)
	v_min_u32_e32 v5, v51, v5
	v_cndmask_b32_e64 v14, v51, v14, s13
	v_cmp_lt_u32_e64 s7, v15, v31
	s_delay_alu instid0(VALU_DEP_3) | instskip(NEXT) | instid1(VALU_DEP_3)
	v_add_nc_u32_e32 v5, v11, v5
	v_cmp_ge_u32_e64 s9, v14, v9
	v_cndmask_b32_e64 v9, v34, v35, s11
	v_cndmask_b32_e64 v31, v48, v49, s13
	ds_load_u8 v11, v5
	ds_load_b64 v[4:5], v4 offset:2048
	ds_load_b64 v[20:21], v16 offset:2048
	v_lshl_add_u32 v16, v17, 3, v10
	v_lshl_add_u32 v17, v18, 3, v10
	ds_load_b64 v[22:23], v16 offset:2048
	ds_load_b64 v[18:19], v17 offset:2048
	;; [unrolled: 1-line block ×5, first 2 shown]
	v_and_b32_e32 v9, 0xff, v9
	v_and_b32_e32 v31, 0xff, v31
	s_waitcnt lgkmcnt(7)
	v_cndmask_b32_e64 v52, v11, v48, s13
	v_cndmask_b32_e64 v11, v49, v11, s13
	s_delay_alu instid0(VALU_DEP_2) | instskip(NEXT) | instid1(VALU_DEP_2)
	v_and_b32_e32 v30, 0xff, v52
	v_and_b32_e32 v50, 0xff, v11
	s_delay_alu instid0(VALU_DEP_1) | instskip(SKIP_1) | instid1(VALU_DEP_2)
	v_cmp_le_u16_e64 s8, v30, v50
	v_cndmask_b32_e64 v30, v36, v37, s12
	s_and_b32 s7, s8, s7
	s_delay_alu instid0(VALU_DEP_1) | instskip(SKIP_1) | instid1(SALU_CYCLE_1)
	v_lshlrev_b16 v30, 8, v30
	s_or_b32 s7, s9, s7
	v_cndmask_b32_e64 v14, v14, v15, s7
	v_cndmask_b32_e64 v11, v52, v11, s7
	s_delay_alu instid0(VALU_DEP_3) | instskip(NEXT) | instid1(VALU_DEP_3)
	v_or_b32_e32 v9, v9, v30
	v_lshl_add_u32 v10, v14, 3, v10
	s_delay_alu instid0(VALU_DEP_3) | instskip(NEXT) | instid1(VALU_DEP_3)
	v_lshlrev_b16 v11, 8, v11
	v_and_b32_e32 v9, 0xffff, v9
	ds_load_b64 v[14:15], v10 offset:2048
	v_or_b32_e32 v10, v31, v11
	v_or_b32_e32 v11, v28, v29
	s_delay_alu instid0(VALU_DEP_2) | instskip(NEXT) | instid1(VALU_DEP_2)
	v_lshlrev_b32_e32 v10, 16, v10
	v_lshlrev_b32_e32 v11, 16, v11
	s_delay_alu instid0(VALU_DEP_2) | instskip(NEXT) | instid1(VALU_DEP_2)
	v_or_b32_e32 v13, v9, v10
	v_or_b32_e32 v12, v12, v11
.LBB1549_216:
	s_or_b32 exec_lo, exec_lo, s17
	; wave barrier
	s_waitcnt lgkmcnt(0)
	s_waitcnt_vscnt null, 0x0
	s_barrier
.LBB1549_217:
	s_or_b32 exec_lo, exec_lo, s16
	v_add_co_u32 v2, s7, v2, v8
	s_delay_alu instid0(VALU_DEP_1) | instskip(SKIP_4) | instid1(VALU_DEP_1)
	v_add_co_ci_u32_e64 v3, s7, 0, v3, s7
	s_waitcnt vmcnt(0) lgkmcnt(0)
	s_waitcnt_vscnt null, 0x0
	buffer_gl0_inv
	v_add_co_u32 v2, s7, v2, v38
	v_add_co_ci_u32_e64 v3, s7, 0, v3, s7
	; wave barrier
	s_and_saveexec_b32 s7, vcc_lo
	s_cbranch_execnz .LBB1549_242
; %bb.218:
	s_or_b32 exec_lo, exec_lo, s7
	s_and_saveexec_b32 s7, s0
	s_cbranch_execnz .LBB1549_243
.LBB1549_219:
	s_or_b32 exec_lo, exec_lo, s7
	s_and_saveexec_b32 s7, s1
	s_cbranch_execnz .LBB1549_244
.LBB1549_220:
	s_or_b32 exec_lo, exec_lo, s7
	s_and_saveexec_b32 s7, s2
	s_cbranch_execnz .LBB1549_245
.LBB1549_221:
	s_or_b32 exec_lo, exec_lo, s7
	s_and_saveexec_b32 s7, s3
	s_cbranch_execnz .LBB1549_246
.LBB1549_222:
	s_or_b32 exec_lo, exec_lo, s7
	s_and_saveexec_b32 s7, s4
	s_cbranch_execnz .LBB1549_247
.LBB1549_223:
	s_or_b32 exec_lo, exec_lo, s7
	s_and_saveexec_b32 s7, s5
	s_cbranch_execnz .LBB1549_248
.LBB1549_224:
	s_or_b32 exec_lo, exec_lo, s7
	s_and_saveexec_b32 s7, s6
	s_cbranch_execz .LBB1549_226
.LBB1549_225:
	v_lshrrev_b32_e32 v8, 24, v13
	flat_store_b8 v[2:3], v8 offset:7
.LBB1549_226:
	s_or_b32 exec_lo, exec_lo, s7
	v_add_co_u32 v0, s7, v6, v0
	s_delay_alu instid0(VALU_DEP_1) | instskip(NEXT) | instid1(VALU_DEP_2)
	v_add_co_ci_u32_e64 v1, s7, v7, v1, s7
	v_add_co_u32 v0, s7, v0, v39
	s_delay_alu instid0(VALU_DEP_1)
	v_add_co_ci_u32_e64 v1, s7, 0, v1, s7
	; wave barrier
	s_and_saveexec_b32 s7, vcc_lo
	s_cbranch_execnz .LBB1549_249
; %bb.227:
	s_or_b32 exec_lo, exec_lo, s7
	s_and_saveexec_b32 s7, s0
	s_cbranch_execnz .LBB1549_250
.LBB1549_228:
	s_or_b32 exec_lo, exec_lo, s7
	s_and_saveexec_b32 s0, s1
	s_cbranch_execnz .LBB1549_251
.LBB1549_229:
	s_or_b32 exec_lo, exec_lo, s0
	s_and_saveexec_b32 s0, s2
	s_cbranch_execnz .LBB1549_252
.LBB1549_230:
	s_or_b32 exec_lo, exec_lo, s0
	s_and_saveexec_b32 s0, s3
	s_cbranch_execnz .LBB1549_253
.LBB1549_231:
	s_or_b32 exec_lo, exec_lo, s0
	s_and_saveexec_b32 s0, s4
	s_cbranch_execnz .LBB1549_254
.LBB1549_232:
	s_or_b32 exec_lo, exec_lo, s0
	s_and_saveexec_b32 s0, s5
	s_cbranch_execnz .LBB1549_255
.LBB1549_233:
	s_or_b32 exec_lo, exec_lo, s0
	s_and_saveexec_b32 s0, s6
	s_cbranch_execnz .LBB1549_256
.LBB1549_234:
	s_or_b32 exec_lo, exec_lo, s0
	s_waitcnt lgkmcnt(0)
	s_setpc_b64 s[30:31]
.LBB1549_235:
	flat_load_b64 v[4:5], v[32:33]
	s_or_b32 exec_lo, exec_lo, s7
	s_and_saveexec_b32 s7, s0
                                        ; implicit-def: $vgpr18_vgpr19_vgpr20_vgpr21
	s_cbranch_execz .LBB1549_18
.LBB1549_236:
	flat_load_b64 v[20:21], v[32:33] offset:8
	s_or_b32 exec_lo, exec_lo, s7
                                        ; implicit-def: $vgpr22_vgpr23
	s_and_saveexec_b32 s7, s1
	s_cbranch_execz .LBB1549_19
.LBB1549_237:
	flat_load_b64 v[22:23], v[32:33] offset:16
	s_or_b32 exec_lo, exec_lo, s7
	s_and_saveexec_b32 s7, s2
                                        ; implicit-def: $vgpr16_vgpr17_vgpr18_vgpr19
	s_cbranch_execz .LBB1549_20
.LBB1549_238:
	flat_load_b64 v[18:19], v[32:33] offset:24
	s_or_b32 exec_lo, exec_lo, s7
                                        ; implicit-def: $vgpr26_vgpr27
	s_and_saveexec_b32 s7, s3
	s_cbranch_execz .LBB1549_21
.LBB1549_239:
	flat_load_b64 v[26:27], v[32:33] offset:32
	s_or_b32 exec_lo, exec_lo, s7
	s_and_saveexec_b32 s7, s4
                                        ; implicit-def: $vgpr14_vgpr15_vgpr16_vgpr17
	s_cbranch_execz .LBB1549_22
.LBB1549_240:
	flat_load_b64 v[16:17], v[32:33] offset:40
	s_or_b32 exec_lo, exec_lo, s7
                                        ; implicit-def: $vgpr24_vgpr25
	s_and_saveexec_b32 s7, s5
	s_cbranch_execz .LBB1549_23
.LBB1549_241:
	flat_load_b64 v[24:25], v[32:33] offset:48
	s_or_b32 exec_lo, exec_lo, s7
	s_and_saveexec_b32 s7, s6
                                        ; implicit-def: $vgpr12_vgpr13_vgpr14_vgpr15
	s_cbranch_execnz .LBB1549_24
	s_branch .LBB1549_25
.LBB1549_242:
	flat_store_b8 v[2:3], v12
	s_or_b32 exec_lo, exec_lo, s7
	s_and_saveexec_b32 s7, s0
	s_cbranch_execz .LBB1549_219
.LBB1549_243:
	v_lshrrev_b32_e32 v8, 8, v12
	flat_store_b8 v[2:3], v8 offset:1
	s_or_b32 exec_lo, exec_lo, s7
	s_and_saveexec_b32 s7, s1
	s_cbranch_execz .LBB1549_220
.LBB1549_244:
	flat_store_d16_hi_b8 v[2:3], v12 offset:2
	s_or_b32 exec_lo, exec_lo, s7
	s_and_saveexec_b32 s7, s2
	s_cbranch_execz .LBB1549_221
.LBB1549_245:
	v_lshrrev_b32_e32 v8, 24, v12
	flat_store_b8 v[2:3], v8 offset:3
	s_or_b32 exec_lo, exec_lo, s7
	s_and_saveexec_b32 s7, s3
	s_cbranch_execz .LBB1549_222
.LBB1549_246:
	flat_store_b8 v[2:3], v13 offset:4
	s_or_b32 exec_lo, exec_lo, s7
	s_and_saveexec_b32 s7, s4
	s_cbranch_execz .LBB1549_223
.LBB1549_247:
	v_lshrrev_b32_e32 v8, 8, v13
	flat_store_b8 v[2:3], v8 offset:5
	s_or_b32 exec_lo, exec_lo, s7
	s_and_saveexec_b32 s7, s5
	s_cbranch_execz .LBB1549_224
.LBB1549_248:
	flat_store_d16_hi_b8 v[2:3], v13 offset:6
	s_or_b32 exec_lo, exec_lo, s7
	s_and_saveexec_b32 s7, s6
	s_cbranch_execnz .LBB1549_225
	s_branch .LBB1549_226
.LBB1549_249:
	flat_store_b64 v[0:1], v[4:5]
	s_or_b32 exec_lo, exec_lo, s7
	s_and_saveexec_b32 s7, s0
	s_cbranch_execz .LBB1549_228
.LBB1549_250:
	flat_store_b64 v[0:1], v[20:21] offset:8
	s_or_b32 exec_lo, exec_lo, s7
	s_and_saveexec_b32 s0, s1
	s_cbranch_execz .LBB1549_229
.LBB1549_251:
	flat_store_b64 v[0:1], v[22:23] offset:16
	s_or_b32 exec_lo, exec_lo, s0
	s_and_saveexec_b32 s0, s2
	s_cbranch_execz .LBB1549_230
.LBB1549_252:
	flat_store_b64 v[0:1], v[18:19] offset:24
	s_or_b32 exec_lo, exec_lo, s0
	s_and_saveexec_b32 s0, s3
	s_cbranch_execz .LBB1549_231
.LBB1549_253:
	flat_store_b64 v[0:1], v[26:27] offset:32
	s_or_b32 exec_lo, exec_lo, s0
	s_and_saveexec_b32 s0, s4
	s_cbranch_execz .LBB1549_232
.LBB1549_254:
	flat_store_b64 v[0:1], v[16:17] offset:40
	s_or_b32 exec_lo, exec_lo, s0
	s_and_saveexec_b32 s0, s5
	s_cbranch_execz .LBB1549_233
.LBB1549_255:
	flat_store_b64 v[0:1], v[24:25] offset:48
	s_or_b32 exec_lo, exec_lo, s0
	s_and_saveexec_b32 s0, s6
	s_cbranch_execz .LBB1549_234
.LBB1549_256:
	flat_store_b64 v[0:1], v[14:15] offset:56
	s_or_b32 exec_lo, exec_lo, s0
	s_waitcnt lgkmcnt(0)
	s_setpc_b64 s[30:31]
.Lfunc_end1549:
	.size	_ZN7rocprim17ROCPRIM_400000_NS6detail26segmented_warp_sort_helperINS1_20WarpSortHelperConfigILj16ELj8ELj256EEEblLi256ELb1EvE4sortIPKbPbPKlPlEEvT_T0_T1_T2_jjjjRNS5_12storage_typeE, .Lfunc_end1549-_ZN7rocprim17ROCPRIM_400000_NS6detail26segmented_warp_sort_helperINS1_20WarpSortHelperConfigILj16ELj8ELj256EEEblLi256ELb1EvE4sortIPKbPbPKlPlEEvT_T0_T1_T2_jjjjRNS5_12storage_typeE
                                        ; -- End function
	.section	.AMDGPU.csdata,"",@progbits
; Function info:
; codeLenInByte = 23608
; NumSgprs: 34
; NumVgprs: 70
; ScratchSize: 0
; MemoryBound: 0
	.section	.text._ZN7rocprim17ROCPRIM_400000_NS6detail17trampoline_kernelINS0_14default_configENS1_36segmented_radix_sort_config_selectorIblEEZNS1_25segmented_radix_sort_implIS3_Lb1EPKbPbPKlPlN2at6native12_GLOBAL__N_18offset_tEEE10hipError_tPvRmT1_PNSt15iterator_traitsISK_E10value_typeET2_T3_PNSL_ISQ_E10value_typeET4_jRbjT5_SW_jjP12ihipStream_tbEUlT_E0_NS1_11comp_targetILNS1_3genE9ELNS1_11target_archE1100ELNS1_3gpuE3ELNS1_3repE0EEENS1_60segmented_radix_sort_warp_sort_medium_config_static_selectorELNS0_4arch9wavefront6targetE0EEEvSK_,"axG",@progbits,_ZN7rocprim17ROCPRIM_400000_NS6detail17trampoline_kernelINS0_14default_configENS1_36segmented_radix_sort_config_selectorIblEEZNS1_25segmented_radix_sort_implIS3_Lb1EPKbPbPKlPlN2at6native12_GLOBAL__N_18offset_tEEE10hipError_tPvRmT1_PNSt15iterator_traitsISK_E10value_typeET2_T3_PNSL_ISQ_E10value_typeET4_jRbjT5_SW_jjP12ihipStream_tbEUlT_E0_NS1_11comp_targetILNS1_3genE9ELNS1_11target_archE1100ELNS1_3gpuE3ELNS1_3repE0EEENS1_60segmented_radix_sort_warp_sort_medium_config_static_selectorELNS0_4arch9wavefront6targetE0EEEvSK_,comdat
	.globl	_ZN7rocprim17ROCPRIM_400000_NS6detail17trampoline_kernelINS0_14default_configENS1_36segmented_radix_sort_config_selectorIblEEZNS1_25segmented_radix_sort_implIS3_Lb1EPKbPbPKlPlN2at6native12_GLOBAL__N_18offset_tEEE10hipError_tPvRmT1_PNSt15iterator_traitsISK_E10value_typeET2_T3_PNSL_ISQ_E10value_typeET4_jRbjT5_SW_jjP12ihipStream_tbEUlT_E0_NS1_11comp_targetILNS1_3genE9ELNS1_11target_archE1100ELNS1_3gpuE3ELNS1_3repE0EEENS1_60segmented_radix_sort_warp_sort_medium_config_static_selectorELNS0_4arch9wavefront6targetE0EEEvSK_ ; -- Begin function _ZN7rocprim17ROCPRIM_400000_NS6detail17trampoline_kernelINS0_14default_configENS1_36segmented_radix_sort_config_selectorIblEEZNS1_25segmented_radix_sort_implIS3_Lb1EPKbPbPKlPlN2at6native12_GLOBAL__N_18offset_tEEE10hipError_tPvRmT1_PNSt15iterator_traitsISK_E10value_typeET2_T3_PNSL_ISQ_E10value_typeET4_jRbjT5_SW_jjP12ihipStream_tbEUlT_E0_NS1_11comp_targetILNS1_3genE9ELNS1_11target_archE1100ELNS1_3gpuE3ELNS1_3repE0EEENS1_60segmented_radix_sort_warp_sort_medium_config_static_selectorELNS0_4arch9wavefront6targetE0EEEvSK_
	.p2align	8
	.type	_ZN7rocprim17ROCPRIM_400000_NS6detail17trampoline_kernelINS0_14default_configENS1_36segmented_radix_sort_config_selectorIblEEZNS1_25segmented_radix_sort_implIS3_Lb1EPKbPbPKlPlN2at6native12_GLOBAL__N_18offset_tEEE10hipError_tPvRmT1_PNSt15iterator_traitsISK_E10value_typeET2_T3_PNSL_ISQ_E10value_typeET4_jRbjT5_SW_jjP12ihipStream_tbEUlT_E0_NS1_11comp_targetILNS1_3genE9ELNS1_11target_archE1100ELNS1_3gpuE3ELNS1_3repE0EEENS1_60segmented_radix_sort_warp_sort_medium_config_static_selectorELNS0_4arch9wavefront6targetE0EEEvSK_,@function
_ZN7rocprim17ROCPRIM_400000_NS6detail17trampoline_kernelINS0_14default_configENS1_36segmented_radix_sort_config_selectorIblEEZNS1_25segmented_radix_sort_implIS3_Lb1EPKbPbPKlPlN2at6native12_GLOBAL__N_18offset_tEEE10hipError_tPvRmT1_PNSt15iterator_traitsISK_E10value_typeET2_T3_PNSL_ISQ_E10value_typeET4_jRbjT5_SW_jjP12ihipStream_tbEUlT_E0_NS1_11comp_targetILNS1_3genE9ELNS1_11target_archE1100ELNS1_3gpuE3ELNS1_3repE0EEENS1_60segmented_radix_sort_warp_sort_medium_config_static_selectorELNS0_4arch9wavefront6targetE0EEEvSK_: ; @_ZN7rocprim17ROCPRIM_400000_NS6detail17trampoline_kernelINS0_14default_configENS1_36segmented_radix_sort_config_selectorIblEEZNS1_25segmented_radix_sort_implIS3_Lb1EPKbPbPKlPlN2at6native12_GLOBAL__N_18offset_tEEE10hipError_tPvRmT1_PNSt15iterator_traitsISK_E10value_typeET2_T3_PNSL_ISQ_E10value_typeET4_jRbjT5_SW_jjP12ihipStream_tbEUlT_E0_NS1_11comp_targetILNS1_3genE9ELNS1_11target_archE1100ELNS1_3gpuE3ELNS1_3repE0EEENS1_60segmented_radix_sort_warp_sort_medium_config_static_selectorELNS0_4arch9wavefront6targetE0EEEvSK_
; %bb.0:
	s_load_b32 s2, s[0:1], 0x64
	v_bfe_u32 v1, v0, 10, 10
	v_bfe_u32 v2, v0, 20, 10
	s_mov_b32 s32, 0
	s_waitcnt lgkmcnt(0)
	s_lshr_b32 s3, s2, 16
	s_and_b32 s2, s2, 0xffff
	v_mad_u32_u24 v4, v2, s3, v1
	v_and_b32_e32 v1, 0x3ff, v0
	s_load_b32 s3, s[0:1], 0x34
	s_delay_alu instid0(VALU_DEP_1) | instskip(SKIP_1) | instid1(VALU_DEP_1)
	v_mad_u64_u32 v[2:3], null, v4, s2, v[1:2]
	s_mov_b32 s2, exec_lo
	v_lshrrev_b32_e32 v1, 4, v2
	s_delay_alu instid0(VALU_DEP_1) | instskip(SKIP_1) | instid1(VALU_DEP_1)
	v_lshl_add_u32 v1, s14, 4, v1
	s_waitcnt lgkmcnt(0)
	v_cmpx_gt_u32_e64 s3, v1
	s_cbranch_execz .LBB1550_6
; %bb.1:
	s_clause 0x1
	s_load_b64 s[2:3], s[0:1], 0x38
	s_load_b128 s[4:7], s[0:1], 0x40
	v_mov_b32_e32 v2, 0
	s_delay_alu instid0(VALU_DEP_1) | instskip(SKIP_1) | instid1(VALU_DEP_1)
	v_lshlrev_b64 v[1:2], 2, v[1:2]
	s_waitcnt lgkmcnt(0)
	v_add_co_u32 v1, vcc_lo, s2, v1
	s_delay_alu instid0(VALU_DEP_2) | instskip(SKIP_4) | instid1(VALU_DEP_2)
	v_add_co_ci_u32_e32 v2, vcc_lo, s3, v2, vcc_lo
	global_load_b32 v1, v[1:2], off
	s_waitcnt vmcnt(0)
	v_add_nc_u32_e32 v2, s5, v1
	v_add_nc_u32_e32 v1, s7, v1
	v_mul_lo_u32 v40, v2, s4
	s_delay_alu instid0(VALU_DEP_2) | instskip(NEXT) | instid1(VALU_DEP_1)
	v_mul_lo_u32 v41, v1, s6
	v_cmp_gt_u32_e32 vcc_lo, v41, v40
	s_and_b32 exec_lo, exec_lo, vcc_lo
	s_cbranch_execz .LBB1550_6
; %bb.2:
	s_clause 0x3
	s_load_b32 s2, s[0:1], 0x30
	s_load_b128 s[24:27], s[0:1], 0x20
	s_load_b256 s[36:43], s[0:1], 0x0
	s_load_b64 s[22:23], s[0:1], 0x50
	s_waitcnt lgkmcnt(0)
	s_bitcmp0_b32 s2, 0
	s_mov_b32 s2, -1
	s_cbranch_scc0 .LBB1550_4
; %bb.3:
	v_mov_b32_e32 v31, v0
	v_dual_mov_b32 v42, v0 :: v_dual_mov_b32 v1, s37
	v_mov_b32_e32 v0, s36
	v_dual_mov_b32 v2, s38 :: v_dual_mov_b32 v3, s39
	v_dual_mov_b32 v4, s42 :: v_dual_mov_b32 v5, s43
	;; [unrolled: 1-line block ×5, first 2 shown]
	s_add_u32 s8, s0, 0x58
	s_addc_u32 s9, s1, 0
	s_mov_b32 s12, s14
	s_mov_b32 s13, s15
	s_getpc_b64 s[2:3]
	s_add_u32 s2, s2, _ZN7rocprim17ROCPRIM_400000_NS6detail26segmented_warp_sort_helperINS1_20WarpSortHelperConfigILj16ELj8ELj256EEEblLi256ELb1EvE4sortIPKbPbPKlPlEEvT_T0_T1_T2_jjjjRNS5_12storage_typeE@rel32@lo+4
	s_addc_u32 s3, s3, _ZN7rocprim17ROCPRIM_400000_NS6detail26segmented_warp_sort_helperINS1_20WarpSortHelperConfigILj16ELj8ELj256EEEblLi256ELb1EvE4sortIPKbPbPKlPlEEvT_T0_T1_T2_jjjjRNS5_12storage_typeE@rel32@hi+12
	s_mov_b64 s[24:25], s[0:1]
	s_mov_b32 s28, s15
	s_mov_b32 s29, s14
	s_swappc_b64 s[30:31], s[2:3]
	v_mov_b32_e32 v0, v42
	s_mov_b32 s14, s29
	s_mov_b32 s15, s28
	s_mov_b64 s[0:1], s[24:25]
	s_mov_b32 s2, 0
.LBB1550_4:
	s_delay_alu instid0(SALU_CYCLE_1)
	s_and_not1_b32 vcc_lo, exec_lo, s2
	s_cbranch_vccnz .LBB1550_6
; %bb.5:
	v_dual_mov_b32 v31, v0 :: v_dual_mov_b32 v0, s36
	v_dual_mov_b32 v1, s37 :: v_dual_mov_b32 v2, s40
	;; [unrolled: 1-line block ×6, first 2 shown]
	v_mov_b32_e32 v11, s23
	s_add_u32 s8, s0, 0x58
	s_addc_u32 s9, s1, 0
	s_mov_b32 s12, s14
	s_mov_b32 s13, s15
	s_getpc_b64 s[0:1]
	s_add_u32 s0, s0, _ZN7rocprim17ROCPRIM_400000_NS6detail26segmented_warp_sort_helperINS1_20WarpSortHelperConfigILj16ELj8ELj256EEEblLi256ELb1EvE4sortIPKbPbPKlPlEEvT_T0_T1_T2_jjjjRNS5_12storage_typeE@rel32@lo+4
	s_addc_u32 s1, s1, _ZN7rocprim17ROCPRIM_400000_NS6detail26segmented_warp_sort_helperINS1_20WarpSortHelperConfigILj16ELj8ELj256EEEblLi256ELb1EvE4sortIPKbPbPKlPlEEvT_T0_T1_T2_jjjjRNS5_12storage_typeE@rel32@hi+12
	s_delay_alu instid0(SALU_CYCLE_1)
	s_swappc_b64 s[30:31], s[0:1]
.LBB1550_6:
	s_endpgm
	.section	.rodata,"a",@progbits
	.p2align	6, 0x0
	.amdhsa_kernel _ZN7rocprim17ROCPRIM_400000_NS6detail17trampoline_kernelINS0_14default_configENS1_36segmented_radix_sort_config_selectorIblEEZNS1_25segmented_radix_sort_implIS3_Lb1EPKbPbPKlPlN2at6native12_GLOBAL__N_18offset_tEEE10hipError_tPvRmT1_PNSt15iterator_traitsISK_E10value_typeET2_T3_PNSL_ISQ_E10value_typeET4_jRbjT5_SW_jjP12ihipStream_tbEUlT_E0_NS1_11comp_targetILNS1_3genE9ELNS1_11target_archE1100ELNS1_3gpuE3ELNS1_3repE0EEENS1_60segmented_radix_sort_warp_sort_medium_config_static_selectorELNS0_4arch9wavefront6targetE0EEEvSK_
		.amdhsa_group_segment_fixed_size 18432
		.amdhsa_private_segment_fixed_size 0
		.amdhsa_kernarg_size 344
		.amdhsa_user_sgpr_count 14
		.amdhsa_user_sgpr_dispatch_ptr 0
		.amdhsa_user_sgpr_queue_ptr 0
		.amdhsa_user_sgpr_kernarg_segment_ptr 1
		.amdhsa_user_sgpr_dispatch_id 0
		.amdhsa_user_sgpr_private_segment_size 0
		.amdhsa_wavefront_size32 1
		.amdhsa_uses_dynamic_stack 0
		.amdhsa_enable_private_segment 0
		.amdhsa_system_sgpr_workgroup_id_x 1
		.amdhsa_system_sgpr_workgroup_id_y 1
		.amdhsa_system_sgpr_workgroup_id_z 0
		.amdhsa_system_sgpr_workgroup_info 0
		.amdhsa_system_vgpr_workitem_id 2
		.amdhsa_next_free_vgpr 70
		.amdhsa_next_free_sgpr 44
		.amdhsa_reserve_vcc 1
		.amdhsa_float_round_mode_32 0
		.amdhsa_float_round_mode_16_64 0
		.amdhsa_float_denorm_mode_32 3
		.amdhsa_float_denorm_mode_16_64 3
		.amdhsa_dx10_clamp 1
		.amdhsa_ieee_mode 1
		.amdhsa_fp16_overflow 0
		.amdhsa_workgroup_processor_mode 1
		.amdhsa_memory_ordered 1
		.amdhsa_forward_progress 0
		.amdhsa_shared_vgpr_count 0
		.amdhsa_exception_fp_ieee_invalid_op 0
		.amdhsa_exception_fp_denorm_src 0
		.amdhsa_exception_fp_ieee_div_zero 0
		.amdhsa_exception_fp_ieee_overflow 0
		.amdhsa_exception_fp_ieee_underflow 0
		.amdhsa_exception_fp_ieee_inexact 0
		.amdhsa_exception_int_div_zero 0
	.end_amdhsa_kernel
	.section	.text._ZN7rocprim17ROCPRIM_400000_NS6detail17trampoline_kernelINS0_14default_configENS1_36segmented_radix_sort_config_selectorIblEEZNS1_25segmented_radix_sort_implIS3_Lb1EPKbPbPKlPlN2at6native12_GLOBAL__N_18offset_tEEE10hipError_tPvRmT1_PNSt15iterator_traitsISK_E10value_typeET2_T3_PNSL_ISQ_E10value_typeET4_jRbjT5_SW_jjP12ihipStream_tbEUlT_E0_NS1_11comp_targetILNS1_3genE9ELNS1_11target_archE1100ELNS1_3gpuE3ELNS1_3repE0EEENS1_60segmented_radix_sort_warp_sort_medium_config_static_selectorELNS0_4arch9wavefront6targetE0EEEvSK_,"axG",@progbits,_ZN7rocprim17ROCPRIM_400000_NS6detail17trampoline_kernelINS0_14default_configENS1_36segmented_radix_sort_config_selectorIblEEZNS1_25segmented_radix_sort_implIS3_Lb1EPKbPbPKlPlN2at6native12_GLOBAL__N_18offset_tEEE10hipError_tPvRmT1_PNSt15iterator_traitsISK_E10value_typeET2_T3_PNSL_ISQ_E10value_typeET4_jRbjT5_SW_jjP12ihipStream_tbEUlT_E0_NS1_11comp_targetILNS1_3genE9ELNS1_11target_archE1100ELNS1_3gpuE3ELNS1_3repE0EEENS1_60segmented_radix_sort_warp_sort_medium_config_static_selectorELNS0_4arch9wavefront6targetE0EEEvSK_,comdat
.Lfunc_end1550:
	.size	_ZN7rocprim17ROCPRIM_400000_NS6detail17trampoline_kernelINS0_14default_configENS1_36segmented_radix_sort_config_selectorIblEEZNS1_25segmented_radix_sort_implIS3_Lb1EPKbPbPKlPlN2at6native12_GLOBAL__N_18offset_tEEE10hipError_tPvRmT1_PNSt15iterator_traitsISK_E10value_typeET2_T3_PNSL_ISQ_E10value_typeET4_jRbjT5_SW_jjP12ihipStream_tbEUlT_E0_NS1_11comp_targetILNS1_3genE9ELNS1_11target_archE1100ELNS1_3gpuE3ELNS1_3repE0EEENS1_60segmented_radix_sort_warp_sort_medium_config_static_selectorELNS0_4arch9wavefront6targetE0EEEvSK_, .Lfunc_end1550-_ZN7rocprim17ROCPRIM_400000_NS6detail17trampoline_kernelINS0_14default_configENS1_36segmented_radix_sort_config_selectorIblEEZNS1_25segmented_radix_sort_implIS3_Lb1EPKbPbPKlPlN2at6native12_GLOBAL__N_18offset_tEEE10hipError_tPvRmT1_PNSt15iterator_traitsISK_E10value_typeET2_T3_PNSL_ISQ_E10value_typeET4_jRbjT5_SW_jjP12ihipStream_tbEUlT_E0_NS1_11comp_targetILNS1_3genE9ELNS1_11target_archE1100ELNS1_3gpuE3ELNS1_3repE0EEENS1_60segmented_radix_sort_warp_sort_medium_config_static_selectorELNS0_4arch9wavefront6targetE0EEEvSK_
                                        ; -- End function
	.section	.AMDGPU.csdata,"",@progbits
; Kernel info:
; codeLenInByte = 524
; NumSgprs: 46
; NumVgprs: 70
; ScratchSize: 0
; MemoryBound: 0
; FloatMode: 240
; IeeeMode: 1
; LDSByteSize: 18432 bytes/workgroup (compile time only)
; SGPRBlocks: 5
; VGPRBlocks: 8
; NumSGPRsForWavesPerEU: 46
; NumVGPRsForWavesPerEU: 70
; Occupancy: 14
; WaveLimiterHint : 0
; COMPUTE_PGM_RSRC2:SCRATCH_EN: 0
; COMPUTE_PGM_RSRC2:USER_SGPR: 14
; COMPUTE_PGM_RSRC2:TRAP_HANDLER: 0
; COMPUTE_PGM_RSRC2:TGID_X_EN: 1
; COMPUTE_PGM_RSRC2:TGID_Y_EN: 1
; COMPUTE_PGM_RSRC2:TGID_Z_EN: 0
; COMPUTE_PGM_RSRC2:TIDIG_COMP_CNT: 2
	.section	.text._ZN7rocprim17ROCPRIM_400000_NS6detail17trampoline_kernelINS0_14default_configENS1_36segmented_radix_sort_config_selectorIblEEZNS1_25segmented_radix_sort_implIS3_Lb1EPKbPbPKlPlN2at6native12_GLOBAL__N_18offset_tEEE10hipError_tPvRmT1_PNSt15iterator_traitsISK_E10value_typeET2_T3_PNSL_ISQ_E10value_typeET4_jRbjT5_SW_jjP12ihipStream_tbEUlT_E0_NS1_11comp_targetILNS1_3genE8ELNS1_11target_archE1030ELNS1_3gpuE2ELNS1_3repE0EEENS1_60segmented_radix_sort_warp_sort_medium_config_static_selectorELNS0_4arch9wavefront6targetE0EEEvSK_,"axG",@progbits,_ZN7rocprim17ROCPRIM_400000_NS6detail17trampoline_kernelINS0_14default_configENS1_36segmented_radix_sort_config_selectorIblEEZNS1_25segmented_radix_sort_implIS3_Lb1EPKbPbPKlPlN2at6native12_GLOBAL__N_18offset_tEEE10hipError_tPvRmT1_PNSt15iterator_traitsISK_E10value_typeET2_T3_PNSL_ISQ_E10value_typeET4_jRbjT5_SW_jjP12ihipStream_tbEUlT_E0_NS1_11comp_targetILNS1_3genE8ELNS1_11target_archE1030ELNS1_3gpuE2ELNS1_3repE0EEENS1_60segmented_radix_sort_warp_sort_medium_config_static_selectorELNS0_4arch9wavefront6targetE0EEEvSK_,comdat
	.globl	_ZN7rocprim17ROCPRIM_400000_NS6detail17trampoline_kernelINS0_14default_configENS1_36segmented_radix_sort_config_selectorIblEEZNS1_25segmented_radix_sort_implIS3_Lb1EPKbPbPKlPlN2at6native12_GLOBAL__N_18offset_tEEE10hipError_tPvRmT1_PNSt15iterator_traitsISK_E10value_typeET2_T3_PNSL_ISQ_E10value_typeET4_jRbjT5_SW_jjP12ihipStream_tbEUlT_E0_NS1_11comp_targetILNS1_3genE8ELNS1_11target_archE1030ELNS1_3gpuE2ELNS1_3repE0EEENS1_60segmented_radix_sort_warp_sort_medium_config_static_selectorELNS0_4arch9wavefront6targetE0EEEvSK_ ; -- Begin function _ZN7rocprim17ROCPRIM_400000_NS6detail17trampoline_kernelINS0_14default_configENS1_36segmented_radix_sort_config_selectorIblEEZNS1_25segmented_radix_sort_implIS3_Lb1EPKbPbPKlPlN2at6native12_GLOBAL__N_18offset_tEEE10hipError_tPvRmT1_PNSt15iterator_traitsISK_E10value_typeET2_T3_PNSL_ISQ_E10value_typeET4_jRbjT5_SW_jjP12ihipStream_tbEUlT_E0_NS1_11comp_targetILNS1_3genE8ELNS1_11target_archE1030ELNS1_3gpuE2ELNS1_3repE0EEENS1_60segmented_radix_sort_warp_sort_medium_config_static_selectorELNS0_4arch9wavefront6targetE0EEEvSK_
	.p2align	8
	.type	_ZN7rocprim17ROCPRIM_400000_NS6detail17trampoline_kernelINS0_14default_configENS1_36segmented_radix_sort_config_selectorIblEEZNS1_25segmented_radix_sort_implIS3_Lb1EPKbPbPKlPlN2at6native12_GLOBAL__N_18offset_tEEE10hipError_tPvRmT1_PNSt15iterator_traitsISK_E10value_typeET2_T3_PNSL_ISQ_E10value_typeET4_jRbjT5_SW_jjP12ihipStream_tbEUlT_E0_NS1_11comp_targetILNS1_3genE8ELNS1_11target_archE1030ELNS1_3gpuE2ELNS1_3repE0EEENS1_60segmented_radix_sort_warp_sort_medium_config_static_selectorELNS0_4arch9wavefront6targetE0EEEvSK_,@function
_ZN7rocprim17ROCPRIM_400000_NS6detail17trampoline_kernelINS0_14default_configENS1_36segmented_radix_sort_config_selectorIblEEZNS1_25segmented_radix_sort_implIS3_Lb1EPKbPbPKlPlN2at6native12_GLOBAL__N_18offset_tEEE10hipError_tPvRmT1_PNSt15iterator_traitsISK_E10value_typeET2_T3_PNSL_ISQ_E10value_typeET4_jRbjT5_SW_jjP12ihipStream_tbEUlT_E0_NS1_11comp_targetILNS1_3genE8ELNS1_11target_archE1030ELNS1_3gpuE2ELNS1_3repE0EEENS1_60segmented_radix_sort_warp_sort_medium_config_static_selectorELNS0_4arch9wavefront6targetE0EEEvSK_: ; @_ZN7rocprim17ROCPRIM_400000_NS6detail17trampoline_kernelINS0_14default_configENS1_36segmented_radix_sort_config_selectorIblEEZNS1_25segmented_radix_sort_implIS3_Lb1EPKbPbPKlPlN2at6native12_GLOBAL__N_18offset_tEEE10hipError_tPvRmT1_PNSt15iterator_traitsISK_E10value_typeET2_T3_PNSL_ISQ_E10value_typeET4_jRbjT5_SW_jjP12ihipStream_tbEUlT_E0_NS1_11comp_targetILNS1_3genE8ELNS1_11target_archE1030ELNS1_3gpuE2ELNS1_3repE0EEENS1_60segmented_radix_sort_warp_sort_medium_config_static_selectorELNS0_4arch9wavefront6targetE0EEEvSK_
; %bb.0:
	.section	.rodata,"a",@progbits
	.p2align	6, 0x0
	.amdhsa_kernel _ZN7rocprim17ROCPRIM_400000_NS6detail17trampoline_kernelINS0_14default_configENS1_36segmented_radix_sort_config_selectorIblEEZNS1_25segmented_radix_sort_implIS3_Lb1EPKbPbPKlPlN2at6native12_GLOBAL__N_18offset_tEEE10hipError_tPvRmT1_PNSt15iterator_traitsISK_E10value_typeET2_T3_PNSL_ISQ_E10value_typeET4_jRbjT5_SW_jjP12ihipStream_tbEUlT_E0_NS1_11comp_targetILNS1_3genE8ELNS1_11target_archE1030ELNS1_3gpuE2ELNS1_3repE0EEENS1_60segmented_radix_sort_warp_sort_medium_config_static_selectorELNS0_4arch9wavefront6targetE0EEEvSK_
		.amdhsa_group_segment_fixed_size 0
		.amdhsa_private_segment_fixed_size 0
		.amdhsa_kernarg_size 88
		.amdhsa_user_sgpr_count 15
		.amdhsa_user_sgpr_dispatch_ptr 0
		.amdhsa_user_sgpr_queue_ptr 0
		.amdhsa_user_sgpr_kernarg_segment_ptr 1
		.amdhsa_user_sgpr_dispatch_id 0
		.amdhsa_user_sgpr_private_segment_size 0
		.amdhsa_wavefront_size32 1
		.amdhsa_uses_dynamic_stack 0
		.amdhsa_enable_private_segment 0
		.amdhsa_system_sgpr_workgroup_id_x 1
		.amdhsa_system_sgpr_workgroup_id_y 0
		.amdhsa_system_sgpr_workgroup_id_z 0
		.amdhsa_system_sgpr_workgroup_info 0
		.amdhsa_system_vgpr_workitem_id 0
		.amdhsa_next_free_vgpr 1
		.amdhsa_next_free_sgpr 1
		.amdhsa_reserve_vcc 0
		.amdhsa_float_round_mode_32 0
		.amdhsa_float_round_mode_16_64 0
		.amdhsa_float_denorm_mode_32 3
		.amdhsa_float_denorm_mode_16_64 3
		.amdhsa_dx10_clamp 1
		.amdhsa_ieee_mode 1
		.amdhsa_fp16_overflow 0
		.amdhsa_workgroup_processor_mode 1
		.amdhsa_memory_ordered 1
		.amdhsa_forward_progress 0
		.amdhsa_shared_vgpr_count 0
		.amdhsa_exception_fp_ieee_invalid_op 0
		.amdhsa_exception_fp_denorm_src 0
		.amdhsa_exception_fp_ieee_div_zero 0
		.amdhsa_exception_fp_ieee_overflow 0
		.amdhsa_exception_fp_ieee_underflow 0
		.amdhsa_exception_fp_ieee_inexact 0
		.amdhsa_exception_int_div_zero 0
	.end_amdhsa_kernel
	.section	.text._ZN7rocprim17ROCPRIM_400000_NS6detail17trampoline_kernelINS0_14default_configENS1_36segmented_radix_sort_config_selectorIblEEZNS1_25segmented_radix_sort_implIS3_Lb1EPKbPbPKlPlN2at6native12_GLOBAL__N_18offset_tEEE10hipError_tPvRmT1_PNSt15iterator_traitsISK_E10value_typeET2_T3_PNSL_ISQ_E10value_typeET4_jRbjT5_SW_jjP12ihipStream_tbEUlT_E0_NS1_11comp_targetILNS1_3genE8ELNS1_11target_archE1030ELNS1_3gpuE2ELNS1_3repE0EEENS1_60segmented_radix_sort_warp_sort_medium_config_static_selectorELNS0_4arch9wavefront6targetE0EEEvSK_,"axG",@progbits,_ZN7rocprim17ROCPRIM_400000_NS6detail17trampoline_kernelINS0_14default_configENS1_36segmented_radix_sort_config_selectorIblEEZNS1_25segmented_radix_sort_implIS3_Lb1EPKbPbPKlPlN2at6native12_GLOBAL__N_18offset_tEEE10hipError_tPvRmT1_PNSt15iterator_traitsISK_E10value_typeET2_T3_PNSL_ISQ_E10value_typeET4_jRbjT5_SW_jjP12ihipStream_tbEUlT_E0_NS1_11comp_targetILNS1_3genE8ELNS1_11target_archE1030ELNS1_3gpuE2ELNS1_3repE0EEENS1_60segmented_radix_sort_warp_sort_medium_config_static_selectorELNS0_4arch9wavefront6targetE0EEEvSK_,comdat
.Lfunc_end1551:
	.size	_ZN7rocprim17ROCPRIM_400000_NS6detail17trampoline_kernelINS0_14default_configENS1_36segmented_radix_sort_config_selectorIblEEZNS1_25segmented_radix_sort_implIS3_Lb1EPKbPbPKlPlN2at6native12_GLOBAL__N_18offset_tEEE10hipError_tPvRmT1_PNSt15iterator_traitsISK_E10value_typeET2_T3_PNSL_ISQ_E10value_typeET4_jRbjT5_SW_jjP12ihipStream_tbEUlT_E0_NS1_11comp_targetILNS1_3genE8ELNS1_11target_archE1030ELNS1_3gpuE2ELNS1_3repE0EEENS1_60segmented_radix_sort_warp_sort_medium_config_static_selectorELNS0_4arch9wavefront6targetE0EEEvSK_, .Lfunc_end1551-_ZN7rocprim17ROCPRIM_400000_NS6detail17trampoline_kernelINS0_14default_configENS1_36segmented_radix_sort_config_selectorIblEEZNS1_25segmented_radix_sort_implIS3_Lb1EPKbPbPKlPlN2at6native12_GLOBAL__N_18offset_tEEE10hipError_tPvRmT1_PNSt15iterator_traitsISK_E10value_typeET2_T3_PNSL_ISQ_E10value_typeET4_jRbjT5_SW_jjP12ihipStream_tbEUlT_E0_NS1_11comp_targetILNS1_3genE8ELNS1_11target_archE1030ELNS1_3gpuE2ELNS1_3repE0EEENS1_60segmented_radix_sort_warp_sort_medium_config_static_selectorELNS0_4arch9wavefront6targetE0EEEvSK_
                                        ; -- End function
	.section	.AMDGPU.csdata,"",@progbits
; Kernel info:
; codeLenInByte = 0
; NumSgprs: 0
; NumVgprs: 0
; ScratchSize: 0
; MemoryBound: 0
; FloatMode: 240
; IeeeMode: 1
; LDSByteSize: 0 bytes/workgroup (compile time only)
; SGPRBlocks: 0
; VGPRBlocks: 0
; NumSGPRsForWavesPerEU: 1
; NumVGPRsForWavesPerEU: 1
; Occupancy: 16
; WaveLimiterHint : 0
; COMPUTE_PGM_RSRC2:SCRATCH_EN: 0
; COMPUTE_PGM_RSRC2:USER_SGPR: 15
; COMPUTE_PGM_RSRC2:TRAP_HANDLER: 0
; COMPUTE_PGM_RSRC2:TGID_X_EN: 1
; COMPUTE_PGM_RSRC2:TGID_Y_EN: 0
; COMPUTE_PGM_RSRC2:TGID_Z_EN: 0
; COMPUTE_PGM_RSRC2:TIDIG_COMP_CNT: 0
	.section	.text._ZN7rocprim17ROCPRIM_400000_NS6detail17trampoline_kernelINS0_14default_configENS1_36segmented_radix_sort_config_selectorIblEEZNS1_25segmented_radix_sort_implIS3_Lb1EPKbPbPKlPlN2at6native12_GLOBAL__N_18offset_tEEE10hipError_tPvRmT1_PNSt15iterator_traitsISK_E10value_typeET2_T3_PNSL_ISQ_E10value_typeET4_jRbjT5_SW_jjP12ihipStream_tbEUlT_E1_NS1_11comp_targetILNS1_3genE0ELNS1_11target_archE4294967295ELNS1_3gpuE0ELNS1_3repE0EEENS1_59segmented_radix_sort_warp_sort_small_config_static_selectorELNS0_4arch9wavefront6targetE0EEEvSK_,"axG",@progbits,_ZN7rocprim17ROCPRIM_400000_NS6detail17trampoline_kernelINS0_14default_configENS1_36segmented_radix_sort_config_selectorIblEEZNS1_25segmented_radix_sort_implIS3_Lb1EPKbPbPKlPlN2at6native12_GLOBAL__N_18offset_tEEE10hipError_tPvRmT1_PNSt15iterator_traitsISK_E10value_typeET2_T3_PNSL_ISQ_E10value_typeET4_jRbjT5_SW_jjP12ihipStream_tbEUlT_E1_NS1_11comp_targetILNS1_3genE0ELNS1_11target_archE4294967295ELNS1_3gpuE0ELNS1_3repE0EEENS1_59segmented_radix_sort_warp_sort_small_config_static_selectorELNS0_4arch9wavefront6targetE0EEEvSK_,comdat
	.globl	_ZN7rocprim17ROCPRIM_400000_NS6detail17trampoline_kernelINS0_14default_configENS1_36segmented_radix_sort_config_selectorIblEEZNS1_25segmented_radix_sort_implIS3_Lb1EPKbPbPKlPlN2at6native12_GLOBAL__N_18offset_tEEE10hipError_tPvRmT1_PNSt15iterator_traitsISK_E10value_typeET2_T3_PNSL_ISQ_E10value_typeET4_jRbjT5_SW_jjP12ihipStream_tbEUlT_E1_NS1_11comp_targetILNS1_3genE0ELNS1_11target_archE4294967295ELNS1_3gpuE0ELNS1_3repE0EEENS1_59segmented_radix_sort_warp_sort_small_config_static_selectorELNS0_4arch9wavefront6targetE0EEEvSK_ ; -- Begin function _ZN7rocprim17ROCPRIM_400000_NS6detail17trampoline_kernelINS0_14default_configENS1_36segmented_radix_sort_config_selectorIblEEZNS1_25segmented_radix_sort_implIS3_Lb1EPKbPbPKlPlN2at6native12_GLOBAL__N_18offset_tEEE10hipError_tPvRmT1_PNSt15iterator_traitsISK_E10value_typeET2_T3_PNSL_ISQ_E10value_typeET4_jRbjT5_SW_jjP12ihipStream_tbEUlT_E1_NS1_11comp_targetILNS1_3genE0ELNS1_11target_archE4294967295ELNS1_3gpuE0ELNS1_3repE0EEENS1_59segmented_radix_sort_warp_sort_small_config_static_selectorELNS0_4arch9wavefront6targetE0EEEvSK_
	.p2align	8
	.type	_ZN7rocprim17ROCPRIM_400000_NS6detail17trampoline_kernelINS0_14default_configENS1_36segmented_radix_sort_config_selectorIblEEZNS1_25segmented_radix_sort_implIS3_Lb1EPKbPbPKlPlN2at6native12_GLOBAL__N_18offset_tEEE10hipError_tPvRmT1_PNSt15iterator_traitsISK_E10value_typeET2_T3_PNSL_ISQ_E10value_typeET4_jRbjT5_SW_jjP12ihipStream_tbEUlT_E1_NS1_11comp_targetILNS1_3genE0ELNS1_11target_archE4294967295ELNS1_3gpuE0ELNS1_3repE0EEENS1_59segmented_radix_sort_warp_sort_small_config_static_selectorELNS0_4arch9wavefront6targetE0EEEvSK_,@function
_ZN7rocprim17ROCPRIM_400000_NS6detail17trampoline_kernelINS0_14default_configENS1_36segmented_radix_sort_config_selectorIblEEZNS1_25segmented_radix_sort_implIS3_Lb1EPKbPbPKlPlN2at6native12_GLOBAL__N_18offset_tEEE10hipError_tPvRmT1_PNSt15iterator_traitsISK_E10value_typeET2_T3_PNSL_ISQ_E10value_typeET4_jRbjT5_SW_jjP12ihipStream_tbEUlT_E1_NS1_11comp_targetILNS1_3genE0ELNS1_11target_archE4294967295ELNS1_3gpuE0ELNS1_3repE0EEENS1_59segmented_radix_sort_warp_sort_small_config_static_selectorELNS0_4arch9wavefront6targetE0EEEvSK_: ; @_ZN7rocprim17ROCPRIM_400000_NS6detail17trampoline_kernelINS0_14default_configENS1_36segmented_radix_sort_config_selectorIblEEZNS1_25segmented_radix_sort_implIS3_Lb1EPKbPbPKlPlN2at6native12_GLOBAL__N_18offset_tEEE10hipError_tPvRmT1_PNSt15iterator_traitsISK_E10value_typeET2_T3_PNSL_ISQ_E10value_typeET4_jRbjT5_SW_jjP12ihipStream_tbEUlT_E1_NS1_11comp_targetILNS1_3genE0ELNS1_11target_archE4294967295ELNS1_3gpuE0ELNS1_3repE0EEENS1_59segmented_radix_sort_warp_sort_small_config_static_selectorELNS0_4arch9wavefront6targetE0EEEvSK_
; %bb.0:
	.section	.rodata,"a",@progbits
	.p2align	6, 0x0
	.amdhsa_kernel _ZN7rocprim17ROCPRIM_400000_NS6detail17trampoline_kernelINS0_14default_configENS1_36segmented_radix_sort_config_selectorIblEEZNS1_25segmented_radix_sort_implIS3_Lb1EPKbPbPKlPlN2at6native12_GLOBAL__N_18offset_tEEE10hipError_tPvRmT1_PNSt15iterator_traitsISK_E10value_typeET2_T3_PNSL_ISQ_E10value_typeET4_jRbjT5_SW_jjP12ihipStream_tbEUlT_E1_NS1_11comp_targetILNS1_3genE0ELNS1_11target_archE4294967295ELNS1_3gpuE0ELNS1_3repE0EEENS1_59segmented_radix_sort_warp_sort_small_config_static_selectorELNS0_4arch9wavefront6targetE0EEEvSK_
		.amdhsa_group_segment_fixed_size 0
		.amdhsa_private_segment_fixed_size 0
		.amdhsa_kernarg_size 88
		.amdhsa_user_sgpr_count 15
		.amdhsa_user_sgpr_dispatch_ptr 0
		.amdhsa_user_sgpr_queue_ptr 0
		.amdhsa_user_sgpr_kernarg_segment_ptr 1
		.amdhsa_user_sgpr_dispatch_id 0
		.amdhsa_user_sgpr_private_segment_size 0
		.amdhsa_wavefront_size32 1
		.amdhsa_uses_dynamic_stack 0
		.amdhsa_enable_private_segment 0
		.amdhsa_system_sgpr_workgroup_id_x 1
		.amdhsa_system_sgpr_workgroup_id_y 0
		.amdhsa_system_sgpr_workgroup_id_z 0
		.amdhsa_system_sgpr_workgroup_info 0
		.amdhsa_system_vgpr_workitem_id 0
		.amdhsa_next_free_vgpr 1
		.amdhsa_next_free_sgpr 1
		.amdhsa_reserve_vcc 0
		.amdhsa_float_round_mode_32 0
		.amdhsa_float_round_mode_16_64 0
		.amdhsa_float_denorm_mode_32 3
		.amdhsa_float_denorm_mode_16_64 3
		.amdhsa_dx10_clamp 1
		.amdhsa_ieee_mode 1
		.amdhsa_fp16_overflow 0
		.amdhsa_workgroup_processor_mode 1
		.amdhsa_memory_ordered 1
		.amdhsa_forward_progress 0
		.amdhsa_shared_vgpr_count 0
		.amdhsa_exception_fp_ieee_invalid_op 0
		.amdhsa_exception_fp_denorm_src 0
		.amdhsa_exception_fp_ieee_div_zero 0
		.amdhsa_exception_fp_ieee_overflow 0
		.amdhsa_exception_fp_ieee_underflow 0
		.amdhsa_exception_fp_ieee_inexact 0
		.amdhsa_exception_int_div_zero 0
	.end_amdhsa_kernel
	.section	.text._ZN7rocprim17ROCPRIM_400000_NS6detail17trampoline_kernelINS0_14default_configENS1_36segmented_radix_sort_config_selectorIblEEZNS1_25segmented_radix_sort_implIS3_Lb1EPKbPbPKlPlN2at6native12_GLOBAL__N_18offset_tEEE10hipError_tPvRmT1_PNSt15iterator_traitsISK_E10value_typeET2_T3_PNSL_ISQ_E10value_typeET4_jRbjT5_SW_jjP12ihipStream_tbEUlT_E1_NS1_11comp_targetILNS1_3genE0ELNS1_11target_archE4294967295ELNS1_3gpuE0ELNS1_3repE0EEENS1_59segmented_radix_sort_warp_sort_small_config_static_selectorELNS0_4arch9wavefront6targetE0EEEvSK_,"axG",@progbits,_ZN7rocprim17ROCPRIM_400000_NS6detail17trampoline_kernelINS0_14default_configENS1_36segmented_radix_sort_config_selectorIblEEZNS1_25segmented_radix_sort_implIS3_Lb1EPKbPbPKlPlN2at6native12_GLOBAL__N_18offset_tEEE10hipError_tPvRmT1_PNSt15iterator_traitsISK_E10value_typeET2_T3_PNSL_ISQ_E10value_typeET4_jRbjT5_SW_jjP12ihipStream_tbEUlT_E1_NS1_11comp_targetILNS1_3genE0ELNS1_11target_archE4294967295ELNS1_3gpuE0ELNS1_3repE0EEENS1_59segmented_radix_sort_warp_sort_small_config_static_selectorELNS0_4arch9wavefront6targetE0EEEvSK_,comdat
.Lfunc_end1552:
	.size	_ZN7rocprim17ROCPRIM_400000_NS6detail17trampoline_kernelINS0_14default_configENS1_36segmented_radix_sort_config_selectorIblEEZNS1_25segmented_radix_sort_implIS3_Lb1EPKbPbPKlPlN2at6native12_GLOBAL__N_18offset_tEEE10hipError_tPvRmT1_PNSt15iterator_traitsISK_E10value_typeET2_T3_PNSL_ISQ_E10value_typeET4_jRbjT5_SW_jjP12ihipStream_tbEUlT_E1_NS1_11comp_targetILNS1_3genE0ELNS1_11target_archE4294967295ELNS1_3gpuE0ELNS1_3repE0EEENS1_59segmented_radix_sort_warp_sort_small_config_static_selectorELNS0_4arch9wavefront6targetE0EEEvSK_, .Lfunc_end1552-_ZN7rocprim17ROCPRIM_400000_NS6detail17trampoline_kernelINS0_14default_configENS1_36segmented_radix_sort_config_selectorIblEEZNS1_25segmented_radix_sort_implIS3_Lb1EPKbPbPKlPlN2at6native12_GLOBAL__N_18offset_tEEE10hipError_tPvRmT1_PNSt15iterator_traitsISK_E10value_typeET2_T3_PNSL_ISQ_E10value_typeET4_jRbjT5_SW_jjP12ihipStream_tbEUlT_E1_NS1_11comp_targetILNS1_3genE0ELNS1_11target_archE4294967295ELNS1_3gpuE0ELNS1_3repE0EEENS1_59segmented_radix_sort_warp_sort_small_config_static_selectorELNS0_4arch9wavefront6targetE0EEEvSK_
                                        ; -- End function
	.section	.AMDGPU.csdata,"",@progbits
; Kernel info:
; codeLenInByte = 0
; NumSgprs: 0
; NumVgprs: 0
; ScratchSize: 0
; MemoryBound: 0
; FloatMode: 240
; IeeeMode: 1
; LDSByteSize: 0 bytes/workgroup (compile time only)
; SGPRBlocks: 0
; VGPRBlocks: 0
; NumSGPRsForWavesPerEU: 1
; NumVGPRsForWavesPerEU: 1
; Occupancy: 16
; WaveLimiterHint : 0
; COMPUTE_PGM_RSRC2:SCRATCH_EN: 0
; COMPUTE_PGM_RSRC2:USER_SGPR: 15
; COMPUTE_PGM_RSRC2:TRAP_HANDLER: 0
; COMPUTE_PGM_RSRC2:TGID_X_EN: 1
; COMPUTE_PGM_RSRC2:TGID_Y_EN: 0
; COMPUTE_PGM_RSRC2:TGID_Z_EN: 0
; COMPUTE_PGM_RSRC2:TIDIG_COMP_CNT: 0
	.section	.text._ZN7rocprim17ROCPRIM_400000_NS6detail17trampoline_kernelINS0_14default_configENS1_36segmented_radix_sort_config_selectorIblEEZNS1_25segmented_radix_sort_implIS3_Lb1EPKbPbPKlPlN2at6native12_GLOBAL__N_18offset_tEEE10hipError_tPvRmT1_PNSt15iterator_traitsISK_E10value_typeET2_T3_PNSL_ISQ_E10value_typeET4_jRbjT5_SW_jjP12ihipStream_tbEUlT_E1_NS1_11comp_targetILNS1_3genE5ELNS1_11target_archE942ELNS1_3gpuE9ELNS1_3repE0EEENS1_59segmented_radix_sort_warp_sort_small_config_static_selectorELNS0_4arch9wavefront6targetE0EEEvSK_,"axG",@progbits,_ZN7rocprim17ROCPRIM_400000_NS6detail17trampoline_kernelINS0_14default_configENS1_36segmented_radix_sort_config_selectorIblEEZNS1_25segmented_radix_sort_implIS3_Lb1EPKbPbPKlPlN2at6native12_GLOBAL__N_18offset_tEEE10hipError_tPvRmT1_PNSt15iterator_traitsISK_E10value_typeET2_T3_PNSL_ISQ_E10value_typeET4_jRbjT5_SW_jjP12ihipStream_tbEUlT_E1_NS1_11comp_targetILNS1_3genE5ELNS1_11target_archE942ELNS1_3gpuE9ELNS1_3repE0EEENS1_59segmented_radix_sort_warp_sort_small_config_static_selectorELNS0_4arch9wavefront6targetE0EEEvSK_,comdat
	.globl	_ZN7rocprim17ROCPRIM_400000_NS6detail17trampoline_kernelINS0_14default_configENS1_36segmented_radix_sort_config_selectorIblEEZNS1_25segmented_radix_sort_implIS3_Lb1EPKbPbPKlPlN2at6native12_GLOBAL__N_18offset_tEEE10hipError_tPvRmT1_PNSt15iterator_traitsISK_E10value_typeET2_T3_PNSL_ISQ_E10value_typeET4_jRbjT5_SW_jjP12ihipStream_tbEUlT_E1_NS1_11comp_targetILNS1_3genE5ELNS1_11target_archE942ELNS1_3gpuE9ELNS1_3repE0EEENS1_59segmented_radix_sort_warp_sort_small_config_static_selectorELNS0_4arch9wavefront6targetE0EEEvSK_ ; -- Begin function _ZN7rocprim17ROCPRIM_400000_NS6detail17trampoline_kernelINS0_14default_configENS1_36segmented_radix_sort_config_selectorIblEEZNS1_25segmented_radix_sort_implIS3_Lb1EPKbPbPKlPlN2at6native12_GLOBAL__N_18offset_tEEE10hipError_tPvRmT1_PNSt15iterator_traitsISK_E10value_typeET2_T3_PNSL_ISQ_E10value_typeET4_jRbjT5_SW_jjP12ihipStream_tbEUlT_E1_NS1_11comp_targetILNS1_3genE5ELNS1_11target_archE942ELNS1_3gpuE9ELNS1_3repE0EEENS1_59segmented_radix_sort_warp_sort_small_config_static_selectorELNS0_4arch9wavefront6targetE0EEEvSK_
	.p2align	8
	.type	_ZN7rocprim17ROCPRIM_400000_NS6detail17trampoline_kernelINS0_14default_configENS1_36segmented_radix_sort_config_selectorIblEEZNS1_25segmented_radix_sort_implIS3_Lb1EPKbPbPKlPlN2at6native12_GLOBAL__N_18offset_tEEE10hipError_tPvRmT1_PNSt15iterator_traitsISK_E10value_typeET2_T3_PNSL_ISQ_E10value_typeET4_jRbjT5_SW_jjP12ihipStream_tbEUlT_E1_NS1_11comp_targetILNS1_3genE5ELNS1_11target_archE942ELNS1_3gpuE9ELNS1_3repE0EEENS1_59segmented_radix_sort_warp_sort_small_config_static_selectorELNS0_4arch9wavefront6targetE0EEEvSK_,@function
_ZN7rocprim17ROCPRIM_400000_NS6detail17trampoline_kernelINS0_14default_configENS1_36segmented_radix_sort_config_selectorIblEEZNS1_25segmented_radix_sort_implIS3_Lb1EPKbPbPKlPlN2at6native12_GLOBAL__N_18offset_tEEE10hipError_tPvRmT1_PNSt15iterator_traitsISK_E10value_typeET2_T3_PNSL_ISQ_E10value_typeET4_jRbjT5_SW_jjP12ihipStream_tbEUlT_E1_NS1_11comp_targetILNS1_3genE5ELNS1_11target_archE942ELNS1_3gpuE9ELNS1_3repE0EEENS1_59segmented_radix_sort_warp_sort_small_config_static_selectorELNS0_4arch9wavefront6targetE0EEEvSK_: ; @_ZN7rocprim17ROCPRIM_400000_NS6detail17trampoline_kernelINS0_14default_configENS1_36segmented_radix_sort_config_selectorIblEEZNS1_25segmented_radix_sort_implIS3_Lb1EPKbPbPKlPlN2at6native12_GLOBAL__N_18offset_tEEE10hipError_tPvRmT1_PNSt15iterator_traitsISK_E10value_typeET2_T3_PNSL_ISQ_E10value_typeET4_jRbjT5_SW_jjP12ihipStream_tbEUlT_E1_NS1_11comp_targetILNS1_3genE5ELNS1_11target_archE942ELNS1_3gpuE9ELNS1_3repE0EEENS1_59segmented_radix_sort_warp_sort_small_config_static_selectorELNS0_4arch9wavefront6targetE0EEEvSK_
; %bb.0:
	.section	.rodata,"a",@progbits
	.p2align	6, 0x0
	.amdhsa_kernel _ZN7rocprim17ROCPRIM_400000_NS6detail17trampoline_kernelINS0_14default_configENS1_36segmented_radix_sort_config_selectorIblEEZNS1_25segmented_radix_sort_implIS3_Lb1EPKbPbPKlPlN2at6native12_GLOBAL__N_18offset_tEEE10hipError_tPvRmT1_PNSt15iterator_traitsISK_E10value_typeET2_T3_PNSL_ISQ_E10value_typeET4_jRbjT5_SW_jjP12ihipStream_tbEUlT_E1_NS1_11comp_targetILNS1_3genE5ELNS1_11target_archE942ELNS1_3gpuE9ELNS1_3repE0EEENS1_59segmented_radix_sort_warp_sort_small_config_static_selectorELNS0_4arch9wavefront6targetE0EEEvSK_
		.amdhsa_group_segment_fixed_size 0
		.amdhsa_private_segment_fixed_size 0
		.amdhsa_kernarg_size 88
		.amdhsa_user_sgpr_count 15
		.amdhsa_user_sgpr_dispatch_ptr 0
		.amdhsa_user_sgpr_queue_ptr 0
		.amdhsa_user_sgpr_kernarg_segment_ptr 1
		.amdhsa_user_sgpr_dispatch_id 0
		.amdhsa_user_sgpr_private_segment_size 0
		.amdhsa_wavefront_size32 1
		.amdhsa_uses_dynamic_stack 0
		.amdhsa_enable_private_segment 0
		.amdhsa_system_sgpr_workgroup_id_x 1
		.amdhsa_system_sgpr_workgroup_id_y 0
		.amdhsa_system_sgpr_workgroup_id_z 0
		.amdhsa_system_sgpr_workgroup_info 0
		.amdhsa_system_vgpr_workitem_id 0
		.amdhsa_next_free_vgpr 1
		.amdhsa_next_free_sgpr 1
		.amdhsa_reserve_vcc 0
		.amdhsa_float_round_mode_32 0
		.amdhsa_float_round_mode_16_64 0
		.amdhsa_float_denorm_mode_32 3
		.amdhsa_float_denorm_mode_16_64 3
		.amdhsa_dx10_clamp 1
		.amdhsa_ieee_mode 1
		.amdhsa_fp16_overflow 0
		.amdhsa_workgroup_processor_mode 1
		.amdhsa_memory_ordered 1
		.amdhsa_forward_progress 0
		.amdhsa_shared_vgpr_count 0
		.amdhsa_exception_fp_ieee_invalid_op 0
		.amdhsa_exception_fp_denorm_src 0
		.amdhsa_exception_fp_ieee_div_zero 0
		.amdhsa_exception_fp_ieee_overflow 0
		.amdhsa_exception_fp_ieee_underflow 0
		.amdhsa_exception_fp_ieee_inexact 0
		.amdhsa_exception_int_div_zero 0
	.end_amdhsa_kernel
	.section	.text._ZN7rocprim17ROCPRIM_400000_NS6detail17trampoline_kernelINS0_14default_configENS1_36segmented_radix_sort_config_selectorIblEEZNS1_25segmented_radix_sort_implIS3_Lb1EPKbPbPKlPlN2at6native12_GLOBAL__N_18offset_tEEE10hipError_tPvRmT1_PNSt15iterator_traitsISK_E10value_typeET2_T3_PNSL_ISQ_E10value_typeET4_jRbjT5_SW_jjP12ihipStream_tbEUlT_E1_NS1_11comp_targetILNS1_3genE5ELNS1_11target_archE942ELNS1_3gpuE9ELNS1_3repE0EEENS1_59segmented_radix_sort_warp_sort_small_config_static_selectorELNS0_4arch9wavefront6targetE0EEEvSK_,"axG",@progbits,_ZN7rocprim17ROCPRIM_400000_NS6detail17trampoline_kernelINS0_14default_configENS1_36segmented_radix_sort_config_selectorIblEEZNS1_25segmented_radix_sort_implIS3_Lb1EPKbPbPKlPlN2at6native12_GLOBAL__N_18offset_tEEE10hipError_tPvRmT1_PNSt15iterator_traitsISK_E10value_typeET2_T3_PNSL_ISQ_E10value_typeET4_jRbjT5_SW_jjP12ihipStream_tbEUlT_E1_NS1_11comp_targetILNS1_3genE5ELNS1_11target_archE942ELNS1_3gpuE9ELNS1_3repE0EEENS1_59segmented_radix_sort_warp_sort_small_config_static_selectorELNS0_4arch9wavefront6targetE0EEEvSK_,comdat
.Lfunc_end1553:
	.size	_ZN7rocprim17ROCPRIM_400000_NS6detail17trampoline_kernelINS0_14default_configENS1_36segmented_radix_sort_config_selectorIblEEZNS1_25segmented_radix_sort_implIS3_Lb1EPKbPbPKlPlN2at6native12_GLOBAL__N_18offset_tEEE10hipError_tPvRmT1_PNSt15iterator_traitsISK_E10value_typeET2_T3_PNSL_ISQ_E10value_typeET4_jRbjT5_SW_jjP12ihipStream_tbEUlT_E1_NS1_11comp_targetILNS1_3genE5ELNS1_11target_archE942ELNS1_3gpuE9ELNS1_3repE0EEENS1_59segmented_radix_sort_warp_sort_small_config_static_selectorELNS0_4arch9wavefront6targetE0EEEvSK_, .Lfunc_end1553-_ZN7rocprim17ROCPRIM_400000_NS6detail17trampoline_kernelINS0_14default_configENS1_36segmented_radix_sort_config_selectorIblEEZNS1_25segmented_radix_sort_implIS3_Lb1EPKbPbPKlPlN2at6native12_GLOBAL__N_18offset_tEEE10hipError_tPvRmT1_PNSt15iterator_traitsISK_E10value_typeET2_T3_PNSL_ISQ_E10value_typeET4_jRbjT5_SW_jjP12ihipStream_tbEUlT_E1_NS1_11comp_targetILNS1_3genE5ELNS1_11target_archE942ELNS1_3gpuE9ELNS1_3repE0EEENS1_59segmented_radix_sort_warp_sort_small_config_static_selectorELNS0_4arch9wavefront6targetE0EEEvSK_
                                        ; -- End function
	.section	.AMDGPU.csdata,"",@progbits
; Kernel info:
; codeLenInByte = 0
; NumSgprs: 0
; NumVgprs: 0
; ScratchSize: 0
; MemoryBound: 0
; FloatMode: 240
; IeeeMode: 1
; LDSByteSize: 0 bytes/workgroup (compile time only)
; SGPRBlocks: 0
; VGPRBlocks: 0
; NumSGPRsForWavesPerEU: 1
; NumVGPRsForWavesPerEU: 1
; Occupancy: 16
; WaveLimiterHint : 0
; COMPUTE_PGM_RSRC2:SCRATCH_EN: 0
; COMPUTE_PGM_RSRC2:USER_SGPR: 15
; COMPUTE_PGM_RSRC2:TRAP_HANDLER: 0
; COMPUTE_PGM_RSRC2:TGID_X_EN: 1
; COMPUTE_PGM_RSRC2:TGID_Y_EN: 0
; COMPUTE_PGM_RSRC2:TGID_Z_EN: 0
; COMPUTE_PGM_RSRC2:TIDIG_COMP_CNT: 0
	.section	.text._ZN7rocprim17ROCPRIM_400000_NS6detail17trampoline_kernelINS0_14default_configENS1_36segmented_radix_sort_config_selectorIblEEZNS1_25segmented_radix_sort_implIS3_Lb1EPKbPbPKlPlN2at6native12_GLOBAL__N_18offset_tEEE10hipError_tPvRmT1_PNSt15iterator_traitsISK_E10value_typeET2_T3_PNSL_ISQ_E10value_typeET4_jRbjT5_SW_jjP12ihipStream_tbEUlT_E1_NS1_11comp_targetILNS1_3genE4ELNS1_11target_archE910ELNS1_3gpuE8ELNS1_3repE0EEENS1_59segmented_radix_sort_warp_sort_small_config_static_selectorELNS0_4arch9wavefront6targetE0EEEvSK_,"axG",@progbits,_ZN7rocprim17ROCPRIM_400000_NS6detail17trampoline_kernelINS0_14default_configENS1_36segmented_radix_sort_config_selectorIblEEZNS1_25segmented_radix_sort_implIS3_Lb1EPKbPbPKlPlN2at6native12_GLOBAL__N_18offset_tEEE10hipError_tPvRmT1_PNSt15iterator_traitsISK_E10value_typeET2_T3_PNSL_ISQ_E10value_typeET4_jRbjT5_SW_jjP12ihipStream_tbEUlT_E1_NS1_11comp_targetILNS1_3genE4ELNS1_11target_archE910ELNS1_3gpuE8ELNS1_3repE0EEENS1_59segmented_radix_sort_warp_sort_small_config_static_selectorELNS0_4arch9wavefront6targetE0EEEvSK_,comdat
	.globl	_ZN7rocprim17ROCPRIM_400000_NS6detail17trampoline_kernelINS0_14default_configENS1_36segmented_radix_sort_config_selectorIblEEZNS1_25segmented_radix_sort_implIS3_Lb1EPKbPbPKlPlN2at6native12_GLOBAL__N_18offset_tEEE10hipError_tPvRmT1_PNSt15iterator_traitsISK_E10value_typeET2_T3_PNSL_ISQ_E10value_typeET4_jRbjT5_SW_jjP12ihipStream_tbEUlT_E1_NS1_11comp_targetILNS1_3genE4ELNS1_11target_archE910ELNS1_3gpuE8ELNS1_3repE0EEENS1_59segmented_radix_sort_warp_sort_small_config_static_selectorELNS0_4arch9wavefront6targetE0EEEvSK_ ; -- Begin function _ZN7rocprim17ROCPRIM_400000_NS6detail17trampoline_kernelINS0_14default_configENS1_36segmented_radix_sort_config_selectorIblEEZNS1_25segmented_radix_sort_implIS3_Lb1EPKbPbPKlPlN2at6native12_GLOBAL__N_18offset_tEEE10hipError_tPvRmT1_PNSt15iterator_traitsISK_E10value_typeET2_T3_PNSL_ISQ_E10value_typeET4_jRbjT5_SW_jjP12ihipStream_tbEUlT_E1_NS1_11comp_targetILNS1_3genE4ELNS1_11target_archE910ELNS1_3gpuE8ELNS1_3repE0EEENS1_59segmented_radix_sort_warp_sort_small_config_static_selectorELNS0_4arch9wavefront6targetE0EEEvSK_
	.p2align	8
	.type	_ZN7rocprim17ROCPRIM_400000_NS6detail17trampoline_kernelINS0_14default_configENS1_36segmented_radix_sort_config_selectorIblEEZNS1_25segmented_radix_sort_implIS3_Lb1EPKbPbPKlPlN2at6native12_GLOBAL__N_18offset_tEEE10hipError_tPvRmT1_PNSt15iterator_traitsISK_E10value_typeET2_T3_PNSL_ISQ_E10value_typeET4_jRbjT5_SW_jjP12ihipStream_tbEUlT_E1_NS1_11comp_targetILNS1_3genE4ELNS1_11target_archE910ELNS1_3gpuE8ELNS1_3repE0EEENS1_59segmented_radix_sort_warp_sort_small_config_static_selectorELNS0_4arch9wavefront6targetE0EEEvSK_,@function
_ZN7rocprim17ROCPRIM_400000_NS6detail17trampoline_kernelINS0_14default_configENS1_36segmented_radix_sort_config_selectorIblEEZNS1_25segmented_radix_sort_implIS3_Lb1EPKbPbPKlPlN2at6native12_GLOBAL__N_18offset_tEEE10hipError_tPvRmT1_PNSt15iterator_traitsISK_E10value_typeET2_T3_PNSL_ISQ_E10value_typeET4_jRbjT5_SW_jjP12ihipStream_tbEUlT_E1_NS1_11comp_targetILNS1_3genE4ELNS1_11target_archE910ELNS1_3gpuE8ELNS1_3repE0EEENS1_59segmented_radix_sort_warp_sort_small_config_static_selectorELNS0_4arch9wavefront6targetE0EEEvSK_: ; @_ZN7rocprim17ROCPRIM_400000_NS6detail17trampoline_kernelINS0_14default_configENS1_36segmented_radix_sort_config_selectorIblEEZNS1_25segmented_radix_sort_implIS3_Lb1EPKbPbPKlPlN2at6native12_GLOBAL__N_18offset_tEEE10hipError_tPvRmT1_PNSt15iterator_traitsISK_E10value_typeET2_T3_PNSL_ISQ_E10value_typeET4_jRbjT5_SW_jjP12ihipStream_tbEUlT_E1_NS1_11comp_targetILNS1_3genE4ELNS1_11target_archE910ELNS1_3gpuE8ELNS1_3repE0EEENS1_59segmented_radix_sort_warp_sort_small_config_static_selectorELNS0_4arch9wavefront6targetE0EEEvSK_
; %bb.0:
	.section	.rodata,"a",@progbits
	.p2align	6, 0x0
	.amdhsa_kernel _ZN7rocprim17ROCPRIM_400000_NS6detail17trampoline_kernelINS0_14default_configENS1_36segmented_radix_sort_config_selectorIblEEZNS1_25segmented_radix_sort_implIS3_Lb1EPKbPbPKlPlN2at6native12_GLOBAL__N_18offset_tEEE10hipError_tPvRmT1_PNSt15iterator_traitsISK_E10value_typeET2_T3_PNSL_ISQ_E10value_typeET4_jRbjT5_SW_jjP12ihipStream_tbEUlT_E1_NS1_11comp_targetILNS1_3genE4ELNS1_11target_archE910ELNS1_3gpuE8ELNS1_3repE0EEENS1_59segmented_radix_sort_warp_sort_small_config_static_selectorELNS0_4arch9wavefront6targetE0EEEvSK_
		.amdhsa_group_segment_fixed_size 0
		.amdhsa_private_segment_fixed_size 0
		.amdhsa_kernarg_size 88
		.amdhsa_user_sgpr_count 15
		.amdhsa_user_sgpr_dispatch_ptr 0
		.amdhsa_user_sgpr_queue_ptr 0
		.amdhsa_user_sgpr_kernarg_segment_ptr 1
		.amdhsa_user_sgpr_dispatch_id 0
		.amdhsa_user_sgpr_private_segment_size 0
		.amdhsa_wavefront_size32 1
		.amdhsa_uses_dynamic_stack 0
		.amdhsa_enable_private_segment 0
		.amdhsa_system_sgpr_workgroup_id_x 1
		.amdhsa_system_sgpr_workgroup_id_y 0
		.amdhsa_system_sgpr_workgroup_id_z 0
		.amdhsa_system_sgpr_workgroup_info 0
		.amdhsa_system_vgpr_workitem_id 0
		.amdhsa_next_free_vgpr 1
		.amdhsa_next_free_sgpr 1
		.amdhsa_reserve_vcc 0
		.amdhsa_float_round_mode_32 0
		.amdhsa_float_round_mode_16_64 0
		.amdhsa_float_denorm_mode_32 3
		.amdhsa_float_denorm_mode_16_64 3
		.amdhsa_dx10_clamp 1
		.amdhsa_ieee_mode 1
		.amdhsa_fp16_overflow 0
		.amdhsa_workgroup_processor_mode 1
		.amdhsa_memory_ordered 1
		.amdhsa_forward_progress 0
		.amdhsa_shared_vgpr_count 0
		.amdhsa_exception_fp_ieee_invalid_op 0
		.amdhsa_exception_fp_denorm_src 0
		.amdhsa_exception_fp_ieee_div_zero 0
		.amdhsa_exception_fp_ieee_overflow 0
		.amdhsa_exception_fp_ieee_underflow 0
		.amdhsa_exception_fp_ieee_inexact 0
		.amdhsa_exception_int_div_zero 0
	.end_amdhsa_kernel
	.section	.text._ZN7rocprim17ROCPRIM_400000_NS6detail17trampoline_kernelINS0_14default_configENS1_36segmented_radix_sort_config_selectorIblEEZNS1_25segmented_radix_sort_implIS3_Lb1EPKbPbPKlPlN2at6native12_GLOBAL__N_18offset_tEEE10hipError_tPvRmT1_PNSt15iterator_traitsISK_E10value_typeET2_T3_PNSL_ISQ_E10value_typeET4_jRbjT5_SW_jjP12ihipStream_tbEUlT_E1_NS1_11comp_targetILNS1_3genE4ELNS1_11target_archE910ELNS1_3gpuE8ELNS1_3repE0EEENS1_59segmented_radix_sort_warp_sort_small_config_static_selectorELNS0_4arch9wavefront6targetE0EEEvSK_,"axG",@progbits,_ZN7rocprim17ROCPRIM_400000_NS6detail17trampoline_kernelINS0_14default_configENS1_36segmented_radix_sort_config_selectorIblEEZNS1_25segmented_radix_sort_implIS3_Lb1EPKbPbPKlPlN2at6native12_GLOBAL__N_18offset_tEEE10hipError_tPvRmT1_PNSt15iterator_traitsISK_E10value_typeET2_T3_PNSL_ISQ_E10value_typeET4_jRbjT5_SW_jjP12ihipStream_tbEUlT_E1_NS1_11comp_targetILNS1_3genE4ELNS1_11target_archE910ELNS1_3gpuE8ELNS1_3repE0EEENS1_59segmented_radix_sort_warp_sort_small_config_static_selectorELNS0_4arch9wavefront6targetE0EEEvSK_,comdat
.Lfunc_end1554:
	.size	_ZN7rocprim17ROCPRIM_400000_NS6detail17trampoline_kernelINS0_14default_configENS1_36segmented_radix_sort_config_selectorIblEEZNS1_25segmented_radix_sort_implIS3_Lb1EPKbPbPKlPlN2at6native12_GLOBAL__N_18offset_tEEE10hipError_tPvRmT1_PNSt15iterator_traitsISK_E10value_typeET2_T3_PNSL_ISQ_E10value_typeET4_jRbjT5_SW_jjP12ihipStream_tbEUlT_E1_NS1_11comp_targetILNS1_3genE4ELNS1_11target_archE910ELNS1_3gpuE8ELNS1_3repE0EEENS1_59segmented_radix_sort_warp_sort_small_config_static_selectorELNS0_4arch9wavefront6targetE0EEEvSK_, .Lfunc_end1554-_ZN7rocprim17ROCPRIM_400000_NS6detail17trampoline_kernelINS0_14default_configENS1_36segmented_radix_sort_config_selectorIblEEZNS1_25segmented_radix_sort_implIS3_Lb1EPKbPbPKlPlN2at6native12_GLOBAL__N_18offset_tEEE10hipError_tPvRmT1_PNSt15iterator_traitsISK_E10value_typeET2_T3_PNSL_ISQ_E10value_typeET4_jRbjT5_SW_jjP12ihipStream_tbEUlT_E1_NS1_11comp_targetILNS1_3genE4ELNS1_11target_archE910ELNS1_3gpuE8ELNS1_3repE0EEENS1_59segmented_radix_sort_warp_sort_small_config_static_selectorELNS0_4arch9wavefront6targetE0EEEvSK_
                                        ; -- End function
	.section	.AMDGPU.csdata,"",@progbits
; Kernel info:
; codeLenInByte = 0
; NumSgprs: 0
; NumVgprs: 0
; ScratchSize: 0
; MemoryBound: 0
; FloatMode: 240
; IeeeMode: 1
; LDSByteSize: 0 bytes/workgroup (compile time only)
; SGPRBlocks: 0
; VGPRBlocks: 0
; NumSGPRsForWavesPerEU: 1
; NumVGPRsForWavesPerEU: 1
; Occupancy: 16
; WaveLimiterHint : 0
; COMPUTE_PGM_RSRC2:SCRATCH_EN: 0
; COMPUTE_PGM_RSRC2:USER_SGPR: 15
; COMPUTE_PGM_RSRC2:TRAP_HANDLER: 0
; COMPUTE_PGM_RSRC2:TGID_X_EN: 1
; COMPUTE_PGM_RSRC2:TGID_Y_EN: 0
; COMPUTE_PGM_RSRC2:TGID_Z_EN: 0
; COMPUTE_PGM_RSRC2:TIDIG_COMP_CNT: 0
	.section	.text._ZN7rocprim17ROCPRIM_400000_NS6detail17trampoline_kernelINS0_14default_configENS1_36segmented_radix_sort_config_selectorIblEEZNS1_25segmented_radix_sort_implIS3_Lb1EPKbPbPKlPlN2at6native12_GLOBAL__N_18offset_tEEE10hipError_tPvRmT1_PNSt15iterator_traitsISK_E10value_typeET2_T3_PNSL_ISQ_E10value_typeET4_jRbjT5_SW_jjP12ihipStream_tbEUlT_E1_NS1_11comp_targetILNS1_3genE3ELNS1_11target_archE908ELNS1_3gpuE7ELNS1_3repE0EEENS1_59segmented_radix_sort_warp_sort_small_config_static_selectorELNS0_4arch9wavefront6targetE0EEEvSK_,"axG",@progbits,_ZN7rocprim17ROCPRIM_400000_NS6detail17trampoline_kernelINS0_14default_configENS1_36segmented_radix_sort_config_selectorIblEEZNS1_25segmented_radix_sort_implIS3_Lb1EPKbPbPKlPlN2at6native12_GLOBAL__N_18offset_tEEE10hipError_tPvRmT1_PNSt15iterator_traitsISK_E10value_typeET2_T3_PNSL_ISQ_E10value_typeET4_jRbjT5_SW_jjP12ihipStream_tbEUlT_E1_NS1_11comp_targetILNS1_3genE3ELNS1_11target_archE908ELNS1_3gpuE7ELNS1_3repE0EEENS1_59segmented_radix_sort_warp_sort_small_config_static_selectorELNS0_4arch9wavefront6targetE0EEEvSK_,comdat
	.globl	_ZN7rocprim17ROCPRIM_400000_NS6detail17trampoline_kernelINS0_14default_configENS1_36segmented_radix_sort_config_selectorIblEEZNS1_25segmented_radix_sort_implIS3_Lb1EPKbPbPKlPlN2at6native12_GLOBAL__N_18offset_tEEE10hipError_tPvRmT1_PNSt15iterator_traitsISK_E10value_typeET2_T3_PNSL_ISQ_E10value_typeET4_jRbjT5_SW_jjP12ihipStream_tbEUlT_E1_NS1_11comp_targetILNS1_3genE3ELNS1_11target_archE908ELNS1_3gpuE7ELNS1_3repE0EEENS1_59segmented_radix_sort_warp_sort_small_config_static_selectorELNS0_4arch9wavefront6targetE0EEEvSK_ ; -- Begin function _ZN7rocprim17ROCPRIM_400000_NS6detail17trampoline_kernelINS0_14default_configENS1_36segmented_radix_sort_config_selectorIblEEZNS1_25segmented_radix_sort_implIS3_Lb1EPKbPbPKlPlN2at6native12_GLOBAL__N_18offset_tEEE10hipError_tPvRmT1_PNSt15iterator_traitsISK_E10value_typeET2_T3_PNSL_ISQ_E10value_typeET4_jRbjT5_SW_jjP12ihipStream_tbEUlT_E1_NS1_11comp_targetILNS1_3genE3ELNS1_11target_archE908ELNS1_3gpuE7ELNS1_3repE0EEENS1_59segmented_radix_sort_warp_sort_small_config_static_selectorELNS0_4arch9wavefront6targetE0EEEvSK_
	.p2align	8
	.type	_ZN7rocprim17ROCPRIM_400000_NS6detail17trampoline_kernelINS0_14default_configENS1_36segmented_radix_sort_config_selectorIblEEZNS1_25segmented_radix_sort_implIS3_Lb1EPKbPbPKlPlN2at6native12_GLOBAL__N_18offset_tEEE10hipError_tPvRmT1_PNSt15iterator_traitsISK_E10value_typeET2_T3_PNSL_ISQ_E10value_typeET4_jRbjT5_SW_jjP12ihipStream_tbEUlT_E1_NS1_11comp_targetILNS1_3genE3ELNS1_11target_archE908ELNS1_3gpuE7ELNS1_3repE0EEENS1_59segmented_radix_sort_warp_sort_small_config_static_selectorELNS0_4arch9wavefront6targetE0EEEvSK_,@function
_ZN7rocprim17ROCPRIM_400000_NS6detail17trampoline_kernelINS0_14default_configENS1_36segmented_radix_sort_config_selectorIblEEZNS1_25segmented_radix_sort_implIS3_Lb1EPKbPbPKlPlN2at6native12_GLOBAL__N_18offset_tEEE10hipError_tPvRmT1_PNSt15iterator_traitsISK_E10value_typeET2_T3_PNSL_ISQ_E10value_typeET4_jRbjT5_SW_jjP12ihipStream_tbEUlT_E1_NS1_11comp_targetILNS1_3genE3ELNS1_11target_archE908ELNS1_3gpuE7ELNS1_3repE0EEENS1_59segmented_radix_sort_warp_sort_small_config_static_selectorELNS0_4arch9wavefront6targetE0EEEvSK_: ; @_ZN7rocprim17ROCPRIM_400000_NS6detail17trampoline_kernelINS0_14default_configENS1_36segmented_radix_sort_config_selectorIblEEZNS1_25segmented_radix_sort_implIS3_Lb1EPKbPbPKlPlN2at6native12_GLOBAL__N_18offset_tEEE10hipError_tPvRmT1_PNSt15iterator_traitsISK_E10value_typeET2_T3_PNSL_ISQ_E10value_typeET4_jRbjT5_SW_jjP12ihipStream_tbEUlT_E1_NS1_11comp_targetILNS1_3genE3ELNS1_11target_archE908ELNS1_3gpuE7ELNS1_3repE0EEENS1_59segmented_radix_sort_warp_sort_small_config_static_selectorELNS0_4arch9wavefront6targetE0EEEvSK_
; %bb.0:
	.section	.rodata,"a",@progbits
	.p2align	6, 0x0
	.amdhsa_kernel _ZN7rocprim17ROCPRIM_400000_NS6detail17trampoline_kernelINS0_14default_configENS1_36segmented_radix_sort_config_selectorIblEEZNS1_25segmented_radix_sort_implIS3_Lb1EPKbPbPKlPlN2at6native12_GLOBAL__N_18offset_tEEE10hipError_tPvRmT1_PNSt15iterator_traitsISK_E10value_typeET2_T3_PNSL_ISQ_E10value_typeET4_jRbjT5_SW_jjP12ihipStream_tbEUlT_E1_NS1_11comp_targetILNS1_3genE3ELNS1_11target_archE908ELNS1_3gpuE7ELNS1_3repE0EEENS1_59segmented_radix_sort_warp_sort_small_config_static_selectorELNS0_4arch9wavefront6targetE0EEEvSK_
		.amdhsa_group_segment_fixed_size 0
		.amdhsa_private_segment_fixed_size 0
		.amdhsa_kernarg_size 88
		.amdhsa_user_sgpr_count 15
		.amdhsa_user_sgpr_dispatch_ptr 0
		.amdhsa_user_sgpr_queue_ptr 0
		.amdhsa_user_sgpr_kernarg_segment_ptr 1
		.amdhsa_user_sgpr_dispatch_id 0
		.amdhsa_user_sgpr_private_segment_size 0
		.amdhsa_wavefront_size32 1
		.amdhsa_uses_dynamic_stack 0
		.amdhsa_enable_private_segment 0
		.amdhsa_system_sgpr_workgroup_id_x 1
		.amdhsa_system_sgpr_workgroup_id_y 0
		.amdhsa_system_sgpr_workgroup_id_z 0
		.amdhsa_system_sgpr_workgroup_info 0
		.amdhsa_system_vgpr_workitem_id 0
		.amdhsa_next_free_vgpr 1
		.amdhsa_next_free_sgpr 1
		.amdhsa_reserve_vcc 0
		.amdhsa_float_round_mode_32 0
		.amdhsa_float_round_mode_16_64 0
		.amdhsa_float_denorm_mode_32 3
		.amdhsa_float_denorm_mode_16_64 3
		.amdhsa_dx10_clamp 1
		.amdhsa_ieee_mode 1
		.amdhsa_fp16_overflow 0
		.amdhsa_workgroup_processor_mode 1
		.amdhsa_memory_ordered 1
		.amdhsa_forward_progress 0
		.amdhsa_shared_vgpr_count 0
		.amdhsa_exception_fp_ieee_invalid_op 0
		.amdhsa_exception_fp_denorm_src 0
		.amdhsa_exception_fp_ieee_div_zero 0
		.amdhsa_exception_fp_ieee_overflow 0
		.amdhsa_exception_fp_ieee_underflow 0
		.amdhsa_exception_fp_ieee_inexact 0
		.amdhsa_exception_int_div_zero 0
	.end_amdhsa_kernel
	.section	.text._ZN7rocprim17ROCPRIM_400000_NS6detail17trampoline_kernelINS0_14default_configENS1_36segmented_radix_sort_config_selectorIblEEZNS1_25segmented_radix_sort_implIS3_Lb1EPKbPbPKlPlN2at6native12_GLOBAL__N_18offset_tEEE10hipError_tPvRmT1_PNSt15iterator_traitsISK_E10value_typeET2_T3_PNSL_ISQ_E10value_typeET4_jRbjT5_SW_jjP12ihipStream_tbEUlT_E1_NS1_11comp_targetILNS1_3genE3ELNS1_11target_archE908ELNS1_3gpuE7ELNS1_3repE0EEENS1_59segmented_radix_sort_warp_sort_small_config_static_selectorELNS0_4arch9wavefront6targetE0EEEvSK_,"axG",@progbits,_ZN7rocprim17ROCPRIM_400000_NS6detail17trampoline_kernelINS0_14default_configENS1_36segmented_radix_sort_config_selectorIblEEZNS1_25segmented_radix_sort_implIS3_Lb1EPKbPbPKlPlN2at6native12_GLOBAL__N_18offset_tEEE10hipError_tPvRmT1_PNSt15iterator_traitsISK_E10value_typeET2_T3_PNSL_ISQ_E10value_typeET4_jRbjT5_SW_jjP12ihipStream_tbEUlT_E1_NS1_11comp_targetILNS1_3genE3ELNS1_11target_archE908ELNS1_3gpuE7ELNS1_3repE0EEENS1_59segmented_radix_sort_warp_sort_small_config_static_selectorELNS0_4arch9wavefront6targetE0EEEvSK_,comdat
.Lfunc_end1555:
	.size	_ZN7rocprim17ROCPRIM_400000_NS6detail17trampoline_kernelINS0_14default_configENS1_36segmented_radix_sort_config_selectorIblEEZNS1_25segmented_radix_sort_implIS3_Lb1EPKbPbPKlPlN2at6native12_GLOBAL__N_18offset_tEEE10hipError_tPvRmT1_PNSt15iterator_traitsISK_E10value_typeET2_T3_PNSL_ISQ_E10value_typeET4_jRbjT5_SW_jjP12ihipStream_tbEUlT_E1_NS1_11comp_targetILNS1_3genE3ELNS1_11target_archE908ELNS1_3gpuE7ELNS1_3repE0EEENS1_59segmented_radix_sort_warp_sort_small_config_static_selectorELNS0_4arch9wavefront6targetE0EEEvSK_, .Lfunc_end1555-_ZN7rocprim17ROCPRIM_400000_NS6detail17trampoline_kernelINS0_14default_configENS1_36segmented_radix_sort_config_selectorIblEEZNS1_25segmented_radix_sort_implIS3_Lb1EPKbPbPKlPlN2at6native12_GLOBAL__N_18offset_tEEE10hipError_tPvRmT1_PNSt15iterator_traitsISK_E10value_typeET2_T3_PNSL_ISQ_E10value_typeET4_jRbjT5_SW_jjP12ihipStream_tbEUlT_E1_NS1_11comp_targetILNS1_3genE3ELNS1_11target_archE908ELNS1_3gpuE7ELNS1_3repE0EEENS1_59segmented_radix_sort_warp_sort_small_config_static_selectorELNS0_4arch9wavefront6targetE0EEEvSK_
                                        ; -- End function
	.section	.AMDGPU.csdata,"",@progbits
; Kernel info:
; codeLenInByte = 0
; NumSgprs: 0
; NumVgprs: 0
; ScratchSize: 0
; MemoryBound: 0
; FloatMode: 240
; IeeeMode: 1
; LDSByteSize: 0 bytes/workgroup (compile time only)
; SGPRBlocks: 0
; VGPRBlocks: 0
; NumSGPRsForWavesPerEU: 1
; NumVGPRsForWavesPerEU: 1
; Occupancy: 16
; WaveLimiterHint : 0
; COMPUTE_PGM_RSRC2:SCRATCH_EN: 0
; COMPUTE_PGM_RSRC2:USER_SGPR: 15
; COMPUTE_PGM_RSRC2:TRAP_HANDLER: 0
; COMPUTE_PGM_RSRC2:TGID_X_EN: 1
; COMPUTE_PGM_RSRC2:TGID_Y_EN: 0
; COMPUTE_PGM_RSRC2:TGID_Z_EN: 0
; COMPUTE_PGM_RSRC2:TIDIG_COMP_CNT: 0
	.section	.text._ZN7rocprim17ROCPRIM_400000_NS6detail17trampoline_kernelINS0_14default_configENS1_36segmented_radix_sort_config_selectorIblEEZNS1_25segmented_radix_sort_implIS3_Lb1EPKbPbPKlPlN2at6native12_GLOBAL__N_18offset_tEEE10hipError_tPvRmT1_PNSt15iterator_traitsISK_E10value_typeET2_T3_PNSL_ISQ_E10value_typeET4_jRbjT5_SW_jjP12ihipStream_tbEUlT_E1_NS1_11comp_targetILNS1_3genE2ELNS1_11target_archE906ELNS1_3gpuE6ELNS1_3repE0EEENS1_59segmented_radix_sort_warp_sort_small_config_static_selectorELNS0_4arch9wavefront6targetE0EEEvSK_,"axG",@progbits,_ZN7rocprim17ROCPRIM_400000_NS6detail17trampoline_kernelINS0_14default_configENS1_36segmented_radix_sort_config_selectorIblEEZNS1_25segmented_radix_sort_implIS3_Lb1EPKbPbPKlPlN2at6native12_GLOBAL__N_18offset_tEEE10hipError_tPvRmT1_PNSt15iterator_traitsISK_E10value_typeET2_T3_PNSL_ISQ_E10value_typeET4_jRbjT5_SW_jjP12ihipStream_tbEUlT_E1_NS1_11comp_targetILNS1_3genE2ELNS1_11target_archE906ELNS1_3gpuE6ELNS1_3repE0EEENS1_59segmented_radix_sort_warp_sort_small_config_static_selectorELNS0_4arch9wavefront6targetE0EEEvSK_,comdat
	.globl	_ZN7rocprim17ROCPRIM_400000_NS6detail17trampoline_kernelINS0_14default_configENS1_36segmented_radix_sort_config_selectorIblEEZNS1_25segmented_radix_sort_implIS3_Lb1EPKbPbPKlPlN2at6native12_GLOBAL__N_18offset_tEEE10hipError_tPvRmT1_PNSt15iterator_traitsISK_E10value_typeET2_T3_PNSL_ISQ_E10value_typeET4_jRbjT5_SW_jjP12ihipStream_tbEUlT_E1_NS1_11comp_targetILNS1_3genE2ELNS1_11target_archE906ELNS1_3gpuE6ELNS1_3repE0EEENS1_59segmented_radix_sort_warp_sort_small_config_static_selectorELNS0_4arch9wavefront6targetE0EEEvSK_ ; -- Begin function _ZN7rocprim17ROCPRIM_400000_NS6detail17trampoline_kernelINS0_14default_configENS1_36segmented_radix_sort_config_selectorIblEEZNS1_25segmented_radix_sort_implIS3_Lb1EPKbPbPKlPlN2at6native12_GLOBAL__N_18offset_tEEE10hipError_tPvRmT1_PNSt15iterator_traitsISK_E10value_typeET2_T3_PNSL_ISQ_E10value_typeET4_jRbjT5_SW_jjP12ihipStream_tbEUlT_E1_NS1_11comp_targetILNS1_3genE2ELNS1_11target_archE906ELNS1_3gpuE6ELNS1_3repE0EEENS1_59segmented_radix_sort_warp_sort_small_config_static_selectorELNS0_4arch9wavefront6targetE0EEEvSK_
	.p2align	8
	.type	_ZN7rocprim17ROCPRIM_400000_NS6detail17trampoline_kernelINS0_14default_configENS1_36segmented_radix_sort_config_selectorIblEEZNS1_25segmented_radix_sort_implIS3_Lb1EPKbPbPKlPlN2at6native12_GLOBAL__N_18offset_tEEE10hipError_tPvRmT1_PNSt15iterator_traitsISK_E10value_typeET2_T3_PNSL_ISQ_E10value_typeET4_jRbjT5_SW_jjP12ihipStream_tbEUlT_E1_NS1_11comp_targetILNS1_3genE2ELNS1_11target_archE906ELNS1_3gpuE6ELNS1_3repE0EEENS1_59segmented_radix_sort_warp_sort_small_config_static_selectorELNS0_4arch9wavefront6targetE0EEEvSK_,@function
_ZN7rocprim17ROCPRIM_400000_NS6detail17trampoline_kernelINS0_14default_configENS1_36segmented_radix_sort_config_selectorIblEEZNS1_25segmented_radix_sort_implIS3_Lb1EPKbPbPKlPlN2at6native12_GLOBAL__N_18offset_tEEE10hipError_tPvRmT1_PNSt15iterator_traitsISK_E10value_typeET2_T3_PNSL_ISQ_E10value_typeET4_jRbjT5_SW_jjP12ihipStream_tbEUlT_E1_NS1_11comp_targetILNS1_3genE2ELNS1_11target_archE906ELNS1_3gpuE6ELNS1_3repE0EEENS1_59segmented_radix_sort_warp_sort_small_config_static_selectorELNS0_4arch9wavefront6targetE0EEEvSK_: ; @_ZN7rocprim17ROCPRIM_400000_NS6detail17trampoline_kernelINS0_14default_configENS1_36segmented_radix_sort_config_selectorIblEEZNS1_25segmented_radix_sort_implIS3_Lb1EPKbPbPKlPlN2at6native12_GLOBAL__N_18offset_tEEE10hipError_tPvRmT1_PNSt15iterator_traitsISK_E10value_typeET2_T3_PNSL_ISQ_E10value_typeET4_jRbjT5_SW_jjP12ihipStream_tbEUlT_E1_NS1_11comp_targetILNS1_3genE2ELNS1_11target_archE906ELNS1_3gpuE6ELNS1_3repE0EEENS1_59segmented_radix_sort_warp_sort_small_config_static_selectorELNS0_4arch9wavefront6targetE0EEEvSK_
; %bb.0:
	.section	.rodata,"a",@progbits
	.p2align	6, 0x0
	.amdhsa_kernel _ZN7rocprim17ROCPRIM_400000_NS6detail17trampoline_kernelINS0_14default_configENS1_36segmented_radix_sort_config_selectorIblEEZNS1_25segmented_radix_sort_implIS3_Lb1EPKbPbPKlPlN2at6native12_GLOBAL__N_18offset_tEEE10hipError_tPvRmT1_PNSt15iterator_traitsISK_E10value_typeET2_T3_PNSL_ISQ_E10value_typeET4_jRbjT5_SW_jjP12ihipStream_tbEUlT_E1_NS1_11comp_targetILNS1_3genE2ELNS1_11target_archE906ELNS1_3gpuE6ELNS1_3repE0EEENS1_59segmented_radix_sort_warp_sort_small_config_static_selectorELNS0_4arch9wavefront6targetE0EEEvSK_
		.amdhsa_group_segment_fixed_size 0
		.amdhsa_private_segment_fixed_size 0
		.amdhsa_kernarg_size 88
		.amdhsa_user_sgpr_count 15
		.amdhsa_user_sgpr_dispatch_ptr 0
		.amdhsa_user_sgpr_queue_ptr 0
		.amdhsa_user_sgpr_kernarg_segment_ptr 1
		.amdhsa_user_sgpr_dispatch_id 0
		.amdhsa_user_sgpr_private_segment_size 0
		.amdhsa_wavefront_size32 1
		.amdhsa_uses_dynamic_stack 0
		.amdhsa_enable_private_segment 0
		.amdhsa_system_sgpr_workgroup_id_x 1
		.amdhsa_system_sgpr_workgroup_id_y 0
		.amdhsa_system_sgpr_workgroup_id_z 0
		.amdhsa_system_sgpr_workgroup_info 0
		.amdhsa_system_vgpr_workitem_id 0
		.amdhsa_next_free_vgpr 1
		.amdhsa_next_free_sgpr 1
		.amdhsa_reserve_vcc 0
		.amdhsa_float_round_mode_32 0
		.amdhsa_float_round_mode_16_64 0
		.amdhsa_float_denorm_mode_32 3
		.amdhsa_float_denorm_mode_16_64 3
		.amdhsa_dx10_clamp 1
		.amdhsa_ieee_mode 1
		.amdhsa_fp16_overflow 0
		.amdhsa_workgroup_processor_mode 1
		.amdhsa_memory_ordered 1
		.amdhsa_forward_progress 0
		.amdhsa_shared_vgpr_count 0
		.amdhsa_exception_fp_ieee_invalid_op 0
		.amdhsa_exception_fp_denorm_src 0
		.amdhsa_exception_fp_ieee_div_zero 0
		.amdhsa_exception_fp_ieee_overflow 0
		.amdhsa_exception_fp_ieee_underflow 0
		.amdhsa_exception_fp_ieee_inexact 0
		.amdhsa_exception_int_div_zero 0
	.end_amdhsa_kernel
	.section	.text._ZN7rocprim17ROCPRIM_400000_NS6detail17trampoline_kernelINS0_14default_configENS1_36segmented_radix_sort_config_selectorIblEEZNS1_25segmented_radix_sort_implIS3_Lb1EPKbPbPKlPlN2at6native12_GLOBAL__N_18offset_tEEE10hipError_tPvRmT1_PNSt15iterator_traitsISK_E10value_typeET2_T3_PNSL_ISQ_E10value_typeET4_jRbjT5_SW_jjP12ihipStream_tbEUlT_E1_NS1_11comp_targetILNS1_3genE2ELNS1_11target_archE906ELNS1_3gpuE6ELNS1_3repE0EEENS1_59segmented_radix_sort_warp_sort_small_config_static_selectorELNS0_4arch9wavefront6targetE0EEEvSK_,"axG",@progbits,_ZN7rocprim17ROCPRIM_400000_NS6detail17trampoline_kernelINS0_14default_configENS1_36segmented_radix_sort_config_selectorIblEEZNS1_25segmented_radix_sort_implIS3_Lb1EPKbPbPKlPlN2at6native12_GLOBAL__N_18offset_tEEE10hipError_tPvRmT1_PNSt15iterator_traitsISK_E10value_typeET2_T3_PNSL_ISQ_E10value_typeET4_jRbjT5_SW_jjP12ihipStream_tbEUlT_E1_NS1_11comp_targetILNS1_3genE2ELNS1_11target_archE906ELNS1_3gpuE6ELNS1_3repE0EEENS1_59segmented_radix_sort_warp_sort_small_config_static_selectorELNS0_4arch9wavefront6targetE0EEEvSK_,comdat
.Lfunc_end1556:
	.size	_ZN7rocprim17ROCPRIM_400000_NS6detail17trampoline_kernelINS0_14default_configENS1_36segmented_radix_sort_config_selectorIblEEZNS1_25segmented_radix_sort_implIS3_Lb1EPKbPbPKlPlN2at6native12_GLOBAL__N_18offset_tEEE10hipError_tPvRmT1_PNSt15iterator_traitsISK_E10value_typeET2_T3_PNSL_ISQ_E10value_typeET4_jRbjT5_SW_jjP12ihipStream_tbEUlT_E1_NS1_11comp_targetILNS1_3genE2ELNS1_11target_archE906ELNS1_3gpuE6ELNS1_3repE0EEENS1_59segmented_radix_sort_warp_sort_small_config_static_selectorELNS0_4arch9wavefront6targetE0EEEvSK_, .Lfunc_end1556-_ZN7rocprim17ROCPRIM_400000_NS6detail17trampoline_kernelINS0_14default_configENS1_36segmented_radix_sort_config_selectorIblEEZNS1_25segmented_radix_sort_implIS3_Lb1EPKbPbPKlPlN2at6native12_GLOBAL__N_18offset_tEEE10hipError_tPvRmT1_PNSt15iterator_traitsISK_E10value_typeET2_T3_PNSL_ISQ_E10value_typeET4_jRbjT5_SW_jjP12ihipStream_tbEUlT_E1_NS1_11comp_targetILNS1_3genE2ELNS1_11target_archE906ELNS1_3gpuE6ELNS1_3repE0EEENS1_59segmented_radix_sort_warp_sort_small_config_static_selectorELNS0_4arch9wavefront6targetE0EEEvSK_
                                        ; -- End function
	.section	.AMDGPU.csdata,"",@progbits
; Kernel info:
; codeLenInByte = 0
; NumSgprs: 0
; NumVgprs: 0
; ScratchSize: 0
; MemoryBound: 0
; FloatMode: 240
; IeeeMode: 1
; LDSByteSize: 0 bytes/workgroup (compile time only)
; SGPRBlocks: 0
; VGPRBlocks: 0
; NumSGPRsForWavesPerEU: 1
; NumVGPRsForWavesPerEU: 1
; Occupancy: 16
; WaveLimiterHint : 0
; COMPUTE_PGM_RSRC2:SCRATCH_EN: 0
; COMPUTE_PGM_RSRC2:USER_SGPR: 15
; COMPUTE_PGM_RSRC2:TRAP_HANDLER: 0
; COMPUTE_PGM_RSRC2:TGID_X_EN: 1
; COMPUTE_PGM_RSRC2:TGID_Y_EN: 0
; COMPUTE_PGM_RSRC2:TGID_Z_EN: 0
; COMPUTE_PGM_RSRC2:TIDIG_COMP_CNT: 0
	.section	.text._ZN7rocprim17ROCPRIM_400000_NS6detail17trampoline_kernelINS0_14default_configENS1_36segmented_radix_sort_config_selectorIblEEZNS1_25segmented_radix_sort_implIS3_Lb1EPKbPbPKlPlN2at6native12_GLOBAL__N_18offset_tEEE10hipError_tPvRmT1_PNSt15iterator_traitsISK_E10value_typeET2_T3_PNSL_ISQ_E10value_typeET4_jRbjT5_SW_jjP12ihipStream_tbEUlT_E1_NS1_11comp_targetILNS1_3genE10ELNS1_11target_archE1201ELNS1_3gpuE5ELNS1_3repE0EEENS1_59segmented_radix_sort_warp_sort_small_config_static_selectorELNS0_4arch9wavefront6targetE0EEEvSK_,"axG",@progbits,_ZN7rocprim17ROCPRIM_400000_NS6detail17trampoline_kernelINS0_14default_configENS1_36segmented_radix_sort_config_selectorIblEEZNS1_25segmented_radix_sort_implIS3_Lb1EPKbPbPKlPlN2at6native12_GLOBAL__N_18offset_tEEE10hipError_tPvRmT1_PNSt15iterator_traitsISK_E10value_typeET2_T3_PNSL_ISQ_E10value_typeET4_jRbjT5_SW_jjP12ihipStream_tbEUlT_E1_NS1_11comp_targetILNS1_3genE10ELNS1_11target_archE1201ELNS1_3gpuE5ELNS1_3repE0EEENS1_59segmented_radix_sort_warp_sort_small_config_static_selectorELNS0_4arch9wavefront6targetE0EEEvSK_,comdat
	.globl	_ZN7rocprim17ROCPRIM_400000_NS6detail17trampoline_kernelINS0_14default_configENS1_36segmented_radix_sort_config_selectorIblEEZNS1_25segmented_radix_sort_implIS3_Lb1EPKbPbPKlPlN2at6native12_GLOBAL__N_18offset_tEEE10hipError_tPvRmT1_PNSt15iterator_traitsISK_E10value_typeET2_T3_PNSL_ISQ_E10value_typeET4_jRbjT5_SW_jjP12ihipStream_tbEUlT_E1_NS1_11comp_targetILNS1_3genE10ELNS1_11target_archE1201ELNS1_3gpuE5ELNS1_3repE0EEENS1_59segmented_radix_sort_warp_sort_small_config_static_selectorELNS0_4arch9wavefront6targetE0EEEvSK_ ; -- Begin function _ZN7rocprim17ROCPRIM_400000_NS6detail17trampoline_kernelINS0_14default_configENS1_36segmented_radix_sort_config_selectorIblEEZNS1_25segmented_radix_sort_implIS3_Lb1EPKbPbPKlPlN2at6native12_GLOBAL__N_18offset_tEEE10hipError_tPvRmT1_PNSt15iterator_traitsISK_E10value_typeET2_T3_PNSL_ISQ_E10value_typeET4_jRbjT5_SW_jjP12ihipStream_tbEUlT_E1_NS1_11comp_targetILNS1_3genE10ELNS1_11target_archE1201ELNS1_3gpuE5ELNS1_3repE0EEENS1_59segmented_radix_sort_warp_sort_small_config_static_selectorELNS0_4arch9wavefront6targetE0EEEvSK_
	.p2align	8
	.type	_ZN7rocprim17ROCPRIM_400000_NS6detail17trampoline_kernelINS0_14default_configENS1_36segmented_radix_sort_config_selectorIblEEZNS1_25segmented_radix_sort_implIS3_Lb1EPKbPbPKlPlN2at6native12_GLOBAL__N_18offset_tEEE10hipError_tPvRmT1_PNSt15iterator_traitsISK_E10value_typeET2_T3_PNSL_ISQ_E10value_typeET4_jRbjT5_SW_jjP12ihipStream_tbEUlT_E1_NS1_11comp_targetILNS1_3genE10ELNS1_11target_archE1201ELNS1_3gpuE5ELNS1_3repE0EEENS1_59segmented_radix_sort_warp_sort_small_config_static_selectorELNS0_4arch9wavefront6targetE0EEEvSK_,@function
_ZN7rocprim17ROCPRIM_400000_NS6detail17trampoline_kernelINS0_14default_configENS1_36segmented_radix_sort_config_selectorIblEEZNS1_25segmented_radix_sort_implIS3_Lb1EPKbPbPKlPlN2at6native12_GLOBAL__N_18offset_tEEE10hipError_tPvRmT1_PNSt15iterator_traitsISK_E10value_typeET2_T3_PNSL_ISQ_E10value_typeET4_jRbjT5_SW_jjP12ihipStream_tbEUlT_E1_NS1_11comp_targetILNS1_3genE10ELNS1_11target_archE1201ELNS1_3gpuE5ELNS1_3repE0EEENS1_59segmented_radix_sort_warp_sort_small_config_static_selectorELNS0_4arch9wavefront6targetE0EEEvSK_: ; @_ZN7rocprim17ROCPRIM_400000_NS6detail17trampoline_kernelINS0_14default_configENS1_36segmented_radix_sort_config_selectorIblEEZNS1_25segmented_radix_sort_implIS3_Lb1EPKbPbPKlPlN2at6native12_GLOBAL__N_18offset_tEEE10hipError_tPvRmT1_PNSt15iterator_traitsISK_E10value_typeET2_T3_PNSL_ISQ_E10value_typeET4_jRbjT5_SW_jjP12ihipStream_tbEUlT_E1_NS1_11comp_targetILNS1_3genE10ELNS1_11target_archE1201ELNS1_3gpuE5ELNS1_3repE0EEENS1_59segmented_radix_sort_warp_sort_small_config_static_selectorELNS0_4arch9wavefront6targetE0EEEvSK_
; %bb.0:
	.section	.rodata,"a",@progbits
	.p2align	6, 0x0
	.amdhsa_kernel _ZN7rocprim17ROCPRIM_400000_NS6detail17trampoline_kernelINS0_14default_configENS1_36segmented_radix_sort_config_selectorIblEEZNS1_25segmented_radix_sort_implIS3_Lb1EPKbPbPKlPlN2at6native12_GLOBAL__N_18offset_tEEE10hipError_tPvRmT1_PNSt15iterator_traitsISK_E10value_typeET2_T3_PNSL_ISQ_E10value_typeET4_jRbjT5_SW_jjP12ihipStream_tbEUlT_E1_NS1_11comp_targetILNS1_3genE10ELNS1_11target_archE1201ELNS1_3gpuE5ELNS1_3repE0EEENS1_59segmented_radix_sort_warp_sort_small_config_static_selectorELNS0_4arch9wavefront6targetE0EEEvSK_
		.amdhsa_group_segment_fixed_size 0
		.amdhsa_private_segment_fixed_size 0
		.amdhsa_kernarg_size 88
		.amdhsa_user_sgpr_count 15
		.amdhsa_user_sgpr_dispatch_ptr 0
		.amdhsa_user_sgpr_queue_ptr 0
		.amdhsa_user_sgpr_kernarg_segment_ptr 1
		.amdhsa_user_sgpr_dispatch_id 0
		.amdhsa_user_sgpr_private_segment_size 0
		.amdhsa_wavefront_size32 1
		.amdhsa_uses_dynamic_stack 0
		.amdhsa_enable_private_segment 0
		.amdhsa_system_sgpr_workgroup_id_x 1
		.amdhsa_system_sgpr_workgroup_id_y 0
		.amdhsa_system_sgpr_workgroup_id_z 0
		.amdhsa_system_sgpr_workgroup_info 0
		.amdhsa_system_vgpr_workitem_id 0
		.amdhsa_next_free_vgpr 1
		.amdhsa_next_free_sgpr 1
		.amdhsa_reserve_vcc 0
		.amdhsa_float_round_mode_32 0
		.amdhsa_float_round_mode_16_64 0
		.amdhsa_float_denorm_mode_32 3
		.amdhsa_float_denorm_mode_16_64 3
		.amdhsa_dx10_clamp 1
		.amdhsa_ieee_mode 1
		.amdhsa_fp16_overflow 0
		.amdhsa_workgroup_processor_mode 1
		.amdhsa_memory_ordered 1
		.amdhsa_forward_progress 0
		.amdhsa_shared_vgpr_count 0
		.amdhsa_exception_fp_ieee_invalid_op 0
		.amdhsa_exception_fp_denorm_src 0
		.amdhsa_exception_fp_ieee_div_zero 0
		.amdhsa_exception_fp_ieee_overflow 0
		.amdhsa_exception_fp_ieee_underflow 0
		.amdhsa_exception_fp_ieee_inexact 0
		.amdhsa_exception_int_div_zero 0
	.end_amdhsa_kernel
	.section	.text._ZN7rocprim17ROCPRIM_400000_NS6detail17trampoline_kernelINS0_14default_configENS1_36segmented_radix_sort_config_selectorIblEEZNS1_25segmented_radix_sort_implIS3_Lb1EPKbPbPKlPlN2at6native12_GLOBAL__N_18offset_tEEE10hipError_tPvRmT1_PNSt15iterator_traitsISK_E10value_typeET2_T3_PNSL_ISQ_E10value_typeET4_jRbjT5_SW_jjP12ihipStream_tbEUlT_E1_NS1_11comp_targetILNS1_3genE10ELNS1_11target_archE1201ELNS1_3gpuE5ELNS1_3repE0EEENS1_59segmented_radix_sort_warp_sort_small_config_static_selectorELNS0_4arch9wavefront6targetE0EEEvSK_,"axG",@progbits,_ZN7rocprim17ROCPRIM_400000_NS6detail17trampoline_kernelINS0_14default_configENS1_36segmented_radix_sort_config_selectorIblEEZNS1_25segmented_radix_sort_implIS3_Lb1EPKbPbPKlPlN2at6native12_GLOBAL__N_18offset_tEEE10hipError_tPvRmT1_PNSt15iterator_traitsISK_E10value_typeET2_T3_PNSL_ISQ_E10value_typeET4_jRbjT5_SW_jjP12ihipStream_tbEUlT_E1_NS1_11comp_targetILNS1_3genE10ELNS1_11target_archE1201ELNS1_3gpuE5ELNS1_3repE0EEENS1_59segmented_radix_sort_warp_sort_small_config_static_selectorELNS0_4arch9wavefront6targetE0EEEvSK_,comdat
.Lfunc_end1557:
	.size	_ZN7rocprim17ROCPRIM_400000_NS6detail17trampoline_kernelINS0_14default_configENS1_36segmented_radix_sort_config_selectorIblEEZNS1_25segmented_radix_sort_implIS3_Lb1EPKbPbPKlPlN2at6native12_GLOBAL__N_18offset_tEEE10hipError_tPvRmT1_PNSt15iterator_traitsISK_E10value_typeET2_T3_PNSL_ISQ_E10value_typeET4_jRbjT5_SW_jjP12ihipStream_tbEUlT_E1_NS1_11comp_targetILNS1_3genE10ELNS1_11target_archE1201ELNS1_3gpuE5ELNS1_3repE0EEENS1_59segmented_radix_sort_warp_sort_small_config_static_selectorELNS0_4arch9wavefront6targetE0EEEvSK_, .Lfunc_end1557-_ZN7rocprim17ROCPRIM_400000_NS6detail17trampoline_kernelINS0_14default_configENS1_36segmented_radix_sort_config_selectorIblEEZNS1_25segmented_radix_sort_implIS3_Lb1EPKbPbPKlPlN2at6native12_GLOBAL__N_18offset_tEEE10hipError_tPvRmT1_PNSt15iterator_traitsISK_E10value_typeET2_T3_PNSL_ISQ_E10value_typeET4_jRbjT5_SW_jjP12ihipStream_tbEUlT_E1_NS1_11comp_targetILNS1_3genE10ELNS1_11target_archE1201ELNS1_3gpuE5ELNS1_3repE0EEENS1_59segmented_radix_sort_warp_sort_small_config_static_selectorELNS0_4arch9wavefront6targetE0EEEvSK_
                                        ; -- End function
	.section	.AMDGPU.csdata,"",@progbits
; Kernel info:
; codeLenInByte = 0
; NumSgprs: 0
; NumVgprs: 0
; ScratchSize: 0
; MemoryBound: 0
; FloatMode: 240
; IeeeMode: 1
; LDSByteSize: 0 bytes/workgroup (compile time only)
; SGPRBlocks: 0
; VGPRBlocks: 0
; NumSGPRsForWavesPerEU: 1
; NumVGPRsForWavesPerEU: 1
; Occupancy: 16
; WaveLimiterHint : 0
; COMPUTE_PGM_RSRC2:SCRATCH_EN: 0
; COMPUTE_PGM_RSRC2:USER_SGPR: 15
; COMPUTE_PGM_RSRC2:TRAP_HANDLER: 0
; COMPUTE_PGM_RSRC2:TGID_X_EN: 1
; COMPUTE_PGM_RSRC2:TGID_Y_EN: 0
; COMPUTE_PGM_RSRC2:TGID_Z_EN: 0
; COMPUTE_PGM_RSRC2:TIDIG_COMP_CNT: 0
	.section	.text._ZN7rocprim17ROCPRIM_400000_NS6detail17trampoline_kernelINS0_14default_configENS1_36segmented_radix_sort_config_selectorIblEEZNS1_25segmented_radix_sort_implIS3_Lb1EPKbPbPKlPlN2at6native12_GLOBAL__N_18offset_tEEE10hipError_tPvRmT1_PNSt15iterator_traitsISK_E10value_typeET2_T3_PNSL_ISQ_E10value_typeET4_jRbjT5_SW_jjP12ihipStream_tbEUlT_E1_NS1_11comp_targetILNS1_3genE10ELNS1_11target_archE1200ELNS1_3gpuE4ELNS1_3repE0EEENS1_59segmented_radix_sort_warp_sort_small_config_static_selectorELNS0_4arch9wavefront6targetE0EEEvSK_,"axG",@progbits,_ZN7rocprim17ROCPRIM_400000_NS6detail17trampoline_kernelINS0_14default_configENS1_36segmented_radix_sort_config_selectorIblEEZNS1_25segmented_radix_sort_implIS3_Lb1EPKbPbPKlPlN2at6native12_GLOBAL__N_18offset_tEEE10hipError_tPvRmT1_PNSt15iterator_traitsISK_E10value_typeET2_T3_PNSL_ISQ_E10value_typeET4_jRbjT5_SW_jjP12ihipStream_tbEUlT_E1_NS1_11comp_targetILNS1_3genE10ELNS1_11target_archE1200ELNS1_3gpuE4ELNS1_3repE0EEENS1_59segmented_radix_sort_warp_sort_small_config_static_selectorELNS0_4arch9wavefront6targetE0EEEvSK_,comdat
	.globl	_ZN7rocprim17ROCPRIM_400000_NS6detail17trampoline_kernelINS0_14default_configENS1_36segmented_radix_sort_config_selectorIblEEZNS1_25segmented_radix_sort_implIS3_Lb1EPKbPbPKlPlN2at6native12_GLOBAL__N_18offset_tEEE10hipError_tPvRmT1_PNSt15iterator_traitsISK_E10value_typeET2_T3_PNSL_ISQ_E10value_typeET4_jRbjT5_SW_jjP12ihipStream_tbEUlT_E1_NS1_11comp_targetILNS1_3genE10ELNS1_11target_archE1200ELNS1_3gpuE4ELNS1_3repE0EEENS1_59segmented_radix_sort_warp_sort_small_config_static_selectorELNS0_4arch9wavefront6targetE0EEEvSK_ ; -- Begin function _ZN7rocprim17ROCPRIM_400000_NS6detail17trampoline_kernelINS0_14default_configENS1_36segmented_radix_sort_config_selectorIblEEZNS1_25segmented_radix_sort_implIS3_Lb1EPKbPbPKlPlN2at6native12_GLOBAL__N_18offset_tEEE10hipError_tPvRmT1_PNSt15iterator_traitsISK_E10value_typeET2_T3_PNSL_ISQ_E10value_typeET4_jRbjT5_SW_jjP12ihipStream_tbEUlT_E1_NS1_11comp_targetILNS1_3genE10ELNS1_11target_archE1200ELNS1_3gpuE4ELNS1_3repE0EEENS1_59segmented_radix_sort_warp_sort_small_config_static_selectorELNS0_4arch9wavefront6targetE0EEEvSK_
	.p2align	8
	.type	_ZN7rocprim17ROCPRIM_400000_NS6detail17trampoline_kernelINS0_14default_configENS1_36segmented_radix_sort_config_selectorIblEEZNS1_25segmented_radix_sort_implIS3_Lb1EPKbPbPKlPlN2at6native12_GLOBAL__N_18offset_tEEE10hipError_tPvRmT1_PNSt15iterator_traitsISK_E10value_typeET2_T3_PNSL_ISQ_E10value_typeET4_jRbjT5_SW_jjP12ihipStream_tbEUlT_E1_NS1_11comp_targetILNS1_3genE10ELNS1_11target_archE1200ELNS1_3gpuE4ELNS1_3repE0EEENS1_59segmented_radix_sort_warp_sort_small_config_static_selectorELNS0_4arch9wavefront6targetE0EEEvSK_,@function
_ZN7rocprim17ROCPRIM_400000_NS6detail17trampoline_kernelINS0_14default_configENS1_36segmented_radix_sort_config_selectorIblEEZNS1_25segmented_radix_sort_implIS3_Lb1EPKbPbPKlPlN2at6native12_GLOBAL__N_18offset_tEEE10hipError_tPvRmT1_PNSt15iterator_traitsISK_E10value_typeET2_T3_PNSL_ISQ_E10value_typeET4_jRbjT5_SW_jjP12ihipStream_tbEUlT_E1_NS1_11comp_targetILNS1_3genE10ELNS1_11target_archE1200ELNS1_3gpuE4ELNS1_3repE0EEENS1_59segmented_radix_sort_warp_sort_small_config_static_selectorELNS0_4arch9wavefront6targetE0EEEvSK_: ; @_ZN7rocprim17ROCPRIM_400000_NS6detail17trampoline_kernelINS0_14default_configENS1_36segmented_radix_sort_config_selectorIblEEZNS1_25segmented_radix_sort_implIS3_Lb1EPKbPbPKlPlN2at6native12_GLOBAL__N_18offset_tEEE10hipError_tPvRmT1_PNSt15iterator_traitsISK_E10value_typeET2_T3_PNSL_ISQ_E10value_typeET4_jRbjT5_SW_jjP12ihipStream_tbEUlT_E1_NS1_11comp_targetILNS1_3genE10ELNS1_11target_archE1200ELNS1_3gpuE4ELNS1_3repE0EEENS1_59segmented_radix_sort_warp_sort_small_config_static_selectorELNS0_4arch9wavefront6targetE0EEEvSK_
; %bb.0:
	.section	.rodata,"a",@progbits
	.p2align	6, 0x0
	.amdhsa_kernel _ZN7rocprim17ROCPRIM_400000_NS6detail17trampoline_kernelINS0_14default_configENS1_36segmented_radix_sort_config_selectorIblEEZNS1_25segmented_radix_sort_implIS3_Lb1EPKbPbPKlPlN2at6native12_GLOBAL__N_18offset_tEEE10hipError_tPvRmT1_PNSt15iterator_traitsISK_E10value_typeET2_T3_PNSL_ISQ_E10value_typeET4_jRbjT5_SW_jjP12ihipStream_tbEUlT_E1_NS1_11comp_targetILNS1_3genE10ELNS1_11target_archE1200ELNS1_3gpuE4ELNS1_3repE0EEENS1_59segmented_radix_sort_warp_sort_small_config_static_selectorELNS0_4arch9wavefront6targetE0EEEvSK_
		.amdhsa_group_segment_fixed_size 0
		.amdhsa_private_segment_fixed_size 0
		.amdhsa_kernarg_size 88
		.amdhsa_user_sgpr_count 15
		.amdhsa_user_sgpr_dispatch_ptr 0
		.amdhsa_user_sgpr_queue_ptr 0
		.amdhsa_user_sgpr_kernarg_segment_ptr 1
		.amdhsa_user_sgpr_dispatch_id 0
		.amdhsa_user_sgpr_private_segment_size 0
		.amdhsa_wavefront_size32 1
		.amdhsa_uses_dynamic_stack 0
		.amdhsa_enable_private_segment 0
		.amdhsa_system_sgpr_workgroup_id_x 1
		.amdhsa_system_sgpr_workgroup_id_y 0
		.amdhsa_system_sgpr_workgroup_id_z 0
		.amdhsa_system_sgpr_workgroup_info 0
		.amdhsa_system_vgpr_workitem_id 0
		.amdhsa_next_free_vgpr 1
		.amdhsa_next_free_sgpr 1
		.amdhsa_reserve_vcc 0
		.amdhsa_float_round_mode_32 0
		.amdhsa_float_round_mode_16_64 0
		.amdhsa_float_denorm_mode_32 3
		.amdhsa_float_denorm_mode_16_64 3
		.amdhsa_dx10_clamp 1
		.amdhsa_ieee_mode 1
		.amdhsa_fp16_overflow 0
		.amdhsa_workgroup_processor_mode 1
		.amdhsa_memory_ordered 1
		.amdhsa_forward_progress 0
		.amdhsa_shared_vgpr_count 0
		.amdhsa_exception_fp_ieee_invalid_op 0
		.amdhsa_exception_fp_denorm_src 0
		.amdhsa_exception_fp_ieee_div_zero 0
		.amdhsa_exception_fp_ieee_overflow 0
		.amdhsa_exception_fp_ieee_underflow 0
		.amdhsa_exception_fp_ieee_inexact 0
		.amdhsa_exception_int_div_zero 0
	.end_amdhsa_kernel
	.section	.text._ZN7rocprim17ROCPRIM_400000_NS6detail17trampoline_kernelINS0_14default_configENS1_36segmented_radix_sort_config_selectorIblEEZNS1_25segmented_radix_sort_implIS3_Lb1EPKbPbPKlPlN2at6native12_GLOBAL__N_18offset_tEEE10hipError_tPvRmT1_PNSt15iterator_traitsISK_E10value_typeET2_T3_PNSL_ISQ_E10value_typeET4_jRbjT5_SW_jjP12ihipStream_tbEUlT_E1_NS1_11comp_targetILNS1_3genE10ELNS1_11target_archE1200ELNS1_3gpuE4ELNS1_3repE0EEENS1_59segmented_radix_sort_warp_sort_small_config_static_selectorELNS0_4arch9wavefront6targetE0EEEvSK_,"axG",@progbits,_ZN7rocprim17ROCPRIM_400000_NS6detail17trampoline_kernelINS0_14default_configENS1_36segmented_radix_sort_config_selectorIblEEZNS1_25segmented_radix_sort_implIS3_Lb1EPKbPbPKlPlN2at6native12_GLOBAL__N_18offset_tEEE10hipError_tPvRmT1_PNSt15iterator_traitsISK_E10value_typeET2_T3_PNSL_ISQ_E10value_typeET4_jRbjT5_SW_jjP12ihipStream_tbEUlT_E1_NS1_11comp_targetILNS1_3genE10ELNS1_11target_archE1200ELNS1_3gpuE4ELNS1_3repE0EEENS1_59segmented_radix_sort_warp_sort_small_config_static_selectorELNS0_4arch9wavefront6targetE0EEEvSK_,comdat
.Lfunc_end1558:
	.size	_ZN7rocprim17ROCPRIM_400000_NS6detail17trampoline_kernelINS0_14default_configENS1_36segmented_radix_sort_config_selectorIblEEZNS1_25segmented_radix_sort_implIS3_Lb1EPKbPbPKlPlN2at6native12_GLOBAL__N_18offset_tEEE10hipError_tPvRmT1_PNSt15iterator_traitsISK_E10value_typeET2_T3_PNSL_ISQ_E10value_typeET4_jRbjT5_SW_jjP12ihipStream_tbEUlT_E1_NS1_11comp_targetILNS1_3genE10ELNS1_11target_archE1200ELNS1_3gpuE4ELNS1_3repE0EEENS1_59segmented_radix_sort_warp_sort_small_config_static_selectorELNS0_4arch9wavefront6targetE0EEEvSK_, .Lfunc_end1558-_ZN7rocprim17ROCPRIM_400000_NS6detail17trampoline_kernelINS0_14default_configENS1_36segmented_radix_sort_config_selectorIblEEZNS1_25segmented_radix_sort_implIS3_Lb1EPKbPbPKlPlN2at6native12_GLOBAL__N_18offset_tEEE10hipError_tPvRmT1_PNSt15iterator_traitsISK_E10value_typeET2_T3_PNSL_ISQ_E10value_typeET4_jRbjT5_SW_jjP12ihipStream_tbEUlT_E1_NS1_11comp_targetILNS1_3genE10ELNS1_11target_archE1200ELNS1_3gpuE4ELNS1_3repE0EEENS1_59segmented_radix_sort_warp_sort_small_config_static_selectorELNS0_4arch9wavefront6targetE0EEEvSK_
                                        ; -- End function
	.section	.AMDGPU.csdata,"",@progbits
; Kernel info:
; codeLenInByte = 0
; NumSgprs: 0
; NumVgprs: 0
; ScratchSize: 0
; MemoryBound: 0
; FloatMode: 240
; IeeeMode: 1
; LDSByteSize: 0 bytes/workgroup (compile time only)
; SGPRBlocks: 0
; VGPRBlocks: 0
; NumSGPRsForWavesPerEU: 1
; NumVGPRsForWavesPerEU: 1
; Occupancy: 16
; WaveLimiterHint : 0
; COMPUTE_PGM_RSRC2:SCRATCH_EN: 0
; COMPUTE_PGM_RSRC2:USER_SGPR: 15
; COMPUTE_PGM_RSRC2:TRAP_HANDLER: 0
; COMPUTE_PGM_RSRC2:TGID_X_EN: 1
; COMPUTE_PGM_RSRC2:TGID_Y_EN: 0
; COMPUTE_PGM_RSRC2:TGID_Z_EN: 0
; COMPUTE_PGM_RSRC2:TIDIG_COMP_CNT: 0
	.text
	.p2align	2                               ; -- Begin function _ZN7rocprim17ROCPRIM_400000_NS6detail26segmented_warp_sort_helperINS1_20WarpSortHelperConfigILj8ELj4ELj256EEEblLi256ELb1EvE4sortIPKbPbPKlPlEEvT_T0_T1_T2_jjjjRNS5_12storage_typeE
	.type	_ZN7rocprim17ROCPRIM_400000_NS6detail26segmented_warp_sort_helperINS1_20WarpSortHelperConfigILj8ELj4ELj256EEEblLi256ELb1EvE4sortIPKbPbPKlPlEEvT_T0_T1_T2_jjjjRNS5_12storage_typeE,@function
_ZN7rocprim17ROCPRIM_400000_NS6detail26segmented_warp_sort_helperINS1_20WarpSortHelperConfigILj8ELj4ELj256EEEblLi256ELb1EvE4sortIPKbPbPKlPlEEvT_T0_T1_T2_jjjjRNS5_12storage_typeE: ; @_ZN7rocprim17ROCPRIM_400000_NS6detail26segmented_warp_sort_helperINS1_20WarpSortHelperConfigILj8ELj4ELj256EEEblLi256ELb1EvE4sortIPKbPbPKlPlEEvT_T0_T1_T2_jjjjRNS5_12storage_typeE
; %bb.0:
	s_waitcnt vmcnt(0) expcnt(0) lgkmcnt(0)
	v_mbcnt_lo_u32_b32 v14, -1, 0
	v_add_co_u32 v0, vcc_lo, v0, v8
	v_add_co_ci_u32_e32 v1, vcc_lo, 0, v1, vcc_lo
	s_delay_alu instid0(VALU_DEP_3) | instskip(SKIP_1) | instid1(VALU_DEP_2)
	v_dual_mov_b32 v48, 0 :: v_dual_lshlrev_b32 v81, 2, v14
	v_sub_nc_u32_e32 v14, v9, v8
	v_dual_mov_b32 v83, 0 :: v_dual_and_b32 v30, 28, v81
	s_delay_alu instid0(VALU_DEP_3) | instskip(NEXT) | instid1(VALU_DEP_2)
	v_mov_b32_e32 v9, v48
	v_add_co_u32 v0, vcc_lo, v0, v30
	v_add_co_ci_u32_e32 v1, vcc_lo, 0, v1, vcc_lo
	v_cmp_lt_u32_e32 vcc_lo, v30, v14
	s_and_saveexec_b32 s0, vcc_lo
	s_cbranch_execz .LBB1559_2
; %bb.1:
	flat_load_u8 v83, v[0:1]
.LBB1559_2:
	s_or_b32 exec_lo, exec_lo, s0
	v_or_b32_e32 v15, 1, v30
	s_delay_alu instid0(VALU_DEP_1) | instskip(NEXT) | instid1(VALU_DEP_1)
	v_cmp_lt_u32_e64 s0, v15, v14
	s_and_saveexec_b32 s1, s0
	s_cbranch_execz .LBB1559_4
; %bb.3:
	flat_load_u8 v48, v[0:1] offset:1
.LBB1559_4:
	s_or_b32 exec_lo, exec_lo, s1
	v_or_b32_e32 v15, 2, v30
	v_dual_mov_b32 v82, 0 :: v_dual_mov_b32 v49, 0
	s_delay_alu instid0(VALU_DEP_2) | instskip(NEXT) | instid1(VALU_DEP_1)
	v_cmp_lt_u32_e64 s1, v15, v14
	s_and_saveexec_b32 s2, s1
	s_cbranch_execz .LBB1559_6
; %bb.5:
	flat_load_u8 v49, v[0:1] offset:2
.LBB1559_6:
	s_or_b32 exec_lo, exec_lo, s2
	v_or_b32_e32 v15, 3, v30
	s_delay_alu instid0(VALU_DEP_1) | instskip(NEXT) | instid1(VALU_DEP_1)
	v_cmp_lt_u32_e64 s2, v15, v14
	s_and_saveexec_b32 s3, s2
	s_cbranch_execz .LBB1559_8
; %bb.7:
	flat_load_u8 v82, v[0:1] offset:3
.LBB1559_8:
	s_or_b32 exec_lo, exec_lo, s3
	v_lshlrev_b64 v[0:1], 3, v[8:9]
	v_lshlrev_b32_e32 v80, 3, v30
	; wave barrier
                                        ; implicit-def: $vgpr14_vgpr15
	s_delay_alu instid0(VALU_DEP_2) | instskip(NEXT) | instid1(VALU_DEP_1)
	v_add_co_u32 v4, s3, v4, v0
	v_add_co_ci_u32_e64 v5, s3, v5, v1, s3
	s_delay_alu instid0(VALU_DEP_2) | instskip(NEXT) | instid1(VALU_DEP_1)
	v_add_co_u32 v4, s3, v4, v80
	v_add_co_ci_u32_e64 v5, s3, 0, v5, s3
	s_and_saveexec_b32 s3, vcc_lo
	s_cbranch_execz .LBB1559_10
; %bb.9:
	flat_load_b64 v[14:15], v[4:5]
.LBB1559_10:
	s_or_b32 exec_lo, exec_lo, s3
	s_and_saveexec_b32 s3, s0
                                        ; implicit-def: $vgpr32_vgpr33_vgpr34_vgpr35_vgpr36_vgpr37_vgpr38_vgpr39
                                        ; implicit-def: $vgpr22_vgpr23_vgpr24_vgpr25_vgpr26_vgpr27_vgpr28_vgpr29
	s_cbranch_execz .LBB1559_98
; %bb.11:
	flat_load_b64 v[16:17], v[4:5] offset:8
                                        ; implicit-def: $vgpr32_vgpr33_vgpr34_vgpr35_vgpr36_vgpr37_vgpr38_vgpr39
                                        ; implicit-def: $vgpr22_vgpr23_vgpr24_vgpr25_vgpr26_vgpr27_vgpr28_vgpr29
	s_or_b32 exec_lo, exec_lo, s3
                                        ; implicit-def: $vgpr18_vgpr19
	s_and_saveexec_b32 s3, s1
	s_cbranch_execnz .LBB1559_99
.LBB1559_12:
	s_or_b32 exec_lo, exec_lo, s3
	s_and_saveexec_b32 s3, s2
	s_cbranch_execz .LBB1559_14
.LBB1559_13:
	flat_load_b64 v[28:29], v[4:5] offset:24
	s_waitcnt vmcnt(0) lgkmcnt(0)
	v_dual_mov_b32 v20, v28 :: v_dual_mov_b32 v21, v29
.LBB1559_14:
	s_or_b32 exec_lo, exec_lo, s3
	v_cmp_ne_u32_e64 s3, 0, v10
	v_cmp_ne_u32_e64 s4, 8, v11
	v_bfe_u32 v4, v31, 10, 10
	v_bfe_u32 v9, v31, 20, 10
	v_and_b32_e32 v5, 0x3ff, v31
	s_delay_alu instid0(VALU_DEP_4) | instskip(NEXT) | instid1(SALU_CYCLE_1)
	s_or_b32 s3, s3, s4
	; wave barrier
	s_and_saveexec_b32 s4, s3
	s_delay_alu instid0(SALU_CYCLE_1)
	s_xor_b32 s14, exec_lo, s4
	s_cbranch_execz .LBB1559_58
; %bb.15:
	s_load_b64 s[6:7], s[8:9], 0x0
	v_cmp_ne_u32_e64 s3, 0, v11
	v_cmp_ne_u32_e64 s4, 0, v10
	v_mov_b32_e32 v10, 0
	s_delay_alu instid0(VALU_DEP_2) | instskip(NEXT) | instid1(SALU_CYCLE_1)
	s_xor_b32 s3, s4, s3
	v_cndmask_b32_e64 v31, 0, 1, s3
	s_waitcnt lgkmcnt(0)
	s_cmp_lt_u32 s13, s7
	s_cselect_b32 s4, 14, 20
	s_delay_alu instid0(SALU_CYCLE_1) | instskip(SKIP_4) | instid1(SALU_CYCLE_1)
	s_add_u32 s4, s8, s4
	s_addc_u32 s5, s9, 0
	s_cmp_lt_u32 s12, s6
	global_load_u16 v11, v10, s[4:5]
	s_cselect_b32 s6, 12, 18
	s_add_u32 s4, s8, s6
	s_addc_u32 s5, s9, 0
	global_load_u16 v10, v10, s[4:5]
	s_mov_b32 s5, exec_lo
	s_waitcnt vmcnt(1)
	v_mad_u32_u24 v4, v9, v11, v4
	s_waitcnt vmcnt(0)
	s_delay_alu instid0(VALU_DEP_1) | instskip(NEXT) | instid1(VALU_DEP_1)
	v_mul_lo_u32 v4, v4, v10
	v_add_lshl_u32 v11, v4, v5, 2
	s_delay_alu instid0(VALU_DEP_1)
	v_cmpx_gt_u32_e32 0x400, v11
	s_cbranch_execz .LBB1559_27
; %bb.16:
	v_and_b32_e32 v4, v48, v31
	v_and_b32_e32 v5, v83, v31
	;; [unrolled: 1-line block ×4, first 2 shown]
	s_delay_alu instid0(VALU_DEP_1) | instskip(SKIP_2) | instid1(VALU_DEP_1)
	v_cmp_gt_u16_e64 s4, v9, v18
	v_mov_b32_e32 v9, v49
	v_cmp_gt_u16_e64 s3, v4, v5
	v_cndmask_b32_e64 v5, v17, v15, s3
	v_cndmask_b32_e64 v4, v16, v14, s3
	;; [unrolled: 1-line block ×4, first 2 shown]
	s_and_saveexec_b32 s6, s4
; %bb.17:
	v_dual_mov_b32 v14, v36 :: v_dual_mov_b32 v15, v37
	v_dual_mov_b32 v18, 1 :: v_dual_mov_b32 v37, v29
	;; [unrolled: 1-line block ×3, first 2 shown]
	s_delay_alu instid0(VALU_DEP_3) | instskip(NEXT) | instid1(VALU_DEP_4)
	v_dual_mov_b32 v82, v49 :: v_dual_mov_b32 v29, v15
	v_mov_b32_e32 v28, v14
; %bb.18:
	s_or_b32 exec_lo, exec_lo, s6
	v_cndmask_b32_e64 v34, v48, v83, s3
                                        ; implicit-def: $vgpr33
	s_delay_alu instid0(VALU_DEP_1) | instskip(NEXT) | instid1(VALU_DEP_1)
	v_and_b32_e32 v35, v34, v31
	v_cmp_le_u16_e64 s4, v18, v35
	s_delay_alu instid0(VALU_DEP_1) | instskip(NEXT) | instid1(SALU_CYCLE_1)
	s_and_saveexec_b32 s6, s4
	s_xor_b32 s4, exec_lo, s6
                                        ; implicit-def: $vgpr48_vgpr49_vgpr50_vgpr51_vgpr52_vgpr53_vgpr54_vgpr55
                                        ; implicit-def: $vgpr64_vgpr65_vgpr66_vgpr67_vgpr68_vgpr69_vgpr70_vgpr71
                                        ; implicit-def: $vgpr14_vgpr15_vgpr16_vgpr17_vgpr18_vgpr19_vgpr20_vgpr21
; %bb.19:
	v_dual_mov_b32 v50, v4 :: v_dual_mov_b32 v67, v5
	v_dual_mov_b32 v4, v36 :: v_dual_mov_b32 v5, v37
	;; [unrolled: 1-line block ×3, first 2 shown]
	v_and_b32_e32 v33, v9, v31
                                        ; implicit-def: $vgpr36_vgpr37
                                        ; implicit-def: $vgpr22_vgpr23_vgpr24_vgpr25_vgpr26_vgpr27_vgpr28_vgpr29
; %bb.20:
	s_or_saveexec_b32 s4, s4
	v_mov_b32_e32 v18, v34
	s_xor_b32 exec_lo, exec_lo, s4
; %bb.21:
	v_dual_mov_b32 v50, v36 :: v_dual_mov_b32 v67, v37
	v_dual_mov_b32 v20, v28 :: v_dual_mov_b32 v21, v29
	;; [unrolled: 1-line block ×3, first 2 shown]
	v_mov_b32_e32 v35, 1
	v_mov_b32_e32 v9, v34
; %bb.22:
	s_or_b32 exec_lo, exec_lo, s4
	v_cndmask_b32_e64 v19, v83, 1, s3
	s_delay_alu instid0(VALU_DEP_3) | instskip(SKIP_2) | instid1(VALU_DEP_4)
	v_and_b32_e32 v14, 0xff, v35
	v_and_b32_e32 v16, v82, v31
	v_dual_mov_b32 v22, v9 :: v_dual_and_b32 v17, 0xff, v33
	v_and_b32_e32 v15, v19, v31
	s_delay_alu instid0(VALU_DEP_2) | instskip(NEXT) | instid1(VALU_DEP_2)
	v_cmp_gt_u16_e64 s4, v16, v17
	v_cmp_gt_u16_e64 s3, v14, v15
	s_delay_alu instid0(VALU_DEP_1)
	v_cndmask_b32_e64 v17, v67, v32, s3
	v_cndmask_b32_e64 v16, v50, v10, s3
	;; [unrolled: 1-line block ×4, first 2 shown]
	s_and_saveexec_b32 s6, s4
; %bb.23:
	v_dual_mov_b32 v24, v5 :: v_dual_mov_b32 v23, v4
	v_dual_mov_b32 v4, v20 :: v_dual_mov_b32 v5, v21
	;; [unrolled: 1-line block ×3, first 2 shown]
	s_delay_alu instid0(VALU_DEP_3) | instskip(NEXT) | instid1(VALU_DEP_4)
	v_mov_b32_e32 v20, v23
	v_dual_mov_b32 v82, v9 :: v_dual_mov_b32 v21, v24
; %bb.24:
	s_or_b32 exec_lo, exec_lo, s6
	v_cndmask_b32_e64 v48, v18, v19, s3
	v_dual_mov_b32 v10, v5 :: v_dual_and_b32 v23, 0xff, v33
	v_mov_b32_e32 v9, v4
	s_mov_b32 s6, exec_lo
	s_delay_alu instid0(VALU_DEP_3) | instskip(NEXT) | instid1(VALU_DEP_1)
	v_dual_mov_b32 v49, v22 :: v_dual_and_b32 v24, v48, v31
	v_cmpx_gt_u16_e64 v23, v24
; %bb.25:
	v_dual_mov_b32 v9, v16 :: v_dual_mov_b32 v10, v17
	v_dual_mov_b32 v17, v5 :: v_dual_mov_b32 v16, v4
	;; [unrolled: 1-line block ×3, first 2 shown]
; %bb.26:
	s_or_b32 exec_lo, exec_lo, s6
	v_cndmask_b32_e64 v83, v19, v18, s3
	v_dual_mov_b32 v19, v10 :: v_dual_mov_b32 v18, v9
.LBB1559_27:
	s_or_b32 exec_lo, exec_lo, s5
	v_and_b32_e32 v11, 0xffffff80, v11
	v_lshlrev_b16 v22, 8, v48
	v_and_b32_e32 v23, 0xff, v83
	v_lshlrev_b16 v24, 8, v82
	v_and_b32_e32 v25, 0xff, v49
	v_add_co_u32 v9, s3, v12, v11
	s_delay_alu instid0(VALU_DEP_1) | instskip(SKIP_3) | instid1(VALU_DEP_4)
	v_add_co_ci_u32_e64 v10, s3, 0, v13, s3
	v_or_b32_e32 v12, 4, v81
	v_sub_nc_u32_e64 v13, 0x400, v11 clamp
	v_lshlrev_b32_e32 v32, 3, v81
	v_mad_u64_u32 v[4:5], null, v11, 7, v[9:10]
	v_or_b32_e32 v22, v23, v22
	s_delay_alu instid0(VALU_DEP_4)
	v_min_u32_e32 v26, v13, v12
	v_or_b32_e32 v23, v25, v24
	v_and_b32_e32 v24, 4, v81
	v_and_b32_e32 v28, 0x78, v81
	v_add_co_u32 v11, s3, v9, v81
	v_add_nc_u32_e32 v27, 4, v26
	v_add_co_ci_u32_e64 v12, s3, 0, v10, s3
	v_and_b32_e32 v25, 0xffff, v22
	v_lshlrev_b32_e32 v33, 16, v23
	s_delay_alu instid0(VALU_DEP_4) | instskip(SKIP_3) | instid1(VALU_DEP_4)
	v_min_u32_e32 v27, v13, v27
	v_min_u32_e32 v29, v13, v24
	v_sub_nc_u32_e32 v24, v26, v28
	v_add_co_u32 v22, s3, v4, v32
	v_sub_nc_u32_e32 v34, v27, v26
	v_add_co_ci_u32_e64 v23, s3, 0, v5, s3
	v_or_b32_e32 v35, v25, v33
	v_min_u32_e32 v33, v29, v24
	v_add_co_u32 v24, s3, 0x400, v22
	v_sub_nc_u32_e64 v32, v29, v34 clamp
	v_add_co_ci_u32_e64 v25, s3, 0, v23, s3
	s_mov_b32 s4, exec_lo
	s_clause 0x2
	flat_store_b128 v[22:23], v[14:17] offset:1024
	flat_store_b32 v[11:12], v35
	flat_store_b128 v[22:23], v[18:21] offset:1040
	; wave barrier
	v_cmpx_lt_u32_e64 v32, v33
	s_cbranch_execz .LBB1559_31
; %bb.28:
	v_add_co_u32 v34, s3, v9, v28
	s_delay_alu instid0(VALU_DEP_1) | instskip(SKIP_1) | instid1(VALU_DEP_1)
	v_add_co_ci_u32_e64 v35, s3, 0, v10, s3
	v_add_co_u32 v36, s3, v9, v26
	v_add_co_ci_u32_e64 v37, s3, 0, v10, s3
	s_mov_b32 s5, 0
	.p2align	6
.LBB1559_29:                            ; =>This Inner Loop Header: Depth=1
	v_add_nc_u32_e32 v38, v33, v32
	s_delay_alu instid0(VALU_DEP_1) | instskip(NEXT) | instid1(VALU_DEP_1)
	v_lshrrev_b32_e32 v52, 1, v38
	v_xad_u32 v50, v52, -1, v29
	v_add_co_u32 v38, s3, v34, v52
	s_delay_alu instid0(VALU_DEP_1) | instskip(NEXT) | instid1(VALU_DEP_3)
	v_add_co_ci_u32_e64 v39, s3, 0, v35, s3
	v_add_co_u32 v50, s3, v36, v50
	s_delay_alu instid0(VALU_DEP_1)
	v_add_co_ci_u32_e64 v51, s3, 0, v37, s3
	s_clause 0x1
	flat_load_u8 v38, v[38:39]
	flat_load_u8 v39, v[50:51]
	v_add_nc_u32_e32 v50, 1, v52
	s_waitcnt vmcnt(1) lgkmcnt(1)
	v_and_b32_e32 v38, v38, v31
	s_waitcnt vmcnt(0) lgkmcnt(0)
	v_and_b32_e32 v39, v39, v31
	s_delay_alu instid0(VALU_DEP_1) | instskip(NEXT) | instid1(VALU_DEP_1)
	v_cmp_gt_u16_e64 s3, v39, v38
	v_cndmask_b32_e64 v33, v33, v52, s3
	v_cndmask_b32_e64 v32, v50, v32, s3
	s_delay_alu instid0(VALU_DEP_1) | instskip(NEXT) | instid1(VALU_DEP_1)
	v_cmp_ge_u32_e64 s3, v32, v33
	s_or_b32 s5, s3, s5
	s_delay_alu instid0(SALU_CYCLE_1)
	s_and_not1_b32 exec_lo, exec_lo, s5
	s_cbranch_execnz .LBB1559_29
; %bb.30:
	s_or_b32 exec_lo, exec_lo, s5
.LBB1559_31:
	s_delay_alu instid0(SALU_CYCLE_1) | instskip(SKIP_2) | instid1(VALU_DEP_2)
	s_or_b32 exec_lo, exec_lo, s4
	v_add_nc_u32_e32 v29, v26, v29
	v_add_nc_u32_e32 v33, v32, v28
	v_sub_nc_u32_e32 v32, v29, v32
	s_delay_alu instid0(VALU_DEP_2) | instskip(NEXT) | instid1(VALU_DEP_2)
	v_cmp_le_u32_e64 s3, v33, v26
	v_cmp_le_u32_e64 s4, v32, v27
	s_delay_alu instid0(VALU_DEP_1) | instskip(NEXT) | instid1(SALU_CYCLE_1)
	s_or_b32 s3, s3, s4
	s_and_saveexec_b32 s15, s3
	s_cbranch_execz .LBB1559_37
; %bb.32:
	v_cmp_lt_u32_e64 s3, v33, v26
                                        ; implicit-def: $vgpr28
	s_delay_alu instid0(VALU_DEP_1)
	s_and_saveexec_b32 s5, s3
	s_cbranch_execz .LBB1559_34
; %bb.33:
	v_add_co_u32 v14, s4, v9, v33
	s_delay_alu instid0(VALU_DEP_1)
	v_add_co_ci_u32_e64 v15, s4, 0, v10, s4
	flat_load_u8 v28, v[14:15]
.LBB1559_34:
	s_or_b32 exec_lo, exec_lo, s5
	v_cmp_ge_u32_e64 s4, v32, v27
	s_mov_b32 s6, exec_lo
                                        ; implicit-def: $vgpr29
	v_cmpx_lt_u32_e64 v32, v27
	s_cbranch_execz .LBB1559_36
; %bb.35:
	v_add_co_u32 v14, s5, v9, v32
	s_delay_alu instid0(VALU_DEP_1)
	v_add_co_ci_u32_e64 v15, s5, 0, v10, s5
	flat_load_u8 v29, v[14:15]
.LBB1559_36:
	s_or_b32 exec_lo, exec_lo, s6
	s_waitcnt vmcnt(0) lgkmcnt(0)
	v_and_b32_e32 v14, v29, v31
	v_and_b32_e32 v15, v28, v31
	s_delay_alu instid0(VALU_DEP_1) | instskip(NEXT) | instid1(VALU_DEP_1)
	v_cmp_le_u16_e64 s5, v14, v15
	s_and_b32 s3, s3, s5
	s_delay_alu instid0(SALU_CYCLE_1) | instskip(NEXT) | instid1(SALU_CYCLE_1)
	s_or_b32 s3, s4, s3
	v_cndmask_b32_e64 v14, v32, v33, s3
	v_cndmask_b32_e64 v15, v27, v26, s3
	;; [unrolled: 1-line block ×3, first 2 shown]
	s_delay_alu instid0(VALU_DEP_3) | instskip(NEXT) | instid1(VALU_DEP_3)
	v_add_nc_u32_e32 v17, 1, v14
	v_add_nc_u32_e32 v15, -1, v15
	s_delay_alu instid0(VALU_DEP_2) | instskip(NEXT) | instid1(VALU_DEP_2)
	v_cndmask_b32_e64 v20, v33, v17, s3
	v_min_u32_e32 v15, v17, v15
	v_cndmask_b32_e64 v21, v17, v32, s3
	s_delay_alu instid0(VALU_DEP_2) | instskip(NEXT) | instid1(VALU_DEP_1)
	v_add_co_u32 v15, s4, v9, v15
	v_add_co_ci_u32_e64 v16, s4, 0, v10, s4
	v_cmp_lt_u32_e64 s4, v20, v26
	s_delay_alu instid0(VALU_DEP_4) | instskip(SKIP_4) | instid1(VALU_DEP_2)
	v_cmp_ge_u32_e64 s6, v21, v27
	flat_load_u8 v15, v[15:16]
	s_waitcnt vmcnt(0) lgkmcnt(0)
	v_cndmask_b32_e64 v34, v15, v29, s3
	v_cndmask_b32_e64 v35, v28, v15, s3
	v_and_b32_e32 v15, v34, v31
	s_delay_alu instid0(VALU_DEP_2) | instskip(NEXT) | instid1(VALU_DEP_1)
	v_and_b32_e32 v16, v35, v31
	v_cmp_le_u16_e64 s5, v15, v16
	v_mov_b32_e32 v15, 0
	s_delay_alu instid0(VALU_DEP_2) | instskip(NEXT) | instid1(VALU_DEP_1)
	s_and_b32 s4, s5, s4
	v_lshlrev_b64 v[16:17], 3, v[14:15]
	s_or_b32 s4, s6, s4
	s_delay_alu instid0(SALU_CYCLE_1) | instskip(SKIP_2) | instid1(VALU_DEP_4)
	v_cndmask_b32_e64 v14, v21, v20, s4
	v_cndmask_b32_e64 v18, v27, v26, s4
	;; [unrolled: 1-line block ×3, first 2 shown]
	v_add_co_u32 v16, s11, v4, v16
	s_delay_alu instid0(VALU_DEP_4) | instskip(NEXT) | instid1(VALU_DEP_4)
	v_add_nc_u32_e32 v32, 1, v14
	v_add_nc_u32_e32 v18, -1, v18
	v_add_co_ci_u32_e64 v17, s11, v5, v17, s11
	s_delay_alu instid0(VALU_DEP_3) | instskip(NEXT) | instid1(VALU_DEP_3)
	v_cndmask_b32_e64 v37, v20, v32, s4
	v_min_u32_e32 v18, v32, v18
	v_cndmask_b32_e64 v32, v32, v21, s4
	s_delay_alu instid0(VALU_DEP_2) | instskip(NEXT) | instid1(VALU_DEP_1)
	v_add_co_u32 v18, s5, v9, v18
	v_add_co_ci_u32_e64 v19, s5, 0, v10, s5
	v_cmp_lt_u32_e64 s5, v37, v26
	s_delay_alu instid0(VALU_DEP_4) | instskip(SKIP_4) | instid1(VALU_DEP_2)
	v_cmp_ge_u32_e64 s7, v32, v27
	flat_load_u8 v18, v[18:19]
	s_waitcnt vmcnt(0) lgkmcnt(0)
	v_cndmask_b32_e64 v33, v18, v34, s4
	v_cndmask_b32_e64 v36, v35, v18, s4
	v_and_b32_e32 v18, v33, v31
	s_delay_alu instid0(VALU_DEP_2) | instskip(NEXT) | instid1(VALU_DEP_1)
	v_and_b32_e32 v19, v36, v31
	v_cmp_le_u16_e64 s6, v18, v19
	v_lshlrev_b64 v[18:19], 3, v[14:15]
	s_delay_alu instid0(VALU_DEP_2) | instskip(NEXT) | instid1(SALU_CYCLE_1)
	s_and_b32 s5, s6, s5
	s_or_b32 s5, s7, s5
	s_delay_alu instid0(SALU_CYCLE_1) | instskip(SKIP_2) | instid1(VALU_DEP_3)
	v_cndmask_b32_e64 v14, v32, v37, s5
	v_cndmask_b32_e64 v20, v27, v26, s5
	;; [unrolled: 1-line block ×3, first 2 shown]
	v_add_nc_u32_e32 v38, 1, v14
	s_delay_alu instid0(VALU_DEP_3) | instskip(NEXT) | instid1(VALU_DEP_2)
	v_add_nc_u32_e32 v20, -1, v20
	v_cndmask_b32_e64 v37, v37, v38, s5
	s_delay_alu instid0(VALU_DEP_2) | instskip(SKIP_1) | instid1(VALU_DEP_3)
	v_min_u32_e32 v20, v38, v20
	v_cndmask_b32_e64 v32, v38, v32, s5
	v_cmp_lt_u32_e64 s7, v37, v26
	s_delay_alu instid0(VALU_DEP_3) | instskip(NEXT) | instid1(VALU_DEP_1)
	v_add_co_u32 v20, s6, v9, v20
	v_add_co_ci_u32_e64 v21, s6, 0, v10, s6
	s_delay_alu instid0(VALU_DEP_4) | instskip(SKIP_4) | instid1(VALU_DEP_2)
	v_cmp_ge_u32_e64 s6, v32, v27
	flat_load_u8 v20, v[20:21]
	s_waitcnt vmcnt(0) lgkmcnt(0)
	v_cndmask_b32_e64 v39, v20, v33, s5
	v_cndmask_b32_e64 v50, v36, v20, s5
	v_and_b32_e32 v20, v39, v31
	s_delay_alu instid0(VALU_DEP_2) | instskip(NEXT) | instid1(VALU_DEP_1)
	v_and_b32_e32 v21, v50, v31
	v_cmp_le_u16_e64 s10, v20, v21
	v_lshlrev_b64 v[20:21], 3, v[14:15]
	s_delay_alu instid0(VALU_DEP_2) | instskip(NEXT) | instid1(SALU_CYCLE_1)
	s_and_b32 s7, s10, s7
	s_or_b32 s6, s6, s7
	v_add_co_u32 v18, s7, v4, v18
	v_cndmask_b32_e64 v14, v32, v37, s6
	v_add_co_ci_u32_e64 v19, s7, v5, v19, s7
	v_add_co_u32 v20, s7, v4, v20
	s_delay_alu instid0(VALU_DEP_3) | instskip(SKIP_2) | instid1(VALU_DEP_3)
	v_lshlrev_b64 v[14:15], 3, v[14:15]
	v_add_co_ci_u32_e64 v21, s7, v5, v21, s7
	v_cndmask_b32_e64 v82, v39, v50, s6
	v_add_co_u32 v26, s7, v4, v14
	s_delay_alu instid0(VALU_DEP_1)
	v_add_co_ci_u32_e64 v27, s7, v5, v15, s7
	s_clause 0x3
	flat_load_b64 v[14:15], v[16:17] offset:1024
	flat_load_b64 v[16:17], v[18:19] offset:1024
	;; [unrolled: 1-line block ×4, first 2 shown]
.LBB1559_37:
	s_or_b32 exec_lo, exec_lo, s15
	v_and_b32_e32 v28, 0x70, v81
	v_lshlrev_b16 v29, 8, v48
	v_and_b32_e32 v32, 0xff, v83
	v_lshlrev_b16 v33, 8, v82
	v_and_b32_e32 v34, 0xff, v49
	v_or_b32_e32 v26, 8, v28
	v_and_b32_e32 v35, 12, v81
	v_or_b32_e32 v32, v32, v29
	s_mov_b32 s4, exec_lo
	v_or_b32_e32 v33, v34, v33
	v_min_u32_e32 v26, v13, v26
	v_min_u32_e32 v29, v13, v35
	v_and_b32_e32 v36, 0xffff, v32
	s_delay_alu instid0(VALU_DEP_4) | instskip(NEXT) | instid1(VALU_DEP_4)
	v_lshlrev_b32_e32 v37, 16, v33
	v_add_nc_u32_e32 v27, 8, v26
	v_sub_nc_u32_e32 v34, v26, v28
	; wave barrier
	s_delay_alu instid0(VALU_DEP_2) | instskip(NEXT) | instid1(VALU_DEP_2)
	v_min_u32_e32 v27, v13, v27
	v_min_u32_e32 v33, v29, v34
	v_or_b32_e32 v34, v36, v37
	s_waitcnt vmcnt(2) lgkmcnt(2)
	s_clause 0x1
	flat_store_b128 v[22:23], v[14:17] offset:1024
	flat_store_b32 v[11:12], v34
	s_waitcnt vmcnt(0) lgkmcnt(2)
	flat_store_b128 v[24:25], v[18:21] offset:16
	v_sub_nc_u32_e32 v35, v27, v26
	; wave barrier
	s_delay_alu instid0(VALU_DEP_1) | instskip(NEXT) | instid1(VALU_DEP_1)
	v_sub_nc_u32_e64 v32, v29, v35 clamp
	v_cmpx_lt_u32_e64 v32, v33
	s_cbranch_execz .LBB1559_41
; %bb.38:
	v_add_co_u32 v34, s3, v9, v28
	s_delay_alu instid0(VALU_DEP_1) | instskip(SKIP_1) | instid1(VALU_DEP_1)
	v_add_co_ci_u32_e64 v35, s3, 0, v10, s3
	v_add_co_u32 v36, s3, v9, v26
	v_add_co_ci_u32_e64 v37, s3, 0, v10, s3
	s_mov_b32 s5, 0
	.p2align	6
.LBB1559_39:                            ; =>This Inner Loop Header: Depth=1
	v_add_nc_u32_e32 v38, v33, v32
	s_delay_alu instid0(VALU_DEP_1) | instskip(NEXT) | instid1(VALU_DEP_1)
	v_lshrrev_b32_e32 v52, 1, v38
	v_xad_u32 v50, v52, -1, v29
	v_add_co_u32 v38, s3, v34, v52
	s_delay_alu instid0(VALU_DEP_1) | instskip(NEXT) | instid1(VALU_DEP_3)
	v_add_co_ci_u32_e64 v39, s3, 0, v35, s3
	v_add_co_u32 v50, s3, v36, v50
	s_delay_alu instid0(VALU_DEP_1)
	v_add_co_ci_u32_e64 v51, s3, 0, v37, s3
	s_clause 0x1
	flat_load_u8 v38, v[38:39]
	flat_load_u8 v39, v[50:51]
	v_add_nc_u32_e32 v50, 1, v52
	s_waitcnt vmcnt(1) lgkmcnt(1)
	v_and_b32_e32 v38, v38, v31
	s_waitcnt vmcnt(0) lgkmcnt(0)
	v_and_b32_e32 v39, v39, v31
	s_delay_alu instid0(VALU_DEP_1) | instskip(NEXT) | instid1(VALU_DEP_1)
	v_cmp_gt_u16_e64 s3, v39, v38
	v_cndmask_b32_e64 v33, v33, v52, s3
	v_cndmask_b32_e64 v32, v50, v32, s3
	s_delay_alu instid0(VALU_DEP_1) | instskip(NEXT) | instid1(VALU_DEP_1)
	v_cmp_ge_u32_e64 s3, v32, v33
	s_or_b32 s5, s3, s5
	s_delay_alu instid0(SALU_CYCLE_1)
	s_and_not1_b32 exec_lo, exec_lo, s5
	s_cbranch_execnz .LBB1559_39
; %bb.40:
	s_or_b32 exec_lo, exec_lo, s5
.LBB1559_41:
	s_delay_alu instid0(SALU_CYCLE_1) | instskip(SKIP_2) | instid1(VALU_DEP_2)
	s_or_b32 exec_lo, exec_lo, s4
	v_add_nc_u32_e32 v29, v26, v29
	v_add_nc_u32_e32 v33, v32, v28
	v_sub_nc_u32_e32 v32, v29, v32
	s_delay_alu instid0(VALU_DEP_2) | instskip(NEXT) | instid1(VALU_DEP_2)
	v_cmp_le_u32_e64 s3, v33, v26
	v_cmp_le_u32_e64 s4, v32, v27
	s_delay_alu instid0(VALU_DEP_1) | instskip(NEXT) | instid1(SALU_CYCLE_1)
	s_or_b32 s3, s3, s4
	s_and_saveexec_b32 s15, s3
	s_cbranch_execz .LBB1559_47
; %bb.42:
	v_cmp_lt_u32_e64 s3, v33, v26
                                        ; implicit-def: $vgpr28
	s_delay_alu instid0(VALU_DEP_1)
	s_and_saveexec_b32 s5, s3
	s_cbranch_execz .LBB1559_44
; %bb.43:
	v_add_co_u32 v14, s4, v9, v33
	s_delay_alu instid0(VALU_DEP_1)
	v_add_co_ci_u32_e64 v15, s4, 0, v10, s4
	flat_load_u8 v28, v[14:15]
.LBB1559_44:
	s_or_b32 exec_lo, exec_lo, s5
	v_cmp_ge_u32_e64 s4, v32, v27
	s_mov_b32 s6, exec_lo
                                        ; implicit-def: $vgpr29
	v_cmpx_lt_u32_e64 v32, v27
	s_cbranch_execz .LBB1559_46
; %bb.45:
	v_add_co_u32 v14, s5, v9, v32
	s_delay_alu instid0(VALU_DEP_1)
	v_add_co_ci_u32_e64 v15, s5, 0, v10, s5
	flat_load_u8 v29, v[14:15]
.LBB1559_46:
	s_or_b32 exec_lo, exec_lo, s6
	s_waitcnt vmcnt(0) lgkmcnt(0)
	v_and_b32_e32 v14, v29, v31
	v_and_b32_e32 v15, v28, v31
	s_delay_alu instid0(VALU_DEP_1) | instskip(NEXT) | instid1(VALU_DEP_1)
	v_cmp_le_u16_e64 s5, v14, v15
	s_and_b32 s3, s3, s5
	s_delay_alu instid0(SALU_CYCLE_1) | instskip(NEXT) | instid1(SALU_CYCLE_1)
	s_or_b32 s3, s4, s3
	v_cndmask_b32_e64 v14, v32, v33, s3
	v_cndmask_b32_e64 v15, v27, v26, s3
	;; [unrolled: 1-line block ×3, first 2 shown]
	s_delay_alu instid0(VALU_DEP_3) | instskip(NEXT) | instid1(VALU_DEP_3)
	v_add_nc_u32_e32 v17, 1, v14
	v_add_nc_u32_e32 v15, -1, v15
	s_delay_alu instid0(VALU_DEP_2) | instskip(NEXT) | instid1(VALU_DEP_2)
	v_cndmask_b32_e64 v20, v33, v17, s3
	v_min_u32_e32 v15, v17, v15
	v_cndmask_b32_e64 v21, v17, v32, s3
	s_delay_alu instid0(VALU_DEP_2) | instskip(NEXT) | instid1(VALU_DEP_1)
	v_add_co_u32 v15, s4, v9, v15
	v_add_co_ci_u32_e64 v16, s4, 0, v10, s4
	v_cmp_lt_u32_e64 s4, v20, v26
	s_delay_alu instid0(VALU_DEP_4) | instskip(SKIP_4) | instid1(VALU_DEP_2)
	v_cmp_ge_u32_e64 s6, v21, v27
	flat_load_u8 v15, v[15:16]
	s_waitcnt vmcnt(0) lgkmcnt(0)
	v_cndmask_b32_e64 v34, v15, v29, s3
	v_cndmask_b32_e64 v35, v28, v15, s3
	v_and_b32_e32 v15, v34, v31
	s_delay_alu instid0(VALU_DEP_2) | instskip(NEXT) | instid1(VALU_DEP_1)
	v_and_b32_e32 v16, v35, v31
	v_cmp_le_u16_e64 s5, v15, v16
	v_mov_b32_e32 v15, 0
	s_delay_alu instid0(VALU_DEP_2) | instskip(NEXT) | instid1(VALU_DEP_1)
	s_and_b32 s4, s5, s4
	v_lshlrev_b64 v[16:17], 3, v[14:15]
	s_or_b32 s4, s6, s4
	s_delay_alu instid0(SALU_CYCLE_1) | instskip(SKIP_2) | instid1(VALU_DEP_4)
	v_cndmask_b32_e64 v14, v21, v20, s4
	v_cndmask_b32_e64 v18, v27, v26, s4
	;; [unrolled: 1-line block ×3, first 2 shown]
	v_add_co_u32 v16, s11, v4, v16
	s_delay_alu instid0(VALU_DEP_4) | instskip(NEXT) | instid1(VALU_DEP_4)
	v_add_nc_u32_e32 v32, 1, v14
	v_add_nc_u32_e32 v18, -1, v18
	v_add_co_ci_u32_e64 v17, s11, v5, v17, s11
	s_delay_alu instid0(VALU_DEP_3) | instskip(NEXT) | instid1(VALU_DEP_3)
	v_cndmask_b32_e64 v37, v20, v32, s4
	v_min_u32_e32 v18, v32, v18
	v_cndmask_b32_e64 v32, v32, v21, s4
	s_delay_alu instid0(VALU_DEP_2) | instskip(NEXT) | instid1(VALU_DEP_1)
	v_add_co_u32 v18, s5, v9, v18
	v_add_co_ci_u32_e64 v19, s5, 0, v10, s5
	v_cmp_lt_u32_e64 s5, v37, v26
	s_delay_alu instid0(VALU_DEP_4) | instskip(SKIP_4) | instid1(VALU_DEP_2)
	v_cmp_ge_u32_e64 s7, v32, v27
	flat_load_u8 v18, v[18:19]
	s_waitcnt vmcnt(0) lgkmcnt(0)
	v_cndmask_b32_e64 v33, v18, v34, s4
	v_cndmask_b32_e64 v36, v35, v18, s4
	v_and_b32_e32 v18, v33, v31
	s_delay_alu instid0(VALU_DEP_2) | instskip(NEXT) | instid1(VALU_DEP_1)
	v_and_b32_e32 v19, v36, v31
	v_cmp_le_u16_e64 s6, v18, v19
	v_lshlrev_b64 v[18:19], 3, v[14:15]
	s_delay_alu instid0(VALU_DEP_2) | instskip(NEXT) | instid1(SALU_CYCLE_1)
	s_and_b32 s5, s6, s5
	s_or_b32 s5, s7, s5
	s_delay_alu instid0(SALU_CYCLE_1) | instskip(SKIP_2) | instid1(VALU_DEP_3)
	v_cndmask_b32_e64 v14, v32, v37, s5
	v_cndmask_b32_e64 v20, v27, v26, s5
	v_cndmask_b32_e64 v49, v33, v36, s5
	v_add_nc_u32_e32 v38, 1, v14
	s_delay_alu instid0(VALU_DEP_3) | instskip(NEXT) | instid1(VALU_DEP_2)
	v_add_nc_u32_e32 v20, -1, v20
	v_cndmask_b32_e64 v37, v37, v38, s5
	s_delay_alu instid0(VALU_DEP_2) | instskip(SKIP_1) | instid1(VALU_DEP_3)
	v_min_u32_e32 v20, v38, v20
	v_cndmask_b32_e64 v32, v38, v32, s5
	v_cmp_lt_u32_e64 s7, v37, v26
	s_delay_alu instid0(VALU_DEP_3) | instskip(NEXT) | instid1(VALU_DEP_1)
	v_add_co_u32 v20, s6, v9, v20
	v_add_co_ci_u32_e64 v21, s6, 0, v10, s6
	s_delay_alu instid0(VALU_DEP_4) | instskip(SKIP_4) | instid1(VALU_DEP_2)
	v_cmp_ge_u32_e64 s6, v32, v27
	flat_load_u8 v20, v[20:21]
	s_waitcnt vmcnt(0) lgkmcnt(0)
	v_cndmask_b32_e64 v39, v20, v33, s5
	v_cndmask_b32_e64 v50, v36, v20, s5
	v_and_b32_e32 v20, v39, v31
	s_delay_alu instid0(VALU_DEP_2) | instskip(NEXT) | instid1(VALU_DEP_1)
	v_and_b32_e32 v21, v50, v31
	v_cmp_le_u16_e64 s10, v20, v21
	v_lshlrev_b64 v[20:21], 3, v[14:15]
	s_delay_alu instid0(VALU_DEP_2) | instskip(NEXT) | instid1(SALU_CYCLE_1)
	s_and_b32 s7, s10, s7
	s_or_b32 s6, s6, s7
	v_add_co_u32 v18, s7, v4, v18
	v_cndmask_b32_e64 v14, v32, v37, s6
	v_add_co_ci_u32_e64 v19, s7, v5, v19, s7
	v_add_co_u32 v20, s7, v4, v20
	s_delay_alu instid0(VALU_DEP_3) | instskip(SKIP_2) | instid1(VALU_DEP_3)
	v_lshlrev_b64 v[14:15], 3, v[14:15]
	v_add_co_ci_u32_e64 v21, s7, v5, v21, s7
	v_cndmask_b32_e64 v82, v39, v50, s6
	v_add_co_u32 v26, s7, v4, v14
	s_delay_alu instid0(VALU_DEP_1)
	v_add_co_ci_u32_e64 v27, s7, v5, v15, s7
	s_clause 0x3
	flat_load_b64 v[14:15], v[16:17] offset:1024
	flat_load_b64 v[16:17], v[18:19] offset:1024
	flat_load_b64 v[18:19], v[20:21] offset:1024
	flat_load_b64 v[20:21], v[26:27] offset:1024
.LBB1559_47:
	s_or_b32 exec_lo, exec_lo, s15
	v_and_b32_e32 v28, 0x60, v81
	v_lshlrev_b16 v29, 8, v48
	v_and_b32_e32 v32, 0xff, v83
	v_lshlrev_b16 v33, 8, v82
	v_and_b32_e32 v34, 0xff, v49
	v_or_b32_e32 v26, 16, v28
	s_mov_b32 s4, exec_lo
	v_or_b32_e32 v29, v32, v29
	s_delay_alu instid0(VALU_DEP_3) | instskip(NEXT) | instid1(VALU_DEP_3)
	v_or_b32_e32 v32, v34, v33
	v_min_u32_e32 v26, v13, v26
	; wave barrier
	s_delay_alu instid0(VALU_DEP_3) | instskip(NEXT) | instid1(VALU_DEP_3)
	v_and_b32_e32 v35, 0xffff, v29
	v_lshlrev_b32_e32 v36, 16, v32
	s_delay_alu instid0(VALU_DEP_3) | instskip(SKIP_1) | instid1(VALU_DEP_2)
	v_add_nc_u32_e32 v27, 16, v26
	v_sub_nc_u32_e32 v33, v26, v28
	v_min_u32_e32 v27, v13, v27
	v_min_u32_e32 v13, v13, v30
	s_delay_alu instid0(VALU_DEP_2) | instskip(NEXT) | instid1(VALU_DEP_2)
	v_sub_nc_u32_e32 v34, v27, v26
	v_min_u32_e32 v32, v13, v33
	v_or_b32_e32 v33, v35, v36
	s_waitcnt vmcnt(2) lgkmcnt(2)
	s_clause 0x1
	flat_store_b128 v[22:23], v[14:17] offset:1024
	flat_store_b32 v[11:12], v33
	s_waitcnt vmcnt(0) lgkmcnt(2)
	flat_store_b128 v[24:25], v[18:21] offset:16
	v_sub_nc_u32_e64 v29, v13, v34 clamp
	; wave barrier
	s_delay_alu instid0(VALU_DEP_1)
	v_cmpx_lt_u32_e64 v29, v32
	s_cbranch_execz .LBB1559_51
; %bb.48:
	v_add_co_u32 v11, s3, v9, v28
	s_delay_alu instid0(VALU_DEP_1) | instskip(SKIP_1) | instid1(VALU_DEP_1)
	v_add_co_ci_u32_e64 v12, s3, 0, v10, s3
	v_add_co_u32 v22, s3, v9, v26
	v_add_co_ci_u32_e64 v23, s3, 0, v10, s3
	s_mov_b32 s5, 0
	.p2align	6
.LBB1559_49:                            ; =>This Inner Loop Header: Depth=1
	v_add_nc_u32_e32 v24, v32, v29
	s_delay_alu instid0(VALU_DEP_1) | instskip(NEXT) | instid1(VALU_DEP_1)
	v_lshrrev_b32_e32 v35, 1, v24
	v_xad_u32 v33, v35, -1, v13
	v_add_co_u32 v24, s3, v11, v35
	s_delay_alu instid0(VALU_DEP_1) | instskip(NEXT) | instid1(VALU_DEP_3)
	v_add_co_ci_u32_e64 v25, s3, 0, v12, s3
	v_add_co_u32 v33, s3, v22, v33
	s_delay_alu instid0(VALU_DEP_1)
	v_add_co_ci_u32_e64 v34, s3, 0, v23, s3
	s_clause 0x1
	flat_load_u8 v24, v[24:25]
	flat_load_u8 v25, v[33:34]
	v_add_nc_u32_e32 v33, 1, v35
	s_waitcnt vmcnt(1) lgkmcnt(1)
	v_and_b32_e32 v24, v24, v31
	s_waitcnt vmcnt(0) lgkmcnt(0)
	v_and_b32_e32 v25, v25, v31
	s_delay_alu instid0(VALU_DEP_1) | instskip(NEXT) | instid1(VALU_DEP_1)
	v_cmp_gt_u16_e64 s3, v25, v24
	v_cndmask_b32_e64 v32, v32, v35, s3
	v_cndmask_b32_e64 v29, v33, v29, s3
	s_delay_alu instid0(VALU_DEP_1) | instskip(NEXT) | instid1(VALU_DEP_1)
	v_cmp_ge_u32_e64 s3, v29, v32
	s_or_b32 s5, s3, s5
	s_delay_alu instid0(SALU_CYCLE_1)
	s_and_not1_b32 exec_lo, exec_lo, s5
	s_cbranch_execnz .LBB1559_49
; %bb.50:
	s_or_b32 exec_lo, exec_lo, s5
.LBB1559_51:
	s_delay_alu instid0(SALU_CYCLE_1) | instskip(SKIP_2) | instid1(VALU_DEP_2)
	s_or_b32 exec_lo, exec_lo, s4
	v_add_nc_u32_e32 v11, v26, v13
	v_add_nc_u32_e32 v22, v29, v28
	v_sub_nc_u32_e32 v13, v11, v29
	s_delay_alu instid0(VALU_DEP_2) | instskip(NEXT) | instid1(VALU_DEP_2)
	v_cmp_le_u32_e64 s3, v22, v26
	v_cmp_le_u32_e64 s4, v13, v27
	s_delay_alu instid0(VALU_DEP_1) | instskip(NEXT) | instid1(SALU_CYCLE_1)
	s_or_b32 s3, s3, s4
	s_and_saveexec_b32 s15, s3
	s_cbranch_execz .LBB1559_57
; %bb.52:
	v_cmp_lt_u32_e64 s3, v22, v26
                                        ; implicit-def: $vgpr11
	s_delay_alu instid0(VALU_DEP_1)
	s_and_saveexec_b32 s5, s3
	s_cbranch_execz .LBB1559_54
; %bb.53:
	v_add_co_u32 v11, s4, v9, v22
	s_delay_alu instid0(VALU_DEP_1)
	v_add_co_ci_u32_e64 v12, s4, 0, v10, s4
	flat_load_u8 v11, v[11:12]
.LBB1559_54:
	s_or_b32 exec_lo, exec_lo, s5
	v_cmp_ge_u32_e64 s4, v13, v27
	s_mov_b32 s6, exec_lo
                                        ; implicit-def: $vgpr12
	v_cmpx_lt_u32_e64 v13, v27
	s_cbranch_execz .LBB1559_56
; %bb.55:
	v_add_co_u32 v14, s5, v9, v13
	s_delay_alu instid0(VALU_DEP_1)
	v_add_co_ci_u32_e64 v15, s5, 0, v10, s5
	flat_load_u8 v12, v[14:15]
.LBB1559_56:
	s_or_b32 exec_lo, exec_lo, s6
	s_waitcnt vmcnt(0) lgkmcnt(0)
	v_and_b32_e32 v14, v12, v31
	v_and_b32_e32 v15, v11, v31
	s_delay_alu instid0(VALU_DEP_1) | instskip(NEXT) | instid1(VALU_DEP_1)
	v_cmp_le_u16_e64 s5, v14, v15
	s_and_b32 s3, s3, s5
	s_delay_alu instid0(SALU_CYCLE_1) | instskip(NEXT) | instid1(SALU_CYCLE_1)
	s_or_b32 s3, s4, s3
	v_cndmask_b32_e64 v14, v13, v22, s3
	v_cndmask_b32_e64 v15, v27, v26, s3
	;; [unrolled: 1-line block ×3, first 2 shown]
	s_delay_alu instid0(VALU_DEP_3) | instskip(NEXT) | instid1(VALU_DEP_3)
	v_add_nc_u32_e32 v17, 1, v14
	v_add_nc_u32_e32 v15, -1, v15
	s_delay_alu instid0(VALU_DEP_2) | instskip(NEXT) | instid1(VALU_DEP_2)
	v_cndmask_b32_e64 v20, v22, v17, s3
	v_min_u32_e32 v15, v17, v15
	v_cndmask_b32_e64 v13, v17, v13, s3
	s_delay_alu instid0(VALU_DEP_2) | instskip(NEXT) | instid1(VALU_DEP_1)
	v_add_co_u32 v15, s4, v9, v15
	v_add_co_ci_u32_e64 v16, s4, 0, v10, s4
	v_cmp_lt_u32_e64 s4, v20, v26
	s_delay_alu instid0(VALU_DEP_4) | instskip(SKIP_4) | instid1(VALU_DEP_2)
	v_cmp_ge_u32_e64 s6, v13, v27
	flat_load_u8 v15, v[15:16]
	s_waitcnt vmcnt(0) lgkmcnt(0)
	v_cndmask_b32_e64 v23, v15, v12, s3
	v_cndmask_b32_e64 v24, v11, v15, s3
	v_and_b32_e32 v15, v23, v31
	s_delay_alu instid0(VALU_DEP_2) | instskip(NEXT) | instid1(VALU_DEP_1)
	v_and_b32_e32 v16, v24, v31
	v_cmp_le_u16_e64 s5, v15, v16
	v_mov_b32_e32 v15, 0
	s_delay_alu instid0(VALU_DEP_2) | instskip(NEXT) | instid1(VALU_DEP_1)
	s_and_b32 s4, s5, s4
	v_lshlrev_b64 v[16:17], 3, v[14:15]
	s_or_b32 s4, s6, s4
	s_delay_alu instid0(SALU_CYCLE_1) | instskip(SKIP_2) | instid1(VALU_DEP_3)
	v_cndmask_b32_e64 v14, v13, v20, s4
	v_cndmask_b32_e64 v18, v27, v26, s4
	;; [unrolled: 1-line block ×3, first 2 shown]
	v_add_nc_u32_e32 v21, 1, v14
	s_delay_alu instid0(VALU_DEP_3) | instskip(NEXT) | instid1(VALU_DEP_2)
	v_add_nc_u32_e32 v18, -1, v18
	v_cndmask_b32_e64 v20, v20, v21, s4
	s_delay_alu instid0(VALU_DEP_2) | instskip(SKIP_1) | instid1(VALU_DEP_2)
	v_min_u32_e32 v18, v21, v18
	v_cndmask_b32_e64 v13, v21, v13, s4
	v_add_co_u32 v18, s5, v9, v18
	s_delay_alu instid0(VALU_DEP_1) | instskip(SKIP_1) | instid1(VALU_DEP_4)
	v_add_co_ci_u32_e64 v19, s5, 0, v10, s5
	v_cmp_lt_u32_e64 s5, v20, v26
	v_cmp_ge_u32_e64 s7, v13, v27
	flat_load_u8 v18, v[18:19]
	s_waitcnt vmcnt(0) lgkmcnt(0)
	v_cndmask_b32_e64 v22, v18, v23, s4
	v_cndmask_b32_e64 v25, v24, v18, s4
	s_delay_alu instid0(VALU_DEP_2) | instskip(NEXT) | instid1(VALU_DEP_2)
	v_and_b32_e32 v18, v22, v31
	v_and_b32_e32 v19, v25, v31
	s_delay_alu instid0(VALU_DEP_1) | instskip(SKIP_1) | instid1(VALU_DEP_2)
	v_cmp_le_u16_e64 s6, v18, v19
	v_lshlrev_b64 v[18:19], 3, v[14:15]
	s_and_b32 s5, s6, s5
	s_delay_alu instid0(SALU_CYCLE_1) | instskip(NEXT) | instid1(SALU_CYCLE_1)
	s_or_b32 s5, s7, s5
	v_cndmask_b32_e64 v14, v13, v20, s5
	v_cndmask_b32_e64 v21, v27, v26, s5
	;; [unrolled: 1-line block ×3, first 2 shown]
	s_delay_alu instid0(VALU_DEP_3) | instskip(NEXT) | instid1(VALU_DEP_3)
	v_add_nc_u32_e32 v28, 1, v14
	v_add_nc_u32_e32 v21, -1, v21
	s_delay_alu instid0(VALU_DEP_2) | instskip(NEXT) | instid1(VALU_DEP_2)
	v_cndmask_b32_e64 v20, v20, v28, s5
	v_min_u32_e32 v21, v28, v21
	v_cndmask_b32_e64 v13, v28, v13, s5
	s_delay_alu instid0(VALU_DEP_3) | instskip(NEXT) | instid1(VALU_DEP_3)
	v_cmp_lt_u32_e64 s7, v20, v26
	v_add_co_u32 v9, s6, v9, v21
	s_delay_alu instid0(VALU_DEP_1) | instskip(NEXT) | instid1(VALU_DEP_4)
	v_add_co_ci_u32_e64 v10, s6, 0, v10, s6
	v_cmp_ge_u32_e64 s6, v13, v27
	flat_load_u8 v9, v[9:10]
	s_waitcnt vmcnt(0) lgkmcnt(0)
	v_cndmask_b32_e64 v29, v9, v22, s5
	v_cndmask_b32_e64 v32, v25, v9, s5
	s_delay_alu instid0(VALU_DEP_2) | instskip(NEXT) | instid1(VALU_DEP_2)
	v_and_b32_e32 v9, v29, v31
	v_and_b32_e32 v10, v32, v31
	s_delay_alu instid0(VALU_DEP_1) | instskip(SKIP_1) | instid1(VALU_DEP_1)
	v_cmp_le_u16_e64 s10, v9, v10
	v_add_co_u32 v9, s11, v4, v16
	v_add_co_ci_u32_e64 v10, s11, v5, v17, s11
	s_delay_alu instid0(VALU_DEP_3)
	s_and_b32 s7, s10, s7
	v_lshlrev_b64 v[16:17], 3, v[14:15]
	s_or_b32 s6, s6, s7
	v_add_co_u32 v18, s7, v4, v18
	v_cndmask_b32_e64 v14, v13, v20, s6
	v_add_co_ci_u32_e64 v19, s7, v5, v19, s7
	s_delay_alu instid0(VALU_DEP_4) | instskip(NEXT) | instid1(VALU_DEP_3)
	v_add_co_u32 v20, s7, v4, v16
	v_lshlrev_b64 v[13:14], 3, v[14:15]
	v_add_co_ci_u32_e64 v21, s7, v5, v17, s7
	v_cndmask_b32_e64 v82, v29, v32, s6
	s_delay_alu instid0(VALU_DEP_3) | instskip(NEXT) | instid1(VALU_DEP_1)
	v_add_co_u32 v4, s7, v4, v13
	v_add_co_ci_u32_e64 v5, s7, v5, v14, s7
	s_clause 0x3
	flat_load_b64 v[14:15], v[9:10] offset:1024
	flat_load_b64 v[16:17], v[18:19] offset:1024
	;; [unrolled: 1-line block ×4, first 2 shown]
.LBB1559_57:
	s_or_b32 exec_lo, exec_lo, s15
	; wave barrier
	s_waitcnt vmcnt(0) lgkmcnt(0)
	s_waitcnt_vscnt null, 0x0
	s_barrier
                                        ; implicit-def: $vgpr81
                                        ; implicit-def: $vgpr12
                                        ; implicit-def: $vgpr13
                                        ; implicit-def: $vgpr4
                                        ; implicit-def: $vgpr9
                                        ; implicit-def: $vgpr5
                                        ; implicit-def: $vgpr32_vgpr33_vgpr34_vgpr35_vgpr36_vgpr37_vgpr38_vgpr39
                                        ; implicit-def: $vgpr22_vgpr23_vgpr24_vgpr25_vgpr26_vgpr27_vgpr28_vgpr29
.LBB1559_58:
	s_and_not1_saveexec_b32 s10, s14
	s_cbranch_execz .LBB1559_94
; %bb.59:
	s_load_b64 s[4:5], s[8:9], 0x0
	v_mov_b32_e32 v10, 0
	s_waitcnt lgkmcnt(0)
	s_cmp_lt_u32 s13, s5
	s_cselect_b32 s3, 14, 20
	s_delay_alu instid0(SALU_CYCLE_1)
	s_add_u32 s6, s8, s3
	s_addc_u32 s7, s9, 0
	s_cmp_lt_u32 s12, s4
	global_load_u16 v11, v10, s[6:7]
	s_cselect_b32 s3, 12, 18
	s_mov_b32 s6, exec_lo
	s_add_u32 s4, s8, s3
	s_addc_u32 s5, s9, 0
	global_load_u16 v10, v10, s[4:5]
	s_waitcnt vmcnt(1)
	v_mad_u32_u24 v4, v9, v11, v4
	s_waitcnt vmcnt(0)
	s_delay_alu instid0(VALU_DEP_1) | instskip(NEXT) | instid1(VALU_DEP_1)
	v_mul_lo_u32 v4, v4, v10
	v_add_lshl_u32 v4, v4, v5, 2
	s_delay_alu instid0(VALU_DEP_1)
	v_cmpx_gt_u32_e32 0x400, v4
	s_cbranch_execz .LBB1559_63
; %bb.60:
	v_and_b32_e32 v5, 0xff, v83
	v_and_b32_e32 v9, 0xff, v48
	;; [unrolled: 1-line block ×4, first 2 shown]
	s_mov_b32 s7, exec_lo
	s_delay_alu instid0(VALU_DEP_3) | instskip(NEXT) | instid1(VALU_DEP_2)
	v_cmp_gt_u16_e64 s3, v9, v5
	v_cmp_gt_u16_e64 s4, v11, v10
	s_delay_alu instid0(VALU_DEP_2) | instskip(SKIP_1) | instid1(VALU_DEP_3)
	v_cndmask_b32_e64 v9, v48, 0, s3
	v_cndmask_b32_e64 v5, v83, 1, s3
	;; [unrolled: 1-line block ×5, first 2 shown]
	v_and_b32_e32 v19, 0xff, v9
	v_and_b32_e32 v11, 0xff, v5
	;; [unrolled: 1-line block ×3, first 2 shown]
	v_cndmask_b32_e64 v21, v15, v17, s3
	v_cndmask_b32_e64 v15, v17, v15, s3
	;; [unrolled: 1-line block ×4, first 2 shown]
	v_cmp_gt_u16_e64 s5, v18, v19
	v_cndmask_b32_e64 v18, v28, v36, s4
	v_cndmask_b32_e64 v19, v29, v37, s4
	s_delay_alu instid0(VALU_DEP_3) | instskip(SKIP_3) | instid1(VALU_DEP_4)
	v_cndmask_b32_e64 v16, v9, 1, s5
	v_cndmask_b32_e64 v9, v82, 0, s4
	;; [unrolled: 1-line block ×4, first 2 shown]
	v_and_b32_e32 v22, 0xff, v16
	s_delay_alu instid0(VALU_DEP_4) | instskip(NEXT) | instid1(VALU_DEP_2)
	v_and_b32_e32 v24, 0xff, v9
	v_cmp_gt_u16_e64 s3, v22, v11
	v_and_b32_e32 v11, 0xff, v10
	v_cndmask_b32_e64 v22, v23, v15, s5
	s_delay_alu instid0(VALU_DEP_3) | instskip(NEXT) | instid1(VALU_DEP_3)
	v_cndmask_b32_e64 v48, v16, 0, s3
	v_cmp_gt_u16_e64 s4, v24, v11
	v_cndmask_b32_e64 v16, v15, v23, s5
	v_cndmask_b32_e64 v23, v14, v17, s5
	s_delay_alu instid0(VALU_DEP_4) | instskip(NEXT) | instid1(VALU_DEP_4)
	v_and_b32_e32 v26, 0xff, v48
	v_cndmask_b32_e64 v49, v10, 1, s4
	s_delay_alu instid0(VALU_DEP_4) | instskip(NEXT) | instid1(VALU_DEP_4)
	v_cndmask_b32_e64 v15, v21, v16, s3
	v_cndmask_b32_e64 v14, v20, v23, s3
	;; [unrolled: 1-line block ×4, first 2 shown]
	v_and_b32_e32 v10, 0xff, v49
	v_cndmask_b32_e64 v21, v19, v22, s4
	v_cndmask_b32_e64 v20, v18, v25, s4
	v_cndmask_b32_e64 v19, v22, v19, s4
	v_cndmask_b32_e64 v18, v25, v18, s4
	v_cmpx_gt_u16_e64 v10, v26
; %bb.61:
	s_delay_alu instid0(VALU_DEP_2) | instskip(SKIP_2) | instid1(VALU_DEP_3)
	v_dual_mov_b32 v10, v18 :: v_dual_mov_b32 v11, v19
	v_dual_mov_b32 v49, 0 :: v_dual_mov_b32 v48, 1
	;; [unrolled: 1-line block ×4, first 2 shown]
; %bb.62:
	s_or_b32 exec_lo, exec_lo, s7
	v_cndmask_b32_e64 v83, v5, 1, s3
	v_cndmask_b32_e64 v82, v9, 0, s4
.LBB1559_63:
	s_or_b32 exec_lo, exec_lo, s6
	v_and_b32_e32 v11, 0xffffff80, v4
	v_lshlrev_b16 v22, 8, v48
	v_and_b32_e32 v23, 0xff, v83
	v_lshlrev_b16 v24, 8, v82
	v_and_b32_e32 v25, 0xff, v49
	v_add_co_u32 v9, s3, v12, v11
	s_delay_alu instid0(VALU_DEP_1) | instskip(SKIP_3) | instid1(VALU_DEP_4)
	v_add_co_ci_u32_e64 v10, s3, 0, v13, s3
	v_or_b32_e32 v12, 4, v81
	v_sub_nc_u32_e64 v13, 0x400, v11 clamp
	v_lshlrev_b32_e32 v31, 3, v81
	v_mad_u64_u32 v[4:5], null, v11, 7, v[9:10]
	v_or_b32_e32 v22, v23, v22
	s_delay_alu instid0(VALU_DEP_4)
	v_min_u32_e32 v26, v13, v12
	v_or_b32_e32 v23, v25, v24
	v_and_b32_e32 v24, 4, v81
	v_and_b32_e32 v28, 0x78, v81
	v_add_co_u32 v11, s3, v9, v81
	v_add_nc_u32_e32 v27, 4, v26
	v_add_co_ci_u32_e64 v12, s3, 0, v10, s3
	v_and_b32_e32 v25, 0xffff, v22
	v_lshlrev_b32_e32 v32, 16, v23
	s_delay_alu instid0(VALU_DEP_4) | instskip(SKIP_3) | instid1(VALU_DEP_4)
	v_min_u32_e32 v27, v13, v27
	v_min_u32_e32 v29, v13, v24
	v_sub_nc_u32_e32 v24, v26, v28
	v_add_co_u32 v22, s3, v4, v31
	v_sub_nc_u32_e32 v33, v27, v26
	v_add_co_ci_u32_e64 v23, s3, 0, v5, s3
	v_or_b32_e32 v34, v25, v32
	v_min_u32_e32 v32, v29, v24
	v_add_co_u32 v24, s3, 0x400, v22
	v_sub_nc_u32_e64 v31, v29, v33 clamp
	v_add_co_ci_u32_e64 v25, s3, 0, v23, s3
	s_mov_b32 s4, exec_lo
	s_clause 0x2
	flat_store_b128 v[22:23], v[14:17] offset:1024
	flat_store_b32 v[11:12], v34
	flat_store_b128 v[22:23], v[18:21] offset:1040
	; wave barrier
	v_cmpx_lt_u32_e64 v31, v32
	s_cbranch_execz .LBB1559_67
; %bb.64:
	v_add_co_u32 v33, s3, v9, v28
	s_delay_alu instid0(VALU_DEP_1) | instskip(SKIP_1) | instid1(VALU_DEP_1)
	v_add_co_ci_u32_e64 v34, s3, 0, v10, s3
	v_add_co_u32 v35, s3, v9, v26
	v_add_co_ci_u32_e64 v36, s3, 0, v10, s3
	s_mov_b32 s5, 0
	.p2align	6
.LBB1559_65:                            ; =>This Inner Loop Header: Depth=1
	v_add_nc_u32_e32 v37, v32, v31
	s_delay_alu instid0(VALU_DEP_1) | instskip(NEXT) | instid1(VALU_DEP_1)
	v_lshrrev_b32_e32 v39, 1, v37
	v_xad_u32 v50, v39, -1, v29
	v_add_co_u32 v37, s3, v33, v39
	s_delay_alu instid0(VALU_DEP_1) | instskip(NEXT) | instid1(VALU_DEP_3)
	v_add_co_ci_u32_e64 v38, s3, 0, v34, s3
	v_add_co_u32 v50, s3, v35, v50
	s_delay_alu instid0(VALU_DEP_1)
	v_add_co_ci_u32_e64 v51, s3, 0, v36, s3
	s_clause 0x1
	flat_load_u8 v37, v[37:38]
	flat_load_u8 v38, v[50:51]
	v_add_nc_u32_e32 v50, 1, v39
	s_waitcnt vmcnt(0) lgkmcnt(0)
	v_cmp_gt_u16_e64 s3, v38, v37
	s_delay_alu instid0(VALU_DEP_1) | instskip(NEXT) | instid1(VALU_DEP_3)
	v_cndmask_b32_e64 v32, v32, v39, s3
	v_cndmask_b32_e64 v31, v50, v31, s3
	s_delay_alu instid0(VALU_DEP_1) | instskip(NEXT) | instid1(VALU_DEP_1)
	v_cmp_ge_u32_e64 s3, v31, v32
	s_or_b32 s5, s3, s5
	s_delay_alu instid0(SALU_CYCLE_1)
	s_and_not1_b32 exec_lo, exec_lo, s5
	s_cbranch_execnz .LBB1559_65
; %bb.66:
	s_or_b32 exec_lo, exec_lo, s5
.LBB1559_67:
	s_delay_alu instid0(SALU_CYCLE_1) | instskip(SKIP_2) | instid1(VALU_DEP_2)
	s_or_b32 exec_lo, exec_lo, s4
	v_add_nc_u32_e32 v29, v26, v29
	v_add_nc_u32_e32 v32, v31, v28
	v_sub_nc_u32_e32 v31, v29, v31
	s_delay_alu instid0(VALU_DEP_2) | instskip(NEXT) | instid1(VALU_DEP_2)
	v_cmp_le_u32_e64 s3, v32, v26
	v_cmp_le_u32_e64 s4, v31, v27
	s_delay_alu instid0(VALU_DEP_1) | instskip(NEXT) | instid1(SALU_CYCLE_1)
	s_or_b32 s3, s3, s4
	s_and_saveexec_b32 s11, s3
	s_cbranch_execz .LBB1559_73
; %bb.68:
	v_cmp_lt_u32_e64 s3, v32, v26
                                        ; implicit-def: $vgpr28
	s_delay_alu instid0(VALU_DEP_1)
	s_and_saveexec_b32 s5, s3
	s_cbranch_execz .LBB1559_70
; %bb.69:
	v_add_co_u32 v14, s4, v9, v32
	s_delay_alu instid0(VALU_DEP_1)
	v_add_co_ci_u32_e64 v15, s4, 0, v10, s4
	flat_load_u8 v28, v[14:15]
.LBB1559_70:
	s_or_b32 exec_lo, exec_lo, s5
	v_cmp_ge_u32_e64 s4, v31, v27
	s_mov_b32 s6, exec_lo
                                        ; implicit-def: $vgpr29
	v_cmpx_lt_u32_e64 v31, v27
	s_cbranch_execz .LBB1559_72
; %bb.71:
	v_add_co_u32 v14, s5, v9, v31
	s_delay_alu instid0(VALU_DEP_1)
	v_add_co_ci_u32_e64 v15, s5, 0, v10, s5
	flat_load_u8 v29, v[14:15]
.LBB1559_72:
	s_or_b32 exec_lo, exec_lo, s6
	s_waitcnt vmcnt(0) lgkmcnt(0)
	v_and_b32_e32 v14, 0xff, v28
	v_and_b32_e32 v15, 0xff, v29
	s_delay_alu instid0(VALU_DEP_1) | instskip(NEXT) | instid1(VALU_DEP_1)
	v_cmp_le_u16_e64 s5, v15, v14
	s_and_b32 s3, s3, s5
	s_delay_alu instid0(SALU_CYCLE_1) | instskip(NEXT) | instid1(SALU_CYCLE_1)
	s_or_b32 s3, s4, s3
	v_cndmask_b32_e64 v14, v31, v32, s3
	v_cndmask_b32_e64 v15, v27, v26, s3
	;; [unrolled: 1-line block ×3, first 2 shown]
	s_delay_alu instid0(VALU_DEP_3) | instskip(NEXT) | instid1(VALU_DEP_3)
	v_add_nc_u32_e32 v17, 1, v14
	v_add_nc_u32_e32 v15, -1, v15
	s_delay_alu instid0(VALU_DEP_2) | instskip(NEXT) | instid1(VALU_DEP_2)
	v_cndmask_b32_e64 v20, v32, v17, s3
	v_min_u32_e32 v15, v17, v15
	v_cndmask_b32_e64 v21, v17, v31, s3
	s_delay_alu instid0(VALU_DEP_2) | instskip(NEXT) | instid1(VALU_DEP_1)
	v_add_co_u32 v15, s4, v9, v15
	v_add_co_ci_u32_e64 v16, s4, 0, v10, s4
	v_cmp_lt_u32_e64 s4, v20, v26
	s_delay_alu instid0(VALU_DEP_4) | instskip(SKIP_4) | instid1(VALU_DEP_2)
	v_cmp_ge_u32_e64 s6, v21, v27
	flat_load_u8 v15, v[15:16]
	s_waitcnt vmcnt(0) lgkmcnt(0)
	v_cndmask_b32_e64 v33, v15, v29, s3
	v_cndmask_b32_e64 v34, v28, v15, s3
	v_and_b32_e32 v15, 0xff, v33
	s_delay_alu instid0(VALU_DEP_2) | instskip(NEXT) | instid1(VALU_DEP_1)
	v_and_b32_e32 v16, 0xff, v34
	v_cmp_le_u16_e64 s5, v15, v16
	v_mov_b32_e32 v15, 0
	s_delay_alu instid0(VALU_DEP_2) | instskip(NEXT) | instid1(VALU_DEP_1)
	s_and_b32 s4, s5, s4
	v_lshlrev_b64 v[16:17], 3, v[14:15]
	s_or_b32 s4, s6, s4
	s_delay_alu instid0(SALU_CYCLE_1) | instskip(SKIP_2) | instid1(VALU_DEP_4)
	v_cndmask_b32_e64 v14, v21, v20, s4
	v_cndmask_b32_e64 v18, v27, v26, s4
	;; [unrolled: 1-line block ×3, first 2 shown]
	v_add_co_u32 v16, s9, v4, v16
	s_delay_alu instid0(VALU_DEP_4) | instskip(NEXT) | instid1(VALU_DEP_4)
	v_add_nc_u32_e32 v31, 1, v14
	v_add_nc_u32_e32 v18, -1, v18
	v_add_co_ci_u32_e64 v17, s9, v5, v17, s9
	s_delay_alu instid0(VALU_DEP_3) | instskip(NEXT) | instid1(VALU_DEP_3)
	v_cndmask_b32_e64 v36, v20, v31, s4
	v_min_u32_e32 v18, v31, v18
	v_cndmask_b32_e64 v31, v31, v21, s4
	s_delay_alu instid0(VALU_DEP_2) | instskip(NEXT) | instid1(VALU_DEP_1)
	v_add_co_u32 v18, s5, v9, v18
	v_add_co_ci_u32_e64 v19, s5, 0, v10, s5
	v_cmp_lt_u32_e64 s5, v36, v26
	s_delay_alu instid0(VALU_DEP_4) | instskip(SKIP_4) | instid1(VALU_DEP_2)
	v_cmp_ge_u32_e64 s7, v31, v27
	flat_load_u8 v18, v[18:19]
	s_waitcnt vmcnt(0) lgkmcnt(0)
	v_cndmask_b32_e64 v32, v18, v33, s4
	v_cndmask_b32_e64 v35, v34, v18, s4
	v_and_b32_e32 v18, 0xff, v32
	s_delay_alu instid0(VALU_DEP_2) | instskip(NEXT) | instid1(VALU_DEP_1)
	v_and_b32_e32 v19, 0xff, v35
	v_cmp_le_u16_e64 s6, v18, v19
	v_lshlrev_b64 v[18:19], 3, v[14:15]
	s_delay_alu instid0(VALU_DEP_2) | instskip(NEXT) | instid1(SALU_CYCLE_1)
	s_and_b32 s5, s6, s5
	s_or_b32 s5, s7, s5
	s_delay_alu instid0(SALU_CYCLE_1) | instskip(SKIP_2) | instid1(VALU_DEP_3)
	v_cndmask_b32_e64 v14, v31, v36, s5
	v_cndmask_b32_e64 v20, v27, v26, s5
	;; [unrolled: 1-line block ×3, first 2 shown]
	v_add_nc_u32_e32 v37, 1, v14
	s_delay_alu instid0(VALU_DEP_3) | instskip(NEXT) | instid1(VALU_DEP_2)
	v_add_nc_u32_e32 v20, -1, v20
	v_cndmask_b32_e64 v36, v36, v37, s5
	s_delay_alu instid0(VALU_DEP_2) | instskip(SKIP_1) | instid1(VALU_DEP_3)
	v_min_u32_e32 v20, v37, v20
	v_cndmask_b32_e64 v31, v37, v31, s5
	v_cmp_lt_u32_e64 s7, v36, v26
	s_delay_alu instid0(VALU_DEP_3) | instskip(NEXT) | instid1(VALU_DEP_1)
	v_add_co_u32 v20, s6, v9, v20
	v_add_co_ci_u32_e64 v21, s6, 0, v10, s6
	s_delay_alu instid0(VALU_DEP_4) | instskip(SKIP_4) | instid1(VALU_DEP_2)
	v_cmp_ge_u32_e64 s6, v31, v27
	flat_load_u8 v20, v[20:21]
	s_waitcnt vmcnt(0) lgkmcnt(0)
	v_cndmask_b32_e64 v38, v20, v32, s5
	v_cndmask_b32_e64 v39, v35, v20, s5
	v_and_b32_e32 v20, 0xff, v38
	s_delay_alu instid0(VALU_DEP_2) | instskip(NEXT) | instid1(VALU_DEP_1)
	v_and_b32_e32 v21, 0xff, v39
	v_cmp_le_u16_e64 s8, v20, v21
	v_lshlrev_b64 v[20:21], 3, v[14:15]
	s_delay_alu instid0(VALU_DEP_2) | instskip(NEXT) | instid1(SALU_CYCLE_1)
	s_and_b32 s7, s8, s7
	s_or_b32 s6, s6, s7
	v_add_co_u32 v18, s7, v4, v18
	v_cndmask_b32_e64 v14, v31, v36, s6
	v_add_co_ci_u32_e64 v19, s7, v5, v19, s7
	v_add_co_u32 v20, s7, v4, v20
	s_delay_alu instid0(VALU_DEP_3) | instskip(SKIP_2) | instid1(VALU_DEP_3)
	v_lshlrev_b64 v[14:15], 3, v[14:15]
	v_add_co_ci_u32_e64 v21, s7, v5, v21, s7
	v_cndmask_b32_e64 v82, v38, v39, s6
	v_add_co_u32 v26, s7, v4, v14
	s_delay_alu instid0(VALU_DEP_1)
	v_add_co_ci_u32_e64 v27, s7, v5, v15, s7
	s_clause 0x3
	flat_load_b64 v[14:15], v[16:17] offset:1024
	flat_load_b64 v[16:17], v[18:19] offset:1024
	;; [unrolled: 1-line block ×4, first 2 shown]
.LBB1559_73:
	s_or_b32 exec_lo, exec_lo, s11
	v_and_b32_e32 v28, 0x70, v81
	v_lshlrev_b16 v29, 8, v48
	v_and_b32_e32 v31, 0xff, v83
	v_lshlrev_b16 v32, 8, v82
	v_and_b32_e32 v33, 0xff, v49
	v_or_b32_e32 v26, 8, v28
	v_and_b32_e32 v34, 12, v81
	v_or_b32_e32 v31, v31, v29
	s_mov_b32 s4, exec_lo
	v_or_b32_e32 v32, v33, v32
	v_min_u32_e32 v26, v13, v26
	v_min_u32_e32 v29, v13, v34
	v_and_b32_e32 v35, 0xffff, v31
	s_delay_alu instid0(VALU_DEP_4) | instskip(NEXT) | instid1(VALU_DEP_4)
	v_lshlrev_b32_e32 v36, 16, v32
	v_add_nc_u32_e32 v27, 8, v26
	v_sub_nc_u32_e32 v33, v26, v28
	; wave barrier
	s_delay_alu instid0(VALU_DEP_2) | instskip(NEXT) | instid1(VALU_DEP_2)
	v_min_u32_e32 v27, v13, v27
	v_min_u32_e32 v32, v29, v33
	v_or_b32_e32 v33, v35, v36
	s_waitcnt vmcnt(2) lgkmcnt(2)
	s_clause 0x1
	flat_store_b128 v[22:23], v[14:17] offset:1024
	flat_store_b32 v[11:12], v33
	s_waitcnt vmcnt(0) lgkmcnt(2)
	flat_store_b128 v[24:25], v[18:21] offset:16
	v_sub_nc_u32_e32 v34, v27, v26
	; wave barrier
	s_delay_alu instid0(VALU_DEP_1) | instskip(NEXT) | instid1(VALU_DEP_1)
	v_sub_nc_u32_e64 v31, v29, v34 clamp
	v_cmpx_lt_u32_e64 v31, v32
	s_cbranch_execz .LBB1559_77
; %bb.74:
	v_add_co_u32 v33, s3, v9, v28
	s_delay_alu instid0(VALU_DEP_1) | instskip(SKIP_1) | instid1(VALU_DEP_1)
	v_add_co_ci_u32_e64 v34, s3, 0, v10, s3
	v_add_co_u32 v35, s3, v9, v26
	v_add_co_ci_u32_e64 v36, s3, 0, v10, s3
	s_mov_b32 s5, 0
	.p2align	6
.LBB1559_75:                            ; =>This Inner Loop Header: Depth=1
	v_add_nc_u32_e32 v37, v32, v31
	s_delay_alu instid0(VALU_DEP_1) | instskip(NEXT) | instid1(VALU_DEP_1)
	v_lshrrev_b32_e32 v39, 1, v37
	v_xad_u32 v50, v39, -1, v29
	v_add_co_u32 v37, s3, v33, v39
	s_delay_alu instid0(VALU_DEP_1) | instskip(NEXT) | instid1(VALU_DEP_3)
	v_add_co_ci_u32_e64 v38, s3, 0, v34, s3
	v_add_co_u32 v50, s3, v35, v50
	s_delay_alu instid0(VALU_DEP_1)
	v_add_co_ci_u32_e64 v51, s3, 0, v36, s3
	s_clause 0x1
	flat_load_u8 v37, v[37:38]
	flat_load_u8 v38, v[50:51]
	v_add_nc_u32_e32 v50, 1, v39
	s_waitcnt vmcnt(0) lgkmcnt(0)
	v_cmp_gt_u16_e64 s3, v38, v37
	s_delay_alu instid0(VALU_DEP_1) | instskip(NEXT) | instid1(VALU_DEP_3)
	v_cndmask_b32_e64 v32, v32, v39, s3
	v_cndmask_b32_e64 v31, v50, v31, s3
	s_delay_alu instid0(VALU_DEP_1) | instskip(NEXT) | instid1(VALU_DEP_1)
	v_cmp_ge_u32_e64 s3, v31, v32
	s_or_b32 s5, s3, s5
	s_delay_alu instid0(SALU_CYCLE_1)
	s_and_not1_b32 exec_lo, exec_lo, s5
	s_cbranch_execnz .LBB1559_75
; %bb.76:
	s_or_b32 exec_lo, exec_lo, s5
.LBB1559_77:
	s_delay_alu instid0(SALU_CYCLE_1) | instskip(SKIP_2) | instid1(VALU_DEP_2)
	s_or_b32 exec_lo, exec_lo, s4
	v_add_nc_u32_e32 v29, v26, v29
	v_add_nc_u32_e32 v32, v31, v28
	v_sub_nc_u32_e32 v31, v29, v31
	s_delay_alu instid0(VALU_DEP_2) | instskip(NEXT) | instid1(VALU_DEP_2)
	v_cmp_le_u32_e64 s3, v32, v26
	v_cmp_le_u32_e64 s4, v31, v27
	s_delay_alu instid0(VALU_DEP_1) | instskip(NEXT) | instid1(SALU_CYCLE_1)
	s_or_b32 s3, s3, s4
	s_and_saveexec_b32 s11, s3
	s_cbranch_execz .LBB1559_83
; %bb.78:
	v_cmp_lt_u32_e64 s3, v32, v26
                                        ; implicit-def: $vgpr28
	s_delay_alu instid0(VALU_DEP_1)
	s_and_saveexec_b32 s5, s3
	s_cbranch_execz .LBB1559_80
; %bb.79:
	v_add_co_u32 v14, s4, v9, v32
	s_delay_alu instid0(VALU_DEP_1)
	v_add_co_ci_u32_e64 v15, s4, 0, v10, s4
	flat_load_u8 v28, v[14:15]
.LBB1559_80:
	s_or_b32 exec_lo, exec_lo, s5
	v_cmp_ge_u32_e64 s4, v31, v27
	s_mov_b32 s6, exec_lo
                                        ; implicit-def: $vgpr29
	v_cmpx_lt_u32_e64 v31, v27
	s_cbranch_execz .LBB1559_82
; %bb.81:
	v_add_co_u32 v14, s5, v9, v31
	s_delay_alu instid0(VALU_DEP_1)
	v_add_co_ci_u32_e64 v15, s5, 0, v10, s5
	flat_load_u8 v29, v[14:15]
.LBB1559_82:
	s_or_b32 exec_lo, exec_lo, s6
	s_waitcnt vmcnt(0) lgkmcnt(0)
	v_and_b32_e32 v14, 0xff, v28
	v_and_b32_e32 v15, 0xff, v29
	s_delay_alu instid0(VALU_DEP_1) | instskip(NEXT) | instid1(VALU_DEP_1)
	v_cmp_le_u16_e64 s5, v15, v14
	s_and_b32 s3, s3, s5
	s_delay_alu instid0(SALU_CYCLE_1) | instskip(NEXT) | instid1(SALU_CYCLE_1)
	s_or_b32 s3, s4, s3
	v_cndmask_b32_e64 v14, v31, v32, s3
	v_cndmask_b32_e64 v15, v27, v26, s3
	;; [unrolled: 1-line block ×3, first 2 shown]
	s_delay_alu instid0(VALU_DEP_3) | instskip(NEXT) | instid1(VALU_DEP_3)
	v_add_nc_u32_e32 v17, 1, v14
	v_add_nc_u32_e32 v15, -1, v15
	s_delay_alu instid0(VALU_DEP_2) | instskip(NEXT) | instid1(VALU_DEP_2)
	v_cndmask_b32_e64 v20, v32, v17, s3
	v_min_u32_e32 v15, v17, v15
	v_cndmask_b32_e64 v21, v17, v31, s3
	s_delay_alu instid0(VALU_DEP_2) | instskip(NEXT) | instid1(VALU_DEP_1)
	v_add_co_u32 v15, s4, v9, v15
	v_add_co_ci_u32_e64 v16, s4, 0, v10, s4
	v_cmp_lt_u32_e64 s4, v20, v26
	s_delay_alu instid0(VALU_DEP_4) | instskip(SKIP_4) | instid1(VALU_DEP_2)
	v_cmp_ge_u32_e64 s6, v21, v27
	flat_load_u8 v15, v[15:16]
	s_waitcnt vmcnt(0) lgkmcnt(0)
	v_cndmask_b32_e64 v33, v15, v29, s3
	v_cndmask_b32_e64 v34, v28, v15, s3
	v_and_b32_e32 v15, 0xff, v33
	s_delay_alu instid0(VALU_DEP_2) | instskip(NEXT) | instid1(VALU_DEP_1)
	v_and_b32_e32 v16, 0xff, v34
	v_cmp_le_u16_e64 s5, v15, v16
	v_mov_b32_e32 v15, 0
	s_delay_alu instid0(VALU_DEP_2) | instskip(NEXT) | instid1(VALU_DEP_1)
	s_and_b32 s4, s5, s4
	v_lshlrev_b64 v[16:17], 3, v[14:15]
	s_or_b32 s4, s6, s4
	s_delay_alu instid0(SALU_CYCLE_1) | instskip(SKIP_2) | instid1(VALU_DEP_4)
	v_cndmask_b32_e64 v14, v21, v20, s4
	v_cndmask_b32_e64 v18, v27, v26, s4
	;; [unrolled: 1-line block ×3, first 2 shown]
	v_add_co_u32 v16, s9, v4, v16
	s_delay_alu instid0(VALU_DEP_4) | instskip(NEXT) | instid1(VALU_DEP_4)
	v_add_nc_u32_e32 v31, 1, v14
	v_add_nc_u32_e32 v18, -1, v18
	v_add_co_ci_u32_e64 v17, s9, v5, v17, s9
	s_delay_alu instid0(VALU_DEP_3) | instskip(NEXT) | instid1(VALU_DEP_3)
	v_cndmask_b32_e64 v36, v20, v31, s4
	v_min_u32_e32 v18, v31, v18
	v_cndmask_b32_e64 v31, v31, v21, s4
	s_delay_alu instid0(VALU_DEP_2) | instskip(NEXT) | instid1(VALU_DEP_1)
	v_add_co_u32 v18, s5, v9, v18
	v_add_co_ci_u32_e64 v19, s5, 0, v10, s5
	v_cmp_lt_u32_e64 s5, v36, v26
	s_delay_alu instid0(VALU_DEP_4) | instskip(SKIP_4) | instid1(VALU_DEP_2)
	v_cmp_ge_u32_e64 s7, v31, v27
	flat_load_u8 v18, v[18:19]
	s_waitcnt vmcnt(0) lgkmcnt(0)
	v_cndmask_b32_e64 v32, v18, v33, s4
	v_cndmask_b32_e64 v35, v34, v18, s4
	v_and_b32_e32 v18, 0xff, v32
	s_delay_alu instid0(VALU_DEP_2) | instskip(NEXT) | instid1(VALU_DEP_1)
	v_and_b32_e32 v19, 0xff, v35
	v_cmp_le_u16_e64 s6, v18, v19
	v_lshlrev_b64 v[18:19], 3, v[14:15]
	s_delay_alu instid0(VALU_DEP_2) | instskip(NEXT) | instid1(SALU_CYCLE_1)
	s_and_b32 s5, s6, s5
	s_or_b32 s5, s7, s5
	s_delay_alu instid0(SALU_CYCLE_1) | instskip(SKIP_2) | instid1(VALU_DEP_3)
	v_cndmask_b32_e64 v14, v31, v36, s5
	v_cndmask_b32_e64 v20, v27, v26, s5
	v_cndmask_b32_e64 v49, v32, v35, s5
	v_add_nc_u32_e32 v37, 1, v14
	s_delay_alu instid0(VALU_DEP_3) | instskip(NEXT) | instid1(VALU_DEP_2)
	v_add_nc_u32_e32 v20, -1, v20
	v_cndmask_b32_e64 v36, v36, v37, s5
	s_delay_alu instid0(VALU_DEP_2) | instskip(SKIP_1) | instid1(VALU_DEP_3)
	v_min_u32_e32 v20, v37, v20
	v_cndmask_b32_e64 v31, v37, v31, s5
	v_cmp_lt_u32_e64 s7, v36, v26
	s_delay_alu instid0(VALU_DEP_3) | instskip(NEXT) | instid1(VALU_DEP_1)
	v_add_co_u32 v20, s6, v9, v20
	v_add_co_ci_u32_e64 v21, s6, 0, v10, s6
	s_delay_alu instid0(VALU_DEP_4) | instskip(SKIP_4) | instid1(VALU_DEP_2)
	v_cmp_ge_u32_e64 s6, v31, v27
	flat_load_u8 v20, v[20:21]
	s_waitcnt vmcnt(0) lgkmcnt(0)
	v_cndmask_b32_e64 v38, v20, v32, s5
	v_cndmask_b32_e64 v39, v35, v20, s5
	v_and_b32_e32 v20, 0xff, v38
	s_delay_alu instid0(VALU_DEP_2) | instskip(NEXT) | instid1(VALU_DEP_1)
	v_and_b32_e32 v21, 0xff, v39
	v_cmp_le_u16_e64 s8, v20, v21
	v_lshlrev_b64 v[20:21], 3, v[14:15]
	s_delay_alu instid0(VALU_DEP_2) | instskip(NEXT) | instid1(SALU_CYCLE_1)
	s_and_b32 s7, s8, s7
	s_or_b32 s6, s6, s7
	v_add_co_u32 v18, s7, v4, v18
	v_cndmask_b32_e64 v14, v31, v36, s6
	v_add_co_ci_u32_e64 v19, s7, v5, v19, s7
	v_add_co_u32 v20, s7, v4, v20
	s_delay_alu instid0(VALU_DEP_3) | instskip(SKIP_2) | instid1(VALU_DEP_3)
	v_lshlrev_b64 v[14:15], 3, v[14:15]
	v_add_co_ci_u32_e64 v21, s7, v5, v21, s7
	v_cndmask_b32_e64 v82, v38, v39, s6
	v_add_co_u32 v26, s7, v4, v14
	s_delay_alu instid0(VALU_DEP_1)
	v_add_co_ci_u32_e64 v27, s7, v5, v15, s7
	s_clause 0x3
	flat_load_b64 v[14:15], v[16:17] offset:1024
	flat_load_b64 v[16:17], v[18:19] offset:1024
	;; [unrolled: 1-line block ×4, first 2 shown]
.LBB1559_83:
	s_or_b32 exec_lo, exec_lo, s11
	v_and_b32_e32 v28, 0x60, v81
	v_lshlrev_b16 v29, 8, v48
	v_and_b32_e32 v31, 0xff, v83
	v_lshlrev_b16 v32, 8, v82
	v_and_b32_e32 v33, 0xff, v49
	v_or_b32_e32 v26, 16, v28
	s_mov_b32 s4, exec_lo
	v_or_b32_e32 v29, v31, v29
	s_delay_alu instid0(VALU_DEP_3) | instskip(NEXT) | instid1(VALU_DEP_3)
	v_or_b32_e32 v31, v33, v32
	v_min_u32_e32 v26, v13, v26
	; wave barrier
	s_delay_alu instid0(VALU_DEP_3) | instskip(NEXT) | instid1(VALU_DEP_3)
	v_and_b32_e32 v34, 0xffff, v29
	v_lshlrev_b32_e32 v35, 16, v31
	s_delay_alu instid0(VALU_DEP_3) | instskip(SKIP_1) | instid1(VALU_DEP_2)
	v_add_nc_u32_e32 v27, 16, v26
	v_sub_nc_u32_e32 v32, v26, v28
	v_min_u32_e32 v27, v13, v27
	v_min_u32_e32 v13, v13, v30
	s_delay_alu instid0(VALU_DEP_2) | instskip(NEXT) | instid1(VALU_DEP_2)
	v_sub_nc_u32_e32 v33, v27, v26
	v_min_u32_e32 v31, v13, v32
	v_or_b32_e32 v32, v34, v35
	s_waitcnt vmcnt(2) lgkmcnt(2)
	s_clause 0x1
	flat_store_b128 v[22:23], v[14:17] offset:1024
	flat_store_b32 v[11:12], v32
	s_waitcnt vmcnt(0) lgkmcnt(2)
	flat_store_b128 v[24:25], v[18:21] offset:16
	v_sub_nc_u32_e64 v29, v13, v33 clamp
	; wave barrier
	s_delay_alu instid0(VALU_DEP_1)
	v_cmpx_lt_u32_e64 v29, v31
	s_cbranch_execz .LBB1559_87
; %bb.84:
	v_add_co_u32 v11, s3, v9, v28
	s_delay_alu instid0(VALU_DEP_1) | instskip(SKIP_1) | instid1(VALU_DEP_1)
	v_add_co_ci_u32_e64 v12, s3, 0, v10, s3
	v_add_co_u32 v22, s3, v9, v26
	v_add_co_ci_u32_e64 v23, s3, 0, v10, s3
	s_mov_b32 s5, 0
	.p2align	6
.LBB1559_85:                            ; =>This Inner Loop Header: Depth=1
	v_add_nc_u32_e32 v24, v31, v29
	s_delay_alu instid0(VALU_DEP_1) | instskip(NEXT) | instid1(VALU_DEP_1)
	v_lshrrev_b32_e32 v34, 1, v24
	v_xad_u32 v32, v34, -1, v13
	v_add_co_u32 v24, s3, v11, v34
	s_delay_alu instid0(VALU_DEP_1) | instskip(NEXT) | instid1(VALU_DEP_3)
	v_add_co_ci_u32_e64 v25, s3, 0, v12, s3
	v_add_co_u32 v32, s3, v22, v32
	s_delay_alu instid0(VALU_DEP_1)
	v_add_co_ci_u32_e64 v33, s3, 0, v23, s3
	s_clause 0x1
	flat_load_u8 v24, v[24:25]
	flat_load_u8 v25, v[32:33]
	v_add_nc_u32_e32 v32, 1, v34
	s_waitcnt vmcnt(0) lgkmcnt(0)
	v_cmp_gt_u16_e64 s3, v25, v24
	s_delay_alu instid0(VALU_DEP_1) | instskip(NEXT) | instid1(VALU_DEP_3)
	v_cndmask_b32_e64 v31, v31, v34, s3
	v_cndmask_b32_e64 v29, v32, v29, s3
	s_delay_alu instid0(VALU_DEP_1) | instskip(NEXT) | instid1(VALU_DEP_1)
	v_cmp_ge_u32_e64 s3, v29, v31
	s_or_b32 s5, s3, s5
	s_delay_alu instid0(SALU_CYCLE_1)
	s_and_not1_b32 exec_lo, exec_lo, s5
	s_cbranch_execnz .LBB1559_85
; %bb.86:
	s_or_b32 exec_lo, exec_lo, s5
.LBB1559_87:
	s_delay_alu instid0(SALU_CYCLE_1) | instskip(SKIP_2) | instid1(VALU_DEP_2)
	s_or_b32 exec_lo, exec_lo, s4
	v_add_nc_u32_e32 v11, v26, v13
	v_add_nc_u32_e32 v22, v29, v28
	v_sub_nc_u32_e32 v13, v11, v29
	s_delay_alu instid0(VALU_DEP_2) | instskip(NEXT) | instid1(VALU_DEP_2)
	v_cmp_le_u32_e64 s3, v22, v26
	v_cmp_le_u32_e64 s4, v13, v27
	s_delay_alu instid0(VALU_DEP_1) | instskip(NEXT) | instid1(SALU_CYCLE_1)
	s_or_b32 s3, s3, s4
	s_and_saveexec_b32 s11, s3
	s_cbranch_execz .LBB1559_93
; %bb.88:
	v_cmp_lt_u32_e64 s3, v22, v26
                                        ; implicit-def: $vgpr11
	s_delay_alu instid0(VALU_DEP_1)
	s_and_saveexec_b32 s5, s3
	s_cbranch_execz .LBB1559_90
; %bb.89:
	v_add_co_u32 v11, s4, v9, v22
	s_delay_alu instid0(VALU_DEP_1)
	v_add_co_ci_u32_e64 v12, s4, 0, v10, s4
	flat_load_u8 v11, v[11:12]
.LBB1559_90:
	s_or_b32 exec_lo, exec_lo, s5
	v_cmp_ge_u32_e64 s4, v13, v27
	s_mov_b32 s6, exec_lo
                                        ; implicit-def: $vgpr12
	v_cmpx_lt_u32_e64 v13, v27
	s_cbranch_execz .LBB1559_92
; %bb.91:
	v_add_co_u32 v14, s5, v9, v13
	s_delay_alu instid0(VALU_DEP_1)
	v_add_co_ci_u32_e64 v15, s5, 0, v10, s5
	flat_load_u8 v12, v[14:15]
.LBB1559_92:
	s_or_b32 exec_lo, exec_lo, s6
	s_waitcnt vmcnt(0) lgkmcnt(0)
	v_and_b32_e32 v14, 0xff, v11
	v_and_b32_e32 v15, 0xff, v12
	s_delay_alu instid0(VALU_DEP_1) | instskip(NEXT) | instid1(VALU_DEP_1)
	v_cmp_le_u16_e64 s5, v15, v14
	s_and_b32 s3, s3, s5
	s_delay_alu instid0(SALU_CYCLE_1) | instskip(NEXT) | instid1(SALU_CYCLE_1)
	s_or_b32 s3, s4, s3
	v_cndmask_b32_e64 v14, v13, v22, s3
	v_cndmask_b32_e64 v15, v27, v26, s3
	;; [unrolled: 1-line block ×3, first 2 shown]
	s_delay_alu instid0(VALU_DEP_3) | instskip(NEXT) | instid1(VALU_DEP_3)
	v_add_nc_u32_e32 v17, 1, v14
	v_add_nc_u32_e32 v15, -1, v15
	s_delay_alu instid0(VALU_DEP_2) | instskip(NEXT) | instid1(VALU_DEP_2)
	v_cndmask_b32_e64 v20, v22, v17, s3
	v_min_u32_e32 v15, v17, v15
	v_cndmask_b32_e64 v13, v17, v13, s3
	s_delay_alu instid0(VALU_DEP_2) | instskip(NEXT) | instid1(VALU_DEP_1)
	v_add_co_u32 v15, s4, v9, v15
	v_add_co_ci_u32_e64 v16, s4, 0, v10, s4
	v_cmp_lt_u32_e64 s4, v20, v26
	s_delay_alu instid0(VALU_DEP_4) | instskip(SKIP_4) | instid1(VALU_DEP_2)
	v_cmp_ge_u32_e64 s6, v13, v27
	flat_load_u8 v15, v[15:16]
	s_waitcnt vmcnt(0) lgkmcnt(0)
	v_cndmask_b32_e64 v23, v15, v12, s3
	v_cndmask_b32_e64 v24, v11, v15, s3
	v_and_b32_e32 v15, 0xff, v23
	s_delay_alu instid0(VALU_DEP_2) | instskip(NEXT) | instid1(VALU_DEP_1)
	v_and_b32_e32 v16, 0xff, v24
	v_cmp_le_u16_e64 s5, v15, v16
	v_mov_b32_e32 v15, 0
	s_delay_alu instid0(VALU_DEP_2) | instskip(NEXT) | instid1(VALU_DEP_1)
	s_and_b32 s4, s5, s4
	v_lshlrev_b64 v[16:17], 3, v[14:15]
	s_or_b32 s4, s6, s4
	s_delay_alu instid0(SALU_CYCLE_1) | instskip(SKIP_2) | instid1(VALU_DEP_3)
	v_cndmask_b32_e64 v14, v13, v20, s4
	v_cndmask_b32_e64 v18, v27, v26, s4
	;; [unrolled: 1-line block ×3, first 2 shown]
	v_add_nc_u32_e32 v21, 1, v14
	s_delay_alu instid0(VALU_DEP_3) | instskip(NEXT) | instid1(VALU_DEP_2)
	v_add_nc_u32_e32 v18, -1, v18
	v_cndmask_b32_e64 v20, v20, v21, s4
	s_delay_alu instid0(VALU_DEP_2) | instskip(SKIP_1) | instid1(VALU_DEP_2)
	v_min_u32_e32 v18, v21, v18
	v_cndmask_b32_e64 v13, v21, v13, s4
	v_add_co_u32 v18, s5, v9, v18
	s_delay_alu instid0(VALU_DEP_1) | instskip(SKIP_1) | instid1(VALU_DEP_4)
	v_add_co_ci_u32_e64 v19, s5, 0, v10, s5
	v_cmp_lt_u32_e64 s5, v20, v26
	v_cmp_ge_u32_e64 s7, v13, v27
	flat_load_u8 v18, v[18:19]
	s_waitcnt vmcnt(0) lgkmcnt(0)
	v_cndmask_b32_e64 v22, v18, v23, s4
	v_cndmask_b32_e64 v25, v24, v18, s4
	s_delay_alu instid0(VALU_DEP_2) | instskip(NEXT) | instid1(VALU_DEP_2)
	v_and_b32_e32 v18, 0xff, v22
	v_and_b32_e32 v19, 0xff, v25
	s_delay_alu instid0(VALU_DEP_1) | instskip(SKIP_1) | instid1(VALU_DEP_2)
	v_cmp_le_u16_e64 s6, v18, v19
	v_lshlrev_b64 v[18:19], 3, v[14:15]
	s_and_b32 s5, s6, s5
	s_delay_alu instid0(SALU_CYCLE_1) | instskip(NEXT) | instid1(SALU_CYCLE_1)
	s_or_b32 s5, s7, s5
	v_cndmask_b32_e64 v14, v13, v20, s5
	v_cndmask_b32_e64 v21, v27, v26, s5
	;; [unrolled: 1-line block ×3, first 2 shown]
	s_delay_alu instid0(VALU_DEP_3) | instskip(NEXT) | instid1(VALU_DEP_3)
	v_add_nc_u32_e32 v28, 1, v14
	v_add_nc_u32_e32 v21, -1, v21
	s_delay_alu instid0(VALU_DEP_2) | instskip(NEXT) | instid1(VALU_DEP_2)
	v_cndmask_b32_e64 v20, v20, v28, s5
	v_min_u32_e32 v21, v28, v21
	v_cndmask_b32_e64 v13, v28, v13, s5
	s_delay_alu instid0(VALU_DEP_3) | instskip(NEXT) | instid1(VALU_DEP_3)
	v_cmp_lt_u32_e64 s7, v20, v26
	v_add_co_u32 v9, s6, v9, v21
	s_delay_alu instid0(VALU_DEP_1) | instskip(NEXT) | instid1(VALU_DEP_4)
	v_add_co_ci_u32_e64 v10, s6, 0, v10, s6
	v_cmp_ge_u32_e64 s6, v13, v27
	flat_load_u8 v9, v[9:10]
	s_waitcnt vmcnt(0) lgkmcnt(0)
	v_cndmask_b32_e64 v29, v9, v22, s5
	v_cndmask_b32_e64 v31, v25, v9, s5
	s_delay_alu instid0(VALU_DEP_2) | instskip(NEXT) | instid1(VALU_DEP_2)
	v_and_b32_e32 v9, 0xff, v29
	v_and_b32_e32 v10, 0xff, v31
	s_delay_alu instid0(VALU_DEP_1) | instskip(SKIP_1) | instid1(VALU_DEP_1)
	v_cmp_le_u16_e64 s8, v9, v10
	v_add_co_u32 v9, s9, v4, v16
	v_add_co_ci_u32_e64 v10, s9, v5, v17, s9
	s_delay_alu instid0(VALU_DEP_3)
	s_and_b32 s7, s8, s7
	v_lshlrev_b64 v[16:17], 3, v[14:15]
	s_or_b32 s6, s6, s7
	v_add_co_u32 v18, s7, v4, v18
	v_cndmask_b32_e64 v14, v13, v20, s6
	v_add_co_ci_u32_e64 v19, s7, v5, v19, s7
	s_delay_alu instid0(VALU_DEP_4) | instskip(NEXT) | instid1(VALU_DEP_3)
	v_add_co_u32 v20, s7, v4, v16
	v_lshlrev_b64 v[13:14], 3, v[14:15]
	v_add_co_ci_u32_e64 v21, s7, v5, v17, s7
	v_cndmask_b32_e64 v82, v29, v31, s6
	s_delay_alu instid0(VALU_DEP_3) | instskip(NEXT) | instid1(VALU_DEP_1)
	v_add_co_u32 v4, s7, v4, v13
	v_add_co_ci_u32_e64 v5, s7, v5, v14, s7
	s_clause 0x3
	flat_load_b64 v[14:15], v[9:10] offset:1024
	flat_load_b64 v[16:17], v[18:19] offset:1024
	;; [unrolled: 1-line block ×4, first 2 shown]
.LBB1559_93:
	s_or_b32 exec_lo, exec_lo, s11
	; wave barrier
	s_waitcnt vmcnt(0) lgkmcnt(0)
	s_waitcnt_vscnt null, 0x0
	s_barrier
.LBB1559_94:
	s_or_b32 exec_lo, exec_lo, s10
	v_add_co_u32 v2, s3, v2, v8
	s_delay_alu instid0(VALU_DEP_1) | instskip(SKIP_4) | instid1(VALU_DEP_1)
	v_add_co_ci_u32_e64 v3, s3, 0, v3, s3
	s_waitcnt vmcnt(0) lgkmcnt(0)
	s_waitcnt_vscnt null, 0x0
	buffer_gl0_inv
	v_add_co_u32 v2, s3, v2, v30
	v_add_co_ci_u32_e64 v3, s3, 0, v3, s3
	; wave barrier
	s_and_saveexec_b32 s3, vcc_lo
	s_cbranch_execz .LBB1559_100
; %bb.95:
	flat_store_b8 v[2:3], v83
	s_or_b32 exec_lo, exec_lo, s3
	s_and_saveexec_b32 s3, s0
	s_cbranch_execnz .LBB1559_101
.LBB1559_96:
	s_or_b32 exec_lo, exec_lo, s3
	s_and_saveexec_b32 s3, s1
	s_cbranch_execz .LBB1559_102
.LBB1559_97:
	flat_store_b8 v[2:3], v49 offset:2
	s_or_b32 exec_lo, exec_lo, s3
	s_and_saveexec_b32 s3, s2
	s_cbranch_execnz .LBB1559_103
	s_branch .LBB1559_104
.LBB1559_98:
	s_or_b32 exec_lo, exec_lo, s3
                                        ; implicit-def: $vgpr18_vgpr19
	s_and_saveexec_b32 s3, s1
	s_cbranch_execz .LBB1559_12
.LBB1559_99:
	flat_load_b64 v[36:37], v[4:5] offset:16
	s_waitcnt vmcnt(0) lgkmcnt(0)
	v_dual_mov_b32 v18, v36 :: v_dual_mov_b32 v19, v37
	s_or_b32 exec_lo, exec_lo, s3
	s_and_saveexec_b32 s3, s2
	s_cbranch_execnz .LBB1559_13
	s_branch .LBB1559_14
.LBB1559_100:
	s_or_b32 exec_lo, exec_lo, s3
	s_and_saveexec_b32 s3, s0
	s_cbranch_execz .LBB1559_96
.LBB1559_101:
	flat_store_b8 v[2:3], v48 offset:1
	s_or_b32 exec_lo, exec_lo, s3
	s_and_saveexec_b32 s3, s1
	s_cbranch_execnz .LBB1559_97
.LBB1559_102:
	s_or_b32 exec_lo, exec_lo, s3
	s_and_saveexec_b32 s3, s2
	s_cbranch_execz .LBB1559_104
.LBB1559_103:
	flat_store_b8 v[2:3], v82 offset:3
.LBB1559_104:
	s_or_b32 exec_lo, exec_lo, s3
	v_add_co_u32 v0, s3, v6, v0
	s_delay_alu instid0(VALU_DEP_1) | instskip(NEXT) | instid1(VALU_DEP_2)
	v_add_co_ci_u32_e64 v1, s3, v7, v1, s3
	v_add_co_u32 v0, s3, v0, v80
	s_delay_alu instid0(VALU_DEP_1)
	v_add_co_ci_u32_e64 v1, s3, 0, v1, s3
	; wave barrier
	s_and_saveexec_b32 s3, vcc_lo
	s_cbranch_execz .LBB1559_109
; %bb.105:
	flat_store_b64 v[0:1], v[14:15]
	s_or_b32 exec_lo, exec_lo, s3
	s_and_saveexec_b32 s3, s0
	s_cbranch_execnz .LBB1559_110
.LBB1559_106:
	s_or_b32 exec_lo, exec_lo, s3
	s_and_saveexec_b32 s0, s1
	s_cbranch_execz .LBB1559_111
.LBB1559_107:
	flat_store_b64 v[0:1], v[18:19] offset:16
	s_or_b32 exec_lo, exec_lo, s0
	s_and_saveexec_b32 s0, s2
	s_cbranch_execnz .LBB1559_112
.LBB1559_108:
	s_or_b32 exec_lo, exec_lo, s0
	s_waitcnt lgkmcnt(0)
	s_setpc_b64 s[30:31]
.LBB1559_109:
	s_or_b32 exec_lo, exec_lo, s3
	s_and_saveexec_b32 s3, s0
	s_cbranch_execz .LBB1559_106
.LBB1559_110:
	flat_store_b64 v[0:1], v[16:17] offset:8
	s_or_b32 exec_lo, exec_lo, s3
	s_and_saveexec_b32 s0, s1
	s_cbranch_execnz .LBB1559_107
.LBB1559_111:
	s_or_b32 exec_lo, exec_lo, s0
	s_and_saveexec_b32 s0, s2
	s_cbranch_execz .LBB1559_108
.LBB1559_112:
	flat_store_b64 v[0:1], v[20:21] offset:24
	s_or_b32 exec_lo, exec_lo, s0
	s_waitcnt lgkmcnt(0)
	s_setpc_b64 s[30:31]
.Lfunc_end1559:
	.size	_ZN7rocprim17ROCPRIM_400000_NS6detail26segmented_warp_sort_helperINS1_20WarpSortHelperConfigILj8ELj4ELj256EEEblLi256ELb1EvE4sortIPKbPbPKlPlEEvT_T0_T1_T2_jjjjRNS5_12storage_typeE, .Lfunc_end1559-_ZN7rocprim17ROCPRIM_400000_NS6detail26segmented_warp_sort_helperINS1_20WarpSortHelperConfigILj8ELj4ELj256EEEblLi256ELb1EvE4sortIPKbPbPKlPlEEvT_T0_T1_T2_jjjjRNS5_12storage_typeE
                                        ; -- End function
	.section	.AMDGPU.csdata,"",@progbits
; Function info:
; codeLenInByte = 9648
; NumSgprs: 34
; NumVgprs: 84
; ScratchSize: 0
; MemoryBound: 1
	.section	.text._ZN7rocprim17ROCPRIM_400000_NS6detail17trampoline_kernelINS0_14default_configENS1_36segmented_radix_sort_config_selectorIblEEZNS1_25segmented_radix_sort_implIS3_Lb1EPKbPbPKlPlN2at6native12_GLOBAL__N_18offset_tEEE10hipError_tPvRmT1_PNSt15iterator_traitsISK_E10value_typeET2_T3_PNSL_ISQ_E10value_typeET4_jRbjT5_SW_jjP12ihipStream_tbEUlT_E1_NS1_11comp_targetILNS1_3genE9ELNS1_11target_archE1100ELNS1_3gpuE3ELNS1_3repE0EEENS1_59segmented_radix_sort_warp_sort_small_config_static_selectorELNS0_4arch9wavefront6targetE0EEEvSK_,"axG",@progbits,_ZN7rocprim17ROCPRIM_400000_NS6detail17trampoline_kernelINS0_14default_configENS1_36segmented_radix_sort_config_selectorIblEEZNS1_25segmented_radix_sort_implIS3_Lb1EPKbPbPKlPlN2at6native12_GLOBAL__N_18offset_tEEE10hipError_tPvRmT1_PNSt15iterator_traitsISK_E10value_typeET2_T3_PNSL_ISQ_E10value_typeET4_jRbjT5_SW_jjP12ihipStream_tbEUlT_E1_NS1_11comp_targetILNS1_3genE9ELNS1_11target_archE1100ELNS1_3gpuE3ELNS1_3repE0EEENS1_59segmented_radix_sort_warp_sort_small_config_static_selectorELNS0_4arch9wavefront6targetE0EEEvSK_,comdat
	.globl	_ZN7rocprim17ROCPRIM_400000_NS6detail17trampoline_kernelINS0_14default_configENS1_36segmented_radix_sort_config_selectorIblEEZNS1_25segmented_radix_sort_implIS3_Lb1EPKbPbPKlPlN2at6native12_GLOBAL__N_18offset_tEEE10hipError_tPvRmT1_PNSt15iterator_traitsISK_E10value_typeET2_T3_PNSL_ISQ_E10value_typeET4_jRbjT5_SW_jjP12ihipStream_tbEUlT_E1_NS1_11comp_targetILNS1_3genE9ELNS1_11target_archE1100ELNS1_3gpuE3ELNS1_3repE0EEENS1_59segmented_radix_sort_warp_sort_small_config_static_selectorELNS0_4arch9wavefront6targetE0EEEvSK_ ; -- Begin function _ZN7rocprim17ROCPRIM_400000_NS6detail17trampoline_kernelINS0_14default_configENS1_36segmented_radix_sort_config_selectorIblEEZNS1_25segmented_radix_sort_implIS3_Lb1EPKbPbPKlPlN2at6native12_GLOBAL__N_18offset_tEEE10hipError_tPvRmT1_PNSt15iterator_traitsISK_E10value_typeET2_T3_PNSL_ISQ_E10value_typeET4_jRbjT5_SW_jjP12ihipStream_tbEUlT_E1_NS1_11comp_targetILNS1_3genE9ELNS1_11target_archE1100ELNS1_3gpuE3ELNS1_3repE0EEENS1_59segmented_radix_sort_warp_sort_small_config_static_selectorELNS0_4arch9wavefront6targetE0EEEvSK_
	.p2align	8
	.type	_ZN7rocprim17ROCPRIM_400000_NS6detail17trampoline_kernelINS0_14default_configENS1_36segmented_radix_sort_config_selectorIblEEZNS1_25segmented_radix_sort_implIS3_Lb1EPKbPbPKlPlN2at6native12_GLOBAL__N_18offset_tEEE10hipError_tPvRmT1_PNSt15iterator_traitsISK_E10value_typeET2_T3_PNSL_ISQ_E10value_typeET4_jRbjT5_SW_jjP12ihipStream_tbEUlT_E1_NS1_11comp_targetILNS1_3genE9ELNS1_11target_archE1100ELNS1_3gpuE3ELNS1_3repE0EEENS1_59segmented_radix_sort_warp_sort_small_config_static_selectorELNS0_4arch9wavefront6targetE0EEEvSK_,@function
_ZN7rocprim17ROCPRIM_400000_NS6detail17trampoline_kernelINS0_14default_configENS1_36segmented_radix_sort_config_selectorIblEEZNS1_25segmented_radix_sort_implIS3_Lb1EPKbPbPKlPlN2at6native12_GLOBAL__N_18offset_tEEE10hipError_tPvRmT1_PNSt15iterator_traitsISK_E10value_typeET2_T3_PNSL_ISQ_E10value_typeET4_jRbjT5_SW_jjP12ihipStream_tbEUlT_E1_NS1_11comp_targetILNS1_3genE9ELNS1_11target_archE1100ELNS1_3gpuE3ELNS1_3repE0EEENS1_59segmented_radix_sort_warp_sort_small_config_static_selectorELNS0_4arch9wavefront6targetE0EEEvSK_: ; @_ZN7rocprim17ROCPRIM_400000_NS6detail17trampoline_kernelINS0_14default_configENS1_36segmented_radix_sort_config_selectorIblEEZNS1_25segmented_radix_sort_implIS3_Lb1EPKbPbPKlPlN2at6native12_GLOBAL__N_18offset_tEEE10hipError_tPvRmT1_PNSt15iterator_traitsISK_E10value_typeET2_T3_PNSL_ISQ_E10value_typeET4_jRbjT5_SW_jjP12ihipStream_tbEUlT_E1_NS1_11comp_targetILNS1_3genE9ELNS1_11target_archE1100ELNS1_3gpuE3ELNS1_3repE0EEENS1_59segmented_radix_sort_warp_sort_small_config_static_selectorELNS0_4arch9wavefront6targetE0EEEvSK_
; %bb.0:
	s_load_b32 s2, s[0:1], 0x64
	v_bfe_u32 v1, v0, 10, 10
	v_bfe_u32 v2, v0, 20, 10
	s_mov_b32 s12, s14
	s_mov_b32 s32, 0
	s_waitcnt lgkmcnt(0)
	s_lshr_b32 s3, s2, 16
	s_and_b32 s2, s2, 0xffff
	v_mad_u32_u24 v4, v2, s3, v1
	v_and_b32_e32 v1, 0x3ff, v0
	s_load_b32 s3, s[0:1], 0x34
	s_delay_alu instid0(VALU_DEP_1) | instskip(SKIP_1) | instid1(VALU_DEP_1)
	v_mad_u64_u32 v[2:3], null, v4, s2, v[1:2]
	s_mov_b32 s2, exec_lo
	v_lshrrev_b32_e32 v1, 3, v2
	s_delay_alu instid0(VALU_DEP_1) | instskip(SKIP_1) | instid1(VALU_DEP_1)
	v_lshl_add_u32 v1, s12, 5, v1
	s_waitcnt lgkmcnt(0)
	v_cmpx_gt_u32_e64 s3, v1
	s_cbranch_execz .LBB1560_6
; %bb.1:
	s_clause 0x1
	s_load_b64 s[2:3], s[0:1], 0x38
	s_load_b128 s[4:7], s[0:1], 0x40
	v_mov_b32_e32 v2, 0
	s_delay_alu instid0(VALU_DEP_1) | instskip(SKIP_1) | instid1(VALU_DEP_1)
	v_lshlrev_b64 v[1:2], 2, v[1:2]
	s_waitcnt lgkmcnt(0)
	v_sub_co_u32 v1, vcc_lo, s2, v1
	s_delay_alu instid0(VALU_DEP_2) | instskip(SKIP_4) | instid1(VALU_DEP_2)
	v_sub_co_ci_u32_e32 v2, vcc_lo, s3, v2, vcc_lo
	global_load_b32 v1, v[1:2], off offset:-4
	s_waitcnt vmcnt(0)
	v_add_nc_u32_e32 v2, s5, v1
	v_add_nc_u32_e32 v1, s7, v1
	v_mul_lo_u32 v8, v2, s4
	s_delay_alu instid0(VALU_DEP_2) | instskip(NEXT) | instid1(VALU_DEP_1)
	v_mul_lo_u32 v40, v1, s6
	v_cmp_gt_u32_e32 vcc_lo, v40, v8
	s_and_b32 exec_lo, exec_lo, vcc_lo
	s_cbranch_execz .LBB1560_6
; %bb.2:
	s_clause 0x3
	s_load_b32 s2, s[0:1], 0x30
	s_load_b128 s[24:27], s[0:1], 0x20
	s_load_b256 s[16:23], s[0:1], 0x0
	s_load_b64 s[28:29], s[0:1], 0x50
	s_mov_b32 s13, s15
	s_waitcnt lgkmcnt(0)
	s_bitcmp0_b32 s2, 0
	s_mov_b32 s2, -1
	s_cbranch_scc0 .LBB1560_4
; %bb.3:
	s_mov_b64 s[2:3], src_shared_base
	v_mov_b32_e32 v31, v0
	v_dual_mov_b32 v41, v0 :: v_dual_mov_b32 v2, s18
	v_dual_mov_b32 v0, s16 :: v_dual_mov_b32 v1, s17
	;; [unrolled: 1-line block ×6, first 2 shown]
	v_mov_b32_e32 v11, s29
	v_mov_b32_e32 v13, s3
	s_add_u32 s8, s0, 0x58
	s_addc_u32 s9, s1, 0
	s_getpc_b64 s[4:5]
	s_add_u32 s4, s4, _ZN7rocprim17ROCPRIM_400000_NS6detail26segmented_warp_sort_helperINS1_20WarpSortHelperConfigILj8ELj4ELj256EEEblLi256ELb1EvE4sortIPKbPbPKlPlEEvT_T0_T1_T2_jjjjRNS5_12storage_typeE@rel32@lo+4
	s_addc_u32 s5, s5, _ZN7rocprim17ROCPRIM_400000_NS6detail26segmented_warp_sort_helperINS1_20WarpSortHelperConfigILj8ELj4ELj256EEEblLi256ELb1EvE4sortIPKbPbPKlPlEEvT_T0_T1_T2_jjjjRNS5_12storage_typeE@rel32@hi+12
	s_mov_b64 s[18:19], s[0:1]
	s_swappc_b64 s[30:31], s[4:5]
	v_mov_b32_e32 v0, v41
	s_mov_b64 s[0:1], s[18:19]
	s_mov_b32 s2, 0
.LBB1560_4:
	s_delay_alu instid0(SALU_CYCLE_1)
	s_and_not1_b32 vcc_lo, exec_lo, s2
	s_cbranch_vccnz .LBB1560_6
; %bb.5:
	s_add_u32 s8, s0, 0x58
	s_addc_u32 s9, s1, 0
	s_mov_b64 s[0:1], src_shared_base
	v_dual_mov_b32 v31, v0 :: v_dual_mov_b32 v0, s16
	v_dual_mov_b32 v1, s17 :: v_dual_mov_b32 v2, s20
	v_dual_mov_b32 v3, s21 :: v_dual_mov_b32 v4, s22
	v_dual_mov_b32 v5, s23 :: v_dual_mov_b32 v6, s26
	v_dual_mov_b32 v7, s27 :: v_dual_mov_b32 v10, s28
	v_dual_mov_b32 v9, v40 :: v_dual_mov_b32 v12, 0
	v_mov_b32_e32 v11, s29
	v_mov_b32_e32 v13, s1
	s_getpc_b64 s[2:3]
	s_add_u32 s2, s2, _ZN7rocprim17ROCPRIM_400000_NS6detail26segmented_warp_sort_helperINS1_20WarpSortHelperConfigILj8ELj4ELj256EEEblLi256ELb1EvE4sortIPKbPbPKlPlEEvT_T0_T1_T2_jjjjRNS5_12storage_typeE@rel32@lo+4
	s_addc_u32 s3, s3, _ZN7rocprim17ROCPRIM_400000_NS6detail26segmented_warp_sort_helperINS1_20WarpSortHelperConfigILj8ELj4ELj256EEEblLi256ELb1EvE4sortIPKbPbPKlPlEEvT_T0_T1_T2_jjjjRNS5_12storage_typeE@rel32@hi+12
	s_delay_alu instid0(SALU_CYCLE_1)
	s_swappc_b64 s[30:31], s[2:3]
.LBB1560_6:
	s_endpgm
	.section	.rodata,"a",@progbits
	.p2align	6, 0x0
	.amdhsa_kernel _ZN7rocprim17ROCPRIM_400000_NS6detail17trampoline_kernelINS0_14default_configENS1_36segmented_radix_sort_config_selectorIblEEZNS1_25segmented_radix_sort_implIS3_Lb1EPKbPbPKlPlN2at6native12_GLOBAL__N_18offset_tEEE10hipError_tPvRmT1_PNSt15iterator_traitsISK_E10value_typeET2_T3_PNSL_ISQ_E10value_typeET4_jRbjT5_SW_jjP12ihipStream_tbEUlT_E1_NS1_11comp_targetILNS1_3genE9ELNS1_11target_archE1100ELNS1_3gpuE3ELNS1_3repE0EEENS1_59segmented_radix_sort_warp_sort_small_config_static_selectorELNS0_4arch9wavefront6targetE0EEEvSK_
		.amdhsa_group_segment_fixed_size 9216
		.amdhsa_private_segment_fixed_size 0
		.amdhsa_kernarg_size 344
		.amdhsa_user_sgpr_count 14
		.amdhsa_user_sgpr_dispatch_ptr 0
		.amdhsa_user_sgpr_queue_ptr 0
		.amdhsa_user_sgpr_kernarg_segment_ptr 1
		.amdhsa_user_sgpr_dispatch_id 0
		.amdhsa_user_sgpr_private_segment_size 0
		.amdhsa_wavefront_size32 1
		.amdhsa_uses_dynamic_stack 0
		.amdhsa_enable_private_segment 0
		.amdhsa_system_sgpr_workgroup_id_x 1
		.amdhsa_system_sgpr_workgroup_id_y 1
		.amdhsa_system_sgpr_workgroup_id_z 0
		.amdhsa_system_sgpr_workgroup_info 0
		.amdhsa_system_vgpr_workitem_id 2
		.amdhsa_next_free_vgpr 84
		.amdhsa_next_free_sgpr 33
		.amdhsa_reserve_vcc 1
		.amdhsa_float_round_mode_32 0
		.amdhsa_float_round_mode_16_64 0
		.amdhsa_float_denorm_mode_32 3
		.amdhsa_float_denorm_mode_16_64 3
		.amdhsa_dx10_clamp 1
		.amdhsa_ieee_mode 1
		.amdhsa_fp16_overflow 0
		.amdhsa_workgroup_processor_mode 1
		.amdhsa_memory_ordered 1
		.amdhsa_forward_progress 0
		.amdhsa_shared_vgpr_count 0
		.amdhsa_exception_fp_ieee_invalid_op 0
		.amdhsa_exception_fp_denorm_src 0
		.amdhsa_exception_fp_ieee_div_zero 0
		.amdhsa_exception_fp_ieee_overflow 0
		.amdhsa_exception_fp_ieee_underflow 0
		.amdhsa_exception_fp_ieee_inexact 0
		.amdhsa_exception_int_div_zero 0
	.end_amdhsa_kernel
	.section	.text._ZN7rocprim17ROCPRIM_400000_NS6detail17trampoline_kernelINS0_14default_configENS1_36segmented_radix_sort_config_selectorIblEEZNS1_25segmented_radix_sort_implIS3_Lb1EPKbPbPKlPlN2at6native12_GLOBAL__N_18offset_tEEE10hipError_tPvRmT1_PNSt15iterator_traitsISK_E10value_typeET2_T3_PNSL_ISQ_E10value_typeET4_jRbjT5_SW_jjP12ihipStream_tbEUlT_E1_NS1_11comp_targetILNS1_3genE9ELNS1_11target_archE1100ELNS1_3gpuE3ELNS1_3repE0EEENS1_59segmented_radix_sort_warp_sort_small_config_static_selectorELNS0_4arch9wavefront6targetE0EEEvSK_,"axG",@progbits,_ZN7rocprim17ROCPRIM_400000_NS6detail17trampoline_kernelINS0_14default_configENS1_36segmented_radix_sort_config_selectorIblEEZNS1_25segmented_radix_sort_implIS3_Lb1EPKbPbPKlPlN2at6native12_GLOBAL__N_18offset_tEEE10hipError_tPvRmT1_PNSt15iterator_traitsISK_E10value_typeET2_T3_PNSL_ISQ_E10value_typeET4_jRbjT5_SW_jjP12ihipStream_tbEUlT_E1_NS1_11comp_targetILNS1_3genE9ELNS1_11target_archE1100ELNS1_3gpuE3ELNS1_3repE0EEENS1_59segmented_radix_sort_warp_sort_small_config_static_selectorELNS0_4arch9wavefront6targetE0EEEvSK_,comdat
.Lfunc_end1560:
	.size	_ZN7rocprim17ROCPRIM_400000_NS6detail17trampoline_kernelINS0_14default_configENS1_36segmented_radix_sort_config_selectorIblEEZNS1_25segmented_radix_sort_implIS3_Lb1EPKbPbPKlPlN2at6native12_GLOBAL__N_18offset_tEEE10hipError_tPvRmT1_PNSt15iterator_traitsISK_E10value_typeET2_T3_PNSL_ISQ_E10value_typeET4_jRbjT5_SW_jjP12ihipStream_tbEUlT_E1_NS1_11comp_targetILNS1_3genE9ELNS1_11target_archE1100ELNS1_3gpuE3ELNS1_3repE0EEENS1_59segmented_radix_sort_warp_sort_small_config_static_selectorELNS0_4arch9wavefront6targetE0EEEvSK_, .Lfunc_end1560-_ZN7rocprim17ROCPRIM_400000_NS6detail17trampoline_kernelINS0_14default_configENS1_36segmented_radix_sort_config_selectorIblEEZNS1_25segmented_radix_sort_implIS3_Lb1EPKbPbPKlPlN2at6native12_GLOBAL__N_18offset_tEEE10hipError_tPvRmT1_PNSt15iterator_traitsISK_E10value_typeET2_T3_PNSL_ISQ_E10value_typeET4_jRbjT5_SW_jjP12ihipStream_tbEUlT_E1_NS1_11comp_targetILNS1_3genE9ELNS1_11target_archE1100ELNS1_3gpuE3ELNS1_3repE0EEENS1_59segmented_radix_sort_warp_sort_small_config_static_selectorELNS0_4arch9wavefront6targetE0EEEvSK_
                                        ; -- End function
	.section	.AMDGPU.csdata,"",@progbits
; Kernel info:
; codeLenInByte = 516
; NumSgprs: 35
; NumVgprs: 84
; ScratchSize: 0
; MemoryBound: 0
; FloatMode: 240
; IeeeMode: 1
; LDSByteSize: 9216 bytes/workgroup (compile time only)
; SGPRBlocks: 4
; VGPRBlocks: 10
; NumSGPRsForWavesPerEU: 35
; NumVGPRsForWavesPerEU: 84
; Occupancy: 16
; WaveLimiterHint : 0
; COMPUTE_PGM_RSRC2:SCRATCH_EN: 0
; COMPUTE_PGM_RSRC2:USER_SGPR: 14
; COMPUTE_PGM_RSRC2:TRAP_HANDLER: 0
; COMPUTE_PGM_RSRC2:TGID_X_EN: 1
; COMPUTE_PGM_RSRC2:TGID_Y_EN: 1
; COMPUTE_PGM_RSRC2:TGID_Z_EN: 0
; COMPUTE_PGM_RSRC2:TIDIG_COMP_CNT: 2
	.section	.text._ZN7rocprim17ROCPRIM_400000_NS6detail17trampoline_kernelINS0_14default_configENS1_36segmented_radix_sort_config_selectorIblEEZNS1_25segmented_radix_sort_implIS3_Lb1EPKbPbPKlPlN2at6native12_GLOBAL__N_18offset_tEEE10hipError_tPvRmT1_PNSt15iterator_traitsISK_E10value_typeET2_T3_PNSL_ISQ_E10value_typeET4_jRbjT5_SW_jjP12ihipStream_tbEUlT_E1_NS1_11comp_targetILNS1_3genE8ELNS1_11target_archE1030ELNS1_3gpuE2ELNS1_3repE0EEENS1_59segmented_radix_sort_warp_sort_small_config_static_selectorELNS0_4arch9wavefront6targetE0EEEvSK_,"axG",@progbits,_ZN7rocprim17ROCPRIM_400000_NS6detail17trampoline_kernelINS0_14default_configENS1_36segmented_radix_sort_config_selectorIblEEZNS1_25segmented_radix_sort_implIS3_Lb1EPKbPbPKlPlN2at6native12_GLOBAL__N_18offset_tEEE10hipError_tPvRmT1_PNSt15iterator_traitsISK_E10value_typeET2_T3_PNSL_ISQ_E10value_typeET4_jRbjT5_SW_jjP12ihipStream_tbEUlT_E1_NS1_11comp_targetILNS1_3genE8ELNS1_11target_archE1030ELNS1_3gpuE2ELNS1_3repE0EEENS1_59segmented_radix_sort_warp_sort_small_config_static_selectorELNS0_4arch9wavefront6targetE0EEEvSK_,comdat
	.globl	_ZN7rocprim17ROCPRIM_400000_NS6detail17trampoline_kernelINS0_14default_configENS1_36segmented_radix_sort_config_selectorIblEEZNS1_25segmented_radix_sort_implIS3_Lb1EPKbPbPKlPlN2at6native12_GLOBAL__N_18offset_tEEE10hipError_tPvRmT1_PNSt15iterator_traitsISK_E10value_typeET2_T3_PNSL_ISQ_E10value_typeET4_jRbjT5_SW_jjP12ihipStream_tbEUlT_E1_NS1_11comp_targetILNS1_3genE8ELNS1_11target_archE1030ELNS1_3gpuE2ELNS1_3repE0EEENS1_59segmented_radix_sort_warp_sort_small_config_static_selectorELNS0_4arch9wavefront6targetE0EEEvSK_ ; -- Begin function _ZN7rocprim17ROCPRIM_400000_NS6detail17trampoline_kernelINS0_14default_configENS1_36segmented_radix_sort_config_selectorIblEEZNS1_25segmented_radix_sort_implIS3_Lb1EPKbPbPKlPlN2at6native12_GLOBAL__N_18offset_tEEE10hipError_tPvRmT1_PNSt15iterator_traitsISK_E10value_typeET2_T3_PNSL_ISQ_E10value_typeET4_jRbjT5_SW_jjP12ihipStream_tbEUlT_E1_NS1_11comp_targetILNS1_3genE8ELNS1_11target_archE1030ELNS1_3gpuE2ELNS1_3repE0EEENS1_59segmented_radix_sort_warp_sort_small_config_static_selectorELNS0_4arch9wavefront6targetE0EEEvSK_
	.p2align	8
	.type	_ZN7rocprim17ROCPRIM_400000_NS6detail17trampoline_kernelINS0_14default_configENS1_36segmented_radix_sort_config_selectorIblEEZNS1_25segmented_radix_sort_implIS3_Lb1EPKbPbPKlPlN2at6native12_GLOBAL__N_18offset_tEEE10hipError_tPvRmT1_PNSt15iterator_traitsISK_E10value_typeET2_T3_PNSL_ISQ_E10value_typeET4_jRbjT5_SW_jjP12ihipStream_tbEUlT_E1_NS1_11comp_targetILNS1_3genE8ELNS1_11target_archE1030ELNS1_3gpuE2ELNS1_3repE0EEENS1_59segmented_radix_sort_warp_sort_small_config_static_selectorELNS0_4arch9wavefront6targetE0EEEvSK_,@function
_ZN7rocprim17ROCPRIM_400000_NS6detail17trampoline_kernelINS0_14default_configENS1_36segmented_radix_sort_config_selectorIblEEZNS1_25segmented_radix_sort_implIS3_Lb1EPKbPbPKlPlN2at6native12_GLOBAL__N_18offset_tEEE10hipError_tPvRmT1_PNSt15iterator_traitsISK_E10value_typeET2_T3_PNSL_ISQ_E10value_typeET4_jRbjT5_SW_jjP12ihipStream_tbEUlT_E1_NS1_11comp_targetILNS1_3genE8ELNS1_11target_archE1030ELNS1_3gpuE2ELNS1_3repE0EEENS1_59segmented_radix_sort_warp_sort_small_config_static_selectorELNS0_4arch9wavefront6targetE0EEEvSK_: ; @_ZN7rocprim17ROCPRIM_400000_NS6detail17trampoline_kernelINS0_14default_configENS1_36segmented_radix_sort_config_selectorIblEEZNS1_25segmented_radix_sort_implIS3_Lb1EPKbPbPKlPlN2at6native12_GLOBAL__N_18offset_tEEE10hipError_tPvRmT1_PNSt15iterator_traitsISK_E10value_typeET2_T3_PNSL_ISQ_E10value_typeET4_jRbjT5_SW_jjP12ihipStream_tbEUlT_E1_NS1_11comp_targetILNS1_3genE8ELNS1_11target_archE1030ELNS1_3gpuE2ELNS1_3repE0EEENS1_59segmented_radix_sort_warp_sort_small_config_static_selectorELNS0_4arch9wavefront6targetE0EEEvSK_
; %bb.0:
	.section	.rodata,"a",@progbits
	.p2align	6, 0x0
	.amdhsa_kernel _ZN7rocprim17ROCPRIM_400000_NS6detail17trampoline_kernelINS0_14default_configENS1_36segmented_radix_sort_config_selectorIblEEZNS1_25segmented_radix_sort_implIS3_Lb1EPKbPbPKlPlN2at6native12_GLOBAL__N_18offset_tEEE10hipError_tPvRmT1_PNSt15iterator_traitsISK_E10value_typeET2_T3_PNSL_ISQ_E10value_typeET4_jRbjT5_SW_jjP12ihipStream_tbEUlT_E1_NS1_11comp_targetILNS1_3genE8ELNS1_11target_archE1030ELNS1_3gpuE2ELNS1_3repE0EEENS1_59segmented_radix_sort_warp_sort_small_config_static_selectorELNS0_4arch9wavefront6targetE0EEEvSK_
		.amdhsa_group_segment_fixed_size 0
		.amdhsa_private_segment_fixed_size 0
		.amdhsa_kernarg_size 88
		.amdhsa_user_sgpr_count 15
		.amdhsa_user_sgpr_dispatch_ptr 0
		.amdhsa_user_sgpr_queue_ptr 0
		.amdhsa_user_sgpr_kernarg_segment_ptr 1
		.amdhsa_user_sgpr_dispatch_id 0
		.amdhsa_user_sgpr_private_segment_size 0
		.amdhsa_wavefront_size32 1
		.amdhsa_uses_dynamic_stack 0
		.amdhsa_enable_private_segment 0
		.amdhsa_system_sgpr_workgroup_id_x 1
		.amdhsa_system_sgpr_workgroup_id_y 0
		.amdhsa_system_sgpr_workgroup_id_z 0
		.amdhsa_system_sgpr_workgroup_info 0
		.amdhsa_system_vgpr_workitem_id 0
		.amdhsa_next_free_vgpr 1
		.amdhsa_next_free_sgpr 1
		.amdhsa_reserve_vcc 0
		.amdhsa_float_round_mode_32 0
		.amdhsa_float_round_mode_16_64 0
		.amdhsa_float_denorm_mode_32 3
		.amdhsa_float_denorm_mode_16_64 3
		.amdhsa_dx10_clamp 1
		.amdhsa_ieee_mode 1
		.amdhsa_fp16_overflow 0
		.amdhsa_workgroup_processor_mode 1
		.amdhsa_memory_ordered 1
		.amdhsa_forward_progress 0
		.amdhsa_shared_vgpr_count 0
		.amdhsa_exception_fp_ieee_invalid_op 0
		.amdhsa_exception_fp_denorm_src 0
		.amdhsa_exception_fp_ieee_div_zero 0
		.amdhsa_exception_fp_ieee_overflow 0
		.amdhsa_exception_fp_ieee_underflow 0
		.amdhsa_exception_fp_ieee_inexact 0
		.amdhsa_exception_int_div_zero 0
	.end_amdhsa_kernel
	.section	.text._ZN7rocprim17ROCPRIM_400000_NS6detail17trampoline_kernelINS0_14default_configENS1_36segmented_radix_sort_config_selectorIblEEZNS1_25segmented_radix_sort_implIS3_Lb1EPKbPbPKlPlN2at6native12_GLOBAL__N_18offset_tEEE10hipError_tPvRmT1_PNSt15iterator_traitsISK_E10value_typeET2_T3_PNSL_ISQ_E10value_typeET4_jRbjT5_SW_jjP12ihipStream_tbEUlT_E1_NS1_11comp_targetILNS1_3genE8ELNS1_11target_archE1030ELNS1_3gpuE2ELNS1_3repE0EEENS1_59segmented_radix_sort_warp_sort_small_config_static_selectorELNS0_4arch9wavefront6targetE0EEEvSK_,"axG",@progbits,_ZN7rocprim17ROCPRIM_400000_NS6detail17trampoline_kernelINS0_14default_configENS1_36segmented_radix_sort_config_selectorIblEEZNS1_25segmented_radix_sort_implIS3_Lb1EPKbPbPKlPlN2at6native12_GLOBAL__N_18offset_tEEE10hipError_tPvRmT1_PNSt15iterator_traitsISK_E10value_typeET2_T3_PNSL_ISQ_E10value_typeET4_jRbjT5_SW_jjP12ihipStream_tbEUlT_E1_NS1_11comp_targetILNS1_3genE8ELNS1_11target_archE1030ELNS1_3gpuE2ELNS1_3repE0EEENS1_59segmented_radix_sort_warp_sort_small_config_static_selectorELNS0_4arch9wavefront6targetE0EEEvSK_,comdat
.Lfunc_end1561:
	.size	_ZN7rocprim17ROCPRIM_400000_NS6detail17trampoline_kernelINS0_14default_configENS1_36segmented_radix_sort_config_selectorIblEEZNS1_25segmented_radix_sort_implIS3_Lb1EPKbPbPKlPlN2at6native12_GLOBAL__N_18offset_tEEE10hipError_tPvRmT1_PNSt15iterator_traitsISK_E10value_typeET2_T3_PNSL_ISQ_E10value_typeET4_jRbjT5_SW_jjP12ihipStream_tbEUlT_E1_NS1_11comp_targetILNS1_3genE8ELNS1_11target_archE1030ELNS1_3gpuE2ELNS1_3repE0EEENS1_59segmented_radix_sort_warp_sort_small_config_static_selectorELNS0_4arch9wavefront6targetE0EEEvSK_, .Lfunc_end1561-_ZN7rocprim17ROCPRIM_400000_NS6detail17trampoline_kernelINS0_14default_configENS1_36segmented_radix_sort_config_selectorIblEEZNS1_25segmented_radix_sort_implIS3_Lb1EPKbPbPKlPlN2at6native12_GLOBAL__N_18offset_tEEE10hipError_tPvRmT1_PNSt15iterator_traitsISK_E10value_typeET2_T3_PNSL_ISQ_E10value_typeET4_jRbjT5_SW_jjP12ihipStream_tbEUlT_E1_NS1_11comp_targetILNS1_3genE8ELNS1_11target_archE1030ELNS1_3gpuE2ELNS1_3repE0EEENS1_59segmented_radix_sort_warp_sort_small_config_static_selectorELNS0_4arch9wavefront6targetE0EEEvSK_
                                        ; -- End function
	.section	.AMDGPU.csdata,"",@progbits
; Kernel info:
; codeLenInByte = 0
; NumSgprs: 0
; NumVgprs: 0
; ScratchSize: 0
; MemoryBound: 0
; FloatMode: 240
; IeeeMode: 1
; LDSByteSize: 0 bytes/workgroup (compile time only)
; SGPRBlocks: 0
; VGPRBlocks: 0
; NumSGPRsForWavesPerEU: 1
; NumVGPRsForWavesPerEU: 1
; Occupancy: 16
; WaveLimiterHint : 0
; COMPUTE_PGM_RSRC2:SCRATCH_EN: 0
; COMPUTE_PGM_RSRC2:USER_SGPR: 15
; COMPUTE_PGM_RSRC2:TRAP_HANDLER: 0
; COMPUTE_PGM_RSRC2:TGID_X_EN: 1
; COMPUTE_PGM_RSRC2:TGID_Y_EN: 0
; COMPUTE_PGM_RSRC2:TGID_Z_EN: 0
; COMPUTE_PGM_RSRC2:TIDIG_COMP_CNT: 0
	.section	.text._ZN7rocprim17ROCPRIM_400000_NS6detail17trampoline_kernelINS0_14default_configENS1_36segmented_radix_sort_config_selectorIblEEZNS1_25segmented_radix_sort_implIS3_Lb1EPKbPbPKlPlN2at6native12_GLOBAL__N_18offset_tEEE10hipError_tPvRmT1_PNSt15iterator_traitsISK_E10value_typeET2_T3_PNSL_ISQ_E10value_typeET4_jRbjT5_SW_jjP12ihipStream_tbEUlT_E2_NS1_11comp_targetILNS1_3genE0ELNS1_11target_archE4294967295ELNS1_3gpuE0ELNS1_3repE0EEENS1_30default_config_static_selectorELNS0_4arch9wavefront6targetE0EEEvSK_,"axG",@progbits,_ZN7rocprim17ROCPRIM_400000_NS6detail17trampoline_kernelINS0_14default_configENS1_36segmented_radix_sort_config_selectorIblEEZNS1_25segmented_radix_sort_implIS3_Lb1EPKbPbPKlPlN2at6native12_GLOBAL__N_18offset_tEEE10hipError_tPvRmT1_PNSt15iterator_traitsISK_E10value_typeET2_T3_PNSL_ISQ_E10value_typeET4_jRbjT5_SW_jjP12ihipStream_tbEUlT_E2_NS1_11comp_targetILNS1_3genE0ELNS1_11target_archE4294967295ELNS1_3gpuE0ELNS1_3repE0EEENS1_30default_config_static_selectorELNS0_4arch9wavefront6targetE0EEEvSK_,comdat
	.globl	_ZN7rocprim17ROCPRIM_400000_NS6detail17trampoline_kernelINS0_14default_configENS1_36segmented_radix_sort_config_selectorIblEEZNS1_25segmented_radix_sort_implIS3_Lb1EPKbPbPKlPlN2at6native12_GLOBAL__N_18offset_tEEE10hipError_tPvRmT1_PNSt15iterator_traitsISK_E10value_typeET2_T3_PNSL_ISQ_E10value_typeET4_jRbjT5_SW_jjP12ihipStream_tbEUlT_E2_NS1_11comp_targetILNS1_3genE0ELNS1_11target_archE4294967295ELNS1_3gpuE0ELNS1_3repE0EEENS1_30default_config_static_selectorELNS0_4arch9wavefront6targetE0EEEvSK_ ; -- Begin function _ZN7rocprim17ROCPRIM_400000_NS6detail17trampoline_kernelINS0_14default_configENS1_36segmented_radix_sort_config_selectorIblEEZNS1_25segmented_radix_sort_implIS3_Lb1EPKbPbPKlPlN2at6native12_GLOBAL__N_18offset_tEEE10hipError_tPvRmT1_PNSt15iterator_traitsISK_E10value_typeET2_T3_PNSL_ISQ_E10value_typeET4_jRbjT5_SW_jjP12ihipStream_tbEUlT_E2_NS1_11comp_targetILNS1_3genE0ELNS1_11target_archE4294967295ELNS1_3gpuE0ELNS1_3repE0EEENS1_30default_config_static_selectorELNS0_4arch9wavefront6targetE0EEEvSK_
	.p2align	8
	.type	_ZN7rocprim17ROCPRIM_400000_NS6detail17trampoline_kernelINS0_14default_configENS1_36segmented_radix_sort_config_selectorIblEEZNS1_25segmented_radix_sort_implIS3_Lb1EPKbPbPKlPlN2at6native12_GLOBAL__N_18offset_tEEE10hipError_tPvRmT1_PNSt15iterator_traitsISK_E10value_typeET2_T3_PNSL_ISQ_E10value_typeET4_jRbjT5_SW_jjP12ihipStream_tbEUlT_E2_NS1_11comp_targetILNS1_3genE0ELNS1_11target_archE4294967295ELNS1_3gpuE0ELNS1_3repE0EEENS1_30default_config_static_selectorELNS0_4arch9wavefront6targetE0EEEvSK_,@function
_ZN7rocprim17ROCPRIM_400000_NS6detail17trampoline_kernelINS0_14default_configENS1_36segmented_radix_sort_config_selectorIblEEZNS1_25segmented_radix_sort_implIS3_Lb1EPKbPbPKlPlN2at6native12_GLOBAL__N_18offset_tEEE10hipError_tPvRmT1_PNSt15iterator_traitsISK_E10value_typeET2_T3_PNSL_ISQ_E10value_typeET4_jRbjT5_SW_jjP12ihipStream_tbEUlT_E2_NS1_11comp_targetILNS1_3genE0ELNS1_11target_archE4294967295ELNS1_3gpuE0ELNS1_3repE0EEENS1_30default_config_static_selectorELNS0_4arch9wavefront6targetE0EEEvSK_: ; @_ZN7rocprim17ROCPRIM_400000_NS6detail17trampoline_kernelINS0_14default_configENS1_36segmented_radix_sort_config_selectorIblEEZNS1_25segmented_radix_sort_implIS3_Lb1EPKbPbPKlPlN2at6native12_GLOBAL__N_18offset_tEEE10hipError_tPvRmT1_PNSt15iterator_traitsISK_E10value_typeET2_T3_PNSL_ISQ_E10value_typeET4_jRbjT5_SW_jjP12ihipStream_tbEUlT_E2_NS1_11comp_targetILNS1_3genE0ELNS1_11target_archE4294967295ELNS1_3gpuE0ELNS1_3repE0EEENS1_30default_config_static_selectorELNS0_4arch9wavefront6targetE0EEEvSK_
; %bb.0:
	.section	.rodata,"a",@progbits
	.p2align	6, 0x0
	.amdhsa_kernel _ZN7rocprim17ROCPRIM_400000_NS6detail17trampoline_kernelINS0_14default_configENS1_36segmented_radix_sort_config_selectorIblEEZNS1_25segmented_radix_sort_implIS3_Lb1EPKbPbPKlPlN2at6native12_GLOBAL__N_18offset_tEEE10hipError_tPvRmT1_PNSt15iterator_traitsISK_E10value_typeET2_T3_PNSL_ISQ_E10value_typeET4_jRbjT5_SW_jjP12ihipStream_tbEUlT_E2_NS1_11comp_targetILNS1_3genE0ELNS1_11target_archE4294967295ELNS1_3gpuE0ELNS1_3repE0EEENS1_30default_config_static_selectorELNS0_4arch9wavefront6targetE0EEEvSK_
		.amdhsa_group_segment_fixed_size 0
		.amdhsa_private_segment_fixed_size 0
		.amdhsa_kernarg_size 80
		.amdhsa_user_sgpr_count 15
		.amdhsa_user_sgpr_dispatch_ptr 0
		.amdhsa_user_sgpr_queue_ptr 0
		.amdhsa_user_sgpr_kernarg_segment_ptr 1
		.amdhsa_user_sgpr_dispatch_id 0
		.amdhsa_user_sgpr_private_segment_size 0
		.amdhsa_wavefront_size32 1
		.amdhsa_uses_dynamic_stack 0
		.amdhsa_enable_private_segment 0
		.amdhsa_system_sgpr_workgroup_id_x 1
		.amdhsa_system_sgpr_workgroup_id_y 0
		.amdhsa_system_sgpr_workgroup_id_z 0
		.amdhsa_system_sgpr_workgroup_info 0
		.amdhsa_system_vgpr_workitem_id 0
		.amdhsa_next_free_vgpr 1
		.amdhsa_next_free_sgpr 1
		.amdhsa_reserve_vcc 0
		.amdhsa_float_round_mode_32 0
		.amdhsa_float_round_mode_16_64 0
		.amdhsa_float_denorm_mode_32 3
		.amdhsa_float_denorm_mode_16_64 3
		.amdhsa_dx10_clamp 1
		.amdhsa_ieee_mode 1
		.amdhsa_fp16_overflow 0
		.amdhsa_workgroup_processor_mode 1
		.amdhsa_memory_ordered 1
		.amdhsa_forward_progress 0
		.amdhsa_shared_vgpr_count 0
		.amdhsa_exception_fp_ieee_invalid_op 0
		.amdhsa_exception_fp_denorm_src 0
		.amdhsa_exception_fp_ieee_div_zero 0
		.amdhsa_exception_fp_ieee_overflow 0
		.amdhsa_exception_fp_ieee_underflow 0
		.amdhsa_exception_fp_ieee_inexact 0
		.amdhsa_exception_int_div_zero 0
	.end_amdhsa_kernel
	.section	.text._ZN7rocprim17ROCPRIM_400000_NS6detail17trampoline_kernelINS0_14default_configENS1_36segmented_radix_sort_config_selectorIblEEZNS1_25segmented_radix_sort_implIS3_Lb1EPKbPbPKlPlN2at6native12_GLOBAL__N_18offset_tEEE10hipError_tPvRmT1_PNSt15iterator_traitsISK_E10value_typeET2_T3_PNSL_ISQ_E10value_typeET4_jRbjT5_SW_jjP12ihipStream_tbEUlT_E2_NS1_11comp_targetILNS1_3genE0ELNS1_11target_archE4294967295ELNS1_3gpuE0ELNS1_3repE0EEENS1_30default_config_static_selectorELNS0_4arch9wavefront6targetE0EEEvSK_,"axG",@progbits,_ZN7rocprim17ROCPRIM_400000_NS6detail17trampoline_kernelINS0_14default_configENS1_36segmented_radix_sort_config_selectorIblEEZNS1_25segmented_radix_sort_implIS3_Lb1EPKbPbPKlPlN2at6native12_GLOBAL__N_18offset_tEEE10hipError_tPvRmT1_PNSt15iterator_traitsISK_E10value_typeET2_T3_PNSL_ISQ_E10value_typeET4_jRbjT5_SW_jjP12ihipStream_tbEUlT_E2_NS1_11comp_targetILNS1_3genE0ELNS1_11target_archE4294967295ELNS1_3gpuE0ELNS1_3repE0EEENS1_30default_config_static_selectorELNS0_4arch9wavefront6targetE0EEEvSK_,comdat
.Lfunc_end1562:
	.size	_ZN7rocprim17ROCPRIM_400000_NS6detail17trampoline_kernelINS0_14default_configENS1_36segmented_radix_sort_config_selectorIblEEZNS1_25segmented_radix_sort_implIS3_Lb1EPKbPbPKlPlN2at6native12_GLOBAL__N_18offset_tEEE10hipError_tPvRmT1_PNSt15iterator_traitsISK_E10value_typeET2_T3_PNSL_ISQ_E10value_typeET4_jRbjT5_SW_jjP12ihipStream_tbEUlT_E2_NS1_11comp_targetILNS1_3genE0ELNS1_11target_archE4294967295ELNS1_3gpuE0ELNS1_3repE0EEENS1_30default_config_static_selectorELNS0_4arch9wavefront6targetE0EEEvSK_, .Lfunc_end1562-_ZN7rocprim17ROCPRIM_400000_NS6detail17trampoline_kernelINS0_14default_configENS1_36segmented_radix_sort_config_selectorIblEEZNS1_25segmented_radix_sort_implIS3_Lb1EPKbPbPKlPlN2at6native12_GLOBAL__N_18offset_tEEE10hipError_tPvRmT1_PNSt15iterator_traitsISK_E10value_typeET2_T3_PNSL_ISQ_E10value_typeET4_jRbjT5_SW_jjP12ihipStream_tbEUlT_E2_NS1_11comp_targetILNS1_3genE0ELNS1_11target_archE4294967295ELNS1_3gpuE0ELNS1_3repE0EEENS1_30default_config_static_selectorELNS0_4arch9wavefront6targetE0EEEvSK_
                                        ; -- End function
	.section	.AMDGPU.csdata,"",@progbits
; Kernel info:
; codeLenInByte = 0
; NumSgprs: 0
; NumVgprs: 0
; ScratchSize: 0
; MemoryBound: 0
; FloatMode: 240
; IeeeMode: 1
; LDSByteSize: 0 bytes/workgroup (compile time only)
; SGPRBlocks: 0
; VGPRBlocks: 0
; NumSGPRsForWavesPerEU: 1
; NumVGPRsForWavesPerEU: 1
; Occupancy: 16
; WaveLimiterHint : 0
; COMPUTE_PGM_RSRC2:SCRATCH_EN: 0
; COMPUTE_PGM_RSRC2:USER_SGPR: 15
; COMPUTE_PGM_RSRC2:TRAP_HANDLER: 0
; COMPUTE_PGM_RSRC2:TGID_X_EN: 1
; COMPUTE_PGM_RSRC2:TGID_Y_EN: 0
; COMPUTE_PGM_RSRC2:TGID_Z_EN: 0
; COMPUTE_PGM_RSRC2:TIDIG_COMP_CNT: 0
	.section	.text._ZN7rocprim17ROCPRIM_400000_NS6detail17trampoline_kernelINS0_14default_configENS1_36segmented_radix_sort_config_selectorIblEEZNS1_25segmented_radix_sort_implIS3_Lb1EPKbPbPKlPlN2at6native12_GLOBAL__N_18offset_tEEE10hipError_tPvRmT1_PNSt15iterator_traitsISK_E10value_typeET2_T3_PNSL_ISQ_E10value_typeET4_jRbjT5_SW_jjP12ihipStream_tbEUlT_E2_NS1_11comp_targetILNS1_3genE5ELNS1_11target_archE942ELNS1_3gpuE9ELNS1_3repE0EEENS1_30default_config_static_selectorELNS0_4arch9wavefront6targetE0EEEvSK_,"axG",@progbits,_ZN7rocprim17ROCPRIM_400000_NS6detail17trampoline_kernelINS0_14default_configENS1_36segmented_radix_sort_config_selectorIblEEZNS1_25segmented_radix_sort_implIS3_Lb1EPKbPbPKlPlN2at6native12_GLOBAL__N_18offset_tEEE10hipError_tPvRmT1_PNSt15iterator_traitsISK_E10value_typeET2_T3_PNSL_ISQ_E10value_typeET4_jRbjT5_SW_jjP12ihipStream_tbEUlT_E2_NS1_11comp_targetILNS1_3genE5ELNS1_11target_archE942ELNS1_3gpuE9ELNS1_3repE0EEENS1_30default_config_static_selectorELNS0_4arch9wavefront6targetE0EEEvSK_,comdat
	.globl	_ZN7rocprim17ROCPRIM_400000_NS6detail17trampoline_kernelINS0_14default_configENS1_36segmented_radix_sort_config_selectorIblEEZNS1_25segmented_radix_sort_implIS3_Lb1EPKbPbPKlPlN2at6native12_GLOBAL__N_18offset_tEEE10hipError_tPvRmT1_PNSt15iterator_traitsISK_E10value_typeET2_T3_PNSL_ISQ_E10value_typeET4_jRbjT5_SW_jjP12ihipStream_tbEUlT_E2_NS1_11comp_targetILNS1_3genE5ELNS1_11target_archE942ELNS1_3gpuE9ELNS1_3repE0EEENS1_30default_config_static_selectorELNS0_4arch9wavefront6targetE0EEEvSK_ ; -- Begin function _ZN7rocprim17ROCPRIM_400000_NS6detail17trampoline_kernelINS0_14default_configENS1_36segmented_radix_sort_config_selectorIblEEZNS1_25segmented_radix_sort_implIS3_Lb1EPKbPbPKlPlN2at6native12_GLOBAL__N_18offset_tEEE10hipError_tPvRmT1_PNSt15iterator_traitsISK_E10value_typeET2_T3_PNSL_ISQ_E10value_typeET4_jRbjT5_SW_jjP12ihipStream_tbEUlT_E2_NS1_11comp_targetILNS1_3genE5ELNS1_11target_archE942ELNS1_3gpuE9ELNS1_3repE0EEENS1_30default_config_static_selectorELNS0_4arch9wavefront6targetE0EEEvSK_
	.p2align	8
	.type	_ZN7rocprim17ROCPRIM_400000_NS6detail17trampoline_kernelINS0_14default_configENS1_36segmented_radix_sort_config_selectorIblEEZNS1_25segmented_radix_sort_implIS3_Lb1EPKbPbPKlPlN2at6native12_GLOBAL__N_18offset_tEEE10hipError_tPvRmT1_PNSt15iterator_traitsISK_E10value_typeET2_T3_PNSL_ISQ_E10value_typeET4_jRbjT5_SW_jjP12ihipStream_tbEUlT_E2_NS1_11comp_targetILNS1_3genE5ELNS1_11target_archE942ELNS1_3gpuE9ELNS1_3repE0EEENS1_30default_config_static_selectorELNS0_4arch9wavefront6targetE0EEEvSK_,@function
_ZN7rocprim17ROCPRIM_400000_NS6detail17trampoline_kernelINS0_14default_configENS1_36segmented_radix_sort_config_selectorIblEEZNS1_25segmented_radix_sort_implIS3_Lb1EPKbPbPKlPlN2at6native12_GLOBAL__N_18offset_tEEE10hipError_tPvRmT1_PNSt15iterator_traitsISK_E10value_typeET2_T3_PNSL_ISQ_E10value_typeET4_jRbjT5_SW_jjP12ihipStream_tbEUlT_E2_NS1_11comp_targetILNS1_3genE5ELNS1_11target_archE942ELNS1_3gpuE9ELNS1_3repE0EEENS1_30default_config_static_selectorELNS0_4arch9wavefront6targetE0EEEvSK_: ; @_ZN7rocprim17ROCPRIM_400000_NS6detail17trampoline_kernelINS0_14default_configENS1_36segmented_radix_sort_config_selectorIblEEZNS1_25segmented_radix_sort_implIS3_Lb1EPKbPbPKlPlN2at6native12_GLOBAL__N_18offset_tEEE10hipError_tPvRmT1_PNSt15iterator_traitsISK_E10value_typeET2_T3_PNSL_ISQ_E10value_typeET4_jRbjT5_SW_jjP12ihipStream_tbEUlT_E2_NS1_11comp_targetILNS1_3genE5ELNS1_11target_archE942ELNS1_3gpuE9ELNS1_3repE0EEENS1_30default_config_static_selectorELNS0_4arch9wavefront6targetE0EEEvSK_
; %bb.0:
	.section	.rodata,"a",@progbits
	.p2align	6, 0x0
	.amdhsa_kernel _ZN7rocprim17ROCPRIM_400000_NS6detail17trampoline_kernelINS0_14default_configENS1_36segmented_radix_sort_config_selectorIblEEZNS1_25segmented_radix_sort_implIS3_Lb1EPKbPbPKlPlN2at6native12_GLOBAL__N_18offset_tEEE10hipError_tPvRmT1_PNSt15iterator_traitsISK_E10value_typeET2_T3_PNSL_ISQ_E10value_typeET4_jRbjT5_SW_jjP12ihipStream_tbEUlT_E2_NS1_11comp_targetILNS1_3genE5ELNS1_11target_archE942ELNS1_3gpuE9ELNS1_3repE0EEENS1_30default_config_static_selectorELNS0_4arch9wavefront6targetE0EEEvSK_
		.amdhsa_group_segment_fixed_size 0
		.amdhsa_private_segment_fixed_size 0
		.amdhsa_kernarg_size 80
		.amdhsa_user_sgpr_count 15
		.amdhsa_user_sgpr_dispatch_ptr 0
		.amdhsa_user_sgpr_queue_ptr 0
		.amdhsa_user_sgpr_kernarg_segment_ptr 1
		.amdhsa_user_sgpr_dispatch_id 0
		.amdhsa_user_sgpr_private_segment_size 0
		.amdhsa_wavefront_size32 1
		.amdhsa_uses_dynamic_stack 0
		.amdhsa_enable_private_segment 0
		.amdhsa_system_sgpr_workgroup_id_x 1
		.amdhsa_system_sgpr_workgroup_id_y 0
		.amdhsa_system_sgpr_workgroup_id_z 0
		.amdhsa_system_sgpr_workgroup_info 0
		.amdhsa_system_vgpr_workitem_id 0
		.amdhsa_next_free_vgpr 1
		.amdhsa_next_free_sgpr 1
		.amdhsa_reserve_vcc 0
		.amdhsa_float_round_mode_32 0
		.amdhsa_float_round_mode_16_64 0
		.amdhsa_float_denorm_mode_32 3
		.amdhsa_float_denorm_mode_16_64 3
		.amdhsa_dx10_clamp 1
		.amdhsa_ieee_mode 1
		.amdhsa_fp16_overflow 0
		.amdhsa_workgroup_processor_mode 1
		.amdhsa_memory_ordered 1
		.amdhsa_forward_progress 0
		.amdhsa_shared_vgpr_count 0
		.amdhsa_exception_fp_ieee_invalid_op 0
		.amdhsa_exception_fp_denorm_src 0
		.amdhsa_exception_fp_ieee_div_zero 0
		.amdhsa_exception_fp_ieee_overflow 0
		.amdhsa_exception_fp_ieee_underflow 0
		.amdhsa_exception_fp_ieee_inexact 0
		.amdhsa_exception_int_div_zero 0
	.end_amdhsa_kernel
	.section	.text._ZN7rocprim17ROCPRIM_400000_NS6detail17trampoline_kernelINS0_14default_configENS1_36segmented_radix_sort_config_selectorIblEEZNS1_25segmented_radix_sort_implIS3_Lb1EPKbPbPKlPlN2at6native12_GLOBAL__N_18offset_tEEE10hipError_tPvRmT1_PNSt15iterator_traitsISK_E10value_typeET2_T3_PNSL_ISQ_E10value_typeET4_jRbjT5_SW_jjP12ihipStream_tbEUlT_E2_NS1_11comp_targetILNS1_3genE5ELNS1_11target_archE942ELNS1_3gpuE9ELNS1_3repE0EEENS1_30default_config_static_selectorELNS0_4arch9wavefront6targetE0EEEvSK_,"axG",@progbits,_ZN7rocprim17ROCPRIM_400000_NS6detail17trampoline_kernelINS0_14default_configENS1_36segmented_radix_sort_config_selectorIblEEZNS1_25segmented_radix_sort_implIS3_Lb1EPKbPbPKlPlN2at6native12_GLOBAL__N_18offset_tEEE10hipError_tPvRmT1_PNSt15iterator_traitsISK_E10value_typeET2_T3_PNSL_ISQ_E10value_typeET4_jRbjT5_SW_jjP12ihipStream_tbEUlT_E2_NS1_11comp_targetILNS1_3genE5ELNS1_11target_archE942ELNS1_3gpuE9ELNS1_3repE0EEENS1_30default_config_static_selectorELNS0_4arch9wavefront6targetE0EEEvSK_,comdat
.Lfunc_end1563:
	.size	_ZN7rocprim17ROCPRIM_400000_NS6detail17trampoline_kernelINS0_14default_configENS1_36segmented_radix_sort_config_selectorIblEEZNS1_25segmented_radix_sort_implIS3_Lb1EPKbPbPKlPlN2at6native12_GLOBAL__N_18offset_tEEE10hipError_tPvRmT1_PNSt15iterator_traitsISK_E10value_typeET2_T3_PNSL_ISQ_E10value_typeET4_jRbjT5_SW_jjP12ihipStream_tbEUlT_E2_NS1_11comp_targetILNS1_3genE5ELNS1_11target_archE942ELNS1_3gpuE9ELNS1_3repE0EEENS1_30default_config_static_selectorELNS0_4arch9wavefront6targetE0EEEvSK_, .Lfunc_end1563-_ZN7rocprim17ROCPRIM_400000_NS6detail17trampoline_kernelINS0_14default_configENS1_36segmented_radix_sort_config_selectorIblEEZNS1_25segmented_radix_sort_implIS3_Lb1EPKbPbPKlPlN2at6native12_GLOBAL__N_18offset_tEEE10hipError_tPvRmT1_PNSt15iterator_traitsISK_E10value_typeET2_T3_PNSL_ISQ_E10value_typeET4_jRbjT5_SW_jjP12ihipStream_tbEUlT_E2_NS1_11comp_targetILNS1_3genE5ELNS1_11target_archE942ELNS1_3gpuE9ELNS1_3repE0EEENS1_30default_config_static_selectorELNS0_4arch9wavefront6targetE0EEEvSK_
                                        ; -- End function
	.section	.AMDGPU.csdata,"",@progbits
; Kernel info:
; codeLenInByte = 0
; NumSgprs: 0
; NumVgprs: 0
; ScratchSize: 0
; MemoryBound: 0
; FloatMode: 240
; IeeeMode: 1
; LDSByteSize: 0 bytes/workgroup (compile time only)
; SGPRBlocks: 0
; VGPRBlocks: 0
; NumSGPRsForWavesPerEU: 1
; NumVGPRsForWavesPerEU: 1
; Occupancy: 16
; WaveLimiterHint : 0
; COMPUTE_PGM_RSRC2:SCRATCH_EN: 0
; COMPUTE_PGM_RSRC2:USER_SGPR: 15
; COMPUTE_PGM_RSRC2:TRAP_HANDLER: 0
; COMPUTE_PGM_RSRC2:TGID_X_EN: 1
; COMPUTE_PGM_RSRC2:TGID_Y_EN: 0
; COMPUTE_PGM_RSRC2:TGID_Z_EN: 0
; COMPUTE_PGM_RSRC2:TIDIG_COMP_CNT: 0
	.section	.text._ZN7rocprim17ROCPRIM_400000_NS6detail17trampoline_kernelINS0_14default_configENS1_36segmented_radix_sort_config_selectorIblEEZNS1_25segmented_radix_sort_implIS3_Lb1EPKbPbPKlPlN2at6native12_GLOBAL__N_18offset_tEEE10hipError_tPvRmT1_PNSt15iterator_traitsISK_E10value_typeET2_T3_PNSL_ISQ_E10value_typeET4_jRbjT5_SW_jjP12ihipStream_tbEUlT_E2_NS1_11comp_targetILNS1_3genE4ELNS1_11target_archE910ELNS1_3gpuE8ELNS1_3repE0EEENS1_30default_config_static_selectorELNS0_4arch9wavefront6targetE0EEEvSK_,"axG",@progbits,_ZN7rocprim17ROCPRIM_400000_NS6detail17trampoline_kernelINS0_14default_configENS1_36segmented_radix_sort_config_selectorIblEEZNS1_25segmented_radix_sort_implIS3_Lb1EPKbPbPKlPlN2at6native12_GLOBAL__N_18offset_tEEE10hipError_tPvRmT1_PNSt15iterator_traitsISK_E10value_typeET2_T3_PNSL_ISQ_E10value_typeET4_jRbjT5_SW_jjP12ihipStream_tbEUlT_E2_NS1_11comp_targetILNS1_3genE4ELNS1_11target_archE910ELNS1_3gpuE8ELNS1_3repE0EEENS1_30default_config_static_selectorELNS0_4arch9wavefront6targetE0EEEvSK_,comdat
	.globl	_ZN7rocprim17ROCPRIM_400000_NS6detail17trampoline_kernelINS0_14default_configENS1_36segmented_radix_sort_config_selectorIblEEZNS1_25segmented_radix_sort_implIS3_Lb1EPKbPbPKlPlN2at6native12_GLOBAL__N_18offset_tEEE10hipError_tPvRmT1_PNSt15iterator_traitsISK_E10value_typeET2_T3_PNSL_ISQ_E10value_typeET4_jRbjT5_SW_jjP12ihipStream_tbEUlT_E2_NS1_11comp_targetILNS1_3genE4ELNS1_11target_archE910ELNS1_3gpuE8ELNS1_3repE0EEENS1_30default_config_static_selectorELNS0_4arch9wavefront6targetE0EEEvSK_ ; -- Begin function _ZN7rocprim17ROCPRIM_400000_NS6detail17trampoline_kernelINS0_14default_configENS1_36segmented_radix_sort_config_selectorIblEEZNS1_25segmented_radix_sort_implIS3_Lb1EPKbPbPKlPlN2at6native12_GLOBAL__N_18offset_tEEE10hipError_tPvRmT1_PNSt15iterator_traitsISK_E10value_typeET2_T3_PNSL_ISQ_E10value_typeET4_jRbjT5_SW_jjP12ihipStream_tbEUlT_E2_NS1_11comp_targetILNS1_3genE4ELNS1_11target_archE910ELNS1_3gpuE8ELNS1_3repE0EEENS1_30default_config_static_selectorELNS0_4arch9wavefront6targetE0EEEvSK_
	.p2align	8
	.type	_ZN7rocprim17ROCPRIM_400000_NS6detail17trampoline_kernelINS0_14default_configENS1_36segmented_radix_sort_config_selectorIblEEZNS1_25segmented_radix_sort_implIS3_Lb1EPKbPbPKlPlN2at6native12_GLOBAL__N_18offset_tEEE10hipError_tPvRmT1_PNSt15iterator_traitsISK_E10value_typeET2_T3_PNSL_ISQ_E10value_typeET4_jRbjT5_SW_jjP12ihipStream_tbEUlT_E2_NS1_11comp_targetILNS1_3genE4ELNS1_11target_archE910ELNS1_3gpuE8ELNS1_3repE0EEENS1_30default_config_static_selectorELNS0_4arch9wavefront6targetE0EEEvSK_,@function
_ZN7rocprim17ROCPRIM_400000_NS6detail17trampoline_kernelINS0_14default_configENS1_36segmented_radix_sort_config_selectorIblEEZNS1_25segmented_radix_sort_implIS3_Lb1EPKbPbPKlPlN2at6native12_GLOBAL__N_18offset_tEEE10hipError_tPvRmT1_PNSt15iterator_traitsISK_E10value_typeET2_T3_PNSL_ISQ_E10value_typeET4_jRbjT5_SW_jjP12ihipStream_tbEUlT_E2_NS1_11comp_targetILNS1_3genE4ELNS1_11target_archE910ELNS1_3gpuE8ELNS1_3repE0EEENS1_30default_config_static_selectorELNS0_4arch9wavefront6targetE0EEEvSK_: ; @_ZN7rocprim17ROCPRIM_400000_NS6detail17trampoline_kernelINS0_14default_configENS1_36segmented_radix_sort_config_selectorIblEEZNS1_25segmented_radix_sort_implIS3_Lb1EPKbPbPKlPlN2at6native12_GLOBAL__N_18offset_tEEE10hipError_tPvRmT1_PNSt15iterator_traitsISK_E10value_typeET2_T3_PNSL_ISQ_E10value_typeET4_jRbjT5_SW_jjP12ihipStream_tbEUlT_E2_NS1_11comp_targetILNS1_3genE4ELNS1_11target_archE910ELNS1_3gpuE8ELNS1_3repE0EEENS1_30default_config_static_selectorELNS0_4arch9wavefront6targetE0EEEvSK_
; %bb.0:
	.section	.rodata,"a",@progbits
	.p2align	6, 0x0
	.amdhsa_kernel _ZN7rocprim17ROCPRIM_400000_NS6detail17trampoline_kernelINS0_14default_configENS1_36segmented_radix_sort_config_selectorIblEEZNS1_25segmented_radix_sort_implIS3_Lb1EPKbPbPKlPlN2at6native12_GLOBAL__N_18offset_tEEE10hipError_tPvRmT1_PNSt15iterator_traitsISK_E10value_typeET2_T3_PNSL_ISQ_E10value_typeET4_jRbjT5_SW_jjP12ihipStream_tbEUlT_E2_NS1_11comp_targetILNS1_3genE4ELNS1_11target_archE910ELNS1_3gpuE8ELNS1_3repE0EEENS1_30default_config_static_selectorELNS0_4arch9wavefront6targetE0EEEvSK_
		.amdhsa_group_segment_fixed_size 0
		.amdhsa_private_segment_fixed_size 0
		.amdhsa_kernarg_size 80
		.amdhsa_user_sgpr_count 15
		.amdhsa_user_sgpr_dispatch_ptr 0
		.amdhsa_user_sgpr_queue_ptr 0
		.amdhsa_user_sgpr_kernarg_segment_ptr 1
		.amdhsa_user_sgpr_dispatch_id 0
		.amdhsa_user_sgpr_private_segment_size 0
		.amdhsa_wavefront_size32 1
		.amdhsa_uses_dynamic_stack 0
		.amdhsa_enable_private_segment 0
		.amdhsa_system_sgpr_workgroup_id_x 1
		.amdhsa_system_sgpr_workgroup_id_y 0
		.amdhsa_system_sgpr_workgroup_id_z 0
		.amdhsa_system_sgpr_workgroup_info 0
		.amdhsa_system_vgpr_workitem_id 0
		.amdhsa_next_free_vgpr 1
		.amdhsa_next_free_sgpr 1
		.amdhsa_reserve_vcc 0
		.amdhsa_float_round_mode_32 0
		.amdhsa_float_round_mode_16_64 0
		.amdhsa_float_denorm_mode_32 3
		.amdhsa_float_denorm_mode_16_64 3
		.amdhsa_dx10_clamp 1
		.amdhsa_ieee_mode 1
		.amdhsa_fp16_overflow 0
		.amdhsa_workgroup_processor_mode 1
		.amdhsa_memory_ordered 1
		.amdhsa_forward_progress 0
		.amdhsa_shared_vgpr_count 0
		.amdhsa_exception_fp_ieee_invalid_op 0
		.amdhsa_exception_fp_denorm_src 0
		.amdhsa_exception_fp_ieee_div_zero 0
		.amdhsa_exception_fp_ieee_overflow 0
		.amdhsa_exception_fp_ieee_underflow 0
		.amdhsa_exception_fp_ieee_inexact 0
		.amdhsa_exception_int_div_zero 0
	.end_amdhsa_kernel
	.section	.text._ZN7rocprim17ROCPRIM_400000_NS6detail17trampoline_kernelINS0_14default_configENS1_36segmented_radix_sort_config_selectorIblEEZNS1_25segmented_radix_sort_implIS3_Lb1EPKbPbPKlPlN2at6native12_GLOBAL__N_18offset_tEEE10hipError_tPvRmT1_PNSt15iterator_traitsISK_E10value_typeET2_T3_PNSL_ISQ_E10value_typeET4_jRbjT5_SW_jjP12ihipStream_tbEUlT_E2_NS1_11comp_targetILNS1_3genE4ELNS1_11target_archE910ELNS1_3gpuE8ELNS1_3repE0EEENS1_30default_config_static_selectorELNS0_4arch9wavefront6targetE0EEEvSK_,"axG",@progbits,_ZN7rocprim17ROCPRIM_400000_NS6detail17trampoline_kernelINS0_14default_configENS1_36segmented_radix_sort_config_selectorIblEEZNS1_25segmented_radix_sort_implIS3_Lb1EPKbPbPKlPlN2at6native12_GLOBAL__N_18offset_tEEE10hipError_tPvRmT1_PNSt15iterator_traitsISK_E10value_typeET2_T3_PNSL_ISQ_E10value_typeET4_jRbjT5_SW_jjP12ihipStream_tbEUlT_E2_NS1_11comp_targetILNS1_3genE4ELNS1_11target_archE910ELNS1_3gpuE8ELNS1_3repE0EEENS1_30default_config_static_selectorELNS0_4arch9wavefront6targetE0EEEvSK_,comdat
.Lfunc_end1564:
	.size	_ZN7rocprim17ROCPRIM_400000_NS6detail17trampoline_kernelINS0_14default_configENS1_36segmented_radix_sort_config_selectorIblEEZNS1_25segmented_radix_sort_implIS3_Lb1EPKbPbPKlPlN2at6native12_GLOBAL__N_18offset_tEEE10hipError_tPvRmT1_PNSt15iterator_traitsISK_E10value_typeET2_T3_PNSL_ISQ_E10value_typeET4_jRbjT5_SW_jjP12ihipStream_tbEUlT_E2_NS1_11comp_targetILNS1_3genE4ELNS1_11target_archE910ELNS1_3gpuE8ELNS1_3repE0EEENS1_30default_config_static_selectorELNS0_4arch9wavefront6targetE0EEEvSK_, .Lfunc_end1564-_ZN7rocprim17ROCPRIM_400000_NS6detail17trampoline_kernelINS0_14default_configENS1_36segmented_radix_sort_config_selectorIblEEZNS1_25segmented_radix_sort_implIS3_Lb1EPKbPbPKlPlN2at6native12_GLOBAL__N_18offset_tEEE10hipError_tPvRmT1_PNSt15iterator_traitsISK_E10value_typeET2_T3_PNSL_ISQ_E10value_typeET4_jRbjT5_SW_jjP12ihipStream_tbEUlT_E2_NS1_11comp_targetILNS1_3genE4ELNS1_11target_archE910ELNS1_3gpuE8ELNS1_3repE0EEENS1_30default_config_static_selectorELNS0_4arch9wavefront6targetE0EEEvSK_
                                        ; -- End function
	.section	.AMDGPU.csdata,"",@progbits
; Kernel info:
; codeLenInByte = 0
; NumSgprs: 0
; NumVgprs: 0
; ScratchSize: 0
; MemoryBound: 0
; FloatMode: 240
; IeeeMode: 1
; LDSByteSize: 0 bytes/workgroup (compile time only)
; SGPRBlocks: 0
; VGPRBlocks: 0
; NumSGPRsForWavesPerEU: 1
; NumVGPRsForWavesPerEU: 1
; Occupancy: 16
; WaveLimiterHint : 0
; COMPUTE_PGM_RSRC2:SCRATCH_EN: 0
; COMPUTE_PGM_RSRC2:USER_SGPR: 15
; COMPUTE_PGM_RSRC2:TRAP_HANDLER: 0
; COMPUTE_PGM_RSRC2:TGID_X_EN: 1
; COMPUTE_PGM_RSRC2:TGID_Y_EN: 0
; COMPUTE_PGM_RSRC2:TGID_Z_EN: 0
; COMPUTE_PGM_RSRC2:TIDIG_COMP_CNT: 0
	.section	.text._ZN7rocprim17ROCPRIM_400000_NS6detail17trampoline_kernelINS0_14default_configENS1_36segmented_radix_sort_config_selectorIblEEZNS1_25segmented_radix_sort_implIS3_Lb1EPKbPbPKlPlN2at6native12_GLOBAL__N_18offset_tEEE10hipError_tPvRmT1_PNSt15iterator_traitsISK_E10value_typeET2_T3_PNSL_ISQ_E10value_typeET4_jRbjT5_SW_jjP12ihipStream_tbEUlT_E2_NS1_11comp_targetILNS1_3genE3ELNS1_11target_archE908ELNS1_3gpuE7ELNS1_3repE0EEENS1_30default_config_static_selectorELNS0_4arch9wavefront6targetE0EEEvSK_,"axG",@progbits,_ZN7rocprim17ROCPRIM_400000_NS6detail17trampoline_kernelINS0_14default_configENS1_36segmented_radix_sort_config_selectorIblEEZNS1_25segmented_radix_sort_implIS3_Lb1EPKbPbPKlPlN2at6native12_GLOBAL__N_18offset_tEEE10hipError_tPvRmT1_PNSt15iterator_traitsISK_E10value_typeET2_T3_PNSL_ISQ_E10value_typeET4_jRbjT5_SW_jjP12ihipStream_tbEUlT_E2_NS1_11comp_targetILNS1_3genE3ELNS1_11target_archE908ELNS1_3gpuE7ELNS1_3repE0EEENS1_30default_config_static_selectorELNS0_4arch9wavefront6targetE0EEEvSK_,comdat
	.globl	_ZN7rocprim17ROCPRIM_400000_NS6detail17trampoline_kernelINS0_14default_configENS1_36segmented_radix_sort_config_selectorIblEEZNS1_25segmented_radix_sort_implIS3_Lb1EPKbPbPKlPlN2at6native12_GLOBAL__N_18offset_tEEE10hipError_tPvRmT1_PNSt15iterator_traitsISK_E10value_typeET2_T3_PNSL_ISQ_E10value_typeET4_jRbjT5_SW_jjP12ihipStream_tbEUlT_E2_NS1_11comp_targetILNS1_3genE3ELNS1_11target_archE908ELNS1_3gpuE7ELNS1_3repE0EEENS1_30default_config_static_selectorELNS0_4arch9wavefront6targetE0EEEvSK_ ; -- Begin function _ZN7rocprim17ROCPRIM_400000_NS6detail17trampoline_kernelINS0_14default_configENS1_36segmented_radix_sort_config_selectorIblEEZNS1_25segmented_radix_sort_implIS3_Lb1EPKbPbPKlPlN2at6native12_GLOBAL__N_18offset_tEEE10hipError_tPvRmT1_PNSt15iterator_traitsISK_E10value_typeET2_T3_PNSL_ISQ_E10value_typeET4_jRbjT5_SW_jjP12ihipStream_tbEUlT_E2_NS1_11comp_targetILNS1_3genE3ELNS1_11target_archE908ELNS1_3gpuE7ELNS1_3repE0EEENS1_30default_config_static_selectorELNS0_4arch9wavefront6targetE0EEEvSK_
	.p2align	8
	.type	_ZN7rocprim17ROCPRIM_400000_NS6detail17trampoline_kernelINS0_14default_configENS1_36segmented_radix_sort_config_selectorIblEEZNS1_25segmented_radix_sort_implIS3_Lb1EPKbPbPKlPlN2at6native12_GLOBAL__N_18offset_tEEE10hipError_tPvRmT1_PNSt15iterator_traitsISK_E10value_typeET2_T3_PNSL_ISQ_E10value_typeET4_jRbjT5_SW_jjP12ihipStream_tbEUlT_E2_NS1_11comp_targetILNS1_3genE3ELNS1_11target_archE908ELNS1_3gpuE7ELNS1_3repE0EEENS1_30default_config_static_selectorELNS0_4arch9wavefront6targetE0EEEvSK_,@function
_ZN7rocprim17ROCPRIM_400000_NS6detail17trampoline_kernelINS0_14default_configENS1_36segmented_radix_sort_config_selectorIblEEZNS1_25segmented_radix_sort_implIS3_Lb1EPKbPbPKlPlN2at6native12_GLOBAL__N_18offset_tEEE10hipError_tPvRmT1_PNSt15iterator_traitsISK_E10value_typeET2_T3_PNSL_ISQ_E10value_typeET4_jRbjT5_SW_jjP12ihipStream_tbEUlT_E2_NS1_11comp_targetILNS1_3genE3ELNS1_11target_archE908ELNS1_3gpuE7ELNS1_3repE0EEENS1_30default_config_static_selectorELNS0_4arch9wavefront6targetE0EEEvSK_: ; @_ZN7rocprim17ROCPRIM_400000_NS6detail17trampoline_kernelINS0_14default_configENS1_36segmented_radix_sort_config_selectorIblEEZNS1_25segmented_radix_sort_implIS3_Lb1EPKbPbPKlPlN2at6native12_GLOBAL__N_18offset_tEEE10hipError_tPvRmT1_PNSt15iterator_traitsISK_E10value_typeET2_T3_PNSL_ISQ_E10value_typeET4_jRbjT5_SW_jjP12ihipStream_tbEUlT_E2_NS1_11comp_targetILNS1_3genE3ELNS1_11target_archE908ELNS1_3gpuE7ELNS1_3repE0EEENS1_30default_config_static_selectorELNS0_4arch9wavefront6targetE0EEEvSK_
; %bb.0:
	.section	.rodata,"a",@progbits
	.p2align	6, 0x0
	.amdhsa_kernel _ZN7rocprim17ROCPRIM_400000_NS6detail17trampoline_kernelINS0_14default_configENS1_36segmented_radix_sort_config_selectorIblEEZNS1_25segmented_radix_sort_implIS3_Lb1EPKbPbPKlPlN2at6native12_GLOBAL__N_18offset_tEEE10hipError_tPvRmT1_PNSt15iterator_traitsISK_E10value_typeET2_T3_PNSL_ISQ_E10value_typeET4_jRbjT5_SW_jjP12ihipStream_tbEUlT_E2_NS1_11comp_targetILNS1_3genE3ELNS1_11target_archE908ELNS1_3gpuE7ELNS1_3repE0EEENS1_30default_config_static_selectorELNS0_4arch9wavefront6targetE0EEEvSK_
		.amdhsa_group_segment_fixed_size 0
		.amdhsa_private_segment_fixed_size 0
		.amdhsa_kernarg_size 80
		.amdhsa_user_sgpr_count 15
		.amdhsa_user_sgpr_dispatch_ptr 0
		.amdhsa_user_sgpr_queue_ptr 0
		.amdhsa_user_sgpr_kernarg_segment_ptr 1
		.amdhsa_user_sgpr_dispatch_id 0
		.amdhsa_user_sgpr_private_segment_size 0
		.amdhsa_wavefront_size32 1
		.amdhsa_uses_dynamic_stack 0
		.amdhsa_enable_private_segment 0
		.amdhsa_system_sgpr_workgroup_id_x 1
		.amdhsa_system_sgpr_workgroup_id_y 0
		.amdhsa_system_sgpr_workgroup_id_z 0
		.amdhsa_system_sgpr_workgroup_info 0
		.amdhsa_system_vgpr_workitem_id 0
		.amdhsa_next_free_vgpr 1
		.amdhsa_next_free_sgpr 1
		.amdhsa_reserve_vcc 0
		.amdhsa_float_round_mode_32 0
		.amdhsa_float_round_mode_16_64 0
		.amdhsa_float_denorm_mode_32 3
		.amdhsa_float_denorm_mode_16_64 3
		.amdhsa_dx10_clamp 1
		.amdhsa_ieee_mode 1
		.amdhsa_fp16_overflow 0
		.amdhsa_workgroup_processor_mode 1
		.amdhsa_memory_ordered 1
		.amdhsa_forward_progress 0
		.amdhsa_shared_vgpr_count 0
		.amdhsa_exception_fp_ieee_invalid_op 0
		.amdhsa_exception_fp_denorm_src 0
		.amdhsa_exception_fp_ieee_div_zero 0
		.amdhsa_exception_fp_ieee_overflow 0
		.amdhsa_exception_fp_ieee_underflow 0
		.amdhsa_exception_fp_ieee_inexact 0
		.amdhsa_exception_int_div_zero 0
	.end_amdhsa_kernel
	.section	.text._ZN7rocprim17ROCPRIM_400000_NS6detail17trampoline_kernelINS0_14default_configENS1_36segmented_radix_sort_config_selectorIblEEZNS1_25segmented_radix_sort_implIS3_Lb1EPKbPbPKlPlN2at6native12_GLOBAL__N_18offset_tEEE10hipError_tPvRmT1_PNSt15iterator_traitsISK_E10value_typeET2_T3_PNSL_ISQ_E10value_typeET4_jRbjT5_SW_jjP12ihipStream_tbEUlT_E2_NS1_11comp_targetILNS1_3genE3ELNS1_11target_archE908ELNS1_3gpuE7ELNS1_3repE0EEENS1_30default_config_static_selectorELNS0_4arch9wavefront6targetE0EEEvSK_,"axG",@progbits,_ZN7rocprim17ROCPRIM_400000_NS6detail17trampoline_kernelINS0_14default_configENS1_36segmented_radix_sort_config_selectorIblEEZNS1_25segmented_radix_sort_implIS3_Lb1EPKbPbPKlPlN2at6native12_GLOBAL__N_18offset_tEEE10hipError_tPvRmT1_PNSt15iterator_traitsISK_E10value_typeET2_T3_PNSL_ISQ_E10value_typeET4_jRbjT5_SW_jjP12ihipStream_tbEUlT_E2_NS1_11comp_targetILNS1_3genE3ELNS1_11target_archE908ELNS1_3gpuE7ELNS1_3repE0EEENS1_30default_config_static_selectorELNS0_4arch9wavefront6targetE0EEEvSK_,comdat
.Lfunc_end1565:
	.size	_ZN7rocprim17ROCPRIM_400000_NS6detail17trampoline_kernelINS0_14default_configENS1_36segmented_radix_sort_config_selectorIblEEZNS1_25segmented_radix_sort_implIS3_Lb1EPKbPbPKlPlN2at6native12_GLOBAL__N_18offset_tEEE10hipError_tPvRmT1_PNSt15iterator_traitsISK_E10value_typeET2_T3_PNSL_ISQ_E10value_typeET4_jRbjT5_SW_jjP12ihipStream_tbEUlT_E2_NS1_11comp_targetILNS1_3genE3ELNS1_11target_archE908ELNS1_3gpuE7ELNS1_3repE0EEENS1_30default_config_static_selectorELNS0_4arch9wavefront6targetE0EEEvSK_, .Lfunc_end1565-_ZN7rocprim17ROCPRIM_400000_NS6detail17trampoline_kernelINS0_14default_configENS1_36segmented_radix_sort_config_selectorIblEEZNS1_25segmented_radix_sort_implIS3_Lb1EPKbPbPKlPlN2at6native12_GLOBAL__N_18offset_tEEE10hipError_tPvRmT1_PNSt15iterator_traitsISK_E10value_typeET2_T3_PNSL_ISQ_E10value_typeET4_jRbjT5_SW_jjP12ihipStream_tbEUlT_E2_NS1_11comp_targetILNS1_3genE3ELNS1_11target_archE908ELNS1_3gpuE7ELNS1_3repE0EEENS1_30default_config_static_selectorELNS0_4arch9wavefront6targetE0EEEvSK_
                                        ; -- End function
	.section	.AMDGPU.csdata,"",@progbits
; Kernel info:
; codeLenInByte = 0
; NumSgprs: 0
; NumVgprs: 0
; ScratchSize: 0
; MemoryBound: 0
; FloatMode: 240
; IeeeMode: 1
; LDSByteSize: 0 bytes/workgroup (compile time only)
; SGPRBlocks: 0
; VGPRBlocks: 0
; NumSGPRsForWavesPerEU: 1
; NumVGPRsForWavesPerEU: 1
; Occupancy: 16
; WaveLimiterHint : 0
; COMPUTE_PGM_RSRC2:SCRATCH_EN: 0
; COMPUTE_PGM_RSRC2:USER_SGPR: 15
; COMPUTE_PGM_RSRC2:TRAP_HANDLER: 0
; COMPUTE_PGM_RSRC2:TGID_X_EN: 1
; COMPUTE_PGM_RSRC2:TGID_Y_EN: 0
; COMPUTE_PGM_RSRC2:TGID_Z_EN: 0
; COMPUTE_PGM_RSRC2:TIDIG_COMP_CNT: 0
	.section	.text._ZN7rocprim17ROCPRIM_400000_NS6detail17trampoline_kernelINS0_14default_configENS1_36segmented_radix_sort_config_selectorIblEEZNS1_25segmented_radix_sort_implIS3_Lb1EPKbPbPKlPlN2at6native12_GLOBAL__N_18offset_tEEE10hipError_tPvRmT1_PNSt15iterator_traitsISK_E10value_typeET2_T3_PNSL_ISQ_E10value_typeET4_jRbjT5_SW_jjP12ihipStream_tbEUlT_E2_NS1_11comp_targetILNS1_3genE2ELNS1_11target_archE906ELNS1_3gpuE6ELNS1_3repE0EEENS1_30default_config_static_selectorELNS0_4arch9wavefront6targetE0EEEvSK_,"axG",@progbits,_ZN7rocprim17ROCPRIM_400000_NS6detail17trampoline_kernelINS0_14default_configENS1_36segmented_radix_sort_config_selectorIblEEZNS1_25segmented_radix_sort_implIS3_Lb1EPKbPbPKlPlN2at6native12_GLOBAL__N_18offset_tEEE10hipError_tPvRmT1_PNSt15iterator_traitsISK_E10value_typeET2_T3_PNSL_ISQ_E10value_typeET4_jRbjT5_SW_jjP12ihipStream_tbEUlT_E2_NS1_11comp_targetILNS1_3genE2ELNS1_11target_archE906ELNS1_3gpuE6ELNS1_3repE0EEENS1_30default_config_static_selectorELNS0_4arch9wavefront6targetE0EEEvSK_,comdat
	.globl	_ZN7rocprim17ROCPRIM_400000_NS6detail17trampoline_kernelINS0_14default_configENS1_36segmented_radix_sort_config_selectorIblEEZNS1_25segmented_radix_sort_implIS3_Lb1EPKbPbPKlPlN2at6native12_GLOBAL__N_18offset_tEEE10hipError_tPvRmT1_PNSt15iterator_traitsISK_E10value_typeET2_T3_PNSL_ISQ_E10value_typeET4_jRbjT5_SW_jjP12ihipStream_tbEUlT_E2_NS1_11comp_targetILNS1_3genE2ELNS1_11target_archE906ELNS1_3gpuE6ELNS1_3repE0EEENS1_30default_config_static_selectorELNS0_4arch9wavefront6targetE0EEEvSK_ ; -- Begin function _ZN7rocprim17ROCPRIM_400000_NS6detail17trampoline_kernelINS0_14default_configENS1_36segmented_radix_sort_config_selectorIblEEZNS1_25segmented_radix_sort_implIS3_Lb1EPKbPbPKlPlN2at6native12_GLOBAL__N_18offset_tEEE10hipError_tPvRmT1_PNSt15iterator_traitsISK_E10value_typeET2_T3_PNSL_ISQ_E10value_typeET4_jRbjT5_SW_jjP12ihipStream_tbEUlT_E2_NS1_11comp_targetILNS1_3genE2ELNS1_11target_archE906ELNS1_3gpuE6ELNS1_3repE0EEENS1_30default_config_static_selectorELNS0_4arch9wavefront6targetE0EEEvSK_
	.p2align	8
	.type	_ZN7rocprim17ROCPRIM_400000_NS6detail17trampoline_kernelINS0_14default_configENS1_36segmented_radix_sort_config_selectorIblEEZNS1_25segmented_radix_sort_implIS3_Lb1EPKbPbPKlPlN2at6native12_GLOBAL__N_18offset_tEEE10hipError_tPvRmT1_PNSt15iterator_traitsISK_E10value_typeET2_T3_PNSL_ISQ_E10value_typeET4_jRbjT5_SW_jjP12ihipStream_tbEUlT_E2_NS1_11comp_targetILNS1_3genE2ELNS1_11target_archE906ELNS1_3gpuE6ELNS1_3repE0EEENS1_30default_config_static_selectorELNS0_4arch9wavefront6targetE0EEEvSK_,@function
_ZN7rocprim17ROCPRIM_400000_NS6detail17trampoline_kernelINS0_14default_configENS1_36segmented_radix_sort_config_selectorIblEEZNS1_25segmented_radix_sort_implIS3_Lb1EPKbPbPKlPlN2at6native12_GLOBAL__N_18offset_tEEE10hipError_tPvRmT1_PNSt15iterator_traitsISK_E10value_typeET2_T3_PNSL_ISQ_E10value_typeET4_jRbjT5_SW_jjP12ihipStream_tbEUlT_E2_NS1_11comp_targetILNS1_3genE2ELNS1_11target_archE906ELNS1_3gpuE6ELNS1_3repE0EEENS1_30default_config_static_selectorELNS0_4arch9wavefront6targetE0EEEvSK_: ; @_ZN7rocprim17ROCPRIM_400000_NS6detail17trampoline_kernelINS0_14default_configENS1_36segmented_radix_sort_config_selectorIblEEZNS1_25segmented_radix_sort_implIS3_Lb1EPKbPbPKlPlN2at6native12_GLOBAL__N_18offset_tEEE10hipError_tPvRmT1_PNSt15iterator_traitsISK_E10value_typeET2_T3_PNSL_ISQ_E10value_typeET4_jRbjT5_SW_jjP12ihipStream_tbEUlT_E2_NS1_11comp_targetILNS1_3genE2ELNS1_11target_archE906ELNS1_3gpuE6ELNS1_3repE0EEENS1_30default_config_static_selectorELNS0_4arch9wavefront6targetE0EEEvSK_
; %bb.0:
	.section	.rodata,"a",@progbits
	.p2align	6, 0x0
	.amdhsa_kernel _ZN7rocprim17ROCPRIM_400000_NS6detail17trampoline_kernelINS0_14default_configENS1_36segmented_radix_sort_config_selectorIblEEZNS1_25segmented_radix_sort_implIS3_Lb1EPKbPbPKlPlN2at6native12_GLOBAL__N_18offset_tEEE10hipError_tPvRmT1_PNSt15iterator_traitsISK_E10value_typeET2_T3_PNSL_ISQ_E10value_typeET4_jRbjT5_SW_jjP12ihipStream_tbEUlT_E2_NS1_11comp_targetILNS1_3genE2ELNS1_11target_archE906ELNS1_3gpuE6ELNS1_3repE0EEENS1_30default_config_static_selectorELNS0_4arch9wavefront6targetE0EEEvSK_
		.amdhsa_group_segment_fixed_size 0
		.amdhsa_private_segment_fixed_size 0
		.amdhsa_kernarg_size 80
		.amdhsa_user_sgpr_count 15
		.amdhsa_user_sgpr_dispatch_ptr 0
		.amdhsa_user_sgpr_queue_ptr 0
		.amdhsa_user_sgpr_kernarg_segment_ptr 1
		.amdhsa_user_sgpr_dispatch_id 0
		.amdhsa_user_sgpr_private_segment_size 0
		.amdhsa_wavefront_size32 1
		.amdhsa_uses_dynamic_stack 0
		.amdhsa_enable_private_segment 0
		.amdhsa_system_sgpr_workgroup_id_x 1
		.amdhsa_system_sgpr_workgroup_id_y 0
		.amdhsa_system_sgpr_workgroup_id_z 0
		.amdhsa_system_sgpr_workgroup_info 0
		.amdhsa_system_vgpr_workitem_id 0
		.amdhsa_next_free_vgpr 1
		.amdhsa_next_free_sgpr 1
		.amdhsa_reserve_vcc 0
		.amdhsa_float_round_mode_32 0
		.amdhsa_float_round_mode_16_64 0
		.amdhsa_float_denorm_mode_32 3
		.amdhsa_float_denorm_mode_16_64 3
		.amdhsa_dx10_clamp 1
		.amdhsa_ieee_mode 1
		.amdhsa_fp16_overflow 0
		.amdhsa_workgroup_processor_mode 1
		.amdhsa_memory_ordered 1
		.amdhsa_forward_progress 0
		.amdhsa_shared_vgpr_count 0
		.amdhsa_exception_fp_ieee_invalid_op 0
		.amdhsa_exception_fp_denorm_src 0
		.amdhsa_exception_fp_ieee_div_zero 0
		.amdhsa_exception_fp_ieee_overflow 0
		.amdhsa_exception_fp_ieee_underflow 0
		.amdhsa_exception_fp_ieee_inexact 0
		.amdhsa_exception_int_div_zero 0
	.end_amdhsa_kernel
	.section	.text._ZN7rocprim17ROCPRIM_400000_NS6detail17trampoline_kernelINS0_14default_configENS1_36segmented_radix_sort_config_selectorIblEEZNS1_25segmented_radix_sort_implIS3_Lb1EPKbPbPKlPlN2at6native12_GLOBAL__N_18offset_tEEE10hipError_tPvRmT1_PNSt15iterator_traitsISK_E10value_typeET2_T3_PNSL_ISQ_E10value_typeET4_jRbjT5_SW_jjP12ihipStream_tbEUlT_E2_NS1_11comp_targetILNS1_3genE2ELNS1_11target_archE906ELNS1_3gpuE6ELNS1_3repE0EEENS1_30default_config_static_selectorELNS0_4arch9wavefront6targetE0EEEvSK_,"axG",@progbits,_ZN7rocprim17ROCPRIM_400000_NS6detail17trampoline_kernelINS0_14default_configENS1_36segmented_radix_sort_config_selectorIblEEZNS1_25segmented_radix_sort_implIS3_Lb1EPKbPbPKlPlN2at6native12_GLOBAL__N_18offset_tEEE10hipError_tPvRmT1_PNSt15iterator_traitsISK_E10value_typeET2_T3_PNSL_ISQ_E10value_typeET4_jRbjT5_SW_jjP12ihipStream_tbEUlT_E2_NS1_11comp_targetILNS1_3genE2ELNS1_11target_archE906ELNS1_3gpuE6ELNS1_3repE0EEENS1_30default_config_static_selectorELNS0_4arch9wavefront6targetE0EEEvSK_,comdat
.Lfunc_end1566:
	.size	_ZN7rocprim17ROCPRIM_400000_NS6detail17trampoline_kernelINS0_14default_configENS1_36segmented_radix_sort_config_selectorIblEEZNS1_25segmented_radix_sort_implIS3_Lb1EPKbPbPKlPlN2at6native12_GLOBAL__N_18offset_tEEE10hipError_tPvRmT1_PNSt15iterator_traitsISK_E10value_typeET2_T3_PNSL_ISQ_E10value_typeET4_jRbjT5_SW_jjP12ihipStream_tbEUlT_E2_NS1_11comp_targetILNS1_3genE2ELNS1_11target_archE906ELNS1_3gpuE6ELNS1_3repE0EEENS1_30default_config_static_selectorELNS0_4arch9wavefront6targetE0EEEvSK_, .Lfunc_end1566-_ZN7rocprim17ROCPRIM_400000_NS6detail17trampoline_kernelINS0_14default_configENS1_36segmented_radix_sort_config_selectorIblEEZNS1_25segmented_radix_sort_implIS3_Lb1EPKbPbPKlPlN2at6native12_GLOBAL__N_18offset_tEEE10hipError_tPvRmT1_PNSt15iterator_traitsISK_E10value_typeET2_T3_PNSL_ISQ_E10value_typeET4_jRbjT5_SW_jjP12ihipStream_tbEUlT_E2_NS1_11comp_targetILNS1_3genE2ELNS1_11target_archE906ELNS1_3gpuE6ELNS1_3repE0EEENS1_30default_config_static_selectorELNS0_4arch9wavefront6targetE0EEEvSK_
                                        ; -- End function
	.section	.AMDGPU.csdata,"",@progbits
; Kernel info:
; codeLenInByte = 0
; NumSgprs: 0
; NumVgprs: 0
; ScratchSize: 0
; MemoryBound: 0
; FloatMode: 240
; IeeeMode: 1
; LDSByteSize: 0 bytes/workgroup (compile time only)
; SGPRBlocks: 0
; VGPRBlocks: 0
; NumSGPRsForWavesPerEU: 1
; NumVGPRsForWavesPerEU: 1
; Occupancy: 16
; WaveLimiterHint : 0
; COMPUTE_PGM_RSRC2:SCRATCH_EN: 0
; COMPUTE_PGM_RSRC2:USER_SGPR: 15
; COMPUTE_PGM_RSRC2:TRAP_HANDLER: 0
; COMPUTE_PGM_RSRC2:TGID_X_EN: 1
; COMPUTE_PGM_RSRC2:TGID_Y_EN: 0
; COMPUTE_PGM_RSRC2:TGID_Z_EN: 0
; COMPUTE_PGM_RSRC2:TIDIG_COMP_CNT: 0
	.section	.text._ZN7rocprim17ROCPRIM_400000_NS6detail17trampoline_kernelINS0_14default_configENS1_36segmented_radix_sort_config_selectorIblEEZNS1_25segmented_radix_sort_implIS3_Lb1EPKbPbPKlPlN2at6native12_GLOBAL__N_18offset_tEEE10hipError_tPvRmT1_PNSt15iterator_traitsISK_E10value_typeET2_T3_PNSL_ISQ_E10value_typeET4_jRbjT5_SW_jjP12ihipStream_tbEUlT_E2_NS1_11comp_targetILNS1_3genE10ELNS1_11target_archE1201ELNS1_3gpuE5ELNS1_3repE0EEENS1_30default_config_static_selectorELNS0_4arch9wavefront6targetE0EEEvSK_,"axG",@progbits,_ZN7rocprim17ROCPRIM_400000_NS6detail17trampoline_kernelINS0_14default_configENS1_36segmented_radix_sort_config_selectorIblEEZNS1_25segmented_radix_sort_implIS3_Lb1EPKbPbPKlPlN2at6native12_GLOBAL__N_18offset_tEEE10hipError_tPvRmT1_PNSt15iterator_traitsISK_E10value_typeET2_T3_PNSL_ISQ_E10value_typeET4_jRbjT5_SW_jjP12ihipStream_tbEUlT_E2_NS1_11comp_targetILNS1_3genE10ELNS1_11target_archE1201ELNS1_3gpuE5ELNS1_3repE0EEENS1_30default_config_static_selectorELNS0_4arch9wavefront6targetE0EEEvSK_,comdat
	.globl	_ZN7rocprim17ROCPRIM_400000_NS6detail17trampoline_kernelINS0_14default_configENS1_36segmented_radix_sort_config_selectorIblEEZNS1_25segmented_radix_sort_implIS3_Lb1EPKbPbPKlPlN2at6native12_GLOBAL__N_18offset_tEEE10hipError_tPvRmT1_PNSt15iterator_traitsISK_E10value_typeET2_T3_PNSL_ISQ_E10value_typeET4_jRbjT5_SW_jjP12ihipStream_tbEUlT_E2_NS1_11comp_targetILNS1_3genE10ELNS1_11target_archE1201ELNS1_3gpuE5ELNS1_3repE0EEENS1_30default_config_static_selectorELNS0_4arch9wavefront6targetE0EEEvSK_ ; -- Begin function _ZN7rocprim17ROCPRIM_400000_NS6detail17trampoline_kernelINS0_14default_configENS1_36segmented_radix_sort_config_selectorIblEEZNS1_25segmented_radix_sort_implIS3_Lb1EPKbPbPKlPlN2at6native12_GLOBAL__N_18offset_tEEE10hipError_tPvRmT1_PNSt15iterator_traitsISK_E10value_typeET2_T3_PNSL_ISQ_E10value_typeET4_jRbjT5_SW_jjP12ihipStream_tbEUlT_E2_NS1_11comp_targetILNS1_3genE10ELNS1_11target_archE1201ELNS1_3gpuE5ELNS1_3repE0EEENS1_30default_config_static_selectorELNS0_4arch9wavefront6targetE0EEEvSK_
	.p2align	8
	.type	_ZN7rocprim17ROCPRIM_400000_NS6detail17trampoline_kernelINS0_14default_configENS1_36segmented_radix_sort_config_selectorIblEEZNS1_25segmented_radix_sort_implIS3_Lb1EPKbPbPKlPlN2at6native12_GLOBAL__N_18offset_tEEE10hipError_tPvRmT1_PNSt15iterator_traitsISK_E10value_typeET2_T3_PNSL_ISQ_E10value_typeET4_jRbjT5_SW_jjP12ihipStream_tbEUlT_E2_NS1_11comp_targetILNS1_3genE10ELNS1_11target_archE1201ELNS1_3gpuE5ELNS1_3repE0EEENS1_30default_config_static_selectorELNS0_4arch9wavefront6targetE0EEEvSK_,@function
_ZN7rocprim17ROCPRIM_400000_NS6detail17trampoline_kernelINS0_14default_configENS1_36segmented_radix_sort_config_selectorIblEEZNS1_25segmented_radix_sort_implIS3_Lb1EPKbPbPKlPlN2at6native12_GLOBAL__N_18offset_tEEE10hipError_tPvRmT1_PNSt15iterator_traitsISK_E10value_typeET2_T3_PNSL_ISQ_E10value_typeET4_jRbjT5_SW_jjP12ihipStream_tbEUlT_E2_NS1_11comp_targetILNS1_3genE10ELNS1_11target_archE1201ELNS1_3gpuE5ELNS1_3repE0EEENS1_30default_config_static_selectorELNS0_4arch9wavefront6targetE0EEEvSK_: ; @_ZN7rocprim17ROCPRIM_400000_NS6detail17trampoline_kernelINS0_14default_configENS1_36segmented_radix_sort_config_selectorIblEEZNS1_25segmented_radix_sort_implIS3_Lb1EPKbPbPKlPlN2at6native12_GLOBAL__N_18offset_tEEE10hipError_tPvRmT1_PNSt15iterator_traitsISK_E10value_typeET2_T3_PNSL_ISQ_E10value_typeET4_jRbjT5_SW_jjP12ihipStream_tbEUlT_E2_NS1_11comp_targetILNS1_3genE10ELNS1_11target_archE1201ELNS1_3gpuE5ELNS1_3repE0EEENS1_30default_config_static_selectorELNS0_4arch9wavefront6targetE0EEEvSK_
; %bb.0:
	.section	.rodata,"a",@progbits
	.p2align	6, 0x0
	.amdhsa_kernel _ZN7rocprim17ROCPRIM_400000_NS6detail17trampoline_kernelINS0_14default_configENS1_36segmented_radix_sort_config_selectorIblEEZNS1_25segmented_radix_sort_implIS3_Lb1EPKbPbPKlPlN2at6native12_GLOBAL__N_18offset_tEEE10hipError_tPvRmT1_PNSt15iterator_traitsISK_E10value_typeET2_T3_PNSL_ISQ_E10value_typeET4_jRbjT5_SW_jjP12ihipStream_tbEUlT_E2_NS1_11comp_targetILNS1_3genE10ELNS1_11target_archE1201ELNS1_3gpuE5ELNS1_3repE0EEENS1_30default_config_static_selectorELNS0_4arch9wavefront6targetE0EEEvSK_
		.amdhsa_group_segment_fixed_size 0
		.amdhsa_private_segment_fixed_size 0
		.amdhsa_kernarg_size 80
		.amdhsa_user_sgpr_count 15
		.amdhsa_user_sgpr_dispatch_ptr 0
		.amdhsa_user_sgpr_queue_ptr 0
		.amdhsa_user_sgpr_kernarg_segment_ptr 1
		.amdhsa_user_sgpr_dispatch_id 0
		.amdhsa_user_sgpr_private_segment_size 0
		.amdhsa_wavefront_size32 1
		.amdhsa_uses_dynamic_stack 0
		.amdhsa_enable_private_segment 0
		.amdhsa_system_sgpr_workgroup_id_x 1
		.amdhsa_system_sgpr_workgroup_id_y 0
		.amdhsa_system_sgpr_workgroup_id_z 0
		.amdhsa_system_sgpr_workgroup_info 0
		.amdhsa_system_vgpr_workitem_id 0
		.amdhsa_next_free_vgpr 1
		.amdhsa_next_free_sgpr 1
		.amdhsa_reserve_vcc 0
		.amdhsa_float_round_mode_32 0
		.amdhsa_float_round_mode_16_64 0
		.amdhsa_float_denorm_mode_32 3
		.amdhsa_float_denorm_mode_16_64 3
		.amdhsa_dx10_clamp 1
		.amdhsa_ieee_mode 1
		.amdhsa_fp16_overflow 0
		.amdhsa_workgroup_processor_mode 1
		.amdhsa_memory_ordered 1
		.amdhsa_forward_progress 0
		.amdhsa_shared_vgpr_count 0
		.amdhsa_exception_fp_ieee_invalid_op 0
		.amdhsa_exception_fp_denorm_src 0
		.amdhsa_exception_fp_ieee_div_zero 0
		.amdhsa_exception_fp_ieee_overflow 0
		.amdhsa_exception_fp_ieee_underflow 0
		.amdhsa_exception_fp_ieee_inexact 0
		.amdhsa_exception_int_div_zero 0
	.end_amdhsa_kernel
	.section	.text._ZN7rocprim17ROCPRIM_400000_NS6detail17trampoline_kernelINS0_14default_configENS1_36segmented_radix_sort_config_selectorIblEEZNS1_25segmented_radix_sort_implIS3_Lb1EPKbPbPKlPlN2at6native12_GLOBAL__N_18offset_tEEE10hipError_tPvRmT1_PNSt15iterator_traitsISK_E10value_typeET2_T3_PNSL_ISQ_E10value_typeET4_jRbjT5_SW_jjP12ihipStream_tbEUlT_E2_NS1_11comp_targetILNS1_3genE10ELNS1_11target_archE1201ELNS1_3gpuE5ELNS1_3repE0EEENS1_30default_config_static_selectorELNS0_4arch9wavefront6targetE0EEEvSK_,"axG",@progbits,_ZN7rocprim17ROCPRIM_400000_NS6detail17trampoline_kernelINS0_14default_configENS1_36segmented_radix_sort_config_selectorIblEEZNS1_25segmented_radix_sort_implIS3_Lb1EPKbPbPKlPlN2at6native12_GLOBAL__N_18offset_tEEE10hipError_tPvRmT1_PNSt15iterator_traitsISK_E10value_typeET2_T3_PNSL_ISQ_E10value_typeET4_jRbjT5_SW_jjP12ihipStream_tbEUlT_E2_NS1_11comp_targetILNS1_3genE10ELNS1_11target_archE1201ELNS1_3gpuE5ELNS1_3repE0EEENS1_30default_config_static_selectorELNS0_4arch9wavefront6targetE0EEEvSK_,comdat
.Lfunc_end1567:
	.size	_ZN7rocprim17ROCPRIM_400000_NS6detail17trampoline_kernelINS0_14default_configENS1_36segmented_radix_sort_config_selectorIblEEZNS1_25segmented_radix_sort_implIS3_Lb1EPKbPbPKlPlN2at6native12_GLOBAL__N_18offset_tEEE10hipError_tPvRmT1_PNSt15iterator_traitsISK_E10value_typeET2_T3_PNSL_ISQ_E10value_typeET4_jRbjT5_SW_jjP12ihipStream_tbEUlT_E2_NS1_11comp_targetILNS1_3genE10ELNS1_11target_archE1201ELNS1_3gpuE5ELNS1_3repE0EEENS1_30default_config_static_selectorELNS0_4arch9wavefront6targetE0EEEvSK_, .Lfunc_end1567-_ZN7rocprim17ROCPRIM_400000_NS6detail17trampoline_kernelINS0_14default_configENS1_36segmented_radix_sort_config_selectorIblEEZNS1_25segmented_radix_sort_implIS3_Lb1EPKbPbPKlPlN2at6native12_GLOBAL__N_18offset_tEEE10hipError_tPvRmT1_PNSt15iterator_traitsISK_E10value_typeET2_T3_PNSL_ISQ_E10value_typeET4_jRbjT5_SW_jjP12ihipStream_tbEUlT_E2_NS1_11comp_targetILNS1_3genE10ELNS1_11target_archE1201ELNS1_3gpuE5ELNS1_3repE0EEENS1_30default_config_static_selectorELNS0_4arch9wavefront6targetE0EEEvSK_
                                        ; -- End function
	.section	.AMDGPU.csdata,"",@progbits
; Kernel info:
; codeLenInByte = 0
; NumSgprs: 0
; NumVgprs: 0
; ScratchSize: 0
; MemoryBound: 0
; FloatMode: 240
; IeeeMode: 1
; LDSByteSize: 0 bytes/workgroup (compile time only)
; SGPRBlocks: 0
; VGPRBlocks: 0
; NumSGPRsForWavesPerEU: 1
; NumVGPRsForWavesPerEU: 1
; Occupancy: 16
; WaveLimiterHint : 0
; COMPUTE_PGM_RSRC2:SCRATCH_EN: 0
; COMPUTE_PGM_RSRC2:USER_SGPR: 15
; COMPUTE_PGM_RSRC2:TRAP_HANDLER: 0
; COMPUTE_PGM_RSRC2:TGID_X_EN: 1
; COMPUTE_PGM_RSRC2:TGID_Y_EN: 0
; COMPUTE_PGM_RSRC2:TGID_Z_EN: 0
; COMPUTE_PGM_RSRC2:TIDIG_COMP_CNT: 0
	.section	.text._ZN7rocprim17ROCPRIM_400000_NS6detail17trampoline_kernelINS0_14default_configENS1_36segmented_radix_sort_config_selectorIblEEZNS1_25segmented_radix_sort_implIS3_Lb1EPKbPbPKlPlN2at6native12_GLOBAL__N_18offset_tEEE10hipError_tPvRmT1_PNSt15iterator_traitsISK_E10value_typeET2_T3_PNSL_ISQ_E10value_typeET4_jRbjT5_SW_jjP12ihipStream_tbEUlT_E2_NS1_11comp_targetILNS1_3genE10ELNS1_11target_archE1200ELNS1_3gpuE4ELNS1_3repE0EEENS1_30default_config_static_selectorELNS0_4arch9wavefront6targetE0EEEvSK_,"axG",@progbits,_ZN7rocprim17ROCPRIM_400000_NS6detail17trampoline_kernelINS0_14default_configENS1_36segmented_radix_sort_config_selectorIblEEZNS1_25segmented_radix_sort_implIS3_Lb1EPKbPbPKlPlN2at6native12_GLOBAL__N_18offset_tEEE10hipError_tPvRmT1_PNSt15iterator_traitsISK_E10value_typeET2_T3_PNSL_ISQ_E10value_typeET4_jRbjT5_SW_jjP12ihipStream_tbEUlT_E2_NS1_11comp_targetILNS1_3genE10ELNS1_11target_archE1200ELNS1_3gpuE4ELNS1_3repE0EEENS1_30default_config_static_selectorELNS0_4arch9wavefront6targetE0EEEvSK_,comdat
	.globl	_ZN7rocprim17ROCPRIM_400000_NS6detail17trampoline_kernelINS0_14default_configENS1_36segmented_radix_sort_config_selectorIblEEZNS1_25segmented_radix_sort_implIS3_Lb1EPKbPbPKlPlN2at6native12_GLOBAL__N_18offset_tEEE10hipError_tPvRmT1_PNSt15iterator_traitsISK_E10value_typeET2_T3_PNSL_ISQ_E10value_typeET4_jRbjT5_SW_jjP12ihipStream_tbEUlT_E2_NS1_11comp_targetILNS1_3genE10ELNS1_11target_archE1200ELNS1_3gpuE4ELNS1_3repE0EEENS1_30default_config_static_selectorELNS0_4arch9wavefront6targetE0EEEvSK_ ; -- Begin function _ZN7rocprim17ROCPRIM_400000_NS6detail17trampoline_kernelINS0_14default_configENS1_36segmented_radix_sort_config_selectorIblEEZNS1_25segmented_radix_sort_implIS3_Lb1EPKbPbPKlPlN2at6native12_GLOBAL__N_18offset_tEEE10hipError_tPvRmT1_PNSt15iterator_traitsISK_E10value_typeET2_T3_PNSL_ISQ_E10value_typeET4_jRbjT5_SW_jjP12ihipStream_tbEUlT_E2_NS1_11comp_targetILNS1_3genE10ELNS1_11target_archE1200ELNS1_3gpuE4ELNS1_3repE0EEENS1_30default_config_static_selectorELNS0_4arch9wavefront6targetE0EEEvSK_
	.p2align	8
	.type	_ZN7rocprim17ROCPRIM_400000_NS6detail17trampoline_kernelINS0_14default_configENS1_36segmented_radix_sort_config_selectorIblEEZNS1_25segmented_radix_sort_implIS3_Lb1EPKbPbPKlPlN2at6native12_GLOBAL__N_18offset_tEEE10hipError_tPvRmT1_PNSt15iterator_traitsISK_E10value_typeET2_T3_PNSL_ISQ_E10value_typeET4_jRbjT5_SW_jjP12ihipStream_tbEUlT_E2_NS1_11comp_targetILNS1_3genE10ELNS1_11target_archE1200ELNS1_3gpuE4ELNS1_3repE0EEENS1_30default_config_static_selectorELNS0_4arch9wavefront6targetE0EEEvSK_,@function
_ZN7rocprim17ROCPRIM_400000_NS6detail17trampoline_kernelINS0_14default_configENS1_36segmented_radix_sort_config_selectorIblEEZNS1_25segmented_radix_sort_implIS3_Lb1EPKbPbPKlPlN2at6native12_GLOBAL__N_18offset_tEEE10hipError_tPvRmT1_PNSt15iterator_traitsISK_E10value_typeET2_T3_PNSL_ISQ_E10value_typeET4_jRbjT5_SW_jjP12ihipStream_tbEUlT_E2_NS1_11comp_targetILNS1_3genE10ELNS1_11target_archE1200ELNS1_3gpuE4ELNS1_3repE0EEENS1_30default_config_static_selectorELNS0_4arch9wavefront6targetE0EEEvSK_: ; @_ZN7rocprim17ROCPRIM_400000_NS6detail17trampoline_kernelINS0_14default_configENS1_36segmented_radix_sort_config_selectorIblEEZNS1_25segmented_radix_sort_implIS3_Lb1EPKbPbPKlPlN2at6native12_GLOBAL__N_18offset_tEEE10hipError_tPvRmT1_PNSt15iterator_traitsISK_E10value_typeET2_T3_PNSL_ISQ_E10value_typeET4_jRbjT5_SW_jjP12ihipStream_tbEUlT_E2_NS1_11comp_targetILNS1_3genE10ELNS1_11target_archE1200ELNS1_3gpuE4ELNS1_3repE0EEENS1_30default_config_static_selectorELNS0_4arch9wavefront6targetE0EEEvSK_
; %bb.0:
	.section	.rodata,"a",@progbits
	.p2align	6, 0x0
	.amdhsa_kernel _ZN7rocprim17ROCPRIM_400000_NS6detail17trampoline_kernelINS0_14default_configENS1_36segmented_radix_sort_config_selectorIblEEZNS1_25segmented_radix_sort_implIS3_Lb1EPKbPbPKlPlN2at6native12_GLOBAL__N_18offset_tEEE10hipError_tPvRmT1_PNSt15iterator_traitsISK_E10value_typeET2_T3_PNSL_ISQ_E10value_typeET4_jRbjT5_SW_jjP12ihipStream_tbEUlT_E2_NS1_11comp_targetILNS1_3genE10ELNS1_11target_archE1200ELNS1_3gpuE4ELNS1_3repE0EEENS1_30default_config_static_selectorELNS0_4arch9wavefront6targetE0EEEvSK_
		.amdhsa_group_segment_fixed_size 0
		.amdhsa_private_segment_fixed_size 0
		.amdhsa_kernarg_size 80
		.amdhsa_user_sgpr_count 15
		.amdhsa_user_sgpr_dispatch_ptr 0
		.amdhsa_user_sgpr_queue_ptr 0
		.amdhsa_user_sgpr_kernarg_segment_ptr 1
		.amdhsa_user_sgpr_dispatch_id 0
		.amdhsa_user_sgpr_private_segment_size 0
		.amdhsa_wavefront_size32 1
		.amdhsa_uses_dynamic_stack 0
		.amdhsa_enable_private_segment 0
		.amdhsa_system_sgpr_workgroup_id_x 1
		.amdhsa_system_sgpr_workgroup_id_y 0
		.amdhsa_system_sgpr_workgroup_id_z 0
		.amdhsa_system_sgpr_workgroup_info 0
		.amdhsa_system_vgpr_workitem_id 0
		.amdhsa_next_free_vgpr 1
		.amdhsa_next_free_sgpr 1
		.amdhsa_reserve_vcc 0
		.amdhsa_float_round_mode_32 0
		.amdhsa_float_round_mode_16_64 0
		.amdhsa_float_denorm_mode_32 3
		.amdhsa_float_denorm_mode_16_64 3
		.amdhsa_dx10_clamp 1
		.amdhsa_ieee_mode 1
		.amdhsa_fp16_overflow 0
		.amdhsa_workgroup_processor_mode 1
		.amdhsa_memory_ordered 1
		.amdhsa_forward_progress 0
		.amdhsa_shared_vgpr_count 0
		.amdhsa_exception_fp_ieee_invalid_op 0
		.amdhsa_exception_fp_denorm_src 0
		.amdhsa_exception_fp_ieee_div_zero 0
		.amdhsa_exception_fp_ieee_overflow 0
		.amdhsa_exception_fp_ieee_underflow 0
		.amdhsa_exception_fp_ieee_inexact 0
		.amdhsa_exception_int_div_zero 0
	.end_amdhsa_kernel
	.section	.text._ZN7rocprim17ROCPRIM_400000_NS6detail17trampoline_kernelINS0_14default_configENS1_36segmented_radix_sort_config_selectorIblEEZNS1_25segmented_radix_sort_implIS3_Lb1EPKbPbPKlPlN2at6native12_GLOBAL__N_18offset_tEEE10hipError_tPvRmT1_PNSt15iterator_traitsISK_E10value_typeET2_T3_PNSL_ISQ_E10value_typeET4_jRbjT5_SW_jjP12ihipStream_tbEUlT_E2_NS1_11comp_targetILNS1_3genE10ELNS1_11target_archE1200ELNS1_3gpuE4ELNS1_3repE0EEENS1_30default_config_static_selectorELNS0_4arch9wavefront6targetE0EEEvSK_,"axG",@progbits,_ZN7rocprim17ROCPRIM_400000_NS6detail17trampoline_kernelINS0_14default_configENS1_36segmented_radix_sort_config_selectorIblEEZNS1_25segmented_radix_sort_implIS3_Lb1EPKbPbPKlPlN2at6native12_GLOBAL__N_18offset_tEEE10hipError_tPvRmT1_PNSt15iterator_traitsISK_E10value_typeET2_T3_PNSL_ISQ_E10value_typeET4_jRbjT5_SW_jjP12ihipStream_tbEUlT_E2_NS1_11comp_targetILNS1_3genE10ELNS1_11target_archE1200ELNS1_3gpuE4ELNS1_3repE0EEENS1_30default_config_static_selectorELNS0_4arch9wavefront6targetE0EEEvSK_,comdat
.Lfunc_end1568:
	.size	_ZN7rocprim17ROCPRIM_400000_NS6detail17trampoline_kernelINS0_14default_configENS1_36segmented_radix_sort_config_selectorIblEEZNS1_25segmented_radix_sort_implIS3_Lb1EPKbPbPKlPlN2at6native12_GLOBAL__N_18offset_tEEE10hipError_tPvRmT1_PNSt15iterator_traitsISK_E10value_typeET2_T3_PNSL_ISQ_E10value_typeET4_jRbjT5_SW_jjP12ihipStream_tbEUlT_E2_NS1_11comp_targetILNS1_3genE10ELNS1_11target_archE1200ELNS1_3gpuE4ELNS1_3repE0EEENS1_30default_config_static_selectorELNS0_4arch9wavefront6targetE0EEEvSK_, .Lfunc_end1568-_ZN7rocprim17ROCPRIM_400000_NS6detail17trampoline_kernelINS0_14default_configENS1_36segmented_radix_sort_config_selectorIblEEZNS1_25segmented_radix_sort_implIS3_Lb1EPKbPbPKlPlN2at6native12_GLOBAL__N_18offset_tEEE10hipError_tPvRmT1_PNSt15iterator_traitsISK_E10value_typeET2_T3_PNSL_ISQ_E10value_typeET4_jRbjT5_SW_jjP12ihipStream_tbEUlT_E2_NS1_11comp_targetILNS1_3genE10ELNS1_11target_archE1200ELNS1_3gpuE4ELNS1_3repE0EEENS1_30default_config_static_selectorELNS0_4arch9wavefront6targetE0EEEvSK_
                                        ; -- End function
	.section	.AMDGPU.csdata,"",@progbits
; Kernel info:
; codeLenInByte = 0
; NumSgprs: 0
; NumVgprs: 0
; ScratchSize: 0
; MemoryBound: 0
; FloatMode: 240
; IeeeMode: 1
; LDSByteSize: 0 bytes/workgroup (compile time only)
; SGPRBlocks: 0
; VGPRBlocks: 0
; NumSGPRsForWavesPerEU: 1
; NumVGPRsForWavesPerEU: 1
; Occupancy: 16
; WaveLimiterHint : 0
; COMPUTE_PGM_RSRC2:SCRATCH_EN: 0
; COMPUTE_PGM_RSRC2:USER_SGPR: 15
; COMPUTE_PGM_RSRC2:TRAP_HANDLER: 0
; COMPUTE_PGM_RSRC2:TGID_X_EN: 1
; COMPUTE_PGM_RSRC2:TGID_Y_EN: 0
; COMPUTE_PGM_RSRC2:TGID_Z_EN: 0
; COMPUTE_PGM_RSRC2:TIDIG_COMP_CNT: 0
	.section	.text._ZN7rocprim17ROCPRIM_400000_NS6detail17trampoline_kernelINS0_14default_configENS1_36segmented_radix_sort_config_selectorIblEEZNS1_25segmented_radix_sort_implIS3_Lb1EPKbPbPKlPlN2at6native12_GLOBAL__N_18offset_tEEE10hipError_tPvRmT1_PNSt15iterator_traitsISK_E10value_typeET2_T3_PNSL_ISQ_E10value_typeET4_jRbjT5_SW_jjP12ihipStream_tbEUlT_E2_NS1_11comp_targetILNS1_3genE9ELNS1_11target_archE1100ELNS1_3gpuE3ELNS1_3repE0EEENS1_30default_config_static_selectorELNS0_4arch9wavefront6targetE0EEEvSK_,"axG",@progbits,_ZN7rocprim17ROCPRIM_400000_NS6detail17trampoline_kernelINS0_14default_configENS1_36segmented_radix_sort_config_selectorIblEEZNS1_25segmented_radix_sort_implIS3_Lb1EPKbPbPKlPlN2at6native12_GLOBAL__N_18offset_tEEE10hipError_tPvRmT1_PNSt15iterator_traitsISK_E10value_typeET2_T3_PNSL_ISQ_E10value_typeET4_jRbjT5_SW_jjP12ihipStream_tbEUlT_E2_NS1_11comp_targetILNS1_3genE9ELNS1_11target_archE1100ELNS1_3gpuE3ELNS1_3repE0EEENS1_30default_config_static_selectorELNS0_4arch9wavefront6targetE0EEEvSK_,comdat
	.globl	_ZN7rocprim17ROCPRIM_400000_NS6detail17trampoline_kernelINS0_14default_configENS1_36segmented_radix_sort_config_selectorIblEEZNS1_25segmented_radix_sort_implIS3_Lb1EPKbPbPKlPlN2at6native12_GLOBAL__N_18offset_tEEE10hipError_tPvRmT1_PNSt15iterator_traitsISK_E10value_typeET2_T3_PNSL_ISQ_E10value_typeET4_jRbjT5_SW_jjP12ihipStream_tbEUlT_E2_NS1_11comp_targetILNS1_3genE9ELNS1_11target_archE1100ELNS1_3gpuE3ELNS1_3repE0EEENS1_30default_config_static_selectorELNS0_4arch9wavefront6targetE0EEEvSK_ ; -- Begin function _ZN7rocprim17ROCPRIM_400000_NS6detail17trampoline_kernelINS0_14default_configENS1_36segmented_radix_sort_config_selectorIblEEZNS1_25segmented_radix_sort_implIS3_Lb1EPKbPbPKlPlN2at6native12_GLOBAL__N_18offset_tEEE10hipError_tPvRmT1_PNSt15iterator_traitsISK_E10value_typeET2_T3_PNSL_ISQ_E10value_typeET4_jRbjT5_SW_jjP12ihipStream_tbEUlT_E2_NS1_11comp_targetILNS1_3genE9ELNS1_11target_archE1100ELNS1_3gpuE3ELNS1_3repE0EEENS1_30default_config_static_selectorELNS0_4arch9wavefront6targetE0EEEvSK_
	.p2align	8
	.type	_ZN7rocprim17ROCPRIM_400000_NS6detail17trampoline_kernelINS0_14default_configENS1_36segmented_radix_sort_config_selectorIblEEZNS1_25segmented_radix_sort_implIS3_Lb1EPKbPbPKlPlN2at6native12_GLOBAL__N_18offset_tEEE10hipError_tPvRmT1_PNSt15iterator_traitsISK_E10value_typeET2_T3_PNSL_ISQ_E10value_typeET4_jRbjT5_SW_jjP12ihipStream_tbEUlT_E2_NS1_11comp_targetILNS1_3genE9ELNS1_11target_archE1100ELNS1_3gpuE3ELNS1_3repE0EEENS1_30default_config_static_selectorELNS0_4arch9wavefront6targetE0EEEvSK_,@function
_ZN7rocprim17ROCPRIM_400000_NS6detail17trampoline_kernelINS0_14default_configENS1_36segmented_radix_sort_config_selectorIblEEZNS1_25segmented_radix_sort_implIS3_Lb1EPKbPbPKlPlN2at6native12_GLOBAL__N_18offset_tEEE10hipError_tPvRmT1_PNSt15iterator_traitsISK_E10value_typeET2_T3_PNSL_ISQ_E10value_typeET4_jRbjT5_SW_jjP12ihipStream_tbEUlT_E2_NS1_11comp_targetILNS1_3genE9ELNS1_11target_archE1100ELNS1_3gpuE3ELNS1_3repE0EEENS1_30default_config_static_selectorELNS0_4arch9wavefront6targetE0EEEvSK_: ; @_ZN7rocprim17ROCPRIM_400000_NS6detail17trampoline_kernelINS0_14default_configENS1_36segmented_radix_sort_config_selectorIblEEZNS1_25segmented_radix_sort_implIS3_Lb1EPKbPbPKlPlN2at6native12_GLOBAL__N_18offset_tEEE10hipError_tPvRmT1_PNSt15iterator_traitsISK_E10value_typeET2_T3_PNSL_ISQ_E10value_typeET4_jRbjT5_SW_jjP12ihipStream_tbEUlT_E2_NS1_11comp_targetILNS1_3genE9ELNS1_11target_archE1100ELNS1_3gpuE3ELNS1_3repE0EEENS1_30default_config_static_selectorELNS0_4arch9wavefront6targetE0EEEvSK_
; %bb.0:
	s_load_b128 s[4:7], s[0:1], 0x34
	s_mov_b32 s32, 0
	s_waitcnt lgkmcnt(0)
	s_add_i32 s33, s5, s14
	s_add_i32 s34, s7, s14
	s_mul_i32 s33, s33, s4
	s_mul_i32 s34, s34, s6
	s_delay_alu instid0(SALU_CYCLE_1)
	s_cmp_le_u32 s34, s33
	s_cbranch_scc1 .LBB1569_686
; %bb.1:
	s_clause 0x3
	s_load_b32 s2, s[0:1], 0x30
	s_load_b128 s[44:47], s[0:1], 0x20
	s_load_b128 s[48:51], s[0:1], 0x44
	s_load_b256 s[36:43], s[0:1], 0x0
	s_waitcnt lgkmcnt(0)
	s_bitcmp1_b32 s2, 0
	s_mov_b32 s2, -1
	s_cselect_b32 s35, -1, 0
	s_sub_i32 s51, s34, s33
	s_delay_alu instid0(SALU_CYCLE_1)
	s_cmpk_lt_u32 s51, 0x801
	s_cbranch_scc0 .LBB1569_15
; %bb.2:
	s_cmp_lt_u32 s51, 33
	s_cbranch_scc0 .LBB1569_9
; %bb.3:
	s_load_b32 s2, s[0:1], 0x5c
	v_bfe_u32 v1, v0, 10, 10
	v_bfe_u32 v2, v0, 20, 10
	s_mov_b32 s18, exec_lo
	s_waitcnt lgkmcnt(0)
	s_lshr_b32 s3, s2, 16
	s_and_b32 s2, s2, 0xffff
	v_mad_u32_u24 v4, v2, s3, v1
	v_and_b32_e32 v1, 0x3ff, v0
	s_delay_alu instid0(VALU_DEP_1) | instskip(NEXT) | instid1(VALU_DEP_1)
	v_mad_u64_u32 v[2:3], null, v4, s2, v[1:2]
	v_cmpx_gt_u32_e32 8, v2
	s_cbranch_execz .LBB1569_8
; %bb.4:
	v_cndmask_b32_e64 v1, 0, 1, s35
	s_and_b32 s2, s48, 1
	s_delay_alu instid0(VALU_DEP_1) | instid1(SALU_CYCLE_1)
	v_cmp_ne_u32_e32 vcc_lo, s2, v1
	s_mov_b32 s2, -1
	s_cbranch_vccnz .LBB1569_6
; %bb.5:
	s_mov_b64 s[2:3], src_shared_base
	v_mov_b32_e32 v31, v0
	v_dual_mov_b32 v40, v0 :: v_dual_mov_b32 v1, s37
	v_mov_b32_e32 v0, s36
	v_dual_mov_b32 v2, s40 :: v_dual_mov_b32 v3, s41
	v_dual_mov_b32 v4, s42 :: v_dual_mov_b32 v5, s43
	;; [unrolled: 1-line block ×6, first 2 shown]
	s_add_u32 s8, s0, 0x50
	s_addc_u32 s9, s1, 0
	s_mov_b32 s12, s14
	s_mov_b32 s13, s15
	s_getpc_b64 s[4:5]
	s_add_u32 s4, s4, _ZN7rocprim17ROCPRIM_400000_NS6detail26segmented_warp_sort_helperINS1_20WarpSortHelperConfigILj8ELj4ELj256EEEblLi256ELb1EvE4sortIPKbPbPKlPlEEvT_T0_T1_T2_jjjjRNS5_12storage_typeE@rel32@lo+4
	s_addc_u32 s5, s5, _ZN7rocprim17ROCPRIM_400000_NS6detail26segmented_warp_sort_helperINS1_20WarpSortHelperConfigILj8ELj4ELj256EEEblLi256ELb1EvE4sortIPKbPbPKlPlEEvT_T0_T1_T2_jjjjRNS5_12storage_typeE@rel32@hi+12
	s_mov_b64 s[16:17], s[0:1]
	s_mov_b32 s19, s15
	s_mov_b32 s20, s14
	s_swappc_b64 s[30:31], s[4:5]
	v_mov_b32_e32 v0, v40
	s_mov_b32 s14, s20
	s_mov_b32 s15, s19
	s_mov_b64 s[0:1], s[16:17]
	s_mov_b32 s2, 0
.LBB1569_6:
	s_delay_alu instid0(SALU_CYCLE_1)
	s_and_not1_b32 vcc_lo, exec_lo, s2
	s_cbranch_vccnz .LBB1569_8
; %bb.7:
	s_mov_b64 s[2:3], src_shared_base
	v_mov_b32_e32 v31, v0
	v_dual_mov_b32 v40, v0 :: v_dual_mov_b32 v1, s37
	v_mov_b32_e32 v0, s36
	v_dual_mov_b32 v2, s38 :: v_dual_mov_b32 v3, s39
	v_dual_mov_b32 v4, s42 :: v_dual_mov_b32 v5, s43
	;; [unrolled: 1-line block ×6, first 2 shown]
	s_add_u32 s8, s0, 0x50
	s_addc_u32 s9, s1, 0
	s_mov_b32 s12, s14
	s_mov_b32 s13, s15
	s_getpc_b64 s[4:5]
	s_add_u32 s4, s4, _ZN7rocprim17ROCPRIM_400000_NS6detail26segmented_warp_sort_helperINS1_20WarpSortHelperConfigILj8ELj4ELj256EEEblLi256ELb1EvE4sortIPKbPbPKlPlEEvT_T0_T1_T2_jjjjRNS5_12storage_typeE@rel32@lo+4
	s_addc_u32 s5, s5, _ZN7rocprim17ROCPRIM_400000_NS6detail26segmented_warp_sort_helperINS1_20WarpSortHelperConfigILj8ELj4ELj256EEEblLi256ELb1EvE4sortIPKbPbPKlPlEEvT_T0_T1_T2_jjjjRNS5_12storage_typeE@rel32@hi+12
	s_mov_b64 s[16:17], s[0:1]
	s_mov_b32 s20, s15
	s_mov_b32 s19, s14
	s_swappc_b64 s[30:31], s[4:5]
	v_mov_b32_e32 v0, v40
	s_mov_b32 s14, s19
	s_mov_b32 s15, s20
	s_mov_b64 s[0:1], s[16:17]
.LBB1569_8:
	s_or_b32 exec_lo, exec_lo, s18
	s_mov_b32 s2, 0
.LBB1569_9:
	s_delay_alu instid0(SALU_CYCLE_1)
	s_and_not1_b32 vcc_lo, exec_lo, s2
	s_cbranch_vccnz .LBB1569_14
; %bb.10:
	v_cndmask_b32_e64 v1, 0, 1, s35
	s_and_b32 s2, s48, 1
	s_delay_alu instid0(VALU_DEP_1) | instid1(SALU_CYCLE_1)
	v_cmp_ne_u32_e32 vcc_lo, s2, v1
	s_mov_b32 s2, -1
	s_cbranch_vccnz .LBB1569_12
; %bb.11:
	s_mov_b64 s[2:3], src_shared_base
	v_mov_b32_e32 v31, v0
	v_dual_mov_b32 v40, v0 :: v_dual_mov_b32 v1, s37
	v_mov_b32_e32 v0, s36
	v_dual_mov_b32 v2, s40 :: v_dual_mov_b32 v3, s41
	v_dual_mov_b32 v4, s42 :: v_dual_mov_b32 v5, s43
	;; [unrolled: 1-line block ×6, first 2 shown]
	s_add_u32 s8, s0, 0x50
	s_addc_u32 s9, s1, 0
	s_mov_b32 s12, s14
	s_mov_b32 s13, s15
	s_getpc_b64 s[4:5]
	s_add_u32 s4, s4, _ZN7rocprim17ROCPRIM_400000_NS6detail40segmented_radix_sort_single_block_helperIblLj256ELj8ELb1EE4sortIPKbPbPKlPlEEbT_T0_T1_T2_jjjjRNS3_12storage_typeE@rel32@lo+4
	s_addc_u32 s5, s5, _ZN7rocprim17ROCPRIM_400000_NS6detail40segmented_radix_sort_single_block_helperIblLj256ELj8ELb1EE4sortIPKbPbPKlPlEEbT_T0_T1_T2_jjjjRNS3_12storage_typeE@rel32@hi+12
	s_mov_b64 s[26:27], s[0:1]
	s_mov_b32 s28, s15
	s_mov_b32 s29, s14
	s_swappc_b64 s[30:31], s[4:5]
	v_mov_b32_e32 v0, v40
	s_mov_b32 s14, s29
	s_mov_b32 s15, s28
	s_mov_b64 s[0:1], s[26:27]
	s_mov_b32 s2, 0
.LBB1569_12:
	s_delay_alu instid0(SALU_CYCLE_1)
	s_and_not1_b32 vcc_lo, exec_lo, s2
	s_cbranch_vccnz .LBB1569_14
; %bb.13:
	s_mov_b64 s[2:3], src_shared_base
	v_mov_b32_e32 v31, v0
	v_dual_mov_b32 v40, v0 :: v_dual_mov_b32 v1, s37
	v_mov_b32_e32 v0, s36
	v_dual_mov_b32 v2, s38 :: v_dual_mov_b32 v3, s39
	v_dual_mov_b32 v4, s42 :: v_dual_mov_b32 v5, s43
	;; [unrolled: 1-line block ×6, first 2 shown]
	s_add_u32 s8, s0, 0x50
	s_addc_u32 s9, s1, 0
	s_mov_b32 s12, s14
	s_mov_b32 s13, s15
	s_getpc_b64 s[4:5]
	s_add_u32 s4, s4, _ZN7rocprim17ROCPRIM_400000_NS6detail40segmented_radix_sort_single_block_helperIblLj256ELj8ELb1EE4sortIPKbPbPKlPlEEbT_T0_T1_T2_jjjjRNS3_12storage_typeE@rel32@lo+4
	s_addc_u32 s5, s5, _ZN7rocprim17ROCPRIM_400000_NS6detail40segmented_radix_sort_single_block_helperIblLj256ELj8ELb1EE4sortIPKbPbPKlPlEEbT_T0_T1_T2_jjjjRNS3_12storage_typeE@rel32@hi+12
	s_mov_b64 s[26:27], s[0:1]
	s_mov_b32 s29, s15
	s_mov_b32 s28, s14
	s_swappc_b64 s[30:31], s[4:5]
	v_mov_b32_e32 v0, v40
	s_mov_b32 s14, s28
	s_mov_b32 s15, s29
	s_mov_b64 s[0:1], s[26:27]
.LBB1569_14:
	s_mov_b32 s2, 0
.LBB1569_15:
	s_delay_alu instid0(SALU_CYCLE_1)
	s_and_not1_b32 vcc_lo, exec_lo, s2
	s_cbranch_vccnz .LBB1569_686
; %bb.16:
	s_cmp_ge_u32 s49, s50
	s_cbranch_scc1 .LBB1569_686
; %bb.17:
	v_dual_mov_b32 v66, 1 :: v_dual_and_b32 v1, 0x3ff, v0
	v_mov_b32_e32 v3, 0
	v_mbcnt_lo_u32_b32 v63, -1, 0
	v_bfe_u32 v45, v0, 20, 10
	s_delay_alu instid0(VALU_DEP_4) | instskip(SKIP_4) | instid1(VALU_DEP_4)
	v_lshlrev_b32_e32 v28, 2, v1
	v_lshrrev_b32_e32 v2, 3, v1
	v_or_b32_e32 v4, 31, v1
	v_lshlrev_b32_e32 v5, 5, v1
	v_add_co_u32 v33, s2, s40, v1
	v_and_b32_e32 v38, 28, v2
	v_lshlrev_b32_e32 v2, 3, v1
	v_cmp_eq_u32_e64 s3, v4, v1
	v_add_nc_u32_e32 v4, 1, v1
	v_sub_nc_u32_e32 v48, 0, v5
	v_mad_u32_u24 v40, v1, 12, v28
	v_and_b32_e32 v44, 0x700, v2
	v_mul_u32_u24_e32 v2, 9, v1
	v_cmp_ne_u32_e64 s7, 0x100, v4
	v_or_b32_e32 v29, 0x100, v1
	v_or_b32_e32 v30, 0x200, v1
	v_lshlrev_b32_e32 v5, 3, v44
	v_lshl_add_u32 v47, v2, 2, 0x420
	v_mul_u32_u24_e32 v2, 9, v4
	v_or_b32_e32 v31, 0x300, v1
	v_and_b32_e32 v32, 3, v1
	v_add_co_u32 v50, s8, s46, v5
	s_delay_alu instid0(VALU_DEP_4) | instskip(SKIP_2) | instid1(VALU_DEP_1)
	v_lshlrev_b32_e32 v49, 2, v2
	v_add_co_ci_u32_e64 v51, null, s47, 0, s8
	v_add_co_u32 v2, s8, s40, v44
	v_add_co_ci_u32_e64 v4, null, s41, 0, s8
	v_add_co_u32 v53, s8, s38, v1
	s_delay_alu instid0(VALU_DEP_1) | instskip(SKIP_1) | instid1(VALU_DEP_1)
	v_add_co_ci_u32_e64 v54, null, s39, 0, s8
	v_add_co_u32 v55, s8, s44, v5
	v_add_co_ci_u32_e64 v56, null, s45, 0, s8
	v_add_co_u32 v57, s8, s38, v44
	s_delay_alu instid0(VALU_DEP_1) | instskip(SKIP_1) | instid1(VALU_DEP_1)
	v_add_co_ci_u32_e64 v58, null, s39, 0, s8
	v_add_co_u32 v59, s8, s36, v1
	v_add_co_ci_u32_e64 v60, null, s37, 0, s8
	v_add_co_u32 v61, s8, s42, v5
	s_delay_alu instid0(VALU_DEP_1)
	v_add_co_ci_u32_e64 v62, null, s43, 0, s8
	v_add_co_u32 v64, s8, s36, v44
	v_add_co_u32 v67, vcc_lo, v2, v63
	v_add_co_ci_u32_e64 v34, null, s41, 0, s2
	v_or_b32_e32 v35, 0x400, v1
	v_or_b32_e32 v36, 0x500, v1
	;; [unrolled: 1-line block ×4, first 2 shown]
	v_cmp_gt_u32_e64 s2, 0x100, v1
	v_or_b32_e32 v41, 0x4400, v38
	v_cmp_gt_u32_e64 s4, 8, v1
	v_add_nc_u32_e32 v42, 0x4400, v28
	v_cmp_lt_u32_e64 s5, 31, v1
	v_add_nc_u32_e32 v43, 0x43fc, v38
	v_bfe_u32 v0, v0, 10, 10
	v_mad_u32_u24 v46, v1, 20, v40
	v_cmp_eq_u32_e64 s6, 0, v1
	v_mul_u32_u24_e32 v52, 7, v1
	v_add_co_ci_u32_e64 v65, null, s37, 0, s8
	v_add_co_ci_u32_e32 v68, vcc_lo, 0, v4, vcc_lo
	s_add_u32 s28, s0, 0x50
	s_mov_b32 s27, 0
	s_addc_u32 s29, s1, 0
	s_mov_b32 s25, s49
	s_branch .LBB1569_20
.LBB1569_18:                            ;   in Loop: Header=BB1569_20 Depth=1
	s_waitcnt lgkmcnt(0)
	s_barrier
.LBB1569_19:                            ;   in Loop: Header=BB1569_20 Depth=1
	s_add_i32 s25, s25, 8
	buffer_gl0_inv
	s_cmp_ge_u32 s25, s50
	s_cbranch_scc1 .LBB1569_686
.LBB1569_20:                            ; =>This Loop Header: Depth=1
                                        ;     Child Loop BB1569_24 Depth 2
                                        ;     Child Loop BB1569_74 Depth 2
	;; [unrolled: 1-line block ×8, first 2 shown]
	s_sub_i32 s0, s50, s25
	s_xor_b32 s35, s35, -1
	s_min_u32 s0, s0, 8
	ds_store_2addr_stride64_b32 v28, v3, v3 offset1:4
	s_lshl_b32 s0, -1, s0
	ds_store_2addr_stride64_b32 v28, v3, v3 offset0:8 offset1:12
	s_not_b32 s30, s0
	s_cmp_lg_u32 s25, s49
	s_mov_b32 s0, -1
	s_waitcnt lgkmcnt(0)
	s_waitcnt_vscnt null, 0x0
	s_cbranch_scc0 .LBB1569_354
; %bb.21:                               ;   in Loop: Header=BB1569_20 Depth=1
	s_and_b32 vcc_lo, exec_lo, s35
	s_cbranch_vccz .LBB1569_187
; %bb.22:                               ;   in Loop: Header=BB1569_20 Depth=1
	s_mov_b32 s0, s51
	s_mov_b32 s9, s33
	s_barrier
	buffer_gl0_inv
                                        ; implicit-def: $vgpr2
                                        ; implicit-def: $vgpr6
                                        ; implicit-def: $vgpr7
                                        ; implicit-def: $vgpr8
                                        ; implicit-def: $vgpr9
                                        ; implicit-def: $vgpr10
                                        ; implicit-def: $vgpr11
                                        ; implicit-def: $vgpr12
	s_branch .LBB1569_24
.LBB1569_23:                            ;   in Loop: Header=BB1569_24 Depth=2
	s_or_b32 exec_lo, exec_lo, s8
	s_addk_i32 s0, 0xf800
	s_cmp_ge_u32 s1, s34
	s_mov_b32 s9, s1
	s_cbranch_scc1 .LBB1569_62
.LBB1569_24:                            ;   Parent Loop BB1569_20 Depth=1
                                        ; =>  This Inner Loop Header: Depth=2
	s_add_i32 s1, s9, 0x800
	s_delay_alu instid0(SALU_CYCLE_1)
	s_cmp_gt_u32 s1, s34
	s_cbranch_scc1 .LBB1569_27
; %bb.25:                               ;   in Loop: Header=BB1569_24 Depth=2
	v_add_co_u32 v4, vcc_lo, v33, s9
	v_add_co_ci_u32_e32 v5, vcc_lo, 0, v34, vcc_lo
	s_mov_b32 s8, -1
	s_movk_i32 s12, 0x800
	s_clause 0x6
	global_load_u8 v20, v[4:5], off offset:1536
	global_load_u8 v19, v[4:5], off offset:1280
	;; [unrolled: 1-line block ×6, first 2 shown]
	global_load_u8 v14, v[4:5], off
	v_add_co_u32 v4, vcc_lo, 0x700, v4
	v_add_co_ci_u32_e32 v5, vcc_lo, 0, v5, vcc_lo
	s_cbranch_execz .LBB1569_28
; %bb.26:                               ;   in Loop: Header=BB1569_24 Depth=2
                                        ; implicit-def: $vgpr2
                                        ; implicit-def: $vgpr6
                                        ; implicit-def: $vgpr7
                                        ; implicit-def: $vgpr8
                                        ; implicit-def: $vgpr9
                                        ; implicit-def: $vgpr10
                                        ; implicit-def: $vgpr11
                                        ; implicit-def: $vgpr12
	v_mov_b32_e32 v13, s0
	s_and_saveexec_b32 s9, s8
	s_cbranch_execnz .LBB1569_39
	s_branch .LBB1569_40
.LBB1569_27:                            ;   in Loop: Header=BB1569_24 Depth=2
	s_mov_b32 s8, 0
                                        ; implicit-def: $sgpr12
                                        ; implicit-def: $vgpr14
                                        ; implicit-def: $vgpr15
                                        ; implicit-def: $vgpr16
                                        ; implicit-def: $vgpr17
                                        ; implicit-def: $vgpr18
                                        ; implicit-def: $vgpr19
                                        ; implicit-def: $vgpr20
                                        ; implicit-def: $vgpr4_vgpr5
.LBB1569_28:                            ;   in Loop: Header=BB1569_24 Depth=2
	s_add_u32 s10, s40, s9
	s_addc_u32 s11, s41, 0
	s_mov_b32 s12, exec_lo
	v_cmpx_gt_u32_e64 s0, v1
	s_cbranch_execz .LBB1569_56
; %bb.29:                               ;   in Loop: Header=BB1569_24 Depth=2
	v_add_co_u32 v4, s13, s10, v1
	s_delay_alu instid0(VALU_DEP_1) | instskip(SKIP_2) | instid1(SALU_CYCLE_1)
	v_add_co_ci_u32_e64 v5, null, s11, 0, s13
	global_load_u8 v2, v[4:5], off
	s_or_b32 exec_lo, exec_lo, s12
	s_mov_b32 s12, exec_lo
	v_cmpx_gt_u32_e64 s0, v29
	s_cbranch_execnz .LBB1569_57
.LBB1569_30:                            ;   in Loop: Header=BB1569_24 Depth=2
	s_or_b32 exec_lo, exec_lo, s12
	s_delay_alu instid0(SALU_CYCLE_1)
	s_mov_b32 s12, exec_lo
	v_cmpx_gt_u32_e64 s0, v30
	s_cbranch_execz .LBB1569_58
.LBB1569_31:                            ;   in Loop: Header=BB1569_24 Depth=2
	v_add_co_u32 v4, s13, s10, v1
	s_delay_alu instid0(VALU_DEP_1) | instskip(SKIP_2) | instid1(SALU_CYCLE_1)
	v_add_co_ci_u32_e64 v5, null, s11, 0, s13
	global_load_u8 v7, v[4:5], off offset:512
	s_or_b32 exec_lo, exec_lo, s12
	s_mov_b32 s12, exec_lo
	v_cmpx_gt_u32_e64 s0, v31
	s_cbranch_execnz .LBB1569_59
.LBB1569_32:                            ;   in Loop: Header=BB1569_24 Depth=2
	s_or_b32 exec_lo, exec_lo, s12
	s_delay_alu instid0(SALU_CYCLE_1)
	s_mov_b32 s12, exec_lo
	v_cmpx_gt_u32_e64 s0, v35
	s_cbranch_execz .LBB1569_60
.LBB1569_33:                            ;   in Loop: Header=BB1569_24 Depth=2
	v_add_co_u32 v4, s13, s10, v1
	s_delay_alu instid0(VALU_DEP_1) | instskip(SKIP_2) | instid1(SALU_CYCLE_1)
	v_add_co_ci_u32_e64 v5, null, s11, 0, s13
	global_load_u8 v9, v[4:5], off offset:1024
	s_or_b32 exec_lo, exec_lo, s12
	s_mov_b32 s12, exec_lo
	v_cmpx_gt_u32_e64 s0, v36
	s_cbranch_execnz .LBB1569_61
.LBB1569_34:                            ;   in Loop: Header=BB1569_24 Depth=2
	s_or_b32 exec_lo, exec_lo, s12
	s_delay_alu instid0(SALU_CYCLE_1)
	s_mov_b32 s12, exec_lo
	v_cmpx_gt_u32_e64 s0, v37
	s_cbranch_execz .LBB1569_36
.LBB1569_35:                            ;   in Loop: Header=BB1569_24 Depth=2
	v_add_co_u32 v4, s13, s10, v1
	s_delay_alu instid0(VALU_DEP_1)
	v_add_co_ci_u32_e64 v5, null, s11, 0, s13
	global_load_u8 v11, v[4:5], off offset:1536
.LBB1569_36:                            ;   in Loop: Header=BB1569_24 Depth=2
	s_or_b32 exec_lo, exec_lo, s12
	s_delay_alu instid0(SALU_CYCLE_1)
	s_mov_b32 s13, exec_lo
                                        ; implicit-def: $sgpr12
                                        ; implicit-def: $vgpr4_vgpr5
	v_cmpx_gt_u32_e64 s0, v39
; %bb.37:                               ;   in Loop: Header=BB1569_24 Depth=2
	v_add_co_u32 v4, s10, s10, v1
	s_delay_alu instid0(VALU_DEP_1) | instskip(SKIP_1) | instid1(VALU_DEP_2)
	v_add_co_ci_u32_e64 v5, null, s11, 0, s10
	s_sub_i32 s12, s34, s9
	v_add_co_u32 v4, vcc_lo, 0x700, v4
	s_delay_alu instid0(VALU_DEP_2)
	v_add_co_ci_u32_e32 v5, vcc_lo, 0, v5, vcc_lo
	s_or_b32 s8, s8, exec_lo
                                        ; implicit-def: $vgpr12
; %bb.38:                               ;   in Loop: Header=BB1569_24 Depth=2
	s_or_b32 exec_lo, exec_lo, s13
	s_waitcnt vmcnt(0)
	v_dual_mov_b32 v14, v2 :: v_dual_mov_b32 v17, v8
	v_dual_mov_b32 v15, v6 :: v_dual_mov_b32 v16, v7
	;; [unrolled: 1-line block ×4, first 2 shown]
	s_and_saveexec_b32 s9, s8
	s_cbranch_execz .LBB1569_40
.LBB1569_39:                            ;   in Loop: Header=BB1569_24 Depth=2
	global_load_u8 v12, v[4:5], off
	s_waitcnt vmcnt(1)
	v_dual_mov_b32 v13, s12 :: v_dual_mov_b32 v2, v14
	v_dual_mov_b32 v6, v15 :: v_dual_mov_b32 v7, v16
	;; [unrolled: 1-line block ×4, first 2 shown]
.LBB1569_40:                            ;   in Loop: Header=BB1569_24 Depth=2
	s_or_b32 exec_lo, exec_lo, s9
	s_delay_alu instid0(SALU_CYCLE_1)
	s_mov_b32 s8, exec_lo
	v_cmpx_lt_u32_e64 v1, v13
	s_cbranch_execz .LBB1569_48
; %bb.41:                               ;   in Loop: Header=BB1569_24 Depth=2
	v_xor_b32_e32 v4, -1, v2
	v_lshlrev_b32_e32 v5, 2, v32
	s_delay_alu instid0(VALU_DEP_2) | instskip(NEXT) | instid1(VALU_DEP_1)
	v_and_b32_e32 v4, 1, v4
	v_and_b32_e32 v4, 0xffff, v4
	s_delay_alu instid0(VALU_DEP_1) | instskip(NEXT) | instid1(VALU_DEP_1)
	v_lshrrev_b32_e32 v4, s25, v4
	v_and_b32_e32 v4, s30, v4
	s_delay_alu instid0(VALU_DEP_1) | instskip(SKIP_2) | instid1(SALU_CYCLE_1)
	v_lshl_or_b32 v4, v4, 4, v5
	ds_add_u32 v4, v66
	s_or_b32 exec_lo, exec_lo, s8
	s_mov_b32 s8, exec_lo
	v_cmpx_lt_u32_e64 v29, v13
	s_cbranch_execnz .LBB1569_49
.LBB1569_42:                            ;   in Loop: Header=BB1569_24 Depth=2
	s_or_b32 exec_lo, exec_lo, s8
	s_delay_alu instid0(SALU_CYCLE_1)
	s_mov_b32 s8, exec_lo
	v_cmpx_lt_u32_e64 v30, v13
	s_cbranch_execz .LBB1569_50
.LBB1569_43:                            ;   in Loop: Header=BB1569_24 Depth=2
	v_xor_b32_e32 v4, -1, v7
	v_lshlrev_b32_e32 v5, 2, v32
	s_delay_alu instid0(VALU_DEP_2) | instskip(NEXT) | instid1(VALU_DEP_1)
	v_and_b32_e32 v4, 1, v4
	v_and_b32_e32 v4, 0xffff, v4
	s_delay_alu instid0(VALU_DEP_1) | instskip(NEXT) | instid1(VALU_DEP_1)
	v_lshrrev_b32_e32 v4, s25, v4
	v_and_b32_e32 v4, s30, v4
	s_delay_alu instid0(VALU_DEP_1) | instskip(SKIP_2) | instid1(SALU_CYCLE_1)
	v_lshl_or_b32 v4, v4, 4, v5
	ds_add_u32 v4, v66
	s_or_b32 exec_lo, exec_lo, s8
	s_mov_b32 s8, exec_lo
	v_cmpx_lt_u32_e64 v31, v13
	s_cbranch_execnz .LBB1569_51
.LBB1569_44:                            ;   in Loop: Header=BB1569_24 Depth=2
	s_or_b32 exec_lo, exec_lo, s8
	s_delay_alu instid0(SALU_CYCLE_1)
	s_mov_b32 s8, exec_lo
	v_cmpx_lt_u32_e64 v35, v13
	s_cbranch_execz .LBB1569_52
.LBB1569_45:                            ;   in Loop: Header=BB1569_24 Depth=2
	v_xor_b32_e32 v4, -1, v9
	v_lshlrev_b32_e32 v5, 2, v32
	s_delay_alu instid0(VALU_DEP_2) | instskip(NEXT) | instid1(VALU_DEP_1)
	v_and_b32_e32 v4, 1, v4
	v_and_b32_e32 v4, 0xffff, v4
	s_delay_alu instid0(VALU_DEP_1) | instskip(NEXT) | instid1(VALU_DEP_1)
	v_lshrrev_b32_e32 v4, s25, v4
	v_and_b32_e32 v4, s30, v4
	s_delay_alu instid0(VALU_DEP_1) | instskip(SKIP_2) | instid1(SALU_CYCLE_1)
	v_lshl_or_b32 v4, v4, 4, v5
	ds_add_u32 v4, v66
	s_or_b32 exec_lo, exec_lo, s8
	s_mov_b32 s8, exec_lo
	v_cmpx_lt_u32_e64 v36, v13
	s_cbranch_execnz .LBB1569_53
.LBB1569_46:                            ;   in Loop: Header=BB1569_24 Depth=2
	s_or_b32 exec_lo, exec_lo, s8
	s_delay_alu instid0(SALU_CYCLE_1)
	s_mov_b32 s8, exec_lo
	v_cmpx_lt_u32_e64 v37, v13
	s_cbranch_execz .LBB1569_54
.LBB1569_47:                            ;   in Loop: Header=BB1569_24 Depth=2
	v_xor_b32_e32 v4, -1, v11
	v_lshlrev_b32_e32 v5, 2, v32
	s_delay_alu instid0(VALU_DEP_2) | instskip(NEXT) | instid1(VALU_DEP_1)
	v_and_b32_e32 v4, 1, v4
	v_and_b32_e32 v4, 0xffff, v4
	s_delay_alu instid0(VALU_DEP_1) | instskip(NEXT) | instid1(VALU_DEP_1)
	v_lshrrev_b32_e32 v4, s25, v4
	v_and_b32_e32 v4, s30, v4
	s_delay_alu instid0(VALU_DEP_1) | instskip(SKIP_2) | instid1(SALU_CYCLE_1)
	v_lshl_or_b32 v4, v4, 4, v5
	ds_add_u32 v4, v66
	s_or_b32 exec_lo, exec_lo, s8
	s_mov_b32 s8, exec_lo
	v_cmpx_lt_u32_e64 v39, v13
	s_cbranch_execz .LBB1569_23
	s_branch .LBB1569_55
.LBB1569_48:                            ;   in Loop: Header=BB1569_24 Depth=2
	s_or_b32 exec_lo, exec_lo, s8
	s_delay_alu instid0(SALU_CYCLE_1)
	s_mov_b32 s8, exec_lo
	v_cmpx_lt_u32_e64 v29, v13
	s_cbranch_execz .LBB1569_42
.LBB1569_49:                            ;   in Loop: Header=BB1569_24 Depth=2
	v_xor_b32_e32 v4, -1, v6
	v_lshlrev_b32_e32 v5, 2, v32
	s_delay_alu instid0(VALU_DEP_2) | instskip(NEXT) | instid1(VALU_DEP_1)
	v_and_b32_e32 v4, 1, v4
	v_and_b32_e32 v4, 0xffff, v4
	s_delay_alu instid0(VALU_DEP_1) | instskip(NEXT) | instid1(VALU_DEP_1)
	v_lshrrev_b32_e32 v4, s25, v4
	v_and_b32_e32 v4, s30, v4
	s_delay_alu instid0(VALU_DEP_1) | instskip(SKIP_2) | instid1(SALU_CYCLE_1)
	v_lshl_or_b32 v4, v4, 4, v5
	ds_add_u32 v4, v66
	s_or_b32 exec_lo, exec_lo, s8
	s_mov_b32 s8, exec_lo
	v_cmpx_lt_u32_e64 v30, v13
	s_cbranch_execnz .LBB1569_43
.LBB1569_50:                            ;   in Loop: Header=BB1569_24 Depth=2
	s_or_b32 exec_lo, exec_lo, s8
	s_delay_alu instid0(SALU_CYCLE_1)
	s_mov_b32 s8, exec_lo
	v_cmpx_lt_u32_e64 v31, v13
	s_cbranch_execz .LBB1569_44
.LBB1569_51:                            ;   in Loop: Header=BB1569_24 Depth=2
	v_xor_b32_e32 v4, -1, v8
	v_lshlrev_b32_e32 v5, 2, v32
	s_delay_alu instid0(VALU_DEP_2) | instskip(NEXT) | instid1(VALU_DEP_1)
	v_and_b32_e32 v4, 1, v4
	v_and_b32_e32 v4, 0xffff, v4
	s_delay_alu instid0(VALU_DEP_1) | instskip(NEXT) | instid1(VALU_DEP_1)
	v_lshrrev_b32_e32 v4, s25, v4
	v_and_b32_e32 v4, s30, v4
	s_delay_alu instid0(VALU_DEP_1) | instskip(SKIP_2) | instid1(SALU_CYCLE_1)
	v_lshl_or_b32 v4, v4, 4, v5
	ds_add_u32 v4, v66
	s_or_b32 exec_lo, exec_lo, s8
	s_mov_b32 s8, exec_lo
	v_cmpx_lt_u32_e64 v35, v13
	s_cbranch_execnz .LBB1569_45
.LBB1569_52:                            ;   in Loop: Header=BB1569_24 Depth=2
	s_or_b32 exec_lo, exec_lo, s8
	s_delay_alu instid0(SALU_CYCLE_1)
	s_mov_b32 s8, exec_lo
	v_cmpx_lt_u32_e64 v36, v13
	s_cbranch_execz .LBB1569_46
.LBB1569_53:                            ;   in Loop: Header=BB1569_24 Depth=2
	v_xor_b32_e32 v4, -1, v10
	v_lshlrev_b32_e32 v5, 2, v32
	s_delay_alu instid0(VALU_DEP_2) | instskip(NEXT) | instid1(VALU_DEP_1)
	v_and_b32_e32 v4, 1, v4
	v_and_b32_e32 v4, 0xffff, v4
	s_delay_alu instid0(VALU_DEP_1) | instskip(NEXT) | instid1(VALU_DEP_1)
	v_lshrrev_b32_e32 v4, s25, v4
	v_and_b32_e32 v4, s30, v4
	s_delay_alu instid0(VALU_DEP_1) | instskip(SKIP_2) | instid1(SALU_CYCLE_1)
	v_lshl_or_b32 v4, v4, 4, v5
	ds_add_u32 v4, v66
	s_or_b32 exec_lo, exec_lo, s8
	s_mov_b32 s8, exec_lo
	v_cmpx_lt_u32_e64 v37, v13
	s_cbranch_execnz .LBB1569_47
.LBB1569_54:                            ;   in Loop: Header=BB1569_24 Depth=2
	s_or_b32 exec_lo, exec_lo, s8
	s_delay_alu instid0(SALU_CYCLE_1)
	s_mov_b32 s8, exec_lo
	v_cmpx_lt_u32_e64 v39, v13
	s_cbranch_execz .LBB1569_23
.LBB1569_55:                            ;   in Loop: Header=BB1569_24 Depth=2
	s_waitcnt vmcnt(0)
	v_xor_b32_e32 v4, -1, v12
	v_lshlrev_b32_e32 v5, 2, v32
	s_delay_alu instid0(VALU_DEP_2) | instskip(NEXT) | instid1(VALU_DEP_1)
	v_and_b32_e32 v4, 1, v4
	v_and_b32_e32 v4, 0xffff, v4
	s_delay_alu instid0(VALU_DEP_1) | instskip(NEXT) | instid1(VALU_DEP_1)
	v_lshrrev_b32_e32 v4, s25, v4
	v_and_b32_e32 v4, s30, v4
	s_delay_alu instid0(VALU_DEP_1)
	v_lshl_or_b32 v4, v4, 4, v5
	ds_add_u32 v4, v66
	s_branch .LBB1569_23
.LBB1569_56:                            ;   in Loop: Header=BB1569_24 Depth=2
	s_or_b32 exec_lo, exec_lo, s12
	s_delay_alu instid0(SALU_CYCLE_1)
	s_mov_b32 s12, exec_lo
	v_cmpx_gt_u32_e64 s0, v29
	s_cbranch_execz .LBB1569_30
.LBB1569_57:                            ;   in Loop: Header=BB1569_24 Depth=2
	v_add_co_u32 v4, s13, s10, v1
	s_delay_alu instid0(VALU_DEP_1) | instskip(SKIP_2) | instid1(SALU_CYCLE_1)
	v_add_co_ci_u32_e64 v5, null, s11, 0, s13
	global_load_u8 v6, v[4:5], off offset:256
	s_or_b32 exec_lo, exec_lo, s12
	s_mov_b32 s12, exec_lo
	v_cmpx_gt_u32_e64 s0, v30
	s_cbranch_execnz .LBB1569_31
.LBB1569_58:                            ;   in Loop: Header=BB1569_24 Depth=2
	s_or_b32 exec_lo, exec_lo, s12
	s_delay_alu instid0(SALU_CYCLE_1)
	s_mov_b32 s12, exec_lo
	v_cmpx_gt_u32_e64 s0, v31
	s_cbranch_execz .LBB1569_32
.LBB1569_59:                            ;   in Loop: Header=BB1569_24 Depth=2
	v_add_co_u32 v4, s13, s10, v1
	s_delay_alu instid0(VALU_DEP_1) | instskip(SKIP_2) | instid1(SALU_CYCLE_1)
	v_add_co_ci_u32_e64 v5, null, s11, 0, s13
	global_load_u8 v8, v[4:5], off offset:768
	s_or_b32 exec_lo, exec_lo, s12
	s_mov_b32 s12, exec_lo
	v_cmpx_gt_u32_e64 s0, v35
	s_cbranch_execnz .LBB1569_33
.LBB1569_60:                            ;   in Loop: Header=BB1569_24 Depth=2
	s_or_b32 exec_lo, exec_lo, s12
	s_delay_alu instid0(SALU_CYCLE_1)
	s_mov_b32 s12, exec_lo
	v_cmpx_gt_u32_e64 s0, v36
	s_cbranch_execz .LBB1569_34
.LBB1569_61:                            ;   in Loop: Header=BB1569_24 Depth=2
	v_add_co_u32 v4, s13, s10, v1
	s_delay_alu instid0(VALU_DEP_1) | instskip(SKIP_2) | instid1(SALU_CYCLE_1)
	v_add_co_ci_u32_e64 v5, null, s11, 0, s13
	global_load_u8 v10, v[4:5], off offset:1280
	s_or_b32 exec_lo, exec_lo, s12
	s_mov_b32 s12, exec_lo
	v_cmpx_gt_u32_e64 s0, v37
	s_cbranch_execz .LBB1569_36
	s_branch .LBB1569_35
.LBB1569_62:                            ;   in Loop: Header=BB1569_20 Depth=1
	v_mov_b32_e32 v2, 0
	s_waitcnt vmcnt(0) lgkmcnt(0)
	s_barrier
	buffer_gl0_inv
	s_and_saveexec_b32 s0, s2
	s_cbranch_execz .LBB1569_64
; %bb.63:                               ;   in Loop: Header=BB1569_20 Depth=1
	ds_load_2addr_b64 v[4:7], v40 offset1:1
	s_waitcnt lgkmcnt(0)
	v_add_nc_u32_e32 v2, v5, v4
	s_delay_alu instid0(VALU_DEP_1)
	v_add3_u32 v2, v2, v6, v7
.LBB1569_64:                            ;   in Loop: Header=BB1569_20 Depth=1
	s_or_b32 exec_lo, exec_lo, s0
	v_and_b32_e32 v4, 15, v63
	s_delay_alu instid0(VALU_DEP_2) | instskip(SKIP_1) | instid1(VALU_DEP_3)
	v_mov_b32_dpp v5, v2 row_shr:1 row_mask:0xf bank_mask:0xf
	v_and_b32_e32 v6, 16, v63
	v_cmp_eq_u32_e64 s0, 0, v4
	v_cmp_lt_u32_e64 s1, 1, v4
	v_cmp_lt_u32_e64 s8, 3, v4
	;; [unrolled: 1-line block ×3, first 2 shown]
	v_cmp_eq_u32_e64 s10, 0, v6
	v_cndmask_b32_e64 v5, v5, 0, s0
	s_delay_alu instid0(VALU_DEP_1) | instskip(NEXT) | instid1(VALU_DEP_1)
	v_add_nc_u32_e32 v2, v5, v2
	v_mov_b32_dpp v5, v2 row_shr:2 row_mask:0xf bank_mask:0xf
	s_delay_alu instid0(VALU_DEP_1) | instskip(NEXT) | instid1(VALU_DEP_1)
	v_cndmask_b32_e64 v5, 0, v5, s1
	v_add_nc_u32_e32 v2, v2, v5
	s_delay_alu instid0(VALU_DEP_1) | instskip(NEXT) | instid1(VALU_DEP_1)
	v_mov_b32_dpp v5, v2 row_shr:4 row_mask:0xf bank_mask:0xf
	v_cndmask_b32_e64 v5, 0, v5, s8
	s_delay_alu instid0(VALU_DEP_1) | instskip(NEXT) | instid1(VALU_DEP_1)
	v_add_nc_u32_e32 v2, v2, v5
	v_mov_b32_dpp v5, v2 row_shr:8 row_mask:0xf bank_mask:0xf
	s_delay_alu instid0(VALU_DEP_1) | instskip(SKIP_1) | instid1(VALU_DEP_2)
	v_cndmask_b32_e64 v4, 0, v5, s9
	v_bfe_i32 v5, v63, 4, 1
	v_add_nc_u32_e32 v2, v2, v4
	ds_swizzle_b32 v4, v2 offset:swizzle(BROADCAST,32,15)
	s_waitcnt lgkmcnt(0)
	v_and_b32_e32 v4, v5, v4
	s_delay_alu instid0(VALU_DEP_1)
	v_add_nc_u32_e32 v4, v2, v4
	s_and_saveexec_b32 s11, s3
	s_cbranch_execz .LBB1569_66
; %bb.65:                               ;   in Loop: Header=BB1569_20 Depth=1
	ds_store_b32 v41, v4
.LBB1569_66:                            ;   in Loop: Header=BB1569_20 Depth=1
	s_or_b32 exec_lo, exec_lo, s11
	v_and_b32_e32 v2, 7, v63
	s_waitcnt lgkmcnt(0)
	s_barrier
	buffer_gl0_inv
	s_and_saveexec_b32 s11, s4
	s_cbranch_execz .LBB1569_68
; %bb.67:                               ;   in Loop: Header=BB1569_20 Depth=1
	ds_load_b32 v5, v42
	v_cmp_ne_u32_e32 vcc_lo, 0, v2
	s_waitcnt lgkmcnt(0)
	v_mov_b32_dpp v6, v5 row_shr:1 row_mask:0xf bank_mask:0xf
	s_delay_alu instid0(VALU_DEP_1) | instskip(SKIP_1) | instid1(VALU_DEP_2)
	v_cndmask_b32_e32 v6, 0, v6, vcc_lo
	v_cmp_lt_u32_e32 vcc_lo, 1, v2
	v_add_nc_u32_e32 v5, v6, v5
	s_delay_alu instid0(VALU_DEP_1) | instskip(NEXT) | instid1(VALU_DEP_1)
	v_mov_b32_dpp v6, v5 row_shr:2 row_mask:0xf bank_mask:0xf
	v_cndmask_b32_e32 v6, 0, v6, vcc_lo
	v_cmp_lt_u32_e32 vcc_lo, 3, v2
	s_delay_alu instid0(VALU_DEP_2) | instskip(NEXT) | instid1(VALU_DEP_1)
	v_add_nc_u32_e32 v5, v5, v6
	v_mov_b32_dpp v6, v5 row_shr:4 row_mask:0xf bank_mask:0xf
	s_delay_alu instid0(VALU_DEP_1) | instskip(NEXT) | instid1(VALU_DEP_1)
	v_cndmask_b32_e32 v6, 0, v6, vcc_lo
	v_add_nc_u32_e32 v5, v5, v6
	ds_store_b32 v42, v5
.LBB1569_68:                            ;   in Loop: Header=BB1569_20 Depth=1
	s_or_b32 exec_lo, exec_lo, s11
	v_mov_b32_e32 v5, 0
	s_waitcnt lgkmcnt(0)
	s_barrier
	buffer_gl0_inv
	s_and_saveexec_b32 s11, s5
	s_cbranch_execz .LBB1569_70
; %bb.69:                               ;   in Loop: Header=BB1569_20 Depth=1
	ds_load_b32 v5, v43
.LBB1569_70:                            ;   in Loop: Header=BB1569_20 Depth=1
	s_or_b32 exec_lo, exec_lo, s11
	v_add_nc_u32_e32 v6, -1, v63
	s_waitcnt lgkmcnt(0)
	v_add_nc_u32_e32 v4, v5, v4
	v_cmp_eq_u32_e64 s11, 0, v63
	s_barrier
	v_cmp_gt_i32_e32 vcc_lo, 0, v6
	buffer_gl0_inv
	v_cndmask_b32_e32 v6, v6, v63, vcc_lo
	s_delay_alu instid0(VALU_DEP_1)
	v_lshlrev_b32_e32 v69, 2, v6
	ds_bpermute_b32 v4, v69, v4
	s_and_saveexec_b32 s12, s2
	s_cbranch_execz .LBB1569_72
; %bb.71:                               ;   in Loop: Header=BB1569_20 Depth=1
	s_waitcnt lgkmcnt(0)
	v_cndmask_b32_e64 v4, v4, v5, s11
	s_delay_alu instid0(VALU_DEP_1)
	v_add_nc_u32_e32 v4, s33, v4
	ds_store_b32 v28, v4
.LBB1569_72:                            ;   in Loop: Header=BB1569_20 Depth=1
	s_or_b32 exec_lo, exec_lo, s12
	s_clause 0x1
	s_load_b32 s12, s[28:29], 0x4
	s_load_b32 s17, s[28:29], 0xc
	v_lshlrev_b32_e32 v5, 3, v63
	v_cmp_lt_u32_e64 s16, 3, v2
	v_or_b32_e32 v70, v63, v44
	s_mov_b32 s31, s51
	s_mov_b32 s26, s33
	v_add_co_u32 v71, vcc_lo, v50, v5
	v_add_co_ci_u32_e32 v72, vcc_lo, 0, v51, vcc_lo
	v_add_co_u32 v81, vcc_lo, 0xe0, v67
	v_or_b32_e32 v73, 32, v70
	v_or_b32_e32 v74, 64, v70
	;; [unrolled: 1-line block ×7, first 2 shown]
	s_waitcnt lgkmcnt(0)
	s_cmp_lt_u32 s15, s12
	v_add_co_ci_u32_e32 v82, vcc_lo, 0, v68, vcc_lo
	s_cselect_b32 s12, 14, 20
                                        ; implicit-def: $vgpr6_vgpr7
                                        ; implicit-def: $vgpr8_vgpr9
                                        ; implicit-def: $vgpr10_vgpr11
                                        ; implicit-def: $vgpr12_vgpr13
                                        ; implicit-def: $vgpr14_vgpr15
                                        ; implicit-def: $vgpr16_vgpr17
                                        ; implicit-def: $vgpr18_vgpr19
                                        ; implicit-def: $vgpr83
                                        ; implicit-def: $vgpr84
                                        ; implicit-def: $vgpr85
                                        ; implicit-def: $vgpr86
                                        ; implicit-def: $vgpr87
                                        ; implicit-def: $vgpr88
                                        ; implicit-def: $vgpr89
                                        ; implicit-def: $vgpr90
	s_delay_alu instid0(SALU_CYCLE_1)
	s_add_u32 s12, s28, s12
	s_addc_u32 s13, s29, 0
	s_and_b32 s17, s17, 0xffff
	global_load_u16 v4, v3, s[12:13]
	v_cmp_eq_u32_e64 s12, 0, v2
	v_cmp_lt_u32_e64 s13, 1, v2
	s_waitcnt vmcnt(0)
	v_mad_u32_u24 v2, v45, v4, v0
	s_delay_alu instid0(VALU_DEP_1) | instskip(NEXT) | instid1(VALU_DEP_1)
	v_mad_u64_u32 v[4:5], null, v2, s17, v[1:2]
	v_lshrrev_b32_e32 v80, 5, v4
                                        ; implicit-def: $vgpr4_vgpr5
	s_branch .LBB1569_74
.LBB1569_73:                            ;   in Loop: Header=BB1569_74 Depth=2
	s_or_b32 exec_lo, exec_lo, s17
	s_addk_i32 s31, 0xf800
	s_cmp_lt_u32 s42, s34
	s_mov_b32 s26, s42
	s_cbranch_scc0 .LBB1569_186
.LBB1569_74:                            ;   Parent Loop BB1569_20 Depth=1
                                        ; =>  This Inner Loop Header: Depth=2
	s_add_i32 s42, s26, 0x800
	s_delay_alu instid0(SALU_CYCLE_1)
	s_cmp_gt_u32 s42, s34
	s_cbranch_scc1 .LBB1569_76
; %bb.75:                               ;   in Loop: Header=BB1569_74 Depth=2
	v_add_co_u32 v20, vcc_lo, v67, s26
	v_add_co_ci_u32_e32 v21, vcc_lo, 0, v68, vcc_lo
	s_mov_b32 s19, 0
	s_mov_b32 s18, s26
	s_mov_b32 s20, -1
	s_clause 0x6
	global_load_u8 v2, v[20:21], off offset:32
	global_load_u8 v22, v[20:21], off offset:96
	;; [unrolled: 1-line block ×3, first 2 shown]
	global_load_u8 v24, v[20:21], off
	global_load_u8 v25, v[20:21], off offset:64
	global_load_u8 v26, v[20:21], off offset:128
	;; [unrolled: 1-line block ×3, first 2 shown]
	s_movk_i32 s17, 0x800
	s_waitcnt vmcnt(6)
	v_lshlrev_b16 v2, 8, v2
	s_waitcnt vmcnt(5)
	v_lshlrev_b16 v20, 8, v22
	;; [unrolled: 2-line block ×3, first 2 shown]
	s_waitcnt vmcnt(3)
	v_or_b32_e32 v2, v24, v2
	s_waitcnt vmcnt(2)
	v_or_b32_e32 v20, v25, v20
	;; [unrolled: 2-line block ×3, first 2 shown]
	v_and_b32_e32 v2, 0xffff, v2
	s_delay_alu instid0(VALU_DEP_3) | instskip(NEXT) | instid1(VALU_DEP_3)
	v_lshlrev_b32_e32 v20, 16, v20
	v_and_b32_e32 v22, 0xffff, v22
	s_delay_alu instid0(VALU_DEP_2) | instskip(SKIP_1) | instid1(VALU_DEP_2)
	v_or_b32_e32 v20, v2, v20
	s_waitcnt vmcnt(0)
	v_lshl_or_b32 v21, v21, 16, v22
	s_cbranch_execz .LBB1569_77
	s_branch .LBB1569_86
.LBB1569_76:                            ;   in Loop: Header=BB1569_74 Depth=2
	s_mov_b32 s19, -1
	s_mov_b32 s20, 0
                                        ; implicit-def: $sgpr17
                                        ; implicit-def: $vgpr20_vgpr21
.LBB1569_77:                            ;   in Loop: Header=BB1569_74 Depth=2
	v_add_co_u32 v22, vcc_lo, v67, s26
	s_mov_b32 s18, s27
	s_mov_b32 s19, s27
	v_add_co_ci_u32_e32 v23, vcc_lo, 0, v68, vcc_lo
	v_dual_mov_b32 v21, s19 :: v_dual_mov_b32 v20, s18
	s_mov_b32 s17, exec_lo
	v_cmpx_gt_u32_e64 s31, v70
	s_cbranch_execz .LBB1569_180
; %bb.78:                               ;   in Loop: Header=BB1569_74 Depth=2
	global_load_u8 v2, v[22:23], off
	s_waitcnt vmcnt(0)
	v_dual_mov_b32 v21, s27 :: v_dual_and_b32 v20, 0xffff, v2
	s_or_b32 exec_lo, exec_lo, s17
	s_delay_alu instid0(SALU_CYCLE_1)
	s_mov_b32 s17, exec_lo
	v_cmpx_gt_u32_e64 s31, v73
	s_cbranch_execnz .LBB1569_181
.LBB1569_79:                            ;   in Loop: Header=BB1569_74 Depth=2
	s_or_b32 exec_lo, exec_lo, s17
	s_delay_alu instid0(SALU_CYCLE_1)
	s_mov_b32 s17, exec_lo
	v_cmpx_gt_u32_e64 s31, v74
	s_cbranch_execz .LBB1569_182
.LBB1569_80:                            ;   in Loop: Header=BB1569_74 Depth=2
	global_load_u8 v2, v[22:23], off offset:64
	v_lshrrev_b32_e32 v24, 16, v20
	s_delay_alu instid0(VALU_DEP_1) | instskip(SKIP_1) | instid1(VALU_DEP_1)
	v_and_b32_e32 v24, 0xffffff00, v24
	s_waitcnt vmcnt(0)
	v_or_b32_e32 v2, v2, v24
	s_delay_alu instid0(VALU_DEP_1) | instskip(NEXT) | instid1(VALU_DEP_1)
	v_lshlrev_b32_e32 v2, 16, v2
	v_and_or_b32 v20, 0xffff, v20, v2
	s_or_b32 exec_lo, exec_lo, s17
	s_delay_alu instid0(SALU_CYCLE_1)
	s_mov_b32 s17, exec_lo
	v_cmpx_gt_u32_e64 s31, v75
	s_cbranch_execnz .LBB1569_183
.LBB1569_81:                            ;   in Loop: Header=BB1569_74 Depth=2
	s_or_b32 exec_lo, exec_lo, s17
	s_delay_alu instid0(SALU_CYCLE_1)
	s_mov_b32 s17, exec_lo
	v_cmpx_gt_u32_e64 s31, v76
	s_cbranch_execz .LBB1569_184
.LBB1569_82:                            ;   in Loop: Header=BB1569_74 Depth=2
	global_load_u8 v2, v[22:23], off offset:128
	s_waitcnt vmcnt(0)
	v_perm_b32 v21, v2, v21, 0x3020104
	s_or_b32 exec_lo, exec_lo, s17
	s_delay_alu instid0(SALU_CYCLE_1)
	s_mov_b32 s17, exec_lo
	v_cmpx_gt_u32_e64 s31, v77
	s_cbranch_execnz .LBB1569_185
.LBB1569_83:                            ;   in Loop: Header=BB1569_74 Depth=2
	s_or_b32 exec_lo, exec_lo, s17
	s_delay_alu instid0(SALU_CYCLE_1)
	s_mov_b32 s17, exec_lo
	v_cmpx_gt_u32_e64 s31, v78
	s_cbranch_execz .LBB1569_85
.LBB1569_84:                            ;   in Loop: Header=BB1569_74 Depth=2
	global_load_u8 v2, v[22:23], off offset:192
	s_waitcnt vmcnt(0)
	v_perm_b32 v21, v21, v2, 0x7000504
.LBB1569_85:                            ;   in Loop: Header=BB1569_74 Depth=2
	s_or_b32 exec_lo, exec_lo, s17
	v_cmp_gt_u32_e64 s20, s31, v79
	s_sub_i32 s17, s34, s26
	s_mov_b64 s[18:19], s[26:27]
.LBB1569_86:                            ;   in Loop: Header=BB1569_74 Depth=2
	v_mov_b32_e32 v2, s31
	s_delay_alu instid0(VALU_DEP_2)
	s_and_saveexec_b32 s21, s20
	s_cbranch_execz .LBB1569_88
; %bb.87:                               ;   in Loop: Header=BB1569_74 Depth=2
	v_add_co_u32 v22, vcc_lo, v81, s18
	v_add_co_ci_u32_e32 v23, vcc_lo, s19, v82, vcc_lo
	global_load_u8 v2, v[22:23], off
	s_waitcnt vmcnt(0)
	v_perm_b32 v21, v21, v2, 0x60504
	v_mov_b32_e32 v2, s17
.LBB1569_88:                            ;   in Loop: Header=BB1569_74 Depth=2
	s_or_b32 exec_lo, exec_lo, s21
	v_and_b32_e32 v22, 1, v20
	v_lshrrev_b16 v25, 8, v20
	v_and_b32_e32 v93, 0x10000, v20
	v_and_b32_e32 v92, 0x10000, v21
	v_lshrrev_b16 v26, 8, v21
	v_cmp_eq_u32_e32 vcc_lo, 1, v22
	v_and_b32_e32 v27, 0x1000000, v21
	v_and_b32_e32 v21, 1, v21
	v_cmp_ne_u32_e64 s21, 0, v93
	ds_store_b32 v46, v3 offset:1056
	s_xor_b32 s17, vcc_lo, -1
	ds_store_2addr_b32 v47, v3, v3 offset0:1 offset1:2
	ds_store_2addr_b32 v47, v3, v3 offset0:3 offset1:4
	;; [unrolled: 1-line block ×4, first 2 shown]
	v_cndmask_b32_e64 v91, 0, 1, s17
	v_cmp_eq_u32_e64 s19, 1, v21
	s_waitcnt lgkmcnt(0)
	s_barrier
	buffer_gl0_inv
	v_lshrrev_b32_e32 v22, s25, v91
	; wave barrier
	s_delay_alu instid0(VALU_DEP_1) | instskip(NEXT) | instid1(VALU_DEP_1)
	v_and_b32_e32 v22, s30, v22
	v_add_co_u32 v23, s17, v22, -1
	s_delay_alu instid0(VALU_DEP_1) | instskip(SKIP_2) | instid1(VALU_DEP_3)
	v_cndmask_b32_e64 v24, 0, 1, s17
	v_cmp_ne_u32_e64 s17, 0, v92
	v_mad_u32_u24 v21, v22, 9, v80
	v_cmp_ne_u32_e32 vcc_lo, 0, v24
	v_and_b32_e32 v24, 0x1000000, v20
	s_delay_alu instid0(VALU_DEP_3)
	v_lshl_add_u32 v94, v21, 2, 0x420
	v_xor_b32_e32 v20, vcc_lo, v23
	v_and_b32_e32 v23, 1, v25
	v_and_b32_e32 v25, 1, v26
	v_cmp_ne_u32_e32 vcc_lo, 0, v27
	v_cmp_ne_u32_e64 s20, 0, v24
	v_and_b32_e32 v20, exec_lo, v20
	v_cmp_eq_u32_e64 s22, 1, v23
	v_cmp_eq_u32_e64 s18, 1, v25
	s_delay_alu instid0(VALU_DEP_3) | instskip(SKIP_1) | instid1(VALU_DEP_2)
	v_mbcnt_lo_u32_b32 v92, v20, 0
	v_cmp_ne_u32_e64 s24, 0, v20
	v_cmp_eq_u32_e64 s23, 0, v92
	s_delay_alu instid0(VALU_DEP_1) | instskip(NEXT) | instid1(SALU_CYCLE_1)
	s_and_b32 s24, s24, s23
	s_and_saveexec_b32 s23, s24
	s_cbranch_execz .LBB1569_90
; %bb.89:                               ;   in Loop: Header=BB1569_74 Depth=2
	v_bcnt_u32_b32 v20, v20, 0
	ds_store_b32 v94, v20
.LBB1569_90:                            ;   in Loop: Header=BB1569_74 Depth=2
	s_or_b32 exec_lo, exec_lo, s23
	s_xor_b32 s22, s22, -1
	s_delay_alu instid0(SALU_CYCLE_1) | instskip(NEXT) | instid1(VALU_DEP_1)
	v_cndmask_b32_e64 v93, 0, 1, s22
	; wave barrier
	v_lshrrev_b32_e32 v20, s25, v93
	s_delay_alu instid0(VALU_DEP_1) | instskip(NEXT) | instid1(VALU_DEP_1)
	v_and_b32_e32 v20, s30, v20
	v_add_co_u32 v21, s22, v20, -1
	s_delay_alu instid0(VALU_DEP_1) | instskip(SKIP_1) | instid1(VALU_DEP_2)
	v_cndmask_b32_e64 v22, 0, 1, s22
	v_mul_u32_u24_e32 v20, 9, v20
	v_cmp_ne_u32_e64 s22, 0, v22
	s_delay_alu instid0(VALU_DEP_2) | instskip(NEXT) | instid1(VALU_DEP_2)
	v_add_lshl_u32 v22, v20, v80, 2
	v_xor_b32_e32 v20, s22, v21
	ds_load_b32 v95, v22 offset:1056
	v_add_nc_u32_e32 v98, 0x420, v22
	; wave barrier
	v_and_b32_e32 v20, exec_lo, v20
	s_delay_alu instid0(VALU_DEP_1) | instskip(SKIP_1) | instid1(VALU_DEP_2)
	v_mbcnt_lo_u32_b32 v96, v20, 0
	v_cmp_ne_u32_e64 s23, 0, v20
	v_cmp_eq_u32_e64 s22, 0, v96
	s_delay_alu instid0(VALU_DEP_1) | instskip(NEXT) | instid1(SALU_CYCLE_1)
	s_and_b32 s23, s23, s22
	s_and_saveexec_b32 s22, s23
	s_cbranch_execz .LBB1569_92
; %bb.91:                               ;   in Loop: Header=BB1569_74 Depth=2
	s_waitcnt lgkmcnt(0)
	v_bcnt_u32_b32 v20, v20, v95
	ds_store_b32 v98, v20
.LBB1569_92:                            ;   in Loop: Header=BB1569_74 Depth=2
	s_or_b32 exec_lo, exec_lo, s22
	s_xor_b32 s21, s21, -1
	s_delay_alu instid0(SALU_CYCLE_1) | instskip(NEXT) | instid1(VALU_DEP_1)
	v_cndmask_b32_e64 v97, 0, 1, s21
	; wave barrier
	v_lshrrev_b32_e32 v20, s25, v97
	s_delay_alu instid0(VALU_DEP_1) | instskip(NEXT) | instid1(VALU_DEP_1)
	v_and_b32_e32 v20, s30, v20
	v_add_co_u32 v21, s21, v20, -1
	s_delay_alu instid0(VALU_DEP_1) | instskip(SKIP_1) | instid1(VALU_DEP_2)
	v_cndmask_b32_e64 v22, 0, 1, s21
	v_mul_u32_u24_e32 v20, 9, v20
	v_cmp_ne_u32_e64 s21, 0, v22
	s_delay_alu instid0(VALU_DEP_2) | instskip(NEXT) | instid1(VALU_DEP_2)
	v_add_lshl_u32 v22, v20, v80, 2
	v_xor_b32_e32 v20, s21, v21
	ds_load_b32 v99, v22 offset:1056
	v_add_nc_u32_e32 v103, 0x420, v22
	; wave barrier
	v_and_b32_e32 v20, exec_lo, v20
	s_delay_alu instid0(VALU_DEP_1) | instskip(SKIP_1) | instid1(VALU_DEP_2)
	v_mbcnt_lo_u32_b32 v100, v20, 0
	v_cmp_ne_u32_e64 s22, 0, v20
	v_cmp_eq_u32_e64 s21, 0, v100
	s_delay_alu instid0(VALU_DEP_1) | instskip(NEXT) | instid1(SALU_CYCLE_1)
	s_and_b32 s22, s22, s21
	s_and_saveexec_b32 s21, s22
	s_cbranch_execz .LBB1569_94
; %bb.93:                               ;   in Loop: Header=BB1569_74 Depth=2
	s_waitcnt lgkmcnt(0)
	v_bcnt_u32_b32 v20, v20, v99
	ds_store_b32 v103, v20
.LBB1569_94:                            ;   in Loop: Header=BB1569_74 Depth=2
	;; [unrolled: 33-line block ×4, first 2 shown]
	s_or_b32 exec_lo, exec_lo, s19
	s_xor_b32 s18, s18, -1
	s_delay_alu instid0(SALU_CYCLE_1) | instskip(NEXT) | instid1(VALU_DEP_1)
	v_cndmask_b32_e64 v109, 0, 1, s18
	; wave barrier
	v_lshrrev_b32_e32 v20, s25, v109
	s_delay_alu instid0(VALU_DEP_1) | instskip(NEXT) | instid1(VALU_DEP_1)
	v_and_b32_e32 v20, s30, v20
	v_add_co_u32 v21, s18, v20, -1
	s_delay_alu instid0(VALU_DEP_1) | instskip(SKIP_1) | instid1(VALU_DEP_2)
	v_cndmask_b32_e64 v22, 0, 1, s18
	v_mul_u32_u24_e32 v20, 9, v20
	v_cmp_ne_u32_e64 s18, 0, v22
	s_delay_alu instid0(VALU_DEP_2) | instskip(NEXT) | instid1(VALU_DEP_2)
	v_add_lshl_u32 v22, v20, v80, 2
	v_xor_b32_e32 v20, s18, v21
	ds_load_b32 v110, v22 offset:1056
	v_add_nc_u32_e32 v115, 0x420, v22
	; wave barrier
	v_and_b32_e32 v20, exec_lo, v20
	s_delay_alu instid0(VALU_DEP_1) | instskip(SKIP_1) | instid1(VALU_DEP_2)
	v_mbcnt_lo_u32_b32 v112, v20, 0
	v_cmp_ne_u32_e64 s19, 0, v20
	v_cmp_eq_u32_e64 s18, 0, v112
	s_delay_alu instid0(VALU_DEP_1) | instskip(NEXT) | instid1(SALU_CYCLE_1)
	s_and_b32 s19, s19, s18
	s_and_saveexec_b32 s18, s19
	s_cbranch_execz .LBB1569_100
; %bb.99:                               ;   in Loop: Header=BB1569_74 Depth=2
	s_waitcnt lgkmcnt(0)
	v_bcnt_u32_b32 v20, v20, v110
	ds_store_b32 v115, v20
.LBB1569_100:                           ;   in Loop: Header=BB1569_74 Depth=2
	s_or_b32 exec_lo, exec_lo, s18
	s_xor_b32 s17, s17, -1
	s_delay_alu instid0(SALU_CYCLE_1) | instskip(NEXT) | instid1(VALU_DEP_1)
	v_cndmask_b32_e64 v113, 0, 1, s17
	; wave barrier
	v_lshrrev_b32_e32 v20, s25, v113
	s_delay_alu instid0(VALU_DEP_1) | instskip(NEXT) | instid1(VALU_DEP_1)
	v_and_b32_e32 v20, s30, v20
	v_add_co_u32 v21, s17, v20, -1
	s_delay_alu instid0(VALU_DEP_1) | instskip(SKIP_1) | instid1(VALU_DEP_2)
	v_cndmask_b32_e64 v22, 0, 1, s17
	v_mul_u32_u24_e32 v20, 9, v20
	v_cmp_ne_u32_e64 s17, 0, v22
	s_delay_alu instid0(VALU_DEP_2) | instskip(NEXT) | instid1(VALU_DEP_2)
	v_add_lshl_u32 v22, v20, v80, 2
	v_xor_b32_e32 v20, s17, v21
	ds_load_b32 v114, v22 offset:1056
	v_add_nc_u32_e32 v119, 0x420, v22
	; wave barrier
	v_and_b32_e32 v20, exec_lo, v20
	s_delay_alu instid0(VALU_DEP_1) | instskip(SKIP_1) | instid1(VALU_DEP_2)
	v_mbcnt_lo_u32_b32 v116, v20, 0
	v_cmp_ne_u32_e64 s18, 0, v20
	v_cmp_eq_u32_e64 s17, 0, v116
	s_delay_alu instid0(VALU_DEP_1) | instskip(NEXT) | instid1(SALU_CYCLE_1)
	s_and_b32 s18, s18, s17
	s_and_saveexec_b32 s17, s18
	s_cbranch_execz .LBB1569_102
; %bb.101:                              ;   in Loop: Header=BB1569_74 Depth=2
	s_waitcnt lgkmcnt(0)
	v_bcnt_u32_b32 v20, v20, v114
	ds_store_b32 v119, v20
.LBB1569_102:                           ;   in Loop: Header=BB1569_74 Depth=2
	s_or_b32 exec_lo, exec_lo, s17
	s_xor_b32 s17, vcc_lo, -1
	s_delay_alu instid0(SALU_CYCLE_1) | instskip(NEXT) | instid1(VALU_DEP_1)
	v_cndmask_b32_e64 v117, 0, 1, s17
	; wave barrier
	v_lshrrev_b32_e32 v20, s25, v117
	s_delay_alu instid0(VALU_DEP_1) | instskip(NEXT) | instid1(VALU_DEP_1)
	v_and_b32_e32 v20, s30, v20
	v_add_co_u32 v21, s17, v20, -1
	s_delay_alu instid0(VALU_DEP_1) | instskip(SKIP_1) | instid1(VALU_DEP_2)
	v_cndmask_b32_e64 v22, 0, 1, s17
	v_mul_u32_u24_e32 v20, 9, v20
	v_cmp_ne_u32_e32 vcc_lo, 0, v22
	s_delay_alu instid0(VALU_DEP_2) | instskip(SKIP_4) | instid1(VALU_DEP_1)
	v_add_lshl_u32 v22, v20, v80, 2
	v_xor_b32_e32 v20, vcc_lo, v21
	ds_load_b32 v118, v22 offset:1056
	v_add_nc_u32_e32 v121, 0x420, v22
	; wave barrier
	v_and_b32_e32 v20, exec_lo, v20
	v_mbcnt_lo_u32_b32 v120, v20, 0
	v_cmp_ne_u32_e64 s17, 0, v20
	s_delay_alu instid0(VALU_DEP_2) | instskip(NEXT) | instid1(VALU_DEP_2)
	v_cmp_eq_u32_e32 vcc_lo, 0, v120
	s_and_b32 s18, s17, vcc_lo
	s_delay_alu instid0(SALU_CYCLE_1)
	s_and_saveexec_b32 s17, s18
	s_cbranch_execz .LBB1569_104
; %bb.103:                              ;   in Loop: Header=BB1569_74 Depth=2
	s_waitcnt lgkmcnt(0)
	v_bcnt_u32_b32 v20, v20, v118
	ds_store_b32 v121, v20
.LBB1569_104:                           ;   in Loop: Header=BB1569_74 Depth=2
	s_or_b32 exec_lo, exec_lo, s17
	; wave barrier
	s_waitcnt lgkmcnt(0)
	s_barrier
	buffer_gl0_inv
	ds_load_b32 v122, v46 offset:1056
	ds_load_2addr_b32 v[26:27], v47 offset0:1 offset1:2
	ds_load_2addr_b32 v[24:25], v47 offset0:3 offset1:4
	;; [unrolled: 1-line block ×4, first 2 shown]
	s_waitcnt lgkmcnt(3)
	v_add3_u32 v123, v26, v122, v27
	s_waitcnt lgkmcnt(2)
	s_delay_alu instid0(VALU_DEP_1) | instskip(SKIP_1) | instid1(VALU_DEP_1)
	v_add3_u32 v123, v123, v24, v25
	s_waitcnt lgkmcnt(1)
	v_add3_u32 v123, v123, v20, v21
	s_waitcnt lgkmcnt(0)
	s_delay_alu instid0(VALU_DEP_1) | instskip(NEXT) | instid1(VALU_DEP_1)
	v_add3_u32 v23, v123, v22, v23
	v_mov_b32_dpp v123, v23 row_shr:1 row_mask:0xf bank_mask:0xf
	s_delay_alu instid0(VALU_DEP_1) | instskip(NEXT) | instid1(VALU_DEP_1)
	v_cndmask_b32_e64 v123, v123, 0, s0
	v_add_nc_u32_e32 v23, v123, v23
	s_delay_alu instid0(VALU_DEP_1) | instskip(NEXT) | instid1(VALU_DEP_1)
	v_mov_b32_dpp v123, v23 row_shr:2 row_mask:0xf bank_mask:0xf
	v_cndmask_b32_e64 v123, 0, v123, s1
	s_delay_alu instid0(VALU_DEP_1) | instskip(NEXT) | instid1(VALU_DEP_1)
	v_add_nc_u32_e32 v23, v23, v123
	v_mov_b32_dpp v123, v23 row_shr:4 row_mask:0xf bank_mask:0xf
	s_delay_alu instid0(VALU_DEP_1) | instskip(NEXT) | instid1(VALU_DEP_1)
	v_cndmask_b32_e64 v123, 0, v123, s8
	v_add_nc_u32_e32 v23, v23, v123
	s_delay_alu instid0(VALU_DEP_1) | instskip(NEXT) | instid1(VALU_DEP_1)
	v_mov_b32_dpp v123, v23 row_shr:8 row_mask:0xf bank_mask:0xf
	v_cndmask_b32_e64 v123, 0, v123, s9
	s_delay_alu instid0(VALU_DEP_1) | instskip(SKIP_3) | instid1(VALU_DEP_1)
	v_add_nc_u32_e32 v23, v23, v123
	ds_swizzle_b32 v123, v23 offset:swizzle(BROADCAST,32,15)
	s_waitcnt lgkmcnt(0)
	v_cndmask_b32_e64 v123, v123, 0, s10
	v_add_nc_u32_e32 v23, v23, v123
	s_and_saveexec_b32 s17, s3
	s_cbranch_execz .LBB1569_106
; %bb.105:                              ;   in Loop: Header=BB1569_74 Depth=2
	ds_store_b32 v38, v23 offset:1024
.LBB1569_106:                           ;   in Loop: Header=BB1569_74 Depth=2
	s_or_b32 exec_lo, exec_lo, s17
	s_waitcnt lgkmcnt(0)
	s_barrier
	buffer_gl0_inv
	s_and_saveexec_b32 s17, s4
	s_cbranch_execz .LBB1569_108
; %bb.107:                              ;   in Loop: Header=BB1569_74 Depth=2
	v_add_nc_u32_e32 v123, v46, v48
	ds_load_b32 v124, v123 offset:1024
	s_waitcnt lgkmcnt(0)
	v_mov_b32_dpp v125, v124 row_shr:1 row_mask:0xf bank_mask:0xf
	s_delay_alu instid0(VALU_DEP_1) | instskip(NEXT) | instid1(VALU_DEP_1)
	v_cndmask_b32_e64 v125, v125, 0, s12
	v_add_nc_u32_e32 v124, v125, v124
	s_delay_alu instid0(VALU_DEP_1) | instskip(NEXT) | instid1(VALU_DEP_1)
	v_mov_b32_dpp v125, v124 row_shr:2 row_mask:0xf bank_mask:0xf
	v_cndmask_b32_e64 v125, 0, v125, s13
	s_delay_alu instid0(VALU_DEP_1) | instskip(NEXT) | instid1(VALU_DEP_1)
	v_add_nc_u32_e32 v124, v124, v125
	v_mov_b32_dpp v125, v124 row_shr:4 row_mask:0xf bank_mask:0xf
	s_delay_alu instid0(VALU_DEP_1) | instskip(NEXT) | instid1(VALU_DEP_1)
	v_cndmask_b32_e64 v125, 0, v125, s16
	v_add_nc_u32_e32 v124, v124, v125
	ds_store_b32 v123, v124 offset:1024
.LBB1569_108:                           ;   in Loop: Header=BB1569_74 Depth=2
	s_or_b32 exec_lo, exec_lo, s17
	v_mov_b32_e32 v123, 0
	s_waitcnt lgkmcnt(0)
	s_barrier
	buffer_gl0_inv
	s_and_saveexec_b32 s17, s5
	s_cbranch_execz .LBB1569_110
; %bb.109:                              ;   in Loop: Header=BB1569_74 Depth=2
	ds_load_b32 v123, v38 offset:1020
.LBB1569_110:                           ;   in Loop: Header=BB1569_74 Depth=2
	s_or_b32 exec_lo, exec_lo, s17
	s_waitcnt lgkmcnt(0)
	v_add_nc_u32_e32 v23, v123, v23
	ds_bpermute_b32 v23, v69, v23
	s_waitcnt lgkmcnt(0)
	v_cndmask_b32_e64 v23, v23, v123, s11
	s_delay_alu instid0(VALU_DEP_1) | instskip(NEXT) | instid1(VALU_DEP_1)
	v_cndmask_b32_e64 v23, v23, 0, s6
	v_add_nc_u32_e32 v122, v23, v122
	s_delay_alu instid0(VALU_DEP_1) | instskip(NEXT) | instid1(VALU_DEP_1)
	v_add_nc_u32_e32 v26, v122, v26
	v_add_nc_u32_e32 v27, v26, v27
	s_delay_alu instid0(VALU_DEP_1) | instskip(NEXT) | instid1(VALU_DEP_1)
	v_add_nc_u32_e32 v24, v27, v24
	v_add_nc_u32_e32 v25, v24, v25
	s_delay_alu instid0(VALU_DEP_1) | instskip(NEXT) | instid1(VALU_DEP_1)
	v_add_nc_u32_e32 v20, v25, v20
	v_add_nc_u32_e32 v21, v20, v21
	s_delay_alu instid0(VALU_DEP_1)
	v_add_nc_u32_e32 v22, v21, v22
	ds_store_b32 v46, v23 offset:1056
	ds_store_2addr_b32 v47, v122, v26 offset0:1 offset1:2
	ds_store_2addr_b32 v47, v27, v24 offset0:3 offset1:4
	;; [unrolled: 1-line block ×4, first 2 shown]
	v_mov_b32_e32 v22, 0x800
	s_waitcnt lgkmcnt(0)
	s_barrier
	buffer_gl0_inv
	ds_load_b32 v20, v98
	ds_load_b32 v21, v103
	;; [unrolled: 1-line block ×8, first 2 shown]
	ds_load_b32 v27, v46 offset:1056
	s_and_saveexec_b32 s17, s7
	s_cbranch_execz .LBB1569_112
; %bb.111:                              ;   in Loop: Header=BB1569_74 Depth=2
	ds_load_b32 v22, v49 offset:1056
.LBB1569_112:                           ;   in Loop: Header=BB1569_74 Depth=2
	s_or_b32 exec_lo, exec_lo, s17
	s_waitcnt lgkmcnt(0)
	s_barrier
	buffer_gl0_inv
	s_and_saveexec_b32 s17, s2
	s_cbranch_execz .LBB1569_114
; %bb.113:                              ;   in Loop: Header=BB1569_74 Depth=2
	ds_load_b32 v94, v28
	s_waitcnt lgkmcnt(0)
	v_sub_nc_u32_e32 v27, v94, v27
	ds_store_b32 v28, v27
.LBB1569_114:                           ;   in Loop: Header=BB1569_74 Depth=2
	s_or_b32 exec_lo, exec_lo, s17
	v_add_nc_u32_e32 v98, v26, v92
	v_add3_u32 v94, v96, v95, v20
	v_add3_u32 v92, v100, v99, v21
	v_add3_u32 v27, v104, v102, v23
	v_add3_u32 v26, v108, v106, v24
	v_add3_u32 v25, v112, v110, v25
	v_add3_u32 v24, v116, v114, v103
	v_add3_u32 v23, v120, v118, v107
	v_cmp_lt_u32_e64 s22, v1, v2
	ds_store_b8 v98, v91 offset:1024
	ds_store_b8 v94, v93 offset:1024
	;; [unrolled: 1-line block ×8, first 2 shown]
	s_waitcnt lgkmcnt(0)
	s_barrier
	buffer_gl0_inv
	s_and_saveexec_b32 s17, s22
	s_cbranch_execz .LBB1569_122
; %bb.115:                              ;   in Loop: Header=BB1569_74 Depth=2
	ds_load_u8 v20, v1 offset:1024
	s_waitcnt lgkmcnt(0)
	v_and_b32_e32 v21, 1, v20
	v_xor_b32_e32 v20, 1, v20
	s_delay_alu instid0(VALU_DEP_2) | instskip(NEXT) | instid1(VALU_DEP_1)
	v_lshrrev_b32_e32 v21, s25, v21
	v_and_b32_e32 v21, s30, v21
	s_delay_alu instid0(VALU_DEP_1)
	v_lshlrev_b32_e32 v21, 2, v21
	ds_load_b32 v21, v21
	s_waitcnt lgkmcnt(0)
	v_add_nc_u32_e32 v21, v21, v1
	global_store_b8 v21, v20, s[38:39]
	s_or_b32 exec_lo, exec_lo, s17
	v_cmp_lt_u32_e64 s23, v29, v2
	s_delay_alu instid0(VALU_DEP_1)
	s_and_saveexec_b32 s17, s23
	s_cbranch_execnz .LBB1569_123
.LBB1569_116:                           ;   in Loop: Header=BB1569_74 Depth=2
	s_or_b32 exec_lo, exec_lo, s17
	v_cmp_lt_u32_e64 s21, v30, v2
	s_delay_alu instid0(VALU_DEP_1)
	s_and_saveexec_b32 s17, s21
	s_cbranch_execz .LBB1569_124
.LBB1569_117:                           ;   in Loop: Header=BB1569_74 Depth=2
	ds_load_u8 v20, v35 offset:512
	s_waitcnt lgkmcnt(0)
	v_and_b32_e32 v21, 1, v20
	v_xor_b32_e32 v20, 1, v20
	s_delay_alu instid0(VALU_DEP_2) | instskip(NEXT) | instid1(VALU_DEP_1)
	v_lshrrev_b32_e32 v21, s25, v21
	v_and_b32_e32 v21, s30, v21
	s_delay_alu instid0(VALU_DEP_1)
	v_lshlrev_b32_e32 v21, 2, v21
	ds_load_b32 v21, v21
	s_waitcnt lgkmcnt(0)
	v_add_nc_u32_e32 v21, v21, v30
	global_store_b8 v21, v20, s[38:39]
	s_or_b32 exec_lo, exec_lo, s17
	v_cmp_lt_u32_e64 s20, v31, v2
	s_delay_alu instid0(VALU_DEP_1)
	s_and_saveexec_b32 s17, s20
	s_cbranch_execnz .LBB1569_125
.LBB1569_118:                           ;   in Loop: Header=BB1569_74 Depth=2
	s_or_b32 exec_lo, exec_lo, s17
	v_cmp_lt_u32_e64 s19, v35, v2
	s_delay_alu instid0(VALU_DEP_1)
	s_and_saveexec_b32 s17, s19
	s_cbranch_execz .LBB1569_126
.LBB1569_119:                           ;   in Loop: Header=BB1569_74 Depth=2
	ds_load_u8 v20, v35 offset:1024
	s_waitcnt lgkmcnt(0)
	v_and_b32_e32 v21, 1, v20
	v_xor_b32_e32 v20, 1, v20
	s_delay_alu instid0(VALU_DEP_2) | instskip(NEXT) | instid1(VALU_DEP_1)
	v_lshrrev_b32_e32 v21, s25, v21
	v_and_b32_e32 v21, s30, v21
	s_delay_alu instid0(VALU_DEP_1)
	v_lshlrev_b32_e32 v21, 2, v21
	ds_load_b32 v21, v21
	s_waitcnt lgkmcnt(0)
	v_add_nc_u32_e32 v21, v21, v35
	global_store_b8 v21, v20, s[38:39]
	s_or_b32 exec_lo, exec_lo, s17
	v_cmp_lt_u32_e64 s18, v36, v2
	s_delay_alu instid0(VALU_DEP_1)
	s_and_saveexec_b32 s17, s18
	s_cbranch_execnz .LBB1569_127
.LBB1569_120:                           ;   in Loop: Header=BB1569_74 Depth=2
	s_or_b32 exec_lo, exec_lo, s17
	v_cmp_lt_u32_e64 s17, v37, v2
	s_delay_alu instid0(VALU_DEP_1)
	s_and_saveexec_b32 s24, s17
	s_cbranch_execz .LBB1569_128
.LBB1569_121:                           ;   in Loop: Header=BB1569_74 Depth=2
	ds_load_u8 v20, v35 offset:1536
	s_waitcnt lgkmcnt(0)
	v_and_b32_e32 v21, 1, v20
	v_xor_b32_e32 v20, 1, v20
	s_delay_alu instid0(VALU_DEP_2) | instskip(NEXT) | instid1(VALU_DEP_1)
	v_lshrrev_b32_e32 v21, s25, v21
	v_and_b32_e32 v21, s30, v21
	s_delay_alu instid0(VALU_DEP_1)
	v_lshlrev_b32_e32 v21, 2, v21
	ds_load_b32 v21, v21
	s_waitcnt lgkmcnt(0)
	v_add_nc_u32_e32 v21, v21, v37
	global_store_b8 v21, v20, s[38:39]
	s_or_b32 exec_lo, exec_lo, s24
	v_cmp_lt_u32_e32 vcc_lo, v39, v2
	s_and_saveexec_b32 s24, vcc_lo
	s_cbranch_execnz .LBB1569_129
	s_branch .LBB1569_130
.LBB1569_122:                           ;   in Loop: Header=BB1569_74 Depth=2
	s_or_b32 exec_lo, exec_lo, s17
	v_cmp_lt_u32_e64 s23, v29, v2
	s_delay_alu instid0(VALU_DEP_1)
	s_and_saveexec_b32 s17, s23
	s_cbranch_execz .LBB1569_116
.LBB1569_123:                           ;   in Loop: Header=BB1569_74 Depth=2
	ds_load_u8 v20, v35 offset:256
	s_waitcnt lgkmcnt(0)
	v_and_b32_e32 v21, 1, v20
	v_xor_b32_e32 v20, 1, v20
	s_delay_alu instid0(VALU_DEP_2) | instskip(NEXT) | instid1(VALU_DEP_1)
	v_lshrrev_b32_e32 v21, s25, v21
	v_and_b32_e32 v21, s30, v21
	s_delay_alu instid0(VALU_DEP_1)
	v_lshlrev_b32_e32 v21, 2, v21
	ds_load_b32 v21, v21
	s_waitcnt lgkmcnt(0)
	v_add_nc_u32_e32 v21, v21, v29
	global_store_b8 v21, v20, s[38:39]
	s_or_b32 exec_lo, exec_lo, s17
	v_cmp_lt_u32_e64 s21, v30, v2
	s_delay_alu instid0(VALU_DEP_1)
	s_and_saveexec_b32 s17, s21
	s_cbranch_execnz .LBB1569_117
.LBB1569_124:                           ;   in Loop: Header=BB1569_74 Depth=2
	s_or_b32 exec_lo, exec_lo, s17
	v_cmp_lt_u32_e64 s20, v31, v2
	s_delay_alu instid0(VALU_DEP_1)
	s_and_saveexec_b32 s17, s20
	s_cbranch_execz .LBB1569_118
.LBB1569_125:                           ;   in Loop: Header=BB1569_74 Depth=2
	ds_load_u8 v20, v35 offset:768
	s_waitcnt lgkmcnt(0)
	v_and_b32_e32 v21, 1, v20
	v_xor_b32_e32 v20, 1, v20
	s_delay_alu instid0(VALU_DEP_2) | instskip(NEXT) | instid1(VALU_DEP_1)
	v_lshrrev_b32_e32 v21, s25, v21
	v_and_b32_e32 v21, s30, v21
	s_delay_alu instid0(VALU_DEP_1)
	v_lshlrev_b32_e32 v21, 2, v21
	ds_load_b32 v21, v21
	s_waitcnt lgkmcnt(0)
	v_add_nc_u32_e32 v21, v21, v31
	global_store_b8 v21, v20, s[38:39]
	s_or_b32 exec_lo, exec_lo, s17
	v_cmp_lt_u32_e64 s19, v35, v2
	s_delay_alu instid0(VALU_DEP_1)
	s_and_saveexec_b32 s17, s19
	s_cbranch_execnz .LBB1569_119
.LBB1569_126:                           ;   in Loop: Header=BB1569_74 Depth=2
	s_or_b32 exec_lo, exec_lo, s17
	v_cmp_lt_u32_e64 s18, v36, v2
	s_delay_alu instid0(VALU_DEP_1)
	s_and_saveexec_b32 s17, s18
	s_cbranch_execz .LBB1569_120
.LBB1569_127:                           ;   in Loop: Header=BB1569_74 Depth=2
	ds_load_u8 v20, v35 offset:1280
	s_waitcnt lgkmcnt(0)
	v_and_b32_e32 v21, 1, v20
	v_xor_b32_e32 v20, 1, v20
	s_delay_alu instid0(VALU_DEP_2) | instskip(NEXT) | instid1(VALU_DEP_1)
	v_lshrrev_b32_e32 v21, s25, v21
	v_and_b32_e32 v21, s30, v21
	s_delay_alu instid0(VALU_DEP_1)
	v_lshlrev_b32_e32 v21, 2, v21
	ds_load_b32 v21, v21
	s_waitcnt lgkmcnt(0)
	v_add_nc_u32_e32 v21, v21, v36
	global_store_b8 v21, v20, s[38:39]
	s_or_b32 exec_lo, exec_lo, s17
	v_cmp_lt_u32_e64 s17, v37, v2
	s_delay_alu instid0(VALU_DEP_1)
	s_and_saveexec_b32 s24, s17
	s_cbranch_execnz .LBB1569_121
.LBB1569_128:                           ;   in Loop: Header=BB1569_74 Depth=2
	s_or_b32 exec_lo, exec_lo, s24
	v_cmp_lt_u32_e32 vcc_lo, v39, v2
	s_and_saveexec_b32 s24, vcc_lo
	s_cbranch_execz .LBB1569_130
.LBB1569_129:                           ;   in Loop: Header=BB1569_74 Depth=2
	ds_load_u8 v20, v35 offset:1792
	s_waitcnt lgkmcnt(0)
	v_and_b32_e32 v21, 1, v20
	v_xor_b32_e32 v20, 1, v20
	s_delay_alu instid0(VALU_DEP_2) | instskip(NEXT) | instid1(VALU_DEP_1)
	v_lshrrev_b32_e32 v21, s25, v21
	v_and_b32_e32 v21, s30, v21
	s_delay_alu instid0(VALU_DEP_1)
	v_lshlrev_b32_e32 v21, 2, v21
	ds_load_b32 v21, v21
	s_waitcnt lgkmcnt(0)
	v_add_nc_u32_e32 v21, v21, v39
	global_store_b8 v21, v20, s[38:39]
.LBB1569_130:                           ;   in Loop: Header=BB1569_74 Depth=2
	s_or_b32 exec_lo, exec_lo, s24
	s_lshl_b64 s[52:53], s[26:27], 3
	s_delay_alu instid0(SALU_CYCLE_1) | instskip(NEXT) | instid1(VALU_DEP_1)
	v_add_co_u32 v20, s24, v71, s52
	v_add_co_ci_u32_e64 v21, s24, s53, v72, s24
	v_cmp_lt_u32_e64 s24, v70, v2
	s_delay_alu instid0(VALU_DEP_1) | instskip(NEXT) | instid1(SALU_CYCLE_1)
	s_and_saveexec_b32 s26, s24
	s_xor_b32 s24, exec_lo, s26
	s_cbranch_execz .LBB1569_146
; %bb.131:                              ;   in Loop: Header=BB1569_74 Depth=2
	global_load_b64 v[18:19], v[20:21], off
	s_or_b32 exec_lo, exec_lo, s24
	s_delay_alu instid0(SALU_CYCLE_1)
	s_mov_b32 s26, exec_lo
	v_cmpx_lt_u32_e64 v73, v2
	s_cbranch_execnz .LBB1569_147
.LBB1569_132:                           ;   in Loop: Header=BB1569_74 Depth=2
	s_or_b32 exec_lo, exec_lo, s26
	s_delay_alu instid0(SALU_CYCLE_1)
	s_mov_b32 s26, exec_lo
	v_cmpx_lt_u32_e64 v74, v2
	s_cbranch_execz .LBB1569_148
.LBB1569_133:                           ;   in Loop: Header=BB1569_74 Depth=2
	global_load_b64 v[14:15], v[20:21], off offset:512
	s_or_b32 exec_lo, exec_lo, s26
	s_delay_alu instid0(SALU_CYCLE_1)
	s_mov_b32 s26, exec_lo
	v_cmpx_lt_u32_e64 v75, v2
	s_cbranch_execnz .LBB1569_149
.LBB1569_134:                           ;   in Loop: Header=BB1569_74 Depth=2
	s_or_b32 exec_lo, exec_lo, s26
	s_delay_alu instid0(SALU_CYCLE_1)
	s_mov_b32 s26, exec_lo
	v_cmpx_lt_u32_e64 v76, v2
	s_cbranch_execz .LBB1569_150
.LBB1569_135:                           ;   in Loop: Header=BB1569_74 Depth=2
	global_load_b64 v[10:11], v[20:21], off offset:1024
	s_or_b32 exec_lo, exec_lo, s26
	s_delay_alu instid0(SALU_CYCLE_1)
	s_mov_b32 s26, exec_lo
	v_cmpx_lt_u32_e64 v77, v2
	s_cbranch_execnz .LBB1569_151
.LBB1569_136:                           ;   in Loop: Header=BB1569_74 Depth=2
	s_or_b32 exec_lo, exec_lo, s26
	s_delay_alu instid0(SALU_CYCLE_1)
	s_mov_b32 s26, exec_lo
	v_cmpx_lt_u32_e64 v78, v2
	s_cbranch_execz .LBB1569_152
.LBB1569_137:                           ;   in Loop: Header=BB1569_74 Depth=2
	global_load_b64 v[6:7], v[20:21], off offset:1536
	s_or_b32 exec_lo, exec_lo, s26
	s_delay_alu instid0(SALU_CYCLE_1)
	s_mov_b32 s26, exec_lo
	v_cmpx_lt_u32_e64 v79, v2
	s_cbranch_execnz .LBB1569_153
.LBB1569_138:                           ;   in Loop: Header=BB1569_74 Depth=2
	s_or_b32 exec_lo, exec_lo, s26
	s_and_saveexec_b32 s24, s22
	s_cbranch_execz .LBB1569_154
.LBB1569_139:                           ;   in Loop: Header=BB1569_74 Depth=2
	ds_load_u8 v2, v1 offset:1024
	s_waitcnt lgkmcnt(0)
	v_lshrrev_b32_e32 v2, s25, v2
	s_delay_alu instid0(VALU_DEP_1)
	v_and_b32_e32 v90, s30, v2
	s_or_b32 exec_lo, exec_lo, s24
	s_and_saveexec_b32 s24, s23
	s_cbranch_execnz .LBB1569_155
.LBB1569_140:                           ;   in Loop: Header=BB1569_74 Depth=2
	s_or_b32 exec_lo, exec_lo, s24
	s_and_saveexec_b32 s24, s21
	s_cbranch_execz .LBB1569_156
.LBB1569_141:                           ;   in Loop: Header=BB1569_74 Depth=2
	ds_load_u8 v2, v35 offset:512
	s_waitcnt lgkmcnt(0)
	v_lshrrev_b32_e32 v2, s25, v2
	s_delay_alu instid0(VALU_DEP_1)
	v_and_b32_e32 v88, s30, v2
	s_or_b32 exec_lo, exec_lo, s24
	s_and_saveexec_b32 s24, s20
	s_cbranch_execnz .LBB1569_157
.LBB1569_142:                           ;   in Loop: Header=BB1569_74 Depth=2
	s_or_b32 exec_lo, exec_lo, s24
	s_and_saveexec_b32 s24, s19
	s_cbranch_execz .LBB1569_158
.LBB1569_143:                           ;   in Loop: Header=BB1569_74 Depth=2
	ds_load_u8 v2, v35 offset:1024
	s_waitcnt lgkmcnt(0)
	v_lshrrev_b32_e32 v2, s25, v2
	s_delay_alu instid0(VALU_DEP_1)
	v_and_b32_e32 v86, s30, v2
	s_or_b32 exec_lo, exec_lo, s24
	s_and_saveexec_b32 s24, s18
	s_cbranch_execnz .LBB1569_159
.LBB1569_144:                           ;   in Loop: Header=BB1569_74 Depth=2
	s_or_b32 exec_lo, exec_lo, s24
	s_and_saveexec_b32 s24, s17
	s_cbranch_execz .LBB1569_160
.LBB1569_145:                           ;   in Loop: Header=BB1569_74 Depth=2
	ds_load_u8 v2, v35 offset:1536
	s_waitcnt lgkmcnt(0)
	v_lshrrev_b32_e32 v2, s25, v2
	s_delay_alu instid0(VALU_DEP_1)
	v_and_b32_e32 v84, s30, v2
	s_or_b32 exec_lo, exec_lo, s24
	s_and_saveexec_b32 s24, vcc_lo
	s_cbranch_execnz .LBB1569_161
	s_branch .LBB1569_162
.LBB1569_146:                           ;   in Loop: Header=BB1569_74 Depth=2
	s_or_b32 exec_lo, exec_lo, s24
	s_delay_alu instid0(SALU_CYCLE_1)
	s_mov_b32 s26, exec_lo
	v_cmpx_lt_u32_e64 v73, v2
	s_cbranch_execz .LBB1569_132
.LBB1569_147:                           ;   in Loop: Header=BB1569_74 Depth=2
	global_load_b64 v[16:17], v[20:21], off offset:256
	s_or_b32 exec_lo, exec_lo, s26
	s_delay_alu instid0(SALU_CYCLE_1)
	s_mov_b32 s26, exec_lo
	v_cmpx_lt_u32_e64 v74, v2
	s_cbranch_execnz .LBB1569_133
.LBB1569_148:                           ;   in Loop: Header=BB1569_74 Depth=2
	s_or_b32 exec_lo, exec_lo, s26
	s_delay_alu instid0(SALU_CYCLE_1)
	s_mov_b32 s26, exec_lo
	v_cmpx_lt_u32_e64 v75, v2
	s_cbranch_execz .LBB1569_134
.LBB1569_149:                           ;   in Loop: Header=BB1569_74 Depth=2
	global_load_b64 v[12:13], v[20:21], off offset:768
	s_or_b32 exec_lo, exec_lo, s26
	s_delay_alu instid0(SALU_CYCLE_1)
	s_mov_b32 s26, exec_lo
	v_cmpx_lt_u32_e64 v76, v2
	s_cbranch_execnz .LBB1569_135
.LBB1569_150:                           ;   in Loop: Header=BB1569_74 Depth=2
	s_or_b32 exec_lo, exec_lo, s26
	s_delay_alu instid0(SALU_CYCLE_1)
	s_mov_b32 s26, exec_lo
	v_cmpx_lt_u32_e64 v77, v2
	s_cbranch_execz .LBB1569_136
.LBB1569_151:                           ;   in Loop: Header=BB1569_74 Depth=2
	global_load_b64 v[8:9], v[20:21], off offset:1280
	s_or_b32 exec_lo, exec_lo, s26
	s_delay_alu instid0(SALU_CYCLE_1)
	s_mov_b32 s26, exec_lo
	v_cmpx_lt_u32_e64 v78, v2
	s_cbranch_execnz .LBB1569_137
.LBB1569_152:                           ;   in Loop: Header=BB1569_74 Depth=2
	s_or_b32 exec_lo, exec_lo, s26
	s_delay_alu instid0(SALU_CYCLE_1)
	s_mov_b32 s26, exec_lo
	v_cmpx_lt_u32_e64 v79, v2
	s_cbranch_execz .LBB1569_138
.LBB1569_153:                           ;   in Loop: Header=BB1569_74 Depth=2
	global_load_b64 v[4:5], v[20:21], off offset:1792
	s_or_b32 exec_lo, exec_lo, s26
	s_and_saveexec_b32 s24, s22
	s_cbranch_execnz .LBB1569_139
.LBB1569_154:                           ;   in Loop: Header=BB1569_74 Depth=2
	s_or_b32 exec_lo, exec_lo, s24
	s_and_saveexec_b32 s24, s23
	s_cbranch_execz .LBB1569_140
.LBB1569_155:                           ;   in Loop: Header=BB1569_74 Depth=2
	ds_load_u8 v2, v35 offset:256
	s_waitcnt lgkmcnt(0)
	v_lshrrev_b32_e32 v2, s25, v2
	s_delay_alu instid0(VALU_DEP_1)
	v_and_b32_e32 v89, s30, v2
	s_or_b32 exec_lo, exec_lo, s24
	s_and_saveexec_b32 s24, s21
	s_cbranch_execnz .LBB1569_141
.LBB1569_156:                           ;   in Loop: Header=BB1569_74 Depth=2
	s_or_b32 exec_lo, exec_lo, s24
	s_and_saveexec_b32 s24, s20
	s_cbranch_execz .LBB1569_142
.LBB1569_157:                           ;   in Loop: Header=BB1569_74 Depth=2
	ds_load_u8 v2, v35 offset:768
	s_waitcnt lgkmcnt(0)
	v_lshrrev_b32_e32 v2, s25, v2
	s_delay_alu instid0(VALU_DEP_1)
	v_and_b32_e32 v87, s30, v2
	s_or_b32 exec_lo, exec_lo, s24
	s_and_saveexec_b32 s24, s19
	s_cbranch_execnz .LBB1569_143
.LBB1569_158:                           ;   in Loop: Header=BB1569_74 Depth=2
	s_or_b32 exec_lo, exec_lo, s24
	s_and_saveexec_b32 s24, s18
	s_cbranch_execz .LBB1569_144
.LBB1569_159:                           ;   in Loop: Header=BB1569_74 Depth=2
	ds_load_u8 v2, v35 offset:1280
	s_waitcnt lgkmcnt(0)
	v_lshrrev_b32_e32 v2, s25, v2
	s_delay_alu instid0(VALU_DEP_1)
	v_and_b32_e32 v85, s30, v2
	s_or_b32 exec_lo, exec_lo, s24
	s_and_saveexec_b32 s24, s17
	s_cbranch_execnz .LBB1569_145
.LBB1569_160:                           ;   in Loop: Header=BB1569_74 Depth=2
	s_or_b32 exec_lo, exec_lo, s24
	s_and_saveexec_b32 s24, vcc_lo
	s_cbranch_execz .LBB1569_162
.LBB1569_161:                           ;   in Loop: Header=BB1569_74 Depth=2
	ds_load_u8 v2, v35 offset:1792
	s_waitcnt lgkmcnt(0)
	v_lshrrev_b32_e32 v2, s25, v2
	s_delay_alu instid0(VALU_DEP_1)
	v_and_b32_e32 v83, s30, v2
.LBB1569_162:                           ;   in Loop: Header=BB1569_74 Depth=2
	s_or_b32 exec_lo, exec_lo, s24
	v_lshlrev_b32_e32 v2, 3, v98
	v_lshlrev_b32_e32 v20, 3, v94
	;; [unrolled: 1-line block ×3, first 2 shown]
	s_waitcnt vmcnt(0)
	s_waitcnt_vscnt null, 0x0
	s_barrier
	buffer_gl0_inv
	ds_store_b64 v2, v[18:19] offset:1024
	ds_store_b64 v20, v[16:17] offset:1024
	;; [unrolled: 1-line block ×3, first 2 shown]
	v_lshlrev_b32_e32 v2, 3, v27
	v_lshlrev_b32_e32 v20, 3, v26
	;; [unrolled: 1-line block ×5, first 2 shown]
	ds_store_b64 v2, v[12:13] offset:1024
	ds_store_b64 v20, v[10:11] offset:1024
	;; [unrolled: 1-line block ×5, first 2 shown]
	s_waitcnt lgkmcnt(0)
	s_barrier
	buffer_gl0_inv
	s_and_saveexec_b32 s24, s22
	s_cbranch_execz .LBB1569_170
; %bb.163:                              ;   in Loop: Header=BB1569_74 Depth=2
	v_lshlrev_b32_e32 v2, 2, v90
	v_add_nc_u32_e32 v20, v1, v52
	ds_load_b32 v2, v2
	ds_load_b64 v[20:21], v20 offset:1024
	s_waitcnt lgkmcnt(1)
	v_add_nc_u32_e32 v2, v2, v1
	s_delay_alu instid0(VALU_DEP_1) | instskip(NEXT) | instid1(VALU_DEP_1)
	v_lshlrev_b64 v[23:24], 3, v[2:3]
	v_add_co_u32 v23, s22, s44, v23
	s_delay_alu instid0(VALU_DEP_1)
	v_add_co_ci_u32_e64 v24, s22, s45, v24, s22
	s_waitcnt lgkmcnt(0)
	global_store_b64 v[23:24], v[20:21], off
	s_or_b32 exec_lo, exec_lo, s24
	s_and_saveexec_b32 s24, s23
	s_cbranch_execnz .LBB1569_171
.LBB1569_164:                           ;   in Loop: Header=BB1569_74 Depth=2
	s_or_b32 exec_lo, exec_lo, s24
	s_and_saveexec_b32 s22, s21
	s_cbranch_execz .LBB1569_172
.LBB1569_165:                           ;   in Loop: Header=BB1569_74 Depth=2
	v_lshlrev_b32_e32 v2, 2, v88
	v_add_nc_u32_e32 v20, v35, v52
	ds_load_b32 v2, v2
	ds_load_b64 v[20:21], v20 offset:4096
	s_waitcnt lgkmcnt(1)
	v_add_nc_u32_e32 v2, v2, v30
	s_delay_alu instid0(VALU_DEP_1) | instskip(NEXT) | instid1(VALU_DEP_1)
	v_lshlrev_b64 v[23:24], 3, v[2:3]
	v_add_co_u32 v23, s21, s44, v23
	s_delay_alu instid0(VALU_DEP_1)
	v_add_co_ci_u32_e64 v24, s21, s45, v24, s21
	s_waitcnt lgkmcnt(0)
	global_store_b64 v[23:24], v[20:21], off
	s_or_b32 exec_lo, exec_lo, s22
	s_and_saveexec_b32 s21, s20
	s_cbranch_execnz .LBB1569_173
.LBB1569_166:                           ;   in Loop: Header=BB1569_74 Depth=2
	s_or_b32 exec_lo, exec_lo, s21
	s_and_saveexec_b32 s20, s19
	s_cbranch_execz .LBB1569_174
.LBB1569_167:                           ;   in Loop: Header=BB1569_74 Depth=2
	v_lshlrev_b32_e32 v2, 2, v86
	v_add_nc_u32_e32 v20, v35, v52
	ds_load_b32 v2, v2
	ds_load_b64 v[20:21], v20 offset:8192
	s_waitcnt lgkmcnt(1)
	v_add_nc_u32_e32 v2, v2, v35
	s_delay_alu instid0(VALU_DEP_1) | instskip(NEXT) | instid1(VALU_DEP_1)
	v_lshlrev_b64 v[23:24], 3, v[2:3]
	v_add_co_u32 v23, s19, s44, v23
	s_delay_alu instid0(VALU_DEP_1)
	v_add_co_ci_u32_e64 v24, s19, s45, v24, s19
	s_waitcnt lgkmcnt(0)
	global_store_b64 v[23:24], v[20:21], off
	s_or_b32 exec_lo, exec_lo, s20
	s_and_saveexec_b32 s19, s18
	s_cbranch_execnz .LBB1569_175
.LBB1569_168:                           ;   in Loop: Header=BB1569_74 Depth=2
	s_or_b32 exec_lo, exec_lo, s19
	s_and_saveexec_b32 s18, s17
	s_cbranch_execz .LBB1569_176
.LBB1569_169:                           ;   in Loop: Header=BB1569_74 Depth=2
	v_lshlrev_b32_e32 v2, 2, v84
	v_add_nc_u32_e32 v20, v35, v52
	ds_load_b32 v2, v2
	ds_load_b64 v[20:21], v20 offset:12288
	s_waitcnt lgkmcnt(1)
	v_add_nc_u32_e32 v2, v2, v37
	s_delay_alu instid0(VALU_DEP_1) | instskip(NEXT) | instid1(VALU_DEP_1)
	v_lshlrev_b64 v[23:24], 3, v[2:3]
	v_add_co_u32 v23, s17, s44, v23
	s_delay_alu instid0(VALU_DEP_1)
	v_add_co_ci_u32_e64 v24, s17, s45, v24, s17
	s_waitcnt lgkmcnt(0)
	global_store_b64 v[23:24], v[20:21], off
	s_or_b32 exec_lo, exec_lo, s18
	s_and_saveexec_b32 s17, vcc_lo
	s_cbranch_execnz .LBB1569_177
	s_branch .LBB1569_178
.LBB1569_170:                           ;   in Loop: Header=BB1569_74 Depth=2
	s_or_b32 exec_lo, exec_lo, s24
	s_and_saveexec_b32 s24, s23
	s_cbranch_execz .LBB1569_164
.LBB1569_171:                           ;   in Loop: Header=BB1569_74 Depth=2
	v_lshlrev_b32_e32 v2, 2, v89
	v_add_nc_u32_e32 v20, v35, v52
	ds_load_b32 v2, v2
	ds_load_b64 v[20:21], v20 offset:2048
	s_waitcnt lgkmcnt(1)
	v_add_nc_u32_e32 v2, v2, v29
	s_delay_alu instid0(VALU_DEP_1) | instskip(NEXT) | instid1(VALU_DEP_1)
	v_lshlrev_b64 v[23:24], 3, v[2:3]
	v_add_co_u32 v23, s22, s44, v23
	s_delay_alu instid0(VALU_DEP_1)
	v_add_co_ci_u32_e64 v24, s22, s45, v24, s22
	s_waitcnt lgkmcnt(0)
	global_store_b64 v[23:24], v[20:21], off
	s_or_b32 exec_lo, exec_lo, s24
	s_and_saveexec_b32 s22, s21
	s_cbranch_execnz .LBB1569_165
.LBB1569_172:                           ;   in Loop: Header=BB1569_74 Depth=2
	s_or_b32 exec_lo, exec_lo, s22
	s_and_saveexec_b32 s21, s20
	s_cbranch_execz .LBB1569_166
.LBB1569_173:                           ;   in Loop: Header=BB1569_74 Depth=2
	v_lshlrev_b32_e32 v2, 2, v87
	v_add_nc_u32_e32 v20, v35, v52
	ds_load_b32 v2, v2
	ds_load_b64 v[20:21], v20 offset:6144
	s_waitcnt lgkmcnt(1)
	v_add_nc_u32_e32 v2, v2, v31
	s_delay_alu instid0(VALU_DEP_1) | instskip(NEXT) | instid1(VALU_DEP_1)
	v_lshlrev_b64 v[23:24], 3, v[2:3]
	v_add_co_u32 v23, s20, s44, v23
	s_delay_alu instid0(VALU_DEP_1)
	v_add_co_ci_u32_e64 v24, s20, s45, v24, s20
	s_waitcnt lgkmcnt(0)
	global_store_b64 v[23:24], v[20:21], off
	s_or_b32 exec_lo, exec_lo, s21
	s_and_saveexec_b32 s20, s19
	s_cbranch_execnz .LBB1569_167
.LBB1569_174:                           ;   in Loop: Header=BB1569_74 Depth=2
	s_or_b32 exec_lo, exec_lo, s20
	s_and_saveexec_b32 s19, s18
	s_cbranch_execz .LBB1569_168
.LBB1569_175:                           ;   in Loop: Header=BB1569_74 Depth=2
	v_lshlrev_b32_e32 v2, 2, v85
	v_add_nc_u32_e32 v20, v35, v52
	ds_load_b32 v2, v2
	ds_load_b64 v[20:21], v20 offset:10240
	s_waitcnt lgkmcnt(1)
	v_add_nc_u32_e32 v2, v2, v36
	s_delay_alu instid0(VALU_DEP_1) | instskip(NEXT) | instid1(VALU_DEP_1)
	v_lshlrev_b64 v[23:24], 3, v[2:3]
	v_add_co_u32 v23, s18, s44, v23
	s_delay_alu instid0(VALU_DEP_1)
	v_add_co_ci_u32_e64 v24, s18, s45, v24, s18
	s_waitcnt lgkmcnt(0)
	global_store_b64 v[23:24], v[20:21], off
	s_or_b32 exec_lo, exec_lo, s19
	s_and_saveexec_b32 s18, s17
	s_cbranch_execnz .LBB1569_169
.LBB1569_176:                           ;   in Loop: Header=BB1569_74 Depth=2
	s_or_b32 exec_lo, exec_lo, s18
	s_and_saveexec_b32 s17, vcc_lo
	s_cbranch_execz .LBB1569_178
.LBB1569_177:                           ;   in Loop: Header=BB1569_74 Depth=2
	v_lshlrev_b32_e32 v2, 2, v83
	v_add_nc_u32_e32 v20, v35, v52
	ds_load_b32 v2, v2
	ds_load_b64 v[20:21], v20 offset:14336
	s_waitcnt lgkmcnt(1)
	v_add_nc_u32_e32 v2, v2, v39
	s_delay_alu instid0(VALU_DEP_1) | instskip(NEXT) | instid1(VALU_DEP_1)
	v_lshlrev_b64 v[23:24], 3, v[2:3]
	v_add_co_u32 v23, vcc_lo, s44, v23
	s_delay_alu instid0(VALU_DEP_2)
	v_add_co_ci_u32_e32 v24, vcc_lo, s45, v24, vcc_lo
	s_waitcnt lgkmcnt(0)
	global_store_b64 v[23:24], v[20:21], off
.LBB1569_178:                           ;   in Loop: Header=BB1569_74 Depth=2
	s_or_b32 exec_lo, exec_lo, s17
	s_waitcnt_vscnt null, 0x0
	s_barrier
	buffer_gl0_inv
	s_and_saveexec_b32 s17, s2
	s_cbranch_execz .LBB1569_73
; %bb.179:                              ;   in Loop: Header=BB1569_74 Depth=2
	ds_load_b32 v2, v28
	s_waitcnt lgkmcnt(0)
	v_add_nc_u32_e32 v2, v2, v22
	ds_store_b32 v28, v2
	s_branch .LBB1569_73
.LBB1569_180:                           ;   in Loop: Header=BB1569_74 Depth=2
	s_or_b32 exec_lo, exec_lo, s17
	s_delay_alu instid0(SALU_CYCLE_1)
	s_mov_b32 s17, exec_lo
	v_cmpx_gt_u32_e64 s31, v73
	s_cbranch_execz .LBB1569_79
.LBB1569_181:                           ;   in Loop: Header=BB1569_74 Depth=2
	global_load_u8 v2, v[22:23], off offset:32
	s_waitcnt vmcnt(0)
	v_perm_b32 v20, v20, v2, 0x7060004
	s_or_b32 exec_lo, exec_lo, s17
	s_delay_alu instid0(SALU_CYCLE_1)
	s_mov_b32 s17, exec_lo
	v_cmpx_gt_u32_e64 s31, v74
	s_cbranch_execnz .LBB1569_80
.LBB1569_182:                           ;   in Loop: Header=BB1569_74 Depth=2
	s_or_b32 exec_lo, exec_lo, s17
	s_delay_alu instid0(SALU_CYCLE_1)
	s_mov_b32 s17, exec_lo
	v_cmpx_gt_u32_e64 s31, v75
	s_cbranch_execz .LBB1569_81
.LBB1569_183:                           ;   in Loop: Header=BB1569_74 Depth=2
	global_load_u8 v2, v[22:23], off offset:96
	v_lshrrev_b32_e32 v24, 16, v20
	s_delay_alu instid0(VALU_DEP_1) | instskip(SKIP_2) | instid1(VALU_DEP_1)
	v_and_b32_e32 v24, 0xff, v24
	s_waitcnt vmcnt(0)
	v_lshlrev_b16 v2, 8, v2
	v_or_b32_e32 v2, v24, v2
	s_delay_alu instid0(VALU_DEP_1) | instskip(NEXT) | instid1(VALU_DEP_1)
	v_lshlrev_b32_e32 v2, 16, v2
	v_and_or_b32 v20, 0xffff, v20, v2
	s_or_b32 exec_lo, exec_lo, s17
	s_delay_alu instid0(SALU_CYCLE_1)
	s_mov_b32 s17, exec_lo
	v_cmpx_gt_u32_e64 s31, v76
	s_cbranch_execnz .LBB1569_82
.LBB1569_184:                           ;   in Loop: Header=BB1569_74 Depth=2
	s_or_b32 exec_lo, exec_lo, s17
	s_delay_alu instid0(SALU_CYCLE_1)
	s_mov_b32 s17, exec_lo
	v_cmpx_gt_u32_e64 s31, v77
	s_cbranch_execz .LBB1569_83
.LBB1569_185:                           ;   in Loop: Header=BB1569_74 Depth=2
	global_load_u8 v2, v[22:23], off offset:160
	s_waitcnt vmcnt(0)
	v_perm_b32 v21, v21, v2, 0x7060004
	s_or_b32 exec_lo, exec_lo, s17
	s_delay_alu instid0(SALU_CYCLE_1)
	s_mov_b32 s17, exec_lo
	v_cmpx_gt_u32_e64 s31, v78
	s_cbranch_execnz .LBB1569_84
	s_branch .LBB1569_85
.LBB1569_186:                           ;   in Loop: Header=BB1569_20 Depth=1
	s_waitcnt lgkmcnt(0)
	s_mov_b32 s0, 0
	s_barrier
.LBB1569_187:                           ;   in Loop: Header=BB1569_20 Depth=1
	s_and_b32 vcc_lo, exec_lo, s0
	s_cbranch_vccz .LBB1569_353
; %bb.188:                              ;   in Loop: Header=BB1569_20 Depth=1
	s_mov_b32 s0, s51
	s_mov_b32 s9, s33
	s_barrier
	buffer_gl0_inv
                                        ; implicit-def: $vgpr2
                                        ; implicit-def: $vgpr6
                                        ; implicit-def: $vgpr7
                                        ; implicit-def: $vgpr8
                                        ; implicit-def: $vgpr9
                                        ; implicit-def: $vgpr10
                                        ; implicit-def: $vgpr11
                                        ; implicit-def: $vgpr12
	s_branch .LBB1569_190
.LBB1569_189:                           ;   in Loop: Header=BB1569_190 Depth=2
	s_or_b32 exec_lo, exec_lo, s8
	s_addk_i32 s0, 0xf800
	s_cmp_ge_u32 s1, s34
	s_mov_b32 s9, s1
	s_cbranch_scc1 .LBB1569_228
.LBB1569_190:                           ;   Parent Loop BB1569_20 Depth=1
                                        ; =>  This Inner Loop Header: Depth=2
	s_add_i32 s1, s9, 0x800
	s_delay_alu instid0(SALU_CYCLE_1)
	s_cmp_gt_u32 s1, s34
	s_cbranch_scc1 .LBB1569_193
; %bb.191:                              ;   in Loop: Header=BB1569_190 Depth=2
	v_add_co_u32 v4, vcc_lo, v53, s9
	v_add_co_ci_u32_e32 v5, vcc_lo, 0, v54, vcc_lo
	s_mov_b32 s8, -1
	s_movk_i32 s12, 0x800
	s_clause 0x6
	global_load_u8 v20, v[4:5], off offset:1536
	global_load_u8 v19, v[4:5], off offset:1280
	;; [unrolled: 1-line block ×6, first 2 shown]
	global_load_u8 v14, v[4:5], off
	v_add_co_u32 v4, vcc_lo, 0x700, v4
	v_add_co_ci_u32_e32 v5, vcc_lo, 0, v5, vcc_lo
	s_cbranch_execz .LBB1569_194
; %bb.192:                              ;   in Loop: Header=BB1569_190 Depth=2
                                        ; implicit-def: $vgpr2
                                        ; implicit-def: $vgpr6
                                        ; implicit-def: $vgpr7
                                        ; implicit-def: $vgpr8
                                        ; implicit-def: $vgpr9
                                        ; implicit-def: $vgpr10
                                        ; implicit-def: $vgpr11
                                        ; implicit-def: $vgpr12
	v_mov_b32_e32 v13, s0
	s_and_saveexec_b32 s9, s8
	s_cbranch_execnz .LBB1569_205
	s_branch .LBB1569_206
.LBB1569_193:                           ;   in Loop: Header=BB1569_190 Depth=2
	s_mov_b32 s8, 0
                                        ; implicit-def: $sgpr12
                                        ; implicit-def: $vgpr14
                                        ; implicit-def: $vgpr15
                                        ; implicit-def: $vgpr16
                                        ; implicit-def: $vgpr17
                                        ; implicit-def: $vgpr18
                                        ; implicit-def: $vgpr19
                                        ; implicit-def: $vgpr20
                                        ; implicit-def: $vgpr4_vgpr5
.LBB1569_194:                           ;   in Loop: Header=BB1569_190 Depth=2
	s_add_u32 s10, s38, s9
	s_addc_u32 s11, s39, 0
	s_mov_b32 s12, exec_lo
	v_cmpx_gt_u32_e64 s0, v1
	s_cbranch_execz .LBB1569_222
; %bb.195:                              ;   in Loop: Header=BB1569_190 Depth=2
	v_add_co_u32 v4, s13, s10, v1
	s_delay_alu instid0(VALU_DEP_1) | instskip(SKIP_2) | instid1(SALU_CYCLE_1)
	v_add_co_ci_u32_e64 v5, null, s11, 0, s13
	global_load_u8 v2, v[4:5], off
	s_or_b32 exec_lo, exec_lo, s12
	s_mov_b32 s12, exec_lo
	v_cmpx_gt_u32_e64 s0, v29
	s_cbranch_execnz .LBB1569_223
.LBB1569_196:                           ;   in Loop: Header=BB1569_190 Depth=2
	s_or_b32 exec_lo, exec_lo, s12
	s_delay_alu instid0(SALU_CYCLE_1)
	s_mov_b32 s12, exec_lo
	v_cmpx_gt_u32_e64 s0, v30
	s_cbranch_execz .LBB1569_224
.LBB1569_197:                           ;   in Loop: Header=BB1569_190 Depth=2
	v_add_co_u32 v4, s13, s10, v1
	s_delay_alu instid0(VALU_DEP_1) | instskip(SKIP_2) | instid1(SALU_CYCLE_1)
	v_add_co_ci_u32_e64 v5, null, s11, 0, s13
	global_load_u8 v7, v[4:5], off offset:512
	s_or_b32 exec_lo, exec_lo, s12
	s_mov_b32 s12, exec_lo
	v_cmpx_gt_u32_e64 s0, v31
	s_cbranch_execnz .LBB1569_225
.LBB1569_198:                           ;   in Loop: Header=BB1569_190 Depth=2
	s_or_b32 exec_lo, exec_lo, s12
	s_delay_alu instid0(SALU_CYCLE_1)
	s_mov_b32 s12, exec_lo
	v_cmpx_gt_u32_e64 s0, v35
	s_cbranch_execz .LBB1569_226
.LBB1569_199:                           ;   in Loop: Header=BB1569_190 Depth=2
	v_add_co_u32 v4, s13, s10, v1
	s_delay_alu instid0(VALU_DEP_1) | instskip(SKIP_2) | instid1(SALU_CYCLE_1)
	v_add_co_ci_u32_e64 v5, null, s11, 0, s13
	global_load_u8 v9, v[4:5], off offset:1024
	s_or_b32 exec_lo, exec_lo, s12
	s_mov_b32 s12, exec_lo
	v_cmpx_gt_u32_e64 s0, v36
	s_cbranch_execnz .LBB1569_227
.LBB1569_200:                           ;   in Loop: Header=BB1569_190 Depth=2
	s_or_b32 exec_lo, exec_lo, s12
	s_delay_alu instid0(SALU_CYCLE_1)
	s_mov_b32 s12, exec_lo
	v_cmpx_gt_u32_e64 s0, v37
	s_cbranch_execz .LBB1569_202
.LBB1569_201:                           ;   in Loop: Header=BB1569_190 Depth=2
	v_add_co_u32 v4, s13, s10, v1
	s_delay_alu instid0(VALU_DEP_1)
	v_add_co_ci_u32_e64 v5, null, s11, 0, s13
	global_load_u8 v11, v[4:5], off offset:1536
.LBB1569_202:                           ;   in Loop: Header=BB1569_190 Depth=2
	s_or_b32 exec_lo, exec_lo, s12
	s_delay_alu instid0(SALU_CYCLE_1)
	s_mov_b32 s13, exec_lo
                                        ; implicit-def: $sgpr12
                                        ; implicit-def: $vgpr4_vgpr5
	v_cmpx_gt_u32_e64 s0, v39
; %bb.203:                              ;   in Loop: Header=BB1569_190 Depth=2
	v_add_co_u32 v4, s10, s10, v1
	s_delay_alu instid0(VALU_DEP_1) | instskip(SKIP_1) | instid1(VALU_DEP_2)
	v_add_co_ci_u32_e64 v5, null, s11, 0, s10
	s_sub_i32 s12, s34, s9
	v_add_co_u32 v4, vcc_lo, 0x700, v4
	s_delay_alu instid0(VALU_DEP_2)
	v_add_co_ci_u32_e32 v5, vcc_lo, 0, v5, vcc_lo
	s_or_b32 s8, s8, exec_lo
                                        ; implicit-def: $vgpr12
; %bb.204:                              ;   in Loop: Header=BB1569_190 Depth=2
	s_or_b32 exec_lo, exec_lo, s13
	s_waitcnt vmcnt(0)
	v_dual_mov_b32 v14, v2 :: v_dual_mov_b32 v17, v8
	v_dual_mov_b32 v15, v6 :: v_dual_mov_b32 v16, v7
	;; [unrolled: 1-line block ×4, first 2 shown]
	s_and_saveexec_b32 s9, s8
	s_cbranch_execz .LBB1569_206
.LBB1569_205:                           ;   in Loop: Header=BB1569_190 Depth=2
	global_load_u8 v12, v[4:5], off
	s_waitcnt vmcnt(1)
	v_dual_mov_b32 v13, s12 :: v_dual_mov_b32 v2, v14
	v_dual_mov_b32 v6, v15 :: v_dual_mov_b32 v7, v16
	;; [unrolled: 1-line block ×4, first 2 shown]
.LBB1569_206:                           ;   in Loop: Header=BB1569_190 Depth=2
	s_or_b32 exec_lo, exec_lo, s9
	s_delay_alu instid0(SALU_CYCLE_1)
	s_mov_b32 s8, exec_lo
	v_cmpx_lt_u32_e64 v1, v13
	s_cbranch_execz .LBB1569_214
; %bb.207:                              ;   in Loop: Header=BB1569_190 Depth=2
	v_xor_b32_e32 v4, -1, v2
	v_lshlrev_b32_e32 v5, 2, v32
	s_delay_alu instid0(VALU_DEP_2) | instskip(NEXT) | instid1(VALU_DEP_1)
	v_and_b32_e32 v4, 1, v4
	v_and_b32_e32 v4, 0xffff, v4
	s_delay_alu instid0(VALU_DEP_1) | instskip(NEXT) | instid1(VALU_DEP_1)
	v_lshrrev_b32_e32 v4, s25, v4
	v_and_b32_e32 v4, s30, v4
	s_delay_alu instid0(VALU_DEP_1) | instskip(SKIP_2) | instid1(SALU_CYCLE_1)
	v_lshl_or_b32 v4, v4, 4, v5
	ds_add_u32 v4, v66
	s_or_b32 exec_lo, exec_lo, s8
	s_mov_b32 s8, exec_lo
	v_cmpx_lt_u32_e64 v29, v13
	s_cbranch_execnz .LBB1569_215
.LBB1569_208:                           ;   in Loop: Header=BB1569_190 Depth=2
	s_or_b32 exec_lo, exec_lo, s8
	s_delay_alu instid0(SALU_CYCLE_1)
	s_mov_b32 s8, exec_lo
	v_cmpx_lt_u32_e64 v30, v13
	s_cbranch_execz .LBB1569_216
.LBB1569_209:                           ;   in Loop: Header=BB1569_190 Depth=2
	v_xor_b32_e32 v4, -1, v7
	v_lshlrev_b32_e32 v5, 2, v32
	s_delay_alu instid0(VALU_DEP_2) | instskip(NEXT) | instid1(VALU_DEP_1)
	v_and_b32_e32 v4, 1, v4
	v_and_b32_e32 v4, 0xffff, v4
	s_delay_alu instid0(VALU_DEP_1) | instskip(NEXT) | instid1(VALU_DEP_1)
	v_lshrrev_b32_e32 v4, s25, v4
	v_and_b32_e32 v4, s30, v4
	s_delay_alu instid0(VALU_DEP_1) | instskip(SKIP_2) | instid1(SALU_CYCLE_1)
	v_lshl_or_b32 v4, v4, 4, v5
	ds_add_u32 v4, v66
	s_or_b32 exec_lo, exec_lo, s8
	s_mov_b32 s8, exec_lo
	v_cmpx_lt_u32_e64 v31, v13
	s_cbranch_execnz .LBB1569_217
.LBB1569_210:                           ;   in Loop: Header=BB1569_190 Depth=2
	s_or_b32 exec_lo, exec_lo, s8
	s_delay_alu instid0(SALU_CYCLE_1)
	s_mov_b32 s8, exec_lo
	v_cmpx_lt_u32_e64 v35, v13
	s_cbranch_execz .LBB1569_218
.LBB1569_211:                           ;   in Loop: Header=BB1569_190 Depth=2
	v_xor_b32_e32 v4, -1, v9
	v_lshlrev_b32_e32 v5, 2, v32
	s_delay_alu instid0(VALU_DEP_2) | instskip(NEXT) | instid1(VALU_DEP_1)
	v_and_b32_e32 v4, 1, v4
	v_and_b32_e32 v4, 0xffff, v4
	s_delay_alu instid0(VALU_DEP_1) | instskip(NEXT) | instid1(VALU_DEP_1)
	v_lshrrev_b32_e32 v4, s25, v4
	v_and_b32_e32 v4, s30, v4
	s_delay_alu instid0(VALU_DEP_1) | instskip(SKIP_2) | instid1(SALU_CYCLE_1)
	v_lshl_or_b32 v4, v4, 4, v5
	ds_add_u32 v4, v66
	s_or_b32 exec_lo, exec_lo, s8
	s_mov_b32 s8, exec_lo
	v_cmpx_lt_u32_e64 v36, v13
	s_cbranch_execnz .LBB1569_219
.LBB1569_212:                           ;   in Loop: Header=BB1569_190 Depth=2
	s_or_b32 exec_lo, exec_lo, s8
	s_delay_alu instid0(SALU_CYCLE_1)
	s_mov_b32 s8, exec_lo
	v_cmpx_lt_u32_e64 v37, v13
	s_cbranch_execz .LBB1569_220
.LBB1569_213:                           ;   in Loop: Header=BB1569_190 Depth=2
	v_xor_b32_e32 v4, -1, v11
	v_lshlrev_b32_e32 v5, 2, v32
	s_delay_alu instid0(VALU_DEP_2) | instskip(NEXT) | instid1(VALU_DEP_1)
	v_and_b32_e32 v4, 1, v4
	v_and_b32_e32 v4, 0xffff, v4
	s_delay_alu instid0(VALU_DEP_1) | instskip(NEXT) | instid1(VALU_DEP_1)
	v_lshrrev_b32_e32 v4, s25, v4
	v_and_b32_e32 v4, s30, v4
	s_delay_alu instid0(VALU_DEP_1) | instskip(SKIP_2) | instid1(SALU_CYCLE_1)
	v_lshl_or_b32 v4, v4, 4, v5
	ds_add_u32 v4, v66
	s_or_b32 exec_lo, exec_lo, s8
	s_mov_b32 s8, exec_lo
	v_cmpx_lt_u32_e64 v39, v13
	s_cbranch_execz .LBB1569_189
	s_branch .LBB1569_221
.LBB1569_214:                           ;   in Loop: Header=BB1569_190 Depth=2
	s_or_b32 exec_lo, exec_lo, s8
	s_delay_alu instid0(SALU_CYCLE_1)
	s_mov_b32 s8, exec_lo
	v_cmpx_lt_u32_e64 v29, v13
	s_cbranch_execz .LBB1569_208
.LBB1569_215:                           ;   in Loop: Header=BB1569_190 Depth=2
	v_xor_b32_e32 v4, -1, v6
	v_lshlrev_b32_e32 v5, 2, v32
	s_delay_alu instid0(VALU_DEP_2) | instskip(NEXT) | instid1(VALU_DEP_1)
	v_and_b32_e32 v4, 1, v4
	v_and_b32_e32 v4, 0xffff, v4
	s_delay_alu instid0(VALU_DEP_1) | instskip(NEXT) | instid1(VALU_DEP_1)
	v_lshrrev_b32_e32 v4, s25, v4
	v_and_b32_e32 v4, s30, v4
	s_delay_alu instid0(VALU_DEP_1) | instskip(SKIP_2) | instid1(SALU_CYCLE_1)
	v_lshl_or_b32 v4, v4, 4, v5
	ds_add_u32 v4, v66
	s_or_b32 exec_lo, exec_lo, s8
	s_mov_b32 s8, exec_lo
	v_cmpx_lt_u32_e64 v30, v13
	s_cbranch_execnz .LBB1569_209
.LBB1569_216:                           ;   in Loop: Header=BB1569_190 Depth=2
	s_or_b32 exec_lo, exec_lo, s8
	s_delay_alu instid0(SALU_CYCLE_1)
	s_mov_b32 s8, exec_lo
	v_cmpx_lt_u32_e64 v31, v13
	s_cbranch_execz .LBB1569_210
.LBB1569_217:                           ;   in Loop: Header=BB1569_190 Depth=2
	v_xor_b32_e32 v4, -1, v8
	v_lshlrev_b32_e32 v5, 2, v32
	s_delay_alu instid0(VALU_DEP_2) | instskip(NEXT) | instid1(VALU_DEP_1)
	v_and_b32_e32 v4, 1, v4
	v_and_b32_e32 v4, 0xffff, v4
	s_delay_alu instid0(VALU_DEP_1) | instskip(NEXT) | instid1(VALU_DEP_1)
	v_lshrrev_b32_e32 v4, s25, v4
	v_and_b32_e32 v4, s30, v4
	s_delay_alu instid0(VALU_DEP_1) | instskip(SKIP_2) | instid1(SALU_CYCLE_1)
	v_lshl_or_b32 v4, v4, 4, v5
	ds_add_u32 v4, v66
	s_or_b32 exec_lo, exec_lo, s8
	s_mov_b32 s8, exec_lo
	v_cmpx_lt_u32_e64 v35, v13
	s_cbranch_execnz .LBB1569_211
.LBB1569_218:                           ;   in Loop: Header=BB1569_190 Depth=2
	s_or_b32 exec_lo, exec_lo, s8
	s_delay_alu instid0(SALU_CYCLE_1)
	s_mov_b32 s8, exec_lo
	v_cmpx_lt_u32_e64 v36, v13
	s_cbranch_execz .LBB1569_212
.LBB1569_219:                           ;   in Loop: Header=BB1569_190 Depth=2
	v_xor_b32_e32 v4, -1, v10
	v_lshlrev_b32_e32 v5, 2, v32
	s_delay_alu instid0(VALU_DEP_2) | instskip(NEXT) | instid1(VALU_DEP_1)
	v_and_b32_e32 v4, 1, v4
	v_and_b32_e32 v4, 0xffff, v4
	s_delay_alu instid0(VALU_DEP_1) | instskip(NEXT) | instid1(VALU_DEP_1)
	v_lshrrev_b32_e32 v4, s25, v4
	v_and_b32_e32 v4, s30, v4
	s_delay_alu instid0(VALU_DEP_1) | instskip(SKIP_2) | instid1(SALU_CYCLE_1)
	v_lshl_or_b32 v4, v4, 4, v5
	ds_add_u32 v4, v66
	s_or_b32 exec_lo, exec_lo, s8
	s_mov_b32 s8, exec_lo
	v_cmpx_lt_u32_e64 v37, v13
	s_cbranch_execnz .LBB1569_213
.LBB1569_220:                           ;   in Loop: Header=BB1569_190 Depth=2
	s_or_b32 exec_lo, exec_lo, s8
	s_delay_alu instid0(SALU_CYCLE_1)
	s_mov_b32 s8, exec_lo
	v_cmpx_lt_u32_e64 v39, v13
	s_cbranch_execz .LBB1569_189
.LBB1569_221:                           ;   in Loop: Header=BB1569_190 Depth=2
	s_waitcnt vmcnt(0)
	v_xor_b32_e32 v4, -1, v12
	v_lshlrev_b32_e32 v5, 2, v32
	s_delay_alu instid0(VALU_DEP_2) | instskip(NEXT) | instid1(VALU_DEP_1)
	v_and_b32_e32 v4, 1, v4
	v_and_b32_e32 v4, 0xffff, v4
	s_delay_alu instid0(VALU_DEP_1) | instskip(NEXT) | instid1(VALU_DEP_1)
	v_lshrrev_b32_e32 v4, s25, v4
	v_and_b32_e32 v4, s30, v4
	s_delay_alu instid0(VALU_DEP_1)
	v_lshl_or_b32 v4, v4, 4, v5
	ds_add_u32 v4, v66
	s_branch .LBB1569_189
.LBB1569_222:                           ;   in Loop: Header=BB1569_190 Depth=2
	s_or_b32 exec_lo, exec_lo, s12
	s_delay_alu instid0(SALU_CYCLE_1)
	s_mov_b32 s12, exec_lo
	v_cmpx_gt_u32_e64 s0, v29
	s_cbranch_execz .LBB1569_196
.LBB1569_223:                           ;   in Loop: Header=BB1569_190 Depth=2
	v_add_co_u32 v4, s13, s10, v1
	s_delay_alu instid0(VALU_DEP_1) | instskip(SKIP_2) | instid1(SALU_CYCLE_1)
	v_add_co_ci_u32_e64 v5, null, s11, 0, s13
	global_load_u8 v6, v[4:5], off offset:256
	s_or_b32 exec_lo, exec_lo, s12
	s_mov_b32 s12, exec_lo
	v_cmpx_gt_u32_e64 s0, v30
	s_cbranch_execnz .LBB1569_197
.LBB1569_224:                           ;   in Loop: Header=BB1569_190 Depth=2
	s_or_b32 exec_lo, exec_lo, s12
	s_delay_alu instid0(SALU_CYCLE_1)
	s_mov_b32 s12, exec_lo
	v_cmpx_gt_u32_e64 s0, v31
	s_cbranch_execz .LBB1569_198
.LBB1569_225:                           ;   in Loop: Header=BB1569_190 Depth=2
	v_add_co_u32 v4, s13, s10, v1
	s_delay_alu instid0(VALU_DEP_1) | instskip(SKIP_2) | instid1(SALU_CYCLE_1)
	v_add_co_ci_u32_e64 v5, null, s11, 0, s13
	global_load_u8 v8, v[4:5], off offset:768
	s_or_b32 exec_lo, exec_lo, s12
	s_mov_b32 s12, exec_lo
	v_cmpx_gt_u32_e64 s0, v35
	s_cbranch_execnz .LBB1569_199
.LBB1569_226:                           ;   in Loop: Header=BB1569_190 Depth=2
	s_or_b32 exec_lo, exec_lo, s12
	s_delay_alu instid0(SALU_CYCLE_1)
	s_mov_b32 s12, exec_lo
	v_cmpx_gt_u32_e64 s0, v36
	s_cbranch_execz .LBB1569_200
.LBB1569_227:                           ;   in Loop: Header=BB1569_190 Depth=2
	v_add_co_u32 v4, s13, s10, v1
	s_delay_alu instid0(VALU_DEP_1) | instskip(SKIP_2) | instid1(SALU_CYCLE_1)
	v_add_co_ci_u32_e64 v5, null, s11, 0, s13
	global_load_u8 v10, v[4:5], off offset:1280
	s_or_b32 exec_lo, exec_lo, s12
	s_mov_b32 s12, exec_lo
	v_cmpx_gt_u32_e64 s0, v37
	s_cbranch_execz .LBB1569_202
	s_branch .LBB1569_201
.LBB1569_228:                           ;   in Loop: Header=BB1569_20 Depth=1
	v_mov_b32_e32 v2, 0
	s_waitcnt vmcnt(0) lgkmcnt(0)
	s_barrier
	buffer_gl0_inv
	s_and_saveexec_b32 s0, s2
	s_cbranch_execz .LBB1569_230
; %bb.229:                              ;   in Loop: Header=BB1569_20 Depth=1
	ds_load_2addr_b64 v[4:7], v40 offset1:1
	s_waitcnt lgkmcnt(0)
	v_add_nc_u32_e32 v2, v5, v4
	s_delay_alu instid0(VALU_DEP_1)
	v_add3_u32 v2, v2, v6, v7
.LBB1569_230:                           ;   in Loop: Header=BB1569_20 Depth=1
	s_or_b32 exec_lo, exec_lo, s0
	v_and_b32_e32 v4, 15, v63
	s_delay_alu instid0(VALU_DEP_2) | instskip(SKIP_1) | instid1(VALU_DEP_3)
	v_mov_b32_dpp v5, v2 row_shr:1 row_mask:0xf bank_mask:0xf
	v_and_b32_e32 v6, 16, v63
	v_cmp_eq_u32_e64 s0, 0, v4
	v_cmp_lt_u32_e64 s1, 1, v4
	v_cmp_lt_u32_e64 s8, 3, v4
	;; [unrolled: 1-line block ×3, first 2 shown]
	v_cmp_eq_u32_e64 s10, 0, v6
	v_cndmask_b32_e64 v5, v5, 0, s0
	s_delay_alu instid0(VALU_DEP_1) | instskip(NEXT) | instid1(VALU_DEP_1)
	v_add_nc_u32_e32 v2, v5, v2
	v_mov_b32_dpp v5, v2 row_shr:2 row_mask:0xf bank_mask:0xf
	s_delay_alu instid0(VALU_DEP_1) | instskip(NEXT) | instid1(VALU_DEP_1)
	v_cndmask_b32_e64 v5, 0, v5, s1
	v_add_nc_u32_e32 v2, v2, v5
	s_delay_alu instid0(VALU_DEP_1) | instskip(NEXT) | instid1(VALU_DEP_1)
	v_mov_b32_dpp v5, v2 row_shr:4 row_mask:0xf bank_mask:0xf
	v_cndmask_b32_e64 v5, 0, v5, s8
	s_delay_alu instid0(VALU_DEP_1) | instskip(NEXT) | instid1(VALU_DEP_1)
	v_add_nc_u32_e32 v2, v2, v5
	v_mov_b32_dpp v5, v2 row_shr:8 row_mask:0xf bank_mask:0xf
	s_delay_alu instid0(VALU_DEP_1) | instskip(SKIP_1) | instid1(VALU_DEP_2)
	v_cndmask_b32_e64 v4, 0, v5, s9
	v_bfe_i32 v5, v63, 4, 1
	v_add_nc_u32_e32 v2, v2, v4
	ds_swizzle_b32 v4, v2 offset:swizzle(BROADCAST,32,15)
	s_waitcnt lgkmcnt(0)
	v_and_b32_e32 v4, v5, v4
	s_delay_alu instid0(VALU_DEP_1)
	v_add_nc_u32_e32 v4, v2, v4
	s_and_saveexec_b32 s11, s3
	s_cbranch_execz .LBB1569_232
; %bb.231:                              ;   in Loop: Header=BB1569_20 Depth=1
	ds_store_b32 v41, v4
.LBB1569_232:                           ;   in Loop: Header=BB1569_20 Depth=1
	s_or_b32 exec_lo, exec_lo, s11
	v_and_b32_e32 v2, 7, v63
	s_waitcnt lgkmcnt(0)
	s_barrier
	buffer_gl0_inv
	s_and_saveexec_b32 s11, s4
	s_cbranch_execz .LBB1569_234
; %bb.233:                              ;   in Loop: Header=BB1569_20 Depth=1
	ds_load_b32 v5, v42
	v_cmp_ne_u32_e32 vcc_lo, 0, v2
	s_waitcnt lgkmcnt(0)
	v_mov_b32_dpp v6, v5 row_shr:1 row_mask:0xf bank_mask:0xf
	s_delay_alu instid0(VALU_DEP_1) | instskip(SKIP_1) | instid1(VALU_DEP_2)
	v_cndmask_b32_e32 v6, 0, v6, vcc_lo
	v_cmp_lt_u32_e32 vcc_lo, 1, v2
	v_add_nc_u32_e32 v5, v6, v5
	s_delay_alu instid0(VALU_DEP_1) | instskip(NEXT) | instid1(VALU_DEP_1)
	v_mov_b32_dpp v6, v5 row_shr:2 row_mask:0xf bank_mask:0xf
	v_cndmask_b32_e32 v6, 0, v6, vcc_lo
	v_cmp_lt_u32_e32 vcc_lo, 3, v2
	s_delay_alu instid0(VALU_DEP_2) | instskip(NEXT) | instid1(VALU_DEP_1)
	v_add_nc_u32_e32 v5, v5, v6
	v_mov_b32_dpp v6, v5 row_shr:4 row_mask:0xf bank_mask:0xf
	s_delay_alu instid0(VALU_DEP_1) | instskip(NEXT) | instid1(VALU_DEP_1)
	v_cndmask_b32_e32 v6, 0, v6, vcc_lo
	v_add_nc_u32_e32 v5, v5, v6
	ds_store_b32 v42, v5
.LBB1569_234:                           ;   in Loop: Header=BB1569_20 Depth=1
	s_or_b32 exec_lo, exec_lo, s11
	v_mov_b32_e32 v5, 0
	s_waitcnt lgkmcnt(0)
	s_barrier
	buffer_gl0_inv
	s_and_saveexec_b32 s11, s5
	s_cbranch_execz .LBB1569_236
; %bb.235:                              ;   in Loop: Header=BB1569_20 Depth=1
	ds_load_b32 v5, v43
.LBB1569_236:                           ;   in Loop: Header=BB1569_20 Depth=1
	s_or_b32 exec_lo, exec_lo, s11
	v_add_nc_u32_e32 v6, -1, v63
	s_waitcnt lgkmcnt(0)
	v_add_nc_u32_e32 v4, v5, v4
	v_cmp_eq_u32_e64 s11, 0, v63
	s_barrier
	v_cmp_gt_i32_e32 vcc_lo, 0, v6
	buffer_gl0_inv
	v_cndmask_b32_e32 v6, v6, v63, vcc_lo
	s_delay_alu instid0(VALU_DEP_1)
	v_lshlrev_b32_e32 v69, 2, v6
	ds_bpermute_b32 v4, v69, v4
	s_and_saveexec_b32 s12, s2
	s_cbranch_execz .LBB1569_238
; %bb.237:                              ;   in Loop: Header=BB1569_20 Depth=1
	s_waitcnt lgkmcnt(0)
	v_cndmask_b32_e64 v4, v4, v5, s11
	s_delay_alu instid0(VALU_DEP_1)
	v_add_nc_u32_e32 v4, s33, v4
	ds_store_b32 v28, v4
.LBB1569_238:                           ;   in Loop: Header=BB1569_20 Depth=1
	s_or_b32 exec_lo, exec_lo, s12
	s_load_b64 s[12:13], s[28:29], 0x0
	v_add_co_u32 v71, vcc_lo, v57, v63
	v_add_co_ci_u32_e32 v72, vcc_lo, 0, v58, vcc_lo
	v_or_b32_e32 v70, v63, v44
	s_mov_b32 s31, s51
	s_mov_b32 s26, s33
                                        ; implicit-def: $vgpr8_vgpr9
                                        ; implicit-def: $vgpr10_vgpr11
                                        ; implicit-def: $vgpr12_vgpr13
                                        ; implicit-def: $vgpr14_vgpr15
                                        ; implicit-def: $vgpr16_vgpr17
                                        ; implicit-def: $vgpr18_vgpr19
                                        ; implicit-def: $vgpr85
                                        ; implicit-def: $vgpr86
                                        ; implicit-def: $vgpr87
                                        ; implicit-def: $vgpr88
                                        ; implicit-def: $vgpr89
                                        ; implicit-def: $vgpr90
                                        ; implicit-def: $vgpr91
                                        ; implicit-def: $vgpr92
	s_delay_alu instid0(VALU_DEP_1)
	v_or_b32_e32 v75, 32, v70
	v_or_b32_e32 v76, 64, v70
	v_or_b32_e32 v77, 0x60, v70
	v_or_b32_e32 v78, 0x80, v70
	v_or_b32_e32 v79, 0xa0, v70
	v_or_b32_e32 v80, 0xc0, v70
	v_or_b32_e32 v81, 0xe0, v70
	s_waitcnt lgkmcnt(0)
	s_cmp_lt_u32 s15, s13
	s_cselect_b32 s13, 14, 20
	s_delay_alu instid0(SALU_CYCLE_1) | instskip(SKIP_4) | instid1(SALU_CYCLE_1)
	s_add_u32 s16, s28, s13
	s_addc_u32 s17, s29, 0
	s_cmp_lt_u32 s14, s12
	global_load_u16 v4, v3, s[16:17]
	s_cselect_b32 s12, 12, 18
	s_add_u32 s12, s28, s12
	s_addc_u32 s13, s29, 0
	global_load_u16 v6, v3, s[12:13]
	v_cmp_eq_u32_e64 s12, 0, v2
	v_cmp_lt_u32_e64 s13, 1, v2
	v_cmp_lt_u32_e64 s16, 3, v2
	v_lshlrev_b32_e32 v2, 3, v63
	s_delay_alu instid0(VALU_DEP_1)
	v_add_co_u32 v73, vcc_lo, v55, v2
	v_add_co_ci_u32_e32 v74, vcc_lo, 0, v56, vcc_lo
	v_add_co_u32 v83, vcc_lo, 0xe0, v71
	v_add_co_ci_u32_e32 v84, vcc_lo, 0, v72, vcc_lo
	s_waitcnt vmcnt(1)
	v_mad_u32_u24 v7, v45, v4, v0
	s_waitcnt vmcnt(0)
	s_delay_alu instid0(VALU_DEP_1) | instskip(NEXT) | instid1(VALU_DEP_1)
	v_mad_u64_u32 v[4:5], null, v7, v6, v[1:2]
                                        ; implicit-def: $vgpr6_vgpr7
	v_lshrrev_b32_e32 v82, 5, v4
                                        ; implicit-def: $vgpr4_vgpr5
	s_branch .LBB1569_240
.LBB1569_239:                           ;   in Loop: Header=BB1569_240 Depth=2
	s_or_b32 exec_lo, exec_lo, s17
	s_addk_i32 s31, 0xf800
	s_cmp_lt_u32 s42, s34
	s_mov_b32 s26, s42
	s_cbranch_scc0 .LBB1569_352
.LBB1569_240:                           ;   Parent Loop BB1569_20 Depth=1
                                        ; =>  This Inner Loop Header: Depth=2
	s_add_i32 s42, s26, 0x800
	s_delay_alu instid0(SALU_CYCLE_1)
	s_cmp_gt_u32 s42, s34
	s_cbranch_scc1 .LBB1569_242
; %bb.241:                              ;   in Loop: Header=BB1569_240 Depth=2
	v_add_co_u32 v20, vcc_lo, v71, s26
	v_add_co_ci_u32_e32 v21, vcc_lo, 0, v72, vcc_lo
	s_mov_b32 s19, 0
	s_mov_b32 s18, s26
	s_mov_b32 s20, -1
	s_clause 0x6
	global_load_u8 v2, v[20:21], off offset:32
	global_load_u8 v22, v[20:21], off offset:96
	;; [unrolled: 1-line block ×3, first 2 shown]
	global_load_u8 v24, v[20:21], off
	global_load_u8 v25, v[20:21], off offset:64
	global_load_u8 v26, v[20:21], off offset:128
	;; [unrolled: 1-line block ×3, first 2 shown]
	s_movk_i32 s17, 0x800
	s_waitcnt vmcnt(6)
	v_lshlrev_b16 v2, 8, v2
	s_waitcnt vmcnt(5)
	v_lshlrev_b16 v20, 8, v22
	;; [unrolled: 2-line block ×3, first 2 shown]
	s_waitcnt vmcnt(3)
	v_or_b32_e32 v2, v24, v2
	s_waitcnt vmcnt(2)
	v_or_b32_e32 v20, v25, v20
	;; [unrolled: 2-line block ×3, first 2 shown]
	v_and_b32_e32 v2, 0xffff, v2
	s_delay_alu instid0(VALU_DEP_3) | instskip(NEXT) | instid1(VALU_DEP_3)
	v_lshlrev_b32_e32 v20, 16, v20
	v_and_b32_e32 v22, 0xffff, v22
	s_delay_alu instid0(VALU_DEP_2) | instskip(SKIP_1) | instid1(VALU_DEP_2)
	v_or_b32_e32 v20, v2, v20
	s_waitcnt vmcnt(0)
	v_lshl_or_b32 v21, v21, 16, v22
	s_cbranch_execz .LBB1569_243
	s_branch .LBB1569_252
.LBB1569_242:                           ;   in Loop: Header=BB1569_240 Depth=2
	s_mov_b32 s19, -1
	s_mov_b32 s20, 0
                                        ; implicit-def: $sgpr17
                                        ; implicit-def: $vgpr20_vgpr21
.LBB1569_243:                           ;   in Loop: Header=BB1569_240 Depth=2
	v_add_co_u32 v22, vcc_lo, v71, s26
	s_mov_b32 s18, s27
	s_mov_b32 s19, s27
	v_add_co_ci_u32_e32 v23, vcc_lo, 0, v72, vcc_lo
	v_dual_mov_b32 v21, s19 :: v_dual_mov_b32 v20, s18
	s_mov_b32 s17, exec_lo
	v_cmpx_gt_u32_e64 s31, v70
	s_cbranch_execz .LBB1569_346
; %bb.244:                              ;   in Loop: Header=BB1569_240 Depth=2
	global_load_u8 v2, v[22:23], off
	s_waitcnt vmcnt(0)
	v_dual_mov_b32 v21, s27 :: v_dual_and_b32 v20, 0xffff, v2
	s_or_b32 exec_lo, exec_lo, s17
	s_delay_alu instid0(SALU_CYCLE_1)
	s_mov_b32 s17, exec_lo
	v_cmpx_gt_u32_e64 s31, v75
	s_cbranch_execnz .LBB1569_347
.LBB1569_245:                           ;   in Loop: Header=BB1569_240 Depth=2
	s_or_b32 exec_lo, exec_lo, s17
	s_delay_alu instid0(SALU_CYCLE_1)
	s_mov_b32 s17, exec_lo
	v_cmpx_gt_u32_e64 s31, v76
	s_cbranch_execz .LBB1569_348
.LBB1569_246:                           ;   in Loop: Header=BB1569_240 Depth=2
	global_load_u8 v2, v[22:23], off offset:64
	v_lshrrev_b32_e32 v24, 16, v20
	s_delay_alu instid0(VALU_DEP_1) | instskip(SKIP_1) | instid1(VALU_DEP_1)
	v_and_b32_e32 v24, 0xffffff00, v24
	s_waitcnt vmcnt(0)
	v_or_b32_e32 v2, v2, v24
	s_delay_alu instid0(VALU_DEP_1) | instskip(NEXT) | instid1(VALU_DEP_1)
	v_lshlrev_b32_e32 v2, 16, v2
	v_and_or_b32 v20, 0xffff, v20, v2
	s_or_b32 exec_lo, exec_lo, s17
	s_delay_alu instid0(SALU_CYCLE_1)
	s_mov_b32 s17, exec_lo
	v_cmpx_gt_u32_e64 s31, v77
	s_cbranch_execnz .LBB1569_349
.LBB1569_247:                           ;   in Loop: Header=BB1569_240 Depth=2
	s_or_b32 exec_lo, exec_lo, s17
	s_delay_alu instid0(SALU_CYCLE_1)
	s_mov_b32 s17, exec_lo
	v_cmpx_gt_u32_e64 s31, v78
	s_cbranch_execz .LBB1569_350
.LBB1569_248:                           ;   in Loop: Header=BB1569_240 Depth=2
	global_load_u8 v2, v[22:23], off offset:128
	s_waitcnt vmcnt(0)
	v_perm_b32 v21, v2, v21, 0x3020104
	s_or_b32 exec_lo, exec_lo, s17
	s_delay_alu instid0(SALU_CYCLE_1)
	s_mov_b32 s17, exec_lo
	v_cmpx_gt_u32_e64 s31, v79
	s_cbranch_execnz .LBB1569_351
.LBB1569_249:                           ;   in Loop: Header=BB1569_240 Depth=2
	s_or_b32 exec_lo, exec_lo, s17
	s_delay_alu instid0(SALU_CYCLE_1)
	s_mov_b32 s17, exec_lo
	v_cmpx_gt_u32_e64 s31, v80
	s_cbranch_execz .LBB1569_251
.LBB1569_250:                           ;   in Loop: Header=BB1569_240 Depth=2
	global_load_u8 v2, v[22:23], off offset:192
	s_waitcnt vmcnt(0)
	v_perm_b32 v21, v21, v2, 0x7000504
.LBB1569_251:                           ;   in Loop: Header=BB1569_240 Depth=2
	s_or_b32 exec_lo, exec_lo, s17
	v_cmp_gt_u32_e64 s20, s31, v81
	s_sub_i32 s17, s34, s26
	s_mov_b64 s[18:19], s[26:27]
.LBB1569_252:                           ;   in Loop: Header=BB1569_240 Depth=2
	v_mov_b32_e32 v2, s31
	s_delay_alu instid0(VALU_DEP_2)
	s_and_saveexec_b32 s21, s20
	s_cbranch_execz .LBB1569_254
; %bb.253:                              ;   in Loop: Header=BB1569_240 Depth=2
	v_add_co_u32 v22, vcc_lo, v83, s18
	v_add_co_ci_u32_e32 v23, vcc_lo, s19, v84, vcc_lo
	global_load_u8 v2, v[22:23], off
	s_waitcnt vmcnt(0)
	v_perm_b32 v21, v21, v2, 0x60504
	v_mov_b32_e32 v2, s17
.LBB1569_254:                           ;   in Loop: Header=BB1569_240 Depth=2
	s_or_b32 exec_lo, exec_lo, s21
	v_and_b32_e32 v22, 1, v20
	v_lshrrev_b16 v25, 8, v20
	v_and_b32_e32 v95, 0x10000, v20
	v_and_b32_e32 v94, 0x10000, v21
	v_lshrrev_b16 v26, 8, v21
	v_cmp_eq_u32_e32 vcc_lo, 1, v22
	v_and_b32_e32 v27, 0x1000000, v21
	v_and_b32_e32 v21, 1, v21
	v_cmp_ne_u32_e64 s21, 0, v95
	ds_store_b32 v46, v3 offset:1056
	s_xor_b32 s17, vcc_lo, -1
	ds_store_2addr_b32 v47, v3, v3 offset0:1 offset1:2
	ds_store_2addr_b32 v47, v3, v3 offset0:3 offset1:4
	;; [unrolled: 1-line block ×4, first 2 shown]
	v_cndmask_b32_e64 v93, 0, 1, s17
	v_cmp_eq_u32_e64 s19, 1, v21
	s_waitcnt lgkmcnt(0)
	s_barrier
	buffer_gl0_inv
	v_lshrrev_b32_e32 v22, s25, v93
	; wave barrier
	s_delay_alu instid0(VALU_DEP_1) | instskip(NEXT) | instid1(VALU_DEP_1)
	v_and_b32_e32 v22, s30, v22
	v_add_co_u32 v23, s17, v22, -1
	s_delay_alu instid0(VALU_DEP_1) | instskip(SKIP_2) | instid1(VALU_DEP_3)
	v_cndmask_b32_e64 v24, 0, 1, s17
	v_cmp_ne_u32_e64 s17, 0, v94
	v_mad_u32_u24 v21, v22, 9, v82
	v_cmp_ne_u32_e32 vcc_lo, 0, v24
	v_and_b32_e32 v24, 0x1000000, v20
	s_delay_alu instid0(VALU_DEP_3)
	v_lshl_add_u32 v96, v21, 2, 0x420
	v_xor_b32_e32 v20, vcc_lo, v23
	v_and_b32_e32 v23, 1, v25
	v_and_b32_e32 v25, 1, v26
	v_cmp_ne_u32_e32 vcc_lo, 0, v27
	v_cmp_ne_u32_e64 s20, 0, v24
	v_and_b32_e32 v20, exec_lo, v20
	v_cmp_eq_u32_e64 s22, 1, v23
	v_cmp_eq_u32_e64 s18, 1, v25
	s_delay_alu instid0(VALU_DEP_3) | instskip(SKIP_1) | instid1(VALU_DEP_2)
	v_mbcnt_lo_u32_b32 v94, v20, 0
	v_cmp_ne_u32_e64 s24, 0, v20
	v_cmp_eq_u32_e64 s23, 0, v94
	s_delay_alu instid0(VALU_DEP_1) | instskip(NEXT) | instid1(SALU_CYCLE_1)
	s_and_b32 s24, s24, s23
	s_and_saveexec_b32 s23, s24
	s_cbranch_execz .LBB1569_256
; %bb.255:                              ;   in Loop: Header=BB1569_240 Depth=2
	v_bcnt_u32_b32 v20, v20, 0
	ds_store_b32 v96, v20
.LBB1569_256:                           ;   in Loop: Header=BB1569_240 Depth=2
	s_or_b32 exec_lo, exec_lo, s23
	s_xor_b32 s22, s22, -1
	s_delay_alu instid0(SALU_CYCLE_1) | instskip(NEXT) | instid1(VALU_DEP_1)
	v_cndmask_b32_e64 v95, 0, 1, s22
	; wave barrier
	v_lshrrev_b32_e32 v20, s25, v95
	s_delay_alu instid0(VALU_DEP_1) | instskip(NEXT) | instid1(VALU_DEP_1)
	v_and_b32_e32 v20, s30, v20
	v_add_co_u32 v21, s22, v20, -1
	s_delay_alu instid0(VALU_DEP_1) | instskip(SKIP_1) | instid1(VALU_DEP_2)
	v_cndmask_b32_e64 v22, 0, 1, s22
	v_mul_u32_u24_e32 v20, 9, v20
	v_cmp_ne_u32_e64 s22, 0, v22
	s_delay_alu instid0(VALU_DEP_2) | instskip(NEXT) | instid1(VALU_DEP_2)
	v_add_lshl_u32 v22, v20, v82, 2
	v_xor_b32_e32 v20, s22, v21
	ds_load_b32 v97, v22 offset:1056
	v_add_nc_u32_e32 v100, 0x420, v22
	; wave barrier
	v_and_b32_e32 v20, exec_lo, v20
	s_delay_alu instid0(VALU_DEP_1) | instskip(SKIP_1) | instid1(VALU_DEP_2)
	v_mbcnt_lo_u32_b32 v98, v20, 0
	v_cmp_ne_u32_e64 s23, 0, v20
	v_cmp_eq_u32_e64 s22, 0, v98
	s_delay_alu instid0(VALU_DEP_1) | instskip(NEXT) | instid1(SALU_CYCLE_1)
	s_and_b32 s23, s23, s22
	s_and_saveexec_b32 s22, s23
	s_cbranch_execz .LBB1569_258
; %bb.257:                              ;   in Loop: Header=BB1569_240 Depth=2
	s_waitcnt lgkmcnt(0)
	v_bcnt_u32_b32 v20, v20, v97
	ds_store_b32 v100, v20
.LBB1569_258:                           ;   in Loop: Header=BB1569_240 Depth=2
	s_or_b32 exec_lo, exec_lo, s22
	s_xor_b32 s21, s21, -1
	s_delay_alu instid0(SALU_CYCLE_1) | instskip(NEXT) | instid1(VALU_DEP_1)
	v_cndmask_b32_e64 v99, 0, 1, s21
	; wave barrier
	v_lshrrev_b32_e32 v20, s25, v99
	s_delay_alu instid0(VALU_DEP_1) | instskip(NEXT) | instid1(VALU_DEP_1)
	v_and_b32_e32 v20, s30, v20
	v_add_co_u32 v21, s21, v20, -1
	s_delay_alu instid0(VALU_DEP_1) | instskip(SKIP_1) | instid1(VALU_DEP_2)
	v_cndmask_b32_e64 v22, 0, 1, s21
	v_mul_u32_u24_e32 v20, 9, v20
	v_cmp_ne_u32_e64 s21, 0, v22
	s_delay_alu instid0(VALU_DEP_2) | instskip(NEXT) | instid1(VALU_DEP_2)
	v_add_lshl_u32 v22, v20, v82, 2
	v_xor_b32_e32 v20, s21, v21
	ds_load_b32 v101, v22 offset:1056
	v_add_nc_u32_e32 v105, 0x420, v22
	; wave barrier
	v_and_b32_e32 v20, exec_lo, v20
	s_delay_alu instid0(VALU_DEP_1) | instskip(SKIP_1) | instid1(VALU_DEP_2)
	v_mbcnt_lo_u32_b32 v102, v20, 0
	v_cmp_ne_u32_e64 s22, 0, v20
	v_cmp_eq_u32_e64 s21, 0, v102
	s_delay_alu instid0(VALU_DEP_1) | instskip(NEXT) | instid1(SALU_CYCLE_1)
	s_and_b32 s22, s22, s21
	s_and_saveexec_b32 s21, s22
	s_cbranch_execz .LBB1569_260
; %bb.259:                              ;   in Loop: Header=BB1569_240 Depth=2
	s_waitcnt lgkmcnt(0)
	v_bcnt_u32_b32 v20, v20, v101
	ds_store_b32 v105, v20
.LBB1569_260:                           ;   in Loop: Header=BB1569_240 Depth=2
	;; [unrolled: 33-line block ×6, first 2 shown]
	s_or_b32 exec_lo, exec_lo, s17
	s_xor_b32 s17, vcc_lo, -1
	s_delay_alu instid0(SALU_CYCLE_1) | instskip(NEXT) | instid1(VALU_DEP_1)
	v_cndmask_b32_e64 v119, 0, 1, s17
	; wave barrier
	v_lshrrev_b32_e32 v20, s25, v119
	s_delay_alu instid0(VALU_DEP_1) | instskip(NEXT) | instid1(VALU_DEP_1)
	v_and_b32_e32 v20, s30, v20
	v_add_co_u32 v21, s17, v20, -1
	s_delay_alu instid0(VALU_DEP_1) | instskip(SKIP_1) | instid1(VALU_DEP_2)
	v_cndmask_b32_e64 v22, 0, 1, s17
	v_mul_u32_u24_e32 v20, 9, v20
	v_cmp_ne_u32_e32 vcc_lo, 0, v22
	s_delay_alu instid0(VALU_DEP_2) | instskip(SKIP_4) | instid1(VALU_DEP_1)
	v_add_lshl_u32 v22, v20, v82, 2
	v_xor_b32_e32 v20, vcc_lo, v21
	ds_load_b32 v120, v22 offset:1056
	v_add_nc_u32_e32 v123, 0x420, v22
	; wave barrier
	v_and_b32_e32 v20, exec_lo, v20
	v_mbcnt_lo_u32_b32 v122, v20, 0
	v_cmp_ne_u32_e64 s17, 0, v20
	s_delay_alu instid0(VALU_DEP_2) | instskip(NEXT) | instid1(VALU_DEP_2)
	v_cmp_eq_u32_e32 vcc_lo, 0, v122
	s_and_b32 s18, s17, vcc_lo
	s_delay_alu instid0(SALU_CYCLE_1)
	s_and_saveexec_b32 s17, s18
	s_cbranch_execz .LBB1569_270
; %bb.269:                              ;   in Loop: Header=BB1569_240 Depth=2
	s_waitcnt lgkmcnt(0)
	v_bcnt_u32_b32 v20, v20, v120
	ds_store_b32 v123, v20
.LBB1569_270:                           ;   in Loop: Header=BB1569_240 Depth=2
	s_or_b32 exec_lo, exec_lo, s17
	; wave barrier
	s_waitcnt lgkmcnt(0)
	s_barrier
	buffer_gl0_inv
	ds_load_b32 v124, v46 offset:1056
	ds_load_2addr_b32 v[26:27], v47 offset0:1 offset1:2
	ds_load_2addr_b32 v[24:25], v47 offset0:3 offset1:4
	;; [unrolled: 1-line block ×4, first 2 shown]
	s_waitcnt lgkmcnt(3)
	v_add3_u32 v125, v26, v124, v27
	s_waitcnt lgkmcnt(2)
	s_delay_alu instid0(VALU_DEP_1) | instskip(SKIP_1) | instid1(VALU_DEP_1)
	v_add3_u32 v125, v125, v24, v25
	s_waitcnt lgkmcnt(1)
	v_add3_u32 v125, v125, v20, v21
	s_waitcnt lgkmcnt(0)
	s_delay_alu instid0(VALU_DEP_1) | instskip(NEXT) | instid1(VALU_DEP_1)
	v_add3_u32 v23, v125, v22, v23
	v_mov_b32_dpp v125, v23 row_shr:1 row_mask:0xf bank_mask:0xf
	s_delay_alu instid0(VALU_DEP_1) | instskip(NEXT) | instid1(VALU_DEP_1)
	v_cndmask_b32_e64 v125, v125, 0, s0
	v_add_nc_u32_e32 v23, v125, v23
	s_delay_alu instid0(VALU_DEP_1) | instskip(NEXT) | instid1(VALU_DEP_1)
	v_mov_b32_dpp v125, v23 row_shr:2 row_mask:0xf bank_mask:0xf
	v_cndmask_b32_e64 v125, 0, v125, s1
	s_delay_alu instid0(VALU_DEP_1) | instskip(NEXT) | instid1(VALU_DEP_1)
	v_add_nc_u32_e32 v23, v23, v125
	v_mov_b32_dpp v125, v23 row_shr:4 row_mask:0xf bank_mask:0xf
	s_delay_alu instid0(VALU_DEP_1) | instskip(NEXT) | instid1(VALU_DEP_1)
	v_cndmask_b32_e64 v125, 0, v125, s8
	v_add_nc_u32_e32 v23, v23, v125
	s_delay_alu instid0(VALU_DEP_1) | instskip(NEXT) | instid1(VALU_DEP_1)
	v_mov_b32_dpp v125, v23 row_shr:8 row_mask:0xf bank_mask:0xf
	v_cndmask_b32_e64 v125, 0, v125, s9
	s_delay_alu instid0(VALU_DEP_1) | instskip(SKIP_3) | instid1(VALU_DEP_1)
	v_add_nc_u32_e32 v23, v23, v125
	ds_swizzle_b32 v125, v23 offset:swizzle(BROADCAST,32,15)
	s_waitcnt lgkmcnt(0)
	v_cndmask_b32_e64 v125, v125, 0, s10
	v_add_nc_u32_e32 v23, v23, v125
	s_and_saveexec_b32 s17, s3
	s_cbranch_execz .LBB1569_272
; %bb.271:                              ;   in Loop: Header=BB1569_240 Depth=2
	ds_store_b32 v38, v23 offset:1024
.LBB1569_272:                           ;   in Loop: Header=BB1569_240 Depth=2
	s_or_b32 exec_lo, exec_lo, s17
	s_waitcnt lgkmcnt(0)
	s_barrier
	buffer_gl0_inv
	s_and_saveexec_b32 s17, s4
	s_cbranch_execz .LBB1569_274
; %bb.273:                              ;   in Loop: Header=BB1569_240 Depth=2
	v_add_nc_u32_e32 v125, v46, v48
	ds_load_b32 v126, v125 offset:1024
	s_waitcnt lgkmcnt(0)
	v_mov_b32_dpp v127, v126 row_shr:1 row_mask:0xf bank_mask:0xf
	s_delay_alu instid0(VALU_DEP_1) | instskip(NEXT) | instid1(VALU_DEP_1)
	v_cndmask_b32_e64 v127, v127, 0, s12
	v_add_nc_u32_e32 v126, v127, v126
	s_delay_alu instid0(VALU_DEP_1) | instskip(NEXT) | instid1(VALU_DEP_1)
	v_mov_b32_dpp v127, v126 row_shr:2 row_mask:0xf bank_mask:0xf
	v_cndmask_b32_e64 v127, 0, v127, s13
	s_delay_alu instid0(VALU_DEP_1) | instskip(NEXT) | instid1(VALU_DEP_1)
	v_add_nc_u32_e32 v126, v126, v127
	v_mov_b32_dpp v127, v126 row_shr:4 row_mask:0xf bank_mask:0xf
	s_delay_alu instid0(VALU_DEP_1) | instskip(NEXT) | instid1(VALU_DEP_1)
	v_cndmask_b32_e64 v127, 0, v127, s16
	v_add_nc_u32_e32 v126, v126, v127
	ds_store_b32 v125, v126 offset:1024
.LBB1569_274:                           ;   in Loop: Header=BB1569_240 Depth=2
	s_or_b32 exec_lo, exec_lo, s17
	v_mov_b32_e32 v125, 0
	s_waitcnt lgkmcnt(0)
	s_barrier
	buffer_gl0_inv
	s_and_saveexec_b32 s17, s5
	s_cbranch_execz .LBB1569_276
; %bb.275:                              ;   in Loop: Header=BB1569_240 Depth=2
	ds_load_b32 v125, v38 offset:1020
.LBB1569_276:                           ;   in Loop: Header=BB1569_240 Depth=2
	s_or_b32 exec_lo, exec_lo, s17
	s_waitcnt lgkmcnt(0)
	v_add_nc_u32_e32 v23, v125, v23
	ds_bpermute_b32 v23, v69, v23
	s_waitcnt lgkmcnt(0)
	v_cndmask_b32_e64 v23, v23, v125, s11
	s_delay_alu instid0(VALU_DEP_1) | instskip(NEXT) | instid1(VALU_DEP_1)
	v_cndmask_b32_e64 v23, v23, 0, s6
	v_add_nc_u32_e32 v124, v23, v124
	s_delay_alu instid0(VALU_DEP_1) | instskip(NEXT) | instid1(VALU_DEP_1)
	v_add_nc_u32_e32 v26, v124, v26
	v_add_nc_u32_e32 v27, v26, v27
	s_delay_alu instid0(VALU_DEP_1) | instskip(NEXT) | instid1(VALU_DEP_1)
	v_add_nc_u32_e32 v24, v27, v24
	;; [unrolled: 3-line block ×3, first 2 shown]
	v_add_nc_u32_e32 v21, v20, v21
	s_delay_alu instid0(VALU_DEP_1)
	v_add_nc_u32_e32 v22, v21, v22
	ds_store_b32 v46, v23 offset:1056
	ds_store_2addr_b32 v47, v124, v26 offset0:1 offset1:2
	ds_store_2addr_b32 v47, v27, v24 offset0:3 offset1:4
	;; [unrolled: 1-line block ×4, first 2 shown]
	v_mov_b32_e32 v22, 0x800
	s_waitcnt lgkmcnt(0)
	s_barrier
	buffer_gl0_inv
	ds_load_b32 v20, v100
	ds_load_b32 v21, v105
	;; [unrolled: 1-line block ×8, first 2 shown]
	ds_load_b32 v27, v46 offset:1056
	s_and_saveexec_b32 s17, s7
	s_cbranch_execz .LBB1569_278
; %bb.277:                              ;   in Loop: Header=BB1569_240 Depth=2
	ds_load_b32 v22, v49 offset:1056
.LBB1569_278:                           ;   in Loop: Header=BB1569_240 Depth=2
	s_or_b32 exec_lo, exec_lo, s17
	s_waitcnt lgkmcnt(0)
	s_barrier
	buffer_gl0_inv
	s_and_saveexec_b32 s17, s2
	s_cbranch_execz .LBB1569_280
; %bb.279:                              ;   in Loop: Header=BB1569_240 Depth=2
	ds_load_b32 v96, v28
	s_waitcnt lgkmcnt(0)
	v_sub_nc_u32_e32 v27, v96, v27
	ds_store_b32 v28, v27
.LBB1569_280:                           ;   in Loop: Header=BB1569_240 Depth=2
	s_or_b32 exec_lo, exec_lo, s17
	v_add_nc_u32_e32 v100, v26, v94
	v_add3_u32 v96, v98, v97, v20
	v_add3_u32 v94, v102, v101, v21
	;; [unrolled: 1-line block ×7, first 2 shown]
	v_cmp_lt_u32_e64 s22, v1, v2
	ds_store_b8 v100, v93 offset:1024
	ds_store_b8 v96, v95 offset:1024
	ds_store_b8 v94, v99 offset:1024
	ds_store_b8 v27, v103 offset:1024
	ds_store_b8 v26, v107 offset:1024
	ds_store_b8 v25, v111 offset:1024
	ds_store_b8 v24, v115 offset:1024
	ds_store_b8 v23, v119 offset:1024
	s_waitcnt lgkmcnt(0)
	s_barrier
	buffer_gl0_inv
	s_and_saveexec_b32 s17, s22
	s_cbranch_execz .LBB1569_288
; %bb.281:                              ;   in Loop: Header=BB1569_240 Depth=2
	ds_load_u8 v20, v1 offset:1024
	s_waitcnt lgkmcnt(0)
	v_and_b32_e32 v21, 1, v20
	v_xor_b32_e32 v20, 1, v20
	s_delay_alu instid0(VALU_DEP_2) | instskip(NEXT) | instid1(VALU_DEP_1)
	v_lshrrev_b32_e32 v21, s25, v21
	v_and_b32_e32 v21, s30, v21
	s_delay_alu instid0(VALU_DEP_1)
	v_lshlrev_b32_e32 v21, 2, v21
	ds_load_b32 v21, v21
	s_waitcnt lgkmcnt(0)
	v_add_nc_u32_e32 v21, v21, v1
	global_store_b8 v21, v20, s[40:41]
	s_or_b32 exec_lo, exec_lo, s17
	v_cmp_lt_u32_e64 s23, v29, v2
	s_delay_alu instid0(VALU_DEP_1)
	s_and_saveexec_b32 s17, s23
	s_cbranch_execnz .LBB1569_289
.LBB1569_282:                           ;   in Loop: Header=BB1569_240 Depth=2
	s_or_b32 exec_lo, exec_lo, s17
	v_cmp_lt_u32_e64 s21, v30, v2
	s_delay_alu instid0(VALU_DEP_1)
	s_and_saveexec_b32 s17, s21
	s_cbranch_execz .LBB1569_290
.LBB1569_283:                           ;   in Loop: Header=BB1569_240 Depth=2
	ds_load_u8 v20, v35 offset:512
	s_waitcnt lgkmcnt(0)
	v_and_b32_e32 v21, 1, v20
	v_xor_b32_e32 v20, 1, v20
	s_delay_alu instid0(VALU_DEP_2) | instskip(NEXT) | instid1(VALU_DEP_1)
	v_lshrrev_b32_e32 v21, s25, v21
	v_and_b32_e32 v21, s30, v21
	s_delay_alu instid0(VALU_DEP_1)
	v_lshlrev_b32_e32 v21, 2, v21
	ds_load_b32 v21, v21
	s_waitcnt lgkmcnt(0)
	v_add_nc_u32_e32 v21, v21, v30
	global_store_b8 v21, v20, s[40:41]
	s_or_b32 exec_lo, exec_lo, s17
	v_cmp_lt_u32_e64 s20, v31, v2
	s_delay_alu instid0(VALU_DEP_1)
	s_and_saveexec_b32 s17, s20
	s_cbranch_execnz .LBB1569_291
.LBB1569_284:                           ;   in Loop: Header=BB1569_240 Depth=2
	s_or_b32 exec_lo, exec_lo, s17
	v_cmp_lt_u32_e64 s19, v35, v2
	s_delay_alu instid0(VALU_DEP_1)
	s_and_saveexec_b32 s17, s19
	s_cbranch_execz .LBB1569_292
.LBB1569_285:                           ;   in Loop: Header=BB1569_240 Depth=2
	ds_load_u8 v20, v35 offset:1024
	s_waitcnt lgkmcnt(0)
	v_and_b32_e32 v21, 1, v20
	v_xor_b32_e32 v20, 1, v20
	s_delay_alu instid0(VALU_DEP_2) | instskip(NEXT) | instid1(VALU_DEP_1)
	v_lshrrev_b32_e32 v21, s25, v21
	v_and_b32_e32 v21, s30, v21
	s_delay_alu instid0(VALU_DEP_1)
	v_lshlrev_b32_e32 v21, 2, v21
	ds_load_b32 v21, v21
	s_waitcnt lgkmcnt(0)
	v_add_nc_u32_e32 v21, v21, v35
	global_store_b8 v21, v20, s[40:41]
	s_or_b32 exec_lo, exec_lo, s17
	v_cmp_lt_u32_e64 s18, v36, v2
	s_delay_alu instid0(VALU_DEP_1)
	s_and_saveexec_b32 s17, s18
	s_cbranch_execnz .LBB1569_293
.LBB1569_286:                           ;   in Loop: Header=BB1569_240 Depth=2
	s_or_b32 exec_lo, exec_lo, s17
	v_cmp_lt_u32_e64 s17, v37, v2
	s_delay_alu instid0(VALU_DEP_1)
	s_and_saveexec_b32 s24, s17
	s_cbranch_execz .LBB1569_294
.LBB1569_287:                           ;   in Loop: Header=BB1569_240 Depth=2
	ds_load_u8 v20, v35 offset:1536
	s_waitcnt lgkmcnt(0)
	v_and_b32_e32 v21, 1, v20
	v_xor_b32_e32 v20, 1, v20
	s_delay_alu instid0(VALU_DEP_2) | instskip(NEXT) | instid1(VALU_DEP_1)
	v_lshrrev_b32_e32 v21, s25, v21
	v_and_b32_e32 v21, s30, v21
	s_delay_alu instid0(VALU_DEP_1)
	v_lshlrev_b32_e32 v21, 2, v21
	ds_load_b32 v21, v21
	s_waitcnt lgkmcnt(0)
	v_add_nc_u32_e32 v21, v21, v37
	global_store_b8 v21, v20, s[40:41]
	s_or_b32 exec_lo, exec_lo, s24
	v_cmp_lt_u32_e32 vcc_lo, v39, v2
	s_and_saveexec_b32 s24, vcc_lo
	s_cbranch_execnz .LBB1569_295
	s_branch .LBB1569_296
.LBB1569_288:                           ;   in Loop: Header=BB1569_240 Depth=2
	s_or_b32 exec_lo, exec_lo, s17
	v_cmp_lt_u32_e64 s23, v29, v2
	s_delay_alu instid0(VALU_DEP_1)
	s_and_saveexec_b32 s17, s23
	s_cbranch_execz .LBB1569_282
.LBB1569_289:                           ;   in Loop: Header=BB1569_240 Depth=2
	ds_load_u8 v20, v35 offset:256
	s_waitcnt lgkmcnt(0)
	v_and_b32_e32 v21, 1, v20
	v_xor_b32_e32 v20, 1, v20
	s_delay_alu instid0(VALU_DEP_2) | instskip(NEXT) | instid1(VALU_DEP_1)
	v_lshrrev_b32_e32 v21, s25, v21
	v_and_b32_e32 v21, s30, v21
	s_delay_alu instid0(VALU_DEP_1)
	v_lshlrev_b32_e32 v21, 2, v21
	ds_load_b32 v21, v21
	s_waitcnt lgkmcnt(0)
	v_add_nc_u32_e32 v21, v21, v29
	global_store_b8 v21, v20, s[40:41]
	s_or_b32 exec_lo, exec_lo, s17
	v_cmp_lt_u32_e64 s21, v30, v2
	s_delay_alu instid0(VALU_DEP_1)
	s_and_saveexec_b32 s17, s21
	s_cbranch_execnz .LBB1569_283
.LBB1569_290:                           ;   in Loop: Header=BB1569_240 Depth=2
	s_or_b32 exec_lo, exec_lo, s17
	v_cmp_lt_u32_e64 s20, v31, v2
	s_delay_alu instid0(VALU_DEP_1)
	s_and_saveexec_b32 s17, s20
	s_cbranch_execz .LBB1569_284
.LBB1569_291:                           ;   in Loop: Header=BB1569_240 Depth=2
	ds_load_u8 v20, v35 offset:768
	s_waitcnt lgkmcnt(0)
	v_and_b32_e32 v21, 1, v20
	v_xor_b32_e32 v20, 1, v20
	s_delay_alu instid0(VALU_DEP_2) | instskip(NEXT) | instid1(VALU_DEP_1)
	v_lshrrev_b32_e32 v21, s25, v21
	v_and_b32_e32 v21, s30, v21
	s_delay_alu instid0(VALU_DEP_1)
	v_lshlrev_b32_e32 v21, 2, v21
	ds_load_b32 v21, v21
	s_waitcnt lgkmcnt(0)
	v_add_nc_u32_e32 v21, v21, v31
	global_store_b8 v21, v20, s[40:41]
	s_or_b32 exec_lo, exec_lo, s17
	v_cmp_lt_u32_e64 s19, v35, v2
	s_delay_alu instid0(VALU_DEP_1)
	s_and_saveexec_b32 s17, s19
	s_cbranch_execnz .LBB1569_285
.LBB1569_292:                           ;   in Loop: Header=BB1569_240 Depth=2
	s_or_b32 exec_lo, exec_lo, s17
	v_cmp_lt_u32_e64 s18, v36, v2
	s_delay_alu instid0(VALU_DEP_1)
	s_and_saveexec_b32 s17, s18
	s_cbranch_execz .LBB1569_286
.LBB1569_293:                           ;   in Loop: Header=BB1569_240 Depth=2
	ds_load_u8 v20, v35 offset:1280
	s_waitcnt lgkmcnt(0)
	v_and_b32_e32 v21, 1, v20
	v_xor_b32_e32 v20, 1, v20
	s_delay_alu instid0(VALU_DEP_2) | instskip(NEXT) | instid1(VALU_DEP_1)
	v_lshrrev_b32_e32 v21, s25, v21
	v_and_b32_e32 v21, s30, v21
	s_delay_alu instid0(VALU_DEP_1)
	v_lshlrev_b32_e32 v21, 2, v21
	ds_load_b32 v21, v21
	s_waitcnt lgkmcnt(0)
	v_add_nc_u32_e32 v21, v21, v36
	global_store_b8 v21, v20, s[40:41]
	s_or_b32 exec_lo, exec_lo, s17
	v_cmp_lt_u32_e64 s17, v37, v2
	s_delay_alu instid0(VALU_DEP_1)
	s_and_saveexec_b32 s24, s17
	s_cbranch_execnz .LBB1569_287
.LBB1569_294:                           ;   in Loop: Header=BB1569_240 Depth=2
	s_or_b32 exec_lo, exec_lo, s24
	v_cmp_lt_u32_e32 vcc_lo, v39, v2
	s_and_saveexec_b32 s24, vcc_lo
	s_cbranch_execz .LBB1569_296
.LBB1569_295:                           ;   in Loop: Header=BB1569_240 Depth=2
	ds_load_u8 v20, v35 offset:1792
	s_waitcnt lgkmcnt(0)
	v_and_b32_e32 v21, 1, v20
	v_xor_b32_e32 v20, 1, v20
	s_delay_alu instid0(VALU_DEP_2) | instskip(NEXT) | instid1(VALU_DEP_1)
	v_lshrrev_b32_e32 v21, s25, v21
	v_and_b32_e32 v21, s30, v21
	s_delay_alu instid0(VALU_DEP_1)
	v_lshlrev_b32_e32 v21, 2, v21
	ds_load_b32 v21, v21
	s_waitcnt lgkmcnt(0)
	v_add_nc_u32_e32 v21, v21, v39
	global_store_b8 v21, v20, s[40:41]
.LBB1569_296:                           ;   in Loop: Header=BB1569_240 Depth=2
	s_or_b32 exec_lo, exec_lo, s24
	s_lshl_b64 s[52:53], s[26:27], 3
	s_delay_alu instid0(SALU_CYCLE_1) | instskip(NEXT) | instid1(VALU_DEP_1)
	v_add_co_u32 v20, s24, v73, s52
	v_add_co_ci_u32_e64 v21, s24, s53, v74, s24
	v_cmp_lt_u32_e64 s24, v70, v2
	s_delay_alu instid0(VALU_DEP_1) | instskip(NEXT) | instid1(SALU_CYCLE_1)
	s_and_saveexec_b32 s26, s24
	s_xor_b32 s24, exec_lo, s26
	s_cbranch_execz .LBB1569_312
; %bb.297:                              ;   in Loop: Header=BB1569_240 Depth=2
	global_load_b64 v[18:19], v[20:21], off
	s_or_b32 exec_lo, exec_lo, s24
	s_delay_alu instid0(SALU_CYCLE_1)
	s_mov_b32 s26, exec_lo
	v_cmpx_lt_u32_e64 v75, v2
	s_cbranch_execnz .LBB1569_313
.LBB1569_298:                           ;   in Loop: Header=BB1569_240 Depth=2
	s_or_b32 exec_lo, exec_lo, s26
	s_delay_alu instid0(SALU_CYCLE_1)
	s_mov_b32 s26, exec_lo
	v_cmpx_lt_u32_e64 v76, v2
	s_cbranch_execz .LBB1569_314
.LBB1569_299:                           ;   in Loop: Header=BB1569_240 Depth=2
	global_load_b64 v[14:15], v[20:21], off offset:512
	s_or_b32 exec_lo, exec_lo, s26
	s_delay_alu instid0(SALU_CYCLE_1)
	s_mov_b32 s26, exec_lo
	v_cmpx_lt_u32_e64 v77, v2
	s_cbranch_execnz .LBB1569_315
.LBB1569_300:                           ;   in Loop: Header=BB1569_240 Depth=2
	s_or_b32 exec_lo, exec_lo, s26
	s_delay_alu instid0(SALU_CYCLE_1)
	s_mov_b32 s26, exec_lo
	v_cmpx_lt_u32_e64 v78, v2
	s_cbranch_execz .LBB1569_316
.LBB1569_301:                           ;   in Loop: Header=BB1569_240 Depth=2
	global_load_b64 v[10:11], v[20:21], off offset:1024
	s_or_b32 exec_lo, exec_lo, s26
	s_delay_alu instid0(SALU_CYCLE_1)
	s_mov_b32 s26, exec_lo
	v_cmpx_lt_u32_e64 v79, v2
	s_cbranch_execnz .LBB1569_317
.LBB1569_302:                           ;   in Loop: Header=BB1569_240 Depth=2
	s_or_b32 exec_lo, exec_lo, s26
	s_delay_alu instid0(SALU_CYCLE_1)
	s_mov_b32 s26, exec_lo
	v_cmpx_lt_u32_e64 v80, v2
	s_cbranch_execz .LBB1569_318
.LBB1569_303:                           ;   in Loop: Header=BB1569_240 Depth=2
	global_load_b64 v[6:7], v[20:21], off offset:1536
	s_or_b32 exec_lo, exec_lo, s26
	s_delay_alu instid0(SALU_CYCLE_1)
	s_mov_b32 s26, exec_lo
	v_cmpx_lt_u32_e64 v81, v2
	s_cbranch_execnz .LBB1569_319
.LBB1569_304:                           ;   in Loop: Header=BB1569_240 Depth=2
	s_or_b32 exec_lo, exec_lo, s26
	s_and_saveexec_b32 s24, s22
	s_cbranch_execz .LBB1569_320
.LBB1569_305:                           ;   in Loop: Header=BB1569_240 Depth=2
	ds_load_u8 v2, v1 offset:1024
	s_waitcnt lgkmcnt(0)
	v_lshrrev_b32_e32 v2, s25, v2
	s_delay_alu instid0(VALU_DEP_1)
	v_and_b32_e32 v92, s30, v2
	s_or_b32 exec_lo, exec_lo, s24
	s_and_saveexec_b32 s24, s23
	s_cbranch_execnz .LBB1569_321
.LBB1569_306:                           ;   in Loop: Header=BB1569_240 Depth=2
	s_or_b32 exec_lo, exec_lo, s24
	s_and_saveexec_b32 s24, s21
	s_cbranch_execz .LBB1569_322
.LBB1569_307:                           ;   in Loop: Header=BB1569_240 Depth=2
	ds_load_u8 v2, v35 offset:512
	s_waitcnt lgkmcnt(0)
	v_lshrrev_b32_e32 v2, s25, v2
	s_delay_alu instid0(VALU_DEP_1)
	v_and_b32_e32 v90, s30, v2
	s_or_b32 exec_lo, exec_lo, s24
	s_and_saveexec_b32 s24, s20
	s_cbranch_execnz .LBB1569_323
.LBB1569_308:                           ;   in Loop: Header=BB1569_240 Depth=2
	s_or_b32 exec_lo, exec_lo, s24
	s_and_saveexec_b32 s24, s19
	s_cbranch_execz .LBB1569_324
.LBB1569_309:                           ;   in Loop: Header=BB1569_240 Depth=2
	ds_load_u8 v2, v35 offset:1024
	s_waitcnt lgkmcnt(0)
	v_lshrrev_b32_e32 v2, s25, v2
	s_delay_alu instid0(VALU_DEP_1)
	v_and_b32_e32 v88, s30, v2
	s_or_b32 exec_lo, exec_lo, s24
	s_and_saveexec_b32 s24, s18
	s_cbranch_execnz .LBB1569_325
.LBB1569_310:                           ;   in Loop: Header=BB1569_240 Depth=2
	s_or_b32 exec_lo, exec_lo, s24
	s_and_saveexec_b32 s24, s17
	s_cbranch_execz .LBB1569_326
.LBB1569_311:                           ;   in Loop: Header=BB1569_240 Depth=2
	ds_load_u8 v2, v35 offset:1536
	s_waitcnt lgkmcnt(0)
	v_lshrrev_b32_e32 v2, s25, v2
	s_delay_alu instid0(VALU_DEP_1)
	v_and_b32_e32 v86, s30, v2
	s_or_b32 exec_lo, exec_lo, s24
	s_and_saveexec_b32 s24, vcc_lo
	s_cbranch_execnz .LBB1569_327
	s_branch .LBB1569_328
.LBB1569_312:                           ;   in Loop: Header=BB1569_240 Depth=2
	s_or_b32 exec_lo, exec_lo, s24
	s_delay_alu instid0(SALU_CYCLE_1)
	s_mov_b32 s26, exec_lo
	v_cmpx_lt_u32_e64 v75, v2
	s_cbranch_execz .LBB1569_298
.LBB1569_313:                           ;   in Loop: Header=BB1569_240 Depth=2
	global_load_b64 v[16:17], v[20:21], off offset:256
	s_or_b32 exec_lo, exec_lo, s26
	s_delay_alu instid0(SALU_CYCLE_1)
	s_mov_b32 s26, exec_lo
	v_cmpx_lt_u32_e64 v76, v2
	s_cbranch_execnz .LBB1569_299
.LBB1569_314:                           ;   in Loop: Header=BB1569_240 Depth=2
	s_or_b32 exec_lo, exec_lo, s26
	s_delay_alu instid0(SALU_CYCLE_1)
	s_mov_b32 s26, exec_lo
	v_cmpx_lt_u32_e64 v77, v2
	s_cbranch_execz .LBB1569_300
.LBB1569_315:                           ;   in Loop: Header=BB1569_240 Depth=2
	global_load_b64 v[12:13], v[20:21], off offset:768
	s_or_b32 exec_lo, exec_lo, s26
	s_delay_alu instid0(SALU_CYCLE_1)
	s_mov_b32 s26, exec_lo
	v_cmpx_lt_u32_e64 v78, v2
	s_cbranch_execnz .LBB1569_301
.LBB1569_316:                           ;   in Loop: Header=BB1569_240 Depth=2
	s_or_b32 exec_lo, exec_lo, s26
	s_delay_alu instid0(SALU_CYCLE_1)
	s_mov_b32 s26, exec_lo
	v_cmpx_lt_u32_e64 v79, v2
	s_cbranch_execz .LBB1569_302
.LBB1569_317:                           ;   in Loop: Header=BB1569_240 Depth=2
	global_load_b64 v[8:9], v[20:21], off offset:1280
	s_or_b32 exec_lo, exec_lo, s26
	s_delay_alu instid0(SALU_CYCLE_1)
	s_mov_b32 s26, exec_lo
	v_cmpx_lt_u32_e64 v80, v2
	s_cbranch_execnz .LBB1569_303
.LBB1569_318:                           ;   in Loop: Header=BB1569_240 Depth=2
	s_or_b32 exec_lo, exec_lo, s26
	s_delay_alu instid0(SALU_CYCLE_1)
	s_mov_b32 s26, exec_lo
	v_cmpx_lt_u32_e64 v81, v2
	s_cbranch_execz .LBB1569_304
.LBB1569_319:                           ;   in Loop: Header=BB1569_240 Depth=2
	global_load_b64 v[4:5], v[20:21], off offset:1792
	s_or_b32 exec_lo, exec_lo, s26
	s_and_saveexec_b32 s24, s22
	s_cbranch_execnz .LBB1569_305
.LBB1569_320:                           ;   in Loop: Header=BB1569_240 Depth=2
	s_or_b32 exec_lo, exec_lo, s24
	s_and_saveexec_b32 s24, s23
	s_cbranch_execz .LBB1569_306
.LBB1569_321:                           ;   in Loop: Header=BB1569_240 Depth=2
	ds_load_u8 v2, v35 offset:256
	s_waitcnt lgkmcnt(0)
	v_lshrrev_b32_e32 v2, s25, v2
	s_delay_alu instid0(VALU_DEP_1)
	v_and_b32_e32 v91, s30, v2
	s_or_b32 exec_lo, exec_lo, s24
	s_and_saveexec_b32 s24, s21
	s_cbranch_execnz .LBB1569_307
.LBB1569_322:                           ;   in Loop: Header=BB1569_240 Depth=2
	s_or_b32 exec_lo, exec_lo, s24
	s_and_saveexec_b32 s24, s20
	s_cbranch_execz .LBB1569_308
.LBB1569_323:                           ;   in Loop: Header=BB1569_240 Depth=2
	ds_load_u8 v2, v35 offset:768
	s_waitcnt lgkmcnt(0)
	v_lshrrev_b32_e32 v2, s25, v2
	s_delay_alu instid0(VALU_DEP_1)
	v_and_b32_e32 v89, s30, v2
	s_or_b32 exec_lo, exec_lo, s24
	s_and_saveexec_b32 s24, s19
	s_cbranch_execnz .LBB1569_309
.LBB1569_324:                           ;   in Loop: Header=BB1569_240 Depth=2
	s_or_b32 exec_lo, exec_lo, s24
	s_and_saveexec_b32 s24, s18
	s_cbranch_execz .LBB1569_310
.LBB1569_325:                           ;   in Loop: Header=BB1569_240 Depth=2
	ds_load_u8 v2, v35 offset:1280
	s_waitcnt lgkmcnt(0)
	v_lshrrev_b32_e32 v2, s25, v2
	s_delay_alu instid0(VALU_DEP_1)
	v_and_b32_e32 v87, s30, v2
	s_or_b32 exec_lo, exec_lo, s24
	s_and_saveexec_b32 s24, s17
	s_cbranch_execnz .LBB1569_311
.LBB1569_326:                           ;   in Loop: Header=BB1569_240 Depth=2
	s_or_b32 exec_lo, exec_lo, s24
	s_and_saveexec_b32 s24, vcc_lo
	s_cbranch_execz .LBB1569_328
.LBB1569_327:                           ;   in Loop: Header=BB1569_240 Depth=2
	ds_load_u8 v2, v35 offset:1792
	s_waitcnt lgkmcnt(0)
	v_lshrrev_b32_e32 v2, s25, v2
	s_delay_alu instid0(VALU_DEP_1)
	v_and_b32_e32 v85, s30, v2
.LBB1569_328:                           ;   in Loop: Header=BB1569_240 Depth=2
	s_or_b32 exec_lo, exec_lo, s24
	v_lshlrev_b32_e32 v2, 3, v100
	v_lshlrev_b32_e32 v20, 3, v96
	;; [unrolled: 1-line block ×3, first 2 shown]
	s_waitcnt vmcnt(0)
	s_waitcnt_vscnt null, 0x0
	s_barrier
	buffer_gl0_inv
	ds_store_b64 v2, v[18:19] offset:1024
	ds_store_b64 v20, v[16:17] offset:1024
	;; [unrolled: 1-line block ×3, first 2 shown]
	v_lshlrev_b32_e32 v2, 3, v27
	v_lshlrev_b32_e32 v20, 3, v26
	;; [unrolled: 1-line block ×5, first 2 shown]
	ds_store_b64 v2, v[12:13] offset:1024
	ds_store_b64 v20, v[10:11] offset:1024
	;; [unrolled: 1-line block ×5, first 2 shown]
	s_waitcnt lgkmcnt(0)
	s_barrier
	buffer_gl0_inv
	s_and_saveexec_b32 s24, s22
	s_cbranch_execz .LBB1569_336
; %bb.329:                              ;   in Loop: Header=BB1569_240 Depth=2
	v_lshlrev_b32_e32 v2, 2, v92
	v_add_nc_u32_e32 v20, v1, v52
	ds_load_b32 v2, v2
	ds_load_b64 v[20:21], v20 offset:1024
	s_waitcnt lgkmcnt(1)
	v_add_nc_u32_e32 v2, v2, v1
	s_delay_alu instid0(VALU_DEP_1) | instskip(NEXT) | instid1(VALU_DEP_1)
	v_lshlrev_b64 v[23:24], 3, v[2:3]
	v_add_co_u32 v23, s22, s46, v23
	s_delay_alu instid0(VALU_DEP_1)
	v_add_co_ci_u32_e64 v24, s22, s47, v24, s22
	s_waitcnt lgkmcnt(0)
	global_store_b64 v[23:24], v[20:21], off
	s_or_b32 exec_lo, exec_lo, s24
	s_and_saveexec_b32 s24, s23
	s_cbranch_execnz .LBB1569_337
.LBB1569_330:                           ;   in Loop: Header=BB1569_240 Depth=2
	s_or_b32 exec_lo, exec_lo, s24
	s_and_saveexec_b32 s22, s21
	s_cbranch_execz .LBB1569_338
.LBB1569_331:                           ;   in Loop: Header=BB1569_240 Depth=2
	v_lshlrev_b32_e32 v2, 2, v90
	v_add_nc_u32_e32 v20, v35, v52
	ds_load_b32 v2, v2
	ds_load_b64 v[20:21], v20 offset:4096
	s_waitcnt lgkmcnt(1)
	v_add_nc_u32_e32 v2, v2, v30
	s_delay_alu instid0(VALU_DEP_1) | instskip(NEXT) | instid1(VALU_DEP_1)
	v_lshlrev_b64 v[23:24], 3, v[2:3]
	v_add_co_u32 v23, s21, s46, v23
	s_delay_alu instid0(VALU_DEP_1)
	v_add_co_ci_u32_e64 v24, s21, s47, v24, s21
	s_waitcnt lgkmcnt(0)
	global_store_b64 v[23:24], v[20:21], off
	s_or_b32 exec_lo, exec_lo, s22
	s_and_saveexec_b32 s21, s20
	s_cbranch_execnz .LBB1569_339
.LBB1569_332:                           ;   in Loop: Header=BB1569_240 Depth=2
	s_or_b32 exec_lo, exec_lo, s21
	s_and_saveexec_b32 s20, s19
	s_cbranch_execz .LBB1569_340
.LBB1569_333:                           ;   in Loop: Header=BB1569_240 Depth=2
	v_lshlrev_b32_e32 v2, 2, v88
	v_add_nc_u32_e32 v20, v35, v52
	ds_load_b32 v2, v2
	ds_load_b64 v[20:21], v20 offset:8192
	s_waitcnt lgkmcnt(1)
	v_add_nc_u32_e32 v2, v2, v35
	s_delay_alu instid0(VALU_DEP_1) | instskip(NEXT) | instid1(VALU_DEP_1)
	v_lshlrev_b64 v[23:24], 3, v[2:3]
	v_add_co_u32 v23, s19, s46, v23
	s_delay_alu instid0(VALU_DEP_1)
	v_add_co_ci_u32_e64 v24, s19, s47, v24, s19
	s_waitcnt lgkmcnt(0)
	global_store_b64 v[23:24], v[20:21], off
	s_or_b32 exec_lo, exec_lo, s20
	s_and_saveexec_b32 s19, s18
	s_cbranch_execnz .LBB1569_341
.LBB1569_334:                           ;   in Loop: Header=BB1569_240 Depth=2
	s_or_b32 exec_lo, exec_lo, s19
	s_and_saveexec_b32 s18, s17
	s_cbranch_execz .LBB1569_342
.LBB1569_335:                           ;   in Loop: Header=BB1569_240 Depth=2
	v_lshlrev_b32_e32 v2, 2, v86
	v_add_nc_u32_e32 v20, v35, v52
	ds_load_b32 v2, v2
	ds_load_b64 v[20:21], v20 offset:12288
	s_waitcnt lgkmcnt(1)
	v_add_nc_u32_e32 v2, v2, v37
	s_delay_alu instid0(VALU_DEP_1) | instskip(NEXT) | instid1(VALU_DEP_1)
	v_lshlrev_b64 v[23:24], 3, v[2:3]
	v_add_co_u32 v23, s17, s46, v23
	s_delay_alu instid0(VALU_DEP_1)
	v_add_co_ci_u32_e64 v24, s17, s47, v24, s17
	s_waitcnt lgkmcnt(0)
	global_store_b64 v[23:24], v[20:21], off
	s_or_b32 exec_lo, exec_lo, s18
	s_and_saveexec_b32 s17, vcc_lo
	s_cbranch_execnz .LBB1569_343
	s_branch .LBB1569_344
.LBB1569_336:                           ;   in Loop: Header=BB1569_240 Depth=2
	s_or_b32 exec_lo, exec_lo, s24
	s_and_saveexec_b32 s24, s23
	s_cbranch_execz .LBB1569_330
.LBB1569_337:                           ;   in Loop: Header=BB1569_240 Depth=2
	v_lshlrev_b32_e32 v2, 2, v91
	v_add_nc_u32_e32 v20, v35, v52
	ds_load_b32 v2, v2
	ds_load_b64 v[20:21], v20 offset:2048
	s_waitcnt lgkmcnt(1)
	v_add_nc_u32_e32 v2, v2, v29
	s_delay_alu instid0(VALU_DEP_1) | instskip(NEXT) | instid1(VALU_DEP_1)
	v_lshlrev_b64 v[23:24], 3, v[2:3]
	v_add_co_u32 v23, s22, s46, v23
	s_delay_alu instid0(VALU_DEP_1)
	v_add_co_ci_u32_e64 v24, s22, s47, v24, s22
	s_waitcnt lgkmcnt(0)
	global_store_b64 v[23:24], v[20:21], off
	s_or_b32 exec_lo, exec_lo, s24
	s_and_saveexec_b32 s22, s21
	s_cbranch_execnz .LBB1569_331
.LBB1569_338:                           ;   in Loop: Header=BB1569_240 Depth=2
	s_or_b32 exec_lo, exec_lo, s22
	s_and_saveexec_b32 s21, s20
	s_cbranch_execz .LBB1569_332
.LBB1569_339:                           ;   in Loop: Header=BB1569_240 Depth=2
	v_lshlrev_b32_e32 v2, 2, v89
	v_add_nc_u32_e32 v20, v35, v52
	ds_load_b32 v2, v2
	ds_load_b64 v[20:21], v20 offset:6144
	s_waitcnt lgkmcnt(1)
	v_add_nc_u32_e32 v2, v2, v31
	s_delay_alu instid0(VALU_DEP_1) | instskip(NEXT) | instid1(VALU_DEP_1)
	v_lshlrev_b64 v[23:24], 3, v[2:3]
	v_add_co_u32 v23, s20, s46, v23
	s_delay_alu instid0(VALU_DEP_1)
	v_add_co_ci_u32_e64 v24, s20, s47, v24, s20
	s_waitcnt lgkmcnt(0)
	global_store_b64 v[23:24], v[20:21], off
	s_or_b32 exec_lo, exec_lo, s21
	s_and_saveexec_b32 s20, s19
	s_cbranch_execnz .LBB1569_333
.LBB1569_340:                           ;   in Loop: Header=BB1569_240 Depth=2
	s_or_b32 exec_lo, exec_lo, s20
	s_and_saveexec_b32 s19, s18
	s_cbranch_execz .LBB1569_334
.LBB1569_341:                           ;   in Loop: Header=BB1569_240 Depth=2
	v_lshlrev_b32_e32 v2, 2, v87
	v_add_nc_u32_e32 v20, v35, v52
	ds_load_b32 v2, v2
	ds_load_b64 v[20:21], v20 offset:10240
	s_waitcnt lgkmcnt(1)
	v_add_nc_u32_e32 v2, v2, v36
	s_delay_alu instid0(VALU_DEP_1) | instskip(NEXT) | instid1(VALU_DEP_1)
	v_lshlrev_b64 v[23:24], 3, v[2:3]
	v_add_co_u32 v23, s18, s46, v23
	s_delay_alu instid0(VALU_DEP_1)
	v_add_co_ci_u32_e64 v24, s18, s47, v24, s18
	s_waitcnt lgkmcnt(0)
	global_store_b64 v[23:24], v[20:21], off
	s_or_b32 exec_lo, exec_lo, s19
	s_and_saveexec_b32 s18, s17
	s_cbranch_execnz .LBB1569_335
.LBB1569_342:                           ;   in Loop: Header=BB1569_240 Depth=2
	s_or_b32 exec_lo, exec_lo, s18
	s_and_saveexec_b32 s17, vcc_lo
	s_cbranch_execz .LBB1569_344
.LBB1569_343:                           ;   in Loop: Header=BB1569_240 Depth=2
	v_lshlrev_b32_e32 v2, 2, v85
	v_add_nc_u32_e32 v20, v35, v52
	ds_load_b32 v2, v2
	ds_load_b64 v[20:21], v20 offset:14336
	s_waitcnt lgkmcnt(1)
	v_add_nc_u32_e32 v2, v2, v39
	s_delay_alu instid0(VALU_DEP_1) | instskip(NEXT) | instid1(VALU_DEP_1)
	v_lshlrev_b64 v[23:24], 3, v[2:3]
	v_add_co_u32 v23, vcc_lo, s46, v23
	s_delay_alu instid0(VALU_DEP_2)
	v_add_co_ci_u32_e32 v24, vcc_lo, s47, v24, vcc_lo
	s_waitcnt lgkmcnt(0)
	global_store_b64 v[23:24], v[20:21], off
.LBB1569_344:                           ;   in Loop: Header=BB1569_240 Depth=2
	s_or_b32 exec_lo, exec_lo, s17
	s_waitcnt_vscnt null, 0x0
	s_barrier
	buffer_gl0_inv
	s_and_saveexec_b32 s17, s2
	s_cbranch_execz .LBB1569_239
; %bb.345:                              ;   in Loop: Header=BB1569_240 Depth=2
	ds_load_b32 v2, v28
	s_waitcnt lgkmcnt(0)
	v_add_nc_u32_e32 v2, v2, v22
	ds_store_b32 v28, v2
	s_branch .LBB1569_239
.LBB1569_346:                           ;   in Loop: Header=BB1569_240 Depth=2
	s_or_b32 exec_lo, exec_lo, s17
	s_delay_alu instid0(SALU_CYCLE_1)
	s_mov_b32 s17, exec_lo
	v_cmpx_gt_u32_e64 s31, v75
	s_cbranch_execz .LBB1569_245
.LBB1569_347:                           ;   in Loop: Header=BB1569_240 Depth=2
	global_load_u8 v2, v[22:23], off offset:32
	s_waitcnt vmcnt(0)
	v_perm_b32 v20, v20, v2, 0x7060004
	s_or_b32 exec_lo, exec_lo, s17
	s_delay_alu instid0(SALU_CYCLE_1)
	s_mov_b32 s17, exec_lo
	v_cmpx_gt_u32_e64 s31, v76
	s_cbranch_execnz .LBB1569_246
.LBB1569_348:                           ;   in Loop: Header=BB1569_240 Depth=2
	s_or_b32 exec_lo, exec_lo, s17
	s_delay_alu instid0(SALU_CYCLE_1)
	s_mov_b32 s17, exec_lo
	v_cmpx_gt_u32_e64 s31, v77
	s_cbranch_execz .LBB1569_247
.LBB1569_349:                           ;   in Loop: Header=BB1569_240 Depth=2
	global_load_u8 v2, v[22:23], off offset:96
	v_lshrrev_b32_e32 v24, 16, v20
	s_delay_alu instid0(VALU_DEP_1) | instskip(SKIP_2) | instid1(VALU_DEP_1)
	v_and_b32_e32 v24, 0xff, v24
	s_waitcnt vmcnt(0)
	v_lshlrev_b16 v2, 8, v2
	v_or_b32_e32 v2, v24, v2
	s_delay_alu instid0(VALU_DEP_1) | instskip(NEXT) | instid1(VALU_DEP_1)
	v_lshlrev_b32_e32 v2, 16, v2
	v_and_or_b32 v20, 0xffff, v20, v2
	s_or_b32 exec_lo, exec_lo, s17
	s_delay_alu instid0(SALU_CYCLE_1)
	s_mov_b32 s17, exec_lo
	v_cmpx_gt_u32_e64 s31, v78
	s_cbranch_execnz .LBB1569_248
.LBB1569_350:                           ;   in Loop: Header=BB1569_240 Depth=2
	s_or_b32 exec_lo, exec_lo, s17
	s_delay_alu instid0(SALU_CYCLE_1)
	s_mov_b32 s17, exec_lo
	v_cmpx_gt_u32_e64 s31, v79
	s_cbranch_execz .LBB1569_249
.LBB1569_351:                           ;   in Loop: Header=BB1569_240 Depth=2
	global_load_u8 v2, v[22:23], off offset:160
	s_waitcnt vmcnt(0)
	v_perm_b32 v21, v21, v2, 0x7060004
	s_or_b32 exec_lo, exec_lo, s17
	s_delay_alu instid0(SALU_CYCLE_1)
	s_mov_b32 s17, exec_lo
	v_cmpx_gt_u32_e64 s31, v80
	s_cbranch_execnz .LBB1569_250
	s_branch .LBB1569_251
.LBB1569_352:                           ;   in Loop: Header=BB1569_20 Depth=1
	s_waitcnt lgkmcnt(0)
	s_barrier
.LBB1569_353:                           ;   in Loop: Header=BB1569_20 Depth=1
	s_mov_b32 s0, 0
.LBB1569_354:                           ;   in Loop: Header=BB1569_20 Depth=1
	s_delay_alu instid0(SALU_CYCLE_1)
	s_and_not1_b32 vcc_lo, exec_lo, s0
	s_cbranch_vccnz .LBB1569_19
; %bb.355:                              ;   in Loop: Header=BB1569_20 Depth=1
	s_and_b32 vcc_lo, exec_lo, s35
	s_mov_b32 s0, -1
	s_cbranch_vccz .LBB1569_521
; %bb.356:                              ;   in Loop: Header=BB1569_20 Depth=1
	s_mov_b32 s0, s51
	s_mov_b32 s9, s33
	s_barrier
	buffer_gl0_inv
                                        ; implicit-def: $vgpr2
                                        ; implicit-def: $vgpr6
                                        ; implicit-def: $vgpr7
                                        ; implicit-def: $vgpr8
                                        ; implicit-def: $vgpr9
                                        ; implicit-def: $vgpr10
                                        ; implicit-def: $vgpr11
                                        ; implicit-def: $vgpr12
	s_branch .LBB1569_358
.LBB1569_357:                           ;   in Loop: Header=BB1569_358 Depth=2
	s_or_b32 exec_lo, exec_lo, s8
	s_addk_i32 s0, 0xf800
	s_cmp_ge_u32 s1, s34
	s_mov_b32 s9, s1
	s_cbranch_scc1 .LBB1569_396
.LBB1569_358:                           ;   Parent Loop BB1569_20 Depth=1
                                        ; =>  This Inner Loop Header: Depth=2
	s_add_i32 s1, s9, 0x800
	s_delay_alu instid0(SALU_CYCLE_1)
	s_cmp_gt_u32 s1, s34
	s_cbranch_scc1 .LBB1569_361
; %bb.359:                              ;   in Loop: Header=BB1569_358 Depth=2
	v_add_co_u32 v4, vcc_lo, v59, s9
	v_add_co_ci_u32_e32 v5, vcc_lo, 0, v60, vcc_lo
	s_mov_b32 s8, -1
	s_movk_i32 s12, 0x800
	s_clause 0x6
	global_load_u8 v20, v[4:5], off offset:1536
	global_load_u8 v19, v[4:5], off offset:1280
	global_load_u8 v18, v[4:5], off offset:1024
	global_load_u8 v17, v[4:5], off offset:768
	global_load_u8 v16, v[4:5], off offset:512
	global_load_u8 v15, v[4:5], off offset:256
	global_load_u8 v14, v[4:5], off
	v_add_co_u32 v4, vcc_lo, 0x700, v4
	v_add_co_ci_u32_e32 v5, vcc_lo, 0, v5, vcc_lo
	s_cbranch_execz .LBB1569_362
; %bb.360:                              ;   in Loop: Header=BB1569_358 Depth=2
                                        ; implicit-def: $vgpr2
                                        ; implicit-def: $vgpr6
                                        ; implicit-def: $vgpr7
                                        ; implicit-def: $vgpr8
                                        ; implicit-def: $vgpr9
                                        ; implicit-def: $vgpr10
                                        ; implicit-def: $vgpr11
                                        ; implicit-def: $vgpr12
	v_mov_b32_e32 v13, s0
	s_and_saveexec_b32 s9, s8
	s_cbranch_execnz .LBB1569_373
	s_branch .LBB1569_374
.LBB1569_361:                           ;   in Loop: Header=BB1569_358 Depth=2
	s_mov_b32 s8, 0
                                        ; implicit-def: $sgpr12
                                        ; implicit-def: $vgpr14
                                        ; implicit-def: $vgpr15
                                        ; implicit-def: $vgpr16
                                        ; implicit-def: $vgpr17
                                        ; implicit-def: $vgpr18
                                        ; implicit-def: $vgpr19
                                        ; implicit-def: $vgpr20
                                        ; implicit-def: $vgpr4_vgpr5
.LBB1569_362:                           ;   in Loop: Header=BB1569_358 Depth=2
	s_add_u32 s10, s36, s9
	s_addc_u32 s11, s37, 0
	s_mov_b32 s12, exec_lo
	v_cmpx_gt_u32_e64 s0, v1
	s_cbranch_execz .LBB1569_390
; %bb.363:                              ;   in Loop: Header=BB1569_358 Depth=2
	v_add_co_u32 v4, s13, s10, v1
	s_delay_alu instid0(VALU_DEP_1) | instskip(SKIP_2) | instid1(SALU_CYCLE_1)
	v_add_co_ci_u32_e64 v5, null, s11, 0, s13
	global_load_u8 v2, v[4:5], off
	s_or_b32 exec_lo, exec_lo, s12
	s_mov_b32 s12, exec_lo
	v_cmpx_gt_u32_e64 s0, v29
	s_cbranch_execnz .LBB1569_391
.LBB1569_364:                           ;   in Loop: Header=BB1569_358 Depth=2
	s_or_b32 exec_lo, exec_lo, s12
	s_delay_alu instid0(SALU_CYCLE_1)
	s_mov_b32 s12, exec_lo
	v_cmpx_gt_u32_e64 s0, v30
	s_cbranch_execz .LBB1569_392
.LBB1569_365:                           ;   in Loop: Header=BB1569_358 Depth=2
	v_add_co_u32 v4, s13, s10, v1
	s_delay_alu instid0(VALU_DEP_1) | instskip(SKIP_2) | instid1(SALU_CYCLE_1)
	v_add_co_ci_u32_e64 v5, null, s11, 0, s13
	global_load_u8 v7, v[4:5], off offset:512
	s_or_b32 exec_lo, exec_lo, s12
	s_mov_b32 s12, exec_lo
	v_cmpx_gt_u32_e64 s0, v31
	s_cbranch_execnz .LBB1569_393
.LBB1569_366:                           ;   in Loop: Header=BB1569_358 Depth=2
	s_or_b32 exec_lo, exec_lo, s12
	s_delay_alu instid0(SALU_CYCLE_1)
	s_mov_b32 s12, exec_lo
	v_cmpx_gt_u32_e64 s0, v35
	s_cbranch_execz .LBB1569_394
.LBB1569_367:                           ;   in Loop: Header=BB1569_358 Depth=2
	v_add_co_u32 v4, s13, s10, v1
	s_delay_alu instid0(VALU_DEP_1) | instskip(SKIP_2) | instid1(SALU_CYCLE_1)
	v_add_co_ci_u32_e64 v5, null, s11, 0, s13
	global_load_u8 v9, v[4:5], off offset:1024
	s_or_b32 exec_lo, exec_lo, s12
	s_mov_b32 s12, exec_lo
	v_cmpx_gt_u32_e64 s0, v36
	s_cbranch_execnz .LBB1569_395
.LBB1569_368:                           ;   in Loop: Header=BB1569_358 Depth=2
	s_or_b32 exec_lo, exec_lo, s12
	s_delay_alu instid0(SALU_CYCLE_1)
	s_mov_b32 s12, exec_lo
	v_cmpx_gt_u32_e64 s0, v37
	s_cbranch_execz .LBB1569_370
.LBB1569_369:                           ;   in Loop: Header=BB1569_358 Depth=2
	v_add_co_u32 v4, s13, s10, v1
	s_delay_alu instid0(VALU_DEP_1)
	v_add_co_ci_u32_e64 v5, null, s11, 0, s13
	global_load_u8 v11, v[4:5], off offset:1536
.LBB1569_370:                           ;   in Loop: Header=BB1569_358 Depth=2
	s_or_b32 exec_lo, exec_lo, s12
	s_delay_alu instid0(SALU_CYCLE_1)
	s_mov_b32 s13, exec_lo
                                        ; implicit-def: $sgpr12
                                        ; implicit-def: $vgpr4_vgpr5
	v_cmpx_gt_u32_e64 s0, v39
; %bb.371:                              ;   in Loop: Header=BB1569_358 Depth=2
	v_add_co_u32 v4, s10, s10, v1
	s_delay_alu instid0(VALU_DEP_1) | instskip(SKIP_1) | instid1(VALU_DEP_2)
	v_add_co_ci_u32_e64 v5, null, s11, 0, s10
	s_sub_i32 s12, s34, s9
	v_add_co_u32 v4, vcc_lo, 0x700, v4
	s_delay_alu instid0(VALU_DEP_2)
	v_add_co_ci_u32_e32 v5, vcc_lo, 0, v5, vcc_lo
	s_or_b32 s8, s8, exec_lo
                                        ; implicit-def: $vgpr12
; %bb.372:                              ;   in Loop: Header=BB1569_358 Depth=2
	s_or_b32 exec_lo, exec_lo, s13
	s_waitcnt vmcnt(0)
	v_dual_mov_b32 v14, v2 :: v_dual_mov_b32 v17, v8
	v_dual_mov_b32 v15, v6 :: v_dual_mov_b32 v16, v7
	v_dual_mov_b32 v18, v9 :: v_dual_mov_b32 v19, v10
	v_dual_mov_b32 v20, v11 :: v_dual_mov_b32 v13, s0
	s_and_saveexec_b32 s9, s8
	s_cbranch_execz .LBB1569_374
.LBB1569_373:                           ;   in Loop: Header=BB1569_358 Depth=2
	global_load_u8 v12, v[4:5], off
	s_waitcnt vmcnt(1)
	v_dual_mov_b32 v13, s12 :: v_dual_mov_b32 v2, v14
	v_dual_mov_b32 v6, v15 :: v_dual_mov_b32 v7, v16
	;; [unrolled: 1-line block ×4, first 2 shown]
.LBB1569_374:                           ;   in Loop: Header=BB1569_358 Depth=2
	s_or_b32 exec_lo, exec_lo, s9
	s_delay_alu instid0(SALU_CYCLE_1)
	s_mov_b32 s8, exec_lo
	v_cmpx_lt_u32_e64 v1, v13
	s_cbranch_execz .LBB1569_382
; %bb.375:                              ;   in Loop: Header=BB1569_358 Depth=2
	v_xor_b32_e32 v4, -1, v2
	v_lshlrev_b32_e32 v5, 2, v32
	s_delay_alu instid0(VALU_DEP_2) | instskip(NEXT) | instid1(VALU_DEP_1)
	v_and_b32_e32 v4, 1, v4
	v_and_b32_e32 v4, 0xffff, v4
	s_delay_alu instid0(VALU_DEP_1) | instskip(NEXT) | instid1(VALU_DEP_1)
	v_lshrrev_b32_e32 v4, s49, v4
	v_and_b32_e32 v4, s30, v4
	s_delay_alu instid0(VALU_DEP_1) | instskip(SKIP_2) | instid1(SALU_CYCLE_1)
	v_lshl_or_b32 v4, v4, 4, v5
	ds_add_u32 v4, v66
	s_or_b32 exec_lo, exec_lo, s8
	s_mov_b32 s8, exec_lo
	v_cmpx_lt_u32_e64 v29, v13
	s_cbranch_execnz .LBB1569_383
.LBB1569_376:                           ;   in Loop: Header=BB1569_358 Depth=2
	s_or_b32 exec_lo, exec_lo, s8
	s_delay_alu instid0(SALU_CYCLE_1)
	s_mov_b32 s8, exec_lo
	v_cmpx_lt_u32_e64 v30, v13
	s_cbranch_execz .LBB1569_384
.LBB1569_377:                           ;   in Loop: Header=BB1569_358 Depth=2
	v_xor_b32_e32 v4, -1, v7
	v_lshlrev_b32_e32 v5, 2, v32
	s_delay_alu instid0(VALU_DEP_2) | instskip(NEXT) | instid1(VALU_DEP_1)
	v_and_b32_e32 v4, 1, v4
	v_and_b32_e32 v4, 0xffff, v4
	s_delay_alu instid0(VALU_DEP_1) | instskip(NEXT) | instid1(VALU_DEP_1)
	v_lshrrev_b32_e32 v4, s49, v4
	v_and_b32_e32 v4, s30, v4
	s_delay_alu instid0(VALU_DEP_1) | instskip(SKIP_2) | instid1(SALU_CYCLE_1)
	v_lshl_or_b32 v4, v4, 4, v5
	ds_add_u32 v4, v66
	s_or_b32 exec_lo, exec_lo, s8
	s_mov_b32 s8, exec_lo
	v_cmpx_lt_u32_e64 v31, v13
	s_cbranch_execnz .LBB1569_385
.LBB1569_378:                           ;   in Loop: Header=BB1569_358 Depth=2
	s_or_b32 exec_lo, exec_lo, s8
	s_delay_alu instid0(SALU_CYCLE_1)
	s_mov_b32 s8, exec_lo
	v_cmpx_lt_u32_e64 v35, v13
	s_cbranch_execz .LBB1569_386
.LBB1569_379:                           ;   in Loop: Header=BB1569_358 Depth=2
	v_xor_b32_e32 v4, -1, v9
	v_lshlrev_b32_e32 v5, 2, v32
	s_delay_alu instid0(VALU_DEP_2) | instskip(NEXT) | instid1(VALU_DEP_1)
	v_and_b32_e32 v4, 1, v4
	v_and_b32_e32 v4, 0xffff, v4
	s_delay_alu instid0(VALU_DEP_1) | instskip(NEXT) | instid1(VALU_DEP_1)
	v_lshrrev_b32_e32 v4, s49, v4
	v_and_b32_e32 v4, s30, v4
	s_delay_alu instid0(VALU_DEP_1) | instskip(SKIP_2) | instid1(SALU_CYCLE_1)
	v_lshl_or_b32 v4, v4, 4, v5
	ds_add_u32 v4, v66
	s_or_b32 exec_lo, exec_lo, s8
	s_mov_b32 s8, exec_lo
	v_cmpx_lt_u32_e64 v36, v13
	s_cbranch_execnz .LBB1569_387
.LBB1569_380:                           ;   in Loop: Header=BB1569_358 Depth=2
	s_or_b32 exec_lo, exec_lo, s8
	s_delay_alu instid0(SALU_CYCLE_1)
	s_mov_b32 s8, exec_lo
	v_cmpx_lt_u32_e64 v37, v13
	s_cbranch_execz .LBB1569_388
.LBB1569_381:                           ;   in Loop: Header=BB1569_358 Depth=2
	v_xor_b32_e32 v4, -1, v11
	v_lshlrev_b32_e32 v5, 2, v32
	s_delay_alu instid0(VALU_DEP_2) | instskip(NEXT) | instid1(VALU_DEP_1)
	v_and_b32_e32 v4, 1, v4
	v_and_b32_e32 v4, 0xffff, v4
	s_delay_alu instid0(VALU_DEP_1) | instskip(NEXT) | instid1(VALU_DEP_1)
	v_lshrrev_b32_e32 v4, s49, v4
	v_and_b32_e32 v4, s30, v4
	s_delay_alu instid0(VALU_DEP_1) | instskip(SKIP_2) | instid1(SALU_CYCLE_1)
	v_lshl_or_b32 v4, v4, 4, v5
	ds_add_u32 v4, v66
	s_or_b32 exec_lo, exec_lo, s8
	s_mov_b32 s8, exec_lo
	v_cmpx_lt_u32_e64 v39, v13
	s_cbranch_execz .LBB1569_357
	s_branch .LBB1569_389
.LBB1569_382:                           ;   in Loop: Header=BB1569_358 Depth=2
	s_or_b32 exec_lo, exec_lo, s8
	s_delay_alu instid0(SALU_CYCLE_1)
	s_mov_b32 s8, exec_lo
	v_cmpx_lt_u32_e64 v29, v13
	s_cbranch_execz .LBB1569_376
.LBB1569_383:                           ;   in Loop: Header=BB1569_358 Depth=2
	v_xor_b32_e32 v4, -1, v6
	v_lshlrev_b32_e32 v5, 2, v32
	s_delay_alu instid0(VALU_DEP_2) | instskip(NEXT) | instid1(VALU_DEP_1)
	v_and_b32_e32 v4, 1, v4
	v_and_b32_e32 v4, 0xffff, v4
	s_delay_alu instid0(VALU_DEP_1) | instskip(NEXT) | instid1(VALU_DEP_1)
	v_lshrrev_b32_e32 v4, s49, v4
	v_and_b32_e32 v4, s30, v4
	s_delay_alu instid0(VALU_DEP_1) | instskip(SKIP_2) | instid1(SALU_CYCLE_1)
	v_lshl_or_b32 v4, v4, 4, v5
	ds_add_u32 v4, v66
	s_or_b32 exec_lo, exec_lo, s8
	s_mov_b32 s8, exec_lo
	v_cmpx_lt_u32_e64 v30, v13
	s_cbranch_execnz .LBB1569_377
.LBB1569_384:                           ;   in Loop: Header=BB1569_358 Depth=2
	s_or_b32 exec_lo, exec_lo, s8
	s_delay_alu instid0(SALU_CYCLE_1)
	s_mov_b32 s8, exec_lo
	v_cmpx_lt_u32_e64 v31, v13
	s_cbranch_execz .LBB1569_378
.LBB1569_385:                           ;   in Loop: Header=BB1569_358 Depth=2
	v_xor_b32_e32 v4, -1, v8
	v_lshlrev_b32_e32 v5, 2, v32
	s_delay_alu instid0(VALU_DEP_2) | instskip(NEXT) | instid1(VALU_DEP_1)
	v_and_b32_e32 v4, 1, v4
	v_and_b32_e32 v4, 0xffff, v4
	s_delay_alu instid0(VALU_DEP_1) | instskip(NEXT) | instid1(VALU_DEP_1)
	v_lshrrev_b32_e32 v4, s49, v4
	v_and_b32_e32 v4, s30, v4
	s_delay_alu instid0(VALU_DEP_1) | instskip(SKIP_2) | instid1(SALU_CYCLE_1)
	v_lshl_or_b32 v4, v4, 4, v5
	ds_add_u32 v4, v66
	s_or_b32 exec_lo, exec_lo, s8
	s_mov_b32 s8, exec_lo
	v_cmpx_lt_u32_e64 v35, v13
	s_cbranch_execnz .LBB1569_379
.LBB1569_386:                           ;   in Loop: Header=BB1569_358 Depth=2
	s_or_b32 exec_lo, exec_lo, s8
	s_delay_alu instid0(SALU_CYCLE_1)
	s_mov_b32 s8, exec_lo
	v_cmpx_lt_u32_e64 v36, v13
	s_cbranch_execz .LBB1569_380
.LBB1569_387:                           ;   in Loop: Header=BB1569_358 Depth=2
	v_xor_b32_e32 v4, -1, v10
	v_lshlrev_b32_e32 v5, 2, v32
	s_delay_alu instid0(VALU_DEP_2) | instskip(NEXT) | instid1(VALU_DEP_1)
	v_and_b32_e32 v4, 1, v4
	v_and_b32_e32 v4, 0xffff, v4
	s_delay_alu instid0(VALU_DEP_1) | instskip(NEXT) | instid1(VALU_DEP_1)
	v_lshrrev_b32_e32 v4, s49, v4
	v_and_b32_e32 v4, s30, v4
	s_delay_alu instid0(VALU_DEP_1) | instskip(SKIP_2) | instid1(SALU_CYCLE_1)
	v_lshl_or_b32 v4, v4, 4, v5
	ds_add_u32 v4, v66
	s_or_b32 exec_lo, exec_lo, s8
	s_mov_b32 s8, exec_lo
	v_cmpx_lt_u32_e64 v37, v13
	s_cbranch_execnz .LBB1569_381
.LBB1569_388:                           ;   in Loop: Header=BB1569_358 Depth=2
	s_or_b32 exec_lo, exec_lo, s8
	s_delay_alu instid0(SALU_CYCLE_1)
	s_mov_b32 s8, exec_lo
	v_cmpx_lt_u32_e64 v39, v13
	s_cbranch_execz .LBB1569_357
.LBB1569_389:                           ;   in Loop: Header=BB1569_358 Depth=2
	s_waitcnt vmcnt(0)
	v_xor_b32_e32 v4, -1, v12
	v_lshlrev_b32_e32 v5, 2, v32
	s_delay_alu instid0(VALU_DEP_2) | instskip(NEXT) | instid1(VALU_DEP_1)
	v_and_b32_e32 v4, 1, v4
	v_and_b32_e32 v4, 0xffff, v4
	s_delay_alu instid0(VALU_DEP_1) | instskip(NEXT) | instid1(VALU_DEP_1)
	v_lshrrev_b32_e32 v4, s49, v4
	v_and_b32_e32 v4, s30, v4
	s_delay_alu instid0(VALU_DEP_1)
	v_lshl_or_b32 v4, v4, 4, v5
	ds_add_u32 v4, v66
	s_branch .LBB1569_357
.LBB1569_390:                           ;   in Loop: Header=BB1569_358 Depth=2
	s_or_b32 exec_lo, exec_lo, s12
	s_delay_alu instid0(SALU_CYCLE_1)
	s_mov_b32 s12, exec_lo
	v_cmpx_gt_u32_e64 s0, v29
	s_cbranch_execz .LBB1569_364
.LBB1569_391:                           ;   in Loop: Header=BB1569_358 Depth=2
	v_add_co_u32 v4, s13, s10, v1
	s_delay_alu instid0(VALU_DEP_1) | instskip(SKIP_2) | instid1(SALU_CYCLE_1)
	v_add_co_ci_u32_e64 v5, null, s11, 0, s13
	global_load_u8 v6, v[4:5], off offset:256
	s_or_b32 exec_lo, exec_lo, s12
	s_mov_b32 s12, exec_lo
	v_cmpx_gt_u32_e64 s0, v30
	s_cbranch_execnz .LBB1569_365
.LBB1569_392:                           ;   in Loop: Header=BB1569_358 Depth=2
	s_or_b32 exec_lo, exec_lo, s12
	s_delay_alu instid0(SALU_CYCLE_1)
	s_mov_b32 s12, exec_lo
	v_cmpx_gt_u32_e64 s0, v31
	s_cbranch_execz .LBB1569_366
.LBB1569_393:                           ;   in Loop: Header=BB1569_358 Depth=2
	v_add_co_u32 v4, s13, s10, v1
	s_delay_alu instid0(VALU_DEP_1) | instskip(SKIP_2) | instid1(SALU_CYCLE_1)
	v_add_co_ci_u32_e64 v5, null, s11, 0, s13
	global_load_u8 v8, v[4:5], off offset:768
	s_or_b32 exec_lo, exec_lo, s12
	s_mov_b32 s12, exec_lo
	v_cmpx_gt_u32_e64 s0, v35
	s_cbranch_execnz .LBB1569_367
.LBB1569_394:                           ;   in Loop: Header=BB1569_358 Depth=2
	s_or_b32 exec_lo, exec_lo, s12
	s_delay_alu instid0(SALU_CYCLE_1)
	s_mov_b32 s12, exec_lo
	v_cmpx_gt_u32_e64 s0, v36
	s_cbranch_execz .LBB1569_368
.LBB1569_395:                           ;   in Loop: Header=BB1569_358 Depth=2
	v_add_co_u32 v4, s13, s10, v1
	s_delay_alu instid0(VALU_DEP_1) | instskip(SKIP_2) | instid1(SALU_CYCLE_1)
	v_add_co_ci_u32_e64 v5, null, s11, 0, s13
	global_load_u8 v10, v[4:5], off offset:1280
	s_or_b32 exec_lo, exec_lo, s12
	s_mov_b32 s12, exec_lo
	v_cmpx_gt_u32_e64 s0, v37
	s_cbranch_execz .LBB1569_370
	s_branch .LBB1569_369
.LBB1569_396:                           ;   in Loop: Header=BB1569_20 Depth=1
	v_mov_b32_e32 v2, 0
	s_waitcnt vmcnt(0) lgkmcnt(0)
	s_barrier
	buffer_gl0_inv
	s_and_saveexec_b32 s0, s2
	s_cbranch_execz .LBB1569_398
; %bb.397:                              ;   in Loop: Header=BB1569_20 Depth=1
	ds_load_2addr_b64 v[4:7], v40 offset1:1
	s_waitcnt lgkmcnt(0)
	v_add_nc_u32_e32 v2, v5, v4
	s_delay_alu instid0(VALU_DEP_1)
	v_add3_u32 v2, v2, v6, v7
.LBB1569_398:                           ;   in Loop: Header=BB1569_20 Depth=1
	s_or_b32 exec_lo, exec_lo, s0
	v_and_b32_e32 v4, 15, v63
	s_delay_alu instid0(VALU_DEP_2) | instskip(SKIP_1) | instid1(VALU_DEP_3)
	v_mov_b32_dpp v5, v2 row_shr:1 row_mask:0xf bank_mask:0xf
	v_and_b32_e32 v6, 16, v63
	v_cmp_eq_u32_e64 s0, 0, v4
	v_cmp_lt_u32_e64 s1, 1, v4
	v_cmp_lt_u32_e64 s8, 3, v4
	v_cmp_lt_u32_e64 s9, 7, v4
	v_cmp_eq_u32_e64 s10, 0, v6
	v_cndmask_b32_e64 v5, v5, 0, s0
	s_delay_alu instid0(VALU_DEP_1) | instskip(NEXT) | instid1(VALU_DEP_1)
	v_add_nc_u32_e32 v2, v5, v2
	v_mov_b32_dpp v5, v2 row_shr:2 row_mask:0xf bank_mask:0xf
	s_delay_alu instid0(VALU_DEP_1) | instskip(NEXT) | instid1(VALU_DEP_1)
	v_cndmask_b32_e64 v5, 0, v5, s1
	v_add_nc_u32_e32 v2, v2, v5
	s_delay_alu instid0(VALU_DEP_1) | instskip(NEXT) | instid1(VALU_DEP_1)
	v_mov_b32_dpp v5, v2 row_shr:4 row_mask:0xf bank_mask:0xf
	v_cndmask_b32_e64 v5, 0, v5, s8
	s_delay_alu instid0(VALU_DEP_1) | instskip(NEXT) | instid1(VALU_DEP_1)
	v_add_nc_u32_e32 v2, v2, v5
	v_mov_b32_dpp v5, v2 row_shr:8 row_mask:0xf bank_mask:0xf
	s_delay_alu instid0(VALU_DEP_1) | instskip(SKIP_1) | instid1(VALU_DEP_2)
	v_cndmask_b32_e64 v4, 0, v5, s9
	v_bfe_i32 v5, v63, 4, 1
	v_add_nc_u32_e32 v2, v2, v4
	ds_swizzle_b32 v4, v2 offset:swizzle(BROADCAST,32,15)
	s_waitcnt lgkmcnt(0)
	v_and_b32_e32 v4, v5, v4
	s_delay_alu instid0(VALU_DEP_1)
	v_add_nc_u32_e32 v4, v2, v4
	s_and_saveexec_b32 s11, s3
	s_cbranch_execz .LBB1569_400
; %bb.399:                              ;   in Loop: Header=BB1569_20 Depth=1
	ds_store_b32 v41, v4
.LBB1569_400:                           ;   in Loop: Header=BB1569_20 Depth=1
	s_or_b32 exec_lo, exec_lo, s11
	v_and_b32_e32 v2, 7, v63
	s_waitcnt lgkmcnt(0)
	s_barrier
	buffer_gl0_inv
	s_and_saveexec_b32 s11, s4
	s_cbranch_execz .LBB1569_402
; %bb.401:                              ;   in Loop: Header=BB1569_20 Depth=1
	ds_load_b32 v5, v42
	v_cmp_ne_u32_e32 vcc_lo, 0, v2
	s_waitcnt lgkmcnt(0)
	v_mov_b32_dpp v6, v5 row_shr:1 row_mask:0xf bank_mask:0xf
	s_delay_alu instid0(VALU_DEP_1) | instskip(SKIP_1) | instid1(VALU_DEP_2)
	v_cndmask_b32_e32 v6, 0, v6, vcc_lo
	v_cmp_lt_u32_e32 vcc_lo, 1, v2
	v_add_nc_u32_e32 v5, v6, v5
	s_delay_alu instid0(VALU_DEP_1) | instskip(NEXT) | instid1(VALU_DEP_1)
	v_mov_b32_dpp v6, v5 row_shr:2 row_mask:0xf bank_mask:0xf
	v_cndmask_b32_e32 v6, 0, v6, vcc_lo
	v_cmp_lt_u32_e32 vcc_lo, 3, v2
	s_delay_alu instid0(VALU_DEP_2) | instskip(NEXT) | instid1(VALU_DEP_1)
	v_add_nc_u32_e32 v5, v5, v6
	v_mov_b32_dpp v6, v5 row_shr:4 row_mask:0xf bank_mask:0xf
	s_delay_alu instid0(VALU_DEP_1) | instskip(NEXT) | instid1(VALU_DEP_1)
	v_cndmask_b32_e32 v6, 0, v6, vcc_lo
	v_add_nc_u32_e32 v5, v5, v6
	ds_store_b32 v42, v5
.LBB1569_402:                           ;   in Loop: Header=BB1569_20 Depth=1
	s_or_b32 exec_lo, exec_lo, s11
	v_mov_b32_e32 v5, 0
	s_waitcnt lgkmcnt(0)
	s_barrier
	buffer_gl0_inv
	s_and_saveexec_b32 s11, s5
	s_cbranch_execz .LBB1569_404
; %bb.403:                              ;   in Loop: Header=BB1569_20 Depth=1
	ds_load_b32 v5, v43
.LBB1569_404:                           ;   in Loop: Header=BB1569_20 Depth=1
	s_or_b32 exec_lo, exec_lo, s11
	v_add_nc_u32_e32 v6, -1, v63
	s_waitcnt lgkmcnt(0)
	v_add_nc_u32_e32 v4, v5, v4
	v_cmp_eq_u32_e64 s11, 0, v63
	s_barrier
	v_cmp_gt_i32_e32 vcc_lo, 0, v6
	buffer_gl0_inv
	v_cndmask_b32_e32 v6, v6, v63, vcc_lo
	s_delay_alu instid0(VALU_DEP_1)
	v_lshlrev_b32_e32 v69, 2, v6
	ds_bpermute_b32 v4, v69, v4
	s_and_saveexec_b32 s12, s2
	s_cbranch_execz .LBB1569_406
; %bb.405:                              ;   in Loop: Header=BB1569_20 Depth=1
	s_waitcnt lgkmcnt(0)
	v_cndmask_b32_e64 v4, v4, v5, s11
	s_delay_alu instid0(VALU_DEP_1)
	v_add_nc_u32_e32 v4, s33, v4
	ds_store_b32 v28, v4
.LBB1569_406:                           ;   in Loop: Header=BB1569_20 Depth=1
	s_or_b32 exec_lo, exec_lo, s12
	s_load_b64 s[12:13], s[28:29], 0x0
	v_add_co_u32 v71, vcc_lo, v64, v63
	v_add_co_ci_u32_e32 v72, vcc_lo, 0, v65, vcc_lo
	v_or_b32_e32 v70, v63, v44
	s_mov_b32 s31, s51
	s_mov_b32 s26, s33
                                        ; implicit-def: $vgpr8_vgpr9
                                        ; implicit-def: $vgpr10_vgpr11
                                        ; implicit-def: $vgpr12_vgpr13
                                        ; implicit-def: $vgpr14_vgpr15
                                        ; implicit-def: $vgpr16_vgpr17
                                        ; implicit-def: $vgpr18_vgpr19
                                        ; implicit-def: $vgpr85
                                        ; implicit-def: $vgpr86
                                        ; implicit-def: $vgpr87
                                        ; implicit-def: $vgpr88
                                        ; implicit-def: $vgpr89
                                        ; implicit-def: $vgpr90
                                        ; implicit-def: $vgpr91
                                        ; implicit-def: $vgpr92
	s_delay_alu instid0(VALU_DEP_1)
	v_or_b32_e32 v75, 32, v70
	v_or_b32_e32 v76, 64, v70
	;; [unrolled: 1-line block ×7, first 2 shown]
	s_waitcnt lgkmcnt(0)
	s_cmp_lt_u32 s15, s13
	s_cselect_b32 s13, 14, 20
	s_delay_alu instid0(SALU_CYCLE_1) | instskip(SKIP_4) | instid1(SALU_CYCLE_1)
	s_add_u32 s16, s28, s13
	s_addc_u32 s17, s29, 0
	s_cmp_lt_u32 s14, s12
	global_load_u16 v4, v3, s[16:17]
	s_cselect_b32 s12, 12, 18
	s_add_u32 s12, s28, s12
	s_addc_u32 s13, s29, 0
	global_load_u16 v6, v3, s[12:13]
	v_cmp_eq_u32_e64 s12, 0, v2
	v_cmp_lt_u32_e64 s13, 1, v2
	v_cmp_lt_u32_e64 s16, 3, v2
	v_lshlrev_b32_e32 v2, 3, v63
	s_delay_alu instid0(VALU_DEP_1)
	v_add_co_u32 v73, vcc_lo, v61, v2
	v_add_co_ci_u32_e32 v74, vcc_lo, 0, v62, vcc_lo
	v_add_co_u32 v83, vcc_lo, 0xe0, v71
	v_add_co_ci_u32_e32 v84, vcc_lo, 0, v72, vcc_lo
	s_waitcnt vmcnt(1)
	v_mad_u32_u24 v7, v45, v4, v0
	s_waitcnt vmcnt(0)
	s_delay_alu instid0(VALU_DEP_1) | instskip(NEXT) | instid1(VALU_DEP_1)
	v_mad_u64_u32 v[4:5], null, v7, v6, v[1:2]
                                        ; implicit-def: $vgpr6_vgpr7
	v_lshrrev_b32_e32 v82, 5, v4
                                        ; implicit-def: $vgpr4_vgpr5
	s_branch .LBB1569_408
.LBB1569_407:                           ;   in Loop: Header=BB1569_408 Depth=2
	s_or_b32 exec_lo, exec_lo, s17
	s_addk_i32 s31, 0xf800
	s_cmp_lt_u32 s42, s34
	s_mov_b32 s26, s42
	s_cbranch_scc0 .LBB1569_520
.LBB1569_408:                           ;   Parent Loop BB1569_20 Depth=1
                                        ; =>  This Inner Loop Header: Depth=2
	s_add_i32 s42, s26, 0x800
	s_delay_alu instid0(SALU_CYCLE_1)
	s_cmp_gt_u32 s42, s34
	s_cbranch_scc1 .LBB1569_410
; %bb.409:                              ;   in Loop: Header=BB1569_408 Depth=2
	v_add_co_u32 v20, vcc_lo, v71, s26
	v_add_co_ci_u32_e32 v21, vcc_lo, 0, v72, vcc_lo
	s_mov_b32 s19, 0
	s_mov_b32 s18, s26
	s_mov_b32 s20, -1
	s_clause 0x6
	global_load_u8 v2, v[20:21], off offset:32
	global_load_u8 v22, v[20:21], off offset:96
	;; [unrolled: 1-line block ×3, first 2 shown]
	global_load_u8 v24, v[20:21], off
	global_load_u8 v25, v[20:21], off offset:64
	global_load_u8 v26, v[20:21], off offset:128
	;; [unrolled: 1-line block ×3, first 2 shown]
	s_movk_i32 s17, 0x800
	s_waitcnt vmcnt(6)
	v_lshlrev_b16 v2, 8, v2
	s_waitcnt vmcnt(5)
	v_lshlrev_b16 v20, 8, v22
	;; [unrolled: 2-line block ×3, first 2 shown]
	s_waitcnt vmcnt(3)
	v_or_b32_e32 v2, v24, v2
	s_waitcnt vmcnt(2)
	v_or_b32_e32 v20, v25, v20
	;; [unrolled: 2-line block ×3, first 2 shown]
	v_and_b32_e32 v2, 0xffff, v2
	s_delay_alu instid0(VALU_DEP_3) | instskip(NEXT) | instid1(VALU_DEP_3)
	v_lshlrev_b32_e32 v20, 16, v20
	v_and_b32_e32 v22, 0xffff, v22
	s_delay_alu instid0(VALU_DEP_2) | instskip(SKIP_1) | instid1(VALU_DEP_2)
	v_or_b32_e32 v20, v2, v20
	s_waitcnt vmcnt(0)
	v_lshl_or_b32 v21, v21, 16, v22
	s_cbranch_execz .LBB1569_411
	s_branch .LBB1569_420
.LBB1569_410:                           ;   in Loop: Header=BB1569_408 Depth=2
	s_mov_b32 s19, -1
	s_mov_b32 s20, 0
                                        ; implicit-def: $sgpr17
                                        ; implicit-def: $vgpr20_vgpr21
.LBB1569_411:                           ;   in Loop: Header=BB1569_408 Depth=2
	v_add_co_u32 v22, vcc_lo, v71, s26
	s_mov_b32 s18, s27
	s_mov_b32 s19, s27
	v_add_co_ci_u32_e32 v23, vcc_lo, 0, v72, vcc_lo
	v_dual_mov_b32 v21, s19 :: v_dual_mov_b32 v20, s18
	s_mov_b32 s17, exec_lo
	v_cmpx_gt_u32_e64 s31, v70
	s_cbranch_execz .LBB1569_514
; %bb.412:                              ;   in Loop: Header=BB1569_408 Depth=2
	global_load_u8 v2, v[22:23], off
	s_waitcnt vmcnt(0)
	v_dual_mov_b32 v21, s27 :: v_dual_and_b32 v20, 0xffff, v2
	s_or_b32 exec_lo, exec_lo, s17
	s_delay_alu instid0(SALU_CYCLE_1)
	s_mov_b32 s17, exec_lo
	v_cmpx_gt_u32_e64 s31, v75
	s_cbranch_execnz .LBB1569_515
.LBB1569_413:                           ;   in Loop: Header=BB1569_408 Depth=2
	s_or_b32 exec_lo, exec_lo, s17
	s_delay_alu instid0(SALU_CYCLE_1)
	s_mov_b32 s17, exec_lo
	v_cmpx_gt_u32_e64 s31, v76
	s_cbranch_execz .LBB1569_516
.LBB1569_414:                           ;   in Loop: Header=BB1569_408 Depth=2
	global_load_u8 v2, v[22:23], off offset:64
	v_lshrrev_b32_e32 v24, 16, v20
	s_delay_alu instid0(VALU_DEP_1) | instskip(SKIP_1) | instid1(VALU_DEP_1)
	v_and_b32_e32 v24, 0xffffff00, v24
	s_waitcnt vmcnt(0)
	v_or_b32_e32 v2, v2, v24
	s_delay_alu instid0(VALU_DEP_1) | instskip(NEXT) | instid1(VALU_DEP_1)
	v_lshlrev_b32_e32 v2, 16, v2
	v_and_or_b32 v20, 0xffff, v20, v2
	s_or_b32 exec_lo, exec_lo, s17
	s_delay_alu instid0(SALU_CYCLE_1)
	s_mov_b32 s17, exec_lo
	v_cmpx_gt_u32_e64 s31, v77
	s_cbranch_execnz .LBB1569_517
.LBB1569_415:                           ;   in Loop: Header=BB1569_408 Depth=2
	s_or_b32 exec_lo, exec_lo, s17
	s_delay_alu instid0(SALU_CYCLE_1)
	s_mov_b32 s17, exec_lo
	v_cmpx_gt_u32_e64 s31, v78
	s_cbranch_execz .LBB1569_518
.LBB1569_416:                           ;   in Loop: Header=BB1569_408 Depth=2
	global_load_u8 v2, v[22:23], off offset:128
	s_waitcnt vmcnt(0)
	v_perm_b32 v21, v2, v21, 0x3020104
	s_or_b32 exec_lo, exec_lo, s17
	s_delay_alu instid0(SALU_CYCLE_1)
	s_mov_b32 s17, exec_lo
	v_cmpx_gt_u32_e64 s31, v79
	s_cbranch_execnz .LBB1569_519
.LBB1569_417:                           ;   in Loop: Header=BB1569_408 Depth=2
	s_or_b32 exec_lo, exec_lo, s17
	s_delay_alu instid0(SALU_CYCLE_1)
	s_mov_b32 s17, exec_lo
	v_cmpx_gt_u32_e64 s31, v80
	s_cbranch_execz .LBB1569_419
.LBB1569_418:                           ;   in Loop: Header=BB1569_408 Depth=2
	global_load_u8 v2, v[22:23], off offset:192
	s_waitcnt vmcnt(0)
	v_perm_b32 v21, v21, v2, 0x7000504
.LBB1569_419:                           ;   in Loop: Header=BB1569_408 Depth=2
	s_or_b32 exec_lo, exec_lo, s17
	v_cmp_gt_u32_e64 s20, s31, v81
	s_sub_i32 s17, s34, s26
	s_mov_b64 s[18:19], s[26:27]
.LBB1569_420:                           ;   in Loop: Header=BB1569_408 Depth=2
	v_mov_b32_e32 v2, s31
	s_delay_alu instid0(VALU_DEP_2)
	s_and_saveexec_b32 s21, s20
	s_cbranch_execz .LBB1569_422
; %bb.421:                              ;   in Loop: Header=BB1569_408 Depth=2
	v_add_co_u32 v22, vcc_lo, v83, s18
	v_add_co_ci_u32_e32 v23, vcc_lo, s19, v84, vcc_lo
	global_load_u8 v2, v[22:23], off
	s_waitcnt vmcnt(0)
	v_perm_b32 v21, v21, v2, 0x60504
	v_mov_b32_e32 v2, s17
.LBB1569_422:                           ;   in Loop: Header=BB1569_408 Depth=2
	s_or_b32 exec_lo, exec_lo, s21
	v_and_b32_e32 v22, 1, v20
	v_lshrrev_b16 v25, 8, v20
	v_and_b32_e32 v95, 0x10000, v20
	v_and_b32_e32 v94, 0x10000, v21
	v_lshrrev_b16 v26, 8, v21
	v_cmp_eq_u32_e32 vcc_lo, 1, v22
	v_and_b32_e32 v27, 0x1000000, v21
	v_and_b32_e32 v21, 1, v21
	v_cmp_ne_u32_e64 s21, 0, v95
	ds_store_b32 v46, v3 offset:1056
	s_xor_b32 s17, vcc_lo, -1
	ds_store_2addr_b32 v47, v3, v3 offset0:1 offset1:2
	ds_store_2addr_b32 v47, v3, v3 offset0:3 offset1:4
	;; [unrolled: 1-line block ×4, first 2 shown]
	v_cndmask_b32_e64 v93, 0, 1, s17
	v_cmp_eq_u32_e64 s19, 1, v21
	s_waitcnt lgkmcnt(0)
	s_barrier
	buffer_gl0_inv
	v_lshrrev_b32_e32 v22, s49, v93
	; wave barrier
	s_delay_alu instid0(VALU_DEP_1) | instskip(NEXT) | instid1(VALU_DEP_1)
	v_and_b32_e32 v22, s30, v22
	v_add_co_u32 v23, s17, v22, -1
	s_delay_alu instid0(VALU_DEP_1) | instskip(SKIP_2) | instid1(VALU_DEP_3)
	v_cndmask_b32_e64 v24, 0, 1, s17
	v_cmp_ne_u32_e64 s17, 0, v94
	v_mad_u32_u24 v21, v22, 9, v82
	v_cmp_ne_u32_e32 vcc_lo, 0, v24
	v_and_b32_e32 v24, 0x1000000, v20
	s_delay_alu instid0(VALU_DEP_3)
	v_lshl_add_u32 v96, v21, 2, 0x420
	v_xor_b32_e32 v20, vcc_lo, v23
	v_and_b32_e32 v23, 1, v25
	v_and_b32_e32 v25, 1, v26
	v_cmp_ne_u32_e32 vcc_lo, 0, v27
	v_cmp_ne_u32_e64 s20, 0, v24
	v_and_b32_e32 v20, exec_lo, v20
	v_cmp_eq_u32_e64 s22, 1, v23
	v_cmp_eq_u32_e64 s18, 1, v25
	s_delay_alu instid0(VALU_DEP_3) | instskip(SKIP_1) | instid1(VALU_DEP_2)
	v_mbcnt_lo_u32_b32 v94, v20, 0
	v_cmp_ne_u32_e64 s24, 0, v20
	v_cmp_eq_u32_e64 s23, 0, v94
	s_delay_alu instid0(VALU_DEP_1) | instskip(NEXT) | instid1(SALU_CYCLE_1)
	s_and_b32 s24, s24, s23
	s_and_saveexec_b32 s23, s24
	s_cbranch_execz .LBB1569_424
; %bb.423:                              ;   in Loop: Header=BB1569_408 Depth=2
	v_bcnt_u32_b32 v20, v20, 0
	ds_store_b32 v96, v20
.LBB1569_424:                           ;   in Loop: Header=BB1569_408 Depth=2
	s_or_b32 exec_lo, exec_lo, s23
	s_xor_b32 s22, s22, -1
	s_delay_alu instid0(SALU_CYCLE_1) | instskip(NEXT) | instid1(VALU_DEP_1)
	v_cndmask_b32_e64 v95, 0, 1, s22
	; wave barrier
	v_lshrrev_b32_e32 v20, s49, v95
	s_delay_alu instid0(VALU_DEP_1) | instskip(NEXT) | instid1(VALU_DEP_1)
	v_and_b32_e32 v20, s30, v20
	v_add_co_u32 v21, s22, v20, -1
	s_delay_alu instid0(VALU_DEP_1) | instskip(SKIP_1) | instid1(VALU_DEP_2)
	v_cndmask_b32_e64 v22, 0, 1, s22
	v_mul_u32_u24_e32 v20, 9, v20
	v_cmp_ne_u32_e64 s22, 0, v22
	s_delay_alu instid0(VALU_DEP_2) | instskip(NEXT) | instid1(VALU_DEP_2)
	v_add_lshl_u32 v22, v20, v82, 2
	v_xor_b32_e32 v20, s22, v21
	ds_load_b32 v97, v22 offset:1056
	v_add_nc_u32_e32 v100, 0x420, v22
	; wave barrier
	v_and_b32_e32 v20, exec_lo, v20
	s_delay_alu instid0(VALU_DEP_1) | instskip(SKIP_1) | instid1(VALU_DEP_2)
	v_mbcnt_lo_u32_b32 v98, v20, 0
	v_cmp_ne_u32_e64 s23, 0, v20
	v_cmp_eq_u32_e64 s22, 0, v98
	s_delay_alu instid0(VALU_DEP_1) | instskip(NEXT) | instid1(SALU_CYCLE_1)
	s_and_b32 s23, s23, s22
	s_and_saveexec_b32 s22, s23
	s_cbranch_execz .LBB1569_426
; %bb.425:                              ;   in Loop: Header=BB1569_408 Depth=2
	s_waitcnt lgkmcnt(0)
	v_bcnt_u32_b32 v20, v20, v97
	ds_store_b32 v100, v20
.LBB1569_426:                           ;   in Loop: Header=BB1569_408 Depth=2
	s_or_b32 exec_lo, exec_lo, s22
	s_xor_b32 s21, s21, -1
	s_delay_alu instid0(SALU_CYCLE_1) | instskip(NEXT) | instid1(VALU_DEP_1)
	v_cndmask_b32_e64 v99, 0, 1, s21
	; wave barrier
	v_lshrrev_b32_e32 v20, s49, v99
	s_delay_alu instid0(VALU_DEP_1) | instskip(NEXT) | instid1(VALU_DEP_1)
	v_and_b32_e32 v20, s30, v20
	v_add_co_u32 v21, s21, v20, -1
	s_delay_alu instid0(VALU_DEP_1) | instskip(SKIP_1) | instid1(VALU_DEP_2)
	v_cndmask_b32_e64 v22, 0, 1, s21
	v_mul_u32_u24_e32 v20, 9, v20
	v_cmp_ne_u32_e64 s21, 0, v22
	s_delay_alu instid0(VALU_DEP_2) | instskip(NEXT) | instid1(VALU_DEP_2)
	v_add_lshl_u32 v22, v20, v82, 2
	v_xor_b32_e32 v20, s21, v21
	ds_load_b32 v101, v22 offset:1056
	v_add_nc_u32_e32 v105, 0x420, v22
	; wave barrier
	v_and_b32_e32 v20, exec_lo, v20
	s_delay_alu instid0(VALU_DEP_1) | instskip(SKIP_1) | instid1(VALU_DEP_2)
	v_mbcnt_lo_u32_b32 v102, v20, 0
	v_cmp_ne_u32_e64 s22, 0, v20
	v_cmp_eq_u32_e64 s21, 0, v102
	s_delay_alu instid0(VALU_DEP_1) | instskip(NEXT) | instid1(SALU_CYCLE_1)
	s_and_b32 s22, s22, s21
	s_and_saveexec_b32 s21, s22
	s_cbranch_execz .LBB1569_428
; %bb.427:                              ;   in Loop: Header=BB1569_408 Depth=2
	s_waitcnt lgkmcnt(0)
	v_bcnt_u32_b32 v20, v20, v101
	ds_store_b32 v105, v20
.LBB1569_428:                           ;   in Loop: Header=BB1569_408 Depth=2
	;; [unrolled: 33-line block ×6, first 2 shown]
	s_or_b32 exec_lo, exec_lo, s17
	s_xor_b32 s17, vcc_lo, -1
	s_delay_alu instid0(SALU_CYCLE_1) | instskip(NEXT) | instid1(VALU_DEP_1)
	v_cndmask_b32_e64 v119, 0, 1, s17
	; wave barrier
	v_lshrrev_b32_e32 v20, s49, v119
	s_delay_alu instid0(VALU_DEP_1) | instskip(NEXT) | instid1(VALU_DEP_1)
	v_and_b32_e32 v20, s30, v20
	v_add_co_u32 v21, s17, v20, -1
	s_delay_alu instid0(VALU_DEP_1) | instskip(SKIP_1) | instid1(VALU_DEP_2)
	v_cndmask_b32_e64 v22, 0, 1, s17
	v_mul_u32_u24_e32 v20, 9, v20
	v_cmp_ne_u32_e32 vcc_lo, 0, v22
	s_delay_alu instid0(VALU_DEP_2) | instskip(SKIP_4) | instid1(VALU_DEP_1)
	v_add_lshl_u32 v22, v20, v82, 2
	v_xor_b32_e32 v20, vcc_lo, v21
	ds_load_b32 v120, v22 offset:1056
	v_add_nc_u32_e32 v123, 0x420, v22
	; wave barrier
	v_and_b32_e32 v20, exec_lo, v20
	v_mbcnt_lo_u32_b32 v122, v20, 0
	v_cmp_ne_u32_e64 s17, 0, v20
	s_delay_alu instid0(VALU_DEP_2) | instskip(NEXT) | instid1(VALU_DEP_2)
	v_cmp_eq_u32_e32 vcc_lo, 0, v122
	s_and_b32 s18, s17, vcc_lo
	s_delay_alu instid0(SALU_CYCLE_1)
	s_and_saveexec_b32 s17, s18
	s_cbranch_execz .LBB1569_438
; %bb.437:                              ;   in Loop: Header=BB1569_408 Depth=2
	s_waitcnt lgkmcnt(0)
	v_bcnt_u32_b32 v20, v20, v120
	ds_store_b32 v123, v20
.LBB1569_438:                           ;   in Loop: Header=BB1569_408 Depth=2
	s_or_b32 exec_lo, exec_lo, s17
	; wave barrier
	s_waitcnt lgkmcnt(0)
	s_barrier
	buffer_gl0_inv
	ds_load_b32 v124, v46 offset:1056
	ds_load_2addr_b32 v[26:27], v47 offset0:1 offset1:2
	ds_load_2addr_b32 v[24:25], v47 offset0:3 offset1:4
	;; [unrolled: 1-line block ×4, first 2 shown]
	s_waitcnt lgkmcnt(3)
	v_add3_u32 v125, v26, v124, v27
	s_waitcnt lgkmcnt(2)
	s_delay_alu instid0(VALU_DEP_1) | instskip(SKIP_1) | instid1(VALU_DEP_1)
	v_add3_u32 v125, v125, v24, v25
	s_waitcnt lgkmcnt(1)
	v_add3_u32 v125, v125, v20, v21
	s_waitcnt lgkmcnt(0)
	s_delay_alu instid0(VALU_DEP_1) | instskip(NEXT) | instid1(VALU_DEP_1)
	v_add3_u32 v23, v125, v22, v23
	v_mov_b32_dpp v125, v23 row_shr:1 row_mask:0xf bank_mask:0xf
	s_delay_alu instid0(VALU_DEP_1) | instskip(NEXT) | instid1(VALU_DEP_1)
	v_cndmask_b32_e64 v125, v125, 0, s0
	v_add_nc_u32_e32 v23, v125, v23
	s_delay_alu instid0(VALU_DEP_1) | instskip(NEXT) | instid1(VALU_DEP_1)
	v_mov_b32_dpp v125, v23 row_shr:2 row_mask:0xf bank_mask:0xf
	v_cndmask_b32_e64 v125, 0, v125, s1
	s_delay_alu instid0(VALU_DEP_1) | instskip(NEXT) | instid1(VALU_DEP_1)
	v_add_nc_u32_e32 v23, v23, v125
	v_mov_b32_dpp v125, v23 row_shr:4 row_mask:0xf bank_mask:0xf
	s_delay_alu instid0(VALU_DEP_1) | instskip(NEXT) | instid1(VALU_DEP_1)
	v_cndmask_b32_e64 v125, 0, v125, s8
	v_add_nc_u32_e32 v23, v23, v125
	s_delay_alu instid0(VALU_DEP_1) | instskip(NEXT) | instid1(VALU_DEP_1)
	v_mov_b32_dpp v125, v23 row_shr:8 row_mask:0xf bank_mask:0xf
	v_cndmask_b32_e64 v125, 0, v125, s9
	s_delay_alu instid0(VALU_DEP_1) | instskip(SKIP_3) | instid1(VALU_DEP_1)
	v_add_nc_u32_e32 v23, v23, v125
	ds_swizzle_b32 v125, v23 offset:swizzle(BROADCAST,32,15)
	s_waitcnt lgkmcnt(0)
	v_cndmask_b32_e64 v125, v125, 0, s10
	v_add_nc_u32_e32 v23, v23, v125
	s_and_saveexec_b32 s17, s3
	s_cbranch_execz .LBB1569_440
; %bb.439:                              ;   in Loop: Header=BB1569_408 Depth=2
	ds_store_b32 v38, v23 offset:1024
.LBB1569_440:                           ;   in Loop: Header=BB1569_408 Depth=2
	s_or_b32 exec_lo, exec_lo, s17
	s_waitcnt lgkmcnt(0)
	s_barrier
	buffer_gl0_inv
	s_and_saveexec_b32 s17, s4
	s_cbranch_execz .LBB1569_442
; %bb.441:                              ;   in Loop: Header=BB1569_408 Depth=2
	v_add_nc_u32_e32 v125, v46, v48
	ds_load_b32 v126, v125 offset:1024
	s_waitcnt lgkmcnt(0)
	v_mov_b32_dpp v127, v126 row_shr:1 row_mask:0xf bank_mask:0xf
	s_delay_alu instid0(VALU_DEP_1) | instskip(NEXT) | instid1(VALU_DEP_1)
	v_cndmask_b32_e64 v127, v127, 0, s12
	v_add_nc_u32_e32 v126, v127, v126
	s_delay_alu instid0(VALU_DEP_1) | instskip(NEXT) | instid1(VALU_DEP_1)
	v_mov_b32_dpp v127, v126 row_shr:2 row_mask:0xf bank_mask:0xf
	v_cndmask_b32_e64 v127, 0, v127, s13
	s_delay_alu instid0(VALU_DEP_1) | instskip(NEXT) | instid1(VALU_DEP_1)
	v_add_nc_u32_e32 v126, v126, v127
	v_mov_b32_dpp v127, v126 row_shr:4 row_mask:0xf bank_mask:0xf
	s_delay_alu instid0(VALU_DEP_1) | instskip(NEXT) | instid1(VALU_DEP_1)
	v_cndmask_b32_e64 v127, 0, v127, s16
	v_add_nc_u32_e32 v126, v126, v127
	ds_store_b32 v125, v126 offset:1024
.LBB1569_442:                           ;   in Loop: Header=BB1569_408 Depth=2
	s_or_b32 exec_lo, exec_lo, s17
	v_mov_b32_e32 v125, 0
	s_waitcnt lgkmcnt(0)
	s_barrier
	buffer_gl0_inv
	s_and_saveexec_b32 s17, s5
	s_cbranch_execz .LBB1569_444
; %bb.443:                              ;   in Loop: Header=BB1569_408 Depth=2
	ds_load_b32 v125, v38 offset:1020
.LBB1569_444:                           ;   in Loop: Header=BB1569_408 Depth=2
	s_or_b32 exec_lo, exec_lo, s17
	s_waitcnt lgkmcnt(0)
	v_add_nc_u32_e32 v23, v125, v23
	ds_bpermute_b32 v23, v69, v23
	s_waitcnt lgkmcnt(0)
	v_cndmask_b32_e64 v23, v23, v125, s11
	s_delay_alu instid0(VALU_DEP_1) | instskip(NEXT) | instid1(VALU_DEP_1)
	v_cndmask_b32_e64 v23, v23, 0, s6
	v_add_nc_u32_e32 v124, v23, v124
	s_delay_alu instid0(VALU_DEP_1) | instskip(NEXT) | instid1(VALU_DEP_1)
	v_add_nc_u32_e32 v26, v124, v26
	v_add_nc_u32_e32 v27, v26, v27
	s_delay_alu instid0(VALU_DEP_1) | instskip(NEXT) | instid1(VALU_DEP_1)
	v_add_nc_u32_e32 v24, v27, v24
	;; [unrolled: 3-line block ×3, first 2 shown]
	v_add_nc_u32_e32 v21, v20, v21
	s_delay_alu instid0(VALU_DEP_1)
	v_add_nc_u32_e32 v22, v21, v22
	ds_store_b32 v46, v23 offset:1056
	ds_store_2addr_b32 v47, v124, v26 offset0:1 offset1:2
	ds_store_2addr_b32 v47, v27, v24 offset0:3 offset1:4
	;; [unrolled: 1-line block ×4, first 2 shown]
	v_mov_b32_e32 v22, 0x800
	s_waitcnt lgkmcnt(0)
	s_barrier
	buffer_gl0_inv
	ds_load_b32 v20, v100
	ds_load_b32 v21, v105
	;; [unrolled: 1-line block ×8, first 2 shown]
	ds_load_b32 v27, v46 offset:1056
	s_and_saveexec_b32 s17, s7
	s_cbranch_execz .LBB1569_446
; %bb.445:                              ;   in Loop: Header=BB1569_408 Depth=2
	ds_load_b32 v22, v49 offset:1056
.LBB1569_446:                           ;   in Loop: Header=BB1569_408 Depth=2
	s_or_b32 exec_lo, exec_lo, s17
	s_waitcnt lgkmcnt(0)
	s_barrier
	buffer_gl0_inv
	s_and_saveexec_b32 s17, s2
	s_cbranch_execz .LBB1569_448
; %bb.447:                              ;   in Loop: Header=BB1569_408 Depth=2
	ds_load_b32 v96, v28
	s_waitcnt lgkmcnt(0)
	v_sub_nc_u32_e32 v27, v96, v27
	ds_store_b32 v28, v27
.LBB1569_448:                           ;   in Loop: Header=BB1569_408 Depth=2
	s_or_b32 exec_lo, exec_lo, s17
	v_add_nc_u32_e32 v100, v26, v94
	v_add3_u32 v96, v98, v97, v20
	v_add3_u32 v94, v102, v101, v21
	;; [unrolled: 1-line block ×7, first 2 shown]
	v_cmp_lt_u32_e64 s22, v1, v2
	ds_store_b8 v100, v93 offset:1024
	ds_store_b8 v96, v95 offset:1024
	;; [unrolled: 1-line block ×8, first 2 shown]
	s_waitcnt lgkmcnt(0)
	s_barrier
	buffer_gl0_inv
	s_and_saveexec_b32 s17, s22
	s_cbranch_execz .LBB1569_456
; %bb.449:                              ;   in Loop: Header=BB1569_408 Depth=2
	ds_load_u8 v20, v1 offset:1024
	s_waitcnt lgkmcnt(0)
	v_and_b32_e32 v21, 1, v20
	v_xor_b32_e32 v20, 1, v20
	s_delay_alu instid0(VALU_DEP_2) | instskip(NEXT) | instid1(VALU_DEP_1)
	v_lshrrev_b32_e32 v21, s49, v21
	v_and_b32_e32 v21, s30, v21
	s_delay_alu instid0(VALU_DEP_1)
	v_lshlrev_b32_e32 v21, 2, v21
	ds_load_b32 v21, v21
	s_waitcnt lgkmcnt(0)
	v_add_nc_u32_e32 v21, v21, v1
	global_store_b8 v21, v20, s[38:39]
	s_or_b32 exec_lo, exec_lo, s17
	v_cmp_lt_u32_e64 s23, v29, v2
	s_delay_alu instid0(VALU_DEP_1)
	s_and_saveexec_b32 s17, s23
	s_cbranch_execnz .LBB1569_457
.LBB1569_450:                           ;   in Loop: Header=BB1569_408 Depth=2
	s_or_b32 exec_lo, exec_lo, s17
	v_cmp_lt_u32_e64 s21, v30, v2
	s_delay_alu instid0(VALU_DEP_1)
	s_and_saveexec_b32 s17, s21
	s_cbranch_execz .LBB1569_458
.LBB1569_451:                           ;   in Loop: Header=BB1569_408 Depth=2
	ds_load_u8 v20, v35 offset:512
	s_waitcnt lgkmcnt(0)
	v_and_b32_e32 v21, 1, v20
	v_xor_b32_e32 v20, 1, v20
	s_delay_alu instid0(VALU_DEP_2) | instskip(NEXT) | instid1(VALU_DEP_1)
	v_lshrrev_b32_e32 v21, s49, v21
	v_and_b32_e32 v21, s30, v21
	s_delay_alu instid0(VALU_DEP_1)
	v_lshlrev_b32_e32 v21, 2, v21
	ds_load_b32 v21, v21
	s_waitcnt lgkmcnt(0)
	v_add_nc_u32_e32 v21, v21, v30
	global_store_b8 v21, v20, s[38:39]
	s_or_b32 exec_lo, exec_lo, s17
	v_cmp_lt_u32_e64 s20, v31, v2
	s_delay_alu instid0(VALU_DEP_1)
	s_and_saveexec_b32 s17, s20
	s_cbranch_execnz .LBB1569_459
.LBB1569_452:                           ;   in Loop: Header=BB1569_408 Depth=2
	s_or_b32 exec_lo, exec_lo, s17
	v_cmp_lt_u32_e64 s19, v35, v2
	s_delay_alu instid0(VALU_DEP_1)
	s_and_saveexec_b32 s17, s19
	s_cbranch_execz .LBB1569_460
.LBB1569_453:                           ;   in Loop: Header=BB1569_408 Depth=2
	ds_load_u8 v20, v35 offset:1024
	s_waitcnt lgkmcnt(0)
	v_and_b32_e32 v21, 1, v20
	v_xor_b32_e32 v20, 1, v20
	s_delay_alu instid0(VALU_DEP_2) | instskip(NEXT) | instid1(VALU_DEP_1)
	v_lshrrev_b32_e32 v21, s49, v21
	v_and_b32_e32 v21, s30, v21
	s_delay_alu instid0(VALU_DEP_1)
	v_lshlrev_b32_e32 v21, 2, v21
	ds_load_b32 v21, v21
	s_waitcnt lgkmcnt(0)
	v_add_nc_u32_e32 v21, v21, v35
	global_store_b8 v21, v20, s[38:39]
	s_or_b32 exec_lo, exec_lo, s17
	v_cmp_lt_u32_e64 s18, v36, v2
	s_delay_alu instid0(VALU_DEP_1)
	s_and_saveexec_b32 s17, s18
	s_cbranch_execnz .LBB1569_461
.LBB1569_454:                           ;   in Loop: Header=BB1569_408 Depth=2
	s_or_b32 exec_lo, exec_lo, s17
	v_cmp_lt_u32_e64 s17, v37, v2
	s_delay_alu instid0(VALU_DEP_1)
	s_and_saveexec_b32 s24, s17
	s_cbranch_execz .LBB1569_462
.LBB1569_455:                           ;   in Loop: Header=BB1569_408 Depth=2
	ds_load_u8 v20, v35 offset:1536
	s_waitcnt lgkmcnt(0)
	v_and_b32_e32 v21, 1, v20
	v_xor_b32_e32 v20, 1, v20
	s_delay_alu instid0(VALU_DEP_2) | instskip(NEXT) | instid1(VALU_DEP_1)
	v_lshrrev_b32_e32 v21, s49, v21
	v_and_b32_e32 v21, s30, v21
	s_delay_alu instid0(VALU_DEP_1)
	v_lshlrev_b32_e32 v21, 2, v21
	ds_load_b32 v21, v21
	s_waitcnt lgkmcnt(0)
	v_add_nc_u32_e32 v21, v21, v37
	global_store_b8 v21, v20, s[38:39]
	s_or_b32 exec_lo, exec_lo, s24
	v_cmp_lt_u32_e32 vcc_lo, v39, v2
	s_and_saveexec_b32 s24, vcc_lo
	s_cbranch_execnz .LBB1569_463
	s_branch .LBB1569_464
.LBB1569_456:                           ;   in Loop: Header=BB1569_408 Depth=2
	s_or_b32 exec_lo, exec_lo, s17
	v_cmp_lt_u32_e64 s23, v29, v2
	s_delay_alu instid0(VALU_DEP_1)
	s_and_saveexec_b32 s17, s23
	s_cbranch_execz .LBB1569_450
.LBB1569_457:                           ;   in Loop: Header=BB1569_408 Depth=2
	ds_load_u8 v20, v35 offset:256
	s_waitcnt lgkmcnt(0)
	v_and_b32_e32 v21, 1, v20
	v_xor_b32_e32 v20, 1, v20
	s_delay_alu instid0(VALU_DEP_2) | instskip(NEXT) | instid1(VALU_DEP_1)
	v_lshrrev_b32_e32 v21, s49, v21
	v_and_b32_e32 v21, s30, v21
	s_delay_alu instid0(VALU_DEP_1)
	v_lshlrev_b32_e32 v21, 2, v21
	ds_load_b32 v21, v21
	s_waitcnt lgkmcnt(0)
	v_add_nc_u32_e32 v21, v21, v29
	global_store_b8 v21, v20, s[38:39]
	s_or_b32 exec_lo, exec_lo, s17
	v_cmp_lt_u32_e64 s21, v30, v2
	s_delay_alu instid0(VALU_DEP_1)
	s_and_saveexec_b32 s17, s21
	s_cbranch_execnz .LBB1569_451
.LBB1569_458:                           ;   in Loop: Header=BB1569_408 Depth=2
	s_or_b32 exec_lo, exec_lo, s17
	v_cmp_lt_u32_e64 s20, v31, v2
	s_delay_alu instid0(VALU_DEP_1)
	s_and_saveexec_b32 s17, s20
	s_cbranch_execz .LBB1569_452
.LBB1569_459:                           ;   in Loop: Header=BB1569_408 Depth=2
	ds_load_u8 v20, v35 offset:768
	s_waitcnt lgkmcnt(0)
	v_and_b32_e32 v21, 1, v20
	v_xor_b32_e32 v20, 1, v20
	s_delay_alu instid0(VALU_DEP_2) | instskip(NEXT) | instid1(VALU_DEP_1)
	v_lshrrev_b32_e32 v21, s49, v21
	v_and_b32_e32 v21, s30, v21
	s_delay_alu instid0(VALU_DEP_1)
	v_lshlrev_b32_e32 v21, 2, v21
	ds_load_b32 v21, v21
	s_waitcnt lgkmcnt(0)
	v_add_nc_u32_e32 v21, v21, v31
	global_store_b8 v21, v20, s[38:39]
	s_or_b32 exec_lo, exec_lo, s17
	v_cmp_lt_u32_e64 s19, v35, v2
	s_delay_alu instid0(VALU_DEP_1)
	s_and_saveexec_b32 s17, s19
	s_cbranch_execnz .LBB1569_453
.LBB1569_460:                           ;   in Loop: Header=BB1569_408 Depth=2
	s_or_b32 exec_lo, exec_lo, s17
	v_cmp_lt_u32_e64 s18, v36, v2
	s_delay_alu instid0(VALU_DEP_1)
	s_and_saveexec_b32 s17, s18
	s_cbranch_execz .LBB1569_454
.LBB1569_461:                           ;   in Loop: Header=BB1569_408 Depth=2
	ds_load_u8 v20, v35 offset:1280
	s_waitcnt lgkmcnt(0)
	v_and_b32_e32 v21, 1, v20
	v_xor_b32_e32 v20, 1, v20
	s_delay_alu instid0(VALU_DEP_2) | instskip(NEXT) | instid1(VALU_DEP_1)
	v_lshrrev_b32_e32 v21, s49, v21
	v_and_b32_e32 v21, s30, v21
	s_delay_alu instid0(VALU_DEP_1)
	v_lshlrev_b32_e32 v21, 2, v21
	ds_load_b32 v21, v21
	s_waitcnt lgkmcnt(0)
	v_add_nc_u32_e32 v21, v21, v36
	global_store_b8 v21, v20, s[38:39]
	s_or_b32 exec_lo, exec_lo, s17
	v_cmp_lt_u32_e64 s17, v37, v2
	s_delay_alu instid0(VALU_DEP_1)
	s_and_saveexec_b32 s24, s17
	s_cbranch_execnz .LBB1569_455
.LBB1569_462:                           ;   in Loop: Header=BB1569_408 Depth=2
	s_or_b32 exec_lo, exec_lo, s24
	v_cmp_lt_u32_e32 vcc_lo, v39, v2
	s_and_saveexec_b32 s24, vcc_lo
	s_cbranch_execz .LBB1569_464
.LBB1569_463:                           ;   in Loop: Header=BB1569_408 Depth=2
	ds_load_u8 v20, v35 offset:1792
	s_waitcnt lgkmcnt(0)
	v_and_b32_e32 v21, 1, v20
	v_xor_b32_e32 v20, 1, v20
	s_delay_alu instid0(VALU_DEP_2) | instskip(NEXT) | instid1(VALU_DEP_1)
	v_lshrrev_b32_e32 v21, s49, v21
	v_and_b32_e32 v21, s30, v21
	s_delay_alu instid0(VALU_DEP_1)
	v_lshlrev_b32_e32 v21, 2, v21
	ds_load_b32 v21, v21
	s_waitcnt lgkmcnt(0)
	v_add_nc_u32_e32 v21, v21, v39
	global_store_b8 v21, v20, s[38:39]
.LBB1569_464:                           ;   in Loop: Header=BB1569_408 Depth=2
	s_or_b32 exec_lo, exec_lo, s24
	s_lshl_b64 s[52:53], s[26:27], 3
	s_delay_alu instid0(SALU_CYCLE_1) | instskip(NEXT) | instid1(VALU_DEP_1)
	v_add_co_u32 v20, s24, v73, s52
	v_add_co_ci_u32_e64 v21, s24, s53, v74, s24
	v_cmp_lt_u32_e64 s24, v70, v2
	s_delay_alu instid0(VALU_DEP_1) | instskip(NEXT) | instid1(SALU_CYCLE_1)
	s_and_saveexec_b32 s26, s24
	s_xor_b32 s24, exec_lo, s26
	s_cbranch_execz .LBB1569_480
; %bb.465:                              ;   in Loop: Header=BB1569_408 Depth=2
	global_load_b64 v[18:19], v[20:21], off
	s_or_b32 exec_lo, exec_lo, s24
	s_delay_alu instid0(SALU_CYCLE_1)
	s_mov_b32 s26, exec_lo
	v_cmpx_lt_u32_e64 v75, v2
	s_cbranch_execnz .LBB1569_481
.LBB1569_466:                           ;   in Loop: Header=BB1569_408 Depth=2
	s_or_b32 exec_lo, exec_lo, s26
	s_delay_alu instid0(SALU_CYCLE_1)
	s_mov_b32 s26, exec_lo
	v_cmpx_lt_u32_e64 v76, v2
	s_cbranch_execz .LBB1569_482
.LBB1569_467:                           ;   in Loop: Header=BB1569_408 Depth=2
	global_load_b64 v[14:15], v[20:21], off offset:512
	s_or_b32 exec_lo, exec_lo, s26
	s_delay_alu instid0(SALU_CYCLE_1)
	s_mov_b32 s26, exec_lo
	v_cmpx_lt_u32_e64 v77, v2
	s_cbranch_execnz .LBB1569_483
.LBB1569_468:                           ;   in Loop: Header=BB1569_408 Depth=2
	s_or_b32 exec_lo, exec_lo, s26
	s_delay_alu instid0(SALU_CYCLE_1)
	s_mov_b32 s26, exec_lo
	v_cmpx_lt_u32_e64 v78, v2
	s_cbranch_execz .LBB1569_484
.LBB1569_469:                           ;   in Loop: Header=BB1569_408 Depth=2
	global_load_b64 v[10:11], v[20:21], off offset:1024
	s_or_b32 exec_lo, exec_lo, s26
	s_delay_alu instid0(SALU_CYCLE_1)
	s_mov_b32 s26, exec_lo
	v_cmpx_lt_u32_e64 v79, v2
	s_cbranch_execnz .LBB1569_485
.LBB1569_470:                           ;   in Loop: Header=BB1569_408 Depth=2
	s_or_b32 exec_lo, exec_lo, s26
	s_delay_alu instid0(SALU_CYCLE_1)
	s_mov_b32 s26, exec_lo
	v_cmpx_lt_u32_e64 v80, v2
	s_cbranch_execz .LBB1569_486
.LBB1569_471:                           ;   in Loop: Header=BB1569_408 Depth=2
	global_load_b64 v[6:7], v[20:21], off offset:1536
	s_or_b32 exec_lo, exec_lo, s26
	s_delay_alu instid0(SALU_CYCLE_1)
	s_mov_b32 s26, exec_lo
	v_cmpx_lt_u32_e64 v81, v2
	s_cbranch_execnz .LBB1569_487
.LBB1569_472:                           ;   in Loop: Header=BB1569_408 Depth=2
	s_or_b32 exec_lo, exec_lo, s26
	s_and_saveexec_b32 s24, s22
	s_cbranch_execz .LBB1569_488
.LBB1569_473:                           ;   in Loop: Header=BB1569_408 Depth=2
	ds_load_u8 v2, v1 offset:1024
	s_waitcnt lgkmcnt(0)
	v_lshrrev_b32_e32 v2, s49, v2
	s_delay_alu instid0(VALU_DEP_1)
	v_and_b32_e32 v92, s30, v2
	s_or_b32 exec_lo, exec_lo, s24
	s_and_saveexec_b32 s24, s23
	s_cbranch_execnz .LBB1569_489
.LBB1569_474:                           ;   in Loop: Header=BB1569_408 Depth=2
	s_or_b32 exec_lo, exec_lo, s24
	s_and_saveexec_b32 s24, s21
	s_cbranch_execz .LBB1569_490
.LBB1569_475:                           ;   in Loop: Header=BB1569_408 Depth=2
	ds_load_u8 v2, v35 offset:512
	s_waitcnt lgkmcnt(0)
	v_lshrrev_b32_e32 v2, s49, v2
	s_delay_alu instid0(VALU_DEP_1)
	v_and_b32_e32 v90, s30, v2
	s_or_b32 exec_lo, exec_lo, s24
	s_and_saveexec_b32 s24, s20
	s_cbranch_execnz .LBB1569_491
.LBB1569_476:                           ;   in Loop: Header=BB1569_408 Depth=2
	s_or_b32 exec_lo, exec_lo, s24
	s_and_saveexec_b32 s24, s19
	s_cbranch_execz .LBB1569_492
.LBB1569_477:                           ;   in Loop: Header=BB1569_408 Depth=2
	ds_load_u8 v2, v35 offset:1024
	s_waitcnt lgkmcnt(0)
	v_lshrrev_b32_e32 v2, s49, v2
	s_delay_alu instid0(VALU_DEP_1)
	v_and_b32_e32 v88, s30, v2
	s_or_b32 exec_lo, exec_lo, s24
	s_and_saveexec_b32 s24, s18
	s_cbranch_execnz .LBB1569_493
.LBB1569_478:                           ;   in Loop: Header=BB1569_408 Depth=2
	s_or_b32 exec_lo, exec_lo, s24
	s_and_saveexec_b32 s24, s17
	s_cbranch_execz .LBB1569_494
.LBB1569_479:                           ;   in Loop: Header=BB1569_408 Depth=2
	ds_load_u8 v2, v35 offset:1536
	s_waitcnt lgkmcnt(0)
	v_lshrrev_b32_e32 v2, s49, v2
	s_delay_alu instid0(VALU_DEP_1)
	v_and_b32_e32 v86, s30, v2
	s_or_b32 exec_lo, exec_lo, s24
	s_and_saveexec_b32 s24, vcc_lo
	s_cbranch_execnz .LBB1569_495
	s_branch .LBB1569_496
.LBB1569_480:                           ;   in Loop: Header=BB1569_408 Depth=2
	s_or_b32 exec_lo, exec_lo, s24
	s_delay_alu instid0(SALU_CYCLE_1)
	s_mov_b32 s26, exec_lo
	v_cmpx_lt_u32_e64 v75, v2
	s_cbranch_execz .LBB1569_466
.LBB1569_481:                           ;   in Loop: Header=BB1569_408 Depth=2
	global_load_b64 v[16:17], v[20:21], off offset:256
	s_or_b32 exec_lo, exec_lo, s26
	s_delay_alu instid0(SALU_CYCLE_1)
	s_mov_b32 s26, exec_lo
	v_cmpx_lt_u32_e64 v76, v2
	s_cbranch_execnz .LBB1569_467
.LBB1569_482:                           ;   in Loop: Header=BB1569_408 Depth=2
	s_or_b32 exec_lo, exec_lo, s26
	s_delay_alu instid0(SALU_CYCLE_1)
	s_mov_b32 s26, exec_lo
	v_cmpx_lt_u32_e64 v77, v2
	s_cbranch_execz .LBB1569_468
.LBB1569_483:                           ;   in Loop: Header=BB1569_408 Depth=2
	global_load_b64 v[12:13], v[20:21], off offset:768
	s_or_b32 exec_lo, exec_lo, s26
	s_delay_alu instid0(SALU_CYCLE_1)
	s_mov_b32 s26, exec_lo
	v_cmpx_lt_u32_e64 v78, v2
	s_cbranch_execnz .LBB1569_469
.LBB1569_484:                           ;   in Loop: Header=BB1569_408 Depth=2
	s_or_b32 exec_lo, exec_lo, s26
	s_delay_alu instid0(SALU_CYCLE_1)
	s_mov_b32 s26, exec_lo
	v_cmpx_lt_u32_e64 v79, v2
	s_cbranch_execz .LBB1569_470
.LBB1569_485:                           ;   in Loop: Header=BB1569_408 Depth=2
	global_load_b64 v[8:9], v[20:21], off offset:1280
	s_or_b32 exec_lo, exec_lo, s26
	s_delay_alu instid0(SALU_CYCLE_1)
	s_mov_b32 s26, exec_lo
	v_cmpx_lt_u32_e64 v80, v2
	s_cbranch_execnz .LBB1569_471
.LBB1569_486:                           ;   in Loop: Header=BB1569_408 Depth=2
	s_or_b32 exec_lo, exec_lo, s26
	s_delay_alu instid0(SALU_CYCLE_1)
	s_mov_b32 s26, exec_lo
	v_cmpx_lt_u32_e64 v81, v2
	s_cbranch_execz .LBB1569_472
.LBB1569_487:                           ;   in Loop: Header=BB1569_408 Depth=2
	global_load_b64 v[4:5], v[20:21], off offset:1792
	s_or_b32 exec_lo, exec_lo, s26
	s_and_saveexec_b32 s24, s22
	s_cbranch_execnz .LBB1569_473
.LBB1569_488:                           ;   in Loop: Header=BB1569_408 Depth=2
	s_or_b32 exec_lo, exec_lo, s24
	s_and_saveexec_b32 s24, s23
	s_cbranch_execz .LBB1569_474
.LBB1569_489:                           ;   in Loop: Header=BB1569_408 Depth=2
	ds_load_u8 v2, v35 offset:256
	s_waitcnt lgkmcnt(0)
	v_lshrrev_b32_e32 v2, s49, v2
	s_delay_alu instid0(VALU_DEP_1)
	v_and_b32_e32 v91, s30, v2
	s_or_b32 exec_lo, exec_lo, s24
	s_and_saveexec_b32 s24, s21
	s_cbranch_execnz .LBB1569_475
.LBB1569_490:                           ;   in Loop: Header=BB1569_408 Depth=2
	s_or_b32 exec_lo, exec_lo, s24
	s_and_saveexec_b32 s24, s20
	s_cbranch_execz .LBB1569_476
.LBB1569_491:                           ;   in Loop: Header=BB1569_408 Depth=2
	ds_load_u8 v2, v35 offset:768
	s_waitcnt lgkmcnt(0)
	v_lshrrev_b32_e32 v2, s49, v2
	s_delay_alu instid0(VALU_DEP_1)
	v_and_b32_e32 v89, s30, v2
	s_or_b32 exec_lo, exec_lo, s24
	s_and_saveexec_b32 s24, s19
	s_cbranch_execnz .LBB1569_477
.LBB1569_492:                           ;   in Loop: Header=BB1569_408 Depth=2
	s_or_b32 exec_lo, exec_lo, s24
	s_and_saveexec_b32 s24, s18
	s_cbranch_execz .LBB1569_478
.LBB1569_493:                           ;   in Loop: Header=BB1569_408 Depth=2
	ds_load_u8 v2, v35 offset:1280
	s_waitcnt lgkmcnt(0)
	v_lshrrev_b32_e32 v2, s49, v2
	s_delay_alu instid0(VALU_DEP_1)
	v_and_b32_e32 v87, s30, v2
	s_or_b32 exec_lo, exec_lo, s24
	s_and_saveexec_b32 s24, s17
	s_cbranch_execnz .LBB1569_479
.LBB1569_494:                           ;   in Loop: Header=BB1569_408 Depth=2
	s_or_b32 exec_lo, exec_lo, s24
	s_and_saveexec_b32 s24, vcc_lo
	s_cbranch_execz .LBB1569_496
.LBB1569_495:                           ;   in Loop: Header=BB1569_408 Depth=2
	ds_load_u8 v2, v35 offset:1792
	s_waitcnt lgkmcnt(0)
	v_lshrrev_b32_e32 v2, s49, v2
	s_delay_alu instid0(VALU_DEP_1)
	v_and_b32_e32 v85, s30, v2
.LBB1569_496:                           ;   in Loop: Header=BB1569_408 Depth=2
	s_or_b32 exec_lo, exec_lo, s24
	v_lshlrev_b32_e32 v2, 3, v100
	v_lshlrev_b32_e32 v20, 3, v96
	;; [unrolled: 1-line block ×3, first 2 shown]
	s_waitcnt vmcnt(0)
	s_waitcnt_vscnt null, 0x0
	s_barrier
	buffer_gl0_inv
	ds_store_b64 v2, v[18:19] offset:1024
	ds_store_b64 v20, v[16:17] offset:1024
	ds_store_b64 v21, v[14:15] offset:1024
	v_lshlrev_b32_e32 v2, 3, v27
	v_lshlrev_b32_e32 v20, 3, v26
	;; [unrolled: 1-line block ×5, first 2 shown]
	ds_store_b64 v2, v[12:13] offset:1024
	ds_store_b64 v20, v[10:11] offset:1024
	;; [unrolled: 1-line block ×5, first 2 shown]
	s_waitcnt lgkmcnt(0)
	s_barrier
	buffer_gl0_inv
	s_and_saveexec_b32 s24, s22
	s_cbranch_execz .LBB1569_504
; %bb.497:                              ;   in Loop: Header=BB1569_408 Depth=2
	v_lshlrev_b32_e32 v2, 2, v92
	v_add_nc_u32_e32 v20, v1, v52
	ds_load_b32 v2, v2
	ds_load_b64 v[20:21], v20 offset:1024
	s_waitcnt lgkmcnt(1)
	v_add_nc_u32_e32 v2, v2, v1
	s_delay_alu instid0(VALU_DEP_1) | instskip(NEXT) | instid1(VALU_DEP_1)
	v_lshlrev_b64 v[23:24], 3, v[2:3]
	v_add_co_u32 v23, s22, s44, v23
	s_delay_alu instid0(VALU_DEP_1)
	v_add_co_ci_u32_e64 v24, s22, s45, v24, s22
	s_waitcnt lgkmcnt(0)
	global_store_b64 v[23:24], v[20:21], off
	s_or_b32 exec_lo, exec_lo, s24
	s_and_saveexec_b32 s24, s23
	s_cbranch_execnz .LBB1569_505
.LBB1569_498:                           ;   in Loop: Header=BB1569_408 Depth=2
	s_or_b32 exec_lo, exec_lo, s24
	s_and_saveexec_b32 s22, s21
	s_cbranch_execz .LBB1569_506
.LBB1569_499:                           ;   in Loop: Header=BB1569_408 Depth=2
	v_lshlrev_b32_e32 v2, 2, v90
	v_add_nc_u32_e32 v20, v35, v52
	ds_load_b32 v2, v2
	ds_load_b64 v[20:21], v20 offset:4096
	s_waitcnt lgkmcnt(1)
	v_add_nc_u32_e32 v2, v2, v30
	s_delay_alu instid0(VALU_DEP_1) | instskip(NEXT) | instid1(VALU_DEP_1)
	v_lshlrev_b64 v[23:24], 3, v[2:3]
	v_add_co_u32 v23, s21, s44, v23
	s_delay_alu instid0(VALU_DEP_1)
	v_add_co_ci_u32_e64 v24, s21, s45, v24, s21
	s_waitcnt lgkmcnt(0)
	global_store_b64 v[23:24], v[20:21], off
	s_or_b32 exec_lo, exec_lo, s22
	s_and_saveexec_b32 s21, s20
	s_cbranch_execnz .LBB1569_507
.LBB1569_500:                           ;   in Loop: Header=BB1569_408 Depth=2
	s_or_b32 exec_lo, exec_lo, s21
	s_and_saveexec_b32 s20, s19
	s_cbranch_execz .LBB1569_508
.LBB1569_501:                           ;   in Loop: Header=BB1569_408 Depth=2
	v_lshlrev_b32_e32 v2, 2, v88
	v_add_nc_u32_e32 v20, v35, v52
	ds_load_b32 v2, v2
	ds_load_b64 v[20:21], v20 offset:8192
	s_waitcnt lgkmcnt(1)
	v_add_nc_u32_e32 v2, v2, v35
	s_delay_alu instid0(VALU_DEP_1) | instskip(NEXT) | instid1(VALU_DEP_1)
	v_lshlrev_b64 v[23:24], 3, v[2:3]
	v_add_co_u32 v23, s19, s44, v23
	s_delay_alu instid0(VALU_DEP_1)
	v_add_co_ci_u32_e64 v24, s19, s45, v24, s19
	s_waitcnt lgkmcnt(0)
	global_store_b64 v[23:24], v[20:21], off
	s_or_b32 exec_lo, exec_lo, s20
	s_and_saveexec_b32 s19, s18
	s_cbranch_execnz .LBB1569_509
.LBB1569_502:                           ;   in Loop: Header=BB1569_408 Depth=2
	s_or_b32 exec_lo, exec_lo, s19
	s_and_saveexec_b32 s18, s17
	s_cbranch_execz .LBB1569_510
.LBB1569_503:                           ;   in Loop: Header=BB1569_408 Depth=2
	v_lshlrev_b32_e32 v2, 2, v86
	v_add_nc_u32_e32 v20, v35, v52
	ds_load_b32 v2, v2
	ds_load_b64 v[20:21], v20 offset:12288
	s_waitcnt lgkmcnt(1)
	v_add_nc_u32_e32 v2, v2, v37
	s_delay_alu instid0(VALU_DEP_1) | instskip(NEXT) | instid1(VALU_DEP_1)
	v_lshlrev_b64 v[23:24], 3, v[2:3]
	v_add_co_u32 v23, s17, s44, v23
	s_delay_alu instid0(VALU_DEP_1)
	v_add_co_ci_u32_e64 v24, s17, s45, v24, s17
	s_waitcnt lgkmcnt(0)
	global_store_b64 v[23:24], v[20:21], off
	s_or_b32 exec_lo, exec_lo, s18
	s_and_saveexec_b32 s17, vcc_lo
	s_cbranch_execnz .LBB1569_511
	s_branch .LBB1569_512
.LBB1569_504:                           ;   in Loop: Header=BB1569_408 Depth=2
	s_or_b32 exec_lo, exec_lo, s24
	s_and_saveexec_b32 s24, s23
	s_cbranch_execz .LBB1569_498
.LBB1569_505:                           ;   in Loop: Header=BB1569_408 Depth=2
	v_lshlrev_b32_e32 v2, 2, v91
	v_add_nc_u32_e32 v20, v35, v52
	ds_load_b32 v2, v2
	ds_load_b64 v[20:21], v20 offset:2048
	s_waitcnt lgkmcnt(1)
	v_add_nc_u32_e32 v2, v2, v29
	s_delay_alu instid0(VALU_DEP_1) | instskip(NEXT) | instid1(VALU_DEP_1)
	v_lshlrev_b64 v[23:24], 3, v[2:3]
	v_add_co_u32 v23, s22, s44, v23
	s_delay_alu instid0(VALU_DEP_1)
	v_add_co_ci_u32_e64 v24, s22, s45, v24, s22
	s_waitcnt lgkmcnt(0)
	global_store_b64 v[23:24], v[20:21], off
	s_or_b32 exec_lo, exec_lo, s24
	s_and_saveexec_b32 s22, s21
	s_cbranch_execnz .LBB1569_499
.LBB1569_506:                           ;   in Loop: Header=BB1569_408 Depth=2
	s_or_b32 exec_lo, exec_lo, s22
	s_and_saveexec_b32 s21, s20
	s_cbranch_execz .LBB1569_500
.LBB1569_507:                           ;   in Loop: Header=BB1569_408 Depth=2
	v_lshlrev_b32_e32 v2, 2, v89
	v_add_nc_u32_e32 v20, v35, v52
	ds_load_b32 v2, v2
	ds_load_b64 v[20:21], v20 offset:6144
	s_waitcnt lgkmcnt(1)
	v_add_nc_u32_e32 v2, v2, v31
	s_delay_alu instid0(VALU_DEP_1) | instskip(NEXT) | instid1(VALU_DEP_1)
	v_lshlrev_b64 v[23:24], 3, v[2:3]
	v_add_co_u32 v23, s20, s44, v23
	s_delay_alu instid0(VALU_DEP_1)
	v_add_co_ci_u32_e64 v24, s20, s45, v24, s20
	s_waitcnt lgkmcnt(0)
	global_store_b64 v[23:24], v[20:21], off
	s_or_b32 exec_lo, exec_lo, s21
	s_and_saveexec_b32 s20, s19
	s_cbranch_execnz .LBB1569_501
.LBB1569_508:                           ;   in Loop: Header=BB1569_408 Depth=2
	s_or_b32 exec_lo, exec_lo, s20
	s_and_saveexec_b32 s19, s18
	s_cbranch_execz .LBB1569_502
.LBB1569_509:                           ;   in Loop: Header=BB1569_408 Depth=2
	v_lshlrev_b32_e32 v2, 2, v87
	v_add_nc_u32_e32 v20, v35, v52
	ds_load_b32 v2, v2
	ds_load_b64 v[20:21], v20 offset:10240
	s_waitcnt lgkmcnt(1)
	v_add_nc_u32_e32 v2, v2, v36
	s_delay_alu instid0(VALU_DEP_1) | instskip(NEXT) | instid1(VALU_DEP_1)
	v_lshlrev_b64 v[23:24], 3, v[2:3]
	v_add_co_u32 v23, s18, s44, v23
	s_delay_alu instid0(VALU_DEP_1)
	v_add_co_ci_u32_e64 v24, s18, s45, v24, s18
	s_waitcnt lgkmcnt(0)
	global_store_b64 v[23:24], v[20:21], off
	s_or_b32 exec_lo, exec_lo, s19
	s_and_saveexec_b32 s18, s17
	s_cbranch_execnz .LBB1569_503
.LBB1569_510:                           ;   in Loop: Header=BB1569_408 Depth=2
	s_or_b32 exec_lo, exec_lo, s18
	s_and_saveexec_b32 s17, vcc_lo
	s_cbranch_execz .LBB1569_512
.LBB1569_511:                           ;   in Loop: Header=BB1569_408 Depth=2
	v_lshlrev_b32_e32 v2, 2, v85
	v_add_nc_u32_e32 v20, v35, v52
	ds_load_b32 v2, v2
	ds_load_b64 v[20:21], v20 offset:14336
	s_waitcnt lgkmcnt(1)
	v_add_nc_u32_e32 v2, v2, v39
	s_delay_alu instid0(VALU_DEP_1) | instskip(NEXT) | instid1(VALU_DEP_1)
	v_lshlrev_b64 v[23:24], 3, v[2:3]
	v_add_co_u32 v23, vcc_lo, s44, v23
	s_delay_alu instid0(VALU_DEP_2)
	v_add_co_ci_u32_e32 v24, vcc_lo, s45, v24, vcc_lo
	s_waitcnt lgkmcnt(0)
	global_store_b64 v[23:24], v[20:21], off
.LBB1569_512:                           ;   in Loop: Header=BB1569_408 Depth=2
	s_or_b32 exec_lo, exec_lo, s17
	s_waitcnt_vscnt null, 0x0
	s_barrier
	buffer_gl0_inv
	s_and_saveexec_b32 s17, s2
	s_cbranch_execz .LBB1569_407
; %bb.513:                              ;   in Loop: Header=BB1569_408 Depth=2
	ds_load_b32 v2, v28
	s_waitcnt lgkmcnt(0)
	v_add_nc_u32_e32 v2, v2, v22
	ds_store_b32 v28, v2
	s_branch .LBB1569_407
.LBB1569_514:                           ;   in Loop: Header=BB1569_408 Depth=2
	s_or_b32 exec_lo, exec_lo, s17
	s_delay_alu instid0(SALU_CYCLE_1)
	s_mov_b32 s17, exec_lo
	v_cmpx_gt_u32_e64 s31, v75
	s_cbranch_execz .LBB1569_413
.LBB1569_515:                           ;   in Loop: Header=BB1569_408 Depth=2
	global_load_u8 v2, v[22:23], off offset:32
	s_waitcnt vmcnt(0)
	v_perm_b32 v20, v20, v2, 0x7060004
	s_or_b32 exec_lo, exec_lo, s17
	s_delay_alu instid0(SALU_CYCLE_1)
	s_mov_b32 s17, exec_lo
	v_cmpx_gt_u32_e64 s31, v76
	s_cbranch_execnz .LBB1569_414
.LBB1569_516:                           ;   in Loop: Header=BB1569_408 Depth=2
	s_or_b32 exec_lo, exec_lo, s17
	s_delay_alu instid0(SALU_CYCLE_1)
	s_mov_b32 s17, exec_lo
	v_cmpx_gt_u32_e64 s31, v77
	s_cbranch_execz .LBB1569_415
.LBB1569_517:                           ;   in Loop: Header=BB1569_408 Depth=2
	global_load_u8 v2, v[22:23], off offset:96
	v_lshrrev_b32_e32 v24, 16, v20
	s_delay_alu instid0(VALU_DEP_1) | instskip(SKIP_2) | instid1(VALU_DEP_1)
	v_and_b32_e32 v24, 0xff, v24
	s_waitcnt vmcnt(0)
	v_lshlrev_b16 v2, 8, v2
	v_or_b32_e32 v2, v24, v2
	s_delay_alu instid0(VALU_DEP_1) | instskip(NEXT) | instid1(VALU_DEP_1)
	v_lshlrev_b32_e32 v2, 16, v2
	v_and_or_b32 v20, 0xffff, v20, v2
	s_or_b32 exec_lo, exec_lo, s17
	s_delay_alu instid0(SALU_CYCLE_1)
	s_mov_b32 s17, exec_lo
	v_cmpx_gt_u32_e64 s31, v78
	s_cbranch_execnz .LBB1569_416
.LBB1569_518:                           ;   in Loop: Header=BB1569_408 Depth=2
	s_or_b32 exec_lo, exec_lo, s17
	s_delay_alu instid0(SALU_CYCLE_1)
	s_mov_b32 s17, exec_lo
	v_cmpx_gt_u32_e64 s31, v79
	s_cbranch_execz .LBB1569_417
.LBB1569_519:                           ;   in Loop: Header=BB1569_408 Depth=2
	global_load_u8 v2, v[22:23], off offset:160
	s_waitcnt vmcnt(0)
	v_perm_b32 v21, v21, v2, 0x7060004
	s_or_b32 exec_lo, exec_lo, s17
	s_delay_alu instid0(SALU_CYCLE_1)
	s_mov_b32 s17, exec_lo
	v_cmpx_gt_u32_e64 s31, v80
	s_cbranch_execnz .LBB1569_418
	s_branch .LBB1569_419
.LBB1569_520:                           ;   in Loop: Header=BB1569_20 Depth=1
	s_waitcnt lgkmcnt(0)
	s_mov_b32 s0, 0
	s_barrier
.LBB1569_521:                           ;   in Loop: Header=BB1569_20 Depth=1
	s_and_b32 vcc_lo, exec_lo, s0
	s_cbranch_vccz .LBB1569_19
; %bb.522:                              ;   in Loop: Header=BB1569_20 Depth=1
	s_mov_b32 s0, s51
	s_mov_b32 s9, s33
	s_barrier
	buffer_gl0_inv
                                        ; implicit-def: $vgpr2
                                        ; implicit-def: $vgpr6
                                        ; implicit-def: $vgpr7
                                        ; implicit-def: $vgpr8
                                        ; implicit-def: $vgpr9
                                        ; implicit-def: $vgpr10
                                        ; implicit-def: $vgpr11
                                        ; implicit-def: $vgpr12
	s_branch .LBB1569_524
.LBB1569_523:                           ;   in Loop: Header=BB1569_524 Depth=2
	s_or_b32 exec_lo, exec_lo, s8
	s_addk_i32 s0, 0xf800
	s_cmp_ge_u32 s1, s34
	s_mov_b32 s9, s1
	s_cbranch_scc1 .LBB1569_562
.LBB1569_524:                           ;   Parent Loop BB1569_20 Depth=1
                                        ; =>  This Inner Loop Header: Depth=2
	s_add_i32 s1, s9, 0x800
	s_delay_alu instid0(SALU_CYCLE_1)
	s_cmp_gt_u32 s1, s34
	s_cbranch_scc1 .LBB1569_527
; %bb.525:                              ;   in Loop: Header=BB1569_524 Depth=2
	v_add_co_u32 v4, vcc_lo, v59, s9
	v_add_co_ci_u32_e32 v5, vcc_lo, 0, v60, vcc_lo
	s_mov_b32 s8, -1
	s_movk_i32 s12, 0x800
	s_clause 0x6
	global_load_u8 v20, v[4:5], off offset:1536
	global_load_u8 v19, v[4:5], off offset:1280
	;; [unrolled: 1-line block ×6, first 2 shown]
	global_load_u8 v14, v[4:5], off
	v_add_co_u32 v4, vcc_lo, 0x700, v4
	v_add_co_ci_u32_e32 v5, vcc_lo, 0, v5, vcc_lo
	s_cbranch_execz .LBB1569_528
; %bb.526:                              ;   in Loop: Header=BB1569_524 Depth=2
                                        ; implicit-def: $vgpr2
                                        ; implicit-def: $vgpr6
                                        ; implicit-def: $vgpr7
                                        ; implicit-def: $vgpr8
                                        ; implicit-def: $vgpr9
                                        ; implicit-def: $vgpr10
                                        ; implicit-def: $vgpr11
                                        ; implicit-def: $vgpr12
	v_mov_b32_e32 v13, s0
	s_and_saveexec_b32 s9, s8
	s_cbranch_execnz .LBB1569_539
	s_branch .LBB1569_540
.LBB1569_527:                           ;   in Loop: Header=BB1569_524 Depth=2
	s_mov_b32 s8, 0
                                        ; implicit-def: $sgpr12
                                        ; implicit-def: $vgpr14
                                        ; implicit-def: $vgpr15
                                        ; implicit-def: $vgpr16
                                        ; implicit-def: $vgpr17
                                        ; implicit-def: $vgpr18
                                        ; implicit-def: $vgpr19
                                        ; implicit-def: $vgpr20
                                        ; implicit-def: $vgpr4_vgpr5
.LBB1569_528:                           ;   in Loop: Header=BB1569_524 Depth=2
	s_add_u32 s10, s36, s9
	s_addc_u32 s11, s37, 0
	s_mov_b32 s12, exec_lo
	v_cmpx_gt_u32_e64 s0, v1
	s_cbranch_execz .LBB1569_556
; %bb.529:                              ;   in Loop: Header=BB1569_524 Depth=2
	v_add_co_u32 v4, s13, s10, v1
	s_delay_alu instid0(VALU_DEP_1) | instskip(SKIP_2) | instid1(SALU_CYCLE_1)
	v_add_co_ci_u32_e64 v5, null, s11, 0, s13
	global_load_u8 v2, v[4:5], off
	s_or_b32 exec_lo, exec_lo, s12
	s_mov_b32 s12, exec_lo
	v_cmpx_gt_u32_e64 s0, v29
	s_cbranch_execnz .LBB1569_557
.LBB1569_530:                           ;   in Loop: Header=BB1569_524 Depth=2
	s_or_b32 exec_lo, exec_lo, s12
	s_delay_alu instid0(SALU_CYCLE_1)
	s_mov_b32 s12, exec_lo
	v_cmpx_gt_u32_e64 s0, v30
	s_cbranch_execz .LBB1569_558
.LBB1569_531:                           ;   in Loop: Header=BB1569_524 Depth=2
	v_add_co_u32 v4, s13, s10, v1
	s_delay_alu instid0(VALU_DEP_1) | instskip(SKIP_2) | instid1(SALU_CYCLE_1)
	v_add_co_ci_u32_e64 v5, null, s11, 0, s13
	global_load_u8 v7, v[4:5], off offset:512
	s_or_b32 exec_lo, exec_lo, s12
	s_mov_b32 s12, exec_lo
	v_cmpx_gt_u32_e64 s0, v31
	s_cbranch_execnz .LBB1569_559
.LBB1569_532:                           ;   in Loop: Header=BB1569_524 Depth=2
	s_or_b32 exec_lo, exec_lo, s12
	s_delay_alu instid0(SALU_CYCLE_1)
	s_mov_b32 s12, exec_lo
	v_cmpx_gt_u32_e64 s0, v35
	s_cbranch_execz .LBB1569_560
.LBB1569_533:                           ;   in Loop: Header=BB1569_524 Depth=2
	v_add_co_u32 v4, s13, s10, v1
	s_delay_alu instid0(VALU_DEP_1) | instskip(SKIP_2) | instid1(SALU_CYCLE_1)
	v_add_co_ci_u32_e64 v5, null, s11, 0, s13
	global_load_u8 v9, v[4:5], off offset:1024
	s_or_b32 exec_lo, exec_lo, s12
	s_mov_b32 s12, exec_lo
	v_cmpx_gt_u32_e64 s0, v36
	s_cbranch_execnz .LBB1569_561
.LBB1569_534:                           ;   in Loop: Header=BB1569_524 Depth=2
	s_or_b32 exec_lo, exec_lo, s12
	s_delay_alu instid0(SALU_CYCLE_1)
	s_mov_b32 s12, exec_lo
	v_cmpx_gt_u32_e64 s0, v37
	s_cbranch_execz .LBB1569_536
.LBB1569_535:                           ;   in Loop: Header=BB1569_524 Depth=2
	v_add_co_u32 v4, s13, s10, v1
	s_delay_alu instid0(VALU_DEP_1)
	v_add_co_ci_u32_e64 v5, null, s11, 0, s13
	global_load_u8 v11, v[4:5], off offset:1536
.LBB1569_536:                           ;   in Loop: Header=BB1569_524 Depth=2
	s_or_b32 exec_lo, exec_lo, s12
	s_delay_alu instid0(SALU_CYCLE_1)
	s_mov_b32 s13, exec_lo
                                        ; implicit-def: $sgpr12
                                        ; implicit-def: $vgpr4_vgpr5
	v_cmpx_gt_u32_e64 s0, v39
; %bb.537:                              ;   in Loop: Header=BB1569_524 Depth=2
	v_add_co_u32 v4, s10, s10, v1
	s_delay_alu instid0(VALU_DEP_1) | instskip(SKIP_1) | instid1(VALU_DEP_2)
	v_add_co_ci_u32_e64 v5, null, s11, 0, s10
	s_sub_i32 s12, s34, s9
	v_add_co_u32 v4, vcc_lo, 0x700, v4
	s_delay_alu instid0(VALU_DEP_2)
	v_add_co_ci_u32_e32 v5, vcc_lo, 0, v5, vcc_lo
	s_or_b32 s8, s8, exec_lo
                                        ; implicit-def: $vgpr12
; %bb.538:                              ;   in Loop: Header=BB1569_524 Depth=2
	s_or_b32 exec_lo, exec_lo, s13
	s_waitcnt vmcnt(0)
	v_dual_mov_b32 v14, v2 :: v_dual_mov_b32 v17, v8
	v_dual_mov_b32 v15, v6 :: v_dual_mov_b32 v16, v7
	;; [unrolled: 1-line block ×4, first 2 shown]
	s_and_saveexec_b32 s9, s8
	s_cbranch_execz .LBB1569_540
.LBB1569_539:                           ;   in Loop: Header=BB1569_524 Depth=2
	global_load_u8 v12, v[4:5], off
	s_waitcnt vmcnt(1)
	v_dual_mov_b32 v13, s12 :: v_dual_mov_b32 v2, v14
	v_dual_mov_b32 v6, v15 :: v_dual_mov_b32 v7, v16
	;; [unrolled: 1-line block ×4, first 2 shown]
.LBB1569_540:                           ;   in Loop: Header=BB1569_524 Depth=2
	s_or_b32 exec_lo, exec_lo, s9
	v_lshlrev_b32_e32 v4, 2, v32
	s_mov_b32 s8, exec_lo
	v_cmpx_lt_u32_e64 v1, v13
	s_cbranch_execz .LBB1569_548
; %bb.541:                              ;   in Loop: Header=BB1569_524 Depth=2
	v_xor_b32_e32 v5, -1, v2
	s_delay_alu instid0(VALU_DEP_1) | instskip(NEXT) | instid1(VALU_DEP_1)
	v_and_b32_e32 v5, 1, v5
	v_and_b32_e32 v5, 0xffff, v5
	s_delay_alu instid0(VALU_DEP_1) | instskip(NEXT) | instid1(VALU_DEP_1)
	v_lshrrev_b32_e32 v5, s49, v5
	v_and_b32_e32 v5, s30, v5
	s_delay_alu instid0(VALU_DEP_1) | instskip(SKIP_2) | instid1(SALU_CYCLE_1)
	v_lshl_or_b32 v5, v5, 4, v4
	ds_add_u32 v5, v66
	s_or_b32 exec_lo, exec_lo, s8
	s_mov_b32 s8, exec_lo
	v_cmpx_lt_u32_e64 v29, v13
	s_cbranch_execnz .LBB1569_549
.LBB1569_542:                           ;   in Loop: Header=BB1569_524 Depth=2
	s_or_b32 exec_lo, exec_lo, s8
	s_delay_alu instid0(SALU_CYCLE_1)
	s_mov_b32 s8, exec_lo
	v_cmpx_lt_u32_e64 v30, v13
	s_cbranch_execz .LBB1569_550
.LBB1569_543:                           ;   in Loop: Header=BB1569_524 Depth=2
	v_xor_b32_e32 v5, -1, v7
	s_delay_alu instid0(VALU_DEP_1) | instskip(NEXT) | instid1(VALU_DEP_1)
	v_and_b32_e32 v5, 1, v5
	v_and_b32_e32 v5, 0xffff, v5
	s_delay_alu instid0(VALU_DEP_1) | instskip(NEXT) | instid1(VALU_DEP_1)
	v_lshrrev_b32_e32 v5, s49, v5
	v_and_b32_e32 v5, s30, v5
	s_delay_alu instid0(VALU_DEP_1) | instskip(SKIP_2) | instid1(SALU_CYCLE_1)
	v_lshl_or_b32 v5, v5, 4, v4
	ds_add_u32 v5, v66
	s_or_b32 exec_lo, exec_lo, s8
	s_mov_b32 s8, exec_lo
	v_cmpx_lt_u32_e64 v31, v13
	s_cbranch_execnz .LBB1569_551
.LBB1569_544:                           ;   in Loop: Header=BB1569_524 Depth=2
	s_or_b32 exec_lo, exec_lo, s8
	s_delay_alu instid0(SALU_CYCLE_1)
	s_mov_b32 s8, exec_lo
	v_cmpx_lt_u32_e64 v35, v13
	s_cbranch_execz .LBB1569_552
.LBB1569_545:                           ;   in Loop: Header=BB1569_524 Depth=2
	v_xor_b32_e32 v5, -1, v9
	s_delay_alu instid0(VALU_DEP_1) | instskip(NEXT) | instid1(VALU_DEP_1)
	v_and_b32_e32 v5, 1, v5
	v_and_b32_e32 v5, 0xffff, v5
	s_delay_alu instid0(VALU_DEP_1) | instskip(NEXT) | instid1(VALU_DEP_1)
	v_lshrrev_b32_e32 v5, s49, v5
	v_and_b32_e32 v5, s30, v5
	s_delay_alu instid0(VALU_DEP_1) | instskip(SKIP_2) | instid1(SALU_CYCLE_1)
	v_lshl_or_b32 v5, v5, 4, v4
	ds_add_u32 v5, v66
	s_or_b32 exec_lo, exec_lo, s8
	s_mov_b32 s8, exec_lo
	v_cmpx_lt_u32_e64 v36, v13
	s_cbranch_execnz .LBB1569_553
.LBB1569_546:                           ;   in Loop: Header=BB1569_524 Depth=2
	s_or_b32 exec_lo, exec_lo, s8
	s_delay_alu instid0(SALU_CYCLE_1)
	s_mov_b32 s8, exec_lo
	v_cmpx_lt_u32_e64 v37, v13
	s_cbranch_execz .LBB1569_554
.LBB1569_547:                           ;   in Loop: Header=BB1569_524 Depth=2
	v_xor_b32_e32 v5, -1, v11
	s_delay_alu instid0(VALU_DEP_1) | instskip(NEXT) | instid1(VALU_DEP_1)
	v_and_b32_e32 v5, 1, v5
	v_and_b32_e32 v5, 0xffff, v5
	s_delay_alu instid0(VALU_DEP_1) | instskip(NEXT) | instid1(VALU_DEP_1)
	v_lshrrev_b32_e32 v5, s49, v5
	v_and_b32_e32 v5, s30, v5
	s_delay_alu instid0(VALU_DEP_1) | instskip(SKIP_2) | instid1(SALU_CYCLE_1)
	v_lshl_or_b32 v5, v5, 4, v4
	ds_add_u32 v5, v66
	s_or_b32 exec_lo, exec_lo, s8
	s_mov_b32 s8, exec_lo
	v_cmpx_lt_u32_e64 v39, v13
	s_cbranch_execz .LBB1569_523
	s_branch .LBB1569_555
.LBB1569_548:                           ;   in Loop: Header=BB1569_524 Depth=2
	s_or_b32 exec_lo, exec_lo, s8
	s_delay_alu instid0(SALU_CYCLE_1)
	s_mov_b32 s8, exec_lo
	v_cmpx_lt_u32_e64 v29, v13
	s_cbranch_execz .LBB1569_542
.LBB1569_549:                           ;   in Loop: Header=BB1569_524 Depth=2
	v_xor_b32_e32 v5, -1, v6
	s_delay_alu instid0(VALU_DEP_1) | instskip(NEXT) | instid1(VALU_DEP_1)
	v_and_b32_e32 v5, 1, v5
	v_and_b32_e32 v5, 0xffff, v5
	s_delay_alu instid0(VALU_DEP_1) | instskip(NEXT) | instid1(VALU_DEP_1)
	v_lshrrev_b32_e32 v5, s49, v5
	v_and_b32_e32 v5, s30, v5
	s_delay_alu instid0(VALU_DEP_1) | instskip(SKIP_2) | instid1(SALU_CYCLE_1)
	v_lshl_or_b32 v5, v5, 4, v4
	ds_add_u32 v5, v66
	s_or_b32 exec_lo, exec_lo, s8
	s_mov_b32 s8, exec_lo
	v_cmpx_lt_u32_e64 v30, v13
	s_cbranch_execnz .LBB1569_543
.LBB1569_550:                           ;   in Loop: Header=BB1569_524 Depth=2
	s_or_b32 exec_lo, exec_lo, s8
	s_delay_alu instid0(SALU_CYCLE_1)
	s_mov_b32 s8, exec_lo
	v_cmpx_lt_u32_e64 v31, v13
	s_cbranch_execz .LBB1569_544
.LBB1569_551:                           ;   in Loop: Header=BB1569_524 Depth=2
	v_xor_b32_e32 v5, -1, v8
	s_delay_alu instid0(VALU_DEP_1) | instskip(NEXT) | instid1(VALU_DEP_1)
	v_and_b32_e32 v5, 1, v5
	v_and_b32_e32 v5, 0xffff, v5
	s_delay_alu instid0(VALU_DEP_1) | instskip(NEXT) | instid1(VALU_DEP_1)
	v_lshrrev_b32_e32 v5, s49, v5
	v_and_b32_e32 v5, s30, v5
	s_delay_alu instid0(VALU_DEP_1) | instskip(SKIP_2) | instid1(SALU_CYCLE_1)
	v_lshl_or_b32 v5, v5, 4, v4
	ds_add_u32 v5, v66
	s_or_b32 exec_lo, exec_lo, s8
	s_mov_b32 s8, exec_lo
	v_cmpx_lt_u32_e64 v35, v13
	s_cbranch_execnz .LBB1569_545
.LBB1569_552:                           ;   in Loop: Header=BB1569_524 Depth=2
	s_or_b32 exec_lo, exec_lo, s8
	s_delay_alu instid0(SALU_CYCLE_1)
	s_mov_b32 s8, exec_lo
	v_cmpx_lt_u32_e64 v36, v13
	s_cbranch_execz .LBB1569_546
.LBB1569_553:                           ;   in Loop: Header=BB1569_524 Depth=2
	v_xor_b32_e32 v5, -1, v10
	s_delay_alu instid0(VALU_DEP_1) | instskip(NEXT) | instid1(VALU_DEP_1)
	v_and_b32_e32 v5, 1, v5
	v_and_b32_e32 v5, 0xffff, v5
	s_delay_alu instid0(VALU_DEP_1) | instskip(NEXT) | instid1(VALU_DEP_1)
	v_lshrrev_b32_e32 v5, s49, v5
	v_and_b32_e32 v5, s30, v5
	s_delay_alu instid0(VALU_DEP_1) | instskip(SKIP_2) | instid1(SALU_CYCLE_1)
	v_lshl_or_b32 v5, v5, 4, v4
	ds_add_u32 v5, v66
	s_or_b32 exec_lo, exec_lo, s8
	s_mov_b32 s8, exec_lo
	v_cmpx_lt_u32_e64 v37, v13
	s_cbranch_execnz .LBB1569_547
.LBB1569_554:                           ;   in Loop: Header=BB1569_524 Depth=2
	s_or_b32 exec_lo, exec_lo, s8
	s_delay_alu instid0(SALU_CYCLE_1)
	s_mov_b32 s8, exec_lo
	v_cmpx_lt_u32_e64 v39, v13
	s_cbranch_execz .LBB1569_523
.LBB1569_555:                           ;   in Loop: Header=BB1569_524 Depth=2
	s_waitcnt vmcnt(0)
	v_xor_b32_e32 v5, -1, v12
	s_delay_alu instid0(VALU_DEP_1) | instskip(NEXT) | instid1(VALU_DEP_1)
	v_and_b32_e32 v5, 1, v5
	v_and_b32_e32 v5, 0xffff, v5
	s_delay_alu instid0(VALU_DEP_1) | instskip(NEXT) | instid1(VALU_DEP_1)
	v_lshrrev_b32_e32 v5, s49, v5
	v_and_b32_e32 v5, s30, v5
	s_delay_alu instid0(VALU_DEP_1)
	v_lshl_or_b32 v4, v5, 4, v4
	ds_add_u32 v4, v66
	s_branch .LBB1569_523
.LBB1569_556:                           ;   in Loop: Header=BB1569_524 Depth=2
	s_or_b32 exec_lo, exec_lo, s12
	s_delay_alu instid0(SALU_CYCLE_1)
	s_mov_b32 s12, exec_lo
	v_cmpx_gt_u32_e64 s0, v29
	s_cbranch_execz .LBB1569_530
.LBB1569_557:                           ;   in Loop: Header=BB1569_524 Depth=2
	v_add_co_u32 v4, s13, s10, v1
	s_delay_alu instid0(VALU_DEP_1) | instskip(SKIP_2) | instid1(SALU_CYCLE_1)
	v_add_co_ci_u32_e64 v5, null, s11, 0, s13
	global_load_u8 v6, v[4:5], off offset:256
	s_or_b32 exec_lo, exec_lo, s12
	s_mov_b32 s12, exec_lo
	v_cmpx_gt_u32_e64 s0, v30
	s_cbranch_execnz .LBB1569_531
.LBB1569_558:                           ;   in Loop: Header=BB1569_524 Depth=2
	s_or_b32 exec_lo, exec_lo, s12
	s_delay_alu instid0(SALU_CYCLE_1)
	s_mov_b32 s12, exec_lo
	v_cmpx_gt_u32_e64 s0, v31
	s_cbranch_execz .LBB1569_532
.LBB1569_559:                           ;   in Loop: Header=BB1569_524 Depth=2
	v_add_co_u32 v4, s13, s10, v1
	s_delay_alu instid0(VALU_DEP_1) | instskip(SKIP_2) | instid1(SALU_CYCLE_1)
	v_add_co_ci_u32_e64 v5, null, s11, 0, s13
	global_load_u8 v8, v[4:5], off offset:768
	s_or_b32 exec_lo, exec_lo, s12
	s_mov_b32 s12, exec_lo
	v_cmpx_gt_u32_e64 s0, v35
	s_cbranch_execnz .LBB1569_533
.LBB1569_560:                           ;   in Loop: Header=BB1569_524 Depth=2
	s_or_b32 exec_lo, exec_lo, s12
	s_delay_alu instid0(SALU_CYCLE_1)
	s_mov_b32 s12, exec_lo
	v_cmpx_gt_u32_e64 s0, v36
	s_cbranch_execz .LBB1569_534
.LBB1569_561:                           ;   in Loop: Header=BB1569_524 Depth=2
	v_add_co_u32 v4, s13, s10, v1
	s_delay_alu instid0(VALU_DEP_1) | instskip(SKIP_2) | instid1(SALU_CYCLE_1)
	v_add_co_ci_u32_e64 v5, null, s11, 0, s13
	global_load_u8 v10, v[4:5], off offset:1280
	s_or_b32 exec_lo, exec_lo, s12
	s_mov_b32 s12, exec_lo
	v_cmpx_gt_u32_e64 s0, v37
	s_cbranch_execz .LBB1569_536
	s_branch .LBB1569_535
.LBB1569_562:                           ;   in Loop: Header=BB1569_20 Depth=1
	v_mov_b32_e32 v2, 0
	s_waitcnt vmcnt(0) lgkmcnt(0)
	s_barrier
	buffer_gl0_inv
	s_and_saveexec_b32 s0, s2
	s_cbranch_execz .LBB1569_564
; %bb.563:                              ;   in Loop: Header=BB1569_20 Depth=1
	ds_load_2addr_b64 v[4:7], v40 offset1:1
	s_waitcnt lgkmcnt(0)
	v_add_nc_u32_e32 v2, v5, v4
	s_delay_alu instid0(VALU_DEP_1)
	v_add3_u32 v2, v2, v6, v7
.LBB1569_564:                           ;   in Loop: Header=BB1569_20 Depth=1
	s_or_b32 exec_lo, exec_lo, s0
	v_and_b32_e32 v4, 15, v63
	s_delay_alu instid0(VALU_DEP_2) | instskip(SKIP_1) | instid1(VALU_DEP_3)
	v_mov_b32_dpp v5, v2 row_shr:1 row_mask:0xf bank_mask:0xf
	v_and_b32_e32 v6, 16, v63
	v_cmp_eq_u32_e64 s0, 0, v4
	v_cmp_lt_u32_e64 s1, 1, v4
	v_cmp_lt_u32_e64 s8, 3, v4
	;; [unrolled: 1-line block ×3, first 2 shown]
	v_cmp_eq_u32_e64 s10, 0, v6
	v_cndmask_b32_e64 v5, v5, 0, s0
	s_delay_alu instid0(VALU_DEP_1) | instskip(NEXT) | instid1(VALU_DEP_1)
	v_add_nc_u32_e32 v2, v5, v2
	v_mov_b32_dpp v5, v2 row_shr:2 row_mask:0xf bank_mask:0xf
	s_delay_alu instid0(VALU_DEP_1) | instskip(NEXT) | instid1(VALU_DEP_1)
	v_cndmask_b32_e64 v5, 0, v5, s1
	v_add_nc_u32_e32 v2, v2, v5
	s_delay_alu instid0(VALU_DEP_1) | instskip(NEXT) | instid1(VALU_DEP_1)
	v_mov_b32_dpp v5, v2 row_shr:4 row_mask:0xf bank_mask:0xf
	v_cndmask_b32_e64 v5, 0, v5, s8
	s_delay_alu instid0(VALU_DEP_1) | instskip(NEXT) | instid1(VALU_DEP_1)
	v_add_nc_u32_e32 v2, v2, v5
	v_mov_b32_dpp v5, v2 row_shr:8 row_mask:0xf bank_mask:0xf
	s_delay_alu instid0(VALU_DEP_1) | instskip(SKIP_1) | instid1(VALU_DEP_2)
	v_cndmask_b32_e64 v4, 0, v5, s9
	v_bfe_i32 v5, v63, 4, 1
	v_add_nc_u32_e32 v2, v2, v4
	ds_swizzle_b32 v4, v2 offset:swizzle(BROADCAST,32,15)
	s_waitcnt lgkmcnt(0)
	v_and_b32_e32 v4, v5, v4
	s_delay_alu instid0(VALU_DEP_1)
	v_add_nc_u32_e32 v4, v2, v4
	s_and_saveexec_b32 s11, s3
	s_cbranch_execz .LBB1569_566
; %bb.565:                              ;   in Loop: Header=BB1569_20 Depth=1
	ds_store_b32 v41, v4
.LBB1569_566:                           ;   in Loop: Header=BB1569_20 Depth=1
	s_or_b32 exec_lo, exec_lo, s11
	v_and_b32_e32 v2, 7, v63
	s_waitcnt lgkmcnt(0)
	s_barrier
	buffer_gl0_inv
	s_and_saveexec_b32 s11, s4
	s_cbranch_execz .LBB1569_568
; %bb.567:                              ;   in Loop: Header=BB1569_20 Depth=1
	ds_load_b32 v5, v42
	v_cmp_ne_u32_e32 vcc_lo, 0, v2
	s_waitcnt lgkmcnt(0)
	v_mov_b32_dpp v6, v5 row_shr:1 row_mask:0xf bank_mask:0xf
	s_delay_alu instid0(VALU_DEP_1) | instskip(SKIP_1) | instid1(VALU_DEP_2)
	v_cndmask_b32_e32 v6, 0, v6, vcc_lo
	v_cmp_lt_u32_e32 vcc_lo, 1, v2
	v_add_nc_u32_e32 v5, v6, v5
	s_delay_alu instid0(VALU_DEP_1) | instskip(NEXT) | instid1(VALU_DEP_1)
	v_mov_b32_dpp v6, v5 row_shr:2 row_mask:0xf bank_mask:0xf
	v_cndmask_b32_e32 v6, 0, v6, vcc_lo
	v_cmp_lt_u32_e32 vcc_lo, 3, v2
	s_delay_alu instid0(VALU_DEP_2) | instskip(NEXT) | instid1(VALU_DEP_1)
	v_add_nc_u32_e32 v5, v5, v6
	v_mov_b32_dpp v6, v5 row_shr:4 row_mask:0xf bank_mask:0xf
	s_delay_alu instid0(VALU_DEP_1) | instskip(NEXT) | instid1(VALU_DEP_1)
	v_cndmask_b32_e32 v6, 0, v6, vcc_lo
	v_add_nc_u32_e32 v5, v5, v6
	ds_store_b32 v42, v5
.LBB1569_568:                           ;   in Loop: Header=BB1569_20 Depth=1
	s_or_b32 exec_lo, exec_lo, s11
	v_mov_b32_e32 v5, 0
	s_waitcnt lgkmcnt(0)
	s_barrier
	buffer_gl0_inv
	s_and_saveexec_b32 s11, s5
	s_cbranch_execz .LBB1569_570
; %bb.569:                              ;   in Loop: Header=BB1569_20 Depth=1
	ds_load_b32 v5, v43
.LBB1569_570:                           ;   in Loop: Header=BB1569_20 Depth=1
	s_or_b32 exec_lo, exec_lo, s11
	v_add_nc_u32_e32 v6, -1, v63
	s_waitcnt lgkmcnt(0)
	v_add_nc_u32_e32 v4, v5, v4
	v_cmp_eq_u32_e64 s11, 0, v63
	s_barrier
	v_cmp_gt_i32_e32 vcc_lo, 0, v6
	buffer_gl0_inv
	v_cndmask_b32_e32 v6, v6, v63, vcc_lo
	s_delay_alu instid0(VALU_DEP_1)
	v_lshlrev_b32_e32 v69, 2, v6
	ds_bpermute_b32 v4, v69, v4
	s_and_saveexec_b32 s12, s2
	s_cbranch_execz .LBB1569_572
; %bb.571:                              ;   in Loop: Header=BB1569_20 Depth=1
	s_waitcnt lgkmcnt(0)
	v_cndmask_b32_e64 v4, v4, v5, s11
	s_delay_alu instid0(VALU_DEP_1)
	v_add_nc_u32_e32 v4, s33, v4
	ds_store_b32 v28, v4
.LBB1569_572:                           ;   in Loop: Header=BB1569_20 Depth=1
	s_or_b32 exec_lo, exec_lo, s12
	s_load_b64 s[12:13], s[28:29], 0x0
	v_add_co_u32 v71, vcc_lo, v64, v63
	v_add_co_ci_u32_e32 v72, vcc_lo, 0, v65, vcc_lo
	v_or_b32_e32 v70, v63, v44
	s_mov_b32 s31, s51
	s_mov_b32 s26, s33
                                        ; implicit-def: $vgpr8_vgpr9
                                        ; implicit-def: $vgpr10_vgpr11
                                        ; implicit-def: $vgpr12_vgpr13
                                        ; implicit-def: $vgpr14_vgpr15
                                        ; implicit-def: $vgpr16_vgpr17
                                        ; implicit-def: $vgpr18_vgpr19
                                        ; implicit-def: $vgpr85
                                        ; implicit-def: $vgpr86
                                        ; implicit-def: $vgpr87
                                        ; implicit-def: $vgpr88
                                        ; implicit-def: $vgpr89
                                        ; implicit-def: $vgpr90
                                        ; implicit-def: $vgpr91
                                        ; implicit-def: $vgpr92
	s_delay_alu instid0(VALU_DEP_1)
	v_or_b32_e32 v75, 32, v70
	v_or_b32_e32 v76, 64, v70
	;; [unrolled: 1-line block ×7, first 2 shown]
	s_waitcnt lgkmcnt(0)
	s_cmp_lt_u32 s15, s13
	s_cselect_b32 s13, 14, 20
	s_delay_alu instid0(SALU_CYCLE_1) | instskip(SKIP_4) | instid1(SALU_CYCLE_1)
	s_add_u32 s16, s28, s13
	s_addc_u32 s17, s29, 0
	s_cmp_lt_u32 s14, s12
	global_load_u16 v4, v3, s[16:17]
	s_cselect_b32 s12, 12, 18
	s_add_u32 s12, s28, s12
	s_addc_u32 s13, s29, 0
	global_load_u16 v6, v3, s[12:13]
	v_cmp_eq_u32_e64 s12, 0, v2
	v_cmp_lt_u32_e64 s13, 1, v2
	v_cmp_lt_u32_e64 s16, 3, v2
	v_lshlrev_b32_e32 v2, 3, v63
	s_delay_alu instid0(VALU_DEP_1)
	v_add_co_u32 v73, vcc_lo, v61, v2
	v_add_co_ci_u32_e32 v74, vcc_lo, 0, v62, vcc_lo
	v_add_co_u32 v83, vcc_lo, 0xe0, v71
	v_add_co_ci_u32_e32 v84, vcc_lo, 0, v72, vcc_lo
	s_waitcnt vmcnt(1)
	v_mad_u32_u24 v7, v45, v4, v0
	s_waitcnt vmcnt(0)
	s_delay_alu instid0(VALU_DEP_1) | instskip(NEXT) | instid1(VALU_DEP_1)
	v_mad_u64_u32 v[4:5], null, v7, v6, v[1:2]
                                        ; implicit-def: $vgpr6_vgpr7
	v_lshrrev_b32_e32 v82, 5, v4
                                        ; implicit-def: $vgpr4_vgpr5
	s_branch .LBB1569_574
.LBB1569_573:                           ;   in Loop: Header=BB1569_574 Depth=2
	s_or_b32 exec_lo, exec_lo, s17
	s_addk_i32 s31, 0xf800
	s_cmp_lt_u32 s42, s34
	s_mov_b32 s26, s42
	s_cbranch_scc0 .LBB1569_18
.LBB1569_574:                           ;   Parent Loop BB1569_20 Depth=1
                                        ; =>  This Inner Loop Header: Depth=2
	s_add_i32 s42, s26, 0x800
	s_delay_alu instid0(SALU_CYCLE_1)
	s_cmp_gt_u32 s42, s34
	s_cbranch_scc1 .LBB1569_576
; %bb.575:                              ;   in Loop: Header=BB1569_574 Depth=2
	v_add_co_u32 v20, vcc_lo, v71, s26
	v_add_co_ci_u32_e32 v21, vcc_lo, 0, v72, vcc_lo
	s_mov_b32 s19, 0
	s_mov_b32 s18, s26
	s_mov_b32 s20, -1
	s_clause 0x6
	global_load_u8 v2, v[20:21], off offset:32
	global_load_u8 v22, v[20:21], off offset:96
	;; [unrolled: 1-line block ×3, first 2 shown]
	global_load_u8 v24, v[20:21], off
	global_load_u8 v25, v[20:21], off offset:64
	global_load_u8 v26, v[20:21], off offset:128
	;; [unrolled: 1-line block ×3, first 2 shown]
	s_movk_i32 s17, 0x800
	s_waitcnt vmcnt(6)
	v_lshlrev_b16 v2, 8, v2
	s_waitcnt vmcnt(5)
	v_lshlrev_b16 v20, 8, v22
	;; [unrolled: 2-line block ×3, first 2 shown]
	s_waitcnt vmcnt(3)
	v_or_b32_e32 v2, v24, v2
	s_waitcnt vmcnt(2)
	v_or_b32_e32 v20, v25, v20
	;; [unrolled: 2-line block ×3, first 2 shown]
	v_and_b32_e32 v2, 0xffff, v2
	s_delay_alu instid0(VALU_DEP_3) | instskip(NEXT) | instid1(VALU_DEP_3)
	v_lshlrev_b32_e32 v20, 16, v20
	v_and_b32_e32 v22, 0xffff, v22
	s_delay_alu instid0(VALU_DEP_2) | instskip(SKIP_1) | instid1(VALU_DEP_2)
	v_or_b32_e32 v20, v2, v20
	s_waitcnt vmcnt(0)
	v_lshl_or_b32 v21, v21, 16, v22
	s_cbranch_execz .LBB1569_577
	s_branch .LBB1569_586
.LBB1569_576:                           ;   in Loop: Header=BB1569_574 Depth=2
	s_mov_b32 s19, -1
	s_mov_b32 s20, 0
                                        ; implicit-def: $sgpr17
                                        ; implicit-def: $vgpr20_vgpr21
.LBB1569_577:                           ;   in Loop: Header=BB1569_574 Depth=2
	v_add_co_u32 v22, vcc_lo, v71, s26
	s_mov_b32 s18, s27
	s_mov_b32 s19, s27
	v_add_co_ci_u32_e32 v23, vcc_lo, 0, v72, vcc_lo
	v_dual_mov_b32 v21, s19 :: v_dual_mov_b32 v20, s18
	s_mov_b32 s17, exec_lo
	v_cmpx_gt_u32_e64 s31, v70
	s_cbranch_execz .LBB1569_680
; %bb.578:                              ;   in Loop: Header=BB1569_574 Depth=2
	global_load_u8 v2, v[22:23], off
	s_waitcnt vmcnt(0)
	v_dual_mov_b32 v21, s27 :: v_dual_and_b32 v20, 0xffff, v2
	s_or_b32 exec_lo, exec_lo, s17
	s_delay_alu instid0(SALU_CYCLE_1)
	s_mov_b32 s17, exec_lo
	v_cmpx_gt_u32_e64 s31, v75
	s_cbranch_execnz .LBB1569_681
.LBB1569_579:                           ;   in Loop: Header=BB1569_574 Depth=2
	s_or_b32 exec_lo, exec_lo, s17
	s_delay_alu instid0(SALU_CYCLE_1)
	s_mov_b32 s17, exec_lo
	v_cmpx_gt_u32_e64 s31, v76
	s_cbranch_execz .LBB1569_682
.LBB1569_580:                           ;   in Loop: Header=BB1569_574 Depth=2
	global_load_u8 v2, v[22:23], off offset:64
	v_lshrrev_b32_e32 v24, 16, v20
	s_delay_alu instid0(VALU_DEP_1) | instskip(SKIP_1) | instid1(VALU_DEP_1)
	v_and_b32_e32 v24, 0xffffff00, v24
	s_waitcnt vmcnt(0)
	v_or_b32_e32 v2, v2, v24
	s_delay_alu instid0(VALU_DEP_1) | instskip(NEXT) | instid1(VALU_DEP_1)
	v_lshlrev_b32_e32 v2, 16, v2
	v_and_or_b32 v20, 0xffff, v20, v2
	s_or_b32 exec_lo, exec_lo, s17
	s_delay_alu instid0(SALU_CYCLE_1)
	s_mov_b32 s17, exec_lo
	v_cmpx_gt_u32_e64 s31, v77
	s_cbranch_execnz .LBB1569_683
.LBB1569_581:                           ;   in Loop: Header=BB1569_574 Depth=2
	s_or_b32 exec_lo, exec_lo, s17
	s_delay_alu instid0(SALU_CYCLE_1)
	s_mov_b32 s17, exec_lo
	v_cmpx_gt_u32_e64 s31, v78
	s_cbranch_execz .LBB1569_684
.LBB1569_582:                           ;   in Loop: Header=BB1569_574 Depth=2
	global_load_u8 v2, v[22:23], off offset:128
	s_waitcnt vmcnt(0)
	v_perm_b32 v21, v2, v21, 0x3020104
	s_or_b32 exec_lo, exec_lo, s17
	s_delay_alu instid0(SALU_CYCLE_1)
	s_mov_b32 s17, exec_lo
	v_cmpx_gt_u32_e64 s31, v79
	s_cbranch_execnz .LBB1569_685
.LBB1569_583:                           ;   in Loop: Header=BB1569_574 Depth=2
	s_or_b32 exec_lo, exec_lo, s17
	s_delay_alu instid0(SALU_CYCLE_1)
	s_mov_b32 s17, exec_lo
	v_cmpx_gt_u32_e64 s31, v80
	s_cbranch_execz .LBB1569_585
.LBB1569_584:                           ;   in Loop: Header=BB1569_574 Depth=2
	global_load_u8 v2, v[22:23], off offset:192
	s_waitcnt vmcnt(0)
	v_perm_b32 v21, v21, v2, 0x7000504
.LBB1569_585:                           ;   in Loop: Header=BB1569_574 Depth=2
	s_or_b32 exec_lo, exec_lo, s17
	v_cmp_gt_u32_e64 s20, s31, v81
	s_sub_i32 s17, s34, s26
	s_mov_b64 s[18:19], s[26:27]
.LBB1569_586:                           ;   in Loop: Header=BB1569_574 Depth=2
	v_mov_b32_e32 v2, s31
	s_delay_alu instid0(VALU_DEP_2)
	s_and_saveexec_b32 s21, s20
	s_cbranch_execz .LBB1569_588
; %bb.587:                              ;   in Loop: Header=BB1569_574 Depth=2
	v_add_co_u32 v22, vcc_lo, v83, s18
	v_add_co_ci_u32_e32 v23, vcc_lo, s19, v84, vcc_lo
	global_load_u8 v2, v[22:23], off
	s_waitcnt vmcnt(0)
	v_perm_b32 v21, v21, v2, 0x60504
	v_mov_b32_e32 v2, s17
.LBB1569_588:                           ;   in Loop: Header=BB1569_574 Depth=2
	s_or_b32 exec_lo, exec_lo, s21
	v_and_b32_e32 v22, 1, v20
	v_lshrrev_b16 v25, 8, v20
	v_and_b32_e32 v95, 0x10000, v20
	v_and_b32_e32 v94, 0x10000, v21
	v_lshrrev_b16 v26, 8, v21
	v_cmp_eq_u32_e32 vcc_lo, 1, v22
	v_and_b32_e32 v27, 0x1000000, v21
	v_and_b32_e32 v21, 1, v21
	v_cmp_ne_u32_e64 s21, 0, v95
	ds_store_b32 v46, v3 offset:1056
	s_xor_b32 s17, vcc_lo, -1
	ds_store_2addr_b32 v47, v3, v3 offset0:1 offset1:2
	ds_store_2addr_b32 v47, v3, v3 offset0:3 offset1:4
	;; [unrolled: 1-line block ×4, first 2 shown]
	v_cndmask_b32_e64 v93, 0, 1, s17
	v_cmp_eq_u32_e64 s19, 1, v21
	s_waitcnt lgkmcnt(0)
	s_barrier
	buffer_gl0_inv
	v_lshrrev_b32_e32 v22, s49, v93
	; wave barrier
	s_delay_alu instid0(VALU_DEP_1) | instskip(NEXT) | instid1(VALU_DEP_1)
	v_and_b32_e32 v22, s30, v22
	v_add_co_u32 v23, s17, v22, -1
	s_delay_alu instid0(VALU_DEP_1) | instskip(SKIP_2) | instid1(VALU_DEP_3)
	v_cndmask_b32_e64 v24, 0, 1, s17
	v_cmp_ne_u32_e64 s17, 0, v94
	v_mad_u32_u24 v21, v22, 9, v82
	v_cmp_ne_u32_e32 vcc_lo, 0, v24
	v_and_b32_e32 v24, 0x1000000, v20
	s_delay_alu instid0(VALU_DEP_3)
	v_lshl_add_u32 v96, v21, 2, 0x420
	v_xor_b32_e32 v20, vcc_lo, v23
	v_and_b32_e32 v23, 1, v25
	v_and_b32_e32 v25, 1, v26
	v_cmp_ne_u32_e32 vcc_lo, 0, v27
	v_cmp_ne_u32_e64 s20, 0, v24
	v_and_b32_e32 v20, exec_lo, v20
	v_cmp_eq_u32_e64 s22, 1, v23
	v_cmp_eq_u32_e64 s18, 1, v25
	s_delay_alu instid0(VALU_DEP_3) | instskip(SKIP_1) | instid1(VALU_DEP_2)
	v_mbcnt_lo_u32_b32 v94, v20, 0
	v_cmp_ne_u32_e64 s24, 0, v20
	v_cmp_eq_u32_e64 s23, 0, v94
	s_delay_alu instid0(VALU_DEP_1) | instskip(NEXT) | instid1(SALU_CYCLE_1)
	s_and_b32 s24, s24, s23
	s_and_saveexec_b32 s23, s24
	s_cbranch_execz .LBB1569_590
; %bb.589:                              ;   in Loop: Header=BB1569_574 Depth=2
	v_bcnt_u32_b32 v20, v20, 0
	ds_store_b32 v96, v20
.LBB1569_590:                           ;   in Loop: Header=BB1569_574 Depth=2
	s_or_b32 exec_lo, exec_lo, s23
	s_xor_b32 s22, s22, -1
	s_delay_alu instid0(SALU_CYCLE_1) | instskip(NEXT) | instid1(VALU_DEP_1)
	v_cndmask_b32_e64 v95, 0, 1, s22
	; wave barrier
	v_lshrrev_b32_e32 v20, s49, v95
	s_delay_alu instid0(VALU_DEP_1) | instskip(NEXT) | instid1(VALU_DEP_1)
	v_and_b32_e32 v20, s30, v20
	v_add_co_u32 v21, s22, v20, -1
	s_delay_alu instid0(VALU_DEP_1) | instskip(SKIP_1) | instid1(VALU_DEP_2)
	v_cndmask_b32_e64 v22, 0, 1, s22
	v_mul_u32_u24_e32 v20, 9, v20
	v_cmp_ne_u32_e64 s22, 0, v22
	s_delay_alu instid0(VALU_DEP_2) | instskip(NEXT) | instid1(VALU_DEP_2)
	v_add_lshl_u32 v22, v20, v82, 2
	v_xor_b32_e32 v20, s22, v21
	ds_load_b32 v97, v22 offset:1056
	v_add_nc_u32_e32 v100, 0x420, v22
	; wave barrier
	v_and_b32_e32 v20, exec_lo, v20
	s_delay_alu instid0(VALU_DEP_1) | instskip(SKIP_1) | instid1(VALU_DEP_2)
	v_mbcnt_lo_u32_b32 v98, v20, 0
	v_cmp_ne_u32_e64 s23, 0, v20
	v_cmp_eq_u32_e64 s22, 0, v98
	s_delay_alu instid0(VALU_DEP_1) | instskip(NEXT) | instid1(SALU_CYCLE_1)
	s_and_b32 s23, s23, s22
	s_and_saveexec_b32 s22, s23
	s_cbranch_execz .LBB1569_592
; %bb.591:                              ;   in Loop: Header=BB1569_574 Depth=2
	s_waitcnt lgkmcnt(0)
	v_bcnt_u32_b32 v20, v20, v97
	ds_store_b32 v100, v20
.LBB1569_592:                           ;   in Loop: Header=BB1569_574 Depth=2
	s_or_b32 exec_lo, exec_lo, s22
	s_xor_b32 s21, s21, -1
	s_delay_alu instid0(SALU_CYCLE_1) | instskip(NEXT) | instid1(VALU_DEP_1)
	v_cndmask_b32_e64 v99, 0, 1, s21
	; wave barrier
	v_lshrrev_b32_e32 v20, s49, v99
	s_delay_alu instid0(VALU_DEP_1) | instskip(NEXT) | instid1(VALU_DEP_1)
	v_and_b32_e32 v20, s30, v20
	v_add_co_u32 v21, s21, v20, -1
	s_delay_alu instid0(VALU_DEP_1) | instskip(SKIP_1) | instid1(VALU_DEP_2)
	v_cndmask_b32_e64 v22, 0, 1, s21
	v_mul_u32_u24_e32 v20, 9, v20
	v_cmp_ne_u32_e64 s21, 0, v22
	s_delay_alu instid0(VALU_DEP_2) | instskip(NEXT) | instid1(VALU_DEP_2)
	v_add_lshl_u32 v22, v20, v82, 2
	v_xor_b32_e32 v20, s21, v21
	ds_load_b32 v101, v22 offset:1056
	v_add_nc_u32_e32 v105, 0x420, v22
	; wave barrier
	v_and_b32_e32 v20, exec_lo, v20
	s_delay_alu instid0(VALU_DEP_1) | instskip(SKIP_1) | instid1(VALU_DEP_2)
	v_mbcnt_lo_u32_b32 v102, v20, 0
	v_cmp_ne_u32_e64 s22, 0, v20
	v_cmp_eq_u32_e64 s21, 0, v102
	s_delay_alu instid0(VALU_DEP_1) | instskip(NEXT) | instid1(SALU_CYCLE_1)
	s_and_b32 s22, s22, s21
	s_and_saveexec_b32 s21, s22
	s_cbranch_execz .LBB1569_594
; %bb.593:                              ;   in Loop: Header=BB1569_574 Depth=2
	s_waitcnt lgkmcnt(0)
	v_bcnt_u32_b32 v20, v20, v101
	ds_store_b32 v105, v20
.LBB1569_594:                           ;   in Loop: Header=BB1569_574 Depth=2
	;; [unrolled: 33-line block ×6, first 2 shown]
	s_or_b32 exec_lo, exec_lo, s17
	s_xor_b32 s17, vcc_lo, -1
	s_delay_alu instid0(SALU_CYCLE_1) | instskip(NEXT) | instid1(VALU_DEP_1)
	v_cndmask_b32_e64 v119, 0, 1, s17
	; wave barrier
	v_lshrrev_b32_e32 v20, s49, v119
	s_delay_alu instid0(VALU_DEP_1) | instskip(NEXT) | instid1(VALU_DEP_1)
	v_and_b32_e32 v20, s30, v20
	v_add_co_u32 v21, s17, v20, -1
	s_delay_alu instid0(VALU_DEP_1) | instskip(SKIP_1) | instid1(VALU_DEP_2)
	v_cndmask_b32_e64 v22, 0, 1, s17
	v_mul_u32_u24_e32 v20, 9, v20
	v_cmp_ne_u32_e32 vcc_lo, 0, v22
	s_delay_alu instid0(VALU_DEP_2) | instskip(SKIP_4) | instid1(VALU_DEP_1)
	v_add_lshl_u32 v22, v20, v82, 2
	v_xor_b32_e32 v20, vcc_lo, v21
	ds_load_b32 v120, v22 offset:1056
	v_add_nc_u32_e32 v123, 0x420, v22
	; wave barrier
	v_and_b32_e32 v20, exec_lo, v20
	v_mbcnt_lo_u32_b32 v122, v20, 0
	v_cmp_ne_u32_e64 s17, 0, v20
	s_delay_alu instid0(VALU_DEP_2) | instskip(NEXT) | instid1(VALU_DEP_2)
	v_cmp_eq_u32_e32 vcc_lo, 0, v122
	s_and_b32 s18, s17, vcc_lo
	s_delay_alu instid0(SALU_CYCLE_1)
	s_and_saveexec_b32 s17, s18
	s_cbranch_execz .LBB1569_604
; %bb.603:                              ;   in Loop: Header=BB1569_574 Depth=2
	s_waitcnt lgkmcnt(0)
	v_bcnt_u32_b32 v20, v20, v120
	ds_store_b32 v123, v20
.LBB1569_604:                           ;   in Loop: Header=BB1569_574 Depth=2
	s_or_b32 exec_lo, exec_lo, s17
	; wave barrier
	s_waitcnt lgkmcnt(0)
	s_barrier
	buffer_gl0_inv
	ds_load_b32 v124, v46 offset:1056
	ds_load_2addr_b32 v[26:27], v47 offset0:1 offset1:2
	ds_load_2addr_b32 v[24:25], v47 offset0:3 offset1:4
	;; [unrolled: 1-line block ×4, first 2 shown]
	s_waitcnt lgkmcnt(3)
	v_add3_u32 v125, v26, v124, v27
	s_waitcnt lgkmcnt(2)
	s_delay_alu instid0(VALU_DEP_1) | instskip(SKIP_1) | instid1(VALU_DEP_1)
	v_add3_u32 v125, v125, v24, v25
	s_waitcnt lgkmcnt(1)
	v_add3_u32 v125, v125, v20, v21
	s_waitcnt lgkmcnt(0)
	s_delay_alu instid0(VALU_DEP_1) | instskip(NEXT) | instid1(VALU_DEP_1)
	v_add3_u32 v23, v125, v22, v23
	v_mov_b32_dpp v125, v23 row_shr:1 row_mask:0xf bank_mask:0xf
	s_delay_alu instid0(VALU_DEP_1) | instskip(NEXT) | instid1(VALU_DEP_1)
	v_cndmask_b32_e64 v125, v125, 0, s0
	v_add_nc_u32_e32 v23, v125, v23
	s_delay_alu instid0(VALU_DEP_1) | instskip(NEXT) | instid1(VALU_DEP_1)
	v_mov_b32_dpp v125, v23 row_shr:2 row_mask:0xf bank_mask:0xf
	v_cndmask_b32_e64 v125, 0, v125, s1
	s_delay_alu instid0(VALU_DEP_1) | instskip(NEXT) | instid1(VALU_DEP_1)
	v_add_nc_u32_e32 v23, v23, v125
	v_mov_b32_dpp v125, v23 row_shr:4 row_mask:0xf bank_mask:0xf
	s_delay_alu instid0(VALU_DEP_1) | instskip(NEXT) | instid1(VALU_DEP_1)
	v_cndmask_b32_e64 v125, 0, v125, s8
	v_add_nc_u32_e32 v23, v23, v125
	s_delay_alu instid0(VALU_DEP_1) | instskip(NEXT) | instid1(VALU_DEP_1)
	v_mov_b32_dpp v125, v23 row_shr:8 row_mask:0xf bank_mask:0xf
	v_cndmask_b32_e64 v125, 0, v125, s9
	s_delay_alu instid0(VALU_DEP_1) | instskip(SKIP_3) | instid1(VALU_DEP_1)
	v_add_nc_u32_e32 v23, v23, v125
	ds_swizzle_b32 v125, v23 offset:swizzle(BROADCAST,32,15)
	s_waitcnt lgkmcnt(0)
	v_cndmask_b32_e64 v125, v125, 0, s10
	v_add_nc_u32_e32 v23, v23, v125
	s_and_saveexec_b32 s17, s3
	s_cbranch_execz .LBB1569_606
; %bb.605:                              ;   in Loop: Header=BB1569_574 Depth=2
	ds_store_b32 v38, v23 offset:1024
.LBB1569_606:                           ;   in Loop: Header=BB1569_574 Depth=2
	s_or_b32 exec_lo, exec_lo, s17
	s_waitcnt lgkmcnt(0)
	s_barrier
	buffer_gl0_inv
	s_and_saveexec_b32 s17, s4
	s_cbranch_execz .LBB1569_608
; %bb.607:                              ;   in Loop: Header=BB1569_574 Depth=2
	v_add_nc_u32_e32 v125, v46, v48
	ds_load_b32 v126, v125 offset:1024
	s_waitcnt lgkmcnt(0)
	v_mov_b32_dpp v127, v126 row_shr:1 row_mask:0xf bank_mask:0xf
	s_delay_alu instid0(VALU_DEP_1) | instskip(NEXT) | instid1(VALU_DEP_1)
	v_cndmask_b32_e64 v127, v127, 0, s12
	v_add_nc_u32_e32 v126, v127, v126
	s_delay_alu instid0(VALU_DEP_1) | instskip(NEXT) | instid1(VALU_DEP_1)
	v_mov_b32_dpp v127, v126 row_shr:2 row_mask:0xf bank_mask:0xf
	v_cndmask_b32_e64 v127, 0, v127, s13
	s_delay_alu instid0(VALU_DEP_1) | instskip(NEXT) | instid1(VALU_DEP_1)
	v_add_nc_u32_e32 v126, v126, v127
	v_mov_b32_dpp v127, v126 row_shr:4 row_mask:0xf bank_mask:0xf
	s_delay_alu instid0(VALU_DEP_1) | instskip(NEXT) | instid1(VALU_DEP_1)
	v_cndmask_b32_e64 v127, 0, v127, s16
	v_add_nc_u32_e32 v126, v126, v127
	ds_store_b32 v125, v126 offset:1024
.LBB1569_608:                           ;   in Loop: Header=BB1569_574 Depth=2
	s_or_b32 exec_lo, exec_lo, s17
	v_mov_b32_e32 v125, 0
	s_waitcnt lgkmcnt(0)
	s_barrier
	buffer_gl0_inv
	s_and_saveexec_b32 s17, s5
	s_cbranch_execz .LBB1569_610
; %bb.609:                              ;   in Loop: Header=BB1569_574 Depth=2
	ds_load_b32 v125, v38 offset:1020
.LBB1569_610:                           ;   in Loop: Header=BB1569_574 Depth=2
	s_or_b32 exec_lo, exec_lo, s17
	s_waitcnt lgkmcnt(0)
	v_add_nc_u32_e32 v23, v125, v23
	ds_bpermute_b32 v23, v69, v23
	s_waitcnt lgkmcnt(0)
	v_cndmask_b32_e64 v23, v23, v125, s11
	s_delay_alu instid0(VALU_DEP_1) | instskip(NEXT) | instid1(VALU_DEP_1)
	v_cndmask_b32_e64 v23, v23, 0, s6
	v_add_nc_u32_e32 v124, v23, v124
	s_delay_alu instid0(VALU_DEP_1) | instskip(NEXT) | instid1(VALU_DEP_1)
	v_add_nc_u32_e32 v26, v124, v26
	v_add_nc_u32_e32 v27, v26, v27
	s_delay_alu instid0(VALU_DEP_1) | instskip(NEXT) | instid1(VALU_DEP_1)
	v_add_nc_u32_e32 v24, v27, v24
	;; [unrolled: 3-line block ×3, first 2 shown]
	v_add_nc_u32_e32 v21, v20, v21
	s_delay_alu instid0(VALU_DEP_1)
	v_add_nc_u32_e32 v22, v21, v22
	ds_store_b32 v46, v23 offset:1056
	ds_store_2addr_b32 v47, v124, v26 offset0:1 offset1:2
	ds_store_2addr_b32 v47, v27, v24 offset0:3 offset1:4
	;; [unrolled: 1-line block ×4, first 2 shown]
	v_mov_b32_e32 v22, 0x800
	s_waitcnt lgkmcnt(0)
	s_barrier
	buffer_gl0_inv
	ds_load_b32 v20, v100
	ds_load_b32 v21, v105
	;; [unrolled: 1-line block ×8, first 2 shown]
	ds_load_b32 v27, v46 offset:1056
	s_and_saveexec_b32 s17, s7
	s_cbranch_execz .LBB1569_612
; %bb.611:                              ;   in Loop: Header=BB1569_574 Depth=2
	ds_load_b32 v22, v49 offset:1056
.LBB1569_612:                           ;   in Loop: Header=BB1569_574 Depth=2
	s_or_b32 exec_lo, exec_lo, s17
	s_waitcnt lgkmcnt(0)
	s_barrier
	buffer_gl0_inv
	s_and_saveexec_b32 s17, s2
	s_cbranch_execz .LBB1569_614
; %bb.613:                              ;   in Loop: Header=BB1569_574 Depth=2
	ds_load_b32 v96, v28
	s_waitcnt lgkmcnt(0)
	v_sub_nc_u32_e32 v27, v96, v27
	ds_store_b32 v28, v27
.LBB1569_614:                           ;   in Loop: Header=BB1569_574 Depth=2
	s_or_b32 exec_lo, exec_lo, s17
	v_add_nc_u32_e32 v100, v26, v94
	v_add3_u32 v96, v98, v97, v20
	v_add3_u32 v94, v102, v101, v21
	;; [unrolled: 1-line block ×7, first 2 shown]
	v_cmp_lt_u32_e64 s23, v1, v2
	ds_store_b8 v100, v93 offset:1024
	ds_store_b8 v96, v95 offset:1024
	;; [unrolled: 1-line block ×8, first 2 shown]
	s_waitcnt lgkmcnt(0)
	s_barrier
	buffer_gl0_inv
	s_and_saveexec_b32 s17, s23
	s_cbranch_execz .LBB1569_622
; %bb.615:                              ;   in Loop: Header=BB1569_574 Depth=2
	ds_load_u8 v20, v1 offset:1024
	s_waitcnt lgkmcnt(0)
	v_and_b32_e32 v21, 1, v20
	v_xor_b32_e32 v20, 1, v20
	s_delay_alu instid0(VALU_DEP_2) | instskip(NEXT) | instid1(VALU_DEP_1)
	v_lshrrev_b32_e32 v21, s49, v21
	v_and_b32_e32 v21, s30, v21
	s_delay_alu instid0(VALU_DEP_1)
	v_lshlrev_b32_e32 v21, 2, v21
	ds_load_b32 v21, v21
	s_waitcnt lgkmcnt(0)
	v_add_nc_u32_e32 v21, v21, v1
	global_store_b8 v21, v20, s[40:41]
	s_or_b32 exec_lo, exec_lo, s17
	v_cmp_lt_u32_e64 s22, v29, v2
	s_delay_alu instid0(VALU_DEP_1)
	s_and_saveexec_b32 s17, s22
	s_cbranch_execnz .LBB1569_623
.LBB1569_616:                           ;   in Loop: Header=BB1569_574 Depth=2
	s_or_b32 exec_lo, exec_lo, s17
	v_cmp_lt_u32_e64 s21, v30, v2
	s_delay_alu instid0(VALU_DEP_1)
	s_and_saveexec_b32 s17, s21
	s_cbranch_execz .LBB1569_624
.LBB1569_617:                           ;   in Loop: Header=BB1569_574 Depth=2
	ds_load_u8 v20, v35 offset:512
	s_waitcnt lgkmcnt(0)
	v_and_b32_e32 v21, 1, v20
	v_xor_b32_e32 v20, 1, v20
	s_delay_alu instid0(VALU_DEP_2) | instskip(NEXT) | instid1(VALU_DEP_1)
	v_lshrrev_b32_e32 v21, s49, v21
	v_and_b32_e32 v21, s30, v21
	s_delay_alu instid0(VALU_DEP_1)
	v_lshlrev_b32_e32 v21, 2, v21
	ds_load_b32 v21, v21
	s_waitcnt lgkmcnt(0)
	v_add_nc_u32_e32 v21, v21, v30
	global_store_b8 v21, v20, s[40:41]
	s_or_b32 exec_lo, exec_lo, s17
	v_cmp_lt_u32_e64 s20, v31, v2
	s_delay_alu instid0(VALU_DEP_1)
	s_and_saveexec_b32 s17, s20
	s_cbranch_execnz .LBB1569_625
.LBB1569_618:                           ;   in Loop: Header=BB1569_574 Depth=2
	s_or_b32 exec_lo, exec_lo, s17
	v_cmp_lt_u32_e64 s19, v35, v2
	s_delay_alu instid0(VALU_DEP_1)
	s_and_saveexec_b32 s17, s19
	s_cbranch_execz .LBB1569_626
.LBB1569_619:                           ;   in Loop: Header=BB1569_574 Depth=2
	ds_load_u8 v20, v35 offset:1024
	s_waitcnt lgkmcnt(0)
	v_and_b32_e32 v21, 1, v20
	v_xor_b32_e32 v20, 1, v20
	s_delay_alu instid0(VALU_DEP_2) | instskip(NEXT) | instid1(VALU_DEP_1)
	v_lshrrev_b32_e32 v21, s49, v21
	v_and_b32_e32 v21, s30, v21
	s_delay_alu instid0(VALU_DEP_1)
	v_lshlrev_b32_e32 v21, 2, v21
	ds_load_b32 v21, v21
	s_waitcnt lgkmcnt(0)
	v_add_nc_u32_e32 v21, v21, v35
	global_store_b8 v21, v20, s[40:41]
	s_or_b32 exec_lo, exec_lo, s17
	v_cmp_lt_u32_e64 s18, v36, v2
	s_delay_alu instid0(VALU_DEP_1)
	s_and_saveexec_b32 s17, s18
	s_cbranch_execnz .LBB1569_627
.LBB1569_620:                           ;   in Loop: Header=BB1569_574 Depth=2
	s_or_b32 exec_lo, exec_lo, s17
	v_cmp_lt_u32_e64 s17, v37, v2
	s_delay_alu instid0(VALU_DEP_1)
	s_and_saveexec_b32 s24, s17
	s_cbranch_execz .LBB1569_628
.LBB1569_621:                           ;   in Loop: Header=BB1569_574 Depth=2
	ds_load_u8 v20, v35 offset:1536
	s_waitcnt lgkmcnt(0)
	v_and_b32_e32 v21, 1, v20
	v_xor_b32_e32 v20, 1, v20
	s_delay_alu instid0(VALU_DEP_2) | instskip(NEXT) | instid1(VALU_DEP_1)
	v_lshrrev_b32_e32 v21, s49, v21
	v_and_b32_e32 v21, s30, v21
	s_delay_alu instid0(VALU_DEP_1)
	v_lshlrev_b32_e32 v21, 2, v21
	ds_load_b32 v21, v21
	s_waitcnt lgkmcnt(0)
	v_add_nc_u32_e32 v21, v21, v37
	global_store_b8 v21, v20, s[40:41]
	s_or_b32 exec_lo, exec_lo, s24
	v_cmp_lt_u32_e32 vcc_lo, v39, v2
	s_and_saveexec_b32 s24, vcc_lo
	s_cbranch_execnz .LBB1569_629
	s_branch .LBB1569_630
.LBB1569_622:                           ;   in Loop: Header=BB1569_574 Depth=2
	s_or_b32 exec_lo, exec_lo, s17
	v_cmp_lt_u32_e64 s22, v29, v2
	s_delay_alu instid0(VALU_DEP_1)
	s_and_saveexec_b32 s17, s22
	s_cbranch_execz .LBB1569_616
.LBB1569_623:                           ;   in Loop: Header=BB1569_574 Depth=2
	ds_load_u8 v20, v35 offset:256
	s_waitcnt lgkmcnt(0)
	v_and_b32_e32 v21, 1, v20
	v_xor_b32_e32 v20, 1, v20
	s_delay_alu instid0(VALU_DEP_2) | instskip(NEXT) | instid1(VALU_DEP_1)
	v_lshrrev_b32_e32 v21, s49, v21
	v_and_b32_e32 v21, s30, v21
	s_delay_alu instid0(VALU_DEP_1)
	v_lshlrev_b32_e32 v21, 2, v21
	ds_load_b32 v21, v21
	s_waitcnt lgkmcnt(0)
	v_add_nc_u32_e32 v21, v21, v29
	global_store_b8 v21, v20, s[40:41]
	s_or_b32 exec_lo, exec_lo, s17
	v_cmp_lt_u32_e64 s21, v30, v2
	s_delay_alu instid0(VALU_DEP_1)
	s_and_saveexec_b32 s17, s21
	s_cbranch_execnz .LBB1569_617
.LBB1569_624:                           ;   in Loop: Header=BB1569_574 Depth=2
	s_or_b32 exec_lo, exec_lo, s17
	v_cmp_lt_u32_e64 s20, v31, v2
	s_delay_alu instid0(VALU_DEP_1)
	s_and_saveexec_b32 s17, s20
	s_cbranch_execz .LBB1569_618
.LBB1569_625:                           ;   in Loop: Header=BB1569_574 Depth=2
	ds_load_u8 v20, v35 offset:768
	s_waitcnt lgkmcnt(0)
	v_and_b32_e32 v21, 1, v20
	v_xor_b32_e32 v20, 1, v20
	s_delay_alu instid0(VALU_DEP_2) | instskip(NEXT) | instid1(VALU_DEP_1)
	v_lshrrev_b32_e32 v21, s49, v21
	v_and_b32_e32 v21, s30, v21
	s_delay_alu instid0(VALU_DEP_1)
	v_lshlrev_b32_e32 v21, 2, v21
	ds_load_b32 v21, v21
	s_waitcnt lgkmcnt(0)
	v_add_nc_u32_e32 v21, v21, v31
	global_store_b8 v21, v20, s[40:41]
	s_or_b32 exec_lo, exec_lo, s17
	v_cmp_lt_u32_e64 s19, v35, v2
	s_delay_alu instid0(VALU_DEP_1)
	s_and_saveexec_b32 s17, s19
	s_cbranch_execnz .LBB1569_619
.LBB1569_626:                           ;   in Loop: Header=BB1569_574 Depth=2
	s_or_b32 exec_lo, exec_lo, s17
	v_cmp_lt_u32_e64 s18, v36, v2
	s_delay_alu instid0(VALU_DEP_1)
	s_and_saveexec_b32 s17, s18
	s_cbranch_execz .LBB1569_620
.LBB1569_627:                           ;   in Loop: Header=BB1569_574 Depth=2
	ds_load_u8 v20, v35 offset:1280
	s_waitcnt lgkmcnt(0)
	v_and_b32_e32 v21, 1, v20
	v_xor_b32_e32 v20, 1, v20
	s_delay_alu instid0(VALU_DEP_2) | instskip(NEXT) | instid1(VALU_DEP_1)
	v_lshrrev_b32_e32 v21, s49, v21
	v_and_b32_e32 v21, s30, v21
	s_delay_alu instid0(VALU_DEP_1)
	v_lshlrev_b32_e32 v21, 2, v21
	ds_load_b32 v21, v21
	s_waitcnt lgkmcnt(0)
	v_add_nc_u32_e32 v21, v21, v36
	global_store_b8 v21, v20, s[40:41]
	s_or_b32 exec_lo, exec_lo, s17
	v_cmp_lt_u32_e64 s17, v37, v2
	s_delay_alu instid0(VALU_DEP_1)
	s_and_saveexec_b32 s24, s17
	s_cbranch_execnz .LBB1569_621
.LBB1569_628:                           ;   in Loop: Header=BB1569_574 Depth=2
	s_or_b32 exec_lo, exec_lo, s24
	v_cmp_lt_u32_e32 vcc_lo, v39, v2
	s_and_saveexec_b32 s24, vcc_lo
	s_cbranch_execz .LBB1569_630
.LBB1569_629:                           ;   in Loop: Header=BB1569_574 Depth=2
	ds_load_u8 v20, v35 offset:1792
	s_waitcnt lgkmcnt(0)
	v_and_b32_e32 v21, 1, v20
	v_xor_b32_e32 v20, 1, v20
	s_delay_alu instid0(VALU_DEP_2) | instskip(NEXT) | instid1(VALU_DEP_1)
	v_lshrrev_b32_e32 v21, s49, v21
	v_and_b32_e32 v21, s30, v21
	s_delay_alu instid0(VALU_DEP_1)
	v_lshlrev_b32_e32 v21, 2, v21
	ds_load_b32 v21, v21
	s_waitcnt lgkmcnt(0)
	v_add_nc_u32_e32 v21, v21, v39
	global_store_b8 v21, v20, s[40:41]
.LBB1569_630:                           ;   in Loop: Header=BB1569_574 Depth=2
	s_or_b32 exec_lo, exec_lo, s24
	s_lshl_b64 s[52:53], s[26:27], 3
	s_delay_alu instid0(SALU_CYCLE_1) | instskip(NEXT) | instid1(VALU_DEP_1)
	v_add_co_u32 v20, s24, v73, s52
	v_add_co_ci_u32_e64 v21, s24, s53, v74, s24
	v_cmp_lt_u32_e64 s24, v70, v2
	s_delay_alu instid0(VALU_DEP_1) | instskip(NEXT) | instid1(SALU_CYCLE_1)
	s_and_saveexec_b32 s26, s24
	s_xor_b32 s24, exec_lo, s26
	s_cbranch_execz .LBB1569_646
; %bb.631:                              ;   in Loop: Header=BB1569_574 Depth=2
	global_load_b64 v[18:19], v[20:21], off
	s_or_b32 exec_lo, exec_lo, s24
	s_delay_alu instid0(SALU_CYCLE_1)
	s_mov_b32 s26, exec_lo
	v_cmpx_lt_u32_e64 v75, v2
	s_cbranch_execnz .LBB1569_647
.LBB1569_632:                           ;   in Loop: Header=BB1569_574 Depth=2
	s_or_b32 exec_lo, exec_lo, s26
	s_delay_alu instid0(SALU_CYCLE_1)
	s_mov_b32 s26, exec_lo
	v_cmpx_lt_u32_e64 v76, v2
	s_cbranch_execz .LBB1569_648
.LBB1569_633:                           ;   in Loop: Header=BB1569_574 Depth=2
	global_load_b64 v[14:15], v[20:21], off offset:512
	s_or_b32 exec_lo, exec_lo, s26
	s_delay_alu instid0(SALU_CYCLE_1)
	s_mov_b32 s26, exec_lo
	v_cmpx_lt_u32_e64 v77, v2
	s_cbranch_execnz .LBB1569_649
.LBB1569_634:                           ;   in Loop: Header=BB1569_574 Depth=2
	s_or_b32 exec_lo, exec_lo, s26
	s_delay_alu instid0(SALU_CYCLE_1)
	s_mov_b32 s26, exec_lo
	v_cmpx_lt_u32_e64 v78, v2
	s_cbranch_execz .LBB1569_650
.LBB1569_635:                           ;   in Loop: Header=BB1569_574 Depth=2
	global_load_b64 v[10:11], v[20:21], off offset:1024
	s_or_b32 exec_lo, exec_lo, s26
	s_delay_alu instid0(SALU_CYCLE_1)
	s_mov_b32 s26, exec_lo
	v_cmpx_lt_u32_e64 v79, v2
	s_cbranch_execnz .LBB1569_651
.LBB1569_636:                           ;   in Loop: Header=BB1569_574 Depth=2
	s_or_b32 exec_lo, exec_lo, s26
	s_delay_alu instid0(SALU_CYCLE_1)
	s_mov_b32 s26, exec_lo
	v_cmpx_lt_u32_e64 v80, v2
	s_cbranch_execz .LBB1569_652
.LBB1569_637:                           ;   in Loop: Header=BB1569_574 Depth=2
	global_load_b64 v[6:7], v[20:21], off offset:1536
	s_or_b32 exec_lo, exec_lo, s26
	s_delay_alu instid0(SALU_CYCLE_1)
	s_mov_b32 s26, exec_lo
	v_cmpx_lt_u32_e64 v81, v2
	s_cbranch_execnz .LBB1569_653
.LBB1569_638:                           ;   in Loop: Header=BB1569_574 Depth=2
	s_or_b32 exec_lo, exec_lo, s26
	s_and_saveexec_b32 s24, s23
	s_cbranch_execz .LBB1569_654
.LBB1569_639:                           ;   in Loop: Header=BB1569_574 Depth=2
	ds_load_u8 v2, v1 offset:1024
	s_waitcnt lgkmcnt(0)
	v_lshrrev_b32_e32 v2, s49, v2
	s_delay_alu instid0(VALU_DEP_1)
	v_and_b32_e32 v92, s30, v2
	s_or_b32 exec_lo, exec_lo, s24
	s_and_saveexec_b32 s24, s22
	s_cbranch_execnz .LBB1569_655
.LBB1569_640:                           ;   in Loop: Header=BB1569_574 Depth=2
	s_or_b32 exec_lo, exec_lo, s24
	s_and_saveexec_b32 s24, s21
	s_cbranch_execz .LBB1569_656
.LBB1569_641:                           ;   in Loop: Header=BB1569_574 Depth=2
	ds_load_u8 v2, v35 offset:512
	s_waitcnt lgkmcnt(0)
	v_lshrrev_b32_e32 v2, s49, v2
	s_delay_alu instid0(VALU_DEP_1)
	v_and_b32_e32 v90, s30, v2
	s_or_b32 exec_lo, exec_lo, s24
	s_and_saveexec_b32 s24, s20
	s_cbranch_execnz .LBB1569_657
.LBB1569_642:                           ;   in Loop: Header=BB1569_574 Depth=2
	s_or_b32 exec_lo, exec_lo, s24
	s_and_saveexec_b32 s24, s19
	s_cbranch_execz .LBB1569_658
.LBB1569_643:                           ;   in Loop: Header=BB1569_574 Depth=2
	ds_load_u8 v2, v35 offset:1024
	s_waitcnt lgkmcnt(0)
	v_lshrrev_b32_e32 v2, s49, v2
	s_delay_alu instid0(VALU_DEP_1)
	v_and_b32_e32 v88, s30, v2
	s_or_b32 exec_lo, exec_lo, s24
	s_and_saveexec_b32 s24, s18
	s_cbranch_execnz .LBB1569_659
.LBB1569_644:                           ;   in Loop: Header=BB1569_574 Depth=2
	s_or_b32 exec_lo, exec_lo, s24
	s_and_saveexec_b32 s24, s17
	s_cbranch_execz .LBB1569_660
.LBB1569_645:                           ;   in Loop: Header=BB1569_574 Depth=2
	ds_load_u8 v2, v35 offset:1536
	s_waitcnt lgkmcnt(0)
	v_lshrrev_b32_e32 v2, s49, v2
	s_delay_alu instid0(VALU_DEP_1)
	v_and_b32_e32 v86, s30, v2
	s_or_b32 exec_lo, exec_lo, s24
	s_and_saveexec_b32 s24, vcc_lo
	s_cbranch_execnz .LBB1569_661
	s_branch .LBB1569_662
.LBB1569_646:                           ;   in Loop: Header=BB1569_574 Depth=2
	s_or_b32 exec_lo, exec_lo, s24
	s_delay_alu instid0(SALU_CYCLE_1)
	s_mov_b32 s26, exec_lo
	v_cmpx_lt_u32_e64 v75, v2
	s_cbranch_execz .LBB1569_632
.LBB1569_647:                           ;   in Loop: Header=BB1569_574 Depth=2
	global_load_b64 v[16:17], v[20:21], off offset:256
	s_or_b32 exec_lo, exec_lo, s26
	s_delay_alu instid0(SALU_CYCLE_1)
	s_mov_b32 s26, exec_lo
	v_cmpx_lt_u32_e64 v76, v2
	s_cbranch_execnz .LBB1569_633
.LBB1569_648:                           ;   in Loop: Header=BB1569_574 Depth=2
	s_or_b32 exec_lo, exec_lo, s26
	s_delay_alu instid0(SALU_CYCLE_1)
	s_mov_b32 s26, exec_lo
	v_cmpx_lt_u32_e64 v77, v2
	s_cbranch_execz .LBB1569_634
.LBB1569_649:                           ;   in Loop: Header=BB1569_574 Depth=2
	global_load_b64 v[12:13], v[20:21], off offset:768
	s_or_b32 exec_lo, exec_lo, s26
	s_delay_alu instid0(SALU_CYCLE_1)
	s_mov_b32 s26, exec_lo
	v_cmpx_lt_u32_e64 v78, v2
	s_cbranch_execnz .LBB1569_635
.LBB1569_650:                           ;   in Loop: Header=BB1569_574 Depth=2
	s_or_b32 exec_lo, exec_lo, s26
	s_delay_alu instid0(SALU_CYCLE_1)
	s_mov_b32 s26, exec_lo
	v_cmpx_lt_u32_e64 v79, v2
	s_cbranch_execz .LBB1569_636
.LBB1569_651:                           ;   in Loop: Header=BB1569_574 Depth=2
	global_load_b64 v[8:9], v[20:21], off offset:1280
	s_or_b32 exec_lo, exec_lo, s26
	s_delay_alu instid0(SALU_CYCLE_1)
	s_mov_b32 s26, exec_lo
	v_cmpx_lt_u32_e64 v80, v2
	s_cbranch_execnz .LBB1569_637
.LBB1569_652:                           ;   in Loop: Header=BB1569_574 Depth=2
	s_or_b32 exec_lo, exec_lo, s26
	s_delay_alu instid0(SALU_CYCLE_1)
	s_mov_b32 s26, exec_lo
	v_cmpx_lt_u32_e64 v81, v2
	s_cbranch_execz .LBB1569_638
.LBB1569_653:                           ;   in Loop: Header=BB1569_574 Depth=2
	global_load_b64 v[4:5], v[20:21], off offset:1792
	s_or_b32 exec_lo, exec_lo, s26
	s_and_saveexec_b32 s24, s23
	s_cbranch_execnz .LBB1569_639
.LBB1569_654:                           ;   in Loop: Header=BB1569_574 Depth=2
	s_or_b32 exec_lo, exec_lo, s24
	s_and_saveexec_b32 s24, s22
	s_cbranch_execz .LBB1569_640
.LBB1569_655:                           ;   in Loop: Header=BB1569_574 Depth=2
	ds_load_u8 v2, v35 offset:256
	s_waitcnt lgkmcnt(0)
	v_lshrrev_b32_e32 v2, s49, v2
	s_delay_alu instid0(VALU_DEP_1)
	v_and_b32_e32 v91, s30, v2
	s_or_b32 exec_lo, exec_lo, s24
	s_and_saveexec_b32 s24, s21
	s_cbranch_execnz .LBB1569_641
.LBB1569_656:                           ;   in Loop: Header=BB1569_574 Depth=2
	s_or_b32 exec_lo, exec_lo, s24
	s_and_saveexec_b32 s24, s20
	s_cbranch_execz .LBB1569_642
.LBB1569_657:                           ;   in Loop: Header=BB1569_574 Depth=2
	ds_load_u8 v2, v35 offset:768
	s_waitcnt lgkmcnt(0)
	v_lshrrev_b32_e32 v2, s49, v2
	s_delay_alu instid0(VALU_DEP_1)
	v_and_b32_e32 v89, s30, v2
	s_or_b32 exec_lo, exec_lo, s24
	s_and_saveexec_b32 s24, s19
	s_cbranch_execnz .LBB1569_643
.LBB1569_658:                           ;   in Loop: Header=BB1569_574 Depth=2
	s_or_b32 exec_lo, exec_lo, s24
	s_and_saveexec_b32 s24, s18
	s_cbranch_execz .LBB1569_644
.LBB1569_659:                           ;   in Loop: Header=BB1569_574 Depth=2
	ds_load_u8 v2, v35 offset:1280
	s_waitcnt lgkmcnt(0)
	v_lshrrev_b32_e32 v2, s49, v2
	s_delay_alu instid0(VALU_DEP_1)
	v_and_b32_e32 v87, s30, v2
	s_or_b32 exec_lo, exec_lo, s24
	s_and_saveexec_b32 s24, s17
	s_cbranch_execnz .LBB1569_645
.LBB1569_660:                           ;   in Loop: Header=BB1569_574 Depth=2
	s_or_b32 exec_lo, exec_lo, s24
	s_and_saveexec_b32 s24, vcc_lo
	s_cbranch_execz .LBB1569_662
.LBB1569_661:                           ;   in Loop: Header=BB1569_574 Depth=2
	ds_load_u8 v2, v35 offset:1792
	s_waitcnt lgkmcnt(0)
	v_lshrrev_b32_e32 v2, s49, v2
	s_delay_alu instid0(VALU_DEP_1)
	v_and_b32_e32 v85, s30, v2
.LBB1569_662:                           ;   in Loop: Header=BB1569_574 Depth=2
	s_or_b32 exec_lo, exec_lo, s24
	v_lshlrev_b32_e32 v2, 3, v100
	v_lshlrev_b32_e32 v20, 3, v96
	;; [unrolled: 1-line block ×3, first 2 shown]
	s_waitcnt vmcnt(0)
	s_waitcnt_vscnt null, 0x0
	s_barrier
	buffer_gl0_inv
	ds_store_b64 v2, v[18:19] offset:1024
	ds_store_b64 v20, v[16:17] offset:1024
	;; [unrolled: 1-line block ×3, first 2 shown]
	v_lshlrev_b32_e32 v2, 3, v27
	v_lshlrev_b32_e32 v20, 3, v26
	;; [unrolled: 1-line block ×5, first 2 shown]
	ds_store_b64 v2, v[12:13] offset:1024
	ds_store_b64 v20, v[10:11] offset:1024
	;; [unrolled: 1-line block ×5, first 2 shown]
	s_waitcnt lgkmcnt(0)
	s_barrier
	buffer_gl0_inv
	s_and_saveexec_b32 s24, s23
	s_cbranch_execz .LBB1569_670
; %bb.663:                              ;   in Loop: Header=BB1569_574 Depth=2
	v_lshlrev_b32_e32 v2, 2, v92
	v_add_nc_u32_e32 v20, v1, v52
	ds_load_b32 v2, v2
	ds_load_b64 v[20:21], v20 offset:1024
	s_waitcnt lgkmcnt(1)
	v_add_nc_u32_e32 v2, v2, v1
	s_delay_alu instid0(VALU_DEP_1) | instskip(NEXT) | instid1(VALU_DEP_1)
	v_lshlrev_b64 v[23:24], 3, v[2:3]
	v_add_co_u32 v23, s23, s46, v23
	s_delay_alu instid0(VALU_DEP_1)
	v_add_co_ci_u32_e64 v24, s23, s47, v24, s23
	s_waitcnt lgkmcnt(0)
	global_store_b64 v[23:24], v[20:21], off
	s_or_b32 exec_lo, exec_lo, s24
	v_add_nc_u32_e32 v20, v35, v52
	s_and_saveexec_b32 s23, s22
	s_cbranch_execnz .LBB1569_671
.LBB1569_664:                           ;   in Loop: Header=BB1569_574 Depth=2
	s_or_b32 exec_lo, exec_lo, s23
	s_and_saveexec_b32 s22, s21
	s_cbranch_execz .LBB1569_672
.LBB1569_665:                           ;   in Loop: Header=BB1569_574 Depth=2
	v_lshlrev_b32_e32 v2, 2, v90
	ds_load_b32 v2, v2
	ds_load_b64 v[23:24], v20 offset:4096
	s_waitcnt lgkmcnt(1)
	v_add_nc_u32_e32 v2, v2, v30
	s_delay_alu instid0(VALU_DEP_1) | instskip(NEXT) | instid1(VALU_DEP_1)
	v_lshlrev_b64 v[25:26], 3, v[2:3]
	v_add_co_u32 v25, s21, s46, v25
	s_delay_alu instid0(VALU_DEP_1)
	v_add_co_ci_u32_e64 v26, s21, s47, v26, s21
	s_waitcnt lgkmcnt(0)
	global_store_b64 v[25:26], v[23:24], off
	s_or_b32 exec_lo, exec_lo, s22
	s_and_saveexec_b32 s21, s20
	s_cbranch_execnz .LBB1569_673
.LBB1569_666:                           ;   in Loop: Header=BB1569_574 Depth=2
	s_or_b32 exec_lo, exec_lo, s21
	s_and_saveexec_b32 s20, s19
	s_cbranch_execz .LBB1569_674
.LBB1569_667:                           ;   in Loop: Header=BB1569_574 Depth=2
	v_lshlrev_b32_e32 v2, 2, v88
	ds_load_b32 v2, v2
	ds_load_b64 v[23:24], v20 offset:8192
	s_waitcnt lgkmcnt(1)
	v_add_nc_u32_e32 v2, v2, v35
	s_delay_alu instid0(VALU_DEP_1) | instskip(NEXT) | instid1(VALU_DEP_1)
	v_lshlrev_b64 v[25:26], 3, v[2:3]
	v_add_co_u32 v25, s19, s46, v25
	s_delay_alu instid0(VALU_DEP_1)
	v_add_co_ci_u32_e64 v26, s19, s47, v26, s19
	s_waitcnt lgkmcnt(0)
	global_store_b64 v[25:26], v[23:24], off
	s_or_b32 exec_lo, exec_lo, s20
	s_and_saveexec_b32 s19, s18
	s_cbranch_execnz .LBB1569_675
.LBB1569_668:                           ;   in Loop: Header=BB1569_574 Depth=2
	s_or_b32 exec_lo, exec_lo, s19
	s_and_saveexec_b32 s18, s17
	s_cbranch_execz .LBB1569_676
.LBB1569_669:                           ;   in Loop: Header=BB1569_574 Depth=2
	v_lshlrev_b32_e32 v2, 2, v86
	ds_load_b32 v2, v2
	ds_load_b64 v[23:24], v20 offset:12288
	s_waitcnt lgkmcnt(1)
	v_add_nc_u32_e32 v2, v2, v37
	s_delay_alu instid0(VALU_DEP_1) | instskip(NEXT) | instid1(VALU_DEP_1)
	v_lshlrev_b64 v[25:26], 3, v[2:3]
	v_add_co_u32 v25, s17, s46, v25
	s_delay_alu instid0(VALU_DEP_1)
	v_add_co_ci_u32_e64 v26, s17, s47, v26, s17
	s_waitcnt lgkmcnt(0)
	global_store_b64 v[25:26], v[23:24], off
	s_or_b32 exec_lo, exec_lo, s18
	s_and_saveexec_b32 s17, vcc_lo
	s_cbranch_execnz .LBB1569_677
	s_branch .LBB1569_678
.LBB1569_670:                           ;   in Loop: Header=BB1569_574 Depth=2
	s_or_b32 exec_lo, exec_lo, s24
	v_add_nc_u32_e32 v20, v35, v52
	s_and_saveexec_b32 s23, s22
	s_cbranch_execz .LBB1569_664
.LBB1569_671:                           ;   in Loop: Header=BB1569_574 Depth=2
	v_lshlrev_b32_e32 v2, 2, v91
	ds_load_b32 v2, v2
	ds_load_b64 v[23:24], v20 offset:2048
	s_waitcnt lgkmcnt(1)
	v_add_nc_u32_e32 v2, v2, v29
	s_delay_alu instid0(VALU_DEP_1) | instskip(NEXT) | instid1(VALU_DEP_1)
	v_lshlrev_b64 v[25:26], 3, v[2:3]
	v_add_co_u32 v25, s22, s46, v25
	s_delay_alu instid0(VALU_DEP_1)
	v_add_co_ci_u32_e64 v26, s22, s47, v26, s22
	s_waitcnt lgkmcnt(0)
	global_store_b64 v[25:26], v[23:24], off
	s_or_b32 exec_lo, exec_lo, s23
	s_and_saveexec_b32 s22, s21
	s_cbranch_execnz .LBB1569_665
.LBB1569_672:                           ;   in Loop: Header=BB1569_574 Depth=2
	s_or_b32 exec_lo, exec_lo, s22
	s_and_saveexec_b32 s21, s20
	s_cbranch_execz .LBB1569_666
.LBB1569_673:                           ;   in Loop: Header=BB1569_574 Depth=2
	v_lshlrev_b32_e32 v2, 2, v89
	ds_load_b32 v2, v2
	ds_load_b64 v[23:24], v20 offset:6144
	s_waitcnt lgkmcnt(1)
	v_add_nc_u32_e32 v2, v2, v31
	s_delay_alu instid0(VALU_DEP_1) | instskip(NEXT) | instid1(VALU_DEP_1)
	v_lshlrev_b64 v[25:26], 3, v[2:3]
	v_add_co_u32 v25, s20, s46, v25
	s_delay_alu instid0(VALU_DEP_1)
	v_add_co_ci_u32_e64 v26, s20, s47, v26, s20
	s_waitcnt lgkmcnt(0)
	global_store_b64 v[25:26], v[23:24], off
	s_or_b32 exec_lo, exec_lo, s21
	s_and_saveexec_b32 s20, s19
	s_cbranch_execnz .LBB1569_667
.LBB1569_674:                           ;   in Loop: Header=BB1569_574 Depth=2
	s_or_b32 exec_lo, exec_lo, s20
	s_and_saveexec_b32 s19, s18
	s_cbranch_execz .LBB1569_668
.LBB1569_675:                           ;   in Loop: Header=BB1569_574 Depth=2
	v_lshlrev_b32_e32 v2, 2, v87
	ds_load_b32 v2, v2
	ds_load_b64 v[23:24], v20 offset:10240
	s_waitcnt lgkmcnt(1)
	v_add_nc_u32_e32 v2, v2, v36
	s_delay_alu instid0(VALU_DEP_1) | instskip(NEXT) | instid1(VALU_DEP_1)
	v_lshlrev_b64 v[25:26], 3, v[2:3]
	v_add_co_u32 v25, s18, s46, v25
	s_delay_alu instid0(VALU_DEP_1)
	v_add_co_ci_u32_e64 v26, s18, s47, v26, s18
	s_waitcnt lgkmcnt(0)
	global_store_b64 v[25:26], v[23:24], off
	s_or_b32 exec_lo, exec_lo, s19
	s_and_saveexec_b32 s18, s17
	s_cbranch_execnz .LBB1569_669
.LBB1569_676:                           ;   in Loop: Header=BB1569_574 Depth=2
	s_or_b32 exec_lo, exec_lo, s18
	s_and_saveexec_b32 s17, vcc_lo
	s_cbranch_execz .LBB1569_678
.LBB1569_677:                           ;   in Loop: Header=BB1569_574 Depth=2
	v_lshlrev_b32_e32 v2, 2, v85
	ds_load_b32 v2, v2
	ds_load_b64 v[20:21], v20 offset:14336
	s_waitcnt lgkmcnt(1)
	v_add_nc_u32_e32 v2, v2, v39
	s_delay_alu instid0(VALU_DEP_1) | instskip(NEXT) | instid1(VALU_DEP_1)
	v_lshlrev_b64 v[23:24], 3, v[2:3]
	v_add_co_u32 v23, vcc_lo, s46, v23
	s_delay_alu instid0(VALU_DEP_2)
	v_add_co_ci_u32_e32 v24, vcc_lo, s47, v24, vcc_lo
	s_waitcnt lgkmcnt(0)
	global_store_b64 v[23:24], v[20:21], off
.LBB1569_678:                           ;   in Loop: Header=BB1569_574 Depth=2
	s_or_b32 exec_lo, exec_lo, s17
	s_waitcnt_vscnt null, 0x0
	s_barrier
	buffer_gl0_inv
	s_and_saveexec_b32 s17, s2
	s_cbranch_execz .LBB1569_573
; %bb.679:                              ;   in Loop: Header=BB1569_574 Depth=2
	ds_load_b32 v2, v28
	s_waitcnt lgkmcnt(0)
	v_add_nc_u32_e32 v2, v2, v22
	ds_store_b32 v28, v2
	s_branch .LBB1569_573
.LBB1569_680:                           ;   in Loop: Header=BB1569_574 Depth=2
	s_or_b32 exec_lo, exec_lo, s17
	s_delay_alu instid0(SALU_CYCLE_1)
	s_mov_b32 s17, exec_lo
	v_cmpx_gt_u32_e64 s31, v75
	s_cbranch_execz .LBB1569_579
.LBB1569_681:                           ;   in Loop: Header=BB1569_574 Depth=2
	global_load_u8 v2, v[22:23], off offset:32
	s_waitcnt vmcnt(0)
	v_perm_b32 v20, v20, v2, 0x7060004
	s_or_b32 exec_lo, exec_lo, s17
	s_delay_alu instid0(SALU_CYCLE_1)
	s_mov_b32 s17, exec_lo
	v_cmpx_gt_u32_e64 s31, v76
	s_cbranch_execnz .LBB1569_580
.LBB1569_682:                           ;   in Loop: Header=BB1569_574 Depth=2
	s_or_b32 exec_lo, exec_lo, s17
	s_delay_alu instid0(SALU_CYCLE_1)
	s_mov_b32 s17, exec_lo
	v_cmpx_gt_u32_e64 s31, v77
	s_cbranch_execz .LBB1569_581
.LBB1569_683:                           ;   in Loop: Header=BB1569_574 Depth=2
	global_load_u8 v2, v[22:23], off offset:96
	v_lshrrev_b32_e32 v24, 16, v20
	s_delay_alu instid0(VALU_DEP_1) | instskip(SKIP_2) | instid1(VALU_DEP_1)
	v_and_b32_e32 v24, 0xff, v24
	s_waitcnt vmcnt(0)
	v_lshlrev_b16 v2, 8, v2
	v_or_b32_e32 v2, v24, v2
	s_delay_alu instid0(VALU_DEP_1) | instskip(NEXT) | instid1(VALU_DEP_1)
	v_lshlrev_b32_e32 v2, 16, v2
	v_and_or_b32 v20, 0xffff, v20, v2
	s_or_b32 exec_lo, exec_lo, s17
	s_delay_alu instid0(SALU_CYCLE_1)
	s_mov_b32 s17, exec_lo
	v_cmpx_gt_u32_e64 s31, v78
	s_cbranch_execnz .LBB1569_582
.LBB1569_684:                           ;   in Loop: Header=BB1569_574 Depth=2
	s_or_b32 exec_lo, exec_lo, s17
	s_delay_alu instid0(SALU_CYCLE_1)
	s_mov_b32 s17, exec_lo
	v_cmpx_gt_u32_e64 s31, v79
	s_cbranch_execz .LBB1569_583
.LBB1569_685:                           ;   in Loop: Header=BB1569_574 Depth=2
	global_load_u8 v2, v[22:23], off offset:160
	s_waitcnt vmcnt(0)
	v_perm_b32 v21, v21, v2, 0x7060004
	s_or_b32 exec_lo, exec_lo, s17
	s_delay_alu instid0(SALU_CYCLE_1)
	s_mov_b32 s17, exec_lo
	v_cmpx_gt_u32_e64 s31, v80
	s_cbranch_execnz .LBB1569_584
	s_branch .LBB1569_585
.LBB1569_686:
	s_endpgm
	.section	.rodata,"a",@progbits
	.p2align	6, 0x0
	.amdhsa_kernel _ZN7rocprim17ROCPRIM_400000_NS6detail17trampoline_kernelINS0_14default_configENS1_36segmented_radix_sort_config_selectorIblEEZNS1_25segmented_radix_sort_implIS3_Lb1EPKbPbPKlPlN2at6native12_GLOBAL__N_18offset_tEEE10hipError_tPvRmT1_PNSt15iterator_traitsISK_E10value_typeET2_T3_PNSL_ISQ_E10value_typeET4_jRbjT5_SW_jjP12ihipStream_tbEUlT_E2_NS1_11comp_targetILNS1_3genE9ELNS1_11target_archE1100ELNS1_3gpuE3ELNS1_3repE0EEENS1_30default_config_static_selectorELNS0_4arch9wavefront6targetE0EEEvSK_
		.amdhsa_group_segment_fixed_size 17440
		.amdhsa_private_segment_fixed_size 0
		.amdhsa_kernarg_size 336
		.amdhsa_user_sgpr_count 14
		.amdhsa_user_sgpr_dispatch_ptr 0
		.amdhsa_user_sgpr_queue_ptr 0
		.amdhsa_user_sgpr_kernarg_segment_ptr 1
		.amdhsa_user_sgpr_dispatch_id 0
		.amdhsa_user_sgpr_private_segment_size 0
		.amdhsa_wavefront_size32 1
		.amdhsa_uses_dynamic_stack 0
		.amdhsa_enable_private_segment 0
		.amdhsa_system_sgpr_workgroup_id_x 1
		.amdhsa_system_sgpr_workgroup_id_y 1
		.amdhsa_system_sgpr_workgroup_id_z 0
		.amdhsa_system_sgpr_workgroup_info 0
		.amdhsa_system_vgpr_workitem_id 2
		.amdhsa_next_free_vgpr 183
		.amdhsa_next_free_sgpr 54
		.amdhsa_reserve_vcc 1
		.amdhsa_float_round_mode_32 0
		.amdhsa_float_round_mode_16_64 0
		.amdhsa_float_denorm_mode_32 3
		.amdhsa_float_denorm_mode_16_64 3
		.amdhsa_dx10_clamp 1
		.amdhsa_ieee_mode 1
		.amdhsa_fp16_overflow 0
		.amdhsa_workgroup_processor_mode 1
		.amdhsa_memory_ordered 1
		.amdhsa_forward_progress 0
		.amdhsa_shared_vgpr_count 0
		.amdhsa_exception_fp_ieee_invalid_op 0
		.amdhsa_exception_fp_denorm_src 0
		.amdhsa_exception_fp_ieee_div_zero 0
		.amdhsa_exception_fp_ieee_overflow 0
		.amdhsa_exception_fp_ieee_underflow 0
		.amdhsa_exception_fp_ieee_inexact 0
		.amdhsa_exception_int_div_zero 0
	.end_amdhsa_kernel
	.section	.text._ZN7rocprim17ROCPRIM_400000_NS6detail17trampoline_kernelINS0_14default_configENS1_36segmented_radix_sort_config_selectorIblEEZNS1_25segmented_radix_sort_implIS3_Lb1EPKbPbPKlPlN2at6native12_GLOBAL__N_18offset_tEEE10hipError_tPvRmT1_PNSt15iterator_traitsISK_E10value_typeET2_T3_PNSL_ISQ_E10value_typeET4_jRbjT5_SW_jjP12ihipStream_tbEUlT_E2_NS1_11comp_targetILNS1_3genE9ELNS1_11target_archE1100ELNS1_3gpuE3ELNS1_3repE0EEENS1_30default_config_static_selectorELNS0_4arch9wavefront6targetE0EEEvSK_,"axG",@progbits,_ZN7rocprim17ROCPRIM_400000_NS6detail17trampoline_kernelINS0_14default_configENS1_36segmented_radix_sort_config_selectorIblEEZNS1_25segmented_radix_sort_implIS3_Lb1EPKbPbPKlPlN2at6native12_GLOBAL__N_18offset_tEEE10hipError_tPvRmT1_PNSt15iterator_traitsISK_E10value_typeET2_T3_PNSL_ISQ_E10value_typeET4_jRbjT5_SW_jjP12ihipStream_tbEUlT_E2_NS1_11comp_targetILNS1_3genE9ELNS1_11target_archE1100ELNS1_3gpuE3ELNS1_3repE0EEENS1_30default_config_static_selectorELNS0_4arch9wavefront6targetE0EEEvSK_,comdat
.Lfunc_end1569:
	.size	_ZN7rocprim17ROCPRIM_400000_NS6detail17trampoline_kernelINS0_14default_configENS1_36segmented_radix_sort_config_selectorIblEEZNS1_25segmented_radix_sort_implIS3_Lb1EPKbPbPKlPlN2at6native12_GLOBAL__N_18offset_tEEE10hipError_tPvRmT1_PNSt15iterator_traitsISK_E10value_typeET2_T3_PNSL_ISQ_E10value_typeET4_jRbjT5_SW_jjP12ihipStream_tbEUlT_E2_NS1_11comp_targetILNS1_3genE9ELNS1_11target_archE1100ELNS1_3gpuE3ELNS1_3repE0EEENS1_30default_config_static_selectorELNS0_4arch9wavefront6targetE0EEEvSK_, .Lfunc_end1569-_ZN7rocprim17ROCPRIM_400000_NS6detail17trampoline_kernelINS0_14default_configENS1_36segmented_radix_sort_config_selectorIblEEZNS1_25segmented_radix_sort_implIS3_Lb1EPKbPbPKlPlN2at6native12_GLOBAL__N_18offset_tEEE10hipError_tPvRmT1_PNSt15iterator_traitsISK_E10value_typeET2_T3_PNSL_ISQ_E10value_typeET4_jRbjT5_SW_jjP12ihipStream_tbEUlT_E2_NS1_11comp_targetILNS1_3genE9ELNS1_11target_archE1100ELNS1_3gpuE3ELNS1_3repE0EEENS1_30default_config_static_selectorELNS0_4arch9wavefront6targetE0EEEvSK_
                                        ; -- End function
	.section	.AMDGPU.csdata,"",@progbits
; Kernel info:
; codeLenInByte = 34556
; NumSgprs: 56
; NumVgprs: 183
; ScratchSize: 0
; MemoryBound: 0
; FloatMode: 240
; IeeeMode: 1
; LDSByteSize: 17440 bytes/workgroup (compile time only)
; SGPRBlocks: 6
; VGPRBlocks: 22
; NumSGPRsForWavesPerEU: 56
; NumVGPRsForWavesPerEU: 183
; Occupancy: 8
; WaveLimiterHint : 1
; COMPUTE_PGM_RSRC2:SCRATCH_EN: 0
; COMPUTE_PGM_RSRC2:USER_SGPR: 14
; COMPUTE_PGM_RSRC2:TRAP_HANDLER: 0
; COMPUTE_PGM_RSRC2:TGID_X_EN: 1
; COMPUTE_PGM_RSRC2:TGID_Y_EN: 1
; COMPUTE_PGM_RSRC2:TGID_Z_EN: 0
; COMPUTE_PGM_RSRC2:TIDIG_COMP_CNT: 2
	.section	.text._ZN7rocprim17ROCPRIM_400000_NS6detail17trampoline_kernelINS0_14default_configENS1_36segmented_radix_sort_config_selectorIblEEZNS1_25segmented_radix_sort_implIS3_Lb1EPKbPbPKlPlN2at6native12_GLOBAL__N_18offset_tEEE10hipError_tPvRmT1_PNSt15iterator_traitsISK_E10value_typeET2_T3_PNSL_ISQ_E10value_typeET4_jRbjT5_SW_jjP12ihipStream_tbEUlT_E2_NS1_11comp_targetILNS1_3genE8ELNS1_11target_archE1030ELNS1_3gpuE2ELNS1_3repE0EEENS1_30default_config_static_selectorELNS0_4arch9wavefront6targetE0EEEvSK_,"axG",@progbits,_ZN7rocprim17ROCPRIM_400000_NS6detail17trampoline_kernelINS0_14default_configENS1_36segmented_radix_sort_config_selectorIblEEZNS1_25segmented_radix_sort_implIS3_Lb1EPKbPbPKlPlN2at6native12_GLOBAL__N_18offset_tEEE10hipError_tPvRmT1_PNSt15iterator_traitsISK_E10value_typeET2_T3_PNSL_ISQ_E10value_typeET4_jRbjT5_SW_jjP12ihipStream_tbEUlT_E2_NS1_11comp_targetILNS1_3genE8ELNS1_11target_archE1030ELNS1_3gpuE2ELNS1_3repE0EEENS1_30default_config_static_selectorELNS0_4arch9wavefront6targetE0EEEvSK_,comdat
	.globl	_ZN7rocprim17ROCPRIM_400000_NS6detail17trampoline_kernelINS0_14default_configENS1_36segmented_radix_sort_config_selectorIblEEZNS1_25segmented_radix_sort_implIS3_Lb1EPKbPbPKlPlN2at6native12_GLOBAL__N_18offset_tEEE10hipError_tPvRmT1_PNSt15iterator_traitsISK_E10value_typeET2_T3_PNSL_ISQ_E10value_typeET4_jRbjT5_SW_jjP12ihipStream_tbEUlT_E2_NS1_11comp_targetILNS1_3genE8ELNS1_11target_archE1030ELNS1_3gpuE2ELNS1_3repE0EEENS1_30default_config_static_selectorELNS0_4arch9wavefront6targetE0EEEvSK_ ; -- Begin function _ZN7rocprim17ROCPRIM_400000_NS6detail17trampoline_kernelINS0_14default_configENS1_36segmented_radix_sort_config_selectorIblEEZNS1_25segmented_radix_sort_implIS3_Lb1EPKbPbPKlPlN2at6native12_GLOBAL__N_18offset_tEEE10hipError_tPvRmT1_PNSt15iterator_traitsISK_E10value_typeET2_T3_PNSL_ISQ_E10value_typeET4_jRbjT5_SW_jjP12ihipStream_tbEUlT_E2_NS1_11comp_targetILNS1_3genE8ELNS1_11target_archE1030ELNS1_3gpuE2ELNS1_3repE0EEENS1_30default_config_static_selectorELNS0_4arch9wavefront6targetE0EEEvSK_
	.p2align	8
	.type	_ZN7rocprim17ROCPRIM_400000_NS6detail17trampoline_kernelINS0_14default_configENS1_36segmented_radix_sort_config_selectorIblEEZNS1_25segmented_radix_sort_implIS3_Lb1EPKbPbPKlPlN2at6native12_GLOBAL__N_18offset_tEEE10hipError_tPvRmT1_PNSt15iterator_traitsISK_E10value_typeET2_T3_PNSL_ISQ_E10value_typeET4_jRbjT5_SW_jjP12ihipStream_tbEUlT_E2_NS1_11comp_targetILNS1_3genE8ELNS1_11target_archE1030ELNS1_3gpuE2ELNS1_3repE0EEENS1_30default_config_static_selectorELNS0_4arch9wavefront6targetE0EEEvSK_,@function
_ZN7rocprim17ROCPRIM_400000_NS6detail17trampoline_kernelINS0_14default_configENS1_36segmented_radix_sort_config_selectorIblEEZNS1_25segmented_radix_sort_implIS3_Lb1EPKbPbPKlPlN2at6native12_GLOBAL__N_18offset_tEEE10hipError_tPvRmT1_PNSt15iterator_traitsISK_E10value_typeET2_T3_PNSL_ISQ_E10value_typeET4_jRbjT5_SW_jjP12ihipStream_tbEUlT_E2_NS1_11comp_targetILNS1_3genE8ELNS1_11target_archE1030ELNS1_3gpuE2ELNS1_3repE0EEENS1_30default_config_static_selectorELNS0_4arch9wavefront6targetE0EEEvSK_: ; @_ZN7rocprim17ROCPRIM_400000_NS6detail17trampoline_kernelINS0_14default_configENS1_36segmented_radix_sort_config_selectorIblEEZNS1_25segmented_radix_sort_implIS3_Lb1EPKbPbPKlPlN2at6native12_GLOBAL__N_18offset_tEEE10hipError_tPvRmT1_PNSt15iterator_traitsISK_E10value_typeET2_T3_PNSL_ISQ_E10value_typeET4_jRbjT5_SW_jjP12ihipStream_tbEUlT_E2_NS1_11comp_targetILNS1_3genE8ELNS1_11target_archE1030ELNS1_3gpuE2ELNS1_3repE0EEENS1_30default_config_static_selectorELNS0_4arch9wavefront6targetE0EEEvSK_
; %bb.0:
	.section	.rodata,"a",@progbits
	.p2align	6, 0x0
	.amdhsa_kernel _ZN7rocprim17ROCPRIM_400000_NS6detail17trampoline_kernelINS0_14default_configENS1_36segmented_radix_sort_config_selectorIblEEZNS1_25segmented_radix_sort_implIS3_Lb1EPKbPbPKlPlN2at6native12_GLOBAL__N_18offset_tEEE10hipError_tPvRmT1_PNSt15iterator_traitsISK_E10value_typeET2_T3_PNSL_ISQ_E10value_typeET4_jRbjT5_SW_jjP12ihipStream_tbEUlT_E2_NS1_11comp_targetILNS1_3genE8ELNS1_11target_archE1030ELNS1_3gpuE2ELNS1_3repE0EEENS1_30default_config_static_selectorELNS0_4arch9wavefront6targetE0EEEvSK_
		.amdhsa_group_segment_fixed_size 0
		.amdhsa_private_segment_fixed_size 0
		.amdhsa_kernarg_size 80
		.amdhsa_user_sgpr_count 15
		.amdhsa_user_sgpr_dispatch_ptr 0
		.amdhsa_user_sgpr_queue_ptr 0
		.amdhsa_user_sgpr_kernarg_segment_ptr 1
		.amdhsa_user_sgpr_dispatch_id 0
		.amdhsa_user_sgpr_private_segment_size 0
		.amdhsa_wavefront_size32 1
		.amdhsa_uses_dynamic_stack 0
		.amdhsa_enable_private_segment 0
		.amdhsa_system_sgpr_workgroup_id_x 1
		.amdhsa_system_sgpr_workgroup_id_y 0
		.amdhsa_system_sgpr_workgroup_id_z 0
		.amdhsa_system_sgpr_workgroup_info 0
		.amdhsa_system_vgpr_workitem_id 0
		.amdhsa_next_free_vgpr 1
		.amdhsa_next_free_sgpr 1
		.amdhsa_reserve_vcc 0
		.amdhsa_float_round_mode_32 0
		.amdhsa_float_round_mode_16_64 0
		.amdhsa_float_denorm_mode_32 3
		.amdhsa_float_denorm_mode_16_64 3
		.amdhsa_dx10_clamp 1
		.amdhsa_ieee_mode 1
		.amdhsa_fp16_overflow 0
		.amdhsa_workgroup_processor_mode 1
		.amdhsa_memory_ordered 1
		.amdhsa_forward_progress 0
		.amdhsa_shared_vgpr_count 0
		.amdhsa_exception_fp_ieee_invalid_op 0
		.amdhsa_exception_fp_denorm_src 0
		.amdhsa_exception_fp_ieee_div_zero 0
		.amdhsa_exception_fp_ieee_overflow 0
		.amdhsa_exception_fp_ieee_underflow 0
		.amdhsa_exception_fp_ieee_inexact 0
		.amdhsa_exception_int_div_zero 0
	.end_amdhsa_kernel
	.section	.text._ZN7rocprim17ROCPRIM_400000_NS6detail17trampoline_kernelINS0_14default_configENS1_36segmented_radix_sort_config_selectorIblEEZNS1_25segmented_radix_sort_implIS3_Lb1EPKbPbPKlPlN2at6native12_GLOBAL__N_18offset_tEEE10hipError_tPvRmT1_PNSt15iterator_traitsISK_E10value_typeET2_T3_PNSL_ISQ_E10value_typeET4_jRbjT5_SW_jjP12ihipStream_tbEUlT_E2_NS1_11comp_targetILNS1_3genE8ELNS1_11target_archE1030ELNS1_3gpuE2ELNS1_3repE0EEENS1_30default_config_static_selectorELNS0_4arch9wavefront6targetE0EEEvSK_,"axG",@progbits,_ZN7rocprim17ROCPRIM_400000_NS6detail17trampoline_kernelINS0_14default_configENS1_36segmented_radix_sort_config_selectorIblEEZNS1_25segmented_radix_sort_implIS3_Lb1EPKbPbPKlPlN2at6native12_GLOBAL__N_18offset_tEEE10hipError_tPvRmT1_PNSt15iterator_traitsISK_E10value_typeET2_T3_PNSL_ISQ_E10value_typeET4_jRbjT5_SW_jjP12ihipStream_tbEUlT_E2_NS1_11comp_targetILNS1_3genE8ELNS1_11target_archE1030ELNS1_3gpuE2ELNS1_3repE0EEENS1_30default_config_static_selectorELNS0_4arch9wavefront6targetE0EEEvSK_,comdat
.Lfunc_end1570:
	.size	_ZN7rocprim17ROCPRIM_400000_NS6detail17trampoline_kernelINS0_14default_configENS1_36segmented_radix_sort_config_selectorIblEEZNS1_25segmented_radix_sort_implIS3_Lb1EPKbPbPKlPlN2at6native12_GLOBAL__N_18offset_tEEE10hipError_tPvRmT1_PNSt15iterator_traitsISK_E10value_typeET2_T3_PNSL_ISQ_E10value_typeET4_jRbjT5_SW_jjP12ihipStream_tbEUlT_E2_NS1_11comp_targetILNS1_3genE8ELNS1_11target_archE1030ELNS1_3gpuE2ELNS1_3repE0EEENS1_30default_config_static_selectorELNS0_4arch9wavefront6targetE0EEEvSK_, .Lfunc_end1570-_ZN7rocprim17ROCPRIM_400000_NS6detail17trampoline_kernelINS0_14default_configENS1_36segmented_radix_sort_config_selectorIblEEZNS1_25segmented_radix_sort_implIS3_Lb1EPKbPbPKlPlN2at6native12_GLOBAL__N_18offset_tEEE10hipError_tPvRmT1_PNSt15iterator_traitsISK_E10value_typeET2_T3_PNSL_ISQ_E10value_typeET4_jRbjT5_SW_jjP12ihipStream_tbEUlT_E2_NS1_11comp_targetILNS1_3genE8ELNS1_11target_archE1030ELNS1_3gpuE2ELNS1_3repE0EEENS1_30default_config_static_selectorELNS0_4arch9wavefront6targetE0EEEvSK_
                                        ; -- End function
	.section	.AMDGPU.csdata,"",@progbits
; Kernel info:
; codeLenInByte = 0
; NumSgprs: 0
; NumVgprs: 0
; ScratchSize: 0
; MemoryBound: 0
; FloatMode: 240
; IeeeMode: 1
; LDSByteSize: 0 bytes/workgroup (compile time only)
; SGPRBlocks: 0
; VGPRBlocks: 0
; NumSGPRsForWavesPerEU: 1
; NumVGPRsForWavesPerEU: 1
; Occupancy: 16
; WaveLimiterHint : 0
; COMPUTE_PGM_RSRC2:SCRATCH_EN: 0
; COMPUTE_PGM_RSRC2:USER_SGPR: 15
; COMPUTE_PGM_RSRC2:TRAP_HANDLER: 0
; COMPUTE_PGM_RSRC2:TGID_X_EN: 1
; COMPUTE_PGM_RSRC2:TGID_Y_EN: 0
; COMPUTE_PGM_RSRC2:TGID_Z_EN: 0
; COMPUTE_PGM_RSRC2:TIDIG_COMP_CNT: 0
	.section	.text._ZN7rocprim17ROCPRIM_400000_NS6detail17trampoline_kernelINS0_13select_configILj256ELj13ELNS0_17block_load_methodE3ELS4_3ELS4_3ELNS0_20block_scan_algorithmE0ELj4294967295EEENS1_25partition_config_selectorILNS1_17partition_subalgoE4EjNS0_10empty_typeEbEEZZNS1_14partition_implILS8_4ELb0ES6_15HIP_vector_typeIjLj2EENS0_17counting_iteratorIjlEEPS9_SG_NS0_5tupleIJPjSI_NS0_16reverse_iteratorISI_EEEEENSH_IJSG_SG_SG_EEES9_SI_JZNS1_25segmented_radix_sort_implINS0_14default_configELb0EPKbPbPKlPlN2at6native12_GLOBAL__N_18offset_tEEE10hipError_tPvRmT1_PNSt15iterator_traitsIS12_E10value_typeET2_T3_PNS13_IS18_E10value_typeET4_jRbjT5_S1E_jjP12ihipStream_tbEUljE_ZNSN_ISO_Lb0ESQ_SR_ST_SU_SY_EESZ_S10_S11_S12_S16_S17_S18_S1B_S1C_jS1D_jS1E_S1E_jjS1G_bEUljE0_EEESZ_S10_S11_S18_S1C_S1E_T6_T7_T9_mT8_S1G_bDpT10_ENKUlT_T0_E_clISt17integral_constantIbLb0EES1U_EEDaS1P_S1Q_EUlS1P_E_NS1_11comp_targetILNS1_3genE0ELNS1_11target_archE4294967295ELNS1_3gpuE0ELNS1_3repE0EEENS1_30default_config_static_selectorELNS0_4arch9wavefront6targetE0EEEvS12_,"axG",@progbits,_ZN7rocprim17ROCPRIM_400000_NS6detail17trampoline_kernelINS0_13select_configILj256ELj13ELNS0_17block_load_methodE3ELS4_3ELS4_3ELNS0_20block_scan_algorithmE0ELj4294967295EEENS1_25partition_config_selectorILNS1_17partition_subalgoE4EjNS0_10empty_typeEbEEZZNS1_14partition_implILS8_4ELb0ES6_15HIP_vector_typeIjLj2EENS0_17counting_iteratorIjlEEPS9_SG_NS0_5tupleIJPjSI_NS0_16reverse_iteratorISI_EEEEENSH_IJSG_SG_SG_EEES9_SI_JZNS1_25segmented_radix_sort_implINS0_14default_configELb0EPKbPbPKlPlN2at6native12_GLOBAL__N_18offset_tEEE10hipError_tPvRmT1_PNSt15iterator_traitsIS12_E10value_typeET2_T3_PNS13_IS18_E10value_typeET4_jRbjT5_S1E_jjP12ihipStream_tbEUljE_ZNSN_ISO_Lb0ESQ_SR_ST_SU_SY_EESZ_S10_S11_S12_S16_S17_S18_S1B_S1C_jS1D_jS1E_S1E_jjS1G_bEUljE0_EEESZ_S10_S11_S18_S1C_S1E_T6_T7_T9_mT8_S1G_bDpT10_ENKUlT_T0_E_clISt17integral_constantIbLb0EES1U_EEDaS1P_S1Q_EUlS1P_E_NS1_11comp_targetILNS1_3genE0ELNS1_11target_archE4294967295ELNS1_3gpuE0ELNS1_3repE0EEENS1_30default_config_static_selectorELNS0_4arch9wavefront6targetE0EEEvS12_,comdat
	.globl	_ZN7rocprim17ROCPRIM_400000_NS6detail17trampoline_kernelINS0_13select_configILj256ELj13ELNS0_17block_load_methodE3ELS4_3ELS4_3ELNS0_20block_scan_algorithmE0ELj4294967295EEENS1_25partition_config_selectorILNS1_17partition_subalgoE4EjNS0_10empty_typeEbEEZZNS1_14partition_implILS8_4ELb0ES6_15HIP_vector_typeIjLj2EENS0_17counting_iteratorIjlEEPS9_SG_NS0_5tupleIJPjSI_NS0_16reverse_iteratorISI_EEEEENSH_IJSG_SG_SG_EEES9_SI_JZNS1_25segmented_radix_sort_implINS0_14default_configELb0EPKbPbPKlPlN2at6native12_GLOBAL__N_18offset_tEEE10hipError_tPvRmT1_PNSt15iterator_traitsIS12_E10value_typeET2_T3_PNS13_IS18_E10value_typeET4_jRbjT5_S1E_jjP12ihipStream_tbEUljE_ZNSN_ISO_Lb0ESQ_SR_ST_SU_SY_EESZ_S10_S11_S12_S16_S17_S18_S1B_S1C_jS1D_jS1E_S1E_jjS1G_bEUljE0_EEESZ_S10_S11_S18_S1C_S1E_T6_T7_T9_mT8_S1G_bDpT10_ENKUlT_T0_E_clISt17integral_constantIbLb0EES1U_EEDaS1P_S1Q_EUlS1P_E_NS1_11comp_targetILNS1_3genE0ELNS1_11target_archE4294967295ELNS1_3gpuE0ELNS1_3repE0EEENS1_30default_config_static_selectorELNS0_4arch9wavefront6targetE0EEEvS12_ ; -- Begin function _ZN7rocprim17ROCPRIM_400000_NS6detail17trampoline_kernelINS0_13select_configILj256ELj13ELNS0_17block_load_methodE3ELS4_3ELS4_3ELNS0_20block_scan_algorithmE0ELj4294967295EEENS1_25partition_config_selectorILNS1_17partition_subalgoE4EjNS0_10empty_typeEbEEZZNS1_14partition_implILS8_4ELb0ES6_15HIP_vector_typeIjLj2EENS0_17counting_iteratorIjlEEPS9_SG_NS0_5tupleIJPjSI_NS0_16reverse_iteratorISI_EEEEENSH_IJSG_SG_SG_EEES9_SI_JZNS1_25segmented_radix_sort_implINS0_14default_configELb0EPKbPbPKlPlN2at6native12_GLOBAL__N_18offset_tEEE10hipError_tPvRmT1_PNSt15iterator_traitsIS12_E10value_typeET2_T3_PNS13_IS18_E10value_typeET4_jRbjT5_S1E_jjP12ihipStream_tbEUljE_ZNSN_ISO_Lb0ESQ_SR_ST_SU_SY_EESZ_S10_S11_S12_S16_S17_S18_S1B_S1C_jS1D_jS1E_S1E_jjS1G_bEUljE0_EEESZ_S10_S11_S18_S1C_S1E_T6_T7_T9_mT8_S1G_bDpT10_ENKUlT_T0_E_clISt17integral_constantIbLb0EES1U_EEDaS1P_S1Q_EUlS1P_E_NS1_11comp_targetILNS1_3genE0ELNS1_11target_archE4294967295ELNS1_3gpuE0ELNS1_3repE0EEENS1_30default_config_static_selectorELNS0_4arch9wavefront6targetE0EEEvS12_
	.p2align	8
	.type	_ZN7rocprim17ROCPRIM_400000_NS6detail17trampoline_kernelINS0_13select_configILj256ELj13ELNS0_17block_load_methodE3ELS4_3ELS4_3ELNS0_20block_scan_algorithmE0ELj4294967295EEENS1_25partition_config_selectorILNS1_17partition_subalgoE4EjNS0_10empty_typeEbEEZZNS1_14partition_implILS8_4ELb0ES6_15HIP_vector_typeIjLj2EENS0_17counting_iteratorIjlEEPS9_SG_NS0_5tupleIJPjSI_NS0_16reverse_iteratorISI_EEEEENSH_IJSG_SG_SG_EEES9_SI_JZNS1_25segmented_radix_sort_implINS0_14default_configELb0EPKbPbPKlPlN2at6native12_GLOBAL__N_18offset_tEEE10hipError_tPvRmT1_PNSt15iterator_traitsIS12_E10value_typeET2_T3_PNS13_IS18_E10value_typeET4_jRbjT5_S1E_jjP12ihipStream_tbEUljE_ZNSN_ISO_Lb0ESQ_SR_ST_SU_SY_EESZ_S10_S11_S12_S16_S17_S18_S1B_S1C_jS1D_jS1E_S1E_jjS1G_bEUljE0_EEESZ_S10_S11_S18_S1C_S1E_T6_T7_T9_mT8_S1G_bDpT10_ENKUlT_T0_E_clISt17integral_constantIbLb0EES1U_EEDaS1P_S1Q_EUlS1P_E_NS1_11comp_targetILNS1_3genE0ELNS1_11target_archE4294967295ELNS1_3gpuE0ELNS1_3repE0EEENS1_30default_config_static_selectorELNS0_4arch9wavefront6targetE0EEEvS12_,@function
_ZN7rocprim17ROCPRIM_400000_NS6detail17trampoline_kernelINS0_13select_configILj256ELj13ELNS0_17block_load_methodE3ELS4_3ELS4_3ELNS0_20block_scan_algorithmE0ELj4294967295EEENS1_25partition_config_selectorILNS1_17partition_subalgoE4EjNS0_10empty_typeEbEEZZNS1_14partition_implILS8_4ELb0ES6_15HIP_vector_typeIjLj2EENS0_17counting_iteratorIjlEEPS9_SG_NS0_5tupleIJPjSI_NS0_16reverse_iteratorISI_EEEEENSH_IJSG_SG_SG_EEES9_SI_JZNS1_25segmented_radix_sort_implINS0_14default_configELb0EPKbPbPKlPlN2at6native12_GLOBAL__N_18offset_tEEE10hipError_tPvRmT1_PNSt15iterator_traitsIS12_E10value_typeET2_T3_PNS13_IS18_E10value_typeET4_jRbjT5_S1E_jjP12ihipStream_tbEUljE_ZNSN_ISO_Lb0ESQ_SR_ST_SU_SY_EESZ_S10_S11_S12_S16_S17_S18_S1B_S1C_jS1D_jS1E_S1E_jjS1G_bEUljE0_EEESZ_S10_S11_S18_S1C_S1E_T6_T7_T9_mT8_S1G_bDpT10_ENKUlT_T0_E_clISt17integral_constantIbLb0EES1U_EEDaS1P_S1Q_EUlS1P_E_NS1_11comp_targetILNS1_3genE0ELNS1_11target_archE4294967295ELNS1_3gpuE0ELNS1_3repE0EEENS1_30default_config_static_selectorELNS0_4arch9wavefront6targetE0EEEvS12_: ; @_ZN7rocprim17ROCPRIM_400000_NS6detail17trampoline_kernelINS0_13select_configILj256ELj13ELNS0_17block_load_methodE3ELS4_3ELS4_3ELNS0_20block_scan_algorithmE0ELj4294967295EEENS1_25partition_config_selectorILNS1_17partition_subalgoE4EjNS0_10empty_typeEbEEZZNS1_14partition_implILS8_4ELb0ES6_15HIP_vector_typeIjLj2EENS0_17counting_iteratorIjlEEPS9_SG_NS0_5tupleIJPjSI_NS0_16reverse_iteratorISI_EEEEENSH_IJSG_SG_SG_EEES9_SI_JZNS1_25segmented_radix_sort_implINS0_14default_configELb0EPKbPbPKlPlN2at6native12_GLOBAL__N_18offset_tEEE10hipError_tPvRmT1_PNSt15iterator_traitsIS12_E10value_typeET2_T3_PNS13_IS18_E10value_typeET4_jRbjT5_S1E_jjP12ihipStream_tbEUljE_ZNSN_ISO_Lb0ESQ_SR_ST_SU_SY_EESZ_S10_S11_S12_S16_S17_S18_S1B_S1C_jS1D_jS1E_S1E_jjS1G_bEUljE0_EEESZ_S10_S11_S18_S1C_S1E_T6_T7_T9_mT8_S1G_bDpT10_ENKUlT_T0_E_clISt17integral_constantIbLb0EES1U_EEDaS1P_S1Q_EUlS1P_E_NS1_11comp_targetILNS1_3genE0ELNS1_11target_archE4294967295ELNS1_3gpuE0ELNS1_3repE0EEENS1_30default_config_static_selectorELNS0_4arch9wavefront6targetE0EEEvS12_
; %bb.0:
	.section	.rodata,"a",@progbits
	.p2align	6, 0x0
	.amdhsa_kernel _ZN7rocprim17ROCPRIM_400000_NS6detail17trampoline_kernelINS0_13select_configILj256ELj13ELNS0_17block_load_methodE3ELS4_3ELS4_3ELNS0_20block_scan_algorithmE0ELj4294967295EEENS1_25partition_config_selectorILNS1_17partition_subalgoE4EjNS0_10empty_typeEbEEZZNS1_14partition_implILS8_4ELb0ES6_15HIP_vector_typeIjLj2EENS0_17counting_iteratorIjlEEPS9_SG_NS0_5tupleIJPjSI_NS0_16reverse_iteratorISI_EEEEENSH_IJSG_SG_SG_EEES9_SI_JZNS1_25segmented_radix_sort_implINS0_14default_configELb0EPKbPbPKlPlN2at6native12_GLOBAL__N_18offset_tEEE10hipError_tPvRmT1_PNSt15iterator_traitsIS12_E10value_typeET2_T3_PNS13_IS18_E10value_typeET4_jRbjT5_S1E_jjP12ihipStream_tbEUljE_ZNSN_ISO_Lb0ESQ_SR_ST_SU_SY_EESZ_S10_S11_S12_S16_S17_S18_S1B_S1C_jS1D_jS1E_S1E_jjS1G_bEUljE0_EEESZ_S10_S11_S18_S1C_S1E_T6_T7_T9_mT8_S1G_bDpT10_ENKUlT_T0_E_clISt17integral_constantIbLb0EES1U_EEDaS1P_S1Q_EUlS1P_E_NS1_11comp_targetILNS1_3genE0ELNS1_11target_archE4294967295ELNS1_3gpuE0ELNS1_3repE0EEENS1_30default_config_static_selectorELNS0_4arch9wavefront6targetE0EEEvS12_
		.amdhsa_group_segment_fixed_size 0
		.amdhsa_private_segment_fixed_size 0
		.amdhsa_kernarg_size 176
		.amdhsa_user_sgpr_count 15
		.amdhsa_user_sgpr_dispatch_ptr 0
		.amdhsa_user_sgpr_queue_ptr 0
		.amdhsa_user_sgpr_kernarg_segment_ptr 1
		.amdhsa_user_sgpr_dispatch_id 0
		.amdhsa_user_sgpr_private_segment_size 0
		.amdhsa_wavefront_size32 1
		.amdhsa_uses_dynamic_stack 0
		.amdhsa_enable_private_segment 0
		.amdhsa_system_sgpr_workgroup_id_x 1
		.amdhsa_system_sgpr_workgroup_id_y 0
		.amdhsa_system_sgpr_workgroup_id_z 0
		.amdhsa_system_sgpr_workgroup_info 0
		.amdhsa_system_vgpr_workitem_id 0
		.amdhsa_next_free_vgpr 1
		.amdhsa_next_free_sgpr 1
		.amdhsa_reserve_vcc 0
		.amdhsa_float_round_mode_32 0
		.amdhsa_float_round_mode_16_64 0
		.amdhsa_float_denorm_mode_32 3
		.amdhsa_float_denorm_mode_16_64 3
		.amdhsa_dx10_clamp 1
		.amdhsa_ieee_mode 1
		.amdhsa_fp16_overflow 0
		.amdhsa_workgroup_processor_mode 1
		.amdhsa_memory_ordered 1
		.amdhsa_forward_progress 0
		.amdhsa_shared_vgpr_count 0
		.amdhsa_exception_fp_ieee_invalid_op 0
		.amdhsa_exception_fp_denorm_src 0
		.amdhsa_exception_fp_ieee_div_zero 0
		.amdhsa_exception_fp_ieee_overflow 0
		.amdhsa_exception_fp_ieee_underflow 0
		.amdhsa_exception_fp_ieee_inexact 0
		.amdhsa_exception_int_div_zero 0
	.end_amdhsa_kernel
	.section	.text._ZN7rocprim17ROCPRIM_400000_NS6detail17trampoline_kernelINS0_13select_configILj256ELj13ELNS0_17block_load_methodE3ELS4_3ELS4_3ELNS0_20block_scan_algorithmE0ELj4294967295EEENS1_25partition_config_selectorILNS1_17partition_subalgoE4EjNS0_10empty_typeEbEEZZNS1_14partition_implILS8_4ELb0ES6_15HIP_vector_typeIjLj2EENS0_17counting_iteratorIjlEEPS9_SG_NS0_5tupleIJPjSI_NS0_16reverse_iteratorISI_EEEEENSH_IJSG_SG_SG_EEES9_SI_JZNS1_25segmented_radix_sort_implINS0_14default_configELb0EPKbPbPKlPlN2at6native12_GLOBAL__N_18offset_tEEE10hipError_tPvRmT1_PNSt15iterator_traitsIS12_E10value_typeET2_T3_PNS13_IS18_E10value_typeET4_jRbjT5_S1E_jjP12ihipStream_tbEUljE_ZNSN_ISO_Lb0ESQ_SR_ST_SU_SY_EESZ_S10_S11_S12_S16_S17_S18_S1B_S1C_jS1D_jS1E_S1E_jjS1G_bEUljE0_EEESZ_S10_S11_S18_S1C_S1E_T6_T7_T9_mT8_S1G_bDpT10_ENKUlT_T0_E_clISt17integral_constantIbLb0EES1U_EEDaS1P_S1Q_EUlS1P_E_NS1_11comp_targetILNS1_3genE0ELNS1_11target_archE4294967295ELNS1_3gpuE0ELNS1_3repE0EEENS1_30default_config_static_selectorELNS0_4arch9wavefront6targetE0EEEvS12_,"axG",@progbits,_ZN7rocprim17ROCPRIM_400000_NS6detail17trampoline_kernelINS0_13select_configILj256ELj13ELNS0_17block_load_methodE3ELS4_3ELS4_3ELNS0_20block_scan_algorithmE0ELj4294967295EEENS1_25partition_config_selectorILNS1_17partition_subalgoE4EjNS0_10empty_typeEbEEZZNS1_14partition_implILS8_4ELb0ES6_15HIP_vector_typeIjLj2EENS0_17counting_iteratorIjlEEPS9_SG_NS0_5tupleIJPjSI_NS0_16reverse_iteratorISI_EEEEENSH_IJSG_SG_SG_EEES9_SI_JZNS1_25segmented_radix_sort_implINS0_14default_configELb0EPKbPbPKlPlN2at6native12_GLOBAL__N_18offset_tEEE10hipError_tPvRmT1_PNSt15iterator_traitsIS12_E10value_typeET2_T3_PNS13_IS18_E10value_typeET4_jRbjT5_S1E_jjP12ihipStream_tbEUljE_ZNSN_ISO_Lb0ESQ_SR_ST_SU_SY_EESZ_S10_S11_S12_S16_S17_S18_S1B_S1C_jS1D_jS1E_S1E_jjS1G_bEUljE0_EEESZ_S10_S11_S18_S1C_S1E_T6_T7_T9_mT8_S1G_bDpT10_ENKUlT_T0_E_clISt17integral_constantIbLb0EES1U_EEDaS1P_S1Q_EUlS1P_E_NS1_11comp_targetILNS1_3genE0ELNS1_11target_archE4294967295ELNS1_3gpuE0ELNS1_3repE0EEENS1_30default_config_static_selectorELNS0_4arch9wavefront6targetE0EEEvS12_,comdat
.Lfunc_end1571:
	.size	_ZN7rocprim17ROCPRIM_400000_NS6detail17trampoline_kernelINS0_13select_configILj256ELj13ELNS0_17block_load_methodE3ELS4_3ELS4_3ELNS0_20block_scan_algorithmE0ELj4294967295EEENS1_25partition_config_selectorILNS1_17partition_subalgoE4EjNS0_10empty_typeEbEEZZNS1_14partition_implILS8_4ELb0ES6_15HIP_vector_typeIjLj2EENS0_17counting_iteratorIjlEEPS9_SG_NS0_5tupleIJPjSI_NS0_16reverse_iteratorISI_EEEEENSH_IJSG_SG_SG_EEES9_SI_JZNS1_25segmented_radix_sort_implINS0_14default_configELb0EPKbPbPKlPlN2at6native12_GLOBAL__N_18offset_tEEE10hipError_tPvRmT1_PNSt15iterator_traitsIS12_E10value_typeET2_T3_PNS13_IS18_E10value_typeET4_jRbjT5_S1E_jjP12ihipStream_tbEUljE_ZNSN_ISO_Lb0ESQ_SR_ST_SU_SY_EESZ_S10_S11_S12_S16_S17_S18_S1B_S1C_jS1D_jS1E_S1E_jjS1G_bEUljE0_EEESZ_S10_S11_S18_S1C_S1E_T6_T7_T9_mT8_S1G_bDpT10_ENKUlT_T0_E_clISt17integral_constantIbLb0EES1U_EEDaS1P_S1Q_EUlS1P_E_NS1_11comp_targetILNS1_3genE0ELNS1_11target_archE4294967295ELNS1_3gpuE0ELNS1_3repE0EEENS1_30default_config_static_selectorELNS0_4arch9wavefront6targetE0EEEvS12_, .Lfunc_end1571-_ZN7rocprim17ROCPRIM_400000_NS6detail17trampoline_kernelINS0_13select_configILj256ELj13ELNS0_17block_load_methodE3ELS4_3ELS4_3ELNS0_20block_scan_algorithmE0ELj4294967295EEENS1_25partition_config_selectorILNS1_17partition_subalgoE4EjNS0_10empty_typeEbEEZZNS1_14partition_implILS8_4ELb0ES6_15HIP_vector_typeIjLj2EENS0_17counting_iteratorIjlEEPS9_SG_NS0_5tupleIJPjSI_NS0_16reverse_iteratorISI_EEEEENSH_IJSG_SG_SG_EEES9_SI_JZNS1_25segmented_radix_sort_implINS0_14default_configELb0EPKbPbPKlPlN2at6native12_GLOBAL__N_18offset_tEEE10hipError_tPvRmT1_PNSt15iterator_traitsIS12_E10value_typeET2_T3_PNS13_IS18_E10value_typeET4_jRbjT5_S1E_jjP12ihipStream_tbEUljE_ZNSN_ISO_Lb0ESQ_SR_ST_SU_SY_EESZ_S10_S11_S12_S16_S17_S18_S1B_S1C_jS1D_jS1E_S1E_jjS1G_bEUljE0_EEESZ_S10_S11_S18_S1C_S1E_T6_T7_T9_mT8_S1G_bDpT10_ENKUlT_T0_E_clISt17integral_constantIbLb0EES1U_EEDaS1P_S1Q_EUlS1P_E_NS1_11comp_targetILNS1_3genE0ELNS1_11target_archE4294967295ELNS1_3gpuE0ELNS1_3repE0EEENS1_30default_config_static_selectorELNS0_4arch9wavefront6targetE0EEEvS12_
                                        ; -- End function
	.section	.AMDGPU.csdata,"",@progbits
; Kernel info:
; codeLenInByte = 0
; NumSgprs: 0
; NumVgprs: 0
; ScratchSize: 0
; MemoryBound: 0
; FloatMode: 240
; IeeeMode: 1
; LDSByteSize: 0 bytes/workgroup (compile time only)
; SGPRBlocks: 0
; VGPRBlocks: 0
; NumSGPRsForWavesPerEU: 1
; NumVGPRsForWavesPerEU: 1
; Occupancy: 16
; WaveLimiterHint : 0
; COMPUTE_PGM_RSRC2:SCRATCH_EN: 0
; COMPUTE_PGM_RSRC2:USER_SGPR: 15
; COMPUTE_PGM_RSRC2:TRAP_HANDLER: 0
; COMPUTE_PGM_RSRC2:TGID_X_EN: 1
; COMPUTE_PGM_RSRC2:TGID_Y_EN: 0
; COMPUTE_PGM_RSRC2:TGID_Z_EN: 0
; COMPUTE_PGM_RSRC2:TIDIG_COMP_CNT: 0
	.section	.text._ZN7rocprim17ROCPRIM_400000_NS6detail17trampoline_kernelINS0_13select_configILj256ELj13ELNS0_17block_load_methodE3ELS4_3ELS4_3ELNS0_20block_scan_algorithmE0ELj4294967295EEENS1_25partition_config_selectorILNS1_17partition_subalgoE4EjNS0_10empty_typeEbEEZZNS1_14partition_implILS8_4ELb0ES6_15HIP_vector_typeIjLj2EENS0_17counting_iteratorIjlEEPS9_SG_NS0_5tupleIJPjSI_NS0_16reverse_iteratorISI_EEEEENSH_IJSG_SG_SG_EEES9_SI_JZNS1_25segmented_radix_sort_implINS0_14default_configELb0EPKbPbPKlPlN2at6native12_GLOBAL__N_18offset_tEEE10hipError_tPvRmT1_PNSt15iterator_traitsIS12_E10value_typeET2_T3_PNS13_IS18_E10value_typeET4_jRbjT5_S1E_jjP12ihipStream_tbEUljE_ZNSN_ISO_Lb0ESQ_SR_ST_SU_SY_EESZ_S10_S11_S12_S16_S17_S18_S1B_S1C_jS1D_jS1E_S1E_jjS1G_bEUljE0_EEESZ_S10_S11_S18_S1C_S1E_T6_T7_T9_mT8_S1G_bDpT10_ENKUlT_T0_E_clISt17integral_constantIbLb0EES1U_EEDaS1P_S1Q_EUlS1P_E_NS1_11comp_targetILNS1_3genE5ELNS1_11target_archE942ELNS1_3gpuE9ELNS1_3repE0EEENS1_30default_config_static_selectorELNS0_4arch9wavefront6targetE0EEEvS12_,"axG",@progbits,_ZN7rocprim17ROCPRIM_400000_NS6detail17trampoline_kernelINS0_13select_configILj256ELj13ELNS0_17block_load_methodE3ELS4_3ELS4_3ELNS0_20block_scan_algorithmE0ELj4294967295EEENS1_25partition_config_selectorILNS1_17partition_subalgoE4EjNS0_10empty_typeEbEEZZNS1_14partition_implILS8_4ELb0ES6_15HIP_vector_typeIjLj2EENS0_17counting_iteratorIjlEEPS9_SG_NS0_5tupleIJPjSI_NS0_16reverse_iteratorISI_EEEEENSH_IJSG_SG_SG_EEES9_SI_JZNS1_25segmented_radix_sort_implINS0_14default_configELb0EPKbPbPKlPlN2at6native12_GLOBAL__N_18offset_tEEE10hipError_tPvRmT1_PNSt15iterator_traitsIS12_E10value_typeET2_T3_PNS13_IS18_E10value_typeET4_jRbjT5_S1E_jjP12ihipStream_tbEUljE_ZNSN_ISO_Lb0ESQ_SR_ST_SU_SY_EESZ_S10_S11_S12_S16_S17_S18_S1B_S1C_jS1D_jS1E_S1E_jjS1G_bEUljE0_EEESZ_S10_S11_S18_S1C_S1E_T6_T7_T9_mT8_S1G_bDpT10_ENKUlT_T0_E_clISt17integral_constantIbLb0EES1U_EEDaS1P_S1Q_EUlS1P_E_NS1_11comp_targetILNS1_3genE5ELNS1_11target_archE942ELNS1_3gpuE9ELNS1_3repE0EEENS1_30default_config_static_selectorELNS0_4arch9wavefront6targetE0EEEvS12_,comdat
	.globl	_ZN7rocprim17ROCPRIM_400000_NS6detail17trampoline_kernelINS0_13select_configILj256ELj13ELNS0_17block_load_methodE3ELS4_3ELS4_3ELNS0_20block_scan_algorithmE0ELj4294967295EEENS1_25partition_config_selectorILNS1_17partition_subalgoE4EjNS0_10empty_typeEbEEZZNS1_14partition_implILS8_4ELb0ES6_15HIP_vector_typeIjLj2EENS0_17counting_iteratorIjlEEPS9_SG_NS0_5tupleIJPjSI_NS0_16reverse_iteratorISI_EEEEENSH_IJSG_SG_SG_EEES9_SI_JZNS1_25segmented_radix_sort_implINS0_14default_configELb0EPKbPbPKlPlN2at6native12_GLOBAL__N_18offset_tEEE10hipError_tPvRmT1_PNSt15iterator_traitsIS12_E10value_typeET2_T3_PNS13_IS18_E10value_typeET4_jRbjT5_S1E_jjP12ihipStream_tbEUljE_ZNSN_ISO_Lb0ESQ_SR_ST_SU_SY_EESZ_S10_S11_S12_S16_S17_S18_S1B_S1C_jS1D_jS1E_S1E_jjS1G_bEUljE0_EEESZ_S10_S11_S18_S1C_S1E_T6_T7_T9_mT8_S1G_bDpT10_ENKUlT_T0_E_clISt17integral_constantIbLb0EES1U_EEDaS1P_S1Q_EUlS1P_E_NS1_11comp_targetILNS1_3genE5ELNS1_11target_archE942ELNS1_3gpuE9ELNS1_3repE0EEENS1_30default_config_static_selectorELNS0_4arch9wavefront6targetE0EEEvS12_ ; -- Begin function _ZN7rocprim17ROCPRIM_400000_NS6detail17trampoline_kernelINS0_13select_configILj256ELj13ELNS0_17block_load_methodE3ELS4_3ELS4_3ELNS0_20block_scan_algorithmE0ELj4294967295EEENS1_25partition_config_selectorILNS1_17partition_subalgoE4EjNS0_10empty_typeEbEEZZNS1_14partition_implILS8_4ELb0ES6_15HIP_vector_typeIjLj2EENS0_17counting_iteratorIjlEEPS9_SG_NS0_5tupleIJPjSI_NS0_16reverse_iteratorISI_EEEEENSH_IJSG_SG_SG_EEES9_SI_JZNS1_25segmented_radix_sort_implINS0_14default_configELb0EPKbPbPKlPlN2at6native12_GLOBAL__N_18offset_tEEE10hipError_tPvRmT1_PNSt15iterator_traitsIS12_E10value_typeET2_T3_PNS13_IS18_E10value_typeET4_jRbjT5_S1E_jjP12ihipStream_tbEUljE_ZNSN_ISO_Lb0ESQ_SR_ST_SU_SY_EESZ_S10_S11_S12_S16_S17_S18_S1B_S1C_jS1D_jS1E_S1E_jjS1G_bEUljE0_EEESZ_S10_S11_S18_S1C_S1E_T6_T7_T9_mT8_S1G_bDpT10_ENKUlT_T0_E_clISt17integral_constantIbLb0EES1U_EEDaS1P_S1Q_EUlS1P_E_NS1_11comp_targetILNS1_3genE5ELNS1_11target_archE942ELNS1_3gpuE9ELNS1_3repE0EEENS1_30default_config_static_selectorELNS0_4arch9wavefront6targetE0EEEvS12_
	.p2align	8
	.type	_ZN7rocprim17ROCPRIM_400000_NS6detail17trampoline_kernelINS0_13select_configILj256ELj13ELNS0_17block_load_methodE3ELS4_3ELS4_3ELNS0_20block_scan_algorithmE0ELj4294967295EEENS1_25partition_config_selectorILNS1_17partition_subalgoE4EjNS0_10empty_typeEbEEZZNS1_14partition_implILS8_4ELb0ES6_15HIP_vector_typeIjLj2EENS0_17counting_iteratorIjlEEPS9_SG_NS0_5tupleIJPjSI_NS0_16reverse_iteratorISI_EEEEENSH_IJSG_SG_SG_EEES9_SI_JZNS1_25segmented_radix_sort_implINS0_14default_configELb0EPKbPbPKlPlN2at6native12_GLOBAL__N_18offset_tEEE10hipError_tPvRmT1_PNSt15iterator_traitsIS12_E10value_typeET2_T3_PNS13_IS18_E10value_typeET4_jRbjT5_S1E_jjP12ihipStream_tbEUljE_ZNSN_ISO_Lb0ESQ_SR_ST_SU_SY_EESZ_S10_S11_S12_S16_S17_S18_S1B_S1C_jS1D_jS1E_S1E_jjS1G_bEUljE0_EEESZ_S10_S11_S18_S1C_S1E_T6_T7_T9_mT8_S1G_bDpT10_ENKUlT_T0_E_clISt17integral_constantIbLb0EES1U_EEDaS1P_S1Q_EUlS1P_E_NS1_11comp_targetILNS1_3genE5ELNS1_11target_archE942ELNS1_3gpuE9ELNS1_3repE0EEENS1_30default_config_static_selectorELNS0_4arch9wavefront6targetE0EEEvS12_,@function
_ZN7rocprim17ROCPRIM_400000_NS6detail17trampoline_kernelINS0_13select_configILj256ELj13ELNS0_17block_load_methodE3ELS4_3ELS4_3ELNS0_20block_scan_algorithmE0ELj4294967295EEENS1_25partition_config_selectorILNS1_17partition_subalgoE4EjNS0_10empty_typeEbEEZZNS1_14partition_implILS8_4ELb0ES6_15HIP_vector_typeIjLj2EENS0_17counting_iteratorIjlEEPS9_SG_NS0_5tupleIJPjSI_NS0_16reverse_iteratorISI_EEEEENSH_IJSG_SG_SG_EEES9_SI_JZNS1_25segmented_radix_sort_implINS0_14default_configELb0EPKbPbPKlPlN2at6native12_GLOBAL__N_18offset_tEEE10hipError_tPvRmT1_PNSt15iterator_traitsIS12_E10value_typeET2_T3_PNS13_IS18_E10value_typeET4_jRbjT5_S1E_jjP12ihipStream_tbEUljE_ZNSN_ISO_Lb0ESQ_SR_ST_SU_SY_EESZ_S10_S11_S12_S16_S17_S18_S1B_S1C_jS1D_jS1E_S1E_jjS1G_bEUljE0_EEESZ_S10_S11_S18_S1C_S1E_T6_T7_T9_mT8_S1G_bDpT10_ENKUlT_T0_E_clISt17integral_constantIbLb0EES1U_EEDaS1P_S1Q_EUlS1P_E_NS1_11comp_targetILNS1_3genE5ELNS1_11target_archE942ELNS1_3gpuE9ELNS1_3repE0EEENS1_30default_config_static_selectorELNS0_4arch9wavefront6targetE0EEEvS12_: ; @_ZN7rocprim17ROCPRIM_400000_NS6detail17trampoline_kernelINS0_13select_configILj256ELj13ELNS0_17block_load_methodE3ELS4_3ELS4_3ELNS0_20block_scan_algorithmE0ELj4294967295EEENS1_25partition_config_selectorILNS1_17partition_subalgoE4EjNS0_10empty_typeEbEEZZNS1_14partition_implILS8_4ELb0ES6_15HIP_vector_typeIjLj2EENS0_17counting_iteratorIjlEEPS9_SG_NS0_5tupleIJPjSI_NS0_16reverse_iteratorISI_EEEEENSH_IJSG_SG_SG_EEES9_SI_JZNS1_25segmented_radix_sort_implINS0_14default_configELb0EPKbPbPKlPlN2at6native12_GLOBAL__N_18offset_tEEE10hipError_tPvRmT1_PNSt15iterator_traitsIS12_E10value_typeET2_T3_PNS13_IS18_E10value_typeET4_jRbjT5_S1E_jjP12ihipStream_tbEUljE_ZNSN_ISO_Lb0ESQ_SR_ST_SU_SY_EESZ_S10_S11_S12_S16_S17_S18_S1B_S1C_jS1D_jS1E_S1E_jjS1G_bEUljE0_EEESZ_S10_S11_S18_S1C_S1E_T6_T7_T9_mT8_S1G_bDpT10_ENKUlT_T0_E_clISt17integral_constantIbLb0EES1U_EEDaS1P_S1Q_EUlS1P_E_NS1_11comp_targetILNS1_3genE5ELNS1_11target_archE942ELNS1_3gpuE9ELNS1_3repE0EEENS1_30default_config_static_selectorELNS0_4arch9wavefront6targetE0EEEvS12_
; %bb.0:
	.section	.rodata,"a",@progbits
	.p2align	6, 0x0
	.amdhsa_kernel _ZN7rocprim17ROCPRIM_400000_NS6detail17trampoline_kernelINS0_13select_configILj256ELj13ELNS0_17block_load_methodE3ELS4_3ELS4_3ELNS0_20block_scan_algorithmE0ELj4294967295EEENS1_25partition_config_selectorILNS1_17partition_subalgoE4EjNS0_10empty_typeEbEEZZNS1_14partition_implILS8_4ELb0ES6_15HIP_vector_typeIjLj2EENS0_17counting_iteratorIjlEEPS9_SG_NS0_5tupleIJPjSI_NS0_16reverse_iteratorISI_EEEEENSH_IJSG_SG_SG_EEES9_SI_JZNS1_25segmented_radix_sort_implINS0_14default_configELb0EPKbPbPKlPlN2at6native12_GLOBAL__N_18offset_tEEE10hipError_tPvRmT1_PNSt15iterator_traitsIS12_E10value_typeET2_T3_PNS13_IS18_E10value_typeET4_jRbjT5_S1E_jjP12ihipStream_tbEUljE_ZNSN_ISO_Lb0ESQ_SR_ST_SU_SY_EESZ_S10_S11_S12_S16_S17_S18_S1B_S1C_jS1D_jS1E_S1E_jjS1G_bEUljE0_EEESZ_S10_S11_S18_S1C_S1E_T6_T7_T9_mT8_S1G_bDpT10_ENKUlT_T0_E_clISt17integral_constantIbLb0EES1U_EEDaS1P_S1Q_EUlS1P_E_NS1_11comp_targetILNS1_3genE5ELNS1_11target_archE942ELNS1_3gpuE9ELNS1_3repE0EEENS1_30default_config_static_selectorELNS0_4arch9wavefront6targetE0EEEvS12_
		.amdhsa_group_segment_fixed_size 0
		.amdhsa_private_segment_fixed_size 0
		.amdhsa_kernarg_size 176
		.amdhsa_user_sgpr_count 15
		.amdhsa_user_sgpr_dispatch_ptr 0
		.amdhsa_user_sgpr_queue_ptr 0
		.amdhsa_user_sgpr_kernarg_segment_ptr 1
		.amdhsa_user_sgpr_dispatch_id 0
		.amdhsa_user_sgpr_private_segment_size 0
		.amdhsa_wavefront_size32 1
		.amdhsa_uses_dynamic_stack 0
		.amdhsa_enable_private_segment 0
		.amdhsa_system_sgpr_workgroup_id_x 1
		.amdhsa_system_sgpr_workgroup_id_y 0
		.amdhsa_system_sgpr_workgroup_id_z 0
		.amdhsa_system_sgpr_workgroup_info 0
		.amdhsa_system_vgpr_workitem_id 0
		.amdhsa_next_free_vgpr 1
		.amdhsa_next_free_sgpr 1
		.amdhsa_reserve_vcc 0
		.amdhsa_float_round_mode_32 0
		.amdhsa_float_round_mode_16_64 0
		.amdhsa_float_denorm_mode_32 3
		.amdhsa_float_denorm_mode_16_64 3
		.amdhsa_dx10_clamp 1
		.amdhsa_ieee_mode 1
		.amdhsa_fp16_overflow 0
		.amdhsa_workgroup_processor_mode 1
		.amdhsa_memory_ordered 1
		.amdhsa_forward_progress 0
		.amdhsa_shared_vgpr_count 0
		.amdhsa_exception_fp_ieee_invalid_op 0
		.amdhsa_exception_fp_denorm_src 0
		.amdhsa_exception_fp_ieee_div_zero 0
		.amdhsa_exception_fp_ieee_overflow 0
		.amdhsa_exception_fp_ieee_underflow 0
		.amdhsa_exception_fp_ieee_inexact 0
		.amdhsa_exception_int_div_zero 0
	.end_amdhsa_kernel
	.section	.text._ZN7rocprim17ROCPRIM_400000_NS6detail17trampoline_kernelINS0_13select_configILj256ELj13ELNS0_17block_load_methodE3ELS4_3ELS4_3ELNS0_20block_scan_algorithmE0ELj4294967295EEENS1_25partition_config_selectorILNS1_17partition_subalgoE4EjNS0_10empty_typeEbEEZZNS1_14partition_implILS8_4ELb0ES6_15HIP_vector_typeIjLj2EENS0_17counting_iteratorIjlEEPS9_SG_NS0_5tupleIJPjSI_NS0_16reverse_iteratorISI_EEEEENSH_IJSG_SG_SG_EEES9_SI_JZNS1_25segmented_radix_sort_implINS0_14default_configELb0EPKbPbPKlPlN2at6native12_GLOBAL__N_18offset_tEEE10hipError_tPvRmT1_PNSt15iterator_traitsIS12_E10value_typeET2_T3_PNS13_IS18_E10value_typeET4_jRbjT5_S1E_jjP12ihipStream_tbEUljE_ZNSN_ISO_Lb0ESQ_SR_ST_SU_SY_EESZ_S10_S11_S12_S16_S17_S18_S1B_S1C_jS1D_jS1E_S1E_jjS1G_bEUljE0_EEESZ_S10_S11_S18_S1C_S1E_T6_T7_T9_mT8_S1G_bDpT10_ENKUlT_T0_E_clISt17integral_constantIbLb0EES1U_EEDaS1P_S1Q_EUlS1P_E_NS1_11comp_targetILNS1_3genE5ELNS1_11target_archE942ELNS1_3gpuE9ELNS1_3repE0EEENS1_30default_config_static_selectorELNS0_4arch9wavefront6targetE0EEEvS12_,"axG",@progbits,_ZN7rocprim17ROCPRIM_400000_NS6detail17trampoline_kernelINS0_13select_configILj256ELj13ELNS0_17block_load_methodE3ELS4_3ELS4_3ELNS0_20block_scan_algorithmE0ELj4294967295EEENS1_25partition_config_selectorILNS1_17partition_subalgoE4EjNS0_10empty_typeEbEEZZNS1_14partition_implILS8_4ELb0ES6_15HIP_vector_typeIjLj2EENS0_17counting_iteratorIjlEEPS9_SG_NS0_5tupleIJPjSI_NS0_16reverse_iteratorISI_EEEEENSH_IJSG_SG_SG_EEES9_SI_JZNS1_25segmented_radix_sort_implINS0_14default_configELb0EPKbPbPKlPlN2at6native12_GLOBAL__N_18offset_tEEE10hipError_tPvRmT1_PNSt15iterator_traitsIS12_E10value_typeET2_T3_PNS13_IS18_E10value_typeET4_jRbjT5_S1E_jjP12ihipStream_tbEUljE_ZNSN_ISO_Lb0ESQ_SR_ST_SU_SY_EESZ_S10_S11_S12_S16_S17_S18_S1B_S1C_jS1D_jS1E_S1E_jjS1G_bEUljE0_EEESZ_S10_S11_S18_S1C_S1E_T6_T7_T9_mT8_S1G_bDpT10_ENKUlT_T0_E_clISt17integral_constantIbLb0EES1U_EEDaS1P_S1Q_EUlS1P_E_NS1_11comp_targetILNS1_3genE5ELNS1_11target_archE942ELNS1_3gpuE9ELNS1_3repE0EEENS1_30default_config_static_selectorELNS0_4arch9wavefront6targetE0EEEvS12_,comdat
.Lfunc_end1572:
	.size	_ZN7rocprim17ROCPRIM_400000_NS6detail17trampoline_kernelINS0_13select_configILj256ELj13ELNS0_17block_load_methodE3ELS4_3ELS4_3ELNS0_20block_scan_algorithmE0ELj4294967295EEENS1_25partition_config_selectorILNS1_17partition_subalgoE4EjNS0_10empty_typeEbEEZZNS1_14partition_implILS8_4ELb0ES6_15HIP_vector_typeIjLj2EENS0_17counting_iteratorIjlEEPS9_SG_NS0_5tupleIJPjSI_NS0_16reverse_iteratorISI_EEEEENSH_IJSG_SG_SG_EEES9_SI_JZNS1_25segmented_radix_sort_implINS0_14default_configELb0EPKbPbPKlPlN2at6native12_GLOBAL__N_18offset_tEEE10hipError_tPvRmT1_PNSt15iterator_traitsIS12_E10value_typeET2_T3_PNS13_IS18_E10value_typeET4_jRbjT5_S1E_jjP12ihipStream_tbEUljE_ZNSN_ISO_Lb0ESQ_SR_ST_SU_SY_EESZ_S10_S11_S12_S16_S17_S18_S1B_S1C_jS1D_jS1E_S1E_jjS1G_bEUljE0_EEESZ_S10_S11_S18_S1C_S1E_T6_T7_T9_mT8_S1G_bDpT10_ENKUlT_T0_E_clISt17integral_constantIbLb0EES1U_EEDaS1P_S1Q_EUlS1P_E_NS1_11comp_targetILNS1_3genE5ELNS1_11target_archE942ELNS1_3gpuE9ELNS1_3repE0EEENS1_30default_config_static_selectorELNS0_4arch9wavefront6targetE0EEEvS12_, .Lfunc_end1572-_ZN7rocprim17ROCPRIM_400000_NS6detail17trampoline_kernelINS0_13select_configILj256ELj13ELNS0_17block_load_methodE3ELS4_3ELS4_3ELNS0_20block_scan_algorithmE0ELj4294967295EEENS1_25partition_config_selectorILNS1_17partition_subalgoE4EjNS0_10empty_typeEbEEZZNS1_14partition_implILS8_4ELb0ES6_15HIP_vector_typeIjLj2EENS0_17counting_iteratorIjlEEPS9_SG_NS0_5tupleIJPjSI_NS0_16reverse_iteratorISI_EEEEENSH_IJSG_SG_SG_EEES9_SI_JZNS1_25segmented_radix_sort_implINS0_14default_configELb0EPKbPbPKlPlN2at6native12_GLOBAL__N_18offset_tEEE10hipError_tPvRmT1_PNSt15iterator_traitsIS12_E10value_typeET2_T3_PNS13_IS18_E10value_typeET4_jRbjT5_S1E_jjP12ihipStream_tbEUljE_ZNSN_ISO_Lb0ESQ_SR_ST_SU_SY_EESZ_S10_S11_S12_S16_S17_S18_S1B_S1C_jS1D_jS1E_S1E_jjS1G_bEUljE0_EEESZ_S10_S11_S18_S1C_S1E_T6_T7_T9_mT8_S1G_bDpT10_ENKUlT_T0_E_clISt17integral_constantIbLb0EES1U_EEDaS1P_S1Q_EUlS1P_E_NS1_11comp_targetILNS1_3genE5ELNS1_11target_archE942ELNS1_3gpuE9ELNS1_3repE0EEENS1_30default_config_static_selectorELNS0_4arch9wavefront6targetE0EEEvS12_
                                        ; -- End function
	.section	.AMDGPU.csdata,"",@progbits
; Kernel info:
; codeLenInByte = 0
; NumSgprs: 0
; NumVgprs: 0
; ScratchSize: 0
; MemoryBound: 0
; FloatMode: 240
; IeeeMode: 1
; LDSByteSize: 0 bytes/workgroup (compile time only)
; SGPRBlocks: 0
; VGPRBlocks: 0
; NumSGPRsForWavesPerEU: 1
; NumVGPRsForWavesPerEU: 1
; Occupancy: 16
; WaveLimiterHint : 0
; COMPUTE_PGM_RSRC2:SCRATCH_EN: 0
; COMPUTE_PGM_RSRC2:USER_SGPR: 15
; COMPUTE_PGM_RSRC2:TRAP_HANDLER: 0
; COMPUTE_PGM_RSRC2:TGID_X_EN: 1
; COMPUTE_PGM_RSRC2:TGID_Y_EN: 0
; COMPUTE_PGM_RSRC2:TGID_Z_EN: 0
; COMPUTE_PGM_RSRC2:TIDIG_COMP_CNT: 0
	.section	.text._ZN7rocprim17ROCPRIM_400000_NS6detail17trampoline_kernelINS0_13select_configILj256ELj13ELNS0_17block_load_methodE3ELS4_3ELS4_3ELNS0_20block_scan_algorithmE0ELj4294967295EEENS1_25partition_config_selectorILNS1_17partition_subalgoE4EjNS0_10empty_typeEbEEZZNS1_14partition_implILS8_4ELb0ES6_15HIP_vector_typeIjLj2EENS0_17counting_iteratorIjlEEPS9_SG_NS0_5tupleIJPjSI_NS0_16reverse_iteratorISI_EEEEENSH_IJSG_SG_SG_EEES9_SI_JZNS1_25segmented_radix_sort_implINS0_14default_configELb0EPKbPbPKlPlN2at6native12_GLOBAL__N_18offset_tEEE10hipError_tPvRmT1_PNSt15iterator_traitsIS12_E10value_typeET2_T3_PNS13_IS18_E10value_typeET4_jRbjT5_S1E_jjP12ihipStream_tbEUljE_ZNSN_ISO_Lb0ESQ_SR_ST_SU_SY_EESZ_S10_S11_S12_S16_S17_S18_S1B_S1C_jS1D_jS1E_S1E_jjS1G_bEUljE0_EEESZ_S10_S11_S18_S1C_S1E_T6_T7_T9_mT8_S1G_bDpT10_ENKUlT_T0_E_clISt17integral_constantIbLb0EES1U_EEDaS1P_S1Q_EUlS1P_E_NS1_11comp_targetILNS1_3genE4ELNS1_11target_archE910ELNS1_3gpuE8ELNS1_3repE0EEENS1_30default_config_static_selectorELNS0_4arch9wavefront6targetE0EEEvS12_,"axG",@progbits,_ZN7rocprim17ROCPRIM_400000_NS6detail17trampoline_kernelINS0_13select_configILj256ELj13ELNS0_17block_load_methodE3ELS4_3ELS4_3ELNS0_20block_scan_algorithmE0ELj4294967295EEENS1_25partition_config_selectorILNS1_17partition_subalgoE4EjNS0_10empty_typeEbEEZZNS1_14partition_implILS8_4ELb0ES6_15HIP_vector_typeIjLj2EENS0_17counting_iteratorIjlEEPS9_SG_NS0_5tupleIJPjSI_NS0_16reverse_iteratorISI_EEEEENSH_IJSG_SG_SG_EEES9_SI_JZNS1_25segmented_radix_sort_implINS0_14default_configELb0EPKbPbPKlPlN2at6native12_GLOBAL__N_18offset_tEEE10hipError_tPvRmT1_PNSt15iterator_traitsIS12_E10value_typeET2_T3_PNS13_IS18_E10value_typeET4_jRbjT5_S1E_jjP12ihipStream_tbEUljE_ZNSN_ISO_Lb0ESQ_SR_ST_SU_SY_EESZ_S10_S11_S12_S16_S17_S18_S1B_S1C_jS1D_jS1E_S1E_jjS1G_bEUljE0_EEESZ_S10_S11_S18_S1C_S1E_T6_T7_T9_mT8_S1G_bDpT10_ENKUlT_T0_E_clISt17integral_constantIbLb0EES1U_EEDaS1P_S1Q_EUlS1P_E_NS1_11comp_targetILNS1_3genE4ELNS1_11target_archE910ELNS1_3gpuE8ELNS1_3repE0EEENS1_30default_config_static_selectorELNS0_4arch9wavefront6targetE0EEEvS12_,comdat
	.globl	_ZN7rocprim17ROCPRIM_400000_NS6detail17trampoline_kernelINS0_13select_configILj256ELj13ELNS0_17block_load_methodE3ELS4_3ELS4_3ELNS0_20block_scan_algorithmE0ELj4294967295EEENS1_25partition_config_selectorILNS1_17partition_subalgoE4EjNS0_10empty_typeEbEEZZNS1_14partition_implILS8_4ELb0ES6_15HIP_vector_typeIjLj2EENS0_17counting_iteratorIjlEEPS9_SG_NS0_5tupleIJPjSI_NS0_16reverse_iteratorISI_EEEEENSH_IJSG_SG_SG_EEES9_SI_JZNS1_25segmented_radix_sort_implINS0_14default_configELb0EPKbPbPKlPlN2at6native12_GLOBAL__N_18offset_tEEE10hipError_tPvRmT1_PNSt15iterator_traitsIS12_E10value_typeET2_T3_PNS13_IS18_E10value_typeET4_jRbjT5_S1E_jjP12ihipStream_tbEUljE_ZNSN_ISO_Lb0ESQ_SR_ST_SU_SY_EESZ_S10_S11_S12_S16_S17_S18_S1B_S1C_jS1D_jS1E_S1E_jjS1G_bEUljE0_EEESZ_S10_S11_S18_S1C_S1E_T6_T7_T9_mT8_S1G_bDpT10_ENKUlT_T0_E_clISt17integral_constantIbLb0EES1U_EEDaS1P_S1Q_EUlS1P_E_NS1_11comp_targetILNS1_3genE4ELNS1_11target_archE910ELNS1_3gpuE8ELNS1_3repE0EEENS1_30default_config_static_selectorELNS0_4arch9wavefront6targetE0EEEvS12_ ; -- Begin function _ZN7rocprim17ROCPRIM_400000_NS6detail17trampoline_kernelINS0_13select_configILj256ELj13ELNS0_17block_load_methodE3ELS4_3ELS4_3ELNS0_20block_scan_algorithmE0ELj4294967295EEENS1_25partition_config_selectorILNS1_17partition_subalgoE4EjNS0_10empty_typeEbEEZZNS1_14partition_implILS8_4ELb0ES6_15HIP_vector_typeIjLj2EENS0_17counting_iteratorIjlEEPS9_SG_NS0_5tupleIJPjSI_NS0_16reverse_iteratorISI_EEEEENSH_IJSG_SG_SG_EEES9_SI_JZNS1_25segmented_radix_sort_implINS0_14default_configELb0EPKbPbPKlPlN2at6native12_GLOBAL__N_18offset_tEEE10hipError_tPvRmT1_PNSt15iterator_traitsIS12_E10value_typeET2_T3_PNS13_IS18_E10value_typeET4_jRbjT5_S1E_jjP12ihipStream_tbEUljE_ZNSN_ISO_Lb0ESQ_SR_ST_SU_SY_EESZ_S10_S11_S12_S16_S17_S18_S1B_S1C_jS1D_jS1E_S1E_jjS1G_bEUljE0_EEESZ_S10_S11_S18_S1C_S1E_T6_T7_T9_mT8_S1G_bDpT10_ENKUlT_T0_E_clISt17integral_constantIbLb0EES1U_EEDaS1P_S1Q_EUlS1P_E_NS1_11comp_targetILNS1_3genE4ELNS1_11target_archE910ELNS1_3gpuE8ELNS1_3repE0EEENS1_30default_config_static_selectorELNS0_4arch9wavefront6targetE0EEEvS12_
	.p2align	8
	.type	_ZN7rocprim17ROCPRIM_400000_NS6detail17trampoline_kernelINS0_13select_configILj256ELj13ELNS0_17block_load_methodE3ELS4_3ELS4_3ELNS0_20block_scan_algorithmE0ELj4294967295EEENS1_25partition_config_selectorILNS1_17partition_subalgoE4EjNS0_10empty_typeEbEEZZNS1_14partition_implILS8_4ELb0ES6_15HIP_vector_typeIjLj2EENS0_17counting_iteratorIjlEEPS9_SG_NS0_5tupleIJPjSI_NS0_16reverse_iteratorISI_EEEEENSH_IJSG_SG_SG_EEES9_SI_JZNS1_25segmented_radix_sort_implINS0_14default_configELb0EPKbPbPKlPlN2at6native12_GLOBAL__N_18offset_tEEE10hipError_tPvRmT1_PNSt15iterator_traitsIS12_E10value_typeET2_T3_PNS13_IS18_E10value_typeET4_jRbjT5_S1E_jjP12ihipStream_tbEUljE_ZNSN_ISO_Lb0ESQ_SR_ST_SU_SY_EESZ_S10_S11_S12_S16_S17_S18_S1B_S1C_jS1D_jS1E_S1E_jjS1G_bEUljE0_EEESZ_S10_S11_S18_S1C_S1E_T6_T7_T9_mT8_S1G_bDpT10_ENKUlT_T0_E_clISt17integral_constantIbLb0EES1U_EEDaS1P_S1Q_EUlS1P_E_NS1_11comp_targetILNS1_3genE4ELNS1_11target_archE910ELNS1_3gpuE8ELNS1_3repE0EEENS1_30default_config_static_selectorELNS0_4arch9wavefront6targetE0EEEvS12_,@function
_ZN7rocprim17ROCPRIM_400000_NS6detail17trampoline_kernelINS0_13select_configILj256ELj13ELNS0_17block_load_methodE3ELS4_3ELS4_3ELNS0_20block_scan_algorithmE0ELj4294967295EEENS1_25partition_config_selectorILNS1_17partition_subalgoE4EjNS0_10empty_typeEbEEZZNS1_14partition_implILS8_4ELb0ES6_15HIP_vector_typeIjLj2EENS0_17counting_iteratorIjlEEPS9_SG_NS0_5tupleIJPjSI_NS0_16reverse_iteratorISI_EEEEENSH_IJSG_SG_SG_EEES9_SI_JZNS1_25segmented_radix_sort_implINS0_14default_configELb0EPKbPbPKlPlN2at6native12_GLOBAL__N_18offset_tEEE10hipError_tPvRmT1_PNSt15iterator_traitsIS12_E10value_typeET2_T3_PNS13_IS18_E10value_typeET4_jRbjT5_S1E_jjP12ihipStream_tbEUljE_ZNSN_ISO_Lb0ESQ_SR_ST_SU_SY_EESZ_S10_S11_S12_S16_S17_S18_S1B_S1C_jS1D_jS1E_S1E_jjS1G_bEUljE0_EEESZ_S10_S11_S18_S1C_S1E_T6_T7_T9_mT8_S1G_bDpT10_ENKUlT_T0_E_clISt17integral_constantIbLb0EES1U_EEDaS1P_S1Q_EUlS1P_E_NS1_11comp_targetILNS1_3genE4ELNS1_11target_archE910ELNS1_3gpuE8ELNS1_3repE0EEENS1_30default_config_static_selectorELNS0_4arch9wavefront6targetE0EEEvS12_: ; @_ZN7rocprim17ROCPRIM_400000_NS6detail17trampoline_kernelINS0_13select_configILj256ELj13ELNS0_17block_load_methodE3ELS4_3ELS4_3ELNS0_20block_scan_algorithmE0ELj4294967295EEENS1_25partition_config_selectorILNS1_17partition_subalgoE4EjNS0_10empty_typeEbEEZZNS1_14partition_implILS8_4ELb0ES6_15HIP_vector_typeIjLj2EENS0_17counting_iteratorIjlEEPS9_SG_NS0_5tupleIJPjSI_NS0_16reverse_iteratorISI_EEEEENSH_IJSG_SG_SG_EEES9_SI_JZNS1_25segmented_radix_sort_implINS0_14default_configELb0EPKbPbPKlPlN2at6native12_GLOBAL__N_18offset_tEEE10hipError_tPvRmT1_PNSt15iterator_traitsIS12_E10value_typeET2_T3_PNS13_IS18_E10value_typeET4_jRbjT5_S1E_jjP12ihipStream_tbEUljE_ZNSN_ISO_Lb0ESQ_SR_ST_SU_SY_EESZ_S10_S11_S12_S16_S17_S18_S1B_S1C_jS1D_jS1E_S1E_jjS1G_bEUljE0_EEESZ_S10_S11_S18_S1C_S1E_T6_T7_T9_mT8_S1G_bDpT10_ENKUlT_T0_E_clISt17integral_constantIbLb0EES1U_EEDaS1P_S1Q_EUlS1P_E_NS1_11comp_targetILNS1_3genE4ELNS1_11target_archE910ELNS1_3gpuE8ELNS1_3repE0EEENS1_30default_config_static_selectorELNS0_4arch9wavefront6targetE0EEEvS12_
; %bb.0:
	.section	.rodata,"a",@progbits
	.p2align	6, 0x0
	.amdhsa_kernel _ZN7rocprim17ROCPRIM_400000_NS6detail17trampoline_kernelINS0_13select_configILj256ELj13ELNS0_17block_load_methodE3ELS4_3ELS4_3ELNS0_20block_scan_algorithmE0ELj4294967295EEENS1_25partition_config_selectorILNS1_17partition_subalgoE4EjNS0_10empty_typeEbEEZZNS1_14partition_implILS8_4ELb0ES6_15HIP_vector_typeIjLj2EENS0_17counting_iteratorIjlEEPS9_SG_NS0_5tupleIJPjSI_NS0_16reverse_iteratorISI_EEEEENSH_IJSG_SG_SG_EEES9_SI_JZNS1_25segmented_radix_sort_implINS0_14default_configELb0EPKbPbPKlPlN2at6native12_GLOBAL__N_18offset_tEEE10hipError_tPvRmT1_PNSt15iterator_traitsIS12_E10value_typeET2_T3_PNS13_IS18_E10value_typeET4_jRbjT5_S1E_jjP12ihipStream_tbEUljE_ZNSN_ISO_Lb0ESQ_SR_ST_SU_SY_EESZ_S10_S11_S12_S16_S17_S18_S1B_S1C_jS1D_jS1E_S1E_jjS1G_bEUljE0_EEESZ_S10_S11_S18_S1C_S1E_T6_T7_T9_mT8_S1G_bDpT10_ENKUlT_T0_E_clISt17integral_constantIbLb0EES1U_EEDaS1P_S1Q_EUlS1P_E_NS1_11comp_targetILNS1_3genE4ELNS1_11target_archE910ELNS1_3gpuE8ELNS1_3repE0EEENS1_30default_config_static_selectorELNS0_4arch9wavefront6targetE0EEEvS12_
		.amdhsa_group_segment_fixed_size 0
		.amdhsa_private_segment_fixed_size 0
		.amdhsa_kernarg_size 176
		.amdhsa_user_sgpr_count 15
		.amdhsa_user_sgpr_dispatch_ptr 0
		.amdhsa_user_sgpr_queue_ptr 0
		.amdhsa_user_sgpr_kernarg_segment_ptr 1
		.amdhsa_user_sgpr_dispatch_id 0
		.amdhsa_user_sgpr_private_segment_size 0
		.amdhsa_wavefront_size32 1
		.amdhsa_uses_dynamic_stack 0
		.amdhsa_enable_private_segment 0
		.amdhsa_system_sgpr_workgroup_id_x 1
		.amdhsa_system_sgpr_workgroup_id_y 0
		.amdhsa_system_sgpr_workgroup_id_z 0
		.amdhsa_system_sgpr_workgroup_info 0
		.amdhsa_system_vgpr_workitem_id 0
		.amdhsa_next_free_vgpr 1
		.amdhsa_next_free_sgpr 1
		.amdhsa_reserve_vcc 0
		.amdhsa_float_round_mode_32 0
		.amdhsa_float_round_mode_16_64 0
		.amdhsa_float_denorm_mode_32 3
		.amdhsa_float_denorm_mode_16_64 3
		.amdhsa_dx10_clamp 1
		.amdhsa_ieee_mode 1
		.amdhsa_fp16_overflow 0
		.amdhsa_workgroup_processor_mode 1
		.amdhsa_memory_ordered 1
		.amdhsa_forward_progress 0
		.amdhsa_shared_vgpr_count 0
		.amdhsa_exception_fp_ieee_invalid_op 0
		.amdhsa_exception_fp_denorm_src 0
		.amdhsa_exception_fp_ieee_div_zero 0
		.amdhsa_exception_fp_ieee_overflow 0
		.amdhsa_exception_fp_ieee_underflow 0
		.amdhsa_exception_fp_ieee_inexact 0
		.amdhsa_exception_int_div_zero 0
	.end_amdhsa_kernel
	.section	.text._ZN7rocprim17ROCPRIM_400000_NS6detail17trampoline_kernelINS0_13select_configILj256ELj13ELNS0_17block_load_methodE3ELS4_3ELS4_3ELNS0_20block_scan_algorithmE0ELj4294967295EEENS1_25partition_config_selectorILNS1_17partition_subalgoE4EjNS0_10empty_typeEbEEZZNS1_14partition_implILS8_4ELb0ES6_15HIP_vector_typeIjLj2EENS0_17counting_iteratorIjlEEPS9_SG_NS0_5tupleIJPjSI_NS0_16reverse_iteratorISI_EEEEENSH_IJSG_SG_SG_EEES9_SI_JZNS1_25segmented_radix_sort_implINS0_14default_configELb0EPKbPbPKlPlN2at6native12_GLOBAL__N_18offset_tEEE10hipError_tPvRmT1_PNSt15iterator_traitsIS12_E10value_typeET2_T3_PNS13_IS18_E10value_typeET4_jRbjT5_S1E_jjP12ihipStream_tbEUljE_ZNSN_ISO_Lb0ESQ_SR_ST_SU_SY_EESZ_S10_S11_S12_S16_S17_S18_S1B_S1C_jS1D_jS1E_S1E_jjS1G_bEUljE0_EEESZ_S10_S11_S18_S1C_S1E_T6_T7_T9_mT8_S1G_bDpT10_ENKUlT_T0_E_clISt17integral_constantIbLb0EES1U_EEDaS1P_S1Q_EUlS1P_E_NS1_11comp_targetILNS1_3genE4ELNS1_11target_archE910ELNS1_3gpuE8ELNS1_3repE0EEENS1_30default_config_static_selectorELNS0_4arch9wavefront6targetE0EEEvS12_,"axG",@progbits,_ZN7rocprim17ROCPRIM_400000_NS6detail17trampoline_kernelINS0_13select_configILj256ELj13ELNS0_17block_load_methodE3ELS4_3ELS4_3ELNS0_20block_scan_algorithmE0ELj4294967295EEENS1_25partition_config_selectorILNS1_17partition_subalgoE4EjNS0_10empty_typeEbEEZZNS1_14partition_implILS8_4ELb0ES6_15HIP_vector_typeIjLj2EENS0_17counting_iteratorIjlEEPS9_SG_NS0_5tupleIJPjSI_NS0_16reverse_iteratorISI_EEEEENSH_IJSG_SG_SG_EEES9_SI_JZNS1_25segmented_radix_sort_implINS0_14default_configELb0EPKbPbPKlPlN2at6native12_GLOBAL__N_18offset_tEEE10hipError_tPvRmT1_PNSt15iterator_traitsIS12_E10value_typeET2_T3_PNS13_IS18_E10value_typeET4_jRbjT5_S1E_jjP12ihipStream_tbEUljE_ZNSN_ISO_Lb0ESQ_SR_ST_SU_SY_EESZ_S10_S11_S12_S16_S17_S18_S1B_S1C_jS1D_jS1E_S1E_jjS1G_bEUljE0_EEESZ_S10_S11_S18_S1C_S1E_T6_T7_T9_mT8_S1G_bDpT10_ENKUlT_T0_E_clISt17integral_constantIbLb0EES1U_EEDaS1P_S1Q_EUlS1P_E_NS1_11comp_targetILNS1_3genE4ELNS1_11target_archE910ELNS1_3gpuE8ELNS1_3repE0EEENS1_30default_config_static_selectorELNS0_4arch9wavefront6targetE0EEEvS12_,comdat
.Lfunc_end1573:
	.size	_ZN7rocprim17ROCPRIM_400000_NS6detail17trampoline_kernelINS0_13select_configILj256ELj13ELNS0_17block_load_methodE3ELS4_3ELS4_3ELNS0_20block_scan_algorithmE0ELj4294967295EEENS1_25partition_config_selectorILNS1_17partition_subalgoE4EjNS0_10empty_typeEbEEZZNS1_14partition_implILS8_4ELb0ES6_15HIP_vector_typeIjLj2EENS0_17counting_iteratorIjlEEPS9_SG_NS0_5tupleIJPjSI_NS0_16reverse_iteratorISI_EEEEENSH_IJSG_SG_SG_EEES9_SI_JZNS1_25segmented_radix_sort_implINS0_14default_configELb0EPKbPbPKlPlN2at6native12_GLOBAL__N_18offset_tEEE10hipError_tPvRmT1_PNSt15iterator_traitsIS12_E10value_typeET2_T3_PNS13_IS18_E10value_typeET4_jRbjT5_S1E_jjP12ihipStream_tbEUljE_ZNSN_ISO_Lb0ESQ_SR_ST_SU_SY_EESZ_S10_S11_S12_S16_S17_S18_S1B_S1C_jS1D_jS1E_S1E_jjS1G_bEUljE0_EEESZ_S10_S11_S18_S1C_S1E_T6_T7_T9_mT8_S1G_bDpT10_ENKUlT_T0_E_clISt17integral_constantIbLb0EES1U_EEDaS1P_S1Q_EUlS1P_E_NS1_11comp_targetILNS1_3genE4ELNS1_11target_archE910ELNS1_3gpuE8ELNS1_3repE0EEENS1_30default_config_static_selectorELNS0_4arch9wavefront6targetE0EEEvS12_, .Lfunc_end1573-_ZN7rocprim17ROCPRIM_400000_NS6detail17trampoline_kernelINS0_13select_configILj256ELj13ELNS0_17block_load_methodE3ELS4_3ELS4_3ELNS0_20block_scan_algorithmE0ELj4294967295EEENS1_25partition_config_selectorILNS1_17partition_subalgoE4EjNS0_10empty_typeEbEEZZNS1_14partition_implILS8_4ELb0ES6_15HIP_vector_typeIjLj2EENS0_17counting_iteratorIjlEEPS9_SG_NS0_5tupleIJPjSI_NS0_16reverse_iteratorISI_EEEEENSH_IJSG_SG_SG_EEES9_SI_JZNS1_25segmented_radix_sort_implINS0_14default_configELb0EPKbPbPKlPlN2at6native12_GLOBAL__N_18offset_tEEE10hipError_tPvRmT1_PNSt15iterator_traitsIS12_E10value_typeET2_T3_PNS13_IS18_E10value_typeET4_jRbjT5_S1E_jjP12ihipStream_tbEUljE_ZNSN_ISO_Lb0ESQ_SR_ST_SU_SY_EESZ_S10_S11_S12_S16_S17_S18_S1B_S1C_jS1D_jS1E_S1E_jjS1G_bEUljE0_EEESZ_S10_S11_S18_S1C_S1E_T6_T7_T9_mT8_S1G_bDpT10_ENKUlT_T0_E_clISt17integral_constantIbLb0EES1U_EEDaS1P_S1Q_EUlS1P_E_NS1_11comp_targetILNS1_3genE4ELNS1_11target_archE910ELNS1_3gpuE8ELNS1_3repE0EEENS1_30default_config_static_selectorELNS0_4arch9wavefront6targetE0EEEvS12_
                                        ; -- End function
	.section	.AMDGPU.csdata,"",@progbits
; Kernel info:
; codeLenInByte = 0
; NumSgprs: 0
; NumVgprs: 0
; ScratchSize: 0
; MemoryBound: 0
; FloatMode: 240
; IeeeMode: 1
; LDSByteSize: 0 bytes/workgroup (compile time only)
; SGPRBlocks: 0
; VGPRBlocks: 0
; NumSGPRsForWavesPerEU: 1
; NumVGPRsForWavesPerEU: 1
; Occupancy: 16
; WaveLimiterHint : 0
; COMPUTE_PGM_RSRC2:SCRATCH_EN: 0
; COMPUTE_PGM_RSRC2:USER_SGPR: 15
; COMPUTE_PGM_RSRC2:TRAP_HANDLER: 0
; COMPUTE_PGM_RSRC2:TGID_X_EN: 1
; COMPUTE_PGM_RSRC2:TGID_Y_EN: 0
; COMPUTE_PGM_RSRC2:TGID_Z_EN: 0
; COMPUTE_PGM_RSRC2:TIDIG_COMP_CNT: 0
	.section	.text._ZN7rocprim17ROCPRIM_400000_NS6detail17trampoline_kernelINS0_13select_configILj256ELj13ELNS0_17block_load_methodE3ELS4_3ELS4_3ELNS0_20block_scan_algorithmE0ELj4294967295EEENS1_25partition_config_selectorILNS1_17partition_subalgoE4EjNS0_10empty_typeEbEEZZNS1_14partition_implILS8_4ELb0ES6_15HIP_vector_typeIjLj2EENS0_17counting_iteratorIjlEEPS9_SG_NS0_5tupleIJPjSI_NS0_16reverse_iteratorISI_EEEEENSH_IJSG_SG_SG_EEES9_SI_JZNS1_25segmented_radix_sort_implINS0_14default_configELb0EPKbPbPKlPlN2at6native12_GLOBAL__N_18offset_tEEE10hipError_tPvRmT1_PNSt15iterator_traitsIS12_E10value_typeET2_T3_PNS13_IS18_E10value_typeET4_jRbjT5_S1E_jjP12ihipStream_tbEUljE_ZNSN_ISO_Lb0ESQ_SR_ST_SU_SY_EESZ_S10_S11_S12_S16_S17_S18_S1B_S1C_jS1D_jS1E_S1E_jjS1G_bEUljE0_EEESZ_S10_S11_S18_S1C_S1E_T6_T7_T9_mT8_S1G_bDpT10_ENKUlT_T0_E_clISt17integral_constantIbLb0EES1U_EEDaS1P_S1Q_EUlS1P_E_NS1_11comp_targetILNS1_3genE3ELNS1_11target_archE908ELNS1_3gpuE7ELNS1_3repE0EEENS1_30default_config_static_selectorELNS0_4arch9wavefront6targetE0EEEvS12_,"axG",@progbits,_ZN7rocprim17ROCPRIM_400000_NS6detail17trampoline_kernelINS0_13select_configILj256ELj13ELNS0_17block_load_methodE3ELS4_3ELS4_3ELNS0_20block_scan_algorithmE0ELj4294967295EEENS1_25partition_config_selectorILNS1_17partition_subalgoE4EjNS0_10empty_typeEbEEZZNS1_14partition_implILS8_4ELb0ES6_15HIP_vector_typeIjLj2EENS0_17counting_iteratorIjlEEPS9_SG_NS0_5tupleIJPjSI_NS0_16reverse_iteratorISI_EEEEENSH_IJSG_SG_SG_EEES9_SI_JZNS1_25segmented_radix_sort_implINS0_14default_configELb0EPKbPbPKlPlN2at6native12_GLOBAL__N_18offset_tEEE10hipError_tPvRmT1_PNSt15iterator_traitsIS12_E10value_typeET2_T3_PNS13_IS18_E10value_typeET4_jRbjT5_S1E_jjP12ihipStream_tbEUljE_ZNSN_ISO_Lb0ESQ_SR_ST_SU_SY_EESZ_S10_S11_S12_S16_S17_S18_S1B_S1C_jS1D_jS1E_S1E_jjS1G_bEUljE0_EEESZ_S10_S11_S18_S1C_S1E_T6_T7_T9_mT8_S1G_bDpT10_ENKUlT_T0_E_clISt17integral_constantIbLb0EES1U_EEDaS1P_S1Q_EUlS1P_E_NS1_11comp_targetILNS1_3genE3ELNS1_11target_archE908ELNS1_3gpuE7ELNS1_3repE0EEENS1_30default_config_static_selectorELNS0_4arch9wavefront6targetE0EEEvS12_,comdat
	.globl	_ZN7rocprim17ROCPRIM_400000_NS6detail17trampoline_kernelINS0_13select_configILj256ELj13ELNS0_17block_load_methodE3ELS4_3ELS4_3ELNS0_20block_scan_algorithmE0ELj4294967295EEENS1_25partition_config_selectorILNS1_17partition_subalgoE4EjNS0_10empty_typeEbEEZZNS1_14partition_implILS8_4ELb0ES6_15HIP_vector_typeIjLj2EENS0_17counting_iteratorIjlEEPS9_SG_NS0_5tupleIJPjSI_NS0_16reverse_iteratorISI_EEEEENSH_IJSG_SG_SG_EEES9_SI_JZNS1_25segmented_radix_sort_implINS0_14default_configELb0EPKbPbPKlPlN2at6native12_GLOBAL__N_18offset_tEEE10hipError_tPvRmT1_PNSt15iterator_traitsIS12_E10value_typeET2_T3_PNS13_IS18_E10value_typeET4_jRbjT5_S1E_jjP12ihipStream_tbEUljE_ZNSN_ISO_Lb0ESQ_SR_ST_SU_SY_EESZ_S10_S11_S12_S16_S17_S18_S1B_S1C_jS1D_jS1E_S1E_jjS1G_bEUljE0_EEESZ_S10_S11_S18_S1C_S1E_T6_T7_T9_mT8_S1G_bDpT10_ENKUlT_T0_E_clISt17integral_constantIbLb0EES1U_EEDaS1P_S1Q_EUlS1P_E_NS1_11comp_targetILNS1_3genE3ELNS1_11target_archE908ELNS1_3gpuE7ELNS1_3repE0EEENS1_30default_config_static_selectorELNS0_4arch9wavefront6targetE0EEEvS12_ ; -- Begin function _ZN7rocprim17ROCPRIM_400000_NS6detail17trampoline_kernelINS0_13select_configILj256ELj13ELNS0_17block_load_methodE3ELS4_3ELS4_3ELNS0_20block_scan_algorithmE0ELj4294967295EEENS1_25partition_config_selectorILNS1_17partition_subalgoE4EjNS0_10empty_typeEbEEZZNS1_14partition_implILS8_4ELb0ES6_15HIP_vector_typeIjLj2EENS0_17counting_iteratorIjlEEPS9_SG_NS0_5tupleIJPjSI_NS0_16reverse_iteratorISI_EEEEENSH_IJSG_SG_SG_EEES9_SI_JZNS1_25segmented_radix_sort_implINS0_14default_configELb0EPKbPbPKlPlN2at6native12_GLOBAL__N_18offset_tEEE10hipError_tPvRmT1_PNSt15iterator_traitsIS12_E10value_typeET2_T3_PNS13_IS18_E10value_typeET4_jRbjT5_S1E_jjP12ihipStream_tbEUljE_ZNSN_ISO_Lb0ESQ_SR_ST_SU_SY_EESZ_S10_S11_S12_S16_S17_S18_S1B_S1C_jS1D_jS1E_S1E_jjS1G_bEUljE0_EEESZ_S10_S11_S18_S1C_S1E_T6_T7_T9_mT8_S1G_bDpT10_ENKUlT_T0_E_clISt17integral_constantIbLb0EES1U_EEDaS1P_S1Q_EUlS1P_E_NS1_11comp_targetILNS1_3genE3ELNS1_11target_archE908ELNS1_3gpuE7ELNS1_3repE0EEENS1_30default_config_static_selectorELNS0_4arch9wavefront6targetE0EEEvS12_
	.p2align	8
	.type	_ZN7rocprim17ROCPRIM_400000_NS6detail17trampoline_kernelINS0_13select_configILj256ELj13ELNS0_17block_load_methodE3ELS4_3ELS4_3ELNS0_20block_scan_algorithmE0ELj4294967295EEENS1_25partition_config_selectorILNS1_17partition_subalgoE4EjNS0_10empty_typeEbEEZZNS1_14partition_implILS8_4ELb0ES6_15HIP_vector_typeIjLj2EENS0_17counting_iteratorIjlEEPS9_SG_NS0_5tupleIJPjSI_NS0_16reverse_iteratorISI_EEEEENSH_IJSG_SG_SG_EEES9_SI_JZNS1_25segmented_radix_sort_implINS0_14default_configELb0EPKbPbPKlPlN2at6native12_GLOBAL__N_18offset_tEEE10hipError_tPvRmT1_PNSt15iterator_traitsIS12_E10value_typeET2_T3_PNS13_IS18_E10value_typeET4_jRbjT5_S1E_jjP12ihipStream_tbEUljE_ZNSN_ISO_Lb0ESQ_SR_ST_SU_SY_EESZ_S10_S11_S12_S16_S17_S18_S1B_S1C_jS1D_jS1E_S1E_jjS1G_bEUljE0_EEESZ_S10_S11_S18_S1C_S1E_T6_T7_T9_mT8_S1G_bDpT10_ENKUlT_T0_E_clISt17integral_constantIbLb0EES1U_EEDaS1P_S1Q_EUlS1P_E_NS1_11comp_targetILNS1_3genE3ELNS1_11target_archE908ELNS1_3gpuE7ELNS1_3repE0EEENS1_30default_config_static_selectorELNS0_4arch9wavefront6targetE0EEEvS12_,@function
_ZN7rocprim17ROCPRIM_400000_NS6detail17trampoline_kernelINS0_13select_configILj256ELj13ELNS0_17block_load_methodE3ELS4_3ELS4_3ELNS0_20block_scan_algorithmE0ELj4294967295EEENS1_25partition_config_selectorILNS1_17partition_subalgoE4EjNS0_10empty_typeEbEEZZNS1_14partition_implILS8_4ELb0ES6_15HIP_vector_typeIjLj2EENS0_17counting_iteratorIjlEEPS9_SG_NS0_5tupleIJPjSI_NS0_16reverse_iteratorISI_EEEEENSH_IJSG_SG_SG_EEES9_SI_JZNS1_25segmented_radix_sort_implINS0_14default_configELb0EPKbPbPKlPlN2at6native12_GLOBAL__N_18offset_tEEE10hipError_tPvRmT1_PNSt15iterator_traitsIS12_E10value_typeET2_T3_PNS13_IS18_E10value_typeET4_jRbjT5_S1E_jjP12ihipStream_tbEUljE_ZNSN_ISO_Lb0ESQ_SR_ST_SU_SY_EESZ_S10_S11_S12_S16_S17_S18_S1B_S1C_jS1D_jS1E_S1E_jjS1G_bEUljE0_EEESZ_S10_S11_S18_S1C_S1E_T6_T7_T9_mT8_S1G_bDpT10_ENKUlT_T0_E_clISt17integral_constantIbLb0EES1U_EEDaS1P_S1Q_EUlS1P_E_NS1_11comp_targetILNS1_3genE3ELNS1_11target_archE908ELNS1_3gpuE7ELNS1_3repE0EEENS1_30default_config_static_selectorELNS0_4arch9wavefront6targetE0EEEvS12_: ; @_ZN7rocprim17ROCPRIM_400000_NS6detail17trampoline_kernelINS0_13select_configILj256ELj13ELNS0_17block_load_methodE3ELS4_3ELS4_3ELNS0_20block_scan_algorithmE0ELj4294967295EEENS1_25partition_config_selectorILNS1_17partition_subalgoE4EjNS0_10empty_typeEbEEZZNS1_14partition_implILS8_4ELb0ES6_15HIP_vector_typeIjLj2EENS0_17counting_iteratorIjlEEPS9_SG_NS0_5tupleIJPjSI_NS0_16reverse_iteratorISI_EEEEENSH_IJSG_SG_SG_EEES9_SI_JZNS1_25segmented_radix_sort_implINS0_14default_configELb0EPKbPbPKlPlN2at6native12_GLOBAL__N_18offset_tEEE10hipError_tPvRmT1_PNSt15iterator_traitsIS12_E10value_typeET2_T3_PNS13_IS18_E10value_typeET4_jRbjT5_S1E_jjP12ihipStream_tbEUljE_ZNSN_ISO_Lb0ESQ_SR_ST_SU_SY_EESZ_S10_S11_S12_S16_S17_S18_S1B_S1C_jS1D_jS1E_S1E_jjS1G_bEUljE0_EEESZ_S10_S11_S18_S1C_S1E_T6_T7_T9_mT8_S1G_bDpT10_ENKUlT_T0_E_clISt17integral_constantIbLb0EES1U_EEDaS1P_S1Q_EUlS1P_E_NS1_11comp_targetILNS1_3genE3ELNS1_11target_archE908ELNS1_3gpuE7ELNS1_3repE0EEENS1_30default_config_static_selectorELNS0_4arch9wavefront6targetE0EEEvS12_
; %bb.0:
	.section	.rodata,"a",@progbits
	.p2align	6, 0x0
	.amdhsa_kernel _ZN7rocprim17ROCPRIM_400000_NS6detail17trampoline_kernelINS0_13select_configILj256ELj13ELNS0_17block_load_methodE3ELS4_3ELS4_3ELNS0_20block_scan_algorithmE0ELj4294967295EEENS1_25partition_config_selectorILNS1_17partition_subalgoE4EjNS0_10empty_typeEbEEZZNS1_14partition_implILS8_4ELb0ES6_15HIP_vector_typeIjLj2EENS0_17counting_iteratorIjlEEPS9_SG_NS0_5tupleIJPjSI_NS0_16reverse_iteratorISI_EEEEENSH_IJSG_SG_SG_EEES9_SI_JZNS1_25segmented_radix_sort_implINS0_14default_configELb0EPKbPbPKlPlN2at6native12_GLOBAL__N_18offset_tEEE10hipError_tPvRmT1_PNSt15iterator_traitsIS12_E10value_typeET2_T3_PNS13_IS18_E10value_typeET4_jRbjT5_S1E_jjP12ihipStream_tbEUljE_ZNSN_ISO_Lb0ESQ_SR_ST_SU_SY_EESZ_S10_S11_S12_S16_S17_S18_S1B_S1C_jS1D_jS1E_S1E_jjS1G_bEUljE0_EEESZ_S10_S11_S18_S1C_S1E_T6_T7_T9_mT8_S1G_bDpT10_ENKUlT_T0_E_clISt17integral_constantIbLb0EES1U_EEDaS1P_S1Q_EUlS1P_E_NS1_11comp_targetILNS1_3genE3ELNS1_11target_archE908ELNS1_3gpuE7ELNS1_3repE0EEENS1_30default_config_static_selectorELNS0_4arch9wavefront6targetE0EEEvS12_
		.amdhsa_group_segment_fixed_size 0
		.amdhsa_private_segment_fixed_size 0
		.amdhsa_kernarg_size 176
		.amdhsa_user_sgpr_count 15
		.amdhsa_user_sgpr_dispatch_ptr 0
		.amdhsa_user_sgpr_queue_ptr 0
		.amdhsa_user_sgpr_kernarg_segment_ptr 1
		.amdhsa_user_sgpr_dispatch_id 0
		.amdhsa_user_sgpr_private_segment_size 0
		.amdhsa_wavefront_size32 1
		.amdhsa_uses_dynamic_stack 0
		.amdhsa_enable_private_segment 0
		.amdhsa_system_sgpr_workgroup_id_x 1
		.amdhsa_system_sgpr_workgroup_id_y 0
		.amdhsa_system_sgpr_workgroup_id_z 0
		.amdhsa_system_sgpr_workgroup_info 0
		.amdhsa_system_vgpr_workitem_id 0
		.amdhsa_next_free_vgpr 1
		.amdhsa_next_free_sgpr 1
		.amdhsa_reserve_vcc 0
		.amdhsa_float_round_mode_32 0
		.amdhsa_float_round_mode_16_64 0
		.amdhsa_float_denorm_mode_32 3
		.amdhsa_float_denorm_mode_16_64 3
		.amdhsa_dx10_clamp 1
		.amdhsa_ieee_mode 1
		.amdhsa_fp16_overflow 0
		.amdhsa_workgroup_processor_mode 1
		.amdhsa_memory_ordered 1
		.amdhsa_forward_progress 0
		.amdhsa_shared_vgpr_count 0
		.amdhsa_exception_fp_ieee_invalid_op 0
		.amdhsa_exception_fp_denorm_src 0
		.amdhsa_exception_fp_ieee_div_zero 0
		.amdhsa_exception_fp_ieee_overflow 0
		.amdhsa_exception_fp_ieee_underflow 0
		.amdhsa_exception_fp_ieee_inexact 0
		.amdhsa_exception_int_div_zero 0
	.end_amdhsa_kernel
	.section	.text._ZN7rocprim17ROCPRIM_400000_NS6detail17trampoline_kernelINS0_13select_configILj256ELj13ELNS0_17block_load_methodE3ELS4_3ELS4_3ELNS0_20block_scan_algorithmE0ELj4294967295EEENS1_25partition_config_selectorILNS1_17partition_subalgoE4EjNS0_10empty_typeEbEEZZNS1_14partition_implILS8_4ELb0ES6_15HIP_vector_typeIjLj2EENS0_17counting_iteratorIjlEEPS9_SG_NS0_5tupleIJPjSI_NS0_16reverse_iteratorISI_EEEEENSH_IJSG_SG_SG_EEES9_SI_JZNS1_25segmented_radix_sort_implINS0_14default_configELb0EPKbPbPKlPlN2at6native12_GLOBAL__N_18offset_tEEE10hipError_tPvRmT1_PNSt15iterator_traitsIS12_E10value_typeET2_T3_PNS13_IS18_E10value_typeET4_jRbjT5_S1E_jjP12ihipStream_tbEUljE_ZNSN_ISO_Lb0ESQ_SR_ST_SU_SY_EESZ_S10_S11_S12_S16_S17_S18_S1B_S1C_jS1D_jS1E_S1E_jjS1G_bEUljE0_EEESZ_S10_S11_S18_S1C_S1E_T6_T7_T9_mT8_S1G_bDpT10_ENKUlT_T0_E_clISt17integral_constantIbLb0EES1U_EEDaS1P_S1Q_EUlS1P_E_NS1_11comp_targetILNS1_3genE3ELNS1_11target_archE908ELNS1_3gpuE7ELNS1_3repE0EEENS1_30default_config_static_selectorELNS0_4arch9wavefront6targetE0EEEvS12_,"axG",@progbits,_ZN7rocprim17ROCPRIM_400000_NS6detail17trampoline_kernelINS0_13select_configILj256ELj13ELNS0_17block_load_methodE3ELS4_3ELS4_3ELNS0_20block_scan_algorithmE0ELj4294967295EEENS1_25partition_config_selectorILNS1_17partition_subalgoE4EjNS0_10empty_typeEbEEZZNS1_14partition_implILS8_4ELb0ES6_15HIP_vector_typeIjLj2EENS0_17counting_iteratorIjlEEPS9_SG_NS0_5tupleIJPjSI_NS0_16reverse_iteratorISI_EEEEENSH_IJSG_SG_SG_EEES9_SI_JZNS1_25segmented_radix_sort_implINS0_14default_configELb0EPKbPbPKlPlN2at6native12_GLOBAL__N_18offset_tEEE10hipError_tPvRmT1_PNSt15iterator_traitsIS12_E10value_typeET2_T3_PNS13_IS18_E10value_typeET4_jRbjT5_S1E_jjP12ihipStream_tbEUljE_ZNSN_ISO_Lb0ESQ_SR_ST_SU_SY_EESZ_S10_S11_S12_S16_S17_S18_S1B_S1C_jS1D_jS1E_S1E_jjS1G_bEUljE0_EEESZ_S10_S11_S18_S1C_S1E_T6_T7_T9_mT8_S1G_bDpT10_ENKUlT_T0_E_clISt17integral_constantIbLb0EES1U_EEDaS1P_S1Q_EUlS1P_E_NS1_11comp_targetILNS1_3genE3ELNS1_11target_archE908ELNS1_3gpuE7ELNS1_3repE0EEENS1_30default_config_static_selectorELNS0_4arch9wavefront6targetE0EEEvS12_,comdat
.Lfunc_end1574:
	.size	_ZN7rocprim17ROCPRIM_400000_NS6detail17trampoline_kernelINS0_13select_configILj256ELj13ELNS0_17block_load_methodE3ELS4_3ELS4_3ELNS0_20block_scan_algorithmE0ELj4294967295EEENS1_25partition_config_selectorILNS1_17partition_subalgoE4EjNS0_10empty_typeEbEEZZNS1_14partition_implILS8_4ELb0ES6_15HIP_vector_typeIjLj2EENS0_17counting_iteratorIjlEEPS9_SG_NS0_5tupleIJPjSI_NS0_16reverse_iteratorISI_EEEEENSH_IJSG_SG_SG_EEES9_SI_JZNS1_25segmented_radix_sort_implINS0_14default_configELb0EPKbPbPKlPlN2at6native12_GLOBAL__N_18offset_tEEE10hipError_tPvRmT1_PNSt15iterator_traitsIS12_E10value_typeET2_T3_PNS13_IS18_E10value_typeET4_jRbjT5_S1E_jjP12ihipStream_tbEUljE_ZNSN_ISO_Lb0ESQ_SR_ST_SU_SY_EESZ_S10_S11_S12_S16_S17_S18_S1B_S1C_jS1D_jS1E_S1E_jjS1G_bEUljE0_EEESZ_S10_S11_S18_S1C_S1E_T6_T7_T9_mT8_S1G_bDpT10_ENKUlT_T0_E_clISt17integral_constantIbLb0EES1U_EEDaS1P_S1Q_EUlS1P_E_NS1_11comp_targetILNS1_3genE3ELNS1_11target_archE908ELNS1_3gpuE7ELNS1_3repE0EEENS1_30default_config_static_selectorELNS0_4arch9wavefront6targetE0EEEvS12_, .Lfunc_end1574-_ZN7rocprim17ROCPRIM_400000_NS6detail17trampoline_kernelINS0_13select_configILj256ELj13ELNS0_17block_load_methodE3ELS4_3ELS4_3ELNS0_20block_scan_algorithmE0ELj4294967295EEENS1_25partition_config_selectorILNS1_17partition_subalgoE4EjNS0_10empty_typeEbEEZZNS1_14partition_implILS8_4ELb0ES6_15HIP_vector_typeIjLj2EENS0_17counting_iteratorIjlEEPS9_SG_NS0_5tupleIJPjSI_NS0_16reverse_iteratorISI_EEEEENSH_IJSG_SG_SG_EEES9_SI_JZNS1_25segmented_radix_sort_implINS0_14default_configELb0EPKbPbPKlPlN2at6native12_GLOBAL__N_18offset_tEEE10hipError_tPvRmT1_PNSt15iterator_traitsIS12_E10value_typeET2_T3_PNS13_IS18_E10value_typeET4_jRbjT5_S1E_jjP12ihipStream_tbEUljE_ZNSN_ISO_Lb0ESQ_SR_ST_SU_SY_EESZ_S10_S11_S12_S16_S17_S18_S1B_S1C_jS1D_jS1E_S1E_jjS1G_bEUljE0_EEESZ_S10_S11_S18_S1C_S1E_T6_T7_T9_mT8_S1G_bDpT10_ENKUlT_T0_E_clISt17integral_constantIbLb0EES1U_EEDaS1P_S1Q_EUlS1P_E_NS1_11comp_targetILNS1_3genE3ELNS1_11target_archE908ELNS1_3gpuE7ELNS1_3repE0EEENS1_30default_config_static_selectorELNS0_4arch9wavefront6targetE0EEEvS12_
                                        ; -- End function
	.section	.AMDGPU.csdata,"",@progbits
; Kernel info:
; codeLenInByte = 0
; NumSgprs: 0
; NumVgprs: 0
; ScratchSize: 0
; MemoryBound: 0
; FloatMode: 240
; IeeeMode: 1
; LDSByteSize: 0 bytes/workgroup (compile time only)
; SGPRBlocks: 0
; VGPRBlocks: 0
; NumSGPRsForWavesPerEU: 1
; NumVGPRsForWavesPerEU: 1
; Occupancy: 16
; WaveLimiterHint : 0
; COMPUTE_PGM_RSRC2:SCRATCH_EN: 0
; COMPUTE_PGM_RSRC2:USER_SGPR: 15
; COMPUTE_PGM_RSRC2:TRAP_HANDLER: 0
; COMPUTE_PGM_RSRC2:TGID_X_EN: 1
; COMPUTE_PGM_RSRC2:TGID_Y_EN: 0
; COMPUTE_PGM_RSRC2:TGID_Z_EN: 0
; COMPUTE_PGM_RSRC2:TIDIG_COMP_CNT: 0
	.section	.text._ZN7rocprim17ROCPRIM_400000_NS6detail17trampoline_kernelINS0_13select_configILj256ELj13ELNS0_17block_load_methodE3ELS4_3ELS4_3ELNS0_20block_scan_algorithmE0ELj4294967295EEENS1_25partition_config_selectorILNS1_17partition_subalgoE4EjNS0_10empty_typeEbEEZZNS1_14partition_implILS8_4ELb0ES6_15HIP_vector_typeIjLj2EENS0_17counting_iteratorIjlEEPS9_SG_NS0_5tupleIJPjSI_NS0_16reverse_iteratorISI_EEEEENSH_IJSG_SG_SG_EEES9_SI_JZNS1_25segmented_radix_sort_implINS0_14default_configELb0EPKbPbPKlPlN2at6native12_GLOBAL__N_18offset_tEEE10hipError_tPvRmT1_PNSt15iterator_traitsIS12_E10value_typeET2_T3_PNS13_IS18_E10value_typeET4_jRbjT5_S1E_jjP12ihipStream_tbEUljE_ZNSN_ISO_Lb0ESQ_SR_ST_SU_SY_EESZ_S10_S11_S12_S16_S17_S18_S1B_S1C_jS1D_jS1E_S1E_jjS1G_bEUljE0_EEESZ_S10_S11_S18_S1C_S1E_T6_T7_T9_mT8_S1G_bDpT10_ENKUlT_T0_E_clISt17integral_constantIbLb0EES1U_EEDaS1P_S1Q_EUlS1P_E_NS1_11comp_targetILNS1_3genE2ELNS1_11target_archE906ELNS1_3gpuE6ELNS1_3repE0EEENS1_30default_config_static_selectorELNS0_4arch9wavefront6targetE0EEEvS12_,"axG",@progbits,_ZN7rocprim17ROCPRIM_400000_NS6detail17trampoline_kernelINS0_13select_configILj256ELj13ELNS0_17block_load_methodE3ELS4_3ELS4_3ELNS0_20block_scan_algorithmE0ELj4294967295EEENS1_25partition_config_selectorILNS1_17partition_subalgoE4EjNS0_10empty_typeEbEEZZNS1_14partition_implILS8_4ELb0ES6_15HIP_vector_typeIjLj2EENS0_17counting_iteratorIjlEEPS9_SG_NS0_5tupleIJPjSI_NS0_16reverse_iteratorISI_EEEEENSH_IJSG_SG_SG_EEES9_SI_JZNS1_25segmented_radix_sort_implINS0_14default_configELb0EPKbPbPKlPlN2at6native12_GLOBAL__N_18offset_tEEE10hipError_tPvRmT1_PNSt15iterator_traitsIS12_E10value_typeET2_T3_PNS13_IS18_E10value_typeET4_jRbjT5_S1E_jjP12ihipStream_tbEUljE_ZNSN_ISO_Lb0ESQ_SR_ST_SU_SY_EESZ_S10_S11_S12_S16_S17_S18_S1B_S1C_jS1D_jS1E_S1E_jjS1G_bEUljE0_EEESZ_S10_S11_S18_S1C_S1E_T6_T7_T9_mT8_S1G_bDpT10_ENKUlT_T0_E_clISt17integral_constantIbLb0EES1U_EEDaS1P_S1Q_EUlS1P_E_NS1_11comp_targetILNS1_3genE2ELNS1_11target_archE906ELNS1_3gpuE6ELNS1_3repE0EEENS1_30default_config_static_selectorELNS0_4arch9wavefront6targetE0EEEvS12_,comdat
	.globl	_ZN7rocprim17ROCPRIM_400000_NS6detail17trampoline_kernelINS0_13select_configILj256ELj13ELNS0_17block_load_methodE3ELS4_3ELS4_3ELNS0_20block_scan_algorithmE0ELj4294967295EEENS1_25partition_config_selectorILNS1_17partition_subalgoE4EjNS0_10empty_typeEbEEZZNS1_14partition_implILS8_4ELb0ES6_15HIP_vector_typeIjLj2EENS0_17counting_iteratorIjlEEPS9_SG_NS0_5tupleIJPjSI_NS0_16reverse_iteratorISI_EEEEENSH_IJSG_SG_SG_EEES9_SI_JZNS1_25segmented_radix_sort_implINS0_14default_configELb0EPKbPbPKlPlN2at6native12_GLOBAL__N_18offset_tEEE10hipError_tPvRmT1_PNSt15iterator_traitsIS12_E10value_typeET2_T3_PNS13_IS18_E10value_typeET4_jRbjT5_S1E_jjP12ihipStream_tbEUljE_ZNSN_ISO_Lb0ESQ_SR_ST_SU_SY_EESZ_S10_S11_S12_S16_S17_S18_S1B_S1C_jS1D_jS1E_S1E_jjS1G_bEUljE0_EEESZ_S10_S11_S18_S1C_S1E_T6_T7_T9_mT8_S1G_bDpT10_ENKUlT_T0_E_clISt17integral_constantIbLb0EES1U_EEDaS1P_S1Q_EUlS1P_E_NS1_11comp_targetILNS1_3genE2ELNS1_11target_archE906ELNS1_3gpuE6ELNS1_3repE0EEENS1_30default_config_static_selectorELNS0_4arch9wavefront6targetE0EEEvS12_ ; -- Begin function _ZN7rocprim17ROCPRIM_400000_NS6detail17trampoline_kernelINS0_13select_configILj256ELj13ELNS0_17block_load_methodE3ELS4_3ELS4_3ELNS0_20block_scan_algorithmE0ELj4294967295EEENS1_25partition_config_selectorILNS1_17partition_subalgoE4EjNS0_10empty_typeEbEEZZNS1_14partition_implILS8_4ELb0ES6_15HIP_vector_typeIjLj2EENS0_17counting_iteratorIjlEEPS9_SG_NS0_5tupleIJPjSI_NS0_16reverse_iteratorISI_EEEEENSH_IJSG_SG_SG_EEES9_SI_JZNS1_25segmented_radix_sort_implINS0_14default_configELb0EPKbPbPKlPlN2at6native12_GLOBAL__N_18offset_tEEE10hipError_tPvRmT1_PNSt15iterator_traitsIS12_E10value_typeET2_T3_PNS13_IS18_E10value_typeET4_jRbjT5_S1E_jjP12ihipStream_tbEUljE_ZNSN_ISO_Lb0ESQ_SR_ST_SU_SY_EESZ_S10_S11_S12_S16_S17_S18_S1B_S1C_jS1D_jS1E_S1E_jjS1G_bEUljE0_EEESZ_S10_S11_S18_S1C_S1E_T6_T7_T9_mT8_S1G_bDpT10_ENKUlT_T0_E_clISt17integral_constantIbLb0EES1U_EEDaS1P_S1Q_EUlS1P_E_NS1_11comp_targetILNS1_3genE2ELNS1_11target_archE906ELNS1_3gpuE6ELNS1_3repE0EEENS1_30default_config_static_selectorELNS0_4arch9wavefront6targetE0EEEvS12_
	.p2align	8
	.type	_ZN7rocprim17ROCPRIM_400000_NS6detail17trampoline_kernelINS0_13select_configILj256ELj13ELNS0_17block_load_methodE3ELS4_3ELS4_3ELNS0_20block_scan_algorithmE0ELj4294967295EEENS1_25partition_config_selectorILNS1_17partition_subalgoE4EjNS0_10empty_typeEbEEZZNS1_14partition_implILS8_4ELb0ES6_15HIP_vector_typeIjLj2EENS0_17counting_iteratorIjlEEPS9_SG_NS0_5tupleIJPjSI_NS0_16reverse_iteratorISI_EEEEENSH_IJSG_SG_SG_EEES9_SI_JZNS1_25segmented_radix_sort_implINS0_14default_configELb0EPKbPbPKlPlN2at6native12_GLOBAL__N_18offset_tEEE10hipError_tPvRmT1_PNSt15iterator_traitsIS12_E10value_typeET2_T3_PNS13_IS18_E10value_typeET4_jRbjT5_S1E_jjP12ihipStream_tbEUljE_ZNSN_ISO_Lb0ESQ_SR_ST_SU_SY_EESZ_S10_S11_S12_S16_S17_S18_S1B_S1C_jS1D_jS1E_S1E_jjS1G_bEUljE0_EEESZ_S10_S11_S18_S1C_S1E_T6_T7_T9_mT8_S1G_bDpT10_ENKUlT_T0_E_clISt17integral_constantIbLb0EES1U_EEDaS1P_S1Q_EUlS1P_E_NS1_11comp_targetILNS1_3genE2ELNS1_11target_archE906ELNS1_3gpuE6ELNS1_3repE0EEENS1_30default_config_static_selectorELNS0_4arch9wavefront6targetE0EEEvS12_,@function
_ZN7rocprim17ROCPRIM_400000_NS6detail17trampoline_kernelINS0_13select_configILj256ELj13ELNS0_17block_load_methodE3ELS4_3ELS4_3ELNS0_20block_scan_algorithmE0ELj4294967295EEENS1_25partition_config_selectorILNS1_17partition_subalgoE4EjNS0_10empty_typeEbEEZZNS1_14partition_implILS8_4ELb0ES6_15HIP_vector_typeIjLj2EENS0_17counting_iteratorIjlEEPS9_SG_NS0_5tupleIJPjSI_NS0_16reverse_iteratorISI_EEEEENSH_IJSG_SG_SG_EEES9_SI_JZNS1_25segmented_radix_sort_implINS0_14default_configELb0EPKbPbPKlPlN2at6native12_GLOBAL__N_18offset_tEEE10hipError_tPvRmT1_PNSt15iterator_traitsIS12_E10value_typeET2_T3_PNS13_IS18_E10value_typeET4_jRbjT5_S1E_jjP12ihipStream_tbEUljE_ZNSN_ISO_Lb0ESQ_SR_ST_SU_SY_EESZ_S10_S11_S12_S16_S17_S18_S1B_S1C_jS1D_jS1E_S1E_jjS1G_bEUljE0_EEESZ_S10_S11_S18_S1C_S1E_T6_T7_T9_mT8_S1G_bDpT10_ENKUlT_T0_E_clISt17integral_constantIbLb0EES1U_EEDaS1P_S1Q_EUlS1P_E_NS1_11comp_targetILNS1_3genE2ELNS1_11target_archE906ELNS1_3gpuE6ELNS1_3repE0EEENS1_30default_config_static_selectorELNS0_4arch9wavefront6targetE0EEEvS12_: ; @_ZN7rocprim17ROCPRIM_400000_NS6detail17trampoline_kernelINS0_13select_configILj256ELj13ELNS0_17block_load_methodE3ELS4_3ELS4_3ELNS0_20block_scan_algorithmE0ELj4294967295EEENS1_25partition_config_selectorILNS1_17partition_subalgoE4EjNS0_10empty_typeEbEEZZNS1_14partition_implILS8_4ELb0ES6_15HIP_vector_typeIjLj2EENS0_17counting_iteratorIjlEEPS9_SG_NS0_5tupleIJPjSI_NS0_16reverse_iteratorISI_EEEEENSH_IJSG_SG_SG_EEES9_SI_JZNS1_25segmented_radix_sort_implINS0_14default_configELb0EPKbPbPKlPlN2at6native12_GLOBAL__N_18offset_tEEE10hipError_tPvRmT1_PNSt15iterator_traitsIS12_E10value_typeET2_T3_PNS13_IS18_E10value_typeET4_jRbjT5_S1E_jjP12ihipStream_tbEUljE_ZNSN_ISO_Lb0ESQ_SR_ST_SU_SY_EESZ_S10_S11_S12_S16_S17_S18_S1B_S1C_jS1D_jS1E_S1E_jjS1G_bEUljE0_EEESZ_S10_S11_S18_S1C_S1E_T6_T7_T9_mT8_S1G_bDpT10_ENKUlT_T0_E_clISt17integral_constantIbLb0EES1U_EEDaS1P_S1Q_EUlS1P_E_NS1_11comp_targetILNS1_3genE2ELNS1_11target_archE906ELNS1_3gpuE6ELNS1_3repE0EEENS1_30default_config_static_selectorELNS0_4arch9wavefront6targetE0EEEvS12_
; %bb.0:
	.section	.rodata,"a",@progbits
	.p2align	6, 0x0
	.amdhsa_kernel _ZN7rocprim17ROCPRIM_400000_NS6detail17trampoline_kernelINS0_13select_configILj256ELj13ELNS0_17block_load_methodE3ELS4_3ELS4_3ELNS0_20block_scan_algorithmE0ELj4294967295EEENS1_25partition_config_selectorILNS1_17partition_subalgoE4EjNS0_10empty_typeEbEEZZNS1_14partition_implILS8_4ELb0ES6_15HIP_vector_typeIjLj2EENS0_17counting_iteratorIjlEEPS9_SG_NS0_5tupleIJPjSI_NS0_16reverse_iteratorISI_EEEEENSH_IJSG_SG_SG_EEES9_SI_JZNS1_25segmented_radix_sort_implINS0_14default_configELb0EPKbPbPKlPlN2at6native12_GLOBAL__N_18offset_tEEE10hipError_tPvRmT1_PNSt15iterator_traitsIS12_E10value_typeET2_T3_PNS13_IS18_E10value_typeET4_jRbjT5_S1E_jjP12ihipStream_tbEUljE_ZNSN_ISO_Lb0ESQ_SR_ST_SU_SY_EESZ_S10_S11_S12_S16_S17_S18_S1B_S1C_jS1D_jS1E_S1E_jjS1G_bEUljE0_EEESZ_S10_S11_S18_S1C_S1E_T6_T7_T9_mT8_S1G_bDpT10_ENKUlT_T0_E_clISt17integral_constantIbLb0EES1U_EEDaS1P_S1Q_EUlS1P_E_NS1_11comp_targetILNS1_3genE2ELNS1_11target_archE906ELNS1_3gpuE6ELNS1_3repE0EEENS1_30default_config_static_selectorELNS0_4arch9wavefront6targetE0EEEvS12_
		.amdhsa_group_segment_fixed_size 0
		.amdhsa_private_segment_fixed_size 0
		.amdhsa_kernarg_size 176
		.amdhsa_user_sgpr_count 15
		.amdhsa_user_sgpr_dispatch_ptr 0
		.amdhsa_user_sgpr_queue_ptr 0
		.amdhsa_user_sgpr_kernarg_segment_ptr 1
		.amdhsa_user_sgpr_dispatch_id 0
		.amdhsa_user_sgpr_private_segment_size 0
		.amdhsa_wavefront_size32 1
		.amdhsa_uses_dynamic_stack 0
		.amdhsa_enable_private_segment 0
		.amdhsa_system_sgpr_workgroup_id_x 1
		.amdhsa_system_sgpr_workgroup_id_y 0
		.amdhsa_system_sgpr_workgroup_id_z 0
		.amdhsa_system_sgpr_workgroup_info 0
		.amdhsa_system_vgpr_workitem_id 0
		.amdhsa_next_free_vgpr 1
		.amdhsa_next_free_sgpr 1
		.amdhsa_reserve_vcc 0
		.amdhsa_float_round_mode_32 0
		.amdhsa_float_round_mode_16_64 0
		.amdhsa_float_denorm_mode_32 3
		.amdhsa_float_denorm_mode_16_64 3
		.amdhsa_dx10_clamp 1
		.amdhsa_ieee_mode 1
		.amdhsa_fp16_overflow 0
		.amdhsa_workgroup_processor_mode 1
		.amdhsa_memory_ordered 1
		.amdhsa_forward_progress 0
		.amdhsa_shared_vgpr_count 0
		.amdhsa_exception_fp_ieee_invalid_op 0
		.amdhsa_exception_fp_denorm_src 0
		.amdhsa_exception_fp_ieee_div_zero 0
		.amdhsa_exception_fp_ieee_overflow 0
		.amdhsa_exception_fp_ieee_underflow 0
		.amdhsa_exception_fp_ieee_inexact 0
		.amdhsa_exception_int_div_zero 0
	.end_amdhsa_kernel
	.section	.text._ZN7rocprim17ROCPRIM_400000_NS6detail17trampoline_kernelINS0_13select_configILj256ELj13ELNS0_17block_load_methodE3ELS4_3ELS4_3ELNS0_20block_scan_algorithmE0ELj4294967295EEENS1_25partition_config_selectorILNS1_17partition_subalgoE4EjNS0_10empty_typeEbEEZZNS1_14partition_implILS8_4ELb0ES6_15HIP_vector_typeIjLj2EENS0_17counting_iteratorIjlEEPS9_SG_NS0_5tupleIJPjSI_NS0_16reverse_iteratorISI_EEEEENSH_IJSG_SG_SG_EEES9_SI_JZNS1_25segmented_radix_sort_implINS0_14default_configELb0EPKbPbPKlPlN2at6native12_GLOBAL__N_18offset_tEEE10hipError_tPvRmT1_PNSt15iterator_traitsIS12_E10value_typeET2_T3_PNS13_IS18_E10value_typeET4_jRbjT5_S1E_jjP12ihipStream_tbEUljE_ZNSN_ISO_Lb0ESQ_SR_ST_SU_SY_EESZ_S10_S11_S12_S16_S17_S18_S1B_S1C_jS1D_jS1E_S1E_jjS1G_bEUljE0_EEESZ_S10_S11_S18_S1C_S1E_T6_T7_T9_mT8_S1G_bDpT10_ENKUlT_T0_E_clISt17integral_constantIbLb0EES1U_EEDaS1P_S1Q_EUlS1P_E_NS1_11comp_targetILNS1_3genE2ELNS1_11target_archE906ELNS1_3gpuE6ELNS1_3repE0EEENS1_30default_config_static_selectorELNS0_4arch9wavefront6targetE0EEEvS12_,"axG",@progbits,_ZN7rocprim17ROCPRIM_400000_NS6detail17trampoline_kernelINS0_13select_configILj256ELj13ELNS0_17block_load_methodE3ELS4_3ELS4_3ELNS0_20block_scan_algorithmE0ELj4294967295EEENS1_25partition_config_selectorILNS1_17partition_subalgoE4EjNS0_10empty_typeEbEEZZNS1_14partition_implILS8_4ELb0ES6_15HIP_vector_typeIjLj2EENS0_17counting_iteratorIjlEEPS9_SG_NS0_5tupleIJPjSI_NS0_16reverse_iteratorISI_EEEEENSH_IJSG_SG_SG_EEES9_SI_JZNS1_25segmented_radix_sort_implINS0_14default_configELb0EPKbPbPKlPlN2at6native12_GLOBAL__N_18offset_tEEE10hipError_tPvRmT1_PNSt15iterator_traitsIS12_E10value_typeET2_T3_PNS13_IS18_E10value_typeET4_jRbjT5_S1E_jjP12ihipStream_tbEUljE_ZNSN_ISO_Lb0ESQ_SR_ST_SU_SY_EESZ_S10_S11_S12_S16_S17_S18_S1B_S1C_jS1D_jS1E_S1E_jjS1G_bEUljE0_EEESZ_S10_S11_S18_S1C_S1E_T6_T7_T9_mT8_S1G_bDpT10_ENKUlT_T0_E_clISt17integral_constantIbLb0EES1U_EEDaS1P_S1Q_EUlS1P_E_NS1_11comp_targetILNS1_3genE2ELNS1_11target_archE906ELNS1_3gpuE6ELNS1_3repE0EEENS1_30default_config_static_selectorELNS0_4arch9wavefront6targetE0EEEvS12_,comdat
.Lfunc_end1575:
	.size	_ZN7rocprim17ROCPRIM_400000_NS6detail17trampoline_kernelINS0_13select_configILj256ELj13ELNS0_17block_load_methodE3ELS4_3ELS4_3ELNS0_20block_scan_algorithmE0ELj4294967295EEENS1_25partition_config_selectorILNS1_17partition_subalgoE4EjNS0_10empty_typeEbEEZZNS1_14partition_implILS8_4ELb0ES6_15HIP_vector_typeIjLj2EENS0_17counting_iteratorIjlEEPS9_SG_NS0_5tupleIJPjSI_NS0_16reverse_iteratorISI_EEEEENSH_IJSG_SG_SG_EEES9_SI_JZNS1_25segmented_radix_sort_implINS0_14default_configELb0EPKbPbPKlPlN2at6native12_GLOBAL__N_18offset_tEEE10hipError_tPvRmT1_PNSt15iterator_traitsIS12_E10value_typeET2_T3_PNS13_IS18_E10value_typeET4_jRbjT5_S1E_jjP12ihipStream_tbEUljE_ZNSN_ISO_Lb0ESQ_SR_ST_SU_SY_EESZ_S10_S11_S12_S16_S17_S18_S1B_S1C_jS1D_jS1E_S1E_jjS1G_bEUljE0_EEESZ_S10_S11_S18_S1C_S1E_T6_T7_T9_mT8_S1G_bDpT10_ENKUlT_T0_E_clISt17integral_constantIbLb0EES1U_EEDaS1P_S1Q_EUlS1P_E_NS1_11comp_targetILNS1_3genE2ELNS1_11target_archE906ELNS1_3gpuE6ELNS1_3repE0EEENS1_30default_config_static_selectorELNS0_4arch9wavefront6targetE0EEEvS12_, .Lfunc_end1575-_ZN7rocprim17ROCPRIM_400000_NS6detail17trampoline_kernelINS0_13select_configILj256ELj13ELNS0_17block_load_methodE3ELS4_3ELS4_3ELNS0_20block_scan_algorithmE0ELj4294967295EEENS1_25partition_config_selectorILNS1_17partition_subalgoE4EjNS0_10empty_typeEbEEZZNS1_14partition_implILS8_4ELb0ES6_15HIP_vector_typeIjLj2EENS0_17counting_iteratorIjlEEPS9_SG_NS0_5tupleIJPjSI_NS0_16reverse_iteratorISI_EEEEENSH_IJSG_SG_SG_EEES9_SI_JZNS1_25segmented_radix_sort_implINS0_14default_configELb0EPKbPbPKlPlN2at6native12_GLOBAL__N_18offset_tEEE10hipError_tPvRmT1_PNSt15iterator_traitsIS12_E10value_typeET2_T3_PNS13_IS18_E10value_typeET4_jRbjT5_S1E_jjP12ihipStream_tbEUljE_ZNSN_ISO_Lb0ESQ_SR_ST_SU_SY_EESZ_S10_S11_S12_S16_S17_S18_S1B_S1C_jS1D_jS1E_S1E_jjS1G_bEUljE0_EEESZ_S10_S11_S18_S1C_S1E_T6_T7_T9_mT8_S1G_bDpT10_ENKUlT_T0_E_clISt17integral_constantIbLb0EES1U_EEDaS1P_S1Q_EUlS1P_E_NS1_11comp_targetILNS1_3genE2ELNS1_11target_archE906ELNS1_3gpuE6ELNS1_3repE0EEENS1_30default_config_static_selectorELNS0_4arch9wavefront6targetE0EEEvS12_
                                        ; -- End function
	.section	.AMDGPU.csdata,"",@progbits
; Kernel info:
; codeLenInByte = 0
; NumSgprs: 0
; NumVgprs: 0
; ScratchSize: 0
; MemoryBound: 0
; FloatMode: 240
; IeeeMode: 1
; LDSByteSize: 0 bytes/workgroup (compile time only)
; SGPRBlocks: 0
; VGPRBlocks: 0
; NumSGPRsForWavesPerEU: 1
; NumVGPRsForWavesPerEU: 1
; Occupancy: 16
; WaveLimiterHint : 0
; COMPUTE_PGM_RSRC2:SCRATCH_EN: 0
; COMPUTE_PGM_RSRC2:USER_SGPR: 15
; COMPUTE_PGM_RSRC2:TRAP_HANDLER: 0
; COMPUTE_PGM_RSRC2:TGID_X_EN: 1
; COMPUTE_PGM_RSRC2:TGID_Y_EN: 0
; COMPUTE_PGM_RSRC2:TGID_Z_EN: 0
; COMPUTE_PGM_RSRC2:TIDIG_COMP_CNT: 0
	.section	.text._ZN7rocprim17ROCPRIM_400000_NS6detail17trampoline_kernelINS0_13select_configILj256ELj13ELNS0_17block_load_methodE3ELS4_3ELS4_3ELNS0_20block_scan_algorithmE0ELj4294967295EEENS1_25partition_config_selectorILNS1_17partition_subalgoE4EjNS0_10empty_typeEbEEZZNS1_14partition_implILS8_4ELb0ES6_15HIP_vector_typeIjLj2EENS0_17counting_iteratorIjlEEPS9_SG_NS0_5tupleIJPjSI_NS0_16reverse_iteratorISI_EEEEENSH_IJSG_SG_SG_EEES9_SI_JZNS1_25segmented_radix_sort_implINS0_14default_configELb0EPKbPbPKlPlN2at6native12_GLOBAL__N_18offset_tEEE10hipError_tPvRmT1_PNSt15iterator_traitsIS12_E10value_typeET2_T3_PNS13_IS18_E10value_typeET4_jRbjT5_S1E_jjP12ihipStream_tbEUljE_ZNSN_ISO_Lb0ESQ_SR_ST_SU_SY_EESZ_S10_S11_S12_S16_S17_S18_S1B_S1C_jS1D_jS1E_S1E_jjS1G_bEUljE0_EEESZ_S10_S11_S18_S1C_S1E_T6_T7_T9_mT8_S1G_bDpT10_ENKUlT_T0_E_clISt17integral_constantIbLb0EES1U_EEDaS1P_S1Q_EUlS1P_E_NS1_11comp_targetILNS1_3genE10ELNS1_11target_archE1200ELNS1_3gpuE4ELNS1_3repE0EEENS1_30default_config_static_selectorELNS0_4arch9wavefront6targetE0EEEvS12_,"axG",@progbits,_ZN7rocprim17ROCPRIM_400000_NS6detail17trampoline_kernelINS0_13select_configILj256ELj13ELNS0_17block_load_methodE3ELS4_3ELS4_3ELNS0_20block_scan_algorithmE0ELj4294967295EEENS1_25partition_config_selectorILNS1_17partition_subalgoE4EjNS0_10empty_typeEbEEZZNS1_14partition_implILS8_4ELb0ES6_15HIP_vector_typeIjLj2EENS0_17counting_iteratorIjlEEPS9_SG_NS0_5tupleIJPjSI_NS0_16reverse_iteratorISI_EEEEENSH_IJSG_SG_SG_EEES9_SI_JZNS1_25segmented_radix_sort_implINS0_14default_configELb0EPKbPbPKlPlN2at6native12_GLOBAL__N_18offset_tEEE10hipError_tPvRmT1_PNSt15iterator_traitsIS12_E10value_typeET2_T3_PNS13_IS18_E10value_typeET4_jRbjT5_S1E_jjP12ihipStream_tbEUljE_ZNSN_ISO_Lb0ESQ_SR_ST_SU_SY_EESZ_S10_S11_S12_S16_S17_S18_S1B_S1C_jS1D_jS1E_S1E_jjS1G_bEUljE0_EEESZ_S10_S11_S18_S1C_S1E_T6_T7_T9_mT8_S1G_bDpT10_ENKUlT_T0_E_clISt17integral_constantIbLb0EES1U_EEDaS1P_S1Q_EUlS1P_E_NS1_11comp_targetILNS1_3genE10ELNS1_11target_archE1200ELNS1_3gpuE4ELNS1_3repE0EEENS1_30default_config_static_selectorELNS0_4arch9wavefront6targetE0EEEvS12_,comdat
	.globl	_ZN7rocprim17ROCPRIM_400000_NS6detail17trampoline_kernelINS0_13select_configILj256ELj13ELNS0_17block_load_methodE3ELS4_3ELS4_3ELNS0_20block_scan_algorithmE0ELj4294967295EEENS1_25partition_config_selectorILNS1_17partition_subalgoE4EjNS0_10empty_typeEbEEZZNS1_14partition_implILS8_4ELb0ES6_15HIP_vector_typeIjLj2EENS0_17counting_iteratorIjlEEPS9_SG_NS0_5tupleIJPjSI_NS0_16reverse_iteratorISI_EEEEENSH_IJSG_SG_SG_EEES9_SI_JZNS1_25segmented_radix_sort_implINS0_14default_configELb0EPKbPbPKlPlN2at6native12_GLOBAL__N_18offset_tEEE10hipError_tPvRmT1_PNSt15iterator_traitsIS12_E10value_typeET2_T3_PNS13_IS18_E10value_typeET4_jRbjT5_S1E_jjP12ihipStream_tbEUljE_ZNSN_ISO_Lb0ESQ_SR_ST_SU_SY_EESZ_S10_S11_S12_S16_S17_S18_S1B_S1C_jS1D_jS1E_S1E_jjS1G_bEUljE0_EEESZ_S10_S11_S18_S1C_S1E_T6_T7_T9_mT8_S1G_bDpT10_ENKUlT_T0_E_clISt17integral_constantIbLb0EES1U_EEDaS1P_S1Q_EUlS1P_E_NS1_11comp_targetILNS1_3genE10ELNS1_11target_archE1200ELNS1_3gpuE4ELNS1_3repE0EEENS1_30default_config_static_selectorELNS0_4arch9wavefront6targetE0EEEvS12_ ; -- Begin function _ZN7rocprim17ROCPRIM_400000_NS6detail17trampoline_kernelINS0_13select_configILj256ELj13ELNS0_17block_load_methodE3ELS4_3ELS4_3ELNS0_20block_scan_algorithmE0ELj4294967295EEENS1_25partition_config_selectorILNS1_17partition_subalgoE4EjNS0_10empty_typeEbEEZZNS1_14partition_implILS8_4ELb0ES6_15HIP_vector_typeIjLj2EENS0_17counting_iteratorIjlEEPS9_SG_NS0_5tupleIJPjSI_NS0_16reverse_iteratorISI_EEEEENSH_IJSG_SG_SG_EEES9_SI_JZNS1_25segmented_radix_sort_implINS0_14default_configELb0EPKbPbPKlPlN2at6native12_GLOBAL__N_18offset_tEEE10hipError_tPvRmT1_PNSt15iterator_traitsIS12_E10value_typeET2_T3_PNS13_IS18_E10value_typeET4_jRbjT5_S1E_jjP12ihipStream_tbEUljE_ZNSN_ISO_Lb0ESQ_SR_ST_SU_SY_EESZ_S10_S11_S12_S16_S17_S18_S1B_S1C_jS1D_jS1E_S1E_jjS1G_bEUljE0_EEESZ_S10_S11_S18_S1C_S1E_T6_T7_T9_mT8_S1G_bDpT10_ENKUlT_T0_E_clISt17integral_constantIbLb0EES1U_EEDaS1P_S1Q_EUlS1P_E_NS1_11comp_targetILNS1_3genE10ELNS1_11target_archE1200ELNS1_3gpuE4ELNS1_3repE0EEENS1_30default_config_static_selectorELNS0_4arch9wavefront6targetE0EEEvS12_
	.p2align	8
	.type	_ZN7rocprim17ROCPRIM_400000_NS6detail17trampoline_kernelINS0_13select_configILj256ELj13ELNS0_17block_load_methodE3ELS4_3ELS4_3ELNS0_20block_scan_algorithmE0ELj4294967295EEENS1_25partition_config_selectorILNS1_17partition_subalgoE4EjNS0_10empty_typeEbEEZZNS1_14partition_implILS8_4ELb0ES6_15HIP_vector_typeIjLj2EENS0_17counting_iteratorIjlEEPS9_SG_NS0_5tupleIJPjSI_NS0_16reverse_iteratorISI_EEEEENSH_IJSG_SG_SG_EEES9_SI_JZNS1_25segmented_radix_sort_implINS0_14default_configELb0EPKbPbPKlPlN2at6native12_GLOBAL__N_18offset_tEEE10hipError_tPvRmT1_PNSt15iterator_traitsIS12_E10value_typeET2_T3_PNS13_IS18_E10value_typeET4_jRbjT5_S1E_jjP12ihipStream_tbEUljE_ZNSN_ISO_Lb0ESQ_SR_ST_SU_SY_EESZ_S10_S11_S12_S16_S17_S18_S1B_S1C_jS1D_jS1E_S1E_jjS1G_bEUljE0_EEESZ_S10_S11_S18_S1C_S1E_T6_T7_T9_mT8_S1G_bDpT10_ENKUlT_T0_E_clISt17integral_constantIbLb0EES1U_EEDaS1P_S1Q_EUlS1P_E_NS1_11comp_targetILNS1_3genE10ELNS1_11target_archE1200ELNS1_3gpuE4ELNS1_3repE0EEENS1_30default_config_static_selectorELNS0_4arch9wavefront6targetE0EEEvS12_,@function
_ZN7rocprim17ROCPRIM_400000_NS6detail17trampoline_kernelINS0_13select_configILj256ELj13ELNS0_17block_load_methodE3ELS4_3ELS4_3ELNS0_20block_scan_algorithmE0ELj4294967295EEENS1_25partition_config_selectorILNS1_17partition_subalgoE4EjNS0_10empty_typeEbEEZZNS1_14partition_implILS8_4ELb0ES6_15HIP_vector_typeIjLj2EENS0_17counting_iteratorIjlEEPS9_SG_NS0_5tupleIJPjSI_NS0_16reverse_iteratorISI_EEEEENSH_IJSG_SG_SG_EEES9_SI_JZNS1_25segmented_radix_sort_implINS0_14default_configELb0EPKbPbPKlPlN2at6native12_GLOBAL__N_18offset_tEEE10hipError_tPvRmT1_PNSt15iterator_traitsIS12_E10value_typeET2_T3_PNS13_IS18_E10value_typeET4_jRbjT5_S1E_jjP12ihipStream_tbEUljE_ZNSN_ISO_Lb0ESQ_SR_ST_SU_SY_EESZ_S10_S11_S12_S16_S17_S18_S1B_S1C_jS1D_jS1E_S1E_jjS1G_bEUljE0_EEESZ_S10_S11_S18_S1C_S1E_T6_T7_T9_mT8_S1G_bDpT10_ENKUlT_T0_E_clISt17integral_constantIbLb0EES1U_EEDaS1P_S1Q_EUlS1P_E_NS1_11comp_targetILNS1_3genE10ELNS1_11target_archE1200ELNS1_3gpuE4ELNS1_3repE0EEENS1_30default_config_static_selectorELNS0_4arch9wavefront6targetE0EEEvS12_: ; @_ZN7rocprim17ROCPRIM_400000_NS6detail17trampoline_kernelINS0_13select_configILj256ELj13ELNS0_17block_load_methodE3ELS4_3ELS4_3ELNS0_20block_scan_algorithmE0ELj4294967295EEENS1_25partition_config_selectorILNS1_17partition_subalgoE4EjNS0_10empty_typeEbEEZZNS1_14partition_implILS8_4ELb0ES6_15HIP_vector_typeIjLj2EENS0_17counting_iteratorIjlEEPS9_SG_NS0_5tupleIJPjSI_NS0_16reverse_iteratorISI_EEEEENSH_IJSG_SG_SG_EEES9_SI_JZNS1_25segmented_radix_sort_implINS0_14default_configELb0EPKbPbPKlPlN2at6native12_GLOBAL__N_18offset_tEEE10hipError_tPvRmT1_PNSt15iterator_traitsIS12_E10value_typeET2_T3_PNS13_IS18_E10value_typeET4_jRbjT5_S1E_jjP12ihipStream_tbEUljE_ZNSN_ISO_Lb0ESQ_SR_ST_SU_SY_EESZ_S10_S11_S12_S16_S17_S18_S1B_S1C_jS1D_jS1E_S1E_jjS1G_bEUljE0_EEESZ_S10_S11_S18_S1C_S1E_T6_T7_T9_mT8_S1G_bDpT10_ENKUlT_T0_E_clISt17integral_constantIbLb0EES1U_EEDaS1P_S1Q_EUlS1P_E_NS1_11comp_targetILNS1_3genE10ELNS1_11target_archE1200ELNS1_3gpuE4ELNS1_3repE0EEENS1_30default_config_static_selectorELNS0_4arch9wavefront6targetE0EEEvS12_
; %bb.0:
	.section	.rodata,"a",@progbits
	.p2align	6, 0x0
	.amdhsa_kernel _ZN7rocprim17ROCPRIM_400000_NS6detail17trampoline_kernelINS0_13select_configILj256ELj13ELNS0_17block_load_methodE3ELS4_3ELS4_3ELNS0_20block_scan_algorithmE0ELj4294967295EEENS1_25partition_config_selectorILNS1_17partition_subalgoE4EjNS0_10empty_typeEbEEZZNS1_14partition_implILS8_4ELb0ES6_15HIP_vector_typeIjLj2EENS0_17counting_iteratorIjlEEPS9_SG_NS0_5tupleIJPjSI_NS0_16reverse_iteratorISI_EEEEENSH_IJSG_SG_SG_EEES9_SI_JZNS1_25segmented_radix_sort_implINS0_14default_configELb0EPKbPbPKlPlN2at6native12_GLOBAL__N_18offset_tEEE10hipError_tPvRmT1_PNSt15iterator_traitsIS12_E10value_typeET2_T3_PNS13_IS18_E10value_typeET4_jRbjT5_S1E_jjP12ihipStream_tbEUljE_ZNSN_ISO_Lb0ESQ_SR_ST_SU_SY_EESZ_S10_S11_S12_S16_S17_S18_S1B_S1C_jS1D_jS1E_S1E_jjS1G_bEUljE0_EEESZ_S10_S11_S18_S1C_S1E_T6_T7_T9_mT8_S1G_bDpT10_ENKUlT_T0_E_clISt17integral_constantIbLb0EES1U_EEDaS1P_S1Q_EUlS1P_E_NS1_11comp_targetILNS1_3genE10ELNS1_11target_archE1200ELNS1_3gpuE4ELNS1_3repE0EEENS1_30default_config_static_selectorELNS0_4arch9wavefront6targetE0EEEvS12_
		.amdhsa_group_segment_fixed_size 0
		.amdhsa_private_segment_fixed_size 0
		.amdhsa_kernarg_size 176
		.amdhsa_user_sgpr_count 15
		.amdhsa_user_sgpr_dispatch_ptr 0
		.amdhsa_user_sgpr_queue_ptr 0
		.amdhsa_user_sgpr_kernarg_segment_ptr 1
		.amdhsa_user_sgpr_dispatch_id 0
		.amdhsa_user_sgpr_private_segment_size 0
		.amdhsa_wavefront_size32 1
		.amdhsa_uses_dynamic_stack 0
		.amdhsa_enable_private_segment 0
		.amdhsa_system_sgpr_workgroup_id_x 1
		.amdhsa_system_sgpr_workgroup_id_y 0
		.amdhsa_system_sgpr_workgroup_id_z 0
		.amdhsa_system_sgpr_workgroup_info 0
		.amdhsa_system_vgpr_workitem_id 0
		.amdhsa_next_free_vgpr 1
		.amdhsa_next_free_sgpr 1
		.amdhsa_reserve_vcc 0
		.amdhsa_float_round_mode_32 0
		.amdhsa_float_round_mode_16_64 0
		.amdhsa_float_denorm_mode_32 3
		.amdhsa_float_denorm_mode_16_64 3
		.amdhsa_dx10_clamp 1
		.amdhsa_ieee_mode 1
		.amdhsa_fp16_overflow 0
		.amdhsa_workgroup_processor_mode 1
		.amdhsa_memory_ordered 1
		.amdhsa_forward_progress 0
		.amdhsa_shared_vgpr_count 0
		.amdhsa_exception_fp_ieee_invalid_op 0
		.amdhsa_exception_fp_denorm_src 0
		.amdhsa_exception_fp_ieee_div_zero 0
		.amdhsa_exception_fp_ieee_overflow 0
		.amdhsa_exception_fp_ieee_underflow 0
		.amdhsa_exception_fp_ieee_inexact 0
		.amdhsa_exception_int_div_zero 0
	.end_amdhsa_kernel
	.section	.text._ZN7rocprim17ROCPRIM_400000_NS6detail17trampoline_kernelINS0_13select_configILj256ELj13ELNS0_17block_load_methodE3ELS4_3ELS4_3ELNS0_20block_scan_algorithmE0ELj4294967295EEENS1_25partition_config_selectorILNS1_17partition_subalgoE4EjNS0_10empty_typeEbEEZZNS1_14partition_implILS8_4ELb0ES6_15HIP_vector_typeIjLj2EENS0_17counting_iteratorIjlEEPS9_SG_NS0_5tupleIJPjSI_NS0_16reverse_iteratorISI_EEEEENSH_IJSG_SG_SG_EEES9_SI_JZNS1_25segmented_radix_sort_implINS0_14default_configELb0EPKbPbPKlPlN2at6native12_GLOBAL__N_18offset_tEEE10hipError_tPvRmT1_PNSt15iterator_traitsIS12_E10value_typeET2_T3_PNS13_IS18_E10value_typeET4_jRbjT5_S1E_jjP12ihipStream_tbEUljE_ZNSN_ISO_Lb0ESQ_SR_ST_SU_SY_EESZ_S10_S11_S12_S16_S17_S18_S1B_S1C_jS1D_jS1E_S1E_jjS1G_bEUljE0_EEESZ_S10_S11_S18_S1C_S1E_T6_T7_T9_mT8_S1G_bDpT10_ENKUlT_T0_E_clISt17integral_constantIbLb0EES1U_EEDaS1P_S1Q_EUlS1P_E_NS1_11comp_targetILNS1_3genE10ELNS1_11target_archE1200ELNS1_3gpuE4ELNS1_3repE0EEENS1_30default_config_static_selectorELNS0_4arch9wavefront6targetE0EEEvS12_,"axG",@progbits,_ZN7rocprim17ROCPRIM_400000_NS6detail17trampoline_kernelINS0_13select_configILj256ELj13ELNS0_17block_load_methodE3ELS4_3ELS4_3ELNS0_20block_scan_algorithmE0ELj4294967295EEENS1_25partition_config_selectorILNS1_17partition_subalgoE4EjNS0_10empty_typeEbEEZZNS1_14partition_implILS8_4ELb0ES6_15HIP_vector_typeIjLj2EENS0_17counting_iteratorIjlEEPS9_SG_NS0_5tupleIJPjSI_NS0_16reverse_iteratorISI_EEEEENSH_IJSG_SG_SG_EEES9_SI_JZNS1_25segmented_radix_sort_implINS0_14default_configELb0EPKbPbPKlPlN2at6native12_GLOBAL__N_18offset_tEEE10hipError_tPvRmT1_PNSt15iterator_traitsIS12_E10value_typeET2_T3_PNS13_IS18_E10value_typeET4_jRbjT5_S1E_jjP12ihipStream_tbEUljE_ZNSN_ISO_Lb0ESQ_SR_ST_SU_SY_EESZ_S10_S11_S12_S16_S17_S18_S1B_S1C_jS1D_jS1E_S1E_jjS1G_bEUljE0_EEESZ_S10_S11_S18_S1C_S1E_T6_T7_T9_mT8_S1G_bDpT10_ENKUlT_T0_E_clISt17integral_constantIbLb0EES1U_EEDaS1P_S1Q_EUlS1P_E_NS1_11comp_targetILNS1_3genE10ELNS1_11target_archE1200ELNS1_3gpuE4ELNS1_3repE0EEENS1_30default_config_static_selectorELNS0_4arch9wavefront6targetE0EEEvS12_,comdat
.Lfunc_end1576:
	.size	_ZN7rocprim17ROCPRIM_400000_NS6detail17trampoline_kernelINS0_13select_configILj256ELj13ELNS0_17block_load_methodE3ELS4_3ELS4_3ELNS0_20block_scan_algorithmE0ELj4294967295EEENS1_25partition_config_selectorILNS1_17partition_subalgoE4EjNS0_10empty_typeEbEEZZNS1_14partition_implILS8_4ELb0ES6_15HIP_vector_typeIjLj2EENS0_17counting_iteratorIjlEEPS9_SG_NS0_5tupleIJPjSI_NS0_16reverse_iteratorISI_EEEEENSH_IJSG_SG_SG_EEES9_SI_JZNS1_25segmented_radix_sort_implINS0_14default_configELb0EPKbPbPKlPlN2at6native12_GLOBAL__N_18offset_tEEE10hipError_tPvRmT1_PNSt15iterator_traitsIS12_E10value_typeET2_T3_PNS13_IS18_E10value_typeET4_jRbjT5_S1E_jjP12ihipStream_tbEUljE_ZNSN_ISO_Lb0ESQ_SR_ST_SU_SY_EESZ_S10_S11_S12_S16_S17_S18_S1B_S1C_jS1D_jS1E_S1E_jjS1G_bEUljE0_EEESZ_S10_S11_S18_S1C_S1E_T6_T7_T9_mT8_S1G_bDpT10_ENKUlT_T0_E_clISt17integral_constantIbLb0EES1U_EEDaS1P_S1Q_EUlS1P_E_NS1_11comp_targetILNS1_3genE10ELNS1_11target_archE1200ELNS1_3gpuE4ELNS1_3repE0EEENS1_30default_config_static_selectorELNS0_4arch9wavefront6targetE0EEEvS12_, .Lfunc_end1576-_ZN7rocprim17ROCPRIM_400000_NS6detail17trampoline_kernelINS0_13select_configILj256ELj13ELNS0_17block_load_methodE3ELS4_3ELS4_3ELNS0_20block_scan_algorithmE0ELj4294967295EEENS1_25partition_config_selectorILNS1_17partition_subalgoE4EjNS0_10empty_typeEbEEZZNS1_14partition_implILS8_4ELb0ES6_15HIP_vector_typeIjLj2EENS0_17counting_iteratorIjlEEPS9_SG_NS0_5tupleIJPjSI_NS0_16reverse_iteratorISI_EEEEENSH_IJSG_SG_SG_EEES9_SI_JZNS1_25segmented_radix_sort_implINS0_14default_configELb0EPKbPbPKlPlN2at6native12_GLOBAL__N_18offset_tEEE10hipError_tPvRmT1_PNSt15iterator_traitsIS12_E10value_typeET2_T3_PNS13_IS18_E10value_typeET4_jRbjT5_S1E_jjP12ihipStream_tbEUljE_ZNSN_ISO_Lb0ESQ_SR_ST_SU_SY_EESZ_S10_S11_S12_S16_S17_S18_S1B_S1C_jS1D_jS1E_S1E_jjS1G_bEUljE0_EEESZ_S10_S11_S18_S1C_S1E_T6_T7_T9_mT8_S1G_bDpT10_ENKUlT_T0_E_clISt17integral_constantIbLb0EES1U_EEDaS1P_S1Q_EUlS1P_E_NS1_11comp_targetILNS1_3genE10ELNS1_11target_archE1200ELNS1_3gpuE4ELNS1_3repE0EEENS1_30default_config_static_selectorELNS0_4arch9wavefront6targetE0EEEvS12_
                                        ; -- End function
	.section	.AMDGPU.csdata,"",@progbits
; Kernel info:
; codeLenInByte = 0
; NumSgprs: 0
; NumVgprs: 0
; ScratchSize: 0
; MemoryBound: 0
; FloatMode: 240
; IeeeMode: 1
; LDSByteSize: 0 bytes/workgroup (compile time only)
; SGPRBlocks: 0
; VGPRBlocks: 0
; NumSGPRsForWavesPerEU: 1
; NumVGPRsForWavesPerEU: 1
; Occupancy: 16
; WaveLimiterHint : 0
; COMPUTE_PGM_RSRC2:SCRATCH_EN: 0
; COMPUTE_PGM_RSRC2:USER_SGPR: 15
; COMPUTE_PGM_RSRC2:TRAP_HANDLER: 0
; COMPUTE_PGM_RSRC2:TGID_X_EN: 1
; COMPUTE_PGM_RSRC2:TGID_Y_EN: 0
; COMPUTE_PGM_RSRC2:TGID_Z_EN: 0
; COMPUTE_PGM_RSRC2:TIDIG_COMP_CNT: 0
	.section	.text._ZN7rocprim17ROCPRIM_400000_NS6detail17trampoline_kernelINS0_13select_configILj256ELj13ELNS0_17block_load_methodE3ELS4_3ELS4_3ELNS0_20block_scan_algorithmE0ELj4294967295EEENS1_25partition_config_selectorILNS1_17partition_subalgoE4EjNS0_10empty_typeEbEEZZNS1_14partition_implILS8_4ELb0ES6_15HIP_vector_typeIjLj2EENS0_17counting_iteratorIjlEEPS9_SG_NS0_5tupleIJPjSI_NS0_16reverse_iteratorISI_EEEEENSH_IJSG_SG_SG_EEES9_SI_JZNS1_25segmented_radix_sort_implINS0_14default_configELb0EPKbPbPKlPlN2at6native12_GLOBAL__N_18offset_tEEE10hipError_tPvRmT1_PNSt15iterator_traitsIS12_E10value_typeET2_T3_PNS13_IS18_E10value_typeET4_jRbjT5_S1E_jjP12ihipStream_tbEUljE_ZNSN_ISO_Lb0ESQ_SR_ST_SU_SY_EESZ_S10_S11_S12_S16_S17_S18_S1B_S1C_jS1D_jS1E_S1E_jjS1G_bEUljE0_EEESZ_S10_S11_S18_S1C_S1E_T6_T7_T9_mT8_S1G_bDpT10_ENKUlT_T0_E_clISt17integral_constantIbLb0EES1U_EEDaS1P_S1Q_EUlS1P_E_NS1_11comp_targetILNS1_3genE9ELNS1_11target_archE1100ELNS1_3gpuE3ELNS1_3repE0EEENS1_30default_config_static_selectorELNS0_4arch9wavefront6targetE0EEEvS12_,"axG",@progbits,_ZN7rocprim17ROCPRIM_400000_NS6detail17trampoline_kernelINS0_13select_configILj256ELj13ELNS0_17block_load_methodE3ELS4_3ELS4_3ELNS0_20block_scan_algorithmE0ELj4294967295EEENS1_25partition_config_selectorILNS1_17partition_subalgoE4EjNS0_10empty_typeEbEEZZNS1_14partition_implILS8_4ELb0ES6_15HIP_vector_typeIjLj2EENS0_17counting_iteratorIjlEEPS9_SG_NS0_5tupleIJPjSI_NS0_16reverse_iteratorISI_EEEEENSH_IJSG_SG_SG_EEES9_SI_JZNS1_25segmented_radix_sort_implINS0_14default_configELb0EPKbPbPKlPlN2at6native12_GLOBAL__N_18offset_tEEE10hipError_tPvRmT1_PNSt15iterator_traitsIS12_E10value_typeET2_T3_PNS13_IS18_E10value_typeET4_jRbjT5_S1E_jjP12ihipStream_tbEUljE_ZNSN_ISO_Lb0ESQ_SR_ST_SU_SY_EESZ_S10_S11_S12_S16_S17_S18_S1B_S1C_jS1D_jS1E_S1E_jjS1G_bEUljE0_EEESZ_S10_S11_S18_S1C_S1E_T6_T7_T9_mT8_S1G_bDpT10_ENKUlT_T0_E_clISt17integral_constantIbLb0EES1U_EEDaS1P_S1Q_EUlS1P_E_NS1_11comp_targetILNS1_3genE9ELNS1_11target_archE1100ELNS1_3gpuE3ELNS1_3repE0EEENS1_30default_config_static_selectorELNS0_4arch9wavefront6targetE0EEEvS12_,comdat
	.globl	_ZN7rocprim17ROCPRIM_400000_NS6detail17trampoline_kernelINS0_13select_configILj256ELj13ELNS0_17block_load_methodE3ELS4_3ELS4_3ELNS0_20block_scan_algorithmE0ELj4294967295EEENS1_25partition_config_selectorILNS1_17partition_subalgoE4EjNS0_10empty_typeEbEEZZNS1_14partition_implILS8_4ELb0ES6_15HIP_vector_typeIjLj2EENS0_17counting_iteratorIjlEEPS9_SG_NS0_5tupleIJPjSI_NS0_16reverse_iteratorISI_EEEEENSH_IJSG_SG_SG_EEES9_SI_JZNS1_25segmented_radix_sort_implINS0_14default_configELb0EPKbPbPKlPlN2at6native12_GLOBAL__N_18offset_tEEE10hipError_tPvRmT1_PNSt15iterator_traitsIS12_E10value_typeET2_T3_PNS13_IS18_E10value_typeET4_jRbjT5_S1E_jjP12ihipStream_tbEUljE_ZNSN_ISO_Lb0ESQ_SR_ST_SU_SY_EESZ_S10_S11_S12_S16_S17_S18_S1B_S1C_jS1D_jS1E_S1E_jjS1G_bEUljE0_EEESZ_S10_S11_S18_S1C_S1E_T6_T7_T9_mT8_S1G_bDpT10_ENKUlT_T0_E_clISt17integral_constantIbLb0EES1U_EEDaS1P_S1Q_EUlS1P_E_NS1_11comp_targetILNS1_3genE9ELNS1_11target_archE1100ELNS1_3gpuE3ELNS1_3repE0EEENS1_30default_config_static_selectorELNS0_4arch9wavefront6targetE0EEEvS12_ ; -- Begin function _ZN7rocprim17ROCPRIM_400000_NS6detail17trampoline_kernelINS0_13select_configILj256ELj13ELNS0_17block_load_methodE3ELS4_3ELS4_3ELNS0_20block_scan_algorithmE0ELj4294967295EEENS1_25partition_config_selectorILNS1_17partition_subalgoE4EjNS0_10empty_typeEbEEZZNS1_14partition_implILS8_4ELb0ES6_15HIP_vector_typeIjLj2EENS0_17counting_iteratorIjlEEPS9_SG_NS0_5tupleIJPjSI_NS0_16reverse_iteratorISI_EEEEENSH_IJSG_SG_SG_EEES9_SI_JZNS1_25segmented_radix_sort_implINS0_14default_configELb0EPKbPbPKlPlN2at6native12_GLOBAL__N_18offset_tEEE10hipError_tPvRmT1_PNSt15iterator_traitsIS12_E10value_typeET2_T3_PNS13_IS18_E10value_typeET4_jRbjT5_S1E_jjP12ihipStream_tbEUljE_ZNSN_ISO_Lb0ESQ_SR_ST_SU_SY_EESZ_S10_S11_S12_S16_S17_S18_S1B_S1C_jS1D_jS1E_S1E_jjS1G_bEUljE0_EEESZ_S10_S11_S18_S1C_S1E_T6_T7_T9_mT8_S1G_bDpT10_ENKUlT_T0_E_clISt17integral_constantIbLb0EES1U_EEDaS1P_S1Q_EUlS1P_E_NS1_11comp_targetILNS1_3genE9ELNS1_11target_archE1100ELNS1_3gpuE3ELNS1_3repE0EEENS1_30default_config_static_selectorELNS0_4arch9wavefront6targetE0EEEvS12_
	.p2align	8
	.type	_ZN7rocprim17ROCPRIM_400000_NS6detail17trampoline_kernelINS0_13select_configILj256ELj13ELNS0_17block_load_methodE3ELS4_3ELS4_3ELNS0_20block_scan_algorithmE0ELj4294967295EEENS1_25partition_config_selectorILNS1_17partition_subalgoE4EjNS0_10empty_typeEbEEZZNS1_14partition_implILS8_4ELb0ES6_15HIP_vector_typeIjLj2EENS0_17counting_iteratorIjlEEPS9_SG_NS0_5tupleIJPjSI_NS0_16reverse_iteratorISI_EEEEENSH_IJSG_SG_SG_EEES9_SI_JZNS1_25segmented_radix_sort_implINS0_14default_configELb0EPKbPbPKlPlN2at6native12_GLOBAL__N_18offset_tEEE10hipError_tPvRmT1_PNSt15iterator_traitsIS12_E10value_typeET2_T3_PNS13_IS18_E10value_typeET4_jRbjT5_S1E_jjP12ihipStream_tbEUljE_ZNSN_ISO_Lb0ESQ_SR_ST_SU_SY_EESZ_S10_S11_S12_S16_S17_S18_S1B_S1C_jS1D_jS1E_S1E_jjS1G_bEUljE0_EEESZ_S10_S11_S18_S1C_S1E_T6_T7_T9_mT8_S1G_bDpT10_ENKUlT_T0_E_clISt17integral_constantIbLb0EES1U_EEDaS1P_S1Q_EUlS1P_E_NS1_11comp_targetILNS1_3genE9ELNS1_11target_archE1100ELNS1_3gpuE3ELNS1_3repE0EEENS1_30default_config_static_selectorELNS0_4arch9wavefront6targetE0EEEvS12_,@function
_ZN7rocprim17ROCPRIM_400000_NS6detail17trampoline_kernelINS0_13select_configILj256ELj13ELNS0_17block_load_methodE3ELS4_3ELS4_3ELNS0_20block_scan_algorithmE0ELj4294967295EEENS1_25partition_config_selectorILNS1_17partition_subalgoE4EjNS0_10empty_typeEbEEZZNS1_14partition_implILS8_4ELb0ES6_15HIP_vector_typeIjLj2EENS0_17counting_iteratorIjlEEPS9_SG_NS0_5tupleIJPjSI_NS0_16reverse_iteratorISI_EEEEENSH_IJSG_SG_SG_EEES9_SI_JZNS1_25segmented_radix_sort_implINS0_14default_configELb0EPKbPbPKlPlN2at6native12_GLOBAL__N_18offset_tEEE10hipError_tPvRmT1_PNSt15iterator_traitsIS12_E10value_typeET2_T3_PNS13_IS18_E10value_typeET4_jRbjT5_S1E_jjP12ihipStream_tbEUljE_ZNSN_ISO_Lb0ESQ_SR_ST_SU_SY_EESZ_S10_S11_S12_S16_S17_S18_S1B_S1C_jS1D_jS1E_S1E_jjS1G_bEUljE0_EEESZ_S10_S11_S18_S1C_S1E_T6_T7_T9_mT8_S1G_bDpT10_ENKUlT_T0_E_clISt17integral_constantIbLb0EES1U_EEDaS1P_S1Q_EUlS1P_E_NS1_11comp_targetILNS1_3genE9ELNS1_11target_archE1100ELNS1_3gpuE3ELNS1_3repE0EEENS1_30default_config_static_selectorELNS0_4arch9wavefront6targetE0EEEvS12_: ; @_ZN7rocprim17ROCPRIM_400000_NS6detail17trampoline_kernelINS0_13select_configILj256ELj13ELNS0_17block_load_methodE3ELS4_3ELS4_3ELNS0_20block_scan_algorithmE0ELj4294967295EEENS1_25partition_config_selectorILNS1_17partition_subalgoE4EjNS0_10empty_typeEbEEZZNS1_14partition_implILS8_4ELb0ES6_15HIP_vector_typeIjLj2EENS0_17counting_iteratorIjlEEPS9_SG_NS0_5tupleIJPjSI_NS0_16reverse_iteratorISI_EEEEENSH_IJSG_SG_SG_EEES9_SI_JZNS1_25segmented_radix_sort_implINS0_14default_configELb0EPKbPbPKlPlN2at6native12_GLOBAL__N_18offset_tEEE10hipError_tPvRmT1_PNSt15iterator_traitsIS12_E10value_typeET2_T3_PNS13_IS18_E10value_typeET4_jRbjT5_S1E_jjP12ihipStream_tbEUljE_ZNSN_ISO_Lb0ESQ_SR_ST_SU_SY_EESZ_S10_S11_S12_S16_S17_S18_S1B_S1C_jS1D_jS1E_S1E_jjS1G_bEUljE0_EEESZ_S10_S11_S18_S1C_S1E_T6_T7_T9_mT8_S1G_bDpT10_ENKUlT_T0_E_clISt17integral_constantIbLb0EES1U_EEDaS1P_S1Q_EUlS1P_E_NS1_11comp_targetILNS1_3genE9ELNS1_11target_archE1100ELNS1_3gpuE3ELNS1_3repE0EEENS1_30default_config_static_selectorELNS0_4arch9wavefront6targetE0EEEvS12_
; %bb.0:
	s_clause 0x6
	s_load_b32 s5, s[0:1], 0x80
	s_load_b64 s[34:35], s[0:1], 0x10
	s_load_b64 s[2:3], s[0:1], 0x68
	s_load_b32 s8, s[0:1], 0x8
	s_load_b128 s[24:27], s[0:1], 0x58
	s_load_b64 s[40:41], s[0:1], 0xa8
	s_load_b256 s[16:23], s[0:1], 0x88
	s_mul_i32 s33, s15, 0xd00
	s_waitcnt lgkmcnt(0)
	s_mul_i32 s4, s5, 0xd00
	s_add_i32 s5, s5, -1
	s_add_u32 s6, s34, s4
	s_addc_u32 s7, s35, 0
	s_load_b128 s[28:31], s[26:27], 0x0
	s_cmp_eq_u32 s15, s5
	v_cmp_lt_u64_e64 s3, s[6:7], s[2:3]
	s_cselect_b32 s14, -1, 0
	s_cmp_lg_u32 s15, s5
	s_cselect_b32 s5, -1, 0
	s_add_i32 s6, s8, s33
	s_delay_alu instid0(VALU_DEP_1) | instskip(SKIP_4) | instid1(VALU_DEP_1)
	s_or_b32 s3, s5, s3
	s_add_i32 s6, s6, s34
	s_and_b32 vcc_lo, exec_lo, s3
	v_add_nc_u32_e32 v1, s6, v0
	s_mov_b32 s5, -1
	v_add_nc_u32_e32 v2, 0x100, v1
	v_add_nc_u32_e32 v3, 0x200, v1
	;; [unrolled: 1-line block ×12, first 2 shown]
	s_cbranch_vccz .LBB1577_2
; %bb.1:
	v_lshlrev_b32_e32 v14, 2, v0
	s_mov_b32 s5, 0
	ds_store_2addr_stride64_b32 v14, v1, v2 offset1:4
	ds_store_2addr_stride64_b32 v14, v3, v4 offset0:8 offset1:12
	ds_store_2addr_stride64_b32 v14, v5, v6 offset0:16 offset1:20
	;; [unrolled: 1-line block ×5, first 2 shown]
	ds_store_b32 v14, v13 offset:12288
	s_waitcnt lgkmcnt(0)
	s_barrier
.LBB1577_2:
	s_and_not1_b32 vcc_lo, exec_lo, s5
	s_add_i32 s4, s4, s34
	s_cbranch_vccnz .LBB1577_4
; %bb.3:
	v_lshlrev_b32_e32 v14, 2, v0
	ds_store_2addr_stride64_b32 v14, v1, v2 offset1:4
	ds_store_2addr_stride64_b32 v14, v3, v4 offset0:8 offset1:12
	ds_store_2addr_stride64_b32 v14, v5, v6 offset0:16 offset1:20
	;; [unrolled: 1-line block ×5, first 2 shown]
	ds_store_b32 v14, v13 offset:12288
	s_waitcnt lgkmcnt(0)
	s_barrier
.LBB1577_4:
	v_mul_u32_u24_e32 v28, 13, v0
	s_clause 0x1
	s_load_b128 s[36:39], s[0:1], 0x28
	s_load_b64 s[26:27], s[0:1], 0x38
	s_waitcnt lgkmcnt(0)
	buffer_gl0_inv
	v_cndmask_b32_e64 v26, 0, 1, s3
	s_sub_i32 s44, s2, s4
	v_lshlrev_b32_e32 v1, 2, v28
	s_and_not1_b32 vcc_lo, exec_lo, s3
	ds_load_2addr_b32 v[16:17], v1 offset1:1
	ds_load_2addr_b32 v[14:15], v1 offset0:2 offset1:3
	ds_load_2addr_b32 v[12:13], v1 offset0:4 offset1:5
	;; [unrolled: 1-line block ×5, first 2 shown]
	ds_load_b32 v27, v1 offset:48
	s_waitcnt lgkmcnt(0)
	s_barrier
	buffer_gl0_inv
	s_cbranch_vccnz .LBB1577_32
; %bb.5:
	v_add_nc_u32_e32 v1, s17, v16
	v_add_nc_u32_e32 v2, s19, v16
	s_mov_b32 s46, 0
	s_mov_b32 s45, 0
	s_mov_b32 s3, exec_lo
	v_mul_lo_u32 v1, v1, s16
	v_mul_lo_u32 v2, v2, s18
	s_delay_alu instid0(VALU_DEP_1) | instskip(NEXT) | instid1(VALU_DEP_1)
	v_sub_nc_u32_e32 v1, v1, v2
	v_cmp_lt_u32_e32 vcc_lo, s20, v1
	v_cmpx_ge_u32_e64 s20, v1
; %bb.6:
	v_add_nc_u32_e32 v1, s22, v16
	v_add_nc_u32_e32 v2, s40, v16
	s_delay_alu instid0(VALU_DEP_2) | instskip(NEXT) | instid1(VALU_DEP_2)
	v_mul_lo_u32 v1, v1, s21
	v_mul_lo_u32 v2, v2, s23
	s_delay_alu instid0(VALU_DEP_1) | instskip(NEXT) | instid1(VALU_DEP_1)
	v_sub_nc_u32_e32 v1, v1, v2
	v_cmp_lt_u32_e64 s2, s41, v1
	s_delay_alu instid0(VALU_DEP_1)
	s_and_b32 s45, s2, exec_lo
; %bb.7:
	s_or_b32 exec_lo, exec_lo, s3
	v_add_nc_u32_e32 v1, s17, v17
	v_add_nc_u32_e32 v2, s19, v17
	s_mov_b32 s4, exec_lo
	s_delay_alu instid0(VALU_DEP_2) | instskip(NEXT) | instid1(VALU_DEP_2)
	v_mul_lo_u32 v1, v1, s16
	v_mul_lo_u32 v2, v2, s18
	s_delay_alu instid0(VALU_DEP_1) | instskip(NEXT) | instid1(VALU_DEP_1)
	v_sub_nc_u32_e32 v1, v1, v2
	v_cmp_lt_u32_e64 s2, s20, v1
	v_cmpx_ge_u32_e64 s20, v1
; %bb.8:
	v_add_nc_u32_e32 v1, s22, v17
	v_add_nc_u32_e32 v2, s40, v17
	s_delay_alu instid0(VALU_DEP_2) | instskip(NEXT) | instid1(VALU_DEP_2)
	v_mul_lo_u32 v1, v1, s21
	v_mul_lo_u32 v2, v2, s23
	s_delay_alu instid0(VALU_DEP_1) | instskip(NEXT) | instid1(VALU_DEP_1)
	v_sub_nc_u32_e32 v1, v1, v2
	v_cmp_lt_u32_e64 s3, s41, v1
	s_delay_alu instid0(VALU_DEP_1)
	s_and_b32 s46, s3, exec_lo
; %bb.9:
	s_or_b32 exec_lo, exec_lo, s4
	v_add_nc_u32_e32 v1, s17, v14
	v_add_nc_u32_e32 v2, s19, v14
	s_mov_b32 s48, 0
	s_mov_b32 s47, 0
	s_mov_b32 s5, exec_lo
	v_mul_lo_u32 v1, v1, s16
	v_mul_lo_u32 v2, v2, s18
	s_delay_alu instid0(VALU_DEP_1) | instskip(NEXT) | instid1(VALU_DEP_1)
	v_sub_nc_u32_e32 v1, v1, v2
	v_cmp_lt_u32_e64 s3, s20, v1
	v_cmpx_ge_u32_e64 s20, v1
; %bb.10:
	v_add_nc_u32_e32 v1, s22, v14
	v_add_nc_u32_e32 v2, s40, v14
	s_delay_alu instid0(VALU_DEP_2) | instskip(NEXT) | instid1(VALU_DEP_2)
	v_mul_lo_u32 v1, v1, s21
	v_mul_lo_u32 v2, v2, s23
	s_delay_alu instid0(VALU_DEP_1) | instskip(NEXT) | instid1(VALU_DEP_1)
	v_sub_nc_u32_e32 v1, v1, v2
	v_cmp_lt_u32_e64 s4, s41, v1
	s_delay_alu instid0(VALU_DEP_1)
	s_and_b32 s47, s4, exec_lo
; %bb.11:
	s_or_b32 exec_lo, exec_lo, s5
	v_add_nc_u32_e32 v1, s17, v15
	v_add_nc_u32_e32 v2, s19, v15
	s_mov_b32 s6, exec_lo
	s_delay_alu instid0(VALU_DEP_2) | instskip(NEXT) | instid1(VALU_DEP_2)
	v_mul_lo_u32 v1, v1, s16
	v_mul_lo_u32 v2, v2, s18
	s_delay_alu instid0(VALU_DEP_1) | instskip(NEXT) | instid1(VALU_DEP_1)
	v_sub_nc_u32_e32 v1, v1, v2
	v_cmp_lt_u32_e64 s4, s20, v1
	v_cmpx_ge_u32_e64 s20, v1
; %bb.12:
	v_add_nc_u32_e32 v1, s22, v15
	v_add_nc_u32_e32 v2, s40, v15
	s_delay_alu instid0(VALU_DEP_2) | instskip(NEXT) | instid1(VALU_DEP_2)
	v_mul_lo_u32 v1, v1, s21
	v_mul_lo_u32 v2, v2, s23
	s_delay_alu instid0(VALU_DEP_1) | instskip(NEXT) | instid1(VALU_DEP_1)
	v_sub_nc_u32_e32 v1, v1, v2
	v_cmp_lt_u32_e64 s5, s41, v1
	s_delay_alu instid0(VALU_DEP_1)
	s_and_b32 s48, s5, exec_lo
; %bb.13:
	s_or_b32 exec_lo, exec_lo, s6
	v_add_nc_u32_e32 v1, s17, v12
	v_add_nc_u32_e32 v2, s19, v12
	s_mov_b32 s50, 0
	s_mov_b32 s49, 0
	s_mov_b32 s7, exec_lo
	v_mul_lo_u32 v1, v1, s16
	v_mul_lo_u32 v2, v2, s18
	s_delay_alu instid0(VALU_DEP_1) | instskip(NEXT) | instid1(VALU_DEP_1)
	v_sub_nc_u32_e32 v1, v1, v2
	v_cmp_lt_u32_e64 s5, s20, v1
	;; [unrolled: 47-line block ×5, first 2 shown]
	v_cmpx_ge_u32_e64 s20, v1
; %bb.26:
	v_add_nc_u32_e32 v1, s22, v6
	v_add_nc_u32_e32 v2, s40, v6
	s_delay_alu instid0(VALU_DEP_2) | instskip(NEXT) | instid1(VALU_DEP_2)
	v_mul_lo_u32 v1, v1, s21
	v_mul_lo_u32 v2, v2, s23
	s_delay_alu instid0(VALU_DEP_1) | instskip(NEXT) | instid1(VALU_DEP_1)
	v_sub_nc_u32_e32 v1, v1, v2
	v_cmp_lt_u32_e64 s12, s41, v1
	s_delay_alu instid0(VALU_DEP_1)
	s_and_b32 s57, s12, exec_lo
; %bb.27:
	s_or_b32 exec_lo, exec_lo, s13
	v_add_nc_u32_e32 v1, s17, v7
	v_add_nc_u32_e32 v2, s19, v7
	s_mov_b32 s42, exec_lo
	s_delay_alu instid0(VALU_DEP_2) | instskip(NEXT) | instid1(VALU_DEP_2)
	v_mul_lo_u32 v1, v1, s16
	v_mul_lo_u32 v2, v2, s18
	s_delay_alu instid0(VALU_DEP_1) | instskip(NEXT) | instid1(VALU_DEP_1)
	v_sub_nc_u32_e32 v1, v1, v2
	v_cmp_lt_u32_e64 s12, s20, v1
	v_cmpx_ge_u32_e64 s20, v1
; %bb.28:
	v_add_nc_u32_e32 v1, s22, v7
	v_add_nc_u32_e32 v2, s40, v7
	s_delay_alu instid0(VALU_DEP_2) | instskip(NEXT) | instid1(VALU_DEP_2)
	v_mul_lo_u32 v1, v1, s21
	v_mul_lo_u32 v2, v2, s23
	s_delay_alu instid0(VALU_DEP_1) | instskip(NEXT) | instid1(VALU_DEP_1)
	v_sub_nc_u32_e32 v1, v1, v2
	v_cmp_lt_u32_e64 s13, s41, v1
	s_delay_alu instid0(VALU_DEP_1)
	s_and_b32 s56, s13, exec_lo
; %bb.29:
	s_or_b32 exec_lo, exec_lo, s42
	v_add_nc_u32_e32 v1, s17, v27
	v_add_nc_u32_e32 v2, s19, v27
	s_mov_b32 s42, -1
	s_mov_b32 s53, 0
	s_mov_b32 s43, 0
	v_mul_lo_u32 v1, v1, s16
	v_mul_lo_u32 v2, v2, s18
	s_mov_b32 s58, exec_lo
	s_delay_alu instid0(VALU_DEP_1) | instskip(NEXT) | instid1(VALU_DEP_1)
	v_sub_nc_u32_e32 v1, v1, v2
	v_cmpx_ge_u32_e64 s20, v1
; %bb.30:
	v_add_nc_u32_e32 v1, s22, v27
	v_add_nc_u32_e32 v2, s40, v27
	s_xor_b32 s42, exec_lo, -1
	s_delay_alu instid0(VALU_DEP_2) | instskip(NEXT) | instid1(VALU_DEP_2)
	v_mul_lo_u32 v1, v1, s21
	v_mul_lo_u32 v2, v2, s23
	s_delay_alu instid0(VALU_DEP_1) | instskip(NEXT) | instid1(VALU_DEP_1)
	v_sub_nc_u32_e32 v1, v1, v2
	v_cmp_lt_u32_e64 s13, s41, v1
	s_delay_alu instid0(VALU_DEP_1)
	s_and_b32 s43, s13, exec_lo
; %bb.31:
	s_or_b32 exec_lo, exec_lo, s58
	v_cndmask_b32_e64 v48, 0, 1, s57
	v_cndmask_b32_e64 v51, 0, 1, s12
	;; [unrolled: 1-line block ×22, first 2 shown]
	v_cndmask_b32_e64 v29, 0, 1, vcc_lo
	v_cndmask_b32_e64 v52, 0, 1, s56
	s_load_b64 s[4:5], s[0:1], 0x78
	s_and_b32 vcc_lo, exec_lo, s53
	s_add_i32 s3, s44, 0xd00
	s_cbranch_vccnz .LBB1577_33
	s_branch .LBB1577_86
.LBB1577_32:
                                        ; implicit-def: $sgpr42
                                        ; implicit-def: $sgpr43
                                        ; implicit-def: $vgpr52
                                        ; implicit-def: $vgpr48
                                        ; implicit-def: $vgpr47
                                        ; implicit-def: $vgpr45
                                        ; implicit-def: $vgpr43
                                        ; implicit-def: $vgpr40
                                        ; implicit-def: $vgpr39
                                        ; implicit-def: $vgpr37
                                        ; implicit-def: $vgpr35
                                        ; implicit-def: $vgpr29
                                        ; implicit-def: $vgpr33
                                        ; implicit-def: $vgpr31
                                        ; implicit-def: $vgpr32
                                        ; implicit-def: $vgpr38
                                        ; implicit-def: $vgpr41
                                        ; implicit-def: $vgpr42
                                        ; implicit-def: $vgpr44
                                        ; implicit-def: $vgpr46
                                        ; implicit-def: $vgpr49
                                        ; implicit-def: $vgpr50
                                        ; implicit-def: $vgpr51
                                        ; implicit-def: $vgpr30
                                        ; implicit-def: $vgpr34
                                        ; implicit-def: $vgpr36
	s_load_b64 s[4:5], s[0:1], 0x78
	s_add_i32 s3, s44, 0xd00
	s_cbranch_execz .LBB1577_86
.LBB1577_33:
	v_dual_mov_b32 v30, 0 :: v_dual_mov_b32 v29, 0
	s_mov_b32 s2, 0
	s_mov_b32 s1, exec_lo
	v_cmpx_gt_u32_e64 s3, v28
	s_cbranch_execz .LBB1577_37
; %bb.34:
	v_add_nc_u32_e32 v1, s17, v16
	v_add_nc_u32_e32 v2, s19, v16
	s_mov_b32 s6, exec_lo
	s_delay_alu instid0(VALU_DEP_2) | instskip(NEXT) | instid1(VALU_DEP_2)
	v_mul_lo_u32 v1, v1, s16
	v_mul_lo_u32 v2, v2, s18
	s_delay_alu instid0(VALU_DEP_1) | instskip(NEXT) | instid1(VALU_DEP_1)
	v_sub_nc_u32_e32 v1, v1, v2
	v_cmp_lt_u32_e32 vcc_lo, s20, v1
	v_cmpx_ge_u32_e64 s20, v1
; %bb.35:
	v_add_nc_u32_e32 v1, s22, v16
	v_add_nc_u32_e32 v2, s40, v16
	s_delay_alu instid0(VALU_DEP_2) | instskip(NEXT) | instid1(VALU_DEP_2)
	v_mul_lo_u32 v1, v1, s21
	v_mul_lo_u32 v2, v2, s23
	s_delay_alu instid0(VALU_DEP_1) | instskip(NEXT) | instid1(VALU_DEP_1)
	v_sub_nc_u32_e32 v1, v1, v2
	v_cmp_lt_u32_e64 s0, s41, v1
	s_delay_alu instid0(VALU_DEP_1)
	s_and_b32 s2, s0, exec_lo
; %bb.36:
	s_or_b32 exec_lo, exec_lo, s6
	v_cndmask_b32_e64 v29, 0, 1, vcc_lo
	v_cndmask_b32_e64 v30, 0, 1, s2
.LBB1577_37:
	s_or_b32 exec_lo, exec_lo, s1
	v_dual_mov_b32 v34, 0 :: v_dual_add_nc_u32 v1, 1, v28
	v_mov_b32_e32 v33, 0
	s_mov_b32 s2, 0
	s_mov_b32 s1, exec_lo
	s_delay_alu instid0(VALU_DEP_2)
	v_cmpx_gt_u32_e64 s3, v1
	s_cbranch_execz .LBB1577_41
; %bb.38:
	v_add_nc_u32_e32 v1, s17, v17
	v_add_nc_u32_e32 v2, s19, v17
	s_mov_b32 s6, exec_lo
	s_delay_alu instid0(VALU_DEP_2) | instskip(NEXT) | instid1(VALU_DEP_2)
	v_mul_lo_u32 v1, v1, s16
	v_mul_lo_u32 v2, v2, s18
	s_delay_alu instid0(VALU_DEP_1) | instskip(NEXT) | instid1(VALU_DEP_1)
	v_sub_nc_u32_e32 v1, v1, v2
	v_cmp_lt_u32_e32 vcc_lo, s20, v1
	v_cmpx_ge_u32_e64 s20, v1
; %bb.39:
	v_add_nc_u32_e32 v1, s22, v17
	v_add_nc_u32_e32 v2, s40, v17
	s_delay_alu instid0(VALU_DEP_2) | instskip(NEXT) | instid1(VALU_DEP_2)
	v_mul_lo_u32 v1, v1, s21
	v_mul_lo_u32 v2, v2, s23
	s_delay_alu instid0(VALU_DEP_1) | instskip(NEXT) | instid1(VALU_DEP_1)
	v_sub_nc_u32_e32 v1, v1, v2
	v_cmp_lt_u32_e64 s0, s41, v1
	s_delay_alu instid0(VALU_DEP_1)
	s_and_b32 s2, s0, exec_lo
; %bb.40:
	s_or_b32 exec_lo, exec_lo, s6
	v_cndmask_b32_e64 v33, 0, 1, vcc_lo
	v_cndmask_b32_e64 v34, 0, 1, s2
.LBB1577_41:
	s_or_b32 exec_lo, exec_lo, s1
	v_dual_mov_b32 v36, 0 :: v_dual_add_nc_u32 v1, 2, v28
	v_mov_b32_e32 v31, 0
	s_mov_b32 s2, 0
	s_mov_b32 s1, exec_lo
	s_delay_alu instid0(VALU_DEP_2)
	;; [unrolled: 35-line block ×4, first 2 shown]
	v_cmpx_gt_u32_e64 s3, v1
	s_cbranch_execz .LBB1577_53
; %bb.50:
	v_add_nc_u32_e32 v1, s17, v12
	v_add_nc_u32_e32 v2, s19, v12
	s_mov_b32 s6, exec_lo
	s_delay_alu instid0(VALU_DEP_2) | instskip(NEXT) | instid1(VALU_DEP_2)
	v_mul_lo_u32 v1, v1, s16
	v_mul_lo_u32 v2, v2, s18
	s_delay_alu instid0(VALU_DEP_1) | instskip(NEXT) | instid1(VALU_DEP_1)
	v_sub_nc_u32_e32 v1, v1, v2
	v_cmp_lt_u32_e32 vcc_lo, s20, v1
	v_cmpx_ge_u32_e64 s20, v1
; %bb.51:
	v_add_nc_u32_e32 v1, s22, v12
	v_add_nc_u32_e32 v2, s40, v12
	s_delay_alu instid0(VALU_DEP_2) | instskip(NEXT) | instid1(VALU_DEP_2)
	v_mul_lo_u32 v1, v1, s21
	v_mul_lo_u32 v2, v2, s23
	s_delay_alu instid0(VALU_DEP_1) | instskip(NEXT) | instid1(VALU_DEP_1)
	v_sub_nc_u32_e32 v1, v1, v2
	v_cmp_lt_u32_e64 s0, s41, v1
	s_delay_alu instid0(VALU_DEP_1)
	s_and_b32 s2, s0, exec_lo
; %bb.52:
	s_or_b32 exec_lo, exec_lo, s6
	v_cndmask_b32_e64 v38, 0, 1, vcc_lo
	v_cndmask_b32_e64 v37, 0, 1, s2
.LBB1577_53:
	s_or_b32 exec_lo, exec_lo, s1
	v_add_nc_u32_e32 v1, 5, v28
	v_mov_b32_e32 v39, 0
	v_mov_b32_e32 v41, 0
	s_mov_b32 s2, 0
	s_mov_b32 s1, exec_lo
	v_cmpx_gt_u32_e64 s3, v1
	s_cbranch_execz .LBB1577_57
; %bb.54:
	v_add_nc_u32_e32 v1, s17, v13
	v_add_nc_u32_e32 v2, s19, v13
	s_mov_b32 s6, exec_lo
	s_delay_alu instid0(VALU_DEP_2) | instskip(NEXT) | instid1(VALU_DEP_2)
	v_mul_lo_u32 v1, v1, s16
	v_mul_lo_u32 v2, v2, s18
	s_delay_alu instid0(VALU_DEP_1) | instskip(NEXT) | instid1(VALU_DEP_1)
	v_sub_nc_u32_e32 v1, v1, v2
	v_cmp_lt_u32_e32 vcc_lo, s20, v1
	v_cmpx_ge_u32_e64 s20, v1
; %bb.55:
	v_add_nc_u32_e32 v1, s22, v13
	v_add_nc_u32_e32 v2, s40, v13
	s_delay_alu instid0(VALU_DEP_2) | instskip(NEXT) | instid1(VALU_DEP_2)
	v_mul_lo_u32 v1, v1, s21
	v_mul_lo_u32 v2, v2, s23
	s_delay_alu instid0(VALU_DEP_1) | instskip(NEXT) | instid1(VALU_DEP_1)
	v_sub_nc_u32_e32 v1, v1, v2
	v_cmp_lt_u32_e64 s0, s41, v1
	s_delay_alu instid0(VALU_DEP_1)
	s_and_b32 s2, s0, exec_lo
; %bb.56:
	s_or_b32 exec_lo, exec_lo, s6
	v_cndmask_b32_e64 v41, 0, 1, vcc_lo
	v_cndmask_b32_e64 v39, 0, 1, s2
.LBB1577_57:
	s_or_b32 exec_lo, exec_lo, s1
	v_dual_mov_b32 v40, 0 :: v_dual_add_nc_u32 v1, 6, v28
	v_mov_b32_e32 v42, 0
	s_mov_b32 s2, 0
	s_mov_b32 s1, exec_lo
	s_delay_alu instid0(VALU_DEP_2)
	v_cmpx_gt_u32_e64 s3, v1
	s_cbranch_execz .LBB1577_61
; %bb.58:
	v_add_nc_u32_e32 v1, s17, v10
	v_add_nc_u32_e32 v2, s19, v10
	s_mov_b32 s6, exec_lo
	s_delay_alu instid0(VALU_DEP_2) | instskip(NEXT) | instid1(VALU_DEP_2)
	v_mul_lo_u32 v1, v1, s16
	v_mul_lo_u32 v2, v2, s18
	s_delay_alu instid0(VALU_DEP_1) | instskip(NEXT) | instid1(VALU_DEP_1)
	v_sub_nc_u32_e32 v1, v1, v2
	v_cmp_lt_u32_e32 vcc_lo, s20, v1
	v_cmpx_ge_u32_e64 s20, v1
; %bb.59:
	v_add_nc_u32_e32 v1, s22, v10
	v_add_nc_u32_e32 v2, s40, v10
	s_delay_alu instid0(VALU_DEP_2) | instskip(NEXT) | instid1(VALU_DEP_2)
	v_mul_lo_u32 v1, v1, s21
	v_mul_lo_u32 v2, v2, s23
	s_delay_alu instid0(VALU_DEP_1) | instskip(NEXT) | instid1(VALU_DEP_1)
	v_sub_nc_u32_e32 v1, v1, v2
	v_cmp_lt_u32_e64 s0, s41, v1
	s_delay_alu instid0(VALU_DEP_1)
	s_and_b32 s2, s0, exec_lo
; %bb.60:
	s_or_b32 exec_lo, exec_lo, s6
	v_cndmask_b32_e64 v42, 0, 1, vcc_lo
	v_cndmask_b32_e64 v40, 0, 1, s2
.LBB1577_61:
	s_or_b32 exec_lo, exec_lo, s1
	v_dual_mov_b32 v44, 0 :: v_dual_add_nc_u32 v1, 7, v28
	v_mov_b32_e32 v43, 0
	s_mov_b32 s2, 0
	s_mov_b32 s1, exec_lo
	s_delay_alu instid0(VALU_DEP_2)
	;; [unrolled: 35-line block ×3, first 2 shown]
	v_cmpx_gt_u32_e64 s3, v1
	s_cbranch_execz .LBB1577_69
; %bb.66:
	v_add_nc_u32_e32 v1, s17, v8
	v_add_nc_u32_e32 v2, s19, v8
	s_mov_b32 s6, exec_lo
	s_delay_alu instid0(VALU_DEP_2) | instskip(NEXT) | instid1(VALU_DEP_2)
	v_mul_lo_u32 v1, v1, s16
	v_mul_lo_u32 v2, v2, s18
	s_delay_alu instid0(VALU_DEP_1) | instskip(NEXT) | instid1(VALU_DEP_1)
	v_sub_nc_u32_e32 v1, v1, v2
	v_cmp_lt_u32_e32 vcc_lo, s20, v1
	v_cmpx_ge_u32_e64 s20, v1
; %bb.67:
	v_add_nc_u32_e32 v1, s22, v8
	v_add_nc_u32_e32 v2, s40, v8
	s_delay_alu instid0(VALU_DEP_2) | instskip(NEXT) | instid1(VALU_DEP_2)
	v_mul_lo_u32 v1, v1, s21
	v_mul_lo_u32 v2, v2, s23
	s_delay_alu instid0(VALU_DEP_1) | instskip(NEXT) | instid1(VALU_DEP_1)
	v_sub_nc_u32_e32 v1, v1, v2
	v_cmp_lt_u32_e64 s0, s41, v1
	s_delay_alu instid0(VALU_DEP_1)
	s_and_b32 s2, s0, exec_lo
; %bb.68:
	s_or_b32 exec_lo, exec_lo, s6
	v_cndmask_b32_e64 v46, 0, 1, vcc_lo
	v_cndmask_b32_e64 v45, 0, 1, s2
.LBB1577_69:
	s_or_b32 exec_lo, exec_lo, s1
	v_add_nc_u32_e32 v1, 9, v28
	v_mov_b32_e32 v47, 0
	v_mov_b32_e32 v49, 0
	s_mov_b32 s2, 0
	s_mov_b32 s1, exec_lo
	v_cmpx_gt_u32_e64 s3, v1
	s_cbranch_execz .LBB1577_73
; %bb.70:
	v_add_nc_u32_e32 v1, s17, v9
	v_add_nc_u32_e32 v2, s19, v9
	s_mov_b32 s6, exec_lo
	s_delay_alu instid0(VALU_DEP_2) | instskip(NEXT) | instid1(VALU_DEP_2)
	v_mul_lo_u32 v1, v1, s16
	v_mul_lo_u32 v2, v2, s18
	s_delay_alu instid0(VALU_DEP_1) | instskip(NEXT) | instid1(VALU_DEP_1)
	v_sub_nc_u32_e32 v1, v1, v2
	v_cmp_lt_u32_e32 vcc_lo, s20, v1
	v_cmpx_ge_u32_e64 s20, v1
; %bb.71:
	v_add_nc_u32_e32 v1, s22, v9
	v_add_nc_u32_e32 v2, s40, v9
	s_delay_alu instid0(VALU_DEP_2) | instskip(NEXT) | instid1(VALU_DEP_2)
	v_mul_lo_u32 v1, v1, s21
	v_mul_lo_u32 v2, v2, s23
	s_delay_alu instid0(VALU_DEP_1) | instskip(NEXT) | instid1(VALU_DEP_1)
	v_sub_nc_u32_e32 v1, v1, v2
	v_cmp_lt_u32_e64 s0, s41, v1
	s_delay_alu instid0(VALU_DEP_1)
	s_and_b32 s2, s0, exec_lo
; %bb.72:
	s_or_b32 exec_lo, exec_lo, s6
	v_cndmask_b32_e64 v49, 0, 1, vcc_lo
	v_cndmask_b32_e64 v47, 0, 1, s2
.LBB1577_73:
	s_or_b32 exec_lo, exec_lo, s1
	v_dual_mov_b32 v48, 0 :: v_dual_add_nc_u32 v1, 10, v28
	v_mov_b32_e32 v50, 0
	s_mov_b32 s2, 0
	s_mov_b32 s1, exec_lo
	s_delay_alu instid0(VALU_DEP_2)
	v_cmpx_gt_u32_e64 s3, v1
	s_cbranch_execz .LBB1577_77
; %bb.74:
	v_add_nc_u32_e32 v1, s17, v6
	v_add_nc_u32_e32 v2, s19, v6
	s_mov_b32 s6, exec_lo
	s_delay_alu instid0(VALU_DEP_2) | instskip(NEXT) | instid1(VALU_DEP_2)
	v_mul_lo_u32 v1, v1, s16
	v_mul_lo_u32 v2, v2, s18
	s_delay_alu instid0(VALU_DEP_1) | instskip(NEXT) | instid1(VALU_DEP_1)
	v_sub_nc_u32_e32 v1, v1, v2
	v_cmp_lt_u32_e32 vcc_lo, s20, v1
	v_cmpx_ge_u32_e64 s20, v1
; %bb.75:
	v_add_nc_u32_e32 v1, s22, v6
	v_add_nc_u32_e32 v2, s40, v6
	s_delay_alu instid0(VALU_DEP_2) | instskip(NEXT) | instid1(VALU_DEP_2)
	v_mul_lo_u32 v1, v1, s21
	v_mul_lo_u32 v2, v2, s23
	s_delay_alu instid0(VALU_DEP_1) | instskip(NEXT) | instid1(VALU_DEP_1)
	v_sub_nc_u32_e32 v1, v1, v2
	v_cmp_lt_u32_e64 s0, s41, v1
	s_delay_alu instid0(VALU_DEP_1)
	s_and_b32 s2, s0, exec_lo
; %bb.76:
	s_or_b32 exec_lo, exec_lo, s6
	v_cndmask_b32_e64 v50, 0, 1, vcc_lo
	v_cndmask_b32_e64 v48, 0, 1, s2
.LBB1577_77:
	s_or_b32 exec_lo, exec_lo, s1
	v_dual_mov_b32 v52, 0 :: v_dual_add_nc_u32 v1, 11, v28
	v_mov_b32_e32 v51, 0
	s_mov_b32 s2, 0
	s_mov_b32 s1, exec_lo
	s_delay_alu instid0(VALU_DEP_2)
	v_cmpx_gt_u32_e64 s3, v1
	s_cbranch_execz .LBB1577_81
; %bb.78:
	v_add_nc_u32_e32 v1, s17, v7
	v_add_nc_u32_e32 v2, s19, v7
	s_mov_b32 s6, exec_lo
	s_delay_alu instid0(VALU_DEP_2) | instskip(NEXT) | instid1(VALU_DEP_2)
	v_mul_lo_u32 v1, v1, s16
	v_mul_lo_u32 v2, v2, s18
	s_delay_alu instid0(VALU_DEP_1) | instskip(NEXT) | instid1(VALU_DEP_1)
	v_sub_nc_u32_e32 v1, v1, v2
	v_cmp_lt_u32_e32 vcc_lo, s20, v1
	v_cmpx_ge_u32_e64 s20, v1
; %bb.79:
	v_add_nc_u32_e32 v1, s22, v7
	v_add_nc_u32_e32 v2, s40, v7
	s_delay_alu instid0(VALU_DEP_2) | instskip(NEXT) | instid1(VALU_DEP_2)
	v_mul_lo_u32 v1, v1, s21
	v_mul_lo_u32 v2, v2, s23
	s_delay_alu instid0(VALU_DEP_1) | instskip(NEXT) | instid1(VALU_DEP_1)
	v_sub_nc_u32_e32 v1, v1, v2
	v_cmp_lt_u32_e64 s0, s41, v1
	s_delay_alu instid0(VALU_DEP_1)
	s_and_b32 s2, s0, exec_lo
; %bb.80:
	s_or_b32 exec_lo, exec_lo, s6
	v_cndmask_b32_e64 v51, 0, 1, vcc_lo
	v_cndmask_b32_e64 v52, 0, 1, s2
.LBB1577_81:
	s_or_b32 exec_lo, exec_lo, s1
	v_add_nc_u32_e32 v1, 12, v28
	s_mov_b32 s42, 0
	s_mov_b32 s43, 0
	s_mov_b32 s0, exec_lo
	s_delay_alu instid0(VALU_DEP_1)
	v_cmpx_gt_u32_e64 s3, v1
	s_cbranch_execz .LBB1577_85
; %bb.82:
	v_add_nc_u32_e32 v1, s17, v27
	v_add_nc_u32_e32 v2, s19, v27
	s_mov_b32 s2, -1
	s_mov_b32 s6, 0
	s_mov_b32 s1, exec_lo
	v_mul_lo_u32 v1, v1, s16
	v_mul_lo_u32 v2, v2, s18
	s_delay_alu instid0(VALU_DEP_1) | instskip(NEXT) | instid1(VALU_DEP_1)
	v_sub_nc_u32_e32 v1, v1, v2
	v_cmpx_ge_u32_e64 s20, v1
; %bb.83:
	v_add_nc_u32_e32 v1, s22, v27
	v_add_nc_u32_e32 v2, s40, v27
	s_xor_b32 s2, exec_lo, -1
	s_delay_alu instid0(VALU_DEP_2) | instskip(NEXT) | instid1(VALU_DEP_2)
	v_mul_lo_u32 v1, v1, s21
	v_mul_lo_u32 v2, v2, s23
	s_delay_alu instid0(VALU_DEP_1) | instskip(NEXT) | instid1(VALU_DEP_1)
	v_sub_nc_u32_e32 v1, v1, v2
	v_cmp_lt_u32_e32 vcc_lo, s41, v1
	s_and_b32 s6, vcc_lo, exec_lo
; %bb.84:
	s_or_b32 exec_lo, exec_lo, s1
	s_delay_alu instid0(SALU_CYCLE_1)
	s_and_b32 s43, s6, exec_lo
	s_and_b32 s42, s2, exec_lo
.LBB1577_85:
	s_or_b32 exec_lo, exec_lo, s0
.LBB1577_86:
	v_and_b32_e32 v75, 0xff, v29
	v_and_b32_e32 v76, 0xff, v30
	;; [unrolled: 1-line block ×10, first 2 shown]
	v_add3_u32 v1, v71, v73, v75
	v_add3_u32 v2, v72, v74, v76
	v_and_b32_e32 v65, 0xff, v41
	v_and_b32_e32 v66, 0xff, v39
	v_and_b32_e32 v61, 0xff, v42
	v_and_b32_e32 v62, 0xff, v40
	v_add3_u32 v1, v1, v69, v67
	v_add3_u32 v2, v2, v70, v68
	v_and_b32_e32 v63, 0xff, v44
	v_and_b32_e32 v64, 0xff, v43
	v_and_b32_e32 v59, 0xff, v46
	v_and_b32_e32 v60, 0xff, v45
	;; [unrolled: 6-line block ×3, first 2 shown]
	v_add3_u32 v1, v1, v63, v59
	v_add3_u32 v2, v2, v64, v60
	v_mbcnt_lo_u32_b32 v77, -1, 0
	v_and_b32_e32 v53, 0xff, v51
	v_and_b32_e32 v54, 0xff, v52
	v_cndmask_b32_e64 v3, 0, 1, s43
	v_add3_u32 v1, v1, v57, v55
	v_cndmask_b32_e64 v4, 0, 1, s42
	v_add3_u32 v2, v2, v58, v56
	v_and_b32_e32 v81, 15, v77
	v_and_b32_e32 v80, 16, v77
	v_lshrrev_b32_e32 v78, 5, v0
	v_add3_u32 v82, v1, v53, v4
	v_add3_u32 v83, v2, v54, v3
	v_cmp_eq_u32_e64 s1, 0, v81
	v_cmp_lt_u32_e64 s0, 1, v81
	v_cmp_lt_u32_e64 s2, 3, v81
	v_cmp_lt_u32_e32 vcc_lo, 7, v81
	v_or_b32_e32 v79, 31, v0
	s_cmp_lg_u32 s15, 0
	s_mov_b32 s6, -1
	s_cbranch_scc0 .LBB1577_114
; %bb.87:
	v_mov_b32_dpp v1, v83 row_shr:1 row_mask:0xf bank_mask:0xf
	v_mov_b32_dpp v2, v82 row_shr:1 row_mask:0xf bank_mask:0xf
	s_delay_alu instid0(VALU_DEP_2) | instskip(NEXT) | instid1(VALU_DEP_1)
	v_add_nc_u32_e32 v1, v1, v83
	v_cndmask_b32_e64 v1, v1, v83, s1
	s_delay_alu instid0(VALU_DEP_1) | instskip(NEXT) | instid1(VALU_DEP_1)
	v_mov_b32_dpp v3, v1 row_shr:2 row_mask:0xf bank_mask:0xf
	v_add_nc_u32_e32 v3, v1, v3
	s_delay_alu instid0(VALU_DEP_1) | instskip(NEXT) | instid1(VALU_DEP_1)
	v_cndmask_b32_e64 v1, v1, v3, s0
	v_mov_b32_dpp v3, v1 row_shr:4 row_mask:0xf bank_mask:0xf
	s_delay_alu instid0(VALU_DEP_1) | instskip(NEXT) | instid1(VALU_DEP_1)
	v_add_nc_u32_e32 v3, v1, v3
	v_cndmask_b32_e64 v1, v1, v3, s2
	s_delay_alu instid0(VALU_DEP_1) | instskip(NEXT) | instid1(VALU_DEP_1)
	v_mov_b32_dpp v3, v1 row_shr:8 row_mask:0xf bank_mask:0xf
	v_add_nc_u32_e32 v3, v1, v3
	s_delay_alu instid0(VALU_DEP_1) | instskip(NEXT) | instid1(VALU_DEP_1)
	v_dual_cndmask_b32 v1, v1, v3 :: v_dual_add_nc_u32 v2, v2, v82
	v_cndmask_b32_e64 v2, v2, v82, s1
	s_delay_alu instid0(VALU_DEP_1) | instskip(NEXT) | instid1(VALU_DEP_1)
	v_mov_b32_dpp v4, v2 row_shr:2 row_mask:0xf bank_mask:0xf
	v_add_nc_u32_e32 v4, v2, v4
	s_delay_alu instid0(VALU_DEP_1) | instskip(NEXT) | instid1(VALU_DEP_1)
	v_cndmask_b32_e64 v2, v2, v4, s0
	v_mov_b32_dpp v4, v2 row_shr:4 row_mask:0xf bank_mask:0xf
	s_delay_alu instid0(VALU_DEP_1) | instskip(NEXT) | instid1(VALU_DEP_1)
	v_add_nc_u32_e32 v4, v2, v4
	v_cndmask_b32_e64 v2, v2, v4, s2
	s_mov_b32 s2, exec_lo
	s_delay_alu instid0(VALU_DEP_1) | instskip(NEXT) | instid1(VALU_DEP_1)
	v_mov_b32_dpp v4, v2 row_shr:8 row_mask:0xf bank_mask:0xf
	v_add_nc_u32_e32 v4, v2, v4
	s_delay_alu instid0(VALU_DEP_1)
	v_cndmask_b32_e32 v3, v2, v4, vcc_lo
	ds_swizzle_b32 v2, v1 offset:swizzle(BROADCAST,32,15)
	v_cmp_eq_u32_e32 vcc_lo, 0, v80
	s_waitcnt lgkmcnt(0)
	v_add_nc_u32_e32 v2, v1, v2
	ds_swizzle_b32 v4, v3 offset:swizzle(BROADCAST,32,15)
	v_cndmask_b32_e32 v2, v2, v1, vcc_lo
	s_waitcnt lgkmcnt(0)
	v_add_nc_u32_e32 v4, v3, v4
	s_delay_alu instid0(VALU_DEP_1)
	v_cndmask_b32_e32 v1, v4, v3, vcc_lo
	v_cmpx_eq_u32_e64 v79, v0
	s_cbranch_execz .LBB1577_89
; %bb.88:
	v_lshlrev_b32_e32 v3, 3, v78
	ds_store_b64 v3, v[1:2]
.LBB1577_89:
	s_or_b32 exec_lo, exec_lo, s2
	s_delay_alu instid0(SALU_CYCLE_1)
	s_mov_b32 s2, exec_lo
	s_waitcnt lgkmcnt(0)
	s_barrier
	buffer_gl0_inv
	v_cmpx_gt_u32_e32 8, v0
	s_cbranch_execz .LBB1577_91
; %bb.90:
	v_lshlrev_b32_e32 v5, 3, v0
	ds_load_b64 v[3:4], v5
	s_waitcnt lgkmcnt(0)
	v_mov_b32_dpp v18, v3 row_shr:1 row_mask:0xf bank_mask:0xf
	v_mov_b32_dpp v19, v4 row_shr:1 row_mask:0xf bank_mask:0xf
	s_delay_alu instid0(VALU_DEP_2) | instskip(SKIP_1) | instid1(VALU_DEP_3)
	v_add_nc_u32_e32 v18, v18, v3
	v_and_b32_e32 v20, 7, v77
	v_add_nc_u32_e32 v19, v19, v4
	s_delay_alu instid0(VALU_DEP_2) | instskip(NEXT) | instid1(VALU_DEP_2)
	v_cmp_eq_u32_e32 vcc_lo, 0, v20
	v_dual_cndmask_b32 v4, v19, v4 :: v_dual_cndmask_b32 v3, v18, v3
	v_cmp_lt_u32_e32 vcc_lo, 1, v20
	s_delay_alu instid0(VALU_DEP_2) | instskip(NEXT) | instid1(VALU_DEP_3)
	v_mov_b32_dpp v19, v4 row_shr:2 row_mask:0xf bank_mask:0xf
	v_mov_b32_dpp v18, v3 row_shr:2 row_mask:0xf bank_mask:0xf
	s_delay_alu instid0(VALU_DEP_2) | instskip(NEXT) | instid1(VALU_DEP_2)
	v_add_nc_u32_e32 v19, v4, v19
	v_add_nc_u32_e32 v18, v3, v18
	s_delay_alu instid0(VALU_DEP_1) | instskip(SKIP_1) | instid1(VALU_DEP_2)
	v_dual_cndmask_b32 v4, v4, v19 :: v_dual_cndmask_b32 v3, v3, v18
	v_cmp_lt_u32_e32 vcc_lo, 3, v20
	v_mov_b32_dpp v19, v4 row_shr:4 row_mask:0xf bank_mask:0xf
	s_delay_alu instid0(VALU_DEP_3) | instskip(NEXT) | instid1(VALU_DEP_1)
	v_mov_b32_dpp v18, v3 row_shr:4 row_mask:0xf bank_mask:0xf
	v_dual_cndmask_b32 v19, 0, v19 :: v_dual_cndmask_b32 v18, 0, v18
	s_delay_alu instid0(VALU_DEP_1) | instskip(NEXT) | instid1(VALU_DEP_2)
	v_add_nc_u32_e32 v4, v19, v4
	v_add_nc_u32_e32 v3, v18, v3
	ds_store_b64 v5, v[3:4]
.LBB1577_91:
	s_or_b32 exec_lo, exec_lo, s2
	v_cmp_gt_u32_e32 vcc_lo, 32, v0
	v_cmp_lt_u32_e64 s2, 31, v0
	s_waitcnt lgkmcnt(0)
	s_barrier
	buffer_gl0_inv
                                        ; implicit-def: $vgpr19
	s_and_saveexec_b32 s6, s2
	s_delay_alu instid0(SALU_CYCLE_1)
	s_xor_b32 s2, exec_lo, s6
	s_cbranch_execz .LBB1577_93
; %bb.92:
	v_lshl_add_u32 v3, v78, 3, -8
	ds_load_b64 v[18:19], v3
	s_waitcnt lgkmcnt(0)
	v_add_nc_u32_e32 v2, v19, v2
	v_add_nc_u32_e32 v1, v18, v1
.LBB1577_93:
	s_and_not1_saveexec_b32 s2, s2
; %bb.94:
                                        ; implicit-def: $vgpr18
; %bb.95:
	s_delay_alu instid0(SALU_CYCLE_1) | instskip(SKIP_1) | instid1(VALU_DEP_1)
	s_or_b32 exec_lo, exec_lo, s2
	v_add_nc_u32_e32 v3, -1, v77
	v_cmp_gt_i32_e64 s2, 0, v3
	s_delay_alu instid0(VALU_DEP_1) | instskip(SKIP_1) | instid1(VALU_DEP_2)
	v_cndmask_b32_e64 v3, v3, v77, s2
	v_cmp_eq_u32_e64 s2, 0, v77
	v_lshlrev_b32_e32 v3, 2, v3
	ds_bpermute_b32 v84, v3, v1
	ds_bpermute_b32 v85, v3, v2
	s_and_saveexec_b32 s6, vcc_lo
	s_cbranch_execz .LBB1577_113
; %bb.96:
	v_mov_b32_e32 v4, 0
	ds_load_b64 v[1:2], v4 offset:56
	s_waitcnt lgkmcnt(0)
	v_readfirstlane_b32 s7, v2
	s_and_saveexec_b32 s8, s2
	s_cbranch_execz .LBB1577_98
; %bb.97:
	s_add_i32 s10, s15, 32
	s_mov_b32 s11, 0
	v_mov_b32_e32 v3, 1
	s_lshl_b64 s[12:13], s[10:11], 4
	s_mov_b32 s16, s11
	s_add_u32 s12, s4, s12
	s_addc_u32 s13, s5, s13
	s_and_b32 s17, s7, 0xff000000
	s_and_b32 s19, s7, 0xff0000
	s_mov_b32 s18, s11
	v_dual_mov_b32 v21, s13 :: v_dual_mov_b32 v20, s12
	s_or_b64 s[16:17], s[18:19], s[16:17]
	s_and_b32 s19, s7, 0xff00
	s_delay_alu instid0(SALU_CYCLE_1) | instskip(SKIP_1) | instid1(SALU_CYCLE_1)
	s_or_b64 s[16:17], s[16:17], s[18:19]
	s_and_b32 s19, s7, 0xff
	s_or_b64 s[10:11], s[16:17], s[18:19]
	s_delay_alu instid0(SALU_CYCLE_1)
	v_mov_b32_e32 v2, s11
	;;#ASMSTART
	global_store_dwordx4 v[20:21], v[1:4] off	
s_waitcnt vmcnt(0)
	;;#ASMEND
.LBB1577_98:
	s_or_b32 exec_lo, exec_lo, s8
	v_xad_u32 v20, v77, -1, s15
	s_mov_b32 s9, 0
	s_mov_b32 s8, exec_lo
	s_delay_alu instid0(VALU_DEP_1) | instskip(NEXT) | instid1(VALU_DEP_1)
	v_add_nc_u32_e32 v3, 32, v20
	v_lshlrev_b64 v[2:3], 4, v[3:4]
	s_delay_alu instid0(VALU_DEP_1) | instskip(NEXT) | instid1(VALU_DEP_2)
	v_add_co_u32 v21, vcc_lo, s4, v2
	v_add_co_ci_u32_e32 v22, vcc_lo, s5, v3, vcc_lo
	;;#ASMSTART
	global_load_dwordx4 v[2:5], v[21:22] off glc	
s_waitcnt vmcnt(0)
	;;#ASMEND
	v_and_b32_e32 v5, 0xff, v3
	v_and_b32_e32 v23, 0xff00, v3
	v_or3_b32 v2, v2, 0, 0
	v_and_b32_e32 v24, 0xff000000, v3
	v_and_b32_e32 v3, 0xff0000, v3
	s_delay_alu instid0(VALU_DEP_4) | instskip(SKIP_2) | instid1(VALU_DEP_3)
	v_or3_b32 v5, 0, v5, v23
	v_and_b32_e32 v23, 0xff, v4
	v_or3_b32 v2, v2, 0, 0
	v_or3_b32 v3, v5, v3, v24
	s_delay_alu instid0(VALU_DEP_3)
	v_cmpx_eq_u16_e32 0, v23
	s_cbranch_execz .LBB1577_101
.LBB1577_99:                            ; =>This Inner Loop Header: Depth=1
	;;#ASMSTART
	global_load_dwordx4 v[2:5], v[21:22] off glc	
s_waitcnt vmcnt(0)
	;;#ASMEND
	v_and_b32_e32 v5, 0xff, v4
	s_delay_alu instid0(VALU_DEP_1) | instskip(SKIP_1) | instid1(SALU_CYCLE_1)
	v_cmp_ne_u16_e32 vcc_lo, 0, v5
	s_or_b32 s9, vcc_lo, s9
	s_and_not1_b32 exec_lo, exec_lo, s9
	s_cbranch_execnz .LBB1577_99
; %bb.100:
	s_or_b32 exec_lo, exec_lo, s9
.LBB1577_101:
	s_delay_alu instid0(SALU_CYCLE_1)
	s_or_b32 exec_lo, exec_lo, s8
	v_cmp_ne_u32_e32 vcc_lo, 31, v77
	v_lshlrev_b32_e64 v87, v77, -1
	v_add_nc_u32_e32 v91, 4, v77
	v_add_nc_u32_e32 v93, 8, v77
	;; [unrolled: 1-line block ×3, first 2 shown]
	v_add_co_ci_u32_e32 v5, vcc_lo, 0, v77, vcc_lo
	s_delay_alu instid0(VALU_DEP_1)
	v_lshlrev_b32_e32 v86, 2, v5
	ds_bpermute_b32 v21, v86, v3
	ds_bpermute_b32 v5, v86, v2
	s_waitcnt lgkmcnt(1)
	v_add_nc_u32_e32 v21, v21, v3
	v_and_b32_e32 v22, 0xff, v4
	s_waitcnt lgkmcnt(0)
	v_add_nc_u32_e32 v5, v5, v2
	s_delay_alu instid0(VALU_DEP_2) | instskip(SKIP_2) | instid1(VALU_DEP_2)
	v_cmp_eq_u16_e32 vcc_lo, 2, v22
	v_and_or_b32 v22, vcc_lo, v87, 0x80000000
	v_cmp_gt_u32_e32 vcc_lo, 30, v77
	v_ctz_i32_b32_e32 v22, v22
	v_cndmask_b32_e64 v23, 0, 1, vcc_lo
	s_delay_alu instid0(VALU_DEP_2) | instskip(NEXT) | instid1(VALU_DEP_2)
	v_cmp_lt_u32_e32 vcc_lo, v77, v22
	v_dual_cndmask_b32 v2, v2, v5 :: v_dual_lshlrev_b32 v23, 1, v23
	s_delay_alu instid0(VALU_DEP_1)
	v_add_lshl_u32 v88, v23, v77, 2
	v_cndmask_b32_e32 v3, v3, v21, vcc_lo
	v_cmp_gt_u32_e32 vcc_lo, 28, v77
	ds_bpermute_b32 v5, v88, v2
	ds_bpermute_b32 v21, v88, v3
	v_cndmask_b32_e64 v23, 0, 1, vcc_lo
	s_waitcnt lgkmcnt(1)
	v_add_nc_u32_e32 v5, v2, v5
	v_add_nc_u32_e32 v89, 2, v77
	s_waitcnt lgkmcnt(0)
	v_add_nc_u32_e32 v21, v3, v21
	s_delay_alu instid0(VALU_DEP_2) | instskip(SKIP_1) | instid1(VALU_DEP_3)
	v_cmp_gt_u32_e32 vcc_lo, v89, v22
	v_dual_cndmask_b32 v2, v5, v2 :: v_dual_lshlrev_b32 v23, 2, v23
	v_cndmask_b32_e32 v3, v21, v3, vcc_lo
	v_cmp_gt_u32_e32 vcc_lo, 24, v77
	s_delay_alu instid0(VALU_DEP_3)
	v_add_lshl_u32 v90, v23, v77, 2
	v_cndmask_b32_e64 v23, 0, 1, vcc_lo
	v_cmp_gt_u32_e32 vcc_lo, v91, v22
	ds_bpermute_b32 v5, v90, v2
	ds_bpermute_b32 v21, v90, v3
	v_lshlrev_b32_e32 v23, 3, v23
	s_delay_alu instid0(VALU_DEP_1) | instskip(SKIP_3) | instid1(VALU_DEP_1)
	v_add_lshl_u32 v92, v23, v77, 2
	s_waitcnt lgkmcnt(1)
	v_add_nc_u32_e32 v5, v2, v5
	s_waitcnt lgkmcnt(0)
	v_dual_cndmask_b32 v2, v5, v2 :: v_dual_add_nc_u32 v21, v3, v21
	s_delay_alu instid0(VALU_DEP_1)
	v_cndmask_b32_e32 v3, v21, v3, vcc_lo
	v_cmp_gt_u32_e32 vcc_lo, 16, v77
	ds_bpermute_b32 v5, v92, v2
	ds_bpermute_b32 v21, v92, v3
	v_cndmask_b32_e64 v23, 0, 1, vcc_lo
	v_cmp_gt_u32_e32 vcc_lo, v93, v22
	s_delay_alu instid0(VALU_DEP_2) | instskip(NEXT) | instid1(VALU_DEP_1)
	v_lshlrev_b32_e32 v23, 4, v23
	v_add_lshl_u32 v94, v23, v77, 2
	s_waitcnt lgkmcnt(1)
	v_add_nc_u32_e32 v5, v2, v5
	s_waitcnt lgkmcnt(0)
	s_delay_alu instid0(VALU_DEP_1) | instskip(NEXT) | instid1(VALU_DEP_1)
	v_dual_cndmask_b32 v2, v5, v2 :: v_dual_add_nc_u32 v21, v3, v21
	v_cndmask_b32_e32 v3, v21, v3, vcc_lo
	v_cmp_le_u32_e32 vcc_lo, v95, v22
	ds_bpermute_b32 v5, v94, v2
	ds_bpermute_b32 v21, v94, v3
	s_waitcnt lgkmcnt(1)
	v_cndmask_b32_e32 v5, 0, v5, vcc_lo
	s_waitcnt lgkmcnt(0)
	s_delay_alu instid0(VALU_DEP_1) | instskip(NEXT) | instid1(VALU_DEP_1)
	v_dual_cndmask_b32 v21, 0, v21 :: v_dual_add_nc_u32 v2, v5, v2
	v_add_nc_u32_e32 v3, v21, v3
	v_mov_b32_e32 v21, 0
	s_branch .LBB1577_103
.LBB1577_102:                           ;   in Loop: Header=BB1577_103 Depth=1
	s_or_b32 exec_lo, exec_lo, s8
	ds_bpermute_b32 v5, v86, v2
	ds_bpermute_b32 v24, v86, v3
	v_subrev_nc_u32_e32 v20, 32, v20
	s_waitcnt lgkmcnt(1)
	v_add_nc_u32_e32 v5, v5, v2
	v_and_b32_e32 v25, 0xff, v4
	s_waitcnt lgkmcnt(0)
	v_add_nc_u32_e32 v24, v24, v3
	s_delay_alu instid0(VALU_DEP_2) | instskip(SKIP_1) | instid1(VALU_DEP_1)
	v_cmp_eq_u16_e32 vcc_lo, 2, v25
	v_and_or_b32 v25, vcc_lo, v87, 0x80000000
	v_ctz_i32_b32_e32 v25, v25
	s_delay_alu instid0(VALU_DEP_1)
	v_cmp_lt_u32_e32 vcc_lo, v77, v25
	v_cndmask_b32_e32 v2, v2, v5, vcc_lo
	ds_bpermute_b32 v5, v88, v2
	s_waitcnt lgkmcnt(0)
	v_add_nc_u32_e32 v5, v2, v5
	v_cndmask_b32_e32 v3, v3, v24, vcc_lo
	v_cmp_gt_u32_e32 vcc_lo, v89, v25
	s_delay_alu instid0(VALU_DEP_3)
	v_cndmask_b32_e32 v2, v5, v2, vcc_lo
	ds_bpermute_b32 v24, v88, v3
	ds_bpermute_b32 v5, v90, v2
	s_waitcnt lgkmcnt(1)
	v_add_nc_u32_e32 v24, v3, v24
	s_waitcnt lgkmcnt(0)
	v_add_nc_u32_e32 v5, v2, v5
	s_delay_alu instid0(VALU_DEP_2) | instskip(SKIP_1) | instid1(VALU_DEP_3)
	v_cndmask_b32_e32 v3, v24, v3, vcc_lo
	v_cmp_gt_u32_e32 vcc_lo, v91, v25
	v_cndmask_b32_e32 v2, v5, v2, vcc_lo
	ds_bpermute_b32 v24, v90, v3
	ds_bpermute_b32 v5, v92, v2
	s_waitcnt lgkmcnt(1)
	v_add_nc_u32_e32 v24, v3, v24
	s_waitcnt lgkmcnt(0)
	v_add_nc_u32_e32 v5, v2, v5
	s_delay_alu instid0(VALU_DEP_2) | instskip(SKIP_1) | instid1(VALU_DEP_3)
	v_cndmask_b32_e32 v3, v24, v3, vcc_lo
	v_cmp_gt_u32_e32 vcc_lo, v93, v25
	v_cndmask_b32_e32 v2, v5, v2, vcc_lo
	ds_bpermute_b32 v24, v92, v3
	ds_bpermute_b32 v5, v94, v2
	s_waitcnt lgkmcnt(1)
	v_add_nc_u32_e32 v24, v3, v24
	s_delay_alu instid0(VALU_DEP_1) | instskip(SKIP_4) | instid1(VALU_DEP_1)
	v_cndmask_b32_e32 v3, v24, v3, vcc_lo
	v_cmp_le_u32_e32 vcc_lo, v95, v25
	ds_bpermute_b32 v24, v94, v3
	s_waitcnt lgkmcnt(1)
	v_cndmask_b32_e32 v5, 0, v5, vcc_lo
	v_add3_u32 v2, v2, v22, v5
	s_waitcnt lgkmcnt(0)
	v_cndmask_b32_e32 v24, 0, v24, vcc_lo
	s_delay_alu instid0(VALU_DEP_1)
	v_add3_u32 v3, v3, v23, v24
.LBB1577_103:                           ; =>This Loop Header: Depth=1
                                        ;     Child Loop BB1577_106 Depth 2
	s_delay_alu instid0(VALU_DEP_1) | instskip(SKIP_1) | instid1(VALU_DEP_2)
	v_dual_mov_b32 v23, v3 :: v_dual_and_b32 v4, 0xff, v4
	v_mov_b32_e32 v22, v2
	v_cmp_ne_u16_e32 vcc_lo, 2, v4
	v_cndmask_b32_e64 v4, 0, 1, vcc_lo
	;;#ASMSTART
	;;#ASMEND
	s_delay_alu instid0(VALU_DEP_1)
	v_cmp_ne_u32_e32 vcc_lo, 0, v4
	s_cmp_lg_u32 vcc_lo, exec_lo
	s_cbranch_scc1 .LBB1577_108
; %bb.104:                              ;   in Loop: Header=BB1577_103 Depth=1
	v_lshlrev_b64 v[2:3], 4, v[20:21]
	s_mov_b32 s8, exec_lo
	s_delay_alu instid0(VALU_DEP_1) | instskip(NEXT) | instid1(VALU_DEP_2)
	v_add_co_u32 v24, vcc_lo, s4, v2
	v_add_co_ci_u32_e32 v25, vcc_lo, s5, v3, vcc_lo
	;;#ASMSTART
	global_load_dwordx4 v[2:5], v[24:25] off glc	
s_waitcnt vmcnt(0)
	;;#ASMEND
	v_and_b32_e32 v5, 0xff, v3
	v_and_b32_e32 v96, 0xff00, v3
	v_or3_b32 v2, v2, 0, 0
	v_and_b32_e32 v97, 0xff000000, v3
	v_and_b32_e32 v3, 0xff0000, v3
	s_delay_alu instid0(VALU_DEP_4) | instskip(SKIP_2) | instid1(VALU_DEP_3)
	v_or3_b32 v5, 0, v5, v96
	v_and_b32_e32 v96, 0xff, v4
	v_or3_b32 v2, v2, 0, 0
	v_or3_b32 v3, v5, v3, v97
	s_delay_alu instid0(VALU_DEP_3)
	v_cmpx_eq_u16_e32 0, v96
	s_cbranch_execz .LBB1577_102
; %bb.105:                              ;   in Loop: Header=BB1577_103 Depth=1
	s_mov_b32 s9, 0
.LBB1577_106:                           ;   Parent Loop BB1577_103 Depth=1
                                        ; =>  This Inner Loop Header: Depth=2
	;;#ASMSTART
	global_load_dwordx4 v[2:5], v[24:25] off glc	
s_waitcnt vmcnt(0)
	;;#ASMEND
	v_and_b32_e32 v5, 0xff, v4
	s_delay_alu instid0(VALU_DEP_1) | instskip(SKIP_1) | instid1(SALU_CYCLE_1)
	v_cmp_ne_u16_e32 vcc_lo, 0, v5
	s_or_b32 s9, vcc_lo, s9
	s_and_not1_b32 exec_lo, exec_lo, s9
	s_cbranch_execnz .LBB1577_106
; %bb.107:                              ;   in Loop: Header=BB1577_103 Depth=1
	s_or_b32 exec_lo, exec_lo, s9
	s_branch .LBB1577_102
.LBB1577_108:                           ;   in Loop: Header=BB1577_103 Depth=1
                                        ; implicit-def: $vgpr4
                                        ; implicit-def: $vgpr2_vgpr3
	s_cbranch_execz .LBB1577_103
; %bb.109:
	s_and_saveexec_b32 s8, s2
	s_cbranch_execnz .LBB1577_352
; %bb.110:
	s_or_b32 exec_lo, exec_lo, s8
	s_and_saveexec_b32 s8, s2
	s_cbranch_execnz .LBB1577_353
.LBB1577_111:
	s_or_b32 exec_lo, exec_lo, s8
	v_cmp_eq_u32_e32 vcc_lo, 0, v0
	s_and_b32 exec_lo, exec_lo, vcc_lo
	s_cbranch_execz .LBB1577_113
.LBB1577_112:
	v_mov_b32_e32 v1, 0
	ds_store_b64 v1, v[22:23] offset:56
.LBB1577_113:
	s_or_b32 exec_lo, exec_lo, s6
	v_cmp_eq_u32_e32 vcc_lo, 0, v0
	v_mov_b32_e32 v1, 0
	s_waitcnt lgkmcnt(0)
	s_barrier
	buffer_gl0_inv
	v_add_nc_u32_e64 v3, 0x3400, 0
	ds_load_b64 v[20:21], v1 offset:56
	s_waitcnt lgkmcnt(0)
	s_barrier
	buffer_gl0_inv
	ds_load_2addr_b32 v[1:2], v3 offset1:2
	ds_load_2addr_b32 v[3:4], v3 offset0:4 offset1:6
	v_cndmask_b32_e64 v5, v84, v18, s2
	v_cndmask_b32_e64 v18, v85, v19, s2
	s_delay_alu instid0(VALU_DEP_2) | instskip(NEXT) | instid1(VALU_DEP_1)
	v_add_nc_u32_e32 v19, v20, v5
	v_dual_cndmask_b32 v20, v19, v20 :: v_dual_add_nc_u32 v5, v21, v18
	s_delay_alu instid0(VALU_DEP_1)
	v_cndmask_b32_e32 v5, v5, v21, vcc_lo
	s_branch .LBB1577_124
.LBB1577_114:
                                        ; implicit-def: $vgpr5
                                        ; implicit-def: $vgpr3
                                        ; implicit-def: $vgpr1
                                        ; implicit-def: $vgpr20_vgpr21
	s_and_b32 vcc_lo, exec_lo, s6
	s_cbranch_vccz .LBB1577_124
; %bb.115:
	s_waitcnt lgkmcnt(0)
	v_mov_b32_dpp v2, v83 row_shr:1 row_mask:0xf bank_mask:0xf
	v_cmp_lt_u32_e32 vcc_lo, 3, v81
	v_mov_b32_dpp v1, v82 row_shr:1 row_mask:0xf bank_mask:0xf
	s_delay_alu instid0(VALU_DEP_3) | instskip(NEXT) | instid1(VALU_DEP_1)
	v_add_nc_u32_e32 v2, v2, v83
	v_cndmask_b32_e64 v2, v2, v83, s1
	s_delay_alu instid0(VALU_DEP_1) | instskip(NEXT) | instid1(VALU_DEP_1)
	v_mov_b32_dpp v4, v2 row_shr:2 row_mask:0xf bank_mask:0xf
	v_add_nc_u32_e32 v4, v2, v4
	s_delay_alu instid0(VALU_DEP_1) | instskip(NEXT) | instid1(VALU_DEP_1)
	v_cndmask_b32_e64 v2, v2, v4, s0
	v_mov_b32_dpp v4, v2 row_shr:4 row_mask:0xf bank_mask:0xf
	s_delay_alu instid0(VALU_DEP_1) | instskip(NEXT) | instid1(VALU_DEP_1)
	v_add_nc_u32_e32 v4, v2, v4
	v_dual_cndmask_b32 v2, v2, v4 :: v_dual_add_nc_u32 v1, v1, v82
	s_delay_alu instid0(VALU_DEP_1) | instskip(NEXT) | instid1(VALU_DEP_2)
	v_cndmask_b32_e64 v1, v1, v82, s1
	v_mov_b32_dpp v4, v2 row_shr:8 row_mask:0xf bank_mask:0xf
	s_delay_alu instid0(VALU_DEP_2) | instskip(NEXT) | instid1(VALU_DEP_2)
	v_mov_b32_dpp v3, v1 row_shr:2 row_mask:0xf bank_mask:0xf
	v_add_nc_u32_e32 v4, v2, v4
	s_delay_alu instid0(VALU_DEP_2) | instskip(NEXT) | instid1(VALU_DEP_1)
	v_add_nc_u32_e32 v3, v1, v3
	v_cndmask_b32_e64 v1, v1, v3, s0
	s_mov_b32 s0, exec_lo
	s_delay_alu instid0(VALU_DEP_1) | instskip(NEXT) | instid1(VALU_DEP_1)
	v_mov_b32_dpp v3, v1 row_shr:4 row_mask:0xf bank_mask:0xf
	v_add_nc_u32_e32 v3, v1, v3
	s_delay_alu instid0(VALU_DEP_1) | instskip(SKIP_1) | instid1(VALU_DEP_2)
	v_cndmask_b32_e32 v1, v1, v3, vcc_lo
	v_cmp_lt_u32_e32 vcc_lo, 7, v81
	v_mov_b32_dpp v3, v1 row_shr:8 row_mask:0xf bank_mask:0xf
	s_delay_alu instid0(VALU_DEP_1) | instskip(NEXT) | instid1(VALU_DEP_1)
	v_dual_cndmask_b32 v2, v2, v4 :: v_dual_add_nc_u32 v3, v1, v3
	v_cndmask_b32_e32 v1, v1, v3, vcc_lo
	ds_swizzle_b32 v3, v2 offset:swizzle(BROADCAST,32,15)
	v_cmp_eq_u32_e32 vcc_lo, 0, v80
	ds_swizzle_b32 v4, v1 offset:swizzle(BROADCAST,32,15)
	s_waitcnt lgkmcnt(1)
	v_add_nc_u32_e32 v3, v2, v3
	s_waitcnt lgkmcnt(0)
	v_add_nc_u32_e32 v4, v1, v4
	s_delay_alu instid0(VALU_DEP_1)
	v_dual_cndmask_b32 v2, v3, v2 :: v_dual_cndmask_b32 v1, v4, v1
	v_cmpx_eq_u32_e64 v79, v0
	s_cbranch_execz .LBB1577_117
; %bb.116:
	v_lshlrev_b32_e32 v3, 3, v78
	ds_store_b64 v3, v[1:2]
.LBB1577_117:
	s_or_b32 exec_lo, exec_lo, s0
	s_delay_alu instid0(SALU_CYCLE_1)
	s_mov_b32 s0, exec_lo
	s_waitcnt lgkmcnt(0)
	s_barrier
	buffer_gl0_inv
	v_cmpx_gt_u32_e32 8, v0
	s_cbranch_execz .LBB1577_119
; %bb.118:
	v_lshlrev_b32_e32 v5, 3, v0
	ds_load_b64 v[3:4], v5
	s_waitcnt lgkmcnt(0)
	v_mov_b32_dpp v18, v3 row_shr:1 row_mask:0xf bank_mask:0xf
	v_mov_b32_dpp v19, v4 row_shr:1 row_mask:0xf bank_mask:0xf
	s_delay_alu instid0(VALU_DEP_2) | instskip(SKIP_1) | instid1(VALU_DEP_3)
	v_add_nc_u32_e32 v18, v18, v3
	v_and_b32_e32 v20, 7, v77
	v_add_nc_u32_e32 v19, v19, v4
	s_delay_alu instid0(VALU_DEP_2) | instskip(NEXT) | instid1(VALU_DEP_2)
	v_cmp_eq_u32_e32 vcc_lo, 0, v20
	v_dual_cndmask_b32 v4, v19, v4 :: v_dual_cndmask_b32 v3, v18, v3
	v_cmp_lt_u32_e32 vcc_lo, 1, v20
	s_delay_alu instid0(VALU_DEP_2) | instskip(NEXT) | instid1(VALU_DEP_3)
	v_mov_b32_dpp v19, v4 row_shr:2 row_mask:0xf bank_mask:0xf
	v_mov_b32_dpp v18, v3 row_shr:2 row_mask:0xf bank_mask:0xf
	s_delay_alu instid0(VALU_DEP_2) | instskip(NEXT) | instid1(VALU_DEP_2)
	v_add_nc_u32_e32 v19, v4, v19
	v_add_nc_u32_e32 v18, v3, v18
	s_delay_alu instid0(VALU_DEP_1) | instskip(SKIP_1) | instid1(VALU_DEP_2)
	v_dual_cndmask_b32 v4, v4, v19 :: v_dual_cndmask_b32 v3, v3, v18
	v_cmp_lt_u32_e32 vcc_lo, 3, v20
	v_mov_b32_dpp v19, v4 row_shr:4 row_mask:0xf bank_mask:0xf
	s_delay_alu instid0(VALU_DEP_3) | instskip(NEXT) | instid1(VALU_DEP_1)
	v_mov_b32_dpp v18, v3 row_shr:4 row_mask:0xf bank_mask:0xf
	v_dual_cndmask_b32 v19, 0, v19 :: v_dual_cndmask_b32 v18, 0, v18
	s_delay_alu instid0(VALU_DEP_1) | instskip(NEXT) | instid1(VALU_DEP_2)
	v_add_nc_u32_e32 v4, v19, v4
	v_add_nc_u32_e32 v3, v18, v3
	ds_store_b64 v5, v[3:4]
.LBB1577_119:
	s_or_b32 exec_lo, exec_lo, s0
	v_dual_mov_b32 v3, 0 :: v_dual_mov_b32 v18, 0
	v_mov_b32_e32 v19, 0
	s_mov_b32 s0, exec_lo
	s_waitcnt lgkmcnt(0)
	s_barrier
	buffer_gl0_inv
	v_cmpx_lt_u32_e32 31, v0
	s_cbranch_execz .LBB1577_121
; %bb.120:
	v_lshl_add_u32 v4, v78, 3, -8
	ds_load_b64 v[18:19], v4
.LBB1577_121:
	s_or_b32 exec_lo, exec_lo, s0
	v_add_nc_u32_e32 v4, -1, v77
	s_waitcnt lgkmcnt(0)
	v_add_nc_u32_e32 v20, v19, v2
	v_add_nc_u32_e32 v5, v18, v1
	ds_load_b64 v[1:2], v3 offset:56
	v_cmp_gt_i32_e32 vcc_lo, 0, v4
	v_cndmask_b32_e32 v4, v4, v77, vcc_lo
	v_cmp_eq_u32_e32 vcc_lo, 0, v0
	s_delay_alu instid0(VALU_DEP_2)
	v_lshlrev_b32_e32 v4, 2, v4
	ds_bpermute_b32 v5, v4, v5
	ds_bpermute_b32 v20, v4, v20
	s_waitcnt lgkmcnt(2)
	v_readfirstlane_b32 s1, v2
	s_and_saveexec_b32 s0, vcc_lo
	s_cbranch_execz .LBB1577_123
; %bb.122:
	s_mov_b32 s6, 0
	s_add_u32 s4, s4, 0x200
	s_addc_u32 s5, s5, 0
	s_and_b32 s7, s1, 0xff000000
	s_and_b32 s9, s1, 0xff0000
	s_mov_b32 s8, s6
	v_mov_b32_e32 v22, s5
	s_or_b64 s[8:9], s[8:9], s[6:7]
	s_and_b32 s7, s1, 0xff00
	v_dual_mov_b32 v4, 0 :: v_dual_mov_b32 v21, s4
	s_or_b64 s[8:9], s[8:9], s[6:7]
	s_and_b32 s7, s1, 0xff
	v_mov_b32_e32 v3, 2
	s_or_b64 s[6:7], s[8:9], s[6:7]
	s_delay_alu instid0(SALU_CYCLE_1)
	v_mov_b32_e32 v2, s7
	;;#ASMSTART
	global_store_dwordx4 v[21:22], v[1:4] off	
s_waitcnt vmcnt(0)
	;;#ASMEND
.LBB1577_123:
	s_or_b32 exec_lo, exec_lo, s0
	v_cmp_eq_u32_e64 s0, 0, v77
	v_dual_mov_b32 v3, 0 :: v_dual_mov_b32 v2, s1
	s_waitcnt lgkmcnt(0)
	s_barrier
	s_delay_alu instid0(VALU_DEP_2)
	v_cndmask_b32_e64 v4, v5, v18, s0
	v_cndmask_b32_e64 v5, v20, v19, s0
	buffer_gl0_inv
	v_cndmask_b32_e64 v20, v4, 0, vcc_lo
	v_cndmask_b32_e64 v5, v5, 0, vcc_lo
	v_mov_b32_e32 v4, 0
.LBB1577_124:
	v_and_b32_e32 v30, 1, v30
	v_and_b32_e32 v34, 1, v34
	;; [unrolled: 1-line block ×4, first 2 shown]
	s_waitcnt lgkmcnt(0)
	v_add_co_u32 v18, s0, s28, v3
	v_cmp_eq_u32_e32 vcc_lo, 1, v30
	v_add_nc_u32_e32 v22, v5, v76
	v_sub_nc_u32_e32 v5, v5, v4
	v_add_co_ci_u32_e64 v19, null, s29, 0, s0
	s_mov_b32 s2, -1
	s_delay_alu instid0(VALU_DEP_3) | instskip(SKIP_3) | instid1(VALU_DEP_3)
	v_add_nc_u32_e32 v24, v22, v72
	v_sub_nc_u32_e32 v22, v22, v4
	v_add_nc_u32_e32 v5, v5, v1
	v_sub_co_u32 v72, s0, s30, v1
	v_add_nc_u32_e32 v22, v22, v1
	v_add_nc_u32_e32 v21, v20, v75
	v_sub_nc_u32_e32 v20, v20, v3
	s_delay_alu instid0(VALU_DEP_2)
	v_add_nc_u32_e32 v23, v21, v71
	v_add_nc_u32_e32 v71, v24, v74
	v_lshlrev_b32_e32 v74, 1, v1
	v_sub_nc_u32_e32 v21, v21, v3
	v_add_nc_u32_e32 v75, v20, v5
	v_sub_nc_u32_e32 v24, v24, v4
	s_delay_alu instid0(VALU_DEP_4) | instskip(NEXT) | instid1(VALU_DEP_4)
	v_add3_u32 v28, v74, v2, v28
	v_add_nc_u32_e32 v76, v22, v21
	s_delay_alu instid0(VALU_DEP_3) | instskip(NEXT) | instid1(VALU_DEP_3)
	v_add_nc_u32_e32 v24, v24, v1
	v_sub_nc_u32_e32 v75, v28, v75
	s_delay_alu instid0(VALU_DEP_3) | instskip(NEXT) | instid1(VALU_DEP_1)
	v_sub_nc_u32_e32 v76, v28, v76
	v_dual_cndmask_b32 v5, v75, v5 :: v_dual_add_nc_u32 v30, 1, v76
	v_cmp_eq_u32_e32 vcc_lo, 1, v34
	s_delay_alu instid0(VALU_DEP_2) | instskip(SKIP_1) | instid1(VALU_DEP_4)
	v_cndmask_b32_e32 v22, v30, v22, vcc_lo
	v_cmp_eq_u32_e32 vcc_lo, 1, v29
	v_cndmask_b32_e32 v5, v5, v20, vcc_lo
	v_and_b32_e32 v20, 1, v36
	v_cmp_eq_u32_e32 vcc_lo, 1, v33
	s_delay_alu instid0(VALU_DEP_3) | instskip(SKIP_1) | instid1(VALU_DEP_4)
	v_lshlrev_b32_e32 v5, 2, v5
	v_cndmask_b32_e32 v21, v22, v21, vcc_lo
	v_cmp_eq_u32_e32 vcc_lo, 1, v20
	v_add_nc_u32_e32 v25, v23, v73
	v_sub_nc_u32_e32 v23, v23, v3
	v_and_b32_e32 v22, 1, v31
	v_sub_co_ci_u32_e64 v73, null, s31, 0, s0
	v_and_b32_e32 v31, 1, v32
	s_delay_alu instid0(VALU_DEP_4) | instskip(NEXT) | instid1(VALU_DEP_1)
	v_add_nc_u32_e32 v77, v24, v23
	v_sub_nc_u32_e32 v75, v28, v77
	s_delay_alu instid0(VALU_DEP_1) | instskip(NEXT) | instid1(VALU_DEP_1)
	v_add_nc_u32_e32 v29, 2, v75
	v_cndmask_b32_e32 v20, v29, v24, vcc_lo
	v_sub_nc_u32_e32 v24, v71, v4
	v_cmp_eq_u32_e32 vcc_lo, 1, v22
	v_add_nc_u32_e32 v69, v25, v69
	v_lshlrev_b32_e32 v29, 2, v21
	ds_store_b32 v5, v16
	ds_store_b32 v29, v17
	v_cndmask_b32_e32 v22, v20, v23, vcc_lo
	v_sub_nc_u32_e32 v23, v25, v3
	v_add_nc_u32_e32 v24, v24, v1
	v_add_co_u32 v20, vcc_lo, v72, v4
	s_delay_alu instid0(VALU_DEP_4) | instskip(SKIP_1) | instid1(VALU_DEP_4)
	v_lshlrev_b32_e32 v5, 2, v22
	v_and_b32_e32 v22, 1, v35
	v_add_nc_u32_e32 v25, v23, v24
	v_add_co_ci_u32_e32 v21, vcc_lo, 0, v73, vcc_lo
	ds_store_b32 v5, v14
	v_cmp_eq_u32_e32 vcc_lo, 1, v22
	v_sub_nc_u32_e32 v17, v28, v25
	v_sub_nc_u32_e32 v29, v69, v3
	v_add_nc_u32_e32 v67, v69, v67
	s_delay_alu instid0(VALU_DEP_3) | instskip(NEXT) | instid1(VALU_DEP_2)
	v_add_nc_u32_e32 v17, 3, v17
	v_sub_nc_u32_e32 v30, v67, v3
	s_delay_alu instid0(VALU_DEP_2) | instskip(SKIP_2) | instid1(VALU_DEP_3)
	v_cndmask_b32_e32 v17, v17, v24, vcc_lo
	v_cmp_eq_u32_e32 vcc_lo, 1, v31
	v_and_b32_e32 v24, 1, v39
	v_cndmask_b32_e32 v14, v17, v23, vcc_lo
	v_add_nc_u32_e32 v70, v71, v70
	v_and_b32_e32 v23, 1, v38
	s_delay_alu instid0(VALU_DEP_3) | instskip(NEXT) | instid1(VALU_DEP_3)
	v_lshlrev_b32_e32 v14, 2, v14
	v_add_nc_u32_e32 v68, v70, v68
	v_sub_nc_u32_e32 v16, v70, v4
	ds_store_b32 v14, v15
	v_sub_nc_u32_e32 v25, v68, v4
	v_add_nc_u32_e32 v16, v16, v1
	s_delay_alu instid0(VALU_DEP_2) | instskip(NEXT) | instid1(VALU_DEP_2)
	v_add_nc_u32_e32 v25, v25, v1
	v_add_nc_u32_e32 v32, v29, v16
	s_delay_alu instid0(VALU_DEP_2) | instskip(NEXT) | instid1(VALU_DEP_2)
	v_add_nc_u32_e32 v22, v30, v25
	v_sub_nc_u32_e32 v5, v28, v32
	s_delay_alu instid0(VALU_DEP_2) | instskip(SKIP_1) | instid1(VALU_DEP_3)
	v_sub_nc_u32_e32 v17, v28, v22
	v_and_b32_e32 v22, 1, v37
	v_add_nc_u32_e32 v5, 4, v5
	s_delay_alu instid0(VALU_DEP_3) | instskip(NEXT) | instid1(VALU_DEP_3)
	v_add_nc_u32_e32 v17, 5, v17
	v_cmp_eq_u32_e32 vcc_lo, 1, v22
	s_delay_alu instid0(VALU_DEP_3)
	v_cndmask_b32_e32 v5, v5, v16, vcc_lo
	v_cmp_eq_u32_e32 vcc_lo, 1, v24
	v_and_b32_e32 v16, 1, v41
	v_cndmask_b32_e32 v17, v17, v25, vcc_lo
	v_cmp_eq_u32_e32 vcc_lo, 1, v23
	v_cndmask_b32_e32 v5, v5, v29, vcc_lo
	s_delay_alu instid0(VALU_DEP_4) | instskip(SKIP_1) | instid1(VALU_DEP_3)
	v_cmp_eq_u32_e32 vcc_lo, 1, v16
	v_add_nc_u32_e32 v66, v68, v66
	v_dual_cndmask_b32 v16, v17, v30 :: v_dual_lshlrev_b32 v5, 2, v5
	s_delay_alu instid0(VALU_DEP_2) | instskip(SKIP_1) | instid1(VALU_DEP_3)
	v_sub_nc_u32_e32 v22, v66, v4
	v_add_nc_u32_e32 v62, v66, v62
	v_lshlrev_b32_e32 v16, 2, v16
	ds_store_b32 v5, v12
	ds_store_b32 v16, v13
	v_and_b32_e32 v12, 1, v40
	v_add_nc_u32_e32 v22, v22, v1
	v_add_nc_u32_e32 v64, v62, v64
	v_sub_nc_u32_e32 v17, v62, v4
	v_and_b32_e32 v16, 1, v43
	v_cmp_eq_u32_e32 vcc_lo, 1, v12
	v_add_nc_u32_e32 v65, v67, v65
	v_sub_nc_u32_e32 v15, v64, v4
	v_add_nc_u32_e32 v17, v17, v1
	s_delay_alu instid0(VALU_DEP_3) | instskip(NEXT) | instid1(VALU_DEP_3)
	v_sub_nc_u32_e32 v23, v65, v3
	v_add_nc_u32_e32 v15, v15, v1
	s_delay_alu instid0(VALU_DEP_2) | instskip(NEXT) | instid1(VALU_DEP_1)
	v_add_nc_u32_e32 v24, v23, v22
	v_sub_nc_u32_e32 v14, v28, v24
	v_and_b32_e32 v24, 1, v48
	s_delay_alu instid0(VALU_DEP_2) | instskip(SKIP_1) | instid1(VALU_DEP_2)
	v_add_nc_u32_e32 v13, 6, v14
	v_and_b32_e32 v14, 1, v42
	v_cndmask_b32_e32 v12, v13, v22, vcc_lo
	v_add_nc_u32_e32 v61, v65, v61
	s_delay_alu instid0(VALU_DEP_3) | instskip(SKIP_1) | instid1(VALU_DEP_3)
	v_cmp_eq_u32_e32 vcc_lo, 1, v14
	v_and_b32_e32 v22, 1, v44
	v_sub_nc_u32_e32 v25, v61, v3
	v_add_nc_u32_e32 v63, v61, v63
	v_cndmask_b32_e32 v12, v12, v23, vcc_lo
	v_cmp_eq_u32_e32 vcc_lo, 1, v16
	v_and_b32_e32 v23, 1, v46
	v_add_nc_u32_e32 v5, v25, v17
	v_sub_nc_u32_e32 v13, v63, v3
	v_lshlrev_b32_e32 v12, 2, v12
	v_add_nc_u32_e32 v59, v63, v59
	s_delay_alu instid0(VALU_DEP_4) | instskip(NEXT) | instid1(VALU_DEP_4)
	v_sub_nc_u32_e32 v5, v28, v5
	v_add_nc_u32_e32 v14, v13, v15
	s_delay_alu instid0(VALU_DEP_3) | instskip(NEXT) | instid1(VALU_DEP_3)
	v_add_nc_u32_e32 v57, v59, v57
	v_add_nc_u32_e32 v5, 7, v5
	s_delay_alu instid0(VALU_DEP_3) | instskip(NEXT) | instid1(VALU_DEP_3)
	v_sub_nc_u32_e32 v14, v28, v14
	v_add_nc_u32_e32 v55, v57, v55
	s_delay_alu instid0(VALU_DEP_3)
	v_cndmask_b32_e32 v5, v5, v17, vcc_lo
	v_cmp_eq_u32_e32 vcc_lo, 1, v22
	v_and_b32_e32 v17, 1, v45
	v_add_nc_u32_e32 v14, 8, v14
	v_sub_nc_u32_e32 v22, v59, v3
	v_add_nc_u32_e32 v53, v55, v53
	v_cndmask_b32_e32 v5, v5, v25, vcc_lo
	v_cmp_eq_u32_e32 vcc_lo, 1, v17
	v_sub_nc_u32_e32 v17, v55, v3
	v_and_b32_e32 v25, 1, v52
	s_delay_alu instid0(VALU_DEP_4)
	v_dual_cndmask_b32 v14, v14, v15 :: v_dual_lshlrev_b32 v5, 2, v5
	v_cmp_eq_u32_e32 vcc_lo, 1, v23
	v_add_nc_u32_e32 v60, v64, v60
	ds_store_b32 v12, v10
	ds_store_b32 v5, v11
	v_and_b32_e32 v11, 1, v49
	v_cndmask_b32_e32 v5, v14, v13, vcc_lo
	v_sub_nc_u32_e32 v16, v60, v4
	v_add_nc_u32_e32 v58, v60, v58
	v_and_b32_e32 v13, 1, v47
	s_delay_alu instid0(VALU_DEP_4) | instskip(NEXT) | instid1(VALU_DEP_4)
	v_lshlrev_b32_e32 v5, 2, v5
	v_add_nc_u32_e32 v16, v16, v1
	s_delay_alu instid0(VALU_DEP_4) | instskip(SKIP_2) | instid1(VALU_DEP_4)
	v_add_nc_u32_e32 v56, v58, v56
	v_sub_nc_u32_e32 v12, v58, v4
	v_cmp_eq_u32_e32 vcc_lo, 1, v13
	v_add_nc_u32_e32 v15, v22, v16
	s_delay_alu instid0(VALU_DEP_4) | instskip(NEXT) | instid1(VALU_DEP_4)
	v_sub_nc_u32_e32 v14, v56, v4
	v_add_nc_u32_e32 v12, v12, v1
	v_add_nc_u32_e32 v54, v56, v54
	s_delay_alu instid0(VALU_DEP_4) | instskip(SKIP_2) | instid1(VALU_DEP_4)
	v_sub_nc_u32_e32 v10, v28, v15
	v_sub_nc_u32_e32 v15, v57, v3
	v_add_nc_u32_e32 v14, v14, v1
	v_sub_nc_u32_e32 v23, v54, v4
	v_sub_nc_u32_e32 v3, v53, v3
	v_add_nc_u32_e32 v10, 9, v10
	v_add_nc_u32_e32 v13, v15, v12
	s_delay_alu instid0(VALU_DEP_2) | instskip(SKIP_2) | instid1(VALU_DEP_4)
	v_dual_cndmask_b32 v10, v10, v16 :: v_dual_add_nc_u32 v23, v23, v1
	v_add_nc_u32_e32 v16, v17, v14
	v_cmp_eq_u32_e32 vcc_lo, 1, v11
	v_sub_nc_u32_e32 v11, v28, v13
	v_and_b32_e32 v13, 1, v50
	s_delay_alu instid0(VALU_DEP_4) | instskip(NEXT) | instid1(VALU_DEP_3)
	v_sub_nc_u32_e32 v16, v28, v16
	v_dual_cndmask_b32 v10, v10, v22 :: v_dual_add_nc_u32 v11, 10, v11
	v_cmp_eq_u32_e32 vcc_lo, 1, v24
	v_add_nc_u32_e32 v22, v3, v23
	s_delay_alu instid0(VALU_DEP_4) | instskip(NEXT) | instid1(VALU_DEP_4)
	v_add_nc_u32_e32 v16, 11, v16
	v_dual_cndmask_b32 v11, v11, v12 :: v_dual_lshlrev_b32 v10, 2, v10
	v_cmp_eq_u32_e32 vcc_lo, 1, v25
	s_delay_alu instid0(VALU_DEP_4) | instskip(SKIP_3) | instid1(VALU_DEP_4)
	v_sub_nc_u32_e32 v22, v28, v22
	v_and_b32_e32 v12, 1, v51
	v_cndmask_b32_e32 v14, v16, v14, vcc_lo
	v_cmp_eq_u32_e32 vcc_lo, 1, v13
	v_dual_cndmask_b32 v11, v11, v15 :: v_dual_add_nc_u32 v16, 12, v22
	s_delay_alu instid0(VALU_DEP_4) | instskip(NEXT) | instid1(VALU_DEP_2)
	v_cmp_eq_u32_e32 vcc_lo, 1, v12
	v_cndmask_b32_e64 v13, v16, v23, s43
	s_delay_alu instid0(VALU_DEP_3) | instskip(NEXT) | instid1(VALU_DEP_2)
	v_dual_cndmask_b32 v12, v14, v17 :: v_dual_lshlrev_b32 v11, 2, v11
	v_cndmask_b32_e64 v3, v13, v3, s42
	s_delay_alu instid0(VALU_DEP_2)
	v_lshlrev_b32_e32 v12, 2, v12
	ds_store_b32 v5, v8
	ds_store_b32 v10, v9
	ds_store_b32 v11, v6
	ds_store_b32 v12, v7
	v_lshlrev_b32_e32 v3, 2, v3
	v_add_co_u32 v5, s0, v2, v74
	s_delay_alu instid0(VALU_DEP_1) | instskip(SKIP_4) | instid1(VALU_DEP_2)
	v_add_co_ci_u32_e64 v6, null, 0, 0, s0
	ds_store_b32 v3, v27
	v_add_co_u32 v3, vcc_lo, v5, v20
	v_add_co_ci_u32_e32 v5, vcc_lo, v6, v21, vcc_lo
	s_add_u32 s0, s34, s33
	v_add_co_u32 v3, vcc_lo, v3, v18
	s_delay_alu instid0(VALU_DEP_2) | instskip(SKIP_1) | instid1(VALU_DEP_2)
	v_add_co_ci_u32_e32 v5, vcc_lo, v5, v19, vcc_lo
	s_addc_u32 s1, s35, 0
	v_sub_co_u32 v3, vcc_lo, s0, v3
	s_delay_alu instid0(VALU_DEP_2)
	v_sub_co_ci_u32_e32 v9, vcc_lo, s1, v5, vcc_lo
	v_lshlrev_b64 v[5:6], 2, v[20:21]
	v_lshlrev_b64 v[7:8], 2, v[18:19]
	v_add_nc_u32_e32 v10, v1, v2
	s_add_u32 s1, s26, -4
	s_waitcnt lgkmcnt(0)
	s_barrier
	v_add_co_u32 v5, vcc_lo, s38, v5
	v_add_co_ci_u32_e32 v6, vcc_lo, s39, v6, vcc_lo
	v_cmp_ne_u32_e32 vcc_lo, 1, v26
	v_add_co_u32 v7, s0, s36, v7
	s_delay_alu instid0(VALU_DEP_1)
	v_add_co_ci_u32_e64 v8, s0, s37, v8, s0
	s_addc_u32 s0, s27, -1
	buffer_gl0_inv
	s_cbranch_vccz .LBB1577_128
; %bb.125:
	s_and_b32 vcc_lo, exec_lo, s2
	s_cbranch_vccnz .LBB1577_233
.LBB1577_126:
	v_cmp_eq_u32_e32 vcc_lo, 0, v0
	s_and_b32 s0, vcc_lo, s14
	s_delay_alu instid0(SALU_CYCLE_1)
	s_and_saveexec_b32 s1, s0
	s_cbranch_execnz .LBB1577_351
.LBB1577_127:
	s_nop 0
	s_sendmsg sendmsg(MSG_DEALLOC_VGPRS)
	s_endpgm
.LBB1577_128:
	s_mov_b32 s2, exec_lo
	v_cmpx_le_u32_e64 v1, v0
	s_xor_b32 s2, exec_lo, s2
	s_cbranch_execz .LBB1577_134
; %bb.129:
	s_mov_b32 s4, exec_lo
	v_cmpx_le_u32_e64 v10, v0
	s_xor_b32 s4, exec_lo, s4
	s_cbranch_execz .LBB1577_131
; %bb.130:
	v_lshlrev_b32_e32 v11, 2, v0
	ds_load_b32 v13, v11
	v_add_co_u32 v11, vcc_lo, v3, v0
	v_add_co_ci_u32_e32 v12, vcc_lo, 0, v9, vcc_lo
	s_delay_alu instid0(VALU_DEP_1) | instskip(NEXT) | instid1(VALU_DEP_1)
	v_lshlrev_b64 v[11:12], 2, v[11:12]
	v_sub_co_u32 v11, vcc_lo, s26, v11
	s_delay_alu instid0(VALU_DEP_2)
	v_sub_co_ci_u32_e32 v12, vcc_lo, s27, v12, vcc_lo
	s_waitcnt lgkmcnt(0)
	global_store_b32 v[11:12], v13, off offset:-4
.LBB1577_131:
	s_and_not1_saveexec_b32 s4, s4
	s_cbranch_execz .LBB1577_133
; %bb.132:
	v_lshlrev_b32_e32 v11, 2, v0
	v_readfirstlane_b32 s6, v5
	v_readfirstlane_b32 s7, v6
	ds_load_b32 v12, v11
	s_waitcnt lgkmcnt(0)
	global_store_b32 v11, v12, s[6:7]
.LBB1577_133:
	s_or_b32 exec_lo, exec_lo, s4
.LBB1577_134:
	s_and_not1_saveexec_b32 s2, s2
	s_cbranch_execz .LBB1577_136
; %bb.135:
	v_lshlrev_b32_e32 v11, 2, v0
	v_readfirstlane_b32 s4, v7
	v_readfirstlane_b32 s5, v8
	ds_load_b32 v12, v11
	s_waitcnt lgkmcnt(0)
	global_store_b32 v11, v12, s[4:5]
.LBB1577_136:
	s_or_b32 exec_lo, exec_lo, s2
	v_or_b32_e32 v11, 0x100, v0
	s_mov_b32 s2, exec_lo
	s_delay_alu instid0(VALU_DEP_1)
	v_cmpx_le_u32_e64 v1, v11
	s_xor_b32 s2, exec_lo, s2
	s_cbranch_execz .LBB1577_142
; %bb.137:
	s_mov_b32 s4, exec_lo
	v_cmpx_le_u32_e64 v10, v11
	s_xor_b32 s4, exec_lo, s4
	s_cbranch_execz .LBB1577_139
; %bb.138:
	v_lshlrev_b32_e32 v11, 2, v0
	ds_load_b32 v13, v11 offset:1024
	v_add_co_u32 v11, vcc_lo, v3, v0
	v_add_co_ci_u32_e32 v12, vcc_lo, 0, v9, vcc_lo
	s_delay_alu instid0(VALU_DEP_1) | instskip(NEXT) | instid1(VALU_DEP_1)
	v_lshlrev_b64 v[11:12], 2, v[11:12]
	v_sub_co_u32 v11, vcc_lo, s1, v11
	s_delay_alu instid0(VALU_DEP_2)
	v_sub_co_ci_u32_e32 v12, vcc_lo, s0, v12, vcc_lo
	s_waitcnt lgkmcnt(0)
	global_store_b32 v[11:12], v13, off offset:-1024
.LBB1577_139:
	s_and_not1_saveexec_b32 s4, s4
	s_cbranch_execz .LBB1577_141
; %bb.140:
	v_lshlrev_b32_e32 v11, 2, v0
	v_readfirstlane_b32 s6, v5
	v_readfirstlane_b32 s7, v6
	ds_load_b32 v12, v11 offset:1024
	s_waitcnt lgkmcnt(0)
	global_store_b32 v11, v12, s[6:7] offset:1024
.LBB1577_141:
	s_or_b32 exec_lo, exec_lo, s4
.LBB1577_142:
	s_and_not1_saveexec_b32 s2, s2
	s_cbranch_execz .LBB1577_144
; %bb.143:
	v_lshlrev_b32_e32 v11, 2, v0
	v_readfirstlane_b32 s4, v7
	v_readfirstlane_b32 s5, v8
	ds_load_b32 v12, v11 offset:1024
	s_waitcnt lgkmcnt(0)
	global_store_b32 v11, v12, s[4:5] offset:1024
.LBB1577_144:
	s_or_b32 exec_lo, exec_lo, s2
	v_or_b32_e32 v11, 0x200, v0
	s_mov_b32 s2, exec_lo
	s_delay_alu instid0(VALU_DEP_1)
	v_cmpx_le_u32_e64 v1, v11
	s_xor_b32 s2, exec_lo, s2
	s_cbranch_execz .LBB1577_150
; %bb.145:
	s_mov_b32 s4, exec_lo
	v_cmpx_le_u32_e64 v10, v11
	s_xor_b32 s4, exec_lo, s4
	s_cbranch_execz .LBB1577_147
; %bb.146:
	v_lshlrev_b32_e32 v11, 2, v0
	ds_load_b32 v13, v11 offset:2048
	v_add_co_u32 v11, vcc_lo, v3, v0
	v_add_co_ci_u32_e32 v12, vcc_lo, 0, v9, vcc_lo
	s_delay_alu instid0(VALU_DEP_1) | instskip(NEXT) | instid1(VALU_DEP_1)
	v_lshlrev_b64 v[11:12], 2, v[11:12]
	v_sub_co_u32 v11, vcc_lo, s1, v11
	s_delay_alu instid0(VALU_DEP_2)
	v_sub_co_ci_u32_e32 v12, vcc_lo, s0, v12, vcc_lo
	s_waitcnt lgkmcnt(0)
	global_store_b32 v[11:12], v13, off offset:-2048
.LBB1577_147:
	s_and_not1_saveexec_b32 s4, s4
	s_cbranch_execz .LBB1577_149
; %bb.148:
	v_lshlrev_b32_e32 v11, 2, v0
	v_readfirstlane_b32 s6, v5
	v_readfirstlane_b32 s7, v6
	ds_load_b32 v12, v11 offset:2048
	s_waitcnt lgkmcnt(0)
	global_store_b32 v11, v12, s[6:7] offset:2048
.LBB1577_149:
	s_or_b32 exec_lo, exec_lo, s4
.LBB1577_150:
	s_and_not1_saveexec_b32 s2, s2
	s_cbranch_execz .LBB1577_152
; %bb.151:
	v_lshlrev_b32_e32 v11, 2, v0
	v_readfirstlane_b32 s4, v7
	v_readfirstlane_b32 s5, v8
	ds_load_b32 v12, v11 offset:2048
	s_waitcnt lgkmcnt(0)
	global_store_b32 v11, v12, s[4:5] offset:2048
.LBB1577_152:
	;; [unrolled: 47-line block ×3, first 2 shown]
	s_or_b32 exec_lo, exec_lo, s2
	v_or_b32_e32 v11, 0x400, v0
	s_mov_b32 s2, exec_lo
	s_delay_alu instid0(VALU_DEP_1)
	v_cmpx_le_u32_e64 v1, v11
	s_xor_b32 s2, exec_lo, s2
	s_cbranch_execz .LBB1577_166
; %bb.161:
	s_mov_b32 s4, exec_lo
	v_cmpx_le_u32_e64 v10, v11
	s_xor_b32 s4, exec_lo, s4
	s_cbranch_execz .LBB1577_163
; %bb.162:
	v_lshlrev_b32_e32 v11, 2, v0
	ds_load_b32 v13, v11 offset:4096
	v_add_co_u32 v11, vcc_lo, v3, v0
	v_add_co_ci_u32_e32 v12, vcc_lo, 0, v9, vcc_lo
	s_delay_alu instid0(VALU_DEP_1) | instskip(NEXT) | instid1(VALU_DEP_1)
	v_lshlrev_b64 v[11:12], 2, v[11:12]
	v_sub_co_u32 v11, vcc_lo, s1, v11
	s_delay_alu instid0(VALU_DEP_2)
	v_sub_co_ci_u32_e32 v12, vcc_lo, s0, v12, vcc_lo
	s_waitcnt lgkmcnt(0)
	global_store_b32 v[11:12], v13, off offset:-4096
                                        ; implicit-def: $vgpr11
.LBB1577_163:
	s_and_not1_saveexec_b32 s4, s4
	s_cbranch_execz .LBB1577_165
; %bb.164:
	v_lshlrev_b32_e32 v12, 2, v0
	v_lshlrev_b32_e32 v11, 2, v11
	v_readfirstlane_b32 s6, v5
	v_readfirstlane_b32 s7, v6
	ds_load_b32 v12, v12 offset:4096
	s_waitcnt lgkmcnt(0)
	global_store_b32 v11, v12, s[6:7]
.LBB1577_165:
	s_or_b32 exec_lo, exec_lo, s4
                                        ; implicit-def: $vgpr11
.LBB1577_166:
	s_and_not1_saveexec_b32 s2, s2
	s_cbranch_execz .LBB1577_168
; %bb.167:
	v_lshlrev_b32_e32 v12, 2, v0
	v_lshlrev_b32_e32 v11, 2, v11
	v_readfirstlane_b32 s4, v7
	v_readfirstlane_b32 s5, v8
	ds_load_b32 v12, v12 offset:4096
	s_waitcnt lgkmcnt(0)
	global_store_b32 v11, v12, s[4:5]
.LBB1577_168:
	s_or_b32 exec_lo, exec_lo, s2
	v_or_b32_e32 v11, 0x500, v0
	s_mov_b32 s2, exec_lo
	s_delay_alu instid0(VALU_DEP_1)
	v_cmpx_le_u32_e64 v1, v11
	s_xor_b32 s2, exec_lo, s2
	s_cbranch_execz .LBB1577_174
; %bb.169:
	s_mov_b32 s4, exec_lo
	v_cmpx_le_u32_e64 v10, v11
	s_xor_b32 s4, exec_lo, s4
	s_cbranch_execz .LBB1577_171
; %bb.170:
	v_lshlrev_b32_e32 v12, 2, v0
	v_add_co_u32 v11, vcc_lo, v3, v11
	ds_load_b32 v13, v12 offset:5120
	v_add_co_ci_u32_e32 v12, vcc_lo, 0, v9, vcc_lo
	s_delay_alu instid0(VALU_DEP_1) | instskip(NEXT) | instid1(VALU_DEP_1)
	v_lshlrev_b64 v[11:12], 2, v[11:12]
	v_sub_co_u32 v11, vcc_lo, s1, v11
	s_delay_alu instid0(VALU_DEP_2)
	v_sub_co_ci_u32_e32 v12, vcc_lo, s0, v12, vcc_lo
	s_waitcnt lgkmcnt(0)
	global_store_b32 v[11:12], v13, off
                                        ; implicit-def: $vgpr11
.LBB1577_171:
	s_and_not1_saveexec_b32 s4, s4
	s_cbranch_execz .LBB1577_173
; %bb.172:
	v_lshlrev_b32_e32 v12, 2, v0
	v_lshlrev_b32_e32 v11, 2, v11
	v_readfirstlane_b32 s6, v5
	v_readfirstlane_b32 s7, v6
	ds_load_b32 v12, v12 offset:5120
	s_waitcnt lgkmcnt(0)
	global_store_b32 v11, v12, s[6:7]
.LBB1577_173:
	s_or_b32 exec_lo, exec_lo, s4
                                        ; implicit-def: $vgpr11
.LBB1577_174:
	s_and_not1_saveexec_b32 s2, s2
	s_cbranch_execz .LBB1577_176
; %bb.175:
	v_lshlrev_b32_e32 v12, 2, v0
	v_lshlrev_b32_e32 v11, 2, v11
	v_readfirstlane_b32 s4, v7
	v_readfirstlane_b32 s5, v8
	ds_load_b32 v12, v12 offset:5120
	s_waitcnt lgkmcnt(0)
	global_store_b32 v11, v12, s[4:5]
.LBB1577_176:
	s_or_b32 exec_lo, exec_lo, s2
	v_or_b32_e32 v11, 0x600, v0
	s_mov_b32 s2, exec_lo
	s_delay_alu instid0(VALU_DEP_1)
	v_cmpx_le_u32_e64 v1, v11
	s_xor_b32 s2, exec_lo, s2
	s_cbranch_execz .LBB1577_182
; %bb.177:
	s_mov_b32 s4, exec_lo
	v_cmpx_le_u32_e64 v10, v11
	s_xor_b32 s4, exec_lo, s4
	s_cbranch_execz .LBB1577_179
; %bb.178:
	v_lshlrev_b32_e32 v12, 2, v0
	v_add_co_u32 v11, vcc_lo, v3, v11
	ds_load_b32 v13, v12 offset:6144
	v_add_co_ci_u32_e32 v12, vcc_lo, 0, v9, vcc_lo
	s_delay_alu instid0(VALU_DEP_1) | instskip(NEXT) | instid1(VALU_DEP_1)
	v_lshlrev_b64 v[11:12], 2, v[11:12]
	v_sub_co_u32 v11, vcc_lo, s1, v11
	s_delay_alu instid0(VALU_DEP_2)
	v_sub_co_ci_u32_e32 v12, vcc_lo, s0, v12, vcc_lo
	s_waitcnt lgkmcnt(0)
	global_store_b32 v[11:12], v13, off
                                        ; implicit-def: $vgpr11
.LBB1577_179:
	s_and_not1_saveexec_b32 s4, s4
	s_cbranch_execz .LBB1577_181
; %bb.180:
	v_lshlrev_b32_e32 v12, 2, v0
	v_lshlrev_b32_e32 v11, 2, v11
	v_readfirstlane_b32 s6, v5
	v_readfirstlane_b32 s7, v6
	ds_load_b32 v12, v12 offset:6144
	s_waitcnt lgkmcnt(0)
	global_store_b32 v11, v12, s[6:7]
.LBB1577_181:
	s_or_b32 exec_lo, exec_lo, s4
                                        ; implicit-def: $vgpr11
.LBB1577_182:
	;; [unrolled: 51-line block ×8, first 2 shown]
	s_and_not1_saveexec_b32 s2, s2
	s_cbranch_execz .LBB1577_232
; %bb.231:
	v_lshlrev_b32_e32 v12, 2, v0
	v_lshlrev_b32_e32 v11, 2, v11
	v_readfirstlane_b32 s4, v7
	v_readfirstlane_b32 s5, v8
	ds_load_b32 v12, v12 offset:12288
	s_waitcnt lgkmcnt(0)
	global_store_b32 v11, v12, s[4:5]
.LBB1577_232:
	s_or_b32 exec_lo, exec_lo, s2
	s_branch .LBB1577_126
.LBB1577_233:
	s_mov_b32 s2, exec_lo
	v_cmpx_gt_u32_e64 s3, v0
	s_cbranch_execz .LBB1577_242
; %bb.234:
	s_mov_b32 s4, exec_lo
	v_cmpx_le_u32_e64 v1, v0
	s_xor_b32 s4, exec_lo, s4
	s_cbranch_execz .LBB1577_240
; %bb.235:
	s_mov_b32 s5, exec_lo
	v_cmpx_le_u32_e64 v10, v0
	s_xor_b32 s5, exec_lo, s5
	s_cbranch_execz .LBB1577_237
; %bb.236:
	v_lshlrev_b32_e32 v11, 2, v0
	ds_load_b32 v13, v11
	v_add_co_u32 v11, vcc_lo, v3, v0
	v_add_co_ci_u32_e32 v12, vcc_lo, 0, v9, vcc_lo
	s_delay_alu instid0(VALU_DEP_1) | instskip(NEXT) | instid1(VALU_DEP_1)
	v_lshlrev_b64 v[11:12], 2, v[11:12]
	v_sub_co_u32 v11, vcc_lo, s26, v11
	s_delay_alu instid0(VALU_DEP_2)
	v_sub_co_ci_u32_e32 v12, vcc_lo, s27, v12, vcc_lo
	s_waitcnt lgkmcnt(0)
	global_store_b32 v[11:12], v13, off offset:-4
.LBB1577_237:
	s_and_not1_saveexec_b32 s5, s5
	s_cbranch_execz .LBB1577_239
; %bb.238:
	v_lshlrev_b32_e32 v11, 2, v0
	v_readfirstlane_b32 s6, v5
	v_readfirstlane_b32 s7, v6
	ds_load_b32 v12, v11
	s_waitcnt lgkmcnt(0)
	global_store_b32 v11, v12, s[6:7]
.LBB1577_239:
	s_or_b32 exec_lo, exec_lo, s5
.LBB1577_240:
	s_and_not1_saveexec_b32 s4, s4
	s_cbranch_execz .LBB1577_242
; %bb.241:
	v_lshlrev_b32_e32 v11, 2, v0
	v_readfirstlane_b32 s4, v7
	v_readfirstlane_b32 s5, v8
	ds_load_b32 v12, v11
	s_waitcnt lgkmcnt(0)
	global_store_b32 v11, v12, s[4:5]
.LBB1577_242:
	s_or_b32 exec_lo, exec_lo, s2
	v_or_b32_e32 v11, 0x100, v0
	s_mov_b32 s2, exec_lo
	s_delay_alu instid0(VALU_DEP_1)
	v_cmpx_gt_u32_e64 s3, v11
	s_cbranch_execz .LBB1577_251
; %bb.243:
	s_mov_b32 s4, exec_lo
	v_cmpx_le_u32_e64 v1, v11
	s_xor_b32 s4, exec_lo, s4
	s_cbranch_execz .LBB1577_249
; %bb.244:
	s_mov_b32 s5, exec_lo
	v_cmpx_le_u32_e64 v10, v11
	s_xor_b32 s5, exec_lo, s5
	s_cbranch_execz .LBB1577_246
; %bb.245:
	v_lshlrev_b32_e32 v11, 2, v0
	ds_load_b32 v13, v11 offset:1024
	v_add_co_u32 v11, vcc_lo, v3, v0
	v_add_co_ci_u32_e32 v12, vcc_lo, 0, v9, vcc_lo
	s_delay_alu instid0(VALU_DEP_1) | instskip(NEXT) | instid1(VALU_DEP_1)
	v_lshlrev_b64 v[11:12], 2, v[11:12]
	v_sub_co_u32 v11, vcc_lo, s1, v11
	s_delay_alu instid0(VALU_DEP_2)
	v_sub_co_ci_u32_e32 v12, vcc_lo, s0, v12, vcc_lo
	s_waitcnt lgkmcnt(0)
	global_store_b32 v[11:12], v13, off offset:-1024
.LBB1577_246:
	s_and_not1_saveexec_b32 s5, s5
	s_cbranch_execz .LBB1577_248
; %bb.247:
	v_lshlrev_b32_e32 v11, 2, v0
	v_readfirstlane_b32 s6, v5
	v_readfirstlane_b32 s7, v6
	ds_load_b32 v12, v11 offset:1024
	s_waitcnt lgkmcnt(0)
	global_store_b32 v11, v12, s[6:7] offset:1024
.LBB1577_248:
	s_or_b32 exec_lo, exec_lo, s5
.LBB1577_249:
	s_and_not1_saveexec_b32 s4, s4
	s_cbranch_execz .LBB1577_251
; %bb.250:
	v_lshlrev_b32_e32 v11, 2, v0
	v_readfirstlane_b32 s4, v7
	v_readfirstlane_b32 s5, v8
	ds_load_b32 v12, v11 offset:1024
	s_waitcnt lgkmcnt(0)
	global_store_b32 v11, v12, s[4:5] offset:1024
.LBB1577_251:
	s_or_b32 exec_lo, exec_lo, s2
	v_or_b32_e32 v11, 0x200, v0
	s_mov_b32 s2, exec_lo
	s_delay_alu instid0(VALU_DEP_1)
	v_cmpx_gt_u32_e64 s3, v11
	s_cbranch_execz .LBB1577_260
; %bb.252:
	s_mov_b32 s4, exec_lo
	v_cmpx_le_u32_e64 v1, v11
	s_xor_b32 s4, exec_lo, s4
	s_cbranch_execz .LBB1577_258
; %bb.253:
	s_mov_b32 s5, exec_lo
	v_cmpx_le_u32_e64 v10, v11
	s_xor_b32 s5, exec_lo, s5
	s_cbranch_execz .LBB1577_255
; %bb.254:
	v_lshlrev_b32_e32 v11, 2, v0
	ds_load_b32 v13, v11 offset:2048
	v_add_co_u32 v11, vcc_lo, v3, v0
	v_add_co_ci_u32_e32 v12, vcc_lo, 0, v9, vcc_lo
	s_delay_alu instid0(VALU_DEP_1) | instskip(NEXT) | instid1(VALU_DEP_1)
	v_lshlrev_b64 v[11:12], 2, v[11:12]
	v_sub_co_u32 v11, vcc_lo, s1, v11
	s_delay_alu instid0(VALU_DEP_2)
	v_sub_co_ci_u32_e32 v12, vcc_lo, s0, v12, vcc_lo
	s_waitcnt lgkmcnt(0)
	global_store_b32 v[11:12], v13, off offset:-2048
.LBB1577_255:
	s_and_not1_saveexec_b32 s5, s5
	s_cbranch_execz .LBB1577_257
; %bb.256:
	v_lshlrev_b32_e32 v11, 2, v0
	v_readfirstlane_b32 s6, v5
	v_readfirstlane_b32 s7, v6
	ds_load_b32 v12, v11 offset:2048
	s_waitcnt lgkmcnt(0)
	global_store_b32 v11, v12, s[6:7] offset:2048
.LBB1577_257:
	s_or_b32 exec_lo, exec_lo, s5
.LBB1577_258:
	s_and_not1_saveexec_b32 s4, s4
	s_cbranch_execz .LBB1577_260
; %bb.259:
	v_lshlrev_b32_e32 v11, 2, v0
	v_readfirstlane_b32 s4, v7
	v_readfirstlane_b32 s5, v8
	ds_load_b32 v12, v11 offset:2048
	s_waitcnt lgkmcnt(0)
	global_store_b32 v11, v12, s[4:5] offset:2048
.LBB1577_260:
	;; [unrolled: 51-line block ×3, first 2 shown]
	s_or_b32 exec_lo, exec_lo, s2
	v_or_b32_e32 v11, 0x400, v0
	s_mov_b32 s2, exec_lo
	s_delay_alu instid0(VALU_DEP_1)
	v_cmpx_gt_u32_e64 s3, v11
	s_cbranch_execz .LBB1577_278
; %bb.270:
	s_mov_b32 s4, exec_lo
	v_cmpx_le_u32_e64 v1, v11
	s_xor_b32 s4, exec_lo, s4
	s_cbranch_execz .LBB1577_276
; %bb.271:
	s_mov_b32 s5, exec_lo
	v_cmpx_le_u32_e64 v10, v11
	s_xor_b32 s5, exec_lo, s5
	s_cbranch_execz .LBB1577_273
; %bb.272:
	v_lshlrev_b32_e32 v11, 2, v0
	ds_load_b32 v13, v11 offset:4096
	v_add_co_u32 v11, vcc_lo, v3, v0
	v_add_co_ci_u32_e32 v12, vcc_lo, 0, v9, vcc_lo
	s_delay_alu instid0(VALU_DEP_1) | instskip(NEXT) | instid1(VALU_DEP_1)
	v_lshlrev_b64 v[11:12], 2, v[11:12]
	v_sub_co_u32 v11, vcc_lo, s1, v11
	s_delay_alu instid0(VALU_DEP_2)
	v_sub_co_ci_u32_e32 v12, vcc_lo, s0, v12, vcc_lo
	s_waitcnt lgkmcnt(0)
	global_store_b32 v[11:12], v13, off offset:-4096
                                        ; implicit-def: $vgpr11
.LBB1577_273:
	s_and_not1_saveexec_b32 s5, s5
	s_cbranch_execz .LBB1577_275
; %bb.274:
	v_lshlrev_b32_e32 v12, 2, v0
	v_lshlrev_b32_e32 v11, 2, v11
	v_readfirstlane_b32 s6, v5
	v_readfirstlane_b32 s7, v6
	ds_load_b32 v12, v12 offset:4096
	s_waitcnt lgkmcnt(0)
	global_store_b32 v11, v12, s[6:7]
.LBB1577_275:
	s_or_b32 exec_lo, exec_lo, s5
                                        ; implicit-def: $vgpr11
.LBB1577_276:
	s_and_not1_saveexec_b32 s4, s4
	s_cbranch_execz .LBB1577_278
; %bb.277:
	v_lshlrev_b32_e32 v12, 2, v0
	v_lshlrev_b32_e32 v11, 2, v11
	v_readfirstlane_b32 s4, v7
	v_readfirstlane_b32 s5, v8
	ds_load_b32 v12, v12 offset:4096
	s_waitcnt lgkmcnt(0)
	global_store_b32 v11, v12, s[4:5]
.LBB1577_278:
	s_or_b32 exec_lo, exec_lo, s2
	v_or_b32_e32 v11, 0x500, v0
	s_mov_b32 s2, exec_lo
	s_delay_alu instid0(VALU_DEP_1)
	v_cmpx_gt_u32_e64 s3, v11
	s_cbranch_execz .LBB1577_287
; %bb.279:
	s_mov_b32 s4, exec_lo
	v_cmpx_le_u32_e64 v1, v11
	s_xor_b32 s4, exec_lo, s4
	s_cbranch_execz .LBB1577_285
; %bb.280:
	s_mov_b32 s5, exec_lo
	v_cmpx_le_u32_e64 v10, v11
	s_xor_b32 s5, exec_lo, s5
	s_cbranch_execz .LBB1577_282
; %bb.281:
	v_lshlrev_b32_e32 v12, 2, v0
	v_add_co_u32 v11, vcc_lo, v3, v11
	ds_load_b32 v13, v12 offset:5120
	v_add_co_ci_u32_e32 v12, vcc_lo, 0, v9, vcc_lo
	s_delay_alu instid0(VALU_DEP_1) | instskip(NEXT) | instid1(VALU_DEP_1)
	v_lshlrev_b64 v[11:12], 2, v[11:12]
	v_sub_co_u32 v11, vcc_lo, s1, v11
	s_delay_alu instid0(VALU_DEP_2)
	v_sub_co_ci_u32_e32 v12, vcc_lo, s0, v12, vcc_lo
	s_waitcnt lgkmcnt(0)
	global_store_b32 v[11:12], v13, off
                                        ; implicit-def: $vgpr11
.LBB1577_282:
	s_and_not1_saveexec_b32 s5, s5
	s_cbranch_execz .LBB1577_284
; %bb.283:
	v_lshlrev_b32_e32 v12, 2, v0
	v_lshlrev_b32_e32 v11, 2, v11
	v_readfirstlane_b32 s6, v5
	v_readfirstlane_b32 s7, v6
	ds_load_b32 v12, v12 offset:5120
	s_waitcnt lgkmcnt(0)
	global_store_b32 v11, v12, s[6:7]
.LBB1577_284:
	s_or_b32 exec_lo, exec_lo, s5
                                        ; implicit-def: $vgpr11
.LBB1577_285:
	s_and_not1_saveexec_b32 s4, s4
	s_cbranch_execz .LBB1577_287
; %bb.286:
	v_lshlrev_b32_e32 v12, 2, v0
	v_lshlrev_b32_e32 v11, 2, v11
	v_readfirstlane_b32 s4, v7
	v_readfirstlane_b32 s5, v8
	ds_load_b32 v12, v12 offset:5120
	s_waitcnt lgkmcnt(0)
	global_store_b32 v11, v12, s[4:5]
.LBB1577_287:
	s_or_b32 exec_lo, exec_lo, s2
	v_or_b32_e32 v11, 0x600, v0
	s_mov_b32 s2, exec_lo
	s_delay_alu instid0(VALU_DEP_1)
	v_cmpx_gt_u32_e64 s3, v11
	s_cbranch_execz .LBB1577_296
; %bb.288:
	s_mov_b32 s4, exec_lo
	v_cmpx_le_u32_e64 v1, v11
	s_xor_b32 s4, exec_lo, s4
	s_cbranch_execz .LBB1577_294
; %bb.289:
	s_mov_b32 s5, exec_lo
	v_cmpx_le_u32_e64 v10, v11
	s_xor_b32 s5, exec_lo, s5
	s_cbranch_execz .LBB1577_291
; %bb.290:
	v_lshlrev_b32_e32 v12, 2, v0
	v_add_co_u32 v11, vcc_lo, v3, v11
	ds_load_b32 v13, v12 offset:6144
	v_add_co_ci_u32_e32 v12, vcc_lo, 0, v9, vcc_lo
	s_delay_alu instid0(VALU_DEP_1) | instskip(NEXT) | instid1(VALU_DEP_1)
	v_lshlrev_b64 v[11:12], 2, v[11:12]
	v_sub_co_u32 v11, vcc_lo, s1, v11
	s_delay_alu instid0(VALU_DEP_2)
	v_sub_co_ci_u32_e32 v12, vcc_lo, s0, v12, vcc_lo
	s_waitcnt lgkmcnt(0)
	global_store_b32 v[11:12], v13, off
                                        ; implicit-def: $vgpr11
.LBB1577_291:
	s_and_not1_saveexec_b32 s5, s5
	s_cbranch_execz .LBB1577_293
; %bb.292:
	v_lshlrev_b32_e32 v12, 2, v0
	v_lshlrev_b32_e32 v11, 2, v11
	v_readfirstlane_b32 s6, v5
	v_readfirstlane_b32 s7, v6
	ds_load_b32 v12, v12 offset:6144
	s_waitcnt lgkmcnt(0)
	global_store_b32 v11, v12, s[6:7]
.LBB1577_293:
	s_or_b32 exec_lo, exec_lo, s5
                                        ; implicit-def: $vgpr11
.LBB1577_294:
	s_and_not1_saveexec_b32 s4, s4
	s_cbranch_execz .LBB1577_296
; %bb.295:
	v_lshlrev_b32_e32 v12, 2, v0
	v_lshlrev_b32_e32 v11, 2, v11
	v_readfirstlane_b32 s4, v7
	v_readfirstlane_b32 s5, v8
	ds_load_b32 v12, v12 offset:6144
	s_waitcnt lgkmcnt(0)
	global_store_b32 v11, v12, s[4:5]
.LBB1577_296:
	;; [unrolled: 55-line block ×7, first 2 shown]
	s_or_b32 exec_lo, exec_lo, s2
	v_or_b32_e32 v11, 0xc00, v0
	s_mov_b32 s2, exec_lo
	s_delay_alu instid0(VALU_DEP_1)
	v_cmpx_gt_u32_e64 s3, v11
	s_cbranch_execz .LBB1577_350
; %bb.342:
	s_mov_b32 s3, exec_lo
	v_cmpx_le_u32_e64 v1, v11
	s_xor_b32 s3, exec_lo, s3
	s_cbranch_execz .LBB1577_348
; %bb.343:
	s_mov_b32 s4, exec_lo
	v_cmpx_le_u32_e64 v10, v11
	s_xor_b32 s4, exec_lo, s4
	s_cbranch_execz .LBB1577_345
; %bb.344:
	v_lshlrev_b32_e32 v5, 2, v0
	ds_load_b32 v7, v5 offset:12288
	v_add_co_u32 v5, vcc_lo, v3, v11
	v_add_co_ci_u32_e32 v6, vcc_lo, 0, v9, vcc_lo
                                        ; implicit-def: $vgpr11
	s_delay_alu instid0(VALU_DEP_1) | instskip(NEXT) | instid1(VALU_DEP_1)
	v_lshlrev_b64 v[5:6], 2, v[5:6]
	v_sub_co_u32 v5, vcc_lo, s1, v5
	s_delay_alu instid0(VALU_DEP_2)
	v_sub_co_ci_u32_e32 v6, vcc_lo, s0, v6, vcc_lo
	s_waitcnt lgkmcnt(0)
	global_store_b32 v[5:6], v7, off
                                        ; implicit-def: $vgpr5_vgpr6
.LBB1577_345:
	s_and_not1_saveexec_b32 s0, s4
	s_cbranch_execz .LBB1577_347
; %bb.346:
	v_lshlrev_b32_e32 v3, 2, v0
	v_lshlrev_b32_e32 v7, 2, v11
	v_readfirstlane_b32 s4, v5
	v_readfirstlane_b32 s5, v6
	ds_load_b32 v3, v3 offset:12288
	s_waitcnt lgkmcnt(0)
	global_store_b32 v7, v3, s[4:5]
.LBB1577_347:
	s_or_b32 exec_lo, exec_lo, s0
                                        ; implicit-def: $vgpr11
                                        ; implicit-def: $vgpr7_vgpr8
.LBB1577_348:
	s_and_not1_saveexec_b32 s0, s3
	s_cbranch_execz .LBB1577_350
; %bb.349:
	v_lshlrev_b32_e32 v3, 2, v0
	v_lshlrev_b32_e32 v5, 2, v11
	v_readfirstlane_b32 s0, v7
	v_readfirstlane_b32 s1, v8
	ds_load_b32 v3, v3 offset:12288
	s_waitcnt lgkmcnt(0)
	global_store_b32 v5, v3, s[0:1]
.LBB1577_350:
	s_or_b32 exec_lo, exec_lo, s2
	v_cmp_eq_u32_e32 vcc_lo, 0, v0
	s_and_b32 s0, vcc_lo, s14
	s_delay_alu instid0(SALU_CYCLE_1)
	s_and_saveexec_b32 s1, s0
	s_cbranch_execz .LBB1577_127
.LBB1577_351:
	v_add_co_u32 v2, s0, s30, v2
	s_delay_alu instid0(VALU_DEP_1) | instskip(SKIP_2) | instid1(VALU_DEP_4)
	v_add_co_ci_u32_e64 v3, null, s31, 0, s0
	v_add_co_u32 v0, vcc_lo, v18, v1
	v_add_co_ci_u32_e32 v1, vcc_lo, 0, v19, vcc_lo
	v_add_co_u32 v2, vcc_lo, v2, v4
	v_mov_b32_e32 v5, 0
	v_add_co_ci_u32_e32 v3, vcc_lo, 0, v3, vcc_lo
	global_store_b128 v5, v[0:3], s[24:25]
	s_nop 0
	s_sendmsg sendmsg(MSG_DEALLOC_VGPRS)
	s_endpgm
.LBB1577_352:
	v_add_nc_u32_e32 v3, s7, v23
	s_add_i32 s10, s15, 32
	s_mov_b32 s11, 0
	v_dual_mov_b32 v5, 0 :: v_dual_add_nc_u32 v2, v22, v1
	s_lshl_b64 s[10:11], s[10:11], 4
	v_and_b32_e32 v20, 0xff0000, v3
	s_add_u32 s10, s4, s10
	s_addc_u32 s11, s5, s11
	v_and_b32_e32 v4, 0xff000000, v3
	s_delay_alu instid0(VALU_DEP_1) | instskip(SKIP_2) | instid1(VALU_DEP_1)
	v_or_b32_e32 v20, v20, v4
	v_dual_mov_b32 v4, 2 :: v_dual_and_b32 v21, 0xff00, v3
	v_and_b32_e32 v3, 0xff, v3
	v_or3_b32 v3, v20, v21, v3
	v_dual_mov_b32 v21, s11 :: v_dual_mov_b32 v20, s10
	;;#ASMSTART
	global_store_dwordx4 v[20:21], v[2:5] off	
s_waitcnt vmcnt(0)
	;;#ASMEND
	s_or_b32 exec_lo, exec_lo, s8
	s_and_saveexec_b32 s8, s2
	s_cbranch_execz .LBB1577_111
.LBB1577_353:
	v_mov_b32_e32 v2, s7
	v_add_nc_u32_e64 v3, 0x3400, 0
	ds_store_2addr_b32 v3, v1, v2 offset1:2
	ds_store_2addr_b32 v3, v22, v23 offset0:4 offset1:6
	s_or_b32 exec_lo, exec_lo, s8
	v_cmp_eq_u32_e32 vcc_lo, 0, v0
	s_and_b32 exec_lo, exec_lo, vcc_lo
	s_cbranch_execnz .LBB1577_112
	s_branch .LBB1577_113
	.section	.rodata,"a",@progbits
	.p2align	6, 0x0
	.amdhsa_kernel _ZN7rocprim17ROCPRIM_400000_NS6detail17trampoline_kernelINS0_13select_configILj256ELj13ELNS0_17block_load_methodE3ELS4_3ELS4_3ELNS0_20block_scan_algorithmE0ELj4294967295EEENS1_25partition_config_selectorILNS1_17partition_subalgoE4EjNS0_10empty_typeEbEEZZNS1_14partition_implILS8_4ELb0ES6_15HIP_vector_typeIjLj2EENS0_17counting_iteratorIjlEEPS9_SG_NS0_5tupleIJPjSI_NS0_16reverse_iteratorISI_EEEEENSH_IJSG_SG_SG_EEES9_SI_JZNS1_25segmented_radix_sort_implINS0_14default_configELb0EPKbPbPKlPlN2at6native12_GLOBAL__N_18offset_tEEE10hipError_tPvRmT1_PNSt15iterator_traitsIS12_E10value_typeET2_T3_PNS13_IS18_E10value_typeET4_jRbjT5_S1E_jjP12ihipStream_tbEUljE_ZNSN_ISO_Lb0ESQ_SR_ST_SU_SY_EESZ_S10_S11_S12_S16_S17_S18_S1B_S1C_jS1D_jS1E_S1E_jjS1G_bEUljE0_EEESZ_S10_S11_S18_S1C_S1E_T6_T7_T9_mT8_S1G_bDpT10_ENKUlT_T0_E_clISt17integral_constantIbLb0EES1U_EEDaS1P_S1Q_EUlS1P_E_NS1_11comp_targetILNS1_3genE9ELNS1_11target_archE1100ELNS1_3gpuE3ELNS1_3repE0EEENS1_30default_config_static_selectorELNS0_4arch9wavefront6targetE0EEEvS12_
		.amdhsa_group_segment_fixed_size 13340
		.amdhsa_private_segment_fixed_size 0
		.amdhsa_kernarg_size 176
		.amdhsa_user_sgpr_count 15
		.amdhsa_user_sgpr_dispatch_ptr 0
		.amdhsa_user_sgpr_queue_ptr 0
		.amdhsa_user_sgpr_kernarg_segment_ptr 1
		.amdhsa_user_sgpr_dispatch_id 0
		.amdhsa_user_sgpr_private_segment_size 0
		.amdhsa_wavefront_size32 1
		.amdhsa_uses_dynamic_stack 0
		.amdhsa_enable_private_segment 0
		.amdhsa_system_sgpr_workgroup_id_x 1
		.amdhsa_system_sgpr_workgroup_id_y 0
		.amdhsa_system_sgpr_workgroup_id_z 0
		.amdhsa_system_sgpr_workgroup_info 0
		.amdhsa_system_vgpr_workitem_id 0
		.amdhsa_next_free_vgpr 98
		.amdhsa_next_free_sgpr 59
		.amdhsa_reserve_vcc 1
		.amdhsa_float_round_mode_32 0
		.amdhsa_float_round_mode_16_64 0
		.amdhsa_float_denorm_mode_32 3
		.amdhsa_float_denorm_mode_16_64 3
		.amdhsa_dx10_clamp 1
		.amdhsa_ieee_mode 1
		.amdhsa_fp16_overflow 0
		.amdhsa_workgroup_processor_mode 1
		.amdhsa_memory_ordered 1
		.amdhsa_forward_progress 0
		.amdhsa_shared_vgpr_count 0
		.amdhsa_exception_fp_ieee_invalid_op 0
		.amdhsa_exception_fp_denorm_src 0
		.amdhsa_exception_fp_ieee_div_zero 0
		.amdhsa_exception_fp_ieee_overflow 0
		.amdhsa_exception_fp_ieee_underflow 0
		.amdhsa_exception_fp_ieee_inexact 0
		.amdhsa_exception_int_div_zero 0
	.end_amdhsa_kernel
	.section	.text._ZN7rocprim17ROCPRIM_400000_NS6detail17trampoline_kernelINS0_13select_configILj256ELj13ELNS0_17block_load_methodE3ELS4_3ELS4_3ELNS0_20block_scan_algorithmE0ELj4294967295EEENS1_25partition_config_selectorILNS1_17partition_subalgoE4EjNS0_10empty_typeEbEEZZNS1_14partition_implILS8_4ELb0ES6_15HIP_vector_typeIjLj2EENS0_17counting_iteratorIjlEEPS9_SG_NS0_5tupleIJPjSI_NS0_16reverse_iteratorISI_EEEEENSH_IJSG_SG_SG_EEES9_SI_JZNS1_25segmented_radix_sort_implINS0_14default_configELb0EPKbPbPKlPlN2at6native12_GLOBAL__N_18offset_tEEE10hipError_tPvRmT1_PNSt15iterator_traitsIS12_E10value_typeET2_T3_PNS13_IS18_E10value_typeET4_jRbjT5_S1E_jjP12ihipStream_tbEUljE_ZNSN_ISO_Lb0ESQ_SR_ST_SU_SY_EESZ_S10_S11_S12_S16_S17_S18_S1B_S1C_jS1D_jS1E_S1E_jjS1G_bEUljE0_EEESZ_S10_S11_S18_S1C_S1E_T6_T7_T9_mT8_S1G_bDpT10_ENKUlT_T0_E_clISt17integral_constantIbLb0EES1U_EEDaS1P_S1Q_EUlS1P_E_NS1_11comp_targetILNS1_3genE9ELNS1_11target_archE1100ELNS1_3gpuE3ELNS1_3repE0EEENS1_30default_config_static_selectorELNS0_4arch9wavefront6targetE0EEEvS12_,"axG",@progbits,_ZN7rocprim17ROCPRIM_400000_NS6detail17trampoline_kernelINS0_13select_configILj256ELj13ELNS0_17block_load_methodE3ELS4_3ELS4_3ELNS0_20block_scan_algorithmE0ELj4294967295EEENS1_25partition_config_selectorILNS1_17partition_subalgoE4EjNS0_10empty_typeEbEEZZNS1_14partition_implILS8_4ELb0ES6_15HIP_vector_typeIjLj2EENS0_17counting_iteratorIjlEEPS9_SG_NS0_5tupleIJPjSI_NS0_16reverse_iteratorISI_EEEEENSH_IJSG_SG_SG_EEES9_SI_JZNS1_25segmented_radix_sort_implINS0_14default_configELb0EPKbPbPKlPlN2at6native12_GLOBAL__N_18offset_tEEE10hipError_tPvRmT1_PNSt15iterator_traitsIS12_E10value_typeET2_T3_PNS13_IS18_E10value_typeET4_jRbjT5_S1E_jjP12ihipStream_tbEUljE_ZNSN_ISO_Lb0ESQ_SR_ST_SU_SY_EESZ_S10_S11_S12_S16_S17_S18_S1B_S1C_jS1D_jS1E_S1E_jjS1G_bEUljE0_EEESZ_S10_S11_S18_S1C_S1E_T6_T7_T9_mT8_S1G_bDpT10_ENKUlT_T0_E_clISt17integral_constantIbLb0EES1U_EEDaS1P_S1Q_EUlS1P_E_NS1_11comp_targetILNS1_3genE9ELNS1_11target_archE1100ELNS1_3gpuE3ELNS1_3repE0EEENS1_30default_config_static_selectorELNS0_4arch9wavefront6targetE0EEEvS12_,comdat
.Lfunc_end1577:
	.size	_ZN7rocprim17ROCPRIM_400000_NS6detail17trampoline_kernelINS0_13select_configILj256ELj13ELNS0_17block_load_methodE3ELS4_3ELS4_3ELNS0_20block_scan_algorithmE0ELj4294967295EEENS1_25partition_config_selectorILNS1_17partition_subalgoE4EjNS0_10empty_typeEbEEZZNS1_14partition_implILS8_4ELb0ES6_15HIP_vector_typeIjLj2EENS0_17counting_iteratorIjlEEPS9_SG_NS0_5tupleIJPjSI_NS0_16reverse_iteratorISI_EEEEENSH_IJSG_SG_SG_EEES9_SI_JZNS1_25segmented_radix_sort_implINS0_14default_configELb0EPKbPbPKlPlN2at6native12_GLOBAL__N_18offset_tEEE10hipError_tPvRmT1_PNSt15iterator_traitsIS12_E10value_typeET2_T3_PNS13_IS18_E10value_typeET4_jRbjT5_S1E_jjP12ihipStream_tbEUljE_ZNSN_ISO_Lb0ESQ_SR_ST_SU_SY_EESZ_S10_S11_S12_S16_S17_S18_S1B_S1C_jS1D_jS1E_S1E_jjS1G_bEUljE0_EEESZ_S10_S11_S18_S1C_S1E_T6_T7_T9_mT8_S1G_bDpT10_ENKUlT_T0_E_clISt17integral_constantIbLb0EES1U_EEDaS1P_S1Q_EUlS1P_E_NS1_11comp_targetILNS1_3genE9ELNS1_11target_archE1100ELNS1_3gpuE3ELNS1_3repE0EEENS1_30default_config_static_selectorELNS0_4arch9wavefront6targetE0EEEvS12_, .Lfunc_end1577-_ZN7rocprim17ROCPRIM_400000_NS6detail17trampoline_kernelINS0_13select_configILj256ELj13ELNS0_17block_load_methodE3ELS4_3ELS4_3ELNS0_20block_scan_algorithmE0ELj4294967295EEENS1_25partition_config_selectorILNS1_17partition_subalgoE4EjNS0_10empty_typeEbEEZZNS1_14partition_implILS8_4ELb0ES6_15HIP_vector_typeIjLj2EENS0_17counting_iteratorIjlEEPS9_SG_NS0_5tupleIJPjSI_NS0_16reverse_iteratorISI_EEEEENSH_IJSG_SG_SG_EEES9_SI_JZNS1_25segmented_radix_sort_implINS0_14default_configELb0EPKbPbPKlPlN2at6native12_GLOBAL__N_18offset_tEEE10hipError_tPvRmT1_PNSt15iterator_traitsIS12_E10value_typeET2_T3_PNS13_IS18_E10value_typeET4_jRbjT5_S1E_jjP12ihipStream_tbEUljE_ZNSN_ISO_Lb0ESQ_SR_ST_SU_SY_EESZ_S10_S11_S12_S16_S17_S18_S1B_S1C_jS1D_jS1E_S1E_jjS1G_bEUljE0_EEESZ_S10_S11_S18_S1C_S1E_T6_T7_T9_mT8_S1G_bDpT10_ENKUlT_T0_E_clISt17integral_constantIbLb0EES1U_EEDaS1P_S1Q_EUlS1P_E_NS1_11comp_targetILNS1_3genE9ELNS1_11target_archE1100ELNS1_3gpuE3ELNS1_3repE0EEENS1_30default_config_static_selectorELNS0_4arch9wavefront6targetE0EEEvS12_
                                        ; -- End function
	.section	.AMDGPU.csdata,"",@progbits
; Kernel info:
; codeLenInByte = 14984
; NumSgprs: 61
; NumVgprs: 98
; ScratchSize: 0
; MemoryBound: 0
; FloatMode: 240
; IeeeMode: 1
; LDSByteSize: 13340 bytes/workgroup (compile time only)
; SGPRBlocks: 7
; VGPRBlocks: 12
; NumSGPRsForWavesPerEU: 61
; NumVGPRsForWavesPerEU: 98
; Occupancy: 12
; WaveLimiterHint : 1
; COMPUTE_PGM_RSRC2:SCRATCH_EN: 0
; COMPUTE_PGM_RSRC2:USER_SGPR: 15
; COMPUTE_PGM_RSRC2:TRAP_HANDLER: 0
; COMPUTE_PGM_RSRC2:TGID_X_EN: 1
; COMPUTE_PGM_RSRC2:TGID_Y_EN: 0
; COMPUTE_PGM_RSRC2:TGID_Z_EN: 0
; COMPUTE_PGM_RSRC2:TIDIG_COMP_CNT: 0
	.section	.text._ZN7rocprim17ROCPRIM_400000_NS6detail17trampoline_kernelINS0_13select_configILj256ELj13ELNS0_17block_load_methodE3ELS4_3ELS4_3ELNS0_20block_scan_algorithmE0ELj4294967295EEENS1_25partition_config_selectorILNS1_17partition_subalgoE4EjNS0_10empty_typeEbEEZZNS1_14partition_implILS8_4ELb0ES6_15HIP_vector_typeIjLj2EENS0_17counting_iteratorIjlEEPS9_SG_NS0_5tupleIJPjSI_NS0_16reverse_iteratorISI_EEEEENSH_IJSG_SG_SG_EEES9_SI_JZNS1_25segmented_radix_sort_implINS0_14default_configELb0EPKbPbPKlPlN2at6native12_GLOBAL__N_18offset_tEEE10hipError_tPvRmT1_PNSt15iterator_traitsIS12_E10value_typeET2_T3_PNS13_IS18_E10value_typeET4_jRbjT5_S1E_jjP12ihipStream_tbEUljE_ZNSN_ISO_Lb0ESQ_SR_ST_SU_SY_EESZ_S10_S11_S12_S16_S17_S18_S1B_S1C_jS1D_jS1E_S1E_jjS1G_bEUljE0_EEESZ_S10_S11_S18_S1C_S1E_T6_T7_T9_mT8_S1G_bDpT10_ENKUlT_T0_E_clISt17integral_constantIbLb0EES1U_EEDaS1P_S1Q_EUlS1P_E_NS1_11comp_targetILNS1_3genE8ELNS1_11target_archE1030ELNS1_3gpuE2ELNS1_3repE0EEENS1_30default_config_static_selectorELNS0_4arch9wavefront6targetE0EEEvS12_,"axG",@progbits,_ZN7rocprim17ROCPRIM_400000_NS6detail17trampoline_kernelINS0_13select_configILj256ELj13ELNS0_17block_load_methodE3ELS4_3ELS4_3ELNS0_20block_scan_algorithmE0ELj4294967295EEENS1_25partition_config_selectorILNS1_17partition_subalgoE4EjNS0_10empty_typeEbEEZZNS1_14partition_implILS8_4ELb0ES6_15HIP_vector_typeIjLj2EENS0_17counting_iteratorIjlEEPS9_SG_NS0_5tupleIJPjSI_NS0_16reverse_iteratorISI_EEEEENSH_IJSG_SG_SG_EEES9_SI_JZNS1_25segmented_radix_sort_implINS0_14default_configELb0EPKbPbPKlPlN2at6native12_GLOBAL__N_18offset_tEEE10hipError_tPvRmT1_PNSt15iterator_traitsIS12_E10value_typeET2_T3_PNS13_IS18_E10value_typeET4_jRbjT5_S1E_jjP12ihipStream_tbEUljE_ZNSN_ISO_Lb0ESQ_SR_ST_SU_SY_EESZ_S10_S11_S12_S16_S17_S18_S1B_S1C_jS1D_jS1E_S1E_jjS1G_bEUljE0_EEESZ_S10_S11_S18_S1C_S1E_T6_T7_T9_mT8_S1G_bDpT10_ENKUlT_T0_E_clISt17integral_constantIbLb0EES1U_EEDaS1P_S1Q_EUlS1P_E_NS1_11comp_targetILNS1_3genE8ELNS1_11target_archE1030ELNS1_3gpuE2ELNS1_3repE0EEENS1_30default_config_static_selectorELNS0_4arch9wavefront6targetE0EEEvS12_,comdat
	.globl	_ZN7rocprim17ROCPRIM_400000_NS6detail17trampoline_kernelINS0_13select_configILj256ELj13ELNS0_17block_load_methodE3ELS4_3ELS4_3ELNS0_20block_scan_algorithmE0ELj4294967295EEENS1_25partition_config_selectorILNS1_17partition_subalgoE4EjNS0_10empty_typeEbEEZZNS1_14partition_implILS8_4ELb0ES6_15HIP_vector_typeIjLj2EENS0_17counting_iteratorIjlEEPS9_SG_NS0_5tupleIJPjSI_NS0_16reverse_iteratorISI_EEEEENSH_IJSG_SG_SG_EEES9_SI_JZNS1_25segmented_radix_sort_implINS0_14default_configELb0EPKbPbPKlPlN2at6native12_GLOBAL__N_18offset_tEEE10hipError_tPvRmT1_PNSt15iterator_traitsIS12_E10value_typeET2_T3_PNS13_IS18_E10value_typeET4_jRbjT5_S1E_jjP12ihipStream_tbEUljE_ZNSN_ISO_Lb0ESQ_SR_ST_SU_SY_EESZ_S10_S11_S12_S16_S17_S18_S1B_S1C_jS1D_jS1E_S1E_jjS1G_bEUljE0_EEESZ_S10_S11_S18_S1C_S1E_T6_T7_T9_mT8_S1G_bDpT10_ENKUlT_T0_E_clISt17integral_constantIbLb0EES1U_EEDaS1P_S1Q_EUlS1P_E_NS1_11comp_targetILNS1_3genE8ELNS1_11target_archE1030ELNS1_3gpuE2ELNS1_3repE0EEENS1_30default_config_static_selectorELNS0_4arch9wavefront6targetE0EEEvS12_ ; -- Begin function _ZN7rocprim17ROCPRIM_400000_NS6detail17trampoline_kernelINS0_13select_configILj256ELj13ELNS0_17block_load_methodE3ELS4_3ELS4_3ELNS0_20block_scan_algorithmE0ELj4294967295EEENS1_25partition_config_selectorILNS1_17partition_subalgoE4EjNS0_10empty_typeEbEEZZNS1_14partition_implILS8_4ELb0ES6_15HIP_vector_typeIjLj2EENS0_17counting_iteratorIjlEEPS9_SG_NS0_5tupleIJPjSI_NS0_16reverse_iteratorISI_EEEEENSH_IJSG_SG_SG_EEES9_SI_JZNS1_25segmented_radix_sort_implINS0_14default_configELb0EPKbPbPKlPlN2at6native12_GLOBAL__N_18offset_tEEE10hipError_tPvRmT1_PNSt15iterator_traitsIS12_E10value_typeET2_T3_PNS13_IS18_E10value_typeET4_jRbjT5_S1E_jjP12ihipStream_tbEUljE_ZNSN_ISO_Lb0ESQ_SR_ST_SU_SY_EESZ_S10_S11_S12_S16_S17_S18_S1B_S1C_jS1D_jS1E_S1E_jjS1G_bEUljE0_EEESZ_S10_S11_S18_S1C_S1E_T6_T7_T9_mT8_S1G_bDpT10_ENKUlT_T0_E_clISt17integral_constantIbLb0EES1U_EEDaS1P_S1Q_EUlS1P_E_NS1_11comp_targetILNS1_3genE8ELNS1_11target_archE1030ELNS1_3gpuE2ELNS1_3repE0EEENS1_30default_config_static_selectorELNS0_4arch9wavefront6targetE0EEEvS12_
	.p2align	8
	.type	_ZN7rocprim17ROCPRIM_400000_NS6detail17trampoline_kernelINS0_13select_configILj256ELj13ELNS0_17block_load_methodE3ELS4_3ELS4_3ELNS0_20block_scan_algorithmE0ELj4294967295EEENS1_25partition_config_selectorILNS1_17partition_subalgoE4EjNS0_10empty_typeEbEEZZNS1_14partition_implILS8_4ELb0ES6_15HIP_vector_typeIjLj2EENS0_17counting_iteratorIjlEEPS9_SG_NS0_5tupleIJPjSI_NS0_16reverse_iteratorISI_EEEEENSH_IJSG_SG_SG_EEES9_SI_JZNS1_25segmented_radix_sort_implINS0_14default_configELb0EPKbPbPKlPlN2at6native12_GLOBAL__N_18offset_tEEE10hipError_tPvRmT1_PNSt15iterator_traitsIS12_E10value_typeET2_T3_PNS13_IS18_E10value_typeET4_jRbjT5_S1E_jjP12ihipStream_tbEUljE_ZNSN_ISO_Lb0ESQ_SR_ST_SU_SY_EESZ_S10_S11_S12_S16_S17_S18_S1B_S1C_jS1D_jS1E_S1E_jjS1G_bEUljE0_EEESZ_S10_S11_S18_S1C_S1E_T6_T7_T9_mT8_S1G_bDpT10_ENKUlT_T0_E_clISt17integral_constantIbLb0EES1U_EEDaS1P_S1Q_EUlS1P_E_NS1_11comp_targetILNS1_3genE8ELNS1_11target_archE1030ELNS1_3gpuE2ELNS1_3repE0EEENS1_30default_config_static_selectorELNS0_4arch9wavefront6targetE0EEEvS12_,@function
_ZN7rocprim17ROCPRIM_400000_NS6detail17trampoline_kernelINS0_13select_configILj256ELj13ELNS0_17block_load_methodE3ELS4_3ELS4_3ELNS0_20block_scan_algorithmE0ELj4294967295EEENS1_25partition_config_selectorILNS1_17partition_subalgoE4EjNS0_10empty_typeEbEEZZNS1_14partition_implILS8_4ELb0ES6_15HIP_vector_typeIjLj2EENS0_17counting_iteratorIjlEEPS9_SG_NS0_5tupleIJPjSI_NS0_16reverse_iteratorISI_EEEEENSH_IJSG_SG_SG_EEES9_SI_JZNS1_25segmented_radix_sort_implINS0_14default_configELb0EPKbPbPKlPlN2at6native12_GLOBAL__N_18offset_tEEE10hipError_tPvRmT1_PNSt15iterator_traitsIS12_E10value_typeET2_T3_PNS13_IS18_E10value_typeET4_jRbjT5_S1E_jjP12ihipStream_tbEUljE_ZNSN_ISO_Lb0ESQ_SR_ST_SU_SY_EESZ_S10_S11_S12_S16_S17_S18_S1B_S1C_jS1D_jS1E_S1E_jjS1G_bEUljE0_EEESZ_S10_S11_S18_S1C_S1E_T6_T7_T9_mT8_S1G_bDpT10_ENKUlT_T0_E_clISt17integral_constantIbLb0EES1U_EEDaS1P_S1Q_EUlS1P_E_NS1_11comp_targetILNS1_3genE8ELNS1_11target_archE1030ELNS1_3gpuE2ELNS1_3repE0EEENS1_30default_config_static_selectorELNS0_4arch9wavefront6targetE0EEEvS12_: ; @_ZN7rocprim17ROCPRIM_400000_NS6detail17trampoline_kernelINS0_13select_configILj256ELj13ELNS0_17block_load_methodE3ELS4_3ELS4_3ELNS0_20block_scan_algorithmE0ELj4294967295EEENS1_25partition_config_selectorILNS1_17partition_subalgoE4EjNS0_10empty_typeEbEEZZNS1_14partition_implILS8_4ELb0ES6_15HIP_vector_typeIjLj2EENS0_17counting_iteratorIjlEEPS9_SG_NS0_5tupleIJPjSI_NS0_16reverse_iteratorISI_EEEEENSH_IJSG_SG_SG_EEES9_SI_JZNS1_25segmented_radix_sort_implINS0_14default_configELb0EPKbPbPKlPlN2at6native12_GLOBAL__N_18offset_tEEE10hipError_tPvRmT1_PNSt15iterator_traitsIS12_E10value_typeET2_T3_PNS13_IS18_E10value_typeET4_jRbjT5_S1E_jjP12ihipStream_tbEUljE_ZNSN_ISO_Lb0ESQ_SR_ST_SU_SY_EESZ_S10_S11_S12_S16_S17_S18_S1B_S1C_jS1D_jS1E_S1E_jjS1G_bEUljE0_EEESZ_S10_S11_S18_S1C_S1E_T6_T7_T9_mT8_S1G_bDpT10_ENKUlT_T0_E_clISt17integral_constantIbLb0EES1U_EEDaS1P_S1Q_EUlS1P_E_NS1_11comp_targetILNS1_3genE8ELNS1_11target_archE1030ELNS1_3gpuE2ELNS1_3repE0EEENS1_30default_config_static_selectorELNS0_4arch9wavefront6targetE0EEEvS12_
; %bb.0:
	.section	.rodata,"a",@progbits
	.p2align	6, 0x0
	.amdhsa_kernel _ZN7rocprim17ROCPRIM_400000_NS6detail17trampoline_kernelINS0_13select_configILj256ELj13ELNS0_17block_load_methodE3ELS4_3ELS4_3ELNS0_20block_scan_algorithmE0ELj4294967295EEENS1_25partition_config_selectorILNS1_17partition_subalgoE4EjNS0_10empty_typeEbEEZZNS1_14partition_implILS8_4ELb0ES6_15HIP_vector_typeIjLj2EENS0_17counting_iteratorIjlEEPS9_SG_NS0_5tupleIJPjSI_NS0_16reverse_iteratorISI_EEEEENSH_IJSG_SG_SG_EEES9_SI_JZNS1_25segmented_radix_sort_implINS0_14default_configELb0EPKbPbPKlPlN2at6native12_GLOBAL__N_18offset_tEEE10hipError_tPvRmT1_PNSt15iterator_traitsIS12_E10value_typeET2_T3_PNS13_IS18_E10value_typeET4_jRbjT5_S1E_jjP12ihipStream_tbEUljE_ZNSN_ISO_Lb0ESQ_SR_ST_SU_SY_EESZ_S10_S11_S12_S16_S17_S18_S1B_S1C_jS1D_jS1E_S1E_jjS1G_bEUljE0_EEESZ_S10_S11_S18_S1C_S1E_T6_T7_T9_mT8_S1G_bDpT10_ENKUlT_T0_E_clISt17integral_constantIbLb0EES1U_EEDaS1P_S1Q_EUlS1P_E_NS1_11comp_targetILNS1_3genE8ELNS1_11target_archE1030ELNS1_3gpuE2ELNS1_3repE0EEENS1_30default_config_static_selectorELNS0_4arch9wavefront6targetE0EEEvS12_
		.amdhsa_group_segment_fixed_size 0
		.amdhsa_private_segment_fixed_size 0
		.amdhsa_kernarg_size 176
		.amdhsa_user_sgpr_count 15
		.amdhsa_user_sgpr_dispatch_ptr 0
		.amdhsa_user_sgpr_queue_ptr 0
		.amdhsa_user_sgpr_kernarg_segment_ptr 1
		.amdhsa_user_sgpr_dispatch_id 0
		.amdhsa_user_sgpr_private_segment_size 0
		.amdhsa_wavefront_size32 1
		.amdhsa_uses_dynamic_stack 0
		.amdhsa_enable_private_segment 0
		.amdhsa_system_sgpr_workgroup_id_x 1
		.amdhsa_system_sgpr_workgroup_id_y 0
		.amdhsa_system_sgpr_workgroup_id_z 0
		.amdhsa_system_sgpr_workgroup_info 0
		.amdhsa_system_vgpr_workitem_id 0
		.amdhsa_next_free_vgpr 1
		.amdhsa_next_free_sgpr 1
		.amdhsa_reserve_vcc 0
		.amdhsa_float_round_mode_32 0
		.amdhsa_float_round_mode_16_64 0
		.amdhsa_float_denorm_mode_32 3
		.amdhsa_float_denorm_mode_16_64 3
		.amdhsa_dx10_clamp 1
		.amdhsa_ieee_mode 1
		.amdhsa_fp16_overflow 0
		.amdhsa_workgroup_processor_mode 1
		.amdhsa_memory_ordered 1
		.amdhsa_forward_progress 0
		.amdhsa_shared_vgpr_count 0
		.amdhsa_exception_fp_ieee_invalid_op 0
		.amdhsa_exception_fp_denorm_src 0
		.amdhsa_exception_fp_ieee_div_zero 0
		.amdhsa_exception_fp_ieee_overflow 0
		.amdhsa_exception_fp_ieee_underflow 0
		.amdhsa_exception_fp_ieee_inexact 0
		.amdhsa_exception_int_div_zero 0
	.end_amdhsa_kernel
	.section	.text._ZN7rocprim17ROCPRIM_400000_NS6detail17trampoline_kernelINS0_13select_configILj256ELj13ELNS0_17block_load_methodE3ELS4_3ELS4_3ELNS0_20block_scan_algorithmE0ELj4294967295EEENS1_25partition_config_selectorILNS1_17partition_subalgoE4EjNS0_10empty_typeEbEEZZNS1_14partition_implILS8_4ELb0ES6_15HIP_vector_typeIjLj2EENS0_17counting_iteratorIjlEEPS9_SG_NS0_5tupleIJPjSI_NS0_16reverse_iteratorISI_EEEEENSH_IJSG_SG_SG_EEES9_SI_JZNS1_25segmented_radix_sort_implINS0_14default_configELb0EPKbPbPKlPlN2at6native12_GLOBAL__N_18offset_tEEE10hipError_tPvRmT1_PNSt15iterator_traitsIS12_E10value_typeET2_T3_PNS13_IS18_E10value_typeET4_jRbjT5_S1E_jjP12ihipStream_tbEUljE_ZNSN_ISO_Lb0ESQ_SR_ST_SU_SY_EESZ_S10_S11_S12_S16_S17_S18_S1B_S1C_jS1D_jS1E_S1E_jjS1G_bEUljE0_EEESZ_S10_S11_S18_S1C_S1E_T6_T7_T9_mT8_S1G_bDpT10_ENKUlT_T0_E_clISt17integral_constantIbLb0EES1U_EEDaS1P_S1Q_EUlS1P_E_NS1_11comp_targetILNS1_3genE8ELNS1_11target_archE1030ELNS1_3gpuE2ELNS1_3repE0EEENS1_30default_config_static_selectorELNS0_4arch9wavefront6targetE0EEEvS12_,"axG",@progbits,_ZN7rocprim17ROCPRIM_400000_NS6detail17trampoline_kernelINS0_13select_configILj256ELj13ELNS0_17block_load_methodE3ELS4_3ELS4_3ELNS0_20block_scan_algorithmE0ELj4294967295EEENS1_25partition_config_selectorILNS1_17partition_subalgoE4EjNS0_10empty_typeEbEEZZNS1_14partition_implILS8_4ELb0ES6_15HIP_vector_typeIjLj2EENS0_17counting_iteratorIjlEEPS9_SG_NS0_5tupleIJPjSI_NS0_16reverse_iteratorISI_EEEEENSH_IJSG_SG_SG_EEES9_SI_JZNS1_25segmented_radix_sort_implINS0_14default_configELb0EPKbPbPKlPlN2at6native12_GLOBAL__N_18offset_tEEE10hipError_tPvRmT1_PNSt15iterator_traitsIS12_E10value_typeET2_T3_PNS13_IS18_E10value_typeET4_jRbjT5_S1E_jjP12ihipStream_tbEUljE_ZNSN_ISO_Lb0ESQ_SR_ST_SU_SY_EESZ_S10_S11_S12_S16_S17_S18_S1B_S1C_jS1D_jS1E_S1E_jjS1G_bEUljE0_EEESZ_S10_S11_S18_S1C_S1E_T6_T7_T9_mT8_S1G_bDpT10_ENKUlT_T0_E_clISt17integral_constantIbLb0EES1U_EEDaS1P_S1Q_EUlS1P_E_NS1_11comp_targetILNS1_3genE8ELNS1_11target_archE1030ELNS1_3gpuE2ELNS1_3repE0EEENS1_30default_config_static_selectorELNS0_4arch9wavefront6targetE0EEEvS12_,comdat
.Lfunc_end1578:
	.size	_ZN7rocprim17ROCPRIM_400000_NS6detail17trampoline_kernelINS0_13select_configILj256ELj13ELNS0_17block_load_methodE3ELS4_3ELS4_3ELNS0_20block_scan_algorithmE0ELj4294967295EEENS1_25partition_config_selectorILNS1_17partition_subalgoE4EjNS0_10empty_typeEbEEZZNS1_14partition_implILS8_4ELb0ES6_15HIP_vector_typeIjLj2EENS0_17counting_iteratorIjlEEPS9_SG_NS0_5tupleIJPjSI_NS0_16reverse_iteratorISI_EEEEENSH_IJSG_SG_SG_EEES9_SI_JZNS1_25segmented_radix_sort_implINS0_14default_configELb0EPKbPbPKlPlN2at6native12_GLOBAL__N_18offset_tEEE10hipError_tPvRmT1_PNSt15iterator_traitsIS12_E10value_typeET2_T3_PNS13_IS18_E10value_typeET4_jRbjT5_S1E_jjP12ihipStream_tbEUljE_ZNSN_ISO_Lb0ESQ_SR_ST_SU_SY_EESZ_S10_S11_S12_S16_S17_S18_S1B_S1C_jS1D_jS1E_S1E_jjS1G_bEUljE0_EEESZ_S10_S11_S18_S1C_S1E_T6_T7_T9_mT8_S1G_bDpT10_ENKUlT_T0_E_clISt17integral_constantIbLb0EES1U_EEDaS1P_S1Q_EUlS1P_E_NS1_11comp_targetILNS1_3genE8ELNS1_11target_archE1030ELNS1_3gpuE2ELNS1_3repE0EEENS1_30default_config_static_selectorELNS0_4arch9wavefront6targetE0EEEvS12_, .Lfunc_end1578-_ZN7rocprim17ROCPRIM_400000_NS6detail17trampoline_kernelINS0_13select_configILj256ELj13ELNS0_17block_load_methodE3ELS4_3ELS4_3ELNS0_20block_scan_algorithmE0ELj4294967295EEENS1_25partition_config_selectorILNS1_17partition_subalgoE4EjNS0_10empty_typeEbEEZZNS1_14partition_implILS8_4ELb0ES6_15HIP_vector_typeIjLj2EENS0_17counting_iteratorIjlEEPS9_SG_NS0_5tupleIJPjSI_NS0_16reverse_iteratorISI_EEEEENSH_IJSG_SG_SG_EEES9_SI_JZNS1_25segmented_radix_sort_implINS0_14default_configELb0EPKbPbPKlPlN2at6native12_GLOBAL__N_18offset_tEEE10hipError_tPvRmT1_PNSt15iterator_traitsIS12_E10value_typeET2_T3_PNS13_IS18_E10value_typeET4_jRbjT5_S1E_jjP12ihipStream_tbEUljE_ZNSN_ISO_Lb0ESQ_SR_ST_SU_SY_EESZ_S10_S11_S12_S16_S17_S18_S1B_S1C_jS1D_jS1E_S1E_jjS1G_bEUljE0_EEESZ_S10_S11_S18_S1C_S1E_T6_T7_T9_mT8_S1G_bDpT10_ENKUlT_T0_E_clISt17integral_constantIbLb0EES1U_EEDaS1P_S1Q_EUlS1P_E_NS1_11comp_targetILNS1_3genE8ELNS1_11target_archE1030ELNS1_3gpuE2ELNS1_3repE0EEENS1_30default_config_static_selectorELNS0_4arch9wavefront6targetE0EEEvS12_
                                        ; -- End function
	.section	.AMDGPU.csdata,"",@progbits
; Kernel info:
; codeLenInByte = 0
; NumSgprs: 0
; NumVgprs: 0
; ScratchSize: 0
; MemoryBound: 0
; FloatMode: 240
; IeeeMode: 1
; LDSByteSize: 0 bytes/workgroup (compile time only)
; SGPRBlocks: 0
; VGPRBlocks: 0
; NumSGPRsForWavesPerEU: 1
; NumVGPRsForWavesPerEU: 1
; Occupancy: 16
; WaveLimiterHint : 0
; COMPUTE_PGM_RSRC2:SCRATCH_EN: 0
; COMPUTE_PGM_RSRC2:USER_SGPR: 15
; COMPUTE_PGM_RSRC2:TRAP_HANDLER: 0
; COMPUTE_PGM_RSRC2:TGID_X_EN: 1
; COMPUTE_PGM_RSRC2:TGID_Y_EN: 0
; COMPUTE_PGM_RSRC2:TGID_Z_EN: 0
; COMPUTE_PGM_RSRC2:TIDIG_COMP_CNT: 0
	.section	.text._ZN7rocprim17ROCPRIM_400000_NS6detail17trampoline_kernelINS0_13select_configILj256ELj13ELNS0_17block_load_methodE3ELS4_3ELS4_3ELNS0_20block_scan_algorithmE0ELj4294967295EEENS1_25partition_config_selectorILNS1_17partition_subalgoE4EjNS0_10empty_typeEbEEZZNS1_14partition_implILS8_4ELb0ES6_15HIP_vector_typeIjLj2EENS0_17counting_iteratorIjlEEPS9_SG_NS0_5tupleIJPjSI_NS0_16reverse_iteratorISI_EEEEENSH_IJSG_SG_SG_EEES9_SI_JZNS1_25segmented_radix_sort_implINS0_14default_configELb0EPKbPbPKlPlN2at6native12_GLOBAL__N_18offset_tEEE10hipError_tPvRmT1_PNSt15iterator_traitsIS12_E10value_typeET2_T3_PNS13_IS18_E10value_typeET4_jRbjT5_S1E_jjP12ihipStream_tbEUljE_ZNSN_ISO_Lb0ESQ_SR_ST_SU_SY_EESZ_S10_S11_S12_S16_S17_S18_S1B_S1C_jS1D_jS1E_S1E_jjS1G_bEUljE0_EEESZ_S10_S11_S18_S1C_S1E_T6_T7_T9_mT8_S1G_bDpT10_ENKUlT_T0_E_clISt17integral_constantIbLb1EES1U_EEDaS1P_S1Q_EUlS1P_E_NS1_11comp_targetILNS1_3genE0ELNS1_11target_archE4294967295ELNS1_3gpuE0ELNS1_3repE0EEENS1_30default_config_static_selectorELNS0_4arch9wavefront6targetE0EEEvS12_,"axG",@progbits,_ZN7rocprim17ROCPRIM_400000_NS6detail17trampoline_kernelINS0_13select_configILj256ELj13ELNS0_17block_load_methodE3ELS4_3ELS4_3ELNS0_20block_scan_algorithmE0ELj4294967295EEENS1_25partition_config_selectorILNS1_17partition_subalgoE4EjNS0_10empty_typeEbEEZZNS1_14partition_implILS8_4ELb0ES6_15HIP_vector_typeIjLj2EENS0_17counting_iteratorIjlEEPS9_SG_NS0_5tupleIJPjSI_NS0_16reverse_iteratorISI_EEEEENSH_IJSG_SG_SG_EEES9_SI_JZNS1_25segmented_radix_sort_implINS0_14default_configELb0EPKbPbPKlPlN2at6native12_GLOBAL__N_18offset_tEEE10hipError_tPvRmT1_PNSt15iterator_traitsIS12_E10value_typeET2_T3_PNS13_IS18_E10value_typeET4_jRbjT5_S1E_jjP12ihipStream_tbEUljE_ZNSN_ISO_Lb0ESQ_SR_ST_SU_SY_EESZ_S10_S11_S12_S16_S17_S18_S1B_S1C_jS1D_jS1E_S1E_jjS1G_bEUljE0_EEESZ_S10_S11_S18_S1C_S1E_T6_T7_T9_mT8_S1G_bDpT10_ENKUlT_T0_E_clISt17integral_constantIbLb1EES1U_EEDaS1P_S1Q_EUlS1P_E_NS1_11comp_targetILNS1_3genE0ELNS1_11target_archE4294967295ELNS1_3gpuE0ELNS1_3repE0EEENS1_30default_config_static_selectorELNS0_4arch9wavefront6targetE0EEEvS12_,comdat
	.globl	_ZN7rocprim17ROCPRIM_400000_NS6detail17trampoline_kernelINS0_13select_configILj256ELj13ELNS0_17block_load_methodE3ELS4_3ELS4_3ELNS0_20block_scan_algorithmE0ELj4294967295EEENS1_25partition_config_selectorILNS1_17partition_subalgoE4EjNS0_10empty_typeEbEEZZNS1_14partition_implILS8_4ELb0ES6_15HIP_vector_typeIjLj2EENS0_17counting_iteratorIjlEEPS9_SG_NS0_5tupleIJPjSI_NS0_16reverse_iteratorISI_EEEEENSH_IJSG_SG_SG_EEES9_SI_JZNS1_25segmented_radix_sort_implINS0_14default_configELb0EPKbPbPKlPlN2at6native12_GLOBAL__N_18offset_tEEE10hipError_tPvRmT1_PNSt15iterator_traitsIS12_E10value_typeET2_T3_PNS13_IS18_E10value_typeET4_jRbjT5_S1E_jjP12ihipStream_tbEUljE_ZNSN_ISO_Lb0ESQ_SR_ST_SU_SY_EESZ_S10_S11_S12_S16_S17_S18_S1B_S1C_jS1D_jS1E_S1E_jjS1G_bEUljE0_EEESZ_S10_S11_S18_S1C_S1E_T6_T7_T9_mT8_S1G_bDpT10_ENKUlT_T0_E_clISt17integral_constantIbLb1EES1U_EEDaS1P_S1Q_EUlS1P_E_NS1_11comp_targetILNS1_3genE0ELNS1_11target_archE4294967295ELNS1_3gpuE0ELNS1_3repE0EEENS1_30default_config_static_selectorELNS0_4arch9wavefront6targetE0EEEvS12_ ; -- Begin function _ZN7rocprim17ROCPRIM_400000_NS6detail17trampoline_kernelINS0_13select_configILj256ELj13ELNS0_17block_load_methodE3ELS4_3ELS4_3ELNS0_20block_scan_algorithmE0ELj4294967295EEENS1_25partition_config_selectorILNS1_17partition_subalgoE4EjNS0_10empty_typeEbEEZZNS1_14partition_implILS8_4ELb0ES6_15HIP_vector_typeIjLj2EENS0_17counting_iteratorIjlEEPS9_SG_NS0_5tupleIJPjSI_NS0_16reverse_iteratorISI_EEEEENSH_IJSG_SG_SG_EEES9_SI_JZNS1_25segmented_radix_sort_implINS0_14default_configELb0EPKbPbPKlPlN2at6native12_GLOBAL__N_18offset_tEEE10hipError_tPvRmT1_PNSt15iterator_traitsIS12_E10value_typeET2_T3_PNS13_IS18_E10value_typeET4_jRbjT5_S1E_jjP12ihipStream_tbEUljE_ZNSN_ISO_Lb0ESQ_SR_ST_SU_SY_EESZ_S10_S11_S12_S16_S17_S18_S1B_S1C_jS1D_jS1E_S1E_jjS1G_bEUljE0_EEESZ_S10_S11_S18_S1C_S1E_T6_T7_T9_mT8_S1G_bDpT10_ENKUlT_T0_E_clISt17integral_constantIbLb1EES1U_EEDaS1P_S1Q_EUlS1P_E_NS1_11comp_targetILNS1_3genE0ELNS1_11target_archE4294967295ELNS1_3gpuE0ELNS1_3repE0EEENS1_30default_config_static_selectorELNS0_4arch9wavefront6targetE0EEEvS12_
	.p2align	8
	.type	_ZN7rocprim17ROCPRIM_400000_NS6detail17trampoline_kernelINS0_13select_configILj256ELj13ELNS0_17block_load_methodE3ELS4_3ELS4_3ELNS0_20block_scan_algorithmE0ELj4294967295EEENS1_25partition_config_selectorILNS1_17partition_subalgoE4EjNS0_10empty_typeEbEEZZNS1_14partition_implILS8_4ELb0ES6_15HIP_vector_typeIjLj2EENS0_17counting_iteratorIjlEEPS9_SG_NS0_5tupleIJPjSI_NS0_16reverse_iteratorISI_EEEEENSH_IJSG_SG_SG_EEES9_SI_JZNS1_25segmented_radix_sort_implINS0_14default_configELb0EPKbPbPKlPlN2at6native12_GLOBAL__N_18offset_tEEE10hipError_tPvRmT1_PNSt15iterator_traitsIS12_E10value_typeET2_T3_PNS13_IS18_E10value_typeET4_jRbjT5_S1E_jjP12ihipStream_tbEUljE_ZNSN_ISO_Lb0ESQ_SR_ST_SU_SY_EESZ_S10_S11_S12_S16_S17_S18_S1B_S1C_jS1D_jS1E_S1E_jjS1G_bEUljE0_EEESZ_S10_S11_S18_S1C_S1E_T6_T7_T9_mT8_S1G_bDpT10_ENKUlT_T0_E_clISt17integral_constantIbLb1EES1U_EEDaS1P_S1Q_EUlS1P_E_NS1_11comp_targetILNS1_3genE0ELNS1_11target_archE4294967295ELNS1_3gpuE0ELNS1_3repE0EEENS1_30default_config_static_selectorELNS0_4arch9wavefront6targetE0EEEvS12_,@function
_ZN7rocprim17ROCPRIM_400000_NS6detail17trampoline_kernelINS0_13select_configILj256ELj13ELNS0_17block_load_methodE3ELS4_3ELS4_3ELNS0_20block_scan_algorithmE0ELj4294967295EEENS1_25partition_config_selectorILNS1_17partition_subalgoE4EjNS0_10empty_typeEbEEZZNS1_14partition_implILS8_4ELb0ES6_15HIP_vector_typeIjLj2EENS0_17counting_iteratorIjlEEPS9_SG_NS0_5tupleIJPjSI_NS0_16reverse_iteratorISI_EEEEENSH_IJSG_SG_SG_EEES9_SI_JZNS1_25segmented_radix_sort_implINS0_14default_configELb0EPKbPbPKlPlN2at6native12_GLOBAL__N_18offset_tEEE10hipError_tPvRmT1_PNSt15iterator_traitsIS12_E10value_typeET2_T3_PNS13_IS18_E10value_typeET4_jRbjT5_S1E_jjP12ihipStream_tbEUljE_ZNSN_ISO_Lb0ESQ_SR_ST_SU_SY_EESZ_S10_S11_S12_S16_S17_S18_S1B_S1C_jS1D_jS1E_S1E_jjS1G_bEUljE0_EEESZ_S10_S11_S18_S1C_S1E_T6_T7_T9_mT8_S1G_bDpT10_ENKUlT_T0_E_clISt17integral_constantIbLb1EES1U_EEDaS1P_S1Q_EUlS1P_E_NS1_11comp_targetILNS1_3genE0ELNS1_11target_archE4294967295ELNS1_3gpuE0ELNS1_3repE0EEENS1_30default_config_static_selectorELNS0_4arch9wavefront6targetE0EEEvS12_: ; @_ZN7rocprim17ROCPRIM_400000_NS6detail17trampoline_kernelINS0_13select_configILj256ELj13ELNS0_17block_load_methodE3ELS4_3ELS4_3ELNS0_20block_scan_algorithmE0ELj4294967295EEENS1_25partition_config_selectorILNS1_17partition_subalgoE4EjNS0_10empty_typeEbEEZZNS1_14partition_implILS8_4ELb0ES6_15HIP_vector_typeIjLj2EENS0_17counting_iteratorIjlEEPS9_SG_NS0_5tupleIJPjSI_NS0_16reverse_iteratorISI_EEEEENSH_IJSG_SG_SG_EEES9_SI_JZNS1_25segmented_radix_sort_implINS0_14default_configELb0EPKbPbPKlPlN2at6native12_GLOBAL__N_18offset_tEEE10hipError_tPvRmT1_PNSt15iterator_traitsIS12_E10value_typeET2_T3_PNS13_IS18_E10value_typeET4_jRbjT5_S1E_jjP12ihipStream_tbEUljE_ZNSN_ISO_Lb0ESQ_SR_ST_SU_SY_EESZ_S10_S11_S12_S16_S17_S18_S1B_S1C_jS1D_jS1E_S1E_jjS1G_bEUljE0_EEESZ_S10_S11_S18_S1C_S1E_T6_T7_T9_mT8_S1G_bDpT10_ENKUlT_T0_E_clISt17integral_constantIbLb1EES1U_EEDaS1P_S1Q_EUlS1P_E_NS1_11comp_targetILNS1_3genE0ELNS1_11target_archE4294967295ELNS1_3gpuE0ELNS1_3repE0EEENS1_30default_config_static_selectorELNS0_4arch9wavefront6targetE0EEEvS12_
; %bb.0:
	.section	.rodata,"a",@progbits
	.p2align	6, 0x0
	.amdhsa_kernel _ZN7rocprim17ROCPRIM_400000_NS6detail17trampoline_kernelINS0_13select_configILj256ELj13ELNS0_17block_load_methodE3ELS4_3ELS4_3ELNS0_20block_scan_algorithmE0ELj4294967295EEENS1_25partition_config_selectorILNS1_17partition_subalgoE4EjNS0_10empty_typeEbEEZZNS1_14partition_implILS8_4ELb0ES6_15HIP_vector_typeIjLj2EENS0_17counting_iteratorIjlEEPS9_SG_NS0_5tupleIJPjSI_NS0_16reverse_iteratorISI_EEEEENSH_IJSG_SG_SG_EEES9_SI_JZNS1_25segmented_radix_sort_implINS0_14default_configELb0EPKbPbPKlPlN2at6native12_GLOBAL__N_18offset_tEEE10hipError_tPvRmT1_PNSt15iterator_traitsIS12_E10value_typeET2_T3_PNS13_IS18_E10value_typeET4_jRbjT5_S1E_jjP12ihipStream_tbEUljE_ZNSN_ISO_Lb0ESQ_SR_ST_SU_SY_EESZ_S10_S11_S12_S16_S17_S18_S1B_S1C_jS1D_jS1E_S1E_jjS1G_bEUljE0_EEESZ_S10_S11_S18_S1C_S1E_T6_T7_T9_mT8_S1G_bDpT10_ENKUlT_T0_E_clISt17integral_constantIbLb1EES1U_EEDaS1P_S1Q_EUlS1P_E_NS1_11comp_targetILNS1_3genE0ELNS1_11target_archE4294967295ELNS1_3gpuE0ELNS1_3repE0EEENS1_30default_config_static_selectorELNS0_4arch9wavefront6targetE0EEEvS12_
		.amdhsa_group_segment_fixed_size 0
		.amdhsa_private_segment_fixed_size 0
		.amdhsa_kernarg_size 184
		.amdhsa_user_sgpr_count 15
		.amdhsa_user_sgpr_dispatch_ptr 0
		.amdhsa_user_sgpr_queue_ptr 0
		.amdhsa_user_sgpr_kernarg_segment_ptr 1
		.amdhsa_user_sgpr_dispatch_id 0
		.amdhsa_user_sgpr_private_segment_size 0
		.amdhsa_wavefront_size32 1
		.amdhsa_uses_dynamic_stack 0
		.amdhsa_enable_private_segment 0
		.amdhsa_system_sgpr_workgroup_id_x 1
		.amdhsa_system_sgpr_workgroup_id_y 0
		.amdhsa_system_sgpr_workgroup_id_z 0
		.amdhsa_system_sgpr_workgroup_info 0
		.amdhsa_system_vgpr_workitem_id 0
		.amdhsa_next_free_vgpr 1
		.amdhsa_next_free_sgpr 1
		.amdhsa_reserve_vcc 0
		.amdhsa_float_round_mode_32 0
		.amdhsa_float_round_mode_16_64 0
		.amdhsa_float_denorm_mode_32 3
		.amdhsa_float_denorm_mode_16_64 3
		.amdhsa_dx10_clamp 1
		.amdhsa_ieee_mode 1
		.amdhsa_fp16_overflow 0
		.amdhsa_workgroup_processor_mode 1
		.amdhsa_memory_ordered 1
		.amdhsa_forward_progress 0
		.amdhsa_shared_vgpr_count 0
		.amdhsa_exception_fp_ieee_invalid_op 0
		.amdhsa_exception_fp_denorm_src 0
		.amdhsa_exception_fp_ieee_div_zero 0
		.amdhsa_exception_fp_ieee_overflow 0
		.amdhsa_exception_fp_ieee_underflow 0
		.amdhsa_exception_fp_ieee_inexact 0
		.amdhsa_exception_int_div_zero 0
	.end_amdhsa_kernel
	.section	.text._ZN7rocprim17ROCPRIM_400000_NS6detail17trampoline_kernelINS0_13select_configILj256ELj13ELNS0_17block_load_methodE3ELS4_3ELS4_3ELNS0_20block_scan_algorithmE0ELj4294967295EEENS1_25partition_config_selectorILNS1_17partition_subalgoE4EjNS0_10empty_typeEbEEZZNS1_14partition_implILS8_4ELb0ES6_15HIP_vector_typeIjLj2EENS0_17counting_iteratorIjlEEPS9_SG_NS0_5tupleIJPjSI_NS0_16reverse_iteratorISI_EEEEENSH_IJSG_SG_SG_EEES9_SI_JZNS1_25segmented_radix_sort_implINS0_14default_configELb0EPKbPbPKlPlN2at6native12_GLOBAL__N_18offset_tEEE10hipError_tPvRmT1_PNSt15iterator_traitsIS12_E10value_typeET2_T3_PNS13_IS18_E10value_typeET4_jRbjT5_S1E_jjP12ihipStream_tbEUljE_ZNSN_ISO_Lb0ESQ_SR_ST_SU_SY_EESZ_S10_S11_S12_S16_S17_S18_S1B_S1C_jS1D_jS1E_S1E_jjS1G_bEUljE0_EEESZ_S10_S11_S18_S1C_S1E_T6_T7_T9_mT8_S1G_bDpT10_ENKUlT_T0_E_clISt17integral_constantIbLb1EES1U_EEDaS1P_S1Q_EUlS1P_E_NS1_11comp_targetILNS1_3genE0ELNS1_11target_archE4294967295ELNS1_3gpuE0ELNS1_3repE0EEENS1_30default_config_static_selectorELNS0_4arch9wavefront6targetE0EEEvS12_,"axG",@progbits,_ZN7rocprim17ROCPRIM_400000_NS6detail17trampoline_kernelINS0_13select_configILj256ELj13ELNS0_17block_load_methodE3ELS4_3ELS4_3ELNS0_20block_scan_algorithmE0ELj4294967295EEENS1_25partition_config_selectorILNS1_17partition_subalgoE4EjNS0_10empty_typeEbEEZZNS1_14partition_implILS8_4ELb0ES6_15HIP_vector_typeIjLj2EENS0_17counting_iteratorIjlEEPS9_SG_NS0_5tupleIJPjSI_NS0_16reverse_iteratorISI_EEEEENSH_IJSG_SG_SG_EEES9_SI_JZNS1_25segmented_radix_sort_implINS0_14default_configELb0EPKbPbPKlPlN2at6native12_GLOBAL__N_18offset_tEEE10hipError_tPvRmT1_PNSt15iterator_traitsIS12_E10value_typeET2_T3_PNS13_IS18_E10value_typeET4_jRbjT5_S1E_jjP12ihipStream_tbEUljE_ZNSN_ISO_Lb0ESQ_SR_ST_SU_SY_EESZ_S10_S11_S12_S16_S17_S18_S1B_S1C_jS1D_jS1E_S1E_jjS1G_bEUljE0_EEESZ_S10_S11_S18_S1C_S1E_T6_T7_T9_mT8_S1G_bDpT10_ENKUlT_T0_E_clISt17integral_constantIbLb1EES1U_EEDaS1P_S1Q_EUlS1P_E_NS1_11comp_targetILNS1_3genE0ELNS1_11target_archE4294967295ELNS1_3gpuE0ELNS1_3repE0EEENS1_30default_config_static_selectorELNS0_4arch9wavefront6targetE0EEEvS12_,comdat
.Lfunc_end1579:
	.size	_ZN7rocprim17ROCPRIM_400000_NS6detail17trampoline_kernelINS0_13select_configILj256ELj13ELNS0_17block_load_methodE3ELS4_3ELS4_3ELNS0_20block_scan_algorithmE0ELj4294967295EEENS1_25partition_config_selectorILNS1_17partition_subalgoE4EjNS0_10empty_typeEbEEZZNS1_14partition_implILS8_4ELb0ES6_15HIP_vector_typeIjLj2EENS0_17counting_iteratorIjlEEPS9_SG_NS0_5tupleIJPjSI_NS0_16reverse_iteratorISI_EEEEENSH_IJSG_SG_SG_EEES9_SI_JZNS1_25segmented_radix_sort_implINS0_14default_configELb0EPKbPbPKlPlN2at6native12_GLOBAL__N_18offset_tEEE10hipError_tPvRmT1_PNSt15iterator_traitsIS12_E10value_typeET2_T3_PNS13_IS18_E10value_typeET4_jRbjT5_S1E_jjP12ihipStream_tbEUljE_ZNSN_ISO_Lb0ESQ_SR_ST_SU_SY_EESZ_S10_S11_S12_S16_S17_S18_S1B_S1C_jS1D_jS1E_S1E_jjS1G_bEUljE0_EEESZ_S10_S11_S18_S1C_S1E_T6_T7_T9_mT8_S1G_bDpT10_ENKUlT_T0_E_clISt17integral_constantIbLb1EES1U_EEDaS1P_S1Q_EUlS1P_E_NS1_11comp_targetILNS1_3genE0ELNS1_11target_archE4294967295ELNS1_3gpuE0ELNS1_3repE0EEENS1_30default_config_static_selectorELNS0_4arch9wavefront6targetE0EEEvS12_, .Lfunc_end1579-_ZN7rocprim17ROCPRIM_400000_NS6detail17trampoline_kernelINS0_13select_configILj256ELj13ELNS0_17block_load_methodE3ELS4_3ELS4_3ELNS0_20block_scan_algorithmE0ELj4294967295EEENS1_25partition_config_selectorILNS1_17partition_subalgoE4EjNS0_10empty_typeEbEEZZNS1_14partition_implILS8_4ELb0ES6_15HIP_vector_typeIjLj2EENS0_17counting_iteratorIjlEEPS9_SG_NS0_5tupleIJPjSI_NS0_16reverse_iteratorISI_EEEEENSH_IJSG_SG_SG_EEES9_SI_JZNS1_25segmented_radix_sort_implINS0_14default_configELb0EPKbPbPKlPlN2at6native12_GLOBAL__N_18offset_tEEE10hipError_tPvRmT1_PNSt15iterator_traitsIS12_E10value_typeET2_T3_PNS13_IS18_E10value_typeET4_jRbjT5_S1E_jjP12ihipStream_tbEUljE_ZNSN_ISO_Lb0ESQ_SR_ST_SU_SY_EESZ_S10_S11_S12_S16_S17_S18_S1B_S1C_jS1D_jS1E_S1E_jjS1G_bEUljE0_EEESZ_S10_S11_S18_S1C_S1E_T6_T7_T9_mT8_S1G_bDpT10_ENKUlT_T0_E_clISt17integral_constantIbLb1EES1U_EEDaS1P_S1Q_EUlS1P_E_NS1_11comp_targetILNS1_3genE0ELNS1_11target_archE4294967295ELNS1_3gpuE0ELNS1_3repE0EEENS1_30default_config_static_selectorELNS0_4arch9wavefront6targetE0EEEvS12_
                                        ; -- End function
	.section	.AMDGPU.csdata,"",@progbits
; Kernel info:
; codeLenInByte = 0
; NumSgprs: 0
; NumVgprs: 0
; ScratchSize: 0
; MemoryBound: 0
; FloatMode: 240
; IeeeMode: 1
; LDSByteSize: 0 bytes/workgroup (compile time only)
; SGPRBlocks: 0
; VGPRBlocks: 0
; NumSGPRsForWavesPerEU: 1
; NumVGPRsForWavesPerEU: 1
; Occupancy: 16
; WaveLimiterHint : 0
; COMPUTE_PGM_RSRC2:SCRATCH_EN: 0
; COMPUTE_PGM_RSRC2:USER_SGPR: 15
; COMPUTE_PGM_RSRC2:TRAP_HANDLER: 0
; COMPUTE_PGM_RSRC2:TGID_X_EN: 1
; COMPUTE_PGM_RSRC2:TGID_Y_EN: 0
; COMPUTE_PGM_RSRC2:TGID_Z_EN: 0
; COMPUTE_PGM_RSRC2:TIDIG_COMP_CNT: 0
	.section	.text._ZN7rocprim17ROCPRIM_400000_NS6detail17trampoline_kernelINS0_13select_configILj256ELj13ELNS0_17block_load_methodE3ELS4_3ELS4_3ELNS0_20block_scan_algorithmE0ELj4294967295EEENS1_25partition_config_selectorILNS1_17partition_subalgoE4EjNS0_10empty_typeEbEEZZNS1_14partition_implILS8_4ELb0ES6_15HIP_vector_typeIjLj2EENS0_17counting_iteratorIjlEEPS9_SG_NS0_5tupleIJPjSI_NS0_16reverse_iteratorISI_EEEEENSH_IJSG_SG_SG_EEES9_SI_JZNS1_25segmented_radix_sort_implINS0_14default_configELb0EPKbPbPKlPlN2at6native12_GLOBAL__N_18offset_tEEE10hipError_tPvRmT1_PNSt15iterator_traitsIS12_E10value_typeET2_T3_PNS13_IS18_E10value_typeET4_jRbjT5_S1E_jjP12ihipStream_tbEUljE_ZNSN_ISO_Lb0ESQ_SR_ST_SU_SY_EESZ_S10_S11_S12_S16_S17_S18_S1B_S1C_jS1D_jS1E_S1E_jjS1G_bEUljE0_EEESZ_S10_S11_S18_S1C_S1E_T6_T7_T9_mT8_S1G_bDpT10_ENKUlT_T0_E_clISt17integral_constantIbLb1EES1U_EEDaS1P_S1Q_EUlS1P_E_NS1_11comp_targetILNS1_3genE5ELNS1_11target_archE942ELNS1_3gpuE9ELNS1_3repE0EEENS1_30default_config_static_selectorELNS0_4arch9wavefront6targetE0EEEvS12_,"axG",@progbits,_ZN7rocprim17ROCPRIM_400000_NS6detail17trampoline_kernelINS0_13select_configILj256ELj13ELNS0_17block_load_methodE3ELS4_3ELS4_3ELNS0_20block_scan_algorithmE0ELj4294967295EEENS1_25partition_config_selectorILNS1_17partition_subalgoE4EjNS0_10empty_typeEbEEZZNS1_14partition_implILS8_4ELb0ES6_15HIP_vector_typeIjLj2EENS0_17counting_iteratorIjlEEPS9_SG_NS0_5tupleIJPjSI_NS0_16reverse_iteratorISI_EEEEENSH_IJSG_SG_SG_EEES9_SI_JZNS1_25segmented_radix_sort_implINS0_14default_configELb0EPKbPbPKlPlN2at6native12_GLOBAL__N_18offset_tEEE10hipError_tPvRmT1_PNSt15iterator_traitsIS12_E10value_typeET2_T3_PNS13_IS18_E10value_typeET4_jRbjT5_S1E_jjP12ihipStream_tbEUljE_ZNSN_ISO_Lb0ESQ_SR_ST_SU_SY_EESZ_S10_S11_S12_S16_S17_S18_S1B_S1C_jS1D_jS1E_S1E_jjS1G_bEUljE0_EEESZ_S10_S11_S18_S1C_S1E_T6_T7_T9_mT8_S1G_bDpT10_ENKUlT_T0_E_clISt17integral_constantIbLb1EES1U_EEDaS1P_S1Q_EUlS1P_E_NS1_11comp_targetILNS1_3genE5ELNS1_11target_archE942ELNS1_3gpuE9ELNS1_3repE0EEENS1_30default_config_static_selectorELNS0_4arch9wavefront6targetE0EEEvS12_,comdat
	.globl	_ZN7rocprim17ROCPRIM_400000_NS6detail17trampoline_kernelINS0_13select_configILj256ELj13ELNS0_17block_load_methodE3ELS4_3ELS4_3ELNS0_20block_scan_algorithmE0ELj4294967295EEENS1_25partition_config_selectorILNS1_17partition_subalgoE4EjNS0_10empty_typeEbEEZZNS1_14partition_implILS8_4ELb0ES6_15HIP_vector_typeIjLj2EENS0_17counting_iteratorIjlEEPS9_SG_NS0_5tupleIJPjSI_NS0_16reverse_iteratorISI_EEEEENSH_IJSG_SG_SG_EEES9_SI_JZNS1_25segmented_radix_sort_implINS0_14default_configELb0EPKbPbPKlPlN2at6native12_GLOBAL__N_18offset_tEEE10hipError_tPvRmT1_PNSt15iterator_traitsIS12_E10value_typeET2_T3_PNS13_IS18_E10value_typeET4_jRbjT5_S1E_jjP12ihipStream_tbEUljE_ZNSN_ISO_Lb0ESQ_SR_ST_SU_SY_EESZ_S10_S11_S12_S16_S17_S18_S1B_S1C_jS1D_jS1E_S1E_jjS1G_bEUljE0_EEESZ_S10_S11_S18_S1C_S1E_T6_T7_T9_mT8_S1G_bDpT10_ENKUlT_T0_E_clISt17integral_constantIbLb1EES1U_EEDaS1P_S1Q_EUlS1P_E_NS1_11comp_targetILNS1_3genE5ELNS1_11target_archE942ELNS1_3gpuE9ELNS1_3repE0EEENS1_30default_config_static_selectorELNS0_4arch9wavefront6targetE0EEEvS12_ ; -- Begin function _ZN7rocprim17ROCPRIM_400000_NS6detail17trampoline_kernelINS0_13select_configILj256ELj13ELNS0_17block_load_methodE3ELS4_3ELS4_3ELNS0_20block_scan_algorithmE0ELj4294967295EEENS1_25partition_config_selectorILNS1_17partition_subalgoE4EjNS0_10empty_typeEbEEZZNS1_14partition_implILS8_4ELb0ES6_15HIP_vector_typeIjLj2EENS0_17counting_iteratorIjlEEPS9_SG_NS0_5tupleIJPjSI_NS0_16reverse_iteratorISI_EEEEENSH_IJSG_SG_SG_EEES9_SI_JZNS1_25segmented_radix_sort_implINS0_14default_configELb0EPKbPbPKlPlN2at6native12_GLOBAL__N_18offset_tEEE10hipError_tPvRmT1_PNSt15iterator_traitsIS12_E10value_typeET2_T3_PNS13_IS18_E10value_typeET4_jRbjT5_S1E_jjP12ihipStream_tbEUljE_ZNSN_ISO_Lb0ESQ_SR_ST_SU_SY_EESZ_S10_S11_S12_S16_S17_S18_S1B_S1C_jS1D_jS1E_S1E_jjS1G_bEUljE0_EEESZ_S10_S11_S18_S1C_S1E_T6_T7_T9_mT8_S1G_bDpT10_ENKUlT_T0_E_clISt17integral_constantIbLb1EES1U_EEDaS1P_S1Q_EUlS1P_E_NS1_11comp_targetILNS1_3genE5ELNS1_11target_archE942ELNS1_3gpuE9ELNS1_3repE0EEENS1_30default_config_static_selectorELNS0_4arch9wavefront6targetE0EEEvS12_
	.p2align	8
	.type	_ZN7rocprim17ROCPRIM_400000_NS6detail17trampoline_kernelINS0_13select_configILj256ELj13ELNS0_17block_load_methodE3ELS4_3ELS4_3ELNS0_20block_scan_algorithmE0ELj4294967295EEENS1_25partition_config_selectorILNS1_17partition_subalgoE4EjNS0_10empty_typeEbEEZZNS1_14partition_implILS8_4ELb0ES6_15HIP_vector_typeIjLj2EENS0_17counting_iteratorIjlEEPS9_SG_NS0_5tupleIJPjSI_NS0_16reverse_iteratorISI_EEEEENSH_IJSG_SG_SG_EEES9_SI_JZNS1_25segmented_radix_sort_implINS0_14default_configELb0EPKbPbPKlPlN2at6native12_GLOBAL__N_18offset_tEEE10hipError_tPvRmT1_PNSt15iterator_traitsIS12_E10value_typeET2_T3_PNS13_IS18_E10value_typeET4_jRbjT5_S1E_jjP12ihipStream_tbEUljE_ZNSN_ISO_Lb0ESQ_SR_ST_SU_SY_EESZ_S10_S11_S12_S16_S17_S18_S1B_S1C_jS1D_jS1E_S1E_jjS1G_bEUljE0_EEESZ_S10_S11_S18_S1C_S1E_T6_T7_T9_mT8_S1G_bDpT10_ENKUlT_T0_E_clISt17integral_constantIbLb1EES1U_EEDaS1P_S1Q_EUlS1P_E_NS1_11comp_targetILNS1_3genE5ELNS1_11target_archE942ELNS1_3gpuE9ELNS1_3repE0EEENS1_30default_config_static_selectorELNS0_4arch9wavefront6targetE0EEEvS12_,@function
_ZN7rocprim17ROCPRIM_400000_NS6detail17trampoline_kernelINS0_13select_configILj256ELj13ELNS0_17block_load_methodE3ELS4_3ELS4_3ELNS0_20block_scan_algorithmE0ELj4294967295EEENS1_25partition_config_selectorILNS1_17partition_subalgoE4EjNS0_10empty_typeEbEEZZNS1_14partition_implILS8_4ELb0ES6_15HIP_vector_typeIjLj2EENS0_17counting_iteratorIjlEEPS9_SG_NS0_5tupleIJPjSI_NS0_16reverse_iteratorISI_EEEEENSH_IJSG_SG_SG_EEES9_SI_JZNS1_25segmented_radix_sort_implINS0_14default_configELb0EPKbPbPKlPlN2at6native12_GLOBAL__N_18offset_tEEE10hipError_tPvRmT1_PNSt15iterator_traitsIS12_E10value_typeET2_T3_PNS13_IS18_E10value_typeET4_jRbjT5_S1E_jjP12ihipStream_tbEUljE_ZNSN_ISO_Lb0ESQ_SR_ST_SU_SY_EESZ_S10_S11_S12_S16_S17_S18_S1B_S1C_jS1D_jS1E_S1E_jjS1G_bEUljE0_EEESZ_S10_S11_S18_S1C_S1E_T6_T7_T9_mT8_S1G_bDpT10_ENKUlT_T0_E_clISt17integral_constantIbLb1EES1U_EEDaS1P_S1Q_EUlS1P_E_NS1_11comp_targetILNS1_3genE5ELNS1_11target_archE942ELNS1_3gpuE9ELNS1_3repE0EEENS1_30default_config_static_selectorELNS0_4arch9wavefront6targetE0EEEvS12_: ; @_ZN7rocprim17ROCPRIM_400000_NS6detail17trampoline_kernelINS0_13select_configILj256ELj13ELNS0_17block_load_methodE3ELS4_3ELS4_3ELNS0_20block_scan_algorithmE0ELj4294967295EEENS1_25partition_config_selectorILNS1_17partition_subalgoE4EjNS0_10empty_typeEbEEZZNS1_14partition_implILS8_4ELb0ES6_15HIP_vector_typeIjLj2EENS0_17counting_iteratorIjlEEPS9_SG_NS0_5tupleIJPjSI_NS0_16reverse_iteratorISI_EEEEENSH_IJSG_SG_SG_EEES9_SI_JZNS1_25segmented_radix_sort_implINS0_14default_configELb0EPKbPbPKlPlN2at6native12_GLOBAL__N_18offset_tEEE10hipError_tPvRmT1_PNSt15iterator_traitsIS12_E10value_typeET2_T3_PNS13_IS18_E10value_typeET4_jRbjT5_S1E_jjP12ihipStream_tbEUljE_ZNSN_ISO_Lb0ESQ_SR_ST_SU_SY_EESZ_S10_S11_S12_S16_S17_S18_S1B_S1C_jS1D_jS1E_S1E_jjS1G_bEUljE0_EEESZ_S10_S11_S18_S1C_S1E_T6_T7_T9_mT8_S1G_bDpT10_ENKUlT_T0_E_clISt17integral_constantIbLb1EES1U_EEDaS1P_S1Q_EUlS1P_E_NS1_11comp_targetILNS1_3genE5ELNS1_11target_archE942ELNS1_3gpuE9ELNS1_3repE0EEENS1_30default_config_static_selectorELNS0_4arch9wavefront6targetE0EEEvS12_
; %bb.0:
	.section	.rodata,"a",@progbits
	.p2align	6, 0x0
	.amdhsa_kernel _ZN7rocprim17ROCPRIM_400000_NS6detail17trampoline_kernelINS0_13select_configILj256ELj13ELNS0_17block_load_methodE3ELS4_3ELS4_3ELNS0_20block_scan_algorithmE0ELj4294967295EEENS1_25partition_config_selectorILNS1_17partition_subalgoE4EjNS0_10empty_typeEbEEZZNS1_14partition_implILS8_4ELb0ES6_15HIP_vector_typeIjLj2EENS0_17counting_iteratorIjlEEPS9_SG_NS0_5tupleIJPjSI_NS0_16reverse_iteratorISI_EEEEENSH_IJSG_SG_SG_EEES9_SI_JZNS1_25segmented_radix_sort_implINS0_14default_configELb0EPKbPbPKlPlN2at6native12_GLOBAL__N_18offset_tEEE10hipError_tPvRmT1_PNSt15iterator_traitsIS12_E10value_typeET2_T3_PNS13_IS18_E10value_typeET4_jRbjT5_S1E_jjP12ihipStream_tbEUljE_ZNSN_ISO_Lb0ESQ_SR_ST_SU_SY_EESZ_S10_S11_S12_S16_S17_S18_S1B_S1C_jS1D_jS1E_S1E_jjS1G_bEUljE0_EEESZ_S10_S11_S18_S1C_S1E_T6_T7_T9_mT8_S1G_bDpT10_ENKUlT_T0_E_clISt17integral_constantIbLb1EES1U_EEDaS1P_S1Q_EUlS1P_E_NS1_11comp_targetILNS1_3genE5ELNS1_11target_archE942ELNS1_3gpuE9ELNS1_3repE0EEENS1_30default_config_static_selectorELNS0_4arch9wavefront6targetE0EEEvS12_
		.amdhsa_group_segment_fixed_size 0
		.amdhsa_private_segment_fixed_size 0
		.amdhsa_kernarg_size 184
		.amdhsa_user_sgpr_count 15
		.amdhsa_user_sgpr_dispatch_ptr 0
		.amdhsa_user_sgpr_queue_ptr 0
		.amdhsa_user_sgpr_kernarg_segment_ptr 1
		.amdhsa_user_sgpr_dispatch_id 0
		.amdhsa_user_sgpr_private_segment_size 0
		.amdhsa_wavefront_size32 1
		.amdhsa_uses_dynamic_stack 0
		.amdhsa_enable_private_segment 0
		.amdhsa_system_sgpr_workgroup_id_x 1
		.amdhsa_system_sgpr_workgroup_id_y 0
		.amdhsa_system_sgpr_workgroup_id_z 0
		.amdhsa_system_sgpr_workgroup_info 0
		.amdhsa_system_vgpr_workitem_id 0
		.amdhsa_next_free_vgpr 1
		.amdhsa_next_free_sgpr 1
		.amdhsa_reserve_vcc 0
		.amdhsa_float_round_mode_32 0
		.amdhsa_float_round_mode_16_64 0
		.amdhsa_float_denorm_mode_32 3
		.amdhsa_float_denorm_mode_16_64 3
		.amdhsa_dx10_clamp 1
		.amdhsa_ieee_mode 1
		.amdhsa_fp16_overflow 0
		.amdhsa_workgroup_processor_mode 1
		.amdhsa_memory_ordered 1
		.amdhsa_forward_progress 0
		.amdhsa_shared_vgpr_count 0
		.amdhsa_exception_fp_ieee_invalid_op 0
		.amdhsa_exception_fp_denorm_src 0
		.amdhsa_exception_fp_ieee_div_zero 0
		.amdhsa_exception_fp_ieee_overflow 0
		.amdhsa_exception_fp_ieee_underflow 0
		.amdhsa_exception_fp_ieee_inexact 0
		.amdhsa_exception_int_div_zero 0
	.end_amdhsa_kernel
	.section	.text._ZN7rocprim17ROCPRIM_400000_NS6detail17trampoline_kernelINS0_13select_configILj256ELj13ELNS0_17block_load_methodE3ELS4_3ELS4_3ELNS0_20block_scan_algorithmE0ELj4294967295EEENS1_25partition_config_selectorILNS1_17partition_subalgoE4EjNS0_10empty_typeEbEEZZNS1_14partition_implILS8_4ELb0ES6_15HIP_vector_typeIjLj2EENS0_17counting_iteratorIjlEEPS9_SG_NS0_5tupleIJPjSI_NS0_16reverse_iteratorISI_EEEEENSH_IJSG_SG_SG_EEES9_SI_JZNS1_25segmented_radix_sort_implINS0_14default_configELb0EPKbPbPKlPlN2at6native12_GLOBAL__N_18offset_tEEE10hipError_tPvRmT1_PNSt15iterator_traitsIS12_E10value_typeET2_T3_PNS13_IS18_E10value_typeET4_jRbjT5_S1E_jjP12ihipStream_tbEUljE_ZNSN_ISO_Lb0ESQ_SR_ST_SU_SY_EESZ_S10_S11_S12_S16_S17_S18_S1B_S1C_jS1D_jS1E_S1E_jjS1G_bEUljE0_EEESZ_S10_S11_S18_S1C_S1E_T6_T7_T9_mT8_S1G_bDpT10_ENKUlT_T0_E_clISt17integral_constantIbLb1EES1U_EEDaS1P_S1Q_EUlS1P_E_NS1_11comp_targetILNS1_3genE5ELNS1_11target_archE942ELNS1_3gpuE9ELNS1_3repE0EEENS1_30default_config_static_selectorELNS0_4arch9wavefront6targetE0EEEvS12_,"axG",@progbits,_ZN7rocprim17ROCPRIM_400000_NS6detail17trampoline_kernelINS0_13select_configILj256ELj13ELNS0_17block_load_methodE3ELS4_3ELS4_3ELNS0_20block_scan_algorithmE0ELj4294967295EEENS1_25partition_config_selectorILNS1_17partition_subalgoE4EjNS0_10empty_typeEbEEZZNS1_14partition_implILS8_4ELb0ES6_15HIP_vector_typeIjLj2EENS0_17counting_iteratorIjlEEPS9_SG_NS0_5tupleIJPjSI_NS0_16reverse_iteratorISI_EEEEENSH_IJSG_SG_SG_EEES9_SI_JZNS1_25segmented_radix_sort_implINS0_14default_configELb0EPKbPbPKlPlN2at6native12_GLOBAL__N_18offset_tEEE10hipError_tPvRmT1_PNSt15iterator_traitsIS12_E10value_typeET2_T3_PNS13_IS18_E10value_typeET4_jRbjT5_S1E_jjP12ihipStream_tbEUljE_ZNSN_ISO_Lb0ESQ_SR_ST_SU_SY_EESZ_S10_S11_S12_S16_S17_S18_S1B_S1C_jS1D_jS1E_S1E_jjS1G_bEUljE0_EEESZ_S10_S11_S18_S1C_S1E_T6_T7_T9_mT8_S1G_bDpT10_ENKUlT_T0_E_clISt17integral_constantIbLb1EES1U_EEDaS1P_S1Q_EUlS1P_E_NS1_11comp_targetILNS1_3genE5ELNS1_11target_archE942ELNS1_3gpuE9ELNS1_3repE0EEENS1_30default_config_static_selectorELNS0_4arch9wavefront6targetE0EEEvS12_,comdat
.Lfunc_end1580:
	.size	_ZN7rocprim17ROCPRIM_400000_NS6detail17trampoline_kernelINS0_13select_configILj256ELj13ELNS0_17block_load_methodE3ELS4_3ELS4_3ELNS0_20block_scan_algorithmE0ELj4294967295EEENS1_25partition_config_selectorILNS1_17partition_subalgoE4EjNS0_10empty_typeEbEEZZNS1_14partition_implILS8_4ELb0ES6_15HIP_vector_typeIjLj2EENS0_17counting_iteratorIjlEEPS9_SG_NS0_5tupleIJPjSI_NS0_16reverse_iteratorISI_EEEEENSH_IJSG_SG_SG_EEES9_SI_JZNS1_25segmented_radix_sort_implINS0_14default_configELb0EPKbPbPKlPlN2at6native12_GLOBAL__N_18offset_tEEE10hipError_tPvRmT1_PNSt15iterator_traitsIS12_E10value_typeET2_T3_PNS13_IS18_E10value_typeET4_jRbjT5_S1E_jjP12ihipStream_tbEUljE_ZNSN_ISO_Lb0ESQ_SR_ST_SU_SY_EESZ_S10_S11_S12_S16_S17_S18_S1B_S1C_jS1D_jS1E_S1E_jjS1G_bEUljE0_EEESZ_S10_S11_S18_S1C_S1E_T6_T7_T9_mT8_S1G_bDpT10_ENKUlT_T0_E_clISt17integral_constantIbLb1EES1U_EEDaS1P_S1Q_EUlS1P_E_NS1_11comp_targetILNS1_3genE5ELNS1_11target_archE942ELNS1_3gpuE9ELNS1_3repE0EEENS1_30default_config_static_selectorELNS0_4arch9wavefront6targetE0EEEvS12_, .Lfunc_end1580-_ZN7rocprim17ROCPRIM_400000_NS6detail17trampoline_kernelINS0_13select_configILj256ELj13ELNS0_17block_load_methodE3ELS4_3ELS4_3ELNS0_20block_scan_algorithmE0ELj4294967295EEENS1_25partition_config_selectorILNS1_17partition_subalgoE4EjNS0_10empty_typeEbEEZZNS1_14partition_implILS8_4ELb0ES6_15HIP_vector_typeIjLj2EENS0_17counting_iteratorIjlEEPS9_SG_NS0_5tupleIJPjSI_NS0_16reverse_iteratorISI_EEEEENSH_IJSG_SG_SG_EEES9_SI_JZNS1_25segmented_radix_sort_implINS0_14default_configELb0EPKbPbPKlPlN2at6native12_GLOBAL__N_18offset_tEEE10hipError_tPvRmT1_PNSt15iterator_traitsIS12_E10value_typeET2_T3_PNS13_IS18_E10value_typeET4_jRbjT5_S1E_jjP12ihipStream_tbEUljE_ZNSN_ISO_Lb0ESQ_SR_ST_SU_SY_EESZ_S10_S11_S12_S16_S17_S18_S1B_S1C_jS1D_jS1E_S1E_jjS1G_bEUljE0_EEESZ_S10_S11_S18_S1C_S1E_T6_T7_T9_mT8_S1G_bDpT10_ENKUlT_T0_E_clISt17integral_constantIbLb1EES1U_EEDaS1P_S1Q_EUlS1P_E_NS1_11comp_targetILNS1_3genE5ELNS1_11target_archE942ELNS1_3gpuE9ELNS1_3repE0EEENS1_30default_config_static_selectorELNS0_4arch9wavefront6targetE0EEEvS12_
                                        ; -- End function
	.section	.AMDGPU.csdata,"",@progbits
; Kernel info:
; codeLenInByte = 0
; NumSgprs: 0
; NumVgprs: 0
; ScratchSize: 0
; MemoryBound: 0
; FloatMode: 240
; IeeeMode: 1
; LDSByteSize: 0 bytes/workgroup (compile time only)
; SGPRBlocks: 0
; VGPRBlocks: 0
; NumSGPRsForWavesPerEU: 1
; NumVGPRsForWavesPerEU: 1
; Occupancy: 16
; WaveLimiterHint : 0
; COMPUTE_PGM_RSRC2:SCRATCH_EN: 0
; COMPUTE_PGM_RSRC2:USER_SGPR: 15
; COMPUTE_PGM_RSRC2:TRAP_HANDLER: 0
; COMPUTE_PGM_RSRC2:TGID_X_EN: 1
; COMPUTE_PGM_RSRC2:TGID_Y_EN: 0
; COMPUTE_PGM_RSRC2:TGID_Z_EN: 0
; COMPUTE_PGM_RSRC2:TIDIG_COMP_CNT: 0
	.section	.text._ZN7rocprim17ROCPRIM_400000_NS6detail17trampoline_kernelINS0_13select_configILj256ELj13ELNS0_17block_load_methodE3ELS4_3ELS4_3ELNS0_20block_scan_algorithmE0ELj4294967295EEENS1_25partition_config_selectorILNS1_17partition_subalgoE4EjNS0_10empty_typeEbEEZZNS1_14partition_implILS8_4ELb0ES6_15HIP_vector_typeIjLj2EENS0_17counting_iteratorIjlEEPS9_SG_NS0_5tupleIJPjSI_NS0_16reverse_iteratorISI_EEEEENSH_IJSG_SG_SG_EEES9_SI_JZNS1_25segmented_radix_sort_implINS0_14default_configELb0EPKbPbPKlPlN2at6native12_GLOBAL__N_18offset_tEEE10hipError_tPvRmT1_PNSt15iterator_traitsIS12_E10value_typeET2_T3_PNS13_IS18_E10value_typeET4_jRbjT5_S1E_jjP12ihipStream_tbEUljE_ZNSN_ISO_Lb0ESQ_SR_ST_SU_SY_EESZ_S10_S11_S12_S16_S17_S18_S1B_S1C_jS1D_jS1E_S1E_jjS1G_bEUljE0_EEESZ_S10_S11_S18_S1C_S1E_T6_T7_T9_mT8_S1G_bDpT10_ENKUlT_T0_E_clISt17integral_constantIbLb1EES1U_EEDaS1P_S1Q_EUlS1P_E_NS1_11comp_targetILNS1_3genE4ELNS1_11target_archE910ELNS1_3gpuE8ELNS1_3repE0EEENS1_30default_config_static_selectorELNS0_4arch9wavefront6targetE0EEEvS12_,"axG",@progbits,_ZN7rocprim17ROCPRIM_400000_NS6detail17trampoline_kernelINS0_13select_configILj256ELj13ELNS0_17block_load_methodE3ELS4_3ELS4_3ELNS0_20block_scan_algorithmE0ELj4294967295EEENS1_25partition_config_selectorILNS1_17partition_subalgoE4EjNS0_10empty_typeEbEEZZNS1_14partition_implILS8_4ELb0ES6_15HIP_vector_typeIjLj2EENS0_17counting_iteratorIjlEEPS9_SG_NS0_5tupleIJPjSI_NS0_16reverse_iteratorISI_EEEEENSH_IJSG_SG_SG_EEES9_SI_JZNS1_25segmented_radix_sort_implINS0_14default_configELb0EPKbPbPKlPlN2at6native12_GLOBAL__N_18offset_tEEE10hipError_tPvRmT1_PNSt15iterator_traitsIS12_E10value_typeET2_T3_PNS13_IS18_E10value_typeET4_jRbjT5_S1E_jjP12ihipStream_tbEUljE_ZNSN_ISO_Lb0ESQ_SR_ST_SU_SY_EESZ_S10_S11_S12_S16_S17_S18_S1B_S1C_jS1D_jS1E_S1E_jjS1G_bEUljE0_EEESZ_S10_S11_S18_S1C_S1E_T6_T7_T9_mT8_S1G_bDpT10_ENKUlT_T0_E_clISt17integral_constantIbLb1EES1U_EEDaS1P_S1Q_EUlS1P_E_NS1_11comp_targetILNS1_3genE4ELNS1_11target_archE910ELNS1_3gpuE8ELNS1_3repE0EEENS1_30default_config_static_selectorELNS0_4arch9wavefront6targetE0EEEvS12_,comdat
	.globl	_ZN7rocprim17ROCPRIM_400000_NS6detail17trampoline_kernelINS0_13select_configILj256ELj13ELNS0_17block_load_methodE3ELS4_3ELS4_3ELNS0_20block_scan_algorithmE0ELj4294967295EEENS1_25partition_config_selectorILNS1_17partition_subalgoE4EjNS0_10empty_typeEbEEZZNS1_14partition_implILS8_4ELb0ES6_15HIP_vector_typeIjLj2EENS0_17counting_iteratorIjlEEPS9_SG_NS0_5tupleIJPjSI_NS0_16reverse_iteratorISI_EEEEENSH_IJSG_SG_SG_EEES9_SI_JZNS1_25segmented_radix_sort_implINS0_14default_configELb0EPKbPbPKlPlN2at6native12_GLOBAL__N_18offset_tEEE10hipError_tPvRmT1_PNSt15iterator_traitsIS12_E10value_typeET2_T3_PNS13_IS18_E10value_typeET4_jRbjT5_S1E_jjP12ihipStream_tbEUljE_ZNSN_ISO_Lb0ESQ_SR_ST_SU_SY_EESZ_S10_S11_S12_S16_S17_S18_S1B_S1C_jS1D_jS1E_S1E_jjS1G_bEUljE0_EEESZ_S10_S11_S18_S1C_S1E_T6_T7_T9_mT8_S1G_bDpT10_ENKUlT_T0_E_clISt17integral_constantIbLb1EES1U_EEDaS1P_S1Q_EUlS1P_E_NS1_11comp_targetILNS1_3genE4ELNS1_11target_archE910ELNS1_3gpuE8ELNS1_3repE0EEENS1_30default_config_static_selectorELNS0_4arch9wavefront6targetE0EEEvS12_ ; -- Begin function _ZN7rocprim17ROCPRIM_400000_NS6detail17trampoline_kernelINS0_13select_configILj256ELj13ELNS0_17block_load_methodE3ELS4_3ELS4_3ELNS0_20block_scan_algorithmE0ELj4294967295EEENS1_25partition_config_selectorILNS1_17partition_subalgoE4EjNS0_10empty_typeEbEEZZNS1_14partition_implILS8_4ELb0ES6_15HIP_vector_typeIjLj2EENS0_17counting_iteratorIjlEEPS9_SG_NS0_5tupleIJPjSI_NS0_16reverse_iteratorISI_EEEEENSH_IJSG_SG_SG_EEES9_SI_JZNS1_25segmented_radix_sort_implINS0_14default_configELb0EPKbPbPKlPlN2at6native12_GLOBAL__N_18offset_tEEE10hipError_tPvRmT1_PNSt15iterator_traitsIS12_E10value_typeET2_T3_PNS13_IS18_E10value_typeET4_jRbjT5_S1E_jjP12ihipStream_tbEUljE_ZNSN_ISO_Lb0ESQ_SR_ST_SU_SY_EESZ_S10_S11_S12_S16_S17_S18_S1B_S1C_jS1D_jS1E_S1E_jjS1G_bEUljE0_EEESZ_S10_S11_S18_S1C_S1E_T6_T7_T9_mT8_S1G_bDpT10_ENKUlT_T0_E_clISt17integral_constantIbLb1EES1U_EEDaS1P_S1Q_EUlS1P_E_NS1_11comp_targetILNS1_3genE4ELNS1_11target_archE910ELNS1_3gpuE8ELNS1_3repE0EEENS1_30default_config_static_selectorELNS0_4arch9wavefront6targetE0EEEvS12_
	.p2align	8
	.type	_ZN7rocprim17ROCPRIM_400000_NS6detail17trampoline_kernelINS0_13select_configILj256ELj13ELNS0_17block_load_methodE3ELS4_3ELS4_3ELNS0_20block_scan_algorithmE0ELj4294967295EEENS1_25partition_config_selectorILNS1_17partition_subalgoE4EjNS0_10empty_typeEbEEZZNS1_14partition_implILS8_4ELb0ES6_15HIP_vector_typeIjLj2EENS0_17counting_iteratorIjlEEPS9_SG_NS0_5tupleIJPjSI_NS0_16reverse_iteratorISI_EEEEENSH_IJSG_SG_SG_EEES9_SI_JZNS1_25segmented_radix_sort_implINS0_14default_configELb0EPKbPbPKlPlN2at6native12_GLOBAL__N_18offset_tEEE10hipError_tPvRmT1_PNSt15iterator_traitsIS12_E10value_typeET2_T3_PNS13_IS18_E10value_typeET4_jRbjT5_S1E_jjP12ihipStream_tbEUljE_ZNSN_ISO_Lb0ESQ_SR_ST_SU_SY_EESZ_S10_S11_S12_S16_S17_S18_S1B_S1C_jS1D_jS1E_S1E_jjS1G_bEUljE0_EEESZ_S10_S11_S18_S1C_S1E_T6_T7_T9_mT8_S1G_bDpT10_ENKUlT_T0_E_clISt17integral_constantIbLb1EES1U_EEDaS1P_S1Q_EUlS1P_E_NS1_11comp_targetILNS1_3genE4ELNS1_11target_archE910ELNS1_3gpuE8ELNS1_3repE0EEENS1_30default_config_static_selectorELNS0_4arch9wavefront6targetE0EEEvS12_,@function
_ZN7rocprim17ROCPRIM_400000_NS6detail17trampoline_kernelINS0_13select_configILj256ELj13ELNS0_17block_load_methodE3ELS4_3ELS4_3ELNS0_20block_scan_algorithmE0ELj4294967295EEENS1_25partition_config_selectorILNS1_17partition_subalgoE4EjNS0_10empty_typeEbEEZZNS1_14partition_implILS8_4ELb0ES6_15HIP_vector_typeIjLj2EENS0_17counting_iteratorIjlEEPS9_SG_NS0_5tupleIJPjSI_NS0_16reverse_iteratorISI_EEEEENSH_IJSG_SG_SG_EEES9_SI_JZNS1_25segmented_radix_sort_implINS0_14default_configELb0EPKbPbPKlPlN2at6native12_GLOBAL__N_18offset_tEEE10hipError_tPvRmT1_PNSt15iterator_traitsIS12_E10value_typeET2_T3_PNS13_IS18_E10value_typeET4_jRbjT5_S1E_jjP12ihipStream_tbEUljE_ZNSN_ISO_Lb0ESQ_SR_ST_SU_SY_EESZ_S10_S11_S12_S16_S17_S18_S1B_S1C_jS1D_jS1E_S1E_jjS1G_bEUljE0_EEESZ_S10_S11_S18_S1C_S1E_T6_T7_T9_mT8_S1G_bDpT10_ENKUlT_T0_E_clISt17integral_constantIbLb1EES1U_EEDaS1P_S1Q_EUlS1P_E_NS1_11comp_targetILNS1_3genE4ELNS1_11target_archE910ELNS1_3gpuE8ELNS1_3repE0EEENS1_30default_config_static_selectorELNS0_4arch9wavefront6targetE0EEEvS12_: ; @_ZN7rocprim17ROCPRIM_400000_NS6detail17trampoline_kernelINS0_13select_configILj256ELj13ELNS0_17block_load_methodE3ELS4_3ELS4_3ELNS0_20block_scan_algorithmE0ELj4294967295EEENS1_25partition_config_selectorILNS1_17partition_subalgoE4EjNS0_10empty_typeEbEEZZNS1_14partition_implILS8_4ELb0ES6_15HIP_vector_typeIjLj2EENS0_17counting_iteratorIjlEEPS9_SG_NS0_5tupleIJPjSI_NS0_16reverse_iteratorISI_EEEEENSH_IJSG_SG_SG_EEES9_SI_JZNS1_25segmented_radix_sort_implINS0_14default_configELb0EPKbPbPKlPlN2at6native12_GLOBAL__N_18offset_tEEE10hipError_tPvRmT1_PNSt15iterator_traitsIS12_E10value_typeET2_T3_PNS13_IS18_E10value_typeET4_jRbjT5_S1E_jjP12ihipStream_tbEUljE_ZNSN_ISO_Lb0ESQ_SR_ST_SU_SY_EESZ_S10_S11_S12_S16_S17_S18_S1B_S1C_jS1D_jS1E_S1E_jjS1G_bEUljE0_EEESZ_S10_S11_S18_S1C_S1E_T6_T7_T9_mT8_S1G_bDpT10_ENKUlT_T0_E_clISt17integral_constantIbLb1EES1U_EEDaS1P_S1Q_EUlS1P_E_NS1_11comp_targetILNS1_3genE4ELNS1_11target_archE910ELNS1_3gpuE8ELNS1_3repE0EEENS1_30default_config_static_selectorELNS0_4arch9wavefront6targetE0EEEvS12_
; %bb.0:
	.section	.rodata,"a",@progbits
	.p2align	6, 0x0
	.amdhsa_kernel _ZN7rocprim17ROCPRIM_400000_NS6detail17trampoline_kernelINS0_13select_configILj256ELj13ELNS0_17block_load_methodE3ELS4_3ELS4_3ELNS0_20block_scan_algorithmE0ELj4294967295EEENS1_25partition_config_selectorILNS1_17partition_subalgoE4EjNS0_10empty_typeEbEEZZNS1_14partition_implILS8_4ELb0ES6_15HIP_vector_typeIjLj2EENS0_17counting_iteratorIjlEEPS9_SG_NS0_5tupleIJPjSI_NS0_16reverse_iteratorISI_EEEEENSH_IJSG_SG_SG_EEES9_SI_JZNS1_25segmented_radix_sort_implINS0_14default_configELb0EPKbPbPKlPlN2at6native12_GLOBAL__N_18offset_tEEE10hipError_tPvRmT1_PNSt15iterator_traitsIS12_E10value_typeET2_T3_PNS13_IS18_E10value_typeET4_jRbjT5_S1E_jjP12ihipStream_tbEUljE_ZNSN_ISO_Lb0ESQ_SR_ST_SU_SY_EESZ_S10_S11_S12_S16_S17_S18_S1B_S1C_jS1D_jS1E_S1E_jjS1G_bEUljE0_EEESZ_S10_S11_S18_S1C_S1E_T6_T7_T9_mT8_S1G_bDpT10_ENKUlT_T0_E_clISt17integral_constantIbLb1EES1U_EEDaS1P_S1Q_EUlS1P_E_NS1_11comp_targetILNS1_3genE4ELNS1_11target_archE910ELNS1_3gpuE8ELNS1_3repE0EEENS1_30default_config_static_selectorELNS0_4arch9wavefront6targetE0EEEvS12_
		.amdhsa_group_segment_fixed_size 0
		.amdhsa_private_segment_fixed_size 0
		.amdhsa_kernarg_size 184
		.amdhsa_user_sgpr_count 15
		.amdhsa_user_sgpr_dispatch_ptr 0
		.amdhsa_user_sgpr_queue_ptr 0
		.amdhsa_user_sgpr_kernarg_segment_ptr 1
		.amdhsa_user_sgpr_dispatch_id 0
		.amdhsa_user_sgpr_private_segment_size 0
		.amdhsa_wavefront_size32 1
		.amdhsa_uses_dynamic_stack 0
		.amdhsa_enable_private_segment 0
		.amdhsa_system_sgpr_workgroup_id_x 1
		.amdhsa_system_sgpr_workgroup_id_y 0
		.amdhsa_system_sgpr_workgroup_id_z 0
		.amdhsa_system_sgpr_workgroup_info 0
		.amdhsa_system_vgpr_workitem_id 0
		.amdhsa_next_free_vgpr 1
		.amdhsa_next_free_sgpr 1
		.amdhsa_reserve_vcc 0
		.amdhsa_float_round_mode_32 0
		.amdhsa_float_round_mode_16_64 0
		.amdhsa_float_denorm_mode_32 3
		.amdhsa_float_denorm_mode_16_64 3
		.amdhsa_dx10_clamp 1
		.amdhsa_ieee_mode 1
		.amdhsa_fp16_overflow 0
		.amdhsa_workgroup_processor_mode 1
		.amdhsa_memory_ordered 1
		.amdhsa_forward_progress 0
		.amdhsa_shared_vgpr_count 0
		.amdhsa_exception_fp_ieee_invalid_op 0
		.amdhsa_exception_fp_denorm_src 0
		.amdhsa_exception_fp_ieee_div_zero 0
		.amdhsa_exception_fp_ieee_overflow 0
		.amdhsa_exception_fp_ieee_underflow 0
		.amdhsa_exception_fp_ieee_inexact 0
		.amdhsa_exception_int_div_zero 0
	.end_amdhsa_kernel
	.section	.text._ZN7rocprim17ROCPRIM_400000_NS6detail17trampoline_kernelINS0_13select_configILj256ELj13ELNS0_17block_load_methodE3ELS4_3ELS4_3ELNS0_20block_scan_algorithmE0ELj4294967295EEENS1_25partition_config_selectorILNS1_17partition_subalgoE4EjNS0_10empty_typeEbEEZZNS1_14partition_implILS8_4ELb0ES6_15HIP_vector_typeIjLj2EENS0_17counting_iteratorIjlEEPS9_SG_NS0_5tupleIJPjSI_NS0_16reverse_iteratorISI_EEEEENSH_IJSG_SG_SG_EEES9_SI_JZNS1_25segmented_radix_sort_implINS0_14default_configELb0EPKbPbPKlPlN2at6native12_GLOBAL__N_18offset_tEEE10hipError_tPvRmT1_PNSt15iterator_traitsIS12_E10value_typeET2_T3_PNS13_IS18_E10value_typeET4_jRbjT5_S1E_jjP12ihipStream_tbEUljE_ZNSN_ISO_Lb0ESQ_SR_ST_SU_SY_EESZ_S10_S11_S12_S16_S17_S18_S1B_S1C_jS1D_jS1E_S1E_jjS1G_bEUljE0_EEESZ_S10_S11_S18_S1C_S1E_T6_T7_T9_mT8_S1G_bDpT10_ENKUlT_T0_E_clISt17integral_constantIbLb1EES1U_EEDaS1P_S1Q_EUlS1P_E_NS1_11comp_targetILNS1_3genE4ELNS1_11target_archE910ELNS1_3gpuE8ELNS1_3repE0EEENS1_30default_config_static_selectorELNS0_4arch9wavefront6targetE0EEEvS12_,"axG",@progbits,_ZN7rocprim17ROCPRIM_400000_NS6detail17trampoline_kernelINS0_13select_configILj256ELj13ELNS0_17block_load_methodE3ELS4_3ELS4_3ELNS0_20block_scan_algorithmE0ELj4294967295EEENS1_25partition_config_selectorILNS1_17partition_subalgoE4EjNS0_10empty_typeEbEEZZNS1_14partition_implILS8_4ELb0ES6_15HIP_vector_typeIjLj2EENS0_17counting_iteratorIjlEEPS9_SG_NS0_5tupleIJPjSI_NS0_16reverse_iteratorISI_EEEEENSH_IJSG_SG_SG_EEES9_SI_JZNS1_25segmented_radix_sort_implINS0_14default_configELb0EPKbPbPKlPlN2at6native12_GLOBAL__N_18offset_tEEE10hipError_tPvRmT1_PNSt15iterator_traitsIS12_E10value_typeET2_T3_PNS13_IS18_E10value_typeET4_jRbjT5_S1E_jjP12ihipStream_tbEUljE_ZNSN_ISO_Lb0ESQ_SR_ST_SU_SY_EESZ_S10_S11_S12_S16_S17_S18_S1B_S1C_jS1D_jS1E_S1E_jjS1G_bEUljE0_EEESZ_S10_S11_S18_S1C_S1E_T6_T7_T9_mT8_S1G_bDpT10_ENKUlT_T0_E_clISt17integral_constantIbLb1EES1U_EEDaS1P_S1Q_EUlS1P_E_NS1_11comp_targetILNS1_3genE4ELNS1_11target_archE910ELNS1_3gpuE8ELNS1_3repE0EEENS1_30default_config_static_selectorELNS0_4arch9wavefront6targetE0EEEvS12_,comdat
.Lfunc_end1581:
	.size	_ZN7rocprim17ROCPRIM_400000_NS6detail17trampoline_kernelINS0_13select_configILj256ELj13ELNS0_17block_load_methodE3ELS4_3ELS4_3ELNS0_20block_scan_algorithmE0ELj4294967295EEENS1_25partition_config_selectorILNS1_17partition_subalgoE4EjNS0_10empty_typeEbEEZZNS1_14partition_implILS8_4ELb0ES6_15HIP_vector_typeIjLj2EENS0_17counting_iteratorIjlEEPS9_SG_NS0_5tupleIJPjSI_NS0_16reverse_iteratorISI_EEEEENSH_IJSG_SG_SG_EEES9_SI_JZNS1_25segmented_radix_sort_implINS0_14default_configELb0EPKbPbPKlPlN2at6native12_GLOBAL__N_18offset_tEEE10hipError_tPvRmT1_PNSt15iterator_traitsIS12_E10value_typeET2_T3_PNS13_IS18_E10value_typeET4_jRbjT5_S1E_jjP12ihipStream_tbEUljE_ZNSN_ISO_Lb0ESQ_SR_ST_SU_SY_EESZ_S10_S11_S12_S16_S17_S18_S1B_S1C_jS1D_jS1E_S1E_jjS1G_bEUljE0_EEESZ_S10_S11_S18_S1C_S1E_T6_T7_T9_mT8_S1G_bDpT10_ENKUlT_T0_E_clISt17integral_constantIbLb1EES1U_EEDaS1P_S1Q_EUlS1P_E_NS1_11comp_targetILNS1_3genE4ELNS1_11target_archE910ELNS1_3gpuE8ELNS1_3repE0EEENS1_30default_config_static_selectorELNS0_4arch9wavefront6targetE0EEEvS12_, .Lfunc_end1581-_ZN7rocprim17ROCPRIM_400000_NS6detail17trampoline_kernelINS0_13select_configILj256ELj13ELNS0_17block_load_methodE3ELS4_3ELS4_3ELNS0_20block_scan_algorithmE0ELj4294967295EEENS1_25partition_config_selectorILNS1_17partition_subalgoE4EjNS0_10empty_typeEbEEZZNS1_14partition_implILS8_4ELb0ES6_15HIP_vector_typeIjLj2EENS0_17counting_iteratorIjlEEPS9_SG_NS0_5tupleIJPjSI_NS0_16reverse_iteratorISI_EEEEENSH_IJSG_SG_SG_EEES9_SI_JZNS1_25segmented_radix_sort_implINS0_14default_configELb0EPKbPbPKlPlN2at6native12_GLOBAL__N_18offset_tEEE10hipError_tPvRmT1_PNSt15iterator_traitsIS12_E10value_typeET2_T3_PNS13_IS18_E10value_typeET4_jRbjT5_S1E_jjP12ihipStream_tbEUljE_ZNSN_ISO_Lb0ESQ_SR_ST_SU_SY_EESZ_S10_S11_S12_S16_S17_S18_S1B_S1C_jS1D_jS1E_S1E_jjS1G_bEUljE0_EEESZ_S10_S11_S18_S1C_S1E_T6_T7_T9_mT8_S1G_bDpT10_ENKUlT_T0_E_clISt17integral_constantIbLb1EES1U_EEDaS1P_S1Q_EUlS1P_E_NS1_11comp_targetILNS1_3genE4ELNS1_11target_archE910ELNS1_3gpuE8ELNS1_3repE0EEENS1_30default_config_static_selectorELNS0_4arch9wavefront6targetE0EEEvS12_
                                        ; -- End function
	.section	.AMDGPU.csdata,"",@progbits
; Kernel info:
; codeLenInByte = 0
; NumSgprs: 0
; NumVgprs: 0
; ScratchSize: 0
; MemoryBound: 0
; FloatMode: 240
; IeeeMode: 1
; LDSByteSize: 0 bytes/workgroup (compile time only)
; SGPRBlocks: 0
; VGPRBlocks: 0
; NumSGPRsForWavesPerEU: 1
; NumVGPRsForWavesPerEU: 1
; Occupancy: 16
; WaveLimiterHint : 0
; COMPUTE_PGM_RSRC2:SCRATCH_EN: 0
; COMPUTE_PGM_RSRC2:USER_SGPR: 15
; COMPUTE_PGM_RSRC2:TRAP_HANDLER: 0
; COMPUTE_PGM_RSRC2:TGID_X_EN: 1
; COMPUTE_PGM_RSRC2:TGID_Y_EN: 0
; COMPUTE_PGM_RSRC2:TGID_Z_EN: 0
; COMPUTE_PGM_RSRC2:TIDIG_COMP_CNT: 0
	.section	.text._ZN7rocprim17ROCPRIM_400000_NS6detail17trampoline_kernelINS0_13select_configILj256ELj13ELNS0_17block_load_methodE3ELS4_3ELS4_3ELNS0_20block_scan_algorithmE0ELj4294967295EEENS1_25partition_config_selectorILNS1_17partition_subalgoE4EjNS0_10empty_typeEbEEZZNS1_14partition_implILS8_4ELb0ES6_15HIP_vector_typeIjLj2EENS0_17counting_iteratorIjlEEPS9_SG_NS0_5tupleIJPjSI_NS0_16reverse_iteratorISI_EEEEENSH_IJSG_SG_SG_EEES9_SI_JZNS1_25segmented_radix_sort_implINS0_14default_configELb0EPKbPbPKlPlN2at6native12_GLOBAL__N_18offset_tEEE10hipError_tPvRmT1_PNSt15iterator_traitsIS12_E10value_typeET2_T3_PNS13_IS18_E10value_typeET4_jRbjT5_S1E_jjP12ihipStream_tbEUljE_ZNSN_ISO_Lb0ESQ_SR_ST_SU_SY_EESZ_S10_S11_S12_S16_S17_S18_S1B_S1C_jS1D_jS1E_S1E_jjS1G_bEUljE0_EEESZ_S10_S11_S18_S1C_S1E_T6_T7_T9_mT8_S1G_bDpT10_ENKUlT_T0_E_clISt17integral_constantIbLb1EES1U_EEDaS1P_S1Q_EUlS1P_E_NS1_11comp_targetILNS1_3genE3ELNS1_11target_archE908ELNS1_3gpuE7ELNS1_3repE0EEENS1_30default_config_static_selectorELNS0_4arch9wavefront6targetE0EEEvS12_,"axG",@progbits,_ZN7rocprim17ROCPRIM_400000_NS6detail17trampoline_kernelINS0_13select_configILj256ELj13ELNS0_17block_load_methodE3ELS4_3ELS4_3ELNS0_20block_scan_algorithmE0ELj4294967295EEENS1_25partition_config_selectorILNS1_17partition_subalgoE4EjNS0_10empty_typeEbEEZZNS1_14partition_implILS8_4ELb0ES6_15HIP_vector_typeIjLj2EENS0_17counting_iteratorIjlEEPS9_SG_NS0_5tupleIJPjSI_NS0_16reverse_iteratorISI_EEEEENSH_IJSG_SG_SG_EEES9_SI_JZNS1_25segmented_radix_sort_implINS0_14default_configELb0EPKbPbPKlPlN2at6native12_GLOBAL__N_18offset_tEEE10hipError_tPvRmT1_PNSt15iterator_traitsIS12_E10value_typeET2_T3_PNS13_IS18_E10value_typeET4_jRbjT5_S1E_jjP12ihipStream_tbEUljE_ZNSN_ISO_Lb0ESQ_SR_ST_SU_SY_EESZ_S10_S11_S12_S16_S17_S18_S1B_S1C_jS1D_jS1E_S1E_jjS1G_bEUljE0_EEESZ_S10_S11_S18_S1C_S1E_T6_T7_T9_mT8_S1G_bDpT10_ENKUlT_T0_E_clISt17integral_constantIbLb1EES1U_EEDaS1P_S1Q_EUlS1P_E_NS1_11comp_targetILNS1_3genE3ELNS1_11target_archE908ELNS1_3gpuE7ELNS1_3repE0EEENS1_30default_config_static_selectorELNS0_4arch9wavefront6targetE0EEEvS12_,comdat
	.globl	_ZN7rocprim17ROCPRIM_400000_NS6detail17trampoline_kernelINS0_13select_configILj256ELj13ELNS0_17block_load_methodE3ELS4_3ELS4_3ELNS0_20block_scan_algorithmE0ELj4294967295EEENS1_25partition_config_selectorILNS1_17partition_subalgoE4EjNS0_10empty_typeEbEEZZNS1_14partition_implILS8_4ELb0ES6_15HIP_vector_typeIjLj2EENS0_17counting_iteratorIjlEEPS9_SG_NS0_5tupleIJPjSI_NS0_16reverse_iteratorISI_EEEEENSH_IJSG_SG_SG_EEES9_SI_JZNS1_25segmented_radix_sort_implINS0_14default_configELb0EPKbPbPKlPlN2at6native12_GLOBAL__N_18offset_tEEE10hipError_tPvRmT1_PNSt15iterator_traitsIS12_E10value_typeET2_T3_PNS13_IS18_E10value_typeET4_jRbjT5_S1E_jjP12ihipStream_tbEUljE_ZNSN_ISO_Lb0ESQ_SR_ST_SU_SY_EESZ_S10_S11_S12_S16_S17_S18_S1B_S1C_jS1D_jS1E_S1E_jjS1G_bEUljE0_EEESZ_S10_S11_S18_S1C_S1E_T6_T7_T9_mT8_S1G_bDpT10_ENKUlT_T0_E_clISt17integral_constantIbLb1EES1U_EEDaS1P_S1Q_EUlS1P_E_NS1_11comp_targetILNS1_3genE3ELNS1_11target_archE908ELNS1_3gpuE7ELNS1_3repE0EEENS1_30default_config_static_selectorELNS0_4arch9wavefront6targetE0EEEvS12_ ; -- Begin function _ZN7rocprim17ROCPRIM_400000_NS6detail17trampoline_kernelINS0_13select_configILj256ELj13ELNS0_17block_load_methodE3ELS4_3ELS4_3ELNS0_20block_scan_algorithmE0ELj4294967295EEENS1_25partition_config_selectorILNS1_17partition_subalgoE4EjNS0_10empty_typeEbEEZZNS1_14partition_implILS8_4ELb0ES6_15HIP_vector_typeIjLj2EENS0_17counting_iteratorIjlEEPS9_SG_NS0_5tupleIJPjSI_NS0_16reverse_iteratorISI_EEEEENSH_IJSG_SG_SG_EEES9_SI_JZNS1_25segmented_radix_sort_implINS0_14default_configELb0EPKbPbPKlPlN2at6native12_GLOBAL__N_18offset_tEEE10hipError_tPvRmT1_PNSt15iterator_traitsIS12_E10value_typeET2_T3_PNS13_IS18_E10value_typeET4_jRbjT5_S1E_jjP12ihipStream_tbEUljE_ZNSN_ISO_Lb0ESQ_SR_ST_SU_SY_EESZ_S10_S11_S12_S16_S17_S18_S1B_S1C_jS1D_jS1E_S1E_jjS1G_bEUljE0_EEESZ_S10_S11_S18_S1C_S1E_T6_T7_T9_mT8_S1G_bDpT10_ENKUlT_T0_E_clISt17integral_constantIbLb1EES1U_EEDaS1P_S1Q_EUlS1P_E_NS1_11comp_targetILNS1_3genE3ELNS1_11target_archE908ELNS1_3gpuE7ELNS1_3repE0EEENS1_30default_config_static_selectorELNS0_4arch9wavefront6targetE0EEEvS12_
	.p2align	8
	.type	_ZN7rocprim17ROCPRIM_400000_NS6detail17trampoline_kernelINS0_13select_configILj256ELj13ELNS0_17block_load_methodE3ELS4_3ELS4_3ELNS0_20block_scan_algorithmE0ELj4294967295EEENS1_25partition_config_selectorILNS1_17partition_subalgoE4EjNS0_10empty_typeEbEEZZNS1_14partition_implILS8_4ELb0ES6_15HIP_vector_typeIjLj2EENS0_17counting_iteratorIjlEEPS9_SG_NS0_5tupleIJPjSI_NS0_16reverse_iteratorISI_EEEEENSH_IJSG_SG_SG_EEES9_SI_JZNS1_25segmented_radix_sort_implINS0_14default_configELb0EPKbPbPKlPlN2at6native12_GLOBAL__N_18offset_tEEE10hipError_tPvRmT1_PNSt15iterator_traitsIS12_E10value_typeET2_T3_PNS13_IS18_E10value_typeET4_jRbjT5_S1E_jjP12ihipStream_tbEUljE_ZNSN_ISO_Lb0ESQ_SR_ST_SU_SY_EESZ_S10_S11_S12_S16_S17_S18_S1B_S1C_jS1D_jS1E_S1E_jjS1G_bEUljE0_EEESZ_S10_S11_S18_S1C_S1E_T6_T7_T9_mT8_S1G_bDpT10_ENKUlT_T0_E_clISt17integral_constantIbLb1EES1U_EEDaS1P_S1Q_EUlS1P_E_NS1_11comp_targetILNS1_3genE3ELNS1_11target_archE908ELNS1_3gpuE7ELNS1_3repE0EEENS1_30default_config_static_selectorELNS0_4arch9wavefront6targetE0EEEvS12_,@function
_ZN7rocprim17ROCPRIM_400000_NS6detail17trampoline_kernelINS0_13select_configILj256ELj13ELNS0_17block_load_methodE3ELS4_3ELS4_3ELNS0_20block_scan_algorithmE0ELj4294967295EEENS1_25partition_config_selectorILNS1_17partition_subalgoE4EjNS0_10empty_typeEbEEZZNS1_14partition_implILS8_4ELb0ES6_15HIP_vector_typeIjLj2EENS0_17counting_iteratorIjlEEPS9_SG_NS0_5tupleIJPjSI_NS0_16reverse_iteratorISI_EEEEENSH_IJSG_SG_SG_EEES9_SI_JZNS1_25segmented_radix_sort_implINS0_14default_configELb0EPKbPbPKlPlN2at6native12_GLOBAL__N_18offset_tEEE10hipError_tPvRmT1_PNSt15iterator_traitsIS12_E10value_typeET2_T3_PNS13_IS18_E10value_typeET4_jRbjT5_S1E_jjP12ihipStream_tbEUljE_ZNSN_ISO_Lb0ESQ_SR_ST_SU_SY_EESZ_S10_S11_S12_S16_S17_S18_S1B_S1C_jS1D_jS1E_S1E_jjS1G_bEUljE0_EEESZ_S10_S11_S18_S1C_S1E_T6_T7_T9_mT8_S1G_bDpT10_ENKUlT_T0_E_clISt17integral_constantIbLb1EES1U_EEDaS1P_S1Q_EUlS1P_E_NS1_11comp_targetILNS1_3genE3ELNS1_11target_archE908ELNS1_3gpuE7ELNS1_3repE0EEENS1_30default_config_static_selectorELNS0_4arch9wavefront6targetE0EEEvS12_: ; @_ZN7rocprim17ROCPRIM_400000_NS6detail17trampoline_kernelINS0_13select_configILj256ELj13ELNS0_17block_load_methodE3ELS4_3ELS4_3ELNS0_20block_scan_algorithmE0ELj4294967295EEENS1_25partition_config_selectorILNS1_17partition_subalgoE4EjNS0_10empty_typeEbEEZZNS1_14partition_implILS8_4ELb0ES6_15HIP_vector_typeIjLj2EENS0_17counting_iteratorIjlEEPS9_SG_NS0_5tupleIJPjSI_NS0_16reverse_iteratorISI_EEEEENSH_IJSG_SG_SG_EEES9_SI_JZNS1_25segmented_radix_sort_implINS0_14default_configELb0EPKbPbPKlPlN2at6native12_GLOBAL__N_18offset_tEEE10hipError_tPvRmT1_PNSt15iterator_traitsIS12_E10value_typeET2_T3_PNS13_IS18_E10value_typeET4_jRbjT5_S1E_jjP12ihipStream_tbEUljE_ZNSN_ISO_Lb0ESQ_SR_ST_SU_SY_EESZ_S10_S11_S12_S16_S17_S18_S1B_S1C_jS1D_jS1E_S1E_jjS1G_bEUljE0_EEESZ_S10_S11_S18_S1C_S1E_T6_T7_T9_mT8_S1G_bDpT10_ENKUlT_T0_E_clISt17integral_constantIbLb1EES1U_EEDaS1P_S1Q_EUlS1P_E_NS1_11comp_targetILNS1_3genE3ELNS1_11target_archE908ELNS1_3gpuE7ELNS1_3repE0EEENS1_30default_config_static_selectorELNS0_4arch9wavefront6targetE0EEEvS12_
; %bb.0:
	.section	.rodata,"a",@progbits
	.p2align	6, 0x0
	.amdhsa_kernel _ZN7rocprim17ROCPRIM_400000_NS6detail17trampoline_kernelINS0_13select_configILj256ELj13ELNS0_17block_load_methodE3ELS4_3ELS4_3ELNS0_20block_scan_algorithmE0ELj4294967295EEENS1_25partition_config_selectorILNS1_17partition_subalgoE4EjNS0_10empty_typeEbEEZZNS1_14partition_implILS8_4ELb0ES6_15HIP_vector_typeIjLj2EENS0_17counting_iteratorIjlEEPS9_SG_NS0_5tupleIJPjSI_NS0_16reverse_iteratorISI_EEEEENSH_IJSG_SG_SG_EEES9_SI_JZNS1_25segmented_radix_sort_implINS0_14default_configELb0EPKbPbPKlPlN2at6native12_GLOBAL__N_18offset_tEEE10hipError_tPvRmT1_PNSt15iterator_traitsIS12_E10value_typeET2_T3_PNS13_IS18_E10value_typeET4_jRbjT5_S1E_jjP12ihipStream_tbEUljE_ZNSN_ISO_Lb0ESQ_SR_ST_SU_SY_EESZ_S10_S11_S12_S16_S17_S18_S1B_S1C_jS1D_jS1E_S1E_jjS1G_bEUljE0_EEESZ_S10_S11_S18_S1C_S1E_T6_T7_T9_mT8_S1G_bDpT10_ENKUlT_T0_E_clISt17integral_constantIbLb1EES1U_EEDaS1P_S1Q_EUlS1P_E_NS1_11comp_targetILNS1_3genE3ELNS1_11target_archE908ELNS1_3gpuE7ELNS1_3repE0EEENS1_30default_config_static_selectorELNS0_4arch9wavefront6targetE0EEEvS12_
		.amdhsa_group_segment_fixed_size 0
		.amdhsa_private_segment_fixed_size 0
		.amdhsa_kernarg_size 184
		.amdhsa_user_sgpr_count 15
		.amdhsa_user_sgpr_dispatch_ptr 0
		.amdhsa_user_sgpr_queue_ptr 0
		.amdhsa_user_sgpr_kernarg_segment_ptr 1
		.amdhsa_user_sgpr_dispatch_id 0
		.amdhsa_user_sgpr_private_segment_size 0
		.amdhsa_wavefront_size32 1
		.amdhsa_uses_dynamic_stack 0
		.amdhsa_enable_private_segment 0
		.amdhsa_system_sgpr_workgroup_id_x 1
		.amdhsa_system_sgpr_workgroup_id_y 0
		.amdhsa_system_sgpr_workgroup_id_z 0
		.amdhsa_system_sgpr_workgroup_info 0
		.amdhsa_system_vgpr_workitem_id 0
		.amdhsa_next_free_vgpr 1
		.amdhsa_next_free_sgpr 1
		.amdhsa_reserve_vcc 0
		.amdhsa_float_round_mode_32 0
		.amdhsa_float_round_mode_16_64 0
		.amdhsa_float_denorm_mode_32 3
		.amdhsa_float_denorm_mode_16_64 3
		.amdhsa_dx10_clamp 1
		.amdhsa_ieee_mode 1
		.amdhsa_fp16_overflow 0
		.amdhsa_workgroup_processor_mode 1
		.amdhsa_memory_ordered 1
		.amdhsa_forward_progress 0
		.amdhsa_shared_vgpr_count 0
		.amdhsa_exception_fp_ieee_invalid_op 0
		.amdhsa_exception_fp_denorm_src 0
		.amdhsa_exception_fp_ieee_div_zero 0
		.amdhsa_exception_fp_ieee_overflow 0
		.amdhsa_exception_fp_ieee_underflow 0
		.amdhsa_exception_fp_ieee_inexact 0
		.amdhsa_exception_int_div_zero 0
	.end_amdhsa_kernel
	.section	.text._ZN7rocprim17ROCPRIM_400000_NS6detail17trampoline_kernelINS0_13select_configILj256ELj13ELNS0_17block_load_methodE3ELS4_3ELS4_3ELNS0_20block_scan_algorithmE0ELj4294967295EEENS1_25partition_config_selectorILNS1_17partition_subalgoE4EjNS0_10empty_typeEbEEZZNS1_14partition_implILS8_4ELb0ES6_15HIP_vector_typeIjLj2EENS0_17counting_iteratorIjlEEPS9_SG_NS0_5tupleIJPjSI_NS0_16reverse_iteratorISI_EEEEENSH_IJSG_SG_SG_EEES9_SI_JZNS1_25segmented_radix_sort_implINS0_14default_configELb0EPKbPbPKlPlN2at6native12_GLOBAL__N_18offset_tEEE10hipError_tPvRmT1_PNSt15iterator_traitsIS12_E10value_typeET2_T3_PNS13_IS18_E10value_typeET4_jRbjT5_S1E_jjP12ihipStream_tbEUljE_ZNSN_ISO_Lb0ESQ_SR_ST_SU_SY_EESZ_S10_S11_S12_S16_S17_S18_S1B_S1C_jS1D_jS1E_S1E_jjS1G_bEUljE0_EEESZ_S10_S11_S18_S1C_S1E_T6_T7_T9_mT8_S1G_bDpT10_ENKUlT_T0_E_clISt17integral_constantIbLb1EES1U_EEDaS1P_S1Q_EUlS1P_E_NS1_11comp_targetILNS1_3genE3ELNS1_11target_archE908ELNS1_3gpuE7ELNS1_3repE0EEENS1_30default_config_static_selectorELNS0_4arch9wavefront6targetE0EEEvS12_,"axG",@progbits,_ZN7rocprim17ROCPRIM_400000_NS6detail17trampoline_kernelINS0_13select_configILj256ELj13ELNS0_17block_load_methodE3ELS4_3ELS4_3ELNS0_20block_scan_algorithmE0ELj4294967295EEENS1_25partition_config_selectorILNS1_17partition_subalgoE4EjNS0_10empty_typeEbEEZZNS1_14partition_implILS8_4ELb0ES6_15HIP_vector_typeIjLj2EENS0_17counting_iteratorIjlEEPS9_SG_NS0_5tupleIJPjSI_NS0_16reverse_iteratorISI_EEEEENSH_IJSG_SG_SG_EEES9_SI_JZNS1_25segmented_radix_sort_implINS0_14default_configELb0EPKbPbPKlPlN2at6native12_GLOBAL__N_18offset_tEEE10hipError_tPvRmT1_PNSt15iterator_traitsIS12_E10value_typeET2_T3_PNS13_IS18_E10value_typeET4_jRbjT5_S1E_jjP12ihipStream_tbEUljE_ZNSN_ISO_Lb0ESQ_SR_ST_SU_SY_EESZ_S10_S11_S12_S16_S17_S18_S1B_S1C_jS1D_jS1E_S1E_jjS1G_bEUljE0_EEESZ_S10_S11_S18_S1C_S1E_T6_T7_T9_mT8_S1G_bDpT10_ENKUlT_T0_E_clISt17integral_constantIbLb1EES1U_EEDaS1P_S1Q_EUlS1P_E_NS1_11comp_targetILNS1_3genE3ELNS1_11target_archE908ELNS1_3gpuE7ELNS1_3repE0EEENS1_30default_config_static_selectorELNS0_4arch9wavefront6targetE0EEEvS12_,comdat
.Lfunc_end1582:
	.size	_ZN7rocprim17ROCPRIM_400000_NS6detail17trampoline_kernelINS0_13select_configILj256ELj13ELNS0_17block_load_methodE3ELS4_3ELS4_3ELNS0_20block_scan_algorithmE0ELj4294967295EEENS1_25partition_config_selectorILNS1_17partition_subalgoE4EjNS0_10empty_typeEbEEZZNS1_14partition_implILS8_4ELb0ES6_15HIP_vector_typeIjLj2EENS0_17counting_iteratorIjlEEPS9_SG_NS0_5tupleIJPjSI_NS0_16reverse_iteratorISI_EEEEENSH_IJSG_SG_SG_EEES9_SI_JZNS1_25segmented_radix_sort_implINS0_14default_configELb0EPKbPbPKlPlN2at6native12_GLOBAL__N_18offset_tEEE10hipError_tPvRmT1_PNSt15iterator_traitsIS12_E10value_typeET2_T3_PNS13_IS18_E10value_typeET4_jRbjT5_S1E_jjP12ihipStream_tbEUljE_ZNSN_ISO_Lb0ESQ_SR_ST_SU_SY_EESZ_S10_S11_S12_S16_S17_S18_S1B_S1C_jS1D_jS1E_S1E_jjS1G_bEUljE0_EEESZ_S10_S11_S18_S1C_S1E_T6_T7_T9_mT8_S1G_bDpT10_ENKUlT_T0_E_clISt17integral_constantIbLb1EES1U_EEDaS1P_S1Q_EUlS1P_E_NS1_11comp_targetILNS1_3genE3ELNS1_11target_archE908ELNS1_3gpuE7ELNS1_3repE0EEENS1_30default_config_static_selectorELNS0_4arch9wavefront6targetE0EEEvS12_, .Lfunc_end1582-_ZN7rocprim17ROCPRIM_400000_NS6detail17trampoline_kernelINS0_13select_configILj256ELj13ELNS0_17block_load_methodE3ELS4_3ELS4_3ELNS0_20block_scan_algorithmE0ELj4294967295EEENS1_25partition_config_selectorILNS1_17partition_subalgoE4EjNS0_10empty_typeEbEEZZNS1_14partition_implILS8_4ELb0ES6_15HIP_vector_typeIjLj2EENS0_17counting_iteratorIjlEEPS9_SG_NS0_5tupleIJPjSI_NS0_16reverse_iteratorISI_EEEEENSH_IJSG_SG_SG_EEES9_SI_JZNS1_25segmented_radix_sort_implINS0_14default_configELb0EPKbPbPKlPlN2at6native12_GLOBAL__N_18offset_tEEE10hipError_tPvRmT1_PNSt15iterator_traitsIS12_E10value_typeET2_T3_PNS13_IS18_E10value_typeET4_jRbjT5_S1E_jjP12ihipStream_tbEUljE_ZNSN_ISO_Lb0ESQ_SR_ST_SU_SY_EESZ_S10_S11_S12_S16_S17_S18_S1B_S1C_jS1D_jS1E_S1E_jjS1G_bEUljE0_EEESZ_S10_S11_S18_S1C_S1E_T6_T7_T9_mT8_S1G_bDpT10_ENKUlT_T0_E_clISt17integral_constantIbLb1EES1U_EEDaS1P_S1Q_EUlS1P_E_NS1_11comp_targetILNS1_3genE3ELNS1_11target_archE908ELNS1_3gpuE7ELNS1_3repE0EEENS1_30default_config_static_selectorELNS0_4arch9wavefront6targetE0EEEvS12_
                                        ; -- End function
	.section	.AMDGPU.csdata,"",@progbits
; Kernel info:
; codeLenInByte = 0
; NumSgprs: 0
; NumVgprs: 0
; ScratchSize: 0
; MemoryBound: 0
; FloatMode: 240
; IeeeMode: 1
; LDSByteSize: 0 bytes/workgroup (compile time only)
; SGPRBlocks: 0
; VGPRBlocks: 0
; NumSGPRsForWavesPerEU: 1
; NumVGPRsForWavesPerEU: 1
; Occupancy: 16
; WaveLimiterHint : 0
; COMPUTE_PGM_RSRC2:SCRATCH_EN: 0
; COMPUTE_PGM_RSRC2:USER_SGPR: 15
; COMPUTE_PGM_RSRC2:TRAP_HANDLER: 0
; COMPUTE_PGM_RSRC2:TGID_X_EN: 1
; COMPUTE_PGM_RSRC2:TGID_Y_EN: 0
; COMPUTE_PGM_RSRC2:TGID_Z_EN: 0
; COMPUTE_PGM_RSRC2:TIDIG_COMP_CNT: 0
	.section	.text._ZN7rocprim17ROCPRIM_400000_NS6detail17trampoline_kernelINS0_13select_configILj256ELj13ELNS0_17block_load_methodE3ELS4_3ELS4_3ELNS0_20block_scan_algorithmE0ELj4294967295EEENS1_25partition_config_selectorILNS1_17partition_subalgoE4EjNS0_10empty_typeEbEEZZNS1_14partition_implILS8_4ELb0ES6_15HIP_vector_typeIjLj2EENS0_17counting_iteratorIjlEEPS9_SG_NS0_5tupleIJPjSI_NS0_16reverse_iteratorISI_EEEEENSH_IJSG_SG_SG_EEES9_SI_JZNS1_25segmented_radix_sort_implINS0_14default_configELb0EPKbPbPKlPlN2at6native12_GLOBAL__N_18offset_tEEE10hipError_tPvRmT1_PNSt15iterator_traitsIS12_E10value_typeET2_T3_PNS13_IS18_E10value_typeET4_jRbjT5_S1E_jjP12ihipStream_tbEUljE_ZNSN_ISO_Lb0ESQ_SR_ST_SU_SY_EESZ_S10_S11_S12_S16_S17_S18_S1B_S1C_jS1D_jS1E_S1E_jjS1G_bEUljE0_EEESZ_S10_S11_S18_S1C_S1E_T6_T7_T9_mT8_S1G_bDpT10_ENKUlT_T0_E_clISt17integral_constantIbLb1EES1U_EEDaS1P_S1Q_EUlS1P_E_NS1_11comp_targetILNS1_3genE2ELNS1_11target_archE906ELNS1_3gpuE6ELNS1_3repE0EEENS1_30default_config_static_selectorELNS0_4arch9wavefront6targetE0EEEvS12_,"axG",@progbits,_ZN7rocprim17ROCPRIM_400000_NS6detail17trampoline_kernelINS0_13select_configILj256ELj13ELNS0_17block_load_methodE3ELS4_3ELS4_3ELNS0_20block_scan_algorithmE0ELj4294967295EEENS1_25partition_config_selectorILNS1_17partition_subalgoE4EjNS0_10empty_typeEbEEZZNS1_14partition_implILS8_4ELb0ES6_15HIP_vector_typeIjLj2EENS0_17counting_iteratorIjlEEPS9_SG_NS0_5tupleIJPjSI_NS0_16reverse_iteratorISI_EEEEENSH_IJSG_SG_SG_EEES9_SI_JZNS1_25segmented_radix_sort_implINS0_14default_configELb0EPKbPbPKlPlN2at6native12_GLOBAL__N_18offset_tEEE10hipError_tPvRmT1_PNSt15iterator_traitsIS12_E10value_typeET2_T3_PNS13_IS18_E10value_typeET4_jRbjT5_S1E_jjP12ihipStream_tbEUljE_ZNSN_ISO_Lb0ESQ_SR_ST_SU_SY_EESZ_S10_S11_S12_S16_S17_S18_S1B_S1C_jS1D_jS1E_S1E_jjS1G_bEUljE0_EEESZ_S10_S11_S18_S1C_S1E_T6_T7_T9_mT8_S1G_bDpT10_ENKUlT_T0_E_clISt17integral_constantIbLb1EES1U_EEDaS1P_S1Q_EUlS1P_E_NS1_11comp_targetILNS1_3genE2ELNS1_11target_archE906ELNS1_3gpuE6ELNS1_3repE0EEENS1_30default_config_static_selectorELNS0_4arch9wavefront6targetE0EEEvS12_,comdat
	.globl	_ZN7rocprim17ROCPRIM_400000_NS6detail17trampoline_kernelINS0_13select_configILj256ELj13ELNS0_17block_load_methodE3ELS4_3ELS4_3ELNS0_20block_scan_algorithmE0ELj4294967295EEENS1_25partition_config_selectorILNS1_17partition_subalgoE4EjNS0_10empty_typeEbEEZZNS1_14partition_implILS8_4ELb0ES6_15HIP_vector_typeIjLj2EENS0_17counting_iteratorIjlEEPS9_SG_NS0_5tupleIJPjSI_NS0_16reverse_iteratorISI_EEEEENSH_IJSG_SG_SG_EEES9_SI_JZNS1_25segmented_radix_sort_implINS0_14default_configELb0EPKbPbPKlPlN2at6native12_GLOBAL__N_18offset_tEEE10hipError_tPvRmT1_PNSt15iterator_traitsIS12_E10value_typeET2_T3_PNS13_IS18_E10value_typeET4_jRbjT5_S1E_jjP12ihipStream_tbEUljE_ZNSN_ISO_Lb0ESQ_SR_ST_SU_SY_EESZ_S10_S11_S12_S16_S17_S18_S1B_S1C_jS1D_jS1E_S1E_jjS1G_bEUljE0_EEESZ_S10_S11_S18_S1C_S1E_T6_T7_T9_mT8_S1G_bDpT10_ENKUlT_T0_E_clISt17integral_constantIbLb1EES1U_EEDaS1P_S1Q_EUlS1P_E_NS1_11comp_targetILNS1_3genE2ELNS1_11target_archE906ELNS1_3gpuE6ELNS1_3repE0EEENS1_30default_config_static_selectorELNS0_4arch9wavefront6targetE0EEEvS12_ ; -- Begin function _ZN7rocprim17ROCPRIM_400000_NS6detail17trampoline_kernelINS0_13select_configILj256ELj13ELNS0_17block_load_methodE3ELS4_3ELS4_3ELNS0_20block_scan_algorithmE0ELj4294967295EEENS1_25partition_config_selectorILNS1_17partition_subalgoE4EjNS0_10empty_typeEbEEZZNS1_14partition_implILS8_4ELb0ES6_15HIP_vector_typeIjLj2EENS0_17counting_iteratorIjlEEPS9_SG_NS0_5tupleIJPjSI_NS0_16reverse_iteratorISI_EEEEENSH_IJSG_SG_SG_EEES9_SI_JZNS1_25segmented_radix_sort_implINS0_14default_configELb0EPKbPbPKlPlN2at6native12_GLOBAL__N_18offset_tEEE10hipError_tPvRmT1_PNSt15iterator_traitsIS12_E10value_typeET2_T3_PNS13_IS18_E10value_typeET4_jRbjT5_S1E_jjP12ihipStream_tbEUljE_ZNSN_ISO_Lb0ESQ_SR_ST_SU_SY_EESZ_S10_S11_S12_S16_S17_S18_S1B_S1C_jS1D_jS1E_S1E_jjS1G_bEUljE0_EEESZ_S10_S11_S18_S1C_S1E_T6_T7_T9_mT8_S1G_bDpT10_ENKUlT_T0_E_clISt17integral_constantIbLb1EES1U_EEDaS1P_S1Q_EUlS1P_E_NS1_11comp_targetILNS1_3genE2ELNS1_11target_archE906ELNS1_3gpuE6ELNS1_3repE0EEENS1_30default_config_static_selectorELNS0_4arch9wavefront6targetE0EEEvS12_
	.p2align	8
	.type	_ZN7rocprim17ROCPRIM_400000_NS6detail17trampoline_kernelINS0_13select_configILj256ELj13ELNS0_17block_load_methodE3ELS4_3ELS4_3ELNS0_20block_scan_algorithmE0ELj4294967295EEENS1_25partition_config_selectorILNS1_17partition_subalgoE4EjNS0_10empty_typeEbEEZZNS1_14partition_implILS8_4ELb0ES6_15HIP_vector_typeIjLj2EENS0_17counting_iteratorIjlEEPS9_SG_NS0_5tupleIJPjSI_NS0_16reverse_iteratorISI_EEEEENSH_IJSG_SG_SG_EEES9_SI_JZNS1_25segmented_radix_sort_implINS0_14default_configELb0EPKbPbPKlPlN2at6native12_GLOBAL__N_18offset_tEEE10hipError_tPvRmT1_PNSt15iterator_traitsIS12_E10value_typeET2_T3_PNS13_IS18_E10value_typeET4_jRbjT5_S1E_jjP12ihipStream_tbEUljE_ZNSN_ISO_Lb0ESQ_SR_ST_SU_SY_EESZ_S10_S11_S12_S16_S17_S18_S1B_S1C_jS1D_jS1E_S1E_jjS1G_bEUljE0_EEESZ_S10_S11_S18_S1C_S1E_T6_T7_T9_mT8_S1G_bDpT10_ENKUlT_T0_E_clISt17integral_constantIbLb1EES1U_EEDaS1P_S1Q_EUlS1P_E_NS1_11comp_targetILNS1_3genE2ELNS1_11target_archE906ELNS1_3gpuE6ELNS1_3repE0EEENS1_30default_config_static_selectorELNS0_4arch9wavefront6targetE0EEEvS12_,@function
_ZN7rocprim17ROCPRIM_400000_NS6detail17trampoline_kernelINS0_13select_configILj256ELj13ELNS0_17block_load_methodE3ELS4_3ELS4_3ELNS0_20block_scan_algorithmE0ELj4294967295EEENS1_25partition_config_selectorILNS1_17partition_subalgoE4EjNS0_10empty_typeEbEEZZNS1_14partition_implILS8_4ELb0ES6_15HIP_vector_typeIjLj2EENS0_17counting_iteratorIjlEEPS9_SG_NS0_5tupleIJPjSI_NS0_16reverse_iteratorISI_EEEEENSH_IJSG_SG_SG_EEES9_SI_JZNS1_25segmented_radix_sort_implINS0_14default_configELb0EPKbPbPKlPlN2at6native12_GLOBAL__N_18offset_tEEE10hipError_tPvRmT1_PNSt15iterator_traitsIS12_E10value_typeET2_T3_PNS13_IS18_E10value_typeET4_jRbjT5_S1E_jjP12ihipStream_tbEUljE_ZNSN_ISO_Lb0ESQ_SR_ST_SU_SY_EESZ_S10_S11_S12_S16_S17_S18_S1B_S1C_jS1D_jS1E_S1E_jjS1G_bEUljE0_EEESZ_S10_S11_S18_S1C_S1E_T6_T7_T9_mT8_S1G_bDpT10_ENKUlT_T0_E_clISt17integral_constantIbLb1EES1U_EEDaS1P_S1Q_EUlS1P_E_NS1_11comp_targetILNS1_3genE2ELNS1_11target_archE906ELNS1_3gpuE6ELNS1_3repE0EEENS1_30default_config_static_selectorELNS0_4arch9wavefront6targetE0EEEvS12_: ; @_ZN7rocprim17ROCPRIM_400000_NS6detail17trampoline_kernelINS0_13select_configILj256ELj13ELNS0_17block_load_methodE3ELS4_3ELS4_3ELNS0_20block_scan_algorithmE0ELj4294967295EEENS1_25partition_config_selectorILNS1_17partition_subalgoE4EjNS0_10empty_typeEbEEZZNS1_14partition_implILS8_4ELb0ES6_15HIP_vector_typeIjLj2EENS0_17counting_iteratorIjlEEPS9_SG_NS0_5tupleIJPjSI_NS0_16reverse_iteratorISI_EEEEENSH_IJSG_SG_SG_EEES9_SI_JZNS1_25segmented_radix_sort_implINS0_14default_configELb0EPKbPbPKlPlN2at6native12_GLOBAL__N_18offset_tEEE10hipError_tPvRmT1_PNSt15iterator_traitsIS12_E10value_typeET2_T3_PNS13_IS18_E10value_typeET4_jRbjT5_S1E_jjP12ihipStream_tbEUljE_ZNSN_ISO_Lb0ESQ_SR_ST_SU_SY_EESZ_S10_S11_S12_S16_S17_S18_S1B_S1C_jS1D_jS1E_S1E_jjS1G_bEUljE0_EEESZ_S10_S11_S18_S1C_S1E_T6_T7_T9_mT8_S1G_bDpT10_ENKUlT_T0_E_clISt17integral_constantIbLb1EES1U_EEDaS1P_S1Q_EUlS1P_E_NS1_11comp_targetILNS1_3genE2ELNS1_11target_archE906ELNS1_3gpuE6ELNS1_3repE0EEENS1_30default_config_static_selectorELNS0_4arch9wavefront6targetE0EEEvS12_
; %bb.0:
	.section	.rodata,"a",@progbits
	.p2align	6, 0x0
	.amdhsa_kernel _ZN7rocprim17ROCPRIM_400000_NS6detail17trampoline_kernelINS0_13select_configILj256ELj13ELNS0_17block_load_methodE3ELS4_3ELS4_3ELNS0_20block_scan_algorithmE0ELj4294967295EEENS1_25partition_config_selectorILNS1_17partition_subalgoE4EjNS0_10empty_typeEbEEZZNS1_14partition_implILS8_4ELb0ES6_15HIP_vector_typeIjLj2EENS0_17counting_iteratorIjlEEPS9_SG_NS0_5tupleIJPjSI_NS0_16reverse_iteratorISI_EEEEENSH_IJSG_SG_SG_EEES9_SI_JZNS1_25segmented_radix_sort_implINS0_14default_configELb0EPKbPbPKlPlN2at6native12_GLOBAL__N_18offset_tEEE10hipError_tPvRmT1_PNSt15iterator_traitsIS12_E10value_typeET2_T3_PNS13_IS18_E10value_typeET4_jRbjT5_S1E_jjP12ihipStream_tbEUljE_ZNSN_ISO_Lb0ESQ_SR_ST_SU_SY_EESZ_S10_S11_S12_S16_S17_S18_S1B_S1C_jS1D_jS1E_S1E_jjS1G_bEUljE0_EEESZ_S10_S11_S18_S1C_S1E_T6_T7_T9_mT8_S1G_bDpT10_ENKUlT_T0_E_clISt17integral_constantIbLb1EES1U_EEDaS1P_S1Q_EUlS1P_E_NS1_11comp_targetILNS1_3genE2ELNS1_11target_archE906ELNS1_3gpuE6ELNS1_3repE0EEENS1_30default_config_static_selectorELNS0_4arch9wavefront6targetE0EEEvS12_
		.amdhsa_group_segment_fixed_size 0
		.amdhsa_private_segment_fixed_size 0
		.amdhsa_kernarg_size 184
		.amdhsa_user_sgpr_count 15
		.amdhsa_user_sgpr_dispatch_ptr 0
		.amdhsa_user_sgpr_queue_ptr 0
		.amdhsa_user_sgpr_kernarg_segment_ptr 1
		.amdhsa_user_sgpr_dispatch_id 0
		.amdhsa_user_sgpr_private_segment_size 0
		.amdhsa_wavefront_size32 1
		.amdhsa_uses_dynamic_stack 0
		.amdhsa_enable_private_segment 0
		.amdhsa_system_sgpr_workgroup_id_x 1
		.amdhsa_system_sgpr_workgroup_id_y 0
		.amdhsa_system_sgpr_workgroup_id_z 0
		.amdhsa_system_sgpr_workgroup_info 0
		.amdhsa_system_vgpr_workitem_id 0
		.amdhsa_next_free_vgpr 1
		.amdhsa_next_free_sgpr 1
		.amdhsa_reserve_vcc 0
		.amdhsa_float_round_mode_32 0
		.amdhsa_float_round_mode_16_64 0
		.amdhsa_float_denorm_mode_32 3
		.amdhsa_float_denorm_mode_16_64 3
		.amdhsa_dx10_clamp 1
		.amdhsa_ieee_mode 1
		.amdhsa_fp16_overflow 0
		.amdhsa_workgroup_processor_mode 1
		.amdhsa_memory_ordered 1
		.amdhsa_forward_progress 0
		.amdhsa_shared_vgpr_count 0
		.amdhsa_exception_fp_ieee_invalid_op 0
		.amdhsa_exception_fp_denorm_src 0
		.amdhsa_exception_fp_ieee_div_zero 0
		.amdhsa_exception_fp_ieee_overflow 0
		.amdhsa_exception_fp_ieee_underflow 0
		.amdhsa_exception_fp_ieee_inexact 0
		.amdhsa_exception_int_div_zero 0
	.end_amdhsa_kernel
	.section	.text._ZN7rocprim17ROCPRIM_400000_NS6detail17trampoline_kernelINS0_13select_configILj256ELj13ELNS0_17block_load_methodE3ELS4_3ELS4_3ELNS0_20block_scan_algorithmE0ELj4294967295EEENS1_25partition_config_selectorILNS1_17partition_subalgoE4EjNS0_10empty_typeEbEEZZNS1_14partition_implILS8_4ELb0ES6_15HIP_vector_typeIjLj2EENS0_17counting_iteratorIjlEEPS9_SG_NS0_5tupleIJPjSI_NS0_16reverse_iteratorISI_EEEEENSH_IJSG_SG_SG_EEES9_SI_JZNS1_25segmented_radix_sort_implINS0_14default_configELb0EPKbPbPKlPlN2at6native12_GLOBAL__N_18offset_tEEE10hipError_tPvRmT1_PNSt15iterator_traitsIS12_E10value_typeET2_T3_PNS13_IS18_E10value_typeET4_jRbjT5_S1E_jjP12ihipStream_tbEUljE_ZNSN_ISO_Lb0ESQ_SR_ST_SU_SY_EESZ_S10_S11_S12_S16_S17_S18_S1B_S1C_jS1D_jS1E_S1E_jjS1G_bEUljE0_EEESZ_S10_S11_S18_S1C_S1E_T6_T7_T9_mT8_S1G_bDpT10_ENKUlT_T0_E_clISt17integral_constantIbLb1EES1U_EEDaS1P_S1Q_EUlS1P_E_NS1_11comp_targetILNS1_3genE2ELNS1_11target_archE906ELNS1_3gpuE6ELNS1_3repE0EEENS1_30default_config_static_selectorELNS0_4arch9wavefront6targetE0EEEvS12_,"axG",@progbits,_ZN7rocprim17ROCPRIM_400000_NS6detail17trampoline_kernelINS0_13select_configILj256ELj13ELNS0_17block_load_methodE3ELS4_3ELS4_3ELNS0_20block_scan_algorithmE0ELj4294967295EEENS1_25partition_config_selectorILNS1_17partition_subalgoE4EjNS0_10empty_typeEbEEZZNS1_14partition_implILS8_4ELb0ES6_15HIP_vector_typeIjLj2EENS0_17counting_iteratorIjlEEPS9_SG_NS0_5tupleIJPjSI_NS0_16reverse_iteratorISI_EEEEENSH_IJSG_SG_SG_EEES9_SI_JZNS1_25segmented_radix_sort_implINS0_14default_configELb0EPKbPbPKlPlN2at6native12_GLOBAL__N_18offset_tEEE10hipError_tPvRmT1_PNSt15iterator_traitsIS12_E10value_typeET2_T3_PNS13_IS18_E10value_typeET4_jRbjT5_S1E_jjP12ihipStream_tbEUljE_ZNSN_ISO_Lb0ESQ_SR_ST_SU_SY_EESZ_S10_S11_S12_S16_S17_S18_S1B_S1C_jS1D_jS1E_S1E_jjS1G_bEUljE0_EEESZ_S10_S11_S18_S1C_S1E_T6_T7_T9_mT8_S1G_bDpT10_ENKUlT_T0_E_clISt17integral_constantIbLb1EES1U_EEDaS1P_S1Q_EUlS1P_E_NS1_11comp_targetILNS1_3genE2ELNS1_11target_archE906ELNS1_3gpuE6ELNS1_3repE0EEENS1_30default_config_static_selectorELNS0_4arch9wavefront6targetE0EEEvS12_,comdat
.Lfunc_end1583:
	.size	_ZN7rocprim17ROCPRIM_400000_NS6detail17trampoline_kernelINS0_13select_configILj256ELj13ELNS0_17block_load_methodE3ELS4_3ELS4_3ELNS0_20block_scan_algorithmE0ELj4294967295EEENS1_25partition_config_selectorILNS1_17partition_subalgoE4EjNS0_10empty_typeEbEEZZNS1_14partition_implILS8_4ELb0ES6_15HIP_vector_typeIjLj2EENS0_17counting_iteratorIjlEEPS9_SG_NS0_5tupleIJPjSI_NS0_16reverse_iteratorISI_EEEEENSH_IJSG_SG_SG_EEES9_SI_JZNS1_25segmented_radix_sort_implINS0_14default_configELb0EPKbPbPKlPlN2at6native12_GLOBAL__N_18offset_tEEE10hipError_tPvRmT1_PNSt15iterator_traitsIS12_E10value_typeET2_T3_PNS13_IS18_E10value_typeET4_jRbjT5_S1E_jjP12ihipStream_tbEUljE_ZNSN_ISO_Lb0ESQ_SR_ST_SU_SY_EESZ_S10_S11_S12_S16_S17_S18_S1B_S1C_jS1D_jS1E_S1E_jjS1G_bEUljE0_EEESZ_S10_S11_S18_S1C_S1E_T6_T7_T9_mT8_S1G_bDpT10_ENKUlT_T0_E_clISt17integral_constantIbLb1EES1U_EEDaS1P_S1Q_EUlS1P_E_NS1_11comp_targetILNS1_3genE2ELNS1_11target_archE906ELNS1_3gpuE6ELNS1_3repE0EEENS1_30default_config_static_selectorELNS0_4arch9wavefront6targetE0EEEvS12_, .Lfunc_end1583-_ZN7rocprim17ROCPRIM_400000_NS6detail17trampoline_kernelINS0_13select_configILj256ELj13ELNS0_17block_load_methodE3ELS4_3ELS4_3ELNS0_20block_scan_algorithmE0ELj4294967295EEENS1_25partition_config_selectorILNS1_17partition_subalgoE4EjNS0_10empty_typeEbEEZZNS1_14partition_implILS8_4ELb0ES6_15HIP_vector_typeIjLj2EENS0_17counting_iteratorIjlEEPS9_SG_NS0_5tupleIJPjSI_NS0_16reverse_iteratorISI_EEEEENSH_IJSG_SG_SG_EEES9_SI_JZNS1_25segmented_radix_sort_implINS0_14default_configELb0EPKbPbPKlPlN2at6native12_GLOBAL__N_18offset_tEEE10hipError_tPvRmT1_PNSt15iterator_traitsIS12_E10value_typeET2_T3_PNS13_IS18_E10value_typeET4_jRbjT5_S1E_jjP12ihipStream_tbEUljE_ZNSN_ISO_Lb0ESQ_SR_ST_SU_SY_EESZ_S10_S11_S12_S16_S17_S18_S1B_S1C_jS1D_jS1E_S1E_jjS1G_bEUljE0_EEESZ_S10_S11_S18_S1C_S1E_T6_T7_T9_mT8_S1G_bDpT10_ENKUlT_T0_E_clISt17integral_constantIbLb1EES1U_EEDaS1P_S1Q_EUlS1P_E_NS1_11comp_targetILNS1_3genE2ELNS1_11target_archE906ELNS1_3gpuE6ELNS1_3repE0EEENS1_30default_config_static_selectorELNS0_4arch9wavefront6targetE0EEEvS12_
                                        ; -- End function
	.section	.AMDGPU.csdata,"",@progbits
; Kernel info:
; codeLenInByte = 0
; NumSgprs: 0
; NumVgprs: 0
; ScratchSize: 0
; MemoryBound: 0
; FloatMode: 240
; IeeeMode: 1
; LDSByteSize: 0 bytes/workgroup (compile time only)
; SGPRBlocks: 0
; VGPRBlocks: 0
; NumSGPRsForWavesPerEU: 1
; NumVGPRsForWavesPerEU: 1
; Occupancy: 16
; WaveLimiterHint : 0
; COMPUTE_PGM_RSRC2:SCRATCH_EN: 0
; COMPUTE_PGM_RSRC2:USER_SGPR: 15
; COMPUTE_PGM_RSRC2:TRAP_HANDLER: 0
; COMPUTE_PGM_RSRC2:TGID_X_EN: 1
; COMPUTE_PGM_RSRC2:TGID_Y_EN: 0
; COMPUTE_PGM_RSRC2:TGID_Z_EN: 0
; COMPUTE_PGM_RSRC2:TIDIG_COMP_CNT: 0
	.section	.text._ZN7rocprim17ROCPRIM_400000_NS6detail17trampoline_kernelINS0_13select_configILj256ELj13ELNS0_17block_load_methodE3ELS4_3ELS4_3ELNS0_20block_scan_algorithmE0ELj4294967295EEENS1_25partition_config_selectorILNS1_17partition_subalgoE4EjNS0_10empty_typeEbEEZZNS1_14partition_implILS8_4ELb0ES6_15HIP_vector_typeIjLj2EENS0_17counting_iteratorIjlEEPS9_SG_NS0_5tupleIJPjSI_NS0_16reverse_iteratorISI_EEEEENSH_IJSG_SG_SG_EEES9_SI_JZNS1_25segmented_radix_sort_implINS0_14default_configELb0EPKbPbPKlPlN2at6native12_GLOBAL__N_18offset_tEEE10hipError_tPvRmT1_PNSt15iterator_traitsIS12_E10value_typeET2_T3_PNS13_IS18_E10value_typeET4_jRbjT5_S1E_jjP12ihipStream_tbEUljE_ZNSN_ISO_Lb0ESQ_SR_ST_SU_SY_EESZ_S10_S11_S12_S16_S17_S18_S1B_S1C_jS1D_jS1E_S1E_jjS1G_bEUljE0_EEESZ_S10_S11_S18_S1C_S1E_T6_T7_T9_mT8_S1G_bDpT10_ENKUlT_T0_E_clISt17integral_constantIbLb1EES1U_EEDaS1P_S1Q_EUlS1P_E_NS1_11comp_targetILNS1_3genE10ELNS1_11target_archE1200ELNS1_3gpuE4ELNS1_3repE0EEENS1_30default_config_static_selectorELNS0_4arch9wavefront6targetE0EEEvS12_,"axG",@progbits,_ZN7rocprim17ROCPRIM_400000_NS6detail17trampoline_kernelINS0_13select_configILj256ELj13ELNS0_17block_load_methodE3ELS4_3ELS4_3ELNS0_20block_scan_algorithmE0ELj4294967295EEENS1_25partition_config_selectorILNS1_17partition_subalgoE4EjNS0_10empty_typeEbEEZZNS1_14partition_implILS8_4ELb0ES6_15HIP_vector_typeIjLj2EENS0_17counting_iteratorIjlEEPS9_SG_NS0_5tupleIJPjSI_NS0_16reverse_iteratorISI_EEEEENSH_IJSG_SG_SG_EEES9_SI_JZNS1_25segmented_radix_sort_implINS0_14default_configELb0EPKbPbPKlPlN2at6native12_GLOBAL__N_18offset_tEEE10hipError_tPvRmT1_PNSt15iterator_traitsIS12_E10value_typeET2_T3_PNS13_IS18_E10value_typeET4_jRbjT5_S1E_jjP12ihipStream_tbEUljE_ZNSN_ISO_Lb0ESQ_SR_ST_SU_SY_EESZ_S10_S11_S12_S16_S17_S18_S1B_S1C_jS1D_jS1E_S1E_jjS1G_bEUljE0_EEESZ_S10_S11_S18_S1C_S1E_T6_T7_T9_mT8_S1G_bDpT10_ENKUlT_T0_E_clISt17integral_constantIbLb1EES1U_EEDaS1P_S1Q_EUlS1P_E_NS1_11comp_targetILNS1_3genE10ELNS1_11target_archE1200ELNS1_3gpuE4ELNS1_3repE0EEENS1_30default_config_static_selectorELNS0_4arch9wavefront6targetE0EEEvS12_,comdat
	.globl	_ZN7rocprim17ROCPRIM_400000_NS6detail17trampoline_kernelINS0_13select_configILj256ELj13ELNS0_17block_load_methodE3ELS4_3ELS4_3ELNS0_20block_scan_algorithmE0ELj4294967295EEENS1_25partition_config_selectorILNS1_17partition_subalgoE4EjNS0_10empty_typeEbEEZZNS1_14partition_implILS8_4ELb0ES6_15HIP_vector_typeIjLj2EENS0_17counting_iteratorIjlEEPS9_SG_NS0_5tupleIJPjSI_NS0_16reverse_iteratorISI_EEEEENSH_IJSG_SG_SG_EEES9_SI_JZNS1_25segmented_radix_sort_implINS0_14default_configELb0EPKbPbPKlPlN2at6native12_GLOBAL__N_18offset_tEEE10hipError_tPvRmT1_PNSt15iterator_traitsIS12_E10value_typeET2_T3_PNS13_IS18_E10value_typeET4_jRbjT5_S1E_jjP12ihipStream_tbEUljE_ZNSN_ISO_Lb0ESQ_SR_ST_SU_SY_EESZ_S10_S11_S12_S16_S17_S18_S1B_S1C_jS1D_jS1E_S1E_jjS1G_bEUljE0_EEESZ_S10_S11_S18_S1C_S1E_T6_T7_T9_mT8_S1G_bDpT10_ENKUlT_T0_E_clISt17integral_constantIbLb1EES1U_EEDaS1P_S1Q_EUlS1P_E_NS1_11comp_targetILNS1_3genE10ELNS1_11target_archE1200ELNS1_3gpuE4ELNS1_3repE0EEENS1_30default_config_static_selectorELNS0_4arch9wavefront6targetE0EEEvS12_ ; -- Begin function _ZN7rocprim17ROCPRIM_400000_NS6detail17trampoline_kernelINS0_13select_configILj256ELj13ELNS0_17block_load_methodE3ELS4_3ELS4_3ELNS0_20block_scan_algorithmE0ELj4294967295EEENS1_25partition_config_selectorILNS1_17partition_subalgoE4EjNS0_10empty_typeEbEEZZNS1_14partition_implILS8_4ELb0ES6_15HIP_vector_typeIjLj2EENS0_17counting_iteratorIjlEEPS9_SG_NS0_5tupleIJPjSI_NS0_16reverse_iteratorISI_EEEEENSH_IJSG_SG_SG_EEES9_SI_JZNS1_25segmented_radix_sort_implINS0_14default_configELb0EPKbPbPKlPlN2at6native12_GLOBAL__N_18offset_tEEE10hipError_tPvRmT1_PNSt15iterator_traitsIS12_E10value_typeET2_T3_PNS13_IS18_E10value_typeET4_jRbjT5_S1E_jjP12ihipStream_tbEUljE_ZNSN_ISO_Lb0ESQ_SR_ST_SU_SY_EESZ_S10_S11_S12_S16_S17_S18_S1B_S1C_jS1D_jS1E_S1E_jjS1G_bEUljE0_EEESZ_S10_S11_S18_S1C_S1E_T6_T7_T9_mT8_S1G_bDpT10_ENKUlT_T0_E_clISt17integral_constantIbLb1EES1U_EEDaS1P_S1Q_EUlS1P_E_NS1_11comp_targetILNS1_3genE10ELNS1_11target_archE1200ELNS1_3gpuE4ELNS1_3repE0EEENS1_30default_config_static_selectorELNS0_4arch9wavefront6targetE0EEEvS12_
	.p2align	8
	.type	_ZN7rocprim17ROCPRIM_400000_NS6detail17trampoline_kernelINS0_13select_configILj256ELj13ELNS0_17block_load_methodE3ELS4_3ELS4_3ELNS0_20block_scan_algorithmE0ELj4294967295EEENS1_25partition_config_selectorILNS1_17partition_subalgoE4EjNS0_10empty_typeEbEEZZNS1_14partition_implILS8_4ELb0ES6_15HIP_vector_typeIjLj2EENS0_17counting_iteratorIjlEEPS9_SG_NS0_5tupleIJPjSI_NS0_16reverse_iteratorISI_EEEEENSH_IJSG_SG_SG_EEES9_SI_JZNS1_25segmented_radix_sort_implINS0_14default_configELb0EPKbPbPKlPlN2at6native12_GLOBAL__N_18offset_tEEE10hipError_tPvRmT1_PNSt15iterator_traitsIS12_E10value_typeET2_T3_PNS13_IS18_E10value_typeET4_jRbjT5_S1E_jjP12ihipStream_tbEUljE_ZNSN_ISO_Lb0ESQ_SR_ST_SU_SY_EESZ_S10_S11_S12_S16_S17_S18_S1B_S1C_jS1D_jS1E_S1E_jjS1G_bEUljE0_EEESZ_S10_S11_S18_S1C_S1E_T6_T7_T9_mT8_S1G_bDpT10_ENKUlT_T0_E_clISt17integral_constantIbLb1EES1U_EEDaS1P_S1Q_EUlS1P_E_NS1_11comp_targetILNS1_3genE10ELNS1_11target_archE1200ELNS1_3gpuE4ELNS1_3repE0EEENS1_30default_config_static_selectorELNS0_4arch9wavefront6targetE0EEEvS12_,@function
_ZN7rocprim17ROCPRIM_400000_NS6detail17trampoline_kernelINS0_13select_configILj256ELj13ELNS0_17block_load_methodE3ELS4_3ELS4_3ELNS0_20block_scan_algorithmE0ELj4294967295EEENS1_25partition_config_selectorILNS1_17partition_subalgoE4EjNS0_10empty_typeEbEEZZNS1_14partition_implILS8_4ELb0ES6_15HIP_vector_typeIjLj2EENS0_17counting_iteratorIjlEEPS9_SG_NS0_5tupleIJPjSI_NS0_16reverse_iteratorISI_EEEEENSH_IJSG_SG_SG_EEES9_SI_JZNS1_25segmented_radix_sort_implINS0_14default_configELb0EPKbPbPKlPlN2at6native12_GLOBAL__N_18offset_tEEE10hipError_tPvRmT1_PNSt15iterator_traitsIS12_E10value_typeET2_T3_PNS13_IS18_E10value_typeET4_jRbjT5_S1E_jjP12ihipStream_tbEUljE_ZNSN_ISO_Lb0ESQ_SR_ST_SU_SY_EESZ_S10_S11_S12_S16_S17_S18_S1B_S1C_jS1D_jS1E_S1E_jjS1G_bEUljE0_EEESZ_S10_S11_S18_S1C_S1E_T6_T7_T9_mT8_S1G_bDpT10_ENKUlT_T0_E_clISt17integral_constantIbLb1EES1U_EEDaS1P_S1Q_EUlS1P_E_NS1_11comp_targetILNS1_3genE10ELNS1_11target_archE1200ELNS1_3gpuE4ELNS1_3repE0EEENS1_30default_config_static_selectorELNS0_4arch9wavefront6targetE0EEEvS12_: ; @_ZN7rocprim17ROCPRIM_400000_NS6detail17trampoline_kernelINS0_13select_configILj256ELj13ELNS0_17block_load_methodE3ELS4_3ELS4_3ELNS0_20block_scan_algorithmE0ELj4294967295EEENS1_25partition_config_selectorILNS1_17partition_subalgoE4EjNS0_10empty_typeEbEEZZNS1_14partition_implILS8_4ELb0ES6_15HIP_vector_typeIjLj2EENS0_17counting_iteratorIjlEEPS9_SG_NS0_5tupleIJPjSI_NS0_16reverse_iteratorISI_EEEEENSH_IJSG_SG_SG_EEES9_SI_JZNS1_25segmented_radix_sort_implINS0_14default_configELb0EPKbPbPKlPlN2at6native12_GLOBAL__N_18offset_tEEE10hipError_tPvRmT1_PNSt15iterator_traitsIS12_E10value_typeET2_T3_PNS13_IS18_E10value_typeET4_jRbjT5_S1E_jjP12ihipStream_tbEUljE_ZNSN_ISO_Lb0ESQ_SR_ST_SU_SY_EESZ_S10_S11_S12_S16_S17_S18_S1B_S1C_jS1D_jS1E_S1E_jjS1G_bEUljE0_EEESZ_S10_S11_S18_S1C_S1E_T6_T7_T9_mT8_S1G_bDpT10_ENKUlT_T0_E_clISt17integral_constantIbLb1EES1U_EEDaS1P_S1Q_EUlS1P_E_NS1_11comp_targetILNS1_3genE10ELNS1_11target_archE1200ELNS1_3gpuE4ELNS1_3repE0EEENS1_30default_config_static_selectorELNS0_4arch9wavefront6targetE0EEEvS12_
; %bb.0:
	.section	.rodata,"a",@progbits
	.p2align	6, 0x0
	.amdhsa_kernel _ZN7rocprim17ROCPRIM_400000_NS6detail17trampoline_kernelINS0_13select_configILj256ELj13ELNS0_17block_load_methodE3ELS4_3ELS4_3ELNS0_20block_scan_algorithmE0ELj4294967295EEENS1_25partition_config_selectorILNS1_17partition_subalgoE4EjNS0_10empty_typeEbEEZZNS1_14partition_implILS8_4ELb0ES6_15HIP_vector_typeIjLj2EENS0_17counting_iteratorIjlEEPS9_SG_NS0_5tupleIJPjSI_NS0_16reverse_iteratorISI_EEEEENSH_IJSG_SG_SG_EEES9_SI_JZNS1_25segmented_radix_sort_implINS0_14default_configELb0EPKbPbPKlPlN2at6native12_GLOBAL__N_18offset_tEEE10hipError_tPvRmT1_PNSt15iterator_traitsIS12_E10value_typeET2_T3_PNS13_IS18_E10value_typeET4_jRbjT5_S1E_jjP12ihipStream_tbEUljE_ZNSN_ISO_Lb0ESQ_SR_ST_SU_SY_EESZ_S10_S11_S12_S16_S17_S18_S1B_S1C_jS1D_jS1E_S1E_jjS1G_bEUljE0_EEESZ_S10_S11_S18_S1C_S1E_T6_T7_T9_mT8_S1G_bDpT10_ENKUlT_T0_E_clISt17integral_constantIbLb1EES1U_EEDaS1P_S1Q_EUlS1P_E_NS1_11comp_targetILNS1_3genE10ELNS1_11target_archE1200ELNS1_3gpuE4ELNS1_3repE0EEENS1_30default_config_static_selectorELNS0_4arch9wavefront6targetE0EEEvS12_
		.amdhsa_group_segment_fixed_size 0
		.amdhsa_private_segment_fixed_size 0
		.amdhsa_kernarg_size 184
		.amdhsa_user_sgpr_count 15
		.amdhsa_user_sgpr_dispatch_ptr 0
		.amdhsa_user_sgpr_queue_ptr 0
		.amdhsa_user_sgpr_kernarg_segment_ptr 1
		.amdhsa_user_sgpr_dispatch_id 0
		.amdhsa_user_sgpr_private_segment_size 0
		.amdhsa_wavefront_size32 1
		.amdhsa_uses_dynamic_stack 0
		.amdhsa_enable_private_segment 0
		.amdhsa_system_sgpr_workgroup_id_x 1
		.amdhsa_system_sgpr_workgroup_id_y 0
		.amdhsa_system_sgpr_workgroup_id_z 0
		.amdhsa_system_sgpr_workgroup_info 0
		.amdhsa_system_vgpr_workitem_id 0
		.amdhsa_next_free_vgpr 1
		.amdhsa_next_free_sgpr 1
		.amdhsa_reserve_vcc 0
		.amdhsa_float_round_mode_32 0
		.amdhsa_float_round_mode_16_64 0
		.amdhsa_float_denorm_mode_32 3
		.amdhsa_float_denorm_mode_16_64 3
		.amdhsa_dx10_clamp 1
		.amdhsa_ieee_mode 1
		.amdhsa_fp16_overflow 0
		.amdhsa_workgroup_processor_mode 1
		.amdhsa_memory_ordered 1
		.amdhsa_forward_progress 0
		.amdhsa_shared_vgpr_count 0
		.amdhsa_exception_fp_ieee_invalid_op 0
		.amdhsa_exception_fp_denorm_src 0
		.amdhsa_exception_fp_ieee_div_zero 0
		.amdhsa_exception_fp_ieee_overflow 0
		.amdhsa_exception_fp_ieee_underflow 0
		.amdhsa_exception_fp_ieee_inexact 0
		.amdhsa_exception_int_div_zero 0
	.end_amdhsa_kernel
	.section	.text._ZN7rocprim17ROCPRIM_400000_NS6detail17trampoline_kernelINS0_13select_configILj256ELj13ELNS0_17block_load_methodE3ELS4_3ELS4_3ELNS0_20block_scan_algorithmE0ELj4294967295EEENS1_25partition_config_selectorILNS1_17partition_subalgoE4EjNS0_10empty_typeEbEEZZNS1_14partition_implILS8_4ELb0ES6_15HIP_vector_typeIjLj2EENS0_17counting_iteratorIjlEEPS9_SG_NS0_5tupleIJPjSI_NS0_16reverse_iteratorISI_EEEEENSH_IJSG_SG_SG_EEES9_SI_JZNS1_25segmented_radix_sort_implINS0_14default_configELb0EPKbPbPKlPlN2at6native12_GLOBAL__N_18offset_tEEE10hipError_tPvRmT1_PNSt15iterator_traitsIS12_E10value_typeET2_T3_PNS13_IS18_E10value_typeET4_jRbjT5_S1E_jjP12ihipStream_tbEUljE_ZNSN_ISO_Lb0ESQ_SR_ST_SU_SY_EESZ_S10_S11_S12_S16_S17_S18_S1B_S1C_jS1D_jS1E_S1E_jjS1G_bEUljE0_EEESZ_S10_S11_S18_S1C_S1E_T6_T7_T9_mT8_S1G_bDpT10_ENKUlT_T0_E_clISt17integral_constantIbLb1EES1U_EEDaS1P_S1Q_EUlS1P_E_NS1_11comp_targetILNS1_3genE10ELNS1_11target_archE1200ELNS1_3gpuE4ELNS1_3repE0EEENS1_30default_config_static_selectorELNS0_4arch9wavefront6targetE0EEEvS12_,"axG",@progbits,_ZN7rocprim17ROCPRIM_400000_NS6detail17trampoline_kernelINS0_13select_configILj256ELj13ELNS0_17block_load_methodE3ELS4_3ELS4_3ELNS0_20block_scan_algorithmE0ELj4294967295EEENS1_25partition_config_selectorILNS1_17partition_subalgoE4EjNS0_10empty_typeEbEEZZNS1_14partition_implILS8_4ELb0ES6_15HIP_vector_typeIjLj2EENS0_17counting_iteratorIjlEEPS9_SG_NS0_5tupleIJPjSI_NS0_16reverse_iteratorISI_EEEEENSH_IJSG_SG_SG_EEES9_SI_JZNS1_25segmented_radix_sort_implINS0_14default_configELb0EPKbPbPKlPlN2at6native12_GLOBAL__N_18offset_tEEE10hipError_tPvRmT1_PNSt15iterator_traitsIS12_E10value_typeET2_T3_PNS13_IS18_E10value_typeET4_jRbjT5_S1E_jjP12ihipStream_tbEUljE_ZNSN_ISO_Lb0ESQ_SR_ST_SU_SY_EESZ_S10_S11_S12_S16_S17_S18_S1B_S1C_jS1D_jS1E_S1E_jjS1G_bEUljE0_EEESZ_S10_S11_S18_S1C_S1E_T6_T7_T9_mT8_S1G_bDpT10_ENKUlT_T0_E_clISt17integral_constantIbLb1EES1U_EEDaS1P_S1Q_EUlS1P_E_NS1_11comp_targetILNS1_3genE10ELNS1_11target_archE1200ELNS1_3gpuE4ELNS1_3repE0EEENS1_30default_config_static_selectorELNS0_4arch9wavefront6targetE0EEEvS12_,comdat
.Lfunc_end1584:
	.size	_ZN7rocprim17ROCPRIM_400000_NS6detail17trampoline_kernelINS0_13select_configILj256ELj13ELNS0_17block_load_methodE3ELS4_3ELS4_3ELNS0_20block_scan_algorithmE0ELj4294967295EEENS1_25partition_config_selectorILNS1_17partition_subalgoE4EjNS0_10empty_typeEbEEZZNS1_14partition_implILS8_4ELb0ES6_15HIP_vector_typeIjLj2EENS0_17counting_iteratorIjlEEPS9_SG_NS0_5tupleIJPjSI_NS0_16reverse_iteratorISI_EEEEENSH_IJSG_SG_SG_EEES9_SI_JZNS1_25segmented_radix_sort_implINS0_14default_configELb0EPKbPbPKlPlN2at6native12_GLOBAL__N_18offset_tEEE10hipError_tPvRmT1_PNSt15iterator_traitsIS12_E10value_typeET2_T3_PNS13_IS18_E10value_typeET4_jRbjT5_S1E_jjP12ihipStream_tbEUljE_ZNSN_ISO_Lb0ESQ_SR_ST_SU_SY_EESZ_S10_S11_S12_S16_S17_S18_S1B_S1C_jS1D_jS1E_S1E_jjS1G_bEUljE0_EEESZ_S10_S11_S18_S1C_S1E_T6_T7_T9_mT8_S1G_bDpT10_ENKUlT_T0_E_clISt17integral_constantIbLb1EES1U_EEDaS1P_S1Q_EUlS1P_E_NS1_11comp_targetILNS1_3genE10ELNS1_11target_archE1200ELNS1_3gpuE4ELNS1_3repE0EEENS1_30default_config_static_selectorELNS0_4arch9wavefront6targetE0EEEvS12_, .Lfunc_end1584-_ZN7rocprim17ROCPRIM_400000_NS6detail17trampoline_kernelINS0_13select_configILj256ELj13ELNS0_17block_load_methodE3ELS4_3ELS4_3ELNS0_20block_scan_algorithmE0ELj4294967295EEENS1_25partition_config_selectorILNS1_17partition_subalgoE4EjNS0_10empty_typeEbEEZZNS1_14partition_implILS8_4ELb0ES6_15HIP_vector_typeIjLj2EENS0_17counting_iteratorIjlEEPS9_SG_NS0_5tupleIJPjSI_NS0_16reverse_iteratorISI_EEEEENSH_IJSG_SG_SG_EEES9_SI_JZNS1_25segmented_radix_sort_implINS0_14default_configELb0EPKbPbPKlPlN2at6native12_GLOBAL__N_18offset_tEEE10hipError_tPvRmT1_PNSt15iterator_traitsIS12_E10value_typeET2_T3_PNS13_IS18_E10value_typeET4_jRbjT5_S1E_jjP12ihipStream_tbEUljE_ZNSN_ISO_Lb0ESQ_SR_ST_SU_SY_EESZ_S10_S11_S12_S16_S17_S18_S1B_S1C_jS1D_jS1E_S1E_jjS1G_bEUljE0_EEESZ_S10_S11_S18_S1C_S1E_T6_T7_T9_mT8_S1G_bDpT10_ENKUlT_T0_E_clISt17integral_constantIbLb1EES1U_EEDaS1P_S1Q_EUlS1P_E_NS1_11comp_targetILNS1_3genE10ELNS1_11target_archE1200ELNS1_3gpuE4ELNS1_3repE0EEENS1_30default_config_static_selectorELNS0_4arch9wavefront6targetE0EEEvS12_
                                        ; -- End function
	.section	.AMDGPU.csdata,"",@progbits
; Kernel info:
; codeLenInByte = 0
; NumSgprs: 0
; NumVgprs: 0
; ScratchSize: 0
; MemoryBound: 0
; FloatMode: 240
; IeeeMode: 1
; LDSByteSize: 0 bytes/workgroup (compile time only)
; SGPRBlocks: 0
; VGPRBlocks: 0
; NumSGPRsForWavesPerEU: 1
; NumVGPRsForWavesPerEU: 1
; Occupancy: 16
; WaveLimiterHint : 0
; COMPUTE_PGM_RSRC2:SCRATCH_EN: 0
; COMPUTE_PGM_RSRC2:USER_SGPR: 15
; COMPUTE_PGM_RSRC2:TRAP_HANDLER: 0
; COMPUTE_PGM_RSRC2:TGID_X_EN: 1
; COMPUTE_PGM_RSRC2:TGID_Y_EN: 0
; COMPUTE_PGM_RSRC2:TGID_Z_EN: 0
; COMPUTE_PGM_RSRC2:TIDIG_COMP_CNT: 0
	.section	.text._ZN7rocprim17ROCPRIM_400000_NS6detail17trampoline_kernelINS0_13select_configILj256ELj13ELNS0_17block_load_methodE3ELS4_3ELS4_3ELNS0_20block_scan_algorithmE0ELj4294967295EEENS1_25partition_config_selectorILNS1_17partition_subalgoE4EjNS0_10empty_typeEbEEZZNS1_14partition_implILS8_4ELb0ES6_15HIP_vector_typeIjLj2EENS0_17counting_iteratorIjlEEPS9_SG_NS0_5tupleIJPjSI_NS0_16reverse_iteratorISI_EEEEENSH_IJSG_SG_SG_EEES9_SI_JZNS1_25segmented_radix_sort_implINS0_14default_configELb0EPKbPbPKlPlN2at6native12_GLOBAL__N_18offset_tEEE10hipError_tPvRmT1_PNSt15iterator_traitsIS12_E10value_typeET2_T3_PNS13_IS18_E10value_typeET4_jRbjT5_S1E_jjP12ihipStream_tbEUljE_ZNSN_ISO_Lb0ESQ_SR_ST_SU_SY_EESZ_S10_S11_S12_S16_S17_S18_S1B_S1C_jS1D_jS1E_S1E_jjS1G_bEUljE0_EEESZ_S10_S11_S18_S1C_S1E_T6_T7_T9_mT8_S1G_bDpT10_ENKUlT_T0_E_clISt17integral_constantIbLb1EES1U_EEDaS1P_S1Q_EUlS1P_E_NS1_11comp_targetILNS1_3genE9ELNS1_11target_archE1100ELNS1_3gpuE3ELNS1_3repE0EEENS1_30default_config_static_selectorELNS0_4arch9wavefront6targetE0EEEvS12_,"axG",@progbits,_ZN7rocprim17ROCPRIM_400000_NS6detail17trampoline_kernelINS0_13select_configILj256ELj13ELNS0_17block_load_methodE3ELS4_3ELS4_3ELNS0_20block_scan_algorithmE0ELj4294967295EEENS1_25partition_config_selectorILNS1_17partition_subalgoE4EjNS0_10empty_typeEbEEZZNS1_14partition_implILS8_4ELb0ES6_15HIP_vector_typeIjLj2EENS0_17counting_iteratorIjlEEPS9_SG_NS0_5tupleIJPjSI_NS0_16reverse_iteratorISI_EEEEENSH_IJSG_SG_SG_EEES9_SI_JZNS1_25segmented_radix_sort_implINS0_14default_configELb0EPKbPbPKlPlN2at6native12_GLOBAL__N_18offset_tEEE10hipError_tPvRmT1_PNSt15iterator_traitsIS12_E10value_typeET2_T3_PNS13_IS18_E10value_typeET4_jRbjT5_S1E_jjP12ihipStream_tbEUljE_ZNSN_ISO_Lb0ESQ_SR_ST_SU_SY_EESZ_S10_S11_S12_S16_S17_S18_S1B_S1C_jS1D_jS1E_S1E_jjS1G_bEUljE0_EEESZ_S10_S11_S18_S1C_S1E_T6_T7_T9_mT8_S1G_bDpT10_ENKUlT_T0_E_clISt17integral_constantIbLb1EES1U_EEDaS1P_S1Q_EUlS1P_E_NS1_11comp_targetILNS1_3genE9ELNS1_11target_archE1100ELNS1_3gpuE3ELNS1_3repE0EEENS1_30default_config_static_selectorELNS0_4arch9wavefront6targetE0EEEvS12_,comdat
	.globl	_ZN7rocprim17ROCPRIM_400000_NS6detail17trampoline_kernelINS0_13select_configILj256ELj13ELNS0_17block_load_methodE3ELS4_3ELS4_3ELNS0_20block_scan_algorithmE0ELj4294967295EEENS1_25partition_config_selectorILNS1_17partition_subalgoE4EjNS0_10empty_typeEbEEZZNS1_14partition_implILS8_4ELb0ES6_15HIP_vector_typeIjLj2EENS0_17counting_iteratorIjlEEPS9_SG_NS0_5tupleIJPjSI_NS0_16reverse_iteratorISI_EEEEENSH_IJSG_SG_SG_EEES9_SI_JZNS1_25segmented_radix_sort_implINS0_14default_configELb0EPKbPbPKlPlN2at6native12_GLOBAL__N_18offset_tEEE10hipError_tPvRmT1_PNSt15iterator_traitsIS12_E10value_typeET2_T3_PNS13_IS18_E10value_typeET4_jRbjT5_S1E_jjP12ihipStream_tbEUljE_ZNSN_ISO_Lb0ESQ_SR_ST_SU_SY_EESZ_S10_S11_S12_S16_S17_S18_S1B_S1C_jS1D_jS1E_S1E_jjS1G_bEUljE0_EEESZ_S10_S11_S18_S1C_S1E_T6_T7_T9_mT8_S1G_bDpT10_ENKUlT_T0_E_clISt17integral_constantIbLb1EES1U_EEDaS1P_S1Q_EUlS1P_E_NS1_11comp_targetILNS1_3genE9ELNS1_11target_archE1100ELNS1_3gpuE3ELNS1_3repE0EEENS1_30default_config_static_selectorELNS0_4arch9wavefront6targetE0EEEvS12_ ; -- Begin function _ZN7rocprim17ROCPRIM_400000_NS6detail17trampoline_kernelINS0_13select_configILj256ELj13ELNS0_17block_load_methodE3ELS4_3ELS4_3ELNS0_20block_scan_algorithmE0ELj4294967295EEENS1_25partition_config_selectorILNS1_17partition_subalgoE4EjNS0_10empty_typeEbEEZZNS1_14partition_implILS8_4ELb0ES6_15HIP_vector_typeIjLj2EENS0_17counting_iteratorIjlEEPS9_SG_NS0_5tupleIJPjSI_NS0_16reverse_iteratorISI_EEEEENSH_IJSG_SG_SG_EEES9_SI_JZNS1_25segmented_radix_sort_implINS0_14default_configELb0EPKbPbPKlPlN2at6native12_GLOBAL__N_18offset_tEEE10hipError_tPvRmT1_PNSt15iterator_traitsIS12_E10value_typeET2_T3_PNS13_IS18_E10value_typeET4_jRbjT5_S1E_jjP12ihipStream_tbEUljE_ZNSN_ISO_Lb0ESQ_SR_ST_SU_SY_EESZ_S10_S11_S12_S16_S17_S18_S1B_S1C_jS1D_jS1E_S1E_jjS1G_bEUljE0_EEESZ_S10_S11_S18_S1C_S1E_T6_T7_T9_mT8_S1G_bDpT10_ENKUlT_T0_E_clISt17integral_constantIbLb1EES1U_EEDaS1P_S1Q_EUlS1P_E_NS1_11comp_targetILNS1_3genE9ELNS1_11target_archE1100ELNS1_3gpuE3ELNS1_3repE0EEENS1_30default_config_static_selectorELNS0_4arch9wavefront6targetE0EEEvS12_
	.p2align	8
	.type	_ZN7rocprim17ROCPRIM_400000_NS6detail17trampoline_kernelINS0_13select_configILj256ELj13ELNS0_17block_load_methodE3ELS4_3ELS4_3ELNS0_20block_scan_algorithmE0ELj4294967295EEENS1_25partition_config_selectorILNS1_17partition_subalgoE4EjNS0_10empty_typeEbEEZZNS1_14partition_implILS8_4ELb0ES6_15HIP_vector_typeIjLj2EENS0_17counting_iteratorIjlEEPS9_SG_NS0_5tupleIJPjSI_NS0_16reverse_iteratorISI_EEEEENSH_IJSG_SG_SG_EEES9_SI_JZNS1_25segmented_radix_sort_implINS0_14default_configELb0EPKbPbPKlPlN2at6native12_GLOBAL__N_18offset_tEEE10hipError_tPvRmT1_PNSt15iterator_traitsIS12_E10value_typeET2_T3_PNS13_IS18_E10value_typeET4_jRbjT5_S1E_jjP12ihipStream_tbEUljE_ZNSN_ISO_Lb0ESQ_SR_ST_SU_SY_EESZ_S10_S11_S12_S16_S17_S18_S1B_S1C_jS1D_jS1E_S1E_jjS1G_bEUljE0_EEESZ_S10_S11_S18_S1C_S1E_T6_T7_T9_mT8_S1G_bDpT10_ENKUlT_T0_E_clISt17integral_constantIbLb1EES1U_EEDaS1P_S1Q_EUlS1P_E_NS1_11comp_targetILNS1_3genE9ELNS1_11target_archE1100ELNS1_3gpuE3ELNS1_3repE0EEENS1_30default_config_static_selectorELNS0_4arch9wavefront6targetE0EEEvS12_,@function
_ZN7rocprim17ROCPRIM_400000_NS6detail17trampoline_kernelINS0_13select_configILj256ELj13ELNS0_17block_load_methodE3ELS4_3ELS4_3ELNS0_20block_scan_algorithmE0ELj4294967295EEENS1_25partition_config_selectorILNS1_17partition_subalgoE4EjNS0_10empty_typeEbEEZZNS1_14partition_implILS8_4ELb0ES6_15HIP_vector_typeIjLj2EENS0_17counting_iteratorIjlEEPS9_SG_NS0_5tupleIJPjSI_NS0_16reverse_iteratorISI_EEEEENSH_IJSG_SG_SG_EEES9_SI_JZNS1_25segmented_radix_sort_implINS0_14default_configELb0EPKbPbPKlPlN2at6native12_GLOBAL__N_18offset_tEEE10hipError_tPvRmT1_PNSt15iterator_traitsIS12_E10value_typeET2_T3_PNS13_IS18_E10value_typeET4_jRbjT5_S1E_jjP12ihipStream_tbEUljE_ZNSN_ISO_Lb0ESQ_SR_ST_SU_SY_EESZ_S10_S11_S12_S16_S17_S18_S1B_S1C_jS1D_jS1E_S1E_jjS1G_bEUljE0_EEESZ_S10_S11_S18_S1C_S1E_T6_T7_T9_mT8_S1G_bDpT10_ENKUlT_T0_E_clISt17integral_constantIbLb1EES1U_EEDaS1P_S1Q_EUlS1P_E_NS1_11comp_targetILNS1_3genE9ELNS1_11target_archE1100ELNS1_3gpuE3ELNS1_3repE0EEENS1_30default_config_static_selectorELNS0_4arch9wavefront6targetE0EEEvS12_: ; @_ZN7rocprim17ROCPRIM_400000_NS6detail17trampoline_kernelINS0_13select_configILj256ELj13ELNS0_17block_load_methodE3ELS4_3ELS4_3ELNS0_20block_scan_algorithmE0ELj4294967295EEENS1_25partition_config_selectorILNS1_17partition_subalgoE4EjNS0_10empty_typeEbEEZZNS1_14partition_implILS8_4ELb0ES6_15HIP_vector_typeIjLj2EENS0_17counting_iteratorIjlEEPS9_SG_NS0_5tupleIJPjSI_NS0_16reverse_iteratorISI_EEEEENSH_IJSG_SG_SG_EEES9_SI_JZNS1_25segmented_radix_sort_implINS0_14default_configELb0EPKbPbPKlPlN2at6native12_GLOBAL__N_18offset_tEEE10hipError_tPvRmT1_PNSt15iterator_traitsIS12_E10value_typeET2_T3_PNS13_IS18_E10value_typeET4_jRbjT5_S1E_jjP12ihipStream_tbEUljE_ZNSN_ISO_Lb0ESQ_SR_ST_SU_SY_EESZ_S10_S11_S12_S16_S17_S18_S1B_S1C_jS1D_jS1E_S1E_jjS1G_bEUljE0_EEESZ_S10_S11_S18_S1C_S1E_T6_T7_T9_mT8_S1G_bDpT10_ENKUlT_T0_E_clISt17integral_constantIbLb1EES1U_EEDaS1P_S1Q_EUlS1P_E_NS1_11comp_targetILNS1_3genE9ELNS1_11target_archE1100ELNS1_3gpuE3ELNS1_3repE0EEENS1_30default_config_static_selectorELNS0_4arch9wavefront6targetE0EEEvS12_
; %bb.0:
	s_clause 0x7
	s_load_b64 s[34:35], s[0:1], 0x10
	s_load_b128 s[28:31], s[0:1], 0x28
	s_load_b64 s[14:15], s[0:1], 0x38
	s_load_b128 s[24:27], s[0:1], 0x58
	s_load_b64 s[4:5], s[0:1], 0x68
	s_load_b64 s[36:37], s[0:1], 0x78
	;; [unrolled: 1-line block ×3, first 2 shown]
	s_load_b256 s[16:23], s[0:1], 0x90
	v_cmp_eq_u32_e64 s2, 0, v0
	s_delay_alu instid0(VALU_DEP_1)
	s_and_saveexec_b32 s3, s2
	s_cbranch_execz .LBB1585_4
; %bb.1:
	s_mov_b32 s7, exec_lo
	s_mov_b32 s6, exec_lo
	v_mbcnt_lo_u32_b32 v1, s7, 0
                                        ; implicit-def: $vgpr2
	s_delay_alu instid0(VALU_DEP_1)
	v_cmpx_eq_u32_e32 0, v1
	s_cbranch_execz .LBB1585_3
; %bb.2:
	s_load_b64 s[8:9], s[0:1], 0x88
	s_bcnt1_i32_b32 s7, s7
	s_delay_alu instid0(SALU_CYCLE_1)
	v_dual_mov_b32 v2, 0 :: v_dual_mov_b32 v3, s7
	s_waitcnt lgkmcnt(0)
	global_atomic_add_u32 v2, v2, v3, s[8:9] glc
.LBB1585_3:
	s_or_b32 exec_lo, exec_lo, s6
	s_waitcnt vmcnt(0)
	v_readfirstlane_b32 s6, v2
	s_delay_alu instid0(VALU_DEP_1)
	v_dual_mov_b32 v2, 0 :: v_dual_add_nc_u32 v1, s6, v1
	ds_store_b32 v2, v1
.LBB1585_4:
	s_or_b32 exec_lo, exec_lo, s3
	v_mov_b32_e32 v1, 0
	s_clause 0x1
	s_load_b32 s3, s[0:1], 0x8
	s_load_b32 s0, s[0:1], 0x80
	s_waitcnt lgkmcnt(0)
	s_barrier
	buffer_gl0_inv
	ds_load_b32 v5, v1
	s_waitcnt lgkmcnt(0)
	s_barrier
	buffer_gl0_inv
	global_load_b128 v[1:4], v1, s[26:27]
	s_add_i32 s3, s3, s34
	s_mul_i32 s1, s0, 0xd00
	s_add_i32 s0, s0, -1
	s_add_u32 s6, s34, s1
	s_addc_u32 s7, s35, 0
	v_mul_lo_u32 v30, 0xd00, v5
	v_readfirstlane_b32 s26, v5
	v_cmp_lt_u64_e64 s5, s[6:7], s[4:5]
	v_cmp_ne_u32_e32 vcc_lo, s0, v5
	s_delay_alu instid0(VALU_DEP_3) | instskip(SKIP_1) | instid1(VALU_DEP_4)
	s_cmp_eq_u32 s26, s0
	s_cselect_b32 s13, -1, 0
	v_add3_u32 v5, v30, s3, v0
	s_delay_alu instid0(VALU_DEP_3) | instskip(SKIP_2) | instid1(VALU_DEP_1)
	s_or_b32 s0, s5, vcc_lo
	s_mov_b32 s3, -1
	s_and_b32 vcc_lo, exec_lo, s0
	v_add_nc_u32_e32 v6, 0x100, v5
	v_add_nc_u32_e32 v7, 0x200, v5
	;; [unrolled: 1-line block ×12, first 2 shown]
	s_cbranch_vccz .LBB1585_6
; %bb.5:
	v_lshlrev_b32_e32 v18, 2, v0
	s_mov_b32 s3, 0
	ds_store_2addr_stride64_b32 v18, v5, v6 offset1:4
	ds_store_2addr_stride64_b32 v18, v7, v8 offset0:8 offset1:12
	ds_store_2addr_stride64_b32 v18, v9, v10 offset0:16 offset1:20
	;; [unrolled: 1-line block ×5, first 2 shown]
	ds_store_b32 v18, v17 offset:12288
	s_waitcnt vmcnt(0) lgkmcnt(0)
	s_barrier
.LBB1585_6:
	s_and_not1_b32 vcc_lo, exec_lo, s3
	s_add_i32 s1, s1, s34
	s_cbranch_vccnz .LBB1585_8
; %bb.7:
	v_lshlrev_b32_e32 v18, 2, v0
	ds_store_2addr_stride64_b32 v18, v5, v6 offset1:4
	ds_store_2addr_stride64_b32 v18, v7, v8 offset0:8 offset1:12
	ds_store_2addr_stride64_b32 v18, v9, v10 offset0:16 offset1:20
	;; [unrolled: 1-line block ×5, first 2 shown]
	ds_store_b32 v18, v17 offset:12288
	s_waitcnt vmcnt(0) lgkmcnt(0)
	s_barrier
.LBB1585_8:
	v_mul_u32_u24_e32 v33, 13, v0
	s_waitcnt vmcnt(0)
	buffer_gl0_inv
	v_cndmask_b32_e64 v31, 0, 1, s0
	s_sub_i32 s40, s4, s1
	s_and_not1_b32 vcc_lo, exec_lo, s0
	v_lshlrev_b32_e32 v5, 2, v33
	ds_load_2addr_b32 v[20:21], v5 offset1:1
	ds_load_2addr_b32 v[18:19], v5 offset0:2 offset1:3
	ds_load_2addr_b32 v[16:17], v5 offset0:4 offset1:5
	;; [unrolled: 1-line block ×5, first 2 shown]
	ds_load_b32 v32, v5 offset:48
	s_waitcnt lgkmcnt(0)
	s_barrier
	buffer_gl0_inv
	s_cbranch_vccnz .LBB1585_36
; %bb.9:
	v_add_nc_u32_e32 v5, s17, v20
	v_add_nc_u32_e32 v6, s19, v20
	s_mov_b32 s42, 0
	s_mov_b32 s41, 0
	s_mov_b32 s1, exec_lo
	v_mul_lo_u32 v5, v5, s16
	v_mul_lo_u32 v6, v6, s18
	s_delay_alu instid0(VALU_DEP_1) | instskip(NEXT) | instid1(VALU_DEP_1)
	v_sub_nc_u32_e32 v5, v5, v6
	v_cmp_lt_u32_e32 vcc_lo, s20, v5
	v_cmpx_ge_u32_e64 s20, v5
; %bb.10:
	v_add_nc_u32_e32 v5, s22, v20
	v_add_nc_u32_e32 v6, s38, v20
	s_delay_alu instid0(VALU_DEP_2) | instskip(NEXT) | instid1(VALU_DEP_2)
	v_mul_lo_u32 v5, v5, s21
	v_mul_lo_u32 v6, v6, s23
	s_delay_alu instid0(VALU_DEP_1) | instskip(NEXT) | instid1(VALU_DEP_1)
	v_sub_nc_u32_e32 v5, v5, v6
	v_cmp_lt_u32_e64 s0, s39, v5
	s_delay_alu instid0(VALU_DEP_1)
	s_and_b32 s41, s0, exec_lo
; %bb.11:
	s_or_b32 exec_lo, exec_lo, s1
	v_add_nc_u32_e32 v5, s17, v21
	v_add_nc_u32_e32 v6, s19, v21
	s_mov_b32 s3, exec_lo
	s_delay_alu instid0(VALU_DEP_2) | instskip(NEXT) | instid1(VALU_DEP_2)
	v_mul_lo_u32 v5, v5, s16
	v_mul_lo_u32 v6, v6, s18
	s_delay_alu instid0(VALU_DEP_1) | instskip(NEXT) | instid1(VALU_DEP_1)
	v_sub_nc_u32_e32 v5, v5, v6
	v_cmp_lt_u32_e64 s0, s20, v5
	v_cmpx_ge_u32_e64 s20, v5
; %bb.12:
	v_add_nc_u32_e32 v5, s22, v21
	v_add_nc_u32_e32 v6, s38, v21
	s_delay_alu instid0(VALU_DEP_2) | instskip(NEXT) | instid1(VALU_DEP_2)
	v_mul_lo_u32 v5, v5, s21
	v_mul_lo_u32 v6, v6, s23
	s_delay_alu instid0(VALU_DEP_1) | instskip(NEXT) | instid1(VALU_DEP_1)
	v_sub_nc_u32_e32 v5, v5, v6
	v_cmp_lt_u32_e64 s1, s39, v5
	s_delay_alu instid0(VALU_DEP_1)
	s_and_b32 s42, s1, exec_lo
; %bb.13:
	s_or_b32 exec_lo, exec_lo, s3
	v_add_nc_u32_e32 v5, s17, v18
	v_add_nc_u32_e32 v6, s19, v18
	s_mov_b32 s44, 0
	s_mov_b32 s43, 0
	s_mov_b32 s4, exec_lo
	v_mul_lo_u32 v5, v5, s16
	v_mul_lo_u32 v6, v6, s18
	s_delay_alu instid0(VALU_DEP_1) | instskip(NEXT) | instid1(VALU_DEP_1)
	v_sub_nc_u32_e32 v5, v5, v6
	v_cmp_lt_u32_e64 s1, s20, v5
	v_cmpx_ge_u32_e64 s20, v5
; %bb.14:
	v_add_nc_u32_e32 v5, s22, v18
	v_add_nc_u32_e32 v6, s38, v18
	s_delay_alu instid0(VALU_DEP_2) | instskip(NEXT) | instid1(VALU_DEP_2)
	v_mul_lo_u32 v5, v5, s21
	v_mul_lo_u32 v6, v6, s23
	s_delay_alu instid0(VALU_DEP_1) | instskip(NEXT) | instid1(VALU_DEP_1)
	v_sub_nc_u32_e32 v5, v5, v6
	v_cmp_lt_u32_e64 s3, s39, v5
	s_delay_alu instid0(VALU_DEP_1)
	s_and_b32 s43, s3, exec_lo
; %bb.15:
	s_or_b32 exec_lo, exec_lo, s4
	v_add_nc_u32_e32 v5, s17, v19
	v_add_nc_u32_e32 v6, s19, v19
	s_mov_b32 s5, exec_lo
	s_delay_alu instid0(VALU_DEP_2) | instskip(NEXT) | instid1(VALU_DEP_2)
	v_mul_lo_u32 v5, v5, s16
	v_mul_lo_u32 v6, v6, s18
	s_delay_alu instid0(VALU_DEP_1) | instskip(NEXT) | instid1(VALU_DEP_1)
	v_sub_nc_u32_e32 v5, v5, v6
	v_cmp_lt_u32_e64 s3, s20, v5
	v_cmpx_ge_u32_e64 s20, v5
; %bb.16:
	v_add_nc_u32_e32 v5, s22, v19
	v_add_nc_u32_e32 v6, s38, v19
	s_delay_alu instid0(VALU_DEP_2) | instskip(NEXT) | instid1(VALU_DEP_2)
	v_mul_lo_u32 v5, v5, s21
	v_mul_lo_u32 v6, v6, s23
	s_delay_alu instid0(VALU_DEP_1) | instskip(NEXT) | instid1(VALU_DEP_1)
	v_sub_nc_u32_e32 v5, v5, v6
	v_cmp_lt_u32_e64 s4, s39, v5
	s_delay_alu instid0(VALU_DEP_1)
	s_and_b32 s44, s4, exec_lo
; %bb.17:
	s_or_b32 exec_lo, exec_lo, s5
	v_add_nc_u32_e32 v5, s17, v16
	v_add_nc_u32_e32 v6, s19, v16
	s_mov_b32 s46, 0
	s_mov_b32 s45, 0
	s_mov_b32 s6, exec_lo
	v_mul_lo_u32 v5, v5, s16
	v_mul_lo_u32 v6, v6, s18
	s_delay_alu instid0(VALU_DEP_1) | instskip(NEXT) | instid1(VALU_DEP_1)
	v_sub_nc_u32_e32 v5, v5, v6
	v_cmp_lt_u32_e64 s4, s20, v5
	v_cmpx_ge_u32_e64 s20, v5
; %bb.18:
	v_add_nc_u32_e32 v5, s22, v16
	v_add_nc_u32_e32 v6, s38, v16
	s_delay_alu instid0(VALU_DEP_2) | instskip(NEXT) | instid1(VALU_DEP_2)
	v_mul_lo_u32 v5, v5, s21
	v_mul_lo_u32 v6, v6, s23
	s_delay_alu instid0(VALU_DEP_1) | instskip(NEXT) | instid1(VALU_DEP_1)
	v_sub_nc_u32_e32 v5, v5, v6
	v_cmp_lt_u32_e64 s5, s39, v5
	s_delay_alu instid0(VALU_DEP_1)
	s_and_b32 s45, s5, exec_lo
; %bb.19:
	s_or_b32 exec_lo, exec_lo, s6
	v_add_nc_u32_e32 v5, s17, v17
	v_add_nc_u32_e32 v6, s19, v17
	s_mov_b32 s7, exec_lo
	s_delay_alu instid0(VALU_DEP_2) | instskip(NEXT) | instid1(VALU_DEP_2)
	v_mul_lo_u32 v5, v5, s16
	v_mul_lo_u32 v6, v6, s18
	s_delay_alu instid0(VALU_DEP_1) | instskip(NEXT) | instid1(VALU_DEP_1)
	v_sub_nc_u32_e32 v5, v5, v6
	v_cmp_lt_u32_e64 s5, s20, v5
	v_cmpx_ge_u32_e64 s20, v5
; %bb.20:
	v_add_nc_u32_e32 v5, s22, v17
	v_add_nc_u32_e32 v6, s38, v17
	s_delay_alu instid0(VALU_DEP_2) | instskip(NEXT) | instid1(VALU_DEP_2)
	v_mul_lo_u32 v5, v5, s21
	v_mul_lo_u32 v6, v6, s23
	s_delay_alu instid0(VALU_DEP_1) | instskip(NEXT) | instid1(VALU_DEP_1)
	v_sub_nc_u32_e32 v5, v5, v6
	v_cmp_lt_u32_e64 s6, s39, v5
	s_delay_alu instid0(VALU_DEP_1)
	s_and_b32 s46, s6, exec_lo
; %bb.21:
	s_or_b32 exec_lo, exec_lo, s7
	v_add_nc_u32_e32 v5, s17, v14
	v_add_nc_u32_e32 v6, s19, v14
	s_mov_b32 s48, 0
	s_mov_b32 s47, 0
	s_mov_b32 s8, exec_lo
	v_mul_lo_u32 v5, v5, s16
	v_mul_lo_u32 v6, v6, s18
	s_delay_alu instid0(VALU_DEP_1) | instskip(NEXT) | instid1(VALU_DEP_1)
	v_sub_nc_u32_e32 v5, v5, v6
	v_cmp_lt_u32_e64 s6, s20, v5
	v_cmpx_ge_u32_e64 s20, v5
; %bb.22:
	v_add_nc_u32_e32 v5, s22, v14
	v_add_nc_u32_e32 v6, s38, v14
	s_delay_alu instid0(VALU_DEP_2) | instskip(NEXT) | instid1(VALU_DEP_2)
	v_mul_lo_u32 v5, v5, s21
	v_mul_lo_u32 v6, v6, s23
	s_delay_alu instid0(VALU_DEP_1) | instskip(NEXT) | instid1(VALU_DEP_1)
	v_sub_nc_u32_e32 v5, v5, v6
	v_cmp_lt_u32_e64 s7, s39, v5
	s_delay_alu instid0(VALU_DEP_1)
	s_and_b32 s47, s7, exec_lo
; %bb.23:
	s_or_b32 exec_lo, exec_lo, s8
	v_add_nc_u32_e32 v5, s17, v15
	v_add_nc_u32_e32 v6, s19, v15
	s_mov_b32 s9, exec_lo
	s_delay_alu instid0(VALU_DEP_2) | instskip(NEXT) | instid1(VALU_DEP_2)
	v_mul_lo_u32 v5, v5, s16
	v_mul_lo_u32 v6, v6, s18
	s_delay_alu instid0(VALU_DEP_1) | instskip(NEXT) | instid1(VALU_DEP_1)
	v_sub_nc_u32_e32 v5, v5, v6
	v_cmp_lt_u32_e64 s7, s20, v5
	v_cmpx_ge_u32_e64 s20, v5
; %bb.24:
	v_add_nc_u32_e32 v5, s22, v15
	v_add_nc_u32_e32 v6, s38, v15
	s_delay_alu instid0(VALU_DEP_2) | instskip(NEXT) | instid1(VALU_DEP_2)
	v_mul_lo_u32 v5, v5, s21
	v_mul_lo_u32 v6, v6, s23
	s_delay_alu instid0(VALU_DEP_1) | instskip(NEXT) | instid1(VALU_DEP_1)
	v_sub_nc_u32_e32 v5, v5, v6
	v_cmp_lt_u32_e64 s8, s39, v5
	s_delay_alu instid0(VALU_DEP_1)
	s_and_b32 s48, s8, exec_lo
; %bb.25:
	s_or_b32 exec_lo, exec_lo, s9
	v_add_nc_u32_e32 v5, s17, v12
	v_add_nc_u32_e32 v6, s19, v12
	s_mov_b32 s51, 0
	s_mov_b32 s50, 0
	s_mov_b32 s10, exec_lo
	v_mul_lo_u32 v5, v5, s16
	v_mul_lo_u32 v6, v6, s18
	s_delay_alu instid0(VALU_DEP_1) | instskip(NEXT) | instid1(VALU_DEP_1)
	v_sub_nc_u32_e32 v5, v5, v6
	v_cmp_lt_u32_e64 s8, s20, v5
	v_cmpx_ge_u32_e64 s20, v5
; %bb.26:
	v_add_nc_u32_e32 v5, s22, v12
	v_add_nc_u32_e32 v6, s38, v12
	s_delay_alu instid0(VALU_DEP_2) | instskip(NEXT) | instid1(VALU_DEP_2)
	v_mul_lo_u32 v5, v5, s21
	v_mul_lo_u32 v6, v6, s23
	s_delay_alu instid0(VALU_DEP_1) | instskip(NEXT) | instid1(VALU_DEP_1)
	v_sub_nc_u32_e32 v5, v5, v6
	v_cmp_lt_u32_e64 s9, s39, v5
	s_delay_alu instid0(VALU_DEP_1)
	s_and_b32 s50, s9, exec_lo
; %bb.27:
	s_or_b32 exec_lo, exec_lo, s10
	v_add_nc_u32_e32 v5, s17, v13
	v_add_nc_u32_e32 v6, s19, v13
	s_mov_b32 s11, exec_lo
	s_delay_alu instid0(VALU_DEP_2) | instskip(NEXT) | instid1(VALU_DEP_2)
	v_mul_lo_u32 v5, v5, s16
	v_mul_lo_u32 v6, v6, s18
	s_delay_alu instid0(VALU_DEP_1) | instskip(NEXT) | instid1(VALU_DEP_1)
	v_sub_nc_u32_e32 v5, v5, v6
	v_cmp_lt_u32_e64 s9, s20, v5
	v_cmpx_ge_u32_e64 s20, v5
; %bb.28:
	v_add_nc_u32_e32 v5, s22, v13
	v_add_nc_u32_e32 v6, s38, v13
	s_delay_alu instid0(VALU_DEP_2) | instskip(NEXT) | instid1(VALU_DEP_2)
	v_mul_lo_u32 v5, v5, s21
	v_mul_lo_u32 v6, v6, s23
	s_delay_alu instid0(VALU_DEP_1) | instskip(NEXT) | instid1(VALU_DEP_1)
	v_sub_nc_u32_e32 v5, v5, v6
	v_cmp_lt_u32_e64 s10, s39, v5
	s_delay_alu instid0(VALU_DEP_1)
	s_and_b32 s51, s10, exec_lo
; %bb.29:
	s_or_b32 exec_lo, exec_lo, s11
	v_add_nc_u32_e32 v5, s17, v10
	v_add_nc_u32_e32 v6, s19, v10
	s_mov_b32 s52, 0
	s_mov_b32 s53, 0
	s_mov_b32 s12, exec_lo
	v_mul_lo_u32 v5, v5, s16
	v_mul_lo_u32 v6, v6, s18
	s_delay_alu instid0(VALU_DEP_1) | instskip(NEXT) | instid1(VALU_DEP_1)
	v_sub_nc_u32_e32 v5, v5, v6
	v_cmp_lt_u32_e64 s10, s20, v5
	v_cmpx_ge_u32_e64 s20, v5
; %bb.30:
	v_add_nc_u32_e32 v5, s22, v10
	v_add_nc_u32_e32 v6, s38, v10
	s_delay_alu instid0(VALU_DEP_2) | instskip(NEXT) | instid1(VALU_DEP_2)
	v_mul_lo_u32 v5, v5, s21
	v_mul_lo_u32 v6, v6, s23
	s_delay_alu instid0(VALU_DEP_1) | instskip(NEXT) | instid1(VALU_DEP_1)
	v_sub_nc_u32_e32 v5, v5, v6
	v_cmp_lt_u32_e64 s11, s39, v5
	s_delay_alu instid0(VALU_DEP_1)
	s_and_b32 s53, s11, exec_lo
; %bb.31:
	s_or_b32 exec_lo, exec_lo, s12
	v_add_nc_u32_e32 v5, s17, v11
	v_add_nc_u32_e32 v6, s19, v11
	s_mov_b32 s27, exec_lo
	s_delay_alu instid0(VALU_DEP_2) | instskip(NEXT) | instid1(VALU_DEP_2)
	v_mul_lo_u32 v5, v5, s16
	v_mul_lo_u32 v6, v6, s18
	s_delay_alu instid0(VALU_DEP_1) | instskip(NEXT) | instid1(VALU_DEP_1)
	v_sub_nc_u32_e32 v5, v5, v6
	v_cmp_lt_u32_e64 s11, s20, v5
	v_cmpx_ge_u32_e64 s20, v5
; %bb.32:
	v_add_nc_u32_e32 v5, s22, v11
	v_add_nc_u32_e32 v6, s38, v11
	s_delay_alu instid0(VALU_DEP_2) | instskip(NEXT) | instid1(VALU_DEP_2)
	v_mul_lo_u32 v5, v5, s21
	v_mul_lo_u32 v6, v6, s23
	s_delay_alu instid0(VALU_DEP_1) | instskip(NEXT) | instid1(VALU_DEP_1)
	v_sub_nc_u32_e32 v5, v5, v6
	v_cmp_lt_u32_e64 s12, s39, v5
	s_delay_alu instid0(VALU_DEP_1)
	s_and_b32 s52, s12, exec_lo
; %bb.33:
	s_or_b32 exec_lo, exec_lo, s27
	v_add_nc_u32_e32 v5, s17, v32
	v_add_nc_u32_e32 v6, s19, v32
	s_mov_b32 s27, -1
	s_mov_b32 s49, 0
	s_mov_b32 s33, 0
	v_mul_lo_u32 v5, v5, s16
	v_mul_lo_u32 v6, v6, s18
	s_mov_b32 s54, exec_lo
	s_delay_alu instid0(VALU_DEP_1) | instskip(NEXT) | instid1(VALU_DEP_1)
	v_sub_nc_u32_e32 v5, v5, v6
	v_cmpx_ge_u32_e64 s20, v5
; %bb.34:
	v_add_nc_u32_e32 v5, s22, v32
	v_add_nc_u32_e32 v6, s38, v32
	s_xor_b32 s27, exec_lo, -1
	s_delay_alu instid0(VALU_DEP_2) | instskip(NEXT) | instid1(VALU_DEP_2)
	v_mul_lo_u32 v5, v5, s21
	v_mul_lo_u32 v6, v6, s23
	s_delay_alu instid0(VALU_DEP_1) | instskip(NEXT) | instid1(VALU_DEP_1)
	v_sub_nc_u32_e32 v5, v5, v6
	v_cmp_lt_u32_e64 s12, s39, v5
	s_delay_alu instid0(VALU_DEP_1)
	s_and_b32 s33, s12, exec_lo
; %bb.35:
	s_or_b32 exec_lo, exec_lo, s54
	v_cndmask_b32_e64 v53, 0, 1, s53
	v_cndmask_b32_e64 v56, 0, 1, s11
	;; [unrolled: 1-line block ×22, first 2 shown]
	v_cndmask_b32_e64 v34, 0, 1, vcc_lo
	v_cndmask_b32_e64 v57, 0, 1, s52
	s_and_b32 vcc_lo, exec_lo, s49
	s_add_i32 s4, s40, 0xd00
	s_cbranch_vccnz .LBB1585_37
	s_branch .LBB1585_90
.LBB1585_36:
                                        ; implicit-def: $sgpr27
                                        ; implicit-def: $sgpr33
                                        ; implicit-def: $vgpr57
                                        ; implicit-def: $vgpr53
                                        ; implicit-def: $vgpr52
                                        ; implicit-def: $vgpr50
                                        ; implicit-def: $vgpr48
                                        ; implicit-def: $vgpr46
                                        ; implicit-def: $vgpr44
                                        ; implicit-def: $vgpr42
                                        ; implicit-def: $vgpr39
                                        ; implicit-def: $vgpr34
                                        ; implicit-def: $vgpr37
                                        ; implicit-def: $vgpr36
                                        ; implicit-def: $vgpr41
                                        ; implicit-def: $vgpr43
                                        ; implicit-def: $vgpr45
                                        ; implicit-def: $vgpr47
                                        ; implicit-def: $vgpr49
                                        ; implicit-def: $vgpr51
                                        ; implicit-def: $vgpr54
                                        ; implicit-def: $vgpr55
                                        ; implicit-def: $vgpr56
                                        ; implicit-def: $vgpr35
                                        ; implicit-def: $vgpr40
                                        ; implicit-def: $vgpr38
	s_add_i32 s4, s40, 0xd00
	s_cbranch_execz .LBB1585_90
.LBB1585_37:
	v_dual_mov_b32 v35, 0 :: v_dual_mov_b32 v34, 0
	s_mov_b32 s3, 0
	s_mov_b32 s1, exec_lo
	v_cmpx_gt_u32_e64 s4, v33
	s_cbranch_execz .LBB1585_41
; %bb.38:
	v_add_nc_u32_e32 v5, s17, v20
	v_add_nc_u32_e32 v6, s19, v20
	s_mov_b32 s5, exec_lo
	s_delay_alu instid0(VALU_DEP_2) | instskip(NEXT) | instid1(VALU_DEP_2)
	v_mul_lo_u32 v5, v5, s16
	v_mul_lo_u32 v6, v6, s18
	s_delay_alu instid0(VALU_DEP_1) | instskip(NEXT) | instid1(VALU_DEP_1)
	v_sub_nc_u32_e32 v5, v5, v6
	v_cmp_lt_u32_e32 vcc_lo, s20, v5
	v_cmpx_ge_u32_e64 s20, v5
; %bb.39:
	v_add_nc_u32_e32 v5, s22, v20
	v_add_nc_u32_e32 v6, s38, v20
	s_delay_alu instid0(VALU_DEP_2) | instskip(NEXT) | instid1(VALU_DEP_2)
	v_mul_lo_u32 v5, v5, s21
	v_mul_lo_u32 v6, v6, s23
	s_delay_alu instid0(VALU_DEP_1) | instskip(NEXT) | instid1(VALU_DEP_1)
	v_sub_nc_u32_e32 v5, v5, v6
	v_cmp_lt_u32_e64 s0, s39, v5
	s_delay_alu instid0(VALU_DEP_1)
	s_and_b32 s3, s0, exec_lo
; %bb.40:
	s_or_b32 exec_lo, exec_lo, s5
	v_cndmask_b32_e64 v34, 0, 1, vcc_lo
	v_cndmask_b32_e64 v35, 0, 1, s3
.LBB1585_41:
	s_or_b32 exec_lo, exec_lo, s1
	v_dual_mov_b32 v40, 0 :: v_dual_add_nc_u32 v5, 1, v33
	v_mov_b32_e32 v37, 0
	s_mov_b32 s3, 0
	s_mov_b32 s1, exec_lo
	s_delay_alu instid0(VALU_DEP_2)
	v_cmpx_gt_u32_e64 s4, v5
	s_cbranch_execz .LBB1585_45
; %bb.42:
	v_add_nc_u32_e32 v5, s17, v21
	v_add_nc_u32_e32 v6, s19, v21
	s_mov_b32 s5, exec_lo
	s_delay_alu instid0(VALU_DEP_2) | instskip(NEXT) | instid1(VALU_DEP_2)
	v_mul_lo_u32 v5, v5, s16
	v_mul_lo_u32 v6, v6, s18
	s_delay_alu instid0(VALU_DEP_1) | instskip(NEXT) | instid1(VALU_DEP_1)
	v_sub_nc_u32_e32 v5, v5, v6
	v_cmp_lt_u32_e32 vcc_lo, s20, v5
	v_cmpx_ge_u32_e64 s20, v5
; %bb.43:
	v_add_nc_u32_e32 v5, s22, v21
	v_add_nc_u32_e32 v6, s38, v21
	s_delay_alu instid0(VALU_DEP_2) | instskip(NEXT) | instid1(VALU_DEP_2)
	v_mul_lo_u32 v5, v5, s21
	v_mul_lo_u32 v6, v6, s23
	s_delay_alu instid0(VALU_DEP_1) | instskip(NEXT) | instid1(VALU_DEP_1)
	v_sub_nc_u32_e32 v5, v5, v6
	v_cmp_lt_u32_e64 s0, s39, v5
	s_delay_alu instid0(VALU_DEP_1)
	s_and_b32 s3, s0, exec_lo
; %bb.44:
	s_or_b32 exec_lo, exec_lo, s5
	v_cndmask_b32_e64 v37, 0, 1, vcc_lo
	v_cndmask_b32_e64 v40, 0, 1, s3
.LBB1585_45:
	s_or_b32 exec_lo, exec_lo, s1
	v_dual_mov_b32 v36, 0 :: v_dual_add_nc_u32 v5, 2, v33
	v_mov_b32_e32 v38, 0
	s_mov_b32 s3, 0
	s_mov_b32 s1, exec_lo
	s_delay_alu instid0(VALU_DEP_2)
	v_cmpx_gt_u32_e64 s4, v5
	s_cbranch_execz .LBB1585_49
; %bb.46:
	v_add_nc_u32_e32 v5, s17, v18
	v_add_nc_u32_e32 v6, s19, v18
	s_mov_b32 s5, exec_lo
	s_delay_alu instid0(VALU_DEP_2) | instskip(NEXT) | instid1(VALU_DEP_2)
	v_mul_lo_u32 v5, v5, s16
	v_mul_lo_u32 v6, v6, s18
	s_delay_alu instid0(VALU_DEP_1) | instskip(NEXT) | instid1(VALU_DEP_1)
	v_sub_nc_u32_e32 v5, v5, v6
	v_cmp_lt_u32_e32 vcc_lo, s20, v5
	v_cmpx_ge_u32_e64 s20, v5
; %bb.47:
	v_add_nc_u32_e32 v5, s22, v18
	v_add_nc_u32_e32 v6, s38, v18
	s_delay_alu instid0(VALU_DEP_2) | instskip(NEXT) | instid1(VALU_DEP_2)
	v_mul_lo_u32 v5, v5, s21
	v_mul_lo_u32 v6, v6, s23
	s_delay_alu instid0(VALU_DEP_1) | instskip(NEXT) | instid1(VALU_DEP_1)
	v_sub_nc_u32_e32 v5, v5, v6
	v_cmp_lt_u32_e64 s0, s39, v5
	s_delay_alu instid0(VALU_DEP_1)
	s_and_b32 s3, s0, exec_lo
; %bb.48:
	s_or_b32 exec_lo, exec_lo, s5
	v_cndmask_b32_e64 v36, 0, 1, vcc_lo
	v_cndmask_b32_e64 v38, 0, 1, s3
.LBB1585_49:
	s_or_b32 exec_lo, exec_lo, s1
	v_add_nc_u32_e32 v5, 3, v33
	v_mov_b32_e32 v39, 0
	v_mov_b32_e32 v41, 0
	s_mov_b32 s3, 0
	s_mov_b32 s1, exec_lo
	v_cmpx_gt_u32_e64 s4, v5
	s_cbranch_execz .LBB1585_53
; %bb.50:
	v_add_nc_u32_e32 v5, s17, v19
	v_add_nc_u32_e32 v6, s19, v19
	s_mov_b32 s5, exec_lo
	s_delay_alu instid0(VALU_DEP_2) | instskip(NEXT) | instid1(VALU_DEP_2)
	v_mul_lo_u32 v5, v5, s16
	v_mul_lo_u32 v6, v6, s18
	s_delay_alu instid0(VALU_DEP_1) | instskip(NEXT) | instid1(VALU_DEP_1)
	v_sub_nc_u32_e32 v5, v5, v6
	v_cmp_lt_u32_e32 vcc_lo, s20, v5
	v_cmpx_ge_u32_e64 s20, v5
; %bb.51:
	v_add_nc_u32_e32 v5, s22, v19
	v_add_nc_u32_e32 v6, s38, v19
	s_delay_alu instid0(VALU_DEP_2) | instskip(NEXT) | instid1(VALU_DEP_2)
	v_mul_lo_u32 v5, v5, s21
	v_mul_lo_u32 v6, v6, s23
	s_delay_alu instid0(VALU_DEP_1) | instskip(NEXT) | instid1(VALU_DEP_1)
	v_sub_nc_u32_e32 v5, v5, v6
	v_cmp_lt_u32_e64 s0, s39, v5
	s_delay_alu instid0(VALU_DEP_1)
	s_and_b32 s3, s0, exec_lo
; %bb.52:
	s_or_b32 exec_lo, exec_lo, s5
	v_cndmask_b32_e64 v41, 0, 1, vcc_lo
	v_cndmask_b32_e64 v39, 0, 1, s3
.LBB1585_53:
	s_or_b32 exec_lo, exec_lo, s1
	v_dual_mov_b32 v42, 0 :: v_dual_add_nc_u32 v5, 4, v33
	v_mov_b32_e32 v43, 0
	s_mov_b32 s3, 0
	s_mov_b32 s1, exec_lo
	s_delay_alu instid0(VALU_DEP_2)
	v_cmpx_gt_u32_e64 s4, v5
	s_cbranch_execz .LBB1585_57
; %bb.54:
	v_add_nc_u32_e32 v5, s17, v16
	v_add_nc_u32_e32 v6, s19, v16
	s_mov_b32 s5, exec_lo
	s_delay_alu instid0(VALU_DEP_2) | instskip(NEXT) | instid1(VALU_DEP_2)
	v_mul_lo_u32 v5, v5, s16
	v_mul_lo_u32 v6, v6, s18
	s_delay_alu instid0(VALU_DEP_1) | instskip(NEXT) | instid1(VALU_DEP_1)
	v_sub_nc_u32_e32 v5, v5, v6
	v_cmp_lt_u32_e32 vcc_lo, s20, v5
	v_cmpx_ge_u32_e64 s20, v5
; %bb.55:
	v_add_nc_u32_e32 v5, s22, v16
	v_add_nc_u32_e32 v6, s38, v16
	s_delay_alu instid0(VALU_DEP_2) | instskip(NEXT) | instid1(VALU_DEP_2)
	v_mul_lo_u32 v5, v5, s21
	v_mul_lo_u32 v6, v6, s23
	s_delay_alu instid0(VALU_DEP_1) | instskip(NEXT) | instid1(VALU_DEP_1)
	v_sub_nc_u32_e32 v5, v5, v6
	v_cmp_lt_u32_e64 s0, s39, v5
	s_delay_alu instid0(VALU_DEP_1)
	s_and_b32 s3, s0, exec_lo
; %bb.56:
	s_or_b32 exec_lo, exec_lo, s5
	v_cndmask_b32_e64 v43, 0, 1, vcc_lo
	v_cndmask_b32_e64 v42, 0, 1, s3
.LBB1585_57:
	s_or_b32 exec_lo, exec_lo, s1
	v_dual_mov_b32 v44, 0 :: v_dual_add_nc_u32 v5, 5, v33
	v_mov_b32_e32 v45, 0
	s_mov_b32 s3, 0
	s_mov_b32 s1, exec_lo
	s_delay_alu instid0(VALU_DEP_2)
	;; [unrolled: 35-line block ×6, first 2 shown]
	v_cmpx_gt_u32_e64 s4, v5
	s_cbranch_execz .LBB1585_77
; %bb.74:
	v_add_nc_u32_e32 v5, s17, v13
	v_add_nc_u32_e32 v6, s19, v13
	s_mov_b32 s5, exec_lo
	s_delay_alu instid0(VALU_DEP_2) | instskip(NEXT) | instid1(VALU_DEP_2)
	v_mul_lo_u32 v5, v5, s16
	v_mul_lo_u32 v6, v6, s18
	s_delay_alu instid0(VALU_DEP_1) | instskip(NEXT) | instid1(VALU_DEP_1)
	v_sub_nc_u32_e32 v5, v5, v6
	v_cmp_lt_u32_e32 vcc_lo, s20, v5
	v_cmpx_ge_u32_e64 s20, v5
; %bb.75:
	v_add_nc_u32_e32 v5, s22, v13
	v_add_nc_u32_e32 v6, s38, v13
	s_delay_alu instid0(VALU_DEP_2) | instskip(NEXT) | instid1(VALU_DEP_2)
	v_mul_lo_u32 v5, v5, s21
	v_mul_lo_u32 v6, v6, s23
	s_delay_alu instid0(VALU_DEP_1) | instskip(NEXT) | instid1(VALU_DEP_1)
	v_sub_nc_u32_e32 v5, v5, v6
	v_cmp_lt_u32_e64 s0, s39, v5
	s_delay_alu instid0(VALU_DEP_1)
	s_and_b32 s3, s0, exec_lo
; %bb.76:
	s_or_b32 exec_lo, exec_lo, s5
	v_cndmask_b32_e64 v54, 0, 1, vcc_lo
	v_cndmask_b32_e64 v52, 0, 1, s3
.LBB1585_77:
	s_or_b32 exec_lo, exec_lo, s1
	v_add_nc_u32_e32 v5, 10, v33
	v_mov_b32_e32 v53, 0
	v_mov_b32_e32 v55, 0
	s_mov_b32 s3, 0
	s_mov_b32 s1, exec_lo
	v_cmpx_gt_u32_e64 s4, v5
	s_cbranch_execz .LBB1585_81
; %bb.78:
	v_add_nc_u32_e32 v5, s17, v10
	v_add_nc_u32_e32 v6, s19, v10
	s_mov_b32 s5, exec_lo
	s_delay_alu instid0(VALU_DEP_2) | instskip(NEXT) | instid1(VALU_DEP_2)
	v_mul_lo_u32 v5, v5, s16
	v_mul_lo_u32 v6, v6, s18
	s_delay_alu instid0(VALU_DEP_1) | instskip(NEXT) | instid1(VALU_DEP_1)
	v_sub_nc_u32_e32 v5, v5, v6
	v_cmp_lt_u32_e32 vcc_lo, s20, v5
	v_cmpx_ge_u32_e64 s20, v5
; %bb.79:
	v_add_nc_u32_e32 v5, s22, v10
	v_add_nc_u32_e32 v6, s38, v10
	s_delay_alu instid0(VALU_DEP_2) | instskip(NEXT) | instid1(VALU_DEP_2)
	v_mul_lo_u32 v5, v5, s21
	v_mul_lo_u32 v6, v6, s23
	s_delay_alu instid0(VALU_DEP_1) | instskip(NEXT) | instid1(VALU_DEP_1)
	v_sub_nc_u32_e32 v5, v5, v6
	v_cmp_lt_u32_e64 s0, s39, v5
	s_delay_alu instid0(VALU_DEP_1)
	s_and_b32 s3, s0, exec_lo
; %bb.80:
	s_or_b32 exec_lo, exec_lo, s5
	v_cndmask_b32_e64 v55, 0, 1, vcc_lo
	v_cndmask_b32_e64 v53, 0, 1, s3
.LBB1585_81:
	s_or_b32 exec_lo, exec_lo, s1
	v_dual_mov_b32 v56, 0 :: v_dual_add_nc_u32 v5, 11, v33
	v_mov_b32_e32 v57, 0
	s_mov_b32 s3, 0
	s_mov_b32 s1, exec_lo
	s_delay_alu instid0(VALU_DEP_2)
	v_cmpx_gt_u32_e64 s4, v5
	s_cbranch_execz .LBB1585_85
; %bb.82:
	v_add_nc_u32_e32 v5, s17, v11
	v_add_nc_u32_e32 v6, s19, v11
	s_mov_b32 s5, exec_lo
	s_delay_alu instid0(VALU_DEP_2) | instskip(NEXT) | instid1(VALU_DEP_2)
	v_mul_lo_u32 v5, v5, s16
	v_mul_lo_u32 v6, v6, s18
	s_delay_alu instid0(VALU_DEP_1) | instskip(NEXT) | instid1(VALU_DEP_1)
	v_sub_nc_u32_e32 v5, v5, v6
	v_cmp_lt_u32_e32 vcc_lo, s20, v5
	v_cmpx_ge_u32_e64 s20, v5
; %bb.83:
	v_add_nc_u32_e32 v5, s22, v11
	v_add_nc_u32_e32 v6, s38, v11
	s_delay_alu instid0(VALU_DEP_2) | instskip(NEXT) | instid1(VALU_DEP_2)
	v_mul_lo_u32 v5, v5, s21
	v_mul_lo_u32 v6, v6, s23
	s_delay_alu instid0(VALU_DEP_1) | instskip(NEXT) | instid1(VALU_DEP_1)
	v_sub_nc_u32_e32 v5, v5, v6
	v_cmp_lt_u32_e64 s0, s39, v5
	s_delay_alu instid0(VALU_DEP_1)
	s_and_b32 s3, s0, exec_lo
; %bb.84:
	s_or_b32 exec_lo, exec_lo, s5
	v_cndmask_b32_e64 v56, 0, 1, vcc_lo
	v_cndmask_b32_e64 v57, 0, 1, s3
.LBB1585_85:
	s_or_b32 exec_lo, exec_lo, s1
	v_add_nc_u32_e32 v5, 12, v33
	s_mov_b32 s27, 0
	s_mov_b32 s33, 0
	s_mov_b32 s0, exec_lo
	s_delay_alu instid0(VALU_DEP_1)
	v_cmpx_gt_u32_e64 s4, v5
	s_cbranch_execz .LBB1585_89
; %bb.86:
	v_add_nc_u32_e32 v5, s17, v32
	v_add_nc_u32_e32 v6, s19, v32
	s_mov_b32 s3, -1
	s_mov_b32 s5, 0
	s_mov_b32 s1, exec_lo
	v_mul_lo_u32 v5, v5, s16
	v_mul_lo_u32 v6, v6, s18
	s_delay_alu instid0(VALU_DEP_1) | instskip(NEXT) | instid1(VALU_DEP_1)
	v_sub_nc_u32_e32 v5, v5, v6
	v_cmpx_ge_u32_e64 s20, v5
; %bb.87:
	v_add_nc_u32_e32 v5, s22, v32
	v_add_nc_u32_e32 v6, s38, v32
	s_xor_b32 s3, exec_lo, -1
	s_delay_alu instid0(VALU_DEP_2) | instskip(NEXT) | instid1(VALU_DEP_2)
	v_mul_lo_u32 v5, v5, s21
	v_mul_lo_u32 v6, v6, s23
	s_delay_alu instid0(VALU_DEP_1) | instskip(NEXT) | instid1(VALU_DEP_1)
	v_sub_nc_u32_e32 v5, v5, v6
	v_cmp_lt_u32_e32 vcc_lo, s39, v5
	s_and_b32 s5, vcc_lo, exec_lo
; %bb.88:
	s_or_b32 exec_lo, exec_lo, s1
	s_delay_alu instid0(SALU_CYCLE_1)
	s_and_b32 s33, s5, exec_lo
	s_and_b32 s27, s3, exec_lo
.LBB1585_89:
	s_or_b32 exec_lo, exec_lo, s0
.LBB1585_90:
	v_and_b32_e32 v80, 0xff, v34
	v_and_b32_e32 v81, 0xff, v35
	;; [unrolled: 1-line block ×10, first 2 shown]
	v_add3_u32 v5, v76, v78, v80
	v_add3_u32 v6, v77, v79, v81
	v_and_b32_e32 v70, 0xff, v45
	v_and_b32_e32 v71, 0xff, v44
	v_and_b32_e32 v64, 0xff, v47
	v_and_b32_e32 v65, 0xff, v46
	v_add3_u32 v5, v5, v74, v72
	v_add3_u32 v6, v6, v75, v73
	v_and_b32_e32 v68, 0xff, v49
	v_and_b32_e32 v69, 0xff, v48
	v_and_b32_e32 v66, 0xff, v51
	v_and_b32_e32 v67, 0xff, v50
	;; [unrolled: 6-line block ×3, first 2 shown]
	v_add3_u32 v5, v5, v68, v66
	v_add3_u32 v6, v6, v69, v67
	v_mbcnt_lo_u32_b32 v82, -1, 0
	v_and_b32_e32 v58, 0xff, v56
	v_and_b32_e32 v59, 0xff, v57
	v_cndmask_b32_e64 v7, 0, 1, s33
	v_add3_u32 v5, v5, v61, v60
	v_cndmask_b32_e64 v8, 0, 1, s27
	v_add3_u32 v6, v6, v62, v63
	v_and_b32_e32 v86, 15, v82
	v_and_b32_e32 v85, 16, v82
	v_lshrrev_b32_e32 v83, 5, v0
	v_add3_u32 v87, v5, v58, v8
	v_add3_u32 v88, v6, v59, v7
	v_cmp_eq_u32_e64 s1, 0, v86
	v_cmp_lt_u32_e64 s0, 1, v86
	v_cmp_lt_u32_e64 s3, 3, v86
	v_cmp_lt_u32_e32 vcc_lo, 7, v86
	v_or_b32_e32 v84, 31, v0
	s_cmp_lg_u32 s26, 0
	s_mov_b32 s5, -1
	s_cbranch_scc0 .LBB1585_123
; %bb.91:
	v_mov_b32_dpp v5, v88 row_shr:1 row_mask:0xf bank_mask:0xf
	v_mov_b32_dpp v6, v87 row_shr:1 row_mask:0xf bank_mask:0xf
	s_delay_alu instid0(VALU_DEP_2) | instskip(NEXT) | instid1(VALU_DEP_2)
	v_add_nc_u32_e32 v5, v5, v88
	v_add_nc_u32_e32 v6, v6, v87
	s_delay_alu instid0(VALU_DEP_2) | instskip(NEXT) | instid1(VALU_DEP_2)
	v_cndmask_b32_e64 v5, v5, v88, s1
	v_cndmask_b32_e64 v6, v6, v87, s1
	s_delay_alu instid0(VALU_DEP_2) | instskip(NEXT) | instid1(VALU_DEP_2)
	v_mov_b32_dpp v7, v5 row_shr:2 row_mask:0xf bank_mask:0xf
	v_mov_b32_dpp v8, v6 row_shr:2 row_mask:0xf bank_mask:0xf
	s_delay_alu instid0(VALU_DEP_2) | instskip(NEXT) | instid1(VALU_DEP_1)
	v_add_nc_u32_e32 v7, v5, v7
	v_cndmask_b32_e64 v5, v5, v7, s0
	s_delay_alu instid0(VALU_DEP_1) | instskip(NEXT) | instid1(VALU_DEP_1)
	v_mov_b32_dpp v7, v5 row_shr:4 row_mask:0xf bank_mask:0xf
	v_add_nc_u32_e32 v7, v5, v7
	s_delay_alu instid0(VALU_DEP_1) | instskip(NEXT) | instid1(VALU_DEP_1)
	v_cndmask_b32_e64 v5, v5, v7, s3
	v_mov_b32_dpp v7, v5 row_shr:8 row_mask:0xf bank_mask:0xf
	s_delay_alu instid0(VALU_DEP_1) | instskip(NEXT) | instid1(VALU_DEP_1)
	v_add_nc_u32_e32 v7, v5, v7
	v_dual_cndmask_b32 v5, v5, v7 :: v_dual_add_nc_u32 v8, v6, v8
	s_delay_alu instid0(VALU_DEP_1) | instskip(NEXT) | instid1(VALU_DEP_1)
	v_cndmask_b32_e64 v6, v6, v8, s0
	v_mov_b32_dpp v8, v6 row_shr:4 row_mask:0xf bank_mask:0xf
	s_delay_alu instid0(VALU_DEP_1) | instskip(NEXT) | instid1(VALU_DEP_1)
	v_add_nc_u32_e32 v8, v6, v8
	v_cndmask_b32_e64 v6, v6, v8, s3
	s_mov_b32 s3, exec_lo
	s_delay_alu instid0(VALU_DEP_1) | instskip(NEXT) | instid1(VALU_DEP_1)
	v_mov_b32_dpp v8, v6 row_shr:8 row_mask:0xf bank_mask:0xf
	v_add_nc_u32_e32 v8, v6, v8
	s_delay_alu instid0(VALU_DEP_1)
	v_cndmask_b32_e32 v7, v6, v8, vcc_lo
	ds_swizzle_b32 v6, v5 offset:swizzle(BROADCAST,32,15)
	v_cmp_eq_u32_e32 vcc_lo, 0, v85
	s_waitcnt lgkmcnt(0)
	v_add_nc_u32_e32 v6, v5, v6
	ds_swizzle_b32 v8, v7 offset:swizzle(BROADCAST,32,15)
	v_cndmask_b32_e32 v6, v6, v5, vcc_lo
	s_waitcnt lgkmcnt(0)
	v_add_nc_u32_e32 v8, v7, v8
	s_delay_alu instid0(VALU_DEP_1)
	v_cndmask_b32_e32 v5, v8, v7, vcc_lo
	v_cmpx_eq_u32_e64 v84, v0
	s_cbranch_execz .LBB1585_93
; %bb.92:
	v_lshlrev_b32_e32 v7, 3, v83
	ds_store_b64 v7, v[5:6]
.LBB1585_93:
	s_or_b32 exec_lo, exec_lo, s3
	s_delay_alu instid0(SALU_CYCLE_1)
	s_mov_b32 s3, exec_lo
	s_waitcnt lgkmcnt(0)
	s_barrier
	buffer_gl0_inv
	v_cmpx_gt_u32_e32 8, v0
	s_cbranch_execz .LBB1585_95
; %bb.94:
	v_lshlrev_b32_e32 v9, 3, v0
	ds_load_b64 v[7:8], v9
	s_waitcnt lgkmcnt(0)
	v_mov_b32_dpp v22, v7 row_shr:1 row_mask:0xf bank_mask:0xf
	v_mov_b32_dpp v23, v8 row_shr:1 row_mask:0xf bank_mask:0xf
	s_delay_alu instid0(VALU_DEP_2) | instskip(SKIP_1) | instid1(VALU_DEP_3)
	v_add_nc_u32_e32 v22, v22, v7
	v_and_b32_e32 v24, 7, v82
	v_add_nc_u32_e32 v23, v23, v8
	s_delay_alu instid0(VALU_DEP_2) | instskip(NEXT) | instid1(VALU_DEP_2)
	v_cmp_eq_u32_e32 vcc_lo, 0, v24
	v_dual_cndmask_b32 v8, v23, v8 :: v_dual_cndmask_b32 v7, v22, v7
	v_cmp_lt_u32_e32 vcc_lo, 1, v24
	s_delay_alu instid0(VALU_DEP_2) | instskip(NEXT) | instid1(VALU_DEP_3)
	v_mov_b32_dpp v23, v8 row_shr:2 row_mask:0xf bank_mask:0xf
	v_mov_b32_dpp v22, v7 row_shr:2 row_mask:0xf bank_mask:0xf
	s_delay_alu instid0(VALU_DEP_2) | instskip(NEXT) | instid1(VALU_DEP_2)
	v_add_nc_u32_e32 v23, v8, v23
	v_add_nc_u32_e32 v22, v7, v22
	s_delay_alu instid0(VALU_DEP_1) | instskip(SKIP_1) | instid1(VALU_DEP_2)
	v_dual_cndmask_b32 v8, v8, v23 :: v_dual_cndmask_b32 v7, v7, v22
	v_cmp_lt_u32_e32 vcc_lo, 3, v24
	v_mov_b32_dpp v23, v8 row_shr:4 row_mask:0xf bank_mask:0xf
	s_delay_alu instid0(VALU_DEP_3) | instskip(NEXT) | instid1(VALU_DEP_1)
	v_mov_b32_dpp v22, v7 row_shr:4 row_mask:0xf bank_mask:0xf
	v_dual_cndmask_b32 v23, 0, v23 :: v_dual_cndmask_b32 v22, 0, v22
	s_delay_alu instid0(VALU_DEP_1) | instskip(NEXT) | instid1(VALU_DEP_2)
	v_add_nc_u32_e32 v8, v23, v8
	v_add_nc_u32_e32 v7, v22, v7
	ds_store_b64 v9, v[7:8]
.LBB1585_95:
	s_or_b32 exec_lo, exec_lo, s3
	v_cmp_gt_u32_e32 vcc_lo, 32, v0
	v_cmp_lt_u32_e64 s3, 31, v0
	s_waitcnt lgkmcnt(0)
	s_barrier
	buffer_gl0_inv
                                        ; implicit-def: $vgpr23
	s_and_saveexec_b32 s5, s3
	s_delay_alu instid0(SALU_CYCLE_1)
	s_xor_b32 s3, exec_lo, s5
	s_cbranch_execz .LBB1585_97
; %bb.96:
	v_lshl_add_u32 v7, v83, 3, -8
	ds_load_b64 v[22:23], v7
	s_waitcnt lgkmcnt(0)
	v_add_nc_u32_e32 v6, v23, v6
	v_add_nc_u32_e32 v5, v22, v5
.LBB1585_97:
	s_and_not1_saveexec_b32 s3, s3
; %bb.98:
                                        ; implicit-def: $vgpr22
; %bb.99:
	s_delay_alu instid0(SALU_CYCLE_1) | instskip(SKIP_1) | instid1(VALU_DEP_1)
	s_or_b32 exec_lo, exec_lo, s3
	v_add_nc_u32_e32 v7, -1, v82
	v_cmp_gt_i32_e64 s3, 0, v7
	s_delay_alu instid0(VALU_DEP_1) | instskip(SKIP_1) | instid1(VALU_DEP_2)
	v_cndmask_b32_e64 v7, v7, v82, s3
	v_cmp_eq_u32_e64 s3, 0, v82
	v_lshlrev_b32_e32 v7, 2, v7
	ds_bpermute_b32 v89, v7, v5
	ds_bpermute_b32 v90, v7, v6
	s_and_saveexec_b32 s5, vcc_lo
	s_cbranch_execz .LBB1585_122
; %bb.100:
	v_mov_b32_e32 v8, 0
	ds_load_b64 v[5:6], v8 offset:56
	s_waitcnt lgkmcnt(0)
	v_readfirstlane_b32 s6, v6
	s_and_saveexec_b32 s7, s3
	s_cbranch_execz .LBB1585_102
; %bb.101:
	s_add_i32 s8, s26, 32
	s_mov_b32 s9, 0
	v_mov_b32_e32 v7, 1
	s_lshl_b64 s[10:11], s[8:9], 4
	s_mov_b32 s16, s9
	s_add_u32 s10, s36, s10
	s_addc_u32 s11, s37, s11
	s_and_b32 s17, s6, 0xff000000
	s_and_b32 s19, s6, 0xff0000
	s_mov_b32 s18, s9
	v_dual_mov_b32 v25, s11 :: v_dual_mov_b32 v24, s10
	s_or_b64 s[16:17], s[18:19], s[16:17]
	s_and_b32 s19, s6, 0xff00
	s_delay_alu instid0(SALU_CYCLE_1) | instskip(SKIP_1) | instid1(SALU_CYCLE_1)
	s_or_b64 s[16:17], s[16:17], s[18:19]
	s_and_b32 s19, s6, 0xff
	s_or_b64 s[8:9], s[16:17], s[18:19]
	s_delay_alu instid0(SALU_CYCLE_1)
	v_mov_b32_e32 v6, s9
	;;#ASMSTART
	global_store_dwordx4 v[24:25], v[5:8] off	
s_waitcnt vmcnt(0)
	;;#ASMEND
.LBB1585_102:
	s_or_b32 exec_lo, exec_lo, s7
	v_xad_u32 v24, v82, -1, s26
	s_mov_b32 s8, 0
	s_mov_b32 s7, exec_lo
	s_delay_alu instid0(VALU_DEP_1) | instskip(NEXT) | instid1(VALU_DEP_1)
	v_add_nc_u32_e32 v7, 32, v24
	v_lshlrev_b64 v[6:7], 4, v[7:8]
	s_delay_alu instid0(VALU_DEP_1) | instskip(NEXT) | instid1(VALU_DEP_2)
	v_add_co_u32 v25, vcc_lo, s36, v6
	v_add_co_ci_u32_e32 v26, vcc_lo, s37, v7, vcc_lo
	;;#ASMSTART
	global_load_dwordx4 v[6:9], v[25:26] off glc	
s_waitcnt vmcnt(0)
	;;#ASMEND
	v_and_b32_e32 v9, 0xff, v7
	v_and_b32_e32 v27, 0xff00, v7
	v_or3_b32 v6, v6, 0, 0
	v_and_b32_e32 v28, 0xff000000, v7
	v_and_b32_e32 v7, 0xff0000, v7
	s_delay_alu instid0(VALU_DEP_4) | instskip(SKIP_2) | instid1(VALU_DEP_3)
	v_or3_b32 v9, 0, v9, v27
	v_and_b32_e32 v27, 0xff, v8
	v_or3_b32 v6, v6, 0, 0
	v_or3_b32 v7, v9, v7, v28
	s_delay_alu instid0(VALU_DEP_3)
	v_cmpx_eq_u16_e32 0, v27
	s_cbranch_execz .LBB1585_108
; %bb.103:
	s_mov_b32 s9, 1
	.p2align	6
.LBB1585_104:                           ; =>This Loop Header: Depth=1
                                        ;     Child Loop BB1585_105 Depth 2
	s_delay_alu instid0(SALU_CYCLE_1)
	s_max_u32 s10, s9, 1
.LBB1585_105:                           ;   Parent Loop BB1585_104 Depth=1
                                        ; =>  This Inner Loop Header: Depth=2
	s_delay_alu instid0(SALU_CYCLE_1)
	s_add_i32 s10, s10, -1
	s_sleep 1
	s_cmp_eq_u32 s10, 0
	s_cbranch_scc0 .LBB1585_105
; %bb.106:                              ;   in Loop: Header=BB1585_104 Depth=1
	;;#ASMSTART
	global_load_dwordx4 v[6:9], v[25:26] off glc	
s_waitcnt vmcnt(0)
	;;#ASMEND
	v_and_b32_e32 v9, 0xff, v8
	s_cmp_lt_u32 s9, 32
	s_cselect_b32 s10, -1, 0
	s_delay_alu instid0(SALU_CYCLE_1) | instskip(NEXT) | instid1(VALU_DEP_1)
	s_cmp_lg_u32 s10, 0
	v_cmp_ne_u16_e32 vcc_lo, 0, v9
	s_addc_u32 s9, s9, 0
	s_or_b32 s8, vcc_lo, s8
	s_delay_alu instid0(SALU_CYCLE_1)
	s_and_not1_b32 exec_lo, exec_lo, s8
	s_cbranch_execnz .LBB1585_104
; %bb.107:
	s_or_b32 exec_lo, exec_lo, s8
.LBB1585_108:
	s_delay_alu instid0(SALU_CYCLE_1) | instskip(SKIP_3) | instid1(VALU_DEP_1)
	s_or_b32 exec_lo, exec_lo, s7
	v_cmp_ne_u32_e32 vcc_lo, 31, v82
	v_lshlrev_b32_e64 v92, v82, -1
	v_add_co_ci_u32_e32 v9, vcc_lo, 0, v82, vcc_lo
	v_lshlrev_b32_e32 v91, 2, v9
	ds_bpermute_b32 v25, v91, v7
	ds_bpermute_b32 v9, v91, v6
	s_waitcnt lgkmcnt(1)
	v_add_nc_u32_e32 v25, v25, v7
	v_and_b32_e32 v26, 0xff, v8
	s_waitcnt lgkmcnt(0)
	v_add_nc_u32_e32 v9, v9, v6
	s_delay_alu instid0(VALU_DEP_2) | instskip(SKIP_2) | instid1(VALU_DEP_2)
	v_cmp_eq_u16_e32 vcc_lo, 2, v26
	v_and_or_b32 v26, vcc_lo, v92, 0x80000000
	v_cmp_gt_u32_e32 vcc_lo, 30, v82
	v_ctz_i32_b32_e32 v26, v26
	v_cndmask_b32_e64 v27, 0, 1, vcc_lo
	s_delay_alu instid0(VALU_DEP_2) | instskip(NEXT) | instid1(VALU_DEP_2)
	v_cmp_lt_u32_e32 vcc_lo, v82, v26
	v_dual_cndmask_b32 v6, v6, v9 :: v_dual_lshlrev_b32 v27, 1, v27
	s_delay_alu instid0(VALU_DEP_1)
	v_add_lshl_u32 v93, v27, v82, 2
	v_cndmask_b32_e32 v7, v7, v25, vcc_lo
	v_cmp_gt_u32_e32 vcc_lo, 28, v82
	ds_bpermute_b32 v9, v93, v6
	ds_bpermute_b32 v25, v93, v7
	v_cndmask_b32_e64 v27, 0, 1, vcc_lo
	s_waitcnt lgkmcnt(1)
	v_add_nc_u32_e32 v9, v6, v9
	s_waitcnt lgkmcnt(0)
	v_add_nc_u32_e32 v25, v7, v25
	v_add_nc_u32_e32 v94, 2, v82
	s_delay_alu instid0(VALU_DEP_1) | instskip(NEXT) | instid1(VALU_DEP_3)
	v_cmp_gt_u32_e32 vcc_lo, v94, v26
	v_cndmask_b32_e32 v7, v25, v7, vcc_lo
	v_dual_cndmask_b32 v6, v9, v6 :: v_dual_lshlrev_b32 v27, 2, v27
	v_cmp_gt_u32_e32 vcc_lo, 24, v82
	s_delay_alu instid0(VALU_DEP_2) | instskip(SKIP_4) | instid1(VALU_DEP_1)
	v_add_lshl_u32 v95, v27, v82, 2
	v_cndmask_b32_e64 v27, 0, 1, vcc_lo
	ds_bpermute_b32 v25, v95, v7
	ds_bpermute_b32 v9, v95, v6
	v_lshlrev_b32_e32 v27, 3, v27
	v_add_lshl_u32 v97, v27, v82, 2
	s_waitcnt lgkmcnt(1)
	v_add_nc_u32_e32 v25, v7, v25
	v_add_nc_u32_e32 v96, 4, v82
	s_waitcnt lgkmcnt(0)
	v_add_nc_u32_e32 v9, v6, v9
	s_delay_alu instid0(VALU_DEP_2) | instskip(SKIP_1) | instid1(VALU_DEP_3)
	v_cmp_gt_u32_e32 vcc_lo, v96, v26
	v_cndmask_b32_e32 v7, v25, v7, vcc_lo
	v_cndmask_b32_e32 v6, v9, v6, vcc_lo
	v_cmp_gt_u32_e32 vcc_lo, 16, v82
	ds_bpermute_b32 v25, v97, v7
	ds_bpermute_b32 v9, v97, v6
	v_cndmask_b32_e64 v27, 0, 1, vcc_lo
	s_delay_alu instid0(VALU_DEP_1) | instskip(NEXT) | instid1(VALU_DEP_1)
	v_lshlrev_b32_e32 v27, 4, v27
	v_add_lshl_u32 v99, v27, v82, 2
	s_waitcnt lgkmcnt(1)
	v_add_nc_u32_e32 v25, v7, v25
	v_add_nc_u32_e32 v98, 8, v82
	s_waitcnt lgkmcnt(0)
	v_add_nc_u32_e32 v9, v6, v9
	s_delay_alu instid0(VALU_DEP_2) | instskip(SKIP_1) | instid1(VALU_DEP_3)
	v_cmp_gt_u32_e32 vcc_lo, v98, v26
	v_cndmask_b32_e32 v7, v25, v7, vcc_lo
	v_cndmask_b32_e32 v6, v9, v6, vcc_lo
	ds_bpermute_b32 v25, v99, v7
	ds_bpermute_b32 v9, v99, v6
	v_add_nc_u32_e32 v100, 16, v82
	s_delay_alu instid0(VALU_DEP_1) | instskip(SKIP_2) | instid1(VALU_DEP_1)
	v_cmp_le_u32_e32 vcc_lo, v100, v26
	s_waitcnt lgkmcnt(0)
	v_cndmask_b32_e32 v9, 0, v9, vcc_lo
	v_dual_cndmask_b32 v25, 0, v25 :: v_dual_add_nc_u32 v6, v9, v6
	s_delay_alu instid0(VALU_DEP_1)
	v_add_nc_u32_e32 v7, v25, v7
	v_mov_b32_e32 v25, 0
	s_branch .LBB1585_110
.LBB1585_109:                           ;   in Loop: Header=BB1585_110 Depth=1
	s_or_b32 exec_lo, exec_lo, s7
	ds_bpermute_b32 v9, v91, v6
	ds_bpermute_b32 v28, v91, v7
	v_subrev_nc_u32_e32 v24, 32, v24
	s_waitcnt lgkmcnt(1)
	v_add_nc_u32_e32 v9, v9, v6
	v_and_b32_e32 v29, 0xff, v8
	s_waitcnt lgkmcnt(0)
	v_add_nc_u32_e32 v28, v28, v7
	s_delay_alu instid0(VALU_DEP_2) | instskip(SKIP_1) | instid1(VALU_DEP_1)
	v_cmp_eq_u16_e32 vcc_lo, 2, v29
	v_and_or_b32 v29, vcc_lo, v92, 0x80000000
	v_ctz_i32_b32_e32 v29, v29
	s_delay_alu instid0(VALU_DEP_1)
	v_cmp_lt_u32_e32 vcc_lo, v82, v29
	v_cndmask_b32_e32 v6, v6, v9, vcc_lo
	ds_bpermute_b32 v9, v93, v6
	s_waitcnt lgkmcnt(0)
	v_add_nc_u32_e32 v9, v6, v9
	v_cndmask_b32_e32 v7, v7, v28, vcc_lo
	v_cmp_gt_u32_e32 vcc_lo, v94, v29
	s_delay_alu instid0(VALU_DEP_3)
	v_cndmask_b32_e32 v6, v9, v6, vcc_lo
	ds_bpermute_b32 v28, v93, v7
	ds_bpermute_b32 v9, v95, v6
	s_waitcnt lgkmcnt(1)
	v_add_nc_u32_e32 v28, v7, v28
	s_waitcnt lgkmcnt(0)
	v_add_nc_u32_e32 v9, v6, v9
	s_delay_alu instid0(VALU_DEP_2) | instskip(SKIP_1) | instid1(VALU_DEP_3)
	v_cndmask_b32_e32 v7, v28, v7, vcc_lo
	v_cmp_gt_u32_e32 vcc_lo, v96, v29
	v_cndmask_b32_e32 v6, v9, v6, vcc_lo
	ds_bpermute_b32 v28, v95, v7
	ds_bpermute_b32 v9, v97, v6
	s_waitcnt lgkmcnt(1)
	v_add_nc_u32_e32 v28, v7, v28
	s_waitcnt lgkmcnt(0)
	v_add_nc_u32_e32 v9, v6, v9
	s_delay_alu instid0(VALU_DEP_2) | instskip(SKIP_1) | instid1(VALU_DEP_3)
	v_cndmask_b32_e32 v7, v28, v7, vcc_lo
	v_cmp_gt_u32_e32 vcc_lo, v98, v29
	v_cndmask_b32_e32 v6, v9, v6, vcc_lo
	ds_bpermute_b32 v28, v97, v7
	ds_bpermute_b32 v9, v99, v6
	s_waitcnt lgkmcnt(1)
	v_add_nc_u32_e32 v28, v7, v28
	s_delay_alu instid0(VALU_DEP_1) | instskip(SKIP_4) | instid1(VALU_DEP_1)
	v_cndmask_b32_e32 v7, v28, v7, vcc_lo
	v_cmp_le_u32_e32 vcc_lo, v100, v29
	ds_bpermute_b32 v28, v99, v7
	s_waitcnt lgkmcnt(1)
	v_cndmask_b32_e32 v9, 0, v9, vcc_lo
	v_add3_u32 v6, v6, v26, v9
	s_waitcnt lgkmcnt(0)
	v_cndmask_b32_e32 v28, 0, v28, vcc_lo
	s_delay_alu instid0(VALU_DEP_1)
	v_add3_u32 v7, v7, v27, v28
.LBB1585_110:                           ; =>This Loop Header: Depth=1
                                        ;     Child Loop BB1585_113 Depth 2
                                        ;       Child Loop BB1585_114 Depth 3
	s_delay_alu instid0(VALU_DEP_1) | instskip(SKIP_1) | instid1(VALU_DEP_2)
	v_dual_mov_b32 v27, v7 :: v_dual_and_b32 v8, 0xff, v8
	v_mov_b32_e32 v26, v6
	v_cmp_ne_u16_e32 vcc_lo, 2, v8
	v_cndmask_b32_e64 v8, 0, 1, vcc_lo
	;;#ASMSTART
	;;#ASMEND
	s_delay_alu instid0(VALU_DEP_1)
	v_cmp_ne_u32_e32 vcc_lo, 0, v8
	s_cmp_lg_u32 vcc_lo, exec_lo
	s_cbranch_scc1 .LBB1585_117
; %bb.111:                              ;   in Loop: Header=BB1585_110 Depth=1
	v_lshlrev_b64 v[6:7], 4, v[24:25]
	s_mov_b32 s7, exec_lo
	s_delay_alu instid0(VALU_DEP_1) | instskip(NEXT) | instid1(VALU_DEP_2)
	v_add_co_u32 v28, vcc_lo, s36, v6
	v_add_co_ci_u32_e32 v29, vcc_lo, s37, v7, vcc_lo
	;;#ASMSTART
	global_load_dwordx4 v[6:9], v[28:29] off glc	
s_waitcnt vmcnt(0)
	;;#ASMEND
	v_and_b32_e32 v9, 0xff, v7
	v_and_b32_e32 v101, 0xff00, v7
	v_or3_b32 v6, v6, 0, 0
	v_and_b32_e32 v102, 0xff000000, v7
	v_and_b32_e32 v7, 0xff0000, v7
	s_delay_alu instid0(VALU_DEP_4) | instskip(SKIP_2) | instid1(VALU_DEP_3)
	v_or3_b32 v9, 0, v9, v101
	v_and_b32_e32 v101, 0xff, v8
	v_or3_b32 v6, v6, 0, 0
	v_or3_b32 v7, v9, v7, v102
	s_delay_alu instid0(VALU_DEP_3)
	v_cmpx_eq_u16_e32 0, v101
	s_cbranch_execz .LBB1585_109
; %bb.112:                              ;   in Loop: Header=BB1585_110 Depth=1
	s_mov_b32 s9, 1
	s_mov_b32 s8, 0
	.p2align	6
.LBB1585_113:                           ;   Parent Loop BB1585_110 Depth=1
                                        ; =>  This Loop Header: Depth=2
                                        ;       Child Loop BB1585_114 Depth 3
	s_max_u32 s10, s9, 1
.LBB1585_114:                           ;   Parent Loop BB1585_110 Depth=1
                                        ;     Parent Loop BB1585_113 Depth=2
                                        ; =>    This Inner Loop Header: Depth=3
	s_delay_alu instid0(SALU_CYCLE_1)
	s_add_i32 s10, s10, -1
	s_sleep 1
	s_cmp_eq_u32 s10, 0
	s_cbranch_scc0 .LBB1585_114
; %bb.115:                              ;   in Loop: Header=BB1585_113 Depth=2
	;;#ASMSTART
	global_load_dwordx4 v[6:9], v[28:29] off glc	
s_waitcnt vmcnt(0)
	;;#ASMEND
	v_and_b32_e32 v9, 0xff, v8
	s_cmp_lt_u32 s9, 32
	s_cselect_b32 s10, -1, 0
	s_delay_alu instid0(SALU_CYCLE_1) | instskip(NEXT) | instid1(VALU_DEP_1)
	s_cmp_lg_u32 s10, 0
	v_cmp_ne_u16_e32 vcc_lo, 0, v9
	s_addc_u32 s9, s9, 0
	s_or_b32 s8, vcc_lo, s8
	s_delay_alu instid0(SALU_CYCLE_1)
	s_and_not1_b32 exec_lo, exec_lo, s8
	s_cbranch_execnz .LBB1585_113
; %bb.116:                              ;   in Loop: Header=BB1585_110 Depth=1
	s_or_b32 exec_lo, exec_lo, s8
	s_branch .LBB1585_109
.LBB1585_117:                           ;   in Loop: Header=BB1585_110 Depth=1
                                        ; implicit-def: $vgpr8
                                        ; implicit-def: $vgpr6_vgpr7
	s_cbranch_execz .LBB1585_110
; %bb.118:
	s_and_saveexec_b32 s7, s3
	s_cbranch_execnz .LBB1585_361
; %bb.119:
	s_or_b32 exec_lo, exec_lo, s7
	s_and_saveexec_b32 s7, s3
	s_cbranch_execnz .LBB1585_362
.LBB1585_120:
	s_or_b32 exec_lo, exec_lo, s7
	s_delay_alu instid0(SALU_CYCLE_1)
	s_and_b32 exec_lo, exec_lo, s2
	s_cbranch_execz .LBB1585_122
.LBB1585_121:
	v_mov_b32_e32 v5, 0
	ds_store_b64 v5, v[26:27] offset:56
.LBB1585_122:
	s_or_b32 exec_lo, exec_lo, s5
	s_waitcnt lgkmcnt(1)
	v_cndmask_b32_e64 v22, v89, v22, s3
	v_mov_b32_e32 v5, 0
	s_waitcnt lgkmcnt(0)
	s_barrier
	buffer_gl0_inv
	v_add_nc_u32_e64 v7, 0x3400, 0
	ds_load_b64 v[24:25], v5 offset:56
	s_waitcnt lgkmcnt(0)
	s_barrier
	buffer_gl0_inv
	ds_load_2addr_b32 v[5:6], v7 offset1:2
	ds_load_2addr_b32 v[7:8], v7 offset0:4 offset1:6
	v_cndmask_b32_e64 v9, v90, v23, s3
	v_add_nc_u32_e32 v22, v24, v22
	s_delay_alu instid0(VALU_DEP_2) | instskip(NEXT) | instid1(VALU_DEP_2)
	v_add_nc_u32_e32 v9, v25, v9
	v_cndmask_b32_e64 v22, v22, v24, s2
	s_delay_alu instid0(VALU_DEP_2)
	v_cndmask_b32_e64 v9, v9, v25, s2
	s_branch .LBB1585_133
.LBB1585_123:
                                        ; implicit-def: $vgpr9
                                        ; implicit-def: $vgpr7
                                        ; implicit-def: $vgpr5
                                        ; implicit-def: $vgpr22_vgpr23
	s_and_b32 vcc_lo, exec_lo, s5
	s_cbranch_vccz .LBB1585_133
; %bb.124:
	s_waitcnt lgkmcnt(1)
	v_mov_b32_dpp v6, v88 row_shr:1 row_mask:0xf bank_mask:0xf
	v_cmp_lt_u32_e32 vcc_lo, 3, v86
	v_mov_b32_dpp v5, v87 row_shr:1 row_mask:0xf bank_mask:0xf
	s_delay_alu instid0(VALU_DEP_3) | instskip(NEXT) | instid1(VALU_DEP_1)
	v_add_nc_u32_e32 v6, v6, v88
	v_cndmask_b32_e64 v6, v6, v88, s1
	s_waitcnt lgkmcnt(0)
	s_delay_alu instid0(VALU_DEP_1) | instskip(NEXT) | instid1(VALU_DEP_1)
	v_mov_b32_dpp v8, v6 row_shr:2 row_mask:0xf bank_mask:0xf
	v_add_nc_u32_e32 v8, v6, v8
	s_delay_alu instid0(VALU_DEP_1) | instskip(NEXT) | instid1(VALU_DEP_1)
	v_cndmask_b32_e64 v6, v6, v8, s0
	v_mov_b32_dpp v8, v6 row_shr:4 row_mask:0xf bank_mask:0xf
	s_delay_alu instid0(VALU_DEP_1) | instskip(NEXT) | instid1(VALU_DEP_1)
	v_add_nc_u32_e32 v8, v6, v8
	v_dual_cndmask_b32 v6, v6, v8 :: v_dual_add_nc_u32 v5, v5, v87
	s_delay_alu instid0(VALU_DEP_1) | instskip(NEXT) | instid1(VALU_DEP_2)
	v_cndmask_b32_e64 v5, v5, v87, s1
	v_mov_b32_dpp v8, v6 row_shr:8 row_mask:0xf bank_mask:0xf
	s_delay_alu instid0(VALU_DEP_2) | instskip(NEXT) | instid1(VALU_DEP_2)
	v_mov_b32_dpp v7, v5 row_shr:2 row_mask:0xf bank_mask:0xf
	v_add_nc_u32_e32 v8, v6, v8
	s_delay_alu instid0(VALU_DEP_2) | instskip(NEXT) | instid1(VALU_DEP_1)
	v_add_nc_u32_e32 v7, v5, v7
	v_cndmask_b32_e64 v5, v5, v7, s0
	s_mov_b32 s0, exec_lo
	s_delay_alu instid0(VALU_DEP_1) | instskip(NEXT) | instid1(VALU_DEP_1)
	v_mov_b32_dpp v7, v5 row_shr:4 row_mask:0xf bank_mask:0xf
	v_add_nc_u32_e32 v7, v5, v7
	s_delay_alu instid0(VALU_DEP_1) | instskip(SKIP_1) | instid1(VALU_DEP_2)
	v_cndmask_b32_e32 v5, v5, v7, vcc_lo
	v_cmp_lt_u32_e32 vcc_lo, 7, v86
	v_mov_b32_dpp v7, v5 row_shr:8 row_mask:0xf bank_mask:0xf
	s_delay_alu instid0(VALU_DEP_1) | instskip(NEXT) | instid1(VALU_DEP_1)
	v_dual_cndmask_b32 v6, v6, v8 :: v_dual_add_nc_u32 v7, v5, v7
	v_cndmask_b32_e32 v5, v5, v7, vcc_lo
	ds_swizzle_b32 v7, v6 offset:swizzle(BROADCAST,32,15)
	v_cmp_eq_u32_e32 vcc_lo, 0, v85
	ds_swizzle_b32 v8, v5 offset:swizzle(BROADCAST,32,15)
	s_waitcnt lgkmcnt(1)
	v_add_nc_u32_e32 v7, v6, v7
	s_waitcnt lgkmcnt(0)
	v_add_nc_u32_e32 v8, v5, v8
	s_delay_alu instid0(VALU_DEP_1)
	v_dual_cndmask_b32 v6, v7, v6 :: v_dual_cndmask_b32 v5, v8, v5
	v_cmpx_eq_u32_e64 v84, v0
	s_cbranch_execz .LBB1585_126
; %bb.125:
	v_lshlrev_b32_e32 v7, 3, v83
	ds_store_b64 v7, v[5:6]
.LBB1585_126:
	s_or_b32 exec_lo, exec_lo, s0
	s_delay_alu instid0(SALU_CYCLE_1)
	s_mov_b32 s0, exec_lo
	s_waitcnt lgkmcnt(0)
	s_barrier
	buffer_gl0_inv
	v_cmpx_gt_u32_e32 8, v0
	s_cbranch_execz .LBB1585_128
; %bb.127:
	v_lshlrev_b32_e32 v9, 3, v0
	ds_load_b64 v[7:8], v9
	s_waitcnt lgkmcnt(0)
	v_mov_b32_dpp v22, v7 row_shr:1 row_mask:0xf bank_mask:0xf
	v_mov_b32_dpp v23, v8 row_shr:1 row_mask:0xf bank_mask:0xf
	s_delay_alu instid0(VALU_DEP_2) | instskip(SKIP_1) | instid1(VALU_DEP_3)
	v_add_nc_u32_e32 v22, v22, v7
	v_and_b32_e32 v24, 7, v82
	v_add_nc_u32_e32 v23, v23, v8
	s_delay_alu instid0(VALU_DEP_2) | instskip(NEXT) | instid1(VALU_DEP_2)
	v_cmp_eq_u32_e32 vcc_lo, 0, v24
	v_dual_cndmask_b32 v8, v23, v8 :: v_dual_cndmask_b32 v7, v22, v7
	v_cmp_lt_u32_e32 vcc_lo, 1, v24
	s_delay_alu instid0(VALU_DEP_2) | instskip(NEXT) | instid1(VALU_DEP_3)
	v_mov_b32_dpp v23, v8 row_shr:2 row_mask:0xf bank_mask:0xf
	v_mov_b32_dpp v22, v7 row_shr:2 row_mask:0xf bank_mask:0xf
	s_delay_alu instid0(VALU_DEP_2) | instskip(NEXT) | instid1(VALU_DEP_2)
	v_add_nc_u32_e32 v23, v8, v23
	v_add_nc_u32_e32 v22, v7, v22
	s_delay_alu instid0(VALU_DEP_1) | instskip(SKIP_1) | instid1(VALU_DEP_2)
	v_dual_cndmask_b32 v8, v8, v23 :: v_dual_cndmask_b32 v7, v7, v22
	v_cmp_lt_u32_e32 vcc_lo, 3, v24
	v_mov_b32_dpp v23, v8 row_shr:4 row_mask:0xf bank_mask:0xf
	s_delay_alu instid0(VALU_DEP_3) | instskip(NEXT) | instid1(VALU_DEP_1)
	v_mov_b32_dpp v22, v7 row_shr:4 row_mask:0xf bank_mask:0xf
	v_dual_cndmask_b32 v23, 0, v23 :: v_dual_cndmask_b32 v22, 0, v22
	s_delay_alu instid0(VALU_DEP_1) | instskip(NEXT) | instid1(VALU_DEP_2)
	v_add_nc_u32_e32 v8, v23, v8
	v_add_nc_u32_e32 v7, v22, v7
	ds_store_b64 v9, v[7:8]
.LBB1585_128:
	s_or_b32 exec_lo, exec_lo, s0
	v_dual_mov_b32 v7, 0 :: v_dual_mov_b32 v22, 0
	v_mov_b32_e32 v23, 0
	s_mov_b32 s0, exec_lo
	s_waitcnt lgkmcnt(0)
	s_barrier
	buffer_gl0_inv
	v_cmpx_lt_u32_e32 31, v0
	s_cbranch_execz .LBB1585_130
; %bb.129:
	v_lshl_add_u32 v8, v83, 3, -8
	ds_load_b64 v[22:23], v8
.LBB1585_130:
	s_or_b32 exec_lo, exec_lo, s0
	v_add_nc_u32_e32 v8, -1, v82
	s_waitcnt lgkmcnt(0)
	v_add_nc_u32_e32 v24, v23, v6
	v_add_nc_u32_e32 v9, v22, v5
	ds_load_b64 v[5:6], v7 offset:56
	v_cmp_gt_i32_e32 vcc_lo, 0, v8
	v_cndmask_b32_e32 v8, v8, v82, vcc_lo
	s_delay_alu instid0(VALU_DEP_1)
	v_lshlrev_b32_e32 v8, 2, v8
	ds_bpermute_b32 v9, v8, v9
	ds_bpermute_b32 v24, v8, v24
	s_waitcnt lgkmcnt(2)
	v_readfirstlane_b32 s0, v6
	s_and_saveexec_b32 s1, s2
	s_cbranch_execz .LBB1585_132
; %bb.131:
	s_mov_b32 s8, 0
	s_add_u32 s6, s36, 0x200
	s_addc_u32 s7, s37, 0
	s_and_b32 s9, s0, 0xff000000
	s_and_b32 s11, s0, 0xff0000
	s_mov_b32 s10, s8
	v_mov_b32_e32 v26, s7
	s_or_b64 s[10:11], s[10:11], s[8:9]
	s_and_b32 s9, s0, 0xff00
	v_dual_mov_b32 v8, 0 :: v_dual_mov_b32 v25, s6
	s_or_b64 s[10:11], s[10:11], s[8:9]
	s_and_b32 s9, s0, 0xff
	v_mov_b32_e32 v7, 2
	s_or_b64 s[8:9], s[10:11], s[8:9]
	s_delay_alu instid0(SALU_CYCLE_1)
	v_mov_b32_e32 v6, s9
	;;#ASMSTART
	global_store_dwordx4 v[25:26], v[5:8] off	
s_waitcnt vmcnt(0)
	;;#ASMEND
.LBB1585_132:
	s_or_b32 exec_lo, exec_lo, s1
	v_cmp_eq_u32_e32 vcc_lo, 0, v82
	v_dual_mov_b32 v7, 0 :: v_dual_mov_b32 v6, s0
	s_waitcnt lgkmcnt(0)
	s_barrier
	v_dual_cndmask_b32 v8, v9, v22 :: v_dual_cndmask_b32 v9, v24, v23
	buffer_gl0_inv
	v_cndmask_b32_e64 v22, v8, 0, s2
	v_cndmask_b32_e64 v9, v9, 0, s2
	v_mov_b32_e32 v8, 0
.LBB1585_133:
	s_delay_alu instid0(VALU_DEP_1) | instskip(SKIP_1) | instid1(VALU_DEP_2)
	v_add_nc_u32_e32 v24, v9, v81
	s_waitcnt lgkmcnt(0)
	v_sub_nc_u32_e32 v9, v9, v8
	v_add_co_u32 v1, vcc_lo, v1, v7
	v_and_b32_e32 v35, 1, v35
	v_add_nc_u32_e32 v26, v24, v77
	v_sub_nc_u32_e32 v24, v24, v8
	v_lshlrev_b32_e32 v77, 1, v5
	v_add_nc_u32_e32 v9, v9, v5
	v_add_co_ci_u32_e32 v2, vcc_lo, 0, v2, vcc_lo
	v_add_nc_u32_e32 v28, v26, v79
	s_delay_alu instid0(VALU_DEP_4)
	v_add3_u32 v33, v77, v6, v33
	v_and_b32_e32 v40, 1, v40
	v_and_b32_e32 v37, 1, v37
	;; [unrolled: 1-line block ×3, first 2 shown]
	v_add_nc_u32_e32 v29, v28, v75
	v_sub_nc_u32_e32 v28, v28, v8
	v_sub_co_u32 v75, vcc_lo, v3, v5
	s_add_u32 s1, s14, -4
	s_delay_alu instid0(VALU_DEP_3) | instskip(SKIP_4) | instid1(VALU_DEP_3)
	v_add_nc_u32_e32 v73, v29, v73
	v_sub_nc_u32_e32 v29, v29, v8
	v_add_nc_u32_e32 v28, v28, v5
	v_add_nc_u32_e32 v24, v24, v5
	s_mov_b32 s3, -1
	v_add_nc_u32_e32 v29, v29, v5
	v_add_nc_u32_e32 v23, v22, v80
	v_sub_nc_u32_e32 v22, v22, v7
	s_delay_alu instid0(VALU_DEP_2) | instskip(SKIP_3) | instid1(VALU_DEP_3)
	v_add_nc_u32_e32 v25, v23, v76
	v_sub_nc_u32_e32 v23, v23, v7
	v_subrev_co_ci_u32_e32 v76, vcc_lo, 0, v4, vcc_lo
	v_cmp_eq_u32_e32 vcc_lo, 1, v35
	v_add_nc_u32_e32 v79, v24, v23
	s_delay_alu instid0(VALU_DEP_1) | instskip(NEXT) | instid1(VALU_DEP_1)
	v_sub_nc_u32_e32 v79, v33, v79
	v_add_nc_u32_e32 v79, 1, v79
	v_add_nc_u32_e32 v27, v25, v78
	;; [unrolled: 1-line block ×3, first 2 shown]
	s_delay_alu instid0(VALU_DEP_1) | instskip(NEXT) | instid1(VALU_DEP_1)
	v_sub_nc_u32_e32 v78, v33, v78
	v_dual_cndmask_b32 v9, v78, v9 :: v_dual_and_b32 v34, 1, v34
	v_cmp_eq_u32_e32 vcc_lo, 1, v40
	v_cndmask_b32_e32 v24, v79, v24, vcc_lo
	s_delay_alu instid0(VALU_DEP_3) | instskip(NEXT) | instid1(VALU_DEP_4)
	v_cmp_eq_u32_e32 vcc_lo, 1, v34
	v_cndmask_b32_e32 v9, v9, v22, vcc_lo
	v_sub_nc_u32_e32 v26, v26, v8
	v_cmp_eq_u32_e32 vcc_lo, 1, v37
	v_and_b32_e32 v37, 1, v38
	s_delay_alu instid0(VALU_DEP_4) | instskip(NEXT) | instid1(VALU_DEP_4)
	v_lshlrev_b32_e32 v9, 2, v9
	v_add_nc_u32_e32 v26, v26, v5
	v_cndmask_b32_e32 v24, v24, v23, vcc_lo
	v_sub_nc_u32_e32 v25, v25, v7
	v_add_co_u32 v22, vcc_lo, v75, v8
	v_add_co_ci_u32_e32 v23, vcc_lo, 0, v76, vcc_lo
	s_delay_alu instid0(VALU_DEP_3)
	v_add_nc_u32_e32 v34, v26, v25
	v_cmp_eq_u32_e32 vcc_lo, 1, v37
	v_lshlrev_b32_e32 v24, 2, v24
	ds_store_b32 v9, v20
	v_sub_nc_u32_e32 v34, v33, v34
	ds_store_b32 v24, v21
	v_and_b32_e32 v24, 1, v39
	v_add_nc_u32_e32 v34, 2, v34
	s_delay_alu instid0(VALU_DEP_1) | instskip(SKIP_3) | instid1(VALU_DEP_4)
	v_cndmask_b32_e32 v26, v34, v26, vcc_lo
	v_cmp_eq_u32_e32 vcc_lo, 1, v36
	v_add_nc_u32_e32 v74, v27, v74
	v_sub_nc_u32_e32 v27, v27, v7
	v_cndmask_b32_e32 v25, v26, v25, vcc_lo
	s_delay_alu instid0(VALU_DEP_3) | instskip(NEXT) | instid1(VALU_DEP_3)
	v_sub_nc_u32_e32 v37, v74, v7
	v_add_nc_u32_e32 v34, v27, v28
	v_cmp_eq_u32_e32 vcc_lo, 1, v24
	v_sub_nc_u32_e32 v26, v73, v8
	v_lshlrev_b32_e32 v21, 2, v25
	v_and_b32_e32 v25, 1, v41
	v_sub_nc_u32_e32 v9, v33, v34
	v_add_nc_u32_e32 v20, v37, v29
	v_and_b32_e32 v24, 1, v42
	v_add_nc_u32_e32 v26, v26, v5
	ds_store_b32 v21, v18
	v_add_nc_u32_e32 v9, 3, v9
	v_sub_nc_u32_e32 v20, v33, v20
	s_delay_alu instid0(VALU_DEP_2) | instskip(SKIP_2) | instid1(VALU_DEP_4)
	v_cndmask_b32_e32 v9, v9, v28, vcc_lo
	v_cmp_eq_u32_e32 vcc_lo, 1, v25
	v_add_nc_u32_e32 v72, v74, v72
	v_add_nc_u32_e32 v20, 4, v20
	v_and_b32_e32 v25, 1, v43
	v_cndmask_b32_e32 v9, v9, v27, vcc_lo
	s_delay_alu instid0(VALU_DEP_4)
	v_sub_nc_u32_e32 v28, v72, v7
	v_cmp_eq_u32_e32 vcc_lo, 1, v24
	v_and_b32_e32 v24, 1, v44
	v_add_nc_u32_e32 v70, v72, v70
	v_lshlrev_b32_e32 v9, 2, v9
	v_add_nc_u32_e32 v27, v28, v26
	v_cndmask_b32_e32 v20, v20, v29, vcc_lo
	v_cmp_eq_u32_e32 vcc_lo, 1, v25
	v_and_b32_e32 v25, 1, v45
	v_add_nc_u32_e32 v64, v70, v64
	v_sub_nc_u32_e32 v18, v33, v27
	v_sub_nc_u32_e32 v27, v70, v7
	v_cndmask_b32_e32 v20, v20, v37, vcc_lo
	v_cmp_eq_u32_e32 vcc_lo, 1, v24
	ds_store_b32 v9, v19
	v_add_nc_u32_e32 v18, 5, v18
	v_and_b32_e32 v19, 1, v46
	v_lshlrev_b32_e32 v20, 2, v20
	v_add_nc_u32_e32 v68, v64, v68
	s_delay_alu instid0(VALU_DEP_4)
	v_cndmask_b32_e32 v18, v18, v26, vcc_lo
	v_cmp_eq_u32_e32 vcc_lo, 1, v25
	v_sub_nc_u32_e32 v25, v64, v7
	ds_store_b32 v20, v16
	v_and_b32_e32 v20, 1, v49
	v_add_nc_u32_e32 v66, v68, v66
	v_dual_cndmask_b32 v18, v18, v28 :: v_dual_add_nc_u32 v71, v73, v71
	v_cmp_eq_u32_e32 vcc_lo, 1, v19
	v_and_b32_e32 v19, 1, v48
	s_delay_alu instid0(VALU_DEP_4) | instskip(NEXT) | instid1(VALU_DEP_4)
	v_add_nc_u32_e32 v61, v66, v61
	v_lshlrev_b32_e32 v18, 2, v18
	v_add_nc_u32_e32 v65, v71, v65
	v_sub_nc_u32_e32 v21, v71, v8
	s_delay_alu instid0(VALU_DEP_4)
	v_add_nc_u32_e32 v60, v61, v60
	ds_store_b32 v18, v17
	v_sub_nc_u32_e32 v24, v65, v8
	v_add_nc_u32_e32 v21, v21, v5
	v_add_nc_u32_e32 v69, v65, v69
	v_and_b32_e32 v17, 1, v47
	s_delay_alu instid0(VALU_DEP_4) | instskip(NEXT) | instid1(VALU_DEP_4)
	v_add_nc_u32_e32 v24, v24, v5
	v_add_nc_u32_e32 v26, v27, v21
	s_delay_alu instid0(VALU_DEP_4) | instskip(NEXT) | instid1(VALU_DEP_3)
	v_sub_nc_u32_e32 v18, v69, v8
	v_add_nc_u32_e32 v16, v25, v24
	s_delay_alu instid0(VALU_DEP_3) | instskip(NEXT) | instid1(VALU_DEP_3)
	v_sub_nc_u32_e32 v9, v33, v26
	v_add_nc_u32_e32 v18, v18, v5
	v_sub_nc_u32_e32 v26, v60, v7
	s_delay_alu instid0(VALU_DEP_4) | instskip(NEXT) | instid1(VALU_DEP_4)
	v_sub_nc_u32_e32 v16, v33, v16
	v_add_nc_u32_e32 v9, 6, v9
	s_delay_alu instid0(VALU_DEP_1) | instskip(SKIP_2) | instid1(VALU_DEP_3)
	v_dual_cndmask_b32 v9, v9, v21 :: v_dual_add_nc_u32 v16, 7, v16
	v_cmp_eq_u32_e32 vcc_lo, 1, v19
	v_sub_nc_u32_e32 v21, v68, v7
	v_cndmask_b32_e32 v16, v16, v24, vcc_lo
	v_cmp_eq_u32_e32 vcc_lo, 1, v17
	s_delay_alu instid0(VALU_DEP_3) | instskip(SKIP_3) | instid1(VALU_DEP_4)
	v_add_nc_u32_e32 v17, v21, v18
	v_cndmask_b32_e32 v9, v9, v27, vcc_lo
	v_cmp_eq_u32_e32 vcc_lo, 1, v20
	v_add_nc_u32_e32 v67, v69, v67
	v_sub_nc_u32_e32 v17, v33, v17
	v_sub_nc_u32_e32 v20, v66, v7
	v_lshlrev_b32_e32 v9, 2, v9
	v_cndmask_b32_e32 v16, v16, v25, vcc_lo
	v_sub_nc_u32_e32 v19, v67, v8
	v_add_nc_u32_e32 v62, v67, v62
	v_sub_nc_u32_e32 v25, v61, v7
	ds_store_b32 v9, v14
	v_and_b32_e32 v9, 1, v50
	v_add_nc_u32_e32 v19, v19, v5
	v_add_nc_u32_e32 v14, 8, v17
	v_lshlrev_b32_e32 v16, 2, v16
	v_add_nc_u32_e32 v63, v62, v63
	v_cmp_eq_u32_e32 vcc_lo, 1, v9
	v_add_nc_u32_e32 v17, v20, v19
	ds_store_b32 v16, v15
	v_and_b32_e32 v15, 1, v51
	v_cndmask_b32_e32 v9, v14, v18, vcc_lo
	v_sub_nc_u32_e32 v14, v33, v17
	v_and_b32_e32 v18, 1, v52
	v_sub_nc_u32_e32 v17, v62, v8
	v_and_b32_e32 v16, 1, v54
	v_sub_nc_u32_e32 v24, v63, v8
	v_add_nc_u32_e32 v14, 9, v14
	v_cmp_eq_u32_e32 vcc_lo, 1, v18
	v_add_nc_u32_e32 v17, v17, v5
	v_add_nc_u32_e32 v35, v63, v59
	;; [unrolled: 1-line block ×3, first 2 shown]
	v_cndmask_b32_e32 v14, v14, v19, vcc_lo
	v_cmp_eq_u32_e32 vcc_lo, 1, v15
	v_add_nc_u32_e32 v15, v25, v17
	s_delay_alu instid0(VALU_DEP_4)
	v_add_nc_u32_e32 v18, v26, v24
	v_and_b32_e32 v19, 1, v55
	v_cndmask_b32_e32 v9, v9, v21, vcc_lo
	v_cmp_eq_u32_e32 vcc_lo, 1, v16
	v_sub_nc_u32_e32 v15, v33, v15
	v_sub_nc_u32_e32 v18, v33, v18
	v_and_b32_e32 v21, 1, v57
	v_sub_nc_u32_e32 v16, v35, v8
	v_cndmask_b32_e32 v14, v14, v20, vcc_lo
	v_and_b32_e32 v20, 1, v53
	v_add_nc_u32_e32 v15, 10, v15
	v_add_nc_u32_e32 v18, 11, v18
	;; [unrolled: 1-line block ×3, first 2 shown]
	v_lshlrev_b32_e32 v9, 2, v9
	v_cmp_eq_u32_e32 vcc_lo, 1, v20
	v_dual_cndmask_b32 v15, v15, v17 :: v_dual_lshlrev_b32 v14, 2, v14
	v_cmp_eq_u32_e32 vcc_lo, 1, v21
	v_and_b32_e32 v17, 1, v56
	v_cndmask_b32_e32 v18, v18, v24, vcc_lo
	v_cmp_eq_u32_e32 vcc_lo, 1, v19
	v_cndmask_b32_e32 v15, v15, v25, vcc_lo
	s_delay_alu instid0(VALU_DEP_4) | instskip(NEXT) | instid1(VALU_DEP_2)
	v_cmp_eq_u32_e32 vcc_lo, 1, v17
	v_lshlrev_b32_e32 v15, 2, v15
	v_cndmask_b32_e32 v17, v18, v26, vcc_lo
	v_add_nc_u32_e32 v40, v60, v58
	s_delay_alu instid0(VALU_DEP_2) | instskip(NEXT) | instid1(VALU_DEP_2)
	v_lshlrev_b32_e32 v17, 2, v17
	v_sub_nc_u32_e32 v7, v40, v7
	ds_store_b32 v9, v12
	ds_store_b32 v14, v13
	;; [unrolled: 1-line block ×4, first 2 shown]
	v_add_co_u32 v9, s0, v6, v77
	s_delay_alu instid0(VALU_DEP_1) | instskip(SKIP_1) | instid1(VALU_DEP_3)
	v_add_co_ci_u32_e64 v10, null, 0, 0, s0
	v_add_nc_u32_e32 v27, v7, v16
	v_add_co_u32 v9, vcc_lo, v9, v22
	s_delay_alu instid0(VALU_DEP_3) | instskip(NEXT) | instid1(VALU_DEP_3)
	v_add_co_ci_u32_e32 v10, vcc_lo, v10, v23, vcc_lo
	v_sub_nc_u32_e32 v20, v33, v27
	v_add_co_u32 v11, s0, s34, v30
	s_delay_alu instid0(VALU_DEP_4) | instskip(NEXT) | instid1(VALU_DEP_3)
	v_add_co_u32 v9, vcc_lo, v9, v1
	v_add_nc_u32_e32 v18, 12, v20
	v_add_co_ci_u32_e64 v12, null, s35, 0, s0
	v_add_co_ci_u32_e32 v10, vcc_lo, v10, v2, vcc_lo
	s_delay_alu instid0(VALU_DEP_3) | instskip(SKIP_1) | instid1(VALU_DEP_2)
	v_cndmask_b32_e64 v16, v18, v16, s33
	v_add_nc_u32_e32 v14, v5, v6
	v_cndmask_b32_e64 v7, v16, v7, s27
	s_delay_alu instid0(VALU_DEP_1)
	v_lshlrev_b32_e32 v7, 2, v7
	ds_store_b32 v7, v32
	v_sub_co_u32 v7, vcc_lo, v11, v9
	v_sub_co_ci_u32_e32 v13, vcc_lo, v12, v10, vcc_lo
	v_lshlrev_b64 v[9:10], 2, v[22:23]
	v_lshlrev_b64 v[11:12], 2, v[1:2]
	s_waitcnt lgkmcnt(0)
	s_barrier
	buffer_gl0_inv
	v_add_co_u32 v9, vcc_lo, s30, v9
	v_add_co_ci_u32_e32 v10, vcc_lo, s31, v10, vcc_lo
	v_cmp_ne_u32_e32 vcc_lo, 1, v31
	v_add_co_u32 v11, s0, s28, v11
	s_delay_alu instid0(VALU_DEP_1)
	v_add_co_ci_u32_e64 v12, s0, s29, v12, s0
	s_addc_u32 s0, s15, -1
	s_cbranch_vccz .LBB1585_137
; %bb.134:
	s_and_b32 vcc_lo, exec_lo, s3
	s_cbranch_vccnz .LBB1585_242
.LBB1585_135:
	s_and_b32 s0, s2, s13
	s_delay_alu instid0(SALU_CYCLE_1)
	s_and_saveexec_b32 s1, s0
	s_cbranch_execnz .LBB1585_360
.LBB1585_136:
	s_nop 0
	s_sendmsg sendmsg(MSG_DEALLOC_VGPRS)
	s_endpgm
.LBB1585_137:
	s_mov_b32 s3, exec_lo
	v_cmpx_le_u32_e64 v5, v0
	s_xor_b32 s3, exec_lo, s3
	s_cbranch_execz .LBB1585_143
; %bb.138:
	s_mov_b32 s5, exec_lo
	v_cmpx_le_u32_e64 v14, v0
	s_xor_b32 s5, exec_lo, s5
	s_cbranch_execz .LBB1585_140
; %bb.139:
	v_lshlrev_b32_e32 v15, 2, v0
	ds_load_b32 v17, v15
	v_add_co_u32 v15, vcc_lo, v7, v0
	v_add_co_ci_u32_e32 v16, vcc_lo, 0, v13, vcc_lo
	s_delay_alu instid0(VALU_DEP_1) | instskip(NEXT) | instid1(VALU_DEP_1)
	v_lshlrev_b64 v[15:16], 2, v[15:16]
	v_sub_co_u32 v15, vcc_lo, s14, v15
	s_delay_alu instid0(VALU_DEP_2)
	v_sub_co_ci_u32_e32 v16, vcc_lo, s15, v16, vcc_lo
	s_waitcnt lgkmcnt(0)
	global_store_b32 v[15:16], v17, off offset:-4
.LBB1585_140:
	s_and_not1_saveexec_b32 s5, s5
	s_cbranch_execz .LBB1585_142
; %bb.141:
	v_lshlrev_b32_e32 v15, 2, v0
	v_readfirstlane_b32 s6, v9
	v_readfirstlane_b32 s7, v10
	ds_load_b32 v16, v15
	s_waitcnt lgkmcnt(0)
	global_store_b32 v15, v16, s[6:7]
.LBB1585_142:
	s_or_b32 exec_lo, exec_lo, s5
.LBB1585_143:
	s_and_not1_saveexec_b32 s3, s3
	s_cbranch_execz .LBB1585_145
; %bb.144:
	v_lshlrev_b32_e32 v15, 2, v0
	v_readfirstlane_b32 s6, v11
	v_readfirstlane_b32 s7, v12
	ds_load_b32 v16, v15
	s_waitcnt lgkmcnt(0)
	global_store_b32 v15, v16, s[6:7]
.LBB1585_145:
	s_or_b32 exec_lo, exec_lo, s3
	v_or_b32_e32 v15, 0x100, v0
	s_mov_b32 s3, exec_lo
	s_delay_alu instid0(VALU_DEP_1)
	v_cmpx_le_u32_e64 v5, v15
	s_xor_b32 s3, exec_lo, s3
	s_cbranch_execz .LBB1585_151
; %bb.146:
	s_mov_b32 s5, exec_lo
	v_cmpx_le_u32_e64 v14, v15
	s_xor_b32 s5, exec_lo, s5
	s_cbranch_execz .LBB1585_148
; %bb.147:
	v_lshlrev_b32_e32 v15, 2, v0
	ds_load_b32 v17, v15 offset:1024
	v_add_co_u32 v15, vcc_lo, v7, v0
	v_add_co_ci_u32_e32 v16, vcc_lo, 0, v13, vcc_lo
	s_delay_alu instid0(VALU_DEP_1) | instskip(NEXT) | instid1(VALU_DEP_1)
	v_lshlrev_b64 v[15:16], 2, v[15:16]
	v_sub_co_u32 v15, vcc_lo, s1, v15
	s_delay_alu instid0(VALU_DEP_2)
	v_sub_co_ci_u32_e32 v16, vcc_lo, s0, v16, vcc_lo
	s_waitcnt lgkmcnt(0)
	global_store_b32 v[15:16], v17, off offset:-1024
.LBB1585_148:
	s_and_not1_saveexec_b32 s5, s5
	s_cbranch_execz .LBB1585_150
; %bb.149:
	v_lshlrev_b32_e32 v15, 2, v0
	v_readfirstlane_b32 s6, v9
	v_readfirstlane_b32 s7, v10
	ds_load_b32 v16, v15 offset:1024
	s_waitcnt lgkmcnt(0)
	global_store_b32 v15, v16, s[6:7] offset:1024
.LBB1585_150:
	s_or_b32 exec_lo, exec_lo, s5
.LBB1585_151:
	s_and_not1_saveexec_b32 s3, s3
	s_cbranch_execz .LBB1585_153
; %bb.152:
	v_lshlrev_b32_e32 v15, 2, v0
	v_readfirstlane_b32 s6, v11
	v_readfirstlane_b32 s7, v12
	ds_load_b32 v16, v15 offset:1024
	s_waitcnt lgkmcnt(0)
	global_store_b32 v15, v16, s[6:7] offset:1024
.LBB1585_153:
	s_or_b32 exec_lo, exec_lo, s3
	v_or_b32_e32 v15, 0x200, v0
	s_mov_b32 s3, exec_lo
	s_delay_alu instid0(VALU_DEP_1)
	v_cmpx_le_u32_e64 v5, v15
	s_xor_b32 s3, exec_lo, s3
	s_cbranch_execz .LBB1585_159
; %bb.154:
	s_mov_b32 s5, exec_lo
	v_cmpx_le_u32_e64 v14, v15
	s_xor_b32 s5, exec_lo, s5
	s_cbranch_execz .LBB1585_156
; %bb.155:
	v_lshlrev_b32_e32 v15, 2, v0
	ds_load_b32 v17, v15 offset:2048
	v_add_co_u32 v15, vcc_lo, v7, v0
	v_add_co_ci_u32_e32 v16, vcc_lo, 0, v13, vcc_lo
	s_delay_alu instid0(VALU_DEP_1) | instskip(NEXT) | instid1(VALU_DEP_1)
	v_lshlrev_b64 v[15:16], 2, v[15:16]
	v_sub_co_u32 v15, vcc_lo, s1, v15
	s_delay_alu instid0(VALU_DEP_2)
	v_sub_co_ci_u32_e32 v16, vcc_lo, s0, v16, vcc_lo
	s_waitcnt lgkmcnt(0)
	global_store_b32 v[15:16], v17, off offset:-2048
.LBB1585_156:
	s_and_not1_saveexec_b32 s5, s5
	s_cbranch_execz .LBB1585_158
; %bb.157:
	v_lshlrev_b32_e32 v15, 2, v0
	v_readfirstlane_b32 s6, v9
	v_readfirstlane_b32 s7, v10
	ds_load_b32 v16, v15 offset:2048
	s_waitcnt lgkmcnt(0)
	global_store_b32 v15, v16, s[6:7] offset:2048
.LBB1585_158:
	s_or_b32 exec_lo, exec_lo, s5
.LBB1585_159:
	s_and_not1_saveexec_b32 s3, s3
	s_cbranch_execz .LBB1585_161
; %bb.160:
	v_lshlrev_b32_e32 v15, 2, v0
	v_readfirstlane_b32 s6, v11
	v_readfirstlane_b32 s7, v12
	ds_load_b32 v16, v15 offset:2048
	s_waitcnt lgkmcnt(0)
	global_store_b32 v15, v16, s[6:7] offset:2048
.LBB1585_161:
	;; [unrolled: 47-line block ×3, first 2 shown]
	s_or_b32 exec_lo, exec_lo, s3
	v_or_b32_e32 v15, 0x400, v0
	s_mov_b32 s3, exec_lo
	s_delay_alu instid0(VALU_DEP_1)
	v_cmpx_le_u32_e64 v5, v15
	s_xor_b32 s3, exec_lo, s3
	s_cbranch_execz .LBB1585_175
; %bb.170:
	s_mov_b32 s5, exec_lo
	v_cmpx_le_u32_e64 v14, v15
	s_xor_b32 s5, exec_lo, s5
	s_cbranch_execz .LBB1585_172
; %bb.171:
	v_lshlrev_b32_e32 v15, 2, v0
	ds_load_b32 v17, v15 offset:4096
	v_add_co_u32 v15, vcc_lo, v7, v0
	v_add_co_ci_u32_e32 v16, vcc_lo, 0, v13, vcc_lo
	s_delay_alu instid0(VALU_DEP_1) | instskip(NEXT) | instid1(VALU_DEP_1)
	v_lshlrev_b64 v[15:16], 2, v[15:16]
	v_sub_co_u32 v15, vcc_lo, s1, v15
	s_delay_alu instid0(VALU_DEP_2)
	v_sub_co_ci_u32_e32 v16, vcc_lo, s0, v16, vcc_lo
	s_waitcnt lgkmcnt(0)
	global_store_b32 v[15:16], v17, off offset:-4096
                                        ; implicit-def: $vgpr15
.LBB1585_172:
	s_and_not1_saveexec_b32 s5, s5
	s_cbranch_execz .LBB1585_174
; %bb.173:
	v_lshlrev_b32_e32 v16, 2, v0
	v_lshlrev_b32_e32 v15, 2, v15
	v_readfirstlane_b32 s6, v9
	v_readfirstlane_b32 s7, v10
	ds_load_b32 v16, v16 offset:4096
	s_waitcnt lgkmcnt(0)
	global_store_b32 v15, v16, s[6:7]
.LBB1585_174:
	s_or_b32 exec_lo, exec_lo, s5
                                        ; implicit-def: $vgpr15
.LBB1585_175:
	s_and_not1_saveexec_b32 s3, s3
	s_cbranch_execz .LBB1585_177
; %bb.176:
	v_lshlrev_b32_e32 v16, 2, v0
	v_lshlrev_b32_e32 v15, 2, v15
	v_readfirstlane_b32 s6, v11
	v_readfirstlane_b32 s7, v12
	ds_load_b32 v16, v16 offset:4096
	s_waitcnt lgkmcnt(0)
	global_store_b32 v15, v16, s[6:7]
.LBB1585_177:
	s_or_b32 exec_lo, exec_lo, s3
	v_or_b32_e32 v15, 0x500, v0
	s_mov_b32 s3, exec_lo
	s_delay_alu instid0(VALU_DEP_1)
	v_cmpx_le_u32_e64 v5, v15
	s_xor_b32 s3, exec_lo, s3
	s_cbranch_execz .LBB1585_183
; %bb.178:
	s_mov_b32 s5, exec_lo
	v_cmpx_le_u32_e64 v14, v15
	s_xor_b32 s5, exec_lo, s5
	s_cbranch_execz .LBB1585_180
; %bb.179:
	v_lshlrev_b32_e32 v16, 2, v0
	v_add_co_u32 v15, vcc_lo, v7, v15
	ds_load_b32 v17, v16 offset:5120
	v_add_co_ci_u32_e32 v16, vcc_lo, 0, v13, vcc_lo
	s_delay_alu instid0(VALU_DEP_1) | instskip(NEXT) | instid1(VALU_DEP_1)
	v_lshlrev_b64 v[15:16], 2, v[15:16]
	v_sub_co_u32 v15, vcc_lo, s1, v15
	s_delay_alu instid0(VALU_DEP_2)
	v_sub_co_ci_u32_e32 v16, vcc_lo, s0, v16, vcc_lo
	s_waitcnt lgkmcnt(0)
	global_store_b32 v[15:16], v17, off
                                        ; implicit-def: $vgpr15
.LBB1585_180:
	s_and_not1_saveexec_b32 s5, s5
	s_cbranch_execz .LBB1585_182
; %bb.181:
	v_lshlrev_b32_e32 v16, 2, v0
	v_lshlrev_b32_e32 v15, 2, v15
	v_readfirstlane_b32 s6, v9
	v_readfirstlane_b32 s7, v10
	ds_load_b32 v16, v16 offset:5120
	s_waitcnt lgkmcnt(0)
	global_store_b32 v15, v16, s[6:7]
.LBB1585_182:
	s_or_b32 exec_lo, exec_lo, s5
                                        ; implicit-def: $vgpr15
.LBB1585_183:
	s_and_not1_saveexec_b32 s3, s3
	s_cbranch_execz .LBB1585_185
; %bb.184:
	v_lshlrev_b32_e32 v16, 2, v0
	v_lshlrev_b32_e32 v15, 2, v15
	v_readfirstlane_b32 s6, v11
	v_readfirstlane_b32 s7, v12
	ds_load_b32 v16, v16 offset:5120
	s_waitcnt lgkmcnt(0)
	global_store_b32 v15, v16, s[6:7]
.LBB1585_185:
	s_or_b32 exec_lo, exec_lo, s3
	v_or_b32_e32 v15, 0x600, v0
	s_mov_b32 s3, exec_lo
	s_delay_alu instid0(VALU_DEP_1)
	v_cmpx_le_u32_e64 v5, v15
	s_xor_b32 s3, exec_lo, s3
	s_cbranch_execz .LBB1585_191
; %bb.186:
	s_mov_b32 s5, exec_lo
	v_cmpx_le_u32_e64 v14, v15
	s_xor_b32 s5, exec_lo, s5
	s_cbranch_execz .LBB1585_188
; %bb.187:
	v_lshlrev_b32_e32 v16, 2, v0
	v_add_co_u32 v15, vcc_lo, v7, v15
	ds_load_b32 v17, v16 offset:6144
	v_add_co_ci_u32_e32 v16, vcc_lo, 0, v13, vcc_lo
	s_delay_alu instid0(VALU_DEP_1) | instskip(NEXT) | instid1(VALU_DEP_1)
	v_lshlrev_b64 v[15:16], 2, v[15:16]
	v_sub_co_u32 v15, vcc_lo, s1, v15
	s_delay_alu instid0(VALU_DEP_2)
	v_sub_co_ci_u32_e32 v16, vcc_lo, s0, v16, vcc_lo
	s_waitcnt lgkmcnt(0)
	global_store_b32 v[15:16], v17, off
                                        ; implicit-def: $vgpr15
.LBB1585_188:
	s_and_not1_saveexec_b32 s5, s5
	s_cbranch_execz .LBB1585_190
; %bb.189:
	v_lshlrev_b32_e32 v16, 2, v0
	v_lshlrev_b32_e32 v15, 2, v15
	v_readfirstlane_b32 s6, v9
	v_readfirstlane_b32 s7, v10
	ds_load_b32 v16, v16 offset:6144
	s_waitcnt lgkmcnt(0)
	global_store_b32 v15, v16, s[6:7]
.LBB1585_190:
	s_or_b32 exec_lo, exec_lo, s5
                                        ; implicit-def: $vgpr15
.LBB1585_191:
	;; [unrolled: 51-line block ×8, first 2 shown]
	s_and_not1_saveexec_b32 s3, s3
	s_cbranch_execz .LBB1585_241
; %bb.240:
	v_lshlrev_b32_e32 v16, 2, v0
	v_lshlrev_b32_e32 v15, 2, v15
	v_readfirstlane_b32 s6, v11
	v_readfirstlane_b32 s7, v12
	ds_load_b32 v16, v16 offset:12288
	s_waitcnt lgkmcnt(0)
	global_store_b32 v15, v16, s[6:7]
.LBB1585_241:
	s_or_b32 exec_lo, exec_lo, s3
	s_branch .LBB1585_135
.LBB1585_242:
	s_mov_b32 s3, exec_lo
	v_cmpx_gt_u32_e64 s4, v0
	s_cbranch_execz .LBB1585_251
; %bb.243:
	s_mov_b32 s5, exec_lo
	v_cmpx_le_u32_e64 v5, v0
	s_xor_b32 s5, exec_lo, s5
	s_cbranch_execz .LBB1585_249
; %bb.244:
	s_mov_b32 s6, exec_lo
	v_cmpx_le_u32_e64 v14, v0
	s_xor_b32 s6, exec_lo, s6
	s_cbranch_execz .LBB1585_246
; %bb.245:
	v_lshlrev_b32_e32 v15, 2, v0
	ds_load_b32 v17, v15
	v_add_co_u32 v15, vcc_lo, v7, v0
	v_add_co_ci_u32_e32 v16, vcc_lo, 0, v13, vcc_lo
	s_delay_alu instid0(VALU_DEP_1) | instskip(NEXT) | instid1(VALU_DEP_1)
	v_lshlrev_b64 v[15:16], 2, v[15:16]
	v_sub_co_u32 v15, vcc_lo, s14, v15
	s_delay_alu instid0(VALU_DEP_2)
	v_sub_co_ci_u32_e32 v16, vcc_lo, s15, v16, vcc_lo
	s_waitcnt lgkmcnt(0)
	global_store_b32 v[15:16], v17, off offset:-4
.LBB1585_246:
	s_and_not1_saveexec_b32 s6, s6
	s_cbranch_execz .LBB1585_248
; %bb.247:
	v_lshlrev_b32_e32 v15, 2, v0
	v_readfirstlane_b32 s8, v9
	v_readfirstlane_b32 s9, v10
	ds_load_b32 v16, v15
	s_waitcnt lgkmcnt(0)
	global_store_b32 v15, v16, s[8:9]
.LBB1585_248:
	s_or_b32 exec_lo, exec_lo, s6
.LBB1585_249:
	s_and_not1_saveexec_b32 s5, s5
	s_cbranch_execz .LBB1585_251
; %bb.250:
	v_lshlrev_b32_e32 v15, 2, v0
	v_readfirstlane_b32 s6, v11
	v_readfirstlane_b32 s7, v12
	ds_load_b32 v16, v15
	s_waitcnt lgkmcnt(0)
	global_store_b32 v15, v16, s[6:7]
.LBB1585_251:
	s_or_b32 exec_lo, exec_lo, s3
	v_or_b32_e32 v15, 0x100, v0
	s_mov_b32 s3, exec_lo
	s_delay_alu instid0(VALU_DEP_1)
	v_cmpx_gt_u32_e64 s4, v15
	s_cbranch_execz .LBB1585_260
; %bb.252:
	s_mov_b32 s5, exec_lo
	v_cmpx_le_u32_e64 v5, v15
	s_xor_b32 s5, exec_lo, s5
	s_cbranch_execz .LBB1585_258
; %bb.253:
	s_mov_b32 s6, exec_lo
	v_cmpx_le_u32_e64 v14, v15
	s_xor_b32 s6, exec_lo, s6
	s_cbranch_execz .LBB1585_255
; %bb.254:
	v_lshlrev_b32_e32 v15, 2, v0
	ds_load_b32 v17, v15 offset:1024
	v_add_co_u32 v15, vcc_lo, v7, v0
	v_add_co_ci_u32_e32 v16, vcc_lo, 0, v13, vcc_lo
	s_delay_alu instid0(VALU_DEP_1) | instskip(NEXT) | instid1(VALU_DEP_1)
	v_lshlrev_b64 v[15:16], 2, v[15:16]
	v_sub_co_u32 v15, vcc_lo, s1, v15
	s_delay_alu instid0(VALU_DEP_2)
	v_sub_co_ci_u32_e32 v16, vcc_lo, s0, v16, vcc_lo
	s_waitcnt lgkmcnt(0)
	global_store_b32 v[15:16], v17, off offset:-1024
.LBB1585_255:
	s_and_not1_saveexec_b32 s6, s6
	s_cbranch_execz .LBB1585_257
; %bb.256:
	v_lshlrev_b32_e32 v15, 2, v0
	v_readfirstlane_b32 s8, v9
	v_readfirstlane_b32 s9, v10
	ds_load_b32 v16, v15 offset:1024
	s_waitcnt lgkmcnt(0)
	global_store_b32 v15, v16, s[8:9] offset:1024
.LBB1585_257:
	s_or_b32 exec_lo, exec_lo, s6
.LBB1585_258:
	s_and_not1_saveexec_b32 s5, s5
	s_cbranch_execz .LBB1585_260
; %bb.259:
	v_lshlrev_b32_e32 v15, 2, v0
	v_readfirstlane_b32 s6, v11
	v_readfirstlane_b32 s7, v12
	ds_load_b32 v16, v15 offset:1024
	s_waitcnt lgkmcnt(0)
	global_store_b32 v15, v16, s[6:7] offset:1024
.LBB1585_260:
	s_or_b32 exec_lo, exec_lo, s3
	v_or_b32_e32 v15, 0x200, v0
	s_mov_b32 s3, exec_lo
	s_delay_alu instid0(VALU_DEP_1)
	v_cmpx_gt_u32_e64 s4, v15
	s_cbranch_execz .LBB1585_269
; %bb.261:
	s_mov_b32 s5, exec_lo
	v_cmpx_le_u32_e64 v5, v15
	s_xor_b32 s5, exec_lo, s5
	s_cbranch_execz .LBB1585_267
; %bb.262:
	s_mov_b32 s6, exec_lo
	v_cmpx_le_u32_e64 v14, v15
	s_xor_b32 s6, exec_lo, s6
	s_cbranch_execz .LBB1585_264
; %bb.263:
	v_lshlrev_b32_e32 v15, 2, v0
	ds_load_b32 v17, v15 offset:2048
	v_add_co_u32 v15, vcc_lo, v7, v0
	v_add_co_ci_u32_e32 v16, vcc_lo, 0, v13, vcc_lo
	s_delay_alu instid0(VALU_DEP_1) | instskip(NEXT) | instid1(VALU_DEP_1)
	v_lshlrev_b64 v[15:16], 2, v[15:16]
	v_sub_co_u32 v15, vcc_lo, s1, v15
	s_delay_alu instid0(VALU_DEP_2)
	v_sub_co_ci_u32_e32 v16, vcc_lo, s0, v16, vcc_lo
	s_waitcnt lgkmcnt(0)
	global_store_b32 v[15:16], v17, off offset:-2048
.LBB1585_264:
	s_and_not1_saveexec_b32 s6, s6
	s_cbranch_execz .LBB1585_266
; %bb.265:
	v_lshlrev_b32_e32 v15, 2, v0
	v_readfirstlane_b32 s8, v9
	v_readfirstlane_b32 s9, v10
	ds_load_b32 v16, v15 offset:2048
	s_waitcnt lgkmcnt(0)
	global_store_b32 v15, v16, s[8:9] offset:2048
.LBB1585_266:
	s_or_b32 exec_lo, exec_lo, s6
.LBB1585_267:
	s_and_not1_saveexec_b32 s5, s5
	s_cbranch_execz .LBB1585_269
; %bb.268:
	v_lshlrev_b32_e32 v15, 2, v0
	v_readfirstlane_b32 s6, v11
	v_readfirstlane_b32 s7, v12
	ds_load_b32 v16, v15 offset:2048
	s_waitcnt lgkmcnt(0)
	global_store_b32 v15, v16, s[6:7] offset:2048
.LBB1585_269:
	;; [unrolled: 51-line block ×3, first 2 shown]
	s_or_b32 exec_lo, exec_lo, s3
	v_or_b32_e32 v15, 0x400, v0
	s_mov_b32 s3, exec_lo
	s_delay_alu instid0(VALU_DEP_1)
	v_cmpx_gt_u32_e64 s4, v15
	s_cbranch_execz .LBB1585_287
; %bb.279:
	s_mov_b32 s5, exec_lo
	v_cmpx_le_u32_e64 v5, v15
	s_xor_b32 s5, exec_lo, s5
	s_cbranch_execz .LBB1585_285
; %bb.280:
	s_mov_b32 s6, exec_lo
	v_cmpx_le_u32_e64 v14, v15
	s_xor_b32 s6, exec_lo, s6
	s_cbranch_execz .LBB1585_282
; %bb.281:
	v_lshlrev_b32_e32 v15, 2, v0
	ds_load_b32 v17, v15 offset:4096
	v_add_co_u32 v15, vcc_lo, v7, v0
	v_add_co_ci_u32_e32 v16, vcc_lo, 0, v13, vcc_lo
	s_delay_alu instid0(VALU_DEP_1) | instskip(NEXT) | instid1(VALU_DEP_1)
	v_lshlrev_b64 v[15:16], 2, v[15:16]
	v_sub_co_u32 v15, vcc_lo, s1, v15
	s_delay_alu instid0(VALU_DEP_2)
	v_sub_co_ci_u32_e32 v16, vcc_lo, s0, v16, vcc_lo
	s_waitcnt lgkmcnt(0)
	global_store_b32 v[15:16], v17, off offset:-4096
                                        ; implicit-def: $vgpr15
.LBB1585_282:
	s_and_not1_saveexec_b32 s6, s6
	s_cbranch_execz .LBB1585_284
; %bb.283:
	v_lshlrev_b32_e32 v16, 2, v0
	v_lshlrev_b32_e32 v15, 2, v15
	v_readfirstlane_b32 s8, v9
	v_readfirstlane_b32 s9, v10
	ds_load_b32 v16, v16 offset:4096
	s_waitcnt lgkmcnt(0)
	global_store_b32 v15, v16, s[8:9]
.LBB1585_284:
	s_or_b32 exec_lo, exec_lo, s6
                                        ; implicit-def: $vgpr15
.LBB1585_285:
	s_and_not1_saveexec_b32 s5, s5
	s_cbranch_execz .LBB1585_287
; %bb.286:
	v_lshlrev_b32_e32 v16, 2, v0
	v_lshlrev_b32_e32 v15, 2, v15
	v_readfirstlane_b32 s6, v11
	v_readfirstlane_b32 s7, v12
	ds_load_b32 v16, v16 offset:4096
	s_waitcnt lgkmcnt(0)
	global_store_b32 v15, v16, s[6:7]
.LBB1585_287:
	s_or_b32 exec_lo, exec_lo, s3
	v_or_b32_e32 v15, 0x500, v0
	s_mov_b32 s3, exec_lo
	s_delay_alu instid0(VALU_DEP_1)
	v_cmpx_gt_u32_e64 s4, v15
	s_cbranch_execz .LBB1585_296
; %bb.288:
	s_mov_b32 s5, exec_lo
	v_cmpx_le_u32_e64 v5, v15
	s_xor_b32 s5, exec_lo, s5
	s_cbranch_execz .LBB1585_294
; %bb.289:
	s_mov_b32 s6, exec_lo
	v_cmpx_le_u32_e64 v14, v15
	s_xor_b32 s6, exec_lo, s6
	s_cbranch_execz .LBB1585_291
; %bb.290:
	v_lshlrev_b32_e32 v16, 2, v0
	v_add_co_u32 v15, vcc_lo, v7, v15
	ds_load_b32 v17, v16 offset:5120
	v_add_co_ci_u32_e32 v16, vcc_lo, 0, v13, vcc_lo
	s_delay_alu instid0(VALU_DEP_1) | instskip(NEXT) | instid1(VALU_DEP_1)
	v_lshlrev_b64 v[15:16], 2, v[15:16]
	v_sub_co_u32 v15, vcc_lo, s1, v15
	s_delay_alu instid0(VALU_DEP_2)
	v_sub_co_ci_u32_e32 v16, vcc_lo, s0, v16, vcc_lo
	s_waitcnt lgkmcnt(0)
	global_store_b32 v[15:16], v17, off
                                        ; implicit-def: $vgpr15
.LBB1585_291:
	s_and_not1_saveexec_b32 s6, s6
	s_cbranch_execz .LBB1585_293
; %bb.292:
	v_lshlrev_b32_e32 v16, 2, v0
	v_lshlrev_b32_e32 v15, 2, v15
	v_readfirstlane_b32 s8, v9
	v_readfirstlane_b32 s9, v10
	ds_load_b32 v16, v16 offset:5120
	s_waitcnt lgkmcnt(0)
	global_store_b32 v15, v16, s[8:9]
.LBB1585_293:
	s_or_b32 exec_lo, exec_lo, s6
                                        ; implicit-def: $vgpr15
.LBB1585_294:
	s_and_not1_saveexec_b32 s5, s5
	s_cbranch_execz .LBB1585_296
; %bb.295:
	v_lshlrev_b32_e32 v16, 2, v0
	v_lshlrev_b32_e32 v15, 2, v15
	v_readfirstlane_b32 s6, v11
	v_readfirstlane_b32 s7, v12
	ds_load_b32 v16, v16 offset:5120
	s_waitcnt lgkmcnt(0)
	global_store_b32 v15, v16, s[6:7]
.LBB1585_296:
	s_or_b32 exec_lo, exec_lo, s3
	v_or_b32_e32 v15, 0x600, v0
	s_mov_b32 s3, exec_lo
	s_delay_alu instid0(VALU_DEP_1)
	v_cmpx_gt_u32_e64 s4, v15
	s_cbranch_execz .LBB1585_305
; %bb.297:
	s_mov_b32 s5, exec_lo
	v_cmpx_le_u32_e64 v5, v15
	s_xor_b32 s5, exec_lo, s5
	s_cbranch_execz .LBB1585_303
; %bb.298:
	s_mov_b32 s6, exec_lo
	v_cmpx_le_u32_e64 v14, v15
	s_xor_b32 s6, exec_lo, s6
	s_cbranch_execz .LBB1585_300
; %bb.299:
	v_lshlrev_b32_e32 v16, 2, v0
	v_add_co_u32 v15, vcc_lo, v7, v15
	ds_load_b32 v17, v16 offset:6144
	v_add_co_ci_u32_e32 v16, vcc_lo, 0, v13, vcc_lo
	s_delay_alu instid0(VALU_DEP_1) | instskip(NEXT) | instid1(VALU_DEP_1)
	v_lshlrev_b64 v[15:16], 2, v[15:16]
	v_sub_co_u32 v15, vcc_lo, s1, v15
	s_delay_alu instid0(VALU_DEP_2)
	v_sub_co_ci_u32_e32 v16, vcc_lo, s0, v16, vcc_lo
	s_waitcnt lgkmcnt(0)
	global_store_b32 v[15:16], v17, off
                                        ; implicit-def: $vgpr15
.LBB1585_300:
	s_and_not1_saveexec_b32 s6, s6
	s_cbranch_execz .LBB1585_302
; %bb.301:
	v_lshlrev_b32_e32 v16, 2, v0
	v_lshlrev_b32_e32 v15, 2, v15
	v_readfirstlane_b32 s8, v9
	v_readfirstlane_b32 s9, v10
	ds_load_b32 v16, v16 offset:6144
	s_waitcnt lgkmcnt(0)
	global_store_b32 v15, v16, s[8:9]
.LBB1585_302:
	s_or_b32 exec_lo, exec_lo, s6
                                        ; implicit-def: $vgpr15
.LBB1585_303:
	s_and_not1_saveexec_b32 s5, s5
	s_cbranch_execz .LBB1585_305
; %bb.304:
	v_lshlrev_b32_e32 v16, 2, v0
	v_lshlrev_b32_e32 v15, 2, v15
	v_readfirstlane_b32 s6, v11
	v_readfirstlane_b32 s7, v12
	ds_load_b32 v16, v16 offset:6144
	s_waitcnt lgkmcnt(0)
	global_store_b32 v15, v16, s[6:7]
.LBB1585_305:
	;; [unrolled: 55-line block ×7, first 2 shown]
	s_or_b32 exec_lo, exec_lo, s3
	v_or_b32_e32 v15, 0xc00, v0
	s_mov_b32 s3, exec_lo
	s_delay_alu instid0(VALU_DEP_1)
	v_cmpx_gt_u32_e64 s4, v15
	s_cbranch_execz .LBB1585_359
; %bb.351:
	s_mov_b32 s4, exec_lo
	v_cmpx_le_u32_e64 v5, v15
	s_xor_b32 s4, exec_lo, s4
	s_cbranch_execz .LBB1585_357
; %bb.352:
	s_mov_b32 s5, exec_lo
	v_cmpx_le_u32_e64 v14, v15
	s_xor_b32 s5, exec_lo, s5
	s_cbranch_execz .LBB1585_354
; %bb.353:
	v_lshlrev_b32_e32 v0, 2, v0
	v_add_co_u32 v9, vcc_lo, v7, v15
	v_add_co_ci_u32_e32 v10, vcc_lo, 0, v13, vcc_lo
	ds_load_b32 v0, v0 offset:12288
                                        ; implicit-def: $vgpr15
	v_lshlrev_b64 v[9:10], 2, v[9:10]
	s_delay_alu instid0(VALU_DEP_1) | instskip(NEXT) | instid1(VALU_DEP_2)
	v_sub_co_u32 v9, vcc_lo, s1, v9
	v_sub_co_ci_u32_e32 v10, vcc_lo, s0, v10, vcc_lo
	s_waitcnt lgkmcnt(0)
	global_store_b32 v[9:10], v0, off
                                        ; implicit-def: $vgpr0
                                        ; implicit-def: $vgpr9_vgpr10
.LBB1585_354:
	s_and_not1_saveexec_b32 s0, s5
	s_cbranch_execz .LBB1585_356
; %bb.355:
	v_lshlrev_b32_e32 v0, 2, v0
	v_lshlrev_b32_e32 v7, 2, v15
	v_readfirstlane_b32 s6, v9
	v_readfirstlane_b32 s7, v10
	ds_load_b32 v0, v0 offset:12288
	s_waitcnt lgkmcnt(0)
	global_store_b32 v7, v0, s[6:7]
.LBB1585_356:
	s_or_b32 exec_lo, exec_lo, s0
                                        ; implicit-def: $vgpr0
                                        ; implicit-def: $vgpr15
                                        ; implicit-def: $vgpr11_vgpr12
.LBB1585_357:
	s_and_not1_saveexec_b32 s0, s4
	s_cbranch_execz .LBB1585_359
; %bb.358:
	v_lshlrev_b32_e32 v0, 2, v0
	v_lshlrev_b32_e32 v7, 2, v15
	v_readfirstlane_b32 s0, v11
	v_readfirstlane_b32 s1, v12
	ds_load_b32 v0, v0 offset:12288
	s_waitcnt lgkmcnt(0)
	global_store_b32 v7, v0, s[0:1]
.LBB1585_359:
	s_or_b32 exec_lo, exec_lo, s3
	s_and_b32 s0, s2, s13
	s_delay_alu instid0(SALU_CYCLE_1)
	s_and_saveexec_b32 s1, s0
	s_cbranch_execz .LBB1585_136
.LBB1585_360:
	v_add_co_u32 v3, vcc_lo, v3, v6
	v_add_co_ci_u32_e32 v4, vcc_lo, 0, v4, vcc_lo
	v_add_co_u32 v0, vcc_lo, v1, v5
	v_add_co_ci_u32_e32 v1, vcc_lo, 0, v2, vcc_lo
	s_delay_alu instid0(VALU_DEP_4)
	v_add_co_u32 v2, vcc_lo, v3, v8
	v_mov_b32_e32 v7, 0
	v_add_co_ci_u32_e32 v3, vcc_lo, 0, v4, vcc_lo
	global_store_b128 v7, v[0:3], s[24:25]
	s_nop 0
	s_sendmsg sendmsg(MSG_DEALLOC_VGPRS)
	s_endpgm
.LBB1585_361:
	v_add_nc_u32_e32 v7, s6, v27
	s_add_i32 s8, s26, 32
	s_mov_b32 s9, 0
	v_dual_mov_b32 v9, 0 :: v_dual_add_nc_u32 v6, v26, v5
	s_lshl_b64 s[8:9], s[8:9], 4
	v_and_b32_e32 v24, 0xff0000, v7
	s_add_u32 s8, s36, s8
	s_addc_u32 s9, s37, s9
	v_and_b32_e32 v8, 0xff000000, v7
	s_delay_alu instid0(VALU_DEP_1) | instskip(SKIP_2) | instid1(VALU_DEP_1)
	v_or_b32_e32 v24, v24, v8
	v_dual_mov_b32 v8, 2 :: v_dual_and_b32 v25, 0xff00, v7
	v_and_b32_e32 v7, 0xff, v7
	v_or3_b32 v7, v24, v25, v7
	v_dual_mov_b32 v25, s9 :: v_dual_mov_b32 v24, s8
	;;#ASMSTART
	global_store_dwordx4 v[24:25], v[6:9] off	
s_waitcnt vmcnt(0)
	;;#ASMEND
	s_or_b32 exec_lo, exec_lo, s7
	s_and_saveexec_b32 s7, s3
	s_cbranch_execz .LBB1585_120
.LBB1585_362:
	v_mov_b32_e32 v6, s6
	v_add_nc_u32_e64 v7, 0x3400, 0
	ds_store_2addr_b32 v7, v5, v6 offset1:2
	ds_store_2addr_b32 v7, v26, v27 offset0:4 offset1:6
	s_or_b32 exec_lo, exec_lo, s7
	s_delay_alu instid0(SALU_CYCLE_1)
	s_and_b32 exec_lo, exec_lo, s2
	s_cbranch_execnz .LBB1585_121
	s_branch .LBB1585_122
	.section	.rodata,"a",@progbits
	.p2align	6, 0x0
	.amdhsa_kernel _ZN7rocprim17ROCPRIM_400000_NS6detail17trampoline_kernelINS0_13select_configILj256ELj13ELNS0_17block_load_methodE3ELS4_3ELS4_3ELNS0_20block_scan_algorithmE0ELj4294967295EEENS1_25partition_config_selectorILNS1_17partition_subalgoE4EjNS0_10empty_typeEbEEZZNS1_14partition_implILS8_4ELb0ES6_15HIP_vector_typeIjLj2EENS0_17counting_iteratorIjlEEPS9_SG_NS0_5tupleIJPjSI_NS0_16reverse_iteratorISI_EEEEENSH_IJSG_SG_SG_EEES9_SI_JZNS1_25segmented_radix_sort_implINS0_14default_configELb0EPKbPbPKlPlN2at6native12_GLOBAL__N_18offset_tEEE10hipError_tPvRmT1_PNSt15iterator_traitsIS12_E10value_typeET2_T3_PNS13_IS18_E10value_typeET4_jRbjT5_S1E_jjP12ihipStream_tbEUljE_ZNSN_ISO_Lb0ESQ_SR_ST_SU_SY_EESZ_S10_S11_S12_S16_S17_S18_S1B_S1C_jS1D_jS1E_S1E_jjS1G_bEUljE0_EEESZ_S10_S11_S18_S1C_S1E_T6_T7_T9_mT8_S1G_bDpT10_ENKUlT_T0_E_clISt17integral_constantIbLb1EES1U_EEDaS1P_S1Q_EUlS1P_E_NS1_11comp_targetILNS1_3genE9ELNS1_11target_archE1100ELNS1_3gpuE3ELNS1_3repE0EEENS1_30default_config_static_selectorELNS0_4arch9wavefront6targetE0EEEvS12_
		.amdhsa_group_segment_fixed_size 13340
		.amdhsa_private_segment_fixed_size 0
		.amdhsa_kernarg_size 184
		.amdhsa_user_sgpr_count 15
		.amdhsa_user_sgpr_dispatch_ptr 0
		.amdhsa_user_sgpr_queue_ptr 0
		.amdhsa_user_sgpr_kernarg_segment_ptr 1
		.amdhsa_user_sgpr_dispatch_id 0
		.amdhsa_user_sgpr_private_segment_size 0
		.amdhsa_wavefront_size32 1
		.amdhsa_uses_dynamic_stack 0
		.amdhsa_enable_private_segment 0
		.amdhsa_system_sgpr_workgroup_id_x 1
		.amdhsa_system_sgpr_workgroup_id_y 0
		.amdhsa_system_sgpr_workgroup_id_z 0
		.amdhsa_system_sgpr_workgroup_info 0
		.amdhsa_system_vgpr_workitem_id 0
		.amdhsa_next_free_vgpr 103
		.amdhsa_next_free_sgpr 55
		.amdhsa_reserve_vcc 1
		.amdhsa_float_round_mode_32 0
		.amdhsa_float_round_mode_16_64 0
		.amdhsa_float_denorm_mode_32 3
		.amdhsa_float_denorm_mode_16_64 3
		.amdhsa_dx10_clamp 1
		.amdhsa_ieee_mode 1
		.amdhsa_fp16_overflow 0
		.amdhsa_workgroup_processor_mode 1
		.amdhsa_memory_ordered 1
		.amdhsa_forward_progress 0
		.amdhsa_shared_vgpr_count 0
		.amdhsa_exception_fp_ieee_invalid_op 0
		.amdhsa_exception_fp_denorm_src 0
		.amdhsa_exception_fp_ieee_div_zero 0
		.amdhsa_exception_fp_ieee_overflow 0
		.amdhsa_exception_fp_ieee_underflow 0
		.amdhsa_exception_fp_ieee_inexact 0
		.amdhsa_exception_int_div_zero 0
	.end_amdhsa_kernel
	.section	.text._ZN7rocprim17ROCPRIM_400000_NS6detail17trampoline_kernelINS0_13select_configILj256ELj13ELNS0_17block_load_methodE3ELS4_3ELS4_3ELNS0_20block_scan_algorithmE0ELj4294967295EEENS1_25partition_config_selectorILNS1_17partition_subalgoE4EjNS0_10empty_typeEbEEZZNS1_14partition_implILS8_4ELb0ES6_15HIP_vector_typeIjLj2EENS0_17counting_iteratorIjlEEPS9_SG_NS0_5tupleIJPjSI_NS0_16reverse_iteratorISI_EEEEENSH_IJSG_SG_SG_EEES9_SI_JZNS1_25segmented_radix_sort_implINS0_14default_configELb0EPKbPbPKlPlN2at6native12_GLOBAL__N_18offset_tEEE10hipError_tPvRmT1_PNSt15iterator_traitsIS12_E10value_typeET2_T3_PNS13_IS18_E10value_typeET4_jRbjT5_S1E_jjP12ihipStream_tbEUljE_ZNSN_ISO_Lb0ESQ_SR_ST_SU_SY_EESZ_S10_S11_S12_S16_S17_S18_S1B_S1C_jS1D_jS1E_S1E_jjS1G_bEUljE0_EEESZ_S10_S11_S18_S1C_S1E_T6_T7_T9_mT8_S1G_bDpT10_ENKUlT_T0_E_clISt17integral_constantIbLb1EES1U_EEDaS1P_S1Q_EUlS1P_E_NS1_11comp_targetILNS1_3genE9ELNS1_11target_archE1100ELNS1_3gpuE3ELNS1_3repE0EEENS1_30default_config_static_selectorELNS0_4arch9wavefront6targetE0EEEvS12_,"axG",@progbits,_ZN7rocprim17ROCPRIM_400000_NS6detail17trampoline_kernelINS0_13select_configILj256ELj13ELNS0_17block_load_methodE3ELS4_3ELS4_3ELNS0_20block_scan_algorithmE0ELj4294967295EEENS1_25partition_config_selectorILNS1_17partition_subalgoE4EjNS0_10empty_typeEbEEZZNS1_14partition_implILS8_4ELb0ES6_15HIP_vector_typeIjLj2EENS0_17counting_iteratorIjlEEPS9_SG_NS0_5tupleIJPjSI_NS0_16reverse_iteratorISI_EEEEENSH_IJSG_SG_SG_EEES9_SI_JZNS1_25segmented_radix_sort_implINS0_14default_configELb0EPKbPbPKlPlN2at6native12_GLOBAL__N_18offset_tEEE10hipError_tPvRmT1_PNSt15iterator_traitsIS12_E10value_typeET2_T3_PNS13_IS18_E10value_typeET4_jRbjT5_S1E_jjP12ihipStream_tbEUljE_ZNSN_ISO_Lb0ESQ_SR_ST_SU_SY_EESZ_S10_S11_S12_S16_S17_S18_S1B_S1C_jS1D_jS1E_S1E_jjS1G_bEUljE0_EEESZ_S10_S11_S18_S1C_S1E_T6_T7_T9_mT8_S1G_bDpT10_ENKUlT_T0_E_clISt17integral_constantIbLb1EES1U_EEDaS1P_S1Q_EUlS1P_E_NS1_11comp_targetILNS1_3genE9ELNS1_11target_archE1100ELNS1_3gpuE3ELNS1_3repE0EEENS1_30default_config_static_selectorELNS0_4arch9wavefront6targetE0EEEvS12_,comdat
.Lfunc_end1585:
	.size	_ZN7rocprim17ROCPRIM_400000_NS6detail17trampoline_kernelINS0_13select_configILj256ELj13ELNS0_17block_load_methodE3ELS4_3ELS4_3ELNS0_20block_scan_algorithmE0ELj4294967295EEENS1_25partition_config_selectorILNS1_17partition_subalgoE4EjNS0_10empty_typeEbEEZZNS1_14partition_implILS8_4ELb0ES6_15HIP_vector_typeIjLj2EENS0_17counting_iteratorIjlEEPS9_SG_NS0_5tupleIJPjSI_NS0_16reverse_iteratorISI_EEEEENSH_IJSG_SG_SG_EEES9_SI_JZNS1_25segmented_radix_sort_implINS0_14default_configELb0EPKbPbPKlPlN2at6native12_GLOBAL__N_18offset_tEEE10hipError_tPvRmT1_PNSt15iterator_traitsIS12_E10value_typeET2_T3_PNS13_IS18_E10value_typeET4_jRbjT5_S1E_jjP12ihipStream_tbEUljE_ZNSN_ISO_Lb0ESQ_SR_ST_SU_SY_EESZ_S10_S11_S12_S16_S17_S18_S1B_S1C_jS1D_jS1E_S1E_jjS1G_bEUljE0_EEESZ_S10_S11_S18_S1C_S1E_T6_T7_T9_mT8_S1G_bDpT10_ENKUlT_T0_E_clISt17integral_constantIbLb1EES1U_EEDaS1P_S1Q_EUlS1P_E_NS1_11comp_targetILNS1_3genE9ELNS1_11target_archE1100ELNS1_3gpuE3ELNS1_3repE0EEENS1_30default_config_static_selectorELNS0_4arch9wavefront6targetE0EEEvS12_, .Lfunc_end1585-_ZN7rocprim17ROCPRIM_400000_NS6detail17trampoline_kernelINS0_13select_configILj256ELj13ELNS0_17block_load_methodE3ELS4_3ELS4_3ELNS0_20block_scan_algorithmE0ELj4294967295EEENS1_25partition_config_selectorILNS1_17partition_subalgoE4EjNS0_10empty_typeEbEEZZNS1_14partition_implILS8_4ELb0ES6_15HIP_vector_typeIjLj2EENS0_17counting_iteratorIjlEEPS9_SG_NS0_5tupleIJPjSI_NS0_16reverse_iteratorISI_EEEEENSH_IJSG_SG_SG_EEES9_SI_JZNS1_25segmented_radix_sort_implINS0_14default_configELb0EPKbPbPKlPlN2at6native12_GLOBAL__N_18offset_tEEE10hipError_tPvRmT1_PNSt15iterator_traitsIS12_E10value_typeET2_T3_PNS13_IS18_E10value_typeET4_jRbjT5_S1E_jjP12ihipStream_tbEUljE_ZNSN_ISO_Lb0ESQ_SR_ST_SU_SY_EESZ_S10_S11_S12_S16_S17_S18_S1B_S1C_jS1D_jS1E_S1E_jjS1G_bEUljE0_EEESZ_S10_S11_S18_S1C_S1E_T6_T7_T9_mT8_S1G_bDpT10_ENKUlT_T0_E_clISt17integral_constantIbLb1EES1U_EEDaS1P_S1Q_EUlS1P_E_NS1_11comp_targetILNS1_3genE9ELNS1_11target_archE1100ELNS1_3gpuE3ELNS1_3repE0EEENS1_30default_config_static_selectorELNS0_4arch9wavefront6targetE0EEEvS12_
                                        ; -- End function
	.section	.AMDGPU.csdata,"",@progbits
; Kernel info:
; codeLenInByte = 15160
; NumSgprs: 57
; NumVgprs: 103
; ScratchSize: 0
; MemoryBound: 0
; FloatMode: 240
; IeeeMode: 1
; LDSByteSize: 13340 bytes/workgroup (compile time only)
; SGPRBlocks: 7
; VGPRBlocks: 12
; NumSGPRsForWavesPerEU: 57
; NumVGPRsForWavesPerEU: 103
; Occupancy: 12
; WaveLimiterHint : 1
; COMPUTE_PGM_RSRC2:SCRATCH_EN: 0
; COMPUTE_PGM_RSRC2:USER_SGPR: 15
; COMPUTE_PGM_RSRC2:TRAP_HANDLER: 0
; COMPUTE_PGM_RSRC2:TGID_X_EN: 1
; COMPUTE_PGM_RSRC2:TGID_Y_EN: 0
; COMPUTE_PGM_RSRC2:TGID_Z_EN: 0
; COMPUTE_PGM_RSRC2:TIDIG_COMP_CNT: 0
	.section	.text._ZN7rocprim17ROCPRIM_400000_NS6detail17trampoline_kernelINS0_13select_configILj256ELj13ELNS0_17block_load_methodE3ELS4_3ELS4_3ELNS0_20block_scan_algorithmE0ELj4294967295EEENS1_25partition_config_selectorILNS1_17partition_subalgoE4EjNS0_10empty_typeEbEEZZNS1_14partition_implILS8_4ELb0ES6_15HIP_vector_typeIjLj2EENS0_17counting_iteratorIjlEEPS9_SG_NS0_5tupleIJPjSI_NS0_16reverse_iteratorISI_EEEEENSH_IJSG_SG_SG_EEES9_SI_JZNS1_25segmented_radix_sort_implINS0_14default_configELb0EPKbPbPKlPlN2at6native12_GLOBAL__N_18offset_tEEE10hipError_tPvRmT1_PNSt15iterator_traitsIS12_E10value_typeET2_T3_PNS13_IS18_E10value_typeET4_jRbjT5_S1E_jjP12ihipStream_tbEUljE_ZNSN_ISO_Lb0ESQ_SR_ST_SU_SY_EESZ_S10_S11_S12_S16_S17_S18_S1B_S1C_jS1D_jS1E_S1E_jjS1G_bEUljE0_EEESZ_S10_S11_S18_S1C_S1E_T6_T7_T9_mT8_S1G_bDpT10_ENKUlT_T0_E_clISt17integral_constantIbLb1EES1U_EEDaS1P_S1Q_EUlS1P_E_NS1_11comp_targetILNS1_3genE8ELNS1_11target_archE1030ELNS1_3gpuE2ELNS1_3repE0EEENS1_30default_config_static_selectorELNS0_4arch9wavefront6targetE0EEEvS12_,"axG",@progbits,_ZN7rocprim17ROCPRIM_400000_NS6detail17trampoline_kernelINS0_13select_configILj256ELj13ELNS0_17block_load_methodE3ELS4_3ELS4_3ELNS0_20block_scan_algorithmE0ELj4294967295EEENS1_25partition_config_selectorILNS1_17partition_subalgoE4EjNS0_10empty_typeEbEEZZNS1_14partition_implILS8_4ELb0ES6_15HIP_vector_typeIjLj2EENS0_17counting_iteratorIjlEEPS9_SG_NS0_5tupleIJPjSI_NS0_16reverse_iteratorISI_EEEEENSH_IJSG_SG_SG_EEES9_SI_JZNS1_25segmented_radix_sort_implINS0_14default_configELb0EPKbPbPKlPlN2at6native12_GLOBAL__N_18offset_tEEE10hipError_tPvRmT1_PNSt15iterator_traitsIS12_E10value_typeET2_T3_PNS13_IS18_E10value_typeET4_jRbjT5_S1E_jjP12ihipStream_tbEUljE_ZNSN_ISO_Lb0ESQ_SR_ST_SU_SY_EESZ_S10_S11_S12_S16_S17_S18_S1B_S1C_jS1D_jS1E_S1E_jjS1G_bEUljE0_EEESZ_S10_S11_S18_S1C_S1E_T6_T7_T9_mT8_S1G_bDpT10_ENKUlT_T0_E_clISt17integral_constantIbLb1EES1U_EEDaS1P_S1Q_EUlS1P_E_NS1_11comp_targetILNS1_3genE8ELNS1_11target_archE1030ELNS1_3gpuE2ELNS1_3repE0EEENS1_30default_config_static_selectorELNS0_4arch9wavefront6targetE0EEEvS12_,comdat
	.globl	_ZN7rocprim17ROCPRIM_400000_NS6detail17trampoline_kernelINS0_13select_configILj256ELj13ELNS0_17block_load_methodE3ELS4_3ELS4_3ELNS0_20block_scan_algorithmE0ELj4294967295EEENS1_25partition_config_selectorILNS1_17partition_subalgoE4EjNS0_10empty_typeEbEEZZNS1_14partition_implILS8_4ELb0ES6_15HIP_vector_typeIjLj2EENS0_17counting_iteratorIjlEEPS9_SG_NS0_5tupleIJPjSI_NS0_16reverse_iteratorISI_EEEEENSH_IJSG_SG_SG_EEES9_SI_JZNS1_25segmented_radix_sort_implINS0_14default_configELb0EPKbPbPKlPlN2at6native12_GLOBAL__N_18offset_tEEE10hipError_tPvRmT1_PNSt15iterator_traitsIS12_E10value_typeET2_T3_PNS13_IS18_E10value_typeET4_jRbjT5_S1E_jjP12ihipStream_tbEUljE_ZNSN_ISO_Lb0ESQ_SR_ST_SU_SY_EESZ_S10_S11_S12_S16_S17_S18_S1B_S1C_jS1D_jS1E_S1E_jjS1G_bEUljE0_EEESZ_S10_S11_S18_S1C_S1E_T6_T7_T9_mT8_S1G_bDpT10_ENKUlT_T0_E_clISt17integral_constantIbLb1EES1U_EEDaS1P_S1Q_EUlS1P_E_NS1_11comp_targetILNS1_3genE8ELNS1_11target_archE1030ELNS1_3gpuE2ELNS1_3repE0EEENS1_30default_config_static_selectorELNS0_4arch9wavefront6targetE0EEEvS12_ ; -- Begin function _ZN7rocprim17ROCPRIM_400000_NS6detail17trampoline_kernelINS0_13select_configILj256ELj13ELNS0_17block_load_methodE3ELS4_3ELS4_3ELNS0_20block_scan_algorithmE0ELj4294967295EEENS1_25partition_config_selectorILNS1_17partition_subalgoE4EjNS0_10empty_typeEbEEZZNS1_14partition_implILS8_4ELb0ES6_15HIP_vector_typeIjLj2EENS0_17counting_iteratorIjlEEPS9_SG_NS0_5tupleIJPjSI_NS0_16reverse_iteratorISI_EEEEENSH_IJSG_SG_SG_EEES9_SI_JZNS1_25segmented_radix_sort_implINS0_14default_configELb0EPKbPbPKlPlN2at6native12_GLOBAL__N_18offset_tEEE10hipError_tPvRmT1_PNSt15iterator_traitsIS12_E10value_typeET2_T3_PNS13_IS18_E10value_typeET4_jRbjT5_S1E_jjP12ihipStream_tbEUljE_ZNSN_ISO_Lb0ESQ_SR_ST_SU_SY_EESZ_S10_S11_S12_S16_S17_S18_S1B_S1C_jS1D_jS1E_S1E_jjS1G_bEUljE0_EEESZ_S10_S11_S18_S1C_S1E_T6_T7_T9_mT8_S1G_bDpT10_ENKUlT_T0_E_clISt17integral_constantIbLb1EES1U_EEDaS1P_S1Q_EUlS1P_E_NS1_11comp_targetILNS1_3genE8ELNS1_11target_archE1030ELNS1_3gpuE2ELNS1_3repE0EEENS1_30default_config_static_selectorELNS0_4arch9wavefront6targetE0EEEvS12_
	.p2align	8
	.type	_ZN7rocprim17ROCPRIM_400000_NS6detail17trampoline_kernelINS0_13select_configILj256ELj13ELNS0_17block_load_methodE3ELS4_3ELS4_3ELNS0_20block_scan_algorithmE0ELj4294967295EEENS1_25partition_config_selectorILNS1_17partition_subalgoE4EjNS0_10empty_typeEbEEZZNS1_14partition_implILS8_4ELb0ES6_15HIP_vector_typeIjLj2EENS0_17counting_iteratorIjlEEPS9_SG_NS0_5tupleIJPjSI_NS0_16reverse_iteratorISI_EEEEENSH_IJSG_SG_SG_EEES9_SI_JZNS1_25segmented_radix_sort_implINS0_14default_configELb0EPKbPbPKlPlN2at6native12_GLOBAL__N_18offset_tEEE10hipError_tPvRmT1_PNSt15iterator_traitsIS12_E10value_typeET2_T3_PNS13_IS18_E10value_typeET4_jRbjT5_S1E_jjP12ihipStream_tbEUljE_ZNSN_ISO_Lb0ESQ_SR_ST_SU_SY_EESZ_S10_S11_S12_S16_S17_S18_S1B_S1C_jS1D_jS1E_S1E_jjS1G_bEUljE0_EEESZ_S10_S11_S18_S1C_S1E_T6_T7_T9_mT8_S1G_bDpT10_ENKUlT_T0_E_clISt17integral_constantIbLb1EES1U_EEDaS1P_S1Q_EUlS1P_E_NS1_11comp_targetILNS1_3genE8ELNS1_11target_archE1030ELNS1_3gpuE2ELNS1_3repE0EEENS1_30default_config_static_selectorELNS0_4arch9wavefront6targetE0EEEvS12_,@function
_ZN7rocprim17ROCPRIM_400000_NS6detail17trampoline_kernelINS0_13select_configILj256ELj13ELNS0_17block_load_methodE3ELS4_3ELS4_3ELNS0_20block_scan_algorithmE0ELj4294967295EEENS1_25partition_config_selectorILNS1_17partition_subalgoE4EjNS0_10empty_typeEbEEZZNS1_14partition_implILS8_4ELb0ES6_15HIP_vector_typeIjLj2EENS0_17counting_iteratorIjlEEPS9_SG_NS0_5tupleIJPjSI_NS0_16reverse_iteratorISI_EEEEENSH_IJSG_SG_SG_EEES9_SI_JZNS1_25segmented_radix_sort_implINS0_14default_configELb0EPKbPbPKlPlN2at6native12_GLOBAL__N_18offset_tEEE10hipError_tPvRmT1_PNSt15iterator_traitsIS12_E10value_typeET2_T3_PNS13_IS18_E10value_typeET4_jRbjT5_S1E_jjP12ihipStream_tbEUljE_ZNSN_ISO_Lb0ESQ_SR_ST_SU_SY_EESZ_S10_S11_S12_S16_S17_S18_S1B_S1C_jS1D_jS1E_S1E_jjS1G_bEUljE0_EEESZ_S10_S11_S18_S1C_S1E_T6_T7_T9_mT8_S1G_bDpT10_ENKUlT_T0_E_clISt17integral_constantIbLb1EES1U_EEDaS1P_S1Q_EUlS1P_E_NS1_11comp_targetILNS1_3genE8ELNS1_11target_archE1030ELNS1_3gpuE2ELNS1_3repE0EEENS1_30default_config_static_selectorELNS0_4arch9wavefront6targetE0EEEvS12_: ; @_ZN7rocprim17ROCPRIM_400000_NS6detail17trampoline_kernelINS0_13select_configILj256ELj13ELNS0_17block_load_methodE3ELS4_3ELS4_3ELNS0_20block_scan_algorithmE0ELj4294967295EEENS1_25partition_config_selectorILNS1_17partition_subalgoE4EjNS0_10empty_typeEbEEZZNS1_14partition_implILS8_4ELb0ES6_15HIP_vector_typeIjLj2EENS0_17counting_iteratorIjlEEPS9_SG_NS0_5tupleIJPjSI_NS0_16reverse_iteratorISI_EEEEENSH_IJSG_SG_SG_EEES9_SI_JZNS1_25segmented_radix_sort_implINS0_14default_configELb0EPKbPbPKlPlN2at6native12_GLOBAL__N_18offset_tEEE10hipError_tPvRmT1_PNSt15iterator_traitsIS12_E10value_typeET2_T3_PNS13_IS18_E10value_typeET4_jRbjT5_S1E_jjP12ihipStream_tbEUljE_ZNSN_ISO_Lb0ESQ_SR_ST_SU_SY_EESZ_S10_S11_S12_S16_S17_S18_S1B_S1C_jS1D_jS1E_S1E_jjS1G_bEUljE0_EEESZ_S10_S11_S18_S1C_S1E_T6_T7_T9_mT8_S1G_bDpT10_ENKUlT_T0_E_clISt17integral_constantIbLb1EES1U_EEDaS1P_S1Q_EUlS1P_E_NS1_11comp_targetILNS1_3genE8ELNS1_11target_archE1030ELNS1_3gpuE2ELNS1_3repE0EEENS1_30default_config_static_selectorELNS0_4arch9wavefront6targetE0EEEvS12_
; %bb.0:
	.section	.rodata,"a",@progbits
	.p2align	6, 0x0
	.amdhsa_kernel _ZN7rocprim17ROCPRIM_400000_NS6detail17trampoline_kernelINS0_13select_configILj256ELj13ELNS0_17block_load_methodE3ELS4_3ELS4_3ELNS0_20block_scan_algorithmE0ELj4294967295EEENS1_25partition_config_selectorILNS1_17partition_subalgoE4EjNS0_10empty_typeEbEEZZNS1_14partition_implILS8_4ELb0ES6_15HIP_vector_typeIjLj2EENS0_17counting_iteratorIjlEEPS9_SG_NS0_5tupleIJPjSI_NS0_16reverse_iteratorISI_EEEEENSH_IJSG_SG_SG_EEES9_SI_JZNS1_25segmented_radix_sort_implINS0_14default_configELb0EPKbPbPKlPlN2at6native12_GLOBAL__N_18offset_tEEE10hipError_tPvRmT1_PNSt15iterator_traitsIS12_E10value_typeET2_T3_PNS13_IS18_E10value_typeET4_jRbjT5_S1E_jjP12ihipStream_tbEUljE_ZNSN_ISO_Lb0ESQ_SR_ST_SU_SY_EESZ_S10_S11_S12_S16_S17_S18_S1B_S1C_jS1D_jS1E_S1E_jjS1G_bEUljE0_EEESZ_S10_S11_S18_S1C_S1E_T6_T7_T9_mT8_S1G_bDpT10_ENKUlT_T0_E_clISt17integral_constantIbLb1EES1U_EEDaS1P_S1Q_EUlS1P_E_NS1_11comp_targetILNS1_3genE8ELNS1_11target_archE1030ELNS1_3gpuE2ELNS1_3repE0EEENS1_30default_config_static_selectorELNS0_4arch9wavefront6targetE0EEEvS12_
		.amdhsa_group_segment_fixed_size 0
		.amdhsa_private_segment_fixed_size 0
		.amdhsa_kernarg_size 184
		.amdhsa_user_sgpr_count 15
		.amdhsa_user_sgpr_dispatch_ptr 0
		.amdhsa_user_sgpr_queue_ptr 0
		.amdhsa_user_sgpr_kernarg_segment_ptr 1
		.amdhsa_user_sgpr_dispatch_id 0
		.amdhsa_user_sgpr_private_segment_size 0
		.amdhsa_wavefront_size32 1
		.amdhsa_uses_dynamic_stack 0
		.amdhsa_enable_private_segment 0
		.amdhsa_system_sgpr_workgroup_id_x 1
		.amdhsa_system_sgpr_workgroup_id_y 0
		.amdhsa_system_sgpr_workgroup_id_z 0
		.amdhsa_system_sgpr_workgroup_info 0
		.amdhsa_system_vgpr_workitem_id 0
		.amdhsa_next_free_vgpr 1
		.amdhsa_next_free_sgpr 1
		.amdhsa_reserve_vcc 0
		.amdhsa_float_round_mode_32 0
		.amdhsa_float_round_mode_16_64 0
		.amdhsa_float_denorm_mode_32 3
		.amdhsa_float_denorm_mode_16_64 3
		.amdhsa_dx10_clamp 1
		.amdhsa_ieee_mode 1
		.amdhsa_fp16_overflow 0
		.amdhsa_workgroup_processor_mode 1
		.amdhsa_memory_ordered 1
		.amdhsa_forward_progress 0
		.amdhsa_shared_vgpr_count 0
		.amdhsa_exception_fp_ieee_invalid_op 0
		.amdhsa_exception_fp_denorm_src 0
		.amdhsa_exception_fp_ieee_div_zero 0
		.amdhsa_exception_fp_ieee_overflow 0
		.amdhsa_exception_fp_ieee_underflow 0
		.amdhsa_exception_fp_ieee_inexact 0
		.amdhsa_exception_int_div_zero 0
	.end_amdhsa_kernel
	.section	.text._ZN7rocprim17ROCPRIM_400000_NS6detail17trampoline_kernelINS0_13select_configILj256ELj13ELNS0_17block_load_methodE3ELS4_3ELS4_3ELNS0_20block_scan_algorithmE0ELj4294967295EEENS1_25partition_config_selectorILNS1_17partition_subalgoE4EjNS0_10empty_typeEbEEZZNS1_14partition_implILS8_4ELb0ES6_15HIP_vector_typeIjLj2EENS0_17counting_iteratorIjlEEPS9_SG_NS0_5tupleIJPjSI_NS0_16reverse_iteratorISI_EEEEENSH_IJSG_SG_SG_EEES9_SI_JZNS1_25segmented_radix_sort_implINS0_14default_configELb0EPKbPbPKlPlN2at6native12_GLOBAL__N_18offset_tEEE10hipError_tPvRmT1_PNSt15iterator_traitsIS12_E10value_typeET2_T3_PNS13_IS18_E10value_typeET4_jRbjT5_S1E_jjP12ihipStream_tbEUljE_ZNSN_ISO_Lb0ESQ_SR_ST_SU_SY_EESZ_S10_S11_S12_S16_S17_S18_S1B_S1C_jS1D_jS1E_S1E_jjS1G_bEUljE0_EEESZ_S10_S11_S18_S1C_S1E_T6_T7_T9_mT8_S1G_bDpT10_ENKUlT_T0_E_clISt17integral_constantIbLb1EES1U_EEDaS1P_S1Q_EUlS1P_E_NS1_11comp_targetILNS1_3genE8ELNS1_11target_archE1030ELNS1_3gpuE2ELNS1_3repE0EEENS1_30default_config_static_selectorELNS0_4arch9wavefront6targetE0EEEvS12_,"axG",@progbits,_ZN7rocprim17ROCPRIM_400000_NS6detail17trampoline_kernelINS0_13select_configILj256ELj13ELNS0_17block_load_methodE3ELS4_3ELS4_3ELNS0_20block_scan_algorithmE0ELj4294967295EEENS1_25partition_config_selectorILNS1_17partition_subalgoE4EjNS0_10empty_typeEbEEZZNS1_14partition_implILS8_4ELb0ES6_15HIP_vector_typeIjLj2EENS0_17counting_iteratorIjlEEPS9_SG_NS0_5tupleIJPjSI_NS0_16reverse_iteratorISI_EEEEENSH_IJSG_SG_SG_EEES9_SI_JZNS1_25segmented_radix_sort_implINS0_14default_configELb0EPKbPbPKlPlN2at6native12_GLOBAL__N_18offset_tEEE10hipError_tPvRmT1_PNSt15iterator_traitsIS12_E10value_typeET2_T3_PNS13_IS18_E10value_typeET4_jRbjT5_S1E_jjP12ihipStream_tbEUljE_ZNSN_ISO_Lb0ESQ_SR_ST_SU_SY_EESZ_S10_S11_S12_S16_S17_S18_S1B_S1C_jS1D_jS1E_S1E_jjS1G_bEUljE0_EEESZ_S10_S11_S18_S1C_S1E_T6_T7_T9_mT8_S1G_bDpT10_ENKUlT_T0_E_clISt17integral_constantIbLb1EES1U_EEDaS1P_S1Q_EUlS1P_E_NS1_11comp_targetILNS1_3genE8ELNS1_11target_archE1030ELNS1_3gpuE2ELNS1_3repE0EEENS1_30default_config_static_selectorELNS0_4arch9wavefront6targetE0EEEvS12_,comdat
.Lfunc_end1586:
	.size	_ZN7rocprim17ROCPRIM_400000_NS6detail17trampoline_kernelINS0_13select_configILj256ELj13ELNS0_17block_load_methodE3ELS4_3ELS4_3ELNS0_20block_scan_algorithmE0ELj4294967295EEENS1_25partition_config_selectorILNS1_17partition_subalgoE4EjNS0_10empty_typeEbEEZZNS1_14partition_implILS8_4ELb0ES6_15HIP_vector_typeIjLj2EENS0_17counting_iteratorIjlEEPS9_SG_NS0_5tupleIJPjSI_NS0_16reverse_iteratorISI_EEEEENSH_IJSG_SG_SG_EEES9_SI_JZNS1_25segmented_radix_sort_implINS0_14default_configELb0EPKbPbPKlPlN2at6native12_GLOBAL__N_18offset_tEEE10hipError_tPvRmT1_PNSt15iterator_traitsIS12_E10value_typeET2_T3_PNS13_IS18_E10value_typeET4_jRbjT5_S1E_jjP12ihipStream_tbEUljE_ZNSN_ISO_Lb0ESQ_SR_ST_SU_SY_EESZ_S10_S11_S12_S16_S17_S18_S1B_S1C_jS1D_jS1E_S1E_jjS1G_bEUljE0_EEESZ_S10_S11_S18_S1C_S1E_T6_T7_T9_mT8_S1G_bDpT10_ENKUlT_T0_E_clISt17integral_constantIbLb1EES1U_EEDaS1P_S1Q_EUlS1P_E_NS1_11comp_targetILNS1_3genE8ELNS1_11target_archE1030ELNS1_3gpuE2ELNS1_3repE0EEENS1_30default_config_static_selectorELNS0_4arch9wavefront6targetE0EEEvS12_, .Lfunc_end1586-_ZN7rocprim17ROCPRIM_400000_NS6detail17trampoline_kernelINS0_13select_configILj256ELj13ELNS0_17block_load_methodE3ELS4_3ELS4_3ELNS0_20block_scan_algorithmE0ELj4294967295EEENS1_25partition_config_selectorILNS1_17partition_subalgoE4EjNS0_10empty_typeEbEEZZNS1_14partition_implILS8_4ELb0ES6_15HIP_vector_typeIjLj2EENS0_17counting_iteratorIjlEEPS9_SG_NS0_5tupleIJPjSI_NS0_16reverse_iteratorISI_EEEEENSH_IJSG_SG_SG_EEES9_SI_JZNS1_25segmented_radix_sort_implINS0_14default_configELb0EPKbPbPKlPlN2at6native12_GLOBAL__N_18offset_tEEE10hipError_tPvRmT1_PNSt15iterator_traitsIS12_E10value_typeET2_T3_PNS13_IS18_E10value_typeET4_jRbjT5_S1E_jjP12ihipStream_tbEUljE_ZNSN_ISO_Lb0ESQ_SR_ST_SU_SY_EESZ_S10_S11_S12_S16_S17_S18_S1B_S1C_jS1D_jS1E_S1E_jjS1G_bEUljE0_EEESZ_S10_S11_S18_S1C_S1E_T6_T7_T9_mT8_S1G_bDpT10_ENKUlT_T0_E_clISt17integral_constantIbLb1EES1U_EEDaS1P_S1Q_EUlS1P_E_NS1_11comp_targetILNS1_3genE8ELNS1_11target_archE1030ELNS1_3gpuE2ELNS1_3repE0EEENS1_30default_config_static_selectorELNS0_4arch9wavefront6targetE0EEEvS12_
                                        ; -- End function
	.section	.AMDGPU.csdata,"",@progbits
; Kernel info:
; codeLenInByte = 0
; NumSgprs: 0
; NumVgprs: 0
; ScratchSize: 0
; MemoryBound: 0
; FloatMode: 240
; IeeeMode: 1
; LDSByteSize: 0 bytes/workgroup (compile time only)
; SGPRBlocks: 0
; VGPRBlocks: 0
; NumSGPRsForWavesPerEU: 1
; NumVGPRsForWavesPerEU: 1
; Occupancy: 16
; WaveLimiterHint : 0
; COMPUTE_PGM_RSRC2:SCRATCH_EN: 0
; COMPUTE_PGM_RSRC2:USER_SGPR: 15
; COMPUTE_PGM_RSRC2:TRAP_HANDLER: 0
; COMPUTE_PGM_RSRC2:TGID_X_EN: 1
; COMPUTE_PGM_RSRC2:TGID_Y_EN: 0
; COMPUTE_PGM_RSRC2:TGID_Z_EN: 0
; COMPUTE_PGM_RSRC2:TIDIG_COMP_CNT: 0
	.section	.text._ZN7rocprim17ROCPRIM_400000_NS6detail17trampoline_kernelINS0_13select_configILj256ELj13ELNS0_17block_load_methodE3ELS4_3ELS4_3ELNS0_20block_scan_algorithmE0ELj4294967295EEENS1_25partition_config_selectorILNS1_17partition_subalgoE4EjNS0_10empty_typeEbEEZZNS1_14partition_implILS8_4ELb0ES6_15HIP_vector_typeIjLj2EENS0_17counting_iteratorIjlEEPS9_SG_NS0_5tupleIJPjSI_NS0_16reverse_iteratorISI_EEEEENSH_IJSG_SG_SG_EEES9_SI_JZNS1_25segmented_radix_sort_implINS0_14default_configELb0EPKbPbPKlPlN2at6native12_GLOBAL__N_18offset_tEEE10hipError_tPvRmT1_PNSt15iterator_traitsIS12_E10value_typeET2_T3_PNS13_IS18_E10value_typeET4_jRbjT5_S1E_jjP12ihipStream_tbEUljE_ZNSN_ISO_Lb0ESQ_SR_ST_SU_SY_EESZ_S10_S11_S12_S16_S17_S18_S1B_S1C_jS1D_jS1E_S1E_jjS1G_bEUljE0_EEESZ_S10_S11_S18_S1C_S1E_T6_T7_T9_mT8_S1G_bDpT10_ENKUlT_T0_E_clISt17integral_constantIbLb1EES1T_IbLb0EEEEDaS1P_S1Q_EUlS1P_E_NS1_11comp_targetILNS1_3genE0ELNS1_11target_archE4294967295ELNS1_3gpuE0ELNS1_3repE0EEENS1_30default_config_static_selectorELNS0_4arch9wavefront6targetE0EEEvS12_,"axG",@progbits,_ZN7rocprim17ROCPRIM_400000_NS6detail17trampoline_kernelINS0_13select_configILj256ELj13ELNS0_17block_load_methodE3ELS4_3ELS4_3ELNS0_20block_scan_algorithmE0ELj4294967295EEENS1_25partition_config_selectorILNS1_17partition_subalgoE4EjNS0_10empty_typeEbEEZZNS1_14partition_implILS8_4ELb0ES6_15HIP_vector_typeIjLj2EENS0_17counting_iteratorIjlEEPS9_SG_NS0_5tupleIJPjSI_NS0_16reverse_iteratorISI_EEEEENSH_IJSG_SG_SG_EEES9_SI_JZNS1_25segmented_radix_sort_implINS0_14default_configELb0EPKbPbPKlPlN2at6native12_GLOBAL__N_18offset_tEEE10hipError_tPvRmT1_PNSt15iterator_traitsIS12_E10value_typeET2_T3_PNS13_IS18_E10value_typeET4_jRbjT5_S1E_jjP12ihipStream_tbEUljE_ZNSN_ISO_Lb0ESQ_SR_ST_SU_SY_EESZ_S10_S11_S12_S16_S17_S18_S1B_S1C_jS1D_jS1E_S1E_jjS1G_bEUljE0_EEESZ_S10_S11_S18_S1C_S1E_T6_T7_T9_mT8_S1G_bDpT10_ENKUlT_T0_E_clISt17integral_constantIbLb1EES1T_IbLb0EEEEDaS1P_S1Q_EUlS1P_E_NS1_11comp_targetILNS1_3genE0ELNS1_11target_archE4294967295ELNS1_3gpuE0ELNS1_3repE0EEENS1_30default_config_static_selectorELNS0_4arch9wavefront6targetE0EEEvS12_,comdat
	.globl	_ZN7rocprim17ROCPRIM_400000_NS6detail17trampoline_kernelINS0_13select_configILj256ELj13ELNS0_17block_load_methodE3ELS4_3ELS4_3ELNS0_20block_scan_algorithmE0ELj4294967295EEENS1_25partition_config_selectorILNS1_17partition_subalgoE4EjNS0_10empty_typeEbEEZZNS1_14partition_implILS8_4ELb0ES6_15HIP_vector_typeIjLj2EENS0_17counting_iteratorIjlEEPS9_SG_NS0_5tupleIJPjSI_NS0_16reverse_iteratorISI_EEEEENSH_IJSG_SG_SG_EEES9_SI_JZNS1_25segmented_radix_sort_implINS0_14default_configELb0EPKbPbPKlPlN2at6native12_GLOBAL__N_18offset_tEEE10hipError_tPvRmT1_PNSt15iterator_traitsIS12_E10value_typeET2_T3_PNS13_IS18_E10value_typeET4_jRbjT5_S1E_jjP12ihipStream_tbEUljE_ZNSN_ISO_Lb0ESQ_SR_ST_SU_SY_EESZ_S10_S11_S12_S16_S17_S18_S1B_S1C_jS1D_jS1E_S1E_jjS1G_bEUljE0_EEESZ_S10_S11_S18_S1C_S1E_T6_T7_T9_mT8_S1G_bDpT10_ENKUlT_T0_E_clISt17integral_constantIbLb1EES1T_IbLb0EEEEDaS1P_S1Q_EUlS1P_E_NS1_11comp_targetILNS1_3genE0ELNS1_11target_archE4294967295ELNS1_3gpuE0ELNS1_3repE0EEENS1_30default_config_static_selectorELNS0_4arch9wavefront6targetE0EEEvS12_ ; -- Begin function _ZN7rocprim17ROCPRIM_400000_NS6detail17trampoline_kernelINS0_13select_configILj256ELj13ELNS0_17block_load_methodE3ELS4_3ELS4_3ELNS0_20block_scan_algorithmE0ELj4294967295EEENS1_25partition_config_selectorILNS1_17partition_subalgoE4EjNS0_10empty_typeEbEEZZNS1_14partition_implILS8_4ELb0ES6_15HIP_vector_typeIjLj2EENS0_17counting_iteratorIjlEEPS9_SG_NS0_5tupleIJPjSI_NS0_16reverse_iteratorISI_EEEEENSH_IJSG_SG_SG_EEES9_SI_JZNS1_25segmented_radix_sort_implINS0_14default_configELb0EPKbPbPKlPlN2at6native12_GLOBAL__N_18offset_tEEE10hipError_tPvRmT1_PNSt15iterator_traitsIS12_E10value_typeET2_T3_PNS13_IS18_E10value_typeET4_jRbjT5_S1E_jjP12ihipStream_tbEUljE_ZNSN_ISO_Lb0ESQ_SR_ST_SU_SY_EESZ_S10_S11_S12_S16_S17_S18_S1B_S1C_jS1D_jS1E_S1E_jjS1G_bEUljE0_EEESZ_S10_S11_S18_S1C_S1E_T6_T7_T9_mT8_S1G_bDpT10_ENKUlT_T0_E_clISt17integral_constantIbLb1EES1T_IbLb0EEEEDaS1P_S1Q_EUlS1P_E_NS1_11comp_targetILNS1_3genE0ELNS1_11target_archE4294967295ELNS1_3gpuE0ELNS1_3repE0EEENS1_30default_config_static_selectorELNS0_4arch9wavefront6targetE0EEEvS12_
	.p2align	8
	.type	_ZN7rocprim17ROCPRIM_400000_NS6detail17trampoline_kernelINS0_13select_configILj256ELj13ELNS0_17block_load_methodE3ELS4_3ELS4_3ELNS0_20block_scan_algorithmE0ELj4294967295EEENS1_25partition_config_selectorILNS1_17partition_subalgoE4EjNS0_10empty_typeEbEEZZNS1_14partition_implILS8_4ELb0ES6_15HIP_vector_typeIjLj2EENS0_17counting_iteratorIjlEEPS9_SG_NS0_5tupleIJPjSI_NS0_16reverse_iteratorISI_EEEEENSH_IJSG_SG_SG_EEES9_SI_JZNS1_25segmented_radix_sort_implINS0_14default_configELb0EPKbPbPKlPlN2at6native12_GLOBAL__N_18offset_tEEE10hipError_tPvRmT1_PNSt15iterator_traitsIS12_E10value_typeET2_T3_PNS13_IS18_E10value_typeET4_jRbjT5_S1E_jjP12ihipStream_tbEUljE_ZNSN_ISO_Lb0ESQ_SR_ST_SU_SY_EESZ_S10_S11_S12_S16_S17_S18_S1B_S1C_jS1D_jS1E_S1E_jjS1G_bEUljE0_EEESZ_S10_S11_S18_S1C_S1E_T6_T7_T9_mT8_S1G_bDpT10_ENKUlT_T0_E_clISt17integral_constantIbLb1EES1T_IbLb0EEEEDaS1P_S1Q_EUlS1P_E_NS1_11comp_targetILNS1_3genE0ELNS1_11target_archE4294967295ELNS1_3gpuE0ELNS1_3repE0EEENS1_30default_config_static_selectorELNS0_4arch9wavefront6targetE0EEEvS12_,@function
_ZN7rocprim17ROCPRIM_400000_NS6detail17trampoline_kernelINS0_13select_configILj256ELj13ELNS0_17block_load_methodE3ELS4_3ELS4_3ELNS0_20block_scan_algorithmE0ELj4294967295EEENS1_25partition_config_selectorILNS1_17partition_subalgoE4EjNS0_10empty_typeEbEEZZNS1_14partition_implILS8_4ELb0ES6_15HIP_vector_typeIjLj2EENS0_17counting_iteratorIjlEEPS9_SG_NS0_5tupleIJPjSI_NS0_16reverse_iteratorISI_EEEEENSH_IJSG_SG_SG_EEES9_SI_JZNS1_25segmented_radix_sort_implINS0_14default_configELb0EPKbPbPKlPlN2at6native12_GLOBAL__N_18offset_tEEE10hipError_tPvRmT1_PNSt15iterator_traitsIS12_E10value_typeET2_T3_PNS13_IS18_E10value_typeET4_jRbjT5_S1E_jjP12ihipStream_tbEUljE_ZNSN_ISO_Lb0ESQ_SR_ST_SU_SY_EESZ_S10_S11_S12_S16_S17_S18_S1B_S1C_jS1D_jS1E_S1E_jjS1G_bEUljE0_EEESZ_S10_S11_S18_S1C_S1E_T6_T7_T9_mT8_S1G_bDpT10_ENKUlT_T0_E_clISt17integral_constantIbLb1EES1T_IbLb0EEEEDaS1P_S1Q_EUlS1P_E_NS1_11comp_targetILNS1_3genE0ELNS1_11target_archE4294967295ELNS1_3gpuE0ELNS1_3repE0EEENS1_30default_config_static_selectorELNS0_4arch9wavefront6targetE0EEEvS12_: ; @_ZN7rocprim17ROCPRIM_400000_NS6detail17trampoline_kernelINS0_13select_configILj256ELj13ELNS0_17block_load_methodE3ELS4_3ELS4_3ELNS0_20block_scan_algorithmE0ELj4294967295EEENS1_25partition_config_selectorILNS1_17partition_subalgoE4EjNS0_10empty_typeEbEEZZNS1_14partition_implILS8_4ELb0ES6_15HIP_vector_typeIjLj2EENS0_17counting_iteratorIjlEEPS9_SG_NS0_5tupleIJPjSI_NS0_16reverse_iteratorISI_EEEEENSH_IJSG_SG_SG_EEES9_SI_JZNS1_25segmented_radix_sort_implINS0_14default_configELb0EPKbPbPKlPlN2at6native12_GLOBAL__N_18offset_tEEE10hipError_tPvRmT1_PNSt15iterator_traitsIS12_E10value_typeET2_T3_PNS13_IS18_E10value_typeET4_jRbjT5_S1E_jjP12ihipStream_tbEUljE_ZNSN_ISO_Lb0ESQ_SR_ST_SU_SY_EESZ_S10_S11_S12_S16_S17_S18_S1B_S1C_jS1D_jS1E_S1E_jjS1G_bEUljE0_EEESZ_S10_S11_S18_S1C_S1E_T6_T7_T9_mT8_S1G_bDpT10_ENKUlT_T0_E_clISt17integral_constantIbLb1EES1T_IbLb0EEEEDaS1P_S1Q_EUlS1P_E_NS1_11comp_targetILNS1_3genE0ELNS1_11target_archE4294967295ELNS1_3gpuE0ELNS1_3repE0EEENS1_30default_config_static_selectorELNS0_4arch9wavefront6targetE0EEEvS12_
; %bb.0:
	.section	.rodata,"a",@progbits
	.p2align	6, 0x0
	.amdhsa_kernel _ZN7rocprim17ROCPRIM_400000_NS6detail17trampoline_kernelINS0_13select_configILj256ELj13ELNS0_17block_load_methodE3ELS4_3ELS4_3ELNS0_20block_scan_algorithmE0ELj4294967295EEENS1_25partition_config_selectorILNS1_17partition_subalgoE4EjNS0_10empty_typeEbEEZZNS1_14partition_implILS8_4ELb0ES6_15HIP_vector_typeIjLj2EENS0_17counting_iteratorIjlEEPS9_SG_NS0_5tupleIJPjSI_NS0_16reverse_iteratorISI_EEEEENSH_IJSG_SG_SG_EEES9_SI_JZNS1_25segmented_radix_sort_implINS0_14default_configELb0EPKbPbPKlPlN2at6native12_GLOBAL__N_18offset_tEEE10hipError_tPvRmT1_PNSt15iterator_traitsIS12_E10value_typeET2_T3_PNS13_IS18_E10value_typeET4_jRbjT5_S1E_jjP12ihipStream_tbEUljE_ZNSN_ISO_Lb0ESQ_SR_ST_SU_SY_EESZ_S10_S11_S12_S16_S17_S18_S1B_S1C_jS1D_jS1E_S1E_jjS1G_bEUljE0_EEESZ_S10_S11_S18_S1C_S1E_T6_T7_T9_mT8_S1G_bDpT10_ENKUlT_T0_E_clISt17integral_constantIbLb1EES1T_IbLb0EEEEDaS1P_S1Q_EUlS1P_E_NS1_11comp_targetILNS1_3genE0ELNS1_11target_archE4294967295ELNS1_3gpuE0ELNS1_3repE0EEENS1_30default_config_static_selectorELNS0_4arch9wavefront6targetE0EEEvS12_
		.amdhsa_group_segment_fixed_size 0
		.amdhsa_private_segment_fixed_size 0
		.amdhsa_kernarg_size 176
		.amdhsa_user_sgpr_count 15
		.amdhsa_user_sgpr_dispatch_ptr 0
		.amdhsa_user_sgpr_queue_ptr 0
		.amdhsa_user_sgpr_kernarg_segment_ptr 1
		.amdhsa_user_sgpr_dispatch_id 0
		.amdhsa_user_sgpr_private_segment_size 0
		.amdhsa_wavefront_size32 1
		.amdhsa_uses_dynamic_stack 0
		.amdhsa_enable_private_segment 0
		.amdhsa_system_sgpr_workgroup_id_x 1
		.amdhsa_system_sgpr_workgroup_id_y 0
		.amdhsa_system_sgpr_workgroup_id_z 0
		.amdhsa_system_sgpr_workgroup_info 0
		.amdhsa_system_vgpr_workitem_id 0
		.amdhsa_next_free_vgpr 1
		.amdhsa_next_free_sgpr 1
		.amdhsa_reserve_vcc 0
		.amdhsa_float_round_mode_32 0
		.amdhsa_float_round_mode_16_64 0
		.amdhsa_float_denorm_mode_32 3
		.amdhsa_float_denorm_mode_16_64 3
		.amdhsa_dx10_clamp 1
		.amdhsa_ieee_mode 1
		.amdhsa_fp16_overflow 0
		.amdhsa_workgroup_processor_mode 1
		.amdhsa_memory_ordered 1
		.amdhsa_forward_progress 0
		.amdhsa_shared_vgpr_count 0
		.amdhsa_exception_fp_ieee_invalid_op 0
		.amdhsa_exception_fp_denorm_src 0
		.amdhsa_exception_fp_ieee_div_zero 0
		.amdhsa_exception_fp_ieee_overflow 0
		.amdhsa_exception_fp_ieee_underflow 0
		.amdhsa_exception_fp_ieee_inexact 0
		.amdhsa_exception_int_div_zero 0
	.end_amdhsa_kernel
	.section	.text._ZN7rocprim17ROCPRIM_400000_NS6detail17trampoline_kernelINS0_13select_configILj256ELj13ELNS0_17block_load_methodE3ELS4_3ELS4_3ELNS0_20block_scan_algorithmE0ELj4294967295EEENS1_25partition_config_selectorILNS1_17partition_subalgoE4EjNS0_10empty_typeEbEEZZNS1_14partition_implILS8_4ELb0ES6_15HIP_vector_typeIjLj2EENS0_17counting_iteratorIjlEEPS9_SG_NS0_5tupleIJPjSI_NS0_16reverse_iteratorISI_EEEEENSH_IJSG_SG_SG_EEES9_SI_JZNS1_25segmented_radix_sort_implINS0_14default_configELb0EPKbPbPKlPlN2at6native12_GLOBAL__N_18offset_tEEE10hipError_tPvRmT1_PNSt15iterator_traitsIS12_E10value_typeET2_T3_PNS13_IS18_E10value_typeET4_jRbjT5_S1E_jjP12ihipStream_tbEUljE_ZNSN_ISO_Lb0ESQ_SR_ST_SU_SY_EESZ_S10_S11_S12_S16_S17_S18_S1B_S1C_jS1D_jS1E_S1E_jjS1G_bEUljE0_EEESZ_S10_S11_S18_S1C_S1E_T6_T7_T9_mT8_S1G_bDpT10_ENKUlT_T0_E_clISt17integral_constantIbLb1EES1T_IbLb0EEEEDaS1P_S1Q_EUlS1P_E_NS1_11comp_targetILNS1_3genE0ELNS1_11target_archE4294967295ELNS1_3gpuE0ELNS1_3repE0EEENS1_30default_config_static_selectorELNS0_4arch9wavefront6targetE0EEEvS12_,"axG",@progbits,_ZN7rocprim17ROCPRIM_400000_NS6detail17trampoline_kernelINS0_13select_configILj256ELj13ELNS0_17block_load_methodE3ELS4_3ELS4_3ELNS0_20block_scan_algorithmE0ELj4294967295EEENS1_25partition_config_selectorILNS1_17partition_subalgoE4EjNS0_10empty_typeEbEEZZNS1_14partition_implILS8_4ELb0ES6_15HIP_vector_typeIjLj2EENS0_17counting_iteratorIjlEEPS9_SG_NS0_5tupleIJPjSI_NS0_16reverse_iteratorISI_EEEEENSH_IJSG_SG_SG_EEES9_SI_JZNS1_25segmented_radix_sort_implINS0_14default_configELb0EPKbPbPKlPlN2at6native12_GLOBAL__N_18offset_tEEE10hipError_tPvRmT1_PNSt15iterator_traitsIS12_E10value_typeET2_T3_PNS13_IS18_E10value_typeET4_jRbjT5_S1E_jjP12ihipStream_tbEUljE_ZNSN_ISO_Lb0ESQ_SR_ST_SU_SY_EESZ_S10_S11_S12_S16_S17_S18_S1B_S1C_jS1D_jS1E_S1E_jjS1G_bEUljE0_EEESZ_S10_S11_S18_S1C_S1E_T6_T7_T9_mT8_S1G_bDpT10_ENKUlT_T0_E_clISt17integral_constantIbLb1EES1T_IbLb0EEEEDaS1P_S1Q_EUlS1P_E_NS1_11comp_targetILNS1_3genE0ELNS1_11target_archE4294967295ELNS1_3gpuE0ELNS1_3repE0EEENS1_30default_config_static_selectorELNS0_4arch9wavefront6targetE0EEEvS12_,comdat
.Lfunc_end1587:
	.size	_ZN7rocprim17ROCPRIM_400000_NS6detail17trampoline_kernelINS0_13select_configILj256ELj13ELNS0_17block_load_methodE3ELS4_3ELS4_3ELNS0_20block_scan_algorithmE0ELj4294967295EEENS1_25partition_config_selectorILNS1_17partition_subalgoE4EjNS0_10empty_typeEbEEZZNS1_14partition_implILS8_4ELb0ES6_15HIP_vector_typeIjLj2EENS0_17counting_iteratorIjlEEPS9_SG_NS0_5tupleIJPjSI_NS0_16reverse_iteratorISI_EEEEENSH_IJSG_SG_SG_EEES9_SI_JZNS1_25segmented_radix_sort_implINS0_14default_configELb0EPKbPbPKlPlN2at6native12_GLOBAL__N_18offset_tEEE10hipError_tPvRmT1_PNSt15iterator_traitsIS12_E10value_typeET2_T3_PNS13_IS18_E10value_typeET4_jRbjT5_S1E_jjP12ihipStream_tbEUljE_ZNSN_ISO_Lb0ESQ_SR_ST_SU_SY_EESZ_S10_S11_S12_S16_S17_S18_S1B_S1C_jS1D_jS1E_S1E_jjS1G_bEUljE0_EEESZ_S10_S11_S18_S1C_S1E_T6_T7_T9_mT8_S1G_bDpT10_ENKUlT_T0_E_clISt17integral_constantIbLb1EES1T_IbLb0EEEEDaS1P_S1Q_EUlS1P_E_NS1_11comp_targetILNS1_3genE0ELNS1_11target_archE4294967295ELNS1_3gpuE0ELNS1_3repE0EEENS1_30default_config_static_selectorELNS0_4arch9wavefront6targetE0EEEvS12_, .Lfunc_end1587-_ZN7rocprim17ROCPRIM_400000_NS6detail17trampoline_kernelINS0_13select_configILj256ELj13ELNS0_17block_load_methodE3ELS4_3ELS4_3ELNS0_20block_scan_algorithmE0ELj4294967295EEENS1_25partition_config_selectorILNS1_17partition_subalgoE4EjNS0_10empty_typeEbEEZZNS1_14partition_implILS8_4ELb0ES6_15HIP_vector_typeIjLj2EENS0_17counting_iteratorIjlEEPS9_SG_NS0_5tupleIJPjSI_NS0_16reverse_iteratorISI_EEEEENSH_IJSG_SG_SG_EEES9_SI_JZNS1_25segmented_radix_sort_implINS0_14default_configELb0EPKbPbPKlPlN2at6native12_GLOBAL__N_18offset_tEEE10hipError_tPvRmT1_PNSt15iterator_traitsIS12_E10value_typeET2_T3_PNS13_IS18_E10value_typeET4_jRbjT5_S1E_jjP12ihipStream_tbEUljE_ZNSN_ISO_Lb0ESQ_SR_ST_SU_SY_EESZ_S10_S11_S12_S16_S17_S18_S1B_S1C_jS1D_jS1E_S1E_jjS1G_bEUljE0_EEESZ_S10_S11_S18_S1C_S1E_T6_T7_T9_mT8_S1G_bDpT10_ENKUlT_T0_E_clISt17integral_constantIbLb1EES1T_IbLb0EEEEDaS1P_S1Q_EUlS1P_E_NS1_11comp_targetILNS1_3genE0ELNS1_11target_archE4294967295ELNS1_3gpuE0ELNS1_3repE0EEENS1_30default_config_static_selectorELNS0_4arch9wavefront6targetE0EEEvS12_
                                        ; -- End function
	.section	.AMDGPU.csdata,"",@progbits
; Kernel info:
; codeLenInByte = 0
; NumSgprs: 0
; NumVgprs: 0
; ScratchSize: 0
; MemoryBound: 0
; FloatMode: 240
; IeeeMode: 1
; LDSByteSize: 0 bytes/workgroup (compile time only)
; SGPRBlocks: 0
; VGPRBlocks: 0
; NumSGPRsForWavesPerEU: 1
; NumVGPRsForWavesPerEU: 1
; Occupancy: 16
; WaveLimiterHint : 0
; COMPUTE_PGM_RSRC2:SCRATCH_EN: 0
; COMPUTE_PGM_RSRC2:USER_SGPR: 15
; COMPUTE_PGM_RSRC2:TRAP_HANDLER: 0
; COMPUTE_PGM_RSRC2:TGID_X_EN: 1
; COMPUTE_PGM_RSRC2:TGID_Y_EN: 0
; COMPUTE_PGM_RSRC2:TGID_Z_EN: 0
; COMPUTE_PGM_RSRC2:TIDIG_COMP_CNT: 0
	.section	.text._ZN7rocprim17ROCPRIM_400000_NS6detail17trampoline_kernelINS0_13select_configILj256ELj13ELNS0_17block_load_methodE3ELS4_3ELS4_3ELNS0_20block_scan_algorithmE0ELj4294967295EEENS1_25partition_config_selectorILNS1_17partition_subalgoE4EjNS0_10empty_typeEbEEZZNS1_14partition_implILS8_4ELb0ES6_15HIP_vector_typeIjLj2EENS0_17counting_iteratorIjlEEPS9_SG_NS0_5tupleIJPjSI_NS0_16reverse_iteratorISI_EEEEENSH_IJSG_SG_SG_EEES9_SI_JZNS1_25segmented_radix_sort_implINS0_14default_configELb0EPKbPbPKlPlN2at6native12_GLOBAL__N_18offset_tEEE10hipError_tPvRmT1_PNSt15iterator_traitsIS12_E10value_typeET2_T3_PNS13_IS18_E10value_typeET4_jRbjT5_S1E_jjP12ihipStream_tbEUljE_ZNSN_ISO_Lb0ESQ_SR_ST_SU_SY_EESZ_S10_S11_S12_S16_S17_S18_S1B_S1C_jS1D_jS1E_S1E_jjS1G_bEUljE0_EEESZ_S10_S11_S18_S1C_S1E_T6_T7_T9_mT8_S1G_bDpT10_ENKUlT_T0_E_clISt17integral_constantIbLb1EES1T_IbLb0EEEEDaS1P_S1Q_EUlS1P_E_NS1_11comp_targetILNS1_3genE5ELNS1_11target_archE942ELNS1_3gpuE9ELNS1_3repE0EEENS1_30default_config_static_selectorELNS0_4arch9wavefront6targetE0EEEvS12_,"axG",@progbits,_ZN7rocprim17ROCPRIM_400000_NS6detail17trampoline_kernelINS0_13select_configILj256ELj13ELNS0_17block_load_methodE3ELS4_3ELS4_3ELNS0_20block_scan_algorithmE0ELj4294967295EEENS1_25partition_config_selectorILNS1_17partition_subalgoE4EjNS0_10empty_typeEbEEZZNS1_14partition_implILS8_4ELb0ES6_15HIP_vector_typeIjLj2EENS0_17counting_iteratorIjlEEPS9_SG_NS0_5tupleIJPjSI_NS0_16reverse_iteratorISI_EEEEENSH_IJSG_SG_SG_EEES9_SI_JZNS1_25segmented_radix_sort_implINS0_14default_configELb0EPKbPbPKlPlN2at6native12_GLOBAL__N_18offset_tEEE10hipError_tPvRmT1_PNSt15iterator_traitsIS12_E10value_typeET2_T3_PNS13_IS18_E10value_typeET4_jRbjT5_S1E_jjP12ihipStream_tbEUljE_ZNSN_ISO_Lb0ESQ_SR_ST_SU_SY_EESZ_S10_S11_S12_S16_S17_S18_S1B_S1C_jS1D_jS1E_S1E_jjS1G_bEUljE0_EEESZ_S10_S11_S18_S1C_S1E_T6_T7_T9_mT8_S1G_bDpT10_ENKUlT_T0_E_clISt17integral_constantIbLb1EES1T_IbLb0EEEEDaS1P_S1Q_EUlS1P_E_NS1_11comp_targetILNS1_3genE5ELNS1_11target_archE942ELNS1_3gpuE9ELNS1_3repE0EEENS1_30default_config_static_selectorELNS0_4arch9wavefront6targetE0EEEvS12_,comdat
	.globl	_ZN7rocprim17ROCPRIM_400000_NS6detail17trampoline_kernelINS0_13select_configILj256ELj13ELNS0_17block_load_methodE3ELS4_3ELS4_3ELNS0_20block_scan_algorithmE0ELj4294967295EEENS1_25partition_config_selectorILNS1_17partition_subalgoE4EjNS0_10empty_typeEbEEZZNS1_14partition_implILS8_4ELb0ES6_15HIP_vector_typeIjLj2EENS0_17counting_iteratorIjlEEPS9_SG_NS0_5tupleIJPjSI_NS0_16reverse_iteratorISI_EEEEENSH_IJSG_SG_SG_EEES9_SI_JZNS1_25segmented_radix_sort_implINS0_14default_configELb0EPKbPbPKlPlN2at6native12_GLOBAL__N_18offset_tEEE10hipError_tPvRmT1_PNSt15iterator_traitsIS12_E10value_typeET2_T3_PNS13_IS18_E10value_typeET4_jRbjT5_S1E_jjP12ihipStream_tbEUljE_ZNSN_ISO_Lb0ESQ_SR_ST_SU_SY_EESZ_S10_S11_S12_S16_S17_S18_S1B_S1C_jS1D_jS1E_S1E_jjS1G_bEUljE0_EEESZ_S10_S11_S18_S1C_S1E_T6_T7_T9_mT8_S1G_bDpT10_ENKUlT_T0_E_clISt17integral_constantIbLb1EES1T_IbLb0EEEEDaS1P_S1Q_EUlS1P_E_NS1_11comp_targetILNS1_3genE5ELNS1_11target_archE942ELNS1_3gpuE9ELNS1_3repE0EEENS1_30default_config_static_selectorELNS0_4arch9wavefront6targetE0EEEvS12_ ; -- Begin function _ZN7rocprim17ROCPRIM_400000_NS6detail17trampoline_kernelINS0_13select_configILj256ELj13ELNS0_17block_load_methodE3ELS4_3ELS4_3ELNS0_20block_scan_algorithmE0ELj4294967295EEENS1_25partition_config_selectorILNS1_17partition_subalgoE4EjNS0_10empty_typeEbEEZZNS1_14partition_implILS8_4ELb0ES6_15HIP_vector_typeIjLj2EENS0_17counting_iteratorIjlEEPS9_SG_NS0_5tupleIJPjSI_NS0_16reverse_iteratorISI_EEEEENSH_IJSG_SG_SG_EEES9_SI_JZNS1_25segmented_radix_sort_implINS0_14default_configELb0EPKbPbPKlPlN2at6native12_GLOBAL__N_18offset_tEEE10hipError_tPvRmT1_PNSt15iterator_traitsIS12_E10value_typeET2_T3_PNS13_IS18_E10value_typeET4_jRbjT5_S1E_jjP12ihipStream_tbEUljE_ZNSN_ISO_Lb0ESQ_SR_ST_SU_SY_EESZ_S10_S11_S12_S16_S17_S18_S1B_S1C_jS1D_jS1E_S1E_jjS1G_bEUljE0_EEESZ_S10_S11_S18_S1C_S1E_T6_T7_T9_mT8_S1G_bDpT10_ENKUlT_T0_E_clISt17integral_constantIbLb1EES1T_IbLb0EEEEDaS1P_S1Q_EUlS1P_E_NS1_11comp_targetILNS1_3genE5ELNS1_11target_archE942ELNS1_3gpuE9ELNS1_3repE0EEENS1_30default_config_static_selectorELNS0_4arch9wavefront6targetE0EEEvS12_
	.p2align	8
	.type	_ZN7rocprim17ROCPRIM_400000_NS6detail17trampoline_kernelINS0_13select_configILj256ELj13ELNS0_17block_load_methodE3ELS4_3ELS4_3ELNS0_20block_scan_algorithmE0ELj4294967295EEENS1_25partition_config_selectorILNS1_17partition_subalgoE4EjNS0_10empty_typeEbEEZZNS1_14partition_implILS8_4ELb0ES6_15HIP_vector_typeIjLj2EENS0_17counting_iteratorIjlEEPS9_SG_NS0_5tupleIJPjSI_NS0_16reverse_iteratorISI_EEEEENSH_IJSG_SG_SG_EEES9_SI_JZNS1_25segmented_radix_sort_implINS0_14default_configELb0EPKbPbPKlPlN2at6native12_GLOBAL__N_18offset_tEEE10hipError_tPvRmT1_PNSt15iterator_traitsIS12_E10value_typeET2_T3_PNS13_IS18_E10value_typeET4_jRbjT5_S1E_jjP12ihipStream_tbEUljE_ZNSN_ISO_Lb0ESQ_SR_ST_SU_SY_EESZ_S10_S11_S12_S16_S17_S18_S1B_S1C_jS1D_jS1E_S1E_jjS1G_bEUljE0_EEESZ_S10_S11_S18_S1C_S1E_T6_T7_T9_mT8_S1G_bDpT10_ENKUlT_T0_E_clISt17integral_constantIbLb1EES1T_IbLb0EEEEDaS1P_S1Q_EUlS1P_E_NS1_11comp_targetILNS1_3genE5ELNS1_11target_archE942ELNS1_3gpuE9ELNS1_3repE0EEENS1_30default_config_static_selectorELNS0_4arch9wavefront6targetE0EEEvS12_,@function
_ZN7rocprim17ROCPRIM_400000_NS6detail17trampoline_kernelINS0_13select_configILj256ELj13ELNS0_17block_load_methodE3ELS4_3ELS4_3ELNS0_20block_scan_algorithmE0ELj4294967295EEENS1_25partition_config_selectorILNS1_17partition_subalgoE4EjNS0_10empty_typeEbEEZZNS1_14partition_implILS8_4ELb0ES6_15HIP_vector_typeIjLj2EENS0_17counting_iteratorIjlEEPS9_SG_NS0_5tupleIJPjSI_NS0_16reverse_iteratorISI_EEEEENSH_IJSG_SG_SG_EEES9_SI_JZNS1_25segmented_radix_sort_implINS0_14default_configELb0EPKbPbPKlPlN2at6native12_GLOBAL__N_18offset_tEEE10hipError_tPvRmT1_PNSt15iterator_traitsIS12_E10value_typeET2_T3_PNS13_IS18_E10value_typeET4_jRbjT5_S1E_jjP12ihipStream_tbEUljE_ZNSN_ISO_Lb0ESQ_SR_ST_SU_SY_EESZ_S10_S11_S12_S16_S17_S18_S1B_S1C_jS1D_jS1E_S1E_jjS1G_bEUljE0_EEESZ_S10_S11_S18_S1C_S1E_T6_T7_T9_mT8_S1G_bDpT10_ENKUlT_T0_E_clISt17integral_constantIbLb1EES1T_IbLb0EEEEDaS1P_S1Q_EUlS1P_E_NS1_11comp_targetILNS1_3genE5ELNS1_11target_archE942ELNS1_3gpuE9ELNS1_3repE0EEENS1_30default_config_static_selectorELNS0_4arch9wavefront6targetE0EEEvS12_: ; @_ZN7rocprim17ROCPRIM_400000_NS6detail17trampoline_kernelINS0_13select_configILj256ELj13ELNS0_17block_load_methodE3ELS4_3ELS4_3ELNS0_20block_scan_algorithmE0ELj4294967295EEENS1_25partition_config_selectorILNS1_17partition_subalgoE4EjNS0_10empty_typeEbEEZZNS1_14partition_implILS8_4ELb0ES6_15HIP_vector_typeIjLj2EENS0_17counting_iteratorIjlEEPS9_SG_NS0_5tupleIJPjSI_NS0_16reverse_iteratorISI_EEEEENSH_IJSG_SG_SG_EEES9_SI_JZNS1_25segmented_radix_sort_implINS0_14default_configELb0EPKbPbPKlPlN2at6native12_GLOBAL__N_18offset_tEEE10hipError_tPvRmT1_PNSt15iterator_traitsIS12_E10value_typeET2_T3_PNS13_IS18_E10value_typeET4_jRbjT5_S1E_jjP12ihipStream_tbEUljE_ZNSN_ISO_Lb0ESQ_SR_ST_SU_SY_EESZ_S10_S11_S12_S16_S17_S18_S1B_S1C_jS1D_jS1E_S1E_jjS1G_bEUljE0_EEESZ_S10_S11_S18_S1C_S1E_T6_T7_T9_mT8_S1G_bDpT10_ENKUlT_T0_E_clISt17integral_constantIbLb1EES1T_IbLb0EEEEDaS1P_S1Q_EUlS1P_E_NS1_11comp_targetILNS1_3genE5ELNS1_11target_archE942ELNS1_3gpuE9ELNS1_3repE0EEENS1_30default_config_static_selectorELNS0_4arch9wavefront6targetE0EEEvS12_
; %bb.0:
	.section	.rodata,"a",@progbits
	.p2align	6, 0x0
	.amdhsa_kernel _ZN7rocprim17ROCPRIM_400000_NS6detail17trampoline_kernelINS0_13select_configILj256ELj13ELNS0_17block_load_methodE3ELS4_3ELS4_3ELNS0_20block_scan_algorithmE0ELj4294967295EEENS1_25partition_config_selectorILNS1_17partition_subalgoE4EjNS0_10empty_typeEbEEZZNS1_14partition_implILS8_4ELb0ES6_15HIP_vector_typeIjLj2EENS0_17counting_iteratorIjlEEPS9_SG_NS0_5tupleIJPjSI_NS0_16reverse_iteratorISI_EEEEENSH_IJSG_SG_SG_EEES9_SI_JZNS1_25segmented_radix_sort_implINS0_14default_configELb0EPKbPbPKlPlN2at6native12_GLOBAL__N_18offset_tEEE10hipError_tPvRmT1_PNSt15iterator_traitsIS12_E10value_typeET2_T3_PNS13_IS18_E10value_typeET4_jRbjT5_S1E_jjP12ihipStream_tbEUljE_ZNSN_ISO_Lb0ESQ_SR_ST_SU_SY_EESZ_S10_S11_S12_S16_S17_S18_S1B_S1C_jS1D_jS1E_S1E_jjS1G_bEUljE0_EEESZ_S10_S11_S18_S1C_S1E_T6_T7_T9_mT8_S1G_bDpT10_ENKUlT_T0_E_clISt17integral_constantIbLb1EES1T_IbLb0EEEEDaS1P_S1Q_EUlS1P_E_NS1_11comp_targetILNS1_3genE5ELNS1_11target_archE942ELNS1_3gpuE9ELNS1_3repE0EEENS1_30default_config_static_selectorELNS0_4arch9wavefront6targetE0EEEvS12_
		.amdhsa_group_segment_fixed_size 0
		.amdhsa_private_segment_fixed_size 0
		.amdhsa_kernarg_size 176
		.amdhsa_user_sgpr_count 15
		.amdhsa_user_sgpr_dispatch_ptr 0
		.amdhsa_user_sgpr_queue_ptr 0
		.amdhsa_user_sgpr_kernarg_segment_ptr 1
		.amdhsa_user_sgpr_dispatch_id 0
		.amdhsa_user_sgpr_private_segment_size 0
		.amdhsa_wavefront_size32 1
		.amdhsa_uses_dynamic_stack 0
		.amdhsa_enable_private_segment 0
		.amdhsa_system_sgpr_workgroup_id_x 1
		.amdhsa_system_sgpr_workgroup_id_y 0
		.amdhsa_system_sgpr_workgroup_id_z 0
		.amdhsa_system_sgpr_workgroup_info 0
		.amdhsa_system_vgpr_workitem_id 0
		.amdhsa_next_free_vgpr 1
		.amdhsa_next_free_sgpr 1
		.amdhsa_reserve_vcc 0
		.amdhsa_float_round_mode_32 0
		.amdhsa_float_round_mode_16_64 0
		.amdhsa_float_denorm_mode_32 3
		.amdhsa_float_denorm_mode_16_64 3
		.amdhsa_dx10_clamp 1
		.amdhsa_ieee_mode 1
		.amdhsa_fp16_overflow 0
		.amdhsa_workgroup_processor_mode 1
		.amdhsa_memory_ordered 1
		.amdhsa_forward_progress 0
		.amdhsa_shared_vgpr_count 0
		.amdhsa_exception_fp_ieee_invalid_op 0
		.amdhsa_exception_fp_denorm_src 0
		.amdhsa_exception_fp_ieee_div_zero 0
		.amdhsa_exception_fp_ieee_overflow 0
		.amdhsa_exception_fp_ieee_underflow 0
		.amdhsa_exception_fp_ieee_inexact 0
		.amdhsa_exception_int_div_zero 0
	.end_amdhsa_kernel
	.section	.text._ZN7rocprim17ROCPRIM_400000_NS6detail17trampoline_kernelINS0_13select_configILj256ELj13ELNS0_17block_load_methodE3ELS4_3ELS4_3ELNS0_20block_scan_algorithmE0ELj4294967295EEENS1_25partition_config_selectorILNS1_17partition_subalgoE4EjNS0_10empty_typeEbEEZZNS1_14partition_implILS8_4ELb0ES6_15HIP_vector_typeIjLj2EENS0_17counting_iteratorIjlEEPS9_SG_NS0_5tupleIJPjSI_NS0_16reverse_iteratorISI_EEEEENSH_IJSG_SG_SG_EEES9_SI_JZNS1_25segmented_radix_sort_implINS0_14default_configELb0EPKbPbPKlPlN2at6native12_GLOBAL__N_18offset_tEEE10hipError_tPvRmT1_PNSt15iterator_traitsIS12_E10value_typeET2_T3_PNS13_IS18_E10value_typeET4_jRbjT5_S1E_jjP12ihipStream_tbEUljE_ZNSN_ISO_Lb0ESQ_SR_ST_SU_SY_EESZ_S10_S11_S12_S16_S17_S18_S1B_S1C_jS1D_jS1E_S1E_jjS1G_bEUljE0_EEESZ_S10_S11_S18_S1C_S1E_T6_T7_T9_mT8_S1G_bDpT10_ENKUlT_T0_E_clISt17integral_constantIbLb1EES1T_IbLb0EEEEDaS1P_S1Q_EUlS1P_E_NS1_11comp_targetILNS1_3genE5ELNS1_11target_archE942ELNS1_3gpuE9ELNS1_3repE0EEENS1_30default_config_static_selectorELNS0_4arch9wavefront6targetE0EEEvS12_,"axG",@progbits,_ZN7rocprim17ROCPRIM_400000_NS6detail17trampoline_kernelINS0_13select_configILj256ELj13ELNS0_17block_load_methodE3ELS4_3ELS4_3ELNS0_20block_scan_algorithmE0ELj4294967295EEENS1_25partition_config_selectorILNS1_17partition_subalgoE4EjNS0_10empty_typeEbEEZZNS1_14partition_implILS8_4ELb0ES6_15HIP_vector_typeIjLj2EENS0_17counting_iteratorIjlEEPS9_SG_NS0_5tupleIJPjSI_NS0_16reverse_iteratorISI_EEEEENSH_IJSG_SG_SG_EEES9_SI_JZNS1_25segmented_radix_sort_implINS0_14default_configELb0EPKbPbPKlPlN2at6native12_GLOBAL__N_18offset_tEEE10hipError_tPvRmT1_PNSt15iterator_traitsIS12_E10value_typeET2_T3_PNS13_IS18_E10value_typeET4_jRbjT5_S1E_jjP12ihipStream_tbEUljE_ZNSN_ISO_Lb0ESQ_SR_ST_SU_SY_EESZ_S10_S11_S12_S16_S17_S18_S1B_S1C_jS1D_jS1E_S1E_jjS1G_bEUljE0_EEESZ_S10_S11_S18_S1C_S1E_T6_T7_T9_mT8_S1G_bDpT10_ENKUlT_T0_E_clISt17integral_constantIbLb1EES1T_IbLb0EEEEDaS1P_S1Q_EUlS1P_E_NS1_11comp_targetILNS1_3genE5ELNS1_11target_archE942ELNS1_3gpuE9ELNS1_3repE0EEENS1_30default_config_static_selectorELNS0_4arch9wavefront6targetE0EEEvS12_,comdat
.Lfunc_end1588:
	.size	_ZN7rocprim17ROCPRIM_400000_NS6detail17trampoline_kernelINS0_13select_configILj256ELj13ELNS0_17block_load_methodE3ELS4_3ELS4_3ELNS0_20block_scan_algorithmE0ELj4294967295EEENS1_25partition_config_selectorILNS1_17partition_subalgoE4EjNS0_10empty_typeEbEEZZNS1_14partition_implILS8_4ELb0ES6_15HIP_vector_typeIjLj2EENS0_17counting_iteratorIjlEEPS9_SG_NS0_5tupleIJPjSI_NS0_16reverse_iteratorISI_EEEEENSH_IJSG_SG_SG_EEES9_SI_JZNS1_25segmented_radix_sort_implINS0_14default_configELb0EPKbPbPKlPlN2at6native12_GLOBAL__N_18offset_tEEE10hipError_tPvRmT1_PNSt15iterator_traitsIS12_E10value_typeET2_T3_PNS13_IS18_E10value_typeET4_jRbjT5_S1E_jjP12ihipStream_tbEUljE_ZNSN_ISO_Lb0ESQ_SR_ST_SU_SY_EESZ_S10_S11_S12_S16_S17_S18_S1B_S1C_jS1D_jS1E_S1E_jjS1G_bEUljE0_EEESZ_S10_S11_S18_S1C_S1E_T6_T7_T9_mT8_S1G_bDpT10_ENKUlT_T0_E_clISt17integral_constantIbLb1EES1T_IbLb0EEEEDaS1P_S1Q_EUlS1P_E_NS1_11comp_targetILNS1_3genE5ELNS1_11target_archE942ELNS1_3gpuE9ELNS1_3repE0EEENS1_30default_config_static_selectorELNS0_4arch9wavefront6targetE0EEEvS12_, .Lfunc_end1588-_ZN7rocprim17ROCPRIM_400000_NS6detail17trampoline_kernelINS0_13select_configILj256ELj13ELNS0_17block_load_methodE3ELS4_3ELS4_3ELNS0_20block_scan_algorithmE0ELj4294967295EEENS1_25partition_config_selectorILNS1_17partition_subalgoE4EjNS0_10empty_typeEbEEZZNS1_14partition_implILS8_4ELb0ES6_15HIP_vector_typeIjLj2EENS0_17counting_iteratorIjlEEPS9_SG_NS0_5tupleIJPjSI_NS0_16reverse_iteratorISI_EEEEENSH_IJSG_SG_SG_EEES9_SI_JZNS1_25segmented_radix_sort_implINS0_14default_configELb0EPKbPbPKlPlN2at6native12_GLOBAL__N_18offset_tEEE10hipError_tPvRmT1_PNSt15iterator_traitsIS12_E10value_typeET2_T3_PNS13_IS18_E10value_typeET4_jRbjT5_S1E_jjP12ihipStream_tbEUljE_ZNSN_ISO_Lb0ESQ_SR_ST_SU_SY_EESZ_S10_S11_S12_S16_S17_S18_S1B_S1C_jS1D_jS1E_S1E_jjS1G_bEUljE0_EEESZ_S10_S11_S18_S1C_S1E_T6_T7_T9_mT8_S1G_bDpT10_ENKUlT_T0_E_clISt17integral_constantIbLb1EES1T_IbLb0EEEEDaS1P_S1Q_EUlS1P_E_NS1_11comp_targetILNS1_3genE5ELNS1_11target_archE942ELNS1_3gpuE9ELNS1_3repE0EEENS1_30default_config_static_selectorELNS0_4arch9wavefront6targetE0EEEvS12_
                                        ; -- End function
	.section	.AMDGPU.csdata,"",@progbits
; Kernel info:
; codeLenInByte = 0
; NumSgprs: 0
; NumVgprs: 0
; ScratchSize: 0
; MemoryBound: 0
; FloatMode: 240
; IeeeMode: 1
; LDSByteSize: 0 bytes/workgroup (compile time only)
; SGPRBlocks: 0
; VGPRBlocks: 0
; NumSGPRsForWavesPerEU: 1
; NumVGPRsForWavesPerEU: 1
; Occupancy: 16
; WaveLimiterHint : 0
; COMPUTE_PGM_RSRC2:SCRATCH_EN: 0
; COMPUTE_PGM_RSRC2:USER_SGPR: 15
; COMPUTE_PGM_RSRC2:TRAP_HANDLER: 0
; COMPUTE_PGM_RSRC2:TGID_X_EN: 1
; COMPUTE_PGM_RSRC2:TGID_Y_EN: 0
; COMPUTE_PGM_RSRC2:TGID_Z_EN: 0
; COMPUTE_PGM_RSRC2:TIDIG_COMP_CNT: 0
	.section	.text._ZN7rocprim17ROCPRIM_400000_NS6detail17trampoline_kernelINS0_13select_configILj256ELj13ELNS0_17block_load_methodE3ELS4_3ELS4_3ELNS0_20block_scan_algorithmE0ELj4294967295EEENS1_25partition_config_selectorILNS1_17partition_subalgoE4EjNS0_10empty_typeEbEEZZNS1_14partition_implILS8_4ELb0ES6_15HIP_vector_typeIjLj2EENS0_17counting_iteratorIjlEEPS9_SG_NS0_5tupleIJPjSI_NS0_16reverse_iteratorISI_EEEEENSH_IJSG_SG_SG_EEES9_SI_JZNS1_25segmented_radix_sort_implINS0_14default_configELb0EPKbPbPKlPlN2at6native12_GLOBAL__N_18offset_tEEE10hipError_tPvRmT1_PNSt15iterator_traitsIS12_E10value_typeET2_T3_PNS13_IS18_E10value_typeET4_jRbjT5_S1E_jjP12ihipStream_tbEUljE_ZNSN_ISO_Lb0ESQ_SR_ST_SU_SY_EESZ_S10_S11_S12_S16_S17_S18_S1B_S1C_jS1D_jS1E_S1E_jjS1G_bEUljE0_EEESZ_S10_S11_S18_S1C_S1E_T6_T7_T9_mT8_S1G_bDpT10_ENKUlT_T0_E_clISt17integral_constantIbLb1EES1T_IbLb0EEEEDaS1P_S1Q_EUlS1P_E_NS1_11comp_targetILNS1_3genE4ELNS1_11target_archE910ELNS1_3gpuE8ELNS1_3repE0EEENS1_30default_config_static_selectorELNS0_4arch9wavefront6targetE0EEEvS12_,"axG",@progbits,_ZN7rocprim17ROCPRIM_400000_NS6detail17trampoline_kernelINS0_13select_configILj256ELj13ELNS0_17block_load_methodE3ELS4_3ELS4_3ELNS0_20block_scan_algorithmE0ELj4294967295EEENS1_25partition_config_selectorILNS1_17partition_subalgoE4EjNS0_10empty_typeEbEEZZNS1_14partition_implILS8_4ELb0ES6_15HIP_vector_typeIjLj2EENS0_17counting_iteratorIjlEEPS9_SG_NS0_5tupleIJPjSI_NS0_16reverse_iteratorISI_EEEEENSH_IJSG_SG_SG_EEES9_SI_JZNS1_25segmented_radix_sort_implINS0_14default_configELb0EPKbPbPKlPlN2at6native12_GLOBAL__N_18offset_tEEE10hipError_tPvRmT1_PNSt15iterator_traitsIS12_E10value_typeET2_T3_PNS13_IS18_E10value_typeET4_jRbjT5_S1E_jjP12ihipStream_tbEUljE_ZNSN_ISO_Lb0ESQ_SR_ST_SU_SY_EESZ_S10_S11_S12_S16_S17_S18_S1B_S1C_jS1D_jS1E_S1E_jjS1G_bEUljE0_EEESZ_S10_S11_S18_S1C_S1E_T6_T7_T9_mT8_S1G_bDpT10_ENKUlT_T0_E_clISt17integral_constantIbLb1EES1T_IbLb0EEEEDaS1P_S1Q_EUlS1P_E_NS1_11comp_targetILNS1_3genE4ELNS1_11target_archE910ELNS1_3gpuE8ELNS1_3repE0EEENS1_30default_config_static_selectorELNS0_4arch9wavefront6targetE0EEEvS12_,comdat
	.globl	_ZN7rocprim17ROCPRIM_400000_NS6detail17trampoline_kernelINS0_13select_configILj256ELj13ELNS0_17block_load_methodE3ELS4_3ELS4_3ELNS0_20block_scan_algorithmE0ELj4294967295EEENS1_25partition_config_selectorILNS1_17partition_subalgoE4EjNS0_10empty_typeEbEEZZNS1_14partition_implILS8_4ELb0ES6_15HIP_vector_typeIjLj2EENS0_17counting_iteratorIjlEEPS9_SG_NS0_5tupleIJPjSI_NS0_16reverse_iteratorISI_EEEEENSH_IJSG_SG_SG_EEES9_SI_JZNS1_25segmented_radix_sort_implINS0_14default_configELb0EPKbPbPKlPlN2at6native12_GLOBAL__N_18offset_tEEE10hipError_tPvRmT1_PNSt15iterator_traitsIS12_E10value_typeET2_T3_PNS13_IS18_E10value_typeET4_jRbjT5_S1E_jjP12ihipStream_tbEUljE_ZNSN_ISO_Lb0ESQ_SR_ST_SU_SY_EESZ_S10_S11_S12_S16_S17_S18_S1B_S1C_jS1D_jS1E_S1E_jjS1G_bEUljE0_EEESZ_S10_S11_S18_S1C_S1E_T6_T7_T9_mT8_S1G_bDpT10_ENKUlT_T0_E_clISt17integral_constantIbLb1EES1T_IbLb0EEEEDaS1P_S1Q_EUlS1P_E_NS1_11comp_targetILNS1_3genE4ELNS1_11target_archE910ELNS1_3gpuE8ELNS1_3repE0EEENS1_30default_config_static_selectorELNS0_4arch9wavefront6targetE0EEEvS12_ ; -- Begin function _ZN7rocprim17ROCPRIM_400000_NS6detail17trampoline_kernelINS0_13select_configILj256ELj13ELNS0_17block_load_methodE3ELS4_3ELS4_3ELNS0_20block_scan_algorithmE0ELj4294967295EEENS1_25partition_config_selectorILNS1_17partition_subalgoE4EjNS0_10empty_typeEbEEZZNS1_14partition_implILS8_4ELb0ES6_15HIP_vector_typeIjLj2EENS0_17counting_iteratorIjlEEPS9_SG_NS0_5tupleIJPjSI_NS0_16reverse_iteratorISI_EEEEENSH_IJSG_SG_SG_EEES9_SI_JZNS1_25segmented_radix_sort_implINS0_14default_configELb0EPKbPbPKlPlN2at6native12_GLOBAL__N_18offset_tEEE10hipError_tPvRmT1_PNSt15iterator_traitsIS12_E10value_typeET2_T3_PNS13_IS18_E10value_typeET4_jRbjT5_S1E_jjP12ihipStream_tbEUljE_ZNSN_ISO_Lb0ESQ_SR_ST_SU_SY_EESZ_S10_S11_S12_S16_S17_S18_S1B_S1C_jS1D_jS1E_S1E_jjS1G_bEUljE0_EEESZ_S10_S11_S18_S1C_S1E_T6_T7_T9_mT8_S1G_bDpT10_ENKUlT_T0_E_clISt17integral_constantIbLb1EES1T_IbLb0EEEEDaS1P_S1Q_EUlS1P_E_NS1_11comp_targetILNS1_3genE4ELNS1_11target_archE910ELNS1_3gpuE8ELNS1_3repE0EEENS1_30default_config_static_selectorELNS0_4arch9wavefront6targetE0EEEvS12_
	.p2align	8
	.type	_ZN7rocprim17ROCPRIM_400000_NS6detail17trampoline_kernelINS0_13select_configILj256ELj13ELNS0_17block_load_methodE3ELS4_3ELS4_3ELNS0_20block_scan_algorithmE0ELj4294967295EEENS1_25partition_config_selectorILNS1_17partition_subalgoE4EjNS0_10empty_typeEbEEZZNS1_14partition_implILS8_4ELb0ES6_15HIP_vector_typeIjLj2EENS0_17counting_iteratorIjlEEPS9_SG_NS0_5tupleIJPjSI_NS0_16reverse_iteratorISI_EEEEENSH_IJSG_SG_SG_EEES9_SI_JZNS1_25segmented_radix_sort_implINS0_14default_configELb0EPKbPbPKlPlN2at6native12_GLOBAL__N_18offset_tEEE10hipError_tPvRmT1_PNSt15iterator_traitsIS12_E10value_typeET2_T3_PNS13_IS18_E10value_typeET4_jRbjT5_S1E_jjP12ihipStream_tbEUljE_ZNSN_ISO_Lb0ESQ_SR_ST_SU_SY_EESZ_S10_S11_S12_S16_S17_S18_S1B_S1C_jS1D_jS1E_S1E_jjS1G_bEUljE0_EEESZ_S10_S11_S18_S1C_S1E_T6_T7_T9_mT8_S1G_bDpT10_ENKUlT_T0_E_clISt17integral_constantIbLb1EES1T_IbLb0EEEEDaS1P_S1Q_EUlS1P_E_NS1_11comp_targetILNS1_3genE4ELNS1_11target_archE910ELNS1_3gpuE8ELNS1_3repE0EEENS1_30default_config_static_selectorELNS0_4arch9wavefront6targetE0EEEvS12_,@function
_ZN7rocprim17ROCPRIM_400000_NS6detail17trampoline_kernelINS0_13select_configILj256ELj13ELNS0_17block_load_methodE3ELS4_3ELS4_3ELNS0_20block_scan_algorithmE0ELj4294967295EEENS1_25partition_config_selectorILNS1_17partition_subalgoE4EjNS0_10empty_typeEbEEZZNS1_14partition_implILS8_4ELb0ES6_15HIP_vector_typeIjLj2EENS0_17counting_iteratorIjlEEPS9_SG_NS0_5tupleIJPjSI_NS0_16reverse_iteratorISI_EEEEENSH_IJSG_SG_SG_EEES9_SI_JZNS1_25segmented_radix_sort_implINS0_14default_configELb0EPKbPbPKlPlN2at6native12_GLOBAL__N_18offset_tEEE10hipError_tPvRmT1_PNSt15iterator_traitsIS12_E10value_typeET2_T3_PNS13_IS18_E10value_typeET4_jRbjT5_S1E_jjP12ihipStream_tbEUljE_ZNSN_ISO_Lb0ESQ_SR_ST_SU_SY_EESZ_S10_S11_S12_S16_S17_S18_S1B_S1C_jS1D_jS1E_S1E_jjS1G_bEUljE0_EEESZ_S10_S11_S18_S1C_S1E_T6_T7_T9_mT8_S1G_bDpT10_ENKUlT_T0_E_clISt17integral_constantIbLb1EES1T_IbLb0EEEEDaS1P_S1Q_EUlS1P_E_NS1_11comp_targetILNS1_3genE4ELNS1_11target_archE910ELNS1_3gpuE8ELNS1_3repE0EEENS1_30default_config_static_selectorELNS0_4arch9wavefront6targetE0EEEvS12_: ; @_ZN7rocprim17ROCPRIM_400000_NS6detail17trampoline_kernelINS0_13select_configILj256ELj13ELNS0_17block_load_methodE3ELS4_3ELS4_3ELNS0_20block_scan_algorithmE0ELj4294967295EEENS1_25partition_config_selectorILNS1_17partition_subalgoE4EjNS0_10empty_typeEbEEZZNS1_14partition_implILS8_4ELb0ES6_15HIP_vector_typeIjLj2EENS0_17counting_iteratorIjlEEPS9_SG_NS0_5tupleIJPjSI_NS0_16reverse_iteratorISI_EEEEENSH_IJSG_SG_SG_EEES9_SI_JZNS1_25segmented_radix_sort_implINS0_14default_configELb0EPKbPbPKlPlN2at6native12_GLOBAL__N_18offset_tEEE10hipError_tPvRmT1_PNSt15iterator_traitsIS12_E10value_typeET2_T3_PNS13_IS18_E10value_typeET4_jRbjT5_S1E_jjP12ihipStream_tbEUljE_ZNSN_ISO_Lb0ESQ_SR_ST_SU_SY_EESZ_S10_S11_S12_S16_S17_S18_S1B_S1C_jS1D_jS1E_S1E_jjS1G_bEUljE0_EEESZ_S10_S11_S18_S1C_S1E_T6_T7_T9_mT8_S1G_bDpT10_ENKUlT_T0_E_clISt17integral_constantIbLb1EES1T_IbLb0EEEEDaS1P_S1Q_EUlS1P_E_NS1_11comp_targetILNS1_3genE4ELNS1_11target_archE910ELNS1_3gpuE8ELNS1_3repE0EEENS1_30default_config_static_selectorELNS0_4arch9wavefront6targetE0EEEvS12_
; %bb.0:
	.section	.rodata,"a",@progbits
	.p2align	6, 0x0
	.amdhsa_kernel _ZN7rocprim17ROCPRIM_400000_NS6detail17trampoline_kernelINS0_13select_configILj256ELj13ELNS0_17block_load_methodE3ELS4_3ELS4_3ELNS0_20block_scan_algorithmE0ELj4294967295EEENS1_25partition_config_selectorILNS1_17partition_subalgoE4EjNS0_10empty_typeEbEEZZNS1_14partition_implILS8_4ELb0ES6_15HIP_vector_typeIjLj2EENS0_17counting_iteratorIjlEEPS9_SG_NS0_5tupleIJPjSI_NS0_16reverse_iteratorISI_EEEEENSH_IJSG_SG_SG_EEES9_SI_JZNS1_25segmented_radix_sort_implINS0_14default_configELb0EPKbPbPKlPlN2at6native12_GLOBAL__N_18offset_tEEE10hipError_tPvRmT1_PNSt15iterator_traitsIS12_E10value_typeET2_T3_PNS13_IS18_E10value_typeET4_jRbjT5_S1E_jjP12ihipStream_tbEUljE_ZNSN_ISO_Lb0ESQ_SR_ST_SU_SY_EESZ_S10_S11_S12_S16_S17_S18_S1B_S1C_jS1D_jS1E_S1E_jjS1G_bEUljE0_EEESZ_S10_S11_S18_S1C_S1E_T6_T7_T9_mT8_S1G_bDpT10_ENKUlT_T0_E_clISt17integral_constantIbLb1EES1T_IbLb0EEEEDaS1P_S1Q_EUlS1P_E_NS1_11comp_targetILNS1_3genE4ELNS1_11target_archE910ELNS1_3gpuE8ELNS1_3repE0EEENS1_30default_config_static_selectorELNS0_4arch9wavefront6targetE0EEEvS12_
		.amdhsa_group_segment_fixed_size 0
		.amdhsa_private_segment_fixed_size 0
		.amdhsa_kernarg_size 176
		.amdhsa_user_sgpr_count 15
		.amdhsa_user_sgpr_dispatch_ptr 0
		.amdhsa_user_sgpr_queue_ptr 0
		.amdhsa_user_sgpr_kernarg_segment_ptr 1
		.amdhsa_user_sgpr_dispatch_id 0
		.amdhsa_user_sgpr_private_segment_size 0
		.amdhsa_wavefront_size32 1
		.amdhsa_uses_dynamic_stack 0
		.amdhsa_enable_private_segment 0
		.amdhsa_system_sgpr_workgroup_id_x 1
		.amdhsa_system_sgpr_workgroup_id_y 0
		.amdhsa_system_sgpr_workgroup_id_z 0
		.amdhsa_system_sgpr_workgroup_info 0
		.amdhsa_system_vgpr_workitem_id 0
		.amdhsa_next_free_vgpr 1
		.amdhsa_next_free_sgpr 1
		.amdhsa_reserve_vcc 0
		.amdhsa_float_round_mode_32 0
		.amdhsa_float_round_mode_16_64 0
		.amdhsa_float_denorm_mode_32 3
		.amdhsa_float_denorm_mode_16_64 3
		.amdhsa_dx10_clamp 1
		.amdhsa_ieee_mode 1
		.amdhsa_fp16_overflow 0
		.amdhsa_workgroup_processor_mode 1
		.amdhsa_memory_ordered 1
		.amdhsa_forward_progress 0
		.amdhsa_shared_vgpr_count 0
		.amdhsa_exception_fp_ieee_invalid_op 0
		.amdhsa_exception_fp_denorm_src 0
		.amdhsa_exception_fp_ieee_div_zero 0
		.amdhsa_exception_fp_ieee_overflow 0
		.amdhsa_exception_fp_ieee_underflow 0
		.amdhsa_exception_fp_ieee_inexact 0
		.amdhsa_exception_int_div_zero 0
	.end_amdhsa_kernel
	.section	.text._ZN7rocprim17ROCPRIM_400000_NS6detail17trampoline_kernelINS0_13select_configILj256ELj13ELNS0_17block_load_methodE3ELS4_3ELS4_3ELNS0_20block_scan_algorithmE0ELj4294967295EEENS1_25partition_config_selectorILNS1_17partition_subalgoE4EjNS0_10empty_typeEbEEZZNS1_14partition_implILS8_4ELb0ES6_15HIP_vector_typeIjLj2EENS0_17counting_iteratorIjlEEPS9_SG_NS0_5tupleIJPjSI_NS0_16reverse_iteratorISI_EEEEENSH_IJSG_SG_SG_EEES9_SI_JZNS1_25segmented_radix_sort_implINS0_14default_configELb0EPKbPbPKlPlN2at6native12_GLOBAL__N_18offset_tEEE10hipError_tPvRmT1_PNSt15iterator_traitsIS12_E10value_typeET2_T3_PNS13_IS18_E10value_typeET4_jRbjT5_S1E_jjP12ihipStream_tbEUljE_ZNSN_ISO_Lb0ESQ_SR_ST_SU_SY_EESZ_S10_S11_S12_S16_S17_S18_S1B_S1C_jS1D_jS1E_S1E_jjS1G_bEUljE0_EEESZ_S10_S11_S18_S1C_S1E_T6_T7_T9_mT8_S1G_bDpT10_ENKUlT_T0_E_clISt17integral_constantIbLb1EES1T_IbLb0EEEEDaS1P_S1Q_EUlS1P_E_NS1_11comp_targetILNS1_3genE4ELNS1_11target_archE910ELNS1_3gpuE8ELNS1_3repE0EEENS1_30default_config_static_selectorELNS0_4arch9wavefront6targetE0EEEvS12_,"axG",@progbits,_ZN7rocprim17ROCPRIM_400000_NS6detail17trampoline_kernelINS0_13select_configILj256ELj13ELNS0_17block_load_methodE3ELS4_3ELS4_3ELNS0_20block_scan_algorithmE0ELj4294967295EEENS1_25partition_config_selectorILNS1_17partition_subalgoE4EjNS0_10empty_typeEbEEZZNS1_14partition_implILS8_4ELb0ES6_15HIP_vector_typeIjLj2EENS0_17counting_iteratorIjlEEPS9_SG_NS0_5tupleIJPjSI_NS0_16reverse_iteratorISI_EEEEENSH_IJSG_SG_SG_EEES9_SI_JZNS1_25segmented_radix_sort_implINS0_14default_configELb0EPKbPbPKlPlN2at6native12_GLOBAL__N_18offset_tEEE10hipError_tPvRmT1_PNSt15iterator_traitsIS12_E10value_typeET2_T3_PNS13_IS18_E10value_typeET4_jRbjT5_S1E_jjP12ihipStream_tbEUljE_ZNSN_ISO_Lb0ESQ_SR_ST_SU_SY_EESZ_S10_S11_S12_S16_S17_S18_S1B_S1C_jS1D_jS1E_S1E_jjS1G_bEUljE0_EEESZ_S10_S11_S18_S1C_S1E_T6_T7_T9_mT8_S1G_bDpT10_ENKUlT_T0_E_clISt17integral_constantIbLb1EES1T_IbLb0EEEEDaS1P_S1Q_EUlS1P_E_NS1_11comp_targetILNS1_3genE4ELNS1_11target_archE910ELNS1_3gpuE8ELNS1_3repE0EEENS1_30default_config_static_selectorELNS0_4arch9wavefront6targetE0EEEvS12_,comdat
.Lfunc_end1589:
	.size	_ZN7rocprim17ROCPRIM_400000_NS6detail17trampoline_kernelINS0_13select_configILj256ELj13ELNS0_17block_load_methodE3ELS4_3ELS4_3ELNS0_20block_scan_algorithmE0ELj4294967295EEENS1_25partition_config_selectorILNS1_17partition_subalgoE4EjNS0_10empty_typeEbEEZZNS1_14partition_implILS8_4ELb0ES6_15HIP_vector_typeIjLj2EENS0_17counting_iteratorIjlEEPS9_SG_NS0_5tupleIJPjSI_NS0_16reverse_iteratorISI_EEEEENSH_IJSG_SG_SG_EEES9_SI_JZNS1_25segmented_radix_sort_implINS0_14default_configELb0EPKbPbPKlPlN2at6native12_GLOBAL__N_18offset_tEEE10hipError_tPvRmT1_PNSt15iterator_traitsIS12_E10value_typeET2_T3_PNS13_IS18_E10value_typeET4_jRbjT5_S1E_jjP12ihipStream_tbEUljE_ZNSN_ISO_Lb0ESQ_SR_ST_SU_SY_EESZ_S10_S11_S12_S16_S17_S18_S1B_S1C_jS1D_jS1E_S1E_jjS1G_bEUljE0_EEESZ_S10_S11_S18_S1C_S1E_T6_T7_T9_mT8_S1G_bDpT10_ENKUlT_T0_E_clISt17integral_constantIbLb1EES1T_IbLb0EEEEDaS1P_S1Q_EUlS1P_E_NS1_11comp_targetILNS1_3genE4ELNS1_11target_archE910ELNS1_3gpuE8ELNS1_3repE0EEENS1_30default_config_static_selectorELNS0_4arch9wavefront6targetE0EEEvS12_, .Lfunc_end1589-_ZN7rocprim17ROCPRIM_400000_NS6detail17trampoline_kernelINS0_13select_configILj256ELj13ELNS0_17block_load_methodE3ELS4_3ELS4_3ELNS0_20block_scan_algorithmE0ELj4294967295EEENS1_25partition_config_selectorILNS1_17partition_subalgoE4EjNS0_10empty_typeEbEEZZNS1_14partition_implILS8_4ELb0ES6_15HIP_vector_typeIjLj2EENS0_17counting_iteratorIjlEEPS9_SG_NS0_5tupleIJPjSI_NS0_16reverse_iteratorISI_EEEEENSH_IJSG_SG_SG_EEES9_SI_JZNS1_25segmented_radix_sort_implINS0_14default_configELb0EPKbPbPKlPlN2at6native12_GLOBAL__N_18offset_tEEE10hipError_tPvRmT1_PNSt15iterator_traitsIS12_E10value_typeET2_T3_PNS13_IS18_E10value_typeET4_jRbjT5_S1E_jjP12ihipStream_tbEUljE_ZNSN_ISO_Lb0ESQ_SR_ST_SU_SY_EESZ_S10_S11_S12_S16_S17_S18_S1B_S1C_jS1D_jS1E_S1E_jjS1G_bEUljE0_EEESZ_S10_S11_S18_S1C_S1E_T6_T7_T9_mT8_S1G_bDpT10_ENKUlT_T0_E_clISt17integral_constantIbLb1EES1T_IbLb0EEEEDaS1P_S1Q_EUlS1P_E_NS1_11comp_targetILNS1_3genE4ELNS1_11target_archE910ELNS1_3gpuE8ELNS1_3repE0EEENS1_30default_config_static_selectorELNS0_4arch9wavefront6targetE0EEEvS12_
                                        ; -- End function
	.section	.AMDGPU.csdata,"",@progbits
; Kernel info:
; codeLenInByte = 0
; NumSgprs: 0
; NumVgprs: 0
; ScratchSize: 0
; MemoryBound: 0
; FloatMode: 240
; IeeeMode: 1
; LDSByteSize: 0 bytes/workgroup (compile time only)
; SGPRBlocks: 0
; VGPRBlocks: 0
; NumSGPRsForWavesPerEU: 1
; NumVGPRsForWavesPerEU: 1
; Occupancy: 16
; WaveLimiterHint : 0
; COMPUTE_PGM_RSRC2:SCRATCH_EN: 0
; COMPUTE_PGM_RSRC2:USER_SGPR: 15
; COMPUTE_PGM_RSRC2:TRAP_HANDLER: 0
; COMPUTE_PGM_RSRC2:TGID_X_EN: 1
; COMPUTE_PGM_RSRC2:TGID_Y_EN: 0
; COMPUTE_PGM_RSRC2:TGID_Z_EN: 0
; COMPUTE_PGM_RSRC2:TIDIG_COMP_CNT: 0
	.section	.text._ZN7rocprim17ROCPRIM_400000_NS6detail17trampoline_kernelINS0_13select_configILj256ELj13ELNS0_17block_load_methodE3ELS4_3ELS4_3ELNS0_20block_scan_algorithmE0ELj4294967295EEENS1_25partition_config_selectorILNS1_17partition_subalgoE4EjNS0_10empty_typeEbEEZZNS1_14partition_implILS8_4ELb0ES6_15HIP_vector_typeIjLj2EENS0_17counting_iteratorIjlEEPS9_SG_NS0_5tupleIJPjSI_NS0_16reverse_iteratorISI_EEEEENSH_IJSG_SG_SG_EEES9_SI_JZNS1_25segmented_radix_sort_implINS0_14default_configELb0EPKbPbPKlPlN2at6native12_GLOBAL__N_18offset_tEEE10hipError_tPvRmT1_PNSt15iterator_traitsIS12_E10value_typeET2_T3_PNS13_IS18_E10value_typeET4_jRbjT5_S1E_jjP12ihipStream_tbEUljE_ZNSN_ISO_Lb0ESQ_SR_ST_SU_SY_EESZ_S10_S11_S12_S16_S17_S18_S1B_S1C_jS1D_jS1E_S1E_jjS1G_bEUljE0_EEESZ_S10_S11_S18_S1C_S1E_T6_T7_T9_mT8_S1G_bDpT10_ENKUlT_T0_E_clISt17integral_constantIbLb1EES1T_IbLb0EEEEDaS1P_S1Q_EUlS1P_E_NS1_11comp_targetILNS1_3genE3ELNS1_11target_archE908ELNS1_3gpuE7ELNS1_3repE0EEENS1_30default_config_static_selectorELNS0_4arch9wavefront6targetE0EEEvS12_,"axG",@progbits,_ZN7rocprim17ROCPRIM_400000_NS6detail17trampoline_kernelINS0_13select_configILj256ELj13ELNS0_17block_load_methodE3ELS4_3ELS4_3ELNS0_20block_scan_algorithmE0ELj4294967295EEENS1_25partition_config_selectorILNS1_17partition_subalgoE4EjNS0_10empty_typeEbEEZZNS1_14partition_implILS8_4ELb0ES6_15HIP_vector_typeIjLj2EENS0_17counting_iteratorIjlEEPS9_SG_NS0_5tupleIJPjSI_NS0_16reverse_iteratorISI_EEEEENSH_IJSG_SG_SG_EEES9_SI_JZNS1_25segmented_radix_sort_implINS0_14default_configELb0EPKbPbPKlPlN2at6native12_GLOBAL__N_18offset_tEEE10hipError_tPvRmT1_PNSt15iterator_traitsIS12_E10value_typeET2_T3_PNS13_IS18_E10value_typeET4_jRbjT5_S1E_jjP12ihipStream_tbEUljE_ZNSN_ISO_Lb0ESQ_SR_ST_SU_SY_EESZ_S10_S11_S12_S16_S17_S18_S1B_S1C_jS1D_jS1E_S1E_jjS1G_bEUljE0_EEESZ_S10_S11_S18_S1C_S1E_T6_T7_T9_mT8_S1G_bDpT10_ENKUlT_T0_E_clISt17integral_constantIbLb1EES1T_IbLb0EEEEDaS1P_S1Q_EUlS1P_E_NS1_11comp_targetILNS1_3genE3ELNS1_11target_archE908ELNS1_3gpuE7ELNS1_3repE0EEENS1_30default_config_static_selectorELNS0_4arch9wavefront6targetE0EEEvS12_,comdat
	.globl	_ZN7rocprim17ROCPRIM_400000_NS6detail17trampoline_kernelINS0_13select_configILj256ELj13ELNS0_17block_load_methodE3ELS4_3ELS4_3ELNS0_20block_scan_algorithmE0ELj4294967295EEENS1_25partition_config_selectorILNS1_17partition_subalgoE4EjNS0_10empty_typeEbEEZZNS1_14partition_implILS8_4ELb0ES6_15HIP_vector_typeIjLj2EENS0_17counting_iteratorIjlEEPS9_SG_NS0_5tupleIJPjSI_NS0_16reverse_iteratorISI_EEEEENSH_IJSG_SG_SG_EEES9_SI_JZNS1_25segmented_radix_sort_implINS0_14default_configELb0EPKbPbPKlPlN2at6native12_GLOBAL__N_18offset_tEEE10hipError_tPvRmT1_PNSt15iterator_traitsIS12_E10value_typeET2_T3_PNS13_IS18_E10value_typeET4_jRbjT5_S1E_jjP12ihipStream_tbEUljE_ZNSN_ISO_Lb0ESQ_SR_ST_SU_SY_EESZ_S10_S11_S12_S16_S17_S18_S1B_S1C_jS1D_jS1E_S1E_jjS1G_bEUljE0_EEESZ_S10_S11_S18_S1C_S1E_T6_T7_T9_mT8_S1G_bDpT10_ENKUlT_T0_E_clISt17integral_constantIbLb1EES1T_IbLb0EEEEDaS1P_S1Q_EUlS1P_E_NS1_11comp_targetILNS1_3genE3ELNS1_11target_archE908ELNS1_3gpuE7ELNS1_3repE0EEENS1_30default_config_static_selectorELNS0_4arch9wavefront6targetE0EEEvS12_ ; -- Begin function _ZN7rocprim17ROCPRIM_400000_NS6detail17trampoline_kernelINS0_13select_configILj256ELj13ELNS0_17block_load_methodE3ELS4_3ELS4_3ELNS0_20block_scan_algorithmE0ELj4294967295EEENS1_25partition_config_selectorILNS1_17partition_subalgoE4EjNS0_10empty_typeEbEEZZNS1_14partition_implILS8_4ELb0ES6_15HIP_vector_typeIjLj2EENS0_17counting_iteratorIjlEEPS9_SG_NS0_5tupleIJPjSI_NS0_16reverse_iteratorISI_EEEEENSH_IJSG_SG_SG_EEES9_SI_JZNS1_25segmented_radix_sort_implINS0_14default_configELb0EPKbPbPKlPlN2at6native12_GLOBAL__N_18offset_tEEE10hipError_tPvRmT1_PNSt15iterator_traitsIS12_E10value_typeET2_T3_PNS13_IS18_E10value_typeET4_jRbjT5_S1E_jjP12ihipStream_tbEUljE_ZNSN_ISO_Lb0ESQ_SR_ST_SU_SY_EESZ_S10_S11_S12_S16_S17_S18_S1B_S1C_jS1D_jS1E_S1E_jjS1G_bEUljE0_EEESZ_S10_S11_S18_S1C_S1E_T6_T7_T9_mT8_S1G_bDpT10_ENKUlT_T0_E_clISt17integral_constantIbLb1EES1T_IbLb0EEEEDaS1P_S1Q_EUlS1P_E_NS1_11comp_targetILNS1_3genE3ELNS1_11target_archE908ELNS1_3gpuE7ELNS1_3repE0EEENS1_30default_config_static_selectorELNS0_4arch9wavefront6targetE0EEEvS12_
	.p2align	8
	.type	_ZN7rocprim17ROCPRIM_400000_NS6detail17trampoline_kernelINS0_13select_configILj256ELj13ELNS0_17block_load_methodE3ELS4_3ELS4_3ELNS0_20block_scan_algorithmE0ELj4294967295EEENS1_25partition_config_selectorILNS1_17partition_subalgoE4EjNS0_10empty_typeEbEEZZNS1_14partition_implILS8_4ELb0ES6_15HIP_vector_typeIjLj2EENS0_17counting_iteratorIjlEEPS9_SG_NS0_5tupleIJPjSI_NS0_16reverse_iteratorISI_EEEEENSH_IJSG_SG_SG_EEES9_SI_JZNS1_25segmented_radix_sort_implINS0_14default_configELb0EPKbPbPKlPlN2at6native12_GLOBAL__N_18offset_tEEE10hipError_tPvRmT1_PNSt15iterator_traitsIS12_E10value_typeET2_T3_PNS13_IS18_E10value_typeET4_jRbjT5_S1E_jjP12ihipStream_tbEUljE_ZNSN_ISO_Lb0ESQ_SR_ST_SU_SY_EESZ_S10_S11_S12_S16_S17_S18_S1B_S1C_jS1D_jS1E_S1E_jjS1G_bEUljE0_EEESZ_S10_S11_S18_S1C_S1E_T6_T7_T9_mT8_S1G_bDpT10_ENKUlT_T0_E_clISt17integral_constantIbLb1EES1T_IbLb0EEEEDaS1P_S1Q_EUlS1P_E_NS1_11comp_targetILNS1_3genE3ELNS1_11target_archE908ELNS1_3gpuE7ELNS1_3repE0EEENS1_30default_config_static_selectorELNS0_4arch9wavefront6targetE0EEEvS12_,@function
_ZN7rocprim17ROCPRIM_400000_NS6detail17trampoline_kernelINS0_13select_configILj256ELj13ELNS0_17block_load_methodE3ELS4_3ELS4_3ELNS0_20block_scan_algorithmE0ELj4294967295EEENS1_25partition_config_selectorILNS1_17partition_subalgoE4EjNS0_10empty_typeEbEEZZNS1_14partition_implILS8_4ELb0ES6_15HIP_vector_typeIjLj2EENS0_17counting_iteratorIjlEEPS9_SG_NS0_5tupleIJPjSI_NS0_16reverse_iteratorISI_EEEEENSH_IJSG_SG_SG_EEES9_SI_JZNS1_25segmented_radix_sort_implINS0_14default_configELb0EPKbPbPKlPlN2at6native12_GLOBAL__N_18offset_tEEE10hipError_tPvRmT1_PNSt15iterator_traitsIS12_E10value_typeET2_T3_PNS13_IS18_E10value_typeET4_jRbjT5_S1E_jjP12ihipStream_tbEUljE_ZNSN_ISO_Lb0ESQ_SR_ST_SU_SY_EESZ_S10_S11_S12_S16_S17_S18_S1B_S1C_jS1D_jS1E_S1E_jjS1G_bEUljE0_EEESZ_S10_S11_S18_S1C_S1E_T6_T7_T9_mT8_S1G_bDpT10_ENKUlT_T0_E_clISt17integral_constantIbLb1EES1T_IbLb0EEEEDaS1P_S1Q_EUlS1P_E_NS1_11comp_targetILNS1_3genE3ELNS1_11target_archE908ELNS1_3gpuE7ELNS1_3repE0EEENS1_30default_config_static_selectorELNS0_4arch9wavefront6targetE0EEEvS12_: ; @_ZN7rocprim17ROCPRIM_400000_NS6detail17trampoline_kernelINS0_13select_configILj256ELj13ELNS0_17block_load_methodE3ELS4_3ELS4_3ELNS0_20block_scan_algorithmE0ELj4294967295EEENS1_25partition_config_selectorILNS1_17partition_subalgoE4EjNS0_10empty_typeEbEEZZNS1_14partition_implILS8_4ELb0ES6_15HIP_vector_typeIjLj2EENS0_17counting_iteratorIjlEEPS9_SG_NS0_5tupleIJPjSI_NS0_16reverse_iteratorISI_EEEEENSH_IJSG_SG_SG_EEES9_SI_JZNS1_25segmented_radix_sort_implINS0_14default_configELb0EPKbPbPKlPlN2at6native12_GLOBAL__N_18offset_tEEE10hipError_tPvRmT1_PNSt15iterator_traitsIS12_E10value_typeET2_T3_PNS13_IS18_E10value_typeET4_jRbjT5_S1E_jjP12ihipStream_tbEUljE_ZNSN_ISO_Lb0ESQ_SR_ST_SU_SY_EESZ_S10_S11_S12_S16_S17_S18_S1B_S1C_jS1D_jS1E_S1E_jjS1G_bEUljE0_EEESZ_S10_S11_S18_S1C_S1E_T6_T7_T9_mT8_S1G_bDpT10_ENKUlT_T0_E_clISt17integral_constantIbLb1EES1T_IbLb0EEEEDaS1P_S1Q_EUlS1P_E_NS1_11comp_targetILNS1_3genE3ELNS1_11target_archE908ELNS1_3gpuE7ELNS1_3repE0EEENS1_30default_config_static_selectorELNS0_4arch9wavefront6targetE0EEEvS12_
; %bb.0:
	.section	.rodata,"a",@progbits
	.p2align	6, 0x0
	.amdhsa_kernel _ZN7rocprim17ROCPRIM_400000_NS6detail17trampoline_kernelINS0_13select_configILj256ELj13ELNS0_17block_load_methodE3ELS4_3ELS4_3ELNS0_20block_scan_algorithmE0ELj4294967295EEENS1_25partition_config_selectorILNS1_17partition_subalgoE4EjNS0_10empty_typeEbEEZZNS1_14partition_implILS8_4ELb0ES6_15HIP_vector_typeIjLj2EENS0_17counting_iteratorIjlEEPS9_SG_NS0_5tupleIJPjSI_NS0_16reverse_iteratorISI_EEEEENSH_IJSG_SG_SG_EEES9_SI_JZNS1_25segmented_radix_sort_implINS0_14default_configELb0EPKbPbPKlPlN2at6native12_GLOBAL__N_18offset_tEEE10hipError_tPvRmT1_PNSt15iterator_traitsIS12_E10value_typeET2_T3_PNS13_IS18_E10value_typeET4_jRbjT5_S1E_jjP12ihipStream_tbEUljE_ZNSN_ISO_Lb0ESQ_SR_ST_SU_SY_EESZ_S10_S11_S12_S16_S17_S18_S1B_S1C_jS1D_jS1E_S1E_jjS1G_bEUljE0_EEESZ_S10_S11_S18_S1C_S1E_T6_T7_T9_mT8_S1G_bDpT10_ENKUlT_T0_E_clISt17integral_constantIbLb1EES1T_IbLb0EEEEDaS1P_S1Q_EUlS1P_E_NS1_11comp_targetILNS1_3genE3ELNS1_11target_archE908ELNS1_3gpuE7ELNS1_3repE0EEENS1_30default_config_static_selectorELNS0_4arch9wavefront6targetE0EEEvS12_
		.amdhsa_group_segment_fixed_size 0
		.amdhsa_private_segment_fixed_size 0
		.amdhsa_kernarg_size 176
		.amdhsa_user_sgpr_count 15
		.amdhsa_user_sgpr_dispatch_ptr 0
		.amdhsa_user_sgpr_queue_ptr 0
		.amdhsa_user_sgpr_kernarg_segment_ptr 1
		.amdhsa_user_sgpr_dispatch_id 0
		.amdhsa_user_sgpr_private_segment_size 0
		.amdhsa_wavefront_size32 1
		.amdhsa_uses_dynamic_stack 0
		.amdhsa_enable_private_segment 0
		.amdhsa_system_sgpr_workgroup_id_x 1
		.amdhsa_system_sgpr_workgroup_id_y 0
		.amdhsa_system_sgpr_workgroup_id_z 0
		.amdhsa_system_sgpr_workgroup_info 0
		.amdhsa_system_vgpr_workitem_id 0
		.amdhsa_next_free_vgpr 1
		.amdhsa_next_free_sgpr 1
		.amdhsa_reserve_vcc 0
		.amdhsa_float_round_mode_32 0
		.amdhsa_float_round_mode_16_64 0
		.amdhsa_float_denorm_mode_32 3
		.amdhsa_float_denorm_mode_16_64 3
		.amdhsa_dx10_clamp 1
		.amdhsa_ieee_mode 1
		.amdhsa_fp16_overflow 0
		.amdhsa_workgroup_processor_mode 1
		.amdhsa_memory_ordered 1
		.amdhsa_forward_progress 0
		.amdhsa_shared_vgpr_count 0
		.amdhsa_exception_fp_ieee_invalid_op 0
		.amdhsa_exception_fp_denorm_src 0
		.amdhsa_exception_fp_ieee_div_zero 0
		.amdhsa_exception_fp_ieee_overflow 0
		.amdhsa_exception_fp_ieee_underflow 0
		.amdhsa_exception_fp_ieee_inexact 0
		.amdhsa_exception_int_div_zero 0
	.end_amdhsa_kernel
	.section	.text._ZN7rocprim17ROCPRIM_400000_NS6detail17trampoline_kernelINS0_13select_configILj256ELj13ELNS0_17block_load_methodE3ELS4_3ELS4_3ELNS0_20block_scan_algorithmE0ELj4294967295EEENS1_25partition_config_selectorILNS1_17partition_subalgoE4EjNS0_10empty_typeEbEEZZNS1_14partition_implILS8_4ELb0ES6_15HIP_vector_typeIjLj2EENS0_17counting_iteratorIjlEEPS9_SG_NS0_5tupleIJPjSI_NS0_16reverse_iteratorISI_EEEEENSH_IJSG_SG_SG_EEES9_SI_JZNS1_25segmented_radix_sort_implINS0_14default_configELb0EPKbPbPKlPlN2at6native12_GLOBAL__N_18offset_tEEE10hipError_tPvRmT1_PNSt15iterator_traitsIS12_E10value_typeET2_T3_PNS13_IS18_E10value_typeET4_jRbjT5_S1E_jjP12ihipStream_tbEUljE_ZNSN_ISO_Lb0ESQ_SR_ST_SU_SY_EESZ_S10_S11_S12_S16_S17_S18_S1B_S1C_jS1D_jS1E_S1E_jjS1G_bEUljE0_EEESZ_S10_S11_S18_S1C_S1E_T6_T7_T9_mT8_S1G_bDpT10_ENKUlT_T0_E_clISt17integral_constantIbLb1EES1T_IbLb0EEEEDaS1P_S1Q_EUlS1P_E_NS1_11comp_targetILNS1_3genE3ELNS1_11target_archE908ELNS1_3gpuE7ELNS1_3repE0EEENS1_30default_config_static_selectorELNS0_4arch9wavefront6targetE0EEEvS12_,"axG",@progbits,_ZN7rocprim17ROCPRIM_400000_NS6detail17trampoline_kernelINS0_13select_configILj256ELj13ELNS0_17block_load_methodE3ELS4_3ELS4_3ELNS0_20block_scan_algorithmE0ELj4294967295EEENS1_25partition_config_selectorILNS1_17partition_subalgoE4EjNS0_10empty_typeEbEEZZNS1_14partition_implILS8_4ELb0ES6_15HIP_vector_typeIjLj2EENS0_17counting_iteratorIjlEEPS9_SG_NS0_5tupleIJPjSI_NS0_16reverse_iteratorISI_EEEEENSH_IJSG_SG_SG_EEES9_SI_JZNS1_25segmented_radix_sort_implINS0_14default_configELb0EPKbPbPKlPlN2at6native12_GLOBAL__N_18offset_tEEE10hipError_tPvRmT1_PNSt15iterator_traitsIS12_E10value_typeET2_T3_PNS13_IS18_E10value_typeET4_jRbjT5_S1E_jjP12ihipStream_tbEUljE_ZNSN_ISO_Lb0ESQ_SR_ST_SU_SY_EESZ_S10_S11_S12_S16_S17_S18_S1B_S1C_jS1D_jS1E_S1E_jjS1G_bEUljE0_EEESZ_S10_S11_S18_S1C_S1E_T6_T7_T9_mT8_S1G_bDpT10_ENKUlT_T0_E_clISt17integral_constantIbLb1EES1T_IbLb0EEEEDaS1P_S1Q_EUlS1P_E_NS1_11comp_targetILNS1_3genE3ELNS1_11target_archE908ELNS1_3gpuE7ELNS1_3repE0EEENS1_30default_config_static_selectorELNS0_4arch9wavefront6targetE0EEEvS12_,comdat
.Lfunc_end1590:
	.size	_ZN7rocprim17ROCPRIM_400000_NS6detail17trampoline_kernelINS0_13select_configILj256ELj13ELNS0_17block_load_methodE3ELS4_3ELS4_3ELNS0_20block_scan_algorithmE0ELj4294967295EEENS1_25partition_config_selectorILNS1_17partition_subalgoE4EjNS0_10empty_typeEbEEZZNS1_14partition_implILS8_4ELb0ES6_15HIP_vector_typeIjLj2EENS0_17counting_iteratorIjlEEPS9_SG_NS0_5tupleIJPjSI_NS0_16reverse_iteratorISI_EEEEENSH_IJSG_SG_SG_EEES9_SI_JZNS1_25segmented_radix_sort_implINS0_14default_configELb0EPKbPbPKlPlN2at6native12_GLOBAL__N_18offset_tEEE10hipError_tPvRmT1_PNSt15iterator_traitsIS12_E10value_typeET2_T3_PNS13_IS18_E10value_typeET4_jRbjT5_S1E_jjP12ihipStream_tbEUljE_ZNSN_ISO_Lb0ESQ_SR_ST_SU_SY_EESZ_S10_S11_S12_S16_S17_S18_S1B_S1C_jS1D_jS1E_S1E_jjS1G_bEUljE0_EEESZ_S10_S11_S18_S1C_S1E_T6_T7_T9_mT8_S1G_bDpT10_ENKUlT_T0_E_clISt17integral_constantIbLb1EES1T_IbLb0EEEEDaS1P_S1Q_EUlS1P_E_NS1_11comp_targetILNS1_3genE3ELNS1_11target_archE908ELNS1_3gpuE7ELNS1_3repE0EEENS1_30default_config_static_selectorELNS0_4arch9wavefront6targetE0EEEvS12_, .Lfunc_end1590-_ZN7rocprim17ROCPRIM_400000_NS6detail17trampoline_kernelINS0_13select_configILj256ELj13ELNS0_17block_load_methodE3ELS4_3ELS4_3ELNS0_20block_scan_algorithmE0ELj4294967295EEENS1_25partition_config_selectorILNS1_17partition_subalgoE4EjNS0_10empty_typeEbEEZZNS1_14partition_implILS8_4ELb0ES6_15HIP_vector_typeIjLj2EENS0_17counting_iteratorIjlEEPS9_SG_NS0_5tupleIJPjSI_NS0_16reverse_iteratorISI_EEEEENSH_IJSG_SG_SG_EEES9_SI_JZNS1_25segmented_radix_sort_implINS0_14default_configELb0EPKbPbPKlPlN2at6native12_GLOBAL__N_18offset_tEEE10hipError_tPvRmT1_PNSt15iterator_traitsIS12_E10value_typeET2_T3_PNS13_IS18_E10value_typeET4_jRbjT5_S1E_jjP12ihipStream_tbEUljE_ZNSN_ISO_Lb0ESQ_SR_ST_SU_SY_EESZ_S10_S11_S12_S16_S17_S18_S1B_S1C_jS1D_jS1E_S1E_jjS1G_bEUljE0_EEESZ_S10_S11_S18_S1C_S1E_T6_T7_T9_mT8_S1G_bDpT10_ENKUlT_T0_E_clISt17integral_constantIbLb1EES1T_IbLb0EEEEDaS1P_S1Q_EUlS1P_E_NS1_11comp_targetILNS1_3genE3ELNS1_11target_archE908ELNS1_3gpuE7ELNS1_3repE0EEENS1_30default_config_static_selectorELNS0_4arch9wavefront6targetE0EEEvS12_
                                        ; -- End function
	.section	.AMDGPU.csdata,"",@progbits
; Kernel info:
; codeLenInByte = 0
; NumSgprs: 0
; NumVgprs: 0
; ScratchSize: 0
; MemoryBound: 0
; FloatMode: 240
; IeeeMode: 1
; LDSByteSize: 0 bytes/workgroup (compile time only)
; SGPRBlocks: 0
; VGPRBlocks: 0
; NumSGPRsForWavesPerEU: 1
; NumVGPRsForWavesPerEU: 1
; Occupancy: 16
; WaveLimiterHint : 0
; COMPUTE_PGM_RSRC2:SCRATCH_EN: 0
; COMPUTE_PGM_RSRC2:USER_SGPR: 15
; COMPUTE_PGM_RSRC2:TRAP_HANDLER: 0
; COMPUTE_PGM_RSRC2:TGID_X_EN: 1
; COMPUTE_PGM_RSRC2:TGID_Y_EN: 0
; COMPUTE_PGM_RSRC2:TGID_Z_EN: 0
; COMPUTE_PGM_RSRC2:TIDIG_COMP_CNT: 0
	.section	.text._ZN7rocprim17ROCPRIM_400000_NS6detail17trampoline_kernelINS0_13select_configILj256ELj13ELNS0_17block_load_methodE3ELS4_3ELS4_3ELNS0_20block_scan_algorithmE0ELj4294967295EEENS1_25partition_config_selectorILNS1_17partition_subalgoE4EjNS0_10empty_typeEbEEZZNS1_14partition_implILS8_4ELb0ES6_15HIP_vector_typeIjLj2EENS0_17counting_iteratorIjlEEPS9_SG_NS0_5tupleIJPjSI_NS0_16reverse_iteratorISI_EEEEENSH_IJSG_SG_SG_EEES9_SI_JZNS1_25segmented_radix_sort_implINS0_14default_configELb0EPKbPbPKlPlN2at6native12_GLOBAL__N_18offset_tEEE10hipError_tPvRmT1_PNSt15iterator_traitsIS12_E10value_typeET2_T3_PNS13_IS18_E10value_typeET4_jRbjT5_S1E_jjP12ihipStream_tbEUljE_ZNSN_ISO_Lb0ESQ_SR_ST_SU_SY_EESZ_S10_S11_S12_S16_S17_S18_S1B_S1C_jS1D_jS1E_S1E_jjS1G_bEUljE0_EEESZ_S10_S11_S18_S1C_S1E_T6_T7_T9_mT8_S1G_bDpT10_ENKUlT_T0_E_clISt17integral_constantIbLb1EES1T_IbLb0EEEEDaS1P_S1Q_EUlS1P_E_NS1_11comp_targetILNS1_3genE2ELNS1_11target_archE906ELNS1_3gpuE6ELNS1_3repE0EEENS1_30default_config_static_selectorELNS0_4arch9wavefront6targetE0EEEvS12_,"axG",@progbits,_ZN7rocprim17ROCPRIM_400000_NS6detail17trampoline_kernelINS0_13select_configILj256ELj13ELNS0_17block_load_methodE3ELS4_3ELS4_3ELNS0_20block_scan_algorithmE0ELj4294967295EEENS1_25partition_config_selectorILNS1_17partition_subalgoE4EjNS0_10empty_typeEbEEZZNS1_14partition_implILS8_4ELb0ES6_15HIP_vector_typeIjLj2EENS0_17counting_iteratorIjlEEPS9_SG_NS0_5tupleIJPjSI_NS0_16reverse_iteratorISI_EEEEENSH_IJSG_SG_SG_EEES9_SI_JZNS1_25segmented_radix_sort_implINS0_14default_configELb0EPKbPbPKlPlN2at6native12_GLOBAL__N_18offset_tEEE10hipError_tPvRmT1_PNSt15iterator_traitsIS12_E10value_typeET2_T3_PNS13_IS18_E10value_typeET4_jRbjT5_S1E_jjP12ihipStream_tbEUljE_ZNSN_ISO_Lb0ESQ_SR_ST_SU_SY_EESZ_S10_S11_S12_S16_S17_S18_S1B_S1C_jS1D_jS1E_S1E_jjS1G_bEUljE0_EEESZ_S10_S11_S18_S1C_S1E_T6_T7_T9_mT8_S1G_bDpT10_ENKUlT_T0_E_clISt17integral_constantIbLb1EES1T_IbLb0EEEEDaS1P_S1Q_EUlS1P_E_NS1_11comp_targetILNS1_3genE2ELNS1_11target_archE906ELNS1_3gpuE6ELNS1_3repE0EEENS1_30default_config_static_selectorELNS0_4arch9wavefront6targetE0EEEvS12_,comdat
	.globl	_ZN7rocprim17ROCPRIM_400000_NS6detail17trampoline_kernelINS0_13select_configILj256ELj13ELNS0_17block_load_methodE3ELS4_3ELS4_3ELNS0_20block_scan_algorithmE0ELj4294967295EEENS1_25partition_config_selectorILNS1_17partition_subalgoE4EjNS0_10empty_typeEbEEZZNS1_14partition_implILS8_4ELb0ES6_15HIP_vector_typeIjLj2EENS0_17counting_iteratorIjlEEPS9_SG_NS0_5tupleIJPjSI_NS0_16reverse_iteratorISI_EEEEENSH_IJSG_SG_SG_EEES9_SI_JZNS1_25segmented_radix_sort_implINS0_14default_configELb0EPKbPbPKlPlN2at6native12_GLOBAL__N_18offset_tEEE10hipError_tPvRmT1_PNSt15iterator_traitsIS12_E10value_typeET2_T3_PNS13_IS18_E10value_typeET4_jRbjT5_S1E_jjP12ihipStream_tbEUljE_ZNSN_ISO_Lb0ESQ_SR_ST_SU_SY_EESZ_S10_S11_S12_S16_S17_S18_S1B_S1C_jS1D_jS1E_S1E_jjS1G_bEUljE0_EEESZ_S10_S11_S18_S1C_S1E_T6_T7_T9_mT8_S1G_bDpT10_ENKUlT_T0_E_clISt17integral_constantIbLb1EES1T_IbLb0EEEEDaS1P_S1Q_EUlS1P_E_NS1_11comp_targetILNS1_3genE2ELNS1_11target_archE906ELNS1_3gpuE6ELNS1_3repE0EEENS1_30default_config_static_selectorELNS0_4arch9wavefront6targetE0EEEvS12_ ; -- Begin function _ZN7rocprim17ROCPRIM_400000_NS6detail17trampoline_kernelINS0_13select_configILj256ELj13ELNS0_17block_load_methodE3ELS4_3ELS4_3ELNS0_20block_scan_algorithmE0ELj4294967295EEENS1_25partition_config_selectorILNS1_17partition_subalgoE4EjNS0_10empty_typeEbEEZZNS1_14partition_implILS8_4ELb0ES6_15HIP_vector_typeIjLj2EENS0_17counting_iteratorIjlEEPS9_SG_NS0_5tupleIJPjSI_NS0_16reverse_iteratorISI_EEEEENSH_IJSG_SG_SG_EEES9_SI_JZNS1_25segmented_radix_sort_implINS0_14default_configELb0EPKbPbPKlPlN2at6native12_GLOBAL__N_18offset_tEEE10hipError_tPvRmT1_PNSt15iterator_traitsIS12_E10value_typeET2_T3_PNS13_IS18_E10value_typeET4_jRbjT5_S1E_jjP12ihipStream_tbEUljE_ZNSN_ISO_Lb0ESQ_SR_ST_SU_SY_EESZ_S10_S11_S12_S16_S17_S18_S1B_S1C_jS1D_jS1E_S1E_jjS1G_bEUljE0_EEESZ_S10_S11_S18_S1C_S1E_T6_T7_T9_mT8_S1G_bDpT10_ENKUlT_T0_E_clISt17integral_constantIbLb1EES1T_IbLb0EEEEDaS1P_S1Q_EUlS1P_E_NS1_11comp_targetILNS1_3genE2ELNS1_11target_archE906ELNS1_3gpuE6ELNS1_3repE0EEENS1_30default_config_static_selectorELNS0_4arch9wavefront6targetE0EEEvS12_
	.p2align	8
	.type	_ZN7rocprim17ROCPRIM_400000_NS6detail17trampoline_kernelINS0_13select_configILj256ELj13ELNS0_17block_load_methodE3ELS4_3ELS4_3ELNS0_20block_scan_algorithmE0ELj4294967295EEENS1_25partition_config_selectorILNS1_17partition_subalgoE4EjNS0_10empty_typeEbEEZZNS1_14partition_implILS8_4ELb0ES6_15HIP_vector_typeIjLj2EENS0_17counting_iteratorIjlEEPS9_SG_NS0_5tupleIJPjSI_NS0_16reverse_iteratorISI_EEEEENSH_IJSG_SG_SG_EEES9_SI_JZNS1_25segmented_radix_sort_implINS0_14default_configELb0EPKbPbPKlPlN2at6native12_GLOBAL__N_18offset_tEEE10hipError_tPvRmT1_PNSt15iterator_traitsIS12_E10value_typeET2_T3_PNS13_IS18_E10value_typeET4_jRbjT5_S1E_jjP12ihipStream_tbEUljE_ZNSN_ISO_Lb0ESQ_SR_ST_SU_SY_EESZ_S10_S11_S12_S16_S17_S18_S1B_S1C_jS1D_jS1E_S1E_jjS1G_bEUljE0_EEESZ_S10_S11_S18_S1C_S1E_T6_T7_T9_mT8_S1G_bDpT10_ENKUlT_T0_E_clISt17integral_constantIbLb1EES1T_IbLb0EEEEDaS1P_S1Q_EUlS1P_E_NS1_11comp_targetILNS1_3genE2ELNS1_11target_archE906ELNS1_3gpuE6ELNS1_3repE0EEENS1_30default_config_static_selectorELNS0_4arch9wavefront6targetE0EEEvS12_,@function
_ZN7rocprim17ROCPRIM_400000_NS6detail17trampoline_kernelINS0_13select_configILj256ELj13ELNS0_17block_load_methodE3ELS4_3ELS4_3ELNS0_20block_scan_algorithmE0ELj4294967295EEENS1_25partition_config_selectorILNS1_17partition_subalgoE4EjNS0_10empty_typeEbEEZZNS1_14partition_implILS8_4ELb0ES6_15HIP_vector_typeIjLj2EENS0_17counting_iteratorIjlEEPS9_SG_NS0_5tupleIJPjSI_NS0_16reverse_iteratorISI_EEEEENSH_IJSG_SG_SG_EEES9_SI_JZNS1_25segmented_radix_sort_implINS0_14default_configELb0EPKbPbPKlPlN2at6native12_GLOBAL__N_18offset_tEEE10hipError_tPvRmT1_PNSt15iterator_traitsIS12_E10value_typeET2_T3_PNS13_IS18_E10value_typeET4_jRbjT5_S1E_jjP12ihipStream_tbEUljE_ZNSN_ISO_Lb0ESQ_SR_ST_SU_SY_EESZ_S10_S11_S12_S16_S17_S18_S1B_S1C_jS1D_jS1E_S1E_jjS1G_bEUljE0_EEESZ_S10_S11_S18_S1C_S1E_T6_T7_T9_mT8_S1G_bDpT10_ENKUlT_T0_E_clISt17integral_constantIbLb1EES1T_IbLb0EEEEDaS1P_S1Q_EUlS1P_E_NS1_11comp_targetILNS1_3genE2ELNS1_11target_archE906ELNS1_3gpuE6ELNS1_3repE0EEENS1_30default_config_static_selectorELNS0_4arch9wavefront6targetE0EEEvS12_: ; @_ZN7rocprim17ROCPRIM_400000_NS6detail17trampoline_kernelINS0_13select_configILj256ELj13ELNS0_17block_load_methodE3ELS4_3ELS4_3ELNS0_20block_scan_algorithmE0ELj4294967295EEENS1_25partition_config_selectorILNS1_17partition_subalgoE4EjNS0_10empty_typeEbEEZZNS1_14partition_implILS8_4ELb0ES6_15HIP_vector_typeIjLj2EENS0_17counting_iteratorIjlEEPS9_SG_NS0_5tupleIJPjSI_NS0_16reverse_iteratorISI_EEEEENSH_IJSG_SG_SG_EEES9_SI_JZNS1_25segmented_radix_sort_implINS0_14default_configELb0EPKbPbPKlPlN2at6native12_GLOBAL__N_18offset_tEEE10hipError_tPvRmT1_PNSt15iterator_traitsIS12_E10value_typeET2_T3_PNS13_IS18_E10value_typeET4_jRbjT5_S1E_jjP12ihipStream_tbEUljE_ZNSN_ISO_Lb0ESQ_SR_ST_SU_SY_EESZ_S10_S11_S12_S16_S17_S18_S1B_S1C_jS1D_jS1E_S1E_jjS1G_bEUljE0_EEESZ_S10_S11_S18_S1C_S1E_T6_T7_T9_mT8_S1G_bDpT10_ENKUlT_T0_E_clISt17integral_constantIbLb1EES1T_IbLb0EEEEDaS1P_S1Q_EUlS1P_E_NS1_11comp_targetILNS1_3genE2ELNS1_11target_archE906ELNS1_3gpuE6ELNS1_3repE0EEENS1_30default_config_static_selectorELNS0_4arch9wavefront6targetE0EEEvS12_
; %bb.0:
	.section	.rodata,"a",@progbits
	.p2align	6, 0x0
	.amdhsa_kernel _ZN7rocprim17ROCPRIM_400000_NS6detail17trampoline_kernelINS0_13select_configILj256ELj13ELNS0_17block_load_methodE3ELS4_3ELS4_3ELNS0_20block_scan_algorithmE0ELj4294967295EEENS1_25partition_config_selectorILNS1_17partition_subalgoE4EjNS0_10empty_typeEbEEZZNS1_14partition_implILS8_4ELb0ES6_15HIP_vector_typeIjLj2EENS0_17counting_iteratorIjlEEPS9_SG_NS0_5tupleIJPjSI_NS0_16reverse_iteratorISI_EEEEENSH_IJSG_SG_SG_EEES9_SI_JZNS1_25segmented_radix_sort_implINS0_14default_configELb0EPKbPbPKlPlN2at6native12_GLOBAL__N_18offset_tEEE10hipError_tPvRmT1_PNSt15iterator_traitsIS12_E10value_typeET2_T3_PNS13_IS18_E10value_typeET4_jRbjT5_S1E_jjP12ihipStream_tbEUljE_ZNSN_ISO_Lb0ESQ_SR_ST_SU_SY_EESZ_S10_S11_S12_S16_S17_S18_S1B_S1C_jS1D_jS1E_S1E_jjS1G_bEUljE0_EEESZ_S10_S11_S18_S1C_S1E_T6_T7_T9_mT8_S1G_bDpT10_ENKUlT_T0_E_clISt17integral_constantIbLb1EES1T_IbLb0EEEEDaS1P_S1Q_EUlS1P_E_NS1_11comp_targetILNS1_3genE2ELNS1_11target_archE906ELNS1_3gpuE6ELNS1_3repE0EEENS1_30default_config_static_selectorELNS0_4arch9wavefront6targetE0EEEvS12_
		.amdhsa_group_segment_fixed_size 0
		.amdhsa_private_segment_fixed_size 0
		.amdhsa_kernarg_size 176
		.amdhsa_user_sgpr_count 15
		.amdhsa_user_sgpr_dispatch_ptr 0
		.amdhsa_user_sgpr_queue_ptr 0
		.amdhsa_user_sgpr_kernarg_segment_ptr 1
		.amdhsa_user_sgpr_dispatch_id 0
		.amdhsa_user_sgpr_private_segment_size 0
		.amdhsa_wavefront_size32 1
		.amdhsa_uses_dynamic_stack 0
		.amdhsa_enable_private_segment 0
		.amdhsa_system_sgpr_workgroup_id_x 1
		.amdhsa_system_sgpr_workgroup_id_y 0
		.amdhsa_system_sgpr_workgroup_id_z 0
		.amdhsa_system_sgpr_workgroup_info 0
		.amdhsa_system_vgpr_workitem_id 0
		.amdhsa_next_free_vgpr 1
		.amdhsa_next_free_sgpr 1
		.amdhsa_reserve_vcc 0
		.amdhsa_float_round_mode_32 0
		.amdhsa_float_round_mode_16_64 0
		.amdhsa_float_denorm_mode_32 3
		.amdhsa_float_denorm_mode_16_64 3
		.amdhsa_dx10_clamp 1
		.amdhsa_ieee_mode 1
		.amdhsa_fp16_overflow 0
		.amdhsa_workgroup_processor_mode 1
		.amdhsa_memory_ordered 1
		.amdhsa_forward_progress 0
		.amdhsa_shared_vgpr_count 0
		.amdhsa_exception_fp_ieee_invalid_op 0
		.amdhsa_exception_fp_denorm_src 0
		.amdhsa_exception_fp_ieee_div_zero 0
		.amdhsa_exception_fp_ieee_overflow 0
		.amdhsa_exception_fp_ieee_underflow 0
		.amdhsa_exception_fp_ieee_inexact 0
		.amdhsa_exception_int_div_zero 0
	.end_amdhsa_kernel
	.section	.text._ZN7rocprim17ROCPRIM_400000_NS6detail17trampoline_kernelINS0_13select_configILj256ELj13ELNS0_17block_load_methodE3ELS4_3ELS4_3ELNS0_20block_scan_algorithmE0ELj4294967295EEENS1_25partition_config_selectorILNS1_17partition_subalgoE4EjNS0_10empty_typeEbEEZZNS1_14partition_implILS8_4ELb0ES6_15HIP_vector_typeIjLj2EENS0_17counting_iteratorIjlEEPS9_SG_NS0_5tupleIJPjSI_NS0_16reverse_iteratorISI_EEEEENSH_IJSG_SG_SG_EEES9_SI_JZNS1_25segmented_radix_sort_implINS0_14default_configELb0EPKbPbPKlPlN2at6native12_GLOBAL__N_18offset_tEEE10hipError_tPvRmT1_PNSt15iterator_traitsIS12_E10value_typeET2_T3_PNS13_IS18_E10value_typeET4_jRbjT5_S1E_jjP12ihipStream_tbEUljE_ZNSN_ISO_Lb0ESQ_SR_ST_SU_SY_EESZ_S10_S11_S12_S16_S17_S18_S1B_S1C_jS1D_jS1E_S1E_jjS1G_bEUljE0_EEESZ_S10_S11_S18_S1C_S1E_T6_T7_T9_mT8_S1G_bDpT10_ENKUlT_T0_E_clISt17integral_constantIbLb1EES1T_IbLb0EEEEDaS1P_S1Q_EUlS1P_E_NS1_11comp_targetILNS1_3genE2ELNS1_11target_archE906ELNS1_3gpuE6ELNS1_3repE0EEENS1_30default_config_static_selectorELNS0_4arch9wavefront6targetE0EEEvS12_,"axG",@progbits,_ZN7rocprim17ROCPRIM_400000_NS6detail17trampoline_kernelINS0_13select_configILj256ELj13ELNS0_17block_load_methodE3ELS4_3ELS4_3ELNS0_20block_scan_algorithmE0ELj4294967295EEENS1_25partition_config_selectorILNS1_17partition_subalgoE4EjNS0_10empty_typeEbEEZZNS1_14partition_implILS8_4ELb0ES6_15HIP_vector_typeIjLj2EENS0_17counting_iteratorIjlEEPS9_SG_NS0_5tupleIJPjSI_NS0_16reverse_iteratorISI_EEEEENSH_IJSG_SG_SG_EEES9_SI_JZNS1_25segmented_radix_sort_implINS0_14default_configELb0EPKbPbPKlPlN2at6native12_GLOBAL__N_18offset_tEEE10hipError_tPvRmT1_PNSt15iterator_traitsIS12_E10value_typeET2_T3_PNS13_IS18_E10value_typeET4_jRbjT5_S1E_jjP12ihipStream_tbEUljE_ZNSN_ISO_Lb0ESQ_SR_ST_SU_SY_EESZ_S10_S11_S12_S16_S17_S18_S1B_S1C_jS1D_jS1E_S1E_jjS1G_bEUljE0_EEESZ_S10_S11_S18_S1C_S1E_T6_T7_T9_mT8_S1G_bDpT10_ENKUlT_T0_E_clISt17integral_constantIbLb1EES1T_IbLb0EEEEDaS1P_S1Q_EUlS1P_E_NS1_11comp_targetILNS1_3genE2ELNS1_11target_archE906ELNS1_3gpuE6ELNS1_3repE0EEENS1_30default_config_static_selectorELNS0_4arch9wavefront6targetE0EEEvS12_,comdat
.Lfunc_end1591:
	.size	_ZN7rocprim17ROCPRIM_400000_NS6detail17trampoline_kernelINS0_13select_configILj256ELj13ELNS0_17block_load_methodE3ELS4_3ELS4_3ELNS0_20block_scan_algorithmE0ELj4294967295EEENS1_25partition_config_selectorILNS1_17partition_subalgoE4EjNS0_10empty_typeEbEEZZNS1_14partition_implILS8_4ELb0ES6_15HIP_vector_typeIjLj2EENS0_17counting_iteratorIjlEEPS9_SG_NS0_5tupleIJPjSI_NS0_16reverse_iteratorISI_EEEEENSH_IJSG_SG_SG_EEES9_SI_JZNS1_25segmented_radix_sort_implINS0_14default_configELb0EPKbPbPKlPlN2at6native12_GLOBAL__N_18offset_tEEE10hipError_tPvRmT1_PNSt15iterator_traitsIS12_E10value_typeET2_T3_PNS13_IS18_E10value_typeET4_jRbjT5_S1E_jjP12ihipStream_tbEUljE_ZNSN_ISO_Lb0ESQ_SR_ST_SU_SY_EESZ_S10_S11_S12_S16_S17_S18_S1B_S1C_jS1D_jS1E_S1E_jjS1G_bEUljE0_EEESZ_S10_S11_S18_S1C_S1E_T6_T7_T9_mT8_S1G_bDpT10_ENKUlT_T0_E_clISt17integral_constantIbLb1EES1T_IbLb0EEEEDaS1P_S1Q_EUlS1P_E_NS1_11comp_targetILNS1_3genE2ELNS1_11target_archE906ELNS1_3gpuE6ELNS1_3repE0EEENS1_30default_config_static_selectorELNS0_4arch9wavefront6targetE0EEEvS12_, .Lfunc_end1591-_ZN7rocprim17ROCPRIM_400000_NS6detail17trampoline_kernelINS0_13select_configILj256ELj13ELNS0_17block_load_methodE3ELS4_3ELS4_3ELNS0_20block_scan_algorithmE0ELj4294967295EEENS1_25partition_config_selectorILNS1_17partition_subalgoE4EjNS0_10empty_typeEbEEZZNS1_14partition_implILS8_4ELb0ES6_15HIP_vector_typeIjLj2EENS0_17counting_iteratorIjlEEPS9_SG_NS0_5tupleIJPjSI_NS0_16reverse_iteratorISI_EEEEENSH_IJSG_SG_SG_EEES9_SI_JZNS1_25segmented_radix_sort_implINS0_14default_configELb0EPKbPbPKlPlN2at6native12_GLOBAL__N_18offset_tEEE10hipError_tPvRmT1_PNSt15iterator_traitsIS12_E10value_typeET2_T3_PNS13_IS18_E10value_typeET4_jRbjT5_S1E_jjP12ihipStream_tbEUljE_ZNSN_ISO_Lb0ESQ_SR_ST_SU_SY_EESZ_S10_S11_S12_S16_S17_S18_S1B_S1C_jS1D_jS1E_S1E_jjS1G_bEUljE0_EEESZ_S10_S11_S18_S1C_S1E_T6_T7_T9_mT8_S1G_bDpT10_ENKUlT_T0_E_clISt17integral_constantIbLb1EES1T_IbLb0EEEEDaS1P_S1Q_EUlS1P_E_NS1_11comp_targetILNS1_3genE2ELNS1_11target_archE906ELNS1_3gpuE6ELNS1_3repE0EEENS1_30default_config_static_selectorELNS0_4arch9wavefront6targetE0EEEvS12_
                                        ; -- End function
	.section	.AMDGPU.csdata,"",@progbits
; Kernel info:
; codeLenInByte = 0
; NumSgprs: 0
; NumVgprs: 0
; ScratchSize: 0
; MemoryBound: 0
; FloatMode: 240
; IeeeMode: 1
; LDSByteSize: 0 bytes/workgroup (compile time only)
; SGPRBlocks: 0
; VGPRBlocks: 0
; NumSGPRsForWavesPerEU: 1
; NumVGPRsForWavesPerEU: 1
; Occupancy: 16
; WaveLimiterHint : 0
; COMPUTE_PGM_RSRC2:SCRATCH_EN: 0
; COMPUTE_PGM_RSRC2:USER_SGPR: 15
; COMPUTE_PGM_RSRC2:TRAP_HANDLER: 0
; COMPUTE_PGM_RSRC2:TGID_X_EN: 1
; COMPUTE_PGM_RSRC2:TGID_Y_EN: 0
; COMPUTE_PGM_RSRC2:TGID_Z_EN: 0
; COMPUTE_PGM_RSRC2:TIDIG_COMP_CNT: 0
	.section	.text._ZN7rocprim17ROCPRIM_400000_NS6detail17trampoline_kernelINS0_13select_configILj256ELj13ELNS0_17block_load_methodE3ELS4_3ELS4_3ELNS0_20block_scan_algorithmE0ELj4294967295EEENS1_25partition_config_selectorILNS1_17partition_subalgoE4EjNS0_10empty_typeEbEEZZNS1_14partition_implILS8_4ELb0ES6_15HIP_vector_typeIjLj2EENS0_17counting_iteratorIjlEEPS9_SG_NS0_5tupleIJPjSI_NS0_16reverse_iteratorISI_EEEEENSH_IJSG_SG_SG_EEES9_SI_JZNS1_25segmented_radix_sort_implINS0_14default_configELb0EPKbPbPKlPlN2at6native12_GLOBAL__N_18offset_tEEE10hipError_tPvRmT1_PNSt15iterator_traitsIS12_E10value_typeET2_T3_PNS13_IS18_E10value_typeET4_jRbjT5_S1E_jjP12ihipStream_tbEUljE_ZNSN_ISO_Lb0ESQ_SR_ST_SU_SY_EESZ_S10_S11_S12_S16_S17_S18_S1B_S1C_jS1D_jS1E_S1E_jjS1G_bEUljE0_EEESZ_S10_S11_S18_S1C_S1E_T6_T7_T9_mT8_S1G_bDpT10_ENKUlT_T0_E_clISt17integral_constantIbLb1EES1T_IbLb0EEEEDaS1P_S1Q_EUlS1P_E_NS1_11comp_targetILNS1_3genE10ELNS1_11target_archE1200ELNS1_3gpuE4ELNS1_3repE0EEENS1_30default_config_static_selectorELNS0_4arch9wavefront6targetE0EEEvS12_,"axG",@progbits,_ZN7rocprim17ROCPRIM_400000_NS6detail17trampoline_kernelINS0_13select_configILj256ELj13ELNS0_17block_load_methodE3ELS4_3ELS4_3ELNS0_20block_scan_algorithmE0ELj4294967295EEENS1_25partition_config_selectorILNS1_17partition_subalgoE4EjNS0_10empty_typeEbEEZZNS1_14partition_implILS8_4ELb0ES6_15HIP_vector_typeIjLj2EENS0_17counting_iteratorIjlEEPS9_SG_NS0_5tupleIJPjSI_NS0_16reverse_iteratorISI_EEEEENSH_IJSG_SG_SG_EEES9_SI_JZNS1_25segmented_radix_sort_implINS0_14default_configELb0EPKbPbPKlPlN2at6native12_GLOBAL__N_18offset_tEEE10hipError_tPvRmT1_PNSt15iterator_traitsIS12_E10value_typeET2_T3_PNS13_IS18_E10value_typeET4_jRbjT5_S1E_jjP12ihipStream_tbEUljE_ZNSN_ISO_Lb0ESQ_SR_ST_SU_SY_EESZ_S10_S11_S12_S16_S17_S18_S1B_S1C_jS1D_jS1E_S1E_jjS1G_bEUljE0_EEESZ_S10_S11_S18_S1C_S1E_T6_T7_T9_mT8_S1G_bDpT10_ENKUlT_T0_E_clISt17integral_constantIbLb1EES1T_IbLb0EEEEDaS1P_S1Q_EUlS1P_E_NS1_11comp_targetILNS1_3genE10ELNS1_11target_archE1200ELNS1_3gpuE4ELNS1_3repE0EEENS1_30default_config_static_selectorELNS0_4arch9wavefront6targetE0EEEvS12_,comdat
	.globl	_ZN7rocprim17ROCPRIM_400000_NS6detail17trampoline_kernelINS0_13select_configILj256ELj13ELNS0_17block_load_methodE3ELS4_3ELS4_3ELNS0_20block_scan_algorithmE0ELj4294967295EEENS1_25partition_config_selectorILNS1_17partition_subalgoE4EjNS0_10empty_typeEbEEZZNS1_14partition_implILS8_4ELb0ES6_15HIP_vector_typeIjLj2EENS0_17counting_iteratorIjlEEPS9_SG_NS0_5tupleIJPjSI_NS0_16reverse_iteratorISI_EEEEENSH_IJSG_SG_SG_EEES9_SI_JZNS1_25segmented_radix_sort_implINS0_14default_configELb0EPKbPbPKlPlN2at6native12_GLOBAL__N_18offset_tEEE10hipError_tPvRmT1_PNSt15iterator_traitsIS12_E10value_typeET2_T3_PNS13_IS18_E10value_typeET4_jRbjT5_S1E_jjP12ihipStream_tbEUljE_ZNSN_ISO_Lb0ESQ_SR_ST_SU_SY_EESZ_S10_S11_S12_S16_S17_S18_S1B_S1C_jS1D_jS1E_S1E_jjS1G_bEUljE0_EEESZ_S10_S11_S18_S1C_S1E_T6_T7_T9_mT8_S1G_bDpT10_ENKUlT_T0_E_clISt17integral_constantIbLb1EES1T_IbLb0EEEEDaS1P_S1Q_EUlS1P_E_NS1_11comp_targetILNS1_3genE10ELNS1_11target_archE1200ELNS1_3gpuE4ELNS1_3repE0EEENS1_30default_config_static_selectorELNS0_4arch9wavefront6targetE0EEEvS12_ ; -- Begin function _ZN7rocprim17ROCPRIM_400000_NS6detail17trampoline_kernelINS0_13select_configILj256ELj13ELNS0_17block_load_methodE3ELS4_3ELS4_3ELNS0_20block_scan_algorithmE0ELj4294967295EEENS1_25partition_config_selectorILNS1_17partition_subalgoE4EjNS0_10empty_typeEbEEZZNS1_14partition_implILS8_4ELb0ES6_15HIP_vector_typeIjLj2EENS0_17counting_iteratorIjlEEPS9_SG_NS0_5tupleIJPjSI_NS0_16reverse_iteratorISI_EEEEENSH_IJSG_SG_SG_EEES9_SI_JZNS1_25segmented_radix_sort_implINS0_14default_configELb0EPKbPbPKlPlN2at6native12_GLOBAL__N_18offset_tEEE10hipError_tPvRmT1_PNSt15iterator_traitsIS12_E10value_typeET2_T3_PNS13_IS18_E10value_typeET4_jRbjT5_S1E_jjP12ihipStream_tbEUljE_ZNSN_ISO_Lb0ESQ_SR_ST_SU_SY_EESZ_S10_S11_S12_S16_S17_S18_S1B_S1C_jS1D_jS1E_S1E_jjS1G_bEUljE0_EEESZ_S10_S11_S18_S1C_S1E_T6_T7_T9_mT8_S1G_bDpT10_ENKUlT_T0_E_clISt17integral_constantIbLb1EES1T_IbLb0EEEEDaS1P_S1Q_EUlS1P_E_NS1_11comp_targetILNS1_3genE10ELNS1_11target_archE1200ELNS1_3gpuE4ELNS1_3repE0EEENS1_30default_config_static_selectorELNS0_4arch9wavefront6targetE0EEEvS12_
	.p2align	8
	.type	_ZN7rocprim17ROCPRIM_400000_NS6detail17trampoline_kernelINS0_13select_configILj256ELj13ELNS0_17block_load_methodE3ELS4_3ELS4_3ELNS0_20block_scan_algorithmE0ELj4294967295EEENS1_25partition_config_selectorILNS1_17partition_subalgoE4EjNS0_10empty_typeEbEEZZNS1_14partition_implILS8_4ELb0ES6_15HIP_vector_typeIjLj2EENS0_17counting_iteratorIjlEEPS9_SG_NS0_5tupleIJPjSI_NS0_16reverse_iteratorISI_EEEEENSH_IJSG_SG_SG_EEES9_SI_JZNS1_25segmented_radix_sort_implINS0_14default_configELb0EPKbPbPKlPlN2at6native12_GLOBAL__N_18offset_tEEE10hipError_tPvRmT1_PNSt15iterator_traitsIS12_E10value_typeET2_T3_PNS13_IS18_E10value_typeET4_jRbjT5_S1E_jjP12ihipStream_tbEUljE_ZNSN_ISO_Lb0ESQ_SR_ST_SU_SY_EESZ_S10_S11_S12_S16_S17_S18_S1B_S1C_jS1D_jS1E_S1E_jjS1G_bEUljE0_EEESZ_S10_S11_S18_S1C_S1E_T6_T7_T9_mT8_S1G_bDpT10_ENKUlT_T0_E_clISt17integral_constantIbLb1EES1T_IbLb0EEEEDaS1P_S1Q_EUlS1P_E_NS1_11comp_targetILNS1_3genE10ELNS1_11target_archE1200ELNS1_3gpuE4ELNS1_3repE0EEENS1_30default_config_static_selectorELNS0_4arch9wavefront6targetE0EEEvS12_,@function
_ZN7rocprim17ROCPRIM_400000_NS6detail17trampoline_kernelINS0_13select_configILj256ELj13ELNS0_17block_load_methodE3ELS4_3ELS4_3ELNS0_20block_scan_algorithmE0ELj4294967295EEENS1_25partition_config_selectorILNS1_17partition_subalgoE4EjNS0_10empty_typeEbEEZZNS1_14partition_implILS8_4ELb0ES6_15HIP_vector_typeIjLj2EENS0_17counting_iteratorIjlEEPS9_SG_NS0_5tupleIJPjSI_NS0_16reverse_iteratorISI_EEEEENSH_IJSG_SG_SG_EEES9_SI_JZNS1_25segmented_radix_sort_implINS0_14default_configELb0EPKbPbPKlPlN2at6native12_GLOBAL__N_18offset_tEEE10hipError_tPvRmT1_PNSt15iterator_traitsIS12_E10value_typeET2_T3_PNS13_IS18_E10value_typeET4_jRbjT5_S1E_jjP12ihipStream_tbEUljE_ZNSN_ISO_Lb0ESQ_SR_ST_SU_SY_EESZ_S10_S11_S12_S16_S17_S18_S1B_S1C_jS1D_jS1E_S1E_jjS1G_bEUljE0_EEESZ_S10_S11_S18_S1C_S1E_T6_T7_T9_mT8_S1G_bDpT10_ENKUlT_T0_E_clISt17integral_constantIbLb1EES1T_IbLb0EEEEDaS1P_S1Q_EUlS1P_E_NS1_11comp_targetILNS1_3genE10ELNS1_11target_archE1200ELNS1_3gpuE4ELNS1_3repE0EEENS1_30default_config_static_selectorELNS0_4arch9wavefront6targetE0EEEvS12_: ; @_ZN7rocprim17ROCPRIM_400000_NS6detail17trampoline_kernelINS0_13select_configILj256ELj13ELNS0_17block_load_methodE3ELS4_3ELS4_3ELNS0_20block_scan_algorithmE0ELj4294967295EEENS1_25partition_config_selectorILNS1_17partition_subalgoE4EjNS0_10empty_typeEbEEZZNS1_14partition_implILS8_4ELb0ES6_15HIP_vector_typeIjLj2EENS0_17counting_iteratorIjlEEPS9_SG_NS0_5tupleIJPjSI_NS0_16reverse_iteratorISI_EEEEENSH_IJSG_SG_SG_EEES9_SI_JZNS1_25segmented_radix_sort_implINS0_14default_configELb0EPKbPbPKlPlN2at6native12_GLOBAL__N_18offset_tEEE10hipError_tPvRmT1_PNSt15iterator_traitsIS12_E10value_typeET2_T3_PNS13_IS18_E10value_typeET4_jRbjT5_S1E_jjP12ihipStream_tbEUljE_ZNSN_ISO_Lb0ESQ_SR_ST_SU_SY_EESZ_S10_S11_S12_S16_S17_S18_S1B_S1C_jS1D_jS1E_S1E_jjS1G_bEUljE0_EEESZ_S10_S11_S18_S1C_S1E_T6_T7_T9_mT8_S1G_bDpT10_ENKUlT_T0_E_clISt17integral_constantIbLb1EES1T_IbLb0EEEEDaS1P_S1Q_EUlS1P_E_NS1_11comp_targetILNS1_3genE10ELNS1_11target_archE1200ELNS1_3gpuE4ELNS1_3repE0EEENS1_30default_config_static_selectorELNS0_4arch9wavefront6targetE0EEEvS12_
; %bb.0:
	.section	.rodata,"a",@progbits
	.p2align	6, 0x0
	.amdhsa_kernel _ZN7rocprim17ROCPRIM_400000_NS6detail17trampoline_kernelINS0_13select_configILj256ELj13ELNS0_17block_load_methodE3ELS4_3ELS4_3ELNS0_20block_scan_algorithmE0ELj4294967295EEENS1_25partition_config_selectorILNS1_17partition_subalgoE4EjNS0_10empty_typeEbEEZZNS1_14partition_implILS8_4ELb0ES6_15HIP_vector_typeIjLj2EENS0_17counting_iteratorIjlEEPS9_SG_NS0_5tupleIJPjSI_NS0_16reverse_iteratorISI_EEEEENSH_IJSG_SG_SG_EEES9_SI_JZNS1_25segmented_radix_sort_implINS0_14default_configELb0EPKbPbPKlPlN2at6native12_GLOBAL__N_18offset_tEEE10hipError_tPvRmT1_PNSt15iterator_traitsIS12_E10value_typeET2_T3_PNS13_IS18_E10value_typeET4_jRbjT5_S1E_jjP12ihipStream_tbEUljE_ZNSN_ISO_Lb0ESQ_SR_ST_SU_SY_EESZ_S10_S11_S12_S16_S17_S18_S1B_S1C_jS1D_jS1E_S1E_jjS1G_bEUljE0_EEESZ_S10_S11_S18_S1C_S1E_T6_T7_T9_mT8_S1G_bDpT10_ENKUlT_T0_E_clISt17integral_constantIbLb1EES1T_IbLb0EEEEDaS1P_S1Q_EUlS1P_E_NS1_11comp_targetILNS1_3genE10ELNS1_11target_archE1200ELNS1_3gpuE4ELNS1_3repE0EEENS1_30default_config_static_selectorELNS0_4arch9wavefront6targetE0EEEvS12_
		.amdhsa_group_segment_fixed_size 0
		.amdhsa_private_segment_fixed_size 0
		.amdhsa_kernarg_size 176
		.amdhsa_user_sgpr_count 15
		.amdhsa_user_sgpr_dispatch_ptr 0
		.amdhsa_user_sgpr_queue_ptr 0
		.amdhsa_user_sgpr_kernarg_segment_ptr 1
		.amdhsa_user_sgpr_dispatch_id 0
		.amdhsa_user_sgpr_private_segment_size 0
		.amdhsa_wavefront_size32 1
		.amdhsa_uses_dynamic_stack 0
		.amdhsa_enable_private_segment 0
		.amdhsa_system_sgpr_workgroup_id_x 1
		.amdhsa_system_sgpr_workgroup_id_y 0
		.amdhsa_system_sgpr_workgroup_id_z 0
		.amdhsa_system_sgpr_workgroup_info 0
		.amdhsa_system_vgpr_workitem_id 0
		.amdhsa_next_free_vgpr 1
		.amdhsa_next_free_sgpr 1
		.amdhsa_reserve_vcc 0
		.amdhsa_float_round_mode_32 0
		.amdhsa_float_round_mode_16_64 0
		.amdhsa_float_denorm_mode_32 3
		.amdhsa_float_denorm_mode_16_64 3
		.amdhsa_dx10_clamp 1
		.amdhsa_ieee_mode 1
		.amdhsa_fp16_overflow 0
		.amdhsa_workgroup_processor_mode 1
		.amdhsa_memory_ordered 1
		.amdhsa_forward_progress 0
		.amdhsa_shared_vgpr_count 0
		.amdhsa_exception_fp_ieee_invalid_op 0
		.amdhsa_exception_fp_denorm_src 0
		.amdhsa_exception_fp_ieee_div_zero 0
		.amdhsa_exception_fp_ieee_overflow 0
		.amdhsa_exception_fp_ieee_underflow 0
		.amdhsa_exception_fp_ieee_inexact 0
		.amdhsa_exception_int_div_zero 0
	.end_amdhsa_kernel
	.section	.text._ZN7rocprim17ROCPRIM_400000_NS6detail17trampoline_kernelINS0_13select_configILj256ELj13ELNS0_17block_load_methodE3ELS4_3ELS4_3ELNS0_20block_scan_algorithmE0ELj4294967295EEENS1_25partition_config_selectorILNS1_17partition_subalgoE4EjNS0_10empty_typeEbEEZZNS1_14partition_implILS8_4ELb0ES6_15HIP_vector_typeIjLj2EENS0_17counting_iteratorIjlEEPS9_SG_NS0_5tupleIJPjSI_NS0_16reverse_iteratorISI_EEEEENSH_IJSG_SG_SG_EEES9_SI_JZNS1_25segmented_radix_sort_implINS0_14default_configELb0EPKbPbPKlPlN2at6native12_GLOBAL__N_18offset_tEEE10hipError_tPvRmT1_PNSt15iterator_traitsIS12_E10value_typeET2_T3_PNS13_IS18_E10value_typeET4_jRbjT5_S1E_jjP12ihipStream_tbEUljE_ZNSN_ISO_Lb0ESQ_SR_ST_SU_SY_EESZ_S10_S11_S12_S16_S17_S18_S1B_S1C_jS1D_jS1E_S1E_jjS1G_bEUljE0_EEESZ_S10_S11_S18_S1C_S1E_T6_T7_T9_mT8_S1G_bDpT10_ENKUlT_T0_E_clISt17integral_constantIbLb1EES1T_IbLb0EEEEDaS1P_S1Q_EUlS1P_E_NS1_11comp_targetILNS1_3genE10ELNS1_11target_archE1200ELNS1_3gpuE4ELNS1_3repE0EEENS1_30default_config_static_selectorELNS0_4arch9wavefront6targetE0EEEvS12_,"axG",@progbits,_ZN7rocprim17ROCPRIM_400000_NS6detail17trampoline_kernelINS0_13select_configILj256ELj13ELNS0_17block_load_methodE3ELS4_3ELS4_3ELNS0_20block_scan_algorithmE0ELj4294967295EEENS1_25partition_config_selectorILNS1_17partition_subalgoE4EjNS0_10empty_typeEbEEZZNS1_14partition_implILS8_4ELb0ES6_15HIP_vector_typeIjLj2EENS0_17counting_iteratorIjlEEPS9_SG_NS0_5tupleIJPjSI_NS0_16reverse_iteratorISI_EEEEENSH_IJSG_SG_SG_EEES9_SI_JZNS1_25segmented_radix_sort_implINS0_14default_configELb0EPKbPbPKlPlN2at6native12_GLOBAL__N_18offset_tEEE10hipError_tPvRmT1_PNSt15iterator_traitsIS12_E10value_typeET2_T3_PNS13_IS18_E10value_typeET4_jRbjT5_S1E_jjP12ihipStream_tbEUljE_ZNSN_ISO_Lb0ESQ_SR_ST_SU_SY_EESZ_S10_S11_S12_S16_S17_S18_S1B_S1C_jS1D_jS1E_S1E_jjS1G_bEUljE0_EEESZ_S10_S11_S18_S1C_S1E_T6_T7_T9_mT8_S1G_bDpT10_ENKUlT_T0_E_clISt17integral_constantIbLb1EES1T_IbLb0EEEEDaS1P_S1Q_EUlS1P_E_NS1_11comp_targetILNS1_3genE10ELNS1_11target_archE1200ELNS1_3gpuE4ELNS1_3repE0EEENS1_30default_config_static_selectorELNS0_4arch9wavefront6targetE0EEEvS12_,comdat
.Lfunc_end1592:
	.size	_ZN7rocprim17ROCPRIM_400000_NS6detail17trampoline_kernelINS0_13select_configILj256ELj13ELNS0_17block_load_methodE3ELS4_3ELS4_3ELNS0_20block_scan_algorithmE0ELj4294967295EEENS1_25partition_config_selectorILNS1_17partition_subalgoE4EjNS0_10empty_typeEbEEZZNS1_14partition_implILS8_4ELb0ES6_15HIP_vector_typeIjLj2EENS0_17counting_iteratorIjlEEPS9_SG_NS0_5tupleIJPjSI_NS0_16reverse_iteratorISI_EEEEENSH_IJSG_SG_SG_EEES9_SI_JZNS1_25segmented_radix_sort_implINS0_14default_configELb0EPKbPbPKlPlN2at6native12_GLOBAL__N_18offset_tEEE10hipError_tPvRmT1_PNSt15iterator_traitsIS12_E10value_typeET2_T3_PNS13_IS18_E10value_typeET4_jRbjT5_S1E_jjP12ihipStream_tbEUljE_ZNSN_ISO_Lb0ESQ_SR_ST_SU_SY_EESZ_S10_S11_S12_S16_S17_S18_S1B_S1C_jS1D_jS1E_S1E_jjS1G_bEUljE0_EEESZ_S10_S11_S18_S1C_S1E_T6_T7_T9_mT8_S1G_bDpT10_ENKUlT_T0_E_clISt17integral_constantIbLb1EES1T_IbLb0EEEEDaS1P_S1Q_EUlS1P_E_NS1_11comp_targetILNS1_3genE10ELNS1_11target_archE1200ELNS1_3gpuE4ELNS1_3repE0EEENS1_30default_config_static_selectorELNS0_4arch9wavefront6targetE0EEEvS12_, .Lfunc_end1592-_ZN7rocprim17ROCPRIM_400000_NS6detail17trampoline_kernelINS0_13select_configILj256ELj13ELNS0_17block_load_methodE3ELS4_3ELS4_3ELNS0_20block_scan_algorithmE0ELj4294967295EEENS1_25partition_config_selectorILNS1_17partition_subalgoE4EjNS0_10empty_typeEbEEZZNS1_14partition_implILS8_4ELb0ES6_15HIP_vector_typeIjLj2EENS0_17counting_iteratorIjlEEPS9_SG_NS0_5tupleIJPjSI_NS0_16reverse_iteratorISI_EEEEENSH_IJSG_SG_SG_EEES9_SI_JZNS1_25segmented_radix_sort_implINS0_14default_configELb0EPKbPbPKlPlN2at6native12_GLOBAL__N_18offset_tEEE10hipError_tPvRmT1_PNSt15iterator_traitsIS12_E10value_typeET2_T3_PNS13_IS18_E10value_typeET4_jRbjT5_S1E_jjP12ihipStream_tbEUljE_ZNSN_ISO_Lb0ESQ_SR_ST_SU_SY_EESZ_S10_S11_S12_S16_S17_S18_S1B_S1C_jS1D_jS1E_S1E_jjS1G_bEUljE0_EEESZ_S10_S11_S18_S1C_S1E_T6_T7_T9_mT8_S1G_bDpT10_ENKUlT_T0_E_clISt17integral_constantIbLb1EES1T_IbLb0EEEEDaS1P_S1Q_EUlS1P_E_NS1_11comp_targetILNS1_3genE10ELNS1_11target_archE1200ELNS1_3gpuE4ELNS1_3repE0EEENS1_30default_config_static_selectorELNS0_4arch9wavefront6targetE0EEEvS12_
                                        ; -- End function
	.section	.AMDGPU.csdata,"",@progbits
; Kernel info:
; codeLenInByte = 0
; NumSgprs: 0
; NumVgprs: 0
; ScratchSize: 0
; MemoryBound: 0
; FloatMode: 240
; IeeeMode: 1
; LDSByteSize: 0 bytes/workgroup (compile time only)
; SGPRBlocks: 0
; VGPRBlocks: 0
; NumSGPRsForWavesPerEU: 1
; NumVGPRsForWavesPerEU: 1
; Occupancy: 16
; WaveLimiterHint : 0
; COMPUTE_PGM_RSRC2:SCRATCH_EN: 0
; COMPUTE_PGM_RSRC2:USER_SGPR: 15
; COMPUTE_PGM_RSRC2:TRAP_HANDLER: 0
; COMPUTE_PGM_RSRC2:TGID_X_EN: 1
; COMPUTE_PGM_RSRC2:TGID_Y_EN: 0
; COMPUTE_PGM_RSRC2:TGID_Z_EN: 0
; COMPUTE_PGM_RSRC2:TIDIG_COMP_CNT: 0
	.section	.text._ZN7rocprim17ROCPRIM_400000_NS6detail17trampoline_kernelINS0_13select_configILj256ELj13ELNS0_17block_load_methodE3ELS4_3ELS4_3ELNS0_20block_scan_algorithmE0ELj4294967295EEENS1_25partition_config_selectorILNS1_17partition_subalgoE4EjNS0_10empty_typeEbEEZZNS1_14partition_implILS8_4ELb0ES6_15HIP_vector_typeIjLj2EENS0_17counting_iteratorIjlEEPS9_SG_NS0_5tupleIJPjSI_NS0_16reverse_iteratorISI_EEEEENSH_IJSG_SG_SG_EEES9_SI_JZNS1_25segmented_radix_sort_implINS0_14default_configELb0EPKbPbPKlPlN2at6native12_GLOBAL__N_18offset_tEEE10hipError_tPvRmT1_PNSt15iterator_traitsIS12_E10value_typeET2_T3_PNS13_IS18_E10value_typeET4_jRbjT5_S1E_jjP12ihipStream_tbEUljE_ZNSN_ISO_Lb0ESQ_SR_ST_SU_SY_EESZ_S10_S11_S12_S16_S17_S18_S1B_S1C_jS1D_jS1E_S1E_jjS1G_bEUljE0_EEESZ_S10_S11_S18_S1C_S1E_T6_T7_T9_mT8_S1G_bDpT10_ENKUlT_T0_E_clISt17integral_constantIbLb1EES1T_IbLb0EEEEDaS1P_S1Q_EUlS1P_E_NS1_11comp_targetILNS1_3genE9ELNS1_11target_archE1100ELNS1_3gpuE3ELNS1_3repE0EEENS1_30default_config_static_selectorELNS0_4arch9wavefront6targetE0EEEvS12_,"axG",@progbits,_ZN7rocprim17ROCPRIM_400000_NS6detail17trampoline_kernelINS0_13select_configILj256ELj13ELNS0_17block_load_methodE3ELS4_3ELS4_3ELNS0_20block_scan_algorithmE0ELj4294967295EEENS1_25partition_config_selectorILNS1_17partition_subalgoE4EjNS0_10empty_typeEbEEZZNS1_14partition_implILS8_4ELb0ES6_15HIP_vector_typeIjLj2EENS0_17counting_iteratorIjlEEPS9_SG_NS0_5tupleIJPjSI_NS0_16reverse_iteratorISI_EEEEENSH_IJSG_SG_SG_EEES9_SI_JZNS1_25segmented_radix_sort_implINS0_14default_configELb0EPKbPbPKlPlN2at6native12_GLOBAL__N_18offset_tEEE10hipError_tPvRmT1_PNSt15iterator_traitsIS12_E10value_typeET2_T3_PNS13_IS18_E10value_typeET4_jRbjT5_S1E_jjP12ihipStream_tbEUljE_ZNSN_ISO_Lb0ESQ_SR_ST_SU_SY_EESZ_S10_S11_S12_S16_S17_S18_S1B_S1C_jS1D_jS1E_S1E_jjS1G_bEUljE0_EEESZ_S10_S11_S18_S1C_S1E_T6_T7_T9_mT8_S1G_bDpT10_ENKUlT_T0_E_clISt17integral_constantIbLb1EES1T_IbLb0EEEEDaS1P_S1Q_EUlS1P_E_NS1_11comp_targetILNS1_3genE9ELNS1_11target_archE1100ELNS1_3gpuE3ELNS1_3repE0EEENS1_30default_config_static_selectorELNS0_4arch9wavefront6targetE0EEEvS12_,comdat
	.globl	_ZN7rocprim17ROCPRIM_400000_NS6detail17trampoline_kernelINS0_13select_configILj256ELj13ELNS0_17block_load_methodE3ELS4_3ELS4_3ELNS0_20block_scan_algorithmE0ELj4294967295EEENS1_25partition_config_selectorILNS1_17partition_subalgoE4EjNS0_10empty_typeEbEEZZNS1_14partition_implILS8_4ELb0ES6_15HIP_vector_typeIjLj2EENS0_17counting_iteratorIjlEEPS9_SG_NS0_5tupleIJPjSI_NS0_16reverse_iteratorISI_EEEEENSH_IJSG_SG_SG_EEES9_SI_JZNS1_25segmented_radix_sort_implINS0_14default_configELb0EPKbPbPKlPlN2at6native12_GLOBAL__N_18offset_tEEE10hipError_tPvRmT1_PNSt15iterator_traitsIS12_E10value_typeET2_T3_PNS13_IS18_E10value_typeET4_jRbjT5_S1E_jjP12ihipStream_tbEUljE_ZNSN_ISO_Lb0ESQ_SR_ST_SU_SY_EESZ_S10_S11_S12_S16_S17_S18_S1B_S1C_jS1D_jS1E_S1E_jjS1G_bEUljE0_EEESZ_S10_S11_S18_S1C_S1E_T6_T7_T9_mT8_S1G_bDpT10_ENKUlT_T0_E_clISt17integral_constantIbLb1EES1T_IbLb0EEEEDaS1P_S1Q_EUlS1P_E_NS1_11comp_targetILNS1_3genE9ELNS1_11target_archE1100ELNS1_3gpuE3ELNS1_3repE0EEENS1_30default_config_static_selectorELNS0_4arch9wavefront6targetE0EEEvS12_ ; -- Begin function _ZN7rocprim17ROCPRIM_400000_NS6detail17trampoline_kernelINS0_13select_configILj256ELj13ELNS0_17block_load_methodE3ELS4_3ELS4_3ELNS0_20block_scan_algorithmE0ELj4294967295EEENS1_25partition_config_selectorILNS1_17partition_subalgoE4EjNS0_10empty_typeEbEEZZNS1_14partition_implILS8_4ELb0ES6_15HIP_vector_typeIjLj2EENS0_17counting_iteratorIjlEEPS9_SG_NS0_5tupleIJPjSI_NS0_16reverse_iteratorISI_EEEEENSH_IJSG_SG_SG_EEES9_SI_JZNS1_25segmented_radix_sort_implINS0_14default_configELb0EPKbPbPKlPlN2at6native12_GLOBAL__N_18offset_tEEE10hipError_tPvRmT1_PNSt15iterator_traitsIS12_E10value_typeET2_T3_PNS13_IS18_E10value_typeET4_jRbjT5_S1E_jjP12ihipStream_tbEUljE_ZNSN_ISO_Lb0ESQ_SR_ST_SU_SY_EESZ_S10_S11_S12_S16_S17_S18_S1B_S1C_jS1D_jS1E_S1E_jjS1G_bEUljE0_EEESZ_S10_S11_S18_S1C_S1E_T6_T7_T9_mT8_S1G_bDpT10_ENKUlT_T0_E_clISt17integral_constantIbLb1EES1T_IbLb0EEEEDaS1P_S1Q_EUlS1P_E_NS1_11comp_targetILNS1_3genE9ELNS1_11target_archE1100ELNS1_3gpuE3ELNS1_3repE0EEENS1_30default_config_static_selectorELNS0_4arch9wavefront6targetE0EEEvS12_
	.p2align	8
	.type	_ZN7rocprim17ROCPRIM_400000_NS6detail17trampoline_kernelINS0_13select_configILj256ELj13ELNS0_17block_load_methodE3ELS4_3ELS4_3ELNS0_20block_scan_algorithmE0ELj4294967295EEENS1_25partition_config_selectorILNS1_17partition_subalgoE4EjNS0_10empty_typeEbEEZZNS1_14partition_implILS8_4ELb0ES6_15HIP_vector_typeIjLj2EENS0_17counting_iteratorIjlEEPS9_SG_NS0_5tupleIJPjSI_NS0_16reverse_iteratorISI_EEEEENSH_IJSG_SG_SG_EEES9_SI_JZNS1_25segmented_radix_sort_implINS0_14default_configELb0EPKbPbPKlPlN2at6native12_GLOBAL__N_18offset_tEEE10hipError_tPvRmT1_PNSt15iterator_traitsIS12_E10value_typeET2_T3_PNS13_IS18_E10value_typeET4_jRbjT5_S1E_jjP12ihipStream_tbEUljE_ZNSN_ISO_Lb0ESQ_SR_ST_SU_SY_EESZ_S10_S11_S12_S16_S17_S18_S1B_S1C_jS1D_jS1E_S1E_jjS1G_bEUljE0_EEESZ_S10_S11_S18_S1C_S1E_T6_T7_T9_mT8_S1G_bDpT10_ENKUlT_T0_E_clISt17integral_constantIbLb1EES1T_IbLb0EEEEDaS1P_S1Q_EUlS1P_E_NS1_11comp_targetILNS1_3genE9ELNS1_11target_archE1100ELNS1_3gpuE3ELNS1_3repE0EEENS1_30default_config_static_selectorELNS0_4arch9wavefront6targetE0EEEvS12_,@function
_ZN7rocprim17ROCPRIM_400000_NS6detail17trampoline_kernelINS0_13select_configILj256ELj13ELNS0_17block_load_methodE3ELS4_3ELS4_3ELNS0_20block_scan_algorithmE0ELj4294967295EEENS1_25partition_config_selectorILNS1_17partition_subalgoE4EjNS0_10empty_typeEbEEZZNS1_14partition_implILS8_4ELb0ES6_15HIP_vector_typeIjLj2EENS0_17counting_iteratorIjlEEPS9_SG_NS0_5tupleIJPjSI_NS0_16reverse_iteratorISI_EEEEENSH_IJSG_SG_SG_EEES9_SI_JZNS1_25segmented_radix_sort_implINS0_14default_configELb0EPKbPbPKlPlN2at6native12_GLOBAL__N_18offset_tEEE10hipError_tPvRmT1_PNSt15iterator_traitsIS12_E10value_typeET2_T3_PNS13_IS18_E10value_typeET4_jRbjT5_S1E_jjP12ihipStream_tbEUljE_ZNSN_ISO_Lb0ESQ_SR_ST_SU_SY_EESZ_S10_S11_S12_S16_S17_S18_S1B_S1C_jS1D_jS1E_S1E_jjS1G_bEUljE0_EEESZ_S10_S11_S18_S1C_S1E_T6_T7_T9_mT8_S1G_bDpT10_ENKUlT_T0_E_clISt17integral_constantIbLb1EES1T_IbLb0EEEEDaS1P_S1Q_EUlS1P_E_NS1_11comp_targetILNS1_3genE9ELNS1_11target_archE1100ELNS1_3gpuE3ELNS1_3repE0EEENS1_30default_config_static_selectorELNS0_4arch9wavefront6targetE0EEEvS12_: ; @_ZN7rocprim17ROCPRIM_400000_NS6detail17trampoline_kernelINS0_13select_configILj256ELj13ELNS0_17block_load_methodE3ELS4_3ELS4_3ELNS0_20block_scan_algorithmE0ELj4294967295EEENS1_25partition_config_selectorILNS1_17partition_subalgoE4EjNS0_10empty_typeEbEEZZNS1_14partition_implILS8_4ELb0ES6_15HIP_vector_typeIjLj2EENS0_17counting_iteratorIjlEEPS9_SG_NS0_5tupleIJPjSI_NS0_16reverse_iteratorISI_EEEEENSH_IJSG_SG_SG_EEES9_SI_JZNS1_25segmented_radix_sort_implINS0_14default_configELb0EPKbPbPKlPlN2at6native12_GLOBAL__N_18offset_tEEE10hipError_tPvRmT1_PNSt15iterator_traitsIS12_E10value_typeET2_T3_PNS13_IS18_E10value_typeET4_jRbjT5_S1E_jjP12ihipStream_tbEUljE_ZNSN_ISO_Lb0ESQ_SR_ST_SU_SY_EESZ_S10_S11_S12_S16_S17_S18_S1B_S1C_jS1D_jS1E_S1E_jjS1G_bEUljE0_EEESZ_S10_S11_S18_S1C_S1E_T6_T7_T9_mT8_S1G_bDpT10_ENKUlT_T0_E_clISt17integral_constantIbLb1EES1T_IbLb0EEEEDaS1P_S1Q_EUlS1P_E_NS1_11comp_targetILNS1_3genE9ELNS1_11target_archE1100ELNS1_3gpuE3ELNS1_3repE0EEENS1_30default_config_static_selectorELNS0_4arch9wavefront6targetE0EEEvS12_
; %bb.0:
	s_clause 0x6
	s_load_b32 s5, s[0:1], 0x80
	s_load_b64 s[34:35], s[0:1], 0x10
	s_load_b64 s[2:3], s[0:1], 0x68
	s_load_b32 s8, s[0:1], 0x8
	s_load_b128 s[24:27], s[0:1], 0x58
	s_load_b64 s[40:41], s[0:1], 0xa8
	s_load_b256 s[16:23], s[0:1], 0x88
	s_mul_i32 s33, s15, 0xd00
	s_waitcnt lgkmcnt(0)
	s_mul_i32 s4, s5, 0xd00
	s_add_i32 s5, s5, -1
	s_add_u32 s6, s34, s4
	s_addc_u32 s7, s35, 0
	s_load_b128 s[28:31], s[26:27], 0x0
	s_cmp_eq_u32 s15, s5
	v_cmp_lt_u64_e64 s3, s[6:7], s[2:3]
	s_cselect_b32 s14, -1, 0
	s_cmp_lg_u32 s15, s5
	s_cselect_b32 s5, -1, 0
	s_add_i32 s6, s8, s33
	s_delay_alu instid0(VALU_DEP_1) | instskip(SKIP_4) | instid1(VALU_DEP_1)
	s_or_b32 s3, s5, s3
	s_add_i32 s6, s6, s34
	s_and_b32 vcc_lo, exec_lo, s3
	v_add_nc_u32_e32 v1, s6, v0
	s_mov_b32 s5, -1
	v_add_nc_u32_e32 v2, 0x100, v1
	v_add_nc_u32_e32 v3, 0x200, v1
	v_add_nc_u32_e32 v4, 0x300, v1
	v_add_nc_u32_e32 v5, 0x400, v1
	v_add_nc_u32_e32 v6, 0x500, v1
	v_add_nc_u32_e32 v7, 0x600, v1
	v_add_nc_u32_e32 v8, 0x700, v1
	v_add_nc_u32_e32 v9, 0x800, v1
	v_add_nc_u32_e32 v10, 0x900, v1
	v_add_nc_u32_e32 v11, 0xa00, v1
	v_add_nc_u32_e32 v12, 0xb00, v1
	v_add_nc_u32_e32 v13, 0xc00, v1
	s_cbranch_vccz .LBB1593_2
; %bb.1:
	v_lshlrev_b32_e32 v14, 2, v0
	s_mov_b32 s5, 0
	ds_store_2addr_stride64_b32 v14, v1, v2 offset1:4
	ds_store_2addr_stride64_b32 v14, v3, v4 offset0:8 offset1:12
	ds_store_2addr_stride64_b32 v14, v5, v6 offset0:16 offset1:20
	;; [unrolled: 1-line block ×5, first 2 shown]
	ds_store_b32 v14, v13 offset:12288
	s_waitcnt lgkmcnt(0)
	s_barrier
.LBB1593_2:
	s_and_not1_b32 vcc_lo, exec_lo, s5
	s_add_i32 s4, s4, s34
	s_cbranch_vccnz .LBB1593_4
; %bb.3:
	v_lshlrev_b32_e32 v14, 2, v0
	ds_store_2addr_stride64_b32 v14, v1, v2 offset1:4
	ds_store_2addr_stride64_b32 v14, v3, v4 offset0:8 offset1:12
	ds_store_2addr_stride64_b32 v14, v5, v6 offset0:16 offset1:20
	;; [unrolled: 1-line block ×5, first 2 shown]
	ds_store_b32 v14, v13 offset:12288
	s_waitcnt lgkmcnt(0)
	s_barrier
.LBB1593_4:
	v_mul_u32_u24_e32 v28, 13, v0
	s_clause 0x1
	s_load_b128 s[36:39], s[0:1], 0x28
	s_load_b64 s[26:27], s[0:1], 0x38
	s_waitcnt lgkmcnt(0)
	buffer_gl0_inv
	v_cndmask_b32_e64 v26, 0, 1, s3
	s_sub_i32 s44, s2, s4
	v_lshlrev_b32_e32 v1, 2, v28
	s_and_not1_b32 vcc_lo, exec_lo, s3
	ds_load_2addr_b32 v[16:17], v1 offset1:1
	ds_load_2addr_b32 v[14:15], v1 offset0:2 offset1:3
	ds_load_2addr_b32 v[12:13], v1 offset0:4 offset1:5
	;; [unrolled: 1-line block ×5, first 2 shown]
	ds_load_b32 v27, v1 offset:48
	s_waitcnt lgkmcnt(0)
	s_barrier
	buffer_gl0_inv
	s_cbranch_vccnz .LBB1593_32
; %bb.5:
	v_add_nc_u32_e32 v1, s17, v16
	v_add_nc_u32_e32 v2, s19, v16
	s_mov_b32 s46, 0
	s_mov_b32 s45, 0
	s_mov_b32 s3, exec_lo
	v_mul_lo_u32 v1, v1, s16
	v_mul_lo_u32 v2, v2, s18
	s_delay_alu instid0(VALU_DEP_1) | instskip(NEXT) | instid1(VALU_DEP_1)
	v_sub_nc_u32_e32 v1, v1, v2
	v_cmp_lt_u32_e32 vcc_lo, s20, v1
	v_cmpx_ge_u32_e64 s20, v1
; %bb.6:
	v_add_nc_u32_e32 v1, s22, v16
	v_add_nc_u32_e32 v2, s40, v16
	s_delay_alu instid0(VALU_DEP_2) | instskip(NEXT) | instid1(VALU_DEP_2)
	v_mul_lo_u32 v1, v1, s21
	v_mul_lo_u32 v2, v2, s23
	s_delay_alu instid0(VALU_DEP_1) | instskip(NEXT) | instid1(VALU_DEP_1)
	v_sub_nc_u32_e32 v1, v1, v2
	v_cmp_lt_u32_e64 s2, s41, v1
	s_delay_alu instid0(VALU_DEP_1)
	s_and_b32 s45, s2, exec_lo
; %bb.7:
	s_or_b32 exec_lo, exec_lo, s3
	v_add_nc_u32_e32 v1, s17, v17
	v_add_nc_u32_e32 v2, s19, v17
	s_mov_b32 s4, exec_lo
	s_delay_alu instid0(VALU_DEP_2) | instskip(NEXT) | instid1(VALU_DEP_2)
	v_mul_lo_u32 v1, v1, s16
	v_mul_lo_u32 v2, v2, s18
	s_delay_alu instid0(VALU_DEP_1) | instskip(NEXT) | instid1(VALU_DEP_1)
	v_sub_nc_u32_e32 v1, v1, v2
	v_cmp_lt_u32_e64 s2, s20, v1
	v_cmpx_ge_u32_e64 s20, v1
; %bb.8:
	v_add_nc_u32_e32 v1, s22, v17
	v_add_nc_u32_e32 v2, s40, v17
	s_delay_alu instid0(VALU_DEP_2) | instskip(NEXT) | instid1(VALU_DEP_2)
	v_mul_lo_u32 v1, v1, s21
	v_mul_lo_u32 v2, v2, s23
	s_delay_alu instid0(VALU_DEP_1) | instskip(NEXT) | instid1(VALU_DEP_1)
	v_sub_nc_u32_e32 v1, v1, v2
	v_cmp_lt_u32_e64 s3, s41, v1
	s_delay_alu instid0(VALU_DEP_1)
	s_and_b32 s46, s3, exec_lo
; %bb.9:
	s_or_b32 exec_lo, exec_lo, s4
	v_add_nc_u32_e32 v1, s17, v14
	v_add_nc_u32_e32 v2, s19, v14
	s_mov_b32 s48, 0
	s_mov_b32 s47, 0
	s_mov_b32 s5, exec_lo
	v_mul_lo_u32 v1, v1, s16
	v_mul_lo_u32 v2, v2, s18
	s_delay_alu instid0(VALU_DEP_1) | instskip(NEXT) | instid1(VALU_DEP_1)
	v_sub_nc_u32_e32 v1, v1, v2
	v_cmp_lt_u32_e64 s3, s20, v1
	v_cmpx_ge_u32_e64 s20, v1
; %bb.10:
	v_add_nc_u32_e32 v1, s22, v14
	v_add_nc_u32_e32 v2, s40, v14
	s_delay_alu instid0(VALU_DEP_2) | instskip(NEXT) | instid1(VALU_DEP_2)
	v_mul_lo_u32 v1, v1, s21
	v_mul_lo_u32 v2, v2, s23
	s_delay_alu instid0(VALU_DEP_1) | instskip(NEXT) | instid1(VALU_DEP_1)
	v_sub_nc_u32_e32 v1, v1, v2
	v_cmp_lt_u32_e64 s4, s41, v1
	s_delay_alu instid0(VALU_DEP_1)
	s_and_b32 s47, s4, exec_lo
; %bb.11:
	s_or_b32 exec_lo, exec_lo, s5
	v_add_nc_u32_e32 v1, s17, v15
	v_add_nc_u32_e32 v2, s19, v15
	s_mov_b32 s6, exec_lo
	s_delay_alu instid0(VALU_DEP_2) | instskip(NEXT) | instid1(VALU_DEP_2)
	v_mul_lo_u32 v1, v1, s16
	v_mul_lo_u32 v2, v2, s18
	s_delay_alu instid0(VALU_DEP_1) | instskip(NEXT) | instid1(VALU_DEP_1)
	v_sub_nc_u32_e32 v1, v1, v2
	v_cmp_lt_u32_e64 s4, s20, v1
	v_cmpx_ge_u32_e64 s20, v1
; %bb.12:
	v_add_nc_u32_e32 v1, s22, v15
	v_add_nc_u32_e32 v2, s40, v15
	s_delay_alu instid0(VALU_DEP_2) | instskip(NEXT) | instid1(VALU_DEP_2)
	v_mul_lo_u32 v1, v1, s21
	v_mul_lo_u32 v2, v2, s23
	s_delay_alu instid0(VALU_DEP_1) | instskip(NEXT) | instid1(VALU_DEP_1)
	v_sub_nc_u32_e32 v1, v1, v2
	v_cmp_lt_u32_e64 s5, s41, v1
	s_delay_alu instid0(VALU_DEP_1)
	s_and_b32 s48, s5, exec_lo
; %bb.13:
	s_or_b32 exec_lo, exec_lo, s6
	v_add_nc_u32_e32 v1, s17, v12
	v_add_nc_u32_e32 v2, s19, v12
	s_mov_b32 s50, 0
	s_mov_b32 s49, 0
	s_mov_b32 s7, exec_lo
	v_mul_lo_u32 v1, v1, s16
	v_mul_lo_u32 v2, v2, s18
	s_delay_alu instid0(VALU_DEP_1) | instskip(NEXT) | instid1(VALU_DEP_1)
	v_sub_nc_u32_e32 v1, v1, v2
	v_cmp_lt_u32_e64 s5, s20, v1
	;; [unrolled: 47-line block ×5, first 2 shown]
	v_cmpx_ge_u32_e64 s20, v1
; %bb.26:
	v_add_nc_u32_e32 v1, s22, v6
	v_add_nc_u32_e32 v2, s40, v6
	s_delay_alu instid0(VALU_DEP_2) | instskip(NEXT) | instid1(VALU_DEP_2)
	v_mul_lo_u32 v1, v1, s21
	v_mul_lo_u32 v2, v2, s23
	s_delay_alu instid0(VALU_DEP_1) | instskip(NEXT) | instid1(VALU_DEP_1)
	v_sub_nc_u32_e32 v1, v1, v2
	v_cmp_lt_u32_e64 s12, s41, v1
	s_delay_alu instid0(VALU_DEP_1)
	s_and_b32 s57, s12, exec_lo
; %bb.27:
	s_or_b32 exec_lo, exec_lo, s13
	v_add_nc_u32_e32 v1, s17, v7
	v_add_nc_u32_e32 v2, s19, v7
	s_mov_b32 s42, exec_lo
	s_delay_alu instid0(VALU_DEP_2) | instskip(NEXT) | instid1(VALU_DEP_2)
	v_mul_lo_u32 v1, v1, s16
	v_mul_lo_u32 v2, v2, s18
	s_delay_alu instid0(VALU_DEP_1) | instskip(NEXT) | instid1(VALU_DEP_1)
	v_sub_nc_u32_e32 v1, v1, v2
	v_cmp_lt_u32_e64 s12, s20, v1
	v_cmpx_ge_u32_e64 s20, v1
; %bb.28:
	v_add_nc_u32_e32 v1, s22, v7
	v_add_nc_u32_e32 v2, s40, v7
	s_delay_alu instid0(VALU_DEP_2) | instskip(NEXT) | instid1(VALU_DEP_2)
	v_mul_lo_u32 v1, v1, s21
	v_mul_lo_u32 v2, v2, s23
	s_delay_alu instid0(VALU_DEP_1) | instskip(NEXT) | instid1(VALU_DEP_1)
	v_sub_nc_u32_e32 v1, v1, v2
	v_cmp_lt_u32_e64 s13, s41, v1
	s_delay_alu instid0(VALU_DEP_1)
	s_and_b32 s56, s13, exec_lo
; %bb.29:
	s_or_b32 exec_lo, exec_lo, s42
	v_add_nc_u32_e32 v1, s17, v27
	v_add_nc_u32_e32 v2, s19, v27
	s_mov_b32 s42, -1
	s_mov_b32 s53, 0
	s_mov_b32 s43, 0
	v_mul_lo_u32 v1, v1, s16
	v_mul_lo_u32 v2, v2, s18
	s_mov_b32 s58, exec_lo
	s_delay_alu instid0(VALU_DEP_1) | instskip(NEXT) | instid1(VALU_DEP_1)
	v_sub_nc_u32_e32 v1, v1, v2
	v_cmpx_ge_u32_e64 s20, v1
; %bb.30:
	v_add_nc_u32_e32 v1, s22, v27
	v_add_nc_u32_e32 v2, s40, v27
	s_xor_b32 s42, exec_lo, -1
	s_delay_alu instid0(VALU_DEP_2) | instskip(NEXT) | instid1(VALU_DEP_2)
	v_mul_lo_u32 v1, v1, s21
	v_mul_lo_u32 v2, v2, s23
	s_delay_alu instid0(VALU_DEP_1) | instskip(NEXT) | instid1(VALU_DEP_1)
	v_sub_nc_u32_e32 v1, v1, v2
	v_cmp_lt_u32_e64 s13, s41, v1
	s_delay_alu instid0(VALU_DEP_1)
	s_and_b32 s43, s13, exec_lo
; %bb.31:
	s_or_b32 exec_lo, exec_lo, s58
	v_cndmask_b32_e64 v48, 0, 1, s57
	v_cndmask_b32_e64 v51, 0, 1, s12
	;; [unrolled: 1-line block ×22, first 2 shown]
	v_cndmask_b32_e64 v29, 0, 1, vcc_lo
	v_cndmask_b32_e64 v52, 0, 1, s56
	s_load_b64 s[4:5], s[0:1], 0x78
	s_and_b32 vcc_lo, exec_lo, s53
	s_add_i32 s3, s44, 0xd00
	s_cbranch_vccnz .LBB1593_33
	s_branch .LBB1593_86
.LBB1593_32:
                                        ; implicit-def: $sgpr42
                                        ; implicit-def: $sgpr43
                                        ; implicit-def: $vgpr52
                                        ; implicit-def: $vgpr48
                                        ; implicit-def: $vgpr47
                                        ; implicit-def: $vgpr45
                                        ; implicit-def: $vgpr43
                                        ; implicit-def: $vgpr40
                                        ; implicit-def: $vgpr39
                                        ; implicit-def: $vgpr37
                                        ; implicit-def: $vgpr35
                                        ; implicit-def: $vgpr29
                                        ; implicit-def: $vgpr33
                                        ; implicit-def: $vgpr31
                                        ; implicit-def: $vgpr32
                                        ; implicit-def: $vgpr38
                                        ; implicit-def: $vgpr41
                                        ; implicit-def: $vgpr42
                                        ; implicit-def: $vgpr44
                                        ; implicit-def: $vgpr46
                                        ; implicit-def: $vgpr49
                                        ; implicit-def: $vgpr50
                                        ; implicit-def: $vgpr51
                                        ; implicit-def: $vgpr30
                                        ; implicit-def: $vgpr34
                                        ; implicit-def: $vgpr36
	s_load_b64 s[4:5], s[0:1], 0x78
	s_add_i32 s3, s44, 0xd00
	s_cbranch_execz .LBB1593_86
.LBB1593_33:
	v_dual_mov_b32 v30, 0 :: v_dual_mov_b32 v29, 0
	s_mov_b32 s2, 0
	s_mov_b32 s1, exec_lo
	v_cmpx_gt_u32_e64 s3, v28
	s_cbranch_execz .LBB1593_37
; %bb.34:
	v_add_nc_u32_e32 v1, s17, v16
	v_add_nc_u32_e32 v2, s19, v16
	s_mov_b32 s6, exec_lo
	s_delay_alu instid0(VALU_DEP_2) | instskip(NEXT) | instid1(VALU_DEP_2)
	v_mul_lo_u32 v1, v1, s16
	v_mul_lo_u32 v2, v2, s18
	s_delay_alu instid0(VALU_DEP_1) | instskip(NEXT) | instid1(VALU_DEP_1)
	v_sub_nc_u32_e32 v1, v1, v2
	v_cmp_lt_u32_e32 vcc_lo, s20, v1
	v_cmpx_ge_u32_e64 s20, v1
; %bb.35:
	v_add_nc_u32_e32 v1, s22, v16
	v_add_nc_u32_e32 v2, s40, v16
	s_delay_alu instid0(VALU_DEP_2) | instskip(NEXT) | instid1(VALU_DEP_2)
	v_mul_lo_u32 v1, v1, s21
	v_mul_lo_u32 v2, v2, s23
	s_delay_alu instid0(VALU_DEP_1) | instskip(NEXT) | instid1(VALU_DEP_1)
	v_sub_nc_u32_e32 v1, v1, v2
	v_cmp_lt_u32_e64 s0, s41, v1
	s_delay_alu instid0(VALU_DEP_1)
	s_and_b32 s2, s0, exec_lo
; %bb.36:
	s_or_b32 exec_lo, exec_lo, s6
	v_cndmask_b32_e64 v29, 0, 1, vcc_lo
	v_cndmask_b32_e64 v30, 0, 1, s2
.LBB1593_37:
	s_or_b32 exec_lo, exec_lo, s1
	v_dual_mov_b32 v34, 0 :: v_dual_add_nc_u32 v1, 1, v28
	v_mov_b32_e32 v33, 0
	s_mov_b32 s2, 0
	s_mov_b32 s1, exec_lo
	s_delay_alu instid0(VALU_DEP_2)
	v_cmpx_gt_u32_e64 s3, v1
	s_cbranch_execz .LBB1593_41
; %bb.38:
	v_add_nc_u32_e32 v1, s17, v17
	v_add_nc_u32_e32 v2, s19, v17
	s_mov_b32 s6, exec_lo
	s_delay_alu instid0(VALU_DEP_2) | instskip(NEXT) | instid1(VALU_DEP_2)
	v_mul_lo_u32 v1, v1, s16
	v_mul_lo_u32 v2, v2, s18
	s_delay_alu instid0(VALU_DEP_1) | instskip(NEXT) | instid1(VALU_DEP_1)
	v_sub_nc_u32_e32 v1, v1, v2
	v_cmp_lt_u32_e32 vcc_lo, s20, v1
	v_cmpx_ge_u32_e64 s20, v1
; %bb.39:
	v_add_nc_u32_e32 v1, s22, v17
	v_add_nc_u32_e32 v2, s40, v17
	s_delay_alu instid0(VALU_DEP_2) | instskip(NEXT) | instid1(VALU_DEP_2)
	v_mul_lo_u32 v1, v1, s21
	v_mul_lo_u32 v2, v2, s23
	s_delay_alu instid0(VALU_DEP_1) | instskip(NEXT) | instid1(VALU_DEP_1)
	v_sub_nc_u32_e32 v1, v1, v2
	v_cmp_lt_u32_e64 s0, s41, v1
	s_delay_alu instid0(VALU_DEP_1)
	s_and_b32 s2, s0, exec_lo
; %bb.40:
	s_or_b32 exec_lo, exec_lo, s6
	v_cndmask_b32_e64 v33, 0, 1, vcc_lo
	v_cndmask_b32_e64 v34, 0, 1, s2
.LBB1593_41:
	s_or_b32 exec_lo, exec_lo, s1
	v_dual_mov_b32 v36, 0 :: v_dual_add_nc_u32 v1, 2, v28
	v_mov_b32_e32 v31, 0
	s_mov_b32 s2, 0
	s_mov_b32 s1, exec_lo
	s_delay_alu instid0(VALU_DEP_2)
	v_cmpx_gt_u32_e64 s3, v1
	s_cbranch_execz .LBB1593_45
; %bb.42:
	v_add_nc_u32_e32 v1, s17, v14
	v_add_nc_u32_e32 v2, s19, v14
	s_mov_b32 s6, exec_lo
	s_delay_alu instid0(VALU_DEP_2) | instskip(NEXT) | instid1(VALU_DEP_2)
	v_mul_lo_u32 v1, v1, s16
	v_mul_lo_u32 v2, v2, s18
	s_delay_alu instid0(VALU_DEP_1) | instskip(NEXT) | instid1(VALU_DEP_1)
	v_sub_nc_u32_e32 v1, v1, v2
	v_cmp_lt_u32_e32 vcc_lo, s20, v1
	v_cmpx_ge_u32_e64 s20, v1
; %bb.43:
	v_add_nc_u32_e32 v1, s22, v14
	v_add_nc_u32_e32 v2, s40, v14
	s_delay_alu instid0(VALU_DEP_2) | instskip(NEXT) | instid1(VALU_DEP_2)
	v_mul_lo_u32 v1, v1, s21
	v_mul_lo_u32 v2, v2, s23
	s_delay_alu instid0(VALU_DEP_1) | instskip(NEXT) | instid1(VALU_DEP_1)
	v_sub_nc_u32_e32 v1, v1, v2
	v_cmp_lt_u32_e64 s0, s41, v1
	s_delay_alu instid0(VALU_DEP_1)
	s_and_b32 s2, s0, exec_lo
; %bb.44:
	s_or_b32 exec_lo, exec_lo, s6
	v_cndmask_b32_e64 v31, 0, 1, vcc_lo
	v_cndmask_b32_e64 v36, 0, 1, s2
.LBB1593_45:
	s_or_b32 exec_lo, exec_lo, s1
	v_dual_mov_b32 v32, 0 :: v_dual_add_nc_u32 v1, 3, v28
	v_mov_b32_e32 v35, 0
	s_mov_b32 s2, 0
	s_mov_b32 s1, exec_lo
	s_delay_alu instid0(VALU_DEP_2)
	v_cmpx_gt_u32_e64 s3, v1
	s_cbranch_execz .LBB1593_49
; %bb.46:
	v_add_nc_u32_e32 v1, s17, v15
	v_add_nc_u32_e32 v2, s19, v15
	s_mov_b32 s6, exec_lo
	s_delay_alu instid0(VALU_DEP_2) | instskip(NEXT) | instid1(VALU_DEP_2)
	v_mul_lo_u32 v1, v1, s16
	v_mul_lo_u32 v2, v2, s18
	s_delay_alu instid0(VALU_DEP_1) | instskip(NEXT) | instid1(VALU_DEP_1)
	v_sub_nc_u32_e32 v1, v1, v2
	v_cmp_lt_u32_e32 vcc_lo, s20, v1
	v_cmpx_ge_u32_e64 s20, v1
; %bb.47:
	v_add_nc_u32_e32 v1, s22, v15
	v_add_nc_u32_e32 v2, s40, v15
	s_delay_alu instid0(VALU_DEP_2) | instskip(NEXT) | instid1(VALU_DEP_2)
	v_mul_lo_u32 v1, v1, s21
	v_mul_lo_u32 v2, v2, s23
	s_delay_alu instid0(VALU_DEP_1) | instskip(NEXT) | instid1(VALU_DEP_1)
	v_sub_nc_u32_e32 v1, v1, v2
	v_cmp_lt_u32_e64 s0, s41, v1
	s_delay_alu instid0(VALU_DEP_1)
	s_and_b32 s2, s0, exec_lo
; %bb.48:
	s_or_b32 exec_lo, exec_lo, s6
	v_cndmask_b32_e64 v32, 0, 1, vcc_lo
	v_cndmask_b32_e64 v35, 0, 1, s2
.LBB1593_49:
	s_or_b32 exec_lo, exec_lo, s1
	v_dual_mov_b32 v38, 0 :: v_dual_add_nc_u32 v1, 4, v28
	v_mov_b32_e32 v37, 0
	s_mov_b32 s2, 0
	s_mov_b32 s1, exec_lo
	s_delay_alu instid0(VALU_DEP_2)
	v_cmpx_gt_u32_e64 s3, v1
	s_cbranch_execz .LBB1593_53
; %bb.50:
	v_add_nc_u32_e32 v1, s17, v12
	v_add_nc_u32_e32 v2, s19, v12
	s_mov_b32 s6, exec_lo
	s_delay_alu instid0(VALU_DEP_2) | instskip(NEXT) | instid1(VALU_DEP_2)
	v_mul_lo_u32 v1, v1, s16
	v_mul_lo_u32 v2, v2, s18
	s_delay_alu instid0(VALU_DEP_1) | instskip(NEXT) | instid1(VALU_DEP_1)
	v_sub_nc_u32_e32 v1, v1, v2
	v_cmp_lt_u32_e32 vcc_lo, s20, v1
	v_cmpx_ge_u32_e64 s20, v1
; %bb.51:
	v_add_nc_u32_e32 v1, s22, v12
	v_add_nc_u32_e32 v2, s40, v12
	s_delay_alu instid0(VALU_DEP_2) | instskip(NEXT) | instid1(VALU_DEP_2)
	v_mul_lo_u32 v1, v1, s21
	v_mul_lo_u32 v2, v2, s23
	s_delay_alu instid0(VALU_DEP_1) | instskip(NEXT) | instid1(VALU_DEP_1)
	v_sub_nc_u32_e32 v1, v1, v2
	v_cmp_lt_u32_e64 s0, s41, v1
	s_delay_alu instid0(VALU_DEP_1)
	s_and_b32 s2, s0, exec_lo
; %bb.52:
	s_or_b32 exec_lo, exec_lo, s6
	v_cndmask_b32_e64 v38, 0, 1, vcc_lo
	v_cndmask_b32_e64 v37, 0, 1, s2
.LBB1593_53:
	s_or_b32 exec_lo, exec_lo, s1
	v_add_nc_u32_e32 v1, 5, v28
	v_mov_b32_e32 v39, 0
	v_mov_b32_e32 v41, 0
	s_mov_b32 s2, 0
	s_mov_b32 s1, exec_lo
	v_cmpx_gt_u32_e64 s3, v1
	s_cbranch_execz .LBB1593_57
; %bb.54:
	v_add_nc_u32_e32 v1, s17, v13
	v_add_nc_u32_e32 v2, s19, v13
	s_mov_b32 s6, exec_lo
	s_delay_alu instid0(VALU_DEP_2) | instskip(NEXT) | instid1(VALU_DEP_2)
	v_mul_lo_u32 v1, v1, s16
	v_mul_lo_u32 v2, v2, s18
	s_delay_alu instid0(VALU_DEP_1) | instskip(NEXT) | instid1(VALU_DEP_1)
	v_sub_nc_u32_e32 v1, v1, v2
	v_cmp_lt_u32_e32 vcc_lo, s20, v1
	v_cmpx_ge_u32_e64 s20, v1
; %bb.55:
	v_add_nc_u32_e32 v1, s22, v13
	v_add_nc_u32_e32 v2, s40, v13
	s_delay_alu instid0(VALU_DEP_2) | instskip(NEXT) | instid1(VALU_DEP_2)
	v_mul_lo_u32 v1, v1, s21
	v_mul_lo_u32 v2, v2, s23
	s_delay_alu instid0(VALU_DEP_1) | instskip(NEXT) | instid1(VALU_DEP_1)
	v_sub_nc_u32_e32 v1, v1, v2
	v_cmp_lt_u32_e64 s0, s41, v1
	s_delay_alu instid0(VALU_DEP_1)
	s_and_b32 s2, s0, exec_lo
; %bb.56:
	s_or_b32 exec_lo, exec_lo, s6
	v_cndmask_b32_e64 v41, 0, 1, vcc_lo
	v_cndmask_b32_e64 v39, 0, 1, s2
.LBB1593_57:
	s_or_b32 exec_lo, exec_lo, s1
	v_dual_mov_b32 v40, 0 :: v_dual_add_nc_u32 v1, 6, v28
	v_mov_b32_e32 v42, 0
	s_mov_b32 s2, 0
	s_mov_b32 s1, exec_lo
	s_delay_alu instid0(VALU_DEP_2)
	v_cmpx_gt_u32_e64 s3, v1
	s_cbranch_execz .LBB1593_61
; %bb.58:
	v_add_nc_u32_e32 v1, s17, v10
	v_add_nc_u32_e32 v2, s19, v10
	s_mov_b32 s6, exec_lo
	s_delay_alu instid0(VALU_DEP_2) | instskip(NEXT) | instid1(VALU_DEP_2)
	v_mul_lo_u32 v1, v1, s16
	v_mul_lo_u32 v2, v2, s18
	s_delay_alu instid0(VALU_DEP_1) | instskip(NEXT) | instid1(VALU_DEP_1)
	v_sub_nc_u32_e32 v1, v1, v2
	v_cmp_lt_u32_e32 vcc_lo, s20, v1
	v_cmpx_ge_u32_e64 s20, v1
; %bb.59:
	v_add_nc_u32_e32 v1, s22, v10
	v_add_nc_u32_e32 v2, s40, v10
	s_delay_alu instid0(VALU_DEP_2) | instskip(NEXT) | instid1(VALU_DEP_2)
	v_mul_lo_u32 v1, v1, s21
	v_mul_lo_u32 v2, v2, s23
	s_delay_alu instid0(VALU_DEP_1) | instskip(NEXT) | instid1(VALU_DEP_1)
	v_sub_nc_u32_e32 v1, v1, v2
	v_cmp_lt_u32_e64 s0, s41, v1
	s_delay_alu instid0(VALU_DEP_1)
	s_and_b32 s2, s0, exec_lo
; %bb.60:
	s_or_b32 exec_lo, exec_lo, s6
	v_cndmask_b32_e64 v42, 0, 1, vcc_lo
	v_cndmask_b32_e64 v40, 0, 1, s2
.LBB1593_61:
	s_or_b32 exec_lo, exec_lo, s1
	v_dual_mov_b32 v44, 0 :: v_dual_add_nc_u32 v1, 7, v28
	v_mov_b32_e32 v43, 0
	s_mov_b32 s2, 0
	s_mov_b32 s1, exec_lo
	s_delay_alu instid0(VALU_DEP_2)
	;; [unrolled: 35-line block ×3, first 2 shown]
	v_cmpx_gt_u32_e64 s3, v1
	s_cbranch_execz .LBB1593_69
; %bb.66:
	v_add_nc_u32_e32 v1, s17, v8
	v_add_nc_u32_e32 v2, s19, v8
	s_mov_b32 s6, exec_lo
	s_delay_alu instid0(VALU_DEP_2) | instskip(NEXT) | instid1(VALU_DEP_2)
	v_mul_lo_u32 v1, v1, s16
	v_mul_lo_u32 v2, v2, s18
	s_delay_alu instid0(VALU_DEP_1) | instskip(NEXT) | instid1(VALU_DEP_1)
	v_sub_nc_u32_e32 v1, v1, v2
	v_cmp_lt_u32_e32 vcc_lo, s20, v1
	v_cmpx_ge_u32_e64 s20, v1
; %bb.67:
	v_add_nc_u32_e32 v1, s22, v8
	v_add_nc_u32_e32 v2, s40, v8
	s_delay_alu instid0(VALU_DEP_2) | instskip(NEXT) | instid1(VALU_DEP_2)
	v_mul_lo_u32 v1, v1, s21
	v_mul_lo_u32 v2, v2, s23
	s_delay_alu instid0(VALU_DEP_1) | instskip(NEXT) | instid1(VALU_DEP_1)
	v_sub_nc_u32_e32 v1, v1, v2
	v_cmp_lt_u32_e64 s0, s41, v1
	s_delay_alu instid0(VALU_DEP_1)
	s_and_b32 s2, s0, exec_lo
; %bb.68:
	s_or_b32 exec_lo, exec_lo, s6
	v_cndmask_b32_e64 v46, 0, 1, vcc_lo
	v_cndmask_b32_e64 v45, 0, 1, s2
.LBB1593_69:
	s_or_b32 exec_lo, exec_lo, s1
	v_add_nc_u32_e32 v1, 9, v28
	v_mov_b32_e32 v47, 0
	v_mov_b32_e32 v49, 0
	s_mov_b32 s2, 0
	s_mov_b32 s1, exec_lo
	v_cmpx_gt_u32_e64 s3, v1
	s_cbranch_execz .LBB1593_73
; %bb.70:
	v_add_nc_u32_e32 v1, s17, v9
	v_add_nc_u32_e32 v2, s19, v9
	s_mov_b32 s6, exec_lo
	s_delay_alu instid0(VALU_DEP_2) | instskip(NEXT) | instid1(VALU_DEP_2)
	v_mul_lo_u32 v1, v1, s16
	v_mul_lo_u32 v2, v2, s18
	s_delay_alu instid0(VALU_DEP_1) | instskip(NEXT) | instid1(VALU_DEP_1)
	v_sub_nc_u32_e32 v1, v1, v2
	v_cmp_lt_u32_e32 vcc_lo, s20, v1
	v_cmpx_ge_u32_e64 s20, v1
; %bb.71:
	v_add_nc_u32_e32 v1, s22, v9
	v_add_nc_u32_e32 v2, s40, v9
	s_delay_alu instid0(VALU_DEP_2) | instskip(NEXT) | instid1(VALU_DEP_2)
	v_mul_lo_u32 v1, v1, s21
	v_mul_lo_u32 v2, v2, s23
	s_delay_alu instid0(VALU_DEP_1) | instskip(NEXT) | instid1(VALU_DEP_1)
	v_sub_nc_u32_e32 v1, v1, v2
	v_cmp_lt_u32_e64 s0, s41, v1
	s_delay_alu instid0(VALU_DEP_1)
	s_and_b32 s2, s0, exec_lo
; %bb.72:
	s_or_b32 exec_lo, exec_lo, s6
	v_cndmask_b32_e64 v49, 0, 1, vcc_lo
	v_cndmask_b32_e64 v47, 0, 1, s2
.LBB1593_73:
	s_or_b32 exec_lo, exec_lo, s1
	v_dual_mov_b32 v48, 0 :: v_dual_add_nc_u32 v1, 10, v28
	v_mov_b32_e32 v50, 0
	s_mov_b32 s2, 0
	s_mov_b32 s1, exec_lo
	s_delay_alu instid0(VALU_DEP_2)
	v_cmpx_gt_u32_e64 s3, v1
	s_cbranch_execz .LBB1593_77
; %bb.74:
	v_add_nc_u32_e32 v1, s17, v6
	v_add_nc_u32_e32 v2, s19, v6
	s_mov_b32 s6, exec_lo
	s_delay_alu instid0(VALU_DEP_2) | instskip(NEXT) | instid1(VALU_DEP_2)
	v_mul_lo_u32 v1, v1, s16
	v_mul_lo_u32 v2, v2, s18
	s_delay_alu instid0(VALU_DEP_1) | instskip(NEXT) | instid1(VALU_DEP_1)
	v_sub_nc_u32_e32 v1, v1, v2
	v_cmp_lt_u32_e32 vcc_lo, s20, v1
	v_cmpx_ge_u32_e64 s20, v1
; %bb.75:
	v_add_nc_u32_e32 v1, s22, v6
	v_add_nc_u32_e32 v2, s40, v6
	s_delay_alu instid0(VALU_DEP_2) | instskip(NEXT) | instid1(VALU_DEP_2)
	v_mul_lo_u32 v1, v1, s21
	v_mul_lo_u32 v2, v2, s23
	s_delay_alu instid0(VALU_DEP_1) | instskip(NEXT) | instid1(VALU_DEP_1)
	v_sub_nc_u32_e32 v1, v1, v2
	v_cmp_lt_u32_e64 s0, s41, v1
	s_delay_alu instid0(VALU_DEP_1)
	s_and_b32 s2, s0, exec_lo
; %bb.76:
	s_or_b32 exec_lo, exec_lo, s6
	v_cndmask_b32_e64 v50, 0, 1, vcc_lo
	v_cndmask_b32_e64 v48, 0, 1, s2
.LBB1593_77:
	s_or_b32 exec_lo, exec_lo, s1
	v_dual_mov_b32 v52, 0 :: v_dual_add_nc_u32 v1, 11, v28
	v_mov_b32_e32 v51, 0
	s_mov_b32 s2, 0
	s_mov_b32 s1, exec_lo
	s_delay_alu instid0(VALU_DEP_2)
	v_cmpx_gt_u32_e64 s3, v1
	s_cbranch_execz .LBB1593_81
; %bb.78:
	v_add_nc_u32_e32 v1, s17, v7
	v_add_nc_u32_e32 v2, s19, v7
	s_mov_b32 s6, exec_lo
	s_delay_alu instid0(VALU_DEP_2) | instskip(NEXT) | instid1(VALU_DEP_2)
	v_mul_lo_u32 v1, v1, s16
	v_mul_lo_u32 v2, v2, s18
	s_delay_alu instid0(VALU_DEP_1) | instskip(NEXT) | instid1(VALU_DEP_1)
	v_sub_nc_u32_e32 v1, v1, v2
	v_cmp_lt_u32_e32 vcc_lo, s20, v1
	v_cmpx_ge_u32_e64 s20, v1
; %bb.79:
	v_add_nc_u32_e32 v1, s22, v7
	v_add_nc_u32_e32 v2, s40, v7
	s_delay_alu instid0(VALU_DEP_2) | instskip(NEXT) | instid1(VALU_DEP_2)
	v_mul_lo_u32 v1, v1, s21
	v_mul_lo_u32 v2, v2, s23
	s_delay_alu instid0(VALU_DEP_1) | instskip(NEXT) | instid1(VALU_DEP_1)
	v_sub_nc_u32_e32 v1, v1, v2
	v_cmp_lt_u32_e64 s0, s41, v1
	s_delay_alu instid0(VALU_DEP_1)
	s_and_b32 s2, s0, exec_lo
; %bb.80:
	s_or_b32 exec_lo, exec_lo, s6
	v_cndmask_b32_e64 v51, 0, 1, vcc_lo
	v_cndmask_b32_e64 v52, 0, 1, s2
.LBB1593_81:
	s_or_b32 exec_lo, exec_lo, s1
	v_add_nc_u32_e32 v1, 12, v28
	s_mov_b32 s42, 0
	s_mov_b32 s43, 0
	s_mov_b32 s0, exec_lo
	s_delay_alu instid0(VALU_DEP_1)
	v_cmpx_gt_u32_e64 s3, v1
	s_cbranch_execz .LBB1593_85
; %bb.82:
	v_add_nc_u32_e32 v1, s17, v27
	v_add_nc_u32_e32 v2, s19, v27
	s_mov_b32 s2, -1
	s_mov_b32 s6, 0
	s_mov_b32 s1, exec_lo
	v_mul_lo_u32 v1, v1, s16
	v_mul_lo_u32 v2, v2, s18
	s_delay_alu instid0(VALU_DEP_1) | instskip(NEXT) | instid1(VALU_DEP_1)
	v_sub_nc_u32_e32 v1, v1, v2
	v_cmpx_ge_u32_e64 s20, v1
; %bb.83:
	v_add_nc_u32_e32 v1, s22, v27
	v_add_nc_u32_e32 v2, s40, v27
	s_xor_b32 s2, exec_lo, -1
	s_delay_alu instid0(VALU_DEP_2) | instskip(NEXT) | instid1(VALU_DEP_2)
	v_mul_lo_u32 v1, v1, s21
	v_mul_lo_u32 v2, v2, s23
	s_delay_alu instid0(VALU_DEP_1) | instskip(NEXT) | instid1(VALU_DEP_1)
	v_sub_nc_u32_e32 v1, v1, v2
	v_cmp_lt_u32_e32 vcc_lo, s41, v1
	s_and_b32 s6, vcc_lo, exec_lo
; %bb.84:
	s_or_b32 exec_lo, exec_lo, s1
	s_delay_alu instid0(SALU_CYCLE_1)
	s_and_b32 s43, s6, exec_lo
	s_and_b32 s42, s2, exec_lo
.LBB1593_85:
	s_or_b32 exec_lo, exec_lo, s0
.LBB1593_86:
	v_and_b32_e32 v75, 0xff, v29
	v_and_b32_e32 v76, 0xff, v30
	;; [unrolled: 1-line block ×10, first 2 shown]
	v_add3_u32 v1, v71, v73, v75
	v_add3_u32 v2, v72, v74, v76
	v_and_b32_e32 v65, 0xff, v41
	v_and_b32_e32 v66, 0xff, v39
	v_and_b32_e32 v61, 0xff, v42
	v_and_b32_e32 v62, 0xff, v40
	v_add3_u32 v1, v1, v69, v67
	v_add3_u32 v2, v2, v70, v68
	v_and_b32_e32 v63, 0xff, v44
	v_and_b32_e32 v64, 0xff, v43
	v_and_b32_e32 v59, 0xff, v46
	v_and_b32_e32 v60, 0xff, v45
	;; [unrolled: 6-line block ×3, first 2 shown]
	v_add3_u32 v1, v1, v63, v59
	v_add3_u32 v2, v2, v64, v60
	v_mbcnt_lo_u32_b32 v77, -1, 0
	v_and_b32_e32 v53, 0xff, v51
	v_and_b32_e32 v54, 0xff, v52
	v_cndmask_b32_e64 v3, 0, 1, s43
	v_add3_u32 v1, v1, v57, v55
	v_cndmask_b32_e64 v4, 0, 1, s42
	v_add3_u32 v2, v2, v58, v56
	v_and_b32_e32 v81, 15, v77
	v_and_b32_e32 v80, 16, v77
	v_lshrrev_b32_e32 v78, 5, v0
	v_add3_u32 v82, v1, v53, v4
	v_add3_u32 v83, v2, v54, v3
	v_cmp_eq_u32_e64 s1, 0, v81
	v_cmp_lt_u32_e64 s0, 1, v81
	v_cmp_lt_u32_e64 s2, 3, v81
	v_cmp_lt_u32_e32 vcc_lo, 7, v81
	v_or_b32_e32 v79, 31, v0
	s_cmp_lg_u32 s15, 0
	s_mov_b32 s6, -1
	s_cbranch_scc0 .LBB1593_119
; %bb.87:
	v_mov_b32_dpp v1, v83 row_shr:1 row_mask:0xf bank_mask:0xf
	v_mov_b32_dpp v2, v82 row_shr:1 row_mask:0xf bank_mask:0xf
	s_delay_alu instid0(VALU_DEP_2) | instskip(NEXT) | instid1(VALU_DEP_1)
	v_add_nc_u32_e32 v1, v1, v83
	v_cndmask_b32_e64 v1, v1, v83, s1
	s_delay_alu instid0(VALU_DEP_1) | instskip(NEXT) | instid1(VALU_DEP_1)
	v_mov_b32_dpp v3, v1 row_shr:2 row_mask:0xf bank_mask:0xf
	v_add_nc_u32_e32 v3, v1, v3
	s_delay_alu instid0(VALU_DEP_1) | instskip(NEXT) | instid1(VALU_DEP_1)
	v_cndmask_b32_e64 v1, v1, v3, s0
	v_mov_b32_dpp v3, v1 row_shr:4 row_mask:0xf bank_mask:0xf
	s_delay_alu instid0(VALU_DEP_1) | instskip(NEXT) | instid1(VALU_DEP_1)
	v_add_nc_u32_e32 v3, v1, v3
	v_cndmask_b32_e64 v1, v1, v3, s2
	s_delay_alu instid0(VALU_DEP_1) | instskip(NEXT) | instid1(VALU_DEP_1)
	v_mov_b32_dpp v3, v1 row_shr:8 row_mask:0xf bank_mask:0xf
	v_add_nc_u32_e32 v3, v1, v3
	s_delay_alu instid0(VALU_DEP_1) | instskip(NEXT) | instid1(VALU_DEP_1)
	v_dual_cndmask_b32 v1, v1, v3 :: v_dual_add_nc_u32 v2, v2, v82
	v_cndmask_b32_e64 v2, v2, v82, s1
	s_delay_alu instid0(VALU_DEP_1) | instskip(NEXT) | instid1(VALU_DEP_1)
	v_mov_b32_dpp v4, v2 row_shr:2 row_mask:0xf bank_mask:0xf
	v_add_nc_u32_e32 v4, v2, v4
	s_delay_alu instid0(VALU_DEP_1) | instskip(NEXT) | instid1(VALU_DEP_1)
	v_cndmask_b32_e64 v2, v2, v4, s0
	v_mov_b32_dpp v4, v2 row_shr:4 row_mask:0xf bank_mask:0xf
	s_delay_alu instid0(VALU_DEP_1) | instskip(NEXT) | instid1(VALU_DEP_1)
	v_add_nc_u32_e32 v4, v2, v4
	v_cndmask_b32_e64 v2, v2, v4, s2
	s_mov_b32 s2, exec_lo
	s_delay_alu instid0(VALU_DEP_1) | instskip(NEXT) | instid1(VALU_DEP_1)
	v_mov_b32_dpp v4, v2 row_shr:8 row_mask:0xf bank_mask:0xf
	v_add_nc_u32_e32 v4, v2, v4
	s_delay_alu instid0(VALU_DEP_1)
	v_cndmask_b32_e32 v3, v2, v4, vcc_lo
	ds_swizzle_b32 v2, v1 offset:swizzle(BROADCAST,32,15)
	v_cmp_eq_u32_e32 vcc_lo, 0, v80
	s_waitcnt lgkmcnt(0)
	v_add_nc_u32_e32 v2, v1, v2
	ds_swizzle_b32 v4, v3 offset:swizzle(BROADCAST,32,15)
	v_cndmask_b32_e32 v2, v2, v1, vcc_lo
	s_waitcnt lgkmcnt(0)
	v_add_nc_u32_e32 v4, v3, v4
	s_delay_alu instid0(VALU_DEP_1)
	v_cndmask_b32_e32 v1, v4, v3, vcc_lo
	v_cmpx_eq_u32_e64 v79, v0
	s_cbranch_execz .LBB1593_89
; %bb.88:
	v_lshlrev_b32_e32 v3, 3, v78
	ds_store_b64 v3, v[1:2]
.LBB1593_89:
	s_or_b32 exec_lo, exec_lo, s2
	s_delay_alu instid0(SALU_CYCLE_1)
	s_mov_b32 s2, exec_lo
	s_waitcnt lgkmcnt(0)
	s_barrier
	buffer_gl0_inv
	v_cmpx_gt_u32_e32 8, v0
	s_cbranch_execz .LBB1593_91
; %bb.90:
	v_lshlrev_b32_e32 v5, 3, v0
	ds_load_b64 v[3:4], v5
	s_waitcnt lgkmcnt(0)
	v_mov_b32_dpp v18, v3 row_shr:1 row_mask:0xf bank_mask:0xf
	v_mov_b32_dpp v19, v4 row_shr:1 row_mask:0xf bank_mask:0xf
	s_delay_alu instid0(VALU_DEP_2) | instskip(SKIP_1) | instid1(VALU_DEP_3)
	v_add_nc_u32_e32 v18, v18, v3
	v_and_b32_e32 v20, 7, v77
	v_add_nc_u32_e32 v19, v19, v4
	s_delay_alu instid0(VALU_DEP_2) | instskip(NEXT) | instid1(VALU_DEP_2)
	v_cmp_eq_u32_e32 vcc_lo, 0, v20
	v_dual_cndmask_b32 v4, v19, v4 :: v_dual_cndmask_b32 v3, v18, v3
	v_cmp_lt_u32_e32 vcc_lo, 1, v20
	s_delay_alu instid0(VALU_DEP_2) | instskip(NEXT) | instid1(VALU_DEP_3)
	v_mov_b32_dpp v19, v4 row_shr:2 row_mask:0xf bank_mask:0xf
	v_mov_b32_dpp v18, v3 row_shr:2 row_mask:0xf bank_mask:0xf
	s_delay_alu instid0(VALU_DEP_2) | instskip(NEXT) | instid1(VALU_DEP_2)
	v_add_nc_u32_e32 v19, v4, v19
	v_add_nc_u32_e32 v18, v3, v18
	s_delay_alu instid0(VALU_DEP_1) | instskip(SKIP_1) | instid1(VALU_DEP_2)
	v_dual_cndmask_b32 v4, v4, v19 :: v_dual_cndmask_b32 v3, v3, v18
	v_cmp_lt_u32_e32 vcc_lo, 3, v20
	v_mov_b32_dpp v19, v4 row_shr:4 row_mask:0xf bank_mask:0xf
	s_delay_alu instid0(VALU_DEP_3) | instskip(NEXT) | instid1(VALU_DEP_1)
	v_mov_b32_dpp v18, v3 row_shr:4 row_mask:0xf bank_mask:0xf
	v_dual_cndmask_b32 v19, 0, v19 :: v_dual_cndmask_b32 v18, 0, v18
	s_delay_alu instid0(VALU_DEP_1) | instskip(NEXT) | instid1(VALU_DEP_2)
	v_add_nc_u32_e32 v4, v19, v4
	v_add_nc_u32_e32 v3, v18, v3
	ds_store_b64 v5, v[3:4]
.LBB1593_91:
	s_or_b32 exec_lo, exec_lo, s2
	v_cmp_gt_u32_e32 vcc_lo, 32, v0
	v_cmp_lt_u32_e64 s2, 31, v0
	s_waitcnt lgkmcnt(0)
	s_barrier
	buffer_gl0_inv
                                        ; implicit-def: $vgpr19
	s_and_saveexec_b32 s6, s2
	s_delay_alu instid0(SALU_CYCLE_1)
	s_xor_b32 s2, exec_lo, s6
	s_cbranch_execz .LBB1593_93
; %bb.92:
	v_lshl_add_u32 v3, v78, 3, -8
	ds_load_b64 v[18:19], v3
	s_waitcnt lgkmcnt(0)
	v_add_nc_u32_e32 v2, v19, v2
	v_add_nc_u32_e32 v1, v18, v1
.LBB1593_93:
	s_and_not1_saveexec_b32 s2, s2
; %bb.94:
                                        ; implicit-def: $vgpr18
; %bb.95:
	s_delay_alu instid0(SALU_CYCLE_1) | instskip(SKIP_1) | instid1(VALU_DEP_1)
	s_or_b32 exec_lo, exec_lo, s2
	v_add_nc_u32_e32 v3, -1, v77
	v_cmp_gt_i32_e64 s2, 0, v3
	s_delay_alu instid0(VALU_DEP_1) | instskip(SKIP_1) | instid1(VALU_DEP_2)
	v_cndmask_b32_e64 v3, v3, v77, s2
	v_cmp_eq_u32_e64 s2, 0, v77
	v_lshlrev_b32_e32 v3, 2, v3
	ds_bpermute_b32 v84, v3, v1
	ds_bpermute_b32 v85, v3, v2
	s_and_saveexec_b32 s6, vcc_lo
	s_cbranch_execz .LBB1593_118
; %bb.96:
	v_mov_b32_e32 v4, 0
	ds_load_b64 v[1:2], v4 offset:56
	s_waitcnt lgkmcnt(0)
	v_readfirstlane_b32 s7, v2
	s_and_saveexec_b32 s8, s2
	s_cbranch_execz .LBB1593_98
; %bb.97:
	s_add_i32 s10, s15, 32
	s_mov_b32 s11, 0
	v_mov_b32_e32 v3, 1
	s_lshl_b64 s[12:13], s[10:11], 4
	s_mov_b32 s16, s11
	s_add_u32 s12, s4, s12
	s_addc_u32 s13, s5, s13
	s_and_b32 s17, s7, 0xff000000
	s_and_b32 s19, s7, 0xff0000
	s_mov_b32 s18, s11
	v_dual_mov_b32 v21, s13 :: v_dual_mov_b32 v20, s12
	s_or_b64 s[16:17], s[18:19], s[16:17]
	s_and_b32 s19, s7, 0xff00
	s_delay_alu instid0(SALU_CYCLE_1) | instskip(SKIP_1) | instid1(SALU_CYCLE_1)
	s_or_b64 s[16:17], s[16:17], s[18:19]
	s_and_b32 s19, s7, 0xff
	s_or_b64 s[10:11], s[16:17], s[18:19]
	s_delay_alu instid0(SALU_CYCLE_1)
	v_mov_b32_e32 v2, s11
	;;#ASMSTART
	global_store_dwordx4 v[20:21], v[1:4] off	
s_waitcnt vmcnt(0)
	;;#ASMEND
.LBB1593_98:
	s_or_b32 exec_lo, exec_lo, s8
	v_xad_u32 v20, v77, -1, s15
	s_mov_b32 s9, 0
	s_mov_b32 s8, exec_lo
	s_delay_alu instid0(VALU_DEP_1) | instskip(NEXT) | instid1(VALU_DEP_1)
	v_add_nc_u32_e32 v3, 32, v20
	v_lshlrev_b64 v[2:3], 4, v[3:4]
	s_delay_alu instid0(VALU_DEP_1) | instskip(NEXT) | instid1(VALU_DEP_2)
	v_add_co_u32 v21, vcc_lo, s4, v2
	v_add_co_ci_u32_e32 v22, vcc_lo, s5, v3, vcc_lo
	;;#ASMSTART
	global_load_dwordx4 v[2:5], v[21:22] off glc	
s_waitcnt vmcnt(0)
	;;#ASMEND
	v_and_b32_e32 v5, 0xff, v3
	v_and_b32_e32 v23, 0xff00, v3
	v_or3_b32 v2, v2, 0, 0
	v_and_b32_e32 v24, 0xff000000, v3
	v_and_b32_e32 v3, 0xff0000, v3
	s_delay_alu instid0(VALU_DEP_4) | instskip(SKIP_2) | instid1(VALU_DEP_3)
	v_or3_b32 v5, 0, v5, v23
	v_and_b32_e32 v23, 0xff, v4
	v_or3_b32 v2, v2, 0, 0
	v_or3_b32 v3, v5, v3, v24
	s_delay_alu instid0(VALU_DEP_3)
	v_cmpx_eq_u16_e32 0, v23
	s_cbranch_execz .LBB1593_104
; %bb.99:
	s_mov_b32 s10, 1
	.p2align	6
.LBB1593_100:                           ; =>This Loop Header: Depth=1
                                        ;     Child Loop BB1593_101 Depth 2
	s_delay_alu instid0(SALU_CYCLE_1)
	s_max_u32 s11, s10, 1
.LBB1593_101:                           ;   Parent Loop BB1593_100 Depth=1
                                        ; =>  This Inner Loop Header: Depth=2
	s_delay_alu instid0(SALU_CYCLE_1)
	s_add_i32 s11, s11, -1
	s_sleep 1
	s_cmp_eq_u32 s11, 0
	s_cbranch_scc0 .LBB1593_101
; %bb.102:                              ;   in Loop: Header=BB1593_100 Depth=1
	;;#ASMSTART
	global_load_dwordx4 v[2:5], v[21:22] off glc	
s_waitcnt vmcnt(0)
	;;#ASMEND
	v_and_b32_e32 v5, 0xff, v4
	s_cmp_lt_u32 s10, 32
	s_cselect_b32 s11, -1, 0
	s_delay_alu instid0(SALU_CYCLE_1) | instskip(NEXT) | instid1(VALU_DEP_1)
	s_cmp_lg_u32 s11, 0
	v_cmp_ne_u16_e32 vcc_lo, 0, v5
	s_addc_u32 s10, s10, 0
	s_or_b32 s9, vcc_lo, s9
	s_delay_alu instid0(SALU_CYCLE_1)
	s_and_not1_b32 exec_lo, exec_lo, s9
	s_cbranch_execnz .LBB1593_100
; %bb.103:
	s_or_b32 exec_lo, exec_lo, s9
.LBB1593_104:
	s_delay_alu instid0(SALU_CYCLE_1)
	s_or_b32 exec_lo, exec_lo, s8
	v_cmp_ne_u32_e32 vcc_lo, 31, v77
	v_lshlrev_b32_e64 v87, v77, -1
	v_add_nc_u32_e32 v91, 4, v77
	v_add_nc_u32_e32 v93, 8, v77
	;; [unrolled: 1-line block ×3, first 2 shown]
	v_add_co_ci_u32_e32 v5, vcc_lo, 0, v77, vcc_lo
	s_delay_alu instid0(VALU_DEP_1)
	v_lshlrev_b32_e32 v86, 2, v5
	ds_bpermute_b32 v21, v86, v3
	ds_bpermute_b32 v5, v86, v2
	s_waitcnt lgkmcnt(1)
	v_add_nc_u32_e32 v21, v21, v3
	v_and_b32_e32 v22, 0xff, v4
	s_waitcnt lgkmcnt(0)
	v_add_nc_u32_e32 v5, v5, v2
	s_delay_alu instid0(VALU_DEP_2) | instskip(SKIP_2) | instid1(VALU_DEP_2)
	v_cmp_eq_u16_e32 vcc_lo, 2, v22
	v_and_or_b32 v22, vcc_lo, v87, 0x80000000
	v_cmp_gt_u32_e32 vcc_lo, 30, v77
	v_ctz_i32_b32_e32 v22, v22
	v_cndmask_b32_e64 v23, 0, 1, vcc_lo
	s_delay_alu instid0(VALU_DEP_2) | instskip(NEXT) | instid1(VALU_DEP_2)
	v_cmp_lt_u32_e32 vcc_lo, v77, v22
	v_dual_cndmask_b32 v2, v2, v5 :: v_dual_lshlrev_b32 v23, 1, v23
	s_delay_alu instid0(VALU_DEP_1)
	v_add_lshl_u32 v88, v23, v77, 2
	v_cndmask_b32_e32 v3, v3, v21, vcc_lo
	v_cmp_gt_u32_e32 vcc_lo, 28, v77
	ds_bpermute_b32 v5, v88, v2
	ds_bpermute_b32 v21, v88, v3
	v_cndmask_b32_e64 v23, 0, 1, vcc_lo
	s_waitcnt lgkmcnt(1)
	v_add_nc_u32_e32 v5, v2, v5
	v_add_nc_u32_e32 v89, 2, v77
	s_waitcnt lgkmcnt(0)
	v_add_nc_u32_e32 v21, v3, v21
	s_delay_alu instid0(VALU_DEP_2) | instskip(SKIP_1) | instid1(VALU_DEP_3)
	v_cmp_gt_u32_e32 vcc_lo, v89, v22
	v_dual_cndmask_b32 v2, v5, v2 :: v_dual_lshlrev_b32 v23, 2, v23
	v_cndmask_b32_e32 v3, v21, v3, vcc_lo
	v_cmp_gt_u32_e32 vcc_lo, 24, v77
	s_delay_alu instid0(VALU_DEP_3)
	v_add_lshl_u32 v90, v23, v77, 2
	v_cndmask_b32_e64 v23, 0, 1, vcc_lo
	v_cmp_gt_u32_e32 vcc_lo, v91, v22
	ds_bpermute_b32 v5, v90, v2
	ds_bpermute_b32 v21, v90, v3
	v_lshlrev_b32_e32 v23, 3, v23
	s_delay_alu instid0(VALU_DEP_1) | instskip(SKIP_3) | instid1(VALU_DEP_1)
	v_add_lshl_u32 v92, v23, v77, 2
	s_waitcnt lgkmcnt(1)
	v_add_nc_u32_e32 v5, v2, v5
	s_waitcnt lgkmcnt(0)
	v_dual_cndmask_b32 v2, v5, v2 :: v_dual_add_nc_u32 v21, v3, v21
	s_delay_alu instid0(VALU_DEP_1)
	v_cndmask_b32_e32 v3, v21, v3, vcc_lo
	v_cmp_gt_u32_e32 vcc_lo, 16, v77
	ds_bpermute_b32 v5, v92, v2
	ds_bpermute_b32 v21, v92, v3
	v_cndmask_b32_e64 v23, 0, 1, vcc_lo
	v_cmp_gt_u32_e32 vcc_lo, v93, v22
	s_delay_alu instid0(VALU_DEP_2) | instskip(NEXT) | instid1(VALU_DEP_1)
	v_lshlrev_b32_e32 v23, 4, v23
	v_add_lshl_u32 v94, v23, v77, 2
	s_waitcnt lgkmcnt(1)
	v_add_nc_u32_e32 v5, v2, v5
	s_waitcnt lgkmcnt(0)
	s_delay_alu instid0(VALU_DEP_1) | instskip(NEXT) | instid1(VALU_DEP_1)
	v_dual_cndmask_b32 v2, v5, v2 :: v_dual_add_nc_u32 v21, v3, v21
	v_cndmask_b32_e32 v3, v21, v3, vcc_lo
	v_cmp_le_u32_e32 vcc_lo, v95, v22
	ds_bpermute_b32 v5, v94, v2
	ds_bpermute_b32 v21, v94, v3
	s_waitcnt lgkmcnt(1)
	v_cndmask_b32_e32 v5, 0, v5, vcc_lo
	s_waitcnt lgkmcnt(0)
	s_delay_alu instid0(VALU_DEP_1) | instskip(NEXT) | instid1(VALU_DEP_1)
	v_dual_cndmask_b32 v21, 0, v21 :: v_dual_add_nc_u32 v2, v5, v2
	v_add_nc_u32_e32 v3, v21, v3
	v_mov_b32_e32 v21, 0
	s_branch .LBB1593_106
.LBB1593_105:                           ;   in Loop: Header=BB1593_106 Depth=1
	s_or_b32 exec_lo, exec_lo, s8
	ds_bpermute_b32 v5, v86, v2
	ds_bpermute_b32 v24, v86, v3
	v_subrev_nc_u32_e32 v20, 32, v20
	s_waitcnt lgkmcnt(1)
	v_add_nc_u32_e32 v5, v5, v2
	v_and_b32_e32 v25, 0xff, v4
	s_waitcnt lgkmcnt(0)
	v_add_nc_u32_e32 v24, v24, v3
	s_delay_alu instid0(VALU_DEP_2) | instskip(SKIP_1) | instid1(VALU_DEP_1)
	v_cmp_eq_u16_e32 vcc_lo, 2, v25
	v_and_or_b32 v25, vcc_lo, v87, 0x80000000
	v_ctz_i32_b32_e32 v25, v25
	s_delay_alu instid0(VALU_DEP_1)
	v_cmp_lt_u32_e32 vcc_lo, v77, v25
	v_cndmask_b32_e32 v2, v2, v5, vcc_lo
	ds_bpermute_b32 v5, v88, v2
	s_waitcnt lgkmcnt(0)
	v_add_nc_u32_e32 v5, v2, v5
	v_cndmask_b32_e32 v3, v3, v24, vcc_lo
	v_cmp_gt_u32_e32 vcc_lo, v89, v25
	s_delay_alu instid0(VALU_DEP_3)
	v_cndmask_b32_e32 v2, v5, v2, vcc_lo
	ds_bpermute_b32 v24, v88, v3
	ds_bpermute_b32 v5, v90, v2
	s_waitcnt lgkmcnt(1)
	v_add_nc_u32_e32 v24, v3, v24
	s_waitcnt lgkmcnt(0)
	v_add_nc_u32_e32 v5, v2, v5
	s_delay_alu instid0(VALU_DEP_2) | instskip(SKIP_1) | instid1(VALU_DEP_3)
	v_cndmask_b32_e32 v3, v24, v3, vcc_lo
	v_cmp_gt_u32_e32 vcc_lo, v91, v25
	v_cndmask_b32_e32 v2, v5, v2, vcc_lo
	ds_bpermute_b32 v24, v90, v3
	ds_bpermute_b32 v5, v92, v2
	s_waitcnt lgkmcnt(1)
	v_add_nc_u32_e32 v24, v3, v24
	s_waitcnt lgkmcnt(0)
	v_add_nc_u32_e32 v5, v2, v5
	s_delay_alu instid0(VALU_DEP_2) | instskip(SKIP_1) | instid1(VALU_DEP_3)
	v_cndmask_b32_e32 v3, v24, v3, vcc_lo
	v_cmp_gt_u32_e32 vcc_lo, v93, v25
	v_cndmask_b32_e32 v2, v5, v2, vcc_lo
	ds_bpermute_b32 v24, v92, v3
	ds_bpermute_b32 v5, v94, v2
	s_waitcnt lgkmcnt(1)
	v_add_nc_u32_e32 v24, v3, v24
	s_delay_alu instid0(VALU_DEP_1) | instskip(SKIP_4) | instid1(VALU_DEP_1)
	v_cndmask_b32_e32 v3, v24, v3, vcc_lo
	v_cmp_le_u32_e32 vcc_lo, v95, v25
	ds_bpermute_b32 v24, v94, v3
	s_waitcnt lgkmcnt(1)
	v_cndmask_b32_e32 v5, 0, v5, vcc_lo
	v_add3_u32 v2, v2, v22, v5
	s_waitcnt lgkmcnt(0)
	v_cndmask_b32_e32 v24, 0, v24, vcc_lo
	s_delay_alu instid0(VALU_DEP_1)
	v_add3_u32 v3, v3, v23, v24
.LBB1593_106:                           ; =>This Loop Header: Depth=1
                                        ;     Child Loop BB1593_109 Depth 2
                                        ;       Child Loop BB1593_110 Depth 3
	s_delay_alu instid0(VALU_DEP_1) | instskip(SKIP_1) | instid1(VALU_DEP_2)
	v_dual_mov_b32 v23, v3 :: v_dual_and_b32 v4, 0xff, v4
	v_mov_b32_e32 v22, v2
	v_cmp_ne_u16_e32 vcc_lo, 2, v4
	v_cndmask_b32_e64 v4, 0, 1, vcc_lo
	;;#ASMSTART
	;;#ASMEND
	s_delay_alu instid0(VALU_DEP_1)
	v_cmp_ne_u32_e32 vcc_lo, 0, v4
	s_cmp_lg_u32 vcc_lo, exec_lo
	s_cbranch_scc1 .LBB1593_113
; %bb.107:                              ;   in Loop: Header=BB1593_106 Depth=1
	v_lshlrev_b64 v[2:3], 4, v[20:21]
	s_mov_b32 s8, exec_lo
	s_delay_alu instid0(VALU_DEP_1) | instskip(NEXT) | instid1(VALU_DEP_2)
	v_add_co_u32 v24, vcc_lo, s4, v2
	v_add_co_ci_u32_e32 v25, vcc_lo, s5, v3, vcc_lo
	;;#ASMSTART
	global_load_dwordx4 v[2:5], v[24:25] off glc	
s_waitcnt vmcnt(0)
	;;#ASMEND
	v_and_b32_e32 v5, 0xff, v3
	v_and_b32_e32 v96, 0xff00, v3
	v_or3_b32 v2, v2, 0, 0
	v_and_b32_e32 v97, 0xff000000, v3
	v_and_b32_e32 v3, 0xff0000, v3
	s_delay_alu instid0(VALU_DEP_4) | instskip(SKIP_2) | instid1(VALU_DEP_3)
	v_or3_b32 v5, 0, v5, v96
	v_and_b32_e32 v96, 0xff, v4
	v_or3_b32 v2, v2, 0, 0
	v_or3_b32 v3, v5, v3, v97
	s_delay_alu instid0(VALU_DEP_3)
	v_cmpx_eq_u16_e32 0, v96
	s_cbranch_execz .LBB1593_105
; %bb.108:                              ;   in Loop: Header=BB1593_106 Depth=1
	s_mov_b32 s10, 1
	s_mov_b32 s9, 0
	.p2align	6
.LBB1593_109:                           ;   Parent Loop BB1593_106 Depth=1
                                        ; =>  This Loop Header: Depth=2
                                        ;       Child Loop BB1593_110 Depth 3
	s_max_u32 s11, s10, 1
.LBB1593_110:                           ;   Parent Loop BB1593_106 Depth=1
                                        ;     Parent Loop BB1593_109 Depth=2
                                        ; =>    This Inner Loop Header: Depth=3
	s_delay_alu instid0(SALU_CYCLE_1)
	s_add_i32 s11, s11, -1
	s_sleep 1
	s_cmp_eq_u32 s11, 0
	s_cbranch_scc0 .LBB1593_110
; %bb.111:                              ;   in Loop: Header=BB1593_109 Depth=2
	;;#ASMSTART
	global_load_dwordx4 v[2:5], v[24:25] off glc	
s_waitcnt vmcnt(0)
	;;#ASMEND
	v_and_b32_e32 v5, 0xff, v4
	s_cmp_lt_u32 s10, 32
	s_cselect_b32 s11, -1, 0
	s_delay_alu instid0(SALU_CYCLE_1) | instskip(NEXT) | instid1(VALU_DEP_1)
	s_cmp_lg_u32 s11, 0
	v_cmp_ne_u16_e32 vcc_lo, 0, v5
	s_addc_u32 s10, s10, 0
	s_or_b32 s9, vcc_lo, s9
	s_delay_alu instid0(SALU_CYCLE_1)
	s_and_not1_b32 exec_lo, exec_lo, s9
	s_cbranch_execnz .LBB1593_109
; %bb.112:                              ;   in Loop: Header=BB1593_106 Depth=1
	s_or_b32 exec_lo, exec_lo, s9
	s_branch .LBB1593_105
.LBB1593_113:                           ;   in Loop: Header=BB1593_106 Depth=1
                                        ; implicit-def: $vgpr4
                                        ; implicit-def: $vgpr2_vgpr3
	s_cbranch_execz .LBB1593_106
; %bb.114:
	s_and_saveexec_b32 s8, s2
	s_cbranch_execnz .LBB1593_357
; %bb.115:
	s_or_b32 exec_lo, exec_lo, s8
	s_and_saveexec_b32 s8, s2
	s_cbranch_execnz .LBB1593_358
.LBB1593_116:
	s_or_b32 exec_lo, exec_lo, s8
	v_cmp_eq_u32_e32 vcc_lo, 0, v0
	s_and_b32 exec_lo, exec_lo, vcc_lo
	s_cbranch_execz .LBB1593_118
.LBB1593_117:
	v_mov_b32_e32 v1, 0
	ds_store_b64 v1, v[22:23] offset:56
.LBB1593_118:
	s_or_b32 exec_lo, exec_lo, s6
	v_cmp_eq_u32_e32 vcc_lo, 0, v0
	v_mov_b32_e32 v1, 0
	s_waitcnt lgkmcnt(0)
	s_barrier
	buffer_gl0_inv
	v_add_nc_u32_e64 v3, 0x3400, 0
	ds_load_b64 v[20:21], v1 offset:56
	s_waitcnt lgkmcnt(0)
	s_barrier
	buffer_gl0_inv
	ds_load_2addr_b32 v[1:2], v3 offset1:2
	ds_load_2addr_b32 v[3:4], v3 offset0:4 offset1:6
	v_cndmask_b32_e64 v5, v84, v18, s2
	v_cndmask_b32_e64 v18, v85, v19, s2
	s_delay_alu instid0(VALU_DEP_2) | instskip(NEXT) | instid1(VALU_DEP_1)
	v_add_nc_u32_e32 v19, v20, v5
	v_dual_cndmask_b32 v20, v19, v20 :: v_dual_add_nc_u32 v5, v21, v18
	s_delay_alu instid0(VALU_DEP_1)
	v_cndmask_b32_e32 v5, v5, v21, vcc_lo
	s_branch .LBB1593_129
.LBB1593_119:
                                        ; implicit-def: $vgpr5
                                        ; implicit-def: $vgpr3
                                        ; implicit-def: $vgpr1
                                        ; implicit-def: $vgpr20_vgpr21
	s_and_b32 vcc_lo, exec_lo, s6
	s_cbranch_vccz .LBB1593_129
; %bb.120:
	s_waitcnt lgkmcnt(0)
	v_mov_b32_dpp v2, v83 row_shr:1 row_mask:0xf bank_mask:0xf
	v_cmp_lt_u32_e32 vcc_lo, 3, v81
	v_mov_b32_dpp v1, v82 row_shr:1 row_mask:0xf bank_mask:0xf
	s_delay_alu instid0(VALU_DEP_3) | instskip(NEXT) | instid1(VALU_DEP_1)
	v_add_nc_u32_e32 v2, v2, v83
	v_cndmask_b32_e64 v2, v2, v83, s1
	s_delay_alu instid0(VALU_DEP_1) | instskip(NEXT) | instid1(VALU_DEP_1)
	v_mov_b32_dpp v4, v2 row_shr:2 row_mask:0xf bank_mask:0xf
	v_add_nc_u32_e32 v4, v2, v4
	s_delay_alu instid0(VALU_DEP_1) | instskip(NEXT) | instid1(VALU_DEP_1)
	v_cndmask_b32_e64 v2, v2, v4, s0
	v_mov_b32_dpp v4, v2 row_shr:4 row_mask:0xf bank_mask:0xf
	s_delay_alu instid0(VALU_DEP_1) | instskip(NEXT) | instid1(VALU_DEP_1)
	v_add_nc_u32_e32 v4, v2, v4
	v_dual_cndmask_b32 v2, v2, v4 :: v_dual_add_nc_u32 v1, v1, v82
	s_delay_alu instid0(VALU_DEP_1) | instskip(NEXT) | instid1(VALU_DEP_2)
	v_cndmask_b32_e64 v1, v1, v82, s1
	v_mov_b32_dpp v4, v2 row_shr:8 row_mask:0xf bank_mask:0xf
	s_delay_alu instid0(VALU_DEP_2) | instskip(NEXT) | instid1(VALU_DEP_2)
	v_mov_b32_dpp v3, v1 row_shr:2 row_mask:0xf bank_mask:0xf
	v_add_nc_u32_e32 v4, v2, v4
	s_delay_alu instid0(VALU_DEP_2) | instskip(NEXT) | instid1(VALU_DEP_1)
	v_add_nc_u32_e32 v3, v1, v3
	v_cndmask_b32_e64 v1, v1, v3, s0
	s_mov_b32 s0, exec_lo
	s_delay_alu instid0(VALU_DEP_1) | instskip(NEXT) | instid1(VALU_DEP_1)
	v_mov_b32_dpp v3, v1 row_shr:4 row_mask:0xf bank_mask:0xf
	v_add_nc_u32_e32 v3, v1, v3
	s_delay_alu instid0(VALU_DEP_1) | instskip(SKIP_1) | instid1(VALU_DEP_2)
	v_cndmask_b32_e32 v1, v1, v3, vcc_lo
	v_cmp_lt_u32_e32 vcc_lo, 7, v81
	v_mov_b32_dpp v3, v1 row_shr:8 row_mask:0xf bank_mask:0xf
	s_delay_alu instid0(VALU_DEP_1) | instskip(NEXT) | instid1(VALU_DEP_1)
	v_dual_cndmask_b32 v2, v2, v4 :: v_dual_add_nc_u32 v3, v1, v3
	v_cndmask_b32_e32 v1, v1, v3, vcc_lo
	ds_swizzle_b32 v3, v2 offset:swizzle(BROADCAST,32,15)
	v_cmp_eq_u32_e32 vcc_lo, 0, v80
	ds_swizzle_b32 v4, v1 offset:swizzle(BROADCAST,32,15)
	s_waitcnt lgkmcnt(1)
	v_add_nc_u32_e32 v3, v2, v3
	s_waitcnt lgkmcnt(0)
	v_add_nc_u32_e32 v4, v1, v4
	s_delay_alu instid0(VALU_DEP_1)
	v_dual_cndmask_b32 v2, v3, v2 :: v_dual_cndmask_b32 v1, v4, v1
	v_cmpx_eq_u32_e64 v79, v0
	s_cbranch_execz .LBB1593_122
; %bb.121:
	v_lshlrev_b32_e32 v3, 3, v78
	ds_store_b64 v3, v[1:2]
.LBB1593_122:
	s_or_b32 exec_lo, exec_lo, s0
	s_delay_alu instid0(SALU_CYCLE_1)
	s_mov_b32 s0, exec_lo
	s_waitcnt lgkmcnt(0)
	s_barrier
	buffer_gl0_inv
	v_cmpx_gt_u32_e32 8, v0
	s_cbranch_execz .LBB1593_124
; %bb.123:
	v_lshlrev_b32_e32 v5, 3, v0
	ds_load_b64 v[3:4], v5
	s_waitcnt lgkmcnt(0)
	v_mov_b32_dpp v18, v3 row_shr:1 row_mask:0xf bank_mask:0xf
	v_mov_b32_dpp v19, v4 row_shr:1 row_mask:0xf bank_mask:0xf
	s_delay_alu instid0(VALU_DEP_2) | instskip(SKIP_1) | instid1(VALU_DEP_3)
	v_add_nc_u32_e32 v18, v18, v3
	v_and_b32_e32 v20, 7, v77
	v_add_nc_u32_e32 v19, v19, v4
	s_delay_alu instid0(VALU_DEP_2) | instskip(NEXT) | instid1(VALU_DEP_2)
	v_cmp_eq_u32_e32 vcc_lo, 0, v20
	v_dual_cndmask_b32 v4, v19, v4 :: v_dual_cndmask_b32 v3, v18, v3
	v_cmp_lt_u32_e32 vcc_lo, 1, v20
	s_delay_alu instid0(VALU_DEP_2) | instskip(NEXT) | instid1(VALU_DEP_3)
	v_mov_b32_dpp v19, v4 row_shr:2 row_mask:0xf bank_mask:0xf
	v_mov_b32_dpp v18, v3 row_shr:2 row_mask:0xf bank_mask:0xf
	s_delay_alu instid0(VALU_DEP_2) | instskip(NEXT) | instid1(VALU_DEP_2)
	v_add_nc_u32_e32 v19, v4, v19
	v_add_nc_u32_e32 v18, v3, v18
	s_delay_alu instid0(VALU_DEP_1) | instskip(SKIP_1) | instid1(VALU_DEP_2)
	v_dual_cndmask_b32 v4, v4, v19 :: v_dual_cndmask_b32 v3, v3, v18
	v_cmp_lt_u32_e32 vcc_lo, 3, v20
	v_mov_b32_dpp v19, v4 row_shr:4 row_mask:0xf bank_mask:0xf
	s_delay_alu instid0(VALU_DEP_3) | instskip(NEXT) | instid1(VALU_DEP_1)
	v_mov_b32_dpp v18, v3 row_shr:4 row_mask:0xf bank_mask:0xf
	v_dual_cndmask_b32 v19, 0, v19 :: v_dual_cndmask_b32 v18, 0, v18
	s_delay_alu instid0(VALU_DEP_1) | instskip(NEXT) | instid1(VALU_DEP_2)
	v_add_nc_u32_e32 v4, v19, v4
	v_add_nc_u32_e32 v3, v18, v3
	ds_store_b64 v5, v[3:4]
.LBB1593_124:
	s_or_b32 exec_lo, exec_lo, s0
	v_dual_mov_b32 v3, 0 :: v_dual_mov_b32 v18, 0
	v_mov_b32_e32 v19, 0
	s_mov_b32 s0, exec_lo
	s_waitcnt lgkmcnt(0)
	s_barrier
	buffer_gl0_inv
	v_cmpx_lt_u32_e32 31, v0
	s_cbranch_execz .LBB1593_126
; %bb.125:
	v_lshl_add_u32 v4, v78, 3, -8
	ds_load_b64 v[18:19], v4
.LBB1593_126:
	s_or_b32 exec_lo, exec_lo, s0
	v_add_nc_u32_e32 v4, -1, v77
	s_waitcnt lgkmcnt(0)
	v_add_nc_u32_e32 v20, v19, v2
	v_add_nc_u32_e32 v5, v18, v1
	ds_load_b64 v[1:2], v3 offset:56
	v_cmp_gt_i32_e32 vcc_lo, 0, v4
	v_cndmask_b32_e32 v4, v4, v77, vcc_lo
	v_cmp_eq_u32_e32 vcc_lo, 0, v0
	s_delay_alu instid0(VALU_DEP_2)
	v_lshlrev_b32_e32 v4, 2, v4
	ds_bpermute_b32 v5, v4, v5
	ds_bpermute_b32 v20, v4, v20
	s_waitcnt lgkmcnt(2)
	v_readfirstlane_b32 s1, v2
	s_and_saveexec_b32 s0, vcc_lo
	s_cbranch_execz .LBB1593_128
; %bb.127:
	s_mov_b32 s6, 0
	s_add_u32 s4, s4, 0x200
	s_addc_u32 s5, s5, 0
	s_and_b32 s7, s1, 0xff000000
	s_and_b32 s9, s1, 0xff0000
	s_mov_b32 s8, s6
	v_mov_b32_e32 v22, s5
	s_or_b64 s[8:9], s[8:9], s[6:7]
	s_and_b32 s7, s1, 0xff00
	v_dual_mov_b32 v4, 0 :: v_dual_mov_b32 v21, s4
	s_or_b64 s[8:9], s[8:9], s[6:7]
	s_and_b32 s7, s1, 0xff
	v_mov_b32_e32 v3, 2
	s_or_b64 s[6:7], s[8:9], s[6:7]
	s_delay_alu instid0(SALU_CYCLE_1)
	v_mov_b32_e32 v2, s7
	;;#ASMSTART
	global_store_dwordx4 v[21:22], v[1:4] off	
s_waitcnt vmcnt(0)
	;;#ASMEND
.LBB1593_128:
	s_or_b32 exec_lo, exec_lo, s0
	v_cmp_eq_u32_e64 s0, 0, v77
	v_dual_mov_b32 v3, 0 :: v_dual_mov_b32 v2, s1
	s_waitcnt lgkmcnt(0)
	s_barrier
	s_delay_alu instid0(VALU_DEP_2)
	v_cndmask_b32_e64 v4, v5, v18, s0
	v_cndmask_b32_e64 v5, v20, v19, s0
	buffer_gl0_inv
	v_cndmask_b32_e64 v20, v4, 0, vcc_lo
	v_cndmask_b32_e64 v5, v5, 0, vcc_lo
	v_mov_b32_e32 v4, 0
.LBB1593_129:
	v_and_b32_e32 v30, 1, v30
	v_and_b32_e32 v34, 1, v34
	;; [unrolled: 1-line block ×4, first 2 shown]
	s_waitcnt lgkmcnt(0)
	v_add_co_u32 v18, s0, s28, v3
	v_cmp_eq_u32_e32 vcc_lo, 1, v30
	v_add_nc_u32_e32 v22, v5, v76
	v_sub_nc_u32_e32 v5, v5, v4
	v_add_co_ci_u32_e64 v19, null, s29, 0, s0
	s_mov_b32 s2, -1
	s_delay_alu instid0(VALU_DEP_3) | instskip(SKIP_3) | instid1(VALU_DEP_3)
	v_add_nc_u32_e32 v24, v22, v72
	v_sub_nc_u32_e32 v22, v22, v4
	v_add_nc_u32_e32 v5, v5, v1
	v_sub_co_u32 v72, s0, s30, v1
	v_add_nc_u32_e32 v22, v22, v1
	v_add_nc_u32_e32 v21, v20, v75
	v_sub_nc_u32_e32 v20, v20, v3
	s_delay_alu instid0(VALU_DEP_2)
	v_add_nc_u32_e32 v23, v21, v71
	v_add_nc_u32_e32 v71, v24, v74
	v_lshlrev_b32_e32 v74, 1, v1
	v_sub_nc_u32_e32 v21, v21, v3
	v_add_nc_u32_e32 v75, v20, v5
	v_sub_nc_u32_e32 v24, v24, v4
	s_delay_alu instid0(VALU_DEP_4) | instskip(NEXT) | instid1(VALU_DEP_4)
	v_add3_u32 v28, v74, v2, v28
	v_add_nc_u32_e32 v76, v22, v21
	s_delay_alu instid0(VALU_DEP_3) | instskip(NEXT) | instid1(VALU_DEP_3)
	v_add_nc_u32_e32 v24, v24, v1
	v_sub_nc_u32_e32 v75, v28, v75
	s_delay_alu instid0(VALU_DEP_3) | instskip(NEXT) | instid1(VALU_DEP_1)
	v_sub_nc_u32_e32 v76, v28, v76
	v_dual_cndmask_b32 v5, v75, v5 :: v_dual_add_nc_u32 v30, 1, v76
	v_cmp_eq_u32_e32 vcc_lo, 1, v34
	s_delay_alu instid0(VALU_DEP_2) | instskip(SKIP_1) | instid1(VALU_DEP_4)
	v_cndmask_b32_e32 v22, v30, v22, vcc_lo
	v_cmp_eq_u32_e32 vcc_lo, 1, v29
	v_cndmask_b32_e32 v5, v5, v20, vcc_lo
	v_and_b32_e32 v20, 1, v36
	v_cmp_eq_u32_e32 vcc_lo, 1, v33
	s_delay_alu instid0(VALU_DEP_3) | instskip(SKIP_1) | instid1(VALU_DEP_4)
	v_lshlrev_b32_e32 v5, 2, v5
	v_cndmask_b32_e32 v21, v22, v21, vcc_lo
	v_cmp_eq_u32_e32 vcc_lo, 1, v20
	v_add_nc_u32_e32 v25, v23, v73
	v_sub_nc_u32_e32 v23, v23, v3
	v_and_b32_e32 v22, 1, v31
	v_sub_co_ci_u32_e64 v73, null, s31, 0, s0
	v_and_b32_e32 v31, 1, v32
	s_delay_alu instid0(VALU_DEP_4) | instskip(NEXT) | instid1(VALU_DEP_1)
	v_add_nc_u32_e32 v77, v24, v23
	v_sub_nc_u32_e32 v75, v28, v77
	s_delay_alu instid0(VALU_DEP_1) | instskip(NEXT) | instid1(VALU_DEP_1)
	v_add_nc_u32_e32 v29, 2, v75
	v_cndmask_b32_e32 v20, v29, v24, vcc_lo
	v_sub_nc_u32_e32 v24, v71, v4
	v_cmp_eq_u32_e32 vcc_lo, 1, v22
	v_add_nc_u32_e32 v69, v25, v69
	v_lshlrev_b32_e32 v29, 2, v21
	ds_store_b32 v5, v16
	ds_store_b32 v29, v17
	v_cndmask_b32_e32 v22, v20, v23, vcc_lo
	v_sub_nc_u32_e32 v23, v25, v3
	v_add_nc_u32_e32 v24, v24, v1
	v_add_co_u32 v20, vcc_lo, v72, v4
	s_delay_alu instid0(VALU_DEP_4) | instskip(SKIP_1) | instid1(VALU_DEP_4)
	v_lshlrev_b32_e32 v5, 2, v22
	v_and_b32_e32 v22, 1, v35
	v_add_nc_u32_e32 v25, v23, v24
	v_add_co_ci_u32_e32 v21, vcc_lo, 0, v73, vcc_lo
	ds_store_b32 v5, v14
	v_cmp_eq_u32_e32 vcc_lo, 1, v22
	v_sub_nc_u32_e32 v17, v28, v25
	v_sub_nc_u32_e32 v29, v69, v3
	v_add_nc_u32_e32 v67, v69, v67
	s_delay_alu instid0(VALU_DEP_3) | instskip(NEXT) | instid1(VALU_DEP_2)
	v_add_nc_u32_e32 v17, 3, v17
	v_sub_nc_u32_e32 v30, v67, v3
	s_delay_alu instid0(VALU_DEP_2) | instskip(SKIP_2) | instid1(VALU_DEP_3)
	v_cndmask_b32_e32 v17, v17, v24, vcc_lo
	v_cmp_eq_u32_e32 vcc_lo, 1, v31
	v_and_b32_e32 v24, 1, v39
	v_cndmask_b32_e32 v14, v17, v23, vcc_lo
	v_add_nc_u32_e32 v70, v71, v70
	v_and_b32_e32 v23, 1, v38
	s_delay_alu instid0(VALU_DEP_3) | instskip(NEXT) | instid1(VALU_DEP_3)
	v_lshlrev_b32_e32 v14, 2, v14
	v_add_nc_u32_e32 v68, v70, v68
	v_sub_nc_u32_e32 v16, v70, v4
	ds_store_b32 v14, v15
	v_sub_nc_u32_e32 v25, v68, v4
	v_add_nc_u32_e32 v16, v16, v1
	s_delay_alu instid0(VALU_DEP_2) | instskip(NEXT) | instid1(VALU_DEP_2)
	v_add_nc_u32_e32 v25, v25, v1
	v_add_nc_u32_e32 v32, v29, v16
	s_delay_alu instid0(VALU_DEP_2) | instskip(NEXT) | instid1(VALU_DEP_2)
	v_add_nc_u32_e32 v22, v30, v25
	v_sub_nc_u32_e32 v5, v28, v32
	s_delay_alu instid0(VALU_DEP_2) | instskip(SKIP_1) | instid1(VALU_DEP_3)
	v_sub_nc_u32_e32 v17, v28, v22
	v_and_b32_e32 v22, 1, v37
	v_add_nc_u32_e32 v5, 4, v5
	s_delay_alu instid0(VALU_DEP_3) | instskip(NEXT) | instid1(VALU_DEP_3)
	v_add_nc_u32_e32 v17, 5, v17
	v_cmp_eq_u32_e32 vcc_lo, 1, v22
	s_delay_alu instid0(VALU_DEP_3)
	v_cndmask_b32_e32 v5, v5, v16, vcc_lo
	v_cmp_eq_u32_e32 vcc_lo, 1, v24
	v_and_b32_e32 v16, 1, v41
	v_cndmask_b32_e32 v17, v17, v25, vcc_lo
	v_cmp_eq_u32_e32 vcc_lo, 1, v23
	v_cndmask_b32_e32 v5, v5, v29, vcc_lo
	s_delay_alu instid0(VALU_DEP_4) | instskip(SKIP_1) | instid1(VALU_DEP_3)
	v_cmp_eq_u32_e32 vcc_lo, 1, v16
	v_add_nc_u32_e32 v66, v68, v66
	v_dual_cndmask_b32 v16, v17, v30 :: v_dual_lshlrev_b32 v5, 2, v5
	s_delay_alu instid0(VALU_DEP_2) | instskip(SKIP_1) | instid1(VALU_DEP_3)
	v_sub_nc_u32_e32 v22, v66, v4
	v_add_nc_u32_e32 v62, v66, v62
	v_lshlrev_b32_e32 v16, 2, v16
	ds_store_b32 v5, v12
	ds_store_b32 v16, v13
	v_and_b32_e32 v12, 1, v40
	v_add_nc_u32_e32 v22, v22, v1
	v_add_nc_u32_e32 v64, v62, v64
	v_sub_nc_u32_e32 v17, v62, v4
	v_and_b32_e32 v16, 1, v43
	v_cmp_eq_u32_e32 vcc_lo, 1, v12
	v_add_nc_u32_e32 v65, v67, v65
	v_sub_nc_u32_e32 v15, v64, v4
	v_add_nc_u32_e32 v17, v17, v1
	s_delay_alu instid0(VALU_DEP_3) | instskip(NEXT) | instid1(VALU_DEP_3)
	v_sub_nc_u32_e32 v23, v65, v3
	v_add_nc_u32_e32 v15, v15, v1
	s_delay_alu instid0(VALU_DEP_2) | instskip(NEXT) | instid1(VALU_DEP_1)
	v_add_nc_u32_e32 v24, v23, v22
	v_sub_nc_u32_e32 v14, v28, v24
	v_and_b32_e32 v24, 1, v48
	s_delay_alu instid0(VALU_DEP_2) | instskip(SKIP_1) | instid1(VALU_DEP_2)
	v_add_nc_u32_e32 v13, 6, v14
	v_and_b32_e32 v14, 1, v42
	v_cndmask_b32_e32 v12, v13, v22, vcc_lo
	v_add_nc_u32_e32 v61, v65, v61
	s_delay_alu instid0(VALU_DEP_3) | instskip(SKIP_1) | instid1(VALU_DEP_3)
	v_cmp_eq_u32_e32 vcc_lo, 1, v14
	v_and_b32_e32 v22, 1, v44
	v_sub_nc_u32_e32 v25, v61, v3
	v_add_nc_u32_e32 v63, v61, v63
	v_cndmask_b32_e32 v12, v12, v23, vcc_lo
	v_cmp_eq_u32_e32 vcc_lo, 1, v16
	v_and_b32_e32 v23, 1, v46
	v_add_nc_u32_e32 v5, v25, v17
	v_sub_nc_u32_e32 v13, v63, v3
	v_lshlrev_b32_e32 v12, 2, v12
	v_add_nc_u32_e32 v59, v63, v59
	s_delay_alu instid0(VALU_DEP_4) | instskip(NEXT) | instid1(VALU_DEP_4)
	v_sub_nc_u32_e32 v5, v28, v5
	v_add_nc_u32_e32 v14, v13, v15
	s_delay_alu instid0(VALU_DEP_3) | instskip(NEXT) | instid1(VALU_DEP_3)
	v_add_nc_u32_e32 v57, v59, v57
	v_add_nc_u32_e32 v5, 7, v5
	s_delay_alu instid0(VALU_DEP_3) | instskip(NEXT) | instid1(VALU_DEP_3)
	v_sub_nc_u32_e32 v14, v28, v14
	v_add_nc_u32_e32 v55, v57, v55
	s_delay_alu instid0(VALU_DEP_3)
	v_cndmask_b32_e32 v5, v5, v17, vcc_lo
	v_cmp_eq_u32_e32 vcc_lo, 1, v22
	v_and_b32_e32 v17, 1, v45
	v_add_nc_u32_e32 v14, 8, v14
	v_sub_nc_u32_e32 v22, v59, v3
	v_add_nc_u32_e32 v53, v55, v53
	v_cndmask_b32_e32 v5, v5, v25, vcc_lo
	v_cmp_eq_u32_e32 vcc_lo, 1, v17
	v_sub_nc_u32_e32 v17, v55, v3
	v_and_b32_e32 v25, 1, v52
	s_delay_alu instid0(VALU_DEP_4)
	v_dual_cndmask_b32 v14, v14, v15 :: v_dual_lshlrev_b32 v5, 2, v5
	v_cmp_eq_u32_e32 vcc_lo, 1, v23
	v_add_nc_u32_e32 v60, v64, v60
	ds_store_b32 v12, v10
	ds_store_b32 v5, v11
	v_and_b32_e32 v11, 1, v49
	v_cndmask_b32_e32 v5, v14, v13, vcc_lo
	v_sub_nc_u32_e32 v16, v60, v4
	v_add_nc_u32_e32 v58, v60, v58
	v_and_b32_e32 v13, 1, v47
	s_delay_alu instid0(VALU_DEP_4) | instskip(NEXT) | instid1(VALU_DEP_4)
	v_lshlrev_b32_e32 v5, 2, v5
	v_add_nc_u32_e32 v16, v16, v1
	s_delay_alu instid0(VALU_DEP_4) | instskip(SKIP_2) | instid1(VALU_DEP_4)
	v_add_nc_u32_e32 v56, v58, v56
	v_sub_nc_u32_e32 v12, v58, v4
	v_cmp_eq_u32_e32 vcc_lo, 1, v13
	v_add_nc_u32_e32 v15, v22, v16
	s_delay_alu instid0(VALU_DEP_4) | instskip(NEXT) | instid1(VALU_DEP_4)
	v_sub_nc_u32_e32 v14, v56, v4
	v_add_nc_u32_e32 v12, v12, v1
	v_add_nc_u32_e32 v54, v56, v54
	s_delay_alu instid0(VALU_DEP_4) | instskip(SKIP_2) | instid1(VALU_DEP_4)
	v_sub_nc_u32_e32 v10, v28, v15
	v_sub_nc_u32_e32 v15, v57, v3
	v_add_nc_u32_e32 v14, v14, v1
	v_sub_nc_u32_e32 v23, v54, v4
	v_sub_nc_u32_e32 v3, v53, v3
	v_add_nc_u32_e32 v10, 9, v10
	v_add_nc_u32_e32 v13, v15, v12
	s_delay_alu instid0(VALU_DEP_2) | instskip(SKIP_2) | instid1(VALU_DEP_4)
	v_dual_cndmask_b32 v10, v10, v16 :: v_dual_add_nc_u32 v23, v23, v1
	v_add_nc_u32_e32 v16, v17, v14
	v_cmp_eq_u32_e32 vcc_lo, 1, v11
	v_sub_nc_u32_e32 v11, v28, v13
	v_and_b32_e32 v13, 1, v50
	s_delay_alu instid0(VALU_DEP_4) | instskip(NEXT) | instid1(VALU_DEP_3)
	v_sub_nc_u32_e32 v16, v28, v16
	v_dual_cndmask_b32 v10, v10, v22 :: v_dual_add_nc_u32 v11, 10, v11
	v_cmp_eq_u32_e32 vcc_lo, 1, v24
	v_add_nc_u32_e32 v22, v3, v23
	s_delay_alu instid0(VALU_DEP_4) | instskip(NEXT) | instid1(VALU_DEP_4)
	v_add_nc_u32_e32 v16, 11, v16
	v_dual_cndmask_b32 v11, v11, v12 :: v_dual_lshlrev_b32 v10, 2, v10
	v_cmp_eq_u32_e32 vcc_lo, 1, v25
	s_delay_alu instid0(VALU_DEP_4) | instskip(SKIP_3) | instid1(VALU_DEP_4)
	v_sub_nc_u32_e32 v22, v28, v22
	v_and_b32_e32 v12, 1, v51
	v_cndmask_b32_e32 v14, v16, v14, vcc_lo
	v_cmp_eq_u32_e32 vcc_lo, 1, v13
	v_dual_cndmask_b32 v11, v11, v15 :: v_dual_add_nc_u32 v16, 12, v22
	s_delay_alu instid0(VALU_DEP_4) | instskip(NEXT) | instid1(VALU_DEP_2)
	v_cmp_eq_u32_e32 vcc_lo, 1, v12
	v_cndmask_b32_e64 v13, v16, v23, s43
	s_delay_alu instid0(VALU_DEP_3) | instskip(NEXT) | instid1(VALU_DEP_2)
	v_dual_cndmask_b32 v12, v14, v17 :: v_dual_lshlrev_b32 v11, 2, v11
	v_cndmask_b32_e64 v3, v13, v3, s42
	s_delay_alu instid0(VALU_DEP_2)
	v_lshlrev_b32_e32 v12, 2, v12
	ds_store_b32 v5, v8
	ds_store_b32 v10, v9
	;; [unrolled: 1-line block ×4, first 2 shown]
	v_lshlrev_b32_e32 v3, 2, v3
	v_add_co_u32 v5, s0, v2, v74
	s_delay_alu instid0(VALU_DEP_1) | instskip(SKIP_4) | instid1(VALU_DEP_2)
	v_add_co_ci_u32_e64 v6, null, 0, 0, s0
	ds_store_b32 v3, v27
	v_add_co_u32 v3, vcc_lo, v5, v20
	v_add_co_ci_u32_e32 v5, vcc_lo, v6, v21, vcc_lo
	s_add_u32 s0, s34, s33
	v_add_co_u32 v3, vcc_lo, v3, v18
	s_delay_alu instid0(VALU_DEP_2) | instskip(SKIP_1) | instid1(VALU_DEP_2)
	v_add_co_ci_u32_e32 v5, vcc_lo, v5, v19, vcc_lo
	s_addc_u32 s1, s35, 0
	v_sub_co_u32 v3, vcc_lo, s0, v3
	s_delay_alu instid0(VALU_DEP_2)
	v_sub_co_ci_u32_e32 v9, vcc_lo, s1, v5, vcc_lo
	v_lshlrev_b64 v[5:6], 2, v[20:21]
	v_lshlrev_b64 v[7:8], 2, v[18:19]
	v_add_nc_u32_e32 v10, v1, v2
	s_add_u32 s1, s26, -4
	s_waitcnt lgkmcnt(0)
	s_barrier
	v_add_co_u32 v5, vcc_lo, s38, v5
	v_add_co_ci_u32_e32 v6, vcc_lo, s39, v6, vcc_lo
	v_cmp_ne_u32_e32 vcc_lo, 1, v26
	v_add_co_u32 v7, s0, s36, v7
	s_delay_alu instid0(VALU_DEP_1)
	v_add_co_ci_u32_e64 v8, s0, s37, v8, s0
	s_addc_u32 s0, s27, -1
	buffer_gl0_inv
	s_cbranch_vccz .LBB1593_133
; %bb.130:
	s_and_b32 vcc_lo, exec_lo, s2
	s_cbranch_vccnz .LBB1593_238
.LBB1593_131:
	v_cmp_eq_u32_e32 vcc_lo, 0, v0
	s_and_b32 s0, vcc_lo, s14
	s_delay_alu instid0(SALU_CYCLE_1)
	s_and_saveexec_b32 s1, s0
	s_cbranch_execnz .LBB1593_356
.LBB1593_132:
	s_nop 0
	s_sendmsg sendmsg(MSG_DEALLOC_VGPRS)
	s_endpgm
.LBB1593_133:
	s_mov_b32 s2, exec_lo
	v_cmpx_le_u32_e64 v1, v0
	s_xor_b32 s2, exec_lo, s2
	s_cbranch_execz .LBB1593_139
; %bb.134:
	s_mov_b32 s4, exec_lo
	v_cmpx_le_u32_e64 v10, v0
	s_xor_b32 s4, exec_lo, s4
	s_cbranch_execz .LBB1593_136
; %bb.135:
	v_lshlrev_b32_e32 v11, 2, v0
	ds_load_b32 v13, v11
	v_add_co_u32 v11, vcc_lo, v3, v0
	v_add_co_ci_u32_e32 v12, vcc_lo, 0, v9, vcc_lo
	s_delay_alu instid0(VALU_DEP_1) | instskip(NEXT) | instid1(VALU_DEP_1)
	v_lshlrev_b64 v[11:12], 2, v[11:12]
	v_sub_co_u32 v11, vcc_lo, s26, v11
	s_delay_alu instid0(VALU_DEP_2)
	v_sub_co_ci_u32_e32 v12, vcc_lo, s27, v12, vcc_lo
	s_waitcnt lgkmcnt(0)
	global_store_b32 v[11:12], v13, off offset:-4
.LBB1593_136:
	s_and_not1_saveexec_b32 s4, s4
	s_cbranch_execz .LBB1593_138
; %bb.137:
	v_lshlrev_b32_e32 v11, 2, v0
	v_readfirstlane_b32 s6, v5
	v_readfirstlane_b32 s7, v6
	ds_load_b32 v12, v11
	s_waitcnt lgkmcnt(0)
	global_store_b32 v11, v12, s[6:7]
.LBB1593_138:
	s_or_b32 exec_lo, exec_lo, s4
.LBB1593_139:
	s_and_not1_saveexec_b32 s2, s2
	s_cbranch_execz .LBB1593_141
; %bb.140:
	v_lshlrev_b32_e32 v11, 2, v0
	v_readfirstlane_b32 s4, v7
	v_readfirstlane_b32 s5, v8
	ds_load_b32 v12, v11
	s_waitcnt lgkmcnt(0)
	global_store_b32 v11, v12, s[4:5]
.LBB1593_141:
	s_or_b32 exec_lo, exec_lo, s2
	v_or_b32_e32 v11, 0x100, v0
	s_mov_b32 s2, exec_lo
	s_delay_alu instid0(VALU_DEP_1)
	v_cmpx_le_u32_e64 v1, v11
	s_xor_b32 s2, exec_lo, s2
	s_cbranch_execz .LBB1593_147
; %bb.142:
	s_mov_b32 s4, exec_lo
	v_cmpx_le_u32_e64 v10, v11
	s_xor_b32 s4, exec_lo, s4
	s_cbranch_execz .LBB1593_144
; %bb.143:
	v_lshlrev_b32_e32 v11, 2, v0
	ds_load_b32 v13, v11 offset:1024
	v_add_co_u32 v11, vcc_lo, v3, v0
	v_add_co_ci_u32_e32 v12, vcc_lo, 0, v9, vcc_lo
	s_delay_alu instid0(VALU_DEP_1) | instskip(NEXT) | instid1(VALU_DEP_1)
	v_lshlrev_b64 v[11:12], 2, v[11:12]
	v_sub_co_u32 v11, vcc_lo, s1, v11
	s_delay_alu instid0(VALU_DEP_2)
	v_sub_co_ci_u32_e32 v12, vcc_lo, s0, v12, vcc_lo
	s_waitcnt lgkmcnt(0)
	global_store_b32 v[11:12], v13, off offset:-1024
.LBB1593_144:
	s_and_not1_saveexec_b32 s4, s4
	s_cbranch_execz .LBB1593_146
; %bb.145:
	v_lshlrev_b32_e32 v11, 2, v0
	v_readfirstlane_b32 s6, v5
	v_readfirstlane_b32 s7, v6
	ds_load_b32 v12, v11 offset:1024
	s_waitcnt lgkmcnt(0)
	global_store_b32 v11, v12, s[6:7] offset:1024
.LBB1593_146:
	s_or_b32 exec_lo, exec_lo, s4
.LBB1593_147:
	s_and_not1_saveexec_b32 s2, s2
	s_cbranch_execz .LBB1593_149
; %bb.148:
	v_lshlrev_b32_e32 v11, 2, v0
	v_readfirstlane_b32 s4, v7
	v_readfirstlane_b32 s5, v8
	ds_load_b32 v12, v11 offset:1024
	s_waitcnt lgkmcnt(0)
	global_store_b32 v11, v12, s[4:5] offset:1024
.LBB1593_149:
	s_or_b32 exec_lo, exec_lo, s2
	v_or_b32_e32 v11, 0x200, v0
	s_mov_b32 s2, exec_lo
	s_delay_alu instid0(VALU_DEP_1)
	v_cmpx_le_u32_e64 v1, v11
	s_xor_b32 s2, exec_lo, s2
	s_cbranch_execz .LBB1593_155
; %bb.150:
	s_mov_b32 s4, exec_lo
	v_cmpx_le_u32_e64 v10, v11
	s_xor_b32 s4, exec_lo, s4
	s_cbranch_execz .LBB1593_152
; %bb.151:
	v_lshlrev_b32_e32 v11, 2, v0
	ds_load_b32 v13, v11 offset:2048
	v_add_co_u32 v11, vcc_lo, v3, v0
	v_add_co_ci_u32_e32 v12, vcc_lo, 0, v9, vcc_lo
	s_delay_alu instid0(VALU_DEP_1) | instskip(NEXT) | instid1(VALU_DEP_1)
	v_lshlrev_b64 v[11:12], 2, v[11:12]
	v_sub_co_u32 v11, vcc_lo, s1, v11
	s_delay_alu instid0(VALU_DEP_2)
	v_sub_co_ci_u32_e32 v12, vcc_lo, s0, v12, vcc_lo
	s_waitcnt lgkmcnt(0)
	global_store_b32 v[11:12], v13, off offset:-2048
.LBB1593_152:
	s_and_not1_saveexec_b32 s4, s4
	s_cbranch_execz .LBB1593_154
; %bb.153:
	v_lshlrev_b32_e32 v11, 2, v0
	v_readfirstlane_b32 s6, v5
	v_readfirstlane_b32 s7, v6
	ds_load_b32 v12, v11 offset:2048
	s_waitcnt lgkmcnt(0)
	global_store_b32 v11, v12, s[6:7] offset:2048
.LBB1593_154:
	s_or_b32 exec_lo, exec_lo, s4
.LBB1593_155:
	s_and_not1_saveexec_b32 s2, s2
	s_cbranch_execz .LBB1593_157
; %bb.156:
	v_lshlrev_b32_e32 v11, 2, v0
	v_readfirstlane_b32 s4, v7
	v_readfirstlane_b32 s5, v8
	ds_load_b32 v12, v11 offset:2048
	s_waitcnt lgkmcnt(0)
	global_store_b32 v11, v12, s[4:5] offset:2048
.LBB1593_157:
	;; [unrolled: 47-line block ×3, first 2 shown]
	s_or_b32 exec_lo, exec_lo, s2
	v_or_b32_e32 v11, 0x400, v0
	s_mov_b32 s2, exec_lo
	s_delay_alu instid0(VALU_DEP_1)
	v_cmpx_le_u32_e64 v1, v11
	s_xor_b32 s2, exec_lo, s2
	s_cbranch_execz .LBB1593_171
; %bb.166:
	s_mov_b32 s4, exec_lo
	v_cmpx_le_u32_e64 v10, v11
	s_xor_b32 s4, exec_lo, s4
	s_cbranch_execz .LBB1593_168
; %bb.167:
	v_lshlrev_b32_e32 v11, 2, v0
	ds_load_b32 v13, v11 offset:4096
	v_add_co_u32 v11, vcc_lo, v3, v0
	v_add_co_ci_u32_e32 v12, vcc_lo, 0, v9, vcc_lo
	s_delay_alu instid0(VALU_DEP_1) | instskip(NEXT) | instid1(VALU_DEP_1)
	v_lshlrev_b64 v[11:12], 2, v[11:12]
	v_sub_co_u32 v11, vcc_lo, s1, v11
	s_delay_alu instid0(VALU_DEP_2)
	v_sub_co_ci_u32_e32 v12, vcc_lo, s0, v12, vcc_lo
	s_waitcnt lgkmcnt(0)
	global_store_b32 v[11:12], v13, off offset:-4096
                                        ; implicit-def: $vgpr11
.LBB1593_168:
	s_and_not1_saveexec_b32 s4, s4
	s_cbranch_execz .LBB1593_170
; %bb.169:
	v_lshlrev_b32_e32 v12, 2, v0
	v_lshlrev_b32_e32 v11, 2, v11
	v_readfirstlane_b32 s6, v5
	v_readfirstlane_b32 s7, v6
	ds_load_b32 v12, v12 offset:4096
	s_waitcnt lgkmcnt(0)
	global_store_b32 v11, v12, s[6:7]
.LBB1593_170:
	s_or_b32 exec_lo, exec_lo, s4
                                        ; implicit-def: $vgpr11
.LBB1593_171:
	s_and_not1_saveexec_b32 s2, s2
	s_cbranch_execz .LBB1593_173
; %bb.172:
	v_lshlrev_b32_e32 v12, 2, v0
	v_lshlrev_b32_e32 v11, 2, v11
	v_readfirstlane_b32 s4, v7
	v_readfirstlane_b32 s5, v8
	ds_load_b32 v12, v12 offset:4096
	s_waitcnt lgkmcnt(0)
	global_store_b32 v11, v12, s[4:5]
.LBB1593_173:
	s_or_b32 exec_lo, exec_lo, s2
	v_or_b32_e32 v11, 0x500, v0
	s_mov_b32 s2, exec_lo
	s_delay_alu instid0(VALU_DEP_1)
	v_cmpx_le_u32_e64 v1, v11
	s_xor_b32 s2, exec_lo, s2
	s_cbranch_execz .LBB1593_179
; %bb.174:
	s_mov_b32 s4, exec_lo
	v_cmpx_le_u32_e64 v10, v11
	s_xor_b32 s4, exec_lo, s4
	s_cbranch_execz .LBB1593_176
; %bb.175:
	v_lshlrev_b32_e32 v12, 2, v0
	v_add_co_u32 v11, vcc_lo, v3, v11
	ds_load_b32 v13, v12 offset:5120
	v_add_co_ci_u32_e32 v12, vcc_lo, 0, v9, vcc_lo
	s_delay_alu instid0(VALU_DEP_1) | instskip(NEXT) | instid1(VALU_DEP_1)
	v_lshlrev_b64 v[11:12], 2, v[11:12]
	v_sub_co_u32 v11, vcc_lo, s1, v11
	s_delay_alu instid0(VALU_DEP_2)
	v_sub_co_ci_u32_e32 v12, vcc_lo, s0, v12, vcc_lo
	s_waitcnt lgkmcnt(0)
	global_store_b32 v[11:12], v13, off
                                        ; implicit-def: $vgpr11
.LBB1593_176:
	s_and_not1_saveexec_b32 s4, s4
	s_cbranch_execz .LBB1593_178
; %bb.177:
	v_lshlrev_b32_e32 v12, 2, v0
	v_lshlrev_b32_e32 v11, 2, v11
	v_readfirstlane_b32 s6, v5
	v_readfirstlane_b32 s7, v6
	ds_load_b32 v12, v12 offset:5120
	s_waitcnt lgkmcnt(0)
	global_store_b32 v11, v12, s[6:7]
.LBB1593_178:
	s_or_b32 exec_lo, exec_lo, s4
                                        ; implicit-def: $vgpr11
.LBB1593_179:
	s_and_not1_saveexec_b32 s2, s2
	s_cbranch_execz .LBB1593_181
; %bb.180:
	v_lshlrev_b32_e32 v12, 2, v0
	v_lshlrev_b32_e32 v11, 2, v11
	v_readfirstlane_b32 s4, v7
	v_readfirstlane_b32 s5, v8
	ds_load_b32 v12, v12 offset:5120
	s_waitcnt lgkmcnt(0)
	global_store_b32 v11, v12, s[4:5]
.LBB1593_181:
	s_or_b32 exec_lo, exec_lo, s2
	v_or_b32_e32 v11, 0x600, v0
	s_mov_b32 s2, exec_lo
	s_delay_alu instid0(VALU_DEP_1)
	v_cmpx_le_u32_e64 v1, v11
	s_xor_b32 s2, exec_lo, s2
	s_cbranch_execz .LBB1593_187
; %bb.182:
	s_mov_b32 s4, exec_lo
	v_cmpx_le_u32_e64 v10, v11
	s_xor_b32 s4, exec_lo, s4
	s_cbranch_execz .LBB1593_184
; %bb.183:
	v_lshlrev_b32_e32 v12, 2, v0
	v_add_co_u32 v11, vcc_lo, v3, v11
	ds_load_b32 v13, v12 offset:6144
	v_add_co_ci_u32_e32 v12, vcc_lo, 0, v9, vcc_lo
	s_delay_alu instid0(VALU_DEP_1) | instskip(NEXT) | instid1(VALU_DEP_1)
	v_lshlrev_b64 v[11:12], 2, v[11:12]
	v_sub_co_u32 v11, vcc_lo, s1, v11
	s_delay_alu instid0(VALU_DEP_2)
	v_sub_co_ci_u32_e32 v12, vcc_lo, s0, v12, vcc_lo
	s_waitcnt lgkmcnt(0)
	global_store_b32 v[11:12], v13, off
                                        ; implicit-def: $vgpr11
.LBB1593_184:
	s_and_not1_saveexec_b32 s4, s4
	s_cbranch_execz .LBB1593_186
; %bb.185:
	v_lshlrev_b32_e32 v12, 2, v0
	v_lshlrev_b32_e32 v11, 2, v11
	v_readfirstlane_b32 s6, v5
	v_readfirstlane_b32 s7, v6
	ds_load_b32 v12, v12 offset:6144
	s_waitcnt lgkmcnt(0)
	global_store_b32 v11, v12, s[6:7]
.LBB1593_186:
	s_or_b32 exec_lo, exec_lo, s4
                                        ; implicit-def: $vgpr11
.LBB1593_187:
	;; [unrolled: 51-line block ×8, first 2 shown]
	s_and_not1_saveexec_b32 s2, s2
	s_cbranch_execz .LBB1593_237
; %bb.236:
	v_lshlrev_b32_e32 v12, 2, v0
	v_lshlrev_b32_e32 v11, 2, v11
	v_readfirstlane_b32 s4, v7
	v_readfirstlane_b32 s5, v8
	ds_load_b32 v12, v12 offset:12288
	s_waitcnt lgkmcnt(0)
	global_store_b32 v11, v12, s[4:5]
.LBB1593_237:
	s_or_b32 exec_lo, exec_lo, s2
	s_branch .LBB1593_131
.LBB1593_238:
	s_mov_b32 s2, exec_lo
	v_cmpx_gt_u32_e64 s3, v0
	s_cbranch_execz .LBB1593_247
; %bb.239:
	s_mov_b32 s4, exec_lo
	v_cmpx_le_u32_e64 v1, v0
	s_xor_b32 s4, exec_lo, s4
	s_cbranch_execz .LBB1593_245
; %bb.240:
	s_mov_b32 s5, exec_lo
	v_cmpx_le_u32_e64 v10, v0
	s_xor_b32 s5, exec_lo, s5
	s_cbranch_execz .LBB1593_242
; %bb.241:
	v_lshlrev_b32_e32 v11, 2, v0
	ds_load_b32 v13, v11
	v_add_co_u32 v11, vcc_lo, v3, v0
	v_add_co_ci_u32_e32 v12, vcc_lo, 0, v9, vcc_lo
	s_delay_alu instid0(VALU_DEP_1) | instskip(NEXT) | instid1(VALU_DEP_1)
	v_lshlrev_b64 v[11:12], 2, v[11:12]
	v_sub_co_u32 v11, vcc_lo, s26, v11
	s_delay_alu instid0(VALU_DEP_2)
	v_sub_co_ci_u32_e32 v12, vcc_lo, s27, v12, vcc_lo
	s_waitcnt lgkmcnt(0)
	global_store_b32 v[11:12], v13, off offset:-4
.LBB1593_242:
	s_and_not1_saveexec_b32 s5, s5
	s_cbranch_execz .LBB1593_244
; %bb.243:
	v_lshlrev_b32_e32 v11, 2, v0
	v_readfirstlane_b32 s6, v5
	v_readfirstlane_b32 s7, v6
	ds_load_b32 v12, v11
	s_waitcnt lgkmcnt(0)
	global_store_b32 v11, v12, s[6:7]
.LBB1593_244:
	s_or_b32 exec_lo, exec_lo, s5
.LBB1593_245:
	s_and_not1_saveexec_b32 s4, s4
	s_cbranch_execz .LBB1593_247
; %bb.246:
	v_lshlrev_b32_e32 v11, 2, v0
	v_readfirstlane_b32 s4, v7
	v_readfirstlane_b32 s5, v8
	ds_load_b32 v12, v11
	s_waitcnt lgkmcnt(0)
	global_store_b32 v11, v12, s[4:5]
.LBB1593_247:
	s_or_b32 exec_lo, exec_lo, s2
	v_or_b32_e32 v11, 0x100, v0
	s_mov_b32 s2, exec_lo
	s_delay_alu instid0(VALU_DEP_1)
	v_cmpx_gt_u32_e64 s3, v11
	s_cbranch_execz .LBB1593_256
; %bb.248:
	s_mov_b32 s4, exec_lo
	v_cmpx_le_u32_e64 v1, v11
	s_xor_b32 s4, exec_lo, s4
	s_cbranch_execz .LBB1593_254
; %bb.249:
	s_mov_b32 s5, exec_lo
	v_cmpx_le_u32_e64 v10, v11
	s_xor_b32 s5, exec_lo, s5
	s_cbranch_execz .LBB1593_251
; %bb.250:
	v_lshlrev_b32_e32 v11, 2, v0
	ds_load_b32 v13, v11 offset:1024
	v_add_co_u32 v11, vcc_lo, v3, v0
	v_add_co_ci_u32_e32 v12, vcc_lo, 0, v9, vcc_lo
	s_delay_alu instid0(VALU_DEP_1) | instskip(NEXT) | instid1(VALU_DEP_1)
	v_lshlrev_b64 v[11:12], 2, v[11:12]
	v_sub_co_u32 v11, vcc_lo, s1, v11
	s_delay_alu instid0(VALU_DEP_2)
	v_sub_co_ci_u32_e32 v12, vcc_lo, s0, v12, vcc_lo
	s_waitcnt lgkmcnt(0)
	global_store_b32 v[11:12], v13, off offset:-1024
.LBB1593_251:
	s_and_not1_saveexec_b32 s5, s5
	s_cbranch_execz .LBB1593_253
; %bb.252:
	v_lshlrev_b32_e32 v11, 2, v0
	v_readfirstlane_b32 s6, v5
	v_readfirstlane_b32 s7, v6
	ds_load_b32 v12, v11 offset:1024
	s_waitcnt lgkmcnt(0)
	global_store_b32 v11, v12, s[6:7] offset:1024
.LBB1593_253:
	s_or_b32 exec_lo, exec_lo, s5
.LBB1593_254:
	s_and_not1_saveexec_b32 s4, s4
	s_cbranch_execz .LBB1593_256
; %bb.255:
	v_lshlrev_b32_e32 v11, 2, v0
	v_readfirstlane_b32 s4, v7
	v_readfirstlane_b32 s5, v8
	ds_load_b32 v12, v11 offset:1024
	s_waitcnt lgkmcnt(0)
	global_store_b32 v11, v12, s[4:5] offset:1024
.LBB1593_256:
	s_or_b32 exec_lo, exec_lo, s2
	v_or_b32_e32 v11, 0x200, v0
	s_mov_b32 s2, exec_lo
	s_delay_alu instid0(VALU_DEP_1)
	v_cmpx_gt_u32_e64 s3, v11
	s_cbranch_execz .LBB1593_265
; %bb.257:
	s_mov_b32 s4, exec_lo
	v_cmpx_le_u32_e64 v1, v11
	s_xor_b32 s4, exec_lo, s4
	s_cbranch_execz .LBB1593_263
; %bb.258:
	s_mov_b32 s5, exec_lo
	v_cmpx_le_u32_e64 v10, v11
	s_xor_b32 s5, exec_lo, s5
	s_cbranch_execz .LBB1593_260
; %bb.259:
	v_lshlrev_b32_e32 v11, 2, v0
	ds_load_b32 v13, v11 offset:2048
	v_add_co_u32 v11, vcc_lo, v3, v0
	v_add_co_ci_u32_e32 v12, vcc_lo, 0, v9, vcc_lo
	s_delay_alu instid0(VALU_DEP_1) | instskip(NEXT) | instid1(VALU_DEP_1)
	v_lshlrev_b64 v[11:12], 2, v[11:12]
	v_sub_co_u32 v11, vcc_lo, s1, v11
	s_delay_alu instid0(VALU_DEP_2)
	v_sub_co_ci_u32_e32 v12, vcc_lo, s0, v12, vcc_lo
	s_waitcnt lgkmcnt(0)
	global_store_b32 v[11:12], v13, off offset:-2048
.LBB1593_260:
	s_and_not1_saveexec_b32 s5, s5
	s_cbranch_execz .LBB1593_262
; %bb.261:
	v_lshlrev_b32_e32 v11, 2, v0
	v_readfirstlane_b32 s6, v5
	v_readfirstlane_b32 s7, v6
	ds_load_b32 v12, v11 offset:2048
	s_waitcnt lgkmcnt(0)
	global_store_b32 v11, v12, s[6:7] offset:2048
.LBB1593_262:
	s_or_b32 exec_lo, exec_lo, s5
.LBB1593_263:
	s_and_not1_saveexec_b32 s4, s4
	s_cbranch_execz .LBB1593_265
; %bb.264:
	v_lshlrev_b32_e32 v11, 2, v0
	v_readfirstlane_b32 s4, v7
	v_readfirstlane_b32 s5, v8
	ds_load_b32 v12, v11 offset:2048
	s_waitcnt lgkmcnt(0)
	global_store_b32 v11, v12, s[4:5] offset:2048
.LBB1593_265:
	s_or_b32 exec_lo, exec_lo, s2
	v_or_b32_e32 v11, 0x300, v0
	s_mov_b32 s2, exec_lo
	s_delay_alu instid0(VALU_DEP_1)
	v_cmpx_gt_u32_e64 s3, v11
	s_cbranch_execz .LBB1593_274
; %bb.266:
	s_mov_b32 s4, exec_lo
	v_cmpx_le_u32_e64 v1, v11
	s_xor_b32 s4, exec_lo, s4
	s_cbranch_execz .LBB1593_272
; %bb.267:
	s_mov_b32 s5, exec_lo
	v_cmpx_le_u32_e64 v10, v11
	s_xor_b32 s5, exec_lo, s5
	s_cbranch_execz .LBB1593_269
; %bb.268:
	v_lshlrev_b32_e32 v11, 2, v0
	ds_load_b32 v13, v11 offset:3072
	v_add_co_u32 v11, vcc_lo, v3, v0
	v_add_co_ci_u32_e32 v12, vcc_lo, 0, v9, vcc_lo
	s_delay_alu instid0(VALU_DEP_1) | instskip(NEXT) | instid1(VALU_DEP_1)
	v_lshlrev_b64 v[11:12], 2, v[11:12]
	v_sub_co_u32 v11, vcc_lo, s1, v11
	s_delay_alu instid0(VALU_DEP_2)
	v_sub_co_ci_u32_e32 v12, vcc_lo, s0, v12, vcc_lo
	s_waitcnt lgkmcnt(0)
	global_store_b32 v[11:12], v13, off offset:-3072
.LBB1593_269:
	s_and_not1_saveexec_b32 s5, s5
	s_cbranch_execz .LBB1593_271
; %bb.270:
	v_lshlrev_b32_e32 v11, 2, v0
	v_readfirstlane_b32 s6, v5
	v_readfirstlane_b32 s7, v6
	ds_load_b32 v12, v11 offset:3072
	s_waitcnt lgkmcnt(0)
	global_store_b32 v11, v12, s[6:7] offset:3072
.LBB1593_271:
	s_or_b32 exec_lo, exec_lo, s5
.LBB1593_272:
	s_and_not1_saveexec_b32 s4, s4
	s_cbranch_execz .LBB1593_274
; %bb.273:
	v_lshlrev_b32_e32 v11, 2, v0
	v_readfirstlane_b32 s4, v7
	v_readfirstlane_b32 s5, v8
	ds_load_b32 v12, v11 offset:3072
	s_waitcnt lgkmcnt(0)
	global_store_b32 v11, v12, s[4:5] offset:3072
.LBB1593_274:
	s_or_b32 exec_lo, exec_lo, s2
	v_or_b32_e32 v11, 0x400, v0
	s_mov_b32 s2, exec_lo
	s_delay_alu instid0(VALU_DEP_1)
	v_cmpx_gt_u32_e64 s3, v11
	s_cbranch_execz .LBB1593_283
; %bb.275:
	s_mov_b32 s4, exec_lo
	v_cmpx_le_u32_e64 v1, v11
	s_xor_b32 s4, exec_lo, s4
	s_cbranch_execz .LBB1593_281
; %bb.276:
	s_mov_b32 s5, exec_lo
	v_cmpx_le_u32_e64 v10, v11
	s_xor_b32 s5, exec_lo, s5
	s_cbranch_execz .LBB1593_278
; %bb.277:
	v_lshlrev_b32_e32 v11, 2, v0
	ds_load_b32 v13, v11 offset:4096
	v_add_co_u32 v11, vcc_lo, v3, v0
	v_add_co_ci_u32_e32 v12, vcc_lo, 0, v9, vcc_lo
	s_delay_alu instid0(VALU_DEP_1) | instskip(NEXT) | instid1(VALU_DEP_1)
	v_lshlrev_b64 v[11:12], 2, v[11:12]
	v_sub_co_u32 v11, vcc_lo, s1, v11
	s_delay_alu instid0(VALU_DEP_2)
	v_sub_co_ci_u32_e32 v12, vcc_lo, s0, v12, vcc_lo
	s_waitcnt lgkmcnt(0)
	global_store_b32 v[11:12], v13, off offset:-4096
                                        ; implicit-def: $vgpr11
.LBB1593_278:
	s_and_not1_saveexec_b32 s5, s5
	s_cbranch_execz .LBB1593_280
; %bb.279:
	v_lshlrev_b32_e32 v12, 2, v0
	v_lshlrev_b32_e32 v11, 2, v11
	v_readfirstlane_b32 s6, v5
	v_readfirstlane_b32 s7, v6
	ds_load_b32 v12, v12 offset:4096
	s_waitcnt lgkmcnt(0)
	global_store_b32 v11, v12, s[6:7]
.LBB1593_280:
	s_or_b32 exec_lo, exec_lo, s5
                                        ; implicit-def: $vgpr11
.LBB1593_281:
	s_and_not1_saveexec_b32 s4, s4
	s_cbranch_execz .LBB1593_283
; %bb.282:
	v_lshlrev_b32_e32 v12, 2, v0
	v_lshlrev_b32_e32 v11, 2, v11
	v_readfirstlane_b32 s4, v7
	v_readfirstlane_b32 s5, v8
	ds_load_b32 v12, v12 offset:4096
	s_waitcnt lgkmcnt(0)
	global_store_b32 v11, v12, s[4:5]
.LBB1593_283:
	s_or_b32 exec_lo, exec_lo, s2
	v_or_b32_e32 v11, 0x500, v0
	s_mov_b32 s2, exec_lo
	s_delay_alu instid0(VALU_DEP_1)
	v_cmpx_gt_u32_e64 s3, v11
	s_cbranch_execz .LBB1593_292
; %bb.284:
	s_mov_b32 s4, exec_lo
	v_cmpx_le_u32_e64 v1, v11
	s_xor_b32 s4, exec_lo, s4
	s_cbranch_execz .LBB1593_290
; %bb.285:
	s_mov_b32 s5, exec_lo
	v_cmpx_le_u32_e64 v10, v11
	s_xor_b32 s5, exec_lo, s5
	s_cbranch_execz .LBB1593_287
; %bb.286:
	v_lshlrev_b32_e32 v12, 2, v0
	v_add_co_u32 v11, vcc_lo, v3, v11
	ds_load_b32 v13, v12 offset:5120
	v_add_co_ci_u32_e32 v12, vcc_lo, 0, v9, vcc_lo
	s_delay_alu instid0(VALU_DEP_1) | instskip(NEXT) | instid1(VALU_DEP_1)
	v_lshlrev_b64 v[11:12], 2, v[11:12]
	v_sub_co_u32 v11, vcc_lo, s1, v11
	s_delay_alu instid0(VALU_DEP_2)
	v_sub_co_ci_u32_e32 v12, vcc_lo, s0, v12, vcc_lo
	s_waitcnt lgkmcnt(0)
	global_store_b32 v[11:12], v13, off
                                        ; implicit-def: $vgpr11
.LBB1593_287:
	s_and_not1_saveexec_b32 s5, s5
	s_cbranch_execz .LBB1593_289
; %bb.288:
	v_lshlrev_b32_e32 v12, 2, v0
	v_lshlrev_b32_e32 v11, 2, v11
	v_readfirstlane_b32 s6, v5
	v_readfirstlane_b32 s7, v6
	ds_load_b32 v12, v12 offset:5120
	s_waitcnt lgkmcnt(0)
	global_store_b32 v11, v12, s[6:7]
.LBB1593_289:
	s_or_b32 exec_lo, exec_lo, s5
                                        ; implicit-def: $vgpr11
.LBB1593_290:
	s_and_not1_saveexec_b32 s4, s4
	s_cbranch_execz .LBB1593_292
; %bb.291:
	v_lshlrev_b32_e32 v12, 2, v0
	v_lshlrev_b32_e32 v11, 2, v11
	v_readfirstlane_b32 s4, v7
	v_readfirstlane_b32 s5, v8
	ds_load_b32 v12, v12 offset:5120
	s_waitcnt lgkmcnt(0)
	global_store_b32 v11, v12, s[4:5]
.LBB1593_292:
	s_or_b32 exec_lo, exec_lo, s2
	v_or_b32_e32 v11, 0x600, v0
	s_mov_b32 s2, exec_lo
	s_delay_alu instid0(VALU_DEP_1)
	v_cmpx_gt_u32_e64 s3, v11
	s_cbranch_execz .LBB1593_301
; %bb.293:
	s_mov_b32 s4, exec_lo
	v_cmpx_le_u32_e64 v1, v11
	s_xor_b32 s4, exec_lo, s4
	s_cbranch_execz .LBB1593_299
; %bb.294:
	s_mov_b32 s5, exec_lo
	v_cmpx_le_u32_e64 v10, v11
	s_xor_b32 s5, exec_lo, s5
	s_cbranch_execz .LBB1593_296
; %bb.295:
	v_lshlrev_b32_e32 v12, 2, v0
	v_add_co_u32 v11, vcc_lo, v3, v11
	ds_load_b32 v13, v12 offset:6144
	v_add_co_ci_u32_e32 v12, vcc_lo, 0, v9, vcc_lo
	s_delay_alu instid0(VALU_DEP_1) | instskip(NEXT) | instid1(VALU_DEP_1)
	v_lshlrev_b64 v[11:12], 2, v[11:12]
	v_sub_co_u32 v11, vcc_lo, s1, v11
	s_delay_alu instid0(VALU_DEP_2)
	v_sub_co_ci_u32_e32 v12, vcc_lo, s0, v12, vcc_lo
	s_waitcnt lgkmcnt(0)
	global_store_b32 v[11:12], v13, off
                                        ; implicit-def: $vgpr11
.LBB1593_296:
	s_and_not1_saveexec_b32 s5, s5
	s_cbranch_execz .LBB1593_298
; %bb.297:
	v_lshlrev_b32_e32 v12, 2, v0
	v_lshlrev_b32_e32 v11, 2, v11
	v_readfirstlane_b32 s6, v5
	v_readfirstlane_b32 s7, v6
	ds_load_b32 v12, v12 offset:6144
	s_waitcnt lgkmcnt(0)
	global_store_b32 v11, v12, s[6:7]
.LBB1593_298:
	s_or_b32 exec_lo, exec_lo, s5
                                        ; implicit-def: $vgpr11
.LBB1593_299:
	s_and_not1_saveexec_b32 s4, s4
	s_cbranch_execz .LBB1593_301
; %bb.300:
	v_lshlrev_b32_e32 v12, 2, v0
	v_lshlrev_b32_e32 v11, 2, v11
	v_readfirstlane_b32 s4, v7
	v_readfirstlane_b32 s5, v8
	ds_load_b32 v12, v12 offset:6144
	s_waitcnt lgkmcnt(0)
	global_store_b32 v11, v12, s[4:5]
.LBB1593_301:
	;; [unrolled: 55-line block ×7, first 2 shown]
	s_or_b32 exec_lo, exec_lo, s2
	v_or_b32_e32 v11, 0xc00, v0
	s_mov_b32 s2, exec_lo
	s_delay_alu instid0(VALU_DEP_1)
	v_cmpx_gt_u32_e64 s3, v11
	s_cbranch_execz .LBB1593_355
; %bb.347:
	s_mov_b32 s3, exec_lo
	v_cmpx_le_u32_e64 v1, v11
	s_xor_b32 s3, exec_lo, s3
	s_cbranch_execz .LBB1593_353
; %bb.348:
	s_mov_b32 s4, exec_lo
	v_cmpx_le_u32_e64 v10, v11
	s_xor_b32 s4, exec_lo, s4
	s_cbranch_execz .LBB1593_350
; %bb.349:
	v_lshlrev_b32_e32 v5, 2, v0
	ds_load_b32 v7, v5 offset:12288
	v_add_co_u32 v5, vcc_lo, v3, v11
	v_add_co_ci_u32_e32 v6, vcc_lo, 0, v9, vcc_lo
                                        ; implicit-def: $vgpr11
	s_delay_alu instid0(VALU_DEP_1) | instskip(NEXT) | instid1(VALU_DEP_1)
	v_lshlrev_b64 v[5:6], 2, v[5:6]
	v_sub_co_u32 v5, vcc_lo, s1, v5
	s_delay_alu instid0(VALU_DEP_2)
	v_sub_co_ci_u32_e32 v6, vcc_lo, s0, v6, vcc_lo
	s_waitcnt lgkmcnt(0)
	global_store_b32 v[5:6], v7, off
                                        ; implicit-def: $vgpr5_vgpr6
.LBB1593_350:
	s_and_not1_saveexec_b32 s0, s4
	s_cbranch_execz .LBB1593_352
; %bb.351:
	v_lshlrev_b32_e32 v3, 2, v0
	v_lshlrev_b32_e32 v7, 2, v11
	v_readfirstlane_b32 s4, v5
	v_readfirstlane_b32 s5, v6
	ds_load_b32 v3, v3 offset:12288
	s_waitcnt lgkmcnt(0)
	global_store_b32 v7, v3, s[4:5]
.LBB1593_352:
	s_or_b32 exec_lo, exec_lo, s0
                                        ; implicit-def: $vgpr11
                                        ; implicit-def: $vgpr7_vgpr8
.LBB1593_353:
	s_and_not1_saveexec_b32 s0, s3
	s_cbranch_execz .LBB1593_355
; %bb.354:
	v_lshlrev_b32_e32 v3, 2, v0
	v_lshlrev_b32_e32 v5, 2, v11
	v_readfirstlane_b32 s0, v7
	v_readfirstlane_b32 s1, v8
	ds_load_b32 v3, v3 offset:12288
	s_waitcnt lgkmcnt(0)
	global_store_b32 v5, v3, s[0:1]
.LBB1593_355:
	s_or_b32 exec_lo, exec_lo, s2
	v_cmp_eq_u32_e32 vcc_lo, 0, v0
	s_and_b32 s0, vcc_lo, s14
	s_delay_alu instid0(SALU_CYCLE_1)
	s_and_saveexec_b32 s1, s0
	s_cbranch_execz .LBB1593_132
.LBB1593_356:
	v_add_co_u32 v2, s0, s30, v2
	s_delay_alu instid0(VALU_DEP_1) | instskip(SKIP_2) | instid1(VALU_DEP_4)
	v_add_co_ci_u32_e64 v3, null, s31, 0, s0
	v_add_co_u32 v0, vcc_lo, v18, v1
	v_add_co_ci_u32_e32 v1, vcc_lo, 0, v19, vcc_lo
	v_add_co_u32 v2, vcc_lo, v2, v4
	v_mov_b32_e32 v5, 0
	v_add_co_ci_u32_e32 v3, vcc_lo, 0, v3, vcc_lo
	global_store_b128 v5, v[0:3], s[24:25]
	s_nop 0
	s_sendmsg sendmsg(MSG_DEALLOC_VGPRS)
	s_endpgm
.LBB1593_357:
	v_add_nc_u32_e32 v3, s7, v23
	s_add_i32 s10, s15, 32
	s_mov_b32 s11, 0
	v_dual_mov_b32 v5, 0 :: v_dual_add_nc_u32 v2, v22, v1
	s_lshl_b64 s[10:11], s[10:11], 4
	v_and_b32_e32 v20, 0xff0000, v3
	s_add_u32 s10, s4, s10
	s_addc_u32 s11, s5, s11
	v_and_b32_e32 v4, 0xff000000, v3
	s_delay_alu instid0(VALU_DEP_1) | instskip(SKIP_2) | instid1(VALU_DEP_1)
	v_or_b32_e32 v20, v20, v4
	v_dual_mov_b32 v4, 2 :: v_dual_and_b32 v21, 0xff00, v3
	v_and_b32_e32 v3, 0xff, v3
	v_or3_b32 v3, v20, v21, v3
	v_dual_mov_b32 v21, s11 :: v_dual_mov_b32 v20, s10
	;;#ASMSTART
	global_store_dwordx4 v[20:21], v[2:5] off	
s_waitcnt vmcnt(0)
	;;#ASMEND
	s_or_b32 exec_lo, exec_lo, s8
	s_and_saveexec_b32 s8, s2
	s_cbranch_execz .LBB1593_116
.LBB1593_358:
	v_mov_b32_e32 v2, s7
	v_add_nc_u32_e64 v3, 0x3400, 0
	ds_store_2addr_b32 v3, v1, v2 offset1:2
	ds_store_2addr_b32 v3, v22, v23 offset0:4 offset1:6
	s_or_b32 exec_lo, exec_lo, s8
	v_cmp_eq_u32_e32 vcc_lo, 0, v0
	s_and_b32 exec_lo, exec_lo, vcc_lo
	s_cbranch_execnz .LBB1593_117
	s_branch .LBB1593_118
	.section	.rodata,"a",@progbits
	.p2align	6, 0x0
	.amdhsa_kernel _ZN7rocprim17ROCPRIM_400000_NS6detail17trampoline_kernelINS0_13select_configILj256ELj13ELNS0_17block_load_methodE3ELS4_3ELS4_3ELNS0_20block_scan_algorithmE0ELj4294967295EEENS1_25partition_config_selectorILNS1_17partition_subalgoE4EjNS0_10empty_typeEbEEZZNS1_14partition_implILS8_4ELb0ES6_15HIP_vector_typeIjLj2EENS0_17counting_iteratorIjlEEPS9_SG_NS0_5tupleIJPjSI_NS0_16reverse_iteratorISI_EEEEENSH_IJSG_SG_SG_EEES9_SI_JZNS1_25segmented_radix_sort_implINS0_14default_configELb0EPKbPbPKlPlN2at6native12_GLOBAL__N_18offset_tEEE10hipError_tPvRmT1_PNSt15iterator_traitsIS12_E10value_typeET2_T3_PNS13_IS18_E10value_typeET4_jRbjT5_S1E_jjP12ihipStream_tbEUljE_ZNSN_ISO_Lb0ESQ_SR_ST_SU_SY_EESZ_S10_S11_S12_S16_S17_S18_S1B_S1C_jS1D_jS1E_S1E_jjS1G_bEUljE0_EEESZ_S10_S11_S18_S1C_S1E_T6_T7_T9_mT8_S1G_bDpT10_ENKUlT_T0_E_clISt17integral_constantIbLb1EES1T_IbLb0EEEEDaS1P_S1Q_EUlS1P_E_NS1_11comp_targetILNS1_3genE9ELNS1_11target_archE1100ELNS1_3gpuE3ELNS1_3repE0EEENS1_30default_config_static_selectorELNS0_4arch9wavefront6targetE0EEEvS12_
		.amdhsa_group_segment_fixed_size 13340
		.amdhsa_private_segment_fixed_size 0
		.amdhsa_kernarg_size 176
		.amdhsa_user_sgpr_count 15
		.amdhsa_user_sgpr_dispatch_ptr 0
		.amdhsa_user_sgpr_queue_ptr 0
		.amdhsa_user_sgpr_kernarg_segment_ptr 1
		.amdhsa_user_sgpr_dispatch_id 0
		.amdhsa_user_sgpr_private_segment_size 0
		.amdhsa_wavefront_size32 1
		.amdhsa_uses_dynamic_stack 0
		.amdhsa_enable_private_segment 0
		.amdhsa_system_sgpr_workgroup_id_x 1
		.amdhsa_system_sgpr_workgroup_id_y 0
		.amdhsa_system_sgpr_workgroup_id_z 0
		.amdhsa_system_sgpr_workgroup_info 0
		.amdhsa_system_vgpr_workitem_id 0
		.amdhsa_next_free_vgpr 98
		.amdhsa_next_free_sgpr 59
		.amdhsa_reserve_vcc 1
		.amdhsa_float_round_mode_32 0
		.amdhsa_float_round_mode_16_64 0
		.amdhsa_float_denorm_mode_32 3
		.amdhsa_float_denorm_mode_16_64 3
		.amdhsa_dx10_clamp 1
		.amdhsa_ieee_mode 1
		.amdhsa_fp16_overflow 0
		.amdhsa_workgroup_processor_mode 1
		.amdhsa_memory_ordered 1
		.amdhsa_forward_progress 0
		.amdhsa_shared_vgpr_count 0
		.amdhsa_exception_fp_ieee_invalid_op 0
		.amdhsa_exception_fp_denorm_src 0
		.amdhsa_exception_fp_ieee_div_zero 0
		.amdhsa_exception_fp_ieee_overflow 0
		.amdhsa_exception_fp_ieee_underflow 0
		.amdhsa_exception_fp_ieee_inexact 0
		.amdhsa_exception_int_div_zero 0
	.end_amdhsa_kernel
	.section	.text._ZN7rocprim17ROCPRIM_400000_NS6detail17trampoline_kernelINS0_13select_configILj256ELj13ELNS0_17block_load_methodE3ELS4_3ELS4_3ELNS0_20block_scan_algorithmE0ELj4294967295EEENS1_25partition_config_selectorILNS1_17partition_subalgoE4EjNS0_10empty_typeEbEEZZNS1_14partition_implILS8_4ELb0ES6_15HIP_vector_typeIjLj2EENS0_17counting_iteratorIjlEEPS9_SG_NS0_5tupleIJPjSI_NS0_16reverse_iteratorISI_EEEEENSH_IJSG_SG_SG_EEES9_SI_JZNS1_25segmented_radix_sort_implINS0_14default_configELb0EPKbPbPKlPlN2at6native12_GLOBAL__N_18offset_tEEE10hipError_tPvRmT1_PNSt15iterator_traitsIS12_E10value_typeET2_T3_PNS13_IS18_E10value_typeET4_jRbjT5_S1E_jjP12ihipStream_tbEUljE_ZNSN_ISO_Lb0ESQ_SR_ST_SU_SY_EESZ_S10_S11_S12_S16_S17_S18_S1B_S1C_jS1D_jS1E_S1E_jjS1G_bEUljE0_EEESZ_S10_S11_S18_S1C_S1E_T6_T7_T9_mT8_S1G_bDpT10_ENKUlT_T0_E_clISt17integral_constantIbLb1EES1T_IbLb0EEEEDaS1P_S1Q_EUlS1P_E_NS1_11comp_targetILNS1_3genE9ELNS1_11target_archE1100ELNS1_3gpuE3ELNS1_3repE0EEENS1_30default_config_static_selectorELNS0_4arch9wavefront6targetE0EEEvS12_,"axG",@progbits,_ZN7rocprim17ROCPRIM_400000_NS6detail17trampoline_kernelINS0_13select_configILj256ELj13ELNS0_17block_load_methodE3ELS4_3ELS4_3ELNS0_20block_scan_algorithmE0ELj4294967295EEENS1_25partition_config_selectorILNS1_17partition_subalgoE4EjNS0_10empty_typeEbEEZZNS1_14partition_implILS8_4ELb0ES6_15HIP_vector_typeIjLj2EENS0_17counting_iteratorIjlEEPS9_SG_NS0_5tupleIJPjSI_NS0_16reverse_iteratorISI_EEEEENSH_IJSG_SG_SG_EEES9_SI_JZNS1_25segmented_radix_sort_implINS0_14default_configELb0EPKbPbPKlPlN2at6native12_GLOBAL__N_18offset_tEEE10hipError_tPvRmT1_PNSt15iterator_traitsIS12_E10value_typeET2_T3_PNS13_IS18_E10value_typeET4_jRbjT5_S1E_jjP12ihipStream_tbEUljE_ZNSN_ISO_Lb0ESQ_SR_ST_SU_SY_EESZ_S10_S11_S12_S16_S17_S18_S1B_S1C_jS1D_jS1E_S1E_jjS1G_bEUljE0_EEESZ_S10_S11_S18_S1C_S1E_T6_T7_T9_mT8_S1G_bDpT10_ENKUlT_T0_E_clISt17integral_constantIbLb1EES1T_IbLb0EEEEDaS1P_S1Q_EUlS1P_E_NS1_11comp_targetILNS1_3genE9ELNS1_11target_archE1100ELNS1_3gpuE3ELNS1_3repE0EEENS1_30default_config_static_selectorELNS0_4arch9wavefront6targetE0EEEvS12_,comdat
.Lfunc_end1593:
	.size	_ZN7rocprim17ROCPRIM_400000_NS6detail17trampoline_kernelINS0_13select_configILj256ELj13ELNS0_17block_load_methodE3ELS4_3ELS4_3ELNS0_20block_scan_algorithmE0ELj4294967295EEENS1_25partition_config_selectorILNS1_17partition_subalgoE4EjNS0_10empty_typeEbEEZZNS1_14partition_implILS8_4ELb0ES6_15HIP_vector_typeIjLj2EENS0_17counting_iteratorIjlEEPS9_SG_NS0_5tupleIJPjSI_NS0_16reverse_iteratorISI_EEEEENSH_IJSG_SG_SG_EEES9_SI_JZNS1_25segmented_radix_sort_implINS0_14default_configELb0EPKbPbPKlPlN2at6native12_GLOBAL__N_18offset_tEEE10hipError_tPvRmT1_PNSt15iterator_traitsIS12_E10value_typeET2_T3_PNS13_IS18_E10value_typeET4_jRbjT5_S1E_jjP12ihipStream_tbEUljE_ZNSN_ISO_Lb0ESQ_SR_ST_SU_SY_EESZ_S10_S11_S12_S16_S17_S18_S1B_S1C_jS1D_jS1E_S1E_jjS1G_bEUljE0_EEESZ_S10_S11_S18_S1C_S1E_T6_T7_T9_mT8_S1G_bDpT10_ENKUlT_T0_E_clISt17integral_constantIbLb1EES1T_IbLb0EEEEDaS1P_S1Q_EUlS1P_E_NS1_11comp_targetILNS1_3genE9ELNS1_11target_archE1100ELNS1_3gpuE3ELNS1_3repE0EEENS1_30default_config_static_selectorELNS0_4arch9wavefront6targetE0EEEvS12_, .Lfunc_end1593-_ZN7rocprim17ROCPRIM_400000_NS6detail17trampoline_kernelINS0_13select_configILj256ELj13ELNS0_17block_load_methodE3ELS4_3ELS4_3ELNS0_20block_scan_algorithmE0ELj4294967295EEENS1_25partition_config_selectorILNS1_17partition_subalgoE4EjNS0_10empty_typeEbEEZZNS1_14partition_implILS8_4ELb0ES6_15HIP_vector_typeIjLj2EENS0_17counting_iteratorIjlEEPS9_SG_NS0_5tupleIJPjSI_NS0_16reverse_iteratorISI_EEEEENSH_IJSG_SG_SG_EEES9_SI_JZNS1_25segmented_radix_sort_implINS0_14default_configELb0EPKbPbPKlPlN2at6native12_GLOBAL__N_18offset_tEEE10hipError_tPvRmT1_PNSt15iterator_traitsIS12_E10value_typeET2_T3_PNS13_IS18_E10value_typeET4_jRbjT5_S1E_jjP12ihipStream_tbEUljE_ZNSN_ISO_Lb0ESQ_SR_ST_SU_SY_EESZ_S10_S11_S12_S16_S17_S18_S1B_S1C_jS1D_jS1E_S1E_jjS1G_bEUljE0_EEESZ_S10_S11_S18_S1C_S1E_T6_T7_T9_mT8_S1G_bDpT10_ENKUlT_T0_E_clISt17integral_constantIbLb1EES1T_IbLb0EEEEDaS1P_S1Q_EUlS1P_E_NS1_11comp_targetILNS1_3genE9ELNS1_11target_archE1100ELNS1_3gpuE3ELNS1_3repE0EEENS1_30default_config_static_selectorELNS0_4arch9wavefront6targetE0EEEvS12_
                                        ; -- End function
	.section	.AMDGPU.csdata,"",@progbits
; Kernel info:
; codeLenInByte = 15084
; NumSgprs: 61
; NumVgprs: 98
; ScratchSize: 0
; MemoryBound: 0
; FloatMode: 240
; IeeeMode: 1
; LDSByteSize: 13340 bytes/workgroup (compile time only)
; SGPRBlocks: 7
; VGPRBlocks: 12
; NumSGPRsForWavesPerEU: 61
; NumVGPRsForWavesPerEU: 98
; Occupancy: 12
; WaveLimiterHint : 1
; COMPUTE_PGM_RSRC2:SCRATCH_EN: 0
; COMPUTE_PGM_RSRC2:USER_SGPR: 15
; COMPUTE_PGM_RSRC2:TRAP_HANDLER: 0
; COMPUTE_PGM_RSRC2:TGID_X_EN: 1
; COMPUTE_PGM_RSRC2:TGID_Y_EN: 0
; COMPUTE_PGM_RSRC2:TGID_Z_EN: 0
; COMPUTE_PGM_RSRC2:TIDIG_COMP_CNT: 0
	.section	.text._ZN7rocprim17ROCPRIM_400000_NS6detail17trampoline_kernelINS0_13select_configILj256ELj13ELNS0_17block_load_methodE3ELS4_3ELS4_3ELNS0_20block_scan_algorithmE0ELj4294967295EEENS1_25partition_config_selectorILNS1_17partition_subalgoE4EjNS0_10empty_typeEbEEZZNS1_14partition_implILS8_4ELb0ES6_15HIP_vector_typeIjLj2EENS0_17counting_iteratorIjlEEPS9_SG_NS0_5tupleIJPjSI_NS0_16reverse_iteratorISI_EEEEENSH_IJSG_SG_SG_EEES9_SI_JZNS1_25segmented_radix_sort_implINS0_14default_configELb0EPKbPbPKlPlN2at6native12_GLOBAL__N_18offset_tEEE10hipError_tPvRmT1_PNSt15iterator_traitsIS12_E10value_typeET2_T3_PNS13_IS18_E10value_typeET4_jRbjT5_S1E_jjP12ihipStream_tbEUljE_ZNSN_ISO_Lb0ESQ_SR_ST_SU_SY_EESZ_S10_S11_S12_S16_S17_S18_S1B_S1C_jS1D_jS1E_S1E_jjS1G_bEUljE0_EEESZ_S10_S11_S18_S1C_S1E_T6_T7_T9_mT8_S1G_bDpT10_ENKUlT_T0_E_clISt17integral_constantIbLb1EES1T_IbLb0EEEEDaS1P_S1Q_EUlS1P_E_NS1_11comp_targetILNS1_3genE8ELNS1_11target_archE1030ELNS1_3gpuE2ELNS1_3repE0EEENS1_30default_config_static_selectorELNS0_4arch9wavefront6targetE0EEEvS12_,"axG",@progbits,_ZN7rocprim17ROCPRIM_400000_NS6detail17trampoline_kernelINS0_13select_configILj256ELj13ELNS0_17block_load_methodE3ELS4_3ELS4_3ELNS0_20block_scan_algorithmE0ELj4294967295EEENS1_25partition_config_selectorILNS1_17partition_subalgoE4EjNS0_10empty_typeEbEEZZNS1_14partition_implILS8_4ELb0ES6_15HIP_vector_typeIjLj2EENS0_17counting_iteratorIjlEEPS9_SG_NS0_5tupleIJPjSI_NS0_16reverse_iteratorISI_EEEEENSH_IJSG_SG_SG_EEES9_SI_JZNS1_25segmented_radix_sort_implINS0_14default_configELb0EPKbPbPKlPlN2at6native12_GLOBAL__N_18offset_tEEE10hipError_tPvRmT1_PNSt15iterator_traitsIS12_E10value_typeET2_T3_PNS13_IS18_E10value_typeET4_jRbjT5_S1E_jjP12ihipStream_tbEUljE_ZNSN_ISO_Lb0ESQ_SR_ST_SU_SY_EESZ_S10_S11_S12_S16_S17_S18_S1B_S1C_jS1D_jS1E_S1E_jjS1G_bEUljE0_EEESZ_S10_S11_S18_S1C_S1E_T6_T7_T9_mT8_S1G_bDpT10_ENKUlT_T0_E_clISt17integral_constantIbLb1EES1T_IbLb0EEEEDaS1P_S1Q_EUlS1P_E_NS1_11comp_targetILNS1_3genE8ELNS1_11target_archE1030ELNS1_3gpuE2ELNS1_3repE0EEENS1_30default_config_static_selectorELNS0_4arch9wavefront6targetE0EEEvS12_,comdat
	.globl	_ZN7rocprim17ROCPRIM_400000_NS6detail17trampoline_kernelINS0_13select_configILj256ELj13ELNS0_17block_load_methodE3ELS4_3ELS4_3ELNS0_20block_scan_algorithmE0ELj4294967295EEENS1_25partition_config_selectorILNS1_17partition_subalgoE4EjNS0_10empty_typeEbEEZZNS1_14partition_implILS8_4ELb0ES6_15HIP_vector_typeIjLj2EENS0_17counting_iteratorIjlEEPS9_SG_NS0_5tupleIJPjSI_NS0_16reverse_iteratorISI_EEEEENSH_IJSG_SG_SG_EEES9_SI_JZNS1_25segmented_radix_sort_implINS0_14default_configELb0EPKbPbPKlPlN2at6native12_GLOBAL__N_18offset_tEEE10hipError_tPvRmT1_PNSt15iterator_traitsIS12_E10value_typeET2_T3_PNS13_IS18_E10value_typeET4_jRbjT5_S1E_jjP12ihipStream_tbEUljE_ZNSN_ISO_Lb0ESQ_SR_ST_SU_SY_EESZ_S10_S11_S12_S16_S17_S18_S1B_S1C_jS1D_jS1E_S1E_jjS1G_bEUljE0_EEESZ_S10_S11_S18_S1C_S1E_T6_T7_T9_mT8_S1G_bDpT10_ENKUlT_T0_E_clISt17integral_constantIbLb1EES1T_IbLb0EEEEDaS1P_S1Q_EUlS1P_E_NS1_11comp_targetILNS1_3genE8ELNS1_11target_archE1030ELNS1_3gpuE2ELNS1_3repE0EEENS1_30default_config_static_selectorELNS0_4arch9wavefront6targetE0EEEvS12_ ; -- Begin function _ZN7rocprim17ROCPRIM_400000_NS6detail17trampoline_kernelINS0_13select_configILj256ELj13ELNS0_17block_load_methodE3ELS4_3ELS4_3ELNS0_20block_scan_algorithmE0ELj4294967295EEENS1_25partition_config_selectorILNS1_17partition_subalgoE4EjNS0_10empty_typeEbEEZZNS1_14partition_implILS8_4ELb0ES6_15HIP_vector_typeIjLj2EENS0_17counting_iteratorIjlEEPS9_SG_NS0_5tupleIJPjSI_NS0_16reverse_iteratorISI_EEEEENSH_IJSG_SG_SG_EEES9_SI_JZNS1_25segmented_radix_sort_implINS0_14default_configELb0EPKbPbPKlPlN2at6native12_GLOBAL__N_18offset_tEEE10hipError_tPvRmT1_PNSt15iterator_traitsIS12_E10value_typeET2_T3_PNS13_IS18_E10value_typeET4_jRbjT5_S1E_jjP12ihipStream_tbEUljE_ZNSN_ISO_Lb0ESQ_SR_ST_SU_SY_EESZ_S10_S11_S12_S16_S17_S18_S1B_S1C_jS1D_jS1E_S1E_jjS1G_bEUljE0_EEESZ_S10_S11_S18_S1C_S1E_T6_T7_T9_mT8_S1G_bDpT10_ENKUlT_T0_E_clISt17integral_constantIbLb1EES1T_IbLb0EEEEDaS1P_S1Q_EUlS1P_E_NS1_11comp_targetILNS1_3genE8ELNS1_11target_archE1030ELNS1_3gpuE2ELNS1_3repE0EEENS1_30default_config_static_selectorELNS0_4arch9wavefront6targetE0EEEvS12_
	.p2align	8
	.type	_ZN7rocprim17ROCPRIM_400000_NS6detail17trampoline_kernelINS0_13select_configILj256ELj13ELNS0_17block_load_methodE3ELS4_3ELS4_3ELNS0_20block_scan_algorithmE0ELj4294967295EEENS1_25partition_config_selectorILNS1_17partition_subalgoE4EjNS0_10empty_typeEbEEZZNS1_14partition_implILS8_4ELb0ES6_15HIP_vector_typeIjLj2EENS0_17counting_iteratorIjlEEPS9_SG_NS0_5tupleIJPjSI_NS0_16reverse_iteratorISI_EEEEENSH_IJSG_SG_SG_EEES9_SI_JZNS1_25segmented_radix_sort_implINS0_14default_configELb0EPKbPbPKlPlN2at6native12_GLOBAL__N_18offset_tEEE10hipError_tPvRmT1_PNSt15iterator_traitsIS12_E10value_typeET2_T3_PNS13_IS18_E10value_typeET4_jRbjT5_S1E_jjP12ihipStream_tbEUljE_ZNSN_ISO_Lb0ESQ_SR_ST_SU_SY_EESZ_S10_S11_S12_S16_S17_S18_S1B_S1C_jS1D_jS1E_S1E_jjS1G_bEUljE0_EEESZ_S10_S11_S18_S1C_S1E_T6_T7_T9_mT8_S1G_bDpT10_ENKUlT_T0_E_clISt17integral_constantIbLb1EES1T_IbLb0EEEEDaS1P_S1Q_EUlS1P_E_NS1_11comp_targetILNS1_3genE8ELNS1_11target_archE1030ELNS1_3gpuE2ELNS1_3repE0EEENS1_30default_config_static_selectorELNS0_4arch9wavefront6targetE0EEEvS12_,@function
_ZN7rocprim17ROCPRIM_400000_NS6detail17trampoline_kernelINS0_13select_configILj256ELj13ELNS0_17block_load_methodE3ELS4_3ELS4_3ELNS0_20block_scan_algorithmE0ELj4294967295EEENS1_25partition_config_selectorILNS1_17partition_subalgoE4EjNS0_10empty_typeEbEEZZNS1_14partition_implILS8_4ELb0ES6_15HIP_vector_typeIjLj2EENS0_17counting_iteratorIjlEEPS9_SG_NS0_5tupleIJPjSI_NS0_16reverse_iteratorISI_EEEEENSH_IJSG_SG_SG_EEES9_SI_JZNS1_25segmented_radix_sort_implINS0_14default_configELb0EPKbPbPKlPlN2at6native12_GLOBAL__N_18offset_tEEE10hipError_tPvRmT1_PNSt15iterator_traitsIS12_E10value_typeET2_T3_PNS13_IS18_E10value_typeET4_jRbjT5_S1E_jjP12ihipStream_tbEUljE_ZNSN_ISO_Lb0ESQ_SR_ST_SU_SY_EESZ_S10_S11_S12_S16_S17_S18_S1B_S1C_jS1D_jS1E_S1E_jjS1G_bEUljE0_EEESZ_S10_S11_S18_S1C_S1E_T6_T7_T9_mT8_S1G_bDpT10_ENKUlT_T0_E_clISt17integral_constantIbLb1EES1T_IbLb0EEEEDaS1P_S1Q_EUlS1P_E_NS1_11comp_targetILNS1_3genE8ELNS1_11target_archE1030ELNS1_3gpuE2ELNS1_3repE0EEENS1_30default_config_static_selectorELNS0_4arch9wavefront6targetE0EEEvS12_: ; @_ZN7rocprim17ROCPRIM_400000_NS6detail17trampoline_kernelINS0_13select_configILj256ELj13ELNS0_17block_load_methodE3ELS4_3ELS4_3ELNS0_20block_scan_algorithmE0ELj4294967295EEENS1_25partition_config_selectorILNS1_17partition_subalgoE4EjNS0_10empty_typeEbEEZZNS1_14partition_implILS8_4ELb0ES6_15HIP_vector_typeIjLj2EENS0_17counting_iteratorIjlEEPS9_SG_NS0_5tupleIJPjSI_NS0_16reverse_iteratorISI_EEEEENSH_IJSG_SG_SG_EEES9_SI_JZNS1_25segmented_radix_sort_implINS0_14default_configELb0EPKbPbPKlPlN2at6native12_GLOBAL__N_18offset_tEEE10hipError_tPvRmT1_PNSt15iterator_traitsIS12_E10value_typeET2_T3_PNS13_IS18_E10value_typeET4_jRbjT5_S1E_jjP12ihipStream_tbEUljE_ZNSN_ISO_Lb0ESQ_SR_ST_SU_SY_EESZ_S10_S11_S12_S16_S17_S18_S1B_S1C_jS1D_jS1E_S1E_jjS1G_bEUljE0_EEESZ_S10_S11_S18_S1C_S1E_T6_T7_T9_mT8_S1G_bDpT10_ENKUlT_T0_E_clISt17integral_constantIbLb1EES1T_IbLb0EEEEDaS1P_S1Q_EUlS1P_E_NS1_11comp_targetILNS1_3genE8ELNS1_11target_archE1030ELNS1_3gpuE2ELNS1_3repE0EEENS1_30default_config_static_selectorELNS0_4arch9wavefront6targetE0EEEvS12_
; %bb.0:
	.section	.rodata,"a",@progbits
	.p2align	6, 0x0
	.amdhsa_kernel _ZN7rocprim17ROCPRIM_400000_NS6detail17trampoline_kernelINS0_13select_configILj256ELj13ELNS0_17block_load_methodE3ELS4_3ELS4_3ELNS0_20block_scan_algorithmE0ELj4294967295EEENS1_25partition_config_selectorILNS1_17partition_subalgoE4EjNS0_10empty_typeEbEEZZNS1_14partition_implILS8_4ELb0ES6_15HIP_vector_typeIjLj2EENS0_17counting_iteratorIjlEEPS9_SG_NS0_5tupleIJPjSI_NS0_16reverse_iteratorISI_EEEEENSH_IJSG_SG_SG_EEES9_SI_JZNS1_25segmented_radix_sort_implINS0_14default_configELb0EPKbPbPKlPlN2at6native12_GLOBAL__N_18offset_tEEE10hipError_tPvRmT1_PNSt15iterator_traitsIS12_E10value_typeET2_T3_PNS13_IS18_E10value_typeET4_jRbjT5_S1E_jjP12ihipStream_tbEUljE_ZNSN_ISO_Lb0ESQ_SR_ST_SU_SY_EESZ_S10_S11_S12_S16_S17_S18_S1B_S1C_jS1D_jS1E_S1E_jjS1G_bEUljE0_EEESZ_S10_S11_S18_S1C_S1E_T6_T7_T9_mT8_S1G_bDpT10_ENKUlT_T0_E_clISt17integral_constantIbLb1EES1T_IbLb0EEEEDaS1P_S1Q_EUlS1P_E_NS1_11comp_targetILNS1_3genE8ELNS1_11target_archE1030ELNS1_3gpuE2ELNS1_3repE0EEENS1_30default_config_static_selectorELNS0_4arch9wavefront6targetE0EEEvS12_
		.amdhsa_group_segment_fixed_size 0
		.amdhsa_private_segment_fixed_size 0
		.amdhsa_kernarg_size 176
		.amdhsa_user_sgpr_count 15
		.amdhsa_user_sgpr_dispatch_ptr 0
		.amdhsa_user_sgpr_queue_ptr 0
		.amdhsa_user_sgpr_kernarg_segment_ptr 1
		.amdhsa_user_sgpr_dispatch_id 0
		.amdhsa_user_sgpr_private_segment_size 0
		.amdhsa_wavefront_size32 1
		.amdhsa_uses_dynamic_stack 0
		.amdhsa_enable_private_segment 0
		.amdhsa_system_sgpr_workgroup_id_x 1
		.amdhsa_system_sgpr_workgroup_id_y 0
		.amdhsa_system_sgpr_workgroup_id_z 0
		.amdhsa_system_sgpr_workgroup_info 0
		.amdhsa_system_vgpr_workitem_id 0
		.amdhsa_next_free_vgpr 1
		.amdhsa_next_free_sgpr 1
		.amdhsa_reserve_vcc 0
		.amdhsa_float_round_mode_32 0
		.amdhsa_float_round_mode_16_64 0
		.amdhsa_float_denorm_mode_32 3
		.amdhsa_float_denorm_mode_16_64 3
		.amdhsa_dx10_clamp 1
		.amdhsa_ieee_mode 1
		.amdhsa_fp16_overflow 0
		.amdhsa_workgroup_processor_mode 1
		.amdhsa_memory_ordered 1
		.amdhsa_forward_progress 0
		.amdhsa_shared_vgpr_count 0
		.amdhsa_exception_fp_ieee_invalid_op 0
		.amdhsa_exception_fp_denorm_src 0
		.amdhsa_exception_fp_ieee_div_zero 0
		.amdhsa_exception_fp_ieee_overflow 0
		.amdhsa_exception_fp_ieee_underflow 0
		.amdhsa_exception_fp_ieee_inexact 0
		.amdhsa_exception_int_div_zero 0
	.end_amdhsa_kernel
	.section	.text._ZN7rocprim17ROCPRIM_400000_NS6detail17trampoline_kernelINS0_13select_configILj256ELj13ELNS0_17block_load_methodE3ELS4_3ELS4_3ELNS0_20block_scan_algorithmE0ELj4294967295EEENS1_25partition_config_selectorILNS1_17partition_subalgoE4EjNS0_10empty_typeEbEEZZNS1_14partition_implILS8_4ELb0ES6_15HIP_vector_typeIjLj2EENS0_17counting_iteratorIjlEEPS9_SG_NS0_5tupleIJPjSI_NS0_16reverse_iteratorISI_EEEEENSH_IJSG_SG_SG_EEES9_SI_JZNS1_25segmented_radix_sort_implINS0_14default_configELb0EPKbPbPKlPlN2at6native12_GLOBAL__N_18offset_tEEE10hipError_tPvRmT1_PNSt15iterator_traitsIS12_E10value_typeET2_T3_PNS13_IS18_E10value_typeET4_jRbjT5_S1E_jjP12ihipStream_tbEUljE_ZNSN_ISO_Lb0ESQ_SR_ST_SU_SY_EESZ_S10_S11_S12_S16_S17_S18_S1B_S1C_jS1D_jS1E_S1E_jjS1G_bEUljE0_EEESZ_S10_S11_S18_S1C_S1E_T6_T7_T9_mT8_S1G_bDpT10_ENKUlT_T0_E_clISt17integral_constantIbLb1EES1T_IbLb0EEEEDaS1P_S1Q_EUlS1P_E_NS1_11comp_targetILNS1_3genE8ELNS1_11target_archE1030ELNS1_3gpuE2ELNS1_3repE0EEENS1_30default_config_static_selectorELNS0_4arch9wavefront6targetE0EEEvS12_,"axG",@progbits,_ZN7rocprim17ROCPRIM_400000_NS6detail17trampoline_kernelINS0_13select_configILj256ELj13ELNS0_17block_load_methodE3ELS4_3ELS4_3ELNS0_20block_scan_algorithmE0ELj4294967295EEENS1_25partition_config_selectorILNS1_17partition_subalgoE4EjNS0_10empty_typeEbEEZZNS1_14partition_implILS8_4ELb0ES6_15HIP_vector_typeIjLj2EENS0_17counting_iteratorIjlEEPS9_SG_NS0_5tupleIJPjSI_NS0_16reverse_iteratorISI_EEEEENSH_IJSG_SG_SG_EEES9_SI_JZNS1_25segmented_radix_sort_implINS0_14default_configELb0EPKbPbPKlPlN2at6native12_GLOBAL__N_18offset_tEEE10hipError_tPvRmT1_PNSt15iterator_traitsIS12_E10value_typeET2_T3_PNS13_IS18_E10value_typeET4_jRbjT5_S1E_jjP12ihipStream_tbEUljE_ZNSN_ISO_Lb0ESQ_SR_ST_SU_SY_EESZ_S10_S11_S12_S16_S17_S18_S1B_S1C_jS1D_jS1E_S1E_jjS1G_bEUljE0_EEESZ_S10_S11_S18_S1C_S1E_T6_T7_T9_mT8_S1G_bDpT10_ENKUlT_T0_E_clISt17integral_constantIbLb1EES1T_IbLb0EEEEDaS1P_S1Q_EUlS1P_E_NS1_11comp_targetILNS1_3genE8ELNS1_11target_archE1030ELNS1_3gpuE2ELNS1_3repE0EEENS1_30default_config_static_selectorELNS0_4arch9wavefront6targetE0EEEvS12_,comdat
.Lfunc_end1594:
	.size	_ZN7rocprim17ROCPRIM_400000_NS6detail17trampoline_kernelINS0_13select_configILj256ELj13ELNS0_17block_load_methodE3ELS4_3ELS4_3ELNS0_20block_scan_algorithmE0ELj4294967295EEENS1_25partition_config_selectorILNS1_17partition_subalgoE4EjNS0_10empty_typeEbEEZZNS1_14partition_implILS8_4ELb0ES6_15HIP_vector_typeIjLj2EENS0_17counting_iteratorIjlEEPS9_SG_NS0_5tupleIJPjSI_NS0_16reverse_iteratorISI_EEEEENSH_IJSG_SG_SG_EEES9_SI_JZNS1_25segmented_radix_sort_implINS0_14default_configELb0EPKbPbPKlPlN2at6native12_GLOBAL__N_18offset_tEEE10hipError_tPvRmT1_PNSt15iterator_traitsIS12_E10value_typeET2_T3_PNS13_IS18_E10value_typeET4_jRbjT5_S1E_jjP12ihipStream_tbEUljE_ZNSN_ISO_Lb0ESQ_SR_ST_SU_SY_EESZ_S10_S11_S12_S16_S17_S18_S1B_S1C_jS1D_jS1E_S1E_jjS1G_bEUljE0_EEESZ_S10_S11_S18_S1C_S1E_T6_T7_T9_mT8_S1G_bDpT10_ENKUlT_T0_E_clISt17integral_constantIbLb1EES1T_IbLb0EEEEDaS1P_S1Q_EUlS1P_E_NS1_11comp_targetILNS1_3genE8ELNS1_11target_archE1030ELNS1_3gpuE2ELNS1_3repE0EEENS1_30default_config_static_selectorELNS0_4arch9wavefront6targetE0EEEvS12_, .Lfunc_end1594-_ZN7rocprim17ROCPRIM_400000_NS6detail17trampoline_kernelINS0_13select_configILj256ELj13ELNS0_17block_load_methodE3ELS4_3ELS4_3ELNS0_20block_scan_algorithmE0ELj4294967295EEENS1_25partition_config_selectorILNS1_17partition_subalgoE4EjNS0_10empty_typeEbEEZZNS1_14partition_implILS8_4ELb0ES6_15HIP_vector_typeIjLj2EENS0_17counting_iteratorIjlEEPS9_SG_NS0_5tupleIJPjSI_NS0_16reverse_iteratorISI_EEEEENSH_IJSG_SG_SG_EEES9_SI_JZNS1_25segmented_radix_sort_implINS0_14default_configELb0EPKbPbPKlPlN2at6native12_GLOBAL__N_18offset_tEEE10hipError_tPvRmT1_PNSt15iterator_traitsIS12_E10value_typeET2_T3_PNS13_IS18_E10value_typeET4_jRbjT5_S1E_jjP12ihipStream_tbEUljE_ZNSN_ISO_Lb0ESQ_SR_ST_SU_SY_EESZ_S10_S11_S12_S16_S17_S18_S1B_S1C_jS1D_jS1E_S1E_jjS1G_bEUljE0_EEESZ_S10_S11_S18_S1C_S1E_T6_T7_T9_mT8_S1G_bDpT10_ENKUlT_T0_E_clISt17integral_constantIbLb1EES1T_IbLb0EEEEDaS1P_S1Q_EUlS1P_E_NS1_11comp_targetILNS1_3genE8ELNS1_11target_archE1030ELNS1_3gpuE2ELNS1_3repE0EEENS1_30default_config_static_selectorELNS0_4arch9wavefront6targetE0EEEvS12_
                                        ; -- End function
	.section	.AMDGPU.csdata,"",@progbits
; Kernel info:
; codeLenInByte = 0
; NumSgprs: 0
; NumVgprs: 0
; ScratchSize: 0
; MemoryBound: 0
; FloatMode: 240
; IeeeMode: 1
; LDSByteSize: 0 bytes/workgroup (compile time only)
; SGPRBlocks: 0
; VGPRBlocks: 0
; NumSGPRsForWavesPerEU: 1
; NumVGPRsForWavesPerEU: 1
; Occupancy: 16
; WaveLimiterHint : 0
; COMPUTE_PGM_RSRC2:SCRATCH_EN: 0
; COMPUTE_PGM_RSRC2:USER_SGPR: 15
; COMPUTE_PGM_RSRC2:TRAP_HANDLER: 0
; COMPUTE_PGM_RSRC2:TGID_X_EN: 1
; COMPUTE_PGM_RSRC2:TGID_Y_EN: 0
; COMPUTE_PGM_RSRC2:TGID_Z_EN: 0
; COMPUTE_PGM_RSRC2:TIDIG_COMP_CNT: 0
	.section	.text._ZN7rocprim17ROCPRIM_400000_NS6detail17trampoline_kernelINS0_13select_configILj256ELj13ELNS0_17block_load_methodE3ELS4_3ELS4_3ELNS0_20block_scan_algorithmE0ELj4294967295EEENS1_25partition_config_selectorILNS1_17partition_subalgoE4EjNS0_10empty_typeEbEEZZNS1_14partition_implILS8_4ELb0ES6_15HIP_vector_typeIjLj2EENS0_17counting_iteratorIjlEEPS9_SG_NS0_5tupleIJPjSI_NS0_16reverse_iteratorISI_EEEEENSH_IJSG_SG_SG_EEES9_SI_JZNS1_25segmented_radix_sort_implINS0_14default_configELb0EPKbPbPKlPlN2at6native12_GLOBAL__N_18offset_tEEE10hipError_tPvRmT1_PNSt15iterator_traitsIS12_E10value_typeET2_T3_PNS13_IS18_E10value_typeET4_jRbjT5_S1E_jjP12ihipStream_tbEUljE_ZNSN_ISO_Lb0ESQ_SR_ST_SU_SY_EESZ_S10_S11_S12_S16_S17_S18_S1B_S1C_jS1D_jS1E_S1E_jjS1G_bEUljE0_EEESZ_S10_S11_S18_S1C_S1E_T6_T7_T9_mT8_S1G_bDpT10_ENKUlT_T0_E_clISt17integral_constantIbLb0EES1T_IbLb1EEEEDaS1P_S1Q_EUlS1P_E_NS1_11comp_targetILNS1_3genE0ELNS1_11target_archE4294967295ELNS1_3gpuE0ELNS1_3repE0EEENS1_30default_config_static_selectorELNS0_4arch9wavefront6targetE0EEEvS12_,"axG",@progbits,_ZN7rocprim17ROCPRIM_400000_NS6detail17trampoline_kernelINS0_13select_configILj256ELj13ELNS0_17block_load_methodE3ELS4_3ELS4_3ELNS0_20block_scan_algorithmE0ELj4294967295EEENS1_25partition_config_selectorILNS1_17partition_subalgoE4EjNS0_10empty_typeEbEEZZNS1_14partition_implILS8_4ELb0ES6_15HIP_vector_typeIjLj2EENS0_17counting_iteratorIjlEEPS9_SG_NS0_5tupleIJPjSI_NS0_16reverse_iteratorISI_EEEEENSH_IJSG_SG_SG_EEES9_SI_JZNS1_25segmented_radix_sort_implINS0_14default_configELb0EPKbPbPKlPlN2at6native12_GLOBAL__N_18offset_tEEE10hipError_tPvRmT1_PNSt15iterator_traitsIS12_E10value_typeET2_T3_PNS13_IS18_E10value_typeET4_jRbjT5_S1E_jjP12ihipStream_tbEUljE_ZNSN_ISO_Lb0ESQ_SR_ST_SU_SY_EESZ_S10_S11_S12_S16_S17_S18_S1B_S1C_jS1D_jS1E_S1E_jjS1G_bEUljE0_EEESZ_S10_S11_S18_S1C_S1E_T6_T7_T9_mT8_S1G_bDpT10_ENKUlT_T0_E_clISt17integral_constantIbLb0EES1T_IbLb1EEEEDaS1P_S1Q_EUlS1P_E_NS1_11comp_targetILNS1_3genE0ELNS1_11target_archE4294967295ELNS1_3gpuE0ELNS1_3repE0EEENS1_30default_config_static_selectorELNS0_4arch9wavefront6targetE0EEEvS12_,comdat
	.globl	_ZN7rocprim17ROCPRIM_400000_NS6detail17trampoline_kernelINS0_13select_configILj256ELj13ELNS0_17block_load_methodE3ELS4_3ELS4_3ELNS0_20block_scan_algorithmE0ELj4294967295EEENS1_25partition_config_selectorILNS1_17partition_subalgoE4EjNS0_10empty_typeEbEEZZNS1_14partition_implILS8_4ELb0ES6_15HIP_vector_typeIjLj2EENS0_17counting_iteratorIjlEEPS9_SG_NS0_5tupleIJPjSI_NS0_16reverse_iteratorISI_EEEEENSH_IJSG_SG_SG_EEES9_SI_JZNS1_25segmented_radix_sort_implINS0_14default_configELb0EPKbPbPKlPlN2at6native12_GLOBAL__N_18offset_tEEE10hipError_tPvRmT1_PNSt15iterator_traitsIS12_E10value_typeET2_T3_PNS13_IS18_E10value_typeET4_jRbjT5_S1E_jjP12ihipStream_tbEUljE_ZNSN_ISO_Lb0ESQ_SR_ST_SU_SY_EESZ_S10_S11_S12_S16_S17_S18_S1B_S1C_jS1D_jS1E_S1E_jjS1G_bEUljE0_EEESZ_S10_S11_S18_S1C_S1E_T6_T7_T9_mT8_S1G_bDpT10_ENKUlT_T0_E_clISt17integral_constantIbLb0EES1T_IbLb1EEEEDaS1P_S1Q_EUlS1P_E_NS1_11comp_targetILNS1_3genE0ELNS1_11target_archE4294967295ELNS1_3gpuE0ELNS1_3repE0EEENS1_30default_config_static_selectorELNS0_4arch9wavefront6targetE0EEEvS12_ ; -- Begin function _ZN7rocprim17ROCPRIM_400000_NS6detail17trampoline_kernelINS0_13select_configILj256ELj13ELNS0_17block_load_methodE3ELS4_3ELS4_3ELNS0_20block_scan_algorithmE0ELj4294967295EEENS1_25partition_config_selectorILNS1_17partition_subalgoE4EjNS0_10empty_typeEbEEZZNS1_14partition_implILS8_4ELb0ES6_15HIP_vector_typeIjLj2EENS0_17counting_iteratorIjlEEPS9_SG_NS0_5tupleIJPjSI_NS0_16reverse_iteratorISI_EEEEENSH_IJSG_SG_SG_EEES9_SI_JZNS1_25segmented_radix_sort_implINS0_14default_configELb0EPKbPbPKlPlN2at6native12_GLOBAL__N_18offset_tEEE10hipError_tPvRmT1_PNSt15iterator_traitsIS12_E10value_typeET2_T3_PNS13_IS18_E10value_typeET4_jRbjT5_S1E_jjP12ihipStream_tbEUljE_ZNSN_ISO_Lb0ESQ_SR_ST_SU_SY_EESZ_S10_S11_S12_S16_S17_S18_S1B_S1C_jS1D_jS1E_S1E_jjS1G_bEUljE0_EEESZ_S10_S11_S18_S1C_S1E_T6_T7_T9_mT8_S1G_bDpT10_ENKUlT_T0_E_clISt17integral_constantIbLb0EES1T_IbLb1EEEEDaS1P_S1Q_EUlS1P_E_NS1_11comp_targetILNS1_3genE0ELNS1_11target_archE4294967295ELNS1_3gpuE0ELNS1_3repE0EEENS1_30default_config_static_selectorELNS0_4arch9wavefront6targetE0EEEvS12_
	.p2align	8
	.type	_ZN7rocprim17ROCPRIM_400000_NS6detail17trampoline_kernelINS0_13select_configILj256ELj13ELNS0_17block_load_methodE3ELS4_3ELS4_3ELNS0_20block_scan_algorithmE0ELj4294967295EEENS1_25partition_config_selectorILNS1_17partition_subalgoE4EjNS0_10empty_typeEbEEZZNS1_14partition_implILS8_4ELb0ES6_15HIP_vector_typeIjLj2EENS0_17counting_iteratorIjlEEPS9_SG_NS0_5tupleIJPjSI_NS0_16reverse_iteratorISI_EEEEENSH_IJSG_SG_SG_EEES9_SI_JZNS1_25segmented_radix_sort_implINS0_14default_configELb0EPKbPbPKlPlN2at6native12_GLOBAL__N_18offset_tEEE10hipError_tPvRmT1_PNSt15iterator_traitsIS12_E10value_typeET2_T3_PNS13_IS18_E10value_typeET4_jRbjT5_S1E_jjP12ihipStream_tbEUljE_ZNSN_ISO_Lb0ESQ_SR_ST_SU_SY_EESZ_S10_S11_S12_S16_S17_S18_S1B_S1C_jS1D_jS1E_S1E_jjS1G_bEUljE0_EEESZ_S10_S11_S18_S1C_S1E_T6_T7_T9_mT8_S1G_bDpT10_ENKUlT_T0_E_clISt17integral_constantIbLb0EES1T_IbLb1EEEEDaS1P_S1Q_EUlS1P_E_NS1_11comp_targetILNS1_3genE0ELNS1_11target_archE4294967295ELNS1_3gpuE0ELNS1_3repE0EEENS1_30default_config_static_selectorELNS0_4arch9wavefront6targetE0EEEvS12_,@function
_ZN7rocprim17ROCPRIM_400000_NS6detail17trampoline_kernelINS0_13select_configILj256ELj13ELNS0_17block_load_methodE3ELS4_3ELS4_3ELNS0_20block_scan_algorithmE0ELj4294967295EEENS1_25partition_config_selectorILNS1_17partition_subalgoE4EjNS0_10empty_typeEbEEZZNS1_14partition_implILS8_4ELb0ES6_15HIP_vector_typeIjLj2EENS0_17counting_iteratorIjlEEPS9_SG_NS0_5tupleIJPjSI_NS0_16reverse_iteratorISI_EEEEENSH_IJSG_SG_SG_EEES9_SI_JZNS1_25segmented_radix_sort_implINS0_14default_configELb0EPKbPbPKlPlN2at6native12_GLOBAL__N_18offset_tEEE10hipError_tPvRmT1_PNSt15iterator_traitsIS12_E10value_typeET2_T3_PNS13_IS18_E10value_typeET4_jRbjT5_S1E_jjP12ihipStream_tbEUljE_ZNSN_ISO_Lb0ESQ_SR_ST_SU_SY_EESZ_S10_S11_S12_S16_S17_S18_S1B_S1C_jS1D_jS1E_S1E_jjS1G_bEUljE0_EEESZ_S10_S11_S18_S1C_S1E_T6_T7_T9_mT8_S1G_bDpT10_ENKUlT_T0_E_clISt17integral_constantIbLb0EES1T_IbLb1EEEEDaS1P_S1Q_EUlS1P_E_NS1_11comp_targetILNS1_3genE0ELNS1_11target_archE4294967295ELNS1_3gpuE0ELNS1_3repE0EEENS1_30default_config_static_selectorELNS0_4arch9wavefront6targetE0EEEvS12_: ; @_ZN7rocprim17ROCPRIM_400000_NS6detail17trampoline_kernelINS0_13select_configILj256ELj13ELNS0_17block_load_methodE3ELS4_3ELS4_3ELNS0_20block_scan_algorithmE0ELj4294967295EEENS1_25partition_config_selectorILNS1_17partition_subalgoE4EjNS0_10empty_typeEbEEZZNS1_14partition_implILS8_4ELb0ES6_15HIP_vector_typeIjLj2EENS0_17counting_iteratorIjlEEPS9_SG_NS0_5tupleIJPjSI_NS0_16reverse_iteratorISI_EEEEENSH_IJSG_SG_SG_EEES9_SI_JZNS1_25segmented_radix_sort_implINS0_14default_configELb0EPKbPbPKlPlN2at6native12_GLOBAL__N_18offset_tEEE10hipError_tPvRmT1_PNSt15iterator_traitsIS12_E10value_typeET2_T3_PNS13_IS18_E10value_typeET4_jRbjT5_S1E_jjP12ihipStream_tbEUljE_ZNSN_ISO_Lb0ESQ_SR_ST_SU_SY_EESZ_S10_S11_S12_S16_S17_S18_S1B_S1C_jS1D_jS1E_S1E_jjS1G_bEUljE0_EEESZ_S10_S11_S18_S1C_S1E_T6_T7_T9_mT8_S1G_bDpT10_ENKUlT_T0_E_clISt17integral_constantIbLb0EES1T_IbLb1EEEEDaS1P_S1Q_EUlS1P_E_NS1_11comp_targetILNS1_3genE0ELNS1_11target_archE4294967295ELNS1_3gpuE0ELNS1_3repE0EEENS1_30default_config_static_selectorELNS0_4arch9wavefront6targetE0EEEvS12_
; %bb.0:
	.section	.rodata,"a",@progbits
	.p2align	6, 0x0
	.amdhsa_kernel _ZN7rocprim17ROCPRIM_400000_NS6detail17trampoline_kernelINS0_13select_configILj256ELj13ELNS0_17block_load_methodE3ELS4_3ELS4_3ELNS0_20block_scan_algorithmE0ELj4294967295EEENS1_25partition_config_selectorILNS1_17partition_subalgoE4EjNS0_10empty_typeEbEEZZNS1_14partition_implILS8_4ELb0ES6_15HIP_vector_typeIjLj2EENS0_17counting_iteratorIjlEEPS9_SG_NS0_5tupleIJPjSI_NS0_16reverse_iteratorISI_EEEEENSH_IJSG_SG_SG_EEES9_SI_JZNS1_25segmented_radix_sort_implINS0_14default_configELb0EPKbPbPKlPlN2at6native12_GLOBAL__N_18offset_tEEE10hipError_tPvRmT1_PNSt15iterator_traitsIS12_E10value_typeET2_T3_PNS13_IS18_E10value_typeET4_jRbjT5_S1E_jjP12ihipStream_tbEUljE_ZNSN_ISO_Lb0ESQ_SR_ST_SU_SY_EESZ_S10_S11_S12_S16_S17_S18_S1B_S1C_jS1D_jS1E_S1E_jjS1G_bEUljE0_EEESZ_S10_S11_S18_S1C_S1E_T6_T7_T9_mT8_S1G_bDpT10_ENKUlT_T0_E_clISt17integral_constantIbLb0EES1T_IbLb1EEEEDaS1P_S1Q_EUlS1P_E_NS1_11comp_targetILNS1_3genE0ELNS1_11target_archE4294967295ELNS1_3gpuE0ELNS1_3repE0EEENS1_30default_config_static_selectorELNS0_4arch9wavefront6targetE0EEEvS12_
		.amdhsa_group_segment_fixed_size 0
		.amdhsa_private_segment_fixed_size 0
		.amdhsa_kernarg_size 184
		.amdhsa_user_sgpr_count 15
		.amdhsa_user_sgpr_dispatch_ptr 0
		.amdhsa_user_sgpr_queue_ptr 0
		.amdhsa_user_sgpr_kernarg_segment_ptr 1
		.amdhsa_user_sgpr_dispatch_id 0
		.amdhsa_user_sgpr_private_segment_size 0
		.amdhsa_wavefront_size32 1
		.amdhsa_uses_dynamic_stack 0
		.amdhsa_enable_private_segment 0
		.amdhsa_system_sgpr_workgroup_id_x 1
		.amdhsa_system_sgpr_workgroup_id_y 0
		.amdhsa_system_sgpr_workgroup_id_z 0
		.amdhsa_system_sgpr_workgroup_info 0
		.amdhsa_system_vgpr_workitem_id 0
		.amdhsa_next_free_vgpr 1
		.amdhsa_next_free_sgpr 1
		.amdhsa_reserve_vcc 0
		.amdhsa_float_round_mode_32 0
		.amdhsa_float_round_mode_16_64 0
		.amdhsa_float_denorm_mode_32 3
		.amdhsa_float_denorm_mode_16_64 3
		.amdhsa_dx10_clamp 1
		.amdhsa_ieee_mode 1
		.amdhsa_fp16_overflow 0
		.amdhsa_workgroup_processor_mode 1
		.amdhsa_memory_ordered 1
		.amdhsa_forward_progress 0
		.amdhsa_shared_vgpr_count 0
		.amdhsa_exception_fp_ieee_invalid_op 0
		.amdhsa_exception_fp_denorm_src 0
		.amdhsa_exception_fp_ieee_div_zero 0
		.amdhsa_exception_fp_ieee_overflow 0
		.amdhsa_exception_fp_ieee_underflow 0
		.amdhsa_exception_fp_ieee_inexact 0
		.amdhsa_exception_int_div_zero 0
	.end_amdhsa_kernel
	.section	.text._ZN7rocprim17ROCPRIM_400000_NS6detail17trampoline_kernelINS0_13select_configILj256ELj13ELNS0_17block_load_methodE3ELS4_3ELS4_3ELNS0_20block_scan_algorithmE0ELj4294967295EEENS1_25partition_config_selectorILNS1_17partition_subalgoE4EjNS0_10empty_typeEbEEZZNS1_14partition_implILS8_4ELb0ES6_15HIP_vector_typeIjLj2EENS0_17counting_iteratorIjlEEPS9_SG_NS0_5tupleIJPjSI_NS0_16reverse_iteratorISI_EEEEENSH_IJSG_SG_SG_EEES9_SI_JZNS1_25segmented_radix_sort_implINS0_14default_configELb0EPKbPbPKlPlN2at6native12_GLOBAL__N_18offset_tEEE10hipError_tPvRmT1_PNSt15iterator_traitsIS12_E10value_typeET2_T3_PNS13_IS18_E10value_typeET4_jRbjT5_S1E_jjP12ihipStream_tbEUljE_ZNSN_ISO_Lb0ESQ_SR_ST_SU_SY_EESZ_S10_S11_S12_S16_S17_S18_S1B_S1C_jS1D_jS1E_S1E_jjS1G_bEUljE0_EEESZ_S10_S11_S18_S1C_S1E_T6_T7_T9_mT8_S1G_bDpT10_ENKUlT_T0_E_clISt17integral_constantIbLb0EES1T_IbLb1EEEEDaS1P_S1Q_EUlS1P_E_NS1_11comp_targetILNS1_3genE0ELNS1_11target_archE4294967295ELNS1_3gpuE0ELNS1_3repE0EEENS1_30default_config_static_selectorELNS0_4arch9wavefront6targetE0EEEvS12_,"axG",@progbits,_ZN7rocprim17ROCPRIM_400000_NS6detail17trampoline_kernelINS0_13select_configILj256ELj13ELNS0_17block_load_methodE3ELS4_3ELS4_3ELNS0_20block_scan_algorithmE0ELj4294967295EEENS1_25partition_config_selectorILNS1_17partition_subalgoE4EjNS0_10empty_typeEbEEZZNS1_14partition_implILS8_4ELb0ES6_15HIP_vector_typeIjLj2EENS0_17counting_iteratorIjlEEPS9_SG_NS0_5tupleIJPjSI_NS0_16reverse_iteratorISI_EEEEENSH_IJSG_SG_SG_EEES9_SI_JZNS1_25segmented_radix_sort_implINS0_14default_configELb0EPKbPbPKlPlN2at6native12_GLOBAL__N_18offset_tEEE10hipError_tPvRmT1_PNSt15iterator_traitsIS12_E10value_typeET2_T3_PNS13_IS18_E10value_typeET4_jRbjT5_S1E_jjP12ihipStream_tbEUljE_ZNSN_ISO_Lb0ESQ_SR_ST_SU_SY_EESZ_S10_S11_S12_S16_S17_S18_S1B_S1C_jS1D_jS1E_S1E_jjS1G_bEUljE0_EEESZ_S10_S11_S18_S1C_S1E_T6_T7_T9_mT8_S1G_bDpT10_ENKUlT_T0_E_clISt17integral_constantIbLb0EES1T_IbLb1EEEEDaS1P_S1Q_EUlS1P_E_NS1_11comp_targetILNS1_3genE0ELNS1_11target_archE4294967295ELNS1_3gpuE0ELNS1_3repE0EEENS1_30default_config_static_selectorELNS0_4arch9wavefront6targetE0EEEvS12_,comdat
.Lfunc_end1595:
	.size	_ZN7rocprim17ROCPRIM_400000_NS6detail17trampoline_kernelINS0_13select_configILj256ELj13ELNS0_17block_load_methodE3ELS4_3ELS4_3ELNS0_20block_scan_algorithmE0ELj4294967295EEENS1_25partition_config_selectorILNS1_17partition_subalgoE4EjNS0_10empty_typeEbEEZZNS1_14partition_implILS8_4ELb0ES6_15HIP_vector_typeIjLj2EENS0_17counting_iteratorIjlEEPS9_SG_NS0_5tupleIJPjSI_NS0_16reverse_iteratorISI_EEEEENSH_IJSG_SG_SG_EEES9_SI_JZNS1_25segmented_radix_sort_implINS0_14default_configELb0EPKbPbPKlPlN2at6native12_GLOBAL__N_18offset_tEEE10hipError_tPvRmT1_PNSt15iterator_traitsIS12_E10value_typeET2_T3_PNS13_IS18_E10value_typeET4_jRbjT5_S1E_jjP12ihipStream_tbEUljE_ZNSN_ISO_Lb0ESQ_SR_ST_SU_SY_EESZ_S10_S11_S12_S16_S17_S18_S1B_S1C_jS1D_jS1E_S1E_jjS1G_bEUljE0_EEESZ_S10_S11_S18_S1C_S1E_T6_T7_T9_mT8_S1G_bDpT10_ENKUlT_T0_E_clISt17integral_constantIbLb0EES1T_IbLb1EEEEDaS1P_S1Q_EUlS1P_E_NS1_11comp_targetILNS1_3genE0ELNS1_11target_archE4294967295ELNS1_3gpuE0ELNS1_3repE0EEENS1_30default_config_static_selectorELNS0_4arch9wavefront6targetE0EEEvS12_, .Lfunc_end1595-_ZN7rocprim17ROCPRIM_400000_NS6detail17trampoline_kernelINS0_13select_configILj256ELj13ELNS0_17block_load_methodE3ELS4_3ELS4_3ELNS0_20block_scan_algorithmE0ELj4294967295EEENS1_25partition_config_selectorILNS1_17partition_subalgoE4EjNS0_10empty_typeEbEEZZNS1_14partition_implILS8_4ELb0ES6_15HIP_vector_typeIjLj2EENS0_17counting_iteratorIjlEEPS9_SG_NS0_5tupleIJPjSI_NS0_16reverse_iteratorISI_EEEEENSH_IJSG_SG_SG_EEES9_SI_JZNS1_25segmented_radix_sort_implINS0_14default_configELb0EPKbPbPKlPlN2at6native12_GLOBAL__N_18offset_tEEE10hipError_tPvRmT1_PNSt15iterator_traitsIS12_E10value_typeET2_T3_PNS13_IS18_E10value_typeET4_jRbjT5_S1E_jjP12ihipStream_tbEUljE_ZNSN_ISO_Lb0ESQ_SR_ST_SU_SY_EESZ_S10_S11_S12_S16_S17_S18_S1B_S1C_jS1D_jS1E_S1E_jjS1G_bEUljE0_EEESZ_S10_S11_S18_S1C_S1E_T6_T7_T9_mT8_S1G_bDpT10_ENKUlT_T0_E_clISt17integral_constantIbLb0EES1T_IbLb1EEEEDaS1P_S1Q_EUlS1P_E_NS1_11comp_targetILNS1_3genE0ELNS1_11target_archE4294967295ELNS1_3gpuE0ELNS1_3repE0EEENS1_30default_config_static_selectorELNS0_4arch9wavefront6targetE0EEEvS12_
                                        ; -- End function
	.section	.AMDGPU.csdata,"",@progbits
; Kernel info:
; codeLenInByte = 0
; NumSgprs: 0
; NumVgprs: 0
; ScratchSize: 0
; MemoryBound: 0
; FloatMode: 240
; IeeeMode: 1
; LDSByteSize: 0 bytes/workgroup (compile time only)
; SGPRBlocks: 0
; VGPRBlocks: 0
; NumSGPRsForWavesPerEU: 1
; NumVGPRsForWavesPerEU: 1
; Occupancy: 16
; WaveLimiterHint : 0
; COMPUTE_PGM_RSRC2:SCRATCH_EN: 0
; COMPUTE_PGM_RSRC2:USER_SGPR: 15
; COMPUTE_PGM_RSRC2:TRAP_HANDLER: 0
; COMPUTE_PGM_RSRC2:TGID_X_EN: 1
; COMPUTE_PGM_RSRC2:TGID_Y_EN: 0
; COMPUTE_PGM_RSRC2:TGID_Z_EN: 0
; COMPUTE_PGM_RSRC2:TIDIG_COMP_CNT: 0
	.section	.text._ZN7rocprim17ROCPRIM_400000_NS6detail17trampoline_kernelINS0_13select_configILj256ELj13ELNS0_17block_load_methodE3ELS4_3ELS4_3ELNS0_20block_scan_algorithmE0ELj4294967295EEENS1_25partition_config_selectorILNS1_17partition_subalgoE4EjNS0_10empty_typeEbEEZZNS1_14partition_implILS8_4ELb0ES6_15HIP_vector_typeIjLj2EENS0_17counting_iteratorIjlEEPS9_SG_NS0_5tupleIJPjSI_NS0_16reverse_iteratorISI_EEEEENSH_IJSG_SG_SG_EEES9_SI_JZNS1_25segmented_radix_sort_implINS0_14default_configELb0EPKbPbPKlPlN2at6native12_GLOBAL__N_18offset_tEEE10hipError_tPvRmT1_PNSt15iterator_traitsIS12_E10value_typeET2_T3_PNS13_IS18_E10value_typeET4_jRbjT5_S1E_jjP12ihipStream_tbEUljE_ZNSN_ISO_Lb0ESQ_SR_ST_SU_SY_EESZ_S10_S11_S12_S16_S17_S18_S1B_S1C_jS1D_jS1E_S1E_jjS1G_bEUljE0_EEESZ_S10_S11_S18_S1C_S1E_T6_T7_T9_mT8_S1G_bDpT10_ENKUlT_T0_E_clISt17integral_constantIbLb0EES1T_IbLb1EEEEDaS1P_S1Q_EUlS1P_E_NS1_11comp_targetILNS1_3genE5ELNS1_11target_archE942ELNS1_3gpuE9ELNS1_3repE0EEENS1_30default_config_static_selectorELNS0_4arch9wavefront6targetE0EEEvS12_,"axG",@progbits,_ZN7rocprim17ROCPRIM_400000_NS6detail17trampoline_kernelINS0_13select_configILj256ELj13ELNS0_17block_load_methodE3ELS4_3ELS4_3ELNS0_20block_scan_algorithmE0ELj4294967295EEENS1_25partition_config_selectorILNS1_17partition_subalgoE4EjNS0_10empty_typeEbEEZZNS1_14partition_implILS8_4ELb0ES6_15HIP_vector_typeIjLj2EENS0_17counting_iteratorIjlEEPS9_SG_NS0_5tupleIJPjSI_NS0_16reverse_iteratorISI_EEEEENSH_IJSG_SG_SG_EEES9_SI_JZNS1_25segmented_radix_sort_implINS0_14default_configELb0EPKbPbPKlPlN2at6native12_GLOBAL__N_18offset_tEEE10hipError_tPvRmT1_PNSt15iterator_traitsIS12_E10value_typeET2_T3_PNS13_IS18_E10value_typeET4_jRbjT5_S1E_jjP12ihipStream_tbEUljE_ZNSN_ISO_Lb0ESQ_SR_ST_SU_SY_EESZ_S10_S11_S12_S16_S17_S18_S1B_S1C_jS1D_jS1E_S1E_jjS1G_bEUljE0_EEESZ_S10_S11_S18_S1C_S1E_T6_T7_T9_mT8_S1G_bDpT10_ENKUlT_T0_E_clISt17integral_constantIbLb0EES1T_IbLb1EEEEDaS1P_S1Q_EUlS1P_E_NS1_11comp_targetILNS1_3genE5ELNS1_11target_archE942ELNS1_3gpuE9ELNS1_3repE0EEENS1_30default_config_static_selectorELNS0_4arch9wavefront6targetE0EEEvS12_,comdat
	.globl	_ZN7rocprim17ROCPRIM_400000_NS6detail17trampoline_kernelINS0_13select_configILj256ELj13ELNS0_17block_load_methodE3ELS4_3ELS4_3ELNS0_20block_scan_algorithmE0ELj4294967295EEENS1_25partition_config_selectorILNS1_17partition_subalgoE4EjNS0_10empty_typeEbEEZZNS1_14partition_implILS8_4ELb0ES6_15HIP_vector_typeIjLj2EENS0_17counting_iteratorIjlEEPS9_SG_NS0_5tupleIJPjSI_NS0_16reverse_iteratorISI_EEEEENSH_IJSG_SG_SG_EEES9_SI_JZNS1_25segmented_radix_sort_implINS0_14default_configELb0EPKbPbPKlPlN2at6native12_GLOBAL__N_18offset_tEEE10hipError_tPvRmT1_PNSt15iterator_traitsIS12_E10value_typeET2_T3_PNS13_IS18_E10value_typeET4_jRbjT5_S1E_jjP12ihipStream_tbEUljE_ZNSN_ISO_Lb0ESQ_SR_ST_SU_SY_EESZ_S10_S11_S12_S16_S17_S18_S1B_S1C_jS1D_jS1E_S1E_jjS1G_bEUljE0_EEESZ_S10_S11_S18_S1C_S1E_T6_T7_T9_mT8_S1G_bDpT10_ENKUlT_T0_E_clISt17integral_constantIbLb0EES1T_IbLb1EEEEDaS1P_S1Q_EUlS1P_E_NS1_11comp_targetILNS1_3genE5ELNS1_11target_archE942ELNS1_3gpuE9ELNS1_3repE0EEENS1_30default_config_static_selectorELNS0_4arch9wavefront6targetE0EEEvS12_ ; -- Begin function _ZN7rocprim17ROCPRIM_400000_NS6detail17trampoline_kernelINS0_13select_configILj256ELj13ELNS0_17block_load_methodE3ELS4_3ELS4_3ELNS0_20block_scan_algorithmE0ELj4294967295EEENS1_25partition_config_selectorILNS1_17partition_subalgoE4EjNS0_10empty_typeEbEEZZNS1_14partition_implILS8_4ELb0ES6_15HIP_vector_typeIjLj2EENS0_17counting_iteratorIjlEEPS9_SG_NS0_5tupleIJPjSI_NS0_16reverse_iteratorISI_EEEEENSH_IJSG_SG_SG_EEES9_SI_JZNS1_25segmented_radix_sort_implINS0_14default_configELb0EPKbPbPKlPlN2at6native12_GLOBAL__N_18offset_tEEE10hipError_tPvRmT1_PNSt15iterator_traitsIS12_E10value_typeET2_T3_PNS13_IS18_E10value_typeET4_jRbjT5_S1E_jjP12ihipStream_tbEUljE_ZNSN_ISO_Lb0ESQ_SR_ST_SU_SY_EESZ_S10_S11_S12_S16_S17_S18_S1B_S1C_jS1D_jS1E_S1E_jjS1G_bEUljE0_EEESZ_S10_S11_S18_S1C_S1E_T6_T7_T9_mT8_S1G_bDpT10_ENKUlT_T0_E_clISt17integral_constantIbLb0EES1T_IbLb1EEEEDaS1P_S1Q_EUlS1P_E_NS1_11comp_targetILNS1_3genE5ELNS1_11target_archE942ELNS1_3gpuE9ELNS1_3repE0EEENS1_30default_config_static_selectorELNS0_4arch9wavefront6targetE0EEEvS12_
	.p2align	8
	.type	_ZN7rocprim17ROCPRIM_400000_NS6detail17trampoline_kernelINS0_13select_configILj256ELj13ELNS0_17block_load_methodE3ELS4_3ELS4_3ELNS0_20block_scan_algorithmE0ELj4294967295EEENS1_25partition_config_selectorILNS1_17partition_subalgoE4EjNS0_10empty_typeEbEEZZNS1_14partition_implILS8_4ELb0ES6_15HIP_vector_typeIjLj2EENS0_17counting_iteratorIjlEEPS9_SG_NS0_5tupleIJPjSI_NS0_16reverse_iteratorISI_EEEEENSH_IJSG_SG_SG_EEES9_SI_JZNS1_25segmented_radix_sort_implINS0_14default_configELb0EPKbPbPKlPlN2at6native12_GLOBAL__N_18offset_tEEE10hipError_tPvRmT1_PNSt15iterator_traitsIS12_E10value_typeET2_T3_PNS13_IS18_E10value_typeET4_jRbjT5_S1E_jjP12ihipStream_tbEUljE_ZNSN_ISO_Lb0ESQ_SR_ST_SU_SY_EESZ_S10_S11_S12_S16_S17_S18_S1B_S1C_jS1D_jS1E_S1E_jjS1G_bEUljE0_EEESZ_S10_S11_S18_S1C_S1E_T6_T7_T9_mT8_S1G_bDpT10_ENKUlT_T0_E_clISt17integral_constantIbLb0EES1T_IbLb1EEEEDaS1P_S1Q_EUlS1P_E_NS1_11comp_targetILNS1_3genE5ELNS1_11target_archE942ELNS1_3gpuE9ELNS1_3repE0EEENS1_30default_config_static_selectorELNS0_4arch9wavefront6targetE0EEEvS12_,@function
_ZN7rocprim17ROCPRIM_400000_NS6detail17trampoline_kernelINS0_13select_configILj256ELj13ELNS0_17block_load_methodE3ELS4_3ELS4_3ELNS0_20block_scan_algorithmE0ELj4294967295EEENS1_25partition_config_selectorILNS1_17partition_subalgoE4EjNS0_10empty_typeEbEEZZNS1_14partition_implILS8_4ELb0ES6_15HIP_vector_typeIjLj2EENS0_17counting_iteratorIjlEEPS9_SG_NS0_5tupleIJPjSI_NS0_16reverse_iteratorISI_EEEEENSH_IJSG_SG_SG_EEES9_SI_JZNS1_25segmented_radix_sort_implINS0_14default_configELb0EPKbPbPKlPlN2at6native12_GLOBAL__N_18offset_tEEE10hipError_tPvRmT1_PNSt15iterator_traitsIS12_E10value_typeET2_T3_PNS13_IS18_E10value_typeET4_jRbjT5_S1E_jjP12ihipStream_tbEUljE_ZNSN_ISO_Lb0ESQ_SR_ST_SU_SY_EESZ_S10_S11_S12_S16_S17_S18_S1B_S1C_jS1D_jS1E_S1E_jjS1G_bEUljE0_EEESZ_S10_S11_S18_S1C_S1E_T6_T7_T9_mT8_S1G_bDpT10_ENKUlT_T0_E_clISt17integral_constantIbLb0EES1T_IbLb1EEEEDaS1P_S1Q_EUlS1P_E_NS1_11comp_targetILNS1_3genE5ELNS1_11target_archE942ELNS1_3gpuE9ELNS1_3repE0EEENS1_30default_config_static_selectorELNS0_4arch9wavefront6targetE0EEEvS12_: ; @_ZN7rocprim17ROCPRIM_400000_NS6detail17trampoline_kernelINS0_13select_configILj256ELj13ELNS0_17block_load_methodE3ELS4_3ELS4_3ELNS0_20block_scan_algorithmE0ELj4294967295EEENS1_25partition_config_selectorILNS1_17partition_subalgoE4EjNS0_10empty_typeEbEEZZNS1_14partition_implILS8_4ELb0ES6_15HIP_vector_typeIjLj2EENS0_17counting_iteratorIjlEEPS9_SG_NS0_5tupleIJPjSI_NS0_16reverse_iteratorISI_EEEEENSH_IJSG_SG_SG_EEES9_SI_JZNS1_25segmented_radix_sort_implINS0_14default_configELb0EPKbPbPKlPlN2at6native12_GLOBAL__N_18offset_tEEE10hipError_tPvRmT1_PNSt15iterator_traitsIS12_E10value_typeET2_T3_PNS13_IS18_E10value_typeET4_jRbjT5_S1E_jjP12ihipStream_tbEUljE_ZNSN_ISO_Lb0ESQ_SR_ST_SU_SY_EESZ_S10_S11_S12_S16_S17_S18_S1B_S1C_jS1D_jS1E_S1E_jjS1G_bEUljE0_EEESZ_S10_S11_S18_S1C_S1E_T6_T7_T9_mT8_S1G_bDpT10_ENKUlT_T0_E_clISt17integral_constantIbLb0EES1T_IbLb1EEEEDaS1P_S1Q_EUlS1P_E_NS1_11comp_targetILNS1_3genE5ELNS1_11target_archE942ELNS1_3gpuE9ELNS1_3repE0EEENS1_30default_config_static_selectorELNS0_4arch9wavefront6targetE0EEEvS12_
; %bb.0:
	.section	.rodata,"a",@progbits
	.p2align	6, 0x0
	.amdhsa_kernel _ZN7rocprim17ROCPRIM_400000_NS6detail17trampoline_kernelINS0_13select_configILj256ELj13ELNS0_17block_load_methodE3ELS4_3ELS4_3ELNS0_20block_scan_algorithmE0ELj4294967295EEENS1_25partition_config_selectorILNS1_17partition_subalgoE4EjNS0_10empty_typeEbEEZZNS1_14partition_implILS8_4ELb0ES6_15HIP_vector_typeIjLj2EENS0_17counting_iteratorIjlEEPS9_SG_NS0_5tupleIJPjSI_NS0_16reverse_iteratorISI_EEEEENSH_IJSG_SG_SG_EEES9_SI_JZNS1_25segmented_radix_sort_implINS0_14default_configELb0EPKbPbPKlPlN2at6native12_GLOBAL__N_18offset_tEEE10hipError_tPvRmT1_PNSt15iterator_traitsIS12_E10value_typeET2_T3_PNS13_IS18_E10value_typeET4_jRbjT5_S1E_jjP12ihipStream_tbEUljE_ZNSN_ISO_Lb0ESQ_SR_ST_SU_SY_EESZ_S10_S11_S12_S16_S17_S18_S1B_S1C_jS1D_jS1E_S1E_jjS1G_bEUljE0_EEESZ_S10_S11_S18_S1C_S1E_T6_T7_T9_mT8_S1G_bDpT10_ENKUlT_T0_E_clISt17integral_constantIbLb0EES1T_IbLb1EEEEDaS1P_S1Q_EUlS1P_E_NS1_11comp_targetILNS1_3genE5ELNS1_11target_archE942ELNS1_3gpuE9ELNS1_3repE0EEENS1_30default_config_static_selectorELNS0_4arch9wavefront6targetE0EEEvS12_
		.amdhsa_group_segment_fixed_size 0
		.amdhsa_private_segment_fixed_size 0
		.amdhsa_kernarg_size 184
		.amdhsa_user_sgpr_count 15
		.amdhsa_user_sgpr_dispatch_ptr 0
		.amdhsa_user_sgpr_queue_ptr 0
		.amdhsa_user_sgpr_kernarg_segment_ptr 1
		.amdhsa_user_sgpr_dispatch_id 0
		.amdhsa_user_sgpr_private_segment_size 0
		.amdhsa_wavefront_size32 1
		.amdhsa_uses_dynamic_stack 0
		.amdhsa_enable_private_segment 0
		.amdhsa_system_sgpr_workgroup_id_x 1
		.amdhsa_system_sgpr_workgroup_id_y 0
		.amdhsa_system_sgpr_workgroup_id_z 0
		.amdhsa_system_sgpr_workgroup_info 0
		.amdhsa_system_vgpr_workitem_id 0
		.amdhsa_next_free_vgpr 1
		.amdhsa_next_free_sgpr 1
		.amdhsa_reserve_vcc 0
		.amdhsa_float_round_mode_32 0
		.amdhsa_float_round_mode_16_64 0
		.amdhsa_float_denorm_mode_32 3
		.amdhsa_float_denorm_mode_16_64 3
		.amdhsa_dx10_clamp 1
		.amdhsa_ieee_mode 1
		.amdhsa_fp16_overflow 0
		.amdhsa_workgroup_processor_mode 1
		.amdhsa_memory_ordered 1
		.amdhsa_forward_progress 0
		.amdhsa_shared_vgpr_count 0
		.amdhsa_exception_fp_ieee_invalid_op 0
		.amdhsa_exception_fp_denorm_src 0
		.amdhsa_exception_fp_ieee_div_zero 0
		.amdhsa_exception_fp_ieee_overflow 0
		.amdhsa_exception_fp_ieee_underflow 0
		.amdhsa_exception_fp_ieee_inexact 0
		.amdhsa_exception_int_div_zero 0
	.end_amdhsa_kernel
	.section	.text._ZN7rocprim17ROCPRIM_400000_NS6detail17trampoline_kernelINS0_13select_configILj256ELj13ELNS0_17block_load_methodE3ELS4_3ELS4_3ELNS0_20block_scan_algorithmE0ELj4294967295EEENS1_25partition_config_selectorILNS1_17partition_subalgoE4EjNS0_10empty_typeEbEEZZNS1_14partition_implILS8_4ELb0ES6_15HIP_vector_typeIjLj2EENS0_17counting_iteratorIjlEEPS9_SG_NS0_5tupleIJPjSI_NS0_16reverse_iteratorISI_EEEEENSH_IJSG_SG_SG_EEES9_SI_JZNS1_25segmented_radix_sort_implINS0_14default_configELb0EPKbPbPKlPlN2at6native12_GLOBAL__N_18offset_tEEE10hipError_tPvRmT1_PNSt15iterator_traitsIS12_E10value_typeET2_T3_PNS13_IS18_E10value_typeET4_jRbjT5_S1E_jjP12ihipStream_tbEUljE_ZNSN_ISO_Lb0ESQ_SR_ST_SU_SY_EESZ_S10_S11_S12_S16_S17_S18_S1B_S1C_jS1D_jS1E_S1E_jjS1G_bEUljE0_EEESZ_S10_S11_S18_S1C_S1E_T6_T7_T9_mT8_S1G_bDpT10_ENKUlT_T0_E_clISt17integral_constantIbLb0EES1T_IbLb1EEEEDaS1P_S1Q_EUlS1P_E_NS1_11comp_targetILNS1_3genE5ELNS1_11target_archE942ELNS1_3gpuE9ELNS1_3repE0EEENS1_30default_config_static_selectorELNS0_4arch9wavefront6targetE0EEEvS12_,"axG",@progbits,_ZN7rocprim17ROCPRIM_400000_NS6detail17trampoline_kernelINS0_13select_configILj256ELj13ELNS0_17block_load_methodE3ELS4_3ELS4_3ELNS0_20block_scan_algorithmE0ELj4294967295EEENS1_25partition_config_selectorILNS1_17partition_subalgoE4EjNS0_10empty_typeEbEEZZNS1_14partition_implILS8_4ELb0ES6_15HIP_vector_typeIjLj2EENS0_17counting_iteratorIjlEEPS9_SG_NS0_5tupleIJPjSI_NS0_16reverse_iteratorISI_EEEEENSH_IJSG_SG_SG_EEES9_SI_JZNS1_25segmented_radix_sort_implINS0_14default_configELb0EPKbPbPKlPlN2at6native12_GLOBAL__N_18offset_tEEE10hipError_tPvRmT1_PNSt15iterator_traitsIS12_E10value_typeET2_T3_PNS13_IS18_E10value_typeET4_jRbjT5_S1E_jjP12ihipStream_tbEUljE_ZNSN_ISO_Lb0ESQ_SR_ST_SU_SY_EESZ_S10_S11_S12_S16_S17_S18_S1B_S1C_jS1D_jS1E_S1E_jjS1G_bEUljE0_EEESZ_S10_S11_S18_S1C_S1E_T6_T7_T9_mT8_S1G_bDpT10_ENKUlT_T0_E_clISt17integral_constantIbLb0EES1T_IbLb1EEEEDaS1P_S1Q_EUlS1P_E_NS1_11comp_targetILNS1_3genE5ELNS1_11target_archE942ELNS1_3gpuE9ELNS1_3repE0EEENS1_30default_config_static_selectorELNS0_4arch9wavefront6targetE0EEEvS12_,comdat
.Lfunc_end1596:
	.size	_ZN7rocprim17ROCPRIM_400000_NS6detail17trampoline_kernelINS0_13select_configILj256ELj13ELNS0_17block_load_methodE3ELS4_3ELS4_3ELNS0_20block_scan_algorithmE0ELj4294967295EEENS1_25partition_config_selectorILNS1_17partition_subalgoE4EjNS0_10empty_typeEbEEZZNS1_14partition_implILS8_4ELb0ES6_15HIP_vector_typeIjLj2EENS0_17counting_iteratorIjlEEPS9_SG_NS0_5tupleIJPjSI_NS0_16reverse_iteratorISI_EEEEENSH_IJSG_SG_SG_EEES9_SI_JZNS1_25segmented_radix_sort_implINS0_14default_configELb0EPKbPbPKlPlN2at6native12_GLOBAL__N_18offset_tEEE10hipError_tPvRmT1_PNSt15iterator_traitsIS12_E10value_typeET2_T3_PNS13_IS18_E10value_typeET4_jRbjT5_S1E_jjP12ihipStream_tbEUljE_ZNSN_ISO_Lb0ESQ_SR_ST_SU_SY_EESZ_S10_S11_S12_S16_S17_S18_S1B_S1C_jS1D_jS1E_S1E_jjS1G_bEUljE0_EEESZ_S10_S11_S18_S1C_S1E_T6_T7_T9_mT8_S1G_bDpT10_ENKUlT_T0_E_clISt17integral_constantIbLb0EES1T_IbLb1EEEEDaS1P_S1Q_EUlS1P_E_NS1_11comp_targetILNS1_3genE5ELNS1_11target_archE942ELNS1_3gpuE9ELNS1_3repE0EEENS1_30default_config_static_selectorELNS0_4arch9wavefront6targetE0EEEvS12_, .Lfunc_end1596-_ZN7rocprim17ROCPRIM_400000_NS6detail17trampoline_kernelINS0_13select_configILj256ELj13ELNS0_17block_load_methodE3ELS4_3ELS4_3ELNS0_20block_scan_algorithmE0ELj4294967295EEENS1_25partition_config_selectorILNS1_17partition_subalgoE4EjNS0_10empty_typeEbEEZZNS1_14partition_implILS8_4ELb0ES6_15HIP_vector_typeIjLj2EENS0_17counting_iteratorIjlEEPS9_SG_NS0_5tupleIJPjSI_NS0_16reverse_iteratorISI_EEEEENSH_IJSG_SG_SG_EEES9_SI_JZNS1_25segmented_radix_sort_implINS0_14default_configELb0EPKbPbPKlPlN2at6native12_GLOBAL__N_18offset_tEEE10hipError_tPvRmT1_PNSt15iterator_traitsIS12_E10value_typeET2_T3_PNS13_IS18_E10value_typeET4_jRbjT5_S1E_jjP12ihipStream_tbEUljE_ZNSN_ISO_Lb0ESQ_SR_ST_SU_SY_EESZ_S10_S11_S12_S16_S17_S18_S1B_S1C_jS1D_jS1E_S1E_jjS1G_bEUljE0_EEESZ_S10_S11_S18_S1C_S1E_T6_T7_T9_mT8_S1G_bDpT10_ENKUlT_T0_E_clISt17integral_constantIbLb0EES1T_IbLb1EEEEDaS1P_S1Q_EUlS1P_E_NS1_11comp_targetILNS1_3genE5ELNS1_11target_archE942ELNS1_3gpuE9ELNS1_3repE0EEENS1_30default_config_static_selectorELNS0_4arch9wavefront6targetE0EEEvS12_
                                        ; -- End function
	.section	.AMDGPU.csdata,"",@progbits
; Kernel info:
; codeLenInByte = 0
; NumSgprs: 0
; NumVgprs: 0
; ScratchSize: 0
; MemoryBound: 0
; FloatMode: 240
; IeeeMode: 1
; LDSByteSize: 0 bytes/workgroup (compile time only)
; SGPRBlocks: 0
; VGPRBlocks: 0
; NumSGPRsForWavesPerEU: 1
; NumVGPRsForWavesPerEU: 1
; Occupancy: 16
; WaveLimiterHint : 0
; COMPUTE_PGM_RSRC2:SCRATCH_EN: 0
; COMPUTE_PGM_RSRC2:USER_SGPR: 15
; COMPUTE_PGM_RSRC2:TRAP_HANDLER: 0
; COMPUTE_PGM_RSRC2:TGID_X_EN: 1
; COMPUTE_PGM_RSRC2:TGID_Y_EN: 0
; COMPUTE_PGM_RSRC2:TGID_Z_EN: 0
; COMPUTE_PGM_RSRC2:TIDIG_COMP_CNT: 0
	.section	.text._ZN7rocprim17ROCPRIM_400000_NS6detail17trampoline_kernelINS0_13select_configILj256ELj13ELNS0_17block_load_methodE3ELS4_3ELS4_3ELNS0_20block_scan_algorithmE0ELj4294967295EEENS1_25partition_config_selectorILNS1_17partition_subalgoE4EjNS0_10empty_typeEbEEZZNS1_14partition_implILS8_4ELb0ES6_15HIP_vector_typeIjLj2EENS0_17counting_iteratorIjlEEPS9_SG_NS0_5tupleIJPjSI_NS0_16reverse_iteratorISI_EEEEENSH_IJSG_SG_SG_EEES9_SI_JZNS1_25segmented_radix_sort_implINS0_14default_configELb0EPKbPbPKlPlN2at6native12_GLOBAL__N_18offset_tEEE10hipError_tPvRmT1_PNSt15iterator_traitsIS12_E10value_typeET2_T3_PNS13_IS18_E10value_typeET4_jRbjT5_S1E_jjP12ihipStream_tbEUljE_ZNSN_ISO_Lb0ESQ_SR_ST_SU_SY_EESZ_S10_S11_S12_S16_S17_S18_S1B_S1C_jS1D_jS1E_S1E_jjS1G_bEUljE0_EEESZ_S10_S11_S18_S1C_S1E_T6_T7_T9_mT8_S1G_bDpT10_ENKUlT_T0_E_clISt17integral_constantIbLb0EES1T_IbLb1EEEEDaS1P_S1Q_EUlS1P_E_NS1_11comp_targetILNS1_3genE4ELNS1_11target_archE910ELNS1_3gpuE8ELNS1_3repE0EEENS1_30default_config_static_selectorELNS0_4arch9wavefront6targetE0EEEvS12_,"axG",@progbits,_ZN7rocprim17ROCPRIM_400000_NS6detail17trampoline_kernelINS0_13select_configILj256ELj13ELNS0_17block_load_methodE3ELS4_3ELS4_3ELNS0_20block_scan_algorithmE0ELj4294967295EEENS1_25partition_config_selectorILNS1_17partition_subalgoE4EjNS0_10empty_typeEbEEZZNS1_14partition_implILS8_4ELb0ES6_15HIP_vector_typeIjLj2EENS0_17counting_iteratorIjlEEPS9_SG_NS0_5tupleIJPjSI_NS0_16reverse_iteratorISI_EEEEENSH_IJSG_SG_SG_EEES9_SI_JZNS1_25segmented_radix_sort_implINS0_14default_configELb0EPKbPbPKlPlN2at6native12_GLOBAL__N_18offset_tEEE10hipError_tPvRmT1_PNSt15iterator_traitsIS12_E10value_typeET2_T3_PNS13_IS18_E10value_typeET4_jRbjT5_S1E_jjP12ihipStream_tbEUljE_ZNSN_ISO_Lb0ESQ_SR_ST_SU_SY_EESZ_S10_S11_S12_S16_S17_S18_S1B_S1C_jS1D_jS1E_S1E_jjS1G_bEUljE0_EEESZ_S10_S11_S18_S1C_S1E_T6_T7_T9_mT8_S1G_bDpT10_ENKUlT_T0_E_clISt17integral_constantIbLb0EES1T_IbLb1EEEEDaS1P_S1Q_EUlS1P_E_NS1_11comp_targetILNS1_3genE4ELNS1_11target_archE910ELNS1_3gpuE8ELNS1_3repE0EEENS1_30default_config_static_selectorELNS0_4arch9wavefront6targetE0EEEvS12_,comdat
	.globl	_ZN7rocprim17ROCPRIM_400000_NS6detail17trampoline_kernelINS0_13select_configILj256ELj13ELNS0_17block_load_methodE3ELS4_3ELS4_3ELNS0_20block_scan_algorithmE0ELj4294967295EEENS1_25partition_config_selectorILNS1_17partition_subalgoE4EjNS0_10empty_typeEbEEZZNS1_14partition_implILS8_4ELb0ES6_15HIP_vector_typeIjLj2EENS0_17counting_iteratorIjlEEPS9_SG_NS0_5tupleIJPjSI_NS0_16reverse_iteratorISI_EEEEENSH_IJSG_SG_SG_EEES9_SI_JZNS1_25segmented_radix_sort_implINS0_14default_configELb0EPKbPbPKlPlN2at6native12_GLOBAL__N_18offset_tEEE10hipError_tPvRmT1_PNSt15iterator_traitsIS12_E10value_typeET2_T3_PNS13_IS18_E10value_typeET4_jRbjT5_S1E_jjP12ihipStream_tbEUljE_ZNSN_ISO_Lb0ESQ_SR_ST_SU_SY_EESZ_S10_S11_S12_S16_S17_S18_S1B_S1C_jS1D_jS1E_S1E_jjS1G_bEUljE0_EEESZ_S10_S11_S18_S1C_S1E_T6_T7_T9_mT8_S1G_bDpT10_ENKUlT_T0_E_clISt17integral_constantIbLb0EES1T_IbLb1EEEEDaS1P_S1Q_EUlS1P_E_NS1_11comp_targetILNS1_3genE4ELNS1_11target_archE910ELNS1_3gpuE8ELNS1_3repE0EEENS1_30default_config_static_selectorELNS0_4arch9wavefront6targetE0EEEvS12_ ; -- Begin function _ZN7rocprim17ROCPRIM_400000_NS6detail17trampoline_kernelINS0_13select_configILj256ELj13ELNS0_17block_load_methodE3ELS4_3ELS4_3ELNS0_20block_scan_algorithmE0ELj4294967295EEENS1_25partition_config_selectorILNS1_17partition_subalgoE4EjNS0_10empty_typeEbEEZZNS1_14partition_implILS8_4ELb0ES6_15HIP_vector_typeIjLj2EENS0_17counting_iteratorIjlEEPS9_SG_NS0_5tupleIJPjSI_NS0_16reverse_iteratorISI_EEEEENSH_IJSG_SG_SG_EEES9_SI_JZNS1_25segmented_radix_sort_implINS0_14default_configELb0EPKbPbPKlPlN2at6native12_GLOBAL__N_18offset_tEEE10hipError_tPvRmT1_PNSt15iterator_traitsIS12_E10value_typeET2_T3_PNS13_IS18_E10value_typeET4_jRbjT5_S1E_jjP12ihipStream_tbEUljE_ZNSN_ISO_Lb0ESQ_SR_ST_SU_SY_EESZ_S10_S11_S12_S16_S17_S18_S1B_S1C_jS1D_jS1E_S1E_jjS1G_bEUljE0_EEESZ_S10_S11_S18_S1C_S1E_T6_T7_T9_mT8_S1G_bDpT10_ENKUlT_T0_E_clISt17integral_constantIbLb0EES1T_IbLb1EEEEDaS1P_S1Q_EUlS1P_E_NS1_11comp_targetILNS1_3genE4ELNS1_11target_archE910ELNS1_3gpuE8ELNS1_3repE0EEENS1_30default_config_static_selectorELNS0_4arch9wavefront6targetE0EEEvS12_
	.p2align	8
	.type	_ZN7rocprim17ROCPRIM_400000_NS6detail17trampoline_kernelINS0_13select_configILj256ELj13ELNS0_17block_load_methodE3ELS4_3ELS4_3ELNS0_20block_scan_algorithmE0ELj4294967295EEENS1_25partition_config_selectorILNS1_17partition_subalgoE4EjNS0_10empty_typeEbEEZZNS1_14partition_implILS8_4ELb0ES6_15HIP_vector_typeIjLj2EENS0_17counting_iteratorIjlEEPS9_SG_NS0_5tupleIJPjSI_NS0_16reverse_iteratorISI_EEEEENSH_IJSG_SG_SG_EEES9_SI_JZNS1_25segmented_radix_sort_implINS0_14default_configELb0EPKbPbPKlPlN2at6native12_GLOBAL__N_18offset_tEEE10hipError_tPvRmT1_PNSt15iterator_traitsIS12_E10value_typeET2_T3_PNS13_IS18_E10value_typeET4_jRbjT5_S1E_jjP12ihipStream_tbEUljE_ZNSN_ISO_Lb0ESQ_SR_ST_SU_SY_EESZ_S10_S11_S12_S16_S17_S18_S1B_S1C_jS1D_jS1E_S1E_jjS1G_bEUljE0_EEESZ_S10_S11_S18_S1C_S1E_T6_T7_T9_mT8_S1G_bDpT10_ENKUlT_T0_E_clISt17integral_constantIbLb0EES1T_IbLb1EEEEDaS1P_S1Q_EUlS1P_E_NS1_11comp_targetILNS1_3genE4ELNS1_11target_archE910ELNS1_3gpuE8ELNS1_3repE0EEENS1_30default_config_static_selectorELNS0_4arch9wavefront6targetE0EEEvS12_,@function
_ZN7rocprim17ROCPRIM_400000_NS6detail17trampoline_kernelINS0_13select_configILj256ELj13ELNS0_17block_load_methodE3ELS4_3ELS4_3ELNS0_20block_scan_algorithmE0ELj4294967295EEENS1_25partition_config_selectorILNS1_17partition_subalgoE4EjNS0_10empty_typeEbEEZZNS1_14partition_implILS8_4ELb0ES6_15HIP_vector_typeIjLj2EENS0_17counting_iteratorIjlEEPS9_SG_NS0_5tupleIJPjSI_NS0_16reverse_iteratorISI_EEEEENSH_IJSG_SG_SG_EEES9_SI_JZNS1_25segmented_radix_sort_implINS0_14default_configELb0EPKbPbPKlPlN2at6native12_GLOBAL__N_18offset_tEEE10hipError_tPvRmT1_PNSt15iterator_traitsIS12_E10value_typeET2_T3_PNS13_IS18_E10value_typeET4_jRbjT5_S1E_jjP12ihipStream_tbEUljE_ZNSN_ISO_Lb0ESQ_SR_ST_SU_SY_EESZ_S10_S11_S12_S16_S17_S18_S1B_S1C_jS1D_jS1E_S1E_jjS1G_bEUljE0_EEESZ_S10_S11_S18_S1C_S1E_T6_T7_T9_mT8_S1G_bDpT10_ENKUlT_T0_E_clISt17integral_constantIbLb0EES1T_IbLb1EEEEDaS1P_S1Q_EUlS1P_E_NS1_11comp_targetILNS1_3genE4ELNS1_11target_archE910ELNS1_3gpuE8ELNS1_3repE0EEENS1_30default_config_static_selectorELNS0_4arch9wavefront6targetE0EEEvS12_: ; @_ZN7rocprim17ROCPRIM_400000_NS6detail17trampoline_kernelINS0_13select_configILj256ELj13ELNS0_17block_load_methodE3ELS4_3ELS4_3ELNS0_20block_scan_algorithmE0ELj4294967295EEENS1_25partition_config_selectorILNS1_17partition_subalgoE4EjNS0_10empty_typeEbEEZZNS1_14partition_implILS8_4ELb0ES6_15HIP_vector_typeIjLj2EENS0_17counting_iteratorIjlEEPS9_SG_NS0_5tupleIJPjSI_NS0_16reverse_iteratorISI_EEEEENSH_IJSG_SG_SG_EEES9_SI_JZNS1_25segmented_radix_sort_implINS0_14default_configELb0EPKbPbPKlPlN2at6native12_GLOBAL__N_18offset_tEEE10hipError_tPvRmT1_PNSt15iterator_traitsIS12_E10value_typeET2_T3_PNS13_IS18_E10value_typeET4_jRbjT5_S1E_jjP12ihipStream_tbEUljE_ZNSN_ISO_Lb0ESQ_SR_ST_SU_SY_EESZ_S10_S11_S12_S16_S17_S18_S1B_S1C_jS1D_jS1E_S1E_jjS1G_bEUljE0_EEESZ_S10_S11_S18_S1C_S1E_T6_T7_T9_mT8_S1G_bDpT10_ENKUlT_T0_E_clISt17integral_constantIbLb0EES1T_IbLb1EEEEDaS1P_S1Q_EUlS1P_E_NS1_11comp_targetILNS1_3genE4ELNS1_11target_archE910ELNS1_3gpuE8ELNS1_3repE0EEENS1_30default_config_static_selectorELNS0_4arch9wavefront6targetE0EEEvS12_
; %bb.0:
	.section	.rodata,"a",@progbits
	.p2align	6, 0x0
	.amdhsa_kernel _ZN7rocprim17ROCPRIM_400000_NS6detail17trampoline_kernelINS0_13select_configILj256ELj13ELNS0_17block_load_methodE3ELS4_3ELS4_3ELNS0_20block_scan_algorithmE0ELj4294967295EEENS1_25partition_config_selectorILNS1_17partition_subalgoE4EjNS0_10empty_typeEbEEZZNS1_14partition_implILS8_4ELb0ES6_15HIP_vector_typeIjLj2EENS0_17counting_iteratorIjlEEPS9_SG_NS0_5tupleIJPjSI_NS0_16reverse_iteratorISI_EEEEENSH_IJSG_SG_SG_EEES9_SI_JZNS1_25segmented_radix_sort_implINS0_14default_configELb0EPKbPbPKlPlN2at6native12_GLOBAL__N_18offset_tEEE10hipError_tPvRmT1_PNSt15iterator_traitsIS12_E10value_typeET2_T3_PNS13_IS18_E10value_typeET4_jRbjT5_S1E_jjP12ihipStream_tbEUljE_ZNSN_ISO_Lb0ESQ_SR_ST_SU_SY_EESZ_S10_S11_S12_S16_S17_S18_S1B_S1C_jS1D_jS1E_S1E_jjS1G_bEUljE0_EEESZ_S10_S11_S18_S1C_S1E_T6_T7_T9_mT8_S1G_bDpT10_ENKUlT_T0_E_clISt17integral_constantIbLb0EES1T_IbLb1EEEEDaS1P_S1Q_EUlS1P_E_NS1_11comp_targetILNS1_3genE4ELNS1_11target_archE910ELNS1_3gpuE8ELNS1_3repE0EEENS1_30default_config_static_selectorELNS0_4arch9wavefront6targetE0EEEvS12_
		.amdhsa_group_segment_fixed_size 0
		.amdhsa_private_segment_fixed_size 0
		.amdhsa_kernarg_size 184
		.amdhsa_user_sgpr_count 15
		.amdhsa_user_sgpr_dispatch_ptr 0
		.amdhsa_user_sgpr_queue_ptr 0
		.amdhsa_user_sgpr_kernarg_segment_ptr 1
		.amdhsa_user_sgpr_dispatch_id 0
		.amdhsa_user_sgpr_private_segment_size 0
		.amdhsa_wavefront_size32 1
		.amdhsa_uses_dynamic_stack 0
		.amdhsa_enable_private_segment 0
		.amdhsa_system_sgpr_workgroup_id_x 1
		.amdhsa_system_sgpr_workgroup_id_y 0
		.amdhsa_system_sgpr_workgroup_id_z 0
		.amdhsa_system_sgpr_workgroup_info 0
		.amdhsa_system_vgpr_workitem_id 0
		.amdhsa_next_free_vgpr 1
		.amdhsa_next_free_sgpr 1
		.amdhsa_reserve_vcc 0
		.amdhsa_float_round_mode_32 0
		.amdhsa_float_round_mode_16_64 0
		.amdhsa_float_denorm_mode_32 3
		.amdhsa_float_denorm_mode_16_64 3
		.amdhsa_dx10_clamp 1
		.amdhsa_ieee_mode 1
		.amdhsa_fp16_overflow 0
		.amdhsa_workgroup_processor_mode 1
		.amdhsa_memory_ordered 1
		.amdhsa_forward_progress 0
		.amdhsa_shared_vgpr_count 0
		.amdhsa_exception_fp_ieee_invalid_op 0
		.amdhsa_exception_fp_denorm_src 0
		.amdhsa_exception_fp_ieee_div_zero 0
		.amdhsa_exception_fp_ieee_overflow 0
		.amdhsa_exception_fp_ieee_underflow 0
		.amdhsa_exception_fp_ieee_inexact 0
		.amdhsa_exception_int_div_zero 0
	.end_amdhsa_kernel
	.section	.text._ZN7rocprim17ROCPRIM_400000_NS6detail17trampoline_kernelINS0_13select_configILj256ELj13ELNS0_17block_load_methodE3ELS4_3ELS4_3ELNS0_20block_scan_algorithmE0ELj4294967295EEENS1_25partition_config_selectorILNS1_17partition_subalgoE4EjNS0_10empty_typeEbEEZZNS1_14partition_implILS8_4ELb0ES6_15HIP_vector_typeIjLj2EENS0_17counting_iteratorIjlEEPS9_SG_NS0_5tupleIJPjSI_NS0_16reverse_iteratorISI_EEEEENSH_IJSG_SG_SG_EEES9_SI_JZNS1_25segmented_radix_sort_implINS0_14default_configELb0EPKbPbPKlPlN2at6native12_GLOBAL__N_18offset_tEEE10hipError_tPvRmT1_PNSt15iterator_traitsIS12_E10value_typeET2_T3_PNS13_IS18_E10value_typeET4_jRbjT5_S1E_jjP12ihipStream_tbEUljE_ZNSN_ISO_Lb0ESQ_SR_ST_SU_SY_EESZ_S10_S11_S12_S16_S17_S18_S1B_S1C_jS1D_jS1E_S1E_jjS1G_bEUljE0_EEESZ_S10_S11_S18_S1C_S1E_T6_T7_T9_mT8_S1G_bDpT10_ENKUlT_T0_E_clISt17integral_constantIbLb0EES1T_IbLb1EEEEDaS1P_S1Q_EUlS1P_E_NS1_11comp_targetILNS1_3genE4ELNS1_11target_archE910ELNS1_3gpuE8ELNS1_3repE0EEENS1_30default_config_static_selectorELNS0_4arch9wavefront6targetE0EEEvS12_,"axG",@progbits,_ZN7rocprim17ROCPRIM_400000_NS6detail17trampoline_kernelINS0_13select_configILj256ELj13ELNS0_17block_load_methodE3ELS4_3ELS4_3ELNS0_20block_scan_algorithmE0ELj4294967295EEENS1_25partition_config_selectorILNS1_17partition_subalgoE4EjNS0_10empty_typeEbEEZZNS1_14partition_implILS8_4ELb0ES6_15HIP_vector_typeIjLj2EENS0_17counting_iteratorIjlEEPS9_SG_NS0_5tupleIJPjSI_NS0_16reverse_iteratorISI_EEEEENSH_IJSG_SG_SG_EEES9_SI_JZNS1_25segmented_radix_sort_implINS0_14default_configELb0EPKbPbPKlPlN2at6native12_GLOBAL__N_18offset_tEEE10hipError_tPvRmT1_PNSt15iterator_traitsIS12_E10value_typeET2_T3_PNS13_IS18_E10value_typeET4_jRbjT5_S1E_jjP12ihipStream_tbEUljE_ZNSN_ISO_Lb0ESQ_SR_ST_SU_SY_EESZ_S10_S11_S12_S16_S17_S18_S1B_S1C_jS1D_jS1E_S1E_jjS1G_bEUljE0_EEESZ_S10_S11_S18_S1C_S1E_T6_T7_T9_mT8_S1G_bDpT10_ENKUlT_T0_E_clISt17integral_constantIbLb0EES1T_IbLb1EEEEDaS1P_S1Q_EUlS1P_E_NS1_11comp_targetILNS1_3genE4ELNS1_11target_archE910ELNS1_3gpuE8ELNS1_3repE0EEENS1_30default_config_static_selectorELNS0_4arch9wavefront6targetE0EEEvS12_,comdat
.Lfunc_end1597:
	.size	_ZN7rocprim17ROCPRIM_400000_NS6detail17trampoline_kernelINS0_13select_configILj256ELj13ELNS0_17block_load_methodE3ELS4_3ELS4_3ELNS0_20block_scan_algorithmE0ELj4294967295EEENS1_25partition_config_selectorILNS1_17partition_subalgoE4EjNS0_10empty_typeEbEEZZNS1_14partition_implILS8_4ELb0ES6_15HIP_vector_typeIjLj2EENS0_17counting_iteratorIjlEEPS9_SG_NS0_5tupleIJPjSI_NS0_16reverse_iteratorISI_EEEEENSH_IJSG_SG_SG_EEES9_SI_JZNS1_25segmented_radix_sort_implINS0_14default_configELb0EPKbPbPKlPlN2at6native12_GLOBAL__N_18offset_tEEE10hipError_tPvRmT1_PNSt15iterator_traitsIS12_E10value_typeET2_T3_PNS13_IS18_E10value_typeET4_jRbjT5_S1E_jjP12ihipStream_tbEUljE_ZNSN_ISO_Lb0ESQ_SR_ST_SU_SY_EESZ_S10_S11_S12_S16_S17_S18_S1B_S1C_jS1D_jS1E_S1E_jjS1G_bEUljE0_EEESZ_S10_S11_S18_S1C_S1E_T6_T7_T9_mT8_S1G_bDpT10_ENKUlT_T0_E_clISt17integral_constantIbLb0EES1T_IbLb1EEEEDaS1P_S1Q_EUlS1P_E_NS1_11comp_targetILNS1_3genE4ELNS1_11target_archE910ELNS1_3gpuE8ELNS1_3repE0EEENS1_30default_config_static_selectorELNS0_4arch9wavefront6targetE0EEEvS12_, .Lfunc_end1597-_ZN7rocprim17ROCPRIM_400000_NS6detail17trampoline_kernelINS0_13select_configILj256ELj13ELNS0_17block_load_methodE3ELS4_3ELS4_3ELNS0_20block_scan_algorithmE0ELj4294967295EEENS1_25partition_config_selectorILNS1_17partition_subalgoE4EjNS0_10empty_typeEbEEZZNS1_14partition_implILS8_4ELb0ES6_15HIP_vector_typeIjLj2EENS0_17counting_iteratorIjlEEPS9_SG_NS0_5tupleIJPjSI_NS0_16reverse_iteratorISI_EEEEENSH_IJSG_SG_SG_EEES9_SI_JZNS1_25segmented_radix_sort_implINS0_14default_configELb0EPKbPbPKlPlN2at6native12_GLOBAL__N_18offset_tEEE10hipError_tPvRmT1_PNSt15iterator_traitsIS12_E10value_typeET2_T3_PNS13_IS18_E10value_typeET4_jRbjT5_S1E_jjP12ihipStream_tbEUljE_ZNSN_ISO_Lb0ESQ_SR_ST_SU_SY_EESZ_S10_S11_S12_S16_S17_S18_S1B_S1C_jS1D_jS1E_S1E_jjS1G_bEUljE0_EEESZ_S10_S11_S18_S1C_S1E_T6_T7_T9_mT8_S1G_bDpT10_ENKUlT_T0_E_clISt17integral_constantIbLb0EES1T_IbLb1EEEEDaS1P_S1Q_EUlS1P_E_NS1_11comp_targetILNS1_3genE4ELNS1_11target_archE910ELNS1_3gpuE8ELNS1_3repE0EEENS1_30default_config_static_selectorELNS0_4arch9wavefront6targetE0EEEvS12_
                                        ; -- End function
	.section	.AMDGPU.csdata,"",@progbits
; Kernel info:
; codeLenInByte = 0
; NumSgprs: 0
; NumVgprs: 0
; ScratchSize: 0
; MemoryBound: 0
; FloatMode: 240
; IeeeMode: 1
; LDSByteSize: 0 bytes/workgroup (compile time only)
; SGPRBlocks: 0
; VGPRBlocks: 0
; NumSGPRsForWavesPerEU: 1
; NumVGPRsForWavesPerEU: 1
; Occupancy: 16
; WaveLimiterHint : 0
; COMPUTE_PGM_RSRC2:SCRATCH_EN: 0
; COMPUTE_PGM_RSRC2:USER_SGPR: 15
; COMPUTE_PGM_RSRC2:TRAP_HANDLER: 0
; COMPUTE_PGM_RSRC2:TGID_X_EN: 1
; COMPUTE_PGM_RSRC2:TGID_Y_EN: 0
; COMPUTE_PGM_RSRC2:TGID_Z_EN: 0
; COMPUTE_PGM_RSRC2:TIDIG_COMP_CNT: 0
	.section	.text._ZN7rocprim17ROCPRIM_400000_NS6detail17trampoline_kernelINS0_13select_configILj256ELj13ELNS0_17block_load_methodE3ELS4_3ELS4_3ELNS0_20block_scan_algorithmE0ELj4294967295EEENS1_25partition_config_selectorILNS1_17partition_subalgoE4EjNS0_10empty_typeEbEEZZNS1_14partition_implILS8_4ELb0ES6_15HIP_vector_typeIjLj2EENS0_17counting_iteratorIjlEEPS9_SG_NS0_5tupleIJPjSI_NS0_16reverse_iteratorISI_EEEEENSH_IJSG_SG_SG_EEES9_SI_JZNS1_25segmented_radix_sort_implINS0_14default_configELb0EPKbPbPKlPlN2at6native12_GLOBAL__N_18offset_tEEE10hipError_tPvRmT1_PNSt15iterator_traitsIS12_E10value_typeET2_T3_PNS13_IS18_E10value_typeET4_jRbjT5_S1E_jjP12ihipStream_tbEUljE_ZNSN_ISO_Lb0ESQ_SR_ST_SU_SY_EESZ_S10_S11_S12_S16_S17_S18_S1B_S1C_jS1D_jS1E_S1E_jjS1G_bEUljE0_EEESZ_S10_S11_S18_S1C_S1E_T6_T7_T9_mT8_S1G_bDpT10_ENKUlT_T0_E_clISt17integral_constantIbLb0EES1T_IbLb1EEEEDaS1P_S1Q_EUlS1P_E_NS1_11comp_targetILNS1_3genE3ELNS1_11target_archE908ELNS1_3gpuE7ELNS1_3repE0EEENS1_30default_config_static_selectorELNS0_4arch9wavefront6targetE0EEEvS12_,"axG",@progbits,_ZN7rocprim17ROCPRIM_400000_NS6detail17trampoline_kernelINS0_13select_configILj256ELj13ELNS0_17block_load_methodE3ELS4_3ELS4_3ELNS0_20block_scan_algorithmE0ELj4294967295EEENS1_25partition_config_selectorILNS1_17partition_subalgoE4EjNS0_10empty_typeEbEEZZNS1_14partition_implILS8_4ELb0ES6_15HIP_vector_typeIjLj2EENS0_17counting_iteratorIjlEEPS9_SG_NS0_5tupleIJPjSI_NS0_16reverse_iteratorISI_EEEEENSH_IJSG_SG_SG_EEES9_SI_JZNS1_25segmented_radix_sort_implINS0_14default_configELb0EPKbPbPKlPlN2at6native12_GLOBAL__N_18offset_tEEE10hipError_tPvRmT1_PNSt15iterator_traitsIS12_E10value_typeET2_T3_PNS13_IS18_E10value_typeET4_jRbjT5_S1E_jjP12ihipStream_tbEUljE_ZNSN_ISO_Lb0ESQ_SR_ST_SU_SY_EESZ_S10_S11_S12_S16_S17_S18_S1B_S1C_jS1D_jS1E_S1E_jjS1G_bEUljE0_EEESZ_S10_S11_S18_S1C_S1E_T6_T7_T9_mT8_S1G_bDpT10_ENKUlT_T0_E_clISt17integral_constantIbLb0EES1T_IbLb1EEEEDaS1P_S1Q_EUlS1P_E_NS1_11comp_targetILNS1_3genE3ELNS1_11target_archE908ELNS1_3gpuE7ELNS1_3repE0EEENS1_30default_config_static_selectorELNS0_4arch9wavefront6targetE0EEEvS12_,comdat
	.globl	_ZN7rocprim17ROCPRIM_400000_NS6detail17trampoline_kernelINS0_13select_configILj256ELj13ELNS0_17block_load_methodE3ELS4_3ELS4_3ELNS0_20block_scan_algorithmE0ELj4294967295EEENS1_25partition_config_selectorILNS1_17partition_subalgoE4EjNS0_10empty_typeEbEEZZNS1_14partition_implILS8_4ELb0ES6_15HIP_vector_typeIjLj2EENS0_17counting_iteratorIjlEEPS9_SG_NS0_5tupleIJPjSI_NS0_16reverse_iteratorISI_EEEEENSH_IJSG_SG_SG_EEES9_SI_JZNS1_25segmented_radix_sort_implINS0_14default_configELb0EPKbPbPKlPlN2at6native12_GLOBAL__N_18offset_tEEE10hipError_tPvRmT1_PNSt15iterator_traitsIS12_E10value_typeET2_T3_PNS13_IS18_E10value_typeET4_jRbjT5_S1E_jjP12ihipStream_tbEUljE_ZNSN_ISO_Lb0ESQ_SR_ST_SU_SY_EESZ_S10_S11_S12_S16_S17_S18_S1B_S1C_jS1D_jS1E_S1E_jjS1G_bEUljE0_EEESZ_S10_S11_S18_S1C_S1E_T6_T7_T9_mT8_S1G_bDpT10_ENKUlT_T0_E_clISt17integral_constantIbLb0EES1T_IbLb1EEEEDaS1P_S1Q_EUlS1P_E_NS1_11comp_targetILNS1_3genE3ELNS1_11target_archE908ELNS1_3gpuE7ELNS1_3repE0EEENS1_30default_config_static_selectorELNS0_4arch9wavefront6targetE0EEEvS12_ ; -- Begin function _ZN7rocprim17ROCPRIM_400000_NS6detail17trampoline_kernelINS0_13select_configILj256ELj13ELNS0_17block_load_methodE3ELS4_3ELS4_3ELNS0_20block_scan_algorithmE0ELj4294967295EEENS1_25partition_config_selectorILNS1_17partition_subalgoE4EjNS0_10empty_typeEbEEZZNS1_14partition_implILS8_4ELb0ES6_15HIP_vector_typeIjLj2EENS0_17counting_iteratorIjlEEPS9_SG_NS0_5tupleIJPjSI_NS0_16reverse_iteratorISI_EEEEENSH_IJSG_SG_SG_EEES9_SI_JZNS1_25segmented_radix_sort_implINS0_14default_configELb0EPKbPbPKlPlN2at6native12_GLOBAL__N_18offset_tEEE10hipError_tPvRmT1_PNSt15iterator_traitsIS12_E10value_typeET2_T3_PNS13_IS18_E10value_typeET4_jRbjT5_S1E_jjP12ihipStream_tbEUljE_ZNSN_ISO_Lb0ESQ_SR_ST_SU_SY_EESZ_S10_S11_S12_S16_S17_S18_S1B_S1C_jS1D_jS1E_S1E_jjS1G_bEUljE0_EEESZ_S10_S11_S18_S1C_S1E_T6_T7_T9_mT8_S1G_bDpT10_ENKUlT_T0_E_clISt17integral_constantIbLb0EES1T_IbLb1EEEEDaS1P_S1Q_EUlS1P_E_NS1_11comp_targetILNS1_3genE3ELNS1_11target_archE908ELNS1_3gpuE7ELNS1_3repE0EEENS1_30default_config_static_selectorELNS0_4arch9wavefront6targetE0EEEvS12_
	.p2align	8
	.type	_ZN7rocprim17ROCPRIM_400000_NS6detail17trampoline_kernelINS0_13select_configILj256ELj13ELNS0_17block_load_methodE3ELS4_3ELS4_3ELNS0_20block_scan_algorithmE0ELj4294967295EEENS1_25partition_config_selectorILNS1_17partition_subalgoE4EjNS0_10empty_typeEbEEZZNS1_14partition_implILS8_4ELb0ES6_15HIP_vector_typeIjLj2EENS0_17counting_iteratorIjlEEPS9_SG_NS0_5tupleIJPjSI_NS0_16reverse_iteratorISI_EEEEENSH_IJSG_SG_SG_EEES9_SI_JZNS1_25segmented_radix_sort_implINS0_14default_configELb0EPKbPbPKlPlN2at6native12_GLOBAL__N_18offset_tEEE10hipError_tPvRmT1_PNSt15iterator_traitsIS12_E10value_typeET2_T3_PNS13_IS18_E10value_typeET4_jRbjT5_S1E_jjP12ihipStream_tbEUljE_ZNSN_ISO_Lb0ESQ_SR_ST_SU_SY_EESZ_S10_S11_S12_S16_S17_S18_S1B_S1C_jS1D_jS1E_S1E_jjS1G_bEUljE0_EEESZ_S10_S11_S18_S1C_S1E_T6_T7_T9_mT8_S1G_bDpT10_ENKUlT_T0_E_clISt17integral_constantIbLb0EES1T_IbLb1EEEEDaS1P_S1Q_EUlS1P_E_NS1_11comp_targetILNS1_3genE3ELNS1_11target_archE908ELNS1_3gpuE7ELNS1_3repE0EEENS1_30default_config_static_selectorELNS0_4arch9wavefront6targetE0EEEvS12_,@function
_ZN7rocprim17ROCPRIM_400000_NS6detail17trampoline_kernelINS0_13select_configILj256ELj13ELNS0_17block_load_methodE3ELS4_3ELS4_3ELNS0_20block_scan_algorithmE0ELj4294967295EEENS1_25partition_config_selectorILNS1_17partition_subalgoE4EjNS0_10empty_typeEbEEZZNS1_14partition_implILS8_4ELb0ES6_15HIP_vector_typeIjLj2EENS0_17counting_iteratorIjlEEPS9_SG_NS0_5tupleIJPjSI_NS0_16reverse_iteratorISI_EEEEENSH_IJSG_SG_SG_EEES9_SI_JZNS1_25segmented_radix_sort_implINS0_14default_configELb0EPKbPbPKlPlN2at6native12_GLOBAL__N_18offset_tEEE10hipError_tPvRmT1_PNSt15iterator_traitsIS12_E10value_typeET2_T3_PNS13_IS18_E10value_typeET4_jRbjT5_S1E_jjP12ihipStream_tbEUljE_ZNSN_ISO_Lb0ESQ_SR_ST_SU_SY_EESZ_S10_S11_S12_S16_S17_S18_S1B_S1C_jS1D_jS1E_S1E_jjS1G_bEUljE0_EEESZ_S10_S11_S18_S1C_S1E_T6_T7_T9_mT8_S1G_bDpT10_ENKUlT_T0_E_clISt17integral_constantIbLb0EES1T_IbLb1EEEEDaS1P_S1Q_EUlS1P_E_NS1_11comp_targetILNS1_3genE3ELNS1_11target_archE908ELNS1_3gpuE7ELNS1_3repE0EEENS1_30default_config_static_selectorELNS0_4arch9wavefront6targetE0EEEvS12_: ; @_ZN7rocprim17ROCPRIM_400000_NS6detail17trampoline_kernelINS0_13select_configILj256ELj13ELNS0_17block_load_methodE3ELS4_3ELS4_3ELNS0_20block_scan_algorithmE0ELj4294967295EEENS1_25partition_config_selectorILNS1_17partition_subalgoE4EjNS0_10empty_typeEbEEZZNS1_14partition_implILS8_4ELb0ES6_15HIP_vector_typeIjLj2EENS0_17counting_iteratorIjlEEPS9_SG_NS0_5tupleIJPjSI_NS0_16reverse_iteratorISI_EEEEENSH_IJSG_SG_SG_EEES9_SI_JZNS1_25segmented_radix_sort_implINS0_14default_configELb0EPKbPbPKlPlN2at6native12_GLOBAL__N_18offset_tEEE10hipError_tPvRmT1_PNSt15iterator_traitsIS12_E10value_typeET2_T3_PNS13_IS18_E10value_typeET4_jRbjT5_S1E_jjP12ihipStream_tbEUljE_ZNSN_ISO_Lb0ESQ_SR_ST_SU_SY_EESZ_S10_S11_S12_S16_S17_S18_S1B_S1C_jS1D_jS1E_S1E_jjS1G_bEUljE0_EEESZ_S10_S11_S18_S1C_S1E_T6_T7_T9_mT8_S1G_bDpT10_ENKUlT_T0_E_clISt17integral_constantIbLb0EES1T_IbLb1EEEEDaS1P_S1Q_EUlS1P_E_NS1_11comp_targetILNS1_3genE3ELNS1_11target_archE908ELNS1_3gpuE7ELNS1_3repE0EEENS1_30default_config_static_selectorELNS0_4arch9wavefront6targetE0EEEvS12_
; %bb.0:
	.section	.rodata,"a",@progbits
	.p2align	6, 0x0
	.amdhsa_kernel _ZN7rocprim17ROCPRIM_400000_NS6detail17trampoline_kernelINS0_13select_configILj256ELj13ELNS0_17block_load_methodE3ELS4_3ELS4_3ELNS0_20block_scan_algorithmE0ELj4294967295EEENS1_25partition_config_selectorILNS1_17partition_subalgoE4EjNS0_10empty_typeEbEEZZNS1_14partition_implILS8_4ELb0ES6_15HIP_vector_typeIjLj2EENS0_17counting_iteratorIjlEEPS9_SG_NS0_5tupleIJPjSI_NS0_16reverse_iteratorISI_EEEEENSH_IJSG_SG_SG_EEES9_SI_JZNS1_25segmented_radix_sort_implINS0_14default_configELb0EPKbPbPKlPlN2at6native12_GLOBAL__N_18offset_tEEE10hipError_tPvRmT1_PNSt15iterator_traitsIS12_E10value_typeET2_T3_PNS13_IS18_E10value_typeET4_jRbjT5_S1E_jjP12ihipStream_tbEUljE_ZNSN_ISO_Lb0ESQ_SR_ST_SU_SY_EESZ_S10_S11_S12_S16_S17_S18_S1B_S1C_jS1D_jS1E_S1E_jjS1G_bEUljE0_EEESZ_S10_S11_S18_S1C_S1E_T6_T7_T9_mT8_S1G_bDpT10_ENKUlT_T0_E_clISt17integral_constantIbLb0EES1T_IbLb1EEEEDaS1P_S1Q_EUlS1P_E_NS1_11comp_targetILNS1_3genE3ELNS1_11target_archE908ELNS1_3gpuE7ELNS1_3repE0EEENS1_30default_config_static_selectorELNS0_4arch9wavefront6targetE0EEEvS12_
		.amdhsa_group_segment_fixed_size 0
		.amdhsa_private_segment_fixed_size 0
		.amdhsa_kernarg_size 184
		.amdhsa_user_sgpr_count 15
		.amdhsa_user_sgpr_dispatch_ptr 0
		.amdhsa_user_sgpr_queue_ptr 0
		.amdhsa_user_sgpr_kernarg_segment_ptr 1
		.amdhsa_user_sgpr_dispatch_id 0
		.amdhsa_user_sgpr_private_segment_size 0
		.amdhsa_wavefront_size32 1
		.amdhsa_uses_dynamic_stack 0
		.amdhsa_enable_private_segment 0
		.amdhsa_system_sgpr_workgroup_id_x 1
		.amdhsa_system_sgpr_workgroup_id_y 0
		.amdhsa_system_sgpr_workgroup_id_z 0
		.amdhsa_system_sgpr_workgroup_info 0
		.amdhsa_system_vgpr_workitem_id 0
		.amdhsa_next_free_vgpr 1
		.amdhsa_next_free_sgpr 1
		.amdhsa_reserve_vcc 0
		.amdhsa_float_round_mode_32 0
		.amdhsa_float_round_mode_16_64 0
		.amdhsa_float_denorm_mode_32 3
		.amdhsa_float_denorm_mode_16_64 3
		.amdhsa_dx10_clamp 1
		.amdhsa_ieee_mode 1
		.amdhsa_fp16_overflow 0
		.amdhsa_workgroup_processor_mode 1
		.amdhsa_memory_ordered 1
		.amdhsa_forward_progress 0
		.amdhsa_shared_vgpr_count 0
		.amdhsa_exception_fp_ieee_invalid_op 0
		.amdhsa_exception_fp_denorm_src 0
		.amdhsa_exception_fp_ieee_div_zero 0
		.amdhsa_exception_fp_ieee_overflow 0
		.amdhsa_exception_fp_ieee_underflow 0
		.amdhsa_exception_fp_ieee_inexact 0
		.amdhsa_exception_int_div_zero 0
	.end_amdhsa_kernel
	.section	.text._ZN7rocprim17ROCPRIM_400000_NS6detail17trampoline_kernelINS0_13select_configILj256ELj13ELNS0_17block_load_methodE3ELS4_3ELS4_3ELNS0_20block_scan_algorithmE0ELj4294967295EEENS1_25partition_config_selectorILNS1_17partition_subalgoE4EjNS0_10empty_typeEbEEZZNS1_14partition_implILS8_4ELb0ES6_15HIP_vector_typeIjLj2EENS0_17counting_iteratorIjlEEPS9_SG_NS0_5tupleIJPjSI_NS0_16reverse_iteratorISI_EEEEENSH_IJSG_SG_SG_EEES9_SI_JZNS1_25segmented_radix_sort_implINS0_14default_configELb0EPKbPbPKlPlN2at6native12_GLOBAL__N_18offset_tEEE10hipError_tPvRmT1_PNSt15iterator_traitsIS12_E10value_typeET2_T3_PNS13_IS18_E10value_typeET4_jRbjT5_S1E_jjP12ihipStream_tbEUljE_ZNSN_ISO_Lb0ESQ_SR_ST_SU_SY_EESZ_S10_S11_S12_S16_S17_S18_S1B_S1C_jS1D_jS1E_S1E_jjS1G_bEUljE0_EEESZ_S10_S11_S18_S1C_S1E_T6_T7_T9_mT8_S1G_bDpT10_ENKUlT_T0_E_clISt17integral_constantIbLb0EES1T_IbLb1EEEEDaS1P_S1Q_EUlS1P_E_NS1_11comp_targetILNS1_3genE3ELNS1_11target_archE908ELNS1_3gpuE7ELNS1_3repE0EEENS1_30default_config_static_selectorELNS0_4arch9wavefront6targetE0EEEvS12_,"axG",@progbits,_ZN7rocprim17ROCPRIM_400000_NS6detail17trampoline_kernelINS0_13select_configILj256ELj13ELNS0_17block_load_methodE3ELS4_3ELS4_3ELNS0_20block_scan_algorithmE0ELj4294967295EEENS1_25partition_config_selectorILNS1_17partition_subalgoE4EjNS0_10empty_typeEbEEZZNS1_14partition_implILS8_4ELb0ES6_15HIP_vector_typeIjLj2EENS0_17counting_iteratorIjlEEPS9_SG_NS0_5tupleIJPjSI_NS0_16reverse_iteratorISI_EEEEENSH_IJSG_SG_SG_EEES9_SI_JZNS1_25segmented_radix_sort_implINS0_14default_configELb0EPKbPbPKlPlN2at6native12_GLOBAL__N_18offset_tEEE10hipError_tPvRmT1_PNSt15iterator_traitsIS12_E10value_typeET2_T3_PNS13_IS18_E10value_typeET4_jRbjT5_S1E_jjP12ihipStream_tbEUljE_ZNSN_ISO_Lb0ESQ_SR_ST_SU_SY_EESZ_S10_S11_S12_S16_S17_S18_S1B_S1C_jS1D_jS1E_S1E_jjS1G_bEUljE0_EEESZ_S10_S11_S18_S1C_S1E_T6_T7_T9_mT8_S1G_bDpT10_ENKUlT_T0_E_clISt17integral_constantIbLb0EES1T_IbLb1EEEEDaS1P_S1Q_EUlS1P_E_NS1_11comp_targetILNS1_3genE3ELNS1_11target_archE908ELNS1_3gpuE7ELNS1_3repE0EEENS1_30default_config_static_selectorELNS0_4arch9wavefront6targetE0EEEvS12_,comdat
.Lfunc_end1598:
	.size	_ZN7rocprim17ROCPRIM_400000_NS6detail17trampoline_kernelINS0_13select_configILj256ELj13ELNS0_17block_load_methodE3ELS4_3ELS4_3ELNS0_20block_scan_algorithmE0ELj4294967295EEENS1_25partition_config_selectorILNS1_17partition_subalgoE4EjNS0_10empty_typeEbEEZZNS1_14partition_implILS8_4ELb0ES6_15HIP_vector_typeIjLj2EENS0_17counting_iteratorIjlEEPS9_SG_NS0_5tupleIJPjSI_NS0_16reverse_iteratorISI_EEEEENSH_IJSG_SG_SG_EEES9_SI_JZNS1_25segmented_radix_sort_implINS0_14default_configELb0EPKbPbPKlPlN2at6native12_GLOBAL__N_18offset_tEEE10hipError_tPvRmT1_PNSt15iterator_traitsIS12_E10value_typeET2_T3_PNS13_IS18_E10value_typeET4_jRbjT5_S1E_jjP12ihipStream_tbEUljE_ZNSN_ISO_Lb0ESQ_SR_ST_SU_SY_EESZ_S10_S11_S12_S16_S17_S18_S1B_S1C_jS1D_jS1E_S1E_jjS1G_bEUljE0_EEESZ_S10_S11_S18_S1C_S1E_T6_T7_T9_mT8_S1G_bDpT10_ENKUlT_T0_E_clISt17integral_constantIbLb0EES1T_IbLb1EEEEDaS1P_S1Q_EUlS1P_E_NS1_11comp_targetILNS1_3genE3ELNS1_11target_archE908ELNS1_3gpuE7ELNS1_3repE0EEENS1_30default_config_static_selectorELNS0_4arch9wavefront6targetE0EEEvS12_, .Lfunc_end1598-_ZN7rocprim17ROCPRIM_400000_NS6detail17trampoline_kernelINS0_13select_configILj256ELj13ELNS0_17block_load_methodE3ELS4_3ELS4_3ELNS0_20block_scan_algorithmE0ELj4294967295EEENS1_25partition_config_selectorILNS1_17partition_subalgoE4EjNS0_10empty_typeEbEEZZNS1_14partition_implILS8_4ELb0ES6_15HIP_vector_typeIjLj2EENS0_17counting_iteratorIjlEEPS9_SG_NS0_5tupleIJPjSI_NS0_16reverse_iteratorISI_EEEEENSH_IJSG_SG_SG_EEES9_SI_JZNS1_25segmented_radix_sort_implINS0_14default_configELb0EPKbPbPKlPlN2at6native12_GLOBAL__N_18offset_tEEE10hipError_tPvRmT1_PNSt15iterator_traitsIS12_E10value_typeET2_T3_PNS13_IS18_E10value_typeET4_jRbjT5_S1E_jjP12ihipStream_tbEUljE_ZNSN_ISO_Lb0ESQ_SR_ST_SU_SY_EESZ_S10_S11_S12_S16_S17_S18_S1B_S1C_jS1D_jS1E_S1E_jjS1G_bEUljE0_EEESZ_S10_S11_S18_S1C_S1E_T6_T7_T9_mT8_S1G_bDpT10_ENKUlT_T0_E_clISt17integral_constantIbLb0EES1T_IbLb1EEEEDaS1P_S1Q_EUlS1P_E_NS1_11comp_targetILNS1_3genE3ELNS1_11target_archE908ELNS1_3gpuE7ELNS1_3repE0EEENS1_30default_config_static_selectorELNS0_4arch9wavefront6targetE0EEEvS12_
                                        ; -- End function
	.section	.AMDGPU.csdata,"",@progbits
; Kernel info:
; codeLenInByte = 0
; NumSgprs: 0
; NumVgprs: 0
; ScratchSize: 0
; MemoryBound: 0
; FloatMode: 240
; IeeeMode: 1
; LDSByteSize: 0 bytes/workgroup (compile time only)
; SGPRBlocks: 0
; VGPRBlocks: 0
; NumSGPRsForWavesPerEU: 1
; NumVGPRsForWavesPerEU: 1
; Occupancy: 16
; WaveLimiterHint : 0
; COMPUTE_PGM_RSRC2:SCRATCH_EN: 0
; COMPUTE_PGM_RSRC2:USER_SGPR: 15
; COMPUTE_PGM_RSRC2:TRAP_HANDLER: 0
; COMPUTE_PGM_RSRC2:TGID_X_EN: 1
; COMPUTE_PGM_RSRC2:TGID_Y_EN: 0
; COMPUTE_PGM_RSRC2:TGID_Z_EN: 0
; COMPUTE_PGM_RSRC2:TIDIG_COMP_CNT: 0
	.section	.text._ZN7rocprim17ROCPRIM_400000_NS6detail17trampoline_kernelINS0_13select_configILj256ELj13ELNS0_17block_load_methodE3ELS4_3ELS4_3ELNS0_20block_scan_algorithmE0ELj4294967295EEENS1_25partition_config_selectorILNS1_17partition_subalgoE4EjNS0_10empty_typeEbEEZZNS1_14partition_implILS8_4ELb0ES6_15HIP_vector_typeIjLj2EENS0_17counting_iteratorIjlEEPS9_SG_NS0_5tupleIJPjSI_NS0_16reverse_iteratorISI_EEEEENSH_IJSG_SG_SG_EEES9_SI_JZNS1_25segmented_radix_sort_implINS0_14default_configELb0EPKbPbPKlPlN2at6native12_GLOBAL__N_18offset_tEEE10hipError_tPvRmT1_PNSt15iterator_traitsIS12_E10value_typeET2_T3_PNS13_IS18_E10value_typeET4_jRbjT5_S1E_jjP12ihipStream_tbEUljE_ZNSN_ISO_Lb0ESQ_SR_ST_SU_SY_EESZ_S10_S11_S12_S16_S17_S18_S1B_S1C_jS1D_jS1E_S1E_jjS1G_bEUljE0_EEESZ_S10_S11_S18_S1C_S1E_T6_T7_T9_mT8_S1G_bDpT10_ENKUlT_T0_E_clISt17integral_constantIbLb0EES1T_IbLb1EEEEDaS1P_S1Q_EUlS1P_E_NS1_11comp_targetILNS1_3genE2ELNS1_11target_archE906ELNS1_3gpuE6ELNS1_3repE0EEENS1_30default_config_static_selectorELNS0_4arch9wavefront6targetE0EEEvS12_,"axG",@progbits,_ZN7rocprim17ROCPRIM_400000_NS6detail17trampoline_kernelINS0_13select_configILj256ELj13ELNS0_17block_load_methodE3ELS4_3ELS4_3ELNS0_20block_scan_algorithmE0ELj4294967295EEENS1_25partition_config_selectorILNS1_17partition_subalgoE4EjNS0_10empty_typeEbEEZZNS1_14partition_implILS8_4ELb0ES6_15HIP_vector_typeIjLj2EENS0_17counting_iteratorIjlEEPS9_SG_NS0_5tupleIJPjSI_NS0_16reverse_iteratorISI_EEEEENSH_IJSG_SG_SG_EEES9_SI_JZNS1_25segmented_radix_sort_implINS0_14default_configELb0EPKbPbPKlPlN2at6native12_GLOBAL__N_18offset_tEEE10hipError_tPvRmT1_PNSt15iterator_traitsIS12_E10value_typeET2_T3_PNS13_IS18_E10value_typeET4_jRbjT5_S1E_jjP12ihipStream_tbEUljE_ZNSN_ISO_Lb0ESQ_SR_ST_SU_SY_EESZ_S10_S11_S12_S16_S17_S18_S1B_S1C_jS1D_jS1E_S1E_jjS1G_bEUljE0_EEESZ_S10_S11_S18_S1C_S1E_T6_T7_T9_mT8_S1G_bDpT10_ENKUlT_T0_E_clISt17integral_constantIbLb0EES1T_IbLb1EEEEDaS1P_S1Q_EUlS1P_E_NS1_11comp_targetILNS1_3genE2ELNS1_11target_archE906ELNS1_3gpuE6ELNS1_3repE0EEENS1_30default_config_static_selectorELNS0_4arch9wavefront6targetE0EEEvS12_,comdat
	.globl	_ZN7rocprim17ROCPRIM_400000_NS6detail17trampoline_kernelINS0_13select_configILj256ELj13ELNS0_17block_load_methodE3ELS4_3ELS4_3ELNS0_20block_scan_algorithmE0ELj4294967295EEENS1_25partition_config_selectorILNS1_17partition_subalgoE4EjNS0_10empty_typeEbEEZZNS1_14partition_implILS8_4ELb0ES6_15HIP_vector_typeIjLj2EENS0_17counting_iteratorIjlEEPS9_SG_NS0_5tupleIJPjSI_NS0_16reverse_iteratorISI_EEEEENSH_IJSG_SG_SG_EEES9_SI_JZNS1_25segmented_radix_sort_implINS0_14default_configELb0EPKbPbPKlPlN2at6native12_GLOBAL__N_18offset_tEEE10hipError_tPvRmT1_PNSt15iterator_traitsIS12_E10value_typeET2_T3_PNS13_IS18_E10value_typeET4_jRbjT5_S1E_jjP12ihipStream_tbEUljE_ZNSN_ISO_Lb0ESQ_SR_ST_SU_SY_EESZ_S10_S11_S12_S16_S17_S18_S1B_S1C_jS1D_jS1E_S1E_jjS1G_bEUljE0_EEESZ_S10_S11_S18_S1C_S1E_T6_T7_T9_mT8_S1G_bDpT10_ENKUlT_T0_E_clISt17integral_constantIbLb0EES1T_IbLb1EEEEDaS1P_S1Q_EUlS1P_E_NS1_11comp_targetILNS1_3genE2ELNS1_11target_archE906ELNS1_3gpuE6ELNS1_3repE0EEENS1_30default_config_static_selectorELNS0_4arch9wavefront6targetE0EEEvS12_ ; -- Begin function _ZN7rocprim17ROCPRIM_400000_NS6detail17trampoline_kernelINS0_13select_configILj256ELj13ELNS0_17block_load_methodE3ELS4_3ELS4_3ELNS0_20block_scan_algorithmE0ELj4294967295EEENS1_25partition_config_selectorILNS1_17partition_subalgoE4EjNS0_10empty_typeEbEEZZNS1_14partition_implILS8_4ELb0ES6_15HIP_vector_typeIjLj2EENS0_17counting_iteratorIjlEEPS9_SG_NS0_5tupleIJPjSI_NS0_16reverse_iteratorISI_EEEEENSH_IJSG_SG_SG_EEES9_SI_JZNS1_25segmented_radix_sort_implINS0_14default_configELb0EPKbPbPKlPlN2at6native12_GLOBAL__N_18offset_tEEE10hipError_tPvRmT1_PNSt15iterator_traitsIS12_E10value_typeET2_T3_PNS13_IS18_E10value_typeET4_jRbjT5_S1E_jjP12ihipStream_tbEUljE_ZNSN_ISO_Lb0ESQ_SR_ST_SU_SY_EESZ_S10_S11_S12_S16_S17_S18_S1B_S1C_jS1D_jS1E_S1E_jjS1G_bEUljE0_EEESZ_S10_S11_S18_S1C_S1E_T6_T7_T9_mT8_S1G_bDpT10_ENKUlT_T0_E_clISt17integral_constantIbLb0EES1T_IbLb1EEEEDaS1P_S1Q_EUlS1P_E_NS1_11comp_targetILNS1_3genE2ELNS1_11target_archE906ELNS1_3gpuE6ELNS1_3repE0EEENS1_30default_config_static_selectorELNS0_4arch9wavefront6targetE0EEEvS12_
	.p2align	8
	.type	_ZN7rocprim17ROCPRIM_400000_NS6detail17trampoline_kernelINS0_13select_configILj256ELj13ELNS0_17block_load_methodE3ELS4_3ELS4_3ELNS0_20block_scan_algorithmE0ELj4294967295EEENS1_25partition_config_selectorILNS1_17partition_subalgoE4EjNS0_10empty_typeEbEEZZNS1_14partition_implILS8_4ELb0ES6_15HIP_vector_typeIjLj2EENS0_17counting_iteratorIjlEEPS9_SG_NS0_5tupleIJPjSI_NS0_16reverse_iteratorISI_EEEEENSH_IJSG_SG_SG_EEES9_SI_JZNS1_25segmented_radix_sort_implINS0_14default_configELb0EPKbPbPKlPlN2at6native12_GLOBAL__N_18offset_tEEE10hipError_tPvRmT1_PNSt15iterator_traitsIS12_E10value_typeET2_T3_PNS13_IS18_E10value_typeET4_jRbjT5_S1E_jjP12ihipStream_tbEUljE_ZNSN_ISO_Lb0ESQ_SR_ST_SU_SY_EESZ_S10_S11_S12_S16_S17_S18_S1B_S1C_jS1D_jS1E_S1E_jjS1G_bEUljE0_EEESZ_S10_S11_S18_S1C_S1E_T6_T7_T9_mT8_S1G_bDpT10_ENKUlT_T0_E_clISt17integral_constantIbLb0EES1T_IbLb1EEEEDaS1P_S1Q_EUlS1P_E_NS1_11comp_targetILNS1_3genE2ELNS1_11target_archE906ELNS1_3gpuE6ELNS1_3repE0EEENS1_30default_config_static_selectorELNS0_4arch9wavefront6targetE0EEEvS12_,@function
_ZN7rocprim17ROCPRIM_400000_NS6detail17trampoline_kernelINS0_13select_configILj256ELj13ELNS0_17block_load_methodE3ELS4_3ELS4_3ELNS0_20block_scan_algorithmE0ELj4294967295EEENS1_25partition_config_selectorILNS1_17partition_subalgoE4EjNS0_10empty_typeEbEEZZNS1_14partition_implILS8_4ELb0ES6_15HIP_vector_typeIjLj2EENS0_17counting_iteratorIjlEEPS9_SG_NS0_5tupleIJPjSI_NS0_16reverse_iteratorISI_EEEEENSH_IJSG_SG_SG_EEES9_SI_JZNS1_25segmented_radix_sort_implINS0_14default_configELb0EPKbPbPKlPlN2at6native12_GLOBAL__N_18offset_tEEE10hipError_tPvRmT1_PNSt15iterator_traitsIS12_E10value_typeET2_T3_PNS13_IS18_E10value_typeET4_jRbjT5_S1E_jjP12ihipStream_tbEUljE_ZNSN_ISO_Lb0ESQ_SR_ST_SU_SY_EESZ_S10_S11_S12_S16_S17_S18_S1B_S1C_jS1D_jS1E_S1E_jjS1G_bEUljE0_EEESZ_S10_S11_S18_S1C_S1E_T6_T7_T9_mT8_S1G_bDpT10_ENKUlT_T0_E_clISt17integral_constantIbLb0EES1T_IbLb1EEEEDaS1P_S1Q_EUlS1P_E_NS1_11comp_targetILNS1_3genE2ELNS1_11target_archE906ELNS1_3gpuE6ELNS1_3repE0EEENS1_30default_config_static_selectorELNS0_4arch9wavefront6targetE0EEEvS12_: ; @_ZN7rocprim17ROCPRIM_400000_NS6detail17trampoline_kernelINS0_13select_configILj256ELj13ELNS0_17block_load_methodE3ELS4_3ELS4_3ELNS0_20block_scan_algorithmE0ELj4294967295EEENS1_25partition_config_selectorILNS1_17partition_subalgoE4EjNS0_10empty_typeEbEEZZNS1_14partition_implILS8_4ELb0ES6_15HIP_vector_typeIjLj2EENS0_17counting_iteratorIjlEEPS9_SG_NS0_5tupleIJPjSI_NS0_16reverse_iteratorISI_EEEEENSH_IJSG_SG_SG_EEES9_SI_JZNS1_25segmented_radix_sort_implINS0_14default_configELb0EPKbPbPKlPlN2at6native12_GLOBAL__N_18offset_tEEE10hipError_tPvRmT1_PNSt15iterator_traitsIS12_E10value_typeET2_T3_PNS13_IS18_E10value_typeET4_jRbjT5_S1E_jjP12ihipStream_tbEUljE_ZNSN_ISO_Lb0ESQ_SR_ST_SU_SY_EESZ_S10_S11_S12_S16_S17_S18_S1B_S1C_jS1D_jS1E_S1E_jjS1G_bEUljE0_EEESZ_S10_S11_S18_S1C_S1E_T6_T7_T9_mT8_S1G_bDpT10_ENKUlT_T0_E_clISt17integral_constantIbLb0EES1T_IbLb1EEEEDaS1P_S1Q_EUlS1P_E_NS1_11comp_targetILNS1_3genE2ELNS1_11target_archE906ELNS1_3gpuE6ELNS1_3repE0EEENS1_30default_config_static_selectorELNS0_4arch9wavefront6targetE0EEEvS12_
; %bb.0:
	.section	.rodata,"a",@progbits
	.p2align	6, 0x0
	.amdhsa_kernel _ZN7rocprim17ROCPRIM_400000_NS6detail17trampoline_kernelINS0_13select_configILj256ELj13ELNS0_17block_load_methodE3ELS4_3ELS4_3ELNS0_20block_scan_algorithmE0ELj4294967295EEENS1_25partition_config_selectorILNS1_17partition_subalgoE4EjNS0_10empty_typeEbEEZZNS1_14partition_implILS8_4ELb0ES6_15HIP_vector_typeIjLj2EENS0_17counting_iteratorIjlEEPS9_SG_NS0_5tupleIJPjSI_NS0_16reverse_iteratorISI_EEEEENSH_IJSG_SG_SG_EEES9_SI_JZNS1_25segmented_radix_sort_implINS0_14default_configELb0EPKbPbPKlPlN2at6native12_GLOBAL__N_18offset_tEEE10hipError_tPvRmT1_PNSt15iterator_traitsIS12_E10value_typeET2_T3_PNS13_IS18_E10value_typeET4_jRbjT5_S1E_jjP12ihipStream_tbEUljE_ZNSN_ISO_Lb0ESQ_SR_ST_SU_SY_EESZ_S10_S11_S12_S16_S17_S18_S1B_S1C_jS1D_jS1E_S1E_jjS1G_bEUljE0_EEESZ_S10_S11_S18_S1C_S1E_T6_T7_T9_mT8_S1G_bDpT10_ENKUlT_T0_E_clISt17integral_constantIbLb0EES1T_IbLb1EEEEDaS1P_S1Q_EUlS1P_E_NS1_11comp_targetILNS1_3genE2ELNS1_11target_archE906ELNS1_3gpuE6ELNS1_3repE0EEENS1_30default_config_static_selectorELNS0_4arch9wavefront6targetE0EEEvS12_
		.amdhsa_group_segment_fixed_size 0
		.amdhsa_private_segment_fixed_size 0
		.amdhsa_kernarg_size 184
		.amdhsa_user_sgpr_count 15
		.amdhsa_user_sgpr_dispatch_ptr 0
		.amdhsa_user_sgpr_queue_ptr 0
		.amdhsa_user_sgpr_kernarg_segment_ptr 1
		.amdhsa_user_sgpr_dispatch_id 0
		.amdhsa_user_sgpr_private_segment_size 0
		.amdhsa_wavefront_size32 1
		.amdhsa_uses_dynamic_stack 0
		.amdhsa_enable_private_segment 0
		.amdhsa_system_sgpr_workgroup_id_x 1
		.amdhsa_system_sgpr_workgroup_id_y 0
		.amdhsa_system_sgpr_workgroup_id_z 0
		.amdhsa_system_sgpr_workgroup_info 0
		.amdhsa_system_vgpr_workitem_id 0
		.amdhsa_next_free_vgpr 1
		.amdhsa_next_free_sgpr 1
		.amdhsa_reserve_vcc 0
		.amdhsa_float_round_mode_32 0
		.amdhsa_float_round_mode_16_64 0
		.amdhsa_float_denorm_mode_32 3
		.amdhsa_float_denorm_mode_16_64 3
		.amdhsa_dx10_clamp 1
		.amdhsa_ieee_mode 1
		.amdhsa_fp16_overflow 0
		.amdhsa_workgroup_processor_mode 1
		.amdhsa_memory_ordered 1
		.amdhsa_forward_progress 0
		.amdhsa_shared_vgpr_count 0
		.amdhsa_exception_fp_ieee_invalid_op 0
		.amdhsa_exception_fp_denorm_src 0
		.amdhsa_exception_fp_ieee_div_zero 0
		.amdhsa_exception_fp_ieee_overflow 0
		.amdhsa_exception_fp_ieee_underflow 0
		.amdhsa_exception_fp_ieee_inexact 0
		.amdhsa_exception_int_div_zero 0
	.end_amdhsa_kernel
	.section	.text._ZN7rocprim17ROCPRIM_400000_NS6detail17trampoline_kernelINS0_13select_configILj256ELj13ELNS0_17block_load_methodE3ELS4_3ELS4_3ELNS0_20block_scan_algorithmE0ELj4294967295EEENS1_25partition_config_selectorILNS1_17partition_subalgoE4EjNS0_10empty_typeEbEEZZNS1_14partition_implILS8_4ELb0ES6_15HIP_vector_typeIjLj2EENS0_17counting_iteratorIjlEEPS9_SG_NS0_5tupleIJPjSI_NS0_16reverse_iteratorISI_EEEEENSH_IJSG_SG_SG_EEES9_SI_JZNS1_25segmented_radix_sort_implINS0_14default_configELb0EPKbPbPKlPlN2at6native12_GLOBAL__N_18offset_tEEE10hipError_tPvRmT1_PNSt15iterator_traitsIS12_E10value_typeET2_T3_PNS13_IS18_E10value_typeET4_jRbjT5_S1E_jjP12ihipStream_tbEUljE_ZNSN_ISO_Lb0ESQ_SR_ST_SU_SY_EESZ_S10_S11_S12_S16_S17_S18_S1B_S1C_jS1D_jS1E_S1E_jjS1G_bEUljE0_EEESZ_S10_S11_S18_S1C_S1E_T6_T7_T9_mT8_S1G_bDpT10_ENKUlT_T0_E_clISt17integral_constantIbLb0EES1T_IbLb1EEEEDaS1P_S1Q_EUlS1P_E_NS1_11comp_targetILNS1_3genE2ELNS1_11target_archE906ELNS1_3gpuE6ELNS1_3repE0EEENS1_30default_config_static_selectorELNS0_4arch9wavefront6targetE0EEEvS12_,"axG",@progbits,_ZN7rocprim17ROCPRIM_400000_NS6detail17trampoline_kernelINS0_13select_configILj256ELj13ELNS0_17block_load_methodE3ELS4_3ELS4_3ELNS0_20block_scan_algorithmE0ELj4294967295EEENS1_25partition_config_selectorILNS1_17partition_subalgoE4EjNS0_10empty_typeEbEEZZNS1_14partition_implILS8_4ELb0ES6_15HIP_vector_typeIjLj2EENS0_17counting_iteratorIjlEEPS9_SG_NS0_5tupleIJPjSI_NS0_16reverse_iteratorISI_EEEEENSH_IJSG_SG_SG_EEES9_SI_JZNS1_25segmented_radix_sort_implINS0_14default_configELb0EPKbPbPKlPlN2at6native12_GLOBAL__N_18offset_tEEE10hipError_tPvRmT1_PNSt15iterator_traitsIS12_E10value_typeET2_T3_PNS13_IS18_E10value_typeET4_jRbjT5_S1E_jjP12ihipStream_tbEUljE_ZNSN_ISO_Lb0ESQ_SR_ST_SU_SY_EESZ_S10_S11_S12_S16_S17_S18_S1B_S1C_jS1D_jS1E_S1E_jjS1G_bEUljE0_EEESZ_S10_S11_S18_S1C_S1E_T6_T7_T9_mT8_S1G_bDpT10_ENKUlT_T0_E_clISt17integral_constantIbLb0EES1T_IbLb1EEEEDaS1P_S1Q_EUlS1P_E_NS1_11comp_targetILNS1_3genE2ELNS1_11target_archE906ELNS1_3gpuE6ELNS1_3repE0EEENS1_30default_config_static_selectorELNS0_4arch9wavefront6targetE0EEEvS12_,comdat
.Lfunc_end1599:
	.size	_ZN7rocprim17ROCPRIM_400000_NS6detail17trampoline_kernelINS0_13select_configILj256ELj13ELNS0_17block_load_methodE3ELS4_3ELS4_3ELNS0_20block_scan_algorithmE0ELj4294967295EEENS1_25partition_config_selectorILNS1_17partition_subalgoE4EjNS0_10empty_typeEbEEZZNS1_14partition_implILS8_4ELb0ES6_15HIP_vector_typeIjLj2EENS0_17counting_iteratorIjlEEPS9_SG_NS0_5tupleIJPjSI_NS0_16reverse_iteratorISI_EEEEENSH_IJSG_SG_SG_EEES9_SI_JZNS1_25segmented_radix_sort_implINS0_14default_configELb0EPKbPbPKlPlN2at6native12_GLOBAL__N_18offset_tEEE10hipError_tPvRmT1_PNSt15iterator_traitsIS12_E10value_typeET2_T3_PNS13_IS18_E10value_typeET4_jRbjT5_S1E_jjP12ihipStream_tbEUljE_ZNSN_ISO_Lb0ESQ_SR_ST_SU_SY_EESZ_S10_S11_S12_S16_S17_S18_S1B_S1C_jS1D_jS1E_S1E_jjS1G_bEUljE0_EEESZ_S10_S11_S18_S1C_S1E_T6_T7_T9_mT8_S1G_bDpT10_ENKUlT_T0_E_clISt17integral_constantIbLb0EES1T_IbLb1EEEEDaS1P_S1Q_EUlS1P_E_NS1_11comp_targetILNS1_3genE2ELNS1_11target_archE906ELNS1_3gpuE6ELNS1_3repE0EEENS1_30default_config_static_selectorELNS0_4arch9wavefront6targetE0EEEvS12_, .Lfunc_end1599-_ZN7rocprim17ROCPRIM_400000_NS6detail17trampoline_kernelINS0_13select_configILj256ELj13ELNS0_17block_load_methodE3ELS4_3ELS4_3ELNS0_20block_scan_algorithmE0ELj4294967295EEENS1_25partition_config_selectorILNS1_17partition_subalgoE4EjNS0_10empty_typeEbEEZZNS1_14partition_implILS8_4ELb0ES6_15HIP_vector_typeIjLj2EENS0_17counting_iteratorIjlEEPS9_SG_NS0_5tupleIJPjSI_NS0_16reverse_iteratorISI_EEEEENSH_IJSG_SG_SG_EEES9_SI_JZNS1_25segmented_radix_sort_implINS0_14default_configELb0EPKbPbPKlPlN2at6native12_GLOBAL__N_18offset_tEEE10hipError_tPvRmT1_PNSt15iterator_traitsIS12_E10value_typeET2_T3_PNS13_IS18_E10value_typeET4_jRbjT5_S1E_jjP12ihipStream_tbEUljE_ZNSN_ISO_Lb0ESQ_SR_ST_SU_SY_EESZ_S10_S11_S12_S16_S17_S18_S1B_S1C_jS1D_jS1E_S1E_jjS1G_bEUljE0_EEESZ_S10_S11_S18_S1C_S1E_T6_T7_T9_mT8_S1G_bDpT10_ENKUlT_T0_E_clISt17integral_constantIbLb0EES1T_IbLb1EEEEDaS1P_S1Q_EUlS1P_E_NS1_11comp_targetILNS1_3genE2ELNS1_11target_archE906ELNS1_3gpuE6ELNS1_3repE0EEENS1_30default_config_static_selectorELNS0_4arch9wavefront6targetE0EEEvS12_
                                        ; -- End function
	.section	.AMDGPU.csdata,"",@progbits
; Kernel info:
; codeLenInByte = 0
; NumSgprs: 0
; NumVgprs: 0
; ScratchSize: 0
; MemoryBound: 0
; FloatMode: 240
; IeeeMode: 1
; LDSByteSize: 0 bytes/workgroup (compile time only)
; SGPRBlocks: 0
; VGPRBlocks: 0
; NumSGPRsForWavesPerEU: 1
; NumVGPRsForWavesPerEU: 1
; Occupancy: 16
; WaveLimiterHint : 0
; COMPUTE_PGM_RSRC2:SCRATCH_EN: 0
; COMPUTE_PGM_RSRC2:USER_SGPR: 15
; COMPUTE_PGM_RSRC2:TRAP_HANDLER: 0
; COMPUTE_PGM_RSRC2:TGID_X_EN: 1
; COMPUTE_PGM_RSRC2:TGID_Y_EN: 0
; COMPUTE_PGM_RSRC2:TGID_Z_EN: 0
; COMPUTE_PGM_RSRC2:TIDIG_COMP_CNT: 0
	.section	.text._ZN7rocprim17ROCPRIM_400000_NS6detail17trampoline_kernelINS0_13select_configILj256ELj13ELNS0_17block_load_methodE3ELS4_3ELS4_3ELNS0_20block_scan_algorithmE0ELj4294967295EEENS1_25partition_config_selectorILNS1_17partition_subalgoE4EjNS0_10empty_typeEbEEZZNS1_14partition_implILS8_4ELb0ES6_15HIP_vector_typeIjLj2EENS0_17counting_iteratorIjlEEPS9_SG_NS0_5tupleIJPjSI_NS0_16reverse_iteratorISI_EEEEENSH_IJSG_SG_SG_EEES9_SI_JZNS1_25segmented_radix_sort_implINS0_14default_configELb0EPKbPbPKlPlN2at6native12_GLOBAL__N_18offset_tEEE10hipError_tPvRmT1_PNSt15iterator_traitsIS12_E10value_typeET2_T3_PNS13_IS18_E10value_typeET4_jRbjT5_S1E_jjP12ihipStream_tbEUljE_ZNSN_ISO_Lb0ESQ_SR_ST_SU_SY_EESZ_S10_S11_S12_S16_S17_S18_S1B_S1C_jS1D_jS1E_S1E_jjS1G_bEUljE0_EEESZ_S10_S11_S18_S1C_S1E_T6_T7_T9_mT8_S1G_bDpT10_ENKUlT_T0_E_clISt17integral_constantIbLb0EES1T_IbLb1EEEEDaS1P_S1Q_EUlS1P_E_NS1_11comp_targetILNS1_3genE10ELNS1_11target_archE1200ELNS1_3gpuE4ELNS1_3repE0EEENS1_30default_config_static_selectorELNS0_4arch9wavefront6targetE0EEEvS12_,"axG",@progbits,_ZN7rocprim17ROCPRIM_400000_NS6detail17trampoline_kernelINS0_13select_configILj256ELj13ELNS0_17block_load_methodE3ELS4_3ELS4_3ELNS0_20block_scan_algorithmE0ELj4294967295EEENS1_25partition_config_selectorILNS1_17partition_subalgoE4EjNS0_10empty_typeEbEEZZNS1_14partition_implILS8_4ELb0ES6_15HIP_vector_typeIjLj2EENS0_17counting_iteratorIjlEEPS9_SG_NS0_5tupleIJPjSI_NS0_16reverse_iteratorISI_EEEEENSH_IJSG_SG_SG_EEES9_SI_JZNS1_25segmented_radix_sort_implINS0_14default_configELb0EPKbPbPKlPlN2at6native12_GLOBAL__N_18offset_tEEE10hipError_tPvRmT1_PNSt15iterator_traitsIS12_E10value_typeET2_T3_PNS13_IS18_E10value_typeET4_jRbjT5_S1E_jjP12ihipStream_tbEUljE_ZNSN_ISO_Lb0ESQ_SR_ST_SU_SY_EESZ_S10_S11_S12_S16_S17_S18_S1B_S1C_jS1D_jS1E_S1E_jjS1G_bEUljE0_EEESZ_S10_S11_S18_S1C_S1E_T6_T7_T9_mT8_S1G_bDpT10_ENKUlT_T0_E_clISt17integral_constantIbLb0EES1T_IbLb1EEEEDaS1P_S1Q_EUlS1P_E_NS1_11comp_targetILNS1_3genE10ELNS1_11target_archE1200ELNS1_3gpuE4ELNS1_3repE0EEENS1_30default_config_static_selectorELNS0_4arch9wavefront6targetE0EEEvS12_,comdat
	.globl	_ZN7rocprim17ROCPRIM_400000_NS6detail17trampoline_kernelINS0_13select_configILj256ELj13ELNS0_17block_load_methodE3ELS4_3ELS4_3ELNS0_20block_scan_algorithmE0ELj4294967295EEENS1_25partition_config_selectorILNS1_17partition_subalgoE4EjNS0_10empty_typeEbEEZZNS1_14partition_implILS8_4ELb0ES6_15HIP_vector_typeIjLj2EENS0_17counting_iteratorIjlEEPS9_SG_NS0_5tupleIJPjSI_NS0_16reverse_iteratorISI_EEEEENSH_IJSG_SG_SG_EEES9_SI_JZNS1_25segmented_radix_sort_implINS0_14default_configELb0EPKbPbPKlPlN2at6native12_GLOBAL__N_18offset_tEEE10hipError_tPvRmT1_PNSt15iterator_traitsIS12_E10value_typeET2_T3_PNS13_IS18_E10value_typeET4_jRbjT5_S1E_jjP12ihipStream_tbEUljE_ZNSN_ISO_Lb0ESQ_SR_ST_SU_SY_EESZ_S10_S11_S12_S16_S17_S18_S1B_S1C_jS1D_jS1E_S1E_jjS1G_bEUljE0_EEESZ_S10_S11_S18_S1C_S1E_T6_T7_T9_mT8_S1G_bDpT10_ENKUlT_T0_E_clISt17integral_constantIbLb0EES1T_IbLb1EEEEDaS1P_S1Q_EUlS1P_E_NS1_11comp_targetILNS1_3genE10ELNS1_11target_archE1200ELNS1_3gpuE4ELNS1_3repE0EEENS1_30default_config_static_selectorELNS0_4arch9wavefront6targetE0EEEvS12_ ; -- Begin function _ZN7rocprim17ROCPRIM_400000_NS6detail17trampoline_kernelINS0_13select_configILj256ELj13ELNS0_17block_load_methodE3ELS4_3ELS4_3ELNS0_20block_scan_algorithmE0ELj4294967295EEENS1_25partition_config_selectorILNS1_17partition_subalgoE4EjNS0_10empty_typeEbEEZZNS1_14partition_implILS8_4ELb0ES6_15HIP_vector_typeIjLj2EENS0_17counting_iteratorIjlEEPS9_SG_NS0_5tupleIJPjSI_NS0_16reverse_iteratorISI_EEEEENSH_IJSG_SG_SG_EEES9_SI_JZNS1_25segmented_radix_sort_implINS0_14default_configELb0EPKbPbPKlPlN2at6native12_GLOBAL__N_18offset_tEEE10hipError_tPvRmT1_PNSt15iterator_traitsIS12_E10value_typeET2_T3_PNS13_IS18_E10value_typeET4_jRbjT5_S1E_jjP12ihipStream_tbEUljE_ZNSN_ISO_Lb0ESQ_SR_ST_SU_SY_EESZ_S10_S11_S12_S16_S17_S18_S1B_S1C_jS1D_jS1E_S1E_jjS1G_bEUljE0_EEESZ_S10_S11_S18_S1C_S1E_T6_T7_T9_mT8_S1G_bDpT10_ENKUlT_T0_E_clISt17integral_constantIbLb0EES1T_IbLb1EEEEDaS1P_S1Q_EUlS1P_E_NS1_11comp_targetILNS1_3genE10ELNS1_11target_archE1200ELNS1_3gpuE4ELNS1_3repE0EEENS1_30default_config_static_selectorELNS0_4arch9wavefront6targetE0EEEvS12_
	.p2align	8
	.type	_ZN7rocprim17ROCPRIM_400000_NS6detail17trampoline_kernelINS0_13select_configILj256ELj13ELNS0_17block_load_methodE3ELS4_3ELS4_3ELNS0_20block_scan_algorithmE0ELj4294967295EEENS1_25partition_config_selectorILNS1_17partition_subalgoE4EjNS0_10empty_typeEbEEZZNS1_14partition_implILS8_4ELb0ES6_15HIP_vector_typeIjLj2EENS0_17counting_iteratorIjlEEPS9_SG_NS0_5tupleIJPjSI_NS0_16reverse_iteratorISI_EEEEENSH_IJSG_SG_SG_EEES9_SI_JZNS1_25segmented_radix_sort_implINS0_14default_configELb0EPKbPbPKlPlN2at6native12_GLOBAL__N_18offset_tEEE10hipError_tPvRmT1_PNSt15iterator_traitsIS12_E10value_typeET2_T3_PNS13_IS18_E10value_typeET4_jRbjT5_S1E_jjP12ihipStream_tbEUljE_ZNSN_ISO_Lb0ESQ_SR_ST_SU_SY_EESZ_S10_S11_S12_S16_S17_S18_S1B_S1C_jS1D_jS1E_S1E_jjS1G_bEUljE0_EEESZ_S10_S11_S18_S1C_S1E_T6_T7_T9_mT8_S1G_bDpT10_ENKUlT_T0_E_clISt17integral_constantIbLb0EES1T_IbLb1EEEEDaS1P_S1Q_EUlS1P_E_NS1_11comp_targetILNS1_3genE10ELNS1_11target_archE1200ELNS1_3gpuE4ELNS1_3repE0EEENS1_30default_config_static_selectorELNS0_4arch9wavefront6targetE0EEEvS12_,@function
_ZN7rocprim17ROCPRIM_400000_NS6detail17trampoline_kernelINS0_13select_configILj256ELj13ELNS0_17block_load_methodE3ELS4_3ELS4_3ELNS0_20block_scan_algorithmE0ELj4294967295EEENS1_25partition_config_selectorILNS1_17partition_subalgoE4EjNS0_10empty_typeEbEEZZNS1_14partition_implILS8_4ELb0ES6_15HIP_vector_typeIjLj2EENS0_17counting_iteratorIjlEEPS9_SG_NS0_5tupleIJPjSI_NS0_16reverse_iteratorISI_EEEEENSH_IJSG_SG_SG_EEES9_SI_JZNS1_25segmented_radix_sort_implINS0_14default_configELb0EPKbPbPKlPlN2at6native12_GLOBAL__N_18offset_tEEE10hipError_tPvRmT1_PNSt15iterator_traitsIS12_E10value_typeET2_T3_PNS13_IS18_E10value_typeET4_jRbjT5_S1E_jjP12ihipStream_tbEUljE_ZNSN_ISO_Lb0ESQ_SR_ST_SU_SY_EESZ_S10_S11_S12_S16_S17_S18_S1B_S1C_jS1D_jS1E_S1E_jjS1G_bEUljE0_EEESZ_S10_S11_S18_S1C_S1E_T6_T7_T9_mT8_S1G_bDpT10_ENKUlT_T0_E_clISt17integral_constantIbLb0EES1T_IbLb1EEEEDaS1P_S1Q_EUlS1P_E_NS1_11comp_targetILNS1_3genE10ELNS1_11target_archE1200ELNS1_3gpuE4ELNS1_3repE0EEENS1_30default_config_static_selectorELNS0_4arch9wavefront6targetE0EEEvS12_: ; @_ZN7rocprim17ROCPRIM_400000_NS6detail17trampoline_kernelINS0_13select_configILj256ELj13ELNS0_17block_load_methodE3ELS4_3ELS4_3ELNS0_20block_scan_algorithmE0ELj4294967295EEENS1_25partition_config_selectorILNS1_17partition_subalgoE4EjNS0_10empty_typeEbEEZZNS1_14partition_implILS8_4ELb0ES6_15HIP_vector_typeIjLj2EENS0_17counting_iteratorIjlEEPS9_SG_NS0_5tupleIJPjSI_NS0_16reverse_iteratorISI_EEEEENSH_IJSG_SG_SG_EEES9_SI_JZNS1_25segmented_radix_sort_implINS0_14default_configELb0EPKbPbPKlPlN2at6native12_GLOBAL__N_18offset_tEEE10hipError_tPvRmT1_PNSt15iterator_traitsIS12_E10value_typeET2_T3_PNS13_IS18_E10value_typeET4_jRbjT5_S1E_jjP12ihipStream_tbEUljE_ZNSN_ISO_Lb0ESQ_SR_ST_SU_SY_EESZ_S10_S11_S12_S16_S17_S18_S1B_S1C_jS1D_jS1E_S1E_jjS1G_bEUljE0_EEESZ_S10_S11_S18_S1C_S1E_T6_T7_T9_mT8_S1G_bDpT10_ENKUlT_T0_E_clISt17integral_constantIbLb0EES1T_IbLb1EEEEDaS1P_S1Q_EUlS1P_E_NS1_11comp_targetILNS1_3genE10ELNS1_11target_archE1200ELNS1_3gpuE4ELNS1_3repE0EEENS1_30default_config_static_selectorELNS0_4arch9wavefront6targetE0EEEvS12_
; %bb.0:
	.section	.rodata,"a",@progbits
	.p2align	6, 0x0
	.amdhsa_kernel _ZN7rocprim17ROCPRIM_400000_NS6detail17trampoline_kernelINS0_13select_configILj256ELj13ELNS0_17block_load_methodE3ELS4_3ELS4_3ELNS0_20block_scan_algorithmE0ELj4294967295EEENS1_25partition_config_selectorILNS1_17partition_subalgoE4EjNS0_10empty_typeEbEEZZNS1_14partition_implILS8_4ELb0ES6_15HIP_vector_typeIjLj2EENS0_17counting_iteratorIjlEEPS9_SG_NS0_5tupleIJPjSI_NS0_16reverse_iteratorISI_EEEEENSH_IJSG_SG_SG_EEES9_SI_JZNS1_25segmented_radix_sort_implINS0_14default_configELb0EPKbPbPKlPlN2at6native12_GLOBAL__N_18offset_tEEE10hipError_tPvRmT1_PNSt15iterator_traitsIS12_E10value_typeET2_T3_PNS13_IS18_E10value_typeET4_jRbjT5_S1E_jjP12ihipStream_tbEUljE_ZNSN_ISO_Lb0ESQ_SR_ST_SU_SY_EESZ_S10_S11_S12_S16_S17_S18_S1B_S1C_jS1D_jS1E_S1E_jjS1G_bEUljE0_EEESZ_S10_S11_S18_S1C_S1E_T6_T7_T9_mT8_S1G_bDpT10_ENKUlT_T0_E_clISt17integral_constantIbLb0EES1T_IbLb1EEEEDaS1P_S1Q_EUlS1P_E_NS1_11comp_targetILNS1_3genE10ELNS1_11target_archE1200ELNS1_3gpuE4ELNS1_3repE0EEENS1_30default_config_static_selectorELNS0_4arch9wavefront6targetE0EEEvS12_
		.amdhsa_group_segment_fixed_size 0
		.amdhsa_private_segment_fixed_size 0
		.amdhsa_kernarg_size 184
		.amdhsa_user_sgpr_count 15
		.amdhsa_user_sgpr_dispatch_ptr 0
		.amdhsa_user_sgpr_queue_ptr 0
		.amdhsa_user_sgpr_kernarg_segment_ptr 1
		.amdhsa_user_sgpr_dispatch_id 0
		.amdhsa_user_sgpr_private_segment_size 0
		.amdhsa_wavefront_size32 1
		.amdhsa_uses_dynamic_stack 0
		.amdhsa_enable_private_segment 0
		.amdhsa_system_sgpr_workgroup_id_x 1
		.amdhsa_system_sgpr_workgroup_id_y 0
		.amdhsa_system_sgpr_workgroup_id_z 0
		.amdhsa_system_sgpr_workgroup_info 0
		.amdhsa_system_vgpr_workitem_id 0
		.amdhsa_next_free_vgpr 1
		.amdhsa_next_free_sgpr 1
		.amdhsa_reserve_vcc 0
		.amdhsa_float_round_mode_32 0
		.amdhsa_float_round_mode_16_64 0
		.amdhsa_float_denorm_mode_32 3
		.amdhsa_float_denorm_mode_16_64 3
		.amdhsa_dx10_clamp 1
		.amdhsa_ieee_mode 1
		.amdhsa_fp16_overflow 0
		.amdhsa_workgroup_processor_mode 1
		.amdhsa_memory_ordered 1
		.amdhsa_forward_progress 0
		.amdhsa_shared_vgpr_count 0
		.amdhsa_exception_fp_ieee_invalid_op 0
		.amdhsa_exception_fp_denorm_src 0
		.amdhsa_exception_fp_ieee_div_zero 0
		.amdhsa_exception_fp_ieee_overflow 0
		.amdhsa_exception_fp_ieee_underflow 0
		.amdhsa_exception_fp_ieee_inexact 0
		.amdhsa_exception_int_div_zero 0
	.end_amdhsa_kernel
	.section	.text._ZN7rocprim17ROCPRIM_400000_NS6detail17trampoline_kernelINS0_13select_configILj256ELj13ELNS0_17block_load_methodE3ELS4_3ELS4_3ELNS0_20block_scan_algorithmE0ELj4294967295EEENS1_25partition_config_selectorILNS1_17partition_subalgoE4EjNS0_10empty_typeEbEEZZNS1_14partition_implILS8_4ELb0ES6_15HIP_vector_typeIjLj2EENS0_17counting_iteratorIjlEEPS9_SG_NS0_5tupleIJPjSI_NS0_16reverse_iteratorISI_EEEEENSH_IJSG_SG_SG_EEES9_SI_JZNS1_25segmented_radix_sort_implINS0_14default_configELb0EPKbPbPKlPlN2at6native12_GLOBAL__N_18offset_tEEE10hipError_tPvRmT1_PNSt15iterator_traitsIS12_E10value_typeET2_T3_PNS13_IS18_E10value_typeET4_jRbjT5_S1E_jjP12ihipStream_tbEUljE_ZNSN_ISO_Lb0ESQ_SR_ST_SU_SY_EESZ_S10_S11_S12_S16_S17_S18_S1B_S1C_jS1D_jS1E_S1E_jjS1G_bEUljE0_EEESZ_S10_S11_S18_S1C_S1E_T6_T7_T9_mT8_S1G_bDpT10_ENKUlT_T0_E_clISt17integral_constantIbLb0EES1T_IbLb1EEEEDaS1P_S1Q_EUlS1P_E_NS1_11comp_targetILNS1_3genE10ELNS1_11target_archE1200ELNS1_3gpuE4ELNS1_3repE0EEENS1_30default_config_static_selectorELNS0_4arch9wavefront6targetE0EEEvS12_,"axG",@progbits,_ZN7rocprim17ROCPRIM_400000_NS6detail17trampoline_kernelINS0_13select_configILj256ELj13ELNS0_17block_load_methodE3ELS4_3ELS4_3ELNS0_20block_scan_algorithmE0ELj4294967295EEENS1_25partition_config_selectorILNS1_17partition_subalgoE4EjNS0_10empty_typeEbEEZZNS1_14partition_implILS8_4ELb0ES6_15HIP_vector_typeIjLj2EENS0_17counting_iteratorIjlEEPS9_SG_NS0_5tupleIJPjSI_NS0_16reverse_iteratorISI_EEEEENSH_IJSG_SG_SG_EEES9_SI_JZNS1_25segmented_radix_sort_implINS0_14default_configELb0EPKbPbPKlPlN2at6native12_GLOBAL__N_18offset_tEEE10hipError_tPvRmT1_PNSt15iterator_traitsIS12_E10value_typeET2_T3_PNS13_IS18_E10value_typeET4_jRbjT5_S1E_jjP12ihipStream_tbEUljE_ZNSN_ISO_Lb0ESQ_SR_ST_SU_SY_EESZ_S10_S11_S12_S16_S17_S18_S1B_S1C_jS1D_jS1E_S1E_jjS1G_bEUljE0_EEESZ_S10_S11_S18_S1C_S1E_T6_T7_T9_mT8_S1G_bDpT10_ENKUlT_T0_E_clISt17integral_constantIbLb0EES1T_IbLb1EEEEDaS1P_S1Q_EUlS1P_E_NS1_11comp_targetILNS1_3genE10ELNS1_11target_archE1200ELNS1_3gpuE4ELNS1_3repE0EEENS1_30default_config_static_selectorELNS0_4arch9wavefront6targetE0EEEvS12_,comdat
.Lfunc_end1600:
	.size	_ZN7rocprim17ROCPRIM_400000_NS6detail17trampoline_kernelINS0_13select_configILj256ELj13ELNS0_17block_load_methodE3ELS4_3ELS4_3ELNS0_20block_scan_algorithmE0ELj4294967295EEENS1_25partition_config_selectorILNS1_17partition_subalgoE4EjNS0_10empty_typeEbEEZZNS1_14partition_implILS8_4ELb0ES6_15HIP_vector_typeIjLj2EENS0_17counting_iteratorIjlEEPS9_SG_NS0_5tupleIJPjSI_NS0_16reverse_iteratorISI_EEEEENSH_IJSG_SG_SG_EEES9_SI_JZNS1_25segmented_radix_sort_implINS0_14default_configELb0EPKbPbPKlPlN2at6native12_GLOBAL__N_18offset_tEEE10hipError_tPvRmT1_PNSt15iterator_traitsIS12_E10value_typeET2_T3_PNS13_IS18_E10value_typeET4_jRbjT5_S1E_jjP12ihipStream_tbEUljE_ZNSN_ISO_Lb0ESQ_SR_ST_SU_SY_EESZ_S10_S11_S12_S16_S17_S18_S1B_S1C_jS1D_jS1E_S1E_jjS1G_bEUljE0_EEESZ_S10_S11_S18_S1C_S1E_T6_T7_T9_mT8_S1G_bDpT10_ENKUlT_T0_E_clISt17integral_constantIbLb0EES1T_IbLb1EEEEDaS1P_S1Q_EUlS1P_E_NS1_11comp_targetILNS1_3genE10ELNS1_11target_archE1200ELNS1_3gpuE4ELNS1_3repE0EEENS1_30default_config_static_selectorELNS0_4arch9wavefront6targetE0EEEvS12_, .Lfunc_end1600-_ZN7rocprim17ROCPRIM_400000_NS6detail17trampoline_kernelINS0_13select_configILj256ELj13ELNS0_17block_load_methodE3ELS4_3ELS4_3ELNS0_20block_scan_algorithmE0ELj4294967295EEENS1_25partition_config_selectorILNS1_17partition_subalgoE4EjNS0_10empty_typeEbEEZZNS1_14partition_implILS8_4ELb0ES6_15HIP_vector_typeIjLj2EENS0_17counting_iteratorIjlEEPS9_SG_NS0_5tupleIJPjSI_NS0_16reverse_iteratorISI_EEEEENSH_IJSG_SG_SG_EEES9_SI_JZNS1_25segmented_radix_sort_implINS0_14default_configELb0EPKbPbPKlPlN2at6native12_GLOBAL__N_18offset_tEEE10hipError_tPvRmT1_PNSt15iterator_traitsIS12_E10value_typeET2_T3_PNS13_IS18_E10value_typeET4_jRbjT5_S1E_jjP12ihipStream_tbEUljE_ZNSN_ISO_Lb0ESQ_SR_ST_SU_SY_EESZ_S10_S11_S12_S16_S17_S18_S1B_S1C_jS1D_jS1E_S1E_jjS1G_bEUljE0_EEESZ_S10_S11_S18_S1C_S1E_T6_T7_T9_mT8_S1G_bDpT10_ENKUlT_T0_E_clISt17integral_constantIbLb0EES1T_IbLb1EEEEDaS1P_S1Q_EUlS1P_E_NS1_11comp_targetILNS1_3genE10ELNS1_11target_archE1200ELNS1_3gpuE4ELNS1_3repE0EEENS1_30default_config_static_selectorELNS0_4arch9wavefront6targetE0EEEvS12_
                                        ; -- End function
	.section	.AMDGPU.csdata,"",@progbits
; Kernel info:
; codeLenInByte = 0
; NumSgprs: 0
; NumVgprs: 0
; ScratchSize: 0
; MemoryBound: 0
; FloatMode: 240
; IeeeMode: 1
; LDSByteSize: 0 bytes/workgroup (compile time only)
; SGPRBlocks: 0
; VGPRBlocks: 0
; NumSGPRsForWavesPerEU: 1
; NumVGPRsForWavesPerEU: 1
; Occupancy: 16
; WaveLimiterHint : 0
; COMPUTE_PGM_RSRC2:SCRATCH_EN: 0
; COMPUTE_PGM_RSRC2:USER_SGPR: 15
; COMPUTE_PGM_RSRC2:TRAP_HANDLER: 0
; COMPUTE_PGM_RSRC2:TGID_X_EN: 1
; COMPUTE_PGM_RSRC2:TGID_Y_EN: 0
; COMPUTE_PGM_RSRC2:TGID_Z_EN: 0
; COMPUTE_PGM_RSRC2:TIDIG_COMP_CNT: 0
	.section	.text._ZN7rocprim17ROCPRIM_400000_NS6detail17trampoline_kernelINS0_13select_configILj256ELj13ELNS0_17block_load_methodE3ELS4_3ELS4_3ELNS0_20block_scan_algorithmE0ELj4294967295EEENS1_25partition_config_selectorILNS1_17partition_subalgoE4EjNS0_10empty_typeEbEEZZNS1_14partition_implILS8_4ELb0ES6_15HIP_vector_typeIjLj2EENS0_17counting_iteratorIjlEEPS9_SG_NS0_5tupleIJPjSI_NS0_16reverse_iteratorISI_EEEEENSH_IJSG_SG_SG_EEES9_SI_JZNS1_25segmented_radix_sort_implINS0_14default_configELb0EPKbPbPKlPlN2at6native12_GLOBAL__N_18offset_tEEE10hipError_tPvRmT1_PNSt15iterator_traitsIS12_E10value_typeET2_T3_PNS13_IS18_E10value_typeET4_jRbjT5_S1E_jjP12ihipStream_tbEUljE_ZNSN_ISO_Lb0ESQ_SR_ST_SU_SY_EESZ_S10_S11_S12_S16_S17_S18_S1B_S1C_jS1D_jS1E_S1E_jjS1G_bEUljE0_EEESZ_S10_S11_S18_S1C_S1E_T6_T7_T9_mT8_S1G_bDpT10_ENKUlT_T0_E_clISt17integral_constantIbLb0EES1T_IbLb1EEEEDaS1P_S1Q_EUlS1P_E_NS1_11comp_targetILNS1_3genE9ELNS1_11target_archE1100ELNS1_3gpuE3ELNS1_3repE0EEENS1_30default_config_static_selectorELNS0_4arch9wavefront6targetE0EEEvS12_,"axG",@progbits,_ZN7rocprim17ROCPRIM_400000_NS6detail17trampoline_kernelINS0_13select_configILj256ELj13ELNS0_17block_load_methodE3ELS4_3ELS4_3ELNS0_20block_scan_algorithmE0ELj4294967295EEENS1_25partition_config_selectorILNS1_17partition_subalgoE4EjNS0_10empty_typeEbEEZZNS1_14partition_implILS8_4ELb0ES6_15HIP_vector_typeIjLj2EENS0_17counting_iteratorIjlEEPS9_SG_NS0_5tupleIJPjSI_NS0_16reverse_iteratorISI_EEEEENSH_IJSG_SG_SG_EEES9_SI_JZNS1_25segmented_radix_sort_implINS0_14default_configELb0EPKbPbPKlPlN2at6native12_GLOBAL__N_18offset_tEEE10hipError_tPvRmT1_PNSt15iterator_traitsIS12_E10value_typeET2_T3_PNS13_IS18_E10value_typeET4_jRbjT5_S1E_jjP12ihipStream_tbEUljE_ZNSN_ISO_Lb0ESQ_SR_ST_SU_SY_EESZ_S10_S11_S12_S16_S17_S18_S1B_S1C_jS1D_jS1E_S1E_jjS1G_bEUljE0_EEESZ_S10_S11_S18_S1C_S1E_T6_T7_T9_mT8_S1G_bDpT10_ENKUlT_T0_E_clISt17integral_constantIbLb0EES1T_IbLb1EEEEDaS1P_S1Q_EUlS1P_E_NS1_11comp_targetILNS1_3genE9ELNS1_11target_archE1100ELNS1_3gpuE3ELNS1_3repE0EEENS1_30default_config_static_selectorELNS0_4arch9wavefront6targetE0EEEvS12_,comdat
	.globl	_ZN7rocprim17ROCPRIM_400000_NS6detail17trampoline_kernelINS0_13select_configILj256ELj13ELNS0_17block_load_methodE3ELS4_3ELS4_3ELNS0_20block_scan_algorithmE0ELj4294967295EEENS1_25partition_config_selectorILNS1_17partition_subalgoE4EjNS0_10empty_typeEbEEZZNS1_14partition_implILS8_4ELb0ES6_15HIP_vector_typeIjLj2EENS0_17counting_iteratorIjlEEPS9_SG_NS0_5tupleIJPjSI_NS0_16reverse_iteratorISI_EEEEENSH_IJSG_SG_SG_EEES9_SI_JZNS1_25segmented_radix_sort_implINS0_14default_configELb0EPKbPbPKlPlN2at6native12_GLOBAL__N_18offset_tEEE10hipError_tPvRmT1_PNSt15iterator_traitsIS12_E10value_typeET2_T3_PNS13_IS18_E10value_typeET4_jRbjT5_S1E_jjP12ihipStream_tbEUljE_ZNSN_ISO_Lb0ESQ_SR_ST_SU_SY_EESZ_S10_S11_S12_S16_S17_S18_S1B_S1C_jS1D_jS1E_S1E_jjS1G_bEUljE0_EEESZ_S10_S11_S18_S1C_S1E_T6_T7_T9_mT8_S1G_bDpT10_ENKUlT_T0_E_clISt17integral_constantIbLb0EES1T_IbLb1EEEEDaS1P_S1Q_EUlS1P_E_NS1_11comp_targetILNS1_3genE9ELNS1_11target_archE1100ELNS1_3gpuE3ELNS1_3repE0EEENS1_30default_config_static_selectorELNS0_4arch9wavefront6targetE0EEEvS12_ ; -- Begin function _ZN7rocprim17ROCPRIM_400000_NS6detail17trampoline_kernelINS0_13select_configILj256ELj13ELNS0_17block_load_methodE3ELS4_3ELS4_3ELNS0_20block_scan_algorithmE0ELj4294967295EEENS1_25partition_config_selectorILNS1_17partition_subalgoE4EjNS0_10empty_typeEbEEZZNS1_14partition_implILS8_4ELb0ES6_15HIP_vector_typeIjLj2EENS0_17counting_iteratorIjlEEPS9_SG_NS0_5tupleIJPjSI_NS0_16reverse_iteratorISI_EEEEENSH_IJSG_SG_SG_EEES9_SI_JZNS1_25segmented_radix_sort_implINS0_14default_configELb0EPKbPbPKlPlN2at6native12_GLOBAL__N_18offset_tEEE10hipError_tPvRmT1_PNSt15iterator_traitsIS12_E10value_typeET2_T3_PNS13_IS18_E10value_typeET4_jRbjT5_S1E_jjP12ihipStream_tbEUljE_ZNSN_ISO_Lb0ESQ_SR_ST_SU_SY_EESZ_S10_S11_S12_S16_S17_S18_S1B_S1C_jS1D_jS1E_S1E_jjS1G_bEUljE0_EEESZ_S10_S11_S18_S1C_S1E_T6_T7_T9_mT8_S1G_bDpT10_ENKUlT_T0_E_clISt17integral_constantIbLb0EES1T_IbLb1EEEEDaS1P_S1Q_EUlS1P_E_NS1_11comp_targetILNS1_3genE9ELNS1_11target_archE1100ELNS1_3gpuE3ELNS1_3repE0EEENS1_30default_config_static_selectorELNS0_4arch9wavefront6targetE0EEEvS12_
	.p2align	8
	.type	_ZN7rocprim17ROCPRIM_400000_NS6detail17trampoline_kernelINS0_13select_configILj256ELj13ELNS0_17block_load_methodE3ELS4_3ELS4_3ELNS0_20block_scan_algorithmE0ELj4294967295EEENS1_25partition_config_selectorILNS1_17partition_subalgoE4EjNS0_10empty_typeEbEEZZNS1_14partition_implILS8_4ELb0ES6_15HIP_vector_typeIjLj2EENS0_17counting_iteratorIjlEEPS9_SG_NS0_5tupleIJPjSI_NS0_16reverse_iteratorISI_EEEEENSH_IJSG_SG_SG_EEES9_SI_JZNS1_25segmented_radix_sort_implINS0_14default_configELb0EPKbPbPKlPlN2at6native12_GLOBAL__N_18offset_tEEE10hipError_tPvRmT1_PNSt15iterator_traitsIS12_E10value_typeET2_T3_PNS13_IS18_E10value_typeET4_jRbjT5_S1E_jjP12ihipStream_tbEUljE_ZNSN_ISO_Lb0ESQ_SR_ST_SU_SY_EESZ_S10_S11_S12_S16_S17_S18_S1B_S1C_jS1D_jS1E_S1E_jjS1G_bEUljE0_EEESZ_S10_S11_S18_S1C_S1E_T6_T7_T9_mT8_S1G_bDpT10_ENKUlT_T0_E_clISt17integral_constantIbLb0EES1T_IbLb1EEEEDaS1P_S1Q_EUlS1P_E_NS1_11comp_targetILNS1_3genE9ELNS1_11target_archE1100ELNS1_3gpuE3ELNS1_3repE0EEENS1_30default_config_static_selectorELNS0_4arch9wavefront6targetE0EEEvS12_,@function
_ZN7rocprim17ROCPRIM_400000_NS6detail17trampoline_kernelINS0_13select_configILj256ELj13ELNS0_17block_load_methodE3ELS4_3ELS4_3ELNS0_20block_scan_algorithmE0ELj4294967295EEENS1_25partition_config_selectorILNS1_17partition_subalgoE4EjNS0_10empty_typeEbEEZZNS1_14partition_implILS8_4ELb0ES6_15HIP_vector_typeIjLj2EENS0_17counting_iteratorIjlEEPS9_SG_NS0_5tupleIJPjSI_NS0_16reverse_iteratorISI_EEEEENSH_IJSG_SG_SG_EEES9_SI_JZNS1_25segmented_radix_sort_implINS0_14default_configELb0EPKbPbPKlPlN2at6native12_GLOBAL__N_18offset_tEEE10hipError_tPvRmT1_PNSt15iterator_traitsIS12_E10value_typeET2_T3_PNS13_IS18_E10value_typeET4_jRbjT5_S1E_jjP12ihipStream_tbEUljE_ZNSN_ISO_Lb0ESQ_SR_ST_SU_SY_EESZ_S10_S11_S12_S16_S17_S18_S1B_S1C_jS1D_jS1E_S1E_jjS1G_bEUljE0_EEESZ_S10_S11_S18_S1C_S1E_T6_T7_T9_mT8_S1G_bDpT10_ENKUlT_T0_E_clISt17integral_constantIbLb0EES1T_IbLb1EEEEDaS1P_S1Q_EUlS1P_E_NS1_11comp_targetILNS1_3genE9ELNS1_11target_archE1100ELNS1_3gpuE3ELNS1_3repE0EEENS1_30default_config_static_selectorELNS0_4arch9wavefront6targetE0EEEvS12_: ; @_ZN7rocprim17ROCPRIM_400000_NS6detail17trampoline_kernelINS0_13select_configILj256ELj13ELNS0_17block_load_methodE3ELS4_3ELS4_3ELNS0_20block_scan_algorithmE0ELj4294967295EEENS1_25partition_config_selectorILNS1_17partition_subalgoE4EjNS0_10empty_typeEbEEZZNS1_14partition_implILS8_4ELb0ES6_15HIP_vector_typeIjLj2EENS0_17counting_iteratorIjlEEPS9_SG_NS0_5tupleIJPjSI_NS0_16reverse_iteratorISI_EEEEENSH_IJSG_SG_SG_EEES9_SI_JZNS1_25segmented_radix_sort_implINS0_14default_configELb0EPKbPbPKlPlN2at6native12_GLOBAL__N_18offset_tEEE10hipError_tPvRmT1_PNSt15iterator_traitsIS12_E10value_typeET2_T3_PNS13_IS18_E10value_typeET4_jRbjT5_S1E_jjP12ihipStream_tbEUljE_ZNSN_ISO_Lb0ESQ_SR_ST_SU_SY_EESZ_S10_S11_S12_S16_S17_S18_S1B_S1C_jS1D_jS1E_S1E_jjS1G_bEUljE0_EEESZ_S10_S11_S18_S1C_S1E_T6_T7_T9_mT8_S1G_bDpT10_ENKUlT_T0_E_clISt17integral_constantIbLb0EES1T_IbLb1EEEEDaS1P_S1Q_EUlS1P_E_NS1_11comp_targetILNS1_3genE9ELNS1_11target_archE1100ELNS1_3gpuE3ELNS1_3repE0EEENS1_30default_config_static_selectorELNS0_4arch9wavefront6targetE0EEEvS12_
; %bb.0:
	s_clause 0x7
	s_load_b64 s[34:35], s[0:1], 0x10
	s_load_b128 s[28:31], s[0:1], 0x28
	s_load_b64 s[14:15], s[0:1], 0x38
	s_load_b128 s[24:27], s[0:1], 0x58
	s_load_b64 s[4:5], s[0:1], 0x68
	s_load_b64 s[36:37], s[0:1], 0x78
	;; [unrolled: 1-line block ×3, first 2 shown]
	s_load_b256 s[16:23], s[0:1], 0x90
	v_cmp_eq_u32_e64 s2, 0, v0
	s_delay_alu instid0(VALU_DEP_1)
	s_and_saveexec_b32 s3, s2
	s_cbranch_execz .LBB1601_4
; %bb.1:
	s_mov_b32 s7, exec_lo
	s_mov_b32 s6, exec_lo
	v_mbcnt_lo_u32_b32 v1, s7, 0
                                        ; implicit-def: $vgpr2
	s_delay_alu instid0(VALU_DEP_1)
	v_cmpx_eq_u32_e32 0, v1
	s_cbranch_execz .LBB1601_3
; %bb.2:
	s_load_b64 s[8:9], s[0:1], 0x88
	s_bcnt1_i32_b32 s7, s7
	s_delay_alu instid0(SALU_CYCLE_1)
	v_dual_mov_b32 v2, 0 :: v_dual_mov_b32 v3, s7
	s_waitcnt lgkmcnt(0)
	global_atomic_add_u32 v2, v2, v3, s[8:9] glc
.LBB1601_3:
	s_or_b32 exec_lo, exec_lo, s6
	s_waitcnt vmcnt(0)
	v_readfirstlane_b32 s6, v2
	s_delay_alu instid0(VALU_DEP_1)
	v_dual_mov_b32 v2, 0 :: v_dual_add_nc_u32 v1, s6, v1
	ds_store_b32 v2, v1
.LBB1601_4:
	s_or_b32 exec_lo, exec_lo, s3
	v_mov_b32_e32 v1, 0
	s_clause 0x1
	s_load_b32 s3, s[0:1], 0x8
	s_load_b32 s0, s[0:1], 0x80
	s_waitcnt lgkmcnt(0)
	s_barrier
	buffer_gl0_inv
	ds_load_b32 v5, v1
	s_waitcnt lgkmcnt(0)
	s_barrier
	buffer_gl0_inv
	global_load_b128 v[1:4], v1, s[26:27]
	s_add_i32 s3, s3, s34
	s_mul_i32 s1, s0, 0xd00
	s_add_i32 s0, s0, -1
	s_add_u32 s6, s34, s1
	s_addc_u32 s7, s35, 0
	v_mul_lo_u32 v30, 0xd00, v5
	v_readfirstlane_b32 s26, v5
	v_cmp_lt_u64_e64 s5, s[6:7], s[4:5]
	v_cmp_ne_u32_e32 vcc_lo, s0, v5
	s_delay_alu instid0(VALU_DEP_3) | instskip(SKIP_1) | instid1(VALU_DEP_4)
	s_cmp_eq_u32 s26, s0
	s_cselect_b32 s13, -1, 0
	v_add3_u32 v5, v30, s3, v0
	s_delay_alu instid0(VALU_DEP_3) | instskip(SKIP_2) | instid1(VALU_DEP_1)
	s_or_b32 s0, s5, vcc_lo
	s_mov_b32 s3, -1
	s_and_b32 vcc_lo, exec_lo, s0
	v_add_nc_u32_e32 v6, 0x100, v5
	v_add_nc_u32_e32 v7, 0x200, v5
	;; [unrolled: 1-line block ×12, first 2 shown]
	s_cbranch_vccz .LBB1601_6
; %bb.5:
	v_lshlrev_b32_e32 v18, 2, v0
	s_mov_b32 s3, 0
	ds_store_2addr_stride64_b32 v18, v5, v6 offset1:4
	ds_store_2addr_stride64_b32 v18, v7, v8 offset0:8 offset1:12
	ds_store_2addr_stride64_b32 v18, v9, v10 offset0:16 offset1:20
	ds_store_2addr_stride64_b32 v18, v11, v12 offset0:24 offset1:28
	ds_store_2addr_stride64_b32 v18, v13, v14 offset0:32 offset1:36
	ds_store_2addr_stride64_b32 v18, v15, v16 offset0:40 offset1:44
	ds_store_b32 v18, v17 offset:12288
	s_waitcnt vmcnt(0) lgkmcnt(0)
	s_barrier
.LBB1601_6:
	s_and_not1_b32 vcc_lo, exec_lo, s3
	s_add_i32 s1, s1, s34
	s_cbranch_vccnz .LBB1601_8
; %bb.7:
	v_lshlrev_b32_e32 v18, 2, v0
	ds_store_2addr_stride64_b32 v18, v5, v6 offset1:4
	ds_store_2addr_stride64_b32 v18, v7, v8 offset0:8 offset1:12
	ds_store_2addr_stride64_b32 v18, v9, v10 offset0:16 offset1:20
	;; [unrolled: 1-line block ×5, first 2 shown]
	ds_store_b32 v18, v17 offset:12288
	s_waitcnt vmcnt(0) lgkmcnt(0)
	s_barrier
.LBB1601_8:
	v_mul_u32_u24_e32 v33, 13, v0
	s_waitcnt vmcnt(0)
	buffer_gl0_inv
	v_cndmask_b32_e64 v31, 0, 1, s0
	s_sub_i32 s40, s4, s1
	s_and_not1_b32 vcc_lo, exec_lo, s0
	v_lshlrev_b32_e32 v5, 2, v33
	ds_load_2addr_b32 v[20:21], v5 offset1:1
	ds_load_2addr_b32 v[18:19], v5 offset0:2 offset1:3
	ds_load_2addr_b32 v[16:17], v5 offset0:4 offset1:5
	;; [unrolled: 1-line block ×5, first 2 shown]
	ds_load_b32 v32, v5 offset:48
	s_waitcnt lgkmcnt(0)
	s_barrier
	buffer_gl0_inv
	s_cbranch_vccnz .LBB1601_36
; %bb.9:
	v_add_nc_u32_e32 v5, s17, v20
	v_add_nc_u32_e32 v6, s19, v20
	s_mov_b32 s42, 0
	s_mov_b32 s41, 0
	s_mov_b32 s1, exec_lo
	v_mul_lo_u32 v5, v5, s16
	v_mul_lo_u32 v6, v6, s18
	s_delay_alu instid0(VALU_DEP_1) | instskip(NEXT) | instid1(VALU_DEP_1)
	v_sub_nc_u32_e32 v5, v5, v6
	v_cmp_lt_u32_e32 vcc_lo, s20, v5
	v_cmpx_ge_u32_e64 s20, v5
; %bb.10:
	v_add_nc_u32_e32 v5, s22, v20
	v_add_nc_u32_e32 v6, s38, v20
	s_delay_alu instid0(VALU_DEP_2) | instskip(NEXT) | instid1(VALU_DEP_2)
	v_mul_lo_u32 v5, v5, s21
	v_mul_lo_u32 v6, v6, s23
	s_delay_alu instid0(VALU_DEP_1) | instskip(NEXT) | instid1(VALU_DEP_1)
	v_sub_nc_u32_e32 v5, v5, v6
	v_cmp_lt_u32_e64 s0, s39, v5
	s_delay_alu instid0(VALU_DEP_1)
	s_and_b32 s41, s0, exec_lo
; %bb.11:
	s_or_b32 exec_lo, exec_lo, s1
	v_add_nc_u32_e32 v5, s17, v21
	v_add_nc_u32_e32 v6, s19, v21
	s_mov_b32 s3, exec_lo
	s_delay_alu instid0(VALU_DEP_2) | instskip(NEXT) | instid1(VALU_DEP_2)
	v_mul_lo_u32 v5, v5, s16
	v_mul_lo_u32 v6, v6, s18
	s_delay_alu instid0(VALU_DEP_1) | instskip(NEXT) | instid1(VALU_DEP_1)
	v_sub_nc_u32_e32 v5, v5, v6
	v_cmp_lt_u32_e64 s0, s20, v5
	v_cmpx_ge_u32_e64 s20, v5
; %bb.12:
	v_add_nc_u32_e32 v5, s22, v21
	v_add_nc_u32_e32 v6, s38, v21
	s_delay_alu instid0(VALU_DEP_2) | instskip(NEXT) | instid1(VALU_DEP_2)
	v_mul_lo_u32 v5, v5, s21
	v_mul_lo_u32 v6, v6, s23
	s_delay_alu instid0(VALU_DEP_1) | instskip(NEXT) | instid1(VALU_DEP_1)
	v_sub_nc_u32_e32 v5, v5, v6
	v_cmp_lt_u32_e64 s1, s39, v5
	s_delay_alu instid0(VALU_DEP_1)
	s_and_b32 s42, s1, exec_lo
; %bb.13:
	s_or_b32 exec_lo, exec_lo, s3
	v_add_nc_u32_e32 v5, s17, v18
	v_add_nc_u32_e32 v6, s19, v18
	s_mov_b32 s44, 0
	s_mov_b32 s43, 0
	s_mov_b32 s4, exec_lo
	v_mul_lo_u32 v5, v5, s16
	v_mul_lo_u32 v6, v6, s18
	s_delay_alu instid0(VALU_DEP_1) | instskip(NEXT) | instid1(VALU_DEP_1)
	v_sub_nc_u32_e32 v5, v5, v6
	v_cmp_lt_u32_e64 s1, s20, v5
	v_cmpx_ge_u32_e64 s20, v5
; %bb.14:
	v_add_nc_u32_e32 v5, s22, v18
	v_add_nc_u32_e32 v6, s38, v18
	s_delay_alu instid0(VALU_DEP_2) | instskip(NEXT) | instid1(VALU_DEP_2)
	v_mul_lo_u32 v5, v5, s21
	v_mul_lo_u32 v6, v6, s23
	s_delay_alu instid0(VALU_DEP_1) | instskip(NEXT) | instid1(VALU_DEP_1)
	v_sub_nc_u32_e32 v5, v5, v6
	v_cmp_lt_u32_e64 s3, s39, v5
	s_delay_alu instid0(VALU_DEP_1)
	s_and_b32 s43, s3, exec_lo
; %bb.15:
	s_or_b32 exec_lo, exec_lo, s4
	v_add_nc_u32_e32 v5, s17, v19
	v_add_nc_u32_e32 v6, s19, v19
	s_mov_b32 s5, exec_lo
	s_delay_alu instid0(VALU_DEP_2) | instskip(NEXT) | instid1(VALU_DEP_2)
	v_mul_lo_u32 v5, v5, s16
	v_mul_lo_u32 v6, v6, s18
	s_delay_alu instid0(VALU_DEP_1) | instskip(NEXT) | instid1(VALU_DEP_1)
	v_sub_nc_u32_e32 v5, v5, v6
	v_cmp_lt_u32_e64 s3, s20, v5
	v_cmpx_ge_u32_e64 s20, v5
; %bb.16:
	v_add_nc_u32_e32 v5, s22, v19
	v_add_nc_u32_e32 v6, s38, v19
	s_delay_alu instid0(VALU_DEP_2) | instskip(NEXT) | instid1(VALU_DEP_2)
	v_mul_lo_u32 v5, v5, s21
	v_mul_lo_u32 v6, v6, s23
	s_delay_alu instid0(VALU_DEP_1) | instskip(NEXT) | instid1(VALU_DEP_1)
	v_sub_nc_u32_e32 v5, v5, v6
	v_cmp_lt_u32_e64 s4, s39, v5
	s_delay_alu instid0(VALU_DEP_1)
	s_and_b32 s44, s4, exec_lo
; %bb.17:
	s_or_b32 exec_lo, exec_lo, s5
	v_add_nc_u32_e32 v5, s17, v16
	v_add_nc_u32_e32 v6, s19, v16
	s_mov_b32 s46, 0
	s_mov_b32 s45, 0
	s_mov_b32 s6, exec_lo
	v_mul_lo_u32 v5, v5, s16
	v_mul_lo_u32 v6, v6, s18
	s_delay_alu instid0(VALU_DEP_1) | instskip(NEXT) | instid1(VALU_DEP_1)
	v_sub_nc_u32_e32 v5, v5, v6
	v_cmp_lt_u32_e64 s4, s20, v5
	;; [unrolled: 47-line block ×5, first 2 shown]
	v_cmpx_ge_u32_e64 s20, v5
; %bb.30:
	v_add_nc_u32_e32 v5, s22, v10
	v_add_nc_u32_e32 v6, s38, v10
	s_delay_alu instid0(VALU_DEP_2) | instskip(NEXT) | instid1(VALU_DEP_2)
	v_mul_lo_u32 v5, v5, s21
	v_mul_lo_u32 v6, v6, s23
	s_delay_alu instid0(VALU_DEP_1) | instskip(NEXT) | instid1(VALU_DEP_1)
	v_sub_nc_u32_e32 v5, v5, v6
	v_cmp_lt_u32_e64 s11, s39, v5
	s_delay_alu instid0(VALU_DEP_1)
	s_and_b32 s53, s11, exec_lo
; %bb.31:
	s_or_b32 exec_lo, exec_lo, s12
	v_add_nc_u32_e32 v5, s17, v11
	v_add_nc_u32_e32 v6, s19, v11
	s_mov_b32 s27, exec_lo
	s_delay_alu instid0(VALU_DEP_2) | instskip(NEXT) | instid1(VALU_DEP_2)
	v_mul_lo_u32 v5, v5, s16
	v_mul_lo_u32 v6, v6, s18
	s_delay_alu instid0(VALU_DEP_1) | instskip(NEXT) | instid1(VALU_DEP_1)
	v_sub_nc_u32_e32 v5, v5, v6
	v_cmp_lt_u32_e64 s11, s20, v5
	v_cmpx_ge_u32_e64 s20, v5
; %bb.32:
	v_add_nc_u32_e32 v5, s22, v11
	v_add_nc_u32_e32 v6, s38, v11
	s_delay_alu instid0(VALU_DEP_2) | instskip(NEXT) | instid1(VALU_DEP_2)
	v_mul_lo_u32 v5, v5, s21
	v_mul_lo_u32 v6, v6, s23
	s_delay_alu instid0(VALU_DEP_1) | instskip(NEXT) | instid1(VALU_DEP_1)
	v_sub_nc_u32_e32 v5, v5, v6
	v_cmp_lt_u32_e64 s12, s39, v5
	s_delay_alu instid0(VALU_DEP_1)
	s_and_b32 s52, s12, exec_lo
; %bb.33:
	s_or_b32 exec_lo, exec_lo, s27
	v_add_nc_u32_e32 v5, s17, v32
	v_add_nc_u32_e32 v6, s19, v32
	s_mov_b32 s27, -1
	s_mov_b32 s49, 0
	s_mov_b32 s33, 0
	v_mul_lo_u32 v5, v5, s16
	v_mul_lo_u32 v6, v6, s18
	s_mov_b32 s54, exec_lo
	s_delay_alu instid0(VALU_DEP_1) | instskip(NEXT) | instid1(VALU_DEP_1)
	v_sub_nc_u32_e32 v5, v5, v6
	v_cmpx_ge_u32_e64 s20, v5
; %bb.34:
	v_add_nc_u32_e32 v5, s22, v32
	v_add_nc_u32_e32 v6, s38, v32
	s_xor_b32 s27, exec_lo, -1
	s_delay_alu instid0(VALU_DEP_2) | instskip(NEXT) | instid1(VALU_DEP_2)
	v_mul_lo_u32 v5, v5, s21
	v_mul_lo_u32 v6, v6, s23
	s_delay_alu instid0(VALU_DEP_1) | instskip(NEXT) | instid1(VALU_DEP_1)
	v_sub_nc_u32_e32 v5, v5, v6
	v_cmp_lt_u32_e64 s12, s39, v5
	s_delay_alu instid0(VALU_DEP_1)
	s_and_b32 s33, s12, exec_lo
; %bb.35:
	s_or_b32 exec_lo, exec_lo, s54
	v_cndmask_b32_e64 v53, 0, 1, s53
	v_cndmask_b32_e64 v56, 0, 1, s11
	v_cndmask_b32_e64 v52, 0, 1, s51
	v_cndmask_b32_e64 v55, 0, 1, s10
	v_cndmask_b32_e64 v50, 0, 1, s50
	v_cndmask_b32_e64 v54, 0, 1, s9
	v_cndmask_b32_e64 v48, 0, 1, s48
	v_cndmask_b32_e64 v51, 0, 1, s8
	v_cndmask_b32_e64 v46, 0, 1, s47
	v_cndmask_b32_e64 v49, 0, 1, s7
	v_cndmask_b32_e64 v44, 0, 1, s46
	v_cndmask_b32_e64 v47, 0, 1, s6
	v_cndmask_b32_e64 v42, 0, 1, s45
	v_cndmask_b32_e64 v45, 0, 1, s5
	v_cndmask_b32_e64 v39, 0, 1, s44
	v_cndmask_b32_e64 v43, 0, 1, s4
	v_cndmask_b32_e64 v38, 0, 1, s43
	v_cndmask_b32_e64 v41, 0, 1, s3
	v_cndmask_b32_e64 v40, 0, 1, s42
	v_cndmask_b32_e64 v36, 0, 1, s1
	v_cndmask_b32_e64 v35, 0, 1, s41
	v_cndmask_b32_e64 v37, 0, 1, s0
	v_cndmask_b32_e64 v34, 0, 1, vcc_lo
	v_cndmask_b32_e64 v57, 0, 1, s52
	s_and_b32 vcc_lo, exec_lo, s49
	s_add_i32 s4, s40, 0xd00
	s_cbranch_vccnz .LBB1601_37
	s_branch .LBB1601_90
.LBB1601_36:
                                        ; implicit-def: $sgpr27
                                        ; implicit-def: $sgpr33
                                        ; implicit-def: $vgpr57
                                        ; implicit-def: $vgpr53
                                        ; implicit-def: $vgpr52
                                        ; implicit-def: $vgpr50
                                        ; implicit-def: $vgpr48
                                        ; implicit-def: $vgpr46
                                        ; implicit-def: $vgpr44
                                        ; implicit-def: $vgpr42
                                        ; implicit-def: $vgpr39
                                        ; implicit-def: $vgpr34
                                        ; implicit-def: $vgpr37
                                        ; implicit-def: $vgpr36
                                        ; implicit-def: $vgpr41
                                        ; implicit-def: $vgpr43
                                        ; implicit-def: $vgpr45
                                        ; implicit-def: $vgpr47
                                        ; implicit-def: $vgpr49
                                        ; implicit-def: $vgpr51
                                        ; implicit-def: $vgpr54
                                        ; implicit-def: $vgpr55
                                        ; implicit-def: $vgpr56
                                        ; implicit-def: $vgpr35
                                        ; implicit-def: $vgpr40
                                        ; implicit-def: $vgpr38
	s_add_i32 s4, s40, 0xd00
	s_cbranch_execz .LBB1601_90
.LBB1601_37:
	v_dual_mov_b32 v35, 0 :: v_dual_mov_b32 v34, 0
	s_mov_b32 s3, 0
	s_mov_b32 s1, exec_lo
	v_cmpx_gt_u32_e64 s4, v33
	s_cbranch_execz .LBB1601_41
; %bb.38:
	v_add_nc_u32_e32 v5, s17, v20
	v_add_nc_u32_e32 v6, s19, v20
	s_mov_b32 s5, exec_lo
	s_delay_alu instid0(VALU_DEP_2) | instskip(NEXT) | instid1(VALU_DEP_2)
	v_mul_lo_u32 v5, v5, s16
	v_mul_lo_u32 v6, v6, s18
	s_delay_alu instid0(VALU_DEP_1) | instskip(NEXT) | instid1(VALU_DEP_1)
	v_sub_nc_u32_e32 v5, v5, v6
	v_cmp_lt_u32_e32 vcc_lo, s20, v5
	v_cmpx_ge_u32_e64 s20, v5
; %bb.39:
	v_add_nc_u32_e32 v5, s22, v20
	v_add_nc_u32_e32 v6, s38, v20
	s_delay_alu instid0(VALU_DEP_2) | instskip(NEXT) | instid1(VALU_DEP_2)
	v_mul_lo_u32 v5, v5, s21
	v_mul_lo_u32 v6, v6, s23
	s_delay_alu instid0(VALU_DEP_1) | instskip(NEXT) | instid1(VALU_DEP_1)
	v_sub_nc_u32_e32 v5, v5, v6
	v_cmp_lt_u32_e64 s0, s39, v5
	s_delay_alu instid0(VALU_DEP_1)
	s_and_b32 s3, s0, exec_lo
; %bb.40:
	s_or_b32 exec_lo, exec_lo, s5
	v_cndmask_b32_e64 v34, 0, 1, vcc_lo
	v_cndmask_b32_e64 v35, 0, 1, s3
.LBB1601_41:
	s_or_b32 exec_lo, exec_lo, s1
	v_dual_mov_b32 v40, 0 :: v_dual_add_nc_u32 v5, 1, v33
	v_mov_b32_e32 v37, 0
	s_mov_b32 s3, 0
	s_mov_b32 s1, exec_lo
	s_delay_alu instid0(VALU_DEP_2)
	v_cmpx_gt_u32_e64 s4, v5
	s_cbranch_execz .LBB1601_45
; %bb.42:
	v_add_nc_u32_e32 v5, s17, v21
	v_add_nc_u32_e32 v6, s19, v21
	s_mov_b32 s5, exec_lo
	s_delay_alu instid0(VALU_DEP_2) | instskip(NEXT) | instid1(VALU_DEP_2)
	v_mul_lo_u32 v5, v5, s16
	v_mul_lo_u32 v6, v6, s18
	s_delay_alu instid0(VALU_DEP_1) | instskip(NEXT) | instid1(VALU_DEP_1)
	v_sub_nc_u32_e32 v5, v5, v6
	v_cmp_lt_u32_e32 vcc_lo, s20, v5
	v_cmpx_ge_u32_e64 s20, v5
; %bb.43:
	v_add_nc_u32_e32 v5, s22, v21
	v_add_nc_u32_e32 v6, s38, v21
	s_delay_alu instid0(VALU_DEP_2) | instskip(NEXT) | instid1(VALU_DEP_2)
	v_mul_lo_u32 v5, v5, s21
	v_mul_lo_u32 v6, v6, s23
	s_delay_alu instid0(VALU_DEP_1) | instskip(NEXT) | instid1(VALU_DEP_1)
	v_sub_nc_u32_e32 v5, v5, v6
	v_cmp_lt_u32_e64 s0, s39, v5
	s_delay_alu instid0(VALU_DEP_1)
	s_and_b32 s3, s0, exec_lo
; %bb.44:
	s_or_b32 exec_lo, exec_lo, s5
	v_cndmask_b32_e64 v37, 0, 1, vcc_lo
	v_cndmask_b32_e64 v40, 0, 1, s3
.LBB1601_45:
	s_or_b32 exec_lo, exec_lo, s1
	v_dual_mov_b32 v36, 0 :: v_dual_add_nc_u32 v5, 2, v33
	v_mov_b32_e32 v38, 0
	s_mov_b32 s3, 0
	s_mov_b32 s1, exec_lo
	s_delay_alu instid0(VALU_DEP_2)
	v_cmpx_gt_u32_e64 s4, v5
	s_cbranch_execz .LBB1601_49
; %bb.46:
	v_add_nc_u32_e32 v5, s17, v18
	v_add_nc_u32_e32 v6, s19, v18
	s_mov_b32 s5, exec_lo
	s_delay_alu instid0(VALU_DEP_2) | instskip(NEXT) | instid1(VALU_DEP_2)
	v_mul_lo_u32 v5, v5, s16
	v_mul_lo_u32 v6, v6, s18
	s_delay_alu instid0(VALU_DEP_1) | instskip(NEXT) | instid1(VALU_DEP_1)
	v_sub_nc_u32_e32 v5, v5, v6
	v_cmp_lt_u32_e32 vcc_lo, s20, v5
	v_cmpx_ge_u32_e64 s20, v5
; %bb.47:
	v_add_nc_u32_e32 v5, s22, v18
	v_add_nc_u32_e32 v6, s38, v18
	s_delay_alu instid0(VALU_DEP_2) | instskip(NEXT) | instid1(VALU_DEP_2)
	v_mul_lo_u32 v5, v5, s21
	v_mul_lo_u32 v6, v6, s23
	s_delay_alu instid0(VALU_DEP_1) | instskip(NEXT) | instid1(VALU_DEP_1)
	v_sub_nc_u32_e32 v5, v5, v6
	v_cmp_lt_u32_e64 s0, s39, v5
	s_delay_alu instid0(VALU_DEP_1)
	s_and_b32 s3, s0, exec_lo
; %bb.48:
	s_or_b32 exec_lo, exec_lo, s5
	v_cndmask_b32_e64 v36, 0, 1, vcc_lo
	v_cndmask_b32_e64 v38, 0, 1, s3
.LBB1601_49:
	s_or_b32 exec_lo, exec_lo, s1
	v_add_nc_u32_e32 v5, 3, v33
	v_mov_b32_e32 v39, 0
	v_mov_b32_e32 v41, 0
	s_mov_b32 s3, 0
	s_mov_b32 s1, exec_lo
	v_cmpx_gt_u32_e64 s4, v5
	s_cbranch_execz .LBB1601_53
; %bb.50:
	v_add_nc_u32_e32 v5, s17, v19
	v_add_nc_u32_e32 v6, s19, v19
	s_mov_b32 s5, exec_lo
	s_delay_alu instid0(VALU_DEP_2) | instskip(NEXT) | instid1(VALU_DEP_2)
	v_mul_lo_u32 v5, v5, s16
	v_mul_lo_u32 v6, v6, s18
	s_delay_alu instid0(VALU_DEP_1) | instskip(NEXT) | instid1(VALU_DEP_1)
	v_sub_nc_u32_e32 v5, v5, v6
	v_cmp_lt_u32_e32 vcc_lo, s20, v5
	v_cmpx_ge_u32_e64 s20, v5
; %bb.51:
	v_add_nc_u32_e32 v5, s22, v19
	v_add_nc_u32_e32 v6, s38, v19
	s_delay_alu instid0(VALU_DEP_2) | instskip(NEXT) | instid1(VALU_DEP_2)
	v_mul_lo_u32 v5, v5, s21
	v_mul_lo_u32 v6, v6, s23
	s_delay_alu instid0(VALU_DEP_1) | instskip(NEXT) | instid1(VALU_DEP_1)
	v_sub_nc_u32_e32 v5, v5, v6
	v_cmp_lt_u32_e64 s0, s39, v5
	s_delay_alu instid0(VALU_DEP_1)
	s_and_b32 s3, s0, exec_lo
; %bb.52:
	s_or_b32 exec_lo, exec_lo, s5
	v_cndmask_b32_e64 v41, 0, 1, vcc_lo
	v_cndmask_b32_e64 v39, 0, 1, s3
.LBB1601_53:
	s_or_b32 exec_lo, exec_lo, s1
	v_dual_mov_b32 v42, 0 :: v_dual_add_nc_u32 v5, 4, v33
	v_mov_b32_e32 v43, 0
	s_mov_b32 s3, 0
	s_mov_b32 s1, exec_lo
	s_delay_alu instid0(VALU_DEP_2)
	v_cmpx_gt_u32_e64 s4, v5
	s_cbranch_execz .LBB1601_57
; %bb.54:
	v_add_nc_u32_e32 v5, s17, v16
	v_add_nc_u32_e32 v6, s19, v16
	s_mov_b32 s5, exec_lo
	s_delay_alu instid0(VALU_DEP_2) | instskip(NEXT) | instid1(VALU_DEP_2)
	v_mul_lo_u32 v5, v5, s16
	v_mul_lo_u32 v6, v6, s18
	s_delay_alu instid0(VALU_DEP_1) | instskip(NEXT) | instid1(VALU_DEP_1)
	v_sub_nc_u32_e32 v5, v5, v6
	v_cmp_lt_u32_e32 vcc_lo, s20, v5
	v_cmpx_ge_u32_e64 s20, v5
; %bb.55:
	v_add_nc_u32_e32 v5, s22, v16
	v_add_nc_u32_e32 v6, s38, v16
	s_delay_alu instid0(VALU_DEP_2) | instskip(NEXT) | instid1(VALU_DEP_2)
	v_mul_lo_u32 v5, v5, s21
	v_mul_lo_u32 v6, v6, s23
	s_delay_alu instid0(VALU_DEP_1) | instskip(NEXT) | instid1(VALU_DEP_1)
	v_sub_nc_u32_e32 v5, v5, v6
	v_cmp_lt_u32_e64 s0, s39, v5
	s_delay_alu instid0(VALU_DEP_1)
	s_and_b32 s3, s0, exec_lo
; %bb.56:
	s_or_b32 exec_lo, exec_lo, s5
	v_cndmask_b32_e64 v43, 0, 1, vcc_lo
	v_cndmask_b32_e64 v42, 0, 1, s3
.LBB1601_57:
	s_or_b32 exec_lo, exec_lo, s1
	v_dual_mov_b32 v44, 0 :: v_dual_add_nc_u32 v5, 5, v33
	v_mov_b32_e32 v45, 0
	s_mov_b32 s3, 0
	s_mov_b32 s1, exec_lo
	s_delay_alu instid0(VALU_DEP_2)
	;; [unrolled: 35-line block ×6, first 2 shown]
	v_cmpx_gt_u32_e64 s4, v5
	s_cbranch_execz .LBB1601_77
; %bb.74:
	v_add_nc_u32_e32 v5, s17, v13
	v_add_nc_u32_e32 v6, s19, v13
	s_mov_b32 s5, exec_lo
	s_delay_alu instid0(VALU_DEP_2) | instskip(NEXT) | instid1(VALU_DEP_2)
	v_mul_lo_u32 v5, v5, s16
	v_mul_lo_u32 v6, v6, s18
	s_delay_alu instid0(VALU_DEP_1) | instskip(NEXT) | instid1(VALU_DEP_1)
	v_sub_nc_u32_e32 v5, v5, v6
	v_cmp_lt_u32_e32 vcc_lo, s20, v5
	v_cmpx_ge_u32_e64 s20, v5
; %bb.75:
	v_add_nc_u32_e32 v5, s22, v13
	v_add_nc_u32_e32 v6, s38, v13
	s_delay_alu instid0(VALU_DEP_2) | instskip(NEXT) | instid1(VALU_DEP_2)
	v_mul_lo_u32 v5, v5, s21
	v_mul_lo_u32 v6, v6, s23
	s_delay_alu instid0(VALU_DEP_1) | instskip(NEXT) | instid1(VALU_DEP_1)
	v_sub_nc_u32_e32 v5, v5, v6
	v_cmp_lt_u32_e64 s0, s39, v5
	s_delay_alu instid0(VALU_DEP_1)
	s_and_b32 s3, s0, exec_lo
; %bb.76:
	s_or_b32 exec_lo, exec_lo, s5
	v_cndmask_b32_e64 v54, 0, 1, vcc_lo
	v_cndmask_b32_e64 v52, 0, 1, s3
.LBB1601_77:
	s_or_b32 exec_lo, exec_lo, s1
	v_add_nc_u32_e32 v5, 10, v33
	v_mov_b32_e32 v53, 0
	v_mov_b32_e32 v55, 0
	s_mov_b32 s3, 0
	s_mov_b32 s1, exec_lo
	v_cmpx_gt_u32_e64 s4, v5
	s_cbranch_execz .LBB1601_81
; %bb.78:
	v_add_nc_u32_e32 v5, s17, v10
	v_add_nc_u32_e32 v6, s19, v10
	s_mov_b32 s5, exec_lo
	s_delay_alu instid0(VALU_DEP_2) | instskip(NEXT) | instid1(VALU_DEP_2)
	v_mul_lo_u32 v5, v5, s16
	v_mul_lo_u32 v6, v6, s18
	s_delay_alu instid0(VALU_DEP_1) | instskip(NEXT) | instid1(VALU_DEP_1)
	v_sub_nc_u32_e32 v5, v5, v6
	v_cmp_lt_u32_e32 vcc_lo, s20, v5
	v_cmpx_ge_u32_e64 s20, v5
; %bb.79:
	v_add_nc_u32_e32 v5, s22, v10
	v_add_nc_u32_e32 v6, s38, v10
	s_delay_alu instid0(VALU_DEP_2) | instskip(NEXT) | instid1(VALU_DEP_2)
	v_mul_lo_u32 v5, v5, s21
	v_mul_lo_u32 v6, v6, s23
	s_delay_alu instid0(VALU_DEP_1) | instskip(NEXT) | instid1(VALU_DEP_1)
	v_sub_nc_u32_e32 v5, v5, v6
	v_cmp_lt_u32_e64 s0, s39, v5
	s_delay_alu instid0(VALU_DEP_1)
	s_and_b32 s3, s0, exec_lo
; %bb.80:
	s_or_b32 exec_lo, exec_lo, s5
	v_cndmask_b32_e64 v55, 0, 1, vcc_lo
	v_cndmask_b32_e64 v53, 0, 1, s3
.LBB1601_81:
	s_or_b32 exec_lo, exec_lo, s1
	v_dual_mov_b32 v56, 0 :: v_dual_add_nc_u32 v5, 11, v33
	v_mov_b32_e32 v57, 0
	s_mov_b32 s3, 0
	s_mov_b32 s1, exec_lo
	s_delay_alu instid0(VALU_DEP_2)
	v_cmpx_gt_u32_e64 s4, v5
	s_cbranch_execz .LBB1601_85
; %bb.82:
	v_add_nc_u32_e32 v5, s17, v11
	v_add_nc_u32_e32 v6, s19, v11
	s_mov_b32 s5, exec_lo
	s_delay_alu instid0(VALU_DEP_2) | instskip(NEXT) | instid1(VALU_DEP_2)
	v_mul_lo_u32 v5, v5, s16
	v_mul_lo_u32 v6, v6, s18
	s_delay_alu instid0(VALU_DEP_1) | instskip(NEXT) | instid1(VALU_DEP_1)
	v_sub_nc_u32_e32 v5, v5, v6
	v_cmp_lt_u32_e32 vcc_lo, s20, v5
	v_cmpx_ge_u32_e64 s20, v5
; %bb.83:
	v_add_nc_u32_e32 v5, s22, v11
	v_add_nc_u32_e32 v6, s38, v11
	s_delay_alu instid0(VALU_DEP_2) | instskip(NEXT) | instid1(VALU_DEP_2)
	v_mul_lo_u32 v5, v5, s21
	v_mul_lo_u32 v6, v6, s23
	s_delay_alu instid0(VALU_DEP_1) | instskip(NEXT) | instid1(VALU_DEP_1)
	v_sub_nc_u32_e32 v5, v5, v6
	v_cmp_lt_u32_e64 s0, s39, v5
	s_delay_alu instid0(VALU_DEP_1)
	s_and_b32 s3, s0, exec_lo
; %bb.84:
	s_or_b32 exec_lo, exec_lo, s5
	v_cndmask_b32_e64 v56, 0, 1, vcc_lo
	v_cndmask_b32_e64 v57, 0, 1, s3
.LBB1601_85:
	s_or_b32 exec_lo, exec_lo, s1
	v_add_nc_u32_e32 v5, 12, v33
	s_mov_b32 s27, 0
	s_mov_b32 s33, 0
	s_mov_b32 s0, exec_lo
	s_delay_alu instid0(VALU_DEP_1)
	v_cmpx_gt_u32_e64 s4, v5
	s_cbranch_execz .LBB1601_89
; %bb.86:
	v_add_nc_u32_e32 v5, s17, v32
	v_add_nc_u32_e32 v6, s19, v32
	s_mov_b32 s3, -1
	s_mov_b32 s5, 0
	s_mov_b32 s1, exec_lo
	v_mul_lo_u32 v5, v5, s16
	v_mul_lo_u32 v6, v6, s18
	s_delay_alu instid0(VALU_DEP_1) | instskip(NEXT) | instid1(VALU_DEP_1)
	v_sub_nc_u32_e32 v5, v5, v6
	v_cmpx_ge_u32_e64 s20, v5
; %bb.87:
	v_add_nc_u32_e32 v5, s22, v32
	v_add_nc_u32_e32 v6, s38, v32
	s_xor_b32 s3, exec_lo, -1
	s_delay_alu instid0(VALU_DEP_2) | instskip(NEXT) | instid1(VALU_DEP_2)
	v_mul_lo_u32 v5, v5, s21
	v_mul_lo_u32 v6, v6, s23
	s_delay_alu instid0(VALU_DEP_1) | instskip(NEXT) | instid1(VALU_DEP_1)
	v_sub_nc_u32_e32 v5, v5, v6
	v_cmp_lt_u32_e32 vcc_lo, s39, v5
	s_and_b32 s5, vcc_lo, exec_lo
; %bb.88:
	s_or_b32 exec_lo, exec_lo, s1
	s_delay_alu instid0(SALU_CYCLE_1)
	s_and_b32 s33, s5, exec_lo
	s_and_b32 s27, s3, exec_lo
.LBB1601_89:
	s_or_b32 exec_lo, exec_lo, s0
.LBB1601_90:
	v_and_b32_e32 v80, 0xff, v34
	v_and_b32_e32 v81, 0xff, v35
	;; [unrolled: 1-line block ×10, first 2 shown]
	v_add3_u32 v5, v76, v78, v80
	v_add3_u32 v6, v77, v79, v81
	v_and_b32_e32 v70, 0xff, v45
	v_and_b32_e32 v71, 0xff, v44
	v_and_b32_e32 v64, 0xff, v47
	v_and_b32_e32 v65, 0xff, v46
	v_add3_u32 v5, v5, v74, v72
	v_add3_u32 v6, v6, v75, v73
	v_and_b32_e32 v68, 0xff, v49
	v_and_b32_e32 v69, 0xff, v48
	v_and_b32_e32 v66, 0xff, v51
	v_and_b32_e32 v67, 0xff, v50
	;; [unrolled: 6-line block ×3, first 2 shown]
	v_add3_u32 v5, v5, v68, v66
	v_add3_u32 v6, v6, v69, v67
	v_mbcnt_lo_u32_b32 v82, -1, 0
	v_and_b32_e32 v58, 0xff, v56
	v_and_b32_e32 v59, 0xff, v57
	v_cndmask_b32_e64 v7, 0, 1, s33
	v_add3_u32 v5, v5, v61, v60
	v_cndmask_b32_e64 v8, 0, 1, s27
	v_add3_u32 v6, v6, v62, v63
	v_and_b32_e32 v86, 15, v82
	v_and_b32_e32 v85, 16, v82
	v_lshrrev_b32_e32 v83, 5, v0
	v_add3_u32 v87, v5, v58, v8
	v_add3_u32 v88, v6, v59, v7
	v_cmp_eq_u32_e64 s1, 0, v86
	v_cmp_lt_u32_e64 s0, 1, v86
	v_cmp_lt_u32_e64 s3, 3, v86
	v_cmp_lt_u32_e32 vcc_lo, 7, v86
	v_or_b32_e32 v84, 31, v0
	s_cmp_lg_u32 s26, 0
	s_mov_b32 s5, -1
	s_cbranch_scc0 .LBB1601_118
; %bb.91:
	v_mov_b32_dpp v5, v88 row_shr:1 row_mask:0xf bank_mask:0xf
	v_mov_b32_dpp v6, v87 row_shr:1 row_mask:0xf bank_mask:0xf
	s_delay_alu instid0(VALU_DEP_2) | instskip(NEXT) | instid1(VALU_DEP_2)
	v_add_nc_u32_e32 v5, v5, v88
	v_add_nc_u32_e32 v6, v6, v87
	s_delay_alu instid0(VALU_DEP_2) | instskip(NEXT) | instid1(VALU_DEP_2)
	v_cndmask_b32_e64 v5, v5, v88, s1
	v_cndmask_b32_e64 v6, v6, v87, s1
	s_delay_alu instid0(VALU_DEP_2) | instskip(NEXT) | instid1(VALU_DEP_2)
	v_mov_b32_dpp v7, v5 row_shr:2 row_mask:0xf bank_mask:0xf
	v_mov_b32_dpp v8, v6 row_shr:2 row_mask:0xf bank_mask:0xf
	s_delay_alu instid0(VALU_DEP_2) | instskip(NEXT) | instid1(VALU_DEP_1)
	v_add_nc_u32_e32 v7, v5, v7
	v_cndmask_b32_e64 v5, v5, v7, s0
	s_delay_alu instid0(VALU_DEP_1) | instskip(NEXT) | instid1(VALU_DEP_1)
	v_mov_b32_dpp v7, v5 row_shr:4 row_mask:0xf bank_mask:0xf
	v_add_nc_u32_e32 v7, v5, v7
	s_delay_alu instid0(VALU_DEP_1) | instskip(NEXT) | instid1(VALU_DEP_1)
	v_cndmask_b32_e64 v5, v5, v7, s3
	v_mov_b32_dpp v7, v5 row_shr:8 row_mask:0xf bank_mask:0xf
	s_delay_alu instid0(VALU_DEP_1) | instskip(NEXT) | instid1(VALU_DEP_1)
	v_add_nc_u32_e32 v7, v5, v7
	v_dual_cndmask_b32 v5, v5, v7 :: v_dual_add_nc_u32 v8, v6, v8
	s_delay_alu instid0(VALU_DEP_1) | instskip(NEXT) | instid1(VALU_DEP_1)
	v_cndmask_b32_e64 v6, v6, v8, s0
	v_mov_b32_dpp v8, v6 row_shr:4 row_mask:0xf bank_mask:0xf
	s_delay_alu instid0(VALU_DEP_1) | instskip(NEXT) | instid1(VALU_DEP_1)
	v_add_nc_u32_e32 v8, v6, v8
	v_cndmask_b32_e64 v6, v6, v8, s3
	s_mov_b32 s3, exec_lo
	s_delay_alu instid0(VALU_DEP_1) | instskip(NEXT) | instid1(VALU_DEP_1)
	v_mov_b32_dpp v8, v6 row_shr:8 row_mask:0xf bank_mask:0xf
	v_add_nc_u32_e32 v8, v6, v8
	s_delay_alu instid0(VALU_DEP_1)
	v_cndmask_b32_e32 v7, v6, v8, vcc_lo
	ds_swizzle_b32 v6, v5 offset:swizzle(BROADCAST,32,15)
	v_cmp_eq_u32_e32 vcc_lo, 0, v85
	s_waitcnt lgkmcnt(0)
	v_add_nc_u32_e32 v6, v5, v6
	ds_swizzle_b32 v8, v7 offset:swizzle(BROADCAST,32,15)
	v_cndmask_b32_e32 v6, v6, v5, vcc_lo
	s_waitcnt lgkmcnt(0)
	v_add_nc_u32_e32 v8, v7, v8
	s_delay_alu instid0(VALU_DEP_1)
	v_cndmask_b32_e32 v5, v8, v7, vcc_lo
	v_cmpx_eq_u32_e64 v84, v0
	s_cbranch_execz .LBB1601_93
; %bb.92:
	v_lshlrev_b32_e32 v7, 3, v83
	ds_store_b64 v7, v[5:6]
.LBB1601_93:
	s_or_b32 exec_lo, exec_lo, s3
	s_delay_alu instid0(SALU_CYCLE_1)
	s_mov_b32 s3, exec_lo
	s_waitcnt lgkmcnt(0)
	s_barrier
	buffer_gl0_inv
	v_cmpx_gt_u32_e32 8, v0
	s_cbranch_execz .LBB1601_95
; %bb.94:
	v_lshlrev_b32_e32 v9, 3, v0
	ds_load_b64 v[7:8], v9
	s_waitcnt lgkmcnt(0)
	v_mov_b32_dpp v22, v7 row_shr:1 row_mask:0xf bank_mask:0xf
	v_mov_b32_dpp v23, v8 row_shr:1 row_mask:0xf bank_mask:0xf
	s_delay_alu instid0(VALU_DEP_2) | instskip(SKIP_1) | instid1(VALU_DEP_3)
	v_add_nc_u32_e32 v22, v22, v7
	v_and_b32_e32 v24, 7, v82
	v_add_nc_u32_e32 v23, v23, v8
	s_delay_alu instid0(VALU_DEP_2) | instskip(NEXT) | instid1(VALU_DEP_2)
	v_cmp_eq_u32_e32 vcc_lo, 0, v24
	v_dual_cndmask_b32 v8, v23, v8 :: v_dual_cndmask_b32 v7, v22, v7
	v_cmp_lt_u32_e32 vcc_lo, 1, v24
	s_delay_alu instid0(VALU_DEP_2) | instskip(NEXT) | instid1(VALU_DEP_3)
	v_mov_b32_dpp v23, v8 row_shr:2 row_mask:0xf bank_mask:0xf
	v_mov_b32_dpp v22, v7 row_shr:2 row_mask:0xf bank_mask:0xf
	s_delay_alu instid0(VALU_DEP_2) | instskip(NEXT) | instid1(VALU_DEP_2)
	v_add_nc_u32_e32 v23, v8, v23
	v_add_nc_u32_e32 v22, v7, v22
	s_delay_alu instid0(VALU_DEP_1) | instskip(SKIP_1) | instid1(VALU_DEP_2)
	v_dual_cndmask_b32 v8, v8, v23 :: v_dual_cndmask_b32 v7, v7, v22
	v_cmp_lt_u32_e32 vcc_lo, 3, v24
	v_mov_b32_dpp v23, v8 row_shr:4 row_mask:0xf bank_mask:0xf
	s_delay_alu instid0(VALU_DEP_3) | instskip(NEXT) | instid1(VALU_DEP_1)
	v_mov_b32_dpp v22, v7 row_shr:4 row_mask:0xf bank_mask:0xf
	v_dual_cndmask_b32 v23, 0, v23 :: v_dual_cndmask_b32 v22, 0, v22
	s_delay_alu instid0(VALU_DEP_1) | instskip(NEXT) | instid1(VALU_DEP_2)
	v_add_nc_u32_e32 v8, v23, v8
	v_add_nc_u32_e32 v7, v22, v7
	ds_store_b64 v9, v[7:8]
.LBB1601_95:
	s_or_b32 exec_lo, exec_lo, s3
	v_cmp_gt_u32_e32 vcc_lo, 32, v0
	v_cmp_lt_u32_e64 s3, 31, v0
	s_waitcnt lgkmcnt(0)
	s_barrier
	buffer_gl0_inv
                                        ; implicit-def: $vgpr23
	s_and_saveexec_b32 s5, s3
	s_delay_alu instid0(SALU_CYCLE_1)
	s_xor_b32 s3, exec_lo, s5
	s_cbranch_execz .LBB1601_97
; %bb.96:
	v_lshl_add_u32 v7, v83, 3, -8
	ds_load_b64 v[22:23], v7
	s_waitcnt lgkmcnt(0)
	v_add_nc_u32_e32 v6, v23, v6
	v_add_nc_u32_e32 v5, v22, v5
.LBB1601_97:
	s_and_not1_saveexec_b32 s3, s3
; %bb.98:
                                        ; implicit-def: $vgpr22
; %bb.99:
	s_delay_alu instid0(SALU_CYCLE_1) | instskip(SKIP_1) | instid1(VALU_DEP_1)
	s_or_b32 exec_lo, exec_lo, s3
	v_add_nc_u32_e32 v7, -1, v82
	v_cmp_gt_i32_e64 s3, 0, v7
	s_delay_alu instid0(VALU_DEP_1) | instskip(SKIP_1) | instid1(VALU_DEP_2)
	v_cndmask_b32_e64 v7, v7, v82, s3
	v_cmp_eq_u32_e64 s3, 0, v82
	v_lshlrev_b32_e32 v7, 2, v7
	ds_bpermute_b32 v89, v7, v5
	ds_bpermute_b32 v90, v7, v6
	s_and_saveexec_b32 s5, vcc_lo
	s_cbranch_execz .LBB1601_117
; %bb.100:
	v_mov_b32_e32 v8, 0
	ds_load_b64 v[5:6], v8 offset:56
	s_waitcnt lgkmcnt(0)
	v_readfirstlane_b32 s6, v6
	s_and_saveexec_b32 s7, s3
	s_cbranch_execz .LBB1601_102
; %bb.101:
	s_add_i32 s8, s26, 32
	s_mov_b32 s9, 0
	v_mov_b32_e32 v7, 1
	s_lshl_b64 s[10:11], s[8:9], 4
	s_mov_b32 s16, s9
	s_add_u32 s10, s36, s10
	s_addc_u32 s11, s37, s11
	s_and_b32 s17, s6, 0xff000000
	s_and_b32 s19, s6, 0xff0000
	s_mov_b32 s18, s9
	v_dual_mov_b32 v25, s11 :: v_dual_mov_b32 v24, s10
	s_or_b64 s[16:17], s[18:19], s[16:17]
	s_and_b32 s19, s6, 0xff00
	s_delay_alu instid0(SALU_CYCLE_1) | instskip(SKIP_1) | instid1(SALU_CYCLE_1)
	s_or_b64 s[16:17], s[16:17], s[18:19]
	s_and_b32 s19, s6, 0xff
	s_or_b64 s[8:9], s[16:17], s[18:19]
	s_delay_alu instid0(SALU_CYCLE_1)
	v_mov_b32_e32 v6, s9
	;;#ASMSTART
	global_store_dwordx4 v[24:25], v[5:8] off	
s_waitcnt vmcnt(0)
	;;#ASMEND
.LBB1601_102:
	s_or_b32 exec_lo, exec_lo, s7
	v_xad_u32 v24, v82, -1, s26
	s_mov_b32 s8, 0
	s_mov_b32 s7, exec_lo
	s_delay_alu instid0(VALU_DEP_1) | instskip(NEXT) | instid1(VALU_DEP_1)
	v_add_nc_u32_e32 v7, 32, v24
	v_lshlrev_b64 v[6:7], 4, v[7:8]
	s_delay_alu instid0(VALU_DEP_1) | instskip(NEXT) | instid1(VALU_DEP_2)
	v_add_co_u32 v25, vcc_lo, s36, v6
	v_add_co_ci_u32_e32 v26, vcc_lo, s37, v7, vcc_lo
	;;#ASMSTART
	global_load_dwordx4 v[6:9], v[25:26] off glc	
s_waitcnt vmcnt(0)
	;;#ASMEND
	v_and_b32_e32 v9, 0xff, v7
	v_and_b32_e32 v27, 0xff00, v7
	v_or3_b32 v6, v6, 0, 0
	v_and_b32_e32 v28, 0xff000000, v7
	v_and_b32_e32 v7, 0xff0000, v7
	s_delay_alu instid0(VALU_DEP_4) | instskip(SKIP_2) | instid1(VALU_DEP_3)
	v_or3_b32 v9, 0, v9, v27
	v_and_b32_e32 v27, 0xff, v8
	v_or3_b32 v6, v6, 0, 0
	v_or3_b32 v7, v9, v7, v28
	s_delay_alu instid0(VALU_DEP_3)
	v_cmpx_eq_u16_e32 0, v27
	s_cbranch_execz .LBB1601_105
.LBB1601_103:                           ; =>This Inner Loop Header: Depth=1
	;;#ASMSTART
	global_load_dwordx4 v[6:9], v[25:26] off glc	
s_waitcnt vmcnt(0)
	;;#ASMEND
	v_and_b32_e32 v9, 0xff, v8
	s_delay_alu instid0(VALU_DEP_1) | instskip(SKIP_1) | instid1(SALU_CYCLE_1)
	v_cmp_ne_u16_e32 vcc_lo, 0, v9
	s_or_b32 s8, vcc_lo, s8
	s_and_not1_b32 exec_lo, exec_lo, s8
	s_cbranch_execnz .LBB1601_103
; %bb.104:
	s_or_b32 exec_lo, exec_lo, s8
.LBB1601_105:
	s_delay_alu instid0(SALU_CYCLE_1) | instskip(SKIP_3) | instid1(VALU_DEP_1)
	s_or_b32 exec_lo, exec_lo, s7
	v_cmp_ne_u32_e32 vcc_lo, 31, v82
	v_lshlrev_b32_e64 v92, v82, -1
	v_add_co_ci_u32_e32 v9, vcc_lo, 0, v82, vcc_lo
	v_lshlrev_b32_e32 v91, 2, v9
	ds_bpermute_b32 v25, v91, v7
	ds_bpermute_b32 v9, v91, v6
	s_waitcnt lgkmcnt(1)
	v_add_nc_u32_e32 v25, v25, v7
	v_and_b32_e32 v26, 0xff, v8
	s_waitcnt lgkmcnt(0)
	v_add_nc_u32_e32 v9, v9, v6
	s_delay_alu instid0(VALU_DEP_2) | instskip(SKIP_2) | instid1(VALU_DEP_2)
	v_cmp_eq_u16_e32 vcc_lo, 2, v26
	v_and_or_b32 v26, vcc_lo, v92, 0x80000000
	v_cmp_gt_u32_e32 vcc_lo, 30, v82
	v_ctz_i32_b32_e32 v26, v26
	v_cndmask_b32_e64 v27, 0, 1, vcc_lo
	s_delay_alu instid0(VALU_DEP_2) | instskip(NEXT) | instid1(VALU_DEP_2)
	v_cmp_lt_u32_e32 vcc_lo, v82, v26
	v_dual_cndmask_b32 v6, v6, v9 :: v_dual_lshlrev_b32 v27, 1, v27
	s_delay_alu instid0(VALU_DEP_1)
	v_add_lshl_u32 v93, v27, v82, 2
	v_cndmask_b32_e32 v7, v7, v25, vcc_lo
	v_cmp_gt_u32_e32 vcc_lo, 28, v82
	ds_bpermute_b32 v9, v93, v6
	ds_bpermute_b32 v25, v93, v7
	v_cndmask_b32_e64 v27, 0, 1, vcc_lo
	s_waitcnt lgkmcnt(1)
	v_add_nc_u32_e32 v9, v6, v9
	s_waitcnt lgkmcnt(0)
	v_add_nc_u32_e32 v25, v7, v25
	v_add_nc_u32_e32 v94, 2, v82
	s_delay_alu instid0(VALU_DEP_1) | instskip(NEXT) | instid1(VALU_DEP_3)
	v_cmp_gt_u32_e32 vcc_lo, v94, v26
	v_cndmask_b32_e32 v7, v25, v7, vcc_lo
	v_dual_cndmask_b32 v6, v9, v6 :: v_dual_lshlrev_b32 v27, 2, v27
	v_cmp_gt_u32_e32 vcc_lo, 24, v82
	s_delay_alu instid0(VALU_DEP_2) | instskip(SKIP_4) | instid1(VALU_DEP_1)
	v_add_lshl_u32 v95, v27, v82, 2
	v_cndmask_b32_e64 v27, 0, 1, vcc_lo
	ds_bpermute_b32 v25, v95, v7
	ds_bpermute_b32 v9, v95, v6
	v_lshlrev_b32_e32 v27, 3, v27
	v_add_lshl_u32 v97, v27, v82, 2
	s_waitcnt lgkmcnt(1)
	v_add_nc_u32_e32 v25, v7, v25
	v_add_nc_u32_e32 v96, 4, v82
	s_waitcnt lgkmcnt(0)
	v_add_nc_u32_e32 v9, v6, v9
	s_delay_alu instid0(VALU_DEP_2) | instskip(SKIP_1) | instid1(VALU_DEP_3)
	v_cmp_gt_u32_e32 vcc_lo, v96, v26
	v_cndmask_b32_e32 v7, v25, v7, vcc_lo
	v_cndmask_b32_e32 v6, v9, v6, vcc_lo
	v_cmp_gt_u32_e32 vcc_lo, 16, v82
	ds_bpermute_b32 v25, v97, v7
	ds_bpermute_b32 v9, v97, v6
	v_cndmask_b32_e64 v27, 0, 1, vcc_lo
	s_delay_alu instid0(VALU_DEP_1) | instskip(NEXT) | instid1(VALU_DEP_1)
	v_lshlrev_b32_e32 v27, 4, v27
	v_add_lshl_u32 v99, v27, v82, 2
	s_waitcnt lgkmcnt(1)
	v_add_nc_u32_e32 v25, v7, v25
	v_add_nc_u32_e32 v98, 8, v82
	s_waitcnt lgkmcnt(0)
	v_add_nc_u32_e32 v9, v6, v9
	s_delay_alu instid0(VALU_DEP_2) | instskip(SKIP_1) | instid1(VALU_DEP_3)
	v_cmp_gt_u32_e32 vcc_lo, v98, v26
	v_cndmask_b32_e32 v7, v25, v7, vcc_lo
	v_cndmask_b32_e32 v6, v9, v6, vcc_lo
	ds_bpermute_b32 v25, v99, v7
	ds_bpermute_b32 v9, v99, v6
	v_add_nc_u32_e32 v100, 16, v82
	s_delay_alu instid0(VALU_DEP_1) | instskip(SKIP_2) | instid1(VALU_DEP_1)
	v_cmp_le_u32_e32 vcc_lo, v100, v26
	s_waitcnt lgkmcnt(0)
	v_cndmask_b32_e32 v9, 0, v9, vcc_lo
	v_dual_cndmask_b32 v25, 0, v25 :: v_dual_add_nc_u32 v6, v9, v6
	s_delay_alu instid0(VALU_DEP_1)
	v_add_nc_u32_e32 v7, v25, v7
	v_mov_b32_e32 v25, 0
	s_branch .LBB1601_107
.LBB1601_106:                           ;   in Loop: Header=BB1601_107 Depth=1
	s_or_b32 exec_lo, exec_lo, s7
	ds_bpermute_b32 v9, v91, v6
	ds_bpermute_b32 v28, v91, v7
	v_subrev_nc_u32_e32 v24, 32, v24
	s_waitcnt lgkmcnt(1)
	v_add_nc_u32_e32 v9, v9, v6
	v_and_b32_e32 v29, 0xff, v8
	s_waitcnt lgkmcnt(0)
	v_add_nc_u32_e32 v28, v28, v7
	s_delay_alu instid0(VALU_DEP_2) | instskip(SKIP_1) | instid1(VALU_DEP_1)
	v_cmp_eq_u16_e32 vcc_lo, 2, v29
	v_and_or_b32 v29, vcc_lo, v92, 0x80000000
	v_ctz_i32_b32_e32 v29, v29
	s_delay_alu instid0(VALU_DEP_1)
	v_cmp_lt_u32_e32 vcc_lo, v82, v29
	v_cndmask_b32_e32 v6, v6, v9, vcc_lo
	ds_bpermute_b32 v9, v93, v6
	s_waitcnt lgkmcnt(0)
	v_add_nc_u32_e32 v9, v6, v9
	v_cndmask_b32_e32 v7, v7, v28, vcc_lo
	v_cmp_gt_u32_e32 vcc_lo, v94, v29
	s_delay_alu instid0(VALU_DEP_3)
	v_cndmask_b32_e32 v6, v9, v6, vcc_lo
	ds_bpermute_b32 v28, v93, v7
	ds_bpermute_b32 v9, v95, v6
	s_waitcnt lgkmcnt(1)
	v_add_nc_u32_e32 v28, v7, v28
	s_waitcnt lgkmcnt(0)
	v_add_nc_u32_e32 v9, v6, v9
	s_delay_alu instid0(VALU_DEP_2) | instskip(SKIP_1) | instid1(VALU_DEP_3)
	v_cndmask_b32_e32 v7, v28, v7, vcc_lo
	v_cmp_gt_u32_e32 vcc_lo, v96, v29
	v_cndmask_b32_e32 v6, v9, v6, vcc_lo
	ds_bpermute_b32 v28, v95, v7
	ds_bpermute_b32 v9, v97, v6
	s_waitcnt lgkmcnt(1)
	v_add_nc_u32_e32 v28, v7, v28
	s_waitcnt lgkmcnt(0)
	v_add_nc_u32_e32 v9, v6, v9
	s_delay_alu instid0(VALU_DEP_2) | instskip(SKIP_1) | instid1(VALU_DEP_3)
	v_cndmask_b32_e32 v7, v28, v7, vcc_lo
	v_cmp_gt_u32_e32 vcc_lo, v98, v29
	v_cndmask_b32_e32 v6, v9, v6, vcc_lo
	ds_bpermute_b32 v28, v97, v7
	ds_bpermute_b32 v9, v99, v6
	s_waitcnt lgkmcnt(1)
	v_add_nc_u32_e32 v28, v7, v28
	s_delay_alu instid0(VALU_DEP_1) | instskip(SKIP_4) | instid1(VALU_DEP_1)
	v_cndmask_b32_e32 v7, v28, v7, vcc_lo
	v_cmp_le_u32_e32 vcc_lo, v100, v29
	ds_bpermute_b32 v28, v99, v7
	s_waitcnt lgkmcnt(1)
	v_cndmask_b32_e32 v9, 0, v9, vcc_lo
	v_add3_u32 v6, v6, v26, v9
	s_waitcnt lgkmcnt(0)
	v_cndmask_b32_e32 v28, 0, v28, vcc_lo
	s_delay_alu instid0(VALU_DEP_1)
	v_add3_u32 v7, v7, v27, v28
.LBB1601_107:                           ; =>This Loop Header: Depth=1
                                        ;     Child Loop BB1601_110 Depth 2
	s_delay_alu instid0(VALU_DEP_1) | instskip(SKIP_1) | instid1(VALU_DEP_2)
	v_dual_mov_b32 v27, v7 :: v_dual_and_b32 v8, 0xff, v8
	v_mov_b32_e32 v26, v6
	v_cmp_ne_u16_e32 vcc_lo, 2, v8
	v_cndmask_b32_e64 v8, 0, 1, vcc_lo
	;;#ASMSTART
	;;#ASMEND
	s_delay_alu instid0(VALU_DEP_1)
	v_cmp_ne_u32_e32 vcc_lo, 0, v8
	s_cmp_lg_u32 vcc_lo, exec_lo
	s_cbranch_scc1 .LBB1601_112
; %bb.108:                              ;   in Loop: Header=BB1601_107 Depth=1
	v_lshlrev_b64 v[6:7], 4, v[24:25]
	s_mov_b32 s7, exec_lo
	s_delay_alu instid0(VALU_DEP_1) | instskip(NEXT) | instid1(VALU_DEP_2)
	v_add_co_u32 v28, vcc_lo, s36, v6
	v_add_co_ci_u32_e32 v29, vcc_lo, s37, v7, vcc_lo
	;;#ASMSTART
	global_load_dwordx4 v[6:9], v[28:29] off glc	
s_waitcnt vmcnt(0)
	;;#ASMEND
	v_and_b32_e32 v9, 0xff, v7
	v_and_b32_e32 v101, 0xff00, v7
	v_or3_b32 v6, v6, 0, 0
	v_and_b32_e32 v102, 0xff000000, v7
	v_and_b32_e32 v7, 0xff0000, v7
	s_delay_alu instid0(VALU_DEP_4) | instskip(SKIP_2) | instid1(VALU_DEP_3)
	v_or3_b32 v9, 0, v9, v101
	v_and_b32_e32 v101, 0xff, v8
	v_or3_b32 v6, v6, 0, 0
	v_or3_b32 v7, v9, v7, v102
	s_delay_alu instid0(VALU_DEP_3)
	v_cmpx_eq_u16_e32 0, v101
	s_cbranch_execz .LBB1601_106
; %bb.109:                              ;   in Loop: Header=BB1601_107 Depth=1
	s_mov_b32 s8, 0
.LBB1601_110:                           ;   Parent Loop BB1601_107 Depth=1
                                        ; =>  This Inner Loop Header: Depth=2
	;;#ASMSTART
	global_load_dwordx4 v[6:9], v[28:29] off glc	
s_waitcnt vmcnt(0)
	;;#ASMEND
	v_and_b32_e32 v9, 0xff, v8
	s_delay_alu instid0(VALU_DEP_1) | instskip(SKIP_1) | instid1(SALU_CYCLE_1)
	v_cmp_ne_u16_e32 vcc_lo, 0, v9
	s_or_b32 s8, vcc_lo, s8
	s_and_not1_b32 exec_lo, exec_lo, s8
	s_cbranch_execnz .LBB1601_110
; %bb.111:                              ;   in Loop: Header=BB1601_107 Depth=1
	s_or_b32 exec_lo, exec_lo, s8
	s_branch .LBB1601_106
.LBB1601_112:                           ;   in Loop: Header=BB1601_107 Depth=1
                                        ; implicit-def: $vgpr8
                                        ; implicit-def: $vgpr6_vgpr7
	s_cbranch_execz .LBB1601_107
; %bb.113:
	s_and_saveexec_b32 s7, s3
	s_cbranch_execnz .LBB1601_356
; %bb.114:
	s_or_b32 exec_lo, exec_lo, s7
	s_and_saveexec_b32 s7, s3
	s_cbranch_execnz .LBB1601_357
.LBB1601_115:
	s_or_b32 exec_lo, exec_lo, s7
	s_delay_alu instid0(SALU_CYCLE_1)
	s_and_b32 exec_lo, exec_lo, s2
	s_cbranch_execz .LBB1601_117
.LBB1601_116:
	v_mov_b32_e32 v5, 0
	ds_store_b64 v5, v[26:27] offset:56
.LBB1601_117:
	s_or_b32 exec_lo, exec_lo, s5
	s_waitcnt lgkmcnt(1)
	v_cndmask_b32_e64 v22, v89, v22, s3
	v_mov_b32_e32 v5, 0
	s_waitcnt lgkmcnt(0)
	s_barrier
	buffer_gl0_inv
	v_add_nc_u32_e64 v7, 0x3400, 0
	ds_load_b64 v[24:25], v5 offset:56
	s_waitcnt lgkmcnt(0)
	s_barrier
	buffer_gl0_inv
	ds_load_2addr_b32 v[5:6], v7 offset1:2
	ds_load_2addr_b32 v[7:8], v7 offset0:4 offset1:6
	v_cndmask_b32_e64 v9, v90, v23, s3
	v_add_nc_u32_e32 v22, v24, v22
	s_delay_alu instid0(VALU_DEP_2) | instskip(NEXT) | instid1(VALU_DEP_2)
	v_add_nc_u32_e32 v9, v25, v9
	v_cndmask_b32_e64 v22, v22, v24, s2
	s_delay_alu instid0(VALU_DEP_2)
	v_cndmask_b32_e64 v9, v9, v25, s2
	s_branch .LBB1601_128
.LBB1601_118:
                                        ; implicit-def: $vgpr9
                                        ; implicit-def: $vgpr7
                                        ; implicit-def: $vgpr5
                                        ; implicit-def: $vgpr22_vgpr23
	s_and_b32 vcc_lo, exec_lo, s5
	s_cbranch_vccz .LBB1601_128
; %bb.119:
	s_waitcnt lgkmcnt(1)
	v_mov_b32_dpp v6, v88 row_shr:1 row_mask:0xf bank_mask:0xf
	v_cmp_lt_u32_e32 vcc_lo, 3, v86
	v_mov_b32_dpp v5, v87 row_shr:1 row_mask:0xf bank_mask:0xf
	s_delay_alu instid0(VALU_DEP_3) | instskip(NEXT) | instid1(VALU_DEP_1)
	v_add_nc_u32_e32 v6, v6, v88
	v_cndmask_b32_e64 v6, v6, v88, s1
	s_waitcnt lgkmcnt(0)
	s_delay_alu instid0(VALU_DEP_1) | instskip(NEXT) | instid1(VALU_DEP_1)
	v_mov_b32_dpp v8, v6 row_shr:2 row_mask:0xf bank_mask:0xf
	v_add_nc_u32_e32 v8, v6, v8
	s_delay_alu instid0(VALU_DEP_1) | instskip(NEXT) | instid1(VALU_DEP_1)
	v_cndmask_b32_e64 v6, v6, v8, s0
	v_mov_b32_dpp v8, v6 row_shr:4 row_mask:0xf bank_mask:0xf
	s_delay_alu instid0(VALU_DEP_1) | instskip(NEXT) | instid1(VALU_DEP_1)
	v_add_nc_u32_e32 v8, v6, v8
	v_dual_cndmask_b32 v6, v6, v8 :: v_dual_add_nc_u32 v5, v5, v87
	s_delay_alu instid0(VALU_DEP_1) | instskip(NEXT) | instid1(VALU_DEP_2)
	v_cndmask_b32_e64 v5, v5, v87, s1
	v_mov_b32_dpp v8, v6 row_shr:8 row_mask:0xf bank_mask:0xf
	s_delay_alu instid0(VALU_DEP_2) | instskip(NEXT) | instid1(VALU_DEP_2)
	v_mov_b32_dpp v7, v5 row_shr:2 row_mask:0xf bank_mask:0xf
	v_add_nc_u32_e32 v8, v6, v8
	s_delay_alu instid0(VALU_DEP_2) | instskip(NEXT) | instid1(VALU_DEP_1)
	v_add_nc_u32_e32 v7, v5, v7
	v_cndmask_b32_e64 v5, v5, v7, s0
	s_mov_b32 s0, exec_lo
	s_delay_alu instid0(VALU_DEP_1) | instskip(NEXT) | instid1(VALU_DEP_1)
	v_mov_b32_dpp v7, v5 row_shr:4 row_mask:0xf bank_mask:0xf
	v_add_nc_u32_e32 v7, v5, v7
	s_delay_alu instid0(VALU_DEP_1) | instskip(SKIP_1) | instid1(VALU_DEP_2)
	v_cndmask_b32_e32 v5, v5, v7, vcc_lo
	v_cmp_lt_u32_e32 vcc_lo, 7, v86
	v_mov_b32_dpp v7, v5 row_shr:8 row_mask:0xf bank_mask:0xf
	s_delay_alu instid0(VALU_DEP_1) | instskip(NEXT) | instid1(VALU_DEP_1)
	v_dual_cndmask_b32 v6, v6, v8 :: v_dual_add_nc_u32 v7, v5, v7
	v_cndmask_b32_e32 v5, v5, v7, vcc_lo
	ds_swizzle_b32 v7, v6 offset:swizzle(BROADCAST,32,15)
	v_cmp_eq_u32_e32 vcc_lo, 0, v85
	ds_swizzle_b32 v8, v5 offset:swizzle(BROADCAST,32,15)
	s_waitcnt lgkmcnt(1)
	v_add_nc_u32_e32 v7, v6, v7
	s_waitcnt lgkmcnt(0)
	v_add_nc_u32_e32 v8, v5, v8
	s_delay_alu instid0(VALU_DEP_1)
	v_dual_cndmask_b32 v6, v7, v6 :: v_dual_cndmask_b32 v5, v8, v5
	v_cmpx_eq_u32_e64 v84, v0
	s_cbranch_execz .LBB1601_121
; %bb.120:
	v_lshlrev_b32_e32 v7, 3, v83
	ds_store_b64 v7, v[5:6]
.LBB1601_121:
	s_or_b32 exec_lo, exec_lo, s0
	s_delay_alu instid0(SALU_CYCLE_1)
	s_mov_b32 s0, exec_lo
	s_waitcnt lgkmcnt(0)
	s_barrier
	buffer_gl0_inv
	v_cmpx_gt_u32_e32 8, v0
	s_cbranch_execz .LBB1601_123
; %bb.122:
	v_lshlrev_b32_e32 v9, 3, v0
	ds_load_b64 v[7:8], v9
	s_waitcnt lgkmcnt(0)
	v_mov_b32_dpp v22, v7 row_shr:1 row_mask:0xf bank_mask:0xf
	v_mov_b32_dpp v23, v8 row_shr:1 row_mask:0xf bank_mask:0xf
	s_delay_alu instid0(VALU_DEP_2) | instskip(SKIP_1) | instid1(VALU_DEP_3)
	v_add_nc_u32_e32 v22, v22, v7
	v_and_b32_e32 v24, 7, v82
	v_add_nc_u32_e32 v23, v23, v8
	s_delay_alu instid0(VALU_DEP_2) | instskip(NEXT) | instid1(VALU_DEP_2)
	v_cmp_eq_u32_e32 vcc_lo, 0, v24
	v_dual_cndmask_b32 v8, v23, v8 :: v_dual_cndmask_b32 v7, v22, v7
	v_cmp_lt_u32_e32 vcc_lo, 1, v24
	s_delay_alu instid0(VALU_DEP_2) | instskip(NEXT) | instid1(VALU_DEP_3)
	v_mov_b32_dpp v23, v8 row_shr:2 row_mask:0xf bank_mask:0xf
	v_mov_b32_dpp v22, v7 row_shr:2 row_mask:0xf bank_mask:0xf
	s_delay_alu instid0(VALU_DEP_2) | instskip(NEXT) | instid1(VALU_DEP_2)
	v_add_nc_u32_e32 v23, v8, v23
	v_add_nc_u32_e32 v22, v7, v22
	s_delay_alu instid0(VALU_DEP_1) | instskip(SKIP_1) | instid1(VALU_DEP_2)
	v_dual_cndmask_b32 v8, v8, v23 :: v_dual_cndmask_b32 v7, v7, v22
	v_cmp_lt_u32_e32 vcc_lo, 3, v24
	v_mov_b32_dpp v23, v8 row_shr:4 row_mask:0xf bank_mask:0xf
	s_delay_alu instid0(VALU_DEP_3) | instskip(NEXT) | instid1(VALU_DEP_1)
	v_mov_b32_dpp v22, v7 row_shr:4 row_mask:0xf bank_mask:0xf
	v_dual_cndmask_b32 v23, 0, v23 :: v_dual_cndmask_b32 v22, 0, v22
	s_delay_alu instid0(VALU_DEP_1) | instskip(NEXT) | instid1(VALU_DEP_2)
	v_add_nc_u32_e32 v8, v23, v8
	v_add_nc_u32_e32 v7, v22, v7
	ds_store_b64 v9, v[7:8]
.LBB1601_123:
	s_or_b32 exec_lo, exec_lo, s0
	v_dual_mov_b32 v7, 0 :: v_dual_mov_b32 v22, 0
	v_mov_b32_e32 v23, 0
	s_mov_b32 s0, exec_lo
	s_waitcnt lgkmcnt(0)
	s_barrier
	buffer_gl0_inv
	v_cmpx_lt_u32_e32 31, v0
	s_cbranch_execz .LBB1601_125
; %bb.124:
	v_lshl_add_u32 v8, v83, 3, -8
	ds_load_b64 v[22:23], v8
.LBB1601_125:
	s_or_b32 exec_lo, exec_lo, s0
	v_add_nc_u32_e32 v8, -1, v82
	s_waitcnt lgkmcnt(0)
	v_add_nc_u32_e32 v24, v23, v6
	v_add_nc_u32_e32 v9, v22, v5
	ds_load_b64 v[5:6], v7 offset:56
	v_cmp_gt_i32_e32 vcc_lo, 0, v8
	v_cndmask_b32_e32 v8, v8, v82, vcc_lo
	s_delay_alu instid0(VALU_DEP_1)
	v_lshlrev_b32_e32 v8, 2, v8
	ds_bpermute_b32 v9, v8, v9
	ds_bpermute_b32 v24, v8, v24
	s_waitcnt lgkmcnt(2)
	v_readfirstlane_b32 s0, v6
	s_and_saveexec_b32 s1, s2
	s_cbranch_execz .LBB1601_127
; %bb.126:
	s_mov_b32 s8, 0
	s_add_u32 s6, s36, 0x200
	s_addc_u32 s7, s37, 0
	s_and_b32 s9, s0, 0xff000000
	s_and_b32 s11, s0, 0xff0000
	s_mov_b32 s10, s8
	v_mov_b32_e32 v26, s7
	s_or_b64 s[10:11], s[10:11], s[8:9]
	s_and_b32 s9, s0, 0xff00
	v_dual_mov_b32 v8, 0 :: v_dual_mov_b32 v25, s6
	s_or_b64 s[10:11], s[10:11], s[8:9]
	s_and_b32 s9, s0, 0xff
	v_mov_b32_e32 v7, 2
	s_or_b64 s[8:9], s[10:11], s[8:9]
	s_delay_alu instid0(SALU_CYCLE_1)
	v_mov_b32_e32 v6, s9
	;;#ASMSTART
	global_store_dwordx4 v[25:26], v[5:8] off	
s_waitcnt vmcnt(0)
	;;#ASMEND
.LBB1601_127:
	s_or_b32 exec_lo, exec_lo, s1
	v_cmp_eq_u32_e32 vcc_lo, 0, v82
	v_dual_mov_b32 v7, 0 :: v_dual_mov_b32 v6, s0
	s_waitcnt lgkmcnt(0)
	s_barrier
	v_dual_cndmask_b32 v8, v9, v22 :: v_dual_cndmask_b32 v9, v24, v23
	buffer_gl0_inv
	v_cndmask_b32_e64 v22, v8, 0, s2
	v_cndmask_b32_e64 v9, v9, 0, s2
	v_mov_b32_e32 v8, 0
.LBB1601_128:
	s_delay_alu instid0(VALU_DEP_1) | instskip(SKIP_1) | instid1(VALU_DEP_2)
	v_add_nc_u32_e32 v24, v9, v81
	s_waitcnt lgkmcnt(0)
	v_sub_nc_u32_e32 v9, v9, v8
	v_add_co_u32 v1, vcc_lo, v1, v7
	v_and_b32_e32 v35, 1, v35
	v_add_nc_u32_e32 v26, v24, v77
	v_sub_nc_u32_e32 v24, v24, v8
	v_lshlrev_b32_e32 v77, 1, v5
	v_add_nc_u32_e32 v9, v9, v5
	v_add_co_ci_u32_e32 v2, vcc_lo, 0, v2, vcc_lo
	v_add_nc_u32_e32 v28, v26, v79
	s_delay_alu instid0(VALU_DEP_4)
	v_add3_u32 v33, v77, v6, v33
	v_and_b32_e32 v40, 1, v40
	v_and_b32_e32 v37, 1, v37
	v_and_b32_e32 v36, 1, v36
	v_add_nc_u32_e32 v29, v28, v75
	v_sub_nc_u32_e32 v28, v28, v8
	v_sub_co_u32 v75, vcc_lo, v3, v5
	s_add_u32 s1, s14, -4
	s_delay_alu instid0(VALU_DEP_3) | instskip(SKIP_4) | instid1(VALU_DEP_3)
	v_add_nc_u32_e32 v73, v29, v73
	v_sub_nc_u32_e32 v29, v29, v8
	v_add_nc_u32_e32 v28, v28, v5
	v_add_nc_u32_e32 v24, v24, v5
	s_mov_b32 s3, -1
	v_add_nc_u32_e32 v29, v29, v5
	v_add_nc_u32_e32 v23, v22, v80
	v_sub_nc_u32_e32 v22, v22, v7
	s_delay_alu instid0(VALU_DEP_2) | instskip(SKIP_3) | instid1(VALU_DEP_3)
	v_add_nc_u32_e32 v25, v23, v76
	v_sub_nc_u32_e32 v23, v23, v7
	v_subrev_co_ci_u32_e32 v76, vcc_lo, 0, v4, vcc_lo
	v_cmp_eq_u32_e32 vcc_lo, 1, v35
	v_add_nc_u32_e32 v79, v24, v23
	s_delay_alu instid0(VALU_DEP_1) | instskip(NEXT) | instid1(VALU_DEP_1)
	v_sub_nc_u32_e32 v79, v33, v79
	v_add_nc_u32_e32 v79, 1, v79
	v_add_nc_u32_e32 v27, v25, v78
	v_add_nc_u32_e32 v78, v22, v9
	s_delay_alu instid0(VALU_DEP_1) | instskip(NEXT) | instid1(VALU_DEP_1)
	v_sub_nc_u32_e32 v78, v33, v78
	v_dual_cndmask_b32 v9, v78, v9 :: v_dual_and_b32 v34, 1, v34
	v_cmp_eq_u32_e32 vcc_lo, 1, v40
	v_cndmask_b32_e32 v24, v79, v24, vcc_lo
	s_delay_alu instid0(VALU_DEP_3) | instskip(NEXT) | instid1(VALU_DEP_4)
	v_cmp_eq_u32_e32 vcc_lo, 1, v34
	v_cndmask_b32_e32 v9, v9, v22, vcc_lo
	v_sub_nc_u32_e32 v26, v26, v8
	v_cmp_eq_u32_e32 vcc_lo, 1, v37
	v_and_b32_e32 v37, 1, v38
	s_delay_alu instid0(VALU_DEP_4) | instskip(NEXT) | instid1(VALU_DEP_4)
	v_lshlrev_b32_e32 v9, 2, v9
	v_add_nc_u32_e32 v26, v26, v5
	v_cndmask_b32_e32 v24, v24, v23, vcc_lo
	v_sub_nc_u32_e32 v25, v25, v7
	v_add_co_u32 v22, vcc_lo, v75, v8
	v_add_co_ci_u32_e32 v23, vcc_lo, 0, v76, vcc_lo
	s_delay_alu instid0(VALU_DEP_3)
	v_add_nc_u32_e32 v34, v26, v25
	v_cmp_eq_u32_e32 vcc_lo, 1, v37
	v_lshlrev_b32_e32 v24, 2, v24
	ds_store_b32 v9, v20
	v_sub_nc_u32_e32 v34, v33, v34
	ds_store_b32 v24, v21
	v_and_b32_e32 v24, 1, v39
	v_add_nc_u32_e32 v34, 2, v34
	s_delay_alu instid0(VALU_DEP_1) | instskip(SKIP_3) | instid1(VALU_DEP_4)
	v_cndmask_b32_e32 v26, v34, v26, vcc_lo
	v_cmp_eq_u32_e32 vcc_lo, 1, v36
	v_add_nc_u32_e32 v74, v27, v74
	v_sub_nc_u32_e32 v27, v27, v7
	v_cndmask_b32_e32 v25, v26, v25, vcc_lo
	s_delay_alu instid0(VALU_DEP_3) | instskip(NEXT) | instid1(VALU_DEP_3)
	v_sub_nc_u32_e32 v37, v74, v7
	v_add_nc_u32_e32 v34, v27, v28
	v_cmp_eq_u32_e32 vcc_lo, 1, v24
	v_sub_nc_u32_e32 v26, v73, v8
	v_lshlrev_b32_e32 v21, 2, v25
	v_and_b32_e32 v25, 1, v41
	v_sub_nc_u32_e32 v9, v33, v34
	v_add_nc_u32_e32 v20, v37, v29
	v_and_b32_e32 v24, 1, v42
	v_add_nc_u32_e32 v26, v26, v5
	ds_store_b32 v21, v18
	v_add_nc_u32_e32 v9, 3, v9
	v_sub_nc_u32_e32 v20, v33, v20
	s_delay_alu instid0(VALU_DEP_2) | instskip(SKIP_2) | instid1(VALU_DEP_4)
	v_cndmask_b32_e32 v9, v9, v28, vcc_lo
	v_cmp_eq_u32_e32 vcc_lo, 1, v25
	v_add_nc_u32_e32 v72, v74, v72
	v_add_nc_u32_e32 v20, 4, v20
	v_and_b32_e32 v25, 1, v43
	v_cndmask_b32_e32 v9, v9, v27, vcc_lo
	s_delay_alu instid0(VALU_DEP_4)
	v_sub_nc_u32_e32 v28, v72, v7
	v_cmp_eq_u32_e32 vcc_lo, 1, v24
	v_and_b32_e32 v24, 1, v44
	v_add_nc_u32_e32 v70, v72, v70
	v_lshlrev_b32_e32 v9, 2, v9
	v_add_nc_u32_e32 v27, v28, v26
	v_cndmask_b32_e32 v20, v20, v29, vcc_lo
	v_cmp_eq_u32_e32 vcc_lo, 1, v25
	v_and_b32_e32 v25, 1, v45
	v_add_nc_u32_e32 v64, v70, v64
	v_sub_nc_u32_e32 v18, v33, v27
	v_sub_nc_u32_e32 v27, v70, v7
	v_cndmask_b32_e32 v20, v20, v37, vcc_lo
	v_cmp_eq_u32_e32 vcc_lo, 1, v24
	ds_store_b32 v9, v19
	v_add_nc_u32_e32 v18, 5, v18
	v_and_b32_e32 v19, 1, v46
	v_lshlrev_b32_e32 v20, 2, v20
	v_add_nc_u32_e32 v68, v64, v68
	s_delay_alu instid0(VALU_DEP_4)
	v_cndmask_b32_e32 v18, v18, v26, vcc_lo
	v_cmp_eq_u32_e32 vcc_lo, 1, v25
	v_sub_nc_u32_e32 v25, v64, v7
	ds_store_b32 v20, v16
	v_and_b32_e32 v20, 1, v49
	v_add_nc_u32_e32 v66, v68, v66
	v_dual_cndmask_b32 v18, v18, v28 :: v_dual_add_nc_u32 v71, v73, v71
	v_cmp_eq_u32_e32 vcc_lo, 1, v19
	v_and_b32_e32 v19, 1, v48
	s_delay_alu instid0(VALU_DEP_4) | instskip(NEXT) | instid1(VALU_DEP_4)
	v_add_nc_u32_e32 v61, v66, v61
	v_lshlrev_b32_e32 v18, 2, v18
	v_add_nc_u32_e32 v65, v71, v65
	v_sub_nc_u32_e32 v21, v71, v8
	s_delay_alu instid0(VALU_DEP_4)
	v_add_nc_u32_e32 v60, v61, v60
	ds_store_b32 v18, v17
	v_sub_nc_u32_e32 v24, v65, v8
	v_add_nc_u32_e32 v21, v21, v5
	v_add_nc_u32_e32 v69, v65, v69
	v_and_b32_e32 v17, 1, v47
	s_delay_alu instid0(VALU_DEP_4) | instskip(NEXT) | instid1(VALU_DEP_4)
	v_add_nc_u32_e32 v24, v24, v5
	v_add_nc_u32_e32 v26, v27, v21
	s_delay_alu instid0(VALU_DEP_4) | instskip(NEXT) | instid1(VALU_DEP_3)
	v_sub_nc_u32_e32 v18, v69, v8
	v_add_nc_u32_e32 v16, v25, v24
	s_delay_alu instid0(VALU_DEP_3) | instskip(NEXT) | instid1(VALU_DEP_3)
	v_sub_nc_u32_e32 v9, v33, v26
	v_add_nc_u32_e32 v18, v18, v5
	v_sub_nc_u32_e32 v26, v60, v7
	s_delay_alu instid0(VALU_DEP_4) | instskip(NEXT) | instid1(VALU_DEP_4)
	v_sub_nc_u32_e32 v16, v33, v16
	v_add_nc_u32_e32 v9, 6, v9
	s_delay_alu instid0(VALU_DEP_1) | instskip(SKIP_2) | instid1(VALU_DEP_3)
	v_dual_cndmask_b32 v9, v9, v21 :: v_dual_add_nc_u32 v16, 7, v16
	v_cmp_eq_u32_e32 vcc_lo, 1, v19
	v_sub_nc_u32_e32 v21, v68, v7
	v_cndmask_b32_e32 v16, v16, v24, vcc_lo
	v_cmp_eq_u32_e32 vcc_lo, 1, v17
	s_delay_alu instid0(VALU_DEP_3) | instskip(SKIP_3) | instid1(VALU_DEP_4)
	v_add_nc_u32_e32 v17, v21, v18
	v_cndmask_b32_e32 v9, v9, v27, vcc_lo
	v_cmp_eq_u32_e32 vcc_lo, 1, v20
	v_add_nc_u32_e32 v67, v69, v67
	v_sub_nc_u32_e32 v17, v33, v17
	v_sub_nc_u32_e32 v20, v66, v7
	v_lshlrev_b32_e32 v9, 2, v9
	v_cndmask_b32_e32 v16, v16, v25, vcc_lo
	v_sub_nc_u32_e32 v19, v67, v8
	v_add_nc_u32_e32 v62, v67, v62
	v_sub_nc_u32_e32 v25, v61, v7
	ds_store_b32 v9, v14
	v_and_b32_e32 v9, 1, v50
	v_add_nc_u32_e32 v19, v19, v5
	v_add_nc_u32_e32 v14, 8, v17
	v_lshlrev_b32_e32 v16, 2, v16
	v_add_nc_u32_e32 v63, v62, v63
	v_cmp_eq_u32_e32 vcc_lo, 1, v9
	v_add_nc_u32_e32 v17, v20, v19
	ds_store_b32 v16, v15
	v_and_b32_e32 v15, 1, v51
	v_cndmask_b32_e32 v9, v14, v18, vcc_lo
	v_sub_nc_u32_e32 v14, v33, v17
	v_and_b32_e32 v18, 1, v52
	v_sub_nc_u32_e32 v17, v62, v8
	v_and_b32_e32 v16, 1, v54
	v_sub_nc_u32_e32 v24, v63, v8
	v_add_nc_u32_e32 v14, 9, v14
	v_cmp_eq_u32_e32 vcc_lo, 1, v18
	v_add_nc_u32_e32 v17, v17, v5
	v_add_nc_u32_e32 v35, v63, v59
	;; [unrolled: 1-line block ×3, first 2 shown]
	v_cndmask_b32_e32 v14, v14, v19, vcc_lo
	v_cmp_eq_u32_e32 vcc_lo, 1, v15
	v_add_nc_u32_e32 v15, v25, v17
	s_delay_alu instid0(VALU_DEP_4)
	v_add_nc_u32_e32 v18, v26, v24
	v_and_b32_e32 v19, 1, v55
	v_cndmask_b32_e32 v9, v9, v21, vcc_lo
	v_cmp_eq_u32_e32 vcc_lo, 1, v16
	v_sub_nc_u32_e32 v15, v33, v15
	v_sub_nc_u32_e32 v18, v33, v18
	v_and_b32_e32 v21, 1, v57
	v_sub_nc_u32_e32 v16, v35, v8
	v_cndmask_b32_e32 v14, v14, v20, vcc_lo
	v_and_b32_e32 v20, 1, v53
	v_add_nc_u32_e32 v15, 10, v15
	v_add_nc_u32_e32 v18, 11, v18
	;; [unrolled: 1-line block ×3, first 2 shown]
	v_lshlrev_b32_e32 v9, 2, v9
	v_cmp_eq_u32_e32 vcc_lo, 1, v20
	v_dual_cndmask_b32 v15, v15, v17 :: v_dual_lshlrev_b32 v14, 2, v14
	v_cmp_eq_u32_e32 vcc_lo, 1, v21
	v_and_b32_e32 v17, 1, v56
	v_cndmask_b32_e32 v18, v18, v24, vcc_lo
	v_cmp_eq_u32_e32 vcc_lo, 1, v19
	v_cndmask_b32_e32 v15, v15, v25, vcc_lo
	s_delay_alu instid0(VALU_DEP_4) | instskip(NEXT) | instid1(VALU_DEP_2)
	v_cmp_eq_u32_e32 vcc_lo, 1, v17
	v_lshlrev_b32_e32 v15, 2, v15
	v_cndmask_b32_e32 v17, v18, v26, vcc_lo
	v_add_nc_u32_e32 v40, v60, v58
	s_delay_alu instid0(VALU_DEP_2) | instskip(NEXT) | instid1(VALU_DEP_2)
	v_lshlrev_b32_e32 v17, 2, v17
	v_sub_nc_u32_e32 v7, v40, v7
	ds_store_b32 v9, v12
	ds_store_b32 v14, v13
	;; [unrolled: 1-line block ×4, first 2 shown]
	v_add_co_u32 v9, s0, v6, v77
	s_delay_alu instid0(VALU_DEP_1) | instskip(SKIP_1) | instid1(VALU_DEP_3)
	v_add_co_ci_u32_e64 v10, null, 0, 0, s0
	v_add_nc_u32_e32 v27, v7, v16
	v_add_co_u32 v9, vcc_lo, v9, v22
	s_delay_alu instid0(VALU_DEP_3) | instskip(NEXT) | instid1(VALU_DEP_3)
	v_add_co_ci_u32_e32 v10, vcc_lo, v10, v23, vcc_lo
	v_sub_nc_u32_e32 v20, v33, v27
	v_add_co_u32 v11, s0, s34, v30
	s_delay_alu instid0(VALU_DEP_4) | instskip(NEXT) | instid1(VALU_DEP_3)
	v_add_co_u32 v9, vcc_lo, v9, v1
	v_add_nc_u32_e32 v18, 12, v20
	v_add_co_ci_u32_e64 v12, null, s35, 0, s0
	v_add_co_ci_u32_e32 v10, vcc_lo, v10, v2, vcc_lo
	s_delay_alu instid0(VALU_DEP_3) | instskip(SKIP_1) | instid1(VALU_DEP_2)
	v_cndmask_b32_e64 v16, v18, v16, s33
	v_add_nc_u32_e32 v14, v5, v6
	v_cndmask_b32_e64 v7, v16, v7, s27
	s_delay_alu instid0(VALU_DEP_1)
	v_lshlrev_b32_e32 v7, 2, v7
	ds_store_b32 v7, v32
	v_sub_co_u32 v7, vcc_lo, v11, v9
	v_sub_co_ci_u32_e32 v13, vcc_lo, v12, v10, vcc_lo
	v_lshlrev_b64 v[9:10], 2, v[22:23]
	v_lshlrev_b64 v[11:12], 2, v[1:2]
	s_waitcnt lgkmcnt(0)
	s_barrier
	buffer_gl0_inv
	v_add_co_u32 v9, vcc_lo, s30, v9
	v_add_co_ci_u32_e32 v10, vcc_lo, s31, v10, vcc_lo
	v_cmp_ne_u32_e32 vcc_lo, 1, v31
	v_add_co_u32 v11, s0, s28, v11
	s_delay_alu instid0(VALU_DEP_1)
	v_add_co_ci_u32_e64 v12, s0, s29, v12, s0
	s_addc_u32 s0, s15, -1
	s_cbranch_vccz .LBB1601_132
; %bb.129:
	s_and_b32 vcc_lo, exec_lo, s3
	s_cbranch_vccnz .LBB1601_237
.LBB1601_130:
	s_and_b32 s0, s2, s13
	s_delay_alu instid0(SALU_CYCLE_1)
	s_and_saveexec_b32 s1, s0
	s_cbranch_execnz .LBB1601_355
.LBB1601_131:
	s_nop 0
	s_sendmsg sendmsg(MSG_DEALLOC_VGPRS)
	s_endpgm
.LBB1601_132:
	s_mov_b32 s3, exec_lo
	v_cmpx_le_u32_e64 v5, v0
	s_xor_b32 s3, exec_lo, s3
	s_cbranch_execz .LBB1601_138
; %bb.133:
	s_mov_b32 s5, exec_lo
	v_cmpx_le_u32_e64 v14, v0
	s_xor_b32 s5, exec_lo, s5
	s_cbranch_execz .LBB1601_135
; %bb.134:
	v_lshlrev_b32_e32 v15, 2, v0
	ds_load_b32 v17, v15
	v_add_co_u32 v15, vcc_lo, v7, v0
	v_add_co_ci_u32_e32 v16, vcc_lo, 0, v13, vcc_lo
	s_delay_alu instid0(VALU_DEP_1) | instskip(NEXT) | instid1(VALU_DEP_1)
	v_lshlrev_b64 v[15:16], 2, v[15:16]
	v_sub_co_u32 v15, vcc_lo, s14, v15
	s_delay_alu instid0(VALU_DEP_2)
	v_sub_co_ci_u32_e32 v16, vcc_lo, s15, v16, vcc_lo
	s_waitcnt lgkmcnt(0)
	global_store_b32 v[15:16], v17, off offset:-4
.LBB1601_135:
	s_and_not1_saveexec_b32 s5, s5
	s_cbranch_execz .LBB1601_137
; %bb.136:
	v_lshlrev_b32_e32 v15, 2, v0
	v_readfirstlane_b32 s6, v9
	v_readfirstlane_b32 s7, v10
	ds_load_b32 v16, v15
	s_waitcnt lgkmcnt(0)
	global_store_b32 v15, v16, s[6:7]
.LBB1601_137:
	s_or_b32 exec_lo, exec_lo, s5
.LBB1601_138:
	s_and_not1_saveexec_b32 s3, s3
	s_cbranch_execz .LBB1601_140
; %bb.139:
	v_lshlrev_b32_e32 v15, 2, v0
	v_readfirstlane_b32 s6, v11
	v_readfirstlane_b32 s7, v12
	ds_load_b32 v16, v15
	s_waitcnt lgkmcnt(0)
	global_store_b32 v15, v16, s[6:7]
.LBB1601_140:
	s_or_b32 exec_lo, exec_lo, s3
	v_or_b32_e32 v15, 0x100, v0
	s_mov_b32 s3, exec_lo
	s_delay_alu instid0(VALU_DEP_1)
	v_cmpx_le_u32_e64 v5, v15
	s_xor_b32 s3, exec_lo, s3
	s_cbranch_execz .LBB1601_146
; %bb.141:
	s_mov_b32 s5, exec_lo
	v_cmpx_le_u32_e64 v14, v15
	s_xor_b32 s5, exec_lo, s5
	s_cbranch_execz .LBB1601_143
; %bb.142:
	v_lshlrev_b32_e32 v15, 2, v0
	ds_load_b32 v17, v15 offset:1024
	v_add_co_u32 v15, vcc_lo, v7, v0
	v_add_co_ci_u32_e32 v16, vcc_lo, 0, v13, vcc_lo
	s_delay_alu instid0(VALU_DEP_1) | instskip(NEXT) | instid1(VALU_DEP_1)
	v_lshlrev_b64 v[15:16], 2, v[15:16]
	v_sub_co_u32 v15, vcc_lo, s1, v15
	s_delay_alu instid0(VALU_DEP_2)
	v_sub_co_ci_u32_e32 v16, vcc_lo, s0, v16, vcc_lo
	s_waitcnt lgkmcnt(0)
	global_store_b32 v[15:16], v17, off offset:-1024
.LBB1601_143:
	s_and_not1_saveexec_b32 s5, s5
	s_cbranch_execz .LBB1601_145
; %bb.144:
	v_lshlrev_b32_e32 v15, 2, v0
	v_readfirstlane_b32 s6, v9
	v_readfirstlane_b32 s7, v10
	ds_load_b32 v16, v15 offset:1024
	s_waitcnt lgkmcnt(0)
	global_store_b32 v15, v16, s[6:7] offset:1024
.LBB1601_145:
	s_or_b32 exec_lo, exec_lo, s5
.LBB1601_146:
	s_and_not1_saveexec_b32 s3, s3
	s_cbranch_execz .LBB1601_148
; %bb.147:
	v_lshlrev_b32_e32 v15, 2, v0
	v_readfirstlane_b32 s6, v11
	v_readfirstlane_b32 s7, v12
	ds_load_b32 v16, v15 offset:1024
	s_waitcnt lgkmcnt(0)
	global_store_b32 v15, v16, s[6:7] offset:1024
.LBB1601_148:
	s_or_b32 exec_lo, exec_lo, s3
	v_or_b32_e32 v15, 0x200, v0
	s_mov_b32 s3, exec_lo
	s_delay_alu instid0(VALU_DEP_1)
	v_cmpx_le_u32_e64 v5, v15
	s_xor_b32 s3, exec_lo, s3
	s_cbranch_execz .LBB1601_154
; %bb.149:
	s_mov_b32 s5, exec_lo
	v_cmpx_le_u32_e64 v14, v15
	s_xor_b32 s5, exec_lo, s5
	s_cbranch_execz .LBB1601_151
; %bb.150:
	v_lshlrev_b32_e32 v15, 2, v0
	ds_load_b32 v17, v15 offset:2048
	v_add_co_u32 v15, vcc_lo, v7, v0
	v_add_co_ci_u32_e32 v16, vcc_lo, 0, v13, vcc_lo
	s_delay_alu instid0(VALU_DEP_1) | instskip(NEXT) | instid1(VALU_DEP_1)
	v_lshlrev_b64 v[15:16], 2, v[15:16]
	v_sub_co_u32 v15, vcc_lo, s1, v15
	s_delay_alu instid0(VALU_DEP_2)
	v_sub_co_ci_u32_e32 v16, vcc_lo, s0, v16, vcc_lo
	s_waitcnt lgkmcnt(0)
	global_store_b32 v[15:16], v17, off offset:-2048
.LBB1601_151:
	s_and_not1_saveexec_b32 s5, s5
	s_cbranch_execz .LBB1601_153
; %bb.152:
	v_lshlrev_b32_e32 v15, 2, v0
	v_readfirstlane_b32 s6, v9
	v_readfirstlane_b32 s7, v10
	ds_load_b32 v16, v15 offset:2048
	s_waitcnt lgkmcnt(0)
	global_store_b32 v15, v16, s[6:7] offset:2048
.LBB1601_153:
	s_or_b32 exec_lo, exec_lo, s5
.LBB1601_154:
	s_and_not1_saveexec_b32 s3, s3
	s_cbranch_execz .LBB1601_156
; %bb.155:
	v_lshlrev_b32_e32 v15, 2, v0
	v_readfirstlane_b32 s6, v11
	v_readfirstlane_b32 s7, v12
	ds_load_b32 v16, v15 offset:2048
	s_waitcnt lgkmcnt(0)
	global_store_b32 v15, v16, s[6:7] offset:2048
.LBB1601_156:
	;; [unrolled: 47-line block ×3, first 2 shown]
	s_or_b32 exec_lo, exec_lo, s3
	v_or_b32_e32 v15, 0x400, v0
	s_mov_b32 s3, exec_lo
	s_delay_alu instid0(VALU_DEP_1)
	v_cmpx_le_u32_e64 v5, v15
	s_xor_b32 s3, exec_lo, s3
	s_cbranch_execz .LBB1601_170
; %bb.165:
	s_mov_b32 s5, exec_lo
	v_cmpx_le_u32_e64 v14, v15
	s_xor_b32 s5, exec_lo, s5
	s_cbranch_execz .LBB1601_167
; %bb.166:
	v_lshlrev_b32_e32 v15, 2, v0
	ds_load_b32 v17, v15 offset:4096
	v_add_co_u32 v15, vcc_lo, v7, v0
	v_add_co_ci_u32_e32 v16, vcc_lo, 0, v13, vcc_lo
	s_delay_alu instid0(VALU_DEP_1) | instskip(NEXT) | instid1(VALU_DEP_1)
	v_lshlrev_b64 v[15:16], 2, v[15:16]
	v_sub_co_u32 v15, vcc_lo, s1, v15
	s_delay_alu instid0(VALU_DEP_2)
	v_sub_co_ci_u32_e32 v16, vcc_lo, s0, v16, vcc_lo
	s_waitcnt lgkmcnt(0)
	global_store_b32 v[15:16], v17, off offset:-4096
                                        ; implicit-def: $vgpr15
.LBB1601_167:
	s_and_not1_saveexec_b32 s5, s5
	s_cbranch_execz .LBB1601_169
; %bb.168:
	v_lshlrev_b32_e32 v16, 2, v0
	v_lshlrev_b32_e32 v15, 2, v15
	v_readfirstlane_b32 s6, v9
	v_readfirstlane_b32 s7, v10
	ds_load_b32 v16, v16 offset:4096
	s_waitcnt lgkmcnt(0)
	global_store_b32 v15, v16, s[6:7]
.LBB1601_169:
	s_or_b32 exec_lo, exec_lo, s5
                                        ; implicit-def: $vgpr15
.LBB1601_170:
	s_and_not1_saveexec_b32 s3, s3
	s_cbranch_execz .LBB1601_172
; %bb.171:
	v_lshlrev_b32_e32 v16, 2, v0
	v_lshlrev_b32_e32 v15, 2, v15
	v_readfirstlane_b32 s6, v11
	v_readfirstlane_b32 s7, v12
	ds_load_b32 v16, v16 offset:4096
	s_waitcnt lgkmcnt(0)
	global_store_b32 v15, v16, s[6:7]
.LBB1601_172:
	s_or_b32 exec_lo, exec_lo, s3
	v_or_b32_e32 v15, 0x500, v0
	s_mov_b32 s3, exec_lo
	s_delay_alu instid0(VALU_DEP_1)
	v_cmpx_le_u32_e64 v5, v15
	s_xor_b32 s3, exec_lo, s3
	s_cbranch_execz .LBB1601_178
; %bb.173:
	s_mov_b32 s5, exec_lo
	v_cmpx_le_u32_e64 v14, v15
	s_xor_b32 s5, exec_lo, s5
	s_cbranch_execz .LBB1601_175
; %bb.174:
	v_lshlrev_b32_e32 v16, 2, v0
	v_add_co_u32 v15, vcc_lo, v7, v15
	ds_load_b32 v17, v16 offset:5120
	v_add_co_ci_u32_e32 v16, vcc_lo, 0, v13, vcc_lo
	s_delay_alu instid0(VALU_DEP_1) | instskip(NEXT) | instid1(VALU_DEP_1)
	v_lshlrev_b64 v[15:16], 2, v[15:16]
	v_sub_co_u32 v15, vcc_lo, s1, v15
	s_delay_alu instid0(VALU_DEP_2)
	v_sub_co_ci_u32_e32 v16, vcc_lo, s0, v16, vcc_lo
	s_waitcnt lgkmcnt(0)
	global_store_b32 v[15:16], v17, off
                                        ; implicit-def: $vgpr15
.LBB1601_175:
	s_and_not1_saveexec_b32 s5, s5
	s_cbranch_execz .LBB1601_177
; %bb.176:
	v_lshlrev_b32_e32 v16, 2, v0
	v_lshlrev_b32_e32 v15, 2, v15
	v_readfirstlane_b32 s6, v9
	v_readfirstlane_b32 s7, v10
	ds_load_b32 v16, v16 offset:5120
	s_waitcnt lgkmcnt(0)
	global_store_b32 v15, v16, s[6:7]
.LBB1601_177:
	s_or_b32 exec_lo, exec_lo, s5
                                        ; implicit-def: $vgpr15
.LBB1601_178:
	s_and_not1_saveexec_b32 s3, s3
	s_cbranch_execz .LBB1601_180
; %bb.179:
	v_lshlrev_b32_e32 v16, 2, v0
	v_lshlrev_b32_e32 v15, 2, v15
	v_readfirstlane_b32 s6, v11
	v_readfirstlane_b32 s7, v12
	ds_load_b32 v16, v16 offset:5120
	s_waitcnt lgkmcnt(0)
	global_store_b32 v15, v16, s[6:7]
.LBB1601_180:
	s_or_b32 exec_lo, exec_lo, s3
	v_or_b32_e32 v15, 0x600, v0
	s_mov_b32 s3, exec_lo
	s_delay_alu instid0(VALU_DEP_1)
	v_cmpx_le_u32_e64 v5, v15
	s_xor_b32 s3, exec_lo, s3
	s_cbranch_execz .LBB1601_186
; %bb.181:
	s_mov_b32 s5, exec_lo
	v_cmpx_le_u32_e64 v14, v15
	s_xor_b32 s5, exec_lo, s5
	s_cbranch_execz .LBB1601_183
; %bb.182:
	v_lshlrev_b32_e32 v16, 2, v0
	v_add_co_u32 v15, vcc_lo, v7, v15
	ds_load_b32 v17, v16 offset:6144
	v_add_co_ci_u32_e32 v16, vcc_lo, 0, v13, vcc_lo
	s_delay_alu instid0(VALU_DEP_1) | instskip(NEXT) | instid1(VALU_DEP_1)
	v_lshlrev_b64 v[15:16], 2, v[15:16]
	v_sub_co_u32 v15, vcc_lo, s1, v15
	s_delay_alu instid0(VALU_DEP_2)
	v_sub_co_ci_u32_e32 v16, vcc_lo, s0, v16, vcc_lo
	s_waitcnt lgkmcnt(0)
	global_store_b32 v[15:16], v17, off
                                        ; implicit-def: $vgpr15
.LBB1601_183:
	s_and_not1_saveexec_b32 s5, s5
	s_cbranch_execz .LBB1601_185
; %bb.184:
	v_lshlrev_b32_e32 v16, 2, v0
	v_lshlrev_b32_e32 v15, 2, v15
	v_readfirstlane_b32 s6, v9
	v_readfirstlane_b32 s7, v10
	ds_load_b32 v16, v16 offset:6144
	s_waitcnt lgkmcnt(0)
	global_store_b32 v15, v16, s[6:7]
.LBB1601_185:
	s_or_b32 exec_lo, exec_lo, s5
                                        ; implicit-def: $vgpr15
.LBB1601_186:
	;; [unrolled: 51-line block ×8, first 2 shown]
	s_and_not1_saveexec_b32 s3, s3
	s_cbranch_execz .LBB1601_236
; %bb.235:
	v_lshlrev_b32_e32 v16, 2, v0
	v_lshlrev_b32_e32 v15, 2, v15
	v_readfirstlane_b32 s6, v11
	v_readfirstlane_b32 s7, v12
	ds_load_b32 v16, v16 offset:12288
	s_waitcnt lgkmcnt(0)
	global_store_b32 v15, v16, s[6:7]
.LBB1601_236:
	s_or_b32 exec_lo, exec_lo, s3
	s_branch .LBB1601_130
.LBB1601_237:
	s_mov_b32 s3, exec_lo
	v_cmpx_gt_u32_e64 s4, v0
	s_cbranch_execz .LBB1601_246
; %bb.238:
	s_mov_b32 s5, exec_lo
	v_cmpx_le_u32_e64 v5, v0
	s_xor_b32 s5, exec_lo, s5
	s_cbranch_execz .LBB1601_244
; %bb.239:
	s_mov_b32 s6, exec_lo
	v_cmpx_le_u32_e64 v14, v0
	s_xor_b32 s6, exec_lo, s6
	s_cbranch_execz .LBB1601_241
; %bb.240:
	v_lshlrev_b32_e32 v15, 2, v0
	ds_load_b32 v17, v15
	v_add_co_u32 v15, vcc_lo, v7, v0
	v_add_co_ci_u32_e32 v16, vcc_lo, 0, v13, vcc_lo
	s_delay_alu instid0(VALU_DEP_1) | instskip(NEXT) | instid1(VALU_DEP_1)
	v_lshlrev_b64 v[15:16], 2, v[15:16]
	v_sub_co_u32 v15, vcc_lo, s14, v15
	s_delay_alu instid0(VALU_DEP_2)
	v_sub_co_ci_u32_e32 v16, vcc_lo, s15, v16, vcc_lo
	s_waitcnt lgkmcnt(0)
	global_store_b32 v[15:16], v17, off offset:-4
.LBB1601_241:
	s_and_not1_saveexec_b32 s6, s6
	s_cbranch_execz .LBB1601_243
; %bb.242:
	v_lshlrev_b32_e32 v15, 2, v0
	v_readfirstlane_b32 s8, v9
	v_readfirstlane_b32 s9, v10
	ds_load_b32 v16, v15
	s_waitcnt lgkmcnt(0)
	global_store_b32 v15, v16, s[8:9]
.LBB1601_243:
	s_or_b32 exec_lo, exec_lo, s6
.LBB1601_244:
	s_and_not1_saveexec_b32 s5, s5
	s_cbranch_execz .LBB1601_246
; %bb.245:
	v_lshlrev_b32_e32 v15, 2, v0
	v_readfirstlane_b32 s6, v11
	v_readfirstlane_b32 s7, v12
	ds_load_b32 v16, v15
	s_waitcnt lgkmcnt(0)
	global_store_b32 v15, v16, s[6:7]
.LBB1601_246:
	s_or_b32 exec_lo, exec_lo, s3
	v_or_b32_e32 v15, 0x100, v0
	s_mov_b32 s3, exec_lo
	s_delay_alu instid0(VALU_DEP_1)
	v_cmpx_gt_u32_e64 s4, v15
	s_cbranch_execz .LBB1601_255
; %bb.247:
	s_mov_b32 s5, exec_lo
	v_cmpx_le_u32_e64 v5, v15
	s_xor_b32 s5, exec_lo, s5
	s_cbranch_execz .LBB1601_253
; %bb.248:
	s_mov_b32 s6, exec_lo
	v_cmpx_le_u32_e64 v14, v15
	s_xor_b32 s6, exec_lo, s6
	s_cbranch_execz .LBB1601_250
; %bb.249:
	v_lshlrev_b32_e32 v15, 2, v0
	ds_load_b32 v17, v15 offset:1024
	v_add_co_u32 v15, vcc_lo, v7, v0
	v_add_co_ci_u32_e32 v16, vcc_lo, 0, v13, vcc_lo
	s_delay_alu instid0(VALU_DEP_1) | instskip(NEXT) | instid1(VALU_DEP_1)
	v_lshlrev_b64 v[15:16], 2, v[15:16]
	v_sub_co_u32 v15, vcc_lo, s1, v15
	s_delay_alu instid0(VALU_DEP_2)
	v_sub_co_ci_u32_e32 v16, vcc_lo, s0, v16, vcc_lo
	s_waitcnt lgkmcnt(0)
	global_store_b32 v[15:16], v17, off offset:-1024
.LBB1601_250:
	s_and_not1_saveexec_b32 s6, s6
	s_cbranch_execz .LBB1601_252
; %bb.251:
	v_lshlrev_b32_e32 v15, 2, v0
	v_readfirstlane_b32 s8, v9
	v_readfirstlane_b32 s9, v10
	ds_load_b32 v16, v15 offset:1024
	s_waitcnt lgkmcnt(0)
	global_store_b32 v15, v16, s[8:9] offset:1024
.LBB1601_252:
	s_or_b32 exec_lo, exec_lo, s6
.LBB1601_253:
	s_and_not1_saveexec_b32 s5, s5
	s_cbranch_execz .LBB1601_255
; %bb.254:
	v_lshlrev_b32_e32 v15, 2, v0
	v_readfirstlane_b32 s6, v11
	v_readfirstlane_b32 s7, v12
	ds_load_b32 v16, v15 offset:1024
	s_waitcnt lgkmcnt(0)
	global_store_b32 v15, v16, s[6:7] offset:1024
.LBB1601_255:
	s_or_b32 exec_lo, exec_lo, s3
	v_or_b32_e32 v15, 0x200, v0
	s_mov_b32 s3, exec_lo
	s_delay_alu instid0(VALU_DEP_1)
	v_cmpx_gt_u32_e64 s4, v15
	s_cbranch_execz .LBB1601_264
; %bb.256:
	s_mov_b32 s5, exec_lo
	v_cmpx_le_u32_e64 v5, v15
	s_xor_b32 s5, exec_lo, s5
	s_cbranch_execz .LBB1601_262
; %bb.257:
	s_mov_b32 s6, exec_lo
	v_cmpx_le_u32_e64 v14, v15
	s_xor_b32 s6, exec_lo, s6
	s_cbranch_execz .LBB1601_259
; %bb.258:
	v_lshlrev_b32_e32 v15, 2, v0
	ds_load_b32 v17, v15 offset:2048
	v_add_co_u32 v15, vcc_lo, v7, v0
	v_add_co_ci_u32_e32 v16, vcc_lo, 0, v13, vcc_lo
	s_delay_alu instid0(VALU_DEP_1) | instskip(NEXT) | instid1(VALU_DEP_1)
	v_lshlrev_b64 v[15:16], 2, v[15:16]
	v_sub_co_u32 v15, vcc_lo, s1, v15
	s_delay_alu instid0(VALU_DEP_2)
	v_sub_co_ci_u32_e32 v16, vcc_lo, s0, v16, vcc_lo
	s_waitcnt lgkmcnt(0)
	global_store_b32 v[15:16], v17, off offset:-2048
.LBB1601_259:
	s_and_not1_saveexec_b32 s6, s6
	s_cbranch_execz .LBB1601_261
; %bb.260:
	v_lshlrev_b32_e32 v15, 2, v0
	v_readfirstlane_b32 s8, v9
	v_readfirstlane_b32 s9, v10
	ds_load_b32 v16, v15 offset:2048
	s_waitcnt lgkmcnt(0)
	global_store_b32 v15, v16, s[8:9] offset:2048
.LBB1601_261:
	s_or_b32 exec_lo, exec_lo, s6
.LBB1601_262:
	s_and_not1_saveexec_b32 s5, s5
	s_cbranch_execz .LBB1601_264
; %bb.263:
	v_lshlrev_b32_e32 v15, 2, v0
	v_readfirstlane_b32 s6, v11
	v_readfirstlane_b32 s7, v12
	ds_load_b32 v16, v15 offset:2048
	s_waitcnt lgkmcnt(0)
	global_store_b32 v15, v16, s[6:7] offset:2048
.LBB1601_264:
	;; [unrolled: 51-line block ×3, first 2 shown]
	s_or_b32 exec_lo, exec_lo, s3
	v_or_b32_e32 v15, 0x400, v0
	s_mov_b32 s3, exec_lo
	s_delay_alu instid0(VALU_DEP_1)
	v_cmpx_gt_u32_e64 s4, v15
	s_cbranch_execz .LBB1601_282
; %bb.274:
	s_mov_b32 s5, exec_lo
	v_cmpx_le_u32_e64 v5, v15
	s_xor_b32 s5, exec_lo, s5
	s_cbranch_execz .LBB1601_280
; %bb.275:
	s_mov_b32 s6, exec_lo
	v_cmpx_le_u32_e64 v14, v15
	s_xor_b32 s6, exec_lo, s6
	s_cbranch_execz .LBB1601_277
; %bb.276:
	v_lshlrev_b32_e32 v15, 2, v0
	ds_load_b32 v17, v15 offset:4096
	v_add_co_u32 v15, vcc_lo, v7, v0
	v_add_co_ci_u32_e32 v16, vcc_lo, 0, v13, vcc_lo
	s_delay_alu instid0(VALU_DEP_1) | instskip(NEXT) | instid1(VALU_DEP_1)
	v_lshlrev_b64 v[15:16], 2, v[15:16]
	v_sub_co_u32 v15, vcc_lo, s1, v15
	s_delay_alu instid0(VALU_DEP_2)
	v_sub_co_ci_u32_e32 v16, vcc_lo, s0, v16, vcc_lo
	s_waitcnt lgkmcnt(0)
	global_store_b32 v[15:16], v17, off offset:-4096
                                        ; implicit-def: $vgpr15
.LBB1601_277:
	s_and_not1_saveexec_b32 s6, s6
	s_cbranch_execz .LBB1601_279
; %bb.278:
	v_lshlrev_b32_e32 v16, 2, v0
	v_lshlrev_b32_e32 v15, 2, v15
	v_readfirstlane_b32 s8, v9
	v_readfirstlane_b32 s9, v10
	ds_load_b32 v16, v16 offset:4096
	s_waitcnt lgkmcnt(0)
	global_store_b32 v15, v16, s[8:9]
.LBB1601_279:
	s_or_b32 exec_lo, exec_lo, s6
                                        ; implicit-def: $vgpr15
.LBB1601_280:
	s_and_not1_saveexec_b32 s5, s5
	s_cbranch_execz .LBB1601_282
; %bb.281:
	v_lshlrev_b32_e32 v16, 2, v0
	v_lshlrev_b32_e32 v15, 2, v15
	v_readfirstlane_b32 s6, v11
	v_readfirstlane_b32 s7, v12
	ds_load_b32 v16, v16 offset:4096
	s_waitcnt lgkmcnt(0)
	global_store_b32 v15, v16, s[6:7]
.LBB1601_282:
	s_or_b32 exec_lo, exec_lo, s3
	v_or_b32_e32 v15, 0x500, v0
	s_mov_b32 s3, exec_lo
	s_delay_alu instid0(VALU_DEP_1)
	v_cmpx_gt_u32_e64 s4, v15
	s_cbranch_execz .LBB1601_291
; %bb.283:
	s_mov_b32 s5, exec_lo
	v_cmpx_le_u32_e64 v5, v15
	s_xor_b32 s5, exec_lo, s5
	s_cbranch_execz .LBB1601_289
; %bb.284:
	s_mov_b32 s6, exec_lo
	v_cmpx_le_u32_e64 v14, v15
	s_xor_b32 s6, exec_lo, s6
	s_cbranch_execz .LBB1601_286
; %bb.285:
	v_lshlrev_b32_e32 v16, 2, v0
	v_add_co_u32 v15, vcc_lo, v7, v15
	ds_load_b32 v17, v16 offset:5120
	v_add_co_ci_u32_e32 v16, vcc_lo, 0, v13, vcc_lo
	s_delay_alu instid0(VALU_DEP_1) | instskip(NEXT) | instid1(VALU_DEP_1)
	v_lshlrev_b64 v[15:16], 2, v[15:16]
	v_sub_co_u32 v15, vcc_lo, s1, v15
	s_delay_alu instid0(VALU_DEP_2)
	v_sub_co_ci_u32_e32 v16, vcc_lo, s0, v16, vcc_lo
	s_waitcnt lgkmcnt(0)
	global_store_b32 v[15:16], v17, off
                                        ; implicit-def: $vgpr15
.LBB1601_286:
	s_and_not1_saveexec_b32 s6, s6
	s_cbranch_execz .LBB1601_288
; %bb.287:
	v_lshlrev_b32_e32 v16, 2, v0
	v_lshlrev_b32_e32 v15, 2, v15
	v_readfirstlane_b32 s8, v9
	v_readfirstlane_b32 s9, v10
	ds_load_b32 v16, v16 offset:5120
	s_waitcnt lgkmcnt(0)
	global_store_b32 v15, v16, s[8:9]
.LBB1601_288:
	s_or_b32 exec_lo, exec_lo, s6
                                        ; implicit-def: $vgpr15
.LBB1601_289:
	s_and_not1_saveexec_b32 s5, s5
	s_cbranch_execz .LBB1601_291
; %bb.290:
	v_lshlrev_b32_e32 v16, 2, v0
	v_lshlrev_b32_e32 v15, 2, v15
	v_readfirstlane_b32 s6, v11
	v_readfirstlane_b32 s7, v12
	ds_load_b32 v16, v16 offset:5120
	s_waitcnt lgkmcnt(0)
	global_store_b32 v15, v16, s[6:7]
.LBB1601_291:
	s_or_b32 exec_lo, exec_lo, s3
	v_or_b32_e32 v15, 0x600, v0
	s_mov_b32 s3, exec_lo
	s_delay_alu instid0(VALU_DEP_1)
	v_cmpx_gt_u32_e64 s4, v15
	s_cbranch_execz .LBB1601_300
; %bb.292:
	s_mov_b32 s5, exec_lo
	v_cmpx_le_u32_e64 v5, v15
	s_xor_b32 s5, exec_lo, s5
	s_cbranch_execz .LBB1601_298
; %bb.293:
	s_mov_b32 s6, exec_lo
	v_cmpx_le_u32_e64 v14, v15
	s_xor_b32 s6, exec_lo, s6
	s_cbranch_execz .LBB1601_295
; %bb.294:
	v_lshlrev_b32_e32 v16, 2, v0
	v_add_co_u32 v15, vcc_lo, v7, v15
	ds_load_b32 v17, v16 offset:6144
	v_add_co_ci_u32_e32 v16, vcc_lo, 0, v13, vcc_lo
	s_delay_alu instid0(VALU_DEP_1) | instskip(NEXT) | instid1(VALU_DEP_1)
	v_lshlrev_b64 v[15:16], 2, v[15:16]
	v_sub_co_u32 v15, vcc_lo, s1, v15
	s_delay_alu instid0(VALU_DEP_2)
	v_sub_co_ci_u32_e32 v16, vcc_lo, s0, v16, vcc_lo
	s_waitcnt lgkmcnt(0)
	global_store_b32 v[15:16], v17, off
                                        ; implicit-def: $vgpr15
.LBB1601_295:
	s_and_not1_saveexec_b32 s6, s6
	s_cbranch_execz .LBB1601_297
; %bb.296:
	v_lshlrev_b32_e32 v16, 2, v0
	v_lshlrev_b32_e32 v15, 2, v15
	v_readfirstlane_b32 s8, v9
	v_readfirstlane_b32 s9, v10
	ds_load_b32 v16, v16 offset:6144
	s_waitcnt lgkmcnt(0)
	global_store_b32 v15, v16, s[8:9]
.LBB1601_297:
	s_or_b32 exec_lo, exec_lo, s6
                                        ; implicit-def: $vgpr15
.LBB1601_298:
	s_and_not1_saveexec_b32 s5, s5
	s_cbranch_execz .LBB1601_300
; %bb.299:
	v_lshlrev_b32_e32 v16, 2, v0
	v_lshlrev_b32_e32 v15, 2, v15
	v_readfirstlane_b32 s6, v11
	v_readfirstlane_b32 s7, v12
	ds_load_b32 v16, v16 offset:6144
	s_waitcnt lgkmcnt(0)
	global_store_b32 v15, v16, s[6:7]
.LBB1601_300:
	;; [unrolled: 55-line block ×7, first 2 shown]
	s_or_b32 exec_lo, exec_lo, s3
	v_or_b32_e32 v15, 0xc00, v0
	s_mov_b32 s3, exec_lo
	s_delay_alu instid0(VALU_DEP_1)
	v_cmpx_gt_u32_e64 s4, v15
	s_cbranch_execz .LBB1601_354
; %bb.346:
	s_mov_b32 s4, exec_lo
	v_cmpx_le_u32_e64 v5, v15
	s_xor_b32 s4, exec_lo, s4
	s_cbranch_execz .LBB1601_352
; %bb.347:
	s_mov_b32 s5, exec_lo
	v_cmpx_le_u32_e64 v14, v15
	s_xor_b32 s5, exec_lo, s5
	s_cbranch_execz .LBB1601_349
; %bb.348:
	v_lshlrev_b32_e32 v0, 2, v0
	v_add_co_u32 v9, vcc_lo, v7, v15
	v_add_co_ci_u32_e32 v10, vcc_lo, 0, v13, vcc_lo
	ds_load_b32 v0, v0 offset:12288
                                        ; implicit-def: $vgpr15
	v_lshlrev_b64 v[9:10], 2, v[9:10]
	s_delay_alu instid0(VALU_DEP_1) | instskip(NEXT) | instid1(VALU_DEP_2)
	v_sub_co_u32 v9, vcc_lo, s1, v9
	v_sub_co_ci_u32_e32 v10, vcc_lo, s0, v10, vcc_lo
	s_waitcnt lgkmcnt(0)
	global_store_b32 v[9:10], v0, off
                                        ; implicit-def: $vgpr0
                                        ; implicit-def: $vgpr9_vgpr10
.LBB1601_349:
	s_and_not1_saveexec_b32 s0, s5
	s_cbranch_execz .LBB1601_351
; %bb.350:
	v_lshlrev_b32_e32 v0, 2, v0
	v_lshlrev_b32_e32 v7, 2, v15
	v_readfirstlane_b32 s6, v9
	v_readfirstlane_b32 s7, v10
	ds_load_b32 v0, v0 offset:12288
	s_waitcnt lgkmcnt(0)
	global_store_b32 v7, v0, s[6:7]
.LBB1601_351:
	s_or_b32 exec_lo, exec_lo, s0
                                        ; implicit-def: $vgpr0
                                        ; implicit-def: $vgpr15
                                        ; implicit-def: $vgpr11_vgpr12
.LBB1601_352:
	s_and_not1_saveexec_b32 s0, s4
	s_cbranch_execz .LBB1601_354
; %bb.353:
	v_lshlrev_b32_e32 v0, 2, v0
	v_lshlrev_b32_e32 v7, 2, v15
	v_readfirstlane_b32 s0, v11
	v_readfirstlane_b32 s1, v12
	ds_load_b32 v0, v0 offset:12288
	s_waitcnt lgkmcnt(0)
	global_store_b32 v7, v0, s[0:1]
.LBB1601_354:
	s_or_b32 exec_lo, exec_lo, s3
	s_and_b32 s0, s2, s13
	s_delay_alu instid0(SALU_CYCLE_1)
	s_and_saveexec_b32 s1, s0
	s_cbranch_execz .LBB1601_131
.LBB1601_355:
	v_add_co_u32 v3, vcc_lo, v3, v6
	v_add_co_ci_u32_e32 v4, vcc_lo, 0, v4, vcc_lo
	v_add_co_u32 v0, vcc_lo, v1, v5
	v_add_co_ci_u32_e32 v1, vcc_lo, 0, v2, vcc_lo
	s_delay_alu instid0(VALU_DEP_4)
	v_add_co_u32 v2, vcc_lo, v3, v8
	v_mov_b32_e32 v7, 0
	v_add_co_ci_u32_e32 v3, vcc_lo, 0, v4, vcc_lo
	global_store_b128 v7, v[0:3], s[24:25]
	s_nop 0
	s_sendmsg sendmsg(MSG_DEALLOC_VGPRS)
	s_endpgm
.LBB1601_356:
	v_add_nc_u32_e32 v7, s6, v27
	s_add_i32 s8, s26, 32
	s_mov_b32 s9, 0
	v_dual_mov_b32 v9, 0 :: v_dual_add_nc_u32 v6, v26, v5
	s_lshl_b64 s[8:9], s[8:9], 4
	v_and_b32_e32 v24, 0xff0000, v7
	s_add_u32 s8, s36, s8
	s_addc_u32 s9, s37, s9
	v_and_b32_e32 v8, 0xff000000, v7
	s_delay_alu instid0(VALU_DEP_1) | instskip(SKIP_2) | instid1(VALU_DEP_1)
	v_or_b32_e32 v24, v24, v8
	v_dual_mov_b32 v8, 2 :: v_dual_and_b32 v25, 0xff00, v7
	v_and_b32_e32 v7, 0xff, v7
	v_or3_b32 v7, v24, v25, v7
	v_dual_mov_b32 v25, s9 :: v_dual_mov_b32 v24, s8
	;;#ASMSTART
	global_store_dwordx4 v[24:25], v[6:9] off	
s_waitcnt vmcnt(0)
	;;#ASMEND
	s_or_b32 exec_lo, exec_lo, s7
	s_and_saveexec_b32 s7, s3
	s_cbranch_execz .LBB1601_115
.LBB1601_357:
	v_mov_b32_e32 v6, s6
	v_add_nc_u32_e64 v7, 0x3400, 0
	ds_store_2addr_b32 v7, v5, v6 offset1:2
	ds_store_2addr_b32 v7, v26, v27 offset0:4 offset1:6
	s_or_b32 exec_lo, exec_lo, s7
	s_delay_alu instid0(SALU_CYCLE_1)
	s_and_b32 exec_lo, exec_lo, s2
	s_cbranch_execnz .LBB1601_116
	s_branch .LBB1601_117
	.section	.rodata,"a",@progbits
	.p2align	6, 0x0
	.amdhsa_kernel _ZN7rocprim17ROCPRIM_400000_NS6detail17trampoline_kernelINS0_13select_configILj256ELj13ELNS0_17block_load_methodE3ELS4_3ELS4_3ELNS0_20block_scan_algorithmE0ELj4294967295EEENS1_25partition_config_selectorILNS1_17partition_subalgoE4EjNS0_10empty_typeEbEEZZNS1_14partition_implILS8_4ELb0ES6_15HIP_vector_typeIjLj2EENS0_17counting_iteratorIjlEEPS9_SG_NS0_5tupleIJPjSI_NS0_16reverse_iteratorISI_EEEEENSH_IJSG_SG_SG_EEES9_SI_JZNS1_25segmented_radix_sort_implINS0_14default_configELb0EPKbPbPKlPlN2at6native12_GLOBAL__N_18offset_tEEE10hipError_tPvRmT1_PNSt15iterator_traitsIS12_E10value_typeET2_T3_PNS13_IS18_E10value_typeET4_jRbjT5_S1E_jjP12ihipStream_tbEUljE_ZNSN_ISO_Lb0ESQ_SR_ST_SU_SY_EESZ_S10_S11_S12_S16_S17_S18_S1B_S1C_jS1D_jS1E_S1E_jjS1G_bEUljE0_EEESZ_S10_S11_S18_S1C_S1E_T6_T7_T9_mT8_S1G_bDpT10_ENKUlT_T0_E_clISt17integral_constantIbLb0EES1T_IbLb1EEEEDaS1P_S1Q_EUlS1P_E_NS1_11comp_targetILNS1_3genE9ELNS1_11target_archE1100ELNS1_3gpuE3ELNS1_3repE0EEENS1_30default_config_static_selectorELNS0_4arch9wavefront6targetE0EEEvS12_
		.amdhsa_group_segment_fixed_size 13340
		.amdhsa_private_segment_fixed_size 0
		.amdhsa_kernarg_size 184
		.amdhsa_user_sgpr_count 15
		.amdhsa_user_sgpr_dispatch_ptr 0
		.amdhsa_user_sgpr_queue_ptr 0
		.amdhsa_user_sgpr_kernarg_segment_ptr 1
		.amdhsa_user_sgpr_dispatch_id 0
		.amdhsa_user_sgpr_private_segment_size 0
		.amdhsa_wavefront_size32 1
		.amdhsa_uses_dynamic_stack 0
		.amdhsa_enable_private_segment 0
		.amdhsa_system_sgpr_workgroup_id_x 1
		.amdhsa_system_sgpr_workgroup_id_y 0
		.amdhsa_system_sgpr_workgroup_id_z 0
		.amdhsa_system_sgpr_workgroup_info 0
		.amdhsa_system_vgpr_workitem_id 0
		.amdhsa_next_free_vgpr 103
		.amdhsa_next_free_sgpr 55
		.amdhsa_reserve_vcc 1
		.amdhsa_float_round_mode_32 0
		.amdhsa_float_round_mode_16_64 0
		.amdhsa_float_denorm_mode_32 3
		.amdhsa_float_denorm_mode_16_64 3
		.amdhsa_dx10_clamp 1
		.amdhsa_ieee_mode 1
		.amdhsa_fp16_overflow 0
		.amdhsa_workgroup_processor_mode 1
		.amdhsa_memory_ordered 1
		.amdhsa_forward_progress 0
		.amdhsa_shared_vgpr_count 0
		.amdhsa_exception_fp_ieee_invalid_op 0
		.amdhsa_exception_fp_denorm_src 0
		.amdhsa_exception_fp_ieee_div_zero 0
		.amdhsa_exception_fp_ieee_overflow 0
		.amdhsa_exception_fp_ieee_underflow 0
		.amdhsa_exception_fp_ieee_inexact 0
		.amdhsa_exception_int_div_zero 0
	.end_amdhsa_kernel
	.section	.text._ZN7rocprim17ROCPRIM_400000_NS6detail17trampoline_kernelINS0_13select_configILj256ELj13ELNS0_17block_load_methodE3ELS4_3ELS4_3ELNS0_20block_scan_algorithmE0ELj4294967295EEENS1_25partition_config_selectorILNS1_17partition_subalgoE4EjNS0_10empty_typeEbEEZZNS1_14partition_implILS8_4ELb0ES6_15HIP_vector_typeIjLj2EENS0_17counting_iteratorIjlEEPS9_SG_NS0_5tupleIJPjSI_NS0_16reverse_iteratorISI_EEEEENSH_IJSG_SG_SG_EEES9_SI_JZNS1_25segmented_radix_sort_implINS0_14default_configELb0EPKbPbPKlPlN2at6native12_GLOBAL__N_18offset_tEEE10hipError_tPvRmT1_PNSt15iterator_traitsIS12_E10value_typeET2_T3_PNS13_IS18_E10value_typeET4_jRbjT5_S1E_jjP12ihipStream_tbEUljE_ZNSN_ISO_Lb0ESQ_SR_ST_SU_SY_EESZ_S10_S11_S12_S16_S17_S18_S1B_S1C_jS1D_jS1E_S1E_jjS1G_bEUljE0_EEESZ_S10_S11_S18_S1C_S1E_T6_T7_T9_mT8_S1G_bDpT10_ENKUlT_T0_E_clISt17integral_constantIbLb0EES1T_IbLb1EEEEDaS1P_S1Q_EUlS1P_E_NS1_11comp_targetILNS1_3genE9ELNS1_11target_archE1100ELNS1_3gpuE3ELNS1_3repE0EEENS1_30default_config_static_selectorELNS0_4arch9wavefront6targetE0EEEvS12_,"axG",@progbits,_ZN7rocprim17ROCPRIM_400000_NS6detail17trampoline_kernelINS0_13select_configILj256ELj13ELNS0_17block_load_methodE3ELS4_3ELS4_3ELNS0_20block_scan_algorithmE0ELj4294967295EEENS1_25partition_config_selectorILNS1_17partition_subalgoE4EjNS0_10empty_typeEbEEZZNS1_14partition_implILS8_4ELb0ES6_15HIP_vector_typeIjLj2EENS0_17counting_iteratorIjlEEPS9_SG_NS0_5tupleIJPjSI_NS0_16reverse_iteratorISI_EEEEENSH_IJSG_SG_SG_EEES9_SI_JZNS1_25segmented_radix_sort_implINS0_14default_configELb0EPKbPbPKlPlN2at6native12_GLOBAL__N_18offset_tEEE10hipError_tPvRmT1_PNSt15iterator_traitsIS12_E10value_typeET2_T3_PNS13_IS18_E10value_typeET4_jRbjT5_S1E_jjP12ihipStream_tbEUljE_ZNSN_ISO_Lb0ESQ_SR_ST_SU_SY_EESZ_S10_S11_S12_S16_S17_S18_S1B_S1C_jS1D_jS1E_S1E_jjS1G_bEUljE0_EEESZ_S10_S11_S18_S1C_S1E_T6_T7_T9_mT8_S1G_bDpT10_ENKUlT_T0_E_clISt17integral_constantIbLb0EES1T_IbLb1EEEEDaS1P_S1Q_EUlS1P_E_NS1_11comp_targetILNS1_3genE9ELNS1_11target_archE1100ELNS1_3gpuE3ELNS1_3repE0EEENS1_30default_config_static_selectorELNS0_4arch9wavefront6targetE0EEEvS12_,comdat
.Lfunc_end1601:
	.size	_ZN7rocprim17ROCPRIM_400000_NS6detail17trampoline_kernelINS0_13select_configILj256ELj13ELNS0_17block_load_methodE3ELS4_3ELS4_3ELNS0_20block_scan_algorithmE0ELj4294967295EEENS1_25partition_config_selectorILNS1_17partition_subalgoE4EjNS0_10empty_typeEbEEZZNS1_14partition_implILS8_4ELb0ES6_15HIP_vector_typeIjLj2EENS0_17counting_iteratorIjlEEPS9_SG_NS0_5tupleIJPjSI_NS0_16reverse_iteratorISI_EEEEENSH_IJSG_SG_SG_EEES9_SI_JZNS1_25segmented_radix_sort_implINS0_14default_configELb0EPKbPbPKlPlN2at6native12_GLOBAL__N_18offset_tEEE10hipError_tPvRmT1_PNSt15iterator_traitsIS12_E10value_typeET2_T3_PNS13_IS18_E10value_typeET4_jRbjT5_S1E_jjP12ihipStream_tbEUljE_ZNSN_ISO_Lb0ESQ_SR_ST_SU_SY_EESZ_S10_S11_S12_S16_S17_S18_S1B_S1C_jS1D_jS1E_S1E_jjS1G_bEUljE0_EEESZ_S10_S11_S18_S1C_S1E_T6_T7_T9_mT8_S1G_bDpT10_ENKUlT_T0_E_clISt17integral_constantIbLb0EES1T_IbLb1EEEEDaS1P_S1Q_EUlS1P_E_NS1_11comp_targetILNS1_3genE9ELNS1_11target_archE1100ELNS1_3gpuE3ELNS1_3repE0EEENS1_30default_config_static_selectorELNS0_4arch9wavefront6targetE0EEEvS12_, .Lfunc_end1601-_ZN7rocprim17ROCPRIM_400000_NS6detail17trampoline_kernelINS0_13select_configILj256ELj13ELNS0_17block_load_methodE3ELS4_3ELS4_3ELNS0_20block_scan_algorithmE0ELj4294967295EEENS1_25partition_config_selectorILNS1_17partition_subalgoE4EjNS0_10empty_typeEbEEZZNS1_14partition_implILS8_4ELb0ES6_15HIP_vector_typeIjLj2EENS0_17counting_iteratorIjlEEPS9_SG_NS0_5tupleIJPjSI_NS0_16reverse_iteratorISI_EEEEENSH_IJSG_SG_SG_EEES9_SI_JZNS1_25segmented_radix_sort_implINS0_14default_configELb0EPKbPbPKlPlN2at6native12_GLOBAL__N_18offset_tEEE10hipError_tPvRmT1_PNSt15iterator_traitsIS12_E10value_typeET2_T3_PNS13_IS18_E10value_typeET4_jRbjT5_S1E_jjP12ihipStream_tbEUljE_ZNSN_ISO_Lb0ESQ_SR_ST_SU_SY_EESZ_S10_S11_S12_S16_S17_S18_S1B_S1C_jS1D_jS1E_S1E_jjS1G_bEUljE0_EEESZ_S10_S11_S18_S1C_S1E_T6_T7_T9_mT8_S1G_bDpT10_ENKUlT_T0_E_clISt17integral_constantIbLb0EES1T_IbLb1EEEEDaS1P_S1Q_EUlS1P_E_NS1_11comp_targetILNS1_3genE9ELNS1_11target_archE1100ELNS1_3gpuE3ELNS1_3repE0EEENS1_30default_config_static_selectorELNS0_4arch9wavefront6targetE0EEEvS12_
                                        ; -- End function
	.section	.AMDGPU.csdata,"",@progbits
; Kernel info:
; codeLenInByte = 15060
; NumSgprs: 57
; NumVgprs: 103
; ScratchSize: 0
; MemoryBound: 0
; FloatMode: 240
; IeeeMode: 1
; LDSByteSize: 13340 bytes/workgroup (compile time only)
; SGPRBlocks: 7
; VGPRBlocks: 12
; NumSGPRsForWavesPerEU: 57
; NumVGPRsForWavesPerEU: 103
; Occupancy: 12
; WaveLimiterHint : 1
; COMPUTE_PGM_RSRC2:SCRATCH_EN: 0
; COMPUTE_PGM_RSRC2:USER_SGPR: 15
; COMPUTE_PGM_RSRC2:TRAP_HANDLER: 0
; COMPUTE_PGM_RSRC2:TGID_X_EN: 1
; COMPUTE_PGM_RSRC2:TGID_Y_EN: 0
; COMPUTE_PGM_RSRC2:TGID_Z_EN: 0
; COMPUTE_PGM_RSRC2:TIDIG_COMP_CNT: 0
	.section	.text._ZN7rocprim17ROCPRIM_400000_NS6detail17trampoline_kernelINS0_13select_configILj256ELj13ELNS0_17block_load_methodE3ELS4_3ELS4_3ELNS0_20block_scan_algorithmE0ELj4294967295EEENS1_25partition_config_selectorILNS1_17partition_subalgoE4EjNS0_10empty_typeEbEEZZNS1_14partition_implILS8_4ELb0ES6_15HIP_vector_typeIjLj2EENS0_17counting_iteratorIjlEEPS9_SG_NS0_5tupleIJPjSI_NS0_16reverse_iteratorISI_EEEEENSH_IJSG_SG_SG_EEES9_SI_JZNS1_25segmented_radix_sort_implINS0_14default_configELb0EPKbPbPKlPlN2at6native12_GLOBAL__N_18offset_tEEE10hipError_tPvRmT1_PNSt15iterator_traitsIS12_E10value_typeET2_T3_PNS13_IS18_E10value_typeET4_jRbjT5_S1E_jjP12ihipStream_tbEUljE_ZNSN_ISO_Lb0ESQ_SR_ST_SU_SY_EESZ_S10_S11_S12_S16_S17_S18_S1B_S1C_jS1D_jS1E_S1E_jjS1G_bEUljE0_EEESZ_S10_S11_S18_S1C_S1E_T6_T7_T9_mT8_S1G_bDpT10_ENKUlT_T0_E_clISt17integral_constantIbLb0EES1T_IbLb1EEEEDaS1P_S1Q_EUlS1P_E_NS1_11comp_targetILNS1_3genE8ELNS1_11target_archE1030ELNS1_3gpuE2ELNS1_3repE0EEENS1_30default_config_static_selectorELNS0_4arch9wavefront6targetE0EEEvS12_,"axG",@progbits,_ZN7rocprim17ROCPRIM_400000_NS6detail17trampoline_kernelINS0_13select_configILj256ELj13ELNS0_17block_load_methodE3ELS4_3ELS4_3ELNS0_20block_scan_algorithmE0ELj4294967295EEENS1_25partition_config_selectorILNS1_17partition_subalgoE4EjNS0_10empty_typeEbEEZZNS1_14partition_implILS8_4ELb0ES6_15HIP_vector_typeIjLj2EENS0_17counting_iteratorIjlEEPS9_SG_NS0_5tupleIJPjSI_NS0_16reverse_iteratorISI_EEEEENSH_IJSG_SG_SG_EEES9_SI_JZNS1_25segmented_radix_sort_implINS0_14default_configELb0EPKbPbPKlPlN2at6native12_GLOBAL__N_18offset_tEEE10hipError_tPvRmT1_PNSt15iterator_traitsIS12_E10value_typeET2_T3_PNS13_IS18_E10value_typeET4_jRbjT5_S1E_jjP12ihipStream_tbEUljE_ZNSN_ISO_Lb0ESQ_SR_ST_SU_SY_EESZ_S10_S11_S12_S16_S17_S18_S1B_S1C_jS1D_jS1E_S1E_jjS1G_bEUljE0_EEESZ_S10_S11_S18_S1C_S1E_T6_T7_T9_mT8_S1G_bDpT10_ENKUlT_T0_E_clISt17integral_constantIbLb0EES1T_IbLb1EEEEDaS1P_S1Q_EUlS1P_E_NS1_11comp_targetILNS1_3genE8ELNS1_11target_archE1030ELNS1_3gpuE2ELNS1_3repE0EEENS1_30default_config_static_selectorELNS0_4arch9wavefront6targetE0EEEvS12_,comdat
	.globl	_ZN7rocprim17ROCPRIM_400000_NS6detail17trampoline_kernelINS0_13select_configILj256ELj13ELNS0_17block_load_methodE3ELS4_3ELS4_3ELNS0_20block_scan_algorithmE0ELj4294967295EEENS1_25partition_config_selectorILNS1_17partition_subalgoE4EjNS0_10empty_typeEbEEZZNS1_14partition_implILS8_4ELb0ES6_15HIP_vector_typeIjLj2EENS0_17counting_iteratorIjlEEPS9_SG_NS0_5tupleIJPjSI_NS0_16reverse_iteratorISI_EEEEENSH_IJSG_SG_SG_EEES9_SI_JZNS1_25segmented_radix_sort_implINS0_14default_configELb0EPKbPbPKlPlN2at6native12_GLOBAL__N_18offset_tEEE10hipError_tPvRmT1_PNSt15iterator_traitsIS12_E10value_typeET2_T3_PNS13_IS18_E10value_typeET4_jRbjT5_S1E_jjP12ihipStream_tbEUljE_ZNSN_ISO_Lb0ESQ_SR_ST_SU_SY_EESZ_S10_S11_S12_S16_S17_S18_S1B_S1C_jS1D_jS1E_S1E_jjS1G_bEUljE0_EEESZ_S10_S11_S18_S1C_S1E_T6_T7_T9_mT8_S1G_bDpT10_ENKUlT_T0_E_clISt17integral_constantIbLb0EES1T_IbLb1EEEEDaS1P_S1Q_EUlS1P_E_NS1_11comp_targetILNS1_3genE8ELNS1_11target_archE1030ELNS1_3gpuE2ELNS1_3repE0EEENS1_30default_config_static_selectorELNS0_4arch9wavefront6targetE0EEEvS12_ ; -- Begin function _ZN7rocprim17ROCPRIM_400000_NS6detail17trampoline_kernelINS0_13select_configILj256ELj13ELNS0_17block_load_methodE3ELS4_3ELS4_3ELNS0_20block_scan_algorithmE0ELj4294967295EEENS1_25partition_config_selectorILNS1_17partition_subalgoE4EjNS0_10empty_typeEbEEZZNS1_14partition_implILS8_4ELb0ES6_15HIP_vector_typeIjLj2EENS0_17counting_iteratorIjlEEPS9_SG_NS0_5tupleIJPjSI_NS0_16reverse_iteratorISI_EEEEENSH_IJSG_SG_SG_EEES9_SI_JZNS1_25segmented_radix_sort_implINS0_14default_configELb0EPKbPbPKlPlN2at6native12_GLOBAL__N_18offset_tEEE10hipError_tPvRmT1_PNSt15iterator_traitsIS12_E10value_typeET2_T3_PNS13_IS18_E10value_typeET4_jRbjT5_S1E_jjP12ihipStream_tbEUljE_ZNSN_ISO_Lb0ESQ_SR_ST_SU_SY_EESZ_S10_S11_S12_S16_S17_S18_S1B_S1C_jS1D_jS1E_S1E_jjS1G_bEUljE0_EEESZ_S10_S11_S18_S1C_S1E_T6_T7_T9_mT8_S1G_bDpT10_ENKUlT_T0_E_clISt17integral_constantIbLb0EES1T_IbLb1EEEEDaS1P_S1Q_EUlS1P_E_NS1_11comp_targetILNS1_3genE8ELNS1_11target_archE1030ELNS1_3gpuE2ELNS1_3repE0EEENS1_30default_config_static_selectorELNS0_4arch9wavefront6targetE0EEEvS12_
	.p2align	8
	.type	_ZN7rocprim17ROCPRIM_400000_NS6detail17trampoline_kernelINS0_13select_configILj256ELj13ELNS0_17block_load_methodE3ELS4_3ELS4_3ELNS0_20block_scan_algorithmE0ELj4294967295EEENS1_25partition_config_selectorILNS1_17partition_subalgoE4EjNS0_10empty_typeEbEEZZNS1_14partition_implILS8_4ELb0ES6_15HIP_vector_typeIjLj2EENS0_17counting_iteratorIjlEEPS9_SG_NS0_5tupleIJPjSI_NS0_16reverse_iteratorISI_EEEEENSH_IJSG_SG_SG_EEES9_SI_JZNS1_25segmented_radix_sort_implINS0_14default_configELb0EPKbPbPKlPlN2at6native12_GLOBAL__N_18offset_tEEE10hipError_tPvRmT1_PNSt15iterator_traitsIS12_E10value_typeET2_T3_PNS13_IS18_E10value_typeET4_jRbjT5_S1E_jjP12ihipStream_tbEUljE_ZNSN_ISO_Lb0ESQ_SR_ST_SU_SY_EESZ_S10_S11_S12_S16_S17_S18_S1B_S1C_jS1D_jS1E_S1E_jjS1G_bEUljE0_EEESZ_S10_S11_S18_S1C_S1E_T6_T7_T9_mT8_S1G_bDpT10_ENKUlT_T0_E_clISt17integral_constantIbLb0EES1T_IbLb1EEEEDaS1P_S1Q_EUlS1P_E_NS1_11comp_targetILNS1_3genE8ELNS1_11target_archE1030ELNS1_3gpuE2ELNS1_3repE0EEENS1_30default_config_static_selectorELNS0_4arch9wavefront6targetE0EEEvS12_,@function
_ZN7rocprim17ROCPRIM_400000_NS6detail17trampoline_kernelINS0_13select_configILj256ELj13ELNS0_17block_load_methodE3ELS4_3ELS4_3ELNS0_20block_scan_algorithmE0ELj4294967295EEENS1_25partition_config_selectorILNS1_17partition_subalgoE4EjNS0_10empty_typeEbEEZZNS1_14partition_implILS8_4ELb0ES6_15HIP_vector_typeIjLj2EENS0_17counting_iteratorIjlEEPS9_SG_NS0_5tupleIJPjSI_NS0_16reverse_iteratorISI_EEEEENSH_IJSG_SG_SG_EEES9_SI_JZNS1_25segmented_radix_sort_implINS0_14default_configELb0EPKbPbPKlPlN2at6native12_GLOBAL__N_18offset_tEEE10hipError_tPvRmT1_PNSt15iterator_traitsIS12_E10value_typeET2_T3_PNS13_IS18_E10value_typeET4_jRbjT5_S1E_jjP12ihipStream_tbEUljE_ZNSN_ISO_Lb0ESQ_SR_ST_SU_SY_EESZ_S10_S11_S12_S16_S17_S18_S1B_S1C_jS1D_jS1E_S1E_jjS1G_bEUljE0_EEESZ_S10_S11_S18_S1C_S1E_T6_T7_T9_mT8_S1G_bDpT10_ENKUlT_T0_E_clISt17integral_constantIbLb0EES1T_IbLb1EEEEDaS1P_S1Q_EUlS1P_E_NS1_11comp_targetILNS1_3genE8ELNS1_11target_archE1030ELNS1_3gpuE2ELNS1_3repE0EEENS1_30default_config_static_selectorELNS0_4arch9wavefront6targetE0EEEvS12_: ; @_ZN7rocprim17ROCPRIM_400000_NS6detail17trampoline_kernelINS0_13select_configILj256ELj13ELNS0_17block_load_methodE3ELS4_3ELS4_3ELNS0_20block_scan_algorithmE0ELj4294967295EEENS1_25partition_config_selectorILNS1_17partition_subalgoE4EjNS0_10empty_typeEbEEZZNS1_14partition_implILS8_4ELb0ES6_15HIP_vector_typeIjLj2EENS0_17counting_iteratorIjlEEPS9_SG_NS0_5tupleIJPjSI_NS0_16reverse_iteratorISI_EEEEENSH_IJSG_SG_SG_EEES9_SI_JZNS1_25segmented_radix_sort_implINS0_14default_configELb0EPKbPbPKlPlN2at6native12_GLOBAL__N_18offset_tEEE10hipError_tPvRmT1_PNSt15iterator_traitsIS12_E10value_typeET2_T3_PNS13_IS18_E10value_typeET4_jRbjT5_S1E_jjP12ihipStream_tbEUljE_ZNSN_ISO_Lb0ESQ_SR_ST_SU_SY_EESZ_S10_S11_S12_S16_S17_S18_S1B_S1C_jS1D_jS1E_S1E_jjS1G_bEUljE0_EEESZ_S10_S11_S18_S1C_S1E_T6_T7_T9_mT8_S1G_bDpT10_ENKUlT_T0_E_clISt17integral_constantIbLb0EES1T_IbLb1EEEEDaS1P_S1Q_EUlS1P_E_NS1_11comp_targetILNS1_3genE8ELNS1_11target_archE1030ELNS1_3gpuE2ELNS1_3repE0EEENS1_30default_config_static_selectorELNS0_4arch9wavefront6targetE0EEEvS12_
; %bb.0:
	.section	.rodata,"a",@progbits
	.p2align	6, 0x0
	.amdhsa_kernel _ZN7rocprim17ROCPRIM_400000_NS6detail17trampoline_kernelINS0_13select_configILj256ELj13ELNS0_17block_load_methodE3ELS4_3ELS4_3ELNS0_20block_scan_algorithmE0ELj4294967295EEENS1_25partition_config_selectorILNS1_17partition_subalgoE4EjNS0_10empty_typeEbEEZZNS1_14partition_implILS8_4ELb0ES6_15HIP_vector_typeIjLj2EENS0_17counting_iteratorIjlEEPS9_SG_NS0_5tupleIJPjSI_NS0_16reverse_iteratorISI_EEEEENSH_IJSG_SG_SG_EEES9_SI_JZNS1_25segmented_radix_sort_implINS0_14default_configELb0EPKbPbPKlPlN2at6native12_GLOBAL__N_18offset_tEEE10hipError_tPvRmT1_PNSt15iterator_traitsIS12_E10value_typeET2_T3_PNS13_IS18_E10value_typeET4_jRbjT5_S1E_jjP12ihipStream_tbEUljE_ZNSN_ISO_Lb0ESQ_SR_ST_SU_SY_EESZ_S10_S11_S12_S16_S17_S18_S1B_S1C_jS1D_jS1E_S1E_jjS1G_bEUljE0_EEESZ_S10_S11_S18_S1C_S1E_T6_T7_T9_mT8_S1G_bDpT10_ENKUlT_T0_E_clISt17integral_constantIbLb0EES1T_IbLb1EEEEDaS1P_S1Q_EUlS1P_E_NS1_11comp_targetILNS1_3genE8ELNS1_11target_archE1030ELNS1_3gpuE2ELNS1_3repE0EEENS1_30default_config_static_selectorELNS0_4arch9wavefront6targetE0EEEvS12_
		.amdhsa_group_segment_fixed_size 0
		.amdhsa_private_segment_fixed_size 0
		.amdhsa_kernarg_size 184
		.amdhsa_user_sgpr_count 15
		.amdhsa_user_sgpr_dispatch_ptr 0
		.amdhsa_user_sgpr_queue_ptr 0
		.amdhsa_user_sgpr_kernarg_segment_ptr 1
		.amdhsa_user_sgpr_dispatch_id 0
		.amdhsa_user_sgpr_private_segment_size 0
		.amdhsa_wavefront_size32 1
		.amdhsa_uses_dynamic_stack 0
		.amdhsa_enable_private_segment 0
		.amdhsa_system_sgpr_workgroup_id_x 1
		.amdhsa_system_sgpr_workgroup_id_y 0
		.amdhsa_system_sgpr_workgroup_id_z 0
		.amdhsa_system_sgpr_workgroup_info 0
		.amdhsa_system_vgpr_workitem_id 0
		.amdhsa_next_free_vgpr 1
		.amdhsa_next_free_sgpr 1
		.amdhsa_reserve_vcc 0
		.amdhsa_float_round_mode_32 0
		.amdhsa_float_round_mode_16_64 0
		.amdhsa_float_denorm_mode_32 3
		.amdhsa_float_denorm_mode_16_64 3
		.amdhsa_dx10_clamp 1
		.amdhsa_ieee_mode 1
		.amdhsa_fp16_overflow 0
		.amdhsa_workgroup_processor_mode 1
		.amdhsa_memory_ordered 1
		.amdhsa_forward_progress 0
		.amdhsa_shared_vgpr_count 0
		.amdhsa_exception_fp_ieee_invalid_op 0
		.amdhsa_exception_fp_denorm_src 0
		.amdhsa_exception_fp_ieee_div_zero 0
		.amdhsa_exception_fp_ieee_overflow 0
		.amdhsa_exception_fp_ieee_underflow 0
		.amdhsa_exception_fp_ieee_inexact 0
		.amdhsa_exception_int_div_zero 0
	.end_amdhsa_kernel
	.section	.text._ZN7rocprim17ROCPRIM_400000_NS6detail17trampoline_kernelINS0_13select_configILj256ELj13ELNS0_17block_load_methodE3ELS4_3ELS4_3ELNS0_20block_scan_algorithmE0ELj4294967295EEENS1_25partition_config_selectorILNS1_17partition_subalgoE4EjNS0_10empty_typeEbEEZZNS1_14partition_implILS8_4ELb0ES6_15HIP_vector_typeIjLj2EENS0_17counting_iteratorIjlEEPS9_SG_NS0_5tupleIJPjSI_NS0_16reverse_iteratorISI_EEEEENSH_IJSG_SG_SG_EEES9_SI_JZNS1_25segmented_radix_sort_implINS0_14default_configELb0EPKbPbPKlPlN2at6native12_GLOBAL__N_18offset_tEEE10hipError_tPvRmT1_PNSt15iterator_traitsIS12_E10value_typeET2_T3_PNS13_IS18_E10value_typeET4_jRbjT5_S1E_jjP12ihipStream_tbEUljE_ZNSN_ISO_Lb0ESQ_SR_ST_SU_SY_EESZ_S10_S11_S12_S16_S17_S18_S1B_S1C_jS1D_jS1E_S1E_jjS1G_bEUljE0_EEESZ_S10_S11_S18_S1C_S1E_T6_T7_T9_mT8_S1G_bDpT10_ENKUlT_T0_E_clISt17integral_constantIbLb0EES1T_IbLb1EEEEDaS1P_S1Q_EUlS1P_E_NS1_11comp_targetILNS1_3genE8ELNS1_11target_archE1030ELNS1_3gpuE2ELNS1_3repE0EEENS1_30default_config_static_selectorELNS0_4arch9wavefront6targetE0EEEvS12_,"axG",@progbits,_ZN7rocprim17ROCPRIM_400000_NS6detail17trampoline_kernelINS0_13select_configILj256ELj13ELNS0_17block_load_methodE3ELS4_3ELS4_3ELNS0_20block_scan_algorithmE0ELj4294967295EEENS1_25partition_config_selectorILNS1_17partition_subalgoE4EjNS0_10empty_typeEbEEZZNS1_14partition_implILS8_4ELb0ES6_15HIP_vector_typeIjLj2EENS0_17counting_iteratorIjlEEPS9_SG_NS0_5tupleIJPjSI_NS0_16reverse_iteratorISI_EEEEENSH_IJSG_SG_SG_EEES9_SI_JZNS1_25segmented_radix_sort_implINS0_14default_configELb0EPKbPbPKlPlN2at6native12_GLOBAL__N_18offset_tEEE10hipError_tPvRmT1_PNSt15iterator_traitsIS12_E10value_typeET2_T3_PNS13_IS18_E10value_typeET4_jRbjT5_S1E_jjP12ihipStream_tbEUljE_ZNSN_ISO_Lb0ESQ_SR_ST_SU_SY_EESZ_S10_S11_S12_S16_S17_S18_S1B_S1C_jS1D_jS1E_S1E_jjS1G_bEUljE0_EEESZ_S10_S11_S18_S1C_S1E_T6_T7_T9_mT8_S1G_bDpT10_ENKUlT_T0_E_clISt17integral_constantIbLb0EES1T_IbLb1EEEEDaS1P_S1Q_EUlS1P_E_NS1_11comp_targetILNS1_3genE8ELNS1_11target_archE1030ELNS1_3gpuE2ELNS1_3repE0EEENS1_30default_config_static_selectorELNS0_4arch9wavefront6targetE0EEEvS12_,comdat
.Lfunc_end1602:
	.size	_ZN7rocprim17ROCPRIM_400000_NS6detail17trampoline_kernelINS0_13select_configILj256ELj13ELNS0_17block_load_methodE3ELS4_3ELS4_3ELNS0_20block_scan_algorithmE0ELj4294967295EEENS1_25partition_config_selectorILNS1_17partition_subalgoE4EjNS0_10empty_typeEbEEZZNS1_14partition_implILS8_4ELb0ES6_15HIP_vector_typeIjLj2EENS0_17counting_iteratorIjlEEPS9_SG_NS0_5tupleIJPjSI_NS0_16reverse_iteratorISI_EEEEENSH_IJSG_SG_SG_EEES9_SI_JZNS1_25segmented_radix_sort_implINS0_14default_configELb0EPKbPbPKlPlN2at6native12_GLOBAL__N_18offset_tEEE10hipError_tPvRmT1_PNSt15iterator_traitsIS12_E10value_typeET2_T3_PNS13_IS18_E10value_typeET4_jRbjT5_S1E_jjP12ihipStream_tbEUljE_ZNSN_ISO_Lb0ESQ_SR_ST_SU_SY_EESZ_S10_S11_S12_S16_S17_S18_S1B_S1C_jS1D_jS1E_S1E_jjS1G_bEUljE0_EEESZ_S10_S11_S18_S1C_S1E_T6_T7_T9_mT8_S1G_bDpT10_ENKUlT_T0_E_clISt17integral_constantIbLb0EES1T_IbLb1EEEEDaS1P_S1Q_EUlS1P_E_NS1_11comp_targetILNS1_3genE8ELNS1_11target_archE1030ELNS1_3gpuE2ELNS1_3repE0EEENS1_30default_config_static_selectorELNS0_4arch9wavefront6targetE0EEEvS12_, .Lfunc_end1602-_ZN7rocprim17ROCPRIM_400000_NS6detail17trampoline_kernelINS0_13select_configILj256ELj13ELNS0_17block_load_methodE3ELS4_3ELS4_3ELNS0_20block_scan_algorithmE0ELj4294967295EEENS1_25partition_config_selectorILNS1_17partition_subalgoE4EjNS0_10empty_typeEbEEZZNS1_14partition_implILS8_4ELb0ES6_15HIP_vector_typeIjLj2EENS0_17counting_iteratorIjlEEPS9_SG_NS0_5tupleIJPjSI_NS0_16reverse_iteratorISI_EEEEENSH_IJSG_SG_SG_EEES9_SI_JZNS1_25segmented_radix_sort_implINS0_14default_configELb0EPKbPbPKlPlN2at6native12_GLOBAL__N_18offset_tEEE10hipError_tPvRmT1_PNSt15iterator_traitsIS12_E10value_typeET2_T3_PNS13_IS18_E10value_typeET4_jRbjT5_S1E_jjP12ihipStream_tbEUljE_ZNSN_ISO_Lb0ESQ_SR_ST_SU_SY_EESZ_S10_S11_S12_S16_S17_S18_S1B_S1C_jS1D_jS1E_S1E_jjS1G_bEUljE0_EEESZ_S10_S11_S18_S1C_S1E_T6_T7_T9_mT8_S1G_bDpT10_ENKUlT_T0_E_clISt17integral_constantIbLb0EES1T_IbLb1EEEEDaS1P_S1Q_EUlS1P_E_NS1_11comp_targetILNS1_3genE8ELNS1_11target_archE1030ELNS1_3gpuE2ELNS1_3repE0EEENS1_30default_config_static_selectorELNS0_4arch9wavefront6targetE0EEEvS12_
                                        ; -- End function
	.section	.AMDGPU.csdata,"",@progbits
; Kernel info:
; codeLenInByte = 0
; NumSgprs: 0
; NumVgprs: 0
; ScratchSize: 0
; MemoryBound: 0
; FloatMode: 240
; IeeeMode: 1
; LDSByteSize: 0 bytes/workgroup (compile time only)
; SGPRBlocks: 0
; VGPRBlocks: 0
; NumSGPRsForWavesPerEU: 1
; NumVGPRsForWavesPerEU: 1
; Occupancy: 16
; WaveLimiterHint : 0
; COMPUTE_PGM_RSRC2:SCRATCH_EN: 0
; COMPUTE_PGM_RSRC2:USER_SGPR: 15
; COMPUTE_PGM_RSRC2:TRAP_HANDLER: 0
; COMPUTE_PGM_RSRC2:TGID_X_EN: 1
; COMPUTE_PGM_RSRC2:TGID_Y_EN: 0
; COMPUTE_PGM_RSRC2:TGID_Z_EN: 0
; COMPUTE_PGM_RSRC2:TIDIG_COMP_CNT: 0
	.section	.text._ZN7rocprim17ROCPRIM_400000_NS6detail17trampoline_kernelINS0_13select_configILj256ELj13ELNS0_17block_load_methodE3ELS4_3ELS4_3ELNS0_20block_scan_algorithmE0ELj4294967295EEENS1_25partition_config_selectorILNS1_17partition_subalgoE3EjNS0_10empty_typeEbEEZZNS1_14partition_implILS8_3ELb0ES6_jNS0_17counting_iteratorIjlEEPS9_SE_NS0_5tupleIJPjSE_EEENSF_IJSE_SE_EEES9_SG_JZNS1_25segmented_radix_sort_implINS0_14default_configELb0EPKbPbPKlPlN2at6native12_GLOBAL__N_18offset_tEEE10hipError_tPvRmT1_PNSt15iterator_traitsISY_E10value_typeET2_T3_PNSZ_IS14_E10value_typeET4_jRbjT5_S1A_jjP12ihipStream_tbEUljE_EEESV_SW_SX_S14_S18_S1A_T6_T7_T9_mT8_S1C_bDpT10_ENKUlT_T0_E_clISt17integral_constantIbLb0EES1P_EEDaS1K_S1L_EUlS1K_E_NS1_11comp_targetILNS1_3genE0ELNS1_11target_archE4294967295ELNS1_3gpuE0ELNS1_3repE0EEENS1_30default_config_static_selectorELNS0_4arch9wavefront6targetE0EEEvSY_,"axG",@progbits,_ZN7rocprim17ROCPRIM_400000_NS6detail17trampoline_kernelINS0_13select_configILj256ELj13ELNS0_17block_load_methodE3ELS4_3ELS4_3ELNS0_20block_scan_algorithmE0ELj4294967295EEENS1_25partition_config_selectorILNS1_17partition_subalgoE3EjNS0_10empty_typeEbEEZZNS1_14partition_implILS8_3ELb0ES6_jNS0_17counting_iteratorIjlEEPS9_SE_NS0_5tupleIJPjSE_EEENSF_IJSE_SE_EEES9_SG_JZNS1_25segmented_radix_sort_implINS0_14default_configELb0EPKbPbPKlPlN2at6native12_GLOBAL__N_18offset_tEEE10hipError_tPvRmT1_PNSt15iterator_traitsISY_E10value_typeET2_T3_PNSZ_IS14_E10value_typeET4_jRbjT5_S1A_jjP12ihipStream_tbEUljE_EEESV_SW_SX_S14_S18_S1A_T6_T7_T9_mT8_S1C_bDpT10_ENKUlT_T0_E_clISt17integral_constantIbLb0EES1P_EEDaS1K_S1L_EUlS1K_E_NS1_11comp_targetILNS1_3genE0ELNS1_11target_archE4294967295ELNS1_3gpuE0ELNS1_3repE0EEENS1_30default_config_static_selectorELNS0_4arch9wavefront6targetE0EEEvSY_,comdat
	.globl	_ZN7rocprim17ROCPRIM_400000_NS6detail17trampoline_kernelINS0_13select_configILj256ELj13ELNS0_17block_load_methodE3ELS4_3ELS4_3ELNS0_20block_scan_algorithmE0ELj4294967295EEENS1_25partition_config_selectorILNS1_17partition_subalgoE3EjNS0_10empty_typeEbEEZZNS1_14partition_implILS8_3ELb0ES6_jNS0_17counting_iteratorIjlEEPS9_SE_NS0_5tupleIJPjSE_EEENSF_IJSE_SE_EEES9_SG_JZNS1_25segmented_radix_sort_implINS0_14default_configELb0EPKbPbPKlPlN2at6native12_GLOBAL__N_18offset_tEEE10hipError_tPvRmT1_PNSt15iterator_traitsISY_E10value_typeET2_T3_PNSZ_IS14_E10value_typeET4_jRbjT5_S1A_jjP12ihipStream_tbEUljE_EEESV_SW_SX_S14_S18_S1A_T6_T7_T9_mT8_S1C_bDpT10_ENKUlT_T0_E_clISt17integral_constantIbLb0EES1P_EEDaS1K_S1L_EUlS1K_E_NS1_11comp_targetILNS1_3genE0ELNS1_11target_archE4294967295ELNS1_3gpuE0ELNS1_3repE0EEENS1_30default_config_static_selectorELNS0_4arch9wavefront6targetE0EEEvSY_ ; -- Begin function _ZN7rocprim17ROCPRIM_400000_NS6detail17trampoline_kernelINS0_13select_configILj256ELj13ELNS0_17block_load_methodE3ELS4_3ELS4_3ELNS0_20block_scan_algorithmE0ELj4294967295EEENS1_25partition_config_selectorILNS1_17partition_subalgoE3EjNS0_10empty_typeEbEEZZNS1_14partition_implILS8_3ELb0ES6_jNS0_17counting_iteratorIjlEEPS9_SE_NS0_5tupleIJPjSE_EEENSF_IJSE_SE_EEES9_SG_JZNS1_25segmented_radix_sort_implINS0_14default_configELb0EPKbPbPKlPlN2at6native12_GLOBAL__N_18offset_tEEE10hipError_tPvRmT1_PNSt15iterator_traitsISY_E10value_typeET2_T3_PNSZ_IS14_E10value_typeET4_jRbjT5_S1A_jjP12ihipStream_tbEUljE_EEESV_SW_SX_S14_S18_S1A_T6_T7_T9_mT8_S1C_bDpT10_ENKUlT_T0_E_clISt17integral_constantIbLb0EES1P_EEDaS1K_S1L_EUlS1K_E_NS1_11comp_targetILNS1_3genE0ELNS1_11target_archE4294967295ELNS1_3gpuE0ELNS1_3repE0EEENS1_30default_config_static_selectorELNS0_4arch9wavefront6targetE0EEEvSY_
	.p2align	8
	.type	_ZN7rocprim17ROCPRIM_400000_NS6detail17trampoline_kernelINS0_13select_configILj256ELj13ELNS0_17block_load_methodE3ELS4_3ELS4_3ELNS0_20block_scan_algorithmE0ELj4294967295EEENS1_25partition_config_selectorILNS1_17partition_subalgoE3EjNS0_10empty_typeEbEEZZNS1_14partition_implILS8_3ELb0ES6_jNS0_17counting_iteratorIjlEEPS9_SE_NS0_5tupleIJPjSE_EEENSF_IJSE_SE_EEES9_SG_JZNS1_25segmented_radix_sort_implINS0_14default_configELb0EPKbPbPKlPlN2at6native12_GLOBAL__N_18offset_tEEE10hipError_tPvRmT1_PNSt15iterator_traitsISY_E10value_typeET2_T3_PNSZ_IS14_E10value_typeET4_jRbjT5_S1A_jjP12ihipStream_tbEUljE_EEESV_SW_SX_S14_S18_S1A_T6_T7_T9_mT8_S1C_bDpT10_ENKUlT_T0_E_clISt17integral_constantIbLb0EES1P_EEDaS1K_S1L_EUlS1K_E_NS1_11comp_targetILNS1_3genE0ELNS1_11target_archE4294967295ELNS1_3gpuE0ELNS1_3repE0EEENS1_30default_config_static_selectorELNS0_4arch9wavefront6targetE0EEEvSY_,@function
_ZN7rocprim17ROCPRIM_400000_NS6detail17trampoline_kernelINS0_13select_configILj256ELj13ELNS0_17block_load_methodE3ELS4_3ELS4_3ELNS0_20block_scan_algorithmE0ELj4294967295EEENS1_25partition_config_selectorILNS1_17partition_subalgoE3EjNS0_10empty_typeEbEEZZNS1_14partition_implILS8_3ELb0ES6_jNS0_17counting_iteratorIjlEEPS9_SE_NS0_5tupleIJPjSE_EEENSF_IJSE_SE_EEES9_SG_JZNS1_25segmented_radix_sort_implINS0_14default_configELb0EPKbPbPKlPlN2at6native12_GLOBAL__N_18offset_tEEE10hipError_tPvRmT1_PNSt15iterator_traitsISY_E10value_typeET2_T3_PNSZ_IS14_E10value_typeET4_jRbjT5_S1A_jjP12ihipStream_tbEUljE_EEESV_SW_SX_S14_S18_S1A_T6_T7_T9_mT8_S1C_bDpT10_ENKUlT_T0_E_clISt17integral_constantIbLb0EES1P_EEDaS1K_S1L_EUlS1K_E_NS1_11comp_targetILNS1_3genE0ELNS1_11target_archE4294967295ELNS1_3gpuE0ELNS1_3repE0EEENS1_30default_config_static_selectorELNS0_4arch9wavefront6targetE0EEEvSY_: ; @_ZN7rocprim17ROCPRIM_400000_NS6detail17trampoline_kernelINS0_13select_configILj256ELj13ELNS0_17block_load_methodE3ELS4_3ELS4_3ELNS0_20block_scan_algorithmE0ELj4294967295EEENS1_25partition_config_selectorILNS1_17partition_subalgoE3EjNS0_10empty_typeEbEEZZNS1_14partition_implILS8_3ELb0ES6_jNS0_17counting_iteratorIjlEEPS9_SE_NS0_5tupleIJPjSE_EEENSF_IJSE_SE_EEES9_SG_JZNS1_25segmented_radix_sort_implINS0_14default_configELb0EPKbPbPKlPlN2at6native12_GLOBAL__N_18offset_tEEE10hipError_tPvRmT1_PNSt15iterator_traitsISY_E10value_typeET2_T3_PNSZ_IS14_E10value_typeET4_jRbjT5_S1A_jjP12ihipStream_tbEUljE_EEESV_SW_SX_S14_S18_S1A_T6_T7_T9_mT8_S1C_bDpT10_ENKUlT_T0_E_clISt17integral_constantIbLb0EES1P_EEDaS1K_S1L_EUlS1K_E_NS1_11comp_targetILNS1_3genE0ELNS1_11target_archE4294967295ELNS1_3gpuE0ELNS1_3repE0EEENS1_30default_config_static_selectorELNS0_4arch9wavefront6targetE0EEEvSY_
; %bb.0:
	.section	.rodata,"a",@progbits
	.p2align	6, 0x0
	.amdhsa_kernel _ZN7rocprim17ROCPRIM_400000_NS6detail17trampoline_kernelINS0_13select_configILj256ELj13ELNS0_17block_load_methodE3ELS4_3ELS4_3ELNS0_20block_scan_algorithmE0ELj4294967295EEENS1_25partition_config_selectorILNS1_17partition_subalgoE3EjNS0_10empty_typeEbEEZZNS1_14partition_implILS8_3ELb0ES6_jNS0_17counting_iteratorIjlEEPS9_SE_NS0_5tupleIJPjSE_EEENSF_IJSE_SE_EEES9_SG_JZNS1_25segmented_radix_sort_implINS0_14default_configELb0EPKbPbPKlPlN2at6native12_GLOBAL__N_18offset_tEEE10hipError_tPvRmT1_PNSt15iterator_traitsISY_E10value_typeET2_T3_PNSZ_IS14_E10value_typeET4_jRbjT5_S1A_jjP12ihipStream_tbEUljE_EEESV_SW_SX_S14_S18_S1A_T6_T7_T9_mT8_S1C_bDpT10_ENKUlT_T0_E_clISt17integral_constantIbLb0EES1P_EEDaS1K_S1L_EUlS1K_E_NS1_11comp_targetILNS1_3genE0ELNS1_11target_archE4294967295ELNS1_3gpuE0ELNS1_3repE0EEENS1_30default_config_static_selectorELNS0_4arch9wavefront6targetE0EEEvSY_
		.amdhsa_group_segment_fixed_size 0
		.amdhsa_private_segment_fixed_size 0
		.amdhsa_kernarg_size 144
		.amdhsa_user_sgpr_count 15
		.amdhsa_user_sgpr_dispatch_ptr 0
		.amdhsa_user_sgpr_queue_ptr 0
		.amdhsa_user_sgpr_kernarg_segment_ptr 1
		.amdhsa_user_sgpr_dispatch_id 0
		.amdhsa_user_sgpr_private_segment_size 0
		.amdhsa_wavefront_size32 1
		.amdhsa_uses_dynamic_stack 0
		.amdhsa_enable_private_segment 0
		.amdhsa_system_sgpr_workgroup_id_x 1
		.amdhsa_system_sgpr_workgroup_id_y 0
		.amdhsa_system_sgpr_workgroup_id_z 0
		.amdhsa_system_sgpr_workgroup_info 0
		.amdhsa_system_vgpr_workitem_id 0
		.amdhsa_next_free_vgpr 1
		.amdhsa_next_free_sgpr 1
		.amdhsa_reserve_vcc 0
		.amdhsa_float_round_mode_32 0
		.amdhsa_float_round_mode_16_64 0
		.amdhsa_float_denorm_mode_32 3
		.amdhsa_float_denorm_mode_16_64 3
		.amdhsa_dx10_clamp 1
		.amdhsa_ieee_mode 1
		.amdhsa_fp16_overflow 0
		.amdhsa_workgroup_processor_mode 1
		.amdhsa_memory_ordered 1
		.amdhsa_forward_progress 0
		.amdhsa_shared_vgpr_count 0
		.amdhsa_exception_fp_ieee_invalid_op 0
		.amdhsa_exception_fp_denorm_src 0
		.amdhsa_exception_fp_ieee_div_zero 0
		.amdhsa_exception_fp_ieee_overflow 0
		.amdhsa_exception_fp_ieee_underflow 0
		.amdhsa_exception_fp_ieee_inexact 0
		.amdhsa_exception_int_div_zero 0
	.end_amdhsa_kernel
	.section	.text._ZN7rocprim17ROCPRIM_400000_NS6detail17trampoline_kernelINS0_13select_configILj256ELj13ELNS0_17block_load_methodE3ELS4_3ELS4_3ELNS0_20block_scan_algorithmE0ELj4294967295EEENS1_25partition_config_selectorILNS1_17partition_subalgoE3EjNS0_10empty_typeEbEEZZNS1_14partition_implILS8_3ELb0ES6_jNS0_17counting_iteratorIjlEEPS9_SE_NS0_5tupleIJPjSE_EEENSF_IJSE_SE_EEES9_SG_JZNS1_25segmented_radix_sort_implINS0_14default_configELb0EPKbPbPKlPlN2at6native12_GLOBAL__N_18offset_tEEE10hipError_tPvRmT1_PNSt15iterator_traitsISY_E10value_typeET2_T3_PNSZ_IS14_E10value_typeET4_jRbjT5_S1A_jjP12ihipStream_tbEUljE_EEESV_SW_SX_S14_S18_S1A_T6_T7_T9_mT8_S1C_bDpT10_ENKUlT_T0_E_clISt17integral_constantIbLb0EES1P_EEDaS1K_S1L_EUlS1K_E_NS1_11comp_targetILNS1_3genE0ELNS1_11target_archE4294967295ELNS1_3gpuE0ELNS1_3repE0EEENS1_30default_config_static_selectorELNS0_4arch9wavefront6targetE0EEEvSY_,"axG",@progbits,_ZN7rocprim17ROCPRIM_400000_NS6detail17trampoline_kernelINS0_13select_configILj256ELj13ELNS0_17block_load_methodE3ELS4_3ELS4_3ELNS0_20block_scan_algorithmE0ELj4294967295EEENS1_25partition_config_selectorILNS1_17partition_subalgoE3EjNS0_10empty_typeEbEEZZNS1_14partition_implILS8_3ELb0ES6_jNS0_17counting_iteratorIjlEEPS9_SE_NS0_5tupleIJPjSE_EEENSF_IJSE_SE_EEES9_SG_JZNS1_25segmented_radix_sort_implINS0_14default_configELb0EPKbPbPKlPlN2at6native12_GLOBAL__N_18offset_tEEE10hipError_tPvRmT1_PNSt15iterator_traitsISY_E10value_typeET2_T3_PNSZ_IS14_E10value_typeET4_jRbjT5_S1A_jjP12ihipStream_tbEUljE_EEESV_SW_SX_S14_S18_S1A_T6_T7_T9_mT8_S1C_bDpT10_ENKUlT_T0_E_clISt17integral_constantIbLb0EES1P_EEDaS1K_S1L_EUlS1K_E_NS1_11comp_targetILNS1_3genE0ELNS1_11target_archE4294967295ELNS1_3gpuE0ELNS1_3repE0EEENS1_30default_config_static_selectorELNS0_4arch9wavefront6targetE0EEEvSY_,comdat
.Lfunc_end1603:
	.size	_ZN7rocprim17ROCPRIM_400000_NS6detail17trampoline_kernelINS0_13select_configILj256ELj13ELNS0_17block_load_methodE3ELS4_3ELS4_3ELNS0_20block_scan_algorithmE0ELj4294967295EEENS1_25partition_config_selectorILNS1_17partition_subalgoE3EjNS0_10empty_typeEbEEZZNS1_14partition_implILS8_3ELb0ES6_jNS0_17counting_iteratorIjlEEPS9_SE_NS0_5tupleIJPjSE_EEENSF_IJSE_SE_EEES9_SG_JZNS1_25segmented_radix_sort_implINS0_14default_configELb0EPKbPbPKlPlN2at6native12_GLOBAL__N_18offset_tEEE10hipError_tPvRmT1_PNSt15iterator_traitsISY_E10value_typeET2_T3_PNSZ_IS14_E10value_typeET4_jRbjT5_S1A_jjP12ihipStream_tbEUljE_EEESV_SW_SX_S14_S18_S1A_T6_T7_T9_mT8_S1C_bDpT10_ENKUlT_T0_E_clISt17integral_constantIbLb0EES1P_EEDaS1K_S1L_EUlS1K_E_NS1_11comp_targetILNS1_3genE0ELNS1_11target_archE4294967295ELNS1_3gpuE0ELNS1_3repE0EEENS1_30default_config_static_selectorELNS0_4arch9wavefront6targetE0EEEvSY_, .Lfunc_end1603-_ZN7rocprim17ROCPRIM_400000_NS6detail17trampoline_kernelINS0_13select_configILj256ELj13ELNS0_17block_load_methodE3ELS4_3ELS4_3ELNS0_20block_scan_algorithmE0ELj4294967295EEENS1_25partition_config_selectorILNS1_17partition_subalgoE3EjNS0_10empty_typeEbEEZZNS1_14partition_implILS8_3ELb0ES6_jNS0_17counting_iteratorIjlEEPS9_SE_NS0_5tupleIJPjSE_EEENSF_IJSE_SE_EEES9_SG_JZNS1_25segmented_radix_sort_implINS0_14default_configELb0EPKbPbPKlPlN2at6native12_GLOBAL__N_18offset_tEEE10hipError_tPvRmT1_PNSt15iterator_traitsISY_E10value_typeET2_T3_PNSZ_IS14_E10value_typeET4_jRbjT5_S1A_jjP12ihipStream_tbEUljE_EEESV_SW_SX_S14_S18_S1A_T6_T7_T9_mT8_S1C_bDpT10_ENKUlT_T0_E_clISt17integral_constantIbLb0EES1P_EEDaS1K_S1L_EUlS1K_E_NS1_11comp_targetILNS1_3genE0ELNS1_11target_archE4294967295ELNS1_3gpuE0ELNS1_3repE0EEENS1_30default_config_static_selectorELNS0_4arch9wavefront6targetE0EEEvSY_
                                        ; -- End function
	.section	.AMDGPU.csdata,"",@progbits
; Kernel info:
; codeLenInByte = 0
; NumSgprs: 0
; NumVgprs: 0
; ScratchSize: 0
; MemoryBound: 0
; FloatMode: 240
; IeeeMode: 1
; LDSByteSize: 0 bytes/workgroup (compile time only)
; SGPRBlocks: 0
; VGPRBlocks: 0
; NumSGPRsForWavesPerEU: 1
; NumVGPRsForWavesPerEU: 1
; Occupancy: 16
; WaveLimiterHint : 0
; COMPUTE_PGM_RSRC2:SCRATCH_EN: 0
; COMPUTE_PGM_RSRC2:USER_SGPR: 15
; COMPUTE_PGM_RSRC2:TRAP_HANDLER: 0
; COMPUTE_PGM_RSRC2:TGID_X_EN: 1
; COMPUTE_PGM_RSRC2:TGID_Y_EN: 0
; COMPUTE_PGM_RSRC2:TGID_Z_EN: 0
; COMPUTE_PGM_RSRC2:TIDIG_COMP_CNT: 0
	.section	.text._ZN7rocprim17ROCPRIM_400000_NS6detail17trampoline_kernelINS0_13select_configILj256ELj13ELNS0_17block_load_methodE3ELS4_3ELS4_3ELNS0_20block_scan_algorithmE0ELj4294967295EEENS1_25partition_config_selectorILNS1_17partition_subalgoE3EjNS0_10empty_typeEbEEZZNS1_14partition_implILS8_3ELb0ES6_jNS0_17counting_iteratorIjlEEPS9_SE_NS0_5tupleIJPjSE_EEENSF_IJSE_SE_EEES9_SG_JZNS1_25segmented_radix_sort_implINS0_14default_configELb0EPKbPbPKlPlN2at6native12_GLOBAL__N_18offset_tEEE10hipError_tPvRmT1_PNSt15iterator_traitsISY_E10value_typeET2_T3_PNSZ_IS14_E10value_typeET4_jRbjT5_S1A_jjP12ihipStream_tbEUljE_EEESV_SW_SX_S14_S18_S1A_T6_T7_T9_mT8_S1C_bDpT10_ENKUlT_T0_E_clISt17integral_constantIbLb0EES1P_EEDaS1K_S1L_EUlS1K_E_NS1_11comp_targetILNS1_3genE5ELNS1_11target_archE942ELNS1_3gpuE9ELNS1_3repE0EEENS1_30default_config_static_selectorELNS0_4arch9wavefront6targetE0EEEvSY_,"axG",@progbits,_ZN7rocprim17ROCPRIM_400000_NS6detail17trampoline_kernelINS0_13select_configILj256ELj13ELNS0_17block_load_methodE3ELS4_3ELS4_3ELNS0_20block_scan_algorithmE0ELj4294967295EEENS1_25partition_config_selectorILNS1_17partition_subalgoE3EjNS0_10empty_typeEbEEZZNS1_14partition_implILS8_3ELb0ES6_jNS0_17counting_iteratorIjlEEPS9_SE_NS0_5tupleIJPjSE_EEENSF_IJSE_SE_EEES9_SG_JZNS1_25segmented_radix_sort_implINS0_14default_configELb0EPKbPbPKlPlN2at6native12_GLOBAL__N_18offset_tEEE10hipError_tPvRmT1_PNSt15iterator_traitsISY_E10value_typeET2_T3_PNSZ_IS14_E10value_typeET4_jRbjT5_S1A_jjP12ihipStream_tbEUljE_EEESV_SW_SX_S14_S18_S1A_T6_T7_T9_mT8_S1C_bDpT10_ENKUlT_T0_E_clISt17integral_constantIbLb0EES1P_EEDaS1K_S1L_EUlS1K_E_NS1_11comp_targetILNS1_3genE5ELNS1_11target_archE942ELNS1_3gpuE9ELNS1_3repE0EEENS1_30default_config_static_selectorELNS0_4arch9wavefront6targetE0EEEvSY_,comdat
	.globl	_ZN7rocprim17ROCPRIM_400000_NS6detail17trampoline_kernelINS0_13select_configILj256ELj13ELNS0_17block_load_methodE3ELS4_3ELS4_3ELNS0_20block_scan_algorithmE0ELj4294967295EEENS1_25partition_config_selectorILNS1_17partition_subalgoE3EjNS0_10empty_typeEbEEZZNS1_14partition_implILS8_3ELb0ES6_jNS0_17counting_iteratorIjlEEPS9_SE_NS0_5tupleIJPjSE_EEENSF_IJSE_SE_EEES9_SG_JZNS1_25segmented_radix_sort_implINS0_14default_configELb0EPKbPbPKlPlN2at6native12_GLOBAL__N_18offset_tEEE10hipError_tPvRmT1_PNSt15iterator_traitsISY_E10value_typeET2_T3_PNSZ_IS14_E10value_typeET4_jRbjT5_S1A_jjP12ihipStream_tbEUljE_EEESV_SW_SX_S14_S18_S1A_T6_T7_T9_mT8_S1C_bDpT10_ENKUlT_T0_E_clISt17integral_constantIbLb0EES1P_EEDaS1K_S1L_EUlS1K_E_NS1_11comp_targetILNS1_3genE5ELNS1_11target_archE942ELNS1_3gpuE9ELNS1_3repE0EEENS1_30default_config_static_selectorELNS0_4arch9wavefront6targetE0EEEvSY_ ; -- Begin function _ZN7rocprim17ROCPRIM_400000_NS6detail17trampoline_kernelINS0_13select_configILj256ELj13ELNS0_17block_load_methodE3ELS4_3ELS4_3ELNS0_20block_scan_algorithmE0ELj4294967295EEENS1_25partition_config_selectorILNS1_17partition_subalgoE3EjNS0_10empty_typeEbEEZZNS1_14partition_implILS8_3ELb0ES6_jNS0_17counting_iteratorIjlEEPS9_SE_NS0_5tupleIJPjSE_EEENSF_IJSE_SE_EEES9_SG_JZNS1_25segmented_radix_sort_implINS0_14default_configELb0EPKbPbPKlPlN2at6native12_GLOBAL__N_18offset_tEEE10hipError_tPvRmT1_PNSt15iterator_traitsISY_E10value_typeET2_T3_PNSZ_IS14_E10value_typeET4_jRbjT5_S1A_jjP12ihipStream_tbEUljE_EEESV_SW_SX_S14_S18_S1A_T6_T7_T9_mT8_S1C_bDpT10_ENKUlT_T0_E_clISt17integral_constantIbLb0EES1P_EEDaS1K_S1L_EUlS1K_E_NS1_11comp_targetILNS1_3genE5ELNS1_11target_archE942ELNS1_3gpuE9ELNS1_3repE0EEENS1_30default_config_static_selectorELNS0_4arch9wavefront6targetE0EEEvSY_
	.p2align	8
	.type	_ZN7rocprim17ROCPRIM_400000_NS6detail17trampoline_kernelINS0_13select_configILj256ELj13ELNS0_17block_load_methodE3ELS4_3ELS4_3ELNS0_20block_scan_algorithmE0ELj4294967295EEENS1_25partition_config_selectorILNS1_17partition_subalgoE3EjNS0_10empty_typeEbEEZZNS1_14partition_implILS8_3ELb0ES6_jNS0_17counting_iteratorIjlEEPS9_SE_NS0_5tupleIJPjSE_EEENSF_IJSE_SE_EEES9_SG_JZNS1_25segmented_radix_sort_implINS0_14default_configELb0EPKbPbPKlPlN2at6native12_GLOBAL__N_18offset_tEEE10hipError_tPvRmT1_PNSt15iterator_traitsISY_E10value_typeET2_T3_PNSZ_IS14_E10value_typeET4_jRbjT5_S1A_jjP12ihipStream_tbEUljE_EEESV_SW_SX_S14_S18_S1A_T6_T7_T9_mT8_S1C_bDpT10_ENKUlT_T0_E_clISt17integral_constantIbLb0EES1P_EEDaS1K_S1L_EUlS1K_E_NS1_11comp_targetILNS1_3genE5ELNS1_11target_archE942ELNS1_3gpuE9ELNS1_3repE0EEENS1_30default_config_static_selectorELNS0_4arch9wavefront6targetE0EEEvSY_,@function
_ZN7rocprim17ROCPRIM_400000_NS6detail17trampoline_kernelINS0_13select_configILj256ELj13ELNS0_17block_load_methodE3ELS4_3ELS4_3ELNS0_20block_scan_algorithmE0ELj4294967295EEENS1_25partition_config_selectorILNS1_17partition_subalgoE3EjNS0_10empty_typeEbEEZZNS1_14partition_implILS8_3ELb0ES6_jNS0_17counting_iteratorIjlEEPS9_SE_NS0_5tupleIJPjSE_EEENSF_IJSE_SE_EEES9_SG_JZNS1_25segmented_radix_sort_implINS0_14default_configELb0EPKbPbPKlPlN2at6native12_GLOBAL__N_18offset_tEEE10hipError_tPvRmT1_PNSt15iterator_traitsISY_E10value_typeET2_T3_PNSZ_IS14_E10value_typeET4_jRbjT5_S1A_jjP12ihipStream_tbEUljE_EEESV_SW_SX_S14_S18_S1A_T6_T7_T9_mT8_S1C_bDpT10_ENKUlT_T0_E_clISt17integral_constantIbLb0EES1P_EEDaS1K_S1L_EUlS1K_E_NS1_11comp_targetILNS1_3genE5ELNS1_11target_archE942ELNS1_3gpuE9ELNS1_3repE0EEENS1_30default_config_static_selectorELNS0_4arch9wavefront6targetE0EEEvSY_: ; @_ZN7rocprim17ROCPRIM_400000_NS6detail17trampoline_kernelINS0_13select_configILj256ELj13ELNS0_17block_load_methodE3ELS4_3ELS4_3ELNS0_20block_scan_algorithmE0ELj4294967295EEENS1_25partition_config_selectorILNS1_17partition_subalgoE3EjNS0_10empty_typeEbEEZZNS1_14partition_implILS8_3ELb0ES6_jNS0_17counting_iteratorIjlEEPS9_SE_NS0_5tupleIJPjSE_EEENSF_IJSE_SE_EEES9_SG_JZNS1_25segmented_radix_sort_implINS0_14default_configELb0EPKbPbPKlPlN2at6native12_GLOBAL__N_18offset_tEEE10hipError_tPvRmT1_PNSt15iterator_traitsISY_E10value_typeET2_T3_PNSZ_IS14_E10value_typeET4_jRbjT5_S1A_jjP12ihipStream_tbEUljE_EEESV_SW_SX_S14_S18_S1A_T6_T7_T9_mT8_S1C_bDpT10_ENKUlT_T0_E_clISt17integral_constantIbLb0EES1P_EEDaS1K_S1L_EUlS1K_E_NS1_11comp_targetILNS1_3genE5ELNS1_11target_archE942ELNS1_3gpuE9ELNS1_3repE0EEENS1_30default_config_static_selectorELNS0_4arch9wavefront6targetE0EEEvSY_
; %bb.0:
	.section	.rodata,"a",@progbits
	.p2align	6, 0x0
	.amdhsa_kernel _ZN7rocprim17ROCPRIM_400000_NS6detail17trampoline_kernelINS0_13select_configILj256ELj13ELNS0_17block_load_methodE3ELS4_3ELS4_3ELNS0_20block_scan_algorithmE0ELj4294967295EEENS1_25partition_config_selectorILNS1_17partition_subalgoE3EjNS0_10empty_typeEbEEZZNS1_14partition_implILS8_3ELb0ES6_jNS0_17counting_iteratorIjlEEPS9_SE_NS0_5tupleIJPjSE_EEENSF_IJSE_SE_EEES9_SG_JZNS1_25segmented_radix_sort_implINS0_14default_configELb0EPKbPbPKlPlN2at6native12_GLOBAL__N_18offset_tEEE10hipError_tPvRmT1_PNSt15iterator_traitsISY_E10value_typeET2_T3_PNSZ_IS14_E10value_typeET4_jRbjT5_S1A_jjP12ihipStream_tbEUljE_EEESV_SW_SX_S14_S18_S1A_T6_T7_T9_mT8_S1C_bDpT10_ENKUlT_T0_E_clISt17integral_constantIbLb0EES1P_EEDaS1K_S1L_EUlS1K_E_NS1_11comp_targetILNS1_3genE5ELNS1_11target_archE942ELNS1_3gpuE9ELNS1_3repE0EEENS1_30default_config_static_selectorELNS0_4arch9wavefront6targetE0EEEvSY_
		.amdhsa_group_segment_fixed_size 0
		.amdhsa_private_segment_fixed_size 0
		.amdhsa_kernarg_size 144
		.amdhsa_user_sgpr_count 15
		.amdhsa_user_sgpr_dispatch_ptr 0
		.amdhsa_user_sgpr_queue_ptr 0
		.amdhsa_user_sgpr_kernarg_segment_ptr 1
		.amdhsa_user_sgpr_dispatch_id 0
		.amdhsa_user_sgpr_private_segment_size 0
		.amdhsa_wavefront_size32 1
		.amdhsa_uses_dynamic_stack 0
		.amdhsa_enable_private_segment 0
		.amdhsa_system_sgpr_workgroup_id_x 1
		.amdhsa_system_sgpr_workgroup_id_y 0
		.amdhsa_system_sgpr_workgroup_id_z 0
		.amdhsa_system_sgpr_workgroup_info 0
		.amdhsa_system_vgpr_workitem_id 0
		.amdhsa_next_free_vgpr 1
		.amdhsa_next_free_sgpr 1
		.amdhsa_reserve_vcc 0
		.amdhsa_float_round_mode_32 0
		.amdhsa_float_round_mode_16_64 0
		.amdhsa_float_denorm_mode_32 3
		.amdhsa_float_denorm_mode_16_64 3
		.amdhsa_dx10_clamp 1
		.amdhsa_ieee_mode 1
		.amdhsa_fp16_overflow 0
		.amdhsa_workgroup_processor_mode 1
		.amdhsa_memory_ordered 1
		.amdhsa_forward_progress 0
		.amdhsa_shared_vgpr_count 0
		.amdhsa_exception_fp_ieee_invalid_op 0
		.amdhsa_exception_fp_denorm_src 0
		.amdhsa_exception_fp_ieee_div_zero 0
		.amdhsa_exception_fp_ieee_overflow 0
		.amdhsa_exception_fp_ieee_underflow 0
		.amdhsa_exception_fp_ieee_inexact 0
		.amdhsa_exception_int_div_zero 0
	.end_amdhsa_kernel
	.section	.text._ZN7rocprim17ROCPRIM_400000_NS6detail17trampoline_kernelINS0_13select_configILj256ELj13ELNS0_17block_load_methodE3ELS4_3ELS4_3ELNS0_20block_scan_algorithmE0ELj4294967295EEENS1_25partition_config_selectorILNS1_17partition_subalgoE3EjNS0_10empty_typeEbEEZZNS1_14partition_implILS8_3ELb0ES6_jNS0_17counting_iteratorIjlEEPS9_SE_NS0_5tupleIJPjSE_EEENSF_IJSE_SE_EEES9_SG_JZNS1_25segmented_radix_sort_implINS0_14default_configELb0EPKbPbPKlPlN2at6native12_GLOBAL__N_18offset_tEEE10hipError_tPvRmT1_PNSt15iterator_traitsISY_E10value_typeET2_T3_PNSZ_IS14_E10value_typeET4_jRbjT5_S1A_jjP12ihipStream_tbEUljE_EEESV_SW_SX_S14_S18_S1A_T6_T7_T9_mT8_S1C_bDpT10_ENKUlT_T0_E_clISt17integral_constantIbLb0EES1P_EEDaS1K_S1L_EUlS1K_E_NS1_11comp_targetILNS1_3genE5ELNS1_11target_archE942ELNS1_3gpuE9ELNS1_3repE0EEENS1_30default_config_static_selectorELNS0_4arch9wavefront6targetE0EEEvSY_,"axG",@progbits,_ZN7rocprim17ROCPRIM_400000_NS6detail17trampoline_kernelINS0_13select_configILj256ELj13ELNS0_17block_load_methodE3ELS4_3ELS4_3ELNS0_20block_scan_algorithmE0ELj4294967295EEENS1_25partition_config_selectorILNS1_17partition_subalgoE3EjNS0_10empty_typeEbEEZZNS1_14partition_implILS8_3ELb0ES6_jNS0_17counting_iteratorIjlEEPS9_SE_NS0_5tupleIJPjSE_EEENSF_IJSE_SE_EEES9_SG_JZNS1_25segmented_radix_sort_implINS0_14default_configELb0EPKbPbPKlPlN2at6native12_GLOBAL__N_18offset_tEEE10hipError_tPvRmT1_PNSt15iterator_traitsISY_E10value_typeET2_T3_PNSZ_IS14_E10value_typeET4_jRbjT5_S1A_jjP12ihipStream_tbEUljE_EEESV_SW_SX_S14_S18_S1A_T6_T7_T9_mT8_S1C_bDpT10_ENKUlT_T0_E_clISt17integral_constantIbLb0EES1P_EEDaS1K_S1L_EUlS1K_E_NS1_11comp_targetILNS1_3genE5ELNS1_11target_archE942ELNS1_3gpuE9ELNS1_3repE0EEENS1_30default_config_static_selectorELNS0_4arch9wavefront6targetE0EEEvSY_,comdat
.Lfunc_end1604:
	.size	_ZN7rocprim17ROCPRIM_400000_NS6detail17trampoline_kernelINS0_13select_configILj256ELj13ELNS0_17block_load_methodE3ELS4_3ELS4_3ELNS0_20block_scan_algorithmE0ELj4294967295EEENS1_25partition_config_selectorILNS1_17partition_subalgoE3EjNS0_10empty_typeEbEEZZNS1_14partition_implILS8_3ELb0ES6_jNS0_17counting_iteratorIjlEEPS9_SE_NS0_5tupleIJPjSE_EEENSF_IJSE_SE_EEES9_SG_JZNS1_25segmented_radix_sort_implINS0_14default_configELb0EPKbPbPKlPlN2at6native12_GLOBAL__N_18offset_tEEE10hipError_tPvRmT1_PNSt15iterator_traitsISY_E10value_typeET2_T3_PNSZ_IS14_E10value_typeET4_jRbjT5_S1A_jjP12ihipStream_tbEUljE_EEESV_SW_SX_S14_S18_S1A_T6_T7_T9_mT8_S1C_bDpT10_ENKUlT_T0_E_clISt17integral_constantIbLb0EES1P_EEDaS1K_S1L_EUlS1K_E_NS1_11comp_targetILNS1_3genE5ELNS1_11target_archE942ELNS1_3gpuE9ELNS1_3repE0EEENS1_30default_config_static_selectorELNS0_4arch9wavefront6targetE0EEEvSY_, .Lfunc_end1604-_ZN7rocprim17ROCPRIM_400000_NS6detail17trampoline_kernelINS0_13select_configILj256ELj13ELNS0_17block_load_methodE3ELS4_3ELS4_3ELNS0_20block_scan_algorithmE0ELj4294967295EEENS1_25partition_config_selectorILNS1_17partition_subalgoE3EjNS0_10empty_typeEbEEZZNS1_14partition_implILS8_3ELb0ES6_jNS0_17counting_iteratorIjlEEPS9_SE_NS0_5tupleIJPjSE_EEENSF_IJSE_SE_EEES9_SG_JZNS1_25segmented_radix_sort_implINS0_14default_configELb0EPKbPbPKlPlN2at6native12_GLOBAL__N_18offset_tEEE10hipError_tPvRmT1_PNSt15iterator_traitsISY_E10value_typeET2_T3_PNSZ_IS14_E10value_typeET4_jRbjT5_S1A_jjP12ihipStream_tbEUljE_EEESV_SW_SX_S14_S18_S1A_T6_T7_T9_mT8_S1C_bDpT10_ENKUlT_T0_E_clISt17integral_constantIbLb0EES1P_EEDaS1K_S1L_EUlS1K_E_NS1_11comp_targetILNS1_3genE5ELNS1_11target_archE942ELNS1_3gpuE9ELNS1_3repE0EEENS1_30default_config_static_selectorELNS0_4arch9wavefront6targetE0EEEvSY_
                                        ; -- End function
	.section	.AMDGPU.csdata,"",@progbits
; Kernel info:
; codeLenInByte = 0
; NumSgprs: 0
; NumVgprs: 0
; ScratchSize: 0
; MemoryBound: 0
; FloatMode: 240
; IeeeMode: 1
; LDSByteSize: 0 bytes/workgroup (compile time only)
; SGPRBlocks: 0
; VGPRBlocks: 0
; NumSGPRsForWavesPerEU: 1
; NumVGPRsForWavesPerEU: 1
; Occupancy: 16
; WaveLimiterHint : 0
; COMPUTE_PGM_RSRC2:SCRATCH_EN: 0
; COMPUTE_PGM_RSRC2:USER_SGPR: 15
; COMPUTE_PGM_RSRC2:TRAP_HANDLER: 0
; COMPUTE_PGM_RSRC2:TGID_X_EN: 1
; COMPUTE_PGM_RSRC2:TGID_Y_EN: 0
; COMPUTE_PGM_RSRC2:TGID_Z_EN: 0
; COMPUTE_PGM_RSRC2:TIDIG_COMP_CNT: 0
	.section	.text._ZN7rocprim17ROCPRIM_400000_NS6detail17trampoline_kernelINS0_13select_configILj256ELj13ELNS0_17block_load_methodE3ELS4_3ELS4_3ELNS0_20block_scan_algorithmE0ELj4294967295EEENS1_25partition_config_selectorILNS1_17partition_subalgoE3EjNS0_10empty_typeEbEEZZNS1_14partition_implILS8_3ELb0ES6_jNS0_17counting_iteratorIjlEEPS9_SE_NS0_5tupleIJPjSE_EEENSF_IJSE_SE_EEES9_SG_JZNS1_25segmented_radix_sort_implINS0_14default_configELb0EPKbPbPKlPlN2at6native12_GLOBAL__N_18offset_tEEE10hipError_tPvRmT1_PNSt15iterator_traitsISY_E10value_typeET2_T3_PNSZ_IS14_E10value_typeET4_jRbjT5_S1A_jjP12ihipStream_tbEUljE_EEESV_SW_SX_S14_S18_S1A_T6_T7_T9_mT8_S1C_bDpT10_ENKUlT_T0_E_clISt17integral_constantIbLb0EES1P_EEDaS1K_S1L_EUlS1K_E_NS1_11comp_targetILNS1_3genE4ELNS1_11target_archE910ELNS1_3gpuE8ELNS1_3repE0EEENS1_30default_config_static_selectorELNS0_4arch9wavefront6targetE0EEEvSY_,"axG",@progbits,_ZN7rocprim17ROCPRIM_400000_NS6detail17trampoline_kernelINS0_13select_configILj256ELj13ELNS0_17block_load_methodE3ELS4_3ELS4_3ELNS0_20block_scan_algorithmE0ELj4294967295EEENS1_25partition_config_selectorILNS1_17partition_subalgoE3EjNS0_10empty_typeEbEEZZNS1_14partition_implILS8_3ELb0ES6_jNS0_17counting_iteratorIjlEEPS9_SE_NS0_5tupleIJPjSE_EEENSF_IJSE_SE_EEES9_SG_JZNS1_25segmented_radix_sort_implINS0_14default_configELb0EPKbPbPKlPlN2at6native12_GLOBAL__N_18offset_tEEE10hipError_tPvRmT1_PNSt15iterator_traitsISY_E10value_typeET2_T3_PNSZ_IS14_E10value_typeET4_jRbjT5_S1A_jjP12ihipStream_tbEUljE_EEESV_SW_SX_S14_S18_S1A_T6_T7_T9_mT8_S1C_bDpT10_ENKUlT_T0_E_clISt17integral_constantIbLb0EES1P_EEDaS1K_S1L_EUlS1K_E_NS1_11comp_targetILNS1_3genE4ELNS1_11target_archE910ELNS1_3gpuE8ELNS1_3repE0EEENS1_30default_config_static_selectorELNS0_4arch9wavefront6targetE0EEEvSY_,comdat
	.globl	_ZN7rocprim17ROCPRIM_400000_NS6detail17trampoline_kernelINS0_13select_configILj256ELj13ELNS0_17block_load_methodE3ELS4_3ELS4_3ELNS0_20block_scan_algorithmE0ELj4294967295EEENS1_25partition_config_selectorILNS1_17partition_subalgoE3EjNS0_10empty_typeEbEEZZNS1_14partition_implILS8_3ELb0ES6_jNS0_17counting_iteratorIjlEEPS9_SE_NS0_5tupleIJPjSE_EEENSF_IJSE_SE_EEES9_SG_JZNS1_25segmented_radix_sort_implINS0_14default_configELb0EPKbPbPKlPlN2at6native12_GLOBAL__N_18offset_tEEE10hipError_tPvRmT1_PNSt15iterator_traitsISY_E10value_typeET2_T3_PNSZ_IS14_E10value_typeET4_jRbjT5_S1A_jjP12ihipStream_tbEUljE_EEESV_SW_SX_S14_S18_S1A_T6_T7_T9_mT8_S1C_bDpT10_ENKUlT_T0_E_clISt17integral_constantIbLb0EES1P_EEDaS1K_S1L_EUlS1K_E_NS1_11comp_targetILNS1_3genE4ELNS1_11target_archE910ELNS1_3gpuE8ELNS1_3repE0EEENS1_30default_config_static_selectorELNS0_4arch9wavefront6targetE0EEEvSY_ ; -- Begin function _ZN7rocprim17ROCPRIM_400000_NS6detail17trampoline_kernelINS0_13select_configILj256ELj13ELNS0_17block_load_methodE3ELS4_3ELS4_3ELNS0_20block_scan_algorithmE0ELj4294967295EEENS1_25partition_config_selectorILNS1_17partition_subalgoE3EjNS0_10empty_typeEbEEZZNS1_14partition_implILS8_3ELb0ES6_jNS0_17counting_iteratorIjlEEPS9_SE_NS0_5tupleIJPjSE_EEENSF_IJSE_SE_EEES9_SG_JZNS1_25segmented_radix_sort_implINS0_14default_configELb0EPKbPbPKlPlN2at6native12_GLOBAL__N_18offset_tEEE10hipError_tPvRmT1_PNSt15iterator_traitsISY_E10value_typeET2_T3_PNSZ_IS14_E10value_typeET4_jRbjT5_S1A_jjP12ihipStream_tbEUljE_EEESV_SW_SX_S14_S18_S1A_T6_T7_T9_mT8_S1C_bDpT10_ENKUlT_T0_E_clISt17integral_constantIbLb0EES1P_EEDaS1K_S1L_EUlS1K_E_NS1_11comp_targetILNS1_3genE4ELNS1_11target_archE910ELNS1_3gpuE8ELNS1_3repE0EEENS1_30default_config_static_selectorELNS0_4arch9wavefront6targetE0EEEvSY_
	.p2align	8
	.type	_ZN7rocprim17ROCPRIM_400000_NS6detail17trampoline_kernelINS0_13select_configILj256ELj13ELNS0_17block_load_methodE3ELS4_3ELS4_3ELNS0_20block_scan_algorithmE0ELj4294967295EEENS1_25partition_config_selectorILNS1_17partition_subalgoE3EjNS0_10empty_typeEbEEZZNS1_14partition_implILS8_3ELb0ES6_jNS0_17counting_iteratorIjlEEPS9_SE_NS0_5tupleIJPjSE_EEENSF_IJSE_SE_EEES9_SG_JZNS1_25segmented_radix_sort_implINS0_14default_configELb0EPKbPbPKlPlN2at6native12_GLOBAL__N_18offset_tEEE10hipError_tPvRmT1_PNSt15iterator_traitsISY_E10value_typeET2_T3_PNSZ_IS14_E10value_typeET4_jRbjT5_S1A_jjP12ihipStream_tbEUljE_EEESV_SW_SX_S14_S18_S1A_T6_T7_T9_mT8_S1C_bDpT10_ENKUlT_T0_E_clISt17integral_constantIbLb0EES1P_EEDaS1K_S1L_EUlS1K_E_NS1_11comp_targetILNS1_3genE4ELNS1_11target_archE910ELNS1_3gpuE8ELNS1_3repE0EEENS1_30default_config_static_selectorELNS0_4arch9wavefront6targetE0EEEvSY_,@function
_ZN7rocprim17ROCPRIM_400000_NS6detail17trampoline_kernelINS0_13select_configILj256ELj13ELNS0_17block_load_methodE3ELS4_3ELS4_3ELNS0_20block_scan_algorithmE0ELj4294967295EEENS1_25partition_config_selectorILNS1_17partition_subalgoE3EjNS0_10empty_typeEbEEZZNS1_14partition_implILS8_3ELb0ES6_jNS0_17counting_iteratorIjlEEPS9_SE_NS0_5tupleIJPjSE_EEENSF_IJSE_SE_EEES9_SG_JZNS1_25segmented_radix_sort_implINS0_14default_configELb0EPKbPbPKlPlN2at6native12_GLOBAL__N_18offset_tEEE10hipError_tPvRmT1_PNSt15iterator_traitsISY_E10value_typeET2_T3_PNSZ_IS14_E10value_typeET4_jRbjT5_S1A_jjP12ihipStream_tbEUljE_EEESV_SW_SX_S14_S18_S1A_T6_T7_T9_mT8_S1C_bDpT10_ENKUlT_T0_E_clISt17integral_constantIbLb0EES1P_EEDaS1K_S1L_EUlS1K_E_NS1_11comp_targetILNS1_3genE4ELNS1_11target_archE910ELNS1_3gpuE8ELNS1_3repE0EEENS1_30default_config_static_selectorELNS0_4arch9wavefront6targetE0EEEvSY_: ; @_ZN7rocprim17ROCPRIM_400000_NS6detail17trampoline_kernelINS0_13select_configILj256ELj13ELNS0_17block_load_methodE3ELS4_3ELS4_3ELNS0_20block_scan_algorithmE0ELj4294967295EEENS1_25partition_config_selectorILNS1_17partition_subalgoE3EjNS0_10empty_typeEbEEZZNS1_14partition_implILS8_3ELb0ES6_jNS0_17counting_iteratorIjlEEPS9_SE_NS0_5tupleIJPjSE_EEENSF_IJSE_SE_EEES9_SG_JZNS1_25segmented_radix_sort_implINS0_14default_configELb0EPKbPbPKlPlN2at6native12_GLOBAL__N_18offset_tEEE10hipError_tPvRmT1_PNSt15iterator_traitsISY_E10value_typeET2_T3_PNSZ_IS14_E10value_typeET4_jRbjT5_S1A_jjP12ihipStream_tbEUljE_EEESV_SW_SX_S14_S18_S1A_T6_T7_T9_mT8_S1C_bDpT10_ENKUlT_T0_E_clISt17integral_constantIbLb0EES1P_EEDaS1K_S1L_EUlS1K_E_NS1_11comp_targetILNS1_3genE4ELNS1_11target_archE910ELNS1_3gpuE8ELNS1_3repE0EEENS1_30default_config_static_selectorELNS0_4arch9wavefront6targetE0EEEvSY_
; %bb.0:
	.section	.rodata,"a",@progbits
	.p2align	6, 0x0
	.amdhsa_kernel _ZN7rocprim17ROCPRIM_400000_NS6detail17trampoline_kernelINS0_13select_configILj256ELj13ELNS0_17block_load_methodE3ELS4_3ELS4_3ELNS0_20block_scan_algorithmE0ELj4294967295EEENS1_25partition_config_selectorILNS1_17partition_subalgoE3EjNS0_10empty_typeEbEEZZNS1_14partition_implILS8_3ELb0ES6_jNS0_17counting_iteratorIjlEEPS9_SE_NS0_5tupleIJPjSE_EEENSF_IJSE_SE_EEES9_SG_JZNS1_25segmented_radix_sort_implINS0_14default_configELb0EPKbPbPKlPlN2at6native12_GLOBAL__N_18offset_tEEE10hipError_tPvRmT1_PNSt15iterator_traitsISY_E10value_typeET2_T3_PNSZ_IS14_E10value_typeET4_jRbjT5_S1A_jjP12ihipStream_tbEUljE_EEESV_SW_SX_S14_S18_S1A_T6_T7_T9_mT8_S1C_bDpT10_ENKUlT_T0_E_clISt17integral_constantIbLb0EES1P_EEDaS1K_S1L_EUlS1K_E_NS1_11comp_targetILNS1_3genE4ELNS1_11target_archE910ELNS1_3gpuE8ELNS1_3repE0EEENS1_30default_config_static_selectorELNS0_4arch9wavefront6targetE0EEEvSY_
		.amdhsa_group_segment_fixed_size 0
		.amdhsa_private_segment_fixed_size 0
		.amdhsa_kernarg_size 144
		.amdhsa_user_sgpr_count 15
		.amdhsa_user_sgpr_dispatch_ptr 0
		.amdhsa_user_sgpr_queue_ptr 0
		.amdhsa_user_sgpr_kernarg_segment_ptr 1
		.amdhsa_user_sgpr_dispatch_id 0
		.amdhsa_user_sgpr_private_segment_size 0
		.amdhsa_wavefront_size32 1
		.amdhsa_uses_dynamic_stack 0
		.amdhsa_enable_private_segment 0
		.amdhsa_system_sgpr_workgroup_id_x 1
		.amdhsa_system_sgpr_workgroup_id_y 0
		.amdhsa_system_sgpr_workgroup_id_z 0
		.amdhsa_system_sgpr_workgroup_info 0
		.amdhsa_system_vgpr_workitem_id 0
		.amdhsa_next_free_vgpr 1
		.amdhsa_next_free_sgpr 1
		.amdhsa_reserve_vcc 0
		.amdhsa_float_round_mode_32 0
		.amdhsa_float_round_mode_16_64 0
		.amdhsa_float_denorm_mode_32 3
		.amdhsa_float_denorm_mode_16_64 3
		.amdhsa_dx10_clamp 1
		.amdhsa_ieee_mode 1
		.amdhsa_fp16_overflow 0
		.amdhsa_workgroup_processor_mode 1
		.amdhsa_memory_ordered 1
		.amdhsa_forward_progress 0
		.amdhsa_shared_vgpr_count 0
		.amdhsa_exception_fp_ieee_invalid_op 0
		.amdhsa_exception_fp_denorm_src 0
		.amdhsa_exception_fp_ieee_div_zero 0
		.amdhsa_exception_fp_ieee_overflow 0
		.amdhsa_exception_fp_ieee_underflow 0
		.amdhsa_exception_fp_ieee_inexact 0
		.amdhsa_exception_int_div_zero 0
	.end_amdhsa_kernel
	.section	.text._ZN7rocprim17ROCPRIM_400000_NS6detail17trampoline_kernelINS0_13select_configILj256ELj13ELNS0_17block_load_methodE3ELS4_3ELS4_3ELNS0_20block_scan_algorithmE0ELj4294967295EEENS1_25partition_config_selectorILNS1_17partition_subalgoE3EjNS0_10empty_typeEbEEZZNS1_14partition_implILS8_3ELb0ES6_jNS0_17counting_iteratorIjlEEPS9_SE_NS0_5tupleIJPjSE_EEENSF_IJSE_SE_EEES9_SG_JZNS1_25segmented_radix_sort_implINS0_14default_configELb0EPKbPbPKlPlN2at6native12_GLOBAL__N_18offset_tEEE10hipError_tPvRmT1_PNSt15iterator_traitsISY_E10value_typeET2_T3_PNSZ_IS14_E10value_typeET4_jRbjT5_S1A_jjP12ihipStream_tbEUljE_EEESV_SW_SX_S14_S18_S1A_T6_T7_T9_mT8_S1C_bDpT10_ENKUlT_T0_E_clISt17integral_constantIbLb0EES1P_EEDaS1K_S1L_EUlS1K_E_NS1_11comp_targetILNS1_3genE4ELNS1_11target_archE910ELNS1_3gpuE8ELNS1_3repE0EEENS1_30default_config_static_selectorELNS0_4arch9wavefront6targetE0EEEvSY_,"axG",@progbits,_ZN7rocprim17ROCPRIM_400000_NS6detail17trampoline_kernelINS0_13select_configILj256ELj13ELNS0_17block_load_methodE3ELS4_3ELS4_3ELNS0_20block_scan_algorithmE0ELj4294967295EEENS1_25partition_config_selectorILNS1_17partition_subalgoE3EjNS0_10empty_typeEbEEZZNS1_14partition_implILS8_3ELb0ES6_jNS0_17counting_iteratorIjlEEPS9_SE_NS0_5tupleIJPjSE_EEENSF_IJSE_SE_EEES9_SG_JZNS1_25segmented_radix_sort_implINS0_14default_configELb0EPKbPbPKlPlN2at6native12_GLOBAL__N_18offset_tEEE10hipError_tPvRmT1_PNSt15iterator_traitsISY_E10value_typeET2_T3_PNSZ_IS14_E10value_typeET4_jRbjT5_S1A_jjP12ihipStream_tbEUljE_EEESV_SW_SX_S14_S18_S1A_T6_T7_T9_mT8_S1C_bDpT10_ENKUlT_T0_E_clISt17integral_constantIbLb0EES1P_EEDaS1K_S1L_EUlS1K_E_NS1_11comp_targetILNS1_3genE4ELNS1_11target_archE910ELNS1_3gpuE8ELNS1_3repE0EEENS1_30default_config_static_selectorELNS0_4arch9wavefront6targetE0EEEvSY_,comdat
.Lfunc_end1605:
	.size	_ZN7rocprim17ROCPRIM_400000_NS6detail17trampoline_kernelINS0_13select_configILj256ELj13ELNS0_17block_load_methodE3ELS4_3ELS4_3ELNS0_20block_scan_algorithmE0ELj4294967295EEENS1_25partition_config_selectorILNS1_17partition_subalgoE3EjNS0_10empty_typeEbEEZZNS1_14partition_implILS8_3ELb0ES6_jNS0_17counting_iteratorIjlEEPS9_SE_NS0_5tupleIJPjSE_EEENSF_IJSE_SE_EEES9_SG_JZNS1_25segmented_radix_sort_implINS0_14default_configELb0EPKbPbPKlPlN2at6native12_GLOBAL__N_18offset_tEEE10hipError_tPvRmT1_PNSt15iterator_traitsISY_E10value_typeET2_T3_PNSZ_IS14_E10value_typeET4_jRbjT5_S1A_jjP12ihipStream_tbEUljE_EEESV_SW_SX_S14_S18_S1A_T6_T7_T9_mT8_S1C_bDpT10_ENKUlT_T0_E_clISt17integral_constantIbLb0EES1P_EEDaS1K_S1L_EUlS1K_E_NS1_11comp_targetILNS1_3genE4ELNS1_11target_archE910ELNS1_3gpuE8ELNS1_3repE0EEENS1_30default_config_static_selectorELNS0_4arch9wavefront6targetE0EEEvSY_, .Lfunc_end1605-_ZN7rocprim17ROCPRIM_400000_NS6detail17trampoline_kernelINS0_13select_configILj256ELj13ELNS0_17block_load_methodE3ELS4_3ELS4_3ELNS0_20block_scan_algorithmE0ELj4294967295EEENS1_25partition_config_selectorILNS1_17partition_subalgoE3EjNS0_10empty_typeEbEEZZNS1_14partition_implILS8_3ELb0ES6_jNS0_17counting_iteratorIjlEEPS9_SE_NS0_5tupleIJPjSE_EEENSF_IJSE_SE_EEES9_SG_JZNS1_25segmented_radix_sort_implINS0_14default_configELb0EPKbPbPKlPlN2at6native12_GLOBAL__N_18offset_tEEE10hipError_tPvRmT1_PNSt15iterator_traitsISY_E10value_typeET2_T3_PNSZ_IS14_E10value_typeET4_jRbjT5_S1A_jjP12ihipStream_tbEUljE_EEESV_SW_SX_S14_S18_S1A_T6_T7_T9_mT8_S1C_bDpT10_ENKUlT_T0_E_clISt17integral_constantIbLb0EES1P_EEDaS1K_S1L_EUlS1K_E_NS1_11comp_targetILNS1_3genE4ELNS1_11target_archE910ELNS1_3gpuE8ELNS1_3repE0EEENS1_30default_config_static_selectorELNS0_4arch9wavefront6targetE0EEEvSY_
                                        ; -- End function
	.section	.AMDGPU.csdata,"",@progbits
; Kernel info:
; codeLenInByte = 0
; NumSgprs: 0
; NumVgprs: 0
; ScratchSize: 0
; MemoryBound: 0
; FloatMode: 240
; IeeeMode: 1
; LDSByteSize: 0 bytes/workgroup (compile time only)
; SGPRBlocks: 0
; VGPRBlocks: 0
; NumSGPRsForWavesPerEU: 1
; NumVGPRsForWavesPerEU: 1
; Occupancy: 16
; WaveLimiterHint : 0
; COMPUTE_PGM_RSRC2:SCRATCH_EN: 0
; COMPUTE_PGM_RSRC2:USER_SGPR: 15
; COMPUTE_PGM_RSRC2:TRAP_HANDLER: 0
; COMPUTE_PGM_RSRC2:TGID_X_EN: 1
; COMPUTE_PGM_RSRC2:TGID_Y_EN: 0
; COMPUTE_PGM_RSRC2:TGID_Z_EN: 0
; COMPUTE_PGM_RSRC2:TIDIG_COMP_CNT: 0
	.section	.text._ZN7rocprim17ROCPRIM_400000_NS6detail17trampoline_kernelINS0_13select_configILj256ELj13ELNS0_17block_load_methodE3ELS4_3ELS4_3ELNS0_20block_scan_algorithmE0ELj4294967295EEENS1_25partition_config_selectorILNS1_17partition_subalgoE3EjNS0_10empty_typeEbEEZZNS1_14partition_implILS8_3ELb0ES6_jNS0_17counting_iteratorIjlEEPS9_SE_NS0_5tupleIJPjSE_EEENSF_IJSE_SE_EEES9_SG_JZNS1_25segmented_radix_sort_implINS0_14default_configELb0EPKbPbPKlPlN2at6native12_GLOBAL__N_18offset_tEEE10hipError_tPvRmT1_PNSt15iterator_traitsISY_E10value_typeET2_T3_PNSZ_IS14_E10value_typeET4_jRbjT5_S1A_jjP12ihipStream_tbEUljE_EEESV_SW_SX_S14_S18_S1A_T6_T7_T9_mT8_S1C_bDpT10_ENKUlT_T0_E_clISt17integral_constantIbLb0EES1P_EEDaS1K_S1L_EUlS1K_E_NS1_11comp_targetILNS1_3genE3ELNS1_11target_archE908ELNS1_3gpuE7ELNS1_3repE0EEENS1_30default_config_static_selectorELNS0_4arch9wavefront6targetE0EEEvSY_,"axG",@progbits,_ZN7rocprim17ROCPRIM_400000_NS6detail17trampoline_kernelINS0_13select_configILj256ELj13ELNS0_17block_load_methodE3ELS4_3ELS4_3ELNS0_20block_scan_algorithmE0ELj4294967295EEENS1_25partition_config_selectorILNS1_17partition_subalgoE3EjNS0_10empty_typeEbEEZZNS1_14partition_implILS8_3ELb0ES6_jNS0_17counting_iteratorIjlEEPS9_SE_NS0_5tupleIJPjSE_EEENSF_IJSE_SE_EEES9_SG_JZNS1_25segmented_radix_sort_implINS0_14default_configELb0EPKbPbPKlPlN2at6native12_GLOBAL__N_18offset_tEEE10hipError_tPvRmT1_PNSt15iterator_traitsISY_E10value_typeET2_T3_PNSZ_IS14_E10value_typeET4_jRbjT5_S1A_jjP12ihipStream_tbEUljE_EEESV_SW_SX_S14_S18_S1A_T6_T7_T9_mT8_S1C_bDpT10_ENKUlT_T0_E_clISt17integral_constantIbLb0EES1P_EEDaS1K_S1L_EUlS1K_E_NS1_11comp_targetILNS1_3genE3ELNS1_11target_archE908ELNS1_3gpuE7ELNS1_3repE0EEENS1_30default_config_static_selectorELNS0_4arch9wavefront6targetE0EEEvSY_,comdat
	.globl	_ZN7rocprim17ROCPRIM_400000_NS6detail17trampoline_kernelINS0_13select_configILj256ELj13ELNS0_17block_load_methodE3ELS4_3ELS4_3ELNS0_20block_scan_algorithmE0ELj4294967295EEENS1_25partition_config_selectorILNS1_17partition_subalgoE3EjNS0_10empty_typeEbEEZZNS1_14partition_implILS8_3ELb0ES6_jNS0_17counting_iteratorIjlEEPS9_SE_NS0_5tupleIJPjSE_EEENSF_IJSE_SE_EEES9_SG_JZNS1_25segmented_radix_sort_implINS0_14default_configELb0EPKbPbPKlPlN2at6native12_GLOBAL__N_18offset_tEEE10hipError_tPvRmT1_PNSt15iterator_traitsISY_E10value_typeET2_T3_PNSZ_IS14_E10value_typeET4_jRbjT5_S1A_jjP12ihipStream_tbEUljE_EEESV_SW_SX_S14_S18_S1A_T6_T7_T9_mT8_S1C_bDpT10_ENKUlT_T0_E_clISt17integral_constantIbLb0EES1P_EEDaS1K_S1L_EUlS1K_E_NS1_11comp_targetILNS1_3genE3ELNS1_11target_archE908ELNS1_3gpuE7ELNS1_3repE0EEENS1_30default_config_static_selectorELNS0_4arch9wavefront6targetE0EEEvSY_ ; -- Begin function _ZN7rocprim17ROCPRIM_400000_NS6detail17trampoline_kernelINS0_13select_configILj256ELj13ELNS0_17block_load_methodE3ELS4_3ELS4_3ELNS0_20block_scan_algorithmE0ELj4294967295EEENS1_25partition_config_selectorILNS1_17partition_subalgoE3EjNS0_10empty_typeEbEEZZNS1_14partition_implILS8_3ELb0ES6_jNS0_17counting_iteratorIjlEEPS9_SE_NS0_5tupleIJPjSE_EEENSF_IJSE_SE_EEES9_SG_JZNS1_25segmented_radix_sort_implINS0_14default_configELb0EPKbPbPKlPlN2at6native12_GLOBAL__N_18offset_tEEE10hipError_tPvRmT1_PNSt15iterator_traitsISY_E10value_typeET2_T3_PNSZ_IS14_E10value_typeET4_jRbjT5_S1A_jjP12ihipStream_tbEUljE_EEESV_SW_SX_S14_S18_S1A_T6_T7_T9_mT8_S1C_bDpT10_ENKUlT_T0_E_clISt17integral_constantIbLb0EES1P_EEDaS1K_S1L_EUlS1K_E_NS1_11comp_targetILNS1_3genE3ELNS1_11target_archE908ELNS1_3gpuE7ELNS1_3repE0EEENS1_30default_config_static_selectorELNS0_4arch9wavefront6targetE0EEEvSY_
	.p2align	8
	.type	_ZN7rocprim17ROCPRIM_400000_NS6detail17trampoline_kernelINS0_13select_configILj256ELj13ELNS0_17block_load_methodE3ELS4_3ELS4_3ELNS0_20block_scan_algorithmE0ELj4294967295EEENS1_25partition_config_selectorILNS1_17partition_subalgoE3EjNS0_10empty_typeEbEEZZNS1_14partition_implILS8_3ELb0ES6_jNS0_17counting_iteratorIjlEEPS9_SE_NS0_5tupleIJPjSE_EEENSF_IJSE_SE_EEES9_SG_JZNS1_25segmented_radix_sort_implINS0_14default_configELb0EPKbPbPKlPlN2at6native12_GLOBAL__N_18offset_tEEE10hipError_tPvRmT1_PNSt15iterator_traitsISY_E10value_typeET2_T3_PNSZ_IS14_E10value_typeET4_jRbjT5_S1A_jjP12ihipStream_tbEUljE_EEESV_SW_SX_S14_S18_S1A_T6_T7_T9_mT8_S1C_bDpT10_ENKUlT_T0_E_clISt17integral_constantIbLb0EES1P_EEDaS1K_S1L_EUlS1K_E_NS1_11comp_targetILNS1_3genE3ELNS1_11target_archE908ELNS1_3gpuE7ELNS1_3repE0EEENS1_30default_config_static_selectorELNS0_4arch9wavefront6targetE0EEEvSY_,@function
_ZN7rocprim17ROCPRIM_400000_NS6detail17trampoline_kernelINS0_13select_configILj256ELj13ELNS0_17block_load_methodE3ELS4_3ELS4_3ELNS0_20block_scan_algorithmE0ELj4294967295EEENS1_25partition_config_selectorILNS1_17partition_subalgoE3EjNS0_10empty_typeEbEEZZNS1_14partition_implILS8_3ELb0ES6_jNS0_17counting_iteratorIjlEEPS9_SE_NS0_5tupleIJPjSE_EEENSF_IJSE_SE_EEES9_SG_JZNS1_25segmented_radix_sort_implINS0_14default_configELb0EPKbPbPKlPlN2at6native12_GLOBAL__N_18offset_tEEE10hipError_tPvRmT1_PNSt15iterator_traitsISY_E10value_typeET2_T3_PNSZ_IS14_E10value_typeET4_jRbjT5_S1A_jjP12ihipStream_tbEUljE_EEESV_SW_SX_S14_S18_S1A_T6_T7_T9_mT8_S1C_bDpT10_ENKUlT_T0_E_clISt17integral_constantIbLb0EES1P_EEDaS1K_S1L_EUlS1K_E_NS1_11comp_targetILNS1_3genE3ELNS1_11target_archE908ELNS1_3gpuE7ELNS1_3repE0EEENS1_30default_config_static_selectorELNS0_4arch9wavefront6targetE0EEEvSY_: ; @_ZN7rocprim17ROCPRIM_400000_NS6detail17trampoline_kernelINS0_13select_configILj256ELj13ELNS0_17block_load_methodE3ELS4_3ELS4_3ELNS0_20block_scan_algorithmE0ELj4294967295EEENS1_25partition_config_selectorILNS1_17partition_subalgoE3EjNS0_10empty_typeEbEEZZNS1_14partition_implILS8_3ELb0ES6_jNS0_17counting_iteratorIjlEEPS9_SE_NS0_5tupleIJPjSE_EEENSF_IJSE_SE_EEES9_SG_JZNS1_25segmented_radix_sort_implINS0_14default_configELb0EPKbPbPKlPlN2at6native12_GLOBAL__N_18offset_tEEE10hipError_tPvRmT1_PNSt15iterator_traitsISY_E10value_typeET2_T3_PNSZ_IS14_E10value_typeET4_jRbjT5_S1A_jjP12ihipStream_tbEUljE_EEESV_SW_SX_S14_S18_S1A_T6_T7_T9_mT8_S1C_bDpT10_ENKUlT_T0_E_clISt17integral_constantIbLb0EES1P_EEDaS1K_S1L_EUlS1K_E_NS1_11comp_targetILNS1_3genE3ELNS1_11target_archE908ELNS1_3gpuE7ELNS1_3repE0EEENS1_30default_config_static_selectorELNS0_4arch9wavefront6targetE0EEEvSY_
; %bb.0:
	.section	.rodata,"a",@progbits
	.p2align	6, 0x0
	.amdhsa_kernel _ZN7rocprim17ROCPRIM_400000_NS6detail17trampoline_kernelINS0_13select_configILj256ELj13ELNS0_17block_load_methodE3ELS4_3ELS4_3ELNS0_20block_scan_algorithmE0ELj4294967295EEENS1_25partition_config_selectorILNS1_17partition_subalgoE3EjNS0_10empty_typeEbEEZZNS1_14partition_implILS8_3ELb0ES6_jNS0_17counting_iteratorIjlEEPS9_SE_NS0_5tupleIJPjSE_EEENSF_IJSE_SE_EEES9_SG_JZNS1_25segmented_radix_sort_implINS0_14default_configELb0EPKbPbPKlPlN2at6native12_GLOBAL__N_18offset_tEEE10hipError_tPvRmT1_PNSt15iterator_traitsISY_E10value_typeET2_T3_PNSZ_IS14_E10value_typeET4_jRbjT5_S1A_jjP12ihipStream_tbEUljE_EEESV_SW_SX_S14_S18_S1A_T6_T7_T9_mT8_S1C_bDpT10_ENKUlT_T0_E_clISt17integral_constantIbLb0EES1P_EEDaS1K_S1L_EUlS1K_E_NS1_11comp_targetILNS1_3genE3ELNS1_11target_archE908ELNS1_3gpuE7ELNS1_3repE0EEENS1_30default_config_static_selectorELNS0_4arch9wavefront6targetE0EEEvSY_
		.amdhsa_group_segment_fixed_size 0
		.amdhsa_private_segment_fixed_size 0
		.amdhsa_kernarg_size 144
		.amdhsa_user_sgpr_count 15
		.amdhsa_user_sgpr_dispatch_ptr 0
		.amdhsa_user_sgpr_queue_ptr 0
		.amdhsa_user_sgpr_kernarg_segment_ptr 1
		.amdhsa_user_sgpr_dispatch_id 0
		.amdhsa_user_sgpr_private_segment_size 0
		.amdhsa_wavefront_size32 1
		.amdhsa_uses_dynamic_stack 0
		.amdhsa_enable_private_segment 0
		.amdhsa_system_sgpr_workgroup_id_x 1
		.amdhsa_system_sgpr_workgroup_id_y 0
		.amdhsa_system_sgpr_workgroup_id_z 0
		.amdhsa_system_sgpr_workgroup_info 0
		.amdhsa_system_vgpr_workitem_id 0
		.amdhsa_next_free_vgpr 1
		.amdhsa_next_free_sgpr 1
		.amdhsa_reserve_vcc 0
		.amdhsa_float_round_mode_32 0
		.amdhsa_float_round_mode_16_64 0
		.amdhsa_float_denorm_mode_32 3
		.amdhsa_float_denorm_mode_16_64 3
		.amdhsa_dx10_clamp 1
		.amdhsa_ieee_mode 1
		.amdhsa_fp16_overflow 0
		.amdhsa_workgroup_processor_mode 1
		.amdhsa_memory_ordered 1
		.amdhsa_forward_progress 0
		.amdhsa_shared_vgpr_count 0
		.amdhsa_exception_fp_ieee_invalid_op 0
		.amdhsa_exception_fp_denorm_src 0
		.amdhsa_exception_fp_ieee_div_zero 0
		.amdhsa_exception_fp_ieee_overflow 0
		.amdhsa_exception_fp_ieee_underflow 0
		.amdhsa_exception_fp_ieee_inexact 0
		.amdhsa_exception_int_div_zero 0
	.end_amdhsa_kernel
	.section	.text._ZN7rocprim17ROCPRIM_400000_NS6detail17trampoline_kernelINS0_13select_configILj256ELj13ELNS0_17block_load_methodE3ELS4_3ELS4_3ELNS0_20block_scan_algorithmE0ELj4294967295EEENS1_25partition_config_selectorILNS1_17partition_subalgoE3EjNS0_10empty_typeEbEEZZNS1_14partition_implILS8_3ELb0ES6_jNS0_17counting_iteratorIjlEEPS9_SE_NS0_5tupleIJPjSE_EEENSF_IJSE_SE_EEES9_SG_JZNS1_25segmented_radix_sort_implINS0_14default_configELb0EPKbPbPKlPlN2at6native12_GLOBAL__N_18offset_tEEE10hipError_tPvRmT1_PNSt15iterator_traitsISY_E10value_typeET2_T3_PNSZ_IS14_E10value_typeET4_jRbjT5_S1A_jjP12ihipStream_tbEUljE_EEESV_SW_SX_S14_S18_S1A_T6_T7_T9_mT8_S1C_bDpT10_ENKUlT_T0_E_clISt17integral_constantIbLb0EES1P_EEDaS1K_S1L_EUlS1K_E_NS1_11comp_targetILNS1_3genE3ELNS1_11target_archE908ELNS1_3gpuE7ELNS1_3repE0EEENS1_30default_config_static_selectorELNS0_4arch9wavefront6targetE0EEEvSY_,"axG",@progbits,_ZN7rocprim17ROCPRIM_400000_NS6detail17trampoline_kernelINS0_13select_configILj256ELj13ELNS0_17block_load_methodE3ELS4_3ELS4_3ELNS0_20block_scan_algorithmE0ELj4294967295EEENS1_25partition_config_selectorILNS1_17partition_subalgoE3EjNS0_10empty_typeEbEEZZNS1_14partition_implILS8_3ELb0ES6_jNS0_17counting_iteratorIjlEEPS9_SE_NS0_5tupleIJPjSE_EEENSF_IJSE_SE_EEES9_SG_JZNS1_25segmented_radix_sort_implINS0_14default_configELb0EPKbPbPKlPlN2at6native12_GLOBAL__N_18offset_tEEE10hipError_tPvRmT1_PNSt15iterator_traitsISY_E10value_typeET2_T3_PNSZ_IS14_E10value_typeET4_jRbjT5_S1A_jjP12ihipStream_tbEUljE_EEESV_SW_SX_S14_S18_S1A_T6_T7_T9_mT8_S1C_bDpT10_ENKUlT_T0_E_clISt17integral_constantIbLb0EES1P_EEDaS1K_S1L_EUlS1K_E_NS1_11comp_targetILNS1_3genE3ELNS1_11target_archE908ELNS1_3gpuE7ELNS1_3repE0EEENS1_30default_config_static_selectorELNS0_4arch9wavefront6targetE0EEEvSY_,comdat
.Lfunc_end1606:
	.size	_ZN7rocprim17ROCPRIM_400000_NS6detail17trampoline_kernelINS0_13select_configILj256ELj13ELNS0_17block_load_methodE3ELS4_3ELS4_3ELNS0_20block_scan_algorithmE0ELj4294967295EEENS1_25partition_config_selectorILNS1_17partition_subalgoE3EjNS0_10empty_typeEbEEZZNS1_14partition_implILS8_3ELb0ES6_jNS0_17counting_iteratorIjlEEPS9_SE_NS0_5tupleIJPjSE_EEENSF_IJSE_SE_EEES9_SG_JZNS1_25segmented_radix_sort_implINS0_14default_configELb0EPKbPbPKlPlN2at6native12_GLOBAL__N_18offset_tEEE10hipError_tPvRmT1_PNSt15iterator_traitsISY_E10value_typeET2_T3_PNSZ_IS14_E10value_typeET4_jRbjT5_S1A_jjP12ihipStream_tbEUljE_EEESV_SW_SX_S14_S18_S1A_T6_T7_T9_mT8_S1C_bDpT10_ENKUlT_T0_E_clISt17integral_constantIbLb0EES1P_EEDaS1K_S1L_EUlS1K_E_NS1_11comp_targetILNS1_3genE3ELNS1_11target_archE908ELNS1_3gpuE7ELNS1_3repE0EEENS1_30default_config_static_selectorELNS0_4arch9wavefront6targetE0EEEvSY_, .Lfunc_end1606-_ZN7rocprim17ROCPRIM_400000_NS6detail17trampoline_kernelINS0_13select_configILj256ELj13ELNS0_17block_load_methodE3ELS4_3ELS4_3ELNS0_20block_scan_algorithmE0ELj4294967295EEENS1_25partition_config_selectorILNS1_17partition_subalgoE3EjNS0_10empty_typeEbEEZZNS1_14partition_implILS8_3ELb0ES6_jNS0_17counting_iteratorIjlEEPS9_SE_NS0_5tupleIJPjSE_EEENSF_IJSE_SE_EEES9_SG_JZNS1_25segmented_radix_sort_implINS0_14default_configELb0EPKbPbPKlPlN2at6native12_GLOBAL__N_18offset_tEEE10hipError_tPvRmT1_PNSt15iterator_traitsISY_E10value_typeET2_T3_PNSZ_IS14_E10value_typeET4_jRbjT5_S1A_jjP12ihipStream_tbEUljE_EEESV_SW_SX_S14_S18_S1A_T6_T7_T9_mT8_S1C_bDpT10_ENKUlT_T0_E_clISt17integral_constantIbLb0EES1P_EEDaS1K_S1L_EUlS1K_E_NS1_11comp_targetILNS1_3genE3ELNS1_11target_archE908ELNS1_3gpuE7ELNS1_3repE0EEENS1_30default_config_static_selectorELNS0_4arch9wavefront6targetE0EEEvSY_
                                        ; -- End function
	.section	.AMDGPU.csdata,"",@progbits
; Kernel info:
; codeLenInByte = 0
; NumSgprs: 0
; NumVgprs: 0
; ScratchSize: 0
; MemoryBound: 0
; FloatMode: 240
; IeeeMode: 1
; LDSByteSize: 0 bytes/workgroup (compile time only)
; SGPRBlocks: 0
; VGPRBlocks: 0
; NumSGPRsForWavesPerEU: 1
; NumVGPRsForWavesPerEU: 1
; Occupancy: 16
; WaveLimiterHint : 0
; COMPUTE_PGM_RSRC2:SCRATCH_EN: 0
; COMPUTE_PGM_RSRC2:USER_SGPR: 15
; COMPUTE_PGM_RSRC2:TRAP_HANDLER: 0
; COMPUTE_PGM_RSRC2:TGID_X_EN: 1
; COMPUTE_PGM_RSRC2:TGID_Y_EN: 0
; COMPUTE_PGM_RSRC2:TGID_Z_EN: 0
; COMPUTE_PGM_RSRC2:TIDIG_COMP_CNT: 0
	.section	.text._ZN7rocprim17ROCPRIM_400000_NS6detail17trampoline_kernelINS0_13select_configILj256ELj13ELNS0_17block_load_methodE3ELS4_3ELS4_3ELNS0_20block_scan_algorithmE0ELj4294967295EEENS1_25partition_config_selectorILNS1_17partition_subalgoE3EjNS0_10empty_typeEbEEZZNS1_14partition_implILS8_3ELb0ES6_jNS0_17counting_iteratorIjlEEPS9_SE_NS0_5tupleIJPjSE_EEENSF_IJSE_SE_EEES9_SG_JZNS1_25segmented_radix_sort_implINS0_14default_configELb0EPKbPbPKlPlN2at6native12_GLOBAL__N_18offset_tEEE10hipError_tPvRmT1_PNSt15iterator_traitsISY_E10value_typeET2_T3_PNSZ_IS14_E10value_typeET4_jRbjT5_S1A_jjP12ihipStream_tbEUljE_EEESV_SW_SX_S14_S18_S1A_T6_T7_T9_mT8_S1C_bDpT10_ENKUlT_T0_E_clISt17integral_constantIbLb0EES1P_EEDaS1K_S1L_EUlS1K_E_NS1_11comp_targetILNS1_3genE2ELNS1_11target_archE906ELNS1_3gpuE6ELNS1_3repE0EEENS1_30default_config_static_selectorELNS0_4arch9wavefront6targetE0EEEvSY_,"axG",@progbits,_ZN7rocprim17ROCPRIM_400000_NS6detail17trampoline_kernelINS0_13select_configILj256ELj13ELNS0_17block_load_methodE3ELS4_3ELS4_3ELNS0_20block_scan_algorithmE0ELj4294967295EEENS1_25partition_config_selectorILNS1_17partition_subalgoE3EjNS0_10empty_typeEbEEZZNS1_14partition_implILS8_3ELb0ES6_jNS0_17counting_iteratorIjlEEPS9_SE_NS0_5tupleIJPjSE_EEENSF_IJSE_SE_EEES9_SG_JZNS1_25segmented_radix_sort_implINS0_14default_configELb0EPKbPbPKlPlN2at6native12_GLOBAL__N_18offset_tEEE10hipError_tPvRmT1_PNSt15iterator_traitsISY_E10value_typeET2_T3_PNSZ_IS14_E10value_typeET4_jRbjT5_S1A_jjP12ihipStream_tbEUljE_EEESV_SW_SX_S14_S18_S1A_T6_T7_T9_mT8_S1C_bDpT10_ENKUlT_T0_E_clISt17integral_constantIbLb0EES1P_EEDaS1K_S1L_EUlS1K_E_NS1_11comp_targetILNS1_3genE2ELNS1_11target_archE906ELNS1_3gpuE6ELNS1_3repE0EEENS1_30default_config_static_selectorELNS0_4arch9wavefront6targetE0EEEvSY_,comdat
	.globl	_ZN7rocprim17ROCPRIM_400000_NS6detail17trampoline_kernelINS0_13select_configILj256ELj13ELNS0_17block_load_methodE3ELS4_3ELS4_3ELNS0_20block_scan_algorithmE0ELj4294967295EEENS1_25partition_config_selectorILNS1_17partition_subalgoE3EjNS0_10empty_typeEbEEZZNS1_14partition_implILS8_3ELb0ES6_jNS0_17counting_iteratorIjlEEPS9_SE_NS0_5tupleIJPjSE_EEENSF_IJSE_SE_EEES9_SG_JZNS1_25segmented_radix_sort_implINS0_14default_configELb0EPKbPbPKlPlN2at6native12_GLOBAL__N_18offset_tEEE10hipError_tPvRmT1_PNSt15iterator_traitsISY_E10value_typeET2_T3_PNSZ_IS14_E10value_typeET4_jRbjT5_S1A_jjP12ihipStream_tbEUljE_EEESV_SW_SX_S14_S18_S1A_T6_T7_T9_mT8_S1C_bDpT10_ENKUlT_T0_E_clISt17integral_constantIbLb0EES1P_EEDaS1K_S1L_EUlS1K_E_NS1_11comp_targetILNS1_3genE2ELNS1_11target_archE906ELNS1_3gpuE6ELNS1_3repE0EEENS1_30default_config_static_selectorELNS0_4arch9wavefront6targetE0EEEvSY_ ; -- Begin function _ZN7rocprim17ROCPRIM_400000_NS6detail17trampoline_kernelINS0_13select_configILj256ELj13ELNS0_17block_load_methodE3ELS4_3ELS4_3ELNS0_20block_scan_algorithmE0ELj4294967295EEENS1_25partition_config_selectorILNS1_17partition_subalgoE3EjNS0_10empty_typeEbEEZZNS1_14partition_implILS8_3ELb0ES6_jNS0_17counting_iteratorIjlEEPS9_SE_NS0_5tupleIJPjSE_EEENSF_IJSE_SE_EEES9_SG_JZNS1_25segmented_radix_sort_implINS0_14default_configELb0EPKbPbPKlPlN2at6native12_GLOBAL__N_18offset_tEEE10hipError_tPvRmT1_PNSt15iterator_traitsISY_E10value_typeET2_T3_PNSZ_IS14_E10value_typeET4_jRbjT5_S1A_jjP12ihipStream_tbEUljE_EEESV_SW_SX_S14_S18_S1A_T6_T7_T9_mT8_S1C_bDpT10_ENKUlT_T0_E_clISt17integral_constantIbLb0EES1P_EEDaS1K_S1L_EUlS1K_E_NS1_11comp_targetILNS1_3genE2ELNS1_11target_archE906ELNS1_3gpuE6ELNS1_3repE0EEENS1_30default_config_static_selectorELNS0_4arch9wavefront6targetE0EEEvSY_
	.p2align	8
	.type	_ZN7rocprim17ROCPRIM_400000_NS6detail17trampoline_kernelINS0_13select_configILj256ELj13ELNS0_17block_load_methodE3ELS4_3ELS4_3ELNS0_20block_scan_algorithmE0ELj4294967295EEENS1_25partition_config_selectorILNS1_17partition_subalgoE3EjNS0_10empty_typeEbEEZZNS1_14partition_implILS8_3ELb0ES6_jNS0_17counting_iteratorIjlEEPS9_SE_NS0_5tupleIJPjSE_EEENSF_IJSE_SE_EEES9_SG_JZNS1_25segmented_radix_sort_implINS0_14default_configELb0EPKbPbPKlPlN2at6native12_GLOBAL__N_18offset_tEEE10hipError_tPvRmT1_PNSt15iterator_traitsISY_E10value_typeET2_T3_PNSZ_IS14_E10value_typeET4_jRbjT5_S1A_jjP12ihipStream_tbEUljE_EEESV_SW_SX_S14_S18_S1A_T6_T7_T9_mT8_S1C_bDpT10_ENKUlT_T0_E_clISt17integral_constantIbLb0EES1P_EEDaS1K_S1L_EUlS1K_E_NS1_11comp_targetILNS1_3genE2ELNS1_11target_archE906ELNS1_3gpuE6ELNS1_3repE0EEENS1_30default_config_static_selectorELNS0_4arch9wavefront6targetE0EEEvSY_,@function
_ZN7rocprim17ROCPRIM_400000_NS6detail17trampoline_kernelINS0_13select_configILj256ELj13ELNS0_17block_load_methodE3ELS4_3ELS4_3ELNS0_20block_scan_algorithmE0ELj4294967295EEENS1_25partition_config_selectorILNS1_17partition_subalgoE3EjNS0_10empty_typeEbEEZZNS1_14partition_implILS8_3ELb0ES6_jNS0_17counting_iteratorIjlEEPS9_SE_NS0_5tupleIJPjSE_EEENSF_IJSE_SE_EEES9_SG_JZNS1_25segmented_radix_sort_implINS0_14default_configELb0EPKbPbPKlPlN2at6native12_GLOBAL__N_18offset_tEEE10hipError_tPvRmT1_PNSt15iterator_traitsISY_E10value_typeET2_T3_PNSZ_IS14_E10value_typeET4_jRbjT5_S1A_jjP12ihipStream_tbEUljE_EEESV_SW_SX_S14_S18_S1A_T6_T7_T9_mT8_S1C_bDpT10_ENKUlT_T0_E_clISt17integral_constantIbLb0EES1P_EEDaS1K_S1L_EUlS1K_E_NS1_11comp_targetILNS1_3genE2ELNS1_11target_archE906ELNS1_3gpuE6ELNS1_3repE0EEENS1_30default_config_static_selectorELNS0_4arch9wavefront6targetE0EEEvSY_: ; @_ZN7rocprim17ROCPRIM_400000_NS6detail17trampoline_kernelINS0_13select_configILj256ELj13ELNS0_17block_load_methodE3ELS4_3ELS4_3ELNS0_20block_scan_algorithmE0ELj4294967295EEENS1_25partition_config_selectorILNS1_17partition_subalgoE3EjNS0_10empty_typeEbEEZZNS1_14partition_implILS8_3ELb0ES6_jNS0_17counting_iteratorIjlEEPS9_SE_NS0_5tupleIJPjSE_EEENSF_IJSE_SE_EEES9_SG_JZNS1_25segmented_radix_sort_implINS0_14default_configELb0EPKbPbPKlPlN2at6native12_GLOBAL__N_18offset_tEEE10hipError_tPvRmT1_PNSt15iterator_traitsISY_E10value_typeET2_T3_PNSZ_IS14_E10value_typeET4_jRbjT5_S1A_jjP12ihipStream_tbEUljE_EEESV_SW_SX_S14_S18_S1A_T6_T7_T9_mT8_S1C_bDpT10_ENKUlT_T0_E_clISt17integral_constantIbLb0EES1P_EEDaS1K_S1L_EUlS1K_E_NS1_11comp_targetILNS1_3genE2ELNS1_11target_archE906ELNS1_3gpuE6ELNS1_3repE0EEENS1_30default_config_static_selectorELNS0_4arch9wavefront6targetE0EEEvSY_
; %bb.0:
	.section	.rodata,"a",@progbits
	.p2align	6, 0x0
	.amdhsa_kernel _ZN7rocprim17ROCPRIM_400000_NS6detail17trampoline_kernelINS0_13select_configILj256ELj13ELNS0_17block_load_methodE3ELS4_3ELS4_3ELNS0_20block_scan_algorithmE0ELj4294967295EEENS1_25partition_config_selectorILNS1_17partition_subalgoE3EjNS0_10empty_typeEbEEZZNS1_14partition_implILS8_3ELb0ES6_jNS0_17counting_iteratorIjlEEPS9_SE_NS0_5tupleIJPjSE_EEENSF_IJSE_SE_EEES9_SG_JZNS1_25segmented_radix_sort_implINS0_14default_configELb0EPKbPbPKlPlN2at6native12_GLOBAL__N_18offset_tEEE10hipError_tPvRmT1_PNSt15iterator_traitsISY_E10value_typeET2_T3_PNSZ_IS14_E10value_typeET4_jRbjT5_S1A_jjP12ihipStream_tbEUljE_EEESV_SW_SX_S14_S18_S1A_T6_T7_T9_mT8_S1C_bDpT10_ENKUlT_T0_E_clISt17integral_constantIbLb0EES1P_EEDaS1K_S1L_EUlS1K_E_NS1_11comp_targetILNS1_3genE2ELNS1_11target_archE906ELNS1_3gpuE6ELNS1_3repE0EEENS1_30default_config_static_selectorELNS0_4arch9wavefront6targetE0EEEvSY_
		.amdhsa_group_segment_fixed_size 0
		.amdhsa_private_segment_fixed_size 0
		.amdhsa_kernarg_size 144
		.amdhsa_user_sgpr_count 15
		.amdhsa_user_sgpr_dispatch_ptr 0
		.amdhsa_user_sgpr_queue_ptr 0
		.amdhsa_user_sgpr_kernarg_segment_ptr 1
		.amdhsa_user_sgpr_dispatch_id 0
		.amdhsa_user_sgpr_private_segment_size 0
		.amdhsa_wavefront_size32 1
		.amdhsa_uses_dynamic_stack 0
		.amdhsa_enable_private_segment 0
		.amdhsa_system_sgpr_workgroup_id_x 1
		.amdhsa_system_sgpr_workgroup_id_y 0
		.amdhsa_system_sgpr_workgroup_id_z 0
		.amdhsa_system_sgpr_workgroup_info 0
		.amdhsa_system_vgpr_workitem_id 0
		.amdhsa_next_free_vgpr 1
		.amdhsa_next_free_sgpr 1
		.amdhsa_reserve_vcc 0
		.amdhsa_float_round_mode_32 0
		.amdhsa_float_round_mode_16_64 0
		.amdhsa_float_denorm_mode_32 3
		.amdhsa_float_denorm_mode_16_64 3
		.amdhsa_dx10_clamp 1
		.amdhsa_ieee_mode 1
		.amdhsa_fp16_overflow 0
		.amdhsa_workgroup_processor_mode 1
		.amdhsa_memory_ordered 1
		.amdhsa_forward_progress 0
		.amdhsa_shared_vgpr_count 0
		.amdhsa_exception_fp_ieee_invalid_op 0
		.amdhsa_exception_fp_denorm_src 0
		.amdhsa_exception_fp_ieee_div_zero 0
		.amdhsa_exception_fp_ieee_overflow 0
		.amdhsa_exception_fp_ieee_underflow 0
		.amdhsa_exception_fp_ieee_inexact 0
		.amdhsa_exception_int_div_zero 0
	.end_amdhsa_kernel
	.section	.text._ZN7rocprim17ROCPRIM_400000_NS6detail17trampoline_kernelINS0_13select_configILj256ELj13ELNS0_17block_load_methodE3ELS4_3ELS4_3ELNS0_20block_scan_algorithmE0ELj4294967295EEENS1_25partition_config_selectorILNS1_17partition_subalgoE3EjNS0_10empty_typeEbEEZZNS1_14partition_implILS8_3ELb0ES6_jNS0_17counting_iteratorIjlEEPS9_SE_NS0_5tupleIJPjSE_EEENSF_IJSE_SE_EEES9_SG_JZNS1_25segmented_radix_sort_implINS0_14default_configELb0EPKbPbPKlPlN2at6native12_GLOBAL__N_18offset_tEEE10hipError_tPvRmT1_PNSt15iterator_traitsISY_E10value_typeET2_T3_PNSZ_IS14_E10value_typeET4_jRbjT5_S1A_jjP12ihipStream_tbEUljE_EEESV_SW_SX_S14_S18_S1A_T6_T7_T9_mT8_S1C_bDpT10_ENKUlT_T0_E_clISt17integral_constantIbLb0EES1P_EEDaS1K_S1L_EUlS1K_E_NS1_11comp_targetILNS1_3genE2ELNS1_11target_archE906ELNS1_3gpuE6ELNS1_3repE0EEENS1_30default_config_static_selectorELNS0_4arch9wavefront6targetE0EEEvSY_,"axG",@progbits,_ZN7rocprim17ROCPRIM_400000_NS6detail17trampoline_kernelINS0_13select_configILj256ELj13ELNS0_17block_load_methodE3ELS4_3ELS4_3ELNS0_20block_scan_algorithmE0ELj4294967295EEENS1_25partition_config_selectorILNS1_17partition_subalgoE3EjNS0_10empty_typeEbEEZZNS1_14partition_implILS8_3ELb0ES6_jNS0_17counting_iteratorIjlEEPS9_SE_NS0_5tupleIJPjSE_EEENSF_IJSE_SE_EEES9_SG_JZNS1_25segmented_radix_sort_implINS0_14default_configELb0EPKbPbPKlPlN2at6native12_GLOBAL__N_18offset_tEEE10hipError_tPvRmT1_PNSt15iterator_traitsISY_E10value_typeET2_T3_PNSZ_IS14_E10value_typeET4_jRbjT5_S1A_jjP12ihipStream_tbEUljE_EEESV_SW_SX_S14_S18_S1A_T6_T7_T9_mT8_S1C_bDpT10_ENKUlT_T0_E_clISt17integral_constantIbLb0EES1P_EEDaS1K_S1L_EUlS1K_E_NS1_11comp_targetILNS1_3genE2ELNS1_11target_archE906ELNS1_3gpuE6ELNS1_3repE0EEENS1_30default_config_static_selectorELNS0_4arch9wavefront6targetE0EEEvSY_,comdat
.Lfunc_end1607:
	.size	_ZN7rocprim17ROCPRIM_400000_NS6detail17trampoline_kernelINS0_13select_configILj256ELj13ELNS0_17block_load_methodE3ELS4_3ELS4_3ELNS0_20block_scan_algorithmE0ELj4294967295EEENS1_25partition_config_selectorILNS1_17partition_subalgoE3EjNS0_10empty_typeEbEEZZNS1_14partition_implILS8_3ELb0ES6_jNS0_17counting_iteratorIjlEEPS9_SE_NS0_5tupleIJPjSE_EEENSF_IJSE_SE_EEES9_SG_JZNS1_25segmented_radix_sort_implINS0_14default_configELb0EPKbPbPKlPlN2at6native12_GLOBAL__N_18offset_tEEE10hipError_tPvRmT1_PNSt15iterator_traitsISY_E10value_typeET2_T3_PNSZ_IS14_E10value_typeET4_jRbjT5_S1A_jjP12ihipStream_tbEUljE_EEESV_SW_SX_S14_S18_S1A_T6_T7_T9_mT8_S1C_bDpT10_ENKUlT_T0_E_clISt17integral_constantIbLb0EES1P_EEDaS1K_S1L_EUlS1K_E_NS1_11comp_targetILNS1_3genE2ELNS1_11target_archE906ELNS1_3gpuE6ELNS1_3repE0EEENS1_30default_config_static_selectorELNS0_4arch9wavefront6targetE0EEEvSY_, .Lfunc_end1607-_ZN7rocprim17ROCPRIM_400000_NS6detail17trampoline_kernelINS0_13select_configILj256ELj13ELNS0_17block_load_methodE3ELS4_3ELS4_3ELNS0_20block_scan_algorithmE0ELj4294967295EEENS1_25partition_config_selectorILNS1_17partition_subalgoE3EjNS0_10empty_typeEbEEZZNS1_14partition_implILS8_3ELb0ES6_jNS0_17counting_iteratorIjlEEPS9_SE_NS0_5tupleIJPjSE_EEENSF_IJSE_SE_EEES9_SG_JZNS1_25segmented_radix_sort_implINS0_14default_configELb0EPKbPbPKlPlN2at6native12_GLOBAL__N_18offset_tEEE10hipError_tPvRmT1_PNSt15iterator_traitsISY_E10value_typeET2_T3_PNSZ_IS14_E10value_typeET4_jRbjT5_S1A_jjP12ihipStream_tbEUljE_EEESV_SW_SX_S14_S18_S1A_T6_T7_T9_mT8_S1C_bDpT10_ENKUlT_T0_E_clISt17integral_constantIbLb0EES1P_EEDaS1K_S1L_EUlS1K_E_NS1_11comp_targetILNS1_3genE2ELNS1_11target_archE906ELNS1_3gpuE6ELNS1_3repE0EEENS1_30default_config_static_selectorELNS0_4arch9wavefront6targetE0EEEvSY_
                                        ; -- End function
	.section	.AMDGPU.csdata,"",@progbits
; Kernel info:
; codeLenInByte = 0
; NumSgprs: 0
; NumVgprs: 0
; ScratchSize: 0
; MemoryBound: 0
; FloatMode: 240
; IeeeMode: 1
; LDSByteSize: 0 bytes/workgroup (compile time only)
; SGPRBlocks: 0
; VGPRBlocks: 0
; NumSGPRsForWavesPerEU: 1
; NumVGPRsForWavesPerEU: 1
; Occupancy: 16
; WaveLimiterHint : 0
; COMPUTE_PGM_RSRC2:SCRATCH_EN: 0
; COMPUTE_PGM_RSRC2:USER_SGPR: 15
; COMPUTE_PGM_RSRC2:TRAP_HANDLER: 0
; COMPUTE_PGM_RSRC2:TGID_X_EN: 1
; COMPUTE_PGM_RSRC2:TGID_Y_EN: 0
; COMPUTE_PGM_RSRC2:TGID_Z_EN: 0
; COMPUTE_PGM_RSRC2:TIDIG_COMP_CNT: 0
	.section	.text._ZN7rocprim17ROCPRIM_400000_NS6detail17trampoline_kernelINS0_13select_configILj256ELj13ELNS0_17block_load_methodE3ELS4_3ELS4_3ELNS0_20block_scan_algorithmE0ELj4294967295EEENS1_25partition_config_selectorILNS1_17partition_subalgoE3EjNS0_10empty_typeEbEEZZNS1_14partition_implILS8_3ELb0ES6_jNS0_17counting_iteratorIjlEEPS9_SE_NS0_5tupleIJPjSE_EEENSF_IJSE_SE_EEES9_SG_JZNS1_25segmented_radix_sort_implINS0_14default_configELb0EPKbPbPKlPlN2at6native12_GLOBAL__N_18offset_tEEE10hipError_tPvRmT1_PNSt15iterator_traitsISY_E10value_typeET2_T3_PNSZ_IS14_E10value_typeET4_jRbjT5_S1A_jjP12ihipStream_tbEUljE_EEESV_SW_SX_S14_S18_S1A_T6_T7_T9_mT8_S1C_bDpT10_ENKUlT_T0_E_clISt17integral_constantIbLb0EES1P_EEDaS1K_S1L_EUlS1K_E_NS1_11comp_targetILNS1_3genE10ELNS1_11target_archE1200ELNS1_3gpuE4ELNS1_3repE0EEENS1_30default_config_static_selectorELNS0_4arch9wavefront6targetE0EEEvSY_,"axG",@progbits,_ZN7rocprim17ROCPRIM_400000_NS6detail17trampoline_kernelINS0_13select_configILj256ELj13ELNS0_17block_load_methodE3ELS4_3ELS4_3ELNS0_20block_scan_algorithmE0ELj4294967295EEENS1_25partition_config_selectorILNS1_17partition_subalgoE3EjNS0_10empty_typeEbEEZZNS1_14partition_implILS8_3ELb0ES6_jNS0_17counting_iteratorIjlEEPS9_SE_NS0_5tupleIJPjSE_EEENSF_IJSE_SE_EEES9_SG_JZNS1_25segmented_radix_sort_implINS0_14default_configELb0EPKbPbPKlPlN2at6native12_GLOBAL__N_18offset_tEEE10hipError_tPvRmT1_PNSt15iterator_traitsISY_E10value_typeET2_T3_PNSZ_IS14_E10value_typeET4_jRbjT5_S1A_jjP12ihipStream_tbEUljE_EEESV_SW_SX_S14_S18_S1A_T6_T7_T9_mT8_S1C_bDpT10_ENKUlT_T0_E_clISt17integral_constantIbLb0EES1P_EEDaS1K_S1L_EUlS1K_E_NS1_11comp_targetILNS1_3genE10ELNS1_11target_archE1200ELNS1_3gpuE4ELNS1_3repE0EEENS1_30default_config_static_selectorELNS0_4arch9wavefront6targetE0EEEvSY_,comdat
	.globl	_ZN7rocprim17ROCPRIM_400000_NS6detail17trampoline_kernelINS0_13select_configILj256ELj13ELNS0_17block_load_methodE3ELS4_3ELS4_3ELNS0_20block_scan_algorithmE0ELj4294967295EEENS1_25partition_config_selectorILNS1_17partition_subalgoE3EjNS0_10empty_typeEbEEZZNS1_14partition_implILS8_3ELb0ES6_jNS0_17counting_iteratorIjlEEPS9_SE_NS0_5tupleIJPjSE_EEENSF_IJSE_SE_EEES9_SG_JZNS1_25segmented_radix_sort_implINS0_14default_configELb0EPKbPbPKlPlN2at6native12_GLOBAL__N_18offset_tEEE10hipError_tPvRmT1_PNSt15iterator_traitsISY_E10value_typeET2_T3_PNSZ_IS14_E10value_typeET4_jRbjT5_S1A_jjP12ihipStream_tbEUljE_EEESV_SW_SX_S14_S18_S1A_T6_T7_T9_mT8_S1C_bDpT10_ENKUlT_T0_E_clISt17integral_constantIbLb0EES1P_EEDaS1K_S1L_EUlS1K_E_NS1_11comp_targetILNS1_3genE10ELNS1_11target_archE1200ELNS1_3gpuE4ELNS1_3repE0EEENS1_30default_config_static_selectorELNS0_4arch9wavefront6targetE0EEEvSY_ ; -- Begin function _ZN7rocprim17ROCPRIM_400000_NS6detail17trampoline_kernelINS0_13select_configILj256ELj13ELNS0_17block_load_methodE3ELS4_3ELS4_3ELNS0_20block_scan_algorithmE0ELj4294967295EEENS1_25partition_config_selectorILNS1_17partition_subalgoE3EjNS0_10empty_typeEbEEZZNS1_14partition_implILS8_3ELb0ES6_jNS0_17counting_iteratorIjlEEPS9_SE_NS0_5tupleIJPjSE_EEENSF_IJSE_SE_EEES9_SG_JZNS1_25segmented_radix_sort_implINS0_14default_configELb0EPKbPbPKlPlN2at6native12_GLOBAL__N_18offset_tEEE10hipError_tPvRmT1_PNSt15iterator_traitsISY_E10value_typeET2_T3_PNSZ_IS14_E10value_typeET4_jRbjT5_S1A_jjP12ihipStream_tbEUljE_EEESV_SW_SX_S14_S18_S1A_T6_T7_T9_mT8_S1C_bDpT10_ENKUlT_T0_E_clISt17integral_constantIbLb0EES1P_EEDaS1K_S1L_EUlS1K_E_NS1_11comp_targetILNS1_3genE10ELNS1_11target_archE1200ELNS1_3gpuE4ELNS1_3repE0EEENS1_30default_config_static_selectorELNS0_4arch9wavefront6targetE0EEEvSY_
	.p2align	8
	.type	_ZN7rocprim17ROCPRIM_400000_NS6detail17trampoline_kernelINS0_13select_configILj256ELj13ELNS0_17block_load_methodE3ELS4_3ELS4_3ELNS0_20block_scan_algorithmE0ELj4294967295EEENS1_25partition_config_selectorILNS1_17partition_subalgoE3EjNS0_10empty_typeEbEEZZNS1_14partition_implILS8_3ELb0ES6_jNS0_17counting_iteratorIjlEEPS9_SE_NS0_5tupleIJPjSE_EEENSF_IJSE_SE_EEES9_SG_JZNS1_25segmented_radix_sort_implINS0_14default_configELb0EPKbPbPKlPlN2at6native12_GLOBAL__N_18offset_tEEE10hipError_tPvRmT1_PNSt15iterator_traitsISY_E10value_typeET2_T3_PNSZ_IS14_E10value_typeET4_jRbjT5_S1A_jjP12ihipStream_tbEUljE_EEESV_SW_SX_S14_S18_S1A_T6_T7_T9_mT8_S1C_bDpT10_ENKUlT_T0_E_clISt17integral_constantIbLb0EES1P_EEDaS1K_S1L_EUlS1K_E_NS1_11comp_targetILNS1_3genE10ELNS1_11target_archE1200ELNS1_3gpuE4ELNS1_3repE0EEENS1_30default_config_static_selectorELNS0_4arch9wavefront6targetE0EEEvSY_,@function
_ZN7rocprim17ROCPRIM_400000_NS6detail17trampoline_kernelINS0_13select_configILj256ELj13ELNS0_17block_load_methodE3ELS4_3ELS4_3ELNS0_20block_scan_algorithmE0ELj4294967295EEENS1_25partition_config_selectorILNS1_17partition_subalgoE3EjNS0_10empty_typeEbEEZZNS1_14partition_implILS8_3ELb0ES6_jNS0_17counting_iteratorIjlEEPS9_SE_NS0_5tupleIJPjSE_EEENSF_IJSE_SE_EEES9_SG_JZNS1_25segmented_radix_sort_implINS0_14default_configELb0EPKbPbPKlPlN2at6native12_GLOBAL__N_18offset_tEEE10hipError_tPvRmT1_PNSt15iterator_traitsISY_E10value_typeET2_T3_PNSZ_IS14_E10value_typeET4_jRbjT5_S1A_jjP12ihipStream_tbEUljE_EEESV_SW_SX_S14_S18_S1A_T6_T7_T9_mT8_S1C_bDpT10_ENKUlT_T0_E_clISt17integral_constantIbLb0EES1P_EEDaS1K_S1L_EUlS1K_E_NS1_11comp_targetILNS1_3genE10ELNS1_11target_archE1200ELNS1_3gpuE4ELNS1_3repE0EEENS1_30default_config_static_selectorELNS0_4arch9wavefront6targetE0EEEvSY_: ; @_ZN7rocprim17ROCPRIM_400000_NS6detail17trampoline_kernelINS0_13select_configILj256ELj13ELNS0_17block_load_methodE3ELS4_3ELS4_3ELNS0_20block_scan_algorithmE0ELj4294967295EEENS1_25partition_config_selectorILNS1_17partition_subalgoE3EjNS0_10empty_typeEbEEZZNS1_14partition_implILS8_3ELb0ES6_jNS0_17counting_iteratorIjlEEPS9_SE_NS0_5tupleIJPjSE_EEENSF_IJSE_SE_EEES9_SG_JZNS1_25segmented_radix_sort_implINS0_14default_configELb0EPKbPbPKlPlN2at6native12_GLOBAL__N_18offset_tEEE10hipError_tPvRmT1_PNSt15iterator_traitsISY_E10value_typeET2_T3_PNSZ_IS14_E10value_typeET4_jRbjT5_S1A_jjP12ihipStream_tbEUljE_EEESV_SW_SX_S14_S18_S1A_T6_T7_T9_mT8_S1C_bDpT10_ENKUlT_T0_E_clISt17integral_constantIbLb0EES1P_EEDaS1K_S1L_EUlS1K_E_NS1_11comp_targetILNS1_3genE10ELNS1_11target_archE1200ELNS1_3gpuE4ELNS1_3repE0EEENS1_30default_config_static_selectorELNS0_4arch9wavefront6targetE0EEEvSY_
; %bb.0:
	.section	.rodata,"a",@progbits
	.p2align	6, 0x0
	.amdhsa_kernel _ZN7rocprim17ROCPRIM_400000_NS6detail17trampoline_kernelINS0_13select_configILj256ELj13ELNS0_17block_load_methodE3ELS4_3ELS4_3ELNS0_20block_scan_algorithmE0ELj4294967295EEENS1_25partition_config_selectorILNS1_17partition_subalgoE3EjNS0_10empty_typeEbEEZZNS1_14partition_implILS8_3ELb0ES6_jNS0_17counting_iteratorIjlEEPS9_SE_NS0_5tupleIJPjSE_EEENSF_IJSE_SE_EEES9_SG_JZNS1_25segmented_radix_sort_implINS0_14default_configELb0EPKbPbPKlPlN2at6native12_GLOBAL__N_18offset_tEEE10hipError_tPvRmT1_PNSt15iterator_traitsISY_E10value_typeET2_T3_PNSZ_IS14_E10value_typeET4_jRbjT5_S1A_jjP12ihipStream_tbEUljE_EEESV_SW_SX_S14_S18_S1A_T6_T7_T9_mT8_S1C_bDpT10_ENKUlT_T0_E_clISt17integral_constantIbLb0EES1P_EEDaS1K_S1L_EUlS1K_E_NS1_11comp_targetILNS1_3genE10ELNS1_11target_archE1200ELNS1_3gpuE4ELNS1_3repE0EEENS1_30default_config_static_selectorELNS0_4arch9wavefront6targetE0EEEvSY_
		.amdhsa_group_segment_fixed_size 0
		.amdhsa_private_segment_fixed_size 0
		.amdhsa_kernarg_size 144
		.amdhsa_user_sgpr_count 15
		.amdhsa_user_sgpr_dispatch_ptr 0
		.amdhsa_user_sgpr_queue_ptr 0
		.amdhsa_user_sgpr_kernarg_segment_ptr 1
		.amdhsa_user_sgpr_dispatch_id 0
		.amdhsa_user_sgpr_private_segment_size 0
		.amdhsa_wavefront_size32 1
		.amdhsa_uses_dynamic_stack 0
		.amdhsa_enable_private_segment 0
		.amdhsa_system_sgpr_workgroup_id_x 1
		.amdhsa_system_sgpr_workgroup_id_y 0
		.amdhsa_system_sgpr_workgroup_id_z 0
		.amdhsa_system_sgpr_workgroup_info 0
		.amdhsa_system_vgpr_workitem_id 0
		.amdhsa_next_free_vgpr 1
		.amdhsa_next_free_sgpr 1
		.amdhsa_reserve_vcc 0
		.amdhsa_float_round_mode_32 0
		.amdhsa_float_round_mode_16_64 0
		.amdhsa_float_denorm_mode_32 3
		.amdhsa_float_denorm_mode_16_64 3
		.amdhsa_dx10_clamp 1
		.amdhsa_ieee_mode 1
		.amdhsa_fp16_overflow 0
		.amdhsa_workgroup_processor_mode 1
		.amdhsa_memory_ordered 1
		.amdhsa_forward_progress 0
		.amdhsa_shared_vgpr_count 0
		.amdhsa_exception_fp_ieee_invalid_op 0
		.amdhsa_exception_fp_denorm_src 0
		.amdhsa_exception_fp_ieee_div_zero 0
		.amdhsa_exception_fp_ieee_overflow 0
		.amdhsa_exception_fp_ieee_underflow 0
		.amdhsa_exception_fp_ieee_inexact 0
		.amdhsa_exception_int_div_zero 0
	.end_amdhsa_kernel
	.section	.text._ZN7rocprim17ROCPRIM_400000_NS6detail17trampoline_kernelINS0_13select_configILj256ELj13ELNS0_17block_load_methodE3ELS4_3ELS4_3ELNS0_20block_scan_algorithmE0ELj4294967295EEENS1_25partition_config_selectorILNS1_17partition_subalgoE3EjNS0_10empty_typeEbEEZZNS1_14partition_implILS8_3ELb0ES6_jNS0_17counting_iteratorIjlEEPS9_SE_NS0_5tupleIJPjSE_EEENSF_IJSE_SE_EEES9_SG_JZNS1_25segmented_radix_sort_implINS0_14default_configELb0EPKbPbPKlPlN2at6native12_GLOBAL__N_18offset_tEEE10hipError_tPvRmT1_PNSt15iterator_traitsISY_E10value_typeET2_T3_PNSZ_IS14_E10value_typeET4_jRbjT5_S1A_jjP12ihipStream_tbEUljE_EEESV_SW_SX_S14_S18_S1A_T6_T7_T9_mT8_S1C_bDpT10_ENKUlT_T0_E_clISt17integral_constantIbLb0EES1P_EEDaS1K_S1L_EUlS1K_E_NS1_11comp_targetILNS1_3genE10ELNS1_11target_archE1200ELNS1_3gpuE4ELNS1_3repE0EEENS1_30default_config_static_selectorELNS0_4arch9wavefront6targetE0EEEvSY_,"axG",@progbits,_ZN7rocprim17ROCPRIM_400000_NS6detail17trampoline_kernelINS0_13select_configILj256ELj13ELNS0_17block_load_methodE3ELS4_3ELS4_3ELNS0_20block_scan_algorithmE0ELj4294967295EEENS1_25partition_config_selectorILNS1_17partition_subalgoE3EjNS0_10empty_typeEbEEZZNS1_14partition_implILS8_3ELb0ES6_jNS0_17counting_iteratorIjlEEPS9_SE_NS0_5tupleIJPjSE_EEENSF_IJSE_SE_EEES9_SG_JZNS1_25segmented_radix_sort_implINS0_14default_configELb0EPKbPbPKlPlN2at6native12_GLOBAL__N_18offset_tEEE10hipError_tPvRmT1_PNSt15iterator_traitsISY_E10value_typeET2_T3_PNSZ_IS14_E10value_typeET4_jRbjT5_S1A_jjP12ihipStream_tbEUljE_EEESV_SW_SX_S14_S18_S1A_T6_T7_T9_mT8_S1C_bDpT10_ENKUlT_T0_E_clISt17integral_constantIbLb0EES1P_EEDaS1K_S1L_EUlS1K_E_NS1_11comp_targetILNS1_3genE10ELNS1_11target_archE1200ELNS1_3gpuE4ELNS1_3repE0EEENS1_30default_config_static_selectorELNS0_4arch9wavefront6targetE0EEEvSY_,comdat
.Lfunc_end1608:
	.size	_ZN7rocprim17ROCPRIM_400000_NS6detail17trampoline_kernelINS0_13select_configILj256ELj13ELNS0_17block_load_methodE3ELS4_3ELS4_3ELNS0_20block_scan_algorithmE0ELj4294967295EEENS1_25partition_config_selectorILNS1_17partition_subalgoE3EjNS0_10empty_typeEbEEZZNS1_14partition_implILS8_3ELb0ES6_jNS0_17counting_iteratorIjlEEPS9_SE_NS0_5tupleIJPjSE_EEENSF_IJSE_SE_EEES9_SG_JZNS1_25segmented_radix_sort_implINS0_14default_configELb0EPKbPbPKlPlN2at6native12_GLOBAL__N_18offset_tEEE10hipError_tPvRmT1_PNSt15iterator_traitsISY_E10value_typeET2_T3_PNSZ_IS14_E10value_typeET4_jRbjT5_S1A_jjP12ihipStream_tbEUljE_EEESV_SW_SX_S14_S18_S1A_T6_T7_T9_mT8_S1C_bDpT10_ENKUlT_T0_E_clISt17integral_constantIbLb0EES1P_EEDaS1K_S1L_EUlS1K_E_NS1_11comp_targetILNS1_3genE10ELNS1_11target_archE1200ELNS1_3gpuE4ELNS1_3repE0EEENS1_30default_config_static_selectorELNS0_4arch9wavefront6targetE0EEEvSY_, .Lfunc_end1608-_ZN7rocprim17ROCPRIM_400000_NS6detail17trampoline_kernelINS0_13select_configILj256ELj13ELNS0_17block_load_methodE3ELS4_3ELS4_3ELNS0_20block_scan_algorithmE0ELj4294967295EEENS1_25partition_config_selectorILNS1_17partition_subalgoE3EjNS0_10empty_typeEbEEZZNS1_14partition_implILS8_3ELb0ES6_jNS0_17counting_iteratorIjlEEPS9_SE_NS0_5tupleIJPjSE_EEENSF_IJSE_SE_EEES9_SG_JZNS1_25segmented_radix_sort_implINS0_14default_configELb0EPKbPbPKlPlN2at6native12_GLOBAL__N_18offset_tEEE10hipError_tPvRmT1_PNSt15iterator_traitsISY_E10value_typeET2_T3_PNSZ_IS14_E10value_typeET4_jRbjT5_S1A_jjP12ihipStream_tbEUljE_EEESV_SW_SX_S14_S18_S1A_T6_T7_T9_mT8_S1C_bDpT10_ENKUlT_T0_E_clISt17integral_constantIbLb0EES1P_EEDaS1K_S1L_EUlS1K_E_NS1_11comp_targetILNS1_3genE10ELNS1_11target_archE1200ELNS1_3gpuE4ELNS1_3repE0EEENS1_30default_config_static_selectorELNS0_4arch9wavefront6targetE0EEEvSY_
                                        ; -- End function
	.section	.AMDGPU.csdata,"",@progbits
; Kernel info:
; codeLenInByte = 0
; NumSgprs: 0
; NumVgprs: 0
; ScratchSize: 0
; MemoryBound: 0
; FloatMode: 240
; IeeeMode: 1
; LDSByteSize: 0 bytes/workgroup (compile time only)
; SGPRBlocks: 0
; VGPRBlocks: 0
; NumSGPRsForWavesPerEU: 1
; NumVGPRsForWavesPerEU: 1
; Occupancy: 16
; WaveLimiterHint : 0
; COMPUTE_PGM_RSRC2:SCRATCH_EN: 0
; COMPUTE_PGM_RSRC2:USER_SGPR: 15
; COMPUTE_PGM_RSRC2:TRAP_HANDLER: 0
; COMPUTE_PGM_RSRC2:TGID_X_EN: 1
; COMPUTE_PGM_RSRC2:TGID_Y_EN: 0
; COMPUTE_PGM_RSRC2:TGID_Z_EN: 0
; COMPUTE_PGM_RSRC2:TIDIG_COMP_CNT: 0
	.section	.text._ZN7rocprim17ROCPRIM_400000_NS6detail17trampoline_kernelINS0_13select_configILj256ELj13ELNS0_17block_load_methodE3ELS4_3ELS4_3ELNS0_20block_scan_algorithmE0ELj4294967295EEENS1_25partition_config_selectorILNS1_17partition_subalgoE3EjNS0_10empty_typeEbEEZZNS1_14partition_implILS8_3ELb0ES6_jNS0_17counting_iteratorIjlEEPS9_SE_NS0_5tupleIJPjSE_EEENSF_IJSE_SE_EEES9_SG_JZNS1_25segmented_radix_sort_implINS0_14default_configELb0EPKbPbPKlPlN2at6native12_GLOBAL__N_18offset_tEEE10hipError_tPvRmT1_PNSt15iterator_traitsISY_E10value_typeET2_T3_PNSZ_IS14_E10value_typeET4_jRbjT5_S1A_jjP12ihipStream_tbEUljE_EEESV_SW_SX_S14_S18_S1A_T6_T7_T9_mT8_S1C_bDpT10_ENKUlT_T0_E_clISt17integral_constantIbLb0EES1P_EEDaS1K_S1L_EUlS1K_E_NS1_11comp_targetILNS1_3genE9ELNS1_11target_archE1100ELNS1_3gpuE3ELNS1_3repE0EEENS1_30default_config_static_selectorELNS0_4arch9wavefront6targetE0EEEvSY_,"axG",@progbits,_ZN7rocprim17ROCPRIM_400000_NS6detail17trampoline_kernelINS0_13select_configILj256ELj13ELNS0_17block_load_methodE3ELS4_3ELS4_3ELNS0_20block_scan_algorithmE0ELj4294967295EEENS1_25partition_config_selectorILNS1_17partition_subalgoE3EjNS0_10empty_typeEbEEZZNS1_14partition_implILS8_3ELb0ES6_jNS0_17counting_iteratorIjlEEPS9_SE_NS0_5tupleIJPjSE_EEENSF_IJSE_SE_EEES9_SG_JZNS1_25segmented_radix_sort_implINS0_14default_configELb0EPKbPbPKlPlN2at6native12_GLOBAL__N_18offset_tEEE10hipError_tPvRmT1_PNSt15iterator_traitsISY_E10value_typeET2_T3_PNSZ_IS14_E10value_typeET4_jRbjT5_S1A_jjP12ihipStream_tbEUljE_EEESV_SW_SX_S14_S18_S1A_T6_T7_T9_mT8_S1C_bDpT10_ENKUlT_T0_E_clISt17integral_constantIbLb0EES1P_EEDaS1K_S1L_EUlS1K_E_NS1_11comp_targetILNS1_3genE9ELNS1_11target_archE1100ELNS1_3gpuE3ELNS1_3repE0EEENS1_30default_config_static_selectorELNS0_4arch9wavefront6targetE0EEEvSY_,comdat
	.globl	_ZN7rocprim17ROCPRIM_400000_NS6detail17trampoline_kernelINS0_13select_configILj256ELj13ELNS0_17block_load_methodE3ELS4_3ELS4_3ELNS0_20block_scan_algorithmE0ELj4294967295EEENS1_25partition_config_selectorILNS1_17partition_subalgoE3EjNS0_10empty_typeEbEEZZNS1_14partition_implILS8_3ELb0ES6_jNS0_17counting_iteratorIjlEEPS9_SE_NS0_5tupleIJPjSE_EEENSF_IJSE_SE_EEES9_SG_JZNS1_25segmented_radix_sort_implINS0_14default_configELb0EPKbPbPKlPlN2at6native12_GLOBAL__N_18offset_tEEE10hipError_tPvRmT1_PNSt15iterator_traitsISY_E10value_typeET2_T3_PNSZ_IS14_E10value_typeET4_jRbjT5_S1A_jjP12ihipStream_tbEUljE_EEESV_SW_SX_S14_S18_S1A_T6_T7_T9_mT8_S1C_bDpT10_ENKUlT_T0_E_clISt17integral_constantIbLb0EES1P_EEDaS1K_S1L_EUlS1K_E_NS1_11comp_targetILNS1_3genE9ELNS1_11target_archE1100ELNS1_3gpuE3ELNS1_3repE0EEENS1_30default_config_static_selectorELNS0_4arch9wavefront6targetE0EEEvSY_ ; -- Begin function _ZN7rocprim17ROCPRIM_400000_NS6detail17trampoline_kernelINS0_13select_configILj256ELj13ELNS0_17block_load_methodE3ELS4_3ELS4_3ELNS0_20block_scan_algorithmE0ELj4294967295EEENS1_25partition_config_selectorILNS1_17partition_subalgoE3EjNS0_10empty_typeEbEEZZNS1_14partition_implILS8_3ELb0ES6_jNS0_17counting_iteratorIjlEEPS9_SE_NS0_5tupleIJPjSE_EEENSF_IJSE_SE_EEES9_SG_JZNS1_25segmented_radix_sort_implINS0_14default_configELb0EPKbPbPKlPlN2at6native12_GLOBAL__N_18offset_tEEE10hipError_tPvRmT1_PNSt15iterator_traitsISY_E10value_typeET2_T3_PNSZ_IS14_E10value_typeET4_jRbjT5_S1A_jjP12ihipStream_tbEUljE_EEESV_SW_SX_S14_S18_S1A_T6_T7_T9_mT8_S1C_bDpT10_ENKUlT_T0_E_clISt17integral_constantIbLb0EES1P_EEDaS1K_S1L_EUlS1K_E_NS1_11comp_targetILNS1_3genE9ELNS1_11target_archE1100ELNS1_3gpuE3ELNS1_3repE0EEENS1_30default_config_static_selectorELNS0_4arch9wavefront6targetE0EEEvSY_
	.p2align	8
	.type	_ZN7rocprim17ROCPRIM_400000_NS6detail17trampoline_kernelINS0_13select_configILj256ELj13ELNS0_17block_load_methodE3ELS4_3ELS4_3ELNS0_20block_scan_algorithmE0ELj4294967295EEENS1_25partition_config_selectorILNS1_17partition_subalgoE3EjNS0_10empty_typeEbEEZZNS1_14partition_implILS8_3ELb0ES6_jNS0_17counting_iteratorIjlEEPS9_SE_NS0_5tupleIJPjSE_EEENSF_IJSE_SE_EEES9_SG_JZNS1_25segmented_radix_sort_implINS0_14default_configELb0EPKbPbPKlPlN2at6native12_GLOBAL__N_18offset_tEEE10hipError_tPvRmT1_PNSt15iterator_traitsISY_E10value_typeET2_T3_PNSZ_IS14_E10value_typeET4_jRbjT5_S1A_jjP12ihipStream_tbEUljE_EEESV_SW_SX_S14_S18_S1A_T6_T7_T9_mT8_S1C_bDpT10_ENKUlT_T0_E_clISt17integral_constantIbLb0EES1P_EEDaS1K_S1L_EUlS1K_E_NS1_11comp_targetILNS1_3genE9ELNS1_11target_archE1100ELNS1_3gpuE3ELNS1_3repE0EEENS1_30default_config_static_selectorELNS0_4arch9wavefront6targetE0EEEvSY_,@function
_ZN7rocprim17ROCPRIM_400000_NS6detail17trampoline_kernelINS0_13select_configILj256ELj13ELNS0_17block_load_methodE3ELS4_3ELS4_3ELNS0_20block_scan_algorithmE0ELj4294967295EEENS1_25partition_config_selectorILNS1_17partition_subalgoE3EjNS0_10empty_typeEbEEZZNS1_14partition_implILS8_3ELb0ES6_jNS0_17counting_iteratorIjlEEPS9_SE_NS0_5tupleIJPjSE_EEENSF_IJSE_SE_EEES9_SG_JZNS1_25segmented_radix_sort_implINS0_14default_configELb0EPKbPbPKlPlN2at6native12_GLOBAL__N_18offset_tEEE10hipError_tPvRmT1_PNSt15iterator_traitsISY_E10value_typeET2_T3_PNSZ_IS14_E10value_typeET4_jRbjT5_S1A_jjP12ihipStream_tbEUljE_EEESV_SW_SX_S14_S18_S1A_T6_T7_T9_mT8_S1C_bDpT10_ENKUlT_T0_E_clISt17integral_constantIbLb0EES1P_EEDaS1K_S1L_EUlS1K_E_NS1_11comp_targetILNS1_3genE9ELNS1_11target_archE1100ELNS1_3gpuE3ELNS1_3repE0EEENS1_30default_config_static_selectorELNS0_4arch9wavefront6targetE0EEEvSY_: ; @_ZN7rocprim17ROCPRIM_400000_NS6detail17trampoline_kernelINS0_13select_configILj256ELj13ELNS0_17block_load_methodE3ELS4_3ELS4_3ELNS0_20block_scan_algorithmE0ELj4294967295EEENS1_25partition_config_selectorILNS1_17partition_subalgoE3EjNS0_10empty_typeEbEEZZNS1_14partition_implILS8_3ELb0ES6_jNS0_17counting_iteratorIjlEEPS9_SE_NS0_5tupleIJPjSE_EEENSF_IJSE_SE_EEES9_SG_JZNS1_25segmented_radix_sort_implINS0_14default_configELb0EPKbPbPKlPlN2at6native12_GLOBAL__N_18offset_tEEE10hipError_tPvRmT1_PNSt15iterator_traitsISY_E10value_typeET2_T3_PNSZ_IS14_E10value_typeET4_jRbjT5_S1A_jjP12ihipStream_tbEUljE_EEESV_SW_SX_S14_S18_S1A_T6_T7_T9_mT8_S1C_bDpT10_ENKUlT_T0_E_clISt17integral_constantIbLb0EES1P_EEDaS1K_S1L_EUlS1K_E_NS1_11comp_targetILNS1_3genE9ELNS1_11target_archE1100ELNS1_3gpuE3ELNS1_3repE0EEENS1_30default_config_static_selectorELNS0_4arch9wavefront6targetE0EEEvSY_
; %bb.0:
	s_clause 0x5
	s_load_b32 s2, s[0:1], 0x70
	s_load_b64 s[16:17], s[0:1], 0x10
	s_load_b64 s[12:13], s[0:1], 0x58
	s_load_b32 s18, s[0:1], 0x8
	s_load_b128 s[8:11], s[0:1], 0x48
	s_load_b128 s[4:7], s[0:1], 0x78
	s_mul_i32 s23, s15, 0xd00
	v_lshlrev_b32_e32 v30, 2, v0
	s_waitcnt lgkmcnt(0)
	s_mul_i32 s20, s2, 0xd00
	s_add_i32 s19, s2, -1
	s_add_u32 s2, s16, s20
	s_addc_u32 s3, s17, 0
	s_cmp_eq_u32 s15, s19
	v_cmp_lt_u64_e64 s3, s[2:3], s[12:13]
	s_cselect_b32 s14, -1, 0
	s_cmp_lg_u32 s15, s19
	s_cselect_b32 s21, -1, 0
	s_add_i32 s2, s18, s23
	s_delay_alu instid0(VALU_DEP_1)
	s_or_b32 s3, s21, s3
	s_add_i32 s18, s2, s16
	s_load_b32 s2, s[0:1], 0x88
	v_add_nc_u32_e32 v1, s18, v0
	s_load_b64 s[18:19], s[10:11], 0x0
	s_and_b32 vcc_lo, exec_lo, s3
	s_mov_b32 s10, -1
	s_delay_alu instid0(VALU_DEP_1)
	v_add_nc_u32_e32 v2, 0x100, v1
	v_add_nc_u32_e32 v3, 0x200, v1
	;; [unrolled: 1-line block ×12, first 2 shown]
	s_cbranch_vccz .LBB1609_2
; %bb.1:
	ds_store_2addr_stride64_b32 v30, v1, v2 offset1:4
	ds_store_2addr_stride64_b32 v30, v3, v4 offset0:8 offset1:12
	ds_store_2addr_stride64_b32 v30, v5, v6 offset0:16 offset1:20
	;; [unrolled: 1-line block ×5, first 2 shown]
	ds_store_b32 v30, v13 offset:12288
	s_waitcnt lgkmcnt(0)
	s_mov_b32 s10, 0
	s_barrier
.LBB1609_2:
	s_and_not1_b32 vcc_lo, exec_lo, s10
	s_add_i32 s20, s20, s16
	s_cbranch_vccnz .LBB1609_4
; %bb.3:
	ds_store_2addr_stride64_b32 v30, v1, v2 offset1:4
	ds_store_2addr_stride64_b32 v30, v3, v4 offset0:8 offset1:12
	ds_store_2addr_stride64_b32 v30, v5, v6 offset0:16 offset1:20
	;; [unrolled: 1-line block ×5, first 2 shown]
	ds_store_b32 v30, v13 offset:12288
	s_waitcnt lgkmcnt(0)
	s_barrier
.LBB1609_4:
	v_mul_u32_u24_e32 v33, 13, v0
	s_waitcnt lgkmcnt(0)
	buffer_gl0_inv
	v_cndmask_b32_e64 v31, 0, 1, s3
	s_sub_i32 s22, s12, s20
	s_and_not1_b32 vcc_lo, exec_lo, s3
	v_lshlrev_b32_e32 v1, 2, v33
	ds_load_2addr_b32 v[28:29], v1 offset1:1
	ds_load_2addr_b32 v[26:27], v1 offset0:2 offset1:3
	ds_load_2addr_b32 v[24:25], v1 offset0:4 offset1:5
	;; [unrolled: 1-line block ×5, first 2 shown]
	ds_load_b32 v32, v1 offset:48
	s_waitcnt lgkmcnt(0)
	s_barrier
	buffer_gl0_inv
	s_cbranch_vccnz .LBB1609_6
; %bb.5:
	v_add_nc_u32_e32 v1, s5, v28
	v_add_nc_u32_e32 v2, s7, v28
	;; [unrolled: 1-line block ×5, first 2 shown]
	v_mul_lo_u32 v1, v1, s4
	v_mul_lo_u32 v2, v2, s6
	;; [unrolled: 1-line block ×4, first 2 shown]
	v_add_nc_u32_e32 v6, s7, v26
	v_add_nc_u32_e32 v7, s5, v27
	;; [unrolled: 1-line block ×3, first 2 shown]
	v_mul_lo_u32 v5, v5, s4
	v_add_nc_u32_e32 v9, s5, v22
	v_sub_nc_u32_e32 v1, v1, v2
	v_mul_lo_u32 v2, v6, s6
	v_sub_nc_u32_e32 v3, v3, v4
	v_mul_lo_u32 v4, v7, s4
	v_mul_lo_u32 v6, v8, s6
	v_add_nc_u32_e32 v7, s5, v24
	v_cmp_lt_u32_e32 vcc_lo, s2, v1
	v_add_nc_u32_e32 v8, s5, v25
	v_add_nc_u32_e32 v10, s7, v22
	v_sub_nc_u32_e32 v2, v5, v2
	v_add_nc_u32_e32 v5, s7, v24
	v_cndmask_b32_e64 v1, 0, 1, vcc_lo
	v_sub_nc_u32_e32 v4, v4, v6
	v_mul_lo_u32 v6, v7, s4
	v_add_nc_u32_e32 v7, s7, v25
	v_cmp_lt_u32_e32 vcc_lo, s2, v3
	v_mul_lo_u32 v5, v5, s6
	v_mul_lo_u32 v8, v8, s4
	;; [unrolled: 1-line block ×4, first 2 shown]
	v_cndmask_b32_e64 v3, 0, 1, vcc_lo
	v_cmp_lt_u32_e32 vcc_lo, s2, v2
	v_mul_lo_u32 v10, v10, s6
	v_add_nc_u32_e32 v11, s5, v20
	v_sub_nc_u32_e32 v5, v6, v5
	v_add_nc_u32_e32 v12, s7, v20
	v_cndmask_b32_e64 v2, 0, 1, vcc_lo
	v_sub_nc_u32_e32 v6, v8, v7
	v_add_nc_u32_e32 v7, s5, v23
	v_add_nc_u32_e32 v8, s7, v23
	v_cmp_lt_u32_e32 vcc_lo, s2, v4
	v_sub_nc_u32_e32 v9, v9, v10
	v_mul_lo_u32 v10, v11, s4
	v_mul_lo_u32 v7, v7, s4
	;; [unrolled: 1-line block ×4, first 2 shown]
	v_cndmask_b32_e64 v4, 0, 1, vcc_lo
	v_cmp_lt_u32_e32 vcc_lo, s2, v5
	v_add_nc_u32_e32 v12, s5, v21
	v_add_nc_u32_e32 v13, s7, v18
	;; [unrolled: 1-line block ×4, first 2 shown]
	v_cndmask_b32_e64 v5, 0, 1, vcc_lo
	v_cmp_lt_u32_e32 vcc_lo, s2, v6
	v_sub_nc_u32_e32 v7, v7, v8
	v_sub_nc_u32_e32 v8, v10, v11
	v_add_nc_u32_e32 v11, s7, v21
	v_mul_lo_u32 v10, v12, s4
	v_cndmask_b32_e64 v6, 0, 1, vcc_lo
	v_cmp_lt_u32_e32 vcc_lo, s2, v9
	v_add_nc_u32_e32 v12, s5, v18
	v_mul_lo_u32 v11, v11, s6
	v_mul_lo_u32 v13, v13, s6
	;; [unrolled: 1-line block ×3, first 2 shown]
	v_cndmask_b32_e64 v9, 0, 1, vcc_lo
	v_cmp_lt_u32_e32 vcc_lo, s2, v7
	v_mul_lo_u32 v12, v12, s4
	v_mul_lo_u32 v15, v15, s6
	v_lshlrev_b16 v3, 8, v3
	v_sub_nc_u32_e32 v10, v10, v11
	v_cndmask_b32_e64 v7, 0, 1, vcc_lo
	v_cmp_lt_u32_e32 vcc_lo, s2, v8
	v_add_nc_u32_e32 v11, s5, v32
	v_or_b32_e32 v1, v1, v3
	v_sub_nc_u32_e32 v12, v12, v13
	v_sub_nc_u32_e32 v13, v14, v15
	v_cndmask_b32_e64 v8, 0, 1, vcc_lo
	v_cmp_lt_u32_e32 vcc_lo, s2, v10
	v_add_nc_u32_e32 v16, s7, v32
	v_mul_lo_u32 v11, v11, s4
	v_lshlrev_b16 v4, 8, v4
	v_lshlrev_b16 v6, 8, v6
	v_cndmask_b32_e64 v10, 0, 1, vcc_lo
	v_cmp_lt_u32_e32 vcc_lo, s2, v12
	v_mul_lo_u32 v14, v16, s6
	v_lshlrev_b16 v7, 8, v7
	v_or_b32_e32 v2, v2, v4
	v_lshlrev_b16 v10, 8, v10
	v_cndmask_b32_e64 v3, 0, 1, vcc_lo
	v_cmp_lt_u32_e32 vcc_lo, s2, v13
	v_or_b32_e32 v4, v5, v6
	v_or_b32_e32 v5, v9, v7
	v_sub_nc_u32_e32 v11, v11, v14
	v_or_b32_e32 v6, v8, v10
	v_cndmask_b32_e64 v12, 0, 1, vcc_lo
	v_and_b32_e32 v1, 0xffff, v1
	v_lshlrev_b32_e32 v2, 16, v2
	v_and_b32_e32 v4, 0xffff, v4
	v_lshlrev_b32_e32 v5, 16, v5
	v_lshlrev_b16 v12, 8, v12
	v_and_b32_e32 v6, 0xffff, v6
	v_cmp_lt_u32_e32 vcc_lo, s2, v11
	v_or_b32_e32 v39, v1, v2
	v_or_b32_e32 v37, v4, v5
	v_or_b32_e32 v3, v3, v12
	s_mov_b32 s3, 0
	v_cndmask_b32_e64 v34, 0, 1, vcc_lo
	s_delay_alu instid0(VALU_DEP_2) | instskip(NEXT) | instid1(VALU_DEP_1)
	v_lshlrev_b32_e32 v3, 16, v3
	v_or_b32_e32 v35, v6, v3
	s_branch .LBB1609_7
.LBB1609_6:
	s_mov_b32 s3, -1
                                        ; implicit-def: $vgpr34
                                        ; implicit-def: $vgpr35
                                        ; implicit-def: $vgpr37
                                        ; implicit-def: $vgpr39
.LBB1609_7:
	s_clause 0x1
	s_load_b64 s[10:11], s[0:1], 0x28
	s_load_b64 s[20:21], s[0:1], 0x68
	s_and_not1_b32 vcc_lo, exec_lo, s3
	s_addk_i32 s22, 0xd00
	s_cbranch_vccnz .LBB1609_35
; %bb.8:
	v_dual_mov_b32 v2, 0 :: v_dual_mov_b32 v1, 0
	s_mov_b32 s0, exec_lo
	v_cmpx_gt_u32_e64 s22, v33
; %bb.9:
	v_add_nc_u32_e32 v1, s5, v28
	v_add_nc_u32_e32 v3, s7, v28
	s_delay_alu instid0(VALU_DEP_2) | instskip(NEXT) | instid1(VALU_DEP_2)
	v_mul_lo_u32 v1, v1, s4
	v_mul_lo_u32 v3, v3, s6
	s_delay_alu instid0(VALU_DEP_1) | instskip(NEXT) | instid1(VALU_DEP_1)
	v_sub_nc_u32_e32 v1, v1, v3
	v_cmp_lt_u32_e32 vcc_lo, s2, v1
	v_cndmask_b32_e64 v1, 0, 1, vcc_lo
; %bb.10:
	s_or_b32 exec_lo, exec_lo, s0
	v_add_nc_u32_e32 v3, 1, v33
	s_mov_b32 s0, exec_lo
	s_delay_alu instid0(VALU_DEP_1)
	v_cmpx_gt_u32_e64 s22, v3
; %bb.11:
	v_add_nc_u32_e32 v2, s5, v29
	v_add_nc_u32_e32 v3, s7, v29
	s_delay_alu instid0(VALU_DEP_2) | instskip(NEXT) | instid1(VALU_DEP_2)
	v_mul_lo_u32 v2, v2, s4
	v_mul_lo_u32 v3, v3, s6
	s_delay_alu instid0(VALU_DEP_1) | instskip(NEXT) | instid1(VALU_DEP_1)
	v_sub_nc_u32_e32 v2, v2, v3
	v_cmp_lt_u32_e32 vcc_lo, s2, v2
	v_cndmask_b32_e64 v2, 0, 1, vcc_lo
; %bb.12:
	s_or_b32 exec_lo, exec_lo, s0
	v_dual_mov_b32 v4, 0 :: v_dual_add_nc_u32 v3, 2, v33
	s_delay_alu instid0(VALU_DEP_1)
	v_cmp_gt_u32_e32 vcc_lo, s22, v3
	v_mov_b32_e32 v3, 0
	s_and_saveexec_b32 s0, vcc_lo
; %bb.13:
	v_add_nc_u32_e32 v3, s5, v26
	v_add_nc_u32_e32 v5, s7, v26
	s_delay_alu instid0(VALU_DEP_2) | instskip(NEXT) | instid1(VALU_DEP_2)
	v_mul_lo_u32 v3, v3, s4
	v_mul_lo_u32 v5, v5, s6
	s_delay_alu instid0(VALU_DEP_1) | instskip(NEXT) | instid1(VALU_DEP_1)
	v_sub_nc_u32_e32 v3, v3, v5
	v_cmp_lt_u32_e32 vcc_lo, s2, v3
	v_cndmask_b32_e64 v3, 0, 1, vcc_lo
; %bb.14:
	s_or_b32 exec_lo, exec_lo, s0
	v_add_nc_u32_e32 v5, 3, v33
	s_mov_b32 s0, exec_lo
	s_delay_alu instid0(VALU_DEP_1)
	v_cmpx_gt_u32_e64 s22, v5
; %bb.15:
	v_add_nc_u32_e32 v4, s5, v27
	v_add_nc_u32_e32 v5, s7, v27
	s_delay_alu instid0(VALU_DEP_2) | instskip(NEXT) | instid1(VALU_DEP_2)
	v_mul_lo_u32 v4, v4, s4
	v_mul_lo_u32 v5, v5, s6
	s_delay_alu instid0(VALU_DEP_1) | instskip(NEXT) | instid1(VALU_DEP_1)
	v_sub_nc_u32_e32 v4, v4, v5
	v_cmp_lt_u32_e32 vcc_lo, s2, v4
	v_cndmask_b32_e64 v4, 0, 1, vcc_lo
; %bb.16:
	s_or_b32 exec_lo, exec_lo, s0
	v_dual_mov_b32 v6, 0 :: v_dual_add_nc_u32 v5, 4, v33
	s_delay_alu instid0(VALU_DEP_1)
	v_cmp_gt_u32_e32 vcc_lo, s22, v5
	v_mov_b32_e32 v5, 0
	s_and_saveexec_b32 s0, vcc_lo
	;; [unrolled: 33-line block ×5, first 2 shown]
; %bb.29:
	v_add_nc_u32_e32 v11, s5, v18
	v_add_nc_u32_e32 v13, s7, v18
	s_delay_alu instid0(VALU_DEP_2) | instskip(NEXT) | instid1(VALU_DEP_2)
	v_mul_lo_u32 v11, v11, s4
	v_mul_lo_u32 v13, v13, s6
	s_delay_alu instid0(VALU_DEP_1) | instskip(NEXT) | instid1(VALU_DEP_1)
	v_sub_nc_u32_e32 v11, v11, v13
	v_cmp_lt_u32_e32 vcc_lo, s2, v11
	v_cndmask_b32_e64 v11, 0, 1, vcc_lo
; %bb.30:
	s_or_b32 exec_lo, exec_lo, s0
	v_add_nc_u32_e32 v13, 11, v33
	s_mov_b32 s0, exec_lo
	s_delay_alu instid0(VALU_DEP_1)
	v_cmpx_gt_u32_e64 s22, v13
; %bb.31:
	v_add_nc_u32_e32 v12, s5, v19
	v_add_nc_u32_e32 v13, s7, v19
	s_delay_alu instid0(VALU_DEP_2) | instskip(NEXT) | instid1(VALU_DEP_2)
	v_mul_lo_u32 v12, v12, s4
	v_mul_lo_u32 v13, v13, s6
	s_delay_alu instid0(VALU_DEP_1) | instskip(NEXT) | instid1(VALU_DEP_1)
	v_sub_nc_u32_e32 v12, v12, v13
	v_cmp_lt_u32_e32 vcc_lo, s2, v12
	v_cndmask_b32_e64 v12, 0, 1, vcc_lo
; %bb.32:
	s_or_b32 exec_lo, exec_lo, s0
	v_dual_mov_b32 v34, 0 :: v_dual_add_nc_u32 v13, 12, v33
	s_mov_b32 s0, exec_lo
	s_delay_alu instid0(VALU_DEP_1)
	v_cmpx_gt_u32_e64 s22, v13
; %bb.33:
	v_add_nc_u32_e32 v13, s5, v32
	v_add_nc_u32_e32 v14, s7, v32
	s_delay_alu instid0(VALU_DEP_2) | instskip(NEXT) | instid1(VALU_DEP_2)
	v_mul_lo_u32 v13, v13, s4
	v_mul_lo_u32 v14, v14, s6
	s_delay_alu instid0(VALU_DEP_1) | instskip(NEXT) | instid1(VALU_DEP_1)
	v_sub_nc_u32_e32 v13, v13, v14
	v_cmp_lt_u32_e32 vcc_lo, s2, v13
	v_cndmask_b32_e64 v34, 0, 1, vcc_lo
; %bb.34:
	s_or_b32 exec_lo, exec_lo, s0
	v_lshlrev_b16 v2, 8, v2
	v_lshlrev_b16 v4, 8, v4
	;; [unrolled: 1-line block ×5, first 2 shown]
	v_or_b32_e32 v1, v1, v2
	v_lshlrev_b16 v2, 8, v12
	v_or_b32_e32 v3, v3, v4
	v_or_b32_e32 v4, v5, v6
	;; [unrolled: 1-line block ×5, first 2 shown]
	v_and_b32_e32 v1, 0xffff, v1
	v_lshlrev_b32_e32 v3, 16, v3
	v_and_b32_e32 v4, 0xffff, v4
	v_lshlrev_b32_e32 v5, 16, v5
	;; [unrolled: 2-line block ×3, first 2 shown]
	v_or_b32_e32 v39, v1, v3
	s_delay_alu instid0(VALU_DEP_4) | instskip(NEXT) | instid1(VALU_DEP_3)
	v_or_b32_e32 v37, v4, v5
	v_or_b32_e32 v35, v6, v2
.LBB1609_35:
	s_delay_alu instid0(VALU_DEP_3)
	v_and_b32_e32 v41, 0xff, v39
	v_bfe_u32 v42, v39, 8, 8
	v_bfe_u32 v43, v39, 16, 8
	v_lshrrev_b32_e32 v40, 24, v39
	v_and_b32_e32 v44, 0xff, v37
	v_bfe_u32 v45, v37, 8, 8
	v_bfe_u32 v46, v37, 16, 8
	v_add3_u32 v1, v42, v41, v43
	v_lshrrev_b32_e32 v38, 24, v37
	v_and_b32_e32 v47, 0xff, v35
	v_bfe_u32 v48, v35, 8, 8
	v_mbcnt_lo_u32_b32 v50, -1, 0
	v_add3_u32 v1, v1, v40, v44
	v_bfe_u32 v49, v35, 16, 8
	v_lshrrev_b32_e32 v36, 24, v35
	v_and_b32_e32 v2, 0xff, v34
	v_and_b32_e32 v3, 15, v50
	v_add3_u32 v1, v1, v45, v46
	v_or_b32_e32 v4, 31, v0
	v_and_b32_e32 v5, 16, v50
	v_lshrrev_b32_e32 v51, 5, v0
	v_cmp_eq_u32_e64 s5, 0, v3
	v_add3_u32 v1, v1, v38, v47
	v_cmp_lt_u32_e64 s4, 1, v3
	v_cmp_lt_u32_e64 s3, 3, v3
	;; [unrolled: 1-line block ×3, first 2 shown]
	v_cmp_eq_u32_e64 s1, 0, v5
	v_add3_u32 v1, v1, v48, v49
	v_cmp_eq_u32_e64 s0, v4, v0
	s_cmp_lg_u32 s15, 0
	s_mov_b32 s6, -1
	s_delay_alu instid0(VALU_DEP_2)
	v_add3_u32 v52, v1, v36, v2
	s_cbranch_scc0 .LBB1609_61
; %bb.36:
	s_delay_alu instid0(VALU_DEP_1) | instskip(NEXT) | instid1(VALU_DEP_1)
	v_mov_b32_dpp v1, v52 row_shr:1 row_mask:0xf bank_mask:0xf
	v_cndmask_b32_e64 v1, v1, 0, s5
	s_delay_alu instid0(VALU_DEP_1) | instskip(NEXT) | instid1(VALU_DEP_1)
	v_add_nc_u32_e32 v1, v1, v52
	v_mov_b32_dpp v2, v1 row_shr:2 row_mask:0xf bank_mask:0xf
	s_delay_alu instid0(VALU_DEP_1) | instskip(NEXT) | instid1(VALU_DEP_1)
	v_cndmask_b32_e64 v2, 0, v2, s4
	v_add_nc_u32_e32 v1, v1, v2
	s_delay_alu instid0(VALU_DEP_1) | instskip(NEXT) | instid1(VALU_DEP_1)
	v_mov_b32_dpp v2, v1 row_shr:4 row_mask:0xf bank_mask:0xf
	v_cndmask_b32_e64 v2, 0, v2, s3
	s_delay_alu instid0(VALU_DEP_1) | instskip(NEXT) | instid1(VALU_DEP_1)
	v_add_nc_u32_e32 v1, v1, v2
	v_mov_b32_dpp v2, v1 row_shr:8 row_mask:0xf bank_mask:0xf
	s_delay_alu instid0(VALU_DEP_1) | instskip(NEXT) | instid1(VALU_DEP_1)
	v_cndmask_b32_e64 v2, 0, v2, s2
	v_add_nc_u32_e32 v1, v1, v2
	ds_swizzle_b32 v2, v1 offset:swizzle(BROADCAST,32,15)
	s_waitcnt lgkmcnt(0)
	v_cndmask_b32_e64 v2, v2, 0, s1
	s_delay_alu instid0(VALU_DEP_1)
	v_add_nc_u32_e32 v1, v1, v2
	s_and_saveexec_b32 s6, s0
	s_cbranch_execz .LBB1609_38
; %bb.37:
	v_lshlrev_b32_e32 v2, 2, v51
	ds_store_b32 v2, v1
.LBB1609_38:
	s_or_b32 exec_lo, exec_lo, s6
	s_delay_alu instid0(SALU_CYCLE_1)
	s_mov_b32 s6, exec_lo
	s_waitcnt lgkmcnt(0)
	s_barrier
	buffer_gl0_inv
	v_cmpx_gt_u32_e32 8, v0
	s_cbranch_execz .LBB1609_40
; %bb.39:
	ds_load_b32 v2, v30
	s_waitcnt lgkmcnt(0)
	v_mov_b32_dpp v4, v2 row_shr:1 row_mask:0xf bank_mask:0xf
	v_and_b32_e32 v3, 7, v50
	s_delay_alu instid0(VALU_DEP_1) | instskip(NEXT) | instid1(VALU_DEP_3)
	v_cmp_ne_u32_e32 vcc_lo, 0, v3
	v_cndmask_b32_e32 v4, 0, v4, vcc_lo
	v_cmp_lt_u32_e32 vcc_lo, 1, v3
	s_delay_alu instid0(VALU_DEP_2) | instskip(NEXT) | instid1(VALU_DEP_1)
	v_add_nc_u32_e32 v2, v4, v2
	v_mov_b32_dpp v4, v2 row_shr:2 row_mask:0xf bank_mask:0xf
	s_delay_alu instid0(VALU_DEP_1) | instskip(SKIP_1) | instid1(VALU_DEP_2)
	v_cndmask_b32_e32 v4, 0, v4, vcc_lo
	v_cmp_lt_u32_e32 vcc_lo, 3, v3
	v_add_nc_u32_e32 v2, v2, v4
	s_delay_alu instid0(VALU_DEP_1) | instskip(NEXT) | instid1(VALU_DEP_1)
	v_mov_b32_dpp v4, v2 row_shr:4 row_mask:0xf bank_mask:0xf
	v_cndmask_b32_e32 v3, 0, v4, vcc_lo
	s_delay_alu instid0(VALU_DEP_1)
	v_add_nc_u32_e32 v2, v2, v3
	ds_store_b32 v30, v2
.LBB1609_40:
	s_or_b32 exec_lo, exec_lo, s6
	v_cmp_gt_u32_e32 vcc_lo, 32, v0
	s_mov_b32 s7, exec_lo
	s_waitcnt lgkmcnt(0)
	s_barrier
	buffer_gl0_inv
                                        ; implicit-def: $vgpr8
	v_cmpx_lt_u32_e32 31, v0
	s_cbranch_execz .LBB1609_42
; %bb.41:
	v_lshl_add_u32 v2, v51, 2, -4
	ds_load_b32 v8, v2
	s_waitcnt lgkmcnt(0)
	v_add_nc_u32_e32 v1, v8, v1
.LBB1609_42:
	s_or_b32 exec_lo, exec_lo, s7
	v_add_nc_u32_e32 v2, -1, v50
	s_delay_alu instid0(VALU_DEP_1) | instskip(NEXT) | instid1(VALU_DEP_1)
	v_cmp_gt_i32_e64 s6, 0, v2
	v_cndmask_b32_e64 v2, v2, v50, s6
	v_cmp_eq_u32_e64 s6, 0, v50
	s_delay_alu instid0(VALU_DEP_2)
	v_lshlrev_b32_e32 v2, 2, v2
	ds_bpermute_b32 v9, v2, v1
	s_and_saveexec_b32 s7, vcc_lo
	s_cbranch_execz .LBB1609_60
; %bb.43:
	v_mov_b32_e32 v4, 0
	ds_load_b32 v1, v4 offset:28
	s_and_saveexec_b32 s24, s6
	s_cbranch_execz .LBB1609_45
; %bb.44:
	s_add_i32 s26, s15, 32
	s_mov_b32 s27, 0
	v_mov_b32_e32 v2, 1
	s_lshl_b64 s[26:27], s[26:27], 3
	s_delay_alu instid0(SALU_CYCLE_1)
	s_add_u32 s26, s20, s26
	s_addc_u32 s27, s21, s27
	s_waitcnt lgkmcnt(0)
	global_store_b64 v4, v[1:2], s[26:27]
.LBB1609_45:
	s_or_b32 exec_lo, exec_lo, s24
	v_xad_u32 v2, v50, -1, s15
	s_mov_b32 s25, 0
	s_mov_b32 s24, exec_lo
	s_delay_alu instid0(VALU_DEP_1) | instskip(NEXT) | instid1(VALU_DEP_1)
	v_add_nc_u32_e32 v3, 32, v2
	v_lshlrev_b64 v[3:4], 3, v[3:4]
	s_delay_alu instid0(VALU_DEP_1) | instskip(NEXT) | instid1(VALU_DEP_2)
	v_add_co_u32 v6, vcc_lo, s20, v3
	v_add_co_ci_u32_e32 v7, vcc_lo, s21, v4, vcc_lo
	global_load_b64 v[4:5], v[6:7], off glc
	s_waitcnt vmcnt(0)
	v_and_b32_e32 v3, 0xff, v5
	s_delay_alu instid0(VALU_DEP_1)
	v_cmpx_eq_u16_e32 0, v3
	s_cbranch_execz .LBB1609_48
.LBB1609_46:                            ; =>This Inner Loop Header: Depth=1
	global_load_b64 v[4:5], v[6:7], off glc
	s_waitcnt vmcnt(0)
	v_and_b32_e32 v3, 0xff, v5
	s_delay_alu instid0(VALU_DEP_1) | instskip(SKIP_1) | instid1(SALU_CYCLE_1)
	v_cmp_ne_u16_e32 vcc_lo, 0, v3
	s_or_b32 s25, vcc_lo, s25
	s_and_not1_b32 exec_lo, exec_lo, s25
	s_cbranch_execnz .LBB1609_46
; %bb.47:
	s_or_b32 exec_lo, exec_lo, s25
.LBB1609_48:
	s_delay_alu instid0(SALU_CYCLE_1)
	s_or_b32 exec_lo, exec_lo, s24
	v_cmp_ne_u32_e32 vcc_lo, 31, v50
	v_lshlrev_b32_e64 v11, v50, -1
	v_add_nc_u32_e32 v13, 2, v50
	v_add_nc_u32_e32 v16, 4, v50
	;; [unrolled: 1-line block ×3, first 2 shown]
	v_add_co_ci_u32_e32 v3, vcc_lo, 0, v50, vcc_lo
	v_add_nc_u32_e32 v55, 16, v50
	s_delay_alu instid0(VALU_DEP_2) | instskip(SKIP_2) | instid1(VALU_DEP_1)
	v_lshlrev_b32_e32 v10, 2, v3
	ds_bpermute_b32 v6, v10, v4
	v_and_b32_e32 v3, 0xff, v5
	v_cmp_eq_u16_e32 vcc_lo, 2, v3
	v_and_or_b32 v3, vcc_lo, v11, 0x80000000
	v_cmp_gt_u32_e32 vcc_lo, 30, v50
	s_delay_alu instid0(VALU_DEP_2) | instskip(SKIP_1) | instid1(VALU_DEP_2)
	v_ctz_i32_b32_e32 v3, v3
	v_cndmask_b32_e64 v7, 0, 1, vcc_lo
	v_cmp_lt_u32_e32 vcc_lo, v50, v3
	s_waitcnt lgkmcnt(0)
	s_delay_alu instid0(VALU_DEP_2) | instskip(NEXT) | instid1(VALU_DEP_1)
	v_dual_cndmask_b32 v6, 0, v6 :: v_dual_lshlrev_b32 v7, 1, v7
	v_add_lshl_u32 v12, v7, v50, 2
	v_cmp_gt_u32_e32 vcc_lo, 28, v50
	s_delay_alu instid0(VALU_DEP_3) | instskip(SKIP_4) | instid1(VALU_DEP_1)
	v_add_nc_u32_e32 v4, v6, v4
	v_cndmask_b32_e64 v7, 0, 1, vcc_lo
	v_cmp_le_u32_e32 vcc_lo, v13, v3
	ds_bpermute_b32 v6, v12, v4
	v_lshlrev_b32_e32 v7, 2, v7
	v_add_lshl_u32 v14, v7, v50, 2
	s_waitcnt lgkmcnt(0)
	v_cndmask_b32_e32 v6, 0, v6, vcc_lo
	v_cmp_gt_u32_e32 vcc_lo, 24, v50
	s_delay_alu instid0(VALU_DEP_2) | instskip(SKIP_4) | instid1(VALU_DEP_1)
	v_add_nc_u32_e32 v4, v4, v6
	v_cndmask_b32_e64 v7, 0, 1, vcc_lo
	v_cmp_le_u32_e32 vcc_lo, v16, v3
	ds_bpermute_b32 v6, v14, v4
	v_lshlrev_b32_e32 v7, 3, v7
	v_add_lshl_u32 v17, v7, v50, 2
	s_waitcnt lgkmcnt(0)
	v_cndmask_b32_e32 v6, 0, v6, vcc_lo
	v_cmp_gt_u32_e32 vcc_lo, 16, v50
	s_delay_alu instid0(VALU_DEP_2) | instskip(SKIP_4) | instid1(VALU_DEP_1)
	v_add_nc_u32_e32 v4, v4, v6
	v_cndmask_b32_e64 v7, 0, 1, vcc_lo
	v_cmp_le_u32_e32 vcc_lo, v53, v3
	ds_bpermute_b32 v6, v17, v4
	v_lshlrev_b32_e32 v7, 4, v7
	v_add_lshl_u32 v54, v7, v50, 2
	s_waitcnt lgkmcnt(0)
	v_cndmask_b32_e32 v6, 0, v6, vcc_lo
	v_cmp_le_u32_e32 vcc_lo, v55, v3
	s_delay_alu instid0(VALU_DEP_2) | instskip(SKIP_3) | instid1(VALU_DEP_1)
	v_add_nc_u32_e32 v4, v4, v6
	ds_bpermute_b32 v6, v54, v4
	s_waitcnt lgkmcnt(0)
	v_cndmask_b32_e32 v3, 0, v6, vcc_lo
	v_dual_mov_b32 v3, 0 :: v_dual_add_nc_u32 v4, v4, v3
	s_branch .LBB1609_50
.LBB1609_49:                            ;   in Loop: Header=BB1609_50 Depth=1
	s_or_b32 exec_lo, exec_lo, s24
	ds_bpermute_b32 v7, v10, v4
	v_and_b32_e32 v6, 0xff, v5
	v_subrev_nc_u32_e32 v2, 32, v2
	s_delay_alu instid0(VALU_DEP_2) | instskip(SKIP_1) | instid1(VALU_DEP_1)
	v_cmp_eq_u16_e32 vcc_lo, 2, v6
	v_and_or_b32 v6, vcc_lo, v11, 0x80000000
	v_ctz_i32_b32_e32 v6, v6
	s_delay_alu instid0(VALU_DEP_1) | instskip(SKIP_3) | instid1(VALU_DEP_2)
	v_cmp_lt_u32_e32 vcc_lo, v50, v6
	s_waitcnt lgkmcnt(0)
	v_cndmask_b32_e32 v7, 0, v7, vcc_lo
	v_cmp_le_u32_e32 vcc_lo, v13, v6
	v_add_nc_u32_e32 v4, v7, v4
	ds_bpermute_b32 v7, v12, v4
	s_waitcnt lgkmcnt(0)
	v_cndmask_b32_e32 v7, 0, v7, vcc_lo
	v_cmp_le_u32_e32 vcc_lo, v16, v6
	s_delay_alu instid0(VALU_DEP_2) | instskip(SKIP_4) | instid1(VALU_DEP_2)
	v_add_nc_u32_e32 v4, v4, v7
	ds_bpermute_b32 v7, v14, v4
	s_waitcnt lgkmcnt(0)
	v_cndmask_b32_e32 v7, 0, v7, vcc_lo
	v_cmp_le_u32_e32 vcc_lo, v53, v6
	v_add_nc_u32_e32 v4, v4, v7
	ds_bpermute_b32 v7, v17, v4
	s_waitcnt lgkmcnt(0)
	v_cndmask_b32_e32 v7, 0, v7, vcc_lo
	v_cmp_le_u32_e32 vcc_lo, v55, v6
	s_delay_alu instid0(VALU_DEP_2) | instskip(SKIP_3) | instid1(VALU_DEP_1)
	v_add_nc_u32_e32 v4, v4, v7
	ds_bpermute_b32 v7, v54, v4
	s_waitcnt lgkmcnt(0)
	v_cndmask_b32_e32 v6, 0, v7, vcc_lo
	v_add3_u32 v4, v6, v15, v4
.LBB1609_50:                            ; =>This Loop Header: Depth=1
                                        ;     Child Loop BB1609_53 Depth 2
	v_and_b32_e32 v5, 0xff, v5
	s_delay_alu instid0(VALU_DEP_2) | instskip(NEXT) | instid1(VALU_DEP_2)
	v_mov_b32_e32 v15, v4
	v_cmp_ne_u16_e32 vcc_lo, 2, v5
	v_cndmask_b32_e64 v5, 0, 1, vcc_lo
	;;#ASMSTART
	;;#ASMEND
	s_delay_alu instid0(VALU_DEP_1)
	v_cmp_ne_u32_e32 vcc_lo, 0, v5
	s_cmp_lg_u32 vcc_lo, exec_lo
	s_cbranch_scc1 .LBB1609_55
; %bb.51:                               ;   in Loop: Header=BB1609_50 Depth=1
	v_lshlrev_b64 v[4:5], 3, v[2:3]
	s_mov_b32 s24, exec_lo
	s_delay_alu instid0(VALU_DEP_1) | instskip(NEXT) | instid1(VALU_DEP_2)
	v_add_co_u32 v6, vcc_lo, s20, v4
	v_add_co_ci_u32_e32 v7, vcc_lo, s21, v5, vcc_lo
	global_load_b64 v[4:5], v[6:7], off glc
	s_waitcnt vmcnt(0)
	v_and_b32_e32 v56, 0xff, v5
	s_delay_alu instid0(VALU_DEP_1)
	v_cmpx_eq_u16_e32 0, v56
	s_cbranch_execz .LBB1609_49
; %bb.52:                               ;   in Loop: Header=BB1609_50 Depth=1
	s_mov_b32 s25, 0
.LBB1609_53:                            ;   Parent Loop BB1609_50 Depth=1
                                        ; =>  This Inner Loop Header: Depth=2
	global_load_b64 v[4:5], v[6:7], off glc
	s_waitcnt vmcnt(0)
	v_and_b32_e32 v56, 0xff, v5
	s_delay_alu instid0(VALU_DEP_1) | instskip(SKIP_1) | instid1(SALU_CYCLE_1)
	v_cmp_ne_u16_e32 vcc_lo, 0, v56
	s_or_b32 s25, vcc_lo, s25
	s_and_not1_b32 exec_lo, exec_lo, s25
	s_cbranch_execnz .LBB1609_53
; %bb.54:                               ;   in Loop: Header=BB1609_50 Depth=1
	s_or_b32 exec_lo, exec_lo, s25
	s_branch .LBB1609_49
.LBB1609_55:                            ;   in Loop: Header=BB1609_50 Depth=1
                                        ; implicit-def: $vgpr4
                                        ; implicit-def: $vgpr5
	s_cbranch_execz .LBB1609_50
; %bb.56:
	s_and_saveexec_b32 s24, s6
	s_cbranch_execz .LBB1609_58
; %bb.57:
	s_add_i32 s26, s15, 32
	s_mov_b32 s27, 0
	v_dual_mov_b32 v3, 2 :: v_dual_add_nc_u32 v2, v15, v1
	s_lshl_b64 s[26:27], s[26:27], 3
	v_mov_b32_e32 v4, 0
	v_add_nc_u32_e64 v5, 0x3400, 0
	s_add_u32 s26, s20, s26
	s_addc_u32 s27, s21, s27
	global_store_b64 v4, v[2:3], s[26:27]
	ds_store_2addr_b32 v5, v1, v15 offset1:2
.LBB1609_58:
	s_or_b32 exec_lo, exec_lo, s24
	v_cmp_eq_u32_e32 vcc_lo, 0, v0
	s_and_b32 exec_lo, exec_lo, vcc_lo
	s_cbranch_execz .LBB1609_60
; %bb.59:
	v_mov_b32_e32 v1, 0
	ds_store_b32 v1, v15 offset:28
.LBB1609_60:
	s_or_b32 exec_lo, exec_lo, s7
	s_waitcnt lgkmcnt(0)
	v_cndmask_b32_e64 v2, v9, v8, s6
	v_cmp_ne_u32_e32 vcc_lo, 0, v0
	v_mov_b32_e32 v1, 0
	s_waitcnt_vscnt null, 0x0
	s_barrier
	buffer_gl0_inv
	v_cndmask_b32_e32 v2, 0, v2, vcc_lo
	ds_load_b32 v1, v1 offset:28
	v_add_nc_u32_e64 v11, 0x3400, 0
	s_waitcnt lgkmcnt(0)
	s_barrier
	buffer_gl0_inv
	ds_load_2addr_b32 v[16:17], v11 offset1:2
	v_add_nc_u32_e32 v1, v1, v2
	s_delay_alu instid0(VALU_DEP_1) | instskip(NEXT) | instid1(VALU_DEP_1)
	v_add_nc_u32_e32 v2, v1, v41
	v_add_nc_u32_e32 v3, v2, v42
	s_delay_alu instid0(VALU_DEP_1) | instskip(NEXT) | instid1(VALU_DEP_1)
	v_add_nc_u32_e32 v4, v3, v43
	;; [unrolled: 3-line block ×6, first 2 shown]
	v_add_nc_u32_e32 v13, v12, v36
	s_branch .LBB1609_71
.LBB1609_61:
                                        ; implicit-def: $vgpr17
                                        ; implicit-def: $vgpr1_vgpr2_vgpr3_vgpr4_vgpr5_vgpr6_vgpr7_vgpr8_vgpr9_vgpr10_vgpr11_vgpr12_vgpr13_vgpr14_vgpr15_vgpr16
	s_and_b32 vcc_lo, exec_lo, s6
	s_cbranch_vccz .LBB1609_71
; %bb.62:
	s_delay_alu instid0(VALU_DEP_1) | instskip(NEXT) | instid1(VALU_DEP_1)
	v_mov_b32_dpp v1, v52 row_shr:1 row_mask:0xf bank_mask:0xf
	v_cndmask_b32_e64 v1, v1, 0, s5
	s_delay_alu instid0(VALU_DEP_1) | instskip(NEXT) | instid1(VALU_DEP_1)
	v_add_nc_u32_e32 v1, v1, v52
	v_mov_b32_dpp v2, v1 row_shr:2 row_mask:0xf bank_mask:0xf
	s_delay_alu instid0(VALU_DEP_1) | instskip(NEXT) | instid1(VALU_DEP_1)
	v_cndmask_b32_e64 v2, 0, v2, s4
	v_add_nc_u32_e32 v1, v1, v2
	s_delay_alu instid0(VALU_DEP_1) | instskip(NEXT) | instid1(VALU_DEP_1)
	v_mov_b32_dpp v2, v1 row_shr:4 row_mask:0xf bank_mask:0xf
	v_cndmask_b32_e64 v2, 0, v2, s3
	s_delay_alu instid0(VALU_DEP_1) | instskip(NEXT) | instid1(VALU_DEP_1)
	v_add_nc_u32_e32 v1, v1, v2
	v_mov_b32_dpp v2, v1 row_shr:8 row_mask:0xf bank_mask:0xf
	s_delay_alu instid0(VALU_DEP_1) | instskip(NEXT) | instid1(VALU_DEP_1)
	v_cndmask_b32_e64 v2, 0, v2, s2
	v_add_nc_u32_e32 v1, v1, v2
	ds_swizzle_b32 v2, v1 offset:swizzle(BROADCAST,32,15)
	s_waitcnt lgkmcnt(0)
	v_cndmask_b32_e64 v2, v2, 0, s1
	s_delay_alu instid0(VALU_DEP_1)
	v_add_nc_u32_e32 v1, v1, v2
	s_and_saveexec_b32 s1, s0
	s_cbranch_execz .LBB1609_64
; %bb.63:
	v_lshlrev_b32_e32 v2, 2, v51
	ds_store_b32 v2, v1
.LBB1609_64:
	s_or_b32 exec_lo, exec_lo, s1
	s_delay_alu instid0(SALU_CYCLE_1)
	s_mov_b32 s0, exec_lo
	s_waitcnt lgkmcnt(0)
	s_barrier
	buffer_gl0_inv
	v_cmpx_gt_u32_e32 8, v0
	s_cbranch_execz .LBB1609_66
; %bb.65:
	ds_load_b32 v2, v30
	s_waitcnt lgkmcnt(0)
	v_mov_b32_dpp v4, v2 row_shr:1 row_mask:0xf bank_mask:0xf
	v_and_b32_e32 v3, 7, v50
	s_delay_alu instid0(VALU_DEP_1) | instskip(NEXT) | instid1(VALU_DEP_3)
	v_cmp_ne_u32_e32 vcc_lo, 0, v3
	v_cndmask_b32_e32 v4, 0, v4, vcc_lo
	v_cmp_lt_u32_e32 vcc_lo, 1, v3
	s_delay_alu instid0(VALU_DEP_2) | instskip(NEXT) | instid1(VALU_DEP_1)
	v_add_nc_u32_e32 v2, v4, v2
	v_mov_b32_dpp v4, v2 row_shr:2 row_mask:0xf bank_mask:0xf
	s_delay_alu instid0(VALU_DEP_1) | instskip(SKIP_1) | instid1(VALU_DEP_2)
	v_cndmask_b32_e32 v4, 0, v4, vcc_lo
	v_cmp_lt_u32_e32 vcc_lo, 3, v3
	v_add_nc_u32_e32 v2, v2, v4
	s_delay_alu instid0(VALU_DEP_1) | instskip(NEXT) | instid1(VALU_DEP_1)
	v_mov_b32_dpp v4, v2 row_shr:4 row_mask:0xf bank_mask:0xf
	v_cndmask_b32_e32 v3, 0, v4, vcc_lo
	s_delay_alu instid0(VALU_DEP_1)
	v_add_nc_u32_e32 v2, v2, v3
	ds_store_b32 v30, v2
.LBB1609_66:
	s_or_b32 exec_lo, exec_lo, s0
	v_dual_mov_b32 v3, 0 :: v_dual_mov_b32 v2, 0
	s_mov_b32 s0, exec_lo
	s_waitcnt lgkmcnt(0)
	s_barrier
	buffer_gl0_inv
	v_cmpx_lt_u32_e32 31, v0
	s_cbranch_execz .LBB1609_68
; %bb.67:
	v_lshl_add_u32 v2, v51, 2, -4
	ds_load_b32 v2, v2
.LBB1609_68:
	s_or_b32 exec_lo, exec_lo, s0
	v_add_nc_u32_e32 v4, -1, v50
	ds_load_b32 v16, v3 offset:28
	s_waitcnt lgkmcnt(1)
	v_add_nc_u32_e32 v1, v2, v1
	v_cmp_gt_i32_e32 vcc_lo, 0, v4
	v_cndmask_b32_e32 v4, v4, v50, vcc_lo
	v_cmp_eq_u32_e32 vcc_lo, 0, v0
	s_delay_alu instid0(VALU_DEP_2)
	v_lshlrev_b32_e32 v4, 2, v4
	ds_bpermute_b32 v1, v4, v1
	s_and_saveexec_b32 s0, vcc_lo
	s_cbranch_execz .LBB1609_70
; %bb.69:
	v_mov_b32_e32 v3, 0
	v_mov_b32_e32 v17, 2
	s_waitcnt lgkmcnt(1)
	global_store_b64 v3, v[16:17], s[20:21] offset:256
.LBB1609_70:
	s_or_b32 exec_lo, exec_lo, s0
	v_cmp_eq_u32_e64 s0, 0, v50
	s_waitcnt lgkmcnt(0)
	s_waitcnt_vscnt null, 0x0
	s_barrier
	buffer_gl0_inv
	v_mov_b32_e32 v17, 0
	v_cndmask_b32_e64 v1, v1, v2, s0
	s_delay_alu instid0(VALU_DEP_1) | instskip(NEXT) | instid1(VALU_DEP_1)
	v_cndmask_b32_e64 v1, v1, 0, vcc_lo
	v_add_nc_u32_e32 v2, v1, v41
	s_delay_alu instid0(VALU_DEP_1) | instskip(NEXT) | instid1(VALU_DEP_1)
	v_add_nc_u32_e32 v3, v2, v42
	v_add_nc_u32_e32 v4, v3, v43
	s_delay_alu instid0(VALU_DEP_1) | instskip(NEXT) | instid1(VALU_DEP_1)
	v_add_nc_u32_e32 v5, v4, v40
	;; [unrolled: 3-line block ×5, first 2 shown]
	v_add_nc_u32_e32 v12, v11, v49
	s_delay_alu instid0(VALU_DEP_1)
	v_add_nc_u32_e32 v13, v12, v36
.LBB1609_71:
	v_lshrrev_b32_e32 v44, 8, v39
	v_lshrrev_b32_e32 v43, 16, v39
	s_waitcnt lgkmcnt(0)
	v_sub_nc_u32_e32 v1, v1, v17
	v_and_b32_e32 v39, 1, v39
	v_sub_nc_u32_e32 v3, v3, v17
	v_add_nc_u32_e32 v33, v16, v33
	v_sub_nc_u32_e32 v2, v2, v17
	v_sub_nc_u32_e32 v4, v4, v17
	v_cmp_eq_u32_e32 vcc_lo, 1, v39
	v_and_b32_e32 v39, 1, v43
	v_sub_nc_u32_e32 v45, v33, v1
	v_and_b32_e32 v44, 1, v44
	v_sub_nc_u32_e32 v43, v33, v2
	v_lshrrev_b32_e32 v42, 8, v37
	v_lshrrev_b32_e32 v41, 16, v37
	v_cndmask_b32_e32 v1, v45, v1, vcc_lo
	v_sub_nc_u32_e32 v45, v33, v3
	v_add_nc_u32_e32 v43, 1, v43
	v_cmp_eq_u32_e32 vcc_lo, 1, v44
	v_and_b32_e32 v40, 1, v40
	v_lshlrev_b32_e32 v1, 2, v1
	v_add_nc_u32_e32 v45, 2, v45
	v_lshrrev_b32_e32 v15, 8, v35
	v_lshrrev_b32_e32 v14, 16, v35
	ds_store_b32 v1, v28
	v_cndmask_b32_e32 v1, v43, v2, vcc_lo
	v_cmp_eq_u32_e32 vcc_lo, 1, v39
	v_or_b32_e32 v28, 0x500, v0
	s_delay_alu instid0(VALU_DEP_3)
	v_dual_cndmask_b32 v2, v45, v3 :: v_dual_lshlrev_b32 v1, 2, v1
	v_sub_nc_u32_e32 v46, v33, v4
	v_cmp_eq_u32_e32 vcc_lo, 1, v40
	ds_store_b32 v1, v29
	v_lshlrev_b32_e32 v2, 2, v2
	v_add_nc_u32_e32 v46, 3, v46
	v_or_b32_e32 v29, 0x400, v0
	s_delay_alu instid0(VALU_DEP_2) | instskip(SKIP_2) | instid1(VALU_DEP_3)
	v_cndmask_b32_e32 v3, v46, v4, vcc_lo
	v_sub_nc_u32_e32 v4, v5, v17
	v_sub_nc_u32_e32 v5, v6, v17
	v_lshlrev_b32_e32 v3, 2, v3
	s_delay_alu instid0(VALU_DEP_3) | instskip(NEXT) | instid1(VALU_DEP_3)
	v_sub_nc_u32_e32 v1, v33, v4
	v_sub_nc_u32_e32 v6, v33, v5
	ds_store_b32 v2, v26
	ds_store_b32 v3, v27
	v_and_b32_e32 v2, 1, v37
	v_add_nc_u32_e32 v1, 4, v1
	v_add_nc_u32_e32 v3, 5, v6
	v_sub_nc_u32_e32 v6, v7, v17
	v_and_b32_e32 v7, 1, v42
	v_cmp_eq_u32_e32 vcc_lo, 1, v2
	v_sub_nc_u32_e32 v2, v8, v17
	v_and_b32_e32 v8, 1, v38
	v_or_b32_e32 v27, 0x600, v0
	v_or_b32_e32 v26, 0x700, v0
	v_cndmask_b32_e32 v1, v1, v4, vcc_lo
	v_sub_nc_u32_e32 v4, v33, v6
	v_cmp_eq_u32_e32 vcc_lo, 1, v7
	v_and_b32_e32 v7, 1, v41
	s_delay_alu instid0(VALU_DEP_4) | instskip(NEXT) | instid1(VALU_DEP_4)
	v_lshlrev_b32_e32 v1, 2, v1
	v_dual_cndmask_b32 v3, v3, v5 :: v_dual_add_nc_u32 v4, 6, v4
	v_sub_nc_u32_e32 v5, v33, v2
	s_delay_alu instid0(VALU_DEP_4) | instskip(SKIP_1) | instid1(VALU_DEP_4)
	v_cmp_eq_u32_e32 vcc_lo, 1, v7
	v_sub_nc_u32_e32 v7, v13, v17
	v_lshlrev_b32_e32 v3, 2, v3
	s_delay_alu instid0(VALU_DEP_4)
	v_dual_cndmask_b32 v4, v4, v6 :: v_dual_add_nc_u32 v5, 7, v5
	v_cmp_eq_u32_e32 vcc_lo, 1, v8
	v_sub_nc_u32_e32 v6, v9, v17
	ds_store_b32 v1, v24
	ds_store_b32 v3, v25
	v_or_b32_e32 v25, 0x800, v0
	v_dual_cndmask_b32 v2, v5, v2 :: v_dual_lshlrev_b32 v3, 2, v4
	v_and_b32_e32 v5, 1, v35
	v_sub_nc_u32_e32 v1, v33, v6
	v_sub_nc_u32_e32 v4, v10, v17
	v_and_b32_e32 v10, 1, v36
	v_or_b32_e32 v24, 0x900, v0
	v_cmp_eq_u32_e32 vcc_lo, 1, v5
	v_sub_nc_u32_e32 v5, v12, v17
	v_add_nc_u32_e32 v1, 8, v1
	s_delay_alu instid0(VALU_DEP_2) | instskip(NEXT) | instid1(VALU_DEP_2)
	v_sub_nc_u32_e32 v9, v33, v5
	v_dual_cndmask_b32 v1, v1, v6 :: v_dual_and_b32 v6, 1, v15
	v_add_co_u32 v15, s0, s18, v17
	s_delay_alu instid0(VALU_DEP_3)
	v_add_nc_u32_e32 v9, 11, v9
	v_lshlrev_b32_e32 v2, 2, v2
	ds_store_b32 v3, v22
	ds_store_b32 v2, v23
	v_sub_nc_u32_e32 v3, v11, v17
	v_sub_nc_u32_e32 v2, v33, v4
	v_cmp_eq_u32_e32 vcc_lo, 1, v6
	v_and_b32_e32 v11, 1, v34
	v_lshlrev_b32_e32 v1, 2, v1
	v_sub_nc_u32_e32 v8, v33, v3
	v_add_nc_u32_e32 v2, 9, v2
	v_add_co_ci_u32_e64 v17, null, s19, 0, s0
	s_add_u32 s0, s16, s23
	s_delay_alu instid0(VALU_DEP_3)
	v_add_nc_u32_e32 v6, 10, v8
	v_and_b32_e32 v8, 1, v14
	v_cndmask_b32_e32 v2, v2, v4, vcc_lo
	v_sub_nc_u32_e32 v4, v33, v7
	s_addc_u32 s1, s17, 0
	s_sub_u32 s0, s12, s0
	v_cmp_eq_u32_e32 vcc_lo, 1, v8
	v_lshlrev_b32_e32 v2, 2, v2
	v_add_nc_u32_e32 v4, 12, v4
	s_subb_u32 s1, s13, s1
	v_add_co_u32 v13, s0, s0, v16
	v_cndmask_b32_e32 v3, v6, v3, vcc_lo
	v_cmp_eq_u32_e32 vcc_lo, 1, v10
	v_add_co_ci_u32_e64 v14, null, s1, 0, s0
	v_or_b32_e32 v34, 0x100, v0
	s_delay_alu instid0(VALU_DEP_4)
	v_lshlrev_b32_e32 v3, 2, v3
	v_cndmask_b32_e32 v5, v9, v5, vcc_lo
	v_cmp_eq_u32_e32 vcc_lo, 1, v11
	v_or_b32_e32 v33, 0x200, v0
	v_or_b32_e32 v23, 0xa00, v0
	;; [unrolled: 1-line block ×3, first 2 shown]
	v_dual_cndmask_b32 v4, v4, v7 :: v_dual_lshlrev_b32 v5, 2, v5
	v_cmp_ne_u32_e32 vcc_lo, 1, v31
	s_delay_alu instid0(VALU_DEP_2)
	v_lshlrev_b32_e32 v4, 2, v4
	ds_store_b32 v1, v20
	ds_store_b32 v2, v21
	ds_store_b32 v3, v18
	ds_store_b32 v5, v19
	ds_store_b32 v4, v32
	s_waitcnt lgkmcnt(0)
	s_barrier
	buffer_gl0_inv
	ds_load_2addr_stride64_b32 v[11:12], v30 offset1:4
	ds_load_2addr_stride64_b32 v[9:10], v30 offset0:8 offset1:12
	ds_load_2addr_stride64_b32 v[7:8], v30 offset0:16 offset1:20
	;; [unrolled: 1-line block ×5, first 2 shown]
	ds_load_b32 v18, v30 offset:12288
	v_add_co_u32 v20, s0, v13, v15
	v_or_b32_e32 v32, 0x300, v0
	v_or_b32_e32 v19, 0xc00, v0
	v_add_co_ci_u32_e64 v21, s0, v14, v17, s0
	s_mov_b32 s0, 0
	s_cbranch_vccnz .LBB1609_125
; %bb.72:
	s_mov_b32 s0, exec_lo
                                        ; implicit-def: $vgpr13_vgpr14
	v_cmpx_ge_u32_e64 v0, v16
	s_xor_b32 s0, exec_lo, s0
; %bb.73:
	v_not_b32_e32 v13, v0
	s_delay_alu instid0(VALU_DEP_1) | instskip(SKIP_1) | instid1(VALU_DEP_2)
	v_ashrrev_i32_e32 v14, 31, v13
	v_add_co_u32 v13, vcc_lo, v20, v13
	v_add_co_ci_u32_e32 v14, vcc_lo, v21, v14, vcc_lo
; %bb.74:
	s_and_not1_saveexec_b32 s0, s0
; %bb.75:
	v_add_co_u32 v13, vcc_lo, v15, v0
	v_add_co_ci_u32_e32 v14, vcc_lo, 0, v17, vcc_lo
; %bb.76:
	s_or_b32 exec_lo, exec_lo, s0
	s_delay_alu instid0(VALU_DEP_1) | instskip(SKIP_1) | instid1(VALU_DEP_1)
	v_lshlrev_b64 v[13:14], 2, v[13:14]
	s_mov_b32 s0, exec_lo
	v_add_co_u32 v13, vcc_lo, s10, v13
	s_delay_alu instid0(VALU_DEP_2)
	v_add_co_ci_u32_e32 v14, vcc_lo, s11, v14, vcc_lo
	s_waitcnt lgkmcnt(6)
	global_store_b32 v[13:14], v11, off
                                        ; implicit-def: $vgpr13_vgpr14
	v_cmpx_ge_u32_e64 v34, v16
	s_xor_b32 s0, exec_lo, s0
; %bb.77:
	v_xor_b32_e32 v13, 0xfffffeff, v0
	s_delay_alu instid0(VALU_DEP_1) | instskip(SKIP_1) | instid1(VALU_DEP_2)
	v_ashrrev_i32_e32 v14, 31, v13
	v_add_co_u32 v13, vcc_lo, v20, v13
	v_add_co_ci_u32_e32 v14, vcc_lo, v21, v14, vcc_lo
; %bb.78:
	s_and_not1_saveexec_b32 s0, s0
; %bb.79:
	v_add_co_u32 v13, vcc_lo, v15, v34
	v_add_co_ci_u32_e32 v14, vcc_lo, 0, v17, vcc_lo
; %bb.80:
	s_or_b32 exec_lo, exec_lo, s0
	s_delay_alu instid0(VALU_DEP_1) | instskip(SKIP_1) | instid1(VALU_DEP_1)
	v_lshlrev_b64 v[13:14], 2, v[13:14]
	s_mov_b32 s0, exec_lo
	v_add_co_u32 v13, vcc_lo, s10, v13
	s_delay_alu instid0(VALU_DEP_2)
	v_add_co_ci_u32_e32 v14, vcc_lo, s11, v14, vcc_lo
	global_store_b32 v[13:14], v12, off
                                        ; implicit-def: $vgpr13_vgpr14
	v_cmpx_ge_u32_e64 v33, v16
	s_xor_b32 s0, exec_lo, s0
; %bb.81:
	v_xor_b32_e32 v13, 0xfffffdff, v0
	s_delay_alu instid0(VALU_DEP_1) | instskip(SKIP_1) | instid1(VALU_DEP_2)
	v_ashrrev_i32_e32 v14, 31, v13
	v_add_co_u32 v13, vcc_lo, v20, v13
	v_add_co_ci_u32_e32 v14, vcc_lo, v21, v14, vcc_lo
; %bb.82:
	s_and_not1_saveexec_b32 s0, s0
; %bb.83:
	v_add_co_u32 v13, vcc_lo, v15, v33
	v_add_co_ci_u32_e32 v14, vcc_lo, 0, v17, vcc_lo
; %bb.84:
	s_or_b32 exec_lo, exec_lo, s0
	s_delay_alu instid0(VALU_DEP_1) | instskip(SKIP_1) | instid1(VALU_DEP_1)
	v_lshlrev_b64 v[13:14], 2, v[13:14]
	s_mov_b32 s0, exec_lo
	v_add_co_u32 v13, vcc_lo, s10, v13
	s_delay_alu instid0(VALU_DEP_2)
	v_add_co_ci_u32_e32 v14, vcc_lo, s11, v14, vcc_lo
	s_waitcnt lgkmcnt(5)
	global_store_b32 v[13:14], v9, off
                                        ; implicit-def: $vgpr13_vgpr14
	v_cmpx_ge_u32_e64 v32, v16
	s_xor_b32 s0, exec_lo, s0
; %bb.85:
	v_xor_b32_e32 v13, 0xfffffcff, v0
	s_delay_alu instid0(VALU_DEP_1) | instskip(SKIP_1) | instid1(VALU_DEP_2)
	v_ashrrev_i32_e32 v14, 31, v13
	v_add_co_u32 v13, vcc_lo, v20, v13
	v_add_co_ci_u32_e32 v14, vcc_lo, v21, v14, vcc_lo
; %bb.86:
	s_and_not1_saveexec_b32 s0, s0
; %bb.87:
	v_add_co_u32 v13, vcc_lo, v15, v32
	v_add_co_ci_u32_e32 v14, vcc_lo, 0, v17, vcc_lo
; %bb.88:
	s_or_b32 exec_lo, exec_lo, s0
	s_delay_alu instid0(VALU_DEP_1) | instskip(SKIP_1) | instid1(VALU_DEP_1)
	v_lshlrev_b64 v[13:14], 2, v[13:14]
	s_mov_b32 s0, exec_lo
	v_add_co_u32 v13, vcc_lo, s10, v13
	s_delay_alu instid0(VALU_DEP_2)
	v_add_co_ci_u32_e32 v14, vcc_lo, s11, v14, vcc_lo
	global_store_b32 v[13:14], v10, off
                                        ; implicit-def: $vgpr13_vgpr14
	v_cmpx_ge_u32_e64 v29, v16
	s_xor_b32 s0, exec_lo, s0
; %bb.89:
	v_xor_b32_e32 v13, 0xfffffbff, v0
	;; [unrolled: 47-line block ×6, first 2 shown]
	s_delay_alu instid0(VALU_DEP_1) | instskip(SKIP_1) | instid1(VALU_DEP_2)
	v_ashrrev_i32_e32 v14, 31, v13
	v_add_co_u32 v13, vcc_lo, v20, v13
	v_add_co_ci_u32_e32 v14, vcc_lo, v21, v14, vcc_lo
; %bb.122:
	s_and_not1_saveexec_b32 s0, s0
; %bb.123:
	v_add_co_u32 v13, vcc_lo, v15, v19
	v_add_co_ci_u32_e32 v14, vcc_lo, 0, v17, vcc_lo
; %bb.124:
	s_or_b32 exec_lo, exec_lo, s0
	s_mov_b32 s0, -1
	s_branch .LBB1609_205
.LBB1609_125:
                                        ; implicit-def: $vgpr13_vgpr14
	s_cbranch_execz .LBB1609_205
; %bb.126:
	s_mov_b32 s1, exec_lo
	v_cmpx_gt_u32_e64 s22, v0
	s_cbranch_execz .LBB1609_162
; %bb.127:
	s_mov_b32 s2, exec_lo
                                        ; implicit-def: $vgpr13_vgpr14
	v_cmpx_ge_u32_e64 v0, v16
	s_xor_b32 s2, exec_lo, s2
; %bb.128:
	v_not_b32_e32 v13, v0
	s_delay_alu instid0(VALU_DEP_1) | instskip(SKIP_1) | instid1(VALU_DEP_2)
	v_ashrrev_i32_e32 v14, 31, v13
	v_add_co_u32 v13, vcc_lo, v20, v13
	v_add_co_ci_u32_e32 v14, vcc_lo, v21, v14, vcc_lo
; %bb.129:
	s_and_not1_saveexec_b32 s2, s2
; %bb.130:
	v_add_co_u32 v13, vcc_lo, v15, v0
	v_add_co_ci_u32_e32 v14, vcc_lo, 0, v17, vcc_lo
; %bb.131:
	s_or_b32 exec_lo, exec_lo, s2
	s_delay_alu instid0(VALU_DEP_1) | instskip(NEXT) | instid1(VALU_DEP_1)
	v_lshlrev_b64 v[13:14], 2, v[13:14]
	v_add_co_u32 v13, vcc_lo, s10, v13
	s_delay_alu instid0(VALU_DEP_2) | instskip(SKIP_3) | instid1(SALU_CYCLE_1)
	v_add_co_ci_u32_e32 v14, vcc_lo, s11, v14, vcc_lo
	s_waitcnt lgkmcnt(6)
	global_store_b32 v[13:14], v11, off
	s_or_b32 exec_lo, exec_lo, s1
	s_mov_b32 s1, exec_lo
	v_cmpx_gt_u32_e64 s22, v34
	s_cbranch_execnz .LBB1609_163
.LBB1609_132:
	s_or_b32 exec_lo, exec_lo, s1
	s_delay_alu instid0(SALU_CYCLE_1)
	s_mov_b32 s1, exec_lo
	v_cmpx_gt_u32_e64 s22, v33
	s_cbranch_execz .LBB1609_168
.LBB1609_133:
	s_mov_b32 s2, exec_lo
                                        ; implicit-def: $vgpr11_vgpr12
	v_cmpx_ge_u32_e64 v33, v16
	s_xor_b32 s2, exec_lo, s2
	s_cbranch_execz .LBB1609_135
; %bb.134:
	s_waitcnt lgkmcnt(6)
	v_xor_b32_e32 v11, 0xfffffdff, v0
                                        ; implicit-def: $vgpr33
	s_delay_alu instid0(VALU_DEP_1) | instskip(SKIP_1) | instid1(VALU_DEP_2)
	v_ashrrev_i32_e32 v12, 31, v11
	v_add_co_u32 v11, vcc_lo, v20, v11
	v_add_co_ci_u32_e32 v12, vcc_lo, v21, v12, vcc_lo
.LBB1609_135:
	s_and_not1_saveexec_b32 s2, s2
	s_cbranch_execz .LBB1609_137
; %bb.136:
	s_waitcnt lgkmcnt(6)
	v_add_co_u32 v11, vcc_lo, v15, v33
	v_add_co_ci_u32_e32 v12, vcc_lo, 0, v17, vcc_lo
.LBB1609_137:
	s_or_b32 exec_lo, exec_lo, s2
	s_waitcnt lgkmcnt(6)
	s_delay_alu instid0(VALU_DEP_1) | instskip(NEXT) | instid1(VALU_DEP_1)
	v_lshlrev_b64 v[11:12], 2, v[11:12]
	v_add_co_u32 v11, vcc_lo, s10, v11
	s_delay_alu instid0(VALU_DEP_2) | instskip(SKIP_3) | instid1(SALU_CYCLE_1)
	v_add_co_ci_u32_e32 v12, vcc_lo, s11, v12, vcc_lo
	s_waitcnt lgkmcnt(5)
	global_store_b32 v[11:12], v9, off
	s_or_b32 exec_lo, exec_lo, s1
	s_mov_b32 s1, exec_lo
	v_cmpx_gt_u32_e64 s22, v32
	s_cbranch_execnz .LBB1609_169
.LBB1609_138:
	s_or_b32 exec_lo, exec_lo, s1
	s_delay_alu instid0(SALU_CYCLE_1)
	s_mov_b32 s1, exec_lo
	v_cmpx_gt_u32_e64 s22, v29
	s_cbranch_execz .LBB1609_174
.LBB1609_139:
	s_mov_b32 s2, exec_lo
                                        ; implicit-def: $vgpr9_vgpr10
	v_cmpx_ge_u32_e64 v29, v16
	s_xor_b32 s2, exec_lo, s2
	s_cbranch_execz .LBB1609_141
; %bb.140:
	s_waitcnt lgkmcnt(5)
	v_xor_b32_e32 v9, 0xfffffbff, v0
                                        ; implicit-def: $vgpr29
	s_delay_alu instid0(VALU_DEP_1) | instskip(SKIP_1) | instid1(VALU_DEP_2)
	v_ashrrev_i32_e32 v10, 31, v9
	v_add_co_u32 v9, vcc_lo, v20, v9
	v_add_co_ci_u32_e32 v10, vcc_lo, v21, v10, vcc_lo
.LBB1609_141:
	s_and_not1_saveexec_b32 s2, s2
	s_cbranch_execz .LBB1609_143
; %bb.142:
	s_waitcnt lgkmcnt(5)
	v_add_co_u32 v9, vcc_lo, v15, v29
	v_add_co_ci_u32_e32 v10, vcc_lo, 0, v17, vcc_lo
.LBB1609_143:
	s_or_b32 exec_lo, exec_lo, s2
	s_waitcnt lgkmcnt(5)
	s_delay_alu instid0(VALU_DEP_1) | instskip(NEXT) | instid1(VALU_DEP_1)
	v_lshlrev_b64 v[9:10], 2, v[9:10]
	v_add_co_u32 v9, vcc_lo, s10, v9
	s_delay_alu instid0(VALU_DEP_2) | instskip(SKIP_3) | instid1(SALU_CYCLE_1)
	v_add_co_ci_u32_e32 v10, vcc_lo, s11, v10, vcc_lo
	s_waitcnt lgkmcnt(4)
	global_store_b32 v[9:10], v7, off
	s_or_b32 exec_lo, exec_lo, s1
	s_mov_b32 s1, exec_lo
	v_cmpx_gt_u32_e64 s22, v28
	s_cbranch_execnz .LBB1609_175
.LBB1609_144:
	s_or_b32 exec_lo, exec_lo, s1
	s_delay_alu instid0(SALU_CYCLE_1)
	s_mov_b32 s1, exec_lo
	v_cmpx_gt_u32_e64 s22, v27
	s_cbranch_execz .LBB1609_180
.LBB1609_145:
	s_mov_b32 s2, exec_lo
                                        ; implicit-def: $vgpr7_vgpr8
	v_cmpx_ge_u32_e64 v27, v16
	s_xor_b32 s2, exec_lo, s2
	s_cbranch_execz .LBB1609_147
; %bb.146:
	s_waitcnt lgkmcnt(4)
	v_xor_b32_e32 v7, 0xfffff9ff, v0
                                        ; implicit-def: $vgpr27
	s_delay_alu instid0(VALU_DEP_1) | instskip(SKIP_1) | instid1(VALU_DEP_2)
	v_ashrrev_i32_e32 v8, 31, v7
	v_add_co_u32 v7, vcc_lo, v20, v7
	v_add_co_ci_u32_e32 v8, vcc_lo, v21, v8, vcc_lo
.LBB1609_147:
	s_and_not1_saveexec_b32 s2, s2
	s_cbranch_execz .LBB1609_149
; %bb.148:
	s_waitcnt lgkmcnt(4)
	v_add_co_u32 v7, vcc_lo, v15, v27
	v_add_co_ci_u32_e32 v8, vcc_lo, 0, v17, vcc_lo
.LBB1609_149:
	s_or_b32 exec_lo, exec_lo, s2
	s_waitcnt lgkmcnt(4)
	s_delay_alu instid0(VALU_DEP_1) | instskip(NEXT) | instid1(VALU_DEP_1)
	v_lshlrev_b64 v[7:8], 2, v[7:8]
	v_add_co_u32 v7, vcc_lo, s10, v7
	s_delay_alu instid0(VALU_DEP_2) | instskip(SKIP_3) | instid1(SALU_CYCLE_1)
	v_add_co_ci_u32_e32 v8, vcc_lo, s11, v8, vcc_lo
	s_waitcnt lgkmcnt(3)
	global_store_b32 v[7:8], v5, off
	s_or_b32 exec_lo, exec_lo, s1
	s_mov_b32 s1, exec_lo
	v_cmpx_gt_u32_e64 s22, v26
	s_cbranch_execnz .LBB1609_181
.LBB1609_150:
	s_or_b32 exec_lo, exec_lo, s1
	s_delay_alu instid0(SALU_CYCLE_1)
	s_mov_b32 s1, exec_lo
	v_cmpx_gt_u32_e64 s22, v25
	s_cbranch_execz .LBB1609_186
.LBB1609_151:
	s_mov_b32 s2, exec_lo
                                        ; implicit-def: $vgpr5_vgpr6
	v_cmpx_ge_u32_e64 v25, v16
	s_xor_b32 s2, exec_lo, s2
	s_cbranch_execz .LBB1609_153
; %bb.152:
	s_waitcnt lgkmcnt(3)
	v_xor_b32_e32 v5, 0xfffff7ff, v0
                                        ; implicit-def: $vgpr25
	s_delay_alu instid0(VALU_DEP_1) | instskip(SKIP_1) | instid1(VALU_DEP_2)
	v_ashrrev_i32_e32 v6, 31, v5
	v_add_co_u32 v5, vcc_lo, v20, v5
	v_add_co_ci_u32_e32 v6, vcc_lo, v21, v6, vcc_lo
.LBB1609_153:
	s_and_not1_saveexec_b32 s2, s2
	s_cbranch_execz .LBB1609_155
; %bb.154:
	s_waitcnt lgkmcnt(3)
	v_add_co_u32 v5, vcc_lo, v15, v25
	v_add_co_ci_u32_e32 v6, vcc_lo, 0, v17, vcc_lo
.LBB1609_155:
	s_or_b32 exec_lo, exec_lo, s2
	s_waitcnt lgkmcnt(3)
	s_delay_alu instid0(VALU_DEP_1) | instskip(NEXT) | instid1(VALU_DEP_1)
	v_lshlrev_b64 v[5:6], 2, v[5:6]
	v_add_co_u32 v5, vcc_lo, s10, v5
	s_delay_alu instid0(VALU_DEP_2) | instskip(SKIP_3) | instid1(SALU_CYCLE_1)
	v_add_co_ci_u32_e32 v6, vcc_lo, s11, v6, vcc_lo
	s_waitcnt lgkmcnt(2)
	global_store_b32 v[5:6], v3, off
	s_or_b32 exec_lo, exec_lo, s1
	s_mov_b32 s1, exec_lo
	v_cmpx_gt_u32_e64 s22, v24
	s_cbranch_execnz .LBB1609_187
.LBB1609_156:
	s_or_b32 exec_lo, exec_lo, s1
	s_delay_alu instid0(SALU_CYCLE_1)
	s_mov_b32 s1, exec_lo
	v_cmpx_gt_u32_e64 s22, v23
	s_cbranch_execz .LBB1609_192
.LBB1609_157:
	s_mov_b32 s2, exec_lo
                                        ; implicit-def: $vgpr3_vgpr4
	v_cmpx_ge_u32_e64 v23, v16
	s_xor_b32 s2, exec_lo, s2
	s_cbranch_execz .LBB1609_159
; %bb.158:
	s_waitcnt lgkmcnt(2)
	v_xor_b32_e32 v3, 0xfffff5ff, v0
                                        ; implicit-def: $vgpr23
	s_delay_alu instid0(VALU_DEP_1) | instskip(SKIP_1) | instid1(VALU_DEP_2)
	v_ashrrev_i32_e32 v4, 31, v3
	v_add_co_u32 v3, vcc_lo, v20, v3
	v_add_co_ci_u32_e32 v4, vcc_lo, v21, v4, vcc_lo
.LBB1609_159:
	s_and_not1_saveexec_b32 s2, s2
	s_cbranch_execz .LBB1609_161
; %bb.160:
	s_waitcnt lgkmcnt(2)
	v_add_co_u32 v3, vcc_lo, v15, v23
	v_add_co_ci_u32_e32 v4, vcc_lo, 0, v17, vcc_lo
.LBB1609_161:
	s_or_b32 exec_lo, exec_lo, s2
	s_waitcnt lgkmcnt(2)
	s_delay_alu instid0(VALU_DEP_1) | instskip(NEXT) | instid1(VALU_DEP_1)
	v_lshlrev_b64 v[3:4], 2, v[3:4]
	v_add_co_u32 v3, vcc_lo, s10, v3
	s_delay_alu instid0(VALU_DEP_2) | instskip(SKIP_3) | instid1(SALU_CYCLE_1)
	v_add_co_ci_u32_e32 v4, vcc_lo, s11, v4, vcc_lo
	s_waitcnt lgkmcnt(1)
	global_store_b32 v[3:4], v1, off
	s_or_b32 exec_lo, exec_lo, s1
	s_mov_b32 s1, exec_lo
	v_cmpx_gt_u32_e64 s22, v22
	s_cbranch_execz .LBB1609_198
	s_branch .LBB1609_193
.LBB1609_162:
	s_or_b32 exec_lo, exec_lo, s1
	s_delay_alu instid0(SALU_CYCLE_1)
	s_mov_b32 s1, exec_lo
	v_cmpx_gt_u32_e64 s22, v34
	s_cbranch_execz .LBB1609_132
.LBB1609_163:
	s_mov_b32 s2, exec_lo
                                        ; implicit-def: $vgpr13_vgpr14
	v_cmpx_ge_u32_e64 v34, v16
	s_xor_b32 s2, exec_lo, s2
	s_cbranch_execz .LBB1609_165
; %bb.164:
	s_waitcnt lgkmcnt(6)
	v_xor_b32_e32 v11, 0xfffffeff, v0
                                        ; implicit-def: $vgpr34
	s_delay_alu instid0(VALU_DEP_1) | instskip(SKIP_1) | instid1(VALU_DEP_2)
	v_ashrrev_i32_e32 v14, 31, v11
	v_add_co_u32 v13, vcc_lo, v20, v11
	v_add_co_ci_u32_e32 v14, vcc_lo, v21, v14, vcc_lo
.LBB1609_165:
	s_and_not1_saveexec_b32 s2, s2
; %bb.166:
	v_add_co_u32 v13, vcc_lo, v15, v34
	v_add_co_ci_u32_e32 v14, vcc_lo, 0, v17, vcc_lo
; %bb.167:
	s_or_b32 exec_lo, exec_lo, s2
	s_delay_alu instid0(VALU_DEP_1) | instskip(NEXT) | instid1(VALU_DEP_1)
	v_lshlrev_b64 v[13:14], 2, v[13:14]
	v_add_co_u32 v13, vcc_lo, s10, v13
	s_delay_alu instid0(VALU_DEP_2) | instskip(SKIP_3) | instid1(SALU_CYCLE_1)
	v_add_co_ci_u32_e32 v14, vcc_lo, s11, v14, vcc_lo
	s_waitcnt lgkmcnt(6)
	global_store_b32 v[13:14], v12, off
	s_or_b32 exec_lo, exec_lo, s1
	s_mov_b32 s1, exec_lo
	v_cmpx_gt_u32_e64 s22, v33
	s_cbranch_execnz .LBB1609_133
.LBB1609_168:
	s_or_b32 exec_lo, exec_lo, s1
	s_delay_alu instid0(SALU_CYCLE_1)
	s_mov_b32 s1, exec_lo
	v_cmpx_gt_u32_e64 s22, v32
	s_cbranch_execz .LBB1609_138
.LBB1609_169:
	s_mov_b32 s2, exec_lo
                                        ; implicit-def: $vgpr11_vgpr12
	v_cmpx_ge_u32_e64 v32, v16
	s_xor_b32 s2, exec_lo, s2
	s_cbranch_execz .LBB1609_171
; %bb.170:
	s_waitcnt lgkmcnt(5)
	v_xor_b32_e32 v9, 0xfffffcff, v0
                                        ; implicit-def: $vgpr32
	s_delay_alu instid0(VALU_DEP_1) | instskip(SKIP_1) | instid1(VALU_DEP_2)
	v_ashrrev_i32_e32 v12, 31, v9
	v_add_co_u32 v11, vcc_lo, v20, v9
	v_add_co_ci_u32_e32 v12, vcc_lo, v21, v12, vcc_lo
.LBB1609_171:
	s_and_not1_saveexec_b32 s2, s2
	s_cbranch_execz .LBB1609_173
; %bb.172:
	s_waitcnt lgkmcnt(6)
	v_add_co_u32 v11, vcc_lo, v15, v32
	v_add_co_ci_u32_e32 v12, vcc_lo, 0, v17, vcc_lo
.LBB1609_173:
	s_or_b32 exec_lo, exec_lo, s2
	s_waitcnt lgkmcnt(6)
	s_delay_alu instid0(VALU_DEP_1) | instskip(NEXT) | instid1(VALU_DEP_1)
	v_lshlrev_b64 v[11:12], 2, v[11:12]
	v_add_co_u32 v11, vcc_lo, s10, v11
	s_delay_alu instid0(VALU_DEP_2) | instskip(SKIP_3) | instid1(SALU_CYCLE_1)
	v_add_co_ci_u32_e32 v12, vcc_lo, s11, v12, vcc_lo
	s_waitcnt lgkmcnt(5)
	global_store_b32 v[11:12], v10, off
	s_or_b32 exec_lo, exec_lo, s1
	s_mov_b32 s1, exec_lo
	v_cmpx_gt_u32_e64 s22, v29
	s_cbranch_execnz .LBB1609_139
.LBB1609_174:
	s_or_b32 exec_lo, exec_lo, s1
	s_delay_alu instid0(SALU_CYCLE_1)
	s_mov_b32 s1, exec_lo
	v_cmpx_gt_u32_e64 s22, v28
	s_cbranch_execz .LBB1609_144
.LBB1609_175:
	s_mov_b32 s2, exec_lo
                                        ; implicit-def: $vgpr9_vgpr10
	v_cmpx_ge_u32_e64 v28, v16
	s_xor_b32 s2, exec_lo, s2
	s_cbranch_execz .LBB1609_177
; %bb.176:
	s_waitcnt lgkmcnt(4)
	v_xor_b32_e32 v7, 0xfffffaff, v0
                                        ; implicit-def: $vgpr28
	s_delay_alu instid0(VALU_DEP_1) | instskip(SKIP_1) | instid1(VALU_DEP_2)
	v_ashrrev_i32_e32 v10, 31, v7
	v_add_co_u32 v9, vcc_lo, v20, v7
	v_add_co_ci_u32_e32 v10, vcc_lo, v21, v10, vcc_lo
.LBB1609_177:
	s_and_not1_saveexec_b32 s2, s2
	s_cbranch_execz .LBB1609_179
; %bb.178:
	s_waitcnt lgkmcnt(5)
	v_add_co_u32 v9, vcc_lo, v15, v28
	v_add_co_ci_u32_e32 v10, vcc_lo, 0, v17, vcc_lo
.LBB1609_179:
	s_or_b32 exec_lo, exec_lo, s2
	s_waitcnt lgkmcnt(5)
	s_delay_alu instid0(VALU_DEP_1) | instskip(NEXT) | instid1(VALU_DEP_1)
	v_lshlrev_b64 v[9:10], 2, v[9:10]
	v_add_co_u32 v9, vcc_lo, s10, v9
	s_delay_alu instid0(VALU_DEP_2) | instskip(SKIP_3) | instid1(SALU_CYCLE_1)
	v_add_co_ci_u32_e32 v10, vcc_lo, s11, v10, vcc_lo
	s_waitcnt lgkmcnt(4)
	global_store_b32 v[9:10], v8, off
	s_or_b32 exec_lo, exec_lo, s1
	s_mov_b32 s1, exec_lo
	v_cmpx_gt_u32_e64 s22, v27
	s_cbranch_execnz .LBB1609_145
.LBB1609_180:
	s_or_b32 exec_lo, exec_lo, s1
	s_delay_alu instid0(SALU_CYCLE_1)
	s_mov_b32 s1, exec_lo
	v_cmpx_gt_u32_e64 s22, v26
	s_cbranch_execz .LBB1609_150
.LBB1609_181:
	s_mov_b32 s2, exec_lo
                                        ; implicit-def: $vgpr7_vgpr8
	v_cmpx_ge_u32_e64 v26, v16
	s_xor_b32 s2, exec_lo, s2
	s_cbranch_execz .LBB1609_183
; %bb.182:
	s_waitcnt lgkmcnt(3)
	v_xor_b32_e32 v5, 0xfffff8ff, v0
                                        ; implicit-def: $vgpr26
	s_delay_alu instid0(VALU_DEP_1) | instskip(SKIP_1) | instid1(VALU_DEP_2)
	v_ashrrev_i32_e32 v8, 31, v5
	v_add_co_u32 v7, vcc_lo, v20, v5
	v_add_co_ci_u32_e32 v8, vcc_lo, v21, v8, vcc_lo
.LBB1609_183:
	s_and_not1_saveexec_b32 s2, s2
	s_cbranch_execz .LBB1609_185
; %bb.184:
	s_waitcnt lgkmcnt(4)
	v_add_co_u32 v7, vcc_lo, v15, v26
	v_add_co_ci_u32_e32 v8, vcc_lo, 0, v17, vcc_lo
.LBB1609_185:
	s_or_b32 exec_lo, exec_lo, s2
	s_waitcnt lgkmcnt(4)
	s_delay_alu instid0(VALU_DEP_1) | instskip(NEXT) | instid1(VALU_DEP_1)
	v_lshlrev_b64 v[7:8], 2, v[7:8]
	v_add_co_u32 v7, vcc_lo, s10, v7
	s_delay_alu instid0(VALU_DEP_2) | instskip(SKIP_3) | instid1(SALU_CYCLE_1)
	v_add_co_ci_u32_e32 v8, vcc_lo, s11, v8, vcc_lo
	s_waitcnt lgkmcnt(3)
	global_store_b32 v[7:8], v6, off
	s_or_b32 exec_lo, exec_lo, s1
	s_mov_b32 s1, exec_lo
	v_cmpx_gt_u32_e64 s22, v25
	s_cbranch_execnz .LBB1609_151
.LBB1609_186:
	s_or_b32 exec_lo, exec_lo, s1
	s_delay_alu instid0(SALU_CYCLE_1)
	s_mov_b32 s1, exec_lo
	v_cmpx_gt_u32_e64 s22, v24
	s_cbranch_execz .LBB1609_156
.LBB1609_187:
	s_mov_b32 s2, exec_lo
                                        ; implicit-def: $vgpr5_vgpr6
	v_cmpx_ge_u32_e64 v24, v16
	s_xor_b32 s2, exec_lo, s2
	s_cbranch_execz .LBB1609_189
; %bb.188:
	s_waitcnt lgkmcnt(2)
	v_xor_b32_e32 v3, 0xfffff6ff, v0
                                        ; implicit-def: $vgpr24
	s_delay_alu instid0(VALU_DEP_1) | instskip(SKIP_1) | instid1(VALU_DEP_2)
	v_ashrrev_i32_e32 v6, 31, v3
	v_add_co_u32 v5, vcc_lo, v20, v3
	v_add_co_ci_u32_e32 v6, vcc_lo, v21, v6, vcc_lo
.LBB1609_189:
	s_and_not1_saveexec_b32 s2, s2
	s_cbranch_execz .LBB1609_191
; %bb.190:
	s_waitcnt lgkmcnt(3)
	v_add_co_u32 v5, vcc_lo, v15, v24
	v_add_co_ci_u32_e32 v6, vcc_lo, 0, v17, vcc_lo
.LBB1609_191:
	s_or_b32 exec_lo, exec_lo, s2
	s_waitcnt lgkmcnt(3)
	s_delay_alu instid0(VALU_DEP_1) | instskip(NEXT) | instid1(VALU_DEP_1)
	v_lshlrev_b64 v[5:6], 2, v[5:6]
	v_add_co_u32 v5, vcc_lo, s10, v5
	s_delay_alu instid0(VALU_DEP_2) | instskip(SKIP_3) | instid1(SALU_CYCLE_1)
	v_add_co_ci_u32_e32 v6, vcc_lo, s11, v6, vcc_lo
	s_waitcnt lgkmcnt(2)
	global_store_b32 v[5:6], v4, off
	s_or_b32 exec_lo, exec_lo, s1
	s_mov_b32 s1, exec_lo
	v_cmpx_gt_u32_e64 s22, v23
	s_cbranch_execnz .LBB1609_157
.LBB1609_192:
	s_or_b32 exec_lo, exec_lo, s1
	s_delay_alu instid0(SALU_CYCLE_1)
	s_mov_b32 s1, exec_lo
	v_cmpx_gt_u32_e64 s22, v22
	s_cbranch_execz .LBB1609_198
.LBB1609_193:
	s_mov_b32 s2, exec_lo
                                        ; implicit-def: $vgpr3_vgpr4
	v_cmpx_ge_u32_e64 v22, v16
	s_xor_b32 s2, exec_lo, s2
	s_cbranch_execz .LBB1609_195
; %bb.194:
	s_waitcnt lgkmcnt(1)
	v_xor_b32_e32 v1, 0xfffff4ff, v0
                                        ; implicit-def: $vgpr22
	s_delay_alu instid0(VALU_DEP_1) | instskip(SKIP_1) | instid1(VALU_DEP_2)
	v_ashrrev_i32_e32 v4, 31, v1
	v_add_co_u32 v3, vcc_lo, v20, v1
	v_add_co_ci_u32_e32 v4, vcc_lo, v21, v4, vcc_lo
.LBB1609_195:
	s_and_not1_saveexec_b32 s2, s2
	s_cbranch_execz .LBB1609_197
; %bb.196:
	s_waitcnt lgkmcnt(2)
	v_add_co_u32 v3, vcc_lo, v15, v22
	v_add_co_ci_u32_e32 v4, vcc_lo, 0, v17, vcc_lo
.LBB1609_197:
	s_or_b32 exec_lo, exec_lo, s2
	s_waitcnt lgkmcnt(2)
	s_delay_alu instid0(VALU_DEP_1) | instskip(NEXT) | instid1(VALU_DEP_1)
	v_lshlrev_b64 v[3:4], 2, v[3:4]
	v_add_co_u32 v3, vcc_lo, s10, v3
	s_delay_alu instid0(VALU_DEP_2)
	v_add_co_ci_u32_e32 v4, vcc_lo, s11, v4, vcc_lo
	s_waitcnt lgkmcnt(1)
	global_store_b32 v[3:4], v2, off
.LBB1609_198:
	s_or_b32 exec_lo, exec_lo, s1
	s_delay_alu instid0(SALU_CYCLE_1)
	s_mov_b32 s1, exec_lo
                                        ; implicit-def: $vgpr13_vgpr14
	v_cmpx_gt_u32_e64 s22, v19
	s_cbranch_execz .LBB1609_204
; %bb.199:
	s_mov_b32 s2, exec_lo
                                        ; implicit-def: $vgpr13_vgpr14
	v_cmpx_ge_u32_e64 v19, v16
	s_xor_b32 s2, exec_lo, s2
	s_cbranch_execz .LBB1609_201
; %bb.200:
	s_waitcnt lgkmcnt(1)
	v_xor_b32_e32 v1, 0xfffff3ff, v0
                                        ; implicit-def: $vgpr19
	s_delay_alu instid0(VALU_DEP_1) | instskip(SKIP_1) | instid1(VALU_DEP_2)
	v_ashrrev_i32_e32 v2, 31, v1
	v_add_co_u32 v13, vcc_lo, v20, v1
	v_add_co_ci_u32_e32 v14, vcc_lo, v21, v2, vcc_lo
.LBB1609_201:
	s_and_not1_saveexec_b32 s2, s2
; %bb.202:
	v_add_co_u32 v13, vcc_lo, v15, v19
	v_add_co_ci_u32_e32 v14, vcc_lo, 0, v17, vcc_lo
; %bb.203:
	s_or_b32 exec_lo, exec_lo, s2
	s_delay_alu instid0(SALU_CYCLE_1)
	s_or_b32 s0, s0, exec_lo
.LBB1609_204:
	s_or_b32 exec_lo, exec_lo, s1
.LBB1609_205:
	s_and_saveexec_b32 s1, s0
	s_cbranch_execz .LBB1609_207
; %bb.206:
	s_waitcnt lgkmcnt(1)
	v_lshlrev_b64 v[1:2], 2, v[13:14]
	s_delay_alu instid0(VALU_DEP_1) | instskip(NEXT) | instid1(VALU_DEP_2)
	v_add_co_u32 v1, vcc_lo, s10, v1
	v_add_co_ci_u32_e32 v2, vcc_lo, s11, v2, vcc_lo
	s_waitcnt lgkmcnt(0)
	global_store_b32 v[1:2], v18, off
.LBB1609_207:
	s_or_b32 exec_lo, exec_lo, s1
	v_cmp_eq_u32_e32 vcc_lo, 0, v0
	s_and_b32 s0, vcc_lo, s14
	s_delay_alu instid0(SALU_CYCLE_1)
	s_and_saveexec_b32 s1, s0
	s_cbranch_execz .LBB1609_209
; %bb.208:
	v_add_co_u32 v0, vcc_lo, v15, v16
	s_waitcnt lgkmcnt(1)
	v_mov_b32_e32 v2, 0
	v_add_co_ci_u32_e32 v1, vcc_lo, 0, v17, vcc_lo
	global_store_b64 v2, v[0:1], s[8:9]
.LBB1609_209:
	s_nop 0
	s_sendmsg sendmsg(MSG_DEALLOC_VGPRS)
	s_endpgm
	.section	.rodata,"a",@progbits
	.p2align	6, 0x0
	.amdhsa_kernel _ZN7rocprim17ROCPRIM_400000_NS6detail17trampoline_kernelINS0_13select_configILj256ELj13ELNS0_17block_load_methodE3ELS4_3ELS4_3ELNS0_20block_scan_algorithmE0ELj4294967295EEENS1_25partition_config_selectorILNS1_17partition_subalgoE3EjNS0_10empty_typeEbEEZZNS1_14partition_implILS8_3ELb0ES6_jNS0_17counting_iteratorIjlEEPS9_SE_NS0_5tupleIJPjSE_EEENSF_IJSE_SE_EEES9_SG_JZNS1_25segmented_radix_sort_implINS0_14default_configELb0EPKbPbPKlPlN2at6native12_GLOBAL__N_18offset_tEEE10hipError_tPvRmT1_PNSt15iterator_traitsISY_E10value_typeET2_T3_PNSZ_IS14_E10value_typeET4_jRbjT5_S1A_jjP12ihipStream_tbEUljE_EEESV_SW_SX_S14_S18_S1A_T6_T7_T9_mT8_S1C_bDpT10_ENKUlT_T0_E_clISt17integral_constantIbLb0EES1P_EEDaS1K_S1L_EUlS1K_E_NS1_11comp_targetILNS1_3genE9ELNS1_11target_archE1100ELNS1_3gpuE3ELNS1_3repE0EEENS1_30default_config_static_selectorELNS0_4arch9wavefront6targetE0EEEvSY_
		.amdhsa_group_segment_fixed_size 13324
		.amdhsa_private_segment_fixed_size 0
		.amdhsa_kernarg_size 144
		.amdhsa_user_sgpr_count 15
		.amdhsa_user_sgpr_dispatch_ptr 0
		.amdhsa_user_sgpr_queue_ptr 0
		.amdhsa_user_sgpr_kernarg_segment_ptr 1
		.amdhsa_user_sgpr_dispatch_id 0
		.amdhsa_user_sgpr_private_segment_size 0
		.amdhsa_wavefront_size32 1
		.amdhsa_uses_dynamic_stack 0
		.amdhsa_enable_private_segment 0
		.amdhsa_system_sgpr_workgroup_id_x 1
		.amdhsa_system_sgpr_workgroup_id_y 0
		.amdhsa_system_sgpr_workgroup_id_z 0
		.amdhsa_system_sgpr_workgroup_info 0
		.amdhsa_system_vgpr_workitem_id 0
		.amdhsa_next_free_vgpr 57
		.amdhsa_next_free_sgpr 28
		.amdhsa_reserve_vcc 1
		.amdhsa_float_round_mode_32 0
		.amdhsa_float_round_mode_16_64 0
		.amdhsa_float_denorm_mode_32 3
		.amdhsa_float_denorm_mode_16_64 3
		.amdhsa_dx10_clamp 1
		.amdhsa_ieee_mode 1
		.amdhsa_fp16_overflow 0
		.amdhsa_workgroup_processor_mode 1
		.amdhsa_memory_ordered 1
		.amdhsa_forward_progress 0
		.amdhsa_shared_vgpr_count 0
		.amdhsa_exception_fp_ieee_invalid_op 0
		.amdhsa_exception_fp_denorm_src 0
		.amdhsa_exception_fp_ieee_div_zero 0
		.amdhsa_exception_fp_ieee_overflow 0
		.amdhsa_exception_fp_ieee_underflow 0
		.amdhsa_exception_fp_ieee_inexact 0
		.amdhsa_exception_int_div_zero 0
	.end_amdhsa_kernel
	.section	.text._ZN7rocprim17ROCPRIM_400000_NS6detail17trampoline_kernelINS0_13select_configILj256ELj13ELNS0_17block_load_methodE3ELS4_3ELS4_3ELNS0_20block_scan_algorithmE0ELj4294967295EEENS1_25partition_config_selectorILNS1_17partition_subalgoE3EjNS0_10empty_typeEbEEZZNS1_14partition_implILS8_3ELb0ES6_jNS0_17counting_iteratorIjlEEPS9_SE_NS0_5tupleIJPjSE_EEENSF_IJSE_SE_EEES9_SG_JZNS1_25segmented_radix_sort_implINS0_14default_configELb0EPKbPbPKlPlN2at6native12_GLOBAL__N_18offset_tEEE10hipError_tPvRmT1_PNSt15iterator_traitsISY_E10value_typeET2_T3_PNSZ_IS14_E10value_typeET4_jRbjT5_S1A_jjP12ihipStream_tbEUljE_EEESV_SW_SX_S14_S18_S1A_T6_T7_T9_mT8_S1C_bDpT10_ENKUlT_T0_E_clISt17integral_constantIbLb0EES1P_EEDaS1K_S1L_EUlS1K_E_NS1_11comp_targetILNS1_3genE9ELNS1_11target_archE1100ELNS1_3gpuE3ELNS1_3repE0EEENS1_30default_config_static_selectorELNS0_4arch9wavefront6targetE0EEEvSY_,"axG",@progbits,_ZN7rocprim17ROCPRIM_400000_NS6detail17trampoline_kernelINS0_13select_configILj256ELj13ELNS0_17block_load_methodE3ELS4_3ELS4_3ELNS0_20block_scan_algorithmE0ELj4294967295EEENS1_25partition_config_selectorILNS1_17partition_subalgoE3EjNS0_10empty_typeEbEEZZNS1_14partition_implILS8_3ELb0ES6_jNS0_17counting_iteratorIjlEEPS9_SE_NS0_5tupleIJPjSE_EEENSF_IJSE_SE_EEES9_SG_JZNS1_25segmented_radix_sort_implINS0_14default_configELb0EPKbPbPKlPlN2at6native12_GLOBAL__N_18offset_tEEE10hipError_tPvRmT1_PNSt15iterator_traitsISY_E10value_typeET2_T3_PNSZ_IS14_E10value_typeET4_jRbjT5_S1A_jjP12ihipStream_tbEUljE_EEESV_SW_SX_S14_S18_S1A_T6_T7_T9_mT8_S1C_bDpT10_ENKUlT_T0_E_clISt17integral_constantIbLb0EES1P_EEDaS1K_S1L_EUlS1K_E_NS1_11comp_targetILNS1_3genE9ELNS1_11target_archE1100ELNS1_3gpuE3ELNS1_3repE0EEENS1_30default_config_static_selectorELNS0_4arch9wavefront6targetE0EEEvSY_,comdat
.Lfunc_end1609:
	.size	_ZN7rocprim17ROCPRIM_400000_NS6detail17trampoline_kernelINS0_13select_configILj256ELj13ELNS0_17block_load_methodE3ELS4_3ELS4_3ELNS0_20block_scan_algorithmE0ELj4294967295EEENS1_25partition_config_selectorILNS1_17partition_subalgoE3EjNS0_10empty_typeEbEEZZNS1_14partition_implILS8_3ELb0ES6_jNS0_17counting_iteratorIjlEEPS9_SE_NS0_5tupleIJPjSE_EEENSF_IJSE_SE_EEES9_SG_JZNS1_25segmented_radix_sort_implINS0_14default_configELb0EPKbPbPKlPlN2at6native12_GLOBAL__N_18offset_tEEE10hipError_tPvRmT1_PNSt15iterator_traitsISY_E10value_typeET2_T3_PNSZ_IS14_E10value_typeET4_jRbjT5_S1A_jjP12ihipStream_tbEUljE_EEESV_SW_SX_S14_S18_S1A_T6_T7_T9_mT8_S1C_bDpT10_ENKUlT_T0_E_clISt17integral_constantIbLb0EES1P_EEDaS1K_S1L_EUlS1K_E_NS1_11comp_targetILNS1_3genE9ELNS1_11target_archE1100ELNS1_3gpuE3ELNS1_3repE0EEENS1_30default_config_static_selectorELNS0_4arch9wavefront6targetE0EEEvSY_, .Lfunc_end1609-_ZN7rocprim17ROCPRIM_400000_NS6detail17trampoline_kernelINS0_13select_configILj256ELj13ELNS0_17block_load_methodE3ELS4_3ELS4_3ELNS0_20block_scan_algorithmE0ELj4294967295EEENS1_25partition_config_selectorILNS1_17partition_subalgoE3EjNS0_10empty_typeEbEEZZNS1_14partition_implILS8_3ELb0ES6_jNS0_17counting_iteratorIjlEEPS9_SE_NS0_5tupleIJPjSE_EEENSF_IJSE_SE_EEES9_SG_JZNS1_25segmented_radix_sort_implINS0_14default_configELb0EPKbPbPKlPlN2at6native12_GLOBAL__N_18offset_tEEE10hipError_tPvRmT1_PNSt15iterator_traitsISY_E10value_typeET2_T3_PNSZ_IS14_E10value_typeET4_jRbjT5_S1A_jjP12ihipStream_tbEUljE_EEESV_SW_SX_S14_S18_S1A_T6_T7_T9_mT8_S1C_bDpT10_ENKUlT_T0_E_clISt17integral_constantIbLb0EES1P_EEDaS1K_S1L_EUlS1K_E_NS1_11comp_targetILNS1_3genE9ELNS1_11target_archE1100ELNS1_3gpuE3ELNS1_3repE0EEENS1_30default_config_static_selectorELNS0_4arch9wavefront6targetE0EEEvSY_
                                        ; -- End function
	.section	.AMDGPU.csdata,"",@progbits
; Kernel info:
; codeLenInByte = 8864
; NumSgprs: 30
; NumVgprs: 57
; ScratchSize: 0
; MemoryBound: 0
; FloatMode: 240
; IeeeMode: 1
; LDSByteSize: 13324 bytes/workgroup (compile time only)
; SGPRBlocks: 3
; VGPRBlocks: 7
; NumSGPRsForWavesPerEU: 30
; NumVGPRsForWavesPerEU: 57
; Occupancy: 16
; WaveLimiterHint : 0
; COMPUTE_PGM_RSRC2:SCRATCH_EN: 0
; COMPUTE_PGM_RSRC2:USER_SGPR: 15
; COMPUTE_PGM_RSRC2:TRAP_HANDLER: 0
; COMPUTE_PGM_RSRC2:TGID_X_EN: 1
; COMPUTE_PGM_RSRC2:TGID_Y_EN: 0
; COMPUTE_PGM_RSRC2:TGID_Z_EN: 0
; COMPUTE_PGM_RSRC2:TIDIG_COMP_CNT: 0
	.section	.text._ZN7rocprim17ROCPRIM_400000_NS6detail17trampoline_kernelINS0_13select_configILj256ELj13ELNS0_17block_load_methodE3ELS4_3ELS4_3ELNS0_20block_scan_algorithmE0ELj4294967295EEENS1_25partition_config_selectorILNS1_17partition_subalgoE3EjNS0_10empty_typeEbEEZZNS1_14partition_implILS8_3ELb0ES6_jNS0_17counting_iteratorIjlEEPS9_SE_NS0_5tupleIJPjSE_EEENSF_IJSE_SE_EEES9_SG_JZNS1_25segmented_radix_sort_implINS0_14default_configELb0EPKbPbPKlPlN2at6native12_GLOBAL__N_18offset_tEEE10hipError_tPvRmT1_PNSt15iterator_traitsISY_E10value_typeET2_T3_PNSZ_IS14_E10value_typeET4_jRbjT5_S1A_jjP12ihipStream_tbEUljE_EEESV_SW_SX_S14_S18_S1A_T6_T7_T9_mT8_S1C_bDpT10_ENKUlT_T0_E_clISt17integral_constantIbLb0EES1P_EEDaS1K_S1L_EUlS1K_E_NS1_11comp_targetILNS1_3genE8ELNS1_11target_archE1030ELNS1_3gpuE2ELNS1_3repE0EEENS1_30default_config_static_selectorELNS0_4arch9wavefront6targetE0EEEvSY_,"axG",@progbits,_ZN7rocprim17ROCPRIM_400000_NS6detail17trampoline_kernelINS0_13select_configILj256ELj13ELNS0_17block_load_methodE3ELS4_3ELS4_3ELNS0_20block_scan_algorithmE0ELj4294967295EEENS1_25partition_config_selectorILNS1_17partition_subalgoE3EjNS0_10empty_typeEbEEZZNS1_14partition_implILS8_3ELb0ES6_jNS0_17counting_iteratorIjlEEPS9_SE_NS0_5tupleIJPjSE_EEENSF_IJSE_SE_EEES9_SG_JZNS1_25segmented_radix_sort_implINS0_14default_configELb0EPKbPbPKlPlN2at6native12_GLOBAL__N_18offset_tEEE10hipError_tPvRmT1_PNSt15iterator_traitsISY_E10value_typeET2_T3_PNSZ_IS14_E10value_typeET4_jRbjT5_S1A_jjP12ihipStream_tbEUljE_EEESV_SW_SX_S14_S18_S1A_T6_T7_T9_mT8_S1C_bDpT10_ENKUlT_T0_E_clISt17integral_constantIbLb0EES1P_EEDaS1K_S1L_EUlS1K_E_NS1_11comp_targetILNS1_3genE8ELNS1_11target_archE1030ELNS1_3gpuE2ELNS1_3repE0EEENS1_30default_config_static_selectorELNS0_4arch9wavefront6targetE0EEEvSY_,comdat
	.globl	_ZN7rocprim17ROCPRIM_400000_NS6detail17trampoline_kernelINS0_13select_configILj256ELj13ELNS0_17block_load_methodE3ELS4_3ELS4_3ELNS0_20block_scan_algorithmE0ELj4294967295EEENS1_25partition_config_selectorILNS1_17partition_subalgoE3EjNS0_10empty_typeEbEEZZNS1_14partition_implILS8_3ELb0ES6_jNS0_17counting_iteratorIjlEEPS9_SE_NS0_5tupleIJPjSE_EEENSF_IJSE_SE_EEES9_SG_JZNS1_25segmented_radix_sort_implINS0_14default_configELb0EPKbPbPKlPlN2at6native12_GLOBAL__N_18offset_tEEE10hipError_tPvRmT1_PNSt15iterator_traitsISY_E10value_typeET2_T3_PNSZ_IS14_E10value_typeET4_jRbjT5_S1A_jjP12ihipStream_tbEUljE_EEESV_SW_SX_S14_S18_S1A_T6_T7_T9_mT8_S1C_bDpT10_ENKUlT_T0_E_clISt17integral_constantIbLb0EES1P_EEDaS1K_S1L_EUlS1K_E_NS1_11comp_targetILNS1_3genE8ELNS1_11target_archE1030ELNS1_3gpuE2ELNS1_3repE0EEENS1_30default_config_static_selectorELNS0_4arch9wavefront6targetE0EEEvSY_ ; -- Begin function _ZN7rocprim17ROCPRIM_400000_NS6detail17trampoline_kernelINS0_13select_configILj256ELj13ELNS0_17block_load_methodE3ELS4_3ELS4_3ELNS0_20block_scan_algorithmE0ELj4294967295EEENS1_25partition_config_selectorILNS1_17partition_subalgoE3EjNS0_10empty_typeEbEEZZNS1_14partition_implILS8_3ELb0ES6_jNS0_17counting_iteratorIjlEEPS9_SE_NS0_5tupleIJPjSE_EEENSF_IJSE_SE_EEES9_SG_JZNS1_25segmented_radix_sort_implINS0_14default_configELb0EPKbPbPKlPlN2at6native12_GLOBAL__N_18offset_tEEE10hipError_tPvRmT1_PNSt15iterator_traitsISY_E10value_typeET2_T3_PNSZ_IS14_E10value_typeET4_jRbjT5_S1A_jjP12ihipStream_tbEUljE_EEESV_SW_SX_S14_S18_S1A_T6_T7_T9_mT8_S1C_bDpT10_ENKUlT_T0_E_clISt17integral_constantIbLb0EES1P_EEDaS1K_S1L_EUlS1K_E_NS1_11comp_targetILNS1_3genE8ELNS1_11target_archE1030ELNS1_3gpuE2ELNS1_3repE0EEENS1_30default_config_static_selectorELNS0_4arch9wavefront6targetE0EEEvSY_
	.p2align	8
	.type	_ZN7rocprim17ROCPRIM_400000_NS6detail17trampoline_kernelINS0_13select_configILj256ELj13ELNS0_17block_load_methodE3ELS4_3ELS4_3ELNS0_20block_scan_algorithmE0ELj4294967295EEENS1_25partition_config_selectorILNS1_17partition_subalgoE3EjNS0_10empty_typeEbEEZZNS1_14partition_implILS8_3ELb0ES6_jNS0_17counting_iteratorIjlEEPS9_SE_NS0_5tupleIJPjSE_EEENSF_IJSE_SE_EEES9_SG_JZNS1_25segmented_radix_sort_implINS0_14default_configELb0EPKbPbPKlPlN2at6native12_GLOBAL__N_18offset_tEEE10hipError_tPvRmT1_PNSt15iterator_traitsISY_E10value_typeET2_T3_PNSZ_IS14_E10value_typeET4_jRbjT5_S1A_jjP12ihipStream_tbEUljE_EEESV_SW_SX_S14_S18_S1A_T6_T7_T9_mT8_S1C_bDpT10_ENKUlT_T0_E_clISt17integral_constantIbLb0EES1P_EEDaS1K_S1L_EUlS1K_E_NS1_11comp_targetILNS1_3genE8ELNS1_11target_archE1030ELNS1_3gpuE2ELNS1_3repE0EEENS1_30default_config_static_selectorELNS0_4arch9wavefront6targetE0EEEvSY_,@function
_ZN7rocprim17ROCPRIM_400000_NS6detail17trampoline_kernelINS0_13select_configILj256ELj13ELNS0_17block_load_methodE3ELS4_3ELS4_3ELNS0_20block_scan_algorithmE0ELj4294967295EEENS1_25partition_config_selectorILNS1_17partition_subalgoE3EjNS0_10empty_typeEbEEZZNS1_14partition_implILS8_3ELb0ES6_jNS0_17counting_iteratorIjlEEPS9_SE_NS0_5tupleIJPjSE_EEENSF_IJSE_SE_EEES9_SG_JZNS1_25segmented_radix_sort_implINS0_14default_configELb0EPKbPbPKlPlN2at6native12_GLOBAL__N_18offset_tEEE10hipError_tPvRmT1_PNSt15iterator_traitsISY_E10value_typeET2_T3_PNSZ_IS14_E10value_typeET4_jRbjT5_S1A_jjP12ihipStream_tbEUljE_EEESV_SW_SX_S14_S18_S1A_T6_T7_T9_mT8_S1C_bDpT10_ENKUlT_T0_E_clISt17integral_constantIbLb0EES1P_EEDaS1K_S1L_EUlS1K_E_NS1_11comp_targetILNS1_3genE8ELNS1_11target_archE1030ELNS1_3gpuE2ELNS1_3repE0EEENS1_30default_config_static_selectorELNS0_4arch9wavefront6targetE0EEEvSY_: ; @_ZN7rocprim17ROCPRIM_400000_NS6detail17trampoline_kernelINS0_13select_configILj256ELj13ELNS0_17block_load_methodE3ELS4_3ELS4_3ELNS0_20block_scan_algorithmE0ELj4294967295EEENS1_25partition_config_selectorILNS1_17partition_subalgoE3EjNS0_10empty_typeEbEEZZNS1_14partition_implILS8_3ELb0ES6_jNS0_17counting_iteratorIjlEEPS9_SE_NS0_5tupleIJPjSE_EEENSF_IJSE_SE_EEES9_SG_JZNS1_25segmented_radix_sort_implINS0_14default_configELb0EPKbPbPKlPlN2at6native12_GLOBAL__N_18offset_tEEE10hipError_tPvRmT1_PNSt15iterator_traitsISY_E10value_typeET2_T3_PNSZ_IS14_E10value_typeET4_jRbjT5_S1A_jjP12ihipStream_tbEUljE_EEESV_SW_SX_S14_S18_S1A_T6_T7_T9_mT8_S1C_bDpT10_ENKUlT_T0_E_clISt17integral_constantIbLb0EES1P_EEDaS1K_S1L_EUlS1K_E_NS1_11comp_targetILNS1_3genE8ELNS1_11target_archE1030ELNS1_3gpuE2ELNS1_3repE0EEENS1_30default_config_static_selectorELNS0_4arch9wavefront6targetE0EEEvSY_
; %bb.0:
	.section	.rodata,"a",@progbits
	.p2align	6, 0x0
	.amdhsa_kernel _ZN7rocprim17ROCPRIM_400000_NS6detail17trampoline_kernelINS0_13select_configILj256ELj13ELNS0_17block_load_methodE3ELS4_3ELS4_3ELNS0_20block_scan_algorithmE0ELj4294967295EEENS1_25partition_config_selectorILNS1_17partition_subalgoE3EjNS0_10empty_typeEbEEZZNS1_14partition_implILS8_3ELb0ES6_jNS0_17counting_iteratorIjlEEPS9_SE_NS0_5tupleIJPjSE_EEENSF_IJSE_SE_EEES9_SG_JZNS1_25segmented_radix_sort_implINS0_14default_configELb0EPKbPbPKlPlN2at6native12_GLOBAL__N_18offset_tEEE10hipError_tPvRmT1_PNSt15iterator_traitsISY_E10value_typeET2_T3_PNSZ_IS14_E10value_typeET4_jRbjT5_S1A_jjP12ihipStream_tbEUljE_EEESV_SW_SX_S14_S18_S1A_T6_T7_T9_mT8_S1C_bDpT10_ENKUlT_T0_E_clISt17integral_constantIbLb0EES1P_EEDaS1K_S1L_EUlS1K_E_NS1_11comp_targetILNS1_3genE8ELNS1_11target_archE1030ELNS1_3gpuE2ELNS1_3repE0EEENS1_30default_config_static_selectorELNS0_4arch9wavefront6targetE0EEEvSY_
		.amdhsa_group_segment_fixed_size 0
		.amdhsa_private_segment_fixed_size 0
		.amdhsa_kernarg_size 144
		.amdhsa_user_sgpr_count 15
		.amdhsa_user_sgpr_dispatch_ptr 0
		.amdhsa_user_sgpr_queue_ptr 0
		.amdhsa_user_sgpr_kernarg_segment_ptr 1
		.amdhsa_user_sgpr_dispatch_id 0
		.amdhsa_user_sgpr_private_segment_size 0
		.amdhsa_wavefront_size32 1
		.amdhsa_uses_dynamic_stack 0
		.amdhsa_enable_private_segment 0
		.amdhsa_system_sgpr_workgroup_id_x 1
		.amdhsa_system_sgpr_workgroup_id_y 0
		.amdhsa_system_sgpr_workgroup_id_z 0
		.amdhsa_system_sgpr_workgroup_info 0
		.amdhsa_system_vgpr_workitem_id 0
		.amdhsa_next_free_vgpr 1
		.amdhsa_next_free_sgpr 1
		.amdhsa_reserve_vcc 0
		.amdhsa_float_round_mode_32 0
		.amdhsa_float_round_mode_16_64 0
		.amdhsa_float_denorm_mode_32 3
		.amdhsa_float_denorm_mode_16_64 3
		.amdhsa_dx10_clamp 1
		.amdhsa_ieee_mode 1
		.amdhsa_fp16_overflow 0
		.amdhsa_workgroup_processor_mode 1
		.amdhsa_memory_ordered 1
		.amdhsa_forward_progress 0
		.amdhsa_shared_vgpr_count 0
		.amdhsa_exception_fp_ieee_invalid_op 0
		.amdhsa_exception_fp_denorm_src 0
		.amdhsa_exception_fp_ieee_div_zero 0
		.amdhsa_exception_fp_ieee_overflow 0
		.amdhsa_exception_fp_ieee_underflow 0
		.amdhsa_exception_fp_ieee_inexact 0
		.amdhsa_exception_int_div_zero 0
	.end_amdhsa_kernel
	.section	.text._ZN7rocprim17ROCPRIM_400000_NS6detail17trampoline_kernelINS0_13select_configILj256ELj13ELNS0_17block_load_methodE3ELS4_3ELS4_3ELNS0_20block_scan_algorithmE0ELj4294967295EEENS1_25partition_config_selectorILNS1_17partition_subalgoE3EjNS0_10empty_typeEbEEZZNS1_14partition_implILS8_3ELb0ES6_jNS0_17counting_iteratorIjlEEPS9_SE_NS0_5tupleIJPjSE_EEENSF_IJSE_SE_EEES9_SG_JZNS1_25segmented_radix_sort_implINS0_14default_configELb0EPKbPbPKlPlN2at6native12_GLOBAL__N_18offset_tEEE10hipError_tPvRmT1_PNSt15iterator_traitsISY_E10value_typeET2_T3_PNSZ_IS14_E10value_typeET4_jRbjT5_S1A_jjP12ihipStream_tbEUljE_EEESV_SW_SX_S14_S18_S1A_T6_T7_T9_mT8_S1C_bDpT10_ENKUlT_T0_E_clISt17integral_constantIbLb0EES1P_EEDaS1K_S1L_EUlS1K_E_NS1_11comp_targetILNS1_3genE8ELNS1_11target_archE1030ELNS1_3gpuE2ELNS1_3repE0EEENS1_30default_config_static_selectorELNS0_4arch9wavefront6targetE0EEEvSY_,"axG",@progbits,_ZN7rocprim17ROCPRIM_400000_NS6detail17trampoline_kernelINS0_13select_configILj256ELj13ELNS0_17block_load_methodE3ELS4_3ELS4_3ELNS0_20block_scan_algorithmE0ELj4294967295EEENS1_25partition_config_selectorILNS1_17partition_subalgoE3EjNS0_10empty_typeEbEEZZNS1_14partition_implILS8_3ELb0ES6_jNS0_17counting_iteratorIjlEEPS9_SE_NS0_5tupleIJPjSE_EEENSF_IJSE_SE_EEES9_SG_JZNS1_25segmented_radix_sort_implINS0_14default_configELb0EPKbPbPKlPlN2at6native12_GLOBAL__N_18offset_tEEE10hipError_tPvRmT1_PNSt15iterator_traitsISY_E10value_typeET2_T3_PNSZ_IS14_E10value_typeET4_jRbjT5_S1A_jjP12ihipStream_tbEUljE_EEESV_SW_SX_S14_S18_S1A_T6_T7_T9_mT8_S1C_bDpT10_ENKUlT_T0_E_clISt17integral_constantIbLb0EES1P_EEDaS1K_S1L_EUlS1K_E_NS1_11comp_targetILNS1_3genE8ELNS1_11target_archE1030ELNS1_3gpuE2ELNS1_3repE0EEENS1_30default_config_static_selectorELNS0_4arch9wavefront6targetE0EEEvSY_,comdat
.Lfunc_end1610:
	.size	_ZN7rocprim17ROCPRIM_400000_NS6detail17trampoline_kernelINS0_13select_configILj256ELj13ELNS0_17block_load_methodE3ELS4_3ELS4_3ELNS0_20block_scan_algorithmE0ELj4294967295EEENS1_25partition_config_selectorILNS1_17partition_subalgoE3EjNS0_10empty_typeEbEEZZNS1_14partition_implILS8_3ELb0ES6_jNS0_17counting_iteratorIjlEEPS9_SE_NS0_5tupleIJPjSE_EEENSF_IJSE_SE_EEES9_SG_JZNS1_25segmented_radix_sort_implINS0_14default_configELb0EPKbPbPKlPlN2at6native12_GLOBAL__N_18offset_tEEE10hipError_tPvRmT1_PNSt15iterator_traitsISY_E10value_typeET2_T3_PNSZ_IS14_E10value_typeET4_jRbjT5_S1A_jjP12ihipStream_tbEUljE_EEESV_SW_SX_S14_S18_S1A_T6_T7_T9_mT8_S1C_bDpT10_ENKUlT_T0_E_clISt17integral_constantIbLb0EES1P_EEDaS1K_S1L_EUlS1K_E_NS1_11comp_targetILNS1_3genE8ELNS1_11target_archE1030ELNS1_3gpuE2ELNS1_3repE0EEENS1_30default_config_static_selectorELNS0_4arch9wavefront6targetE0EEEvSY_, .Lfunc_end1610-_ZN7rocprim17ROCPRIM_400000_NS6detail17trampoline_kernelINS0_13select_configILj256ELj13ELNS0_17block_load_methodE3ELS4_3ELS4_3ELNS0_20block_scan_algorithmE0ELj4294967295EEENS1_25partition_config_selectorILNS1_17partition_subalgoE3EjNS0_10empty_typeEbEEZZNS1_14partition_implILS8_3ELb0ES6_jNS0_17counting_iteratorIjlEEPS9_SE_NS0_5tupleIJPjSE_EEENSF_IJSE_SE_EEES9_SG_JZNS1_25segmented_radix_sort_implINS0_14default_configELb0EPKbPbPKlPlN2at6native12_GLOBAL__N_18offset_tEEE10hipError_tPvRmT1_PNSt15iterator_traitsISY_E10value_typeET2_T3_PNSZ_IS14_E10value_typeET4_jRbjT5_S1A_jjP12ihipStream_tbEUljE_EEESV_SW_SX_S14_S18_S1A_T6_T7_T9_mT8_S1C_bDpT10_ENKUlT_T0_E_clISt17integral_constantIbLb0EES1P_EEDaS1K_S1L_EUlS1K_E_NS1_11comp_targetILNS1_3genE8ELNS1_11target_archE1030ELNS1_3gpuE2ELNS1_3repE0EEENS1_30default_config_static_selectorELNS0_4arch9wavefront6targetE0EEEvSY_
                                        ; -- End function
	.section	.AMDGPU.csdata,"",@progbits
; Kernel info:
; codeLenInByte = 0
; NumSgprs: 0
; NumVgprs: 0
; ScratchSize: 0
; MemoryBound: 0
; FloatMode: 240
; IeeeMode: 1
; LDSByteSize: 0 bytes/workgroup (compile time only)
; SGPRBlocks: 0
; VGPRBlocks: 0
; NumSGPRsForWavesPerEU: 1
; NumVGPRsForWavesPerEU: 1
; Occupancy: 16
; WaveLimiterHint : 0
; COMPUTE_PGM_RSRC2:SCRATCH_EN: 0
; COMPUTE_PGM_RSRC2:USER_SGPR: 15
; COMPUTE_PGM_RSRC2:TRAP_HANDLER: 0
; COMPUTE_PGM_RSRC2:TGID_X_EN: 1
; COMPUTE_PGM_RSRC2:TGID_Y_EN: 0
; COMPUTE_PGM_RSRC2:TGID_Z_EN: 0
; COMPUTE_PGM_RSRC2:TIDIG_COMP_CNT: 0
	.section	.text._ZN7rocprim17ROCPRIM_400000_NS6detail17trampoline_kernelINS0_13select_configILj256ELj13ELNS0_17block_load_methodE3ELS4_3ELS4_3ELNS0_20block_scan_algorithmE0ELj4294967295EEENS1_25partition_config_selectorILNS1_17partition_subalgoE3EjNS0_10empty_typeEbEEZZNS1_14partition_implILS8_3ELb0ES6_jNS0_17counting_iteratorIjlEEPS9_SE_NS0_5tupleIJPjSE_EEENSF_IJSE_SE_EEES9_SG_JZNS1_25segmented_radix_sort_implINS0_14default_configELb0EPKbPbPKlPlN2at6native12_GLOBAL__N_18offset_tEEE10hipError_tPvRmT1_PNSt15iterator_traitsISY_E10value_typeET2_T3_PNSZ_IS14_E10value_typeET4_jRbjT5_S1A_jjP12ihipStream_tbEUljE_EEESV_SW_SX_S14_S18_S1A_T6_T7_T9_mT8_S1C_bDpT10_ENKUlT_T0_E_clISt17integral_constantIbLb1EES1P_EEDaS1K_S1L_EUlS1K_E_NS1_11comp_targetILNS1_3genE0ELNS1_11target_archE4294967295ELNS1_3gpuE0ELNS1_3repE0EEENS1_30default_config_static_selectorELNS0_4arch9wavefront6targetE0EEEvSY_,"axG",@progbits,_ZN7rocprim17ROCPRIM_400000_NS6detail17trampoline_kernelINS0_13select_configILj256ELj13ELNS0_17block_load_methodE3ELS4_3ELS4_3ELNS0_20block_scan_algorithmE0ELj4294967295EEENS1_25partition_config_selectorILNS1_17partition_subalgoE3EjNS0_10empty_typeEbEEZZNS1_14partition_implILS8_3ELb0ES6_jNS0_17counting_iteratorIjlEEPS9_SE_NS0_5tupleIJPjSE_EEENSF_IJSE_SE_EEES9_SG_JZNS1_25segmented_radix_sort_implINS0_14default_configELb0EPKbPbPKlPlN2at6native12_GLOBAL__N_18offset_tEEE10hipError_tPvRmT1_PNSt15iterator_traitsISY_E10value_typeET2_T3_PNSZ_IS14_E10value_typeET4_jRbjT5_S1A_jjP12ihipStream_tbEUljE_EEESV_SW_SX_S14_S18_S1A_T6_T7_T9_mT8_S1C_bDpT10_ENKUlT_T0_E_clISt17integral_constantIbLb1EES1P_EEDaS1K_S1L_EUlS1K_E_NS1_11comp_targetILNS1_3genE0ELNS1_11target_archE4294967295ELNS1_3gpuE0ELNS1_3repE0EEENS1_30default_config_static_selectorELNS0_4arch9wavefront6targetE0EEEvSY_,comdat
	.globl	_ZN7rocprim17ROCPRIM_400000_NS6detail17trampoline_kernelINS0_13select_configILj256ELj13ELNS0_17block_load_methodE3ELS4_3ELS4_3ELNS0_20block_scan_algorithmE0ELj4294967295EEENS1_25partition_config_selectorILNS1_17partition_subalgoE3EjNS0_10empty_typeEbEEZZNS1_14partition_implILS8_3ELb0ES6_jNS0_17counting_iteratorIjlEEPS9_SE_NS0_5tupleIJPjSE_EEENSF_IJSE_SE_EEES9_SG_JZNS1_25segmented_radix_sort_implINS0_14default_configELb0EPKbPbPKlPlN2at6native12_GLOBAL__N_18offset_tEEE10hipError_tPvRmT1_PNSt15iterator_traitsISY_E10value_typeET2_T3_PNSZ_IS14_E10value_typeET4_jRbjT5_S1A_jjP12ihipStream_tbEUljE_EEESV_SW_SX_S14_S18_S1A_T6_T7_T9_mT8_S1C_bDpT10_ENKUlT_T0_E_clISt17integral_constantIbLb1EES1P_EEDaS1K_S1L_EUlS1K_E_NS1_11comp_targetILNS1_3genE0ELNS1_11target_archE4294967295ELNS1_3gpuE0ELNS1_3repE0EEENS1_30default_config_static_selectorELNS0_4arch9wavefront6targetE0EEEvSY_ ; -- Begin function _ZN7rocprim17ROCPRIM_400000_NS6detail17trampoline_kernelINS0_13select_configILj256ELj13ELNS0_17block_load_methodE3ELS4_3ELS4_3ELNS0_20block_scan_algorithmE0ELj4294967295EEENS1_25partition_config_selectorILNS1_17partition_subalgoE3EjNS0_10empty_typeEbEEZZNS1_14partition_implILS8_3ELb0ES6_jNS0_17counting_iteratorIjlEEPS9_SE_NS0_5tupleIJPjSE_EEENSF_IJSE_SE_EEES9_SG_JZNS1_25segmented_radix_sort_implINS0_14default_configELb0EPKbPbPKlPlN2at6native12_GLOBAL__N_18offset_tEEE10hipError_tPvRmT1_PNSt15iterator_traitsISY_E10value_typeET2_T3_PNSZ_IS14_E10value_typeET4_jRbjT5_S1A_jjP12ihipStream_tbEUljE_EEESV_SW_SX_S14_S18_S1A_T6_T7_T9_mT8_S1C_bDpT10_ENKUlT_T0_E_clISt17integral_constantIbLb1EES1P_EEDaS1K_S1L_EUlS1K_E_NS1_11comp_targetILNS1_3genE0ELNS1_11target_archE4294967295ELNS1_3gpuE0ELNS1_3repE0EEENS1_30default_config_static_selectorELNS0_4arch9wavefront6targetE0EEEvSY_
	.p2align	8
	.type	_ZN7rocprim17ROCPRIM_400000_NS6detail17trampoline_kernelINS0_13select_configILj256ELj13ELNS0_17block_load_methodE3ELS4_3ELS4_3ELNS0_20block_scan_algorithmE0ELj4294967295EEENS1_25partition_config_selectorILNS1_17partition_subalgoE3EjNS0_10empty_typeEbEEZZNS1_14partition_implILS8_3ELb0ES6_jNS0_17counting_iteratorIjlEEPS9_SE_NS0_5tupleIJPjSE_EEENSF_IJSE_SE_EEES9_SG_JZNS1_25segmented_radix_sort_implINS0_14default_configELb0EPKbPbPKlPlN2at6native12_GLOBAL__N_18offset_tEEE10hipError_tPvRmT1_PNSt15iterator_traitsISY_E10value_typeET2_T3_PNSZ_IS14_E10value_typeET4_jRbjT5_S1A_jjP12ihipStream_tbEUljE_EEESV_SW_SX_S14_S18_S1A_T6_T7_T9_mT8_S1C_bDpT10_ENKUlT_T0_E_clISt17integral_constantIbLb1EES1P_EEDaS1K_S1L_EUlS1K_E_NS1_11comp_targetILNS1_3genE0ELNS1_11target_archE4294967295ELNS1_3gpuE0ELNS1_3repE0EEENS1_30default_config_static_selectorELNS0_4arch9wavefront6targetE0EEEvSY_,@function
_ZN7rocprim17ROCPRIM_400000_NS6detail17trampoline_kernelINS0_13select_configILj256ELj13ELNS0_17block_load_methodE3ELS4_3ELS4_3ELNS0_20block_scan_algorithmE0ELj4294967295EEENS1_25partition_config_selectorILNS1_17partition_subalgoE3EjNS0_10empty_typeEbEEZZNS1_14partition_implILS8_3ELb0ES6_jNS0_17counting_iteratorIjlEEPS9_SE_NS0_5tupleIJPjSE_EEENSF_IJSE_SE_EEES9_SG_JZNS1_25segmented_radix_sort_implINS0_14default_configELb0EPKbPbPKlPlN2at6native12_GLOBAL__N_18offset_tEEE10hipError_tPvRmT1_PNSt15iterator_traitsISY_E10value_typeET2_T3_PNSZ_IS14_E10value_typeET4_jRbjT5_S1A_jjP12ihipStream_tbEUljE_EEESV_SW_SX_S14_S18_S1A_T6_T7_T9_mT8_S1C_bDpT10_ENKUlT_T0_E_clISt17integral_constantIbLb1EES1P_EEDaS1K_S1L_EUlS1K_E_NS1_11comp_targetILNS1_3genE0ELNS1_11target_archE4294967295ELNS1_3gpuE0ELNS1_3repE0EEENS1_30default_config_static_selectorELNS0_4arch9wavefront6targetE0EEEvSY_: ; @_ZN7rocprim17ROCPRIM_400000_NS6detail17trampoline_kernelINS0_13select_configILj256ELj13ELNS0_17block_load_methodE3ELS4_3ELS4_3ELNS0_20block_scan_algorithmE0ELj4294967295EEENS1_25partition_config_selectorILNS1_17partition_subalgoE3EjNS0_10empty_typeEbEEZZNS1_14partition_implILS8_3ELb0ES6_jNS0_17counting_iteratorIjlEEPS9_SE_NS0_5tupleIJPjSE_EEENSF_IJSE_SE_EEES9_SG_JZNS1_25segmented_radix_sort_implINS0_14default_configELb0EPKbPbPKlPlN2at6native12_GLOBAL__N_18offset_tEEE10hipError_tPvRmT1_PNSt15iterator_traitsISY_E10value_typeET2_T3_PNSZ_IS14_E10value_typeET4_jRbjT5_S1A_jjP12ihipStream_tbEUljE_EEESV_SW_SX_S14_S18_S1A_T6_T7_T9_mT8_S1C_bDpT10_ENKUlT_T0_E_clISt17integral_constantIbLb1EES1P_EEDaS1K_S1L_EUlS1K_E_NS1_11comp_targetILNS1_3genE0ELNS1_11target_archE4294967295ELNS1_3gpuE0ELNS1_3repE0EEENS1_30default_config_static_selectorELNS0_4arch9wavefront6targetE0EEEvSY_
; %bb.0:
	.section	.rodata,"a",@progbits
	.p2align	6, 0x0
	.amdhsa_kernel _ZN7rocprim17ROCPRIM_400000_NS6detail17trampoline_kernelINS0_13select_configILj256ELj13ELNS0_17block_load_methodE3ELS4_3ELS4_3ELNS0_20block_scan_algorithmE0ELj4294967295EEENS1_25partition_config_selectorILNS1_17partition_subalgoE3EjNS0_10empty_typeEbEEZZNS1_14partition_implILS8_3ELb0ES6_jNS0_17counting_iteratorIjlEEPS9_SE_NS0_5tupleIJPjSE_EEENSF_IJSE_SE_EEES9_SG_JZNS1_25segmented_radix_sort_implINS0_14default_configELb0EPKbPbPKlPlN2at6native12_GLOBAL__N_18offset_tEEE10hipError_tPvRmT1_PNSt15iterator_traitsISY_E10value_typeET2_T3_PNSZ_IS14_E10value_typeET4_jRbjT5_S1A_jjP12ihipStream_tbEUljE_EEESV_SW_SX_S14_S18_S1A_T6_T7_T9_mT8_S1C_bDpT10_ENKUlT_T0_E_clISt17integral_constantIbLb1EES1P_EEDaS1K_S1L_EUlS1K_E_NS1_11comp_targetILNS1_3genE0ELNS1_11target_archE4294967295ELNS1_3gpuE0ELNS1_3repE0EEENS1_30default_config_static_selectorELNS0_4arch9wavefront6targetE0EEEvSY_
		.amdhsa_group_segment_fixed_size 0
		.amdhsa_private_segment_fixed_size 0
		.amdhsa_kernarg_size 152
		.amdhsa_user_sgpr_count 15
		.amdhsa_user_sgpr_dispatch_ptr 0
		.amdhsa_user_sgpr_queue_ptr 0
		.amdhsa_user_sgpr_kernarg_segment_ptr 1
		.amdhsa_user_sgpr_dispatch_id 0
		.amdhsa_user_sgpr_private_segment_size 0
		.amdhsa_wavefront_size32 1
		.amdhsa_uses_dynamic_stack 0
		.amdhsa_enable_private_segment 0
		.amdhsa_system_sgpr_workgroup_id_x 1
		.amdhsa_system_sgpr_workgroup_id_y 0
		.amdhsa_system_sgpr_workgroup_id_z 0
		.amdhsa_system_sgpr_workgroup_info 0
		.amdhsa_system_vgpr_workitem_id 0
		.amdhsa_next_free_vgpr 1
		.amdhsa_next_free_sgpr 1
		.amdhsa_reserve_vcc 0
		.amdhsa_float_round_mode_32 0
		.amdhsa_float_round_mode_16_64 0
		.amdhsa_float_denorm_mode_32 3
		.amdhsa_float_denorm_mode_16_64 3
		.amdhsa_dx10_clamp 1
		.amdhsa_ieee_mode 1
		.amdhsa_fp16_overflow 0
		.amdhsa_workgroup_processor_mode 1
		.amdhsa_memory_ordered 1
		.amdhsa_forward_progress 0
		.amdhsa_shared_vgpr_count 0
		.amdhsa_exception_fp_ieee_invalid_op 0
		.amdhsa_exception_fp_denorm_src 0
		.amdhsa_exception_fp_ieee_div_zero 0
		.amdhsa_exception_fp_ieee_overflow 0
		.amdhsa_exception_fp_ieee_underflow 0
		.amdhsa_exception_fp_ieee_inexact 0
		.amdhsa_exception_int_div_zero 0
	.end_amdhsa_kernel
	.section	.text._ZN7rocprim17ROCPRIM_400000_NS6detail17trampoline_kernelINS0_13select_configILj256ELj13ELNS0_17block_load_methodE3ELS4_3ELS4_3ELNS0_20block_scan_algorithmE0ELj4294967295EEENS1_25partition_config_selectorILNS1_17partition_subalgoE3EjNS0_10empty_typeEbEEZZNS1_14partition_implILS8_3ELb0ES6_jNS0_17counting_iteratorIjlEEPS9_SE_NS0_5tupleIJPjSE_EEENSF_IJSE_SE_EEES9_SG_JZNS1_25segmented_radix_sort_implINS0_14default_configELb0EPKbPbPKlPlN2at6native12_GLOBAL__N_18offset_tEEE10hipError_tPvRmT1_PNSt15iterator_traitsISY_E10value_typeET2_T3_PNSZ_IS14_E10value_typeET4_jRbjT5_S1A_jjP12ihipStream_tbEUljE_EEESV_SW_SX_S14_S18_S1A_T6_T7_T9_mT8_S1C_bDpT10_ENKUlT_T0_E_clISt17integral_constantIbLb1EES1P_EEDaS1K_S1L_EUlS1K_E_NS1_11comp_targetILNS1_3genE0ELNS1_11target_archE4294967295ELNS1_3gpuE0ELNS1_3repE0EEENS1_30default_config_static_selectorELNS0_4arch9wavefront6targetE0EEEvSY_,"axG",@progbits,_ZN7rocprim17ROCPRIM_400000_NS6detail17trampoline_kernelINS0_13select_configILj256ELj13ELNS0_17block_load_methodE3ELS4_3ELS4_3ELNS0_20block_scan_algorithmE0ELj4294967295EEENS1_25partition_config_selectorILNS1_17partition_subalgoE3EjNS0_10empty_typeEbEEZZNS1_14partition_implILS8_3ELb0ES6_jNS0_17counting_iteratorIjlEEPS9_SE_NS0_5tupleIJPjSE_EEENSF_IJSE_SE_EEES9_SG_JZNS1_25segmented_radix_sort_implINS0_14default_configELb0EPKbPbPKlPlN2at6native12_GLOBAL__N_18offset_tEEE10hipError_tPvRmT1_PNSt15iterator_traitsISY_E10value_typeET2_T3_PNSZ_IS14_E10value_typeET4_jRbjT5_S1A_jjP12ihipStream_tbEUljE_EEESV_SW_SX_S14_S18_S1A_T6_T7_T9_mT8_S1C_bDpT10_ENKUlT_T0_E_clISt17integral_constantIbLb1EES1P_EEDaS1K_S1L_EUlS1K_E_NS1_11comp_targetILNS1_3genE0ELNS1_11target_archE4294967295ELNS1_3gpuE0ELNS1_3repE0EEENS1_30default_config_static_selectorELNS0_4arch9wavefront6targetE0EEEvSY_,comdat
.Lfunc_end1611:
	.size	_ZN7rocprim17ROCPRIM_400000_NS6detail17trampoline_kernelINS0_13select_configILj256ELj13ELNS0_17block_load_methodE3ELS4_3ELS4_3ELNS0_20block_scan_algorithmE0ELj4294967295EEENS1_25partition_config_selectorILNS1_17partition_subalgoE3EjNS0_10empty_typeEbEEZZNS1_14partition_implILS8_3ELb0ES6_jNS0_17counting_iteratorIjlEEPS9_SE_NS0_5tupleIJPjSE_EEENSF_IJSE_SE_EEES9_SG_JZNS1_25segmented_radix_sort_implINS0_14default_configELb0EPKbPbPKlPlN2at6native12_GLOBAL__N_18offset_tEEE10hipError_tPvRmT1_PNSt15iterator_traitsISY_E10value_typeET2_T3_PNSZ_IS14_E10value_typeET4_jRbjT5_S1A_jjP12ihipStream_tbEUljE_EEESV_SW_SX_S14_S18_S1A_T6_T7_T9_mT8_S1C_bDpT10_ENKUlT_T0_E_clISt17integral_constantIbLb1EES1P_EEDaS1K_S1L_EUlS1K_E_NS1_11comp_targetILNS1_3genE0ELNS1_11target_archE4294967295ELNS1_3gpuE0ELNS1_3repE0EEENS1_30default_config_static_selectorELNS0_4arch9wavefront6targetE0EEEvSY_, .Lfunc_end1611-_ZN7rocprim17ROCPRIM_400000_NS6detail17trampoline_kernelINS0_13select_configILj256ELj13ELNS0_17block_load_methodE3ELS4_3ELS4_3ELNS0_20block_scan_algorithmE0ELj4294967295EEENS1_25partition_config_selectorILNS1_17partition_subalgoE3EjNS0_10empty_typeEbEEZZNS1_14partition_implILS8_3ELb0ES6_jNS0_17counting_iteratorIjlEEPS9_SE_NS0_5tupleIJPjSE_EEENSF_IJSE_SE_EEES9_SG_JZNS1_25segmented_radix_sort_implINS0_14default_configELb0EPKbPbPKlPlN2at6native12_GLOBAL__N_18offset_tEEE10hipError_tPvRmT1_PNSt15iterator_traitsISY_E10value_typeET2_T3_PNSZ_IS14_E10value_typeET4_jRbjT5_S1A_jjP12ihipStream_tbEUljE_EEESV_SW_SX_S14_S18_S1A_T6_T7_T9_mT8_S1C_bDpT10_ENKUlT_T0_E_clISt17integral_constantIbLb1EES1P_EEDaS1K_S1L_EUlS1K_E_NS1_11comp_targetILNS1_3genE0ELNS1_11target_archE4294967295ELNS1_3gpuE0ELNS1_3repE0EEENS1_30default_config_static_selectorELNS0_4arch9wavefront6targetE0EEEvSY_
                                        ; -- End function
	.section	.AMDGPU.csdata,"",@progbits
; Kernel info:
; codeLenInByte = 0
; NumSgprs: 0
; NumVgprs: 0
; ScratchSize: 0
; MemoryBound: 0
; FloatMode: 240
; IeeeMode: 1
; LDSByteSize: 0 bytes/workgroup (compile time only)
; SGPRBlocks: 0
; VGPRBlocks: 0
; NumSGPRsForWavesPerEU: 1
; NumVGPRsForWavesPerEU: 1
; Occupancy: 16
; WaveLimiterHint : 0
; COMPUTE_PGM_RSRC2:SCRATCH_EN: 0
; COMPUTE_PGM_RSRC2:USER_SGPR: 15
; COMPUTE_PGM_RSRC2:TRAP_HANDLER: 0
; COMPUTE_PGM_RSRC2:TGID_X_EN: 1
; COMPUTE_PGM_RSRC2:TGID_Y_EN: 0
; COMPUTE_PGM_RSRC2:TGID_Z_EN: 0
; COMPUTE_PGM_RSRC2:TIDIG_COMP_CNT: 0
	.section	.text._ZN7rocprim17ROCPRIM_400000_NS6detail17trampoline_kernelINS0_13select_configILj256ELj13ELNS0_17block_load_methodE3ELS4_3ELS4_3ELNS0_20block_scan_algorithmE0ELj4294967295EEENS1_25partition_config_selectorILNS1_17partition_subalgoE3EjNS0_10empty_typeEbEEZZNS1_14partition_implILS8_3ELb0ES6_jNS0_17counting_iteratorIjlEEPS9_SE_NS0_5tupleIJPjSE_EEENSF_IJSE_SE_EEES9_SG_JZNS1_25segmented_radix_sort_implINS0_14default_configELb0EPKbPbPKlPlN2at6native12_GLOBAL__N_18offset_tEEE10hipError_tPvRmT1_PNSt15iterator_traitsISY_E10value_typeET2_T3_PNSZ_IS14_E10value_typeET4_jRbjT5_S1A_jjP12ihipStream_tbEUljE_EEESV_SW_SX_S14_S18_S1A_T6_T7_T9_mT8_S1C_bDpT10_ENKUlT_T0_E_clISt17integral_constantIbLb1EES1P_EEDaS1K_S1L_EUlS1K_E_NS1_11comp_targetILNS1_3genE5ELNS1_11target_archE942ELNS1_3gpuE9ELNS1_3repE0EEENS1_30default_config_static_selectorELNS0_4arch9wavefront6targetE0EEEvSY_,"axG",@progbits,_ZN7rocprim17ROCPRIM_400000_NS6detail17trampoline_kernelINS0_13select_configILj256ELj13ELNS0_17block_load_methodE3ELS4_3ELS4_3ELNS0_20block_scan_algorithmE0ELj4294967295EEENS1_25partition_config_selectorILNS1_17partition_subalgoE3EjNS0_10empty_typeEbEEZZNS1_14partition_implILS8_3ELb0ES6_jNS0_17counting_iteratorIjlEEPS9_SE_NS0_5tupleIJPjSE_EEENSF_IJSE_SE_EEES9_SG_JZNS1_25segmented_radix_sort_implINS0_14default_configELb0EPKbPbPKlPlN2at6native12_GLOBAL__N_18offset_tEEE10hipError_tPvRmT1_PNSt15iterator_traitsISY_E10value_typeET2_T3_PNSZ_IS14_E10value_typeET4_jRbjT5_S1A_jjP12ihipStream_tbEUljE_EEESV_SW_SX_S14_S18_S1A_T6_T7_T9_mT8_S1C_bDpT10_ENKUlT_T0_E_clISt17integral_constantIbLb1EES1P_EEDaS1K_S1L_EUlS1K_E_NS1_11comp_targetILNS1_3genE5ELNS1_11target_archE942ELNS1_3gpuE9ELNS1_3repE0EEENS1_30default_config_static_selectorELNS0_4arch9wavefront6targetE0EEEvSY_,comdat
	.globl	_ZN7rocprim17ROCPRIM_400000_NS6detail17trampoline_kernelINS0_13select_configILj256ELj13ELNS0_17block_load_methodE3ELS4_3ELS4_3ELNS0_20block_scan_algorithmE0ELj4294967295EEENS1_25partition_config_selectorILNS1_17partition_subalgoE3EjNS0_10empty_typeEbEEZZNS1_14partition_implILS8_3ELb0ES6_jNS0_17counting_iteratorIjlEEPS9_SE_NS0_5tupleIJPjSE_EEENSF_IJSE_SE_EEES9_SG_JZNS1_25segmented_radix_sort_implINS0_14default_configELb0EPKbPbPKlPlN2at6native12_GLOBAL__N_18offset_tEEE10hipError_tPvRmT1_PNSt15iterator_traitsISY_E10value_typeET2_T3_PNSZ_IS14_E10value_typeET4_jRbjT5_S1A_jjP12ihipStream_tbEUljE_EEESV_SW_SX_S14_S18_S1A_T6_T7_T9_mT8_S1C_bDpT10_ENKUlT_T0_E_clISt17integral_constantIbLb1EES1P_EEDaS1K_S1L_EUlS1K_E_NS1_11comp_targetILNS1_3genE5ELNS1_11target_archE942ELNS1_3gpuE9ELNS1_3repE0EEENS1_30default_config_static_selectorELNS0_4arch9wavefront6targetE0EEEvSY_ ; -- Begin function _ZN7rocprim17ROCPRIM_400000_NS6detail17trampoline_kernelINS0_13select_configILj256ELj13ELNS0_17block_load_methodE3ELS4_3ELS4_3ELNS0_20block_scan_algorithmE0ELj4294967295EEENS1_25partition_config_selectorILNS1_17partition_subalgoE3EjNS0_10empty_typeEbEEZZNS1_14partition_implILS8_3ELb0ES6_jNS0_17counting_iteratorIjlEEPS9_SE_NS0_5tupleIJPjSE_EEENSF_IJSE_SE_EEES9_SG_JZNS1_25segmented_radix_sort_implINS0_14default_configELb0EPKbPbPKlPlN2at6native12_GLOBAL__N_18offset_tEEE10hipError_tPvRmT1_PNSt15iterator_traitsISY_E10value_typeET2_T3_PNSZ_IS14_E10value_typeET4_jRbjT5_S1A_jjP12ihipStream_tbEUljE_EEESV_SW_SX_S14_S18_S1A_T6_T7_T9_mT8_S1C_bDpT10_ENKUlT_T0_E_clISt17integral_constantIbLb1EES1P_EEDaS1K_S1L_EUlS1K_E_NS1_11comp_targetILNS1_3genE5ELNS1_11target_archE942ELNS1_3gpuE9ELNS1_3repE0EEENS1_30default_config_static_selectorELNS0_4arch9wavefront6targetE0EEEvSY_
	.p2align	8
	.type	_ZN7rocprim17ROCPRIM_400000_NS6detail17trampoline_kernelINS0_13select_configILj256ELj13ELNS0_17block_load_methodE3ELS4_3ELS4_3ELNS0_20block_scan_algorithmE0ELj4294967295EEENS1_25partition_config_selectorILNS1_17partition_subalgoE3EjNS0_10empty_typeEbEEZZNS1_14partition_implILS8_3ELb0ES6_jNS0_17counting_iteratorIjlEEPS9_SE_NS0_5tupleIJPjSE_EEENSF_IJSE_SE_EEES9_SG_JZNS1_25segmented_radix_sort_implINS0_14default_configELb0EPKbPbPKlPlN2at6native12_GLOBAL__N_18offset_tEEE10hipError_tPvRmT1_PNSt15iterator_traitsISY_E10value_typeET2_T3_PNSZ_IS14_E10value_typeET4_jRbjT5_S1A_jjP12ihipStream_tbEUljE_EEESV_SW_SX_S14_S18_S1A_T6_T7_T9_mT8_S1C_bDpT10_ENKUlT_T0_E_clISt17integral_constantIbLb1EES1P_EEDaS1K_S1L_EUlS1K_E_NS1_11comp_targetILNS1_3genE5ELNS1_11target_archE942ELNS1_3gpuE9ELNS1_3repE0EEENS1_30default_config_static_selectorELNS0_4arch9wavefront6targetE0EEEvSY_,@function
_ZN7rocprim17ROCPRIM_400000_NS6detail17trampoline_kernelINS0_13select_configILj256ELj13ELNS0_17block_load_methodE3ELS4_3ELS4_3ELNS0_20block_scan_algorithmE0ELj4294967295EEENS1_25partition_config_selectorILNS1_17partition_subalgoE3EjNS0_10empty_typeEbEEZZNS1_14partition_implILS8_3ELb0ES6_jNS0_17counting_iteratorIjlEEPS9_SE_NS0_5tupleIJPjSE_EEENSF_IJSE_SE_EEES9_SG_JZNS1_25segmented_radix_sort_implINS0_14default_configELb0EPKbPbPKlPlN2at6native12_GLOBAL__N_18offset_tEEE10hipError_tPvRmT1_PNSt15iterator_traitsISY_E10value_typeET2_T3_PNSZ_IS14_E10value_typeET4_jRbjT5_S1A_jjP12ihipStream_tbEUljE_EEESV_SW_SX_S14_S18_S1A_T6_T7_T9_mT8_S1C_bDpT10_ENKUlT_T0_E_clISt17integral_constantIbLb1EES1P_EEDaS1K_S1L_EUlS1K_E_NS1_11comp_targetILNS1_3genE5ELNS1_11target_archE942ELNS1_3gpuE9ELNS1_3repE0EEENS1_30default_config_static_selectorELNS0_4arch9wavefront6targetE0EEEvSY_: ; @_ZN7rocprim17ROCPRIM_400000_NS6detail17trampoline_kernelINS0_13select_configILj256ELj13ELNS0_17block_load_methodE3ELS4_3ELS4_3ELNS0_20block_scan_algorithmE0ELj4294967295EEENS1_25partition_config_selectorILNS1_17partition_subalgoE3EjNS0_10empty_typeEbEEZZNS1_14partition_implILS8_3ELb0ES6_jNS0_17counting_iteratorIjlEEPS9_SE_NS0_5tupleIJPjSE_EEENSF_IJSE_SE_EEES9_SG_JZNS1_25segmented_radix_sort_implINS0_14default_configELb0EPKbPbPKlPlN2at6native12_GLOBAL__N_18offset_tEEE10hipError_tPvRmT1_PNSt15iterator_traitsISY_E10value_typeET2_T3_PNSZ_IS14_E10value_typeET4_jRbjT5_S1A_jjP12ihipStream_tbEUljE_EEESV_SW_SX_S14_S18_S1A_T6_T7_T9_mT8_S1C_bDpT10_ENKUlT_T0_E_clISt17integral_constantIbLb1EES1P_EEDaS1K_S1L_EUlS1K_E_NS1_11comp_targetILNS1_3genE5ELNS1_11target_archE942ELNS1_3gpuE9ELNS1_3repE0EEENS1_30default_config_static_selectorELNS0_4arch9wavefront6targetE0EEEvSY_
; %bb.0:
	.section	.rodata,"a",@progbits
	.p2align	6, 0x0
	.amdhsa_kernel _ZN7rocprim17ROCPRIM_400000_NS6detail17trampoline_kernelINS0_13select_configILj256ELj13ELNS0_17block_load_methodE3ELS4_3ELS4_3ELNS0_20block_scan_algorithmE0ELj4294967295EEENS1_25partition_config_selectorILNS1_17partition_subalgoE3EjNS0_10empty_typeEbEEZZNS1_14partition_implILS8_3ELb0ES6_jNS0_17counting_iteratorIjlEEPS9_SE_NS0_5tupleIJPjSE_EEENSF_IJSE_SE_EEES9_SG_JZNS1_25segmented_radix_sort_implINS0_14default_configELb0EPKbPbPKlPlN2at6native12_GLOBAL__N_18offset_tEEE10hipError_tPvRmT1_PNSt15iterator_traitsISY_E10value_typeET2_T3_PNSZ_IS14_E10value_typeET4_jRbjT5_S1A_jjP12ihipStream_tbEUljE_EEESV_SW_SX_S14_S18_S1A_T6_T7_T9_mT8_S1C_bDpT10_ENKUlT_T0_E_clISt17integral_constantIbLb1EES1P_EEDaS1K_S1L_EUlS1K_E_NS1_11comp_targetILNS1_3genE5ELNS1_11target_archE942ELNS1_3gpuE9ELNS1_3repE0EEENS1_30default_config_static_selectorELNS0_4arch9wavefront6targetE0EEEvSY_
		.amdhsa_group_segment_fixed_size 0
		.amdhsa_private_segment_fixed_size 0
		.amdhsa_kernarg_size 152
		.amdhsa_user_sgpr_count 15
		.amdhsa_user_sgpr_dispatch_ptr 0
		.amdhsa_user_sgpr_queue_ptr 0
		.amdhsa_user_sgpr_kernarg_segment_ptr 1
		.amdhsa_user_sgpr_dispatch_id 0
		.amdhsa_user_sgpr_private_segment_size 0
		.amdhsa_wavefront_size32 1
		.amdhsa_uses_dynamic_stack 0
		.amdhsa_enable_private_segment 0
		.amdhsa_system_sgpr_workgroup_id_x 1
		.amdhsa_system_sgpr_workgroup_id_y 0
		.amdhsa_system_sgpr_workgroup_id_z 0
		.amdhsa_system_sgpr_workgroup_info 0
		.amdhsa_system_vgpr_workitem_id 0
		.amdhsa_next_free_vgpr 1
		.amdhsa_next_free_sgpr 1
		.amdhsa_reserve_vcc 0
		.amdhsa_float_round_mode_32 0
		.amdhsa_float_round_mode_16_64 0
		.amdhsa_float_denorm_mode_32 3
		.amdhsa_float_denorm_mode_16_64 3
		.amdhsa_dx10_clamp 1
		.amdhsa_ieee_mode 1
		.amdhsa_fp16_overflow 0
		.amdhsa_workgroup_processor_mode 1
		.amdhsa_memory_ordered 1
		.amdhsa_forward_progress 0
		.amdhsa_shared_vgpr_count 0
		.amdhsa_exception_fp_ieee_invalid_op 0
		.amdhsa_exception_fp_denorm_src 0
		.amdhsa_exception_fp_ieee_div_zero 0
		.amdhsa_exception_fp_ieee_overflow 0
		.amdhsa_exception_fp_ieee_underflow 0
		.amdhsa_exception_fp_ieee_inexact 0
		.amdhsa_exception_int_div_zero 0
	.end_amdhsa_kernel
	.section	.text._ZN7rocprim17ROCPRIM_400000_NS6detail17trampoline_kernelINS0_13select_configILj256ELj13ELNS0_17block_load_methodE3ELS4_3ELS4_3ELNS0_20block_scan_algorithmE0ELj4294967295EEENS1_25partition_config_selectorILNS1_17partition_subalgoE3EjNS0_10empty_typeEbEEZZNS1_14partition_implILS8_3ELb0ES6_jNS0_17counting_iteratorIjlEEPS9_SE_NS0_5tupleIJPjSE_EEENSF_IJSE_SE_EEES9_SG_JZNS1_25segmented_radix_sort_implINS0_14default_configELb0EPKbPbPKlPlN2at6native12_GLOBAL__N_18offset_tEEE10hipError_tPvRmT1_PNSt15iterator_traitsISY_E10value_typeET2_T3_PNSZ_IS14_E10value_typeET4_jRbjT5_S1A_jjP12ihipStream_tbEUljE_EEESV_SW_SX_S14_S18_S1A_T6_T7_T9_mT8_S1C_bDpT10_ENKUlT_T0_E_clISt17integral_constantIbLb1EES1P_EEDaS1K_S1L_EUlS1K_E_NS1_11comp_targetILNS1_3genE5ELNS1_11target_archE942ELNS1_3gpuE9ELNS1_3repE0EEENS1_30default_config_static_selectorELNS0_4arch9wavefront6targetE0EEEvSY_,"axG",@progbits,_ZN7rocprim17ROCPRIM_400000_NS6detail17trampoline_kernelINS0_13select_configILj256ELj13ELNS0_17block_load_methodE3ELS4_3ELS4_3ELNS0_20block_scan_algorithmE0ELj4294967295EEENS1_25partition_config_selectorILNS1_17partition_subalgoE3EjNS0_10empty_typeEbEEZZNS1_14partition_implILS8_3ELb0ES6_jNS0_17counting_iteratorIjlEEPS9_SE_NS0_5tupleIJPjSE_EEENSF_IJSE_SE_EEES9_SG_JZNS1_25segmented_radix_sort_implINS0_14default_configELb0EPKbPbPKlPlN2at6native12_GLOBAL__N_18offset_tEEE10hipError_tPvRmT1_PNSt15iterator_traitsISY_E10value_typeET2_T3_PNSZ_IS14_E10value_typeET4_jRbjT5_S1A_jjP12ihipStream_tbEUljE_EEESV_SW_SX_S14_S18_S1A_T6_T7_T9_mT8_S1C_bDpT10_ENKUlT_T0_E_clISt17integral_constantIbLb1EES1P_EEDaS1K_S1L_EUlS1K_E_NS1_11comp_targetILNS1_3genE5ELNS1_11target_archE942ELNS1_3gpuE9ELNS1_3repE0EEENS1_30default_config_static_selectorELNS0_4arch9wavefront6targetE0EEEvSY_,comdat
.Lfunc_end1612:
	.size	_ZN7rocprim17ROCPRIM_400000_NS6detail17trampoline_kernelINS0_13select_configILj256ELj13ELNS0_17block_load_methodE3ELS4_3ELS4_3ELNS0_20block_scan_algorithmE0ELj4294967295EEENS1_25partition_config_selectorILNS1_17partition_subalgoE3EjNS0_10empty_typeEbEEZZNS1_14partition_implILS8_3ELb0ES6_jNS0_17counting_iteratorIjlEEPS9_SE_NS0_5tupleIJPjSE_EEENSF_IJSE_SE_EEES9_SG_JZNS1_25segmented_radix_sort_implINS0_14default_configELb0EPKbPbPKlPlN2at6native12_GLOBAL__N_18offset_tEEE10hipError_tPvRmT1_PNSt15iterator_traitsISY_E10value_typeET2_T3_PNSZ_IS14_E10value_typeET4_jRbjT5_S1A_jjP12ihipStream_tbEUljE_EEESV_SW_SX_S14_S18_S1A_T6_T7_T9_mT8_S1C_bDpT10_ENKUlT_T0_E_clISt17integral_constantIbLb1EES1P_EEDaS1K_S1L_EUlS1K_E_NS1_11comp_targetILNS1_3genE5ELNS1_11target_archE942ELNS1_3gpuE9ELNS1_3repE0EEENS1_30default_config_static_selectorELNS0_4arch9wavefront6targetE0EEEvSY_, .Lfunc_end1612-_ZN7rocprim17ROCPRIM_400000_NS6detail17trampoline_kernelINS0_13select_configILj256ELj13ELNS0_17block_load_methodE3ELS4_3ELS4_3ELNS0_20block_scan_algorithmE0ELj4294967295EEENS1_25partition_config_selectorILNS1_17partition_subalgoE3EjNS0_10empty_typeEbEEZZNS1_14partition_implILS8_3ELb0ES6_jNS0_17counting_iteratorIjlEEPS9_SE_NS0_5tupleIJPjSE_EEENSF_IJSE_SE_EEES9_SG_JZNS1_25segmented_radix_sort_implINS0_14default_configELb0EPKbPbPKlPlN2at6native12_GLOBAL__N_18offset_tEEE10hipError_tPvRmT1_PNSt15iterator_traitsISY_E10value_typeET2_T3_PNSZ_IS14_E10value_typeET4_jRbjT5_S1A_jjP12ihipStream_tbEUljE_EEESV_SW_SX_S14_S18_S1A_T6_T7_T9_mT8_S1C_bDpT10_ENKUlT_T0_E_clISt17integral_constantIbLb1EES1P_EEDaS1K_S1L_EUlS1K_E_NS1_11comp_targetILNS1_3genE5ELNS1_11target_archE942ELNS1_3gpuE9ELNS1_3repE0EEENS1_30default_config_static_selectorELNS0_4arch9wavefront6targetE0EEEvSY_
                                        ; -- End function
	.section	.AMDGPU.csdata,"",@progbits
; Kernel info:
; codeLenInByte = 0
; NumSgprs: 0
; NumVgprs: 0
; ScratchSize: 0
; MemoryBound: 0
; FloatMode: 240
; IeeeMode: 1
; LDSByteSize: 0 bytes/workgroup (compile time only)
; SGPRBlocks: 0
; VGPRBlocks: 0
; NumSGPRsForWavesPerEU: 1
; NumVGPRsForWavesPerEU: 1
; Occupancy: 16
; WaveLimiterHint : 0
; COMPUTE_PGM_RSRC2:SCRATCH_EN: 0
; COMPUTE_PGM_RSRC2:USER_SGPR: 15
; COMPUTE_PGM_RSRC2:TRAP_HANDLER: 0
; COMPUTE_PGM_RSRC2:TGID_X_EN: 1
; COMPUTE_PGM_RSRC2:TGID_Y_EN: 0
; COMPUTE_PGM_RSRC2:TGID_Z_EN: 0
; COMPUTE_PGM_RSRC2:TIDIG_COMP_CNT: 0
	.section	.text._ZN7rocprim17ROCPRIM_400000_NS6detail17trampoline_kernelINS0_13select_configILj256ELj13ELNS0_17block_load_methodE3ELS4_3ELS4_3ELNS0_20block_scan_algorithmE0ELj4294967295EEENS1_25partition_config_selectorILNS1_17partition_subalgoE3EjNS0_10empty_typeEbEEZZNS1_14partition_implILS8_3ELb0ES6_jNS0_17counting_iteratorIjlEEPS9_SE_NS0_5tupleIJPjSE_EEENSF_IJSE_SE_EEES9_SG_JZNS1_25segmented_radix_sort_implINS0_14default_configELb0EPKbPbPKlPlN2at6native12_GLOBAL__N_18offset_tEEE10hipError_tPvRmT1_PNSt15iterator_traitsISY_E10value_typeET2_T3_PNSZ_IS14_E10value_typeET4_jRbjT5_S1A_jjP12ihipStream_tbEUljE_EEESV_SW_SX_S14_S18_S1A_T6_T7_T9_mT8_S1C_bDpT10_ENKUlT_T0_E_clISt17integral_constantIbLb1EES1P_EEDaS1K_S1L_EUlS1K_E_NS1_11comp_targetILNS1_3genE4ELNS1_11target_archE910ELNS1_3gpuE8ELNS1_3repE0EEENS1_30default_config_static_selectorELNS0_4arch9wavefront6targetE0EEEvSY_,"axG",@progbits,_ZN7rocprim17ROCPRIM_400000_NS6detail17trampoline_kernelINS0_13select_configILj256ELj13ELNS0_17block_load_methodE3ELS4_3ELS4_3ELNS0_20block_scan_algorithmE0ELj4294967295EEENS1_25partition_config_selectorILNS1_17partition_subalgoE3EjNS0_10empty_typeEbEEZZNS1_14partition_implILS8_3ELb0ES6_jNS0_17counting_iteratorIjlEEPS9_SE_NS0_5tupleIJPjSE_EEENSF_IJSE_SE_EEES9_SG_JZNS1_25segmented_radix_sort_implINS0_14default_configELb0EPKbPbPKlPlN2at6native12_GLOBAL__N_18offset_tEEE10hipError_tPvRmT1_PNSt15iterator_traitsISY_E10value_typeET2_T3_PNSZ_IS14_E10value_typeET4_jRbjT5_S1A_jjP12ihipStream_tbEUljE_EEESV_SW_SX_S14_S18_S1A_T6_T7_T9_mT8_S1C_bDpT10_ENKUlT_T0_E_clISt17integral_constantIbLb1EES1P_EEDaS1K_S1L_EUlS1K_E_NS1_11comp_targetILNS1_3genE4ELNS1_11target_archE910ELNS1_3gpuE8ELNS1_3repE0EEENS1_30default_config_static_selectorELNS0_4arch9wavefront6targetE0EEEvSY_,comdat
	.globl	_ZN7rocprim17ROCPRIM_400000_NS6detail17trampoline_kernelINS0_13select_configILj256ELj13ELNS0_17block_load_methodE3ELS4_3ELS4_3ELNS0_20block_scan_algorithmE0ELj4294967295EEENS1_25partition_config_selectorILNS1_17partition_subalgoE3EjNS0_10empty_typeEbEEZZNS1_14partition_implILS8_3ELb0ES6_jNS0_17counting_iteratorIjlEEPS9_SE_NS0_5tupleIJPjSE_EEENSF_IJSE_SE_EEES9_SG_JZNS1_25segmented_radix_sort_implINS0_14default_configELb0EPKbPbPKlPlN2at6native12_GLOBAL__N_18offset_tEEE10hipError_tPvRmT1_PNSt15iterator_traitsISY_E10value_typeET2_T3_PNSZ_IS14_E10value_typeET4_jRbjT5_S1A_jjP12ihipStream_tbEUljE_EEESV_SW_SX_S14_S18_S1A_T6_T7_T9_mT8_S1C_bDpT10_ENKUlT_T0_E_clISt17integral_constantIbLb1EES1P_EEDaS1K_S1L_EUlS1K_E_NS1_11comp_targetILNS1_3genE4ELNS1_11target_archE910ELNS1_3gpuE8ELNS1_3repE0EEENS1_30default_config_static_selectorELNS0_4arch9wavefront6targetE0EEEvSY_ ; -- Begin function _ZN7rocprim17ROCPRIM_400000_NS6detail17trampoline_kernelINS0_13select_configILj256ELj13ELNS0_17block_load_methodE3ELS4_3ELS4_3ELNS0_20block_scan_algorithmE0ELj4294967295EEENS1_25partition_config_selectorILNS1_17partition_subalgoE3EjNS0_10empty_typeEbEEZZNS1_14partition_implILS8_3ELb0ES6_jNS0_17counting_iteratorIjlEEPS9_SE_NS0_5tupleIJPjSE_EEENSF_IJSE_SE_EEES9_SG_JZNS1_25segmented_radix_sort_implINS0_14default_configELb0EPKbPbPKlPlN2at6native12_GLOBAL__N_18offset_tEEE10hipError_tPvRmT1_PNSt15iterator_traitsISY_E10value_typeET2_T3_PNSZ_IS14_E10value_typeET4_jRbjT5_S1A_jjP12ihipStream_tbEUljE_EEESV_SW_SX_S14_S18_S1A_T6_T7_T9_mT8_S1C_bDpT10_ENKUlT_T0_E_clISt17integral_constantIbLb1EES1P_EEDaS1K_S1L_EUlS1K_E_NS1_11comp_targetILNS1_3genE4ELNS1_11target_archE910ELNS1_3gpuE8ELNS1_3repE0EEENS1_30default_config_static_selectorELNS0_4arch9wavefront6targetE0EEEvSY_
	.p2align	8
	.type	_ZN7rocprim17ROCPRIM_400000_NS6detail17trampoline_kernelINS0_13select_configILj256ELj13ELNS0_17block_load_methodE3ELS4_3ELS4_3ELNS0_20block_scan_algorithmE0ELj4294967295EEENS1_25partition_config_selectorILNS1_17partition_subalgoE3EjNS0_10empty_typeEbEEZZNS1_14partition_implILS8_3ELb0ES6_jNS0_17counting_iteratorIjlEEPS9_SE_NS0_5tupleIJPjSE_EEENSF_IJSE_SE_EEES9_SG_JZNS1_25segmented_radix_sort_implINS0_14default_configELb0EPKbPbPKlPlN2at6native12_GLOBAL__N_18offset_tEEE10hipError_tPvRmT1_PNSt15iterator_traitsISY_E10value_typeET2_T3_PNSZ_IS14_E10value_typeET4_jRbjT5_S1A_jjP12ihipStream_tbEUljE_EEESV_SW_SX_S14_S18_S1A_T6_T7_T9_mT8_S1C_bDpT10_ENKUlT_T0_E_clISt17integral_constantIbLb1EES1P_EEDaS1K_S1L_EUlS1K_E_NS1_11comp_targetILNS1_3genE4ELNS1_11target_archE910ELNS1_3gpuE8ELNS1_3repE0EEENS1_30default_config_static_selectorELNS0_4arch9wavefront6targetE0EEEvSY_,@function
_ZN7rocprim17ROCPRIM_400000_NS6detail17trampoline_kernelINS0_13select_configILj256ELj13ELNS0_17block_load_methodE3ELS4_3ELS4_3ELNS0_20block_scan_algorithmE0ELj4294967295EEENS1_25partition_config_selectorILNS1_17partition_subalgoE3EjNS0_10empty_typeEbEEZZNS1_14partition_implILS8_3ELb0ES6_jNS0_17counting_iteratorIjlEEPS9_SE_NS0_5tupleIJPjSE_EEENSF_IJSE_SE_EEES9_SG_JZNS1_25segmented_radix_sort_implINS0_14default_configELb0EPKbPbPKlPlN2at6native12_GLOBAL__N_18offset_tEEE10hipError_tPvRmT1_PNSt15iterator_traitsISY_E10value_typeET2_T3_PNSZ_IS14_E10value_typeET4_jRbjT5_S1A_jjP12ihipStream_tbEUljE_EEESV_SW_SX_S14_S18_S1A_T6_T7_T9_mT8_S1C_bDpT10_ENKUlT_T0_E_clISt17integral_constantIbLb1EES1P_EEDaS1K_S1L_EUlS1K_E_NS1_11comp_targetILNS1_3genE4ELNS1_11target_archE910ELNS1_3gpuE8ELNS1_3repE0EEENS1_30default_config_static_selectorELNS0_4arch9wavefront6targetE0EEEvSY_: ; @_ZN7rocprim17ROCPRIM_400000_NS6detail17trampoline_kernelINS0_13select_configILj256ELj13ELNS0_17block_load_methodE3ELS4_3ELS4_3ELNS0_20block_scan_algorithmE0ELj4294967295EEENS1_25partition_config_selectorILNS1_17partition_subalgoE3EjNS0_10empty_typeEbEEZZNS1_14partition_implILS8_3ELb0ES6_jNS0_17counting_iteratorIjlEEPS9_SE_NS0_5tupleIJPjSE_EEENSF_IJSE_SE_EEES9_SG_JZNS1_25segmented_radix_sort_implINS0_14default_configELb0EPKbPbPKlPlN2at6native12_GLOBAL__N_18offset_tEEE10hipError_tPvRmT1_PNSt15iterator_traitsISY_E10value_typeET2_T3_PNSZ_IS14_E10value_typeET4_jRbjT5_S1A_jjP12ihipStream_tbEUljE_EEESV_SW_SX_S14_S18_S1A_T6_T7_T9_mT8_S1C_bDpT10_ENKUlT_T0_E_clISt17integral_constantIbLb1EES1P_EEDaS1K_S1L_EUlS1K_E_NS1_11comp_targetILNS1_3genE4ELNS1_11target_archE910ELNS1_3gpuE8ELNS1_3repE0EEENS1_30default_config_static_selectorELNS0_4arch9wavefront6targetE0EEEvSY_
; %bb.0:
	.section	.rodata,"a",@progbits
	.p2align	6, 0x0
	.amdhsa_kernel _ZN7rocprim17ROCPRIM_400000_NS6detail17trampoline_kernelINS0_13select_configILj256ELj13ELNS0_17block_load_methodE3ELS4_3ELS4_3ELNS0_20block_scan_algorithmE0ELj4294967295EEENS1_25partition_config_selectorILNS1_17partition_subalgoE3EjNS0_10empty_typeEbEEZZNS1_14partition_implILS8_3ELb0ES6_jNS0_17counting_iteratorIjlEEPS9_SE_NS0_5tupleIJPjSE_EEENSF_IJSE_SE_EEES9_SG_JZNS1_25segmented_radix_sort_implINS0_14default_configELb0EPKbPbPKlPlN2at6native12_GLOBAL__N_18offset_tEEE10hipError_tPvRmT1_PNSt15iterator_traitsISY_E10value_typeET2_T3_PNSZ_IS14_E10value_typeET4_jRbjT5_S1A_jjP12ihipStream_tbEUljE_EEESV_SW_SX_S14_S18_S1A_T6_T7_T9_mT8_S1C_bDpT10_ENKUlT_T0_E_clISt17integral_constantIbLb1EES1P_EEDaS1K_S1L_EUlS1K_E_NS1_11comp_targetILNS1_3genE4ELNS1_11target_archE910ELNS1_3gpuE8ELNS1_3repE0EEENS1_30default_config_static_selectorELNS0_4arch9wavefront6targetE0EEEvSY_
		.amdhsa_group_segment_fixed_size 0
		.amdhsa_private_segment_fixed_size 0
		.amdhsa_kernarg_size 152
		.amdhsa_user_sgpr_count 15
		.amdhsa_user_sgpr_dispatch_ptr 0
		.amdhsa_user_sgpr_queue_ptr 0
		.amdhsa_user_sgpr_kernarg_segment_ptr 1
		.amdhsa_user_sgpr_dispatch_id 0
		.amdhsa_user_sgpr_private_segment_size 0
		.amdhsa_wavefront_size32 1
		.amdhsa_uses_dynamic_stack 0
		.amdhsa_enable_private_segment 0
		.amdhsa_system_sgpr_workgroup_id_x 1
		.amdhsa_system_sgpr_workgroup_id_y 0
		.amdhsa_system_sgpr_workgroup_id_z 0
		.amdhsa_system_sgpr_workgroup_info 0
		.amdhsa_system_vgpr_workitem_id 0
		.amdhsa_next_free_vgpr 1
		.amdhsa_next_free_sgpr 1
		.amdhsa_reserve_vcc 0
		.amdhsa_float_round_mode_32 0
		.amdhsa_float_round_mode_16_64 0
		.amdhsa_float_denorm_mode_32 3
		.amdhsa_float_denorm_mode_16_64 3
		.amdhsa_dx10_clamp 1
		.amdhsa_ieee_mode 1
		.amdhsa_fp16_overflow 0
		.amdhsa_workgroup_processor_mode 1
		.amdhsa_memory_ordered 1
		.amdhsa_forward_progress 0
		.amdhsa_shared_vgpr_count 0
		.amdhsa_exception_fp_ieee_invalid_op 0
		.amdhsa_exception_fp_denorm_src 0
		.amdhsa_exception_fp_ieee_div_zero 0
		.amdhsa_exception_fp_ieee_overflow 0
		.amdhsa_exception_fp_ieee_underflow 0
		.amdhsa_exception_fp_ieee_inexact 0
		.amdhsa_exception_int_div_zero 0
	.end_amdhsa_kernel
	.section	.text._ZN7rocprim17ROCPRIM_400000_NS6detail17trampoline_kernelINS0_13select_configILj256ELj13ELNS0_17block_load_methodE3ELS4_3ELS4_3ELNS0_20block_scan_algorithmE0ELj4294967295EEENS1_25partition_config_selectorILNS1_17partition_subalgoE3EjNS0_10empty_typeEbEEZZNS1_14partition_implILS8_3ELb0ES6_jNS0_17counting_iteratorIjlEEPS9_SE_NS0_5tupleIJPjSE_EEENSF_IJSE_SE_EEES9_SG_JZNS1_25segmented_radix_sort_implINS0_14default_configELb0EPKbPbPKlPlN2at6native12_GLOBAL__N_18offset_tEEE10hipError_tPvRmT1_PNSt15iterator_traitsISY_E10value_typeET2_T3_PNSZ_IS14_E10value_typeET4_jRbjT5_S1A_jjP12ihipStream_tbEUljE_EEESV_SW_SX_S14_S18_S1A_T6_T7_T9_mT8_S1C_bDpT10_ENKUlT_T0_E_clISt17integral_constantIbLb1EES1P_EEDaS1K_S1L_EUlS1K_E_NS1_11comp_targetILNS1_3genE4ELNS1_11target_archE910ELNS1_3gpuE8ELNS1_3repE0EEENS1_30default_config_static_selectorELNS0_4arch9wavefront6targetE0EEEvSY_,"axG",@progbits,_ZN7rocprim17ROCPRIM_400000_NS6detail17trampoline_kernelINS0_13select_configILj256ELj13ELNS0_17block_load_methodE3ELS4_3ELS4_3ELNS0_20block_scan_algorithmE0ELj4294967295EEENS1_25partition_config_selectorILNS1_17partition_subalgoE3EjNS0_10empty_typeEbEEZZNS1_14partition_implILS8_3ELb0ES6_jNS0_17counting_iteratorIjlEEPS9_SE_NS0_5tupleIJPjSE_EEENSF_IJSE_SE_EEES9_SG_JZNS1_25segmented_radix_sort_implINS0_14default_configELb0EPKbPbPKlPlN2at6native12_GLOBAL__N_18offset_tEEE10hipError_tPvRmT1_PNSt15iterator_traitsISY_E10value_typeET2_T3_PNSZ_IS14_E10value_typeET4_jRbjT5_S1A_jjP12ihipStream_tbEUljE_EEESV_SW_SX_S14_S18_S1A_T6_T7_T9_mT8_S1C_bDpT10_ENKUlT_T0_E_clISt17integral_constantIbLb1EES1P_EEDaS1K_S1L_EUlS1K_E_NS1_11comp_targetILNS1_3genE4ELNS1_11target_archE910ELNS1_3gpuE8ELNS1_3repE0EEENS1_30default_config_static_selectorELNS0_4arch9wavefront6targetE0EEEvSY_,comdat
.Lfunc_end1613:
	.size	_ZN7rocprim17ROCPRIM_400000_NS6detail17trampoline_kernelINS0_13select_configILj256ELj13ELNS0_17block_load_methodE3ELS4_3ELS4_3ELNS0_20block_scan_algorithmE0ELj4294967295EEENS1_25partition_config_selectorILNS1_17partition_subalgoE3EjNS0_10empty_typeEbEEZZNS1_14partition_implILS8_3ELb0ES6_jNS0_17counting_iteratorIjlEEPS9_SE_NS0_5tupleIJPjSE_EEENSF_IJSE_SE_EEES9_SG_JZNS1_25segmented_radix_sort_implINS0_14default_configELb0EPKbPbPKlPlN2at6native12_GLOBAL__N_18offset_tEEE10hipError_tPvRmT1_PNSt15iterator_traitsISY_E10value_typeET2_T3_PNSZ_IS14_E10value_typeET4_jRbjT5_S1A_jjP12ihipStream_tbEUljE_EEESV_SW_SX_S14_S18_S1A_T6_T7_T9_mT8_S1C_bDpT10_ENKUlT_T0_E_clISt17integral_constantIbLb1EES1P_EEDaS1K_S1L_EUlS1K_E_NS1_11comp_targetILNS1_3genE4ELNS1_11target_archE910ELNS1_3gpuE8ELNS1_3repE0EEENS1_30default_config_static_selectorELNS0_4arch9wavefront6targetE0EEEvSY_, .Lfunc_end1613-_ZN7rocprim17ROCPRIM_400000_NS6detail17trampoline_kernelINS0_13select_configILj256ELj13ELNS0_17block_load_methodE3ELS4_3ELS4_3ELNS0_20block_scan_algorithmE0ELj4294967295EEENS1_25partition_config_selectorILNS1_17partition_subalgoE3EjNS0_10empty_typeEbEEZZNS1_14partition_implILS8_3ELb0ES6_jNS0_17counting_iteratorIjlEEPS9_SE_NS0_5tupleIJPjSE_EEENSF_IJSE_SE_EEES9_SG_JZNS1_25segmented_radix_sort_implINS0_14default_configELb0EPKbPbPKlPlN2at6native12_GLOBAL__N_18offset_tEEE10hipError_tPvRmT1_PNSt15iterator_traitsISY_E10value_typeET2_T3_PNSZ_IS14_E10value_typeET4_jRbjT5_S1A_jjP12ihipStream_tbEUljE_EEESV_SW_SX_S14_S18_S1A_T6_T7_T9_mT8_S1C_bDpT10_ENKUlT_T0_E_clISt17integral_constantIbLb1EES1P_EEDaS1K_S1L_EUlS1K_E_NS1_11comp_targetILNS1_3genE4ELNS1_11target_archE910ELNS1_3gpuE8ELNS1_3repE0EEENS1_30default_config_static_selectorELNS0_4arch9wavefront6targetE0EEEvSY_
                                        ; -- End function
	.section	.AMDGPU.csdata,"",@progbits
; Kernel info:
; codeLenInByte = 0
; NumSgprs: 0
; NumVgprs: 0
; ScratchSize: 0
; MemoryBound: 0
; FloatMode: 240
; IeeeMode: 1
; LDSByteSize: 0 bytes/workgroup (compile time only)
; SGPRBlocks: 0
; VGPRBlocks: 0
; NumSGPRsForWavesPerEU: 1
; NumVGPRsForWavesPerEU: 1
; Occupancy: 16
; WaveLimiterHint : 0
; COMPUTE_PGM_RSRC2:SCRATCH_EN: 0
; COMPUTE_PGM_RSRC2:USER_SGPR: 15
; COMPUTE_PGM_RSRC2:TRAP_HANDLER: 0
; COMPUTE_PGM_RSRC2:TGID_X_EN: 1
; COMPUTE_PGM_RSRC2:TGID_Y_EN: 0
; COMPUTE_PGM_RSRC2:TGID_Z_EN: 0
; COMPUTE_PGM_RSRC2:TIDIG_COMP_CNT: 0
	.section	.text._ZN7rocprim17ROCPRIM_400000_NS6detail17trampoline_kernelINS0_13select_configILj256ELj13ELNS0_17block_load_methodE3ELS4_3ELS4_3ELNS0_20block_scan_algorithmE0ELj4294967295EEENS1_25partition_config_selectorILNS1_17partition_subalgoE3EjNS0_10empty_typeEbEEZZNS1_14partition_implILS8_3ELb0ES6_jNS0_17counting_iteratorIjlEEPS9_SE_NS0_5tupleIJPjSE_EEENSF_IJSE_SE_EEES9_SG_JZNS1_25segmented_radix_sort_implINS0_14default_configELb0EPKbPbPKlPlN2at6native12_GLOBAL__N_18offset_tEEE10hipError_tPvRmT1_PNSt15iterator_traitsISY_E10value_typeET2_T3_PNSZ_IS14_E10value_typeET4_jRbjT5_S1A_jjP12ihipStream_tbEUljE_EEESV_SW_SX_S14_S18_S1A_T6_T7_T9_mT8_S1C_bDpT10_ENKUlT_T0_E_clISt17integral_constantIbLb1EES1P_EEDaS1K_S1L_EUlS1K_E_NS1_11comp_targetILNS1_3genE3ELNS1_11target_archE908ELNS1_3gpuE7ELNS1_3repE0EEENS1_30default_config_static_selectorELNS0_4arch9wavefront6targetE0EEEvSY_,"axG",@progbits,_ZN7rocprim17ROCPRIM_400000_NS6detail17trampoline_kernelINS0_13select_configILj256ELj13ELNS0_17block_load_methodE3ELS4_3ELS4_3ELNS0_20block_scan_algorithmE0ELj4294967295EEENS1_25partition_config_selectorILNS1_17partition_subalgoE3EjNS0_10empty_typeEbEEZZNS1_14partition_implILS8_3ELb0ES6_jNS0_17counting_iteratorIjlEEPS9_SE_NS0_5tupleIJPjSE_EEENSF_IJSE_SE_EEES9_SG_JZNS1_25segmented_radix_sort_implINS0_14default_configELb0EPKbPbPKlPlN2at6native12_GLOBAL__N_18offset_tEEE10hipError_tPvRmT1_PNSt15iterator_traitsISY_E10value_typeET2_T3_PNSZ_IS14_E10value_typeET4_jRbjT5_S1A_jjP12ihipStream_tbEUljE_EEESV_SW_SX_S14_S18_S1A_T6_T7_T9_mT8_S1C_bDpT10_ENKUlT_T0_E_clISt17integral_constantIbLb1EES1P_EEDaS1K_S1L_EUlS1K_E_NS1_11comp_targetILNS1_3genE3ELNS1_11target_archE908ELNS1_3gpuE7ELNS1_3repE0EEENS1_30default_config_static_selectorELNS0_4arch9wavefront6targetE0EEEvSY_,comdat
	.globl	_ZN7rocprim17ROCPRIM_400000_NS6detail17trampoline_kernelINS0_13select_configILj256ELj13ELNS0_17block_load_methodE3ELS4_3ELS4_3ELNS0_20block_scan_algorithmE0ELj4294967295EEENS1_25partition_config_selectorILNS1_17partition_subalgoE3EjNS0_10empty_typeEbEEZZNS1_14partition_implILS8_3ELb0ES6_jNS0_17counting_iteratorIjlEEPS9_SE_NS0_5tupleIJPjSE_EEENSF_IJSE_SE_EEES9_SG_JZNS1_25segmented_radix_sort_implINS0_14default_configELb0EPKbPbPKlPlN2at6native12_GLOBAL__N_18offset_tEEE10hipError_tPvRmT1_PNSt15iterator_traitsISY_E10value_typeET2_T3_PNSZ_IS14_E10value_typeET4_jRbjT5_S1A_jjP12ihipStream_tbEUljE_EEESV_SW_SX_S14_S18_S1A_T6_T7_T9_mT8_S1C_bDpT10_ENKUlT_T0_E_clISt17integral_constantIbLb1EES1P_EEDaS1K_S1L_EUlS1K_E_NS1_11comp_targetILNS1_3genE3ELNS1_11target_archE908ELNS1_3gpuE7ELNS1_3repE0EEENS1_30default_config_static_selectorELNS0_4arch9wavefront6targetE0EEEvSY_ ; -- Begin function _ZN7rocprim17ROCPRIM_400000_NS6detail17trampoline_kernelINS0_13select_configILj256ELj13ELNS0_17block_load_methodE3ELS4_3ELS4_3ELNS0_20block_scan_algorithmE0ELj4294967295EEENS1_25partition_config_selectorILNS1_17partition_subalgoE3EjNS0_10empty_typeEbEEZZNS1_14partition_implILS8_3ELb0ES6_jNS0_17counting_iteratorIjlEEPS9_SE_NS0_5tupleIJPjSE_EEENSF_IJSE_SE_EEES9_SG_JZNS1_25segmented_radix_sort_implINS0_14default_configELb0EPKbPbPKlPlN2at6native12_GLOBAL__N_18offset_tEEE10hipError_tPvRmT1_PNSt15iterator_traitsISY_E10value_typeET2_T3_PNSZ_IS14_E10value_typeET4_jRbjT5_S1A_jjP12ihipStream_tbEUljE_EEESV_SW_SX_S14_S18_S1A_T6_T7_T9_mT8_S1C_bDpT10_ENKUlT_T0_E_clISt17integral_constantIbLb1EES1P_EEDaS1K_S1L_EUlS1K_E_NS1_11comp_targetILNS1_3genE3ELNS1_11target_archE908ELNS1_3gpuE7ELNS1_3repE0EEENS1_30default_config_static_selectorELNS0_4arch9wavefront6targetE0EEEvSY_
	.p2align	8
	.type	_ZN7rocprim17ROCPRIM_400000_NS6detail17trampoline_kernelINS0_13select_configILj256ELj13ELNS0_17block_load_methodE3ELS4_3ELS4_3ELNS0_20block_scan_algorithmE0ELj4294967295EEENS1_25partition_config_selectorILNS1_17partition_subalgoE3EjNS0_10empty_typeEbEEZZNS1_14partition_implILS8_3ELb0ES6_jNS0_17counting_iteratorIjlEEPS9_SE_NS0_5tupleIJPjSE_EEENSF_IJSE_SE_EEES9_SG_JZNS1_25segmented_radix_sort_implINS0_14default_configELb0EPKbPbPKlPlN2at6native12_GLOBAL__N_18offset_tEEE10hipError_tPvRmT1_PNSt15iterator_traitsISY_E10value_typeET2_T3_PNSZ_IS14_E10value_typeET4_jRbjT5_S1A_jjP12ihipStream_tbEUljE_EEESV_SW_SX_S14_S18_S1A_T6_T7_T9_mT8_S1C_bDpT10_ENKUlT_T0_E_clISt17integral_constantIbLb1EES1P_EEDaS1K_S1L_EUlS1K_E_NS1_11comp_targetILNS1_3genE3ELNS1_11target_archE908ELNS1_3gpuE7ELNS1_3repE0EEENS1_30default_config_static_selectorELNS0_4arch9wavefront6targetE0EEEvSY_,@function
_ZN7rocprim17ROCPRIM_400000_NS6detail17trampoline_kernelINS0_13select_configILj256ELj13ELNS0_17block_load_methodE3ELS4_3ELS4_3ELNS0_20block_scan_algorithmE0ELj4294967295EEENS1_25partition_config_selectorILNS1_17partition_subalgoE3EjNS0_10empty_typeEbEEZZNS1_14partition_implILS8_3ELb0ES6_jNS0_17counting_iteratorIjlEEPS9_SE_NS0_5tupleIJPjSE_EEENSF_IJSE_SE_EEES9_SG_JZNS1_25segmented_radix_sort_implINS0_14default_configELb0EPKbPbPKlPlN2at6native12_GLOBAL__N_18offset_tEEE10hipError_tPvRmT1_PNSt15iterator_traitsISY_E10value_typeET2_T3_PNSZ_IS14_E10value_typeET4_jRbjT5_S1A_jjP12ihipStream_tbEUljE_EEESV_SW_SX_S14_S18_S1A_T6_T7_T9_mT8_S1C_bDpT10_ENKUlT_T0_E_clISt17integral_constantIbLb1EES1P_EEDaS1K_S1L_EUlS1K_E_NS1_11comp_targetILNS1_3genE3ELNS1_11target_archE908ELNS1_3gpuE7ELNS1_3repE0EEENS1_30default_config_static_selectorELNS0_4arch9wavefront6targetE0EEEvSY_: ; @_ZN7rocprim17ROCPRIM_400000_NS6detail17trampoline_kernelINS0_13select_configILj256ELj13ELNS0_17block_load_methodE3ELS4_3ELS4_3ELNS0_20block_scan_algorithmE0ELj4294967295EEENS1_25partition_config_selectorILNS1_17partition_subalgoE3EjNS0_10empty_typeEbEEZZNS1_14partition_implILS8_3ELb0ES6_jNS0_17counting_iteratorIjlEEPS9_SE_NS0_5tupleIJPjSE_EEENSF_IJSE_SE_EEES9_SG_JZNS1_25segmented_radix_sort_implINS0_14default_configELb0EPKbPbPKlPlN2at6native12_GLOBAL__N_18offset_tEEE10hipError_tPvRmT1_PNSt15iterator_traitsISY_E10value_typeET2_T3_PNSZ_IS14_E10value_typeET4_jRbjT5_S1A_jjP12ihipStream_tbEUljE_EEESV_SW_SX_S14_S18_S1A_T6_T7_T9_mT8_S1C_bDpT10_ENKUlT_T0_E_clISt17integral_constantIbLb1EES1P_EEDaS1K_S1L_EUlS1K_E_NS1_11comp_targetILNS1_3genE3ELNS1_11target_archE908ELNS1_3gpuE7ELNS1_3repE0EEENS1_30default_config_static_selectorELNS0_4arch9wavefront6targetE0EEEvSY_
; %bb.0:
	.section	.rodata,"a",@progbits
	.p2align	6, 0x0
	.amdhsa_kernel _ZN7rocprim17ROCPRIM_400000_NS6detail17trampoline_kernelINS0_13select_configILj256ELj13ELNS0_17block_load_methodE3ELS4_3ELS4_3ELNS0_20block_scan_algorithmE0ELj4294967295EEENS1_25partition_config_selectorILNS1_17partition_subalgoE3EjNS0_10empty_typeEbEEZZNS1_14partition_implILS8_3ELb0ES6_jNS0_17counting_iteratorIjlEEPS9_SE_NS0_5tupleIJPjSE_EEENSF_IJSE_SE_EEES9_SG_JZNS1_25segmented_radix_sort_implINS0_14default_configELb0EPKbPbPKlPlN2at6native12_GLOBAL__N_18offset_tEEE10hipError_tPvRmT1_PNSt15iterator_traitsISY_E10value_typeET2_T3_PNSZ_IS14_E10value_typeET4_jRbjT5_S1A_jjP12ihipStream_tbEUljE_EEESV_SW_SX_S14_S18_S1A_T6_T7_T9_mT8_S1C_bDpT10_ENKUlT_T0_E_clISt17integral_constantIbLb1EES1P_EEDaS1K_S1L_EUlS1K_E_NS1_11comp_targetILNS1_3genE3ELNS1_11target_archE908ELNS1_3gpuE7ELNS1_3repE0EEENS1_30default_config_static_selectorELNS0_4arch9wavefront6targetE0EEEvSY_
		.amdhsa_group_segment_fixed_size 0
		.amdhsa_private_segment_fixed_size 0
		.amdhsa_kernarg_size 152
		.amdhsa_user_sgpr_count 15
		.amdhsa_user_sgpr_dispatch_ptr 0
		.amdhsa_user_sgpr_queue_ptr 0
		.amdhsa_user_sgpr_kernarg_segment_ptr 1
		.amdhsa_user_sgpr_dispatch_id 0
		.amdhsa_user_sgpr_private_segment_size 0
		.amdhsa_wavefront_size32 1
		.amdhsa_uses_dynamic_stack 0
		.amdhsa_enable_private_segment 0
		.amdhsa_system_sgpr_workgroup_id_x 1
		.amdhsa_system_sgpr_workgroup_id_y 0
		.amdhsa_system_sgpr_workgroup_id_z 0
		.amdhsa_system_sgpr_workgroup_info 0
		.amdhsa_system_vgpr_workitem_id 0
		.amdhsa_next_free_vgpr 1
		.amdhsa_next_free_sgpr 1
		.amdhsa_reserve_vcc 0
		.amdhsa_float_round_mode_32 0
		.amdhsa_float_round_mode_16_64 0
		.amdhsa_float_denorm_mode_32 3
		.amdhsa_float_denorm_mode_16_64 3
		.amdhsa_dx10_clamp 1
		.amdhsa_ieee_mode 1
		.amdhsa_fp16_overflow 0
		.amdhsa_workgroup_processor_mode 1
		.amdhsa_memory_ordered 1
		.amdhsa_forward_progress 0
		.amdhsa_shared_vgpr_count 0
		.amdhsa_exception_fp_ieee_invalid_op 0
		.amdhsa_exception_fp_denorm_src 0
		.amdhsa_exception_fp_ieee_div_zero 0
		.amdhsa_exception_fp_ieee_overflow 0
		.amdhsa_exception_fp_ieee_underflow 0
		.amdhsa_exception_fp_ieee_inexact 0
		.amdhsa_exception_int_div_zero 0
	.end_amdhsa_kernel
	.section	.text._ZN7rocprim17ROCPRIM_400000_NS6detail17trampoline_kernelINS0_13select_configILj256ELj13ELNS0_17block_load_methodE3ELS4_3ELS4_3ELNS0_20block_scan_algorithmE0ELj4294967295EEENS1_25partition_config_selectorILNS1_17partition_subalgoE3EjNS0_10empty_typeEbEEZZNS1_14partition_implILS8_3ELb0ES6_jNS0_17counting_iteratorIjlEEPS9_SE_NS0_5tupleIJPjSE_EEENSF_IJSE_SE_EEES9_SG_JZNS1_25segmented_radix_sort_implINS0_14default_configELb0EPKbPbPKlPlN2at6native12_GLOBAL__N_18offset_tEEE10hipError_tPvRmT1_PNSt15iterator_traitsISY_E10value_typeET2_T3_PNSZ_IS14_E10value_typeET4_jRbjT5_S1A_jjP12ihipStream_tbEUljE_EEESV_SW_SX_S14_S18_S1A_T6_T7_T9_mT8_S1C_bDpT10_ENKUlT_T0_E_clISt17integral_constantIbLb1EES1P_EEDaS1K_S1L_EUlS1K_E_NS1_11comp_targetILNS1_3genE3ELNS1_11target_archE908ELNS1_3gpuE7ELNS1_3repE0EEENS1_30default_config_static_selectorELNS0_4arch9wavefront6targetE0EEEvSY_,"axG",@progbits,_ZN7rocprim17ROCPRIM_400000_NS6detail17trampoline_kernelINS0_13select_configILj256ELj13ELNS0_17block_load_methodE3ELS4_3ELS4_3ELNS0_20block_scan_algorithmE0ELj4294967295EEENS1_25partition_config_selectorILNS1_17partition_subalgoE3EjNS0_10empty_typeEbEEZZNS1_14partition_implILS8_3ELb0ES6_jNS0_17counting_iteratorIjlEEPS9_SE_NS0_5tupleIJPjSE_EEENSF_IJSE_SE_EEES9_SG_JZNS1_25segmented_radix_sort_implINS0_14default_configELb0EPKbPbPKlPlN2at6native12_GLOBAL__N_18offset_tEEE10hipError_tPvRmT1_PNSt15iterator_traitsISY_E10value_typeET2_T3_PNSZ_IS14_E10value_typeET4_jRbjT5_S1A_jjP12ihipStream_tbEUljE_EEESV_SW_SX_S14_S18_S1A_T6_T7_T9_mT8_S1C_bDpT10_ENKUlT_T0_E_clISt17integral_constantIbLb1EES1P_EEDaS1K_S1L_EUlS1K_E_NS1_11comp_targetILNS1_3genE3ELNS1_11target_archE908ELNS1_3gpuE7ELNS1_3repE0EEENS1_30default_config_static_selectorELNS0_4arch9wavefront6targetE0EEEvSY_,comdat
.Lfunc_end1614:
	.size	_ZN7rocprim17ROCPRIM_400000_NS6detail17trampoline_kernelINS0_13select_configILj256ELj13ELNS0_17block_load_methodE3ELS4_3ELS4_3ELNS0_20block_scan_algorithmE0ELj4294967295EEENS1_25partition_config_selectorILNS1_17partition_subalgoE3EjNS0_10empty_typeEbEEZZNS1_14partition_implILS8_3ELb0ES6_jNS0_17counting_iteratorIjlEEPS9_SE_NS0_5tupleIJPjSE_EEENSF_IJSE_SE_EEES9_SG_JZNS1_25segmented_radix_sort_implINS0_14default_configELb0EPKbPbPKlPlN2at6native12_GLOBAL__N_18offset_tEEE10hipError_tPvRmT1_PNSt15iterator_traitsISY_E10value_typeET2_T3_PNSZ_IS14_E10value_typeET4_jRbjT5_S1A_jjP12ihipStream_tbEUljE_EEESV_SW_SX_S14_S18_S1A_T6_T7_T9_mT8_S1C_bDpT10_ENKUlT_T0_E_clISt17integral_constantIbLb1EES1P_EEDaS1K_S1L_EUlS1K_E_NS1_11comp_targetILNS1_3genE3ELNS1_11target_archE908ELNS1_3gpuE7ELNS1_3repE0EEENS1_30default_config_static_selectorELNS0_4arch9wavefront6targetE0EEEvSY_, .Lfunc_end1614-_ZN7rocprim17ROCPRIM_400000_NS6detail17trampoline_kernelINS0_13select_configILj256ELj13ELNS0_17block_load_methodE3ELS4_3ELS4_3ELNS0_20block_scan_algorithmE0ELj4294967295EEENS1_25partition_config_selectorILNS1_17partition_subalgoE3EjNS0_10empty_typeEbEEZZNS1_14partition_implILS8_3ELb0ES6_jNS0_17counting_iteratorIjlEEPS9_SE_NS0_5tupleIJPjSE_EEENSF_IJSE_SE_EEES9_SG_JZNS1_25segmented_radix_sort_implINS0_14default_configELb0EPKbPbPKlPlN2at6native12_GLOBAL__N_18offset_tEEE10hipError_tPvRmT1_PNSt15iterator_traitsISY_E10value_typeET2_T3_PNSZ_IS14_E10value_typeET4_jRbjT5_S1A_jjP12ihipStream_tbEUljE_EEESV_SW_SX_S14_S18_S1A_T6_T7_T9_mT8_S1C_bDpT10_ENKUlT_T0_E_clISt17integral_constantIbLb1EES1P_EEDaS1K_S1L_EUlS1K_E_NS1_11comp_targetILNS1_3genE3ELNS1_11target_archE908ELNS1_3gpuE7ELNS1_3repE0EEENS1_30default_config_static_selectorELNS0_4arch9wavefront6targetE0EEEvSY_
                                        ; -- End function
	.section	.AMDGPU.csdata,"",@progbits
; Kernel info:
; codeLenInByte = 0
; NumSgprs: 0
; NumVgprs: 0
; ScratchSize: 0
; MemoryBound: 0
; FloatMode: 240
; IeeeMode: 1
; LDSByteSize: 0 bytes/workgroup (compile time only)
; SGPRBlocks: 0
; VGPRBlocks: 0
; NumSGPRsForWavesPerEU: 1
; NumVGPRsForWavesPerEU: 1
; Occupancy: 16
; WaveLimiterHint : 0
; COMPUTE_PGM_RSRC2:SCRATCH_EN: 0
; COMPUTE_PGM_RSRC2:USER_SGPR: 15
; COMPUTE_PGM_RSRC2:TRAP_HANDLER: 0
; COMPUTE_PGM_RSRC2:TGID_X_EN: 1
; COMPUTE_PGM_RSRC2:TGID_Y_EN: 0
; COMPUTE_PGM_RSRC2:TGID_Z_EN: 0
; COMPUTE_PGM_RSRC2:TIDIG_COMP_CNT: 0
	.section	.text._ZN7rocprim17ROCPRIM_400000_NS6detail17trampoline_kernelINS0_13select_configILj256ELj13ELNS0_17block_load_methodE3ELS4_3ELS4_3ELNS0_20block_scan_algorithmE0ELj4294967295EEENS1_25partition_config_selectorILNS1_17partition_subalgoE3EjNS0_10empty_typeEbEEZZNS1_14partition_implILS8_3ELb0ES6_jNS0_17counting_iteratorIjlEEPS9_SE_NS0_5tupleIJPjSE_EEENSF_IJSE_SE_EEES9_SG_JZNS1_25segmented_radix_sort_implINS0_14default_configELb0EPKbPbPKlPlN2at6native12_GLOBAL__N_18offset_tEEE10hipError_tPvRmT1_PNSt15iterator_traitsISY_E10value_typeET2_T3_PNSZ_IS14_E10value_typeET4_jRbjT5_S1A_jjP12ihipStream_tbEUljE_EEESV_SW_SX_S14_S18_S1A_T6_T7_T9_mT8_S1C_bDpT10_ENKUlT_T0_E_clISt17integral_constantIbLb1EES1P_EEDaS1K_S1L_EUlS1K_E_NS1_11comp_targetILNS1_3genE2ELNS1_11target_archE906ELNS1_3gpuE6ELNS1_3repE0EEENS1_30default_config_static_selectorELNS0_4arch9wavefront6targetE0EEEvSY_,"axG",@progbits,_ZN7rocprim17ROCPRIM_400000_NS6detail17trampoline_kernelINS0_13select_configILj256ELj13ELNS0_17block_load_methodE3ELS4_3ELS4_3ELNS0_20block_scan_algorithmE0ELj4294967295EEENS1_25partition_config_selectorILNS1_17partition_subalgoE3EjNS0_10empty_typeEbEEZZNS1_14partition_implILS8_3ELb0ES6_jNS0_17counting_iteratorIjlEEPS9_SE_NS0_5tupleIJPjSE_EEENSF_IJSE_SE_EEES9_SG_JZNS1_25segmented_radix_sort_implINS0_14default_configELb0EPKbPbPKlPlN2at6native12_GLOBAL__N_18offset_tEEE10hipError_tPvRmT1_PNSt15iterator_traitsISY_E10value_typeET2_T3_PNSZ_IS14_E10value_typeET4_jRbjT5_S1A_jjP12ihipStream_tbEUljE_EEESV_SW_SX_S14_S18_S1A_T6_T7_T9_mT8_S1C_bDpT10_ENKUlT_T0_E_clISt17integral_constantIbLb1EES1P_EEDaS1K_S1L_EUlS1K_E_NS1_11comp_targetILNS1_3genE2ELNS1_11target_archE906ELNS1_3gpuE6ELNS1_3repE0EEENS1_30default_config_static_selectorELNS0_4arch9wavefront6targetE0EEEvSY_,comdat
	.globl	_ZN7rocprim17ROCPRIM_400000_NS6detail17trampoline_kernelINS0_13select_configILj256ELj13ELNS0_17block_load_methodE3ELS4_3ELS4_3ELNS0_20block_scan_algorithmE0ELj4294967295EEENS1_25partition_config_selectorILNS1_17partition_subalgoE3EjNS0_10empty_typeEbEEZZNS1_14partition_implILS8_3ELb0ES6_jNS0_17counting_iteratorIjlEEPS9_SE_NS0_5tupleIJPjSE_EEENSF_IJSE_SE_EEES9_SG_JZNS1_25segmented_radix_sort_implINS0_14default_configELb0EPKbPbPKlPlN2at6native12_GLOBAL__N_18offset_tEEE10hipError_tPvRmT1_PNSt15iterator_traitsISY_E10value_typeET2_T3_PNSZ_IS14_E10value_typeET4_jRbjT5_S1A_jjP12ihipStream_tbEUljE_EEESV_SW_SX_S14_S18_S1A_T6_T7_T9_mT8_S1C_bDpT10_ENKUlT_T0_E_clISt17integral_constantIbLb1EES1P_EEDaS1K_S1L_EUlS1K_E_NS1_11comp_targetILNS1_3genE2ELNS1_11target_archE906ELNS1_3gpuE6ELNS1_3repE0EEENS1_30default_config_static_selectorELNS0_4arch9wavefront6targetE0EEEvSY_ ; -- Begin function _ZN7rocprim17ROCPRIM_400000_NS6detail17trampoline_kernelINS0_13select_configILj256ELj13ELNS0_17block_load_methodE3ELS4_3ELS4_3ELNS0_20block_scan_algorithmE0ELj4294967295EEENS1_25partition_config_selectorILNS1_17partition_subalgoE3EjNS0_10empty_typeEbEEZZNS1_14partition_implILS8_3ELb0ES6_jNS0_17counting_iteratorIjlEEPS9_SE_NS0_5tupleIJPjSE_EEENSF_IJSE_SE_EEES9_SG_JZNS1_25segmented_radix_sort_implINS0_14default_configELb0EPKbPbPKlPlN2at6native12_GLOBAL__N_18offset_tEEE10hipError_tPvRmT1_PNSt15iterator_traitsISY_E10value_typeET2_T3_PNSZ_IS14_E10value_typeET4_jRbjT5_S1A_jjP12ihipStream_tbEUljE_EEESV_SW_SX_S14_S18_S1A_T6_T7_T9_mT8_S1C_bDpT10_ENKUlT_T0_E_clISt17integral_constantIbLb1EES1P_EEDaS1K_S1L_EUlS1K_E_NS1_11comp_targetILNS1_3genE2ELNS1_11target_archE906ELNS1_3gpuE6ELNS1_3repE0EEENS1_30default_config_static_selectorELNS0_4arch9wavefront6targetE0EEEvSY_
	.p2align	8
	.type	_ZN7rocprim17ROCPRIM_400000_NS6detail17trampoline_kernelINS0_13select_configILj256ELj13ELNS0_17block_load_methodE3ELS4_3ELS4_3ELNS0_20block_scan_algorithmE0ELj4294967295EEENS1_25partition_config_selectorILNS1_17partition_subalgoE3EjNS0_10empty_typeEbEEZZNS1_14partition_implILS8_3ELb0ES6_jNS0_17counting_iteratorIjlEEPS9_SE_NS0_5tupleIJPjSE_EEENSF_IJSE_SE_EEES9_SG_JZNS1_25segmented_radix_sort_implINS0_14default_configELb0EPKbPbPKlPlN2at6native12_GLOBAL__N_18offset_tEEE10hipError_tPvRmT1_PNSt15iterator_traitsISY_E10value_typeET2_T3_PNSZ_IS14_E10value_typeET4_jRbjT5_S1A_jjP12ihipStream_tbEUljE_EEESV_SW_SX_S14_S18_S1A_T6_T7_T9_mT8_S1C_bDpT10_ENKUlT_T0_E_clISt17integral_constantIbLb1EES1P_EEDaS1K_S1L_EUlS1K_E_NS1_11comp_targetILNS1_3genE2ELNS1_11target_archE906ELNS1_3gpuE6ELNS1_3repE0EEENS1_30default_config_static_selectorELNS0_4arch9wavefront6targetE0EEEvSY_,@function
_ZN7rocprim17ROCPRIM_400000_NS6detail17trampoline_kernelINS0_13select_configILj256ELj13ELNS0_17block_load_methodE3ELS4_3ELS4_3ELNS0_20block_scan_algorithmE0ELj4294967295EEENS1_25partition_config_selectorILNS1_17partition_subalgoE3EjNS0_10empty_typeEbEEZZNS1_14partition_implILS8_3ELb0ES6_jNS0_17counting_iteratorIjlEEPS9_SE_NS0_5tupleIJPjSE_EEENSF_IJSE_SE_EEES9_SG_JZNS1_25segmented_radix_sort_implINS0_14default_configELb0EPKbPbPKlPlN2at6native12_GLOBAL__N_18offset_tEEE10hipError_tPvRmT1_PNSt15iterator_traitsISY_E10value_typeET2_T3_PNSZ_IS14_E10value_typeET4_jRbjT5_S1A_jjP12ihipStream_tbEUljE_EEESV_SW_SX_S14_S18_S1A_T6_T7_T9_mT8_S1C_bDpT10_ENKUlT_T0_E_clISt17integral_constantIbLb1EES1P_EEDaS1K_S1L_EUlS1K_E_NS1_11comp_targetILNS1_3genE2ELNS1_11target_archE906ELNS1_3gpuE6ELNS1_3repE0EEENS1_30default_config_static_selectorELNS0_4arch9wavefront6targetE0EEEvSY_: ; @_ZN7rocprim17ROCPRIM_400000_NS6detail17trampoline_kernelINS0_13select_configILj256ELj13ELNS0_17block_load_methodE3ELS4_3ELS4_3ELNS0_20block_scan_algorithmE0ELj4294967295EEENS1_25partition_config_selectorILNS1_17partition_subalgoE3EjNS0_10empty_typeEbEEZZNS1_14partition_implILS8_3ELb0ES6_jNS0_17counting_iteratorIjlEEPS9_SE_NS0_5tupleIJPjSE_EEENSF_IJSE_SE_EEES9_SG_JZNS1_25segmented_radix_sort_implINS0_14default_configELb0EPKbPbPKlPlN2at6native12_GLOBAL__N_18offset_tEEE10hipError_tPvRmT1_PNSt15iterator_traitsISY_E10value_typeET2_T3_PNSZ_IS14_E10value_typeET4_jRbjT5_S1A_jjP12ihipStream_tbEUljE_EEESV_SW_SX_S14_S18_S1A_T6_T7_T9_mT8_S1C_bDpT10_ENKUlT_T0_E_clISt17integral_constantIbLb1EES1P_EEDaS1K_S1L_EUlS1K_E_NS1_11comp_targetILNS1_3genE2ELNS1_11target_archE906ELNS1_3gpuE6ELNS1_3repE0EEENS1_30default_config_static_selectorELNS0_4arch9wavefront6targetE0EEEvSY_
; %bb.0:
	.section	.rodata,"a",@progbits
	.p2align	6, 0x0
	.amdhsa_kernel _ZN7rocprim17ROCPRIM_400000_NS6detail17trampoline_kernelINS0_13select_configILj256ELj13ELNS0_17block_load_methodE3ELS4_3ELS4_3ELNS0_20block_scan_algorithmE0ELj4294967295EEENS1_25partition_config_selectorILNS1_17partition_subalgoE3EjNS0_10empty_typeEbEEZZNS1_14partition_implILS8_3ELb0ES6_jNS0_17counting_iteratorIjlEEPS9_SE_NS0_5tupleIJPjSE_EEENSF_IJSE_SE_EEES9_SG_JZNS1_25segmented_radix_sort_implINS0_14default_configELb0EPKbPbPKlPlN2at6native12_GLOBAL__N_18offset_tEEE10hipError_tPvRmT1_PNSt15iterator_traitsISY_E10value_typeET2_T3_PNSZ_IS14_E10value_typeET4_jRbjT5_S1A_jjP12ihipStream_tbEUljE_EEESV_SW_SX_S14_S18_S1A_T6_T7_T9_mT8_S1C_bDpT10_ENKUlT_T0_E_clISt17integral_constantIbLb1EES1P_EEDaS1K_S1L_EUlS1K_E_NS1_11comp_targetILNS1_3genE2ELNS1_11target_archE906ELNS1_3gpuE6ELNS1_3repE0EEENS1_30default_config_static_selectorELNS0_4arch9wavefront6targetE0EEEvSY_
		.amdhsa_group_segment_fixed_size 0
		.amdhsa_private_segment_fixed_size 0
		.amdhsa_kernarg_size 152
		.amdhsa_user_sgpr_count 15
		.amdhsa_user_sgpr_dispatch_ptr 0
		.amdhsa_user_sgpr_queue_ptr 0
		.amdhsa_user_sgpr_kernarg_segment_ptr 1
		.amdhsa_user_sgpr_dispatch_id 0
		.amdhsa_user_sgpr_private_segment_size 0
		.amdhsa_wavefront_size32 1
		.amdhsa_uses_dynamic_stack 0
		.amdhsa_enable_private_segment 0
		.amdhsa_system_sgpr_workgroup_id_x 1
		.amdhsa_system_sgpr_workgroup_id_y 0
		.amdhsa_system_sgpr_workgroup_id_z 0
		.amdhsa_system_sgpr_workgroup_info 0
		.amdhsa_system_vgpr_workitem_id 0
		.amdhsa_next_free_vgpr 1
		.amdhsa_next_free_sgpr 1
		.amdhsa_reserve_vcc 0
		.amdhsa_float_round_mode_32 0
		.amdhsa_float_round_mode_16_64 0
		.amdhsa_float_denorm_mode_32 3
		.amdhsa_float_denorm_mode_16_64 3
		.amdhsa_dx10_clamp 1
		.amdhsa_ieee_mode 1
		.amdhsa_fp16_overflow 0
		.amdhsa_workgroup_processor_mode 1
		.amdhsa_memory_ordered 1
		.amdhsa_forward_progress 0
		.amdhsa_shared_vgpr_count 0
		.amdhsa_exception_fp_ieee_invalid_op 0
		.amdhsa_exception_fp_denorm_src 0
		.amdhsa_exception_fp_ieee_div_zero 0
		.amdhsa_exception_fp_ieee_overflow 0
		.amdhsa_exception_fp_ieee_underflow 0
		.amdhsa_exception_fp_ieee_inexact 0
		.amdhsa_exception_int_div_zero 0
	.end_amdhsa_kernel
	.section	.text._ZN7rocprim17ROCPRIM_400000_NS6detail17trampoline_kernelINS0_13select_configILj256ELj13ELNS0_17block_load_methodE3ELS4_3ELS4_3ELNS0_20block_scan_algorithmE0ELj4294967295EEENS1_25partition_config_selectorILNS1_17partition_subalgoE3EjNS0_10empty_typeEbEEZZNS1_14partition_implILS8_3ELb0ES6_jNS0_17counting_iteratorIjlEEPS9_SE_NS0_5tupleIJPjSE_EEENSF_IJSE_SE_EEES9_SG_JZNS1_25segmented_radix_sort_implINS0_14default_configELb0EPKbPbPKlPlN2at6native12_GLOBAL__N_18offset_tEEE10hipError_tPvRmT1_PNSt15iterator_traitsISY_E10value_typeET2_T3_PNSZ_IS14_E10value_typeET4_jRbjT5_S1A_jjP12ihipStream_tbEUljE_EEESV_SW_SX_S14_S18_S1A_T6_T7_T9_mT8_S1C_bDpT10_ENKUlT_T0_E_clISt17integral_constantIbLb1EES1P_EEDaS1K_S1L_EUlS1K_E_NS1_11comp_targetILNS1_3genE2ELNS1_11target_archE906ELNS1_3gpuE6ELNS1_3repE0EEENS1_30default_config_static_selectorELNS0_4arch9wavefront6targetE0EEEvSY_,"axG",@progbits,_ZN7rocprim17ROCPRIM_400000_NS6detail17trampoline_kernelINS0_13select_configILj256ELj13ELNS0_17block_load_methodE3ELS4_3ELS4_3ELNS0_20block_scan_algorithmE0ELj4294967295EEENS1_25partition_config_selectorILNS1_17partition_subalgoE3EjNS0_10empty_typeEbEEZZNS1_14partition_implILS8_3ELb0ES6_jNS0_17counting_iteratorIjlEEPS9_SE_NS0_5tupleIJPjSE_EEENSF_IJSE_SE_EEES9_SG_JZNS1_25segmented_radix_sort_implINS0_14default_configELb0EPKbPbPKlPlN2at6native12_GLOBAL__N_18offset_tEEE10hipError_tPvRmT1_PNSt15iterator_traitsISY_E10value_typeET2_T3_PNSZ_IS14_E10value_typeET4_jRbjT5_S1A_jjP12ihipStream_tbEUljE_EEESV_SW_SX_S14_S18_S1A_T6_T7_T9_mT8_S1C_bDpT10_ENKUlT_T0_E_clISt17integral_constantIbLb1EES1P_EEDaS1K_S1L_EUlS1K_E_NS1_11comp_targetILNS1_3genE2ELNS1_11target_archE906ELNS1_3gpuE6ELNS1_3repE0EEENS1_30default_config_static_selectorELNS0_4arch9wavefront6targetE0EEEvSY_,comdat
.Lfunc_end1615:
	.size	_ZN7rocprim17ROCPRIM_400000_NS6detail17trampoline_kernelINS0_13select_configILj256ELj13ELNS0_17block_load_methodE3ELS4_3ELS4_3ELNS0_20block_scan_algorithmE0ELj4294967295EEENS1_25partition_config_selectorILNS1_17partition_subalgoE3EjNS0_10empty_typeEbEEZZNS1_14partition_implILS8_3ELb0ES6_jNS0_17counting_iteratorIjlEEPS9_SE_NS0_5tupleIJPjSE_EEENSF_IJSE_SE_EEES9_SG_JZNS1_25segmented_radix_sort_implINS0_14default_configELb0EPKbPbPKlPlN2at6native12_GLOBAL__N_18offset_tEEE10hipError_tPvRmT1_PNSt15iterator_traitsISY_E10value_typeET2_T3_PNSZ_IS14_E10value_typeET4_jRbjT5_S1A_jjP12ihipStream_tbEUljE_EEESV_SW_SX_S14_S18_S1A_T6_T7_T9_mT8_S1C_bDpT10_ENKUlT_T0_E_clISt17integral_constantIbLb1EES1P_EEDaS1K_S1L_EUlS1K_E_NS1_11comp_targetILNS1_3genE2ELNS1_11target_archE906ELNS1_3gpuE6ELNS1_3repE0EEENS1_30default_config_static_selectorELNS0_4arch9wavefront6targetE0EEEvSY_, .Lfunc_end1615-_ZN7rocprim17ROCPRIM_400000_NS6detail17trampoline_kernelINS0_13select_configILj256ELj13ELNS0_17block_load_methodE3ELS4_3ELS4_3ELNS0_20block_scan_algorithmE0ELj4294967295EEENS1_25partition_config_selectorILNS1_17partition_subalgoE3EjNS0_10empty_typeEbEEZZNS1_14partition_implILS8_3ELb0ES6_jNS0_17counting_iteratorIjlEEPS9_SE_NS0_5tupleIJPjSE_EEENSF_IJSE_SE_EEES9_SG_JZNS1_25segmented_radix_sort_implINS0_14default_configELb0EPKbPbPKlPlN2at6native12_GLOBAL__N_18offset_tEEE10hipError_tPvRmT1_PNSt15iterator_traitsISY_E10value_typeET2_T3_PNSZ_IS14_E10value_typeET4_jRbjT5_S1A_jjP12ihipStream_tbEUljE_EEESV_SW_SX_S14_S18_S1A_T6_T7_T9_mT8_S1C_bDpT10_ENKUlT_T0_E_clISt17integral_constantIbLb1EES1P_EEDaS1K_S1L_EUlS1K_E_NS1_11comp_targetILNS1_3genE2ELNS1_11target_archE906ELNS1_3gpuE6ELNS1_3repE0EEENS1_30default_config_static_selectorELNS0_4arch9wavefront6targetE0EEEvSY_
                                        ; -- End function
	.section	.AMDGPU.csdata,"",@progbits
; Kernel info:
; codeLenInByte = 0
; NumSgprs: 0
; NumVgprs: 0
; ScratchSize: 0
; MemoryBound: 0
; FloatMode: 240
; IeeeMode: 1
; LDSByteSize: 0 bytes/workgroup (compile time only)
; SGPRBlocks: 0
; VGPRBlocks: 0
; NumSGPRsForWavesPerEU: 1
; NumVGPRsForWavesPerEU: 1
; Occupancy: 16
; WaveLimiterHint : 0
; COMPUTE_PGM_RSRC2:SCRATCH_EN: 0
; COMPUTE_PGM_RSRC2:USER_SGPR: 15
; COMPUTE_PGM_RSRC2:TRAP_HANDLER: 0
; COMPUTE_PGM_RSRC2:TGID_X_EN: 1
; COMPUTE_PGM_RSRC2:TGID_Y_EN: 0
; COMPUTE_PGM_RSRC2:TGID_Z_EN: 0
; COMPUTE_PGM_RSRC2:TIDIG_COMP_CNT: 0
	.section	.text._ZN7rocprim17ROCPRIM_400000_NS6detail17trampoline_kernelINS0_13select_configILj256ELj13ELNS0_17block_load_methodE3ELS4_3ELS4_3ELNS0_20block_scan_algorithmE0ELj4294967295EEENS1_25partition_config_selectorILNS1_17partition_subalgoE3EjNS0_10empty_typeEbEEZZNS1_14partition_implILS8_3ELb0ES6_jNS0_17counting_iteratorIjlEEPS9_SE_NS0_5tupleIJPjSE_EEENSF_IJSE_SE_EEES9_SG_JZNS1_25segmented_radix_sort_implINS0_14default_configELb0EPKbPbPKlPlN2at6native12_GLOBAL__N_18offset_tEEE10hipError_tPvRmT1_PNSt15iterator_traitsISY_E10value_typeET2_T3_PNSZ_IS14_E10value_typeET4_jRbjT5_S1A_jjP12ihipStream_tbEUljE_EEESV_SW_SX_S14_S18_S1A_T6_T7_T9_mT8_S1C_bDpT10_ENKUlT_T0_E_clISt17integral_constantIbLb1EES1P_EEDaS1K_S1L_EUlS1K_E_NS1_11comp_targetILNS1_3genE10ELNS1_11target_archE1200ELNS1_3gpuE4ELNS1_3repE0EEENS1_30default_config_static_selectorELNS0_4arch9wavefront6targetE0EEEvSY_,"axG",@progbits,_ZN7rocprim17ROCPRIM_400000_NS6detail17trampoline_kernelINS0_13select_configILj256ELj13ELNS0_17block_load_methodE3ELS4_3ELS4_3ELNS0_20block_scan_algorithmE0ELj4294967295EEENS1_25partition_config_selectorILNS1_17partition_subalgoE3EjNS0_10empty_typeEbEEZZNS1_14partition_implILS8_3ELb0ES6_jNS0_17counting_iteratorIjlEEPS9_SE_NS0_5tupleIJPjSE_EEENSF_IJSE_SE_EEES9_SG_JZNS1_25segmented_radix_sort_implINS0_14default_configELb0EPKbPbPKlPlN2at6native12_GLOBAL__N_18offset_tEEE10hipError_tPvRmT1_PNSt15iterator_traitsISY_E10value_typeET2_T3_PNSZ_IS14_E10value_typeET4_jRbjT5_S1A_jjP12ihipStream_tbEUljE_EEESV_SW_SX_S14_S18_S1A_T6_T7_T9_mT8_S1C_bDpT10_ENKUlT_T0_E_clISt17integral_constantIbLb1EES1P_EEDaS1K_S1L_EUlS1K_E_NS1_11comp_targetILNS1_3genE10ELNS1_11target_archE1200ELNS1_3gpuE4ELNS1_3repE0EEENS1_30default_config_static_selectorELNS0_4arch9wavefront6targetE0EEEvSY_,comdat
	.globl	_ZN7rocprim17ROCPRIM_400000_NS6detail17trampoline_kernelINS0_13select_configILj256ELj13ELNS0_17block_load_methodE3ELS4_3ELS4_3ELNS0_20block_scan_algorithmE0ELj4294967295EEENS1_25partition_config_selectorILNS1_17partition_subalgoE3EjNS0_10empty_typeEbEEZZNS1_14partition_implILS8_3ELb0ES6_jNS0_17counting_iteratorIjlEEPS9_SE_NS0_5tupleIJPjSE_EEENSF_IJSE_SE_EEES9_SG_JZNS1_25segmented_radix_sort_implINS0_14default_configELb0EPKbPbPKlPlN2at6native12_GLOBAL__N_18offset_tEEE10hipError_tPvRmT1_PNSt15iterator_traitsISY_E10value_typeET2_T3_PNSZ_IS14_E10value_typeET4_jRbjT5_S1A_jjP12ihipStream_tbEUljE_EEESV_SW_SX_S14_S18_S1A_T6_T7_T9_mT8_S1C_bDpT10_ENKUlT_T0_E_clISt17integral_constantIbLb1EES1P_EEDaS1K_S1L_EUlS1K_E_NS1_11comp_targetILNS1_3genE10ELNS1_11target_archE1200ELNS1_3gpuE4ELNS1_3repE0EEENS1_30default_config_static_selectorELNS0_4arch9wavefront6targetE0EEEvSY_ ; -- Begin function _ZN7rocprim17ROCPRIM_400000_NS6detail17trampoline_kernelINS0_13select_configILj256ELj13ELNS0_17block_load_methodE3ELS4_3ELS4_3ELNS0_20block_scan_algorithmE0ELj4294967295EEENS1_25partition_config_selectorILNS1_17partition_subalgoE3EjNS0_10empty_typeEbEEZZNS1_14partition_implILS8_3ELb0ES6_jNS0_17counting_iteratorIjlEEPS9_SE_NS0_5tupleIJPjSE_EEENSF_IJSE_SE_EEES9_SG_JZNS1_25segmented_radix_sort_implINS0_14default_configELb0EPKbPbPKlPlN2at6native12_GLOBAL__N_18offset_tEEE10hipError_tPvRmT1_PNSt15iterator_traitsISY_E10value_typeET2_T3_PNSZ_IS14_E10value_typeET4_jRbjT5_S1A_jjP12ihipStream_tbEUljE_EEESV_SW_SX_S14_S18_S1A_T6_T7_T9_mT8_S1C_bDpT10_ENKUlT_T0_E_clISt17integral_constantIbLb1EES1P_EEDaS1K_S1L_EUlS1K_E_NS1_11comp_targetILNS1_3genE10ELNS1_11target_archE1200ELNS1_3gpuE4ELNS1_3repE0EEENS1_30default_config_static_selectorELNS0_4arch9wavefront6targetE0EEEvSY_
	.p2align	8
	.type	_ZN7rocprim17ROCPRIM_400000_NS6detail17trampoline_kernelINS0_13select_configILj256ELj13ELNS0_17block_load_methodE3ELS4_3ELS4_3ELNS0_20block_scan_algorithmE0ELj4294967295EEENS1_25partition_config_selectorILNS1_17partition_subalgoE3EjNS0_10empty_typeEbEEZZNS1_14partition_implILS8_3ELb0ES6_jNS0_17counting_iteratorIjlEEPS9_SE_NS0_5tupleIJPjSE_EEENSF_IJSE_SE_EEES9_SG_JZNS1_25segmented_radix_sort_implINS0_14default_configELb0EPKbPbPKlPlN2at6native12_GLOBAL__N_18offset_tEEE10hipError_tPvRmT1_PNSt15iterator_traitsISY_E10value_typeET2_T3_PNSZ_IS14_E10value_typeET4_jRbjT5_S1A_jjP12ihipStream_tbEUljE_EEESV_SW_SX_S14_S18_S1A_T6_T7_T9_mT8_S1C_bDpT10_ENKUlT_T0_E_clISt17integral_constantIbLb1EES1P_EEDaS1K_S1L_EUlS1K_E_NS1_11comp_targetILNS1_3genE10ELNS1_11target_archE1200ELNS1_3gpuE4ELNS1_3repE0EEENS1_30default_config_static_selectorELNS0_4arch9wavefront6targetE0EEEvSY_,@function
_ZN7rocprim17ROCPRIM_400000_NS6detail17trampoline_kernelINS0_13select_configILj256ELj13ELNS0_17block_load_methodE3ELS4_3ELS4_3ELNS0_20block_scan_algorithmE0ELj4294967295EEENS1_25partition_config_selectorILNS1_17partition_subalgoE3EjNS0_10empty_typeEbEEZZNS1_14partition_implILS8_3ELb0ES6_jNS0_17counting_iteratorIjlEEPS9_SE_NS0_5tupleIJPjSE_EEENSF_IJSE_SE_EEES9_SG_JZNS1_25segmented_radix_sort_implINS0_14default_configELb0EPKbPbPKlPlN2at6native12_GLOBAL__N_18offset_tEEE10hipError_tPvRmT1_PNSt15iterator_traitsISY_E10value_typeET2_T3_PNSZ_IS14_E10value_typeET4_jRbjT5_S1A_jjP12ihipStream_tbEUljE_EEESV_SW_SX_S14_S18_S1A_T6_T7_T9_mT8_S1C_bDpT10_ENKUlT_T0_E_clISt17integral_constantIbLb1EES1P_EEDaS1K_S1L_EUlS1K_E_NS1_11comp_targetILNS1_3genE10ELNS1_11target_archE1200ELNS1_3gpuE4ELNS1_3repE0EEENS1_30default_config_static_selectorELNS0_4arch9wavefront6targetE0EEEvSY_: ; @_ZN7rocprim17ROCPRIM_400000_NS6detail17trampoline_kernelINS0_13select_configILj256ELj13ELNS0_17block_load_methodE3ELS4_3ELS4_3ELNS0_20block_scan_algorithmE0ELj4294967295EEENS1_25partition_config_selectorILNS1_17partition_subalgoE3EjNS0_10empty_typeEbEEZZNS1_14partition_implILS8_3ELb0ES6_jNS0_17counting_iteratorIjlEEPS9_SE_NS0_5tupleIJPjSE_EEENSF_IJSE_SE_EEES9_SG_JZNS1_25segmented_radix_sort_implINS0_14default_configELb0EPKbPbPKlPlN2at6native12_GLOBAL__N_18offset_tEEE10hipError_tPvRmT1_PNSt15iterator_traitsISY_E10value_typeET2_T3_PNSZ_IS14_E10value_typeET4_jRbjT5_S1A_jjP12ihipStream_tbEUljE_EEESV_SW_SX_S14_S18_S1A_T6_T7_T9_mT8_S1C_bDpT10_ENKUlT_T0_E_clISt17integral_constantIbLb1EES1P_EEDaS1K_S1L_EUlS1K_E_NS1_11comp_targetILNS1_3genE10ELNS1_11target_archE1200ELNS1_3gpuE4ELNS1_3repE0EEENS1_30default_config_static_selectorELNS0_4arch9wavefront6targetE0EEEvSY_
; %bb.0:
	.section	.rodata,"a",@progbits
	.p2align	6, 0x0
	.amdhsa_kernel _ZN7rocprim17ROCPRIM_400000_NS6detail17trampoline_kernelINS0_13select_configILj256ELj13ELNS0_17block_load_methodE3ELS4_3ELS4_3ELNS0_20block_scan_algorithmE0ELj4294967295EEENS1_25partition_config_selectorILNS1_17partition_subalgoE3EjNS0_10empty_typeEbEEZZNS1_14partition_implILS8_3ELb0ES6_jNS0_17counting_iteratorIjlEEPS9_SE_NS0_5tupleIJPjSE_EEENSF_IJSE_SE_EEES9_SG_JZNS1_25segmented_radix_sort_implINS0_14default_configELb0EPKbPbPKlPlN2at6native12_GLOBAL__N_18offset_tEEE10hipError_tPvRmT1_PNSt15iterator_traitsISY_E10value_typeET2_T3_PNSZ_IS14_E10value_typeET4_jRbjT5_S1A_jjP12ihipStream_tbEUljE_EEESV_SW_SX_S14_S18_S1A_T6_T7_T9_mT8_S1C_bDpT10_ENKUlT_T0_E_clISt17integral_constantIbLb1EES1P_EEDaS1K_S1L_EUlS1K_E_NS1_11comp_targetILNS1_3genE10ELNS1_11target_archE1200ELNS1_3gpuE4ELNS1_3repE0EEENS1_30default_config_static_selectorELNS0_4arch9wavefront6targetE0EEEvSY_
		.amdhsa_group_segment_fixed_size 0
		.amdhsa_private_segment_fixed_size 0
		.amdhsa_kernarg_size 152
		.amdhsa_user_sgpr_count 15
		.amdhsa_user_sgpr_dispatch_ptr 0
		.amdhsa_user_sgpr_queue_ptr 0
		.amdhsa_user_sgpr_kernarg_segment_ptr 1
		.amdhsa_user_sgpr_dispatch_id 0
		.amdhsa_user_sgpr_private_segment_size 0
		.amdhsa_wavefront_size32 1
		.amdhsa_uses_dynamic_stack 0
		.amdhsa_enable_private_segment 0
		.amdhsa_system_sgpr_workgroup_id_x 1
		.amdhsa_system_sgpr_workgroup_id_y 0
		.amdhsa_system_sgpr_workgroup_id_z 0
		.amdhsa_system_sgpr_workgroup_info 0
		.amdhsa_system_vgpr_workitem_id 0
		.amdhsa_next_free_vgpr 1
		.amdhsa_next_free_sgpr 1
		.amdhsa_reserve_vcc 0
		.amdhsa_float_round_mode_32 0
		.amdhsa_float_round_mode_16_64 0
		.amdhsa_float_denorm_mode_32 3
		.amdhsa_float_denorm_mode_16_64 3
		.amdhsa_dx10_clamp 1
		.amdhsa_ieee_mode 1
		.amdhsa_fp16_overflow 0
		.amdhsa_workgroup_processor_mode 1
		.amdhsa_memory_ordered 1
		.amdhsa_forward_progress 0
		.amdhsa_shared_vgpr_count 0
		.amdhsa_exception_fp_ieee_invalid_op 0
		.amdhsa_exception_fp_denorm_src 0
		.amdhsa_exception_fp_ieee_div_zero 0
		.amdhsa_exception_fp_ieee_overflow 0
		.amdhsa_exception_fp_ieee_underflow 0
		.amdhsa_exception_fp_ieee_inexact 0
		.amdhsa_exception_int_div_zero 0
	.end_amdhsa_kernel
	.section	.text._ZN7rocprim17ROCPRIM_400000_NS6detail17trampoline_kernelINS0_13select_configILj256ELj13ELNS0_17block_load_methodE3ELS4_3ELS4_3ELNS0_20block_scan_algorithmE0ELj4294967295EEENS1_25partition_config_selectorILNS1_17partition_subalgoE3EjNS0_10empty_typeEbEEZZNS1_14partition_implILS8_3ELb0ES6_jNS0_17counting_iteratorIjlEEPS9_SE_NS0_5tupleIJPjSE_EEENSF_IJSE_SE_EEES9_SG_JZNS1_25segmented_radix_sort_implINS0_14default_configELb0EPKbPbPKlPlN2at6native12_GLOBAL__N_18offset_tEEE10hipError_tPvRmT1_PNSt15iterator_traitsISY_E10value_typeET2_T3_PNSZ_IS14_E10value_typeET4_jRbjT5_S1A_jjP12ihipStream_tbEUljE_EEESV_SW_SX_S14_S18_S1A_T6_T7_T9_mT8_S1C_bDpT10_ENKUlT_T0_E_clISt17integral_constantIbLb1EES1P_EEDaS1K_S1L_EUlS1K_E_NS1_11comp_targetILNS1_3genE10ELNS1_11target_archE1200ELNS1_3gpuE4ELNS1_3repE0EEENS1_30default_config_static_selectorELNS0_4arch9wavefront6targetE0EEEvSY_,"axG",@progbits,_ZN7rocprim17ROCPRIM_400000_NS6detail17trampoline_kernelINS0_13select_configILj256ELj13ELNS0_17block_load_methodE3ELS4_3ELS4_3ELNS0_20block_scan_algorithmE0ELj4294967295EEENS1_25partition_config_selectorILNS1_17partition_subalgoE3EjNS0_10empty_typeEbEEZZNS1_14partition_implILS8_3ELb0ES6_jNS0_17counting_iteratorIjlEEPS9_SE_NS0_5tupleIJPjSE_EEENSF_IJSE_SE_EEES9_SG_JZNS1_25segmented_radix_sort_implINS0_14default_configELb0EPKbPbPKlPlN2at6native12_GLOBAL__N_18offset_tEEE10hipError_tPvRmT1_PNSt15iterator_traitsISY_E10value_typeET2_T3_PNSZ_IS14_E10value_typeET4_jRbjT5_S1A_jjP12ihipStream_tbEUljE_EEESV_SW_SX_S14_S18_S1A_T6_T7_T9_mT8_S1C_bDpT10_ENKUlT_T0_E_clISt17integral_constantIbLb1EES1P_EEDaS1K_S1L_EUlS1K_E_NS1_11comp_targetILNS1_3genE10ELNS1_11target_archE1200ELNS1_3gpuE4ELNS1_3repE0EEENS1_30default_config_static_selectorELNS0_4arch9wavefront6targetE0EEEvSY_,comdat
.Lfunc_end1616:
	.size	_ZN7rocprim17ROCPRIM_400000_NS6detail17trampoline_kernelINS0_13select_configILj256ELj13ELNS0_17block_load_methodE3ELS4_3ELS4_3ELNS0_20block_scan_algorithmE0ELj4294967295EEENS1_25partition_config_selectorILNS1_17partition_subalgoE3EjNS0_10empty_typeEbEEZZNS1_14partition_implILS8_3ELb0ES6_jNS0_17counting_iteratorIjlEEPS9_SE_NS0_5tupleIJPjSE_EEENSF_IJSE_SE_EEES9_SG_JZNS1_25segmented_radix_sort_implINS0_14default_configELb0EPKbPbPKlPlN2at6native12_GLOBAL__N_18offset_tEEE10hipError_tPvRmT1_PNSt15iterator_traitsISY_E10value_typeET2_T3_PNSZ_IS14_E10value_typeET4_jRbjT5_S1A_jjP12ihipStream_tbEUljE_EEESV_SW_SX_S14_S18_S1A_T6_T7_T9_mT8_S1C_bDpT10_ENKUlT_T0_E_clISt17integral_constantIbLb1EES1P_EEDaS1K_S1L_EUlS1K_E_NS1_11comp_targetILNS1_3genE10ELNS1_11target_archE1200ELNS1_3gpuE4ELNS1_3repE0EEENS1_30default_config_static_selectorELNS0_4arch9wavefront6targetE0EEEvSY_, .Lfunc_end1616-_ZN7rocprim17ROCPRIM_400000_NS6detail17trampoline_kernelINS0_13select_configILj256ELj13ELNS0_17block_load_methodE3ELS4_3ELS4_3ELNS0_20block_scan_algorithmE0ELj4294967295EEENS1_25partition_config_selectorILNS1_17partition_subalgoE3EjNS0_10empty_typeEbEEZZNS1_14partition_implILS8_3ELb0ES6_jNS0_17counting_iteratorIjlEEPS9_SE_NS0_5tupleIJPjSE_EEENSF_IJSE_SE_EEES9_SG_JZNS1_25segmented_radix_sort_implINS0_14default_configELb0EPKbPbPKlPlN2at6native12_GLOBAL__N_18offset_tEEE10hipError_tPvRmT1_PNSt15iterator_traitsISY_E10value_typeET2_T3_PNSZ_IS14_E10value_typeET4_jRbjT5_S1A_jjP12ihipStream_tbEUljE_EEESV_SW_SX_S14_S18_S1A_T6_T7_T9_mT8_S1C_bDpT10_ENKUlT_T0_E_clISt17integral_constantIbLb1EES1P_EEDaS1K_S1L_EUlS1K_E_NS1_11comp_targetILNS1_3genE10ELNS1_11target_archE1200ELNS1_3gpuE4ELNS1_3repE0EEENS1_30default_config_static_selectorELNS0_4arch9wavefront6targetE0EEEvSY_
                                        ; -- End function
	.section	.AMDGPU.csdata,"",@progbits
; Kernel info:
; codeLenInByte = 0
; NumSgprs: 0
; NumVgprs: 0
; ScratchSize: 0
; MemoryBound: 0
; FloatMode: 240
; IeeeMode: 1
; LDSByteSize: 0 bytes/workgroup (compile time only)
; SGPRBlocks: 0
; VGPRBlocks: 0
; NumSGPRsForWavesPerEU: 1
; NumVGPRsForWavesPerEU: 1
; Occupancy: 16
; WaveLimiterHint : 0
; COMPUTE_PGM_RSRC2:SCRATCH_EN: 0
; COMPUTE_PGM_RSRC2:USER_SGPR: 15
; COMPUTE_PGM_RSRC2:TRAP_HANDLER: 0
; COMPUTE_PGM_RSRC2:TGID_X_EN: 1
; COMPUTE_PGM_RSRC2:TGID_Y_EN: 0
; COMPUTE_PGM_RSRC2:TGID_Z_EN: 0
; COMPUTE_PGM_RSRC2:TIDIG_COMP_CNT: 0
	.section	.text._ZN7rocprim17ROCPRIM_400000_NS6detail17trampoline_kernelINS0_13select_configILj256ELj13ELNS0_17block_load_methodE3ELS4_3ELS4_3ELNS0_20block_scan_algorithmE0ELj4294967295EEENS1_25partition_config_selectorILNS1_17partition_subalgoE3EjNS0_10empty_typeEbEEZZNS1_14partition_implILS8_3ELb0ES6_jNS0_17counting_iteratorIjlEEPS9_SE_NS0_5tupleIJPjSE_EEENSF_IJSE_SE_EEES9_SG_JZNS1_25segmented_radix_sort_implINS0_14default_configELb0EPKbPbPKlPlN2at6native12_GLOBAL__N_18offset_tEEE10hipError_tPvRmT1_PNSt15iterator_traitsISY_E10value_typeET2_T3_PNSZ_IS14_E10value_typeET4_jRbjT5_S1A_jjP12ihipStream_tbEUljE_EEESV_SW_SX_S14_S18_S1A_T6_T7_T9_mT8_S1C_bDpT10_ENKUlT_T0_E_clISt17integral_constantIbLb1EES1P_EEDaS1K_S1L_EUlS1K_E_NS1_11comp_targetILNS1_3genE9ELNS1_11target_archE1100ELNS1_3gpuE3ELNS1_3repE0EEENS1_30default_config_static_selectorELNS0_4arch9wavefront6targetE0EEEvSY_,"axG",@progbits,_ZN7rocprim17ROCPRIM_400000_NS6detail17trampoline_kernelINS0_13select_configILj256ELj13ELNS0_17block_load_methodE3ELS4_3ELS4_3ELNS0_20block_scan_algorithmE0ELj4294967295EEENS1_25partition_config_selectorILNS1_17partition_subalgoE3EjNS0_10empty_typeEbEEZZNS1_14partition_implILS8_3ELb0ES6_jNS0_17counting_iteratorIjlEEPS9_SE_NS0_5tupleIJPjSE_EEENSF_IJSE_SE_EEES9_SG_JZNS1_25segmented_radix_sort_implINS0_14default_configELb0EPKbPbPKlPlN2at6native12_GLOBAL__N_18offset_tEEE10hipError_tPvRmT1_PNSt15iterator_traitsISY_E10value_typeET2_T3_PNSZ_IS14_E10value_typeET4_jRbjT5_S1A_jjP12ihipStream_tbEUljE_EEESV_SW_SX_S14_S18_S1A_T6_T7_T9_mT8_S1C_bDpT10_ENKUlT_T0_E_clISt17integral_constantIbLb1EES1P_EEDaS1K_S1L_EUlS1K_E_NS1_11comp_targetILNS1_3genE9ELNS1_11target_archE1100ELNS1_3gpuE3ELNS1_3repE0EEENS1_30default_config_static_selectorELNS0_4arch9wavefront6targetE0EEEvSY_,comdat
	.globl	_ZN7rocprim17ROCPRIM_400000_NS6detail17trampoline_kernelINS0_13select_configILj256ELj13ELNS0_17block_load_methodE3ELS4_3ELS4_3ELNS0_20block_scan_algorithmE0ELj4294967295EEENS1_25partition_config_selectorILNS1_17partition_subalgoE3EjNS0_10empty_typeEbEEZZNS1_14partition_implILS8_3ELb0ES6_jNS0_17counting_iteratorIjlEEPS9_SE_NS0_5tupleIJPjSE_EEENSF_IJSE_SE_EEES9_SG_JZNS1_25segmented_radix_sort_implINS0_14default_configELb0EPKbPbPKlPlN2at6native12_GLOBAL__N_18offset_tEEE10hipError_tPvRmT1_PNSt15iterator_traitsISY_E10value_typeET2_T3_PNSZ_IS14_E10value_typeET4_jRbjT5_S1A_jjP12ihipStream_tbEUljE_EEESV_SW_SX_S14_S18_S1A_T6_T7_T9_mT8_S1C_bDpT10_ENKUlT_T0_E_clISt17integral_constantIbLb1EES1P_EEDaS1K_S1L_EUlS1K_E_NS1_11comp_targetILNS1_3genE9ELNS1_11target_archE1100ELNS1_3gpuE3ELNS1_3repE0EEENS1_30default_config_static_selectorELNS0_4arch9wavefront6targetE0EEEvSY_ ; -- Begin function _ZN7rocprim17ROCPRIM_400000_NS6detail17trampoline_kernelINS0_13select_configILj256ELj13ELNS0_17block_load_methodE3ELS4_3ELS4_3ELNS0_20block_scan_algorithmE0ELj4294967295EEENS1_25partition_config_selectorILNS1_17partition_subalgoE3EjNS0_10empty_typeEbEEZZNS1_14partition_implILS8_3ELb0ES6_jNS0_17counting_iteratorIjlEEPS9_SE_NS0_5tupleIJPjSE_EEENSF_IJSE_SE_EEES9_SG_JZNS1_25segmented_radix_sort_implINS0_14default_configELb0EPKbPbPKlPlN2at6native12_GLOBAL__N_18offset_tEEE10hipError_tPvRmT1_PNSt15iterator_traitsISY_E10value_typeET2_T3_PNSZ_IS14_E10value_typeET4_jRbjT5_S1A_jjP12ihipStream_tbEUljE_EEESV_SW_SX_S14_S18_S1A_T6_T7_T9_mT8_S1C_bDpT10_ENKUlT_T0_E_clISt17integral_constantIbLb1EES1P_EEDaS1K_S1L_EUlS1K_E_NS1_11comp_targetILNS1_3genE9ELNS1_11target_archE1100ELNS1_3gpuE3ELNS1_3repE0EEENS1_30default_config_static_selectorELNS0_4arch9wavefront6targetE0EEEvSY_
	.p2align	8
	.type	_ZN7rocprim17ROCPRIM_400000_NS6detail17trampoline_kernelINS0_13select_configILj256ELj13ELNS0_17block_load_methodE3ELS4_3ELS4_3ELNS0_20block_scan_algorithmE0ELj4294967295EEENS1_25partition_config_selectorILNS1_17partition_subalgoE3EjNS0_10empty_typeEbEEZZNS1_14partition_implILS8_3ELb0ES6_jNS0_17counting_iteratorIjlEEPS9_SE_NS0_5tupleIJPjSE_EEENSF_IJSE_SE_EEES9_SG_JZNS1_25segmented_radix_sort_implINS0_14default_configELb0EPKbPbPKlPlN2at6native12_GLOBAL__N_18offset_tEEE10hipError_tPvRmT1_PNSt15iterator_traitsISY_E10value_typeET2_T3_PNSZ_IS14_E10value_typeET4_jRbjT5_S1A_jjP12ihipStream_tbEUljE_EEESV_SW_SX_S14_S18_S1A_T6_T7_T9_mT8_S1C_bDpT10_ENKUlT_T0_E_clISt17integral_constantIbLb1EES1P_EEDaS1K_S1L_EUlS1K_E_NS1_11comp_targetILNS1_3genE9ELNS1_11target_archE1100ELNS1_3gpuE3ELNS1_3repE0EEENS1_30default_config_static_selectorELNS0_4arch9wavefront6targetE0EEEvSY_,@function
_ZN7rocprim17ROCPRIM_400000_NS6detail17trampoline_kernelINS0_13select_configILj256ELj13ELNS0_17block_load_methodE3ELS4_3ELS4_3ELNS0_20block_scan_algorithmE0ELj4294967295EEENS1_25partition_config_selectorILNS1_17partition_subalgoE3EjNS0_10empty_typeEbEEZZNS1_14partition_implILS8_3ELb0ES6_jNS0_17counting_iteratorIjlEEPS9_SE_NS0_5tupleIJPjSE_EEENSF_IJSE_SE_EEES9_SG_JZNS1_25segmented_radix_sort_implINS0_14default_configELb0EPKbPbPKlPlN2at6native12_GLOBAL__N_18offset_tEEE10hipError_tPvRmT1_PNSt15iterator_traitsISY_E10value_typeET2_T3_PNSZ_IS14_E10value_typeET4_jRbjT5_S1A_jjP12ihipStream_tbEUljE_EEESV_SW_SX_S14_S18_S1A_T6_T7_T9_mT8_S1C_bDpT10_ENKUlT_T0_E_clISt17integral_constantIbLb1EES1P_EEDaS1K_S1L_EUlS1K_E_NS1_11comp_targetILNS1_3genE9ELNS1_11target_archE1100ELNS1_3gpuE3ELNS1_3repE0EEENS1_30default_config_static_selectorELNS0_4arch9wavefront6targetE0EEEvSY_: ; @_ZN7rocprim17ROCPRIM_400000_NS6detail17trampoline_kernelINS0_13select_configILj256ELj13ELNS0_17block_load_methodE3ELS4_3ELS4_3ELNS0_20block_scan_algorithmE0ELj4294967295EEENS1_25partition_config_selectorILNS1_17partition_subalgoE3EjNS0_10empty_typeEbEEZZNS1_14partition_implILS8_3ELb0ES6_jNS0_17counting_iteratorIjlEEPS9_SE_NS0_5tupleIJPjSE_EEENSF_IJSE_SE_EEES9_SG_JZNS1_25segmented_radix_sort_implINS0_14default_configELb0EPKbPbPKlPlN2at6native12_GLOBAL__N_18offset_tEEE10hipError_tPvRmT1_PNSt15iterator_traitsISY_E10value_typeET2_T3_PNSZ_IS14_E10value_typeET4_jRbjT5_S1A_jjP12ihipStream_tbEUljE_EEESV_SW_SX_S14_S18_S1A_T6_T7_T9_mT8_S1C_bDpT10_ENKUlT_T0_E_clISt17integral_constantIbLb1EES1P_EEDaS1K_S1L_EUlS1K_E_NS1_11comp_targetILNS1_3genE9ELNS1_11target_archE1100ELNS1_3gpuE3ELNS1_3repE0EEENS1_30default_config_static_selectorELNS0_4arch9wavefront6targetE0EEEvSY_
; %bb.0:
	s_clause 0x6
	s_load_b64 s[16:17], s[0:1], 0x10
	s_load_b64 s[12:13], s[0:1], 0x28
	;; [unrolled: 1-line block ×3, first 2 shown]
	s_load_b128 s[8:11], s[0:1], 0x48
	s_load_b32 s3, s[0:1], 0x90
	s_load_b64 s[18:19], s[0:1], 0x68
	s_load_b128 s[4:7], s[0:1], 0x80
	v_cmp_eq_u32_e64 s2, 0, v0
	s_delay_alu instid0(VALU_DEP_1)
	s_and_saveexec_b32 s20, s2
	s_cbranch_execz .LBB1617_4
; %bb.1:
	s_mov_b32 s22, exec_lo
	s_mov_b32 s21, exec_lo
	v_mbcnt_lo_u32_b32 v1, s22, 0
                                        ; implicit-def: $vgpr2
	s_delay_alu instid0(VALU_DEP_1)
	v_cmpx_eq_u32_e32 0, v1
	s_cbranch_execz .LBB1617_3
; %bb.2:
	s_load_b64 s[24:25], s[0:1], 0x78
	s_bcnt1_i32_b32 s22, s22
	s_delay_alu instid0(SALU_CYCLE_1)
	v_dual_mov_b32 v2, 0 :: v_dual_mov_b32 v3, s22
	s_waitcnt lgkmcnt(0)
	global_atomic_add_u32 v2, v2, v3, s[24:25] glc
.LBB1617_3:
	s_or_b32 exec_lo, exec_lo, s21
	s_waitcnt vmcnt(0)
	v_readfirstlane_b32 s21, v2
	s_delay_alu instid0(VALU_DEP_1)
	v_dual_mov_b32 v2, 0 :: v_dual_add_nc_u32 v1, s21, v1
	ds_store_b32 v2, v1
.LBB1617_4:
	s_or_b32 exec_lo, exec_lo, s20
	v_mov_b32_e32 v1, 0
	s_clause 0x1
	s_load_b32 s20, s[0:1], 0x8
	s_load_b32 s0, s[0:1], 0x70
	s_waitcnt lgkmcnt(0)
	s_barrier
	buffer_gl0_inv
	ds_load_b32 v2, v1
	s_waitcnt lgkmcnt(0)
	s_barrier
	buffer_gl0_inv
	global_load_b64 v[18:19], v1, s[10:11]
	v_lshlrev_b32_e32 v33, 2, v0
	s_add_i32 s21, s20, s16
	s_mul_i32 s1, s0, 0xd00
	s_add_i32 s0, s0, -1
	s_add_u32 s10, s16, s1
	s_addc_u32 s11, s17, 0
	v_mul_lo_u32 v32, 0xd00, v2
	v_readfirstlane_b32 s20, v2
	v_cmp_lt_u64_e64 s11, s[10:11], s[14:15]
	v_cmp_ne_u32_e32 vcc_lo, s0, v2
	s_delay_alu instid0(VALU_DEP_3) | instskip(SKIP_1) | instid1(VALU_DEP_4)
	s_cmp_eq_u32 s20, s0
	s_cselect_b32 s10, -1, 0
	v_add3_u32 v1, v32, s21, v0
	s_delay_alu instid0(VALU_DEP_3) | instskip(SKIP_2) | instid1(VALU_DEP_1)
	s_or_b32 s0, s11, vcc_lo
	s_mov_b32 s11, -1
	s_and_b32 vcc_lo, exec_lo, s0
	v_add_nc_u32_e32 v2, 0x100, v1
	v_add_nc_u32_e32 v3, 0x200, v1
	v_add_nc_u32_e32 v4, 0x300, v1
	v_add_nc_u32_e32 v5, 0x400, v1
	v_add_nc_u32_e32 v6, 0x500, v1
	v_add_nc_u32_e32 v7, 0x600, v1
	v_add_nc_u32_e32 v8, 0x700, v1
	v_add_nc_u32_e32 v9, 0x800, v1
	v_add_nc_u32_e32 v10, 0x900, v1
	v_add_nc_u32_e32 v11, 0xa00, v1
	v_add_nc_u32_e32 v12, 0xb00, v1
	v_add_nc_u32_e32 v13, 0xc00, v1
	s_cbranch_vccz .LBB1617_6
; %bb.5:
	ds_store_2addr_stride64_b32 v33, v1, v2 offset1:4
	ds_store_2addr_stride64_b32 v33, v3, v4 offset0:8 offset1:12
	ds_store_2addr_stride64_b32 v33, v5, v6 offset0:16 offset1:20
	;; [unrolled: 1-line block ×5, first 2 shown]
	ds_store_b32 v33, v13 offset:12288
	s_waitcnt vmcnt(0) lgkmcnt(0)
	s_mov_b32 s11, 0
	s_barrier
.LBB1617_6:
	s_and_not1_b32 vcc_lo, exec_lo, s11
	s_add_i32 s1, s1, s16
	s_cbranch_vccnz .LBB1617_8
; %bb.7:
	ds_store_2addr_stride64_b32 v33, v1, v2 offset1:4
	ds_store_2addr_stride64_b32 v33, v3, v4 offset0:8 offset1:12
	ds_store_2addr_stride64_b32 v33, v5, v6 offset0:16 offset1:20
	;; [unrolled: 1-line block ×5, first 2 shown]
	ds_store_b32 v33, v13 offset:12288
	s_waitcnt vmcnt(0) lgkmcnt(0)
	s_barrier
.LBB1617_8:
	v_mul_u32_u24_e32 v36, 13, v0
	s_waitcnt vmcnt(0)
	buffer_gl0_inv
	v_cndmask_b32_e64 v34, 0, 1, s0
	s_sub_i32 s11, s14, s1
	s_and_not1_b32 vcc_lo, exec_lo, s0
	v_lshlrev_b32_e32 v1, 2, v36
	ds_load_2addr_b32 v[30:31], v1 offset1:1
	ds_load_2addr_b32 v[28:29], v1 offset0:2 offset1:3
	ds_load_2addr_b32 v[26:27], v1 offset0:4 offset1:5
	;; [unrolled: 1-line block ×5, first 2 shown]
	ds_load_b32 v35, v1 offset:48
	s_waitcnt lgkmcnt(0)
	s_barrier
	buffer_gl0_inv
	s_cbranch_vccnz .LBB1617_10
; %bb.9:
	v_add_nc_u32_e32 v1, s5, v30
	v_add_nc_u32_e32 v2, s7, v30
	v_add_nc_u32_e32 v3, s5, v31
	v_add_nc_u32_e32 v4, s7, v31
	v_add_nc_u32_e32 v5, s5, v28
	v_mul_lo_u32 v1, v1, s4
	v_mul_lo_u32 v2, v2, s6
	;; [unrolled: 1-line block ×4, first 2 shown]
	v_add_nc_u32_e32 v6, s7, v28
	v_add_nc_u32_e32 v7, s5, v29
	;; [unrolled: 1-line block ×3, first 2 shown]
	v_mul_lo_u32 v5, v5, s4
	v_add_nc_u32_e32 v9, s5, v24
	v_sub_nc_u32_e32 v1, v1, v2
	v_mul_lo_u32 v2, v6, s6
	v_sub_nc_u32_e32 v3, v3, v4
	v_mul_lo_u32 v4, v7, s4
	v_mul_lo_u32 v6, v8, s6
	v_add_nc_u32_e32 v7, s5, v26
	v_cmp_lt_u32_e32 vcc_lo, s3, v1
	v_add_nc_u32_e32 v8, s5, v27
	v_add_nc_u32_e32 v10, s7, v24
	v_sub_nc_u32_e32 v2, v5, v2
	v_add_nc_u32_e32 v5, s7, v26
	v_cndmask_b32_e64 v1, 0, 1, vcc_lo
	v_sub_nc_u32_e32 v4, v4, v6
	v_mul_lo_u32 v6, v7, s4
	v_add_nc_u32_e32 v7, s7, v27
	v_cmp_lt_u32_e32 vcc_lo, s3, v3
	v_mul_lo_u32 v5, v5, s6
	v_mul_lo_u32 v8, v8, s4
	;; [unrolled: 1-line block ×4, first 2 shown]
	v_cndmask_b32_e64 v3, 0, 1, vcc_lo
	v_cmp_lt_u32_e32 vcc_lo, s3, v2
	v_mul_lo_u32 v10, v10, s6
	v_add_nc_u32_e32 v11, s5, v22
	v_sub_nc_u32_e32 v5, v6, v5
	v_add_nc_u32_e32 v12, s7, v22
	v_cndmask_b32_e64 v2, 0, 1, vcc_lo
	v_sub_nc_u32_e32 v6, v8, v7
	v_add_nc_u32_e32 v7, s5, v25
	v_add_nc_u32_e32 v8, s7, v25
	v_cmp_lt_u32_e32 vcc_lo, s3, v4
	v_sub_nc_u32_e32 v9, v9, v10
	v_mul_lo_u32 v10, v11, s4
	v_mul_lo_u32 v7, v7, s4
	;; [unrolled: 1-line block ×4, first 2 shown]
	v_cndmask_b32_e64 v4, 0, 1, vcc_lo
	v_cmp_lt_u32_e32 vcc_lo, s3, v5
	v_add_nc_u32_e32 v12, s5, v23
	v_add_nc_u32_e32 v13, s7, v20
	;; [unrolled: 1-line block ×4, first 2 shown]
	v_cndmask_b32_e64 v5, 0, 1, vcc_lo
	v_cmp_lt_u32_e32 vcc_lo, s3, v6
	v_sub_nc_u32_e32 v7, v7, v8
	v_sub_nc_u32_e32 v8, v10, v11
	v_add_nc_u32_e32 v11, s7, v23
	v_mul_lo_u32 v10, v12, s4
	v_cndmask_b32_e64 v6, 0, 1, vcc_lo
	v_cmp_lt_u32_e32 vcc_lo, s3, v9
	v_add_nc_u32_e32 v12, s5, v20
	v_mul_lo_u32 v11, v11, s6
	v_mul_lo_u32 v13, v13, s6
	;; [unrolled: 1-line block ×3, first 2 shown]
	v_cndmask_b32_e64 v9, 0, 1, vcc_lo
	v_cmp_lt_u32_e32 vcc_lo, s3, v7
	v_mul_lo_u32 v12, v12, s4
	v_mul_lo_u32 v15, v15, s6
	v_lshlrev_b16 v3, 8, v3
	v_sub_nc_u32_e32 v10, v10, v11
	v_cndmask_b32_e64 v7, 0, 1, vcc_lo
	v_cmp_lt_u32_e32 vcc_lo, s3, v8
	v_add_nc_u32_e32 v11, s5, v35
	v_or_b32_e32 v1, v1, v3
	v_sub_nc_u32_e32 v12, v12, v13
	v_sub_nc_u32_e32 v13, v14, v15
	v_cndmask_b32_e64 v8, 0, 1, vcc_lo
	v_cmp_lt_u32_e32 vcc_lo, s3, v10
	v_add_nc_u32_e32 v16, s7, v35
	v_mul_lo_u32 v11, v11, s4
	v_lshlrev_b16 v4, 8, v4
	v_lshlrev_b16 v6, 8, v6
	v_cndmask_b32_e64 v10, 0, 1, vcc_lo
	v_cmp_lt_u32_e32 vcc_lo, s3, v12
	v_mul_lo_u32 v14, v16, s6
	v_lshlrev_b16 v7, 8, v7
	v_or_b32_e32 v2, v2, v4
	v_lshlrev_b16 v10, 8, v10
	v_cndmask_b32_e64 v3, 0, 1, vcc_lo
	v_cmp_lt_u32_e32 vcc_lo, s3, v13
	v_or_b32_e32 v4, v5, v6
	v_or_b32_e32 v5, v9, v7
	v_sub_nc_u32_e32 v11, v11, v14
	v_or_b32_e32 v6, v8, v10
	v_cndmask_b32_e64 v12, 0, 1, vcc_lo
	v_and_b32_e32 v1, 0xffff, v1
	v_lshlrev_b32_e32 v2, 16, v2
	v_and_b32_e32 v4, 0xffff, v4
	v_lshlrev_b32_e32 v5, 16, v5
	v_lshlrev_b16 v12, 8, v12
	v_and_b32_e32 v6, 0xffff, v6
	v_cmp_lt_u32_e32 vcc_lo, s3, v11
	v_or_b32_e32 v42, v1, v2
	v_or_b32_e32 v40, v4, v5
	;; [unrolled: 1-line block ×3, first 2 shown]
	v_cndmask_b32_e64 v37, 0, 1, vcc_lo
	s_delay_alu instid0(VALU_DEP_2) | instskip(NEXT) | instid1(VALU_DEP_1)
	v_lshlrev_b32_e32 v3, 16, v3
	v_or_b32_e32 v38, v6, v3
	s_addk_i32 s11, 0xd00
	s_cbranch_execz .LBB1617_11
	s_branch .LBB1617_38
.LBB1617_10:
                                        ; implicit-def: $vgpr37
                                        ; implicit-def: $vgpr38
                                        ; implicit-def: $vgpr40
                                        ; implicit-def: $vgpr42
	s_addk_i32 s11, 0xd00
.LBB1617_11:
	v_dual_mov_b32 v2, 0 :: v_dual_mov_b32 v1, 0
	s_mov_b32 s0, exec_lo
	v_cmpx_gt_u32_e64 s11, v36
; %bb.12:
	v_add_nc_u32_e32 v1, s5, v30
	v_add_nc_u32_e32 v3, s7, v30
	s_delay_alu instid0(VALU_DEP_2) | instskip(NEXT) | instid1(VALU_DEP_2)
	v_mul_lo_u32 v1, v1, s4
	v_mul_lo_u32 v3, v3, s6
	s_delay_alu instid0(VALU_DEP_1) | instskip(NEXT) | instid1(VALU_DEP_1)
	v_sub_nc_u32_e32 v1, v1, v3
	v_cmp_lt_u32_e32 vcc_lo, s3, v1
	v_cndmask_b32_e64 v1, 0, 1, vcc_lo
; %bb.13:
	s_or_b32 exec_lo, exec_lo, s0
	v_add_nc_u32_e32 v3, 1, v36
	s_mov_b32 s0, exec_lo
	s_delay_alu instid0(VALU_DEP_1)
	v_cmpx_gt_u32_e64 s11, v3
; %bb.14:
	v_add_nc_u32_e32 v2, s5, v31
	v_add_nc_u32_e32 v3, s7, v31
	s_delay_alu instid0(VALU_DEP_2) | instskip(NEXT) | instid1(VALU_DEP_2)
	v_mul_lo_u32 v2, v2, s4
	v_mul_lo_u32 v3, v3, s6
	s_delay_alu instid0(VALU_DEP_1) | instskip(NEXT) | instid1(VALU_DEP_1)
	v_sub_nc_u32_e32 v2, v2, v3
	v_cmp_lt_u32_e32 vcc_lo, s3, v2
	v_cndmask_b32_e64 v2, 0, 1, vcc_lo
; %bb.15:
	s_or_b32 exec_lo, exec_lo, s0
	v_dual_mov_b32 v4, 0 :: v_dual_add_nc_u32 v3, 2, v36
	s_delay_alu instid0(VALU_DEP_1)
	v_cmp_gt_u32_e32 vcc_lo, s11, v3
	v_mov_b32_e32 v3, 0
	s_and_saveexec_b32 s0, vcc_lo
; %bb.16:
	v_add_nc_u32_e32 v3, s5, v28
	v_add_nc_u32_e32 v5, s7, v28
	s_delay_alu instid0(VALU_DEP_2) | instskip(NEXT) | instid1(VALU_DEP_2)
	v_mul_lo_u32 v3, v3, s4
	v_mul_lo_u32 v5, v5, s6
	s_delay_alu instid0(VALU_DEP_1) | instskip(NEXT) | instid1(VALU_DEP_1)
	v_sub_nc_u32_e32 v3, v3, v5
	v_cmp_lt_u32_e32 vcc_lo, s3, v3
	v_cndmask_b32_e64 v3, 0, 1, vcc_lo
; %bb.17:
	s_or_b32 exec_lo, exec_lo, s0
	v_add_nc_u32_e32 v5, 3, v36
	s_mov_b32 s0, exec_lo
	s_delay_alu instid0(VALU_DEP_1)
	v_cmpx_gt_u32_e64 s11, v5
; %bb.18:
	v_add_nc_u32_e32 v4, s5, v29
	v_add_nc_u32_e32 v5, s7, v29
	s_delay_alu instid0(VALU_DEP_2) | instskip(NEXT) | instid1(VALU_DEP_2)
	v_mul_lo_u32 v4, v4, s4
	v_mul_lo_u32 v5, v5, s6
	s_delay_alu instid0(VALU_DEP_1) | instskip(NEXT) | instid1(VALU_DEP_1)
	v_sub_nc_u32_e32 v4, v4, v5
	v_cmp_lt_u32_e32 vcc_lo, s3, v4
	v_cndmask_b32_e64 v4, 0, 1, vcc_lo
; %bb.19:
	s_or_b32 exec_lo, exec_lo, s0
	v_dual_mov_b32 v6, 0 :: v_dual_add_nc_u32 v5, 4, v36
	s_delay_alu instid0(VALU_DEP_1)
	v_cmp_gt_u32_e32 vcc_lo, s11, v5
	v_mov_b32_e32 v5, 0
	s_and_saveexec_b32 s0, vcc_lo
	;; [unrolled: 33-line block ×5, first 2 shown]
; %bb.32:
	v_add_nc_u32_e32 v11, s5, v20
	v_add_nc_u32_e32 v13, s7, v20
	s_delay_alu instid0(VALU_DEP_2) | instskip(NEXT) | instid1(VALU_DEP_2)
	v_mul_lo_u32 v11, v11, s4
	v_mul_lo_u32 v13, v13, s6
	s_delay_alu instid0(VALU_DEP_1) | instskip(NEXT) | instid1(VALU_DEP_1)
	v_sub_nc_u32_e32 v11, v11, v13
	v_cmp_lt_u32_e32 vcc_lo, s3, v11
	v_cndmask_b32_e64 v11, 0, 1, vcc_lo
; %bb.33:
	s_or_b32 exec_lo, exec_lo, s0
	v_add_nc_u32_e32 v13, 11, v36
	s_mov_b32 s0, exec_lo
	s_delay_alu instid0(VALU_DEP_1)
	v_cmpx_gt_u32_e64 s11, v13
; %bb.34:
	v_add_nc_u32_e32 v12, s5, v21
	v_add_nc_u32_e32 v13, s7, v21
	s_delay_alu instid0(VALU_DEP_2) | instskip(NEXT) | instid1(VALU_DEP_2)
	v_mul_lo_u32 v12, v12, s4
	v_mul_lo_u32 v13, v13, s6
	s_delay_alu instid0(VALU_DEP_1) | instskip(NEXT) | instid1(VALU_DEP_1)
	v_sub_nc_u32_e32 v12, v12, v13
	v_cmp_lt_u32_e32 vcc_lo, s3, v12
	v_cndmask_b32_e64 v12, 0, 1, vcc_lo
; %bb.35:
	s_or_b32 exec_lo, exec_lo, s0
	v_add_nc_u32_e32 v13, 12, v36
	v_mov_b32_e32 v37, 0
	s_mov_b32 s0, exec_lo
	s_delay_alu instid0(VALU_DEP_2)
	v_cmpx_gt_u32_e64 s11, v13
; %bb.36:
	v_add_nc_u32_e32 v13, s5, v35
	v_add_nc_u32_e32 v14, s7, v35
	s_delay_alu instid0(VALU_DEP_2) | instskip(NEXT) | instid1(VALU_DEP_2)
	v_mul_lo_u32 v13, v13, s4
	v_mul_lo_u32 v14, v14, s6
	s_delay_alu instid0(VALU_DEP_1) | instskip(NEXT) | instid1(VALU_DEP_1)
	v_sub_nc_u32_e32 v13, v13, v14
	v_cmp_lt_u32_e32 vcc_lo, s3, v13
	v_cndmask_b32_e64 v37, 0, 1, vcc_lo
; %bb.37:
	s_or_b32 exec_lo, exec_lo, s0
	v_lshlrev_b16 v2, 8, v2
	v_lshlrev_b16 v4, 8, v4
	;; [unrolled: 1-line block ×5, first 2 shown]
	v_or_b32_e32 v1, v1, v2
	v_lshlrev_b16 v2, 8, v12
	v_or_b32_e32 v3, v3, v4
	v_or_b32_e32 v4, v5, v6
	;; [unrolled: 1-line block ×5, first 2 shown]
	v_and_b32_e32 v1, 0xffff, v1
	v_lshlrev_b32_e32 v3, 16, v3
	v_and_b32_e32 v4, 0xffff, v4
	v_lshlrev_b32_e32 v5, 16, v5
	;; [unrolled: 2-line block ×3, first 2 shown]
	v_or_b32_e32 v42, v1, v3
	s_delay_alu instid0(VALU_DEP_4) | instskip(NEXT) | instid1(VALU_DEP_3)
	v_or_b32_e32 v40, v4, v5
	v_or_b32_e32 v38, v6, v2
.LBB1617_38:
	s_delay_alu instid0(VALU_DEP_3)
	v_and_b32_e32 v44, 0xff, v42
	v_bfe_u32 v45, v42, 8, 8
	v_bfe_u32 v46, v42, 16, 8
	v_lshrrev_b32_e32 v43, 24, v42
	v_and_b32_e32 v47, 0xff, v40
	v_bfe_u32 v48, v40, 8, 8
	v_bfe_u32 v49, v40, 16, 8
	v_add3_u32 v1, v45, v44, v46
	v_lshrrev_b32_e32 v41, 24, v40
	v_and_b32_e32 v50, 0xff, v38
	v_bfe_u32 v51, v38, 8, 8
	v_mbcnt_lo_u32_b32 v53, -1, 0
	v_add3_u32 v1, v1, v43, v47
	v_bfe_u32 v52, v38, 16, 8
	v_lshrrev_b32_e32 v39, 24, v38
	v_and_b32_e32 v2, 0xff, v37
	v_and_b32_e32 v3, 15, v53
	v_add3_u32 v1, v1, v48, v49
	v_or_b32_e32 v4, 31, v0
	v_and_b32_e32 v5, 16, v53
	v_lshrrev_b32_e32 v54, 5, v0
	v_cmp_eq_u32_e64 s6, 0, v3
	v_add3_u32 v1, v1, v41, v50
	v_cmp_lt_u32_e64 s5, 1, v3
	v_cmp_lt_u32_e64 s4, 3, v3
	;; [unrolled: 1-line block ×3, first 2 shown]
	v_cmp_eq_u32_e64 s1, 0, v5
	v_add3_u32 v1, v1, v51, v52
	v_cmp_eq_u32_e64 s0, v4, v0
	s_cmp_lg_u32 s20, 0
	s_mov_b32 s7, -1
	s_delay_alu instid0(VALU_DEP_2)
	v_add3_u32 v55, v1, v39, v2
	s_cbranch_scc0 .LBB1617_69
; %bb.39:
	s_delay_alu instid0(VALU_DEP_1) | instskip(NEXT) | instid1(VALU_DEP_1)
	v_mov_b32_dpp v1, v55 row_shr:1 row_mask:0xf bank_mask:0xf
	v_cndmask_b32_e64 v1, v1, 0, s6
	s_delay_alu instid0(VALU_DEP_1) | instskip(NEXT) | instid1(VALU_DEP_1)
	v_add_nc_u32_e32 v1, v1, v55
	v_mov_b32_dpp v2, v1 row_shr:2 row_mask:0xf bank_mask:0xf
	s_delay_alu instid0(VALU_DEP_1) | instskip(NEXT) | instid1(VALU_DEP_1)
	v_cndmask_b32_e64 v2, 0, v2, s5
	v_add_nc_u32_e32 v1, v1, v2
	s_delay_alu instid0(VALU_DEP_1) | instskip(NEXT) | instid1(VALU_DEP_1)
	v_mov_b32_dpp v2, v1 row_shr:4 row_mask:0xf bank_mask:0xf
	v_cndmask_b32_e64 v2, 0, v2, s4
	s_delay_alu instid0(VALU_DEP_1) | instskip(NEXT) | instid1(VALU_DEP_1)
	v_add_nc_u32_e32 v1, v1, v2
	v_mov_b32_dpp v2, v1 row_shr:8 row_mask:0xf bank_mask:0xf
	s_delay_alu instid0(VALU_DEP_1) | instskip(NEXT) | instid1(VALU_DEP_1)
	v_cndmask_b32_e64 v2, 0, v2, s3
	v_add_nc_u32_e32 v1, v1, v2
	ds_swizzle_b32 v2, v1 offset:swizzle(BROADCAST,32,15)
	s_waitcnt lgkmcnt(0)
	v_cndmask_b32_e64 v2, v2, 0, s1
	s_delay_alu instid0(VALU_DEP_1)
	v_add_nc_u32_e32 v1, v1, v2
	s_and_saveexec_b32 s7, s0
	s_cbranch_execz .LBB1617_41
; %bb.40:
	v_lshlrev_b32_e32 v2, 2, v54
	ds_store_b32 v2, v1
.LBB1617_41:
	s_or_b32 exec_lo, exec_lo, s7
	s_delay_alu instid0(SALU_CYCLE_1)
	s_mov_b32 s7, exec_lo
	s_waitcnt lgkmcnt(0)
	s_barrier
	buffer_gl0_inv
	v_cmpx_gt_u32_e32 8, v0
	s_cbranch_execz .LBB1617_43
; %bb.42:
	ds_load_b32 v2, v33
	s_waitcnt lgkmcnt(0)
	v_mov_b32_dpp v4, v2 row_shr:1 row_mask:0xf bank_mask:0xf
	v_and_b32_e32 v3, 7, v53
	s_delay_alu instid0(VALU_DEP_1) | instskip(NEXT) | instid1(VALU_DEP_3)
	v_cmp_ne_u32_e32 vcc_lo, 0, v3
	v_cndmask_b32_e32 v4, 0, v4, vcc_lo
	v_cmp_lt_u32_e32 vcc_lo, 1, v3
	s_delay_alu instid0(VALU_DEP_2) | instskip(NEXT) | instid1(VALU_DEP_1)
	v_add_nc_u32_e32 v2, v4, v2
	v_mov_b32_dpp v4, v2 row_shr:2 row_mask:0xf bank_mask:0xf
	s_delay_alu instid0(VALU_DEP_1) | instskip(SKIP_1) | instid1(VALU_DEP_2)
	v_cndmask_b32_e32 v4, 0, v4, vcc_lo
	v_cmp_lt_u32_e32 vcc_lo, 3, v3
	v_add_nc_u32_e32 v2, v2, v4
	s_delay_alu instid0(VALU_DEP_1) | instskip(NEXT) | instid1(VALU_DEP_1)
	v_mov_b32_dpp v4, v2 row_shr:4 row_mask:0xf bank_mask:0xf
	v_cndmask_b32_e32 v3, 0, v4, vcc_lo
	s_delay_alu instid0(VALU_DEP_1)
	v_add_nc_u32_e32 v2, v2, v3
	ds_store_b32 v33, v2
.LBB1617_43:
	s_or_b32 exec_lo, exec_lo, s7
	v_cmp_gt_u32_e32 vcc_lo, 32, v0
	s_mov_b32 s21, exec_lo
	s_waitcnt lgkmcnt(0)
	s_barrier
	buffer_gl0_inv
                                        ; implicit-def: $vgpr8
	v_cmpx_lt_u32_e32 31, v0
	s_cbranch_execz .LBB1617_45
; %bb.44:
	v_lshl_add_u32 v2, v54, 2, -4
	ds_load_b32 v8, v2
	s_waitcnt lgkmcnt(0)
	v_add_nc_u32_e32 v1, v8, v1
.LBB1617_45:
	s_or_b32 exec_lo, exec_lo, s21
	v_add_nc_u32_e32 v2, -1, v53
	s_delay_alu instid0(VALU_DEP_1) | instskip(NEXT) | instid1(VALU_DEP_1)
	v_cmp_gt_i32_e64 s7, 0, v2
	v_cndmask_b32_e64 v2, v2, v53, s7
	v_cmp_eq_u32_e64 s7, 0, v53
	s_delay_alu instid0(VALU_DEP_2)
	v_lshlrev_b32_e32 v2, 2, v2
	ds_bpermute_b32 v9, v2, v1
	s_and_saveexec_b32 s21, vcc_lo
	s_cbranch_execz .LBB1617_68
; %bb.46:
	v_mov_b32_e32 v4, 0
	ds_load_b32 v1, v4 offset:28
	s_and_saveexec_b32 s22, s7
	s_cbranch_execz .LBB1617_48
; %bb.47:
	s_add_i32 s24, s20, 32
	s_mov_b32 s25, 0
	v_mov_b32_e32 v2, 1
	s_lshl_b64 s[24:25], s[24:25], 3
	s_delay_alu instid0(SALU_CYCLE_1)
	s_add_u32 s24, s18, s24
	s_addc_u32 s25, s19, s25
	s_waitcnt lgkmcnt(0)
	global_store_b64 v4, v[1:2], s[24:25]
.LBB1617_48:
	s_or_b32 exec_lo, exec_lo, s22
	v_xad_u32 v2, v53, -1, s20
	s_mov_b32 s23, 0
	s_mov_b32 s22, exec_lo
	s_delay_alu instid0(VALU_DEP_1) | instskip(NEXT) | instid1(VALU_DEP_1)
	v_add_nc_u32_e32 v3, 32, v2
	v_lshlrev_b64 v[3:4], 3, v[3:4]
	s_delay_alu instid0(VALU_DEP_1) | instskip(NEXT) | instid1(VALU_DEP_2)
	v_add_co_u32 v6, vcc_lo, s18, v3
	v_add_co_ci_u32_e32 v7, vcc_lo, s19, v4, vcc_lo
	global_load_b64 v[4:5], v[6:7], off glc
	s_waitcnt vmcnt(0)
	v_and_b32_e32 v3, 0xff, v5
	s_delay_alu instid0(VALU_DEP_1)
	v_cmpx_eq_u16_e32 0, v3
	s_cbranch_execz .LBB1617_54
; %bb.49:
	s_mov_b32 s24, 1
	.p2align	6
.LBB1617_50:                            ; =>This Loop Header: Depth=1
                                        ;     Child Loop BB1617_51 Depth 2
	s_delay_alu instid0(SALU_CYCLE_1)
	s_max_u32 s25, s24, 1
.LBB1617_51:                            ;   Parent Loop BB1617_50 Depth=1
                                        ; =>  This Inner Loop Header: Depth=2
	s_delay_alu instid0(SALU_CYCLE_1)
	s_add_i32 s25, s25, -1
	s_sleep 1
	s_cmp_eq_u32 s25, 0
	s_cbranch_scc0 .LBB1617_51
; %bb.52:                               ;   in Loop: Header=BB1617_50 Depth=1
	global_load_b64 v[4:5], v[6:7], off glc
	s_cmp_lt_u32 s24, 32
	s_cselect_b32 s25, -1, 0
	s_delay_alu instid0(SALU_CYCLE_1) | instskip(SKIP_3) | instid1(VALU_DEP_1)
	s_cmp_lg_u32 s25, 0
	s_addc_u32 s24, s24, 0
	s_waitcnt vmcnt(0)
	v_and_b32_e32 v3, 0xff, v5
	v_cmp_ne_u16_e32 vcc_lo, 0, v3
	s_or_b32 s23, vcc_lo, s23
	s_delay_alu instid0(SALU_CYCLE_1)
	s_and_not1_b32 exec_lo, exec_lo, s23
	s_cbranch_execnz .LBB1617_50
; %bb.53:
	s_or_b32 exec_lo, exec_lo, s23
.LBB1617_54:
	s_delay_alu instid0(SALU_CYCLE_1)
	s_or_b32 exec_lo, exec_lo, s22
	v_cmp_ne_u32_e32 vcc_lo, 31, v53
	v_lshlrev_b32_e64 v11, v53, -1
	v_add_nc_u32_e32 v13, 2, v53
	v_add_nc_u32_e32 v15, 4, v53
	;; [unrolled: 1-line block ×3, first 2 shown]
	v_add_co_ci_u32_e32 v3, vcc_lo, 0, v53, vcc_lo
	v_add_nc_u32_e32 v58, 16, v53
	s_delay_alu instid0(VALU_DEP_2) | instskip(SKIP_2) | instid1(VALU_DEP_1)
	v_lshlrev_b32_e32 v10, 2, v3
	ds_bpermute_b32 v6, v10, v4
	v_and_b32_e32 v3, 0xff, v5
	v_cmp_eq_u16_e32 vcc_lo, 2, v3
	v_and_or_b32 v3, vcc_lo, v11, 0x80000000
	v_cmp_gt_u32_e32 vcc_lo, 30, v53
	s_delay_alu instid0(VALU_DEP_2) | instskip(SKIP_1) | instid1(VALU_DEP_2)
	v_ctz_i32_b32_e32 v3, v3
	v_cndmask_b32_e64 v7, 0, 1, vcc_lo
	v_cmp_lt_u32_e32 vcc_lo, v53, v3
	s_waitcnt lgkmcnt(0)
	s_delay_alu instid0(VALU_DEP_2) | instskip(NEXT) | instid1(VALU_DEP_1)
	v_dual_cndmask_b32 v6, 0, v6 :: v_dual_lshlrev_b32 v7, 1, v7
	v_add_lshl_u32 v12, v7, v53, 2
	v_cmp_gt_u32_e32 vcc_lo, 28, v53
	s_delay_alu instid0(VALU_DEP_3) | instskip(SKIP_4) | instid1(VALU_DEP_1)
	v_add_nc_u32_e32 v4, v6, v4
	v_cndmask_b32_e64 v7, 0, 1, vcc_lo
	v_cmp_le_u32_e32 vcc_lo, v13, v3
	ds_bpermute_b32 v6, v12, v4
	v_lshlrev_b32_e32 v7, 2, v7
	v_add_lshl_u32 v14, v7, v53, 2
	s_waitcnt lgkmcnt(0)
	v_cndmask_b32_e32 v6, 0, v6, vcc_lo
	v_cmp_gt_u32_e32 vcc_lo, 24, v53
	s_delay_alu instid0(VALU_DEP_2) | instskip(SKIP_4) | instid1(VALU_DEP_1)
	v_add_nc_u32_e32 v4, v4, v6
	v_cndmask_b32_e64 v7, 0, 1, vcc_lo
	v_cmp_le_u32_e32 vcc_lo, v15, v3
	ds_bpermute_b32 v6, v14, v4
	v_lshlrev_b32_e32 v7, 3, v7
	v_add_lshl_u32 v17, v7, v53, 2
	s_waitcnt lgkmcnt(0)
	v_cndmask_b32_e32 v6, 0, v6, vcc_lo
	v_cmp_gt_u32_e32 vcc_lo, 16, v53
	s_delay_alu instid0(VALU_DEP_2) | instskip(SKIP_4) | instid1(VALU_DEP_1)
	v_add_nc_u32_e32 v4, v4, v6
	v_cndmask_b32_e64 v7, 0, 1, vcc_lo
	v_cmp_le_u32_e32 vcc_lo, v56, v3
	ds_bpermute_b32 v6, v17, v4
	v_lshlrev_b32_e32 v7, 4, v7
	v_add_lshl_u32 v57, v7, v53, 2
	s_waitcnt lgkmcnt(0)
	v_cndmask_b32_e32 v6, 0, v6, vcc_lo
	v_cmp_le_u32_e32 vcc_lo, v58, v3
	s_delay_alu instid0(VALU_DEP_2) | instskip(SKIP_3) | instid1(VALU_DEP_1)
	v_add_nc_u32_e32 v4, v4, v6
	ds_bpermute_b32 v6, v57, v4
	s_waitcnt lgkmcnt(0)
	v_cndmask_b32_e32 v3, 0, v6, vcc_lo
	v_dual_mov_b32 v3, 0 :: v_dual_add_nc_u32 v4, v4, v3
	s_branch .LBB1617_56
.LBB1617_55:                            ;   in Loop: Header=BB1617_56 Depth=1
	s_or_b32 exec_lo, exec_lo, s22
	ds_bpermute_b32 v7, v10, v4
	v_and_b32_e32 v6, 0xff, v5
	v_subrev_nc_u32_e32 v2, 32, v2
	s_delay_alu instid0(VALU_DEP_2) | instskip(SKIP_1) | instid1(VALU_DEP_1)
	v_cmp_eq_u16_e32 vcc_lo, 2, v6
	v_and_or_b32 v6, vcc_lo, v11, 0x80000000
	v_ctz_i32_b32_e32 v6, v6
	s_delay_alu instid0(VALU_DEP_1) | instskip(SKIP_3) | instid1(VALU_DEP_2)
	v_cmp_lt_u32_e32 vcc_lo, v53, v6
	s_waitcnt lgkmcnt(0)
	v_cndmask_b32_e32 v7, 0, v7, vcc_lo
	v_cmp_le_u32_e32 vcc_lo, v13, v6
	v_add_nc_u32_e32 v4, v7, v4
	ds_bpermute_b32 v7, v12, v4
	s_waitcnt lgkmcnt(0)
	v_cndmask_b32_e32 v7, 0, v7, vcc_lo
	v_cmp_le_u32_e32 vcc_lo, v15, v6
	s_delay_alu instid0(VALU_DEP_2) | instskip(SKIP_4) | instid1(VALU_DEP_2)
	v_add_nc_u32_e32 v4, v4, v7
	ds_bpermute_b32 v7, v14, v4
	s_waitcnt lgkmcnt(0)
	v_cndmask_b32_e32 v7, 0, v7, vcc_lo
	v_cmp_le_u32_e32 vcc_lo, v56, v6
	v_add_nc_u32_e32 v4, v4, v7
	ds_bpermute_b32 v7, v17, v4
	s_waitcnt lgkmcnt(0)
	v_cndmask_b32_e32 v7, 0, v7, vcc_lo
	v_cmp_le_u32_e32 vcc_lo, v58, v6
	s_delay_alu instid0(VALU_DEP_2) | instskip(SKIP_3) | instid1(VALU_DEP_1)
	v_add_nc_u32_e32 v4, v4, v7
	ds_bpermute_b32 v7, v57, v4
	s_waitcnt lgkmcnt(0)
	v_cndmask_b32_e32 v6, 0, v7, vcc_lo
	v_add3_u32 v4, v6, v16, v4
.LBB1617_56:                            ; =>This Loop Header: Depth=1
                                        ;     Child Loop BB1617_59 Depth 2
                                        ;       Child Loop BB1617_60 Depth 3
	s_delay_alu instid0(VALU_DEP_1) | instskip(NEXT) | instid1(VALU_DEP_1)
	v_dual_mov_b32 v16, v4 :: v_dual_and_b32 v5, 0xff, v5
	v_cmp_ne_u16_e32 vcc_lo, 2, v5
	v_cndmask_b32_e64 v5, 0, 1, vcc_lo
	;;#ASMSTART
	;;#ASMEND
	s_delay_alu instid0(VALU_DEP_1)
	v_cmp_ne_u32_e32 vcc_lo, 0, v5
	s_cmp_lg_u32 vcc_lo, exec_lo
	s_cbranch_scc1 .LBB1617_63
; %bb.57:                               ;   in Loop: Header=BB1617_56 Depth=1
	v_lshlrev_b64 v[4:5], 3, v[2:3]
	s_mov_b32 s22, exec_lo
	s_delay_alu instid0(VALU_DEP_1) | instskip(NEXT) | instid1(VALU_DEP_2)
	v_add_co_u32 v6, vcc_lo, s18, v4
	v_add_co_ci_u32_e32 v7, vcc_lo, s19, v5, vcc_lo
	global_load_b64 v[4:5], v[6:7], off glc
	s_waitcnt vmcnt(0)
	v_and_b32_e32 v59, 0xff, v5
	s_delay_alu instid0(VALU_DEP_1)
	v_cmpx_eq_u16_e32 0, v59
	s_cbranch_execz .LBB1617_55
; %bb.58:                               ;   in Loop: Header=BB1617_56 Depth=1
	s_mov_b32 s24, 1
	s_mov_b32 s23, 0
	.p2align	6
.LBB1617_59:                            ;   Parent Loop BB1617_56 Depth=1
                                        ; =>  This Loop Header: Depth=2
                                        ;       Child Loop BB1617_60 Depth 3
	s_max_u32 s25, s24, 1
.LBB1617_60:                            ;   Parent Loop BB1617_56 Depth=1
                                        ;     Parent Loop BB1617_59 Depth=2
                                        ; =>    This Inner Loop Header: Depth=3
	s_delay_alu instid0(SALU_CYCLE_1)
	s_add_i32 s25, s25, -1
	s_sleep 1
	s_cmp_eq_u32 s25, 0
	s_cbranch_scc0 .LBB1617_60
; %bb.61:                               ;   in Loop: Header=BB1617_59 Depth=2
	global_load_b64 v[4:5], v[6:7], off glc
	s_cmp_lt_u32 s24, 32
	s_cselect_b32 s25, -1, 0
	s_delay_alu instid0(SALU_CYCLE_1) | instskip(SKIP_3) | instid1(VALU_DEP_1)
	s_cmp_lg_u32 s25, 0
	s_addc_u32 s24, s24, 0
	s_waitcnt vmcnt(0)
	v_and_b32_e32 v59, 0xff, v5
	v_cmp_ne_u16_e32 vcc_lo, 0, v59
	s_or_b32 s23, vcc_lo, s23
	s_delay_alu instid0(SALU_CYCLE_1)
	s_and_not1_b32 exec_lo, exec_lo, s23
	s_cbranch_execnz .LBB1617_59
; %bb.62:                               ;   in Loop: Header=BB1617_56 Depth=1
	s_or_b32 exec_lo, exec_lo, s23
	s_branch .LBB1617_55
.LBB1617_63:                            ;   in Loop: Header=BB1617_56 Depth=1
                                        ; implicit-def: $vgpr4
                                        ; implicit-def: $vgpr5
	s_cbranch_execz .LBB1617_56
; %bb.64:
	s_and_saveexec_b32 s22, s7
	s_cbranch_execz .LBB1617_66
; %bb.65:
	s_add_i32 s24, s20, 32
	s_mov_b32 s25, 0
	v_dual_mov_b32 v3, 2 :: v_dual_add_nc_u32 v2, v16, v1
	s_lshl_b64 s[24:25], s[24:25], 3
	v_mov_b32_e32 v4, 0
	v_add_nc_u32_e64 v5, 0x3400, 0
	s_add_u32 s24, s18, s24
	s_addc_u32 s25, s19, s25
	global_store_b64 v4, v[2:3], s[24:25]
	ds_store_2addr_b32 v5, v1, v16 offset1:2
.LBB1617_66:
	s_or_b32 exec_lo, exec_lo, s22
	s_delay_alu instid0(SALU_CYCLE_1)
	s_and_b32 exec_lo, exec_lo, s2
	s_cbranch_execz .LBB1617_68
; %bb.67:
	v_mov_b32_e32 v1, 0
	ds_store_b32 v1, v16 offset:28
.LBB1617_68:
	s_or_b32 exec_lo, exec_lo, s21
	v_mov_b32_e32 v1, 0
	s_waitcnt lgkmcnt(0)
	s_waitcnt_vscnt null, 0x0
	s_barrier
	buffer_gl0_inv
	v_cndmask_b32_e64 v2, v9, v8, s7
	ds_load_b32 v1, v1 offset:28
	v_add_nc_u32_e64 v11, 0x3400, 0
	s_waitcnt lgkmcnt(0)
	s_barrier
	v_cndmask_b32_e64 v2, v2, 0, s2
	buffer_gl0_inv
	ds_load_2addr_b32 v[16:17], v11 offset1:2
	v_add_nc_u32_e32 v1, v1, v2
	s_delay_alu instid0(VALU_DEP_1) | instskip(NEXT) | instid1(VALU_DEP_1)
	v_add_nc_u32_e32 v2, v1, v44
	v_add_nc_u32_e32 v3, v2, v45
	s_delay_alu instid0(VALU_DEP_1) | instskip(NEXT) | instid1(VALU_DEP_1)
	v_add_nc_u32_e32 v4, v3, v46
	;; [unrolled: 3-line block ×6, first 2 shown]
	v_add_nc_u32_e32 v13, v12, v39
	s_branch .LBB1617_79
.LBB1617_69:
                                        ; implicit-def: $vgpr17
                                        ; implicit-def: $vgpr1_vgpr2_vgpr3_vgpr4_vgpr5_vgpr6_vgpr7_vgpr8_vgpr9_vgpr10_vgpr11_vgpr12_vgpr13_vgpr14_vgpr15_vgpr16
	s_and_b32 vcc_lo, exec_lo, s7
	s_cbranch_vccz .LBB1617_79
; %bb.70:
	s_delay_alu instid0(VALU_DEP_1) | instskip(NEXT) | instid1(VALU_DEP_1)
	v_mov_b32_dpp v1, v55 row_shr:1 row_mask:0xf bank_mask:0xf
	v_cndmask_b32_e64 v1, v1, 0, s6
	s_delay_alu instid0(VALU_DEP_1) | instskip(NEXT) | instid1(VALU_DEP_1)
	v_add_nc_u32_e32 v1, v1, v55
	v_mov_b32_dpp v2, v1 row_shr:2 row_mask:0xf bank_mask:0xf
	s_delay_alu instid0(VALU_DEP_1) | instskip(NEXT) | instid1(VALU_DEP_1)
	v_cndmask_b32_e64 v2, 0, v2, s5
	v_add_nc_u32_e32 v1, v1, v2
	s_delay_alu instid0(VALU_DEP_1) | instskip(NEXT) | instid1(VALU_DEP_1)
	v_mov_b32_dpp v2, v1 row_shr:4 row_mask:0xf bank_mask:0xf
	v_cndmask_b32_e64 v2, 0, v2, s4
	s_delay_alu instid0(VALU_DEP_1) | instskip(NEXT) | instid1(VALU_DEP_1)
	v_add_nc_u32_e32 v1, v1, v2
	v_mov_b32_dpp v2, v1 row_shr:8 row_mask:0xf bank_mask:0xf
	s_delay_alu instid0(VALU_DEP_1) | instskip(NEXT) | instid1(VALU_DEP_1)
	v_cndmask_b32_e64 v2, 0, v2, s3
	v_add_nc_u32_e32 v1, v1, v2
	ds_swizzle_b32 v2, v1 offset:swizzle(BROADCAST,32,15)
	s_waitcnt lgkmcnt(0)
	v_cndmask_b32_e64 v2, v2, 0, s1
	s_delay_alu instid0(VALU_DEP_1)
	v_add_nc_u32_e32 v1, v1, v2
	s_and_saveexec_b32 s1, s0
	s_cbranch_execz .LBB1617_72
; %bb.71:
	v_lshlrev_b32_e32 v2, 2, v54
	ds_store_b32 v2, v1
.LBB1617_72:
	s_or_b32 exec_lo, exec_lo, s1
	s_delay_alu instid0(SALU_CYCLE_1)
	s_mov_b32 s0, exec_lo
	s_waitcnt lgkmcnt(0)
	s_barrier
	buffer_gl0_inv
	v_cmpx_gt_u32_e32 8, v0
	s_cbranch_execz .LBB1617_74
; %bb.73:
	ds_load_b32 v2, v33
	s_waitcnt lgkmcnt(0)
	v_mov_b32_dpp v4, v2 row_shr:1 row_mask:0xf bank_mask:0xf
	v_and_b32_e32 v3, 7, v53
	s_delay_alu instid0(VALU_DEP_1) | instskip(NEXT) | instid1(VALU_DEP_3)
	v_cmp_ne_u32_e32 vcc_lo, 0, v3
	v_cndmask_b32_e32 v4, 0, v4, vcc_lo
	v_cmp_lt_u32_e32 vcc_lo, 1, v3
	s_delay_alu instid0(VALU_DEP_2) | instskip(NEXT) | instid1(VALU_DEP_1)
	v_add_nc_u32_e32 v2, v4, v2
	v_mov_b32_dpp v4, v2 row_shr:2 row_mask:0xf bank_mask:0xf
	s_delay_alu instid0(VALU_DEP_1) | instskip(SKIP_1) | instid1(VALU_DEP_2)
	v_cndmask_b32_e32 v4, 0, v4, vcc_lo
	v_cmp_lt_u32_e32 vcc_lo, 3, v3
	v_add_nc_u32_e32 v2, v2, v4
	s_delay_alu instid0(VALU_DEP_1) | instskip(NEXT) | instid1(VALU_DEP_1)
	v_mov_b32_dpp v4, v2 row_shr:4 row_mask:0xf bank_mask:0xf
	v_cndmask_b32_e32 v3, 0, v4, vcc_lo
	s_delay_alu instid0(VALU_DEP_1)
	v_add_nc_u32_e32 v2, v2, v3
	ds_store_b32 v33, v2
.LBB1617_74:
	s_or_b32 exec_lo, exec_lo, s0
	v_dual_mov_b32 v3, 0 :: v_dual_mov_b32 v2, 0
	s_mov_b32 s0, exec_lo
	s_waitcnt lgkmcnt(0)
	s_barrier
	buffer_gl0_inv
	v_cmpx_lt_u32_e32 31, v0
	s_cbranch_execz .LBB1617_76
; %bb.75:
	v_lshl_add_u32 v2, v54, 2, -4
	ds_load_b32 v2, v2
.LBB1617_76:
	s_or_b32 exec_lo, exec_lo, s0
	v_add_nc_u32_e32 v4, -1, v53
	s_waitcnt lgkmcnt(0)
	v_add_nc_u32_e32 v1, v2, v1
	ds_load_b32 v16, v3 offset:28
	v_cmp_gt_i32_e32 vcc_lo, 0, v4
	v_cndmask_b32_e32 v4, v4, v53, vcc_lo
	s_delay_alu instid0(VALU_DEP_1)
	v_lshlrev_b32_e32 v4, 2, v4
	ds_bpermute_b32 v1, v4, v1
	s_and_saveexec_b32 s0, s2
	s_cbranch_execz .LBB1617_78
; %bb.77:
	v_mov_b32_e32 v3, 0
	v_mov_b32_e32 v17, 2
	s_waitcnt lgkmcnt(1)
	global_store_b64 v3, v[16:17], s[18:19] offset:256
.LBB1617_78:
	s_or_b32 exec_lo, exec_lo, s0
	v_cmp_eq_u32_e32 vcc_lo, 0, v53
	s_waitcnt lgkmcnt(0)
	s_waitcnt_vscnt null, 0x0
	s_barrier
	buffer_gl0_inv
	v_mov_b32_e32 v17, 0
	v_cndmask_b32_e32 v1, v1, v2, vcc_lo
	s_delay_alu instid0(VALU_DEP_1) | instskip(NEXT) | instid1(VALU_DEP_1)
	v_cndmask_b32_e64 v1, v1, 0, s2
	v_add_nc_u32_e32 v2, v1, v44
	s_delay_alu instid0(VALU_DEP_1) | instskip(NEXT) | instid1(VALU_DEP_1)
	v_add_nc_u32_e32 v3, v2, v45
	v_add_nc_u32_e32 v4, v3, v46
	s_delay_alu instid0(VALU_DEP_1) | instskip(NEXT) | instid1(VALU_DEP_1)
	v_add_nc_u32_e32 v5, v4, v43
	v_add_nc_u32_e32 v6, v5, v47
	s_delay_alu instid0(VALU_DEP_1) | instskip(NEXT) | instid1(VALU_DEP_1)
	v_add_nc_u32_e32 v7, v6, v48
	v_add_nc_u32_e32 v8, v7, v49
	s_delay_alu instid0(VALU_DEP_1) | instskip(NEXT) | instid1(VALU_DEP_1)
	v_add_nc_u32_e32 v9, v8, v41
	v_add_nc_u32_e32 v10, v9, v50
	s_delay_alu instid0(VALU_DEP_1) | instskip(NEXT) | instid1(VALU_DEP_1)
	v_add_nc_u32_e32 v11, v10, v51
	v_add_nc_u32_e32 v12, v11, v52
	s_delay_alu instid0(VALU_DEP_1)
	v_add_nc_u32_e32 v13, v12, v39
.LBB1617_79:
	s_waitcnt lgkmcnt(0)
	v_sub_nc_u32_e32 v1, v1, v17
	v_sub_nc_u32_e32 v2, v2, v17
	v_add_nc_u32_e32 v36, v16, v36
	v_lshrrev_b32_e32 v47, 8, v42
	v_lshrrev_b32_e32 v46, 16, v42
	v_sub_nc_u32_e32 v4, v4, v17
	v_sub_nc_u32_e32 v3, v3, v17
	;; [unrolled: 1-line block ×3, first 2 shown]
	v_and_b32_e32 v42, 1, v42
	v_and_b32_e32 v47, 1, v47
	;; [unrolled: 1-line block ×3, first 2 shown]
	v_lshrrev_b32_e32 v45, 8, v40
	v_lshrrev_b32_e32 v44, 16, v40
	v_cmp_eq_u32_e32 vcc_lo, 1, v42
	v_and_b32_e32 v42, 1, v46
	v_sub_nc_u32_e32 v46, v36, v2
	v_lshrrev_b32_e32 v15, 8, v38
	v_lshrrev_b32_e32 v14, 16, v38
	v_cndmask_b32_e32 v1, v48, v1, vcc_lo
	v_cmp_eq_u32_e32 vcc_lo, 1, v47
	v_add_nc_u32_e32 v46, 1, v46
	s_delay_alu instid0(VALU_DEP_3)
	v_lshlrev_b32_e32 v1, 2, v1
	ds_store_b32 v1, v30
	v_cndmask_b32_e32 v1, v46, v2, vcc_lo
	v_sub_nc_u32_e32 v48, v36, v3
	v_sub_nc_u32_e32 v49, v36, v4
	v_cmp_eq_u32_e32 vcc_lo, 1, v42
	v_or_b32_e32 v30, 0x300, v0
	v_lshlrev_b32_e32 v1, 2, v1
	v_add_nc_u32_e32 v48, 2, v48
	v_add_nc_u32_e32 v49, 3, v49
	ds_store_b32 v1, v31
	v_cndmask_b32_e32 v2, v48, v3, vcc_lo
	v_cmp_eq_u32_e32 vcc_lo, 1, v43
	v_or_b32_e32 v31, 0x200, v0
	s_delay_alu instid0(VALU_DEP_3) | instskip(SKIP_2) | instid1(VALU_DEP_3)
	v_dual_cndmask_b32 v3, v49, v4 :: v_dual_lshlrev_b32 v2, 2, v2
	v_sub_nc_u32_e32 v4, v5, v17
	v_sub_nc_u32_e32 v5, v6, v17
	v_lshlrev_b32_e32 v3, 2, v3
	s_delay_alu instid0(VALU_DEP_3) | instskip(NEXT) | instid1(VALU_DEP_3)
	v_sub_nc_u32_e32 v1, v36, v4
	v_sub_nc_u32_e32 v6, v36, v5
	ds_store_b32 v2, v28
	ds_store_b32 v3, v29
	v_and_b32_e32 v2, 1, v40
	v_add_nc_u32_e32 v1, 4, v1
	v_add_nc_u32_e32 v3, 5, v6
	v_sub_nc_u32_e32 v6, v7, v17
	v_and_b32_e32 v7, 1, v45
	v_cmp_eq_u32_e32 vcc_lo, 1, v2
	v_sub_nc_u32_e32 v2, v8, v17
	v_and_b32_e32 v8, 1, v41
	v_or_b32_e32 v29, 0x400, v0
	v_or_b32_e32 v28, 0x500, v0
	v_cndmask_b32_e32 v1, v1, v4, vcc_lo
	v_sub_nc_u32_e32 v4, v36, v6
	v_cmp_eq_u32_e32 vcc_lo, 1, v7
	v_and_b32_e32 v7, 1, v44
	s_delay_alu instid0(VALU_DEP_4) | instskip(NEXT) | instid1(VALU_DEP_4)
	v_lshlrev_b32_e32 v1, 2, v1
	v_dual_cndmask_b32 v3, v3, v5 :: v_dual_add_nc_u32 v4, 6, v4
	v_sub_nc_u32_e32 v5, v36, v2
	s_delay_alu instid0(VALU_DEP_4) | instskip(SKIP_2) | instid1(VALU_DEP_4)
	v_cmp_eq_u32_e32 vcc_lo, 1, v7
	v_sub_nc_u32_e32 v7, v13, v17
	v_add_co_u32 v13, s0, s16, v32
	v_dual_cndmask_b32 v4, v4, v6 :: v_dual_add_nc_u32 v5, 7, v5
	v_cmp_eq_u32_e32 vcc_lo, 1, v8
	v_sub_nc_u32_e32 v6, v9, v17
	v_lshlrev_b32_e32 v3, 2, v3
	ds_store_b32 v1, v26
	ds_store_b32 v3, v27
	v_cndmask_b32_e32 v2, v5, v2, vcc_lo
	v_sub_nc_u32_e32 v1, v36, v6
	v_lshlrev_b32_e32 v3, 2, v4
	v_and_b32_e32 v5, 1, v38
	v_sub_nc_u32_e32 v4, v10, v17
	v_lshlrev_b32_e32 v2, 2, v2
	v_add_nc_u32_e32 v1, 8, v1
	ds_store_b32 v3, v24
	ds_store_b32 v2, v25
	v_cmp_eq_u32_e32 vcc_lo, 1, v5
	v_sub_nc_u32_e32 v3, v11, v17
	v_sub_nc_u32_e32 v2, v36, v4
	;; [unrolled: 1-line block ×3, first 2 shown]
	v_dual_cndmask_b32 v1, v1, v6 :: v_dual_and_b32 v10, 1, v39
	v_and_b32_e32 v6, 1, v15
	v_sub_nc_u32_e32 v8, v36, v3
	v_add_nc_u32_e32 v2, 9, v2
	v_sub_nc_u32_e32 v9, v36, v5
	v_and_b32_e32 v11, 1, v37
	v_cmp_eq_u32_e32 vcc_lo, 1, v6
	v_add_nc_u32_e32 v6, 10, v8
	v_and_b32_e32 v8, 1, v14
	v_add_nc_u32_e32 v9, 11, v9
	v_dual_cndmask_b32 v2, v2, v4 :: v_dual_lshlrev_b32 v1, 2, v1
	v_sub_nc_u32_e32 v4, v36, v7
	s_delay_alu instid0(VALU_DEP_4) | instskip(SKIP_1) | instid1(VALU_DEP_4)
	v_cmp_eq_u32_e32 vcc_lo, 1, v8
	v_add_co_ci_u32_e64 v14, null, s17, 0, s0
	v_lshlrev_b32_e32 v2, 2, v2
	s_delay_alu instid0(VALU_DEP_4)
	v_dual_cndmask_b32 v3, v6, v3 :: v_dual_add_nc_u32 v4, 12, v4
	v_cmp_eq_u32_e32 vcc_lo, 1, v10
	v_or_b32_e32 v27, 0x600, v0
	v_or_b32_e32 v26, 0x700, v0
	;; [unrolled: 1-line block ×3, first 2 shown]
	v_lshlrev_b32_e32 v3, 2, v3
	v_cndmask_b32_e32 v5, v9, v5, vcc_lo
	v_cmp_eq_u32_e32 vcc_lo, 1, v11
	v_or_b32_e32 v24, 0x900, v0
	s_delay_alu instid0(VALU_DEP_3) | instskip(SKIP_2) | instid1(VALU_DEP_3)
	v_dual_cndmask_b32 v4, v4, v7 :: v_dual_lshlrev_b32 v5, 2, v5
	v_sub_co_u32 v13, vcc_lo, s14, v13
	v_sub_co_ci_u32_e32 v14, vcc_lo, s15, v14, vcc_lo
	v_lshlrev_b32_e32 v4, 2, v4
	ds_store_b32 v1, v22
	ds_store_b32 v2, v23
	;; [unrolled: 1-line block ×5, first 2 shown]
	s_waitcnt lgkmcnt(0)
	s_barrier
	buffer_gl0_inv
	ds_load_2addr_stride64_b32 v[11:12], v33 offset1:4
	ds_load_2addr_stride64_b32 v[9:10], v33 offset0:8 offset1:12
	ds_load_2addr_stride64_b32 v[7:8], v33 offset0:16 offset1:20
	;; [unrolled: 1-line block ×5, first 2 shown]
	ds_load_b32 v20, v33 offset:12288
	v_add_co_u32 v15, vcc_lo, v18, v17
	v_add_co_ci_u32_e32 v17, vcc_lo, 0, v19, vcc_lo
	v_add_co_u32 v13, vcc_lo, v13, v16
	v_add_co_ci_u32_e32 v14, vcc_lo, 0, v14, vcc_lo
	v_cmp_ne_u32_e32 vcc_lo, 1, v34
	s_delay_alu instid0(VALU_DEP_3)
	v_add_co_u32 v18, s0, v13, v15
	v_or_b32_e32 v35, 0x100, v0
	v_or_b32_e32 v23, 0xa00, v0
	;; [unrolled: 1-line block ×4, first 2 shown]
	v_add_co_ci_u32_e64 v19, s0, v14, v17, s0
	s_mov_b32 s0, 0
	s_cbranch_vccnz .LBB1617_136
; %bb.80:
	s_mov_b32 s0, exec_lo
                                        ; implicit-def: $vgpr13_vgpr14
	v_cmpx_ge_u32_e64 v0, v16
	s_xor_b32 s0, exec_lo, s0
; %bb.81:
	v_not_b32_e32 v13, v0
	s_delay_alu instid0(VALU_DEP_1) | instskip(SKIP_1) | instid1(VALU_DEP_2)
	v_ashrrev_i32_e32 v14, 31, v13
	v_add_co_u32 v13, vcc_lo, v18, v13
	v_add_co_ci_u32_e32 v14, vcc_lo, v19, v14, vcc_lo
; %bb.82:
	s_and_not1_saveexec_b32 s0, s0
; %bb.83:
	v_add_co_u32 v13, vcc_lo, v15, v0
	v_add_co_ci_u32_e32 v14, vcc_lo, 0, v17, vcc_lo
; %bb.84:
	s_or_b32 exec_lo, exec_lo, s0
	s_delay_alu instid0(VALU_DEP_1) | instskip(SKIP_1) | instid1(VALU_DEP_1)
	v_lshlrev_b64 v[13:14], 2, v[13:14]
	s_mov_b32 s0, exec_lo
	v_add_co_u32 v13, vcc_lo, s12, v13
	s_delay_alu instid0(VALU_DEP_2)
	v_add_co_ci_u32_e32 v14, vcc_lo, s13, v14, vcc_lo
	s_waitcnt lgkmcnt(6)
	global_store_b32 v[13:14], v11, off
                                        ; implicit-def: $vgpr13_vgpr14
	v_cmpx_ge_u32_e64 v35, v16
	s_xor_b32 s0, exec_lo, s0
; %bb.85:
	v_xor_b32_e32 v13, 0xfffffeff, v0
	s_delay_alu instid0(VALU_DEP_1) | instskip(SKIP_1) | instid1(VALU_DEP_2)
	v_ashrrev_i32_e32 v14, 31, v13
	v_add_co_u32 v13, vcc_lo, v18, v13
	v_add_co_ci_u32_e32 v14, vcc_lo, v19, v14, vcc_lo
; %bb.86:
	s_and_not1_saveexec_b32 s0, s0
; %bb.87:
	v_add_co_u32 v13, vcc_lo, v15, v35
	v_add_co_ci_u32_e32 v14, vcc_lo, 0, v17, vcc_lo
; %bb.88:
	s_or_b32 exec_lo, exec_lo, s0
	s_delay_alu instid0(VALU_DEP_1) | instskip(SKIP_1) | instid1(VALU_DEP_1)
	v_lshlrev_b64 v[13:14], 2, v[13:14]
	s_mov_b32 s0, exec_lo
	v_add_co_u32 v13, vcc_lo, s12, v13
	s_delay_alu instid0(VALU_DEP_2)
	v_add_co_ci_u32_e32 v14, vcc_lo, s13, v14, vcc_lo
	global_store_b32 v[13:14], v12, off
                                        ; implicit-def: $vgpr13_vgpr14
	v_cmpx_ge_u32_e64 v31, v16
	s_xor_b32 s0, exec_lo, s0
; %bb.89:
	v_xor_b32_e32 v13, 0xfffffdff, v0
	s_delay_alu instid0(VALU_DEP_1) | instskip(SKIP_1) | instid1(VALU_DEP_2)
	v_ashrrev_i32_e32 v14, 31, v13
	v_add_co_u32 v13, vcc_lo, v18, v13
	v_add_co_ci_u32_e32 v14, vcc_lo, v19, v14, vcc_lo
; %bb.90:
	s_and_not1_saveexec_b32 s0, s0
; %bb.91:
	v_add_co_u32 v13, vcc_lo, v15, v31
	v_add_co_ci_u32_e32 v14, vcc_lo, 0, v17, vcc_lo
; %bb.92:
	s_or_b32 exec_lo, exec_lo, s0
	s_delay_alu instid0(VALU_DEP_1) | instskip(SKIP_1) | instid1(VALU_DEP_1)
	v_lshlrev_b64 v[13:14], 2, v[13:14]
	s_mov_b32 s0, exec_lo
	v_add_co_u32 v13, vcc_lo, s12, v13
	s_delay_alu instid0(VALU_DEP_2)
	v_add_co_ci_u32_e32 v14, vcc_lo, s13, v14, vcc_lo
	s_waitcnt lgkmcnt(5)
	global_store_b32 v[13:14], v9, off
                                        ; implicit-def: $vgpr13_vgpr14
	v_cmpx_ge_u32_e64 v30, v16
	s_xor_b32 s0, exec_lo, s0
; %bb.93:
	v_xor_b32_e32 v13, 0xfffffcff, v0
	s_delay_alu instid0(VALU_DEP_1) | instskip(SKIP_1) | instid1(VALU_DEP_2)
	v_ashrrev_i32_e32 v14, 31, v13
	v_add_co_u32 v13, vcc_lo, v18, v13
	v_add_co_ci_u32_e32 v14, vcc_lo, v19, v14, vcc_lo
; %bb.94:
	s_and_not1_saveexec_b32 s0, s0
; %bb.95:
	v_add_co_u32 v13, vcc_lo, v15, v30
	v_add_co_ci_u32_e32 v14, vcc_lo, 0, v17, vcc_lo
; %bb.96:
	s_or_b32 exec_lo, exec_lo, s0
	s_delay_alu instid0(VALU_DEP_1) | instskip(SKIP_1) | instid1(VALU_DEP_1)
	v_lshlrev_b64 v[13:14], 2, v[13:14]
	s_mov_b32 s0, exec_lo
	v_add_co_u32 v13, vcc_lo, s12, v13
	s_delay_alu instid0(VALU_DEP_2)
	v_add_co_ci_u32_e32 v14, vcc_lo, s13, v14, vcc_lo
	global_store_b32 v[13:14], v10, off
                                        ; implicit-def: $vgpr13_vgpr14
	v_cmpx_ge_u32_e64 v29, v16
	s_xor_b32 s0, exec_lo, s0
; %bb.97:
	v_xor_b32_e32 v13, 0xfffffbff, v0
	;; [unrolled: 47-line block ×6, first 2 shown]
	s_delay_alu instid0(VALU_DEP_1) | instskip(SKIP_1) | instid1(VALU_DEP_2)
	v_ashrrev_i32_e32 v14, 31, v13
	v_add_co_u32 v13, vcc_lo, v18, v13
	v_add_co_ci_u32_e32 v14, vcc_lo, v19, v14, vcc_lo
; %bb.130:
	s_and_not1_saveexec_b32 s0, s0
; %bb.131:
	v_add_co_u32 v13, vcc_lo, v15, v21
	v_add_co_ci_u32_e32 v14, vcc_lo, 0, v17, vcc_lo
; %bb.132:
	s_or_b32 exec_lo, exec_lo, s0
	s_mov_b32 s0, -1
.LBB1617_133:
	s_delay_alu instid0(SALU_CYCLE_1)
	s_and_saveexec_b32 s1, s0
	s_cbranch_execz .LBB1617_216
.LBB1617_134:
	s_waitcnt lgkmcnt(1)
	v_lshlrev_b64 v[0:1], 2, v[13:14]
	s_delay_alu instid0(VALU_DEP_1) | instskip(NEXT) | instid1(VALU_DEP_2)
	v_add_co_u32 v0, vcc_lo, s12, v0
	v_add_co_ci_u32_e32 v1, vcc_lo, s13, v1, vcc_lo
	s_waitcnt lgkmcnt(0)
	global_store_b32 v[0:1], v20, off
	s_or_b32 exec_lo, exec_lo, s1
	s_and_b32 s0, s2, s10
	s_delay_alu instid0(SALU_CYCLE_1)
	s_and_saveexec_b32 s1, s0
	s_cbranch_execnz .LBB1617_217
.LBB1617_135:
	s_nop 0
	s_sendmsg sendmsg(MSG_DEALLOC_VGPRS)
	s_endpgm
.LBB1617_136:
                                        ; implicit-def: $vgpr13_vgpr14
	s_cbranch_execz .LBB1617_133
; %bb.137:
	s_mov_b32 s1, exec_lo
	v_cmpx_gt_u32_e64 s11, v0
	s_cbranch_execz .LBB1617_173
; %bb.138:
	s_mov_b32 s3, exec_lo
                                        ; implicit-def: $vgpr13_vgpr14
	v_cmpx_ge_u32_e64 v0, v16
	s_xor_b32 s3, exec_lo, s3
; %bb.139:
	v_not_b32_e32 v13, v0
	s_delay_alu instid0(VALU_DEP_1) | instskip(SKIP_1) | instid1(VALU_DEP_2)
	v_ashrrev_i32_e32 v14, 31, v13
	v_add_co_u32 v13, vcc_lo, v18, v13
	v_add_co_ci_u32_e32 v14, vcc_lo, v19, v14, vcc_lo
; %bb.140:
	s_and_not1_saveexec_b32 s3, s3
; %bb.141:
	v_add_co_u32 v13, vcc_lo, v15, v0
	v_add_co_ci_u32_e32 v14, vcc_lo, 0, v17, vcc_lo
; %bb.142:
	s_or_b32 exec_lo, exec_lo, s3
	s_delay_alu instid0(VALU_DEP_1) | instskip(NEXT) | instid1(VALU_DEP_1)
	v_lshlrev_b64 v[13:14], 2, v[13:14]
	v_add_co_u32 v13, vcc_lo, s12, v13
	s_delay_alu instid0(VALU_DEP_2) | instskip(SKIP_3) | instid1(SALU_CYCLE_1)
	v_add_co_ci_u32_e32 v14, vcc_lo, s13, v14, vcc_lo
	s_waitcnt lgkmcnt(6)
	global_store_b32 v[13:14], v11, off
	s_or_b32 exec_lo, exec_lo, s1
	s_mov_b32 s1, exec_lo
	v_cmpx_gt_u32_e64 s11, v35
	s_cbranch_execnz .LBB1617_174
.LBB1617_143:
	s_or_b32 exec_lo, exec_lo, s1
	s_delay_alu instid0(SALU_CYCLE_1)
	s_mov_b32 s1, exec_lo
	v_cmpx_gt_u32_e64 s11, v31
	s_cbranch_execz .LBB1617_179
.LBB1617_144:
	s_mov_b32 s3, exec_lo
                                        ; implicit-def: $vgpr11_vgpr12
	v_cmpx_ge_u32_e64 v31, v16
	s_xor_b32 s3, exec_lo, s3
	s_cbranch_execz .LBB1617_146
; %bb.145:
	s_waitcnt lgkmcnt(6)
	v_xor_b32_e32 v11, 0xfffffdff, v0
                                        ; implicit-def: $vgpr31
	s_delay_alu instid0(VALU_DEP_1) | instskip(SKIP_1) | instid1(VALU_DEP_2)
	v_ashrrev_i32_e32 v12, 31, v11
	v_add_co_u32 v11, vcc_lo, v18, v11
	v_add_co_ci_u32_e32 v12, vcc_lo, v19, v12, vcc_lo
.LBB1617_146:
	s_and_not1_saveexec_b32 s3, s3
	s_cbranch_execz .LBB1617_148
; %bb.147:
	s_waitcnt lgkmcnt(6)
	v_add_co_u32 v11, vcc_lo, v15, v31
	v_add_co_ci_u32_e32 v12, vcc_lo, 0, v17, vcc_lo
.LBB1617_148:
	s_or_b32 exec_lo, exec_lo, s3
	s_waitcnt lgkmcnt(6)
	s_delay_alu instid0(VALU_DEP_1) | instskip(NEXT) | instid1(VALU_DEP_1)
	v_lshlrev_b64 v[11:12], 2, v[11:12]
	v_add_co_u32 v11, vcc_lo, s12, v11
	s_delay_alu instid0(VALU_DEP_2) | instskip(SKIP_3) | instid1(SALU_CYCLE_1)
	v_add_co_ci_u32_e32 v12, vcc_lo, s13, v12, vcc_lo
	s_waitcnt lgkmcnt(5)
	global_store_b32 v[11:12], v9, off
	s_or_b32 exec_lo, exec_lo, s1
	s_mov_b32 s1, exec_lo
	v_cmpx_gt_u32_e64 s11, v30
	s_cbranch_execnz .LBB1617_180
.LBB1617_149:
	s_or_b32 exec_lo, exec_lo, s1
	s_delay_alu instid0(SALU_CYCLE_1)
	s_mov_b32 s1, exec_lo
	v_cmpx_gt_u32_e64 s11, v29
	s_cbranch_execz .LBB1617_185
.LBB1617_150:
	s_mov_b32 s3, exec_lo
                                        ; implicit-def: $vgpr9_vgpr10
	v_cmpx_ge_u32_e64 v29, v16
	s_xor_b32 s3, exec_lo, s3
	s_cbranch_execz .LBB1617_152
; %bb.151:
	s_waitcnt lgkmcnt(5)
	v_xor_b32_e32 v9, 0xfffffbff, v0
                                        ; implicit-def: $vgpr29
	s_delay_alu instid0(VALU_DEP_1) | instskip(SKIP_1) | instid1(VALU_DEP_2)
	v_ashrrev_i32_e32 v10, 31, v9
	v_add_co_u32 v9, vcc_lo, v18, v9
	v_add_co_ci_u32_e32 v10, vcc_lo, v19, v10, vcc_lo
.LBB1617_152:
	s_and_not1_saveexec_b32 s3, s3
	s_cbranch_execz .LBB1617_154
; %bb.153:
	s_waitcnt lgkmcnt(5)
	v_add_co_u32 v9, vcc_lo, v15, v29
	v_add_co_ci_u32_e32 v10, vcc_lo, 0, v17, vcc_lo
.LBB1617_154:
	s_or_b32 exec_lo, exec_lo, s3
	s_waitcnt lgkmcnt(5)
	s_delay_alu instid0(VALU_DEP_1) | instskip(NEXT) | instid1(VALU_DEP_1)
	v_lshlrev_b64 v[9:10], 2, v[9:10]
	v_add_co_u32 v9, vcc_lo, s12, v9
	s_delay_alu instid0(VALU_DEP_2) | instskip(SKIP_3) | instid1(SALU_CYCLE_1)
	v_add_co_ci_u32_e32 v10, vcc_lo, s13, v10, vcc_lo
	s_waitcnt lgkmcnt(4)
	global_store_b32 v[9:10], v7, off
	s_or_b32 exec_lo, exec_lo, s1
	s_mov_b32 s1, exec_lo
	v_cmpx_gt_u32_e64 s11, v28
	s_cbranch_execnz .LBB1617_186
.LBB1617_155:
	s_or_b32 exec_lo, exec_lo, s1
	s_delay_alu instid0(SALU_CYCLE_1)
	s_mov_b32 s1, exec_lo
	v_cmpx_gt_u32_e64 s11, v27
	s_cbranch_execz .LBB1617_191
.LBB1617_156:
	s_mov_b32 s3, exec_lo
                                        ; implicit-def: $vgpr7_vgpr8
	v_cmpx_ge_u32_e64 v27, v16
	s_xor_b32 s3, exec_lo, s3
	s_cbranch_execz .LBB1617_158
; %bb.157:
	s_waitcnt lgkmcnt(4)
	v_xor_b32_e32 v7, 0xfffff9ff, v0
                                        ; implicit-def: $vgpr27
	s_delay_alu instid0(VALU_DEP_1) | instskip(SKIP_1) | instid1(VALU_DEP_2)
	v_ashrrev_i32_e32 v8, 31, v7
	v_add_co_u32 v7, vcc_lo, v18, v7
	v_add_co_ci_u32_e32 v8, vcc_lo, v19, v8, vcc_lo
.LBB1617_158:
	s_and_not1_saveexec_b32 s3, s3
	s_cbranch_execz .LBB1617_160
; %bb.159:
	s_waitcnt lgkmcnt(4)
	v_add_co_u32 v7, vcc_lo, v15, v27
	v_add_co_ci_u32_e32 v8, vcc_lo, 0, v17, vcc_lo
.LBB1617_160:
	s_or_b32 exec_lo, exec_lo, s3
	s_waitcnt lgkmcnt(4)
	s_delay_alu instid0(VALU_DEP_1) | instskip(NEXT) | instid1(VALU_DEP_1)
	v_lshlrev_b64 v[7:8], 2, v[7:8]
	v_add_co_u32 v7, vcc_lo, s12, v7
	s_delay_alu instid0(VALU_DEP_2) | instskip(SKIP_3) | instid1(SALU_CYCLE_1)
	v_add_co_ci_u32_e32 v8, vcc_lo, s13, v8, vcc_lo
	s_waitcnt lgkmcnt(3)
	global_store_b32 v[7:8], v5, off
	s_or_b32 exec_lo, exec_lo, s1
	s_mov_b32 s1, exec_lo
	v_cmpx_gt_u32_e64 s11, v26
	s_cbranch_execnz .LBB1617_192
.LBB1617_161:
	s_or_b32 exec_lo, exec_lo, s1
	s_delay_alu instid0(SALU_CYCLE_1)
	s_mov_b32 s1, exec_lo
	v_cmpx_gt_u32_e64 s11, v25
	s_cbranch_execz .LBB1617_197
.LBB1617_162:
	s_mov_b32 s3, exec_lo
                                        ; implicit-def: $vgpr5_vgpr6
	v_cmpx_ge_u32_e64 v25, v16
	s_xor_b32 s3, exec_lo, s3
	s_cbranch_execz .LBB1617_164
; %bb.163:
	s_waitcnt lgkmcnt(3)
	v_xor_b32_e32 v5, 0xfffff7ff, v0
                                        ; implicit-def: $vgpr25
	s_delay_alu instid0(VALU_DEP_1) | instskip(SKIP_1) | instid1(VALU_DEP_2)
	v_ashrrev_i32_e32 v6, 31, v5
	v_add_co_u32 v5, vcc_lo, v18, v5
	v_add_co_ci_u32_e32 v6, vcc_lo, v19, v6, vcc_lo
.LBB1617_164:
	s_and_not1_saveexec_b32 s3, s3
	s_cbranch_execz .LBB1617_166
; %bb.165:
	s_waitcnt lgkmcnt(3)
	v_add_co_u32 v5, vcc_lo, v15, v25
	v_add_co_ci_u32_e32 v6, vcc_lo, 0, v17, vcc_lo
.LBB1617_166:
	s_or_b32 exec_lo, exec_lo, s3
	s_waitcnt lgkmcnt(3)
	s_delay_alu instid0(VALU_DEP_1) | instskip(NEXT) | instid1(VALU_DEP_1)
	v_lshlrev_b64 v[5:6], 2, v[5:6]
	v_add_co_u32 v5, vcc_lo, s12, v5
	s_delay_alu instid0(VALU_DEP_2) | instskip(SKIP_3) | instid1(SALU_CYCLE_1)
	v_add_co_ci_u32_e32 v6, vcc_lo, s13, v6, vcc_lo
	s_waitcnt lgkmcnt(2)
	global_store_b32 v[5:6], v3, off
	s_or_b32 exec_lo, exec_lo, s1
	s_mov_b32 s1, exec_lo
	v_cmpx_gt_u32_e64 s11, v24
	s_cbranch_execnz .LBB1617_198
.LBB1617_167:
	s_or_b32 exec_lo, exec_lo, s1
	s_delay_alu instid0(SALU_CYCLE_1)
	s_mov_b32 s1, exec_lo
	v_cmpx_gt_u32_e64 s11, v23
	s_cbranch_execz .LBB1617_203
.LBB1617_168:
	s_mov_b32 s3, exec_lo
                                        ; implicit-def: $vgpr3_vgpr4
	v_cmpx_ge_u32_e64 v23, v16
	s_xor_b32 s3, exec_lo, s3
	s_cbranch_execz .LBB1617_170
; %bb.169:
	s_waitcnt lgkmcnt(2)
	v_xor_b32_e32 v3, 0xfffff5ff, v0
                                        ; implicit-def: $vgpr23
	s_delay_alu instid0(VALU_DEP_1) | instskip(SKIP_1) | instid1(VALU_DEP_2)
	v_ashrrev_i32_e32 v4, 31, v3
	v_add_co_u32 v3, vcc_lo, v18, v3
	v_add_co_ci_u32_e32 v4, vcc_lo, v19, v4, vcc_lo
.LBB1617_170:
	s_and_not1_saveexec_b32 s3, s3
	s_cbranch_execz .LBB1617_172
; %bb.171:
	s_waitcnt lgkmcnt(2)
	v_add_co_u32 v3, vcc_lo, v15, v23
	v_add_co_ci_u32_e32 v4, vcc_lo, 0, v17, vcc_lo
.LBB1617_172:
	s_or_b32 exec_lo, exec_lo, s3
	s_waitcnt lgkmcnt(2)
	s_delay_alu instid0(VALU_DEP_1) | instskip(NEXT) | instid1(VALU_DEP_1)
	v_lshlrev_b64 v[3:4], 2, v[3:4]
	v_add_co_u32 v3, vcc_lo, s12, v3
	s_delay_alu instid0(VALU_DEP_2) | instskip(SKIP_3) | instid1(SALU_CYCLE_1)
	v_add_co_ci_u32_e32 v4, vcc_lo, s13, v4, vcc_lo
	s_waitcnt lgkmcnt(1)
	global_store_b32 v[3:4], v1, off
	s_or_b32 exec_lo, exec_lo, s1
	s_mov_b32 s1, exec_lo
	v_cmpx_gt_u32_e64 s11, v22
	s_cbranch_execz .LBB1617_209
	s_branch .LBB1617_204
.LBB1617_173:
	s_or_b32 exec_lo, exec_lo, s1
	s_delay_alu instid0(SALU_CYCLE_1)
	s_mov_b32 s1, exec_lo
	v_cmpx_gt_u32_e64 s11, v35
	s_cbranch_execz .LBB1617_143
.LBB1617_174:
	s_mov_b32 s3, exec_lo
                                        ; implicit-def: $vgpr13_vgpr14
	v_cmpx_ge_u32_e64 v35, v16
	s_xor_b32 s3, exec_lo, s3
	s_cbranch_execz .LBB1617_176
; %bb.175:
	s_waitcnt lgkmcnt(6)
	v_xor_b32_e32 v11, 0xfffffeff, v0
                                        ; implicit-def: $vgpr35
	s_delay_alu instid0(VALU_DEP_1) | instskip(SKIP_1) | instid1(VALU_DEP_2)
	v_ashrrev_i32_e32 v14, 31, v11
	v_add_co_u32 v13, vcc_lo, v18, v11
	v_add_co_ci_u32_e32 v14, vcc_lo, v19, v14, vcc_lo
.LBB1617_176:
	s_and_not1_saveexec_b32 s3, s3
; %bb.177:
	v_add_co_u32 v13, vcc_lo, v15, v35
	v_add_co_ci_u32_e32 v14, vcc_lo, 0, v17, vcc_lo
; %bb.178:
	s_or_b32 exec_lo, exec_lo, s3
	s_delay_alu instid0(VALU_DEP_1) | instskip(NEXT) | instid1(VALU_DEP_1)
	v_lshlrev_b64 v[13:14], 2, v[13:14]
	v_add_co_u32 v13, vcc_lo, s12, v13
	s_delay_alu instid0(VALU_DEP_2) | instskip(SKIP_3) | instid1(SALU_CYCLE_1)
	v_add_co_ci_u32_e32 v14, vcc_lo, s13, v14, vcc_lo
	s_waitcnt lgkmcnt(6)
	global_store_b32 v[13:14], v12, off
	s_or_b32 exec_lo, exec_lo, s1
	s_mov_b32 s1, exec_lo
	v_cmpx_gt_u32_e64 s11, v31
	s_cbranch_execnz .LBB1617_144
.LBB1617_179:
	s_or_b32 exec_lo, exec_lo, s1
	s_delay_alu instid0(SALU_CYCLE_1)
	s_mov_b32 s1, exec_lo
	v_cmpx_gt_u32_e64 s11, v30
	s_cbranch_execz .LBB1617_149
.LBB1617_180:
	s_mov_b32 s3, exec_lo
                                        ; implicit-def: $vgpr11_vgpr12
	v_cmpx_ge_u32_e64 v30, v16
	s_xor_b32 s3, exec_lo, s3
	s_cbranch_execz .LBB1617_182
; %bb.181:
	s_waitcnt lgkmcnt(5)
	v_xor_b32_e32 v9, 0xfffffcff, v0
                                        ; implicit-def: $vgpr30
	s_delay_alu instid0(VALU_DEP_1) | instskip(SKIP_1) | instid1(VALU_DEP_2)
	v_ashrrev_i32_e32 v12, 31, v9
	v_add_co_u32 v11, vcc_lo, v18, v9
	v_add_co_ci_u32_e32 v12, vcc_lo, v19, v12, vcc_lo
.LBB1617_182:
	s_and_not1_saveexec_b32 s3, s3
	s_cbranch_execz .LBB1617_184
; %bb.183:
	s_waitcnt lgkmcnt(6)
	v_add_co_u32 v11, vcc_lo, v15, v30
	v_add_co_ci_u32_e32 v12, vcc_lo, 0, v17, vcc_lo
.LBB1617_184:
	s_or_b32 exec_lo, exec_lo, s3
	s_waitcnt lgkmcnt(6)
	s_delay_alu instid0(VALU_DEP_1) | instskip(NEXT) | instid1(VALU_DEP_1)
	v_lshlrev_b64 v[11:12], 2, v[11:12]
	v_add_co_u32 v11, vcc_lo, s12, v11
	s_delay_alu instid0(VALU_DEP_2) | instskip(SKIP_3) | instid1(SALU_CYCLE_1)
	v_add_co_ci_u32_e32 v12, vcc_lo, s13, v12, vcc_lo
	s_waitcnt lgkmcnt(5)
	global_store_b32 v[11:12], v10, off
	s_or_b32 exec_lo, exec_lo, s1
	s_mov_b32 s1, exec_lo
	v_cmpx_gt_u32_e64 s11, v29
	s_cbranch_execnz .LBB1617_150
.LBB1617_185:
	s_or_b32 exec_lo, exec_lo, s1
	s_delay_alu instid0(SALU_CYCLE_1)
	s_mov_b32 s1, exec_lo
	v_cmpx_gt_u32_e64 s11, v28
	s_cbranch_execz .LBB1617_155
.LBB1617_186:
	s_mov_b32 s3, exec_lo
                                        ; implicit-def: $vgpr9_vgpr10
	v_cmpx_ge_u32_e64 v28, v16
	s_xor_b32 s3, exec_lo, s3
	s_cbranch_execz .LBB1617_188
; %bb.187:
	s_waitcnt lgkmcnt(4)
	v_xor_b32_e32 v7, 0xfffffaff, v0
                                        ; implicit-def: $vgpr28
	s_delay_alu instid0(VALU_DEP_1) | instskip(SKIP_1) | instid1(VALU_DEP_2)
	v_ashrrev_i32_e32 v10, 31, v7
	v_add_co_u32 v9, vcc_lo, v18, v7
	v_add_co_ci_u32_e32 v10, vcc_lo, v19, v10, vcc_lo
.LBB1617_188:
	s_and_not1_saveexec_b32 s3, s3
	s_cbranch_execz .LBB1617_190
; %bb.189:
	s_waitcnt lgkmcnt(5)
	v_add_co_u32 v9, vcc_lo, v15, v28
	v_add_co_ci_u32_e32 v10, vcc_lo, 0, v17, vcc_lo
.LBB1617_190:
	s_or_b32 exec_lo, exec_lo, s3
	s_waitcnt lgkmcnt(5)
	s_delay_alu instid0(VALU_DEP_1) | instskip(NEXT) | instid1(VALU_DEP_1)
	v_lshlrev_b64 v[9:10], 2, v[9:10]
	v_add_co_u32 v9, vcc_lo, s12, v9
	s_delay_alu instid0(VALU_DEP_2) | instskip(SKIP_3) | instid1(SALU_CYCLE_1)
	v_add_co_ci_u32_e32 v10, vcc_lo, s13, v10, vcc_lo
	s_waitcnt lgkmcnt(4)
	global_store_b32 v[9:10], v8, off
	s_or_b32 exec_lo, exec_lo, s1
	s_mov_b32 s1, exec_lo
	v_cmpx_gt_u32_e64 s11, v27
	s_cbranch_execnz .LBB1617_156
.LBB1617_191:
	s_or_b32 exec_lo, exec_lo, s1
	s_delay_alu instid0(SALU_CYCLE_1)
	s_mov_b32 s1, exec_lo
	v_cmpx_gt_u32_e64 s11, v26
	s_cbranch_execz .LBB1617_161
.LBB1617_192:
	s_mov_b32 s3, exec_lo
                                        ; implicit-def: $vgpr7_vgpr8
	v_cmpx_ge_u32_e64 v26, v16
	s_xor_b32 s3, exec_lo, s3
	s_cbranch_execz .LBB1617_194
; %bb.193:
	s_waitcnt lgkmcnt(3)
	v_xor_b32_e32 v5, 0xfffff8ff, v0
                                        ; implicit-def: $vgpr26
	s_delay_alu instid0(VALU_DEP_1) | instskip(SKIP_1) | instid1(VALU_DEP_2)
	v_ashrrev_i32_e32 v8, 31, v5
	v_add_co_u32 v7, vcc_lo, v18, v5
	v_add_co_ci_u32_e32 v8, vcc_lo, v19, v8, vcc_lo
.LBB1617_194:
	s_and_not1_saveexec_b32 s3, s3
	s_cbranch_execz .LBB1617_196
; %bb.195:
	s_waitcnt lgkmcnt(4)
	v_add_co_u32 v7, vcc_lo, v15, v26
	v_add_co_ci_u32_e32 v8, vcc_lo, 0, v17, vcc_lo
.LBB1617_196:
	s_or_b32 exec_lo, exec_lo, s3
	s_waitcnt lgkmcnt(4)
	s_delay_alu instid0(VALU_DEP_1) | instskip(NEXT) | instid1(VALU_DEP_1)
	v_lshlrev_b64 v[7:8], 2, v[7:8]
	v_add_co_u32 v7, vcc_lo, s12, v7
	s_delay_alu instid0(VALU_DEP_2) | instskip(SKIP_3) | instid1(SALU_CYCLE_1)
	v_add_co_ci_u32_e32 v8, vcc_lo, s13, v8, vcc_lo
	s_waitcnt lgkmcnt(3)
	global_store_b32 v[7:8], v6, off
	s_or_b32 exec_lo, exec_lo, s1
	s_mov_b32 s1, exec_lo
	v_cmpx_gt_u32_e64 s11, v25
	s_cbranch_execnz .LBB1617_162
.LBB1617_197:
	s_or_b32 exec_lo, exec_lo, s1
	s_delay_alu instid0(SALU_CYCLE_1)
	s_mov_b32 s1, exec_lo
	v_cmpx_gt_u32_e64 s11, v24
	s_cbranch_execz .LBB1617_167
.LBB1617_198:
	s_mov_b32 s3, exec_lo
                                        ; implicit-def: $vgpr5_vgpr6
	v_cmpx_ge_u32_e64 v24, v16
	s_xor_b32 s3, exec_lo, s3
	s_cbranch_execz .LBB1617_200
; %bb.199:
	s_waitcnt lgkmcnt(2)
	v_xor_b32_e32 v3, 0xfffff6ff, v0
                                        ; implicit-def: $vgpr24
	s_delay_alu instid0(VALU_DEP_1) | instskip(SKIP_1) | instid1(VALU_DEP_2)
	v_ashrrev_i32_e32 v6, 31, v3
	v_add_co_u32 v5, vcc_lo, v18, v3
	v_add_co_ci_u32_e32 v6, vcc_lo, v19, v6, vcc_lo
.LBB1617_200:
	s_and_not1_saveexec_b32 s3, s3
	s_cbranch_execz .LBB1617_202
; %bb.201:
	s_waitcnt lgkmcnt(3)
	v_add_co_u32 v5, vcc_lo, v15, v24
	v_add_co_ci_u32_e32 v6, vcc_lo, 0, v17, vcc_lo
.LBB1617_202:
	s_or_b32 exec_lo, exec_lo, s3
	s_waitcnt lgkmcnt(3)
	s_delay_alu instid0(VALU_DEP_1) | instskip(NEXT) | instid1(VALU_DEP_1)
	v_lshlrev_b64 v[5:6], 2, v[5:6]
	v_add_co_u32 v5, vcc_lo, s12, v5
	s_delay_alu instid0(VALU_DEP_2) | instskip(SKIP_3) | instid1(SALU_CYCLE_1)
	v_add_co_ci_u32_e32 v6, vcc_lo, s13, v6, vcc_lo
	s_waitcnt lgkmcnt(2)
	global_store_b32 v[5:6], v4, off
	s_or_b32 exec_lo, exec_lo, s1
	s_mov_b32 s1, exec_lo
	v_cmpx_gt_u32_e64 s11, v23
	s_cbranch_execnz .LBB1617_168
.LBB1617_203:
	s_or_b32 exec_lo, exec_lo, s1
	s_delay_alu instid0(SALU_CYCLE_1)
	s_mov_b32 s1, exec_lo
	v_cmpx_gt_u32_e64 s11, v22
	s_cbranch_execz .LBB1617_209
.LBB1617_204:
	s_mov_b32 s3, exec_lo
                                        ; implicit-def: $vgpr3_vgpr4
	v_cmpx_ge_u32_e64 v22, v16
	s_xor_b32 s3, exec_lo, s3
	s_cbranch_execz .LBB1617_206
; %bb.205:
	s_waitcnt lgkmcnt(1)
	v_xor_b32_e32 v1, 0xfffff4ff, v0
                                        ; implicit-def: $vgpr22
	s_delay_alu instid0(VALU_DEP_1) | instskip(SKIP_1) | instid1(VALU_DEP_2)
	v_ashrrev_i32_e32 v4, 31, v1
	v_add_co_u32 v3, vcc_lo, v18, v1
	v_add_co_ci_u32_e32 v4, vcc_lo, v19, v4, vcc_lo
.LBB1617_206:
	s_and_not1_saveexec_b32 s3, s3
	s_cbranch_execz .LBB1617_208
; %bb.207:
	s_waitcnt lgkmcnt(2)
	v_add_co_u32 v3, vcc_lo, v15, v22
	v_add_co_ci_u32_e32 v4, vcc_lo, 0, v17, vcc_lo
.LBB1617_208:
	s_or_b32 exec_lo, exec_lo, s3
	s_waitcnt lgkmcnt(2)
	s_delay_alu instid0(VALU_DEP_1) | instskip(NEXT) | instid1(VALU_DEP_1)
	v_lshlrev_b64 v[3:4], 2, v[3:4]
	v_add_co_u32 v3, vcc_lo, s12, v3
	s_delay_alu instid0(VALU_DEP_2)
	v_add_co_ci_u32_e32 v4, vcc_lo, s13, v4, vcc_lo
	s_waitcnt lgkmcnt(1)
	global_store_b32 v[3:4], v2, off
.LBB1617_209:
	s_or_b32 exec_lo, exec_lo, s1
	s_delay_alu instid0(SALU_CYCLE_1)
	s_mov_b32 s1, exec_lo
                                        ; implicit-def: $vgpr13_vgpr14
	v_cmpx_gt_u32_e64 s11, v21
	s_cbranch_execz .LBB1617_215
; %bb.210:
	s_mov_b32 s3, exec_lo
                                        ; implicit-def: $vgpr13_vgpr14
	v_cmpx_ge_u32_e64 v21, v16
	s_xor_b32 s3, exec_lo, s3
	s_cbranch_execz .LBB1617_212
; %bb.211:
	v_xor_b32_e32 v0, 0xfffff3ff, v0
                                        ; implicit-def: $vgpr21
	s_waitcnt lgkmcnt(1)
	s_delay_alu instid0(VALU_DEP_1) | instskip(SKIP_1) | instid1(VALU_DEP_2)
	v_ashrrev_i32_e32 v1, 31, v0
	v_add_co_u32 v13, vcc_lo, v18, v0
	v_add_co_ci_u32_e32 v14, vcc_lo, v19, v1, vcc_lo
.LBB1617_212:
	s_and_not1_saveexec_b32 s3, s3
; %bb.213:
	v_add_co_u32 v13, vcc_lo, v15, v21
	v_add_co_ci_u32_e32 v14, vcc_lo, 0, v17, vcc_lo
; %bb.214:
	s_or_b32 exec_lo, exec_lo, s3
	s_delay_alu instid0(SALU_CYCLE_1)
	s_or_b32 s0, s0, exec_lo
.LBB1617_215:
	s_or_b32 exec_lo, exec_lo, s1
	s_and_saveexec_b32 s1, s0
	s_cbranch_execnz .LBB1617_134
.LBB1617_216:
	s_or_b32 exec_lo, exec_lo, s1
	s_and_b32 s0, s2, s10
	s_delay_alu instid0(SALU_CYCLE_1)
	s_and_saveexec_b32 s1, s0
	s_cbranch_execz .LBB1617_135
.LBB1617_217:
	v_add_co_u32 v0, vcc_lo, v15, v16
	s_waitcnt lgkmcnt(1)
	v_mov_b32_e32 v2, 0
	v_add_co_ci_u32_e32 v1, vcc_lo, 0, v17, vcc_lo
	global_store_b64 v2, v[0:1], s[8:9]
	s_nop 0
	s_sendmsg sendmsg(MSG_DEALLOC_VGPRS)
	s_endpgm
	.section	.rodata,"a",@progbits
	.p2align	6, 0x0
	.amdhsa_kernel _ZN7rocprim17ROCPRIM_400000_NS6detail17trampoline_kernelINS0_13select_configILj256ELj13ELNS0_17block_load_methodE3ELS4_3ELS4_3ELNS0_20block_scan_algorithmE0ELj4294967295EEENS1_25partition_config_selectorILNS1_17partition_subalgoE3EjNS0_10empty_typeEbEEZZNS1_14partition_implILS8_3ELb0ES6_jNS0_17counting_iteratorIjlEEPS9_SE_NS0_5tupleIJPjSE_EEENSF_IJSE_SE_EEES9_SG_JZNS1_25segmented_radix_sort_implINS0_14default_configELb0EPKbPbPKlPlN2at6native12_GLOBAL__N_18offset_tEEE10hipError_tPvRmT1_PNSt15iterator_traitsISY_E10value_typeET2_T3_PNSZ_IS14_E10value_typeET4_jRbjT5_S1A_jjP12ihipStream_tbEUljE_EEESV_SW_SX_S14_S18_S1A_T6_T7_T9_mT8_S1C_bDpT10_ENKUlT_T0_E_clISt17integral_constantIbLb1EES1P_EEDaS1K_S1L_EUlS1K_E_NS1_11comp_targetILNS1_3genE9ELNS1_11target_archE1100ELNS1_3gpuE3ELNS1_3repE0EEENS1_30default_config_static_selectorELNS0_4arch9wavefront6targetE0EEEvSY_
		.amdhsa_group_segment_fixed_size 13324
		.amdhsa_private_segment_fixed_size 0
		.amdhsa_kernarg_size 152
		.amdhsa_user_sgpr_count 15
		.amdhsa_user_sgpr_dispatch_ptr 0
		.amdhsa_user_sgpr_queue_ptr 0
		.amdhsa_user_sgpr_kernarg_segment_ptr 1
		.amdhsa_user_sgpr_dispatch_id 0
		.amdhsa_user_sgpr_private_segment_size 0
		.amdhsa_wavefront_size32 1
		.amdhsa_uses_dynamic_stack 0
		.amdhsa_enable_private_segment 0
		.amdhsa_system_sgpr_workgroup_id_x 1
		.amdhsa_system_sgpr_workgroup_id_y 0
		.amdhsa_system_sgpr_workgroup_id_z 0
		.amdhsa_system_sgpr_workgroup_info 0
		.amdhsa_system_vgpr_workitem_id 0
		.amdhsa_next_free_vgpr 60
		.amdhsa_next_free_sgpr 26
		.amdhsa_reserve_vcc 1
		.amdhsa_float_round_mode_32 0
		.amdhsa_float_round_mode_16_64 0
		.amdhsa_float_denorm_mode_32 3
		.amdhsa_float_denorm_mode_16_64 3
		.amdhsa_dx10_clamp 1
		.amdhsa_ieee_mode 1
		.amdhsa_fp16_overflow 0
		.amdhsa_workgroup_processor_mode 1
		.amdhsa_memory_ordered 1
		.amdhsa_forward_progress 0
		.amdhsa_shared_vgpr_count 0
		.amdhsa_exception_fp_ieee_invalid_op 0
		.amdhsa_exception_fp_denorm_src 0
		.amdhsa_exception_fp_ieee_div_zero 0
		.amdhsa_exception_fp_ieee_overflow 0
		.amdhsa_exception_fp_ieee_underflow 0
		.amdhsa_exception_fp_ieee_inexact 0
		.amdhsa_exception_int_div_zero 0
	.end_amdhsa_kernel
	.section	.text._ZN7rocprim17ROCPRIM_400000_NS6detail17trampoline_kernelINS0_13select_configILj256ELj13ELNS0_17block_load_methodE3ELS4_3ELS4_3ELNS0_20block_scan_algorithmE0ELj4294967295EEENS1_25partition_config_selectorILNS1_17partition_subalgoE3EjNS0_10empty_typeEbEEZZNS1_14partition_implILS8_3ELb0ES6_jNS0_17counting_iteratorIjlEEPS9_SE_NS0_5tupleIJPjSE_EEENSF_IJSE_SE_EEES9_SG_JZNS1_25segmented_radix_sort_implINS0_14default_configELb0EPKbPbPKlPlN2at6native12_GLOBAL__N_18offset_tEEE10hipError_tPvRmT1_PNSt15iterator_traitsISY_E10value_typeET2_T3_PNSZ_IS14_E10value_typeET4_jRbjT5_S1A_jjP12ihipStream_tbEUljE_EEESV_SW_SX_S14_S18_S1A_T6_T7_T9_mT8_S1C_bDpT10_ENKUlT_T0_E_clISt17integral_constantIbLb1EES1P_EEDaS1K_S1L_EUlS1K_E_NS1_11comp_targetILNS1_3genE9ELNS1_11target_archE1100ELNS1_3gpuE3ELNS1_3repE0EEENS1_30default_config_static_selectorELNS0_4arch9wavefront6targetE0EEEvSY_,"axG",@progbits,_ZN7rocprim17ROCPRIM_400000_NS6detail17trampoline_kernelINS0_13select_configILj256ELj13ELNS0_17block_load_methodE3ELS4_3ELS4_3ELNS0_20block_scan_algorithmE0ELj4294967295EEENS1_25partition_config_selectorILNS1_17partition_subalgoE3EjNS0_10empty_typeEbEEZZNS1_14partition_implILS8_3ELb0ES6_jNS0_17counting_iteratorIjlEEPS9_SE_NS0_5tupleIJPjSE_EEENSF_IJSE_SE_EEES9_SG_JZNS1_25segmented_radix_sort_implINS0_14default_configELb0EPKbPbPKlPlN2at6native12_GLOBAL__N_18offset_tEEE10hipError_tPvRmT1_PNSt15iterator_traitsISY_E10value_typeET2_T3_PNSZ_IS14_E10value_typeET4_jRbjT5_S1A_jjP12ihipStream_tbEUljE_EEESV_SW_SX_S14_S18_S1A_T6_T7_T9_mT8_S1C_bDpT10_ENKUlT_T0_E_clISt17integral_constantIbLb1EES1P_EEDaS1K_S1L_EUlS1K_E_NS1_11comp_targetILNS1_3genE9ELNS1_11target_archE1100ELNS1_3gpuE3ELNS1_3repE0EEENS1_30default_config_static_selectorELNS0_4arch9wavefront6targetE0EEEvSY_,comdat
.Lfunc_end1617:
	.size	_ZN7rocprim17ROCPRIM_400000_NS6detail17trampoline_kernelINS0_13select_configILj256ELj13ELNS0_17block_load_methodE3ELS4_3ELS4_3ELNS0_20block_scan_algorithmE0ELj4294967295EEENS1_25partition_config_selectorILNS1_17partition_subalgoE3EjNS0_10empty_typeEbEEZZNS1_14partition_implILS8_3ELb0ES6_jNS0_17counting_iteratorIjlEEPS9_SE_NS0_5tupleIJPjSE_EEENSF_IJSE_SE_EEES9_SG_JZNS1_25segmented_radix_sort_implINS0_14default_configELb0EPKbPbPKlPlN2at6native12_GLOBAL__N_18offset_tEEE10hipError_tPvRmT1_PNSt15iterator_traitsISY_E10value_typeET2_T3_PNSZ_IS14_E10value_typeET4_jRbjT5_S1A_jjP12ihipStream_tbEUljE_EEESV_SW_SX_S14_S18_S1A_T6_T7_T9_mT8_S1C_bDpT10_ENKUlT_T0_E_clISt17integral_constantIbLb1EES1P_EEDaS1K_S1L_EUlS1K_E_NS1_11comp_targetILNS1_3genE9ELNS1_11target_archE1100ELNS1_3gpuE3ELNS1_3repE0EEENS1_30default_config_static_selectorELNS0_4arch9wavefront6targetE0EEEvSY_, .Lfunc_end1617-_ZN7rocprim17ROCPRIM_400000_NS6detail17trampoline_kernelINS0_13select_configILj256ELj13ELNS0_17block_load_methodE3ELS4_3ELS4_3ELNS0_20block_scan_algorithmE0ELj4294967295EEENS1_25partition_config_selectorILNS1_17partition_subalgoE3EjNS0_10empty_typeEbEEZZNS1_14partition_implILS8_3ELb0ES6_jNS0_17counting_iteratorIjlEEPS9_SE_NS0_5tupleIJPjSE_EEENSF_IJSE_SE_EEES9_SG_JZNS1_25segmented_radix_sort_implINS0_14default_configELb0EPKbPbPKlPlN2at6native12_GLOBAL__N_18offset_tEEE10hipError_tPvRmT1_PNSt15iterator_traitsISY_E10value_typeET2_T3_PNSZ_IS14_E10value_typeET4_jRbjT5_S1A_jjP12ihipStream_tbEUljE_EEESV_SW_SX_S14_S18_S1A_T6_T7_T9_mT8_S1C_bDpT10_ENKUlT_T0_E_clISt17integral_constantIbLb1EES1P_EEDaS1K_S1L_EUlS1K_E_NS1_11comp_targetILNS1_3genE9ELNS1_11target_archE1100ELNS1_3gpuE3ELNS1_3repE0EEENS1_30default_config_static_selectorELNS0_4arch9wavefront6targetE0EEEvSY_
                                        ; -- End function
	.section	.AMDGPU.csdata,"",@progbits
; Kernel info:
; codeLenInByte = 9140
; NumSgprs: 28
; NumVgprs: 60
; ScratchSize: 0
; MemoryBound: 0
; FloatMode: 240
; IeeeMode: 1
; LDSByteSize: 13324 bytes/workgroup (compile time only)
; SGPRBlocks: 3
; VGPRBlocks: 7
; NumSGPRsForWavesPerEU: 28
; NumVGPRsForWavesPerEU: 60
; Occupancy: 16
; WaveLimiterHint : 0
; COMPUTE_PGM_RSRC2:SCRATCH_EN: 0
; COMPUTE_PGM_RSRC2:USER_SGPR: 15
; COMPUTE_PGM_RSRC2:TRAP_HANDLER: 0
; COMPUTE_PGM_RSRC2:TGID_X_EN: 1
; COMPUTE_PGM_RSRC2:TGID_Y_EN: 0
; COMPUTE_PGM_RSRC2:TGID_Z_EN: 0
; COMPUTE_PGM_RSRC2:TIDIG_COMP_CNT: 0
	.section	.text._ZN7rocprim17ROCPRIM_400000_NS6detail17trampoline_kernelINS0_13select_configILj256ELj13ELNS0_17block_load_methodE3ELS4_3ELS4_3ELNS0_20block_scan_algorithmE0ELj4294967295EEENS1_25partition_config_selectorILNS1_17partition_subalgoE3EjNS0_10empty_typeEbEEZZNS1_14partition_implILS8_3ELb0ES6_jNS0_17counting_iteratorIjlEEPS9_SE_NS0_5tupleIJPjSE_EEENSF_IJSE_SE_EEES9_SG_JZNS1_25segmented_radix_sort_implINS0_14default_configELb0EPKbPbPKlPlN2at6native12_GLOBAL__N_18offset_tEEE10hipError_tPvRmT1_PNSt15iterator_traitsISY_E10value_typeET2_T3_PNSZ_IS14_E10value_typeET4_jRbjT5_S1A_jjP12ihipStream_tbEUljE_EEESV_SW_SX_S14_S18_S1A_T6_T7_T9_mT8_S1C_bDpT10_ENKUlT_T0_E_clISt17integral_constantIbLb1EES1P_EEDaS1K_S1L_EUlS1K_E_NS1_11comp_targetILNS1_3genE8ELNS1_11target_archE1030ELNS1_3gpuE2ELNS1_3repE0EEENS1_30default_config_static_selectorELNS0_4arch9wavefront6targetE0EEEvSY_,"axG",@progbits,_ZN7rocprim17ROCPRIM_400000_NS6detail17trampoline_kernelINS0_13select_configILj256ELj13ELNS0_17block_load_methodE3ELS4_3ELS4_3ELNS0_20block_scan_algorithmE0ELj4294967295EEENS1_25partition_config_selectorILNS1_17partition_subalgoE3EjNS0_10empty_typeEbEEZZNS1_14partition_implILS8_3ELb0ES6_jNS0_17counting_iteratorIjlEEPS9_SE_NS0_5tupleIJPjSE_EEENSF_IJSE_SE_EEES9_SG_JZNS1_25segmented_radix_sort_implINS0_14default_configELb0EPKbPbPKlPlN2at6native12_GLOBAL__N_18offset_tEEE10hipError_tPvRmT1_PNSt15iterator_traitsISY_E10value_typeET2_T3_PNSZ_IS14_E10value_typeET4_jRbjT5_S1A_jjP12ihipStream_tbEUljE_EEESV_SW_SX_S14_S18_S1A_T6_T7_T9_mT8_S1C_bDpT10_ENKUlT_T0_E_clISt17integral_constantIbLb1EES1P_EEDaS1K_S1L_EUlS1K_E_NS1_11comp_targetILNS1_3genE8ELNS1_11target_archE1030ELNS1_3gpuE2ELNS1_3repE0EEENS1_30default_config_static_selectorELNS0_4arch9wavefront6targetE0EEEvSY_,comdat
	.globl	_ZN7rocprim17ROCPRIM_400000_NS6detail17trampoline_kernelINS0_13select_configILj256ELj13ELNS0_17block_load_methodE3ELS4_3ELS4_3ELNS0_20block_scan_algorithmE0ELj4294967295EEENS1_25partition_config_selectorILNS1_17partition_subalgoE3EjNS0_10empty_typeEbEEZZNS1_14partition_implILS8_3ELb0ES6_jNS0_17counting_iteratorIjlEEPS9_SE_NS0_5tupleIJPjSE_EEENSF_IJSE_SE_EEES9_SG_JZNS1_25segmented_radix_sort_implINS0_14default_configELb0EPKbPbPKlPlN2at6native12_GLOBAL__N_18offset_tEEE10hipError_tPvRmT1_PNSt15iterator_traitsISY_E10value_typeET2_T3_PNSZ_IS14_E10value_typeET4_jRbjT5_S1A_jjP12ihipStream_tbEUljE_EEESV_SW_SX_S14_S18_S1A_T6_T7_T9_mT8_S1C_bDpT10_ENKUlT_T0_E_clISt17integral_constantIbLb1EES1P_EEDaS1K_S1L_EUlS1K_E_NS1_11comp_targetILNS1_3genE8ELNS1_11target_archE1030ELNS1_3gpuE2ELNS1_3repE0EEENS1_30default_config_static_selectorELNS0_4arch9wavefront6targetE0EEEvSY_ ; -- Begin function _ZN7rocprim17ROCPRIM_400000_NS6detail17trampoline_kernelINS0_13select_configILj256ELj13ELNS0_17block_load_methodE3ELS4_3ELS4_3ELNS0_20block_scan_algorithmE0ELj4294967295EEENS1_25partition_config_selectorILNS1_17partition_subalgoE3EjNS0_10empty_typeEbEEZZNS1_14partition_implILS8_3ELb0ES6_jNS0_17counting_iteratorIjlEEPS9_SE_NS0_5tupleIJPjSE_EEENSF_IJSE_SE_EEES9_SG_JZNS1_25segmented_radix_sort_implINS0_14default_configELb0EPKbPbPKlPlN2at6native12_GLOBAL__N_18offset_tEEE10hipError_tPvRmT1_PNSt15iterator_traitsISY_E10value_typeET2_T3_PNSZ_IS14_E10value_typeET4_jRbjT5_S1A_jjP12ihipStream_tbEUljE_EEESV_SW_SX_S14_S18_S1A_T6_T7_T9_mT8_S1C_bDpT10_ENKUlT_T0_E_clISt17integral_constantIbLb1EES1P_EEDaS1K_S1L_EUlS1K_E_NS1_11comp_targetILNS1_3genE8ELNS1_11target_archE1030ELNS1_3gpuE2ELNS1_3repE0EEENS1_30default_config_static_selectorELNS0_4arch9wavefront6targetE0EEEvSY_
	.p2align	8
	.type	_ZN7rocprim17ROCPRIM_400000_NS6detail17trampoline_kernelINS0_13select_configILj256ELj13ELNS0_17block_load_methodE3ELS4_3ELS4_3ELNS0_20block_scan_algorithmE0ELj4294967295EEENS1_25partition_config_selectorILNS1_17partition_subalgoE3EjNS0_10empty_typeEbEEZZNS1_14partition_implILS8_3ELb0ES6_jNS0_17counting_iteratorIjlEEPS9_SE_NS0_5tupleIJPjSE_EEENSF_IJSE_SE_EEES9_SG_JZNS1_25segmented_radix_sort_implINS0_14default_configELb0EPKbPbPKlPlN2at6native12_GLOBAL__N_18offset_tEEE10hipError_tPvRmT1_PNSt15iterator_traitsISY_E10value_typeET2_T3_PNSZ_IS14_E10value_typeET4_jRbjT5_S1A_jjP12ihipStream_tbEUljE_EEESV_SW_SX_S14_S18_S1A_T6_T7_T9_mT8_S1C_bDpT10_ENKUlT_T0_E_clISt17integral_constantIbLb1EES1P_EEDaS1K_S1L_EUlS1K_E_NS1_11comp_targetILNS1_3genE8ELNS1_11target_archE1030ELNS1_3gpuE2ELNS1_3repE0EEENS1_30default_config_static_selectorELNS0_4arch9wavefront6targetE0EEEvSY_,@function
_ZN7rocprim17ROCPRIM_400000_NS6detail17trampoline_kernelINS0_13select_configILj256ELj13ELNS0_17block_load_methodE3ELS4_3ELS4_3ELNS0_20block_scan_algorithmE0ELj4294967295EEENS1_25partition_config_selectorILNS1_17partition_subalgoE3EjNS0_10empty_typeEbEEZZNS1_14partition_implILS8_3ELb0ES6_jNS0_17counting_iteratorIjlEEPS9_SE_NS0_5tupleIJPjSE_EEENSF_IJSE_SE_EEES9_SG_JZNS1_25segmented_radix_sort_implINS0_14default_configELb0EPKbPbPKlPlN2at6native12_GLOBAL__N_18offset_tEEE10hipError_tPvRmT1_PNSt15iterator_traitsISY_E10value_typeET2_T3_PNSZ_IS14_E10value_typeET4_jRbjT5_S1A_jjP12ihipStream_tbEUljE_EEESV_SW_SX_S14_S18_S1A_T6_T7_T9_mT8_S1C_bDpT10_ENKUlT_T0_E_clISt17integral_constantIbLb1EES1P_EEDaS1K_S1L_EUlS1K_E_NS1_11comp_targetILNS1_3genE8ELNS1_11target_archE1030ELNS1_3gpuE2ELNS1_3repE0EEENS1_30default_config_static_selectorELNS0_4arch9wavefront6targetE0EEEvSY_: ; @_ZN7rocprim17ROCPRIM_400000_NS6detail17trampoline_kernelINS0_13select_configILj256ELj13ELNS0_17block_load_methodE3ELS4_3ELS4_3ELNS0_20block_scan_algorithmE0ELj4294967295EEENS1_25partition_config_selectorILNS1_17partition_subalgoE3EjNS0_10empty_typeEbEEZZNS1_14partition_implILS8_3ELb0ES6_jNS0_17counting_iteratorIjlEEPS9_SE_NS0_5tupleIJPjSE_EEENSF_IJSE_SE_EEES9_SG_JZNS1_25segmented_radix_sort_implINS0_14default_configELb0EPKbPbPKlPlN2at6native12_GLOBAL__N_18offset_tEEE10hipError_tPvRmT1_PNSt15iterator_traitsISY_E10value_typeET2_T3_PNSZ_IS14_E10value_typeET4_jRbjT5_S1A_jjP12ihipStream_tbEUljE_EEESV_SW_SX_S14_S18_S1A_T6_T7_T9_mT8_S1C_bDpT10_ENKUlT_T0_E_clISt17integral_constantIbLb1EES1P_EEDaS1K_S1L_EUlS1K_E_NS1_11comp_targetILNS1_3genE8ELNS1_11target_archE1030ELNS1_3gpuE2ELNS1_3repE0EEENS1_30default_config_static_selectorELNS0_4arch9wavefront6targetE0EEEvSY_
; %bb.0:
	.section	.rodata,"a",@progbits
	.p2align	6, 0x0
	.amdhsa_kernel _ZN7rocprim17ROCPRIM_400000_NS6detail17trampoline_kernelINS0_13select_configILj256ELj13ELNS0_17block_load_methodE3ELS4_3ELS4_3ELNS0_20block_scan_algorithmE0ELj4294967295EEENS1_25partition_config_selectorILNS1_17partition_subalgoE3EjNS0_10empty_typeEbEEZZNS1_14partition_implILS8_3ELb0ES6_jNS0_17counting_iteratorIjlEEPS9_SE_NS0_5tupleIJPjSE_EEENSF_IJSE_SE_EEES9_SG_JZNS1_25segmented_radix_sort_implINS0_14default_configELb0EPKbPbPKlPlN2at6native12_GLOBAL__N_18offset_tEEE10hipError_tPvRmT1_PNSt15iterator_traitsISY_E10value_typeET2_T3_PNSZ_IS14_E10value_typeET4_jRbjT5_S1A_jjP12ihipStream_tbEUljE_EEESV_SW_SX_S14_S18_S1A_T6_T7_T9_mT8_S1C_bDpT10_ENKUlT_T0_E_clISt17integral_constantIbLb1EES1P_EEDaS1K_S1L_EUlS1K_E_NS1_11comp_targetILNS1_3genE8ELNS1_11target_archE1030ELNS1_3gpuE2ELNS1_3repE0EEENS1_30default_config_static_selectorELNS0_4arch9wavefront6targetE0EEEvSY_
		.amdhsa_group_segment_fixed_size 0
		.amdhsa_private_segment_fixed_size 0
		.amdhsa_kernarg_size 152
		.amdhsa_user_sgpr_count 15
		.amdhsa_user_sgpr_dispatch_ptr 0
		.amdhsa_user_sgpr_queue_ptr 0
		.amdhsa_user_sgpr_kernarg_segment_ptr 1
		.amdhsa_user_sgpr_dispatch_id 0
		.amdhsa_user_sgpr_private_segment_size 0
		.amdhsa_wavefront_size32 1
		.amdhsa_uses_dynamic_stack 0
		.amdhsa_enable_private_segment 0
		.amdhsa_system_sgpr_workgroup_id_x 1
		.amdhsa_system_sgpr_workgroup_id_y 0
		.amdhsa_system_sgpr_workgroup_id_z 0
		.amdhsa_system_sgpr_workgroup_info 0
		.amdhsa_system_vgpr_workitem_id 0
		.amdhsa_next_free_vgpr 1
		.amdhsa_next_free_sgpr 1
		.amdhsa_reserve_vcc 0
		.amdhsa_float_round_mode_32 0
		.amdhsa_float_round_mode_16_64 0
		.amdhsa_float_denorm_mode_32 3
		.amdhsa_float_denorm_mode_16_64 3
		.amdhsa_dx10_clamp 1
		.amdhsa_ieee_mode 1
		.amdhsa_fp16_overflow 0
		.amdhsa_workgroup_processor_mode 1
		.amdhsa_memory_ordered 1
		.amdhsa_forward_progress 0
		.amdhsa_shared_vgpr_count 0
		.amdhsa_exception_fp_ieee_invalid_op 0
		.amdhsa_exception_fp_denorm_src 0
		.amdhsa_exception_fp_ieee_div_zero 0
		.amdhsa_exception_fp_ieee_overflow 0
		.amdhsa_exception_fp_ieee_underflow 0
		.amdhsa_exception_fp_ieee_inexact 0
		.amdhsa_exception_int_div_zero 0
	.end_amdhsa_kernel
	.section	.text._ZN7rocprim17ROCPRIM_400000_NS6detail17trampoline_kernelINS0_13select_configILj256ELj13ELNS0_17block_load_methodE3ELS4_3ELS4_3ELNS0_20block_scan_algorithmE0ELj4294967295EEENS1_25partition_config_selectorILNS1_17partition_subalgoE3EjNS0_10empty_typeEbEEZZNS1_14partition_implILS8_3ELb0ES6_jNS0_17counting_iteratorIjlEEPS9_SE_NS0_5tupleIJPjSE_EEENSF_IJSE_SE_EEES9_SG_JZNS1_25segmented_radix_sort_implINS0_14default_configELb0EPKbPbPKlPlN2at6native12_GLOBAL__N_18offset_tEEE10hipError_tPvRmT1_PNSt15iterator_traitsISY_E10value_typeET2_T3_PNSZ_IS14_E10value_typeET4_jRbjT5_S1A_jjP12ihipStream_tbEUljE_EEESV_SW_SX_S14_S18_S1A_T6_T7_T9_mT8_S1C_bDpT10_ENKUlT_T0_E_clISt17integral_constantIbLb1EES1P_EEDaS1K_S1L_EUlS1K_E_NS1_11comp_targetILNS1_3genE8ELNS1_11target_archE1030ELNS1_3gpuE2ELNS1_3repE0EEENS1_30default_config_static_selectorELNS0_4arch9wavefront6targetE0EEEvSY_,"axG",@progbits,_ZN7rocprim17ROCPRIM_400000_NS6detail17trampoline_kernelINS0_13select_configILj256ELj13ELNS0_17block_load_methodE3ELS4_3ELS4_3ELNS0_20block_scan_algorithmE0ELj4294967295EEENS1_25partition_config_selectorILNS1_17partition_subalgoE3EjNS0_10empty_typeEbEEZZNS1_14partition_implILS8_3ELb0ES6_jNS0_17counting_iteratorIjlEEPS9_SE_NS0_5tupleIJPjSE_EEENSF_IJSE_SE_EEES9_SG_JZNS1_25segmented_radix_sort_implINS0_14default_configELb0EPKbPbPKlPlN2at6native12_GLOBAL__N_18offset_tEEE10hipError_tPvRmT1_PNSt15iterator_traitsISY_E10value_typeET2_T3_PNSZ_IS14_E10value_typeET4_jRbjT5_S1A_jjP12ihipStream_tbEUljE_EEESV_SW_SX_S14_S18_S1A_T6_T7_T9_mT8_S1C_bDpT10_ENKUlT_T0_E_clISt17integral_constantIbLb1EES1P_EEDaS1K_S1L_EUlS1K_E_NS1_11comp_targetILNS1_3genE8ELNS1_11target_archE1030ELNS1_3gpuE2ELNS1_3repE0EEENS1_30default_config_static_selectorELNS0_4arch9wavefront6targetE0EEEvSY_,comdat
.Lfunc_end1618:
	.size	_ZN7rocprim17ROCPRIM_400000_NS6detail17trampoline_kernelINS0_13select_configILj256ELj13ELNS0_17block_load_methodE3ELS4_3ELS4_3ELNS0_20block_scan_algorithmE0ELj4294967295EEENS1_25partition_config_selectorILNS1_17partition_subalgoE3EjNS0_10empty_typeEbEEZZNS1_14partition_implILS8_3ELb0ES6_jNS0_17counting_iteratorIjlEEPS9_SE_NS0_5tupleIJPjSE_EEENSF_IJSE_SE_EEES9_SG_JZNS1_25segmented_radix_sort_implINS0_14default_configELb0EPKbPbPKlPlN2at6native12_GLOBAL__N_18offset_tEEE10hipError_tPvRmT1_PNSt15iterator_traitsISY_E10value_typeET2_T3_PNSZ_IS14_E10value_typeET4_jRbjT5_S1A_jjP12ihipStream_tbEUljE_EEESV_SW_SX_S14_S18_S1A_T6_T7_T9_mT8_S1C_bDpT10_ENKUlT_T0_E_clISt17integral_constantIbLb1EES1P_EEDaS1K_S1L_EUlS1K_E_NS1_11comp_targetILNS1_3genE8ELNS1_11target_archE1030ELNS1_3gpuE2ELNS1_3repE0EEENS1_30default_config_static_selectorELNS0_4arch9wavefront6targetE0EEEvSY_, .Lfunc_end1618-_ZN7rocprim17ROCPRIM_400000_NS6detail17trampoline_kernelINS0_13select_configILj256ELj13ELNS0_17block_load_methodE3ELS4_3ELS4_3ELNS0_20block_scan_algorithmE0ELj4294967295EEENS1_25partition_config_selectorILNS1_17partition_subalgoE3EjNS0_10empty_typeEbEEZZNS1_14partition_implILS8_3ELb0ES6_jNS0_17counting_iteratorIjlEEPS9_SE_NS0_5tupleIJPjSE_EEENSF_IJSE_SE_EEES9_SG_JZNS1_25segmented_radix_sort_implINS0_14default_configELb0EPKbPbPKlPlN2at6native12_GLOBAL__N_18offset_tEEE10hipError_tPvRmT1_PNSt15iterator_traitsISY_E10value_typeET2_T3_PNSZ_IS14_E10value_typeET4_jRbjT5_S1A_jjP12ihipStream_tbEUljE_EEESV_SW_SX_S14_S18_S1A_T6_T7_T9_mT8_S1C_bDpT10_ENKUlT_T0_E_clISt17integral_constantIbLb1EES1P_EEDaS1K_S1L_EUlS1K_E_NS1_11comp_targetILNS1_3genE8ELNS1_11target_archE1030ELNS1_3gpuE2ELNS1_3repE0EEENS1_30default_config_static_selectorELNS0_4arch9wavefront6targetE0EEEvSY_
                                        ; -- End function
	.section	.AMDGPU.csdata,"",@progbits
; Kernel info:
; codeLenInByte = 0
; NumSgprs: 0
; NumVgprs: 0
; ScratchSize: 0
; MemoryBound: 0
; FloatMode: 240
; IeeeMode: 1
; LDSByteSize: 0 bytes/workgroup (compile time only)
; SGPRBlocks: 0
; VGPRBlocks: 0
; NumSGPRsForWavesPerEU: 1
; NumVGPRsForWavesPerEU: 1
; Occupancy: 16
; WaveLimiterHint : 0
; COMPUTE_PGM_RSRC2:SCRATCH_EN: 0
; COMPUTE_PGM_RSRC2:USER_SGPR: 15
; COMPUTE_PGM_RSRC2:TRAP_HANDLER: 0
; COMPUTE_PGM_RSRC2:TGID_X_EN: 1
; COMPUTE_PGM_RSRC2:TGID_Y_EN: 0
; COMPUTE_PGM_RSRC2:TGID_Z_EN: 0
; COMPUTE_PGM_RSRC2:TIDIG_COMP_CNT: 0
	.section	.text._ZN7rocprim17ROCPRIM_400000_NS6detail17trampoline_kernelINS0_13select_configILj256ELj13ELNS0_17block_load_methodE3ELS4_3ELS4_3ELNS0_20block_scan_algorithmE0ELj4294967295EEENS1_25partition_config_selectorILNS1_17partition_subalgoE3EjNS0_10empty_typeEbEEZZNS1_14partition_implILS8_3ELb0ES6_jNS0_17counting_iteratorIjlEEPS9_SE_NS0_5tupleIJPjSE_EEENSF_IJSE_SE_EEES9_SG_JZNS1_25segmented_radix_sort_implINS0_14default_configELb0EPKbPbPKlPlN2at6native12_GLOBAL__N_18offset_tEEE10hipError_tPvRmT1_PNSt15iterator_traitsISY_E10value_typeET2_T3_PNSZ_IS14_E10value_typeET4_jRbjT5_S1A_jjP12ihipStream_tbEUljE_EEESV_SW_SX_S14_S18_S1A_T6_T7_T9_mT8_S1C_bDpT10_ENKUlT_T0_E_clISt17integral_constantIbLb1EES1O_IbLb0EEEEDaS1K_S1L_EUlS1K_E_NS1_11comp_targetILNS1_3genE0ELNS1_11target_archE4294967295ELNS1_3gpuE0ELNS1_3repE0EEENS1_30default_config_static_selectorELNS0_4arch9wavefront6targetE0EEEvSY_,"axG",@progbits,_ZN7rocprim17ROCPRIM_400000_NS6detail17trampoline_kernelINS0_13select_configILj256ELj13ELNS0_17block_load_methodE3ELS4_3ELS4_3ELNS0_20block_scan_algorithmE0ELj4294967295EEENS1_25partition_config_selectorILNS1_17partition_subalgoE3EjNS0_10empty_typeEbEEZZNS1_14partition_implILS8_3ELb0ES6_jNS0_17counting_iteratorIjlEEPS9_SE_NS0_5tupleIJPjSE_EEENSF_IJSE_SE_EEES9_SG_JZNS1_25segmented_radix_sort_implINS0_14default_configELb0EPKbPbPKlPlN2at6native12_GLOBAL__N_18offset_tEEE10hipError_tPvRmT1_PNSt15iterator_traitsISY_E10value_typeET2_T3_PNSZ_IS14_E10value_typeET4_jRbjT5_S1A_jjP12ihipStream_tbEUljE_EEESV_SW_SX_S14_S18_S1A_T6_T7_T9_mT8_S1C_bDpT10_ENKUlT_T0_E_clISt17integral_constantIbLb1EES1O_IbLb0EEEEDaS1K_S1L_EUlS1K_E_NS1_11comp_targetILNS1_3genE0ELNS1_11target_archE4294967295ELNS1_3gpuE0ELNS1_3repE0EEENS1_30default_config_static_selectorELNS0_4arch9wavefront6targetE0EEEvSY_,comdat
	.globl	_ZN7rocprim17ROCPRIM_400000_NS6detail17trampoline_kernelINS0_13select_configILj256ELj13ELNS0_17block_load_methodE3ELS4_3ELS4_3ELNS0_20block_scan_algorithmE0ELj4294967295EEENS1_25partition_config_selectorILNS1_17partition_subalgoE3EjNS0_10empty_typeEbEEZZNS1_14partition_implILS8_3ELb0ES6_jNS0_17counting_iteratorIjlEEPS9_SE_NS0_5tupleIJPjSE_EEENSF_IJSE_SE_EEES9_SG_JZNS1_25segmented_radix_sort_implINS0_14default_configELb0EPKbPbPKlPlN2at6native12_GLOBAL__N_18offset_tEEE10hipError_tPvRmT1_PNSt15iterator_traitsISY_E10value_typeET2_T3_PNSZ_IS14_E10value_typeET4_jRbjT5_S1A_jjP12ihipStream_tbEUljE_EEESV_SW_SX_S14_S18_S1A_T6_T7_T9_mT8_S1C_bDpT10_ENKUlT_T0_E_clISt17integral_constantIbLb1EES1O_IbLb0EEEEDaS1K_S1L_EUlS1K_E_NS1_11comp_targetILNS1_3genE0ELNS1_11target_archE4294967295ELNS1_3gpuE0ELNS1_3repE0EEENS1_30default_config_static_selectorELNS0_4arch9wavefront6targetE0EEEvSY_ ; -- Begin function _ZN7rocprim17ROCPRIM_400000_NS6detail17trampoline_kernelINS0_13select_configILj256ELj13ELNS0_17block_load_methodE3ELS4_3ELS4_3ELNS0_20block_scan_algorithmE0ELj4294967295EEENS1_25partition_config_selectorILNS1_17partition_subalgoE3EjNS0_10empty_typeEbEEZZNS1_14partition_implILS8_3ELb0ES6_jNS0_17counting_iteratorIjlEEPS9_SE_NS0_5tupleIJPjSE_EEENSF_IJSE_SE_EEES9_SG_JZNS1_25segmented_radix_sort_implINS0_14default_configELb0EPKbPbPKlPlN2at6native12_GLOBAL__N_18offset_tEEE10hipError_tPvRmT1_PNSt15iterator_traitsISY_E10value_typeET2_T3_PNSZ_IS14_E10value_typeET4_jRbjT5_S1A_jjP12ihipStream_tbEUljE_EEESV_SW_SX_S14_S18_S1A_T6_T7_T9_mT8_S1C_bDpT10_ENKUlT_T0_E_clISt17integral_constantIbLb1EES1O_IbLb0EEEEDaS1K_S1L_EUlS1K_E_NS1_11comp_targetILNS1_3genE0ELNS1_11target_archE4294967295ELNS1_3gpuE0ELNS1_3repE0EEENS1_30default_config_static_selectorELNS0_4arch9wavefront6targetE0EEEvSY_
	.p2align	8
	.type	_ZN7rocprim17ROCPRIM_400000_NS6detail17trampoline_kernelINS0_13select_configILj256ELj13ELNS0_17block_load_methodE3ELS4_3ELS4_3ELNS0_20block_scan_algorithmE0ELj4294967295EEENS1_25partition_config_selectorILNS1_17partition_subalgoE3EjNS0_10empty_typeEbEEZZNS1_14partition_implILS8_3ELb0ES6_jNS0_17counting_iteratorIjlEEPS9_SE_NS0_5tupleIJPjSE_EEENSF_IJSE_SE_EEES9_SG_JZNS1_25segmented_radix_sort_implINS0_14default_configELb0EPKbPbPKlPlN2at6native12_GLOBAL__N_18offset_tEEE10hipError_tPvRmT1_PNSt15iterator_traitsISY_E10value_typeET2_T3_PNSZ_IS14_E10value_typeET4_jRbjT5_S1A_jjP12ihipStream_tbEUljE_EEESV_SW_SX_S14_S18_S1A_T6_T7_T9_mT8_S1C_bDpT10_ENKUlT_T0_E_clISt17integral_constantIbLb1EES1O_IbLb0EEEEDaS1K_S1L_EUlS1K_E_NS1_11comp_targetILNS1_3genE0ELNS1_11target_archE4294967295ELNS1_3gpuE0ELNS1_3repE0EEENS1_30default_config_static_selectorELNS0_4arch9wavefront6targetE0EEEvSY_,@function
_ZN7rocprim17ROCPRIM_400000_NS6detail17trampoline_kernelINS0_13select_configILj256ELj13ELNS0_17block_load_methodE3ELS4_3ELS4_3ELNS0_20block_scan_algorithmE0ELj4294967295EEENS1_25partition_config_selectorILNS1_17partition_subalgoE3EjNS0_10empty_typeEbEEZZNS1_14partition_implILS8_3ELb0ES6_jNS0_17counting_iteratorIjlEEPS9_SE_NS0_5tupleIJPjSE_EEENSF_IJSE_SE_EEES9_SG_JZNS1_25segmented_radix_sort_implINS0_14default_configELb0EPKbPbPKlPlN2at6native12_GLOBAL__N_18offset_tEEE10hipError_tPvRmT1_PNSt15iterator_traitsISY_E10value_typeET2_T3_PNSZ_IS14_E10value_typeET4_jRbjT5_S1A_jjP12ihipStream_tbEUljE_EEESV_SW_SX_S14_S18_S1A_T6_T7_T9_mT8_S1C_bDpT10_ENKUlT_T0_E_clISt17integral_constantIbLb1EES1O_IbLb0EEEEDaS1K_S1L_EUlS1K_E_NS1_11comp_targetILNS1_3genE0ELNS1_11target_archE4294967295ELNS1_3gpuE0ELNS1_3repE0EEENS1_30default_config_static_selectorELNS0_4arch9wavefront6targetE0EEEvSY_: ; @_ZN7rocprim17ROCPRIM_400000_NS6detail17trampoline_kernelINS0_13select_configILj256ELj13ELNS0_17block_load_methodE3ELS4_3ELS4_3ELNS0_20block_scan_algorithmE0ELj4294967295EEENS1_25partition_config_selectorILNS1_17partition_subalgoE3EjNS0_10empty_typeEbEEZZNS1_14partition_implILS8_3ELb0ES6_jNS0_17counting_iteratorIjlEEPS9_SE_NS0_5tupleIJPjSE_EEENSF_IJSE_SE_EEES9_SG_JZNS1_25segmented_radix_sort_implINS0_14default_configELb0EPKbPbPKlPlN2at6native12_GLOBAL__N_18offset_tEEE10hipError_tPvRmT1_PNSt15iterator_traitsISY_E10value_typeET2_T3_PNSZ_IS14_E10value_typeET4_jRbjT5_S1A_jjP12ihipStream_tbEUljE_EEESV_SW_SX_S14_S18_S1A_T6_T7_T9_mT8_S1C_bDpT10_ENKUlT_T0_E_clISt17integral_constantIbLb1EES1O_IbLb0EEEEDaS1K_S1L_EUlS1K_E_NS1_11comp_targetILNS1_3genE0ELNS1_11target_archE4294967295ELNS1_3gpuE0ELNS1_3repE0EEENS1_30default_config_static_selectorELNS0_4arch9wavefront6targetE0EEEvSY_
; %bb.0:
	.section	.rodata,"a",@progbits
	.p2align	6, 0x0
	.amdhsa_kernel _ZN7rocprim17ROCPRIM_400000_NS6detail17trampoline_kernelINS0_13select_configILj256ELj13ELNS0_17block_load_methodE3ELS4_3ELS4_3ELNS0_20block_scan_algorithmE0ELj4294967295EEENS1_25partition_config_selectorILNS1_17partition_subalgoE3EjNS0_10empty_typeEbEEZZNS1_14partition_implILS8_3ELb0ES6_jNS0_17counting_iteratorIjlEEPS9_SE_NS0_5tupleIJPjSE_EEENSF_IJSE_SE_EEES9_SG_JZNS1_25segmented_radix_sort_implINS0_14default_configELb0EPKbPbPKlPlN2at6native12_GLOBAL__N_18offset_tEEE10hipError_tPvRmT1_PNSt15iterator_traitsISY_E10value_typeET2_T3_PNSZ_IS14_E10value_typeET4_jRbjT5_S1A_jjP12ihipStream_tbEUljE_EEESV_SW_SX_S14_S18_S1A_T6_T7_T9_mT8_S1C_bDpT10_ENKUlT_T0_E_clISt17integral_constantIbLb1EES1O_IbLb0EEEEDaS1K_S1L_EUlS1K_E_NS1_11comp_targetILNS1_3genE0ELNS1_11target_archE4294967295ELNS1_3gpuE0ELNS1_3repE0EEENS1_30default_config_static_selectorELNS0_4arch9wavefront6targetE0EEEvSY_
		.amdhsa_group_segment_fixed_size 0
		.amdhsa_private_segment_fixed_size 0
		.amdhsa_kernarg_size 144
		.amdhsa_user_sgpr_count 15
		.amdhsa_user_sgpr_dispatch_ptr 0
		.amdhsa_user_sgpr_queue_ptr 0
		.amdhsa_user_sgpr_kernarg_segment_ptr 1
		.amdhsa_user_sgpr_dispatch_id 0
		.amdhsa_user_sgpr_private_segment_size 0
		.amdhsa_wavefront_size32 1
		.amdhsa_uses_dynamic_stack 0
		.amdhsa_enable_private_segment 0
		.amdhsa_system_sgpr_workgroup_id_x 1
		.amdhsa_system_sgpr_workgroup_id_y 0
		.amdhsa_system_sgpr_workgroup_id_z 0
		.amdhsa_system_sgpr_workgroup_info 0
		.amdhsa_system_vgpr_workitem_id 0
		.amdhsa_next_free_vgpr 1
		.amdhsa_next_free_sgpr 1
		.amdhsa_reserve_vcc 0
		.amdhsa_float_round_mode_32 0
		.amdhsa_float_round_mode_16_64 0
		.amdhsa_float_denorm_mode_32 3
		.amdhsa_float_denorm_mode_16_64 3
		.amdhsa_dx10_clamp 1
		.amdhsa_ieee_mode 1
		.amdhsa_fp16_overflow 0
		.amdhsa_workgroup_processor_mode 1
		.amdhsa_memory_ordered 1
		.amdhsa_forward_progress 0
		.amdhsa_shared_vgpr_count 0
		.amdhsa_exception_fp_ieee_invalid_op 0
		.amdhsa_exception_fp_denorm_src 0
		.amdhsa_exception_fp_ieee_div_zero 0
		.amdhsa_exception_fp_ieee_overflow 0
		.amdhsa_exception_fp_ieee_underflow 0
		.amdhsa_exception_fp_ieee_inexact 0
		.amdhsa_exception_int_div_zero 0
	.end_amdhsa_kernel
	.section	.text._ZN7rocprim17ROCPRIM_400000_NS6detail17trampoline_kernelINS0_13select_configILj256ELj13ELNS0_17block_load_methodE3ELS4_3ELS4_3ELNS0_20block_scan_algorithmE0ELj4294967295EEENS1_25partition_config_selectorILNS1_17partition_subalgoE3EjNS0_10empty_typeEbEEZZNS1_14partition_implILS8_3ELb0ES6_jNS0_17counting_iteratorIjlEEPS9_SE_NS0_5tupleIJPjSE_EEENSF_IJSE_SE_EEES9_SG_JZNS1_25segmented_radix_sort_implINS0_14default_configELb0EPKbPbPKlPlN2at6native12_GLOBAL__N_18offset_tEEE10hipError_tPvRmT1_PNSt15iterator_traitsISY_E10value_typeET2_T3_PNSZ_IS14_E10value_typeET4_jRbjT5_S1A_jjP12ihipStream_tbEUljE_EEESV_SW_SX_S14_S18_S1A_T6_T7_T9_mT8_S1C_bDpT10_ENKUlT_T0_E_clISt17integral_constantIbLb1EES1O_IbLb0EEEEDaS1K_S1L_EUlS1K_E_NS1_11comp_targetILNS1_3genE0ELNS1_11target_archE4294967295ELNS1_3gpuE0ELNS1_3repE0EEENS1_30default_config_static_selectorELNS0_4arch9wavefront6targetE0EEEvSY_,"axG",@progbits,_ZN7rocprim17ROCPRIM_400000_NS6detail17trampoline_kernelINS0_13select_configILj256ELj13ELNS0_17block_load_methodE3ELS4_3ELS4_3ELNS0_20block_scan_algorithmE0ELj4294967295EEENS1_25partition_config_selectorILNS1_17partition_subalgoE3EjNS0_10empty_typeEbEEZZNS1_14partition_implILS8_3ELb0ES6_jNS0_17counting_iteratorIjlEEPS9_SE_NS0_5tupleIJPjSE_EEENSF_IJSE_SE_EEES9_SG_JZNS1_25segmented_radix_sort_implINS0_14default_configELb0EPKbPbPKlPlN2at6native12_GLOBAL__N_18offset_tEEE10hipError_tPvRmT1_PNSt15iterator_traitsISY_E10value_typeET2_T3_PNSZ_IS14_E10value_typeET4_jRbjT5_S1A_jjP12ihipStream_tbEUljE_EEESV_SW_SX_S14_S18_S1A_T6_T7_T9_mT8_S1C_bDpT10_ENKUlT_T0_E_clISt17integral_constantIbLb1EES1O_IbLb0EEEEDaS1K_S1L_EUlS1K_E_NS1_11comp_targetILNS1_3genE0ELNS1_11target_archE4294967295ELNS1_3gpuE0ELNS1_3repE0EEENS1_30default_config_static_selectorELNS0_4arch9wavefront6targetE0EEEvSY_,comdat
.Lfunc_end1619:
	.size	_ZN7rocprim17ROCPRIM_400000_NS6detail17trampoline_kernelINS0_13select_configILj256ELj13ELNS0_17block_load_methodE3ELS4_3ELS4_3ELNS0_20block_scan_algorithmE0ELj4294967295EEENS1_25partition_config_selectorILNS1_17partition_subalgoE3EjNS0_10empty_typeEbEEZZNS1_14partition_implILS8_3ELb0ES6_jNS0_17counting_iteratorIjlEEPS9_SE_NS0_5tupleIJPjSE_EEENSF_IJSE_SE_EEES9_SG_JZNS1_25segmented_radix_sort_implINS0_14default_configELb0EPKbPbPKlPlN2at6native12_GLOBAL__N_18offset_tEEE10hipError_tPvRmT1_PNSt15iterator_traitsISY_E10value_typeET2_T3_PNSZ_IS14_E10value_typeET4_jRbjT5_S1A_jjP12ihipStream_tbEUljE_EEESV_SW_SX_S14_S18_S1A_T6_T7_T9_mT8_S1C_bDpT10_ENKUlT_T0_E_clISt17integral_constantIbLb1EES1O_IbLb0EEEEDaS1K_S1L_EUlS1K_E_NS1_11comp_targetILNS1_3genE0ELNS1_11target_archE4294967295ELNS1_3gpuE0ELNS1_3repE0EEENS1_30default_config_static_selectorELNS0_4arch9wavefront6targetE0EEEvSY_, .Lfunc_end1619-_ZN7rocprim17ROCPRIM_400000_NS6detail17trampoline_kernelINS0_13select_configILj256ELj13ELNS0_17block_load_methodE3ELS4_3ELS4_3ELNS0_20block_scan_algorithmE0ELj4294967295EEENS1_25partition_config_selectorILNS1_17partition_subalgoE3EjNS0_10empty_typeEbEEZZNS1_14partition_implILS8_3ELb0ES6_jNS0_17counting_iteratorIjlEEPS9_SE_NS0_5tupleIJPjSE_EEENSF_IJSE_SE_EEES9_SG_JZNS1_25segmented_radix_sort_implINS0_14default_configELb0EPKbPbPKlPlN2at6native12_GLOBAL__N_18offset_tEEE10hipError_tPvRmT1_PNSt15iterator_traitsISY_E10value_typeET2_T3_PNSZ_IS14_E10value_typeET4_jRbjT5_S1A_jjP12ihipStream_tbEUljE_EEESV_SW_SX_S14_S18_S1A_T6_T7_T9_mT8_S1C_bDpT10_ENKUlT_T0_E_clISt17integral_constantIbLb1EES1O_IbLb0EEEEDaS1K_S1L_EUlS1K_E_NS1_11comp_targetILNS1_3genE0ELNS1_11target_archE4294967295ELNS1_3gpuE0ELNS1_3repE0EEENS1_30default_config_static_selectorELNS0_4arch9wavefront6targetE0EEEvSY_
                                        ; -- End function
	.section	.AMDGPU.csdata,"",@progbits
; Kernel info:
; codeLenInByte = 0
; NumSgprs: 0
; NumVgprs: 0
; ScratchSize: 0
; MemoryBound: 0
; FloatMode: 240
; IeeeMode: 1
; LDSByteSize: 0 bytes/workgroup (compile time only)
; SGPRBlocks: 0
; VGPRBlocks: 0
; NumSGPRsForWavesPerEU: 1
; NumVGPRsForWavesPerEU: 1
; Occupancy: 16
; WaveLimiterHint : 0
; COMPUTE_PGM_RSRC2:SCRATCH_EN: 0
; COMPUTE_PGM_RSRC2:USER_SGPR: 15
; COMPUTE_PGM_RSRC2:TRAP_HANDLER: 0
; COMPUTE_PGM_RSRC2:TGID_X_EN: 1
; COMPUTE_PGM_RSRC2:TGID_Y_EN: 0
; COMPUTE_PGM_RSRC2:TGID_Z_EN: 0
; COMPUTE_PGM_RSRC2:TIDIG_COMP_CNT: 0
	.section	.text._ZN7rocprim17ROCPRIM_400000_NS6detail17trampoline_kernelINS0_13select_configILj256ELj13ELNS0_17block_load_methodE3ELS4_3ELS4_3ELNS0_20block_scan_algorithmE0ELj4294967295EEENS1_25partition_config_selectorILNS1_17partition_subalgoE3EjNS0_10empty_typeEbEEZZNS1_14partition_implILS8_3ELb0ES6_jNS0_17counting_iteratorIjlEEPS9_SE_NS0_5tupleIJPjSE_EEENSF_IJSE_SE_EEES9_SG_JZNS1_25segmented_radix_sort_implINS0_14default_configELb0EPKbPbPKlPlN2at6native12_GLOBAL__N_18offset_tEEE10hipError_tPvRmT1_PNSt15iterator_traitsISY_E10value_typeET2_T3_PNSZ_IS14_E10value_typeET4_jRbjT5_S1A_jjP12ihipStream_tbEUljE_EEESV_SW_SX_S14_S18_S1A_T6_T7_T9_mT8_S1C_bDpT10_ENKUlT_T0_E_clISt17integral_constantIbLb1EES1O_IbLb0EEEEDaS1K_S1L_EUlS1K_E_NS1_11comp_targetILNS1_3genE5ELNS1_11target_archE942ELNS1_3gpuE9ELNS1_3repE0EEENS1_30default_config_static_selectorELNS0_4arch9wavefront6targetE0EEEvSY_,"axG",@progbits,_ZN7rocprim17ROCPRIM_400000_NS6detail17trampoline_kernelINS0_13select_configILj256ELj13ELNS0_17block_load_methodE3ELS4_3ELS4_3ELNS0_20block_scan_algorithmE0ELj4294967295EEENS1_25partition_config_selectorILNS1_17partition_subalgoE3EjNS0_10empty_typeEbEEZZNS1_14partition_implILS8_3ELb0ES6_jNS0_17counting_iteratorIjlEEPS9_SE_NS0_5tupleIJPjSE_EEENSF_IJSE_SE_EEES9_SG_JZNS1_25segmented_radix_sort_implINS0_14default_configELb0EPKbPbPKlPlN2at6native12_GLOBAL__N_18offset_tEEE10hipError_tPvRmT1_PNSt15iterator_traitsISY_E10value_typeET2_T3_PNSZ_IS14_E10value_typeET4_jRbjT5_S1A_jjP12ihipStream_tbEUljE_EEESV_SW_SX_S14_S18_S1A_T6_T7_T9_mT8_S1C_bDpT10_ENKUlT_T0_E_clISt17integral_constantIbLb1EES1O_IbLb0EEEEDaS1K_S1L_EUlS1K_E_NS1_11comp_targetILNS1_3genE5ELNS1_11target_archE942ELNS1_3gpuE9ELNS1_3repE0EEENS1_30default_config_static_selectorELNS0_4arch9wavefront6targetE0EEEvSY_,comdat
	.globl	_ZN7rocprim17ROCPRIM_400000_NS6detail17trampoline_kernelINS0_13select_configILj256ELj13ELNS0_17block_load_methodE3ELS4_3ELS4_3ELNS0_20block_scan_algorithmE0ELj4294967295EEENS1_25partition_config_selectorILNS1_17partition_subalgoE3EjNS0_10empty_typeEbEEZZNS1_14partition_implILS8_3ELb0ES6_jNS0_17counting_iteratorIjlEEPS9_SE_NS0_5tupleIJPjSE_EEENSF_IJSE_SE_EEES9_SG_JZNS1_25segmented_radix_sort_implINS0_14default_configELb0EPKbPbPKlPlN2at6native12_GLOBAL__N_18offset_tEEE10hipError_tPvRmT1_PNSt15iterator_traitsISY_E10value_typeET2_T3_PNSZ_IS14_E10value_typeET4_jRbjT5_S1A_jjP12ihipStream_tbEUljE_EEESV_SW_SX_S14_S18_S1A_T6_T7_T9_mT8_S1C_bDpT10_ENKUlT_T0_E_clISt17integral_constantIbLb1EES1O_IbLb0EEEEDaS1K_S1L_EUlS1K_E_NS1_11comp_targetILNS1_3genE5ELNS1_11target_archE942ELNS1_3gpuE9ELNS1_3repE0EEENS1_30default_config_static_selectorELNS0_4arch9wavefront6targetE0EEEvSY_ ; -- Begin function _ZN7rocprim17ROCPRIM_400000_NS6detail17trampoline_kernelINS0_13select_configILj256ELj13ELNS0_17block_load_methodE3ELS4_3ELS4_3ELNS0_20block_scan_algorithmE0ELj4294967295EEENS1_25partition_config_selectorILNS1_17partition_subalgoE3EjNS0_10empty_typeEbEEZZNS1_14partition_implILS8_3ELb0ES6_jNS0_17counting_iteratorIjlEEPS9_SE_NS0_5tupleIJPjSE_EEENSF_IJSE_SE_EEES9_SG_JZNS1_25segmented_radix_sort_implINS0_14default_configELb0EPKbPbPKlPlN2at6native12_GLOBAL__N_18offset_tEEE10hipError_tPvRmT1_PNSt15iterator_traitsISY_E10value_typeET2_T3_PNSZ_IS14_E10value_typeET4_jRbjT5_S1A_jjP12ihipStream_tbEUljE_EEESV_SW_SX_S14_S18_S1A_T6_T7_T9_mT8_S1C_bDpT10_ENKUlT_T0_E_clISt17integral_constantIbLb1EES1O_IbLb0EEEEDaS1K_S1L_EUlS1K_E_NS1_11comp_targetILNS1_3genE5ELNS1_11target_archE942ELNS1_3gpuE9ELNS1_3repE0EEENS1_30default_config_static_selectorELNS0_4arch9wavefront6targetE0EEEvSY_
	.p2align	8
	.type	_ZN7rocprim17ROCPRIM_400000_NS6detail17trampoline_kernelINS0_13select_configILj256ELj13ELNS0_17block_load_methodE3ELS4_3ELS4_3ELNS0_20block_scan_algorithmE0ELj4294967295EEENS1_25partition_config_selectorILNS1_17partition_subalgoE3EjNS0_10empty_typeEbEEZZNS1_14partition_implILS8_3ELb0ES6_jNS0_17counting_iteratorIjlEEPS9_SE_NS0_5tupleIJPjSE_EEENSF_IJSE_SE_EEES9_SG_JZNS1_25segmented_radix_sort_implINS0_14default_configELb0EPKbPbPKlPlN2at6native12_GLOBAL__N_18offset_tEEE10hipError_tPvRmT1_PNSt15iterator_traitsISY_E10value_typeET2_T3_PNSZ_IS14_E10value_typeET4_jRbjT5_S1A_jjP12ihipStream_tbEUljE_EEESV_SW_SX_S14_S18_S1A_T6_T7_T9_mT8_S1C_bDpT10_ENKUlT_T0_E_clISt17integral_constantIbLb1EES1O_IbLb0EEEEDaS1K_S1L_EUlS1K_E_NS1_11comp_targetILNS1_3genE5ELNS1_11target_archE942ELNS1_3gpuE9ELNS1_3repE0EEENS1_30default_config_static_selectorELNS0_4arch9wavefront6targetE0EEEvSY_,@function
_ZN7rocprim17ROCPRIM_400000_NS6detail17trampoline_kernelINS0_13select_configILj256ELj13ELNS0_17block_load_methodE3ELS4_3ELS4_3ELNS0_20block_scan_algorithmE0ELj4294967295EEENS1_25partition_config_selectorILNS1_17partition_subalgoE3EjNS0_10empty_typeEbEEZZNS1_14partition_implILS8_3ELb0ES6_jNS0_17counting_iteratorIjlEEPS9_SE_NS0_5tupleIJPjSE_EEENSF_IJSE_SE_EEES9_SG_JZNS1_25segmented_radix_sort_implINS0_14default_configELb0EPKbPbPKlPlN2at6native12_GLOBAL__N_18offset_tEEE10hipError_tPvRmT1_PNSt15iterator_traitsISY_E10value_typeET2_T3_PNSZ_IS14_E10value_typeET4_jRbjT5_S1A_jjP12ihipStream_tbEUljE_EEESV_SW_SX_S14_S18_S1A_T6_T7_T9_mT8_S1C_bDpT10_ENKUlT_T0_E_clISt17integral_constantIbLb1EES1O_IbLb0EEEEDaS1K_S1L_EUlS1K_E_NS1_11comp_targetILNS1_3genE5ELNS1_11target_archE942ELNS1_3gpuE9ELNS1_3repE0EEENS1_30default_config_static_selectorELNS0_4arch9wavefront6targetE0EEEvSY_: ; @_ZN7rocprim17ROCPRIM_400000_NS6detail17trampoline_kernelINS0_13select_configILj256ELj13ELNS0_17block_load_methodE3ELS4_3ELS4_3ELNS0_20block_scan_algorithmE0ELj4294967295EEENS1_25partition_config_selectorILNS1_17partition_subalgoE3EjNS0_10empty_typeEbEEZZNS1_14partition_implILS8_3ELb0ES6_jNS0_17counting_iteratorIjlEEPS9_SE_NS0_5tupleIJPjSE_EEENSF_IJSE_SE_EEES9_SG_JZNS1_25segmented_radix_sort_implINS0_14default_configELb0EPKbPbPKlPlN2at6native12_GLOBAL__N_18offset_tEEE10hipError_tPvRmT1_PNSt15iterator_traitsISY_E10value_typeET2_T3_PNSZ_IS14_E10value_typeET4_jRbjT5_S1A_jjP12ihipStream_tbEUljE_EEESV_SW_SX_S14_S18_S1A_T6_T7_T9_mT8_S1C_bDpT10_ENKUlT_T0_E_clISt17integral_constantIbLb1EES1O_IbLb0EEEEDaS1K_S1L_EUlS1K_E_NS1_11comp_targetILNS1_3genE5ELNS1_11target_archE942ELNS1_3gpuE9ELNS1_3repE0EEENS1_30default_config_static_selectorELNS0_4arch9wavefront6targetE0EEEvSY_
; %bb.0:
	.section	.rodata,"a",@progbits
	.p2align	6, 0x0
	.amdhsa_kernel _ZN7rocprim17ROCPRIM_400000_NS6detail17trampoline_kernelINS0_13select_configILj256ELj13ELNS0_17block_load_methodE3ELS4_3ELS4_3ELNS0_20block_scan_algorithmE0ELj4294967295EEENS1_25partition_config_selectorILNS1_17partition_subalgoE3EjNS0_10empty_typeEbEEZZNS1_14partition_implILS8_3ELb0ES6_jNS0_17counting_iteratorIjlEEPS9_SE_NS0_5tupleIJPjSE_EEENSF_IJSE_SE_EEES9_SG_JZNS1_25segmented_radix_sort_implINS0_14default_configELb0EPKbPbPKlPlN2at6native12_GLOBAL__N_18offset_tEEE10hipError_tPvRmT1_PNSt15iterator_traitsISY_E10value_typeET2_T3_PNSZ_IS14_E10value_typeET4_jRbjT5_S1A_jjP12ihipStream_tbEUljE_EEESV_SW_SX_S14_S18_S1A_T6_T7_T9_mT8_S1C_bDpT10_ENKUlT_T0_E_clISt17integral_constantIbLb1EES1O_IbLb0EEEEDaS1K_S1L_EUlS1K_E_NS1_11comp_targetILNS1_3genE5ELNS1_11target_archE942ELNS1_3gpuE9ELNS1_3repE0EEENS1_30default_config_static_selectorELNS0_4arch9wavefront6targetE0EEEvSY_
		.amdhsa_group_segment_fixed_size 0
		.amdhsa_private_segment_fixed_size 0
		.amdhsa_kernarg_size 144
		.amdhsa_user_sgpr_count 15
		.amdhsa_user_sgpr_dispatch_ptr 0
		.amdhsa_user_sgpr_queue_ptr 0
		.amdhsa_user_sgpr_kernarg_segment_ptr 1
		.amdhsa_user_sgpr_dispatch_id 0
		.amdhsa_user_sgpr_private_segment_size 0
		.amdhsa_wavefront_size32 1
		.amdhsa_uses_dynamic_stack 0
		.amdhsa_enable_private_segment 0
		.amdhsa_system_sgpr_workgroup_id_x 1
		.amdhsa_system_sgpr_workgroup_id_y 0
		.amdhsa_system_sgpr_workgroup_id_z 0
		.amdhsa_system_sgpr_workgroup_info 0
		.amdhsa_system_vgpr_workitem_id 0
		.amdhsa_next_free_vgpr 1
		.amdhsa_next_free_sgpr 1
		.amdhsa_reserve_vcc 0
		.amdhsa_float_round_mode_32 0
		.amdhsa_float_round_mode_16_64 0
		.amdhsa_float_denorm_mode_32 3
		.amdhsa_float_denorm_mode_16_64 3
		.amdhsa_dx10_clamp 1
		.amdhsa_ieee_mode 1
		.amdhsa_fp16_overflow 0
		.amdhsa_workgroup_processor_mode 1
		.amdhsa_memory_ordered 1
		.amdhsa_forward_progress 0
		.amdhsa_shared_vgpr_count 0
		.amdhsa_exception_fp_ieee_invalid_op 0
		.amdhsa_exception_fp_denorm_src 0
		.amdhsa_exception_fp_ieee_div_zero 0
		.amdhsa_exception_fp_ieee_overflow 0
		.amdhsa_exception_fp_ieee_underflow 0
		.amdhsa_exception_fp_ieee_inexact 0
		.amdhsa_exception_int_div_zero 0
	.end_amdhsa_kernel
	.section	.text._ZN7rocprim17ROCPRIM_400000_NS6detail17trampoline_kernelINS0_13select_configILj256ELj13ELNS0_17block_load_methodE3ELS4_3ELS4_3ELNS0_20block_scan_algorithmE0ELj4294967295EEENS1_25partition_config_selectorILNS1_17partition_subalgoE3EjNS0_10empty_typeEbEEZZNS1_14partition_implILS8_3ELb0ES6_jNS0_17counting_iteratorIjlEEPS9_SE_NS0_5tupleIJPjSE_EEENSF_IJSE_SE_EEES9_SG_JZNS1_25segmented_radix_sort_implINS0_14default_configELb0EPKbPbPKlPlN2at6native12_GLOBAL__N_18offset_tEEE10hipError_tPvRmT1_PNSt15iterator_traitsISY_E10value_typeET2_T3_PNSZ_IS14_E10value_typeET4_jRbjT5_S1A_jjP12ihipStream_tbEUljE_EEESV_SW_SX_S14_S18_S1A_T6_T7_T9_mT8_S1C_bDpT10_ENKUlT_T0_E_clISt17integral_constantIbLb1EES1O_IbLb0EEEEDaS1K_S1L_EUlS1K_E_NS1_11comp_targetILNS1_3genE5ELNS1_11target_archE942ELNS1_3gpuE9ELNS1_3repE0EEENS1_30default_config_static_selectorELNS0_4arch9wavefront6targetE0EEEvSY_,"axG",@progbits,_ZN7rocprim17ROCPRIM_400000_NS6detail17trampoline_kernelINS0_13select_configILj256ELj13ELNS0_17block_load_methodE3ELS4_3ELS4_3ELNS0_20block_scan_algorithmE0ELj4294967295EEENS1_25partition_config_selectorILNS1_17partition_subalgoE3EjNS0_10empty_typeEbEEZZNS1_14partition_implILS8_3ELb0ES6_jNS0_17counting_iteratorIjlEEPS9_SE_NS0_5tupleIJPjSE_EEENSF_IJSE_SE_EEES9_SG_JZNS1_25segmented_radix_sort_implINS0_14default_configELb0EPKbPbPKlPlN2at6native12_GLOBAL__N_18offset_tEEE10hipError_tPvRmT1_PNSt15iterator_traitsISY_E10value_typeET2_T3_PNSZ_IS14_E10value_typeET4_jRbjT5_S1A_jjP12ihipStream_tbEUljE_EEESV_SW_SX_S14_S18_S1A_T6_T7_T9_mT8_S1C_bDpT10_ENKUlT_T0_E_clISt17integral_constantIbLb1EES1O_IbLb0EEEEDaS1K_S1L_EUlS1K_E_NS1_11comp_targetILNS1_3genE5ELNS1_11target_archE942ELNS1_3gpuE9ELNS1_3repE0EEENS1_30default_config_static_selectorELNS0_4arch9wavefront6targetE0EEEvSY_,comdat
.Lfunc_end1620:
	.size	_ZN7rocprim17ROCPRIM_400000_NS6detail17trampoline_kernelINS0_13select_configILj256ELj13ELNS0_17block_load_methodE3ELS4_3ELS4_3ELNS0_20block_scan_algorithmE0ELj4294967295EEENS1_25partition_config_selectorILNS1_17partition_subalgoE3EjNS0_10empty_typeEbEEZZNS1_14partition_implILS8_3ELb0ES6_jNS0_17counting_iteratorIjlEEPS9_SE_NS0_5tupleIJPjSE_EEENSF_IJSE_SE_EEES9_SG_JZNS1_25segmented_radix_sort_implINS0_14default_configELb0EPKbPbPKlPlN2at6native12_GLOBAL__N_18offset_tEEE10hipError_tPvRmT1_PNSt15iterator_traitsISY_E10value_typeET2_T3_PNSZ_IS14_E10value_typeET4_jRbjT5_S1A_jjP12ihipStream_tbEUljE_EEESV_SW_SX_S14_S18_S1A_T6_T7_T9_mT8_S1C_bDpT10_ENKUlT_T0_E_clISt17integral_constantIbLb1EES1O_IbLb0EEEEDaS1K_S1L_EUlS1K_E_NS1_11comp_targetILNS1_3genE5ELNS1_11target_archE942ELNS1_3gpuE9ELNS1_3repE0EEENS1_30default_config_static_selectorELNS0_4arch9wavefront6targetE0EEEvSY_, .Lfunc_end1620-_ZN7rocprim17ROCPRIM_400000_NS6detail17trampoline_kernelINS0_13select_configILj256ELj13ELNS0_17block_load_methodE3ELS4_3ELS4_3ELNS0_20block_scan_algorithmE0ELj4294967295EEENS1_25partition_config_selectorILNS1_17partition_subalgoE3EjNS0_10empty_typeEbEEZZNS1_14partition_implILS8_3ELb0ES6_jNS0_17counting_iteratorIjlEEPS9_SE_NS0_5tupleIJPjSE_EEENSF_IJSE_SE_EEES9_SG_JZNS1_25segmented_radix_sort_implINS0_14default_configELb0EPKbPbPKlPlN2at6native12_GLOBAL__N_18offset_tEEE10hipError_tPvRmT1_PNSt15iterator_traitsISY_E10value_typeET2_T3_PNSZ_IS14_E10value_typeET4_jRbjT5_S1A_jjP12ihipStream_tbEUljE_EEESV_SW_SX_S14_S18_S1A_T6_T7_T9_mT8_S1C_bDpT10_ENKUlT_T0_E_clISt17integral_constantIbLb1EES1O_IbLb0EEEEDaS1K_S1L_EUlS1K_E_NS1_11comp_targetILNS1_3genE5ELNS1_11target_archE942ELNS1_3gpuE9ELNS1_3repE0EEENS1_30default_config_static_selectorELNS0_4arch9wavefront6targetE0EEEvSY_
                                        ; -- End function
	.section	.AMDGPU.csdata,"",@progbits
; Kernel info:
; codeLenInByte = 0
; NumSgprs: 0
; NumVgprs: 0
; ScratchSize: 0
; MemoryBound: 0
; FloatMode: 240
; IeeeMode: 1
; LDSByteSize: 0 bytes/workgroup (compile time only)
; SGPRBlocks: 0
; VGPRBlocks: 0
; NumSGPRsForWavesPerEU: 1
; NumVGPRsForWavesPerEU: 1
; Occupancy: 16
; WaveLimiterHint : 0
; COMPUTE_PGM_RSRC2:SCRATCH_EN: 0
; COMPUTE_PGM_RSRC2:USER_SGPR: 15
; COMPUTE_PGM_RSRC2:TRAP_HANDLER: 0
; COMPUTE_PGM_RSRC2:TGID_X_EN: 1
; COMPUTE_PGM_RSRC2:TGID_Y_EN: 0
; COMPUTE_PGM_RSRC2:TGID_Z_EN: 0
; COMPUTE_PGM_RSRC2:TIDIG_COMP_CNT: 0
	.section	.text._ZN7rocprim17ROCPRIM_400000_NS6detail17trampoline_kernelINS0_13select_configILj256ELj13ELNS0_17block_load_methodE3ELS4_3ELS4_3ELNS0_20block_scan_algorithmE0ELj4294967295EEENS1_25partition_config_selectorILNS1_17partition_subalgoE3EjNS0_10empty_typeEbEEZZNS1_14partition_implILS8_3ELb0ES6_jNS0_17counting_iteratorIjlEEPS9_SE_NS0_5tupleIJPjSE_EEENSF_IJSE_SE_EEES9_SG_JZNS1_25segmented_radix_sort_implINS0_14default_configELb0EPKbPbPKlPlN2at6native12_GLOBAL__N_18offset_tEEE10hipError_tPvRmT1_PNSt15iterator_traitsISY_E10value_typeET2_T3_PNSZ_IS14_E10value_typeET4_jRbjT5_S1A_jjP12ihipStream_tbEUljE_EEESV_SW_SX_S14_S18_S1A_T6_T7_T9_mT8_S1C_bDpT10_ENKUlT_T0_E_clISt17integral_constantIbLb1EES1O_IbLb0EEEEDaS1K_S1L_EUlS1K_E_NS1_11comp_targetILNS1_3genE4ELNS1_11target_archE910ELNS1_3gpuE8ELNS1_3repE0EEENS1_30default_config_static_selectorELNS0_4arch9wavefront6targetE0EEEvSY_,"axG",@progbits,_ZN7rocprim17ROCPRIM_400000_NS6detail17trampoline_kernelINS0_13select_configILj256ELj13ELNS0_17block_load_methodE3ELS4_3ELS4_3ELNS0_20block_scan_algorithmE0ELj4294967295EEENS1_25partition_config_selectorILNS1_17partition_subalgoE3EjNS0_10empty_typeEbEEZZNS1_14partition_implILS8_3ELb0ES6_jNS0_17counting_iteratorIjlEEPS9_SE_NS0_5tupleIJPjSE_EEENSF_IJSE_SE_EEES9_SG_JZNS1_25segmented_radix_sort_implINS0_14default_configELb0EPKbPbPKlPlN2at6native12_GLOBAL__N_18offset_tEEE10hipError_tPvRmT1_PNSt15iterator_traitsISY_E10value_typeET2_T3_PNSZ_IS14_E10value_typeET4_jRbjT5_S1A_jjP12ihipStream_tbEUljE_EEESV_SW_SX_S14_S18_S1A_T6_T7_T9_mT8_S1C_bDpT10_ENKUlT_T0_E_clISt17integral_constantIbLb1EES1O_IbLb0EEEEDaS1K_S1L_EUlS1K_E_NS1_11comp_targetILNS1_3genE4ELNS1_11target_archE910ELNS1_3gpuE8ELNS1_3repE0EEENS1_30default_config_static_selectorELNS0_4arch9wavefront6targetE0EEEvSY_,comdat
	.globl	_ZN7rocprim17ROCPRIM_400000_NS6detail17trampoline_kernelINS0_13select_configILj256ELj13ELNS0_17block_load_methodE3ELS4_3ELS4_3ELNS0_20block_scan_algorithmE0ELj4294967295EEENS1_25partition_config_selectorILNS1_17partition_subalgoE3EjNS0_10empty_typeEbEEZZNS1_14partition_implILS8_3ELb0ES6_jNS0_17counting_iteratorIjlEEPS9_SE_NS0_5tupleIJPjSE_EEENSF_IJSE_SE_EEES9_SG_JZNS1_25segmented_radix_sort_implINS0_14default_configELb0EPKbPbPKlPlN2at6native12_GLOBAL__N_18offset_tEEE10hipError_tPvRmT1_PNSt15iterator_traitsISY_E10value_typeET2_T3_PNSZ_IS14_E10value_typeET4_jRbjT5_S1A_jjP12ihipStream_tbEUljE_EEESV_SW_SX_S14_S18_S1A_T6_T7_T9_mT8_S1C_bDpT10_ENKUlT_T0_E_clISt17integral_constantIbLb1EES1O_IbLb0EEEEDaS1K_S1L_EUlS1K_E_NS1_11comp_targetILNS1_3genE4ELNS1_11target_archE910ELNS1_3gpuE8ELNS1_3repE0EEENS1_30default_config_static_selectorELNS0_4arch9wavefront6targetE0EEEvSY_ ; -- Begin function _ZN7rocprim17ROCPRIM_400000_NS6detail17trampoline_kernelINS0_13select_configILj256ELj13ELNS0_17block_load_methodE3ELS4_3ELS4_3ELNS0_20block_scan_algorithmE0ELj4294967295EEENS1_25partition_config_selectorILNS1_17partition_subalgoE3EjNS0_10empty_typeEbEEZZNS1_14partition_implILS8_3ELb0ES6_jNS0_17counting_iteratorIjlEEPS9_SE_NS0_5tupleIJPjSE_EEENSF_IJSE_SE_EEES9_SG_JZNS1_25segmented_radix_sort_implINS0_14default_configELb0EPKbPbPKlPlN2at6native12_GLOBAL__N_18offset_tEEE10hipError_tPvRmT1_PNSt15iterator_traitsISY_E10value_typeET2_T3_PNSZ_IS14_E10value_typeET4_jRbjT5_S1A_jjP12ihipStream_tbEUljE_EEESV_SW_SX_S14_S18_S1A_T6_T7_T9_mT8_S1C_bDpT10_ENKUlT_T0_E_clISt17integral_constantIbLb1EES1O_IbLb0EEEEDaS1K_S1L_EUlS1K_E_NS1_11comp_targetILNS1_3genE4ELNS1_11target_archE910ELNS1_3gpuE8ELNS1_3repE0EEENS1_30default_config_static_selectorELNS0_4arch9wavefront6targetE0EEEvSY_
	.p2align	8
	.type	_ZN7rocprim17ROCPRIM_400000_NS6detail17trampoline_kernelINS0_13select_configILj256ELj13ELNS0_17block_load_methodE3ELS4_3ELS4_3ELNS0_20block_scan_algorithmE0ELj4294967295EEENS1_25partition_config_selectorILNS1_17partition_subalgoE3EjNS0_10empty_typeEbEEZZNS1_14partition_implILS8_3ELb0ES6_jNS0_17counting_iteratorIjlEEPS9_SE_NS0_5tupleIJPjSE_EEENSF_IJSE_SE_EEES9_SG_JZNS1_25segmented_radix_sort_implINS0_14default_configELb0EPKbPbPKlPlN2at6native12_GLOBAL__N_18offset_tEEE10hipError_tPvRmT1_PNSt15iterator_traitsISY_E10value_typeET2_T3_PNSZ_IS14_E10value_typeET4_jRbjT5_S1A_jjP12ihipStream_tbEUljE_EEESV_SW_SX_S14_S18_S1A_T6_T7_T9_mT8_S1C_bDpT10_ENKUlT_T0_E_clISt17integral_constantIbLb1EES1O_IbLb0EEEEDaS1K_S1L_EUlS1K_E_NS1_11comp_targetILNS1_3genE4ELNS1_11target_archE910ELNS1_3gpuE8ELNS1_3repE0EEENS1_30default_config_static_selectorELNS0_4arch9wavefront6targetE0EEEvSY_,@function
_ZN7rocprim17ROCPRIM_400000_NS6detail17trampoline_kernelINS0_13select_configILj256ELj13ELNS0_17block_load_methodE3ELS4_3ELS4_3ELNS0_20block_scan_algorithmE0ELj4294967295EEENS1_25partition_config_selectorILNS1_17partition_subalgoE3EjNS0_10empty_typeEbEEZZNS1_14partition_implILS8_3ELb0ES6_jNS0_17counting_iteratorIjlEEPS9_SE_NS0_5tupleIJPjSE_EEENSF_IJSE_SE_EEES9_SG_JZNS1_25segmented_radix_sort_implINS0_14default_configELb0EPKbPbPKlPlN2at6native12_GLOBAL__N_18offset_tEEE10hipError_tPvRmT1_PNSt15iterator_traitsISY_E10value_typeET2_T3_PNSZ_IS14_E10value_typeET4_jRbjT5_S1A_jjP12ihipStream_tbEUljE_EEESV_SW_SX_S14_S18_S1A_T6_T7_T9_mT8_S1C_bDpT10_ENKUlT_T0_E_clISt17integral_constantIbLb1EES1O_IbLb0EEEEDaS1K_S1L_EUlS1K_E_NS1_11comp_targetILNS1_3genE4ELNS1_11target_archE910ELNS1_3gpuE8ELNS1_3repE0EEENS1_30default_config_static_selectorELNS0_4arch9wavefront6targetE0EEEvSY_: ; @_ZN7rocprim17ROCPRIM_400000_NS6detail17trampoline_kernelINS0_13select_configILj256ELj13ELNS0_17block_load_methodE3ELS4_3ELS4_3ELNS0_20block_scan_algorithmE0ELj4294967295EEENS1_25partition_config_selectorILNS1_17partition_subalgoE3EjNS0_10empty_typeEbEEZZNS1_14partition_implILS8_3ELb0ES6_jNS0_17counting_iteratorIjlEEPS9_SE_NS0_5tupleIJPjSE_EEENSF_IJSE_SE_EEES9_SG_JZNS1_25segmented_radix_sort_implINS0_14default_configELb0EPKbPbPKlPlN2at6native12_GLOBAL__N_18offset_tEEE10hipError_tPvRmT1_PNSt15iterator_traitsISY_E10value_typeET2_T3_PNSZ_IS14_E10value_typeET4_jRbjT5_S1A_jjP12ihipStream_tbEUljE_EEESV_SW_SX_S14_S18_S1A_T6_T7_T9_mT8_S1C_bDpT10_ENKUlT_T0_E_clISt17integral_constantIbLb1EES1O_IbLb0EEEEDaS1K_S1L_EUlS1K_E_NS1_11comp_targetILNS1_3genE4ELNS1_11target_archE910ELNS1_3gpuE8ELNS1_3repE0EEENS1_30default_config_static_selectorELNS0_4arch9wavefront6targetE0EEEvSY_
; %bb.0:
	.section	.rodata,"a",@progbits
	.p2align	6, 0x0
	.amdhsa_kernel _ZN7rocprim17ROCPRIM_400000_NS6detail17trampoline_kernelINS0_13select_configILj256ELj13ELNS0_17block_load_methodE3ELS4_3ELS4_3ELNS0_20block_scan_algorithmE0ELj4294967295EEENS1_25partition_config_selectorILNS1_17partition_subalgoE3EjNS0_10empty_typeEbEEZZNS1_14partition_implILS8_3ELb0ES6_jNS0_17counting_iteratorIjlEEPS9_SE_NS0_5tupleIJPjSE_EEENSF_IJSE_SE_EEES9_SG_JZNS1_25segmented_radix_sort_implINS0_14default_configELb0EPKbPbPKlPlN2at6native12_GLOBAL__N_18offset_tEEE10hipError_tPvRmT1_PNSt15iterator_traitsISY_E10value_typeET2_T3_PNSZ_IS14_E10value_typeET4_jRbjT5_S1A_jjP12ihipStream_tbEUljE_EEESV_SW_SX_S14_S18_S1A_T6_T7_T9_mT8_S1C_bDpT10_ENKUlT_T0_E_clISt17integral_constantIbLb1EES1O_IbLb0EEEEDaS1K_S1L_EUlS1K_E_NS1_11comp_targetILNS1_3genE4ELNS1_11target_archE910ELNS1_3gpuE8ELNS1_3repE0EEENS1_30default_config_static_selectorELNS0_4arch9wavefront6targetE0EEEvSY_
		.amdhsa_group_segment_fixed_size 0
		.amdhsa_private_segment_fixed_size 0
		.amdhsa_kernarg_size 144
		.amdhsa_user_sgpr_count 15
		.amdhsa_user_sgpr_dispatch_ptr 0
		.amdhsa_user_sgpr_queue_ptr 0
		.amdhsa_user_sgpr_kernarg_segment_ptr 1
		.amdhsa_user_sgpr_dispatch_id 0
		.amdhsa_user_sgpr_private_segment_size 0
		.amdhsa_wavefront_size32 1
		.amdhsa_uses_dynamic_stack 0
		.amdhsa_enable_private_segment 0
		.amdhsa_system_sgpr_workgroup_id_x 1
		.amdhsa_system_sgpr_workgroup_id_y 0
		.amdhsa_system_sgpr_workgroup_id_z 0
		.amdhsa_system_sgpr_workgroup_info 0
		.amdhsa_system_vgpr_workitem_id 0
		.amdhsa_next_free_vgpr 1
		.amdhsa_next_free_sgpr 1
		.amdhsa_reserve_vcc 0
		.amdhsa_float_round_mode_32 0
		.amdhsa_float_round_mode_16_64 0
		.amdhsa_float_denorm_mode_32 3
		.amdhsa_float_denorm_mode_16_64 3
		.amdhsa_dx10_clamp 1
		.amdhsa_ieee_mode 1
		.amdhsa_fp16_overflow 0
		.amdhsa_workgroup_processor_mode 1
		.amdhsa_memory_ordered 1
		.amdhsa_forward_progress 0
		.amdhsa_shared_vgpr_count 0
		.amdhsa_exception_fp_ieee_invalid_op 0
		.amdhsa_exception_fp_denorm_src 0
		.amdhsa_exception_fp_ieee_div_zero 0
		.amdhsa_exception_fp_ieee_overflow 0
		.amdhsa_exception_fp_ieee_underflow 0
		.amdhsa_exception_fp_ieee_inexact 0
		.amdhsa_exception_int_div_zero 0
	.end_amdhsa_kernel
	.section	.text._ZN7rocprim17ROCPRIM_400000_NS6detail17trampoline_kernelINS0_13select_configILj256ELj13ELNS0_17block_load_methodE3ELS4_3ELS4_3ELNS0_20block_scan_algorithmE0ELj4294967295EEENS1_25partition_config_selectorILNS1_17partition_subalgoE3EjNS0_10empty_typeEbEEZZNS1_14partition_implILS8_3ELb0ES6_jNS0_17counting_iteratorIjlEEPS9_SE_NS0_5tupleIJPjSE_EEENSF_IJSE_SE_EEES9_SG_JZNS1_25segmented_radix_sort_implINS0_14default_configELb0EPKbPbPKlPlN2at6native12_GLOBAL__N_18offset_tEEE10hipError_tPvRmT1_PNSt15iterator_traitsISY_E10value_typeET2_T3_PNSZ_IS14_E10value_typeET4_jRbjT5_S1A_jjP12ihipStream_tbEUljE_EEESV_SW_SX_S14_S18_S1A_T6_T7_T9_mT8_S1C_bDpT10_ENKUlT_T0_E_clISt17integral_constantIbLb1EES1O_IbLb0EEEEDaS1K_S1L_EUlS1K_E_NS1_11comp_targetILNS1_3genE4ELNS1_11target_archE910ELNS1_3gpuE8ELNS1_3repE0EEENS1_30default_config_static_selectorELNS0_4arch9wavefront6targetE0EEEvSY_,"axG",@progbits,_ZN7rocprim17ROCPRIM_400000_NS6detail17trampoline_kernelINS0_13select_configILj256ELj13ELNS0_17block_load_methodE3ELS4_3ELS4_3ELNS0_20block_scan_algorithmE0ELj4294967295EEENS1_25partition_config_selectorILNS1_17partition_subalgoE3EjNS0_10empty_typeEbEEZZNS1_14partition_implILS8_3ELb0ES6_jNS0_17counting_iteratorIjlEEPS9_SE_NS0_5tupleIJPjSE_EEENSF_IJSE_SE_EEES9_SG_JZNS1_25segmented_radix_sort_implINS0_14default_configELb0EPKbPbPKlPlN2at6native12_GLOBAL__N_18offset_tEEE10hipError_tPvRmT1_PNSt15iterator_traitsISY_E10value_typeET2_T3_PNSZ_IS14_E10value_typeET4_jRbjT5_S1A_jjP12ihipStream_tbEUljE_EEESV_SW_SX_S14_S18_S1A_T6_T7_T9_mT8_S1C_bDpT10_ENKUlT_T0_E_clISt17integral_constantIbLb1EES1O_IbLb0EEEEDaS1K_S1L_EUlS1K_E_NS1_11comp_targetILNS1_3genE4ELNS1_11target_archE910ELNS1_3gpuE8ELNS1_3repE0EEENS1_30default_config_static_selectorELNS0_4arch9wavefront6targetE0EEEvSY_,comdat
.Lfunc_end1621:
	.size	_ZN7rocprim17ROCPRIM_400000_NS6detail17trampoline_kernelINS0_13select_configILj256ELj13ELNS0_17block_load_methodE3ELS4_3ELS4_3ELNS0_20block_scan_algorithmE0ELj4294967295EEENS1_25partition_config_selectorILNS1_17partition_subalgoE3EjNS0_10empty_typeEbEEZZNS1_14partition_implILS8_3ELb0ES6_jNS0_17counting_iteratorIjlEEPS9_SE_NS0_5tupleIJPjSE_EEENSF_IJSE_SE_EEES9_SG_JZNS1_25segmented_radix_sort_implINS0_14default_configELb0EPKbPbPKlPlN2at6native12_GLOBAL__N_18offset_tEEE10hipError_tPvRmT1_PNSt15iterator_traitsISY_E10value_typeET2_T3_PNSZ_IS14_E10value_typeET4_jRbjT5_S1A_jjP12ihipStream_tbEUljE_EEESV_SW_SX_S14_S18_S1A_T6_T7_T9_mT8_S1C_bDpT10_ENKUlT_T0_E_clISt17integral_constantIbLb1EES1O_IbLb0EEEEDaS1K_S1L_EUlS1K_E_NS1_11comp_targetILNS1_3genE4ELNS1_11target_archE910ELNS1_3gpuE8ELNS1_3repE0EEENS1_30default_config_static_selectorELNS0_4arch9wavefront6targetE0EEEvSY_, .Lfunc_end1621-_ZN7rocprim17ROCPRIM_400000_NS6detail17trampoline_kernelINS0_13select_configILj256ELj13ELNS0_17block_load_methodE3ELS4_3ELS4_3ELNS0_20block_scan_algorithmE0ELj4294967295EEENS1_25partition_config_selectorILNS1_17partition_subalgoE3EjNS0_10empty_typeEbEEZZNS1_14partition_implILS8_3ELb0ES6_jNS0_17counting_iteratorIjlEEPS9_SE_NS0_5tupleIJPjSE_EEENSF_IJSE_SE_EEES9_SG_JZNS1_25segmented_radix_sort_implINS0_14default_configELb0EPKbPbPKlPlN2at6native12_GLOBAL__N_18offset_tEEE10hipError_tPvRmT1_PNSt15iterator_traitsISY_E10value_typeET2_T3_PNSZ_IS14_E10value_typeET4_jRbjT5_S1A_jjP12ihipStream_tbEUljE_EEESV_SW_SX_S14_S18_S1A_T6_T7_T9_mT8_S1C_bDpT10_ENKUlT_T0_E_clISt17integral_constantIbLb1EES1O_IbLb0EEEEDaS1K_S1L_EUlS1K_E_NS1_11comp_targetILNS1_3genE4ELNS1_11target_archE910ELNS1_3gpuE8ELNS1_3repE0EEENS1_30default_config_static_selectorELNS0_4arch9wavefront6targetE0EEEvSY_
                                        ; -- End function
	.section	.AMDGPU.csdata,"",@progbits
; Kernel info:
; codeLenInByte = 0
; NumSgprs: 0
; NumVgprs: 0
; ScratchSize: 0
; MemoryBound: 0
; FloatMode: 240
; IeeeMode: 1
; LDSByteSize: 0 bytes/workgroup (compile time only)
; SGPRBlocks: 0
; VGPRBlocks: 0
; NumSGPRsForWavesPerEU: 1
; NumVGPRsForWavesPerEU: 1
; Occupancy: 16
; WaveLimiterHint : 0
; COMPUTE_PGM_RSRC2:SCRATCH_EN: 0
; COMPUTE_PGM_RSRC2:USER_SGPR: 15
; COMPUTE_PGM_RSRC2:TRAP_HANDLER: 0
; COMPUTE_PGM_RSRC2:TGID_X_EN: 1
; COMPUTE_PGM_RSRC2:TGID_Y_EN: 0
; COMPUTE_PGM_RSRC2:TGID_Z_EN: 0
; COMPUTE_PGM_RSRC2:TIDIG_COMP_CNT: 0
	.section	.text._ZN7rocprim17ROCPRIM_400000_NS6detail17trampoline_kernelINS0_13select_configILj256ELj13ELNS0_17block_load_methodE3ELS4_3ELS4_3ELNS0_20block_scan_algorithmE0ELj4294967295EEENS1_25partition_config_selectorILNS1_17partition_subalgoE3EjNS0_10empty_typeEbEEZZNS1_14partition_implILS8_3ELb0ES6_jNS0_17counting_iteratorIjlEEPS9_SE_NS0_5tupleIJPjSE_EEENSF_IJSE_SE_EEES9_SG_JZNS1_25segmented_radix_sort_implINS0_14default_configELb0EPKbPbPKlPlN2at6native12_GLOBAL__N_18offset_tEEE10hipError_tPvRmT1_PNSt15iterator_traitsISY_E10value_typeET2_T3_PNSZ_IS14_E10value_typeET4_jRbjT5_S1A_jjP12ihipStream_tbEUljE_EEESV_SW_SX_S14_S18_S1A_T6_T7_T9_mT8_S1C_bDpT10_ENKUlT_T0_E_clISt17integral_constantIbLb1EES1O_IbLb0EEEEDaS1K_S1L_EUlS1K_E_NS1_11comp_targetILNS1_3genE3ELNS1_11target_archE908ELNS1_3gpuE7ELNS1_3repE0EEENS1_30default_config_static_selectorELNS0_4arch9wavefront6targetE0EEEvSY_,"axG",@progbits,_ZN7rocprim17ROCPRIM_400000_NS6detail17trampoline_kernelINS0_13select_configILj256ELj13ELNS0_17block_load_methodE3ELS4_3ELS4_3ELNS0_20block_scan_algorithmE0ELj4294967295EEENS1_25partition_config_selectorILNS1_17partition_subalgoE3EjNS0_10empty_typeEbEEZZNS1_14partition_implILS8_3ELb0ES6_jNS0_17counting_iteratorIjlEEPS9_SE_NS0_5tupleIJPjSE_EEENSF_IJSE_SE_EEES9_SG_JZNS1_25segmented_radix_sort_implINS0_14default_configELb0EPKbPbPKlPlN2at6native12_GLOBAL__N_18offset_tEEE10hipError_tPvRmT1_PNSt15iterator_traitsISY_E10value_typeET2_T3_PNSZ_IS14_E10value_typeET4_jRbjT5_S1A_jjP12ihipStream_tbEUljE_EEESV_SW_SX_S14_S18_S1A_T6_T7_T9_mT8_S1C_bDpT10_ENKUlT_T0_E_clISt17integral_constantIbLb1EES1O_IbLb0EEEEDaS1K_S1L_EUlS1K_E_NS1_11comp_targetILNS1_3genE3ELNS1_11target_archE908ELNS1_3gpuE7ELNS1_3repE0EEENS1_30default_config_static_selectorELNS0_4arch9wavefront6targetE0EEEvSY_,comdat
	.globl	_ZN7rocprim17ROCPRIM_400000_NS6detail17trampoline_kernelINS0_13select_configILj256ELj13ELNS0_17block_load_methodE3ELS4_3ELS4_3ELNS0_20block_scan_algorithmE0ELj4294967295EEENS1_25partition_config_selectorILNS1_17partition_subalgoE3EjNS0_10empty_typeEbEEZZNS1_14partition_implILS8_3ELb0ES6_jNS0_17counting_iteratorIjlEEPS9_SE_NS0_5tupleIJPjSE_EEENSF_IJSE_SE_EEES9_SG_JZNS1_25segmented_radix_sort_implINS0_14default_configELb0EPKbPbPKlPlN2at6native12_GLOBAL__N_18offset_tEEE10hipError_tPvRmT1_PNSt15iterator_traitsISY_E10value_typeET2_T3_PNSZ_IS14_E10value_typeET4_jRbjT5_S1A_jjP12ihipStream_tbEUljE_EEESV_SW_SX_S14_S18_S1A_T6_T7_T9_mT8_S1C_bDpT10_ENKUlT_T0_E_clISt17integral_constantIbLb1EES1O_IbLb0EEEEDaS1K_S1L_EUlS1K_E_NS1_11comp_targetILNS1_3genE3ELNS1_11target_archE908ELNS1_3gpuE7ELNS1_3repE0EEENS1_30default_config_static_selectorELNS0_4arch9wavefront6targetE0EEEvSY_ ; -- Begin function _ZN7rocprim17ROCPRIM_400000_NS6detail17trampoline_kernelINS0_13select_configILj256ELj13ELNS0_17block_load_methodE3ELS4_3ELS4_3ELNS0_20block_scan_algorithmE0ELj4294967295EEENS1_25partition_config_selectorILNS1_17partition_subalgoE3EjNS0_10empty_typeEbEEZZNS1_14partition_implILS8_3ELb0ES6_jNS0_17counting_iteratorIjlEEPS9_SE_NS0_5tupleIJPjSE_EEENSF_IJSE_SE_EEES9_SG_JZNS1_25segmented_radix_sort_implINS0_14default_configELb0EPKbPbPKlPlN2at6native12_GLOBAL__N_18offset_tEEE10hipError_tPvRmT1_PNSt15iterator_traitsISY_E10value_typeET2_T3_PNSZ_IS14_E10value_typeET4_jRbjT5_S1A_jjP12ihipStream_tbEUljE_EEESV_SW_SX_S14_S18_S1A_T6_T7_T9_mT8_S1C_bDpT10_ENKUlT_T0_E_clISt17integral_constantIbLb1EES1O_IbLb0EEEEDaS1K_S1L_EUlS1K_E_NS1_11comp_targetILNS1_3genE3ELNS1_11target_archE908ELNS1_3gpuE7ELNS1_3repE0EEENS1_30default_config_static_selectorELNS0_4arch9wavefront6targetE0EEEvSY_
	.p2align	8
	.type	_ZN7rocprim17ROCPRIM_400000_NS6detail17trampoline_kernelINS0_13select_configILj256ELj13ELNS0_17block_load_methodE3ELS4_3ELS4_3ELNS0_20block_scan_algorithmE0ELj4294967295EEENS1_25partition_config_selectorILNS1_17partition_subalgoE3EjNS0_10empty_typeEbEEZZNS1_14partition_implILS8_3ELb0ES6_jNS0_17counting_iteratorIjlEEPS9_SE_NS0_5tupleIJPjSE_EEENSF_IJSE_SE_EEES9_SG_JZNS1_25segmented_radix_sort_implINS0_14default_configELb0EPKbPbPKlPlN2at6native12_GLOBAL__N_18offset_tEEE10hipError_tPvRmT1_PNSt15iterator_traitsISY_E10value_typeET2_T3_PNSZ_IS14_E10value_typeET4_jRbjT5_S1A_jjP12ihipStream_tbEUljE_EEESV_SW_SX_S14_S18_S1A_T6_T7_T9_mT8_S1C_bDpT10_ENKUlT_T0_E_clISt17integral_constantIbLb1EES1O_IbLb0EEEEDaS1K_S1L_EUlS1K_E_NS1_11comp_targetILNS1_3genE3ELNS1_11target_archE908ELNS1_3gpuE7ELNS1_3repE0EEENS1_30default_config_static_selectorELNS0_4arch9wavefront6targetE0EEEvSY_,@function
_ZN7rocprim17ROCPRIM_400000_NS6detail17trampoline_kernelINS0_13select_configILj256ELj13ELNS0_17block_load_methodE3ELS4_3ELS4_3ELNS0_20block_scan_algorithmE0ELj4294967295EEENS1_25partition_config_selectorILNS1_17partition_subalgoE3EjNS0_10empty_typeEbEEZZNS1_14partition_implILS8_3ELb0ES6_jNS0_17counting_iteratorIjlEEPS9_SE_NS0_5tupleIJPjSE_EEENSF_IJSE_SE_EEES9_SG_JZNS1_25segmented_radix_sort_implINS0_14default_configELb0EPKbPbPKlPlN2at6native12_GLOBAL__N_18offset_tEEE10hipError_tPvRmT1_PNSt15iterator_traitsISY_E10value_typeET2_T3_PNSZ_IS14_E10value_typeET4_jRbjT5_S1A_jjP12ihipStream_tbEUljE_EEESV_SW_SX_S14_S18_S1A_T6_T7_T9_mT8_S1C_bDpT10_ENKUlT_T0_E_clISt17integral_constantIbLb1EES1O_IbLb0EEEEDaS1K_S1L_EUlS1K_E_NS1_11comp_targetILNS1_3genE3ELNS1_11target_archE908ELNS1_3gpuE7ELNS1_3repE0EEENS1_30default_config_static_selectorELNS0_4arch9wavefront6targetE0EEEvSY_: ; @_ZN7rocprim17ROCPRIM_400000_NS6detail17trampoline_kernelINS0_13select_configILj256ELj13ELNS0_17block_load_methodE3ELS4_3ELS4_3ELNS0_20block_scan_algorithmE0ELj4294967295EEENS1_25partition_config_selectorILNS1_17partition_subalgoE3EjNS0_10empty_typeEbEEZZNS1_14partition_implILS8_3ELb0ES6_jNS0_17counting_iteratorIjlEEPS9_SE_NS0_5tupleIJPjSE_EEENSF_IJSE_SE_EEES9_SG_JZNS1_25segmented_radix_sort_implINS0_14default_configELb0EPKbPbPKlPlN2at6native12_GLOBAL__N_18offset_tEEE10hipError_tPvRmT1_PNSt15iterator_traitsISY_E10value_typeET2_T3_PNSZ_IS14_E10value_typeET4_jRbjT5_S1A_jjP12ihipStream_tbEUljE_EEESV_SW_SX_S14_S18_S1A_T6_T7_T9_mT8_S1C_bDpT10_ENKUlT_T0_E_clISt17integral_constantIbLb1EES1O_IbLb0EEEEDaS1K_S1L_EUlS1K_E_NS1_11comp_targetILNS1_3genE3ELNS1_11target_archE908ELNS1_3gpuE7ELNS1_3repE0EEENS1_30default_config_static_selectorELNS0_4arch9wavefront6targetE0EEEvSY_
; %bb.0:
	.section	.rodata,"a",@progbits
	.p2align	6, 0x0
	.amdhsa_kernel _ZN7rocprim17ROCPRIM_400000_NS6detail17trampoline_kernelINS0_13select_configILj256ELj13ELNS0_17block_load_methodE3ELS4_3ELS4_3ELNS0_20block_scan_algorithmE0ELj4294967295EEENS1_25partition_config_selectorILNS1_17partition_subalgoE3EjNS0_10empty_typeEbEEZZNS1_14partition_implILS8_3ELb0ES6_jNS0_17counting_iteratorIjlEEPS9_SE_NS0_5tupleIJPjSE_EEENSF_IJSE_SE_EEES9_SG_JZNS1_25segmented_radix_sort_implINS0_14default_configELb0EPKbPbPKlPlN2at6native12_GLOBAL__N_18offset_tEEE10hipError_tPvRmT1_PNSt15iterator_traitsISY_E10value_typeET2_T3_PNSZ_IS14_E10value_typeET4_jRbjT5_S1A_jjP12ihipStream_tbEUljE_EEESV_SW_SX_S14_S18_S1A_T6_T7_T9_mT8_S1C_bDpT10_ENKUlT_T0_E_clISt17integral_constantIbLb1EES1O_IbLb0EEEEDaS1K_S1L_EUlS1K_E_NS1_11comp_targetILNS1_3genE3ELNS1_11target_archE908ELNS1_3gpuE7ELNS1_3repE0EEENS1_30default_config_static_selectorELNS0_4arch9wavefront6targetE0EEEvSY_
		.amdhsa_group_segment_fixed_size 0
		.amdhsa_private_segment_fixed_size 0
		.amdhsa_kernarg_size 144
		.amdhsa_user_sgpr_count 15
		.amdhsa_user_sgpr_dispatch_ptr 0
		.amdhsa_user_sgpr_queue_ptr 0
		.amdhsa_user_sgpr_kernarg_segment_ptr 1
		.amdhsa_user_sgpr_dispatch_id 0
		.amdhsa_user_sgpr_private_segment_size 0
		.amdhsa_wavefront_size32 1
		.amdhsa_uses_dynamic_stack 0
		.amdhsa_enable_private_segment 0
		.amdhsa_system_sgpr_workgroup_id_x 1
		.amdhsa_system_sgpr_workgroup_id_y 0
		.amdhsa_system_sgpr_workgroup_id_z 0
		.amdhsa_system_sgpr_workgroup_info 0
		.amdhsa_system_vgpr_workitem_id 0
		.amdhsa_next_free_vgpr 1
		.amdhsa_next_free_sgpr 1
		.amdhsa_reserve_vcc 0
		.amdhsa_float_round_mode_32 0
		.amdhsa_float_round_mode_16_64 0
		.amdhsa_float_denorm_mode_32 3
		.amdhsa_float_denorm_mode_16_64 3
		.amdhsa_dx10_clamp 1
		.amdhsa_ieee_mode 1
		.amdhsa_fp16_overflow 0
		.amdhsa_workgroup_processor_mode 1
		.amdhsa_memory_ordered 1
		.amdhsa_forward_progress 0
		.amdhsa_shared_vgpr_count 0
		.amdhsa_exception_fp_ieee_invalid_op 0
		.amdhsa_exception_fp_denorm_src 0
		.amdhsa_exception_fp_ieee_div_zero 0
		.amdhsa_exception_fp_ieee_overflow 0
		.amdhsa_exception_fp_ieee_underflow 0
		.amdhsa_exception_fp_ieee_inexact 0
		.amdhsa_exception_int_div_zero 0
	.end_amdhsa_kernel
	.section	.text._ZN7rocprim17ROCPRIM_400000_NS6detail17trampoline_kernelINS0_13select_configILj256ELj13ELNS0_17block_load_methodE3ELS4_3ELS4_3ELNS0_20block_scan_algorithmE0ELj4294967295EEENS1_25partition_config_selectorILNS1_17partition_subalgoE3EjNS0_10empty_typeEbEEZZNS1_14partition_implILS8_3ELb0ES6_jNS0_17counting_iteratorIjlEEPS9_SE_NS0_5tupleIJPjSE_EEENSF_IJSE_SE_EEES9_SG_JZNS1_25segmented_radix_sort_implINS0_14default_configELb0EPKbPbPKlPlN2at6native12_GLOBAL__N_18offset_tEEE10hipError_tPvRmT1_PNSt15iterator_traitsISY_E10value_typeET2_T3_PNSZ_IS14_E10value_typeET4_jRbjT5_S1A_jjP12ihipStream_tbEUljE_EEESV_SW_SX_S14_S18_S1A_T6_T7_T9_mT8_S1C_bDpT10_ENKUlT_T0_E_clISt17integral_constantIbLb1EES1O_IbLb0EEEEDaS1K_S1L_EUlS1K_E_NS1_11comp_targetILNS1_3genE3ELNS1_11target_archE908ELNS1_3gpuE7ELNS1_3repE0EEENS1_30default_config_static_selectorELNS0_4arch9wavefront6targetE0EEEvSY_,"axG",@progbits,_ZN7rocprim17ROCPRIM_400000_NS6detail17trampoline_kernelINS0_13select_configILj256ELj13ELNS0_17block_load_methodE3ELS4_3ELS4_3ELNS0_20block_scan_algorithmE0ELj4294967295EEENS1_25partition_config_selectorILNS1_17partition_subalgoE3EjNS0_10empty_typeEbEEZZNS1_14partition_implILS8_3ELb0ES6_jNS0_17counting_iteratorIjlEEPS9_SE_NS0_5tupleIJPjSE_EEENSF_IJSE_SE_EEES9_SG_JZNS1_25segmented_radix_sort_implINS0_14default_configELb0EPKbPbPKlPlN2at6native12_GLOBAL__N_18offset_tEEE10hipError_tPvRmT1_PNSt15iterator_traitsISY_E10value_typeET2_T3_PNSZ_IS14_E10value_typeET4_jRbjT5_S1A_jjP12ihipStream_tbEUljE_EEESV_SW_SX_S14_S18_S1A_T6_T7_T9_mT8_S1C_bDpT10_ENKUlT_T0_E_clISt17integral_constantIbLb1EES1O_IbLb0EEEEDaS1K_S1L_EUlS1K_E_NS1_11comp_targetILNS1_3genE3ELNS1_11target_archE908ELNS1_3gpuE7ELNS1_3repE0EEENS1_30default_config_static_selectorELNS0_4arch9wavefront6targetE0EEEvSY_,comdat
.Lfunc_end1622:
	.size	_ZN7rocprim17ROCPRIM_400000_NS6detail17trampoline_kernelINS0_13select_configILj256ELj13ELNS0_17block_load_methodE3ELS4_3ELS4_3ELNS0_20block_scan_algorithmE0ELj4294967295EEENS1_25partition_config_selectorILNS1_17partition_subalgoE3EjNS0_10empty_typeEbEEZZNS1_14partition_implILS8_3ELb0ES6_jNS0_17counting_iteratorIjlEEPS9_SE_NS0_5tupleIJPjSE_EEENSF_IJSE_SE_EEES9_SG_JZNS1_25segmented_radix_sort_implINS0_14default_configELb0EPKbPbPKlPlN2at6native12_GLOBAL__N_18offset_tEEE10hipError_tPvRmT1_PNSt15iterator_traitsISY_E10value_typeET2_T3_PNSZ_IS14_E10value_typeET4_jRbjT5_S1A_jjP12ihipStream_tbEUljE_EEESV_SW_SX_S14_S18_S1A_T6_T7_T9_mT8_S1C_bDpT10_ENKUlT_T0_E_clISt17integral_constantIbLb1EES1O_IbLb0EEEEDaS1K_S1L_EUlS1K_E_NS1_11comp_targetILNS1_3genE3ELNS1_11target_archE908ELNS1_3gpuE7ELNS1_3repE0EEENS1_30default_config_static_selectorELNS0_4arch9wavefront6targetE0EEEvSY_, .Lfunc_end1622-_ZN7rocprim17ROCPRIM_400000_NS6detail17trampoline_kernelINS0_13select_configILj256ELj13ELNS0_17block_load_methodE3ELS4_3ELS4_3ELNS0_20block_scan_algorithmE0ELj4294967295EEENS1_25partition_config_selectorILNS1_17partition_subalgoE3EjNS0_10empty_typeEbEEZZNS1_14partition_implILS8_3ELb0ES6_jNS0_17counting_iteratorIjlEEPS9_SE_NS0_5tupleIJPjSE_EEENSF_IJSE_SE_EEES9_SG_JZNS1_25segmented_radix_sort_implINS0_14default_configELb0EPKbPbPKlPlN2at6native12_GLOBAL__N_18offset_tEEE10hipError_tPvRmT1_PNSt15iterator_traitsISY_E10value_typeET2_T3_PNSZ_IS14_E10value_typeET4_jRbjT5_S1A_jjP12ihipStream_tbEUljE_EEESV_SW_SX_S14_S18_S1A_T6_T7_T9_mT8_S1C_bDpT10_ENKUlT_T0_E_clISt17integral_constantIbLb1EES1O_IbLb0EEEEDaS1K_S1L_EUlS1K_E_NS1_11comp_targetILNS1_3genE3ELNS1_11target_archE908ELNS1_3gpuE7ELNS1_3repE0EEENS1_30default_config_static_selectorELNS0_4arch9wavefront6targetE0EEEvSY_
                                        ; -- End function
	.section	.AMDGPU.csdata,"",@progbits
; Kernel info:
; codeLenInByte = 0
; NumSgprs: 0
; NumVgprs: 0
; ScratchSize: 0
; MemoryBound: 0
; FloatMode: 240
; IeeeMode: 1
; LDSByteSize: 0 bytes/workgroup (compile time only)
; SGPRBlocks: 0
; VGPRBlocks: 0
; NumSGPRsForWavesPerEU: 1
; NumVGPRsForWavesPerEU: 1
; Occupancy: 16
; WaveLimiterHint : 0
; COMPUTE_PGM_RSRC2:SCRATCH_EN: 0
; COMPUTE_PGM_RSRC2:USER_SGPR: 15
; COMPUTE_PGM_RSRC2:TRAP_HANDLER: 0
; COMPUTE_PGM_RSRC2:TGID_X_EN: 1
; COMPUTE_PGM_RSRC2:TGID_Y_EN: 0
; COMPUTE_PGM_RSRC2:TGID_Z_EN: 0
; COMPUTE_PGM_RSRC2:TIDIG_COMP_CNT: 0
	.section	.text._ZN7rocprim17ROCPRIM_400000_NS6detail17trampoline_kernelINS0_13select_configILj256ELj13ELNS0_17block_load_methodE3ELS4_3ELS4_3ELNS0_20block_scan_algorithmE0ELj4294967295EEENS1_25partition_config_selectorILNS1_17partition_subalgoE3EjNS0_10empty_typeEbEEZZNS1_14partition_implILS8_3ELb0ES6_jNS0_17counting_iteratorIjlEEPS9_SE_NS0_5tupleIJPjSE_EEENSF_IJSE_SE_EEES9_SG_JZNS1_25segmented_radix_sort_implINS0_14default_configELb0EPKbPbPKlPlN2at6native12_GLOBAL__N_18offset_tEEE10hipError_tPvRmT1_PNSt15iterator_traitsISY_E10value_typeET2_T3_PNSZ_IS14_E10value_typeET4_jRbjT5_S1A_jjP12ihipStream_tbEUljE_EEESV_SW_SX_S14_S18_S1A_T6_T7_T9_mT8_S1C_bDpT10_ENKUlT_T0_E_clISt17integral_constantIbLb1EES1O_IbLb0EEEEDaS1K_S1L_EUlS1K_E_NS1_11comp_targetILNS1_3genE2ELNS1_11target_archE906ELNS1_3gpuE6ELNS1_3repE0EEENS1_30default_config_static_selectorELNS0_4arch9wavefront6targetE0EEEvSY_,"axG",@progbits,_ZN7rocprim17ROCPRIM_400000_NS6detail17trampoline_kernelINS0_13select_configILj256ELj13ELNS0_17block_load_methodE3ELS4_3ELS4_3ELNS0_20block_scan_algorithmE0ELj4294967295EEENS1_25partition_config_selectorILNS1_17partition_subalgoE3EjNS0_10empty_typeEbEEZZNS1_14partition_implILS8_3ELb0ES6_jNS0_17counting_iteratorIjlEEPS9_SE_NS0_5tupleIJPjSE_EEENSF_IJSE_SE_EEES9_SG_JZNS1_25segmented_radix_sort_implINS0_14default_configELb0EPKbPbPKlPlN2at6native12_GLOBAL__N_18offset_tEEE10hipError_tPvRmT1_PNSt15iterator_traitsISY_E10value_typeET2_T3_PNSZ_IS14_E10value_typeET4_jRbjT5_S1A_jjP12ihipStream_tbEUljE_EEESV_SW_SX_S14_S18_S1A_T6_T7_T9_mT8_S1C_bDpT10_ENKUlT_T0_E_clISt17integral_constantIbLb1EES1O_IbLb0EEEEDaS1K_S1L_EUlS1K_E_NS1_11comp_targetILNS1_3genE2ELNS1_11target_archE906ELNS1_3gpuE6ELNS1_3repE0EEENS1_30default_config_static_selectorELNS0_4arch9wavefront6targetE0EEEvSY_,comdat
	.globl	_ZN7rocprim17ROCPRIM_400000_NS6detail17trampoline_kernelINS0_13select_configILj256ELj13ELNS0_17block_load_methodE3ELS4_3ELS4_3ELNS0_20block_scan_algorithmE0ELj4294967295EEENS1_25partition_config_selectorILNS1_17partition_subalgoE3EjNS0_10empty_typeEbEEZZNS1_14partition_implILS8_3ELb0ES6_jNS0_17counting_iteratorIjlEEPS9_SE_NS0_5tupleIJPjSE_EEENSF_IJSE_SE_EEES9_SG_JZNS1_25segmented_radix_sort_implINS0_14default_configELb0EPKbPbPKlPlN2at6native12_GLOBAL__N_18offset_tEEE10hipError_tPvRmT1_PNSt15iterator_traitsISY_E10value_typeET2_T3_PNSZ_IS14_E10value_typeET4_jRbjT5_S1A_jjP12ihipStream_tbEUljE_EEESV_SW_SX_S14_S18_S1A_T6_T7_T9_mT8_S1C_bDpT10_ENKUlT_T0_E_clISt17integral_constantIbLb1EES1O_IbLb0EEEEDaS1K_S1L_EUlS1K_E_NS1_11comp_targetILNS1_3genE2ELNS1_11target_archE906ELNS1_3gpuE6ELNS1_3repE0EEENS1_30default_config_static_selectorELNS0_4arch9wavefront6targetE0EEEvSY_ ; -- Begin function _ZN7rocprim17ROCPRIM_400000_NS6detail17trampoline_kernelINS0_13select_configILj256ELj13ELNS0_17block_load_methodE3ELS4_3ELS4_3ELNS0_20block_scan_algorithmE0ELj4294967295EEENS1_25partition_config_selectorILNS1_17partition_subalgoE3EjNS0_10empty_typeEbEEZZNS1_14partition_implILS8_3ELb0ES6_jNS0_17counting_iteratorIjlEEPS9_SE_NS0_5tupleIJPjSE_EEENSF_IJSE_SE_EEES9_SG_JZNS1_25segmented_radix_sort_implINS0_14default_configELb0EPKbPbPKlPlN2at6native12_GLOBAL__N_18offset_tEEE10hipError_tPvRmT1_PNSt15iterator_traitsISY_E10value_typeET2_T3_PNSZ_IS14_E10value_typeET4_jRbjT5_S1A_jjP12ihipStream_tbEUljE_EEESV_SW_SX_S14_S18_S1A_T6_T7_T9_mT8_S1C_bDpT10_ENKUlT_T0_E_clISt17integral_constantIbLb1EES1O_IbLb0EEEEDaS1K_S1L_EUlS1K_E_NS1_11comp_targetILNS1_3genE2ELNS1_11target_archE906ELNS1_3gpuE6ELNS1_3repE0EEENS1_30default_config_static_selectorELNS0_4arch9wavefront6targetE0EEEvSY_
	.p2align	8
	.type	_ZN7rocprim17ROCPRIM_400000_NS6detail17trampoline_kernelINS0_13select_configILj256ELj13ELNS0_17block_load_methodE3ELS4_3ELS4_3ELNS0_20block_scan_algorithmE0ELj4294967295EEENS1_25partition_config_selectorILNS1_17partition_subalgoE3EjNS0_10empty_typeEbEEZZNS1_14partition_implILS8_3ELb0ES6_jNS0_17counting_iteratorIjlEEPS9_SE_NS0_5tupleIJPjSE_EEENSF_IJSE_SE_EEES9_SG_JZNS1_25segmented_radix_sort_implINS0_14default_configELb0EPKbPbPKlPlN2at6native12_GLOBAL__N_18offset_tEEE10hipError_tPvRmT1_PNSt15iterator_traitsISY_E10value_typeET2_T3_PNSZ_IS14_E10value_typeET4_jRbjT5_S1A_jjP12ihipStream_tbEUljE_EEESV_SW_SX_S14_S18_S1A_T6_T7_T9_mT8_S1C_bDpT10_ENKUlT_T0_E_clISt17integral_constantIbLb1EES1O_IbLb0EEEEDaS1K_S1L_EUlS1K_E_NS1_11comp_targetILNS1_3genE2ELNS1_11target_archE906ELNS1_3gpuE6ELNS1_3repE0EEENS1_30default_config_static_selectorELNS0_4arch9wavefront6targetE0EEEvSY_,@function
_ZN7rocprim17ROCPRIM_400000_NS6detail17trampoline_kernelINS0_13select_configILj256ELj13ELNS0_17block_load_methodE3ELS4_3ELS4_3ELNS0_20block_scan_algorithmE0ELj4294967295EEENS1_25partition_config_selectorILNS1_17partition_subalgoE3EjNS0_10empty_typeEbEEZZNS1_14partition_implILS8_3ELb0ES6_jNS0_17counting_iteratorIjlEEPS9_SE_NS0_5tupleIJPjSE_EEENSF_IJSE_SE_EEES9_SG_JZNS1_25segmented_radix_sort_implINS0_14default_configELb0EPKbPbPKlPlN2at6native12_GLOBAL__N_18offset_tEEE10hipError_tPvRmT1_PNSt15iterator_traitsISY_E10value_typeET2_T3_PNSZ_IS14_E10value_typeET4_jRbjT5_S1A_jjP12ihipStream_tbEUljE_EEESV_SW_SX_S14_S18_S1A_T6_T7_T9_mT8_S1C_bDpT10_ENKUlT_T0_E_clISt17integral_constantIbLb1EES1O_IbLb0EEEEDaS1K_S1L_EUlS1K_E_NS1_11comp_targetILNS1_3genE2ELNS1_11target_archE906ELNS1_3gpuE6ELNS1_3repE0EEENS1_30default_config_static_selectorELNS0_4arch9wavefront6targetE0EEEvSY_: ; @_ZN7rocprim17ROCPRIM_400000_NS6detail17trampoline_kernelINS0_13select_configILj256ELj13ELNS0_17block_load_methodE3ELS4_3ELS4_3ELNS0_20block_scan_algorithmE0ELj4294967295EEENS1_25partition_config_selectorILNS1_17partition_subalgoE3EjNS0_10empty_typeEbEEZZNS1_14partition_implILS8_3ELb0ES6_jNS0_17counting_iteratorIjlEEPS9_SE_NS0_5tupleIJPjSE_EEENSF_IJSE_SE_EEES9_SG_JZNS1_25segmented_radix_sort_implINS0_14default_configELb0EPKbPbPKlPlN2at6native12_GLOBAL__N_18offset_tEEE10hipError_tPvRmT1_PNSt15iterator_traitsISY_E10value_typeET2_T3_PNSZ_IS14_E10value_typeET4_jRbjT5_S1A_jjP12ihipStream_tbEUljE_EEESV_SW_SX_S14_S18_S1A_T6_T7_T9_mT8_S1C_bDpT10_ENKUlT_T0_E_clISt17integral_constantIbLb1EES1O_IbLb0EEEEDaS1K_S1L_EUlS1K_E_NS1_11comp_targetILNS1_3genE2ELNS1_11target_archE906ELNS1_3gpuE6ELNS1_3repE0EEENS1_30default_config_static_selectorELNS0_4arch9wavefront6targetE0EEEvSY_
; %bb.0:
	.section	.rodata,"a",@progbits
	.p2align	6, 0x0
	.amdhsa_kernel _ZN7rocprim17ROCPRIM_400000_NS6detail17trampoline_kernelINS0_13select_configILj256ELj13ELNS0_17block_load_methodE3ELS4_3ELS4_3ELNS0_20block_scan_algorithmE0ELj4294967295EEENS1_25partition_config_selectorILNS1_17partition_subalgoE3EjNS0_10empty_typeEbEEZZNS1_14partition_implILS8_3ELb0ES6_jNS0_17counting_iteratorIjlEEPS9_SE_NS0_5tupleIJPjSE_EEENSF_IJSE_SE_EEES9_SG_JZNS1_25segmented_radix_sort_implINS0_14default_configELb0EPKbPbPKlPlN2at6native12_GLOBAL__N_18offset_tEEE10hipError_tPvRmT1_PNSt15iterator_traitsISY_E10value_typeET2_T3_PNSZ_IS14_E10value_typeET4_jRbjT5_S1A_jjP12ihipStream_tbEUljE_EEESV_SW_SX_S14_S18_S1A_T6_T7_T9_mT8_S1C_bDpT10_ENKUlT_T0_E_clISt17integral_constantIbLb1EES1O_IbLb0EEEEDaS1K_S1L_EUlS1K_E_NS1_11comp_targetILNS1_3genE2ELNS1_11target_archE906ELNS1_3gpuE6ELNS1_3repE0EEENS1_30default_config_static_selectorELNS0_4arch9wavefront6targetE0EEEvSY_
		.amdhsa_group_segment_fixed_size 0
		.amdhsa_private_segment_fixed_size 0
		.amdhsa_kernarg_size 144
		.amdhsa_user_sgpr_count 15
		.amdhsa_user_sgpr_dispatch_ptr 0
		.amdhsa_user_sgpr_queue_ptr 0
		.amdhsa_user_sgpr_kernarg_segment_ptr 1
		.amdhsa_user_sgpr_dispatch_id 0
		.amdhsa_user_sgpr_private_segment_size 0
		.amdhsa_wavefront_size32 1
		.amdhsa_uses_dynamic_stack 0
		.amdhsa_enable_private_segment 0
		.amdhsa_system_sgpr_workgroup_id_x 1
		.amdhsa_system_sgpr_workgroup_id_y 0
		.amdhsa_system_sgpr_workgroup_id_z 0
		.amdhsa_system_sgpr_workgroup_info 0
		.amdhsa_system_vgpr_workitem_id 0
		.amdhsa_next_free_vgpr 1
		.amdhsa_next_free_sgpr 1
		.amdhsa_reserve_vcc 0
		.amdhsa_float_round_mode_32 0
		.amdhsa_float_round_mode_16_64 0
		.amdhsa_float_denorm_mode_32 3
		.amdhsa_float_denorm_mode_16_64 3
		.amdhsa_dx10_clamp 1
		.amdhsa_ieee_mode 1
		.amdhsa_fp16_overflow 0
		.amdhsa_workgroup_processor_mode 1
		.amdhsa_memory_ordered 1
		.amdhsa_forward_progress 0
		.amdhsa_shared_vgpr_count 0
		.amdhsa_exception_fp_ieee_invalid_op 0
		.amdhsa_exception_fp_denorm_src 0
		.amdhsa_exception_fp_ieee_div_zero 0
		.amdhsa_exception_fp_ieee_overflow 0
		.amdhsa_exception_fp_ieee_underflow 0
		.amdhsa_exception_fp_ieee_inexact 0
		.amdhsa_exception_int_div_zero 0
	.end_amdhsa_kernel
	.section	.text._ZN7rocprim17ROCPRIM_400000_NS6detail17trampoline_kernelINS0_13select_configILj256ELj13ELNS0_17block_load_methodE3ELS4_3ELS4_3ELNS0_20block_scan_algorithmE0ELj4294967295EEENS1_25partition_config_selectorILNS1_17partition_subalgoE3EjNS0_10empty_typeEbEEZZNS1_14partition_implILS8_3ELb0ES6_jNS0_17counting_iteratorIjlEEPS9_SE_NS0_5tupleIJPjSE_EEENSF_IJSE_SE_EEES9_SG_JZNS1_25segmented_radix_sort_implINS0_14default_configELb0EPKbPbPKlPlN2at6native12_GLOBAL__N_18offset_tEEE10hipError_tPvRmT1_PNSt15iterator_traitsISY_E10value_typeET2_T3_PNSZ_IS14_E10value_typeET4_jRbjT5_S1A_jjP12ihipStream_tbEUljE_EEESV_SW_SX_S14_S18_S1A_T6_T7_T9_mT8_S1C_bDpT10_ENKUlT_T0_E_clISt17integral_constantIbLb1EES1O_IbLb0EEEEDaS1K_S1L_EUlS1K_E_NS1_11comp_targetILNS1_3genE2ELNS1_11target_archE906ELNS1_3gpuE6ELNS1_3repE0EEENS1_30default_config_static_selectorELNS0_4arch9wavefront6targetE0EEEvSY_,"axG",@progbits,_ZN7rocprim17ROCPRIM_400000_NS6detail17trampoline_kernelINS0_13select_configILj256ELj13ELNS0_17block_load_methodE3ELS4_3ELS4_3ELNS0_20block_scan_algorithmE0ELj4294967295EEENS1_25partition_config_selectorILNS1_17partition_subalgoE3EjNS0_10empty_typeEbEEZZNS1_14partition_implILS8_3ELb0ES6_jNS0_17counting_iteratorIjlEEPS9_SE_NS0_5tupleIJPjSE_EEENSF_IJSE_SE_EEES9_SG_JZNS1_25segmented_radix_sort_implINS0_14default_configELb0EPKbPbPKlPlN2at6native12_GLOBAL__N_18offset_tEEE10hipError_tPvRmT1_PNSt15iterator_traitsISY_E10value_typeET2_T3_PNSZ_IS14_E10value_typeET4_jRbjT5_S1A_jjP12ihipStream_tbEUljE_EEESV_SW_SX_S14_S18_S1A_T6_T7_T9_mT8_S1C_bDpT10_ENKUlT_T0_E_clISt17integral_constantIbLb1EES1O_IbLb0EEEEDaS1K_S1L_EUlS1K_E_NS1_11comp_targetILNS1_3genE2ELNS1_11target_archE906ELNS1_3gpuE6ELNS1_3repE0EEENS1_30default_config_static_selectorELNS0_4arch9wavefront6targetE0EEEvSY_,comdat
.Lfunc_end1623:
	.size	_ZN7rocprim17ROCPRIM_400000_NS6detail17trampoline_kernelINS0_13select_configILj256ELj13ELNS0_17block_load_methodE3ELS4_3ELS4_3ELNS0_20block_scan_algorithmE0ELj4294967295EEENS1_25partition_config_selectorILNS1_17partition_subalgoE3EjNS0_10empty_typeEbEEZZNS1_14partition_implILS8_3ELb0ES6_jNS0_17counting_iteratorIjlEEPS9_SE_NS0_5tupleIJPjSE_EEENSF_IJSE_SE_EEES9_SG_JZNS1_25segmented_radix_sort_implINS0_14default_configELb0EPKbPbPKlPlN2at6native12_GLOBAL__N_18offset_tEEE10hipError_tPvRmT1_PNSt15iterator_traitsISY_E10value_typeET2_T3_PNSZ_IS14_E10value_typeET4_jRbjT5_S1A_jjP12ihipStream_tbEUljE_EEESV_SW_SX_S14_S18_S1A_T6_T7_T9_mT8_S1C_bDpT10_ENKUlT_T0_E_clISt17integral_constantIbLb1EES1O_IbLb0EEEEDaS1K_S1L_EUlS1K_E_NS1_11comp_targetILNS1_3genE2ELNS1_11target_archE906ELNS1_3gpuE6ELNS1_3repE0EEENS1_30default_config_static_selectorELNS0_4arch9wavefront6targetE0EEEvSY_, .Lfunc_end1623-_ZN7rocprim17ROCPRIM_400000_NS6detail17trampoline_kernelINS0_13select_configILj256ELj13ELNS0_17block_load_methodE3ELS4_3ELS4_3ELNS0_20block_scan_algorithmE0ELj4294967295EEENS1_25partition_config_selectorILNS1_17partition_subalgoE3EjNS0_10empty_typeEbEEZZNS1_14partition_implILS8_3ELb0ES6_jNS0_17counting_iteratorIjlEEPS9_SE_NS0_5tupleIJPjSE_EEENSF_IJSE_SE_EEES9_SG_JZNS1_25segmented_radix_sort_implINS0_14default_configELb0EPKbPbPKlPlN2at6native12_GLOBAL__N_18offset_tEEE10hipError_tPvRmT1_PNSt15iterator_traitsISY_E10value_typeET2_T3_PNSZ_IS14_E10value_typeET4_jRbjT5_S1A_jjP12ihipStream_tbEUljE_EEESV_SW_SX_S14_S18_S1A_T6_T7_T9_mT8_S1C_bDpT10_ENKUlT_T0_E_clISt17integral_constantIbLb1EES1O_IbLb0EEEEDaS1K_S1L_EUlS1K_E_NS1_11comp_targetILNS1_3genE2ELNS1_11target_archE906ELNS1_3gpuE6ELNS1_3repE0EEENS1_30default_config_static_selectorELNS0_4arch9wavefront6targetE0EEEvSY_
                                        ; -- End function
	.section	.AMDGPU.csdata,"",@progbits
; Kernel info:
; codeLenInByte = 0
; NumSgprs: 0
; NumVgprs: 0
; ScratchSize: 0
; MemoryBound: 0
; FloatMode: 240
; IeeeMode: 1
; LDSByteSize: 0 bytes/workgroup (compile time only)
; SGPRBlocks: 0
; VGPRBlocks: 0
; NumSGPRsForWavesPerEU: 1
; NumVGPRsForWavesPerEU: 1
; Occupancy: 16
; WaveLimiterHint : 0
; COMPUTE_PGM_RSRC2:SCRATCH_EN: 0
; COMPUTE_PGM_RSRC2:USER_SGPR: 15
; COMPUTE_PGM_RSRC2:TRAP_HANDLER: 0
; COMPUTE_PGM_RSRC2:TGID_X_EN: 1
; COMPUTE_PGM_RSRC2:TGID_Y_EN: 0
; COMPUTE_PGM_RSRC2:TGID_Z_EN: 0
; COMPUTE_PGM_RSRC2:TIDIG_COMP_CNT: 0
	.section	.text._ZN7rocprim17ROCPRIM_400000_NS6detail17trampoline_kernelINS0_13select_configILj256ELj13ELNS0_17block_load_methodE3ELS4_3ELS4_3ELNS0_20block_scan_algorithmE0ELj4294967295EEENS1_25partition_config_selectorILNS1_17partition_subalgoE3EjNS0_10empty_typeEbEEZZNS1_14partition_implILS8_3ELb0ES6_jNS0_17counting_iteratorIjlEEPS9_SE_NS0_5tupleIJPjSE_EEENSF_IJSE_SE_EEES9_SG_JZNS1_25segmented_radix_sort_implINS0_14default_configELb0EPKbPbPKlPlN2at6native12_GLOBAL__N_18offset_tEEE10hipError_tPvRmT1_PNSt15iterator_traitsISY_E10value_typeET2_T3_PNSZ_IS14_E10value_typeET4_jRbjT5_S1A_jjP12ihipStream_tbEUljE_EEESV_SW_SX_S14_S18_S1A_T6_T7_T9_mT8_S1C_bDpT10_ENKUlT_T0_E_clISt17integral_constantIbLb1EES1O_IbLb0EEEEDaS1K_S1L_EUlS1K_E_NS1_11comp_targetILNS1_3genE10ELNS1_11target_archE1200ELNS1_3gpuE4ELNS1_3repE0EEENS1_30default_config_static_selectorELNS0_4arch9wavefront6targetE0EEEvSY_,"axG",@progbits,_ZN7rocprim17ROCPRIM_400000_NS6detail17trampoline_kernelINS0_13select_configILj256ELj13ELNS0_17block_load_methodE3ELS4_3ELS4_3ELNS0_20block_scan_algorithmE0ELj4294967295EEENS1_25partition_config_selectorILNS1_17partition_subalgoE3EjNS0_10empty_typeEbEEZZNS1_14partition_implILS8_3ELb0ES6_jNS0_17counting_iteratorIjlEEPS9_SE_NS0_5tupleIJPjSE_EEENSF_IJSE_SE_EEES9_SG_JZNS1_25segmented_radix_sort_implINS0_14default_configELb0EPKbPbPKlPlN2at6native12_GLOBAL__N_18offset_tEEE10hipError_tPvRmT1_PNSt15iterator_traitsISY_E10value_typeET2_T3_PNSZ_IS14_E10value_typeET4_jRbjT5_S1A_jjP12ihipStream_tbEUljE_EEESV_SW_SX_S14_S18_S1A_T6_T7_T9_mT8_S1C_bDpT10_ENKUlT_T0_E_clISt17integral_constantIbLb1EES1O_IbLb0EEEEDaS1K_S1L_EUlS1K_E_NS1_11comp_targetILNS1_3genE10ELNS1_11target_archE1200ELNS1_3gpuE4ELNS1_3repE0EEENS1_30default_config_static_selectorELNS0_4arch9wavefront6targetE0EEEvSY_,comdat
	.globl	_ZN7rocprim17ROCPRIM_400000_NS6detail17trampoline_kernelINS0_13select_configILj256ELj13ELNS0_17block_load_methodE3ELS4_3ELS4_3ELNS0_20block_scan_algorithmE0ELj4294967295EEENS1_25partition_config_selectorILNS1_17partition_subalgoE3EjNS0_10empty_typeEbEEZZNS1_14partition_implILS8_3ELb0ES6_jNS0_17counting_iteratorIjlEEPS9_SE_NS0_5tupleIJPjSE_EEENSF_IJSE_SE_EEES9_SG_JZNS1_25segmented_radix_sort_implINS0_14default_configELb0EPKbPbPKlPlN2at6native12_GLOBAL__N_18offset_tEEE10hipError_tPvRmT1_PNSt15iterator_traitsISY_E10value_typeET2_T3_PNSZ_IS14_E10value_typeET4_jRbjT5_S1A_jjP12ihipStream_tbEUljE_EEESV_SW_SX_S14_S18_S1A_T6_T7_T9_mT8_S1C_bDpT10_ENKUlT_T0_E_clISt17integral_constantIbLb1EES1O_IbLb0EEEEDaS1K_S1L_EUlS1K_E_NS1_11comp_targetILNS1_3genE10ELNS1_11target_archE1200ELNS1_3gpuE4ELNS1_3repE0EEENS1_30default_config_static_selectorELNS0_4arch9wavefront6targetE0EEEvSY_ ; -- Begin function _ZN7rocprim17ROCPRIM_400000_NS6detail17trampoline_kernelINS0_13select_configILj256ELj13ELNS0_17block_load_methodE3ELS4_3ELS4_3ELNS0_20block_scan_algorithmE0ELj4294967295EEENS1_25partition_config_selectorILNS1_17partition_subalgoE3EjNS0_10empty_typeEbEEZZNS1_14partition_implILS8_3ELb0ES6_jNS0_17counting_iteratorIjlEEPS9_SE_NS0_5tupleIJPjSE_EEENSF_IJSE_SE_EEES9_SG_JZNS1_25segmented_radix_sort_implINS0_14default_configELb0EPKbPbPKlPlN2at6native12_GLOBAL__N_18offset_tEEE10hipError_tPvRmT1_PNSt15iterator_traitsISY_E10value_typeET2_T3_PNSZ_IS14_E10value_typeET4_jRbjT5_S1A_jjP12ihipStream_tbEUljE_EEESV_SW_SX_S14_S18_S1A_T6_T7_T9_mT8_S1C_bDpT10_ENKUlT_T0_E_clISt17integral_constantIbLb1EES1O_IbLb0EEEEDaS1K_S1L_EUlS1K_E_NS1_11comp_targetILNS1_3genE10ELNS1_11target_archE1200ELNS1_3gpuE4ELNS1_3repE0EEENS1_30default_config_static_selectorELNS0_4arch9wavefront6targetE0EEEvSY_
	.p2align	8
	.type	_ZN7rocprim17ROCPRIM_400000_NS6detail17trampoline_kernelINS0_13select_configILj256ELj13ELNS0_17block_load_methodE3ELS4_3ELS4_3ELNS0_20block_scan_algorithmE0ELj4294967295EEENS1_25partition_config_selectorILNS1_17partition_subalgoE3EjNS0_10empty_typeEbEEZZNS1_14partition_implILS8_3ELb0ES6_jNS0_17counting_iteratorIjlEEPS9_SE_NS0_5tupleIJPjSE_EEENSF_IJSE_SE_EEES9_SG_JZNS1_25segmented_radix_sort_implINS0_14default_configELb0EPKbPbPKlPlN2at6native12_GLOBAL__N_18offset_tEEE10hipError_tPvRmT1_PNSt15iterator_traitsISY_E10value_typeET2_T3_PNSZ_IS14_E10value_typeET4_jRbjT5_S1A_jjP12ihipStream_tbEUljE_EEESV_SW_SX_S14_S18_S1A_T6_T7_T9_mT8_S1C_bDpT10_ENKUlT_T0_E_clISt17integral_constantIbLb1EES1O_IbLb0EEEEDaS1K_S1L_EUlS1K_E_NS1_11comp_targetILNS1_3genE10ELNS1_11target_archE1200ELNS1_3gpuE4ELNS1_3repE0EEENS1_30default_config_static_selectorELNS0_4arch9wavefront6targetE0EEEvSY_,@function
_ZN7rocprim17ROCPRIM_400000_NS6detail17trampoline_kernelINS0_13select_configILj256ELj13ELNS0_17block_load_methodE3ELS4_3ELS4_3ELNS0_20block_scan_algorithmE0ELj4294967295EEENS1_25partition_config_selectorILNS1_17partition_subalgoE3EjNS0_10empty_typeEbEEZZNS1_14partition_implILS8_3ELb0ES6_jNS0_17counting_iteratorIjlEEPS9_SE_NS0_5tupleIJPjSE_EEENSF_IJSE_SE_EEES9_SG_JZNS1_25segmented_radix_sort_implINS0_14default_configELb0EPKbPbPKlPlN2at6native12_GLOBAL__N_18offset_tEEE10hipError_tPvRmT1_PNSt15iterator_traitsISY_E10value_typeET2_T3_PNSZ_IS14_E10value_typeET4_jRbjT5_S1A_jjP12ihipStream_tbEUljE_EEESV_SW_SX_S14_S18_S1A_T6_T7_T9_mT8_S1C_bDpT10_ENKUlT_T0_E_clISt17integral_constantIbLb1EES1O_IbLb0EEEEDaS1K_S1L_EUlS1K_E_NS1_11comp_targetILNS1_3genE10ELNS1_11target_archE1200ELNS1_3gpuE4ELNS1_3repE0EEENS1_30default_config_static_selectorELNS0_4arch9wavefront6targetE0EEEvSY_: ; @_ZN7rocprim17ROCPRIM_400000_NS6detail17trampoline_kernelINS0_13select_configILj256ELj13ELNS0_17block_load_methodE3ELS4_3ELS4_3ELNS0_20block_scan_algorithmE0ELj4294967295EEENS1_25partition_config_selectorILNS1_17partition_subalgoE3EjNS0_10empty_typeEbEEZZNS1_14partition_implILS8_3ELb0ES6_jNS0_17counting_iteratorIjlEEPS9_SE_NS0_5tupleIJPjSE_EEENSF_IJSE_SE_EEES9_SG_JZNS1_25segmented_radix_sort_implINS0_14default_configELb0EPKbPbPKlPlN2at6native12_GLOBAL__N_18offset_tEEE10hipError_tPvRmT1_PNSt15iterator_traitsISY_E10value_typeET2_T3_PNSZ_IS14_E10value_typeET4_jRbjT5_S1A_jjP12ihipStream_tbEUljE_EEESV_SW_SX_S14_S18_S1A_T6_T7_T9_mT8_S1C_bDpT10_ENKUlT_T0_E_clISt17integral_constantIbLb1EES1O_IbLb0EEEEDaS1K_S1L_EUlS1K_E_NS1_11comp_targetILNS1_3genE10ELNS1_11target_archE1200ELNS1_3gpuE4ELNS1_3repE0EEENS1_30default_config_static_selectorELNS0_4arch9wavefront6targetE0EEEvSY_
; %bb.0:
	.section	.rodata,"a",@progbits
	.p2align	6, 0x0
	.amdhsa_kernel _ZN7rocprim17ROCPRIM_400000_NS6detail17trampoline_kernelINS0_13select_configILj256ELj13ELNS0_17block_load_methodE3ELS4_3ELS4_3ELNS0_20block_scan_algorithmE0ELj4294967295EEENS1_25partition_config_selectorILNS1_17partition_subalgoE3EjNS0_10empty_typeEbEEZZNS1_14partition_implILS8_3ELb0ES6_jNS0_17counting_iteratorIjlEEPS9_SE_NS0_5tupleIJPjSE_EEENSF_IJSE_SE_EEES9_SG_JZNS1_25segmented_radix_sort_implINS0_14default_configELb0EPKbPbPKlPlN2at6native12_GLOBAL__N_18offset_tEEE10hipError_tPvRmT1_PNSt15iterator_traitsISY_E10value_typeET2_T3_PNSZ_IS14_E10value_typeET4_jRbjT5_S1A_jjP12ihipStream_tbEUljE_EEESV_SW_SX_S14_S18_S1A_T6_T7_T9_mT8_S1C_bDpT10_ENKUlT_T0_E_clISt17integral_constantIbLb1EES1O_IbLb0EEEEDaS1K_S1L_EUlS1K_E_NS1_11comp_targetILNS1_3genE10ELNS1_11target_archE1200ELNS1_3gpuE4ELNS1_3repE0EEENS1_30default_config_static_selectorELNS0_4arch9wavefront6targetE0EEEvSY_
		.amdhsa_group_segment_fixed_size 0
		.amdhsa_private_segment_fixed_size 0
		.amdhsa_kernarg_size 144
		.amdhsa_user_sgpr_count 15
		.amdhsa_user_sgpr_dispatch_ptr 0
		.amdhsa_user_sgpr_queue_ptr 0
		.amdhsa_user_sgpr_kernarg_segment_ptr 1
		.amdhsa_user_sgpr_dispatch_id 0
		.amdhsa_user_sgpr_private_segment_size 0
		.amdhsa_wavefront_size32 1
		.amdhsa_uses_dynamic_stack 0
		.amdhsa_enable_private_segment 0
		.amdhsa_system_sgpr_workgroup_id_x 1
		.amdhsa_system_sgpr_workgroup_id_y 0
		.amdhsa_system_sgpr_workgroup_id_z 0
		.amdhsa_system_sgpr_workgroup_info 0
		.amdhsa_system_vgpr_workitem_id 0
		.amdhsa_next_free_vgpr 1
		.amdhsa_next_free_sgpr 1
		.amdhsa_reserve_vcc 0
		.amdhsa_float_round_mode_32 0
		.amdhsa_float_round_mode_16_64 0
		.amdhsa_float_denorm_mode_32 3
		.amdhsa_float_denorm_mode_16_64 3
		.amdhsa_dx10_clamp 1
		.amdhsa_ieee_mode 1
		.amdhsa_fp16_overflow 0
		.amdhsa_workgroup_processor_mode 1
		.amdhsa_memory_ordered 1
		.amdhsa_forward_progress 0
		.amdhsa_shared_vgpr_count 0
		.amdhsa_exception_fp_ieee_invalid_op 0
		.amdhsa_exception_fp_denorm_src 0
		.amdhsa_exception_fp_ieee_div_zero 0
		.amdhsa_exception_fp_ieee_overflow 0
		.amdhsa_exception_fp_ieee_underflow 0
		.amdhsa_exception_fp_ieee_inexact 0
		.amdhsa_exception_int_div_zero 0
	.end_amdhsa_kernel
	.section	.text._ZN7rocprim17ROCPRIM_400000_NS6detail17trampoline_kernelINS0_13select_configILj256ELj13ELNS0_17block_load_methodE3ELS4_3ELS4_3ELNS0_20block_scan_algorithmE0ELj4294967295EEENS1_25partition_config_selectorILNS1_17partition_subalgoE3EjNS0_10empty_typeEbEEZZNS1_14partition_implILS8_3ELb0ES6_jNS0_17counting_iteratorIjlEEPS9_SE_NS0_5tupleIJPjSE_EEENSF_IJSE_SE_EEES9_SG_JZNS1_25segmented_radix_sort_implINS0_14default_configELb0EPKbPbPKlPlN2at6native12_GLOBAL__N_18offset_tEEE10hipError_tPvRmT1_PNSt15iterator_traitsISY_E10value_typeET2_T3_PNSZ_IS14_E10value_typeET4_jRbjT5_S1A_jjP12ihipStream_tbEUljE_EEESV_SW_SX_S14_S18_S1A_T6_T7_T9_mT8_S1C_bDpT10_ENKUlT_T0_E_clISt17integral_constantIbLb1EES1O_IbLb0EEEEDaS1K_S1L_EUlS1K_E_NS1_11comp_targetILNS1_3genE10ELNS1_11target_archE1200ELNS1_3gpuE4ELNS1_3repE0EEENS1_30default_config_static_selectorELNS0_4arch9wavefront6targetE0EEEvSY_,"axG",@progbits,_ZN7rocprim17ROCPRIM_400000_NS6detail17trampoline_kernelINS0_13select_configILj256ELj13ELNS0_17block_load_methodE3ELS4_3ELS4_3ELNS0_20block_scan_algorithmE0ELj4294967295EEENS1_25partition_config_selectorILNS1_17partition_subalgoE3EjNS0_10empty_typeEbEEZZNS1_14partition_implILS8_3ELb0ES6_jNS0_17counting_iteratorIjlEEPS9_SE_NS0_5tupleIJPjSE_EEENSF_IJSE_SE_EEES9_SG_JZNS1_25segmented_radix_sort_implINS0_14default_configELb0EPKbPbPKlPlN2at6native12_GLOBAL__N_18offset_tEEE10hipError_tPvRmT1_PNSt15iterator_traitsISY_E10value_typeET2_T3_PNSZ_IS14_E10value_typeET4_jRbjT5_S1A_jjP12ihipStream_tbEUljE_EEESV_SW_SX_S14_S18_S1A_T6_T7_T9_mT8_S1C_bDpT10_ENKUlT_T0_E_clISt17integral_constantIbLb1EES1O_IbLb0EEEEDaS1K_S1L_EUlS1K_E_NS1_11comp_targetILNS1_3genE10ELNS1_11target_archE1200ELNS1_3gpuE4ELNS1_3repE0EEENS1_30default_config_static_selectorELNS0_4arch9wavefront6targetE0EEEvSY_,comdat
.Lfunc_end1624:
	.size	_ZN7rocprim17ROCPRIM_400000_NS6detail17trampoline_kernelINS0_13select_configILj256ELj13ELNS0_17block_load_methodE3ELS4_3ELS4_3ELNS0_20block_scan_algorithmE0ELj4294967295EEENS1_25partition_config_selectorILNS1_17partition_subalgoE3EjNS0_10empty_typeEbEEZZNS1_14partition_implILS8_3ELb0ES6_jNS0_17counting_iteratorIjlEEPS9_SE_NS0_5tupleIJPjSE_EEENSF_IJSE_SE_EEES9_SG_JZNS1_25segmented_radix_sort_implINS0_14default_configELb0EPKbPbPKlPlN2at6native12_GLOBAL__N_18offset_tEEE10hipError_tPvRmT1_PNSt15iterator_traitsISY_E10value_typeET2_T3_PNSZ_IS14_E10value_typeET4_jRbjT5_S1A_jjP12ihipStream_tbEUljE_EEESV_SW_SX_S14_S18_S1A_T6_T7_T9_mT8_S1C_bDpT10_ENKUlT_T0_E_clISt17integral_constantIbLb1EES1O_IbLb0EEEEDaS1K_S1L_EUlS1K_E_NS1_11comp_targetILNS1_3genE10ELNS1_11target_archE1200ELNS1_3gpuE4ELNS1_3repE0EEENS1_30default_config_static_selectorELNS0_4arch9wavefront6targetE0EEEvSY_, .Lfunc_end1624-_ZN7rocprim17ROCPRIM_400000_NS6detail17trampoline_kernelINS0_13select_configILj256ELj13ELNS0_17block_load_methodE3ELS4_3ELS4_3ELNS0_20block_scan_algorithmE0ELj4294967295EEENS1_25partition_config_selectorILNS1_17partition_subalgoE3EjNS0_10empty_typeEbEEZZNS1_14partition_implILS8_3ELb0ES6_jNS0_17counting_iteratorIjlEEPS9_SE_NS0_5tupleIJPjSE_EEENSF_IJSE_SE_EEES9_SG_JZNS1_25segmented_radix_sort_implINS0_14default_configELb0EPKbPbPKlPlN2at6native12_GLOBAL__N_18offset_tEEE10hipError_tPvRmT1_PNSt15iterator_traitsISY_E10value_typeET2_T3_PNSZ_IS14_E10value_typeET4_jRbjT5_S1A_jjP12ihipStream_tbEUljE_EEESV_SW_SX_S14_S18_S1A_T6_T7_T9_mT8_S1C_bDpT10_ENKUlT_T0_E_clISt17integral_constantIbLb1EES1O_IbLb0EEEEDaS1K_S1L_EUlS1K_E_NS1_11comp_targetILNS1_3genE10ELNS1_11target_archE1200ELNS1_3gpuE4ELNS1_3repE0EEENS1_30default_config_static_selectorELNS0_4arch9wavefront6targetE0EEEvSY_
                                        ; -- End function
	.section	.AMDGPU.csdata,"",@progbits
; Kernel info:
; codeLenInByte = 0
; NumSgprs: 0
; NumVgprs: 0
; ScratchSize: 0
; MemoryBound: 0
; FloatMode: 240
; IeeeMode: 1
; LDSByteSize: 0 bytes/workgroup (compile time only)
; SGPRBlocks: 0
; VGPRBlocks: 0
; NumSGPRsForWavesPerEU: 1
; NumVGPRsForWavesPerEU: 1
; Occupancy: 16
; WaveLimiterHint : 0
; COMPUTE_PGM_RSRC2:SCRATCH_EN: 0
; COMPUTE_PGM_RSRC2:USER_SGPR: 15
; COMPUTE_PGM_RSRC2:TRAP_HANDLER: 0
; COMPUTE_PGM_RSRC2:TGID_X_EN: 1
; COMPUTE_PGM_RSRC2:TGID_Y_EN: 0
; COMPUTE_PGM_RSRC2:TGID_Z_EN: 0
; COMPUTE_PGM_RSRC2:TIDIG_COMP_CNT: 0
	.section	.text._ZN7rocprim17ROCPRIM_400000_NS6detail17trampoline_kernelINS0_13select_configILj256ELj13ELNS0_17block_load_methodE3ELS4_3ELS4_3ELNS0_20block_scan_algorithmE0ELj4294967295EEENS1_25partition_config_selectorILNS1_17partition_subalgoE3EjNS0_10empty_typeEbEEZZNS1_14partition_implILS8_3ELb0ES6_jNS0_17counting_iteratorIjlEEPS9_SE_NS0_5tupleIJPjSE_EEENSF_IJSE_SE_EEES9_SG_JZNS1_25segmented_radix_sort_implINS0_14default_configELb0EPKbPbPKlPlN2at6native12_GLOBAL__N_18offset_tEEE10hipError_tPvRmT1_PNSt15iterator_traitsISY_E10value_typeET2_T3_PNSZ_IS14_E10value_typeET4_jRbjT5_S1A_jjP12ihipStream_tbEUljE_EEESV_SW_SX_S14_S18_S1A_T6_T7_T9_mT8_S1C_bDpT10_ENKUlT_T0_E_clISt17integral_constantIbLb1EES1O_IbLb0EEEEDaS1K_S1L_EUlS1K_E_NS1_11comp_targetILNS1_3genE9ELNS1_11target_archE1100ELNS1_3gpuE3ELNS1_3repE0EEENS1_30default_config_static_selectorELNS0_4arch9wavefront6targetE0EEEvSY_,"axG",@progbits,_ZN7rocprim17ROCPRIM_400000_NS6detail17trampoline_kernelINS0_13select_configILj256ELj13ELNS0_17block_load_methodE3ELS4_3ELS4_3ELNS0_20block_scan_algorithmE0ELj4294967295EEENS1_25partition_config_selectorILNS1_17partition_subalgoE3EjNS0_10empty_typeEbEEZZNS1_14partition_implILS8_3ELb0ES6_jNS0_17counting_iteratorIjlEEPS9_SE_NS0_5tupleIJPjSE_EEENSF_IJSE_SE_EEES9_SG_JZNS1_25segmented_radix_sort_implINS0_14default_configELb0EPKbPbPKlPlN2at6native12_GLOBAL__N_18offset_tEEE10hipError_tPvRmT1_PNSt15iterator_traitsISY_E10value_typeET2_T3_PNSZ_IS14_E10value_typeET4_jRbjT5_S1A_jjP12ihipStream_tbEUljE_EEESV_SW_SX_S14_S18_S1A_T6_T7_T9_mT8_S1C_bDpT10_ENKUlT_T0_E_clISt17integral_constantIbLb1EES1O_IbLb0EEEEDaS1K_S1L_EUlS1K_E_NS1_11comp_targetILNS1_3genE9ELNS1_11target_archE1100ELNS1_3gpuE3ELNS1_3repE0EEENS1_30default_config_static_selectorELNS0_4arch9wavefront6targetE0EEEvSY_,comdat
	.globl	_ZN7rocprim17ROCPRIM_400000_NS6detail17trampoline_kernelINS0_13select_configILj256ELj13ELNS0_17block_load_methodE3ELS4_3ELS4_3ELNS0_20block_scan_algorithmE0ELj4294967295EEENS1_25partition_config_selectorILNS1_17partition_subalgoE3EjNS0_10empty_typeEbEEZZNS1_14partition_implILS8_3ELb0ES6_jNS0_17counting_iteratorIjlEEPS9_SE_NS0_5tupleIJPjSE_EEENSF_IJSE_SE_EEES9_SG_JZNS1_25segmented_radix_sort_implINS0_14default_configELb0EPKbPbPKlPlN2at6native12_GLOBAL__N_18offset_tEEE10hipError_tPvRmT1_PNSt15iterator_traitsISY_E10value_typeET2_T3_PNSZ_IS14_E10value_typeET4_jRbjT5_S1A_jjP12ihipStream_tbEUljE_EEESV_SW_SX_S14_S18_S1A_T6_T7_T9_mT8_S1C_bDpT10_ENKUlT_T0_E_clISt17integral_constantIbLb1EES1O_IbLb0EEEEDaS1K_S1L_EUlS1K_E_NS1_11comp_targetILNS1_3genE9ELNS1_11target_archE1100ELNS1_3gpuE3ELNS1_3repE0EEENS1_30default_config_static_selectorELNS0_4arch9wavefront6targetE0EEEvSY_ ; -- Begin function _ZN7rocprim17ROCPRIM_400000_NS6detail17trampoline_kernelINS0_13select_configILj256ELj13ELNS0_17block_load_methodE3ELS4_3ELS4_3ELNS0_20block_scan_algorithmE0ELj4294967295EEENS1_25partition_config_selectorILNS1_17partition_subalgoE3EjNS0_10empty_typeEbEEZZNS1_14partition_implILS8_3ELb0ES6_jNS0_17counting_iteratorIjlEEPS9_SE_NS0_5tupleIJPjSE_EEENSF_IJSE_SE_EEES9_SG_JZNS1_25segmented_radix_sort_implINS0_14default_configELb0EPKbPbPKlPlN2at6native12_GLOBAL__N_18offset_tEEE10hipError_tPvRmT1_PNSt15iterator_traitsISY_E10value_typeET2_T3_PNSZ_IS14_E10value_typeET4_jRbjT5_S1A_jjP12ihipStream_tbEUljE_EEESV_SW_SX_S14_S18_S1A_T6_T7_T9_mT8_S1C_bDpT10_ENKUlT_T0_E_clISt17integral_constantIbLb1EES1O_IbLb0EEEEDaS1K_S1L_EUlS1K_E_NS1_11comp_targetILNS1_3genE9ELNS1_11target_archE1100ELNS1_3gpuE3ELNS1_3repE0EEENS1_30default_config_static_selectorELNS0_4arch9wavefront6targetE0EEEvSY_
	.p2align	8
	.type	_ZN7rocprim17ROCPRIM_400000_NS6detail17trampoline_kernelINS0_13select_configILj256ELj13ELNS0_17block_load_methodE3ELS4_3ELS4_3ELNS0_20block_scan_algorithmE0ELj4294967295EEENS1_25partition_config_selectorILNS1_17partition_subalgoE3EjNS0_10empty_typeEbEEZZNS1_14partition_implILS8_3ELb0ES6_jNS0_17counting_iteratorIjlEEPS9_SE_NS0_5tupleIJPjSE_EEENSF_IJSE_SE_EEES9_SG_JZNS1_25segmented_radix_sort_implINS0_14default_configELb0EPKbPbPKlPlN2at6native12_GLOBAL__N_18offset_tEEE10hipError_tPvRmT1_PNSt15iterator_traitsISY_E10value_typeET2_T3_PNSZ_IS14_E10value_typeET4_jRbjT5_S1A_jjP12ihipStream_tbEUljE_EEESV_SW_SX_S14_S18_S1A_T6_T7_T9_mT8_S1C_bDpT10_ENKUlT_T0_E_clISt17integral_constantIbLb1EES1O_IbLb0EEEEDaS1K_S1L_EUlS1K_E_NS1_11comp_targetILNS1_3genE9ELNS1_11target_archE1100ELNS1_3gpuE3ELNS1_3repE0EEENS1_30default_config_static_selectorELNS0_4arch9wavefront6targetE0EEEvSY_,@function
_ZN7rocprim17ROCPRIM_400000_NS6detail17trampoline_kernelINS0_13select_configILj256ELj13ELNS0_17block_load_methodE3ELS4_3ELS4_3ELNS0_20block_scan_algorithmE0ELj4294967295EEENS1_25partition_config_selectorILNS1_17partition_subalgoE3EjNS0_10empty_typeEbEEZZNS1_14partition_implILS8_3ELb0ES6_jNS0_17counting_iteratorIjlEEPS9_SE_NS0_5tupleIJPjSE_EEENSF_IJSE_SE_EEES9_SG_JZNS1_25segmented_radix_sort_implINS0_14default_configELb0EPKbPbPKlPlN2at6native12_GLOBAL__N_18offset_tEEE10hipError_tPvRmT1_PNSt15iterator_traitsISY_E10value_typeET2_T3_PNSZ_IS14_E10value_typeET4_jRbjT5_S1A_jjP12ihipStream_tbEUljE_EEESV_SW_SX_S14_S18_S1A_T6_T7_T9_mT8_S1C_bDpT10_ENKUlT_T0_E_clISt17integral_constantIbLb1EES1O_IbLb0EEEEDaS1K_S1L_EUlS1K_E_NS1_11comp_targetILNS1_3genE9ELNS1_11target_archE1100ELNS1_3gpuE3ELNS1_3repE0EEENS1_30default_config_static_selectorELNS0_4arch9wavefront6targetE0EEEvSY_: ; @_ZN7rocprim17ROCPRIM_400000_NS6detail17trampoline_kernelINS0_13select_configILj256ELj13ELNS0_17block_load_methodE3ELS4_3ELS4_3ELNS0_20block_scan_algorithmE0ELj4294967295EEENS1_25partition_config_selectorILNS1_17partition_subalgoE3EjNS0_10empty_typeEbEEZZNS1_14partition_implILS8_3ELb0ES6_jNS0_17counting_iteratorIjlEEPS9_SE_NS0_5tupleIJPjSE_EEENSF_IJSE_SE_EEES9_SG_JZNS1_25segmented_radix_sort_implINS0_14default_configELb0EPKbPbPKlPlN2at6native12_GLOBAL__N_18offset_tEEE10hipError_tPvRmT1_PNSt15iterator_traitsISY_E10value_typeET2_T3_PNSZ_IS14_E10value_typeET4_jRbjT5_S1A_jjP12ihipStream_tbEUljE_EEESV_SW_SX_S14_S18_S1A_T6_T7_T9_mT8_S1C_bDpT10_ENKUlT_T0_E_clISt17integral_constantIbLb1EES1O_IbLb0EEEEDaS1K_S1L_EUlS1K_E_NS1_11comp_targetILNS1_3genE9ELNS1_11target_archE1100ELNS1_3gpuE3ELNS1_3repE0EEENS1_30default_config_static_selectorELNS0_4arch9wavefront6targetE0EEEvSY_
; %bb.0:
	s_clause 0x5
	s_load_b32 s2, s[0:1], 0x70
	s_load_b64 s[16:17], s[0:1], 0x10
	s_load_b64 s[12:13], s[0:1], 0x58
	s_load_b32 s18, s[0:1], 0x8
	s_load_b128 s[8:11], s[0:1], 0x48
	s_load_b128 s[4:7], s[0:1], 0x78
	s_mul_i32 s23, s15, 0xd00
	v_lshlrev_b32_e32 v30, 2, v0
	s_waitcnt lgkmcnt(0)
	s_mul_i32 s20, s2, 0xd00
	s_add_i32 s19, s2, -1
	s_add_u32 s2, s16, s20
	s_addc_u32 s3, s17, 0
	s_cmp_eq_u32 s15, s19
	v_cmp_lt_u64_e64 s3, s[2:3], s[12:13]
	s_cselect_b32 s14, -1, 0
	s_cmp_lg_u32 s15, s19
	s_cselect_b32 s21, -1, 0
	s_add_i32 s2, s18, s23
	s_delay_alu instid0(VALU_DEP_1)
	s_or_b32 s3, s21, s3
	s_add_i32 s18, s2, s16
	s_load_b32 s2, s[0:1], 0x88
	v_add_nc_u32_e32 v1, s18, v0
	s_load_b64 s[18:19], s[10:11], 0x0
	s_and_b32 vcc_lo, exec_lo, s3
	s_mov_b32 s10, -1
	s_delay_alu instid0(VALU_DEP_1)
	v_add_nc_u32_e32 v2, 0x100, v1
	v_add_nc_u32_e32 v3, 0x200, v1
	;; [unrolled: 1-line block ×12, first 2 shown]
	s_cbranch_vccz .LBB1625_2
; %bb.1:
	ds_store_2addr_stride64_b32 v30, v1, v2 offset1:4
	ds_store_2addr_stride64_b32 v30, v3, v4 offset0:8 offset1:12
	ds_store_2addr_stride64_b32 v30, v5, v6 offset0:16 offset1:20
	;; [unrolled: 1-line block ×5, first 2 shown]
	ds_store_b32 v30, v13 offset:12288
	s_waitcnt lgkmcnt(0)
	s_mov_b32 s10, 0
	s_barrier
.LBB1625_2:
	s_and_not1_b32 vcc_lo, exec_lo, s10
	s_add_i32 s20, s20, s16
	s_cbranch_vccnz .LBB1625_4
; %bb.3:
	ds_store_2addr_stride64_b32 v30, v1, v2 offset1:4
	ds_store_2addr_stride64_b32 v30, v3, v4 offset0:8 offset1:12
	ds_store_2addr_stride64_b32 v30, v5, v6 offset0:16 offset1:20
	;; [unrolled: 1-line block ×5, first 2 shown]
	ds_store_b32 v30, v13 offset:12288
	s_waitcnt lgkmcnt(0)
	s_barrier
.LBB1625_4:
	v_mul_u32_u24_e32 v33, 13, v0
	s_waitcnt lgkmcnt(0)
	buffer_gl0_inv
	v_cndmask_b32_e64 v31, 0, 1, s3
	s_sub_i32 s22, s12, s20
	s_and_not1_b32 vcc_lo, exec_lo, s3
	v_lshlrev_b32_e32 v1, 2, v33
	ds_load_2addr_b32 v[28:29], v1 offset1:1
	ds_load_2addr_b32 v[26:27], v1 offset0:2 offset1:3
	ds_load_2addr_b32 v[24:25], v1 offset0:4 offset1:5
	;; [unrolled: 1-line block ×5, first 2 shown]
	ds_load_b32 v32, v1 offset:48
	s_waitcnt lgkmcnt(0)
	s_barrier
	buffer_gl0_inv
	s_cbranch_vccnz .LBB1625_6
; %bb.5:
	v_add_nc_u32_e32 v1, s5, v28
	v_add_nc_u32_e32 v2, s7, v28
	;; [unrolled: 1-line block ×5, first 2 shown]
	v_mul_lo_u32 v1, v1, s4
	v_mul_lo_u32 v2, v2, s6
	;; [unrolled: 1-line block ×4, first 2 shown]
	v_add_nc_u32_e32 v6, s7, v26
	v_add_nc_u32_e32 v7, s5, v27
	;; [unrolled: 1-line block ×3, first 2 shown]
	v_mul_lo_u32 v5, v5, s4
	v_add_nc_u32_e32 v9, s5, v22
	v_sub_nc_u32_e32 v1, v1, v2
	v_mul_lo_u32 v2, v6, s6
	v_sub_nc_u32_e32 v3, v3, v4
	v_mul_lo_u32 v4, v7, s4
	v_mul_lo_u32 v6, v8, s6
	v_add_nc_u32_e32 v7, s5, v24
	v_cmp_lt_u32_e32 vcc_lo, s2, v1
	v_add_nc_u32_e32 v8, s5, v25
	v_add_nc_u32_e32 v10, s7, v22
	v_sub_nc_u32_e32 v2, v5, v2
	v_add_nc_u32_e32 v5, s7, v24
	v_cndmask_b32_e64 v1, 0, 1, vcc_lo
	v_sub_nc_u32_e32 v4, v4, v6
	v_mul_lo_u32 v6, v7, s4
	v_add_nc_u32_e32 v7, s7, v25
	v_cmp_lt_u32_e32 vcc_lo, s2, v3
	v_mul_lo_u32 v5, v5, s6
	v_mul_lo_u32 v8, v8, s4
	;; [unrolled: 1-line block ×4, first 2 shown]
	v_cndmask_b32_e64 v3, 0, 1, vcc_lo
	v_cmp_lt_u32_e32 vcc_lo, s2, v2
	v_mul_lo_u32 v10, v10, s6
	v_add_nc_u32_e32 v11, s5, v20
	v_sub_nc_u32_e32 v5, v6, v5
	v_add_nc_u32_e32 v12, s7, v20
	v_cndmask_b32_e64 v2, 0, 1, vcc_lo
	v_sub_nc_u32_e32 v6, v8, v7
	v_add_nc_u32_e32 v7, s5, v23
	v_add_nc_u32_e32 v8, s7, v23
	v_cmp_lt_u32_e32 vcc_lo, s2, v4
	v_sub_nc_u32_e32 v9, v9, v10
	v_mul_lo_u32 v10, v11, s4
	v_mul_lo_u32 v7, v7, s4
	;; [unrolled: 1-line block ×4, first 2 shown]
	v_cndmask_b32_e64 v4, 0, 1, vcc_lo
	v_cmp_lt_u32_e32 vcc_lo, s2, v5
	v_add_nc_u32_e32 v12, s5, v21
	v_add_nc_u32_e32 v13, s7, v18
	v_add_nc_u32_e32 v14, s5, v19
	v_add_nc_u32_e32 v15, s7, v19
	v_cndmask_b32_e64 v5, 0, 1, vcc_lo
	v_cmp_lt_u32_e32 vcc_lo, s2, v6
	v_sub_nc_u32_e32 v7, v7, v8
	v_sub_nc_u32_e32 v8, v10, v11
	v_add_nc_u32_e32 v11, s7, v21
	v_mul_lo_u32 v10, v12, s4
	v_cndmask_b32_e64 v6, 0, 1, vcc_lo
	v_cmp_lt_u32_e32 vcc_lo, s2, v9
	v_add_nc_u32_e32 v12, s5, v18
	v_mul_lo_u32 v11, v11, s6
	v_mul_lo_u32 v13, v13, s6
	;; [unrolled: 1-line block ×3, first 2 shown]
	v_cndmask_b32_e64 v9, 0, 1, vcc_lo
	v_cmp_lt_u32_e32 vcc_lo, s2, v7
	v_mul_lo_u32 v12, v12, s4
	v_mul_lo_u32 v15, v15, s6
	v_lshlrev_b16 v3, 8, v3
	v_sub_nc_u32_e32 v10, v10, v11
	v_cndmask_b32_e64 v7, 0, 1, vcc_lo
	v_cmp_lt_u32_e32 vcc_lo, s2, v8
	v_add_nc_u32_e32 v11, s5, v32
	v_or_b32_e32 v1, v1, v3
	v_sub_nc_u32_e32 v12, v12, v13
	v_sub_nc_u32_e32 v13, v14, v15
	v_cndmask_b32_e64 v8, 0, 1, vcc_lo
	v_cmp_lt_u32_e32 vcc_lo, s2, v10
	v_add_nc_u32_e32 v16, s7, v32
	v_mul_lo_u32 v11, v11, s4
	v_lshlrev_b16 v4, 8, v4
	v_lshlrev_b16 v6, 8, v6
	v_cndmask_b32_e64 v10, 0, 1, vcc_lo
	v_cmp_lt_u32_e32 vcc_lo, s2, v12
	v_mul_lo_u32 v14, v16, s6
	v_lshlrev_b16 v7, 8, v7
	v_or_b32_e32 v2, v2, v4
	v_lshlrev_b16 v10, 8, v10
	v_cndmask_b32_e64 v3, 0, 1, vcc_lo
	v_cmp_lt_u32_e32 vcc_lo, s2, v13
	v_or_b32_e32 v4, v5, v6
	v_or_b32_e32 v5, v9, v7
	v_sub_nc_u32_e32 v11, v11, v14
	v_or_b32_e32 v6, v8, v10
	v_cndmask_b32_e64 v12, 0, 1, vcc_lo
	v_and_b32_e32 v1, 0xffff, v1
	v_lshlrev_b32_e32 v2, 16, v2
	v_and_b32_e32 v4, 0xffff, v4
	v_lshlrev_b32_e32 v5, 16, v5
	v_lshlrev_b16 v12, 8, v12
	v_and_b32_e32 v6, 0xffff, v6
	v_cmp_lt_u32_e32 vcc_lo, s2, v11
	v_or_b32_e32 v39, v1, v2
	v_or_b32_e32 v37, v4, v5
	;; [unrolled: 1-line block ×3, first 2 shown]
	s_mov_b32 s3, 0
	v_cndmask_b32_e64 v34, 0, 1, vcc_lo
	s_delay_alu instid0(VALU_DEP_2) | instskip(NEXT) | instid1(VALU_DEP_1)
	v_lshlrev_b32_e32 v3, 16, v3
	v_or_b32_e32 v35, v6, v3
	s_branch .LBB1625_7
.LBB1625_6:
	s_mov_b32 s3, -1
                                        ; implicit-def: $vgpr34
                                        ; implicit-def: $vgpr35
                                        ; implicit-def: $vgpr37
                                        ; implicit-def: $vgpr39
.LBB1625_7:
	s_clause 0x1
	s_load_b64 s[10:11], s[0:1], 0x28
	s_load_b64 s[20:21], s[0:1], 0x68
	s_and_not1_b32 vcc_lo, exec_lo, s3
	s_addk_i32 s22, 0xd00
	s_cbranch_vccnz .LBB1625_35
; %bb.8:
	v_dual_mov_b32 v2, 0 :: v_dual_mov_b32 v1, 0
	s_mov_b32 s0, exec_lo
	v_cmpx_gt_u32_e64 s22, v33
; %bb.9:
	v_add_nc_u32_e32 v1, s5, v28
	v_add_nc_u32_e32 v3, s7, v28
	s_delay_alu instid0(VALU_DEP_2) | instskip(NEXT) | instid1(VALU_DEP_2)
	v_mul_lo_u32 v1, v1, s4
	v_mul_lo_u32 v3, v3, s6
	s_delay_alu instid0(VALU_DEP_1) | instskip(NEXT) | instid1(VALU_DEP_1)
	v_sub_nc_u32_e32 v1, v1, v3
	v_cmp_lt_u32_e32 vcc_lo, s2, v1
	v_cndmask_b32_e64 v1, 0, 1, vcc_lo
; %bb.10:
	s_or_b32 exec_lo, exec_lo, s0
	v_add_nc_u32_e32 v3, 1, v33
	s_mov_b32 s0, exec_lo
	s_delay_alu instid0(VALU_DEP_1)
	v_cmpx_gt_u32_e64 s22, v3
; %bb.11:
	v_add_nc_u32_e32 v2, s5, v29
	v_add_nc_u32_e32 v3, s7, v29
	s_delay_alu instid0(VALU_DEP_2) | instskip(NEXT) | instid1(VALU_DEP_2)
	v_mul_lo_u32 v2, v2, s4
	v_mul_lo_u32 v3, v3, s6
	s_delay_alu instid0(VALU_DEP_1) | instskip(NEXT) | instid1(VALU_DEP_1)
	v_sub_nc_u32_e32 v2, v2, v3
	v_cmp_lt_u32_e32 vcc_lo, s2, v2
	v_cndmask_b32_e64 v2, 0, 1, vcc_lo
; %bb.12:
	s_or_b32 exec_lo, exec_lo, s0
	v_dual_mov_b32 v4, 0 :: v_dual_add_nc_u32 v3, 2, v33
	s_delay_alu instid0(VALU_DEP_1)
	v_cmp_gt_u32_e32 vcc_lo, s22, v3
	v_mov_b32_e32 v3, 0
	s_and_saveexec_b32 s0, vcc_lo
; %bb.13:
	v_add_nc_u32_e32 v3, s5, v26
	v_add_nc_u32_e32 v5, s7, v26
	s_delay_alu instid0(VALU_DEP_2) | instskip(NEXT) | instid1(VALU_DEP_2)
	v_mul_lo_u32 v3, v3, s4
	v_mul_lo_u32 v5, v5, s6
	s_delay_alu instid0(VALU_DEP_1) | instskip(NEXT) | instid1(VALU_DEP_1)
	v_sub_nc_u32_e32 v3, v3, v5
	v_cmp_lt_u32_e32 vcc_lo, s2, v3
	v_cndmask_b32_e64 v3, 0, 1, vcc_lo
; %bb.14:
	s_or_b32 exec_lo, exec_lo, s0
	v_add_nc_u32_e32 v5, 3, v33
	s_mov_b32 s0, exec_lo
	s_delay_alu instid0(VALU_DEP_1)
	v_cmpx_gt_u32_e64 s22, v5
; %bb.15:
	v_add_nc_u32_e32 v4, s5, v27
	v_add_nc_u32_e32 v5, s7, v27
	s_delay_alu instid0(VALU_DEP_2) | instskip(NEXT) | instid1(VALU_DEP_2)
	v_mul_lo_u32 v4, v4, s4
	v_mul_lo_u32 v5, v5, s6
	s_delay_alu instid0(VALU_DEP_1) | instskip(NEXT) | instid1(VALU_DEP_1)
	v_sub_nc_u32_e32 v4, v4, v5
	v_cmp_lt_u32_e32 vcc_lo, s2, v4
	v_cndmask_b32_e64 v4, 0, 1, vcc_lo
; %bb.16:
	s_or_b32 exec_lo, exec_lo, s0
	v_dual_mov_b32 v6, 0 :: v_dual_add_nc_u32 v5, 4, v33
	s_delay_alu instid0(VALU_DEP_1)
	v_cmp_gt_u32_e32 vcc_lo, s22, v5
	v_mov_b32_e32 v5, 0
	s_and_saveexec_b32 s0, vcc_lo
	;; [unrolled: 33-line block ×5, first 2 shown]
; %bb.29:
	v_add_nc_u32_e32 v11, s5, v18
	v_add_nc_u32_e32 v13, s7, v18
	s_delay_alu instid0(VALU_DEP_2) | instskip(NEXT) | instid1(VALU_DEP_2)
	v_mul_lo_u32 v11, v11, s4
	v_mul_lo_u32 v13, v13, s6
	s_delay_alu instid0(VALU_DEP_1) | instskip(NEXT) | instid1(VALU_DEP_1)
	v_sub_nc_u32_e32 v11, v11, v13
	v_cmp_lt_u32_e32 vcc_lo, s2, v11
	v_cndmask_b32_e64 v11, 0, 1, vcc_lo
; %bb.30:
	s_or_b32 exec_lo, exec_lo, s0
	v_add_nc_u32_e32 v13, 11, v33
	s_mov_b32 s0, exec_lo
	s_delay_alu instid0(VALU_DEP_1)
	v_cmpx_gt_u32_e64 s22, v13
; %bb.31:
	v_add_nc_u32_e32 v12, s5, v19
	v_add_nc_u32_e32 v13, s7, v19
	s_delay_alu instid0(VALU_DEP_2) | instskip(NEXT) | instid1(VALU_DEP_2)
	v_mul_lo_u32 v12, v12, s4
	v_mul_lo_u32 v13, v13, s6
	s_delay_alu instid0(VALU_DEP_1) | instskip(NEXT) | instid1(VALU_DEP_1)
	v_sub_nc_u32_e32 v12, v12, v13
	v_cmp_lt_u32_e32 vcc_lo, s2, v12
	v_cndmask_b32_e64 v12, 0, 1, vcc_lo
; %bb.32:
	s_or_b32 exec_lo, exec_lo, s0
	v_dual_mov_b32 v34, 0 :: v_dual_add_nc_u32 v13, 12, v33
	s_mov_b32 s0, exec_lo
	s_delay_alu instid0(VALU_DEP_1)
	v_cmpx_gt_u32_e64 s22, v13
; %bb.33:
	v_add_nc_u32_e32 v13, s5, v32
	v_add_nc_u32_e32 v14, s7, v32
	s_delay_alu instid0(VALU_DEP_2) | instskip(NEXT) | instid1(VALU_DEP_2)
	v_mul_lo_u32 v13, v13, s4
	v_mul_lo_u32 v14, v14, s6
	s_delay_alu instid0(VALU_DEP_1) | instskip(NEXT) | instid1(VALU_DEP_1)
	v_sub_nc_u32_e32 v13, v13, v14
	v_cmp_lt_u32_e32 vcc_lo, s2, v13
	v_cndmask_b32_e64 v34, 0, 1, vcc_lo
; %bb.34:
	s_or_b32 exec_lo, exec_lo, s0
	v_lshlrev_b16 v2, 8, v2
	v_lshlrev_b16 v4, 8, v4
	;; [unrolled: 1-line block ×5, first 2 shown]
	v_or_b32_e32 v1, v1, v2
	v_lshlrev_b16 v2, 8, v12
	v_or_b32_e32 v3, v3, v4
	v_or_b32_e32 v4, v5, v6
	v_or_b32_e32 v5, v7, v8
	v_or_b32_e32 v6, v9, v10
	v_or_b32_e32 v2, v11, v2
	v_and_b32_e32 v1, 0xffff, v1
	v_lshlrev_b32_e32 v3, 16, v3
	v_and_b32_e32 v4, 0xffff, v4
	v_lshlrev_b32_e32 v5, 16, v5
	;; [unrolled: 2-line block ×3, first 2 shown]
	v_or_b32_e32 v39, v1, v3
	s_delay_alu instid0(VALU_DEP_4) | instskip(NEXT) | instid1(VALU_DEP_3)
	v_or_b32_e32 v37, v4, v5
	v_or_b32_e32 v35, v6, v2
.LBB1625_35:
	s_delay_alu instid0(VALU_DEP_3)
	v_and_b32_e32 v41, 0xff, v39
	v_bfe_u32 v42, v39, 8, 8
	v_bfe_u32 v43, v39, 16, 8
	v_lshrrev_b32_e32 v40, 24, v39
	v_and_b32_e32 v44, 0xff, v37
	v_bfe_u32 v45, v37, 8, 8
	v_bfe_u32 v46, v37, 16, 8
	v_add3_u32 v1, v42, v41, v43
	v_lshrrev_b32_e32 v38, 24, v37
	v_and_b32_e32 v47, 0xff, v35
	v_bfe_u32 v48, v35, 8, 8
	v_mbcnt_lo_u32_b32 v50, -1, 0
	v_add3_u32 v1, v1, v40, v44
	v_bfe_u32 v49, v35, 16, 8
	v_lshrrev_b32_e32 v36, 24, v35
	v_and_b32_e32 v2, 0xff, v34
	v_and_b32_e32 v3, 15, v50
	v_add3_u32 v1, v1, v45, v46
	v_or_b32_e32 v4, 31, v0
	v_and_b32_e32 v5, 16, v50
	v_lshrrev_b32_e32 v51, 5, v0
	v_cmp_eq_u32_e64 s5, 0, v3
	v_add3_u32 v1, v1, v38, v47
	v_cmp_lt_u32_e64 s4, 1, v3
	v_cmp_lt_u32_e64 s3, 3, v3
	;; [unrolled: 1-line block ×3, first 2 shown]
	v_cmp_eq_u32_e64 s1, 0, v5
	v_add3_u32 v1, v1, v48, v49
	v_cmp_eq_u32_e64 s0, v4, v0
	s_cmp_lg_u32 s15, 0
	s_mov_b32 s6, -1
	s_delay_alu instid0(VALU_DEP_2)
	v_add3_u32 v52, v1, v36, v2
	s_cbranch_scc0 .LBB1625_66
; %bb.36:
	s_delay_alu instid0(VALU_DEP_1) | instskip(NEXT) | instid1(VALU_DEP_1)
	v_mov_b32_dpp v1, v52 row_shr:1 row_mask:0xf bank_mask:0xf
	v_cndmask_b32_e64 v1, v1, 0, s5
	s_delay_alu instid0(VALU_DEP_1) | instskip(NEXT) | instid1(VALU_DEP_1)
	v_add_nc_u32_e32 v1, v1, v52
	v_mov_b32_dpp v2, v1 row_shr:2 row_mask:0xf bank_mask:0xf
	s_delay_alu instid0(VALU_DEP_1) | instskip(NEXT) | instid1(VALU_DEP_1)
	v_cndmask_b32_e64 v2, 0, v2, s4
	v_add_nc_u32_e32 v1, v1, v2
	s_delay_alu instid0(VALU_DEP_1) | instskip(NEXT) | instid1(VALU_DEP_1)
	v_mov_b32_dpp v2, v1 row_shr:4 row_mask:0xf bank_mask:0xf
	v_cndmask_b32_e64 v2, 0, v2, s3
	s_delay_alu instid0(VALU_DEP_1) | instskip(NEXT) | instid1(VALU_DEP_1)
	v_add_nc_u32_e32 v1, v1, v2
	v_mov_b32_dpp v2, v1 row_shr:8 row_mask:0xf bank_mask:0xf
	s_delay_alu instid0(VALU_DEP_1) | instskip(NEXT) | instid1(VALU_DEP_1)
	v_cndmask_b32_e64 v2, 0, v2, s2
	v_add_nc_u32_e32 v1, v1, v2
	ds_swizzle_b32 v2, v1 offset:swizzle(BROADCAST,32,15)
	s_waitcnt lgkmcnt(0)
	v_cndmask_b32_e64 v2, v2, 0, s1
	s_delay_alu instid0(VALU_DEP_1)
	v_add_nc_u32_e32 v1, v1, v2
	s_and_saveexec_b32 s6, s0
	s_cbranch_execz .LBB1625_38
; %bb.37:
	v_lshlrev_b32_e32 v2, 2, v51
	ds_store_b32 v2, v1
.LBB1625_38:
	s_or_b32 exec_lo, exec_lo, s6
	s_delay_alu instid0(SALU_CYCLE_1)
	s_mov_b32 s6, exec_lo
	s_waitcnt lgkmcnt(0)
	s_barrier
	buffer_gl0_inv
	v_cmpx_gt_u32_e32 8, v0
	s_cbranch_execz .LBB1625_40
; %bb.39:
	ds_load_b32 v2, v30
	s_waitcnt lgkmcnt(0)
	v_mov_b32_dpp v4, v2 row_shr:1 row_mask:0xf bank_mask:0xf
	v_and_b32_e32 v3, 7, v50
	s_delay_alu instid0(VALU_DEP_1) | instskip(NEXT) | instid1(VALU_DEP_3)
	v_cmp_ne_u32_e32 vcc_lo, 0, v3
	v_cndmask_b32_e32 v4, 0, v4, vcc_lo
	v_cmp_lt_u32_e32 vcc_lo, 1, v3
	s_delay_alu instid0(VALU_DEP_2) | instskip(NEXT) | instid1(VALU_DEP_1)
	v_add_nc_u32_e32 v2, v4, v2
	v_mov_b32_dpp v4, v2 row_shr:2 row_mask:0xf bank_mask:0xf
	s_delay_alu instid0(VALU_DEP_1) | instskip(SKIP_1) | instid1(VALU_DEP_2)
	v_cndmask_b32_e32 v4, 0, v4, vcc_lo
	v_cmp_lt_u32_e32 vcc_lo, 3, v3
	v_add_nc_u32_e32 v2, v2, v4
	s_delay_alu instid0(VALU_DEP_1) | instskip(NEXT) | instid1(VALU_DEP_1)
	v_mov_b32_dpp v4, v2 row_shr:4 row_mask:0xf bank_mask:0xf
	v_cndmask_b32_e32 v3, 0, v4, vcc_lo
	s_delay_alu instid0(VALU_DEP_1)
	v_add_nc_u32_e32 v2, v2, v3
	ds_store_b32 v30, v2
.LBB1625_40:
	s_or_b32 exec_lo, exec_lo, s6
	v_cmp_gt_u32_e32 vcc_lo, 32, v0
	s_mov_b32 s7, exec_lo
	s_waitcnt lgkmcnt(0)
	s_barrier
	buffer_gl0_inv
                                        ; implicit-def: $vgpr8
	v_cmpx_lt_u32_e32 31, v0
	s_cbranch_execz .LBB1625_42
; %bb.41:
	v_lshl_add_u32 v2, v51, 2, -4
	ds_load_b32 v8, v2
	s_waitcnt lgkmcnt(0)
	v_add_nc_u32_e32 v1, v8, v1
.LBB1625_42:
	s_or_b32 exec_lo, exec_lo, s7
	v_add_nc_u32_e32 v2, -1, v50
	s_delay_alu instid0(VALU_DEP_1) | instskip(NEXT) | instid1(VALU_DEP_1)
	v_cmp_gt_i32_e64 s6, 0, v2
	v_cndmask_b32_e64 v2, v2, v50, s6
	v_cmp_eq_u32_e64 s6, 0, v50
	s_delay_alu instid0(VALU_DEP_2)
	v_lshlrev_b32_e32 v2, 2, v2
	ds_bpermute_b32 v9, v2, v1
	s_and_saveexec_b32 s7, vcc_lo
	s_cbranch_execz .LBB1625_65
; %bb.43:
	v_mov_b32_e32 v4, 0
	ds_load_b32 v1, v4 offset:28
	s_and_saveexec_b32 s24, s6
	s_cbranch_execz .LBB1625_45
; %bb.44:
	s_add_i32 s26, s15, 32
	s_mov_b32 s27, 0
	v_mov_b32_e32 v2, 1
	s_lshl_b64 s[26:27], s[26:27], 3
	s_delay_alu instid0(SALU_CYCLE_1)
	s_add_u32 s26, s20, s26
	s_addc_u32 s27, s21, s27
	s_waitcnt lgkmcnt(0)
	global_store_b64 v4, v[1:2], s[26:27]
.LBB1625_45:
	s_or_b32 exec_lo, exec_lo, s24
	v_xad_u32 v2, v50, -1, s15
	s_mov_b32 s25, 0
	s_mov_b32 s24, exec_lo
	s_delay_alu instid0(VALU_DEP_1) | instskip(NEXT) | instid1(VALU_DEP_1)
	v_add_nc_u32_e32 v3, 32, v2
	v_lshlrev_b64 v[3:4], 3, v[3:4]
	s_delay_alu instid0(VALU_DEP_1) | instskip(NEXT) | instid1(VALU_DEP_2)
	v_add_co_u32 v6, vcc_lo, s20, v3
	v_add_co_ci_u32_e32 v7, vcc_lo, s21, v4, vcc_lo
	global_load_b64 v[4:5], v[6:7], off glc
	s_waitcnt vmcnt(0)
	v_and_b32_e32 v3, 0xff, v5
	s_delay_alu instid0(VALU_DEP_1)
	v_cmpx_eq_u16_e32 0, v3
	s_cbranch_execz .LBB1625_51
; %bb.46:
	s_mov_b32 s26, 1
	.p2align	6
.LBB1625_47:                            ; =>This Loop Header: Depth=1
                                        ;     Child Loop BB1625_48 Depth 2
	s_delay_alu instid0(SALU_CYCLE_1)
	s_max_u32 s27, s26, 1
.LBB1625_48:                            ;   Parent Loop BB1625_47 Depth=1
                                        ; =>  This Inner Loop Header: Depth=2
	s_delay_alu instid0(SALU_CYCLE_1)
	s_add_i32 s27, s27, -1
	s_sleep 1
	s_cmp_eq_u32 s27, 0
	s_cbranch_scc0 .LBB1625_48
; %bb.49:                               ;   in Loop: Header=BB1625_47 Depth=1
	global_load_b64 v[4:5], v[6:7], off glc
	s_cmp_lt_u32 s26, 32
	s_cselect_b32 s27, -1, 0
	s_delay_alu instid0(SALU_CYCLE_1) | instskip(SKIP_3) | instid1(VALU_DEP_1)
	s_cmp_lg_u32 s27, 0
	s_addc_u32 s26, s26, 0
	s_waitcnt vmcnt(0)
	v_and_b32_e32 v3, 0xff, v5
	v_cmp_ne_u16_e32 vcc_lo, 0, v3
	s_or_b32 s25, vcc_lo, s25
	s_delay_alu instid0(SALU_CYCLE_1)
	s_and_not1_b32 exec_lo, exec_lo, s25
	s_cbranch_execnz .LBB1625_47
; %bb.50:
	s_or_b32 exec_lo, exec_lo, s25
.LBB1625_51:
	s_delay_alu instid0(SALU_CYCLE_1)
	s_or_b32 exec_lo, exec_lo, s24
	v_cmp_ne_u32_e32 vcc_lo, 31, v50
	v_lshlrev_b32_e64 v11, v50, -1
	v_add_nc_u32_e32 v13, 2, v50
	v_add_nc_u32_e32 v16, 4, v50
	;; [unrolled: 1-line block ×3, first 2 shown]
	v_add_co_ci_u32_e32 v3, vcc_lo, 0, v50, vcc_lo
	v_add_nc_u32_e32 v55, 16, v50
	s_delay_alu instid0(VALU_DEP_2) | instskip(SKIP_2) | instid1(VALU_DEP_1)
	v_lshlrev_b32_e32 v10, 2, v3
	ds_bpermute_b32 v6, v10, v4
	v_and_b32_e32 v3, 0xff, v5
	v_cmp_eq_u16_e32 vcc_lo, 2, v3
	v_and_or_b32 v3, vcc_lo, v11, 0x80000000
	v_cmp_gt_u32_e32 vcc_lo, 30, v50
	s_delay_alu instid0(VALU_DEP_2) | instskip(SKIP_1) | instid1(VALU_DEP_2)
	v_ctz_i32_b32_e32 v3, v3
	v_cndmask_b32_e64 v7, 0, 1, vcc_lo
	v_cmp_lt_u32_e32 vcc_lo, v50, v3
	s_waitcnt lgkmcnt(0)
	s_delay_alu instid0(VALU_DEP_2) | instskip(NEXT) | instid1(VALU_DEP_1)
	v_dual_cndmask_b32 v6, 0, v6 :: v_dual_lshlrev_b32 v7, 1, v7
	v_add_lshl_u32 v12, v7, v50, 2
	v_cmp_gt_u32_e32 vcc_lo, 28, v50
	s_delay_alu instid0(VALU_DEP_3) | instskip(SKIP_4) | instid1(VALU_DEP_1)
	v_add_nc_u32_e32 v4, v6, v4
	v_cndmask_b32_e64 v7, 0, 1, vcc_lo
	v_cmp_le_u32_e32 vcc_lo, v13, v3
	ds_bpermute_b32 v6, v12, v4
	v_lshlrev_b32_e32 v7, 2, v7
	v_add_lshl_u32 v14, v7, v50, 2
	s_waitcnt lgkmcnt(0)
	v_cndmask_b32_e32 v6, 0, v6, vcc_lo
	v_cmp_gt_u32_e32 vcc_lo, 24, v50
	s_delay_alu instid0(VALU_DEP_2) | instskip(SKIP_4) | instid1(VALU_DEP_1)
	v_add_nc_u32_e32 v4, v4, v6
	v_cndmask_b32_e64 v7, 0, 1, vcc_lo
	v_cmp_le_u32_e32 vcc_lo, v16, v3
	ds_bpermute_b32 v6, v14, v4
	v_lshlrev_b32_e32 v7, 3, v7
	v_add_lshl_u32 v17, v7, v50, 2
	s_waitcnt lgkmcnt(0)
	v_cndmask_b32_e32 v6, 0, v6, vcc_lo
	v_cmp_gt_u32_e32 vcc_lo, 16, v50
	s_delay_alu instid0(VALU_DEP_2) | instskip(SKIP_4) | instid1(VALU_DEP_1)
	v_add_nc_u32_e32 v4, v4, v6
	v_cndmask_b32_e64 v7, 0, 1, vcc_lo
	v_cmp_le_u32_e32 vcc_lo, v53, v3
	ds_bpermute_b32 v6, v17, v4
	v_lshlrev_b32_e32 v7, 4, v7
	v_add_lshl_u32 v54, v7, v50, 2
	s_waitcnt lgkmcnt(0)
	v_cndmask_b32_e32 v6, 0, v6, vcc_lo
	v_cmp_le_u32_e32 vcc_lo, v55, v3
	s_delay_alu instid0(VALU_DEP_2) | instskip(SKIP_3) | instid1(VALU_DEP_1)
	v_add_nc_u32_e32 v4, v4, v6
	ds_bpermute_b32 v6, v54, v4
	s_waitcnt lgkmcnt(0)
	v_cndmask_b32_e32 v3, 0, v6, vcc_lo
	v_dual_mov_b32 v3, 0 :: v_dual_add_nc_u32 v4, v4, v3
	s_branch .LBB1625_53
.LBB1625_52:                            ;   in Loop: Header=BB1625_53 Depth=1
	s_or_b32 exec_lo, exec_lo, s24
	ds_bpermute_b32 v7, v10, v4
	v_and_b32_e32 v6, 0xff, v5
	v_subrev_nc_u32_e32 v2, 32, v2
	s_delay_alu instid0(VALU_DEP_2) | instskip(SKIP_1) | instid1(VALU_DEP_1)
	v_cmp_eq_u16_e32 vcc_lo, 2, v6
	v_and_or_b32 v6, vcc_lo, v11, 0x80000000
	v_ctz_i32_b32_e32 v6, v6
	s_delay_alu instid0(VALU_DEP_1) | instskip(SKIP_3) | instid1(VALU_DEP_2)
	v_cmp_lt_u32_e32 vcc_lo, v50, v6
	s_waitcnt lgkmcnt(0)
	v_cndmask_b32_e32 v7, 0, v7, vcc_lo
	v_cmp_le_u32_e32 vcc_lo, v13, v6
	v_add_nc_u32_e32 v4, v7, v4
	ds_bpermute_b32 v7, v12, v4
	s_waitcnt lgkmcnt(0)
	v_cndmask_b32_e32 v7, 0, v7, vcc_lo
	v_cmp_le_u32_e32 vcc_lo, v16, v6
	s_delay_alu instid0(VALU_DEP_2) | instskip(SKIP_4) | instid1(VALU_DEP_2)
	v_add_nc_u32_e32 v4, v4, v7
	ds_bpermute_b32 v7, v14, v4
	s_waitcnt lgkmcnt(0)
	v_cndmask_b32_e32 v7, 0, v7, vcc_lo
	v_cmp_le_u32_e32 vcc_lo, v53, v6
	v_add_nc_u32_e32 v4, v4, v7
	ds_bpermute_b32 v7, v17, v4
	s_waitcnt lgkmcnt(0)
	v_cndmask_b32_e32 v7, 0, v7, vcc_lo
	v_cmp_le_u32_e32 vcc_lo, v55, v6
	s_delay_alu instid0(VALU_DEP_2) | instskip(SKIP_3) | instid1(VALU_DEP_1)
	v_add_nc_u32_e32 v4, v4, v7
	ds_bpermute_b32 v7, v54, v4
	s_waitcnt lgkmcnt(0)
	v_cndmask_b32_e32 v6, 0, v7, vcc_lo
	v_add3_u32 v4, v6, v15, v4
.LBB1625_53:                            ; =>This Loop Header: Depth=1
                                        ;     Child Loop BB1625_56 Depth 2
                                        ;       Child Loop BB1625_57 Depth 3
	v_and_b32_e32 v5, 0xff, v5
	s_delay_alu instid0(VALU_DEP_2) | instskip(NEXT) | instid1(VALU_DEP_2)
	v_mov_b32_e32 v15, v4
	v_cmp_ne_u16_e32 vcc_lo, 2, v5
	v_cndmask_b32_e64 v5, 0, 1, vcc_lo
	;;#ASMSTART
	;;#ASMEND
	s_delay_alu instid0(VALU_DEP_1)
	v_cmp_ne_u32_e32 vcc_lo, 0, v5
	s_cmp_lg_u32 vcc_lo, exec_lo
	s_cbranch_scc1 .LBB1625_60
; %bb.54:                               ;   in Loop: Header=BB1625_53 Depth=1
	v_lshlrev_b64 v[4:5], 3, v[2:3]
	s_mov_b32 s24, exec_lo
	s_delay_alu instid0(VALU_DEP_1) | instskip(NEXT) | instid1(VALU_DEP_2)
	v_add_co_u32 v6, vcc_lo, s20, v4
	v_add_co_ci_u32_e32 v7, vcc_lo, s21, v5, vcc_lo
	global_load_b64 v[4:5], v[6:7], off glc
	s_waitcnt vmcnt(0)
	v_and_b32_e32 v56, 0xff, v5
	s_delay_alu instid0(VALU_DEP_1)
	v_cmpx_eq_u16_e32 0, v56
	s_cbranch_execz .LBB1625_52
; %bb.55:                               ;   in Loop: Header=BB1625_53 Depth=1
	s_mov_b32 s26, 1
	s_mov_b32 s25, 0
	.p2align	6
.LBB1625_56:                            ;   Parent Loop BB1625_53 Depth=1
                                        ; =>  This Loop Header: Depth=2
                                        ;       Child Loop BB1625_57 Depth 3
	s_max_u32 s27, s26, 1
.LBB1625_57:                            ;   Parent Loop BB1625_53 Depth=1
                                        ;     Parent Loop BB1625_56 Depth=2
                                        ; =>    This Inner Loop Header: Depth=3
	s_delay_alu instid0(SALU_CYCLE_1)
	s_add_i32 s27, s27, -1
	s_sleep 1
	s_cmp_eq_u32 s27, 0
	s_cbranch_scc0 .LBB1625_57
; %bb.58:                               ;   in Loop: Header=BB1625_56 Depth=2
	global_load_b64 v[4:5], v[6:7], off glc
	s_cmp_lt_u32 s26, 32
	s_cselect_b32 s27, -1, 0
	s_delay_alu instid0(SALU_CYCLE_1) | instskip(SKIP_3) | instid1(VALU_DEP_1)
	s_cmp_lg_u32 s27, 0
	s_addc_u32 s26, s26, 0
	s_waitcnt vmcnt(0)
	v_and_b32_e32 v56, 0xff, v5
	v_cmp_ne_u16_e32 vcc_lo, 0, v56
	s_or_b32 s25, vcc_lo, s25
	s_delay_alu instid0(SALU_CYCLE_1)
	s_and_not1_b32 exec_lo, exec_lo, s25
	s_cbranch_execnz .LBB1625_56
; %bb.59:                               ;   in Loop: Header=BB1625_53 Depth=1
	s_or_b32 exec_lo, exec_lo, s25
	s_branch .LBB1625_52
.LBB1625_60:                            ;   in Loop: Header=BB1625_53 Depth=1
                                        ; implicit-def: $vgpr4
                                        ; implicit-def: $vgpr5
	s_cbranch_execz .LBB1625_53
; %bb.61:
	s_and_saveexec_b32 s24, s6
	s_cbranch_execz .LBB1625_63
; %bb.62:
	s_add_i32 s26, s15, 32
	s_mov_b32 s27, 0
	v_dual_mov_b32 v3, 2 :: v_dual_add_nc_u32 v2, v15, v1
	s_lshl_b64 s[26:27], s[26:27], 3
	v_mov_b32_e32 v4, 0
	v_add_nc_u32_e64 v5, 0x3400, 0
	s_add_u32 s26, s20, s26
	s_addc_u32 s27, s21, s27
	global_store_b64 v4, v[2:3], s[26:27]
	ds_store_2addr_b32 v5, v1, v15 offset1:2
.LBB1625_63:
	s_or_b32 exec_lo, exec_lo, s24
	v_cmp_eq_u32_e32 vcc_lo, 0, v0
	s_and_b32 exec_lo, exec_lo, vcc_lo
	s_cbranch_execz .LBB1625_65
; %bb.64:
	v_mov_b32_e32 v1, 0
	ds_store_b32 v1, v15 offset:28
.LBB1625_65:
	s_or_b32 exec_lo, exec_lo, s7
	s_waitcnt lgkmcnt(0)
	v_cndmask_b32_e64 v2, v9, v8, s6
	v_cmp_ne_u32_e32 vcc_lo, 0, v0
	v_mov_b32_e32 v1, 0
	s_waitcnt_vscnt null, 0x0
	s_barrier
	buffer_gl0_inv
	v_cndmask_b32_e32 v2, 0, v2, vcc_lo
	ds_load_b32 v1, v1 offset:28
	v_add_nc_u32_e64 v11, 0x3400, 0
	s_waitcnt lgkmcnt(0)
	s_barrier
	buffer_gl0_inv
	ds_load_2addr_b32 v[16:17], v11 offset1:2
	v_add_nc_u32_e32 v1, v1, v2
	s_delay_alu instid0(VALU_DEP_1) | instskip(NEXT) | instid1(VALU_DEP_1)
	v_add_nc_u32_e32 v2, v1, v41
	v_add_nc_u32_e32 v3, v2, v42
	s_delay_alu instid0(VALU_DEP_1) | instskip(NEXT) | instid1(VALU_DEP_1)
	v_add_nc_u32_e32 v4, v3, v43
	;; [unrolled: 3-line block ×6, first 2 shown]
	v_add_nc_u32_e32 v13, v12, v36
	s_branch .LBB1625_76
.LBB1625_66:
                                        ; implicit-def: $vgpr17
                                        ; implicit-def: $vgpr1_vgpr2_vgpr3_vgpr4_vgpr5_vgpr6_vgpr7_vgpr8_vgpr9_vgpr10_vgpr11_vgpr12_vgpr13_vgpr14_vgpr15_vgpr16
	s_and_b32 vcc_lo, exec_lo, s6
	s_cbranch_vccz .LBB1625_76
; %bb.67:
	s_delay_alu instid0(VALU_DEP_1) | instskip(NEXT) | instid1(VALU_DEP_1)
	v_mov_b32_dpp v1, v52 row_shr:1 row_mask:0xf bank_mask:0xf
	v_cndmask_b32_e64 v1, v1, 0, s5
	s_delay_alu instid0(VALU_DEP_1) | instskip(NEXT) | instid1(VALU_DEP_1)
	v_add_nc_u32_e32 v1, v1, v52
	v_mov_b32_dpp v2, v1 row_shr:2 row_mask:0xf bank_mask:0xf
	s_delay_alu instid0(VALU_DEP_1) | instskip(NEXT) | instid1(VALU_DEP_1)
	v_cndmask_b32_e64 v2, 0, v2, s4
	v_add_nc_u32_e32 v1, v1, v2
	s_delay_alu instid0(VALU_DEP_1) | instskip(NEXT) | instid1(VALU_DEP_1)
	v_mov_b32_dpp v2, v1 row_shr:4 row_mask:0xf bank_mask:0xf
	v_cndmask_b32_e64 v2, 0, v2, s3
	s_delay_alu instid0(VALU_DEP_1) | instskip(NEXT) | instid1(VALU_DEP_1)
	v_add_nc_u32_e32 v1, v1, v2
	v_mov_b32_dpp v2, v1 row_shr:8 row_mask:0xf bank_mask:0xf
	s_delay_alu instid0(VALU_DEP_1) | instskip(NEXT) | instid1(VALU_DEP_1)
	v_cndmask_b32_e64 v2, 0, v2, s2
	v_add_nc_u32_e32 v1, v1, v2
	ds_swizzle_b32 v2, v1 offset:swizzle(BROADCAST,32,15)
	s_waitcnt lgkmcnt(0)
	v_cndmask_b32_e64 v2, v2, 0, s1
	s_delay_alu instid0(VALU_DEP_1)
	v_add_nc_u32_e32 v1, v1, v2
	s_and_saveexec_b32 s1, s0
	s_cbranch_execz .LBB1625_69
; %bb.68:
	v_lshlrev_b32_e32 v2, 2, v51
	ds_store_b32 v2, v1
.LBB1625_69:
	s_or_b32 exec_lo, exec_lo, s1
	s_delay_alu instid0(SALU_CYCLE_1)
	s_mov_b32 s0, exec_lo
	s_waitcnt lgkmcnt(0)
	s_barrier
	buffer_gl0_inv
	v_cmpx_gt_u32_e32 8, v0
	s_cbranch_execz .LBB1625_71
; %bb.70:
	ds_load_b32 v2, v30
	s_waitcnt lgkmcnt(0)
	v_mov_b32_dpp v4, v2 row_shr:1 row_mask:0xf bank_mask:0xf
	v_and_b32_e32 v3, 7, v50
	s_delay_alu instid0(VALU_DEP_1) | instskip(NEXT) | instid1(VALU_DEP_3)
	v_cmp_ne_u32_e32 vcc_lo, 0, v3
	v_cndmask_b32_e32 v4, 0, v4, vcc_lo
	v_cmp_lt_u32_e32 vcc_lo, 1, v3
	s_delay_alu instid0(VALU_DEP_2) | instskip(NEXT) | instid1(VALU_DEP_1)
	v_add_nc_u32_e32 v2, v4, v2
	v_mov_b32_dpp v4, v2 row_shr:2 row_mask:0xf bank_mask:0xf
	s_delay_alu instid0(VALU_DEP_1) | instskip(SKIP_1) | instid1(VALU_DEP_2)
	v_cndmask_b32_e32 v4, 0, v4, vcc_lo
	v_cmp_lt_u32_e32 vcc_lo, 3, v3
	v_add_nc_u32_e32 v2, v2, v4
	s_delay_alu instid0(VALU_DEP_1) | instskip(NEXT) | instid1(VALU_DEP_1)
	v_mov_b32_dpp v4, v2 row_shr:4 row_mask:0xf bank_mask:0xf
	v_cndmask_b32_e32 v3, 0, v4, vcc_lo
	s_delay_alu instid0(VALU_DEP_1)
	v_add_nc_u32_e32 v2, v2, v3
	ds_store_b32 v30, v2
.LBB1625_71:
	s_or_b32 exec_lo, exec_lo, s0
	v_dual_mov_b32 v3, 0 :: v_dual_mov_b32 v2, 0
	s_mov_b32 s0, exec_lo
	s_waitcnt lgkmcnt(0)
	s_barrier
	buffer_gl0_inv
	v_cmpx_lt_u32_e32 31, v0
	s_cbranch_execz .LBB1625_73
; %bb.72:
	v_lshl_add_u32 v2, v51, 2, -4
	ds_load_b32 v2, v2
.LBB1625_73:
	s_or_b32 exec_lo, exec_lo, s0
	v_add_nc_u32_e32 v4, -1, v50
	ds_load_b32 v16, v3 offset:28
	s_waitcnt lgkmcnt(1)
	v_add_nc_u32_e32 v1, v2, v1
	v_cmp_gt_i32_e32 vcc_lo, 0, v4
	v_cndmask_b32_e32 v4, v4, v50, vcc_lo
	v_cmp_eq_u32_e32 vcc_lo, 0, v0
	s_delay_alu instid0(VALU_DEP_2)
	v_lshlrev_b32_e32 v4, 2, v4
	ds_bpermute_b32 v1, v4, v1
	s_and_saveexec_b32 s0, vcc_lo
	s_cbranch_execz .LBB1625_75
; %bb.74:
	v_mov_b32_e32 v3, 0
	v_mov_b32_e32 v17, 2
	s_waitcnt lgkmcnt(1)
	global_store_b64 v3, v[16:17], s[20:21] offset:256
.LBB1625_75:
	s_or_b32 exec_lo, exec_lo, s0
	v_cmp_eq_u32_e64 s0, 0, v50
	s_waitcnt lgkmcnt(0)
	s_waitcnt_vscnt null, 0x0
	s_barrier
	buffer_gl0_inv
	v_mov_b32_e32 v17, 0
	v_cndmask_b32_e64 v1, v1, v2, s0
	s_delay_alu instid0(VALU_DEP_1) | instskip(NEXT) | instid1(VALU_DEP_1)
	v_cndmask_b32_e64 v1, v1, 0, vcc_lo
	v_add_nc_u32_e32 v2, v1, v41
	s_delay_alu instid0(VALU_DEP_1) | instskip(NEXT) | instid1(VALU_DEP_1)
	v_add_nc_u32_e32 v3, v2, v42
	v_add_nc_u32_e32 v4, v3, v43
	s_delay_alu instid0(VALU_DEP_1) | instskip(NEXT) | instid1(VALU_DEP_1)
	v_add_nc_u32_e32 v5, v4, v40
	;; [unrolled: 3-line block ×5, first 2 shown]
	v_add_nc_u32_e32 v12, v11, v49
	s_delay_alu instid0(VALU_DEP_1)
	v_add_nc_u32_e32 v13, v12, v36
.LBB1625_76:
	v_lshrrev_b32_e32 v44, 8, v39
	v_lshrrev_b32_e32 v43, 16, v39
	s_waitcnt lgkmcnt(0)
	v_sub_nc_u32_e32 v1, v1, v17
	v_and_b32_e32 v39, 1, v39
	v_sub_nc_u32_e32 v3, v3, v17
	v_add_nc_u32_e32 v33, v16, v33
	v_sub_nc_u32_e32 v2, v2, v17
	v_sub_nc_u32_e32 v4, v4, v17
	v_cmp_eq_u32_e32 vcc_lo, 1, v39
	v_and_b32_e32 v39, 1, v43
	v_sub_nc_u32_e32 v45, v33, v1
	v_and_b32_e32 v44, 1, v44
	v_sub_nc_u32_e32 v43, v33, v2
	v_lshrrev_b32_e32 v42, 8, v37
	v_lshrrev_b32_e32 v41, 16, v37
	v_cndmask_b32_e32 v1, v45, v1, vcc_lo
	v_sub_nc_u32_e32 v45, v33, v3
	v_add_nc_u32_e32 v43, 1, v43
	v_cmp_eq_u32_e32 vcc_lo, 1, v44
	v_and_b32_e32 v40, 1, v40
	v_lshlrev_b32_e32 v1, 2, v1
	v_add_nc_u32_e32 v45, 2, v45
	v_lshrrev_b32_e32 v15, 8, v35
	v_lshrrev_b32_e32 v14, 16, v35
	ds_store_b32 v1, v28
	v_cndmask_b32_e32 v1, v43, v2, vcc_lo
	v_cmp_eq_u32_e32 vcc_lo, 1, v39
	v_or_b32_e32 v28, 0x500, v0
	s_delay_alu instid0(VALU_DEP_3)
	v_dual_cndmask_b32 v2, v45, v3 :: v_dual_lshlrev_b32 v1, 2, v1
	v_sub_nc_u32_e32 v46, v33, v4
	v_cmp_eq_u32_e32 vcc_lo, 1, v40
	ds_store_b32 v1, v29
	v_lshlrev_b32_e32 v2, 2, v2
	v_add_nc_u32_e32 v46, 3, v46
	v_or_b32_e32 v29, 0x400, v0
	s_delay_alu instid0(VALU_DEP_2) | instskip(SKIP_2) | instid1(VALU_DEP_3)
	v_cndmask_b32_e32 v3, v46, v4, vcc_lo
	v_sub_nc_u32_e32 v4, v5, v17
	v_sub_nc_u32_e32 v5, v6, v17
	v_lshlrev_b32_e32 v3, 2, v3
	s_delay_alu instid0(VALU_DEP_3) | instskip(NEXT) | instid1(VALU_DEP_3)
	v_sub_nc_u32_e32 v1, v33, v4
	v_sub_nc_u32_e32 v6, v33, v5
	ds_store_b32 v2, v26
	ds_store_b32 v3, v27
	v_and_b32_e32 v2, 1, v37
	v_add_nc_u32_e32 v1, 4, v1
	v_add_nc_u32_e32 v3, 5, v6
	v_sub_nc_u32_e32 v6, v7, v17
	v_and_b32_e32 v7, 1, v42
	v_cmp_eq_u32_e32 vcc_lo, 1, v2
	v_sub_nc_u32_e32 v2, v8, v17
	v_and_b32_e32 v8, 1, v38
	v_or_b32_e32 v27, 0x600, v0
	v_or_b32_e32 v26, 0x700, v0
	v_cndmask_b32_e32 v1, v1, v4, vcc_lo
	v_sub_nc_u32_e32 v4, v33, v6
	v_cmp_eq_u32_e32 vcc_lo, 1, v7
	v_and_b32_e32 v7, 1, v41
	s_delay_alu instid0(VALU_DEP_4) | instskip(NEXT) | instid1(VALU_DEP_4)
	v_lshlrev_b32_e32 v1, 2, v1
	v_dual_cndmask_b32 v3, v3, v5 :: v_dual_add_nc_u32 v4, 6, v4
	v_sub_nc_u32_e32 v5, v33, v2
	s_delay_alu instid0(VALU_DEP_4) | instskip(SKIP_1) | instid1(VALU_DEP_4)
	v_cmp_eq_u32_e32 vcc_lo, 1, v7
	v_sub_nc_u32_e32 v7, v13, v17
	v_lshlrev_b32_e32 v3, 2, v3
	s_delay_alu instid0(VALU_DEP_4)
	v_dual_cndmask_b32 v4, v4, v6 :: v_dual_add_nc_u32 v5, 7, v5
	v_cmp_eq_u32_e32 vcc_lo, 1, v8
	v_sub_nc_u32_e32 v6, v9, v17
	ds_store_b32 v1, v24
	ds_store_b32 v3, v25
	v_or_b32_e32 v25, 0x800, v0
	v_dual_cndmask_b32 v2, v5, v2 :: v_dual_lshlrev_b32 v3, 2, v4
	v_and_b32_e32 v5, 1, v35
	v_sub_nc_u32_e32 v1, v33, v6
	v_sub_nc_u32_e32 v4, v10, v17
	v_and_b32_e32 v10, 1, v36
	v_or_b32_e32 v24, 0x900, v0
	v_cmp_eq_u32_e32 vcc_lo, 1, v5
	v_sub_nc_u32_e32 v5, v12, v17
	v_add_nc_u32_e32 v1, 8, v1
	s_delay_alu instid0(VALU_DEP_2) | instskip(NEXT) | instid1(VALU_DEP_2)
	v_sub_nc_u32_e32 v9, v33, v5
	v_dual_cndmask_b32 v1, v1, v6 :: v_dual_and_b32 v6, 1, v15
	v_add_co_u32 v15, s0, s18, v17
	s_delay_alu instid0(VALU_DEP_3)
	v_add_nc_u32_e32 v9, 11, v9
	v_lshlrev_b32_e32 v2, 2, v2
	ds_store_b32 v3, v22
	ds_store_b32 v2, v23
	v_sub_nc_u32_e32 v3, v11, v17
	v_sub_nc_u32_e32 v2, v33, v4
	v_cmp_eq_u32_e32 vcc_lo, 1, v6
	v_and_b32_e32 v11, 1, v34
	v_lshlrev_b32_e32 v1, 2, v1
	v_sub_nc_u32_e32 v8, v33, v3
	v_add_nc_u32_e32 v2, 9, v2
	v_add_co_ci_u32_e64 v17, null, s19, 0, s0
	s_add_u32 s0, s16, s23
	s_delay_alu instid0(VALU_DEP_3)
	v_add_nc_u32_e32 v6, 10, v8
	v_and_b32_e32 v8, 1, v14
	v_cndmask_b32_e32 v2, v2, v4, vcc_lo
	v_sub_nc_u32_e32 v4, v33, v7
	s_addc_u32 s1, s17, 0
	s_sub_u32 s0, s12, s0
	v_cmp_eq_u32_e32 vcc_lo, 1, v8
	v_lshlrev_b32_e32 v2, 2, v2
	v_add_nc_u32_e32 v4, 12, v4
	s_subb_u32 s1, s13, s1
	v_add_co_u32 v13, s0, s0, v16
	v_cndmask_b32_e32 v3, v6, v3, vcc_lo
	v_cmp_eq_u32_e32 vcc_lo, 1, v10
	v_add_co_ci_u32_e64 v14, null, s1, 0, s0
	v_or_b32_e32 v34, 0x100, v0
	s_delay_alu instid0(VALU_DEP_4)
	v_lshlrev_b32_e32 v3, 2, v3
	v_cndmask_b32_e32 v5, v9, v5, vcc_lo
	v_cmp_eq_u32_e32 vcc_lo, 1, v11
	v_or_b32_e32 v33, 0x200, v0
	v_or_b32_e32 v23, 0xa00, v0
	;; [unrolled: 1-line block ×3, first 2 shown]
	v_dual_cndmask_b32 v4, v4, v7 :: v_dual_lshlrev_b32 v5, 2, v5
	v_cmp_ne_u32_e32 vcc_lo, 1, v31
	s_delay_alu instid0(VALU_DEP_2)
	v_lshlrev_b32_e32 v4, 2, v4
	ds_store_b32 v1, v20
	ds_store_b32 v2, v21
	;; [unrolled: 1-line block ×5, first 2 shown]
	s_waitcnt lgkmcnt(0)
	s_barrier
	buffer_gl0_inv
	ds_load_2addr_stride64_b32 v[11:12], v30 offset1:4
	ds_load_2addr_stride64_b32 v[9:10], v30 offset0:8 offset1:12
	ds_load_2addr_stride64_b32 v[7:8], v30 offset0:16 offset1:20
	;; [unrolled: 1-line block ×5, first 2 shown]
	ds_load_b32 v18, v30 offset:12288
	v_add_co_u32 v20, s0, v13, v15
	v_or_b32_e32 v32, 0x300, v0
	v_or_b32_e32 v19, 0xc00, v0
	v_add_co_ci_u32_e64 v21, s0, v14, v17, s0
	s_mov_b32 s0, 0
	s_cbranch_vccnz .LBB1625_130
; %bb.77:
	s_mov_b32 s0, exec_lo
                                        ; implicit-def: $vgpr13_vgpr14
	v_cmpx_ge_u32_e64 v0, v16
	s_xor_b32 s0, exec_lo, s0
; %bb.78:
	v_not_b32_e32 v13, v0
	s_delay_alu instid0(VALU_DEP_1) | instskip(SKIP_1) | instid1(VALU_DEP_2)
	v_ashrrev_i32_e32 v14, 31, v13
	v_add_co_u32 v13, vcc_lo, v20, v13
	v_add_co_ci_u32_e32 v14, vcc_lo, v21, v14, vcc_lo
; %bb.79:
	s_and_not1_saveexec_b32 s0, s0
; %bb.80:
	v_add_co_u32 v13, vcc_lo, v15, v0
	v_add_co_ci_u32_e32 v14, vcc_lo, 0, v17, vcc_lo
; %bb.81:
	s_or_b32 exec_lo, exec_lo, s0
	s_delay_alu instid0(VALU_DEP_1) | instskip(SKIP_1) | instid1(VALU_DEP_1)
	v_lshlrev_b64 v[13:14], 2, v[13:14]
	s_mov_b32 s0, exec_lo
	v_add_co_u32 v13, vcc_lo, s10, v13
	s_delay_alu instid0(VALU_DEP_2)
	v_add_co_ci_u32_e32 v14, vcc_lo, s11, v14, vcc_lo
	s_waitcnt lgkmcnt(6)
	global_store_b32 v[13:14], v11, off
                                        ; implicit-def: $vgpr13_vgpr14
	v_cmpx_ge_u32_e64 v34, v16
	s_xor_b32 s0, exec_lo, s0
; %bb.82:
	v_xor_b32_e32 v13, 0xfffffeff, v0
	s_delay_alu instid0(VALU_DEP_1) | instskip(SKIP_1) | instid1(VALU_DEP_2)
	v_ashrrev_i32_e32 v14, 31, v13
	v_add_co_u32 v13, vcc_lo, v20, v13
	v_add_co_ci_u32_e32 v14, vcc_lo, v21, v14, vcc_lo
; %bb.83:
	s_and_not1_saveexec_b32 s0, s0
; %bb.84:
	v_add_co_u32 v13, vcc_lo, v15, v34
	v_add_co_ci_u32_e32 v14, vcc_lo, 0, v17, vcc_lo
; %bb.85:
	s_or_b32 exec_lo, exec_lo, s0
	s_delay_alu instid0(VALU_DEP_1) | instskip(SKIP_1) | instid1(VALU_DEP_1)
	v_lshlrev_b64 v[13:14], 2, v[13:14]
	s_mov_b32 s0, exec_lo
	v_add_co_u32 v13, vcc_lo, s10, v13
	s_delay_alu instid0(VALU_DEP_2)
	v_add_co_ci_u32_e32 v14, vcc_lo, s11, v14, vcc_lo
	global_store_b32 v[13:14], v12, off
                                        ; implicit-def: $vgpr13_vgpr14
	v_cmpx_ge_u32_e64 v33, v16
	s_xor_b32 s0, exec_lo, s0
; %bb.86:
	v_xor_b32_e32 v13, 0xfffffdff, v0
	s_delay_alu instid0(VALU_DEP_1) | instskip(SKIP_1) | instid1(VALU_DEP_2)
	v_ashrrev_i32_e32 v14, 31, v13
	v_add_co_u32 v13, vcc_lo, v20, v13
	v_add_co_ci_u32_e32 v14, vcc_lo, v21, v14, vcc_lo
; %bb.87:
	s_and_not1_saveexec_b32 s0, s0
; %bb.88:
	v_add_co_u32 v13, vcc_lo, v15, v33
	v_add_co_ci_u32_e32 v14, vcc_lo, 0, v17, vcc_lo
; %bb.89:
	s_or_b32 exec_lo, exec_lo, s0
	s_delay_alu instid0(VALU_DEP_1) | instskip(SKIP_1) | instid1(VALU_DEP_1)
	v_lshlrev_b64 v[13:14], 2, v[13:14]
	s_mov_b32 s0, exec_lo
	v_add_co_u32 v13, vcc_lo, s10, v13
	s_delay_alu instid0(VALU_DEP_2)
	v_add_co_ci_u32_e32 v14, vcc_lo, s11, v14, vcc_lo
	s_waitcnt lgkmcnt(5)
	global_store_b32 v[13:14], v9, off
                                        ; implicit-def: $vgpr13_vgpr14
	v_cmpx_ge_u32_e64 v32, v16
	s_xor_b32 s0, exec_lo, s0
; %bb.90:
	v_xor_b32_e32 v13, 0xfffffcff, v0
	s_delay_alu instid0(VALU_DEP_1) | instskip(SKIP_1) | instid1(VALU_DEP_2)
	v_ashrrev_i32_e32 v14, 31, v13
	v_add_co_u32 v13, vcc_lo, v20, v13
	v_add_co_ci_u32_e32 v14, vcc_lo, v21, v14, vcc_lo
; %bb.91:
	s_and_not1_saveexec_b32 s0, s0
; %bb.92:
	v_add_co_u32 v13, vcc_lo, v15, v32
	v_add_co_ci_u32_e32 v14, vcc_lo, 0, v17, vcc_lo
; %bb.93:
	s_or_b32 exec_lo, exec_lo, s0
	s_delay_alu instid0(VALU_DEP_1) | instskip(SKIP_1) | instid1(VALU_DEP_1)
	v_lshlrev_b64 v[13:14], 2, v[13:14]
	s_mov_b32 s0, exec_lo
	v_add_co_u32 v13, vcc_lo, s10, v13
	s_delay_alu instid0(VALU_DEP_2)
	v_add_co_ci_u32_e32 v14, vcc_lo, s11, v14, vcc_lo
	global_store_b32 v[13:14], v10, off
                                        ; implicit-def: $vgpr13_vgpr14
	v_cmpx_ge_u32_e64 v29, v16
	s_xor_b32 s0, exec_lo, s0
; %bb.94:
	v_xor_b32_e32 v13, 0xfffffbff, v0
	;; [unrolled: 47-line block ×6, first 2 shown]
	s_delay_alu instid0(VALU_DEP_1) | instskip(SKIP_1) | instid1(VALU_DEP_2)
	v_ashrrev_i32_e32 v14, 31, v13
	v_add_co_u32 v13, vcc_lo, v20, v13
	v_add_co_ci_u32_e32 v14, vcc_lo, v21, v14, vcc_lo
; %bb.127:
	s_and_not1_saveexec_b32 s0, s0
; %bb.128:
	v_add_co_u32 v13, vcc_lo, v15, v19
	v_add_co_ci_u32_e32 v14, vcc_lo, 0, v17, vcc_lo
; %bb.129:
	s_or_b32 exec_lo, exec_lo, s0
	s_mov_b32 s0, -1
	s_branch .LBB1625_210
.LBB1625_130:
                                        ; implicit-def: $vgpr13_vgpr14
	s_cbranch_execz .LBB1625_210
; %bb.131:
	s_mov_b32 s1, exec_lo
	v_cmpx_gt_u32_e64 s22, v0
	s_cbranch_execz .LBB1625_167
; %bb.132:
	s_mov_b32 s2, exec_lo
                                        ; implicit-def: $vgpr13_vgpr14
	v_cmpx_ge_u32_e64 v0, v16
	s_xor_b32 s2, exec_lo, s2
; %bb.133:
	v_not_b32_e32 v13, v0
	s_delay_alu instid0(VALU_DEP_1) | instskip(SKIP_1) | instid1(VALU_DEP_2)
	v_ashrrev_i32_e32 v14, 31, v13
	v_add_co_u32 v13, vcc_lo, v20, v13
	v_add_co_ci_u32_e32 v14, vcc_lo, v21, v14, vcc_lo
; %bb.134:
	s_and_not1_saveexec_b32 s2, s2
; %bb.135:
	v_add_co_u32 v13, vcc_lo, v15, v0
	v_add_co_ci_u32_e32 v14, vcc_lo, 0, v17, vcc_lo
; %bb.136:
	s_or_b32 exec_lo, exec_lo, s2
	s_delay_alu instid0(VALU_DEP_1) | instskip(NEXT) | instid1(VALU_DEP_1)
	v_lshlrev_b64 v[13:14], 2, v[13:14]
	v_add_co_u32 v13, vcc_lo, s10, v13
	s_delay_alu instid0(VALU_DEP_2) | instskip(SKIP_3) | instid1(SALU_CYCLE_1)
	v_add_co_ci_u32_e32 v14, vcc_lo, s11, v14, vcc_lo
	s_waitcnt lgkmcnt(6)
	global_store_b32 v[13:14], v11, off
	s_or_b32 exec_lo, exec_lo, s1
	s_mov_b32 s1, exec_lo
	v_cmpx_gt_u32_e64 s22, v34
	s_cbranch_execnz .LBB1625_168
.LBB1625_137:
	s_or_b32 exec_lo, exec_lo, s1
	s_delay_alu instid0(SALU_CYCLE_1)
	s_mov_b32 s1, exec_lo
	v_cmpx_gt_u32_e64 s22, v33
	s_cbranch_execz .LBB1625_173
.LBB1625_138:
	s_mov_b32 s2, exec_lo
                                        ; implicit-def: $vgpr11_vgpr12
	v_cmpx_ge_u32_e64 v33, v16
	s_xor_b32 s2, exec_lo, s2
	s_cbranch_execz .LBB1625_140
; %bb.139:
	s_waitcnt lgkmcnt(6)
	v_xor_b32_e32 v11, 0xfffffdff, v0
                                        ; implicit-def: $vgpr33
	s_delay_alu instid0(VALU_DEP_1) | instskip(SKIP_1) | instid1(VALU_DEP_2)
	v_ashrrev_i32_e32 v12, 31, v11
	v_add_co_u32 v11, vcc_lo, v20, v11
	v_add_co_ci_u32_e32 v12, vcc_lo, v21, v12, vcc_lo
.LBB1625_140:
	s_and_not1_saveexec_b32 s2, s2
	s_cbranch_execz .LBB1625_142
; %bb.141:
	s_waitcnt lgkmcnt(6)
	v_add_co_u32 v11, vcc_lo, v15, v33
	v_add_co_ci_u32_e32 v12, vcc_lo, 0, v17, vcc_lo
.LBB1625_142:
	s_or_b32 exec_lo, exec_lo, s2
	s_waitcnt lgkmcnt(6)
	s_delay_alu instid0(VALU_DEP_1) | instskip(NEXT) | instid1(VALU_DEP_1)
	v_lshlrev_b64 v[11:12], 2, v[11:12]
	v_add_co_u32 v11, vcc_lo, s10, v11
	s_delay_alu instid0(VALU_DEP_2) | instskip(SKIP_3) | instid1(SALU_CYCLE_1)
	v_add_co_ci_u32_e32 v12, vcc_lo, s11, v12, vcc_lo
	s_waitcnt lgkmcnt(5)
	global_store_b32 v[11:12], v9, off
	s_or_b32 exec_lo, exec_lo, s1
	s_mov_b32 s1, exec_lo
	v_cmpx_gt_u32_e64 s22, v32
	s_cbranch_execnz .LBB1625_174
.LBB1625_143:
	s_or_b32 exec_lo, exec_lo, s1
	s_delay_alu instid0(SALU_CYCLE_1)
	s_mov_b32 s1, exec_lo
	v_cmpx_gt_u32_e64 s22, v29
	s_cbranch_execz .LBB1625_179
.LBB1625_144:
	s_mov_b32 s2, exec_lo
                                        ; implicit-def: $vgpr9_vgpr10
	v_cmpx_ge_u32_e64 v29, v16
	s_xor_b32 s2, exec_lo, s2
	s_cbranch_execz .LBB1625_146
; %bb.145:
	s_waitcnt lgkmcnt(5)
	v_xor_b32_e32 v9, 0xfffffbff, v0
                                        ; implicit-def: $vgpr29
	s_delay_alu instid0(VALU_DEP_1) | instskip(SKIP_1) | instid1(VALU_DEP_2)
	v_ashrrev_i32_e32 v10, 31, v9
	v_add_co_u32 v9, vcc_lo, v20, v9
	v_add_co_ci_u32_e32 v10, vcc_lo, v21, v10, vcc_lo
.LBB1625_146:
	s_and_not1_saveexec_b32 s2, s2
	s_cbranch_execz .LBB1625_148
; %bb.147:
	s_waitcnt lgkmcnt(5)
	v_add_co_u32 v9, vcc_lo, v15, v29
	v_add_co_ci_u32_e32 v10, vcc_lo, 0, v17, vcc_lo
.LBB1625_148:
	s_or_b32 exec_lo, exec_lo, s2
	s_waitcnt lgkmcnt(5)
	s_delay_alu instid0(VALU_DEP_1) | instskip(NEXT) | instid1(VALU_DEP_1)
	v_lshlrev_b64 v[9:10], 2, v[9:10]
	v_add_co_u32 v9, vcc_lo, s10, v9
	s_delay_alu instid0(VALU_DEP_2) | instskip(SKIP_3) | instid1(SALU_CYCLE_1)
	v_add_co_ci_u32_e32 v10, vcc_lo, s11, v10, vcc_lo
	s_waitcnt lgkmcnt(4)
	global_store_b32 v[9:10], v7, off
	s_or_b32 exec_lo, exec_lo, s1
	s_mov_b32 s1, exec_lo
	v_cmpx_gt_u32_e64 s22, v28
	s_cbranch_execnz .LBB1625_180
.LBB1625_149:
	s_or_b32 exec_lo, exec_lo, s1
	s_delay_alu instid0(SALU_CYCLE_1)
	s_mov_b32 s1, exec_lo
	v_cmpx_gt_u32_e64 s22, v27
	s_cbranch_execz .LBB1625_185
.LBB1625_150:
	s_mov_b32 s2, exec_lo
                                        ; implicit-def: $vgpr7_vgpr8
	v_cmpx_ge_u32_e64 v27, v16
	s_xor_b32 s2, exec_lo, s2
	s_cbranch_execz .LBB1625_152
; %bb.151:
	s_waitcnt lgkmcnt(4)
	v_xor_b32_e32 v7, 0xfffff9ff, v0
                                        ; implicit-def: $vgpr27
	s_delay_alu instid0(VALU_DEP_1) | instskip(SKIP_1) | instid1(VALU_DEP_2)
	v_ashrrev_i32_e32 v8, 31, v7
	v_add_co_u32 v7, vcc_lo, v20, v7
	v_add_co_ci_u32_e32 v8, vcc_lo, v21, v8, vcc_lo
.LBB1625_152:
	s_and_not1_saveexec_b32 s2, s2
	s_cbranch_execz .LBB1625_154
; %bb.153:
	s_waitcnt lgkmcnt(4)
	v_add_co_u32 v7, vcc_lo, v15, v27
	v_add_co_ci_u32_e32 v8, vcc_lo, 0, v17, vcc_lo
.LBB1625_154:
	s_or_b32 exec_lo, exec_lo, s2
	s_waitcnt lgkmcnt(4)
	s_delay_alu instid0(VALU_DEP_1) | instskip(NEXT) | instid1(VALU_DEP_1)
	v_lshlrev_b64 v[7:8], 2, v[7:8]
	v_add_co_u32 v7, vcc_lo, s10, v7
	s_delay_alu instid0(VALU_DEP_2) | instskip(SKIP_3) | instid1(SALU_CYCLE_1)
	v_add_co_ci_u32_e32 v8, vcc_lo, s11, v8, vcc_lo
	s_waitcnt lgkmcnt(3)
	global_store_b32 v[7:8], v5, off
	s_or_b32 exec_lo, exec_lo, s1
	s_mov_b32 s1, exec_lo
	v_cmpx_gt_u32_e64 s22, v26
	s_cbranch_execnz .LBB1625_186
.LBB1625_155:
	s_or_b32 exec_lo, exec_lo, s1
	s_delay_alu instid0(SALU_CYCLE_1)
	s_mov_b32 s1, exec_lo
	v_cmpx_gt_u32_e64 s22, v25
	s_cbranch_execz .LBB1625_191
.LBB1625_156:
	s_mov_b32 s2, exec_lo
                                        ; implicit-def: $vgpr5_vgpr6
	v_cmpx_ge_u32_e64 v25, v16
	s_xor_b32 s2, exec_lo, s2
	s_cbranch_execz .LBB1625_158
; %bb.157:
	s_waitcnt lgkmcnt(3)
	v_xor_b32_e32 v5, 0xfffff7ff, v0
                                        ; implicit-def: $vgpr25
	s_delay_alu instid0(VALU_DEP_1) | instskip(SKIP_1) | instid1(VALU_DEP_2)
	v_ashrrev_i32_e32 v6, 31, v5
	v_add_co_u32 v5, vcc_lo, v20, v5
	v_add_co_ci_u32_e32 v6, vcc_lo, v21, v6, vcc_lo
.LBB1625_158:
	s_and_not1_saveexec_b32 s2, s2
	s_cbranch_execz .LBB1625_160
; %bb.159:
	s_waitcnt lgkmcnt(3)
	v_add_co_u32 v5, vcc_lo, v15, v25
	v_add_co_ci_u32_e32 v6, vcc_lo, 0, v17, vcc_lo
.LBB1625_160:
	s_or_b32 exec_lo, exec_lo, s2
	s_waitcnt lgkmcnt(3)
	s_delay_alu instid0(VALU_DEP_1) | instskip(NEXT) | instid1(VALU_DEP_1)
	v_lshlrev_b64 v[5:6], 2, v[5:6]
	v_add_co_u32 v5, vcc_lo, s10, v5
	s_delay_alu instid0(VALU_DEP_2) | instskip(SKIP_3) | instid1(SALU_CYCLE_1)
	v_add_co_ci_u32_e32 v6, vcc_lo, s11, v6, vcc_lo
	s_waitcnt lgkmcnt(2)
	global_store_b32 v[5:6], v3, off
	s_or_b32 exec_lo, exec_lo, s1
	s_mov_b32 s1, exec_lo
	v_cmpx_gt_u32_e64 s22, v24
	s_cbranch_execnz .LBB1625_192
.LBB1625_161:
	s_or_b32 exec_lo, exec_lo, s1
	s_delay_alu instid0(SALU_CYCLE_1)
	s_mov_b32 s1, exec_lo
	v_cmpx_gt_u32_e64 s22, v23
	s_cbranch_execz .LBB1625_197
.LBB1625_162:
	s_mov_b32 s2, exec_lo
                                        ; implicit-def: $vgpr3_vgpr4
	v_cmpx_ge_u32_e64 v23, v16
	s_xor_b32 s2, exec_lo, s2
	s_cbranch_execz .LBB1625_164
; %bb.163:
	s_waitcnt lgkmcnt(2)
	v_xor_b32_e32 v3, 0xfffff5ff, v0
                                        ; implicit-def: $vgpr23
	s_delay_alu instid0(VALU_DEP_1) | instskip(SKIP_1) | instid1(VALU_DEP_2)
	v_ashrrev_i32_e32 v4, 31, v3
	v_add_co_u32 v3, vcc_lo, v20, v3
	v_add_co_ci_u32_e32 v4, vcc_lo, v21, v4, vcc_lo
.LBB1625_164:
	s_and_not1_saveexec_b32 s2, s2
	s_cbranch_execz .LBB1625_166
; %bb.165:
	s_waitcnt lgkmcnt(2)
	v_add_co_u32 v3, vcc_lo, v15, v23
	v_add_co_ci_u32_e32 v4, vcc_lo, 0, v17, vcc_lo
.LBB1625_166:
	s_or_b32 exec_lo, exec_lo, s2
	s_waitcnt lgkmcnt(2)
	s_delay_alu instid0(VALU_DEP_1) | instskip(NEXT) | instid1(VALU_DEP_1)
	v_lshlrev_b64 v[3:4], 2, v[3:4]
	v_add_co_u32 v3, vcc_lo, s10, v3
	s_delay_alu instid0(VALU_DEP_2) | instskip(SKIP_3) | instid1(SALU_CYCLE_1)
	v_add_co_ci_u32_e32 v4, vcc_lo, s11, v4, vcc_lo
	s_waitcnt lgkmcnt(1)
	global_store_b32 v[3:4], v1, off
	s_or_b32 exec_lo, exec_lo, s1
	s_mov_b32 s1, exec_lo
	v_cmpx_gt_u32_e64 s22, v22
	s_cbranch_execz .LBB1625_203
	s_branch .LBB1625_198
.LBB1625_167:
	s_or_b32 exec_lo, exec_lo, s1
	s_delay_alu instid0(SALU_CYCLE_1)
	s_mov_b32 s1, exec_lo
	v_cmpx_gt_u32_e64 s22, v34
	s_cbranch_execz .LBB1625_137
.LBB1625_168:
	s_mov_b32 s2, exec_lo
                                        ; implicit-def: $vgpr13_vgpr14
	v_cmpx_ge_u32_e64 v34, v16
	s_xor_b32 s2, exec_lo, s2
	s_cbranch_execz .LBB1625_170
; %bb.169:
	s_waitcnt lgkmcnt(6)
	v_xor_b32_e32 v11, 0xfffffeff, v0
                                        ; implicit-def: $vgpr34
	s_delay_alu instid0(VALU_DEP_1) | instskip(SKIP_1) | instid1(VALU_DEP_2)
	v_ashrrev_i32_e32 v14, 31, v11
	v_add_co_u32 v13, vcc_lo, v20, v11
	v_add_co_ci_u32_e32 v14, vcc_lo, v21, v14, vcc_lo
.LBB1625_170:
	s_and_not1_saveexec_b32 s2, s2
; %bb.171:
	v_add_co_u32 v13, vcc_lo, v15, v34
	v_add_co_ci_u32_e32 v14, vcc_lo, 0, v17, vcc_lo
; %bb.172:
	s_or_b32 exec_lo, exec_lo, s2
	s_delay_alu instid0(VALU_DEP_1) | instskip(NEXT) | instid1(VALU_DEP_1)
	v_lshlrev_b64 v[13:14], 2, v[13:14]
	v_add_co_u32 v13, vcc_lo, s10, v13
	s_delay_alu instid0(VALU_DEP_2) | instskip(SKIP_3) | instid1(SALU_CYCLE_1)
	v_add_co_ci_u32_e32 v14, vcc_lo, s11, v14, vcc_lo
	s_waitcnt lgkmcnt(6)
	global_store_b32 v[13:14], v12, off
	s_or_b32 exec_lo, exec_lo, s1
	s_mov_b32 s1, exec_lo
	v_cmpx_gt_u32_e64 s22, v33
	s_cbranch_execnz .LBB1625_138
.LBB1625_173:
	s_or_b32 exec_lo, exec_lo, s1
	s_delay_alu instid0(SALU_CYCLE_1)
	s_mov_b32 s1, exec_lo
	v_cmpx_gt_u32_e64 s22, v32
	s_cbranch_execz .LBB1625_143
.LBB1625_174:
	s_mov_b32 s2, exec_lo
                                        ; implicit-def: $vgpr11_vgpr12
	v_cmpx_ge_u32_e64 v32, v16
	s_xor_b32 s2, exec_lo, s2
	s_cbranch_execz .LBB1625_176
; %bb.175:
	s_waitcnt lgkmcnt(5)
	v_xor_b32_e32 v9, 0xfffffcff, v0
                                        ; implicit-def: $vgpr32
	s_delay_alu instid0(VALU_DEP_1) | instskip(SKIP_1) | instid1(VALU_DEP_2)
	v_ashrrev_i32_e32 v12, 31, v9
	v_add_co_u32 v11, vcc_lo, v20, v9
	v_add_co_ci_u32_e32 v12, vcc_lo, v21, v12, vcc_lo
.LBB1625_176:
	s_and_not1_saveexec_b32 s2, s2
	s_cbranch_execz .LBB1625_178
; %bb.177:
	s_waitcnt lgkmcnt(6)
	v_add_co_u32 v11, vcc_lo, v15, v32
	v_add_co_ci_u32_e32 v12, vcc_lo, 0, v17, vcc_lo
.LBB1625_178:
	s_or_b32 exec_lo, exec_lo, s2
	s_waitcnt lgkmcnt(6)
	s_delay_alu instid0(VALU_DEP_1) | instskip(NEXT) | instid1(VALU_DEP_1)
	v_lshlrev_b64 v[11:12], 2, v[11:12]
	v_add_co_u32 v11, vcc_lo, s10, v11
	s_delay_alu instid0(VALU_DEP_2) | instskip(SKIP_3) | instid1(SALU_CYCLE_1)
	v_add_co_ci_u32_e32 v12, vcc_lo, s11, v12, vcc_lo
	s_waitcnt lgkmcnt(5)
	global_store_b32 v[11:12], v10, off
	s_or_b32 exec_lo, exec_lo, s1
	s_mov_b32 s1, exec_lo
	v_cmpx_gt_u32_e64 s22, v29
	s_cbranch_execnz .LBB1625_144
.LBB1625_179:
	s_or_b32 exec_lo, exec_lo, s1
	s_delay_alu instid0(SALU_CYCLE_1)
	s_mov_b32 s1, exec_lo
	v_cmpx_gt_u32_e64 s22, v28
	s_cbranch_execz .LBB1625_149
.LBB1625_180:
	s_mov_b32 s2, exec_lo
                                        ; implicit-def: $vgpr9_vgpr10
	v_cmpx_ge_u32_e64 v28, v16
	s_xor_b32 s2, exec_lo, s2
	s_cbranch_execz .LBB1625_182
; %bb.181:
	s_waitcnt lgkmcnt(4)
	v_xor_b32_e32 v7, 0xfffffaff, v0
                                        ; implicit-def: $vgpr28
	s_delay_alu instid0(VALU_DEP_1) | instskip(SKIP_1) | instid1(VALU_DEP_2)
	v_ashrrev_i32_e32 v10, 31, v7
	v_add_co_u32 v9, vcc_lo, v20, v7
	v_add_co_ci_u32_e32 v10, vcc_lo, v21, v10, vcc_lo
.LBB1625_182:
	s_and_not1_saveexec_b32 s2, s2
	s_cbranch_execz .LBB1625_184
; %bb.183:
	s_waitcnt lgkmcnt(5)
	v_add_co_u32 v9, vcc_lo, v15, v28
	v_add_co_ci_u32_e32 v10, vcc_lo, 0, v17, vcc_lo
.LBB1625_184:
	s_or_b32 exec_lo, exec_lo, s2
	s_waitcnt lgkmcnt(5)
	s_delay_alu instid0(VALU_DEP_1) | instskip(NEXT) | instid1(VALU_DEP_1)
	v_lshlrev_b64 v[9:10], 2, v[9:10]
	v_add_co_u32 v9, vcc_lo, s10, v9
	s_delay_alu instid0(VALU_DEP_2) | instskip(SKIP_3) | instid1(SALU_CYCLE_1)
	v_add_co_ci_u32_e32 v10, vcc_lo, s11, v10, vcc_lo
	s_waitcnt lgkmcnt(4)
	global_store_b32 v[9:10], v8, off
	s_or_b32 exec_lo, exec_lo, s1
	s_mov_b32 s1, exec_lo
	v_cmpx_gt_u32_e64 s22, v27
	s_cbranch_execnz .LBB1625_150
.LBB1625_185:
	s_or_b32 exec_lo, exec_lo, s1
	s_delay_alu instid0(SALU_CYCLE_1)
	s_mov_b32 s1, exec_lo
	v_cmpx_gt_u32_e64 s22, v26
	s_cbranch_execz .LBB1625_155
.LBB1625_186:
	s_mov_b32 s2, exec_lo
                                        ; implicit-def: $vgpr7_vgpr8
	v_cmpx_ge_u32_e64 v26, v16
	s_xor_b32 s2, exec_lo, s2
	s_cbranch_execz .LBB1625_188
; %bb.187:
	s_waitcnt lgkmcnt(3)
	v_xor_b32_e32 v5, 0xfffff8ff, v0
                                        ; implicit-def: $vgpr26
	s_delay_alu instid0(VALU_DEP_1) | instskip(SKIP_1) | instid1(VALU_DEP_2)
	v_ashrrev_i32_e32 v8, 31, v5
	v_add_co_u32 v7, vcc_lo, v20, v5
	v_add_co_ci_u32_e32 v8, vcc_lo, v21, v8, vcc_lo
.LBB1625_188:
	s_and_not1_saveexec_b32 s2, s2
	s_cbranch_execz .LBB1625_190
; %bb.189:
	s_waitcnt lgkmcnt(4)
	v_add_co_u32 v7, vcc_lo, v15, v26
	v_add_co_ci_u32_e32 v8, vcc_lo, 0, v17, vcc_lo
.LBB1625_190:
	s_or_b32 exec_lo, exec_lo, s2
	s_waitcnt lgkmcnt(4)
	s_delay_alu instid0(VALU_DEP_1) | instskip(NEXT) | instid1(VALU_DEP_1)
	v_lshlrev_b64 v[7:8], 2, v[7:8]
	v_add_co_u32 v7, vcc_lo, s10, v7
	s_delay_alu instid0(VALU_DEP_2) | instskip(SKIP_3) | instid1(SALU_CYCLE_1)
	v_add_co_ci_u32_e32 v8, vcc_lo, s11, v8, vcc_lo
	s_waitcnt lgkmcnt(3)
	global_store_b32 v[7:8], v6, off
	s_or_b32 exec_lo, exec_lo, s1
	s_mov_b32 s1, exec_lo
	v_cmpx_gt_u32_e64 s22, v25
	s_cbranch_execnz .LBB1625_156
.LBB1625_191:
	s_or_b32 exec_lo, exec_lo, s1
	s_delay_alu instid0(SALU_CYCLE_1)
	s_mov_b32 s1, exec_lo
	v_cmpx_gt_u32_e64 s22, v24
	s_cbranch_execz .LBB1625_161
.LBB1625_192:
	s_mov_b32 s2, exec_lo
                                        ; implicit-def: $vgpr5_vgpr6
	v_cmpx_ge_u32_e64 v24, v16
	s_xor_b32 s2, exec_lo, s2
	s_cbranch_execz .LBB1625_194
; %bb.193:
	s_waitcnt lgkmcnt(2)
	v_xor_b32_e32 v3, 0xfffff6ff, v0
                                        ; implicit-def: $vgpr24
	s_delay_alu instid0(VALU_DEP_1) | instskip(SKIP_1) | instid1(VALU_DEP_2)
	v_ashrrev_i32_e32 v6, 31, v3
	v_add_co_u32 v5, vcc_lo, v20, v3
	v_add_co_ci_u32_e32 v6, vcc_lo, v21, v6, vcc_lo
.LBB1625_194:
	s_and_not1_saveexec_b32 s2, s2
	s_cbranch_execz .LBB1625_196
; %bb.195:
	s_waitcnt lgkmcnt(3)
	v_add_co_u32 v5, vcc_lo, v15, v24
	v_add_co_ci_u32_e32 v6, vcc_lo, 0, v17, vcc_lo
.LBB1625_196:
	s_or_b32 exec_lo, exec_lo, s2
	s_waitcnt lgkmcnt(3)
	s_delay_alu instid0(VALU_DEP_1) | instskip(NEXT) | instid1(VALU_DEP_1)
	v_lshlrev_b64 v[5:6], 2, v[5:6]
	v_add_co_u32 v5, vcc_lo, s10, v5
	s_delay_alu instid0(VALU_DEP_2) | instskip(SKIP_3) | instid1(SALU_CYCLE_1)
	v_add_co_ci_u32_e32 v6, vcc_lo, s11, v6, vcc_lo
	s_waitcnt lgkmcnt(2)
	global_store_b32 v[5:6], v4, off
	s_or_b32 exec_lo, exec_lo, s1
	s_mov_b32 s1, exec_lo
	v_cmpx_gt_u32_e64 s22, v23
	s_cbranch_execnz .LBB1625_162
.LBB1625_197:
	s_or_b32 exec_lo, exec_lo, s1
	s_delay_alu instid0(SALU_CYCLE_1)
	s_mov_b32 s1, exec_lo
	v_cmpx_gt_u32_e64 s22, v22
	s_cbranch_execz .LBB1625_203
.LBB1625_198:
	s_mov_b32 s2, exec_lo
                                        ; implicit-def: $vgpr3_vgpr4
	v_cmpx_ge_u32_e64 v22, v16
	s_xor_b32 s2, exec_lo, s2
	s_cbranch_execz .LBB1625_200
; %bb.199:
	s_waitcnt lgkmcnt(1)
	v_xor_b32_e32 v1, 0xfffff4ff, v0
                                        ; implicit-def: $vgpr22
	s_delay_alu instid0(VALU_DEP_1) | instskip(SKIP_1) | instid1(VALU_DEP_2)
	v_ashrrev_i32_e32 v4, 31, v1
	v_add_co_u32 v3, vcc_lo, v20, v1
	v_add_co_ci_u32_e32 v4, vcc_lo, v21, v4, vcc_lo
.LBB1625_200:
	s_and_not1_saveexec_b32 s2, s2
	s_cbranch_execz .LBB1625_202
; %bb.201:
	s_waitcnt lgkmcnt(2)
	v_add_co_u32 v3, vcc_lo, v15, v22
	v_add_co_ci_u32_e32 v4, vcc_lo, 0, v17, vcc_lo
.LBB1625_202:
	s_or_b32 exec_lo, exec_lo, s2
	s_waitcnt lgkmcnt(2)
	s_delay_alu instid0(VALU_DEP_1) | instskip(NEXT) | instid1(VALU_DEP_1)
	v_lshlrev_b64 v[3:4], 2, v[3:4]
	v_add_co_u32 v3, vcc_lo, s10, v3
	s_delay_alu instid0(VALU_DEP_2)
	v_add_co_ci_u32_e32 v4, vcc_lo, s11, v4, vcc_lo
	s_waitcnt lgkmcnt(1)
	global_store_b32 v[3:4], v2, off
.LBB1625_203:
	s_or_b32 exec_lo, exec_lo, s1
	s_delay_alu instid0(SALU_CYCLE_1)
	s_mov_b32 s1, exec_lo
                                        ; implicit-def: $vgpr13_vgpr14
	v_cmpx_gt_u32_e64 s22, v19
	s_cbranch_execz .LBB1625_209
; %bb.204:
	s_mov_b32 s2, exec_lo
                                        ; implicit-def: $vgpr13_vgpr14
	v_cmpx_ge_u32_e64 v19, v16
	s_xor_b32 s2, exec_lo, s2
	s_cbranch_execz .LBB1625_206
; %bb.205:
	s_waitcnt lgkmcnt(1)
	v_xor_b32_e32 v1, 0xfffff3ff, v0
                                        ; implicit-def: $vgpr19
	s_delay_alu instid0(VALU_DEP_1) | instskip(SKIP_1) | instid1(VALU_DEP_2)
	v_ashrrev_i32_e32 v2, 31, v1
	v_add_co_u32 v13, vcc_lo, v20, v1
	v_add_co_ci_u32_e32 v14, vcc_lo, v21, v2, vcc_lo
.LBB1625_206:
	s_and_not1_saveexec_b32 s2, s2
; %bb.207:
	v_add_co_u32 v13, vcc_lo, v15, v19
	v_add_co_ci_u32_e32 v14, vcc_lo, 0, v17, vcc_lo
; %bb.208:
	s_or_b32 exec_lo, exec_lo, s2
	s_delay_alu instid0(SALU_CYCLE_1)
	s_or_b32 s0, s0, exec_lo
.LBB1625_209:
	s_or_b32 exec_lo, exec_lo, s1
.LBB1625_210:
	s_and_saveexec_b32 s1, s0
	s_cbranch_execz .LBB1625_212
; %bb.211:
	s_waitcnt lgkmcnt(1)
	v_lshlrev_b64 v[1:2], 2, v[13:14]
	s_delay_alu instid0(VALU_DEP_1) | instskip(NEXT) | instid1(VALU_DEP_2)
	v_add_co_u32 v1, vcc_lo, s10, v1
	v_add_co_ci_u32_e32 v2, vcc_lo, s11, v2, vcc_lo
	s_waitcnt lgkmcnt(0)
	global_store_b32 v[1:2], v18, off
.LBB1625_212:
	s_or_b32 exec_lo, exec_lo, s1
	v_cmp_eq_u32_e32 vcc_lo, 0, v0
	s_and_b32 s0, vcc_lo, s14
	s_delay_alu instid0(SALU_CYCLE_1)
	s_and_saveexec_b32 s1, s0
	s_cbranch_execz .LBB1625_214
; %bb.213:
	v_add_co_u32 v0, vcc_lo, v15, v16
	s_waitcnt lgkmcnt(1)
	v_mov_b32_e32 v2, 0
	v_add_co_ci_u32_e32 v1, vcc_lo, 0, v17, vcc_lo
	global_store_b64 v2, v[0:1], s[8:9]
.LBB1625_214:
	s_nop 0
	s_sendmsg sendmsg(MSG_DEALLOC_VGPRS)
	s_endpgm
	.section	.rodata,"a",@progbits
	.p2align	6, 0x0
	.amdhsa_kernel _ZN7rocprim17ROCPRIM_400000_NS6detail17trampoline_kernelINS0_13select_configILj256ELj13ELNS0_17block_load_methodE3ELS4_3ELS4_3ELNS0_20block_scan_algorithmE0ELj4294967295EEENS1_25partition_config_selectorILNS1_17partition_subalgoE3EjNS0_10empty_typeEbEEZZNS1_14partition_implILS8_3ELb0ES6_jNS0_17counting_iteratorIjlEEPS9_SE_NS0_5tupleIJPjSE_EEENSF_IJSE_SE_EEES9_SG_JZNS1_25segmented_radix_sort_implINS0_14default_configELb0EPKbPbPKlPlN2at6native12_GLOBAL__N_18offset_tEEE10hipError_tPvRmT1_PNSt15iterator_traitsISY_E10value_typeET2_T3_PNSZ_IS14_E10value_typeET4_jRbjT5_S1A_jjP12ihipStream_tbEUljE_EEESV_SW_SX_S14_S18_S1A_T6_T7_T9_mT8_S1C_bDpT10_ENKUlT_T0_E_clISt17integral_constantIbLb1EES1O_IbLb0EEEEDaS1K_S1L_EUlS1K_E_NS1_11comp_targetILNS1_3genE9ELNS1_11target_archE1100ELNS1_3gpuE3ELNS1_3repE0EEENS1_30default_config_static_selectorELNS0_4arch9wavefront6targetE0EEEvSY_
		.amdhsa_group_segment_fixed_size 13324
		.amdhsa_private_segment_fixed_size 0
		.amdhsa_kernarg_size 144
		.amdhsa_user_sgpr_count 15
		.amdhsa_user_sgpr_dispatch_ptr 0
		.amdhsa_user_sgpr_queue_ptr 0
		.amdhsa_user_sgpr_kernarg_segment_ptr 1
		.amdhsa_user_sgpr_dispatch_id 0
		.amdhsa_user_sgpr_private_segment_size 0
		.amdhsa_wavefront_size32 1
		.amdhsa_uses_dynamic_stack 0
		.amdhsa_enable_private_segment 0
		.amdhsa_system_sgpr_workgroup_id_x 1
		.amdhsa_system_sgpr_workgroup_id_y 0
		.amdhsa_system_sgpr_workgroup_id_z 0
		.amdhsa_system_sgpr_workgroup_info 0
		.amdhsa_system_vgpr_workitem_id 0
		.amdhsa_next_free_vgpr 57
		.amdhsa_next_free_sgpr 28
		.amdhsa_reserve_vcc 1
		.amdhsa_float_round_mode_32 0
		.amdhsa_float_round_mode_16_64 0
		.amdhsa_float_denorm_mode_32 3
		.amdhsa_float_denorm_mode_16_64 3
		.amdhsa_dx10_clamp 1
		.amdhsa_ieee_mode 1
		.amdhsa_fp16_overflow 0
		.amdhsa_workgroup_processor_mode 1
		.amdhsa_memory_ordered 1
		.amdhsa_forward_progress 0
		.amdhsa_shared_vgpr_count 0
		.amdhsa_exception_fp_ieee_invalid_op 0
		.amdhsa_exception_fp_denorm_src 0
		.amdhsa_exception_fp_ieee_div_zero 0
		.amdhsa_exception_fp_ieee_overflow 0
		.amdhsa_exception_fp_ieee_underflow 0
		.amdhsa_exception_fp_ieee_inexact 0
		.amdhsa_exception_int_div_zero 0
	.end_amdhsa_kernel
	.section	.text._ZN7rocprim17ROCPRIM_400000_NS6detail17trampoline_kernelINS0_13select_configILj256ELj13ELNS0_17block_load_methodE3ELS4_3ELS4_3ELNS0_20block_scan_algorithmE0ELj4294967295EEENS1_25partition_config_selectorILNS1_17partition_subalgoE3EjNS0_10empty_typeEbEEZZNS1_14partition_implILS8_3ELb0ES6_jNS0_17counting_iteratorIjlEEPS9_SE_NS0_5tupleIJPjSE_EEENSF_IJSE_SE_EEES9_SG_JZNS1_25segmented_radix_sort_implINS0_14default_configELb0EPKbPbPKlPlN2at6native12_GLOBAL__N_18offset_tEEE10hipError_tPvRmT1_PNSt15iterator_traitsISY_E10value_typeET2_T3_PNSZ_IS14_E10value_typeET4_jRbjT5_S1A_jjP12ihipStream_tbEUljE_EEESV_SW_SX_S14_S18_S1A_T6_T7_T9_mT8_S1C_bDpT10_ENKUlT_T0_E_clISt17integral_constantIbLb1EES1O_IbLb0EEEEDaS1K_S1L_EUlS1K_E_NS1_11comp_targetILNS1_3genE9ELNS1_11target_archE1100ELNS1_3gpuE3ELNS1_3repE0EEENS1_30default_config_static_selectorELNS0_4arch9wavefront6targetE0EEEvSY_,"axG",@progbits,_ZN7rocprim17ROCPRIM_400000_NS6detail17trampoline_kernelINS0_13select_configILj256ELj13ELNS0_17block_load_methodE3ELS4_3ELS4_3ELNS0_20block_scan_algorithmE0ELj4294967295EEENS1_25partition_config_selectorILNS1_17partition_subalgoE3EjNS0_10empty_typeEbEEZZNS1_14partition_implILS8_3ELb0ES6_jNS0_17counting_iteratorIjlEEPS9_SE_NS0_5tupleIJPjSE_EEENSF_IJSE_SE_EEES9_SG_JZNS1_25segmented_radix_sort_implINS0_14default_configELb0EPKbPbPKlPlN2at6native12_GLOBAL__N_18offset_tEEE10hipError_tPvRmT1_PNSt15iterator_traitsISY_E10value_typeET2_T3_PNSZ_IS14_E10value_typeET4_jRbjT5_S1A_jjP12ihipStream_tbEUljE_EEESV_SW_SX_S14_S18_S1A_T6_T7_T9_mT8_S1C_bDpT10_ENKUlT_T0_E_clISt17integral_constantIbLb1EES1O_IbLb0EEEEDaS1K_S1L_EUlS1K_E_NS1_11comp_targetILNS1_3genE9ELNS1_11target_archE1100ELNS1_3gpuE3ELNS1_3repE0EEENS1_30default_config_static_selectorELNS0_4arch9wavefront6targetE0EEEvSY_,comdat
.Lfunc_end1625:
	.size	_ZN7rocprim17ROCPRIM_400000_NS6detail17trampoline_kernelINS0_13select_configILj256ELj13ELNS0_17block_load_methodE3ELS4_3ELS4_3ELNS0_20block_scan_algorithmE0ELj4294967295EEENS1_25partition_config_selectorILNS1_17partition_subalgoE3EjNS0_10empty_typeEbEEZZNS1_14partition_implILS8_3ELb0ES6_jNS0_17counting_iteratorIjlEEPS9_SE_NS0_5tupleIJPjSE_EEENSF_IJSE_SE_EEES9_SG_JZNS1_25segmented_radix_sort_implINS0_14default_configELb0EPKbPbPKlPlN2at6native12_GLOBAL__N_18offset_tEEE10hipError_tPvRmT1_PNSt15iterator_traitsISY_E10value_typeET2_T3_PNSZ_IS14_E10value_typeET4_jRbjT5_S1A_jjP12ihipStream_tbEUljE_EEESV_SW_SX_S14_S18_S1A_T6_T7_T9_mT8_S1C_bDpT10_ENKUlT_T0_E_clISt17integral_constantIbLb1EES1O_IbLb0EEEEDaS1K_S1L_EUlS1K_E_NS1_11comp_targetILNS1_3genE9ELNS1_11target_archE1100ELNS1_3gpuE3ELNS1_3repE0EEENS1_30default_config_static_selectorELNS0_4arch9wavefront6targetE0EEEvSY_, .Lfunc_end1625-_ZN7rocprim17ROCPRIM_400000_NS6detail17trampoline_kernelINS0_13select_configILj256ELj13ELNS0_17block_load_methodE3ELS4_3ELS4_3ELNS0_20block_scan_algorithmE0ELj4294967295EEENS1_25partition_config_selectorILNS1_17partition_subalgoE3EjNS0_10empty_typeEbEEZZNS1_14partition_implILS8_3ELb0ES6_jNS0_17counting_iteratorIjlEEPS9_SE_NS0_5tupleIJPjSE_EEENSF_IJSE_SE_EEES9_SG_JZNS1_25segmented_radix_sort_implINS0_14default_configELb0EPKbPbPKlPlN2at6native12_GLOBAL__N_18offset_tEEE10hipError_tPvRmT1_PNSt15iterator_traitsISY_E10value_typeET2_T3_PNSZ_IS14_E10value_typeET4_jRbjT5_S1A_jjP12ihipStream_tbEUljE_EEESV_SW_SX_S14_S18_S1A_T6_T7_T9_mT8_S1C_bDpT10_ENKUlT_T0_E_clISt17integral_constantIbLb1EES1O_IbLb0EEEEDaS1K_S1L_EUlS1K_E_NS1_11comp_targetILNS1_3genE9ELNS1_11target_archE1100ELNS1_3gpuE3ELNS1_3repE0EEENS1_30default_config_static_selectorELNS0_4arch9wavefront6targetE0EEEvSY_
                                        ; -- End function
	.section	.AMDGPU.csdata,"",@progbits
; Kernel info:
; codeLenInByte = 8964
; NumSgprs: 30
; NumVgprs: 57
; ScratchSize: 0
; MemoryBound: 0
; FloatMode: 240
; IeeeMode: 1
; LDSByteSize: 13324 bytes/workgroup (compile time only)
; SGPRBlocks: 3
; VGPRBlocks: 7
; NumSGPRsForWavesPerEU: 30
; NumVGPRsForWavesPerEU: 57
; Occupancy: 16
; WaveLimiterHint : 0
; COMPUTE_PGM_RSRC2:SCRATCH_EN: 0
; COMPUTE_PGM_RSRC2:USER_SGPR: 15
; COMPUTE_PGM_RSRC2:TRAP_HANDLER: 0
; COMPUTE_PGM_RSRC2:TGID_X_EN: 1
; COMPUTE_PGM_RSRC2:TGID_Y_EN: 0
; COMPUTE_PGM_RSRC2:TGID_Z_EN: 0
; COMPUTE_PGM_RSRC2:TIDIG_COMP_CNT: 0
	.section	.text._ZN7rocprim17ROCPRIM_400000_NS6detail17trampoline_kernelINS0_13select_configILj256ELj13ELNS0_17block_load_methodE3ELS4_3ELS4_3ELNS0_20block_scan_algorithmE0ELj4294967295EEENS1_25partition_config_selectorILNS1_17partition_subalgoE3EjNS0_10empty_typeEbEEZZNS1_14partition_implILS8_3ELb0ES6_jNS0_17counting_iteratorIjlEEPS9_SE_NS0_5tupleIJPjSE_EEENSF_IJSE_SE_EEES9_SG_JZNS1_25segmented_radix_sort_implINS0_14default_configELb0EPKbPbPKlPlN2at6native12_GLOBAL__N_18offset_tEEE10hipError_tPvRmT1_PNSt15iterator_traitsISY_E10value_typeET2_T3_PNSZ_IS14_E10value_typeET4_jRbjT5_S1A_jjP12ihipStream_tbEUljE_EEESV_SW_SX_S14_S18_S1A_T6_T7_T9_mT8_S1C_bDpT10_ENKUlT_T0_E_clISt17integral_constantIbLb1EES1O_IbLb0EEEEDaS1K_S1L_EUlS1K_E_NS1_11comp_targetILNS1_3genE8ELNS1_11target_archE1030ELNS1_3gpuE2ELNS1_3repE0EEENS1_30default_config_static_selectorELNS0_4arch9wavefront6targetE0EEEvSY_,"axG",@progbits,_ZN7rocprim17ROCPRIM_400000_NS6detail17trampoline_kernelINS0_13select_configILj256ELj13ELNS0_17block_load_methodE3ELS4_3ELS4_3ELNS0_20block_scan_algorithmE0ELj4294967295EEENS1_25partition_config_selectorILNS1_17partition_subalgoE3EjNS0_10empty_typeEbEEZZNS1_14partition_implILS8_3ELb0ES6_jNS0_17counting_iteratorIjlEEPS9_SE_NS0_5tupleIJPjSE_EEENSF_IJSE_SE_EEES9_SG_JZNS1_25segmented_radix_sort_implINS0_14default_configELb0EPKbPbPKlPlN2at6native12_GLOBAL__N_18offset_tEEE10hipError_tPvRmT1_PNSt15iterator_traitsISY_E10value_typeET2_T3_PNSZ_IS14_E10value_typeET4_jRbjT5_S1A_jjP12ihipStream_tbEUljE_EEESV_SW_SX_S14_S18_S1A_T6_T7_T9_mT8_S1C_bDpT10_ENKUlT_T0_E_clISt17integral_constantIbLb1EES1O_IbLb0EEEEDaS1K_S1L_EUlS1K_E_NS1_11comp_targetILNS1_3genE8ELNS1_11target_archE1030ELNS1_3gpuE2ELNS1_3repE0EEENS1_30default_config_static_selectorELNS0_4arch9wavefront6targetE0EEEvSY_,comdat
	.globl	_ZN7rocprim17ROCPRIM_400000_NS6detail17trampoline_kernelINS0_13select_configILj256ELj13ELNS0_17block_load_methodE3ELS4_3ELS4_3ELNS0_20block_scan_algorithmE0ELj4294967295EEENS1_25partition_config_selectorILNS1_17partition_subalgoE3EjNS0_10empty_typeEbEEZZNS1_14partition_implILS8_3ELb0ES6_jNS0_17counting_iteratorIjlEEPS9_SE_NS0_5tupleIJPjSE_EEENSF_IJSE_SE_EEES9_SG_JZNS1_25segmented_radix_sort_implINS0_14default_configELb0EPKbPbPKlPlN2at6native12_GLOBAL__N_18offset_tEEE10hipError_tPvRmT1_PNSt15iterator_traitsISY_E10value_typeET2_T3_PNSZ_IS14_E10value_typeET4_jRbjT5_S1A_jjP12ihipStream_tbEUljE_EEESV_SW_SX_S14_S18_S1A_T6_T7_T9_mT8_S1C_bDpT10_ENKUlT_T0_E_clISt17integral_constantIbLb1EES1O_IbLb0EEEEDaS1K_S1L_EUlS1K_E_NS1_11comp_targetILNS1_3genE8ELNS1_11target_archE1030ELNS1_3gpuE2ELNS1_3repE0EEENS1_30default_config_static_selectorELNS0_4arch9wavefront6targetE0EEEvSY_ ; -- Begin function _ZN7rocprim17ROCPRIM_400000_NS6detail17trampoline_kernelINS0_13select_configILj256ELj13ELNS0_17block_load_methodE3ELS4_3ELS4_3ELNS0_20block_scan_algorithmE0ELj4294967295EEENS1_25partition_config_selectorILNS1_17partition_subalgoE3EjNS0_10empty_typeEbEEZZNS1_14partition_implILS8_3ELb0ES6_jNS0_17counting_iteratorIjlEEPS9_SE_NS0_5tupleIJPjSE_EEENSF_IJSE_SE_EEES9_SG_JZNS1_25segmented_radix_sort_implINS0_14default_configELb0EPKbPbPKlPlN2at6native12_GLOBAL__N_18offset_tEEE10hipError_tPvRmT1_PNSt15iterator_traitsISY_E10value_typeET2_T3_PNSZ_IS14_E10value_typeET4_jRbjT5_S1A_jjP12ihipStream_tbEUljE_EEESV_SW_SX_S14_S18_S1A_T6_T7_T9_mT8_S1C_bDpT10_ENKUlT_T0_E_clISt17integral_constantIbLb1EES1O_IbLb0EEEEDaS1K_S1L_EUlS1K_E_NS1_11comp_targetILNS1_3genE8ELNS1_11target_archE1030ELNS1_3gpuE2ELNS1_3repE0EEENS1_30default_config_static_selectorELNS0_4arch9wavefront6targetE0EEEvSY_
	.p2align	8
	.type	_ZN7rocprim17ROCPRIM_400000_NS6detail17trampoline_kernelINS0_13select_configILj256ELj13ELNS0_17block_load_methodE3ELS4_3ELS4_3ELNS0_20block_scan_algorithmE0ELj4294967295EEENS1_25partition_config_selectorILNS1_17partition_subalgoE3EjNS0_10empty_typeEbEEZZNS1_14partition_implILS8_3ELb0ES6_jNS0_17counting_iteratorIjlEEPS9_SE_NS0_5tupleIJPjSE_EEENSF_IJSE_SE_EEES9_SG_JZNS1_25segmented_radix_sort_implINS0_14default_configELb0EPKbPbPKlPlN2at6native12_GLOBAL__N_18offset_tEEE10hipError_tPvRmT1_PNSt15iterator_traitsISY_E10value_typeET2_T3_PNSZ_IS14_E10value_typeET4_jRbjT5_S1A_jjP12ihipStream_tbEUljE_EEESV_SW_SX_S14_S18_S1A_T6_T7_T9_mT8_S1C_bDpT10_ENKUlT_T0_E_clISt17integral_constantIbLb1EES1O_IbLb0EEEEDaS1K_S1L_EUlS1K_E_NS1_11comp_targetILNS1_3genE8ELNS1_11target_archE1030ELNS1_3gpuE2ELNS1_3repE0EEENS1_30default_config_static_selectorELNS0_4arch9wavefront6targetE0EEEvSY_,@function
_ZN7rocprim17ROCPRIM_400000_NS6detail17trampoline_kernelINS0_13select_configILj256ELj13ELNS0_17block_load_methodE3ELS4_3ELS4_3ELNS0_20block_scan_algorithmE0ELj4294967295EEENS1_25partition_config_selectorILNS1_17partition_subalgoE3EjNS0_10empty_typeEbEEZZNS1_14partition_implILS8_3ELb0ES6_jNS0_17counting_iteratorIjlEEPS9_SE_NS0_5tupleIJPjSE_EEENSF_IJSE_SE_EEES9_SG_JZNS1_25segmented_radix_sort_implINS0_14default_configELb0EPKbPbPKlPlN2at6native12_GLOBAL__N_18offset_tEEE10hipError_tPvRmT1_PNSt15iterator_traitsISY_E10value_typeET2_T3_PNSZ_IS14_E10value_typeET4_jRbjT5_S1A_jjP12ihipStream_tbEUljE_EEESV_SW_SX_S14_S18_S1A_T6_T7_T9_mT8_S1C_bDpT10_ENKUlT_T0_E_clISt17integral_constantIbLb1EES1O_IbLb0EEEEDaS1K_S1L_EUlS1K_E_NS1_11comp_targetILNS1_3genE8ELNS1_11target_archE1030ELNS1_3gpuE2ELNS1_3repE0EEENS1_30default_config_static_selectorELNS0_4arch9wavefront6targetE0EEEvSY_: ; @_ZN7rocprim17ROCPRIM_400000_NS6detail17trampoline_kernelINS0_13select_configILj256ELj13ELNS0_17block_load_methodE3ELS4_3ELS4_3ELNS0_20block_scan_algorithmE0ELj4294967295EEENS1_25partition_config_selectorILNS1_17partition_subalgoE3EjNS0_10empty_typeEbEEZZNS1_14partition_implILS8_3ELb0ES6_jNS0_17counting_iteratorIjlEEPS9_SE_NS0_5tupleIJPjSE_EEENSF_IJSE_SE_EEES9_SG_JZNS1_25segmented_radix_sort_implINS0_14default_configELb0EPKbPbPKlPlN2at6native12_GLOBAL__N_18offset_tEEE10hipError_tPvRmT1_PNSt15iterator_traitsISY_E10value_typeET2_T3_PNSZ_IS14_E10value_typeET4_jRbjT5_S1A_jjP12ihipStream_tbEUljE_EEESV_SW_SX_S14_S18_S1A_T6_T7_T9_mT8_S1C_bDpT10_ENKUlT_T0_E_clISt17integral_constantIbLb1EES1O_IbLb0EEEEDaS1K_S1L_EUlS1K_E_NS1_11comp_targetILNS1_3genE8ELNS1_11target_archE1030ELNS1_3gpuE2ELNS1_3repE0EEENS1_30default_config_static_selectorELNS0_4arch9wavefront6targetE0EEEvSY_
; %bb.0:
	.section	.rodata,"a",@progbits
	.p2align	6, 0x0
	.amdhsa_kernel _ZN7rocprim17ROCPRIM_400000_NS6detail17trampoline_kernelINS0_13select_configILj256ELj13ELNS0_17block_load_methodE3ELS4_3ELS4_3ELNS0_20block_scan_algorithmE0ELj4294967295EEENS1_25partition_config_selectorILNS1_17partition_subalgoE3EjNS0_10empty_typeEbEEZZNS1_14partition_implILS8_3ELb0ES6_jNS0_17counting_iteratorIjlEEPS9_SE_NS0_5tupleIJPjSE_EEENSF_IJSE_SE_EEES9_SG_JZNS1_25segmented_radix_sort_implINS0_14default_configELb0EPKbPbPKlPlN2at6native12_GLOBAL__N_18offset_tEEE10hipError_tPvRmT1_PNSt15iterator_traitsISY_E10value_typeET2_T3_PNSZ_IS14_E10value_typeET4_jRbjT5_S1A_jjP12ihipStream_tbEUljE_EEESV_SW_SX_S14_S18_S1A_T6_T7_T9_mT8_S1C_bDpT10_ENKUlT_T0_E_clISt17integral_constantIbLb1EES1O_IbLb0EEEEDaS1K_S1L_EUlS1K_E_NS1_11comp_targetILNS1_3genE8ELNS1_11target_archE1030ELNS1_3gpuE2ELNS1_3repE0EEENS1_30default_config_static_selectorELNS0_4arch9wavefront6targetE0EEEvSY_
		.amdhsa_group_segment_fixed_size 0
		.amdhsa_private_segment_fixed_size 0
		.amdhsa_kernarg_size 144
		.amdhsa_user_sgpr_count 15
		.amdhsa_user_sgpr_dispatch_ptr 0
		.amdhsa_user_sgpr_queue_ptr 0
		.amdhsa_user_sgpr_kernarg_segment_ptr 1
		.amdhsa_user_sgpr_dispatch_id 0
		.amdhsa_user_sgpr_private_segment_size 0
		.amdhsa_wavefront_size32 1
		.amdhsa_uses_dynamic_stack 0
		.amdhsa_enable_private_segment 0
		.amdhsa_system_sgpr_workgroup_id_x 1
		.amdhsa_system_sgpr_workgroup_id_y 0
		.amdhsa_system_sgpr_workgroup_id_z 0
		.amdhsa_system_sgpr_workgroup_info 0
		.amdhsa_system_vgpr_workitem_id 0
		.amdhsa_next_free_vgpr 1
		.amdhsa_next_free_sgpr 1
		.amdhsa_reserve_vcc 0
		.amdhsa_float_round_mode_32 0
		.amdhsa_float_round_mode_16_64 0
		.amdhsa_float_denorm_mode_32 3
		.amdhsa_float_denorm_mode_16_64 3
		.amdhsa_dx10_clamp 1
		.amdhsa_ieee_mode 1
		.amdhsa_fp16_overflow 0
		.amdhsa_workgroup_processor_mode 1
		.amdhsa_memory_ordered 1
		.amdhsa_forward_progress 0
		.amdhsa_shared_vgpr_count 0
		.amdhsa_exception_fp_ieee_invalid_op 0
		.amdhsa_exception_fp_denorm_src 0
		.amdhsa_exception_fp_ieee_div_zero 0
		.amdhsa_exception_fp_ieee_overflow 0
		.amdhsa_exception_fp_ieee_underflow 0
		.amdhsa_exception_fp_ieee_inexact 0
		.amdhsa_exception_int_div_zero 0
	.end_amdhsa_kernel
	.section	.text._ZN7rocprim17ROCPRIM_400000_NS6detail17trampoline_kernelINS0_13select_configILj256ELj13ELNS0_17block_load_methodE3ELS4_3ELS4_3ELNS0_20block_scan_algorithmE0ELj4294967295EEENS1_25partition_config_selectorILNS1_17partition_subalgoE3EjNS0_10empty_typeEbEEZZNS1_14partition_implILS8_3ELb0ES6_jNS0_17counting_iteratorIjlEEPS9_SE_NS0_5tupleIJPjSE_EEENSF_IJSE_SE_EEES9_SG_JZNS1_25segmented_radix_sort_implINS0_14default_configELb0EPKbPbPKlPlN2at6native12_GLOBAL__N_18offset_tEEE10hipError_tPvRmT1_PNSt15iterator_traitsISY_E10value_typeET2_T3_PNSZ_IS14_E10value_typeET4_jRbjT5_S1A_jjP12ihipStream_tbEUljE_EEESV_SW_SX_S14_S18_S1A_T6_T7_T9_mT8_S1C_bDpT10_ENKUlT_T0_E_clISt17integral_constantIbLb1EES1O_IbLb0EEEEDaS1K_S1L_EUlS1K_E_NS1_11comp_targetILNS1_3genE8ELNS1_11target_archE1030ELNS1_3gpuE2ELNS1_3repE0EEENS1_30default_config_static_selectorELNS0_4arch9wavefront6targetE0EEEvSY_,"axG",@progbits,_ZN7rocprim17ROCPRIM_400000_NS6detail17trampoline_kernelINS0_13select_configILj256ELj13ELNS0_17block_load_methodE3ELS4_3ELS4_3ELNS0_20block_scan_algorithmE0ELj4294967295EEENS1_25partition_config_selectorILNS1_17partition_subalgoE3EjNS0_10empty_typeEbEEZZNS1_14partition_implILS8_3ELb0ES6_jNS0_17counting_iteratorIjlEEPS9_SE_NS0_5tupleIJPjSE_EEENSF_IJSE_SE_EEES9_SG_JZNS1_25segmented_radix_sort_implINS0_14default_configELb0EPKbPbPKlPlN2at6native12_GLOBAL__N_18offset_tEEE10hipError_tPvRmT1_PNSt15iterator_traitsISY_E10value_typeET2_T3_PNSZ_IS14_E10value_typeET4_jRbjT5_S1A_jjP12ihipStream_tbEUljE_EEESV_SW_SX_S14_S18_S1A_T6_T7_T9_mT8_S1C_bDpT10_ENKUlT_T0_E_clISt17integral_constantIbLb1EES1O_IbLb0EEEEDaS1K_S1L_EUlS1K_E_NS1_11comp_targetILNS1_3genE8ELNS1_11target_archE1030ELNS1_3gpuE2ELNS1_3repE0EEENS1_30default_config_static_selectorELNS0_4arch9wavefront6targetE0EEEvSY_,comdat
.Lfunc_end1626:
	.size	_ZN7rocprim17ROCPRIM_400000_NS6detail17trampoline_kernelINS0_13select_configILj256ELj13ELNS0_17block_load_methodE3ELS4_3ELS4_3ELNS0_20block_scan_algorithmE0ELj4294967295EEENS1_25partition_config_selectorILNS1_17partition_subalgoE3EjNS0_10empty_typeEbEEZZNS1_14partition_implILS8_3ELb0ES6_jNS0_17counting_iteratorIjlEEPS9_SE_NS0_5tupleIJPjSE_EEENSF_IJSE_SE_EEES9_SG_JZNS1_25segmented_radix_sort_implINS0_14default_configELb0EPKbPbPKlPlN2at6native12_GLOBAL__N_18offset_tEEE10hipError_tPvRmT1_PNSt15iterator_traitsISY_E10value_typeET2_T3_PNSZ_IS14_E10value_typeET4_jRbjT5_S1A_jjP12ihipStream_tbEUljE_EEESV_SW_SX_S14_S18_S1A_T6_T7_T9_mT8_S1C_bDpT10_ENKUlT_T0_E_clISt17integral_constantIbLb1EES1O_IbLb0EEEEDaS1K_S1L_EUlS1K_E_NS1_11comp_targetILNS1_3genE8ELNS1_11target_archE1030ELNS1_3gpuE2ELNS1_3repE0EEENS1_30default_config_static_selectorELNS0_4arch9wavefront6targetE0EEEvSY_, .Lfunc_end1626-_ZN7rocprim17ROCPRIM_400000_NS6detail17trampoline_kernelINS0_13select_configILj256ELj13ELNS0_17block_load_methodE3ELS4_3ELS4_3ELNS0_20block_scan_algorithmE0ELj4294967295EEENS1_25partition_config_selectorILNS1_17partition_subalgoE3EjNS0_10empty_typeEbEEZZNS1_14partition_implILS8_3ELb0ES6_jNS0_17counting_iteratorIjlEEPS9_SE_NS0_5tupleIJPjSE_EEENSF_IJSE_SE_EEES9_SG_JZNS1_25segmented_radix_sort_implINS0_14default_configELb0EPKbPbPKlPlN2at6native12_GLOBAL__N_18offset_tEEE10hipError_tPvRmT1_PNSt15iterator_traitsISY_E10value_typeET2_T3_PNSZ_IS14_E10value_typeET4_jRbjT5_S1A_jjP12ihipStream_tbEUljE_EEESV_SW_SX_S14_S18_S1A_T6_T7_T9_mT8_S1C_bDpT10_ENKUlT_T0_E_clISt17integral_constantIbLb1EES1O_IbLb0EEEEDaS1K_S1L_EUlS1K_E_NS1_11comp_targetILNS1_3genE8ELNS1_11target_archE1030ELNS1_3gpuE2ELNS1_3repE0EEENS1_30default_config_static_selectorELNS0_4arch9wavefront6targetE0EEEvSY_
                                        ; -- End function
	.section	.AMDGPU.csdata,"",@progbits
; Kernel info:
; codeLenInByte = 0
; NumSgprs: 0
; NumVgprs: 0
; ScratchSize: 0
; MemoryBound: 0
; FloatMode: 240
; IeeeMode: 1
; LDSByteSize: 0 bytes/workgroup (compile time only)
; SGPRBlocks: 0
; VGPRBlocks: 0
; NumSGPRsForWavesPerEU: 1
; NumVGPRsForWavesPerEU: 1
; Occupancy: 16
; WaveLimiterHint : 0
; COMPUTE_PGM_RSRC2:SCRATCH_EN: 0
; COMPUTE_PGM_RSRC2:USER_SGPR: 15
; COMPUTE_PGM_RSRC2:TRAP_HANDLER: 0
; COMPUTE_PGM_RSRC2:TGID_X_EN: 1
; COMPUTE_PGM_RSRC2:TGID_Y_EN: 0
; COMPUTE_PGM_RSRC2:TGID_Z_EN: 0
; COMPUTE_PGM_RSRC2:TIDIG_COMP_CNT: 0
	.section	.text._ZN7rocprim17ROCPRIM_400000_NS6detail17trampoline_kernelINS0_13select_configILj256ELj13ELNS0_17block_load_methodE3ELS4_3ELS4_3ELNS0_20block_scan_algorithmE0ELj4294967295EEENS1_25partition_config_selectorILNS1_17partition_subalgoE3EjNS0_10empty_typeEbEEZZNS1_14partition_implILS8_3ELb0ES6_jNS0_17counting_iteratorIjlEEPS9_SE_NS0_5tupleIJPjSE_EEENSF_IJSE_SE_EEES9_SG_JZNS1_25segmented_radix_sort_implINS0_14default_configELb0EPKbPbPKlPlN2at6native12_GLOBAL__N_18offset_tEEE10hipError_tPvRmT1_PNSt15iterator_traitsISY_E10value_typeET2_T3_PNSZ_IS14_E10value_typeET4_jRbjT5_S1A_jjP12ihipStream_tbEUljE_EEESV_SW_SX_S14_S18_S1A_T6_T7_T9_mT8_S1C_bDpT10_ENKUlT_T0_E_clISt17integral_constantIbLb0EES1O_IbLb1EEEEDaS1K_S1L_EUlS1K_E_NS1_11comp_targetILNS1_3genE0ELNS1_11target_archE4294967295ELNS1_3gpuE0ELNS1_3repE0EEENS1_30default_config_static_selectorELNS0_4arch9wavefront6targetE0EEEvSY_,"axG",@progbits,_ZN7rocprim17ROCPRIM_400000_NS6detail17trampoline_kernelINS0_13select_configILj256ELj13ELNS0_17block_load_methodE3ELS4_3ELS4_3ELNS0_20block_scan_algorithmE0ELj4294967295EEENS1_25partition_config_selectorILNS1_17partition_subalgoE3EjNS0_10empty_typeEbEEZZNS1_14partition_implILS8_3ELb0ES6_jNS0_17counting_iteratorIjlEEPS9_SE_NS0_5tupleIJPjSE_EEENSF_IJSE_SE_EEES9_SG_JZNS1_25segmented_radix_sort_implINS0_14default_configELb0EPKbPbPKlPlN2at6native12_GLOBAL__N_18offset_tEEE10hipError_tPvRmT1_PNSt15iterator_traitsISY_E10value_typeET2_T3_PNSZ_IS14_E10value_typeET4_jRbjT5_S1A_jjP12ihipStream_tbEUljE_EEESV_SW_SX_S14_S18_S1A_T6_T7_T9_mT8_S1C_bDpT10_ENKUlT_T0_E_clISt17integral_constantIbLb0EES1O_IbLb1EEEEDaS1K_S1L_EUlS1K_E_NS1_11comp_targetILNS1_3genE0ELNS1_11target_archE4294967295ELNS1_3gpuE0ELNS1_3repE0EEENS1_30default_config_static_selectorELNS0_4arch9wavefront6targetE0EEEvSY_,comdat
	.globl	_ZN7rocprim17ROCPRIM_400000_NS6detail17trampoline_kernelINS0_13select_configILj256ELj13ELNS0_17block_load_methodE3ELS4_3ELS4_3ELNS0_20block_scan_algorithmE0ELj4294967295EEENS1_25partition_config_selectorILNS1_17partition_subalgoE3EjNS0_10empty_typeEbEEZZNS1_14partition_implILS8_3ELb0ES6_jNS0_17counting_iteratorIjlEEPS9_SE_NS0_5tupleIJPjSE_EEENSF_IJSE_SE_EEES9_SG_JZNS1_25segmented_radix_sort_implINS0_14default_configELb0EPKbPbPKlPlN2at6native12_GLOBAL__N_18offset_tEEE10hipError_tPvRmT1_PNSt15iterator_traitsISY_E10value_typeET2_T3_PNSZ_IS14_E10value_typeET4_jRbjT5_S1A_jjP12ihipStream_tbEUljE_EEESV_SW_SX_S14_S18_S1A_T6_T7_T9_mT8_S1C_bDpT10_ENKUlT_T0_E_clISt17integral_constantIbLb0EES1O_IbLb1EEEEDaS1K_S1L_EUlS1K_E_NS1_11comp_targetILNS1_3genE0ELNS1_11target_archE4294967295ELNS1_3gpuE0ELNS1_3repE0EEENS1_30default_config_static_selectorELNS0_4arch9wavefront6targetE0EEEvSY_ ; -- Begin function _ZN7rocprim17ROCPRIM_400000_NS6detail17trampoline_kernelINS0_13select_configILj256ELj13ELNS0_17block_load_methodE3ELS4_3ELS4_3ELNS0_20block_scan_algorithmE0ELj4294967295EEENS1_25partition_config_selectorILNS1_17partition_subalgoE3EjNS0_10empty_typeEbEEZZNS1_14partition_implILS8_3ELb0ES6_jNS0_17counting_iteratorIjlEEPS9_SE_NS0_5tupleIJPjSE_EEENSF_IJSE_SE_EEES9_SG_JZNS1_25segmented_radix_sort_implINS0_14default_configELb0EPKbPbPKlPlN2at6native12_GLOBAL__N_18offset_tEEE10hipError_tPvRmT1_PNSt15iterator_traitsISY_E10value_typeET2_T3_PNSZ_IS14_E10value_typeET4_jRbjT5_S1A_jjP12ihipStream_tbEUljE_EEESV_SW_SX_S14_S18_S1A_T6_T7_T9_mT8_S1C_bDpT10_ENKUlT_T0_E_clISt17integral_constantIbLb0EES1O_IbLb1EEEEDaS1K_S1L_EUlS1K_E_NS1_11comp_targetILNS1_3genE0ELNS1_11target_archE4294967295ELNS1_3gpuE0ELNS1_3repE0EEENS1_30default_config_static_selectorELNS0_4arch9wavefront6targetE0EEEvSY_
	.p2align	8
	.type	_ZN7rocprim17ROCPRIM_400000_NS6detail17trampoline_kernelINS0_13select_configILj256ELj13ELNS0_17block_load_methodE3ELS4_3ELS4_3ELNS0_20block_scan_algorithmE0ELj4294967295EEENS1_25partition_config_selectorILNS1_17partition_subalgoE3EjNS0_10empty_typeEbEEZZNS1_14partition_implILS8_3ELb0ES6_jNS0_17counting_iteratorIjlEEPS9_SE_NS0_5tupleIJPjSE_EEENSF_IJSE_SE_EEES9_SG_JZNS1_25segmented_radix_sort_implINS0_14default_configELb0EPKbPbPKlPlN2at6native12_GLOBAL__N_18offset_tEEE10hipError_tPvRmT1_PNSt15iterator_traitsISY_E10value_typeET2_T3_PNSZ_IS14_E10value_typeET4_jRbjT5_S1A_jjP12ihipStream_tbEUljE_EEESV_SW_SX_S14_S18_S1A_T6_T7_T9_mT8_S1C_bDpT10_ENKUlT_T0_E_clISt17integral_constantIbLb0EES1O_IbLb1EEEEDaS1K_S1L_EUlS1K_E_NS1_11comp_targetILNS1_3genE0ELNS1_11target_archE4294967295ELNS1_3gpuE0ELNS1_3repE0EEENS1_30default_config_static_selectorELNS0_4arch9wavefront6targetE0EEEvSY_,@function
_ZN7rocprim17ROCPRIM_400000_NS6detail17trampoline_kernelINS0_13select_configILj256ELj13ELNS0_17block_load_methodE3ELS4_3ELS4_3ELNS0_20block_scan_algorithmE0ELj4294967295EEENS1_25partition_config_selectorILNS1_17partition_subalgoE3EjNS0_10empty_typeEbEEZZNS1_14partition_implILS8_3ELb0ES6_jNS0_17counting_iteratorIjlEEPS9_SE_NS0_5tupleIJPjSE_EEENSF_IJSE_SE_EEES9_SG_JZNS1_25segmented_radix_sort_implINS0_14default_configELb0EPKbPbPKlPlN2at6native12_GLOBAL__N_18offset_tEEE10hipError_tPvRmT1_PNSt15iterator_traitsISY_E10value_typeET2_T3_PNSZ_IS14_E10value_typeET4_jRbjT5_S1A_jjP12ihipStream_tbEUljE_EEESV_SW_SX_S14_S18_S1A_T6_T7_T9_mT8_S1C_bDpT10_ENKUlT_T0_E_clISt17integral_constantIbLb0EES1O_IbLb1EEEEDaS1K_S1L_EUlS1K_E_NS1_11comp_targetILNS1_3genE0ELNS1_11target_archE4294967295ELNS1_3gpuE0ELNS1_3repE0EEENS1_30default_config_static_selectorELNS0_4arch9wavefront6targetE0EEEvSY_: ; @_ZN7rocprim17ROCPRIM_400000_NS6detail17trampoline_kernelINS0_13select_configILj256ELj13ELNS0_17block_load_methodE3ELS4_3ELS4_3ELNS0_20block_scan_algorithmE0ELj4294967295EEENS1_25partition_config_selectorILNS1_17partition_subalgoE3EjNS0_10empty_typeEbEEZZNS1_14partition_implILS8_3ELb0ES6_jNS0_17counting_iteratorIjlEEPS9_SE_NS0_5tupleIJPjSE_EEENSF_IJSE_SE_EEES9_SG_JZNS1_25segmented_radix_sort_implINS0_14default_configELb0EPKbPbPKlPlN2at6native12_GLOBAL__N_18offset_tEEE10hipError_tPvRmT1_PNSt15iterator_traitsISY_E10value_typeET2_T3_PNSZ_IS14_E10value_typeET4_jRbjT5_S1A_jjP12ihipStream_tbEUljE_EEESV_SW_SX_S14_S18_S1A_T6_T7_T9_mT8_S1C_bDpT10_ENKUlT_T0_E_clISt17integral_constantIbLb0EES1O_IbLb1EEEEDaS1K_S1L_EUlS1K_E_NS1_11comp_targetILNS1_3genE0ELNS1_11target_archE4294967295ELNS1_3gpuE0ELNS1_3repE0EEENS1_30default_config_static_selectorELNS0_4arch9wavefront6targetE0EEEvSY_
; %bb.0:
	.section	.rodata,"a",@progbits
	.p2align	6, 0x0
	.amdhsa_kernel _ZN7rocprim17ROCPRIM_400000_NS6detail17trampoline_kernelINS0_13select_configILj256ELj13ELNS0_17block_load_methodE3ELS4_3ELS4_3ELNS0_20block_scan_algorithmE0ELj4294967295EEENS1_25partition_config_selectorILNS1_17partition_subalgoE3EjNS0_10empty_typeEbEEZZNS1_14partition_implILS8_3ELb0ES6_jNS0_17counting_iteratorIjlEEPS9_SE_NS0_5tupleIJPjSE_EEENSF_IJSE_SE_EEES9_SG_JZNS1_25segmented_radix_sort_implINS0_14default_configELb0EPKbPbPKlPlN2at6native12_GLOBAL__N_18offset_tEEE10hipError_tPvRmT1_PNSt15iterator_traitsISY_E10value_typeET2_T3_PNSZ_IS14_E10value_typeET4_jRbjT5_S1A_jjP12ihipStream_tbEUljE_EEESV_SW_SX_S14_S18_S1A_T6_T7_T9_mT8_S1C_bDpT10_ENKUlT_T0_E_clISt17integral_constantIbLb0EES1O_IbLb1EEEEDaS1K_S1L_EUlS1K_E_NS1_11comp_targetILNS1_3genE0ELNS1_11target_archE4294967295ELNS1_3gpuE0ELNS1_3repE0EEENS1_30default_config_static_selectorELNS0_4arch9wavefront6targetE0EEEvSY_
		.amdhsa_group_segment_fixed_size 0
		.amdhsa_private_segment_fixed_size 0
		.amdhsa_kernarg_size 152
		.amdhsa_user_sgpr_count 15
		.amdhsa_user_sgpr_dispatch_ptr 0
		.amdhsa_user_sgpr_queue_ptr 0
		.amdhsa_user_sgpr_kernarg_segment_ptr 1
		.amdhsa_user_sgpr_dispatch_id 0
		.amdhsa_user_sgpr_private_segment_size 0
		.amdhsa_wavefront_size32 1
		.amdhsa_uses_dynamic_stack 0
		.amdhsa_enable_private_segment 0
		.amdhsa_system_sgpr_workgroup_id_x 1
		.amdhsa_system_sgpr_workgroup_id_y 0
		.amdhsa_system_sgpr_workgroup_id_z 0
		.amdhsa_system_sgpr_workgroup_info 0
		.amdhsa_system_vgpr_workitem_id 0
		.amdhsa_next_free_vgpr 1
		.amdhsa_next_free_sgpr 1
		.amdhsa_reserve_vcc 0
		.amdhsa_float_round_mode_32 0
		.amdhsa_float_round_mode_16_64 0
		.amdhsa_float_denorm_mode_32 3
		.amdhsa_float_denorm_mode_16_64 3
		.amdhsa_dx10_clamp 1
		.amdhsa_ieee_mode 1
		.amdhsa_fp16_overflow 0
		.amdhsa_workgroup_processor_mode 1
		.amdhsa_memory_ordered 1
		.amdhsa_forward_progress 0
		.amdhsa_shared_vgpr_count 0
		.amdhsa_exception_fp_ieee_invalid_op 0
		.amdhsa_exception_fp_denorm_src 0
		.amdhsa_exception_fp_ieee_div_zero 0
		.amdhsa_exception_fp_ieee_overflow 0
		.amdhsa_exception_fp_ieee_underflow 0
		.amdhsa_exception_fp_ieee_inexact 0
		.amdhsa_exception_int_div_zero 0
	.end_amdhsa_kernel
	.section	.text._ZN7rocprim17ROCPRIM_400000_NS6detail17trampoline_kernelINS0_13select_configILj256ELj13ELNS0_17block_load_methodE3ELS4_3ELS4_3ELNS0_20block_scan_algorithmE0ELj4294967295EEENS1_25partition_config_selectorILNS1_17partition_subalgoE3EjNS0_10empty_typeEbEEZZNS1_14partition_implILS8_3ELb0ES6_jNS0_17counting_iteratorIjlEEPS9_SE_NS0_5tupleIJPjSE_EEENSF_IJSE_SE_EEES9_SG_JZNS1_25segmented_radix_sort_implINS0_14default_configELb0EPKbPbPKlPlN2at6native12_GLOBAL__N_18offset_tEEE10hipError_tPvRmT1_PNSt15iterator_traitsISY_E10value_typeET2_T3_PNSZ_IS14_E10value_typeET4_jRbjT5_S1A_jjP12ihipStream_tbEUljE_EEESV_SW_SX_S14_S18_S1A_T6_T7_T9_mT8_S1C_bDpT10_ENKUlT_T0_E_clISt17integral_constantIbLb0EES1O_IbLb1EEEEDaS1K_S1L_EUlS1K_E_NS1_11comp_targetILNS1_3genE0ELNS1_11target_archE4294967295ELNS1_3gpuE0ELNS1_3repE0EEENS1_30default_config_static_selectorELNS0_4arch9wavefront6targetE0EEEvSY_,"axG",@progbits,_ZN7rocprim17ROCPRIM_400000_NS6detail17trampoline_kernelINS0_13select_configILj256ELj13ELNS0_17block_load_methodE3ELS4_3ELS4_3ELNS0_20block_scan_algorithmE0ELj4294967295EEENS1_25partition_config_selectorILNS1_17partition_subalgoE3EjNS0_10empty_typeEbEEZZNS1_14partition_implILS8_3ELb0ES6_jNS0_17counting_iteratorIjlEEPS9_SE_NS0_5tupleIJPjSE_EEENSF_IJSE_SE_EEES9_SG_JZNS1_25segmented_radix_sort_implINS0_14default_configELb0EPKbPbPKlPlN2at6native12_GLOBAL__N_18offset_tEEE10hipError_tPvRmT1_PNSt15iterator_traitsISY_E10value_typeET2_T3_PNSZ_IS14_E10value_typeET4_jRbjT5_S1A_jjP12ihipStream_tbEUljE_EEESV_SW_SX_S14_S18_S1A_T6_T7_T9_mT8_S1C_bDpT10_ENKUlT_T0_E_clISt17integral_constantIbLb0EES1O_IbLb1EEEEDaS1K_S1L_EUlS1K_E_NS1_11comp_targetILNS1_3genE0ELNS1_11target_archE4294967295ELNS1_3gpuE0ELNS1_3repE0EEENS1_30default_config_static_selectorELNS0_4arch9wavefront6targetE0EEEvSY_,comdat
.Lfunc_end1627:
	.size	_ZN7rocprim17ROCPRIM_400000_NS6detail17trampoline_kernelINS0_13select_configILj256ELj13ELNS0_17block_load_methodE3ELS4_3ELS4_3ELNS0_20block_scan_algorithmE0ELj4294967295EEENS1_25partition_config_selectorILNS1_17partition_subalgoE3EjNS0_10empty_typeEbEEZZNS1_14partition_implILS8_3ELb0ES6_jNS0_17counting_iteratorIjlEEPS9_SE_NS0_5tupleIJPjSE_EEENSF_IJSE_SE_EEES9_SG_JZNS1_25segmented_radix_sort_implINS0_14default_configELb0EPKbPbPKlPlN2at6native12_GLOBAL__N_18offset_tEEE10hipError_tPvRmT1_PNSt15iterator_traitsISY_E10value_typeET2_T3_PNSZ_IS14_E10value_typeET4_jRbjT5_S1A_jjP12ihipStream_tbEUljE_EEESV_SW_SX_S14_S18_S1A_T6_T7_T9_mT8_S1C_bDpT10_ENKUlT_T0_E_clISt17integral_constantIbLb0EES1O_IbLb1EEEEDaS1K_S1L_EUlS1K_E_NS1_11comp_targetILNS1_3genE0ELNS1_11target_archE4294967295ELNS1_3gpuE0ELNS1_3repE0EEENS1_30default_config_static_selectorELNS0_4arch9wavefront6targetE0EEEvSY_, .Lfunc_end1627-_ZN7rocprim17ROCPRIM_400000_NS6detail17trampoline_kernelINS0_13select_configILj256ELj13ELNS0_17block_load_methodE3ELS4_3ELS4_3ELNS0_20block_scan_algorithmE0ELj4294967295EEENS1_25partition_config_selectorILNS1_17partition_subalgoE3EjNS0_10empty_typeEbEEZZNS1_14partition_implILS8_3ELb0ES6_jNS0_17counting_iteratorIjlEEPS9_SE_NS0_5tupleIJPjSE_EEENSF_IJSE_SE_EEES9_SG_JZNS1_25segmented_radix_sort_implINS0_14default_configELb0EPKbPbPKlPlN2at6native12_GLOBAL__N_18offset_tEEE10hipError_tPvRmT1_PNSt15iterator_traitsISY_E10value_typeET2_T3_PNSZ_IS14_E10value_typeET4_jRbjT5_S1A_jjP12ihipStream_tbEUljE_EEESV_SW_SX_S14_S18_S1A_T6_T7_T9_mT8_S1C_bDpT10_ENKUlT_T0_E_clISt17integral_constantIbLb0EES1O_IbLb1EEEEDaS1K_S1L_EUlS1K_E_NS1_11comp_targetILNS1_3genE0ELNS1_11target_archE4294967295ELNS1_3gpuE0ELNS1_3repE0EEENS1_30default_config_static_selectorELNS0_4arch9wavefront6targetE0EEEvSY_
                                        ; -- End function
	.section	.AMDGPU.csdata,"",@progbits
; Kernel info:
; codeLenInByte = 0
; NumSgprs: 0
; NumVgprs: 0
; ScratchSize: 0
; MemoryBound: 0
; FloatMode: 240
; IeeeMode: 1
; LDSByteSize: 0 bytes/workgroup (compile time only)
; SGPRBlocks: 0
; VGPRBlocks: 0
; NumSGPRsForWavesPerEU: 1
; NumVGPRsForWavesPerEU: 1
; Occupancy: 16
; WaveLimiterHint : 0
; COMPUTE_PGM_RSRC2:SCRATCH_EN: 0
; COMPUTE_PGM_RSRC2:USER_SGPR: 15
; COMPUTE_PGM_RSRC2:TRAP_HANDLER: 0
; COMPUTE_PGM_RSRC2:TGID_X_EN: 1
; COMPUTE_PGM_RSRC2:TGID_Y_EN: 0
; COMPUTE_PGM_RSRC2:TGID_Z_EN: 0
; COMPUTE_PGM_RSRC2:TIDIG_COMP_CNT: 0
	.section	.text._ZN7rocprim17ROCPRIM_400000_NS6detail17trampoline_kernelINS0_13select_configILj256ELj13ELNS0_17block_load_methodE3ELS4_3ELS4_3ELNS0_20block_scan_algorithmE0ELj4294967295EEENS1_25partition_config_selectorILNS1_17partition_subalgoE3EjNS0_10empty_typeEbEEZZNS1_14partition_implILS8_3ELb0ES6_jNS0_17counting_iteratorIjlEEPS9_SE_NS0_5tupleIJPjSE_EEENSF_IJSE_SE_EEES9_SG_JZNS1_25segmented_radix_sort_implINS0_14default_configELb0EPKbPbPKlPlN2at6native12_GLOBAL__N_18offset_tEEE10hipError_tPvRmT1_PNSt15iterator_traitsISY_E10value_typeET2_T3_PNSZ_IS14_E10value_typeET4_jRbjT5_S1A_jjP12ihipStream_tbEUljE_EEESV_SW_SX_S14_S18_S1A_T6_T7_T9_mT8_S1C_bDpT10_ENKUlT_T0_E_clISt17integral_constantIbLb0EES1O_IbLb1EEEEDaS1K_S1L_EUlS1K_E_NS1_11comp_targetILNS1_3genE5ELNS1_11target_archE942ELNS1_3gpuE9ELNS1_3repE0EEENS1_30default_config_static_selectorELNS0_4arch9wavefront6targetE0EEEvSY_,"axG",@progbits,_ZN7rocprim17ROCPRIM_400000_NS6detail17trampoline_kernelINS0_13select_configILj256ELj13ELNS0_17block_load_methodE3ELS4_3ELS4_3ELNS0_20block_scan_algorithmE0ELj4294967295EEENS1_25partition_config_selectorILNS1_17partition_subalgoE3EjNS0_10empty_typeEbEEZZNS1_14partition_implILS8_3ELb0ES6_jNS0_17counting_iteratorIjlEEPS9_SE_NS0_5tupleIJPjSE_EEENSF_IJSE_SE_EEES9_SG_JZNS1_25segmented_radix_sort_implINS0_14default_configELb0EPKbPbPKlPlN2at6native12_GLOBAL__N_18offset_tEEE10hipError_tPvRmT1_PNSt15iterator_traitsISY_E10value_typeET2_T3_PNSZ_IS14_E10value_typeET4_jRbjT5_S1A_jjP12ihipStream_tbEUljE_EEESV_SW_SX_S14_S18_S1A_T6_T7_T9_mT8_S1C_bDpT10_ENKUlT_T0_E_clISt17integral_constantIbLb0EES1O_IbLb1EEEEDaS1K_S1L_EUlS1K_E_NS1_11comp_targetILNS1_3genE5ELNS1_11target_archE942ELNS1_3gpuE9ELNS1_3repE0EEENS1_30default_config_static_selectorELNS0_4arch9wavefront6targetE0EEEvSY_,comdat
	.globl	_ZN7rocprim17ROCPRIM_400000_NS6detail17trampoline_kernelINS0_13select_configILj256ELj13ELNS0_17block_load_methodE3ELS4_3ELS4_3ELNS0_20block_scan_algorithmE0ELj4294967295EEENS1_25partition_config_selectorILNS1_17partition_subalgoE3EjNS0_10empty_typeEbEEZZNS1_14partition_implILS8_3ELb0ES6_jNS0_17counting_iteratorIjlEEPS9_SE_NS0_5tupleIJPjSE_EEENSF_IJSE_SE_EEES9_SG_JZNS1_25segmented_radix_sort_implINS0_14default_configELb0EPKbPbPKlPlN2at6native12_GLOBAL__N_18offset_tEEE10hipError_tPvRmT1_PNSt15iterator_traitsISY_E10value_typeET2_T3_PNSZ_IS14_E10value_typeET4_jRbjT5_S1A_jjP12ihipStream_tbEUljE_EEESV_SW_SX_S14_S18_S1A_T6_T7_T9_mT8_S1C_bDpT10_ENKUlT_T0_E_clISt17integral_constantIbLb0EES1O_IbLb1EEEEDaS1K_S1L_EUlS1K_E_NS1_11comp_targetILNS1_3genE5ELNS1_11target_archE942ELNS1_3gpuE9ELNS1_3repE0EEENS1_30default_config_static_selectorELNS0_4arch9wavefront6targetE0EEEvSY_ ; -- Begin function _ZN7rocprim17ROCPRIM_400000_NS6detail17trampoline_kernelINS0_13select_configILj256ELj13ELNS0_17block_load_methodE3ELS4_3ELS4_3ELNS0_20block_scan_algorithmE0ELj4294967295EEENS1_25partition_config_selectorILNS1_17partition_subalgoE3EjNS0_10empty_typeEbEEZZNS1_14partition_implILS8_3ELb0ES6_jNS0_17counting_iteratorIjlEEPS9_SE_NS0_5tupleIJPjSE_EEENSF_IJSE_SE_EEES9_SG_JZNS1_25segmented_radix_sort_implINS0_14default_configELb0EPKbPbPKlPlN2at6native12_GLOBAL__N_18offset_tEEE10hipError_tPvRmT1_PNSt15iterator_traitsISY_E10value_typeET2_T3_PNSZ_IS14_E10value_typeET4_jRbjT5_S1A_jjP12ihipStream_tbEUljE_EEESV_SW_SX_S14_S18_S1A_T6_T7_T9_mT8_S1C_bDpT10_ENKUlT_T0_E_clISt17integral_constantIbLb0EES1O_IbLb1EEEEDaS1K_S1L_EUlS1K_E_NS1_11comp_targetILNS1_3genE5ELNS1_11target_archE942ELNS1_3gpuE9ELNS1_3repE0EEENS1_30default_config_static_selectorELNS0_4arch9wavefront6targetE0EEEvSY_
	.p2align	8
	.type	_ZN7rocprim17ROCPRIM_400000_NS6detail17trampoline_kernelINS0_13select_configILj256ELj13ELNS0_17block_load_methodE3ELS4_3ELS4_3ELNS0_20block_scan_algorithmE0ELj4294967295EEENS1_25partition_config_selectorILNS1_17partition_subalgoE3EjNS0_10empty_typeEbEEZZNS1_14partition_implILS8_3ELb0ES6_jNS0_17counting_iteratorIjlEEPS9_SE_NS0_5tupleIJPjSE_EEENSF_IJSE_SE_EEES9_SG_JZNS1_25segmented_radix_sort_implINS0_14default_configELb0EPKbPbPKlPlN2at6native12_GLOBAL__N_18offset_tEEE10hipError_tPvRmT1_PNSt15iterator_traitsISY_E10value_typeET2_T3_PNSZ_IS14_E10value_typeET4_jRbjT5_S1A_jjP12ihipStream_tbEUljE_EEESV_SW_SX_S14_S18_S1A_T6_T7_T9_mT8_S1C_bDpT10_ENKUlT_T0_E_clISt17integral_constantIbLb0EES1O_IbLb1EEEEDaS1K_S1L_EUlS1K_E_NS1_11comp_targetILNS1_3genE5ELNS1_11target_archE942ELNS1_3gpuE9ELNS1_3repE0EEENS1_30default_config_static_selectorELNS0_4arch9wavefront6targetE0EEEvSY_,@function
_ZN7rocprim17ROCPRIM_400000_NS6detail17trampoline_kernelINS0_13select_configILj256ELj13ELNS0_17block_load_methodE3ELS4_3ELS4_3ELNS0_20block_scan_algorithmE0ELj4294967295EEENS1_25partition_config_selectorILNS1_17partition_subalgoE3EjNS0_10empty_typeEbEEZZNS1_14partition_implILS8_3ELb0ES6_jNS0_17counting_iteratorIjlEEPS9_SE_NS0_5tupleIJPjSE_EEENSF_IJSE_SE_EEES9_SG_JZNS1_25segmented_radix_sort_implINS0_14default_configELb0EPKbPbPKlPlN2at6native12_GLOBAL__N_18offset_tEEE10hipError_tPvRmT1_PNSt15iterator_traitsISY_E10value_typeET2_T3_PNSZ_IS14_E10value_typeET4_jRbjT5_S1A_jjP12ihipStream_tbEUljE_EEESV_SW_SX_S14_S18_S1A_T6_T7_T9_mT8_S1C_bDpT10_ENKUlT_T0_E_clISt17integral_constantIbLb0EES1O_IbLb1EEEEDaS1K_S1L_EUlS1K_E_NS1_11comp_targetILNS1_3genE5ELNS1_11target_archE942ELNS1_3gpuE9ELNS1_3repE0EEENS1_30default_config_static_selectorELNS0_4arch9wavefront6targetE0EEEvSY_: ; @_ZN7rocprim17ROCPRIM_400000_NS6detail17trampoline_kernelINS0_13select_configILj256ELj13ELNS0_17block_load_methodE3ELS4_3ELS4_3ELNS0_20block_scan_algorithmE0ELj4294967295EEENS1_25partition_config_selectorILNS1_17partition_subalgoE3EjNS0_10empty_typeEbEEZZNS1_14partition_implILS8_3ELb0ES6_jNS0_17counting_iteratorIjlEEPS9_SE_NS0_5tupleIJPjSE_EEENSF_IJSE_SE_EEES9_SG_JZNS1_25segmented_radix_sort_implINS0_14default_configELb0EPKbPbPKlPlN2at6native12_GLOBAL__N_18offset_tEEE10hipError_tPvRmT1_PNSt15iterator_traitsISY_E10value_typeET2_T3_PNSZ_IS14_E10value_typeET4_jRbjT5_S1A_jjP12ihipStream_tbEUljE_EEESV_SW_SX_S14_S18_S1A_T6_T7_T9_mT8_S1C_bDpT10_ENKUlT_T0_E_clISt17integral_constantIbLb0EES1O_IbLb1EEEEDaS1K_S1L_EUlS1K_E_NS1_11comp_targetILNS1_3genE5ELNS1_11target_archE942ELNS1_3gpuE9ELNS1_3repE0EEENS1_30default_config_static_selectorELNS0_4arch9wavefront6targetE0EEEvSY_
; %bb.0:
	.section	.rodata,"a",@progbits
	.p2align	6, 0x0
	.amdhsa_kernel _ZN7rocprim17ROCPRIM_400000_NS6detail17trampoline_kernelINS0_13select_configILj256ELj13ELNS0_17block_load_methodE3ELS4_3ELS4_3ELNS0_20block_scan_algorithmE0ELj4294967295EEENS1_25partition_config_selectorILNS1_17partition_subalgoE3EjNS0_10empty_typeEbEEZZNS1_14partition_implILS8_3ELb0ES6_jNS0_17counting_iteratorIjlEEPS9_SE_NS0_5tupleIJPjSE_EEENSF_IJSE_SE_EEES9_SG_JZNS1_25segmented_radix_sort_implINS0_14default_configELb0EPKbPbPKlPlN2at6native12_GLOBAL__N_18offset_tEEE10hipError_tPvRmT1_PNSt15iterator_traitsISY_E10value_typeET2_T3_PNSZ_IS14_E10value_typeET4_jRbjT5_S1A_jjP12ihipStream_tbEUljE_EEESV_SW_SX_S14_S18_S1A_T6_T7_T9_mT8_S1C_bDpT10_ENKUlT_T0_E_clISt17integral_constantIbLb0EES1O_IbLb1EEEEDaS1K_S1L_EUlS1K_E_NS1_11comp_targetILNS1_3genE5ELNS1_11target_archE942ELNS1_3gpuE9ELNS1_3repE0EEENS1_30default_config_static_selectorELNS0_4arch9wavefront6targetE0EEEvSY_
		.amdhsa_group_segment_fixed_size 0
		.amdhsa_private_segment_fixed_size 0
		.amdhsa_kernarg_size 152
		.amdhsa_user_sgpr_count 15
		.amdhsa_user_sgpr_dispatch_ptr 0
		.amdhsa_user_sgpr_queue_ptr 0
		.amdhsa_user_sgpr_kernarg_segment_ptr 1
		.amdhsa_user_sgpr_dispatch_id 0
		.amdhsa_user_sgpr_private_segment_size 0
		.amdhsa_wavefront_size32 1
		.amdhsa_uses_dynamic_stack 0
		.amdhsa_enable_private_segment 0
		.amdhsa_system_sgpr_workgroup_id_x 1
		.amdhsa_system_sgpr_workgroup_id_y 0
		.amdhsa_system_sgpr_workgroup_id_z 0
		.amdhsa_system_sgpr_workgroup_info 0
		.amdhsa_system_vgpr_workitem_id 0
		.amdhsa_next_free_vgpr 1
		.amdhsa_next_free_sgpr 1
		.amdhsa_reserve_vcc 0
		.amdhsa_float_round_mode_32 0
		.amdhsa_float_round_mode_16_64 0
		.amdhsa_float_denorm_mode_32 3
		.amdhsa_float_denorm_mode_16_64 3
		.amdhsa_dx10_clamp 1
		.amdhsa_ieee_mode 1
		.amdhsa_fp16_overflow 0
		.amdhsa_workgroup_processor_mode 1
		.amdhsa_memory_ordered 1
		.amdhsa_forward_progress 0
		.amdhsa_shared_vgpr_count 0
		.amdhsa_exception_fp_ieee_invalid_op 0
		.amdhsa_exception_fp_denorm_src 0
		.amdhsa_exception_fp_ieee_div_zero 0
		.amdhsa_exception_fp_ieee_overflow 0
		.amdhsa_exception_fp_ieee_underflow 0
		.amdhsa_exception_fp_ieee_inexact 0
		.amdhsa_exception_int_div_zero 0
	.end_amdhsa_kernel
	.section	.text._ZN7rocprim17ROCPRIM_400000_NS6detail17trampoline_kernelINS0_13select_configILj256ELj13ELNS0_17block_load_methodE3ELS4_3ELS4_3ELNS0_20block_scan_algorithmE0ELj4294967295EEENS1_25partition_config_selectorILNS1_17partition_subalgoE3EjNS0_10empty_typeEbEEZZNS1_14partition_implILS8_3ELb0ES6_jNS0_17counting_iteratorIjlEEPS9_SE_NS0_5tupleIJPjSE_EEENSF_IJSE_SE_EEES9_SG_JZNS1_25segmented_radix_sort_implINS0_14default_configELb0EPKbPbPKlPlN2at6native12_GLOBAL__N_18offset_tEEE10hipError_tPvRmT1_PNSt15iterator_traitsISY_E10value_typeET2_T3_PNSZ_IS14_E10value_typeET4_jRbjT5_S1A_jjP12ihipStream_tbEUljE_EEESV_SW_SX_S14_S18_S1A_T6_T7_T9_mT8_S1C_bDpT10_ENKUlT_T0_E_clISt17integral_constantIbLb0EES1O_IbLb1EEEEDaS1K_S1L_EUlS1K_E_NS1_11comp_targetILNS1_3genE5ELNS1_11target_archE942ELNS1_3gpuE9ELNS1_3repE0EEENS1_30default_config_static_selectorELNS0_4arch9wavefront6targetE0EEEvSY_,"axG",@progbits,_ZN7rocprim17ROCPRIM_400000_NS6detail17trampoline_kernelINS0_13select_configILj256ELj13ELNS0_17block_load_methodE3ELS4_3ELS4_3ELNS0_20block_scan_algorithmE0ELj4294967295EEENS1_25partition_config_selectorILNS1_17partition_subalgoE3EjNS0_10empty_typeEbEEZZNS1_14partition_implILS8_3ELb0ES6_jNS0_17counting_iteratorIjlEEPS9_SE_NS0_5tupleIJPjSE_EEENSF_IJSE_SE_EEES9_SG_JZNS1_25segmented_radix_sort_implINS0_14default_configELb0EPKbPbPKlPlN2at6native12_GLOBAL__N_18offset_tEEE10hipError_tPvRmT1_PNSt15iterator_traitsISY_E10value_typeET2_T3_PNSZ_IS14_E10value_typeET4_jRbjT5_S1A_jjP12ihipStream_tbEUljE_EEESV_SW_SX_S14_S18_S1A_T6_T7_T9_mT8_S1C_bDpT10_ENKUlT_T0_E_clISt17integral_constantIbLb0EES1O_IbLb1EEEEDaS1K_S1L_EUlS1K_E_NS1_11comp_targetILNS1_3genE5ELNS1_11target_archE942ELNS1_3gpuE9ELNS1_3repE0EEENS1_30default_config_static_selectorELNS0_4arch9wavefront6targetE0EEEvSY_,comdat
.Lfunc_end1628:
	.size	_ZN7rocprim17ROCPRIM_400000_NS6detail17trampoline_kernelINS0_13select_configILj256ELj13ELNS0_17block_load_methodE3ELS4_3ELS4_3ELNS0_20block_scan_algorithmE0ELj4294967295EEENS1_25partition_config_selectorILNS1_17partition_subalgoE3EjNS0_10empty_typeEbEEZZNS1_14partition_implILS8_3ELb0ES6_jNS0_17counting_iteratorIjlEEPS9_SE_NS0_5tupleIJPjSE_EEENSF_IJSE_SE_EEES9_SG_JZNS1_25segmented_radix_sort_implINS0_14default_configELb0EPKbPbPKlPlN2at6native12_GLOBAL__N_18offset_tEEE10hipError_tPvRmT1_PNSt15iterator_traitsISY_E10value_typeET2_T3_PNSZ_IS14_E10value_typeET4_jRbjT5_S1A_jjP12ihipStream_tbEUljE_EEESV_SW_SX_S14_S18_S1A_T6_T7_T9_mT8_S1C_bDpT10_ENKUlT_T0_E_clISt17integral_constantIbLb0EES1O_IbLb1EEEEDaS1K_S1L_EUlS1K_E_NS1_11comp_targetILNS1_3genE5ELNS1_11target_archE942ELNS1_3gpuE9ELNS1_3repE0EEENS1_30default_config_static_selectorELNS0_4arch9wavefront6targetE0EEEvSY_, .Lfunc_end1628-_ZN7rocprim17ROCPRIM_400000_NS6detail17trampoline_kernelINS0_13select_configILj256ELj13ELNS0_17block_load_methodE3ELS4_3ELS4_3ELNS0_20block_scan_algorithmE0ELj4294967295EEENS1_25partition_config_selectorILNS1_17partition_subalgoE3EjNS0_10empty_typeEbEEZZNS1_14partition_implILS8_3ELb0ES6_jNS0_17counting_iteratorIjlEEPS9_SE_NS0_5tupleIJPjSE_EEENSF_IJSE_SE_EEES9_SG_JZNS1_25segmented_radix_sort_implINS0_14default_configELb0EPKbPbPKlPlN2at6native12_GLOBAL__N_18offset_tEEE10hipError_tPvRmT1_PNSt15iterator_traitsISY_E10value_typeET2_T3_PNSZ_IS14_E10value_typeET4_jRbjT5_S1A_jjP12ihipStream_tbEUljE_EEESV_SW_SX_S14_S18_S1A_T6_T7_T9_mT8_S1C_bDpT10_ENKUlT_T0_E_clISt17integral_constantIbLb0EES1O_IbLb1EEEEDaS1K_S1L_EUlS1K_E_NS1_11comp_targetILNS1_3genE5ELNS1_11target_archE942ELNS1_3gpuE9ELNS1_3repE0EEENS1_30default_config_static_selectorELNS0_4arch9wavefront6targetE0EEEvSY_
                                        ; -- End function
	.section	.AMDGPU.csdata,"",@progbits
; Kernel info:
; codeLenInByte = 0
; NumSgprs: 0
; NumVgprs: 0
; ScratchSize: 0
; MemoryBound: 0
; FloatMode: 240
; IeeeMode: 1
; LDSByteSize: 0 bytes/workgroup (compile time only)
; SGPRBlocks: 0
; VGPRBlocks: 0
; NumSGPRsForWavesPerEU: 1
; NumVGPRsForWavesPerEU: 1
; Occupancy: 16
; WaveLimiterHint : 0
; COMPUTE_PGM_RSRC2:SCRATCH_EN: 0
; COMPUTE_PGM_RSRC2:USER_SGPR: 15
; COMPUTE_PGM_RSRC2:TRAP_HANDLER: 0
; COMPUTE_PGM_RSRC2:TGID_X_EN: 1
; COMPUTE_PGM_RSRC2:TGID_Y_EN: 0
; COMPUTE_PGM_RSRC2:TGID_Z_EN: 0
; COMPUTE_PGM_RSRC2:TIDIG_COMP_CNT: 0
	.section	.text._ZN7rocprim17ROCPRIM_400000_NS6detail17trampoline_kernelINS0_13select_configILj256ELj13ELNS0_17block_load_methodE3ELS4_3ELS4_3ELNS0_20block_scan_algorithmE0ELj4294967295EEENS1_25partition_config_selectorILNS1_17partition_subalgoE3EjNS0_10empty_typeEbEEZZNS1_14partition_implILS8_3ELb0ES6_jNS0_17counting_iteratorIjlEEPS9_SE_NS0_5tupleIJPjSE_EEENSF_IJSE_SE_EEES9_SG_JZNS1_25segmented_radix_sort_implINS0_14default_configELb0EPKbPbPKlPlN2at6native12_GLOBAL__N_18offset_tEEE10hipError_tPvRmT1_PNSt15iterator_traitsISY_E10value_typeET2_T3_PNSZ_IS14_E10value_typeET4_jRbjT5_S1A_jjP12ihipStream_tbEUljE_EEESV_SW_SX_S14_S18_S1A_T6_T7_T9_mT8_S1C_bDpT10_ENKUlT_T0_E_clISt17integral_constantIbLb0EES1O_IbLb1EEEEDaS1K_S1L_EUlS1K_E_NS1_11comp_targetILNS1_3genE4ELNS1_11target_archE910ELNS1_3gpuE8ELNS1_3repE0EEENS1_30default_config_static_selectorELNS0_4arch9wavefront6targetE0EEEvSY_,"axG",@progbits,_ZN7rocprim17ROCPRIM_400000_NS6detail17trampoline_kernelINS0_13select_configILj256ELj13ELNS0_17block_load_methodE3ELS4_3ELS4_3ELNS0_20block_scan_algorithmE0ELj4294967295EEENS1_25partition_config_selectorILNS1_17partition_subalgoE3EjNS0_10empty_typeEbEEZZNS1_14partition_implILS8_3ELb0ES6_jNS0_17counting_iteratorIjlEEPS9_SE_NS0_5tupleIJPjSE_EEENSF_IJSE_SE_EEES9_SG_JZNS1_25segmented_radix_sort_implINS0_14default_configELb0EPKbPbPKlPlN2at6native12_GLOBAL__N_18offset_tEEE10hipError_tPvRmT1_PNSt15iterator_traitsISY_E10value_typeET2_T3_PNSZ_IS14_E10value_typeET4_jRbjT5_S1A_jjP12ihipStream_tbEUljE_EEESV_SW_SX_S14_S18_S1A_T6_T7_T9_mT8_S1C_bDpT10_ENKUlT_T0_E_clISt17integral_constantIbLb0EES1O_IbLb1EEEEDaS1K_S1L_EUlS1K_E_NS1_11comp_targetILNS1_3genE4ELNS1_11target_archE910ELNS1_3gpuE8ELNS1_3repE0EEENS1_30default_config_static_selectorELNS0_4arch9wavefront6targetE0EEEvSY_,comdat
	.globl	_ZN7rocprim17ROCPRIM_400000_NS6detail17trampoline_kernelINS0_13select_configILj256ELj13ELNS0_17block_load_methodE3ELS4_3ELS4_3ELNS0_20block_scan_algorithmE0ELj4294967295EEENS1_25partition_config_selectorILNS1_17partition_subalgoE3EjNS0_10empty_typeEbEEZZNS1_14partition_implILS8_3ELb0ES6_jNS0_17counting_iteratorIjlEEPS9_SE_NS0_5tupleIJPjSE_EEENSF_IJSE_SE_EEES9_SG_JZNS1_25segmented_radix_sort_implINS0_14default_configELb0EPKbPbPKlPlN2at6native12_GLOBAL__N_18offset_tEEE10hipError_tPvRmT1_PNSt15iterator_traitsISY_E10value_typeET2_T3_PNSZ_IS14_E10value_typeET4_jRbjT5_S1A_jjP12ihipStream_tbEUljE_EEESV_SW_SX_S14_S18_S1A_T6_T7_T9_mT8_S1C_bDpT10_ENKUlT_T0_E_clISt17integral_constantIbLb0EES1O_IbLb1EEEEDaS1K_S1L_EUlS1K_E_NS1_11comp_targetILNS1_3genE4ELNS1_11target_archE910ELNS1_3gpuE8ELNS1_3repE0EEENS1_30default_config_static_selectorELNS0_4arch9wavefront6targetE0EEEvSY_ ; -- Begin function _ZN7rocprim17ROCPRIM_400000_NS6detail17trampoline_kernelINS0_13select_configILj256ELj13ELNS0_17block_load_methodE3ELS4_3ELS4_3ELNS0_20block_scan_algorithmE0ELj4294967295EEENS1_25partition_config_selectorILNS1_17partition_subalgoE3EjNS0_10empty_typeEbEEZZNS1_14partition_implILS8_3ELb0ES6_jNS0_17counting_iteratorIjlEEPS9_SE_NS0_5tupleIJPjSE_EEENSF_IJSE_SE_EEES9_SG_JZNS1_25segmented_radix_sort_implINS0_14default_configELb0EPKbPbPKlPlN2at6native12_GLOBAL__N_18offset_tEEE10hipError_tPvRmT1_PNSt15iterator_traitsISY_E10value_typeET2_T3_PNSZ_IS14_E10value_typeET4_jRbjT5_S1A_jjP12ihipStream_tbEUljE_EEESV_SW_SX_S14_S18_S1A_T6_T7_T9_mT8_S1C_bDpT10_ENKUlT_T0_E_clISt17integral_constantIbLb0EES1O_IbLb1EEEEDaS1K_S1L_EUlS1K_E_NS1_11comp_targetILNS1_3genE4ELNS1_11target_archE910ELNS1_3gpuE8ELNS1_3repE0EEENS1_30default_config_static_selectorELNS0_4arch9wavefront6targetE0EEEvSY_
	.p2align	8
	.type	_ZN7rocprim17ROCPRIM_400000_NS6detail17trampoline_kernelINS0_13select_configILj256ELj13ELNS0_17block_load_methodE3ELS4_3ELS4_3ELNS0_20block_scan_algorithmE0ELj4294967295EEENS1_25partition_config_selectorILNS1_17partition_subalgoE3EjNS0_10empty_typeEbEEZZNS1_14partition_implILS8_3ELb0ES6_jNS0_17counting_iteratorIjlEEPS9_SE_NS0_5tupleIJPjSE_EEENSF_IJSE_SE_EEES9_SG_JZNS1_25segmented_radix_sort_implINS0_14default_configELb0EPKbPbPKlPlN2at6native12_GLOBAL__N_18offset_tEEE10hipError_tPvRmT1_PNSt15iterator_traitsISY_E10value_typeET2_T3_PNSZ_IS14_E10value_typeET4_jRbjT5_S1A_jjP12ihipStream_tbEUljE_EEESV_SW_SX_S14_S18_S1A_T6_T7_T9_mT8_S1C_bDpT10_ENKUlT_T0_E_clISt17integral_constantIbLb0EES1O_IbLb1EEEEDaS1K_S1L_EUlS1K_E_NS1_11comp_targetILNS1_3genE4ELNS1_11target_archE910ELNS1_3gpuE8ELNS1_3repE0EEENS1_30default_config_static_selectorELNS0_4arch9wavefront6targetE0EEEvSY_,@function
_ZN7rocprim17ROCPRIM_400000_NS6detail17trampoline_kernelINS0_13select_configILj256ELj13ELNS0_17block_load_methodE3ELS4_3ELS4_3ELNS0_20block_scan_algorithmE0ELj4294967295EEENS1_25partition_config_selectorILNS1_17partition_subalgoE3EjNS0_10empty_typeEbEEZZNS1_14partition_implILS8_3ELb0ES6_jNS0_17counting_iteratorIjlEEPS9_SE_NS0_5tupleIJPjSE_EEENSF_IJSE_SE_EEES9_SG_JZNS1_25segmented_radix_sort_implINS0_14default_configELb0EPKbPbPKlPlN2at6native12_GLOBAL__N_18offset_tEEE10hipError_tPvRmT1_PNSt15iterator_traitsISY_E10value_typeET2_T3_PNSZ_IS14_E10value_typeET4_jRbjT5_S1A_jjP12ihipStream_tbEUljE_EEESV_SW_SX_S14_S18_S1A_T6_T7_T9_mT8_S1C_bDpT10_ENKUlT_T0_E_clISt17integral_constantIbLb0EES1O_IbLb1EEEEDaS1K_S1L_EUlS1K_E_NS1_11comp_targetILNS1_3genE4ELNS1_11target_archE910ELNS1_3gpuE8ELNS1_3repE0EEENS1_30default_config_static_selectorELNS0_4arch9wavefront6targetE0EEEvSY_: ; @_ZN7rocprim17ROCPRIM_400000_NS6detail17trampoline_kernelINS0_13select_configILj256ELj13ELNS0_17block_load_methodE3ELS4_3ELS4_3ELNS0_20block_scan_algorithmE0ELj4294967295EEENS1_25partition_config_selectorILNS1_17partition_subalgoE3EjNS0_10empty_typeEbEEZZNS1_14partition_implILS8_3ELb0ES6_jNS0_17counting_iteratorIjlEEPS9_SE_NS0_5tupleIJPjSE_EEENSF_IJSE_SE_EEES9_SG_JZNS1_25segmented_radix_sort_implINS0_14default_configELb0EPKbPbPKlPlN2at6native12_GLOBAL__N_18offset_tEEE10hipError_tPvRmT1_PNSt15iterator_traitsISY_E10value_typeET2_T3_PNSZ_IS14_E10value_typeET4_jRbjT5_S1A_jjP12ihipStream_tbEUljE_EEESV_SW_SX_S14_S18_S1A_T6_T7_T9_mT8_S1C_bDpT10_ENKUlT_T0_E_clISt17integral_constantIbLb0EES1O_IbLb1EEEEDaS1K_S1L_EUlS1K_E_NS1_11comp_targetILNS1_3genE4ELNS1_11target_archE910ELNS1_3gpuE8ELNS1_3repE0EEENS1_30default_config_static_selectorELNS0_4arch9wavefront6targetE0EEEvSY_
; %bb.0:
	.section	.rodata,"a",@progbits
	.p2align	6, 0x0
	.amdhsa_kernel _ZN7rocprim17ROCPRIM_400000_NS6detail17trampoline_kernelINS0_13select_configILj256ELj13ELNS0_17block_load_methodE3ELS4_3ELS4_3ELNS0_20block_scan_algorithmE0ELj4294967295EEENS1_25partition_config_selectorILNS1_17partition_subalgoE3EjNS0_10empty_typeEbEEZZNS1_14partition_implILS8_3ELb0ES6_jNS0_17counting_iteratorIjlEEPS9_SE_NS0_5tupleIJPjSE_EEENSF_IJSE_SE_EEES9_SG_JZNS1_25segmented_radix_sort_implINS0_14default_configELb0EPKbPbPKlPlN2at6native12_GLOBAL__N_18offset_tEEE10hipError_tPvRmT1_PNSt15iterator_traitsISY_E10value_typeET2_T3_PNSZ_IS14_E10value_typeET4_jRbjT5_S1A_jjP12ihipStream_tbEUljE_EEESV_SW_SX_S14_S18_S1A_T6_T7_T9_mT8_S1C_bDpT10_ENKUlT_T0_E_clISt17integral_constantIbLb0EES1O_IbLb1EEEEDaS1K_S1L_EUlS1K_E_NS1_11comp_targetILNS1_3genE4ELNS1_11target_archE910ELNS1_3gpuE8ELNS1_3repE0EEENS1_30default_config_static_selectorELNS0_4arch9wavefront6targetE0EEEvSY_
		.amdhsa_group_segment_fixed_size 0
		.amdhsa_private_segment_fixed_size 0
		.amdhsa_kernarg_size 152
		.amdhsa_user_sgpr_count 15
		.amdhsa_user_sgpr_dispatch_ptr 0
		.amdhsa_user_sgpr_queue_ptr 0
		.amdhsa_user_sgpr_kernarg_segment_ptr 1
		.amdhsa_user_sgpr_dispatch_id 0
		.amdhsa_user_sgpr_private_segment_size 0
		.amdhsa_wavefront_size32 1
		.amdhsa_uses_dynamic_stack 0
		.amdhsa_enable_private_segment 0
		.amdhsa_system_sgpr_workgroup_id_x 1
		.amdhsa_system_sgpr_workgroup_id_y 0
		.amdhsa_system_sgpr_workgroup_id_z 0
		.amdhsa_system_sgpr_workgroup_info 0
		.amdhsa_system_vgpr_workitem_id 0
		.amdhsa_next_free_vgpr 1
		.amdhsa_next_free_sgpr 1
		.amdhsa_reserve_vcc 0
		.amdhsa_float_round_mode_32 0
		.amdhsa_float_round_mode_16_64 0
		.amdhsa_float_denorm_mode_32 3
		.amdhsa_float_denorm_mode_16_64 3
		.amdhsa_dx10_clamp 1
		.amdhsa_ieee_mode 1
		.amdhsa_fp16_overflow 0
		.amdhsa_workgroup_processor_mode 1
		.amdhsa_memory_ordered 1
		.amdhsa_forward_progress 0
		.amdhsa_shared_vgpr_count 0
		.amdhsa_exception_fp_ieee_invalid_op 0
		.amdhsa_exception_fp_denorm_src 0
		.amdhsa_exception_fp_ieee_div_zero 0
		.amdhsa_exception_fp_ieee_overflow 0
		.amdhsa_exception_fp_ieee_underflow 0
		.amdhsa_exception_fp_ieee_inexact 0
		.amdhsa_exception_int_div_zero 0
	.end_amdhsa_kernel
	.section	.text._ZN7rocprim17ROCPRIM_400000_NS6detail17trampoline_kernelINS0_13select_configILj256ELj13ELNS0_17block_load_methodE3ELS4_3ELS4_3ELNS0_20block_scan_algorithmE0ELj4294967295EEENS1_25partition_config_selectorILNS1_17partition_subalgoE3EjNS0_10empty_typeEbEEZZNS1_14partition_implILS8_3ELb0ES6_jNS0_17counting_iteratorIjlEEPS9_SE_NS0_5tupleIJPjSE_EEENSF_IJSE_SE_EEES9_SG_JZNS1_25segmented_radix_sort_implINS0_14default_configELb0EPKbPbPKlPlN2at6native12_GLOBAL__N_18offset_tEEE10hipError_tPvRmT1_PNSt15iterator_traitsISY_E10value_typeET2_T3_PNSZ_IS14_E10value_typeET4_jRbjT5_S1A_jjP12ihipStream_tbEUljE_EEESV_SW_SX_S14_S18_S1A_T6_T7_T9_mT8_S1C_bDpT10_ENKUlT_T0_E_clISt17integral_constantIbLb0EES1O_IbLb1EEEEDaS1K_S1L_EUlS1K_E_NS1_11comp_targetILNS1_3genE4ELNS1_11target_archE910ELNS1_3gpuE8ELNS1_3repE0EEENS1_30default_config_static_selectorELNS0_4arch9wavefront6targetE0EEEvSY_,"axG",@progbits,_ZN7rocprim17ROCPRIM_400000_NS6detail17trampoline_kernelINS0_13select_configILj256ELj13ELNS0_17block_load_methodE3ELS4_3ELS4_3ELNS0_20block_scan_algorithmE0ELj4294967295EEENS1_25partition_config_selectorILNS1_17partition_subalgoE3EjNS0_10empty_typeEbEEZZNS1_14partition_implILS8_3ELb0ES6_jNS0_17counting_iteratorIjlEEPS9_SE_NS0_5tupleIJPjSE_EEENSF_IJSE_SE_EEES9_SG_JZNS1_25segmented_radix_sort_implINS0_14default_configELb0EPKbPbPKlPlN2at6native12_GLOBAL__N_18offset_tEEE10hipError_tPvRmT1_PNSt15iterator_traitsISY_E10value_typeET2_T3_PNSZ_IS14_E10value_typeET4_jRbjT5_S1A_jjP12ihipStream_tbEUljE_EEESV_SW_SX_S14_S18_S1A_T6_T7_T9_mT8_S1C_bDpT10_ENKUlT_T0_E_clISt17integral_constantIbLb0EES1O_IbLb1EEEEDaS1K_S1L_EUlS1K_E_NS1_11comp_targetILNS1_3genE4ELNS1_11target_archE910ELNS1_3gpuE8ELNS1_3repE0EEENS1_30default_config_static_selectorELNS0_4arch9wavefront6targetE0EEEvSY_,comdat
.Lfunc_end1629:
	.size	_ZN7rocprim17ROCPRIM_400000_NS6detail17trampoline_kernelINS0_13select_configILj256ELj13ELNS0_17block_load_methodE3ELS4_3ELS4_3ELNS0_20block_scan_algorithmE0ELj4294967295EEENS1_25partition_config_selectorILNS1_17partition_subalgoE3EjNS0_10empty_typeEbEEZZNS1_14partition_implILS8_3ELb0ES6_jNS0_17counting_iteratorIjlEEPS9_SE_NS0_5tupleIJPjSE_EEENSF_IJSE_SE_EEES9_SG_JZNS1_25segmented_radix_sort_implINS0_14default_configELb0EPKbPbPKlPlN2at6native12_GLOBAL__N_18offset_tEEE10hipError_tPvRmT1_PNSt15iterator_traitsISY_E10value_typeET2_T3_PNSZ_IS14_E10value_typeET4_jRbjT5_S1A_jjP12ihipStream_tbEUljE_EEESV_SW_SX_S14_S18_S1A_T6_T7_T9_mT8_S1C_bDpT10_ENKUlT_T0_E_clISt17integral_constantIbLb0EES1O_IbLb1EEEEDaS1K_S1L_EUlS1K_E_NS1_11comp_targetILNS1_3genE4ELNS1_11target_archE910ELNS1_3gpuE8ELNS1_3repE0EEENS1_30default_config_static_selectorELNS0_4arch9wavefront6targetE0EEEvSY_, .Lfunc_end1629-_ZN7rocprim17ROCPRIM_400000_NS6detail17trampoline_kernelINS0_13select_configILj256ELj13ELNS0_17block_load_methodE3ELS4_3ELS4_3ELNS0_20block_scan_algorithmE0ELj4294967295EEENS1_25partition_config_selectorILNS1_17partition_subalgoE3EjNS0_10empty_typeEbEEZZNS1_14partition_implILS8_3ELb0ES6_jNS0_17counting_iteratorIjlEEPS9_SE_NS0_5tupleIJPjSE_EEENSF_IJSE_SE_EEES9_SG_JZNS1_25segmented_radix_sort_implINS0_14default_configELb0EPKbPbPKlPlN2at6native12_GLOBAL__N_18offset_tEEE10hipError_tPvRmT1_PNSt15iterator_traitsISY_E10value_typeET2_T3_PNSZ_IS14_E10value_typeET4_jRbjT5_S1A_jjP12ihipStream_tbEUljE_EEESV_SW_SX_S14_S18_S1A_T6_T7_T9_mT8_S1C_bDpT10_ENKUlT_T0_E_clISt17integral_constantIbLb0EES1O_IbLb1EEEEDaS1K_S1L_EUlS1K_E_NS1_11comp_targetILNS1_3genE4ELNS1_11target_archE910ELNS1_3gpuE8ELNS1_3repE0EEENS1_30default_config_static_selectorELNS0_4arch9wavefront6targetE0EEEvSY_
                                        ; -- End function
	.section	.AMDGPU.csdata,"",@progbits
; Kernel info:
; codeLenInByte = 0
; NumSgprs: 0
; NumVgprs: 0
; ScratchSize: 0
; MemoryBound: 0
; FloatMode: 240
; IeeeMode: 1
; LDSByteSize: 0 bytes/workgroup (compile time only)
; SGPRBlocks: 0
; VGPRBlocks: 0
; NumSGPRsForWavesPerEU: 1
; NumVGPRsForWavesPerEU: 1
; Occupancy: 16
; WaveLimiterHint : 0
; COMPUTE_PGM_RSRC2:SCRATCH_EN: 0
; COMPUTE_PGM_RSRC2:USER_SGPR: 15
; COMPUTE_PGM_RSRC2:TRAP_HANDLER: 0
; COMPUTE_PGM_RSRC2:TGID_X_EN: 1
; COMPUTE_PGM_RSRC2:TGID_Y_EN: 0
; COMPUTE_PGM_RSRC2:TGID_Z_EN: 0
; COMPUTE_PGM_RSRC2:TIDIG_COMP_CNT: 0
	.section	.text._ZN7rocprim17ROCPRIM_400000_NS6detail17trampoline_kernelINS0_13select_configILj256ELj13ELNS0_17block_load_methodE3ELS4_3ELS4_3ELNS0_20block_scan_algorithmE0ELj4294967295EEENS1_25partition_config_selectorILNS1_17partition_subalgoE3EjNS0_10empty_typeEbEEZZNS1_14partition_implILS8_3ELb0ES6_jNS0_17counting_iteratorIjlEEPS9_SE_NS0_5tupleIJPjSE_EEENSF_IJSE_SE_EEES9_SG_JZNS1_25segmented_radix_sort_implINS0_14default_configELb0EPKbPbPKlPlN2at6native12_GLOBAL__N_18offset_tEEE10hipError_tPvRmT1_PNSt15iterator_traitsISY_E10value_typeET2_T3_PNSZ_IS14_E10value_typeET4_jRbjT5_S1A_jjP12ihipStream_tbEUljE_EEESV_SW_SX_S14_S18_S1A_T6_T7_T9_mT8_S1C_bDpT10_ENKUlT_T0_E_clISt17integral_constantIbLb0EES1O_IbLb1EEEEDaS1K_S1L_EUlS1K_E_NS1_11comp_targetILNS1_3genE3ELNS1_11target_archE908ELNS1_3gpuE7ELNS1_3repE0EEENS1_30default_config_static_selectorELNS0_4arch9wavefront6targetE0EEEvSY_,"axG",@progbits,_ZN7rocprim17ROCPRIM_400000_NS6detail17trampoline_kernelINS0_13select_configILj256ELj13ELNS0_17block_load_methodE3ELS4_3ELS4_3ELNS0_20block_scan_algorithmE0ELj4294967295EEENS1_25partition_config_selectorILNS1_17partition_subalgoE3EjNS0_10empty_typeEbEEZZNS1_14partition_implILS8_3ELb0ES6_jNS0_17counting_iteratorIjlEEPS9_SE_NS0_5tupleIJPjSE_EEENSF_IJSE_SE_EEES9_SG_JZNS1_25segmented_radix_sort_implINS0_14default_configELb0EPKbPbPKlPlN2at6native12_GLOBAL__N_18offset_tEEE10hipError_tPvRmT1_PNSt15iterator_traitsISY_E10value_typeET2_T3_PNSZ_IS14_E10value_typeET4_jRbjT5_S1A_jjP12ihipStream_tbEUljE_EEESV_SW_SX_S14_S18_S1A_T6_T7_T9_mT8_S1C_bDpT10_ENKUlT_T0_E_clISt17integral_constantIbLb0EES1O_IbLb1EEEEDaS1K_S1L_EUlS1K_E_NS1_11comp_targetILNS1_3genE3ELNS1_11target_archE908ELNS1_3gpuE7ELNS1_3repE0EEENS1_30default_config_static_selectorELNS0_4arch9wavefront6targetE0EEEvSY_,comdat
	.globl	_ZN7rocprim17ROCPRIM_400000_NS6detail17trampoline_kernelINS0_13select_configILj256ELj13ELNS0_17block_load_methodE3ELS4_3ELS4_3ELNS0_20block_scan_algorithmE0ELj4294967295EEENS1_25partition_config_selectorILNS1_17partition_subalgoE3EjNS0_10empty_typeEbEEZZNS1_14partition_implILS8_3ELb0ES6_jNS0_17counting_iteratorIjlEEPS9_SE_NS0_5tupleIJPjSE_EEENSF_IJSE_SE_EEES9_SG_JZNS1_25segmented_radix_sort_implINS0_14default_configELb0EPKbPbPKlPlN2at6native12_GLOBAL__N_18offset_tEEE10hipError_tPvRmT1_PNSt15iterator_traitsISY_E10value_typeET2_T3_PNSZ_IS14_E10value_typeET4_jRbjT5_S1A_jjP12ihipStream_tbEUljE_EEESV_SW_SX_S14_S18_S1A_T6_T7_T9_mT8_S1C_bDpT10_ENKUlT_T0_E_clISt17integral_constantIbLb0EES1O_IbLb1EEEEDaS1K_S1L_EUlS1K_E_NS1_11comp_targetILNS1_3genE3ELNS1_11target_archE908ELNS1_3gpuE7ELNS1_3repE0EEENS1_30default_config_static_selectorELNS0_4arch9wavefront6targetE0EEEvSY_ ; -- Begin function _ZN7rocprim17ROCPRIM_400000_NS6detail17trampoline_kernelINS0_13select_configILj256ELj13ELNS0_17block_load_methodE3ELS4_3ELS4_3ELNS0_20block_scan_algorithmE0ELj4294967295EEENS1_25partition_config_selectorILNS1_17partition_subalgoE3EjNS0_10empty_typeEbEEZZNS1_14partition_implILS8_3ELb0ES6_jNS0_17counting_iteratorIjlEEPS9_SE_NS0_5tupleIJPjSE_EEENSF_IJSE_SE_EEES9_SG_JZNS1_25segmented_radix_sort_implINS0_14default_configELb0EPKbPbPKlPlN2at6native12_GLOBAL__N_18offset_tEEE10hipError_tPvRmT1_PNSt15iterator_traitsISY_E10value_typeET2_T3_PNSZ_IS14_E10value_typeET4_jRbjT5_S1A_jjP12ihipStream_tbEUljE_EEESV_SW_SX_S14_S18_S1A_T6_T7_T9_mT8_S1C_bDpT10_ENKUlT_T0_E_clISt17integral_constantIbLb0EES1O_IbLb1EEEEDaS1K_S1L_EUlS1K_E_NS1_11comp_targetILNS1_3genE3ELNS1_11target_archE908ELNS1_3gpuE7ELNS1_3repE0EEENS1_30default_config_static_selectorELNS0_4arch9wavefront6targetE0EEEvSY_
	.p2align	8
	.type	_ZN7rocprim17ROCPRIM_400000_NS6detail17trampoline_kernelINS0_13select_configILj256ELj13ELNS0_17block_load_methodE3ELS4_3ELS4_3ELNS0_20block_scan_algorithmE0ELj4294967295EEENS1_25partition_config_selectorILNS1_17partition_subalgoE3EjNS0_10empty_typeEbEEZZNS1_14partition_implILS8_3ELb0ES6_jNS0_17counting_iteratorIjlEEPS9_SE_NS0_5tupleIJPjSE_EEENSF_IJSE_SE_EEES9_SG_JZNS1_25segmented_radix_sort_implINS0_14default_configELb0EPKbPbPKlPlN2at6native12_GLOBAL__N_18offset_tEEE10hipError_tPvRmT1_PNSt15iterator_traitsISY_E10value_typeET2_T3_PNSZ_IS14_E10value_typeET4_jRbjT5_S1A_jjP12ihipStream_tbEUljE_EEESV_SW_SX_S14_S18_S1A_T6_T7_T9_mT8_S1C_bDpT10_ENKUlT_T0_E_clISt17integral_constantIbLb0EES1O_IbLb1EEEEDaS1K_S1L_EUlS1K_E_NS1_11comp_targetILNS1_3genE3ELNS1_11target_archE908ELNS1_3gpuE7ELNS1_3repE0EEENS1_30default_config_static_selectorELNS0_4arch9wavefront6targetE0EEEvSY_,@function
_ZN7rocprim17ROCPRIM_400000_NS6detail17trampoline_kernelINS0_13select_configILj256ELj13ELNS0_17block_load_methodE3ELS4_3ELS4_3ELNS0_20block_scan_algorithmE0ELj4294967295EEENS1_25partition_config_selectorILNS1_17partition_subalgoE3EjNS0_10empty_typeEbEEZZNS1_14partition_implILS8_3ELb0ES6_jNS0_17counting_iteratorIjlEEPS9_SE_NS0_5tupleIJPjSE_EEENSF_IJSE_SE_EEES9_SG_JZNS1_25segmented_radix_sort_implINS0_14default_configELb0EPKbPbPKlPlN2at6native12_GLOBAL__N_18offset_tEEE10hipError_tPvRmT1_PNSt15iterator_traitsISY_E10value_typeET2_T3_PNSZ_IS14_E10value_typeET4_jRbjT5_S1A_jjP12ihipStream_tbEUljE_EEESV_SW_SX_S14_S18_S1A_T6_T7_T9_mT8_S1C_bDpT10_ENKUlT_T0_E_clISt17integral_constantIbLb0EES1O_IbLb1EEEEDaS1K_S1L_EUlS1K_E_NS1_11comp_targetILNS1_3genE3ELNS1_11target_archE908ELNS1_3gpuE7ELNS1_3repE0EEENS1_30default_config_static_selectorELNS0_4arch9wavefront6targetE0EEEvSY_: ; @_ZN7rocprim17ROCPRIM_400000_NS6detail17trampoline_kernelINS0_13select_configILj256ELj13ELNS0_17block_load_methodE3ELS4_3ELS4_3ELNS0_20block_scan_algorithmE0ELj4294967295EEENS1_25partition_config_selectorILNS1_17partition_subalgoE3EjNS0_10empty_typeEbEEZZNS1_14partition_implILS8_3ELb0ES6_jNS0_17counting_iteratorIjlEEPS9_SE_NS0_5tupleIJPjSE_EEENSF_IJSE_SE_EEES9_SG_JZNS1_25segmented_radix_sort_implINS0_14default_configELb0EPKbPbPKlPlN2at6native12_GLOBAL__N_18offset_tEEE10hipError_tPvRmT1_PNSt15iterator_traitsISY_E10value_typeET2_T3_PNSZ_IS14_E10value_typeET4_jRbjT5_S1A_jjP12ihipStream_tbEUljE_EEESV_SW_SX_S14_S18_S1A_T6_T7_T9_mT8_S1C_bDpT10_ENKUlT_T0_E_clISt17integral_constantIbLb0EES1O_IbLb1EEEEDaS1K_S1L_EUlS1K_E_NS1_11comp_targetILNS1_3genE3ELNS1_11target_archE908ELNS1_3gpuE7ELNS1_3repE0EEENS1_30default_config_static_selectorELNS0_4arch9wavefront6targetE0EEEvSY_
; %bb.0:
	.section	.rodata,"a",@progbits
	.p2align	6, 0x0
	.amdhsa_kernel _ZN7rocprim17ROCPRIM_400000_NS6detail17trampoline_kernelINS0_13select_configILj256ELj13ELNS0_17block_load_methodE3ELS4_3ELS4_3ELNS0_20block_scan_algorithmE0ELj4294967295EEENS1_25partition_config_selectorILNS1_17partition_subalgoE3EjNS0_10empty_typeEbEEZZNS1_14partition_implILS8_3ELb0ES6_jNS0_17counting_iteratorIjlEEPS9_SE_NS0_5tupleIJPjSE_EEENSF_IJSE_SE_EEES9_SG_JZNS1_25segmented_radix_sort_implINS0_14default_configELb0EPKbPbPKlPlN2at6native12_GLOBAL__N_18offset_tEEE10hipError_tPvRmT1_PNSt15iterator_traitsISY_E10value_typeET2_T3_PNSZ_IS14_E10value_typeET4_jRbjT5_S1A_jjP12ihipStream_tbEUljE_EEESV_SW_SX_S14_S18_S1A_T6_T7_T9_mT8_S1C_bDpT10_ENKUlT_T0_E_clISt17integral_constantIbLb0EES1O_IbLb1EEEEDaS1K_S1L_EUlS1K_E_NS1_11comp_targetILNS1_3genE3ELNS1_11target_archE908ELNS1_3gpuE7ELNS1_3repE0EEENS1_30default_config_static_selectorELNS0_4arch9wavefront6targetE0EEEvSY_
		.amdhsa_group_segment_fixed_size 0
		.amdhsa_private_segment_fixed_size 0
		.amdhsa_kernarg_size 152
		.amdhsa_user_sgpr_count 15
		.amdhsa_user_sgpr_dispatch_ptr 0
		.amdhsa_user_sgpr_queue_ptr 0
		.amdhsa_user_sgpr_kernarg_segment_ptr 1
		.amdhsa_user_sgpr_dispatch_id 0
		.amdhsa_user_sgpr_private_segment_size 0
		.amdhsa_wavefront_size32 1
		.amdhsa_uses_dynamic_stack 0
		.amdhsa_enable_private_segment 0
		.amdhsa_system_sgpr_workgroup_id_x 1
		.amdhsa_system_sgpr_workgroup_id_y 0
		.amdhsa_system_sgpr_workgroup_id_z 0
		.amdhsa_system_sgpr_workgroup_info 0
		.amdhsa_system_vgpr_workitem_id 0
		.amdhsa_next_free_vgpr 1
		.amdhsa_next_free_sgpr 1
		.amdhsa_reserve_vcc 0
		.amdhsa_float_round_mode_32 0
		.amdhsa_float_round_mode_16_64 0
		.amdhsa_float_denorm_mode_32 3
		.amdhsa_float_denorm_mode_16_64 3
		.amdhsa_dx10_clamp 1
		.amdhsa_ieee_mode 1
		.amdhsa_fp16_overflow 0
		.amdhsa_workgroup_processor_mode 1
		.amdhsa_memory_ordered 1
		.amdhsa_forward_progress 0
		.amdhsa_shared_vgpr_count 0
		.amdhsa_exception_fp_ieee_invalid_op 0
		.amdhsa_exception_fp_denorm_src 0
		.amdhsa_exception_fp_ieee_div_zero 0
		.amdhsa_exception_fp_ieee_overflow 0
		.amdhsa_exception_fp_ieee_underflow 0
		.amdhsa_exception_fp_ieee_inexact 0
		.amdhsa_exception_int_div_zero 0
	.end_amdhsa_kernel
	.section	.text._ZN7rocprim17ROCPRIM_400000_NS6detail17trampoline_kernelINS0_13select_configILj256ELj13ELNS0_17block_load_methodE3ELS4_3ELS4_3ELNS0_20block_scan_algorithmE0ELj4294967295EEENS1_25partition_config_selectorILNS1_17partition_subalgoE3EjNS0_10empty_typeEbEEZZNS1_14partition_implILS8_3ELb0ES6_jNS0_17counting_iteratorIjlEEPS9_SE_NS0_5tupleIJPjSE_EEENSF_IJSE_SE_EEES9_SG_JZNS1_25segmented_radix_sort_implINS0_14default_configELb0EPKbPbPKlPlN2at6native12_GLOBAL__N_18offset_tEEE10hipError_tPvRmT1_PNSt15iterator_traitsISY_E10value_typeET2_T3_PNSZ_IS14_E10value_typeET4_jRbjT5_S1A_jjP12ihipStream_tbEUljE_EEESV_SW_SX_S14_S18_S1A_T6_T7_T9_mT8_S1C_bDpT10_ENKUlT_T0_E_clISt17integral_constantIbLb0EES1O_IbLb1EEEEDaS1K_S1L_EUlS1K_E_NS1_11comp_targetILNS1_3genE3ELNS1_11target_archE908ELNS1_3gpuE7ELNS1_3repE0EEENS1_30default_config_static_selectorELNS0_4arch9wavefront6targetE0EEEvSY_,"axG",@progbits,_ZN7rocprim17ROCPRIM_400000_NS6detail17trampoline_kernelINS0_13select_configILj256ELj13ELNS0_17block_load_methodE3ELS4_3ELS4_3ELNS0_20block_scan_algorithmE0ELj4294967295EEENS1_25partition_config_selectorILNS1_17partition_subalgoE3EjNS0_10empty_typeEbEEZZNS1_14partition_implILS8_3ELb0ES6_jNS0_17counting_iteratorIjlEEPS9_SE_NS0_5tupleIJPjSE_EEENSF_IJSE_SE_EEES9_SG_JZNS1_25segmented_radix_sort_implINS0_14default_configELb0EPKbPbPKlPlN2at6native12_GLOBAL__N_18offset_tEEE10hipError_tPvRmT1_PNSt15iterator_traitsISY_E10value_typeET2_T3_PNSZ_IS14_E10value_typeET4_jRbjT5_S1A_jjP12ihipStream_tbEUljE_EEESV_SW_SX_S14_S18_S1A_T6_T7_T9_mT8_S1C_bDpT10_ENKUlT_T0_E_clISt17integral_constantIbLb0EES1O_IbLb1EEEEDaS1K_S1L_EUlS1K_E_NS1_11comp_targetILNS1_3genE3ELNS1_11target_archE908ELNS1_3gpuE7ELNS1_3repE0EEENS1_30default_config_static_selectorELNS0_4arch9wavefront6targetE0EEEvSY_,comdat
.Lfunc_end1630:
	.size	_ZN7rocprim17ROCPRIM_400000_NS6detail17trampoline_kernelINS0_13select_configILj256ELj13ELNS0_17block_load_methodE3ELS4_3ELS4_3ELNS0_20block_scan_algorithmE0ELj4294967295EEENS1_25partition_config_selectorILNS1_17partition_subalgoE3EjNS0_10empty_typeEbEEZZNS1_14partition_implILS8_3ELb0ES6_jNS0_17counting_iteratorIjlEEPS9_SE_NS0_5tupleIJPjSE_EEENSF_IJSE_SE_EEES9_SG_JZNS1_25segmented_radix_sort_implINS0_14default_configELb0EPKbPbPKlPlN2at6native12_GLOBAL__N_18offset_tEEE10hipError_tPvRmT1_PNSt15iterator_traitsISY_E10value_typeET2_T3_PNSZ_IS14_E10value_typeET4_jRbjT5_S1A_jjP12ihipStream_tbEUljE_EEESV_SW_SX_S14_S18_S1A_T6_T7_T9_mT8_S1C_bDpT10_ENKUlT_T0_E_clISt17integral_constantIbLb0EES1O_IbLb1EEEEDaS1K_S1L_EUlS1K_E_NS1_11comp_targetILNS1_3genE3ELNS1_11target_archE908ELNS1_3gpuE7ELNS1_3repE0EEENS1_30default_config_static_selectorELNS0_4arch9wavefront6targetE0EEEvSY_, .Lfunc_end1630-_ZN7rocprim17ROCPRIM_400000_NS6detail17trampoline_kernelINS0_13select_configILj256ELj13ELNS0_17block_load_methodE3ELS4_3ELS4_3ELNS0_20block_scan_algorithmE0ELj4294967295EEENS1_25partition_config_selectorILNS1_17partition_subalgoE3EjNS0_10empty_typeEbEEZZNS1_14partition_implILS8_3ELb0ES6_jNS0_17counting_iteratorIjlEEPS9_SE_NS0_5tupleIJPjSE_EEENSF_IJSE_SE_EEES9_SG_JZNS1_25segmented_radix_sort_implINS0_14default_configELb0EPKbPbPKlPlN2at6native12_GLOBAL__N_18offset_tEEE10hipError_tPvRmT1_PNSt15iterator_traitsISY_E10value_typeET2_T3_PNSZ_IS14_E10value_typeET4_jRbjT5_S1A_jjP12ihipStream_tbEUljE_EEESV_SW_SX_S14_S18_S1A_T6_T7_T9_mT8_S1C_bDpT10_ENKUlT_T0_E_clISt17integral_constantIbLb0EES1O_IbLb1EEEEDaS1K_S1L_EUlS1K_E_NS1_11comp_targetILNS1_3genE3ELNS1_11target_archE908ELNS1_3gpuE7ELNS1_3repE0EEENS1_30default_config_static_selectorELNS0_4arch9wavefront6targetE0EEEvSY_
                                        ; -- End function
	.section	.AMDGPU.csdata,"",@progbits
; Kernel info:
; codeLenInByte = 0
; NumSgprs: 0
; NumVgprs: 0
; ScratchSize: 0
; MemoryBound: 0
; FloatMode: 240
; IeeeMode: 1
; LDSByteSize: 0 bytes/workgroup (compile time only)
; SGPRBlocks: 0
; VGPRBlocks: 0
; NumSGPRsForWavesPerEU: 1
; NumVGPRsForWavesPerEU: 1
; Occupancy: 16
; WaveLimiterHint : 0
; COMPUTE_PGM_RSRC2:SCRATCH_EN: 0
; COMPUTE_PGM_RSRC2:USER_SGPR: 15
; COMPUTE_PGM_RSRC2:TRAP_HANDLER: 0
; COMPUTE_PGM_RSRC2:TGID_X_EN: 1
; COMPUTE_PGM_RSRC2:TGID_Y_EN: 0
; COMPUTE_PGM_RSRC2:TGID_Z_EN: 0
; COMPUTE_PGM_RSRC2:TIDIG_COMP_CNT: 0
	.section	.text._ZN7rocprim17ROCPRIM_400000_NS6detail17trampoline_kernelINS0_13select_configILj256ELj13ELNS0_17block_load_methodE3ELS4_3ELS4_3ELNS0_20block_scan_algorithmE0ELj4294967295EEENS1_25partition_config_selectorILNS1_17partition_subalgoE3EjNS0_10empty_typeEbEEZZNS1_14partition_implILS8_3ELb0ES6_jNS0_17counting_iteratorIjlEEPS9_SE_NS0_5tupleIJPjSE_EEENSF_IJSE_SE_EEES9_SG_JZNS1_25segmented_radix_sort_implINS0_14default_configELb0EPKbPbPKlPlN2at6native12_GLOBAL__N_18offset_tEEE10hipError_tPvRmT1_PNSt15iterator_traitsISY_E10value_typeET2_T3_PNSZ_IS14_E10value_typeET4_jRbjT5_S1A_jjP12ihipStream_tbEUljE_EEESV_SW_SX_S14_S18_S1A_T6_T7_T9_mT8_S1C_bDpT10_ENKUlT_T0_E_clISt17integral_constantIbLb0EES1O_IbLb1EEEEDaS1K_S1L_EUlS1K_E_NS1_11comp_targetILNS1_3genE2ELNS1_11target_archE906ELNS1_3gpuE6ELNS1_3repE0EEENS1_30default_config_static_selectorELNS0_4arch9wavefront6targetE0EEEvSY_,"axG",@progbits,_ZN7rocprim17ROCPRIM_400000_NS6detail17trampoline_kernelINS0_13select_configILj256ELj13ELNS0_17block_load_methodE3ELS4_3ELS4_3ELNS0_20block_scan_algorithmE0ELj4294967295EEENS1_25partition_config_selectorILNS1_17partition_subalgoE3EjNS0_10empty_typeEbEEZZNS1_14partition_implILS8_3ELb0ES6_jNS0_17counting_iteratorIjlEEPS9_SE_NS0_5tupleIJPjSE_EEENSF_IJSE_SE_EEES9_SG_JZNS1_25segmented_radix_sort_implINS0_14default_configELb0EPKbPbPKlPlN2at6native12_GLOBAL__N_18offset_tEEE10hipError_tPvRmT1_PNSt15iterator_traitsISY_E10value_typeET2_T3_PNSZ_IS14_E10value_typeET4_jRbjT5_S1A_jjP12ihipStream_tbEUljE_EEESV_SW_SX_S14_S18_S1A_T6_T7_T9_mT8_S1C_bDpT10_ENKUlT_T0_E_clISt17integral_constantIbLb0EES1O_IbLb1EEEEDaS1K_S1L_EUlS1K_E_NS1_11comp_targetILNS1_3genE2ELNS1_11target_archE906ELNS1_3gpuE6ELNS1_3repE0EEENS1_30default_config_static_selectorELNS0_4arch9wavefront6targetE0EEEvSY_,comdat
	.globl	_ZN7rocprim17ROCPRIM_400000_NS6detail17trampoline_kernelINS0_13select_configILj256ELj13ELNS0_17block_load_methodE3ELS4_3ELS4_3ELNS0_20block_scan_algorithmE0ELj4294967295EEENS1_25partition_config_selectorILNS1_17partition_subalgoE3EjNS0_10empty_typeEbEEZZNS1_14partition_implILS8_3ELb0ES6_jNS0_17counting_iteratorIjlEEPS9_SE_NS0_5tupleIJPjSE_EEENSF_IJSE_SE_EEES9_SG_JZNS1_25segmented_radix_sort_implINS0_14default_configELb0EPKbPbPKlPlN2at6native12_GLOBAL__N_18offset_tEEE10hipError_tPvRmT1_PNSt15iterator_traitsISY_E10value_typeET2_T3_PNSZ_IS14_E10value_typeET4_jRbjT5_S1A_jjP12ihipStream_tbEUljE_EEESV_SW_SX_S14_S18_S1A_T6_T7_T9_mT8_S1C_bDpT10_ENKUlT_T0_E_clISt17integral_constantIbLb0EES1O_IbLb1EEEEDaS1K_S1L_EUlS1K_E_NS1_11comp_targetILNS1_3genE2ELNS1_11target_archE906ELNS1_3gpuE6ELNS1_3repE0EEENS1_30default_config_static_selectorELNS0_4arch9wavefront6targetE0EEEvSY_ ; -- Begin function _ZN7rocprim17ROCPRIM_400000_NS6detail17trampoline_kernelINS0_13select_configILj256ELj13ELNS0_17block_load_methodE3ELS4_3ELS4_3ELNS0_20block_scan_algorithmE0ELj4294967295EEENS1_25partition_config_selectorILNS1_17partition_subalgoE3EjNS0_10empty_typeEbEEZZNS1_14partition_implILS8_3ELb0ES6_jNS0_17counting_iteratorIjlEEPS9_SE_NS0_5tupleIJPjSE_EEENSF_IJSE_SE_EEES9_SG_JZNS1_25segmented_radix_sort_implINS0_14default_configELb0EPKbPbPKlPlN2at6native12_GLOBAL__N_18offset_tEEE10hipError_tPvRmT1_PNSt15iterator_traitsISY_E10value_typeET2_T3_PNSZ_IS14_E10value_typeET4_jRbjT5_S1A_jjP12ihipStream_tbEUljE_EEESV_SW_SX_S14_S18_S1A_T6_T7_T9_mT8_S1C_bDpT10_ENKUlT_T0_E_clISt17integral_constantIbLb0EES1O_IbLb1EEEEDaS1K_S1L_EUlS1K_E_NS1_11comp_targetILNS1_3genE2ELNS1_11target_archE906ELNS1_3gpuE6ELNS1_3repE0EEENS1_30default_config_static_selectorELNS0_4arch9wavefront6targetE0EEEvSY_
	.p2align	8
	.type	_ZN7rocprim17ROCPRIM_400000_NS6detail17trampoline_kernelINS0_13select_configILj256ELj13ELNS0_17block_load_methodE3ELS4_3ELS4_3ELNS0_20block_scan_algorithmE0ELj4294967295EEENS1_25partition_config_selectorILNS1_17partition_subalgoE3EjNS0_10empty_typeEbEEZZNS1_14partition_implILS8_3ELb0ES6_jNS0_17counting_iteratorIjlEEPS9_SE_NS0_5tupleIJPjSE_EEENSF_IJSE_SE_EEES9_SG_JZNS1_25segmented_radix_sort_implINS0_14default_configELb0EPKbPbPKlPlN2at6native12_GLOBAL__N_18offset_tEEE10hipError_tPvRmT1_PNSt15iterator_traitsISY_E10value_typeET2_T3_PNSZ_IS14_E10value_typeET4_jRbjT5_S1A_jjP12ihipStream_tbEUljE_EEESV_SW_SX_S14_S18_S1A_T6_T7_T9_mT8_S1C_bDpT10_ENKUlT_T0_E_clISt17integral_constantIbLb0EES1O_IbLb1EEEEDaS1K_S1L_EUlS1K_E_NS1_11comp_targetILNS1_3genE2ELNS1_11target_archE906ELNS1_3gpuE6ELNS1_3repE0EEENS1_30default_config_static_selectorELNS0_4arch9wavefront6targetE0EEEvSY_,@function
_ZN7rocprim17ROCPRIM_400000_NS6detail17trampoline_kernelINS0_13select_configILj256ELj13ELNS0_17block_load_methodE3ELS4_3ELS4_3ELNS0_20block_scan_algorithmE0ELj4294967295EEENS1_25partition_config_selectorILNS1_17partition_subalgoE3EjNS0_10empty_typeEbEEZZNS1_14partition_implILS8_3ELb0ES6_jNS0_17counting_iteratorIjlEEPS9_SE_NS0_5tupleIJPjSE_EEENSF_IJSE_SE_EEES9_SG_JZNS1_25segmented_radix_sort_implINS0_14default_configELb0EPKbPbPKlPlN2at6native12_GLOBAL__N_18offset_tEEE10hipError_tPvRmT1_PNSt15iterator_traitsISY_E10value_typeET2_T3_PNSZ_IS14_E10value_typeET4_jRbjT5_S1A_jjP12ihipStream_tbEUljE_EEESV_SW_SX_S14_S18_S1A_T6_T7_T9_mT8_S1C_bDpT10_ENKUlT_T0_E_clISt17integral_constantIbLb0EES1O_IbLb1EEEEDaS1K_S1L_EUlS1K_E_NS1_11comp_targetILNS1_3genE2ELNS1_11target_archE906ELNS1_3gpuE6ELNS1_3repE0EEENS1_30default_config_static_selectorELNS0_4arch9wavefront6targetE0EEEvSY_: ; @_ZN7rocprim17ROCPRIM_400000_NS6detail17trampoline_kernelINS0_13select_configILj256ELj13ELNS0_17block_load_methodE3ELS4_3ELS4_3ELNS0_20block_scan_algorithmE0ELj4294967295EEENS1_25partition_config_selectorILNS1_17partition_subalgoE3EjNS0_10empty_typeEbEEZZNS1_14partition_implILS8_3ELb0ES6_jNS0_17counting_iteratorIjlEEPS9_SE_NS0_5tupleIJPjSE_EEENSF_IJSE_SE_EEES9_SG_JZNS1_25segmented_radix_sort_implINS0_14default_configELb0EPKbPbPKlPlN2at6native12_GLOBAL__N_18offset_tEEE10hipError_tPvRmT1_PNSt15iterator_traitsISY_E10value_typeET2_T3_PNSZ_IS14_E10value_typeET4_jRbjT5_S1A_jjP12ihipStream_tbEUljE_EEESV_SW_SX_S14_S18_S1A_T6_T7_T9_mT8_S1C_bDpT10_ENKUlT_T0_E_clISt17integral_constantIbLb0EES1O_IbLb1EEEEDaS1K_S1L_EUlS1K_E_NS1_11comp_targetILNS1_3genE2ELNS1_11target_archE906ELNS1_3gpuE6ELNS1_3repE0EEENS1_30default_config_static_selectorELNS0_4arch9wavefront6targetE0EEEvSY_
; %bb.0:
	.section	.rodata,"a",@progbits
	.p2align	6, 0x0
	.amdhsa_kernel _ZN7rocprim17ROCPRIM_400000_NS6detail17trampoline_kernelINS0_13select_configILj256ELj13ELNS0_17block_load_methodE3ELS4_3ELS4_3ELNS0_20block_scan_algorithmE0ELj4294967295EEENS1_25partition_config_selectorILNS1_17partition_subalgoE3EjNS0_10empty_typeEbEEZZNS1_14partition_implILS8_3ELb0ES6_jNS0_17counting_iteratorIjlEEPS9_SE_NS0_5tupleIJPjSE_EEENSF_IJSE_SE_EEES9_SG_JZNS1_25segmented_radix_sort_implINS0_14default_configELb0EPKbPbPKlPlN2at6native12_GLOBAL__N_18offset_tEEE10hipError_tPvRmT1_PNSt15iterator_traitsISY_E10value_typeET2_T3_PNSZ_IS14_E10value_typeET4_jRbjT5_S1A_jjP12ihipStream_tbEUljE_EEESV_SW_SX_S14_S18_S1A_T6_T7_T9_mT8_S1C_bDpT10_ENKUlT_T0_E_clISt17integral_constantIbLb0EES1O_IbLb1EEEEDaS1K_S1L_EUlS1K_E_NS1_11comp_targetILNS1_3genE2ELNS1_11target_archE906ELNS1_3gpuE6ELNS1_3repE0EEENS1_30default_config_static_selectorELNS0_4arch9wavefront6targetE0EEEvSY_
		.amdhsa_group_segment_fixed_size 0
		.amdhsa_private_segment_fixed_size 0
		.amdhsa_kernarg_size 152
		.amdhsa_user_sgpr_count 15
		.amdhsa_user_sgpr_dispatch_ptr 0
		.amdhsa_user_sgpr_queue_ptr 0
		.amdhsa_user_sgpr_kernarg_segment_ptr 1
		.amdhsa_user_sgpr_dispatch_id 0
		.amdhsa_user_sgpr_private_segment_size 0
		.amdhsa_wavefront_size32 1
		.amdhsa_uses_dynamic_stack 0
		.amdhsa_enable_private_segment 0
		.amdhsa_system_sgpr_workgroup_id_x 1
		.amdhsa_system_sgpr_workgroup_id_y 0
		.amdhsa_system_sgpr_workgroup_id_z 0
		.amdhsa_system_sgpr_workgroup_info 0
		.amdhsa_system_vgpr_workitem_id 0
		.amdhsa_next_free_vgpr 1
		.amdhsa_next_free_sgpr 1
		.amdhsa_reserve_vcc 0
		.amdhsa_float_round_mode_32 0
		.amdhsa_float_round_mode_16_64 0
		.amdhsa_float_denorm_mode_32 3
		.amdhsa_float_denorm_mode_16_64 3
		.amdhsa_dx10_clamp 1
		.amdhsa_ieee_mode 1
		.amdhsa_fp16_overflow 0
		.amdhsa_workgroup_processor_mode 1
		.amdhsa_memory_ordered 1
		.amdhsa_forward_progress 0
		.amdhsa_shared_vgpr_count 0
		.amdhsa_exception_fp_ieee_invalid_op 0
		.amdhsa_exception_fp_denorm_src 0
		.amdhsa_exception_fp_ieee_div_zero 0
		.amdhsa_exception_fp_ieee_overflow 0
		.amdhsa_exception_fp_ieee_underflow 0
		.amdhsa_exception_fp_ieee_inexact 0
		.amdhsa_exception_int_div_zero 0
	.end_amdhsa_kernel
	.section	.text._ZN7rocprim17ROCPRIM_400000_NS6detail17trampoline_kernelINS0_13select_configILj256ELj13ELNS0_17block_load_methodE3ELS4_3ELS4_3ELNS0_20block_scan_algorithmE0ELj4294967295EEENS1_25partition_config_selectorILNS1_17partition_subalgoE3EjNS0_10empty_typeEbEEZZNS1_14partition_implILS8_3ELb0ES6_jNS0_17counting_iteratorIjlEEPS9_SE_NS0_5tupleIJPjSE_EEENSF_IJSE_SE_EEES9_SG_JZNS1_25segmented_radix_sort_implINS0_14default_configELb0EPKbPbPKlPlN2at6native12_GLOBAL__N_18offset_tEEE10hipError_tPvRmT1_PNSt15iterator_traitsISY_E10value_typeET2_T3_PNSZ_IS14_E10value_typeET4_jRbjT5_S1A_jjP12ihipStream_tbEUljE_EEESV_SW_SX_S14_S18_S1A_T6_T7_T9_mT8_S1C_bDpT10_ENKUlT_T0_E_clISt17integral_constantIbLb0EES1O_IbLb1EEEEDaS1K_S1L_EUlS1K_E_NS1_11comp_targetILNS1_3genE2ELNS1_11target_archE906ELNS1_3gpuE6ELNS1_3repE0EEENS1_30default_config_static_selectorELNS0_4arch9wavefront6targetE0EEEvSY_,"axG",@progbits,_ZN7rocprim17ROCPRIM_400000_NS6detail17trampoline_kernelINS0_13select_configILj256ELj13ELNS0_17block_load_methodE3ELS4_3ELS4_3ELNS0_20block_scan_algorithmE0ELj4294967295EEENS1_25partition_config_selectorILNS1_17partition_subalgoE3EjNS0_10empty_typeEbEEZZNS1_14partition_implILS8_3ELb0ES6_jNS0_17counting_iteratorIjlEEPS9_SE_NS0_5tupleIJPjSE_EEENSF_IJSE_SE_EEES9_SG_JZNS1_25segmented_radix_sort_implINS0_14default_configELb0EPKbPbPKlPlN2at6native12_GLOBAL__N_18offset_tEEE10hipError_tPvRmT1_PNSt15iterator_traitsISY_E10value_typeET2_T3_PNSZ_IS14_E10value_typeET4_jRbjT5_S1A_jjP12ihipStream_tbEUljE_EEESV_SW_SX_S14_S18_S1A_T6_T7_T9_mT8_S1C_bDpT10_ENKUlT_T0_E_clISt17integral_constantIbLb0EES1O_IbLb1EEEEDaS1K_S1L_EUlS1K_E_NS1_11comp_targetILNS1_3genE2ELNS1_11target_archE906ELNS1_3gpuE6ELNS1_3repE0EEENS1_30default_config_static_selectorELNS0_4arch9wavefront6targetE0EEEvSY_,comdat
.Lfunc_end1631:
	.size	_ZN7rocprim17ROCPRIM_400000_NS6detail17trampoline_kernelINS0_13select_configILj256ELj13ELNS0_17block_load_methodE3ELS4_3ELS4_3ELNS0_20block_scan_algorithmE0ELj4294967295EEENS1_25partition_config_selectorILNS1_17partition_subalgoE3EjNS0_10empty_typeEbEEZZNS1_14partition_implILS8_3ELb0ES6_jNS0_17counting_iteratorIjlEEPS9_SE_NS0_5tupleIJPjSE_EEENSF_IJSE_SE_EEES9_SG_JZNS1_25segmented_radix_sort_implINS0_14default_configELb0EPKbPbPKlPlN2at6native12_GLOBAL__N_18offset_tEEE10hipError_tPvRmT1_PNSt15iterator_traitsISY_E10value_typeET2_T3_PNSZ_IS14_E10value_typeET4_jRbjT5_S1A_jjP12ihipStream_tbEUljE_EEESV_SW_SX_S14_S18_S1A_T6_T7_T9_mT8_S1C_bDpT10_ENKUlT_T0_E_clISt17integral_constantIbLb0EES1O_IbLb1EEEEDaS1K_S1L_EUlS1K_E_NS1_11comp_targetILNS1_3genE2ELNS1_11target_archE906ELNS1_3gpuE6ELNS1_3repE0EEENS1_30default_config_static_selectorELNS0_4arch9wavefront6targetE0EEEvSY_, .Lfunc_end1631-_ZN7rocprim17ROCPRIM_400000_NS6detail17trampoline_kernelINS0_13select_configILj256ELj13ELNS0_17block_load_methodE3ELS4_3ELS4_3ELNS0_20block_scan_algorithmE0ELj4294967295EEENS1_25partition_config_selectorILNS1_17partition_subalgoE3EjNS0_10empty_typeEbEEZZNS1_14partition_implILS8_3ELb0ES6_jNS0_17counting_iteratorIjlEEPS9_SE_NS0_5tupleIJPjSE_EEENSF_IJSE_SE_EEES9_SG_JZNS1_25segmented_radix_sort_implINS0_14default_configELb0EPKbPbPKlPlN2at6native12_GLOBAL__N_18offset_tEEE10hipError_tPvRmT1_PNSt15iterator_traitsISY_E10value_typeET2_T3_PNSZ_IS14_E10value_typeET4_jRbjT5_S1A_jjP12ihipStream_tbEUljE_EEESV_SW_SX_S14_S18_S1A_T6_T7_T9_mT8_S1C_bDpT10_ENKUlT_T0_E_clISt17integral_constantIbLb0EES1O_IbLb1EEEEDaS1K_S1L_EUlS1K_E_NS1_11comp_targetILNS1_3genE2ELNS1_11target_archE906ELNS1_3gpuE6ELNS1_3repE0EEENS1_30default_config_static_selectorELNS0_4arch9wavefront6targetE0EEEvSY_
                                        ; -- End function
	.section	.AMDGPU.csdata,"",@progbits
; Kernel info:
; codeLenInByte = 0
; NumSgprs: 0
; NumVgprs: 0
; ScratchSize: 0
; MemoryBound: 0
; FloatMode: 240
; IeeeMode: 1
; LDSByteSize: 0 bytes/workgroup (compile time only)
; SGPRBlocks: 0
; VGPRBlocks: 0
; NumSGPRsForWavesPerEU: 1
; NumVGPRsForWavesPerEU: 1
; Occupancy: 16
; WaveLimiterHint : 0
; COMPUTE_PGM_RSRC2:SCRATCH_EN: 0
; COMPUTE_PGM_RSRC2:USER_SGPR: 15
; COMPUTE_PGM_RSRC2:TRAP_HANDLER: 0
; COMPUTE_PGM_RSRC2:TGID_X_EN: 1
; COMPUTE_PGM_RSRC2:TGID_Y_EN: 0
; COMPUTE_PGM_RSRC2:TGID_Z_EN: 0
; COMPUTE_PGM_RSRC2:TIDIG_COMP_CNT: 0
	.section	.text._ZN7rocprim17ROCPRIM_400000_NS6detail17trampoline_kernelINS0_13select_configILj256ELj13ELNS0_17block_load_methodE3ELS4_3ELS4_3ELNS0_20block_scan_algorithmE0ELj4294967295EEENS1_25partition_config_selectorILNS1_17partition_subalgoE3EjNS0_10empty_typeEbEEZZNS1_14partition_implILS8_3ELb0ES6_jNS0_17counting_iteratorIjlEEPS9_SE_NS0_5tupleIJPjSE_EEENSF_IJSE_SE_EEES9_SG_JZNS1_25segmented_radix_sort_implINS0_14default_configELb0EPKbPbPKlPlN2at6native12_GLOBAL__N_18offset_tEEE10hipError_tPvRmT1_PNSt15iterator_traitsISY_E10value_typeET2_T3_PNSZ_IS14_E10value_typeET4_jRbjT5_S1A_jjP12ihipStream_tbEUljE_EEESV_SW_SX_S14_S18_S1A_T6_T7_T9_mT8_S1C_bDpT10_ENKUlT_T0_E_clISt17integral_constantIbLb0EES1O_IbLb1EEEEDaS1K_S1L_EUlS1K_E_NS1_11comp_targetILNS1_3genE10ELNS1_11target_archE1200ELNS1_3gpuE4ELNS1_3repE0EEENS1_30default_config_static_selectorELNS0_4arch9wavefront6targetE0EEEvSY_,"axG",@progbits,_ZN7rocprim17ROCPRIM_400000_NS6detail17trampoline_kernelINS0_13select_configILj256ELj13ELNS0_17block_load_methodE3ELS4_3ELS4_3ELNS0_20block_scan_algorithmE0ELj4294967295EEENS1_25partition_config_selectorILNS1_17partition_subalgoE3EjNS0_10empty_typeEbEEZZNS1_14partition_implILS8_3ELb0ES6_jNS0_17counting_iteratorIjlEEPS9_SE_NS0_5tupleIJPjSE_EEENSF_IJSE_SE_EEES9_SG_JZNS1_25segmented_radix_sort_implINS0_14default_configELb0EPKbPbPKlPlN2at6native12_GLOBAL__N_18offset_tEEE10hipError_tPvRmT1_PNSt15iterator_traitsISY_E10value_typeET2_T3_PNSZ_IS14_E10value_typeET4_jRbjT5_S1A_jjP12ihipStream_tbEUljE_EEESV_SW_SX_S14_S18_S1A_T6_T7_T9_mT8_S1C_bDpT10_ENKUlT_T0_E_clISt17integral_constantIbLb0EES1O_IbLb1EEEEDaS1K_S1L_EUlS1K_E_NS1_11comp_targetILNS1_3genE10ELNS1_11target_archE1200ELNS1_3gpuE4ELNS1_3repE0EEENS1_30default_config_static_selectorELNS0_4arch9wavefront6targetE0EEEvSY_,comdat
	.globl	_ZN7rocprim17ROCPRIM_400000_NS6detail17trampoline_kernelINS0_13select_configILj256ELj13ELNS0_17block_load_methodE3ELS4_3ELS4_3ELNS0_20block_scan_algorithmE0ELj4294967295EEENS1_25partition_config_selectorILNS1_17partition_subalgoE3EjNS0_10empty_typeEbEEZZNS1_14partition_implILS8_3ELb0ES6_jNS0_17counting_iteratorIjlEEPS9_SE_NS0_5tupleIJPjSE_EEENSF_IJSE_SE_EEES9_SG_JZNS1_25segmented_radix_sort_implINS0_14default_configELb0EPKbPbPKlPlN2at6native12_GLOBAL__N_18offset_tEEE10hipError_tPvRmT1_PNSt15iterator_traitsISY_E10value_typeET2_T3_PNSZ_IS14_E10value_typeET4_jRbjT5_S1A_jjP12ihipStream_tbEUljE_EEESV_SW_SX_S14_S18_S1A_T6_T7_T9_mT8_S1C_bDpT10_ENKUlT_T0_E_clISt17integral_constantIbLb0EES1O_IbLb1EEEEDaS1K_S1L_EUlS1K_E_NS1_11comp_targetILNS1_3genE10ELNS1_11target_archE1200ELNS1_3gpuE4ELNS1_3repE0EEENS1_30default_config_static_selectorELNS0_4arch9wavefront6targetE0EEEvSY_ ; -- Begin function _ZN7rocprim17ROCPRIM_400000_NS6detail17trampoline_kernelINS0_13select_configILj256ELj13ELNS0_17block_load_methodE3ELS4_3ELS4_3ELNS0_20block_scan_algorithmE0ELj4294967295EEENS1_25partition_config_selectorILNS1_17partition_subalgoE3EjNS0_10empty_typeEbEEZZNS1_14partition_implILS8_3ELb0ES6_jNS0_17counting_iteratorIjlEEPS9_SE_NS0_5tupleIJPjSE_EEENSF_IJSE_SE_EEES9_SG_JZNS1_25segmented_radix_sort_implINS0_14default_configELb0EPKbPbPKlPlN2at6native12_GLOBAL__N_18offset_tEEE10hipError_tPvRmT1_PNSt15iterator_traitsISY_E10value_typeET2_T3_PNSZ_IS14_E10value_typeET4_jRbjT5_S1A_jjP12ihipStream_tbEUljE_EEESV_SW_SX_S14_S18_S1A_T6_T7_T9_mT8_S1C_bDpT10_ENKUlT_T0_E_clISt17integral_constantIbLb0EES1O_IbLb1EEEEDaS1K_S1L_EUlS1K_E_NS1_11comp_targetILNS1_3genE10ELNS1_11target_archE1200ELNS1_3gpuE4ELNS1_3repE0EEENS1_30default_config_static_selectorELNS0_4arch9wavefront6targetE0EEEvSY_
	.p2align	8
	.type	_ZN7rocprim17ROCPRIM_400000_NS6detail17trampoline_kernelINS0_13select_configILj256ELj13ELNS0_17block_load_methodE3ELS4_3ELS4_3ELNS0_20block_scan_algorithmE0ELj4294967295EEENS1_25partition_config_selectorILNS1_17partition_subalgoE3EjNS0_10empty_typeEbEEZZNS1_14partition_implILS8_3ELb0ES6_jNS0_17counting_iteratorIjlEEPS9_SE_NS0_5tupleIJPjSE_EEENSF_IJSE_SE_EEES9_SG_JZNS1_25segmented_radix_sort_implINS0_14default_configELb0EPKbPbPKlPlN2at6native12_GLOBAL__N_18offset_tEEE10hipError_tPvRmT1_PNSt15iterator_traitsISY_E10value_typeET2_T3_PNSZ_IS14_E10value_typeET4_jRbjT5_S1A_jjP12ihipStream_tbEUljE_EEESV_SW_SX_S14_S18_S1A_T6_T7_T9_mT8_S1C_bDpT10_ENKUlT_T0_E_clISt17integral_constantIbLb0EES1O_IbLb1EEEEDaS1K_S1L_EUlS1K_E_NS1_11comp_targetILNS1_3genE10ELNS1_11target_archE1200ELNS1_3gpuE4ELNS1_3repE0EEENS1_30default_config_static_selectorELNS0_4arch9wavefront6targetE0EEEvSY_,@function
_ZN7rocprim17ROCPRIM_400000_NS6detail17trampoline_kernelINS0_13select_configILj256ELj13ELNS0_17block_load_methodE3ELS4_3ELS4_3ELNS0_20block_scan_algorithmE0ELj4294967295EEENS1_25partition_config_selectorILNS1_17partition_subalgoE3EjNS0_10empty_typeEbEEZZNS1_14partition_implILS8_3ELb0ES6_jNS0_17counting_iteratorIjlEEPS9_SE_NS0_5tupleIJPjSE_EEENSF_IJSE_SE_EEES9_SG_JZNS1_25segmented_radix_sort_implINS0_14default_configELb0EPKbPbPKlPlN2at6native12_GLOBAL__N_18offset_tEEE10hipError_tPvRmT1_PNSt15iterator_traitsISY_E10value_typeET2_T3_PNSZ_IS14_E10value_typeET4_jRbjT5_S1A_jjP12ihipStream_tbEUljE_EEESV_SW_SX_S14_S18_S1A_T6_T7_T9_mT8_S1C_bDpT10_ENKUlT_T0_E_clISt17integral_constantIbLb0EES1O_IbLb1EEEEDaS1K_S1L_EUlS1K_E_NS1_11comp_targetILNS1_3genE10ELNS1_11target_archE1200ELNS1_3gpuE4ELNS1_3repE0EEENS1_30default_config_static_selectorELNS0_4arch9wavefront6targetE0EEEvSY_: ; @_ZN7rocprim17ROCPRIM_400000_NS6detail17trampoline_kernelINS0_13select_configILj256ELj13ELNS0_17block_load_methodE3ELS4_3ELS4_3ELNS0_20block_scan_algorithmE0ELj4294967295EEENS1_25partition_config_selectorILNS1_17partition_subalgoE3EjNS0_10empty_typeEbEEZZNS1_14partition_implILS8_3ELb0ES6_jNS0_17counting_iteratorIjlEEPS9_SE_NS0_5tupleIJPjSE_EEENSF_IJSE_SE_EEES9_SG_JZNS1_25segmented_radix_sort_implINS0_14default_configELb0EPKbPbPKlPlN2at6native12_GLOBAL__N_18offset_tEEE10hipError_tPvRmT1_PNSt15iterator_traitsISY_E10value_typeET2_T3_PNSZ_IS14_E10value_typeET4_jRbjT5_S1A_jjP12ihipStream_tbEUljE_EEESV_SW_SX_S14_S18_S1A_T6_T7_T9_mT8_S1C_bDpT10_ENKUlT_T0_E_clISt17integral_constantIbLb0EES1O_IbLb1EEEEDaS1K_S1L_EUlS1K_E_NS1_11comp_targetILNS1_3genE10ELNS1_11target_archE1200ELNS1_3gpuE4ELNS1_3repE0EEENS1_30default_config_static_selectorELNS0_4arch9wavefront6targetE0EEEvSY_
; %bb.0:
	.section	.rodata,"a",@progbits
	.p2align	6, 0x0
	.amdhsa_kernel _ZN7rocprim17ROCPRIM_400000_NS6detail17trampoline_kernelINS0_13select_configILj256ELj13ELNS0_17block_load_methodE3ELS4_3ELS4_3ELNS0_20block_scan_algorithmE0ELj4294967295EEENS1_25partition_config_selectorILNS1_17partition_subalgoE3EjNS0_10empty_typeEbEEZZNS1_14partition_implILS8_3ELb0ES6_jNS0_17counting_iteratorIjlEEPS9_SE_NS0_5tupleIJPjSE_EEENSF_IJSE_SE_EEES9_SG_JZNS1_25segmented_radix_sort_implINS0_14default_configELb0EPKbPbPKlPlN2at6native12_GLOBAL__N_18offset_tEEE10hipError_tPvRmT1_PNSt15iterator_traitsISY_E10value_typeET2_T3_PNSZ_IS14_E10value_typeET4_jRbjT5_S1A_jjP12ihipStream_tbEUljE_EEESV_SW_SX_S14_S18_S1A_T6_T7_T9_mT8_S1C_bDpT10_ENKUlT_T0_E_clISt17integral_constantIbLb0EES1O_IbLb1EEEEDaS1K_S1L_EUlS1K_E_NS1_11comp_targetILNS1_3genE10ELNS1_11target_archE1200ELNS1_3gpuE4ELNS1_3repE0EEENS1_30default_config_static_selectorELNS0_4arch9wavefront6targetE0EEEvSY_
		.amdhsa_group_segment_fixed_size 0
		.amdhsa_private_segment_fixed_size 0
		.amdhsa_kernarg_size 152
		.amdhsa_user_sgpr_count 15
		.amdhsa_user_sgpr_dispatch_ptr 0
		.amdhsa_user_sgpr_queue_ptr 0
		.amdhsa_user_sgpr_kernarg_segment_ptr 1
		.amdhsa_user_sgpr_dispatch_id 0
		.amdhsa_user_sgpr_private_segment_size 0
		.amdhsa_wavefront_size32 1
		.amdhsa_uses_dynamic_stack 0
		.amdhsa_enable_private_segment 0
		.amdhsa_system_sgpr_workgroup_id_x 1
		.amdhsa_system_sgpr_workgroup_id_y 0
		.amdhsa_system_sgpr_workgroup_id_z 0
		.amdhsa_system_sgpr_workgroup_info 0
		.amdhsa_system_vgpr_workitem_id 0
		.amdhsa_next_free_vgpr 1
		.amdhsa_next_free_sgpr 1
		.amdhsa_reserve_vcc 0
		.amdhsa_float_round_mode_32 0
		.amdhsa_float_round_mode_16_64 0
		.amdhsa_float_denorm_mode_32 3
		.amdhsa_float_denorm_mode_16_64 3
		.amdhsa_dx10_clamp 1
		.amdhsa_ieee_mode 1
		.amdhsa_fp16_overflow 0
		.amdhsa_workgroup_processor_mode 1
		.amdhsa_memory_ordered 1
		.amdhsa_forward_progress 0
		.amdhsa_shared_vgpr_count 0
		.amdhsa_exception_fp_ieee_invalid_op 0
		.amdhsa_exception_fp_denorm_src 0
		.amdhsa_exception_fp_ieee_div_zero 0
		.amdhsa_exception_fp_ieee_overflow 0
		.amdhsa_exception_fp_ieee_underflow 0
		.amdhsa_exception_fp_ieee_inexact 0
		.amdhsa_exception_int_div_zero 0
	.end_amdhsa_kernel
	.section	.text._ZN7rocprim17ROCPRIM_400000_NS6detail17trampoline_kernelINS0_13select_configILj256ELj13ELNS0_17block_load_methodE3ELS4_3ELS4_3ELNS0_20block_scan_algorithmE0ELj4294967295EEENS1_25partition_config_selectorILNS1_17partition_subalgoE3EjNS0_10empty_typeEbEEZZNS1_14partition_implILS8_3ELb0ES6_jNS0_17counting_iteratorIjlEEPS9_SE_NS0_5tupleIJPjSE_EEENSF_IJSE_SE_EEES9_SG_JZNS1_25segmented_radix_sort_implINS0_14default_configELb0EPKbPbPKlPlN2at6native12_GLOBAL__N_18offset_tEEE10hipError_tPvRmT1_PNSt15iterator_traitsISY_E10value_typeET2_T3_PNSZ_IS14_E10value_typeET4_jRbjT5_S1A_jjP12ihipStream_tbEUljE_EEESV_SW_SX_S14_S18_S1A_T6_T7_T9_mT8_S1C_bDpT10_ENKUlT_T0_E_clISt17integral_constantIbLb0EES1O_IbLb1EEEEDaS1K_S1L_EUlS1K_E_NS1_11comp_targetILNS1_3genE10ELNS1_11target_archE1200ELNS1_3gpuE4ELNS1_3repE0EEENS1_30default_config_static_selectorELNS0_4arch9wavefront6targetE0EEEvSY_,"axG",@progbits,_ZN7rocprim17ROCPRIM_400000_NS6detail17trampoline_kernelINS0_13select_configILj256ELj13ELNS0_17block_load_methodE3ELS4_3ELS4_3ELNS0_20block_scan_algorithmE0ELj4294967295EEENS1_25partition_config_selectorILNS1_17partition_subalgoE3EjNS0_10empty_typeEbEEZZNS1_14partition_implILS8_3ELb0ES6_jNS0_17counting_iteratorIjlEEPS9_SE_NS0_5tupleIJPjSE_EEENSF_IJSE_SE_EEES9_SG_JZNS1_25segmented_radix_sort_implINS0_14default_configELb0EPKbPbPKlPlN2at6native12_GLOBAL__N_18offset_tEEE10hipError_tPvRmT1_PNSt15iterator_traitsISY_E10value_typeET2_T3_PNSZ_IS14_E10value_typeET4_jRbjT5_S1A_jjP12ihipStream_tbEUljE_EEESV_SW_SX_S14_S18_S1A_T6_T7_T9_mT8_S1C_bDpT10_ENKUlT_T0_E_clISt17integral_constantIbLb0EES1O_IbLb1EEEEDaS1K_S1L_EUlS1K_E_NS1_11comp_targetILNS1_3genE10ELNS1_11target_archE1200ELNS1_3gpuE4ELNS1_3repE0EEENS1_30default_config_static_selectorELNS0_4arch9wavefront6targetE0EEEvSY_,comdat
.Lfunc_end1632:
	.size	_ZN7rocprim17ROCPRIM_400000_NS6detail17trampoline_kernelINS0_13select_configILj256ELj13ELNS0_17block_load_methodE3ELS4_3ELS4_3ELNS0_20block_scan_algorithmE0ELj4294967295EEENS1_25partition_config_selectorILNS1_17partition_subalgoE3EjNS0_10empty_typeEbEEZZNS1_14partition_implILS8_3ELb0ES6_jNS0_17counting_iteratorIjlEEPS9_SE_NS0_5tupleIJPjSE_EEENSF_IJSE_SE_EEES9_SG_JZNS1_25segmented_radix_sort_implINS0_14default_configELb0EPKbPbPKlPlN2at6native12_GLOBAL__N_18offset_tEEE10hipError_tPvRmT1_PNSt15iterator_traitsISY_E10value_typeET2_T3_PNSZ_IS14_E10value_typeET4_jRbjT5_S1A_jjP12ihipStream_tbEUljE_EEESV_SW_SX_S14_S18_S1A_T6_T7_T9_mT8_S1C_bDpT10_ENKUlT_T0_E_clISt17integral_constantIbLb0EES1O_IbLb1EEEEDaS1K_S1L_EUlS1K_E_NS1_11comp_targetILNS1_3genE10ELNS1_11target_archE1200ELNS1_3gpuE4ELNS1_3repE0EEENS1_30default_config_static_selectorELNS0_4arch9wavefront6targetE0EEEvSY_, .Lfunc_end1632-_ZN7rocprim17ROCPRIM_400000_NS6detail17trampoline_kernelINS0_13select_configILj256ELj13ELNS0_17block_load_methodE3ELS4_3ELS4_3ELNS0_20block_scan_algorithmE0ELj4294967295EEENS1_25partition_config_selectorILNS1_17partition_subalgoE3EjNS0_10empty_typeEbEEZZNS1_14partition_implILS8_3ELb0ES6_jNS0_17counting_iteratorIjlEEPS9_SE_NS0_5tupleIJPjSE_EEENSF_IJSE_SE_EEES9_SG_JZNS1_25segmented_radix_sort_implINS0_14default_configELb0EPKbPbPKlPlN2at6native12_GLOBAL__N_18offset_tEEE10hipError_tPvRmT1_PNSt15iterator_traitsISY_E10value_typeET2_T3_PNSZ_IS14_E10value_typeET4_jRbjT5_S1A_jjP12ihipStream_tbEUljE_EEESV_SW_SX_S14_S18_S1A_T6_T7_T9_mT8_S1C_bDpT10_ENKUlT_T0_E_clISt17integral_constantIbLb0EES1O_IbLb1EEEEDaS1K_S1L_EUlS1K_E_NS1_11comp_targetILNS1_3genE10ELNS1_11target_archE1200ELNS1_3gpuE4ELNS1_3repE0EEENS1_30default_config_static_selectorELNS0_4arch9wavefront6targetE0EEEvSY_
                                        ; -- End function
	.section	.AMDGPU.csdata,"",@progbits
; Kernel info:
; codeLenInByte = 0
; NumSgprs: 0
; NumVgprs: 0
; ScratchSize: 0
; MemoryBound: 0
; FloatMode: 240
; IeeeMode: 1
; LDSByteSize: 0 bytes/workgroup (compile time only)
; SGPRBlocks: 0
; VGPRBlocks: 0
; NumSGPRsForWavesPerEU: 1
; NumVGPRsForWavesPerEU: 1
; Occupancy: 16
; WaveLimiterHint : 0
; COMPUTE_PGM_RSRC2:SCRATCH_EN: 0
; COMPUTE_PGM_RSRC2:USER_SGPR: 15
; COMPUTE_PGM_RSRC2:TRAP_HANDLER: 0
; COMPUTE_PGM_RSRC2:TGID_X_EN: 1
; COMPUTE_PGM_RSRC2:TGID_Y_EN: 0
; COMPUTE_PGM_RSRC2:TGID_Z_EN: 0
; COMPUTE_PGM_RSRC2:TIDIG_COMP_CNT: 0
	.section	.text._ZN7rocprim17ROCPRIM_400000_NS6detail17trampoline_kernelINS0_13select_configILj256ELj13ELNS0_17block_load_methodE3ELS4_3ELS4_3ELNS0_20block_scan_algorithmE0ELj4294967295EEENS1_25partition_config_selectorILNS1_17partition_subalgoE3EjNS0_10empty_typeEbEEZZNS1_14partition_implILS8_3ELb0ES6_jNS0_17counting_iteratorIjlEEPS9_SE_NS0_5tupleIJPjSE_EEENSF_IJSE_SE_EEES9_SG_JZNS1_25segmented_radix_sort_implINS0_14default_configELb0EPKbPbPKlPlN2at6native12_GLOBAL__N_18offset_tEEE10hipError_tPvRmT1_PNSt15iterator_traitsISY_E10value_typeET2_T3_PNSZ_IS14_E10value_typeET4_jRbjT5_S1A_jjP12ihipStream_tbEUljE_EEESV_SW_SX_S14_S18_S1A_T6_T7_T9_mT8_S1C_bDpT10_ENKUlT_T0_E_clISt17integral_constantIbLb0EES1O_IbLb1EEEEDaS1K_S1L_EUlS1K_E_NS1_11comp_targetILNS1_3genE9ELNS1_11target_archE1100ELNS1_3gpuE3ELNS1_3repE0EEENS1_30default_config_static_selectorELNS0_4arch9wavefront6targetE0EEEvSY_,"axG",@progbits,_ZN7rocprim17ROCPRIM_400000_NS6detail17trampoline_kernelINS0_13select_configILj256ELj13ELNS0_17block_load_methodE3ELS4_3ELS4_3ELNS0_20block_scan_algorithmE0ELj4294967295EEENS1_25partition_config_selectorILNS1_17partition_subalgoE3EjNS0_10empty_typeEbEEZZNS1_14partition_implILS8_3ELb0ES6_jNS0_17counting_iteratorIjlEEPS9_SE_NS0_5tupleIJPjSE_EEENSF_IJSE_SE_EEES9_SG_JZNS1_25segmented_radix_sort_implINS0_14default_configELb0EPKbPbPKlPlN2at6native12_GLOBAL__N_18offset_tEEE10hipError_tPvRmT1_PNSt15iterator_traitsISY_E10value_typeET2_T3_PNSZ_IS14_E10value_typeET4_jRbjT5_S1A_jjP12ihipStream_tbEUljE_EEESV_SW_SX_S14_S18_S1A_T6_T7_T9_mT8_S1C_bDpT10_ENKUlT_T0_E_clISt17integral_constantIbLb0EES1O_IbLb1EEEEDaS1K_S1L_EUlS1K_E_NS1_11comp_targetILNS1_3genE9ELNS1_11target_archE1100ELNS1_3gpuE3ELNS1_3repE0EEENS1_30default_config_static_selectorELNS0_4arch9wavefront6targetE0EEEvSY_,comdat
	.globl	_ZN7rocprim17ROCPRIM_400000_NS6detail17trampoline_kernelINS0_13select_configILj256ELj13ELNS0_17block_load_methodE3ELS4_3ELS4_3ELNS0_20block_scan_algorithmE0ELj4294967295EEENS1_25partition_config_selectorILNS1_17partition_subalgoE3EjNS0_10empty_typeEbEEZZNS1_14partition_implILS8_3ELb0ES6_jNS0_17counting_iteratorIjlEEPS9_SE_NS0_5tupleIJPjSE_EEENSF_IJSE_SE_EEES9_SG_JZNS1_25segmented_radix_sort_implINS0_14default_configELb0EPKbPbPKlPlN2at6native12_GLOBAL__N_18offset_tEEE10hipError_tPvRmT1_PNSt15iterator_traitsISY_E10value_typeET2_T3_PNSZ_IS14_E10value_typeET4_jRbjT5_S1A_jjP12ihipStream_tbEUljE_EEESV_SW_SX_S14_S18_S1A_T6_T7_T9_mT8_S1C_bDpT10_ENKUlT_T0_E_clISt17integral_constantIbLb0EES1O_IbLb1EEEEDaS1K_S1L_EUlS1K_E_NS1_11comp_targetILNS1_3genE9ELNS1_11target_archE1100ELNS1_3gpuE3ELNS1_3repE0EEENS1_30default_config_static_selectorELNS0_4arch9wavefront6targetE0EEEvSY_ ; -- Begin function _ZN7rocprim17ROCPRIM_400000_NS6detail17trampoline_kernelINS0_13select_configILj256ELj13ELNS0_17block_load_methodE3ELS4_3ELS4_3ELNS0_20block_scan_algorithmE0ELj4294967295EEENS1_25partition_config_selectorILNS1_17partition_subalgoE3EjNS0_10empty_typeEbEEZZNS1_14partition_implILS8_3ELb0ES6_jNS0_17counting_iteratorIjlEEPS9_SE_NS0_5tupleIJPjSE_EEENSF_IJSE_SE_EEES9_SG_JZNS1_25segmented_radix_sort_implINS0_14default_configELb0EPKbPbPKlPlN2at6native12_GLOBAL__N_18offset_tEEE10hipError_tPvRmT1_PNSt15iterator_traitsISY_E10value_typeET2_T3_PNSZ_IS14_E10value_typeET4_jRbjT5_S1A_jjP12ihipStream_tbEUljE_EEESV_SW_SX_S14_S18_S1A_T6_T7_T9_mT8_S1C_bDpT10_ENKUlT_T0_E_clISt17integral_constantIbLb0EES1O_IbLb1EEEEDaS1K_S1L_EUlS1K_E_NS1_11comp_targetILNS1_3genE9ELNS1_11target_archE1100ELNS1_3gpuE3ELNS1_3repE0EEENS1_30default_config_static_selectorELNS0_4arch9wavefront6targetE0EEEvSY_
	.p2align	8
	.type	_ZN7rocprim17ROCPRIM_400000_NS6detail17trampoline_kernelINS0_13select_configILj256ELj13ELNS0_17block_load_methodE3ELS4_3ELS4_3ELNS0_20block_scan_algorithmE0ELj4294967295EEENS1_25partition_config_selectorILNS1_17partition_subalgoE3EjNS0_10empty_typeEbEEZZNS1_14partition_implILS8_3ELb0ES6_jNS0_17counting_iteratorIjlEEPS9_SE_NS0_5tupleIJPjSE_EEENSF_IJSE_SE_EEES9_SG_JZNS1_25segmented_radix_sort_implINS0_14default_configELb0EPKbPbPKlPlN2at6native12_GLOBAL__N_18offset_tEEE10hipError_tPvRmT1_PNSt15iterator_traitsISY_E10value_typeET2_T3_PNSZ_IS14_E10value_typeET4_jRbjT5_S1A_jjP12ihipStream_tbEUljE_EEESV_SW_SX_S14_S18_S1A_T6_T7_T9_mT8_S1C_bDpT10_ENKUlT_T0_E_clISt17integral_constantIbLb0EES1O_IbLb1EEEEDaS1K_S1L_EUlS1K_E_NS1_11comp_targetILNS1_3genE9ELNS1_11target_archE1100ELNS1_3gpuE3ELNS1_3repE0EEENS1_30default_config_static_selectorELNS0_4arch9wavefront6targetE0EEEvSY_,@function
_ZN7rocprim17ROCPRIM_400000_NS6detail17trampoline_kernelINS0_13select_configILj256ELj13ELNS0_17block_load_methodE3ELS4_3ELS4_3ELNS0_20block_scan_algorithmE0ELj4294967295EEENS1_25partition_config_selectorILNS1_17partition_subalgoE3EjNS0_10empty_typeEbEEZZNS1_14partition_implILS8_3ELb0ES6_jNS0_17counting_iteratorIjlEEPS9_SE_NS0_5tupleIJPjSE_EEENSF_IJSE_SE_EEES9_SG_JZNS1_25segmented_radix_sort_implINS0_14default_configELb0EPKbPbPKlPlN2at6native12_GLOBAL__N_18offset_tEEE10hipError_tPvRmT1_PNSt15iterator_traitsISY_E10value_typeET2_T3_PNSZ_IS14_E10value_typeET4_jRbjT5_S1A_jjP12ihipStream_tbEUljE_EEESV_SW_SX_S14_S18_S1A_T6_T7_T9_mT8_S1C_bDpT10_ENKUlT_T0_E_clISt17integral_constantIbLb0EES1O_IbLb1EEEEDaS1K_S1L_EUlS1K_E_NS1_11comp_targetILNS1_3genE9ELNS1_11target_archE1100ELNS1_3gpuE3ELNS1_3repE0EEENS1_30default_config_static_selectorELNS0_4arch9wavefront6targetE0EEEvSY_: ; @_ZN7rocprim17ROCPRIM_400000_NS6detail17trampoline_kernelINS0_13select_configILj256ELj13ELNS0_17block_load_methodE3ELS4_3ELS4_3ELNS0_20block_scan_algorithmE0ELj4294967295EEENS1_25partition_config_selectorILNS1_17partition_subalgoE3EjNS0_10empty_typeEbEEZZNS1_14partition_implILS8_3ELb0ES6_jNS0_17counting_iteratorIjlEEPS9_SE_NS0_5tupleIJPjSE_EEENSF_IJSE_SE_EEES9_SG_JZNS1_25segmented_radix_sort_implINS0_14default_configELb0EPKbPbPKlPlN2at6native12_GLOBAL__N_18offset_tEEE10hipError_tPvRmT1_PNSt15iterator_traitsISY_E10value_typeET2_T3_PNSZ_IS14_E10value_typeET4_jRbjT5_S1A_jjP12ihipStream_tbEUljE_EEESV_SW_SX_S14_S18_S1A_T6_T7_T9_mT8_S1C_bDpT10_ENKUlT_T0_E_clISt17integral_constantIbLb0EES1O_IbLb1EEEEDaS1K_S1L_EUlS1K_E_NS1_11comp_targetILNS1_3genE9ELNS1_11target_archE1100ELNS1_3gpuE3ELNS1_3repE0EEENS1_30default_config_static_selectorELNS0_4arch9wavefront6targetE0EEEvSY_
; %bb.0:
	s_clause 0x6
	s_load_b64 s[16:17], s[0:1], 0x10
	s_load_b64 s[12:13], s[0:1], 0x28
	;; [unrolled: 1-line block ×3, first 2 shown]
	s_load_b128 s[8:11], s[0:1], 0x48
	s_load_b32 s3, s[0:1], 0x90
	s_load_b64 s[18:19], s[0:1], 0x68
	s_load_b128 s[4:7], s[0:1], 0x80
	v_cmp_eq_u32_e64 s2, 0, v0
	s_delay_alu instid0(VALU_DEP_1)
	s_and_saveexec_b32 s20, s2
	s_cbranch_execz .LBB1633_4
; %bb.1:
	s_mov_b32 s22, exec_lo
	s_mov_b32 s21, exec_lo
	v_mbcnt_lo_u32_b32 v1, s22, 0
                                        ; implicit-def: $vgpr2
	s_delay_alu instid0(VALU_DEP_1)
	v_cmpx_eq_u32_e32 0, v1
	s_cbranch_execz .LBB1633_3
; %bb.2:
	s_load_b64 s[24:25], s[0:1], 0x78
	s_bcnt1_i32_b32 s22, s22
	s_delay_alu instid0(SALU_CYCLE_1)
	v_dual_mov_b32 v2, 0 :: v_dual_mov_b32 v3, s22
	s_waitcnt lgkmcnt(0)
	global_atomic_add_u32 v2, v2, v3, s[24:25] glc
.LBB1633_3:
	s_or_b32 exec_lo, exec_lo, s21
	s_waitcnt vmcnt(0)
	v_readfirstlane_b32 s21, v2
	s_delay_alu instid0(VALU_DEP_1)
	v_dual_mov_b32 v2, 0 :: v_dual_add_nc_u32 v1, s21, v1
	ds_store_b32 v2, v1
.LBB1633_4:
	s_or_b32 exec_lo, exec_lo, s20
	v_mov_b32_e32 v1, 0
	s_clause 0x1
	s_load_b32 s20, s[0:1], 0x8
	s_load_b32 s0, s[0:1], 0x70
	s_waitcnt lgkmcnt(0)
	s_barrier
	buffer_gl0_inv
	ds_load_b32 v2, v1
	s_waitcnt lgkmcnt(0)
	s_barrier
	buffer_gl0_inv
	global_load_b64 v[18:19], v1, s[10:11]
	v_lshlrev_b32_e32 v33, 2, v0
	s_add_i32 s21, s20, s16
	s_mul_i32 s1, s0, 0xd00
	s_add_i32 s0, s0, -1
	s_add_u32 s10, s16, s1
	s_addc_u32 s11, s17, 0
	v_mul_lo_u32 v32, 0xd00, v2
	v_readfirstlane_b32 s20, v2
	v_cmp_lt_u64_e64 s11, s[10:11], s[14:15]
	v_cmp_ne_u32_e32 vcc_lo, s0, v2
	s_delay_alu instid0(VALU_DEP_3) | instskip(SKIP_1) | instid1(VALU_DEP_4)
	s_cmp_eq_u32 s20, s0
	s_cselect_b32 s10, -1, 0
	v_add3_u32 v1, v32, s21, v0
	s_delay_alu instid0(VALU_DEP_3) | instskip(SKIP_2) | instid1(VALU_DEP_1)
	s_or_b32 s0, s11, vcc_lo
	s_mov_b32 s11, -1
	s_and_b32 vcc_lo, exec_lo, s0
	v_add_nc_u32_e32 v2, 0x100, v1
	v_add_nc_u32_e32 v3, 0x200, v1
	v_add_nc_u32_e32 v4, 0x300, v1
	v_add_nc_u32_e32 v5, 0x400, v1
	v_add_nc_u32_e32 v6, 0x500, v1
	v_add_nc_u32_e32 v7, 0x600, v1
	v_add_nc_u32_e32 v8, 0x700, v1
	v_add_nc_u32_e32 v9, 0x800, v1
	v_add_nc_u32_e32 v10, 0x900, v1
	v_add_nc_u32_e32 v11, 0xa00, v1
	v_add_nc_u32_e32 v12, 0xb00, v1
	v_add_nc_u32_e32 v13, 0xc00, v1
	s_cbranch_vccz .LBB1633_6
; %bb.5:
	ds_store_2addr_stride64_b32 v33, v1, v2 offset1:4
	ds_store_2addr_stride64_b32 v33, v3, v4 offset0:8 offset1:12
	ds_store_2addr_stride64_b32 v33, v5, v6 offset0:16 offset1:20
	;; [unrolled: 1-line block ×5, first 2 shown]
	ds_store_b32 v33, v13 offset:12288
	s_waitcnt vmcnt(0) lgkmcnt(0)
	s_mov_b32 s11, 0
	s_barrier
.LBB1633_6:
	s_and_not1_b32 vcc_lo, exec_lo, s11
	s_add_i32 s1, s1, s16
	s_cbranch_vccnz .LBB1633_8
; %bb.7:
	ds_store_2addr_stride64_b32 v33, v1, v2 offset1:4
	ds_store_2addr_stride64_b32 v33, v3, v4 offset0:8 offset1:12
	ds_store_2addr_stride64_b32 v33, v5, v6 offset0:16 offset1:20
	;; [unrolled: 1-line block ×5, first 2 shown]
	ds_store_b32 v33, v13 offset:12288
	s_waitcnt vmcnt(0) lgkmcnt(0)
	s_barrier
.LBB1633_8:
	v_mul_u32_u24_e32 v36, 13, v0
	s_waitcnt vmcnt(0)
	buffer_gl0_inv
	v_cndmask_b32_e64 v34, 0, 1, s0
	s_sub_i32 s11, s14, s1
	s_and_not1_b32 vcc_lo, exec_lo, s0
	v_lshlrev_b32_e32 v1, 2, v36
	ds_load_2addr_b32 v[30:31], v1 offset1:1
	ds_load_2addr_b32 v[28:29], v1 offset0:2 offset1:3
	ds_load_2addr_b32 v[26:27], v1 offset0:4 offset1:5
	;; [unrolled: 1-line block ×5, first 2 shown]
	ds_load_b32 v35, v1 offset:48
	s_waitcnt lgkmcnt(0)
	s_barrier
	buffer_gl0_inv
	s_cbranch_vccnz .LBB1633_10
; %bb.9:
	v_add_nc_u32_e32 v1, s5, v30
	v_add_nc_u32_e32 v2, s7, v30
	v_add_nc_u32_e32 v3, s5, v31
	v_add_nc_u32_e32 v4, s7, v31
	v_add_nc_u32_e32 v5, s5, v28
	v_mul_lo_u32 v1, v1, s4
	v_mul_lo_u32 v2, v2, s6
	;; [unrolled: 1-line block ×4, first 2 shown]
	v_add_nc_u32_e32 v6, s7, v28
	v_add_nc_u32_e32 v7, s5, v29
	v_add_nc_u32_e32 v8, s7, v29
	v_mul_lo_u32 v5, v5, s4
	v_add_nc_u32_e32 v9, s5, v24
	v_sub_nc_u32_e32 v1, v1, v2
	v_mul_lo_u32 v2, v6, s6
	v_sub_nc_u32_e32 v3, v3, v4
	v_mul_lo_u32 v4, v7, s4
	v_mul_lo_u32 v6, v8, s6
	v_add_nc_u32_e32 v7, s5, v26
	v_cmp_lt_u32_e32 vcc_lo, s3, v1
	v_add_nc_u32_e32 v8, s5, v27
	v_add_nc_u32_e32 v10, s7, v24
	v_sub_nc_u32_e32 v2, v5, v2
	v_add_nc_u32_e32 v5, s7, v26
	v_cndmask_b32_e64 v1, 0, 1, vcc_lo
	v_sub_nc_u32_e32 v4, v4, v6
	v_mul_lo_u32 v6, v7, s4
	v_add_nc_u32_e32 v7, s7, v27
	v_cmp_lt_u32_e32 vcc_lo, s3, v3
	v_mul_lo_u32 v5, v5, s6
	v_mul_lo_u32 v8, v8, s4
	;; [unrolled: 1-line block ×4, first 2 shown]
	v_cndmask_b32_e64 v3, 0, 1, vcc_lo
	v_cmp_lt_u32_e32 vcc_lo, s3, v2
	v_mul_lo_u32 v10, v10, s6
	v_add_nc_u32_e32 v11, s5, v22
	v_sub_nc_u32_e32 v5, v6, v5
	v_add_nc_u32_e32 v12, s7, v22
	v_cndmask_b32_e64 v2, 0, 1, vcc_lo
	v_sub_nc_u32_e32 v6, v8, v7
	v_add_nc_u32_e32 v7, s5, v25
	v_add_nc_u32_e32 v8, s7, v25
	v_cmp_lt_u32_e32 vcc_lo, s3, v4
	v_sub_nc_u32_e32 v9, v9, v10
	v_mul_lo_u32 v10, v11, s4
	v_mul_lo_u32 v7, v7, s4
	;; [unrolled: 1-line block ×4, first 2 shown]
	v_cndmask_b32_e64 v4, 0, 1, vcc_lo
	v_cmp_lt_u32_e32 vcc_lo, s3, v5
	v_add_nc_u32_e32 v12, s5, v23
	v_add_nc_u32_e32 v13, s7, v20
	;; [unrolled: 1-line block ×4, first 2 shown]
	v_cndmask_b32_e64 v5, 0, 1, vcc_lo
	v_cmp_lt_u32_e32 vcc_lo, s3, v6
	v_sub_nc_u32_e32 v7, v7, v8
	v_sub_nc_u32_e32 v8, v10, v11
	v_add_nc_u32_e32 v11, s7, v23
	v_mul_lo_u32 v10, v12, s4
	v_cndmask_b32_e64 v6, 0, 1, vcc_lo
	v_cmp_lt_u32_e32 vcc_lo, s3, v9
	v_add_nc_u32_e32 v12, s5, v20
	v_mul_lo_u32 v11, v11, s6
	v_mul_lo_u32 v13, v13, s6
	;; [unrolled: 1-line block ×3, first 2 shown]
	v_cndmask_b32_e64 v9, 0, 1, vcc_lo
	v_cmp_lt_u32_e32 vcc_lo, s3, v7
	v_mul_lo_u32 v12, v12, s4
	v_mul_lo_u32 v15, v15, s6
	v_lshlrev_b16 v3, 8, v3
	v_sub_nc_u32_e32 v10, v10, v11
	v_cndmask_b32_e64 v7, 0, 1, vcc_lo
	v_cmp_lt_u32_e32 vcc_lo, s3, v8
	v_add_nc_u32_e32 v11, s5, v35
	v_or_b32_e32 v1, v1, v3
	v_sub_nc_u32_e32 v12, v12, v13
	v_sub_nc_u32_e32 v13, v14, v15
	v_cndmask_b32_e64 v8, 0, 1, vcc_lo
	v_cmp_lt_u32_e32 vcc_lo, s3, v10
	v_add_nc_u32_e32 v16, s7, v35
	v_mul_lo_u32 v11, v11, s4
	v_lshlrev_b16 v4, 8, v4
	v_lshlrev_b16 v6, 8, v6
	v_cndmask_b32_e64 v10, 0, 1, vcc_lo
	v_cmp_lt_u32_e32 vcc_lo, s3, v12
	v_mul_lo_u32 v14, v16, s6
	v_lshlrev_b16 v7, 8, v7
	v_or_b32_e32 v2, v2, v4
	v_lshlrev_b16 v10, 8, v10
	v_cndmask_b32_e64 v3, 0, 1, vcc_lo
	v_cmp_lt_u32_e32 vcc_lo, s3, v13
	v_or_b32_e32 v4, v5, v6
	v_or_b32_e32 v5, v9, v7
	v_sub_nc_u32_e32 v11, v11, v14
	v_or_b32_e32 v6, v8, v10
	v_cndmask_b32_e64 v12, 0, 1, vcc_lo
	v_and_b32_e32 v1, 0xffff, v1
	v_lshlrev_b32_e32 v2, 16, v2
	v_and_b32_e32 v4, 0xffff, v4
	v_lshlrev_b32_e32 v5, 16, v5
	v_lshlrev_b16 v12, 8, v12
	v_and_b32_e32 v6, 0xffff, v6
	v_cmp_lt_u32_e32 vcc_lo, s3, v11
	v_or_b32_e32 v42, v1, v2
	v_or_b32_e32 v40, v4, v5
	;; [unrolled: 1-line block ×3, first 2 shown]
	v_cndmask_b32_e64 v37, 0, 1, vcc_lo
	s_delay_alu instid0(VALU_DEP_2) | instskip(NEXT) | instid1(VALU_DEP_1)
	v_lshlrev_b32_e32 v3, 16, v3
	v_or_b32_e32 v38, v6, v3
	s_addk_i32 s11, 0xd00
	s_cbranch_execz .LBB1633_11
	s_branch .LBB1633_38
.LBB1633_10:
                                        ; implicit-def: $vgpr37
                                        ; implicit-def: $vgpr38
                                        ; implicit-def: $vgpr40
                                        ; implicit-def: $vgpr42
	s_addk_i32 s11, 0xd00
.LBB1633_11:
	v_dual_mov_b32 v2, 0 :: v_dual_mov_b32 v1, 0
	s_mov_b32 s0, exec_lo
	v_cmpx_gt_u32_e64 s11, v36
; %bb.12:
	v_add_nc_u32_e32 v1, s5, v30
	v_add_nc_u32_e32 v3, s7, v30
	s_delay_alu instid0(VALU_DEP_2) | instskip(NEXT) | instid1(VALU_DEP_2)
	v_mul_lo_u32 v1, v1, s4
	v_mul_lo_u32 v3, v3, s6
	s_delay_alu instid0(VALU_DEP_1) | instskip(NEXT) | instid1(VALU_DEP_1)
	v_sub_nc_u32_e32 v1, v1, v3
	v_cmp_lt_u32_e32 vcc_lo, s3, v1
	v_cndmask_b32_e64 v1, 0, 1, vcc_lo
; %bb.13:
	s_or_b32 exec_lo, exec_lo, s0
	v_add_nc_u32_e32 v3, 1, v36
	s_mov_b32 s0, exec_lo
	s_delay_alu instid0(VALU_DEP_1)
	v_cmpx_gt_u32_e64 s11, v3
; %bb.14:
	v_add_nc_u32_e32 v2, s5, v31
	v_add_nc_u32_e32 v3, s7, v31
	s_delay_alu instid0(VALU_DEP_2) | instskip(NEXT) | instid1(VALU_DEP_2)
	v_mul_lo_u32 v2, v2, s4
	v_mul_lo_u32 v3, v3, s6
	s_delay_alu instid0(VALU_DEP_1) | instskip(NEXT) | instid1(VALU_DEP_1)
	v_sub_nc_u32_e32 v2, v2, v3
	v_cmp_lt_u32_e32 vcc_lo, s3, v2
	v_cndmask_b32_e64 v2, 0, 1, vcc_lo
; %bb.15:
	s_or_b32 exec_lo, exec_lo, s0
	v_dual_mov_b32 v4, 0 :: v_dual_add_nc_u32 v3, 2, v36
	s_delay_alu instid0(VALU_DEP_1)
	v_cmp_gt_u32_e32 vcc_lo, s11, v3
	v_mov_b32_e32 v3, 0
	s_and_saveexec_b32 s0, vcc_lo
; %bb.16:
	v_add_nc_u32_e32 v3, s5, v28
	v_add_nc_u32_e32 v5, s7, v28
	s_delay_alu instid0(VALU_DEP_2) | instskip(NEXT) | instid1(VALU_DEP_2)
	v_mul_lo_u32 v3, v3, s4
	v_mul_lo_u32 v5, v5, s6
	s_delay_alu instid0(VALU_DEP_1) | instskip(NEXT) | instid1(VALU_DEP_1)
	v_sub_nc_u32_e32 v3, v3, v5
	v_cmp_lt_u32_e32 vcc_lo, s3, v3
	v_cndmask_b32_e64 v3, 0, 1, vcc_lo
; %bb.17:
	s_or_b32 exec_lo, exec_lo, s0
	v_add_nc_u32_e32 v5, 3, v36
	s_mov_b32 s0, exec_lo
	s_delay_alu instid0(VALU_DEP_1)
	v_cmpx_gt_u32_e64 s11, v5
; %bb.18:
	v_add_nc_u32_e32 v4, s5, v29
	v_add_nc_u32_e32 v5, s7, v29
	s_delay_alu instid0(VALU_DEP_2) | instskip(NEXT) | instid1(VALU_DEP_2)
	v_mul_lo_u32 v4, v4, s4
	v_mul_lo_u32 v5, v5, s6
	s_delay_alu instid0(VALU_DEP_1) | instskip(NEXT) | instid1(VALU_DEP_1)
	v_sub_nc_u32_e32 v4, v4, v5
	v_cmp_lt_u32_e32 vcc_lo, s3, v4
	v_cndmask_b32_e64 v4, 0, 1, vcc_lo
; %bb.19:
	s_or_b32 exec_lo, exec_lo, s0
	v_dual_mov_b32 v6, 0 :: v_dual_add_nc_u32 v5, 4, v36
	s_delay_alu instid0(VALU_DEP_1)
	v_cmp_gt_u32_e32 vcc_lo, s11, v5
	v_mov_b32_e32 v5, 0
	s_and_saveexec_b32 s0, vcc_lo
	;; [unrolled: 33-line block ×5, first 2 shown]
; %bb.32:
	v_add_nc_u32_e32 v11, s5, v20
	v_add_nc_u32_e32 v13, s7, v20
	s_delay_alu instid0(VALU_DEP_2) | instskip(NEXT) | instid1(VALU_DEP_2)
	v_mul_lo_u32 v11, v11, s4
	v_mul_lo_u32 v13, v13, s6
	s_delay_alu instid0(VALU_DEP_1) | instskip(NEXT) | instid1(VALU_DEP_1)
	v_sub_nc_u32_e32 v11, v11, v13
	v_cmp_lt_u32_e32 vcc_lo, s3, v11
	v_cndmask_b32_e64 v11, 0, 1, vcc_lo
; %bb.33:
	s_or_b32 exec_lo, exec_lo, s0
	v_add_nc_u32_e32 v13, 11, v36
	s_mov_b32 s0, exec_lo
	s_delay_alu instid0(VALU_DEP_1)
	v_cmpx_gt_u32_e64 s11, v13
; %bb.34:
	v_add_nc_u32_e32 v12, s5, v21
	v_add_nc_u32_e32 v13, s7, v21
	s_delay_alu instid0(VALU_DEP_2) | instskip(NEXT) | instid1(VALU_DEP_2)
	v_mul_lo_u32 v12, v12, s4
	v_mul_lo_u32 v13, v13, s6
	s_delay_alu instid0(VALU_DEP_1) | instskip(NEXT) | instid1(VALU_DEP_1)
	v_sub_nc_u32_e32 v12, v12, v13
	v_cmp_lt_u32_e32 vcc_lo, s3, v12
	v_cndmask_b32_e64 v12, 0, 1, vcc_lo
; %bb.35:
	s_or_b32 exec_lo, exec_lo, s0
	v_add_nc_u32_e32 v13, 12, v36
	v_mov_b32_e32 v37, 0
	s_mov_b32 s0, exec_lo
	s_delay_alu instid0(VALU_DEP_2)
	v_cmpx_gt_u32_e64 s11, v13
; %bb.36:
	v_add_nc_u32_e32 v13, s5, v35
	v_add_nc_u32_e32 v14, s7, v35
	s_delay_alu instid0(VALU_DEP_2) | instskip(NEXT) | instid1(VALU_DEP_2)
	v_mul_lo_u32 v13, v13, s4
	v_mul_lo_u32 v14, v14, s6
	s_delay_alu instid0(VALU_DEP_1) | instskip(NEXT) | instid1(VALU_DEP_1)
	v_sub_nc_u32_e32 v13, v13, v14
	v_cmp_lt_u32_e32 vcc_lo, s3, v13
	v_cndmask_b32_e64 v37, 0, 1, vcc_lo
; %bb.37:
	s_or_b32 exec_lo, exec_lo, s0
	v_lshlrev_b16 v2, 8, v2
	v_lshlrev_b16 v4, 8, v4
	;; [unrolled: 1-line block ×5, first 2 shown]
	v_or_b32_e32 v1, v1, v2
	v_lshlrev_b16 v2, 8, v12
	v_or_b32_e32 v3, v3, v4
	v_or_b32_e32 v4, v5, v6
	;; [unrolled: 1-line block ×5, first 2 shown]
	v_and_b32_e32 v1, 0xffff, v1
	v_lshlrev_b32_e32 v3, 16, v3
	v_and_b32_e32 v4, 0xffff, v4
	v_lshlrev_b32_e32 v5, 16, v5
	;; [unrolled: 2-line block ×3, first 2 shown]
	v_or_b32_e32 v42, v1, v3
	s_delay_alu instid0(VALU_DEP_4) | instskip(NEXT) | instid1(VALU_DEP_3)
	v_or_b32_e32 v40, v4, v5
	v_or_b32_e32 v38, v6, v2
.LBB1633_38:
	s_delay_alu instid0(VALU_DEP_3)
	v_and_b32_e32 v44, 0xff, v42
	v_bfe_u32 v45, v42, 8, 8
	v_bfe_u32 v46, v42, 16, 8
	v_lshrrev_b32_e32 v43, 24, v42
	v_and_b32_e32 v47, 0xff, v40
	v_bfe_u32 v48, v40, 8, 8
	v_bfe_u32 v49, v40, 16, 8
	v_add3_u32 v1, v45, v44, v46
	v_lshrrev_b32_e32 v41, 24, v40
	v_and_b32_e32 v50, 0xff, v38
	v_bfe_u32 v51, v38, 8, 8
	v_mbcnt_lo_u32_b32 v53, -1, 0
	v_add3_u32 v1, v1, v43, v47
	v_bfe_u32 v52, v38, 16, 8
	v_lshrrev_b32_e32 v39, 24, v38
	v_and_b32_e32 v2, 0xff, v37
	v_and_b32_e32 v3, 15, v53
	v_add3_u32 v1, v1, v48, v49
	v_or_b32_e32 v4, 31, v0
	v_and_b32_e32 v5, 16, v53
	v_lshrrev_b32_e32 v54, 5, v0
	v_cmp_eq_u32_e64 s6, 0, v3
	v_add3_u32 v1, v1, v41, v50
	v_cmp_lt_u32_e64 s5, 1, v3
	v_cmp_lt_u32_e64 s4, 3, v3
	;; [unrolled: 1-line block ×3, first 2 shown]
	v_cmp_eq_u32_e64 s1, 0, v5
	v_add3_u32 v1, v1, v51, v52
	v_cmp_eq_u32_e64 s0, v4, v0
	s_cmp_lg_u32 s20, 0
	s_mov_b32 s7, -1
	s_delay_alu instid0(VALU_DEP_2)
	v_add3_u32 v55, v1, v39, v2
	s_cbranch_scc0 .LBB1633_64
; %bb.39:
	s_delay_alu instid0(VALU_DEP_1) | instskip(NEXT) | instid1(VALU_DEP_1)
	v_mov_b32_dpp v1, v55 row_shr:1 row_mask:0xf bank_mask:0xf
	v_cndmask_b32_e64 v1, v1, 0, s6
	s_delay_alu instid0(VALU_DEP_1) | instskip(NEXT) | instid1(VALU_DEP_1)
	v_add_nc_u32_e32 v1, v1, v55
	v_mov_b32_dpp v2, v1 row_shr:2 row_mask:0xf bank_mask:0xf
	s_delay_alu instid0(VALU_DEP_1) | instskip(NEXT) | instid1(VALU_DEP_1)
	v_cndmask_b32_e64 v2, 0, v2, s5
	v_add_nc_u32_e32 v1, v1, v2
	s_delay_alu instid0(VALU_DEP_1) | instskip(NEXT) | instid1(VALU_DEP_1)
	v_mov_b32_dpp v2, v1 row_shr:4 row_mask:0xf bank_mask:0xf
	v_cndmask_b32_e64 v2, 0, v2, s4
	s_delay_alu instid0(VALU_DEP_1) | instskip(NEXT) | instid1(VALU_DEP_1)
	v_add_nc_u32_e32 v1, v1, v2
	v_mov_b32_dpp v2, v1 row_shr:8 row_mask:0xf bank_mask:0xf
	s_delay_alu instid0(VALU_DEP_1) | instskip(NEXT) | instid1(VALU_DEP_1)
	v_cndmask_b32_e64 v2, 0, v2, s3
	v_add_nc_u32_e32 v1, v1, v2
	ds_swizzle_b32 v2, v1 offset:swizzle(BROADCAST,32,15)
	s_waitcnt lgkmcnt(0)
	v_cndmask_b32_e64 v2, v2, 0, s1
	s_delay_alu instid0(VALU_DEP_1)
	v_add_nc_u32_e32 v1, v1, v2
	s_and_saveexec_b32 s7, s0
	s_cbranch_execz .LBB1633_41
; %bb.40:
	v_lshlrev_b32_e32 v2, 2, v54
	ds_store_b32 v2, v1
.LBB1633_41:
	s_or_b32 exec_lo, exec_lo, s7
	s_delay_alu instid0(SALU_CYCLE_1)
	s_mov_b32 s7, exec_lo
	s_waitcnt lgkmcnt(0)
	s_barrier
	buffer_gl0_inv
	v_cmpx_gt_u32_e32 8, v0
	s_cbranch_execz .LBB1633_43
; %bb.42:
	ds_load_b32 v2, v33
	s_waitcnt lgkmcnt(0)
	v_mov_b32_dpp v4, v2 row_shr:1 row_mask:0xf bank_mask:0xf
	v_and_b32_e32 v3, 7, v53
	s_delay_alu instid0(VALU_DEP_1) | instskip(NEXT) | instid1(VALU_DEP_3)
	v_cmp_ne_u32_e32 vcc_lo, 0, v3
	v_cndmask_b32_e32 v4, 0, v4, vcc_lo
	v_cmp_lt_u32_e32 vcc_lo, 1, v3
	s_delay_alu instid0(VALU_DEP_2) | instskip(NEXT) | instid1(VALU_DEP_1)
	v_add_nc_u32_e32 v2, v4, v2
	v_mov_b32_dpp v4, v2 row_shr:2 row_mask:0xf bank_mask:0xf
	s_delay_alu instid0(VALU_DEP_1) | instskip(SKIP_1) | instid1(VALU_DEP_2)
	v_cndmask_b32_e32 v4, 0, v4, vcc_lo
	v_cmp_lt_u32_e32 vcc_lo, 3, v3
	v_add_nc_u32_e32 v2, v2, v4
	s_delay_alu instid0(VALU_DEP_1) | instskip(NEXT) | instid1(VALU_DEP_1)
	v_mov_b32_dpp v4, v2 row_shr:4 row_mask:0xf bank_mask:0xf
	v_cndmask_b32_e32 v3, 0, v4, vcc_lo
	s_delay_alu instid0(VALU_DEP_1)
	v_add_nc_u32_e32 v2, v2, v3
	ds_store_b32 v33, v2
.LBB1633_43:
	s_or_b32 exec_lo, exec_lo, s7
	v_cmp_gt_u32_e32 vcc_lo, 32, v0
	s_mov_b32 s21, exec_lo
	s_waitcnt lgkmcnt(0)
	s_barrier
	buffer_gl0_inv
                                        ; implicit-def: $vgpr8
	v_cmpx_lt_u32_e32 31, v0
	s_cbranch_execz .LBB1633_45
; %bb.44:
	v_lshl_add_u32 v2, v54, 2, -4
	ds_load_b32 v8, v2
	s_waitcnt lgkmcnt(0)
	v_add_nc_u32_e32 v1, v8, v1
.LBB1633_45:
	s_or_b32 exec_lo, exec_lo, s21
	v_add_nc_u32_e32 v2, -1, v53
	s_delay_alu instid0(VALU_DEP_1) | instskip(NEXT) | instid1(VALU_DEP_1)
	v_cmp_gt_i32_e64 s7, 0, v2
	v_cndmask_b32_e64 v2, v2, v53, s7
	v_cmp_eq_u32_e64 s7, 0, v53
	s_delay_alu instid0(VALU_DEP_2)
	v_lshlrev_b32_e32 v2, 2, v2
	ds_bpermute_b32 v9, v2, v1
	s_and_saveexec_b32 s21, vcc_lo
	s_cbranch_execz .LBB1633_63
; %bb.46:
	v_mov_b32_e32 v4, 0
	ds_load_b32 v1, v4 offset:28
	s_and_saveexec_b32 s22, s7
	s_cbranch_execz .LBB1633_48
; %bb.47:
	s_add_i32 s24, s20, 32
	s_mov_b32 s25, 0
	v_mov_b32_e32 v2, 1
	s_lshl_b64 s[24:25], s[24:25], 3
	s_delay_alu instid0(SALU_CYCLE_1)
	s_add_u32 s24, s18, s24
	s_addc_u32 s25, s19, s25
	s_waitcnt lgkmcnt(0)
	global_store_b64 v4, v[1:2], s[24:25]
.LBB1633_48:
	s_or_b32 exec_lo, exec_lo, s22
	v_xad_u32 v2, v53, -1, s20
	s_mov_b32 s23, 0
	s_mov_b32 s22, exec_lo
	s_delay_alu instid0(VALU_DEP_1) | instskip(NEXT) | instid1(VALU_DEP_1)
	v_add_nc_u32_e32 v3, 32, v2
	v_lshlrev_b64 v[3:4], 3, v[3:4]
	s_delay_alu instid0(VALU_DEP_1) | instskip(NEXT) | instid1(VALU_DEP_2)
	v_add_co_u32 v6, vcc_lo, s18, v3
	v_add_co_ci_u32_e32 v7, vcc_lo, s19, v4, vcc_lo
	global_load_b64 v[4:5], v[6:7], off glc
	s_waitcnt vmcnt(0)
	v_and_b32_e32 v3, 0xff, v5
	s_delay_alu instid0(VALU_DEP_1)
	v_cmpx_eq_u16_e32 0, v3
	s_cbranch_execz .LBB1633_51
.LBB1633_49:                            ; =>This Inner Loop Header: Depth=1
	global_load_b64 v[4:5], v[6:7], off glc
	s_waitcnt vmcnt(0)
	v_and_b32_e32 v3, 0xff, v5
	s_delay_alu instid0(VALU_DEP_1) | instskip(SKIP_1) | instid1(SALU_CYCLE_1)
	v_cmp_ne_u16_e32 vcc_lo, 0, v3
	s_or_b32 s23, vcc_lo, s23
	s_and_not1_b32 exec_lo, exec_lo, s23
	s_cbranch_execnz .LBB1633_49
; %bb.50:
	s_or_b32 exec_lo, exec_lo, s23
.LBB1633_51:
	s_delay_alu instid0(SALU_CYCLE_1)
	s_or_b32 exec_lo, exec_lo, s22
	v_cmp_ne_u32_e32 vcc_lo, 31, v53
	v_lshlrev_b32_e64 v11, v53, -1
	v_add_nc_u32_e32 v13, 2, v53
	v_add_nc_u32_e32 v15, 4, v53
	;; [unrolled: 1-line block ×3, first 2 shown]
	v_add_co_ci_u32_e32 v3, vcc_lo, 0, v53, vcc_lo
	v_add_nc_u32_e32 v58, 16, v53
	s_delay_alu instid0(VALU_DEP_2) | instskip(SKIP_2) | instid1(VALU_DEP_1)
	v_lshlrev_b32_e32 v10, 2, v3
	ds_bpermute_b32 v6, v10, v4
	v_and_b32_e32 v3, 0xff, v5
	v_cmp_eq_u16_e32 vcc_lo, 2, v3
	v_and_or_b32 v3, vcc_lo, v11, 0x80000000
	v_cmp_gt_u32_e32 vcc_lo, 30, v53
	s_delay_alu instid0(VALU_DEP_2) | instskip(SKIP_1) | instid1(VALU_DEP_2)
	v_ctz_i32_b32_e32 v3, v3
	v_cndmask_b32_e64 v7, 0, 1, vcc_lo
	v_cmp_lt_u32_e32 vcc_lo, v53, v3
	s_waitcnt lgkmcnt(0)
	s_delay_alu instid0(VALU_DEP_2) | instskip(NEXT) | instid1(VALU_DEP_1)
	v_dual_cndmask_b32 v6, 0, v6 :: v_dual_lshlrev_b32 v7, 1, v7
	v_add_lshl_u32 v12, v7, v53, 2
	v_cmp_gt_u32_e32 vcc_lo, 28, v53
	s_delay_alu instid0(VALU_DEP_3) | instskip(SKIP_4) | instid1(VALU_DEP_1)
	v_add_nc_u32_e32 v4, v6, v4
	v_cndmask_b32_e64 v7, 0, 1, vcc_lo
	v_cmp_le_u32_e32 vcc_lo, v13, v3
	ds_bpermute_b32 v6, v12, v4
	v_lshlrev_b32_e32 v7, 2, v7
	v_add_lshl_u32 v14, v7, v53, 2
	s_waitcnt lgkmcnt(0)
	v_cndmask_b32_e32 v6, 0, v6, vcc_lo
	v_cmp_gt_u32_e32 vcc_lo, 24, v53
	s_delay_alu instid0(VALU_DEP_2) | instskip(SKIP_4) | instid1(VALU_DEP_1)
	v_add_nc_u32_e32 v4, v4, v6
	v_cndmask_b32_e64 v7, 0, 1, vcc_lo
	v_cmp_le_u32_e32 vcc_lo, v15, v3
	ds_bpermute_b32 v6, v14, v4
	v_lshlrev_b32_e32 v7, 3, v7
	v_add_lshl_u32 v17, v7, v53, 2
	s_waitcnt lgkmcnt(0)
	v_cndmask_b32_e32 v6, 0, v6, vcc_lo
	v_cmp_gt_u32_e32 vcc_lo, 16, v53
	s_delay_alu instid0(VALU_DEP_2) | instskip(SKIP_4) | instid1(VALU_DEP_1)
	v_add_nc_u32_e32 v4, v4, v6
	v_cndmask_b32_e64 v7, 0, 1, vcc_lo
	v_cmp_le_u32_e32 vcc_lo, v56, v3
	ds_bpermute_b32 v6, v17, v4
	v_lshlrev_b32_e32 v7, 4, v7
	v_add_lshl_u32 v57, v7, v53, 2
	s_waitcnt lgkmcnt(0)
	v_cndmask_b32_e32 v6, 0, v6, vcc_lo
	v_cmp_le_u32_e32 vcc_lo, v58, v3
	s_delay_alu instid0(VALU_DEP_2) | instskip(SKIP_3) | instid1(VALU_DEP_1)
	v_add_nc_u32_e32 v4, v4, v6
	ds_bpermute_b32 v6, v57, v4
	s_waitcnt lgkmcnt(0)
	v_cndmask_b32_e32 v3, 0, v6, vcc_lo
	v_dual_mov_b32 v3, 0 :: v_dual_add_nc_u32 v4, v4, v3
	s_branch .LBB1633_53
.LBB1633_52:                            ;   in Loop: Header=BB1633_53 Depth=1
	s_or_b32 exec_lo, exec_lo, s22
	ds_bpermute_b32 v7, v10, v4
	v_and_b32_e32 v6, 0xff, v5
	v_subrev_nc_u32_e32 v2, 32, v2
	s_delay_alu instid0(VALU_DEP_2) | instskip(SKIP_1) | instid1(VALU_DEP_1)
	v_cmp_eq_u16_e32 vcc_lo, 2, v6
	v_and_or_b32 v6, vcc_lo, v11, 0x80000000
	v_ctz_i32_b32_e32 v6, v6
	s_delay_alu instid0(VALU_DEP_1) | instskip(SKIP_3) | instid1(VALU_DEP_2)
	v_cmp_lt_u32_e32 vcc_lo, v53, v6
	s_waitcnt lgkmcnt(0)
	v_cndmask_b32_e32 v7, 0, v7, vcc_lo
	v_cmp_le_u32_e32 vcc_lo, v13, v6
	v_add_nc_u32_e32 v4, v7, v4
	ds_bpermute_b32 v7, v12, v4
	s_waitcnt lgkmcnt(0)
	v_cndmask_b32_e32 v7, 0, v7, vcc_lo
	v_cmp_le_u32_e32 vcc_lo, v15, v6
	s_delay_alu instid0(VALU_DEP_2) | instskip(SKIP_4) | instid1(VALU_DEP_2)
	v_add_nc_u32_e32 v4, v4, v7
	ds_bpermute_b32 v7, v14, v4
	s_waitcnt lgkmcnt(0)
	v_cndmask_b32_e32 v7, 0, v7, vcc_lo
	v_cmp_le_u32_e32 vcc_lo, v56, v6
	v_add_nc_u32_e32 v4, v4, v7
	ds_bpermute_b32 v7, v17, v4
	s_waitcnt lgkmcnt(0)
	v_cndmask_b32_e32 v7, 0, v7, vcc_lo
	v_cmp_le_u32_e32 vcc_lo, v58, v6
	s_delay_alu instid0(VALU_DEP_2) | instskip(SKIP_3) | instid1(VALU_DEP_1)
	v_add_nc_u32_e32 v4, v4, v7
	ds_bpermute_b32 v7, v57, v4
	s_waitcnt lgkmcnt(0)
	v_cndmask_b32_e32 v6, 0, v7, vcc_lo
	v_add3_u32 v4, v6, v16, v4
.LBB1633_53:                            ; =>This Loop Header: Depth=1
                                        ;     Child Loop BB1633_56 Depth 2
	s_delay_alu instid0(VALU_DEP_1) | instskip(NEXT) | instid1(VALU_DEP_1)
	v_dual_mov_b32 v16, v4 :: v_dual_and_b32 v5, 0xff, v5
	v_cmp_ne_u16_e32 vcc_lo, 2, v5
	v_cndmask_b32_e64 v5, 0, 1, vcc_lo
	;;#ASMSTART
	;;#ASMEND
	s_delay_alu instid0(VALU_DEP_1)
	v_cmp_ne_u32_e32 vcc_lo, 0, v5
	s_cmp_lg_u32 vcc_lo, exec_lo
	s_cbranch_scc1 .LBB1633_58
; %bb.54:                               ;   in Loop: Header=BB1633_53 Depth=1
	v_lshlrev_b64 v[4:5], 3, v[2:3]
	s_mov_b32 s22, exec_lo
	s_delay_alu instid0(VALU_DEP_1) | instskip(NEXT) | instid1(VALU_DEP_2)
	v_add_co_u32 v6, vcc_lo, s18, v4
	v_add_co_ci_u32_e32 v7, vcc_lo, s19, v5, vcc_lo
	global_load_b64 v[4:5], v[6:7], off glc
	s_waitcnt vmcnt(0)
	v_and_b32_e32 v59, 0xff, v5
	s_delay_alu instid0(VALU_DEP_1)
	v_cmpx_eq_u16_e32 0, v59
	s_cbranch_execz .LBB1633_52
; %bb.55:                               ;   in Loop: Header=BB1633_53 Depth=1
	s_mov_b32 s23, 0
.LBB1633_56:                            ;   Parent Loop BB1633_53 Depth=1
                                        ; =>  This Inner Loop Header: Depth=2
	global_load_b64 v[4:5], v[6:7], off glc
	s_waitcnt vmcnt(0)
	v_and_b32_e32 v59, 0xff, v5
	s_delay_alu instid0(VALU_DEP_1) | instskip(SKIP_1) | instid1(SALU_CYCLE_1)
	v_cmp_ne_u16_e32 vcc_lo, 0, v59
	s_or_b32 s23, vcc_lo, s23
	s_and_not1_b32 exec_lo, exec_lo, s23
	s_cbranch_execnz .LBB1633_56
; %bb.57:                               ;   in Loop: Header=BB1633_53 Depth=1
	s_or_b32 exec_lo, exec_lo, s23
	s_branch .LBB1633_52
.LBB1633_58:                            ;   in Loop: Header=BB1633_53 Depth=1
                                        ; implicit-def: $vgpr4
                                        ; implicit-def: $vgpr5
	s_cbranch_execz .LBB1633_53
; %bb.59:
	s_and_saveexec_b32 s22, s7
	s_cbranch_execz .LBB1633_61
; %bb.60:
	s_add_i32 s24, s20, 32
	s_mov_b32 s25, 0
	v_dual_mov_b32 v3, 2 :: v_dual_add_nc_u32 v2, v16, v1
	s_lshl_b64 s[24:25], s[24:25], 3
	v_mov_b32_e32 v4, 0
	v_add_nc_u32_e64 v5, 0x3400, 0
	s_add_u32 s24, s18, s24
	s_addc_u32 s25, s19, s25
	global_store_b64 v4, v[2:3], s[24:25]
	ds_store_2addr_b32 v5, v1, v16 offset1:2
.LBB1633_61:
	s_or_b32 exec_lo, exec_lo, s22
	s_delay_alu instid0(SALU_CYCLE_1)
	s_and_b32 exec_lo, exec_lo, s2
	s_cbranch_execz .LBB1633_63
; %bb.62:
	v_mov_b32_e32 v1, 0
	ds_store_b32 v1, v16 offset:28
.LBB1633_63:
	s_or_b32 exec_lo, exec_lo, s21
	v_mov_b32_e32 v1, 0
	s_waitcnt lgkmcnt(0)
	s_waitcnt_vscnt null, 0x0
	s_barrier
	buffer_gl0_inv
	v_cndmask_b32_e64 v2, v9, v8, s7
	ds_load_b32 v1, v1 offset:28
	v_add_nc_u32_e64 v11, 0x3400, 0
	s_waitcnt lgkmcnt(0)
	s_barrier
	v_cndmask_b32_e64 v2, v2, 0, s2
	buffer_gl0_inv
	ds_load_2addr_b32 v[16:17], v11 offset1:2
	v_add_nc_u32_e32 v1, v1, v2
	s_delay_alu instid0(VALU_DEP_1) | instskip(NEXT) | instid1(VALU_DEP_1)
	v_add_nc_u32_e32 v2, v1, v44
	v_add_nc_u32_e32 v3, v2, v45
	s_delay_alu instid0(VALU_DEP_1) | instskip(NEXT) | instid1(VALU_DEP_1)
	v_add_nc_u32_e32 v4, v3, v46
	;; [unrolled: 3-line block ×6, first 2 shown]
	v_add_nc_u32_e32 v13, v12, v39
	s_branch .LBB1633_74
.LBB1633_64:
                                        ; implicit-def: $vgpr17
                                        ; implicit-def: $vgpr1_vgpr2_vgpr3_vgpr4_vgpr5_vgpr6_vgpr7_vgpr8_vgpr9_vgpr10_vgpr11_vgpr12_vgpr13_vgpr14_vgpr15_vgpr16
	s_and_b32 vcc_lo, exec_lo, s7
	s_cbranch_vccz .LBB1633_74
; %bb.65:
	s_delay_alu instid0(VALU_DEP_1) | instskip(NEXT) | instid1(VALU_DEP_1)
	v_mov_b32_dpp v1, v55 row_shr:1 row_mask:0xf bank_mask:0xf
	v_cndmask_b32_e64 v1, v1, 0, s6
	s_delay_alu instid0(VALU_DEP_1) | instskip(NEXT) | instid1(VALU_DEP_1)
	v_add_nc_u32_e32 v1, v1, v55
	v_mov_b32_dpp v2, v1 row_shr:2 row_mask:0xf bank_mask:0xf
	s_delay_alu instid0(VALU_DEP_1) | instskip(NEXT) | instid1(VALU_DEP_1)
	v_cndmask_b32_e64 v2, 0, v2, s5
	v_add_nc_u32_e32 v1, v1, v2
	s_delay_alu instid0(VALU_DEP_1) | instskip(NEXT) | instid1(VALU_DEP_1)
	v_mov_b32_dpp v2, v1 row_shr:4 row_mask:0xf bank_mask:0xf
	v_cndmask_b32_e64 v2, 0, v2, s4
	s_delay_alu instid0(VALU_DEP_1) | instskip(NEXT) | instid1(VALU_DEP_1)
	v_add_nc_u32_e32 v1, v1, v2
	v_mov_b32_dpp v2, v1 row_shr:8 row_mask:0xf bank_mask:0xf
	s_delay_alu instid0(VALU_DEP_1) | instskip(NEXT) | instid1(VALU_DEP_1)
	v_cndmask_b32_e64 v2, 0, v2, s3
	v_add_nc_u32_e32 v1, v1, v2
	ds_swizzle_b32 v2, v1 offset:swizzle(BROADCAST,32,15)
	s_waitcnt lgkmcnt(0)
	v_cndmask_b32_e64 v2, v2, 0, s1
	s_delay_alu instid0(VALU_DEP_1)
	v_add_nc_u32_e32 v1, v1, v2
	s_and_saveexec_b32 s1, s0
	s_cbranch_execz .LBB1633_67
; %bb.66:
	v_lshlrev_b32_e32 v2, 2, v54
	ds_store_b32 v2, v1
.LBB1633_67:
	s_or_b32 exec_lo, exec_lo, s1
	s_delay_alu instid0(SALU_CYCLE_1)
	s_mov_b32 s0, exec_lo
	s_waitcnt lgkmcnt(0)
	s_barrier
	buffer_gl0_inv
	v_cmpx_gt_u32_e32 8, v0
	s_cbranch_execz .LBB1633_69
; %bb.68:
	ds_load_b32 v2, v33
	s_waitcnt lgkmcnt(0)
	v_mov_b32_dpp v4, v2 row_shr:1 row_mask:0xf bank_mask:0xf
	v_and_b32_e32 v3, 7, v53
	s_delay_alu instid0(VALU_DEP_1) | instskip(NEXT) | instid1(VALU_DEP_3)
	v_cmp_ne_u32_e32 vcc_lo, 0, v3
	v_cndmask_b32_e32 v4, 0, v4, vcc_lo
	v_cmp_lt_u32_e32 vcc_lo, 1, v3
	s_delay_alu instid0(VALU_DEP_2) | instskip(NEXT) | instid1(VALU_DEP_1)
	v_add_nc_u32_e32 v2, v4, v2
	v_mov_b32_dpp v4, v2 row_shr:2 row_mask:0xf bank_mask:0xf
	s_delay_alu instid0(VALU_DEP_1) | instskip(SKIP_1) | instid1(VALU_DEP_2)
	v_cndmask_b32_e32 v4, 0, v4, vcc_lo
	v_cmp_lt_u32_e32 vcc_lo, 3, v3
	v_add_nc_u32_e32 v2, v2, v4
	s_delay_alu instid0(VALU_DEP_1) | instskip(NEXT) | instid1(VALU_DEP_1)
	v_mov_b32_dpp v4, v2 row_shr:4 row_mask:0xf bank_mask:0xf
	v_cndmask_b32_e32 v3, 0, v4, vcc_lo
	s_delay_alu instid0(VALU_DEP_1)
	v_add_nc_u32_e32 v2, v2, v3
	ds_store_b32 v33, v2
.LBB1633_69:
	s_or_b32 exec_lo, exec_lo, s0
	v_dual_mov_b32 v3, 0 :: v_dual_mov_b32 v2, 0
	s_mov_b32 s0, exec_lo
	s_waitcnt lgkmcnt(0)
	s_barrier
	buffer_gl0_inv
	v_cmpx_lt_u32_e32 31, v0
	s_cbranch_execz .LBB1633_71
; %bb.70:
	v_lshl_add_u32 v2, v54, 2, -4
	ds_load_b32 v2, v2
.LBB1633_71:
	s_or_b32 exec_lo, exec_lo, s0
	v_add_nc_u32_e32 v4, -1, v53
	s_waitcnt lgkmcnt(0)
	v_add_nc_u32_e32 v1, v2, v1
	ds_load_b32 v16, v3 offset:28
	v_cmp_gt_i32_e32 vcc_lo, 0, v4
	v_cndmask_b32_e32 v4, v4, v53, vcc_lo
	s_delay_alu instid0(VALU_DEP_1)
	v_lshlrev_b32_e32 v4, 2, v4
	ds_bpermute_b32 v1, v4, v1
	s_and_saveexec_b32 s0, s2
	s_cbranch_execz .LBB1633_73
; %bb.72:
	v_mov_b32_e32 v3, 0
	v_mov_b32_e32 v17, 2
	s_waitcnt lgkmcnt(1)
	global_store_b64 v3, v[16:17], s[18:19] offset:256
.LBB1633_73:
	s_or_b32 exec_lo, exec_lo, s0
	v_cmp_eq_u32_e32 vcc_lo, 0, v53
	s_waitcnt lgkmcnt(0)
	s_waitcnt_vscnt null, 0x0
	s_barrier
	buffer_gl0_inv
	v_mov_b32_e32 v17, 0
	v_cndmask_b32_e32 v1, v1, v2, vcc_lo
	s_delay_alu instid0(VALU_DEP_1) | instskip(NEXT) | instid1(VALU_DEP_1)
	v_cndmask_b32_e64 v1, v1, 0, s2
	v_add_nc_u32_e32 v2, v1, v44
	s_delay_alu instid0(VALU_DEP_1) | instskip(NEXT) | instid1(VALU_DEP_1)
	v_add_nc_u32_e32 v3, v2, v45
	v_add_nc_u32_e32 v4, v3, v46
	s_delay_alu instid0(VALU_DEP_1) | instskip(NEXT) | instid1(VALU_DEP_1)
	v_add_nc_u32_e32 v5, v4, v43
	;; [unrolled: 3-line block ×5, first 2 shown]
	v_add_nc_u32_e32 v12, v11, v52
	s_delay_alu instid0(VALU_DEP_1)
	v_add_nc_u32_e32 v13, v12, v39
.LBB1633_74:
	s_waitcnt lgkmcnt(0)
	v_sub_nc_u32_e32 v1, v1, v17
	v_sub_nc_u32_e32 v2, v2, v17
	v_add_nc_u32_e32 v36, v16, v36
	v_lshrrev_b32_e32 v47, 8, v42
	v_lshrrev_b32_e32 v46, 16, v42
	v_sub_nc_u32_e32 v4, v4, v17
	v_sub_nc_u32_e32 v3, v3, v17
	;; [unrolled: 1-line block ×3, first 2 shown]
	v_and_b32_e32 v42, 1, v42
	v_and_b32_e32 v47, 1, v47
	;; [unrolled: 1-line block ×3, first 2 shown]
	v_lshrrev_b32_e32 v45, 8, v40
	v_lshrrev_b32_e32 v44, 16, v40
	v_cmp_eq_u32_e32 vcc_lo, 1, v42
	v_and_b32_e32 v42, 1, v46
	v_sub_nc_u32_e32 v46, v36, v2
	v_lshrrev_b32_e32 v15, 8, v38
	v_lshrrev_b32_e32 v14, 16, v38
	v_cndmask_b32_e32 v1, v48, v1, vcc_lo
	v_cmp_eq_u32_e32 vcc_lo, 1, v47
	v_add_nc_u32_e32 v46, 1, v46
	s_delay_alu instid0(VALU_DEP_3)
	v_lshlrev_b32_e32 v1, 2, v1
	ds_store_b32 v1, v30
	v_cndmask_b32_e32 v1, v46, v2, vcc_lo
	v_sub_nc_u32_e32 v48, v36, v3
	v_sub_nc_u32_e32 v49, v36, v4
	v_cmp_eq_u32_e32 vcc_lo, 1, v42
	v_or_b32_e32 v30, 0x300, v0
	v_lshlrev_b32_e32 v1, 2, v1
	v_add_nc_u32_e32 v48, 2, v48
	v_add_nc_u32_e32 v49, 3, v49
	ds_store_b32 v1, v31
	v_cndmask_b32_e32 v2, v48, v3, vcc_lo
	v_cmp_eq_u32_e32 vcc_lo, 1, v43
	v_or_b32_e32 v31, 0x200, v0
	s_delay_alu instid0(VALU_DEP_3) | instskip(SKIP_2) | instid1(VALU_DEP_3)
	v_dual_cndmask_b32 v3, v49, v4 :: v_dual_lshlrev_b32 v2, 2, v2
	v_sub_nc_u32_e32 v4, v5, v17
	v_sub_nc_u32_e32 v5, v6, v17
	v_lshlrev_b32_e32 v3, 2, v3
	s_delay_alu instid0(VALU_DEP_3) | instskip(NEXT) | instid1(VALU_DEP_3)
	v_sub_nc_u32_e32 v1, v36, v4
	v_sub_nc_u32_e32 v6, v36, v5
	ds_store_b32 v2, v28
	ds_store_b32 v3, v29
	v_and_b32_e32 v2, 1, v40
	v_add_nc_u32_e32 v1, 4, v1
	v_add_nc_u32_e32 v3, 5, v6
	v_sub_nc_u32_e32 v6, v7, v17
	v_and_b32_e32 v7, 1, v45
	v_cmp_eq_u32_e32 vcc_lo, 1, v2
	v_sub_nc_u32_e32 v2, v8, v17
	v_and_b32_e32 v8, 1, v41
	v_or_b32_e32 v29, 0x400, v0
	v_or_b32_e32 v28, 0x500, v0
	v_cndmask_b32_e32 v1, v1, v4, vcc_lo
	v_sub_nc_u32_e32 v4, v36, v6
	v_cmp_eq_u32_e32 vcc_lo, 1, v7
	v_and_b32_e32 v7, 1, v44
	s_delay_alu instid0(VALU_DEP_4) | instskip(NEXT) | instid1(VALU_DEP_4)
	v_lshlrev_b32_e32 v1, 2, v1
	v_dual_cndmask_b32 v3, v3, v5 :: v_dual_add_nc_u32 v4, 6, v4
	v_sub_nc_u32_e32 v5, v36, v2
	s_delay_alu instid0(VALU_DEP_4) | instskip(SKIP_2) | instid1(VALU_DEP_4)
	v_cmp_eq_u32_e32 vcc_lo, 1, v7
	v_sub_nc_u32_e32 v7, v13, v17
	v_add_co_u32 v13, s0, s16, v32
	v_dual_cndmask_b32 v4, v4, v6 :: v_dual_add_nc_u32 v5, 7, v5
	v_cmp_eq_u32_e32 vcc_lo, 1, v8
	v_sub_nc_u32_e32 v6, v9, v17
	v_lshlrev_b32_e32 v3, 2, v3
	ds_store_b32 v1, v26
	ds_store_b32 v3, v27
	v_cndmask_b32_e32 v2, v5, v2, vcc_lo
	v_sub_nc_u32_e32 v1, v36, v6
	v_lshlrev_b32_e32 v3, 2, v4
	v_and_b32_e32 v5, 1, v38
	v_sub_nc_u32_e32 v4, v10, v17
	v_lshlrev_b32_e32 v2, 2, v2
	v_add_nc_u32_e32 v1, 8, v1
	ds_store_b32 v3, v24
	ds_store_b32 v2, v25
	v_cmp_eq_u32_e32 vcc_lo, 1, v5
	v_sub_nc_u32_e32 v3, v11, v17
	v_sub_nc_u32_e32 v2, v36, v4
	;; [unrolled: 1-line block ×3, first 2 shown]
	v_dual_cndmask_b32 v1, v1, v6 :: v_dual_and_b32 v10, 1, v39
	v_and_b32_e32 v6, 1, v15
	v_sub_nc_u32_e32 v8, v36, v3
	v_add_nc_u32_e32 v2, 9, v2
	v_sub_nc_u32_e32 v9, v36, v5
	v_and_b32_e32 v11, 1, v37
	v_cmp_eq_u32_e32 vcc_lo, 1, v6
	v_add_nc_u32_e32 v6, 10, v8
	v_and_b32_e32 v8, 1, v14
	v_add_nc_u32_e32 v9, 11, v9
	v_dual_cndmask_b32 v2, v2, v4 :: v_dual_lshlrev_b32 v1, 2, v1
	v_sub_nc_u32_e32 v4, v36, v7
	s_delay_alu instid0(VALU_DEP_4) | instskip(SKIP_1) | instid1(VALU_DEP_4)
	v_cmp_eq_u32_e32 vcc_lo, 1, v8
	v_add_co_ci_u32_e64 v14, null, s17, 0, s0
	v_lshlrev_b32_e32 v2, 2, v2
	s_delay_alu instid0(VALU_DEP_4)
	v_dual_cndmask_b32 v3, v6, v3 :: v_dual_add_nc_u32 v4, 12, v4
	v_cmp_eq_u32_e32 vcc_lo, 1, v10
	v_or_b32_e32 v27, 0x600, v0
	v_or_b32_e32 v26, 0x700, v0
	;; [unrolled: 1-line block ×3, first 2 shown]
	v_lshlrev_b32_e32 v3, 2, v3
	v_cndmask_b32_e32 v5, v9, v5, vcc_lo
	v_cmp_eq_u32_e32 vcc_lo, 1, v11
	v_or_b32_e32 v24, 0x900, v0
	s_delay_alu instid0(VALU_DEP_3) | instskip(SKIP_2) | instid1(VALU_DEP_3)
	v_dual_cndmask_b32 v4, v4, v7 :: v_dual_lshlrev_b32 v5, 2, v5
	v_sub_co_u32 v13, vcc_lo, s14, v13
	v_sub_co_ci_u32_e32 v14, vcc_lo, s15, v14, vcc_lo
	v_lshlrev_b32_e32 v4, 2, v4
	ds_store_b32 v1, v22
	ds_store_b32 v2, v23
	;; [unrolled: 1-line block ×5, first 2 shown]
	s_waitcnt lgkmcnt(0)
	s_barrier
	buffer_gl0_inv
	ds_load_2addr_stride64_b32 v[11:12], v33 offset1:4
	ds_load_2addr_stride64_b32 v[9:10], v33 offset0:8 offset1:12
	ds_load_2addr_stride64_b32 v[7:8], v33 offset0:16 offset1:20
	;; [unrolled: 1-line block ×5, first 2 shown]
	ds_load_b32 v20, v33 offset:12288
	v_add_co_u32 v15, vcc_lo, v18, v17
	v_add_co_ci_u32_e32 v17, vcc_lo, 0, v19, vcc_lo
	v_add_co_u32 v13, vcc_lo, v13, v16
	v_add_co_ci_u32_e32 v14, vcc_lo, 0, v14, vcc_lo
	v_cmp_ne_u32_e32 vcc_lo, 1, v34
	s_delay_alu instid0(VALU_DEP_3)
	v_add_co_u32 v18, s0, v13, v15
	v_or_b32_e32 v35, 0x100, v0
	v_or_b32_e32 v23, 0xa00, v0
	;; [unrolled: 1-line block ×4, first 2 shown]
	v_add_co_ci_u32_e64 v19, s0, v14, v17, s0
	s_mov_b32 s0, 0
	s_cbranch_vccnz .LBB1633_131
; %bb.75:
	s_mov_b32 s0, exec_lo
                                        ; implicit-def: $vgpr13_vgpr14
	v_cmpx_ge_u32_e64 v0, v16
	s_xor_b32 s0, exec_lo, s0
; %bb.76:
	v_not_b32_e32 v13, v0
	s_delay_alu instid0(VALU_DEP_1) | instskip(SKIP_1) | instid1(VALU_DEP_2)
	v_ashrrev_i32_e32 v14, 31, v13
	v_add_co_u32 v13, vcc_lo, v18, v13
	v_add_co_ci_u32_e32 v14, vcc_lo, v19, v14, vcc_lo
; %bb.77:
	s_and_not1_saveexec_b32 s0, s0
; %bb.78:
	v_add_co_u32 v13, vcc_lo, v15, v0
	v_add_co_ci_u32_e32 v14, vcc_lo, 0, v17, vcc_lo
; %bb.79:
	s_or_b32 exec_lo, exec_lo, s0
	s_delay_alu instid0(VALU_DEP_1) | instskip(SKIP_1) | instid1(VALU_DEP_1)
	v_lshlrev_b64 v[13:14], 2, v[13:14]
	s_mov_b32 s0, exec_lo
	v_add_co_u32 v13, vcc_lo, s12, v13
	s_delay_alu instid0(VALU_DEP_2)
	v_add_co_ci_u32_e32 v14, vcc_lo, s13, v14, vcc_lo
	s_waitcnt lgkmcnt(6)
	global_store_b32 v[13:14], v11, off
                                        ; implicit-def: $vgpr13_vgpr14
	v_cmpx_ge_u32_e64 v35, v16
	s_xor_b32 s0, exec_lo, s0
; %bb.80:
	v_xor_b32_e32 v13, 0xfffffeff, v0
	s_delay_alu instid0(VALU_DEP_1) | instskip(SKIP_1) | instid1(VALU_DEP_2)
	v_ashrrev_i32_e32 v14, 31, v13
	v_add_co_u32 v13, vcc_lo, v18, v13
	v_add_co_ci_u32_e32 v14, vcc_lo, v19, v14, vcc_lo
; %bb.81:
	s_and_not1_saveexec_b32 s0, s0
; %bb.82:
	v_add_co_u32 v13, vcc_lo, v15, v35
	v_add_co_ci_u32_e32 v14, vcc_lo, 0, v17, vcc_lo
; %bb.83:
	s_or_b32 exec_lo, exec_lo, s0
	s_delay_alu instid0(VALU_DEP_1) | instskip(SKIP_1) | instid1(VALU_DEP_1)
	v_lshlrev_b64 v[13:14], 2, v[13:14]
	s_mov_b32 s0, exec_lo
	v_add_co_u32 v13, vcc_lo, s12, v13
	s_delay_alu instid0(VALU_DEP_2)
	v_add_co_ci_u32_e32 v14, vcc_lo, s13, v14, vcc_lo
	global_store_b32 v[13:14], v12, off
                                        ; implicit-def: $vgpr13_vgpr14
	v_cmpx_ge_u32_e64 v31, v16
	s_xor_b32 s0, exec_lo, s0
; %bb.84:
	v_xor_b32_e32 v13, 0xfffffdff, v0
	s_delay_alu instid0(VALU_DEP_1) | instskip(SKIP_1) | instid1(VALU_DEP_2)
	v_ashrrev_i32_e32 v14, 31, v13
	v_add_co_u32 v13, vcc_lo, v18, v13
	v_add_co_ci_u32_e32 v14, vcc_lo, v19, v14, vcc_lo
; %bb.85:
	s_and_not1_saveexec_b32 s0, s0
; %bb.86:
	v_add_co_u32 v13, vcc_lo, v15, v31
	v_add_co_ci_u32_e32 v14, vcc_lo, 0, v17, vcc_lo
; %bb.87:
	s_or_b32 exec_lo, exec_lo, s0
	s_delay_alu instid0(VALU_DEP_1) | instskip(SKIP_1) | instid1(VALU_DEP_1)
	v_lshlrev_b64 v[13:14], 2, v[13:14]
	s_mov_b32 s0, exec_lo
	v_add_co_u32 v13, vcc_lo, s12, v13
	s_delay_alu instid0(VALU_DEP_2)
	v_add_co_ci_u32_e32 v14, vcc_lo, s13, v14, vcc_lo
	s_waitcnt lgkmcnt(5)
	global_store_b32 v[13:14], v9, off
                                        ; implicit-def: $vgpr13_vgpr14
	v_cmpx_ge_u32_e64 v30, v16
	s_xor_b32 s0, exec_lo, s0
; %bb.88:
	v_xor_b32_e32 v13, 0xfffffcff, v0
	s_delay_alu instid0(VALU_DEP_1) | instskip(SKIP_1) | instid1(VALU_DEP_2)
	v_ashrrev_i32_e32 v14, 31, v13
	v_add_co_u32 v13, vcc_lo, v18, v13
	v_add_co_ci_u32_e32 v14, vcc_lo, v19, v14, vcc_lo
; %bb.89:
	s_and_not1_saveexec_b32 s0, s0
; %bb.90:
	v_add_co_u32 v13, vcc_lo, v15, v30
	v_add_co_ci_u32_e32 v14, vcc_lo, 0, v17, vcc_lo
; %bb.91:
	s_or_b32 exec_lo, exec_lo, s0
	s_delay_alu instid0(VALU_DEP_1) | instskip(SKIP_1) | instid1(VALU_DEP_1)
	v_lshlrev_b64 v[13:14], 2, v[13:14]
	s_mov_b32 s0, exec_lo
	v_add_co_u32 v13, vcc_lo, s12, v13
	s_delay_alu instid0(VALU_DEP_2)
	v_add_co_ci_u32_e32 v14, vcc_lo, s13, v14, vcc_lo
	global_store_b32 v[13:14], v10, off
                                        ; implicit-def: $vgpr13_vgpr14
	v_cmpx_ge_u32_e64 v29, v16
	s_xor_b32 s0, exec_lo, s0
; %bb.92:
	v_xor_b32_e32 v13, 0xfffffbff, v0
	;; [unrolled: 47-line block ×6, first 2 shown]
	s_delay_alu instid0(VALU_DEP_1) | instskip(SKIP_1) | instid1(VALU_DEP_2)
	v_ashrrev_i32_e32 v14, 31, v13
	v_add_co_u32 v13, vcc_lo, v18, v13
	v_add_co_ci_u32_e32 v14, vcc_lo, v19, v14, vcc_lo
; %bb.125:
	s_and_not1_saveexec_b32 s0, s0
; %bb.126:
	v_add_co_u32 v13, vcc_lo, v15, v21
	v_add_co_ci_u32_e32 v14, vcc_lo, 0, v17, vcc_lo
; %bb.127:
	s_or_b32 exec_lo, exec_lo, s0
	s_mov_b32 s0, -1
.LBB1633_128:
	s_delay_alu instid0(SALU_CYCLE_1)
	s_and_saveexec_b32 s1, s0
	s_cbranch_execz .LBB1633_211
.LBB1633_129:
	s_waitcnt lgkmcnt(1)
	v_lshlrev_b64 v[0:1], 2, v[13:14]
	s_delay_alu instid0(VALU_DEP_1) | instskip(NEXT) | instid1(VALU_DEP_2)
	v_add_co_u32 v0, vcc_lo, s12, v0
	v_add_co_ci_u32_e32 v1, vcc_lo, s13, v1, vcc_lo
	s_waitcnt lgkmcnt(0)
	global_store_b32 v[0:1], v20, off
	s_or_b32 exec_lo, exec_lo, s1
	s_and_b32 s0, s2, s10
	s_delay_alu instid0(SALU_CYCLE_1)
	s_and_saveexec_b32 s1, s0
	s_cbranch_execnz .LBB1633_212
.LBB1633_130:
	s_nop 0
	s_sendmsg sendmsg(MSG_DEALLOC_VGPRS)
	s_endpgm
.LBB1633_131:
                                        ; implicit-def: $vgpr13_vgpr14
	s_cbranch_execz .LBB1633_128
; %bb.132:
	s_mov_b32 s1, exec_lo
	v_cmpx_gt_u32_e64 s11, v0
	s_cbranch_execz .LBB1633_168
; %bb.133:
	s_mov_b32 s3, exec_lo
                                        ; implicit-def: $vgpr13_vgpr14
	v_cmpx_ge_u32_e64 v0, v16
	s_xor_b32 s3, exec_lo, s3
; %bb.134:
	v_not_b32_e32 v13, v0
	s_delay_alu instid0(VALU_DEP_1) | instskip(SKIP_1) | instid1(VALU_DEP_2)
	v_ashrrev_i32_e32 v14, 31, v13
	v_add_co_u32 v13, vcc_lo, v18, v13
	v_add_co_ci_u32_e32 v14, vcc_lo, v19, v14, vcc_lo
; %bb.135:
	s_and_not1_saveexec_b32 s3, s3
; %bb.136:
	v_add_co_u32 v13, vcc_lo, v15, v0
	v_add_co_ci_u32_e32 v14, vcc_lo, 0, v17, vcc_lo
; %bb.137:
	s_or_b32 exec_lo, exec_lo, s3
	s_delay_alu instid0(VALU_DEP_1) | instskip(NEXT) | instid1(VALU_DEP_1)
	v_lshlrev_b64 v[13:14], 2, v[13:14]
	v_add_co_u32 v13, vcc_lo, s12, v13
	s_delay_alu instid0(VALU_DEP_2) | instskip(SKIP_3) | instid1(SALU_CYCLE_1)
	v_add_co_ci_u32_e32 v14, vcc_lo, s13, v14, vcc_lo
	s_waitcnt lgkmcnt(6)
	global_store_b32 v[13:14], v11, off
	s_or_b32 exec_lo, exec_lo, s1
	s_mov_b32 s1, exec_lo
	v_cmpx_gt_u32_e64 s11, v35
	s_cbranch_execnz .LBB1633_169
.LBB1633_138:
	s_or_b32 exec_lo, exec_lo, s1
	s_delay_alu instid0(SALU_CYCLE_1)
	s_mov_b32 s1, exec_lo
	v_cmpx_gt_u32_e64 s11, v31
	s_cbranch_execz .LBB1633_174
.LBB1633_139:
	s_mov_b32 s3, exec_lo
                                        ; implicit-def: $vgpr11_vgpr12
	v_cmpx_ge_u32_e64 v31, v16
	s_xor_b32 s3, exec_lo, s3
	s_cbranch_execz .LBB1633_141
; %bb.140:
	s_waitcnt lgkmcnt(6)
	v_xor_b32_e32 v11, 0xfffffdff, v0
                                        ; implicit-def: $vgpr31
	s_delay_alu instid0(VALU_DEP_1) | instskip(SKIP_1) | instid1(VALU_DEP_2)
	v_ashrrev_i32_e32 v12, 31, v11
	v_add_co_u32 v11, vcc_lo, v18, v11
	v_add_co_ci_u32_e32 v12, vcc_lo, v19, v12, vcc_lo
.LBB1633_141:
	s_and_not1_saveexec_b32 s3, s3
	s_cbranch_execz .LBB1633_143
; %bb.142:
	s_waitcnt lgkmcnt(6)
	v_add_co_u32 v11, vcc_lo, v15, v31
	v_add_co_ci_u32_e32 v12, vcc_lo, 0, v17, vcc_lo
.LBB1633_143:
	s_or_b32 exec_lo, exec_lo, s3
	s_waitcnt lgkmcnt(6)
	s_delay_alu instid0(VALU_DEP_1) | instskip(NEXT) | instid1(VALU_DEP_1)
	v_lshlrev_b64 v[11:12], 2, v[11:12]
	v_add_co_u32 v11, vcc_lo, s12, v11
	s_delay_alu instid0(VALU_DEP_2) | instskip(SKIP_3) | instid1(SALU_CYCLE_1)
	v_add_co_ci_u32_e32 v12, vcc_lo, s13, v12, vcc_lo
	s_waitcnt lgkmcnt(5)
	global_store_b32 v[11:12], v9, off
	s_or_b32 exec_lo, exec_lo, s1
	s_mov_b32 s1, exec_lo
	v_cmpx_gt_u32_e64 s11, v30
	s_cbranch_execnz .LBB1633_175
.LBB1633_144:
	s_or_b32 exec_lo, exec_lo, s1
	s_delay_alu instid0(SALU_CYCLE_1)
	s_mov_b32 s1, exec_lo
	v_cmpx_gt_u32_e64 s11, v29
	s_cbranch_execz .LBB1633_180
.LBB1633_145:
	s_mov_b32 s3, exec_lo
                                        ; implicit-def: $vgpr9_vgpr10
	v_cmpx_ge_u32_e64 v29, v16
	s_xor_b32 s3, exec_lo, s3
	s_cbranch_execz .LBB1633_147
; %bb.146:
	s_waitcnt lgkmcnt(5)
	v_xor_b32_e32 v9, 0xfffffbff, v0
                                        ; implicit-def: $vgpr29
	s_delay_alu instid0(VALU_DEP_1) | instskip(SKIP_1) | instid1(VALU_DEP_2)
	v_ashrrev_i32_e32 v10, 31, v9
	v_add_co_u32 v9, vcc_lo, v18, v9
	v_add_co_ci_u32_e32 v10, vcc_lo, v19, v10, vcc_lo
.LBB1633_147:
	s_and_not1_saveexec_b32 s3, s3
	s_cbranch_execz .LBB1633_149
; %bb.148:
	s_waitcnt lgkmcnt(5)
	v_add_co_u32 v9, vcc_lo, v15, v29
	v_add_co_ci_u32_e32 v10, vcc_lo, 0, v17, vcc_lo
.LBB1633_149:
	s_or_b32 exec_lo, exec_lo, s3
	s_waitcnt lgkmcnt(5)
	s_delay_alu instid0(VALU_DEP_1) | instskip(NEXT) | instid1(VALU_DEP_1)
	v_lshlrev_b64 v[9:10], 2, v[9:10]
	v_add_co_u32 v9, vcc_lo, s12, v9
	s_delay_alu instid0(VALU_DEP_2) | instskip(SKIP_3) | instid1(SALU_CYCLE_1)
	v_add_co_ci_u32_e32 v10, vcc_lo, s13, v10, vcc_lo
	s_waitcnt lgkmcnt(4)
	global_store_b32 v[9:10], v7, off
	s_or_b32 exec_lo, exec_lo, s1
	s_mov_b32 s1, exec_lo
	v_cmpx_gt_u32_e64 s11, v28
	s_cbranch_execnz .LBB1633_181
.LBB1633_150:
	s_or_b32 exec_lo, exec_lo, s1
	s_delay_alu instid0(SALU_CYCLE_1)
	s_mov_b32 s1, exec_lo
	v_cmpx_gt_u32_e64 s11, v27
	s_cbranch_execz .LBB1633_186
.LBB1633_151:
	s_mov_b32 s3, exec_lo
                                        ; implicit-def: $vgpr7_vgpr8
	v_cmpx_ge_u32_e64 v27, v16
	s_xor_b32 s3, exec_lo, s3
	s_cbranch_execz .LBB1633_153
; %bb.152:
	s_waitcnt lgkmcnt(4)
	v_xor_b32_e32 v7, 0xfffff9ff, v0
                                        ; implicit-def: $vgpr27
	s_delay_alu instid0(VALU_DEP_1) | instskip(SKIP_1) | instid1(VALU_DEP_2)
	v_ashrrev_i32_e32 v8, 31, v7
	v_add_co_u32 v7, vcc_lo, v18, v7
	v_add_co_ci_u32_e32 v8, vcc_lo, v19, v8, vcc_lo
.LBB1633_153:
	s_and_not1_saveexec_b32 s3, s3
	s_cbranch_execz .LBB1633_155
; %bb.154:
	s_waitcnt lgkmcnt(4)
	v_add_co_u32 v7, vcc_lo, v15, v27
	v_add_co_ci_u32_e32 v8, vcc_lo, 0, v17, vcc_lo
.LBB1633_155:
	s_or_b32 exec_lo, exec_lo, s3
	s_waitcnt lgkmcnt(4)
	s_delay_alu instid0(VALU_DEP_1) | instskip(NEXT) | instid1(VALU_DEP_1)
	v_lshlrev_b64 v[7:8], 2, v[7:8]
	v_add_co_u32 v7, vcc_lo, s12, v7
	s_delay_alu instid0(VALU_DEP_2) | instskip(SKIP_3) | instid1(SALU_CYCLE_1)
	v_add_co_ci_u32_e32 v8, vcc_lo, s13, v8, vcc_lo
	s_waitcnt lgkmcnt(3)
	global_store_b32 v[7:8], v5, off
	s_or_b32 exec_lo, exec_lo, s1
	s_mov_b32 s1, exec_lo
	v_cmpx_gt_u32_e64 s11, v26
	s_cbranch_execnz .LBB1633_187
.LBB1633_156:
	s_or_b32 exec_lo, exec_lo, s1
	s_delay_alu instid0(SALU_CYCLE_1)
	s_mov_b32 s1, exec_lo
	v_cmpx_gt_u32_e64 s11, v25
	s_cbranch_execz .LBB1633_192
.LBB1633_157:
	s_mov_b32 s3, exec_lo
                                        ; implicit-def: $vgpr5_vgpr6
	v_cmpx_ge_u32_e64 v25, v16
	s_xor_b32 s3, exec_lo, s3
	s_cbranch_execz .LBB1633_159
; %bb.158:
	s_waitcnt lgkmcnt(3)
	v_xor_b32_e32 v5, 0xfffff7ff, v0
                                        ; implicit-def: $vgpr25
	s_delay_alu instid0(VALU_DEP_1) | instskip(SKIP_1) | instid1(VALU_DEP_2)
	v_ashrrev_i32_e32 v6, 31, v5
	v_add_co_u32 v5, vcc_lo, v18, v5
	v_add_co_ci_u32_e32 v6, vcc_lo, v19, v6, vcc_lo
.LBB1633_159:
	s_and_not1_saveexec_b32 s3, s3
	s_cbranch_execz .LBB1633_161
; %bb.160:
	s_waitcnt lgkmcnt(3)
	v_add_co_u32 v5, vcc_lo, v15, v25
	v_add_co_ci_u32_e32 v6, vcc_lo, 0, v17, vcc_lo
.LBB1633_161:
	s_or_b32 exec_lo, exec_lo, s3
	s_waitcnt lgkmcnt(3)
	s_delay_alu instid0(VALU_DEP_1) | instskip(NEXT) | instid1(VALU_DEP_1)
	v_lshlrev_b64 v[5:6], 2, v[5:6]
	v_add_co_u32 v5, vcc_lo, s12, v5
	s_delay_alu instid0(VALU_DEP_2) | instskip(SKIP_3) | instid1(SALU_CYCLE_1)
	v_add_co_ci_u32_e32 v6, vcc_lo, s13, v6, vcc_lo
	s_waitcnt lgkmcnt(2)
	global_store_b32 v[5:6], v3, off
	s_or_b32 exec_lo, exec_lo, s1
	s_mov_b32 s1, exec_lo
	v_cmpx_gt_u32_e64 s11, v24
	s_cbranch_execnz .LBB1633_193
.LBB1633_162:
	s_or_b32 exec_lo, exec_lo, s1
	s_delay_alu instid0(SALU_CYCLE_1)
	s_mov_b32 s1, exec_lo
	v_cmpx_gt_u32_e64 s11, v23
	s_cbranch_execz .LBB1633_198
.LBB1633_163:
	s_mov_b32 s3, exec_lo
                                        ; implicit-def: $vgpr3_vgpr4
	v_cmpx_ge_u32_e64 v23, v16
	s_xor_b32 s3, exec_lo, s3
	s_cbranch_execz .LBB1633_165
; %bb.164:
	s_waitcnt lgkmcnt(2)
	v_xor_b32_e32 v3, 0xfffff5ff, v0
                                        ; implicit-def: $vgpr23
	s_delay_alu instid0(VALU_DEP_1) | instskip(SKIP_1) | instid1(VALU_DEP_2)
	v_ashrrev_i32_e32 v4, 31, v3
	v_add_co_u32 v3, vcc_lo, v18, v3
	v_add_co_ci_u32_e32 v4, vcc_lo, v19, v4, vcc_lo
.LBB1633_165:
	s_and_not1_saveexec_b32 s3, s3
	s_cbranch_execz .LBB1633_167
; %bb.166:
	s_waitcnt lgkmcnt(2)
	v_add_co_u32 v3, vcc_lo, v15, v23
	v_add_co_ci_u32_e32 v4, vcc_lo, 0, v17, vcc_lo
.LBB1633_167:
	s_or_b32 exec_lo, exec_lo, s3
	s_waitcnt lgkmcnt(2)
	s_delay_alu instid0(VALU_DEP_1) | instskip(NEXT) | instid1(VALU_DEP_1)
	v_lshlrev_b64 v[3:4], 2, v[3:4]
	v_add_co_u32 v3, vcc_lo, s12, v3
	s_delay_alu instid0(VALU_DEP_2) | instskip(SKIP_3) | instid1(SALU_CYCLE_1)
	v_add_co_ci_u32_e32 v4, vcc_lo, s13, v4, vcc_lo
	s_waitcnt lgkmcnt(1)
	global_store_b32 v[3:4], v1, off
	s_or_b32 exec_lo, exec_lo, s1
	s_mov_b32 s1, exec_lo
	v_cmpx_gt_u32_e64 s11, v22
	s_cbranch_execz .LBB1633_204
	s_branch .LBB1633_199
.LBB1633_168:
	s_or_b32 exec_lo, exec_lo, s1
	s_delay_alu instid0(SALU_CYCLE_1)
	s_mov_b32 s1, exec_lo
	v_cmpx_gt_u32_e64 s11, v35
	s_cbranch_execz .LBB1633_138
.LBB1633_169:
	s_mov_b32 s3, exec_lo
                                        ; implicit-def: $vgpr13_vgpr14
	v_cmpx_ge_u32_e64 v35, v16
	s_xor_b32 s3, exec_lo, s3
	s_cbranch_execz .LBB1633_171
; %bb.170:
	s_waitcnt lgkmcnt(6)
	v_xor_b32_e32 v11, 0xfffffeff, v0
                                        ; implicit-def: $vgpr35
	s_delay_alu instid0(VALU_DEP_1) | instskip(SKIP_1) | instid1(VALU_DEP_2)
	v_ashrrev_i32_e32 v14, 31, v11
	v_add_co_u32 v13, vcc_lo, v18, v11
	v_add_co_ci_u32_e32 v14, vcc_lo, v19, v14, vcc_lo
.LBB1633_171:
	s_and_not1_saveexec_b32 s3, s3
; %bb.172:
	v_add_co_u32 v13, vcc_lo, v15, v35
	v_add_co_ci_u32_e32 v14, vcc_lo, 0, v17, vcc_lo
; %bb.173:
	s_or_b32 exec_lo, exec_lo, s3
	s_delay_alu instid0(VALU_DEP_1) | instskip(NEXT) | instid1(VALU_DEP_1)
	v_lshlrev_b64 v[13:14], 2, v[13:14]
	v_add_co_u32 v13, vcc_lo, s12, v13
	s_delay_alu instid0(VALU_DEP_2) | instskip(SKIP_3) | instid1(SALU_CYCLE_1)
	v_add_co_ci_u32_e32 v14, vcc_lo, s13, v14, vcc_lo
	s_waitcnt lgkmcnt(6)
	global_store_b32 v[13:14], v12, off
	s_or_b32 exec_lo, exec_lo, s1
	s_mov_b32 s1, exec_lo
	v_cmpx_gt_u32_e64 s11, v31
	s_cbranch_execnz .LBB1633_139
.LBB1633_174:
	s_or_b32 exec_lo, exec_lo, s1
	s_delay_alu instid0(SALU_CYCLE_1)
	s_mov_b32 s1, exec_lo
	v_cmpx_gt_u32_e64 s11, v30
	s_cbranch_execz .LBB1633_144
.LBB1633_175:
	s_mov_b32 s3, exec_lo
                                        ; implicit-def: $vgpr11_vgpr12
	v_cmpx_ge_u32_e64 v30, v16
	s_xor_b32 s3, exec_lo, s3
	s_cbranch_execz .LBB1633_177
; %bb.176:
	s_waitcnt lgkmcnt(5)
	v_xor_b32_e32 v9, 0xfffffcff, v0
                                        ; implicit-def: $vgpr30
	s_delay_alu instid0(VALU_DEP_1) | instskip(SKIP_1) | instid1(VALU_DEP_2)
	v_ashrrev_i32_e32 v12, 31, v9
	v_add_co_u32 v11, vcc_lo, v18, v9
	v_add_co_ci_u32_e32 v12, vcc_lo, v19, v12, vcc_lo
.LBB1633_177:
	s_and_not1_saveexec_b32 s3, s3
	s_cbranch_execz .LBB1633_179
; %bb.178:
	s_waitcnt lgkmcnt(6)
	v_add_co_u32 v11, vcc_lo, v15, v30
	v_add_co_ci_u32_e32 v12, vcc_lo, 0, v17, vcc_lo
.LBB1633_179:
	s_or_b32 exec_lo, exec_lo, s3
	s_waitcnt lgkmcnt(6)
	s_delay_alu instid0(VALU_DEP_1) | instskip(NEXT) | instid1(VALU_DEP_1)
	v_lshlrev_b64 v[11:12], 2, v[11:12]
	v_add_co_u32 v11, vcc_lo, s12, v11
	s_delay_alu instid0(VALU_DEP_2) | instskip(SKIP_3) | instid1(SALU_CYCLE_1)
	v_add_co_ci_u32_e32 v12, vcc_lo, s13, v12, vcc_lo
	s_waitcnt lgkmcnt(5)
	global_store_b32 v[11:12], v10, off
	s_or_b32 exec_lo, exec_lo, s1
	s_mov_b32 s1, exec_lo
	v_cmpx_gt_u32_e64 s11, v29
	s_cbranch_execnz .LBB1633_145
.LBB1633_180:
	s_or_b32 exec_lo, exec_lo, s1
	s_delay_alu instid0(SALU_CYCLE_1)
	s_mov_b32 s1, exec_lo
	v_cmpx_gt_u32_e64 s11, v28
	s_cbranch_execz .LBB1633_150
.LBB1633_181:
	s_mov_b32 s3, exec_lo
                                        ; implicit-def: $vgpr9_vgpr10
	v_cmpx_ge_u32_e64 v28, v16
	s_xor_b32 s3, exec_lo, s3
	s_cbranch_execz .LBB1633_183
; %bb.182:
	s_waitcnt lgkmcnt(4)
	v_xor_b32_e32 v7, 0xfffffaff, v0
                                        ; implicit-def: $vgpr28
	s_delay_alu instid0(VALU_DEP_1) | instskip(SKIP_1) | instid1(VALU_DEP_2)
	v_ashrrev_i32_e32 v10, 31, v7
	v_add_co_u32 v9, vcc_lo, v18, v7
	v_add_co_ci_u32_e32 v10, vcc_lo, v19, v10, vcc_lo
.LBB1633_183:
	s_and_not1_saveexec_b32 s3, s3
	s_cbranch_execz .LBB1633_185
; %bb.184:
	s_waitcnt lgkmcnt(5)
	v_add_co_u32 v9, vcc_lo, v15, v28
	v_add_co_ci_u32_e32 v10, vcc_lo, 0, v17, vcc_lo
.LBB1633_185:
	s_or_b32 exec_lo, exec_lo, s3
	s_waitcnt lgkmcnt(5)
	s_delay_alu instid0(VALU_DEP_1) | instskip(NEXT) | instid1(VALU_DEP_1)
	v_lshlrev_b64 v[9:10], 2, v[9:10]
	v_add_co_u32 v9, vcc_lo, s12, v9
	s_delay_alu instid0(VALU_DEP_2) | instskip(SKIP_3) | instid1(SALU_CYCLE_1)
	v_add_co_ci_u32_e32 v10, vcc_lo, s13, v10, vcc_lo
	s_waitcnt lgkmcnt(4)
	global_store_b32 v[9:10], v8, off
	s_or_b32 exec_lo, exec_lo, s1
	s_mov_b32 s1, exec_lo
	v_cmpx_gt_u32_e64 s11, v27
	s_cbranch_execnz .LBB1633_151
.LBB1633_186:
	s_or_b32 exec_lo, exec_lo, s1
	s_delay_alu instid0(SALU_CYCLE_1)
	s_mov_b32 s1, exec_lo
	v_cmpx_gt_u32_e64 s11, v26
	s_cbranch_execz .LBB1633_156
.LBB1633_187:
	s_mov_b32 s3, exec_lo
                                        ; implicit-def: $vgpr7_vgpr8
	v_cmpx_ge_u32_e64 v26, v16
	s_xor_b32 s3, exec_lo, s3
	s_cbranch_execz .LBB1633_189
; %bb.188:
	s_waitcnt lgkmcnt(3)
	v_xor_b32_e32 v5, 0xfffff8ff, v0
                                        ; implicit-def: $vgpr26
	s_delay_alu instid0(VALU_DEP_1) | instskip(SKIP_1) | instid1(VALU_DEP_2)
	v_ashrrev_i32_e32 v8, 31, v5
	v_add_co_u32 v7, vcc_lo, v18, v5
	v_add_co_ci_u32_e32 v8, vcc_lo, v19, v8, vcc_lo
.LBB1633_189:
	s_and_not1_saveexec_b32 s3, s3
	s_cbranch_execz .LBB1633_191
; %bb.190:
	s_waitcnt lgkmcnt(4)
	v_add_co_u32 v7, vcc_lo, v15, v26
	v_add_co_ci_u32_e32 v8, vcc_lo, 0, v17, vcc_lo
.LBB1633_191:
	s_or_b32 exec_lo, exec_lo, s3
	s_waitcnt lgkmcnt(4)
	s_delay_alu instid0(VALU_DEP_1) | instskip(NEXT) | instid1(VALU_DEP_1)
	v_lshlrev_b64 v[7:8], 2, v[7:8]
	v_add_co_u32 v7, vcc_lo, s12, v7
	s_delay_alu instid0(VALU_DEP_2) | instskip(SKIP_3) | instid1(SALU_CYCLE_1)
	v_add_co_ci_u32_e32 v8, vcc_lo, s13, v8, vcc_lo
	s_waitcnt lgkmcnt(3)
	global_store_b32 v[7:8], v6, off
	s_or_b32 exec_lo, exec_lo, s1
	s_mov_b32 s1, exec_lo
	v_cmpx_gt_u32_e64 s11, v25
	s_cbranch_execnz .LBB1633_157
.LBB1633_192:
	s_or_b32 exec_lo, exec_lo, s1
	s_delay_alu instid0(SALU_CYCLE_1)
	s_mov_b32 s1, exec_lo
	v_cmpx_gt_u32_e64 s11, v24
	s_cbranch_execz .LBB1633_162
.LBB1633_193:
	s_mov_b32 s3, exec_lo
                                        ; implicit-def: $vgpr5_vgpr6
	v_cmpx_ge_u32_e64 v24, v16
	s_xor_b32 s3, exec_lo, s3
	s_cbranch_execz .LBB1633_195
; %bb.194:
	s_waitcnt lgkmcnt(2)
	v_xor_b32_e32 v3, 0xfffff6ff, v0
                                        ; implicit-def: $vgpr24
	s_delay_alu instid0(VALU_DEP_1) | instskip(SKIP_1) | instid1(VALU_DEP_2)
	v_ashrrev_i32_e32 v6, 31, v3
	v_add_co_u32 v5, vcc_lo, v18, v3
	v_add_co_ci_u32_e32 v6, vcc_lo, v19, v6, vcc_lo
.LBB1633_195:
	s_and_not1_saveexec_b32 s3, s3
	s_cbranch_execz .LBB1633_197
; %bb.196:
	s_waitcnt lgkmcnt(3)
	v_add_co_u32 v5, vcc_lo, v15, v24
	v_add_co_ci_u32_e32 v6, vcc_lo, 0, v17, vcc_lo
.LBB1633_197:
	s_or_b32 exec_lo, exec_lo, s3
	s_waitcnt lgkmcnt(3)
	s_delay_alu instid0(VALU_DEP_1) | instskip(NEXT) | instid1(VALU_DEP_1)
	v_lshlrev_b64 v[5:6], 2, v[5:6]
	v_add_co_u32 v5, vcc_lo, s12, v5
	s_delay_alu instid0(VALU_DEP_2) | instskip(SKIP_3) | instid1(SALU_CYCLE_1)
	v_add_co_ci_u32_e32 v6, vcc_lo, s13, v6, vcc_lo
	s_waitcnt lgkmcnt(2)
	global_store_b32 v[5:6], v4, off
	s_or_b32 exec_lo, exec_lo, s1
	s_mov_b32 s1, exec_lo
	v_cmpx_gt_u32_e64 s11, v23
	s_cbranch_execnz .LBB1633_163
.LBB1633_198:
	s_or_b32 exec_lo, exec_lo, s1
	s_delay_alu instid0(SALU_CYCLE_1)
	s_mov_b32 s1, exec_lo
	v_cmpx_gt_u32_e64 s11, v22
	s_cbranch_execz .LBB1633_204
.LBB1633_199:
	s_mov_b32 s3, exec_lo
                                        ; implicit-def: $vgpr3_vgpr4
	v_cmpx_ge_u32_e64 v22, v16
	s_xor_b32 s3, exec_lo, s3
	s_cbranch_execz .LBB1633_201
; %bb.200:
	s_waitcnt lgkmcnt(1)
	v_xor_b32_e32 v1, 0xfffff4ff, v0
                                        ; implicit-def: $vgpr22
	s_delay_alu instid0(VALU_DEP_1) | instskip(SKIP_1) | instid1(VALU_DEP_2)
	v_ashrrev_i32_e32 v4, 31, v1
	v_add_co_u32 v3, vcc_lo, v18, v1
	v_add_co_ci_u32_e32 v4, vcc_lo, v19, v4, vcc_lo
.LBB1633_201:
	s_and_not1_saveexec_b32 s3, s3
	s_cbranch_execz .LBB1633_203
; %bb.202:
	s_waitcnt lgkmcnt(2)
	v_add_co_u32 v3, vcc_lo, v15, v22
	v_add_co_ci_u32_e32 v4, vcc_lo, 0, v17, vcc_lo
.LBB1633_203:
	s_or_b32 exec_lo, exec_lo, s3
	s_waitcnt lgkmcnt(2)
	s_delay_alu instid0(VALU_DEP_1) | instskip(NEXT) | instid1(VALU_DEP_1)
	v_lshlrev_b64 v[3:4], 2, v[3:4]
	v_add_co_u32 v3, vcc_lo, s12, v3
	s_delay_alu instid0(VALU_DEP_2)
	v_add_co_ci_u32_e32 v4, vcc_lo, s13, v4, vcc_lo
	s_waitcnt lgkmcnt(1)
	global_store_b32 v[3:4], v2, off
.LBB1633_204:
	s_or_b32 exec_lo, exec_lo, s1
	s_delay_alu instid0(SALU_CYCLE_1)
	s_mov_b32 s1, exec_lo
                                        ; implicit-def: $vgpr13_vgpr14
	v_cmpx_gt_u32_e64 s11, v21
	s_cbranch_execz .LBB1633_210
; %bb.205:
	s_mov_b32 s3, exec_lo
                                        ; implicit-def: $vgpr13_vgpr14
	v_cmpx_ge_u32_e64 v21, v16
	s_xor_b32 s3, exec_lo, s3
	s_cbranch_execz .LBB1633_207
; %bb.206:
	v_xor_b32_e32 v0, 0xfffff3ff, v0
                                        ; implicit-def: $vgpr21
	s_waitcnt lgkmcnt(1)
	s_delay_alu instid0(VALU_DEP_1) | instskip(SKIP_1) | instid1(VALU_DEP_2)
	v_ashrrev_i32_e32 v1, 31, v0
	v_add_co_u32 v13, vcc_lo, v18, v0
	v_add_co_ci_u32_e32 v14, vcc_lo, v19, v1, vcc_lo
.LBB1633_207:
	s_and_not1_saveexec_b32 s3, s3
; %bb.208:
	v_add_co_u32 v13, vcc_lo, v15, v21
	v_add_co_ci_u32_e32 v14, vcc_lo, 0, v17, vcc_lo
; %bb.209:
	s_or_b32 exec_lo, exec_lo, s3
	s_delay_alu instid0(SALU_CYCLE_1)
	s_or_b32 s0, s0, exec_lo
.LBB1633_210:
	s_or_b32 exec_lo, exec_lo, s1
	s_and_saveexec_b32 s1, s0
	s_cbranch_execnz .LBB1633_129
.LBB1633_211:
	s_or_b32 exec_lo, exec_lo, s1
	s_and_b32 s0, s2, s10
	s_delay_alu instid0(SALU_CYCLE_1)
	s_and_saveexec_b32 s1, s0
	s_cbranch_execz .LBB1633_130
.LBB1633_212:
	v_add_co_u32 v0, vcc_lo, v15, v16
	s_waitcnt lgkmcnt(1)
	v_mov_b32_e32 v2, 0
	v_add_co_ci_u32_e32 v1, vcc_lo, 0, v17, vcc_lo
	global_store_b64 v2, v[0:1], s[8:9]
	s_nop 0
	s_sendmsg sendmsg(MSG_DEALLOC_VGPRS)
	s_endpgm
	.section	.rodata,"a",@progbits
	.p2align	6, 0x0
	.amdhsa_kernel _ZN7rocprim17ROCPRIM_400000_NS6detail17trampoline_kernelINS0_13select_configILj256ELj13ELNS0_17block_load_methodE3ELS4_3ELS4_3ELNS0_20block_scan_algorithmE0ELj4294967295EEENS1_25partition_config_selectorILNS1_17partition_subalgoE3EjNS0_10empty_typeEbEEZZNS1_14partition_implILS8_3ELb0ES6_jNS0_17counting_iteratorIjlEEPS9_SE_NS0_5tupleIJPjSE_EEENSF_IJSE_SE_EEES9_SG_JZNS1_25segmented_radix_sort_implINS0_14default_configELb0EPKbPbPKlPlN2at6native12_GLOBAL__N_18offset_tEEE10hipError_tPvRmT1_PNSt15iterator_traitsISY_E10value_typeET2_T3_PNSZ_IS14_E10value_typeET4_jRbjT5_S1A_jjP12ihipStream_tbEUljE_EEESV_SW_SX_S14_S18_S1A_T6_T7_T9_mT8_S1C_bDpT10_ENKUlT_T0_E_clISt17integral_constantIbLb0EES1O_IbLb1EEEEDaS1K_S1L_EUlS1K_E_NS1_11comp_targetILNS1_3genE9ELNS1_11target_archE1100ELNS1_3gpuE3ELNS1_3repE0EEENS1_30default_config_static_selectorELNS0_4arch9wavefront6targetE0EEEvSY_
		.amdhsa_group_segment_fixed_size 13324
		.amdhsa_private_segment_fixed_size 0
		.amdhsa_kernarg_size 152
		.amdhsa_user_sgpr_count 15
		.amdhsa_user_sgpr_dispatch_ptr 0
		.amdhsa_user_sgpr_queue_ptr 0
		.amdhsa_user_sgpr_kernarg_segment_ptr 1
		.amdhsa_user_sgpr_dispatch_id 0
		.amdhsa_user_sgpr_private_segment_size 0
		.amdhsa_wavefront_size32 1
		.amdhsa_uses_dynamic_stack 0
		.amdhsa_enable_private_segment 0
		.amdhsa_system_sgpr_workgroup_id_x 1
		.amdhsa_system_sgpr_workgroup_id_y 0
		.amdhsa_system_sgpr_workgroup_id_z 0
		.amdhsa_system_sgpr_workgroup_info 0
		.amdhsa_system_vgpr_workitem_id 0
		.amdhsa_next_free_vgpr 60
		.amdhsa_next_free_sgpr 26
		.amdhsa_reserve_vcc 1
		.amdhsa_float_round_mode_32 0
		.amdhsa_float_round_mode_16_64 0
		.amdhsa_float_denorm_mode_32 3
		.amdhsa_float_denorm_mode_16_64 3
		.amdhsa_dx10_clamp 1
		.amdhsa_ieee_mode 1
		.amdhsa_fp16_overflow 0
		.amdhsa_workgroup_processor_mode 1
		.amdhsa_memory_ordered 1
		.amdhsa_forward_progress 0
		.amdhsa_shared_vgpr_count 0
		.amdhsa_exception_fp_ieee_invalid_op 0
		.amdhsa_exception_fp_denorm_src 0
		.amdhsa_exception_fp_ieee_div_zero 0
		.amdhsa_exception_fp_ieee_overflow 0
		.amdhsa_exception_fp_ieee_underflow 0
		.amdhsa_exception_fp_ieee_inexact 0
		.amdhsa_exception_int_div_zero 0
	.end_amdhsa_kernel
	.section	.text._ZN7rocprim17ROCPRIM_400000_NS6detail17trampoline_kernelINS0_13select_configILj256ELj13ELNS0_17block_load_methodE3ELS4_3ELS4_3ELNS0_20block_scan_algorithmE0ELj4294967295EEENS1_25partition_config_selectorILNS1_17partition_subalgoE3EjNS0_10empty_typeEbEEZZNS1_14partition_implILS8_3ELb0ES6_jNS0_17counting_iteratorIjlEEPS9_SE_NS0_5tupleIJPjSE_EEENSF_IJSE_SE_EEES9_SG_JZNS1_25segmented_radix_sort_implINS0_14default_configELb0EPKbPbPKlPlN2at6native12_GLOBAL__N_18offset_tEEE10hipError_tPvRmT1_PNSt15iterator_traitsISY_E10value_typeET2_T3_PNSZ_IS14_E10value_typeET4_jRbjT5_S1A_jjP12ihipStream_tbEUljE_EEESV_SW_SX_S14_S18_S1A_T6_T7_T9_mT8_S1C_bDpT10_ENKUlT_T0_E_clISt17integral_constantIbLb0EES1O_IbLb1EEEEDaS1K_S1L_EUlS1K_E_NS1_11comp_targetILNS1_3genE9ELNS1_11target_archE1100ELNS1_3gpuE3ELNS1_3repE0EEENS1_30default_config_static_selectorELNS0_4arch9wavefront6targetE0EEEvSY_,"axG",@progbits,_ZN7rocprim17ROCPRIM_400000_NS6detail17trampoline_kernelINS0_13select_configILj256ELj13ELNS0_17block_load_methodE3ELS4_3ELS4_3ELNS0_20block_scan_algorithmE0ELj4294967295EEENS1_25partition_config_selectorILNS1_17partition_subalgoE3EjNS0_10empty_typeEbEEZZNS1_14partition_implILS8_3ELb0ES6_jNS0_17counting_iteratorIjlEEPS9_SE_NS0_5tupleIJPjSE_EEENSF_IJSE_SE_EEES9_SG_JZNS1_25segmented_radix_sort_implINS0_14default_configELb0EPKbPbPKlPlN2at6native12_GLOBAL__N_18offset_tEEE10hipError_tPvRmT1_PNSt15iterator_traitsISY_E10value_typeET2_T3_PNSZ_IS14_E10value_typeET4_jRbjT5_S1A_jjP12ihipStream_tbEUljE_EEESV_SW_SX_S14_S18_S1A_T6_T7_T9_mT8_S1C_bDpT10_ENKUlT_T0_E_clISt17integral_constantIbLb0EES1O_IbLb1EEEEDaS1K_S1L_EUlS1K_E_NS1_11comp_targetILNS1_3genE9ELNS1_11target_archE1100ELNS1_3gpuE3ELNS1_3repE0EEENS1_30default_config_static_selectorELNS0_4arch9wavefront6targetE0EEEvSY_,comdat
.Lfunc_end1633:
	.size	_ZN7rocprim17ROCPRIM_400000_NS6detail17trampoline_kernelINS0_13select_configILj256ELj13ELNS0_17block_load_methodE3ELS4_3ELS4_3ELNS0_20block_scan_algorithmE0ELj4294967295EEENS1_25partition_config_selectorILNS1_17partition_subalgoE3EjNS0_10empty_typeEbEEZZNS1_14partition_implILS8_3ELb0ES6_jNS0_17counting_iteratorIjlEEPS9_SE_NS0_5tupleIJPjSE_EEENSF_IJSE_SE_EEES9_SG_JZNS1_25segmented_radix_sort_implINS0_14default_configELb0EPKbPbPKlPlN2at6native12_GLOBAL__N_18offset_tEEE10hipError_tPvRmT1_PNSt15iterator_traitsISY_E10value_typeET2_T3_PNSZ_IS14_E10value_typeET4_jRbjT5_S1A_jjP12ihipStream_tbEUljE_EEESV_SW_SX_S14_S18_S1A_T6_T7_T9_mT8_S1C_bDpT10_ENKUlT_T0_E_clISt17integral_constantIbLb0EES1O_IbLb1EEEEDaS1K_S1L_EUlS1K_E_NS1_11comp_targetILNS1_3genE9ELNS1_11target_archE1100ELNS1_3gpuE3ELNS1_3repE0EEENS1_30default_config_static_selectorELNS0_4arch9wavefront6targetE0EEEvSY_, .Lfunc_end1633-_ZN7rocprim17ROCPRIM_400000_NS6detail17trampoline_kernelINS0_13select_configILj256ELj13ELNS0_17block_load_methodE3ELS4_3ELS4_3ELNS0_20block_scan_algorithmE0ELj4294967295EEENS1_25partition_config_selectorILNS1_17partition_subalgoE3EjNS0_10empty_typeEbEEZZNS1_14partition_implILS8_3ELb0ES6_jNS0_17counting_iteratorIjlEEPS9_SE_NS0_5tupleIJPjSE_EEENSF_IJSE_SE_EEES9_SG_JZNS1_25segmented_radix_sort_implINS0_14default_configELb0EPKbPbPKlPlN2at6native12_GLOBAL__N_18offset_tEEE10hipError_tPvRmT1_PNSt15iterator_traitsISY_E10value_typeET2_T3_PNSZ_IS14_E10value_typeET4_jRbjT5_S1A_jjP12ihipStream_tbEUljE_EEESV_SW_SX_S14_S18_S1A_T6_T7_T9_mT8_S1C_bDpT10_ENKUlT_T0_E_clISt17integral_constantIbLb0EES1O_IbLb1EEEEDaS1K_S1L_EUlS1K_E_NS1_11comp_targetILNS1_3genE9ELNS1_11target_archE1100ELNS1_3gpuE3ELNS1_3repE0EEENS1_30default_config_static_selectorELNS0_4arch9wavefront6targetE0EEEvSY_
                                        ; -- End function
	.section	.AMDGPU.csdata,"",@progbits
; Kernel info:
; codeLenInByte = 9040
; NumSgprs: 28
; NumVgprs: 60
; ScratchSize: 0
; MemoryBound: 0
; FloatMode: 240
; IeeeMode: 1
; LDSByteSize: 13324 bytes/workgroup (compile time only)
; SGPRBlocks: 3
; VGPRBlocks: 7
; NumSGPRsForWavesPerEU: 28
; NumVGPRsForWavesPerEU: 60
; Occupancy: 16
; WaveLimiterHint : 0
; COMPUTE_PGM_RSRC2:SCRATCH_EN: 0
; COMPUTE_PGM_RSRC2:USER_SGPR: 15
; COMPUTE_PGM_RSRC2:TRAP_HANDLER: 0
; COMPUTE_PGM_RSRC2:TGID_X_EN: 1
; COMPUTE_PGM_RSRC2:TGID_Y_EN: 0
; COMPUTE_PGM_RSRC2:TGID_Z_EN: 0
; COMPUTE_PGM_RSRC2:TIDIG_COMP_CNT: 0
	.section	.text._ZN7rocprim17ROCPRIM_400000_NS6detail17trampoline_kernelINS0_13select_configILj256ELj13ELNS0_17block_load_methodE3ELS4_3ELS4_3ELNS0_20block_scan_algorithmE0ELj4294967295EEENS1_25partition_config_selectorILNS1_17partition_subalgoE3EjNS0_10empty_typeEbEEZZNS1_14partition_implILS8_3ELb0ES6_jNS0_17counting_iteratorIjlEEPS9_SE_NS0_5tupleIJPjSE_EEENSF_IJSE_SE_EEES9_SG_JZNS1_25segmented_radix_sort_implINS0_14default_configELb0EPKbPbPKlPlN2at6native12_GLOBAL__N_18offset_tEEE10hipError_tPvRmT1_PNSt15iterator_traitsISY_E10value_typeET2_T3_PNSZ_IS14_E10value_typeET4_jRbjT5_S1A_jjP12ihipStream_tbEUljE_EEESV_SW_SX_S14_S18_S1A_T6_T7_T9_mT8_S1C_bDpT10_ENKUlT_T0_E_clISt17integral_constantIbLb0EES1O_IbLb1EEEEDaS1K_S1L_EUlS1K_E_NS1_11comp_targetILNS1_3genE8ELNS1_11target_archE1030ELNS1_3gpuE2ELNS1_3repE0EEENS1_30default_config_static_selectorELNS0_4arch9wavefront6targetE0EEEvSY_,"axG",@progbits,_ZN7rocprim17ROCPRIM_400000_NS6detail17trampoline_kernelINS0_13select_configILj256ELj13ELNS0_17block_load_methodE3ELS4_3ELS4_3ELNS0_20block_scan_algorithmE0ELj4294967295EEENS1_25partition_config_selectorILNS1_17partition_subalgoE3EjNS0_10empty_typeEbEEZZNS1_14partition_implILS8_3ELb0ES6_jNS0_17counting_iteratorIjlEEPS9_SE_NS0_5tupleIJPjSE_EEENSF_IJSE_SE_EEES9_SG_JZNS1_25segmented_radix_sort_implINS0_14default_configELb0EPKbPbPKlPlN2at6native12_GLOBAL__N_18offset_tEEE10hipError_tPvRmT1_PNSt15iterator_traitsISY_E10value_typeET2_T3_PNSZ_IS14_E10value_typeET4_jRbjT5_S1A_jjP12ihipStream_tbEUljE_EEESV_SW_SX_S14_S18_S1A_T6_T7_T9_mT8_S1C_bDpT10_ENKUlT_T0_E_clISt17integral_constantIbLb0EES1O_IbLb1EEEEDaS1K_S1L_EUlS1K_E_NS1_11comp_targetILNS1_3genE8ELNS1_11target_archE1030ELNS1_3gpuE2ELNS1_3repE0EEENS1_30default_config_static_selectorELNS0_4arch9wavefront6targetE0EEEvSY_,comdat
	.globl	_ZN7rocprim17ROCPRIM_400000_NS6detail17trampoline_kernelINS0_13select_configILj256ELj13ELNS0_17block_load_methodE3ELS4_3ELS4_3ELNS0_20block_scan_algorithmE0ELj4294967295EEENS1_25partition_config_selectorILNS1_17partition_subalgoE3EjNS0_10empty_typeEbEEZZNS1_14partition_implILS8_3ELb0ES6_jNS0_17counting_iteratorIjlEEPS9_SE_NS0_5tupleIJPjSE_EEENSF_IJSE_SE_EEES9_SG_JZNS1_25segmented_radix_sort_implINS0_14default_configELb0EPKbPbPKlPlN2at6native12_GLOBAL__N_18offset_tEEE10hipError_tPvRmT1_PNSt15iterator_traitsISY_E10value_typeET2_T3_PNSZ_IS14_E10value_typeET4_jRbjT5_S1A_jjP12ihipStream_tbEUljE_EEESV_SW_SX_S14_S18_S1A_T6_T7_T9_mT8_S1C_bDpT10_ENKUlT_T0_E_clISt17integral_constantIbLb0EES1O_IbLb1EEEEDaS1K_S1L_EUlS1K_E_NS1_11comp_targetILNS1_3genE8ELNS1_11target_archE1030ELNS1_3gpuE2ELNS1_3repE0EEENS1_30default_config_static_selectorELNS0_4arch9wavefront6targetE0EEEvSY_ ; -- Begin function _ZN7rocprim17ROCPRIM_400000_NS6detail17trampoline_kernelINS0_13select_configILj256ELj13ELNS0_17block_load_methodE3ELS4_3ELS4_3ELNS0_20block_scan_algorithmE0ELj4294967295EEENS1_25partition_config_selectorILNS1_17partition_subalgoE3EjNS0_10empty_typeEbEEZZNS1_14partition_implILS8_3ELb0ES6_jNS0_17counting_iteratorIjlEEPS9_SE_NS0_5tupleIJPjSE_EEENSF_IJSE_SE_EEES9_SG_JZNS1_25segmented_radix_sort_implINS0_14default_configELb0EPKbPbPKlPlN2at6native12_GLOBAL__N_18offset_tEEE10hipError_tPvRmT1_PNSt15iterator_traitsISY_E10value_typeET2_T3_PNSZ_IS14_E10value_typeET4_jRbjT5_S1A_jjP12ihipStream_tbEUljE_EEESV_SW_SX_S14_S18_S1A_T6_T7_T9_mT8_S1C_bDpT10_ENKUlT_T0_E_clISt17integral_constantIbLb0EES1O_IbLb1EEEEDaS1K_S1L_EUlS1K_E_NS1_11comp_targetILNS1_3genE8ELNS1_11target_archE1030ELNS1_3gpuE2ELNS1_3repE0EEENS1_30default_config_static_selectorELNS0_4arch9wavefront6targetE0EEEvSY_
	.p2align	8
	.type	_ZN7rocprim17ROCPRIM_400000_NS6detail17trampoline_kernelINS0_13select_configILj256ELj13ELNS0_17block_load_methodE3ELS4_3ELS4_3ELNS0_20block_scan_algorithmE0ELj4294967295EEENS1_25partition_config_selectorILNS1_17partition_subalgoE3EjNS0_10empty_typeEbEEZZNS1_14partition_implILS8_3ELb0ES6_jNS0_17counting_iteratorIjlEEPS9_SE_NS0_5tupleIJPjSE_EEENSF_IJSE_SE_EEES9_SG_JZNS1_25segmented_radix_sort_implINS0_14default_configELb0EPKbPbPKlPlN2at6native12_GLOBAL__N_18offset_tEEE10hipError_tPvRmT1_PNSt15iterator_traitsISY_E10value_typeET2_T3_PNSZ_IS14_E10value_typeET4_jRbjT5_S1A_jjP12ihipStream_tbEUljE_EEESV_SW_SX_S14_S18_S1A_T6_T7_T9_mT8_S1C_bDpT10_ENKUlT_T0_E_clISt17integral_constantIbLb0EES1O_IbLb1EEEEDaS1K_S1L_EUlS1K_E_NS1_11comp_targetILNS1_3genE8ELNS1_11target_archE1030ELNS1_3gpuE2ELNS1_3repE0EEENS1_30default_config_static_selectorELNS0_4arch9wavefront6targetE0EEEvSY_,@function
_ZN7rocprim17ROCPRIM_400000_NS6detail17trampoline_kernelINS0_13select_configILj256ELj13ELNS0_17block_load_methodE3ELS4_3ELS4_3ELNS0_20block_scan_algorithmE0ELj4294967295EEENS1_25partition_config_selectorILNS1_17partition_subalgoE3EjNS0_10empty_typeEbEEZZNS1_14partition_implILS8_3ELb0ES6_jNS0_17counting_iteratorIjlEEPS9_SE_NS0_5tupleIJPjSE_EEENSF_IJSE_SE_EEES9_SG_JZNS1_25segmented_radix_sort_implINS0_14default_configELb0EPKbPbPKlPlN2at6native12_GLOBAL__N_18offset_tEEE10hipError_tPvRmT1_PNSt15iterator_traitsISY_E10value_typeET2_T3_PNSZ_IS14_E10value_typeET4_jRbjT5_S1A_jjP12ihipStream_tbEUljE_EEESV_SW_SX_S14_S18_S1A_T6_T7_T9_mT8_S1C_bDpT10_ENKUlT_T0_E_clISt17integral_constantIbLb0EES1O_IbLb1EEEEDaS1K_S1L_EUlS1K_E_NS1_11comp_targetILNS1_3genE8ELNS1_11target_archE1030ELNS1_3gpuE2ELNS1_3repE0EEENS1_30default_config_static_selectorELNS0_4arch9wavefront6targetE0EEEvSY_: ; @_ZN7rocprim17ROCPRIM_400000_NS6detail17trampoline_kernelINS0_13select_configILj256ELj13ELNS0_17block_load_methodE3ELS4_3ELS4_3ELNS0_20block_scan_algorithmE0ELj4294967295EEENS1_25partition_config_selectorILNS1_17partition_subalgoE3EjNS0_10empty_typeEbEEZZNS1_14partition_implILS8_3ELb0ES6_jNS0_17counting_iteratorIjlEEPS9_SE_NS0_5tupleIJPjSE_EEENSF_IJSE_SE_EEES9_SG_JZNS1_25segmented_radix_sort_implINS0_14default_configELb0EPKbPbPKlPlN2at6native12_GLOBAL__N_18offset_tEEE10hipError_tPvRmT1_PNSt15iterator_traitsISY_E10value_typeET2_T3_PNSZ_IS14_E10value_typeET4_jRbjT5_S1A_jjP12ihipStream_tbEUljE_EEESV_SW_SX_S14_S18_S1A_T6_T7_T9_mT8_S1C_bDpT10_ENKUlT_T0_E_clISt17integral_constantIbLb0EES1O_IbLb1EEEEDaS1K_S1L_EUlS1K_E_NS1_11comp_targetILNS1_3genE8ELNS1_11target_archE1030ELNS1_3gpuE2ELNS1_3repE0EEENS1_30default_config_static_selectorELNS0_4arch9wavefront6targetE0EEEvSY_
; %bb.0:
	.section	.rodata,"a",@progbits
	.p2align	6, 0x0
	.amdhsa_kernel _ZN7rocprim17ROCPRIM_400000_NS6detail17trampoline_kernelINS0_13select_configILj256ELj13ELNS0_17block_load_methodE3ELS4_3ELS4_3ELNS0_20block_scan_algorithmE0ELj4294967295EEENS1_25partition_config_selectorILNS1_17partition_subalgoE3EjNS0_10empty_typeEbEEZZNS1_14partition_implILS8_3ELb0ES6_jNS0_17counting_iteratorIjlEEPS9_SE_NS0_5tupleIJPjSE_EEENSF_IJSE_SE_EEES9_SG_JZNS1_25segmented_radix_sort_implINS0_14default_configELb0EPKbPbPKlPlN2at6native12_GLOBAL__N_18offset_tEEE10hipError_tPvRmT1_PNSt15iterator_traitsISY_E10value_typeET2_T3_PNSZ_IS14_E10value_typeET4_jRbjT5_S1A_jjP12ihipStream_tbEUljE_EEESV_SW_SX_S14_S18_S1A_T6_T7_T9_mT8_S1C_bDpT10_ENKUlT_T0_E_clISt17integral_constantIbLb0EES1O_IbLb1EEEEDaS1K_S1L_EUlS1K_E_NS1_11comp_targetILNS1_3genE8ELNS1_11target_archE1030ELNS1_3gpuE2ELNS1_3repE0EEENS1_30default_config_static_selectorELNS0_4arch9wavefront6targetE0EEEvSY_
		.amdhsa_group_segment_fixed_size 0
		.amdhsa_private_segment_fixed_size 0
		.amdhsa_kernarg_size 152
		.amdhsa_user_sgpr_count 15
		.amdhsa_user_sgpr_dispatch_ptr 0
		.amdhsa_user_sgpr_queue_ptr 0
		.amdhsa_user_sgpr_kernarg_segment_ptr 1
		.amdhsa_user_sgpr_dispatch_id 0
		.amdhsa_user_sgpr_private_segment_size 0
		.amdhsa_wavefront_size32 1
		.amdhsa_uses_dynamic_stack 0
		.amdhsa_enable_private_segment 0
		.amdhsa_system_sgpr_workgroup_id_x 1
		.amdhsa_system_sgpr_workgroup_id_y 0
		.amdhsa_system_sgpr_workgroup_id_z 0
		.amdhsa_system_sgpr_workgroup_info 0
		.amdhsa_system_vgpr_workitem_id 0
		.amdhsa_next_free_vgpr 1
		.amdhsa_next_free_sgpr 1
		.amdhsa_reserve_vcc 0
		.amdhsa_float_round_mode_32 0
		.amdhsa_float_round_mode_16_64 0
		.amdhsa_float_denorm_mode_32 3
		.amdhsa_float_denorm_mode_16_64 3
		.amdhsa_dx10_clamp 1
		.amdhsa_ieee_mode 1
		.amdhsa_fp16_overflow 0
		.amdhsa_workgroup_processor_mode 1
		.amdhsa_memory_ordered 1
		.amdhsa_forward_progress 0
		.amdhsa_shared_vgpr_count 0
		.amdhsa_exception_fp_ieee_invalid_op 0
		.amdhsa_exception_fp_denorm_src 0
		.amdhsa_exception_fp_ieee_div_zero 0
		.amdhsa_exception_fp_ieee_overflow 0
		.amdhsa_exception_fp_ieee_underflow 0
		.amdhsa_exception_fp_ieee_inexact 0
		.amdhsa_exception_int_div_zero 0
	.end_amdhsa_kernel
	.section	.text._ZN7rocprim17ROCPRIM_400000_NS6detail17trampoline_kernelINS0_13select_configILj256ELj13ELNS0_17block_load_methodE3ELS4_3ELS4_3ELNS0_20block_scan_algorithmE0ELj4294967295EEENS1_25partition_config_selectorILNS1_17partition_subalgoE3EjNS0_10empty_typeEbEEZZNS1_14partition_implILS8_3ELb0ES6_jNS0_17counting_iteratorIjlEEPS9_SE_NS0_5tupleIJPjSE_EEENSF_IJSE_SE_EEES9_SG_JZNS1_25segmented_radix_sort_implINS0_14default_configELb0EPKbPbPKlPlN2at6native12_GLOBAL__N_18offset_tEEE10hipError_tPvRmT1_PNSt15iterator_traitsISY_E10value_typeET2_T3_PNSZ_IS14_E10value_typeET4_jRbjT5_S1A_jjP12ihipStream_tbEUljE_EEESV_SW_SX_S14_S18_S1A_T6_T7_T9_mT8_S1C_bDpT10_ENKUlT_T0_E_clISt17integral_constantIbLb0EES1O_IbLb1EEEEDaS1K_S1L_EUlS1K_E_NS1_11comp_targetILNS1_3genE8ELNS1_11target_archE1030ELNS1_3gpuE2ELNS1_3repE0EEENS1_30default_config_static_selectorELNS0_4arch9wavefront6targetE0EEEvSY_,"axG",@progbits,_ZN7rocprim17ROCPRIM_400000_NS6detail17trampoline_kernelINS0_13select_configILj256ELj13ELNS0_17block_load_methodE3ELS4_3ELS4_3ELNS0_20block_scan_algorithmE0ELj4294967295EEENS1_25partition_config_selectorILNS1_17partition_subalgoE3EjNS0_10empty_typeEbEEZZNS1_14partition_implILS8_3ELb0ES6_jNS0_17counting_iteratorIjlEEPS9_SE_NS0_5tupleIJPjSE_EEENSF_IJSE_SE_EEES9_SG_JZNS1_25segmented_radix_sort_implINS0_14default_configELb0EPKbPbPKlPlN2at6native12_GLOBAL__N_18offset_tEEE10hipError_tPvRmT1_PNSt15iterator_traitsISY_E10value_typeET2_T3_PNSZ_IS14_E10value_typeET4_jRbjT5_S1A_jjP12ihipStream_tbEUljE_EEESV_SW_SX_S14_S18_S1A_T6_T7_T9_mT8_S1C_bDpT10_ENKUlT_T0_E_clISt17integral_constantIbLb0EES1O_IbLb1EEEEDaS1K_S1L_EUlS1K_E_NS1_11comp_targetILNS1_3genE8ELNS1_11target_archE1030ELNS1_3gpuE2ELNS1_3repE0EEENS1_30default_config_static_selectorELNS0_4arch9wavefront6targetE0EEEvSY_,comdat
.Lfunc_end1634:
	.size	_ZN7rocprim17ROCPRIM_400000_NS6detail17trampoline_kernelINS0_13select_configILj256ELj13ELNS0_17block_load_methodE3ELS4_3ELS4_3ELNS0_20block_scan_algorithmE0ELj4294967295EEENS1_25partition_config_selectorILNS1_17partition_subalgoE3EjNS0_10empty_typeEbEEZZNS1_14partition_implILS8_3ELb0ES6_jNS0_17counting_iteratorIjlEEPS9_SE_NS0_5tupleIJPjSE_EEENSF_IJSE_SE_EEES9_SG_JZNS1_25segmented_radix_sort_implINS0_14default_configELb0EPKbPbPKlPlN2at6native12_GLOBAL__N_18offset_tEEE10hipError_tPvRmT1_PNSt15iterator_traitsISY_E10value_typeET2_T3_PNSZ_IS14_E10value_typeET4_jRbjT5_S1A_jjP12ihipStream_tbEUljE_EEESV_SW_SX_S14_S18_S1A_T6_T7_T9_mT8_S1C_bDpT10_ENKUlT_T0_E_clISt17integral_constantIbLb0EES1O_IbLb1EEEEDaS1K_S1L_EUlS1K_E_NS1_11comp_targetILNS1_3genE8ELNS1_11target_archE1030ELNS1_3gpuE2ELNS1_3repE0EEENS1_30default_config_static_selectorELNS0_4arch9wavefront6targetE0EEEvSY_, .Lfunc_end1634-_ZN7rocprim17ROCPRIM_400000_NS6detail17trampoline_kernelINS0_13select_configILj256ELj13ELNS0_17block_load_methodE3ELS4_3ELS4_3ELNS0_20block_scan_algorithmE0ELj4294967295EEENS1_25partition_config_selectorILNS1_17partition_subalgoE3EjNS0_10empty_typeEbEEZZNS1_14partition_implILS8_3ELb0ES6_jNS0_17counting_iteratorIjlEEPS9_SE_NS0_5tupleIJPjSE_EEENSF_IJSE_SE_EEES9_SG_JZNS1_25segmented_radix_sort_implINS0_14default_configELb0EPKbPbPKlPlN2at6native12_GLOBAL__N_18offset_tEEE10hipError_tPvRmT1_PNSt15iterator_traitsISY_E10value_typeET2_T3_PNSZ_IS14_E10value_typeET4_jRbjT5_S1A_jjP12ihipStream_tbEUljE_EEESV_SW_SX_S14_S18_S1A_T6_T7_T9_mT8_S1C_bDpT10_ENKUlT_T0_E_clISt17integral_constantIbLb0EES1O_IbLb1EEEEDaS1K_S1L_EUlS1K_E_NS1_11comp_targetILNS1_3genE8ELNS1_11target_archE1030ELNS1_3gpuE2ELNS1_3repE0EEENS1_30default_config_static_selectorELNS0_4arch9wavefront6targetE0EEEvSY_
                                        ; -- End function
	.section	.AMDGPU.csdata,"",@progbits
; Kernel info:
; codeLenInByte = 0
; NumSgprs: 0
; NumVgprs: 0
; ScratchSize: 0
; MemoryBound: 0
; FloatMode: 240
; IeeeMode: 1
; LDSByteSize: 0 bytes/workgroup (compile time only)
; SGPRBlocks: 0
; VGPRBlocks: 0
; NumSGPRsForWavesPerEU: 1
; NumVGPRsForWavesPerEU: 1
; Occupancy: 16
; WaveLimiterHint : 0
; COMPUTE_PGM_RSRC2:SCRATCH_EN: 0
; COMPUTE_PGM_RSRC2:USER_SGPR: 15
; COMPUTE_PGM_RSRC2:TRAP_HANDLER: 0
; COMPUTE_PGM_RSRC2:TGID_X_EN: 1
; COMPUTE_PGM_RSRC2:TGID_Y_EN: 0
; COMPUTE_PGM_RSRC2:TGID_Z_EN: 0
; COMPUTE_PGM_RSRC2:TIDIG_COMP_CNT: 0
	.section	.text._ZN7rocprim17ROCPRIM_400000_NS6detail17trampoline_kernelINS0_14default_configENS1_36segmented_radix_sort_config_selectorIblEEZNS1_25segmented_radix_sort_implIS3_Lb0EPKbPbPKlPlN2at6native12_GLOBAL__N_18offset_tEEE10hipError_tPvRmT1_PNSt15iterator_traitsISK_E10value_typeET2_T3_PNSL_ISQ_E10value_typeET4_jRbjT5_SW_jjP12ihipStream_tbEUlT_E_NS1_11comp_targetILNS1_3genE0ELNS1_11target_archE4294967295ELNS1_3gpuE0ELNS1_3repE0EEENS1_30default_config_static_selectorELNS0_4arch9wavefront6targetE0EEEvSK_,"axG",@progbits,_ZN7rocprim17ROCPRIM_400000_NS6detail17trampoline_kernelINS0_14default_configENS1_36segmented_radix_sort_config_selectorIblEEZNS1_25segmented_radix_sort_implIS3_Lb0EPKbPbPKlPlN2at6native12_GLOBAL__N_18offset_tEEE10hipError_tPvRmT1_PNSt15iterator_traitsISK_E10value_typeET2_T3_PNSL_ISQ_E10value_typeET4_jRbjT5_SW_jjP12ihipStream_tbEUlT_E_NS1_11comp_targetILNS1_3genE0ELNS1_11target_archE4294967295ELNS1_3gpuE0ELNS1_3repE0EEENS1_30default_config_static_selectorELNS0_4arch9wavefront6targetE0EEEvSK_,comdat
	.globl	_ZN7rocprim17ROCPRIM_400000_NS6detail17trampoline_kernelINS0_14default_configENS1_36segmented_radix_sort_config_selectorIblEEZNS1_25segmented_radix_sort_implIS3_Lb0EPKbPbPKlPlN2at6native12_GLOBAL__N_18offset_tEEE10hipError_tPvRmT1_PNSt15iterator_traitsISK_E10value_typeET2_T3_PNSL_ISQ_E10value_typeET4_jRbjT5_SW_jjP12ihipStream_tbEUlT_E_NS1_11comp_targetILNS1_3genE0ELNS1_11target_archE4294967295ELNS1_3gpuE0ELNS1_3repE0EEENS1_30default_config_static_selectorELNS0_4arch9wavefront6targetE0EEEvSK_ ; -- Begin function _ZN7rocprim17ROCPRIM_400000_NS6detail17trampoline_kernelINS0_14default_configENS1_36segmented_radix_sort_config_selectorIblEEZNS1_25segmented_radix_sort_implIS3_Lb0EPKbPbPKlPlN2at6native12_GLOBAL__N_18offset_tEEE10hipError_tPvRmT1_PNSt15iterator_traitsISK_E10value_typeET2_T3_PNSL_ISQ_E10value_typeET4_jRbjT5_SW_jjP12ihipStream_tbEUlT_E_NS1_11comp_targetILNS1_3genE0ELNS1_11target_archE4294967295ELNS1_3gpuE0ELNS1_3repE0EEENS1_30default_config_static_selectorELNS0_4arch9wavefront6targetE0EEEvSK_
	.p2align	8
	.type	_ZN7rocprim17ROCPRIM_400000_NS6detail17trampoline_kernelINS0_14default_configENS1_36segmented_radix_sort_config_selectorIblEEZNS1_25segmented_radix_sort_implIS3_Lb0EPKbPbPKlPlN2at6native12_GLOBAL__N_18offset_tEEE10hipError_tPvRmT1_PNSt15iterator_traitsISK_E10value_typeET2_T3_PNSL_ISQ_E10value_typeET4_jRbjT5_SW_jjP12ihipStream_tbEUlT_E_NS1_11comp_targetILNS1_3genE0ELNS1_11target_archE4294967295ELNS1_3gpuE0ELNS1_3repE0EEENS1_30default_config_static_selectorELNS0_4arch9wavefront6targetE0EEEvSK_,@function
_ZN7rocprim17ROCPRIM_400000_NS6detail17trampoline_kernelINS0_14default_configENS1_36segmented_radix_sort_config_selectorIblEEZNS1_25segmented_radix_sort_implIS3_Lb0EPKbPbPKlPlN2at6native12_GLOBAL__N_18offset_tEEE10hipError_tPvRmT1_PNSt15iterator_traitsISK_E10value_typeET2_T3_PNSL_ISQ_E10value_typeET4_jRbjT5_SW_jjP12ihipStream_tbEUlT_E_NS1_11comp_targetILNS1_3genE0ELNS1_11target_archE4294967295ELNS1_3gpuE0ELNS1_3repE0EEENS1_30default_config_static_selectorELNS0_4arch9wavefront6targetE0EEEvSK_: ; @_ZN7rocprim17ROCPRIM_400000_NS6detail17trampoline_kernelINS0_14default_configENS1_36segmented_radix_sort_config_selectorIblEEZNS1_25segmented_radix_sort_implIS3_Lb0EPKbPbPKlPlN2at6native12_GLOBAL__N_18offset_tEEE10hipError_tPvRmT1_PNSt15iterator_traitsISK_E10value_typeET2_T3_PNSL_ISQ_E10value_typeET4_jRbjT5_SW_jjP12ihipStream_tbEUlT_E_NS1_11comp_targetILNS1_3genE0ELNS1_11target_archE4294967295ELNS1_3gpuE0ELNS1_3repE0EEENS1_30default_config_static_selectorELNS0_4arch9wavefront6targetE0EEEvSK_
; %bb.0:
	.section	.rodata,"a",@progbits
	.p2align	6, 0x0
	.amdhsa_kernel _ZN7rocprim17ROCPRIM_400000_NS6detail17trampoline_kernelINS0_14default_configENS1_36segmented_radix_sort_config_selectorIblEEZNS1_25segmented_radix_sort_implIS3_Lb0EPKbPbPKlPlN2at6native12_GLOBAL__N_18offset_tEEE10hipError_tPvRmT1_PNSt15iterator_traitsISK_E10value_typeET2_T3_PNSL_ISQ_E10value_typeET4_jRbjT5_SW_jjP12ihipStream_tbEUlT_E_NS1_11comp_targetILNS1_3genE0ELNS1_11target_archE4294967295ELNS1_3gpuE0ELNS1_3repE0EEENS1_30default_config_static_selectorELNS0_4arch9wavefront6targetE0EEEvSK_
		.amdhsa_group_segment_fixed_size 0
		.amdhsa_private_segment_fixed_size 0
		.amdhsa_kernarg_size 96
		.amdhsa_user_sgpr_count 15
		.amdhsa_user_sgpr_dispatch_ptr 0
		.amdhsa_user_sgpr_queue_ptr 0
		.amdhsa_user_sgpr_kernarg_segment_ptr 1
		.amdhsa_user_sgpr_dispatch_id 0
		.amdhsa_user_sgpr_private_segment_size 0
		.amdhsa_wavefront_size32 1
		.amdhsa_uses_dynamic_stack 0
		.amdhsa_enable_private_segment 0
		.amdhsa_system_sgpr_workgroup_id_x 1
		.amdhsa_system_sgpr_workgroup_id_y 0
		.amdhsa_system_sgpr_workgroup_id_z 0
		.amdhsa_system_sgpr_workgroup_info 0
		.amdhsa_system_vgpr_workitem_id 0
		.amdhsa_next_free_vgpr 1
		.amdhsa_next_free_sgpr 1
		.amdhsa_reserve_vcc 0
		.amdhsa_float_round_mode_32 0
		.amdhsa_float_round_mode_16_64 0
		.amdhsa_float_denorm_mode_32 3
		.amdhsa_float_denorm_mode_16_64 3
		.amdhsa_dx10_clamp 1
		.amdhsa_ieee_mode 1
		.amdhsa_fp16_overflow 0
		.amdhsa_workgroup_processor_mode 1
		.amdhsa_memory_ordered 1
		.amdhsa_forward_progress 0
		.amdhsa_shared_vgpr_count 0
		.amdhsa_exception_fp_ieee_invalid_op 0
		.amdhsa_exception_fp_denorm_src 0
		.amdhsa_exception_fp_ieee_div_zero 0
		.amdhsa_exception_fp_ieee_overflow 0
		.amdhsa_exception_fp_ieee_underflow 0
		.amdhsa_exception_fp_ieee_inexact 0
		.amdhsa_exception_int_div_zero 0
	.end_amdhsa_kernel
	.section	.text._ZN7rocprim17ROCPRIM_400000_NS6detail17trampoline_kernelINS0_14default_configENS1_36segmented_radix_sort_config_selectorIblEEZNS1_25segmented_radix_sort_implIS3_Lb0EPKbPbPKlPlN2at6native12_GLOBAL__N_18offset_tEEE10hipError_tPvRmT1_PNSt15iterator_traitsISK_E10value_typeET2_T3_PNSL_ISQ_E10value_typeET4_jRbjT5_SW_jjP12ihipStream_tbEUlT_E_NS1_11comp_targetILNS1_3genE0ELNS1_11target_archE4294967295ELNS1_3gpuE0ELNS1_3repE0EEENS1_30default_config_static_selectorELNS0_4arch9wavefront6targetE0EEEvSK_,"axG",@progbits,_ZN7rocprim17ROCPRIM_400000_NS6detail17trampoline_kernelINS0_14default_configENS1_36segmented_radix_sort_config_selectorIblEEZNS1_25segmented_radix_sort_implIS3_Lb0EPKbPbPKlPlN2at6native12_GLOBAL__N_18offset_tEEE10hipError_tPvRmT1_PNSt15iterator_traitsISK_E10value_typeET2_T3_PNSL_ISQ_E10value_typeET4_jRbjT5_SW_jjP12ihipStream_tbEUlT_E_NS1_11comp_targetILNS1_3genE0ELNS1_11target_archE4294967295ELNS1_3gpuE0ELNS1_3repE0EEENS1_30default_config_static_selectorELNS0_4arch9wavefront6targetE0EEEvSK_,comdat
.Lfunc_end1635:
	.size	_ZN7rocprim17ROCPRIM_400000_NS6detail17trampoline_kernelINS0_14default_configENS1_36segmented_radix_sort_config_selectorIblEEZNS1_25segmented_radix_sort_implIS3_Lb0EPKbPbPKlPlN2at6native12_GLOBAL__N_18offset_tEEE10hipError_tPvRmT1_PNSt15iterator_traitsISK_E10value_typeET2_T3_PNSL_ISQ_E10value_typeET4_jRbjT5_SW_jjP12ihipStream_tbEUlT_E_NS1_11comp_targetILNS1_3genE0ELNS1_11target_archE4294967295ELNS1_3gpuE0ELNS1_3repE0EEENS1_30default_config_static_selectorELNS0_4arch9wavefront6targetE0EEEvSK_, .Lfunc_end1635-_ZN7rocprim17ROCPRIM_400000_NS6detail17trampoline_kernelINS0_14default_configENS1_36segmented_radix_sort_config_selectorIblEEZNS1_25segmented_radix_sort_implIS3_Lb0EPKbPbPKlPlN2at6native12_GLOBAL__N_18offset_tEEE10hipError_tPvRmT1_PNSt15iterator_traitsISK_E10value_typeET2_T3_PNSL_ISQ_E10value_typeET4_jRbjT5_SW_jjP12ihipStream_tbEUlT_E_NS1_11comp_targetILNS1_3genE0ELNS1_11target_archE4294967295ELNS1_3gpuE0ELNS1_3repE0EEENS1_30default_config_static_selectorELNS0_4arch9wavefront6targetE0EEEvSK_
                                        ; -- End function
	.section	.AMDGPU.csdata,"",@progbits
; Kernel info:
; codeLenInByte = 0
; NumSgprs: 0
; NumVgprs: 0
; ScratchSize: 0
; MemoryBound: 0
; FloatMode: 240
; IeeeMode: 1
; LDSByteSize: 0 bytes/workgroup (compile time only)
; SGPRBlocks: 0
; VGPRBlocks: 0
; NumSGPRsForWavesPerEU: 1
; NumVGPRsForWavesPerEU: 1
; Occupancy: 16
; WaveLimiterHint : 0
; COMPUTE_PGM_RSRC2:SCRATCH_EN: 0
; COMPUTE_PGM_RSRC2:USER_SGPR: 15
; COMPUTE_PGM_RSRC2:TRAP_HANDLER: 0
; COMPUTE_PGM_RSRC2:TGID_X_EN: 1
; COMPUTE_PGM_RSRC2:TGID_Y_EN: 0
; COMPUTE_PGM_RSRC2:TGID_Z_EN: 0
; COMPUTE_PGM_RSRC2:TIDIG_COMP_CNT: 0
	.section	.text._ZN7rocprim17ROCPRIM_400000_NS6detail17trampoline_kernelINS0_14default_configENS1_36segmented_radix_sort_config_selectorIblEEZNS1_25segmented_radix_sort_implIS3_Lb0EPKbPbPKlPlN2at6native12_GLOBAL__N_18offset_tEEE10hipError_tPvRmT1_PNSt15iterator_traitsISK_E10value_typeET2_T3_PNSL_ISQ_E10value_typeET4_jRbjT5_SW_jjP12ihipStream_tbEUlT_E_NS1_11comp_targetILNS1_3genE5ELNS1_11target_archE942ELNS1_3gpuE9ELNS1_3repE0EEENS1_30default_config_static_selectorELNS0_4arch9wavefront6targetE0EEEvSK_,"axG",@progbits,_ZN7rocprim17ROCPRIM_400000_NS6detail17trampoline_kernelINS0_14default_configENS1_36segmented_radix_sort_config_selectorIblEEZNS1_25segmented_radix_sort_implIS3_Lb0EPKbPbPKlPlN2at6native12_GLOBAL__N_18offset_tEEE10hipError_tPvRmT1_PNSt15iterator_traitsISK_E10value_typeET2_T3_PNSL_ISQ_E10value_typeET4_jRbjT5_SW_jjP12ihipStream_tbEUlT_E_NS1_11comp_targetILNS1_3genE5ELNS1_11target_archE942ELNS1_3gpuE9ELNS1_3repE0EEENS1_30default_config_static_selectorELNS0_4arch9wavefront6targetE0EEEvSK_,comdat
	.globl	_ZN7rocprim17ROCPRIM_400000_NS6detail17trampoline_kernelINS0_14default_configENS1_36segmented_radix_sort_config_selectorIblEEZNS1_25segmented_radix_sort_implIS3_Lb0EPKbPbPKlPlN2at6native12_GLOBAL__N_18offset_tEEE10hipError_tPvRmT1_PNSt15iterator_traitsISK_E10value_typeET2_T3_PNSL_ISQ_E10value_typeET4_jRbjT5_SW_jjP12ihipStream_tbEUlT_E_NS1_11comp_targetILNS1_3genE5ELNS1_11target_archE942ELNS1_3gpuE9ELNS1_3repE0EEENS1_30default_config_static_selectorELNS0_4arch9wavefront6targetE0EEEvSK_ ; -- Begin function _ZN7rocprim17ROCPRIM_400000_NS6detail17trampoline_kernelINS0_14default_configENS1_36segmented_radix_sort_config_selectorIblEEZNS1_25segmented_radix_sort_implIS3_Lb0EPKbPbPKlPlN2at6native12_GLOBAL__N_18offset_tEEE10hipError_tPvRmT1_PNSt15iterator_traitsISK_E10value_typeET2_T3_PNSL_ISQ_E10value_typeET4_jRbjT5_SW_jjP12ihipStream_tbEUlT_E_NS1_11comp_targetILNS1_3genE5ELNS1_11target_archE942ELNS1_3gpuE9ELNS1_3repE0EEENS1_30default_config_static_selectorELNS0_4arch9wavefront6targetE0EEEvSK_
	.p2align	8
	.type	_ZN7rocprim17ROCPRIM_400000_NS6detail17trampoline_kernelINS0_14default_configENS1_36segmented_radix_sort_config_selectorIblEEZNS1_25segmented_radix_sort_implIS3_Lb0EPKbPbPKlPlN2at6native12_GLOBAL__N_18offset_tEEE10hipError_tPvRmT1_PNSt15iterator_traitsISK_E10value_typeET2_T3_PNSL_ISQ_E10value_typeET4_jRbjT5_SW_jjP12ihipStream_tbEUlT_E_NS1_11comp_targetILNS1_3genE5ELNS1_11target_archE942ELNS1_3gpuE9ELNS1_3repE0EEENS1_30default_config_static_selectorELNS0_4arch9wavefront6targetE0EEEvSK_,@function
_ZN7rocprim17ROCPRIM_400000_NS6detail17trampoline_kernelINS0_14default_configENS1_36segmented_radix_sort_config_selectorIblEEZNS1_25segmented_radix_sort_implIS3_Lb0EPKbPbPKlPlN2at6native12_GLOBAL__N_18offset_tEEE10hipError_tPvRmT1_PNSt15iterator_traitsISK_E10value_typeET2_T3_PNSL_ISQ_E10value_typeET4_jRbjT5_SW_jjP12ihipStream_tbEUlT_E_NS1_11comp_targetILNS1_3genE5ELNS1_11target_archE942ELNS1_3gpuE9ELNS1_3repE0EEENS1_30default_config_static_selectorELNS0_4arch9wavefront6targetE0EEEvSK_: ; @_ZN7rocprim17ROCPRIM_400000_NS6detail17trampoline_kernelINS0_14default_configENS1_36segmented_radix_sort_config_selectorIblEEZNS1_25segmented_radix_sort_implIS3_Lb0EPKbPbPKlPlN2at6native12_GLOBAL__N_18offset_tEEE10hipError_tPvRmT1_PNSt15iterator_traitsISK_E10value_typeET2_T3_PNSL_ISQ_E10value_typeET4_jRbjT5_SW_jjP12ihipStream_tbEUlT_E_NS1_11comp_targetILNS1_3genE5ELNS1_11target_archE942ELNS1_3gpuE9ELNS1_3repE0EEENS1_30default_config_static_selectorELNS0_4arch9wavefront6targetE0EEEvSK_
; %bb.0:
	.section	.rodata,"a",@progbits
	.p2align	6, 0x0
	.amdhsa_kernel _ZN7rocprim17ROCPRIM_400000_NS6detail17trampoline_kernelINS0_14default_configENS1_36segmented_radix_sort_config_selectorIblEEZNS1_25segmented_radix_sort_implIS3_Lb0EPKbPbPKlPlN2at6native12_GLOBAL__N_18offset_tEEE10hipError_tPvRmT1_PNSt15iterator_traitsISK_E10value_typeET2_T3_PNSL_ISQ_E10value_typeET4_jRbjT5_SW_jjP12ihipStream_tbEUlT_E_NS1_11comp_targetILNS1_3genE5ELNS1_11target_archE942ELNS1_3gpuE9ELNS1_3repE0EEENS1_30default_config_static_selectorELNS0_4arch9wavefront6targetE0EEEvSK_
		.amdhsa_group_segment_fixed_size 0
		.amdhsa_private_segment_fixed_size 0
		.amdhsa_kernarg_size 96
		.amdhsa_user_sgpr_count 15
		.amdhsa_user_sgpr_dispatch_ptr 0
		.amdhsa_user_sgpr_queue_ptr 0
		.amdhsa_user_sgpr_kernarg_segment_ptr 1
		.amdhsa_user_sgpr_dispatch_id 0
		.amdhsa_user_sgpr_private_segment_size 0
		.amdhsa_wavefront_size32 1
		.amdhsa_uses_dynamic_stack 0
		.amdhsa_enable_private_segment 0
		.amdhsa_system_sgpr_workgroup_id_x 1
		.amdhsa_system_sgpr_workgroup_id_y 0
		.amdhsa_system_sgpr_workgroup_id_z 0
		.amdhsa_system_sgpr_workgroup_info 0
		.amdhsa_system_vgpr_workitem_id 0
		.amdhsa_next_free_vgpr 1
		.amdhsa_next_free_sgpr 1
		.amdhsa_reserve_vcc 0
		.amdhsa_float_round_mode_32 0
		.amdhsa_float_round_mode_16_64 0
		.amdhsa_float_denorm_mode_32 3
		.amdhsa_float_denorm_mode_16_64 3
		.amdhsa_dx10_clamp 1
		.amdhsa_ieee_mode 1
		.amdhsa_fp16_overflow 0
		.amdhsa_workgroup_processor_mode 1
		.amdhsa_memory_ordered 1
		.amdhsa_forward_progress 0
		.amdhsa_shared_vgpr_count 0
		.amdhsa_exception_fp_ieee_invalid_op 0
		.amdhsa_exception_fp_denorm_src 0
		.amdhsa_exception_fp_ieee_div_zero 0
		.amdhsa_exception_fp_ieee_overflow 0
		.amdhsa_exception_fp_ieee_underflow 0
		.amdhsa_exception_fp_ieee_inexact 0
		.amdhsa_exception_int_div_zero 0
	.end_amdhsa_kernel
	.section	.text._ZN7rocprim17ROCPRIM_400000_NS6detail17trampoline_kernelINS0_14default_configENS1_36segmented_radix_sort_config_selectorIblEEZNS1_25segmented_radix_sort_implIS3_Lb0EPKbPbPKlPlN2at6native12_GLOBAL__N_18offset_tEEE10hipError_tPvRmT1_PNSt15iterator_traitsISK_E10value_typeET2_T3_PNSL_ISQ_E10value_typeET4_jRbjT5_SW_jjP12ihipStream_tbEUlT_E_NS1_11comp_targetILNS1_3genE5ELNS1_11target_archE942ELNS1_3gpuE9ELNS1_3repE0EEENS1_30default_config_static_selectorELNS0_4arch9wavefront6targetE0EEEvSK_,"axG",@progbits,_ZN7rocprim17ROCPRIM_400000_NS6detail17trampoline_kernelINS0_14default_configENS1_36segmented_radix_sort_config_selectorIblEEZNS1_25segmented_radix_sort_implIS3_Lb0EPKbPbPKlPlN2at6native12_GLOBAL__N_18offset_tEEE10hipError_tPvRmT1_PNSt15iterator_traitsISK_E10value_typeET2_T3_PNSL_ISQ_E10value_typeET4_jRbjT5_SW_jjP12ihipStream_tbEUlT_E_NS1_11comp_targetILNS1_3genE5ELNS1_11target_archE942ELNS1_3gpuE9ELNS1_3repE0EEENS1_30default_config_static_selectorELNS0_4arch9wavefront6targetE0EEEvSK_,comdat
.Lfunc_end1636:
	.size	_ZN7rocprim17ROCPRIM_400000_NS6detail17trampoline_kernelINS0_14default_configENS1_36segmented_radix_sort_config_selectorIblEEZNS1_25segmented_radix_sort_implIS3_Lb0EPKbPbPKlPlN2at6native12_GLOBAL__N_18offset_tEEE10hipError_tPvRmT1_PNSt15iterator_traitsISK_E10value_typeET2_T3_PNSL_ISQ_E10value_typeET4_jRbjT5_SW_jjP12ihipStream_tbEUlT_E_NS1_11comp_targetILNS1_3genE5ELNS1_11target_archE942ELNS1_3gpuE9ELNS1_3repE0EEENS1_30default_config_static_selectorELNS0_4arch9wavefront6targetE0EEEvSK_, .Lfunc_end1636-_ZN7rocprim17ROCPRIM_400000_NS6detail17trampoline_kernelINS0_14default_configENS1_36segmented_radix_sort_config_selectorIblEEZNS1_25segmented_radix_sort_implIS3_Lb0EPKbPbPKlPlN2at6native12_GLOBAL__N_18offset_tEEE10hipError_tPvRmT1_PNSt15iterator_traitsISK_E10value_typeET2_T3_PNSL_ISQ_E10value_typeET4_jRbjT5_SW_jjP12ihipStream_tbEUlT_E_NS1_11comp_targetILNS1_3genE5ELNS1_11target_archE942ELNS1_3gpuE9ELNS1_3repE0EEENS1_30default_config_static_selectorELNS0_4arch9wavefront6targetE0EEEvSK_
                                        ; -- End function
	.section	.AMDGPU.csdata,"",@progbits
; Kernel info:
; codeLenInByte = 0
; NumSgprs: 0
; NumVgprs: 0
; ScratchSize: 0
; MemoryBound: 0
; FloatMode: 240
; IeeeMode: 1
; LDSByteSize: 0 bytes/workgroup (compile time only)
; SGPRBlocks: 0
; VGPRBlocks: 0
; NumSGPRsForWavesPerEU: 1
; NumVGPRsForWavesPerEU: 1
; Occupancy: 16
; WaveLimiterHint : 0
; COMPUTE_PGM_RSRC2:SCRATCH_EN: 0
; COMPUTE_PGM_RSRC2:USER_SGPR: 15
; COMPUTE_PGM_RSRC2:TRAP_HANDLER: 0
; COMPUTE_PGM_RSRC2:TGID_X_EN: 1
; COMPUTE_PGM_RSRC2:TGID_Y_EN: 0
; COMPUTE_PGM_RSRC2:TGID_Z_EN: 0
; COMPUTE_PGM_RSRC2:TIDIG_COMP_CNT: 0
	.section	.text._ZN7rocprim17ROCPRIM_400000_NS6detail17trampoline_kernelINS0_14default_configENS1_36segmented_radix_sort_config_selectorIblEEZNS1_25segmented_radix_sort_implIS3_Lb0EPKbPbPKlPlN2at6native12_GLOBAL__N_18offset_tEEE10hipError_tPvRmT1_PNSt15iterator_traitsISK_E10value_typeET2_T3_PNSL_ISQ_E10value_typeET4_jRbjT5_SW_jjP12ihipStream_tbEUlT_E_NS1_11comp_targetILNS1_3genE4ELNS1_11target_archE910ELNS1_3gpuE8ELNS1_3repE0EEENS1_30default_config_static_selectorELNS0_4arch9wavefront6targetE0EEEvSK_,"axG",@progbits,_ZN7rocprim17ROCPRIM_400000_NS6detail17trampoline_kernelINS0_14default_configENS1_36segmented_radix_sort_config_selectorIblEEZNS1_25segmented_radix_sort_implIS3_Lb0EPKbPbPKlPlN2at6native12_GLOBAL__N_18offset_tEEE10hipError_tPvRmT1_PNSt15iterator_traitsISK_E10value_typeET2_T3_PNSL_ISQ_E10value_typeET4_jRbjT5_SW_jjP12ihipStream_tbEUlT_E_NS1_11comp_targetILNS1_3genE4ELNS1_11target_archE910ELNS1_3gpuE8ELNS1_3repE0EEENS1_30default_config_static_selectorELNS0_4arch9wavefront6targetE0EEEvSK_,comdat
	.globl	_ZN7rocprim17ROCPRIM_400000_NS6detail17trampoline_kernelINS0_14default_configENS1_36segmented_radix_sort_config_selectorIblEEZNS1_25segmented_radix_sort_implIS3_Lb0EPKbPbPKlPlN2at6native12_GLOBAL__N_18offset_tEEE10hipError_tPvRmT1_PNSt15iterator_traitsISK_E10value_typeET2_T3_PNSL_ISQ_E10value_typeET4_jRbjT5_SW_jjP12ihipStream_tbEUlT_E_NS1_11comp_targetILNS1_3genE4ELNS1_11target_archE910ELNS1_3gpuE8ELNS1_3repE0EEENS1_30default_config_static_selectorELNS0_4arch9wavefront6targetE0EEEvSK_ ; -- Begin function _ZN7rocprim17ROCPRIM_400000_NS6detail17trampoline_kernelINS0_14default_configENS1_36segmented_radix_sort_config_selectorIblEEZNS1_25segmented_radix_sort_implIS3_Lb0EPKbPbPKlPlN2at6native12_GLOBAL__N_18offset_tEEE10hipError_tPvRmT1_PNSt15iterator_traitsISK_E10value_typeET2_T3_PNSL_ISQ_E10value_typeET4_jRbjT5_SW_jjP12ihipStream_tbEUlT_E_NS1_11comp_targetILNS1_3genE4ELNS1_11target_archE910ELNS1_3gpuE8ELNS1_3repE0EEENS1_30default_config_static_selectorELNS0_4arch9wavefront6targetE0EEEvSK_
	.p2align	8
	.type	_ZN7rocprim17ROCPRIM_400000_NS6detail17trampoline_kernelINS0_14default_configENS1_36segmented_radix_sort_config_selectorIblEEZNS1_25segmented_radix_sort_implIS3_Lb0EPKbPbPKlPlN2at6native12_GLOBAL__N_18offset_tEEE10hipError_tPvRmT1_PNSt15iterator_traitsISK_E10value_typeET2_T3_PNSL_ISQ_E10value_typeET4_jRbjT5_SW_jjP12ihipStream_tbEUlT_E_NS1_11comp_targetILNS1_3genE4ELNS1_11target_archE910ELNS1_3gpuE8ELNS1_3repE0EEENS1_30default_config_static_selectorELNS0_4arch9wavefront6targetE0EEEvSK_,@function
_ZN7rocprim17ROCPRIM_400000_NS6detail17trampoline_kernelINS0_14default_configENS1_36segmented_radix_sort_config_selectorIblEEZNS1_25segmented_radix_sort_implIS3_Lb0EPKbPbPKlPlN2at6native12_GLOBAL__N_18offset_tEEE10hipError_tPvRmT1_PNSt15iterator_traitsISK_E10value_typeET2_T3_PNSL_ISQ_E10value_typeET4_jRbjT5_SW_jjP12ihipStream_tbEUlT_E_NS1_11comp_targetILNS1_3genE4ELNS1_11target_archE910ELNS1_3gpuE8ELNS1_3repE0EEENS1_30default_config_static_selectorELNS0_4arch9wavefront6targetE0EEEvSK_: ; @_ZN7rocprim17ROCPRIM_400000_NS6detail17trampoline_kernelINS0_14default_configENS1_36segmented_radix_sort_config_selectorIblEEZNS1_25segmented_radix_sort_implIS3_Lb0EPKbPbPKlPlN2at6native12_GLOBAL__N_18offset_tEEE10hipError_tPvRmT1_PNSt15iterator_traitsISK_E10value_typeET2_T3_PNSL_ISQ_E10value_typeET4_jRbjT5_SW_jjP12ihipStream_tbEUlT_E_NS1_11comp_targetILNS1_3genE4ELNS1_11target_archE910ELNS1_3gpuE8ELNS1_3repE0EEENS1_30default_config_static_selectorELNS0_4arch9wavefront6targetE0EEEvSK_
; %bb.0:
	.section	.rodata,"a",@progbits
	.p2align	6, 0x0
	.amdhsa_kernel _ZN7rocprim17ROCPRIM_400000_NS6detail17trampoline_kernelINS0_14default_configENS1_36segmented_radix_sort_config_selectorIblEEZNS1_25segmented_radix_sort_implIS3_Lb0EPKbPbPKlPlN2at6native12_GLOBAL__N_18offset_tEEE10hipError_tPvRmT1_PNSt15iterator_traitsISK_E10value_typeET2_T3_PNSL_ISQ_E10value_typeET4_jRbjT5_SW_jjP12ihipStream_tbEUlT_E_NS1_11comp_targetILNS1_3genE4ELNS1_11target_archE910ELNS1_3gpuE8ELNS1_3repE0EEENS1_30default_config_static_selectorELNS0_4arch9wavefront6targetE0EEEvSK_
		.amdhsa_group_segment_fixed_size 0
		.amdhsa_private_segment_fixed_size 0
		.amdhsa_kernarg_size 96
		.amdhsa_user_sgpr_count 15
		.amdhsa_user_sgpr_dispatch_ptr 0
		.amdhsa_user_sgpr_queue_ptr 0
		.amdhsa_user_sgpr_kernarg_segment_ptr 1
		.amdhsa_user_sgpr_dispatch_id 0
		.amdhsa_user_sgpr_private_segment_size 0
		.amdhsa_wavefront_size32 1
		.amdhsa_uses_dynamic_stack 0
		.amdhsa_enable_private_segment 0
		.amdhsa_system_sgpr_workgroup_id_x 1
		.amdhsa_system_sgpr_workgroup_id_y 0
		.amdhsa_system_sgpr_workgroup_id_z 0
		.amdhsa_system_sgpr_workgroup_info 0
		.amdhsa_system_vgpr_workitem_id 0
		.amdhsa_next_free_vgpr 1
		.amdhsa_next_free_sgpr 1
		.amdhsa_reserve_vcc 0
		.amdhsa_float_round_mode_32 0
		.amdhsa_float_round_mode_16_64 0
		.amdhsa_float_denorm_mode_32 3
		.amdhsa_float_denorm_mode_16_64 3
		.amdhsa_dx10_clamp 1
		.amdhsa_ieee_mode 1
		.amdhsa_fp16_overflow 0
		.amdhsa_workgroup_processor_mode 1
		.amdhsa_memory_ordered 1
		.amdhsa_forward_progress 0
		.amdhsa_shared_vgpr_count 0
		.amdhsa_exception_fp_ieee_invalid_op 0
		.amdhsa_exception_fp_denorm_src 0
		.amdhsa_exception_fp_ieee_div_zero 0
		.amdhsa_exception_fp_ieee_overflow 0
		.amdhsa_exception_fp_ieee_underflow 0
		.amdhsa_exception_fp_ieee_inexact 0
		.amdhsa_exception_int_div_zero 0
	.end_amdhsa_kernel
	.section	.text._ZN7rocprim17ROCPRIM_400000_NS6detail17trampoline_kernelINS0_14default_configENS1_36segmented_radix_sort_config_selectorIblEEZNS1_25segmented_radix_sort_implIS3_Lb0EPKbPbPKlPlN2at6native12_GLOBAL__N_18offset_tEEE10hipError_tPvRmT1_PNSt15iterator_traitsISK_E10value_typeET2_T3_PNSL_ISQ_E10value_typeET4_jRbjT5_SW_jjP12ihipStream_tbEUlT_E_NS1_11comp_targetILNS1_3genE4ELNS1_11target_archE910ELNS1_3gpuE8ELNS1_3repE0EEENS1_30default_config_static_selectorELNS0_4arch9wavefront6targetE0EEEvSK_,"axG",@progbits,_ZN7rocprim17ROCPRIM_400000_NS6detail17trampoline_kernelINS0_14default_configENS1_36segmented_radix_sort_config_selectorIblEEZNS1_25segmented_radix_sort_implIS3_Lb0EPKbPbPKlPlN2at6native12_GLOBAL__N_18offset_tEEE10hipError_tPvRmT1_PNSt15iterator_traitsISK_E10value_typeET2_T3_PNSL_ISQ_E10value_typeET4_jRbjT5_SW_jjP12ihipStream_tbEUlT_E_NS1_11comp_targetILNS1_3genE4ELNS1_11target_archE910ELNS1_3gpuE8ELNS1_3repE0EEENS1_30default_config_static_selectorELNS0_4arch9wavefront6targetE0EEEvSK_,comdat
.Lfunc_end1637:
	.size	_ZN7rocprim17ROCPRIM_400000_NS6detail17trampoline_kernelINS0_14default_configENS1_36segmented_radix_sort_config_selectorIblEEZNS1_25segmented_radix_sort_implIS3_Lb0EPKbPbPKlPlN2at6native12_GLOBAL__N_18offset_tEEE10hipError_tPvRmT1_PNSt15iterator_traitsISK_E10value_typeET2_T3_PNSL_ISQ_E10value_typeET4_jRbjT5_SW_jjP12ihipStream_tbEUlT_E_NS1_11comp_targetILNS1_3genE4ELNS1_11target_archE910ELNS1_3gpuE8ELNS1_3repE0EEENS1_30default_config_static_selectorELNS0_4arch9wavefront6targetE0EEEvSK_, .Lfunc_end1637-_ZN7rocprim17ROCPRIM_400000_NS6detail17trampoline_kernelINS0_14default_configENS1_36segmented_radix_sort_config_selectorIblEEZNS1_25segmented_radix_sort_implIS3_Lb0EPKbPbPKlPlN2at6native12_GLOBAL__N_18offset_tEEE10hipError_tPvRmT1_PNSt15iterator_traitsISK_E10value_typeET2_T3_PNSL_ISQ_E10value_typeET4_jRbjT5_SW_jjP12ihipStream_tbEUlT_E_NS1_11comp_targetILNS1_3genE4ELNS1_11target_archE910ELNS1_3gpuE8ELNS1_3repE0EEENS1_30default_config_static_selectorELNS0_4arch9wavefront6targetE0EEEvSK_
                                        ; -- End function
	.section	.AMDGPU.csdata,"",@progbits
; Kernel info:
; codeLenInByte = 0
; NumSgprs: 0
; NumVgprs: 0
; ScratchSize: 0
; MemoryBound: 0
; FloatMode: 240
; IeeeMode: 1
; LDSByteSize: 0 bytes/workgroup (compile time only)
; SGPRBlocks: 0
; VGPRBlocks: 0
; NumSGPRsForWavesPerEU: 1
; NumVGPRsForWavesPerEU: 1
; Occupancy: 16
; WaveLimiterHint : 0
; COMPUTE_PGM_RSRC2:SCRATCH_EN: 0
; COMPUTE_PGM_RSRC2:USER_SGPR: 15
; COMPUTE_PGM_RSRC2:TRAP_HANDLER: 0
; COMPUTE_PGM_RSRC2:TGID_X_EN: 1
; COMPUTE_PGM_RSRC2:TGID_Y_EN: 0
; COMPUTE_PGM_RSRC2:TGID_Z_EN: 0
; COMPUTE_PGM_RSRC2:TIDIG_COMP_CNT: 0
	.section	.text._ZN7rocprim17ROCPRIM_400000_NS6detail17trampoline_kernelINS0_14default_configENS1_36segmented_radix_sort_config_selectorIblEEZNS1_25segmented_radix_sort_implIS3_Lb0EPKbPbPKlPlN2at6native12_GLOBAL__N_18offset_tEEE10hipError_tPvRmT1_PNSt15iterator_traitsISK_E10value_typeET2_T3_PNSL_ISQ_E10value_typeET4_jRbjT5_SW_jjP12ihipStream_tbEUlT_E_NS1_11comp_targetILNS1_3genE3ELNS1_11target_archE908ELNS1_3gpuE7ELNS1_3repE0EEENS1_30default_config_static_selectorELNS0_4arch9wavefront6targetE0EEEvSK_,"axG",@progbits,_ZN7rocprim17ROCPRIM_400000_NS6detail17trampoline_kernelINS0_14default_configENS1_36segmented_radix_sort_config_selectorIblEEZNS1_25segmented_radix_sort_implIS3_Lb0EPKbPbPKlPlN2at6native12_GLOBAL__N_18offset_tEEE10hipError_tPvRmT1_PNSt15iterator_traitsISK_E10value_typeET2_T3_PNSL_ISQ_E10value_typeET4_jRbjT5_SW_jjP12ihipStream_tbEUlT_E_NS1_11comp_targetILNS1_3genE3ELNS1_11target_archE908ELNS1_3gpuE7ELNS1_3repE0EEENS1_30default_config_static_selectorELNS0_4arch9wavefront6targetE0EEEvSK_,comdat
	.globl	_ZN7rocprim17ROCPRIM_400000_NS6detail17trampoline_kernelINS0_14default_configENS1_36segmented_radix_sort_config_selectorIblEEZNS1_25segmented_radix_sort_implIS3_Lb0EPKbPbPKlPlN2at6native12_GLOBAL__N_18offset_tEEE10hipError_tPvRmT1_PNSt15iterator_traitsISK_E10value_typeET2_T3_PNSL_ISQ_E10value_typeET4_jRbjT5_SW_jjP12ihipStream_tbEUlT_E_NS1_11comp_targetILNS1_3genE3ELNS1_11target_archE908ELNS1_3gpuE7ELNS1_3repE0EEENS1_30default_config_static_selectorELNS0_4arch9wavefront6targetE0EEEvSK_ ; -- Begin function _ZN7rocprim17ROCPRIM_400000_NS6detail17trampoline_kernelINS0_14default_configENS1_36segmented_radix_sort_config_selectorIblEEZNS1_25segmented_radix_sort_implIS3_Lb0EPKbPbPKlPlN2at6native12_GLOBAL__N_18offset_tEEE10hipError_tPvRmT1_PNSt15iterator_traitsISK_E10value_typeET2_T3_PNSL_ISQ_E10value_typeET4_jRbjT5_SW_jjP12ihipStream_tbEUlT_E_NS1_11comp_targetILNS1_3genE3ELNS1_11target_archE908ELNS1_3gpuE7ELNS1_3repE0EEENS1_30default_config_static_selectorELNS0_4arch9wavefront6targetE0EEEvSK_
	.p2align	8
	.type	_ZN7rocprim17ROCPRIM_400000_NS6detail17trampoline_kernelINS0_14default_configENS1_36segmented_radix_sort_config_selectorIblEEZNS1_25segmented_radix_sort_implIS3_Lb0EPKbPbPKlPlN2at6native12_GLOBAL__N_18offset_tEEE10hipError_tPvRmT1_PNSt15iterator_traitsISK_E10value_typeET2_T3_PNSL_ISQ_E10value_typeET4_jRbjT5_SW_jjP12ihipStream_tbEUlT_E_NS1_11comp_targetILNS1_3genE3ELNS1_11target_archE908ELNS1_3gpuE7ELNS1_3repE0EEENS1_30default_config_static_selectorELNS0_4arch9wavefront6targetE0EEEvSK_,@function
_ZN7rocprim17ROCPRIM_400000_NS6detail17trampoline_kernelINS0_14default_configENS1_36segmented_radix_sort_config_selectorIblEEZNS1_25segmented_radix_sort_implIS3_Lb0EPKbPbPKlPlN2at6native12_GLOBAL__N_18offset_tEEE10hipError_tPvRmT1_PNSt15iterator_traitsISK_E10value_typeET2_T3_PNSL_ISQ_E10value_typeET4_jRbjT5_SW_jjP12ihipStream_tbEUlT_E_NS1_11comp_targetILNS1_3genE3ELNS1_11target_archE908ELNS1_3gpuE7ELNS1_3repE0EEENS1_30default_config_static_selectorELNS0_4arch9wavefront6targetE0EEEvSK_: ; @_ZN7rocprim17ROCPRIM_400000_NS6detail17trampoline_kernelINS0_14default_configENS1_36segmented_radix_sort_config_selectorIblEEZNS1_25segmented_radix_sort_implIS3_Lb0EPKbPbPKlPlN2at6native12_GLOBAL__N_18offset_tEEE10hipError_tPvRmT1_PNSt15iterator_traitsISK_E10value_typeET2_T3_PNSL_ISQ_E10value_typeET4_jRbjT5_SW_jjP12ihipStream_tbEUlT_E_NS1_11comp_targetILNS1_3genE3ELNS1_11target_archE908ELNS1_3gpuE7ELNS1_3repE0EEENS1_30default_config_static_selectorELNS0_4arch9wavefront6targetE0EEEvSK_
; %bb.0:
	.section	.rodata,"a",@progbits
	.p2align	6, 0x0
	.amdhsa_kernel _ZN7rocprim17ROCPRIM_400000_NS6detail17trampoline_kernelINS0_14default_configENS1_36segmented_radix_sort_config_selectorIblEEZNS1_25segmented_radix_sort_implIS3_Lb0EPKbPbPKlPlN2at6native12_GLOBAL__N_18offset_tEEE10hipError_tPvRmT1_PNSt15iterator_traitsISK_E10value_typeET2_T3_PNSL_ISQ_E10value_typeET4_jRbjT5_SW_jjP12ihipStream_tbEUlT_E_NS1_11comp_targetILNS1_3genE3ELNS1_11target_archE908ELNS1_3gpuE7ELNS1_3repE0EEENS1_30default_config_static_selectorELNS0_4arch9wavefront6targetE0EEEvSK_
		.amdhsa_group_segment_fixed_size 0
		.amdhsa_private_segment_fixed_size 0
		.amdhsa_kernarg_size 96
		.amdhsa_user_sgpr_count 15
		.amdhsa_user_sgpr_dispatch_ptr 0
		.amdhsa_user_sgpr_queue_ptr 0
		.amdhsa_user_sgpr_kernarg_segment_ptr 1
		.amdhsa_user_sgpr_dispatch_id 0
		.amdhsa_user_sgpr_private_segment_size 0
		.amdhsa_wavefront_size32 1
		.amdhsa_uses_dynamic_stack 0
		.amdhsa_enable_private_segment 0
		.amdhsa_system_sgpr_workgroup_id_x 1
		.amdhsa_system_sgpr_workgroup_id_y 0
		.amdhsa_system_sgpr_workgroup_id_z 0
		.amdhsa_system_sgpr_workgroup_info 0
		.amdhsa_system_vgpr_workitem_id 0
		.amdhsa_next_free_vgpr 1
		.amdhsa_next_free_sgpr 1
		.amdhsa_reserve_vcc 0
		.amdhsa_float_round_mode_32 0
		.amdhsa_float_round_mode_16_64 0
		.amdhsa_float_denorm_mode_32 3
		.amdhsa_float_denorm_mode_16_64 3
		.amdhsa_dx10_clamp 1
		.amdhsa_ieee_mode 1
		.amdhsa_fp16_overflow 0
		.amdhsa_workgroup_processor_mode 1
		.amdhsa_memory_ordered 1
		.amdhsa_forward_progress 0
		.amdhsa_shared_vgpr_count 0
		.amdhsa_exception_fp_ieee_invalid_op 0
		.amdhsa_exception_fp_denorm_src 0
		.amdhsa_exception_fp_ieee_div_zero 0
		.amdhsa_exception_fp_ieee_overflow 0
		.amdhsa_exception_fp_ieee_underflow 0
		.amdhsa_exception_fp_ieee_inexact 0
		.amdhsa_exception_int_div_zero 0
	.end_amdhsa_kernel
	.section	.text._ZN7rocprim17ROCPRIM_400000_NS6detail17trampoline_kernelINS0_14default_configENS1_36segmented_radix_sort_config_selectorIblEEZNS1_25segmented_radix_sort_implIS3_Lb0EPKbPbPKlPlN2at6native12_GLOBAL__N_18offset_tEEE10hipError_tPvRmT1_PNSt15iterator_traitsISK_E10value_typeET2_T3_PNSL_ISQ_E10value_typeET4_jRbjT5_SW_jjP12ihipStream_tbEUlT_E_NS1_11comp_targetILNS1_3genE3ELNS1_11target_archE908ELNS1_3gpuE7ELNS1_3repE0EEENS1_30default_config_static_selectorELNS0_4arch9wavefront6targetE0EEEvSK_,"axG",@progbits,_ZN7rocprim17ROCPRIM_400000_NS6detail17trampoline_kernelINS0_14default_configENS1_36segmented_radix_sort_config_selectorIblEEZNS1_25segmented_radix_sort_implIS3_Lb0EPKbPbPKlPlN2at6native12_GLOBAL__N_18offset_tEEE10hipError_tPvRmT1_PNSt15iterator_traitsISK_E10value_typeET2_T3_PNSL_ISQ_E10value_typeET4_jRbjT5_SW_jjP12ihipStream_tbEUlT_E_NS1_11comp_targetILNS1_3genE3ELNS1_11target_archE908ELNS1_3gpuE7ELNS1_3repE0EEENS1_30default_config_static_selectorELNS0_4arch9wavefront6targetE0EEEvSK_,comdat
.Lfunc_end1638:
	.size	_ZN7rocprim17ROCPRIM_400000_NS6detail17trampoline_kernelINS0_14default_configENS1_36segmented_radix_sort_config_selectorIblEEZNS1_25segmented_radix_sort_implIS3_Lb0EPKbPbPKlPlN2at6native12_GLOBAL__N_18offset_tEEE10hipError_tPvRmT1_PNSt15iterator_traitsISK_E10value_typeET2_T3_PNSL_ISQ_E10value_typeET4_jRbjT5_SW_jjP12ihipStream_tbEUlT_E_NS1_11comp_targetILNS1_3genE3ELNS1_11target_archE908ELNS1_3gpuE7ELNS1_3repE0EEENS1_30default_config_static_selectorELNS0_4arch9wavefront6targetE0EEEvSK_, .Lfunc_end1638-_ZN7rocprim17ROCPRIM_400000_NS6detail17trampoline_kernelINS0_14default_configENS1_36segmented_radix_sort_config_selectorIblEEZNS1_25segmented_radix_sort_implIS3_Lb0EPKbPbPKlPlN2at6native12_GLOBAL__N_18offset_tEEE10hipError_tPvRmT1_PNSt15iterator_traitsISK_E10value_typeET2_T3_PNSL_ISQ_E10value_typeET4_jRbjT5_SW_jjP12ihipStream_tbEUlT_E_NS1_11comp_targetILNS1_3genE3ELNS1_11target_archE908ELNS1_3gpuE7ELNS1_3repE0EEENS1_30default_config_static_selectorELNS0_4arch9wavefront6targetE0EEEvSK_
                                        ; -- End function
	.section	.AMDGPU.csdata,"",@progbits
; Kernel info:
; codeLenInByte = 0
; NumSgprs: 0
; NumVgprs: 0
; ScratchSize: 0
; MemoryBound: 0
; FloatMode: 240
; IeeeMode: 1
; LDSByteSize: 0 bytes/workgroup (compile time only)
; SGPRBlocks: 0
; VGPRBlocks: 0
; NumSGPRsForWavesPerEU: 1
; NumVGPRsForWavesPerEU: 1
; Occupancy: 16
; WaveLimiterHint : 0
; COMPUTE_PGM_RSRC2:SCRATCH_EN: 0
; COMPUTE_PGM_RSRC2:USER_SGPR: 15
; COMPUTE_PGM_RSRC2:TRAP_HANDLER: 0
; COMPUTE_PGM_RSRC2:TGID_X_EN: 1
; COMPUTE_PGM_RSRC2:TGID_Y_EN: 0
; COMPUTE_PGM_RSRC2:TGID_Z_EN: 0
; COMPUTE_PGM_RSRC2:TIDIG_COMP_CNT: 0
	.section	.text._ZN7rocprim17ROCPRIM_400000_NS6detail17trampoline_kernelINS0_14default_configENS1_36segmented_radix_sort_config_selectorIblEEZNS1_25segmented_radix_sort_implIS3_Lb0EPKbPbPKlPlN2at6native12_GLOBAL__N_18offset_tEEE10hipError_tPvRmT1_PNSt15iterator_traitsISK_E10value_typeET2_T3_PNSL_ISQ_E10value_typeET4_jRbjT5_SW_jjP12ihipStream_tbEUlT_E_NS1_11comp_targetILNS1_3genE2ELNS1_11target_archE906ELNS1_3gpuE6ELNS1_3repE0EEENS1_30default_config_static_selectorELNS0_4arch9wavefront6targetE0EEEvSK_,"axG",@progbits,_ZN7rocprim17ROCPRIM_400000_NS6detail17trampoline_kernelINS0_14default_configENS1_36segmented_radix_sort_config_selectorIblEEZNS1_25segmented_radix_sort_implIS3_Lb0EPKbPbPKlPlN2at6native12_GLOBAL__N_18offset_tEEE10hipError_tPvRmT1_PNSt15iterator_traitsISK_E10value_typeET2_T3_PNSL_ISQ_E10value_typeET4_jRbjT5_SW_jjP12ihipStream_tbEUlT_E_NS1_11comp_targetILNS1_3genE2ELNS1_11target_archE906ELNS1_3gpuE6ELNS1_3repE0EEENS1_30default_config_static_selectorELNS0_4arch9wavefront6targetE0EEEvSK_,comdat
	.globl	_ZN7rocprim17ROCPRIM_400000_NS6detail17trampoline_kernelINS0_14default_configENS1_36segmented_radix_sort_config_selectorIblEEZNS1_25segmented_radix_sort_implIS3_Lb0EPKbPbPKlPlN2at6native12_GLOBAL__N_18offset_tEEE10hipError_tPvRmT1_PNSt15iterator_traitsISK_E10value_typeET2_T3_PNSL_ISQ_E10value_typeET4_jRbjT5_SW_jjP12ihipStream_tbEUlT_E_NS1_11comp_targetILNS1_3genE2ELNS1_11target_archE906ELNS1_3gpuE6ELNS1_3repE0EEENS1_30default_config_static_selectorELNS0_4arch9wavefront6targetE0EEEvSK_ ; -- Begin function _ZN7rocprim17ROCPRIM_400000_NS6detail17trampoline_kernelINS0_14default_configENS1_36segmented_radix_sort_config_selectorIblEEZNS1_25segmented_radix_sort_implIS3_Lb0EPKbPbPKlPlN2at6native12_GLOBAL__N_18offset_tEEE10hipError_tPvRmT1_PNSt15iterator_traitsISK_E10value_typeET2_T3_PNSL_ISQ_E10value_typeET4_jRbjT5_SW_jjP12ihipStream_tbEUlT_E_NS1_11comp_targetILNS1_3genE2ELNS1_11target_archE906ELNS1_3gpuE6ELNS1_3repE0EEENS1_30default_config_static_selectorELNS0_4arch9wavefront6targetE0EEEvSK_
	.p2align	8
	.type	_ZN7rocprim17ROCPRIM_400000_NS6detail17trampoline_kernelINS0_14default_configENS1_36segmented_radix_sort_config_selectorIblEEZNS1_25segmented_radix_sort_implIS3_Lb0EPKbPbPKlPlN2at6native12_GLOBAL__N_18offset_tEEE10hipError_tPvRmT1_PNSt15iterator_traitsISK_E10value_typeET2_T3_PNSL_ISQ_E10value_typeET4_jRbjT5_SW_jjP12ihipStream_tbEUlT_E_NS1_11comp_targetILNS1_3genE2ELNS1_11target_archE906ELNS1_3gpuE6ELNS1_3repE0EEENS1_30default_config_static_selectorELNS0_4arch9wavefront6targetE0EEEvSK_,@function
_ZN7rocprim17ROCPRIM_400000_NS6detail17trampoline_kernelINS0_14default_configENS1_36segmented_radix_sort_config_selectorIblEEZNS1_25segmented_radix_sort_implIS3_Lb0EPKbPbPKlPlN2at6native12_GLOBAL__N_18offset_tEEE10hipError_tPvRmT1_PNSt15iterator_traitsISK_E10value_typeET2_T3_PNSL_ISQ_E10value_typeET4_jRbjT5_SW_jjP12ihipStream_tbEUlT_E_NS1_11comp_targetILNS1_3genE2ELNS1_11target_archE906ELNS1_3gpuE6ELNS1_3repE0EEENS1_30default_config_static_selectorELNS0_4arch9wavefront6targetE0EEEvSK_: ; @_ZN7rocprim17ROCPRIM_400000_NS6detail17trampoline_kernelINS0_14default_configENS1_36segmented_radix_sort_config_selectorIblEEZNS1_25segmented_radix_sort_implIS3_Lb0EPKbPbPKlPlN2at6native12_GLOBAL__N_18offset_tEEE10hipError_tPvRmT1_PNSt15iterator_traitsISK_E10value_typeET2_T3_PNSL_ISQ_E10value_typeET4_jRbjT5_SW_jjP12ihipStream_tbEUlT_E_NS1_11comp_targetILNS1_3genE2ELNS1_11target_archE906ELNS1_3gpuE6ELNS1_3repE0EEENS1_30default_config_static_selectorELNS0_4arch9wavefront6targetE0EEEvSK_
; %bb.0:
	.section	.rodata,"a",@progbits
	.p2align	6, 0x0
	.amdhsa_kernel _ZN7rocprim17ROCPRIM_400000_NS6detail17trampoline_kernelINS0_14default_configENS1_36segmented_radix_sort_config_selectorIblEEZNS1_25segmented_radix_sort_implIS3_Lb0EPKbPbPKlPlN2at6native12_GLOBAL__N_18offset_tEEE10hipError_tPvRmT1_PNSt15iterator_traitsISK_E10value_typeET2_T3_PNSL_ISQ_E10value_typeET4_jRbjT5_SW_jjP12ihipStream_tbEUlT_E_NS1_11comp_targetILNS1_3genE2ELNS1_11target_archE906ELNS1_3gpuE6ELNS1_3repE0EEENS1_30default_config_static_selectorELNS0_4arch9wavefront6targetE0EEEvSK_
		.amdhsa_group_segment_fixed_size 0
		.amdhsa_private_segment_fixed_size 0
		.amdhsa_kernarg_size 96
		.amdhsa_user_sgpr_count 15
		.amdhsa_user_sgpr_dispatch_ptr 0
		.amdhsa_user_sgpr_queue_ptr 0
		.amdhsa_user_sgpr_kernarg_segment_ptr 1
		.amdhsa_user_sgpr_dispatch_id 0
		.amdhsa_user_sgpr_private_segment_size 0
		.amdhsa_wavefront_size32 1
		.amdhsa_uses_dynamic_stack 0
		.amdhsa_enable_private_segment 0
		.amdhsa_system_sgpr_workgroup_id_x 1
		.amdhsa_system_sgpr_workgroup_id_y 0
		.amdhsa_system_sgpr_workgroup_id_z 0
		.amdhsa_system_sgpr_workgroup_info 0
		.amdhsa_system_vgpr_workitem_id 0
		.amdhsa_next_free_vgpr 1
		.amdhsa_next_free_sgpr 1
		.amdhsa_reserve_vcc 0
		.amdhsa_float_round_mode_32 0
		.amdhsa_float_round_mode_16_64 0
		.amdhsa_float_denorm_mode_32 3
		.amdhsa_float_denorm_mode_16_64 3
		.amdhsa_dx10_clamp 1
		.amdhsa_ieee_mode 1
		.amdhsa_fp16_overflow 0
		.amdhsa_workgroup_processor_mode 1
		.amdhsa_memory_ordered 1
		.amdhsa_forward_progress 0
		.amdhsa_shared_vgpr_count 0
		.amdhsa_exception_fp_ieee_invalid_op 0
		.amdhsa_exception_fp_denorm_src 0
		.amdhsa_exception_fp_ieee_div_zero 0
		.amdhsa_exception_fp_ieee_overflow 0
		.amdhsa_exception_fp_ieee_underflow 0
		.amdhsa_exception_fp_ieee_inexact 0
		.amdhsa_exception_int_div_zero 0
	.end_amdhsa_kernel
	.section	.text._ZN7rocprim17ROCPRIM_400000_NS6detail17trampoline_kernelINS0_14default_configENS1_36segmented_radix_sort_config_selectorIblEEZNS1_25segmented_radix_sort_implIS3_Lb0EPKbPbPKlPlN2at6native12_GLOBAL__N_18offset_tEEE10hipError_tPvRmT1_PNSt15iterator_traitsISK_E10value_typeET2_T3_PNSL_ISQ_E10value_typeET4_jRbjT5_SW_jjP12ihipStream_tbEUlT_E_NS1_11comp_targetILNS1_3genE2ELNS1_11target_archE906ELNS1_3gpuE6ELNS1_3repE0EEENS1_30default_config_static_selectorELNS0_4arch9wavefront6targetE0EEEvSK_,"axG",@progbits,_ZN7rocprim17ROCPRIM_400000_NS6detail17trampoline_kernelINS0_14default_configENS1_36segmented_radix_sort_config_selectorIblEEZNS1_25segmented_radix_sort_implIS3_Lb0EPKbPbPKlPlN2at6native12_GLOBAL__N_18offset_tEEE10hipError_tPvRmT1_PNSt15iterator_traitsISK_E10value_typeET2_T3_PNSL_ISQ_E10value_typeET4_jRbjT5_SW_jjP12ihipStream_tbEUlT_E_NS1_11comp_targetILNS1_3genE2ELNS1_11target_archE906ELNS1_3gpuE6ELNS1_3repE0EEENS1_30default_config_static_selectorELNS0_4arch9wavefront6targetE0EEEvSK_,comdat
.Lfunc_end1639:
	.size	_ZN7rocprim17ROCPRIM_400000_NS6detail17trampoline_kernelINS0_14default_configENS1_36segmented_radix_sort_config_selectorIblEEZNS1_25segmented_radix_sort_implIS3_Lb0EPKbPbPKlPlN2at6native12_GLOBAL__N_18offset_tEEE10hipError_tPvRmT1_PNSt15iterator_traitsISK_E10value_typeET2_T3_PNSL_ISQ_E10value_typeET4_jRbjT5_SW_jjP12ihipStream_tbEUlT_E_NS1_11comp_targetILNS1_3genE2ELNS1_11target_archE906ELNS1_3gpuE6ELNS1_3repE0EEENS1_30default_config_static_selectorELNS0_4arch9wavefront6targetE0EEEvSK_, .Lfunc_end1639-_ZN7rocprim17ROCPRIM_400000_NS6detail17trampoline_kernelINS0_14default_configENS1_36segmented_radix_sort_config_selectorIblEEZNS1_25segmented_radix_sort_implIS3_Lb0EPKbPbPKlPlN2at6native12_GLOBAL__N_18offset_tEEE10hipError_tPvRmT1_PNSt15iterator_traitsISK_E10value_typeET2_T3_PNSL_ISQ_E10value_typeET4_jRbjT5_SW_jjP12ihipStream_tbEUlT_E_NS1_11comp_targetILNS1_3genE2ELNS1_11target_archE906ELNS1_3gpuE6ELNS1_3repE0EEENS1_30default_config_static_selectorELNS0_4arch9wavefront6targetE0EEEvSK_
                                        ; -- End function
	.section	.AMDGPU.csdata,"",@progbits
; Kernel info:
; codeLenInByte = 0
; NumSgprs: 0
; NumVgprs: 0
; ScratchSize: 0
; MemoryBound: 0
; FloatMode: 240
; IeeeMode: 1
; LDSByteSize: 0 bytes/workgroup (compile time only)
; SGPRBlocks: 0
; VGPRBlocks: 0
; NumSGPRsForWavesPerEU: 1
; NumVGPRsForWavesPerEU: 1
; Occupancy: 16
; WaveLimiterHint : 0
; COMPUTE_PGM_RSRC2:SCRATCH_EN: 0
; COMPUTE_PGM_RSRC2:USER_SGPR: 15
; COMPUTE_PGM_RSRC2:TRAP_HANDLER: 0
; COMPUTE_PGM_RSRC2:TGID_X_EN: 1
; COMPUTE_PGM_RSRC2:TGID_Y_EN: 0
; COMPUTE_PGM_RSRC2:TGID_Z_EN: 0
; COMPUTE_PGM_RSRC2:TIDIG_COMP_CNT: 0
	.section	.text._ZN7rocprim17ROCPRIM_400000_NS6detail17trampoline_kernelINS0_14default_configENS1_36segmented_radix_sort_config_selectorIblEEZNS1_25segmented_radix_sort_implIS3_Lb0EPKbPbPKlPlN2at6native12_GLOBAL__N_18offset_tEEE10hipError_tPvRmT1_PNSt15iterator_traitsISK_E10value_typeET2_T3_PNSL_ISQ_E10value_typeET4_jRbjT5_SW_jjP12ihipStream_tbEUlT_E_NS1_11comp_targetILNS1_3genE10ELNS1_11target_archE1201ELNS1_3gpuE5ELNS1_3repE0EEENS1_30default_config_static_selectorELNS0_4arch9wavefront6targetE0EEEvSK_,"axG",@progbits,_ZN7rocprim17ROCPRIM_400000_NS6detail17trampoline_kernelINS0_14default_configENS1_36segmented_radix_sort_config_selectorIblEEZNS1_25segmented_radix_sort_implIS3_Lb0EPKbPbPKlPlN2at6native12_GLOBAL__N_18offset_tEEE10hipError_tPvRmT1_PNSt15iterator_traitsISK_E10value_typeET2_T3_PNSL_ISQ_E10value_typeET4_jRbjT5_SW_jjP12ihipStream_tbEUlT_E_NS1_11comp_targetILNS1_3genE10ELNS1_11target_archE1201ELNS1_3gpuE5ELNS1_3repE0EEENS1_30default_config_static_selectorELNS0_4arch9wavefront6targetE0EEEvSK_,comdat
	.globl	_ZN7rocprim17ROCPRIM_400000_NS6detail17trampoline_kernelINS0_14default_configENS1_36segmented_radix_sort_config_selectorIblEEZNS1_25segmented_radix_sort_implIS3_Lb0EPKbPbPKlPlN2at6native12_GLOBAL__N_18offset_tEEE10hipError_tPvRmT1_PNSt15iterator_traitsISK_E10value_typeET2_T3_PNSL_ISQ_E10value_typeET4_jRbjT5_SW_jjP12ihipStream_tbEUlT_E_NS1_11comp_targetILNS1_3genE10ELNS1_11target_archE1201ELNS1_3gpuE5ELNS1_3repE0EEENS1_30default_config_static_selectorELNS0_4arch9wavefront6targetE0EEEvSK_ ; -- Begin function _ZN7rocprim17ROCPRIM_400000_NS6detail17trampoline_kernelINS0_14default_configENS1_36segmented_radix_sort_config_selectorIblEEZNS1_25segmented_radix_sort_implIS3_Lb0EPKbPbPKlPlN2at6native12_GLOBAL__N_18offset_tEEE10hipError_tPvRmT1_PNSt15iterator_traitsISK_E10value_typeET2_T3_PNSL_ISQ_E10value_typeET4_jRbjT5_SW_jjP12ihipStream_tbEUlT_E_NS1_11comp_targetILNS1_3genE10ELNS1_11target_archE1201ELNS1_3gpuE5ELNS1_3repE0EEENS1_30default_config_static_selectorELNS0_4arch9wavefront6targetE0EEEvSK_
	.p2align	8
	.type	_ZN7rocprim17ROCPRIM_400000_NS6detail17trampoline_kernelINS0_14default_configENS1_36segmented_radix_sort_config_selectorIblEEZNS1_25segmented_radix_sort_implIS3_Lb0EPKbPbPKlPlN2at6native12_GLOBAL__N_18offset_tEEE10hipError_tPvRmT1_PNSt15iterator_traitsISK_E10value_typeET2_T3_PNSL_ISQ_E10value_typeET4_jRbjT5_SW_jjP12ihipStream_tbEUlT_E_NS1_11comp_targetILNS1_3genE10ELNS1_11target_archE1201ELNS1_3gpuE5ELNS1_3repE0EEENS1_30default_config_static_selectorELNS0_4arch9wavefront6targetE0EEEvSK_,@function
_ZN7rocprim17ROCPRIM_400000_NS6detail17trampoline_kernelINS0_14default_configENS1_36segmented_radix_sort_config_selectorIblEEZNS1_25segmented_radix_sort_implIS3_Lb0EPKbPbPKlPlN2at6native12_GLOBAL__N_18offset_tEEE10hipError_tPvRmT1_PNSt15iterator_traitsISK_E10value_typeET2_T3_PNSL_ISQ_E10value_typeET4_jRbjT5_SW_jjP12ihipStream_tbEUlT_E_NS1_11comp_targetILNS1_3genE10ELNS1_11target_archE1201ELNS1_3gpuE5ELNS1_3repE0EEENS1_30default_config_static_selectorELNS0_4arch9wavefront6targetE0EEEvSK_: ; @_ZN7rocprim17ROCPRIM_400000_NS6detail17trampoline_kernelINS0_14default_configENS1_36segmented_radix_sort_config_selectorIblEEZNS1_25segmented_radix_sort_implIS3_Lb0EPKbPbPKlPlN2at6native12_GLOBAL__N_18offset_tEEE10hipError_tPvRmT1_PNSt15iterator_traitsISK_E10value_typeET2_T3_PNSL_ISQ_E10value_typeET4_jRbjT5_SW_jjP12ihipStream_tbEUlT_E_NS1_11comp_targetILNS1_3genE10ELNS1_11target_archE1201ELNS1_3gpuE5ELNS1_3repE0EEENS1_30default_config_static_selectorELNS0_4arch9wavefront6targetE0EEEvSK_
; %bb.0:
	.section	.rodata,"a",@progbits
	.p2align	6, 0x0
	.amdhsa_kernel _ZN7rocprim17ROCPRIM_400000_NS6detail17trampoline_kernelINS0_14default_configENS1_36segmented_radix_sort_config_selectorIblEEZNS1_25segmented_radix_sort_implIS3_Lb0EPKbPbPKlPlN2at6native12_GLOBAL__N_18offset_tEEE10hipError_tPvRmT1_PNSt15iterator_traitsISK_E10value_typeET2_T3_PNSL_ISQ_E10value_typeET4_jRbjT5_SW_jjP12ihipStream_tbEUlT_E_NS1_11comp_targetILNS1_3genE10ELNS1_11target_archE1201ELNS1_3gpuE5ELNS1_3repE0EEENS1_30default_config_static_selectorELNS0_4arch9wavefront6targetE0EEEvSK_
		.amdhsa_group_segment_fixed_size 0
		.amdhsa_private_segment_fixed_size 0
		.amdhsa_kernarg_size 96
		.amdhsa_user_sgpr_count 15
		.amdhsa_user_sgpr_dispatch_ptr 0
		.amdhsa_user_sgpr_queue_ptr 0
		.amdhsa_user_sgpr_kernarg_segment_ptr 1
		.amdhsa_user_sgpr_dispatch_id 0
		.amdhsa_user_sgpr_private_segment_size 0
		.amdhsa_wavefront_size32 1
		.amdhsa_uses_dynamic_stack 0
		.amdhsa_enable_private_segment 0
		.amdhsa_system_sgpr_workgroup_id_x 1
		.amdhsa_system_sgpr_workgroup_id_y 0
		.amdhsa_system_sgpr_workgroup_id_z 0
		.amdhsa_system_sgpr_workgroup_info 0
		.amdhsa_system_vgpr_workitem_id 0
		.amdhsa_next_free_vgpr 1
		.amdhsa_next_free_sgpr 1
		.amdhsa_reserve_vcc 0
		.amdhsa_float_round_mode_32 0
		.amdhsa_float_round_mode_16_64 0
		.amdhsa_float_denorm_mode_32 3
		.amdhsa_float_denorm_mode_16_64 3
		.amdhsa_dx10_clamp 1
		.amdhsa_ieee_mode 1
		.amdhsa_fp16_overflow 0
		.amdhsa_workgroup_processor_mode 1
		.amdhsa_memory_ordered 1
		.amdhsa_forward_progress 0
		.amdhsa_shared_vgpr_count 0
		.amdhsa_exception_fp_ieee_invalid_op 0
		.amdhsa_exception_fp_denorm_src 0
		.amdhsa_exception_fp_ieee_div_zero 0
		.amdhsa_exception_fp_ieee_overflow 0
		.amdhsa_exception_fp_ieee_underflow 0
		.amdhsa_exception_fp_ieee_inexact 0
		.amdhsa_exception_int_div_zero 0
	.end_amdhsa_kernel
	.section	.text._ZN7rocprim17ROCPRIM_400000_NS6detail17trampoline_kernelINS0_14default_configENS1_36segmented_radix_sort_config_selectorIblEEZNS1_25segmented_radix_sort_implIS3_Lb0EPKbPbPKlPlN2at6native12_GLOBAL__N_18offset_tEEE10hipError_tPvRmT1_PNSt15iterator_traitsISK_E10value_typeET2_T3_PNSL_ISQ_E10value_typeET4_jRbjT5_SW_jjP12ihipStream_tbEUlT_E_NS1_11comp_targetILNS1_3genE10ELNS1_11target_archE1201ELNS1_3gpuE5ELNS1_3repE0EEENS1_30default_config_static_selectorELNS0_4arch9wavefront6targetE0EEEvSK_,"axG",@progbits,_ZN7rocprim17ROCPRIM_400000_NS6detail17trampoline_kernelINS0_14default_configENS1_36segmented_radix_sort_config_selectorIblEEZNS1_25segmented_radix_sort_implIS3_Lb0EPKbPbPKlPlN2at6native12_GLOBAL__N_18offset_tEEE10hipError_tPvRmT1_PNSt15iterator_traitsISK_E10value_typeET2_T3_PNSL_ISQ_E10value_typeET4_jRbjT5_SW_jjP12ihipStream_tbEUlT_E_NS1_11comp_targetILNS1_3genE10ELNS1_11target_archE1201ELNS1_3gpuE5ELNS1_3repE0EEENS1_30default_config_static_selectorELNS0_4arch9wavefront6targetE0EEEvSK_,comdat
.Lfunc_end1640:
	.size	_ZN7rocprim17ROCPRIM_400000_NS6detail17trampoline_kernelINS0_14default_configENS1_36segmented_radix_sort_config_selectorIblEEZNS1_25segmented_radix_sort_implIS3_Lb0EPKbPbPKlPlN2at6native12_GLOBAL__N_18offset_tEEE10hipError_tPvRmT1_PNSt15iterator_traitsISK_E10value_typeET2_T3_PNSL_ISQ_E10value_typeET4_jRbjT5_SW_jjP12ihipStream_tbEUlT_E_NS1_11comp_targetILNS1_3genE10ELNS1_11target_archE1201ELNS1_3gpuE5ELNS1_3repE0EEENS1_30default_config_static_selectorELNS0_4arch9wavefront6targetE0EEEvSK_, .Lfunc_end1640-_ZN7rocprim17ROCPRIM_400000_NS6detail17trampoline_kernelINS0_14default_configENS1_36segmented_radix_sort_config_selectorIblEEZNS1_25segmented_radix_sort_implIS3_Lb0EPKbPbPKlPlN2at6native12_GLOBAL__N_18offset_tEEE10hipError_tPvRmT1_PNSt15iterator_traitsISK_E10value_typeET2_T3_PNSL_ISQ_E10value_typeET4_jRbjT5_SW_jjP12ihipStream_tbEUlT_E_NS1_11comp_targetILNS1_3genE10ELNS1_11target_archE1201ELNS1_3gpuE5ELNS1_3repE0EEENS1_30default_config_static_selectorELNS0_4arch9wavefront6targetE0EEEvSK_
                                        ; -- End function
	.section	.AMDGPU.csdata,"",@progbits
; Kernel info:
; codeLenInByte = 0
; NumSgprs: 0
; NumVgprs: 0
; ScratchSize: 0
; MemoryBound: 0
; FloatMode: 240
; IeeeMode: 1
; LDSByteSize: 0 bytes/workgroup (compile time only)
; SGPRBlocks: 0
; VGPRBlocks: 0
; NumSGPRsForWavesPerEU: 1
; NumVGPRsForWavesPerEU: 1
; Occupancy: 16
; WaveLimiterHint : 0
; COMPUTE_PGM_RSRC2:SCRATCH_EN: 0
; COMPUTE_PGM_RSRC2:USER_SGPR: 15
; COMPUTE_PGM_RSRC2:TRAP_HANDLER: 0
; COMPUTE_PGM_RSRC2:TGID_X_EN: 1
; COMPUTE_PGM_RSRC2:TGID_Y_EN: 0
; COMPUTE_PGM_RSRC2:TGID_Z_EN: 0
; COMPUTE_PGM_RSRC2:TIDIG_COMP_CNT: 0
	.section	.text._ZN7rocprim17ROCPRIM_400000_NS6detail17trampoline_kernelINS0_14default_configENS1_36segmented_radix_sort_config_selectorIblEEZNS1_25segmented_radix_sort_implIS3_Lb0EPKbPbPKlPlN2at6native12_GLOBAL__N_18offset_tEEE10hipError_tPvRmT1_PNSt15iterator_traitsISK_E10value_typeET2_T3_PNSL_ISQ_E10value_typeET4_jRbjT5_SW_jjP12ihipStream_tbEUlT_E_NS1_11comp_targetILNS1_3genE10ELNS1_11target_archE1200ELNS1_3gpuE4ELNS1_3repE0EEENS1_30default_config_static_selectorELNS0_4arch9wavefront6targetE0EEEvSK_,"axG",@progbits,_ZN7rocprim17ROCPRIM_400000_NS6detail17trampoline_kernelINS0_14default_configENS1_36segmented_radix_sort_config_selectorIblEEZNS1_25segmented_radix_sort_implIS3_Lb0EPKbPbPKlPlN2at6native12_GLOBAL__N_18offset_tEEE10hipError_tPvRmT1_PNSt15iterator_traitsISK_E10value_typeET2_T3_PNSL_ISQ_E10value_typeET4_jRbjT5_SW_jjP12ihipStream_tbEUlT_E_NS1_11comp_targetILNS1_3genE10ELNS1_11target_archE1200ELNS1_3gpuE4ELNS1_3repE0EEENS1_30default_config_static_selectorELNS0_4arch9wavefront6targetE0EEEvSK_,comdat
	.globl	_ZN7rocprim17ROCPRIM_400000_NS6detail17trampoline_kernelINS0_14default_configENS1_36segmented_radix_sort_config_selectorIblEEZNS1_25segmented_radix_sort_implIS3_Lb0EPKbPbPKlPlN2at6native12_GLOBAL__N_18offset_tEEE10hipError_tPvRmT1_PNSt15iterator_traitsISK_E10value_typeET2_T3_PNSL_ISQ_E10value_typeET4_jRbjT5_SW_jjP12ihipStream_tbEUlT_E_NS1_11comp_targetILNS1_3genE10ELNS1_11target_archE1200ELNS1_3gpuE4ELNS1_3repE0EEENS1_30default_config_static_selectorELNS0_4arch9wavefront6targetE0EEEvSK_ ; -- Begin function _ZN7rocprim17ROCPRIM_400000_NS6detail17trampoline_kernelINS0_14default_configENS1_36segmented_radix_sort_config_selectorIblEEZNS1_25segmented_radix_sort_implIS3_Lb0EPKbPbPKlPlN2at6native12_GLOBAL__N_18offset_tEEE10hipError_tPvRmT1_PNSt15iterator_traitsISK_E10value_typeET2_T3_PNSL_ISQ_E10value_typeET4_jRbjT5_SW_jjP12ihipStream_tbEUlT_E_NS1_11comp_targetILNS1_3genE10ELNS1_11target_archE1200ELNS1_3gpuE4ELNS1_3repE0EEENS1_30default_config_static_selectorELNS0_4arch9wavefront6targetE0EEEvSK_
	.p2align	8
	.type	_ZN7rocprim17ROCPRIM_400000_NS6detail17trampoline_kernelINS0_14default_configENS1_36segmented_radix_sort_config_selectorIblEEZNS1_25segmented_radix_sort_implIS3_Lb0EPKbPbPKlPlN2at6native12_GLOBAL__N_18offset_tEEE10hipError_tPvRmT1_PNSt15iterator_traitsISK_E10value_typeET2_T3_PNSL_ISQ_E10value_typeET4_jRbjT5_SW_jjP12ihipStream_tbEUlT_E_NS1_11comp_targetILNS1_3genE10ELNS1_11target_archE1200ELNS1_3gpuE4ELNS1_3repE0EEENS1_30default_config_static_selectorELNS0_4arch9wavefront6targetE0EEEvSK_,@function
_ZN7rocprim17ROCPRIM_400000_NS6detail17trampoline_kernelINS0_14default_configENS1_36segmented_radix_sort_config_selectorIblEEZNS1_25segmented_radix_sort_implIS3_Lb0EPKbPbPKlPlN2at6native12_GLOBAL__N_18offset_tEEE10hipError_tPvRmT1_PNSt15iterator_traitsISK_E10value_typeET2_T3_PNSL_ISQ_E10value_typeET4_jRbjT5_SW_jjP12ihipStream_tbEUlT_E_NS1_11comp_targetILNS1_3genE10ELNS1_11target_archE1200ELNS1_3gpuE4ELNS1_3repE0EEENS1_30default_config_static_selectorELNS0_4arch9wavefront6targetE0EEEvSK_: ; @_ZN7rocprim17ROCPRIM_400000_NS6detail17trampoline_kernelINS0_14default_configENS1_36segmented_radix_sort_config_selectorIblEEZNS1_25segmented_radix_sort_implIS3_Lb0EPKbPbPKlPlN2at6native12_GLOBAL__N_18offset_tEEE10hipError_tPvRmT1_PNSt15iterator_traitsISK_E10value_typeET2_T3_PNSL_ISQ_E10value_typeET4_jRbjT5_SW_jjP12ihipStream_tbEUlT_E_NS1_11comp_targetILNS1_3genE10ELNS1_11target_archE1200ELNS1_3gpuE4ELNS1_3repE0EEENS1_30default_config_static_selectorELNS0_4arch9wavefront6targetE0EEEvSK_
; %bb.0:
	.section	.rodata,"a",@progbits
	.p2align	6, 0x0
	.amdhsa_kernel _ZN7rocprim17ROCPRIM_400000_NS6detail17trampoline_kernelINS0_14default_configENS1_36segmented_radix_sort_config_selectorIblEEZNS1_25segmented_radix_sort_implIS3_Lb0EPKbPbPKlPlN2at6native12_GLOBAL__N_18offset_tEEE10hipError_tPvRmT1_PNSt15iterator_traitsISK_E10value_typeET2_T3_PNSL_ISQ_E10value_typeET4_jRbjT5_SW_jjP12ihipStream_tbEUlT_E_NS1_11comp_targetILNS1_3genE10ELNS1_11target_archE1200ELNS1_3gpuE4ELNS1_3repE0EEENS1_30default_config_static_selectorELNS0_4arch9wavefront6targetE0EEEvSK_
		.amdhsa_group_segment_fixed_size 0
		.amdhsa_private_segment_fixed_size 0
		.amdhsa_kernarg_size 96
		.amdhsa_user_sgpr_count 15
		.amdhsa_user_sgpr_dispatch_ptr 0
		.amdhsa_user_sgpr_queue_ptr 0
		.amdhsa_user_sgpr_kernarg_segment_ptr 1
		.amdhsa_user_sgpr_dispatch_id 0
		.amdhsa_user_sgpr_private_segment_size 0
		.amdhsa_wavefront_size32 1
		.amdhsa_uses_dynamic_stack 0
		.amdhsa_enable_private_segment 0
		.amdhsa_system_sgpr_workgroup_id_x 1
		.amdhsa_system_sgpr_workgroup_id_y 0
		.amdhsa_system_sgpr_workgroup_id_z 0
		.amdhsa_system_sgpr_workgroup_info 0
		.amdhsa_system_vgpr_workitem_id 0
		.amdhsa_next_free_vgpr 1
		.amdhsa_next_free_sgpr 1
		.amdhsa_reserve_vcc 0
		.amdhsa_float_round_mode_32 0
		.amdhsa_float_round_mode_16_64 0
		.amdhsa_float_denorm_mode_32 3
		.amdhsa_float_denorm_mode_16_64 3
		.amdhsa_dx10_clamp 1
		.amdhsa_ieee_mode 1
		.amdhsa_fp16_overflow 0
		.amdhsa_workgroup_processor_mode 1
		.amdhsa_memory_ordered 1
		.amdhsa_forward_progress 0
		.amdhsa_shared_vgpr_count 0
		.amdhsa_exception_fp_ieee_invalid_op 0
		.amdhsa_exception_fp_denorm_src 0
		.amdhsa_exception_fp_ieee_div_zero 0
		.amdhsa_exception_fp_ieee_overflow 0
		.amdhsa_exception_fp_ieee_underflow 0
		.amdhsa_exception_fp_ieee_inexact 0
		.amdhsa_exception_int_div_zero 0
	.end_amdhsa_kernel
	.section	.text._ZN7rocprim17ROCPRIM_400000_NS6detail17trampoline_kernelINS0_14default_configENS1_36segmented_radix_sort_config_selectorIblEEZNS1_25segmented_radix_sort_implIS3_Lb0EPKbPbPKlPlN2at6native12_GLOBAL__N_18offset_tEEE10hipError_tPvRmT1_PNSt15iterator_traitsISK_E10value_typeET2_T3_PNSL_ISQ_E10value_typeET4_jRbjT5_SW_jjP12ihipStream_tbEUlT_E_NS1_11comp_targetILNS1_3genE10ELNS1_11target_archE1200ELNS1_3gpuE4ELNS1_3repE0EEENS1_30default_config_static_selectorELNS0_4arch9wavefront6targetE0EEEvSK_,"axG",@progbits,_ZN7rocprim17ROCPRIM_400000_NS6detail17trampoline_kernelINS0_14default_configENS1_36segmented_radix_sort_config_selectorIblEEZNS1_25segmented_radix_sort_implIS3_Lb0EPKbPbPKlPlN2at6native12_GLOBAL__N_18offset_tEEE10hipError_tPvRmT1_PNSt15iterator_traitsISK_E10value_typeET2_T3_PNSL_ISQ_E10value_typeET4_jRbjT5_SW_jjP12ihipStream_tbEUlT_E_NS1_11comp_targetILNS1_3genE10ELNS1_11target_archE1200ELNS1_3gpuE4ELNS1_3repE0EEENS1_30default_config_static_selectorELNS0_4arch9wavefront6targetE0EEEvSK_,comdat
.Lfunc_end1641:
	.size	_ZN7rocprim17ROCPRIM_400000_NS6detail17trampoline_kernelINS0_14default_configENS1_36segmented_radix_sort_config_selectorIblEEZNS1_25segmented_radix_sort_implIS3_Lb0EPKbPbPKlPlN2at6native12_GLOBAL__N_18offset_tEEE10hipError_tPvRmT1_PNSt15iterator_traitsISK_E10value_typeET2_T3_PNSL_ISQ_E10value_typeET4_jRbjT5_SW_jjP12ihipStream_tbEUlT_E_NS1_11comp_targetILNS1_3genE10ELNS1_11target_archE1200ELNS1_3gpuE4ELNS1_3repE0EEENS1_30default_config_static_selectorELNS0_4arch9wavefront6targetE0EEEvSK_, .Lfunc_end1641-_ZN7rocprim17ROCPRIM_400000_NS6detail17trampoline_kernelINS0_14default_configENS1_36segmented_radix_sort_config_selectorIblEEZNS1_25segmented_radix_sort_implIS3_Lb0EPKbPbPKlPlN2at6native12_GLOBAL__N_18offset_tEEE10hipError_tPvRmT1_PNSt15iterator_traitsISK_E10value_typeET2_T3_PNSL_ISQ_E10value_typeET4_jRbjT5_SW_jjP12ihipStream_tbEUlT_E_NS1_11comp_targetILNS1_3genE10ELNS1_11target_archE1200ELNS1_3gpuE4ELNS1_3repE0EEENS1_30default_config_static_selectorELNS0_4arch9wavefront6targetE0EEEvSK_
                                        ; -- End function
	.section	.AMDGPU.csdata,"",@progbits
; Kernel info:
; codeLenInByte = 0
; NumSgprs: 0
; NumVgprs: 0
; ScratchSize: 0
; MemoryBound: 0
; FloatMode: 240
; IeeeMode: 1
; LDSByteSize: 0 bytes/workgroup (compile time only)
; SGPRBlocks: 0
; VGPRBlocks: 0
; NumSGPRsForWavesPerEU: 1
; NumVGPRsForWavesPerEU: 1
; Occupancy: 16
; WaveLimiterHint : 0
; COMPUTE_PGM_RSRC2:SCRATCH_EN: 0
; COMPUTE_PGM_RSRC2:USER_SGPR: 15
; COMPUTE_PGM_RSRC2:TRAP_HANDLER: 0
; COMPUTE_PGM_RSRC2:TGID_X_EN: 1
; COMPUTE_PGM_RSRC2:TGID_Y_EN: 0
; COMPUTE_PGM_RSRC2:TGID_Z_EN: 0
; COMPUTE_PGM_RSRC2:TIDIG_COMP_CNT: 0
	.text
	.p2align	2                               ; -- Begin function _ZN7rocprim17ROCPRIM_400000_NS6detail40segmented_radix_sort_single_block_helperIblLj256ELj8ELb0EE4sortIPKbPbPKlPlEEbT_T0_T1_T2_jjjjRNS3_12storage_typeE
	.type	_ZN7rocprim17ROCPRIM_400000_NS6detail40segmented_radix_sort_single_block_helperIblLj256ELj8ELb0EE4sortIPKbPbPKlPlEEbT_T0_T1_T2_jjjjRNS3_12storage_typeE,@function
_ZN7rocprim17ROCPRIM_400000_NS6detail40segmented_radix_sort_single_block_helperIblLj256ELj8ELb0EE4sortIPKbPbPKlPlEEbT_T0_T1_T2_jjjjRNS3_12storage_typeE: ; @_ZN7rocprim17ROCPRIM_400000_NS6detail40segmented_radix_sort_single_block_helperIblLj256ELj8ELb0EE4sortIPKbPbPKlPlEEbT_T0_T1_T2_jjjjRNS3_12storage_typeE
; %bb.0:
	s_waitcnt vmcnt(0) expcnt(0) lgkmcnt(0)
	v_sub_nc_u32_e32 v128, v9, v8
	s_mov_b32 s24, exec_lo
	s_delay_alu instid0(VALU_DEP_1)
	v_cmpx_gt_u32_e32 0x801, v128
	s_cbranch_execz .LBB1642_199
; %bb.1:
	v_bfe_u32 v14, v31, 10, 10
	v_bfe_u32 v15, v31, 20, 10
	v_and_b32_e32 v26, 0x3ff, v31
	v_mbcnt_lo_u32_b32 v16, -1, 0
	s_mov_b32 s0, exec_lo
	v_cmpx_lt_u32_e32 0x400, v128
	s_xor_b32 s19, exec_lo, s0
	s_cbranch_execz .LBB1642_79
; %bb.2:
	s_load_b64 s[0:1], s[8:9], 0x0
	v_dual_mov_b32 v9, 0 :: v_dual_mov_b32 v130, 1
	v_add_co_u32 v0, vcc_lo, v0, v8
	v_add_co_ci_u32_e32 v1, vcc_lo, 0, v1, vcc_lo
	v_dual_mov_b32 v131, 1 :: v_dual_mov_b32 v134, 1
	s_delay_alu instid0(VALU_DEP_3) | instskip(NEXT) | instid1(VALU_DEP_3)
	v_add_co_u32 v0, vcc_lo, v0, v16
	v_add_co_ci_u32_e32 v1, vcc_lo, 0, v1, vcc_lo
	v_dual_mov_b32 v133, 1 :: v_dual_mov_b32 v132, 1
	v_mov_b32_e32 v144, 1
	s_waitcnt lgkmcnt(0)
	s_cmp_lt_u32 s13, s1
	s_cselect_b32 s1, 14, 20
	s_delay_alu instid0(SALU_CYCLE_1) | instskip(SKIP_4) | instid1(SALU_CYCLE_1)
	s_add_u32 s2, s8, s1
	s_addc_u32 s3, s9, 0
	s_cmp_lt_u32 s12, s0
	global_load_u16 v17, v9, s[2:3]
	s_cselect_b32 s0, 12, 18
	s_add_u32 s0, s8, s0
	s_addc_u32 s1, s9, 0
	global_load_u16 v18, v9, s[0:1]
	s_waitcnt vmcnt(1)
	v_mad_u32_u24 v14, v15, v17, v14
	v_mov_b32_e32 v15, v9
	s_waitcnt vmcnt(0)
	s_delay_alu instid0(VALU_DEP_2) | instskip(NEXT) | instid1(VALU_DEP_1)
	v_mad_u64_u32 v[27:28], null, v14, v18, v[26:27]
	v_dual_mov_b32 v129, 1 :: v_dual_lshlrev_b32 v14, 3, v27
	s_delay_alu instid0(VALU_DEP_1) | instskip(NEXT) | instid1(VALU_DEP_1)
	v_dual_mov_b32 v135, 1 :: v_dual_and_b32 v14, 0xffffff00, v14
	v_or_b32_e32 v17, v14, v16
	v_add_co_u32 v0, vcc_lo, v0, v14
	v_add_co_ci_u32_e32 v1, vcc_lo, 0, v1, vcc_lo
	s_delay_alu instid0(VALU_DEP_3)
	v_cmp_lt_u32_e32 vcc_lo, v17, v128
	s_and_saveexec_b32 s0, vcc_lo
	s_cbranch_execz .LBB1642_4
; %bb.3:
	flat_load_u8 v130, v[0:1]
	v_dual_mov_b32 v131, 1 :: v_dual_mov_b32 v134, 1
	v_dual_mov_b32 v133, 1 :: v_dual_mov_b32 v132, 1
	;; [unrolled: 1-line block ×3, first 2 shown]
	v_mov_b32_e32 v129, 1
.LBB1642_4:
	s_or_b32 exec_lo, exec_lo, s0
	v_or_b32_e32 v18, 32, v17
	s_delay_alu instid0(VALU_DEP_1) | instskip(NEXT) | instid1(VALU_DEP_1)
	v_cmp_lt_u32_e64 s0, v18, v128
	s_and_saveexec_b32 s1, s0
	s_cbranch_execz .LBB1642_6
; %bb.5:
	flat_load_u8 v131, v[0:1] offset:32
.LBB1642_6:
	s_or_b32 exec_lo, exec_lo, s1
	v_or_b32_e32 v18, 64, v17
	s_delay_alu instid0(VALU_DEP_1) | instskip(NEXT) | instid1(VALU_DEP_1)
	v_cmp_lt_u32_e64 s1, v18, v128
	s_and_saveexec_b32 s2, s1
	s_cbranch_execz .LBB1642_8
; %bb.7:
	flat_load_u8 v133, v[0:1] offset:64
.LBB1642_8:
	;; [unrolled: 9-line block ×7, first 2 shown]
	s_or_b32 exec_lo, exec_lo, s7
	v_lshlrev_b64 v[0:1], 3, v[8:9]
	v_lshlrev_b32_e32 v9, 3, v16
	s_delay_alu instid0(VALU_DEP_2) | instskip(NEXT) | instid1(VALU_DEP_1)
	v_add_co_u32 v17, s7, v4, v0
	v_add_co_ci_u32_e64 v18, s7, v5, v1, s7
	v_lshlrev_b64 v[4:5], 3, v[14:15]
	s_delay_alu instid0(VALU_DEP_3) | instskip(NEXT) | instid1(VALU_DEP_1)
	v_add_co_u32 v9, s7, v17, v9
	v_add_co_ci_u32_e64 v14, s7, 0, v18, s7
                                        ; implicit-def: $vgpr18_vgpr19
	s_delay_alu instid0(VALU_DEP_2) | instskip(NEXT) | instid1(VALU_DEP_1)
	v_add_co_u32 v4, s7, v9, v4
	v_add_co_ci_u32_e64 v5, s7, v14, v5, s7
	s_and_saveexec_b32 s7, vcc_lo
	s_cbranch_execnz .LBB1642_112
; %bb.19:
	s_or_b32 exec_lo, exec_lo, s7
                                        ; implicit-def: $vgpr20_vgpr21
	s_and_saveexec_b32 s7, s0
	s_cbranch_execnz .LBB1642_113
.LBB1642_20:
	s_or_b32 exec_lo, exec_lo, s7
                                        ; implicit-def: $vgpr22_vgpr23
	s_and_saveexec_b32 s0, s1
	s_cbranch_execnz .LBB1642_114
.LBB1642_21:
	s_or_b32 exec_lo, exec_lo, s0
                                        ; implicit-def: $vgpr24_vgpr25
	s_and_saveexec_b32 s0, s2
	s_cbranch_execnz .LBB1642_115
.LBB1642_22:
	s_or_b32 exec_lo, exec_lo, s0
                                        ; implicit-def: $vgpr80_vgpr81
	s_and_saveexec_b32 s0, s3
	s_cbranch_execnz .LBB1642_116
.LBB1642_23:
	s_or_b32 exec_lo, exec_lo, s0
                                        ; implicit-def: $vgpr82_vgpr83
	s_and_saveexec_b32 s0, s4
	s_cbranch_execnz .LBB1642_117
.LBB1642_24:
	s_or_b32 exec_lo, exec_lo, s0
                                        ; implicit-def: $vgpr84_vgpr85
	s_and_saveexec_b32 s0, s5
	s_cbranch_execnz .LBB1642_118
.LBB1642_25:
	s_or_b32 exec_lo, exec_lo, s0
                                        ; implicit-def: $vgpr86_vgpr87
	s_and_saveexec_b32 s0, s6
	s_cbranch_execz .LBB1642_27
.LBB1642_26:
	flat_load_b64 v[86:87], v[4:5] offset:1792
.LBB1642_27:
	s_or_b32 exec_lo, exec_lo, s0
	v_dual_mov_b32 v15, 0 :: v_dual_lshlrev_b32 v14, 5, v26
	s_mov_b32 s20, 0
	v_add_co_u32 v9, vcc_lo, v12, 32
	s_mov_b32 s21, s20
	s_mov_b32 s22, s20
	;; [unrolled: 1-line block ×3, first 2 shown]
	v_and_b32_e32 v31, 0x3e0, v26
	v_add_co_ci_u32_e32 v145, vcc_lo, 0, v13, vcc_lo
	v_add_co_u32 v4, vcc_lo, v12, v14
	v_add_co_ci_u32_e32 v5, vcc_lo, 0, v13, vcc_lo
	v_add_co_u32 v28, vcc_lo, v9, v14
	v_min_u32_e32 v14, 0xe0, v31
	v_add_nc_u32_e32 v32, -1, v16
	v_and_b32_e32 v30, 15, v16
	v_lshrrev_b32_e32 v34, 5, v26
	s_getpc_b64 s[0:1]
	s_add_u32 s0, s0, _ZN7rocprim17ROCPRIM_400000_NS16block_radix_sortIbLj256ELj8ElLj1ELj1ELj8ELNS0_26block_radix_rank_algorithmE2ELNS0_18block_padding_hintE2ELNS0_4arch9wavefront6targetE0EE19radix_bits_per_passE@rel32@lo+4
	s_addc_u32 s1, s1, _ZN7rocprim17ROCPRIM_400000_NS16block_radix_sortIbLj256ELj8ElLj1ELj1ELj8ELNS0_26block_radix_rank_algorithmE2ELNS0_18block_padding_hintE2ELNS0_4arch9wavefront6targetE0EE19radix_bits_per_passE@rel32@hi+12
	v_or_b32_e32 v14, 31, v14
	v_cmp_gt_i32_e64 s4, 0, v32
	v_lshlrev_b32_e32 v17, 3, v26
	v_add_co_ci_u32_e32 v29, vcc_lo, 0, v145, vcc_lo
	s_load_b32 s25, s[0:1], 0x0
	v_cmp_eq_u32_e32 vcc_lo, 0, v30
	v_cmp_lt_u32_e64 s0, 1, v30
	v_cmp_lt_u32_e64 s1, 3, v30
	;; [unrolled: 1-line block ×3, first 2 shown]
	v_cndmask_b32_e64 v30, v32, v16, s4
	v_cmp_eq_u32_e64 s4, v14, v26
	v_lshlrev_b32_e32 v14, 2, v34
	v_and_b32_e32 v31, 16, v16
	v_lshlrev_b32_e32 v32, 2, v26
	v_cmp_eq_u32_e64 s7, 0, v16
	v_and_b32_e32 v35, 7, v16
	v_and_or_b32 v16, 0x1f00, v17, v16
	v_lshlrev_b32_e32 v147, 2, v30
	v_add_co_u32 v30, s11, v12, v14
	v_add_nc_u32_e32 v14, -1, v34
	v_cmp_eq_u32_e64 s3, 0, v31
	v_add_co_ci_u32_e64 v31, s11, 0, v13, s11
	v_add_co_u32 v32, s11, v12, v32
	v_add_co_u32 v34, s16, v12, v16
	v_add_co_ci_u32_e64 v33, s11, 0, v13, s11
	v_lshlrev_b64 v[14:15], 2, v[14:15]
	v_cmp_eq_u32_e64 s11, 0, v35
	v_cmp_lt_u32_e64 s14, 1, v35
	v_cmp_lt_u32_e64 s15, 3, v35
	v_add_co_ci_u32_e64 v35, s16, 0, v13, s16
	v_add_co_u32 v36, s16, v12, v14
	s_delay_alu instid0(VALU_DEP_1) | instskip(NEXT) | instid1(VALU_DEP_3)
	v_add_co_ci_u32_e64 v37, s16, v13, v15, s16
	v_mad_u64_u32 v[38:39], null, v16, 7, v[34:35]
	v_mov_b32_e32 v14, s20
	v_mov_b32_e32 v16, s22
	v_lshrrev_b32_e32 v146, 5, v27
	v_cmp_gt_u32_e64 s5, 8, v26
	v_cmp_lt_u32_e64 s6, 31, v26
	v_cmp_eq_u32_e64 s10, 0, v26
	v_sub_nc_u32_e32 v148, v11, v10
	v_mov_b32_e32 v15, s21
	v_mov_b32_e32 v17, s23
	s_waitcnt vmcnt(0) lgkmcnt(0)
	s_waitcnt_vscnt null, 0x0
	s_barrier
	buffer_gl0_inv
	s_branch .LBB1642_29
.LBB1642_28:                            ;   in Loop: Header=BB1642_29 Depth=1
	s_or_b32 exec_lo, exec_lo, s17
	s_delay_alu instid0(SALU_CYCLE_1) | instskip(NEXT) | instid1(SALU_CYCLE_1)
	s_and_b32 s16, exec_lo, s18
	s_or_b32 s20, s16, s20
	s_delay_alu instid0(SALU_CYCLE_1)
	s_and_not1_b32 exec_lo, exec_lo, s20
	s_cbranch_execz .LBB1642_53
.LBB1642_29:                            ; =>This Inner Loop Header: Depth=1
	v_min_u32_e32 v48, s25, v148
	v_and_b32_e32 v49, 0xff, v130
	v_dual_mov_b32 v71, v19 :: v_dual_mov_b32 v70, v18
	v_dual_mov_b32 v64, v80 :: v_dual_mov_b32 v65, v81
	s_delay_alu instid0(VALU_DEP_4) | instskip(NEXT) | instid1(VALU_DEP_4)
	v_lshlrev_b32_e64 v48, v48, -1
	v_lshrrev_b32_e32 v49, v10, v49
	v_dual_mov_b32 v69, v21 :: v_dual_mov_b32 v68, v20
	v_dual_mov_b32 v67, v25 :: v_dual_mov_b32 v66, v24
	s_delay_alu instid0(VALU_DEP_4) | instskip(SKIP_2) | instid1(VALU_DEP_3)
	v_not_b32_e32 v102, v48
	v_dual_mov_b32 v54, v82 :: v_dual_mov_b32 v55, v83
	v_dual_mov_b32 v53, v23 :: v_dual_mov_b32 v52, v22
	v_and_b32_e32 v96, v49, v102
	v_mov_b32_e32 v50, v86
	s_clause 0x1
	flat_store_b128 v[4:5], v[14:17] offset:32
	flat_store_b128 v[28:29], v[14:17] offset:16
	s_waitcnt lgkmcnt(0)
	s_waitcnt_vscnt null, 0x0
	s_barrier
	v_lshlrev_b32_e32 v19, 3, v96
	v_add_co_u32 v48, s16, v96, -1
	s_delay_alu instid0(VALU_DEP_1) | instskip(SKIP_4) | instid1(VALU_DEP_3)
	v_cndmask_b32_e64 v49, 0, 1, s16
	buffer_gl0_inv
	v_add_lshl_u32 v19, v19, v146, 2
	; wave barrier
	v_cmp_ne_u32_e64 s16, 0, v49
	v_mov_b32_e32 v51, v87
	v_add_co_u32 v80, s18, v9, v19
	s_delay_alu instid0(VALU_DEP_1) | instskip(NEXT) | instid1(VALU_DEP_4)
	v_add_co_ci_u32_e64 v81, s18, 0, v145, s18
	v_xor_b32_e32 v18, s16, v48
	v_dual_mov_b32 v48, v84 :: v_dual_mov_b32 v49, v85
	s_delay_alu instid0(VALU_DEP_2) | instskip(NEXT) | instid1(VALU_DEP_1)
	v_and_b32_e32 v18, exec_lo, v18
	v_mbcnt_lo_u32_b32 v112, v18, 0
	v_cmp_ne_u32_e64 s16, 0, v18
	s_delay_alu instid0(VALU_DEP_2) | instskip(NEXT) | instid1(VALU_DEP_1)
	v_cmp_eq_u32_e64 s17, 0, v112
	s_and_b32 s17, s16, s17
	s_delay_alu instid0(SALU_CYCLE_1)
	s_and_saveexec_b32 s16, s17
	s_cbranch_execz .LBB1642_31
; %bb.30:                               ;   in Loop: Header=BB1642_29 Depth=1
	v_bcnt_u32_b32 v18, v18, 0
	flat_store_b32 v[80:81], v18
.LBB1642_31:                            ;   in Loop: Header=BB1642_29 Depth=1
	s_or_b32 exec_lo, exec_lo, s16
	v_and_b32_e32 v18, 0xff, v131
	; wave barrier
	s_delay_alu instid0(VALU_DEP_1) | instskip(NEXT) | instid1(VALU_DEP_1)
	v_lshrrev_b32_e32 v18, v10, v18
	v_and_b32_e32 v18, v18, v102
	s_delay_alu instid0(VALU_DEP_1) | instskip(NEXT) | instid1(VALU_DEP_1)
	v_lshlrev_b32_e32 v19, 3, v18
	v_add_lshl_u32 v19, v19, v146, 2
	s_delay_alu instid0(VALU_DEP_1) | instskip(NEXT) | instid1(VALU_DEP_1)
	v_add_co_u32 v82, s16, v9, v19
	v_add_co_ci_u32_e64 v83, s16, 0, v145, s16
	v_add_co_u32 v18, s16, v18, -1
	s_delay_alu instid0(VALU_DEP_1) | instskip(SKIP_2) | instid1(VALU_DEP_1)
	v_cndmask_b32_e64 v19, 0, 1, s16
	flat_load_b32 v113, v[82:83]
	; wave barrier
	v_cmp_ne_u32_e64 s16, 0, v19
	v_xor_b32_e32 v18, s16, v18
	s_delay_alu instid0(VALU_DEP_1) | instskip(NEXT) | instid1(VALU_DEP_1)
	v_and_b32_e32 v18, exec_lo, v18
	v_mbcnt_lo_u32_b32 v114, v18, 0
	v_cmp_ne_u32_e64 s17, 0, v18
	s_delay_alu instid0(VALU_DEP_2) | instskip(NEXT) | instid1(VALU_DEP_1)
	v_cmp_eq_u32_e64 s16, 0, v114
	s_and_b32 s17, s17, s16
	s_delay_alu instid0(SALU_CYCLE_1)
	s_and_saveexec_b32 s16, s17
	s_cbranch_execz .LBB1642_33
; %bb.32:                               ;   in Loop: Header=BB1642_29 Depth=1
	s_waitcnt vmcnt(0) lgkmcnt(0)
	v_bcnt_u32_b32 v18, v18, v113
	flat_store_b32 v[82:83], v18
.LBB1642_33:                            ;   in Loop: Header=BB1642_29 Depth=1
	s_or_b32 exec_lo, exec_lo, s16
	v_and_b32_e32 v18, 0xff, v133
	; wave barrier
	s_delay_alu instid0(VALU_DEP_1) | instskip(NEXT) | instid1(VALU_DEP_1)
	v_lshrrev_b32_e32 v18, v10, v18
	v_and_b32_e32 v18, v18, v102
	s_delay_alu instid0(VALU_DEP_1) | instskip(NEXT) | instid1(VALU_DEP_1)
	v_lshlrev_b32_e32 v19, 3, v18
	v_add_lshl_u32 v19, v19, v146, 2
	s_delay_alu instid0(VALU_DEP_1) | instskip(NEXT) | instid1(VALU_DEP_1)
	v_add_co_u32 v84, s16, v9, v19
	v_add_co_ci_u32_e64 v85, s16, 0, v145, s16
	v_add_co_u32 v18, s16, v18, -1
	s_delay_alu instid0(VALU_DEP_1) | instskip(SKIP_2) | instid1(VALU_DEP_1)
	v_cndmask_b32_e64 v19, 0, 1, s16
	flat_load_b32 v115, v[84:85]
	; wave barrier
	v_cmp_ne_u32_e64 s16, 0, v19
	v_xor_b32_e32 v18, s16, v18
	s_delay_alu instid0(VALU_DEP_1) | instskip(NEXT) | instid1(VALU_DEP_1)
	v_and_b32_e32 v18, exec_lo, v18
	v_mbcnt_lo_u32_b32 v116, v18, 0
	v_cmp_ne_u32_e64 s17, 0, v18
	s_delay_alu instid0(VALU_DEP_2) | instskip(NEXT) | instid1(VALU_DEP_1)
	v_cmp_eq_u32_e64 s16, 0, v116
	s_and_b32 s17, s17, s16
	s_delay_alu instid0(SALU_CYCLE_1)
	s_and_saveexec_b32 s16, s17
	s_cbranch_execz .LBB1642_35
; %bb.34:                               ;   in Loop: Header=BB1642_29 Depth=1
	s_waitcnt vmcnt(0) lgkmcnt(0)
	v_bcnt_u32_b32 v18, v18, v115
	flat_store_b32 v[84:85], v18
.LBB1642_35:                            ;   in Loop: Header=BB1642_29 Depth=1
	;; [unrolled: 34-line block ×7, first 2 shown]
	s_or_b32 exec_lo, exec_lo, s16
	; wave barrier
	s_waitcnt vmcnt(0) lgkmcnt(0)
	s_waitcnt_vscnt null, 0x0
	s_barrier
	buffer_gl0_inv
	s_clause 0x1
	flat_load_b128 v[22:25], v[4:5] offset:32
	flat_load_b128 v[18:21], v[28:29] offset:16
	s_waitcnt vmcnt(1) lgkmcnt(1)
	v_add_nc_u32_e32 v160, v23, v22
	s_delay_alu instid0(VALU_DEP_1) | instskip(SKIP_1) | instid1(VALU_DEP_1)
	v_add3_u32 v160, v160, v24, v25
	s_waitcnt vmcnt(0) lgkmcnt(0)
	v_add3_u32 v160, v160, v18, v19
	s_delay_alu instid0(VALU_DEP_1) | instskip(NEXT) | instid1(VALU_DEP_1)
	v_add3_u32 v21, v160, v20, v21
	v_mov_b32_dpp v160, v21 row_shr:1 row_mask:0xf bank_mask:0xf
	s_delay_alu instid0(VALU_DEP_1) | instskip(NEXT) | instid1(VALU_DEP_1)
	v_cndmask_b32_e64 v160, v160, 0, vcc_lo
	v_add_nc_u32_e32 v21, v160, v21
	s_delay_alu instid0(VALU_DEP_1) | instskip(NEXT) | instid1(VALU_DEP_1)
	v_mov_b32_dpp v160, v21 row_shr:2 row_mask:0xf bank_mask:0xf
	v_cndmask_b32_e64 v160, 0, v160, s0
	s_delay_alu instid0(VALU_DEP_1) | instskip(NEXT) | instid1(VALU_DEP_1)
	v_add_nc_u32_e32 v21, v21, v160
	v_mov_b32_dpp v160, v21 row_shr:4 row_mask:0xf bank_mask:0xf
	s_delay_alu instid0(VALU_DEP_1) | instskip(NEXT) | instid1(VALU_DEP_1)
	v_cndmask_b32_e64 v160, 0, v160, s1
	v_add_nc_u32_e32 v21, v21, v160
	s_delay_alu instid0(VALU_DEP_1) | instskip(NEXT) | instid1(VALU_DEP_1)
	v_mov_b32_dpp v160, v21 row_shr:8 row_mask:0xf bank_mask:0xf
	v_cndmask_b32_e64 v160, 0, v160, s2
	s_delay_alu instid0(VALU_DEP_1) | instskip(SKIP_3) | instid1(VALU_DEP_1)
	v_add_nc_u32_e32 v21, v21, v160
	ds_swizzle_b32 v160, v21 offset:swizzle(BROADCAST,32,15)
	s_waitcnt lgkmcnt(0)
	v_cndmask_b32_e64 v160, v160, 0, s3
	v_add_nc_u32_e32 v21, v21, v160
	s_and_saveexec_b32 s16, s4
	s_cbranch_execz .LBB1642_47
; %bb.46:                               ;   in Loop: Header=BB1642_29 Depth=1
	flat_store_b32 v[30:31], v21
.LBB1642_47:                            ;   in Loop: Header=BB1642_29 Depth=1
	s_or_b32 exec_lo, exec_lo, s16
	s_waitcnt lgkmcnt(0)
	s_waitcnt_vscnt null, 0x0
	s_barrier
	buffer_gl0_inv
	s_and_saveexec_b32 s16, s5
	s_cbranch_execz .LBB1642_49
; %bb.48:                               ;   in Loop: Header=BB1642_29 Depth=1
	flat_load_b32 v160, v[32:33]
	s_waitcnt vmcnt(0) lgkmcnt(0)
	v_mov_b32_dpp v161, v160 row_shr:1 row_mask:0xf bank_mask:0xf
	s_delay_alu instid0(VALU_DEP_1) | instskip(NEXT) | instid1(VALU_DEP_1)
	v_cndmask_b32_e64 v161, v161, 0, s11
	v_add_nc_u32_e32 v160, v161, v160
	s_delay_alu instid0(VALU_DEP_1) | instskip(NEXT) | instid1(VALU_DEP_1)
	v_mov_b32_dpp v161, v160 row_shr:2 row_mask:0xf bank_mask:0xf
	v_cndmask_b32_e64 v161, 0, v161, s14
	s_delay_alu instid0(VALU_DEP_1) | instskip(NEXT) | instid1(VALU_DEP_1)
	v_add_nc_u32_e32 v160, v160, v161
	v_mov_b32_dpp v161, v160 row_shr:4 row_mask:0xf bank_mask:0xf
	s_delay_alu instid0(VALU_DEP_1) | instskip(NEXT) | instid1(VALU_DEP_1)
	v_cndmask_b32_e64 v161, 0, v161, s15
	v_add_nc_u32_e32 v160, v160, v161
	flat_store_b32 v[32:33], v160
.LBB1642_49:                            ;   in Loop: Header=BB1642_29 Depth=1
	s_or_b32 exec_lo, exec_lo, s16
	v_mov_b32_e32 v160, 0
	s_waitcnt lgkmcnt(0)
	s_waitcnt_vscnt null, 0x0
	s_barrier
	buffer_gl0_inv
	s_and_saveexec_b32 s16, s6
	s_cbranch_execz .LBB1642_51
; %bb.50:                               ;   in Loop: Header=BB1642_29 Depth=1
	flat_load_b32 v160, v[36:37]
.LBB1642_51:                            ;   in Loop: Header=BB1642_29 Depth=1
	s_or_b32 exec_lo, exec_lo, s16
	s_waitcnt vmcnt(0) lgkmcnt(0)
	v_dual_mov_b32 v166, v131 :: v_dual_add_nc_u32 v21, v160, v21
	v_add_nc_u32_e32 v10, 8, v10
	s_mov_b32 s18, -1
	v_mov_b32_e32 v165, v130
	ds_bpermute_b32 v21, v147, v21
	v_mov_b32_e32 v178, v132
	v_cmp_lt_u32_e64 s16, v10, v11
	v_mov_b32_e32 v167, v133
	v_dual_mov_b32 v177, v135 :: v_dual_mov_b32 v176, v134
	v_dual_mov_b32 v179, v144 :: v_dual_mov_b32 v180, v129
	s_waitcnt lgkmcnt(0)
	v_cndmask_b32_e64 v21, v21, v160, s7
	s_delay_alu instid0(VALU_DEP_1) | instskip(NEXT) | instid1(VALU_DEP_1)
	v_cndmask_b32_e64 v21, v21, 0, s10
	v_add_nc_u32_e32 v22, v21, v22
	s_delay_alu instid0(VALU_DEP_1) | instskip(NEXT) | instid1(VALU_DEP_1)
	v_add_nc_u32_e32 v23, v22, v23
	v_add_nc_u32_e32 v24, v23, v24
	s_delay_alu instid0(VALU_DEP_1) | instskip(NEXT) | instid1(VALU_DEP_1)
	v_add_nc_u32_e32 v160, v24, v25
	;; [unrolled: 3-line block ×3, first 2 shown]
	v_add_nc_u32_e32 v163, v162, v20
	s_clause 0x1
	flat_store_b128 v[4:5], v[21:24] offset:32
	flat_store_b128 v[28:29], v[160:163] offset:16
	s_waitcnt lgkmcnt(0)
	s_waitcnt_vscnt null, 0x0
	s_barrier
	buffer_gl0_inv
	s_clause 0x7
	flat_load_b32 v18, v[80:81]
	flat_load_b32 v19, v[82:83]
	;; [unrolled: 1-line block ×8, first 2 shown]
	s_waitcnt vmcnt(0) lgkmcnt(0)
	s_waitcnt_vscnt null, 0x0
                                        ; implicit-def: $vgpr80_vgpr81
                                        ; implicit-def: $vgpr82_vgpr83
                                        ; implicit-def: $vgpr84_vgpr85
                                        ; implicit-def: $vgpr86_vgpr87
	s_waitcnt vmcnt(7) lgkmcnt(7)
	v_add_nc_u32_e32 v164, v18, v112
	s_waitcnt vmcnt(6) lgkmcnt(6)
	v_add3_u32 v163, v114, v113, v19
	s_waitcnt vmcnt(5) lgkmcnt(5)
	v_add3_u32 v162, v116, v115, v20
	;; [unrolled: 2-line block ×4, first 2 shown]
	v_add_co_u32 v100, s17, v12, v164
	s_delay_alu instid0(VALU_DEP_1) | instskip(SKIP_1) | instid1(VALU_DEP_1)
	v_add_co_ci_u32_e64 v101, s17, 0, v13, s17
	v_add_co_u32 v112, s17, v12, v163
	v_add_co_ci_u32_e64 v113, s17, 0, v13, s17
	v_add_co_u32 v96, s17, v12, v162
	s_delay_alu instid0(VALU_DEP_1)
	v_add_co_ci_u32_e64 v97, s17, 0, v13, s17
	v_add_co_u32 v98, s17, v12, v161
	s_waitcnt vmcnt(2) lgkmcnt(2)
	v_add3_u32 v151, v151, v150, v23
	v_add_co_ci_u32_e64 v99, s17, 0, v13, s17
	v_add_co_u32 v102, s17, v12, v160
	s_waitcnt vmcnt(1) lgkmcnt(1)
	v_add3_u32 v150, v182, v181, v24
	;; [unrolled: 4-line block ×3, first 2 shown]
	v_add_co_ci_u32_e64 v115, s17, 0, v13, s17
	v_add_co_u32 v116, s17, v12, v150
	s_delay_alu instid0(VALU_DEP_1) | instskip(NEXT) | instid1(VALU_DEP_4)
	v_add_co_ci_u32_e64 v117, s17, 0, v13, s17
	v_add_co_u32 v118, s17, v12, v149
	s_delay_alu instid0(VALU_DEP_1)
	v_add_co_ci_u32_e64 v119, s17, 0, v13, s17
                                        ; implicit-def: $vgpr18_vgpr19
                                        ; implicit-def: $vgpr20_vgpr21
                                        ; implicit-def: $vgpr22_vgpr23
                                        ; implicit-def: $vgpr24_vgpr25
	s_and_saveexec_b32 s17, s16
	s_cbranch_execz .LBB1642_28
; %bb.52:                               ;   in Loop: Header=BB1642_29 Depth=1
	v_mad_u64_u32 v[18:19], null, v164, 7, v[100:101]
	v_mad_u64_u32 v[20:21], null, v163, 7, v[112:113]
	;; [unrolled: 1-line block ×8, first 2 shown]
	s_barrier
	buffer_gl0_inv
	s_clause 0x7
	flat_store_b8 v[100:101], v130
	flat_store_b8 v[112:113], v131
	;; [unrolled: 1-line block ×8, first 2 shown]
	s_waitcnt lgkmcnt(0)
	s_waitcnt_vscnt null, 0x0
	s_barrier
	buffer_gl0_inv
	s_clause 0x7
	flat_load_u8 v129, v[34:35] offset:224
	flat_load_u8 v144, v[34:35] offset:192
	;; [unrolled: 1-line block ×7, first 2 shown]
	flat_load_u8 v130, v[34:35]
	s_waitcnt vmcnt(0) lgkmcnt(0)
	s_barrier
	buffer_gl0_inv
	s_clause 0x7
	flat_store_b64 v[18:19], v[70:71]
	flat_store_b64 v[20:21], v[68:69]
	;; [unrolled: 1-line block ×8, first 2 shown]
	s_waitcnt lgkmcnt(0)
	s_waitcnt_vscnt null, 0x0
	s_barrier
	buffer_gl0_inv
	s_clause 0x7
	flat_load_b64 v[18:19], v[38:39]
	flat_load_b64 v[20:21], v[38:39] offset:256
	flat_load_b64 v[22:23], v[38:39] offset:512
	;; [unrolled: 1-line block ×7, first 2 shown]
	v_add_nc_u32_e32 v148, -8, v148
	s_xor_b32 s18, exec_lo, -1
	s_waitcnt vmcnt(0) lgkmcnt(0)
	s_barrier
	buffer_gl0_inv
	s_branch .LBB1642_28
.LBB1642_53:
	s_or_b32 exec_lo, exec_lo, s20
	v_mad_u64_u32 v[9:10], null, v164, 7, v[100:101]
	v_add_co_u32 v4, vcc_lo, v12, v26
	v_mad_u64_u32 v[14:15], null, v163, 7, v[112:113]
	v_add_co_ci_u32_e32 v5, vcc_lo, 0, v13, vcc_lo
	s_barrier
	buffer_gl0_inv
	s_clause 0x7
	flat_store_b8 v[100:101], v165
	flat_store_b8 v[112:113], v166
	;; [unrolled: 1-line block ×8, first 2 shown]
	s_waitcnt lgkmcnt(0)
	s_waitcnt_vscnt null, 0x0
	s_barrier
	buffer_gl0_inv
	s_clause 0x7
	flat_load_u8 v33, v[4:5]
	flat_load_u8 v32, v[4:5] offset:256
	flat_load_u8 v31, v[4:5] offset:512
	;; [unrolled: 1-line block ×7, first 2 shown]
	s_waitcnt vmcnt(0) lgkmcnt(0)
	s_barrier
	buffer_gl0_inv
	s_clause 0x1
	flat_store_b64 v[9:10], v[70:71]
	flat_store_b64 v[14:15], v[68:69]
	v_mad_u64_u32 v[9:10], null, v162, 7, v[96:97]
	v_mad_u64_u32 v[14:15], null, v161, 7, v[98:99]
	;; [unrolled: 1-line block ×4, first 2 shown]
	s_clause 0x3
	flat_store_b64 v[9:10], v[52:53]
	flat_store_b64 v[14:15], v[66:67]
	;; [unrolled: 1-line block ×4, first 2 shown]
	v_mad_u64_u32 v[9:10], null, v26, 7, v[4:5]
	v_mad_u64_u32 v[20:21], null, v150, 7, v[116:117]
	v_lshl_or_b32 v11, v26, 3, 0x2000
	v_mad_u64_u32 v[34:35], null, v149, 7, v[118:119]
	s_clause 0x1
	flat_store_b64 v[20:21], v[48:49]
	flat_store_b64 v[34:35], v[50:51]
	v_add_co_u32 v4, vcc_lo, 0x1000, v9
	v_add_co_ci_u32_e32 v5, vcc_lo, 0, v10, vcc_lo
	v_add_co_u32 v11, vcc_lo, v12, v11
	v_add_co_ci_u32_e32 v12, vcc_lo, 0, v13, vcc_lo
	;; [unrolled: 2-line block ×3, first 2 shown]
	v_add_co_u32 v36, vcc_lo, 0x3000, v9
	s_waitcnt lgkmcnt(0)
	s_waitcnt_vscnt null, 0x0
	s_barrier
	buffer_gl0_inv
	v_add_co_ci_u32_e32 v37, vcc_lo, 0, v10, vcc_lo
	s_clause 0x7
	flat_load_b64 v[21:22], v[9:10]
	flat_load_b64 v[19:20], v[9:10] offset:2048
	flat_load_b64 v[17:18], v[4:5]
	flat_load_b64 v[15:16], v[4:5] offset:2048
	;; [unrolled: 2-line block ×4, first 2 shown]
	v_add_co_u32 v2, vcc_lo, v2, v8
	v_add_co_ci_u32_e32 v3, vcc_lo, 0, v3, vcc_lo
	v_mov_b32_e32 v28, 0
	s_delay_alu instid0(VALU_DEP_3) | instskip(NEXT) | instid1(VALU_DEP_3)
	v_add_co_u32 v2, vcc_lo, v2, v27
	v_add_co_ci_u32_e32 v3, vcc_lo, 0, v3, vcc_lo
	v_cmp_lt_u32_e64 s1, v27, v128
	s_waitcnt vmcnt(0) lgkmcnt(0)
	s_barrier
	buffer_gl0_inv
	s_and_saveexec_b32 s0, s1
	s_cbranch_execz .LBB1642_55
; %bb.54:
	flat_store_b8 v[2:3], v33
.LBB1642_55:
	s_or_b32 exec_lo, exec_lo, s0
	v_add_nc_u32_e32 v8, 0x100, v27
	s_delay_alu instid0(VALU_DEP_1) | instskip(NEXT) | instid1(VALU_DEP_1)
	v_cmp_lt_u32_e64 s4, v8, v128
	s_and_saveexec_b32 s0, s4
	s_cbranch_execz .LBB1642_57
; %bb.56:
	flat_store_b8 v[2:3], v32 offset:256
.LBB1642_57:
	s_or_b32 exec_lo, exec_lo, s0
	v_add_nc_u32_e32 v8, 0x200, v27
	s_delay_alu instid0(VALU_DEP_1) | instskip(NEXT) | instid1(VALU_DEP_1)
	v_cmp_lt_u32_e64 s6, v8, v128
	s_and_saveexec_b32 s0, s6
	s_cbranch_execz .LBB1642_59
; %bb.58:
	flat_store_b8 v[2:3], v31 offset:512
.LBB1642_59:
	;; [unrolled: 9-line block ×6, first 2 shown]
	s_or_b32 exec_lo, exec_lo, s7
	v_add_nc_u32_e32 v8, 0x700, v27
	s_delay_alu instid0(VALU_DEP_1)
	v_cmp_lt_u32_e32 vcc_lo, v8, v128
	s_and_saveexec_b32 s7, vcc_lo
	s_cbranch_execz .LBB1642_69
; %bb.68:
	flat_store_b8 v[2:3], v23 offset:1792
.LBB1642_69:
	s_or_b32 exec_lo, exec_lo, s7
	v_lshlrev_b64 v[2:3], 3, v[27:28]
	v_add_co_u32 v0, s7, v6, v0
	s_delay_alu instid0(VALU_DEP_1) | instskip(NEXT) | instid1(VALU_DEP_2)
	v_add_co_ci_u32_e64 v1, s7, v7, v1, s7
	v_add_co_u32 v0, s7, v0, v2
	s_delay_alu instid0(VALU_DEP_1)
	v_add_co_ci_u32_e64 v1, s7, v1, v3, s7
	s_and_saveexec_b32 s7, s1
	s_cbranch_execnz .LBB1642_119
; %bb.70:
	s_or_b32 exec_lo, exec_lo, s7
	s_and_saveexec_b32 s1, s4
	s_cbranch_execnz .LBB1642_120
.LBB1642_71:
	s_or_b32 exec_lo, exec_lo, s1
	s_and_saveexec_b32 s4, s6
	s_cbranch_execnz .LBB1642_121
.LBB1642_72:
	s_or_b32 exec_lo, exec_lo, s4
	s_and_saveexec_b32 s4, s5
	s_cbranch_execnz .LBB1642_122
.LBB1642_73:
	s_or_b32 exec_lo, exec_lo, s4
	s_and_saveexec_b32 s4, s3
	s_cbranch_execnz .LBB1642_123
.LBB1642_74:
	s_or_b32 exec_lo, exec_lo, s4
	s_and_saveexec_b32 s3, s2
	s_cbranch_execnz .LBB1642_124
.LBB1642_75:
	s_or_b32 exec_lo, exec_lo, s3
	s_and_saveexec_b32 s1, s0
	s_cbranch_execnz .LBB1642_125
.LBB1642_76:
	s_or_b32 exec_lo, exec_lo, s1
	s_and_saveexec_b32 s0, vcc_lo
	s_cbranch_execz .LBB1642_78
.LBB1642_77:
	v_add_co_u32 v0, vcc_lo, 0x3000, v0
	v_add_co_ci_u32_e32 v1, vcc_lo, 0, v1, vcc_lo
	flat_store_b64 v[0:1], v[4:5] offset:2048
.LBB1642_78:
	s_or_b32 exec_lo, exec_lo, s0
                                        ; implicit-def: $vgpr128
                                        ; implicit-def: $vgpr0
                                        ; implicit-def: $vgpr1
                                        ; implicit-def: $vgpr2
                                        ; implicit-def: $vgpr3
                                        ; implicit-def: $vgpr4
                                        ; implicit-def: $vgpr5
                                        ; implicit-def: $vgpr6
                                        ; implicit-def: $vgpr7
                                        ; implicit-def: $vgpr8
                                        ; implicit-def: $vgpr10
                                        ; implicit-def: $vgpr11
                                        ; implicit-def: $vgpr12
                                        ; implicit-def: $vgpr13
                                        ; implicit-def: $vgpr14
                                        ; implicit-def: $vgpr15
                                        ; implicit-def: $vgpr26
                                        ; implicit-def: $vgpr16
.LBB1642_79:
	s_and_not1_saveexec_b32 s0, s19
	s_cbranch_execz .LBB1642_199
; %bb.80:
	s_mov_b32 s0, exec_lo
	v_cmpx_lt_u32_e32 0x200, v128
	s_xor_b32 s19, exec_lo, s0
	s_cbranch_execz .LBB1642_140
; %bb.81:
	s_load_b64 s[0:1], s[8:9], 0x0
	v_mov_b32_e32 v9, 0
	v_add_co_u32 v0, vcc_lo, v0, v8
	v_add_co_ci_u32_e32 v1, vcc_lo, 0, v1, vcc_lo
	v_dual_mov_b32 v80, 1 :: v_dual_mov_b32 v81, 1
	s_delay_alu instid0(VALU_DEP_3) | instskip(NEXT) | instid1(VALU_DEP_3)
	v_add_co_u32 v0, vcc_lo, v0, v16
	v_add_co_ci_u32_e32 v1, vcc_lo, 0, v1, vcc_lo
	v_mov_b32_e32 v83, 1
	s_waitcnt lgkmcnt(0)
	s_cmp_lt_u32 s13, s1
	s_cselect_b32 s1, 14, 20
	s_delay_alu instid0(SALU_CYCLE_1) | instskip(SKIP_4) | instid1(SALU_CYCLE_1)
	s_add_u32 s2, s8, s1
	s_addc_u32 s3, s9, 0
	s_cmp_lt_u32 s12, s0
	global_load_u16 v17, v9, s[2:3]
	s_cselect_b32 s0, 12, 18
	s_add_u32 s0, s8, s0
	s_addc_u32 s1, s9, 0
	global_load_u16 v18, v9, s[0:1]
	s_waitcnt vmcnt(1)
	v_mad_u32_u24 v14, v15, v17, v14
	s_waitcnt vmcnt(0)
	s_delay_alu instid0(VALU_DEP_1) | instskip(NEXT) | instid1(VALU_DEP_1)
	v_mad_u64_u32 v[27:28], null, v14, v18, v[26:27]
	v_lshlrev_b32_e32 v14, 2, v27
	v_dual_mov_b32 v82, 1 :: v_dual_mov_b32 v15, v9
	s_delay_alu instid0(VALU_DEP_2) | instskip(NEXT) | instid1(VALU_DEP_1)
	v_and_b32_e32 v14, 0xffffff80, v14
	v_or_b32_e32 v17, v14, v16
	v_add_co_u32 v0, vcc_lo, v0, v14
	v_add_co_ci_u32_e32 v1, vcc_lo, 0, v1, vcc_lo
	s_delay_alu instid0(VALU_DEP_3)
	v_cmp_lt_u32_e32 vcc_lo, v17, v128
	s_and_saveexec_b32 s0, vcc_lo
	s_cbranch_execz .LBB1642_83
; %bb.82:
	flat_load_u8 v80, v[0:1]
	v_dual_mov_b32 v82, 1 :: v_dual_mov_b32 v83, 1
	v_mov_b32_e32 v81, 1
.LBB1642_83:
	s_or_b32 exec_lo, exec_lo, s0
	v_or_b32_e32 v18, 32, v17
	s_delay_alu instid0(VALU_DEP_1) | instskip(NEXT) | instid1(VALU_DEP_1)
	v_cmp_lt_u32_e64 s0, v18, v128
	s_and_saveexec_b32 s1, s0
	s_cbranch_execz .LBB1642_85
; %bb.84:
	flat_load_u8 v82, v[0:1] offset:32
.LBB1642_85:
	s_or_b32 exec_lo, exec_lo, s1
	v_or_b32_e32 v18, 64, v17
	s_delay_alu instid0(VALU_DEP_1) | instskip(NEXT) | instid1(VALU_DEP_1)
	v_cmp_lt_u32_e64 s1, v18, v128
	s_and_saveexec_b32 s2, s1
	s_cbranch_execz .LBB1642_87
; %bb.86:
	flat_load_u8 v83, v[0:1] offset:64
.LBB1642_87:
	;; [unrolled: 9-line block ×3, first 2 shown]
	s_or_b32 exec_lo, exec_lo, s3
	v_lshlrev_b64 v[0:1], 3, v[8:9]
	v_lshlrev_b32_e32 v9, 3, v16
	s_delay_alu instid0(VALU_DEP_2) | instskip(NEXT) | instid1(VALU_DEP_1)
	v_add_co_u32 v17, s3, v4, v0
	v_add_co_ci_u32_e64 v18, s3, v5, v1, s3
	v_lshlrev_b64 v[4:5], 3, v[14:15]
	s_delay_alu instid0(VALU_DEP_3) | instskip(NEXT) | instid1(VALU_DEP_1)
	v_add_co_u32 v9, s3, v17, v9
	v_add_co_ci_u32_e64 v14, s3, 0, v18, s3
                                        ; implicit-def: $vgpr18_vgpr19
	s_delay_alu instid0(VALU_DEP_2) | instskip(NEXT) | instid1(VALU_DEP_1)
	v_add_co_u32 v4, s3, v9, v4
	v_add_co_ci_u32_e64 v5, s3, v14, v5, s3
	s_and_saveexec_b32 s3, vcc_lo
	s_cbranch_execnz .LBB1642_164
; %bb.90:
	s_or_b32 exec_lo, exec_lo, s3
                                        ; implicit-def: $vgpr20_vgpr21
	s_and_saveexec_b32 s3, s0
	s_cbranch_execnz .LBB1642_165
.LBB1642_91:
	s_or_b32 exec_lo, exec_lo, s3
                                        ; implicit-def: $vgpr22_vgpr23
	s_and_saveexec_b32 s0, s1
	s_cbranch_execnz .LBB1642_166
.LBB1642_92:
	s_or_b32 exec_lo, exec_lo, s0
                                        ; implicit-def: $vgpr24_vgpr25
	s_and_saveexec_b32 s0, s2
	s_cbranch_execz .LBB1642_94
.LBB1642_93:
	flat_load_b64 v[24:25], v[4:5] offset:768
.LBB1642_94:
	s_or_b32 exec_lo, exec_lo, s0
	v_dual_mov_b32 v15, 0 :: v_dual_lshlrev_b32 v14, 5, v26
	s_mov_b32 s20, 0
	v_add_co_u32 v9, vcc_lo, v12, 32
	s_mov_b32 s21, s20
	s_mov_b32 s22, s20
	;; [unrolled: 1-line block ×3, first 2 shown]
	v_add_nc_u32_e32 v31, -1, v16
	v_and_b32_e32 v30, 0x3e0, v26
	v_add_co_ci_u32_e32 v84, vcc_lo, 0, v13, vcc_lo
	v_add_co_u32 v4, vcc_lo, v12, v14
	v_add_co_ci_u32_e32 v5, vcc_lo, 0, v13, vcc_lo
	v_and_b32_e32 v17, 15, v16
	v_cmp_gt_i32_e64 s4, 0, v31
	v_add_co_u32 v28, vcc_lo, v9, v14
	v_min_u32_e32 v14, 0xe0, v30
	s_getpc_b64 s[0:1]
	s_add_u32 s0, s0, _ZN7rocprim17ROCPRIM_400000_NS16block_radix_sortIbLj256ELj4ElLj1ELj1ELj8ELNS0_26block_radix_rank_algorithmE2ELNS0_18block_padding_hintE2ELNS0_4arch9wavefront6targetE0EE19radix_bits_per_passE@rel32@lo+4
	s_addc_u32 s1, s1, _ZN7rocprim17ROCPRIM_400000_NS16block_radix_sortIbLj256ELj4ElLj1ELj1ELj8ELNS0_26block_radix_rank_algorithmE2ELNS0_18block_padding_hintE2ELNS0_4arch9wavefront6targetE0EE19radix_bits_per_passE@rel32@hi+12
	v_add_co_ci_u32_e32 v29, vcc_lo, 0, v84, vcc_lo
	s_load_b32 s25, s[0:1], 0x0
	v_cmp_eq_u32_e32 vcc_lo, 0, v17
	v_cmp_lt_u32_e64 s0, 1, v17
	v_cmp_lt_u32_e64 s1, 3, v17
	;; [unrolled: 1-line block ×3, first 2 shown]
	v_cndmask_b32_e64 v17, v31, v16, s4
	v_or_b32_e32 v14, 31, v14
	v_lshrrev_b32_e32 v34, 5, v26
	v_and_b32_e32 v30, 16, v16
	v_cmp_eq_u32_e64 s7, 0, v16
	v_lshlrev_b32_e32 v86, 2, v17
	v_lshlrev_b32_e32 v17, 2, v26
	v_cmp_eq_u32_e64 s4, v14, v26
	v_lshlrev_b32_e32 v14, 2, v34
	v_and_b32_e32 v35, 7, v16
	v_cmp_eq_u32_e64 s3, 0, v30
	v_and_or_b32 v16, 0xf80, v17, v16
	v_lshrrev_b32_e32 v85, 5, v27
	v_add_co_u32 v30, s11, v12, v14
	v_add_nc_u32_e32 v14, -1, v34
	v_add_co_ci_u32_e64 v31, s11, 0, v13, s11
	v_add_co_u32 v32, s11, v12, v17
	v_add_co_u32 v34, s16, v12, v16
	v_add_co_ci_u32_e64 v33, s11, 0, v13, s11
	v_lshlrev_b64 v[14:15], 2, v[14:15]
	v_cmp_eq_u32_e64 s11, 0, v35
	v_cmp_lt_u32_e64 s14, 1, v35
	v_cmp_lt_u32_e64 s15, 3, v35
	v_add_co_ci_u32_e64 v35, s16, 0, v13, s16
	v_add_co_u32 v36, s16, v12, v14
	s_delay_alu instid0(VALU_DEP_1) | instskip(NEXT) | instid1(VALU_DEP_3)
	v_add_co_ci_u32_e64 v37, s16, v13, v15, s16
	v_mad_u64_u32 v[38:39], null, v16, 7, v[34:35]
	v_dual_mov_b32 v14, s20 :: v_dual_mov_b32 v17, s23
	v_cmp_gt_u32_e64 s5, 8, v26
	v_cmp_lt_u32_e64 s6, 31, v26
	v_cmp_eq_u32_e64 s10, 0, v26
	v_sub_nc_u32_e32 v87, v11, v10
	v_dual_mov_b32 v15, s21 :: v_dual_mov_b32 v16, s22
	s_waitcnt vmcnt(0) lgkmcnt(0)
	s_waitcnt_vscnt null, 0x0
	s_barrier
	buffer_gl0_inv
	s_branch .LBB1642_96
.LBB1642_95:                            ;   in Loop: Header=BB1642_96 Depth=1
	s_or_b32 exec_lo, exec_lo, s17
	s_delay_alu instid0(SALU_CYCLE_1) | instskip(NEXT) | instid1(SALU_CYCLE_1)
	s_and_b32 s16, exec_lo, s18
	s_or_b32 s20, s16, s20
	s_delay_alu instid0(SALU_CYCLE_1)
	s_and_not1_b32 exec_lo, exec_lo, s20
	s_cbranch_execz .LBB1642_126
.LBB1642_96:                            ; =>This Inner Loop Header: Depth=1
	v_min_u32_e32 v48, s25, v87
	v_and_b32_e32 v49, 0xff, v80
	v_dual_mov_b32 v53, v19 :: v_dual_mov_b32 v52, v18
	v_mov_b32_e32 v51, v21
	s_delay_alu instid0(VALU_DEP_4) | instskip(NEXT) | instid1(VALU_DEP_4)
	v_lshlrev_b32_e64 v48, v48, -1
	v_lshrrev_b32_e32 v49, v10, v49
	v_mov_b32_e32 v50, v20
	s_clause 0x1
	flat_store_b128 v[4:5], v[14:17] offset:32
	flat_store_b128 v[28:29], v[14:17] offset:16
	s_waitcnt lgkmcnt(0)
	s_waitcnt_vscnt null, 0x0
	v_not_b32_e32 v70, v48
	s_barrier
	buffer_gl0_inv
	; wave barrier
	v_and_b32_e32 v64, v49, v70
	s_delay_alu instid0(VALU_DEP_1) | instskip(NEXT) | instid1(VALU_DEP_1)
	v_add_co_u32 v48, s16, v64, -1
	v_cndmask_b32_e64 v49, 0, 1, s16
	s_delay_alu instid0(VALU_DEP_1) | instskip(NEXT) | instid1(VALU_DEP_1)
	v_cmp_ne_u32_e64 s16, 0, v49
	v_xor_b32_e32 v54, s16, v48
	v_dual_mov_b32 v49, v23 :: v_dual_mov_b32 v48, v22
	v_lshlrev_b32_e32 v19, 3, v64
	s_delay_alu instid0(VALU_DEP_3) | instskip(SKIP_1) | instid1(VALU_DEP_3)
	v_dual_mov_b32 v55, v25 :: v_dual_and_b32 v18, exec_lo, v54
	v_mov_b32_e32 v54, v24
	v_add_lshl_u32 v19, v19, v85, 2
	s_delay_alu instid0(VALU_DEP_3) | instskip(SKIP_1) | instid1(VALU_DEP_3)
	v_mbcnt_lo_u32_b32 v96, v18, 0
	v_cmp_ne_u32_e64 s16, 0, v18
	v_add_co_u32 v64, s18, v9, v19
	s_delay_alu instid0(VALU_DEP_3) | instskip(SKIP_1) | instid1(VALU_DEP_2)
	v_cmp_eq_u32_e64 s17, 0, v96
	v_add_co_ci_u32_e64 v65, s18, 0, v84, s18
	s_and_b32 s17, s16, s17
	s_delay_alu instid0(SALU_CYCLE_1)
	s_and_saveexec_b32 s16, s17
	s_cbranch_execz .LBB1642_98
; %bb.97:                               ;   in Loop: Header=BB1642_96 Depth=1
	v_bcnt_u32_b32 v18, v18, 0
	flat_store_b32 v[64:65], v18
.LBB1642_98:                            ;   in Loop: Header=BB1642_96 Depth=1
	s_or_b32 exec_lo, exec_lo, s16
	v_and_b32_e32 v18, 0xff, v82
	; wave barrier
	s_delay_alu instid0(VALU_DEP_1) | instskip(NEXT) | instid1(VALU_DEP_1)
	v_lshrrev_b32_e32 v18, v10, v18
	v_and_b32_e32 v18, v18, v70
	s_delay_alu instid0(VALU_DEP_1) | instskip(NEXT) | instid1(VALU_DEP_1)
	v_lshlrev_b32_e32 v19, 3, v18
	v_add_lshl_u32 v19, v19, v85, 2
	s_delay_alu instid0(VALU_DEP_1) | instskip(NEXT) | instid1(VALU_DEP_1)
	v_add_co_u32 v66, s16, v9, v19
	v_add_co_ci_u32_e64 v67, s16, 0, v84, s16
	v_add_co_u32 v18, s16, v18, -1
	s_delay_alu instid0(VALU_DEP_1) | instskip(SKIP_2) | instid1(VALU_DEP_1)
	v_cndmask_b32_e64 v19, 0, 1, s16
	flat_load_b32 v97, v[66:67]
	; wave barrier
	v_cmp_ne_u32_e64 s16, 0, v19
	v_xor_b32_e32 v18, s16, v18
	s_delay_alu instid0(VALU_DEP_1) | instskip(NEXT) | instid1(VALU_DEP_1)
	v_and_b32_e32 v18, exec_lo, v18
	v_mbcnt_lo_u32_b32 v98, v18, 0
	v_cmp_ne_u32_e64 s17, 0, v18
	s_delay_alu instid0(VALU_DEP_2) | instskip(NEXT) | instid1(VALU_DEP_1)
	v_cmp_eq_u32_e64 s16, 0, v98
	s_and_b32 s17, s17, s16
	s_delay_alu instid0(SALU_CYCLE_1)
	s_and_saveexec_b32 s16, s17
	s_cbranch_execz .LBB1642_100
; %bb.99:                               ;   in Loop: Header=BB1642_96 Depth=1
	s_waitcnt vmcnt(0) lgkmcnt(0)
	v_bcnt_u32_b32 v18, v18, v97
	flat_store_b32 v[66:67], v18
.LBB1642_100:                           ;   in Loop: Header=BB1642_96 Depth=1
	s_or_b32 exec_lo, exec_lo, s16
	v_and_b32_e32 v18, 0xff, v83
	; wave barrier
	s_delay_alu instid0(VALU_DEP_1) | instskip(NEXT) | instid1(VALU_DEP_1)
	v_lshrrev_b32_e32 v18, v10, v18
	v_and_b32_e32 v18, v18, v70
	s_delay_alu instid0(VALU_DEP_1) | instskip(NEXT) | instid1(VALU_DEP_1)
	v_lshlrev_b32_e32 v19, 3, v18
	v_add_lshl_u32 v19, v19, v85, 2
	s_delay_alu instid0(VALU_DEP_1) | instskip(NEXT) | instid1(VALU_DEP_1)
	v_add_co_u32 v68, s16, v9, v19
	v_add_co_ci_u32_e64 v69, s16, 0, v84, s16
	v_add_co_u32 v18, s16, v18, -1
	s_delay_alu instid0(VALU_DEP_1) | instskip(SKIP_2) | instid1(VALU_DEP_1)
	v_cndmask_b32_e64 v19, 0, 1, s16
	flat_load_b32 v99, v[68:69]
	; wave barrier
	v_cmp_ne_u32_e64 s16, 0, v19
	v_xor_b32_e32 v18, s16, v18
	s_delay_alu instid0(VALU_DEP_1) | instskip(NEXT) | instid1(VALU_DEP_1)
	v_and_b32_e32 v18, exec_lo, v18
	v_mbcnt_lo_u32_b32 v100, v18, 0
	v_cmp_ne_u32_e64 s17, 0, v18
	s_delay_alu instid0(VALU_DEP_2) | instskip(NEXT) | instid1(VALU_DEP_1)
	v_cmp_eq_u32_e64 s16, 0, v100
	s_and_b32 s17, s17, s16
	s_delay_alu instid0(SALU_CYCLE_1)
	s_and_saveexec_b32 s16, s17
	s_cbranch_execz .LBB1642_102
; %bb.101:                              ;   in Loop: Header=BB1642_96 Depth=1
	s_waitcnt vmcnt(0) lgkmcnt(0)
	v_bcnt_u32_b32 v18, v18, v99
	flat_store_b32 v[68:69], v18
.LBB1642_102:                           ;   in Loop: Header=BB1642_96 Depth=1
	s_or_b32 exec_lo, exec_lo, s16
	v_and_b32_e32 v18, 0xff, v81
	; wave barrier
	s_delay_alu instid0(VALU_DEP_1) | instskip(NEXT) | instid1(VALU_DEP_1)
	v_lshrrev_b32_e32 v18, v10, v18
	v_and_b32_e32 v18, v18, v70
	s_delay_alu instid0(VALU_DEP_1) | instskip(NEXT) | instid1(VALU_DEP_1)
	v_lshlrev_b32_e32 v19, 3, v18
	v_add_lshl_u32 v19, v19, v85, 2
	s_delay_alu instid0(VALU_DEP_1) | instskip(NEXT) | instid1(VALU_DEP_1)
	v_add_co_u32 v70, s16, v9, v19
	v_add_co_ci_u32_e64 v71, s16, 0, v84, s16
	v_add_co_u32 v18, s16, v18, -1
	s_delay_alu instid0(VALU_DEP_1) | instskip(SKIP_2) | instid1(VALU_DEP_1)
	v_cndmask_b32_e64 v19, 0, 1, s16
	flat_load_b32 v102, v[70:71]
	; wave barrier
	v_cmp_ne_u32_e64 s16, 0, v19
	v_xor_b32_e32 v18, s16, v18
	s_delay_alu instid0(VALU_DEP_1) | instskip(NEXT) | instid1(VALU_DEP_1)
	v_and_b32_e32 v18, exec_lo, v18
	v_mbcnt_lo_u32_b32 v115, v18, 0
	v_cmp_ne_u32_e64 s17, 0, v18
	s_delay_alu instid0(VALU_DEP_2) | instskip(NEXT) | instid1(VALU_DEP_1)
	v_cmp_eq_u32_e64 s16, 0, v115
	s_and_b32 s17, s17, s16
	s_delay_alu instid0(SALU_CYCLE_1)
	s_and_saveexec_b32 s16, s17
	s_cbranch_execz .LBB1642_104
; %bb.103:                              ;   in Loop: Header=BB1642_96 Depth=1
	s_waitcnt vmcnt(0) lgkmcnt(0)
	v_bcnt_u32_b32 v18, v18, v102
	flat_store_b32 v[70:71], v18
.LBB1642_104:                           ;   in Loop: Header=BB1642_96 Depth=1
	s_or_b32 exec_lo, exec_lo, s16
	; wave barrier
	s_waitcnt vmcnt(0) lgkmcnt(0)
	s_waitcnt_vscnt null, 0x0
	s_barrier
	buffer_gl0_inv
	s_clause 0x1
	flat_load_b128 v[22:25], v[4:5] offset:32
	flat_load_b128 v[18:21], v[28:29] offset:16
	s_waitcnt vmcnt(1) lgkmcnt(1)
	v_add_nc_u32_e32 v101, v23, v22
	s_delay_alu instid0(VALU_DEP_1) | instskip(SKIP_1) | instid1(VALU_DEP_1)
	v_add3_u32 v101, v101, v24, v25
	s_waitcnt vmcnt(0) lgkmcnt(0)
	v_add3_u32 v101, v101, v18, v19
	s_delay_alu instid0(VALU_DEP_1) | instskip(NEXT) | instid1(VALU_DEP_1)
	v_add3_u32 v21, v101, v20, v21
	v_mov_b32_dpp v101, v21 row_shr:1 row_mask:0xf bank_mask:0xf
	s_delay_alu instid0(VALU_DEP_1) | instskip(NEXT) | instid1(VALU_DEP_1)
	v_cndmask_b32_e64 v101, v101, 0, vcc_lo
	v_add_nc_u32_e32 v21, v101, v21
	s_delay_alu instid0(VALU_DEP_1) | instskip(NEXT) | instid1(VALU_DEP_1)
	v_mov_b32_dpp v101, v21 row_shr:2 row_mask:0xf bank_mask:0xf
	v_cndmask_b32_e64 v101, 0, v101, s0
	s_delay_alu instid0(VALU_DEP_1) | instskip(NEXT) | instid1(VALU_DEP_1)
	v_add_nc_u32_e32 v21, v21, v101
	v_mov_b32_dpp v101, v21 row_shr:4 row_mask:0xf bank_mask:0xf
	s_delay_alu instid0(VALU_DEP_1) | instskip(NEXT) | instid1(VALU_DEP_1)
	v_cndmask_b32_e64 v101, 0, v101, s1
	v_add_nc_u32_e32 v21, v21, v101
	s_delay_alu instid0(VALU_DEP_1) | instskip(NEXT) | instid1(VALU_DEP_1)
	v_mov_b32_dpp v101, v21 row_shr:8 row_mask:0xf bank_mask:0xf
	v_cndmask_b32_e64 v101, 0, v101, s2
	s_delay_alu instid0(VALU_DEP_1) | instskip(SKIP_3) | instid1(VALU_DEP_1)
	v_add_nc_u32_e32 v21, v21, v101
	ds_swizzle_b32 v101, v21 offset:swizzle(BROADCAST,32,15)
	s_waitcnt lgkmcnt(0)
	v_cndmask_b32_e64 v101, v101, 0, s3
	v_add_nc_u32_e32 v21, v21, v101
	s_and_saveexec_b32 s16, s4
	s_cbranch_execz .LBB1642_106
; %bb.105:                              ;   in Loop: Header=BB1642_96 Depth=1
	flat_store_b32 v[30:31], v21
.LBB1642_106:                           ;   in Loop: Header=BB1642_96 Depth=1
	s_or_b32 exec_lo, exec_lo, s16
	s_waitcnt lgkmcnt(0)
	s_waitcnt_vscnt null, 0x0
	s_barrier
	buffer_gl0_inv
	s_and_saveexec_b32 s16, s5
	s_cbranch_execz .LBB1642_108
; %bb.107:                              ;   in Loop: Header=BB1642_96 Depth=1
	flat_load_b32 v101, v[32:33]
	s_waitcnt vmcnt(0) lgkmcnt(0)
	v_mov_b32_dpp v103, v101 row_shr:1 row_mask:0xf bank_mask:0xf
	s_delay_alu instid0(VALU_DEP_1) | instskip(NEXT) | instid1(VALU_DEP_1)
	v_cndmask_b32_e64 v103, v103, 0, s11
	v_add_nc_u32_e32 v101, v103, v101
	s_delay_alu instid0(VALU_DEP_1) | instskip(NEXT) | instid1(VALU_DEP_1)
	v_mov_b32_dpp v103, v101 row_shr:2 row_mask:0xf bank_mask:0xf
	v_cndmask_b32_e64 v103, 0, v103, s14
	s_delay_alu instid0(VALU_DEP_1) | instskip(NEXT) | instid1(VALU_DEP_1)
	v_add_nc_u32_e32 v101, v101, v103
	v_mov_b32_dpp v103, v101 row_shr:4 row_mask:0xf bank_mask:0xf
	s_delay_alu instid0(VALU_DEP_1) | instskip(NEXT) | instid1(VALU_DEP_1)
	v_cndmask_b32_e64 v103, 0, v103, s15
	v_add_nc_u32_e32 v101, v101, v103
	flat_store_b32 v[32:33], v101
.LBB1642_108:                           ;   in Loop: Header=BB1642_96 Depth=1
	s_or_b32 exec_lo, exec_lo, s16
	v_mov_b32_e32 v101, 0
	s_waitcnt lgkmcnt(0)
	s_waitcnt_vscnt null, 0x0
	s_barrier
	buffer_gl0_inv
	s_and_saveexec_b32 s16, s6
	s_cbranch_execz .LBB1642_110
; %bb.109:                              ;   in Loop: Header=BB1642_96 Depth=1
	flat_load_b32 v101, v[36:37]
.LBB1642_110:                           ;   in Loop: Header=BB1642_96 Depth=1
	s_or_b32 exec_lo, exec_lo, s16
	s_waitcnt vmcnt(0) lgkmcnt(0)
	v_dual_mov_b32 v112, v80 :: v_dual_add_nc_u32 v21, v101, v21
	v_add_nc_u32_e32 v10, 8, v10
	s_mov_b32 s18, -1
	v_mov_b32_e32 v113, v82
	ds_bpermute_b32 v21, v86, v21
	v_dual_mov_b32 v114, v83 :: v_dual_mov_b32 v103, v81
	s_waitcnt lgkmcnt(0)
	v_cndmask_b32_e64 v21, v21, v101, s7
	s_delay_alu instid0(VALU_DEP_1) | instskip(NEXT) | instid1(VALU_DEP_1)
	v_cndmask_b32_e64 v21, v21, 0, s10
	v_add_nc_u32_e32 v22, v21, v22
	s_delay_alu instid0(VALU_DEP_1) | instskip(NEXT) | instid1(VALU_DEP_1)
	v_add_nc_u32_e32 v23, v22, v23
	v_add_nc_u32_e32 v24, v23, v24
	s_delay_alu instid0(VALU_DEP_1) | instskip(NEXT) | instid1(VALU_DEP_1)
	v_add_nc_u32_e32 v116, v24, v25
	v_add_nc_u32_e32 v117, v116, v18
	s_delay_alu instid0(VALU_DEP_1) | instskip(NEXT) | instid1(VALU_DEP_1)
	v_add_nc_u32_e32 v118, v117, v19
	v_add_nc_u32_e32 v119, v118, v20
	s_clause 0x1
	flat_store_b128 v[4:5], v[21:24] offset:32
	flat_store_b128 v[28:29], v[116:119] offset:16
	s_waitcnt lgkmcnt(0)
	s_waitcnt_vscnt null, 0x0
	s_barrier
	buffer_gl0_inv
	s_clause 0x3
	flat_load_b32 v18, v[64:65]
	flat_load_b32 v19, v[66:67]
	;; [unrolled: 1-line block ×4, first 2 shown]
	s_waitcnt vmcnt(0) lgkmcnt(0)
	s_waitcnt_vscnt null, 0x0
                                        ; implicit-def: $vgpr22_vgpr23
                                        ; implicit-def: $vgpr24_vgpr25
	s_waitcnt vmcnt(3) lgkmcnt(3)
	v_add_nc_u32_e32 v101, v18, v96
	s_waitcnt vmcnt(2) lgkmcnt(2)
	v_add3_u32 v98, v98, v97, v19
	s_waitcnt vmcnt(1) lgkmcnt(1)
	v_add3_u32 v97, v100, v99, v20
	;; [unrolled: 2-line block ×3, first 2 shown]
                                        ; implicit-def: $vgpr18_vgpr19
                                        ; implicit-def: $vgpr20_vgpr21
	v_add_co_u32 v64, s17, v12, v101
	s_delay_alu instid0(VALU_DEP_1) | instskip(SKIP_1) | instid1(VALU_DEP_1)
	v_add_co_ci_u32_e64 v65, s17, 0, v13, s17
	v_add_co_u32 v66, s17, v12, v98
	v_add_co_ci_u32_e64 v67, s17, 0, v13, s17
	v_add_co_u32 v68, s17, v12, v97
	s_delay_alu instid0(VALU_DEP_1) | instskip(SKIP_1) | instid1(VALU_DEP_1)
	v_add_co_ci_u32_e64 v69, s17, 0, v13, s17
	v_add_co_u32 v70, s17, v12, v96
	v_add_co_ci_u32_e64 v71, s17, 0, v13, s17
	s_mov_b32 s17, exec_lo
	v_cmpx_lt_u32_e64 v10, v11
	s_cbranch_execz .LBB1642_95
; %bb.111:                              ;   in Loop: Header=BB1642_96 Depth=1
	v_mad_u64_u32 v[18:19], null, v101, 7, v[64:65]
	v_mad_u64_u32 v[20:21], null, v98, 7, v[66:67]
	;; [unrolled: 1-line block ×4, first 2 shown]
	s_barrier
	buffer_gl0_inv
	s_clause 0x3
	flat_store_b8 v[64:65], v80
	flat_store_b8 v[66:67], v82
	;; [unrolled: 1-line block ×4, first 2 shown]
	s_waitcnt lgkmcnt(0)
	s_waitcnt_vscnt null, 0x0
	s_barrier
	buffer_gl0_inv
	s_clause 0x3
	flat_load_u8 v81, v[34:35] offset:96
	flat_load_u8 v83, v[34:35] offset:64
	;; [unrolled: 1-line block ×3, first 2 shown]
	flat_load_u8 v80, v[34:35]
	s_waitcnt vmcnt(0) lgkmcnt(0)
	s_barrier
	buffer_gl0_inv
	s_clause 0x3
	flat_store_b64 v[18:19], v[52:53]
	flat_store_b64 v[20:21], v[50:51]
	;; [unrolled: 1-line block ×4, first 2 shown]
	s_waitcnt lgkmcnt(0)
	s_waitcnt_vscnt null, 0x0
	s_barrier
	buffer_gl0_inv
	s_clause 0x3
	flat_load_b64 v[18:19], v[38:39]
	flat_load_b64 v[20:21], v[38:39] offset:256
	flat_load_b64 v[22:23], v[38:39] offset:512
	;; [unrolled: 1-line block ×3, first 2 shown]
	v_add_nc_u32_e32 v87, -8, v87
	s_xor_b32 s18, exec_lo, -1
	s_waitcnt vmcnt(0) lgkmcnt(0)
	s_barrier
	buffer_gl0_inv
	s_branch .LBB1642_95
.LBB1642_112:
	flat_load_b64 v[18:19], v[4:5]
	s_or_b32 exec_lo, exec_lo, s7
                                        ; implicit-def: $vgpr20_vgpr21
	s_and_saveexec_b32 s7, s0
	s_cbranch_execz .LBB1642_20
.LBB1642_113:
	flat_load_b64 v[20:21], v[4:5] offset:256
	s_or_b32 exec_lo, exec_lo, s7
                                        ; implicit-def: $vgpr22_vgpr23
	s_and_saveexec_b32 s0, s1
	s_cbranch_execz .LBB1642_21
.LBB1642_114:
	flat_load_b64 v[22:23], v[4:5] offset:512
	s_or_b32 exec_lo, exec_lo, s0
                                        ; implicit-def: $vgpr24_vgpr25
	s_and_saveexec_b32 s0, s2
	s_cbranch_execz .LBB1642_22
.LBB1642_115:
	flat_load_b64 v[24:25], v[4:5] offset:768
	s_or_b32 exec_lo, exec_lo, s0
                                        ; implicit-def: $vgpr80_vgpr81
	s_and_saveexec_b32 s0, s3
	s_cbranch_execz .LBB1642_23
.LBB1642_116:
	flat_load_b64 v[80:81], v[4:5] offset:1024
	s_or_b32 exec_lo, exec_lo, s0
                                        ; implicit-def: $vgpr82_vgpr83
	s_and_saveexec_b32 s0, s4
	s_cbranch_execz .LBB1642_24
.LBB1642_117:
	flat_load_b64 v[82:83], v[4:5] offset:1280
	s_or_b32 exec_lo, exec_lo, s0
                                        ; implicit-def: $vgpr84_vgpr85
	s_and_saveexec_b32 s0, s5
	s_cbranch_execz .LBB1642_25
.LBB1642_118:
	flat_load_b64 v[84:85], v[4:5] offset:1536
	s_or_b32 exec_lo, exec_lo, s0
                                        ; implicit-def: $vgpr86_vgpr87
	s_and_saveexec_b32 s0, s6
	s_cbranch_execnz .LBB1642_26
	s_branch .LBB1642_27
.LBB1642_119:
	flat_store_b64 v[0:1], v[21:22]
	s_or_b32 exec_lo, exec_lo, s7
	s_and_saveexec_b32 s1, s4
	s_cbranch_execz .LBB1642_71
.LBB1642_120:
	flat_store_b64 v[0:1], v[19:20] offset:2048
	s_or_b32 exec_lo, exec_lo, s1
	s_and_saveexec_b32 s4, s6
	s_cbranch_execz .LBB1642_72
.LBB1642_121:
	v_add_co_u32 v2, s1, 0x1000, v0
	s_delay_alu instid0(VALU_DEP_1)
	v_add_co_ci_u32_e64 v3, s1, 0, v1, s1
	flat_store_b64 v[2:3], v[17:18]
	s_or_b32 exec_lo, exec_lo, s4
	s_and_saveexec_b32 s4, s5
	s_cbranch_execz .LBB1642_73
.LBB1642_122:
	v_add_co_u32 v2, s1, 0x1000, v0
	s_delay_alu instid0(VALU_DEP_1)
	v_add_co_ci_u32_e64 v3, s1, 0, v1, s1
	flat_store_b64 v[2:3], v[15:16] offset:2048
	s_or_b32 exec_lo, exec_lo, s4
	s_and_saveexec_b32 s4, s3
	s_cbranch_execz .LBB1642_74
.LBB1642_123:
	v_add_co_u32 v2, s1, 0x2000, v0
	s_delay_alu instid0(VALU_DEP_1)
	v_add_co_ci_u32_e64 v3, s1, 0, v1, s1
	flat_store_b64 v[2:3], v[13:14]
	s_or_b32 exec_lo, exec_lo, s4
	s_and_saveexec_b32 s3, s2
	s_cbranch_execz .LBB1642_75
.LBB1642_124:
	v_add_co_u32 v2, s1, 0x2000, v0
	s_delay_alu instid0(VALU_DEP_1)
	v_add_co_ci_u32_e64 v3, s1, 0, v1, s1
	flat_store_b64 v[2:3], v[11:12] offset:2048
	s_or_b32 exec_lo, exec_lo, s3
	s_and_saveexec_b32 s1, s0
	s_cbranch_execz .LBB1642_76
.LBB1642_125:
	v_add_co_u32 v2, s0, 0x3000, v0
	s_delay_alu instid0(VALU_DEP_1)
	v_add_co_ci_u32_e64 v3, s0, 0, v1, s0
	flat_store_b64 v[2:3], v[9:10]
	s_or_b32 exec_lo, exec_lo, s1
	s_and_saveexec_b32 s0, vcc_lo
	s_cbranch_execnz .LBB1642_77
	s_branch .LBB1642_78
.LBB1642_126:
	s_or_b32 exec_lo, exec_lo, s20
	v_add_co_u32 v4, vcc_lo, v12, v26
	v_add_co_ci_u32_e32 v5, vcc_lo, 0, v13, vcc_lo
	v_mad_u64_u32 v[9:10], null, v101, 7, v[64:65]
	v_mad_u64_u32 v[11:12], null, v98, 7, v[66:67]
	s_delay_alu instid0(VALU_DEP_3)
	v_mad_u64_u32 v[21:22], null, v26, 7, v[4:5]
	v_mad_u64_u32 v[13:14], null, v97, 7, v[68:69]
	s_barrier
	buffer_gl0_inv
	s_clause 0x3
	flat_store_b8 v[64:65], v112
	flat_store_b8 v[66:67], v113
	;; [unrolled: 1-line block ×4, first 2 shown]
	s_waitcnt lgkmcnt(0)
	s_waitcnt_vscnt null, 0x0
	s_barrier
	buffer_gl0_inv
	s_clause 0x3
	flat_load_u8 v18, v[4:5]
	flat_load_u8 v17, v[4:5] offset:256
	flat_load_u8 v16, v[4:5] offset:512
	;; [unrolled: 1-line block ×3, first 2 shown]
	v_mad_u64_u32 v[19:20], null, v96, 7, v[70:71]
	v_add_co_u32 v4, vcc_lo, 0x1000, v21
	v_add_co_ci_u32_e32 v5, vcc_lo, 0, v22, vcc_lo
	s_waitcnt vmcnt(0) lgkmcnt(0)
	s_barrier
	buffer_gl0_inv
	s_clause 0x3
	flat_store_b64 v[9:10], v[52:53]
	flat_store_b64 v[11:12], v[50:51]
	;; [unrolled: 1-line block ×4, first 2 shown]
	s_waitcnt lgkmcnt(0)
	s_waitcnt_vscnt null, 0x0
	s_barrier
	buffer_gl0_inv
	s_clause 0x3
	flat_load_b64 v[13:14], v[21:22]
	flat_load_b64 v[11:12], v[21:22] offset:2048
	flat_load_b64 v[9:10], v[4:5]
	flat_load_b64 v[4:5], v[4:5] offset:2048
	v_add_co_u32 v2, vcc_lo, v2, v8
	v_add_co_ci_u32_e32 v3, vcc_lo, 0, v3, vcc_lo
	v_mov_b32_e32 v28, 0
	s_delay_alu instid0(VALU_DEP_3) | instskip(NEXT) | instid1(VALU_DEP_3)
	v_add_co_u32 v2, vcc_lo, v2, v27
	v_add_co_ci_u32_e32 v3, vcc_lo, 0, v3, vcc_lo
	v_cmp_lt_u32_e32 vcc_lo, v27, v128
	s_waitcnt vmcnt(0) lgkmcnt(0)
	s_barrier
	buffer_gl0_inv
	s_and_saveexec_b32 s0, vcc_lo
	s_cbranch_execz .LBB1642_128
; %bb.127:
	flat_store_b8 v[2:3], v18
.LBB1642_128:
	s_or_b32 exec_lo, exec_lo, s0
	v_add_nc_u32_e32 v8, 0x100, v27
	s_delay_alu instid0(VALU_DEP_1) | instskip(NEXT) | instid1(VALU_DEP_1)
	v_cmp_lt_u32_e64 s0, v8, v128
	s_and_saveexec_b32 s1, s0
	s_cbranch_execz .LBB1642_130
; %bb.129:
	flat_store_b8 v[2:3], v17 offset:256
.LBB1642_130:
	s_or_b32 exec_lo, exec_lo, s1
	v_add_nc_u32_e32 v8, 0x200, v27
	s_delay_alu instid0(VALU_DEP_1) | instskip(NEXT) | instid1(VALU_DEP_1)
	v_cmp_lt_u32_e64 s2, v8, v128
	s_and_saveexec_b32 s1, s2
	s_cbranch_execz .LBB1642_132
; %bb.131:
	flat_store_b8 v[2:3], v16 offset:512
.LBB1642_132:
	;; [unrolled: 9-line block ×3, first 2 shown]
	s_or_b32 exec_lo, exec_lo, s3
	v_lshlrev_b64 v[2:3], 3, v[27:28]
	v_add_co_u32 v0, s3, v6, v0
	s_delay_alu instid0(VALU_DEP_1) | instskip(NEXT) | instid1(VALU_DEP_2)
	v_add_co_ci_u32_e64 v1, s3, v7, v1, s3
	v_add_co_u32 v0, s3, v0, v2
	s_delay_alu instid0(VALU_DEP_1)
	v_add_co_ci_u32_e64 v1, s3, v1, v3, s3
	s_and_saveexec_b32 s3, vcc_lo
	s_cbranch_execnz .LBB1642_167
; %bb.135:
	s_or_b32 exec_lo, exec_lo, s3
	s_and_saveexec_b32 s3, s0
	s_cbranch_execnz .LBB1642_168
.LBB1642_136:
	s_or_b32 exec_lo, exec_lo, s3
	s_and_saveexec_b32 s0, s2
	s_cbranch_execnz .LBB1642_169
.LBB1642_137:
	s_or_b32 exec_lo, exec_lo, s0
	s_and_saveexec_b32 s0, s1
	s_cbranch_execz .LBB1642_139
.LBB1642_138:
	v_add_co_u32 v0, vcc_lo, 0x1000, v0
	v_add_co_ci_u32_e32 v1, vcc_lo, 0, v1, vcc_lo
	flat_store_b64 v[0:1], v[4:5] offset:2048
.LBB1642_139:
	s_or_b32 exec_lo, exec_lo, s0
                                        ; implicit-def: $vgpr128
                                        ; implicit-def: $vgpr0
                                        ; implicit-def: $vgpr1
                                        ; implicit-def: $vgpr2
                                        ; implicit-def: $vgpr3
                                        ; implicit-def: $vgpr4
                                        ; implicit-def: $vgpr5
                                        ; implicit-def: $vgpr6
                                        ; implicit-def: $vgpr7
                                        ; implicit-def: $vgpr8
                                        ; implicit-def: $vgpr10
                                        ; implicit-def: $vgpr11
                                        ; implicit-def: $vgpr12
                                        ; implicit-def: $vgpr13
                                        ; implicit-def: $vgpr14
                                        ; implicit-def: $vgpr15
                                        ; implicit-def: $vgpr26
                                        ; implicit-def: $vgpr16
.LBB1642_140:
	s_and_not1_saveexec_b32 s0, s19
	s_cbranch_execz .LBB1642_199
; %bb.141:
	s_load_b64 s[0:1], s[8:9], 0x0
	v_mov_b32_e32 v9, 0
	s_waitcnt lgkmcnt(0)
	s_cmp_lt_u32 s13, s1
	s_cselect_b32 s1, 14, 20
	s_delay_alu instid0(SALU_CYCLE_1) | instskip(SKIP_4) | instid1(SALU_CYCLE_1)
	s_add_u32 s2, s8, s1
	s_addc_u32 s3, s9, 0
	s_cmp_lt_u32 s12, s0
	global_load_u16 v17, v9, s[2:3]
	s_cselect_b32 s0, 12, 18
	s_add_u32 s0, s8, s0
	s_addc_u32 s1, s9, 0
	global_load_u16 v18, v9, s[0:1]
	s_mov_b32 s0, exec_lo
	s_waitcnt vmcnt(1)
	v_mad_u32_u24 v14, v15, v17, v14
	s_waitcnt vmcnt(0)
	s_delay_alu instid0(VALU_DEP_1)
	v_mad_u64_u32 v[27:28], null, v14, v18, v[26:27]
	v_cmpx_lt_u32_e32 0x100, v128
	s_xor_b32 s15, exec_lo, s0
	s_cbranch_execz .LBB1642_179
; %bb.142:
	s_delay_alu instid0(VALU_DEP_2) | instskip(SKIP_2) | instid1(VALU_DEP_3)
	v_dual_mov_b32 v15, v9 :: v_dual_lshlrev_b32 v14, 1, v27
	v_add_co_u32 v0, vcc_lo, v0, v8
	v_add_co_ci_u32_e32 v1, vcc_lo, 0, v1, vcc_lo
	v_dual_mov_b32 v65, 1 :: v_dual_and_b32 v14, 0xffffffc0, v14
	s_delay_alu instid0(VALU_DEP_3) | instskip(NEXT) | instid1(VALU_DEP_3)
	v_add_co_u32 v0, vcc_lo, v0, v16
	v_add_co_ci_u32_e32 v1, vcc_lo, 0, v1, vcc_lo
	s_delay_alu instid0(VALU_DEP_3) | instskip(NEXT) | instid1(VALU_DEP_3)
	v_or_b32_e32 v17, v16, v14
	v_add_co_u32 v0, vcc_lo, v0, v14
	s_delay_alu instid0(VALU_DEP_3) | instskip(NEXT) | instid1(VALU_DEP_3)
	v_add_co_ci_u32_e32 v1, vcc_lo, 0, v1, vcc_lo
	v_cmp_lt_u32_e32 vcc_lo, v17, v128
	v_mov_b32_e32 v64, 1
	s_and_saveexec_b32 s0, vcc_lo
	s_cbranch_execz .LBB1642_144
; %bb.143:
	flat_load_u8 v65, v[0:1]
.LBB1642_144:
	s_or_b32 exec_lo, exec_lo, s0
	v_or_b32_e32 v17, 32, v17
	s_delay_alu instid0(VALU_DEP_1) | instskip(NEXT) | instid1(VALU_DEP_1)
	v_cmp_lt_u32_e64 s0, v17, v128
	s_and_saveexec_b32 s1, s0
	s_cbranch_execz .LBB1642_146
; %bb.145:
	flat_load_u8 v64, v[0:1] offset:32
.LBB1642_146:
	s_or_b32 exec_lo, exec_lo, s1
	v_lshlrev_b64 v[0:1], 3, v[8:9]
	v_lshlrev_b32_e32 v9, 3, v16
	s_delay_alu instid0(VALU_DEP_2) | instskip(NEXT) | instid1(VALU_DEP_1)
	v_add_co_u32 v17, s1, v4, v0
	v_add_co_ci_u32_e64 v18, s1, v5, v1, s1
	v_lshlrev_b64 v[4:5], 3, v[14:15]
	s_delay_alu instid0(VALU_DEP_3) | instskip(NEXT) | instid1(VALU_DEP_1)
	v_add_co_u32 v9, s1, v17, v9
	v_add_co_ci_u32_e64 v14, s1, 0, v18, s1
                                        ; implicit-def: $vgpr18_vgpr19
	s_delay_alu instid0(VALU_DEP_2) | instskip(NEXT) | instid1(VALU_DEP_1)
	v_add_co_u32 v4, s1, v9, v4
	v_add_co_ci_u32_e64 v5, s1, v14, v5, s1
	s_and_saveexec_b32 s1, vcc_lo
	s_cbranch_execz .LBB1642_148
; %bb.147:
	flat_load_b64 v[18:19], v[4:5]
.LBB1642_148:
	s_or_b32 exec_lo, exec_lo, s1
                                        ; implicit-def: $vgpr20_vgpr21
	s_and_saveexec_b32 s1, s0
	s_cbranch_execz .LBB1642_150
; %bb.149:
	flat_load_b64 v[20:21], v[4:5] offset:256
.LBB1642_150:
	s_or_b32 exec_lo, exec_lo, s1
	v_dual_mov_b32 v15, 0 :: v_dual_lshlrev_b32 v14, 5, v26
	s_mov_b32 s16, 0
	v_add_co_u32 v9, vcc_lo, v12, 32
	s_mov_b32 s17, s16
	s_mov_b32 s18, s16
	;; [unrolled: 1-line block ×3, first 2 shown]
	v_and_b32_e32 v22, 0x3e0, v26
	v_add_co_ci_u32_e32 v66, vcc_lo, 0, v13, vcc_lo
	v_add_co_u32 v4, vcc_lo, v12, v14
	v_add_co_ci_u32_e32 v5, vcc_lo, 0, v13, vcc_lo
	v_add_co_u32 v28, vcc_lo, v9, v14
	v_min_u32_e32 v14, 0xe0, v22
	v_and_b32_e32 v22, 16, v16
	v_add_nc_u32_e32 v23, -1, v16
	v_and_b32_e32 v17, 15, v16
	s_getpc_b64 s[0:1]
	s_add_u32 s0, s0, _ZN7rocprim17ROCPRIM_400000_NS16block_radix_sortIbLj256ELj2ElLj1ELj1ELj8ELNS0_26block_radix_rank_algorithmE2ELNS0_18block_padding_hintE2ELNS0_4arch9wavefront6targetE0EE19radix_bits_per_passE@rel32@lo+4
	s_addc_u32 s1, s1, _ZN7rocprim17ROCPRIM_400000_NS16block_radix_sortIbLj256ELj2ElLj1ELj1ELj8ELNS0_26block_radix_rank_algorithmE2ELNS0_18block_padding_hintE2ELNS0_4arch9wavefront6targetE0EE19radix_bits_per_passE@rel32@hi+12
	v_or_b32_e32 v14, 31, v14
	v_cmp_eq_u32_e64 s3, 0, v22
	v_cmp_gt_i32_e64 s4, 0, v23
	v_lshrrev_b32_e32 v22, 5, v26
	v_add_co_ci_u32_e32 v29, vcc_lo, 0, v66, vcc_lo
	v_lshlrev_b32_e32 v24, 1, v26
	s_load_b32 s20, s[0:1], 0x0
	v_cmp_eq_u32_e32 vcc_lo, 0, v17
	v_cmp_lt_u32_e64 s0, 1, v17
	v_cmp_lt_u32_e64 s1, 3, v17
	;; [unrolled: 1-line block ×3, first 2 shown]
	v_cndmask_b32_e64 v17, v23, v16, s4
	v_cmp_eq_u32_e64 s4, v14, v26
	v_lshlrev_b32_e32 v14, 2, v22
	v_cmp_eq_u32_e64 s7, 0, v16
	v_and_b32_e32 v23, 7, v16
	v_and_or_b32 v16, 0x7c0, v24, v16
	v_lshlrev_b32_e32 v68, 2, v17
	v_add_co_u32 v30, s9, v12, v14
	v_add_nc_u32_e32 v14, -1, v22
	s_delay_alu instid0(VALU_DEP_4) | instskip(SKIP_2) | instid1(VALU_DEP_4)
	v_add_co_u32 v34, s12, v12, v16
	v_lshlrev_b32_e32 v17, 2, v26
	v_add_co_ci_u32_e64 v35, s12, 0, v13, s12
	v_lshlrev_b64 v[14:15], 2, v[14:15]
	v_add_co_ci_u32_e64 v31, s9, 0, v13, s9
	s_delay_alu instid0(VALU_DEP_4) | instskip(NEXT) | instid1(VALU_DEP_4)
	v_add_co_u32 v32, s9, v12, v17
	v_mad_u64_u32 v[38:39], null, v16, 7, v[34:35]
	s_delay_alu instid0(VALU_DEP_4)
	v_add_co_u32 v36, s12, v12, v14
	v_add_co_ci_u32_e64 v33, s9, 0, v13, s9
	v_add_co_ci_u32_e64 v37, s12, v13, v15, s12
	v_mov_b32_e32 v14, s16
	v_mov_b32_e32 v16, s18
	v_lshrrev_b32_e32 v67, 5, v27
	v_cmp_gt_u32_e64 s5, 8, v26
	v_cmp_lt_u32_e64 s6, 31, v26
	v_cmp_eq_u32_e64 s8, 0, v26
	v_cmp_eq_u32_e64 s9, 0, v23
	v_cmp_lt_u32_e64 s10, 1, v23
	v_cmp_lt_u32_e64 s11, 3, v23
	v_sub_nc_u32_e32 v69, v11, v10
	v_mov_b32_e32 v15, s17
	v_mov_b32_e32 v17, s19
	s_waitcnt vmcnt(0) lgkmcnt(0)
	s_waitcnt_vscnt null, 0x0
	s_barrier
	buffer_gl0_inv
	s_branch .LBB1642_152
.LBB1642_151:                           ;   in Loop: Header=BB1642_152 Depth=1
	s_or_b32 exec_lo, exec_lo, s13
	s_delay_alu instid0(SALU_CYCLE_1) | instskip(NEXT) | instid1(SALU_CYCLE_1)
	s_and_b32 s12, exec_lo, s14
	s_or_b32 s16, s12, s16
	s_delay_alu instid0(SALU_CYCLE_1)
	s_and_not1_b32 exec_lo, exec_lo, s16
	s_cbranch_execz .LBB1642_170
.LBB1642_152:                           ; =>This Inner Loop Header: Depth=1
	v_min_u32_e32 v22, s20, v69
	v_and_b32_e32 v23, 0xff, v65
	v_dual_mov_b32 v49, v21 :: v_dual_mov_b32 v48, v20
	s_clause 0x1
	flat_store_b128 v[4:5], v[14:17] offset:32
	flat_store_b128 v[28:29], v[14:17] offset:16
	v_lshlrev_b32_e64 v22, v22, -1
	v_lshrrev_b32_e32 v23, v10, v23
	s_waitcnt lgkmcnt(0)
	s_waitcnt_vscnt null, 0x0
	s_barrier
	buffer_gl0_inv
	v_not_b32_e32 v22, v22
	; wave barrier
	s_delay_alu instid0(VALU_DEP_1) | instskip(SKIP_1) | instid1(VALU_DEP_2)
	v_and_b32_e32 v23, v23, v22
	v_dual_mov_b32 v51, v19 :: v_dual_mov_b32 v50, v18
	v_lshlrev_b32_e32 v18, 3, v23
	v_add_co_u32 v24, s12, v23, -1
	s_delay_alu instid0(VALU_DEP_1) | instskip(NEXT) | instid1(VALU_DEP_3)
	v_cndmask_b32_e64 v25, 0, 1, s12
	v_add_lshl_u32 v18, v18, v67, 2
	s_delay_alu instid0(VALU_DEP_2) | instskip(NEXT) | instid1(VALU_DEP_2)
	v_cmp_ne_u32_e64 s12, 0, v25
	v_add_co_u32 v52, s14, v9, v18
	s_delay_alu instid0(VALU_DEP_1) | instskip(NEXT) | instid1(VALU_DEP_3)
	v_add_co_ci_u32_e64 v53, s14, 0, v66, s14
	v_xor_b32_e32 v24, s12, v24
	s_delay_alu instid0(VALU_DEP_1) | instskip(NEXT) | instid1(VALU_DEP_1)
	v_and_b32_e32 v20, exec_lo, v24
	v_mbcnt_lo_u32_b32 v70, v20, 0
	v_cmp_ne_u32_e64 s12, 0, v20
	s_delay_alu instid0(VALU_DEP_2) | instskip(NEXT) | instid1(VALU_DEP_1)
	v_cmp_eq_u32_e64 s13, 0, v70
	s_and_b32 s13, s12, s13
	s_delay_alu instid0(SALU_CYCLE_1)
	s_and_saveexec_b32 s12, s13
	s_cbranch_execz .LBB1642_154
; %bb.153:                              ;   in Loop: Header=BB1642_152 Depth=1
	v_bcnt_u32_b32 v18, v20, 0
	flat_store_b32 v[52:53], v18
.LBB1642_154:                           ;   in Loop: Header=BB1642_152 Depth=1
	s_or_b32 exec_lo, exec_lo, s12
	v_and_b32_e32 v18, 0xff, v64
	; wave barrier
	s_delay_alu instid0(VALU_DEP_1) | instskip(NEXT) | instid1(VALU_DEP_1)
	v_lshrrev_b32_e32 v18, v10, v18
	v_and_b32_e32 v18, v18, v22
	s_delay_alu instid0(VALU_DEP_1) | instskip(NEXT) | instid1(VALU_DEP_1)
	v_lshlrev_b32_e32 v19, 3, v18
	v_add_lshl_u32 v19, v19, v67, 2
	s_delay_alu instid0(VALU_DEP_1) | instskip(NEXT) | instid1(VALU_DEP_1)
	v_add_co_u32 v54, s12, v9, v19
	v_add_co_ci_u32_e64 v55, s12, 0, v66, s12
	v_add_co_u32 v18, s12, v18, -1
	s_delay_alu instid0(VALU_DEP_1) | instskip(SKIP_2) | instid1(VALU_DEP_1)
	v_cndmask_b32_e64 v19, 0, 1, s12
	flat_load_b32 v71, v[54:55]
	; wave barrier
	v_cmp_ne_u32_e64 s12, 0, v19
	v_xor_b32_e32 v18, s12, v18
	s_delay_alu instid0(VALU_DEP_1) | instskip(NEXT) | instid1(VALU_DEP_1)
	v_and_b32_e32 v18, exec_lo, v18
	v_mbcnt_lo_u32_b32 v80, v18, 0
	v_cmp_ne_u32_e64 s13, 0, v18
	s_delay_alu instid0(VALU_DEP_2) | instskip(NEXT) | instid1(VALU_DEP_1)
	v_cmp_eq_u32_e64 s12, 0, v80
	s_and_b32 s13, s13, s12
	s_delay_alu instid0(SALU_CYCLE_1)
	s_and_saveexec_b32 s12, s13
	s_cbranch_execz .LBB1642_156
; %bb.155:                              ;   in Loop: Header=BB1642_152 Depth=1
	s_waitcnt vmcnt(0) lgkmcnt(0)
	v_bcnt_u32_b32 v18, v18, v71
	flat_store_b32 v[54:55], v18
.LBB1642_156:                           ;   in Loop: Header=BB1642_152 Depth=1
	s_or_b32 exec_lo, exec_lo, s12
	; wave barrier
	s_waitcnt vmcnt(0) lgkmcnt(0)
	s_waitcnt_vscnt null, 0x0
	s_barrier
	buffer_gl0_inv
	s_clause 0x1
	flat_load_b128 v[22:25], v[4:5] offset:32
	flat_load_b128 v[18:21], v[28:29] offset:16
	s_waitcnt vmcnt(1) lgkmcnt(1)
	v_add_nc_u32_e32 v81, v23, v22
	s_delay_alu instid0(VALU_DEP_1) | instskip(SKIP_1) | instid1(VALU_DEP_1)
	v_add3_u32 v81, v81, v24, v25
	s_waitcnt vmcnt(0) lgkmcnt(0)
	v_add3_u32 v81, v81, v18, v19
	s_delay_alu instid0(VALU_DEP_1) | instskip(NEXT) | instid1(VALU_DEP_1)
	v_add3_u32 v21, v81, v20, v21
	v_mov_b32_dpp v81, v21 row_shr:1 row_mask:0xf bank_mask:0xf
	s_delay_alu instid0(VALU_DEP_1) | instskip(NEXT) | instid1(VALU_DEP_1)
	v_cndmask_b32_e64 v81, v81, 0, vcc_lo
	v_add_nc_u32_e32 v21, v81, v21
	s_delay_alu instid0(VALU_DEP_1) | instskip(NEXT) | instid1(VALU_DEP_1)
	v_mov_b32_dpp v81, v21 row_shr:2 row_mask:0xf bank_mask:0xf
	v_cndmask_b32_e64 v81, 0, v81, s0
	s_delay_alu instid0(VALU_DEP_1) | instskip(NEXT) | instid1(VALU_DEP_1)
	v_add_nc_u32_e32 v21, v21, v81
	v_mov_b32_dpp v81, v21 row_shr:4 row_mask:0xf bank_mask:0xf
	s_delay_alu instid0(VALU_DEP_1) | instskip(NEXT) | instid1(VALU_DEP_1)
	v_cndmask_b32_e64 v81, 0, v81, s1
	v_add_nc_u32_e32 v21, v21, v81
	s_delay_alu instid0(VALU_DEP_1) | instskip(NEXT) | instid1(VALU_DEP_1)
	v_mov_b32_dpp v81, v21 row_shr:8 row_mask:0xf bank_mask:0xf
	v_cndmask_b32_e64 v81, 0, v81, s2
	s_delay_alu instid0(VALU_DEP_1) | instskip(SKIP_3) | instid1(VALU_DEP_1)
	v_add_nc_u32_e32 v21, v21, v81
	ds_swizzle_b32 v81, v21 offset:swizzle(BROADCAST,32,15)
	s_waitcnt lgkmcnt(0)
	v_cndmask_b32_e64 v81, v81, 0, s3
	v_add_nc_u32_e32 v21, v21, v81
	s_and_saveexec_b32 s12, s4
	s_cbranch_execz .LBB1642_158
; %bb.157:                              ;   in Loop: Header=BB1642_152 Depth=1
	flat_store_b32 v[30:31], v21
.LBB1642_158:                           ;   in Loop: Header=BB1642_152 Depth=1
	s_or_b32 exec_lo, exec_lo, s12
	s_waitcnt lgkmcnt(0)
	s_waitcnt_vscnt null, 0x0
	s_barrier
	buffer_gl0_inv
	s_and_saveexec_b32 s12, s5
	s_cbranch_execz .LBB1642_160
; %bb.159:                              ;   in Loop: Header=BB1642_152 Depth=1
	flat_load_b32 v81, v[32:33]
	s_waitcnt vmcnt(0) lgkmcnt(0)
	v_mov_b32_dpp v82, v81 row_shr:1 row_mask:0xf bank_mask:0xf
	s_delay_alu instid0(VALU_DEP_1) | instskip(NEXT) | instid1(VALU_DEP_1)
	v_cndmask_b32_e64 v82, v82, 0, s9
	v_add_nc_u32_e32 v81, v82, v81
	s_delay_alu instid0(VALU_DEP_1) | instskip(NEXT) | instid1(VALU_DEP_1)
	v_mov_b32_dpp v82, v81 row_shr:2 row_mask:0xf bank_mask:0xf
	v_cndmask_b32_e64 v82, 0, v82, s10
	s_delay_alu instid0(VALU_DEP_1) | instskip(NEXT) | instid1(VALU_DEP_1)
	v_add_nc_u32_e32 v81, v81, v82
	v_mov_b32_dpp v82, v81 row_shr:4 row_mask:0xf bank_mask:0xf
	s_delay_alu instid0(VALU_DEP_1) | instskip(NEXT) | instid1(VALU_DEP_1)
	v_cndmask_b32_e64 v82, 0, v82, s11
	v_add_nc_u32_e32 v81, v81, v82
	flat_store_b32 v[32:33], v81
.LBB1642_160:                           ;   in Loop: Header=BB1642_152 Depth=1
	s_or_b32 exec_lo, exec_lo, s12
	v_mov_b32_e32 v81, 0
	s_waitcnt lgkmcnt(0)
	s_waitcnt_vscnt null, 0x0
	s_barrier
	buffer_gl0_inv
	s_and_saveexec_b32 s12, s6
	s_cbranch_execz .LBB1642_162
; %bb.161:                              ;   in Loop: Header=BB1642_152 Depth=1
	flat_load_b32 v81, v[36:37]
.LBB1642_162:                           ;   in Loop: Header=BB1642_152 Depth=1
	s_or_b32 exec_lo, exec_lo, s12
	s_waitcnt vmcnt(0) lgkmcnt(0)
	v_add_nc_u32_e32 v21, v81, v21
	v_add_nc_u32_e32 v10, 8, v10
	s_mov_b32 s14, -1
	ds_bpermute_b32 v21, v68, v21
	s_waitcnt lgkmcnt(0)
	v_cndmask_b32_e64 v21, v21, v81, s7
	s_delay_alu instid0(VALU_DEP_1) | instskip(NEXT) | instid1(VALU_DEP_1)
	v_cndmask_b32_e64 v21, v21, 0, s8
	v_add_nc_u32_e32 v22, v21, v22
	s_delay_alu instid0(VALU_DEP_1) | instskip(NEXT) | instid1(VALU_DEP_1)
	v_add_nc_u32_e32 v23, v22, v23
	v_add_nc_u32_e32 v24, v23, v24
	s_delay_alu instid0(VALU_DEP_1) | instskip(NEXT) | instid1(VALU_DEP_1)
	v_add_nc_u32_e32 v81, v24, v25
	;; [unrolled: 3-line block ×3, first 2 shown]
	v_add_nc_u32_e32 v84, v83, v20
	s_clause 0x1
	flat_store_b128 v[4:5], v[21:24] offset:32
	flat_store_b128 v[28:29], v[81:84] offset:16
	s_waitcnt lgkmcnt(0)
	s_waitcnt_vscnt null, 0x0
	s_barrier
	buffer_gl0_inv
	s_clause 0x1
	flat_load_b32 v18, v[52:53]
	flat_load_b32 v19, v[54:55]
	v_dual_mov_b32 v54, v65 :: v_dual_mov_b32 v55, v64
	s_waitcnt vmcnt(0) lgkmcnt(0)
	s_waitcnt_vscnt null, 0x0
                                        ; implicit-def: $vgpr20_vgpr21
	s_waitcnt vmcnt(1) lgkmcnt(1)
	v_add_nc_u32_e32 v52, v18, v70
	s_waitcnt vmcnt(0) lgkmcnt(0)
	v_add3_u32 v53, v80, v71, v19
                                        ; implicit-def: $vgpr18_vgpr19
	s_delay_alu instid0(VALU_DEP_2) | instskip(NEXT) | instid1(VALU_DEP_1)
	v_add_co_u32 v22, s13, v12, v52
	v_add_co_ci_u32_e64 v23, s13, 0, v13, s13
	s_delay_alu instid0(VALU_DEP_3) | instskip(NEXT) | instid1(VALU_DEP_1)
	v_add_co_u32 v24, s13, v12, v53
	v_add_co_ci_u32_e64 v25, s13, 0, v13, s13
	s_mov_b32 s13, exec_lo
	v_cmpx_lt_u32_e64 v10, v11
	s_cbranch_execz .LBB1642_151
; %bb.163:                              ;   in Loop: Header=BB1642_152 Depth=1
	v_mad_u64_u32 v[18:19], null, v52, 7, v[22:23]
	v_mad_u64_u32 v[20:21], null, v53, 7, v[24:25]
	s_barrier
	buffer_gl0_inv
	s_clause 0x1
	flat_store_b8 v[22:23], v65
	flat_store_b8 v[24:25], v64
	s_waitcnt lgkmcnt(0)
	s_waitcnt_vscnt null, 0x0
	s_barrier
	buffer_gl0_inv
	s_clause 0x1
	flat_load_u8 v64, v[34:35] offset:32
	flat_load_u8 v65, v[34:35]
	s_waitcnt vmcnt(0) lgkmcnt(0)
	s_barrier
	buffer_gl0_inv
	s_clause 0x1
	flat_store_b64 v[18:19], v[50:51]
	flat_store_b64 v[20:21], v[48:49]
	s_waitcnt lgkmcnt(0)
	s_waitcnt_vscnt null, 0x0
	s_barrier
	buffer_gl0_inv
	s_clause 0x1
	flat_load_b64 v[18:19], v[38:39]
	flat_load_b64 v[20:21], v[38:39] offset:256
	v_add_nc_u32_e32 v69, -8, v69
	s_xor_b32 s14, exec_lo, -1
	s_waitcnt vmcnt(0) lgkmcnt(0)
	s_barrier
	buffer_gl0_inv
	s_branch .LBB1642_151
.LBB1642_164:
	flat_load_b64 v[18:19], v[4:5]
	s_or_b32 exec_lo, exec_lo, s3
                                        ; implicit-def: $vgpr20_vgpr21
	s_and_saveexec_b32 s3, s0
	s_cbranch_execz .LBB1642_91
.LBB1642_165:
	flat_load_b64 v[20:21], v[4:5] offset:256
	s_or_b32 exec_lo, exec_lo, s3
                                        ; implicit-def: $vgpr22_vgpr23
	s_and_saveexec_b32 s0, s1
	s_cbranch_execz .LBB1642_92
.LBB1642_166:
	flat_load_b64 v[22:23], v[4:5] offset:512
	s_or_b32 exec_lo, exec_lo, s0
                                        ; implicit-def: $vgpr24_vgpr25
	s_and_saveexec_b32 s0, s2
	s_cbranch_execnz .LBB1642_93
	s_branch .LBB1642_94
.LBB1642_167:
	flat_store_b64 v[0:1], v[13:14]
	s_or_b32 exec_lo, exec_lo, s3
	s_and_saveexec_b32 s3, s0
	s_cbranch_execz .LBB1642_136
.LBB1642_168:
	flat_store_b64 v[0:1], v[11:12] offset:2048
	s_or_b32 exec_lo, exec_lo, s3
	s_and_saveexec_b32 s0, s2
	s_cbranch_execz .LBB1642_137
.LBB1642_169:
	v_add_co_u32 v2, vcc_lo, 0x1000, v0
	v_add_co_ci_u32_e32 v3, vcc_lo, 0, v1, vcc_lo
	flat_store_b64 v[2:3], v[9:10]
	s_or_b32 exec_lo, exec_lo, s0
	s_and_saveexec_b32 s0, s1
	s_cbranch_execnz .LBB1642_138
	s_branch .LBB1642_139
.LBB1642_170:
	s_or_b32 exec_lo, exec_lo, s16
	v_add_co_u32 v4, vcc_lo, v12, v26
	v_add_co_ci_u32_e32 v5, vcc_lo, 0, v13, vcc_lo
	v_mad_u64_u32 v[9:10], null, v52, 7, v[22:23]
	v_mad_u64_u32 v[13:14], null, v53, 7, v[24:25]
	s_delay_alu instid0(VALU_DEP_3)
	v_mad_u64_u32 v[15:16], null, v26, 7, v[4:5]
	s_barrier
	buffer_gl0_inv
	s_clause 0x1
	flat_store_b8 v[22:23], v54
	flat_store_b8 v[24:25], v55
	s_waitcnt lgkmcnt(0)
	s_waitcnt_vscnt null, 0x0
	s_barrier
	buffer_gl0_inv
	s_clause 0x1
	flat_load_u8 v12, v[4:5]
	flat_load_u8 v11, v[4:5] offset:256
	s_waitcnt vmcnt(0) lgkmcnt(0)
	s_barrier
	buffer_gl0_inv
	s_clause 0x1
	flat_store_b64 v[9:10], v[50:51]
	flat_store_b64 v[13:14], v[48:49]
	s_waitcnt lgkmcnt(0)
	s_waitcnt_vscnt null, 0x0
	s_barrier
	buffer_gl0_inv
	s_clause 0x1
	flat_load_b64 v[9:10], v[15:16]
	flat_load_b64 v[4:5], v[15:16] offset:2048
	v_add_co_u32 v2, vcc_lo, v2, v8
	v_add_co_ci_u32_e32 v3, vcc_lo, 0, v3, vcc_lo
	v_mov_b32_e32 v28, 0
	s_delay_alu instid0(VALU_DEP_3) | instskip(NEXT) | instid1(VALU_DEP_3)
	v_add_co_u32 v2, vcc_lo, v2, v27
	v_add_co_ci_u32_e32 v3, vcc_lo, 0, v3, vcc_lo
	v_cmp_lt_u32_e32 vcc_lo, v27, v128
	s_waitcnt vmcnt(0) lgkmcnt(0)
	s_barrier
	buffer_gl0_inv
	s_and_saveexec_b32 s0, vcc_lo
	s_cbranch_execz .LBB1642_172
; %bb.171:
	flat_store_b8 v[2:3], v12
.LBB1642_172:
	s_or_b32 exec_lo, exec_lo, s0
	v_add_nc_u32_e32 v8, 0x100, v27
	s_delay_alu instid0(VALU_DEP_1) | instskip(NEXT) | instid1(VALU_DEP_1)
	v_cmp_lt_u32_e64 s0, v8, v128
	s_and_saveexec_b32 s1, s0
	s_cbranch_execz .LBB1642_174
; %bb.173:
	flat_store_b8 v[2:3], v11 offset:256
.LBB1642_174:
	s_or_b32 exec_lo, exec_lo, s1
	v_lshlrev_b64 v[2:3], 3, v[27:28]
	v_add_co_u32 v0, s1, v6, v0
	s_delay_alu instid0(VALU_DEP_1) | instskip(NEXT) | instid1(VALU_DEP_2)
	v_add_co_ci_u32_e64 v1, s1, v7, v1, s1
	v_add_co_u32 v0, s1, v0, v2
	s_delay_alu instid0(VALU_DEP_1)
	v_add_co_ci_u32_e64 v1, s1, v1, v3, s1
	s_and_saveexec_b32 s1, vcc_lo
	s_cbranch_execz .LBB1642_176
; %bb.175:
	flat_store_b64 v[0:1], v[9:10]
.LBB1642_176:
	s_or_b32 exec_lo, exec_lo, s1
	s_and_saveexec_b32 s1, s0
	s_cbranch_execz .LBB1642_178
; %bb.177:
	flat_store_b64 v[0:1], v[4:5] offset:2048
.LBB1642_178:
	s_or_b32 exec_lo, exec_lo, s1
                                        ; implicit-def: $vgpr27_vgpr28
                                        ; implicit-def: $vgpr8_vgpr9
                                        ; implicit-def: $vgpr128
                                        ; implicit-def: $vgpr0
                                        ; implicit-def: $vgpr1
                                        ; implicit-def: $vgpr2
                                        ; implicit-def: $vgpr3
                                        ; implicit-def: $vgpr4
                                        ; implicit-def: $vgpr5
                                        ; implicit-def: $vgpr6
                                        ; implicit-def: $vgpr7
                                        ; implicit-def: $vgpr10
                                        ; implicit-def: $vgpr11
                                        ; implicit-def: $vgpr12
                                        ; implicit-def: $vgpr13
                                        ; implicit-def: $vgpr26
                                        ; implicit-def: $vgpr16
.LBB1642_179:
	s_and_not1_saveexec_b32 s0, s15
	s_cbranch_execz .LBB1642_199
; %bb.180:
	s_delay_alu instid0(VALU_DEP_2) | instskip(SKIP_1) | instid1(VALU_DEP_2)
	v_and_b32_e32 v14, 0xffffffe0, v27
	v_mov_b32_e32 v22, 1
	v_or_b32_e32 v15, v16, v14
	s_delay_alu instid0(VALU_DEP_1)
	v_cmp_lt_u32_e32 vcc_lo, v15, v128
	s_and_saveexec_b32 s1, vcc_lo
	s_cbranch_execz .LBB1642_182
; %bb.181:
	v_add_co_u32 v0, s0, v0, v8
	s_delay_alu instid0(VALU_DEP_1) | instskip(NEXT) | instid1(VALU_DEP_2)
	v_add_co_ci_u32_e64 v1, s0, 0, v1, s0
	v_add_co_u32 v0, s0, v0, v16
	s_delay_alu instid0(VALU_DEP_1) | instskip(NEXT) | instid1(VALU_DEP_2)
	v_add_co_ci_u32_e64 v1, s0, 0, v1, s0
	v_add_co_u32 v0, s0, v0, v14
	s_delay_alu instid0(VALU_DEP_1)
	v_add_co_ci_u32_e64 v1, s0, 0, v1, s0
	flat_load_u8 v22, v[0:1]
.LBB1642_182:
	s_or_b32 exec_lo, exec_lo, s1
	v_lshlrev_b64 v[0:1], 3, v[8:9]
                                        ; implicit-def: $vgpr18_vgpr19
	s_and_saveexec_b32 s0, vcc_lo
	s_cbranch_execz .LBB1642_184
; %bb.183:
	v_mov_b32_e32 v15, 0
	v_lshlrev_b32_e32 v9, 3, v16
	s_delay_alu instid0(VALU_DEP_3) | instskip(SKIP_1) | instid1(VALU_DEP_4)
	v_add_co_u32 v17, vcc_lo, v4, v0
	v_add_co_ci_u32_e32 v18, vcc_lo, v5, v1, vcc_lo
	v_lshlrev_b64 v[4:5], 3, v[14:15]
	s_delay_alu instid0(VALU_DEP_3) | instskip(NEXT) | instid1(VALU_DEP_3)
	v_add_co_u32 v9, vcc_lo, v17, v9
	v_add_co_ci_u32_e32 v14, vcc_lo, 0, v18, vcc_lo
	s_delay_alu instid0(VALU_DEP_2) | instskip(NEXT) | instid1(VALU_DEP_2)
	v_add_co_u32 v4, vcc_lo, v9, v4
	v_add_co_ci_u32_e32 v5, vcc_lo, v14, v5, vcc_lo
	flat_load_b64 v[18:19], v[4:5]
.LBB1642_184:
	s_or_b32 exec_lo, exec_lo, s0
	v_dual_mov_b32 v15, 0 :: v_dual_lshlrev_b32 v14, 5, v26
	s_mov_b32 s16, 0
	v_add_co_u32 v9, vcc_lo, v12, 32
	s_mov_b32 s17, s16
	s_mov_b32 s18, s16
	;; [unrolled: 1-line block ×3, first 2 shown]
	v_and_b32_e32 v20, 0x3e0, v26
	v_add_co_ci_u32_e32 v52, vcc_lo, 0, v13, vcc_lo
	v_add_co_u32 v4, vcc_lo, v12, v14
	v_add_co_ci_u32_e32 v5, vcc_lo, 0, v13, vcc_lo
	v_add_co_u32 v28, vcc_lo, v9, v14
	v_min_u32_e32 v14, 0xe0, v20
	v_and_b32_e32 v21, 16, v16
	v_add_nc_u32_e32 v23, -1, v16
	v_and_b32_e32 v17, 15, v16
	s_getpc_b64 s[0:1]
	s_add_u32 s0, s0, _ZN7rocprim17ROCPRIM_400000_NS16block_radix_sortIbLj256ELj1ElLj1ELj1ELj8ELNS0_26block_radix_rank_algorithmE2ELNS0_18block_padding_hintE2ELNS0_4arch9wavefront6targetE0EE19radix_bits_per_passE@rel32@lo+4
	s_addc_u32 s1, s1, _ZN7rocprim17ROCPRIM_400000_NS16block_radix_sortIbLj256ELj1ElLj1ELj1ELj8ELNS0_26block_radix_rank_algorithmE2ELNS0_18block_padding_hintE2ELNS0_4arch9wavefront6targetE0EE19radix_bits_per_passE@rel32@hi+12
	v_or_b32_e32 v14, 31, v14
	v_cmp_eq_u32_e64 s3, 0, v21
	v_cmp_gt_i32_e64 s4, 0, v23
	v_lshrrev_b32_e32 v21, 5, v26
	v_add_co_ci_u32_e32 v29, vcc_lo, 0, v52, vcc_lo
	s_load_b32 s15, s[0:1], 0x0
	v_cmp_eq_u32_e32 vcc_lo, 0, v17
	v_cmp_lt_u32_e64 s0, 1, v17
	v_cmp_lt_u32_e64 s1, 3, v17
	v_cmp_lt_u32_e64 s2, 7, v17
	v_cndmask_b32_e64 v17, v23, v16, s4
	v_cmp_eq_u32_e64 s4, v14, v26
	v_lshlrev_b32_e32 v14, 2, v21
	v_cmp_eq_u32_e64 s7, 0, v16
	v_and_b32_e32 v23, 7, v16
	v_or_b32_e32 v16, v16, v20
	v_lshlrev_b32_e32 v54, 2, v17
	v_add_co_u32 v30, s9, v12, v14
	v_add_nc_u32_e32 v14, -1, v21
	s_delay_alu instid0(VALU_DEP_4) | instskip(SKIP_2) | instid1(VALU_DEP_4)
	v_add_co_u32 v34, s12, v12, v16
	v_lshlrev_b32_e32 v17, 2, v26
	v_add_co_ci_u32_e64 v35, s12, 0, v13, s12
	v_lshlrev_b64 v[14:15], 2, v[14:15]
	v_add_co_ci_u32_e64 v31, s9, 0, v13, s9
	s_delay_alu instid0(VALU_DEP_4) | instskip(NEXT) | instid1(VALU_DEP_4)
	v_add_co_u32 v32, s9, v12, v17
	v_mad_u64_u32 v[38:39], null, v16, 7, v[34:35]
	s_delay_alu instid0(VALU_DEP_4)
	v_add_co_u32 v36, s12, v12, v14
	v_add_co_ci_u32_e64 v33, s9, 0, v13, s9
	v_add_co_ci_u32_e64 v37, s12, v13, v15, s12
	v_dual_mov_b32 v14, s16 :: v_dual_mov_b32 v17, s19
	v_lshrrev_b32_e32 v53, 5, v27
	v_cmp_gt_u32_e64 s5, 8, v26
	v_cmp_lt_u32_e64 s6, 31, v26
	v_cmp_eq_u32_e64 s8, 0, v26
	v_cmp_eq_u32_e64 s9, 0, v23
	v_cmp_lt_u32_e64 s10, 1, v23
	v_cmp_lt_u32_e64 s11, 3, v23
	v_sub_nc_u32_e32 v55, v11, v10
	v_dual_mov_b32 v15, s17 :: v_dual_mov_b32 v16, s18
	s_waitcnt vmcnt(0) lgkmcnt(0)
	s_waitcnt_vscnt null, 0x0
	s_barrier
	buffer_gl0_inv
	s_branch .LBB1642_186
.LBB1642_185:                           ;   in Loop: Header=BB1642_186 Depth=1
	s_or_b32 exec_lo, exec_lo, s13
	s_delay_alu instid0(SALU_CYCLE_1) | instskip(NEXT) | instid1(SALU_CYCLE_1)
	s_and_b32 s12, exec_lo, s14
	s_or_b32 s16, s12, s16
	s_delay_alu instid0(SALU_CYCLE_1)
	s_and_not1_b32 exec_lo, exec_lo, s16
	s_cbranch_execz .LBB1642_196
.LBB1642_186:                           ; =>This Inner Loop Header: Depth=1
	v_dual_mov_b32 v64, v22 :: v_dual_mov_b32 v49, v19
	v_min_u32_e32 v21, s15, v55
	v_mov_b32_e32 v48, v18
	s_clause 0x1
	flat_store_b128 v[4:5], v[14:17] offset:32
	flat_store_b128 v[28:29], v[14:17] offset:16
	v_and_b32_e32 v20, 0xff, v64
	s_waitcnt lgkmcnt(0)
	s_waitcnt_vscnt null, 0x0
	s_barrier
	buffer_gl0_inv
	v_lshrrev_b32_e32 v20, v10, v20
	; wave barrier
	s_delay_alu instid0(VALU_DEP_1) | instskip(NEXT) | instid1(VALU_DEP_1)
	v_bfe_u32 v21, v20, 0, v21
	v_add_co_u32 v20, s12, v21, -1
	s_delay_alu instid0(VALU_DEP_1) | instskip(SKIP_1) | instid1(VALU_DEP_2)
	v_cndmask_b32_e64 v22, 0, 1, s12
	v_lshlrev_b32_e32 v18, 3, v21
	v_cmp_ne_u32_e64 s12, 0, v22
	s_delay_alu instid0(VALU_DEP_2) | instskip(NEXT) | instid1(VALU_DEP_2)
	v_add_lshl_u32 v18, v18, v53, 2
	v_xor_b32_e32 v20, s12, v20
	s_delay_alu instid0(VALU_DEP_2) | instskip(NEXT) | instid1(VALU_DEP_1)
	v_add_co_u32 v50, s14, v9, v18
	v_add_co_ci_u32_e64 v51, s14, 0, v52, s14
	s_delay_alu instid0(VALU_DEP_3) | instskip(NEXT) | instid1(VALU_DEP_1)
	v_and_b32_e32 v20, exec_lo, v20
	v_mbcnt_lo_u32_b32 v65, v20, 0
	v_cmp_ne_u32_e64 s12, 0, v20
	s_delay_alu instid0(VALU_DEP_2) | instskip(NEXT) | instid1(VALU_DEP_1)
	v_cmp_eq_u32_e64 s13, 0, v65
	s_and_b32 s13, s12, s13
	s_delay_alu instid0(SALU_CYCLE_1)
	s_and_saveexec_b32 s12, s13
	s_cbranch_execz .LBB1642_188
; %bb.187:                              ;   in Loop: Header=BB1642_186 Depth=1
	v_bcnt_u32_b32 v18, v20, 0
	flat_store_b32 v[50:51], v18
.LBB1642_188:                           ;   in Loop: Header=BB1642_186 Depth=1
	s_or_b32 exec_lo, exec_lo, s12
	; wave barrier
	s_waitcnt lgkmcnt(0)
	s_waitcnt_vscnt null, 0x0
	s_barrier
	buffer_gl0_inv
	s_clause 0x1
	flat_load_b128 v[22:25], v[4:5] offset:32
	flat_load_b128 v[18:21], v[28:29] offset:16
	s_waitcnt vmcnt(1) lgkmcnt(1)
	v_add_nc_u32_e32 v66, v23, v22
	s_delay_alu instid0(VALU_DEP_1) | instskip(SKIP_1) | instid1(VALU_DEP_1)
	v_add3_u32 v66, v66, v24, v25
	s_waitcnt vmcnt(0) lgkmcnt(0)
	v_add3_u32 v66, v66, v18, v19
	s_delay_alu instid0(VALU_DEP_1) | instskip(NEXT) | instid1(VALU_DEP_1)
	v_add3_u32 v21, v66, v20, v21
	v_mov_b32_dpp v66, v21 row_shr:1 row_mask:0xf bank_mask:0xf
	s_delay_alu instid0(VALU_DEP_1) | instskip(NEXT) | instid1(VALU_DEP_1)
	v_cndmask_b32_e64 v66, v66, 0, vcc_lo
	v_add_nc_u32_e32 v21, v66, v21
	s_delay_alu instid0(VALU_DEP_1) | instskip(NEXT) | instid1(VALU_DEP_1)
	v_mov_b32_dpp v66, v21 row_shr:2 row_mask:0xf bank_mask:0xf
	v_cndmask_b32_e64 v66, 0, v66, s0
	s_delay_alu instid0(VALU_DEP_1) | instskip(NEXT) | instid1(VALU_DEP_1)
	v_add_nc_u32_e32 v21, v21, v66
	v_mov_b32_dpp v66, v21 row_shr:4 row_mask:0xf bank_mask:0xf
	s_delay_alu instid0(VALU_DEP_1) | instskip(NEXT) | instid1(VALU_DEP_1)
	v_cndmask_b32_e64 v66, 0, v66, s1
	v_add_nc_u32_e32 v21, v21, v66
	s_delay_alu instid0(VALU_DEP_1) | instskip(NEXT) | instid1(VALU_DEP_1)
	v_mov_b32_dpp v66, v21 row_shr:8 row_mask:0xf bank_mask:0xf
	v_cndmask_b32_e64 v66, 0, v66, s2
	s_delay_alu instid0(VALU_DEP_1) | instskip(SKIP_3) | instid1(VALU_DEP_1)
	v_add_nc_u32_e32 v21, v21, v66
	ds_swizzle_b32 v66, v21 offset:swizzle(BROADCAST,32,15)
	s_waitcnt lgkmcnt(0)
	v_cndmask_b32_e64 v66, v66, 0, s3
	v_add_nc_u32_e32 v21, v21, v66
	s_and_saveexec_b32 s12, s4
	s_cbranch_execz .LBB1642_190
; %bb.189:                              ;   in Loop: Header=BB1642_186 Depth=1
	flat_store_b32 v[30:31], v21
.LBB1642_190:                           ;   in Loop: Header=BB1642_186 Depth=1
	s_or_b32 exec_lo, exec_lo, s12
	s_waitcnt lgkmcnt(0)
	s_waitcnt_vscnt null, 0x0
	s_barrier
	buffer_gl0_inv
	s_and_saveexec_b32 s12, s5
	s_cbranch_execz .LBB1642_192
; %bb.191:                              ;   in Loop: Header=BB1642_186 Depth=1
	flat_load_b32 v66, v[32:33]
	s_waitcnt vmcnt(0) lgkmcnt(0)
	v_mov_b32_dpp v67, v66 row_shr:1 row_mask:0xf bank_mask:0xf
	s_delay_alu instid0(VALU_DEP_1) | instskip(NEXT) | instid1(VALU_DEP_1)
	v_cndmask_b32_e64 v67, v67, 0, s9
	v_add_nc_u32_e32 v66, v67, v66
	s_delay_alu instid0(VALU_DEP_1) | instskip(NEXT) | instid1(VALU_DEP_1)
	v_mov_b32_dpp v67, v66 row_shr:2 row_mask:0xf bank_mask:0xf
	v_cndmask_b32_e64 v67, 0, v67, s10
	s_delay_alu instid0(VALU_DEP_1) | instskip(NEXT) | instid1(VALU_DEP_1)
	v_add_nc_u32_e32 v66, v66, v67
	v_mov_b32_dpp v67, v66 row_shr:4 row_mask:0xf bank_mask:0xf
	s_delay_alu instid0(VALU_DEP_1) | instskip(NEXT) | instid1(VALU_DEP_1)
	v_cndmask_b32_e64 v67, 0, v67, s11
	v_add_nc_u32_e32 v66, v66, v67
	flat_store_b32 v[32:33], v66
.LBB1642_192:                           ;   in Loop: Header=BB1642_186 Depth=1
	s_or_b32 exec_lo, exec_lo, s12
	v_mov_b32_e32 v66, 0
	s_waitcnt lgkmcnt(0)
	s_waitcnt_vscnt null, 0x0
	s_barrier
	buffer_gl0_inv
	s_and_saveexec_b32 s12, s6
	s_cbranch_execz .LBB1642_194
; %bb.193:                              ;   in Loop: Header=BB1642_186 Depth=1
	flat_load_b32 v66, v[36:37]
.LBB1642_194:                           ;   in Loop: Header=BB1642_186 Depth=1
	s_or_b32 exec_lo, exec_lo, s12
	s_waitcnt vmcnt(0) lgkmcnt(0)
	v_add_nc_u32_e32 v21, v66, v21
	v_add_nc_u32_e32 v10, 8, v10
	s_mov_b32 s14, -1
	ds_bpermute_b32 v21, v54, v21
	s_waitcnt lgkmcnt(0)
	v_cndmask_b32_e64 v21, v21, v66, s7
	s_delay_alu instid0(VALU_DEP_1) | instskip(NEXT) | instid1(VALU_DEP_1)
	v_cndmask_b32_e64 v21, v21, 0, s8
	v_add_nc_u32_e32 v22, v21, v22
	s_delay_alu instid0(VALU_DEP_1) | instskip(NEXT) | instid1(VALU_DEP_1)
	v_add_nc_u32_e32 v23, v22, v23
	v_add_nc_u32_e32 v24, v23, v24
	s_delay_alu instid0(VALU_DEP_1) | instskip(NEXT) | instid1(VALU_DEP_1)
	v_add_nc_u32_e32 v66, v24, v25
	;; [unrolled: 3-line block ×3, first 2 shown]
	v_add_nc_u32_e32 v69, v68, v20
	s_clause 0x1
	flat_store_b128 v[4:5], v[21:24] offset:32
	flat_store_b128 v[28:29], v[66:69] offset:16
	s_waitcnt lgkmcnt(0)
	s_waitcnt_vscnt null, 0x0
	s_barrier
	buffer_gl0_inv
	flat_load_b32 v18, v[50:51]
	s_waitcnt vmcnt(0) lgkmcnt(0)
	s_waitcnt_vscnt null, 0x0
                                        ; implicit-def: $vgpr22
	s_waitcnt vmcnt(0) lgkmcnt(0)
	v_add_nc_u32_e32 v23, v18, v65
                                        ; implicit-def: $vgpr18_vgpr19
	s_delay_alu instid0(VALU_DEP_1) | instskip(NEXT) | instid1(VALU_DEP_1)
	v_add_co_u32 v20, s13, v12, v23
	v_add_co_ci_u32_e64 v21, s13, 0, v13, s13
	s_mov_b32 s13, exec_lo
	v_cmpx_lt_u32_e64 v10, v11
	s_cbranch_execz .LBB1642_185
; %bb.195:                              ;   in Loop: Header=BB1642_186 Depth=1
	s_delay_alu instid0(VALU_DEP_2)
	v_mad_u64_u32 v[18:19], null, v23, 7, v[20:21]
	s_barrier
	buffer_gl0_inv
	flat_store_b8 v[20:21], v64
	s_waitcnt lgkmcnt(0)
	s_waitcnt_vscnt null, 0x0
	s_barrier
	buffer_gl0_inv
	flat_load_u8 v22, v[34:35]
	s_waitcnt vmcnt(0) lgkmcnt(0)
	s_barrier
	buffer_gl0_inv
	flat_store_b64 v[18:19], v[48:49]
	s_waitcnt lgkmcnt(0)
	s_waitcnt_vscnt null, 0x0
	s_barrier
	buffer_gl0_inv
	flat_load_b64 v[18:19], v[38:39]
	v_add_nc_u32_e32 v55, -8, v55
	s_xor_b32 s14, exec_lo, -1
	s_waitcnt vmcnt(0) lgkmcnt(0)
	s_barrier
	buffer_gl0_inv
	s_branch .LBB1642_185
.LBB1642_196:
	s_or_b32 exec_lo, exec_lo, s16
	v_add_co_u32 v4, vcc_lo, v12, v26
	v_add_co_ci_u32_e32 v5, vcc_lo, 0, v13, vcc_lo
	v_mad_u64_u32 v[10:11], null, v23, 7, v[20:21]
	s_barrier
	s_delay_alu instid0(VALU_DEP_2)
	v_mad_u64_u32 v[12:13], null, v26, 7, v[4:5]
	buffer_gl0_inv
	flat_store_b8 v[20:21], v64
	s_waitcnt lgkmcnt(0)
	s_waitcnt_vscnt null, 0x0
	s_barrier
	buffer_gl0_inv
	flat_load_u8 v9, v[4:5]
	s_waitcnt vmcnt(0) lgkmcnt(0)
	s_barrier
	buffer_gl0_inv
	flat_store_b64 v[10:11], v[48:49]
	s_waitcnt lgkmcnt(0)
	s_waitcnt_vscnt null, 0x0
	s_barrier
	buffer_gl0_inv
	flat_load_b64 v[4:5], v[12:13]
	s_mov_b32 s0, exec_lo
	s_waitcnt vmcnt(0) lgkmcnt(0)
	s_barrier
	buffer_gl0_inv
	v_cmpx_lt_u32_e64 v27, v128
	s_cbranch_execz .LBB1642_198
; %bb.197:
	v_add_co_u32 v6, vcc_lo, v6, v0
	v_mov_b32_e32 v28, 0
	v_add_co_ci_u32_e32 v7, vcc_lo, v7, v1, vcc_lo
	v_add_co_u32 v2, vcc_lo, v2, v8
	v_add_co_ci_u32_e32 v3, vcc_lo, 0, v3, vcc_lo
	s_delay_alu instid0(VALU_DEP_4) | instskip(NEXT) | instid1(VALU_DEP_3)
	v_lshlrev_b64 v[0:1], 3, v[27:28]
	v_add_co_u32 v2, vcc_lo, v2, v27
	s_delay_alu instid0(VALU_DEP_3) | instskip(NEXT) | instid1(VALU_DEP_3)
	v_add_co_ci_u32_e32 v3, vcc_lo, 0, v3, vcc_lo
	v_add_co_u32 v0, vcc_lo, v6, v0
	s_delay_alu instid0(VALU_DEP_4)
	v_add_co_ci_u32_e32 v1, vcc_lo, v7, v1, vcc_lo
	flat_store_b8 v[2:3], v9
	flat_store_b64 v[0:1], v[4:5]
.LBB1642_198:
	s_or_b32 exec_lo, exec_lo, s0
.LBB1642_199:
	s_delay_alu instid0(SALU_CYCLE_1)
	s_or_b32 exec_lo, exec_lo, s24
	s_waitcnt lgkmcnt(0)
	s_setpc_b64 s[30:31]
.Lfunc_end1642:
	.size	_ZN7rocprim17ROCPRIM_400000_NS6detail40segmented_radix_sort_single_block_helperIblLj256ELj8ELb0EE4sortIPKbPbPKlPlEEbT_T0_T1_T2_jjjjRNS3_12storage_typeE, .Lfunc_end1642-_ZN7rocprim17ROCPRIM_400000_NS6detail40segmented_radix_sort_single_block_helperIblLj256ELj8ELb0EE4sortIPKbPbPKlPlEEbT_T0_T1_T2_jjjjRNS3_12storage_typeE
                                        ; -- End function
	.section	.AMDGPU.csdata,"",@progbits
; Function info:
; codeLenInByte = 13220
; NumSgprs: 34
; NumVgprs: 193
; ScratchSize: 0
; MemoryBound: 1
	.section	.text._ZN7rocprim17ROCPRIM_400000_NS6detail17trampoline_kernelINS0_14default_configENS1_36segmented_radix_sort_config_selectorIblEEZNS1_25segmented_radix_sort_implIS3_Lb0EPKbPbPKlPlN2at6native12_GLOBAL__N_18offset_tEEE10hipError_tPvRmT1_PNSt15iterator_traitsISK_E10value_typeET2_T3_PNSL_ISQ_E10value_typeET4_jRbjT5_SW_jjP12ihipStream_tbEUlT_E_NS1_11comp_targetILNS1_3genE9ELNS1_11target_archE1100ELNS1_3gpuE3ELNS1_3repE0EEENS1_30default_config_static_selectorELNS0_4arch9wavefront6targetE0EEEvSK_,"axG",@progbits,_ZN7rocprim17ROCPRIM_400000_NS6detail17trampoline_kernelINS0_14default_configENS1_36segmented_radix_sort_config_selectorIblEEZNS1_25segmented_radix_sort_implIS3_Lb0EPKbPbPKlPlN2at6native12_GLOBAL__N_18offset_tEEE10hipError_tPvRmT1_PNSt15iterator_traitsISK_E10value_typeET2_T3_PNSL_ISQ_E10value_typeET4_jRbjT5_SW_jjP12ihipStream_tbEUlT_E_NS1_11comp_targetILNS1_3genE9ELNS1_11target_archE1100ELNS1_3gpuE3ELNS1_3repE0EEENS1_30default_config_static_selectorELNS0_4arch9wavefront6targetE0EEEvSK_,comdat
	.globl	_ZN7rocprim17ROCPRIM_400000_NS6detail17trampoline_kernelINS0_14default_configENS1_36segmented_radix_sort_config_selectorIblEEZNS1_25segmented_radix_sort_implIS3_Lb0EPKbPbPKlPlN2at6native12_GLOBAL__N_18offset_tEEE10hipError_tPvRmT1_PNSt15iterator_traitsISK_E10value_typeET2_T3_PNSL_ISQ_E10value_typeET4_jRbjT5_SW_jjP12ihipStream_tbEUlT_E_NS1_11comp_targetILNS1_3genE9ELNS1_11target_archE1100ELNS1_3gpuE3ELNS1_3repE0EEENS1_30default_config_static_selectorELNS0_4arch9wavefront6targetE0EEEvSK_ ; -- Begin function _ZN7rocprim17ROCPRIM_400000_NS6detail17trampoline_kernelINS0_14default_configENS1_36segmented_radix_sort_config_selectorIblEEZNS1_25segmented_radix_sort_implIS3_Lb0EPKbPbPKlPlN2at6native12_GLOBAL__N_18offset_tEEE10hipError_tPvRmT1_PNSt15iterator_traitsISK_E10value_typeET2_T3_PNSL_ISQ_E10value_typeET4_jRbjT5_SW_jjP12ihipStream_tbEUlT_E_NS1_11comp_targetILNS1_3genE9ELNS1_11target_archE1100ELNS1_3gpuE3ELNS1_3repE0EEENS1_30default_config_static_selectorELNS0_4arch9wavefront6targetE0EEEvSK_
	.p2align	8
	.type	_ZN7rocprim17ROCPRIM_400000_NS6detail17trampoline_kernelINS0_14default_configENS1_36segmented_radix_sort_config_selectorIblEEZNS1_25segmented_radix_sort_implIS3_Lb0EPKbPbPKlPlN2at6native12_GLOBAL__N_18offset_tEEE10hipError_tPvRmT1_PNSt15iterator_traitsISK_E10value_typeET2_T3_PNSL_ISQ_E10value_typeET4_jRbjT5_SW_jjP12ihipStream_tbEUlT_E_NS1_11comp_targetILNS1_3genE9ELNS1_11target_archE1100ELNS1_3gpuE3ELNS1_3repE0EEENS1_30default_config_static_selectorELNS0_4arch9wavefront6targetE0EEEvSK_,@function
_ZN7rocprim17ROCPRIM_400000_NS6detail17trampoline_kernelINS0_14default_configENS1_36segmented_radix_sort_config_selectorIblEEZNS1_25segmented_radix_sort_implIS3_Lb0EPKbPbPKlPlN2at6native12_GLOBAL__N_18offset_tEEE10hipError_tPvRmT1_PNSt15iterator_traitsISK_E10value_typeET2_T3_PNSL_ISQ_E10value_typeET4_jRbjT5_SW_jjP12ihipStream_tbEUlT_E_NS1_11comp_targetILNS1_3genE9ELNS1_11target_archE1100ELNS1_3gpuE3ELNS1_3repE0EEENS1_30default_config_static_selectorELNS0_4arch9wavefront6targetE0EEEvSK_: ; @_ZN7rocprim17ROCPRIM_400000_NS6detail17trampoline_kernelINS0_14default_configENS1_36segmented_radix_sort_config_selectorIblEEZNS1_25segmented_radix_sort_implIS3_Lb0EPKbPbPKlPlN2at6native12_GLOBAL__N_18offset_tEEE10hipError_tPvRmT1_PNSt15iterator_traitsISK_E10value_typeET2_T3_PNSL_ISQ_E10value_typeET4_jRbjT5_SW_jjP12ihipStream_tbEUlT_E_NS1_11comp_targetILNS1_3genE9ELNS1_11target_archE1100ELNS1_3gpuE3ELNS1_3repE0EEENS1_30default_config_static_selectorELNS0_4arch9wavefront6targetE0EEEvSK_
; %bb.0:
	s_clause 0x1
	s_load_b64 s[2:3], s[0:1], 0x38
	s_load_b128 s[4:7], s[0:1], 0x40
	s_mov_b32 s26, s14
	s_mov_b32 s27, 0
	;; [unrolled: 1-line block ×3, first 2 shown]
	s_lshl_b64 s[8:9], s[26:27], 2
	s_waitcnt lgkmcnt(0)
	s_add_u32 s2, s2, s8
	s_addc_u32 s3, s3, s9
	s_load_b32 s2, s[2:3], 0x0
	s_waitcnt lgkmcnt(0)
	s_add_i32 s27, s2, s5
	s_add_i32 s33, s2, s7
	s_mul_i32 s27, s27, s4
	s_mul_i32 s33, s33, s6
	s_delay_alu instid0(SALU_CYCLE_1)
	s_cmp_le_u32 s33, s27
	s_cbranch_scc1 .LBB1643_678
; %bb.1:
	s_clause 0x3
	s_load_b32 s2, s[0:1], 0x30
	s_load_b128 s[44:47], s[0:1], 0x20
	s_load_b128 s[48:51], s[0:1], 0x50
	s_load_b256 s[36:43], s[0:1], 0x0
	s_waitcnt lgkmcnt(0)
	s_bitcmp1_b32 s2, 0
	s_mov_b32 s2, -1
	s_cselect_b32 s34, -1, 0
	s_sub_i32 s35, s33, s27
	s_delay_alu instid0(SALU_CYCLE_1)
	s_cmpk_lt_u32 s35, 0x801
	s_cbranch_scc0 .LBB1643_7
; %bb.2:
	v_cndmask_b32_e64 v1, 0, 1, s34
	s_and_b32 s2, s48, 1
	s_delay_alu instid0(VALU_DEP_1) | instid1(SALU_CYCLE_1)
	v_cmp_ne_u32_e32 vcc_lo, s2, v1
	s_mov_b32 s2, -1
	s_cbranch_vccnz .LBB1643_4
; %bb.3:
	s_mov_b64 s[2:3], src_shared_base
	v_mov_b32_e32 v31, v0
	v_dual_mov_b32 v40, v0 :: v_dual_mov_b32 v1, s37
	v_mov_b32_e32 v0, s36
	v_dual_mov_b32 v2, s40 :: v_dual_mov_b32 v3, s41
	v_dual_mov_b32 v4, s42 :: v_dual_mov_b32 v5, s43
	;; [unrolled: 1-line block ×6, first 2 shown]
	s_add_u32 s8, s0, 0x60
	s_addc_u32 s9, s1, 0
	s_mov_b32 s12, s26
	s_mov_b32 s13, s15
	s_getpc_b64 s[4:5]
	s_add_u32 s4, s4, _ZN7rocprim17ROCPRIM_400000_NS6detail40segmented_radix_sort_single_block_helperIblLj256ELj8ELb0EE4sortIPKbPbPKlPlEEbT_T0_T1_T2_jjjjRNS3_12storage_typeE@rel32@lo+4
	s_addc_u32 s5, s5, _ZN7rocprim17ROCPRIM_400000_NS6detail40segmented_radix_sort_single_block_helperIblLj256ELj8ELb0EE4sortIPKbPbPKlPlEEbT_T0_T1_T2_jjjjRNS3_12storage_typeE@rel32@hi+12
	s_mov_b64 s[28:29], s[0:1]
	s_mov_b32 s48, s15
	s_swappc_b64 s[30:31], s[4:5]
	v_mov_b32_e32 v0, v40
	s_mov_b32 s15, s48
	s_mov_b64 s[0:1], s[28:29]
	s_mov_b32 s2, 0
.LBB1643_4:
	s_delay_alu instid0(SALU_CYCLE_1)
	s_and_not1_b32 vcc_lo, exec_lo, s2
	s_cbranch_vccnz .LBB1643_6
; %bb.5:
	s_mov_b64 s[2:3], src_shared_base
	v_mov_b32_e32 v31, v0
	v_dual_mov_b32 v40, v0 :: v_dual_mov_b32 v1, s37
	v_mov_b32_e32 v0, s36
	v_dual_mov_b32 v2, s38 :: v_dual_mov_b32 v3, s39
	v_dual_mov_b32 v4, s42 :: v_dual_mov_b32 v5, s43
	;; [unrolled: 1-line block ×6, first 2 shown]
	s_add_u32 s8, s0, 0x60
	s_addc_u32 s9, s1, 0
	s_mov_b32 s12, s26
	s_mov_b32 s13, s15
	s_getpc_b64 s[4:5]
	s_add_u32 s4, s4, _ZN7rocprim17ROCPRIM_400000_NS6detail40segmented_radix_sort_single_block_helperIblLj256ELj8ELb0EE4sortIPKbPbPKlPlEEbT_T0_T1_T2_jjjjRNS3_12storage_typeE@rel32@lo+4
	s_addc_u32 s5, s5, _ZN7rocprim17ROCPRIM_400000_NS6detail40segmented_radix_sort_single_block_helperIblLj256ELj8ELb0EE4sortIPKbPbPKlPlEEbT_T0_T1_T2_jjjjRNS3_12storage_typeE@rel32@hi+12
	s_mov_b64 s[28:29], s[0:1]
	s_mov_b32 s48, s15
	s_swappc_b64 s[30:31], s[4:5]
	v_mov_b32_e32 v0, v40
	s_mov_b32 s15, s48
	s_mov_b64 s[0:1], s[28:29]
.LBB1643_6:
	s_mov_b32 s2, 0
.LBB1643_7:
	s_delay_alu instid0(SALU_CYCLE_1)
	s_and_not1_b32 vcc_lo, exec_lo, s2
	s_cbranch_vccnz .LBB1643_678
; %bb.8:
	s_cmp_ge_u32 s49, s50
	s_cbranch_scc1 .LBB1643_678
; %bb.9:
	v_dual_mov_b32 v66, 1 :: v_dual_and_b32 v1, 0x3ff, v0
	v_mov_b32_e32 v3, 0
	v_mbcnt_lo_u32_b32 v63, -1, 0
	v_bfe_u32 v45, v0, 20, 10
	s_delay_alu instid0(VALU_DEP_4) | instskip(SKIP_4) | instid1(VALU_DEP_4)
	v_lshlrev_b32_e32 v28, 2, v1
	v_lshrrev_b32_e32 v2, 3, v1
	v_or_b32_e32 v4, 31, v1
	v_lshlrev_b32_e32 v5, 5, v1
	v_add_co_u32 v33, s2, s40, v1
	v_and_b32_e32 v38, 28, v2
	v_lshlrev_b32_e32 v2, 3, v1
	v_cmp_eq_u32_e64 s3, v4, v1
	v_add_nc_u32_e32 v4, 1, v1
	v_sub_nc_u32_e32 v48, 0, v5
	v_mad_u32_u24 v40, v1, 12, v28
	v_and_b32_e32 v44, 0x700, v2
	v_mul_u32_u24_e32 v2, 9, v1
	v_cmp_ne_u32_e64 s7, 0x100, v4
	v_or_b32_e32 v29, 0x100, v1
	v_or_b32_e32 v30, 0x200, v1
	v_lshlrev_b32_e32 v5, 3, v44
	v_lshl_add_u32 v47, v2, 2, 0x420
	v_mul_u32_u24_e32 v2, 9, v4
	v_or_b32_e32 v31, 0x300, v1
	v_and_b32_e32 v32, 3, v1
	v_add_co_u32 v50, s8, s46, v5
	s_delay_alu instid0(VALU_DEP_4) | instskip(SKIP_2) | instid1(VALU_DEP_1)
	v_lshlrev_b32_e32 v49, 2, v2
	v_add_co_ci_u32_e64 v51, null, s47, 0, s8
	v_add_co_u32 v2, s8, s40, v44
	v_add_co_ci_u32_e64 v4, null, s41, 0, s8
	v_add_co_u32 v53, s8, s38, v1
	s_delay_alu instid0(VALU_DEP_1) | instskip(SKIP_1) | instid1(VALU_DEP_1)
	v_add_co_ci_u32_e64 v54, null, s39, 0, s8
	v_add_co_u32 v55, s8, s44, v5
	v_add_co_ci_u32_e64 v56, null, s45, 0, s8
	v_add_co_u32 v57, s8, s38, v44
	s_delay_alu instid0(VALU_DEP_1) | instskip(SKIP_1) | instid1(VALU_DEP_1)
	v_add_co_ci_u32_e64 v58, null, s39, 0, s8
	v_add_co_u32 v59, s8, s36, v1
	v_add_co_ci_u32_e64 v60, null, s37, 0, s8
	v_add_co_u32 v61, s8, s42, v5
	s_delay_alu instid0(VALU_DEP_1)
	v_add_co_ci_u32_e64 v62, null, s43, 0, s8
	v_add_co_u32 v64, s8, s36, v44
	v_add_co_u32 v67, vcc_lo, v2, v63
	v_add_co_ci_u32_e64 v34, null, s41, 0, s2
	v_or_b32_e32 v35, 0x400, v1
	v_or_b32_e32 v36, 0x500, v1
	;; [unrolled: 1-line block ×4, first 2 shown]
	v_cmp_gt_u32_e64 s2, 0x100, v1
	v_or_b32_e32 v41, 0x4400, v38
	v_cmp_gt_u32_e64 s4, 8, v1
	v_add_nc_u32_e32 v42, 0x4400, v28
	v_cmp_lt_u32_e64 s5, 31, v1
	v_add_nc_u32_e32 v43, 0x43fc, v38
	v_bfe_u32 v0, v0, 10, 10
	v_mad_u32_u24 v46, v1, 20, v40
	v_cmp_eq_u32_e64 s6, 0, v1
	v_mul_u32_u24_e32 v52, 7, v1
	v_add_co_ci_u32_e64 v65, null, s37, 0, s8
	v_add_co_ci_u32_e32 v68, vcc_lo, 0, v4, vcc_lo
	s_add_u32 s28, s0, 0x60
	s_mov_b32 s25, 0
	s_addc_u32 s29, s1, 0
	s_mov_b32 s30, s49
	s_branch .LBB1643_12
.LBB1643_10:                            ;   in Loop: Header=BB1643_12 Depth=1
	s_waitcnt lgkmcnt(0)
	s_barrier
.LBB1643_11:                            ;   in Loop: Header=BB1643_12 Depth=1
	s_add_i32 s30, s30, 8
	buffer_gl0_inv
	s_cmp_ge_u32 s30, s50
	s_cbranch_scc1 .LBB1643_678
.LBB1643_12:                            ; =>This Loop Header: Depth=1
                                        ;     Child Loop BB1643_16 Depth 2
                                        ;     Child Loop BB1643_66 Depth 2
	;; [unrolled: 1-line block ×8, first 2 shown]
	s_sub_i32 s0, s50, s30
	s_xor_b32 s34, s34, -1
	s_min_u32 s0, s0, 8
	ds_store_2addr_stride64_b32 v28, v3, v3 offset1:4
	s_lshl_b32 s0, -1, s0
	ds_store_2addr_stride64_b32 v28, v3, v3 offset0:8 offset1:12
	s_not_b32 s31, s0
	s_cmp_lg_u32 s30, s49
	s_mov_b32 s0, -1
	s_waitcnt lgkmcnt(0)
	s_waitcnt_vscnt null, 0x0
	s_cbranch_scc0 .LBB1643_346
; %bb.13:                               ;   in Loop: Header=BB1643_12 Depth=1
	s_and_b32 vcc_lo, exec_lo, s34
	s_cbranch_vccz .LBB1643_179
; %bb.14:                               ;   in Loop: Header=BB1643_12 Depth=1
	s_mov_b32 s0, s35
	s_mov_b32 s9, s27
	s_barrier
	buffer_gl0_inv
                                        ; implicit-def: $vgpr2
                                        ; implicit-def: $vgpr6
                                        ; implicit-def: $vgpr7
                                        ; implicit-def: $vgpr8
                                        ; implicit-def: $vgpr9
                                        ; implicit-def: $vgpr10
                                        ; implicit-def: $vgpr11
                                        ; implicit-def: $vgpr12
	s_branch .LBB1643_16
.LBB1643_15:                            ;   in Loop: Header=BB1643_16 Depth=2
	s_or_b32 exec_lo, exec_lo, s8
	s_addk_i32 s0, 0xf800
	s_cmp_ge_u32 s1, s33
	s_mov_b32 s9, s1
	s_cbranch_scc1 .LBB1643_54
.LBB1643_16:                            ;   Parent Loop BB1643_12 Depth=1
                                        ; =>  This Inner Loop Header: Depth=2
	s_add_i32 s1, s9, 0x800
	s_delay_alu instid0(SALU_CYCLE_1)
	s_cmp_gt_u32 s1, s33
	s_cbranch_scc1 .LBB1643_19
; %bb.17:                               ;   in Loop: Header=BB1643_16 Depth=2
	v_add_co_u32 v4, vcc_lo, v33, s9
	v_add_co_ci_u32_e32 v5, vcc_lo, 0, v34, vcc_lo
	s_mov_b32 s8, -1
	s_movk_i32 s12, 0x800
	s_clause 0x6
	global_load_u8 v20, v[4:5], off offset:1536
	global_load_u8 v19, v[4:5], off offset:1280
	;; [unrolled: 1-line block ×6, first 2 shown]
	global_load_u8 v14, v[4:5], off
	v_add_co_u32 v4, vcc_lo, 0x700, v4
	v_add_co_ci_u32_e32 v5, vcc_lo, 0, v5, vcc_lo
	s_cbranch_execz .LBB1643_20
; %bb.18:                               ;   in Loop: Header=BB1643_16 Depth=2
                                        ; implicit-def: $vgpr2
                                        ; implicit-def: $vgpr6
                                        ; implicit-def: $vgpr7
                                        ; implicit-def: $vgpr8
                                        ; implicit-def: $vgpr9
                                        ; implicit-def: $vgpr10
                                        ; implicit-def: $vgpr11
                                        ; implicit-def: $vgpr12
	v_mov_b32_e32 v13, s0
	s_and_saveexec_b32 s9, s8
	s_cbranch_execnz .LBB1643_31
	s_branch .LBB1643_32
.LBB1643_19:                            ;   in Loop: Header=BB1643_16 Depth=2
	s_mov_b32 s8, 0
                                        ; implicit-def: $sgpr12
                                        ; implicit-def: $vgpr14
                                        ; implicit-def: $vgpr15
                                        ; implicit-def: $vgpr16
                                        ; implicit-def: $vgpr17
                                        ; implicit-def: $vgpr18
                                        ; implicit-def: $vgpr19
                                        ; implicit-def: $vgpr20
                                        ; implicit-def: $vgpr4_vgpr5
.LBB1643_20:                            ;   in Loop: Header=BB1643_16 Depth=2
	s_add_u32 s10, s40, s9
	s_addc_u32 s11, s41, 0
	s_mov_b32 s12, exec_lo
	v_cmpx_gt_u32_e64 s0, v1
	s_cbranch_execz .LBB1643_48
; %bb.21:                               ;   in Loop: Header=BB1643_16 Depth=2
	v_add_co_u32 v4, s13, s10, v1
	s_delay_alu instid0(VALU_DEP_1) | instskip(SKIP_2) | instid1(SALU_CYCLE_1)
	v_add_co_ci_u32_e64 v5, null, s11, 0, s13
	global_load_u8 v2, v[4:5], off
	s_or_b32 exec_lo, exec_lo, s12
	s_mov_b32 s12, exec_lo
	v_cmpx_gt_u32_e64 s0, v29
	s_cbranch_execnz .LBB1643_49
.LBB1643_22:                            ;   in Loop: Header=BB1643_16 Depth=2
	s_or_b32 exec_lo, exec_lo, s12
	s_delay_alu instid0(SALU_CYCLE_1)
	s_mov_b32 s12, exec_lo
	v_cmpx_gt_u32_e64 s0, v30
	s_cbranch_execz .LBB1643_50
.LBB1643_23:                            ;   in Loop: Header=BB1643_16 Depth=2
	v_add_co_u32 v4, s13, s10, v1
	s_delay_alu instid0(VALU_DEP_1) | instskip(SKIP_2) | instid1(SALU_CYCLE_1)
	v_add_co_ci_u32_e64 v5, null, s11, 0, s13
	global_load_u8 v7, v[4:5], off offset:512
	s_or_b32 exec_lo, exec_lo, s12
	s_mov_b32 s12, exec_lo
	v_cmpx_gt_u32_e64 s0, v31
	s_cbranch_execnz .LBB1643_51
.LBB1643_24:                            ;   in Loop: Header=BB1643_16 Depth=2
	s_or_b32 exec_lo, exec_lo, s12
	s_delay_alu instid0(SALU_CYCLE_1)
	s_mov_b32 s12, exec_lo
	v_cmpx_gt_u32_e64 s0, v35
	s_cbranch_execz .LBB1643_52
.LBB1643_25:                            ;   in Loop: Header=BB1643_16 Depth=2
	v_add_co_u32 v4, s13, s10, v1
	s_delay_alu instid0(VALU_DEP_1) | instskip(SKIP_2) | instid1(SALU_CYCLE_1)
	v_add_co_ci_u32_e64 v5, null, s11, 0, s13
	global_load_u8 v9, v[4:5], off offset:1024
	s_or_b32 exec_lo, exec_lo, s12
	s_mov_b32 s12, exec_lo
	v_cmpx_gt_u32_e64 s0, v36
	s_cbranch_execnz .LBB1643_53
.LBB1643_26:                            ;   in Loop: Header=BB1643_16 Depth=2
	s_or_b32 exec_lo, exec_lo, s12
	s_delay_alu instid0(SALU_CYCLE_1)
	s_mov_b32 s12, exec_lo
	v_cmpx_gt_u32_e64 s0, v37
	s_cbranch_execz .LBB1643_28
.LBB1643_27:                            ;   in Loop: Header=BB1643_16 Depth=2
	v_add_co_u32 v4, s13, s10, v1
	s_delay_alu instid0(VALU_DEP_1)
	v_add_co_ci_u32_e64 v5, null, s11, 0, s13
	global_load_u8 v11, v[4:5], off offset:1536
.LBB1643_28:                            ;   in Loop: Header=BB1643_16 Depth=2
	s_or_b32 exec_lo, exec_lo, s12
	s_delay_alu instid0(SALU_CYCLE_1)
	s_mov_b32 s13, exec_lo
                                        ; implicit-def: $sgpr12
                                        ; implicit-def: $vgpr4_vgpr5
	v_cmpx_gt_u32_e64 s0, v39
; %bb.29:                               ;   in Loop: Header=BB1643_16 Depth=2
	v_add_co_u32 v4, s10, s10, v1
	s_delay_alu instid0(VALU_DEP_1) | instskip(SKIP_1) | instid1(VALU_DEP_2)
	v_add_co_ci_u32_e64 v5, null, s11, 0, s10
	s_sub_i32 s12, s33, s9
	v_add_co_u32 v4, vcc_lo, 0x700, v4
	s_delay_alu instid0(VALU_DEP_2)
	v_add_co_ci_u32_e32 v5, vcc_lo, 0, v5, vcc_lo
	s_or_b32 s8, s8, exec_lo
                                        ; implicit-def: $vgpr12
; %bb.30:                               ;   in Loop: Header=BB1643_16 Depth=2
	s_or_b32 exec_lo, exec_lo, s13
	s_waitcnt vmcnt(0)
	v_dual_mov_b32 v14, v2 :: v_dual_mov_b32 v17, v8
	v_dual_mov_b32 v15, v6 :: v_dual_mov_b32 v16, v7
	;; [unrolled: 1-line block ×4, first 2 shown]
	s_and_saveexec_b32 s9, s8
	s_cbranch_execz .LBB1643_32
.LBB1643_31:                            ;   in Loop: Header=BB1643_16 Depth=2
	global_load_u8 v12, v[4:5], off
	s_waitcnt vmcnt(1)
	v_dual_mov_b32 v13, s12 :: v_dual_mov_b32 v2, v14
	v_dual_mov_b32 v6, v15 :: v_dual_mov_b32 v7, v16
	;; [unrolled: 1-line block ×4, first 2 shown]
.LBB1643_32:                            ;   in Loop: Header=BB1643_16 Depth=2
	s_or_b32 exec_lo, exec_lo, s9
	s_delay_alu instid0(SALU_CYCLE_1)
	s_mov_b32 s8, exec_lo
	v_cmpx_lt_u32_e64 v1, v13
	s_cbranch_execz .LBB1643_40
; %bb.33:                               ;   in Loop: Header=BB1643_16 Depth=2
	v_and_b32_e32 v4, 1, v2
	v_lshlrev_b32_e32 v5, 2, v32
	s_delay_alu instid0(VALU_DEP_2) | instskip(NEXT) | instid1(VALU_DEP_1)
	v_lshrrev_b32_e32 v4, s30, v4
	v_and_b32_e32 v4, s31, v4
	s_delay_alu instid0(VALU_DEP_1) | instskip(SKIP_2) | instid1(SALU_CYCLE_1)
	v_lshl_or_b32 v4, v4, 4, v5
	ds_add_u32 v4, v66
	s_or_b32 exec_lo, exec_lo, s8
	s_mov_b32 s8, exec_lo
	v_cmpx_lt_u32_e64 v29, v13
	s_cbranch_execnz .LBB1643_41
.LBB1643_34:                            ;   in Loop: Header=BB1643_16 Depth=2
	s_or_b32 exec_lo, exec_lo, s8
	s_delay_alu instid0(SALU_CYCLE_1)
	s_mov_b32 s8, exec_lo
	v_cmpx_lt_u32_e64 v30, v13
	s_cbranch_execz .LBB1643_42
.LBB1643_35:                            ;   in Loop: Header=BB1643_16 Depth=2
	v_and_b32_e32 v4, 1, v7
	v_lshlrev_b32_e32 v5, 2, v32
	s_delay_alu instid0(VALU_DEP_2) | instskip(NEXT) | instid1(VALU_DEP_1)
	v_lshrrev_b32_e32 v4, s30, v4
	v_and_b32_e32 v4, s31, v4
	s_delay_alu instid0(VALU_DEP_1) | instskip(SKIP_2) | instid1(SALU_CYCLE_1)
	v_lshl_or_b32 v4, v4, 4, v5
	ds_add_u32 v4, v66
	s_or_b32 exec_lo, exec_lo, s8
	s_mov_b32 s8, exec_lo
	v_cmpx_lt_u32_e64 v31, v13
	s_cbranch_execnz .LBB1643_43
.LBB1643_36:                            ;   in Loop: Header=BB1643_16 Depth=2
	s_or_b32 exec_lo, exec_lo, s8
	s_delay_alu instid0(SALU_CYCLE_1)
	s_mov_b32 s8, exec_lo
	v_cmpx_lt_u32_e64 v35, v13
	s_cbranch_execz .LBB1643_44
.LBB1643_37:                            ;   in Loop: Header=BB1643_16 Depth=2
	v_and_b32_e32 v4, 1, v9
	v_lshlrev_b32_e32 v5, 2, v32
	s_delay_alu instid0(VALU_DEP_2) | instskip(NEXT) | instid1(VALU_DEP_1)
	v_lshrrev_b32_e32 v4, s30, v4
	v_and_b32_e32 v4, s31, v4
	s_delay_alu instid0(VALU_DEP_1) | instskip(SKIP_2) | instid1(SALU_CYCLE_1)
	v_lshl_or_b32 v4, v4, 4, v5
	ds_add_u32 v4, v66
	s_or_b32 exec_lo, exec_lo, s8
	s_mov_b32 s8, exec_lo
	v_cmpx_lt_u32_e64 v36, v13
	s_cbranch_execnz .LBB1643_45
.LBB1643_38:                            ;   in Loop: Header=BB1643_16 Depth=2
	s_or_b32 exec_lo, exec_lo, s8
	s_delay_alu instid0(SALU_CYCLE_1)
	s_mov_b32 s8, exec_lo
	v_cmpx_lt_u32_e64 v37, v13
	s_cbranch_execz .LBB1643_46
.LBB1643_39:                            ;   in Loop: Header=BB1643_16 Depth=2
	v_and_b32_e32 v4, 1, v11
	v_lshlrev_b32_e32 v5, 2, v32
	s_delay_alu instid0(VALU_DEP_2) | instskip(NEXT) | instid1(VALU_DEP_1)
	v_lshrrev_b32_e32 v4, s30, v4
	v_and_b32_e32 v4, s31, v4
	s_delay_alu instid0(VALU_DEP_1) | instskip(SKIP_2) | instid1(SALU_CYCLE_1)
	v_lshl_or_b32 v4, v4, 4, v5
	ds_add_u32 v4, v66
	s_or_b32 exec_lo, exec_lo, s8
	s_mov_b32 s8, exec_lo
	v_cmpx_lt_u32_e64 v39, v13
	s_cbranch_execz .LBB1643_15
	s_branch .LBB1643_47
.LBB1643_40:                            ;   in Loop: Header=BB1643_16 Depth=2
	s_or_b32 exec_lo, exec_lo, s8
	s_delay_alu instid0(SALU_CYCLE_1)
	s_mov_b32 s8, exec_lo
	v_cmpx_lt_u32_e64 v29, v13
	s_cbranch_execz .LBB1643_34
.LBB1643_41:                            ;   in Loop: Header=BB1643_16 Depth=2
	v_and_b32_e32 v4, 1, v6
	v_lshlrev_b32_e32 v5, 2, v32
	s_delay_alu instid0(VALU_DEP_2) | instskip(NEXT) | instid1(VALU_DEP_1)
	v_lshrrev_b32_e32 v4, s30, v4
	v_and_b32_e32 v4, s31, v4
	s_delay_alu instid0(VALU_DEP_1) | instskip(SKIP_2) | instid1(SALU_CYCLE_1)
	v_lshl_or_b32 v4, v4, 4, v5
	ds_add_u32 v4, v66
	s_or_b32 exec_lo, exec_lo, s8
	s_mov_b32 s8, exec_lo
	v_cmpx_lt_u32_e64 v30, v13
	s_cbranch_execnz .LBB1643_35
.LBB1643_42:                            ;   in Loop: Header=BB1643_16 Depth=2
	s_or_b32 exec_lo, exec_lo, s8
	s_delay_alu instid0(SALU_CYCLE_1)
	s_mov_b32 s8, exec_lo
	v_cmpx_lt_u32_e64 v31, v13
	s_cbranch_execz .LBB1643_36
.LBB1643_43:                            ;   in Loop: Header=BB1643_16 Depth=2
	v_and_b32_e32 v4, 1, v8
	v_lshlrev_b32_e32 v5, 2, v32
	s_delay_alu instid0(VALU_DEP_2) | instskip(NEXT) | instid1(VALU_DEP_1)
	v_lshrrev_b32_e32 v4, s30, v4
	v_and_b32_e32 v4, s31, v4
	s_delay_alu instid0(VALU_DEP_1) | instskip(SKIP_2) | instid1(SALU_CYCLE_1)
	v_lshl_or_b32 v4, v4, 4, v5
	ds_add_u32 v4, v66
	s_or_b32 exec_lo, exec_lo, s8
	s_mov_b32 s8, exec_lo
	v_cmpx_lt_u32_e64 v35, v13
	s_cbranch_execnz .LBB1643_37
.LBB1643_44:                            ;   in Loop: Header=BB1643_16 Depth=2
	s_or_b32 exec_lo, exec_lo, s8
	s_delay_alu instid0(SALU_CYCLE_1)
	s_mov_b32 s8, exec_lo
	v_cmpx_lt_u32_e64 v36, v13
	s_cbranch_execz .LBB1643_38
.LBB1643_45:                            ;   in Loop: Header=BB1643_16 Depth=2
	v_and_b32_e32 v4, 1, v10
	v_lshlrev_b32_e32 v5, 2, v32
	s_delay_alu instid0(VALU_DEP_2) | instskip(NEXT) | instid1(VALU_DEP_1)
	v_lshrrev_b32_e32 v4, s30, v4
	v_and_b32_e32 v4, s31, v4
	s_delay_alu instid0(VALU_DEP_1) | instskip(SKIP_2) | instid1(SALU_CYCLE_1)
	v_lshl_or_b32 v4, v4, 4, v5
	ds_add_u32 v4, v66
	s_or_b32 exec_lo, exec_lo, s8
	s_mov_b32 s8, exec_lo
	v_cmpx_lt_u32_e64 v37, v13
	s_cbranch_execnz .LBB1643_39
.LBB1643_46:                            ;   in Loop: Header=BB1643_16 Depth=2
	s_or_b32 exec_lo, exec_lo, s8
	s_delay_alu instid0(SALU_CYCLE_1)
	s_mov_b32 s8, exec_lo
	v_cmpx_lt_u32_e64 v39, v13
	s_cbranch_execz .LBB1643_15
.LBB1643_47:                            ;   in Loop: Header=BB1643_16 Depth=2
	s_waitcnt vmcnt(0)
	v_and_b32_e32 v4, 1, v12
	v_lshlrev_b32_e32 v5, 2, v32
	s_delay_alu instid0(VALU_DEP_2) | instskip(NEXT) | instid1(VALU_DEP_1)
	v_lshrrev_b32_e32 v4, s30, v4
	v_and_b32_e32 v4, s31, v4
	s_delay_alu instid0(VALU_DEP_1)
	v_lshl_or_b32 v4, v4, 4, v5
	ds_add_u32 v4, v66
	s_branch .LBB1643_15
.LBB1643_48:                            ;   in Loop: Header=BB1643_16 Depth=2
	s_or_b32 exec_lo, exec_lo, s12
	s_delay_alu instid0(SALU_CYCLE_1)
	s_mov_b32 s12, exec_lo
	v_cmpx_gt_u32_e64 s0, v29
	s_cbranch_execz .LBB1643_22
.LBB1643_49:                            ;   in Loop: Header=BB1643_16 Depth=2
	v_add_co_u32 v4, s13, s10, v1
	s_delay_alu instid0(VALU_DEP_1) | instskip(SKIP_2) | instid1(SALU_CYCLE_1)
	v_add_co_ci_u32_e64 v5, null, s11, 0, s13
	global_load_u8 v6, v[4:5], off offset:256
	s_or_b32 exec_lo, exec_lo, s12
	s_mov_b32 s12, exec_lo
	v_cmpx_gt_u32_e64 s0, v30
	s_cbranch_execnz .LBB1643_23
.LBB1643_50:                            ;   in Loop: Header=BB1643_16 Depth=2
	s_or_b32 exec_lo, exec_lo, s12
	s_delay_alu instid0(SALU_CYCLE_1)
	s_mov_b32 s12, exec_lo
	v_cmpx_gt_u32_e64 s0, v31
	s_cbranch_execz .LBB1643_24
.LBB1643_51:                            ;   in Loop: Header=BB1643_16 Depth=2
	v_add_co_u32 v4, s13, s10, v1
	s_delay_alu instid0(VALU_DEP_1) | instskip(SKIP_2) | instid1(SALU_CYCLE_1)
	v_add_co_ci_u32_e64 v5, null, s11, 0, s13
	global_load_u8 v8, v[4:5], off offset:768
	s_or_b32 exec_lo, exec_lo, s12
	s_mov_b32 s12, exec_lo
	v_cmpx_gt_u32_e64 s0, v35
	s_cbranch_execnz .LBB1643_25
.LBB1643_52:                            ;   in Loop: Header=BB1643_16 Depth=2
	s_or_b32 exec_lo, exec_lo, s12
	s_delay_alu instid0(SALU_CYCLE_1)
	s_mov_b32 s12, exec_lo
	v_cmpx_gt_u32_e64 s0, v36
	s_cbranch_execz .LBB1643_26
.LBB1643_53:                            ;   in Loop: Header=BB1643_16 Depth=2
	v_add_co_u32 v4, s13, s10, v1
	s_delay_alu instid0(VALU_DEP_1) | instskip(SKIP_2) | instid1(SALU_CYCLE_1)
	v_add_co_ci_u32_e64 v5, null, s11, 0, s13
	global_load_u8 v10, v[4:5], off offset:1280
	s_or_b32 exec_lo, exec_lo, s12
	s_mov_b32 s12, exec_lo
	v_cmpx_gt_u32_e64 s0, v37
	s_cbranch_execz .LBB1643_28
	s_branch .LBB1643_27
.LBB1643_54:                            ;   in Loop: Header=BB1643_12 Depth=1
	v_mov_b32_e32 v2, 0
	s_waitcnt vmcnt(0) lgkmcnt(0)
	s_barrier
	buffer_gl0_inv
	s_and_saveexec_b32 s0, s2
	s_cbranch_execz .LBB1643_56
; %bb.55:                               ;   in Loop: Header=BB1643_12 Depth=1
	ds_load_2addr_b64 v[4:7], v40 offset1:1
	s_waitcnt lgkmcnt(0)
	v_add_nc_u32_e32 v2, v5, v4
	s_delay_alu instid0(VALU_DEP_1)
	v_add3_u32 v2, v2, v6, v7
.LBB1643_56:                            ;   in Loop: Header=BB1643_12 Depth=1
	s_or_b32 exec_lo, exec_lo, s0
	v_and_b32_e32 v4, 15, v63
	s_delay_alu instid0(VALU_DEP_2) | instskip(SKIP_1) | instid1(VALU_DEP_3)
	v_mov_b32_dpp v5, v2 row_shr:1 row_mask:0xf bank_mask:0xf
	v_and_b32_e32 v6, 16, v63
	v_cmp_eq_u32_e64 s0, 0, v4
	v_cmp_lt_u32_e64 s1, 1, v4
	v_cmp_lt_u32_e64 s8, 3, v4
	;; [unrolled: 1-line block ×3, first 2 shown]
	v_cmp_eq_u32_e64 s10, 0, v6
	v_cndmask_b32_e64 v5, v5, 0, s0
	s_delay_alu instid0(VALU_DEP_1) | instskip(NEXT) | instid1(VALU_DEP_1)
	v_add_nc_u32_e32 v2, v5, v2
	v_mov_b32_dpp v5, v2 row_shr:2 row_mask:0xf bank_mask:0xf
	s_delay_alu instid0(VALU_DEP_1) | instskip(NEXT) | instid1(VALU_DEP_1)
	v_cndmask_b32_e64 v5, 0, v5, s1
	v_add_nc_u32_e32 v2, v2, v5
	s_delay_alu instid0(VALU_DEP_1) | instskip(NEXT) | instid1(VALU_DEP_1)
	v_mov_b32_dpp v5, v2 row_shr:4 row_mask:0xf bank_mask:0xf
	v_cndmask_b32_e64 v5, 0, v5, s8
	s_delay_alu instid0(VALU_DEP_1) | instskip(NEXT) | instid1(VALU_DEP_1)
	v_add_nc_u32_e32 v2, v2, v5
	v_mov_b32_dpp v5, v2 row_shr:8 row_mask:0xf bank_mask:0xf
	s_delay_alu instid0(VALU_DEP_1) | instskip(SKIP_1) | instid1(VALU_DEP_2)
	v_cndmask_b32_e64 v4, 0, v5, s9
	v_bfe_i32 v5, v63, 4, 1
	v_add_nc_u32_e32 v2, v2, v4
	ds_swizzle_b32 v4, v2 offset:swizzle(BROADCAST,32,15)
	s_waitcnt lgkmcnt(0)
	v_and_b32_e32 v4, v5, v4
	s_delay_alu instid0(VALU_DEP_1)
	v_add_nc_u32_e32 v4, v2, v4
	s_and_saveexec_b32 s11, s3
	s_cbranch_execz .LBB1643_58
; %bb.57:                               ;   in Loop: Header=BB1643_12 Depth=1
	ds_store_b32 v41, v4
.LBB1643_58:                            ;   in Loop: Header=BB1643_12 Depth=1
	s_or_b32 exec_lo, exec_lo, s11
	v_and_b32_e32 v2, 7, v63
	s_waitcnt lgkmcnt(0)
	s_barrier
	buffer_gl0_inv
	s_and_saveexec_b32 s11, s4
	s_cbranch_execz .LBB1643_60
; %bb.59:                               ;   in Loop: Header=BB1643_12 Depth=1
	ds_load_b32 v5, v42
	v_cmp_ne_u32_e32 vcc_lo, 0, v2
	s_waitcnt lgkmcnt(0)
	v_mov_b32_dpp v6, v5 row_shr:1 row_mask:0xf bank_mask:0xf
	s_delay_alu instid0(VALU_DEP_1) | instskip(SKIP_1) | instid1(VALU_DEP_2)
	v_cndmask_b32_e32 v6, 0, v6, vcc_lo
	v_cmp_lt_u32_e32 vcc_lo, 1, v2
	v_add_nc_u32_e32 v5, v6, v5
	s_delay_alu instid0(VALU_DEP_1) | instskip(NEXT) | instid1(VALU_DEP_1)
	v_mov_b32_dpp v6, v5 row_shr:2 row_mask:0xf bank_mask:0xf
	v_cndmask_b32_e32 v6, 0, v6, vcc_lo
	v_cmp_lt_u32_e32 vcc_lo, 3, v2
	s_delay_alu instid0(VALU_DEP_2) | instskip(NEXT) | instid1(VALU_DEP_1)
	v_add_nc_u32_e32 v5, v5, v6
	v_mov_b32_dpp v6, v5 row_shr:4 row_mask:0xf bank_mask:0xf
	s_delay_alu instid0(VALU_DEP_1) | instskip(NEXT) | instid1(VALU_DEP_1)
	v_cndmask_b32_e32 v6, 0, v6, vcc_lo
	v_add_nc_u32_e32 v5, v5, v6
	ds_store_b32 v42, v5
.LBB1643_60:                            ;   in Loop: Header=BB1643_12 Depth=1
	s_or_b32 exec_lo, exec_lo, s11
	v_mov_b32_e32 v5, 0
	s_waitcnt lgkmcnt(0)
	s_barrier
	buffer_gl0_inv
	s_and_saveexec_b32 s11, s5
	s_cbranch_execz .LBB1643_62
; %bb.61:                               ;   in Loop: Header=BB1643_12 Depth=1
	ds_load_b32 v5, v43
.LBB1643_62:                            ;   in Loop: Header=BB1643_12 Depth=1
	s_or_b32 exec_lo, exec_lo, s11
	v_add_nc_u32_e32 v6, -1, v63
	s_waitcnt lgkmcnt(0)
	v_add_nc_u32_e32 v4, v5, v4
	v_cmp_eq_u32_e64 s11, 0, v63
	s_barrier
	v_cmp_gt_i32_e32 vcc_lo, 0, v6
	buffer_gl0_inv
	v_cndmask_b32_e32 v6, v6, v63, vcc_lo
	s_delay_alu instid0(VALU_DEP_1)
	v_lshlrev_b32_e32 v69, 2, v6
	ds_bpermute_b32 v4, v69, v4
	s_and_saveexec_b32 s12, s2
	s_cbranch_execz .LBB1643_64
; %bb.63:                               ;   in Loop: Header=BB1643_12 Depth=1
	s_waitcnt lgkmcnt(0)
	v_cndmask_b32_e64 v4, v4, v5, s11
	s_delay_alu instid0(VALU_DEP_1)
	v_add_nc_u32_e32 v4, s27, v4
	ds_store_b32 v28, v4
.LBB1643_64:                            ;   in Loop: Header=BB1643_12 Depth=1
	s_or_b32 exec_lo, exec_lo, s12
	s_clause 0x1
	s_load_b32 s12, s[28:29], 0x4
	s_load_b32 s16, s[28:29], 0xc
	v_lshlrev_b32_e32 v5, 3, v63
	v_cmp_lt_u32_e64 s14, 3, v2
	v_or_b32_e32 v70, v63, v44
	s_mov_b32 s42, s35
	s_mov_b32 s24, s27
	v_add_co_u32 v71, vcc_lo, v50, v5
	v_add_co_ci_u32_e32 v72, vcc_lo, 0, v51, vcc_lo
	v_add_co_u32 v81, vcc_lo, 0xe0, v67
	v_or_b32_e32 v73, 32, v70
	v_or_b32_e32 v74, 64, v70
	;; [unrolled: 1-line block ×7, first 2 shown]
	s_waitcnt lgkmcnt(0)
	s_cmp_lt_u32 s15, s12
	v_add_co_ci_u32_e32 v82, vcc_lo, 0, v68, vcc_lo
	s_cselect_b32 s12, 14, 20
                                        ; implicit-def: $vgpr6_vgpr7
                                        ; implicit-def: $vgpr8_vgpr9
                                        ; implicit-def: $vgpr10_vgpr11
                                        ; implicit-def: $vgpr12_vgpr13
                                        ; implicit-def: $vgpr14_vgpr15
                                        ; implicit-def: $vgpr16_vgpr17
                                        ; implicit-def: $vgpr18_vgpr19
                                        ; implicit-def: $vgpr83
                                        ; implicit-def: $vgpr84
                                        ; implicit-def: $vgpr85
                                        ; implicit-def: $vgpr86
                                        ; implicit-def: $vgpr87
                                        ; implicit-def: $vgpr88
                                        ; implicit-def: $vgpr89
                                        ; implicit-def: $vgpr90
	s_delay_alu instid0(SALU_CYCLE_1)
	s_add_u32 s12, s28, s12
	s_addc_u32 s13, s29, 0
	s_and_b32 s16, s16, 0xffff
	global_load_u16 v4, v3, s[12:13]
	v_cmp_eq_u32_e64 s12, 0, v2
	v_cmp_lt_u32_e64 s13, 1, v2
	s_waitcnt vmcnt(0)
	v_mad_u32_u24 v2, v45, v4, v0
	s_delay_alu instid0(VALU_DEP_1) | instskip(NEXT) | instid1(VALU_DEP_1)
	v_mad_u64_u32 v[4:5], null, v2, s16, v[1:2]
	v_lshrrev_b32_e32 v80, 5, v4
                                        ; implicit-def: $vgpr4_vgpr5
	s_branch .LBB1643_66
.LBB1643_65:                            ;   in Loop: Header=BB1643_66 Depth=2
	s_or_b32 exec_lo, exec_lo, s16
	s_addk_i32 s42, 0xf800
	s_cmp_lt_u32 s43, s33
	s_mov_b32 s24, s43
	s_cbranch_scc0 .LBB1643_178
.LBB1643_66:                            ;   Parent Loop BB1643_12 Depth=1
                                        ; =>  This Inner Loop Header: Depth=2
	s_add_i32 s43, s24, 0x800
	s_delay_alu instid0(SALU_CYCLE_1)
	s_cmp_gt_u32 s43, s33
	s_cbranch_scc1 .LBB1643_69
; %bb.67:                               ;   in Loop: Header=BB1643_66 Depth=2
	v_add_co_u32 v20, vcc_lo, v67, s24
	v_add_co_ci_u32_e32 v21, vcc_lo, 0, v68, vcc_lo
	s_mov_b32 s17, 0
	s_mov_b32 s16, s24
	s_mov_b32 s19, -1
	s_clause 0x6
	global_load_u8 v91, v[20:21], off
	global_load_u8 v92, v[20:21], off offset:32
	global_load_u8 v93, v[20:21], off offset:64
	global_load_u8 v94, v[20:21], off offset:96
	global_load_u8 v95, v[20:21], off offset:128
	global_load_u8 v96, v[20:21], off offset:160
	global_load_u8 v97, v[20:21], off offset:192
	s_movk_i32 s18, 0x800
	s_cbranch_execz .LBB1643_70
; %bb.68:                               ;   in Loop: Header=BB1643_66 Depth=2
                                        ; implicit-def: $sgpr20
	v_mov_b32_e32 v98, s20
	v_mov_b32_e32 v2, s42
	s_and_saveexec_b32 s20, s19
	s_cbranch_execnz .LBB1643_85
	s_branch .LBB1643_86
.LBB1643_69:                            ;   in Loop: Header=BB1643_66 Depth=2
	s_mov_b32 s17, -1
	s_mov_b32 s19, 0
                                        ; implicit-def: $sgpr18
                                        ; implicit-def: $vgpr91
                                        ; implicit-def: $vgpr92
                                        ; implicit-def: $vgpr93
                                        ; implicit-def: $vgpr94
                                        ; implicit-def: $vgpr95
                                        ; implicit-def: $vgpr96
                                        ; implicit-def: $vgpr97
.LBB1643_70:                            ;   in Loop: Header=BB1643_66 Depth=2
	v_add_co_u32 v20, vcc_lo, v67, s24
	v_add_co_ci_u32_e32 v21, vcc_lo, 0, v68, vcc_lo
	s_waitcnt vmcnt(5)
	v_dual_mov_b32 v92, 1 :: v_dual_mov_b32 v91, 1
	s_mov_b32 s16, exec_lo
	v_cmpx_gt_u32_e64 s42, v70
	s_cbranch_execz .LBB1643_72
; %bb.71:                               ;   in Loop: Header=BB1643_66 Depth=2
	global_load_u8 v91, v[20:21], off
.LBB1643_72:                            ;   in Loop: Header=BB1643_66 Depth=2
	s_or_b32 exec_lo, exec_lo, s16
	s_delay_alu instid0(SALU_CYCLE_1)
	s_mov_b32 s16, exec_lo
	v_cmpx_gt_u32_e64 s42, v73
	s_cbranch_execz .LBB1643_74
; %bb.73:                               ;   in Loop: Header=BB1643_66 Depth=2
	global_load_u8 v92, v[20:21], off offset:32
.LBB1643_74:                            ;   in Loop: Header=BB1643_66 Depth=2
	s_or_b32 exec_lo, exec_lo, s16
	s_waitcnt vmcnt(3)
	v_dual_mov_b32 v94, 1 :: v_dual_mov_b32 v93, 1
	s_mov_b32 s16, exec_lo
	v_cmpx_gt_u32_e64 s42, v74
	s_cbranch_execz .LBB1643_76
; %bb.75:                               ;   in Loop: Header=BB1643_66 Depth=2
	global_load_u8 v93, v[20:21], off offset:64
.LBB1643_76:                            ;   in Loop: Header=BB1643_66 Depth=2
	s_or_b32 exec_lo, exec_lo, s16
	s_delay_alu instid0(SALU_CYCLE_1)
	s_mov_b32 s16, exec_lo
	v_cmpx_gt_u32_e64 s42, v75
	s_cbranch_execz .LBB1643_78
; %bb.77:                               ;   in Loop: Header=BB1643_66 Depth=2
	global_load_u8 v94, v[20:21], off offset:96
.LBB1643_78:                            ;   in Loop: Header=BB1643_66 Depth=2
	s_or_b32 exec_lo, exec_lo, s16
	s_waitcnt vmcnt(1)
	v_dual_mov_b32 v96, 1 :: v_dual_mov_b32 v95, 1
	s_mov_b32 s16, exec_lo
	v_cmpx_gt_u32_e64 s42, v76
	s_cbranch_execz .LBB1643_80
; %bb.79:                               ;   in Loop: Header=BB1643_66 Depth=2
	global_load_u8 v95, v[20:21], off offset:128
.LBB1643_80:                            ;   in Loop: Header=BB1643_66 Depth=2
	s_or_b32 exec_lo, exec_lo, s16
	s_delay_alu instid0(SALU_CYCLE_1)
	s_mov_b32 s16, exec_lo
	v_cmpx_gt_u32_e64 s42, v77
	s_cbranch_execz .LBB1643_82
; %bb.81:                               ;   in Loop: Header=BB1643_66 Depth=2
	global_load_u8 v96, v[20:21], off offset:160
.LBB1643_82:                            ;   in Loop: Header=BB1643_66 Depth=2
	s_or_b32 exec_lo, exec_lo, s16
	s_waitcnt vmcnt(0)
	v_mov_b32_e32 v97, 1
	s_mov_b32 s16, exec_lo
	v_cmpx_gt_u32_e64 s42, v78
	s_cbranch_execz .LBB1643_84
; %bb.83:                               ;   in Loop: Header=BB1643_66 Depth=2
	global_load_u8 v97, v[20:21], off offset:192
.LBB1643_84:                            ;   in Loop: Header=BB1643_66 Depth=2
	s_or_b32 exec_lo, exec_lo, s16
	v_cmp_gt_u32_e64 s19, s42, v79
	s_sub_i32 s18, s33, s24
	s_mov_b32 s20, 1
	s_mov_b64 s[16:17], s[24:25]
	v_mov_b32_e32 v98, s20
	v_mov_b32_e32 v2, s42
	s_and_saveexec_b32 s20, s19
	s_cbranch_execz .LBB1643_86
.LBB1643_85:                            ;   in Loop: Header=BB1643_66 Depth=2
	v_add_co_u32 v20, vcc_lo, v81, s16
	v_add_co_ci_u32_e32 v21, vcc_lo, s17, v82, vcc_lo
	v_mov_b32_e32 v2, s18
	global_load_u8 v98, v[20:21], off
.LBB1643_86:                            ;   in Loop: Header=BB1643_66 Depth=2
	s_or_b32 exec_lo, exec_lo, s20
	s_waitcnt vmcnt(6)
	v_and_b32_e32 v20, 0xff, v91
	ds_store_b32 v46, v3 offset:1056
	ds_store_2addr_b32 v47, v3, v3 offset0:1 offset1:2
	ds_store_2addr_b32 v47, v3, v3 offset0:3 offset1:4
	;; [unrolled: 1-line block ×4, first 2 shown]
	s_waitcnt vmcnt(0) lgkmcnt(0)
	s_barrier
	v_lshrrev_b32_e32 v20, s30, v20
	buffer_gl0_inv
	; wave barrier
	v_and_b32_e32 v21, s31, v20
	s_delay_alu instid0(VALU_DEP_1) | instskip(NEXT) | instid1(VALU_DEP_1)
	v_add_co_u32 v20, s16, v21, -1
	v_cndmask_b32_e64 v22, 0, 1, s16
	v_mad_u32_u24 v21, v21, 9, v80
	s_delay_alu instid0(VALU_DEP_2) | instskip(NEXT) | instid1(VALU_DEP_2)
	v_cmp_ne_u32_e32 vcc_lo, 0, v22
	v_lshl_add_u32 v100, v21, 2, 0x420
	v_xor_b32_e32 v20, vcc_lo, v20
	s_delay_alu instid0(VALU_DEP_1) | instskip(NEXT) | instid1(VALU_DEP_1)
	v_and_b32_e32 v20, exec_lo, v20
	v_mbcnt_lo_u32_b32 v99, v20, 0
	v_cmp_ne_u32_e64 s16, 0, v20
	s_delay_alu instid0(VALU_DEP_2) | instskip(NEXT) | instid1(VALU_DEP_2)
	v_cmp_eq_u32_e32 vcc_lo, 0, v99
	s_and_b32 s17, s16, vcc_lo
	s_delay_alu instid0(SALU_CYCLE_1)
	s_and_saveexec_b32 s16, s17
	s_cbranch_execz .LBB1643_88
; %bb.87:                               ;   in Loop: Header=BB1643_66 Depth=2
	v_bcnt_u32_b32 v20, v20, 0
	ds_store_b32 v100, v20
.LBB1643_88:                            ;   in Loop: Header=BB1643_66 Depth=2
	s_or_b32 exec_lo, exec_lo, s16
	v_and_b32_e32 v20, 0xff, v92
	; wave barrier
	s_delay_alu instid0(VALU_DEP_1) | instskip(NEXT) | instid1(VALU_DEP_1)
	v_lshrrev_b32_e32 v20, s30, v20
	v_and_b32_e32 v20, s31, v20
	s_delay_alu instid0(VALU_DEP_1) | instskip(NEXT) | instid1(VALU_DEP_1)
	v_add_co_u32 v21, s16, v20, -1
	v_cndmask_b32_e64 v22, 0, 1, s16
	v_mul_u32_u24_e32 v20, 9, v20
	s_delay_alu instid0(VALU_DEP_2) | instskip(NEXT) | instid1(VALU_DEP_2)
	v_cmp_ne_u32_e32 vcc_lo, 0, v22
	v_add_lshl_u32 v22, v20, v80, 2
	v_xor_b32_e32 v20, vcc_lo, v21
	ds_load_b32 v101, v22 offset:1056
	v_add_nc_u32_e32 v103, 0x420, v22
	; wave barrier
	v_and_b32_e32 v20, exec_lo, v20
	s_delay_alu instid0(VALU_DEP_1) | instskip(SKIP_1) | instid1(VALU_DEP_2)
	v_mbcnt_lo_u32_b32 v102, v20, 0
	v_cmp_ne_u32_e64 s16, 0, v20
	v_cmp_eq_u32_e32 vcc_lo, 0, v102
	s_delay_alu instid0(VALU_DEP_2) | instskip(NEXT) | instid1(SALU_CYCLE_1)
	s_and_b32 s17, s16, vcc_lo
	s_and_saveexec_b32 s16, s17
	s_cbranch_execz .LBB1643_90
; %bb.89:                               ;   in Loop: Header=BB1643_66 Depth=2
	s_waitcnt lgkmcnt(0)
	v_bcnt_u32_b32 v20, v20, v101
	ds_store_b32 v103, v20
.LBB1643_90:                            ;   in Loop: Header=BB1643_66 Depth=2
	s_or_b32 exec_lo, exec_lo, s16
	v_and_b32_e32 v20, 0xff, v93
	; wave barrier
	s_delay_alu instid0(VALU_DEP_1) | instskip(NEXT) | instid1(VALU_DEP_1)
	v_lshrrev_b32_e32 v20, s30, v20
	v_and_b32_e32 v20, s31, v20
	s_delay_alu instid0(VALU_DEP_1) | instskip(NEXT) | instid1(VALU_DEP_1)
	v_add_co_u32 v21, s16, v20, -1
	v_cndmask_b32_e64 v22, 0, 1, s16
	v_mul_u32_u24_e32 v20, 9, v20
	s_delay_alu instid0(VALU_DEP_2) | instskip(NEXT) | instid1(VALU_DEP_2)
	v_cmp_ne_u32_e32 vcc_lo, 0, v22
	v_add_lshl_u32 v22, v20, v80, 2
	v_xor_b32_e32 v20, vcc_lo, v21
	ds_load_b32 v104, v22 offset:1056
	v_add_nc_u32_e32 v107, 0x420, v22
	; wave barrier
	v_and_b32_e32 v20, exec_lo, v20
	s_delay_alu instid0(VALU_DEP_1) | instskip(SKIP_1) | instid1(VALU_DEP_2)
	v_mbcnt_lo_u32_b32 v105, v20, 0
	v_cmp_ne_u32_e64 s16, 0, v20
	v_cmp_eq_u32_e32 vcc_lo, 0, v105
	s_delay_alu instid0(VALU_DEP_2) | instskip(NEXT) | instid1(SALU_CYCLE_1)
	s_and_b32 s17, s16, vcc_lo
	s_and_saveexec_b32 s16, s17
	s_cbranch_execz .LBB1643_92
; %bb.91:                               ;   in Loop: Header=BB1643_66 Depth=2
	s_waitcnt lgkmcnt(0)
	v_bcnt_u32_b32 v20, v20, v104
	ds_store_b32 v107, v20
.LBB1643_92:                            ;   in Loop: Header=BB1643_66 Depth=2
	;; [unrolled: 31-line block ×5, first 2 shown]
	s_or_b32 exec_lo, exec_lo, s16
	v_and_b32_e32 v20, 0xff, v97
	; wave barrier
	s_delay_alu instid0(VALU_DEP_1) | instskip(NEXT) | instid1(VALU_DEP_1)
	v_lshrrev_b32_e32 v20, s30, v20
	v_and_b32_e32 v20, s31, v20
	s_delay_alu instid0(VALU_DEP_1) | instskip(NEXT) | instid1(VALU_DEP_1)
	v_add_co_u32 v21, s16, v20, -1
	v_cndmask_b32_e64 v22, 0, 1, s16
	v_mul_u32_u24_e32 v20, 9, v20
	s_delay_alu instid0(VALU_DEP_2) | instskip(NEXT) | instid1(VALU_DEP_2)
	v_cmp_ne_u32_e32 vcc_lo, 0, v22
	v_add_lshl_u32 v22, v20, v80, 2
	v_xor_b32_e32 v20, vcc_lo, v21
	ds_load_b32 v115, v22 offset:1056
	v_add_nc_u32_e32 v119, 0x420, v22
	; wave barrier
	v_and_b32_e32 v20, exec_lo, v20
	s_delay_alu instid0(VALU_DEP_1) | instskip(SKIP_1) | instid1(VALU_DEP_2)
	v_mbcnt_lo_u32_b32 v117, v20, 0
	v_cmp_ne_u32_e64 s16, 0, v20
	v_cmp_eq_u32_e32 vcc_lo, 0, v117
	s_delay_alu instid0(VALU_DEP_2) | instskip(NEXT) | instid1(SALU_CYCLE_1)
	s_and_b32 s17, s16, vcc_lo
	s_and_saveexec_b32 s16, s17
	s_cbranch_execz .LBB1643_100
; %bb.99:                               ;   in Loop: Header=BB1643_66 Depth=2
	s_waitcnt lgkmcnt(0)
	v_bcnt_u32_b32 v20, v20, v115
	ds_store_b32 v119, v20
.LBB1643_100:                           ;   in Loop: Header=BB1643_66 Depth=2
	s_or_b32 exec_lo, exec_lo, s16
	v_and_b32_e32 v20, 0xff, v98
	; wave barrier
	s_delay_alu instid0(VALU_DEP_1) | instskip(NEXT) | instid1(VALU_DEP_1)
	v_lshrrev_b32_e32 v20, s30, v20
	v_and_b32_e32 v20, s31, v20
	s_delay_alu instid0(VALU_DEP_1) | instskip(NEXT) | instid1(VALU_DEP_1)
	v_add_co_u32 v21, s16, v20, -1
	v_cndmask_b32_e64 v22, 0, 1, s16
	v_mul_u32_u24_e32 v20, 9, v20
	s_delay_alu instid0(VALU_DEP_2) | instskip(NEXT) | instid1(VALU_DEP_2)
	v_cmp_ne_u32_e32 vcc_lo, 0, v22
	v_add_lshl_u32 v22, v20, v80, 2
	v_xor_b32_e32 v20, vcc_lo, v21
	ds_load_b32 v118, v22 offset:1056
	v_add_nc_u32_e32 v121, 0x420, v22
	; wave barrier
	v_and_b32_e32 v20, exec_lo, v20
	s_delay_alu instid0(VALU_DEP_1) | instskip(SKIP_1) | instid1(VALU_DEP_2)
	v_mbcnt_lo_u32_b32 v120, v20, 0
	v_cmp_ne_u32_e64 s16, 0, v20
	v_cmp_eq_u32_e32 vcc_lo, 0, v120
	s_delay_alu instid0(VALU_DEP_2) | instskip(NEXT) | instid1(SALU_CYCLE_1)
	s_and_b32 s17, s16, vcc_lo
	s_and_saveexec_b32 s16, s17
	s_cbranch_execz .LBB1643_102
; %bb.101:                              ;   in Loop: Header=BB1643_66 Depth=2
	s_waitcnt lgkmcnt(0)
	v_bcnt_u32_b32 v20, v20, v118
	ds_store_b32 v121, v20
.LBB1643_102:                           ;   in Loop: Header=BB1643_66 Depth=2
	s_or_b32 exec_lo, exec_lo, s16
	; wave barrier
	s_waitcnt lgkmcnt(0)
	s_barrier
	buffer_gl0_inv
	ds_load_b32 v122, v46 offset:1056
	ds_load_2addr_b32 v[26:27], v47 offset0:1 offset1:2
	ds_load_2addr_b32 v[24:25], v47 offset0:3 offset1:4
	;; [unrolled: 1-line block ×4, first 2 shown]
	s_waitcnt lgkmcnt(3)
	v_add3_u32 v123, v26, v122, v27
	s_waitcnt lgkmcnt(2)
	s_delay_alu instid0(VALU_DEP_1) | instskip(SKIP_1) | instid1(VALU_DEP_1)
	v_add3_u32 v123, v123, v24, v25
	s_waitcnt lgkmcnt(1)
	v_add3_u32 v123, v123, v20, v21
	s_waitcnt lgkmcnt(0)
	s_delay_alu instid0(VALU_DEP_1) | instskip(NEXT) | instid1(VALU_DEP_1)
	v_add3_u32 v23, v123, v22, v23
	v_mov_b32_dpp v123, v23 row_shr:1 row_mask:0xf bank_mask:0xf
	s_delay_alu instid0(VALU_DEP_1) | instskip(NEXT) | instid1(VALU_DEP_1)
	v_cndmask_b32_e64 v123, v123, 0, s0
	v_add_nc_u32_e32 v23, v123, v23
	s_delay_alu instid0(VALU_DEP_1) | instskip(NEXT) | instid1(VALU_DEP_1)
	v_mov_b32_dpp v123, v23 row_shr:2 row_mask:0xf bank_mask:0xf
	v_cndmask_b32_e64 v123, 0, v123, s1
	s_delay_alu instid0(VALU_DEP_1) | instskip(NEXT) | instid1(VALU_DEP_1)
	v_add_nc_u32_e32 v23, v23, v123
	v_mov_b32_dpp v123, v23 row_shr:4 row_mask:0xf bank_mask:0xf
	s_delay_alu instid0(VALU_DEP_1) | instskip(NEXT) | instid1(VALU_DEP_1)
	v_cndmask_b32_e64 v123, 0, v123, s8
	v_add_nc_u32_e32 v23, v23, v123
	s_delay_alu instid0(VALU_DEP_1) | instskip(NEXT) | instid1(VALU_DEP_1)
	v_mov_b32_dpp v123, v23 row_shr:8 row_mask:0xf bank_mask:0xf
	v_cndmask_b32_e64 v123, 0, v123, s9
	s_delay_alu instid0(VALU_DEP_1) | instskip(SKIP_3) | instid1(VALU_DEP_1)
	v_add_nc_u32_e32 v23, v23, v123
	ds_swizzle_b32 v123, v23 offset:swizzle(BROADCAST,32,15)
	s_waitcnt lgkmcnt(0)
	v_cndmask_b32_e64 v123, v123, 0, s10
	v_add_nc_u32_e32 v23, v23, v123
	s_and_saveexec_b32 s16, s3
	s_cbranch_execz .LBB1643_104
; %bb.103:                              ;   in Loop: Header=BB1643_66 Depth=2
	ds_store_b32 v38, v23 offset:1024
.LBB1643_104:                           ;   in Loop: Header=BB1643_66 Depth=2
	s_or_b32 exec_lo, exec_lo, s16
	s_waitcnt lgkmcnt(0)
	s_barrier
	buffer_gl0_inv
	s_and_saveexec_b32 s16, s4
	s_cbranch_execz .LBB1643_106
; %bb.105:                              ;   in Loop: Header=BB1643_66 Depth=2
	v_add_nc_u32_e32 v123, v46, v48
	ds_load_b32 v124, v123 offset:1024
	s_waitcnt lgkmcnt(0)
	v_mov_b32_dpp v125, v124 row_shr:1 row_mask:0xf bank_mask:0xf
	s_delay_alu instid0(VALU_DEP_1) | instskip(NEXT) | instid1(VALU_DEP_1)
	v_cndmask_b32_e64 v125, v125, 0, s12
	v_add_nc_u32_e32 v124, v125, v124
	s_delay_alu instid0(VALU_DEP_1) | instskip(NEXT) | instid1(VALU_DEP_1)
	v_mov_b32_dpp v125, v124 row_shr:2 row_mask:0xf bank_mask:0xf
	v_cndmask_b32_e64 v125, 0, v125, s13
	s_delay_alu instid0(VALU_DEP_1) | instskip(NEXT) | instid1(VALU_DEP_1)
	v_add_nc_u32_e32 v124, v124, v125
	v_mov_b32_dpp v125, v124 row_shr:4 row_mask:0xf bank_mask:0xf
	s_delay_alu instid0(VALU_DEP_1) | instskip(NEXT) | instid1(VALU_DEP_1)
	v_cndmask_b32_e64 v125, 0, v125, s14
	v_add_nc_u32_e32 v124, v124, v125
	ds_store_b32 v123, v124 offset:1024
.LBB1643_106:                           ;   in Loop: Header=BB1643_66 Depth=2
	s_or_b32 exec_lo, exec_lo, s16
	v_mov_b32_e32 v123, 0
	s_waitcnt lgkmcnt(0)
	s_barrier
	buffer_gl0_inv
	s_and_saveexec_b32 s16, s5
	s_cbranch_execz .LBB1643_108
; %bb.107:                              ;   in Loop: Header=BB1643_66 Depth=2
	ds_load_b32 v123, v38 offset:1020
.LBB1643_108:                           ;   in Loop: Header=BB1643_66 Depth=2
	s_or_b32 exec_lo, exec_lo, s16
	s_waitcnt lgkmcnt(0)
	v_add_nc_u32_e32 v23, v123, v23
	ds_bpermute_b32 v23, v69, v23
	s_waitcnt lgkmcnt(0)
	v_cndmask_b32_e64 v23, v23, v123, s11
	s_delay_alu instid0(VALU_DEP_1) | instskip(NEXT) | instid1(VALU_DEP_1)
	v_cndmask_b32_e64 v23, v23, 0, s6
	v_add_nc_u32_e32 v122, v23, v122
	s_delay_alu instid0(VALU_DEP_1) | instskip(NEXT) | instid1(VALU_DEP_1)
	v_add_nc_u32_e32 v26, v122, v26
	v_add_nc_u32_e32 v27, v26, v27
	s_delay_alu instid0(VALU_DEP_1) | instskip(NEXT) | instid1(VALU_DEP_1)
	v_add_nc_u32_e32 v24, v27, v24
	;; [unrolled: 3-line block ×3, first 2 shown]
	v_add_nc_u32_e32 v21, v20, v21
	s_delay_alu instid0(VALU_DEP_1)
	v_add_nc_u32_e32 v22, v21, v22
	ds_store_b32 v46, v23 offset:1056
	ds_store_2addr_b32 v47, v122, v26 offset0:1 offset1:2
	ds_store_2addr_b32 v47, v27, v24 offset0:3 offset1:4
	;; [unrolled: 1-line block ×4, first 2 shown]
	v_mov_b32_e32 v22, 0x800
	s_waitcnt lgkmcnt(0)
	s_barrier
	buffer_gl0_inv
	ds_load_b32 v20, v103
	ds_load_b32 v21, v107
	;; [unrolled: 1-line block ×8, first 2 shown]
	ds_load_b32 v27, v46 offset:1056
	s_and_saveexec_b32 s16, s7
	s_cbranch_execz .LBB1643_110
; %bb.109:                              ;   in Loop: Header=BB1643_66 Depth=2
	ds_load_b32 v22, v49 offset:1056
.LBB1643_110:                           ;   in Loop: Header=BB1643_66 Depth=2
	s_or_b32 exec_lo, exec_lo, s16
	s_waitcnt lgkmcnt(0)
	s_barrier
	buffer_gl0_inv
	s_and_saveexec_b32 s16, s2
	s_cbranch_execz .LBB1643_112
; %bb.111:                              ;   in Loop: Header=BB1643_66 Depth=2
	ds_load_b32 v100, v28
	s_waitcnt lgkmcnt(0)
	v_sub_nc_u32_e32 v27, v100, v27
	ds_store_b32 v28, v27
.LBB1643_112:                           ;   in Loop: Header=BB1643_66 Depth=2
	s_or_b32 exec_lo, exec_lo, s16
	v_add_nc_u32_e32 v103, v26, v99
	v_add3_u32 v100, v102, v101, v20
	v_add3_u32 v99, v105, v104, v21
	;; [unrolled: 1-line block ×7, first 2 shown]
	v_cmp_lt_u32_e64 s22, v1, v2
	ds_store_b8 v103, v91 offset:1024
	ds_store_b8 v100, v92 offset:1024
	;; [unrolled: 1-line block ×8, first 2 shown]
	s_waitcnt lgkmcnt(0)
	s_barrier
	buffer_gl0_inv
	s_and_saveexec_b32 s16, s22
	s_cbranch_execz .LBB1643_120
; %bb.113:                              ;   in Loop: Header=BB1643_66 Depth=2
	ds_load_u8 v20, v1 offset:1024
	s_waitcnt lgkmcnt(0)
	v_and_b32_e32 v21, 1, v20
	s_delay_alu instid0(VALU_DEP_1) | instskip(NEXT) | instid1(VALU_DEP_1)
	v_lshrrev_b32_e32 v21, s30, v21
	v_and_b32_e32 v21, s31, v21
	s_delay_alu instid0(VALU_DEP_1)
	v_lshlrev_b32_e32 v21, 2, v21
	ds_load_b32 v21, v21
	s_waitcnt lgkmcnt(0)
	v_add_nc_u32_e32 v21, v21, v1
	global_store_b8 v21, v20, s[38:39]
	s_or_b32 exec_lo, exec_lo, s16
	v_cmp_lt_u32_e64 s21, v29, v2
	s_delay_alu instid0(VALU_DEP_1)
	s_and_saveexec_b32 s16, s21
	s_cbranch_execnz .LBB1643_121
.LBB1643_114:                           ;   in Loop: Header=BB1643_66 Depth=2
	s_or_b32 exec_lo, exec_lo, s16
	v_cmp_lt_u32_e64 s20, v30, v2
	s_delay_alu instid0(VALU_DEP_1)
	s_and_saveexec_b32 s16, s20
	s_cbranch_execz .LBB1643_122
.LBB1643_115:                           ;   in Loop: Header=BB1643_66 Depth=2
	ds_load_u8 v20, v35 offset:512
	s_waitcnt lgkmcnt(0)
	v_and_b32_e32 v21, 1, v20
	s_delay_alu instid0(VALU_DEP_1) | instskip(NEXT) | instid1(VALU_DEP_1)
	v_lshrrev_b32_e32 v21, s30, v21
	v_and_b32_e32 v21, s31, v21
	s_delay_alu instid0(VALU_DEP_1)
	v_lshlrev_b32_e32 v21, 2, v21
	ds_load_b32 v21, v21
	s_waitcnt lgkmcnt(0)
	v_add_nc_u32_e32 v21, v21, v30
	global_store_b8 v21, v20, s[38:39]
	s_or_b32 exec_lo, exec_lo, s16
	v_cmp_lt_u32_e64 s19, v31, v2
	s_delay_alu instid0(VALU_DEP_1)
	s_and_saveexec_b32 s16, s19
	s_cbranch_execnz .LBB1643_123
.LBB1643_116:                           ;   in Loop: Header=BB1643_66 Depth=2
	s_or_b32 exec_lo, exec_lo, s16
	v_cmp_lt_u32_e64 s18, v35, v2
	s_delay_alu instid0(VALU_DEP_1)
	s_and_saveexec_b32 s16, s18
	s_cbranch_execz .LBB1643_124
.LBB1643_117:                           ;   in Loop: Header=BB1643_66 Depth=2
	ds_load_u8 v20, v35 offset:1024
	s_waitcnt lgkmcnt(0)
	v_and_b32_e32 v21, 1, v20
	s_delay_alu instid0(VALU_DEP_1) | instskip(NEXT) | instid1(VALU_DEP_1)
	v_lshrrev_b32_e32 v21, s30, v21
	v_and_b32_e32 v21, s31, v21
	s_delay_alu instid0(VALU_DEP_1)
	v_lshlrev_b32_e32 v21, 2, v21
	ds_load_b32 v21, v21
	s_waitcnt lgkmcnt(0)
	v_add_nc_u32_e32 v21, v21, v35
	global_store_b8 v21, v20, s[38:39]
	s_or_b32 exec_lo, exec_lo, s16
	v_cmp_lt_u32_e64 s17, v36, v2
	s_delay_alu instid0(VALU_DEP_1)
	s_and_saveexec_b32 s16, s17
	s_cbranch_execnz .LBB1643_125
.LBB1643_118:                           ;   in Loop: Header=BB1643_66 Depth=2
	s_or_b32 exec_lo, exec_lo, s16
	v_cmp_lt_u32_e64 s16, v37, v2
	s_delay_alu instid0(VALU_DEP_1)
	s_and_saveexec_b32 s23, s16
	s_cbranch_execz .LBB1643_126
.LBB1643_119:                           ;   in Loop: Header=BB1643_66 Depth=2
	ds_load_u8 v20, v35 offset:1536
	s_waitcnt lgkmcnt(0)
	v_and_b32_e32 v21, 1, v20
	s_delay_alu instid0(VALU_DEP_1) | instskip(NEXT) | instid1(VALU_DEP_1)
	v_lshrrev_b32_e32 v21, s30, v21
	v_and_b32_e32 v21, s31, v21
	s_delay_alu instid0(VALU_DEP_1)
	v_lshlrev_b32_e32 v21, 2, v21
	ds_load_b32 v21, v21
	s_waitcnt lgkmcnt(0)
	v_add_nc_u32_e32 v21, v21, v37
	global_store_b8 v21, v20, s[38:39]
	s_or_b32 exec_lo, exec_lo, s23
	v_cmp_lt_u32_e32 vcc_lo, v39, v2
	s_and_saveexec_b32 s23, vcc_lo
	s_cbranch_execnz .LBB1643_127
	s_branch .LBB1643_128
.LBB1643_120:                           ;   in Loop: Header=BB1643_66 Depth=2
	s_or_b32 exec_lo, exec_lo, s16
	v_cmp_lt_u32_e64 s21, v29, v2
	s_delay_alu instid0(VALU_DEP_1)
	s_and_saveexec_b32 s16, s21
	s_cbranch_execz .LBB1643_114
.LBB1643_121:                           ;   in Loop: Header=BB1643_66 Depth=2
	ds_load_u8 v20, v35 offset:256
	s_waitcnt lgkmcnt(0)
	v_and_b32_e32 v21, 1, v20
	s_delay_alu instid0(VALU_DEP_1) | instskip(NEXT) | instid1(VALU_DEP_1)
	v_lshrrev_b32_e32 v21, s30, v21
	v_and_b32_e32 v21, s31, v21
	s_delay_alu instid0(VALU_DEP_1)
	v_lshlrev_b32_e32 v21, 2, v21
	ds_load_b32 v21, v21
	s_waitcnt lgkmcnt(0)
	v_add_nc_u32_e32 v21, v21, v29
	global_store_b8 v21, v20, s[38:39]
	s_or_b32 exec_lo, exec_lo, s16
	v_cmp_lt_u32_e64 s20, v30, v2
	s_delay_alu instid0(VALU_DEP_1)
	s_and_saveexec_b32 s16, s20
	s_cbranch_execnz .LBB1643_115
.LBB1643_122:                           ;   in Loop: Header=BB1643_66 Depth=2
	s_or_b32 exec_lo, exec_lo, s16
	v_cmp_lt_u32_e64 s19, v31, v2
	s_delay_alu instid0(VALU_DEP_1)
	s_and_saveexec_b32 s16, s19
	s_cbranch_execz .LBB1643_116
.LBB1643_123:                           ;   in Loop: Header=BB1643_66 Depth=2
	ds_load_u8 v20, v35 offset:768
	s_waitcnt lgkmcnt(0)
	v_and_b32_e32 v21, 1, v20
	s_delay_alu instid0(VALU_DEP_1) | instskip(NEXT) | instid1(VALU_DEP_1)
	v_lshrrev_b32_e32 v21, s30, v21
	v_and_b32_e32 v21, s31, v21
	s_delay_alu instid0(VALU_DEP_1)
	v_lshlrev_b32_e32 v21, 2, v21
	ds_load_b32 v21, v21
	s_waitcnt lgkmcnt(0)
	v_add_nc_u32_e32 v21, v21, v31
	global_store_b8 v21, v20, s[38:39]
	s_or_b32 exec_lo, exec_lo, s16
	v_cmp_lt_u32_e64 s18, v35, v2
	s_delay_alu instid0(VALU_DEP_1)
	s_and_saveexec_b32 s16, s18
	s_cbranch_execnz .LBB1643_117
.LBB1643_124:                           ;   in Loop: Header=BB1643_66 Depth=2
	s_or_b32 exec_lo, exec_lo, s16
	v_cmp_lt_u32_e64 s17, v36, v2
	s_delay_alu instid0(VALU_DEP_1)
	s_and_saveexec_b32 s16, s17
	s_cbranch_execz .LBB1643_118
.LBB1643_125:                           ;   in Loop: Header=BB1643_66 Depth=2
	ds_load_u8 v20, v35 offset:1280
	s_waitcnt lgkmcnt(0)
	v_and_b32_e32 v21, 1, v20
	s_delay_alu instid0(VALU_DEP_1) | instskip(NEXT) | instid1(VALU_DEP_1)
	v_lshrrev_b32_e32 v21, s30, v21
	v_and_b32_e32 v21, s31, v21
	s_delay_alu instid0(VALU_DEP_1)
	v_lshlrev_b32_e32 v21, 2, v21
	ds_load_b32 v21, v21
	s_waitcnt lgkmcnt(0)
	v_add_nc_u32_e32 v21, v21, v36
	global_store_b8 v21, v20, s[38:39]
	s_or_b32 exec_lo, exec_lo, s16
	v_cmp_lt_u32_e64 s16, v37, v2
	s_delay_alu instid0(VALU_DEP_1)
	s_and_saveexec_b32 s23, s16
	s_cbranch_execnz .LBB1643_119
.LBB1643_126:                           ;   in Loop: Header=BB1643_66 Depth=2
	s_or_b32 exec_lo, exec_lo, s23
	v_cmp_lt_u32_e32 vcc_lo, v39, v2
	s_and_saveexec_b32 s23, vcc_lo
	s_cbranch_execz .LBB1643_128
.LBB1643_127:                           ;   in Loop: Header=BB1643_66 Depth=2
	ds_load_u8 v20, v35 offset:1792
	s_waitcnt lgkmcnt(0)
	v_and_b32_e32 v21, 1, v20
	s_delay_alu instid0(VALU_DEP_1) | instskip(NEXT) | instid1(VALU_DEP_1)
	v_lshrrev_b32_e32 v21, s30, v21
	v_and_b32_e32 v21, s31, v21
	s_delay_alu instid0(VALU_DEP_1)
	v_lshlrev_b32_e32 v21, 2, v21
	ds_load_b32 v21, v21
	s_waitcnt lgkmcnt(0)
	v_add_nc_u32_e32 v21, v21, v39
	global_store_b8 v21, v20, s[38:39]
.LBB1643_128:                           ;   in Loop: Header=BB1643_66 Depth=2
	s_or_b32 exec_lo, exec_lo, s23
	s_lshl_b64 s[52:53], s[24:25], 3
	s_delay_alu instid0(SALU_CYCLE_1) | instskip(NEXT) | instid1(VALU_DEP_1)
	v_add_co_u32 v20, s23, v71, s52
	v_add_co_ci_u32_e64 v21, s23, s53, v72, s23
	v_cmp_lt_u32_e64 s23, v70, v2
	s_delay_alu instid0(VALU_DEP_1) | instskip(NEXT) | instid1(SALU_CYCLE_1)
	s_and_saveexec_b32 s24, s23
	s_xor_b32 s23, exec_lo, s24
	s_cbranch_execz .LBB1643_144
; %bb.129:                              ;   in Loop: Header=BB1643_66 Depth=2
	global_load_b64 v[18:19], v[20:21], off
	s_or_b32 exec_lo, exec_lo, s23
	s_delay_alu instid0(SALU_CYCLE_1)
	s_mov_b32 s24, exec_lo
	v_cmpx_lt_u32_e64 v73, v2
	s_cbranch_execnz .LBB1643_145
.LBB1643_130:                           ;   in Loop: Header=BB1643_66 Depth=2
	s_or_b32 exec_lo, exec_lo, s24
	s_delay_alu instid0(SALU_CYCLE_1)
	s_mov_b32 s24, exec_lo
	v_cmpx_lt_u32_e64 v74, v2
	s_cbranch_execz .LBB1643_146
.LBB1643_131:                           ;   in Loop: Header=BB1643_66 Depth=2
	global_load_b64 v[14:15], v[20:21], off offset:512
	s_or_b32 exec_lo, exec_lo, s24
	s_delay_alu instid0(SALU_CYCLE_1)
	s_mov_b32 s24, exec_lo
	v_cmpx_lt_u32_e64 v75, v2
	s_cbranch_execnz .LBB1643_147
.LBB1643_132:                           ;   in Loop: Header=BB1643_66 Depth=2
	s_or_b32 exec_lo, exec_lo, s24
	s_delay_alu instid0(SALU_CYCLE_1)
	s_mov_b32 s24, exec_lo
	v_cmpx_lt_u32_e64 v76, v2
	s_cbranch_execz .LBB1643_148
.LBB1643_133:                           ;   in Loop: Header=BB1643_66 Depth=2
	global_load_b64 v[10:11], v[20:21], off offset:1024
	s_or_b32 exec_lo, exec_lo, s24
	s_delay_alu instid0(SALU_CYCLE_1)
	s_mov_b32 s24, exec_lo
	v_cmpx_lt_u32_e64 v77, v2
	s_cbranch_execnz .LBB1643_149
.LBB1643_134:                           ;   in Loop: Header=BB1643_66 Depth=2
	s_or_b32 exec_lo, exec_lo, s24
	s_delay_alu instid0(SALU_CYCLE_1)
	s_mov_b32 s24, exec_lo
	v_cmpx_lt_u32_e64 v78, v2
	s_cbranch_execz .LBB1643_150
.LBB1643_135:                           ;   in Loop: Header=BB1643_66 Depth=2
	global_load_b64 v[6:7], v[20:21], off offset:1536
	s_or_b32 exec_lo, exec_lo, s24
	s_delay_alu instid0(SALU_CYCLE_1)
	s_mov_b32 s24, exec_lo
	v_cmpx_lt_u32_e64 v79, v2
	s_cbranch_execnz .LBB1643_151
.LBB1643_136:                           ;   in Loop: Header=BB1643_66 Depth=2
	s_or_b32 exec_lo, exec_lo, s24
	s_and_saveexec_b32 s23, s22
	s_cbranch_execz .LBB1643_152
.LBB1643_137:                           ;   in Loop: Header=BB1643_66 Depth=2
	ds_load_u8 v2, v1 offset:1024
	s_waitcnt lgkmcnt(0)
	v_lshrrev_b32_e32 v2, s30, v2
	s_delay_alu instid0(VALU_DEP_1)
	v_and_b32_e32 v90, s31, v2
	s_or_b32 exec_lo, exec_lo, s23
	s_and_saveexec_b32 s23, s21
	s_cbranch_execnz .LBB1643_153
.LBB1643_138:                           ;   in Loop: Header=BB1643_66 Depth=2
	s_or_b32 exec_lo, exec_lo, s23
	s_and_saveexec_b32 s23, s20
	s_cbranch_execz .LBB1643_154
.LBB1643_139:                           ;   in Loop: Header=BB1643_66 Depth=2
	ds_load_u8 v2, v35 offset:512
	s_waitcnt lgkmcnt(0)
	v_lshrrev_b32_e32 v2, s30, v2
	s_delay_alu instid0(VALU_DEP_1)
	v_and_b32_e32 v88, s31, v2
	s_or_b32 exec_lo, exec_lo, s23
	s_and_saveexec_b32 s23, s19
	s_cbranch_execnz .LBB1643_155
.LBB1643_140:                           ;   in Loop: Header=BB1643_66 Depth=2
	s_or_b32 exec_lo, exec_lo, s23
	s_and_saveexec_b32 s23, s18
	s_cbranch_execz .LBB1643_156
.LBB1643_141:                           ;   in Loop: Header=BB1643_66 Depth=2
	ds_load_u8 v2, v35 offset:1024
	s_waitcnt lgkmcnt(0)
	v_lshrrev_b32_e32 v2, s30, v2
	s_delay_alu instid0(VALU_DEP_1)
	v_and_b32_e32 v86, s31, v2
	s_or_b32 exec_lo, exec_lo, s23
	s_and_saveexec_b32 s23, s17
	s_cbranch_execnz .LBB1643_157
.LBB1643_142:                           ;   in Loop: Header=BB1643_66 Depth=2
	s_or_b32 exec_lo, exec_lo, s23
	s_and_saveexec_b32 s23, s16
	s_cbranch_execz .LBB1643_158
.LBB1643_143:                           ;   in Loop: Header=BB1643_66 Depth=2
	ds_load_u8 v2, v35 offset:1536
	s_waitcnt lgkmcnt(0)
	v_lshrrev_b32_e32 v2, s30, v2
	s_delay_alu instid0(VALU_DEP_1)
	v_and_b32_e32 v84, s31, v2
	s_or_b32 exec_lo, exec_lo, s23
	s_and_saveexec_b32 s23, vcc_lo
	s_cbranch_execnz .LBB1643_159
	s_branch .LBB1643_160
.LBB1643_144:                           ;   in Loop: Header=BB1643_66 Depth=2
	s_or_b32 exec_lo, exec_lo, s23
	s_delay_alu instid0(SALU_CYCLE_1)
	s_mov_b32 s24, exec_lo
	v_cmpx_lt_u32_e64 v73, v2
	s_cbranch_execz .LBB1643_130
.LBB1643_145:                           ;   in Loop: Header=BB1643_66 Depth=2
	global_load_b64 v[16:17], v[20:21], off offset:256
	s_or_b32 exec_lo, exec_lo, s24
	s_delay_alu instid0(SALU_CYCLE_1)
	s_mov_b32 s24, exec_lo
	v_cmpx_lt_u32_e64 v74, v2
	s_cbranch_execnz .LBB1643_131
.LBB1643_146:                           ;   in Loop: Header=BB1643_66 Depth=2
	s_or_b32 exec_lo, exec_lo, s24
	s_delay_alu instid0(SALU_CYCLE_1)
	s_mov_b32 s24, exec_lo
	v_cmpx_lt_u32_e64 v75, v2
	s_cbranch_execz .LBB1643_132
.LBB1643_147:                           ;   in Loop: Header=BB1643_66 Depth=2
	global_load_b64 v[12:13], v[20:21], off offset:768
	s_or_b32 exec_lo, exec_lo, s24
	s_delay_alu instid0(SALU_CYCLE_1)
	s_mov_b32 s24, exec_lo
	v_cmpx_lt_u32_e64 v76, v2
	s_cbranch_execnz .LBB1643_133
.LBB1643_148:                           ;   in Loop: Header=BB1643_66 Depth=2
	s_or_b32 exec_lo, exec_lo, s24
	s_delay_alu instid0(SALU_CYCLE_1)
	s_mov_b32 s24, exec_lo
	v_cmpx_lt_u32_e64 v77, v2
	s_cbranch_execz .LBB1643_134
.LBB1643_149:                           ;   in Loop: Header=BB1643_66 Depth=2
	global_load_b64 v[8:9], v[20:21], off offset:1280
	s_or_b32 exec_lo, exec_lo, s24
	s_delay_alu instid0(SALU_CYCLE_1)
	s_mov_b32 s24, exec_lo
	v_cmpx_lt_u32_e64 v78, v2
	s_cbranch_execnz .LBB1643_135
.LBB1643_150:                           ;   in Loop: Header=BB1643_66 Depth=2
	s_or_b32 exec_lo, exec_lo, s24
	s_delay_alu instid0(SALU_CYCLE_1)
	s_mov_b32 s24, exec_lo
	v_cmpx_lt_u32_e64 v79, v2
	s_cbranch_execz .LBB1643_136
.LBB1643_151:                           ;   in Loop: Header=BB1643_66 Depth=2
	global_load_b64 v[4:5], v[20:21], off offset:1792
	s_or_b32 exec_lo, exec_lo, s24
	s_and_saveexec_b32 s23, s22
	s_cbranch_execnz .LBB1643_137
.LBB1643_152:                           ;   in Loop: Header=BB1643_66 Depth=2
	s_or_b32 exec_lo, exec_lo, s23
	s_and_saveexec_b32 s23, s21
	s_cbranch_execz .LBB1643_138
.LBB1643_153:                           ;   in Loop: Header=BB1643_66 Depth=2
	ds_load_u8 v2, v35 offset:256
	s_waitcnt lgkmcnt(0)
	v_lshrrev_b32_e32 v2, s30, v2
	s_delay_alu instid0(VALU_DEP_1)
	v_and_b32_e32 v89, s31, v2
	s_or_b32 exec_lo, exec_lo, s23
	s_and_saveexec_b32 s23, s20
	s_cbranch_execnz .LBB1643_139
.LBB1643_154:                           ;   in Loop: Header=BB1643_66 Depth=2
	s_or_b32 exec_lo, exec_lo, s23
	s_and_saveexec_b32 s23, s19
	s_cbranch_execz .LBB1643_140
.LBB1643_155:                           ;   in Loop: Header=BB1643_66 Depth=2
	ds_load_u8 v2, v35 offset:768
	s_waitcnt lgkmcnt(0)
	v_lshrrev_b32_e32 v2, s30, v2
	s_delay_alu instid0(VALU_DEP_1)
	v_and_b32_e32 v87, s31, v2
	s_or_b32 exec_lo, exec_lo, s23
	s_and_saveexec_b32 s23, s18
	s_cbranch_execnz .LBB1643_141
.LBB1643_156:                           ;   in Loop: Header=BB1643_66 Depth=2
	s_or_b32 exec_lo, exec_lo, s23
	s_and_saveexec_b32 s23, s17
	s_cbranch_execz .LBB1643_142
.LBB1643_157:                           ;   in Loop: Header=BB1643_66 Depth=2
	ds_load_u8 v2, v35 offset:1280
	s_waitcnt lgkmcnt(0)
	v_lshrrev_b32_e32 v2, s30, v2
	s_delay_alu instid0(VALU_DEP_1)
	v_and_b32_e32 v85, s31, v2
	s_or_b32 exec_lo, exec_lo, s23
	s_and_saveexec_b32 s23, s16
	s_cbranch_execnz .LBB1643_143
.LBB1643_158:                           ;   in Loop: Header=BB1643_66 Depth=2
	s_or_b32 exec_lo, exec_lo, s23
	s_and_saveexec_b32 s23, vcc_lo
	s_cbranch_execz .LBB1643_160
.LBB1643_159:                           ;   in Loop: Header=BB1643_66 Depth=2
	ds_load_u8 v2, v35 offset:1792
	s_waitcnt lgkmcnt(0)
	v_lshrrev_b32_e32 v2, s30, v2
	s_delay_alu instid0(VALU_DEP_1)
	v_and_b32_e32 v83, s31, v2
.LBB1643_160:                           ;   in Loop: Header=BB1643_66 Depth=2
	s_or_b32 exec_lo, exec_lo, s23
	v_lshlrev_b32_e32 v2, 3, v103
	v_lshlrev_b32_e32 v20, 3, v100
	;; [unrolled: 1-line block ×3, first 2 shown]
	s_waitcnt vmcnt(0)
	s_waitcnt_vscnt null, 0x0
	s_barrier
	buffer_gl0_inv
	ds_store_b64 v2, v[18:19] offset:1024
	ds_store_b64 v20, v[16:17] offset:1024
	;; [unrolled: 1-line block ×3, first 2 shown]
	v_lshlrev_b32_e32 v2, 3, v27
	v_lshlrev_b32_e32 v20, 3, v26
	;; [unrolled: 1-line block ×5, first 2 shown]
	ds_store_b64 v2, v[12:13] offset:1024
	ds_store_b64 v20, v[10:11] offset:1024
	ds_store_b64 v21, v[8:9] offset:1024
	ds_store_b64 v24, v[6:7] offset:1024
	ds_store_b64 v23, v[4:5] offset:1024
	s_waitcnt lgkmcnt(0)
	s_barrier
	buffer_gl0_inv
	s_and_saveexec_b32 s23, s22
	s_cbranch_execz .LBB1643_168
; %bb.161:                              ;   in Loop: Header=BB1643_66 Depth=2
	v_lshlrev_b32_e32 v2, 2, v90
	v_add_nc_u32_e32 v20, v1, v52
	ds_load_b32 v2, v2
	ds_load_b64 v[20:21], v20 offset:1024
	s_waitcnt lgkmcnt(1)
	v_add_nc_u32_e32 v2, v2, v1
	s_delay_alu instid0(VALU_DEP_1) | instskip(NEXT) | instid1(VALU_DEP_1)
	v_lshlrev_b64 v[23:24], 3, v[2:3]
	v_add_co_u32 v23, s22, s44, v23
	s_delay_alu instid0(VALU_DEP_1)
	v_add_co_ci_u32_e64 v24, s22, s45, v24, s22
	s_waitcnt lgkmcnt(0)
	global_store_b64 v[23:24], v[20:21], off
	s_or_b32 exec_lo, exec_lo, s23
	s_and_saveexec_b32 s22, s21
	s_cbranch_execnz .LBB1643_169
.LBB1643_162:                           ;   in Loop: Header=BB1643_66 Depth=2
	s_or_b32 exec_lo, exec_lo, s22
	s_and_saveexec_b32 s21, s20
	s_cbranch_execz .LBB1643_170
.LBB1643_163:                           ;   in Loop: Header=BB1643_66 Depth=2
	v_lshlrev_b32_e32 v2, 2, v88
	v_add_nc_u32_e32 v20, v35, v52
	ds_load_b32 v2, v2
	ds_load_b64 v[20:21], v20 offset:4096
	s_waitcnt lgkmcnt(1)
	v_add_nc_u32_e32 v2, v2, v30
	s_delay_alu instid0(VALU_DEP_1) | instskip(NEXT) | instid1(VALU_DEP_1)
	v_lshlrev_b64 v[23:24], 3, v[2:3]
	v_add_co_u32 v23, s20, s44, v23
	s_delay_alu instid0(VALU_DEP_1)
	v_add_co_ci_u32_e64 v24, s20, s45, v24, s20
	s_waitcnt lgkmcnt(0)
	global_store_b64 v[23:24], v[20:21], off
	s_or_b32 exec_lo, exec_lo, s21
	s_and_saveexec_b32 s20, s19
	s_cbranch_execnz .LBB1643_171
.LBB1643_164:                           ;   in Loop: Header=BB1643_66 Depth=2
	s_or_b32 exec_lo, exec_lo, s20
	s_and_saveexec_b32 s19, s18
	s_cbranch_execz .LBB1643_172
.LBB1643_165:                           ;   in Loop: Header=BB1643_66 Depth=2
	v_lshlrev_b32_e32 v2, 2, v86
	v_add_nc_u32_e32 v20, v35, v52
	ds_load_b32 v2, v2
	ds_load_b64 v[20:21], v20 offset:8192
	s_waitcnt lgkmcnt(1)
	v_add_nc_u32_e32 v2, v2, v35
	s_delay_alu instid0(VALU_DEP_1) | instskip(NEXT) | instid1(VALU_DEP_1)
	v_lshlrev_b64 v[23:24], 3, v[2:3]
	v_add_co_u32 v23, s18, s44, v23
	s_delay_alu instid0(VALU_DEP_1)
	v_add_co_ci_u32_e64 v24, s18, s45, v24, s18
	s_waitcnt lgkmcnt(0)
	global_store_b64 v[23:24], v[20:21], off
	s_or_b32 exec_lo, exec_lo, s19
	s_and_saveexec_b32 s18, s17
	s_cbranch_execnz .LBB1643_173
.LBB1643_166:                           ;   in Loop: Header=BB1643_66 Depth=2
	s_or_b32 exec_lo, exec_lo, s18
	s_and_saveexec_b32 s17, s16
	s_cbranch_execz .LBB1643_174
.LBB1643_167:                           ;   in Loop: Header=BB1643_66 Depth=2
	v_lshlrev_b32_e32 v2, 2, v84
	v_add_nc_u32_e32 v20, v35, v52
	ds_load_b32 v2, v2
	ds_load_b64 v[20:21], v20 offset:12288
	s_waitcnt lgkmcnt(1)
	v_add_nc_u32_e32 v2, v2, v37
	s_delay_alu instid0(VALU_DEP_1) | instskip(NEXT) | instid1(VALU_DEP_1)
	v_lshlrev_b64 v[23:24], 3, v[2:3]
	v_add_co_u32 v23, s16, s44, v23
	s_delay_alu instid0(VALU_DEP_1)
	v_add_co_ci_u32_e64 v24, s16, s45, v24, s16
	s_waitcnt lgkmcnt(0)
	global_store_b64 v[23:24], v[20:21], off
	s_or_b32 exec_lo, exec_lo, s17
	s_and_saveexec_b32 s16, vcc_lo
	s_cbranch_execnz .LBB1643_175
	s_branch .LBB1643_176
.LBB1643_168:                           ;   in Loop: Header=BB1643_66 Depth=2
	s_or_b32 exec_lo, exec_lo, s23
	s_and_saveexec_b32 s22, s21
	s_cbranch_execz .LBB1643_162
.LBB1643_169:                           ;   in Loop: Header=BB1643_66 Depth=2
	v_lshlrev_b32_e32 v2, 2, v89
	v_add_nc_u32_e32 v20, v35, v52
	ds_load_b32 v2, v2
	ds_load_b64 v[20:21], v20 offset:2048
	s_waitcnt lgkmcnt(1)
	v_add_nc_u32_e32 v2, v2, v29
	s_delay_alu instid0(VALU_DEP_1) | instskip(NEXT) | instid1(VALU_DEP_1)
	v_lshlrev_b64 v[23:24], 3, v[2:3]
	v_add_co_u32 v23, s21, s44, v23
	s_delay_alu instid0(VALU_DEP_1)
	v_add_co_ci_u32_e64 v24, s21, s45, v24, s21
	s_waitcnt lgkmcnt(0)
	global_store_b64 v[23:24], v[20:21], off
	s_or_b32 exec_lo, exec_lo, s22
	s_and_saveexec_b32 s21, s20
	s_cbranch_execnz .LBB1643_163
.LBB1643_170:                           ;   in Loop: Header=BB1643_66 Depth=2
	s_or_b32 exec_lo, exec_lo, s21
	s_and_saveexec_b32 s20, s19
	s_cbranch_execz .LBB1643_164
.LBB1643_171:                           ;   in Loop: Header=BB1643_66 Depth=2
	v_lshlrev_b32_e32 v2, 2, v87
	v_add_nc_u32_e32 v20, v35, v52
	ds_load_b32 v2, v2
	ds_load_b64 v[20:21], v20 offset:6144
	s_waitcnt lgkmcnt(1)
	v_add_nc_u32_e32 v2, v2, v31
	s_delay_alu instid0(VALU_DEP_1) | instskip(NEXT) | instid1(VALU_DEP_1)
	v_lshlrev_b64 v[23:24], 3, v[2:3]
	v_add_co_u32 v23, s19, s44, v23
	s_delay_alu instid0(VALU_DEP_1)
	v_add_co_ci_u32_e64 v24, s19, s45, v24, s19
	s_waitcnt lgkmcnt(0)
	global_store_b64 v[23:24], v[20:21], off
	s_or_b32 exec_lo, exec_lo, s20
	s_and_saveexec_b32 s19, s18
	s_cbranch_execnz .LBB1643_165
.LBB1643_172:                           ;   in Loop: Header=BB1643_66 Depth=2
	s_or_b32 exec_lo, exec_lo, s19
	s_and_saveexec_b32 s18, s17
	s_cbranch_execz .LBB1643_166
.LBB1643_173:                           ;   in Loop: Header=BB1643_66 Depth=2
	v_lshlrev_b32_e32 v2, 2, v85
	v_add_nc_u32_e32 v20, v35, v52
	ds_load_b32 v2, v2
	ds_load_b64 v[20:21], v20 offset:10240
	s_waitcnt lgkmcnt(1)
	v_add_nc_u32_e32 v2, v2, v36
	s_delay_alu instid0(VALU_DEP_1) | instskip(NEXT) | instid1(VALU_DEP_1)
	v_lshlrev_b64 v[23:24], 3, v[2:3]
	v_add_co_u32 v23, s17, s44, v23
	s_delay_alu instid0(VALU_DEP_1)
	v_add_co_ci_u32_e64 v24, s17, s45, v24, s17
	s_waitcnt lgkmcnt(0)
	global_store_b64 v[23:24], v[20:21], off
	s_or_b32 exec_lo, exec_lo, s18
	s_and_saveexec_b32 s17, s16
	s_cbranch_execnz .LBB1643_167
.LBB1643_174:                           ;   in Loop: Header=BB1643_66 Depth=2
	s_or_b32 exec_lo, exec_lo, s17
	s_and_saveexec_b32 s16, vcc_lo
	s_cbranch_execz .LBB1643_176
.LBB1643_175:                           ;   in Loop: Header=BB1643_66 Depth=2
	v_lshlrev_b32_e32 v2, 2, v83
	v_add_nc_u32_e32 v20, v35, v52
	ds_load_b32 v2, v2
	ds_load_b64 v[20:21], v20 offset:14336
	s_waitcnt lgkmcnt(1)
	v_add_nc_u32_e32 v2, v2, v39
	s_delay_alu instid0(VALU_DEP_1) | instskip(NEXT) | instid1(VALU_DEP_1)
	v_lshlrev_b64 v[23:24], 3, v[2:3]
	v_add_co_u32 v23, vcc_lo, s44, v23
	s_delay_alu instid0(VALU_DEP_2)
	v_add_co_ci_u32_e32 v24, vcc_lo, s45, v24, vcc_lo
	s_waitcnt lgkmcnt(0)
	global_store_b64 v[23:24], v[20:21], off
.LBB1643_176:                           ;   in Loop: Header=BB1643_66 Depth=2
	s_or_b32 exec_lo, exec_lo, s16
	s_waitcnt_vscnt null, 0x0
	s_barrier
	buffer_gl0_inv
	s_and_saveexec_b32 s16, s2
	s_cbranch_execz .LBB1643_65
; %bb.177:                              ;   in Loop: Header=BB1643_66 Depth=2
	ds_load_b32 v2, v28
	s_waitcnt lgkmcnt(0)
	v_add_nc_u32_e32 v2, v2, v22
	ds_store_b32 v28, v2
	s_branch .LBB1643_65
.LBB1643_178:                           ;   in Loop: Header=BB1643_12 Depth=1
	s_waitcnt lgkmcnt(0)
	s_mov_b32 s0, 0
	s_barrier
.LBB1643_179:                           ;   in Loop: Header=BB1643_12 Depth=1
	s_and_b32 vcc_lo, exec_lo, s0
	s_cbranch_vccz .LBB1643_345
; %bb.180:                              ;   in Loop: Header=BB1643_12 Depth=1
	s_mov_b32 s0, s35
	s_mov_b32 s9, s27
	s_barrier
	buffer_gl0_inv
                                        ; implicit-def: $vgpr2
                                        ; implicit-def: $vgpr6
                                        ; implicit-def: $vgpr7
                                        ; implicit-def: $vgpr8
                                        ; implicit-def: $vgpr9
                                        ; implicit-def: $vgpr10
                                        ; implicit-def: $vgpr11
                                        ; implicit-def: $vgpr12
	s_branch .LBB1643_182
.LBB1643_181:                           ;   in Loop: Header=BB1643_182 Depth=2
	s_or_b32 exec_lo, exec_lo, s8
	s_addk_i32 s0, 0xf800
	s_cmp_ge_u32 s1, s33
	s_mov_b32 s9, s1
	s_cbranch_scc1 .LBB1643_220
.LBB1643_182:                           ;   Parent Loop BB1643_12 Depth=1
                                        ; =>  This Inner Loop Header: Depth=2
	s_add_i32 s1, s9, 0x800
	s_delay_alu instid0(SALU_CYCLE_1)
	s_cmp_gt_u32 s1, s33
	s_cbranch_scc1 .LBB1643_185
; %bb.183:                              ;   in Loop: Header=BB1643_182 Depth=2
	v_add_co_u32 v4, vcc_lo, v53, s9
	v_add_co_ci_u32_e32 v5, vcc_lo, 0, v54, vcc_lo
	s_mov_b32 s8, -1
	s_movk_i32 s12, 0x800
	s_clause 0x6
	global_load_u8 v20, v[4:5], off offset:1536
	global_load_u8 v19, v[4:5], off offset:1280
	;; [unrolled: 1-line block ×6, first 2 shown]
	global_load_u8 v14, v[4:5], off
	v_add_co_u32 v4, vcc_lo, 0x700, v4
	v_add_co_ci_u32_e32 v5, vcc_lo, 0, v5, vcc_lo
	s_cbranch_execz .LBB1643_186
; %bb.184:                              ;   in Loop: Header=BB1643_182 Depth=2
                                        ; implicit-def: $vgpr2
                                        ; implicit-def: $vgpr6
                                        ; implicit-def: $vgpr7
                                        ; implicit-def: $vgpr8
                                        ; implicit-def: $vgpr9
                                        ; implicit-def: $vgpr10
                                        ; implicit-def: $vgpr11
                                        ; implicit-def: $vgpr12
	v_mov_b32_e32 v13, s0
	s_and_saveexec_b32 s9, s8
	s_cbranch_execnz .LBB1643_197
	s_branch .LBB1643_198
.LBB1643_185:                           ;   in Loop: Header=BB1643_182 Depth=2
	s_mov_b32 s8, 0
                                        ; implicit-def: $sgpr12
                                        ; implicit-def: $vgpr14
                                        ; implicit-def: $vgpr15
                                        ; implicit-def: $vgpr16
                                        ; implicit-def: $vgpr17
                                        ; implicit-def: $vgpr18
                                        ; implicit-def: $vgpr19
                                        ; implicit-def: $vgpr20
                                        ; implicit-def: $vgpr4_vgpr5
.LBB1643_186:                           ;   in Loop: Header=BB1643_182 Depth=2
	s_add_u32 s10, s38, s9
	s_addc_u32 s11, s39, 0
	s_mov_b32 s12, exec_lo
	v_cmpx_gt_u32_e64 s0, v1
	s_cbranch_execz .LBB1643_214
; %bb.187:                              ;   in Loop: Header=BB1643_182 Depth=2
	v_add_co_u32 v4, s13, s10, v1
	s_delay_alu instid0(VALU_DEP_1) | instskip(SKIP_2) | instid1(SALU_CYCLE_1)
	v_add_co_ci_u32_e64 v5, null, s11, 0, s13
	global_load_u8 v2, v[4:5], off
	s_or_b32 exec_lo, exec_lo, s12
	s_mov_b32 s12, exec_lo
	v_cmpx_gt_u32_e64 s0, v29
	s_cbranch_execnz .LBB1643_215
.LBB1643_188:                           ;   in Loop: Header=BB1643_182 Depth=2
	s_or_b32 exec_lo, exec_lo, s12
	s_delay_alu instid0(SALU_CYCLE_1)
	s_mov_b32 s12, exec_lo
	v_cmpx_gt_u32_e64 s0, v30
	s_cbranch_execz .LBB1643_216
.LBB1643_189:                           ;   in Loop: Header=BB1643_182 Depth=2
	v_add_co_u32 v4, s13, s10, v1
	s_delay_alu instid0(VALU_DEP_1) | instskip(SKIP_2) | instid1(SALU_CYCLE_1)
	v_add_co_ci_u32_e64 v5, null, s11, 0, s13
	global_load_u8 v7, v[4:5], off offset:512
	s_or_b32 exec_lo, exec_lo, s12
	s_mov_b32 s12, exec_lo
	v_cmpx_gt_u32_e64 s0, v31
	s_cbranch_execnz .LBB1643_217
.LBB1643_190:                           ;   in Loop: Header=BB1643_182 Depth=2
	s_or_b32 exec_lo, exec_lo, s12
	s_delay_alu instid0(SALU_CYCLE_1)
	s_mov_b32 s12, exec_lo
	v_cmpx_gt_u32_e64 s0, v35
	s_cbranch_execz .LBB1643_218
.LBB1643_191:                           ;   in Loop: Header=BB1643_182 Depth=2
	v_add_co_u32 v4, s13, s10, v1
	s_delay_alu instid0(VALU_DEP_1) | instskip(SKIP_2) | instid1(SALU_CYCLE_1)
	v_add_co_ci_u32_e64 v5, null, s11, 0, s13
	global_load_u8 v9, v[4:5], off offset:1024
	s_or_b32 exec_lo, exec_lo, s12
	s_mov_b32 s12, exec_lo
	v_cmpx_gt_u32_e64 s0, v36
	s_cbranch_execnz .LBB1643_219
.LBB1643_192:                           ;   in Loop: Header=BB1643_182 Depth=2
	s_or_b32 exec_lo, exec_lo, s12
	s_delay_alu instid0(SALU_CYCLE_1)
	s_mov_b32 s12, exec_lo
	v_cmpx_gt_u32_e64 s0, v37
	s_cbranch_execz .LBB1643_194
.LBB1643_193:                           ;   in Loop: Header=BB1643_182 Depth=2
	v_add_co_u32 v4, s13, s10, v1
	s_delay_alu instid0(VALU_DEP_1)
	v_add_co_ci_u32_e64 v5, null, s11, 0, s13
	global_load_u8 v11, v[4:5], off offset:1536
.LBB1643_194:                           ;   in Loop: Header=BB1643_182 Depth=2
	s_or_b32 exec_lo, exec_lo, s12
	s_delay_alu instid0(SALU_CYCLE_1)
	s_mov_b32 s13, exec_lo
                                        ; implicit-def: $sgpr12
                                        ; implicit-def: $vgpr4_vgpr5
	v_cmpx_gt_u32_e64 s0, v39
; %bb.195:                              ;   in Loop: Header=BB1643_182 Depth=2
	v_add_co_u32 v4, s10, s10, v1
	s_delay_alu instid0(VALU_DEP_1) | instskip(SKIP_1) | instid1(VALU_DEP_2)
	v_add_co_ci_u32_e64 v5, null, s11, 0, s10
	s_sub_i32 s12, s33, s9
	v_add_co_u32 v4, vcc_lo, 0x700, v4
	s_delay_alu instid0(VALU_DEP_2)
	v_add_co_ci_u32_e32 v5, vcc_lo, 0, v5, vcc_lo
	s_or_b32 s8, s8, exec_lo
                                        ; implicit-def: $vgpr12
; %bb.196:                              ;   in Loop: Header=BB1643_182 Depth=2
	s_or_b32 exec_lo, exec_lo, s13
	s_waitcnt vmcnt(0)
	v_dual_mov_b32 v14, v2 :: v_dual_mov_b32 v17, v8
	v_dual_mov_b32 v15, v6 :: v_dual_mov_b32 v16, v7
	;; [unrolled: 1-line block ×4, first 2 shown]
	s_and_saveexec_b32 s9, s8
	s_cbranch_execz .LBB1643_198
.LBB1643_197:                           ;   in Loop: Header=BB1643_182 Depth=2
	global_load_u8 v12, v[4:5], off
	s_waitcnt vmcnt(1)
	v_dual_mov_b32 v13, s12 :: v_dual_mov_b32 v2, v14
	v_dual_mov_b32 v6, v15 :: v_dual_mov_b32 v7, v16
	;; [unrolled: 1-line block ×4, first 2 shown]
.LBB1643_198:                           ;   in Loop: Header=BB1643_182 Depth=2
	s_or_b32 exec_lo, exec_lo, s9
	s_delay_alu instid0(SALU_CYCLE_1)
	s_mov_b32 s8, exec_lo
	v_cmpx_lt_u32_e64 v1, v13
	s_cbranch_execz .LBB1643_206
; %bb.199:                              ;   in Loop: Header=BB1643_182 Depth=2
	v_and_b32_e32 v4, 1, v2
	v_lshlrev_b32_e32 v5, 2, v32
	s_delay_alu instid0(VALU_DEP_2) | instskip(NEXT) | instid1(VALU_DEP_1)
	v_lshrrev_b32_e32 v4, s30, v4
	v_and_b32_e32 v4, s31, v4
	s_delay_alu instid0(VALU_DEP_1) | instskip(SKIP_2) | instid1(SALU_CYCLE_1)
	v_lshl_or_b32 v4, v4, 4, v5
	ds_add_u32 v4, v66
	s_or_b32 exec_lo, exec_lo, s8
	s_mov_b32 s8, exec_lo
	v_cmpx_lt_u32_e64 v29, v13
	s_cbranch_execnz .LBB1643_207
.LBB1643_200:                           ;   in Loop: Header=BB1643_182 Depth=2
	s_or_b32 exec_lo, exec_lo, s8
	s_delay_alu instid0(SALU_CYCLE_1)
	s_mov_b32 s8, exec_lo
	v_cmpx_lt_u32_e64 v30, v13
	s_cbranch_execz .LBB1643_208
.LBB1643_201:                           ;   in Loop: Header=BB1643_182 Depth=2
	v_and_b32_e32 v4, 1, v7
	v_lshlrev_b32_e32 v5, 2, v32
	s_delay_alu instid0(VALU_DEP_2) | instskip(NEXT) | instid1(VALU_DEP_1)
	v_lshrrev_b32_e32 v4, s30, v4
	v_and_b32_e32 v4, s31, v4
	s_delay_alu instid0(VALU_DEP_1) | instskip(SKIP_2) | instid1(SALU_CYCLE_1)
	v_lshl_or_b32 v4, v4, 4, v5
	ds_add_u32 v4, v66
	s_or_b32 exec_lo, exec_lo, s8
	s_mov_b32 s8, exec_lo
	v_cmpx_lt_u32_e64 v31, v13
	s_cbranch_execnz .LBB1643_209
.LBB1643_202:                           ;   in Loop: Header=BB1643_182 Depth=2
	s_or_b32 exec_lo, exec_lo, s8
	s_delay_alu instid0(SALU_CYCLE_1)
	s_mov_b32 s8, exec_lo
	v_cmpx_lt_u32_e64 v35, v13
	s_cbranch_execz .LBB1643_210
.LBB1643_203:                           ;   in Loop: Header=BB1643_182 Depth=2
	v_and_b32_e32 v4, 1, v9
	v_lshlrev_b32_e32 v5, 2, v32
	s_delay_alu instid0(VALU_DEP_2) | instskip(NEXT) | instid1(VALU_DEP_1)
	v_lshrrev_b32_e32 v4, s30, v4
	v_and_b32_e32 v4, s31, v4
	s_delay_alu instid0(VALU_DEP_1) | instskip(SKIP_2) | instid1(SALU_CYCLE_1)
	v_lshl_or_b32 v4, v4, 4, v5
	ds_add_u32 v4, v66
	s_or_b32 exec_lo, exec_lo, s8
	s_mov_b32 s8, exec_lo
	v_cmpx_lt_u32_e64 v36, v13
	s_cbranch_execnz .LBB1643_211
.LBB1643_204:                           ;   in Loop: Header=BB1643_182 Depth=2
	s_or_b32 exec_lo, exec_lo, s8
	s_delay_alu instid0(SALU_CYCLE_1)
	s_mov_b32 s8, exec_lo
	v_cmpx_lt_u32_e64 v37, v13
	s_cbranch_execz .LBB1643_212
.LBB1643_205:                           ;   in Loop: Header=BB1643_182 Depth=2
	v_and_b32_e32 v4, 1, v11
	v_lshlrev_b32_e32 v5, 2, v32
	s_delay_alu instid0(VALU_DEP_2) | instskip(NEXT) | instid1(VALU_DEP_1)
	v_lshrrev_b32_e32 v4, s30, v4
	v_and_b32_e32 v4, s31, v4
	s_delay_alu instid0(VALU_DEP_1) | instskip(SKIP_2) | instid1(SALU_CYCLE_1)
	v_lshl_or_b32 v4, v4, 4, v5
	ds_add_u32 v4, v66
	s_or_b32 exec_lo, exec_lo, s8
	s_mov_b32 s8, exec_lo
	v_cmpx_lt_u32_e64 v39, v13
	s_cbranch_execz .LBB1643_181
	s_branch .LBB1643_213
.LBB1643_206:                           ;   in Loop: Header=BB1643_182 Depth=2
	s_or_b32 exec_lo, exec_lo, s8
	s_delay_alu instid0(SALU_CYCLE_1)
	s_mov_b32 s8, exec_lo
	v_cmpx_lt_u32_e64 v29, v13
	s_cbranch_execz .LBB1643_200
.LBB1643_207:                           ;   in Loop: Header=BB1643_182 Depth=2
	v_and_b32_e32 v4, 1, v6
	v_lshlrev_b32_e32 v5, 2, v32
	s_delay_alu instid0(VALU_DEP_2) | instskip(NEXT) | instid1(VALU_DEP_1)
	v_lshrrev_b32_e32 v4, s30, v4
	v_and_b32_e32 v4, s31, v4
	s_delay_alu instid0(VALU_DEP_1) | instskip(SKIP_2) | instid1(SALU_CYCLE_1)
	v_lshl_or_b32 v4, v4, 4, v5
	ds_add_u32 v4, v66
	s_or_b32 exec_lo, exec_lo, s8
	s_mov_b32 s8, exec_lo
	v_cmpx_lt_u32_e64 v30, v13
	s_cbranch_execnz .LBB1643_201
.LBB1643_208:                           ;   in Loop: Header=BB1643_182 Depth=2
	s_or_b32 exec_lo, exec_lo, s8
	s_delay_alu instid0(SALU_CYCLE_1)
	s_mov_b32 s8, exec_lo
	v_cmpx_lt_u32_e64 v31, v13
	s_cbranch_execz .LBB1643_202
.LBB1643_209:                           ;   in Loop: Header=BB1643_182 Depth=2
	v_and_b32_e32 v4, 1, v8
	v_lshlrev_b32_e32 v5, 2, v32
	s_delay_alu instid0(VALU_DEP_2) | instskip(NEXT) | instid1(VALU_DEP_1)
	v_lshrrev_b32_e32 v4, s30, v4
	v_and_b32_e32 v4, s31, v4
	s_delay_alu instid0(VALU_DEP_1) | instskip(SKIP_2) | instid1(SALU_CYCLE_1)
	v_lshl_or_b32 v4, v4, 4, v5
	ds_add_u32 v4, v66
	s_or_b32 exec_lo, exec_lo, s8
	s_mov_b32 s8, exec_lo
	v_cmpx_lt_u32_e64 v35, v13
	s_cbranch_execnz .LBB1643_203
.LBB1643_210:                           ;   in Loop: Header=BB1643_182 Depth=2
	s_or_b32 exec_lo, exec_lo, s8
	s_delay_alu instid0(SALU_CYCLE_1)
	s_mov_b32 s8, exec_lo
	v_cmpx_lt_u32_e64 v36, v13
	s_cbranch_execz .LBB1643_204
.LBB1643_211:                           ;   in Loop: Header=BB1643_182 Depth=2
	v_and_b32_e32 v4, 1, v10
	v_lshlrev_b32_e32 v5, 2, v32
	s_delay_alu instid0(VALU_DEP_2) | instskip(NEXT) | instid1(VALU_DEP_1)
	v_lshrrev_b32_e32 v4, s30, v4
	v_and_b32_e32 v4, s31, v4
	s_delay_alu instid0(VALU_DEP_1) | instskip(SKIP_2) | instid1(SALU_CYCLE_1)
	v_lshl_or_b32 v4, v4, 4, v5
	ds_add_u32 v4, v66
	s_or_b32 exec_lo, exec_lo, s8
	s_mov_b32 s8, exec_lo
	v_cmpx_lt_u32_e64 v37, v13
	s_cbranch_execnz .LBB1643_205
.LBB1643_212:                           ;   in Loop: Header=BB1643_182 Depth=2
	s_or_b32 exec_lo, exec_lo, s8
	s_delay_alu instid0(SALU_CYCLE_1)
	s_mov_b32 s8, exec_lo
	v_cmpx_lt_u32_e64 v39, v13
	s_cbranch_execz .LBB1643_181
.LBB1643_213:                           ;   in Loop: Header=BB1643_182 Depth=2
	s_waitcnt vmcnt(0)
	v_and_b32_e32 v4, 1, v12
	v_lshlrev_b32_e32 v5, 2, v32
	s_delay_alu instid0(VALU_DEP_2) | instskip(NEXT) | instid1(VALU_DEP_1)
	v_lshrrev_b32_e32 v4, s30, v4
	v_and_b32_e32 v4, s31, v4
	s_delay_alu instid0(VALU_DEP_1)
	v_lshl_or_b32 v4, v4, 4, v5
	ds_add_u32 v4, v66
	s_branch .LBB1643_181
.LBB1643_214:                           ;   in Loop: Header=BB1643_182 Depth=2
	s_or_b32 exec_lo, exec_lo, s12
	s_delay_alu instid0(SALU_CYCLE_1)
	s_mov_b32 s12, exec_lo
	v_cmpx_gt_u32_e64 s0, v29
	s_cbranch_execz .LBB1643_188
.LBB1643_215:                           ;   in Loop: Header=BB1643_182 Depth=2
	v_add_co_u32 v4, s13, s10, v1
	s_delay_alu instid0(VALU_DEP_1) | instskip(SKIP_2) | instid1(SALU_CYCLE_1)
	v_add_co_ci_u32_e64 v5, null, s11, 0, s13
	global_load_u8 v6, v[4:5], off offset:256
	s_or_b32 exec_lo, exec_lo, s12
	s_mov_b32 s12, exec_lo
	v_cmpx_gt_u32_e64 s0, v30
	s_cbranch_execnz .LBB1643_189
.LBB1643_216:                           ;   in Loop: Header=BB1643_182 Depth=2
	s_or_b32 exec_lo, exec_lo, s12
	s_delay_alu instid0(SALU_CYCLE_1)
	s_mov_b32 s12, exec_lo
	v_cmpx_gt_u32_e64 s0, v31
	s_cbranch_execz .LBB1643_190
.LBB1643_217:                           ;   in Loop: Header=BB1643_182 Depth=2
	v_add_co_u32 v4, s13, s10, v1
	s_delay_alu instid0(VALU_DEP_1) | instskip(SKIP_2) | instid1(SALU_CYCLE_1)
	v_add_co_ci_u32_e64 v5, null, s11, 0, s13
	global_load_u8 v8, v[4:5], off offset:768
	s_or_b32 exec_lo, exec_lo, s12
	s_mov_b32 s12, exec_lo
	v_cmpx_gt_u32_e64 s0, v35
	s_cbranch_execnz .LBB1643_191
.LBB1643_218:                           ;   in Loop: Header=BB1643_182 Depth=2
	s_or_b32 exec_lo, exec_lo, s12
	s_delay_alu instid0(SALU_CYCLE_1)
	s_mov_b32 s12, exec_lo
	v_cmpx_gt_u32_e64 s0, v36
	s_cbranch_execz .LBB1643_192
.LBB1643_219:                           ;   in Loop: Header=BB1643_182 Depth=2
	v_add_co_u32 v4, s13, s10, v1
	s_delay_alu instid0(VALU_DEP_1) | instskip(SKIP_2) | instid1(SALU_CYCLE_1)
	v_add_co_ci_u32_e64 v5, null, s11, 0, s13
	global_load_u8 v10, v[4:5], off offset:1280
	s_or_b32 exec_lo, exec_lo, s12
	s_mov_b32 s12, exec_lo
	v_cmpx_gt_u32_e64 s0, v37
	s_cbranch_execz .LBB1643_194
	s_branch .LBB1643_193
.LBB1643_220:                           ;   in Loop: Header=BB1643_12 Depth=1
	v_mov_b32_e32 v2, 0
	s_waitcnt vmcnt(0) lgkmcnt(0)
	s_barrier
	buffer_gl0_inv
	s_and_saveexec_b32 s0, s2
	s_cbranch_execz .LBB1643_222
; %bb.221:                              ;   in Loop: Header=BB1643_12 Depth=1
	ds_load_2addr_b64 v[4:7], v40 offset1:1
	s_waitcnt lgkmcnt(0)
	v_add_nc_u32_e32 v2, v5, v4
	s_delay_alu instid0(VALU_DEP_1)
	v_add3_u32 v2, v2, v6, v7
.LBB1643_222:                           ;   in Loop: Header=BB1643_12 Depth=1
	s_or_b32 exec_lo, exec_lo, s0
	v_and_b32_e32 v4, 15, v63
	s_delay_alu instid0(VALU_DEP_2) | instskip(SKIP_1) | instid1(VALU_DEP_3)
	v_mov_b32_dpp v5, v2 row_shr:1 row_mask:0xf bank_mask:0xf
	v_and_b32_e32 v6, 16, v63
	v_cmp_eq_u32_e64 s0, 0, v4
	v_cmp_lt_u32_e64 s1, 1, v4
	v_cmp_lt_u32_e64 s8, 3, v4
	;; [unrolled: 1-line block ×3, first 2 shown]
	v_cmp_eq_u32_e64 s10, 0, v6
	v_cndmask_b32_e64 v5, v5, 0, s0
	s_delay_alu instid0(VALU_DEP_1) | instskip(NEXT) | instid1(VALU_DEP_1)
	v_add_nc_u32_e32 v2, v5, v2
	v_mov_b32_dpp v5, v2 row_shr:2 row_mask:0xf bank_mask:0xf
	s_delay_alu instid0(VALU_DEP_1) | instskip(NEXT) | instid1(VALU_DEP_1)
	v_cndmask_b32_e64 v5, 0, v5, s1
	v_add_nc_u32_e32 v2, v2, v5
	s_delay_alu instid0(VALU_DEP_1) | instskip(NEXT) | instid1(VALU_DEP_1)
	v_mov_b32_dpp v5, v2 row_shr:4 row_mask:0xf bank_mask:0xf
	v_cndmask_b32_e64 v5, 0, v5, s8
	s_delay_alu instid0(VALU_DEP_1) | instskip(NEXT) | instid1(VALU_DEP_1)
	v_add_nc_u32_e32 v2, v2, v5
	v_mov_b32_dpp v5, v2 row_shr:8 row_mask:0xf bank_mask:0xf
	s_delay_alu instid0(VALU_DEP_1) | instskip(SKIP_1) | instid1(VALU_DEP_2)
	v_cndmask_b32_e64 v4, 0, v5, s9
	v_bfe_i32 v5, v63, 4, 1
	v_add_nc_u32_e32 v2, v2, v4
	ds_swizzle_b32 v4, v2 offset:swizzle(BROADCAST,32,15)
	s_waitcnt lgkmcnt(0)
	v_and_b32_e32 v4, v5, v4
	s_delay_alu instid0(VALU_DEP_1)
	v_add_nc_u32_e32 v4, v2, v4
	s_and_saveexec_b32 s11, s3
	s_cbranch_execz .LBB1643_224
; %bb.223:                              ;   in Loop: Header=BB1643_12 Depth=1
	ds_store_b32 v41, v4
.LBB1643_224:                           ;   in Loop: Header=BB1643_12 Depth=1
	s_or_b32 exec_lo, exec_lo, s11
	v_and_b32_e32 v2, 7, v63
	s_waitcnt lgkmcnt(0)
	s_barrier
	buffer_gl0_inv
	s_and_saveexec_b32 s11, s4
	s_cbranch_execz .LBB1643_226
; %bb.225:                              ;   in Loop: Header=BB1643_12 Depth=1
	ds_load_b32 v5, v42
	v_cmp_ne_u32_e32 vcc_lo, 0, v2
	s_waitcnt lgkmcnt(0)
	v_mov_b32_dpp v6, v5 row_shr:1 row_mask:0xf bank_mask:0xf
	s_delay_alu instid0(VALU_DEP_1) | instskip(SKIP_1) | instid1(VALU_DEP_2)
	v_cndmask_b32_e32 v6, 0, v6, vcc_lo
	v_cmp_lt_u32_e32 vcc_lo, 1, v2
	v_add_nc_u32_e32 v5, v6, v5
	s_delay_alu instid0(VALU_DEP_1) | instskip(NEXT) | instid1(VALU_DEP_1)
	v_mov_b32_dpp v6, v5 row_shr:2 row_mask:0xf bank_mask:0xf
	v_cndmask_b32_e32 v6, 0, v6, vcc_lo
	v_cmp_lt_u32_e32 vcc_lo, 3, v2
	s_delay_alu instid0(VALU_DEP_2) | instskip(NEXT) | instid1(VALU_DEP_1)
	v_add_nc_u32_e32 v5, v5, v6
	v_mov_b32_dpp v6, v5 row_shr:4 row_mask:0xf bank_mask:0xf
	s_delay_alu instid0(VALU_DEP_1) | instskip(NEXT) | instid1(VALU_DEP_1)
	v_cndmask_b32_e32 v6, 0, v6, vcc_lo
	v_add_nc_u32_e32 v5, v5, v6
	ds_store_b32 v42, v5
.LBB1643_226:                           ;   in Loop: Header=BB1643_12 Depth=1
	s_or_b32 exec_lo, exec_lo, s11
	v_mov_b32_e32 v5, 0
	s_waitcnt lgkmcnt(0)
	s_barrier
	buffer_gl0_inv
	s_and_saveexec_b32 s11, s5
	s_cbranch_execz .LBB1643_228
; %bb.227:                              ;   in Loop: Header=BB1643_12 Depth=1
	ds_load_b32 v5, v43
.LBB1643_228:                           ;   in Loop: Header=BB1643_12 Depth=1
	s_or_b32 exec_lo, exec_lo, s11
	v_add_nc_u32_e32 v6, -1, v63
	s_waitcnt lgkmcnt(0)
	v_add_nc_u32_e32 v4, v5, v4
	v_cmp_eq_u32_e64 s11, 0, v63
	s_barrier
	v_cmp_gt_i32_e32 vcc_lo, 0, v6
	buffer_gl0_inv
	v_cndmask_b32_e32 v6, v6, v63, vcc_lo
	s_delay_alu instid0(VALU_DEP_1)
	v_lshlrev_b32_e32 v69, 2, v6
	ds_bpermute_b32 v4, v69, v4
	s_and_saveexec_b32 s12, s2
	s_cbranch_execz .LBB1643_230
; %bb.229:                              ;   in Loop: Header=BB1643_12 Depth=1
	s_waitcnt lgkmcnt(0)
	v_cndmask_b32_e64 v4, v4, v5, s11
	s_delay_alu instid0(VALU_DEP_1)
	v_add_nc_u32_e32 v4, s27, v4
	ds_store_b32 v28, v4
.LBB1643_230:                           ;   in Loop: Header=BB1643_12 Depth=1
	s_or_b32 exec_lo, exec_lo, s12
	s_load_b64 s[12:13], s[28:29], 0x0
	v_cmp_lt_u32_e64 s14, 3, v2
	v_add_co_u32 v71, vcc_lo, v57, v63
	v_add_co_ci_u32_e32 v72, vcc_lo, 0, v58, vcc_lo
	v_or_b32_e32 v70, v63, v44
	s_mov_b32 s42, s35
	s_mov_b32 s24, s27
                                        ; implicit-def: $vgpr8_vgpr9
                                        ; implicit-def: $vgpr10_vgpr11
                                        ; implicit-def: $vgpr12_vgpr13
                                        ; implicit-def: $vgpr14_vgpr15
                                        ; implicit-def: $vgpr16_vgpr17
                                        ; implicit-def: $vgpr18_vgpr19
                                        ; implicit-def: $vgpr85
                                        ; implicit-def: $vgpr86
                                        ; implicit-def: $vgpr87
                                        ; implicit-def: $vgpr88
                                        ; implicit-def: $vgpr89
                                        ; implicit-def: $vgpr90
                                        ; implicit-def: $vgpr91
                                        ; implicit-def: $vgpr92
	s_delay_alu instid0(VALU_DEP_1)
	v_or_b32_e32 v75, 32, v70
	v_or_b32_e32 v76, 64, v70
	v_or_b32_e32 v77, 0x60, v70
	v_or_b32_e32 v78, 0x80, v70
	v_or_b32_e32 v79, 0xa0, v70
	v_or_b32_e32 v80, 0xc0, v70
	v_or_b32_e32 v81, 0xe0, v70
	s_waitcnt lgkmcnt(0)
	s_cmp_lt_u32 s15, s13
	s_cselect_b32 s13, 14, 20
	s_delay_alu instid0(SALU_CYCLE_1) | instskip(SKIP_4) | instid1(SALU_CYCLE_1)
	s_add_u32 s16, s28, s13
	s_addc_u32 s17, s29, 0
	s_cmp_lt_u32 s26, s12
	global_load_u16 v4, v3, s[16:17]
	s_cselect_b32 s12, 12, 18
	s_add_u32 s12, s28, s12
	s_addc_u32 s13, s29, 0
	global_load_u16 v6, v3, s[12:13]
	v_cmp_eq_u32_e64 s12, 0, v2
	v_cmp_lt_u32_e64 s13, 1, v2
	v_lshlrev_b32_e32 v2, 3, v63
	s_delay_alu instid0(VALU_DEP_1)
	v_add_co_u32 v73, vcc_lo, v55, v2
	v_add_co_ci_u32_e32 v74, vcc_lo, 0, v56, vcc_lo
	v_add_co_u32 v83, vcc_lo, 0xe0, v71
	v_add_co_ci_u32_e32 v84, vcc_lo, 0, v72, vcc_lo
	s_waitcnt vmcnt(1)
	v_mad_u32_u24 v7, v45, v4, v0
	s_waitcnt vmcnt(0)
	s_delay_alu instid0(VALU_DEP_1) | instskip(NEXT) | instid1(VALU_DEP_1)
	v_mad_u64_u32 v[4:5], null, v7, v6, v[1:2]
                                        ; implicit-def: $vgpr6_vgpr7
	v_lshrrev_b32_e32 v82, 5, v4
                                        ; implicit-def: $vgpr4_vgpr5
	s_branch .LBB1643_232
.LBB1643_231:                           ;   in Loop: Header=BB1643_232 Depth=2
	s_or_b32 exec_lo, exec_lo, s16
	s_addk_i32 s42, 0xf800
	s_cmp_lt_u32 s43, s33
	s_mov_b32 s24, s43
	s_cbranch_scc0 .LBB1643_344
.LBB1643_232:                           ;   Parent Loop BB1643_12 Depth=1
                                        ; =>  This Inner Loop Header: Depth=2
	s_add_i32 s43, s24, 0x800
	s_delay_alu instid0(SALU_CYCLE_1)
	s_cmp_gt_u32 s43, s33
	s_cbranch_scc1 .LBB1643_235
; %bb.233:                              ;   in Loop: Header=BB1643_232 Depth=2
	v_add_co_u32 v20, vcc_lo, v71, s24
	v_add_co_ci_u32_e32 v21, vcc_lo, 0, v72, vcc_lo
	s_mov_b32 s17, 0
	s_mov_b32 s16, s24
	s_mov_b32 s19, -1
	s_clause 0x6
	global_load_u8 v93, v[20:21], off
	global_load_u8 v94, v[20:21], off offset:32
	global_load_u8 v95, v[20:21], off offset:64
	;; [unrolled: 1-line block ×6, first 2 shown]
	s_movk_i32 s18, 0x800
	s_cbranch_execz .LBB1643_236
; %bb.234:                              ;   in Loop: Header=BB1643_232 Depth=2
                                        ; implicit-def: $sgpr20
	v_mov_b32_e32 v100, s20
	v_mov_b32_e32 v2, s42
	s_and_saveexec_b32 s20, s19
	s_cbranch_execnz .LBB1643_251
	s_branch .LBB1643_252
.LBB1643_235:                           ;   in Loop: Header=BB1643_232 Depth=2
	s_mov_b32 s17, -1
	s_mov_b32 s19, 0
                                        ; implicit-def: $sgpr18
                                        ; implicit-def: $vgpr93
                                        ; implicit-def: $vgpr94
                                        ; implicit-def: $vgpr95
                                        ; implicit-def: $vgpr96
                                        ; implicit-def: $vgpr97
                                        ; implicit-def: $vgpr98
                                        ; implicit-def: $vgpr99
.LBB1643_236:                           ;   in Loop: Header=BB1643_232 Depth=2
	v_add_co_u32 v20, vcc_lo, v71, s24
	v_add_co_ci_u32_e32 v21, vcc_lo, 0, v72, vcc_lo
	s_waitcnt vmcnt(5)
	v_dual_mov_b32 v94, 1 :: v_dual_mov_b32 v93, 1
	s_mov_b32 s16, exec_lo
	v_cmpx_gt_u32_e64 s42, v70
	s_cbranch_execz .LBB1643_238
; %bb.237:                              ;   in Loop: Header=BB1643_232 Depth=2
	global_load_u8 v93, v[20:21], off
.LBB1643_238:                           ;   in Loop: Header=BB1643_232 Depth=2
	s_or_b32 exec_lo, exec_lo, s16
	s_delay_alu instid0(SALU_CYCLE_1)
	s_mov_b32 s16, exec_lo
	v_cmpx_gt_u32_e64 s42, v75
	s_cbranch_execz .LBB1643_240
; %bb.239:                              ;   in Loop: Header=BB1643_232 Depth=2
	global_load_u8 v94, v[20:21], off offset:32
.LBB1643_240:                           ;   in Loop: Header=BB1643_232 Depth=2
	s_or_b32 exec_lo, exec_lo, s16
	s_waitcnt vmcnt(3)
	v_dual_mov_b32 v96, 1 :: v_dual_mov_b32 v95, 1
	s_mov_b32 s16, exec_lo
	v_cmpx_gt_u32_e64 s42, v76
	s_cbranch_execz .LBB1643_242
; %bb.241:                              ;   in Loop: Header=BB1643_232 Depth=2
	global_load_u8 v95, v[20:21], off offset:64
.LBB1643_242:                           ;   in Loop: Header=BB1643_232 Depth=2
	s_or_b32 exec_lo, exec_lo, s16
	s_delay_alu instid0(SALU_CYCLE_1)
	s_mov_b32 s16, exec_lo
	v_cmpx_gt_u32_e64 s42, v77
	s_cbranch_execz .LBB1643_244
; %bb.243:                              ;   in Loop: Header=BB1643_232 Depth=2
	global_load_u8 v96, v[20:21], off offset:96
.LBB1643_244:                           ;   in Loop: Header=BB1643_232 Depth=2
	s_or_b32 exec_lo, exec_lo, s16
	s_waitcnt vmcnt(1)
	v_dual_mov_b32 v98, 1 :: v_dual_mov_b32 v97, 1
	s_mov_b32 s16, exec_lo
	v_cmpx_gt_u32_e64 s42, v78
	s_cbranch_execz .LBB1643_246
; %bb.245:                              ;   in Loop: Header=BB1643_232 Depth=2
	global_load_u8 v97, v[20:21], off offset:128
.LBB1643_246:                           ;   in Loop: Header=BB1643_232 Depth=2
	s_or_b32 exec_lo, exec_lo, s16
	s_delay_alu instid0(SALU_CYCLE_1)
	s_mov_b32 s16, exec_lo
	v_cmpx_gt_u32_e64 s42, v79
	s_cbranch_execz .LBB1643_248
; %bb.247:                              ;   in Loop: Header=BB1643_232 Depth=2
	global_load_u8 v98, v[20:21], off offset:160
.LBB1643_248:                           ;   in Loop: Header=BB1643_232 Depth=2
	s_or_b32 exec_lo, exec_lo, s16
	s_waitcnt vmcnt(0)
	v_mov_b32_e32 v99, 1
	s_mov_b32 s16, exec_lo
	v_cmpx_gt_u32_e64 s42, v80
	s_cbranch_execz .LBB1643_250
; %bb.249:                              ;   in Loop: Header=BB1643_232 Depth=2
	global_load_u8 v99, v[20:21], off offset:192
.LBB1643_250:                           ;   in Loop: Header=BB1643_232 Depth=2
	s_or_b32 exec_lo, exec_lo, s16
	v_cmp_gt_u32_e64 s19, s42, v81
	s_sub_i32 s18, s33, s24
	s_mov_b32 s20, 1
	s_mov_b64 s[16:17], s[24:25]
	v_mov_b32_e32 v100, s20
	v_mov_b32_e32 v2, s42
	s_and_saveexec_b32 s20, s19
	s_cbranch_execz .LBB1643_252
.LBB1643_251:                           ;   in Loop: Header=BB1643_232 Depth=2
	v_add_co_u32 v20, vcc_lo, v83, s16
	v_add_co_ci_u32_e32 v21, vcc_lo, s17, v84, vcc_lo
	v_mov_b32_e32 v2, s18
	global_load_u8 v100, v[20:21], off
.LBB1643_252:                           ;   in Loop: Header=BB1643_232 Depth=2
	s_or_b32 exec_lo, exec_lo, s20
	s_waitcnt vmcnt(6)
	v_and_b32_e32 v20, 0xff, v93
	ds_store_b32 v46, v3 offset:1056
	ds_store_2addr_b32 v47, v3, v3 offset0:1 offset1:2
	ds_store_2addr_b32 v47, v3, v3 offset0:3 offset1:4
	;; [unrolled: 1-line block ×4, first 2 shown]
	s_waitcnt vmcnt(0) lgkmcnt(0)
	s_barrier
	v_lshrrev_b32_e32 v20, s30, v20
	buffer_gl0_inv
	; wave barrier
	v_and_b32_e32 v21, s31, v20
	s_delay_alu instid0(VALU_DEP_1) | instskip(NEXT) | instid1(VALU_DEP_1)
	v_add_co_u32 v20, s16, v21, -1
	v_cndmask_b32_e64 v22, 0, 1, s16
	v_mad_u32_u24 v21, v21, 9, v82
	s_delay_alu instid0(VALU_DEP_2) | instskip(NEXT) | instid1(VALU_DEP_2)
	v_cmp_ne_u32_e32 vcc_lo, 0, v22
	v_lshl_add_u32 v102, v21, 2, 0x420
	v_xor_b32_e32 v20, vcc_lo, v20
	s_delay_alu instid0(VALU_DEP_1) | instskip(NEXT) | instid1(VALU_DEP_1)
	v_and_b32_e32 v20, exec_lo, v20
	v_mbcnt_lo_u32_b32 v101, v20, 0
	v_cmp_ne_u32_e64 s16, 0, v20
	s_delay_alu instid0(VALU_DEP_2) | instskip(NEXT) | instid1(VALU_DEP_2)
	v_cmp_eq_u32_e32 vcc_lo, 0, v101
	s_and_b32 s17, s16, vcc_lo
	s_delay_alu instid0(SALU_CYCLE_1)
	s_and_saveexec_b32 s16, s17
	s_cbranch_execz .LBB1643_254
; %bb.253:                              ;   in Loop: Header=BB1643_232 Depth=2
	v_bcnt_u32_b32 v20, v20, 0
	ds_store_b32 v102, v20
.LBB1643_254:                           ;   in Loop: Header=BB1643_232 Depth=2
	s_or_b32 exec_lo, exec_lo, s16
	v_and_b32_e32 v20, 0xff, v94
	; wave barrier
	s_delay_alu instid0(VALU_DEP_1) | instskip(NEXT) | instid1(VALU_DEP_1)
	v_lshrrev_b32_e32 v20, s30, v20
	v_and_b32_e32 v20, s31, v20
	s_delay_alu instid0(VALU_DEP_1) | instskip(NEXT) | instid1(VALU_DEP_1)
	v_add_co_u32 v21, s16, v20, -1
	v_cndmask_b32_e64 v22, 0, 1, s16
	v_mul_u32_u24_e32 v20, 9, v20
	s_delay_alu instid0(VALU_DEP_2) | instskip(NEXT) | instid1(VALU_DEP_2)
	v_cmp_ne_u32_e32 vcc_lo, 0, v22
	v_add_lshl_u32 v22, v20, v82, 2
	v_xor_b32_e32 v20, vcc_lo, v21
	ds_load_b32 v103, v22 offset:1056
	v_add_nc_u32_e32 v105, 0x420, v22
	; wave barrier
	v_and_b32_e32 v20, exec_lo, v20
	s_delay_alu instid0(VALU_DEP_1) | instskip(SKIP_1) | instid1(VALU_DEP_2)
	v_mbcnt_lo_u32_b32 v104, v20, 0
	v_cmp_ne_u32_e64 s16, 0, v20
	v_cmp_eq_u32_e32 vcc_lo, 0, v104
	s_delay_alu instid0(VALU_DEP_2) | instskip(NEXT) | instid1(SALU_CYCLE_1)
	s_and_b32 s17, s16, vcc_lo
	s_and_saveexec_b32 s16, s17
	s_cbranch_execz .LBB1643_256
; %bb.255:                              ;   in Loop: Header=BB1643_232 Depth=2
	s_waitcnt lgkmcnt(0)
	v_bcnt_u32_b32 v20, v20, v103
	ds_store_b32 v105, v20
.LBB1643_256:                           ;   in Loop: Header=BB1643_232 Depth=2
	s_or_b32 exec_lo, exec_lo, s16
	v_and_b32_e32 v20, 0xff, v95
	; wave barrier
	s_delay_alu instid0(VALU_DEP_1) | instskip(NEXT) | instid1(VALU_DEP_1)
	v_lshrrev_b32_e32 v20, s30, v20
	v_and_b32_e32 v20, s31, v20
	s_delay_alu instid0(VALU_DEP_1) | instskip(NEXT) | instid1(VALU_DEP_1)
	v_add_co_u32 v21, s16, v20, -1
	v_cndmask_b32_e64 v22, 0, 1, s16
	v_mul_u32_u24_e32 v20, 9, v20
	s_delay_alu instid0(VALU_DEP_2) | instskip(NEXT) | instid1(VALU_DEP_2)
	v_cmp_ne_u32_e32 vcc_lo, 0, v22
	v_add_lshl_u32 v22, v20, v82, 2
	v_xor_b32_e32 v20, vcc_lo, v21
	ds_load_b32 v106, v22 offset:1056
	v_add_nc_u32_e32 v109, 0x420, v22
	; wave barrier
	v_and_b32_e32 v20, exec_lo, v20
	s_delay_alu instid0(VALU_DEP_1) | instskip(SKIP_1) | instid1(VALU_DEP_2)
	v_mbcnt_lo_u32_b32 v107, v20, 0
	v_cmp_ne_u32_e64 s16, 0, v20
	v_cmp_eq_u32_e32 vcc_lo, 0, v107
	s_delay_alu instid0(VALU_DEP_2) | instskip(NEXT) | instid1(SALU_CYCLE_1)
	s_and_b32 s17, s16, vcc_lo
	s_and_saveexec_b32 s16, s17
	s_cbranch_execz .LBB1643_258
; %bb.257:                              ;   in Loop: Header=BB1643_232 Depth=2
	s_waitcnt lgkmcnt(0)
	v_bcnt_u32_b32 v20, v20, v106
	ds_store_b32 v109, v20
.LBB1643_258:                           ;   in Loop: Header=BB1643_232 Depth=2
	s_or_b32 exec_lo, exec_lo, s16
	v_and_b32_e32 v20, 0xff, v96
	; wave barrier
	s_delay_alu instid0(VALU_DEP_1) | instskip(NEXT) | instid1(VALU_DEP_1)
	v_lshrrev_b32_e32 v20, s30, v20
	v_and_b32_e32 v20, s31, v20
	s_delay_alu instid0(VALU_DEP_1) | instskip(NEXT) | instid1(VALU_DEP_1)
	v_add_co_u32 v21, s16, v20, -1
	v_cndmask_b32_e64 v22, 0, 1, s16
	v_mul_u32_u24_e32 v20, 9, v20
	s_delay_alu instid0(VALU_DEP_2) | instskip(NEXT) | instid1(VALU_DEP_2)
	v_cmp_ne_u32_e32 vcc_lo, 0, v22
	v_add_lshl_u32 v22, v20, v82, 2
	v_xor_b32_e32 v20, vcc_lo, v21
	ds_load_b32 v108, v22 offset:1056
	v_add_nc_u32_e32 v112, 0x420, v22
	; wave barrier
	v_and_b32_e32 v20, exec_lo, v20
	s_delay_alu instid0(VALU_DEP_1) | instskip(SKIP_1) | instid1(VALU_DEP_2)
	v_mbcnt_lo_u32_b32 v110, v20, 0
	v_cmp_ne_u32_e64 s16, 0, v20
	v_cmp_eq_u32_e32 vcc_lo, 0, v110
	s_delay_alu instid0(VALU_DEP_2) | instskip(NEXT) | instid1(SALU_CYCLE_1)
	s_and_b32 s17, s16, vcc_lo
	s_and_saveexec_b32 s16, s17
	s_cbranch_execz .LBB1643_260
; %bb.259:                              ;   in Loop: Header=BB1643_232 Depth=2
	s_waitcnt lgkmcnt(0)
	v_bcnt_u32_b32 v20, v20, v108
	ds_store_b32 v112, v20
.LBB1643_260:                           ;   in Loop: Header=BB1643_232 Depth=2
	s_or_b32 exec_lo, exec_lo, s16
	v_and_b32_e32 v20, 0xff, v97
	; wave barrier
	s_delay_alu instid0(VALU_DEP_1) | instskip(NEXT) | instid1(VALU_DEP_1)
	v_lshrrev_b32_e32 v20, s30, v20
	v_and_b32_e32 v20, s31, v20
	s_delay_alu instid0(VALU_DEP_1) | instskip(NEXT) | instid1(VALU_DEP_1)
	v_add_co_u32 v21, s16, v20, -1
	v_cndmask_b32_e64 v22, 0, 1, s16
	v_mul_u32_u24_e32 v20, 9, v20
	s_delay_alu instid0(VALU_DEP_2) | instskip(NEXT) | instid1(VALU_DEP_2)
	v_cmp_ne_u32_e32 vcc_lo, 0, v22
	v_add_lshl_u32 v22, v20, v82, 2
	v_xor_b32_e32 v20, vcc_lo, v21
	ds_load_b32 v111, v22 offset:1056
	v_add_nc_u32_e32 v115, 0x420, v22
	; wave barrier
	v_and_b32_e32 v20, exec_lo, v20
	s_delay_alu instid0(VALU_DEP_1) | instskip(SKIP_1) | instid1(VALU_DEP_2)
	v_mbcnt_lo_u32_b32 v113, v20, 0
	v_cmp_ne_u32_e64 s16, 0, v20
	v_cmp_eq_u32_e32 vcc_lo, 0, v113
	s_delay_alu instid0(VALU_DEP_2) | instskip(NEXT) | instid1(SALU_CYCLE_1)
	s_and_b32 s17, s16, vcc_lo
	s_and_saveexec_b32 s16, s17
	s_cbranch_execz .LBB1643_262
; %bb.261:                              ;   in Loop: Header=BB1643_232 Depth=2
	s_waitcnt lgkmcnt(0)
	v_bcnt_u32_b32 v20, v20, v111
	ds_store_b32 v115, v20
.LBB1643_262:                           ;   in Loop: Header=BB1643_232 Depth=2
	s_or_b32 exec_lo, exec_lo, s16
	v_and_b32_e32 v20, 0xff, v98
	; wave barrier
	s_delay_alu instid0(VALU_DEP_1) | instskip(NEXT) | instid1(VALU_DEP_1)
	v_lshrrev_b32_e32 v20, s30, v20
	v_and_b32_e32 v20, s31, v20
	s_delay_alu instid0(VALU_DEP_1) | instskip(NEXT) | instid1(VALU_DEP_1)
	v_add_co_u32 v21, s16, v20, -1
	v_cndmask_b32_e64 v22, 0, 1, s16
	v_mul_u32_u24_e32 v20, 9, v20
	s_delay_alu instid0(VALU_DEP_2) | instskip(NEXT) | instid1(VALU_DEP_2)
	v_cmp_ne_u32_e32 vcc_lo, 0, v22
	v_add_lshl_u32 v22, v20, v82, 2
	v_xor_b32_e32 v20, vcc_lo, v21
	ds_load_b32 v114, v22 offset:1056
	v_add_nc_u32_e32 v118, 0x420, v22
	; wave barrier
	v_and_b32_e32 v20, exec_lo, v20
	s_delay_alu instid0(VALU_DEP_1) | instskip(SKIP_1) | instid1(VALU_DEP_2)
	v_mbcnt_lo_u32_b32 v116, v20, 0
	v_cmp_ne_u32_e64 s16, 0, v20
	v_cmp_eq_u32_e32 vcc_lo, 0, v116
	s_delay_alu instid0(VALU_DEP_2) | instskip(NEXT) | instid1(SALU_CYCLE_1)
	s_and_b32 s17, s16, vcc_lo
	s_and_saveexec_b32 s16, s17
	s_cbranch_execz .LBB1643_264
; %bb.263:                              ;   in Loop: Header=BB1643_232 Depth=2
	s_waitcnt lgkmcnt(0)
	v_bcnt_u32_b32 v20, v20, v114
	ds_store_b32 v118, v20
.LBB1643_264:                           ;   in Loop: Header=BB1643_232 Depth=2
	s_or_b32 exec_lo, exec_lo, s16
	v_and_b32_e32 v20, 0xff, v99
	; wave barrier
	s_delay_alu instid0(VALU_DEP_1) | instskip(NEXT) | instid1(VALU_DEP_1)
	v_lshrrev_b32_e32 v20, s30, v20
	v_and_b32_e32 v20, s31, v20
	s_delay_alu instid0(VALU_DEP_1) | instskip(NEXT) | instid1(VALU_DEP_1)
	v_add_co_u32 v21, s16, v20, -1
	v_cndmask_b32_e64 v22, 0, 1, s16
	v_mul_u32_u24_e32 v20, 9, v20
	s_delay_alu instid0(VALU_DEP_2) | instskip(NEXT) | instid1(VALU_DEP_2)
	v_cmp_ne_u32_e32 vcc_lo, 0, v22
	v_add_lshl_u32 v22, v20, v82, 2
	v_xor_b32_e32 v20, vcc_lo, v21
	ds_load_b32 v117, v22 offset:1056
	v_add_nc_u32_e32 v121, 0x420, v22
	; wave barrier
	v_and_b32_e32 v20, exec_lo, v20
	s_delay_alu instid0(VALU_DEP_1) | instskip(SKIP_1) | instid1(VALU_DEP_2)
	v_mbcnt_lo_u32_b32 v119, v20, 0
	v_cmp_ne_u32_e64 s16, 0, v20
	v_cmp_eq_u32_e32 vcc_lo, 0, v119
	s_delay_alu instid0(VALU_DEP_2) | instskip(NEXT) | instid1(SALU_CYCLE_1)
	s_and_b32 s17, s16, vcc_lo
	s_and_saveexec_b32 s16, s17
	s_cbranch_execz .LBB1643_266
; %bb.265:                              ;   in Loop: Header=BB1643_232 Depth=2
	s_waitcnt lgkmcnt(0)
	v_bcnt_u32_b32 v20, v20, v117
	ds_store_b32 v121, v20
.LBB1643_266:                           ;   in Loop: Header=BB1643_232 Depth=2
	s_or_b32 exec_lo, exec_lo, s16
	v_and_b32_e32 v20, 0xff, v100
	; wave barrier
	s_delay_alu instid0(VALU_DEP_1) | instskip(NEXT) | instid1(VALU_DEP_1)
	v_lshrrev_b32_e32 v20, s30, v20
	v_and_b32_e32 v20, s31, v20
	s_delay_alu instid0(VALU_DEP_1) | instskip(NEXT) | instid1(VALU_DEP_1)
	v_add_co_u32 v21, s16, v20, -1
	v_cndmask_b32_e64 v22, 0, 1, s16
	v_mul_u32_u24_e32 v20, 9, v20
	s_delay_alu instid0(VALU_DEP_2) | instskip(NEXT) | instid1(VALU_DEP_2)
	v_cmp_ne_u32_e32 vcc_lo, 0, v22
	v_add_lshl_u32 v22, v20, v82, 2
	v_xor_b32_e32 v20, vcc_lo, v21
	ds_load_b32 v120, v22 offset:1056
	v_add_nc_u32_e32 v123, 0x420, v22
	; wave barrier
	v_and_b32_e32 v20, exec_lo, v20
	s_delay_alu instid0(VALU_DEP_1) | instskip(SKIP_1) | instid1(VALU_DEP_2)
	v_mbcnt_lo_u32_b32 v122, v20, 0
	v_cmp_ne_u32_e64 s16, 0, v20
	v_cmp_eq_u32_e32 vcc_lo, 0, v122
	s_delay_alu instid0(VALU_DEP_2) | instskip(NEXT) | instid1(SALU_CYCLE_1)
	s_and_b32 s17, s16, vcc_lo
	s_and_saveexec_b32 s16, s17
	s_cbranch_execz .LBB1643_268
; %bb.267:                              ;   in Loop: Header=BB1643_232 Depth=2
	s_waitcnt lgkmcnt(0)
	v_bcnt_u32_b32 v20, v20, v120
	ds_store_b32 v123, v20
.LBB1643_268:                           ;   in Loop: Header=BB1643_232 Depth=2
	s_or_b32 exec_lo, exec_lo, s16
	; wave barrier
	s_waitcnt lgkmcnt(0)
	s_barrier
	buffer_gl0_inv
	ds_load_b32 v124, v46 offset:1056
	ds_load_2addr_b32 v[26:27], v47 offset0:1 offset1:2
	ds_load_2addr_b32 v[24:25], v47 offset0:3 offset1:4
	;; [unrolled: 1-line block ×4, first 2 shown]
	s_waitcnt lgkmcnt(3)
	v_add3_u32 v125, v26, v124, v27
	s_waitcnt lgkmcnt(2)
	s_delay_alu instid0(VALU_DEP_1) | instskip(SKIP_1) | instid1(VALU_DEP_1)
	v_add3_u32 v125, v125, v24, v25
	s_waitcnt lgkmcnt(1)
	v_add3_u32 v125, v125, v20, v21
	s_waitcnt lgkmcnt(0)
	s_delay_alu instid0(VALU_DEP_1) | instskip(NEXT) | instid1(VALU_DEP_1)
	v_add3_u32 v23, v125, v22, v23
	v_mov_b32_dpp v125, v23 row_shr:1 row_mask:0xf bank_mask:0xf
	s_delay_alu instid0(VALU_DEP_1) | instskip(NEXT) | instid1(VALU_DEP_1)
	v_cndmask_b32_e64 v125, v125, 0, s0
	v_add_nc_u32_e32 v23, v125, v23
	s_delay_alu instid0(VALU_DEP_1) | instskip(NEXT) | instid1(VALU_DEP_1)
	v_mov_b32_dpp v125, v23 row_shr:2 row_mask:0xf bank_mask:0xf
	v_cndmask_b32_e64 v125, 0, v125, s1
	s_delay_alu instid0(VALU_DEP_1) | instskip(NEXT) | instid1(VALU_DEP_1)
	v_add_nc_u32_e32 v23, v23, v125
	v_mov_b32_dpp v125, v23 row_shr:4 row_mask:0xf bank_mask:0xf
	s_delay_alu instid0(VALU_DEP_1) | instskip(NEXT) | instid1(VALU_DEP_1)
	v_cndmask_b32_e64 v125, 0, v125, s8
	v_add_nc_u32_e32 v23, v23, v125
	s_delay_alu instid0(VALU_DEP_1) | instskip(NEXT) | instid1(VALU_DEP_1)
	v_mov_b32_dpp v125, v23 row_shr:8 row_mask:0xf bank_mask:0xf
	v_cndmask_b32_e64 v125, 0, v125, s9
	s_delay_alu instid0(VALU_DEP_1) | instskip(SKIP_3) | instid1(VALU_DEP_1)
	v_add_nc_u32_e32 v23, v23, v125
	ds_swizzle_b32 v125, v23 offset:swizzle(BROADCAST,32,15)
	s_waitcnt lgkmcnt(0)
	v_cndmask_b32_e64 v125, v125, 0, s10
	v_add_nc_u32_e32 v23, v23, v125
	s_and_saveexec_b32 s16, s3
	s_cbranch_execz .LBB1643_270
; %bb.269:                              ;   in Loop: Header=BB1643_232 Depth=2
	ds_store_b32 v38, v23 offset:1024
.LBB1643_270:                           ;   in Loop: Header=BB1643_232 Depth=2
	s_or_b32 exec_lo, exec_lo, s16
	s_waitcnt lgkmcnt(0)
	s_barrier
	buffer_gl0_inv
	s_and_saveexec_b32 s16, s4
	s_cbranch_execz .LBB1643_272
; %bb.271:                              ;   in Loop: Header=BB1643_232 Depth=2
	v_add_nc_u32_e32 v125, v46, v48
	ds_load_b32 v126, v125 offset:1024
	s_waitcnt lgkmcnt(0)
	v_mov_b32_dpp v127, v126 row_shr:1 row_mask:0xf bank_mask:0xf
	s_delay_alu instid0(VALU_DEP_1) | instskip(NEXT) | instid1(VALU_DEP_1)
	v_cndmask_b32_e64 v127, v127, 0, s12
	v_add_nc_u32_e32 v126, v127, v126
	s_delay_alu instid0(VALU_DEP_1) | instskip(NEXT) | instid1(VALU_DEP_1)
	v_mov_b32_dpp v127, v126 row_shr:2 row_mask:0xf bank_mask:0xf
	v_cndmask_b32_e64 v127, 0, v127, s13
	s_delay_alu instid0(VALU_DEP_1) | instskip(NEXT) | instid1(VALU_DEP_1)
	v_add_nc_u32_e32 v126, v126, v127
	v_mov_b32_dpp v127, v126 row_shr:4 row_mask:0xf bank_mask:0xf
	s_delay_alu instid0(VALU_DEP_1) | instskip(NEXT) | instid1(VALU_DEP_1)
	v_cndmask_b32_e64 v127, 0, v127, s14
	v_add_nc_u32_e32 v126, v126, v127
	ds_store_b32 v125, v126 offset:1024
.LBB1643_272:                           ;   in Loop: Header=BB1643_232 Depth=2
	s_or_b32 exec_lo, exec_lo, s16
	v_mov_b32_e32 v125, 0
	s_waitcnt lgkmcnt(0)
	s_barrier
	buffer_gl0_inv
	s_and_saveexec_b32 s16, s5
	s_cbranch_execz .LBB1643_274
; %bb.273:                              ;   in Loop: Header=BB1643_232 Depth=2
	ds_load_b32 v125, v38 offset:1020
.LBB1643_274:                           ;   in Loop: Header=BB1643_232 Depth=2
	s_or_b32 exec_lo, exec_lo, s16
	s_waitcnt lgkmcnt(0)
	v_add_nc_u32_e32 v23, v125, v23
	ds_bpermute_b32 v23, v69, v23
	s_waitcnt lgkmcnt(0)
	v_cndmask_b32_e64 v23, v23, v125, s11
	s_delay_alu instid0(VALU_DEP_1) | instskip(NEXT) | instid1(VALU_DEP_1)
	v_cndmask_b32_e64 v23, v23, 0, s6
	v_add_nc_u32_e32 v124, v23, v124
	s_delay_alu instid0(VALU_DEP_1) | instskip(NEXT) | instid1(VALU_DEP_1)
	v_add_nc_u32_e32 v26, v124, v26
	v_add_nc_u32_e32 v27, v26, v27
	s_delay_alu instid0(VALU_DEP_1) | instskip(NEXT) | instid1(VALU_DEP_1)
	v_add_nc_u32_e32 v24, v27, v24
	;; [unrolled: 3-line block ×3, first 2 shown]
	v_add_nc_u32_e32 v21, v20, v21
	s_delay_alu instid0(VALU_DEP_1)
	v_add_nc_u32_e32 v22, v21, v22
	ds_store_b32 v46, v23 offset:1056
	ds_store_2addr_b32 v47, v124, v26 offset0:1 offset1:2
	ds_store_2addr_b32 v47, v27, v24 offset0:3 offset1:4
	;; [unrolled: 1-line block ×4, first 2 shown]
	v_mov_b32_e32 v22, 0x800
	s_waitcnt lgkmcnt(0)
	s_barrier
	buffer_gl0_inv
	ds_load_b32 v20, v105
	ds_load_b32 v21, v109
	;; [unrolled: 1-line block ×8, first 2 shown]
	ds_load_b32 v27, v46 offset:1056
	s_and_saveexec_b32 s16, s7
	s_cbranch_execz .LBB1643_276
; %bb.275:                              ;   in Loop: Header=BB1643_232 Depth=2
	ds_load_b32 v22, v49 offset:1056
.LBB1643_276:                           ;   in Loop: Header=BB1643_232 Depth=2
	s_or_b32 exec_lo, exec_lo, s16
	s_waitcnt lgkmcnt(0)
	s_barrier
	buffer_gl0_inv
	s_and_saveexec_b32 s16, s2
	s_cbranch_execz .LBB1643_278
; %bb.277:                              ;   in Loop: Header=BB1643_232 Depth=2
	ds_load_b32 v102, v28
	s_waitcnt lgkmcnt(0)
	v_sub_nc_u32_e32 v27, v102, v27
	ds_store_b32 v28, v27
.LBB1643_278:                           ;   in Loop: Header=BB1643_232 Depth=2
	s_or_b32 exec_lo, exec_lo, s16
	v_add_nc_u32_e32 v105, v26, v101
	v_add3_u32 v102, v104, v103, v20
	v_add3_u32 v101, v107, v106, v21
	;; [unrolled: 1-line block ×7, first 2 shown]
	v_cmp_lt_u32_e64 s22, v1, v2
	ds_store_b8 v105, v93 offset:1024
	ds_store_b8 v102, v94 offset:1024
	;; [unrolled: 1-line block ×8, first 2 shown]
	s_waitcnt lgkmcnt(0)
	s_barrier
	buffer_gl0_inv
	s_and_saveexec_b32 s16, s22
	s_cbranch_execz .LBB1643_286
; %bb.279:                              ;   in Loop: Header=BB1643_232 Depth=2
	ds_load_u8 v20, v1 offset:1024
	s_waitcnt lgkmcnt(0)
	v_and_b32_e32 v21, 1, v20
	s_delay_alu instid0(VALU_DEP_1) | instskip(NEXT) | instid1(VALU_DEP_1)
	v_lshrrev_b32_e32 v21, s30, v21
	v_and_b32_e32 v21, s31, v21
	s_delay_alu instid0(VALU_DEP_1)
	v_lshlrev_b32_e32 v21, 2, v21
	ds_load_b32 v21, v21
	s_waitcnt lgkmcnt(0)
	v_add_nc_u32_e32 v21, v21, v1
	global_store_b8 v21, v20, s[40:41]
	s_or_b32 exec_lo, exec_lo, s16
	v_cmp_lt_u32_e64 s21, v29, v2
	s_delay_alu instid0(VALU_DEP_1)
	s_and_saveexec_b32 s16, s21
	s_cbranch_execnz .LBB1643_287
.LBB1643_280:                           ;   in Loop: Header=BB1643_232 Depth=2
	s_or_b32 exec_lo, exec_lo, s16
	v_cmp_lt_u32_e64 s20, v30, v2
	s_delay_alu instid0(VALU_DEP_1)
	s_and_saveexec_b32 s16, s20
	s_cbranch_execz .LBB1643_288
.LBB1643_281:                           ;   in Loop: Header=BB1643_232 Depth=2
	ds_load_u8 v20, v35 offset:512
	s_waitcnt lgkmcnt(0)
	v_and_b32_e32 v21, 1, v20
	s_delay_alu instid0(VALU_DEP_1) | instskip(NEXT) | instid1(VALU_DEP_1)
	v_lshrrev_b32_e32 v21, s30, v21
	v_and_b32_e32 v21, s31, v21
	s_delay_alu instid0(VALU_DEP_1)
	v_lshlrev_b32_e32 v21, 2, v21
	ds_load_b32 v21, v21
	s_waitcnt lgkmcnt(0)
	v_add_nc_u32_e32 v21, v21, v30
	global_store_b8 v21, v20, s[40:41]
	s_or_b32 exec_lo, exec_lo, s16
	v_cmp_lt_u32_e64 s19, v31, v2
	s_delay_alu instid0(VALU_DEP_1)
	s_and_saveexec_b32 s16, s19
	s_cbranch_execnz .LBB1643_289
.LBB1643_282:                           ;   in Loop: Header=BB1643_232 Depth=2
	s_or_b32 exec_lo, exec_lo, s16
	v_cmp_lt_u32_e64 s18, v35, v2
	s_delay_alu instid0(VALU_DEP_1)
	s_and_saveexec_b32 s16, s18
	s_cbranch_execz .LBB1643_290
.LBB1643_283:                           ;   in Loop: Header=BB1643_232 Depth=2
	ds_load_u8 v20, v35 offset:1024
	s_waitcnt lgkmcnt(0)
	v_and_b32_e32 v21, 1, v20
	s_delay_alu instid0(VALU_DEP_1) | instskip(NEXT) | instid1(VALU_DEP_1)
	v_lshrrev_b32_e32 v21, s30, v21
	v_and_b32_e32 v21, s31, v21
	s_delay_alu instid0(VALU_DEP_1)
	v_lshlrev_b32_e32 v21, 2, v21
	ds_load_b32 v21, v21
	s_waitcnt lgkmcnt(0)
	v_add_nc_u32_e32 v21, v21, v35
	global_store_b8 v21, v20, s[40:41]
	s_or_b32 exec_lo, exec_lo, s16
	v_cmp_lt_u32_e64 s17, v36, v2
	s_delay_alu instid0(VALU_DEP_1)
	s_and_saveexec_b32 s16, s17
	s_cbranch_execnz .LBB1643_291
.LBB1643_284:                           ;   in Loop: Header=BB1643_232 Depth=2
	s_or_b32 exec_lo, exec_lo, s16
	v_cmp_lt_u32_e64 s16, v37, v2
	s_delay_alu instid0(VALU_DEP_1)
	s_and_saveexec_b32 s23, s16
	s_cbranch_execz .LBB1643_292
.LBB1643_285:                           ;   in Loop: Header=BB1643_232 Depth=2
	ds_load_u8 v20, v35 offset:1536
	s_waitcnt lgkmcnt(0)
	v_and_b32_e32 v21, 1, v20
	s_delay_alu instid0(VALU_DEP_1) | instskip(NEXT) | instid1(VALU_DEP_1)
	v_lshrrev_b32_e32 v21, s30, v21
	v_and_b32_e32 v21, s31, v21
	s_delay_alu instid0(VALU_DEP_1)
	v_lshlrev_b32_e32 v21, 2, v21
	ds_load_b32 v21, v21
	s_waitcnt lgkmcnt(0)
	v_add_nc_u32_e32 v21, v21, v37
	global_store_b8 v21, v20, s[40:41]
	s_or_b32 exec_lo, exec_lo, s23
	v_cmp_lt_u32_e32 vcc_lo, v39, v2
	s_and_saveexec_b32 s23, vcc_lo
	s_cbranch_execnz .LBB1643_293
	s_branch .LBB1643_294
.LBB1643_286:                           ;   in Loop: Header=BB1643_232 Depth=2
	s_or_b32 exec_lo, exec_lo, s16
	v_cmp_lt_u32_e64 s21, v29, v2
	s_delay_alu instid0(VALU_DEP_1)
	s_and_saveexec_b32 s16, s21
	s_cbranch_execz .LBB1643_280
.LBB1643_287:                           ;   in Loop: Header=BB1643_232 Depth=2
	ds_load_u8 v20, v35 offset:256
	s_waitcnt lgkmcnt(0)
	v_and_b32_e32 v21, 1, v20
	s_delay_alu instid0(VALU_DEP_1) | instskip(NEXT) | instid1(VALU_DEP_1)
	v_lshrrev_b32_e32 v21, s30, v21
	v_and_b32_e32 v21, s31, v21
	s_delay_alu instid0(VALU_DEP_1)
	v_lshlrev_b32_e32 v21, 2, v21
	ds_load_b32 v21, v21
	s_waitcnt lgkmcnt(0)
	v_add_nc_u32_e32 v21, v21, v29
	global_store_b8 v21, v20, s[40:41]
	s_or_b32 exec_lo, exec_lo, s16
	v_cmp_lt_u32_e64 s20, v30, v2
	s_delay_alu instid0(VALU_DEP_1)
	s_and_saveexec_b32 s16, s20
	s_cbranch_execnz .LBB1643_281
.LBB1643_288:                           ;   in Loop: Header=BB1643_232 Depth=2
	s_or_b32 exec_lo, exec_lo, s16
	v_cmp_lt_u32_e64 s19, v31, v2
	s_delay_alu instid0(VALU_DEP_1)
	s_and_saveexec_b32 s16, s19
	s_cbranch_execz .LBB1643_282
.LBB1643_289:                           ;   in Loop: Header=BB1643_232 Depth=2
	ds_load_u8 v20, v35 offset:768
	s_waitcnt lgkmcnt(0)
	v_and_b32_e32 v21, 1, v20
	s_delay_alu instid0(VALU_DEP_1) | instskip(NEXT) | instid1(VALU_DEP_1)
	v_lshrrev_b32_e32 v21, s30, v21
	v_and_b32_e32 v21, s31, v21
	s_delay_alu instid0(VALU_DEP_1)
	v_lshlrev_b32_e32 v21, 2, v21
	ds_load_b32 v21, v21
	s_waitcnt lgkmcnt(0)
	v_add_nc_u32_e32 v21, v21, v31
	global_store_b8 v21, v20, s[40:41]
	s_or_b32 exec_lo, exec_lo, s16
	v_cmp_lt_u32_e64 s18, v35, v2
	s_delay_alu instid0(VALU_DEP_1)
	s_and_saveexec_b32 s16, s18
	s_cbranch_execnz .LBB1643_283
.LBB1643_290:                           ;   in Loop: Header=BB1643_232 Depth=2
	s_or_b32 exec_lo, exec_lo, s16
	v_cmp_lt_u32_e64 s17, v36, v2
	s_delay_alu instid0(VALU_DEP_1)
	s_and_saveexec_b32 s16, s17
	s_cbranch_execz .LBB1643_284
.LBB1643_291:                           ;   in Loop: Header=BB1643_232 Depth=2
	ds_load_u8 v20, v35 offset:1280
	s_waitcnt lgkmcnt(0)
	v_and_b32_e32 v21, 1, v20
	s_delay_alu instid0(VALU_DEP_1) | instskip(NEXT) | instid1(VALU_DEP_1)
	v_lshrrev_b32_e32 v21, s30, v21
	v_and_b32_e32 v21, s31, v21
	s_delay_alu instid0(VALU_DEP_1)
	v_lshlrev_b32_e32 v21, 2, v21
	ds_load_b32 v21, v21
	s_waitcnt lgkmcnt(0)
	v_add_nc_u32_e32 v21, v21, v36
	global_store_b8 v21, v20, s[40:41]
	s_or_b32 exec_lo, exec_lo, s16
	v_cmp_lt_u32_e64 s16, v37, v2
	s_delay_alu instid0(VALU_DEP_1)
	s_and_saveexec_b32 s23, s16
	s_cbranch_execnz .LBB1643_285
.LBB1643_292:                           ;   in Loop: Header=BB1643_232 Depth=2
	s_or_b32 exec_lo, exec_lo, s23
	v_cmp_lt_u32_e32 vcc_lo, v39, v2
	s_and_saveexec_b32 s23, vcc_lo
	s_cbranch_execz .LBB1643_294
.LBB1643_293:                           ;   in Loop: Header=BB1643_232 Depth=2
	ds_load_u8 v20, v35 offset:1792
	s_waitcnt lgkmcnt(0)
	v_and_b32_e32 v21, 1, v20
	s_delay_alu instid0(VALU_DEP_1) | instskip(NEXT) | instid1(VALU_DEP_1)
	v_lshrrev_b32_e32 v21, s30, v21
	v_and_b32_e32 v21, s31, v21
	s_delay_alu instid0(VALU_DEP_1)
	v_lshlrev_b32_e32 v21, 2, v21
	ds_load_b32 v21, v21
	s_waitcnt lgkmcnt(0)
	v_add_nc_u32_e32 v21, v21, v39
	global_store_b8 v21, v20, s[40:41]
.LBB1643_294:                           ;   in Loop: Header=BB1643_232 Depth=2
	s_or_b32 exec_lo, exec_lo, s23
	s_lshl_b64 s[52:53], s[24:25], 3
	s_delay_alu instid0(SALU_CYCLE_1) | instskip(NEXT) | instid1(VALU_DEP_1)
	v_add_co_u32 v20, s23, v73, s52
	v_add_co_ci_u32_e64 v21, s23, s53, v74, s23
	v_cmp_lt_u32_e64 s23, v70, v2
	s_delay_alu instid0(VALU_DEP_1) | instskip(NEXT) | instid1(SALU_CYCLE_1)
	s_and_saveexec_b32 s24, s23
	s_xor_b32 s23, exec_lo, s24
	s_cbranch_execz .LBB1643_310
; %bb.295:                              ;   in Loop: Header=BB1643_232 Depth=2
	global_load_b64 v[18:19], v[20:21], off
	s_or_b32 exec_lo, exec_lo, s23
	s_delay_alu instid0(SALU_CYCLE_1)
	s_mov_b32 s24, exec_lo
	v_cmpx_lt_u32_e64 v75, v2
	s_cbranch_execnz .LBB1643_311
.LBB1643_296:                           ;   in Loop: Header=BB1643_232 Depth=2
	s_or_b32 exec_lo, exec_lo, s24
	s_delay_alu instid0(SALU_CYCLE_1)
	s_mov_b32 s24, exec_lo
	v_cmpx_lt_u32_e64 v76, v2
	s_cbranch_execz .LBB1643_312
.LBB1643_297:                           ;   in Loop: Header=BB1643_232 Depth=2
	global_load_b64 v[14:15], v[20:21], off offset:512
	s_or_b32 exec_lo, exec_lo, s24
	s_delay_alu instid0(SALU_CYCLE_1)
	s_mov_b32 s24, exec_lo
	v_cmpx_lt_u32_e64 v77, v2
	s_cbranch_execnz .LBB1643_313
.LBB1643_298:                           ;   in Loop: Header=BB1643_232 Depth=2
	s_or_b32 exec_lo, exec_lo, s24
	s_delay_alu instid0(SALU_CYCLE_1)
	s_mov_b32 s24, exec_lo
	v_cmpx_lt_u32_e64 v78, v2
	s_cbranch_execz .LBB1643_314
.LBB1643_299:                           ;   in Loop: Header=BB1643_232 Depth=2
	global_load_b64 v[10:11], v[20:21], off offset:1024
	s_or_b32 exec_lo, exec_lo, s24
	s_delay_alu instid0(SALU_CYCLE_1)
	s_mov_b32 s24, exec_lo
	v_cmpx_lt_u32_e64 v79, v2
	s_cbranch_execnz .LBB1643_315
.LBB1643_300:                           ;   in Loop: Header=BB1643_232 Depth=2
	s_or_b32 exec_lo, exec_lo, s24
	s_delay_alu instid0(SALU_CYCLE_1)
	s_mov_b32 s24, exec_lo
	v_cmpx_lt_u32_e64 v80, v2
	s_cbranch_execz .LBB1643_316
.LBB1643_301:                           ;   in Loop: Header=BB1643_232 Depth=2
	global_load_b64 v[6:7], v[20:21], off offset:1536
	s_or_b32 exec_lo, exec_lo, s24
	s_delay_alu instid0(SALU_CYCLE_1)
	s_mov_b32 s24, exec_lo
	v_cmpx_lt_u32_e64 v81, v2
	s_cbranch_execnz .LBB1643_317
.LBB1643_302:                           ;   in Loop: Header=BB1643_232 Depth=2
	s_or_b32 exec_lo, exec_lo, s24
	s_and_saveexec_b32 s23, s22
	s_cbranch_execz .LBB1643_318
.LBB1643_303:                           ;   in Loop: Header=BB1643_232 Depth=2
	ds_load_u8 v2, v1 offset:1024
	s_waitcnt lgkmcnt(0)
	v_lshrrev_b32_e32 v2, s30, v2
	s_delay_alu instid0(VALU_DEP_1)
	v_and_b32_e32 v92, s31, v2
	s_or_b32 exec_lo, exec_lo, s23
	s_and_saveexec_b32 s23, s21
	s_cbranch_execnz .LBB1643_319
.LBB1643_304:                           ;   in Loop: Header=BB1643_232 Depth=2
	s_or_b32 exec_lo, exec_lo, s23
	s_and_saveexec_b32 s23, s20
	s_cbranch_execz .LBB1643_320
.LBB1643_305:                           ;   in Loop: Header=BB1643_232 Depth=2
	ds_load_u8 v2, v35 offset:512
	s_waitcnt lgkmcnt(0)
	v_lshrrev_b32_e32 v2, s30, v2
	s_delay_alu instid0(VALU_DEP_1)
	v_and_b32_e32 v90, s31, v2
	s_or_b32 exec_lo, exec_lo, s23
	s_and_saveexec_b32 s23, s19
	s_cbranch_execnz .LBB1643_321
.LBB1643_306:                           ;   in Loop: Header=BB1643_232 Depth=2
	s_or_b32 exec_lo, exec_lo, s23
	s_and_saveexec_b32 s23, s18
	s_cbranch_execz .LBB1643_322
.LBB1643_307:                           ;   in Loop: Header=BB1643_232 Depth=2
	ds_load_u8 v2, v35 offset:1024
	s_waitcnt lgkmcnt(0)
	v_lshrrev_b32_e32 v2, s30, v2
	s_delay_alu instid0(VALU_DEP_1)
	v_and_b32_e32 v88, s31, v2
	s_or_b32 exec_lo, exec_lo, s23
	s_and_saveexec_b32 s23, s17
	s_cbranch_execnz .LBB1643_323
.LBB1643_308:                           ;   in Loop: Header=BB1643_232 Depth=2
	s_or_b32 exec_lo, exec_lo, s23
	s_and_saveexec_b32 s23, s16
	s_cbranch_execz .LBB1643_324
.LBB1643_309:                           ;   in Loop: Header=BB1643_232 Depth=2
	ds_load_u8 v2, v35 offset:1536
	s_waitcnt lgkmcnt(0)
	v_lshrrev_b32_e32 v2, s30, v2
	s_delay_alu instid0(VALU_DEP_1)
	v_and_b32_e32 v86, s31, v2
	s_or_b32 exec_lo, exec_lo, s23
	s_and_saveexec_b32 s23, vcc_lo
	s_cbranch_execnz .LBB1643_325
	s_branch .LBB1643_326
.LBB1643_310:                           ;   in Loop: Header=BB1643_232 Depth=2
	s_or_b32 exec_lo, exec_lo, s23
	s_delay_alu instid0(SALU_CYCLE_1)
	s_mov_b32 s24, exec_lo
	v_cmpx_lt_u32_e64 v75, v2
	s_cbranch_execz .LBB1643_296
.LBB1643_311:                           ;   in Loop: Header=BB1643_232 Depth=2
	global_load_b64 v[16:17], v[20:21], off offset:256
	s_or_b32 exec_lo, exec_lo, s24
	s_delay_alu instid0(SALU_CYCLE_1)
	s_mov_b32 s24, exec_lo
	v_cmpx_lt_u32_e64 v76, v2
	s_cbranch_execnz .LBB1643_297
.LBB1643_312:                           ;   in Loop: Header=BB1643_232 Depth=2
	s_or_b32 exec_lo, exec_lo, s24
	s_delay_alu instid0(SALU_CYCLE_1)
	s_mov_b32 s24, exec_lo
	v_cmpx_lt_u32_e64 v77, v2
	s_cbranch_execz .LBB1643_298
.LBB1643_313:                           ;   in Loop: Header=BB1643_232 Depth=2
	global_load_b64 v[12:13], v[20:21], off offset:768
	s_or_b32 exec_lo, exec_lo, s24
	s_delay_alu instid0(SALU_CYCLE_1)
	s_mov_b32 s24, exec_lo
	v_cmpx_lt_u32_e64 v78, v2
	s_cbranch_execnz .LBB1643_299
.LBB1643_314:                           ;   in Loop: Header=BB1643_232 Depth=2
	s_or_b32 exec_lo, exec_lo, s24
	s_delay_alu instid0(SALU_CYCLE_1)
	s_mov_b32 s24, exec_lo
	v_cmpx_lt_u32_e64 v79, v2
	s_cbranch_execz .LBB1643_300
.LBB1643_315:                           ;   in Loop: Header=BB1643_232 Depth=2
	global_load_b64 v[8:9], v[20:21], off offset:1280
	s_or_b32 exec_lo, exec_lo, s24
	s_delay_alu instid0(SALU_CYCLE_1)
	s_mov_b32 s24, exec_lo
	v_cmpx_lt_u32_e64 v80, v2
	s_cbranch_execnz .LBB1643_301
.LBB1643_316:                           ;   in Loop: Header=BB1643_232 Depth=2
	s_or_b32 exec_lo, exec_lo, s24
	s_delay_alu instid0(SALU_CYCLE_1)
	s_mov_b32 s24, exec_lo
	v_cmpx_lt_u32_e64 v81, v2
	s_cbranch_execz .LBB1643_302
.LBB1643_317:                           ;   in Loop: Header=BB1643_232 Depth=2
	global_load_b64 v[4:5], v[20:21], off offset:1792
	s_or_b32 exec_lo, exec_lo, s24
	s_and_saveexec_b32 s23, s22
	s_cbranch_execnz .LBB1643_303
.LBB1643_318:                           ;   in Loop: Header=BB1643_232 Depth=2
	s_or_b32 exec_lo, exec_lo, s23
	s_and_saveexec_b32 s23, s21
	s_cbranch_execz .LBB1643_304
.LBB1643_319:                           ;   in Loop: Header=BB1643_232 Depth=2
	ds_load_u8 v2, v35 offset:256
	s_waitcnt lgkmcnt(0)
	v_lshrrev_b32_e32 v2, s30, v2
	s_delay_alu instid0(VALU_DEP_1)
	v_and_b32_e32 v91, s31, v2
	s_or_b32 exec_lo, exec_lo, s23
	s_and_saveexec_b32 s23, s20
	s_cbranch_execnz .LBB1643_305
.LBB1643_320:                           ;   in Loop: Header=BB1643_232 Depth=2
	s_or_b32 exec_lo, exec_lo, s23
	s_and_saveexec_b32 s23, s19
	s_cbranch_execz .LBB1643_306
.LBB1643_321:                           ;   in Loop: Header=BB1643_232 Depth=2
	ds_load_u8 v2, v35 offset:768
	s_waitcnt lgkmcnt(0)
	v_lshrrev_b32_e32 v2, s30, v2
	s_delay_alu instid0(VALU_DEP_1)
	v_and_b32_e32 v89, s31, v2
	s_or_b32 exec_lo, exec_lo, s23
	s_and_saveexec_b32 s23, s18
	s_cbranch_execnz .LBB1643_307
.LBB1643_322:                           ;   in Loop: Header=BB1643_232 Depth=2
	s_or_b32 exec_lo, exec_lo, s23
	s_and_saveexec_b32 s23, s17
	s_cbranch_execz .LBB1643_308
.LBB1643_323:                           ;   in Loop: Header=BB1643_232 Depth=2
	ds_load_u8 v2, v35 offset:1280
	s_waitcnt lgkmcnt(0)
	v_lshrrev_b32_e32 v2, s30, v2
	s_delay_alu instid0(VALU_DEP_1)
	v_and_b32_e32 v87, s31, v2
	s_or_b32 exec_lo, exec_lo, s23
	s_and_saveexec_b32 s23, s16
	s_cbranch_execnz .LBB1643_309
.LBB1643_324:                           ;   in Loop: Header=BB1643_232 Depth=2
	s_or_b32 exec_lo, exec_lo, s23
	s_and_saveexec_b32 s23, vcc_lo
	s_cbranch_execz .LBB1643_326
.LBB1643_325:                           ;   in Loop: Header=BB1643_232 Depth=2
	ds_load_u8 v2, v35 offset:1792
	s_waitcnt lgkmcnt(0)
	v_lshrrev_b32_e32 v2, s30, v2
	s_delay_alu instid0(VALU_DEP_1)
	v_and_b32_e32 v85, s31, v2
.LBB1643_326:                           ;   in Loop: Header=BB1643_232 Depth=2
	s_or_b32 exec_lo, exec_lo, s23
	v_lshlrev_b32_e32 v2, 3, v105
	v_lshlrev_b32_e32 v20, 3, v102
	;; [unrolled: 1-line block ×3, first 2 shown]
	s_waitcnt vmcnt(0)
	s_waitcnt_vscnt null, 0x0
	s_barrier
	buffer_gl0_inv
	ds_store_b64 v2, v[18:19] offset:1024
	ds_store_b64 v20, v[16:17] offset:1024
	;; [unrolled: 1-line block ×3, first 2 shown]
	v_lshlrev_b32_e32 v2, 3, v27
	v_lshlrev_b32_e32 v20, 3, v26
	;; [unrolled: 1-line block ×5, first 2 shown]
	ds_store_b64 v2, v[12:13] offset:1024
	ds_store_b64 v20, v[10:11] offset:1024
	;; [unrolled: 1-line block ×5, first 2 shown]
	s_waitcnt lgkmcnt(0)
	s_barrier
	buffer_gl0_inv
	s_and_saveexec_b32 s23, s22
	s_cbranch_execz .LBB1643_334
; %bb.327:                              ;   in Loop: Header=BB1643_232 Depth=2
	v_lshlrev_b32_e32 v2, 2, v92
	v_add_nc_u32_e32 v20, v1, v52
	ds_load_b32 v2, v2
	ds_load_b64 v[20:21], v20 offset:1024
	s_waitcnt lgkmcnt(1)
	v_add_nc_u32_e32 v2, v2, v1
	s_delay_alu instid0(VALU_DEP_1) | instskip(NEXT) | instid1(VALU_DEP_1)
	v_lshlrev_b64 v[23:24], 3, v[2:3]
	v_add_co_u32 v23, s22, s46, v23
	s_delay_alu instid0(VALU_DEP_1)
	v_add_co_ci_u32_e64 v24, s22, s47, v24, s22
	s_waitcnt lgkmcnt(0)
	global_store_b64 v[23:24], v[20:21], off
	s_or_b32 exec_lo, exec_lo, s23
	s_and_saveexec_b32 s22, s21
	s_cbranch_execnz .LBB1643_335
.LBB1643_328:                           ;   in Loop: Header=BB1643_232 Depth=2
	s_or_b32 exec_lo, exec_lo, s22
	s_and_saveexec_b32 s21, s20
	s_cbranch_execz .LBB1643_336
.LBB1643_329:                           ;   in Loop: Header=BB1643_232 Depth=2
	v_lshlrev_b32_e32 v2, 2, v90
	v_add_nc_u32_e32 v20, v35, v52
	ds_load_b32 v2, v2
	ds_load_b64 v[20:21], v20 offset:4096
	s_waitcnt lgkmcnt(1)
	v_add_nc_u32_e32 v2, v2, v30
	s_delay_alu instid0(VALU_DEP_1) | instskip(NEXT) | instid1(VALU_DEP_1)
	v_lshlrev_b64 v[23:24], 3, v[2:3]
	v_add_co_u32 v23, s20, s46, v23
	s_delay_alu instid0(VALU_DEP_1)
	v_add_co_ci_u32_e64 v24, s20, s47, v24, s20
	s_waitcnt lgkmcnt(0)
	global_store_b64 v[23:24], v[20:21], off
	s_or_b32 exec_lo, exec_lo, s21
	s_and_saveexec_b32 s20, s19
	s_cbranch_execnz .LBB1643_337
.LBB1643_330:                           ;   in Loop: Header=BB1643_232 Depth=2
	s_or_b32 exec_lo, exec_lo, s20
	s_and_saveexec_b32 s19, s18
	s_cbranch_execz .LBB1643_338
.LBB1643_331:                           ;   in Loop: Header=BB1643_232 Depth=2
	v_lshlrev_b32_e32 v2, 2, v88
	v_add_nc_u32_e32 v20, v35, v52
	ds_load_b32 v2, v2
	ds_load_b64 v[20:21], v20 offset:8192
	s_waitcnt lgkmcnt(1)
	v_add_nc_u32_e32 v2, v2, v35
	s_delay_alu instid0(VALU_DEP_1) | instskip(NEXT) | instid1(VALU_DEP_1)
	v_lshlrev_b64 v[23:24], 3, v[2:3]
	v_add_co_u32 v23, s18, s46, v23
	s_delay_alu instid0(VALU_DEP_1)
	v_add_co_ci_u32_e64 v24, s18, s47, v24, s18
	s_waitcnt lgkmcnt(0)
	global_store_b64 v[23:24], v[20:21], off
	s_or_b32 exec_lo, exec_lo, s19
	s_and_saveexec_b32 s18, s17
	s_cbranch_execnz .LBB1643_339
.LBB1643_332:                           ;   in Loop: Header=BB1643_232 Depth=2
	s_or_b32 exec_lo, exec_lo, s18
	s_and_saveexec_b32 s17, s16
	s_cbranch_execz .LBB1643_340
.LBB1643_333:                           ;   in Loop: Header=BB1643_232 Depth=2
	v_lshlrev_b32_e32 v2, 2, v86
	v_add_nc_u32_e32 v20, v35, v52
	ds_load_b32 v2, v2
	ds_load_b64 v[20:21], v20 offset:12288
	s_waitcnt lgkmcnt(1)
	v_add_nc_u32_e32 v2, v2, v37
	s_delay_alu instid0(VALU_DEP_1) | instskip(NEXT) | instid1(VALU_DEP_1)
	v_lshlrev_b64 v[23:24], 3, v[2:3]
	v_add_co_u32 v23, s16, s46, v23
	s_delay_alu instid0(VALU_DEP_1)
	v_add_co_ci_u32_e64 v24, s16, s47, v24, s16
	s_waitcnt lgkmcnt(0)
	global_store_b64 v[23:24], v[20:21], off
	s_or_b32 exec_lo, exec_lo, s17
	s_and_saveexec_b32 s16, vcc_lo
	s_cbranch_execnz .LBB1643_341
	s_branch .LBB1643_342
.LBB1643_334:                           ;   in Loop: Header=BB1643_232 Depth=2
	s_or_b32 exec_lo, exec_lo, s23
	s_and_saveexec_b32 s22, s21
	s_cbranch_execz .LBB1643_328
.LBB1643_335:                           ;   in Loop: Header=BB1643_232 Depth=2
	v_lshlrev_b32_e32 v2, 2, v91
	v_add_nc_u32_e32 v20, v35, v52
	ds_load_b32 v2, v2
	ds_load_b64 v[20:21], v20 offset:2048
	s_waitcnt lgkmcnt(1)
	v_add_nc_u32_e32 v2, v2, v29
	s_delay_alu instid0(VALU_DEP_1) | instskip(NEXT) | instid1(VALU_DEP_1)
	v_lshlrev_b64 v[23:24], 3, v[2:3]
	v_add_co_u32 v23, s21, s46, v23
	s_delay_alu instid0(VALU_DEP_1)
	v_add_co_ci_u32_e64 v24, s21, s47, v24, s21
	s_waitcnt lgkmcnt(0)
	global_store_b64 v[23:24], v[20:21], off
	s_or_b32 exec_lo, exec_lo, s22
	s_and_saveexec_b32 s21, s20
	s_cbranch_execnz .LBB1643_329
.LBB1643_336:                           ;   in Loop: Header=BB1643_232 Depth=2
	s_or_b32 exec_lo, exec_lo, s21
	s_and_saveexec_b32 s20, s19
	s_cbranch_execz .LBB1643_330
.LBB1643_337:                           ;   in Loop: Header=BB1643_232 Depth=2
	v_lshlrev_b32_e32 v2, 2, v89
	v_add_nc_u32_e32 v20, v35, v52
	ds_load_b32 v2, v2
	ds_load_b64 v[20:21], v20 offset:6144
	s_waitcnt lgkmcnt(1)
	v_add_nc_u32_e32 v2, v2, v31
	s_delay_alu instid0(VALU_DEP_1) | instskip(NEXT) | instid1(VALU_DEP_1)
	v_lshlrev_b64 v[23:24], 3, v[2:3]
	v_add_co_u32 v23, s19, s46, v23
	s_delay_alu instid0(VALU_DEP_1)
	v_add_co_ci_u32_e64 v24, s19, s47, v24, s19
	s_waitcnt lgkmcnt(0)
	global_store_b64 v[23:24], v[20:21], off
	s_or_b32 exec_lo, exec_lo, s20
	s_and_saveexec_b32 s19, s18
	s_cbranch_execnz .LBB1643_331
.LBB1643_338:                           ;   in Loop: Header=BB1643_232 Depth=2
	s_or_b32 exec_lo, exec_lo, s19
	s_and_saveexec_b32 s18, s17
	s_cbranch_execz .LBB1643_332
.LBB1643_339:                           ;   in Loop: Header=BB1643_232 Depth=2
	v_lshlrev_b32_e32 v2, 2, v87
	v_add_nc_u32_e32 v20, v35, v52
	ds_load_b32 v2, v2
	ds_load_b64 v[20:21], v20 offset:10240
	s_waitcnt lgkmcnt(1)
	v_add_nc_u32_e32 v2, v2, v36
	s_delay_alu instid0(VALU_DEP_1) | instskip(NEXT) | instid1(VALU_DEP_1)
	v_lshlrev_b64 v[23:24], 3, v[2:3]
	v_add_co_u32 v23, s17, s46, v23
	s_delay_alu instid0(VALU_DEP_1)
	v_add_co_ci_u32_e64 v24, s17, s47, v24, s17
	s_waitcnt lgkmcnt(0)
	global_store_b64 v[23:24], v[20:21], off
	s_or_b32 exec_lo, exec_lo, s18
	s_and_saveexec_b32 s17, s16
	s_cbranch_execnz .LBB1643_333
.LBB1643_340:                           ;   in Loop: Header=BB1643_232 Depth=2
	s_or_b32 exec_lo, exec_lo, s17
	s_and_saveexec_b32 s16, vcc_lo
	s_cbranch_execz .LBB1643_342
.LBB1643_341:                           ;   in Loop: Header=BB1643_232 Depth=2
	v_lshlrev_b32_e32 v2, 2, v85
	v_add_nc_u32_e32 v20, v35, v52
	ds_load_b32 v2, v2
	ds_load_b64 v[20:21], v20 offset:14336
	s_waitcnt lgkmcnt(1)
	v_add_nc_u32_e32 v2, v2, v39
	s_delay_alu instid0(VALU_DEP_1) | instskip(NEXT) | instid1(VALU_DEP_1)
	v_lshlrev_b64 v[23:24], 3, v[2:3]
	v_add_co_u32 v23, vcc_lo, s46, v23
	s_delay_alu instid0(VALU_DEP_2)
	v_add_co_ci_u32_e32 v24, vcc_lo, s47, v24, vcc_lo
	s_waitcnt lgkmcnt(0)
	global_store_b64 v[23:24], v[20:21], off
.LBB1643_342:                           ;   in Loop: Header=BB1643_232 Depth=2
	s_or_b32 exec_lo, exec_lo, s16
	s_waitcnt_vscnt null, 0x0
	s_barrier
	buffer_gl0_inv
	s_and_saveexec_b32 s16, s2
	s_cbranch_execz .LBB1643_231
; %bb.343:                              ;   in Loop: Header=BB1643_232 Depth=2
	ds_load_b32 v2, v28
	s_waitcnt lgkmcnt(0)
	v_add_nc_u32_e32 v2, v2, v22
	ds_store_b32 v28, v2
	s_branch .LBB1643_231
.LBB1643_344:                           ;   in Loop: Header=BB1643_12 Depth=1
	s_waitcnt lgkmcnt(0)
	s_barrier
.LBB1643_345:                           ;   in Loop: Header=BB1643_12 Depth=1
	s_mov_b32 s0, 0
.LBB1643_346:                           ;   in Loop: Header=BB1643_12 Depth=1
	s_delay_alu instid0(SALU_CYCLE_1)
	s_and_not1_b32 vcc_lo, exec_lo, s0
	s_cbranch_vccnz .LBB1643_11
; %bb.347:                              ;   in Loop: Header=BB1643_12 Depth=1
	s_and_b32 vcc_lo, exec_lo, s34
	s_mov_b32 s0, -1
	s_cbranch_vccz .LBB1643_513
; %bb.348:                              ;   in Loop: Header=BB1643_12 Depth=1
	s_mov_b32 s0, s35
	s_mov_b32 s9, s27
	s_barrier
	buffer_gl0_inv
                                        ; implicit-def: $vgpr2
                                        ; implicit-def: $vgpr6
                                        ; implicit-def: $vgpr7
                                        ; implicit-def: $vgpr8
                                        ; implicit-def: $vgpr9
                                        ; implicit-def: $vgpr10
                                        ; implicit-def: $vgpr11
                                        ; implicit-def: $vgpr12
	s_branch .LBB1643_350
.LBB1643_349:                           ;   in Loop: Header=BB1643_350 Depth=2
	s_or_b32 exec_lo, exec_lo, s8
	s_addk_i32 s0, 0xf800
	s_cmp_ge_u32 s1, s33
	s_mov_b32 s9, s1
	s_cbranch_scc1 .LBB1643_388
.LBB1643_350:                           ;   Parent Loop BB1643_12 Depth=1
                                        ; =>  This Inner Loop Header: Depth=2
	s_add_i32 s1, s9, 0x800
	s_delay_alu instid0(SALU_CYCLE_1)
	s_cmp_gt_u32 s1, s33
	s_cbranch_scc1 .LBB1643_353
; %bb.351:                              ;   in Loop: Header=BB1643_350 Depth=2
	v_add_co_u32 v4, vcc_lo, v59, s9
	v_add_co_ci_u32_e32 v5, vcc_lo, 0, v60, vcc_lo
	s_mov_b32 s8, -1
	s_movk_i32 s12, 0x800
	s_clause 0x6
	global_load_u8 v20, v[4:5], off offset:1536
	global_load_u8 v19, v[4:5], off offset:1280
	global_load_u8 v18, v[4:5], off offset:1024
	global_load_u8 v17, v[4:5], off offset:768
	global_load_u8 v16, v[4:5], off offset:512
	global_load_u8 v15, v[4:5], off offset:256
	global_load_u8 v14, v[4:5], off
	v_add_co_u32 v4, vcc_lo, 0x700, v4
	v_add_co_ci_u32_e32 v5, vcc_lo, 0, v5, vcc_lo
	s_cbranch_execz .LBB1643_354
; %bb.352:                              ;   in Loop: Header=BB1643_350 Depth=2
                                        ; implicit-def: $vgpr2
                                        ; implicit-def: $vgpr6
                                        ; implicit-def: $vgpr7
                                        ; implicit-def: $vgpr8
                                        ; implicit-def: $vgpr9
                                        ; implicit-def: $vgpr10
                                        ; implicit-def: $vgpr11
                                        ; implicit-def: $vgpr12
	v_mov_b32_e32 v13, s0
	s_and_saveexec_b32 s9, s8
	s_cbranch_execnz .LBB1643_365
	s_branch .LBB1643_366
.LBB1643_353:                           ;   in Loop: Header=BB1643_350 Depth=2
	s_mov_b32 s8, 0
                                        ; implicit-def: $sgpr12
                                        ; implicit-def: $vgpr14
                                        ; implicit-def: $vgpr15
                                        ; implicit-def: $vgpr16
                                        ; implicit-def: $vgpr17
                                        ; implicit-def: $vgpr18
                                        ; implicit-def: $vgpr19
                                        ; implicit-def: $vgpr20
                                        ; implicit-def: $vgpr4_vgpr5
.LBB1643_354:                           ;   in Loop: Header=BB1643_350 Depth=2
	s_add_u32 s10, s36, s9
	s_addc_u32 s11, s37, 0
	s_mov_b32 s12, exec_lo
	v_cmpx_gt_u32_e64 s0, v1
	s_cbranch_execz .LBB1643_382
; %bb.355:                              ;   in Loop: Header=BB1643_350 Depth=2
	v_add_co_u32 v4, s13, s10, v1
	s_delay_alu instid0(VALU_DEP_1) | instskip(SKIP_2) | instid1(SALU_CYCLE_1)
	v_add_co_ci_u32_e64 v5, null, s11, 0, s13
	global_load_u8 v2, v[4:5], off
	s_or_b32 exec_lo, exec_lo, s12
	s_mov_b32 s12, exec_lo
	v_cmpx_gt_u32_e64 s0, v29
	s_cbranch_execnz .LBB1643_383
.LBB1643_356:                           ;   in Loop: Header=BB1643_350 Depth=2
	s_or_b32 exec_lo, exec_lo, s12
	s_delay_alu instid0(SALU_CYCLE_1)
	s_mov_b32 s12, exec_lo
	v_cmpx_gt_u32_e64 s0, v30
	s_cbranch_execz .LBB1643_384
.LBB1643_357:                           ;   in Loop: Header=BB1643_350 Depth=2
	v_add_co_u32 v4, s13, s10, v1
	s_delay_alu instid0(VALU_DEP_1) | instskip(SKIP_2) | instid1(SALU_CYCLE_1)
	v_add_co_ci_u32_e64 v5, null, s11, 0, s13
	global_load_u8 v7, v[4:5], off offset:512
	s_or_b32 exec_lo, exec_lo, s12
	s_mov_b32 s12, exec_lo
	v_cmpx_gt_u32_e64 s0, v31
	s_cbranch_execnz .LBB1643_385
.LBB1643_358:                           ;   in Loop: Header=BB1643_350 Depth=2
	s_or_b32 exec_lo, exec_lo, s12
	s_delay_alu instid0(SALU_CYCLE_1)
	s_mov_b32 s12, exec_lo
	v_cmpx_gt_u32_e64 s0, v35
	s_cbranch_execz .LBB1643_386
.LBB1643_359:                           ;   in Loop: Header=BB1643_350 Depth=2
	v_add_co_u32 v4, s13, s10, v1
	s_delay_alu instid0(VALU_DEP_1) | instskip(SKIP_2) | instid1(SALU_CYCLE_1)
	v_add_co_ci_u32_e64 v5, null, s11, 0, s13
	global_load_u8 v9, v[4:5], off offset:1024
	s_or_b32 exec_lo, exec_lo, s12
	s_mov_b32 s12, exec_lo
	v_cmpx_gt_u32_e64 s0, v36
	s_cbranch_execnz .LBB1643_387
.LBB1643_360:                           ;   in Loop: Header=BB1643_350 Depth=2
	s_or_b32 exec_lo, exec_lo, s12
	s_delay_alu instid0(SALU_CYCLE_1)
	s_mov_b32 s12, exec_lo
	v_cmpx_gt_u32_e64 s0, v37
	s_cbranch_execz .LBB1643_362
.LBB1643_361:                           ;   in Loop: Header=BB1643_350 Depth=2
	v_add_co_u32 v4, s13, s10, v1
	s_delay_alu instid0(VALU_DEP_1)
	v_add_co_ci_u32_e64 v5, null, s11, 0, s13
	global_load_u8 v11, v[4:5], off offset:1536
.LBB1643_362:                           ;   in Loop: Header=BB1643_350 Depth=2
	s_or_b32 exec_lo, exec_lo, s12
	s_delay_alu instid0(SALU_CYCLE_1)
	s_mov_b32 s13, exec_lo
                                        ; implicit-def: $sgpr12
                                        ; implicit-def: $vgpr4_vgpr5
	v_cmpx_gt_u32_e64 s0, v39
; %bb.363:                              ;   in Loop: Header=BB1643_350 Depth=2
	v_add_co_u32 v4, s10, s10, v1
	s_delay_alu instid0(VALU_DEP_1) | instskip(SKIP_1) | instid1(VALU_DEP_2)
	v_add_co_ci_u32_e64 v5, null, s11, 0, s10
	s_sub_i32 s12, s33, s9
	v_add_co_u32 v4, vcc_lo, 0x700, v4
	s_delay_alu instid0(VALU_DEP_2)
	v_add_co_ci_u32_e32 v5, vcc_lo, 0, v5, vcc_lo
	s_or_b32 s8, s8, exec_lo
                                        ; implicit-def: $vgpr12
; %bb.364:                              ;   in Loop: Header=BB1643_350 Depth=2
	s_or_b32 exec_lo, exec_lo, s13
	s_waitcnt vmcnt(0)
	v_dual_mov_b32 v14, v2 :: v_dual_mov_b32 v17, v8
	v_dual_mov_b32 v15, v6 :: v_dual_mov_b32 v16, v7
	;; [unrolled: 1-line block ×4, first 2 shown]
	s_and_saveexec_b32 s9, s8
	s_cbranch_execz .LBB1643_366
.LBB1643_365:                           ;   in Loop: Header=BB1643_350 Depth=2
	global_load_u8 v12, v[4:5], off
	s_waitcnt vmcnt(1)
	v_dual_mov_b32 v13, s12 :: v_dual_mov_b32 v2, v14
	v_dual_mov_b32 v6, v15 :: v_dual_mov_b32 v7, v16
	;; [unrolled: 1-line block ×4, first 2 shown]
.LBB1643_366:                           ;   in Loop: Header=BB1643_350 Depth=2
	s_or_b32 exec_lo, exec_lo, s9
	s_delay_alu instid0(SALU_CYCLE_1)
	s_mov_b32 s8, exec_lo
	v_cmpx_lt_u32_e64 v1, v13
	s_cbranch_execz .LBB1643_374
; %bb.367:                              ;   in Loop: Header=BB1643_350 Depth=2
	v_and_b32_e32 v4, 1, v2
	v_lshlrev_b32_e32 v5, 2, v32
	s_delay_alu instid0(VALU_DEP_2) | instskip(NEXT) | instid1(VALU_DEP_1)
	v_lshrrev_b32_e32 v4, s49, v4
	v_and_b32_e32 v4, s31, v4
	s_delay_alu instid0(VALU_DEP_1) | instskip(SKIP_2) | instid1(SALU_CYCLE_1)
	v_lshl_or_b32 v4, v4, 4, v5
	ds_add_u32 v4, v66
	s_or_b32 exec_lo, exec_lo, s8
	s_mov_b32 s8, exec_lo
	v_cmpx_lt_u32_e64 v29, v13
	s_cbranch_execnz .LBB1643_375
.LBB1643_368:                           ;   in Loop: Header=BB1643_350 Depth=2
	s_or_b32 exec_lo, exec_lo, s8
	s_delay_alu instid0(SALU_CYCLE_1)
	s_mov_b32 s8, exec_lo
	v_cmpx_lt_u32_e64 v30, v13
	s_cbranch_execz .LBB1643_376
.LBB1643_369:                           ;   in Loop: Header=BB1643_350 Depth=2
	v_and_b32_e32 v4, 1, v7
	v_lshlrev_b32_e32 v5, 2, v32
	s_delay_alu instid0(VALU_DEP_2) | instskip(NEXT) | instid1(VALU_DEP_1)
	v_lshrrev_b32_e32 v4, s49, v4
	v_and_b32_e32 v4, s31, v4
	s_delay_alu instid0(VALU_DEP_1) | instskip(SKIP_2) | instid1(SALU_CYCLE_1)
	v_lshl_or_b32 v4, v4, 4, v5
	ds_add_u32 v4, v66
	s_or_b32 exec_lo, exec_lo, s8
	s_mov_b32 s8, exec_lo
	v_cmpx_lt_u32_e64 v31, v13
	s_cbranch_execnz .LBB1643_377
.LBB1643_370:                           ;   in Loop: Header=BB1643_350 Depth=2
	s_or_b32 exec_lo, exec_lo, s8
	s_delay_alu instid0(SALU_CYCLE_1)
	s_mov_b32 s8, exec_lo
	v_cmpx_lt_u32_e64 v35, v13
	s_cbranch_execz .LBB1643_378
.LBB1643_371:                           ;   in Loop: Header=BB1643_350 Depth=2
	v_and_b32_e32 v4, 1, v9
	v_lshlrev_b32_e32 v5, 2, v32
	s_delay_alu instid0(VALU_DEP_2) | instskip(NEXT) | instid1(VALU_DEP_1)
	v_lshrrev_b32_e32 v4, s49, v4
	v_and_b32_e32 v4, s31, v4
	s_delay_alu instid0(VALU_DEP_1) | instskip(SKIP_2) | instid1(SALU_CYCLE_1)
	v_lshl_or_b32 v4, v4, 4, v5
	ds_add_u32 v4, v66
	s_or_b32 exec_lo, exec_lo, s8
	s_mov_b32 s8, exec_lo
	v_cmpx_lt_u32_e64 v36, v13
	s_cbranch_execnz .LBB1643_379
.LBB1643_372:                           ;   in Loop: Header=BB1643_350 Depth=2
	s_or_b32 exec_lo, exec_lo, s8
	s_delay_alu instid0(SALU_CYCLE_1)
	s_mov_b32 s8, exec_lo
	v_cmpx_lt_u32_e64 v37, v13
	s_cbranch_execz .LBB1643_380
.LBB1643_373:                           ;   in Loop: Header=BB1643_350 Depth=2
	v_and_b32_e32 v4, 1, v11
	v_lshlrev_b32_e32 v5, 2, v32
	s_delay_alu instid0(VALU_DEP_2) | instskip(NEXT) | instid1(VALU_DEP_1)
	v_lshrrev_b32_e32 v4, s49, v4
	v_and_b32_e32 v4, s31, v4
	s_delay_alu instid0(VALU_DEP_1) | instskip(SKIP_2) | instid1(SALU_CYCLE_1)
	v_lshl_or_b32 v4, v4, 4, v5
	ds_add_u32 v4, v66
	s_or_b32 exec_lo, exec_lo, s8
	s_mov_b32 s8, exec_lo
	v_cmpx_lt_u32_e64 v39, v13
	s_cbranch_execz .LBB1643_349
	s_branch .LBB1643_381
.LBB1643_374:                           ;   in Loop: Header=BB1643_350 Depth=2
	s_or_b32 exec_lo, exec_lo, s8
	s_delay_alu instid0(SALU_CYCLE_1)
	s_mov_b32 s8, exec_lo
	v_cmpx_lt_u32_e64 v29, v13
	s_cbranch_execz .LBB1643_368
.LBB1643_375:                           ;   in Loop: Header=BB1643_350 Depth=2
	v_and_b32_e32 v4, 1, v6
	v_lshlrev_b32_e32 v5, 2, v32
	s_delay_alu instid0(VALU_DEP_2) | instskip(NEXT) | instid1(VALU_DEP_1)
	v_lshrrev_b32_e32 v4, s49, v4
	v_and_b32_e32 v4, s31, v4
	s_delay_alu instid0(VALU_DEP_1) | instskip(SKIP_2) | instid1(SALU_CYCLE_1)
	v_lshl_or_b32 v4, v4, 4, v5
	ds_add_u32 v4, v66
	s_or_b32 exec_lo, exec_lo, s8
	s_mov_b32 s8, exec_lo
	v_cmpx_lt_u32_e64 v30, v13
	s_cbranch_execnz .LBB1643_369
.LBB1643_376:                           ;   in Loop: Header=BB1643_350 Depth=2
	s_or_b32 exec_lo, exec_lo, s8
	s_delay_alu instid0(SALU_CYCLE_1)
	s_mov_b32 s8, exec_lo
	v_cmpx_lt_u32_e64 v31, v13
	s_cbranch_execz .LBB1643_370
.LBB1643_377:                           ;   in Loop: Header=BB1643_350 Depth=2
	v_and_b32_e32 v4, 1, v8
	v_lshlrev_b32_e32 v5, 2, v32
	s_delay_alu instid0(VALU_DEP_2) | instskip(NEXT) | instid1(VALU_DEP_1)
	v_lshrrev_b32_e32 v4, s49, v4
	v_and_b32_e32 v4, s31, v4
	s_delay_alu instid0(VALU_DEP_1) | instskip(SKIP_2) | instid1(SALU_CYCLE_1)
	v_lshl_or_b32 v4, v4, 4, v5
	ds_add_u32 v4, v66
	s_or_b32 exec_lo, exec_lo, s8
	s_mov_b32 s8, exec_lo
	v_cmpx_lt_u32_e64 v35, v13
	s_cbranch_execnz .LBB1643_371
.LBB1643_378:                           ;   in Loop: Header=BB1643_350 Depth=2
	s_or_b32 exec_lo, exec_lo, s8
	s_delay_alu instid0(SALU_CYCLE_1)
	s_mov_b32 s8, exec_lo
	v_cmpx_lt_u32_e64 v36, v13
	s_cbranch_execz .LBB1643_372
.LBB1643_379:                           ;   in Loop: Header=BB1643_350 Depth=2
	v_and_b32_e32 v4, 1, v10
	v_lshlrev_b32_e32 v5, 2, v32
	s_delay_alu instid0(VALU_DEP_2) | instskip(NEXT) | instid1(VALU_DEP_1)
	v_lshrrev_b32_e32 v4, s49, v4
	v_and_b32_e32 v4, s31, v4
	s_delay_alu instid0(VALU_DEP_1) | instskip(SKIP_2) | instid1(SALU_CYCLE_1)
	v_lshl_or_b32 v4, v4, 4, v5
	ds_add_u32 v4, v66
	s_or_b32 exec_lo, exec_lo, s8
	s_mov_b32 s8, exec_lo
	v_cmpx_lt_u32_e64 v37, v13
	s_cbranch_execnz .LBB1643_373
.LBB1643_380:                           ;   in Loop: Header=BB1643_350 Depth=2
	s_or_b32 exec_lo, exec_lo, s8
	s_delay_alu instid0(SALU_CYCLE_1)
	s_mov_b32 s8, exec_lo
	v_cmpx_lt_u32_e64 v39, v13
	s_cbranch_execz .LBB1643_349
.LBB1643_381:                           ;   in Loop: Header=BB1643_350 Depth=2
	s_waitcnt vmcnt(0)
	v_and_b32_e32 v4, 1, v12
	v_lshlrev_b32_e32 v5, 2, v32
	s_delay_alu instid0(VALU_DEP_2) | instskip(NEXT) | instid1(VALU_DEP_1)
	v_lshrrev_b32_e32 v4, s49, v4
	v_and_b32_e32 v4, s31, v4
	s_delay_alu instid0(VALU_DEP_1)
	v_lshl_or_b32 v4, v4, 4, v5
	ds_add_u32 v4, v66
	s_branch .LBB1643_349
.LBB1643_382:                           ;   in Loop: Header=BB1643_350 Depth=2
	s_or_b32 exec_lo, exec_lo, s12
	s_delay_alu instid0(SALU_CYCLE_1)
	s_mov_b32 s12, exec_lo
	v_cmpx_gt_u32_e64 s0, v29
	s_cbranch_execz .LBB1643_356
.LBB1643_383:                           ;   in Loop: Header=BB1643_350 Depth=2
	v_add_co_u32 v4, s13, s10, v1
	s_delay_alu instid0(VALU_DEP_1) | instskip(SKIP_2) | instid1(SALU_CYCLE_1)
	v_add_co_ci_u32_e64 v5, null, s11, 0, s13
	global_load_u8 v6, v[4:5], off offset:256
	s_or_b32 exec_lo, exec_lo, s12
	s_mov_b32 s12, exec_lo
	v_cmpx_gt_u32_e64 s0, v30
	s_cbranch_execnz .LBB1643_357
.LBB1643_384:                           ;   in Loop: Header=BB1643_350 Depth=2
	s_or_b32 exec_lo, exec_lo, s12
	s_delay_alu instid0(SALU_CYCLE_1)
	s_mov_b32 s12, exec_lo
	v_cmpx_gt_u32_e64 s0, v31
	s_cbranch_execz .LBB1643_358
.LBB1643_385:                           ;   in Loop: Header=BB1643_350 Depth=2
	v_add_co_u32 v4, s13, s10, v1
	s_delay_alu instid0(VALU_DEP_1) | instskip(SKIP_2) | instid1(SALU_CYCLE_1)
	v_add_co_ci_u32_e64 v5, null, s11, 0, s13
	global_load_u8 v8, v[4:5], off offset:768
	s_or_b32 exec_lo, exec_lo, s12
	s_mov_b32 s12, exec_lo
	v_cmpx_gt_u32_e64 s0, v35
	s_cbranch_execnz .LBB1643_359
.LBB1643_386:                           ;   in Loop: Header=BB1643_350 Depth=2
	s_or_b32 exec_lo, exec_lo, s12
	s_delay_alu instid0(SALU_CYCLE_1)
	s_mov_b32 s12, exec_lo
	v_cmpx_gt_u32_e64 s0, v36
	s_cbranch_execz .LBB1643_360
.LBB1643_387:                           ;   in Loop: Header=BB1643_350 Depth=2
	v_add_co_u32 v4, s13, s10, v1
	s_delay_alu instid0(VALU_DEP_1) | instskip(SKIP_2) | instid1(SALU_CYCLE_1)
	v_add_co_ci_u32_e64 v5, null, s11, 0, s13
	global_load_u8 v10, v[4:5], off offset:1280
	s_or_b32 exec_lo, exec_lo, s12
	s_mov_b32 s12, exec_lo
	v_cmpx_gt_u32_e64 s0, v37
	s_cbranch_execz .LBB1643_362
	s_branch .LBB1643_361
.LBB1643_388:                           ;   in Loop: Header=BB1643_12 Depth=1
	v_mov_b32_e32 v2, 0
	s_waitcnt vmcnt(0) lgkmcnt(0)
	s_barrier
	buffer_gl0_inv
	s_and_saveexec_b32 s0, s2
	s_cbranch_execz .LBB1643_390
; %bb.389:                              ;   in Loop: Header=BB1643_12 Depth=1
	ds_load_2addr_b64 v[4:7], v40 offset1:1
	s_waitcnt lgkmcnt(0)
	v_add_nc_u32_e32 v2, v5, v4
	s_delay_alu instid0(VALU_DEP_1)
	v_add3_u32 v2, v2, v6, v7
.LBB1643_390:                           ;   in Loop: Header=BB1643_12 Depth=1
	s_or_b32 exec_lo, exec_lo, s0
	v_and_b32_e32 v4, 15, v63
	s_delay_alu instid0(VALU_DEP_2) | instskip(SKIP_1) | instid1(VALU_DEP_3)
	v_mov_b32_dpp v5, v2 row_shr:1 row_mask:0xf bank_mask:0xf
	v_and_b32_e32 v6, 16, v63
	v_cmp_eq_u32_e64 s0, 0, v4
	v_cmp_lt_u32_e64 s1, 1, v4
	v_cmp_lt_u32_e64 s8, 3, v4
	;; [unrolled: 1-line block ×3, first 2 shown]
	v_cmp_eq_u32_e64 s10, 0, v6
	v_cndmask_b32_e64 v5, v5, 0, s0
	s_delay_alu instid0(VALU_DEP_1) | instskip(NEXT) | instid1(VALU_DEP_1)
	v_add_nc_u32_e32 v2, v5, v2
	v_mov_b32_dpp v5, v2 row_shr:2 row_mask:0xf bank_mask:0xf
	s_delay_alu instid0(VALU_DEP_1) | instskip(NEXT) | instid1(VALU_DEP_1)
	v_cndmask_b32_e64 v5, 0, v5, s1
	v_add_nc_u32_e32 v2, v2, v5
	s_delay_alu instid0(VALU_DEP_1) | instskip(NEXT) | instid1(VALU_DEP_1)
	v_mov_b32_dpp v5, v2 row_shr:4 row_mask:0xf bank_mask:0xf
	v_cndmask_b32_e64 v5, 0, v5, s8
	s_delay_alu instid0(VALU_DEP_1) | instskip(NEXT) | instid1(VALU_DEP_1)
	v_add_nc_u32_e32 v2, v2, v5
	v_mov_b32_dpp v5, v2 row_shr:8 row_mask:0xf bank_mask:0xf
	s_delay_alu instid0(VALU_DEP_1) | instskip(SKIP_1) | instid1(VALU_DEP_2)
	v_cndmask_b32_e64 v4, 0, v5, s9
	v_bfe_i32 v5, v63, 4, 1
	v_add_nc_u32_e32 v2, v2, v4
	ds_swizzle_b32 v4, v2 offset:swizzle(BROADCAST,32,15)
	s_waitcnt lgkmcnt(0)
	v_and_b32_e32 v4, v5, v4
	s_delay_alu instid0(VALU_DEP_1)
	v_add_nc_u32_e32 v4, v2, v4
	s_and_saveexec_b32 s11, s3
	s_cbranch_execz .LBB1643_392
; %bb.391:                              ;   in Loop: Header=BB1643_12 Depth=1
	ds_store_b32 v41, v4
.LBB1643_392:                           ;   in Loop: Header=BB1643_12 Depth=1
	s_or_b32 exec_lo, exec_lo, s11
	v_and_b32_e32 v2, 7, v63
	s_waitcnt lgkmcnt(0)
	s_barrier
	buffer_gl0_inv
	s_and_saveexec_b32 s11, s4
	s_cbranch_execz .LBB1643_394
; %bb.393:                              ;   in Loop: Header=BB1643_12 Depth=1
	ds_load_b32 v5, v42
	v_cmp_ne_u32_e32 vcc_lo, 0, v2
	s_waitcnt lgkmcnt(0)
	v_mov_b32_dpp v6, v5 row_shr:1 row_mask:0xf bank_mask:0xf
	s_delay_alu instid0(VALU_DEP_1) | instskip(SKIP_1) | instid1(VALU_DEP_2)
	v_cndmask_b32_e32 v6, 0, v6, vcc_lo
	v_cmp_lt_u32_e32 vcc_lo, 1, v2
	v_add_nc_u32_e32 v5, v6, v5
	s_delay_alu instid0(VALU_DEP_1) | instskip(NEXT) | instid1(VALU_DEP_1)
	v_mov_b32_dpp v6, v5 row_shr:2 row_mask:0xf bank_mask:0xf
	v_cndmask_b32_e32 v6, 0, v6, vcc_lo
	v_cmp_lt_u32_e32 vcc_lo, 3, v2
	s_delay_alu instid0(VALU_DEP_2) | instskip(NEXT) | instid1(VALU_DEP_1)
	v_add_nc_u32_e32 v5, v5, v6
	v_mov_b32_dpp v6, v5 row_shr:4 row_mask:0xf bank_mask:0xf
	s_delay_alu instid0(VALU_DEP_1) | instskip(NEXT) | instid1(VALU_DEP_1)
	v_cndmask_b32_e32 v6, 0, v6, vcc_lo
	v_add_nc_u32_e32 v5, v5, v6
	ds_store_b32 v42, v5
.LBB1643_394:                           ;   in Loop: Header=BB1643_12 Depth=1
	s_or_b32 exec_lo, exec_lo, s11
	v_mov_b32_e32 v5, 0
	s_waitcnt lgkmcnt(0)
	s_barrier
	buffer_gl0_inv
	s_and_saveexec_b32 s11, s5
	s_cbranch_execz .LBB1643_396
; %bb.395:                              ;   in Loop: Header=BB1643_12 Depth=1
	ds_load_b32 v5, v43
.LBB1643_396:                           ;   in Loop: Header=BB1643_12 Depth=1
	s_or_b32 exec_lo, exec_lo, s11
	v_add_nc_u32_e32 v6, -1, v63
	s_waitcnt lgkmcnt(0)
	v_add_nc_u32_e32 v4, v5, v4
	v_cmp_eq_u32_e64 s11, 0, v63
	s_barrier
	v_cmp_gt_i32_e32 vcc_lo, 0, v6
	buffer_gl0_inv
	v_cndmask_b32_e32 v6, v6, v63, vcc_lo
	s_delay_alu instid0(VALU_DEP_1)
	v_lshlrev_b32_e32 v69, 2, v6
	ds_bpermute_b32 v4, v69, v4
	s_and_saveexec_b32 s12, s2
	s_cbranch_execz .LBB1643_398
; %bb.397:                              ;   in Loop: Header=BB1643_12 Depth=1
	s_waitcnt lgkmcnt(0)
	v_cndmask_b32_e64 v4, v4, v5, s11
	s_delay_alu instid0(VALU_DEP_1)
	v_add_nc_u32_e32 v4, s27, v4
	ds_store_b32 v28, v4
.LBB1643_398:                           ;   in Loop: Header=BB1643_12 Depth=1
	s_or_b32 exec_lo, exec_lo, s12
	s_load_b64 s[12:13], s[28:29], 0x0
	v_cmp_lt_u32_e64 s14, 3, v2
	v_add_co_u32 v71, vcc_lo, v64, v63
	v_add_co_ci_u32_e32 v72, vcc_lo, 0, v65, vcc_lo
	v_or_b32_e32 v70, v63, v44
	s_mov_b32 s42, s35
	s_mov_b32 s24, s27
                                        ; implicit-def: $vgpr8_vgpr9
                                        ; implicit-def: $vgpr10_vgpr11
                                        ; implicit-def: $vgpr12_vgpr13
                                        ; implicit-def: $vgpr14_vgpr15
                                        ; implicit-def: $vgpr16_vgpr17
                                        ; implicit-def: $vgpr18_vgpr19
                                        ; implicit-def: $vgpr85
                                        ; implicit-def: $vgpr86
                                        ; implicit-def: $vgpr87
                                        ; implicit-def: $vgpr88
                                        ; implicit-def: $vgpr89
                                        ; implicit-def: $vgpr90
                                        ; implicit-def: $vgpr91
                                        ; implicit-def: $vgpr92
	s_delay_alu instid0(VALU_DEP_1)
	v_or_b32_e32 v75, 32, v70
	v_or_b32_e32 v76, 64, v70
	;; [unrolled: 1-line block ×7, first 2 shown]
	s_waitcnt lgkmcnt(0)
	s_cmp_lt_u32 s15, s13
	s_cselect_b32 s13, 14, 20
	s_delay_alu instid0(SALU_CYCLE_1) | instskip(SKIP_4) | instid1(SALU_CYCLE_1)
	s_add_u32 s16, s28, s13
	s_addc_u32 s17, s29, 0
	s_cmp_lt_u32 s26, s12
	global_load_u16 v4, v3, s[16:17]
	s_cselect_b32 s12, 12, 18
	s_add_u32 s12, s28, s12
	s_addc_u32 s13, s29, 0
	global_load_u16 v6, v3, s[12:13]
	v_cmp_eq_u32_e64 s12, 0, v2
	v_cmp_lt_u32_e64 s13, 1, v2
	v_lshlrev_b32_e32 v2, 3, v63
	s_delay_alu instid0(VALU_DEP_1)
	v_add_co_u32 v73, vcc_lo, v61, v2
	v_add_co_ci_u32_e32 v74, vcc_lo, 0, v62, vcc_lo
	v_add_co_u32 v83, vcc_lo, 0xe0, v71
	v_add_co_ci_u32_e32 v84, vcc_lo, 0, v72, vcc_lo
	s_waitcnt vmcnt(1)
	v_mad_u32_u24 v7, v45, v4, v0
	s_waitcnt vmcnt(0)
	s_delay_alu instid0(VALU_DEP_1) | instskip(NEXT) | instid1(VALU_DEP_1)
	v_mad_u64_u32 v[4:5], null, v7, v6, v[1:2]
                                        ; implicit-def: $vgpr6_vgpr7
	v_lshrrev_b32_e32 v82, 5, v4
                                        ; implicit-def: $vgpr4_vgpr5
	s_branch .LBB1643_400
.LBB1643_399:                           ;   in Loop: Header=BB1643_400 Depth=2
	s_or_b32 exec_lo, exec_lo, s16
	s_addk_i32 s42, 0xf800
	s_cmp_lt_u32 s43, s33
	s_mov_b32 s24, s43
	s_cbranch_scc0 .LBB1643_512
.LBB1643_400:                           ;   Parent Loop BB1643_12 Depth=1
                                        ; =>  This Inner Loop Header: Depth=2
	s_add_i32 s43, s24, 0x800
	s_delay_alu instid0(SALU_CYCLE_1)
	s_cmp_gt_u32 s43, s33
	s_cbranch_scc1 .LBB1643_403
; %bb.401:                              ;   in Loop: Header=BB1643_400 Depth=2
	v_add_co_u32 v20, vcc_lo, v71, s24
	v_add_co_ci_u32_e32 v21, vcc_lo, 0, v72, vcc_lo
	s_mov_b32 s17, 0
	s_mov_b32 s16, s24
	s_mov_b32 s19, -1
	s_clause 0x6
	global_load_u8 v93, v[20:21], off
	global_load_u8 v94, v[20:21], off offset:32
	global_load_u8 v95, v[20:21], off offset:64
	;; [unrolled: 1-line block ×6, first 2 shown]
	s_movk_i32 s18, 0x800
	s_cbranch_execz .LBB1643_404
; %bb.402:                              ;   in Loop: Header=BB1643_400 Depth=2
                                        ; implicit-def: $sgpr20
	v_mov_b32_e32 v100, s20
	v_mov_b32_e32 v2, s42
	s_and_saveexec_b32 s20, s19
	s_cbranch_execnz .LBB1643_419
	s_branch .LBB1643_420
.LBB1643_403:                           ;   in Loop: Header=BB1643_400 Depth=2
	s_mov_b32 s17, -1
	s_mov_b32 s19, 0
                                        ; implicit-def: $sgpr18
                                        ; implicit-def: $vgpr93
                                        ; implicit-def: $vgpr94
                                        ; implicit-def: $vgpr95
                                        ; implicit-def: $vgpr96
                                        ; implicit-def: $vgpr97
                                        ; implicit-def: $vgpr98
                                        ; implicit-def: $vgpr99
.LBB1643_404:                           ;   in Loop: Header=BB1643_400 Depth=2
	v_add_co_u32 v20, vcc_lo, v71, s24
	v_add_co_ci_u32_e32 v21, vcc_lo, 0, v72, vcc_lo
	s_waitcnt vmcnt(5)
	v_dual_mov_b32 v94, 1 :: v_dual_mov_b32 v93, 1
	s_mov_b32 s16, exec_lo
	v_cmpx_gt_u32_e64 s42, v70
	s_cbranch_execz .LBB1643_406
; %bb.405:                              ;   in Loop: Header=BB1643_400 Depth=2
	global_load_u8 v93, v[20:21], off
.LBB1643_406:                           ;   in Loop: Header=BB1643_400 Depth=2
	s_or_b32 exec_lo, exec_lo, s16
	s_delay_alu instid0(SALU_CYCLE_1)
	s_mov_b32 s16, exec_lo
	v_cmpx_gt_u32_e64 s42, v75
	s_cbranch_execz .LBB1643_408
; %bb.407:                              ;   in Loop: Header=BB1643_400 Depth=2
	global_load_u8 v94, v[20:21], off offset:32
.LBB1643_408:                           ;   in Loop: Header=BB1643_400 Depth=2
	s_or_b32 exec_lo, exec_lo, s16
	s_waitcnt vmcnt(3)
	v_dual_mov_b32 v96, 1 :: v_dual_mov_b32 v95, 1
	s_mov_b32 s16, exec_lo
	v_cmpx_gt_u32_e64 s42, v76
	s_cbranch_execz .LBB1643_410
; %bb.409:                              ;   in Loop: Header=BB1643_400 Depth=2
	global_load_u8 v95, v[20:21], off offset:64
.LBB1643_410:                           ;   in Loop: Header=BB1643_400 Depth=2
	s_or_b32 exec_lo, exec_lo, s16
	s_delay_alu instid0(SALU_CYCLE_1)
	s_mov_b32 s16, exec_lo
	v_cmpx_gt_u32_e64 s42, v77
	s_cbranch_execz .LBB1643_412
; %bb.411:                              ;   in Loop: Header=BB1643_400 Depth=2
	global_load_u8 v96, v[20:21], off offset:96
.LBB1643_412:                           ;   in Loop: Header=BB1643_400 Depth=2
	s_or_b32 exec_lo, exec_lo, s16
	s_waitcnt vmcnt(1)
	v_dual_mov_b32 v98, 1 :: v_dual_mov_b32 v97, 1
	s_mov_b32 s16, exec_lo
	v_cmpx_gt_u32_e64 s42, v78
	s_cbranch_execz .LBB1643_414
; %bb.413:                              ;   in Loop: Header=BB1643_400 Depth=2
	global_load_u8 v97, v[20:21], off offset:128
.LBB1643_414:                           ;   in Loop: Header=BB1643_400 Depth=2
	s_or_b32 exec_lo, exec_lo, s16
	s_delay_alu instid0(SALU_CYCLE_1)
	s_mov_b32 s16, exec_lo
	v_cmpx_gt_u32_e64 s42, v79
	s_cbranch_execz .LBB1643_416
; %bb.415:                              ;   in Loop: Header=BB1643_400 Depth=2
	global_load_u8 v98, v[20:21], off offset:160
.LBB1643_416:                           ;   in Loop: Header=BB1643_400 Depth=2
	s_or_b32 exec_lo, exec_lo, s16
	s_waitcnt vmcnt(0)
	v_mov_b32_e32 v99, 1
	s_mov_b32 s16, exec_lo
	v_cmpx_gt_u32_e64 s42, v80
	s_cbranch_execz .LBB1643_418
; %bb.417:                              ;   in Loop: Header=BB1643_400 Depth=2
	global_load_u8 v99, v[20:21], off offset:192
.LBB1643_418:                           ;   in Loop: Header=BB1643_400 Depth=2
	s_or_b32 exec_lo, exec_lo, s16
	v_cmp_gt_u32_e64 s19, s42, v81
	s_sub_i32 s18, s33, s24
	s_mov_b32 s20, 1
	s_mov_b64 s[16:17], s[24:25]
	v_mov_b32_e32 v100, s20
	v_mov_b32_e32 v2, s42
	s_and_saveexec_b32 s20, s19
	s_cbranch_execz .LBB1643_420
.LBB1643_419:                           ;   in Loop: Header=BB1643_400 Depth=2
	v_add_co_u32 v20, vcc_lo, v83, s16
	v_add_co_ci_u32_e32 v21, vcc_lo, s17, v84, vcc_lo
	v_mov_b32_e32 v2, s18
	global_load_u8 v100, v[20:21], off
.LBB1643_420:                           ;   in Loop: Header=BB1643_400 Depth=2
	s_or_b32 exec_lo, exec_lo, s20
	s_waitcnt vmcnt(6)
	v_and_b32_e32 v20, 0xff, v93
	ds_store_b32 v46, v3 offset:1056
	ds_store_2addr_b32 v47, v3, v3 offset0:1 offset1:2
	ds_store_2addr_b32 v47, v3, v3 offset0:3 offset1:4
	;; [unrolled: 1-line block ×4, first 2 shown]
	s_waitcnt vmcnt(0) lgkmcnt(0)
	s_barrier
	v_lshrrev_b32_e32 v20, s49, v20
	buffer_gl0_inv
	; wave barrier
	v_and_b32_e32 v21, s31, v20
	s_delay_alu instid0(VALU_DEP_1) | instskip(NEXT) | instid1(VALU_DEP_1)
	v_add_co_u32 v20, s16, v21, -1
	v_cndmask_b32_e64 v22, 0, 1, s16
	v_mad_u32_u24 v21, v21, 9, v82
	s_delay_alu instid0(VALU_DEP_2) | instskip(NEXT) | instid1(VALU_DEP_2)
	v_cmp_ne_u32_e32 vcc_lo, 0, v22
	v_lshl_add_u32 v102, v21, 2, 0x420
	v_xor_b32_e32 v20, vcc_lo, v20
	s_delay_alu instid0(VALU_DEP_1) | instskip(NEXT) | instid1(VALU_DEP_1)
	v_and_b32_e32 v20, exec_lo, v20
	v_mbcnt_lo_u32_b32 v101, v20, 0
	v_cmp_ne_u32_e64 s16, 0, v20
	s_delay_alu instid0(VALU_DEP_2) | instskip(NEXT) | instid1(VALU_DEP_2)
	v_cmp_eq_u32_e32 vcc_lo, 0, v101
	s_and_b32 s17, s16, vcc_lo
	s_delay_alu instid0(SALU_CYCLE_1)
	s_and_saveexec_b32 s16, s17
	s_cbranch_execz .LBB1643_422
; %bb.421:                              ;   in Loop: Header=BB1643_400 Depth=2
	v_bcnt_u32_b32 v20, v20, 0
	ds_store_b32 v102, v20
.LBB1643_422:                           ;   in Loop: Header=BB1643_400 Depth=2
	s_or_b32 exec_lo, exec_lo, s16
	v_and_b32_e32 v20, 0xff, v94
	; wave barrier
	s_delay_alu instid0(VALU_DEP_1) | instskip(NEXT) | instid1(VALU_DEP_1)
	v_lshrrev_b32_e32 v20, s49, v20
	v_and_b32_e32 v20, s31, v20
	s_delay_alu instid0(VALU_DEP_1) | instskip(NEXT) | instid1(VALU_DEP_1)
	v_add_co_u32 v21, s16, v20, -1
	v_cndmask_b32_e64 v22, 0, 1, s16
	v_mul_u32_u24_e32 v20, 9, v20
	s_delay_alu instid0(VALU_DEP_2) | instskip(NEXT) | instid1(VALU_DEP_2)
	v_cmp_ne_u32_e32 vcc_lo, 0, v22
	v_add_lshl_u32 v22, v20, v82, 2
	v_xor_b32_e32 v20, vcc_lo, v21
	ds_load_b32 v103, v22 offset:1056
	v_add_nc_u32_e32 v105, 0x420, v22
	; wave barrier
	v_and_b32_e32 v20, exec_lo, v20
	s_delay_alu instid0(VALU_DEP_1) | instskip(SKIP_1) | instid1(VALU_DEP_2)
	v_mbcnt_lo_u32_b32 v104, v20, 0
	v_cmp_ne_u32_e64 s16, 0, v20
	v_cmp_eq_u32_e32 vcc_lo, 0, v104
	s_delay_alu instid0(VALU_DEP_2) | instskip(NEXT) | instid1(SALU_CYCLE_1)
	s_and_b32 s17, s16, vcc_lo
	s_and_saveexec_b32 s16, s17
	s_cbranch_execz .LBB1643_424
; %bb.423:                              ;   in Loop: Header=BB1643_400 Depth=2
	s_waitcnt lgkmcnt(0)
	v_bcnt_u32_b32 v20, v20, v103
	ds_store_b32 v105, v20
.LBB1643_424:                           ;   in Loop: Header=BB1643_400 Depth=2
	s_or_b32 exec_lo, exec_lo, s16
	v_and_b32_e32 v20, 0xff, v95
	; wave barrier
	s_delay_alu instid0(VALU_DEP_1) | instskip(NEXT) | instid1(VALU_DEP_1)
	v_lshrrev_b32_e32 v20, s49, v20
	v_and_b32_e32 v20, s31, v20
	s_delay_alu instid0(VALU_DEP_1) | instskip(NEXT) | instid1(VALU_DEP_1)
	v_add_co_u32 v21, s16, v20, -1
	v_cndmask_b32_e64 v22, 0, 1, s16
	v_mul_u32_u24_e32 v20, 9, v20
	s_delay_alu instid0(VALU_DEP_2) | instskip(NEXT) | instid1(VALU_DEP_2)
	v_cmp_ne_u32_e32 vcc_lo, 0, v22
	v_add_lshl_u32 v22, v20, v82, 2
	v_xor_b32_e32 v20, vcc_lo, v21
	ds_load_b32 v106, v22 offset:1056
	v_add_nc_u32_e32 v109, 0x420, v22
	; wave barrier
	v_and_b32_e32 v20, exec_lo, v20
	s_delay_alu instid0(VALU_DEP_1) | instskip(SKIP_1) | instid1(VALU_DEP_2)
	v_mbcnt_lo_u32_b32 v107, v20, 0
	v_cmp_ne_u32_e64 s16, 0, v20
	v_cmp_eq_u32_e32 vcc_lo, 0, v107
	s_delay_alu instid0(VALU_DEP_2) | instskip(NEXT) | instid1(SALU_CYCLE_1)
	s_and_b32 s17, s16, vcc_lo
	s_and_saveexec_b32 s16, s17
	s_cbranch_execz .LBB1643_426
; %bb.425:                              ;   in Loop: Header=BB1643_400 Depth=2
	s_waitcnt lgkmcnt(0)
	v_bcnt_u32_b32 v20, v20, v106
	ds_store_b32 v109, v20
.LBB1643_426:                           ;   in Loop: Header=BB1643_400 Depth=2
	;; [unrolled: 31-line block ×7, first 2 shown]
	s_or_b32 exec_lo, exec_lo, s16
	; wave barrier
	s_waitcnt lgkmcnt(0)
	s_barrier
	buffer_gl0_inv
	ds_load_b32 v124, v46 offset:1056
	ds_load_2addr_b32 v[26:27], v47 offset0:1 offset1:2
	ds_load_2addr_b32 v[24:25], v47 offset0:3 offset1:4
	;; [unrolled: 1-line block ×4, first 2 shown]
	s_waitcnt lgkmcnt(3)
	v_add3_u32 v125, v26, v124, v27
	s_waitcnt lgkmcnt(2)
	s_delay_alu instid0(VALU_DEP_1) | instskip(SKIP_1) | instid1(VALU_DEP_1)
	v_add3_u32 v125, v125, v24, v25
	s_waitcnt lgkmcnt(1)
	v_add3_u32 v125, v125, v20, v21
	s_waitcnt lgkmcnt(0)
	s_delay_alu instid0(VALU_DEP_1) | instskip(NEXT) | instid1(VALU_DEP_1)
	v_add3_u32 v23, v125, v22, v23
	v_mov_b32_dpp v125, v23 row_shr:1 row_mask:0xf bank_mask:0xf
	s_delay_alu instid0(VALU_DEP_1) | instskip(NEXT) | instid1(VALU_DEP_1)
	v_cndmask_b32_e64 v125, v125, 0, s0
	v_add_nc_u32_e32 v23, v125, v23
	s_delay_alu instid0(VALU_DEP_1) | instskip(NEXT) | instid1(VALU_DEP_1)
	v_mov_b32_dpp v125, v23 row_shr:2 row_mask:0xf bank_mask:0xf
	v_cndmask_b32_e64 v125, 0, v125, s1
	s_delay_alu instid0(VALU_DEP_1) | instskip(NEXT) | instid1(VALU_DEP_1)
	v_add_nc_u32_e32 v23, v23, v125
	v_mov_b32_dpp v125, v23 row_shr:4 row_mask:0xf bank_mask:0xf
	s_delay_alu instid0(VALU_DEP_1) | instskip(NEXT) | instid1(VALU_DEP_1)
	v_cndmask_b32_e64 v125, 0, v125, s8
	v_add_nc_u32_e32 v23, v23, v125
	s_delay_alu instid0(VALU_DEP_1) | instskip(NEXT) | instid1(VALU_DEP_1)
	v_mov_b32_dpp v125, v23 row_shr:8 row_mask:0xf bank_mask:0xf
	v_cndmask_b32_e64 v125, 0, v125, s9
	s_delay_alu instid0(VALU_DEP_1) | instskip(SKIP_3) | instid1(VALU_DEP_1)
	v_add_nc_u32_e32 v23, v23, v125
	ds_swizzle_b32 v125, v23 offset:swizzle(BROADCAST,32,15)
	s_waitcnt lgkmcnt(0)
	v_cndmask_b32_e64 v125, v125, 0, s10
	v_add_nc_u32_e32 v23, v23, v125
	s_and_saveexec_b32 s16, s3
	s_cbranch_execz .LBB1643_438
; %bb.437:                              ;   in Loop: Header=BB1643_400 Depth=2
	ds_store_b32 v38, v23 offset:1024
.LBB1643_438:                           ;   in Loop: Header=BB1643_400 Depth=2
	s_or_b32 exec_lo, exec_lo, s16
	s_waitcnt lgkmcnt(0)
	s_barrier
	buffer_gl0_inv
	s_and_saveexec_b32 s16, s4
	s_cbranch_execz .LBB1643_440
; %bb.439:                              ;   in Loop: Header=BB1643_400 Depth=2
	v_add_nc_u32_e32 v125, v46, v48
	ds_load_b32 v126, v125 offset:1024
	s_waitcnt lgkmcnt(0)
	v_mov_b32_dpp v127, v126 row_shr:1 row_mask:0xf bank_mask:0xf
	s_delay_alu instid0(VALU_DEP_1) | instskip(NEXT) | instid1(VALU_DEP_1)
	v_cndmask_b32_e64 v127, v127, 0, s12
	v_add_nc_u32_e32 v126, v127, v126
	s_delay_alu instid0(VALU_DEP_1) | instskip(NEXT) | instid1(VALU_DEP_1)
	v_mov_b32_dpp v127, v126 row_shr:2 row_mask:0xf bank_mask:0xf
	v_cndmask_b32_e64 v127, 0, v127, s13
	s_delay_alu instid0(VALU_DEP_1) | instskip(NEXT) | instid1(VALU_DEP_1)
	v_add_nc_u32_e32 v126, v126, v127
	v_mov_b32_dpp v127, v126 row_shr:4 row_mask:0xf bank_mask:0xf
	s_delay_alu instid0(VALU_DEP_1) | instskip(NEXT) | instid1(VALU_DEP_1)
	v_cndmask_b32_e64 v127, 0, v127, s14
	v_add_nc_u32_e32 v126, v126, v127
	ds_store_b32 v125, v126 offset:1024
.LBB1643_440:                           ;   in Loop: Header=BB1643_400 Depth=2
	s_or_b32 exec_lo, exec_lo, s16
	v_mov_b32_e32 v125, 0
	s_waitcnt lgkmcnt(0)
	s_barrier
	buffer_gl0_inv
	s_and_saveexec_b32 s16, s5
	s_cbranch_execz .LBB1643_442
; %bb.441:                              ;   in Loop: Header=BB1643_400 Depth=2
	ds_load_b32 v125, v38 offset:1020
.LBB1643_442:                           ;   in Loop: Header=BB1643_400 Depth=2
	s_or_b32 exec_lo, exec_lo, s16
	s_waitcnt lgkmcnt(0)
	v_add_nc_u32_e32 v23, v125, v23
	ds_bpermute_b32 v23, v69, v23
	s_waitcnt lgkmcnt(0)
	v_cndmask_b32_e64 v23, v23, v125, s11
	s_delay_alu instid0(VALU_DEP_1) | instskip(NEXT) | instid1(VALU_DEP_1)
	v_cndmask_b32_e64 v23, v23, 0, s6
	v_add_nc_u32_e32 v124, v23, v124
	s_delay_alu instid0(VALU_DEP_1) | instskip(NEXT) | instid1(VALU_DEP_1)
	v_add_nc_u32_e32 v26, v124, v26
	v_add_nc_u32_e32 v27, v26, v27
	s_delay_alu instid0(VALU_DEP_1) | instskip(NEXT) | instid1(VALU_DEP_1)
	v_add_nc_u32_e32 v24, v27, v24
	;; [unrolled: 3-line block ×3, first 2 shown]
	v_add_nc_u32_e32 v21, v20, v21
	s_delay_alu instid0(VALU_DEP_1)
	v_add_nc_u32_e32 v22, v21, v22
	ds_store_b32 v46, v23 offset:1056
	ds_store_2addr_b32 v47, v124, v26 offset0:1 offset1:2
	ds_store_2addr_b32 v47, v27, v24 offset0:3 offset1:4
	;; [unrolled: 1-line block ×4, first 2 shown]
	v_mov_b32_e32 v22, 0x800
	s_waitcnt lgkmcnt(0)
	s_barrier
	buffer_gl0_inv
	ds_load_b32 v20, v105
	ds_load_b32 v21, v109
	;; [unrolled: 1-line block ×8, first 2 shown]
	ds_load_b32 v27, v46 offset:1056
	s_and_saveexec_b32 s16, s7
	s_cbranch_execz .LBB1643_444
; %bb.443:                              ;   in Loop: Header=BB1643_400 Depth=2
	ds_load_b32 v22, v49 offset:1056
.LBB1643_444:                           ;   in Loop: Header=BB1643_400 Depth=2
	s_or_b32 exec_lo, exec_lo, s16
	s_waitcnt lgkmcnt(0)
	s_barrier
	buffer_gl0_inv
	s_and_saveexec_b32 s16, s2
	s_cbranch_execz .LBB1643_446
; %bb.445:                              ;   in Loop: Header=BB1643_400 Depth=2
	ds_load_b32 v102, v28
	s_waitcnt lgkmcnt(0)
	v_sub_nc_u32_e32 v27, v102, v27
	ds_store_b32 v28, v27
.LBB1643_446:                           ;   in Loop: Header=BB1643_400 Depth=2
	s_or_b32 exec_lo, exec_lo, s16
	v_add_nc_u32_e32 v105, v26, v101
	v_add3_u32 v102, v104, v103, v20
	v_add3_u32 v101, v107, v106, v21
	;; [unrolled: 1-line block ×7, first 2 shown]
	v_cmp_lt_u32_e64 s22, v1, v2
	ds_store_b8 v105, v93 offset:1024
	ds_store_b8 v102, v94 offset:1024
	;; [unrolled: 1-line block ×8, first 2 shown]
	s_waitcnt lgkmcnt(0)
	s_barrier
	buffer_gl0_inv
	s_and_saveexec_b32 s16, s22
	s_cbranch_execz .LBB1643_454
; %bb.447:                              ;   in Loop: Header=BB1643_400 Depth=2
	ds_load_u8 v20, v1 offset:1024
	s_waitcnt lgkmcnt(0)
	v_and_b32_e32 v21, 1, v20
	s_delay_alu instid0(VALU_DEP_1) | instskip(NEXT) | instid1(VALU_DEP_1)
	v_lshrrev_b32_e32 v21, s49, v21
	v_and_b32_e32 v21, s31, v21
	s_delay_alu instid0(VALU_DEP_1)
	v_lshlrev_b32_e32 v21, 2, v21
	ds_load_b32 v21, v21
	s_waitcnt lgkmcnt(0)
	v_add_nc_u32_e32 v21, v21, v1
	global_store_b8 v21, v20, s[38:39]
	s_or_b32 exec_lo, exec_lo, s16
	v_cmp_lt_u32_e64 s21, v29, v2
	s_delay_alu instid0(VALU_DEP_1)
	s_and_saveexec_b32 s16, s21
	s_cbranch_execnz .LBB1643_455
.LBB1643_448:                           ;   in Loop: Header=BB1643_400 Depth=2
	s_or_b32 exec_lo, exec_lo, s16
	v_cmp_lt_u32_e64 s20, v30, v2
	s_delay_alu instid0(VALU_DEP_1)
	s_and_saveexec_b32 s16, s20
	s_cbranch_execz .LBB1643_456
.LBB1643_449:                           ;   in Loop: Header=BB1643_400 Depth=2
	ds_load_u8 v20, v35 offset:512
	s_waitcnt lgkmcnt(0)
	v_and_b32_e32 v21, 1, v20
	s_delay_alu instid0(VALU_DEP_1) | instskip(NEXT) | instid1(VALU_DEP_1)
	v_lshrrev_b32_e32 v21, s49, v21
	v_and_b32_e32 v21, s31, v21
	s_delay_alu instid0(VALU_DEP_1)
	v_lshlrev_b32_e32 v21, 2, v21
	ds_load_b32 v21, v21
	s_waitcnt lgkmcnt(0)
	v_add_nc_u32_e32 v21, v21, v30
	global_store_b8 v21, v20, s[38:39]
	s_or_b32 exec_lo, exec_lo, s16
	v_cmp_lt_u32_e64 s19, v31, v2
	s_delay_alu instid0(VALU_DEP_1)
	s_and_saveexec_b32 s16, s19
	s_cbranch_execnz .LBB1643_457
.LBB1643_450:                           ;   in Loop: Header=BB1643_400 Depth=2
	s_or_b32 exec_lo, exec_lo, s16
	v_cmp_lt_u32_e64 s18, v35, v2
	s_delay_alu instid0(VALU_DEP_1)
	s_and_saveexec_b32 s16, s18
	s_cbranch_execz .LBB1643_458
.LBB1643_451:                           ;   in Loop: Header=BB1643_400 Depth=2
	ds_load_u8 v20, v35 offset:1024
	s_waitcnt lgkmcnt(0)
	v_and_b32_e32 v21, 1, v20
	s_delay_alu instid0(VALU_DEP_1) | instskip(NEXT) | instid1(VALU_DEP_1)
	v_lshrrev_b32_e32 v21, s49, v21
	v_and_b32_e32 v21, s31, v21
	s_delay_alu instid0(VALU_DEP_1)
	v_lshlrev_b32_e32 v21, 2, v21
	ds_load_b32 v21, v21
	s_waitcnt lgkmcnt(0)
	v_add_nc_u32_e32 v21, v21, v35
	global_store_b8 v21, v20, s[38:39]
	s_or_b32 exec_lo, exec_lo, s16
	v_cmp_lt_u32_e64 s17, v36, v2
	s_delay_alu instid0(VALU_DEP_1)
	s_and_saveexec_b32 s16, s17
	s_cbranch_execnz .LBB1643_459
.LBB1643_452:                           ;   in Loop: Header=BB1643_400 Depth=2
	s_or_b32 exec_lo, exec_lo, s16
	v_cmp_lt_u32_e64 s16, v37, v2
	s_delay_alu instid0(VALU_DEP_1)
	s_and_saveexec_b32 s23, s16
	s_cbranch_execz .LBB1643_460
.LBB1643_453:                           ;   in Loop: Header=BB1643_400 Depth=2
	ds_load_u8 v20, v35 offset:1536
	s_waitcnt lgkmcnt(0)
	v_and_b32_e32 v21, 1, v20
	s_delay_alu instid0(VALU_DEP_1) | instskip(NEXT) | instid1(VALU_DEP_1)
	v_lshrrev_b32_e32 v21, s49, v21
	v_and_b32_e32 v21, s31, v21
	s_delay_alu instid0(VALU_DEP_1)
	v_lshlrev_b32_e32 v21, 2, v21
	ds_load_b32 v21, v21
	s_waitcnt lgkmcnt(0)
	v_add_nc_u32_e32 v21, v21, v37
	global_store_b8 v21, v20, s[38:39]
	s_or_b32 exec_lo, exec_lo, s23
	v_cmp_lt_u32_e32 vcc_lo, v39, v2
	s_and_saveexec_b32 s23, vcc_lo
	s_cbranch_execnz .LBB1643_461
	s_branch .LBB1643_462
.LBB1643_454:                           ;   in Loop: Header=BB1643_400 Depth=2
	s_or_b32 exec_lo, exec_lo, s16
	v_cmp_lt_u32_e64 s21, v29, v2
	s_delay_alu instid0(VALU_DEP_1)
	s_and_saveexec_b32 s16, s21
	s_cbranch_execz .LBB1643_448
.LBB1643_455:                           ;   in Loop: Header=BB1643_400 Depth=2
	ds_load_u8 v20, v35 offset:256
	s_waitcnt lgkmcnt(0)
	v_and_b32_e32 v21, 1, v20
	s_delay_alu instid0(VALU_DEP_1) | instskip(NEXT) | instid1(VALU_DEP_1)
	v_lshrrev_b32_e32 v21, s49, v21
	v_and_b32_e32 v21, s31, v21
	s_delay_alu instid0(VALU_DEP_1)
	v_lshlrev_b32_e32 v21, 2, v21
	ds_load_b32 v21, v21
	s_waitcnt lgkmcnt(0)
	v_add_nc_u32_e32 v21, v21, v29
	global_store_b8 v21, v20, s[38:39]
	s_or_b32 exec_lo, exec_lo, s16
	v_cmp_lt_u32_e64 s20, v30, v2
	s_delay_alu instid0(VALU_DEP_1)
	s_and_saveexec_b32 s16, s20
	s_cbranch_execnz .LBB1643_449
.LBB1643_456:                           ;   in Loop: Header=BB1643_400 Depth=2
	s_or_b32 exec_lo, exec_lo, s16
	v_cmp_lt_u32_e64 s19, v31, v2
	s_delay_alu instid0(VALU_DEP_1)
	s_and_saveexec_b32 s16, s19
	s_cbranch_execz .LBB1643_450
.LBB1643_457:                           ;   in Loop: Header=BB1643_400 Depth=2
	ds_load_u8 v20, v35 offset:768
	s_waitcnt lgkmcnt(0)
	v_and_b32_e32 v21, 1, v20
	s_delay_alu instid0(VALU_DEP_1) | instskip(NEXT) | instid1(VALU_DEP_1)
	v_lshrrev_b32_e32 v21, s49, v21
	v_and_b32_e32 v21, s31, v21
	s_delay_alu instid0(VALU_DEP_1)
	v_lshlrev_b32_e32 v21, 2, v21
	ds_load_b32 v21, v21
	s_waitcnt lgkmcnt(0)
	v_add_nc_u32_e32 v21, v21, v31
	global_store_b8 v21, v20, s[38:39]
	s_or_b32 exec_lo, exec_lo, s16
	v_cmp_lt_u32_e64 s18, v35, v2
	s_delay_alu instid0(VALU_DEP_1)
	s_and_saveexec_b32 s16, s18
	s_cbranch_execnz .LBB1643_451
.LBB1643_458:                           ;   in Loop: Header=BB1643_400 Depth=2
	s_or_b32 exec_lo, exec_lo, s16
	v_cmp_lt_u32_e64 s17, v36, v2
	s_delay_alu instid0(VALU_DEP_1)
	s_and_saveexec_b32 s16, s17
	s_cbranch_execz .LBB1643_452
.LBB1643_459:                           ;   in Loop: Header=BB1643_400 Depth=2
	ds_load_u8 v20, v35 offset:1280
	s_waitcnt lgkmcnt(0)
	v_and_b32_e32 v21, 1, v20
	s_delay_alu instid0(VALU_DEP_1) | instskip(NEXT) | instid1(VALU_DEP_1)
	v_lshrrev_b32_e32 v21, s49, v21
	v_and_b32_e32 v21, s31, v21
	s_delay_alu instid0(VALU_DEP_1)
	v_lshlrev_b32_e32 v21, 2, v21
	ds_load_b32 v21, v21
	s_waitcnt lgkmcnt(0)
	v_add_nc_u32_e32 v21, v21, v36
	global_store_b8 v21, v20, s[38:39]
	s_or_b32 exec_lo, exec_lo, s16
	v_cmp_lt_u32_e64 s16, v37, v2
	s_delay_alu instid0(VALU_DEP_1)
	s_and_saveexec_b32 s23, s16
	s_cbranch_execnz .LBB1643_453
.LBB1643_460:                           ;   in Loop: Header=BB1643_400 Depth=2
	s_or_b32 exec_lo, exec_lo, s23
	v_cmp_lt_u32_e32 vcc_lo, v39, v2
	s_and_saveexec_b32 s23, vcc_lo
	s_cbranch_execz .LBB1643_462
.LBB1643_461:                           ;   in Loop: Header=BB1643_400 Depth=2
	ds_load_u8 v20, v35 offset:1792
	s_waitcnt lgkmcnt(0)
	v_and_b32_e32 v21, 1, v20
	s_delay_alu instid0(VALU_DEP_1) | instskip(NEXT) | instid1(VALU_DEP_1)
	v_lshrrev_b32_e32 v21, s49, v21
	v_and_b32_e32 v21, s31, v21
	s_delay_alu instid0(VALU_DEP_1)
	v_lshlrev_b32_e32 v21, 2, v21
	ds_load_b32 v21, v21
	s_waitcnt lgkmcnt(0)
	v_add_nc_u32_e32 v21, v21, v39
	global_store_b8 v21, v20, s[38:39]
.LBB1643_462:                           ;   in Loop: Header=BB1643_400 Depth=2
	s_or_b32 exec_lo, exec_lo, s23
	s_lshl_b64 s[52:53], s[24:25], 3
	s_delay_alu instid0(SALU_CYCLE_1) | instskip(NEXT) | instid1(VALU_DEP_1)
	v_add_co_u32 v20, s23, v73, s52
	v_add_co_ci_u32_e64 v21, s23, s53, v74, s23
	v_cmp_lt_u32_e64 s23, v70, v2
	s_delay_alu instid0(VALU_DEP_1) | instskip(NEXT) | instid1(SALU_CYCLE_1)
	s_and_saveexec_b32 s24, s23
	s_xor_b32 s23, exec_lo, s24
	s_cbranch_execz .LBB1643_478
; %bb.463:                              ;   in Loop: Header=BB1643_400 Depth=2
	global_load_b64 v[18:19], v[20:21], off
	s_or_b32 exec_lo, exec_lo, s23
	s_delay_alu instid0(SALU_CYCLE_1)
	s_mov_b32 s24, exec_lo
	v_cmpx_lt_u32_e64 v75, v2
	s_cbranch_execnz .LBB1643_479
.LBB1643_464:                           ;   in Loop: Header=BB1643_400 Depth=2
	s_or_b32 exec_lo, exec_lo, s24
	s_delay_alu instid0(SALU_CYCLE_1)
	s_mov_b32 s24, exec_lo
	v_cmpx_lt_u32_e64 v76, v2
	s_cbranch_execz .LBB1643_480
.LBB1643_465:                           ;   in Loop: Header=BB1643_400 Depth=2
	global_load_b64 v[14:15], v[20:21], off offset:512
	s_or_b32 exec_lo, exec_lo, s24
	s_delay_alu instid0(SALU_CYCLE_1)
	s_mov_b32 s24, exec_lo
	v_cmpx_lt_u32_e64 v77, v2
	s_cbranch_execnz .LBB1643_481
.LBB1643_466:                           ;   in Loop: Header=BB1643_400 Depth=2
	s_or_b32 exec_lo, exec_lo, s24
	s_delay_alu instid0(SALU_CYCLE_1)
	s_mov_b32 s24, exec_lo
	v_cmpx_lt_u32_e64 v78, v2
	s_cbranch_execz .LBB1643_482
.LBB1643_467:                           ;   in Loop: Header=BB1643_400 Depth=2
	global_load_b64 v[10:11], v[20:21], off offset:1024
	s_or_b32 exec_lo, exec_lo, s24
	s_delay_alu instid0(SALU_CYCLE_1)
	s_mov_b32 s24, exec_lo
	v_cmpx_lt_u32_e64 v79, v2
	s_cbranch_execnz .LBB1643_483
.LBB1643_468:                           ;   in Loop: Header=BB1643_400 Depth=2
	s_or_b32 exec_lo, exec_lo, s24
	s_delay_alu instid0(SALU_CYCLE_1)
	s_mov_b32 s24, exec_lo
	v_cmpx_lt_u32_e64 v80, v2
	s_cbranch_execz .LBB1643_484
.LBB1643_469:                           ;   in Loop: Header=BB1643_400 Depth=2
	global_load_b64 v[6:7], v[20:21], off offset:1536
	s_or_b32 exec_lo, exec_lo, s24
	s_delay_alu instid0(SALU_CYCLE_1)
	s_mov_b32 s24, exec_lo
	v_cmpx_lt_u32_e64 v81, v2
	s_cbranch_execnz .LBB1643_485
.LBB1643_470:                           ;   in Loop: Header=BB1643_400 Depth=2
	s_or_b32 exec_lo, exec_lo, s24
	s_and_saveexec_b32 s23, s22
	s_cbranch_execz .LBB1643_486
.LBB1643_471:                           ;   in Loop: Header=BB1643_400 Depth=2
	ds_load_u8 v2, v1 offset:1024
	s_waitcnt lgkmcnt(0)
	v_lshrrev_b32_e32 v2, s49, v2
	s_delay_alu instid0(VALU_DEP_1)
	v_and_b32_e32 v92, s31, v2
	s_or_b32 exec_lo, exec_lo, s23
	s_and_saveexec_b32 s23, s21
	s_cbranch_execnz .LBB1643_487
.LBB1643_472:                           ;   in Loop: Header=BB1643_400 Depth=2
	s_or_b32 exec_lo, exec_lo, s23
	s_and_saveexec_b32 s23, s20
	s_cbranch_execz .LBB1643_488
.LBB1643_473:                           ;   in Loop: Header=BB1643_400 Depth=2
	ds_load_u8 v2, v35 offset:512
	s_waitcnt lgkmcnt(0)
	v_lshrrev_b32_e32 v2, s49, v2
	s_delay_alu instid0(VALU_DEP_1)
	v_and_b32_e32 v90, s31, v2
	s_or_b32 exec_lo, exec_lo, s23
	s_and_saveexec_b32 s23, s19
	s_cbranch_execnz .LBB1643_489
.LBB1643_474:                           ;   in Loop: Header=BB1643_400 Depth=2
	s_or_b32 exec_lo, exec_lo, s23
	s_and_saveexec_b32 s23, s18
	s_cbranch_execz .LBB1643_490
.LBB1643_475:                           ;   in Loop: Header=BB1643_400 Depth=2
	ds_load_u8 v2, v35 offset:1024
	s_waitcnt lgkmcnt(0)
	v_lshrrev_b32_e32 v2, s49, v2
	s_delay_alu instid0(VALU_DEP_1)
	v_and_b32_e32 v88, s31, v2
	s_or_b32 exec_lo, exec_lo, s23
	s_and_saveexec_b32 s23, s17
	s_cbranch_execnz .LBB1643_491
.LBB1643_476:                           ;   in Loop: Header=BB1643_400 Depth=2
	s_or_b32 exec_lo, exec_lo, s23
	s_and_saveexec_b32 s23, s16
	s_cbranch_execz .LBB1643_492
.LBB1643_477:                           ;   in Loop: Header=BB1643_400 Depth=2
	ds_load_u8 v2, v35 offset:1536
	s_waitcnt lgkmcnt(0)
	v_lshrrev_b32_e32 v2, s49, v2
	s_delay_alu instid0(VALU_DEP_1)
	v_and_b32_e32 v86, s31, v2
	s_or_b32 exec_lo, exec_lo, s23
	s_and_saveexec_b32 s23, vcc_lo
	s_cbranch_execnz .LBB1643_493
	s_branch .LBB1643_494
.LBB1643_478:                           ;   in Loop: Header=BB1643_400 Depth=2
	s_or_b32 exec_lo, exec_lo, s23
	s_delay_alu instid0(SALU_CYCLE_1)
	s_mov_b32 s24, exec_lo
	v_cmpx_lt_u32_e64 v75, v2
	s_cbranch_execz .LBB1643_464
.LBB1643_479:                           ;   in Loop: Header=BB1643_400 Depth=2
	global_load_b64 v[16:17], v[20:21], off offset:256
	s_or_b32 exec_lo, exec_lo, s24
	s_delay_alu instid0(SALU_CYCLE_1)
	s_mov_b32 s24, exec_lo
	v_cmpx_lt_u32_e64 v76, v2
	s_cbranch_execnz .LBB1643_465
.LBB1643_480:                           ;   in Loop: Header=BB1643_400 Depth=2
	s_or_b32 exec_lo, exec_lo, s24
	s_delay_alu instid0(SALU_CYCLE_1)
	s_mov_b32 s24, exec_lo
	v_cmpx_lt_u32_e64 v77, v2
	s_cbranch_execz .LBB1643_466
.LBB1643_481:                           ;   in Loop: Header=BB1643_400 Depth=2
	global_load_b64 v[12:13], v[20:21], off offset:768
	s_or_b32 exec_lo, exec_lo, s24
	s_delay_alu instid0(SALU_CYCLE_1)
	s_mov_b32 s24, exec_lo
	v_cmpx_lt_u32_e64 v78, v2
	s_cbranch_execnz .LBB1643_467
.LBB1643_482:                           ;   in Loop: Header=BB1643_400 Depth=2
	s_or_b32 exec_lo, exec_lo, s24
	s_delay_alu instid0(SALU_CYCLE_1)
	s_mov_b32 s24, exec_lo
	v_cmpx_lt_u32_e64 v79, v2
	s_cbranch_execz .LBB1643_468
.LBB1643_483:                           ;   in Loop: Header=BB1643_400 Depth=2
	global_load_b64 v[8:9], v[20:21], off offset:1280
	s_or_b32 exec_lo, exec_lo, s24
	s_delay_alu instid0(SALU_CYCLE_1)
	s_mov_b32 s24, exec_lo
	v_cmpx_lt_u32_e64 v80, v2
	s_cbranch_execnz .LBB1643_469
.LBB1643_484:                           ;   in Loop: Header=BB1643_400 Depth=2
	s_or_b32 exec_lo, exec_lo, s24
	s_delay_alu instid0(SALU_CYCLE_1)
	s_mov_b32 s24, exec_lo
	v_cmpx_lt_u32_e64 v81, v2
	s_cbranch_execz .LBB1643_470
.LBB1643_485:                           ;   in Loop: Header=BB1643_400 Depth=2
	global_load_b64 v[4:5], v[20:21], off offset:1792
	s_or_b32 exec_lo, exec_lo, s24
	s_and_saveexec_b32 s23, s22
	s_cbranch_execnz .LBB1643_471
.LBB1643_486:                           ;   in Loop: Header=BB1643_400 Depth=2
	s_or_b32 exec_lo, exec_lo, s23
	s_and_saveexec_b32 s23, s21
	s_cbranch_execz .LBB1643_472
.LBB1643_487:                           ;   in Loop: Header=BB1643_400 Depth=2
	ds_load_u8 v2, v35 offset:256
	s_waitcnt lgkmcnt(0)
	v_lshrrev_b32_e32 v2, s49, v2
	s_delay_alu instid0(VALU_DEP_1)
	v_and_b32_e32 v91, s31, v2
	s_or_b32 exec_lo, exec_lo, s23
	s_and_saveexec_b32 s23, s20
	s_cbranch_execnz .LBB1643_473
.LBB1643_488:                           ;   in Loop: Header=BB1643_400 Depth=2
	s_or_b32 exec_lo, exec_lo, s23
	s_and_saveexec_b32 s23, s19
	s_cbranch_execz .LBB1643_474
.LBB1643_489:                           ;   in Loop: Header=BB1643_400 Depth=2
	ds_load_u8 v2, v35 offset:768
	s_waitcnt lgkmcnt(0)
	v_lshrrev_b32_e32 v2, s49, v2
	s_delay_alu instid0(VALU_DEP_1)
	v_and_b32_e32 v89, s31, v2
	s_or_b32 exec_lo, exec_lo, s23
	s_and_saveexec_b32 s23, s18
	s_cbranch_execnz .LBB1643_475
.LBB1643_490:                           ;   in Loop: Header=BB1643_400 Depth=2
	s_or_b32 exec_lo, exec_lo, s23
	s_and_saveexec_b32 s23, s17
	s_cbranch_execz .LBB1643_476
.LBB1643_491:                           ;   in Loop: Header=BB1643_400 Depth=2
	ds_load_u8 v2, v35 offset:1280
	s_waitcnt lgkmcnt(0)
	v_lshrrev_b32_e32 v2, s49, v2
	s_delay_alu instid0(VALU_DEP_1)
	v_and_b32_e32 v87, s31, v2
	s_or_b32 exec_lo, exec_lo, s23
	s_and_saveexec_b32 s23, s16
	s_cbranch_execnz .LBB1643_477
.LBB1643_492:                           ;   in Loop: Header=BB1643_400 Depth=2
	s_or_b32 exec_lo, exec_lo, s23
	s_and_saveexec_b32 s23, vcc_lo
	s_cbranch_execz .LBB1643_494
.LBB1643_493:                           ;   in Loop: Header=BB1643_400 Depth=2
	ds_load_u8 v2, v35 offset:1792
	s_waitcnt lgkmcnt(0)
	v_lshrrev_b32_e32 v2, s49, v2
	s_delay_alu instid0(VALU_DEP_1)
	v_and_b32_e32 v85, s31, v2
.LBB1643_494:                           ;   in Loop: Header=BB1643_400 Depth=2
	s_or_b32 exec_lo, exec_lo, s23
	v_lshlrev_b32_e32 v2, 3, v105
	v_lshlrev_b32_e32 v20, 3, v102
	;; [unrolled: 1-line block ×3, first 2 shown]
	s_waitcnt vmcnt(0)
	s_waitcnt_vscnt null, 0x0
	s_barrier
	buffer_gl0_inv
	ds_store_b64 v2, v[18:19] offset:1024
	ds_store_b64 v20, v[16:17] offset:1024
	;; [unrolled: 1-line block ×3, first 2 shown]
	v_lshlrev_b32_e32 v2, 3, v27
	v_lshlrev_b32_e32 v20, 3, v26
	;; [unrolled: 1-line block ×5, first 2 shown]
	ds_store_b64 v2, v[12:13] offset:1024
	ds_store_b64 v20, v[10:11] offset:1024
	;; [unrolled: 1-line block ×5, first 2 shown]
	s_waitcnt lgkmcnt(0)
	s_barrier
	buffer_gl0_inv
	s_and_saveexec_b32 s23, s22
	s_cbranch_execz .LBB1643_502
; %bb.495:                              ;   in Loop: Header=BB1643_400 Depth=2
	v_lshlrev_b32_e32 v2, 2, v92
	v_add_nc_u32_e32 v20, v1, v52
	ds_load_b32 v2, v2
	ds_load_b64 v[20:21], v20 offset:1024
	s_waitcnt lgkmcnt(1)
	v_add_nc_u32_e32 v2, v2, v1
	s_delay_alu instid0(VALU_DEP_1) | instskip(NEXT) | instid1(VALU_DEP_1)
	v_lshlrev_b64 v[23:24], 3, v[2:3]
	v_add_co_u32 v23, s22, s44, v23
	s_delay_alu instid0(VALU_DEP_1)
	v_add_co_ci_u32_e64 v24, s22, s45, v24, s22
	s_waitcnt lgkmcnt(0)
	global_store_b64 v[23:24], v[20:21], off
	s_or_b32 exec_lo, exec_lo, s23
	s_and_saveexec_b32 s22, s21
	s_cbranch_execnz .LBB1643_503
.LBB1643_496:                           ;   in Loop: Header=BB1643_400 Depth=2
	s_or_b32 exec_lo, exec_lo, s22
	s_and_saveexec_b32 s21, s20
	s_cbranch_execz .LBB1643_504
.LBB1643_497:                           ;   in Loop: Header=BB1643_400 Depth=2
	v_lshlrev_b32_e32 v2, 2, v90
	v_add_nc_u32_e32 v20, v35, v52
	ds_load_b32 v2, v2
	ds_load_b64 v[20:21], v20 offset:4096
	s_waitcnt lgkmcnt(1)
	v_add_nc_u32_e32 v2, v2, v30
	s_delay_alu instid0(VALU_DEP_1) | instskip(NEXT) | instid1(VALU_DEP_1)
	v_lshlrev_b64 v[23:24], 3, v[2:3]
	v_add_co_u32 v23, s20, s44, v23
	s_delay_alu instid0(VALU_DEP_1)
	v_add_co_ci_u32_e64 v24, s20, s45, v24, s20
	s_waitcnt lgkmcnt(0)
	global_store_b64 v[23:24], v[20:21], off
	s_or_b32 exec_lo, exec_lo, s21
	s_and_saveexec_b32 s20, s19
	s_cbranch_execnz .LBB1643_505
.LBB1643_498:                           ;   in Loop: Header=BB1643_400 Depth=2
	s_or_b32 exec_lo, exec_lo, s20
	s_and_saveexec_b32 s19, s18
	s_cbranch_execz .LBB1643_506
.LBB1643_499:                           ;   in Loop: Header=BB1643_400 Depth=2
	v_lshlrev_b32_e32 v2, 2, v88
	v_add_nc_u32_e32 v20, v35, v52
	ds_load_b32 v2, v2
	ds_load_b64 v[20:21], v20 offset:8192
	s_waitcnt lgkmcnt(1)
	v_add_nc_u32_e32 v2, v2, v35
	s_delay_alu instid0(VALU_DEP_1) | instskip(NEXT) | instid1(VALU_DEP_1)
	v_lshlrev_b64 v[23:24], 3, v[2:3]
	v_add_co_u32 v23, s18, s44, v23
	s_delay_alu instid0(VALU_DEP_1)
	v_add_co_ci_u32_e64 v24, s18, s45, v24, s18
	s_waitcnt lgkmcnt(0)
	global_store_b64 v[23:24], v[20:21], off
	s_or_b32 exec_lo, exec_lo, s19
	s_and_saveexec_b32 s18, s17
	s_cbranch_execnz .LBB1643_507
.LBB1643_500:                           ;   in Loop: Header=BB1643_400 Depth=2
	s_or_b32 exec_lo, exec_lo, s18
	s_and_saveexec_b32 s17, s16
	s_cbranch_execz .LBB1643_508
.LBB1643_501:                           ;   in Loop: Header=BB1643_400 Depth=2
	v_lshlrev_b32_e32 v2, 2, v86
	v_add_nc_u32_e32 v20, v35, v52
	ds_load_b32 v2, v2
	ds_load_b64 v[20:21], v20 offset:12288
	s_waitcnt lgkmcnt(1)
	v_add_nc_u32_e32 v2, v2, v37
	s_delay_alu instid0(VALU_DEP_1) | instskip(NEXT) | instid1(VALU_DEP_1)
	v_lshlrev_b64 v[23:24], 3, v[2:3]
	v_add_co_u32 v23, s16, s44, v23
	s_delay_alu instid0(VALU_DEP_1)
	v_add_co_ci_u32_e64 v24, s16, s45, v24, s16
	s_waitcnt lgkmcnt(0)
	global_store_b64 v[23:24], v[20:21], off
	s_or_b32 exec_lo, exec_lo, s17
	s_and_saveexec_b32 s16, vcc_lo
	s_cbranch_execnz .LBB1643_509
	s_branch .LBB1643_510
.LBB1643_502:                           ;   in Loop: Header=BB1643_400 Depth=2
	s_or_b32 exec_lo, exec_lo, s23
	s_and_saveexec_b32 s22, s21
	s_cbranch_execz .LBB1643_496
.LBB1643_503:                           ;   in Loop: Header=BB1643_400 Depth=2
	v_lshlrev_b32_e32 v2, 2, v91
	v_add_nc_u32_e32 v20, v35, v52
	ds_load_b32 v2, v2
	ds_load_b64 v[20:21], v20 offset:2048
	s_waitcnt lgkmcnt(1)
	v_add_nc_u32_e32 v2, v2, v29
	s_delay_alu instid0(VALU_DEP_1) | instskip(NEXT) | instid1(VALU_DEP_1)
	v_lshlrev_b64 v[23:24], 3, v[2:3]
	v_add_co_u32 v23, s21, s44, v23
	s_delay_alu instid0(VALU_DEP_1)
	v_add_co_ci_u32_e64 v24, s21, s45, v24, s21
	s_waitcnt lgkmcnt(0)
	global_store_b64 v[23:24], v[20:21], off
	s_or_b32 exec_lo, exec_lo, s22
	s_and_saveexec_b32 s21, s20
	s_cbranch_execnz .LBB1643_497
.LBB1643_504:                           ;   in Loop: Header=BB1643_400 Depth=2
	s_or_b32 exec_lo, exec_lo, s21
	s_and_saveexec_b32 s20, s19
	s_cbranch_execz .LBB1643_498
.LBB1643_505:                           ;   in Loop: Header=BB1643_400 Depth=2
	v_lshlrev_b32_e32 v2, 2, v89
	v_add_nc_u32_e32 v20, v35, v52
	ds_load_b32 v2, v2
	ds_load_b64 v[20:21], v20 offset:6144
	s_waitcnt lgkmcnt(1)
	v_add_nc_u32_e32 v2, v2, v31
	s_delay_alu instid0(VALU_DEP_1) | instskip(NEXT) | instid1(VALU_DEP_1)
	v_lshlrev_b64 v[23:24], 3, v[2:3]
	v_add_co_u32 v23, s19, s44, v23
	s_delay_alu instid0(VALU_DEP_1)
	v_add_co_ci_u32_e64 v24, s19, s45, v24, s19
	s_waitcnt lgkmcnt(0)
	global_store_b64 v[23:24], v[20:21], off
	s_or_b32 exec_lo, exec_lo, s20
	s_and_saveexec_b32 s19, s18
	s_cbranch_execnz .LBB1643_499
.LBB1643_506:                           ;   in Loop: Header=BB1643_400 Depth=2
	s_or_b32 exec_lo, exec_lo, s19
	s_and_saveexec_b32 s18, s17
	s_cbranch_execz .LBB1643_500
.LBB1643_507:                           ;   in Loop: Header=BB1643_400 Depth=2
	v_lshlrev_b32_e32 v2, 2, v87
	v_add_nc_u32_e32 v20, v35, v52
	ds_load_b32 v2, v2
	ds_load_b64 v[20:21], v20 offset:10240
	s_waitcnt lgkmcnt(1)
	v_add_nc_u32_e32 v2, v2, v36
	s_delay_alu instid0(VALU_DEP_1) | instskip(NEXT) | instid1(VALU_DEP_1)
	v_lshlrev_b64 v[23:24], 3, v[2:3]
	v_add_co_u32 v23, s17, s44, v23
	s_delay_alu instid0(VALU_DEP_1)
	v_add_co_ci_u32_e64 v24, s17, s45, v24, s17
	s_waitcnt lgkmcnt(0)
	global_store_b64 v[23:24], v[20:21], off
	s_or_b32 exec_lo, exec_lo, s18
	s_and_saveexec_b32 s17, s16
	s_cbranch_execnz .LBB1643_501
.LBB1643_508:                           ;   in Loop: Header=BB1643_400 Depth=2
	s_or_b32 exec_lo, exec_lo, s17
	s_and_saveexec_b32 s16, vcc_lo
	s_cbranch_execz .LBB1643_510
.LBB1643_509:                           ;   in Loop: Header=BB1643_400 Depth=2
	v_lshlrev_b32_e32 v2, 2, v85
	v_add_nc_u32_e32 v20, v35, v52
	ds_load_b32 v2, v2
	ds_load_b64 v[20:21], v20 offset:14336
	s_waitcnt lgkmcnt(1)
	v_add_nc_u32_e32 v2, v2, v39
	s_delay_alu instid0(VALU_DEP_1) | instskip(NEXT) | instid1(VALU_DEP_1)
	v_lshlrev_b64 v[23:24], 3, v[2:3]
	v_add_co_u32 v23, vcc_lo, s44, v23
	s_delay_alu instid0(VALU_DEP_2)
	v_add_co_ci_u32_e32 v24, vcc_lo, s45, v24, vcc_lo
	s_waitcnt lgkmcnt(0)
	global_store_b64 v[23:24], v[20:21], off
.LBB1643_510:                           ;   in Loop: Header=BB1643_400 Depth=2
	s_or_b32 exec_lo, exec_lo, s16
	s_waitcnt_vscnt null, 0x0
	s_barrier
	buffer_gl0_inv
	s_and_saveexec_b32 s16, s2
	s_cbranch_execz .LBB1643_399
; %bb.511:                              ;   in Loop: Header=BB1643_400 Depth=2
	ds_load_b32 v2, v28
	s_waitcnt lgkmcnt(0)
	v_add_nc_u32_e32 v2, v2, v22
	ds_store_b32 v28, v2
	s_branch .LBB1643_399
.LBB1643_512:                           ;   in Loop: Header=BB1643_12 Depth=1
	s_waitcnt lgkmcnt(0)
	s_mov_b32 s0, 0
	s_barrier
.LBB1643_513:                           ;   in Loop: Header=BB1643_12 Depth=1
	s_and_b32 vcc_lo, exec_lo, s0
	s_cbranch_vccz .LBB1643_11
; %bb.514:                              ;   in Loop: Header=BB1643_12 Depth=1
	s_mov_b32 s0, s35
	s_mov_b32 s9, s27
	s_barrier
	buffer_gl0_inv
                                        ; implicit-def: $vgpr2
                                        ; implicit-def: $vgpr6
                                        ; implicit-def: $vgpr7
                                        ; implicit-def: $vgpr8
                                        ; implicit-def: $vgpr9
                                        ; implicit-def: $vgpr10
                                        ; implicit-def: $vgpr11
                                        ; implicit-def: $vgpr12
	s_branch .LBB1643_516
.LBB1643_515:                           ;   in Loop: Header=BB1643_516 Depth=2
	s_or_b32 exec_lo, exec_lo, s8
	s_addk_i32 s0, 0xf800
	s_cmp_ge_u32 s1, s33
	s_mov_b32 s9, s1
	s_cbranch_scc1 .LBB1643_554
.LBB1643_516:                           ;   Parent Loop BB1643_12 Depth=1
                                        ; =>  This Inner Loop Header: Depth=2
	s_add_i32 s1, s9, 0x800
	s_delay_alu instid0(SALU_CYCLE_1)
	s_cmp_gt_u32 s1, s33
	s_cbranch_scc1 .LBB1643_519
; %bb.517:                              ;   in Loop: Header=BB1643_516 Depth=2
	v_add_co_u32 v4, vcc_lo, v59, s9
	v_add_co_ci_u32_e32 v5, vcc_lo, 0, v60, vcc_lo
	s_mov_b32 s8, -1
	s_movk_i32 s12, 0x800
	s_clause 0x6
	global_load_u8 v20, v[4:5], off offset:1536
	global_load_u8 v19, v[4:5], off offset:1280
	;; [unrolled: 1-line block ×6, first 2 shown]
	global_load_u8 v14, v[4:5], off
	v_add_co_u32 v4, vcc_lo, 0x700, v4
	v_add_co_ci_u32_e32 v5, vcc_lo, 0, v5, vcc_lo
	s_cbranch_execz .LBB1643_520
; %bb.518:                              ;   in Loop: Header=BB1643_516 Depth=2
                                        ; implicit-def: $vgpr2
                                        ; implicit-def: $vgpr6
                                        ; implicit-def: $vgpr7
                                        ; implicit-def: $vgpr8
                                        ; implicit-def: $vgpr9
                                        ; implicit-def: $vgpr10
                                        ; implicit-def: $vgpr11
                                        ; implicit-def: $vgpr12
	v_mov_b32_e32 v13, s0
	s_and_saveexec_b32 s9, s8
	s_cbranch_execnz .LBB1643_531
	s_branch .LBB1643_532
.LBB1643_519:                           ;   in Loop: Header=BB1643_516 Depth=2
	s_mov_b32 s8, 0
                                        ; implicit-def: $sgpr12
                                        ; implicit-def: $vgpr14
                                        ; implicit-def: $vgpr15
                                        ; implicit-def: $vgpr16
                                        ; implicit-def: $vgpr17
                                        ; implicit-def: $vgpr18
                                        ; implicit-def: $vgpr19
                                        ; implicit-def: $vgpr20
                                        ; implicit-def: $vgpr4_vgpr5
.LBB1643_520:                           ;   in Loop: Header=BB1643_516 Depth=2
	s_add_u32 s10, s36, s9
	s_addc_u32 s11, s37, 0
	s_mov_b32 s12, exec_lo
	v_cmpx_gt_u32_e64 s0, v1
	s_cbranch_execz .LBB1643_548
; %bb.521:                              ;   in Loop: Header=BB1643_516 Depth=2
	v_add_co_u32 v4, s13, s10, v1
	s_delay_alu instid0(VALU_DEP_1) | instskip(SKIP_2) | instid1(SALU_CYCLE_1)
	v_add_co_ci_u32_e64 v5, null, s11, 0, s13
	global_load_u8 v2, v[4:5], off
	s_or_b32 exec_lo, exec_lo, s12
	s_mov_b32 s12, exec_lo
	v_cmpx_gt_u32_e64 s0, v29
	s_cbranch_execnz .LBB1643_549
.LBB1643_522:                           ;   in Loop: Header=BB1643_516 Depth=2
	s_or_b32 exec_lo, exec_lo, s12
	s_delay_alu instid0(SALU_CYCLE_1)
	s_mov_b32 s12, exec_lo
	v_cmpx_gt_u32_e64 s0, v30
	s_cbranch_execz .LBB1643_550
.LBB1643_523:                           ;   in Loop: Header=BB1643_516 Depth=2
	v_add_co_u32 v4, s13, s10, v1
	s_delay_alu instid0(VALU_DEP_1) | instskip(SKIP_2) | instid1(SALU_CYCLE_1)
	v_add_co_ci_u32_e64 v5, null, s11, 0, s13
	global_load_u8 v7, v[4:5], off offset:512
	s_or_b32 exec_lo, exec_lo, s12
	s_mov_b32 s12, exec_lo
	v_cmpx_gt_u32_e64 s0, v31
	s_cbranch_execnz .LBB1643_551
.LBB1643_524:                           ;   in Loop: Header=BB1643_516 Depth=2
	s_or_b32 exec_lo, exec_lo, s12
	s_delay_alu instid0(SALU_CYCLE_1)
	s_mov_b32 s12, exec_lo
	v_cmpx_gt_u32_e64 s0, v35
	s_cbranch_execz .LBB1643_552
.LBB1643_525:                           ;   in Loop: Header=BB1643_516 Depth=2
	v_add_co_u32 v4, s13, s10, v1
	s_delay_alu instid0(VALU_DEP_1) | instskip(SKIP_2) | instid1(SALU_CYCLE_1)
	v_add_co_ci_u32_e64 v5, null, s11, 0, s13
	global_load_u8 v9, v[4:5], off offset:1024
	s_or_b32 exec_lo, exec_lo, s12
	s_mov_b32 s12, exec_lo
	v_cmpx_gt_u32_e64 s0, v36
	s_cbranch_execnz .LBB1643_553
.LBB1643_526:                           ;   in Loop: Header=BB1643_516 Depth=2
	s_or_b32 exec_lo, exec_lo, s12
	s_delay_alu instid0(SALU_CYCLE_1)
	s_mov_b32 s12, exec_lo
	v_cmpx_gt_u32_e64 s0, v37
	s_cbranch_execz .LBB1643_528
.LBB1643_527:                           ;   in Loop: Header=BB1643_516 Depth=2
	v_add_co_u32 v4, s13, s10, v1
	s_delay_alu instid0(VALU_DEP_1)
	v_add_co_ci_u32_e64 v5, null, s11, 0, s13
	global_load_u8 v11, v[4:5], off offset:1536
.LBB1643_528:                           ;   in Loop: Header=BB1643_516 Depth=2
	s_or_b32 exec_lo, exec_lo, s12
	s_delay_alu instid0(SALU_CYCLE_1)
	s_mov_b32 s13, exec_lo
                                        ; implicit-def: $sgpr12
                                        ; implicit-def: $vgpr4_vgpr5
	v_cmpx_gt_u32_e64 s0, v39
; %bb.529:                              ;   in Loop: Header=BB1643_516 Depth=2
	v_add_co_u32 v4, s10, s10, v1
	s_delay_alu instid0(VALU_DEP_1) | instskip(SKIP_1) | instid1(VALU_DEP_2)
	v_add_co_ci_u32_e64 v5, null, s11, 0, s10
	s_sub_i32 s12, s33, s9
	v_add_co_u32 v4, vcc_lo, 0x700, v4
	s_delay_alu instid0(VALU_DEP_2)
	v_add_co_ci_u32_e32 v5, vcc_lo, 0, v5, vcc_lo
	s_or_b32 s8, s8, exec_lo
                                        ; implicit-def: $vgpr12
; %bb.530:                              ;   in Loop: Header=BB1643_516 Depth=2
	s_or_b32 exec_lo, exec_lo, s13
	s_waitcnt vmcnt(0)
	v_dual_mov_b32 v14, v2 :: v_dual_mov_b32 v17, v8
	v_dual_mov_b32 v15, v6 :: v_dual_mov_b32 v16, v7
	;; [unrolled: 1-line block ×4, first 2 shown]
	s_and_saveexec_b32 s9, s8
	s_cbranch_execz .LBB1643_532
.LBB1643_531:                           ;   in Loop: Header=BB1643_516 Depth=2
	global_load_u8 v12, v[4:5], off
	s_waitcnt vmcnt(1)
	v_dual_mov_b32 v13, s12 :: v_dual_mov_b32 v2, v14
	v_dual_mov_b32 v6, v15 :: v_dual_mov_b32 v7, v16
	;; [unrolled: 1-line block ×4, first 2 shown]
.LBB1643_532:                           ;   in Loop: Header=BB1643_516 Depth=2
	s_or_b32 exec_lo, exec_lo, s9
	v_lshlrev_b32_e32 v4, 2, v32
	s_mov_b32 s8, exec_lo
	v_cmpx_lt_u32_e64 v1, v13
	s_cbranch_execz .LBB1643_540
; %bb.533:                              ;   in Loop: Header=BB1643_516 Depth=2
	v_and_b32_e32 v5, 1, v2
	s_delay_alu instid0(VALU_DEP_1) | instskip(NEXT) | instid1(VALU_DEP_1)
	v_lshrrev_b32_e32 v5, s49, v5
	v_and_b32_e32 v5, s31, v5
	s_delay_alu instid0(VALU_DEP_1) | instskip(SKIP_2) | instid1(SALU_CYCLE_1)
	v_lshl_or_b32 v5, v5, 4, v4
	ds_add_u32 v5, v66
	s_or_b32 exec_lo, exec_lo, s8
	s_mov_b32 s8, exec_lo
	v_cmpx_lt_u32_e64 v29, v13
	s_cbranch_execnz .LBB1643_541
.LBB1643_534:                           ;   in Loop: Header=BB1643_516 Depth=2
	s_or_b32 exec_lo, exec_lo, s8
	s_delay_alu instid0(SALU_CYCLE_1)
	s_mov_b32 s8, exec_lo
	v_cmpx_lt_u32_e64 v30, v13
	s_cbranch_execz .LBB1643_542
.LBB1643_535:                           ;   in Loop: Header=BB1643_516 Depth=2
	v_and_b32_e32 v5, 1, v7
	s_delay_alu instid0(VALU_DEP_1) | instskip(NEXT) | instid1(VALU_DEP_1)
	v_lshrrev_b32_e32 v5, s49, v5
	v_and_b32_e32 v5, s31, v5
	s_delay_alu instid0(VALU_DEP_1) | instskip(SKIP_2) | instid1(SALU_CYCLE_1)
	v_lshl_or_b32 v5, v5, 4, v4
	ds_add_u32 v5, v66
	s_or_b32 exec_lo, exec_lo, s8
	s_mov_b32 s8, exec_lo
	v_cmpx_lt_u32_e64 v31, v13
	s_cbranch_execnz .LBB1643_543
.LBB1643_536:                           ;   in Loop: Header=BB1643_516 Depth=2
	s_or_b32 exec_lo, exec_lo, s8
	s_delay_alu instid0(SALU_CYCLE_1)
	s_mov_b32 s8, exec_lo
	v_cmpx_lt_u32_e64 v35, v13
	s_cbranch_execz .LBB1643_544
.LBB1643_537:                           ;   in Loop: Header=BB1643_516 Depth=2
	v_and_b32_e32 v5, 1, v9
	s_delay_alu instid0(VALU_DEP_1) | instskip(NEXT) | instid1(VALU_DEP_1)
	v_lshrrev_b32_e32 v5, s49, v5
	v_and_b32_e32 v5, s31, v5
	s_delay_alu instid0(VALU_DEP_1) | instskip(SKIP_2) | instid1(SALU_CYCLE_1)
	v_lshl_or_b32 v5, v5, 4, v4
	ds_add_u32 v5, v66
	s_or_b32 exec_lo, exec_lo, s8
	s_mov_b32 s8, exec_lo
	v_cmpx_lt_u32_e64 v36, v13
	s_cbranch_execnz .LBB1643_545
.LBB1643_538:                           ;   in Loop: Header=BB1643_516 Depth=2
	s_or_b32 exec_lo, exec_lo, s8
	s_delay_alu instid0(SALU_CYCLE_1)
	s_mov_b32 s8, exec_lo
	v_cmpx_lt_u32_e64 v37, v13
	s_cbranch_execz .LBB1643_546
.LBB1643_539:                           ;   in Loop: Header=BB1643_516 Depth=2
	v_and_b32_e32 v5, 1, v11
	s_delay_alu instid0(VALU_DEP_1) | instskip(NEXT) | instid1(VALU_DEP_1)
	v_lshrrev_b32_e32 v5, s49, v5
	v_and_b32_e32 v5, s31, v5
	s_delay_alu instid0(VALU_DEP_1) | instskip(SKIP_2) | instid1(SALU_CYCLE_1)
	v_lshl_or_b32 v5, v5, 4, v4
	ds_add_u32 v5, v66
	s_or_b32 exec_lo, exec_lo, s8
	s_mov_b32 s8, exec_lo
	v_cmpx_lt_u32_e64 v39, v13
	s_cbranch_execz .LBB1643_515
	s_branch .LBB1643_547
.LBB1643_540:                           ;   in Loop: Header=BB1643_516 Depth=2
	s_or_b32 exec_lo, exec_lo, s8
	s_delay_alu instid0(SALU_CYCLE_1)
	s_mov_b32 s8, exec_lo
	v_cmpx_lt_u32_e64 v29, v13
	s_cbranch_execz .LBB1643_534
.LBB1643_541:                           ;   in Loop: Header=BB1643_516 Depth=2
	v_and_b32_e32 v5, 1, v6
	s_delay_alu instid0(VALU_DEP_1) | instskip(NEXT) | instid1(VALU_DEP_1)
	v_lshrrev_b32_e32 v5, s49, v5
	v_and_b32_e32 v5, s31, v5
	s_delay_alu instid0(VALU_DEP_1) | instskip(SKIP_2) | instid1(SALU_CYCLE_1)
	v_lshl_or_b32 v5, v5, 4, v4
	ds_add_u32 v5, v66
	s_or_b32 exec_lo, exec_lo, s8
	s_mov_b32 s8, exec_lo
	v_cmpx_lt_u32_e64 v30, v13
	s_cbranch_execnz .LBB1643_535
.LBB1643_542:                           ;   in Loop: Header=BB1643_516 Depth=2
	s_or_b32 exec_lo, exec_lo, s8
	s_delay_alu instid0(SALU_CYCLE_1)
	s_mov_b32 s8, exec_lo
	v_cmpx_lt_u32_e64 v31, v13
	s_cbranch_execz .LBB1643_536
.LBB1643_543:                           ;   in Loop: Header=BB1643_516 Depth=2
	v_and_b32_e32 v5, 1, v8
	s_delay_alu instid0(VALU_DEP_1) | instskip(NEXT) | instid1(VALU_DEP_1)
	v_lshrrev_b32_e32 v5, s49, v5
	v_and_b32_e32 v5, s31, v5
	s_delay_alu instid0(VALU_DEP_1) | instskip(SKIP_2) | instid1(SALU_CYCLE_1)
	v_lshl_or_b32 v5, v5, 4, v4
	ds_add_u32 v5, v66
	s_or_b32 exec_lo, exec_lo, s8
	s_mov_b32 s8, exec_lo
	v_cmpx_lt_u32_e64 v35, v13
	s_cbranch_execnz .LBB1643_537
.LBB1643_544:                           ;   in Loop: Header=BB1643_516 Depth=2
	s_or_b32 exec_lo, exec_lo, s8
	s_delay_alu instid0(SALU_CYCLE_1)
	s_mov_b32 s8, exec_lo
	v_cmpx_lt_u32_e64 v36, v13
	s_cbranch_execz .LBB1643_538
.LBB1643_545:                           ;   in Loop: Header=BB1643_516 Depth=2
	v_and_b32_e32 v5, 1, v10
	s_delay_alu instid0(VALU_DEP_1) | instskip(NEXT) | instid1(VALU_DEP_1)
	v_lshrrev_b32_e32 v5, s49, v5
	v_and_b32_e32 v5, s31, v5
	s_delay_alu instid0(VALU_DEP_1) | instskip(SKIP_2) | instid1(SALU_CYCLE_1)
	v_lshl_or_b32 v5, v5, 4, v4
	ds_add_u32 v5, v66
	s_or_b32 exec_lo, exec_lo, s8
	s_mov_b32 s8, exec_lo
	v_cmpx_lt_u32_e64 v37, v13
	s_cbranch_execnz .LBB1643_539
.LBB1643_546:                           ;   in Loop: Header=BB1643_516 Depth=2
	s_or_b32 exec_lo, exec_lo, s8
	s_delay_alu instid0(SALU_CYCLE_1)
	s_mov_b32 s8, exec_lo
	v_cmpx_lt_u32_e64 v39, v13
	s_cbranch_execz .LBB1643_515
.LBB1643_547:                           ;   in Loop: Header=BB1643_516 Depth=2
	s_waitcnt vmcnt(0)
	v_and_b32_e32 v5, 1, v12
	s_delay_alu instid0(VALU_DEP_1) | instskip(NEXT) | instid1(VALU_DEP_1)
	v_lshrrev_b32_e32 v5, s49, v5
	v_and_b32_e32 v5, s31, v5
	s_delay_alu instid0(VALU_DEP_1)
	v_lshl_or_b32 v4, v5, 4, v4
	ds_add_u32 v4, v66
	s_branch .LBB1643_515
.LBB1643_548:                           ;   in Loop: Header=BB1643_516 Depth=2
	s_or_b32 exec_lo, exec_lo, s12
	s_delay_alu instid0(SALU_CYCLE_1)
	s_mov_b32 s12, exec_lo
	v_cmpx_gt_u32_e64 s0, v29
	s_cbranch_execz .LBB1643_522
.LBB1643_549:                           ;   in Loop: Header=BB1643_516 Depth=2
	v_add_co_u32 v4, s13, s10, v1
	s_delay_alu instid0(VALU_DEP_1) | instskip(SKIP_2) | instid1(SALU_CYCLE_1)
	v_add_co_ci_u32_e64 v5, null, s11, 0, s13
	global_load_u8 v6, v[4:5], off offset:256
	s_or_b32 exec_lo, exec_lo, s12
	s_mov_b32 s12, exec_lo
	v_cmpx_gt_u32_e64 s0, v30
	s_cbranch_execnz .LBB1643_523
.LBB1643_550:                           ;   in Loop: Header=BB1643_516 Depth=2
	s_or_b32 exec_lo, exec_lo, s12
	s_delay_alu instid0(SALU_CYCLE_1)
	s_mov_b32 s12, exec_lo
	v_cmpx_gt_u32_e64 s0, v31
	s_cbranch_execz .LBB1643_524
.LBB1643_551:                           ;   in Loop: Header=BB1643_516 Depth=2
	v_add_co_u32 v4, s13, s10, v1
	s_delay_alu instid0(VALU_DEP_1) | instskip(SKIP_2) | instid1(SALU_CYCLE_1)
	v_add_co_ci_u32_e64 v5, null, s11, 0, s13
	global_load_u8 v8, v[4:5], off offset:768
	s_or_b32 exec_lo, exec_lo, s12
	s_mov_b32 s12, exec_lo
	v_cmpx_gt_u32_e64 s0, v35
	s_cbranch_execnz .LBB1643_525
.LBB1643_552:                           ;   in Loop: Header=BB1643_516 Depth=2
	s_or_b32 exec_lo, exec_lo, s12
	s_delay_alu instid0(SALU_CYCLE_1)
	s_mov_b32 s12, exec_lo
	v_cmpx_gt_u32_e64 s0, v36
	s_cbranch_execz .LBB1643_526
.LBB1643_553:                           ;   in Loop: Header=BB1643_516 Depth=2
	v_add_co_u32 v4, s13, s10, v1
	s_delay_alu instid0(VALU_DEP_1) | instskip(SKIP_2) | instid1(SALU_CYCLE_1)
	v_add_co_ci_u32_e64 v5, null, s11, 0, s13
	global_load_u8 v10, v[4:5], off offset:1280
	s_or_b32 exec_lo, exec_lo, s12
	s_mov_b32 s12, exec_lo
	v_cmpx_gt_u32_e64 s0, v37
	s_cbranch_execz .LBB1643_528
	s_branch .LBB1643_527
.LBB1643_554:                           ;   in Loop: Header=BB1643_12 Depth=1
	v_mov_b32_e32 v2, 0
	s_waitcnt vmcnt(0) lgkmcnt(0)
	s_barrier
	buffer_gl0_inv
	s_and_saveexec_b32 s0, s2
	s_cbranch_execz .LBB1643_556
; %bb.555:                              ;   in Loop: Header=BB1643_12 Depth=1
	ds_load_2addr_b64 v[4:7], v40 offset1:1
	s_waitcnt lgkmcnt(0)
	v_add_nc_u32_e32 v2, v5, v4
	s_delay_alu instid0(VALU_DEP_1)
	v_add3_u32 v2, v2, v6, v7
.LBB1643_556:                           ;   in Loop: Header=BB1643_12 Depth=1
	s_or_b32 exec_lo, exec_lo, s0
	v_and_b32_e32 v4, 15, v63
	s_delay_alu instid0(VALU_DEP_2) | instskip(SKIP_1) | instid1(VALU_DEP_3)
	v_mov_b32_dpp v5, v2 row_shr:1 row_mask:0xf bank_mask:0xf
	v_and_b32_e32 v6, 16, v63
	v_cmp_eq_u32_e64 s0, 0, v4
	v_cmp_lt_u32_e64 s1, 1, v4
	v_cmp_lt_u32_e64 s8, 3, v4
	;; [unrolled: 1-line block ×3, first 2 shown]
	v_cmp_eq_u32_e64 s10, 0, v6
	v_cndmask_b32_e64 v5, v5, 0, s0
	s_delay_alu instid0(VALU_DEP_1) | instskip(NEXT) | instid1(VALU_DEP_1)
	v_add_nc_u32_e32 v2, v5, v2
	v_mov_b32_dpp v5, v2 row_shr:2 row_mask:0xf bank_mask:0xf
	s_delay_alu instid0(VALU_DEP_1) | instskip(NEXT) | instid1(VALU_DEP_1)
	v_cndmask_b32_e64 v5, 0, v5, s1
	v_add_nc_u32_e32 v2, v2, v5
	s_delay_alu instid0(VALU_DEP_1) | instskip(NEXT) | instid1(VALU_DEP_1)
	v_mov_b32_dpp v5, v2 row_shr:4 row_mask:0xf bank_mask:0xf
	v_cndmask_b32_e64 v5, 0, v5, s8
	s_delay_alu instid0(VALU_DEP_1) | instskip(NEXT) | instid1(VALU_DEP_1)
	v_add_nc_u32_e32 v2, v2, v5
	v_mov_b32_dpp v5, v2 row_shr:8 row_mask:0xf bank_mask:0xf
	s_delay_alu instid0(VALU_DEP_1) | instskip(SKIP_1) | instid1(VALU_DEP_2)
	v_cndmask_b32_e64 v4, 0, v5, s9
	v_bfe_i32 v5, v63, 4, 1
	v_add_nc_u32_e32 v2, v2, v4
	ds_swizzle_b32 v4, v2 offset:swizzle(BROADCAST,32,15)
	s_waitcnt lgkmcnt(0)
	v_and_b32_e32 v4, v5, v4
	s_delay_alu instid0(VALU_DEP_1)
	v_add_nc_u32_e32 v4, v2, v4
	s_and_saveexec_b32 s11, s3
	s_cbranch_execz .LBB1643_558
; %bb.557:                              ;   in Loop: Header=BB1643_12 Depth=1
	ds_store_b32 v41, v4
.LBB1643_558:                           ;   in Loop: Header=BB1643_12 Depth=1
	s_or_b32 exec_lo, exec_lo, s11
	v_and_b32_e32 v2, 7, v63
	s_waitcnt lgkmcnt(0)
	s_barrier
	buffer_gl0_inv
	s_and_saveexec_b32 s11, s4
	s_cbranch_execz .LBB1643_560
; %bb.559:                              ;   in Loop: Header=BB1643_12 Depth=1
	ds_load_b32 v5, v42
	v_cmp_ne_u32_e32 vcc_lo, 0, v2
	s_waitcnt lgkmcnt(0)
	v_mov_b32_dpp v6, v5 row_shr:1 row_mask:0xf bank_mask:0xf
	s_delay_alu instid0(VALU_DEP_1) | instskip(SKIP_1) | instid1(VALU_DEP_2)
	v_cndmask_b32_e32 v6, 0, v6, vcc_lo
	v_cmp_lt_u32_e32 vcc_lo, 1, v2
	v_add_nc_u32_e32 v5, v6, v5
	s_delay_alu instid0(VALU_DEP_1) | instskip(NEXT) | instid1(VALU_DEP_1)
	v_mov_b32_dpp v6, v5 row_shr:2 row_mask:0xf bank_mask:0xf
	v_cndmask_b32_e32 v6, 0, v6, vcc_lo
	v_cmp_lt_u32_e32 vcc_lo, 3, v2
	s_delay_alu instid0(VALU_DEP_2) | instskip(NEXT) | instid1(VALU_DEP_1)
	v_add_nc_u32_e32 v5, v5, v6
	v_mov_b32_dpp v6, v5 row_shr:4 row_mask:0xf bank_mask:0xf
	s_delay_alu instid0(VALU_DEP_1) | instskip(NEXT) | instid1(VALU_DEP_1)
	v_cndmask_b32_e32 v6, 0, v6, vcc_lo
	v_add_nc_u32_e32 v5, v5, v6
	ds_store_b32 v42, v5
.LBB1643_560:                           ;   in Loop: Header=BB1643_12 Depth=1
	s_or_b32 exec_lo, exec_lo, s11
	v_mov_b32_e32 v5, 0
	s_waitcnt lgkmcnt(0)
	s_barrier
	buffer_gl0_inv
	s_and_saveexec_b32 s11, s5
	s_cbranch_execz .LBB1643_562
; %bb.561:                              ;   in Loop: Header=BB1643_12 Depth=1
	ds_load_b32 v5, v43
.LBB1643_562:                           ;   in Loop: Header=BB1643_12 Depth=1
	s_or_b32 exec_lo, exec_lo, s11
	v_add_nc_u32_e32 v6, -1, v63
	s_waitcnt lgkmcnt(0)
	v_add_nc_u32_e32 v4, v5, v4
	v_cmp_eq_u32_e64 s11, 0, v63
	s_barrier
	v_cmp_gt_i32_e32 vcc_lo, 0, v6
	buffer_gl0_inv
	v_cndmask_b32_e32 v6, v6, v63, vcc_lo
	s_delay_alu instid0(VALU_DEP_1)
	v_lshlrev_b32_e32 v69, 2, v6
	ds_bpermute_b32 v4, v69, v4
	s_and_saveexec_b32 s12, s2
	s_cbranch_execz .LBB1643_564
; %bb.563:                              ;   in Loop: Header=BB1643_12 Depth=1
	s_waitcnt lgkmcnt(0)
	v_cndmask_b32_e64 v4, v4, v5, s11
	s_delay_alu instid0(VALU_DEP_1)
	v_add_nc_u32_e32 v4, s27, v4
	ds_store_b32 v28, v4
.LBB1643_564:                           ;   in Loop: Header=BB1643_12 Depth=1
	s_or_b32 exec_lo, exec_lo, s12
	s_load_b64 s[12:13], s[28:29], 0x0
	v_cmp_lt_u32_e64 s14, 3, v2
	v_add_co_u32 v71, vcc_lo, v64, v63
	v_add_co_ci_u32_e32 v72, vcc_lo, 0, v65, vcc_lo
	v_or_b32_e32 v70, v63, v44
	s_mov_b32 s42, s35
	s_mov_b32 s24, s27
                                        ; implicit-def: $vgpr8_vgpr9
                                        ; implicit-def: $vgpr10_vgpr11
                                        ; implicit-def: $vgpr12_vgpr13
                                        ; implicit-def: $vgpr14_vgpr15
                                        ; implicit-def: $vgpr16_vgpr17
                                        ; implicit-def: $vgpr18_vgpr19
                                        ; implicit-def: $vgpr85
                                        ; implicit-def: $vgpr86
                                        ; implicit-def: $vgpr87
                                        ; implicit-def: $vgpr88
                                        ; implicit-def: $vgpr89
                                        ; implicit-def: $vgpr90
                                        ; implicit-def: $vgpr91
                                        ; implicit-def: $vgpr92
	s_delay_alu instid0(VALU_DEP_1)
	v_or_b32_e32 v75, 32, v70
	v_or_b32_e32 v76, 64, v70
	;; [unrolled: 1-line block ×7, first 2 shown]
	s_waitcnt lgkmcnt(0)
	s_cmp_lt_u32 s15, s13
	s_cselect_b32 s13, 14, 20
	s_delay_alu instid0(SALU_CYCLE_1) | instskip(SKIP_4) | instid1(SALU_CYCLE_1)
	s_add_u32 s16, s28, s13
	s_addc_u32 s17, s29, 0
	s_cmp_lt_u32 s26, s12
	global_load_u16 v4, v3, s[16:17]
	s_cselect_b32 s12, 12, 18
	s_add_u32 s12, s28, s12
	s_addc_u32 s13, s29, 0
	global_load_u16 v6, v3, s[12:13]
	v_cmp_eq_u32_e64 s12, 0, v2
	v_cmp_lt_u32_e64 s13, 1, v2
	v_lshlrev_b32_e32 v2, 3, v63
	s_delay_alu instid0(VALU_DEP_1)
	v_add_co_u32 v73, vcc_lo, v61, v2
	v_add_co_ci_u32_e32 v74, vcc_lo, 0, v62, vcc_lo
	v_add_co_u32 v83, vcc_lo, 0xe0, v71
	v_add_co_ci_u32_e32 v84, vcc_lo, 0, v72, vcc_lo
	s_waitcnt vmcnt(1)
	v_mad_u32_u24 v7, v45, v4, v0
	s_waitcnt vmcnt(0)
	s_delay_alu instid0(VALU_DEP_1) | instskip(NEXT) | instid1(VALU_DEP_1)
	v_mad_u64_u32 v[4:5], null, v7, v6, v[1:2]
                                        ; implicit-def: $vgpr6_vgpr7
	v_lshrrev_b32_e32 v82, 5, v4
                                        ; implicit-def: $vgpr4_vgpr5
	s_branch .LBB1643_566
.LBB1643_565:                           ;   in Loop: Header=BB1643_566 Depth=2
	s_or_b32 exec_lo, exec_lo, s16
	s_addk_i32 s42, 0xf800
	s_cmp_lt_u32 s43, s33
	s_mov_b32 s24, s43
	s_cbranch_scc0 .LBB1643_10
.LBB1643_566:                           ;   Parent Loop BB1643_12 Depth=1
                                        ; =>  This Inner Loop Header: Depth=2
	s_add_i32 s43, s24, 0x800
	s_delay_alu instid0(SALU_CYCLE_1)
	s_cmp_gt_u32 s43, s33
	s_cbranch_scc1 .LBB1643_569
; %bb.567:                              ;   in Loop: Header=BB1643_566 Depth=2
	v_add_co_u32 v20, vcc_lo, v71, s24
	v_add_co_ci_u32_e32 v21, vcc_lo, 0, v72, vcc_lo
	s_mov_b32 s17, 0
	s_mov_b32 s16, s24
	s_mov_b32 s19, -1
	s_clause 0x6
	global_load_u8 v93, v[20:21], off
	global_load_u8 v94, v[20:21], off offset:32
	global_load_u8 v95, v[20:21], off offset:64
	;; [unrolled: 1-line block ×6, first 2 shown]
	s_movk_i32 s18, 0x800
	s_cbranch_execz .LBB1643_570
; %bb.568:                              ;   in Loop: Header=BB1643_566 Depth=2
                                        ; implicit-def: $sgpr20
	v_mov_b32_e32 v100, s20
	v_mov_b32_e32 v2, s42
	s_and_saveexec_b32 s20, s19
	s_cbranch_execnz .LBB1643_585
	s_branch .LBB1643_586
.LBB1643_569:                           ;   in Loop: Header=BB1643_566 Depth=2
	s_mov_b32 s17, -1
	s_mov_b32 s19, 0
                                        ; implicit-def: $sgpr18
                                        ; implicit-def: $vgpr93
                                        ; implicit-def: $vgpr94
                                        ; implicit-def: $vgpr95
                                        ; implicit-def: $vgpr96
                                        ; implicit-def: $vgpr97
                                        ; implicit-def: $vgpr98
                                        ; implicit-def: $vgpr99
.LBB1643_570:                           ;   in Loop: Header=BB1643_566 Depth=2
	v_add_co_u32 v20, vcc_lo, v71, s24
	v_add_co_ci_u32_e32 v21, vcc_lo, 0, v72, vcc_lo
	s_waitcnt vmcnt(5)
	v_dual_mov_b32 v94, 1 :: v_dual_mov_b32 v93, 1
	s_mov_b32 s16, exec_lo
	v_cmpx_gt_u32_e64 s42, v70
	s_cbranch_execz .LBB1643_572
; %bb.571:                              ;   in Loop: Header=BB1643_566 Depth=2
	global_load_u8 v93, v[20:21], off
.LBB1643_572:                           ;   in Loop: Header=BB1643_566 Depth=2
	s_or_b32 exec_lo, exec_lo, s16
	s_delay_alu instid0(SALU_CYCLE_1)
	s_mov_b32 s16, exec_lo
	v_cmpx_gt_u32_e64 s42, v75
	s_cbranch_execz .LBB1643_574
; %bb.573:                              ;   in Loop: Header=BB1643_566 Depth=2
	global_load_u8 v94, v[20:21], off offset:32
.LBB1643_574:                           ;   in Loop: Header=BB1643_566 Depth=2
	s_or_b32 exec_lo, exec_lo, s16
	s_waitcnt vmcnt(3)
	v_dual_mov_b32 v96, 1 :: v_dual_mov_b32 v95, 1
	s_mov_b32 s16, exec_lo
	v_cmpx_gt_u32_e64 s42, v76
	s_cbranch_execz .LBB1643_576
; %bb.575:                              ;   in Loop: Header=BB1643_566 Depth=2
	global_load_u8 v95, v[20:21], off offset:64
.LBB1643_576:                           ;   in Loop: Header=BB1643_566 Depth=2
	s_or_b32 exec_lo, exec_lo, s16
	s_delay_alu instid0(SALU_CYCLE_1)
	s_mov_b32 s16, exec_lo
	v_cmpx_gt_u32_e64 s42, v77
	s_cbranch_execz .LBB1643_578
; %bb.577:                              ;   in Loop: Header=BB1643_566 Depth=2
	global_load_u8 v96, v[20:21], off offset:96
.LBB1643_578:                           ;   in Loop: Header=BB1643_566 Depth=2
	s_or_b32 exec_lo, exec_lo, s16
	s_waitcnt vmcnt(1)
	v_dual_mov_b32 v98, 1 :: v_dual_mov_b32 v97, 1
	s_mov_b32 s16, exec_lo
	v_cmpx_gt_u32_e64 s42, v78
	s_cbranch_execz .LBB1643_580
; %bb.579:                              ;   in Loop: Header=BB1643_566 Depth=2
	global_load_u8 v97, v[20:21], off offset:128
.LBB1643_580:                           ;   in Loop: Header=BB1643_566 Depth=2
	s_or_b32 exec_lo, exec_lo, s16
	s_delay_alu instid0(SALU_CYCLE_1)
	s_mov_b32 s16, exec_lo
	v_cmpx_gt_u32_e64 s42, v79
	s_cbranch_execz .LBB1643_582
; %bb.581:                              ;   in Loop: Header=BB1643_566 Depth=2
	global_load_u8 v98, v[20:21], off offset:160
.LBB1643_582:                           ;   in Loop: Header=BB1643_566 Depth=2
	s_or_b32 exec_lo, exec_lo, s16
	s_waitcnt vmcnt(0)
	v_mov_b32_e32 v99, 1
	s_mov_b32 s16, exec_lo
	v_cmpx_gt_u32_e64 s42, v80
	s_cbranch_execz .LBB1643_584
; %bb.583:                              ;   in Loop: Header=BB1643_566 Depth=2
	global_load_u8 v99, v[20:21], off offset:192
.LBB1643_584:                           ;   in Loop: Header=BB1643_566 Depth=2
	s_or_b32 exec_lo, exec_lo, s16
	v_cmp_gt_u32_e64 s19, s42, v81
	s_sub_i32 s18, s33, s24
	s_mov_b32 s20, 1
	s_mov_b64 s[16:17], s[24:25]
	v_mov_b32_e32 v100, s20
	v_mov_b32_e32 v2, s42
	s_and_saveexec_b32 s20, s19
	s_cbranch_execz .LBB1643_586
.LBB1643_585:                           ;   in Loop: Header=BB1643_566 Depth=2
	v_add_co_u32 v20, vcc_lo, v83, s16
	v_add_co_ci_u32_e32 v21, vcc_lo, s17, v84, vcc_lo
	v_mov_b32_e32 v2, s18
	global_load_u8 v100, v[20:21], off
.LBB1643_586:                           ;   in Loop: Header=BB1643_566 Depth=2
	s_or_b32 exec_lo, exec_lo, s20
	s_waitcnt vmcnt(6)
	v_and_b32_e32 v20, 0xff, v93
	ds_store_b32 v46, v3 offset:1056
	ds_store_2addr_b32 v47, v3, v3 offset0:1 offset1:2
	ds_store_2addr_b32 v47, v3, v3 offset0:3 offset1:4
	;; [unrolled: 1-line block ×4, first 2 shown]
	s_waitcnt vmcnt(0) lgkmcnt(0)
	s_barrier
	v_lshrrev_b32_e32 v20, s49, v20
	buffer_gl0_inv
	; wave barrier
	v_and_b32_e32 v21, s31, v20
	s_delay_alu instid0(VALU_DEP_1) | instskip(NEXT) | instid1(VALU_DEP_1)
	v_add_co_u32 v20, s16, v21, -1
	v_cndmask_b32_e64 v22, 0, 1, s16
	v_mad_u32_u24 v21, v21, 9, v82
	s_delay_alu instid0(VALU_DEP_2) | instskip(NEXT) | instid1(VALU_DEP_2)
	v_cmp_ne_u32_e32 vcc_lo, 0, v22
	v_lshl_add_u32 v102, v21, 2, 0x420
	v_xor_b32_e32 v20, vcc_lo, v20
	s_delay_alu instid0(VALU_DEP_1) | instskip(NEXT) | instid1(VALU_DEP_1)
	v_and_b32_e32 v20, exec_lo, v20
	v_mbcnt_lo_u32_b32 v101, v20, 0
	v_cmp_ne_u32_e64 s16, 0, v20
	s_delay_alu instid0(VALU_DEP_2) | instskip(NEXT) | instid1(VALU_DEP_2)
	v_cmp_eq_u32_e32 vcc_lo, 0, v101
	s_and_b32 s17, s16, vcc_lo
	s_delay_alu instid0(SALU_CYCLE_1)
	s_and_saveexec_b32 s16, s17
	s_cbranch_execz .LBB1643_588
; %bb.587:                              ;   in Loop: Header=BB1643_566 Depth=2
	v_bcnt_u32_b32 v20, v20, 0
	ds_store_b32 v102, v20
.LBB1643_588:                           ;   in Loop: Header=BB1643_566 Depth=2
	s_or_b32 exec_lo, exec_lo, s16
	v_and_b32_e32 v20, 0xff, v94
	; wave barrier
	s_delay_alu instid0(VALU_DEP_1) | instskip(NEXT) | instid1(VALU_DEP_1)
	v_lshrrev_b32_e32 v20, s49, v20
	v_and_b32_e32 v20, s31, v20
	s_delay_alu instid0(VALU_DEP_1) | instskip(NEXT) | instid1(VALU_DEP_1)
	v_add_co_u32 v21, s16, v20, -1
	v_cndmask_b32_e64 v22, 0, 1, s16
	v_mul_u32_u24_e32 v20, 9, v20
	s_delay_alu instid0(VALU_DEP_2) | instskip(NEXT) | instid1(VALU_DEP_2)
	v_cmp_ne_u32_e32 vcc_lo, 0, v22
	v_add_lshl_u32 v22, v20, v82, 2
	v_xor_b32_e32 v20, vcc_lo, v21
	ds_load_b32 v103, v22 offset:1056
	v_add_nc_u32_e32 v105, 0x420, v22
	; wave barrier
	v_and_b32_e32 v20, exec_lo, v20
	s_delay_alu instid0(VALU_DEP_1) | instskip(SKIP_1) | instid1(VALU_DEP_2)
	v_mbcnt_lo_u32_b32 v104, v20, 0
	v_cmp_ne_u32_e64 s16, 0, v20
	v_cmp_eq_u32_e32 vcc_lo, 0, v104
	s_delay_alu instid0(VALU_DEP_2) | instskip(NEXT) | instid1(SALU_CYCLE_1)
	s_and_b32 s17, s16, vcc_lo
	s_and_saveexec_b32 s16, s17
	s_cbranch_execz .LBB1643_590
; %bb.589:                              ;   in Loop: Header=BB1643_566 Depth=2
	s_waitcnt lgkmcnt(0)
	v_bcnt_u32_b32 v20, v20, v103
	ds_store_b32 v105, v20
.LBB1643_590:                           ;   in Loop: Header=BB1643_566 Depth=2
	s_or_b32 exec_lo, exec_lo, s16
	v_and_b32_e32 v20, 0xff, v95
	; wave barrier
	s_delay_alu instid0(VALU_DEP_1) | instskip(NEXT) | instid1(VALU_DEP_1)
	v_lshrrev_b32_e32 v20, s49, v20
	v_and_b32_e32 v20, s31, v20
	s_delay_alu instid0(VALU_DEP_1) | instskip(NEXT) | instid1(VALU_DEP_1)
	v_add_co_u32 v21, s16, v20, -1
	v_cndmask_b32_e64 v22, 0, 1, s16
	v_mul_u32_u24_e32 v20, 9, v20
	s_delay_alu instid0(VALU_DEP_2) | instskip(NEXT) | instid1(VALU_DEP_2)
	v_cmp_ne_u32_e32 vcc_lo, 0, v22
	v_add_lshl_u32 v22, v20, v82, 2
	v_xor_b32_e32 v20, vcc_lo, v21
	ds_load_b32 v106, v22 offset:1056
	v_add_nc_u32_e32 v109, 0x420, v22
	; wave barrier
	v_and_b32_e32 v20, exec_lo, v20
	s_delay_alu instid0(VALU_DEP_1) | instskip(SKIP_1) | instid1(VALU_DEP_2)
	v_mbcnt_lo_u32_b32 v107, v20, 0
	v_cmp_ne_u32_e64 s16, 0, v20
	v_cmp_eq_u32_e32 vcc_lo, 0, v107
	s_delay_alu instid0(VALU_DEP_2) | instskip(NEXT) | instid1(SALU_CYCLE_1)
	s_and_b32 s17, s16, vcc_lo
	s_and_saveexec_b32 s16, s17
	s_cbranch_execz .LBB1643_592
; %bb.591:                              ;   in Loop: Header=BB1643_566 Depth=2
	s_waitcnt lgkmcnt(0)
	v_bcnt_u32_b32 v20, v20, v106
	ds_store_b32 v109, v20
.LBB1643_592:                           ;   in Loop: Header=BB1643_566 Depth=2
	;; [unrolled: 31-line block ×7, first 2 shown]
	s_or_b32 exec_lo, exec_lo, s16
	; wave barrier
	s_waitcnt lgkmcnt(0)
	s_barrier
	buffer_gl0_inv
	ds_load_b32 v124, v46 offset:1056
	ds_load_2addr_b32 v[26:27], v47 offset0:1 offset1:2
	ds_load_2addr_b32 v[24:25], v47 offset0:3 offset1:4
	ds_load_2addr_b32 v[20:21], v47 offset0:5 offset1:6
	ds_load_2addr_b32 v[22:23], v47 offset0:7 offset1:8
	s_waitcnt lgkmcnt(3)
	v_add3_u32 v125, v26, v124, v27
	s_waitcnt lgkmcnt(2)
	s_delay_alu instid0(VALU_DEP_1) | instskip(SKIP_1) | instid1(VALU_DEP_1)
	v_add3_u32 v125, v125, v24, v25
	s_waitcnt lgkmcnt(1)
	v_add3_u32 v125, v125, v20, v21
	s_waitcnt lgkmcnt(0)
	s_delay_alu instid0(VALU_DEP_1) | instskip(NEXT) | instid1(VALU_DEP_1)
	v_add3_u32 v23, v125, v22, v23
	v_mov_b32_dpp v125, v23 row_shr:1 row_mask:0xf bank_mask:0xf
	s_delay_alu instid0(VALU_DEP_1) | instskip(NEXT) | instid1(VALU_DEP_1)
	v_cndmask_b32_e64 v125, v125, 0, s0
	v_add_nc_u32_e32 v23, v125, v23
	s_delay_alu instid0(VALU_DEP_1) | instskip(NEXT) | instid1(VALU_DEP_1)
	v_mov_b32_dpp v125, v23 row_shr:2 row_mask:0xf bank_mask:0xf
	v_cndmask_b32_e64 v125, 0, v125, s1
	s_delay_alu instid0(VALU_DEP_1) | instskip(NEXT) | instid1(VALU_DEP_1)
	v_add_nc_u32_e32 v23, v23, v125
	v_mov_b32_dpp v125, v23 row_shr:4 row_mask:0xf bank_mask:0xf
	s_delay_alu instid0(VALU_DEP_1) | instskip(NEXT) | instid1(VALU_DEP_1)
	v_cndmask_b32_e64 v125, 0, v125, s8
	v_add_nc_u32_e32 v23, v23, v125
	s_delay_alu instid0(VALU_DEP_1) | instskip(NEXT) | instid1(VALU_DEP_1)
	v_mov_b32_dpp v125, v23 row_shr:8 row_mask:0xf bank_mask:0xf
	v_cndmask_b32_e64 v125, 0, v125, s9
	s_delay_alu instid0(VALU_DEP_1) | instskip(SKIP_3) | instid1(VALU_DEP_1)
	v_add_nc_u32_e32 v23, v23, v125
	ds_swizzle_b32 v125, v23 offset:swizzle(BROADCAST,32,15)
	s_waitcnt lgkmcnt(0)
	v_cndmask_b32_e64 v125, v125, 0, s10
	v_add_nc_u32_e32 v23, v23, v125
	s_and_saveexec_b32 s16, s3
	s_cbranch_execz .LBB1643_604
; %bb.603:                              ;   in Loop: Header=BB1643_566 Depth=2
	ds_store_b32 v38, v23 offset:1024
.LBB1643_604:                           ;   in Loop: Header=BB1643_566 Depth=2
	s_or_b32 exec_lo, exec_lo, s16
	s_waitcnt lgkmcnt(0)
	s_barrier
	buffer_gl0_inv
	s_and_saveexec_b32 s16, s4
	s_cbranch_execz .LBB1643_606
; %bb.605:                              ;   in Loop: Header=BB1643_566 Depth=2
	v_add_nc_u32_e32 v125, v46, v48
	ds_load_b32 v126, v125 offset:1024
	s_waitcnt lgkmcnt(0)
	v_mov_b32_dpp v127, v126 row_shr:1 row_mask:0xf bank_mask:0xf
	s_delay_alu instid0(VALU_DEP_1) | instskip(NEXT) | instid1(VALU_DEP_1)
	v_cndmask_b32_e64 v127, v127, 0, s12
	v_add_nc_u32_e32 v126, v127, v126
	s_delay_alu instid0(VALU_DEP_1) | instskip(NEXT) | instid1(VALU_DEP_1)
	v_mov_b32_dpp v127, v126 row_shr:2 row_mask:0xf bank_mask:0xf
	v_cndmask_b32_e64 v127, 0, v127, s13
	s_delay_alu instid0(VALU_DEP_1) | instskip(NEXT) | instid1(VALU_DEP_1)
	v_add_nc_u32_e32 v126, v126, v127
	v_mov_b32_dpp v127, v126 row_shr:4 row_mask:0xf bank_mask:0xf
	s_delay_alu instid0(VALU_DEP_1) | instskip(NEXT) | instid1(VALU_DEP_1)
	v_cndmask_b32_e64 v127, 0, v127, s14
	v_add_nc_u32_e32 v126, v126, v127
	ds_store_b32 v125, v126 offset:1024
.LBB1643_606:                           ;   in Loop: Header=BB1643_566 Depth=2
	s_or_b32 exec_lo, exec_lo, s16
	v_mov_b32_e32 v125, 0
	s_waitcnt lgkmcnt(0)
	s_barrier
	buffer_gl0_inv
	s_and_saveexec_b32 s16, s5
	s_cbranch_execz .LBB1643_608
; %bb.607:                              ;   in Loop: Header=BB1643_566 Depth=2
	ds_load_b32 v125, v38 offset:1020
.LBB1643_608:                           ;   in Loop: Header=BB1643_566 Depth=2
	s_or_b32 exec_lo, exec_lo, s16
	s_waitcnt lgkmcnt(0)
	v_add_nc_u32_e32 v23, v125, v23
	ds_bpermute_b32 v23, v69, v23
	s_waitcnt lgkmcnt(0)
	v_cndmask_b32_e64 v23, v23, v125, s11
	s_delay_alu instid0(VALU_DEP_1) | instskip(NEXT) | instid1(VALU_DEP_1)
	v_cndmask_b32_e64 v23, v23, 0, s6
	v_add_nc_u32_e32 v124, v23, v124
	s_delay_alu instid0(VALU_DEP_1) | instskip(NEXT) | instid1(VALU_DEP_1)
	v_add_nc_u32_e32 v26, v124, v26
	v_add_nc_u32_e32 v27, v26, v27
	s_delay_alu instid0(VALU_DEP_1) | instskip(NEXT) | instid1(VALU_DEP_1)
	v_add_nc_u32_e32 v24, v27, v24
	;; [unrolled: 3-line block ×3, first 2 shown]
	v_add_nc_u32_e32 v21, v20, v21
	s_delay_alu instid0(VALU_DEP_1)
	v_add_nc_u32_e32 v22, v21, v22
	ds_store_b32 v46, v23 offset:1056
	ds_store_2addr_b32 v47, v124, v26 offset0:1 offset1:2
	ds_store_2addr_b32 v47, v27, v24 offset0:3 offset1:4
	;; [unrolled: 1-line block ×4, first 2 shown]
	v_mov_b32_e32 v22, 0x800
	s_waitcnt lgkmcnt(0)
	s_barrier
	buffer_gl0_inv
	ds_load_b32 v20, v105
	ds_load_b32 v21, v109
	;; [unrolled: 1-line block ×8, first 2 shown]
	ds_load_b32 v27, v46 offset:1056
	s_and_saveexec_b32 s16, s7
	s_cbranch_execz .LBB1643_610
; %bb.609:                              ;   in Loop: Header=BB1643_566 Depth=2
	ds_load_b32 v22, v49 offset:1056
.LBB1643_610:                           ;   in Loop: Header=BB1643_566 Depth=2
	s_or_b32 exec_lo, exec_lo, s16
	s_waitcnt lgkmcnt(0)
	s_barrier
	buffer_gl0_inv
	s_and_saveexec_b32 s16, s2
	s_cbranch_execz .LBB1643_612
; %bb.611:                              ;   in Loop: Header=BB1643_566 Depth=2
	ds_load_b32 v102, v28
	s_waitcnt lgkmcnt(0)
	v_sub_nc_u32_e32 v27, v102, v27
	ds_store_b32 v28, v27
.LBB1643_612:                           ;   in Loop: Header=BB1643_566 Depth=2
	s_or_b32 exec_lo, exec_lo, s16
	v_add_nc_u32_e32 v105, v26, v101
	v_add3_u32 v102, v104, v103, v20
	v_add3_u32 v101, v107, v106, v21
	;; [unrolled: 1-line block ×7, first 2 shown]
	v_cmp_lt_u32_e64 s22, v1, v2
	ds_store_b8 v105, v93 offset:1024
	ds_store_b8 v102, v94 offset:1024
	;; [unrolled: 1-line block ×8, first 2 shown]
	s_waitcnt lgkmcnt(0)
	s_barrier
	buffer_gl0_inv
	s_and_saveexec_b32 s16, s22
	s_cbranch_execz .LBB1643_620
; %bb.613:                              ;   in Loop: Header=BB1643_566 Depth=2
	ds_load_u8 v20, v1 offset:1024
	s_waitcnt lgkmcnt(0)
	v_and_b32_e32 v21, 1, v20
	s_delay_alu instid0(VALU_DEP_1) | instskip(NEXT) | instid1(VALU_DEP_1)
	v_lshrrev_b32_e32 v21, s49, v21
	v_and_b32_e32 v21, s31, v21
	s_delay_alu instid0(VALU_DEP_1)
	v_lshlrev_b32_e32 v21, 2, v21
	ds_load_b32 v21, v21
	s_waitcnt lgkmcnt(0)
	v_add_nc_u32_e32 v21, v21, v1
	global_store_b8 v21, v20, s[40:41]
	s_or_b32 exec_lo, exec_lo, s16
	v_cmp_lt_u32_e64 s21, v29, v2
	s_delay_alu instid0(VALU_DEP_1)
	s_and_saveexec_b32 s16, s21
	s_cbranch_execnz .LBB1643_621
.LBB1643_614:                           ;   in Loop: Header=BB1643_566 Depth=2
	s_or_b32 exec_lo, exec_lo, s16
	v_cmp_lt_u32_e64 s20, v30, v2
	s_delay_alu instid0(VALU_DEP_1)
	s_and_saveexec_b32 s16, s20
	s_cbranch_execz .LBB1643_622
.LBB1643_615:                           ;   in Loop: Header=BB1643_566 Depth=2
	ds_load_u8 v20, v35 offset:512
	s_waitcnt lgkmcnt(0)
	v_and_b32_e32 v21, 1, v20
	s_delay_alu instid0(VALU_DEP_1) | instskip(NEXT) | instid1(VALU_DEP_1)
	v_lshrrev_b32_e32 v21, s49, v21
	v_and_b32_e32 v21, s31, v21
	s_delay_alu instid0(VALU_DEP_1)
	v_lshlrev_b32_e32 v21, 2, v21
	ds_load_b32 v21, v21
	s_waitcnt lgkmcnt(0)
	v_add_nc_u32_e32 v21, v21, v30
	global_store_b8 v21, v20, s[40:41]
	s_or_b32 exec_lo, exec_lo, s16
	v_cmp_lt_u32_e64 s19, v31, v2
	s_delay_alu instid0(VALU_DEP_1)
	s_and_saveexec_b32 s16, s19
	s_cbranch_execnz .LBB1643_623
.LBB1643_616:                           ;   in Loop: Header=BB1643_566 Depth=2
	s_or_b32 exec_lo, exec_lo, s16
	v_cmp_lt_u32_e64 s18, v35, v2
	s_delay_alu instid0(VALU_DEP_1)
	s_and_saveexec_b32 s16, s18
	s_cbranch_execz .LBB1643_624
.LBB1643_617:                           ;   in Loop: Header=BB1643_566 Depth=2
	ds_load_u8 v20, v35 offset:1024
	s_waitcnt lgkmcnt(0)
	v_and_b32_e32 v21, 1, v20
	s_delay_alu instid0(VALU_DEP_1) | instskip(NEXT) | instid1(VALU_DEP_1)
	v_lshrrev_b32_e32 v21, s49, v21
	v_and_b32_e32 v21, s31, v21
	s_delay_alu instid0(VALU_DEP_1)
	v_lshlrev_b32_e32 v21, 2, v21
	ds_load_b32 v21, v21
	s_waitcnt lgkmcnt(0)
	v_add_nc_u32_e32 v21, v21, v35
	global_store_b8 v21, v20, s[40:41]
	s_or_b32 exec_lo, exec_lo, s16
	v_cmp_lt_u32_e64 s17, v36, v2
	s_delay_alu instid0(VALU_DEP_1)
	s_and_saveexec_b32 s16, s17
	s_cbranch_execnz .LBB1643_625
.LBB1643_618:                           ;   in Loop: Header=BB1643_566 Depth=2
	s_or_b32 exec_lo, exec_lo, s16
	v_cmp_lt_u32_e64 s16, v37, v2
	s_delay_alu instid0(VALU_DEP_1)
	s_and_saveexec_b32 s23, s16
	s_cbranch_execz .LBB1643_626
.LBB1643_619:                           ;   in Loop: Header=BB1643_566 Depth=2
	ds_load_u8 v20, v35 offset:1536
	s_waitcnt lgkmcnt(0)
	v_and_b32_e32 v21, 1, v20
	s_delay_alu instid0(VALU_DEP_1) | instskip(NEXT) | instid1(VALU_DEP_1)
	v_lshrrev_b32_e32 v21, s49, v21
	v_and_b32_e32 v21, s31, v21
	s_delay_alu instid0(VALU_DEP_1)
	v_lshlrev_b32_e32 v21, 2, v21
	ds_load_b32 v21, v21
	s_waitcnt lgkmcnt(0)
	v_add_nc_u32_e32 v21, v21, v37
	global_store_b8 v21, v20, s[40:41]
	s_or_b32 exec_lo, exec_lo, s23
	v_cmp_lt_u32_e32 vcc_lo, v39, v2
	s_and_saveexec_b32 s23, vcc_lo
	s_cbranch_execnz .LBB1643_627
	s_branch .LBB1643_628
.LBB1643_620:                           ;   in Loop: Header=BB1643_566 Depth=2
	s_or_b32 exec_lo, exec_lo, s16
	v_cmp_lt_u32_e64 s21, v29, v2
	s_delay_alu instid0(VALU_DEP_1)
	s_and_saveexec_b32 s16, s21
	s_cbranch_execz .LBB1643_614
.LBB1643_621:                           ;   in Loop: Header=BB1643_566 Depth=2
	ds_load_u8 v20, v35 offset:256
	s_waitcnt lgkmcnt(0)
	v_and_b32_e32 v21, 1, v20
	s_delay_alu instid0(VALU_DEP_1) | instskip(NEXT) | instid1(VALU_DEP_1)
	v_lshrrev_b32_e32 v21, s49, v21
	v_and_b32_e32 v21, s31, v21
	s_delay_alu instid0(VALU_DEP_1)
	v_lshlrev_b32_e32 v21, 2, v21
	ds_load_b32 v21, v21
	s_waitcnt lgkmcnt(0)
	v_add_nc_u32_e32 v21, v21, v29
	global_store_b8 v21, v20, s[40:41]
	s_or_b32 exec_lo, exec_lo, s16
	v_cmp_lt_u32_e64 s20, v30, v2
	s_delay_alu instid0(VALU_DEP_1)
	s_and_saveexec_b32 s16, s20
	s_cbranch_execnz .LBB1643_615
.LBB1643_622:                           ;   in Loop: Header=BB1643_566 Depth=2
	s_or_b32 exec_lo, exec_lo, s16
	v_cmp_lt_u32_e64 s19, v31, v2
	s_delay_alu instid0(VALU_DEP_1)
	s_and_saveexec_b32 s16, s19
	s_cbranch_execz .LBB1643_616
.LBB1643_623:                           ;   in Loop: Header=BB1643_566 Depth=2
	ds_load_u8 v20, v35 offset:768
	s_waitcnt lgkmcnt(0)
	v_and_b32_e32 v21, 1, v20
	s_delay_alu instid0(VALU_DEP_1) | instskip(NEXT) | instid1(VALU_DEP_1)
	v_lshrrev_b32_e32 v21, s49, v21
	v_and_b32_e32 v21, s31, v21
	s_delay_alu instid0(VALU_DEP_1)
	v_lshlrev_b32_e32 v21, 2, v21
	ds_load_b32 v21, v21
	s_waitcnt lgkmcnt(0)
	v_add_nc_u32_e32 v21, v21, v31
	global_store_b8 v21, v20, s[40:41]
	s_or_b32 exec_lo, exec_lo, s16
	v_cmp_lt_u32_e64 s18, v35, v2
	s_delay_alu instid0(VALU_DEP_1)
	s_and_saveexec_b32 s16, s18
	s_cbranch_execnz .LBB1643_617
.LBB1643_624:                           ;   in Loop: Header=BB1643_566 Depth=2
	s_or_b32 exec_lo, exec_lo, s16
	v_cmp_lt_u32_e64 s17, v36, v2
	s_delay_alu instid0(VALU_DEP_1)
	s_and_saveexec_b32 s16, s17
	s_cbranch_execz .LBB1643_618
.LBB1643_625:                           ;   in Loop: Header=BB1643_566 Depth=2
	ds_load_u8 v20, v35 offset:1280
	s_waitcnt lgkmcnt(0)
	v_and_b32_e32 v21, 1, v20
	s_delay_alu instid0(VALU_DEP_1) | instskip(NEXT) | instid1(VALU_DEP_1)
	v_lshrrev_b32_e32 v21, s49, v21
	v_and_b32_e32 v21, s31, v21
	s_delay_alu instid0(VALU_DEP_1)
	v_lshlrev_b32_e32 v21, 2, v21
	ds_load_b32 v21, v21
	s_waitcnt lgkmcnt(0)
	v_add_nc_u32_e32 v21, v21, v36
	global_store_b8 v21, v20, s[40:41]
	s_or_b32 exec_lo, exec_lo, s16
	v_cmp_lt_u32_e64 s16, v37, v2
	s_delay_alu instid0(VALU_DEP_1)
	s_and_saveexec_b32 s23, s16
	s_cbranch_execnz .LBB1643_619
.LBB1643_626:                           ;   in Loop: Header=BB1643_566 Depth=2
	s_or_b32 exec_lo, exec_lo, s23
	v_cmp_lt_u32_e32 vcc_lo, v39, v2
	s_and_saveexec_b32 s23, vcc_lo
	s_cbranch_execz .LBB1643_628
.LBB1643_627:                           ;   in Loop: Header=BB1643_566 Depth=2
	ds_load_u8 v20, v35 offset:1792
	s_waitcnt lgkmcnt(0)
	v_and_b32_e32 v21, 1, v20
	s_delay_alu instid0(VALU_DEP_1) | instskip(NEXT) | instid1(VALU_DEP_1)
	v_lshrrev_b32_e32 v21, s49, v21
	v_and_b32_e32 v21, s31, v21
	s_delay_alu instid0(VALU_DEP_1)
	v_lshlrev_b32_e32 v21, 2, v21
	ds_load_b32 v21, v21
	s_waitcnt lgkmcnt(0)
	v_add_nc_u32_e32 v21, v21, v39
	global_store_b8 v21, v20, s[40:41]
.LBB1643_628:                           ;   in Loop: Header=BB1643_566 Depth=2
	s_or_b32 exec_lo, exec_lo, s23
	s_lshl_b64 s[52:53], s[24:25], 3
	s_delay_alu instid0(SALU_CYCLE_1) | instskip(NEXT) | instid1(VALU_DEP_1)
	v_add_co_u32 v20, s23, v73, s52
	v_add_co_ci_u32_e64 v21, s23, s53, v74, s23
	v_cmp_lt_u32_e64 s23, v70, v2
	s_delay_alu instid0(VALU_DEP_1) | instskip(NEXT) | instid1(SALU_CYCLE_1)
	s_and_saveexec_b32 s24, s23
	s_xor_b32 s23, exec_lo, s24
	s_cbranch_execz .LBB1643_644
; %bb.629:                              ;   in Loop: Header=BB1643_566 Depth=2
	global_load_b64 v[18:19], v[20:21], off
	s_or_b32 exec_lo, exec_lo, s23
	s_delay_alu instid0(SALU_CYCLE_1)
	s_mov_b32 s24, exec_lo
	v_cmpx_lt_u32_e64 v75, v2
	s_cbranch_execnz .LBB1643_645
.LBB1643_630:                           ;   in Loop: Header=BB1643_566 Depth=2
	s_or_b32 exec_lo, exec_lo, s24
	s_delay_alu instid0(SALU_CYCLE_1)
	s_mov_b32 s24, exec_lo
	v_cmpx_lt_u32_e64 v76, v2
	s_cbranch_execz .LBB1643_646
.LBB1643_631:                           ;   in Loop: Header=BB1643_566 Depth=2
	global_load_b64 v[14:15], v[20:21], off offset:512
	s_or_b32 exec_lo, exec_lo, s24
	s_delay_alu instid0(SALU_CYCLE_1)
	s_mov_b32 s24, exec_lo
	v_cmpx_lt_u32_e64 v77, v2
	s_cbranch_execnz .LBB1643_647
.LBB1643_632:                           ;   in Loop: Header=BB1643_566 Depth=2
	s_or_b32 exec_lo, exec_lo, s24
	s_delay_alu instid0(SALU_CYCLE_1)
	s_mov_b32 s24, exec_lo
	v_cmpx_lt_u32_e64 v78, v2
	s_cbranch_execz .LBB1643_648
.LBB1643_633:                           ;   in Loop: Header=BB1643_566 Depth=2
	global_load_b64 v[10:11], v[20:21], off offset:1024
	s_or_b32 exec_lo, exec_lo, s24
	s_delay_alu instid0(SALU_CYCLE_1)
	s_mov_b32 s24, exec_lo
	v_cmpx_lt_u32_e64 v79, v2
	s_cbranch_execnz .LBB1643_649
.LBB1643_634:                           ;   in Loop: Header=BB1643_566 Depth=2
	s_or_b32 exec_lo, exec_lo, s24
	s_delay_alu instid0(SALU_CYCLE_1)
	s_mov_b32 s24, exec_lo
	v_cmpx_lt_u32_e64 v80, v2
	s_cbranch_execz .LBB1643_650
.LBB1643_635:                           ;   in Loop: Header=BB1643_566 Depth=2
	global_load_b64 v[6:7], v[20:21], off offset:1536
	s_or_b32 exec_lo, exec_lo, s24
	s_delay_alu instid0(SALU_CYCLE_1)
	s_mov_b32 s24, exec_lo
	v_cmpx_lt_u32_e64 v81, v2
	s_cbranch_execnz .LBB1643_651
.LBB1643_636:                           ;   in Loop: Header=BB1643_566 Depth=2
	s_or_b32 exec_lo, exec_lo, s24
	s_and_saveexec_b32 s23, s22
	s_cbranch_execz .LBB1643_652
.LBB1643_637:                           ;   in Loop: Header=BB1643_566 Depth=2
	ds_load_u8 v2, v1 offset:1024
	s_waitcnt lgkmcnt(0)
	v_lshrrev_b32_e32 v2, s49, v2
	s_delay_alu instid0(VALU_DEP_1)
	v_and_b32_e32 v92, s31, v2
	s_or_b32 exec_lo, exec_lo, s23
	s_and_saveexec_b32 s23, s21
	s_cbranch_execnz .LBB1643_653
.LBB1643_638:                           ;   in Loop: Header=BB1643_566 Depth=2
	s_or_b32 exec_lo, exec_lo, s23
	s_and_saveexec_b32 s23, s20
	s_cbranch_execz .LBB1643_654
.LBB1643_639:                           ;   in Loop: Header=BB1643_566 Depth=2
	ds_load_u8 v2, v35 offset:512
	s_waitcnt lgkmcnt(0)
	v_lshrrev_b32_e32 v2, s49, v2
	s_delay_alu instid0(VALU_DEP_1)
	v_and_b32_e32 v90, s31, v2
	s_or_b32 exec_lo, exec_lo, s23
	s_and_saveexec_b32 s23, s19
	s_cbranch_execnz .LBB1643_655
.LBB1643_640:                           ;   in Loop: Header=BB1643_566 Depth=2
	s_or_b32 exec_lo, exec_lo, s23
	s_and_saveexec_b32 s23, s18
	s_cbranch_execz .LBB1643_656
.LBB1643_641:                           ;   in Loop: Header=BB1643_566 Depth=2
	ds_load_u8 v2, v35 offset:1024
	s_waitcnt lgkmcnt(0)
	v_lshrrev_b32_e32 v2, s49, v2
	s_delay_alu instid0(VALU_DEP_1)
	v_and_b32_e32 v88, s31, v2
	s_or_b32 exec_lo, exec_lo, s23
	s_and_saveexec_b32 s23, s17
	s_cbranch_execnz .LBB1643_657
.LBB1643_642:                           ;   in Loop: Header=BB1643_566 Depth=2
	s_or_b32 exec_lo, exec_lo, s23
	s_and_saveexec_b32 s23, s16
	s_cbranch_execz .LBB1643_658
.LBB1643_643:                           ;   in Loop: Header=BB1643_566 Depth=2
	ds_load_u8 v2, v35 offset:1536
	s_waitcnt lgkmcnt(0)
	v_lshrrev_b32_e32 v2, s49, v2
	s_delay_alu instid0(VALU_DEP_1)
	v_and_b32_e32 v86, s31, v2
	s_or_b32 exec_lo, exec_lo, s23
	s_and_saveexec_b32 s23, vcc_lo
	s_cbranch_execnz .LBB1643_659
	s_branch .LBB1643_660
.LBB1643_644:                           ;   in Loop: Header=BB1643_566 Depth=2
	s_or_b32 exec_lo, exec_lo, s23
	s_delay_alu instid0(SALU_CYCLE_1)
	s_mov_b32 s24, exec_lo
	v_cmpx_lt_u32_e64 v75, v2
	s_cbranch_execz .LBB1643_630
.LBB1643_645:                           ;   in Loop: Header=BB1643_566 Depth=2
	global_load_b64 v[16:17], v[20:21], off offset:256
	s_or_b32 exec_lo, exec_lo, s24
	s_delay_alu instid0(SALU_CYCLE_1)
	s_mov_b32 s24, exec_lo
	v_cmpx_lt_u32_e64 v76, v2
	s_cbranch_execnz .LBB1643_631
.LBB1643_646:                           ;   in Loop: Header=BB1643_566 Depth=2
	s_or_b32 exec_lo, exec_lo, s24
	s_delay_alu instid0(SALU_CYCLE_1)
	s_mov_b32 s24, exec_lo
	v_cmpx_lt_u32_e64 v77, v2
	s_cbranch_execz .LBB1643_632
.LBB1643_647:                           ;   in Loop: Header=BB1643_566 Depth=2
	global_load_b64 v[12:13], v[20:21], off offset:768
	s_or_b32 exec_lo, exec_lo, s24
	s_delay_alu instid0(SALU_CYCLE_1)
	s_mov_b32 s24, exec_lo
	v_cmpx_lt_u32_e64 v78, v2
	s_cbranch_execnz .LBB1643_633
.LBB1643_648:                           ;   in Loop: Header=BB1643_566 Depth=2
	s_or_b32 exec_lo, exec_lo, s24
	s_delay_alu instid0(SALU_CYCLE_1)
	s_mov_b32 s24, exec_lo
	v_cmpx_lt_u32_e64 v79, v2
	s_cbranch_execz .LBB1643_634
.LBB1643_649:                           ;   in Loop: Header=BB1643_566 Depth=2
	global_load_b64 v[8:9], v[20:21], off offset:1280
	s_or_b32 exec_lo, exec_lo, s24
	s_delay_alu instid0(SALU_CYCLE_1)
	s_mov_b32 s24, exec_lo
	v_cmpx_lt_u32_e64 v80, v2
	s_cbranch_execnz .LBB1643_635
.LBB1643_650:                           ;   in Loop: Header=BB1643_566 Depth=2
	s_or_b32 exec_lo, exec_lo, s24
	s_delay_alu instid0(SALU_CYCLE_1)
	s_mov_b32 s24, exec_lo
	v_cmpx_lt_u32_e64 v81, v2
	s_cbranch_execz .LBB1643_636
.LBB1643_651:                           ;   in Loop: Header=BB1643_566 Depth=2
	global_load_b64 v[4:5], v[20:21], off offset:1792
	s_or_b32 exec_lo, exec_lo, s24
	s_and_saveexec_b32 s23, s22
	s_cbranch_execnz .LBB1643_637
.LBB1643_652:                           ;   in Loop: Header=BB1643_566 Depth=2
	s_or_b32 exec_lo, exec_lo, s23
	s_and_saveexec_b32 s23, s21
	s_cbranch_execz .LBB1643_638
.LBB1643_653:                           ;   in Loop: Header=BB1643_566 Depth=2
	ds_load_u8 v2, v35 offset:256
	s_waitcnt lgkmcnt(0)
	v_lshrrev_b32_e32 v2, s49, v2
	s_delay_alu instid0(VALU_DEP_1)
	v_and_b32_e32 v91, s31, v2
	s_or_b32 exec_lo, exec_lo, s23
	s_and_saveexec_b32 s23, s20
	s_cbranch_execnz .LBB1643_639
.LBB1643_654:                           ;   in Loop: Header=BB1643_566 Depth=2
	s_or_b32 exec_lo, exec_lo, s23
	s_and_saveexec_b32 s23, s19
	s_cbranch_execz .LBB1643_640
.LBB1643_655:                           ;   in Loop: Header=BB1643_566 Depth=2
	ds_load_u8 v2, v35 offset:768
	s_waitcnt lgkmcnt(0)
	v_lshrrev_b32_e32 v2, s49, v2
	s_delay_alu instid0(VALU_DEP_1)
	v_and_b32_e32 v89, s31, v2
	s_or_b32 exec_lo, exec_lo, s23
	s_and_saveexec_b32 s23, s18
	s_cbranch_execnz .LBB1643_641
.LBB1643_656:                           ;   in Loop: Header=BB1643_566 Depth=2
	s_or_b32 exec_lo, exec_lo, s23
	s_and_saveexec_b32 s23, s17
	s_cbranch_execz .LBB1643_642
.LBB1643_657:                           ;   in Loop: Header=BB1643_566 Depth=2
	ds_load_u8 v2, v35 offset:1280
	s_waitcnt lgkmcnt(0)
	v_lshrrev_b32_e32 v2, s49, v2
	s_delay_alu instid0(VALU_DEP_1)
	v_and_b32_e32 v87, s31, v2
	s_or_b32 exec_lo, exec_lo, s23
	s_and_saveexec_b32 s23, s16
	s_cbranch_execnz .LBB1643_643
.LBB1643_658:                           ;   in Loop: Header=BB1643_566 Depth=2
	s_or_b32 exec_lo, exec_lo, s23
	s_and_saveexec_b32 s23, vcc_lo
	s_cbranch_execz .LBB1643_660
.LBB1643_659:                           ;   in Loop: Header=BB1643_566 Depth=2
	ds_load_u8 v2, v35 offset:1792
	s_waitcnt lgkmcnt(0)
	v_lshrrev_b32_e32 v2, s49, v2
	s_delay_alu instid0(VALU_DEP_1)
	v_and_b32_e32 v85, s31, v2
.LBB1643_660:                           ;   in Loop: Header=BB1643_566 Depth=2
	s_or_b32 exec_lo, exec_lo, s23
	v_lshlrev_b32_e32 v2, 3, v105
	v_lshlrev_b32_e32 v20, 3, v102
	v_lshlrev_b32_e32 v21, 3, v101
	s_waitcnt vmcnt(0)
	s_waitcnt_vscnt null, 0x0
	s_barrier
	buffer_gl0_inv
	ds_store_b64 v2, v[18:19] offset:1024
	ds_store_b64 v20, v[16:17] offset:1024
	;; [unrolled: 1-line block ×3, first 2 shown]
	v_lshlrev_b32_e32 v2, 3, v27
	v_lshlrev_b32_e32 v20, 3, v26
	;; [unrolled: 1-line block ×5, first 2 shown]
	ds_store_b64 v2, v[12:13] offset:1024
	ds_store_b64 v20, v[10:11] offset:1024
	;; [unrolled: 1-line block ×5, first 2 shown]
	s_waitcnt lgkmcnt(0)
	s_barrier
	buffer_gl0_inv
	s_and_saveexec_b32 s23, s22
	s_cbranch_execz .LBB1643_668
; %bb.661:                              ;   in Loop: Header=BB1643_566 Depth=2
	v_lshlrev_b32_e32 v2, 2, v92
	v_add_nc_u32_e32 v20, v1, v52
	ds_load_b32 v2, v2
	ds_load_b64 v[20:21], v20 offset:1024
	s_waitcnt lgkmcnt(1)
	v_add_nc_u32_e32 v2, v2, v1
	s_delay_alu instid0(VALU_DEP_1) | instskip(NEXT) | instid1(VALU_DEP_1)
	v_lshlrev_b64 v[23:24], 3, v[2:3]
	v_add_co_u32 v23, s22, s46, v23
	s_delay_alu instid0(VALU_DEP_1)
	v_add_co_ci_u32_e64 v24, s22, s47, v24, s22
	s_waitcnt lgkmcnt(0)
	global_store_b64 v[23:24], v[20:21], off
	s_or_b32 exec_lo, exec_lo, s23
	v_add_nc_u32_e32 v20, v35, v52
	s_and_saveexec_b32 s22, s21
	s_cbranch_execnz .LBB1643_669
.LBB1643_662:                           ;   in Loop: Header=BB1643_566 Depth=2
	s_or_b32 exec_lo, exec_lo, s22
	s_and_saveexec_b32 s21, s20
	s_cbranch_execz .LBB1643_670
.LBB1643_663:                           ;   in Loop: Header=BB1643_566 Depth=2
	v_lshlrev_b32_e32 v2, 2, v90
	ds_load_b32 v2, v2
	ds_load_b64 v[23:24], v20 offset:4096
	s_waitcnt lgkmcnt(1)
	v_add_nc_u32_e32 v2, v2, v30
	s_delay_alu instid0(VALU_DEP_1) | instskip(NEXT) | instid1(VALU_DEP_1)
	v_lshlrev_b64 v[25:26], 3, v[2:3]
	v_add_co_u32 v25, s20, s46, v25
	s_delay_alu instid0(VALU_DEP_1)
	v_add_co_ci_u32_e64 v26, s20, s47, v26, s20
	s_waitcnt lgkmcnt(0)
	global_store_b64 v[25:26], v[23:24], off
	s_or_b32 exec_lo, exec_lo, s21
	s_and_saveexec_b32 s20, s19
	s_cbranch_execnz .LBB1643_671
.LBB1643_664:                           ;   in Loop: Header=BB1643_566 Depth=2
	s_or_b32 exec_lo, exec_lo, s20
	s_and_saveexec_b32 s19, s18
	s_cbranch_execz .LBB1643_672
.LBB1643_665:                           ;   in Loop: Header=BB1643_566 Depth=2
	v_lshlrev_b32_e32 v2, 2, v88
	ds_load_b32 v2, v2
	ds_load_b64 v[23:24], v20 offset:8192
	s_waitcnt lgkmcnt(1)
	v_add_nc_u32_e32 v2, v2, v35
	s_delay_alu instid0(VALU_DEP_1) | instskip(NEXT) | instid1(VALU_DEP_1)
	v_lshlrev_b64 v[25:26], 3, v[2:3]
	v_add_co_u32 v25, s18, s46, v25
	s_delay_alu instid0(VALU_DEP_1)
	v_add_co_ci_u32_e64 v26, s18, s47, v26, s18
	s_waitcnt lgkmcnt(0)
	global_store_b64 v[25:26], v[23:24], off
	s_or_b32 exec_lo, exec_lo, s19
	s_and_saveexec_b32 s18, s17
	s_cbranch_execnz .LBB1643_673
.LBB1643_666:                           ;   in Loop: Header=BB1643_566 Depth=2
	s_or_b32 exec_lo, exec_lo, s18
	s_and_saveexec_b32 s17, s16
	s_cbranch_execz .LBB1643_674
.LBB1643_667:                           ;   in Loop: Header=BB1643_566 Depth=2
	v_lshlrev_b32_e32 v2, 2, v86
	ds_load_b32 v2, v2
	ds_load_b64 v[23:24], v20 offset:12288
	s_waitcnt lgkmcnt(1)
	v_add_nc_u32_e32 v2, v2, v37
	s_delay_alu instid0(VALU_DEP_1) | instskip(NEXT) | instid1(VALU_DEP_1)
	v_lshlrev_b64 v[25:26], 3, v[2:3]
	v_add_co_u32 v25, s16, s46, v25
	s_delay_alu instid0(VALU_DEP_1)
	v_add_co_ci_u32_e64 v26, s16, s47, v26, s16
	s_waitcnt lgkmcnt(0)
	global_store_b64 v[25:26], v[23:24], off
	s_or_b32 exec_lo, exec_lo, s17
	s_and_saveexec_b32 s16, vcc_lo
	s_cbranch_execnz .LBB1643_675
	s_branch .LBB1643_676
.LBB1643_668:                           ;   in Loop: Header=BB1643_566 Depth=2
	s_or_b32 exec_lo, exec_lo, s23
	v_add_nc_u32_e32 v20, v35, v52
	s_and_saveexec_b32 s22, s21
	s_cbranch_execz .LBB1643_662
.LBB1643_669:                           ;   in Loop: Header=BB1643_566 Depth=2
	v_lshlrev_b32_e32 v2, 2, v91
	ds_load_b32 v2, v2
	ds_load_b64 v[23:24], v20 offset:2048
	s_waitcnt lgkmcnt(1)
	v_add_nc_u32_e32 v2, v2, v29
	s_delay_alu instid0(VALU_DEP_1) | instskip(NEXT) | instid1(VALU_DEP_1)
	v_lshlrev_b64 v[25:26], 3, v[2:3]
	v_add_co_u32 v25, s21, s46, v25
	s_delay_alu instid0(VALU_DEP_1)
	v_add_co_ci_u32_e64 v26, s21, s47, v26, s21
	s_waitcnt lgkmcnt(0)
	global_store_b64 v[25:26], v[23:24], off
	s_or_b32 exec_lo, exec_lo, s22
	s_and_saveexec_b32 s21, s20
	s_cbranch_execnz .LBB1643_663
.LBB1643_670:                           ;   in Loop: Header=BB1643_566 Depth=2
	s_or_b32 exec_lo, exec_lo, s21
	s_and_saveexec_b32 s20, s19
	s_cbranch_execz .LBB1643_664
.LBB1643_671:                           ;   in Loop: Header=BB1643_566 Depth=2
	v_lshlrev_b32_e32 v2, 2, v89
	ds_load_b32 v2, v2
	ds_load_b64 v[23:24], v20 offset:6144
	s_waitcnt lgkmcnt(1)
	v_add_nc_u32_e32 v2, v2, v31
	s_delay_alu instid0(VALU_DEP_1) | instskip(NEXT) | instid1(VALU_DEP_1)
	v_lshlrev_b64 v[25:26], 3, v[2:3]
	v_add_co_u32 v25, s19, s46, v25
	s_delay_alu instid0(VALU_DEP_1)
	v_add_co_ci_u32_e64 v26, s19, s47, v26, s19
	s_waitcnt lgkmcnt(0)
	global_store_b64 v[25:26], v[23:24], off
	s_or_b32 exec_lo, exec_lo, s20
	s_and_saveexec_b32 s19, s18
	s_cbranch_execnz .LBB1643_665
.LBB1643_672:                           ;   in Loop: Header=BB1643_566 Depth=2
	s_or_b32 exec_lo, exec_lo, s19
	s_and_saveexec_b32 s18, s17
	s_cbranch_execz .LBB1643_666
.LBB1643_673:                           ;   in Loop: Header=BB1643_566 Depth=2
	v_lshlrev_b32_e32 v2, 2, v87
	ds_load_b32 v2, v2
	ds_load_b64 v[23:24], v20 offset:10240
	s_waitcnt lgkmcnt(1)
	v_add_nc_u32_e32 v2, v2, v36
	s_delay_alu instid0(VALU_DEP_1) | instskip(NEXT) | instid1(VALU_DEP_1)
	v_lshlrev_b64 v[25:26], 3, v[2:3]
	v_add_co_u32 v25, s17, s46, v25
	s_delay_alu instid0(VALU_DEP_1)
	v_add_co_ci_u32_e64 v26, s17, s47, v26, s17
	s_waitcnt lgkmcnt(0)
	global_store_b64 v[25:26], v[23:24], off
	s_or_b32 exec_lo, exec_lo, s18
	s_and_saveexec_b32 s17, s16
	s_cbranch_execnz .LBB1643_667
.LBB1643_674:                           ;   in Loop: Header=BB1643_566 Depth=2
	s_or_b32 exec_lo, exec_lo, s17
	s_and_saveexec_b32 s16, vcc_lo
	s_cbranch_execz .LBB1643_676
.LBB1643_675:                           ;   in Loop: Header=BB1643_566 Depth=2
	v_lshlrev_b32_e32 v2, 2, v85
	ds_load_b32 v2, v2
	ds_load_b64 v[20:21], v20 offset:14336
	s_waitcnt lgkmcnt(1)
	v_add_nc_u32_e32 v2, v2, v39
	s_delay_alu instid0(VALU_DEP_1) | instskip(NEXT) | instid1(VALU_DEP_1)
	v_lshlrev_b64 v[23:24], 3, v[2:3]
	v_add_co_u32 v23, vcc_lo, s46, v23
	s_delay_alu instid0(VALU_DEP_2)
	v_add_co_ci_u32_e32 v24, vcc_lo, s47, v24, vcc_lo
	s_waitcnt lgkmcnt(0)
	global_store_b64 v[23:24], v[20:21], off
.LBB1643_676:                           ;   in Loop: Header=BB1643_566 Depth=2
	s_or_b32 exec_lo, exec_lo, s16
	s_waitcnt_vscnt null, 0x0
	s_barrier
	buffer_gl0_inv
	s_and_saveexec_b32 s16, s2
	s_cbranch_execz .LBB1643_565
; %bb.677:                              ;   in Loop: Header=BB1643_566 Depth=2
	ds_load_b32 v2, v28
	s_waitcnt lgkmcnt(0)
	v_add_nc_u32_e32 v2, v2, v22
	ds_store_b32 v28, v2
	s_branch .LBB1643_565
.LBB1643_678:
	s_endpgm
	.section	.rodata,"a",@progbits
	.p2align	6, 0x0
	.amdhsa_kernel _ZN7rocprim17ROCPRIM_400000_NS6detail17trampoline_kernelINS0_14default_configENS1_36segmented_radix_sort_config_selectorIblEEZNS1_25segmented_radix_sort_implIS3_Lb0EPKbPbPKlPlN2at6native12_GLOBAL__N_18offset_tEEE10hipError_tPvRmT1_PNSt15iterator_traitsISK_E10value_typeET2_T3_PNSL_ISQ_E10value_typeET4_jRbjT5_SW_jjP12ihipStream_tbEUlT_E_NS1_11comp_targetILNS1_3genE9ELNS1_11target_archE1100ELNS1_3gpuE3ELNS1_3repE0EEENS1_30default_config_static_selectorELNS0_4arch9wavefront6targetE0EEEvSK_
		.amdhsa_group_segment_fixed_size 17440
		.amdhsa_private_segment_fixed_size 0
		.amdhsa_kernarg_size 352
		.amdhsa_user_sgpr_count 14
		.amdhsa_user_sgpr_dispatch_ptr 0
		.amdhsa_user_sgpr_queue_ptr 0
		.amdhsa_user_sgpr_kernarg_segment_ptr 1
		.amdhsa_user_sgpr_dispatch_id 0
		.amdhsa_user_sgpr_private_segment_size 0
		.amdhsa_wavefront_size32 1
		.amdhsa_uses_dynamic_stack 0
		.amdhsa_enable_private_segment 0
		.amdhsa_system_sgpr_workgroup_id_x 1
		.amdhsa_system_sgpr_workgroup_id_y 1
		.amdhsa_system_sgpr_workgroup_id_z 0
		.amdhsa_system_sgpr_workgroup_info 0
		.amdhsa_system_vgpr_workitem_id 2
		.amdhsa_next_free_vgpr 193
		.amdhsa_next_free_sgpr 54
		.amdhsa_reserve_vcc 1
		.amdhsa_float_round_mode_32 0
		.amdhsa_float_round_mode_16_64 0
		.amdhsa_float_denorm_mode_32 3
		.amdhsa_float_denorm_mode_16_64 3
		.amdhsa_dx10_clamp 1
		.amdhsa_ieee_mode 1
		.amdhsa_fp16_overflow 0
		.amdhsa_workgroup_processor_mode 1
		.amdhsa_memory_ordered 1
		.amdhsa_forward_progress 0
		.amdhsa_shared_vgpr_count 0
		.amdhsa_exception_fp_ieee_invalid_op 0
		.amdhsa_exception_fp_denorm_src 0
		.amdhsa_exception_fp_ieee_div_zero 0
		.amdhsa_exception_fp_ieee_overflow 0
		.amdhsa_exception_fp_ieee_underflow 0
		.amdhsa_exception_fp_ieee_inexact 0
		.amdhsa_exception_int_div_zero 0
	.end_amdhsa_kernel
	.section	.text._ZN7rocprim17ROCPRIM_400000_NS6detail17trampoline_kernelINS0_14default_configENS1_36segmented_radix_sort_config_selectorIblEEZNS1_25segmented_radix_sort_implIS3_Lb0EPKbPbPKlPlN2at6native12_GLOBAL__N_18offset_tEEE10hipError_tPvRmT1_PNSt15iterator_traitsISK_E10value_typeET2_T3_PNSL_ISQ_E10value_typeET4_jRbjT5_SW_jjP12ihipStream_tbEUlT_E_NS1_11comp_targetILNS1_3genE9ELNS1_11target_archE1100ELNS1_3gpuE3ELNS1_3repE0EEENS1_30default_config_static_selectorELNS0_4arch9wavefront6targetE0EEEvSK_,"axG",@progbits,_ZN7rocprim17ROCPRIM_400000_NS6detail17trampoline_kernelINS0_14default_configENS1_36segmented_radix_sort_config_selectorIblEEZNS1_25segmented_radix_sort_implIS3_Lb0EPKbPbPKlPlN2at6native12_GLOBAL__N_18offset_tEEE10hipError_tPvRmT1_PNSt15iterator_traitsISK_E10value_typeET2_T3_PNSL_ISQ_E10value_typeET4_jRbjT5_SW_jjP12ihipStream_tbEUlT_E_NS1_11comp_targetILNS1_3genE9ELNS1_11target_archE1100ELNS1_3gpuE3ELNS1_3repE0EEENS1_30default_config_static_selectorELNS0_4arch9wavefront6targetE0EEEvSK_,comdat
.Lfunc_end1643:
	.size	_ZN7rocprim17ROCPRIM_400000_NS6detail17trampoline_kernelINS0_14default_configENS1_36segmented_radix_sort_config_selectorIblEEZNS1_25segmented_radix_sort_implIS3_Lb0EPKbPbPKlPlN2at6native12_GLOBAL__N_18offset_tEEE10hipError_tPvRmT1_PNSt15iterator_traitsISK_E10value_typeET2_T3_PNSL_ISQ_E10value_typeET4_jRbjT5_SW_jjP12ihipStream_tbEUlT_E_NS1_11comp_targetILNS1_3genE9ELNS1_11target_archE1100ELNS1_3gpuE3ELNS1_3repE0EEENS1_30default_config_static_selectorELNS0_4arch9wavefront6targetE0EEEvSK_, .Lfunc_end1643-_ZN7rocprim17ROCPRIM_400000_NS6detail17trampoline_kernelINS0_14default_configENS1_36segmented_radix_sort_config_selectorIblEEZNS1_25segmented_radix_sort_implIS3_Lb0EPKbPbPKlPlN2at6native12_GLOBAL__N_18offset_tEEE10hipError_tPvRmT1_PNSt15iterator_traitsISK_E10value_typeET2_T3_PNSL_ISQ_E10value_typeET4_jRbjT5_SW_jjP12ihipStream_tbEUlT_E_NS1_11comp_targetILNS1_3genE9ELNS1_11target_archE1100ELNS1_3gpuE3ELNS1_3repE0EEENS1_30default_config_static_selectorELNS0_4arch9wavefront6targetE0EEEvSK_
                                        ; -- End function
	.section	.AMDGPU.csdata,"",@progbits
; Kernel info:
; codeLenInByte = 30968
; NumSgprs: 56
; NumVgprs: 193
; ScratchSize: 0
; MemoryBound: 0
; FloatMode: 240
; IeeeMode: 1
; LDSByteSize: 17440 bytes/workgroup (compile time only)
; SGPRBlocks: 6
; VGPRBlocks: 24
; NumSGPRsForWavesPerEU: 56
; NumVGPRsForWavesPerEU: 193
; Occupancy: 7
; WaveLimiterHint : 1
; COMPUTE_PGM_RSRC2:SCRATCH_EN: 0
; COMPUTE_PGM_RSRC2:USER_SGPR: 14
; COMPUTE_PGM_RSRC2:TRAP_HANDLER: 0
; COMPUTE_PGM_RSRC2:TGID_X_EN: 1
; COMPUTE_PGM_RSRC2:TGID_Y_EN: 1
; COMPUTE_PGM_RSRC2:TGID_Z_EN: 0
; COMPUTE_PGM_RSRC2:TIDIG_COMP_CNT: 2
	.section	.text._ZN7rocprim17ROCPRIM_400000_NS6detail17trampoline_kernelINS0_14default_configENS1_36segmented_radix_sort_config_selectorIblEEZNS1_25segmented_radix_sort_implIS3_Lb0EPKbPbPKlPlN2at6native12_GLOBAL__N_18offset_tEEE10hipError_tPvRmT1_PNSt15iterator_traitsISK_E10value_typeET2_T3_PNSL_ISQ_E10value_typeET4_jRbjT5_SW_jjP12ihipStream_tbEUlT_E_NS1_11comp_targetILNS1_3genE8ELNS1_11target_archE1030ELNS1_3gpuE2ELNS1_3repE0EEENS1_30default_config_static_selectorELNS0_4arch9wavefront6targetE0EEEvSK_,"axG",@progbits,_ZN7rocprim17ROCPRIM_400000_NS6detail17trampoline_kernelINS0_14default_configENS1_36segmented_radix_sort_config_selectorIblEEZNS1_25segmented_radix_sort_implIS3_Lb0EPKbPbPKlPlN2at6native12_GLOBAL__N_18offset_tEEE10hipError_tPvRmT1_PNSt15iterator_traitsISK_E10value_typeET2_T3_PNSL_ISQ_E10value_typeET4_jRbjT5_SW_jjP12ihipStream_tbEUlT_E_NS1_11comp_targetILNS1_3genE8ELNS1_11target_archE1030ELNS1_3gpuE2ELNS1_3repE0EEENS1_30default_config_static_selectorELNS0_4arch9wavefront6targetE0EEEvSK_,comdat
	.globl	_ZN7rocprim17ROCPRIM_400000_NS6detail17trampoline_kernelINS0_14default_configENS1_36segmented_radix_sort_config_selectorIblEEZNS1_25segmented_radix_sort_implIS3_Lb0EPKbPbPKlPlN2at6native12_GLOBAL__N_18offset_tEEE10hipError_tPvRmT1_PNSt15iterator_traitsISK_E10value_typeET2_T3_PNSL_ISQ_E10value_typeET4_jRbjT5_SW_jjP12ihipStream_tbEUlT_E_NS1_11comp_targetILNS1_3genE8ELNS1_11target_archE1030ELNS1_3gpuE2ELNS1_3repE0EEENS1_30default_config_static_selectorELNS0_4arch9wavefront6targetE0EEEvSK_ ; -- Begin function _ZN7rocprim17ROCPRIM_400000_NS6detail17trampoline_kernelINS0_14default_configENS1_36segmented_radix_sort_config_selectorIblEEZNS1_25segmented_radix_sort_implIS3_Lb0EPKbPbPKlPlN2at6native12_GLOBAL__N_18offset_tEEE10hipError_tPvRmT1_PNSt15iterator_traitsISK_E10value_typeET2_T3_PNSL_ISQ_E10value_typeET4_jRbjT5_SW_jjP12ihipStream_tbEUlT_E_NS1_11comp_targetILNS1_3genE8ELNS1_11target_archE1030ELNS1_3gpuE2ELNS1_3repE0EEENS1_30default_config_static_selectorELNS0_4arch9wavefront6targetE0EEEvSK_
	.p2align	8
	.type	_ZN7rocprim17ROCPRIM_400000_NS6detail17trampoline_kernelINS0_14default_configENS1_36segmented_radix_sort_config_selectorIblEEZNS1_25segmented_radix_sort_implIS3_Lb0EPKbPbPKlPlN2at6native12_GLOBAL__N_18offset_tEEE10hipError_tPvRmT1_PNSt15iterator_traitsISK_E10value_typeET2_T3_PNSL_ISQ_E10value_typeET4_jRbjT5_SW_jjP12ihipStream_tbEUlT_E_NS1_11comp_targetILNS1_3genE8ELNS1_11target_archE1030ELNS1_3gpuE2ELNS1_3repE0EEENS1_30default_config_static_selectorELNS0_4arch9wavefront6targetE0EEEvSK_,@function
_ZN7rocprim17ROCPRIM_400000_NS6detail17trampoline_kernelINS0_14default_configENS1_36segmented_radix_sort_config_selectorIblEEZNS1_25segmented_radix_sort_implIS3_Lb0EPKbPbPKlPlN2at6native12_GLOBAL__N_18offset_tEEE10hipError_tPvRmT1_PNSt15iterator_traitsISK_E10value_typeET2_T3_PNSL_ISQ_E10value_typeET4_jRbjT5_SW_jjP12ihipStream_tbEUlT_E_NS1_11comp_targetILNS1_3genE8ELNS1_11target_archE1030ELNS1_3gpuE2ELNS1_3repE0EEENS1_30default_config_static_selectorELNS0_4arch9wavefront6targetE0EEEvSK_: ; @_ZN7rocprim17ROCPRIM_400000_NS6detail17trampoline_kernelINS0_14default_configENS1_36segmented_radix_sort_config_selectorIblEEZNS1_25segmented_radix_sort_implIS3_Lb0EPKbPbPKlPlN2at6native12_GLOBAL__N_18offset_tEEE10hipError_tPvRmT1_PNSt15iterator_traitsISK_E10value_typeET2_T3_PNSL_ISQ_E10value_typeET4_jRbjT5_SW_jjP12ihipStream_tbEUlT_E_NS1_11comp_targetILNS1_3genE8ELNS1_11target_archE1030ELNS1_3gpuE2ELNS1_3repE0EEENS1_30default_config_static_selectorELNS0_4arch9wavefront6targetE0EEEvSK_
; %bb.0:
	.section	.rodata,"a",@progbits
	.p2align	6, 0x0
	.amdhsa_kernel _ZN7rocprim17ROCPRIM_400000_NS6detail17trampoline_kernelINS0_14default_configENS1_36segmented_radix_sort_config_selectorIblEEZNS1_25segmented_radix_sort_implIS3_Lb0EPKbPbPKlPlN2at6native12_GLOBAL__N_18offset_tEEE10hipError_tPvRmT1_PNSt15iterator_traitsISK_E10value_typeET2_T3_PNSL_ISQ_E10value_typeET4_jRbjT5_SW_jjP12ihipStream_tbEUlT_E_NS1_11comp_targetILNS1_3genE8ELNS1_11target_archE1030ELNS1_3gpuE2ELNS1_3repE0EEENS1_30default_config_static_selectorELNS0_4arch9wavefront6targetE0EEEvSK_
		.amdhsa_group_segment_fixed_size 0
		.amdhsa_private_segment_fixed_size 0
		.amdhsa_kernarg_size 96
		.amdhsa_user_sgpr_count 15
		.amdhsa_user_sgpr_dispatch_ptr 0
		.amdhsa_user_sgpr_queue_ptr 0
		.amdhsa_user_sgpr_kernarg_segment_ptr 1
		.amdhsa_user_sgpr_dispatch_id 0
		.amdhsa_user_sgpr_private_segment_size 0
		.amdhsa_wavefront_size32 1
		.amdhsa_uses_dynamic_stack 0
		.amdhsa_enable_private_segment 0
		.amdhsa_system_sgpr_workgroup_id_x 1
		.amdhsa_system_sgpr_workgroup_id_y 0
		.amdhsa_system_sgpr_workgroup_id_z 0
		.amdhsa_system_sgpr_workgroup_info 0
		.amdhsa_system_vgpr_workitem_id 0
		.amdhsa_next_free_vgpr 1
		.amdhsa_next_free_sgpr 1
		.amdhsa_reserve_vcc 0
		.amdhsa_float_round_mode_32 0
		.amdhsa_float_round_mode_16_64 0
		.amdhsa_float_denorm_mode_32 3
		.amdhsa_float_denorm_mode_16_64 3
		.amdhsa_dx10_clamp 1
		.amdhsa_ieee_mode 1
		.amdhsa_fp16_overflow 0
		.amdhsa_workgroup_processor_mode 1
		.amdhsa_memory_ordered 1
		.amdhsa_forward_progress 0
		.amdhsa_shared_vgpr_count 0
		.amdhsa_exception_fp_ieee_invalid_op 0
		.amdhsa_exception_fp_denorm_src 0
		.amdhsa_exception_fp_ieee_div_zero 0
		.amdhsa_exception_fp_ieee_overflow 0
		.amdhsa_exception_fp_ieee_underflow 0
		.amdhsa_exception_fp_ieee_inexact 0
		.amdhsa_exception_int_div_zero 0
	.end_amdhsa_kernel
	.section	.text._ZN7rocprim17ROCPRIM_400000_NS6detail17trampoline_kernelINS0_14default_configENS1_36segmented_radix_sort_config_selectorIblEEZNS1_25segmented_radix_sort_implIS3_Lb0EPKbPbPKlPlN2at6native12_GLOBAL__N_18offset_tEEE10hipError_tPvRmT1_PNSt15iterator_traitsISK_E10value_typeET2_T3_PNSL_ISQ_E10value_typeET4_jRbjT5_SW_jjP12ihipStream_tbEUlT_E_NS1_11comp_targetILNS1_3genE8ELNS1_11target_archE1030ELNS1_3gpuE2ELNS1_3repE0EEENS1_30default_config_static_selectorELNS0_4arch9wavefront6targetE0EEEvSK_,"axG",@progbits,_ZN7rocprim17ROCPRIM_400000_NS6detail17trampoline_kernelINS0_14default_configENS1_36segmented_radix_sort_config_selectorIblEEZNS1_25segmented_radix_sort_implIS3_Lb0EPKbPbPKlPlN2at6native12_GLOBAL__N_18offset_tEEE10hipError_tPvRmT1_PNSt15iterator_traitsISK_E10value_typeET2_T3_PNSL_ISQ_E10value_typeET4_jRbjT5_SW_jjP12ihipStream_tbEUlT_E_NS1_11comp_targetILNS1_3genE8ELNS1_11target_archE1030ELNS1_3gpuE2ELNS1_3repE0EEENS1_30default_config_static_selectorELNS0_4arch9wavefront6targetE0EEEvSK_,comdat
.Lfunc_end1644:
	.size	_ZN7rocprim17ROCPRIM_400000_NS6detail17trampoline_kernelINS0_14default_configENS1_36segmented_radix_sort_config_selectorIblEEZNS1_25segmented_radix_sort_implIS3_Lb0EPKbPbPKlPlN2at6native12_GLOBAL__N_18offset_tEEE10hipError_tPvRmT1_PNSt15iterator_traitsISK_E10value_typeET2_T3_PNSL_ISQ_E10value_typeET4_jRbjT5_SW_jjP12ihipStream_tbEUlT_E_NS1_11comp_targetILNS1_3genE8ELNS1_11target_archE1030ELNS1_3gpuE2ELNS1_3repE0EEENS1_30default_config_static_selectorELNS0_4arch9wavefront6targetE0EEEvSK_, .Lfunc_end1644-_ZN7rocprim17ROCPRIM_400000_NS6detail17trampoline_kernelINS0_14default_configENS1_36segmented_radix_sort_config_selectorIblEEZNS1_25segmented_radix_sort_implIS3_Lb0EPKbPbPKlPlN2at6native12_GLOBAL__N_18offset_tEEE10hipError_tPvRmT1_PNSt15iterator_traitsISK_E10value_typeET2_T3_PNSL_ISQ_E10value_typeET4_jRbjT5_SW_jjP12ihipStream_tbEUlT_E_NS1_11comp_targetILNS1_3genE8ELNS1_11target_archE1030ELNS1_3gpuE2ELNS1_3repE0EEENS1_30default_config_static_selectorELNS0_4arch9wavefront6targetE0EEEvSK_
                                        ; -- End function
	.section	.AMDGPU.csdata,"",@progbits
; Kernel info:
; codeLenInByte = 0
; NumSgprs: 0
; NumVgprs: 0
; ScratchSize: 0
; MemoryBound: 0
; FloatMode: 240
; IeeeMode: 1
; LDSByteSize: 0 bytes/workgroup (compile time only)
; SGPRBlocks: 0
; VGPRBlocks: 0
; NumSGPRsForWavesPerEU: 1
; NumVGPRsForWavesPerEU: 1
; Occupancy: 16
; WaveLimiterHint : 0
; COMPUTE_PGM_RSRC2:SCRATCH_EN: 0
; COMPUTE_PGM_RSRC2:USER_SGPR: 15
; COMPUTE_PGM_RSRC2:TRAP_HANDLER: 0
; COMPUTE_PGM_RSRC2:TGID_X_EN: 1
; COMPUTE_PGM_RSRC2:TGID_Y_EN: 0
; COMPUTE_PGM_RSRC2:TGID_Z_EN: 0
; COMPUTE_PGM_RSRC2:TIDIG_COMP_CNT: 0
	.section	.text._ZN7rocprim17ROCPRIM_400000_NS6detail17trampoline_kernelINS0_14default_configENS1_36segmented_radix_sort_config_selectorIblEEZNS1_25segmented_radix_sort_implIS3_Lb0EPKbPbPKlPlN2at6native12_GLOBAL__N_18offset_tEEE10hipError_tPvRmT1_PNSt15iterator_traitsISK_E10value_typeET2_T3_PNSL_ISQ_E10value_typeET4_jRbjT5_SW_jjP12ihipStream_tbEUlT_E0_NS1_11comp_targetILNS1_3genE0ELNS1_11target_archE4294967295ELNS1_3gpuE0ELNS1_3repE0EEENS1_60segmented_radix_sort_warp_sort_medium_config_static_selectorELNS0_4arch9wavefront6targetE0EEEvSK_,"axG",@progbits,_ZN7rocprim17ROCPRIM_400000_NS6detail17trampoline_kernelINS0_14default_configENS1_36segmented_radix_sort_config_selectorIblEEZNS1_25segmented_radix_sort_implIS3_Lb0EPKbPbPKlPlN2at6native12_GLOBAL__N_18offset_tEEE10hipError_tPvRmT1_PNSt15iterator_traitsISK_E10value_typeET2_T3_PNSL_ISQ_E10value_typeET4_jRbjT5_SW_jjP12ihipStream_tbEUlT_E0_NS1_11comp_targetILNS1_3genE0ELNS1_11target_archE4294967295ELNS1_3gpuE0ELNS1_3repE0EEENS1_60segmented_radix_sort_warp_sort_medium_config_static_selectorELNS0_4arch9wavefront6targetE0EEEvSK_,comdat
	.globl	_ZN7rocprim17ROCPRIM_400000_NS6detail17trampoline_kernelINS0_14default_configENS1_36segmented_radix_sort_config_selectorIblEEZNS1_25segmented_radix_sort_implIS3_Lb0EPKbPbPKlPlN2at6native12_GLOBAL__N_18offset_tEEE10hipError_tPvRmT1_PNSt15iterator_traitsISK_E10value_typeET2_T3_PNSL_ISQ_E10value_typeET4_jRbjT5_SW_jjP12ihipStream_tbEUlT_E0_NS1_11comp_targetILNS1_3genE0ELNS1_11target_archE4294967295ELNS1_3gpuE0ELNS1_3repE0EEENS1_60segmented_radix_sort_warp_sort_medium_config_static_selectorELNS0_4arch9wavefront6targetE0EEEvSK_ ; -- Begin function _ZN7rocprim17ROCPRIM_400000_NS6detail17trampoline_kernelINS0_14default_configENS1_36segmented_radix_sort_config_selectorIblEEZNS1_25segmented_radix_sort_implIS3_Lb0EPKbPbPKlPlN2at6native12_GLOBAL__N_18offset_tEEE10hipError_tPvRmT1_PNSt15iterator_traitsISK_E10value_typeET2_T3_PNSL_ISQ_E10value_typeET4_jRbjT5_SW_jjP12ihipStream_tbEUlT_E0_NS1_11comp_targetILNS1_3genE0ELNS1_11target_archE4294967295ELNS1_3gpuE0ELNS1_3repE0EEENS1_60segmented_radix_sort_warp_sort_medium_config_static_selectorELNS0_4arch9wavefront6targetE0EEEvSK_
	.p2align	8
	.type	_ZN7rocprim17ROCPRIM_400000_NS6detail17trampoline_kernelINS0_14default_configENS1_36segmented_radix_sort_config_selectorIblEEZNS1_25segmented_radix_sort_implIS3_Lb0EPKbPbPKlPlN2at6native12_GLOBAL__N_18offset_tEEE10hipError_tPvRmT1_PNSt15iterator_traitsISK_E10value_typeET2_T3_PNSL_ISQ_E10value_typeET4_jRbjT5_SW_jjP12ihipStream_tbEUlT_E0_NS1_11comp_targetILNS1_3genE0ELNS1_11target_archE4294967295ELNS1_3gpuE0ELNS1_3repE0EEENS1_60segmented_radix_sort_warp_sort_medium_config_static_selectorELNS0_4arch9wavefront6targetE0EEEvSK_,@function
_ZN7rocprim17ROCPRIM_400000_NS6detail17trampoline_kernelINS0_14default_configENS1_36segmented_radix_sort_config_selectorIblEEZNS1_25segmented_radix_sort_implIS3_Lb0EPKbPbPKlPlN2at6native12_GLOBAL__N_18offset_tEEE10hipError_tPvRmT1_PNSt15iterator_traitsISK_E10value_typeET2_T3_PNSL_ISQ_E10value_typeET4_jRbjT5_SW_jjP12ihipStream_tbEUlT_E0_NS1_11comp_targetILNS1_3genE0ELNS1_11target_archE4294967295ELNS1_3gpuE0ELNS1_3repE0EEENS1_60segmented_radix_sort_warp_sort_medium_config_static_selectorELNS0_4arch9wavefront6targetE0EEEvSK_: ; @_ZN7rocprim17ROCPRIM_400000_NS6detail17trampoline_kernelINS0_14default_configENS1_36segmented_radix_sort_config_selectorIblEEZNS1_25segmented_radix_sort_implIS3_Lb0EPKbPbPKlPlN2at6native12_GLOBAL__N_18offset_tEEE10hipError_tPvRmT1_PNSt15iterator_traitsISK_E10value_typeET2_T3_PNSL_ISQ_E10value_typeET4_jRbjT5_SW_jjP12ihipStream_tbEUlT_E0_NS1_11comp_targetILNS1_3genE0ELNS1_11target_archE4294967295ELNS1_3gpuE0ELNS1_3repE0EEENS1_60segmented_radix_sort_warp_sort_medium_config_static_selectorELNS0_4arch9wavefront6targetE0EEEvSK_
; %bb.0:
	.section	.rodata,"a",@progbits
	.p2align	6, 0x0
	.amdhsa_kernel _ZN7rocprim17ROCPRIM_400000_NS6detail17trampoline_kernelINS0_14default_configENS1_36segmented_radix_sort_config_selectorIblEEZNS1_25segmented_radix_sort_implIS3_Lb0EPKbPbPKlPlN2at6native12_GLOBAL__N_18offset_tEEE10hipError_tPvRmT1_PNSt15iterator_traitsISK_E10value_typeET2_T3_PNSL_ISQ_E10value_typeET4_jRbjT5_SW_jjP12ihipStream_tbEUlT_E0_NS1_11comp_targetILNS1_3genE0ELNS1_11target_archE4294967295ELNS1_3gpuE0ELNS1_3repE0EEENS1_60segmented_radix_sort_warp_sort_medium_config_static_selectorELNS0_4arch9wavefront6targetE0EEEvSK_
		.amdhsa_group_segment_fixed_size 0
		.amdhsa_private_segment_fixed_size 0
		.amdhsa_kernarg_size 88
		.amdhsa_user_sgpr_count 15
		.amdhsa_user_sgpr_dispatch_ptr 0
		.amdhsa_user_sgpr_queue_ptr 0
		.amdhsa_user_sgpr_kernarg_segment_ptr 1
		.amdhsa_user_sgpr_dispatch_id 0
		.amdhsa_user_sgpr_private_segment_size 0
		.amdhsa_wavefront_size32 1
		.amdhsa_uses_dynamic_stack 0
		.amdhsa_enable_private_segment 0
		.amdhsa_system_sgpr_workgroup_id_x 1
		.amdhsa_system_sgpr_workgroup_id_y 0
		.amdhsa_system_sgpr_workgroup_id_z 0
		.amdhsa_system_sgpr_workgroup_info 0
		.amdhsa_system_vgpr_workitem_id 0
		.amdhsa_next_free_vgpr 1
		.amdhsa_next_free_sgpr 1
		.amdhsa_reserve_vcc 0
		.amdhsa_float_round_mode_32 0
		.amdhsa_float_round_mode_16_64 0
		.amdhsa_float_denorm_mode_32 3
		.amdhsa_float_denorm_mode_16_64 3
		.amdhsa_dx10_clamp 1
		.amdhsa_ieee_mode 1
		.amdhsa_fp16_overflow 0
		.amdhsa_workgroup_processor_mode 1
		.amdhsa_memory_ordered 1
		.amdhsa_forward_progress 0
		.amdhsa_shared_vgpr_count 0
		.amdhsa_exception_fp_ieee_invalid_op 0
		.amdhsa_exception_fp_denorm_src 0
		.amdhsa_exception_fp_ieee_div_zero 0
		.amdhsa_exception_fp_ieee_overflow 0
		.amdhsa_exception_fp_ieee_underflow 0
		.amdhsa_exception_fp_ieee_inexact 0
		.amdhsa_exception_int_div_zero 0
	.end_amdhsa_kernel
	.section	.text._ZN7rocprim17ROCPRIM_400000_NS6detail17trampoline_kernelINS0_14default_configENS1_36segmented_radix_sort_config_selectorIblEEZNS1_25segmented_radix_sort_implIS3_Lb0EPKbPbPKlPlN2at6native12_GLOBAL__N_18offset_tEEE10hipError_tPvRmT1_PNSt15iterator_traitsISK_E10value_typeET2_T3_PNSL_ISQ_E10value_typeET4_jRbjT5_SW_jjP12ihipStream_tbEUlT_E0_NS1_11comp_targetILNS1_3genE0ELNS1_11target_archE4294967295ELNS1_3gpuE0ELNS1_3repE0EEENS1_60segmented_radix_sort_warp_sort_medium_config_static_selectorELNS0_4arch9wavefront6targetE0EEEvSK_,"axG",@progbits,_ZN7rocprim17ROCPRIM_400000_NS6detail17trampoline_kernelINS0_14default_configENS1_36segmented_radix_sort_config_selectorIblEEZNS1_25segmented_radix_sort_implIS3_Lb0EPKbPbPKlPlN2at6native12_GLOBAL__N_18offset_tEEE10hipError_tPvRmT1_PNSt15iterator_traitsISK_E10value_typeET2_T3_PNSL_ISQ_E10value_typeET4_jRbjT5_SW_jjP12ihipStream_tbEUlT_E0_NS1_11comp_targetILNS1_3genE0ELNS1_11target_archE4294967295ELNS1_3gpuE0ELNS1_3repE0EEENS1_60segmented_radix_sort_warp_sort_medium_config_static_selectorELNS0_4arch9wavefront6targetE0EEEvSK_,comdat
.Lfunc_end1645:
	.size	_ZN7rocprim17ROCPRIM_400000_NS6detail17trampoline_kernelINS0_14default_configENS1_36segmented_radix_sort_config_selectorIblEEZNS1_25segmented_radix_sort_implIS3_Lb0EPKbPbPKlPlN2at6native12_GLOBAL__N_18offset_tEEE10hipError_tPvRmT1_PNSt15iterator_traitsISK_E10value_typeET2_T3_PNSL_ISQ_E10value_typeET4_jRbjT5_SW_jjP12ihipStream_tbEUlT_E0_NS1_11comp_targetILNS1_3genE0ELNS1_11target_archE4294967295ELNS1_3gpuE0ELNS1_3repE0EEENS1_60segmented_radix_sort_warp_sort_medium_config_static_selectorELNS0_4arch9wavefront6targetE0EEEvSK_, .Lfunc_end1645-_ZN7rocprim17ROCPRIM_400000_NS6detail17trampoline_kernelINS0_14default_configENS1_36segmented_radix_sort_config_selectorIblEEZNS1_25segmented_radix_sort_implIS3_Lb0EPKbPbPKlPlN2at6native12_GLOBAL__N_18offset_tEEE10hipError_tPvRmT1_PNSt15iterator_traitsISK_E10value_typeET2_T3_PNSL_ISQ_E10value_typeET4_jRbjT5_SW_jjP12ihipStream_tbEUlT_E0_NS1_11comp_targetILNS1_3genE0ELNS1_11target_archE4294967295ELNS1_3gpuE0ELNS1_3repE0EEENS1_60segmented_radix_sort_warp_sort_medium_config_static_selectorELNS0_4arch9wavefront6targetE0EEEvSK_
                                        ; -- End function
	.section	.AMDGPU.csdata,"",@progbits
; Kernel info:
; codeLenInByte = 0
; NumSgprs: 0
; NumVgprs: 0
; ScratchSize: 0
; MemoryBound: 0
; FloatMode: 240
; IeeeMode: 1
; LDSByteSize: 0 bytes/workgroup (compile time only)
; SGPRBlocks: 0
; VGPRBlocks: 0
; NumSGPRsForWavesPerEU: 1
; NumVGPRsForWavesPerEU: 1
; Occupancy: 16
; WaveLimiterHint : 0
; COMPUTE_PGM_RSRC2:SCRATCH_EN: 0
; COMPUTE_PGM_RSRC2:USER_SGPR: 15
; COMPUTE_PGM_RSRC2:TRAP_HANDLER: 0
; COMPUTE_PGM_RSRC2:TGID_X_EN: 1
; COMPUTE_PGM_RSRC2:TGID_Y_EN: 0
; COMPUTE_PGM_RSRC2:TGID_Z_EN: 0
; COMPUTE_PGM_RSRC2:TIDIG_COMP_CNT: 0
	.section	.text._ZN7rocprim17ROCPRIM_400000_NS6detail17trampoline_kernelINS0_14default_configENS1_36segmented_radix_sort_config_selectorIblEEZNS1_25segmented_radix_sort_implIS3_Lb0EPKbPbPKlPlN2at6native12_GLOBAL__N_18offset_tEEE10hipError_tPvRmT1_PNSt15iterator_traitsISK_E10value_typeET2_T3_PNSL_ISQ_E10value_typeET4_jRbjT5_SW_jjP12ihipStream_tbEUlT_E0_NS1_11comp_targetILNS1_3genE5ELNS1_11target_archE942ELNS1_3gpuE9ELNS1_3repE0EEENS1_60segmented_radix_sort_warp_sort_medium_config_static_selectorELNS0_4arch9wavefront6targetE0EEEvSK_,"axG",@progbits,_ZN7rocprim17ROCPRIM_400000_NS6detail17trampoline_kernelINS0_14default_configENS1_36segmented_radix_sort_config_selectorIblEEZNS1_25segmented_radix_sort_implIS3_Lb0EPKbPbPKlPlN2at6native12_GLOBAL__N_18offset_tEEE10hipError_tPvRmT1_PNSt15iterator_traitsISK_E10value_typeET2_T3_PNSL_ISQ_E10value_typeET4_jRbjT5_SW_jjP12ihipStream_tbEUlT_E0_NS1_11comp_targetILNS1_3genE5ELNS1_11target_archE942ELNS1_3gpuE9ELNS1_3repE0EEENS1_60segmented_radix_sort_warp_sort_medium_config_static_selectorELNS0_4arch9wavefront6targetE0EEEvSK_,comdat
	.globl	_ZN7rocprim17ROCPRIM_400000_NS6detail17trampoline_kernelINS0_14default_configENS1_36segmented_radix_sort_config_selectorIblEEZNS1_25segmented_radix_sort_implIS3_Lb0EPKbPbPKlPlN2at6native12_GLOBAL__N_18offset_tEEE10hipError_tPvRmT1_PNSt15iterator_traitsISK_E10value_typeET2_T3_PNSL_ISQ_E10value_typeET4_jRbjT5_SW_jjP12ihipStream_tbEUlT_E0_NS1_11comp_targetILNS1_3genE5ELNS1_11target_archE942ELNS1_3gpuE9ELNS1_3repE0EEENS1_60segmented_radix_sort_warp_sort_medium_config_static_selectorELNS0_4arch9wavefront6targetE0EEEvSK_ ; -- Begin function _ZN7rocprim17ROCPRIM_400000_NS6detail17trampoline_kernelINS0_14default_configENS1_36segmented_radix_sort_config_selectorIblEEZNS1_25segmented_radix_sort_implIS3_Lb0EPKbPbPKlPlN2at6native12_GLOBAL__N_18offset_tEEE10hipError_tPvRmT1_PNSt15iterator_traitsISK_E10value_typeET2_T3_PNSL_ISQ_E10value_typeET4_jRbjT5_SW_jjP12ihipStream_tbEUlT_E0_NS1_11comp_targetILNS1_3genE5ELNS1_11target_archE942ELNS1_3gpuE9ELNS1_3repE0EEENS1_60segmented_radix_sort_warp_sort_medium_config_static_selectorELNS0_4arch9wavefront6targetE0EEEvSK_
	.p2align	8
	.type	_ZN7rocprim17ROCPRIM_400000_NS6detail17trampoline_kernelINS0_14default_configENS1_36segmented_radix_sort_config_selectorIblEEZNS1_25segmented_radix_sort_implIS3_Lb0EPKbPbPKlPlN2at6native12_GLOBAL__N_18offset_tEEE10hipError_tPvRmT1_PNSt15iterator_traitsISK_E10value_typeET2_T3_PNSL_ISQ_E10value_typeET4_jRbjT5_SW_jjP12ihipStream_tbEUlT_E0_NS1_11comp_targetILNS1_3genE5ELNS1_11target_archE942ELNS1_3gpuE9ELNS1_3repE0EEENS1_60segmented_radix_sort_warp_sort_medium_config_static_selectorELNS0_4arch9wavefront6targetE0EEEvSK_,@function
_ZN7rocprim17ROCPRIM_400000_NS6detail17trampoline_kernelINS0_14default_configENS1_36segmented_radix_sort_config_selectorIblEEZNS1_25segmented_radix_sort_implIS3_Lb0EPKbPbPKlPlN2at6native12_GLOBAL__N_18offset_tEEE10hipError_tPvRmT1_PNSt15iterator_traitsISK_E10value_typeET2_T3_PNSL_ISQ_E10value_typeET4_jRbjT5_SW_jjP12ihipStream_tbEUlT_E0_NS1_11comp_targetILNS1_3genE5ELNS1_11target_archE942ELNS1_3gpuE9ELNS1_3repE0EEENS1_60segmented_radix_sort_warp_sort_medium_config_static_selectorELNS0_4arch9wavefront6targetE0EEEvSK_: ; @_ZN7rocprim17ROCPRIM_400000_NS6detail17trampoline_kernelINS0_14default_configENS1_36segmented_radix_sort_config_selectorIblEEZNS1_25segmented_radix_sort_implIS3_Lb0EPKbPbPKlPlN2at6native12_GLOBAL__N_18offset_tEEE10hipError_tPvRmT1_PNSt15iterator_traitsISK_E10value_typeET2_T3_PNSL_ISQ_E10value_typeET4_jRbjT5_SW_jjP12ihipStream_tbEUlT_E0_NS1_11comp_targetILNS1_3genE5ELNS1_11target_archE942ELNS1_3gpuE9ELNS1_3repE0EEENS1_60segmented_radix_sort_warp_sort_medium_config_static_selectorELNS0_4arch9wavefront6targetE0EEEvSK_
; %bb.0:
	.section	.rodata,"a",@progbits
	.p2align	6, 0x0
	.amdhsa_kernel _ZN7rocprim17ROCPRIM_400000_NS6detail17trampoline_kernelINS0_14default_configENS1_36segmented_radix_sort_config_selectorIblEEZNS1_25segmented_radix_sort_implIS3_Lb0EPKbPbPKlPlN2at6native12_GLOBAL__N_18offset_tEEE10hipError_tPvRmT1_PNSt15iterator_traitsISK_E10value_typeET2_T3_PNSL_ISQ_E10value_typeET4_jRbjT5_SW_jjP12ihipStream_tbEUlT_E0_NS1_11comp_targetILNS1_3genE5ELNS1_11target_archE942ELNS1_3gpuE9ELNS1_3repE0EEENS1_60segmented_radix_sort_warp_sort_medium_config_static_selectorELNS0_4arch9wavefront6targetE0EEEvSK_
		.amdhsa_group_segment_fixed_size 0
		.amdhsa_private_segment_fixed_size 0
		.amdhsa_kernarg_size 88
		.amdhsa_user_sgpr_count 15
		.amdhsa_user_sgpr_dispatch_ptr 0
		.amdhsa_user_sgpr_queue_ptr 0
		.amdhsa_user_sgpr_kernarg_segment_ptr 1
		.amdhsa_user_sgpr_dispatch_id 0
		.amdhsa_user_sgpr_private_segment_size 0
		.amdhsa_wavefront_size32 1
		.amdhsa_uses_dynamic_stack 0
		.amdhsa_enable_private_segment 0
		.amdhsa_system_sgpr_workgroup_id_x 1
		.amdhsa_system_sgpr_workgroup_id_y 0
		.amdhsa_system_sgpr_workgroup_id_z 0
		.amdhsa_system_sgpr_workgroup_info 0
		.amdhsa_system_vgpr_workitem_id 0
		.amdhsa_next_free_vgpr 1
		.amdhsa_next_free_sgpr 1
		.amdhsa_reserve_vcc 0
		.amdhsa_float_round_mode_32 0
		.amdhsa_float_round_mode_16_64 0
		.amdhsa_float_denorm_mode_32 3
		.amdhsa_float_denorm_mode_16_64 3
		.amdhsa_dx10_clamp 1
		.amdhsa_ieee_mode 1
		.amdhsa_fp16_overflow 0
		.amdhsa_workgroup_processor_mode 1
		.amdhsa_memory_ordered 1
		.amdhsa_forward_progress 0
		.amdhsa_shared_vgpr_count 0
		.amdhsa_exception_fp_ieee_invalid_op 0
		.amdhsa_exception_fp_denorm_src 0
		.amdhsa_exception_fp_ieee_div_zero 0
		.amdhsa_exception_fp_ieee_overflow 0
		.amdhsa_exception_fp_ieee_underflow 0
		.amdhsa_exception_fp_ieee_inexact 0
		.amdhsa_exception_int_div_zero 0
	.end_amdhsa_kernel
	.section	.text._ZN7rocprim17ROCPRIM_400000_NS6detail17trampoline_kernelINS0_14default_configENS1_36segmented_radix_sort_config_selectorIblEEZNS1_25segmented_radix_sort_implIS3_Lb0EPKbPbPKlPlN2at6native12_GLOBAL__N_18offset_tEEE10hipError_tPvRmT1_PNSt15iterator_traitsISK_E10value_typeET2_T3_PNSL_ISQ_E10value_typeET4_jRbjT5_SW_jjP12ihipStream_tbEUlT_E0_NS1_11comp_targetILNS1_3genE5ELNS1_11target_archE942ELNS1_3gpuE9ELNS1_3repE0EEENS1_60segmented_radix_sort_warp_sort_medium_config_static_selectorELNS0_4arch9wavefront6targetE0EEEvSK_,"axG",@progbits,_ZN7rocprim17ROCPRIM_400000_NS6detail17trampoline_kernelINS0_14default_configENS1_36segmented_radix_sort_config_selectorIblEEZNS1_25segmented_radix_sort_implIS3_Lb0EPKbPbPKlPlN2at6native12_GLOBAL__N_18offset_tEEE10hipError_tPvRmT1_PNSt15iterator_traitsISK_E10value_typeET2_T3_PNSL_ISQ_E10value_typeET4_jRbjT5_SW_jjP12ihipStream_tbEUlT_E0_NS1_11comp_targetILNS1_3genE5ELNS1_11target_archE942ELNS1_3gpuE9ELNS1_3repE0EEENS1_60segmented_radix_sort_warp_sort_medium_config_static_selectorELNS0_4arch9wavefront6targetE0EEEvSK_,comdat
.Lfunc_end1646:
	.size	_ZN7rocprim17ROCPRIM_400000_NS6detail17trampoline_kernelINS0_14default_configENS1_36segmented_radix_sort_config_selectorIblEEZNS1_25segmented_radix_sort_implIS3_Lb0EPKbPbPKlPlN2at6native12_GLOBAL__N_18offset_tEEE10hipError_tPvRmT1_PNSt15iterator_traitsISK_E10value_typeET2_T3_PNSL_ISQ_E10value_typeET4_jRbjT5_SW_jjP12ihipStream_tbEUlT_E0_NS1_11comp_targetILNS1_3genE5ELNS1_11target_archE942ELNS1_3gpuE9ELNS1_3repE0EEENS1_60segmented_radix_sort_warp_sort_medium_config_static_selectorELNS0_4arch9wavefront6targetE0EEEvSK_, .Lfunc_end1646-_ZN7rocprim17ROCPRIM_400000_NS6detail17trampoline_kernelINS0_14default_configENS1_36segmented_radix_sort_config_selectorIblEEZNS1_25segmented_radix_sort_implIS3_Lb0EPKbPbPKlPlN2at6native12_GLOBAL__N_18offset_tEEE10hipError_tPvRmT1_PNSt15iterator_traitsISK_E10value_typeET2_T3_PNSL_ISQ_E10value_typeET4_jRbjT5_SW_jjP12ihipStream_tbEUlT_E0_NS1_11comp_targetILNS1_3genE5ELNS1_11target_archE942ELNS1_3gpuE9ELNS1_3repE0EEENS1_60segmented_radix_sort_warp_sort_medium_config_static_selectorELNS0_4arch9wavefront6targetE0EEEvSK_
                                        ; -- End function
	.section	.AMDGPU.csdata,"",@progbits
; Kernel info:
; codeLenInByte = 0
; NumSgprs: 0
; NumVgprs: 0
; ScratchSize: 0
; MemoryBound: 0
; FloatMode: 240
; IeeeMode: 1
; LDSByteSize: 0 bytes/workgroup (compile time only)
; SGPRBlocks: 0
; VGPRBlocks: 0
; NumSGPRsForWavesPerEU: 1
; NumVGPRsForWavesPerEU: 1
; Occupancy: 16
; WaveLimiterHint : 0
; COMPUTE_PGM_RSRC2:SCRATCH_EN: 0
; COMPUTE_PGM_RSRC2:USER_SGPR: 15
; COMPUTE_PGM_RSRC2:TRAP_HANDLER: 0
; COMPUTE_PGM_RSRC2:TGID_X_EN: 1
; COMPUTE_PGM_RSRC2:TGID_Y_EN: 0
; COMPUTE_PGM_RSRC2:TGID_Z_EN: 0
; COMPUTE_PGM_RSRC2:TIDIG_COMP_CNT: 0
	.section	.text._ZN7rocprim17ROCPRIM_400000_NS6detail17trampoline_kernelINS0_14default_configENS1_36segmented_radix_sort_config_selectorIblEEZNS1_25segmented_radix_sort_implIS3_Lb0EPKbPbPKlPlN2at6native12_GLOBAL__N_18offset_tEEE10hipError_tPvRmT1_PNSt15iterator_traitsISK_E10value_typeET2_T3_PNSL_ISQ_E10value_typeET4_jRbjT5_SW_jjP12ihipStream_tbEUlT_E0_NS1_11comp_targetILNS1_3genE4ELNS1_11target_archE910ELNS1_3gpuE8ELNS1_3repE0EEENS1_60segmented_radix_sort_warp_sort_medium_config_static_selectorELNS0_4arch9wavefront6targetE0EEEvSK_,"axG",@progbits,_ZN7rocprim17ROCPRIM_400000_NS6detail17trampoline_kernelINS0_14default_configENS1_36segmented_radix_sort_config_selectorIblEEZNS1_25segmented_radix_sort_implIS3_Lb0EPKbPbPKlPlN2at6native12_GLOBAL__N_18offset_tEEE10hipError_tPvRmT1_PNSt15iterator_traitsISK_E10value_typeET2_T3_PNSL_ISQ_E10value_typeET4_jRbjT5_SW_jjP12ihipStream_tbEUlT_E0_NS1_11comp_targetILNS1_3genE4ELNS1_11target_archE910ELNS1_3gpuE8ELNS1_3repE0EEENS1_60segmented_radix_sort_warp_sort_medium_config_static_selectorELNS0_4arch9wavefront6targetE0EEEvSK_,comdat
	.globl	_ZN7rocprim17ROCPRIM_400000_NS6detail17trampoline_kernelINS0_14default_configENS1_36segmented_radix_sort_config_selectorIblEEZNS1_25segmented_radix_sort_implIS3_Lb0EPKbPbPKlPlN2at6native12_GLOBAL__N_18offset_tEEE10hipError_tPvRmT1_PNSt15iterator_traitsISK_E10value_typeET2_T3_PNSL_ISQ_E10value_typeET4_jRbjT5_SW_jjP12ihipStream_tbEUlT_E0_NS1_11comp_targetILNS1_3genE4ELNS1_11target_archE910ELNS1_3gpuE8ELNS1_3repE0EEENS1_60segmented_radix_sort_warp_sort_medium_config_static_selectorELNS0_4arch9wavefront6targetE0EEEvSK_ ; -- Begin function _ZN7rocprim17ROCPRIM_400000_NS6detail17trampoline_kernelINS0_14default_configENS1_36segmented_radix_sort_config_selectorIblEEZNS1_25segmented_radix_sort_implIS3_Lb0EPKbPbPKlPlN2at6native12_GLOBAL__N_18offset_tEEE10hipError_tPvRmT1_PNSt15iterator_traitsISK_E10value_typeET2_T3_PNSL_ISQ_E10value_typeET4_jRbjT5_SW_jjP12ihipStream_tbEUlT_E0_NS1_11comp_targetILNS1_3genE4ELNS1_11target_archE910ELNS1_3gpuE8ELNS1_3repE0EEENS1_60segmented_radix_sort_warp_sort_medium_config_static_selectorELNS0_4arch9wavefront6targetE0EEEvSK_
	.p2align	8
	.type	_ZN7rocprim17ROCPRIM_400000_NS6detail17trampoline_kernelINS0_14default_configENS1_36segmented_radix_sort_config_selectorIblEEZNS1_25segmented_radix_sort_implIS3_Lb0EPKbPbPKlPlN2at6native12_GLOBAL__N_18offset_tEEE10hipError_tPvRmT1_PNSt15iterator_traitsISK_E10value_typeET2_T3_PNSL_ISQ_E10value_typeET4_jRbjT5_SW_jjP12ihipStream_tbEUlT_E0_NS1_11comp_targetILNS1_3genE4ELNS1_11target_archE910ELNS1_3gpuE8ELNS1_3repE0EEENS1_60segmented_radix_sort_warp_sort_medium_config_static_selectorELNS0_4arch9wavefront6targetE0EEEvSK_,@function
_ZN7rocprim17ROCPRIM_400000_NS6detail17trampoline_kernelINS0_14default_configENS1_36segmented_radix_sort_config_selectorIblEEZNS1_25segmented_radix_sort_implIS3_Lb0EPKbPbPKlPlN2at6native12_GLOBAL__N_18offset_tEEE10hipError_tPvRmT1_PNSt15iterator_traitsISK_E10value_typeET2_T3_PNSL_ISQ_E10value_typeET4_jRbjT5_SW_jjP12ihipStream_tbEUlT_E0_NS1_11comp_targetILNS1_3genE4ELNS1_11target_archE910ELNS1_3gpuE8ELNS1_3repE0EEENS1_60segmented_radix_sort_warp_sort_medium_config_static_selectorELNS0_4arch9wavefront6targetE0EEEvSK_: ; @_ZN7rocprim17ROCPRIM_400000_NS6detail17trampoline_kernelINS0_14default_configENS1_36segmented_radix_sort_config_selectorIblEEZNS1_25segmented_radix_sort_implIS3_Lb0EPKbPbPKlPlN2at6native12_GLOBAL__N_18offset_tEEE10hipError_tPvRmT1_PNSt15iterator_traitsISK_E10value_typeET2_T3_PNSL_ISQ_E10value_typeET4_jRbjT5_SW_jjP12ihipStream_tbEUlT_E0_NS1_11comp_targetILNS1_3genE4ELNS1_11target_archE910ELNS1_3gpuE8ELNS1_3repE0EEENS1_60segmented_radix_sort_warp_sort_medium_config_static_selectorELNS0_4arch9wavefront6targetE0EEEvSK_
; %bb.0:
	.section	.rodata,"a",@progbits
	.p2align	6, 0x0
	.amdhsa_kernel _ZN7rocprim17ROCPRIM_400000_NS6detail17trampoline_kernelINS0_14default_configENS1_36segmented_radix_sort_config_selectorIblEEZNS1_25segmented_radix_sort_implIS3_Lb0EPKbPbPKlPlN2at6native12_GLOBAL__N_18offset_tEEE10hipError_tPvRmT1_PNSt15iterator_traitsISK_E10value_typeET2_T3_PNSL_ISQ_E10value_typeET4_jRbjT5_SW_jjP12ihipStream_tbEUlT_E0_NS1_11comp_targetILNS1_3genE4ELNS1_11target_archE910ELNS1_3gpuE8ELNS1_3repE0EEENS1_60segmented_radix_sort_warp_sort_medium_config_static_selectorELNS0_4arch9wavefront6targetE0EEEvSK_
		.amdhsa_group_segment_fixed_size 0
		.amdhsa_private_segment_fixed_size 0
		.amdhsa_kernarg_size 88
		.amdhsa_user_sgpr_count 15
		.amdhsa_user_sgpr_dispatch_ptr 0
		.amdhsa_user_sgpr_queue_ptr 0
		.amdhsa_user_sgpr_kernarg_segment_ptr 1
		.amdhsa_user_sgpr_dispatch_id 0
		.amdhsa_user_sgpr_private_segment_size 0
		.amdhsa_wavefront_size32 1
		.amdhsa_uses_dynamic_stack 0
		.amdhsa_enable_private_segment 0
		.amdhsa_system_sgpr_workgroup_id_x 1
		.amdhsa_system_sgpr_workgroup_id_y 0
		.amdhsa_system_sgpr_workgroup_id_z 0
		.amdhsa_system_sgpr_workgroup_info 0
		.amdhsa_system_vgpr_workitem_id 0
		.amdhsa_next_free_vgpr 1
		.amdhsa_next_free_sgpr 1
		.amdhsa_reserve_vcc 0
		.amdhsa_float_round_mode_32 0
		.amdhsa_float_round_mode_16_64 0
		.amdhsa_float_denorm_mode_32 3
		.amdhsa_float_denorm_mode_16_64 3
		.amdhsa_dx10_clamp 1
		.amdhsa_ieee_mode 1
		.amdhsa_fp16_overflow 0
		.amdhsa_workgroup_processor_mode 1
		.amdhsa_memory_ordered 1
		.amdhsa_forward_progress 0
		.amdhsa_shared_vgpr_count 0
		.amdhsa_exception_fp_ieee_invalid_op 0
		.amdhsa_exception_fp_denorm_src 0
		.amdhsa_exception_fp_ieee_div_zero 0
		.amdhsa_exception_fp_ieee_overflow 0
		.amdhsa_exception_fp_ieee_underflow 0
		.amdhsa_exception_fp_ieee_inexact 0
		.amdhsa_exception_int_div_zero 0
	.end_amdhsa_kernel
	.section	.text._ZN7rocprim17ROCPRIM_400000_NS6detail17trampoline_kernelINS0_14default_configENS1_36segmented_radix_sort_config_selectorIblEEZNS1_25segmented_radix_sort_implIS3_Lb0EPKbPbPKlPlN2at6native12_GLOBAL__N_18offset_tEEE10hipError_tPvRmT1_PNSt15iterator_traitsISK_E10value_typeET2_T3_PNSL_ISQ_E10value_typeET4_jRbjT5_SW_jjP12ihipStream_tbEUlT_E0_NS1_11comp_targetILNS1_3genE4ELNS1_11target_archE910ELNS1_3gpuE8ELNS1_3repE0EEENS1_60segmented_radix_sort_warp_sort_medium_config_static_selectorELNS0_4arch9wavefront6targetE0EEEvSK_,"axG",@progbits,_ZN7rocprim17ROCPRIM_400000_NS6detail17trampoline_kernelINS0_14default_configENS1_36segmented_radix_sort_config_selectorIblEEZNS1_25segmented_radix_sort_implIS3_Lb0EPKbPbPKlPlN2at6native12_GLOBAL__N_18offset_tEEE10hipError_tPvRmT1_PNSt15iterator_traitsISK_E10value_typeET2_T3_PNSL_ISQ_E10value_typeET4_jRbjT5_SW_jjP12ihipStream_tbEUlT_E0_NS1_11comp_targetILNS1_3genE4ELNS1_11target_archE910ELNS1_3gpuE8ELNS1_3repE0EEENS1_60segmented_radix_sort_warp_sort_medium_config_static_selectorELNS0_4arch9wavefront6targetE0EEEvSK_,comdat
.Lfunc_end1647:
	.size	_ZN7rocprim17ROCPRIM_400000_NS6detail17trampoline_kernelINS0_14default_configENS1_36segmented_radix_sort_config_selectorIblEEZNS1_25segmented_radix_sort_implIS3_Lb0EPKbPbPKlPlN2at6native12_GLOBAL__N_18offset_tEEE10hipError_tPvRmT1_PNSt15iterator_traitsISK_E10value_typeET2_T3_PNSL_ISQ_E10value_typeET4_jRbjT5_SW_jjP12ihipStream_tbEUlT_E0_NS1_11comp_targetILNS1_3genE4ELNS1_11target_archE910ELNS1_3gpuE8ELNS1_3repE0EEENS1_60segmented_radix_sort_warp_sort_medium_config_static_selectorELNS0_4arch9wavefront6targetE0EEEvSK_, .Lfunc_end1647-_ZN7rocprim17ROCPRIM_400000_NS6detail17trampoline_kernelINS0_14default_configENS1_36segmented_radix_sort_config_selectorIblEEZNS1_25segmented_radix_sort_implIS3_Lb0EPKbPbPKlPlN2at6native12_GLOBAL__N_18offset_tEEE10hipError_tPvRmT1_PNSt15iterator_traitsISK_E10value_typeET2_T3_PNSL_ISQ_E10value_typeET4_jRbjT5_SW_jjP12ihipStream_tbEUlT_E0_NS1_11comp_targetILNS1_3genE4ELNS1_11target_archE910ELNS1_3gpuE8ELNS1_3repE0EEENS1_60segmented_radix_sort_warp_sort_medium_config_static_selectorELNS0_4arch9wavefront6targetE0EEEvSK_
                                        ; -- End function
	.section	.AMDGPU.csdata,"",@progbits
; Kernel info:
; codeLenInByte = 0
; NumSgprs: 0
; NumVgprs: 0
; ScratchSize: 0
; MemoryBound: 0
; FloatMode: 240
; IeeeMode: 1
; LDSByteSize: 0 bytes/workgroup (compile time only)
; SGPRBlocks: 0
; VGPRBlocks: 0
; NumSGPRsForWavesPerEU: 1
; NumVGPRsForWavesPerEU: 1
; Occupancy: 16
; WaveLimiterHint : 0
; COMPUTE_PGM_RSRC2:SCRATCH_EN: 0
; COMPUTE_PGM_RSRC2:USER_SGPR: 15
; COMPUTE_PGM_RSRC2:TRAP_HANDLER: 0
; COMPUTE_PGM_RSRC2:TGID_X_EN: 1
; COMPUTE_PGM_RSRC2:TGID_Y_EN: 0
; COMPUTE_PGM_RSRC2:TGID_Z_EN: 0
; COMPUTE_PGM_RSRC2:TIDIG_COMP_CNT: 0
	.section	.text._ZN7rocprim17ROCPRIM_400000_NS6detail17trampoline_kernelINS0_14default_configENS1_36segmented_radix_sort_config_selectorIblEEZNS1_25segmented_radix_sort_implIS3_Lb0EPKbPbPKlPlN2at6native12_GLOBAL__N_18offset_tEEE10hipError_tPvRmT1_PNSt15iterator_traitsISK_E10value_typeET2_T3_PNSL_ISQ_E10value_typeET4_jRbjT5_SW_jjP12ihipStream_tbEUlT_E0_NS1_11comp_targetILNS1_3genE3ELNS1_11target_archE908ELNS1_3gpuE7ELNS1_3repE0EEENS1_60segmented_radix_sort_warp_sort_medium_config_static_selectorELNS0_4arch9wavefront6targetE0EEEvSK_,"axG",@progbits,_ZN7rocprim17ROCPRIM_400000_NS6detail17trampoline_kernelINS0_14default_configENS1_36segmented_radix_sort_config_selectorIblEEZNS1_25segmented_radix_sort_implIS3_Lb0EPKbPbPKlPlN2at6native12_GLOBAL__N_18offset_tEEE10hipError_tPvRmT1_PNSt15iterator_traitsISK_E10value_typeET2_T3_PNSL_ISQ_E10value_typeET4_jRbjT5_SW_jjP12ihipStream_tbEUlT_E0_NS1_11comp_targetILNS1_3genE3ELNS1_11target_archE908ELNS1_3gpuE7ELNS1_3repE0EEENS1_60segmented_radix_sort_warp_sort_medium_config_static_selectorELNS0_4arch9wavefront6targetE0EEEvSK_,comdat
	.globl	_ZN7rocprim17ROCPRIM_400000_NS6detail17trampoline_kernelINS0_14default_configENS1_36segmented_radix_sort_config_selectorIblEEZNS1_25segmented_radix_sort_implIS3_Lb0EPKbPbPKlPlN2at6native12_GLOBAL__N_18offset_tEEE10hipError_tPvRmT1_PNSt15iterator_traitsISK_E10value_typeET2_T3_PNSL_ISQ_E10value_typeET4_jRbjT5_SW_jjP12ihipStream_tbEUlT_E0_NS1_11comp_targetILNS1_3genE3ELNS1_11target_archE908ELNS1_3gpuE7ELNS1_3repE0EEENS1_60segmented_radix_sort_warp_sort_medium_config_static_selectorELNS0_4arch9wavefront6targetE0EEEvSK_ ; -- Begin function _ZN7rocprim17ROCPRIM_400000_NS6detail17trampoline_kernelINS0_14default_configENS1_36segmented_radix_sort_config_selectorIblEEZNS1_25segmented_radix_sort_implIS3_Lb0EPKbPbPKlPlN2at6native12_GLOBAL__N_18offset_tEEE10hipError_tPvRmT1_PNSt15iterator_traitsISK_E10value_typeET2_T3_PNSL_ISQ_E10value_typeET4_jRbjT5_SW_jjP12ihipStream_tbEUlT_E0_NS1_11comp_targetILNS1_3genE3ELNS1_11target_archE908ELNS1_3gpuE7ELNS1_3repE0EEENS1_60segmented_radix_sort_warp_sort_medium_config_static_selectorELNS0_4arch9wavefront6targetE0EEEvSK_
	.p2align	8
	.type	_ZN7rocprim17ROCPRIM_400000_NS6detail17trampoline_kernelINS0_14default_configENS1_36segmented_radix_sort_config_selectorIblEEZNS1_25segmented_radix_sort_implIS3_Lb0EPKbPbPKlPlN2at6native12_GLOBAL__N_18offset_tEEE10hipError_tPvRmT1_PNSt15iterator_traitsISK_E10value_typeET2_T3_PNSL_ISQ_E10value_typeET4_jRbjT5_SW_jjP12ihipStream_tbEUlT_E0_NS1_11comp_targetILNS1_3genE3ELNS1_11target_archE908ELNS1_3gpuE7ELNS1_3repE0EEENS1_60segmented_radix_sort_warp_sort_medium_config_static_selectorELNS0_4arch9wavefront6targetE0EEEvSK_,@function
_ZN7rocprim17ROCPRIM_400000_NS6detail17trampoline_kernelINS0_14default_configENS1_36segmented_radix_sort_config_selectorIblEEZNS1_25segmented_radix_sort_implIS3_Lb0EPKbPbPKlPlN2at6native12_GLOBAL__N_18offset_tEEE10hipError_tPvRmT1_PNSt15iterator_traitsISK_E10value_typeET2_T3_PNSL_ISQ_E10value_typeET4_jRbjT5_SW_jjP12ihipStream_tbEUlT_E0_NS1_11comp_targetILNS1_3genE3ELNS1_11target_archE908ELNS1_3gpuE7ELNS1_3repE0EEENS1_60segmented_radix_sort_warp_sort_medium_config_static_selectorELNS0_4arch9wavefront6targetE0EEEvSK_: ; @_ZN7rocprim17ROCPRIM_400000_NS6detail17trampoline_kernelINS0_14default_configENS1_36segmented_radix_sort_config_selectorIblEEZNS1_25segmented_radix_sort_implIS3_Lb0EPKbPbPKlPlN2at6native12_GLOBAL__N_18offset_tEEE10hipError_tPvRmT1_PNSt15iterator_traitsISK_E10value_typeET2_T3_PNSL_ISQ_E10value_typeET4_jRbjT5_SW_jjP12ihipStream_tbEUlT_E0_NS1_11comp_targetILNS1_3genE3ELNS1_11target_archE908ELNS1_3gpuE7ELNS1_3repE0EEENS1_60segmented_radix_sort_warp_sort_medium_config_static_selectorELNS0_4arch9wavefront6targetE0EEEvSK_
; %bb.0:
	.section	.rodata,"a",@progbits
	.p2align	6, 0x0
	.amdhsa_kernel _ZN7rocprim17ROCPRIM_400000_NS6detail17trampoline_kernelINS0_14default_configENS1_36segmented_radix_sort_config_selectorIblEEZNS1_25segmented_radix_sort_implIS3_Lb0EPKbPbPKlPlN2at6native12_GLOBAL__N_18offset_tEEE10hipError_tPvRmT1_PNSt15iterator_traitsISK_E10value_typeET2_T3_PNSL_ISQ_E10value_typeET4_jRbjT5_SW_jjP12ihipStream_tbEUlT_E0_NS1_11comp_targetILNS1_3genE3ELNS1_11target_archE908ELNS1_3gpuE7ELNS1_3repE0EEENS1_60segmented_radix_sort_warp_sort_medium_config_static_selectorELNS0_4arch9wavefront6targetE0EEEvSK_
		.amdhsa_group_segment_fixed_size 0
		.amdhsa_private_segment_fixed_size 0
		.amdhsa_kernarg_size 88
		.amdhsa_user_sgpr_count 15
		.amdhsa_user_sgpr_dispatch_ptr 0
		.amdhsa_user_sgpr_queue_ptr 0
		.amdhsa_user_sgpr_kernarg_segment_ptr 1
		.amdhsa_user_sgpr_dispatch_id 0
		.amdhsa_user_sgpr_private_segment_size 0
		.amdhsa_wavefront_size32 1
		.amdhsa_uses_dynamic_stack 0
		.amdhsa_enable_private_segment 0
		.amdhsa_system_sgpr_workgroup_id_x 1
		.amdhsa_system_sgpr_workgroup_id_y 0
		.amdhsa_system_sgpr_workgroup_id_z 0
		.amdhsa_system_sgpr_workgroup_info 0
		.amdhsa_system_vgpr_workitem_id 0
		.amdhsa_next_free_vgpr 1
		.amdhsa_next_free_sgpr 1
		.amdhsa_reserve_vcc 0
		.amdhsa_float_round_mode_32 0
		.amdhsa_float_round_mode_16_64 0
		.amdhsa_float_denorm_mode_32 3
		.amdhsa_float_denorm_mode_16_64 3
		.amdhsa_dx10_clamp 1
		.amdhsa_ieee_mode 1
		.amdhsa_fp16_overflow 0
		.amdhsa_workgroup_processor_mode 1
		.amdhsa_memory_ordered 1
		.amdhsa_forward_progress 0
		.amdhsa_shared_vgpr_count 0
		.amdhsa_exception_fp_ieee_invalid_op 0
		.amdhsa_exception_fp_denorm_src 0
		.amdhsa_exception_fp_ieee_div_zero 0
		.amdhsa_exception_fp_ieee_overflow 0
		.amdhsa_exception_fp_ieee_underflow 0
		.amdhsa_exception_fp_ieee_inexact 0
		.amdhsa_exception_int_div_zero 0
	.end_amdhsa_kernel
	.section	.text._ZN7rocprim17ROCPRIM_400000_NS6detail17trampoline_kernelINS0_14default_configENS1_36segmented_radix_sort_config_selectorIblEEZNS1_25segmented_radix_sort_implIS3_Lb0EPKbPbPKlPlN2at6native12_GLOBAL__N_18offset_tEEE10hipError_tPvRmT1_PNSt15iterator_traitsISK_E10value_typeET2_T3_PNSL_ISQ_E10value_typeET4_jRbjT5_SW_jjP12ihipStream_tbEUlT_E0_NS1_11comp_targetILNS1_3genE3ELNS1_11target_archE908ELNS1_3gpuE7ELNS1_3repE0EEENS1_60segmented_radix_sort_warp_sort_medium_config_static_selectorELNS0_4arch9wavefront6targetE0EEEvSK_,"axG",@progbits,_ZN7rocprim17ROCPRIM_400000_NS6detail17trampoline_kernelINS0_14default_configENS1_36segmented_radix_sort_config_selectorIblEEZNS1_25segmented_radix_sort_implIS3_Lb0EPKbPbPKlPlN2at6native12_GLOBAL__N_18offset_tEEE10hipError_tPvRmT1_PNSt15iterator_traitsISK_E10value_typeET2_T3_PNSL_ISQ_E10value_typeET4_jRbjT5_SW_jjP12ihipStream_tbEUlT_E0_NS1_11comp_targetILNS1_3genE3ELNS1_11target_archE908ELNS1_3gpuE7ELNS1_3repE0EEENS1_60segmented_radix_sort_warp_sort_medium_config_static_selectorELNS0_4arch9wavefront6targetE0EEEvSK_,comdat
.Lfunc_end1648:
	.size	_ZN7rocprim17ROCPRIM_400000_NS6detail17trampoline_kernelINS0_14default_configENS1_36segmented_radix_sort_config_selectorIblEEZNS1_25segmented_radix_sort_implIS3_Lb0EPKbPbPKlPlN2at6native12_GLOBAL__N_18offset_tEEE10hipError_tPvRmT1_PNSt15iterator_traitsISK_E10value_typeET2_T3_PNSL_ISQ_E10value_typeET4_jRbjT5_SW_jjP12ihipStream_tbEUlT_E0_NS1_11comp_targetILNS1_3genE3ELNS1_11target_archE908ELNS1_3gpuE7ELNS1_3repE0EEENS1_60segmented_radix_sort_warp_sort_medium_config_static_selectorELNS0_4arch9wavefront6targetE0EEEvSK_, .Lfunc_end1648-_ZN7rocprim17ROCPRIM_400000_NS6detail17trampoline_kernelINS0_14default_configENS1_36segmented_radix_sort_config_selectorIblEEZNS1_25segmented_radix_sort_implIS3_Lb0EPKbPbPKlPlN2at6native12_GLOBAL__N_18offset_tEEE10hipError_tPvRmT1_PNSt15iterator_traitsISK_E10value_typeET2_T3_PNSL_ISQ_E10value_typeET4_jRbjT5_SW_jjP12ihipStream_tbEUlT_E0_NS1_11comp_targetILNS1_3genE3ELNS1_11target_archE908ELNS1_3gpuE7ELNS1_3repE0EEENS1_60segmented_radix_sort_warp_sort_medium_config_static_selectorELNS0_4arch9wavefront6targetE0EEEvSK_
                                        ; -- End function
	.section	.AMDGPU.csdata,"",@progbits
; Kernel info:
; codeLenInByte = 0
; NumSgprs: 0
; NumVgprs: 0
; ScratchSize: 0
; MemoryBound: 0
; FloatMode: 240
; IeeeMode: 1
; LDSByteSize: 0 bytes/workgroup (compile time only)
; SGPRBlocks: 0
; VGPRBlocks: 0
; NumSGPRsForWavesPerEU: 1
; NumVGPRsForWavesPerEU: 1
; Occupancy: 16
; WaveLimiterHint : 0
; COMPUTE_PGM_RSRC2:SCRATCH_EN: 0
; COMPUTE_PGM_RSRC2:USER_SGPR: 15
; COMPUTE_PGM_RSRC2:TRAP_HANDLER: 0
; COMPUTE_PGM_RSRC2:TGID_X_EN: 1
; COMPUTE_PGM_RSRC2:TGID_Y_EN: 0
; COMPUTE_PGM_RSRC2:TGID_Z_EN: 0
; COMPUTE_PGM_RSRC2:TIDIG_COMP_CNT: 0
	.section	.text._ZN7rocprim17ROCPRIM_400000_NS6detail17trampoline_kernelINS0_14default_configENS1_36segmented_radix_sort_config_selectorIblEEZNS1_25segmented_radix_sort_implIS3_Lb0EPKbPbPKlPlN2at6native12_GLOBAL__N_18offset_tEEE10hipError_tPvRmT1_PNSt15iterator_traitsISK_E10value_typeET2_T3_PNSL_ISQ_E10value_typeET4_jRbjT5_SW_jjP12ihipStream_tbEUlT_E0_NS1_11comp_targetILNS1_3genE2ELNS1_11target_archE906ELNS1_3gpuE6ELNS1_3repE0EEENS1_60segmented_radix_sort_warp_sort_medium_config_static_selectorELNS0_4arch9wavefront6targetE0EEEvSK_,"axG",@progbits,_ZN7rocprim17ROCPRIM_400000_NS6detail17trampoline_kernelINS0_14default_configENS1_36segmented_radix_sort_config_selectorIblEEZNS1_25segmented_radix_sort_implIS3_Lb0EPKbPbPKlPlN2at6native12_GLOBAL__N_18offset_tEEE10hipError_tPvRmT1_PNSt15iterator_traitsISK_E10value_typeET2_T3_PNSL_ISQ_E10value_typeET4_jRbjT5_SW_jjP12ihipStream_tbEUlT_E0_NS1_11comp_targetILNS1_3genE2ELNS1_11target_archE906ELNS1_3gpuE6ELNS1_3repE0EEENS1_60segmented_radix_sort_warp_sort_medium_config_static_selectorELNS0_4arch9wavefront6targetE0EEEvSK_,comdat
	.globl	_ZN7rocprim17ROCPRIM_400000_NS6detail17trampoline_kernelINS0_14default_configENS1_36segmented_radix_sort_config_selectorIblEEZNS1_25segmented_radix_sort_implIS3_Lb0EPKbPbPKlPlN2at6native12_GLOBAL__N_18offset_tEEE10hipError_tPvRmT1_PNSt15iterator_traitsISK_E10value_typeET2_T3_PNSL_ISQ_E10value_typeET4_jRbjT5_SW_jjP12ihipStream_tbEUlT_E0_NS1_11comp_targetILNS1_3genE2ELNS1_11target_archE906ELNS1_3gpuE6ELNS1_3repE0EEENS1_60segmented_radix_sort_warp_sort_medium_config_static_selectorELNS0_4arch9wavefront6targetE0EEEvSK_ ; -- Begin function _ZN7rocprim17ROCPRIM_400000_NS6detail17trampoline_kernelINS0_14default_configENS1_36segmented_radix_sort_config_selectorIblEEZNS1_25segmented_radix_sort_implIS3_Lb0EPKbPbPKlPlN2at6native12_GLOBAL__N_18offset_tEEE10hipError_tPvRmT1_PNSt15iterator_traitsISK_E10value_typeET2_T3_PNSL_ISQ_E10value_typeET4_jRbjT5_SW_jjP12ihipStream_tbEUlT_E0_NS1_11comp_targetILNS1_3genE2ELNS1_11target_archE906ELNS1_3gpuE6ELNS1_3repE0EEENS1_60segmented_radix_sort_warp_sort_medium_config_static_selectorELNS0_4arch9wavefront6targetE0EEEvSK_
	.p2align	8
	.type	_ZN7rocprim17ROCPRIM_400000_NS6detail17trampoline_kernelINS0_14default_configENS1_36segmented_radix_sort_config_selectorIblEEZNS1_25segmented_radix_sort_implIS3_Lb0EPKbPbPKlPlN2at6native12_GLOBAL__N_18offset_tEEE10hipError_tPvRmT1_PNSt15iterator_traitsISK_E10value_typeET2_T3_PNSL_ISQ_E10value_typeET4_jRbjT5_SW_jjP12ihipStream_tbEUlT_E0_NS1_11comp_targetILNS1_3genE2ELNS1_11target_archE906ELNS1_3gpuE6ELNS1_3repE0EEENS1_60segmented_radix_sort_warp_sort_medium_config_static_selectorELNS0_4arch9wavefront6targetE0EEEvSK_,@function
_ZN7rocprim17ROCPRIM_400000_NS6detail17trampoline_kernelINS0_14default_configENS1_36segmented_radix_sort_config_selectorIblEEZNS1_25segmented_radix_sort_implIS3_Lb0EPKbPbPKlPlN2at6native12_GLOBAL__N_18offset_tEEE10hipError_tPvRmT1_PNSt15iterator_traitsISK_E10value_typeET2_T3_PNSL_ISQ_E10value_typeET4_jRbjT5_SW_jjP12ihipStream_tbEUlT_E0_NS1_11comp_targetILNS1_3genE2ELNS1_11target_archE906ELNS1_3gpuE6ELNS1_3repE0EEENS1_60segmented_radix_sort_warp_sort_medium_config_static_selectorELNS0_4arch9wavefront6targetE0EEEvSK_: ; @_ZN7rocprim17ROCPRIM_400000_NS6detail17trampoline_kernelINS0_14default_configENS1_36segmented_radix_sort_config_selectorIblEEZNS1_25segmented_radix_sort_implIS3_Lb0EPKbPbPKlPlN2at6native12_GLOBAL__N_18offset_tEEE10hipError_tPvRmT1_PNSt15iterator_traitsISK_E10value_typeET2_T3_PNSL_ISQ_E10value_typeET4_jRbjT5_SW_jjP12ihipStream_tbEUlT_E0_NS1_11comp_targetILNS1_3genE2ELNS1_11target_archE906ELNS1_3gpuE6ELNS1_3repE0EEENS1_60segmented_radix_sort_warp_sort_medium_config_static_selectorELNS0_4arch9wavefront6targetE0EEEvSK_
; %bb.0:
	.section	.rodata,"a",@progbits
	.p2align	6, 0x0
	.amdhsa_kernel _ZN7rocprim17ROCPRIM_400000_NS6detail17trampoline_kernelINS0_14default_configENS1_36segmented_radix_sort_config_selectorIblEEZNS1_25segmented_radix_sort_implIS3_Lb0EPKbPbPKlPlN2at6native12_GLOBAL__N_18offset_tEEE10hipError_tPvRmT1_PNSt15iterator_traitsISK_E10value_typeET2_T3_PNSL_ISQ_E10value_typeET4_jRbjT5_SW_jjP12ihipStream_tbEUlT_E0_NS1_11comp_targetILNS1_3genE2ELNS1_11target_archE906ELNS1_3gpuE6ELNS1_3repE0EEENS1_60segmented_radix_sort_warp_sort_medium_config_static_selectorELNS0_4arch9wavefront6targetE0EEEvSK_
		.amdhsa_group_segment_fixed_size 0
		.amdhsa_private_segment_fixed_size 0
		.amdhsa_kernarg_size 88
		.amdhsa_user_sgpr_count 15
		.amdhsa_user_sgpr_dispatch_ptr 0
		.amdhsa_user_sgpr_queue_ptr 0
		.amdhsa_user_sgpr_kernarg_segment_ptr 1
		.amdhsa_user_sgpr_dispatch_id 0
		.amdhsa_user_sgpr_private_segment_size 0
		.amdhsa_wavefront_size32 1
		.amdhsa_uses_dynamic_stack 0
		.amdhsa_enable_private_segment 0
		.amdhsa_system_sgpr_workgroup_id_x 1
		.amdhsa_system_sgpr_workgroup_id_y 0
		.amdhsa_system_sgpr_workgroup_id_z 0
		.amdhsa_system_sgpr_workgroup_info 0
		.amdhsa_system_vgpr_workitem_id 0
		.amdhsa_next_free_vgpr 1
		.amdhsa_next_free_sgpr 1
		.amdhsa_reserve_vcc 0
		.amdhsa_float_round_mode_32 0
		.amdhsa_float_round_mode_16_64 0
		.amdhsa_float_denorm_mode_32 3
		.amdhsa_float_denorm_mode_16_64 3
		.amdhsa_dx10_clamp 1
		.amdhsa_ieee_mode 1
		.amdhsa_fp16_overflow 0
		.amdhsa_workgroup_processor_mode 1
		.amdhsa_memory_ordered 1
		.amdhsa_forward_progress 0
		.amdhsa_shared_vgpr_count 0
		.amdhsa_exception_fp_ieee_invalid_op 0
		.amdhsa_exception_fp_denorm_src 0
		.amdhsa_exception_fp_ieee_div_zero 0
		.amdhsa_exception_fp_ieee_overflow 0
		.amdhsa_exception_fp_ieee_underflow 0
		.amdhsa_exception_fp_ieee_inexact 0
		.amdhsa_exception_int_div_zero 0
	.end_amdhsa_kernel
	.section	.text._ZN7rocprim17ROCPRIM_400000_NS6detail17trampoline_kernelINS0_14default_configENS1_36segmented_radix_sort_config_selectorIblEEZNS1_25segmented_radix_sort_implIS3_Lb0EPKbPbPKlPlN2at6native12_GLOBAL__N_18offset_tEEE10hipError_tPvRmT1_PNSt15iterator_traitsISK_E10value_typeET2_T3_PNSL_ISQ_E10value_typeET4_jRbjT5_SW_jjP12ihipStream_tbEUlT_E0_NS1_11comp_targetILNS1_3genE2ELNS1_11target_archE906ELNS1_3gpuE6ELNS1_3repE0EEENS1_60segmented_radix_sort_warp_sort_medium_config_static_selectorELNS0_4arch9wavefront6targetE0EEEvSK_,"axG",@progbits,_ZN7rocprim17ROCPRIM_400000_NS6detail17trampoline_kernelINS0_14default_configENS1_36segmented_radix_sort_config_selectorIblEEZNS1_25segmented_radix_sort_implIS3_Lb0EPKbPbPKlPlN2at6native12_GLOBAL__N_18offset_tEEE10hipError_tPvRmT1_PNSt15iterator_traitsISK_E10value_typeET2_T3_PNSL_ISQ_E10value_typeET4_jRbjT5_SW_jjP12ihipStream_tbEUlT_E0_NS1_11comp_targetILNS1_3genE2ELNS1_11target_archE906ELNS1_3gpuE6ELNS1_3repE0EEENS1_60segmented_radix_sort_warp_sort_medium_config_static_selectorELNS0_4arch9wavefront6targetE0EEEvSK_,comdat
.Lfunc_end1649:
	.size	_ZN7rocprim17ROCPRIM_400000_NS6detail17trampoline_kernelINS0_14default_configENS1_36segmented_radix_sort_config_selectorIblEEZNS1_25segmented_radix_sort_implIS3_Lb0EPKbPbPKlPlN2at6native12_GLOBAL__N_18offset_tEEE10hipError_tPvRmT1_PNSt15iterator_traitsISK_E10value_typeET2_T3_PNSL_ISQ_E10value_typeET4_jRbjT5_SW_jjP12ihipStream_tbEUlT_E0_NS1_11comp_targetILNS1_3genE2ELNS1_11target_archE906ELNS1_3gpuE6ELNS1_3repE0EEENS1_60segmented_radix_sort_warp_sort_medium_config_static_selectorELNS0_4arch9wavefront6targetE0EEEvSK_, .Lfunc_end1649-_ZN7rocprim17ROCPRIM_400000_NS6detail17trampoline_kernelINS0_14default_configENS1_36segmented_radix_sort_config_selectorIblEEZNS1_25segmented_radix_sort_implIS3_Lb0EPKbPbPKlPlN2at6native12_GLOBAL__N_18offset_tEEE10hipError_tPvRmT1_PNSt15iterator_traitsISK_E10value_typeET2_T3_PNSL_ISQ_E10value_typeET4_jRbjT5_SW_jjP12ihipStream_tbEUlT_E0_NS1_11comp_targetILNS1_3genE2ELNS1_11target_archE906ELNS1_3gpuE6ELNS1_3repE0EEENS1_60segmented_radix_sort_warp_sort_medium_config_static_selectorELNS0_4arch9wavefront6targetE0EEEvSK_
                                        ; -- End function
	.section	.AMDGPU.csdata,"",@progbits
; Kernel info:
; codeLenInByte = 0
; NumSgprs: 0
; NumVgprs: 0
; ScratchSize: 0
; MemoryBound: 0
; FloatMode: 240
; IeeeMode: 1
; LDSByteSize: 0 bytes/workgroup (compile time only)
; SGPRBlocks: 0
; VGPRBlocks: 0
; NumSGPRsForWavesPerEU: 1
; NumVGPRsForWavesPerEU: 1
; Occupancy: 16
; WaveLimiterHint : 0
; COMPUTE_PGM_RSRC2:SCRATCH_EN: 0
; COMPUTE_PGM_RSRC2:USER_SGPR: 15
; COMPUTE_PGM_RSRC2:TRAP_HANDLER: 0
; COMPUTE_PGM_RSRC2:TGID_X_EN: 1
; COMPUTE_PGM_RSRC2:TGID_Y_EN: 0
; COMPUTE_PGM_RSRC2:TGID_Z_EN: 0
; COMPUTE_PGM_RSRC2:TIDIG_COMP_CNT: 0
	.section	.text._ZN7rocprim17ROCPRIM_400000_NS6detail17trampoline_kernelINS0_14default_configENS1_36segmented_radix_sort_config_selectorIblEEZNS1_25segmented_radix_sort_implIS3_Lb0EPKbPbPKlPlN2at6native12_GLOBAL__N_18offset_tEEE10hipError_tPvRmT1_PNSt15iterator_traitsISK_E10value_typeET2_T3_PNSL_ISQ_E10value_typeET4_jRbjT5_SW_jjP12ihipStream_tbEUlT_E0_NS1_11comp_targetILNS1_3genE10ELNS1_11target_archE1201ELNS1_3gpuE5ELNS1_3repE0EEENS1_60segmented_radix_sort_warp_sort_medium_config_static_selectorELNS0_4arch9wavefront6targetE0EEEvSK_,"axG",@progbits,_ZN7rocprim17ROCPRIM_400000_NS6detail17trampoline_kernelINS0_14default_configENS1_36segmented_radix_sort_config_selectorIblEEZNS1_25segmented_radix_sort_implIS3_Lb0EPKbPbPKlPlN2at6native12_GLOBAL__N_18offset_tEEE10hipError_tPvRmT1_PNSt15iterator_traitsISK_E10value_typeET2_T3_PNSL_ISQ_E10value_typeET4_jRbjT5_SW_jjP12ihipStream_tbEUlT_E0_NS1_11comp_targetILNS1_3genE10ELNS1_11target_archE1201ELNS1_3gpuE5ELNS1_3repE0EEENS1_60segmented_radix_sort_warp_sort_medium_config_static_selectorELNS0_4arch9wavefront6targetE0EEEvSK_,comdat
	.globl	_ZN7rocprim17ROCPRIM_400000_NS6detail17trampoline_kernelINS0_14default_configENS1_36segmented_radix_sort_config_selectorIblEEZNS1_25segmented_radix_sort_implIS3_Lb0EPKbPbPKlPlN2at6native12_GLOBAL__N_18offset_tEEE10hipError_tPvRmT1_PNSt15iterator_traitsISK_E10value_typeET2_T3_PNSL_ISQ_E10value_typeET4_jRbjT5_SW_jjP12ihipStream_tbEUlT_E0_NS1_11comp_targetILNS1_3genE10ELNS1_11target_archE1201ELNS1_3gpuE5ELNS1_3repE0EEENS1_60segmented_radix_sort_warp_sort_medium_config_static_selectorELNS0_4arch9wavefront6targetE0EEEvSK_ ; -- Begin function _ZN7rocprim17ROCPRIM_400000_NS6detail17trampoline_kernelINS0_14default_configENS1_36segmented_radix_sort_config_selectorIblEEZNS1_25segmented_radix_sort_implIS3_Lb0EPKbPbPKlPlN2at6native12_GLOBAL__N_18offset_tEEE10hipError_tPvRmT1_PNSt15iterator_traitsISK_E10value_typeET2_T3_PNSL_ISQ_E10value_typeET4_jRbjT5_SW_jjP12ihipStream_tbEUlT_E0_NS1_11comp_targetILNS1_3genE10ELNS1_11target_archE1201ELNS1_3gpuE5ELNS1_3repE0EEENS1_60segmented_radix_sort_warp_sort_medium_config_static_selectorELNS0_4arch9wavefront6targetE0EEEvSK_
	.p2align	8
	.type	_ZN7rocprim17ROCPRIM_400000_NS6detail17trampoline_kernelINS0_14default_configENS1_36segmented_radix_sort_config_selectorIblEEZNS1_25segmented_radix_sort_implIS3_Lb0EPKbPbPKlPlN2at6native12_GLOBAL__N_18offset_tEEE10hipError_tPvRmT1_PNSt15iterator_traitsISK_E10value_typeET2_T3_PNSL_ISQ_E10value_typeET4_jRbjT5_SW_jjP12ihipStream_tbEUlT_E0_NS1_11comp_targetILNS1_3genE10ELNS1_11target_archE1201ELNS1_3gpuE5ELNS1_3repE0EEENS1_60segmented_radix_sort_warp_sort_medium_config_static_selectorELNS0_4arch9wavefront6targetE0EEEvSK_,@function
_ZN7rocprim17ROCPRIM_400000_NS6detail17trampoline_kernelINS0_14default_configENS1_36segmented_radix_sort_config_selectorIblEEZNS1_25segmented_radix_sort_implIS3_Lb0EPKbPbPKlPlN2at6native12_GLOBAL__N_18offset_tEEE10hipError_tPvRmT1_PNSt15iterator_traitsISK_E10value_typeET2_T3_PNSL_ISQ_E10value_typeET4_jRbjT5_SW_jjP12ihipStream_tbEUlT_E0_NS1_11comp_targetILNS1_3genE10ELNS1_11target_archE1201ELNS1_3gpuE5ELNS1_3repE0EEENS1_60segmented_radix_sort_warp_sort_medium_config_static_selectorELNS0_4arch9wavefront6targetE0EEEvSK_: ; @_ZN7rocprim17ROCPRIM_400000_NS6detail17trampoline_kernelINS0_14default_configENS1_36segmented_radix_sort_config_selectorIblEEZNS1_25segmented_radix_sort_implIS3_Lb0EPKbPbPKlPlN2at6native12_GLOBAL__N_18offset_tEEE10hipError_tPvRmT1_PNSt15iterator_traitsISK_E10value_typeET2_T3_PNSL_ISQ_E10value_typeET4_jRbjT5_SW_jjP12ihipStream_tbEUlT_E0_NS1_11comp_targetILNS1_3genE10ELNS1_11target_archE1201ELNS1_3gpuE5ELNS1_3repE0EEENS1_60segmented_radix_sort_warp_sort_medium_config_static_selectorELNS0_4arch9wavefront6targetE0EEEvSK_
; %bb.0:
	.section	.rodata,"a",@progbits
	.p2align	6, 0x0
	.amdhsa_kernel _ZN7rocprim17ROCPRIM_400000_NS6detail17trampoline_kernelINS0_14default_configENS1_36segmented_radix_sort_config_selectorIblEEZNS1_25segmented_radix_sort_implIS3_Lb0EPKbPbPKlPlN2at6native12_GLOBAL__N_18offset_tEEE10hipError_tPvRmT1_PNSt15iterator_traitsISK_E10value_typeET2_T3_PNSL_ISQ_E10value_typeET4_jRbjT5_SW_jjP12ihipStream_tbEUlT_E0_NS1_11comp_targetILNS1_3genE10ELNS1_11target_archE1201ELNS1_3gpuE5ELNS1_3repE0EEENS1_60segmented_radix_sort_warp_sort_medium_config_static_selectorELNS0_4arch9wavefront6targetE0EEEvSK_
		.amdhsa_group_segment_fixed_size 0
		.amdhsa_private_segment_fixed_size 0
		.amdhsa_kernarg_size 88
		.amdhsa_user_sgpr_count 15
		.amdhsa_user_sgpr_dispatch_ptr 0
		.amdhsa_user_sgpr_queue_ptr 0
		.amdhsa_user_sgpr_kernarg_segment_ptr 1
		.amdhsa_user_sgpr_dispatch_id 0
		.amdhsa_user_sgpr_private_segment_size 0
		.amdhsa_wavefront_size32 1
		.amdhsa_uses_dynamic_stack 0
		.amdhsa_enable_private_segment 0
		.amdhsa_system_sgpr_workgroup_id_x 1
		.amdhsa_system_sgpr_workgroup_id_y 0
		.amdhsa_system_sgpr_workgroup_id_z 0
		.amdhsa_system_sgpr_workgroup_info 0
		.amdhsa_system_vgpr_workitem_id 0
		.amdhsa_next_free_vgpr 1
		.amdhsa_next_free_sgpr 1
		.amdhsa_reserve_vcc 0
		.amdhsa_float_round_mode_32 0
		.amdhsa_float_round_mode_16_64 0
		.amdhsa_float_denorm_mode_32 3
		.amdhsa_float_denorm_mode_16_64 3
		.amdhsa_dx10_clamp 1
		.amdhsa_ieee_mode 1
		.amdhsa_fp16_overflow 0
		.amdhsa_workgroup_processor_mode 1
		.amdhsa_memory_ordered 1
		.amdhsa_forward_progress 0
		.amdhsa_shared_vgpr_count 0
		.amdhsa_exception_fp_ieee_invalid_op 0
		.amdhsa_exception_fp_denorm_src 0
		.amdhsa_exception_fp_ieee_div_zero 0
		.amdhsa_exception_fp_ieee_overflow 0
		.amdhsa_exception_fp_ieee_underflow 0
		.amdhsa_exception_fp_ieee_inexact 0
		.amdhsa_exception_int_div_zero 0
	.end_amdhsa_kernel
	.section	.text._ZN7rocprim17ROCPRIM_400000_NS6detail17trampoline_kernelINS0_14default_configENS1_36segmented_radix_sort_config_selectorIblEEZNS1_25segmented_radix_sort_implIS3_Lb0EPKbPbPKlPlN2at6native12_GLOBAL__N_18offset_tEEE10hipError_tPvRmT1_PNSt15iterator_traitsISK_E10value_typeET2_T3_PNSL_ISQ_E10value_typeET4_jRbjT5_SW_jjP12ihipStream_tbEUlT_E0_NS1_11comp_targetILNS1_3genE10ELNS1_11target_archE1201ELNS1_3gpuE5ELNS1_3repE0EEENS1_60segmented_radix_sort_warp_sort_medium_config_static_selectorELNS0_4arch9wavefront6targetE0EEEvSK_,"axG",@progbits,_ZN7rocprim17ROCPRIM_400000_NS6detail17trampoline_kernelINS0_14default_configENS1_36segmented_radix_sort_config_selectorIblEEZNS1_25segmented_radix_sort_implIS3_Lb0EPKbPbPKlPlN2at6native12_GLOBAL__N_18offset_tEEE10hipError_tPvRmT1_PNSt15iterator_traitsISK_E10value_typeET2_T3_PNSL_ISQ_E10value_typeET4_jRbjT5_SW_jjP12ihipStream_tbEUlT_E0_NS1_11comp_targetILNS1_3genE10ELNS1_11target_archE1201ELNS1_3gpuE5ELNS1_3repE0EEENS1_60segmented_radix_sort_warp_sort_medium_config_static_selectorELNS0_4arch9wavefront6targetE0EEEvSK_,comdat
.Lfunc_end1650:
	.size	_ZN7rocprim17ROCPRIM_400000_NS6detail17trampoline_kernelINS0_14default_configENS1_36segmented_radix_sort_config_selectorIblEEZNS1_25segmented_radix_sort_implIS3_Lb0EPKbPbPKlPlN2at6native12_GLOBAL__N_18offset_tEEE10hipError_tPvRmT1_PNSt15iterator_traitsISK_E10value_typeET2_T3_PNSL_ISQ_E10value_typeET4_jRbjT5_SW_jjP12ihipStream_tbEUlT_E0_NS1_11comp_targetILNS1_3genE10ELNS1_11target_archE1201ELNS1_3gpuE5ELNS1_3repE0EEENS1_60segmented_radix_sort_warp_sort_medium_config_static_selectorELNS0_4arch9wavefront6targetE0EEEvSK_, .Lfunc_end1650-_ZN7rocprim17ROCPRIM_400000_NS6detail17trampoline_kernelINS0_14default_configENS1_36segmented_radix_sort_config_selectorIblEEZNS1_25segmented_radix_sort_implIS3_Lb0EPKbPbPKlPlN2at6native12_GLOBAL__N_18offset_tEEE10hipError_tPvRmT1_PNSt15iterator_traitsISK_E10value_typeET2_T3_PNSL_ISQ_E10value_typeET4_jRbjT5_SW_jjP12ihipStream_tbEUlT_E0_NS1_11comp_targetILNS1_3genE10ELNS1_11target_archE1201ELNS1_3gpuE5ELNS1_3repE0EEENS1_60segmented_radix_sort_warp_sort_medium_config_static_selectorELNS0_4arch9wavefront6targetE0EEEvSK_
                                        ; -- End function
	.section	.AMDGPU.csdata,"",@progbits
; Kernel info:
; codeLenInByte = 0
; NumSgprs: 0
; NumVgprs: 0
; ScratchSize: 0
; MemoryBound: 0
; FloatMode: 240
; IeeeMode: 1
; LDSByteSize: 0 bytes/workgroup (compile time only)
; SGPRBlocks: 0
; VGPRBlocks: 0
; NumSGPRsForWavesPerEU: 1
; NumVGPRsForWavesPerEU: 1
; Occupancy: 16
; WaveLimiterHint : 0
; COMPUTE_PGM_RSRC2:SCRATCH_EN: 0
; COMPUTE_PGM_RSRC2:USER_SGPR: 15
; COMPUTE_PGM_RSRC2:TRAP_HANDLER: 0
; COMPUTE_PGM_RSRC2:TGID_X_EN: 1
; COMPUTE_PGM_RSRC2:TGID_Y_EN: 0
; COMPUTE_PGM_RSRC2:TGID_Z_EN: 0
; COMPUTE_PGM_RSRC2:TIDIG_COMP_CNT: 0
	.section	.text._ZN7rocprim17ROCPRIM_400000_NS6detail17trampoline_kernelINS0_14default_configENS1_36segmented_radix_sort_config_selectorIblEEZNS1_25segmented_radix_sort_implIS3_Lb0EPKbPbPKlPlN2at6native12_GLOBAL__N_18offset_tEEE10hipError_tPvRmT1_PNSt15iterator_traitsISK_E10value_typeET2_T3_PNSL_ISQ_E10value_typeET4_jRbjT5_SW_jjP12ihipStream_tbEUlT_E0_NS1_11comp_targetILNS1_3genE10ELNS1_11target_archE1200ELNS1_3gpuE4ELNS1_3repE0EEENS1_60segmented_radix_sort_warp_sort_medium_config_static_selectorELNS0_4arch9wavefront6targetE0EEEvSK_,"axG",@progbits,_ZN7rocprim17ROCPRIM_400000_NS6detail17trampoline_kernelINS0_14default_configENS1_36segmented_radix_sort_config_selectorIblEEZNS1_25segmented_radix_sort_implIS3_Lb0EPKbPbPKlPlN2at6native12_GLOBAL__N_18offset_tEEE10hipError_tPvRmT1_PNSt15iterator_traitsISK_E10value_typeET2_T3_PNSL_ISQ_E10value_typeET4_jRbjT5_SW_jjP12ihipStream_tbEUlT_E0_NS1_11comp_targetILNS1_3genE10ELNS1_11target_archE1200ELNS1_3gpuE4ELNS1_3repE0EEENS1_60segmented_radix_sort_warp_sort_medium_config_static_selectorELNS0_4arch9wavefront6targetE0EEEvSK_,comdat
	.globl	_ZN7rocprim17ROCPRIM_400000_NS6detail17trampoline_kernelINS0_14default_configENS1_36segmented_radix_sort_config_selectorIblEEZNS1_25segmented_radix_sort_implIS3_Lb0EPKbPbPKlPlN2at6native12_GLOBAL__N_18offset_tEEE10hipError_tPvRmT1_PNSt15iterator_traitsISK_E10value_typeET2_T3_PNSL_ISQ_E10value_typeET4_jRbjT5_SW_jjP12ihipStream_tbEUlT_E0_NS1_11comp_targetILNS1_3genE10ELNS1_11target_archE1200ELNS1_3gpuE4ELNS1_3repE0EEENS1_60segmented_radix_sort_warp_sort_medium_config_static_selectorELNS0_4arch9wavefront6targetE0EEEvSK_ ; -- Begin function _ZN7rocprim17ROCPRIM_400000_NS6detail17trampoline_kernelINS0_14default_configENS1_36segmented_radix_sort_config_selectorIblEEZNS1_25segmented_radix_sort_implIS3_Lb0EPKbPbPKlPlN2at6native12_GLOBAL__N_18offset_tEEE10hipError_tPvRmT1_PNSt15iterator_traitsISK_E10value_typeET2_T3_PNSL_ISQ_E10value_typeET4_jRbjT5_SW_jjP12ihipStream_tbEUlT_E0_NS1_11comp_targetILNS1_3genE10ELNS1_11target_archE1200ELNS1_3gpuE4ELNS1_3repE0EEENS1_60segmented_radix_sort_warp_sort_medium_config_static_selectorELNS0_4arch9wavefront6targetE0EEEvSK_
	.p2align	8
	.type	_ZN7rocprim17ROCPRIM_400000_NS6detail17trampoline_kernelINS0_14default_configENS1_36segmented_radix_sort_config_selectorIblEEZNS1_25segmented_radix_sort_implIS3_Lb0EPKbPbPKlPlN2at6native12_GLOBAL__N_18offset_tEEE10hipError_tPvRmT1_PNSt15iterator_traitsISK_E10value_typeET2_T3_PNSL_ISQ_E10value_typeET4_jRbjT5_SW_jjP12ihipStream_tbEUlT_E0_NS1_11comp_targetILNS1_3genE10ELNS1_11target_archE1200ELNS1_3gpuE4ELNS1_3repE0EEENS1_60segmented_radix_sort_warp_sort_medium_config_static_selectorELNS0_4arch9wavefront6targetE0EEEvSK_,@function
_ZN7rocprim17ROCPRIM_400000_NS6detail17trampoline_kernelINS0_14default_configENS1_36segmented_radix_sort_config_selectorIblEEZNS1_25segmented_radix_sort_implIS3_Lb0EPKbPbPKlPlN2at6native12_GLOBAL__N_18offset_tEEE10hipError_tPvRmT1_PNSt15iterator_traitsISK_E10value_typeET2_T3_PNSL_ISQ_E10value_typeET4_jRbjT5_SW_jjP12ihipStream_tbEUlT_E0_NS1_11comp_targetILNS1_3genE10ELNS1_11target_archE1200ELNS1_3gpuE4ELNS1_3repE0EEENS1_60segmented_radix_sort_warp_sort_medium_config_static_selectorELNS0_4arch9wavefront6targetE0EEEvSK_: ; @_ZN7rocprim17ROCPRIM_400000_NS6detail17trampoline_kernelINS0_14default_configENS1_36segmented_radix_sort_config_selectorIblEEZNS1_25segmented_radix_sort_implIS3_Lb0EPKbPbPKlPlN2at6native12_GLOBAL__N_18offset_tEEE10hipError_tPvRmT1_PNSt15iterator_traitsISK_E10value_typeET2_T3_PNSL_ISQ_E10value_typeET4_jRbjT5_SW_jjP12ihipStream_tbEUlT_E0_NS1_11comp_targetILNS1_3genE10ELNS1_11target_archE1200ELNS1_3gpuE4ELNS1_3repE0EEENS1_60segmented_radix_sort_warp_sort_medium_config_static_selectorELNS0_4arch9wavefront6targetE0EEEvSK_
; %bb.0:
	.section	.rodata,"a",@progbits
	.p2align	6, 0x0
	.amdhsa_kernel _ZN7rocprim17ROCPRIM_400000_NS6detail17trampoline_kernelINS0_14default_configENS1_36segmented_radix_sort_config_selectorIblEEZNS1_25segmented_radix_sort_implIS3_Lb0EPKbPbPKlPlN2at6native12_GLOBAL__N_18offset_tEEE10hipError_tPvRmT1_PNSt15iterator_traitsISK_E10value_typeET2_T3_PNSL_ISQ_E10value_typeET4_jRbjT5_SW_jjP12ihipStream_tbEUlT_E0_NS1_11comp_targetILNS1_3genE10ELNS1_11target_archE1200ELNS1_3gpuE4ELNS1_3repE0EEENS1_60segmented_radix_sort_warp_sort_medium_config_static_selectorELNS0_4arch9wavefront6targetE0EEEvSK_
		.amdhsa_group_segment_fixed_size 0
		.amdhsa_private_segment_fixed_size 0
		.amdhsa_kernarg_size 88
		.amdhsa_user_sgpr_count 15
		.amdhsa_user_sgpr_dispatch_ptr 0
		.amdhsa_user_sgpr_queue_ptr 0
		.amdhsa_user_sgpr_kernarg_segment_ptr 1
		.amdhsa_user_sgpr_dispatch_id 0
		.amdhsa_user_sgpr_private_segment_size 0
		.amdhsa_wavefront_size32 1
		.amdhsa_uses_dynamic_stack 0
		.amdhsa_enable_private_segment 0
		.amdhsa_system_sgpr_workgroup_id_x 1
		.amdhsa_system_sgpr_workgroup_id_y 0
		.amdhsa_system_sgpr_workgroup_id_z 0
		.amdhsa_system_sgpr_workgroup_info 0
		.amdhsa_system_vgpr_workitem_id 0
		.amdhsa_next_free_vgpr 1
		.amdhsa_next_free_sgpr 1
		.amdhsa_reserve_vcc 0
		.amdhsa_float_round_mode_32 0
		.amdhsa_float_round_mode_16_64 0
		.amdhsa_float_denorm_mode_32 3
		.amdhsa_float_denorm_mode_16_64 3
		.amdhsa_dx10_clamp 1
		.amdhsa_ieee_mode 1
		.amdhsa_fp16_overflow 0
		.amdhsa_workgroup_processor_mode 1
		.amdhsa_memory_ordered 1
		.amdhsa_forward_progress 0
		.amdhsa_shared_vgpr_count 0
		.amdhsa_exception_fp_ieee_invalid_op 0
		.amdhsa_exception_fp_denorm_src 0
		.amdhsa_exception_fp_ieee_div_zero 0
		.amdhsa_exception_fp_ieee_overflow 0
		.amdhsa_exception_fp_ieee_underflow 0
		.amdhsa_exception_fp_ieee_inexact 0
		.amdhsa_exception_int_div_zero 0
	.end_amdhsa_kernel
	.section	.text._ZN7rocprim17ROCPRIM_400000_NS6detail17trampoline_kernelINS0_14default_configENS1_36segmented_radix_sort_config_selectorIblEEZNS1_25segmented_radix_sort_implIS3_Lb0EPKbPbPKlPlN2at6native12_GLOBAL__N_18offset_tEEE10hipError_tPvRmT1_PNSt15iterator_traitsISK_E10value_typeET2_T3_PNSL_ISQ_E10value_typeET4_jRbjT5_SW_jjP12ihipStream_tbEUlT_E0_NS1_11comp_targetILNS1_3genE10ELNS1_11target_archE1200ELNS1_3gpuE4ELNS1_3repE0EEENS1_60segmented_radix_sort_warp_sort_medium_config_static_selectorELNS0_4arch9wavefront6targetE0EEEvSK_,"axG",@progbits,_ZN7rocprim17ROCPRIM_400000_NS6detail17trampoline_kernelINS0_14default_configENS1_36segmented_radix_sort_config_selectorIblEEZNS1_25segmented_radix_sort_implIS3_Lb0EPKbPbPKlPlN2at6native12_GLOBAL__N_18offset_tEEE10hipError_tPvRmT1_PNSt15iterator_traitsISK_E10value_typeET2_T3_PNSL_ISQ_E10value_typeET4_jRbjT5_SW_jjP12ihipStream_tbEUlT_E0_NS1_11comp_targetILNS1_3genE10ELNS1_11target_archE1200ELNS1_3gpuE4ELNS1_3repE0EEENS1_60segmented_radix_sort_warp_sort_medium_config_static_selectorELNS0_4arch9wavefront6targetE0EEEvSK_,comdat
.Lfunc_end1651:
	.size	_ZN7rocprim17ROCPRIM_400000_NS6detail17trampoline_kernelINS0_14default_configENS1_36segmented_radix_sort_config_selectorIblEEZNS1_25segmented_radix_sort_implIS3_Lb0EPKbPbPKlPlN2at6native12_GLOBAL__N_18offset_tEEE10hipError_tPvRmT1_PNSt15iterator_traitsISK_E10value_typeET2_T3_PNSL_ISQ_E10value_typeET4_jRbjT5_SW_jjP12ihipStream_tbEUlT_E0_NS1_11comp_targetILNS1_3genE10ELNS1_11target_archE1200ELNS1_3gpuE4ELNS1_3repE0EEENS1_60segmented_radix_sort_warp_sort_medium_config_static_selectorELNS0_4arch9wavefront6targetE0EEEvSK_, .Lfunc_end1651-_ZN7rocprim17ROCPRIM_400000_NS6detail17trampoline_kernelINS0_14default_configENS1_36segmented_radix_sort_config_selectorIblEEZNS1_25segmented_radix_sort_implIS3_Lb0EPKbPbPKlPlN2at6native12_GLOBAL__N_18offset_tEEE10hipError_tPvRmT1_PNSt15iterator_traitsISK_E10value_typeET2_T3_PNSL_ISQ_E10value_typeET4_jRbjT5_SW_jjP12ihipStream_tbEUlT_E0_NS1_11comp_targetILNS1_3genE10ELNS1_11target_archE1200ELNS1_3gpuE4ELNS1_3repE0EEENS1_60segmented_radix_sort_warp_sort_medium_config_static_selectorELNS0_4arch9wavefront6targetE0EEEvSK_
                                        ; -- End function
	.section	.AMDGPU.csdata,"",@progbits
; Kernel info:
; codeLenInByte = 0
; NumSgprs: 0
; NumVgprs: 0
; ScratchSize: 0
; MemoryBound: 0
; FloatMode: 240
; IeeeMode: 1
; LDSByteSize: 0 bytes/workgroup (compile time only)
; SGPRBlocks: 0
; VGPRBlocks: 0
; NumSGPRsForWavesPerEU: 1
; NumVGPRsForWavesPerEU: 1
; Occupancy: 16
; WaveLimiterHint : 0
; COMPUTE_PGM_RSRC2:SCRATCH_EN: 0
; COMPUTE_PGM_RSRC2:USER_SGPR: 15
; COMPUTE_PGM_RSRC2:TRAP_HANDLER: 0
; COMPUTE_PGM_RSRC2:TGID_X_EN: 1
; COMPUTE_PGM_RSRC2:TGID_Y_EN: 0
; COMPUTE_PGM_RSRC2:TGID_Z_EN: 0
; COMPUTE_PGM_RSRC2:TIDIG_COMP_CNT: 0
	.text
	.p2align	2                               ; -- Begin function _ZN7rocprim17ROCPRIM_400000_NS6detail26segmented_warp_sort_helperINS1_20WarpSortHelperConfigILj16ELj8ELj256EEEblLi256ELb0EvE4sortIPKbPbPKlPlEEvT_T0_T1_T2_jjjjRNS5_12storage_typeE
	.type	_ZN7rocprim17ROCPRIM_400000_NS6detail26segmented_warp_sort_helperINS1_20WarpSortHelperConfigILj16ELj8ELj256EEEblLi256ELb0EvE4sortIPKbPbPKlPlEEvT_T0_T1_T2_jjjjRNS5_12storage_typeE,@function
_ZN7rocprim17ROCPRIM_400000_NS6detail26segmented_warp_sort_helperINS1_20WarpSortHelperConfigILj16ELj8ELj256EEEblLi256ELb0EvE4sortIPKbPbPKlPlEEvT_T0_T1_T2_jjjjRNS5_12storage_typeE: ; @_ZN7rocprim17ROCPRIM_400000_NS6detail26segmented_warp_sort_helperINS1_20WarpSortHelperConfigILj16ELj8ELj256EEEblLi256ELb0EvE4sortIPKbPbPKlPlEEvT_T0_T1_T2_jjjjRNS5_12storage_typeE
; %bb.0:
	s_waitcnt vmcnt(0) expcnt(0) lgkmcnt(0)
	v_mbcnt_lo_u32_b32 v12, -1, 0
	v_add_co_u32 v0, vcc_lo, v0, v8
	v_add_co_ci_u32_e32 v1, vcc_lo, 0, v1, vcc_lo
	s_delay_alu instid0(VALU_DEP_3) | instskip(SKIP_2) | instid1(VALU_DEP_3)
	v_lshlrev_b32_e32 v38, 3, v12
	v_sub_nc_u32_e32 v12, v9, v8
	v_dual_mov_b32 v9, 0 :: v_dual_mov_b32 v52, 1
	v_dual_mov_b32 v25, 1 :: v_dual_and_b32 v36, 0x78, v38
	v_dual_mov_b32 v39, 1 :: v_dual_mov_b32 v50, 1
	v_dual_mov_b32 v51, 1 :: v_dual_mov_b32 v48, 1
	v_mov_b32_e32 v49, 1
	s_delay_alu instid0(VALU_DEP_4)
	v_add_co_u32 v0, vcc_lo, v0, v36
	v_add_co_ci_u32_e32 v1, vcc_lo, 0, v1, vcc_lo
	v_cmp_lt_u32_e32 vcc_lo, v36, v12
	v_mov_b32_e32 v26, 1
	s_and_saveexec_b32 s0, vcc_lo
	s_cbranch_execz .LBB1652_2
; %bb.1:
	flat_load_u8 v52, v[0:1]
	v_dual_mov_b32 v39, 1 :: v_dual_mov_b32 v48, 1
	v_dual_mov_b32 v26, 1 :: v_dual_mov_b32 v25, 1
	;; [unrolled: 1-line block ×3, first 2 shown]
	v_mov_b32_e32 v49, 1
.LBB1652_2:
	s_or_b32 exec_lo, exec_lo, s0
	v_or_b32_e32 v13, 1, v36
	s_delay_alu instid0(VALU_DEP_1) | instskip(NEXT) | instid1(VALU_DEP_1)
	v_cmp_lt_u32_e64 s0, v13, v12
	s_and_saveexec_b32 s1, s0
	s_cbranch_execz .LBB1652_4
; %bb.3:
	flat_load_u8 v39, v[0:1] offset:1
.LBB1652_4:
	s_or_b32 exec_lo, exec_lo, s1
	v_or_b32_e32 v13, 2, v36
	s_delay_alu instid0(VALU_DEP_1) | instskip(NEXT) | instid1(VALU_DEP_1)
	v_cmp_lt_u32_e64 s1, v13, v12
	s_and_saveexec_b32 s2, s1
	s_cbranch_execz .LBB1652_6
; %bb.5:
	flat_load_u8 v48, v[0:1] offset:2
.LBB1652_6:
	;; [unrolled: 9-line block ×7, first 2 shown]
	s_or_b32 exec_lo, exec_lo, s7
	v_lshlrev_b64 v[0:1], 3, v[8:9]
	v_lshlrev_b32_e32 v37, 3, v36
	; wave barrier
	s_delay_alu instid0(VALU_DEP_2) | instskip(NEXT) | instid1(VALU_DEP_1)
	v_add_co_u32 v4, s7, v4, v0
	v_add_co_ci_u32_e64 v5, s7, v5, v1, s7
	s_delay_alu instid0(VALU_DEP_2) | instskip(NEXT) | instid1(VALU_DEP_1)
	v_add_co_u32 v34, s7, v4, v37
	v_add_co_ci_u32_e64 v35, s7, 0, v5, s7
                                        ; implicit-def: $vgpr4_vgpr5
	s_and_saveexec_b32 s7, vcc_lo
	s_cbranch_execnz .LBB1652_235
; %bb.17:
	s_or_b32 exec_lo, exec_lo, s7
	s_and_saveexec_b32 s7, s0
                                        ; implicit-def: $vgpr16_vgpr17_vgpr18_vgpr19
	s_cbranch_execnz .LBB1652_236
.LBB1652_18:
	s_or_b32 exec_lo, exec_lo, s7
                                        ; implicit-def: $vgpr28_vgpr29
	s_and_saveexec_b32 s7, s1
	s_cbranch_execnz .LBB1652_237
.LBB1652_19:
	s_or_b32 exec_lo, exec_lo, s7
	s_and_saveexec_b32 s7, s2
                                        ; implicit-def: $vgpr20_vgpr21_vgpr22_vgpr23
	s_cbranch_execnz .LBB1652_238
.LBB1652_20:
	s_or_b32 exec_lo, exec_lo, s7
                                        ; implicit-def: $vgpr32_vgpr33
	s_and_saveexec_b32 s7, s3
	s_cbranch_execnz .LBB1652_239
.LBB1652_21:
	s_or_b32 exec_lo, exec_lo, s7
	s_and_saveexec_b32 s7, s4
                                        ; implicit-def: $vgpr14_vgpr15_vgpr16_vgpr17
	s_cbranch_execnz .LBB1652_240
.LBB1652_22:
	s_or_b32 exec_lo, exec_lo, s7
                                        ; implicit-def: $vgpr20_vgpr21
	s_and_saveexec_b32 s7, s5
	s_cbranch_execnz .LBB1652_241
.LBB1652_23:
	s_or_b32 exec_lo, exec_lo, s7
	s_and_saveexec_b32 s7, s6
                                        ; implicit-def: $vgpr12_vgpr13_vgpr14_vgpr15
	s_cbranch_execz .LBB1652_25
.LBB1652_24:
	flat_load_b64 v[14:15], v[34:35] offset:56
.LBB1652_25:
	s_or_b32 exec_lo, exec_lo, s7
	v_cmp_ne_u32_e64 s7, 0, v10
	v_cmp_ne_u32_e64 s10, 8, v11
	v_bfe_u32 v9, v31, 10, 10
	v_bfe_u32 v13, v31, 20, 10
	v_and_b32_e32 v12, 0x3ff, v31
	s_delay_alu instid0(VALU_DEP_4) | instskip(NEXT) | instid1(SALU_CYCLE_1)
	s_or_b32 s7, s7, s10
	; wave barrier
	s_and_saveexec_b32 s10, s7
	s_delay_alu instid0(SALU_CYCLE_1)
	s_xor_b32 s21, exec_lo, s10
	s_cbranch_execz .LBB1652_121
; %bb.26:
	s_load_b64 s[14:15], s[8:9], 0x0
	v_cmp_ne_u32_e64 s7, 0, v11
	v_cmp_ne_u32_e64 s10, 0, v10
	v_mov_b32_e32 v10, 0
	s_waitcnt vmcnt(0) lgkmcnt(0)
	v_mov_b32_e32 v24, v52
	s_delay_alu instid0(VALU_DEP_3) | instskip(SKIP_2) | instid1(SALU_CYCLE_1)
	s_xor_b32 s7, s10, s7
	s_cmp_lt_u32 s13, s15
	s_cselect_b32 s10, 14, 20
	s_add_u32 s10, s8, s10
	s_addc_u32 s11, s9, 0
	s_cmp_lt_u32 s12, s14
	global_load_u16 v11, v10, s[10:11]
	s_cselect_b32 s14, 12, 18
	s_delay_alu instid0(SALU_CYCLE_1)
	s_add_u32 s10, s8, s14
	s_addc_u32 s11, s9, 0
	global_load_u16 v10, v10, s[10:11]
	s_mov_b32 s11, exec_lo
	s_waitcnt vmcnt(1)
	v_mad_u32_u24 v9, v13, v11, v9
	v_cndmask_b32_e64 v13, 0, 1, s7
	s_waitcnt vmcnt(0)
	s_delay_alu instid0(VALU_DEP_2) | instskip(NEXT) | instid1(VALU_DEP_1)
	v_mul_lo_u32 v9, v9, v10
	v_add_lshl_u32 v53, v9, v12, 3
	s_delay_alu instid0(VALU_DEP_1)
	v_cmpx_gt_u32_e32 0x800, v53
	s_cbranch_execz .LBB1652_80
; %bb.27:
	v_dual_mov_b32 v9, v18 :: v_dual_and_b32 v12, v52, v13
	v_dual_mov_b32 v54, v52 :: v_dual_and_b32 v11, v39, v13
	v_mov_b32_e32 v10, v19
	v_mov_b32_e32 v24, v39
	s_mov_b32 s10, exec_lo
	s_delay_alu instid0(VALU_DEP_3)
	v_cmpx_gt_u16_e64 v12, v11
; %bb.28:
	v_dual_mov_b32 v10, v5 :: v_dual_mov_b32 v9, v4
	v_mov_b32_e32 v4, v18
	v_dual_mov_b32 v24, v52 :: v_dual_mov_b32 v5, v19
	v_mov_b32_e32 v52, v39
	v_dual_mov_b32 v54, v39 :: v_dual_mov_b32 v39, 1
; %bb.29:
	s_or_b32 exec_lo, exec_lo, s10
	v_dual_mov_b32 v31, v23 :: v_dual_and_b32 v12, v48, v13
	v_and_b32_e32 v11, v26, v13
	v_dual_mov_b32 v30, v22 :: v_dual_mov_b32 v27, v48
	v_mov_b32_e32 v55, v26
	v_mov_b32_e32 v35, v26
	s_mov_b32 s10, exec_lo
	v_cmpx_gt_u16_e64 v12, v11
; %bb.30:
	v_mov_b32_e32 v31, v29
	v_dual_mov_b32 v35, 1 :: v_dual_mov_b32 v30, v28
	v_mov_b32_e32 v29, v23
	v_dual_mov_b32 v55, v48 :: v_dual_mov_b32 v28, v22
	v_mov_b32_e32 v48, v26
	v_mov_b32_e32 v27, v26
; %bb.31:
	s_or_b32 exec_lo, exec_lo, s10
	v_dual_mov_b32 v11, v32 :: v_dual_and_b32 v18, v51, v13
	v_dual_mov_b32 v64, v51 :: v_dual_and_b32 v19, v25, v13
	v_dual_mov_b32 v12, v33 :: v_dual_mov_b32 v65, v51
	v_mov_b32_e32 v22, v25
	s_mov_b32 s10, exec_lo
	s_delay_alu instid0(VALU_DEP_3)
	v_cmpx_gt_u16_e64 v19, v18
; %bb.32:
	v_dual_mov_b32 v64, v25 :: v_dual_mov_b32 v65, 1
	v_dual_mov_b32 v11, v16 :: v_dual_mov_b32 v12, v17
	;; [unrolled: 1-line block ×3, first 2 shown]
	v_mov_b32_e32 v25, v51
	v_mov_b32_e32 v22, v51
; %bb.33:
	s_or_b32 exec_lo, exec_lo, s10
	v_dual_mov_b32 v18, v20 :: v_dual_and_b32 v23, v50, v13
	v_dual_mov_b32 v51, v50 :: v_dual_and_b32 v26, v49, v13
	v_dual_mov_b32 v19, v21 :: v_dual_mov_b32 v34, v50
	s_delay_alu instid0(VALU_DEP_2) | instskip(SKIP_1) | instid1(VALU_DEP_2)
	v_cmp_gt_u16_e64 s7, v26, v23
	v_mov_b32_e32 v26, v49
	s_and_saveexec_b32 s10, s7
; %bb.34:
	v_dual_mov_b32 v51, v49 :: v_dual_mov_b32 v34, 1
	v_dual_mov_b32 v19, v15 :: v_dual_mov_b32 v18, v14
	;; [unrolled: 1-line block ×3, first 2 shown]
	v_mov_b32_e32 v49, v50
	v_mov_b32_e32 v26, v50
; %bb.35:
	s_or_b32 exec_lo, exec_lo, s10
	v_dual_mov_b32 v20, v28 :: v_dual_and_b32 v23, v27, v13
	v_dual_mov_b32 v21, v29 :: v_dual_and_b32 v32, v39, v13
	v_mov_b32_e32 v66, v27
	s_delay_alu instid0(VALU_DEP_2) | instskip(NEXT) | instid1(VALU_DEP_1)
	v_cmp_gt_u16_e64 s7, v32, v23
	s_and_saveexec_b32 s10, s7
	s_delay_alu instid0(SALU_CYCLE_1)
	s_xor_b32 s7, exec_lo, s10
; %bb.36:
	v_dual_mov_b32 v66, 1 :: v_dual_mov_b32 v21, v10
	v_dual_mov_b32 v20, v9 :: v_dual_mov_b32 v9, v28
	v_mov_b32_e32 v10, v29
	v_mov_b32_e32 v24, v27
	;; [unrolled: 1-line block ×4, first 2 shown]
; %bb.37:
	s_or_b32 exec_lo, exec_lo, s7
	v_dual_mov_b32 v33, v31 :: v_dual_mov_b32 v50, v22
	v_and_b32_e32 v23, v22, v13
	v_dual_mov_b32 v32, v30 :: v_dual_and_b32 v27, v35, v13
	s_mov_b32 s10, exec_lo
	s_delay_alu instid0(VALU_DEP_1)
	v_cmpx_gt_u16_e64 v27, v23
; %bb.38:
	v_dual_mov_b32 v50, 1 :: v_dual_mov_b32 v33, v12
	v_dual_mov_b32 v32, v11 :: v_dual_mov_b32 v11, v30
	;; [unrolled: 1-line block ×3, first 2 shown]
	v_mov_b32_e32 v25, v35
	v_mov_b32_e32 v35, v22
; %bb.39:
	s_or_b32 exec_lo, exec_lo, s10
	v_mov_b32_e32 v23, v17
	v_dual_mov_b32 v22, v16 :: v_dual_and_b32 v27, v26, v13
	v_dual_mov_b32 v31, v26 :: v_dual_and_b32 v28, v65, v13
	s_mov_b32 s10, exec_lo
	s_delay_alu instid0(VALU_DEP_1)
	v_cmpx_gt_u16_e64 v28, v27
; %bb.40:
	v_mov_b32_e32 v23, v19
	v_dual_mov_b32 v31, 1 :: v_dual_mov_b32 v22, v18
	v_dual_mov_b32 v19, v17 :: v_dual_mov_b32 v64, v26
	;; [unrolled: 1-line block ×3, first 2 shown]
	v_mov_b32_e32 v65, v26
; %bb.41:
	s_or_b32 exec_lo, exec_lo, s10
	v_dual_mov_b32 v27, v10 :: v_dual_and_b32 v16, v39, v13
	v_dual_mov_b32 v26, v9 :: v_dual_and_b32 v17, v54, v13
	s_mov_b32 s10, exec_lo
	s_delay_alu instid0(VALU_DEP_1)
	v_cmpx_gt_u16_e64 v17, v16
; %bb.42:
	v_dual_mov_b32 v27, v5 :: v_dual_mov_b32 v26, v4
	v_dual_mov_b32 v4, v9 :: v_dual_mov_b32 v5, v10
	v_mov_b32_e32 v52, v39
	v_mov_b32_e32 v24, v54
	v_dual_mov_b32 v54, v39 :: v_dual_mov_b32 v39, 1
; %bb.43:
	s_or_b32 exec_lo, exec_lo, s10
	v_dual_mov_b32 v28, v32 :: v_dual_and_b32 v9, v35, v13
	v_dual_mov_b32 v29, v33 :: v_dual_and_b32 v10, v66, v13
	v_mov_b32_e32 v67, v35
	s_mov_b32 s10, exec_lo
	s_delay_alu instid0(VALU_DEP_2)
	v_cmpx_gt_u16_e64 v10, v9
; %bb.44:
	v_mov_b32_e32 v29, v21
	v_dual_mov_b32 v67, 1 :: v_dual_mov_b32 v28, v20
	v_dual_mov_b32 v20, v32 :: v_dual_mov_b32 v21, v33
	;; [unrolled: 1-line block ×3, first 2 shown]
	v_mov_b32_e32 v66, v35
; %bb.45:
	s_or_b32 exec_lo, exec_lo, s10
	v_dual_mov_b32 v9, v11 :: v_dual_and_b32 v16, v65, v13
	v_dual_mov_b32 v10, v12 :: v_dual_and_b32 v17, v50, v13
	v_mov_b32_e32 v32, v65
	s_mov_b32 s10, exec_lo
	s_delay_alu instid0(VALU_DEP_2)
	v_cmpx_gt_u16_e64 v17, v16
; %bb.46:
	v_dual_mov_b32 v32, 1 :: v_dual_mov_b32 v9, v22
	v_dual_mov_b32 v10, v23 :: v_dual_mov_b32 v23, v12
	;; [unrolled: 1-line block ×3, first 2 shown]
	v_mov_b32_e32 v64, v50
	v_mov_b32_e32 v50, v65
; %bb.47:
	s_or_b32 exec_lo, exec_lo, s10
	v_and_b32_e32 v16, v34, v13
	v_dual_mov_b32 v30, v34 :: v_dual_and_b32 v17, v31, v13
	v_dual_mov_b32 v11, v18 :: v_dual_mov_b32 v12, v19
	s_mov_b32 s10, exec_lo
	s_delay_alu instid0(VALU_DEP_2)
	v_cmpx_gt_u16_e64 v17, v16
; %bb.48:
	v_dual_mov_b32 v30, 1 :: v_dual_mov_b32 v11, v14
	v_dual_mov_b32 v12, v15 :: v_dual_mov_b32 v49, v34
	;; [unrolled: 1-line block ×3, first 2 shown]
	v_mov_b32_e32 v51, v31
	v_mov_b32_e32 v31, v34
; %bb.49:
	s_or_b32 exec_lo, exec_lo, s10
	v_dual_mov_b32 v16, v20 :: v_dual_and_b32 v19, v39, v13
	v_dual_mov_b32 v17, v21 :: v_dual_and_b32 v18, v66, v13
	v_mov_b32_e32 v65, v66
	s_mov_b32 s10, exec_lo
	s_delay_alu instid0(VALU_DEP_2)
	v_cmpx_gt_u16_e64 v19, v18
; %bb.50:
	v_dual_mov_b32 v65, 1 :: v_dual_mov_b32 v16, v26
	v_mov_b32_e32 v17, v27
	v_dual_mov_b32 v27, v21 :: v_dual_mov_b32 v24, v66
	v_mov_b32_e32 v26, v20
	v_dual_mov_b32 v48, v39 :: v_dual_mov_b32 v39, v66
; %bb.51:
	s_or_b32 exec_lo, exec_lo, s10
	v_dual_mov_b32 v20, v28 :: v_dual_and_b32 v19, v67, v13
	v_dual_mov_b32 v21, v29 :: v_dual_and_b32 v18, v50, v13
	v_mov_b32_e32 v35, v50
	s_mov_b32 s10, exec_lo
	s_delay_alu instid0(VALU_DEP_2)
	v_cmpx_gt_u16_e64 v19, v18
; %bb.52:
	v_mov_b32_e32 v21, v10
	v_dual_mov_b32 v35, 1 :: v_dual_mov_b32 v20, v9
	v_dual_mov_b32 v9, v28 :: v_dual_mov_b32 v10, v29
	v_mov_b32_e32 v55, v50
	v_mov_b32_e32 v25, v67
	;; [unrolled: 1-line block ×3, first 2 shown]
; %bb.53:
	s_or_b32 exec_lo, exec_lo, s10
	v_dual_mov_b32 v18, v22 :: v_dual_and_b32 v29, v32, v13
	v_and_b32_e32 v28, v31, v13
	v_mov_b32_e32 v19, v23
	v_mov_b32_e32 v33, v31
	s_mov_b32 s10, exec_lo
	s_delay_alu instid0(VALU_DEP_3)
	v_cmpx_gt_u16_e64 v29, v28
; %bb.54:
	v_mov_b32_e32 v19, v12
	v_dual_mov_b32 v33, 1 :: v_dual_mov_b32 v18, v11
	v_dual_mov_b32 v11, v22 :: v_dual_mov_b32 v64, v31
	;; [unrolled: 1-line block ×3, first 2 shown]
	v_mov_b32_e32 v32, v31
; %bb.55:
	s_or_b32 exec_lo, exec_lo, s10
	v_and_b32_e32 v22, v39, v13
	v_and_b32_e32 v23, v54, v13
	v_dual_mov_b32 v29, v27 :: v_dual_mov_b32 v28, v26
	s_mov_b32 s10, exec_lo
	s_delay_alu instid0(VALU_DEP_2)
	v_cmpx_gt_u16_e64 v23, v22
; %bb.56:
	v_dual_mov_b32 v29, v5 :: v_dual_mov_b32 v28, v4
	v_dual_mov_b32 v4, v26 :: v_dual_mov_b32 v5, v27
	v_mov_b32_e32 v52, v39
	v_mov_b32_e32 v24, v54
	v_dual_mov_b32 v54, v39 :: v_dual_mov_b32 v39, 1
; %bb.57:
	s_or_b32 exec_lo, exec_lo, s10
	v_dual_mov_b32 v27, v21 :: v_dual_and_b32 v22, v67, v13
	v_dual_mov_b32 v26, v20 :: v_dual_and_b32 v23, v65, v13
	v_mov_b32_e32 v50, v67
	s_mov_b32 s10, exec_lo
	s_delay_alu instid0(VALU_DEP_2)
	v_cmpx_gt_u16_e64 v23, v22
; %bb.58:
	v_dual_mov_b32 v50, 1 :: v_dual_mov_b32 v27, v17
	v_mov_b32_e32 v26, v16
	v_dual_mov_b32 v16, v20 :: v_dual_mov_b32 v55, v65
	v_dual_mov_b32 v17, v21 :: v_dual_mov_b32 v48, v67
	v_mov_b32_e32 v65, v67
; %bb.59:
	s_or_b32 exec_lo, exec_lo, s10
	v_dual_mov_b32 v21, v10 :: v_dual_and_b32 v22, v32, v13
	v_dual_mov_b32 v20, v9 :: v_dual_and_b32 v23, v35, v13
	v_mov_b32_e32 v34, v32
	s_mov_b32 s10, exec_lo
	s_delay_alu instid0(VALU_DEP_2)
	v_cmpx_gt_u16_e64 v23, v22
; %bb.60:
	v_dual_mov_b32 v34, 1 :: v_dual_mov_b32 v21, v19
	v_dual_mov_b32 v20, v18 :: v_dual_mov_b32 v25, v32
	;; [unrolled: 1-line block ×4, first 2 shown]
; %bb.61:
	s_or_b32 exec_lo, exec_lo, s10
	v_dual_mov_b32 v23, v12 :: v_dual_and_b32 v10, v33, v13
	v_dual_mov_b32 v22, v11 :: v_dual_and_b32 v9, v30, v13
	v_mov_b32_e32 v32, v30
	s_mov_b32 s10, exec_lo
	s_delay_alu instid0(VALU_DEP_2)
	v_cmpx_gt_u16_e64 v10, v9
; %bb.62:
	v_dual_mov_b32 v32, 1 :: v_dual_mov_b32 v23, v15
	v_dual_mov_b32 v22, v14 :: v_dual_mov_b32 v15, v12
	;; [unrolled: 1-line block ×3, first 2 shown]
	v_mov_b32_e32 v51, v33
	v_mov_b32_e32 v33, v30
; %bb.63:
	s_or_b32 exec_lo, exec_lo, s10
	v_dual_mov_b32 v9, v16 :: v_dual_and_b32 v12, v39, v13
	v_and_b32_e32 v11, v65, v13
	v_mov_b32_e32 v10, v17
	v_mov_b32_e32 v66, v65
	s_mov_b32 s10, exec_lo
	s_delay_alu instid0(VALU_DEP_3)
	v_cmpx_gt_u16_e64 v12, v11
; %bb.64:
	v_dual_mov_b32 v66, 1 :: v_dual_mov_b32 v9, v28
	v_mov_b32_e32 v10, v29
	v_dual_mov_b32 v29, v17 :: v_dual_mov_b32 v28, v16
	v_mov_b32_e32 v24, v65
	v_dual_mov_b32 v48, v39 :: v_dual_mov_b32 v39, v65
; %bb.65:
	s_or_b32 exec_lo, exec_lo, s10
	v_dual_mov_b32 v31, v27 :: v_dual_and_b32 v12, v50, v13
	v_dual_mov_b32 v30, v26 :: v_dual_and_b32 v11, v35, v13
	v_mov_b32_e32 v67, v35
	s_mov_b32 s10, exec_lo
	s_delay_alu instid0(VALU_DEP_2)
	v_cmpx_gt_u16_e64 v12, v11
; %bb.66:
	v_mov_b32_e32 v31, v21
	v_dual_mov_b32 v67, 1 :: v_dual_mov_b32 v30, v20
	v_dual_mov_b32 v20, v26 :: v_dual_mov_b32 v21, v27
	v_mov_b32_e32 v55, v35
	v_dual_mov_b32 v25, v50 :: v_dual_mov_b32 v50, v35
; %bb.67:
	s_or_b32 exec_lo, exec_lo, s10
	v_dual_mov_b32 v16, v18 :: v_dual_and_b32 v11, v33, v13
	v_dual_mov_b32 v17, v19 :: v_dual_and_b32 v12, v34, v13
	v_mov_b32_e32 v65, v33
	s_mov_b32 s10, exec_lo
	s_delay_alu instid0(VALU_DEP_2)
	v_cmpx_gt_u16_e64 v12, v11
; %bb.68:
	v_dual_mov_b32 v65, 1 :: v_dual_mov_b32 v16, v22
	v_mov_b32_e32 v17, v23
	v_dual_mov_b32 v23, v19 :: v_dual_mov_b32 v64, v33
	v_mov_b32_e32 v22, v18
	v_dual_mov_b32 v49, v34 :: v_dual_mov_b32 v34, v33
; %bb.69:
	s_or_b32 exec_lo, exec_lo, s10
	v_and_b32_e32 v11, v39, v13
	v_and_b32_e32 v12, v54, v13
	s_delay_alu instid0(VALU_DEP_1) | instskip(SKIP_1) | instid1(VALU_DEP_2)
	v_cmp_gt_u16_e64 s7, v12, v11
	v_dual_mov_b32 v11, v28 :: v_dual_mov_b32 v12, v29
	s_and_saveexec_b32 s10, s7
; %bb.70:
	v_dual_mov_b32 v12, v5 :: v_dual_mov_b32 v11, v4
	v_dual_mov_b32 v4, v28 :: v_dual_mov_b32 v5, v29
	v_mov_b32_e32 v52, v39
	v_mov_b32_e32 v24, v54
	v_dual_mov_b32 v54, v39 :: v_dual_mov_b32 v39, 1
; %bb.71:
	s_or_b32 exec_lo, exec_lo, s10
	v_and_b32_e32 v18, v50, v13
	v_and_b32_e32 v19, v66, v13
	v_dual_mov_b32 v26, v30 :: v_dual_mov_b32 v27, v31
	s_delay_alu instid0(VALU_DEP_2) | instskip(SKIP_1) | instid1(VALU_DEP_2)
	v_cmp_gt_u16_e64 s7, v19, v18
	v_mov_b32_e32 v18, v50
	s_and_saveexec_b32 s10, s7
; %bb.72:
	v_dual_mov_b32 v18, 1 :: v_dual_mov_b32 v27, v10
	v_dual_mov_b32 v26, v9 :: v_dual_mov_b32 v9, v30
	;; [unrolled: 1-line block ×3, first 2 shown]
	v_mov_b32_e32 v48, v50
	v_mov_b32_e32 v66, v50
; %bb.73:
	s_or_b32 exec_lo, exec_lo, s10
	v_dual_mov_b32 v31, v21 :: v_dual_and_b32 v28, v67, v13
	v_dual_mov_b32 v30, v20 :: v_dual_and_b32 v19, v34, v13
	v_mov_b32_e32 v68, v34
	s_mov_b32 s10, exec_lo
	s_delay_alu instid0(VALU_DEP_2)
	v_cmpx_gt_u16_e64 v28, v19
; %bb.74:
	v_dual_mov_b32 v68, 1 :: v_dual_mov_b32 v31, v17
	v_mov_b32_e32 v30, v16
	v_dual_mov_b32 v16, v20 :: v_dual_mov_b32 v25, v34
	v_dual_mov_b32 v17, v21 :: v_dual_mov_b32 v64, v67
	v_mov_b32_e32 v67, v34
; %bb.75:
	s_or_b32 exec_lo, exec_lo, s10
	v_dual_mov_b32 v35, v23 :: v_dual_and_b32 v20, v65, v13
	v_dual_mov_b32 v34, v22 :: v_dual_and_b32 v19, v32, v13
	s_mov_b32 s10, exec_lo
	s_delay_alu instid0(VALU_DEP_1)
	v_cmpx_gt_u16_e64 v20, v19
; %bb.76:
	v_dual_mov_b32 v20, 0 :: v_dual_mov_b32 v35, v15
	v_mov_b32_e32 v34, v14
	v_dual_mov_b32 v14, v22 :: v_dual_mov_b32 v49, v32
	v_mov_b32_e32 v15, v23
	v_mov_b32_e32 v51, v65
	;; [unrolled: 1-line block ×3, first 2 shown]
; %bb.77:
	s_or_b32 exec_lo, exec_lo, s10
	v_and_b32_e32 v19, 0xff, v52
	v_lshlrev_b16 v21, 8, v24
	v_and_b32_e32 v22, 0xff, v48
	v_lshlrev_b16 v23, 8, v55
	v_lshlrev_b16 v24, 8, v66
	v_and_b32_e32 v28, 0xff, v39
	v_or_b32_e32 v21, v19, v21
	v_and_b32_e32 v52, v68, v13
	v_or_b32_e32 v22, v22, v23
	v_or_b32_e32 v19, v19, v24
	;; [unrolled: 1-line block ×3, first 2 shown]
	v_and_b32_e32 v24, v66, v13
	v_and_b32_e32 v21, 0xffff, v21
	v_lshlrev_b32_e32 v22, 16, v22
	v_and_b32_e32 v19, 0xffff, v19
	v_lshlrev_b32_e32 v23, 16, v23
	v_and_b32_e32 v28, v39, v13
	s_delay_alu instid0(VALU_DEP_4) | instskip(SKIP_1) | instid1(VALU_DEP_4)
	v_or_b32_e32 v21, v21, v22
	v_and_b32_e32 v22, 0xff, v25
	v_or_b32_e32 v19, v19, v23
	s_delay_alu instid0(VALU_DEP_4) | instskip(SKIP_2) | instid1(VALU_DEP_3)
	v_cmp_gt_u16_e64 s7, v28, v24
	v_and_b32_e32 v23, 0xff, v49
	v_lshlrev_b16 v24, 8, v51
	v_cndmask_b32_e64 v21, v21, v19, s7
	v_lshlrev_b16 v19, 8, v64
	v_cndmask_b32_e64 v29, v10, v12, s7
	v_cndmask_b32_e64 v28, v9, v11, s7
	s_delay_alu instid0(VALU_DEP_4) | instskip(NEXT) | instid1(VALU_DEP_4)
	v_lshrrev_b32_e32 v25, 16, v21
	v_or_b32_e32 v19, v22, v19
	v_or_b32_e32 v22, v23, v24
	v_lshlrev_b16 v23, 8, v67
	s_delay_alu instid0(VALU_DEP_4) | instskip(NEXT) | instid1(VALU_DEP_4)
	v_and_b32_e32 v24, 0xff, v25
	v_and_b32_e32 v19, 0xffff, v19
	s_delay_alu instid0(VALU_DEP_4) | instskip(SKIP_1) | instid1(VALU_DEP_4)
	v_lshlrev_b32_e32 v22, 16, v22
	v_and_b32_e32 v25, v67, v13
	v_or_b32_e32 v23, v24, v23
	v_and_b32_e32 v24, v18, v13
	s_delay_alu instid0(VALU_DEP_4) | instskip(SKIP_1) | instid1(VALU_DEP_4)
	v_or_b32_e32 v22, v19, v22
	v_cndmask_b32_e64 v19, v12, v10, s7
	v_lshlrev_b32_e32 v32, 16, v23
	s_delay_alu instid0(VALU_DEP_4) | instskip(NEXT) | instid1(VALU_DEP_4)
	v_cmp_gt_u16_e64 s10, v24, v25
	v_perm_b32 v24, v18, v22, 0x3020104
	v_cndmask_b32_e64 v18, v11, v9, s7
	v_cmp_gt_u16_e64 s7, v52, v20
	v_and_or_b32 v10, 0xffff, v21, v32
	v_cndmask_b32_e64 v23, v27, v31, s10
	v_cndmask_b32_e64 v25, v22, v24, s10
	;; [unrolled: 1-line block ×6, first 2 shown]
	v_dual_mov_b32 v20, v34 :: v_dual_mov_b32 v21, v35
	v_lshrrev_b32_e32 v50, 24, v25
	s_delay_alu instid0(VALU_DEP_4)
	v_lshrrev_b64 v[26:27], 24, v[24:25]
	v_lshrrev_b32_e32 v49, 16, v25
	v_lshrrev_b32_e32 v51, 8, v25
	;; [unrolled: 1-line block ×4, first 2 shown]
	s_and_saveexec_b32 s10, s7
; %bb.78:
	v_mov_b32_e32 v21, v17
	v_dual_mov_b32 v51, v65 :: v_dual_mov_b32 v20, v16
	v_dual_mov_b32 v49, v68 :: v_dual_mov_b32 v16, v34
	v_lshrrev_b32_e32 v50, 24, v25
	v_lshrrev_b32_e32 v48, 16, v24
	;; [unrolled: 1-line block ×3, first 2 shown]
	v_mov_b32_e32 v17, v35
; %bb.79:
	s_or_b32 exec_lo, exec_lo, s10
	v_mov_b32_e32 v52, v54
.LBB1652_80:
	s_or_b32 exec_lo, exec_lo, s11
	v_and_b32_e32 v9, 0xffffff00, v53
	s_delay_alu instid0(VALU_DEP_2)
	v_and_b32_e32 v11, 0xff, v52
	v_lshlrev_b16 v27, 8, v39
	v_and_b32_e32 v30, 0xff, v48
	v_lshlrev_b16 v31, 8, v26
	v_or_b32_e32 v34, 8, v38
	v_sub_nc_u32_e64 v12, 0x800, v9 clamp
	v_or_b32_e32 v52, v11, v27
	v_and_b32_e32 v66, 0xff, v49
	v_or_b32_e32 v30, v30, v31
	v_lshlrev_b16 v67, 8, v50
	v_min_u32_e32 v27, v12, v34
	v_and_b32_e32 v53, 0xffff, v52
	v_and_b32_e32 v34, 0xff, v25
	v_lshlrev_b32_e32 v54, 16, v30
	v_lshlrev_b16 v52, 8, v51
	v_add_nc_u32_e32 v30, 8, v27
	v_lshlrev_b32_e32 v10, 3, v9
	v_and_b32_e32 v68, 8, v38
	v_and_b32_e32 v31, 0xf0, v38
	v_or_b32_e32 v52, v34, v52
	v_min_u32_e32 v30, v12, v30
	v_or_b32_e32 v66, v66, v67
	v_lshl_or_b32 v35, v38, 3, v10
	v_min_u32_e32 v34, v12, v68
	v_sub_nc_u32_e32 v68, v27, v31
	v_sub_nc_u32_e32 v67, v30, v27
	v_and_b32_e32 v69, 0xffff, v52
	v_lshlrev_b32_e32 v66, 16, v66
	v_add_nc_u32_e32 v11, 0x800, v35
	v_add_nc_u32_e32 v64, 0x810, v35
	;; [unrolled: 1-line block ×4, first 2 shown]
	v_sub_nc_u32_e64 v35, v34, v67 clamp
	v_min_u32_e32 v52, v34, v68
	v_or_b32_e32 v55, v9, v38
	v_or_b32_e32 v53, v53, v54
	;; [unrolled: 1-line block ×3, first 2 shown]
	s_mov_b32 s10, exec_lo
	ds_store_2addr_b64 v64, v[28:29], v[22:23] offset1:1
	ds_store_2addr_b64 v65, v[32:33], v[16:17] offset1:1
	;; [unrolled: 1-line block ×3, first 2 shown]
	ds_store_b64 v55, v[53:54]
	ds_store_2addr_b64 v70, v[20:21], v[14:15] offset1:1
	; wave barrier
	v_cmpx_lt_u32_e64 v35, v52
	s_cbranch_execz .LBB1652_84
; %bb.81:
	v_add_nc_u32_e32 v53, v9, v31
	v_add3_u32 v54, v9, v27, v34
	s_mov_b32 s11, 0
	.p2align	6
.LBB1652_82:                            ; =>This Inner Loop Header: Depth=1
	v_add_nc_u32_e32 v55, v52, v35
	s_delay_alu instid0(VALU_DEP_1) | instskip(NEXT) | instid1(VALU_DEP_1)
	v_lshrrev_b32_e32 v55, 1, v55
	v_xad_u32 v64, v55, -1, v54
	v_add_nc_u32_e32 v65, v53, v55
	v_add_nc_u32_e32 v66, 1, v55
	ds_load_u8 v64, v64
	ds_load_u8 v65, v65
	s_waitcnt lgkmcnt(1)
	v_and_b32_e32 v64, v64, v13
	s_waitcnt lgkmcnt(0)
	v_and_b32_e32 v65, v65, v13
	s_delay_alu instid0(VALU_DEP_1) | instskip(NEXT) | instid1(VALU_DEP_1)
	v_cmp_gt_u16_e64 s7, v65, v64
	v_cndmask_b32_e64 v52, v52, v55, s7
	v_cndmask_b32_e64 v35, v66, v35, s7
	s_delay_alu instid0(VALU_DEP_1) | instskip(NEXT) | instid1(VALU_DEP_1)
	v_cmp_ge_u32_e64 s7, v35, v52
	s_or_b32 s11, s7, s11
	s_delay_alu instid0(SALU_CYCLE_1)
	s_and_not1_b32 exec_lo, exec_lo, s11
	s_cbranch_execnz .LBB1652_82
; %bb.83:
	s_or_b32 exec_lo, exec_lo, s11
.LBB1652_84:
	s_delay_alu instid0(SALU_CYCLE_1) | instskip(SKIP_2) | instid1(VALU_DEP_2)
	s_or_b32 exec_lo, exec_lo, s10
	v_add_nc_u32_e32 v52, v27, v34
	v_add_nc_u32_e32 v34, v35, v31
	v_sub_nc_u32_e32 v31, v52, v35
	s_delay_alu instid0(VALU_DEP_2) | instskip(NEXT) | instid1(VALU_DEP_2)
	v_cmp_le_u32_e64 s7, v34, v27
	v_cmp_le_u32_e64 s10, v31, v30
	s_delay_alu instid0(VALU_DEP_1) | instskip(NEXT) | instid1(SALU_CYCLE_1)
	s_or_b32 s7, s7, s10
	s_and_saveexec_b32 s22, s7
	s_cbranch_execz .LBB1652_90
; %bb.85:
	v_cmp_lt_u32_e64 s7, v34, v27
                                        ; implicit-def: $vgpr24
	s_delay_alu instid0(VALU_DEP_1)
	s_and_saveexec_b32 s10, s7
	s_cbranch_execz .LBB1652_87
; %bb.86:
	v_add_nc_u32_e32 v4, v9, v34
	ds_load_u8 v24, v4
.LBB1652_87:
	s_or_b32 exec_lo, exec_lo, s10
	v_cmp_ge_u32_e64 s10, v31, v30
	s_mov_b32 s14, exec_lo
                                        ; implicit-def: $vgpr25
	v_cmpx_lt_u32_e64 v31, v30
	s_cbranch_execz .LBB1652_89
; %bb.88:
	v_add_nc_u32_e32 v4, v9, v31
	ds_load_u8 v25, v4
.LBB1652_89:
	s_or_b32 exec_lo, exec_lo, s14
	s_waitcnt lgkmcnt(0)
	v_and_b32_e32 v4, v25, v13
	v_and_b32_e32 v5, v24, v13
	s_delay_alu instid0(VALU_DEP_1) | instskip(NEXT) | instid1(VALU_DEP_1)
	v_cmp_le_u16_e64 s11, v5, v4
	s_and_b32 s7, s7, s11
	s_delay_alu instid0(SALU_CYCLE_1) | instskip(NEXT) | instid1(SALU_CYCLE_1)
	s_or_b32 s7, s10, s7
	v_cndmask_b32_e64 v4, v31, v34, s7
	v_cndmask_b32_e64 v5, v30, v27, s7
	s_delay_alu instid0(VALU_DEP_2) | instskip(NEXT) | instid1(VALU_DEP_2)
	v_add_nc_u32_e32 v14, 1, v4
	v_add_nc_u32_e32 v5, -1, v5
	v_lshl_add_u32 v4, v4, 3, v10
	s_delay_alu instid0(VALU_DEP_2) | instskip(NEXT) | instid1(VALU_DEP_1)
	v_min_u32_e32 v5, v14, v5
	v_add_nc_u32_e32 v5, v9, v5
	ds_load_u8 v5, v5
	s_waitcnt lgkmcnt(0)
	v_cndmask_b32_e64 v26, v5, v25, s7
	v_cndmask_b32_e64 v35, v24, v5, s7
	;; [unrolled: 1-line block ×5, first 2 shown]
	v_and_b32_e32 v15, v26, v13
	v_and_b32_e32 v16, v35, v13
	v_cmp_lt_u32_e64 s10, v5, v27
	v_cmp_ge_u32_e64 s14, v14, v30
	s_delay_alu instid0(VALU_DEP_3) | instskip(NEXT) | instid1(VALU_DEP_1)
	v_cmp_le_u16_e64 s11, v16, v15
	s_and_b32 s10, s11, s10
	s_delay_alu instid0(VALU_DEP_2) | instid1(SALU_CYCLE_1)
	s_or_b32 s10, s14, s10
	s_delay_alu instid0(SALU_CYCLE_1) | instskip(SKIP_2) | instid1(VALU_DEP_3)
	v_cndmask_b32_e64 v15, v14, v5, s10
	v_cndmask_b32_e64 v16, v30, v27, s10
	;; [unrolled: 1-line block ×3, first 2 shown]
	v_add_nc_u32_e32 v17, 1, v15
	s_delay_alu instid0(VALU_DEP_3) | instskip(SKIP_1) | instid1(VALU_DEP_3)
	v_add_nc_u32_e32 v16, -1, v16
	v_lshl_add_u32 v15, v15, 3, v10
	v_cndmask_b32_e64 v5, v5, v17, s10
	s_delay_alu instid0(VALU_DEP_3) | instskip(SKIP_1) | instid1(VALU_DEP_3)
	v_min_u32_e32 v16, v17, v16
	v_cndmask_b32_e64 v14, v17, v14, s10
	v_cmp_lt_u32_e64 s11, v5, v27
	s_delay_alu instid0(VALU_DEP_3) | instskip(NEXT) | instid1(VALU_DEP_3)
	v_add_nc_u32_e32 v16, v9, v16
	v_cmp_ge_u32_e64 s15, v14, v30
	ds_load_u8 v16, v16
	s_waitcnt lgkmcnt(0)
	v_cndmask_b32_e64 v31, v16, v26, s10
	v_cndmask_b32_e64 v34, v35, v16, s10
	s_delay_alu instid0(VALU_DEP_2) | instskip(NEXT) | instid1(VALU_DEP_2)
	v_and_b32_e32 v16, v31, v13
	v_and_b32_e32 v18, v34, v13
	s_delay_alu instid0(VALU_DEP_1) | instskip(NEXT) | instid1(VALU_DEP_1)
	v_cmp_le_u16_e64 s14, v18, v16
	s_and_b32 s11, s14, s11
	s_delay_alu instid0(SALU_CYCLE_1) | instskip(NEXT) | instid1(SALU_CYCLE_1)
	s_or_b32 s11, s15, s11
	v_cndmask_b32_e64 v16, v14, v5, s11
	v_cndmask_b32_e64 v17, v30, v27, s11
	;; [unrolled: 1-line block ×3, first 2 shown]
	s_delay_alu instid0(VALU_DEP_3) | instskip(NEXT) | instid1(VALU_DEP_3)
	v_add_nc_u32_e32 v18, 1, v16
	v_add_nc_u32_e32 v17, -1, v17
	v_lshl_add_u32 v16, v16, 3, v10
	s_delay_alu instid0(VALU_DEP_3) | instskip(NEXT) | instid1(VALU_DEP_3)
	v_cndmask_b32_e64 v5, v5, v18, s11
	v_min_u32_e32 v17, v18, v17
	v_cndmask_b32_e64 v14, v18, v14, s11
	s_delay_alu instid0(VALU_DEP_3) | instskip(NEXT) | instid1(VALU_DEP_3)
	v_cmp_lt_u32_e64 s14, v5, v27
	v_add_nc_u32_e32 v17, v9, v17
	s_delay_alu instid0(VALU_DEP_3) | instskip(SKIP_4) | instid1(VALU_DEP_2)
	v_cmp_ge_u32_e64 s16, v14, v30
	ds_load_u8 v17, v17
	s_waitcnt lgkmcnt(0)
	v_cndmask_b32_e64 v49, v17, v31, s11
	v_cndmask_b32_e64 v50, v34, v17, s11
	v_and_b32_e32 v17, v49, v13
	s_delay_alu instid0(VALU_DEP_2) | instskip(NEXT) | instid1(VALU_DEP_1)
	v_and_b32_e32 v19, v50, v13
	v_cmp_le_u16_e64 s15, v19, v17
	s_delay_alu instid0(VALU_DEP_1) | instskip(NEXT) | instid1(SALU_CYCLE_1)
	s_and_b32 s14, s15, s14
	s_or_b32 s14, s16, s14
	s_delay_alu instid0(SALU_CYCLE_1) | instskip(SKIP_2) | instid1(VALU_DEP_3)
	v_cndmask_b32_e64 v17, v14, v5, s14
	v_cndmask_b32_e64 v18, v30, v27, s14
	;; [unrolled: 1-line block ×3, first 2 shown]
	v_add_nc_u32_e32 v19, 1, v17
	s_delay_alu instid0(VALU_DEP_3) | instskip(NEXT) | instid1(VALU_DEP_2)
	v_add_nc_u32_e32 v18, -1, v18
	v_cndmask_b32_e64 v5, v5, v19, s14
	s_delay_alu instid0(VALU_DEP_2) | instskip(SKIP_1) | instid1(VALU_DEP_3)
	v_min_u32_e32 v18, v19, v18
	v_cndmask_b32_e64 v14, v19, v14, s14
	v_cmp_lt_u32_e64 s15, v5, v27
	s_delay_alu instid0(VALU_DEP_3) | instskip(NEXT) | instid1(VALU_DEP_3)
	v_add_nc_u32_e32 v18, v9, v18
	v_cmp_ge_u32_e64 s17, v14, v30
	ds_load_u8 v18, v18
	s_waitcnt lgkmcnt(0)
	v_cndmask_b32_e64 v51, v18, v49, s14
	v_cndmask_b32_e64 v52, v50, v18, s14
	s_delay_alu instid0(VALU_DEP_2) | instskip(NEXT) | instid1(VALU_DEP_2)
	v_and_b32_e32 v18, v51, v13
	v_and_b32_e32 v20, v52, v13
	s_delay_alu instid0(VALU_DEP_1) | instskip(NEXT) | instid1(VALU_DEP_1)
	v_cmp_le_u16_e64 s16, v20, v18
	s_and_b32 s15, s16, s15
	s_delay_alu instid0(SALU_CYCLE_1) | instskip(NEXT) | instid1(SALU_CYCLE_1)
	s_or_b32 s15, s17, s15
	v_cndmask_b32_e64 v20, v14, v5, s15
	v_cndmask_b32_e64 v18, v30, v27, s15
	;; [unrolled: 1-line block ×3, first 2 shown]
	s_delay_alu instid0(VALU_DEP_3) | instskip(NEXT) | instid1(VALU_DEP_3)
	v_add_nc_u32_e32 v19, 1, v20
	v_add_nc_u32_e32 v18, -1, v18
	s_delay_alu instid0(VALU_DEP_2) | instskip(NEXT) | instid1(VALU_DEP_2)
	v_cndmask_b32_e64 v5, v5, v19, s15
	v_min_u32_e32 v18, v19, v18
	v_cndmask_b32_e64 v14, v19, v14, s15
	s_delay_alu instid0(VALU_DEP_3) | instskip(NEXT) | instid1(VALU_DEP_3)
	v_cmp_lt_u32_e64 s16, v5, v27
	v_add_nc_u32_e32 v18, v9, v18
	s_delay_alu instid0(VALU_DEP_3) | instskip(SKIP_4) | instid1(VALU_DEP_2)
	v_cmp_ge_u32_e64 s18, v14, v30
	ds_load_u8 v18, v18
	s_waitcnt lgkmcnt(0)
	v_cndmask_b32_e64 v53, v18, v51, s15
	v_cndmask_b32_e64 v54, v52, v18, s15
	v_and_b32_e32 v18, v53, v13
	s_delay_alu instid0(VALU_DEP_2) | instskip(NEXT) | instid1(VALU_DEP_1)
	v_and_b32_e32 v21, v54, v13
	v_cmp_le_u16_e64 s17, v21, v18
	s_delay_alu instid0(VALU_DEP_1) | instskip(NEXT) | instid1(SALU_CYCLE_1)
	s_and_b32 s16, s17, s16
	s_or_b32 s16, s18, s16
	s_delay_alu instid0(SALU_CYCLE_1) | instskip(SKIP_2) | instid1(VALU_DEP_3)
	v_cndmask_b32_e64 v21, v14, v5, s16
	v_cndmask_b32_e64 v18, v30, v27, s16
	v_cndmask_b32_e64 v51, v53, v54, s16
	v_add_nc_u32_e32 v19, 1, v21
	s_delay_alu instid0(VALU_DEP_3) | instskip(NEXT) | instid1(VALU_DEP_2)
	v_add_nc_u32_e32 v18, -1, v18
	v_cndmask_b32_e64 v5, v5, v19, s16
	s_delay_alu instid0(VALU_DEP_2) | instskip(SKIP_1) | instid1(VALU_DEP_3)
	v_min_u32_e32 v18, v19, v18
	v_cndmask_b32_e64 v14, v19, v14, s16
	v_cmp_lt_u32_e64 s17, v5, v27
	s_delay_alu instid0(VALU_DEP_3) | instskip(NEXT) | instid1(VALU_DEP_3)
	v_add_nc_u32_e32 v18, v9, v18
	v_cmp_ge_u32_e64 s19, v14, v30
	ds_load_u8 v18, v18
	s_waitcnt lgkmcnt(0)
	v_cndmask_b32_e64 v55, v18, v53, s16
	v_cndmask_b32_e64 v64, v54, v18, s16
	s_delay_alu instid0(VALU_DEP_2) | instskip(NEXT) | instid1(VALU_DEP_2)
	v_and_b32_e32 v18, v55, v13
	v_and_b32_e32 v22, v64, v13
	s_delay_alu instid0(VALU_DEP_1) | instskip(NEXT) | instid1(VALU_DEP_1)
	v_cmp_le_u16_e64 s18, v22, v18
	s_and_b32 s17, s18, s17
	s_delay_alu instid0(SALU_CYCLE_1) | instskip(NEXT) | instid1(SALU_CYCLE_1)
	s_or_b32 s17, s19, s17
	v_cndmask_b32_e64 v22, v14, v5, s17
	v_cndmask_b32_e64 v18, v30, v27, s17
	;; [unrolled: 1-line block ×3, first 2 shown]
	s_delay_alu instid0(VALU_DEP_3) | instskip(NEXT) | instid1(VALU_DEP_3)
	v_add_nc_u32_e32 v19, 1, v22
	v_add_nc_u32_e32 v18, -1, v18
	s_delay_alu instid0(VALU_DEP_2) | instskip(NEXT) | instid1(VALU_DEP_2)
	v_cndmask_b32_e64 v23, v5, v19, s17
	v_min_u32_e32 v18, v19, v18
	v_cndmask_b32_e64 v14, v19, v14, s17
	s_delay_alu instid0(VALU_DEP_3) | instskip(NEXT) | instid1(VALU_DEP_3)
	v_cmp_lt_u32_e64 s18, v23, v27
	v_add_nc_u32_e32 v18, v9, v18
	s_delay_alu instid0(VALU_DEP_3) | instskip(SKIP_4) | instid1(VALU_DEP_2)
	v_cmp_ge_u32_e64 s20, v14, v30
	ds_load_u8 v18, v18
	s_waitcnt lgkmcnt(0)
	v_cndmask_b32_e64 v65, v18, v55, s17
	v_cndmask_b32_e64 v66, v64, v18, s17
	v_and_b32_e32 v5, v65, v13
	s_delay_alu instid0(VALU_DEP_2) | instskip(NEXT) | instid1(VALU_DEP_1)
	v_and_b32_e32 v18, v66, v13
	v_cmp_le_u16_e64 s19, v18, v5
	ds_load_b64 v[4:5], v4 offset:2048
	ds_load_b64 v[18:19], v15 offset:2048
	v_lshl_add_u32 v15, v17, 3, v10
	ds_load_b64 v[28:29], v16 offset:2048
	v_lshl_add_u32 v16, v20, 3, v10
	s_and_b32 s18, s19, s18
	v_lshl_add_u32 v17, v21, 3, v10
	s_or_b32 s18, s20, s18
	v_lshl_add_u32 v20, v22, 3, v10
	v_cndmask_b32_e64 v14, v14, v23, s18
	v_cndmask_b32_e64 v50, v65, v66, s18
	s_delay_alu instid0(VALU_DEP_2)
	v_lshl_add_u32 v14, v14, 3, v10
	ds_load_b64 v[22:23], v15 offset:2048
	ds_load_b64 v[32:33], v16 offset:2048
	;; [unrolled: 1-line block ×5, first 2 shown]
.LBB1652_90:
	s_or_b32 exec_lo, exec_lo, s22
	v_and_b32_e32 v34, 0xe0, v38
	v_lshlrev_b16 v27, 8, v51
	v_and_b32_e32 v31, 0xff, v25
	v_lshlrev_b16 v35, 8, v50
	v_and_b32_e32 v52, 0xff, v49
	v_or_b32_e32 v30, 16, v34
	v_lshlrev_b16 v53, 8, v39
	v_and_b32_e32 v54, 0xff, v24
	v_lshlrev_b16 v55, 8, v26
	v_and_b32_e32 v64, 0xff, v48
	v_min_u32_e32 v30, v12, v30
	v_or_b32_e32 v27, v31, v27
	v_and_b32_e32 v65, 24, v38
	v_or_b32_e32 v52, v52, v35
	v_or_b32_e32 v53, v54, v53
	v_add_nc_u32_e32 v31, 16, v30
	v_or_b32_e32 v54, v64, v55
	v_min_u32_e32 v35, v12, v65
	v_and_b32_e32 v55, 0xffff, v27
	v_lshlrev_b32_e32 v52, 16, v52
	v_min_u32_e32 v31, v12, v31
	v_and_b32_e32 v53, 0xffff, v53
	v_lshlrev_b32_e32 v54, 16, v54
	v_sub_nc_u32_e32 v65, v30, v34
	v_add_nc_u32_e32 v27, v9, v38
	v_sub_nc_u32_e32 v64, v31, v30
	v_or_b32_e32 v55, v55, v52
	v_or_b32_e32 v54, v53, v54
	v_min_u32_e32 v53, v35, v65
	s_mov_b32 s10, exec_lo
	v_sub_nc_u32_e64 v52, v35, v64 clamp
	; wave barrier
	s_waitcnt lgkmcnt(6)
	ds_store_2addr_b64 v11, v[4:5], v[18:19] offset1:1
	s_waitcnt lgkmcnt(5)
	ds_store_2addr_b64 v11, v[28:29], v[22:23] offset0:2 offset1:3
	ds_store_b64 v27, v[54:55]
	s_waitcnt lgkmcnt(5)
	ds_store_2addr_b64 v11, v[32:33], v[16:17] offset0:4 offset1:5
	s_waitcnt lgkmcnt(4)
	ds_store_2addr_b64 v11, v[20:21], v[14:15] offset0:6 offset1:7
	; wave barrier
	v_cmpx_lt_u32_e64 v52, v53
	s_cbranch_execz .LBB1652_94
; %bb.91:
	v_add_nc_u32_e32 v54, v9, v34
	v_add3_u32 v55, v9, v30, v35
	s_mov_b32 s11, 0
	.p2align	6
.LBB1652_92:                            ; =>This Inner Loop Header: Depth=1
	v_add_nc_u32_e32 v64, v53, v52
	s_delay_alu instid0(VALU_DEP_1) | instskip(NEXT) | instid1(VALU_DEP_1)
	v_lshrrev_b32_e32 v64, 1, v64
	v_xad_u32 v65, v64, -1, v55
	v_add_nc_u32_e32 v66, v54, v64
	v_add_nc_u32_e32 v67, 1, v64
	ds_load_u8 v65, v65
	ds_load_u8 v66, v66
	s_waitcnt lgkmcnt(1)
	v_and_b32_e32 v65, v65, v13
	s_waitcnt lgkmcnt(0)
	v_and_b32_e32 v66, v66, v13
	s_delay_alu instid0(VALU_DEP_1) | instskip(NEXT) | instid1(VALU_DEP_1)
	v_cmp_gt_u16_e64 s7, v66, v65
	v_cndmask_b32_e64 v53, v53, v64, s7
	v_cndmask_b32_e64 v52, v67, v52, s7
	s_delay_alu instid0(VALU_DEP_1) | instskip(NEXT) | instid1(VALU_DEP_1)
	v_cmp_ge_u32_e64 s7, v52, v53
	s_or_b32 s11, s7, s11
	s_delay_alu instid0(SALU_CYCLE_1)
	s_and_not1_b32 exec_lo, exec_lo, s11
	s_cbranch_execnz .LBB1652_92
; %bb.93:
	s_or_b32 exec_lo, exec_lo, s11
.LBB1652_94:
	s_delay_alu instid0(SALU_CYCLE_1) | instskip(SKIP_2) | instid1(VALU_DEP_2)
	s_or_b32 exec_lo, exec_lo, s10
	v_add_nc_u32_e32 v53, v30, v35
	v_add_nc_u32_e32 v35, v52, v34
	v_sub_nc_u32_e32 v34, v53, v52
	s_delay_alu instid0(VALU_DEP_2) | instskip(NEXT) | instid1(VALU_DEP_2)
	v_cmp_le_u32_e64 s7, v35, v30
	v_cmp_le_u32_e64 s10, v34, v31
	s_delay_alu instid0(VALU_DEP_1) | instskip(NEXT) | instid1(SALU_CYCLE_1)
	s_or_b32 s7, s7, s10
	s_and_saveexec_b32 s22, s7
	s_cbranch_execz .LBB1652_100
; %bb.95:
	v_cmp_lt_u32_e64 s7, v35, v30
                                        ; implicit-def: $vgpr24
	s_delay_alu instid0(VALU_DEP_1)
	s_and_saveexec_b32 s10, s7
	s_cbranch_execz .LBB1652_97
; %bb.96:
	v_add_nc_u32_e32 v4, v9, v35
	ds_load_u8 v24, v4
.LBB1652_97:
	s_or_b32 exec_lo, exec_lo, s10
	v_cmp_ge_u32_e64 s10, v34, v31
	s_mov_b32 s14, exec_lo
                                        ; implicit-def: $vgpr25
	v_cmpx_lt_u32_e64 v34, v31
	s_cbranch_execz .LBB1652_99
; %bb.98:
	v_add_nc_u32_e32 v4, v9, v34
	ds_load_u8 v25, v4
.LBB1652_99:
	s_or_b32 exec_lo, exec_lo, s14
	s_waitcnt lgkmcnt(0)
	v_and_b32_e32 v4, v25, v13
	v_and_b32_e32 v5, v24, v13
	s_delay_alu instid0(VALU_DEP_1) | instskip(NEXT) | instid1(VALU_DEP_1)
	v_cmp_le_u16_e64 s11, v5, v4
	s_and_b32 s7, s7, s11
	s_delay_alu instid0(SALU_CYCLE_1) | instskip(NEXT) | instid1(SALU_CYCLE_1)
	s_or_b32 s7, s10, s7
	v_cndmask_b32_e64 v4, v34, v35, s7
	v_cndmask_b32_e64 v5, v31, v30, s7
	s_delay_alu instid0(VALU_DEP_2) | instskip(NEXT) | instid1(VALU_DEP_2)
	v_add_nc_u32_e32 v14, 1, v4
	v_add_nc_u32_e32 v5, -1, v5
	v_lshl_add_u32 v4, v4, 3, v10
	s_delay_alu instid0(VALU_DEP_2) | instskip(NEXT) | instid1(VALU_DEP_1)
	v_min_u32_e32 v5, v14, v5
	v_add_nc_u32_e32 v5, v9, v5
	ds_load_u8 v5, v5
	s_waitcnt lgkmcnt(0)
	v_cndmask_b32_e64 v26, v5, v25, s7
	v_cndmask_b32_e64 v39, v24, v5, s7
	;; [unrolled: 1-line block ×5, first 2 shown]
	v_and_b32_e32 v15, v26, v13
	v_and_b32_e32 v16, v39, v13
	v_cmp_lt_u32_e64 s10, v5, v30
	v_cmp_ge_u32_e64 s14, v14, v31
	s_delay_alu instid0(VALU_DEP_3) | instskip(NEXT) | instid1(VALU_DEP_1)
	v_cmp_le_u16_e64 s11, v16, v15
	s_and_b32 s10, s11, s10
	s_delay_alu instid0(VALU_DEP_2) | instid1(SALU_CYCLE_1)
	s_or_b32 s10, s14, s10
	s_delay_alu instid0(SALU_CYCLE_1) | instskip(SKIP_1) | instid1(VALU_DEP_2)
	v_cndmask_b32_e64 v15, v14, v5, s10
	v_cndmask_b32_e64 v16, v31, v30, s10
	v_add_nc_u32_e32 v17, 1, v15
	s_delay_alu instid0(VALU_DEP_2) | instskip(SKIP_1) | instid1(VALU_DEP_3)
	v_add_nc_u32_e32 v16, -1, v16
	v_lshl_add_u32 v15, v15, 3, v10
	v_cndmask_b32_e64 v5, v5, v17, s10
	s_delay_alu instid0(VALU_DEP_3) | instskip(SKIP_1) | instid1(VALU_DEP_3)
	v_min_u32_e32 v16, v17, v16
	v_cndmask_b32_e64 v14, v17, v14, s10
	v_cmp_lt_u32_e64 s11, v5, v30
	s_delay_alu instid0(VALU_DEP_3) | instskip(NEXT) | instid1(VALU_DEP_3)
	v_add_nc_u32_e32 v16, v9, v16
	v_cmp_ge_u32_e64 s15, v14, v31
	ds_load_u8 v16, v16
	s_waitcnt lgkmcnt(0)
	v_cndmask_b32_e64 v34, v16, v26, s10
	v_cndmask_b32_e64 v35, v39, v16, s10
	;; [unrolled: 1-line block ×3, first 2 shown]
	s_delay_alu instid0(VALU_DEP_3) | instskip(NEXT) | instid1(VALU_DEP_3)
	v_and_b32_e32 v16, v34, v13
	v_and_b32_e32 v18, v35, v13
	s_delay_alu instid0(VALU_DEP_1) | instskip(NEXT) | instid1(VALU_DEP_1)
	v_cmp_le_u16_e64 s14, v18, v16
	s_and_b32 s11, s14, s11
	s_delay_alu instid0(SALU_CYCLE_1) | instskip(NEXT) | instid1(SALU_CYCLE_1)
	s_or_b32 s11, s15, s11
	v_cndmask_b32_e64 v16, v14, v5, s11
	v_cndmask_b32_e64 v17, v31, v30, s11
	;; [unrolled: 1-line block ×3, first 2 shown]
	s_delay_alu instid0(VALU_DEP_3) | instskip(NEXT) | instid1(VALU_DEP_3)
	v_add_nc_u32_e32 v18, 1, v16
	v_add_nc_u32_e32 v17, -1, v17
	v_lshl_add_u32 v16, v16, 3, v10
	s_delay_alu instid0(VALU_DEP_3) | instskip(NEXT) | instid1(VALU_DEP_3)
	v_cndmask_b32_e64 v5, v5, v18, s11
	v_min_u32_e32 v17, v18, v17
	v_cndmask_b32_e64 v14, v18, v14, s11
	s_delay_alu instid0(VALU_DEP_3) | instskip(NEXT) | instid1(VALU_DEP_3)
	v_cmp_lt_u32_e64 s14, v5, v30
	v_add_nc_u32_e32 v17, v9, v17
	s_delay_alu instid0(VALU_DEP_3) | instskip(SKIP_4) | instid1(VALU_DEP_2)
	v_cmp_ge_u32_e64 s16, v14, v31
	ds_load_u8 v17, v17
	s_waitcnt lgkmcnt(0)
	v_cndmask_b32_e64 v49, v17, v34, s11
	v_cndmask_b32_e64 v50, v35, v17, s11
	v_and_b32_e32 v17, v49, v13
	s_delay_alu instid0(VALU_DEP_2) | instskip(NEXT) | instid1(VALU_DEP_1)
	v_and_b32_e32 v19, v50, v13
	v_cmp_le_u16_e64 s15, v19, v17
	s_delay_alu instid0(VALU_DEP_1) | instskip(NEXT) | instid1(SALU_CYCLE_1)
	s_and_b32 s14, s15, s14
	s_or_b32 s14, s16, s14
	s_delay_alu instid0(SALU_CYCLE_1) | instskip(SKIP_2) | instid1(VALU_DEP_3)
	v_cndmask_b32_e64 v17, v14, v5, s14
	v_cndmask_b32_e64 v18, v31, v30, s14
	;; [unrolled: 1-line block ×3, first 2 shown]
	v_add_nc_u32_e32 v19, 1, v17
	s_delay_alu instid0(VALU_DEP_3) | instskip(NEXT) | instid1(VALU_DEP_2)
	v_add_nc_u32_e32 v18, -1, v18
	v_cndmask_b32_e64 v5, v5, v19, s14
	s_delay_alu instid0(VALU_DEP_2) | instskip(SKIP_1) | instid1(VALU_DEP_3)
	v_min_u32_e32 v18, v19, v18
	v_cndmask_b32_e64 v14, v19, v14, s14
	v_cmp_lt_u32_e64 s15, v5, v30
	s_delay_alu instid0(VALU_DEP_3) | instskip(NEXT) | instid1(VALU_DEP_3)
	v_add_nc_u32_e32 v18, v9, v18
	v_cmp_ge_u32_e64 s17, v14, v31
	ds_load_u8 v18, v18
	s_waitcnt lgkmcnt(0)
	v_cndmask_b32_e64 v51, v18, v49, s14
	v_cndmask_b32_e64 v52, v50, v18, s14
	s_delay_alu instid0(VALU_DEP_2) | instskip(NEXT) | instid1(VALU_DEP_2)
	v_and_b32_e32 v18, v51, v13
	v_and_b32_e32 v20, v52, v13
	s_delay_alu instid0(VALU_DEP_1) | instskip(NEXT) | instid1(VALU_DEP_1)
	v_cmp_le_u16_e64 s16, v20, v18
	s_and_b32 s15, s16, s15
	s_delay_alu instid0(SALU_CYCLE_1) | instskip(NEXT) | instid1(SALU_CYCLE_1)
	s_or_b32 s15, s17, s15
	v_cndmask_b32_e64 v20, v14, v5, s15
	v_cndmask_b32_e64 v18, v31, v30, s15
	;; [unrolled: 1-line block ×3, first 2 shown]
	s_delay_alu instid0(VALU_DEP_3) | instskip(NEXT) | instid1(VALU_DEP_3)
	v_add_nc_u32_e32 v19, 1, v20
	v_add_nc_u32_e32 v18, -1, v18
	s_delay_alu instid0(VALU_DEP_2) | instskip(NEXT) | instid1(VALU_DEP_2)
	v_cndmask_b32_e64 v5, v5, v19, s15
	v_min_u32_e32 v18, v19, v18
	v_cndmask_b32_e64 v14, v19, v14, s15
	s_delay_alu instid0(VALU_DEP_3) | instskip(NEXT) | instid1(VALU_DEP_3)
	v_cmp_lt_u32_e64 s16, v5, v30
	v_add_nc_u32_e32 v18, v9, v18
	s_delay_alu instid0(VALU_DEP_3) | instskip(SKIP_4) | instid1(VALU_DEP_2)
	v_cmp_ge_u32_e64 s18, v14, v31
	ds_load_u8 v18, v18
	s_waitcnt lgkmcnt(0)
	v_cndmask_b32_e64 v53, v18, v51, s15
	v_cndmask_b32_e64 v54, v52, v18, s15
	v_and_b32_e32 v18, v53, v13
	s_delay_alu instid0(VALU_DEP_2) | instskip(NEXT) | instid1(VALU_DEP_1)
	v_and_b32_e32 v21, v54, v13
	v_cmp_le_u16_e64 s17, v21, v18
	s_delay_alu instid0(VALU_DEP_1) | instskip(NEXT) | instid1(SALU_CYCLE_1)
	s_and_b32 s16, s17, s16
	s_or_b32 s16, s18, s16
	s_delay_alu instid0(SALU_CYCLE_1) | instskip(SKIP_2) | instid1(VALU_DEP_3)
	v_cndmask_b32_e64 v21, v14, v5, s16
	v_cndmask_b32_e64 v18, v31, v30, s16
	;; [unrolled: 1-line block ×3, first 2 shown]
	v_add_nc_u32_e32 v19, 1, v21
	s_delay_alu instid0(VALU_DEP_3) | instskip(NEXT) | instid1(VALU_DEP_2)
	v_add_nc_u32_e32 v18, -1, v18
	v_cndmask_b32_e64 v5, v5, v19, s16
	s_delay_alu instid0(VALU_DEP_2) | instskip(SKIP_1) | instid1(VALU_DEP_3)
	v_min_u32_e32 v18, v19, v18
	v_cndmask_b32_e64 v14, v19, v14, s16
	v_cmp_lt_u32_e64 s17, v5, v30
	s_delay_alu instid0(VALU_DEP_3) | instskip(NEXT) | instid1(VALU_DEP_3)
	v_add_nc_u32_e32 v18, v9, v18
	v_cmp_ge_u32_e64 s19, v14, v31
	ds_load_u8 v18, v18
	s_waitcnt lgkmcnt(0)
	v_cndmask_b32_e64 v55, v18, v53, s16
	v_cndmask_b32_e64 v64, v54, v18, s16
	s_delay_alu instid0(VALU_DEP_2) | instskip(NEXT) | instid1(VALU_DEP_2)
	v_and_b32_e32 v18, v55, v13
	v_and_b32_e32 v22, v64, v13
	s_delay_alu instid0(VALU_DEP_1) | instskip(NEXT) | instid1(VALU_DEP_1)
	v_cmp_le_u16_e64 s18, v22, v18
	s_and_b32 s17, s18, s17
	s_delay_alu instid0(SALU_CYCLE_1) | instskip(NEXT) | instid1(SALU_CYCLE_1)
	s_or_b32 s17, s19, s17
	v_cndmask_b32_e64 v22, v14, v5, s17
	v_cndmask_b32_e64 v18, v31, v30, s17
	;; [unrolled: 1-line block ×3, first 2 shown]
	s_delay_alu instid0(VALU_DEP_3) | instskip(NEXT) | instid1(VALU_DEP_3)
	v_add_nc_u32_e32 v19, 1, v22
	v_add_nc_u32_e32 v18, -1, v18
	s_delay_alu instid0(VALU_DEP_2) | instskip(NEXT) | instid1(VALU_DEP_2)
	v_cndmask_b32_e64 v23, v5, v19, s17
	v_min_u32_e32 v18, v19, v18
	v_cndmask_b32_e64 v14, v19, v14, s17
	s_delay_alu instid0(VALU_DEP_3) | instskip(NEXT) | instid1(VALU_DEP_3)
	v_cmp_lt_u32_e64 s18, v23, v30
	v_add_nc_u32_e32 v18, v9, v18
	s_delay_alu instid0(VALU_DEP_3) | instskip(SKIP_4) | instid1(VALU_DEP_2)
	v_cmp_ge_u32_e64 s20, v14, v31
	ds_load_u8 v18, v18
	s_waitcnt lgkmcnt(0)
	v_cndmask_b32_e64 v65, v18, v55, s17
	v_cndmask_b32_e64 v66, v64, v18, s17
	v_and_b32_e32 v5, v65, v13
	s_delay_alu instid0(VALU_DEP_2) | instskip(NEXT) | instid1(VALU_DEP_1)
	v_and_b32_e32 v18, v66, v13
	v_cmp_le_u16_e64 s19, v18, v5
	ds_load_b64 v[4:5], v4 offset:2048
	ds_load_b64 v[18:19], v15 offset:2048
	v_lshl_add_u32 v15, v17, 3, v10
	ds_load_b64 v[28:29], v16 offset:2048
	v_lshl_add_u32 v16, v20, 3, v10
	s_and_b32 s18, s19, s18
	v_lshl_add_u32 v17, v21, 3, v10
	s_or_b32 s18, s20, s18
	v_lshl_add_u32 v20, v22, 3, v10
	v_cndmask_b32_e64 v14, v14, v23, s18
	v_cndmask_b32_e64 v50, v65, v66, s18
	s_delay_alu instid0(VALU_DEP_2)
	v_lshl_add_u32 v14, v14, 3, v10
	ds_load_b64 v[22:23], v15 offset:2048
	ds_load_b64 v[32:33], v16 offset:2048
	;; [unrolled: 1-line block ×5, first 2 shown]
.LBB1652_100:
	s_or_b32 exec_lo, exec_lo, s22
	v_and_b32_e32 v34, 0xc0, v38
	v_lshlrev_b16 v31, 8, v51
	v_and_b32_e32 v35, 0xff, v25
	v_lshlrev_b16 v52, 8, v50
	v_and_b32_e32 v53, 0xff, v49
	v_or_b32_e32 v30, 32, v34
	v_lshlrev_b16 v54, 8, v39
	v_and_b32_e32 v55, 0xff, v24
	v_lshlrev_b16 v64, 8, v26
	v_and_b32_e32 v65, 0xff, v48
	v_min_u32_e32 v30, v12, v30
	v_or_b32_e32 v67, v35, v31
	v_and_b32_e32 v66, 56, v38
	v_or_b32_e32 v52, v53, v52
	v_or_b32_e32 v53, v55, v54
	v_add_nc_u32_e32 v31, 32, v30
	v_or_b32_e32 v54, v65, v64
	v_min_u32_e32 v35, v12, v66
	v_and_b32_e32 v55, 0xffff, v67
	v_lshlrev_b32_e32 v52, 16, v52
	v_min_u32_e32 v31, v12, v31
	v_and_b32_e32 v53, 0xffff, v53
	v_lshlrev_b32_e32 v54, 16, v54
	v_sub_nc_u32_e32 v65, v30, v34
	v_or_b32_e32 v55, v55, v52
	v_sub_nc_u32_e32 v64, v31, v30
	s_mov_b32 s10, exec_lo
	v_or_b32_e32 v54, v53, v54
	v_min_u32_e32 v53, v35, v65
	s_delay_alu instid0(VALU_DEP_3)
	v_sub_nc_u32_e64 v52, v35, v64 clamp
	; wave barrier
	s_waitcnt lgkmcnt(6)
	ds_store_2addr_b64 v11, v[4:5], v[18:19] offset1:1
	s_waitcnt lgkmcnt(5)
	ds_store_2addr_b64 v11, v[28:29], v[22:23] offset0:2 offset1:3
	ds_store_b64 v27, v[54:55]
	s_waitcnt lgkmcnt(5)
	ds_store_2addr_b64 v11, v[32:33], v[16:17] offset0:4 offset1:5
	s_waitcnt lgkmcnt(4)
	ds_store_2addr_b64 v11, v[20:21], v[14:15] offset0:6 offset1:7
	; wave barrier
	v_cmpx_lt_u32_e64 v52, v53
	s_cbranch_execz .LBB1652_104
; %bb.101:
	v_add_nc_u32_e32 v54, v9, v34
	v_add3_u32 v55, v9, v30, v35
	s_mov_b32 s11, 0
	.p2align	6
.LBB1652_102:                           ; =>This Inner Loop Header: Depth=1
	v_add_nc_u32_e32 v64, v53, v52
	s_delay_alu instid0(VALU_DEP_1) | instskip(NEXT) | instid1(VALU_DEP_1)
	v_lshrrev_b32_e32 v64, 1, v64
	v_xad_u32 v65, v64, -1, v55
	v_add_nc_u32_e32 v66, v54, v64
	v_add_nc_u32_e32 v67, 1, v64
	ds_load_u8 v65, v65
	ds_load_u8 v66, v66
	s_waitcnt lgkmcnt(1)
	v_and_b32_e32 v65, v65, v13
	s_waitcnt lgkmcnt(0)
	v_and_b32_e32 v66, v66, v13
	s_delay_alu instid0(VALU_DEP_1) | instskip(NEXT) | instid1(VALU_DEP_1)
	v_cmp_gt_u16_e64 s7, v66, v65
	v_cndmask_b32_e64 v53, v53, v64, s7
	v_cndmask_b32_e64 v52, v67, v52, s7
	s_delay_alu instid0(VALU_DEP_1) | instskip(NEXT) | instid1(VALU_DEP_1)
	v_cmp_ge_u32_e64 s7, v52, v53
	s_or_b32 s11, s7, s11
	s_delay_alu instid0(SALU_CYCLE_1)
	s_and_not1_b32 exec_lo, exec_lo, s11
	s_cbranch_execnz .LBB1652_102
; %bb.103:
	s_or_b32 exec_lo, exec_lo, s11
.LBB1652_104:
	s_delay_alu instid0(SALU_CYCLE_1) | instskip(SKIP_2) | instid1(VALU_DEP_2)
	s_or_b32 exec_lo, exec_lo, s10
	v_add_nc_u32_e32 v53, v30, v35
	v_add_nc_u32_e32 v35, v52, v34
	v_sub_nc_u32_e32 v34, v53, v52
	s_delay_alu instid0(VALU_DEP_2) | instskip(NEXT) | instid1(VALU_DEP_2)
	v_cmp_le_u32_e64 s7, v35, v30
	v_cmp_le_u32_e64 s10, v34, v31
	s_delay_alu instid0(VALU_DEP_1) | instskip(NEXT) | instid1(SALU_CYCLE_1)
	s_or_b32 s7, s7, s10
	s_and_saveexec_b32 s22, s7
	s_cbranch_execz .LBB1652_110
; %bb.105:
	v_cmp_lt_u32_e64 s7, v35, v30
                                        ; implicit-def: $vgpr24
	s_delay_alu instid0(VALU_DEP_1)
	s_and_saveexec_b32 s10, s7
	s_cbranch_execz .LBB1652_107
; %bb.106:
	v_add_nc_u32_e32 v4, v9, v35
	ds_load_u8 v24, v4
.LBB1652_107:
	s_or_b32 exec_lo, exec_lo, s10
	v_cmp_ge_u32_e64 s10, v34, v31
	s_mov_b32 s14, exec_lo
                                        ; implicit-def: $vgpr25
	v_cmpx_lt_u32_e64 v34, v31
	s_cbranch_execz .LBB1652_109
; %bb.108:
	v_add_nc_u32_e32 v4, v9, v34
	ds_load_u8 v25, v4
.LBB1652_109:
	s_or_b32 exec_lo, exec_lo, s14
	s_waitcnt lgkmcnt(0)
	v_and_b32_e32 v4, v25, v13
	v_and_b32_e32 v5, v24, v13
	s_delay_alu instid0(VALU_DEP_1) | instskip(NEXT) | instid1(VALU_DEP_1)
	v_cmp_le_u16_e64 s11, v5, v4
	s_and_b32 s7, s7, s11
	s_delay_alu instid0(SALU_CYCLE_1) | instskip(NEXT) | instid1(SALU_CYCLE_1)
	s_or_b32 s7, s10, s7
	v_cndmask_b32_e64 v4, v34, v35, s7
	v_cndmask_b32_e64 v5, v31, v30, s7
	s_delay_alu instid0(VALU_DEP_2) | instskip(NEXT) | instid1(VALU_DEP_2)
	v_add_nc_u32_e32 v14, 1, v4
	v_add_nc_u32_e32 v5, -1, v5
	v_lshl_add_u32 v4, v4, 3, v10
	s_delay_alu instid0(VALU_DEP_2) | instskip(NEXT) | instid1(VALU_DEP_1)
	v_min_u32_e32 v5, v14, v5
	v_add_nc_u32_e32 v5, v9, v5
	ds_load_u8 v5, v5
	s_waitcnt lgkmcnt(0)
	v_cndmask_b32_e64 v26, v5, v25, s7
	v_cndmask_b32_e64 v39, v24, v5, s7
	;; [unrolled: 1-line block ×5, first 2 shown]
	v_and_b32_e32 v15, v26, v13
	v_and_b32_e32 v16, v39, v13
	v_cmp_lt_u32_e64 s10, v5, v30
	v_cmp_ge_u32_e64 s14, v14, v31
	s_delay_alu instid0(VALU_DEP_3) | instskip(NEXT) | instid1(VALU_DEP_1)
	v_cmp_le_u16_e64 s11, v16, v15
	s_and_b32 s10, s11, s10
	s_delay_alu instid0(VALU_DEP_2) | instid1(SALU_CYCLE_1)
	s_or_b32 s10, s14, s10
	s_delay_alu instid0(SALU_CYCLE_1) | instskip(SKIP_1) | instid1(VALU_DEP_2)
	v_cndmask_b32_e64 v15, v14, v5, s10
	v_cndmask_b32_e64 v16, v31, v30, s10
	v_add_nc_u32_e32 v17, 1, v15
	s_delay_alu instid0(VALU_DEP_2) | instskip(SKIP_1) | instid1(VALU_DEP_3)
	v_add_nc_u32_e32 v16, -1, v16
	v_lshl_add_u32 v15, v15, 3, v10
	v_cndmask_b32_e64 v5, v5, v17, s10
	s_delay_alu instid0(VALU_DEP_3) | instskip(SKIP_1) | instid1(VALU_DEP_3)
	v_min_u32_e32 v16, v17, v16
	v_cndmask_b32_e64 v14, v17, v14, s10
	v_cmp_lt_u32_e64 s11, v5, v30
	s_delay_alu instid0(VALU_DEP_3) | instskip(NEXT) | instid1(VALU_DEP_3)
	v_add_nc_u32_e32 v16, v9, v16
	v_cmp_ge_u32_e64 s15, v14, v31
	ds_load_u8 v16, v16
	s_waitcnt lgkmcnt(0)
	v_cndmask_b32_e64 v34, v16, v26, s10
	v_cndmask_b32_e64 v35, v39, v16, s10
	;; [unrolled: 1-line block ×3, first 2 shown]
	s_delay_alu instid0(VALU_DEP_3) | instskip(NEXT) | instid1(VALU_DEP_3)
	v_and_b32_e32 v16, v34, v13
	v_and_b32_e32 v18, v35, v13
	s_delay_alu instid0(VALU_DEP_1) | instskip(NEXT) | instid1(VALU_DEP_1)
	v_cmp_le_u16_e64 s14, v18, v16
	s_and_b32 s11, s14, s11
	s_delay_alu instid0(SALU_CYCLE_1) | instskip(NEXT) | instid1(SALU_CYCLE_1)
	s_or_b32 s11, s15, s11
	v_cndmask_b32_e64 v16, v14, v5, s11
	v_cndmask_b32_e64 v17, v31, v30, s11
	;; [unrolled: 1-line block ×3, first 2 shown]
	s_delay_alu instid0(VALU_DEP_3) | instskip(NEXT) | instid1(VALU_DEP_3)
	v_add_nc_u32_e32 v18, 1, v16
	v_add_nc_u32_e32 v17, -1, v17
	v_lshl_add_u32 v16, v16, 3, v10
	s_delay_alu instid0(VALU_DEP_3) | instskip(NEXT) | instid1(VALU_DEP_3)
	v_cndmask_b32_e64 v5, v5, v18, s11
	v_min_u32_e32 v17, v18, v17
	v_cndmask_b32_e64 v14, v18, v14, s11
	s_delay_alu instid0(VALU_DEP_3) | instskip(NEXT) | instid1(VALU_DEP_3)
	v_cmp_lt_u32_e64 s14, v5, v30
	v_add_nc_u32_e32 v17, v9, v17
	s_delay_alu instid0(VALU_DEP_3) | instskip(SKIP_4) | instid1(VALU_DEP_2)
	v_cmp_ge_u32_e64 s16, v14, v31
	ds_load_u8 v17, v17
	s_waitcnt lgkmcnt(0)
	v_cndmask_b32_e64 v49, v17, v34, s11
	v_cndmask_b32_e64 v50, v35, v17, s11
	v_and_b32_e32 v17, v49, v13
	s_delay_alu instid0(VALU_DEP_2) | instskip(NEXT) | instid1(VALU_DEP_1)
	v_and_b32_e32 v19, v50, v13
	v_cmp_le_u16_e64 s15, v19, v17
	s_delay_alu instid0(VALU_DEP_1) | instskip(NEXT) | instid1(SALU_CYCLE_1)
	s_and_b32 s14, s15, s14
	s_or_b32 s14, s16, s14
	s_delay_alu instid0(SALU_CYCLE_1) | instskip(SKIP_2) | instid1(VALU_DEP_3)
	v_cndmask_b32_e64 v17, v14, v5, s14
	v_cndmask_b32_e64 v18, v31, v30, s14
	;; [unrolled: 1-line block ×3, first 2 shown]
	v_add_nc_u32_e32 v19, 1, v17
	s_delay_alu instid0(VALU_DEP_3) | instskip(NEXT) | instid1(VALU_DEP_2)
	v_add_nc_u32_e32 v18, -1, v18
	v_cndmask_b32_e64 v5, v5, v19, s14
	s_delay_alu instid0(VALU_DEP_2) | instskip(SKIP_1) | instid1(VALU_DEP_3)
	v_min_u32_e32 v18, v19, v18
	v_cndmask_b32_e64 v14, v19, v14, s14
	v_cmp_lt_u32_e64 s15, v5, v30
	s_delay_alu instid0(VALU_DEP_3) | instskip(NEXT) | instid1(VALU_DEP_3)
	v_add_nc_u32_e32 v18, v9, v18
	v_cmp_ge_u32_e64 s17, v14, v31
	ds_load_u8 v18, v18
	s_waitcnt lgkmcnt(0)
	v_cndmask_b32_e64 v51, v18, v49, s14
	v_cndmask_b32_e64 v52, v50, v18, s14
	s_delay_alu instid0(VALU_DEP_2) | instskip(NEXT) | instid1(VALU_DEP_2)
	v_and_b32_e32 v18, v51, v13
	v_and_b32_e32 v20, v52, v13
	s_delay_alu instid0(VALU_DEP_1) | instskip(NEXT) | instid1(VALU_DEP_1)
	v_cmp_le_u16_e64 s16, v20, v18
	s_and_b32 s15, s16, s15
	s_delay_alu instid0(SALU_CYCLE_1) | instskip(NEXT) | instid1(SALU_CYCLE_1)
	s_or_b32 s15, s17, s15
	v_cndmask_b32_e64 v20, v14, v5, s15
	v_cndmask_b32_e64 v18, v31, v30, s15
	;; [unrolled: 1-line block ×3, first 2 shown]
	s_delay_alu instid0(VALU_DEP_3) | instskip(NEXT) | instid1(VALU_DEP_3)
	v_add_nc_u32_e32 v19, 1, v20
	v_add_nc_u32_e32 v18, -1, v18
	s_delay_alu instid0(VALU_DEP_2) | instskip(NEXT) | instid1(VALU_DEP_2)
	v_cndmask_b32_e64 v5, v5, v19, s15
	v_min_u32_e32 v18, v19, v18
	v_cndmask_b32_e64 v14, v19, v14, s15
	s_delay_alu instid0(VALU_DEP_3) | instskip(NEXT) | instid1(VALU_DEP_3)
	v_cmp_lt_u32_e64 s16, v5, v30
	v_add_nc_u32_e32 v18, v9, v18
	s_delay_alu instid0(VALU_DEP_3) | instskip(SKIP_4) | instid1(VALU_DEP_2)
	v_cmp_ge_u32_e64 s18, v14, v31
	ds_load_u8 v18, v18
	s_waitcnt lgkmcnt(0)
	v_cndmask_b32_e64 v53, v18, v51, s15
	v_cndmask_b32_e64 v54, v52, v18, s15
	v_and_b32_e32 v18, v53, v13
	s_delay_alu instid0(VALU_DEP_2) | instskip(NEXT) | instid1(VALU_DEP_1)
	v_and_b32_e32 v21, v54, v13
	v_cmp_le_u16_e64 s17, v21, v18
	s_delay_alu instid0(VALU_DEP_1) | instskip(NEXT) | instid1(SALU_CYCLE_1)
	s_and_b32 s16, s17, s16
	s_or_b32 s16, s18, s16
	s_delay_alu instid0(SALU_CYCLE_1) | instskip(SKIP_2) | instid1(VALU_DEP_3)
	v_cndmask_b32_e64 v21, v14, v5, s16
	v_cndmask_b32_e64 v18, v31, v30, s16
	;; [unrolled: 1-line block ×3, first 2 shown]
	v_add_nc_u32_e32 v19, 1, v21
	s_delay_alu instid0(VALU_DEP_3) | instskip(NEXT) | instid1(VALU_DEP_2)
	v_add_nc_u32_e32 v18, -1, v18
	v_cndmask_b32_e64 v5, v5, v19, s16
	s_delay_alu instid0(VALU_DEP_2) | instskip(SKIP_1) | instid1(VALU_DEP_3)
	v_min_u32_e32 v18, v19, v18
	v_cndmask_b32_e64 v14, v19, v14, s16
	v_cmp_lt_u32_e64 s17, v5, v30
	s_delay_alu instid0(VALU_DEP_3) | instskip(NEXT) | instid1(VALU_DEP_3)
	v_add_nc_u32_e32 v18, v9, v18
	v_cmp_ge_u32_e64 s19, v14, v31
	ds_load_u8 v18, v18
	s_waitcnt lgkmcnt(0)
	v_cndmask_b32_e64 v55, v18, v53, s16
	v_cndmask_b32_e64 v64, v54, v18, s16
	s_delay_alu instid0(VALU_DEP_2) | instskip(NEXT) | instid1(VALU_DEP_2)
	v_and_b32_e32 v18, v55, v13
	v_and_b32_e32 v22, v64, v13
	s_delay_alu instid0(VALU_DEP_1) | instskip(NEXT) | instid1(VALU_DEP_1)
	v_cmp_le_u16_e64 s18, v22, v18
	s_and_b32 s17, s18, s17
	s_delay_alu instid0(SALU_CYCLE_1) | instskip(NEXT) | instid1(SALU_CYCLE_1)
	s_or_b32 s17, s19, s17
	v_cndmask_b32_e64 v22, v14, v5, s17
	v_cndmask_b32_e64 v18, v31, v30, s17
	;; [unrolled: 1-line block ×3, first 2 shown]
	s_delay_alu instid0(VALU_DEP_3) | instskip(NEXT) | instid1(VALU_DEP_3)
	v_add_nc_u32_e32 v19, 1, v22
	v_add_nc_u32_e32 v18, -1, v18
	s_delay_alu instid0(VALU_DEP_2) | instskip(NEXT) | instid1(VALU_DEP_2)
	v_cndmask_b32_e64 v23, v5, v19, s17
	v_min_u32_e32 v18, v19, v18
	v_cndmask_b32_e64 v14, v19, v14, s17
	s_delay_alu instid0(VALU_DEP_3) | instskip(NEXT) | instid1(VALU_DEP_3)
	v_cmp_lt_u32_e64 s18, v23, v30
	v_add_nc_u32_e32 v18, v9, v18
	s_delay_alu instid0(VALU_DEP_3) | instskip(SKIP_4) | instid1(VALU_DEP_2)
	v_cmp_ge_u32_e64 s20, v14, v31
	ds_load_u8 v18, v18
	s_waitcnt lgkmcnt(0)
	v_cndmask_b32_e64 v65, v18, v55, s17
	v_cndmask_b32_e64 v66, v64, v18, s17
	v_and_b32_e32 v5, v65, v13
	s_delay_alu instid0(VALU_DEP_2) | instskip(NEXT) | instid1(VALU_DEP_1)
	v_and_b32_e32 v18, v66, v13
	v_cmp_le_u16_e64 s19, v18, v5
	ds_load_b64 v[4:5], v4 offset:2048
	ds_load_b64 v[18:19], v15 offset:2048
	v_lshl_add_u32 v15, v17, 3, v10
	ds_load_b64 v[28:29], v16 offset:2048
	v_lshl_add_u32 v16, v20, 3, v10
	s_and_b32 s18, s19, s18
	v_lshl_add_u32 v17, v21, 3, v10
	s_or_b32 s18, s20, s18
	v_lshl_add_u32 v20, v22, 3, v10
	v_cndmask_b32_e64 v14, v14, v23, s18
	v_cndmask_b32_e64 v50, v65, v66, s18
	s_delay_alu instid0(VALU_DEP_2)
	v_lshl_add_u32 v14, v14, 3, v10
	ds_load_b64 v[22:23], v15 offset:2048
	ds_load_b64 v[32:33], v16 offset:2048
	;; [unrolled: 1-line block ×5, first 2 shown]
.LBB1652_110:
	s_or_b32 exec_lo, exec_lo, s22
	v_and_b32_e32 v31, 0x80, v38
	v_lshlrev_b16 v35, 8, v51
	v_and_b32_e32 v38, 0xff, v25
	v_lshlrev_b16 v52, 8, v50
	v_and_b32_e32 v53, 0xff, v49
	v_or_b32_e32 v30, 64, v31
	v_lshlrev_b16 v54, 8, v39
	v_and_b32_e32 v55, 0xff, v24
	v_lshlrev_b16 v64, 8, v26
	v_and_b32_e32 v65, 0xff, v48
	v_min_u32_e32 v30, v12, v30
	v_min_u32_e32 v34, v12, v36
	v_or_b32_e32 v35, v38, v35
	v_or_b32_e32 v38, v53, v52
	;; [unrolled: 1-line block ×3, first 2 shown]
	v_add_nc_u32_e32 v66, 64, v30
	v_or_b32_e32 v53, v65, v64
	v_and_b32_e32 v35, 0xffff, v35
	v_lshlrev_b32_e32 v38, 16, v38
	v_sub_nc_u32_e32 v64, v30, v31
	v_min_u32_e32 v12, v12, v66
	v_and_b32_e32 v52, 0xffff, v52
	v_lshlrev_b32_e32 v54, 16, v53
	v_or_b32_e32 v53, v35, v38
	v_min_u32_e32 v38, v34, v64
	v_sub_nc_u32_e32 v55, v12, v30
	s_mov_b32 s10, exec_lo
	v_or_b32_e32 v52, v52, v54
	; wave barrier
	s_delay_alu instid0(VALU_DEP_2)
	v_sub_nc_u32_e64 v35, v34, v55 clamp
	s_waitcnt lgkmcnt(6)
	ds_store_2addr_b64 v11, v[4:5], v[18:19] offset1:1
	s_waitcnt lgkmcnt(5)
	ds_store_2addr_b64 v11, v[28:29], v[22:23] offset0:2 offset1:3
	ds_store_b64 v27, v[52:53]
	s_waitcnt lgkmcnt(5)
	ds_store_2addr_b64 v11, v[32:33], v[16:17] offset0:4 offset1:5
	s_waitcnt lgkmcnt(4)
	ds_store_2addr_b64 v11, v[20:21], v[14:15] offset0:6 offset1:7
	; wave barrier
	v_cmpx_lt_u32_e64 v35, v38
	s_cbranch_execz .LBB1652_114
; %bb.111:
	v_add_nc_u32_e32 v11, v9, v31
	v_add3_u32 v27, v9, v30, v34
	s_mov_b32 s11, 0
	.p2align	6
.LBB1652_112:                           ; =>This Inner Loop Header: Depth=1
	v_add_nc_u32_e32 v52, v38, v35
	s_delay_alu instid0(VALU_DEP_1) | instskip(NEXT) | instid1(VALU_DEP_1)
	v_lshrrev_b32_e32 v52, 1, v52
	v_xad_u32 v53, v52, -1, v27
	v_add_nc_u32_e32 v54, v11, v52
	v_add_nc_u32_e32 v55, 1, v52
	ds_load_u8 v53, v53
	ds_load_u8 v54, v54
	s_waitcnt lgkmcnt(1)
	v_and_b32_e32 v53, v53, v13
	s_waitcnt lgkmcnt(0)
	v_and_b32_e32 v54, v54, v13
	s_delay_alu instid0(VALU_DEP_1) | instskip(NEXT) | instid1(VALU_DEP_1)
	v_cmp_gt_u16_e64 s7, v54, v53
	v_cndmask_b32_e64 v38, v38, v52, s7
	v_cndmask_b32_e64 v35, v55, v35, s7
	s_delay_alu instid0(VALU_DEP_1) | instskip(NEXT) | instid1(VALU_DEP_1)
	v_cmp_ge_u32_e64 s7, v35, v38
	s_or_b32 s11, s7, s11
	s_delay_alu instid0(SALU_CYCLE_1)
	s_and_not1_b32 exec_lo, exec_lo, s11
	s_cbranch_execnz .LBB1652_112
; %bb.113:
	s_or_b32 exec_lo, exec_lo, s11
.LBB1652_114:
	s_delay_alu instid0(SALU_CYCLE_1) | instskip(SKIP_2) | instid1(VALU_DEP_2)
	s_or_b32 exec_lo, exec_lo, s10
	v_add_nc_u32_e32 v11, v30, v34
	v_add_nc_u32_e32 v31, v35, v31
	v_sub_nc_u32_e32 v27, v11, v35
	s_delay_alu instid0(VALU_DEP_2) | instskip(NEXT) | instid1(VALU_DEP_2)
	v_cmp_le_u32_e64 s7, v31, v30
	v_cmp_le_u32_e64 s10, v27, v12
	s_delay_alu instid0(VALU_DEP_1) | instskip(NEXT) | instid1(SALU_CYCLE_1)
	s_or_b32 s7, s7, s10
	s_and_saveexec_b32 s22, s7
	s_cbranch_execz .LBB1652_120
; %bb.115:
	v_cmp_lt_u32_e64 s7, v31, v30
                                        ; implicit-def: $vgpr11
	s_delay_alu instid0(VALU_DEP_1)
	s_and_saveexec_b32 s10, s7
	s_cbranch_execz .LBB1652_117
; %bb.116:
	v_add_nc_u32_e32 v4, v9, v31
	ds_load_u8 v11, v4
.LBB1652_117:
	s_or_b32 exec_lo, exec_lo, s10
	v_cmp_ge_u32_e64 s10, v27, v12
	s_mov_b32 s14, exec_lo
                                        ; implicit-def: $vgpr24
	v_cmpx_lt_u32_e64 v27, v12
	s_cbranch_execz .LBB1652_119
; %bb.118:
	v_add_nc_u32_e32 v4, v9, v27
	ds_load_u8 v24, v4
.LBB1652_119:
	s_or_b32 exec_lo, exec_lo, s14
	s_waitcnt lgkmcnt(0)
	v_and_b32_e32 v4, v24, v13
	v_and_b32_e32 v5, v11, v13
	s_delay_alu instid0(VALU_DEP_1) | instskip(NEXT) | instid1(VALU_DEP_1)
	v_cmp_le_u16_e64 s11, v5, v4
	s_and_b32 s7, s7, s11
	s_delay_alu instid0(SALU_CYCLE_1) | instskip(NEXT) | instid1(SALU_CYCLE_1)
	s_or_b32 s7, s10, s7
	v_cndmask_b32_e64 v4, v27, v31, s7
	v_cndmask_b32_e64 v5, v12, v30, s7
	s_delay_alu instid0(VALU_DEP_2) | instskip(NEXT) | instid1(VALU_DEP_2)
	v_add_nc_u32_e32 v14, 1, v4
	v_add_nc_u32_e32 v5, -1, v5
	v_lshl_add_u32 v4, v4, 3, v10
	s_delay_alu instid0(VALU_DEP_2) | instskip(NEXT) | instid1(VALU_DEP_1)
	v_min_u32_e32 v5, v14, v5
	v_add_nc_u32_e32 v5, v9, v5
	ds_load_u8 v5, v5
	s_waitcnt lgkmcnt(0)
	v_cndmask_b32_e64 v25, v5, v24, s7
	v_cndmask_b32_e64 v26, v11, v5, s7
	;; [unrolled: 1-line block ×5, first 2 shown]
	v_and_b32_e32 v15, v25, v13
	v_and_b32_e32 v16, v26, v13
	v_cmp_lt_u32_e64 s10, v5, v30
	v_cmp_ge_u32_e64 s14, v14, v12
	s_delay_alu instid0(VALU_DEP_3) | instskip(NEXT) | instid1(VALU_DEP_1)
	v_cmp_le_u16_e64 s11, v16, v15
	s_and_b32 s10, s11, s10
	s_delay_alu instid0(VALU_DEP_2) | instid1(SALU_CYCLE_1)
	s_or_b32 s10, s14, s10
	s_delay_alu instid0(SALU_CYCLE_1) | instskip(SKIP_2) | instid1(VALU_DEP_3)
	v_cndmask_b32_e64 v15, v14, v5, s10
	v_cndmask_b32_e64 v16, v12, v30, s10
	;; [unrolled: 1-line block ×3, first 2 shown]
	v_add_nc_u32_e32 v17, 1, v15
	s_delay_alu instid0(VALU_DEP_3) | instskip(SKIP_1) | instid1(VALU_DEP_3)
	v_add_nc_u32_e32 v16, -1, v16
	v_lshl_add_u32 v15, v15, 3, v10
	v_cndmask_b32_e64 v5, v5, v17, s10
	s_delay_alu instid0(VALU_DEP_3) | instskip(SKIP_1) | instid1(VALU_DEP_3)
	v_min_u32_e32 v16, v17, v16
	v_cndmask_b32_e64 v14, v17, v14, s10
	v_cmp_lt_u32_e64 s11, v5, v30
	s_delay_alu instid0(VALU_DEP_3) | instskip(NEXT) | instid1(VALU_DEP_3)
	v_add_nc_u32_e32 v16, v9, v16
	v_cmp_ge_u32_e64 s15, v14, v12
	ds_load_u8 v16, v16
	s_waitcnt lgkmcnt(0)
	v_cndmask_b32_e64 v27, v16, v25, s10
	v_cndmask_b32_e64 v31, v26, v16, s10
	s_delay_alu instid0(VALU_DEP_2) | instskip(NEXT) | instid1(VALU_DEP_2)
	v_and_b32_e32 v16, v27, v13
	v_and_b32_e32 v18, v31, v13
	s_delay_alu instid0(VALU_DEP_1) | instskip(NEXT) | instid1(VALU_DEP_1)
	v_cmp_le_u16_e64 s14, v18, v16
	s_and_b32 s11, s14, s11
	s_delay_alu instid0(SALU_CYCLE_1) | instskip(NEXT) | instid1(SALU_CYCLE_1)
	s_or_b32 s11, s15, s11
	v_cndmask_b32_e64 v16, v14, v5, s11
	v_cndmask_b32_e64 v17, v12, v30, s11
	;; [unrolled: 1-line block ×3, first 2 shown]
	s_delay_alu instid0(VALU_DEP_3) | instskip(NEXT) | instid1(VALU_DEP_3)
	v_add_nc_u32_e32 v18, 1, v16
	v_add_nc_u32_e32 v17, -1, v17
	s_delay_alu instid0(VALU_DEP_2) | instskip(NEXT) | instid1(VALU_DEP_2)
	v_cndmask_b32_e64 v5, v5, v18, s11
	v_min_u32_e32 v17, v18, v17
	v_cndmask_b32_e64 v14, v18, v14, s11
	s_delay_alu instid0(VALU_DEP_3) | instskip(NEXT) | instid1(VALU_DEP_3)
	v_cmp_lt_u32_e64 s14, v5, v30
	v_add_nc_u32_e32 v17, v9, v17
	s_delay_alu instid0(VALU_DEP_3) | instskip(SKIP_4) | instid1(VALU_DEP_2)
	v_cmp_ge_u32_e64 s16, v14, v12
	ds_load_u8 v17, v17
	s_waitcnt lgkmcnt(0)
	v_cndmask_b32_e64 v34, v17, v27, s11
	v_cndmask_b32_e64 v35, v31, v17, s11
	v_and_b32_e32 v17, v34, v13
	s_delay_alu instid0(VALU_DEP_2) | instskip(NEXT) | instid1(VALU_DEP_1)
	v_and_b32_e32 v19, v35, v13
	v_cmp_le_u16_e64 s15, v19, v17
	s_delay_alu instid0(VALU_DEP_1) | instskip(NEXT) | instid1(SALU_CYCLE_1)
	s_and_b32 s14, s15, s14
	s_or_b32 s14, s16, s14
	s_delay_alu instid0(SALU_CYCLE_1) | instskip(SKIP_2) | instid1(VALU_DEP_3)
	v_cndmask_b32_e64 v17, v14, v5, s14
	v_cndmask_b32_e64 v18, v12, v30, s14
	;; [unrolled: 1-line block ×3, first 2 shown]
	v_add_nc_u32_e32 v19, 1, v17
	s_delay_alu instid0(VALU_DEP_3) | instskip(NEXT) | instid1(VALU_DEP_2)
	v_add_nc_u32_e32 v18, -1, v18
	v_cndmask_b32_e64 v5, v5, v19, s14
	s_delay_alu instid0(VALU_DEP_2) | instskip(SKIP_1) | instid1(VALU_DEP_3)
	v_min_u32_e32 v18, v19, v18
	v_cndmask_b32_e64 v14, v19, v14, s14
	v_cmp_lt_u32_e64 s15, v5, v30
	s_delay_alu instid0(VALU_DEP_3) | instskip(NEXT) | instid1(VALU_DEP_3)
	v_add_nc_u32_e32 v18, v9, v18
	v_cmp_ge_u32_e64 s17, v14, v12
	ds_load_u8 v18, v18
	s_waitcnt lgkmcnt(0)
	v_cndmask_b32_e64 v38, v18, v34, s14
	v_cndmask_b32_e64 v49, v35, v18, s14
	s_delay_alu instid0(VALU_DEP_2) | instskip(NEXT) | instid1(VALU_DEP_2)
	v_and_b32_e32 v18, v38, v13
	v_and_b32_e32 v20, v49, v13
	s_delay_alu instid0(VALU_DEP_1) | instskip(NEXT) | instid1(VALU_DEP_1)
	v_cmp_le_u16_e64 s16, v20, v18
	s_and_b32 s15, s16, s15
	s_delay_alu instid0(SALU_CYCLE_1) | instskip(NEXT) | instid1(SALU_CYCLE_1)
	s_or_b32 s15, s17, s15
	v_cndmask_b32_e64 v20, v14, v5, s15
	v_cndmask_b32_e64 v18, v12, v30, s15
	;; [unrolled: 1-line block ×3, first 2 shown]
	s_delay_alu instid0(VALU_DEP_3) | instskip(NEXT) | instid1(VALU_DEP_3)
	v_add_nc_u32_e32 v19, 1, v20
	v_add_nc_u32_e32 v18, -1, v18
	s_delay_alu instid0(VALU_DEP_2) | instskip(NEXT) | instid1(VALU_DEP_2)
	v_cndmask_b32_e64 v5, v5, v19, s15
	v_min_u32_e32 v18, v19, v18
	v_cndmask_b32_e64 v14, v19, v14, s15
	s_delay_alu instid0(VALU_DEP_3) | instskip(NEXT) | instid1(VALU_DEP_3)
	v_cmp_lt_u32_e64 s16, v5, v30
	v_add_nc_u32_e32 v18, v9, v18
	s_delay_alu instid0(VALU_DEP_3) | instskip(SKIP_4) | instid1(VALU_DEP_2)
	v_cmp_ge_u32_e64 s18, v14, v12
	ds_load_u8 v18, v18
	s_waitcnt lgkmcnt(0)
	v_cndmask_b32_e64 v50, v18, v38, s15
	v_cndmask_b32_e64 v51, v49, v18, s15
	v_and_b32_e32 v18, v50, v13
	s_delay_alu instid0(VALU_DEP_2) | instskip(NEXT) | instid1(VALU_DEP_1)
	v_and_b32_e32 v21, v51, v13
	v_cmp_le_u16_e64 s17, v21, v18
	s_delay_alu instid0(VALU_DEP_1) | instskip(NEXT) | instid1(SALU_CYCLE_1)
	s_and_b32 s16, s17, s16
	s_or_b32 s16, s18, s16
	s_delay_alu instid0(SALU_CYCLE_1) | instskip(SKIP_1) | instid1(VALU_DEP_2)
	v_cndmask_b32_e64 v21, v14, v5, s16
	v_cndmask_b32_e64 v18, v12, v30, s16
	v_add_nc_u32_e32 v19, 1, v21
	s_delay_alu instid0(VALU_DEP_2) | instskip(NEXT) | instid1(VALU_DEP_2)
	v_add_nc_u32_e32 v18, -1, v18
	v_cndmask_b32_e64 v5, v5, v19, s16
	s_delay_alu instid0(VALU_DEP_2) | instskip(SKIP_1) | instid1(VALU_DEP_3)
	v_min_u32_e32 v18, v19, v18
	v_cndmask_b32_e64 v14, v19, v14, s16
	v_cmp_lt_u32_e64 s17, v5, v30
	s_delay_alu instid0(VALU_DEP_3) | instskip(NEXT) | instid1(VALU_DEP_3)
	v_add_nc_u32_e32 v18, v9, v18
	v_cmp_ge_u32_e64 s19, v14, v12
	ds_load_u8 v18, v18
	s_waitcnt lgkmcnt(0)
	v_cndmask_b32_e64 v52, v18, v50, s16
	v_cndmask_b32_e64 v53, v51, v18, s16
	;; [unrolled: 1-line block ×3, first 2 shown]
	s_delay_alu instid0(VALU_DEP_3) | instskip(NEXT) | instid1(VALU_DEP_3)
	v_and_b32_e32 v18, v52, v13
	v_and_b32_e32 v22, v53, v13
	s_delay_alu instid0(VALU_DEP_1) | instskip(NEXT) | instid1(VALU_DEP_1)
	v_cmp_le_u16_e64 s18, v22, v18
	s_and_b32 s17, s18, s17
	s_delay_alu instid0(SALU_CYCLE_1) | instskip(NEXT) | instid1(SALU_CYCLE_1)
	s_or_b32 s17, s19, s17
	v_cndmask_b32_e64 v22, v14, v5, s17
	v_cndmask_b32_e64 v18, v12, v30, s17
	;; [unrolled: 1-line block ×3, first 2 shown]
	s_delay_alu instid0(VALU_DEP_3) | instskip(NEXT) | instid1(VALU_DEP_3)
	v_add_nc_u32_e32 v19, 1, v22
	v_add_nc_u32_e32 v18, -1, v18
	s_delay_alu instid0(VALU_DEP_2) | instskip(NEXT) | instid1(VALU_DEP_2)
	v_cndmask_b32_e64 v23, v5, v19, s17
	v_min_u32_e32 v18, v19, v18
	v_cndmask_b32_e64 v14, v19, v14, s17
	s_delay_alu instid0(VALU_DEP_3) | instskip(NEXT) | instid1(VALU_DEP_3)
	v_cmp_lt_u32_e64 s18, v23, v30
	v_add_nc_u32_e32 v9, v9, v18
	s_delay_alu instid0(VALU_DEP_3) | instskip(SKIP_4) | instid1(VALU_DEP_2)
	v_cmp_ge_u32_e64 s20, v14, v12
	ds_load_u8 v9, v9
	s_waitcnt lgkmcnt(0)
	v_cndmask_b32_e64 v54, v9, v52, s17
	v_cndmask_b32_e64 v9, v53, v9, s17
	v_and_b32_e32 v5, v54, v13
	s_delay_alu instid0(VALU_DEP_2) | instskip(NEXT) | instid1(VALU_DEP_1)
	v_and_b32_e32 v13, v9, v13
	v_cmp_le_u16_e64 s19, v13, v5
	v_lshl_add_u32 v13, v16, 3, v10
	ds_load_b64 v[4:5], v4 offset:2048
	ds_load_b64 v[18:19], v15 offset:2048
	v_lshl_add_u32 v15, v21, 3, v10
	s_and_b32 s18, s19, s18
	ds_load_b64 v[28:29], v13 offset:2048
	s_or_b32 s18, s20, s18
	v_lshl_add_u32 v13, v17, 3, v10
	v_cndmask_b32_e64 v12, v14, v23, s18
	v_lshl_add_u32 v14, v20, 3, v10
	v_lshl_add_u32 v20, v22, 3, v10
	v_cndmask_b32_e64 v50, v54, v9, s18
	s_delay_alu instid0(VALU_DEP_4)
	v_lshl_add_u32 v10, v12, 3, v10
	ds_load_b64 v[22:23], v13 offset:2048
	ds_load_b64 v[32:33], v14 offset:2048
	;; [unrolled: 1-line block ×5, first 2 shown]
.LBB1652_120:
	s_or_b32 exec_lo, exec_lo, s22
	; wave barrier
	s_waitcnt lgkmcnt(0)
	s_waitcnt_vscnt null, 0x0
	s_barrier
                                        ; implicit-def: $vgpr38
                                        ; implicit-def: $vgpr52
                                        ; implicit-def: $vgpr9
                                        ; implicit-def: $vgpr13
                                        ; implicit-def: $vgpr12
.LBB1652_121:
	s_and_not1_saveexec_b32 s17, s21
	s_cbranch_execz .LBB1652_217
; %bb.122:
	s_load_b64 s[10:11], s[8:9], 0x0
	v_mov_b32_e32 v10, 0
	s_waitcnt vmcnt(0) lgkmcnt(0)
	v_mov_b32_e32 v24, v52
	s_cmp_lt_u32 s13, s11
	s_cselect_b32 s7, 14, 20
	s_delay_alu instid0(SALU_CYCLE_1) | instskip(SKIP_4) | instid1(SALU_CYCLE_1)
	s_add_u32 s14, s8, s7
	s_addc_u32 s15, s9, 0
	s_cmp_lt_u32 s12, s10
	global_load_u16 v11, v10, s[14:15]
	s_cselect_b32 s7, 12, 18
	s_add_u32 s8, s8, s7
	s_addc_u32 s9, s9, 0
	global_load_u16 v10, v10, s[8:9]
	s_mov_b32 s9, exec_lo
	s_waitcnt vmcnt(1)
	v_mad_u32_u24 v9, v13, v11, v9
	s_waitcnt vmcnt(0)
	s_delay_alu instid0(VALU_DEP_1) | instskip(NEXT) | instid1(VALU_DEP_1)
	v_mul_lo_u32 v9, v9, v10
	v_add_lshl_u32 v13, v9, v12, 3
	s_delay_alu instid0(VALU_DEP_1)
	v_cmpx_gt_u32_e32 0x800, v13
	s_cbranch_execz .LBB1652_176
; %bb.123:
	v_dual_mov_b32 v9, v18 :: v_dual_and_b32 v12, 0xff, v52
	v_dual_mov_b32 v10, v19 :: v_dual_and_b32 v11, 0xff, v39
	v_mov_b32_e32 v53, v52
	v_mov_b32_e32 v55, v39
	s_mov_b32 s8, exec_lo
	s_delay_alu instid0(VALU_DEP_3)
	v_cmpx_gt_u16_e64 v12, v11
; %bb.124:
	v_dual_mov_b32 v11, v52 :: v_dual_mov_b32 v10, v5
	v_mov_b32_e32 v53, 0
	v_dual_mov_b32 v9, v4 :: v_dual_mov_b32 v4, v18
	v_swap_b32 v52, v39
	v_mov_b32_e32 v55, 1
	v_mov_b32_e32 v5, v19
; %bb.125:
	s_or_b32 exec_lo, exec_lo, s8
	v_dual_mov_b32 v31, v23 :: v_dual_and_b32 v12, 0xff, v26
	v_dual_mov_b32 v30, v22 :: v_dual_and_b32 v11, 0xff, v48
	v_dual_mov_b32 v24, v26 :: v_dual_mov_b32 v65, v48
	s_mov_b32 s8, exec_lo
	s_delay_alu instid0(VALU_DEP_2)
	v_cmpx_gt_u16_e64 v11, v12
; %bb.126:
	v_mov_b32_e32 v31, v29
	v_dual_mov_b32 v11, v48 :: v_dual_mov_b32 v24, 1
	v_dual_mov_b32 v65, 0 :: v_dual_mov_b32 v30, v28
	v_mov_b32_e32 v29, v23
	v_swap_b32 v48, v26
	v_mov_b32_e32 v28, v22
; %bb.127:
	s_or_b32 exec_lo, exec_lo, s8
	v_dual_mov_b32 v11, v32 :: v_dual_and_b32 v18, 0xff, v25
	v_dual_mov_b32 v12, v33 :: v_dual_and_b32 v19, 0xff, v51
	v_mov_b32_e32 v54, v51
	v_mov_b32_e32 v66, v25
	s_mov_b32 s8, exec_lo
	s_delay_alu instid0(VALU_DEP_3)
	v_cmpx_gt_u16_e64 v18, v19
; %bb.128:
	v_dual_mov_b32 v18, v25 :: v_dual_mov_b32 v11, v16
	v_mov_b32_e32 v12, v17
	v_mov_b32_e32 v16, v32
	v_swap_b32 v25, v51
	v_dual_mov_b32 v54, 1 :: v_dual_mov_b32 v17, v33
	v_mov_b32_e32 v66, 0
; %bb.129:
	s_or_b32 exec_lo, exec_lo, s8
	v_dual_mov_b32 v18, v20 :: v_dual_and_b32 v23, 0xff, v50
	v_dual_mov_b32 v19, v21 :: v_dual_and_b32 v22, 0xff, v49
	v_dual_mov_b32 v67, v50 :: v_dual_mov_b32 v64, v49
	s_mov_b32 s8, exec_lo
	s_delay_alu instid0(VALU_DEP_2)
	v_cmpx_gt_u16_e64 v22, v23
; %bb.130:
	v_dual_mov_b32 v64, 0 :: v_dual_mov_b32 v19, v15
	v_dual_mov_b32 v22, v49 :: v_dual_mov_b32 v67, 1
	v_mov_b32_e32 v18, v14
	v_dual_mov_b32 v14, v20 :: v_dual_mov_b32 v15, v21
	v_swap_b32 v49, v50
; %bb.131:
	s_or_b32 exec_lo, exec_lo, s8
	v_and_b32_e32 v20, 0xff, v65
	v_and_b32_e32 v21, 0xff, v55
	s_delay_alu instid0(VALU_DEP_1) | instskip(SKIP_1) | instid1(VALU_DEP_2)
	v_cmp_gt_u16_e64 s7, v21, v20
	v_dual_mov_b32 v20, v28 :: v_dual_mov_b32 v21, v29
	s_and_saveexec_b32 s8, s7
	s_delay_alu instid0(SALU_CYCLE_1)
	s_xor_b32 s7, exec_lo, s8
; %bb.132:
	v_dual_mov_b32 v21, v10 :: v_dual_mov_b32 v20, v9
	v_dual_mov_b32 v9, v28 :: v_dual_mov_b32 v10, v29
	;; [unrolled: 1-line block ×3, first 2 shown]
	v_mov_b32_e32 v65, 1
	v_mov_b32_e32 v55, 0
; %bb.133:
	s_or_b32 exec_lo, exec_lo, s7
	v_dual_mov_b32 v33, v31 :: v_dual_and_b32 v22, 0xff, v66
	v_dual_mov_b32 v32, v30 :: v_dual_and_b32 v23, 0xff, v24
	s_mov_b32 s8, exec_lo
	s_delay_alu instid0(VALU_DEP_1)
	v_cmpx_gt_u16_e64 v23, v22
; %bb.134:
	v_dual_mov_b32 v33, v12 :: v_dual_mov_b32 v32, v11
	v_dual_mov_b32 v11, v30 :: v_dual_mov_b32 v12, v31
	;; [unrolled: 1-line block ×3, first 2 shown]
	v_mov_b32_e32 v66, 1
	v_mov_b32_e32 v24, 0
; %bb.135:
	s_or_b32 exec_lo, exec_lo, s8
	v_and_b32_e32 v22, 0xff, v64
	v_and_b32_e32 v23, 0xff, v54
	s_delay_alu instid0(VALU_DEP_1) | instskip(SKIP_1) | instid1(VALU_DEP_2)
	v_cmp_gt_u16_e64 s7, v23, v22
	v_dual_mov_b32 v23, v17 :: v_dual_mov_b32 v22, v16
	s_and_saveexec_b32 s8, s7
; %bb.136:
	v_dual_mov_b32 v23, v19 :: v_dual_mov_b32 v22, v18
	v_dual_mov_b32 v19, v17 :: v_dual_mov_b32 v18, v16
	;; [unrolled: 1-line block ×4, first 2 shown]
; %bb.137:
	s_or_b32 exec_lo, exec_lo, s8
	v_and_b32_e32 v16, 0xff, v55
	v_and_b32_e32 v17, 0xff, v53
	s_delay_alu instid0(VALU_DEP_1) | instskip(SKIP_1) | instid1(VALU_DEP_2)
	v_cmp_gt_u16_e64 s7, v17, v16
	v_dual_mov_b32 v17, v10 :: v_dual_mov_b32 v16, v9
	s_and_saveexec_b32 s8, s7
; %bb.138:
	v_dual_mov_b32 v17, v5 :: v_dual_mov_b32 v16, v4
	v_dual_mov_b32 v4, v9 :: v_dual_mov_b32 v5, v10
	;; [unrolled: 1-line block ×3, first 2 shown]
	v_mov_b32_e32 v53, 0
	v_mov_b32_e32 v55, 1
; %bb.139:
	s_or_b32 exec_lo, exec_lo, s8
	v_dual_mov_b32 v27, v32 :: v_dual_and_b32 v10, 0xff, v65
	v_dual_mov_b32 v28, v33 :: v_dual_and_b32 v9, 0xff, v24
	s_mov_b32 s8, exec_lo
	s_delay_alu instid0(VALU_DEP_1)
	v_cmpx_gt_u16_e64 v10, v9
; %bb.140:
	v_dual_mov_b32 v28, v21 :: v_dual_mov_b32 v27, v20
	v_dual_mov_b32 v20, v32 :: v_dual_mov_b32 v21, v33
	v_mov_b32_e32 v48, v24
	v_dual_mov_b32 v26, v65 :: v_dual_mov_b32 v65, 0
	v_mov_b32_e32 v24, 1
; %bb.141:
	s_or_b32 exec_lo, exec_lo, s8
	v_and_b32_e32 v9, 0xff, v54
	v_and_b32_e32 v10, 0xff, v66
	s_delay_alu instid0(VALU_DEP_1) | instskip(SKIP_1) | instid1(VALU_DEP_2)
	v_cmp_gt_u16_e64 s7, v10, v9
	v_dual_mov_b32 v9, v11 :: v_dual_mov_b32 v10, v12
	s_and_saveexec_b32 s8, s7
; %bb.142:
	v_dual_mov_b32 v9, v22 :: v_dual_mov_b32 v10, v23
	v_dual_mov_b32 v23, v12 :: v_dual_mov_b32 v22, v11
	v_dual_mov_b32 v25, v54 :: v_dual_mov_b32 v54, 1
	v_dual_mov_b32 v51, v66 :: v_dual_mov_b32 v66, 0
; %bb.143:
	s_or_b32 exec_lo, exec_lo, s8
	v_and_b32_e32 v11, 0xff, v67
	v_and_b32_e32 v12, 0xff, v64
	s_delay_alu instid0(VALU_DEP_1) | instskip(SKIP_1) | instid1(VALU_DEP_2)
	v_cmp_gt_u16_e64 s7, v12, v11
	v_dual_mov_b32 v11, v18 :: v_dual_mov_b32 v12, v19
	s_and_saveexec_b32 s8, s7
; %bb.144:
	v_dual_mov_b32 v11, v14 :: v_dual_mov_b32 v12, v15
	v_dual_mov_b32 v14, v18 :: v_dual_mov_b32 v15, v19
	;; [unrolled: 1-line block ×4, first 2 shown]
; %bb.145:
	s_or_b32 exec_lo, exec_lo, s8
	v_and_b32_e32 v18, 0xff, v65
	v_and_b32_e32 v19, 0xff, v55
	s_delay_alu instid0(VALU_DEP_1) | instskip(SKIP_1) | instid1(VALU_DEP_2)
	v_cmp_gt_u16_e64 s7, v19, v18
	v_dual_mov_b32 v18, v20 :: v_dual_mov_b32 v19, v21
	s_and_saveexec_b32 s8, s7
; %bb.146:
	v_dual_mov_b32 v19, v17 :: v_dual_mov_b32 v18, v16
	v_dual_mov_b32 v16, v20 :: v_dual_mov_b32 v17, v21
	;; [unrolled: 1-line block ×3, first 2 shown]
	v_mov_b32_e32 v65, 1
	v_mov_b32_e32 v55, 0
; %bb.147:
	s_or_b32 exec_lo, exec_lo, s8
	v_dual_mov_b32 v30, v28 :: v_dual_and_b32 v21, 0xff, v24
	v_dual_mov_b32 v29, v27 :: v_dual_and_b32 v20, 0xff, v66
	s_mov_b32 s8, exec_lo
	s_delay_alu instid0(VALU_DEP_1)
	v_cmpx_gt_u16_e64 v21, v20
; %bb.148:
	v_dual_mov_b32 v30, v10 :: v_dual_mov_b32 v29, v9
	v_dual_mov_b32 v9, v27 :: v_dual_mov_b32 v10, v28
	;; [unrolled: 1-line block ×3, first 2 shown]
	v_mov_b32_e32 v66, 1
	v_mov_b32_e32 v24, 0
; %bb.149:
	s_or_b32 exec_lo, exec_lo, s8
	v_and_b32_e32 v20, 0xff, v64
	v_and_b32_e32 v21, 0xff, v54
	s_delay_alu instid0(VALU_DEP_1) | instskip(SKIP_1) | instid1(VALU_DEP_2)
	v_cmp_gt_u16_e64 s7, v21, v20
	v_dual_mov_b32 v20, v22 :: v_dual_mov_b32 v21, v23
	s_and_saveexec_b32 s8, s7
; %bb.150:
	v_dual_mov_b32 v21, v12 :: v_dual_mov_b32 v20, v11
	v_dual_mov_b32 v11, v22 :: v_dual_mov_b32 v12, v23
	;; [unrolled: 1-line block ×4, first 2 shown]
; %bb.151:
	s_or_b32 exec_lo, exec_lo, s8
	v_and_b32_e32 v22, 0xff, v55
	v_and_b32_e32 v23, 0xff, v53
	s_delay_alu instid0(VALU_DEP_1) | instskip(SKIP_1) | instid1(VALU_DEP_2)
	v_cmp_gt_u16_e64 s7, v23, v22
	v_dual_mov_b32 v23, v17 :: v_dual_mov_b32 v22, v16
	s_and_saveexec_b32 s8, s7
; %bb.152:
	v_dual_mov_b32 v23, v5 :: v_dual_mov_b32 v22, v4
	v_dual_mov_b32 v4, v16 :: v_dual_mov_b32 v5, v17
	;; [unrolled: 1-line block ×3, first 2 shown]
	v_mov_b32_e32 v53, 0
	v_mov_b32_e32 v55, 1
; %bb.153:
	s_or_b32 exec_lo, exec_lo, s8
	v_and_b32_e32 v16, 0xff, v24
	v_and_b32_e32 v17, 0xff, v65
	s_delay_alu instid0(VALU_DEP_1) | instskip(SKIP_1) | instid1(VALU_DEP_2)
	v_cmp_gt_u16_e64 s7, v17, v16
	v_dual_mov_b32 v16, v29 :: v_dual_mov_b32 v17, v30
	s_and_saveexec_b32 s8, s7
; %bb.154:
	v_dual_mov_b32 v16, v18 :: v_dual_mov_b32 v17, v19
	v_dual_mov_b32 v18, v29 :: v_dual_mov_b32 v19, v30
	v_mov_b32_e32 v48, v24
	v_dual_mov_b32 v26, v65 :: v_dual_mov_b32 v65, 0
	v_mov_b32_e32 v24, 1
; %bb.155:
	s_or_b32 exec_lo, exec_lo, s8
	v_and_b32_e32 v27, 0xff, v54
	v_and_b32_e32 v28, 0xff, v66
	s_delay_alu instid0(VALU_DEP_1) | instskip(SKIP_1) | instid1(VALU_DEP_2)
	v_cmp_gt_u16_e64 s7, v28, v27
	v_dual_mov_b32 v28, v10 :: v_dual_mov_b32 v27, v9
	s_and_saveexec_b32 s8, s7
; %bb.156:
	v_dual_mov_b32 v28, v21 :: v_dual_mov_b32 v27, v20
	v_dual_mov_b32 v21, v10 :: v_dual_mov_b32 v20, v9
	;; [unrolled: 1-line block ×4, first 2 shown]
; %bb.157:
	s_or_b32 exec_lo, exec_lo, s8
	v_dual_mov_b32 v30, v12 :: v_dual_and_b32 v9, 0xff, v67
	v_dual_mov_b32 v29, v11 :: v_dual_and_b32 v10, 0xff, v64
	s_mov_b32 s8, exec_lo
	s_delay_alu instid0(VALU_DEP_1)
	v_cmpx_gt_u16_e64 v10, v9
; %bb.158:
	v_dual_mov_b32 v30, v15 :: v_dual_mov_b32 v29, v14
	v_dual_mov_b32 v15, v12 :: v_dual_mov_b32 v14, v11
	;; [unrolled: 1-line block ×4, first 2 shown]
; %bb.159:
	s_or_b32 exec_lo, exec_lo, s8
	v_and_b32_e32 v9, 0xff, v65
	v_and_b32_e32 v10, 0xff, v55
	s_delay_alu instid0(VALU_DEP_1) | instskip(SKIP_1) | instid1(VALU_DEP_2)
	v_cmp_gt_u16_e64 s7, v10, v9
	v_dual_mov_b32 v9, v18 :: v_dual_mov_b32 v10, v19
	s_and_saveexec_b32 s8, s7
; %bb.160:
	v_dual_mov_b32 v9, v22 :: v_dual_mov_b32 v10, v23
	v_dual_mov_b32 v23, v19 :: v_dual_mov_b32 v22, v18
	;; [unrolled: 1-line block ×3, first 2 shown]
	v_mov_b32_e32 v65, 1
	v_mov_b32_e32 v55, 0
; %bb.161:
	s_or_b32 exec_lo, exec_lo, s8
	v_dual_mov_b32 v19, v17 :: v_dual_and_b32 v12, 0xff, v24
	v_dual_mov_b32 v18, v16 :: v_dual_and_b32 v11, 0xff, v66
	s_mov_b32 s8, exec_lo
	s_delay_alu instid0(VALU_DEP_1)
	v_cmpx_gt_u16_e64 v12, v11
; %bb.162:
	v_dual_mov_b32 v18, v27 :: v_dual_mov_b32 v19, v28
	v_dual_mov_b32 v28, v17 :: v_dual_mov_b32 v27, v16
	;; [unrolled: 1-line block ×3, first 2 shown]
	v_mov_b32_e32 v66, 1
	v_mov_b32_e32 v24, 0
; %bb.163:
	s_or_b32 exec_lo, exec_lo, s8
	v_dual_mov_b32 v16, v20 :: v_dual_and_b32 v11, 0xff, v64
	v_dual_mov_b32 v17, v21 :: v_dual_and_b32 v12, 0xff, v54
	s_mov_b32 s8, exec_lo
	s_delay_alu instid0(VALU_DEP_1)
	v_cmpx_gt_u16_e64 v12, v11
; %bb.164:
	v_dual_mov_b32 v16, v29 :: v_dual_mov_b32 v17, v30
	v_dual_mov_b32 v30, v21 :: v_dual_mov_b32 v29, v20
	;; [unrolled: 1-line block ×4, first 2 shown]
; %bb.165:
	s_or_b32 exec_lo, exec_lo, s8
	v_and_b32_e32 v11, 0xff, v55
	v_and_b32_e32 v12, 0xff, v53
	s_delay_alu instid0(VALU_DEP_1) | instskip(SKIP_1) | instid1(VALU_DEP_2)
	v_cmp_gt_u16_e64 s7, v12, v11
	v_dual_mov_b32 v11, v22 :: v_dual_mov_b32 v12, v23
	s_and_saveexec_b32 s8, s7
; %bb.166:
	v_dual_mov_b32 v12, v5 :: v_dual_mov_b32 v11, v4
	v_dual_mov_b32 v4, v22 :: v_dual_mov_b32 v5, v23
	;; [unrolled: 1-line block ×3, first 2 shown]
	v_mov_b32_e32 v53, 0
	v_mov_b32_e32 v55, 1
; %bb.167:
	s_or_b32 exec_lo, exec_lo, s8
	v_and_b32_e32 v20, 0xff, v24
	v_and_b32_e32 v21, 0xff, v65
	s_delay_alu instid0(VALU_DEP_1) | instskip(SKIP_1) | instid1(VALU_DEP_2)
	v_cmp_gt_u16_e64 s7, v21, v20
	v_dual_mov_b32 v21, v19 :: v_dual_mov_b32 v20, v18
	s_and_saveexec_b32 s8, s7
; %bb.168:
	v_dual_mov_b32 v21, v10 :: v_dual_mov_b32 v20, v9
	v_dual_mov_b32 v9, v18 :: v_dual_mov_b32 v10, v19
	v_mov_b32_e32 v48, v24
	v_dual_mov_b32 v26, v65 :: v_dual_mov_b32 v65, 0
	v_mov_b32_e32 v24, 1
; %bb.169:
	s_or_b32 exec_lo, exec_lo, s8
	v_dual_mov_b32 v32, v28 :: v_dual_and_b32 v19, 0xff, v66
	v_dual_mov_b32 v31, v27 :: v_dual_and_b32 v18, 0xff, v54
	s_mov_b32 s8, exec_lo
	s_delay_alu instid0(VALU_DEP_1)
	v_cmpx_gt_u16_e64 v19, v18
; %bb.170:
	v_dual_mov_b32 v32, v17 :: v_dual_mov_b32 v31, v16
	v_dual_mov_b32 v16, v27 :: v_dual_mov_b32 v17, v28
	;; [unrolled: 1-line block ×4, first 2 shown]
; %bb.171:
	s_or_b32 exec_lo, exec_lo, s8
	v_dual_mov_b32 v35, v30 :: v_dual_and_b32 v18, 0xff, v67
	v_dual_mov_b32 v34, v29 :: v_dual_and_b32 v19, 0xff, v64
	s_mov_b32 s8, exec_lo
	s_delay_alu instid0(VALU_DEP_1)
	v_cmpx_gt_u16_e64 v19, v18
; %bb.172:
	v_dual_mov_b32 v35, v15 :: v_dual_mov_b32 v34, v14
	v_dual_mov_b32 v14, v29 :: v_dual_mov_b32 v15, v30
	;; [unrolled: 1-line block ×3, first 2 shown]
	v_mov_b32_e32 v64, 0
; %bb.173:
	s_or_b32 exec_lo, exec_lo, s8
	v_and_b32_e32 v18, 0xff, v52
	v_lshlrev_b16 v19, 8, v39
	v_and_b32_e32 v22, 0xff, v48
	v_lshlrev_b16 v23, 8, v26
	v_lshlrev_b16 v26, 8, v65
	v_and_b32_e32 v27, 0xff, v55
	v_or_b32_e32 v19, v18, v19
	v_and_b32_e32 v30, 0xff, v64
	v_or_b32_e32 v22, v22, v23
	v_or_b32_e32 v18, v18, v26
	;; [unrolled: 1-line block ×3, first 2 shown]
	v_and_b32_e32 v19, 0xffff, v19
	v_and_b32_e32 v26, 0xff, v65
	v_lshlrev_b32_e32 v22, 16, v22
	v_and_b32_e32 v18, 0xffff, v18
	v_lshlrev_b32_e32 v23, 16, v23
	v_and_b32_e32 v52, 0xff, v54
	v_cmp_gt_u16_e64 s7, v27, v26
	v_or_b32_e32 v19, v19, v22
	v_and_b32_e32 v22, 0xff, v25
	v_or_b32_e32 v18, v18, v23
	v_lshlrev_b16 v23, 8, v50
	v_cndmask_b32_e64 v29, v10, v12, s7
	v_cndmask_b32_e64 v28, v9, v11, s7
	s_delay_alu instid0(VALU_DEP_4) | instskip(SKIP_2) | instid1(VALU_DEP_3)
	v_cndmask_b32_e64 v26, v19, v18, s7
	v_lshlrev_b16 v18, 8, v51
	v_and_b32_e32 v19, 0xff, v49
	v_lshrrev_b32_e32 v25, 16, v26
	s_delay_alu instid0(VALU_DEP_3) | instskip(NEXT) | instid1(VALU_DEP_3)
	v_or_b32_e32 v18, v22, v18
	v_or_b32_e32 v19, v19, v23
	v_lshlrev_b16 v22, 8, v66
	s_delay_alu instid0(VALU_DEP_4) | instskip(NEXT) | instid1(VALU_DEP_4)
	v_and_b32_e32 v23, 0xff, v25
	v_and_b32_e32 v18, 0xffff, v18
	s_delay_alu instid0(VALU_DEP_4) | instskip(SKIP_1) | instid1(VALU_DEP_4)
	v_lshlrev_b32_e32 v19, 16, v19
	v_and_b32_e32 v25, 0xff, v66
	v_or_b32_e32 v22, v23, v22
	v_and_b32_e32 v23, 0xff, v24
	s_delay_alu instid0(VALU_DEP_4) | instskip(SKIP_1) | instid1(VALU_DEP_4)
	v_or_b32_e32 v27, v18, v19
	v_cndmask_b32_e64 v19, v12, v10, s7
	v_lshlrev_b32_e32 v18, 16, v22
	s_delay_alu instid0(VALU_DEP_4) | instskip(NEXT) | instid1(VALU_DEP_4)
	v_cmp_gt_u16_e64 s8, v23, v25
	v_perm_b32 v22, v24, v27, 0x3020104
	s_delay_alu instid0(VALU_DEP_3) | instskip(NEXT) | instid1(VALU_DEP_3)
	v_and_or_b32 v10, 0xffff, v26, v18
	v_cndmask_b32_e64 v23, v21, v32, s8
	s_delay_alu instid0(VALU_DEP_3)
	v_cndmask_b32_e64 v25, v27, v22, s8
	v_cndmask_b32_e64 v22, v20, v31, s8
	;; [unrolled: 1-line block ×5, first 2 shown]
	v_mov_b32_e32 v20, v34
	v_cndmask_b32_e64 v18, v11, v9, s7
	v_lshrrev_b32_e32 v50, 24, v25
	v_lshrrev_b64 v[26:27], 24, v[24:25]
	v_lshrrev_b32_e32 v49, 16, v25
	v_lshrrev_b32_e32 v51, 8, v25
	;; [unrolled: 1-line block ×4, first 2 shown]
	v_mov_b32_e32 v21, v35
	s_mov_b32 s8, exec_lo
	v_cmpx_gt_u16_e64 v52, v30
; %bb.174:
	v_mov_b32_e32 v21, v17
	v_mov_b32_e32 v51, v64
	v_dual_mov_b32 v49, v54 :: v_dual_mov_b32 v20, v16
	v_mov_b32_e32 v16, v34
	v_lshrrev_b32_e32 v50, 24, v25
	v_lshrrev_b32_e32 v48, 16, v24
	;; [unrolled: 1-line block ×3, first 2 shown]
	v_mov_b32_e32 v17, v35
; %bb.175:
	s_or_b32 exec_lo, exec_lo, s8
	v_mov_b32_e32 v52, v53
.LBB1652_176:
	s_or_b32 exec_lo, exec_lo, s9
	v_and_b32_e32 v9, 0xffffff00, v13
	s_delay_alu instid0(VALU_DEP_2)
	v_and_b32_e32 v11, 0xff, v52
	v_lshlrev_b16 v13, 8, v39
	v_and_b32_e32 v27, 0xff, v48
	v_lshlrev_b16 v30, 8, v26
	v_or_b32_e32 v31, 8, v38
	v_sub_nc_u32_e64 v12, 0x800, v9 clamp
	v_or_b32_e32 v35, v11, v13
	v_and_b32_e32 v65, 0xff, v49
	v_or_b32_e32 v27, v27, v30
	v_lshlrev_b16 v66, 8, v50
	v_min_u32_e32 v13, v12, v31
	v_and_b32_e32 v52, 0xffff, v35
	v_and_b32_e32 v31, 0xff, v25
	v_lshlrev_b32_e32 v53, 16, v27
	v_lshlrev_b16 v35, 8, v51
	v_add_nc_u32_e32 v27, 8, v13
	v_lshlrev_b32_e32 v10, 3, v9
	v_and_b32_e32 v67, 8, v38
	v_and_b32_e32 v30, 0xf0, v38
	v_or_b32_e32 v35, v31, v35
	v_min_u32_e32 v27, v12, v27
	v_or_b32_e32 v65, v65, v66
	v_lshl_or_b32 v34, v38, 3, v10
	v_min_u32_e32 v31, v12, v67
	v_sub_nc_u32_e32 v67, v13, v30
	v_sub_nc_u32_e32 v66, v27, v13
	v_and_b32_e32 v68, 0xffff, v35
	v_lshlrev_b32_e32 v65, 16, v65
	v_add_nc_u32_e32 v11, 0x800, v34
	v_add_nc_u32_e32 v55, 0x810, v34
	;; [unrolled: 1-line block ×4, first 2 shown]
	v_sub_nc_u32_e64 v34, v31, v66 clamp
	v_min_u32_e32 v35, v31, v67
	v_or_b32_e32 v54, v9, v38
	v_or_b32_e32 v52, v52, v53
	v_or_b32_e32 v53, v68, v65
	s_mov_b32 s8, exec_lo
	ds_store_2addr_b64 v55, v[28:29], v[22:23] offset1:1
	ds_store_2addr_b64 v64, v[32:33], v[16:17] offset1:1
	;; [unrolled: 1-line block ×3, first 2 shown]
	ds_store_b64 v54, v[52:53]
	ds_store_2addr_b64 v69, v[20:21], v[14:15] offset1:1
	; wave barrier
	v_cmpx_lt_u32_e64 v34, v35
	s_cbranch_execz .LBB1652_180
; %bb.177:
	v_add_nc_u32_e32 v52, v9, v30
	v_add3_u32 v53, v9, v13, v31
	s_mov_b32 s9, 0
	.p2align	6
.LBB1652_178:                           ; =>This Inner Loop Header: Depth=1
	v_add_nc_u32_e32 v54, v35, v34
	s_delay_alu instid0(VALU_DEP_1) | instskip(NEXT) | instid1(VALU_DEP_1)
	v_lshrrev_b32_e32 v54, 1, v54
	v_add_nc_u32_e32 v55, v52, v54
	v_xad_u32 v64, v54, -1, v53
	v_add_nc_u32_e32 v65, 1, v54
	ds_load_u8 v55, v55
	ds_load_u8 v64, v64
	s_waitcnt lgkmcnt(0)
	v_cmp_gt_u16_e64 s7, v55, v64
	s_delay_alu instid0(VALU_DEP_1) | instskip(SKIP_1) | instid1(VALU_DEP_1)
	v_cndmask_b32_e64 v35, v35, v54, s7
	v_cndmask_b32_e64 v34, v65, v34, s7
	v_cmp_ge_u32_e64 s7, v34, v35
	s_delay_alu instid0(VALU_DEP_1) | instskip(NEXT) | instid1(SALU_CYCLE_1)
	s_or_b32 s9, s7, s9
	s_and_not1_b32 exec_lo, exec_lo, s9
	s_cbranch_execnz .LBB1652_178
; %bb.179:
	s_or_b32 exec_lo, exec_lo, s9
.LBB1652_180:
	s_delay_alu instid0(SALU_CYCLE_1) | instskip(SKIP_2) | instid1(VALU_DEP_2)
	s_or_b32 exec_lo, exec_lo, s8
	v_add_nc_u32_e32 v35, v13, v31
	v_add_nc_u32_e32 v31, v34, v30
	v_sub_nc_u32_e32 v30, v35, v34
	s_delay_alu instid0(VALU_DEP_2) | instskip(NEXT) | instid1(VALU_DEP_2)
	v_cmp_le_u32_e64 s7, v31, v13
	v_cmp_le_u32_e64 s8, v30, v27
	s_delay_alu instid0(VALU_DEP_1) | instskip(NEXT) | instid1(SALU_CYCLE_1)
	s_or_b32 s7, s7, s8
	s_and_saveexec_b32 s18, s7
	s_cbranch_execz .LBB1652_186
; %bb.181:
	v_cmp_lt_u32_e64 s7, v31, v13
                                        ; implicit-def: $vgpr24
	s_delay_alu instid0(VALU_DEP_1)
	s_and_saveexec_b32 s8, s7
	s_cbranch_execz .LBB1652_183
; %bb.182:
	v_add_nc_u32_e32 v4, v9, v31
	ds_load_u8 v24, v4
.LBB1652_183:
	s_or_b32 exec_lo, exec_lo, s8
	v_cmp_ge_u32_e64 s8, v30, v27
	s_mov_b32 s10, exec_lo
                                        ; implicit-def: $vgpr25
	v_cmpx_lt_u32_e64 v30, v27
	s_cbranch_execz .LBB1652_185
; %bb.184:
	v_add_nc_u32_e32 v4, v9, v30
	ds_load_u8 v25, v4
.LBB1652_185:
	s_or_b32 exec_lo, exec_lo, s10
	s_waitcnt lgkmcnt(0)
	v_and_b32_e32 v4, 0xff, v25
	v_and_b32_e32 v5, 0xff, v24
	s_delay_alu instid0(VALU_DEP_1) | instskip(NEXT) | instid1(VALU_DEP_1)
	v_cmp_le_u16_e64 s9, v5, v4
	s_and_b32 s7, s7, s9
	s_delay_alu instid0(SALU_CYCLE_1) | instskip(NEXT) | instid1(SALU_CYCLE_1)
	s_or_b32 s7, s8, s7
	v_cndmask_b32_e64 v4, v30, v31, s7
	v_cndmask_b32_e64 v5, v27, v13, s7
	s_delay_alu instid0(VALU_DEP_2) | instskip(NEXT) | instid1(VALU_DEP_2)
	v_add_nc_u32_e32 v14, 1, v4
	v_add_nc_u32_e32 v5, -1, v5
	v_lshl_add_u32 v4, v4, 3, v10
	s_delay_alu instid0(VALU_DEP_2) | instskip(NEXT) | instid1(VALU_DEP_1)
	v_min_u32_e32 v5, v14, v5
	v_add_nc_u32_e32 v5, v9, v5
	ds_load_u8 v5, v5
	s_waitcnt lgkmcnt(0)
	v_cndmask_b32_e64 v26, v5, v25, s7
	v_cndmask_b32_e64 v34, v24, v5, s7
	;; [unrolled: 1-line block ×5, first 2 shown]
	v_and_b32_e32 v15, 0xff, v26
	v_and_b32_e32 v16, 0xff, v34
	v_cmp_lt_u32_e64 s8, v5, v13
	v_cmp_ge_u32_e64 s10, v14, v27
	s_delay_alu instid0(VALU_DEP_3) | instskip(NEXT) | instid1(VALU_DEP_1)
	v_cmp_le_u16_e64 s9, v16, v15
	s_and_b32 s8, s9, s8
	s_delay_alu instid0(VALU_DEP_2) | instid1(SALU_CYCLE_1)
	s_or_b32 s8, s10, s8
	s_delay_alu instid0(SALU_CYCLE_1) | instskip(SKIP_2) | instid1(VALU_DEP_3)
	v_cndmask_b32_e64 v15, v14, v5, s8
	v_cndmask_b32_e64 v16, v27, v13, s8
	;; [unrolled: 1-line block ×3, first 2 shown]
	v_add_nc_u32_e32 v17, 1, v15
	s_delay_alu instid0(VALU_DEP_3) | instskip(SKIP_1) | instid1(VALU_DEP_3)
	v_add_nc_u32_e32 v16, -1, v16
	v_lshl_add_u32 v15, v15, 3, v10
	v_cndmask_b32_e64 v5, v5, v17, s8
	s_delay_alu instid0(VALU_DEP_3) | instskip(SKIP_1) | instid1(VALU_DEP_3)
	v_min_u32_e32 v16, v17, v16
	v_cndmask_b32_e64 v14, v17, v14, s8
	v_cmp_lt_u32_e64 s9, v5, v13
	s_delay_alu instid0(VALU_DEP_3) | instskip(NEXT) | instid1(VALU_DEP_3)
	v_add_nc_u32_e32 v16, v9, v16
	v_cmp_ge_u32_e64 s11, v14, v27
	ds_load_u8 v16, v16
	s_waitcnt lgkmcnt(0)
	v_cndmask_b32_e64 v30, v16, v26, s8
	v_cndmask_b32_e64 v31, v34, v16, s8
	s_delay_alu instid0(VALU_DEP_2) | instskip(NEXT) | instid1(VALU_DEP_2)
	v_and_b32_e32 v16, 0xff, v30
	v_and_b32_e32 v18, 0xff, v31
	s_delay_alu instid0(VALU_DEP_1) | instskip(NEXT) | instid1(VALU_DEP_1)
	v_cmp_le_u16_e64 s10, v18, v16
	s_and_b32 s9, s10, s9
	s_delay_alu instid0(SALU_CYCLE_1) | instskip(NEXT) | instid1(SALU_CYCLE_1)
	s_or_b32 s9, s11, s9
	v_cndmask_b32_e64 v16, v14, v5, s9
	v_cndmask_b32_e64 v17, v27, v13, s9
	;; [unrolled: 1-line block ×3, first 2 shown]
	s_delay_alu instid0(VALU_DEP_3) | instskip(NEXT) | instid1(VALU_DEP_3)
	v_add_nc_u32_e32 v18, 1, v16
	v_add_nc_u32_e32 v17, -1, v17
	s_delay_alu instid0(VALU_DEP_2) | instskip(NEXT) | instid1(VALU_DEP_2)
	v_cndmask_b32_e64 v5, v5, v18, s9
	v_min_u32_e32 v17, v18, v17
	v_cndmask_b32_e64 v14, v18, v14, s9
	s_delay_alu instid0(VALU_DEP_3) | instskip(NEXT) | instid1(VALU_DEP_3)
	v_cmp_lt_u32_e64 s10, v5, v13
	v_add_nc_u32_e32 v17, v9, v17
	s_delay_alu instid0(VALU_DEP_3) | instskip(SKIP_4) | instid1(VALU_DEP_2)
	v_cmp_ge_u32_e64 s12, v14, v27
	ds_load_u8 v17, v17
	s_waitcnt lgkmcnt(0)
	v_cndmask_b32_e64 v35, v17, v30, s9
	v_cndmask_b32_e64 v49, v31, v17, s9
	v_and_b32_e32 v17, 0xff, v35
	s_delay_alu instid0(VALU_DEP_2) | instskip(NEXT) | instid1(VALU_DEP_1)
	v_and_b32_e32 v19, 0xff, v49
	v_cmp_le_u16_e64 s11, v19, v17
	s_delay_alu instid0(VALU_DEP_1) | instskip(NEXT) | instid1(SALU_CYCLE_1)
	s_and_b32 s10, s11, s10
	s_or_b32 s10, s12, s10
	s_delay_alu instid0(SALU_CYCLE_1) | instskip(SKIP_2) | instid1(VALU_DEP_3)
	v_cndmask_b32_e64 v17, v14, v5, s10
	v_cndmask_b32_e64 v18, v27, v13, s10
	;; [unrolled: 1-line block ×3, first 2 shown]
	v_add_nc_u32_e32 v19, 1, v17
	s_delay_alu instid0(VALU_DEP_3) | instskip(NEXT) | instid1(VALU_DEP_2)
	v_add_nc_u32_e32 v18, -1, v18
	v_cndmask_b32_e64 v5, v5, v19, s10
	s_delay_alu instid0(VALU_DEP_2) | instskip(SKIP_1) | instid1(VALU_DEP_3)
	v_min_u32_e32 v18, v19, v18
	v_cndmask_b32_e64 v14, v19, v14, s10
	v_cmp_lt_u32_e64 s11, v5, v13
	s_delay_alu instid0(VALU_DEP_3) | instskip(NEXT) | instid1(VALU_DEP_3)
	v_add_nc_u32_e32 v18, v9, v18
	v_cmp_ge_u32_e64 s13, v14, v27
	ds_load_u8 v18, v18
	s_waitcnt lgkmcnt(0)
	v_cndmask_b32_e64 v50, v18, v35, s10
	v_cndmask_b32_e64 v51, v49, v18, s10
	s_delay_alu instid0(VALU_DEP_2) | instskip(NEXT) | instid1(VALU_DEP_2)
	v_and_b32_e32 v18, 0xff, v50
	v_and_b32_e32 v20, 0xff, v51
	s_delay_alu instid0(VALU_DEP_1) | instskip(NEXT) | instid1(VALU_DEP_1)
	v_cmp_le_u16_e64 s12, v20, v18
	s_and_b32 s11, s12, s11
	s_delay_alu instid0(SALU_CYCLE_1) | instskip(NEXT) | instid1(SALU_CYCLE_1)
	s_or_b32 s11, s13, s11
	v_cndmask_b32_e64 v20, v14, v5, s11
	v_cndmask_b32_e64 v18, v27, v13, s11
	;; [unrolled: 1-line block ×3, first 2 shown]
	s_delay_alu instid0(VALU_DEP_3) | instskip(NEXT) | instid1(VALU_DEP_3)
	v_add_nc_u32_e32 v19, 1, v20
	v_add_nc_u32_e32 v18, -1, v18
	s_delay_alu instid0(VALU_DEP_2) | instskip(NEXT) | instid1(VALU_DEP_2)
	v_cndmask_b32_e64 v5, v5, v19, s11
	v_min_u32_e32 v18, v19, v18
	v_cndmask_b32_e64 v14, v19, v14, s11
	s_delay_alu instid0(VALU_DEP_3) | instskip(NEXT) | instid1(VALU_DEP_3)
	v_cmp_lt_u32_e64 s12, v5, v13
	v_add_nc_u32_e32 v18, v9, v18
	s_delay_alu instid0(VALU_DEP_3) | instskip(SKIP_4) | instid1(VALU_DEP_2)
	v_cmp_ge_u32_e64 s14, v14, v27
	ds_load_u8 v18, v18
	s_waitcnt lgkmcnt(0)
	v_cndmask_b32_e64 v52, v18, v50, s11
	v_cndmask_b32_e64 v53, v51, v18, s11
	v_and_b32_e32 v18, 0xff, v52
	s_delay_alu instid0(VALU_DEP_2) | instskip(NEXT) | instid1(VALU_DEP_1)
	v_and_b32_e32 v21, 0xff, v53
	v_cmp_le_u16_e64 s13, v21, v18
	s_delay_alu instid0(VALU_DEP_1) | instskip(NEXT) | instid1(SALU_CYCLE_1)
	s_and_b32 s12, s13, s12
	s_or_b32 s12, s14, s12
	s_delay_alu instid0(SALU_CYCLE_1) | instskip(SKIP_2) | instid1(VALU_DEP_3)
	v_cndmask_b32_e64 v21, v14, v5, s12
	v_cndmask_b32_e64 v18, v27, v13, s12
	;; [unrolled: 1-line block ×3, first 2 shown]
	v_add_nc_u32_e32 v19, 1, v21
	s_delay_alu instid0(VALU_DEP_3) | instskip(NEXT) | instid1(VALU_DEP_2)
	v_add_nc_u32_e32 v18, -1, v18
	v_cndmask_b32_e64 v5, v5, v19, s12
	s_delay_alu instid0(VALU_DEP_2) | instskip(SKIP_1) | instid1(VALU_DEP_3)
	v_min_u32_e32 v18, v19, v18
	v_cndmask_b32_e64 v14, v19, v14, s12
	v_cmp_lt_u32_e64 s13, v5, v13
	s_delay_alu instid0(VALU_DEP_3) | instskip(NEXT) | instid1(VALU_DEP_3)
	v_add_nc_u32_e32 v18, v9, v18
	v_cmp_ge_u32_e64 s15, v14, v27
	ds_load_u8 v18, v18
	s_waitcnt lgkmcnt(0)
	v_cndmask_b32_e64 v54, v18, v52, s12
	v_cndmask_b32_e64 v55, v53, v18, s12
	s_delay_alu instid0(VALU_DEP_2) | instskip(NEXT) | instid1(VALU_DEP_2)
	v_and_b32_e32 v18, 0xff, v54
	v_and_b32_e32 v22, 0xff, v55
	s_delay_alu instid0(VALU_DEP_1) | instskip(NEXT) | instid1(VALU_DEP_1)
	v_cmp_le_u16_e64 s14, v22, v18
	s_and_b32 s13, s14, s13
	s_delay_alu instid0(SALU_CYCLE_1) | instskip(NEXT) | instid1(SALU_CYCLE_1)
	s_or_b32 s13, s15, s13
	v_cndmask_b32_e64 v22, v14, v5, s13
	v_cndmask_b32_e64 v18, v27, v13, s13
	v_cndmask_b32_e64 v49, v54, v55, s13
	s_delay_alu instid0(VALU_DEP_3) | instskip(NEXT) | instid1(VALU_DEP_3)
	v_add_nc_u32_e32 v19, 1, v22
	v_add_nc_u32_e32 v18, -1, v18
	s_delay_alu instid0(VALU_DEP_2) | instskip(NEXT) | instid1(VALU_DEP_2)
	v_cndmask_b32_e64 v23, v5, v19, s13
	v_min_u32_e32 v18, v19, v18
	v_cndmask_b32_e64 v14, v19, v14, s13
	s_delay_alu instid0(VALU_DEP_3) | instskip(NEXT) | instid1(VALU_DEP_3)
	v_cmp_lt_u32_e64 s14, v23, v13
	v_add_nc_u32_e32 v18, v9, v18
	s_delay_alu instid0(VALU_DEP_3)
	v_cmp_ge_u32_e64 s16, v14, v27
	v_lshl_add_u32 v13, v16, 3, v10
	v_lshl_add_u32 v16, v21, 3, v10
	ds_load_u8 v18, v18
	s_waitcnt lgkmcnt(0)
	v_cndmask_b32_e64 v64, v18, v54, s13
	v_cndmask_b32_e64 v65, v55, v18, s13
	s_delay_alu instid0(VALU_DEP_2) | instskip(NEXT) | instid1(VALU_DEP_2)
	v_and_b32_e32 v5, 0xff, v64
	v_and_b32_e32 v18, 0xff, v65
	s_delay_alu instid0(VALU_DEP_1)
	v_cmp_le_u16_e64 s15, v18, v5
	ds_load_b64 v[4:5], v4 offset:2048
	ds_load_b64 v[18:19], v15 offset:2048
	;; [unrolled: 1-line block ×3, first 2 shown]
	v_lshl_add_u32 v15, v20, 3, v10
	v_lshl_add_u32 v20, v22, 3, v10
	s_and_b32 s14, s15, s14
	s_delay_alu instid0(SALU_CYCLE_1) | instskip(NEXT) | instid1(SALU_CYCLE_1)
	s_or_b32 s14, s16, s14
	v_cndmask_b32_e64 v13, v14, v23, s14
	v_lshl_add_u32 v14, v17, 3, v10
	v_cndmask_b32_e64 v50, v64, v65, s14
	s_delay_alu instid0(VALU_DEP_3)
	v_lshl_add_u32 v13, v13, 3, v10
	ds_load_b64 v[22:23], v14 offset:2048
	ds_load_b64 v[32:33], v15 offset:2048
	ds_load_b64 v[16:17], v16 offset:2048
	ds_load_b64 v[20:21], v20 offset:2048
	ds_load_b64 v[14:15], v13 offset:2048
.LBB1652_186:
	s_or_b32 exec_lo, exec_lo, s18
	v_and_b32_e32 v31, 0xe0, v38
	v_lshlrev_b16 v13, 8, v51
	v_and_b32_e32 v30, 0xff, v25
	v_lshlrev_b16 v34, 8, v50
	v_and_b32_e32 v35, 0xff, v49
	v_or_b32_e32 v27, 16, v31
	v_lshlrev_b16 v52, 8, v39
	v_and_b32_e32 v53, 0xff, v24
	v_lshlrev_b16 v54, 8, v26
	v_and_b32_e32 v55, 0xff, v48
	v_min_u32_e32 v27, v12, v27
	v_or_b32_e32 v13, v30, v13
	v_and_b32_e32 v64, 24, v38
	v_or_b32_e32 v35, v35, v34
	v_or_b32_e32 v52, v53, v52
	v_add_nc_u32_e32 v30, 16, v27
	v_or_b32_e32 v53, v55, v54
	v_min_u32_e32 v34, v12, v64
	v_and_b32_e32 v54, 0xffff, v13
	v_lshlrev_b32_e32 v35, 16, v35
	v_min_u32_e32 v30, v12, v30
	v_and_b32_e32 v52, 0xffff, v52
	v_lshlrev_b32_e32 v53, 16, v53
	v_sub_nc_u32_e32 v64, v27, v31
	v_add_nc_u32_e32 v13, v9, v38
	v_sub_nc_u32_e32 v55, v30, v27
	v_or_b32_e32 v54, v54, v35
	v_or_b32_e32 v53, v52, v53
	v_min_u32_e32 v52, v34, v64
	s_mov_b32 s8, exec_lo
	v_sub_nc_u32_e64 v35, v34, v55 clamp
	; wave barrier
	s_waitcnt lgkmcnt(6)
	ds_store_2addr_b64 v11, v[4:5], v[18:19] offset1:1
	s_waitcnt lgkmcnt(5)
	ds_store_2addr_b64 v11, v[28:29], v[22:23] offset0:2 offset1:3
	ds_store_b64 v13, v[53:54]
	s_waitcnt lgkmcnt(5)
	ds_store_2addr_b64 v11, v[32:33], v[16:17] offset0:4 offset1:5
	s_waitcnt lgkmcnt(4)
	ds_store_2addr_b64 v11, v[20:21], v[14:15] offset0:6 offset1:7
	; wave barrier
	v_cmpx_lt_u32_e64 v35, v52
	s_cbranch_execz .LBB1652_190
; %bb.187:
	v_add_nc_u32_e32 v53, v9, v31
	v_add3_u32 v54, v9, v27, v34
	s_mov_b32 s9, 0
	.p2align	6
.LBB1652_188:                           ; =>This Inner Loop Header: Depth=1
	v_add_nc_u32_e32 v55, v52, v35
	s_delay_alu instid0(VALU_DEP_1) | instskip(NEXT) | instid1(VALU_DEP_1)
	v_lshrrev_b32_e32 v55, 1, v55
	v_add_nc_u32_e32 v64, v53, v55
	v_xad_u32 v65, v55, -1, v54
	v_add_nc_u32_e32 v66, 1, v55
	ds_load_u8 v64, v64
	ds_load_u8 v65, v65
	s_waitcnt lgkmcnt(0)
	v_cmp_gt_u16_e64 s7, v64, v65
	s_delay_alu instid0(VALU_DEP_1) | instskip(SKIP_1) | instid1(VALU_DEP_1)
	v_cndmask_b32_e64 v52, v52, v55, s7
	v_cndmask_b32_e64 v35, v66, v35, s7
	v_cmp_ge_u32_e64 s7, v35, v52
	s_delay_alu instid0(VALU_DEP_1) | instskip(NEXT) | instid1(SALU_CYCLE_1)
	s_or_b32 s9, s7, s9
	s_and_not1_b32 exec_lo, exec_lo, s9
	s_cbranch_execnz .LBB1652_188
; %bb.189:
	s_or_b32 exec_lo, exec_lo, s9
.LBB1652_190:
	s_delay_alu instid0(SALU_CYCLE_1) | instskip(SKIP_2) | instid1(VALU_DEP_2)
	s_or_b32 exec_lo, exec_lo, s8
	v_add_nc_u32_e32 v52, v27, v34
	v_add_nc_u32_e32 v34, v35, v31
	v_sub_nc_u32_e32 v31, v52, v35
	s_delay_alu instid0(VALU_DEP_2) | instskip(NEXT) | instid1(VALU_DEP_2)
	v_cmp_le_u32_e64 s7, v34, v27
	v_cmp_le_u32_e64 s8, v31, v30
	s_delay_alu instid0(VALU_DEP_1) | instskip(NEXT) | instid1(SALU_CYCLE_1)
	s_or_b32 s7, s7, s8
	s_and_saveexec_b32 s18, s7
	s_cbranch_execz .LBB1652_196
; %bb.191:
	v_cmp_lt_u32_e64 s7, v34, v27
                                        ; implicit-def: $vgpr24
	s_delay_alu instid0(VALU_DEP_1)
	s_and_saveexec_b32 s8, s7
	s_cbranch_execz .LBB1652_193
; %bb.192:
	v_add_nc_u32_e32 v4, v9, v34
	ds_load_u8 v24, v4
.LBB1652_193:
	s_or_b32 exec_lo, exec_lo, s8
	v_cmp_ge_u32_e64 s8, v31, v30
	s_mov_b32 s10, exec_lo
                                        ; implicit-def: $vgpr25
	v_cmpx_lt_u32_e64 v31, v30
	s_cbranch_execz .LBB1652_195
; %bb.194:
	v_add_nc_u32_e32 v4, v9, v31
	ds_load_u8 v25, v4
.LBB1652_195:
	s_or_b32 exec_lo, exec_lo, s10
	s_waitcnt lgkmcnt(0)
	v_and_b32_e32 v4, 0xff, v25
	v_and_b32_e32 v5, 0xff, v24
	s_delay_alu instid0(VALU_DEP_1) | instskip(NEXT) | instid1(VALU_DEP_1)
	v_cmp_le_u16_e64 s9, v5, v4
	s_and_b32 s7, s7, s9
	s_delay_alu instid0(SALU_CYCLE_1) | instskip(NEXT) | instid1(SALU_CYCLE_1)
	s_or_b32 s7, s8, s7
	v_cndmask_b32_e64 v4, v31, v34, s7
	v_cndmask_b32_e64 v5, v30, v27, s7
	s_delay_alu instid0(VALU_DEP_2) | instskip(NEXT) | instid1(VALU_DEP_2)
	v_add_nc_u32_e32 v14, 1, v4
	v_add_nc_u32_e32 v5, -1, v5
	v_lshl_add_u32 v4, v4, 3, v10
	s_delay_alu instid0(VALU_DEP_2) | instskip(NEXT) | instid1(VALU_DEP_1)
	v_min_u32_e32 v5, v14, v5
	v_add_nc_u32_e32 v5, v9, v5
	ds_load_u8 v5, v5
	s_waitcnt lgkmcnt(0)
	v_cndmask_b32_e64 v26, v5, v25, s7
	v_cndmask_b32_e64 v35, v24, v5, s7
	;; [unrolled: 1-line block ×5, first 2 shown]
	v_and_b32_e32 v15, 0xff, v26
	v_and_b32_e32 v16, 0xff, v35
	v_cmp_lt_u32_e64 s8, v5, v27
	v_cmp_ge_u32_e64 s10, v14, v30
	s_delay_alu instid0(VALU_DEP_3) | instskip(NEXT) | instid1(VALU_DEP_1)
	v_cmp_le_u16_e64 s9, v16, v15
	s_and_b32 s8, s9, s8
	s_delay_alu instid0(VALU_DEP_2) | instid1(SALU_CYCLE_1)
	s_or_b32 s8, s10, s8
	s_delay_alu instid0(SALU_CYCLE_1) | instskip(SKIP_2) | instid1(VALU_DEP_3)
	v_cndmask_b32_e64 v15, v14, v5, s8
	v_cndmask_b32_e64 v16, v30, v27, s8
	;; [unrolled: 1-line block ×3, first 2 shown]
	v_add_nc_u32_e32 v17, 1, v15
	s_delay_alu instid0(VALU_DEP_3) | instskip(SKIP_1) | instid1(VALU_DEP_3)
	v_add_nc_u32_e32 v16, -1, v16
	v_lshl_add_u32 v15, v15, 3, v10
	v_cndmask_b32_e64 v5, v5, v17, s8
	s_delay_alu instid0(VALU_DEP_3) | instskip(SKIP_1) | instid1(VALU_DEP_3)
	v_min_u32_e32 v16, v17, v16
	v_cndmask_b32_e64 v14, v17, v14, s8
	v_cmp_lt_u32_e64 s9, v5, v27
	s_delay_alu instid0(VALU_DEP_3) | instskip(NEXT) | instid1(VALU_DEP_3)
	v_add_nc_u32_e32 v16, v9, v16
	v_cmp_ge_u32_e64 s11, v14, v30
	ds_load_u8 v16, v16
	s_waitcnt lgkmcnt(0)
	v_cndmask_b32_e64 v31, v16, v26, s8
	v_cndmask_b32_e64 v34, v35, v16, s8
	s_delay_alu instid0(VALU_DEP_2) | instskip(NEXT) | instid1(VALU_DEP_2)
	v_and_b32_e32 v16, 0xff, v31
	v_and_b32_e32 v18, 0xff, v34
	s_delay_alu instid0(VALU_DEP_1) | instskip(NEXT) | instid1(VALU_DEP_1)
	v_cmp_le_u16_e64 s10, v18, v16
	s_and_b32 s9, s10, s9
	s_delay_alu instid0(SALU_CYCLE_1) | instskip(NEXT) | instid1(SALU_CYCLE_1)
	s_or_b32 s9, s11, s9
	v_cndmask_b32_e64 v16, v14, v5, s9
	v_cndmask_b32_e64 v17, v30, v27, s9
	;; [unrolled: 1-line block ×3, first 2 shown]
	s_delay_alu instid0(VALU_DEP_3) | instskip(NEXT) | instid1(VALU_DEP_3)
	v_add_nc_u32_e32 v18, 1, v16
	v_add_nc_u32_e32 v17, -1, v17
	v_lshl_add_u32 v16, v16, 3, v10
	s_delay_alu instid0(VALU_DEP_3) | instskip(NEXT) | instid1(VALU_DEP_3)
	v_cndmask_b32_e64 v5, v5, v18, s9
	v_min_u32_e32 v17, v18, v17
	v_cndmask_b32_e64 v14, v18, v14, s9
	s_delay_alu instid0(VALU_DEP_3) | instskip(NEXT) | instid1(VALU_DEP_3)
	v_cmp_lt_u32_e64 s10, v5, v27
	v_add_nc_u32_e32 v17, v9, v17
	s_delay_alu instid0(VALU_DEP_3) | instskip(SKIP_4) | instid1(VALU_DEP_2)
	v_cmp_ge_u32_e64 s12, v14, v30
	ds_load_u8 v17, v17
	s_waitcnt lgkmcnt(0)
	v_cndmask_b32_e64 v49, v17, v31, s9
	v_cndmask_b32_e64 v50, v34, v17, s9
	v_and_b32_e32 v17, 0xff, v49
	s_delay_alu instid0(VALU_DEP_2) | instskip(NEXT) | instid1(VALU_DEP_1)
	v_and_b32_e32 v19, 0xff, v50
	v_cmp_le_u16_e64 s11, v19, v17
	s_delay_alu instid0(VALU_DEP_1) | instskip(NEXT) | instid1(SALU_CYCLE_1)
	s_and_b32 s10, s11, s10
	s_or_b32 s10, s12, s10
	s_delay_alu instid0(SALU_CYCLE_1) | instskip(SKIP_2) | instid1(VALU_DEP_3)
	v_cndmask_b32_e64 v17, v14, v5, s10
	v_cndmask_b32_e64 v18, v30, v27, s10
	;; [unrolled: 1-line block ×3, first 2 shown]
	v_add_nc_u32_e32 v19, 1, v17
	s_delay_alu instid0(VALU_DEP_3) | instskip(NEXT) | instid1(VALU_DEP_2)
	v_add_nc_u32_e32 v18, -1, v18
	v_cndmask_b32_e64 v5, v5, v19, s10
	s_delay_alu instid0(VALU_DEP_2) | instskip(SKIP_1) | instid1(VALU_DEP_3)
	v_min_u32_e32 v18, v19, v18
	v_cndmask_b32_e64 v14, v19, v14, s10
	v_cmp_lt_u32_e64 s11, v5, v27
	s_delay_alu instid0(VALU_DEP_3) | instskip(NEXT) | instid1(VALU_DEP_3)
	v_add_nc_u32_e32 v18, v9, v18
	v_cmp_ge_u32_e64 s13, v14, v30
	ds_load_u8 v18, v18
	s_waitcnt lgkmcnt(0)
	v_cndmask_b32_e64 v51, v18, v49, s10
	v_cndmask_b32_e64 v52, v50, v18, s10
	s_delay_alu instid0(VALU_DEP_2) | instskip(NEXT) | instid1(VALU_DEP_2)
	v_and_b32_e32 v18, 0xff, v51
	v_and_b32_e32 v20, 0xff, v52
	s_delay_alu instid0(VALU_DEP_1) | instskip(NEXT) | instid1(VALU_DEP_1)
	v_cmp_le_u16_e64 s12, v20, v18
	s_and_b32 s11, s12, s11
	s_delay_alu instid0(SALU_CYCLE_1) | instskip(NEXT) | instid1(SALU_CYCLE_1)
	s_or_b32 s11, s13, s11
	v_cndmask_b32_e64 v20, v14, v5, s11
	v_cndmask_b32_e64 v18, v30, v27, s11
	;; [unrolled: 1-line block ×3, first 2 shown]
	s_delay_alu instid0(VALU_DEP_3) | instskip(NEXT) | instid1(VALU_DEP_3)
	v_add_nc_u32_e32 v19, 1, v20
	v_add_nc_u32_e32 v18, -1, v18
	s_delay_alu instid0(VALU_DEP_2) | instskip(NEXT) | instid1(VALU_DEP_2)
	v_cndmask_b32_e64 v5, v5, v19, s11
	v_min_u32_e32 v18, v19, v18
	v_cndmask_b32_e64 v14, v19, v14, s11
	s_delay_alu instid0(VALU_DEP_3) | instskip(NEXT) | instid1(VALU_DEP_3)
	v_cmp_lt_u32_e64 s12, v5, v27
	v_add_nc_u32_e32 v18, v9, v18
	s_delay_alu instid0(VALU_DEP_3) | instskip(SKIP_4) | instid1(VALU_DEP_2)
	v_cmp_ge_u32_e64 s14, v14, v30
	ds_load_u8 v18, v18
	s_waitcnt lgkmcnt(0)
	v_cndmask_b32_e64 v53, v18, v51, s11
	v_cndmask_b32_e64 v54, v52, v18, s11
	v_and_b32_e32 v18, 0xff, v53
	s_delay_alu instid0(VALU_DEP_2) | instskip(NEXT) | instid1(VALU_DEP_1)
	v_and_b32_e32 v21, 0xff, v54
	v_cmp_le_u16_e64 s13, v21, v18
	s_delay_alu instid0(VALU_DEP_1) | instskip(NEXT) | instid1(SALU_CYCLE_1)
	s_and_b32 s12, s13, s12
	s_or_b32 s12, s14, s12
	s_delay_alu instid0(SALU_CYCLE_1) | instskip(SKIP_2) | instid1(VALU_DEP_3)
	v_cndmask_b32_e64 v21, v14, v5, s12
	v_cndmask_b32_e64 v18, v30, v27, s12
	;; [unrolled: 1-line block ×3, first 2 shown]
	v_add_nc_u32_e32 v19, 1, v21
	s_delay_alu instid0(VALU_DEP_3) | instskip(NEXT) | instid1(VALU_DEP_2)
	v_add_nc_u32_e32 v18, -1, v18
	v_cndmask_b32_e64 v5, v5, v19, s12
	s_delay_alu instid0(VALU_DEP_2) | instskip(SKIP_1) | instid1(VALU_DEP_3)
	v_min_u32_e32 v18, v19, v18
	v_cndmask_b32_e64 v14, v19, v14, s12
	v_cmp_lt_u32_e64 s13, v5, v27
	s_delay_alu instid0(VALU_DEP_3) | instskip(NEXT) | instid1(VALU_DEP_3)
	v_add_nc_u32_e32 v18, v9, v18
	v_cmp_ge_u32_e64 s15, v14, v30
	ds_load_u8 v18, v18
	s_waitcnt lgkmcnt(0)
	v_cndmask_b32_e64 v55, v18, v53, s12
	v_cndmask_b32_e64 v64, v54, v18, s12
	s_delay_alu instid0(VALU_DEP_2) | instskip(NEXT) | instid1(VALU_DEP_2)
	v_and_b32_e32 v18, 0xff, v55
	v_and_b32_e32 v22, 0xff, v64
	s_delay_alu instid0(VALU_DEP_1) | instskip(NEXT) | instid1(VALU_DEP_1)
	v_cmp_le_u16_e64 s14, v22, v18
	s_and_b32 s13, s14, s13
	s_delay_alu instid0(SALU_CYCLE_1) | instskip(NEXT) | instid1(SALU_CYCLE_1)
	s_or_b32 s13, s15, s13
	v_cndmask_b32_e64 v22, v14, v5, s13
	v_cndmask_b32_e64 v18, v30, v27, s13
	;; [unrolled: 1-line block ×3, first 2 shown]
	s_delay_alu instid0(VALU_DEP_3) | instskip(NEXT) | instid1(VALU_DEP_3)
	v_add_nc_u32_e32 v19, 1, v22
	v_add_nc_u32_e32 v18, -1, v18
	s_delay_alu instid0(VALU_DEP_2) | instskip(NEXT) | instid1(VALU_DEP_2)
	v_cndmask_b32_e64 v23, v5, v19, s13
	v_min_u32_e32 v18, v19, v18
	v_cndmask_b32_e64 v14, v19, v14, s13
	s_delay_alu instid0(VALU_DEP_3) | instskip(NEXT) | instid1(VALU_DEP_3)
	v_cmp_lt_u32_e64 s14, v23, v27
	v_add_nc_u32_e32 v18, v9, v18
	s_delay_alu instid0(VALU_DEP_3) | instskip(SKIP_4) | instid1(VALU_DEP_2)
	v_cmp_ge_u32_e64 s16, v14, v30
	ds_load_u8 v18, v18
	s_waitcnt lgkmcnt(0)
	v_cndmask_b32_e64 v65, v18, v55, s13
	v_cndmask_b32_e64 v66, v64, v18, s13
	v_and_b32_e32 v5, 0xff, v65
	s_delay_alu instid0(VALU_DEP_2) | instskip(NEXT) | instid1(VALU_DEP_1)
	v_and_b32_e32 v18, 0xff, v66
	v_cmp_le_u16_e64 s15, v18, v5
	ds_load_b64 v[4:5], v4 offset:2048
	ds_load_b64 v[18:19], v15 offset:2048
	v_lshl_add_u32 v15, v17, 3, v10
	ds_load_b64 v[28:29], v16 offset:2048
	v_lshl_add_u32 v16, v20, 3, v10
	s_and_b32 s14, s15, s14
	v_lshl_add_u32 v17, v21, 3, v10
	s_or_b32 s14, s16, s14
	v_lshl_add_u32 v20, v22, 3, v10
	v_cndmask_b32_e64 v14, v14, v23, s14
	v_cndmask_b32_e64 v50, v65, v66, s14
	s_delay_alu instid0(VALU_DEP_2)
	v_lshl_add_u32 v14, v14, 3, v10
	ds_load_b64 v[22:23], v15 offset:2048
	ds_load_b64 v[32:33], v16 offset:2048
	;; [unrolled: 1-line block ×5, first 2 shown]
.LBB1652_196:
	s_or_b32 exec_lo, exec_lo, s18
	v_and_b32_e32 v31, 0xc0, v38
	v_lshlrev_b16 v30, 8, v51
	v_and_b32_e32 v34, 0xff, v25
	v_lshlrev_b16 v35, 8, v50
	v_and_b32_e32 v52, 0xff, v49
	v_or_b32_e32 v27, 32, v31
	v_lshlrev_b16 v53, 8, v39
	v_and_b32_e32 v54, 0xff, v24
	v_lshlrev_b16 v55, 8, v26
	v_and_b32_e32 v64, 0xff, v48
	v_min_u32_e32 v27, v12, v27
	v_or_b32_e32 v66, v34, v30
	v_and_b32_e32 v65, 56, v38
	v_or_b32_e32 v35, v52, v35
	v_or_b32_e32 v52, v54, v53
	v_add_nc_u32_e32 v30, 32, v27
	v_or_b32_e32 v53, v64, v55
	v_min_u32_e32 v34, v12, v65
	v_and_b32_e32 v54, 0xffff, v66
	v_lshlrev_b32_e32 v35, 16, v35
	v_min_u32_e32 v30, v12, v30
	v_and_b32_e32 v52, 0xffff, v52
	v_lshlrev_b32_e32 v53, 16, v53
	v_sub_nc_u32_e32 v64, v27, v31
	v_or_b32_e32 v54, v54, v35
	v_sub_nc_u32_e32 v55, v30, v27
	s_mov_b32 s8, exec_lo
	v_or_b32_e32 v53, v52, v53
	v_min_u32_e32 v52, v34, v64
	s_delay_alu instid0(VALU_DEP_3)
	v_sub_nc_u32_e64 v35, v34, v55 clamp
	; wave barrier
	s_waitcnt lgkmcnt(6)
	ds_store_2addr_b64 v11, v[4:5], v[18:19] offset1:1
	s_waitcnt lgkmcnt(5)
	ds_store_2addr_b64 v11, v[28:29], v[22:23] offset0:2 offset1:3
	ds_store_b64 v13, v[53:54]
	s_waitcnt lgkmcnt(5)
	ds_store_2addr_b64 v11, v[32:33], v[16:17] offset0:4 offset1:5
	s_waitcnt lgkmcnt(4)
	ds_store_2addr_b64 v11, v[20:21], v[14:15] offset0:6 offset1:7
	; wave barrier
	v_cmpx_lt_u32_e64 v35, v52
	s_cbranch_execz .LBB1652_200
; %bb.197:
	v_add_nc_u32_e32 v53, v9, v31
	v_add3_u32 v54, v9, v27, v34
	s_mov_b32 s9, 0
	.p2align	6
.LBB1652_198:                           ; =>This Inner Loop Header: Depth=1
	v_add_nc_u32_e32 v55, v52, v35
	s_delay_alu instid0(VALU_DEP_1) | instskip(NEXT) | instid1(VALU_DEP_1)
	v_lshrrev_b32_e32 v55, 1, v55
	v_add_nc_u32_e32 v64, v53, v55
	v_xad_u32 v65, v55, -1, v54
	v_add_nc_u32_e32 v66, 1, v55
	ds_load_u8 v64, v64
	ds_load_u8 v65, v65
	s_waitcnt lgkmcnt(0)
	v_cmp_gt_u16_e64 s7, v64, v65
	s_delay_alu instid0(VALU_DEP_1) | instskip(SKIP_1) | instid1(VALU_DEP_1)
	v_cndmask_b32_e64 v52, v52, v55, s7
	v_cndmask_b32_e64 v35, v66, v35, s7
	v_cmp_ge_u32_e64 s7, v35, v52
	s_delay_alu instid0(VALU_DEP_1) | instskip(NEXT) | instid1(SALU_CYCLE_1)
	s_or_b32 s9, s7, s9
	s_and_not1_b32 exec_lo, exec_lo, s9
	s_cbranch_execnz .LBB1652_198
; %bb.199:
	s_or_b32 exec_lo, exec_lo, s9
.LBB1652_200:
	s_delay_alu instid0(SALU_CYCLE_1) | instskip(SKIP_2) | instid1(VALU_DEP_2)
	s_or_b32 exec_lo, exec_lo, s8
	v_add_nc_u32_e32 v52, v27, v34
	v_add_nc_u32_e32 v34, v35, v31
	v_sub_nc_u32_e32 v31, v52, v35
	s_delay_alu instid0(VALU_DEP_2) | instskip(NEXT) | instid1(VALU_DEP_2)
	v_cmp_le_u32_e64 s7, v34, v27
	v_cmp_le_u32_e64 s8, v31, v30
	s_delay_alu instid0(VALU_DEP_1) | instskip(NEXT) | instid1(SALU_CYCLE_1)
	s_or_b32 s7, s7, s8
	s_and_saveexec_b32 s18, s7
	s_cbranch_execz .LBB1652_206
; %bb.201:
	v_cmp_lt_u32_e64 s7, v34, v27
                                        ; implicit-def: $vgpr24
	s_delay_alu instid0(VALU_DEP_1)
	s_and_saveexec_b32 s8, s7
	s_cbranch_execz .LBB1652_203
; %bb.202:
	v_add_nc_u32_e32 v4, v9, v34
	ds_load_u8 v24, v4
.LBB1652_203:
	s_or_b32 exec_lo, exec_lo, s8
	v_cmp_ge_u32_e64 s8, v31, v30
	s_mov_b32 s10, exec_lo
                                        ; implicit-def: $vgpr25
	v_cmpx_lt_u32_e64 v31, v30
	s_cbranch_execz .LBB1652_205
; %bb.204:
	v_add_nc_u32_e32 v4, v9, v31
	ds_load_u8 v25, v4
.LBB1652_205:
	s_or_b32 exec_lo, exec_lo, s10
	s_waitcnt lgkmcnt(0)
	v_and_b32_e32 v4, 0xff, v25
	v_and_b32_e32 v5, 0xff, v24
	s_delay_alu instid0(VALU_DEP_1) | instskip(NEXT) | instid1(VALU_DEP_1)
	v_cmp_le_u16_e64 s9, v5, v4
	s_and_b32 s7, s7, s9
	s_delay_alu instid0(SALU_CYCLE_1) | instskip(NEXT) | instid1(SALU_CYCLE_1)
	s_or_b32 s7, s8, s7
	v_cndmask_b32_e64 v4, v31, v34, s7
	v_cndmask_b32_e64 v5, v30, v27, s7
	s_delay_alu instid0(VALU_DEP_2) | instskip(NEXT) | instid1(VALU_DEP_2)
	v_add_nc_u32_e32 v14, 1, v4
	v_add_nc_u32_e32 v5, -1, v5
	v_lshl_add_u32 v4, v4, 3, v10
	s_delay_alu instid0(VALU_DEP_2) | instskip(NEXT) | instid1(VALU_DEP_1)
	v_min_u32_e32 v5, v14, v5
	v_add_nc_u32_e32 v5, v9, v5
	ds_load_u8 v5, v5
	s_waitcnt lgkmcnt(0)
	v_cndmask_b32_e64 v26, v5, v25, s7
	v_cndmask_b32_e64 v35, v24, v5, s7
	;; [unrolled: 1-line block ×5, first 2 shown]
	v_and_b32_e32 v15, 0xff, v26
	v_and_b32_e32 v16, 0xff, v35
	v_cmp_lt_u32_e64 s8, v5, v27
	v_cmp_ge_u32_e64 s10, v14, v30
	s_delay_alu instid0(VALU_DEP_3) | instskip(NEXT) | instid1(VALU_DEP_1)
	v_cmp_le_u16_e64 s9, v16, v15
	s_and_b32 s8, s9, s8
	s_delay_alu instid0(VALU_DEP_2) | instid1(SALU_CYCLE_1)
	s_or_b32 s8, s10, s8
	s_delay_alu instid0(SALU_CYCLE_1) | instskip(SKIP_2) | instid1(VALU_DEP_3)
	v_cndmask_b32_e64 v15, v14, v5, s8
	v_cndmask_b32_e64 v16, v30, v27, s8
	;; [unrolled: 1-line block ×3, first 2 shown]
	v_add_nc_u32_e32 v17, 1, v15
	s_delay_alu instid0(VALU_DEP_3) | instskip(SKIP_1) | instid1(VALU_DEP_3)
	v_add_nc_u32_e32 v16, -1, v16
	v_lshl_add_u32 v15, v15, 3, v10
	v_cndmask_b32_e64 v5, v5, v17, s8
	s_delay_alu instid0(VALU_DEP_3) | instskip(SKIP_1) | instid1(VALU_DEP_3)
	v_min_u32_e32 v16, v17, v16
	v_cndmask_b32_e64 v14, v17, v14, s8
	v_cmp_lt_u32_e64 s9, v5, v27
	s_delay_alu instid0(VALU_DEP_3) | instskip(NEXT) | instid1(VALU_DEP_3)
	v_add_nc_u32_e32 v16, v9, v16
	v_cmp_ge_u32_e64 s11, v14, v30
	ds_load_u8 v16, v16
	s_waitcnt lgkmcnt(0)
	v_cndmask_b32_e64 v31, v16, v26, s8
	v_cndmask_b32_e64 v34, v35, v16, s8
	s_delay_alu instid0(VALU_DEP_2) | instskip(NEXT) | instid1(VALU_DEP_2)
	v_and_b32_e32 v16, 0xff, v31
	v_and_b32_e32 v18, 0xff, v34
	s_delay_alu instid0(VALU_DEP_1) | instskip(NEXT) | instid1(VALU_DEP_1)
	v_cmp_le_u16_e64 s10, v18, v16
	s_and_b32 s9, s10, s9
	s_delay_alu instid0(SALU_CYCLE_1) | instskip(NEXT) | instid1(SALU_CYCLE_1)
	s_or_b32 s9, s11, s9
	v_cndmask_b32_e64 v16, v14, v5, s9
	v_cndmask_b32_e64 v17, v30, v27, s9
	;; [unrolled: 1-line block ×3, first 2 shown]
	s_delay_alu instid0(VALU_DEP_3) | instskip(NEXT) | instid1(VALU_DEP_3)
	v_add_nc_u32_e32 v18, 1, v16
	v_add_nc_u32_e32 v17, -1, v17
	v_lshl_add_u32 v16, v16, 3, v10
	s_delay_alu instid0(VALU_DEP_3) | instskip(NEXT) | instid1(VALU_DEP_3)
	v_cndmask_b32_e64 v5, v5, v18, s9
	v_min_u32_e32 v17, v18, v17
	v_cndmask_b32_e64 v14, v18, v14, s9
	s_delay_alu instid0(VALU_DEP_3) | instskip(NEXT) | instid1(VALU_DEP_3)
	v_cmp_lt_u32_e64 s10, v5, v27
	v_add_nc_u32_e32 v17, v9, v17
	s_delay_alu instid0(VALU_DEP_3) | instskip(SKIP_4) | instid1(VALU_DEP_2)
	v_cmp_ge_u32_e64 s12, v14, v30
	ds_load_u8 v17, v17
	s_waitcnt lgkmcnt(0)
	v_cndmask_b32_e64 v49, v17, v31, s9
	v_cndmask_b32_e64 v50, v34, v17, s9
	v_and_b32_e32 v17, 0xff, v49
	s_delay_alu instid0(VALU_DEP_2) | instskip(NEXT) | instid1(VALU_DEP_1)
	v_and_b32_e32 v19, 0xff, v50
	v_cmp_le_u16_e64 s11, v19, v17
	s_delay_alu instid0(VALU_DEP_1) | instskip(NEXT) | instid1(SALU_CYCLE_1)
	s_and_b32 s10, s11, s10
	s_or_b32 s10, s12, s10
	s_delay_alu instid0(SALU_CYCLE_1) | instskip(SKIP_2) | instid1(VALU_DEP_3)
	v_cndmask_b32_e64 v17, v14, v5, s10
	v_cndmask_b32_e64 v18, v30, v27, s10
	;; [unrolled: 1-line block ×3, first 2 shown]
	v_add_nc_u32_e32 v19, 1, v17
	s_delay_alu instid0(VALU_DEP_3) | instskip(NEXT) | instid1(VALU_DEP_2)
	v_add_nc_u32_e32 v18, -1, v18
	v_cndmask_b32_e64 v5, v5, v19, s10
	s_delay_alu instid0(VALU_DEP_2) | instskip(SKIP_1) | instid1(VALU_DEP_3)
	v_min_u32_e32 v18, v19, v18
	v_cndmask_b32_e64 v14, v19, v14, s10
	v_cmp_lt_u32_e64 s11, v5, v27
	s_delay_alu instid0(VALU_DEP_3) | instskip(NEXT) | instid1(VALU_DEP_3)
	v_add_nc_u32_e32 v18, v9, v18
	v_cmp_ge_u32_e64 s13, v14, v30
	ds_load_u8 v18, v18
	s_waitcnt lgkmcnt(0)
	v_cndmask_b32_e64 v51, v18, v49, s10
	v_cndmask_b32_e64 v52, v50, v18, s10
	s_delay_alu instid0(VALU_DEP_2) | instskip(NEXT) | instid1(VALU_DEP_2)
	v_and_b32_e32 v18, 0xff, v51
	v_and_b32_e32 v20, 0xff, v52
	s_delay_alu instid0(VALU_DEP_1) | instskip(NEXT) | instid1(VALU_DEP_1)
	v_cmp_le_u16_e64 s12, v20, v18
	s_and_b32 s11, s12, s11
	s_delay_alu instid0(SALU_CYCLE_1) | instskip(NEXT) | instid1(SALU_CYCLE_1)
	s_or_b32 s11, s13, s11
	v_cndmask_b32_e64 v20, v14, v5, s11
	v_cndmask_b32_e64 v18, v30, v27, s11
	;; [unrolled: 1-line block ×3, first 2 shown]
	s_delay_alu instid0(VALU_DEP_3) | instskip(NEXT) | instid1(VALU_DEP_3)
	v_add_nc_u32_e32 v19, 1, v20
	v_add_nc_u32_e32 v18, -1, v18
	s_delay_alu instid0(VALU_DEP_2) | instskip(NEXT) | instid1(VALU_DEP_2)
	v_cndmask_b32_e64 v5, v5, v19, s11
	v_min_u32_e32 v18, v19, v18
	v_cndmask_b32_e64 v14, v19, v14, s11
	s_delay_alu instid0(VALU_DEP_3) | instskip(NEXT) | instid1(VALU_DEP_3)
	v_cmp_lt_u32_e64 s12, v5, v27
	v_add_nc_u32_e32 v18, v9, v18
	s_delay_alu instid0(VALU_DEP_3) | instskip(SKIP_4) | instid1(VALU_DEP_2)
	v_cmp_ge_u32_e64 s14, v14, v30
	ds_load_u8 v18, v18
	s_waitcnt lgkmcnt(0)
	v_cndmask_b32_e64 v53, v18, v51, s11
	v_cndmask_b32_e64 v54, v52, v18, s11
	v_and_b32_e32 v18, 0xff, v53
	s_delay_alu instid0(VALU_DEP_2) | instskip(NEXT) | instid1(VALU_DEP_1)
	v_and_b32_e32 v21, 0xff, v54
	v_cmp_le_u16_e64 s13, v21, v18
	s_delay_alu instid0(VALU_DEP_1) | instskip(NEXT) | instid1(SALU_CYCLE_1)
	s_and_b32 s12, s13, s12
	s_or_b32 s12, s14, s12
	s_delay_alu instid0(SALU_CYCLE_1) | instskip(SKIP_2) | instid1(VALU_DEP_3)
	v_cndmask_b32_e64 v21, v14, v5, s12
	v_cndmask_b32_e64 v18, v30, v27, s12
	;; [unrolled: 1-line block ×3, first 2 shown]
	v_add_nc_u32_e32 v19, 1, v21
	s_delay_alu instid0(VALU_DEP_3) | instskip(NEXT) | instid1(VALU_DEP_2)
	v_add_nc_u32_e32 v18, -1, v18
	v_cndmask_b32_e64 v5, v5, v19, s12
	s_delay_alu instid0(VALU_DEP_2) | instskip(SKIP_1) | instid1(VALU_DEP_3)
	v_min_u32_e32 v18, v19, v18
	v_cndmask_b32_e64 v14, v19, v14, s12
	v_cmp_lt_u32_e64 s13, v5, v27
	s_delay_alu instid0(VALU_DEP_3) | instskip(NEXT) | instid1(VALU_DEP_3)
	v_add_nc_u32_e32 v18, v9, v18
	v_cmp_ge_u32_e64 s15, v14, v30
	ds_load_u8 v18, v18
	s_waitcnt lgkmcnt(0)
	v_cndmask_b32_e64 v55, v18, v53, s12
	v_cndmask_b32_e64 v64, v54, v18, s12
	s_delay_alu instid0(VALU_DEP_2) | instskip(NEXT) | instid1(VALU_DEP_2)
	v_and_b32_e32 v18, 0xff, v55
	v_and_b32_e32 v22, 0xff, v64
	s_delay_alu instid0(VALU_DEP_1) | instskip(NEXT) | instid1(VALU_DEP_1)
	v_cmp_le_u16_e64 s14, v22, v18
	s_and_b32 s13, s14, s13
	s_delay_alu instid0(SALU_CYCLE_1) | instskip(NEXT) | instid1(SALU_CYCLE_1)
	s_or_b32 s13, s15, s13
	v_cndmask_b32_e64 v22, v14, v5, s13
	v_cndmask_b32_e64 v18, v30, v27, s13
	;; [unrolled: 1-line block ×3, first 2 shown]
	s_delay_alu instid0(VALU_DEP_3) | instskip(NEXT) | instid1(VALU_DEP_3)
	v_add_nc_u32_e32 v19, 1, v22
	v_add_nc_u32_e32 v18, -1, v18
	s_delay_alu instid0(VALU_DEP_2) | instskip(NEXT) | instid1(VALU_DEP_2)
	v_cndmask_b32_e64 v23, v5, v19, s13
	v_min_u32_e32 v18, v19, v18
	v_cndmask_b32_e64 v14, v19, v14, s13
	s_delay_alu instid0(VALU_DEP_3) | instskip(NEXT) | instid1(VALU_DEP_3)
	v_cmp_lt_u32_e64 s14, v23, v27
	v_add_nc_u32_e32 v18, v9, v18
	s_delay_alu instid0(VALU_DEP_3) | instskip(SKIP_4) | instid1(VALU_DEP_2)
	v_cmp_ge_u32_e64 s16, v14, v30
	ds_load_u8 v18, v18
	s_waitcnt lgkmcnt(0)
	v_cndmask_b32_e64 v65, v18, v55, s13
	v_cndmask_b32_e64 v66, v64, v18, s13
	v_and_b32_e32 v5, 0xff, v65
	s_delay_alu instid0(VALU_DEP_2) | instskip(NEXT) | instid1(VALU_DEP_1)
	v_and_b32_e32 v18, 0xff, v66
	v_cmp_le_u16_e64 s15, v18, v5
	ds_load_b64 v[4:5], v4 offset:2048
	ds_load_b64 v[18:19], v15 offset:2048
	v_lshl_add_u32 v15, v17, 3, v10
	ds_load_b64 v[28:29], v16 offset:2048
	v_lshl_add_u32 v16, v20, 3, v10
	s_and_b32 s14, s15, s14
	v_lshl_add_u32 v17, v21, 3, v10
	s_or_b32 s14, s16, s14
	v_lshl_add_u32 v20, v22, 3, v10
	v_cndmask_b32_e64 v14, v14, v23, s14
	v_cndmask_b32_e64 v50, v65, v66, s14
	s_delay_alu instid0(VALU_DEP_2)
	v_lshl_add_u32 v14, v14, 3, v10
	ds_load_b64 v[22:23], v15 offset:2048
	ds_load_b64 v[32:33], v16 offset:2048
	ds_load_b64 v[16:17], v17 offset:2048
	ds_load_b64 v[20:21], v20 offset:2048
	ds_load_b64 v[14:15], v14 offset:2048
.LBB1652_206:
	s_or_b32 exec_lo, exec_lo, s18
	v_and_b32_e32 v30, 0x80, v38
	v_lshlrev_b16 v34, 8, v51
	v_and_b32_e32 v35, 0xff, v25
	v_lshlrev_b16 v38, 8, v50
	v_and_b32_e32 v52, 0xff, v49
	v_or_b32_e32 v27, 64, v30
	v_lshlrev_b16 v53, 8, v39
	v_and_b32_e32 v54, 0xff, v24
	v_lshlrev_b16 v55, 8, v26
	v_and_b32_e32 v64, 0xff, v48
	v_min_u32_e32 v27, v12, v27
	v_min_u32_e32 v31, v12, v36
	v_or_b32_e32 v34, v35, v34
	v_or_b32_e32 v35, v52, v38
	v_or_b32_e32 v38, v54, v53
	v_add_nc_u32_e32 v65, 64, v27
	v_or_b32_e32 v52, v64, v55
	v_and_b32_e32 v34, 0xffff, v34
	v_lshlrev_b32_e32 v35, 16, v35
	v_sub_nc_u32_e32 v55, v27, v30
	v_min_u32_e32 v12, v12, v65
	v_and_b32_e32 v38, 0xffff, v38
	v_lshlrev_b32_e32 v52, 16, v52
	v_or_b32_e32 v53, v34, v35
	v_min_u32_e32 v35, v31, v55
	v_sub_nc_u32_e32 v54, v12, v27
	s_mov_b32 s8, exec_lo
	v_or_b32_e32 v52, v38, v52
	; wave barrier
	s_delay_alu instid0(VALU_DEP_2)
	v_sub_nc_u32_e64 v34, v31, v54 clamp
	s_waitcnt lgkmcnt(6)
	ds_store_2addr_b64 v11, v[4:5], v[18:19] offset1:1
	s_waitcnt lgkmcnt(5)
	ds_store_2addr_b64 v11, v[28:29], v[22:23] offset0:2 offset1:3
	ds_store_b64 v13, v[52:53]
	s_waitcnt lgkmcnt(5)
	ds_store_2addr_b64 v11, v[32:33], v[16:17] offset0:4 offset1:5
	s_waitcnt lgkmcnt(4)
	ds_store_2addr_b64 v11, v[20:21], v[14:15] offset0:6 offset1:7
	; wave barrier
	v_cmpx_lt_u32_e64 v34, v35
	s_cbranch_execz .LBB1652_210
; %bb.207:
	v_add_nc_u32_e32 v11, v9, v30
	v_add3_u32 v13, v9, v27, v31
	s_mov_b32 s9, 0
	.p2align	6
.LBB1652_208:                           ; =>This Inner Loop Header: Depth=1
	v_add_nc_u32_e32 v38, v35, v34
	s_delay_alu instid0(VALU_DEP_1) | instskip(NEXT) | instid1(VALU_DEP_1)
	v_lshrrev_b32_e32 v38, 1, v38
	v_add_nc_u32_e32 v52, v11, v38
	v_xad_u32 v53, v38, -1, v13
	v_add_nc_u32_e32 v54, 1, v38
	ds_load_u8 v52, v52
	ds_load_u8 v53, v53
	s_waitcnt lgkmcnt(0)
	v_cmp_gt_u16_e64 s7, v52, v53
	s_delay_alu instid0(VALU_DEP_1) | instskip(SKIP_1) | instid1(VALU_DEP_1)
	v_cndmask_b32_e64 v35, v35, v38, s7
	v_cndmask_b32_e64 v34, v54, v34, s7
	v_cmp_ge_u32_e64 s7, v34, v35
	s_delay_alu instid0(VALU_DEP_1) | instskip(NEXT) | instid1(SALU_CYCLE_1)
	s_or_b32 s9, s7, s9
	s_and_not1_b32 exec_lo, exec_lo, s9
	s_cbranch_execnz .LBB1652_208
; %bb.209:
	s_or_b32 exec_lo, exec_lo, s9
.LBB1652_210:
	s_delay_alu instid0(SALU_CYCLE_1) | instskip(SKIP_2) | instid1(VALU_DEP_2)
	s_or_b32 exec_lo, exec_lo, s8
	v_add_nc_u32_e32 v11, v27, v31
	v_add_nc_u32_e32 v31, v34, v30
	v_sub_nc_u32_e32 v30, v11, v34
	s_delay_alu instid0(VALU_DEP_2) | instskip(NEXT) | instid1(VALU_DEP_2)
	v_cmp_le_u32_e64 s7, v31, v27
	v_cmp_le_u32_e64 s8, v30, v12
	s_delay_alu instid0(VALU_DEP_1) | instskip(NEXT) | instid1(SALU_CYCLE_1)
	s_or_b32 s7, s7, s8
	s_and_saveexec_b32 s18, s7
	s_cbranch_execz .LBB1652_216
; %bb.211:
	v_cmp_lt_u32_e64 s7, v31, v27
                                        ; implicit-def: $vgpr11
	s_delay_alu instid0(VALU_DEP_1)
	s_and_saveexec_b32 s8, s7
	s_cbranch_execz .LBB1652_213
; %bb.212:
	v_add_nc_u32_e32 v4, v9, v31
	ds_load_u8 v11, v4
.LBB1652_213:
	s_or_b32 exec_lo, exec_lo, s8
	v_cmp_ge_u32_e64 s8, v30, v12
	s_mov_b32 s10, exec_lo
                                        ; implicit-def: $vgpr13
	v_cmpx_lt_u32_e64 v30, v12
	s_cbranch_execz .LBB1652_215
; %bb.214:
	v_add_nc_u32_e32 v4, v9, v30
	ds_load_u8 v13, v4
.LBB1652_215:
	s_or_b32 exec_lo, exec_lo, s10
	s_waitcnt lgkmcnt(0)
	v_and_b32_e32 v4, 0xff, v13
	v_and_b32_e32 v5, 0xff, v11
	s_delay_alu instid0(VALU_DEP_1) | instskip(NEXT) | instid1(VALU_DEP_1)
	v_cmp_le_u16_e64 s9, v5, v4
	s_and_b32 s7, s7, s9
	s_delay_alu instid0(SALU_CYCLE_1) | instskip(NEXT) | instid1(SALU_CYCLE_1)
	s_or_b32 s7, s8, s7
	v_cndmask_b32_e64 v4, v30, v31, s7
	v_cndmask_b32_e64 v5, v12, v27, s7
	;; [unrolled: 1-line block ×3, first 2 shown]
	s_delay_alu instid0(VALU_DEP_3) | instskip(NEXT) | instid1(VALU_DEP_3)
	v_add_nc_u32_e32 v14, 1, v4
	v_add_nc_u32_e32 v5, -1, v5
	v_lshl_add_u32 v4, v4, 3, v10
	s_delay_alu instid0(VALU_DEP_2) | instskip(NEXT) | instid1(VALU_DEP_1)
	v_min_u32_e32 v5, v14, v5
	v_add_nc_u32_e32 v5, v9, v5
	ds_load_u8 v5, v5
	s_waitcnt lgkmcnt(0)
	v_cndmask_b32_e64 v25, v5, v13, s7
	v_cndmask_b32_e64 v26, v11, v5, s7
	;; [unrolled: 1-line block ×4, first 2 shown]
	s_delay_alu instid0(VALU_DEP_4) | instskip(NEXT) | instid1(VALU_DEP_4)
	v_and_b32_e32 v15, 0xff, v25
	v_and_b32_e32 v16, 0xff, v26
	s_delay_alu instid0(VALU_DEP_4) | instskip(NEXT) | instid1(VALU_DEP_4)
	v_cmp_lt_u32_e64 s8, v5, v27
	v_cmp_ge_u32_e64 s10, v14, v12
	s_delay_alu instid0(VALU_DEP_3) | instskip(NEXT) | instid1(VALU_DEP_1)
	v_cmp_le_u16_e64 s9, v16, v15
	s_and_b32 s8, s9, s8
	s_delay_alu instid0(VALU_DEP_2) | instid1(SALU_CYCLE_1)
	s_or_b32 s8, s10, s8
	s_delay_alu instid0(SALU_CYCLE_1) | instskip(SKIP_2) | instid1(VALU_DEP_3)
	v_cndmask_b32_e64 v15, v14, v5, s8
	v_cndmask_b32_e64 v16, v12, v27, s8
	;; [unrolled: 1-line block ×3, first 2 shown]
	v_add_nc_u32_e32 v17, 1, v15
	s_delay_alu instid0(VALU_DEP_3) | instskip(SKIP_1) | instid1(VALU_DEP_3)
	v_add_nc_u32_e32 v16, -1, v16
	v_lshl_add_u32 v15, v15, 3, v10
	v_cndmask_b32_e64 v5, v5, v17, s8
	s_delay_alu instid0(VALU_DEP_3) | instskip(SKIP_1) | instid1(VALU_DEP_3)
	v_min_u32_e32 v16, v17, v16
	v_cndmask_b32_e64 v14, v17, v14, s8
	v_cmp_lt_u32_e64 s9, v5, v27
	s_delay_alu instid0(VALU_DEP_3) | instskip(NEXT) | instid1(VALU_DEP_3)
	v_add_nc_u32_e32 v16, v9, v16
	v_cmp_ge_u32_e64 s11, v14, v12
	ds_load_u8 v16, v16
	s_waitcnt lgkmcnt(0)
	v_cndmask_b32_e64 v30, v16, v25, s8
	v_cndmask_b32_e64 v31, v26, v16, s8
	s_delay_alu instid0(VALU_DEP_2) | instskip(NEXT) | instid1(VALU_DEP_2)
	v_and_b32_e32 v16, 0xff, v30
	v_and_b32_e32 v18, 0xff, v31
	s_delay_alu instid0(VALU_DEP_1) | instskip(NEXT) | instid1(VALU_DEP_1)
	v_cmp_le_u16_e64 s10, v18, v16
	s_and_b32 s9, s10, s9
	s_delay_alu instid0(SALU_CYCLE_1) | instskip(NEXT) | instid1(SALU_CYCLE_1)
	s_or_b32 s9, s11, s9
	v_cndmask_b32_e64 v16, v14, v5, s9
	v_cndmask_b32_e64 v17, v12, v27, s9
	;; [unrolled: 1-line block ×3, first 2 shown]
	s_delay_alu instid0(VALU_DEP_3) | instskip(NEXT) | instid1(VALU_DEP_3)
	v_add_nc_u32_e32 v18, 1, v16
	v_add_nc_u32_e32 v17, -1, v17
	v_lshl_add_u32 v16, v16, 3, v10
	s_delay_alu instid0(VALU_DEP_3) | instskip(NEXT) | instid1(VALU_DEP_3)
	v_cndmask_b32_e64 v5, v5, v18, s9
	v_min_u32_e32 v17, v18, v17
	v_cndmask_b32_e64 v14, v18, v14, s9
	s_delay_alu instid0(VALU_DEP_3) | instskip(NEXT) | instid1(VALU_DEP_3)
	v_cmp_lt_u32_e64 s10, v5, v27
	v_add_nc_u32_e32 v17, v9, v17
	s_delay_alu instid0(VALU_DEP_3) | instskip(SKIP_4) | instid1(VALU_DEP_2)
	v_cmp_ge_u32_e64 s12, v14, v12
	ds_load_u8 v17, v17
	s_waitcnt lgkmcnt(0)
	v_cndmask_b32_e64 v34, v17, v30, s9
	v_cndmask_b32_e64 v35, v31, v17, s9
	v_and_b32_e32 v17, 0xff, v34
	s_delay_alu instid0(VALU_DEP_2) | instskip(NEXT) | instid1(VALU_DEP_1)
	v_and_b32_e32 v19, 0xff, v35
	v_cmp_le_u16_e64 s11, v19, v17
	s_delay_alu instid0(VALU_DEP_1) | instskip(NEXT) | instid1(SALU_CYCLE_1)
	s_and_b32 s10, s11, s10
	s_or_b32 s10, s12, s10
	s_delay_alu instid0(SALU_CYCLE_1) | instskip(SKIP_2) | instid1(VALU_DEP_3)
	v_cndmask_b32_e64 v17, v14, v5, s10
	v_cndmask_b32_e64 v18, v12, v27, s10
	;; [unrolled: 1-line block ×3, first 2 shown]
	v_add_nc_u32_e32 v19, 1, v17
	s_delay_alu instid0(VALU_DEP_3) | instskip(NEXT) | instid1(VALU_DEP_2)
	v_add_nc_u32_e32 v18, -1, v18
	v_cndmask_b32_e64 v5, v5, v19, s10
	s_delay_alu instid0(VALU_DEP_2) | instskip(SKIP_1) | instid1(VALU_DEP_3)
	v_min_u32_e32 v18, v19, v18
	v_cndmask_b32_e64 v14, v19, v14, s10
	v_cmp_lt_u32_e64 s11, v5, v27
	s_delay_alu instid0(VALU_DEP_3) | instskip(NEXT) | instid1(VALU_DEP_3)
	v_add_nc_u32_e32 v18, v9, v18
	v_cmp_ge_u32_e64 s13, v14, v12
	ds_load_u8 v18, v18
	s_waitcnt lgkmcnt(0)
	v_cndmask_b32_e64 v38, v18, v34, s10
	v_cndmask_b32_e64 v49, v35, v18, s10
	s_delay_alu instid0(VALU_DEP_2) | instskip(NEXT) | instid1(VALU_DEP_2)
	v_and_b32_e32 v18, 0xff, v38
	v_and_b32_e32 v20, 0xff, v49
	s_delay_alu instid0(VALU_DEP_1) | instskip(NEXT) | instid1(VALU_DEP_1)
	v_cmp_le_u16_e64 s12, v20, v18
	s_and_b32 s11, s12, s11
	s_delay_alu instid0(SALU_CYCLE_1) | instskip(NEXT) | instid1(SALU_CYCLE_1)
	s_or_b32 s11, s13, s11
	v_cndmask_b32_e64 v20, v14, v5, s11
	v_cndmask_b32_e64 v18, v12, v27, s11
	;; [unrolled: 1-line block ×3, first 2 shown]
	s_delay_alu instid0(VALU_DEP_3) | instskip(NEXT) | instid1(VALU_DEP_3)
	v_add_nc_u32_e32 v19, 1, v20
	v_add_nc_u32_e32 v18, -1, v18
	s_delay_alu instid0(VALU_DEP_2) | instskip(NEXT) | instid1(VALU_DEP_2)
	v_cndmask_b32_e64 v5, v5, v19, s11
	v_min_u32_e32 v18, v19, v18
	v_cndmask_b32_e64 v14, v19, v14, s11
	s_delay_alu instid0(VALU_DEP_3) | instskip(NEXT) | instid1(VALU_DEP_3)
	v_cmp_lt_u32_e64 s12, v5, v27
	v_add_nc_u32_e32 v18, v9, v18
	s_delay_alu instid0(VALU_DEP_3) | instskip(SKIP_4) | instid1(VALU_DEP_2)
	v_cmp_ge_u32_e64 s14, v14, v12
	ds_load_u8 v18, v18
	s_waitcnt lgkmcnt(0)
	v_cndmask_b32_e64 v50, v18, v38, s11
	v_cndmask_b32_e64 v51, v49, v18, s11
	v_and_b32_e32 v18, 0xff, v50
	s_delay_alu instid0(VALU_DEP_2) | instskip(NEXT) | instid1(VALU_DEP_1)
	v_and_b32_e32 v21, 0xff, v51
	v_cmp_le_u16_e64 s13, v21, v18
	s_delay_alu instid0(VALU_DEP_1) | instskip(NEXT) | instid1(SALU_CYCLE_1)
	s_and_b32 s12, s13, s12
	s_or_b32 s12, s14, s12
	s_delay_alu instid0(SALU_CYCLE_1) | instskip(SKIP_1) | instid1(VALU_DEP_2)
	v_cndmask_b32_e64 v21, v14, v5, s12
	v_cndmask_b32_e64 v18, v12, v27, s12
	v_add_nc_u32_e32 v19, 1, v21
	s_delay_alu instid0(VALU_DEP_2) | instskip(NEXT) | instid1(VALU_DEP_2)
	v_add_nc_u32_e32 v18, -1, v18
	v_cndmask_b32_e64 v5, v5, v19, s12
	s_delay_alu instid0(VALU_DEP_2) | instskip(SKIP_1) | instid1(VALU_DEP_3)
	v_min_u32_e32 v18, v19, v18
	v_cndmask_b32_e64 v14, v19, v14, s12
	v_cmp_lt_u32_e64 s13, v5, v27
	s_delay_alu instid0(VALU_DEP_3) | instskip(NEXT) | instid1(VALU_DEP_3)
	v_add_nc_u32_e32 v18, v9, v18
	v_cmp_ge_u32_e64 s15, v14, v12
	ds_load_u8 v18, v18
	s_waitcnt lgkmcnt(0)
	v_cndmask_b32_e64 v52, v18, v50, s12
	v_cndmask_b32_e64 v53, v51, v18, s12
	;; [unrolled: 1-line block ×3, first 2 shown]
	s_delay_alu instid0(VALU_DEP_3) | instskip(NEXT) | instid1(VALU_DEP_3)
	v_and_b32_e32 v18, 0xff, v52
	v_and_b32_e32 v22, 0xff, v53
	s_delay_alu instid0(VALU_DEP_1) | instskip(NEXT) | instid1(VALU_DEP_1)
	v_cmp_le_u16_e64 s14, v22, v18
	s_and_b32 s13, s14, s13
	s_delay_alu instid0(SALU_CYCLE_1) | instskip(NEXT) | instid1(SALU_CYCLE_1)
	s_or_b32 s13, s15, s13
	v_cndmask_b32_e64 v22, v14, v5, s13
	v_cndmask_b32_e64 v18, v12, v27, s13
	;; [unrolled: 1-line block ×3, first 2 shown]
	s_delay_alu instid0(VALU_DEP_3) | instskip(NEXT) | instid1(VALU_DEP_3)
	v_add_nc_u32_e32 v19, 1, v22
	v_add_nc_u32_e32 v18, -1, v18
	s_delay_alu instid0(VALU_DEP_2) | instskip(NEXT) | instid1(VALU_DEP_2)
	v_cndmask_b32_e64 v23, v5, v19, s13
	v_min_u32_e32 v18, v19, v18
	v_cndmask_b32_e64 v14, v19, v14, s13
	s_delay_alu instid0(VALU_DEP_3) | instskip(NEXT) | instid1(VALU_DEP_3)
	v_cmp_lt_u32_e64 s14, v23, v27
	v_add_nc_u32_e32 v9, v9, v18
	s_delay_alu instid0(VALU_DEP_3) | instskip(SKIP_4) | instid1(VALU_DEP_2)
	v_cmp_ge_u32_e64 s16, v14, v12
	ds_load_u8 v9, v9
	s_waitcnt lgkmcnt(0)
	v_cndmask_b32_e64 v54, v9, v52, s13
	v_cndmask_b32_e64 v9, v53, v9, s13
	v_and_b32_e32 v5, 0xff, v54
	s_delay_alu instid0(VALU_DEP_2) | instskip(NEXT) | instid1(VALU_DEP_1)
	v_and_b32_e32 v18, 0xff, v9
	v_cmp_le_u16_e64 s15, v18, v5
	ds_load_b64 v[4:5], v4 offset:2048
	ds_load_b64 v[18:19], v15 offset:2048
	v_lshl_add_u32 v15, v20, 3, v10
	ds_load_b64 v[28:29], v16 offset:2048
	v_lshl_add_u32 v16, v21, 3, v10
	s_and_b32 s14, s15, s14
	v_lshl_add_u32 v20, v22, 3, v10
	s_or_b32 s14, s16, s14
	s_delay_alu instid0(SALU_CYCLE_1) | instskip(SKIP_2) | instid1(VALU_DEP_3)
	v_cndmask_b32_e64 v12, v14, v23, s14
	v_lshl_add_u32 v14, v17, 3, v10
	v_cndmask_b32_e64 v50, v54, v9, s14
	v_lshl_add_u32 v10, v12, 3, v10
	ds_load_b64 v[22:23], v14 offset:2048
	ds_load_b64 v[32:33], v15 offset:2048
	;; [unrolled: 1-line block ×5, first 2 shown]
.LBB1652_216:
	s_or_b32 exec_lo, exec_lo, s18
	; wave barrier
	s_waitcnt lgkmcnt(0)
	s_waitcnt_vscnt null, 0x0
	s_barrier
.LBB1652_217:
	s_or_b32 exec_lo, exec_lo, s17
	v_add_co_u32 v2, s7, v2, v8
	s_delay_alu instid0(VALU_DEP_1) | instskip(SKIP_4) | instid1(VALU_DEP_1)
	v_add_co_ci_u32_e64 v3, s7, 0, v3, s7
	s_waitcnt vmcnt(0) lgkmcnt(0)
	s_waitcnt_vscnt null, 0x0
	buffer_gl0_inv
	v_add_co_u32 v2, s7, v2, v36
	v_add_co_ci_u32_e64 v3, s7, 0, v3, s7
	; wave barrier
	s_and_saveexec_b32 s7, vcc_lo
	s_cbranch_execnz .LBB1652_242
; %bb.218:
	s_or_b32 exec_lo, exec_lo, s7
	s_and_saveexec_b32 s7, s0
	s_cbranch_execnz .LBB1652_243
.LBB1652_219:
	s_or_b32 exec_lo, exec_lo, s7
	s_and_saveexec_b32 s7, s1
	s_cbranch_execnz .LBB1652_244
.LBB1652_220:
	s_or_b32 exec_lo, exec_lo, s7
	s_and_saveexec_b32 s7, s2
	s_cbranch_execnz .LBB1652_245
.LBB1652_221:
	s_or_b32 exec_lo, exec_lo, s7
	s_and_saveexec_b32 s7, s3
	s_cbranch_execnz .LBB1652_246
.LBB1652_222:
	s_or_b32 exec_lo, exec_lo, s7
	s_and_saveexec_b32 s7, s4
	s_cbranch_execnz .LBB1652_247
.LBB1652_223:
	s_or_b32 exec_lo, exec_lo, s7
	s_and_saveexec_b32 s7, s5
	s_cbranch_execnz .LBB1652_248
.LBB1652_224:
	s_or_b32 exec_lo, exec_lo, s7
	s_and_saveexec_b32 s7, s6
	s_cbranch_execz .LBB1652_226
.LBB1652_225:
	flat_store_b8 v[2:3], v50 offset:7
.LBB1652_226:
	s_or_b32 exec_lo, exec_lo, s7
	v_add_co_u32 v0, s7, v6, v0
	s_delay_alu instid0(VALU_DEP_1) | instskip(NEXT) | instid1(VALU_DEP_2)
	v_add_co_ci_u32_e64 v1, s7, v7, v1, s7
	v_add_co_u32 v0, s7, v0, v37
	s_delay_alu instid0(VALU_DEP_1)
	v_add_co_ci_u32_e64 v1, s7, 0, v1, s7
	; wave barrier
	s_and_saveexec_b32 s7, vcc_lo
	s_cbranch_execnz .LBB1652_249
; %bb.227:
	s_or_b32 exec_lo, exec_lo, s7
	s_and_saveexec_b32 s7, s0
	s_cbranch_execnz .LBB1652_250
.LBB1652_228:
	s_or_b32 exec_lo, exec_lo, s7
	s_and_saveexec_b32 s0, s1
	s_cbranch_execnz .LBB1652_251
.LBB1652_229:
	s_or_b32 exec_lo, exec_lo, s0
	s_and_saveexec_b32 s0, s2
	s_cbranch_execnz .LBB1652_252
.LBB1652_230:
	s_or_b32 exec_lo, exec_lo, s0
	s_and_saveexec_b32 s0, s3
	s_cbranch_execnz .LBB1652_253
.LBB1652_231:
	s_or_b32 exec_lo, exec_lo, s0
	s_and_saveexec_b32 s0, s4
	s_cbranch_execnz .LBB1652_254
.LBB1652_232:
	s_or_b32 exec_lo, exec_lo, s0
	s_and_saveexec_b32 s0, s5
	s_cbranch_execnz .LBB1652_255
.LBB1652_233:
	s_or_b32 exec_lo, exec_lo, s0
	s_and_saveexec_b32 s0, s6
	s_cbranch_execnz .LBB1652_256
.LBB1652_234:
	s_or_b32 exec_lo, exec_lo, s0
	s_waitcnt lgkmcnt(0)
	s_setpc_b64 s[30:31]
.LBB1652_235:
	flat_load_b64 v[4:5], v[34:35]
	s_or_b32 exec_lo, exec_lo, s7
	s_and_saveexec_b32 s7, s0
                                        ; implicit-def: $vgpr16_vgpr17_vgpr18_vgpr19
	s_cbranch_execz .LBB1652_18
.LBB1652_236:
	flat_load_b64 v[18:19], v[34:35] offset:8
	s_or_b32 exec_lo, exec_lo, s7
                                        ; implicit-def: $vgpr28_vgpr29
	s_and_saveexec_b32 s7, s1
	s_cbranch_execz .LBB1652_19
.LBB1652_237:
	flat_load_b64 v[28:29], v[34:35] offset:16
	s_or_b32 exec_lo, exec_lo, s7
	s_and_saveexec_b32 s7, s2
                                        ; implicit-def: $vgpr20_vgpr21_vgpr22_vgpr23
	s_cbranch_execz .LBB1652_20
.LBB1652_238:
	flat_load_b64 v[22:23], v[34:35] offset:24
	s_or_b32 exec_lo, exec_lo, s7
                                        ; implicit-def: $vgpr32_vgpr33
	s_and_saveexec_b32 s7, s3
	s_cbranch_execz .LBB1652_21
.LBB1652_239:
	flat_load_b64 v[32:33], v[34:35] offset:32
	s_or_b32 exec_lo, exec_lo, s7
	s_and_saveexec_b32 s7, s4
                                        ; implicit-def: $vgpr14_vgpr15_vgpr16_vgpr17
	s_cbranch_execz .LBB1652_22
.LBB1652_240:
	flat_load_b64 v[16:17], v[34:35] offset:40
	s_or_b32 exec_lo, exec_lo, s7
                                        ; implicit-def: $vgpr20_vgpr21
	s_and_saveexec_b32 s7, s5
	s_cbranch_execz .LBB1652_23
.LBB1652_241:
	flat_load_b64 v[20:21], v[34:35] offset:48
	s_or_b32 exec_lo, exec_lo, s7
	s_and_saveexec_b32 s7, s6
                                        ; implicit-def: $vgpr12_vgpr13_vgpr14_vgpr15
	s_cbranch_execnz .LBB1652_24
	s_branch .LBB1652_25
.LBB1652_242:
	flat_store_b8 v[2:3], v24
	s_or_b32 exec_lo, exec_lo, s7
	s_and_saveexec_b32 s7, s0
	s_cbranch_execz .LBB1652_219
.LBB1652_243:
	flat_store_b8 v[2:3], v39 offset:1
	s_or_b32 exec_lo, exec_lo, s7
	s_and_saveexec_b32 s7, s1
	s_cbranch_execz .LBB1652_220
.LBB1652_244:
	flat_store_b8 v[2:3], v48 offset:2
	s_or_b32 exec_lo, exec_lo, s7
	s_and_saveexec_b32 s7, s2
	s_cbranch_execz .LBB1652_221
.LBB1652_245:
	flat_store_b8 v[2:3], v26 offset:3
	s_or_b32 exec_lo, exec_lo, s7
	s_and_saveexec_b32 s7, s3
	s_cbranch_execz .LBB1652_222
.LBB1652_246:
	flat_store_b8 v[2:3], v25 offset:4
	s_or_b32 exec_lo, exec_lo, s7
	s_and_saveexec_b32 s7, s4
	s_cbranch_execz .LBB1652_223
.LBB1652_247:
	flat_store_b8 v[2:3], v51 offset:5
	s_or_b32 exec_lo, exec_lo, s7
	s_and_saveexec_b32 s7, s5
	s_cbranch_execz .LBB1652_224
.LBB1652_248:
	flat_store_b8 v[2:3], v49 offset:6
	s_or_b32 exec_lo, exec_lo, s7
	s_and_saveexec_b32 s7, s6
	s_cbranch_execnz .LBB1652_225
	s_branch .LBB1652_226
.LBB1652_249:
	flat_store_b64 v[0:1], v[4:5]
	s_or_b32 exec_lo, exec_lo, s7
	s_and_saveexec_b32 s7, s0
	s_cbranch_execz .LBB1652_228
.LBB1652_250:
	flat_store_b64 v[0:1], v[18:19] offset:8
	s_or_b32 exec_lo, exec_lo, s7
	s_and_saveexec_b32 s0, s1
	s_cbranch_execz .LBB1652_229
.LBB1652_251:
	flat_store_b64 v[0:1], v[28:29] offset:16
	s_or_b32 exec_lo, exec_lo, s0
	s_and_saveexec_b32 s0, s2
	s_cbranch_execz .LBB1652_230
.LBB1652_252:
	flat_store_b64 v[0:1], v[22:23] offset:24
	s_or_b32 exec_lo, exec_lo, s0
	s_and_saveexec_b32 s0, s3
	s_cbranch_execz .LBB1652_231
.LBB1652_253:
	flat_store_b64 v[0:1], v[32:33] offset:32
	s_or_b32 exec_lo, exec_lo, s0
	s_and_saveexec_b32 s0, s4
	s_cbranch_execz .LBB1652_232
.LBB1652_254:
	flat_store_b64 v[0:1], v[16:17] offset:40
	s_or_b32 exec_lo, exec_lo, s0
	s_and_saveexec_b32 s0, s5
	s_cbranch_execz .LBB1652_233
.LBB1652_255:
	flat_store_b64 v[0:1], v[20:21] offset:48
	s_or_b32 exec_lo, exec_lo, s0
	s_and_saveexec_b32 s0, s6
	s_cbranch_execz .LBB1652_234
.LBB1652_256:
	flat_store_b64 v[0:1], v[14:15] offset:56
	s_or_b32 exec_lo, exec_lo, s0
	s_waitcnt lgkmcnt(0)
	s_setpc_b64 s[30:31]
.Lfunc_end1652:
	.size	_ZN7rocprim17ROCPRIM_400000_NS6detail26segmented_warp_sort_helperINS1_20WarpSortHelperConfigILj16ELj8ELj256EEEblLi256ELb0EvE4sortIPKbPbPKlPlEEvT_T0_T1_T2_jjjjRNS5_12storage_typeE, .Lfunc_end1652-_ZN7rocprim17ROCPRIM_400000_NS6detail26segmented_warp_sort_helperINS1_20WarpSortHelperConfigILj16ELj8ELj256EEEblLi256ELb0EvE4sortIPKbPbPKlPlEEvT_T0_T1_T2_jjjjRNS5_12storage_typeE
                                        ; -- End function
	.section	.AMDGPU.csdata,"",@progbits
; Function info:
; codeLenInByte = 20536
; NumSgprs: 34
; NumVgprs: 71
; ScratchSize: 0
; MemoryBound: 0
	.section	.text._ZN7rocprim17ROCPRIM_400000_NS6detail17trampoline_kernelINS0_14default_configENS1_36segmented_radix_sort_config_selectorIblEEZNS1_25segmented_radix_sort_implIS3_Lb0EPKbPbPKlPlN2at6native12_GLOBAL__N_18offset_tEEE10hipError_tPvRmT1_PNSt15iterator_traitsISK_E10value_typeET2_T3_PNSL_ISQ_E10value_typeET4_jRbjT5_SW_jjP12ihipStream_tbEUlT_E0_NS1_11comp_targetILNS1_3genE9ELNS1_11target_archE1100ELNS1_3gpuE3ELNS1_3repE0EEENS1_60segmented_radix_sort_warp_sort_medium_config_static_selectorELNS0_4arch9wavefront6targetE0EEEvSK_,"axG",@progbits,_ZN7rocprim17ROCPRIM_400000_NS6detail17trampoline_kernelINS0_14default_configENS1_36segmented_radix_sort_config_selectorIblEEZNS1_25segmented_radix_sort_implIS3_Lb0EPKbPbPKlPlN2at6native12_GLOBAL__N_18offset_tEEE10hipError_tPvRmT1_PNSt15iterator_traitsISK_E10value_typeET2_T3_PNSL_ISQ_E10value_typeET4_jRbjT5_SW_jjP12ihipStream_tbEUlT_E0_NS1_11comp_targetILNS1_3genE9ELNS1_11target_archE1100ELNS1_3gpuE3ELNS1_3repE0EEENS1_60segmented_radix_sort_warp_sort_medium_config_static_selectorELNS0_4arch9wavefront6targetE0EEEvSK_,comdat
	.globl	_ZN7rocprim17ROCPRIM_400000_NS6detail17trampoline_kernelINS0_14default_configENS1_36segmented_radix_sort_config_selectorIblEEZNS1_25segmented_radix_sort_implIS3_Lb0EPKbPbPKlPlN2at6native12_GLOBAL__N_18offset_tEEE10hipError_tPvRmT1_PNSt15iterator_traitsISK_E10value_typeET2_T3_PNSL_ISQ_E10value_typeET4_jRbjT5_SW_jjP12ihipStream_tbEUlT_E0_NS1_11comp_targetILNS1_3genE9ELNS1_11target_archE1100ELNS1_3gpuE3ELNS1_3repE0EEENS1_60segmented_radix_sort_warp_sort_medium_config_static_selectorELNS0_4arch9wavefront6targetE0EEEvSK_ ; -- Begin function _ZN7rocprim17ROCPRIM_400000_NS6detail17trampoline_kernelINS0_14default_configENS1_36segmented_radix_sort_config_selectorIblEEZNS1_25segmented_radix_sort_implIS3_Lb0EPKbPbPKlPlN2at6native12_GLOBAL__N_18offset_tEEE10hipError_tPvRmT1_PNSt15iterator_traitsISK_E10value_typeET2_T3_PNSL_ISQ_E10value_typeET4_jRbjT5_SW_jjP12ihipStream_tbEUlT_E0_NS1_11comp_targetILNS1_3genE9ELNS1_11target_archE1100ELNS1_3gpuE3ELNS1_3repE0EEENS1_60segmented_radix_sort_warp_sort_medium_config_static_selectorELNS0_4arch9wavefront6targetE0EEEvSK_
	.p2align	8
	.type	_ZN7rocprim17ROCPRIM_400000_NS6detail17trampoline_kernelINS0_14default_configENS1_36segmented_radix_sort_config_selectorIblEEZNS1_25segmented_radix_sort_implIS3_Lb0EPKbPbPKlPlN2at6native12_GLOBAL__N_18offset_tEEE10hipError_tPvRmT1_PNSt15iterator_traitsISK_E10value_typeET2_T3_PNSL_ISQ_E10value_typeET4_jRbjT5_SW_jjP12ihipStream_tbEUlT_E0_NS1_11comp_targetILNS1_3genE9ELNS1_11target_archE1100ELNS1_3gpuE3ELNS1_3repE0EEENS1_60segmented_radix_sort_warp_sort_medium_config_static_selectorELNS0_4arch9wavefront6targetE0EEEvSK_,@function
_ZN7rocprim17ROCPRIM_400000_NS6detail17trampoline_kernelINS0_14default_configENS1_36segmented_radix_sort_config_selectorIblEEZNS1_25segmented_radix_sort_implIS3_Lb0EPKbPbPKlPlN2at6native12_GLOBAL__N_18offset_tEEE10hipError_tPvRmT1_PNSt15iterator_traitsISK_E10value_typeET2_T3_PNSL_ISQ_E10value_typeET4_jRbjT5_SW_jjP12ihipStream_tbEUlT_E0_NS1_11comp_targetILNS1_3genE9ELNS1_11target_archE1100ELNS1_3gpuE3ELNS1_3repE0EEENS1_60segmented_radix_sort_warp_sort_medium_config_static_selectorELNS0_4arch9wavefront6targetE0EEEvSK_: ; @_ZN7rocprim17ROCPRIM_400000_NS6detail17trampoline_kernelINS0_14default_configENS1_36segmented_radix_sort_config_selectorIblEEZNS1_25segmented_radix_sort_implIS3_Lb0EPKbPbPKlPlN2at6native12_GLOBAL__N_18offset_tEEE10hipError_tPvRmT1_PNSt15iterator_traitsISK_E10value_typeET2_T3_PNSL_ISQ_E10value_typeET4_jRbjT5_SW_jjP12ihipStream_tbEUlT_E0_NS1_11comp_targetILNS1_3genE9ELNS1_11target_archE1100ELNS1_3gpuE3ELNS1_3repE0EEENS1_60segmented_radix_sort_warp_sort_medium_config_static_selectorELNS0_4arch9wavefront6targetE0EEEvSK_
; %bb.0:
	s_load_b32 s2, s[0:1], 0x64
	v_bfe_u32 v1, v0, 10, 10
	v_bfe_u32 v2, v0, 20, 10
	s_mov_b32 s32, 0
	s_waitcnt lgkmcnt(0)
	s_lshr_b32 s3, s2, 16
	s_and_b32 s2, s2, 0xffff
	v_mad_u32_u24 v4, v2, s3, v1
	v_and_b32_e32 v1, 0x3ff, v0
	s_load_b32 s3, s[0:1], 0x34
	s_delay_alu instid0(VALU_DEP_1) | instskip(SKIP_1) | instid1(VALU_DEP_1)
	v_mad_u64_u32 v[2:3], null, v4, s2, v[1:2]
	s_mov_b32 s2, exec_lo
	v_lshrrev_b32_e32 v1, 4, v2
	s_delay_alu instid0(VALU_DEP_1) | instskip(SKIP_1) | instid1(VALU_DEP_1)
	v_lshl_add_u32 v1, s14, 4, v1
	s_waitcnt lgkmcnt(0)
	v_cmpx_gt_u32_e64 s3, v1
	s_cbranch_execz .LBB1653_6
; %bb.1:
	s_clause 0x1
	s_load_b64 s[2:3], s[0:1], 0x38
	s_load_b128 s[4:7], s[0:1], 0x40
	v_mov_b32_e32 v2, 0
	s_delay_alu instid0(VALU_DEP_1) | instskip(SKIP_1) | instid1(VALU_DEP_1)
	v_lshlrev_b64 v[1:2], 2, v[1:2]
	s_waitcnt lgkmcnt(0)
	v_add_co_u32 v1, vcc_lo, s2, v1
	s_delay_alu instid0(VALU_DEP_2) | instskip(SKIP_4) | instid1(VALU_DEP_2)
	v_add_co_ci_u32_e32 v2, vcc_lo, s3, v2, vcc_lo
	global_load_b32 v1, v[1:2], off
	s_waitcnt vmcnt(0)
	v_add_nc_u32_e32 v2, s5, v1
	v_add_nc_u32_e32 v1, s7, v1
	v_mul_lo_u32 v8, v2, s4
	s_delay_alu instid0(VALU_DEP_2) | instskip(NEXT) | instid1(VALU_DEP_1)
	v_mul_lo_u32 v40, v1, s6
	v_cmp_gt_u32_e32 vcc_lo, v40, v8
	s_and_b32 exec_lo, exec_lo, vcc_lo
	s_cbranch_execz .LBB1653_6
; %bb.2:
	s_clause 0x3
	s_load_b32 s2, s[0:1], 0x30
	s_load_b128 s[24:27], s[0:1], 0x20
	s_load_b256 s[36:43], s[0:1], 0x0
	s_load_b64 s[28:29], s[0:1], 0x50
	s_waitcnt lgkmcnt(0)
	s_bitcmp0_b32 s2, 0
	s_mov_b32 s2, -1
	s_cbranch_scc0 .LBB1653_4
; %bb.3:
	v_mov_b32_e32 v31, v0
	v_dual_mov_b32 v41, v0 :: v_dual_mov_b32 v2, s38
	v_dual_mov_b32 v0, s36 :: v_dual_mov_b32 v1, s37
	;; [unrolled: 1-line block ×5, first 2 shown]
	v_mov_b32_e32 v9, v40
	v_mov_b32_e32 v11, s29
	s_add_u32 s8, s0, 0x58
	s_addc_u32 s9, s1, 0
	s_mov_b32 s12, s14
	s_mov_b32 s13, s15
	s_getpc_b64 s[2:3]
	s_add_u32 s2, s2, _ZN7rocprim17ROCPRIM_400000_NS6detail26segmented_warp_sort_helperINS1_20WarpSortHelperConfigILj16ELj8ELj256EEEblLi256ELb0EvE4sortIPKbPbPKlPlEEvT_T0_T1_T2_jjjjRNS5_12storage_typeE@rel32@lo+4
	s_addc_u32 s3, s3, _ZN7rocprim17ROCPRIM_400000_NS6detail26segmented_warp_sort_helperINS1_20WarpSortHelperConfigILj16ELj8ELj256EEEblLi256ELb0EvE4sortIPKbPbPKlPlEEvT_T0_T1_T2_jjjjRNS5_12storage_typeE@rel32@hi+12
	s_mov_b64 s[24:25], s[0:1]
	s_mov_b32 s23, s15
	s_mov_b32 s33, s14
	s_swappc_b64 s[30:31], s[2:3]
	v_mov_b32_e32 v0, v41
	s_mov_b32 s14, s33
	s_mov_b32 s15, s23
	s_mov_b64 s[0:1], s[24:25]
	s_mov_b32 s2, 0
.LBB1653_4:
	s_delay_alu instid0(SALU_CYCLE_1)
	s_and_not1_b32 vcc_lo, exec_lo, s2
	s_cbranch_vccnz .LBB1653_6
; %bb.5:
	v_dual_mov_b32 v31, v0 :: v_dual_mov_b32 v0, s36
	v_dual_mov_b32 v1, s37 :: v_dual_mov_b32 v2, s40
	v_dual_mov_b32 v3, s41 :: v_dual_mov_b32 v4, s42
	v_dual_mov_b32 v5, s43 :: v_dual_mov_b32 v6, s26
	v_dual_mov_b32 v7, s27 :: v_dual_mov_b32 v10, s28
	v_mov_b32_e32 v9, v40
	v_mov_b32_e32 v11, s29
	s_add_u32 s8, s0, 0x58
	s_addc_u32 s9, s1, 0
	s_mov_b32 s12, s14
	s_mov_b32 s13, s15
	s_getpc_b64 s[0:1]
	s_add_u32 s0, s0, _ZN7rocprim17ROCPRIM_400000_NS6detail26segmented_warp_sort_helperINS1_20WarpSortHelperConfigILj16ELj8ELj256EEEblLi256ELb0EvE4sortIPKbPbPKlPlEEvT_T0_T1_T2_jjjjRNS5_12storage_typeE@rel32@lo+4
	s_addc_u32 s1, s1, _ZN7rocprim17ROCPRIM_400000_NS6detail26segmented_warp_sort_helperINS1_20WarpSortHelperConfigILj16ELj8ELj256EEEblLi256ELb0EvE4sortIPKbPbPKlPlEEvT_T0_T1_T2_jjjjRNS5_12storage_typeE@rel32@hi+12
	s_delay_alu instid0(SALU_CYCLE_1)
	s_swappc_b64 s[30:31], s[0:1]
.LBB1653_6:
	s_endpgm
	.section	.rodata,"a",@progbits
	.p2align	6, 0x0
	.amdhsa_kernel _ZN7rocprim17ROCPRIM_400000_NS6detail17trampoline_kernelINS0_14default_configENS1_36segmented_radix_sort_config_selectorIblEEZNS1_25segmented_radix_sort_implIS3_Lb0EPKbPbPKlPlN2at6native12_GLOBAL__N_18offset_tEEE10hipError_tPvRmT1_PNSt15iterator_traitsISK_E10value_typeET2_T3_PNSL_ISQ_E10value_typeET4_jRbjT5_SW_jjP12ihipStream_tbEUlT_E0_NS1_11comp_targetILNS1_3genE9ELNS1_11target_archE1100ELNS1_3gpuE3ELNS1_3repE0EEENS1_60segmented_radix_sort_warp_sort_medium_config_static_selectorELNS0_4arch9wavefront6targetE0EEEvSK_
		.amdhsa_group_segment_fixed_size 18432
		.amdhsa_private_segment_fixed_size 0
		.amdhsa_kernarg_size 344
		.amdhsa_user_sgpr_count 14
		.amdhsa_user_sgpr_dispatch_ptr 0
		.amdhsa_user_sgpr_queue_ptr 0
		.amdhsa_user_sgpr_kernarg_segment_ptr 1
		.amdhsa_user_sgpr_dispatch_id 0
		.amdhsa_user_sgpr_private_segment_size 0
		.amdhsa_wavefront_size32 1
		.amdhsa_uses_dynamic_stack 0
		.amdhsa_enable_private_segment 0
		.amdhsa_system_sgpr_workgroup_id_x 1
		.amdhsa_system_sgpr_workgroup_id_y 1
		.amdhsa_system_sgpr_workgroup_id_z 0
		.amdhsa_system_sgpr_workgroup_info 0
		.amdhsa_system_vgpr_workitem_id 2
		.amdhsa_next_free_vgpr 71
		.amdhsa_next_free_sgpr 44
		.amdhsa_reserve_vcc 1
		.amdhsa_float_round_mode_32 0
		.amdhsa_float_round_mode_16_64 0
		.amdhsa_float_denorm_mode_32 3
		.amdhsa_float_denorm_mode_16_64 3
		.amdhsa_dx10_clamp 1
		.amdhsa_ieee_mode 1
		.amdhsa_fp16_overflow 0
		.amdhsa_workgroup_processor_mode 1
		.amdhsa_memory_ordered 1
		.amdhsa_forward_progress 0
		.amdhsa_shared_vgpr_count 0
		.amdhsa_exception_fp_ieee_invalid_op 0
		.amdhsa_exception_fp_denorm_src 0
		.amdhsa_exception_fp_ieee_div_zero 0
		.amdhsa_exception_fp_ieee_overflow 0
		.amdhsa_exception_fp_ieee_underflow 0
		.amdhsa_exception_fp_ieee_inexact 0
		.amdhsa_exception_int_div_zero 0
	.end_amdhsa_kernel
	.section	.text._ZN7rocprim17ROCPRIM_400000_NS6detail17trampoline_kernelINS0_14default_configENS1_36segmented_radix_sort_config_selectorIblEEZNS1_25segmented_radix_sort_implIS3_Lb0EPKbPbPKlPlN2at6native12_GLOBAL__N_18offset_tEEE10hipError_tPvRmT1_PNSt15iterator_traitsISK_E10value_typeET2_T3_PNSL_ISQ_E10value_typeET4_jRbjT5_SW_jjP12ihipStream_tbEUlT_E0_NS1_11comp_targetILNS1_3genE9ELNS1_11target_archE1100ELNS1_3gpuE3ELNS1_3repE0EEENS1_60segmented_radix_sort_warp_sort_medium_config_static_selectorELNS0_4arch9wavefront6targetE0EEEvSK_,"axG",@progbits,_ZN7rocprim17ROCPRIM_400000_NS6detail17trampoline_kernelINS0_14default_configENS1_36segmented_radix_sort_config_selectorIblEEZNS1_25segmented_radix_sort_implIS3_Lb0EPKbPbPKlPlN2at6native12_GLOBAL__N_18offset_tEEE10hipError_tPvRmT1_PNSt15iterator_traitsISK_E10value_typeET2_T3_PNSL_ISQ_E10value_typeET4_jRbjT5_SW_jjP12ihipStream_tbEUlT_E0_NS1_11comp_targetILNS1_3genE9ELNS1_11target_archE1100ELNS1_3gpuE3ELNS1_3repE0EEENS1_60segmented_radix_sort_warp_sort_medium_config_static_selectorELNS0_4arch9wavefront6targetE0EEEvSK_,comdat
.Lfunc_end1653:
	.size	_ZN7rocprim17ROCPRIM_400000_NS6detail17trampoline_kernelINS0_14default_configENS1_36segmented_radix_sort_config_selectorIblEEZNS1_25segmented_radix_sort_implIS3_Lb0EPKbPbPKlPlN2at6native12_GLOBAL__N_18offset_tEEE10hipError_tPvRmT1_PNSt15iterator_traitsISK_E10value_typeET2_T3_PNSL_ISQ_E10value_typeET4_jRbjT5_SW_jjP12ihipStream_tbEUlT_E0_NS1_11comp_targetILNS1_3genE9ELNS1_11target_archE1100ELNS1_3gpuE3ELNS1_3repE0EEENS1_60segmented_radix_sort_warp_sort_medium_config_static_selectorELNS0_4arch9wavefront6targetE0EEEvSK_, .Lfunc_end1653-_ZN7rocprim17ROCPRIM_400000_NS6detail17trampoline_kernelINS0_14default_configENS1_36segmented_radix_sort_config_selectorIblEEZNS1_25segmented_radix_sort_implIS3_Lb0EPKbPbPKlPlN2at6native12_GLOBAL__N_18offset_tEEE10hipError_tPvRmT1_PNSt15iterator_traitsISK_E10value_typeET2_T3_PNSL_ISQ_E10value_typeET4_jRbjT5_SW_jjP12ihipStream_tbEUlT_E0_NS1_11comp_targetILNS1_3genE9ELNS1_11target_archE1100ELNS1_3gpuE3ELNS1_3repE0EEENS1_60segmented_radix_sort_warp_sort_medium_config_static_selectorELNS0_4arch9wavefront6targetE0EEEvSK_
                                        ; -- End function
	.section	.AMDGPU.csdata,"",@progbits
; Kernel info:
; codeLenInByte = 516
; NumSgprs: 46
; NumVgprs: 71
; ScratchSize: 0
; MemoryBound: 0
; FloatMode: 240
; IeeeMode: 1
; LDSByteSize: 18432 bytes/workgroup (compile time only)
; SGPRBlocks: 5
; VGPRBlocks: 8
; NumSGPRsForWavesPerEU: 46
; NumVGPRsForWavesPerEU: 71
; Occupancy: 14
; WaveLimiterHint : 0
; COMPUTE_PGM_RSRC2:SCRATCH_EN: 0
; COMPUTE_PGM_RSRC2:USER_SGPR: 14
; COMPUTE_PGM_RSRC2:TRAP_HANDLER: 0
; COMPUTE_PGM_RSRC2:TGID_X_EN: 1
; COMPUTE_PGM_RSRC2:TGID_Y_EN: 1
; COMPUTE_PGM_RSRC2:TGID_Z_EN: 0
; COMPUTE_PGM_RSRC2:TIDIG_COMP_CNT: 2
	.section	.text._ZN7rocprim17ROCPRIM_400000_NS6detail17trampoline_kernelINS0_14default_configENS1_36segmented_radix_sort_config_selectorIblEEZNS1_25segmented_radix_sort_implIS3_Lb0EPKbPbPKlPlN2at6native12_GLOBAL__N_18offset_tEEE10hipError_tPvRmT1_PNSt15iterator_traitsISK_E10value_typeET2_T3_PNSL_ISQ_E10value_typeET4_jRbjT5_SW_jjP12ihipStream_tbEUlT_E0_NS1_11comp_targetILNS1_3genE8ELNS1_11target_archE1030ELNS1_3gpuE2ELNS1_3repE0EEENS1_60segmented_radix_sort_warp_sort_medium_config_static_selectorELNS0_4arch9wavefront6targetE0EEEvSK_,"axG",@progbits,_ZN7rocprim17ROCPRIM_400000_NS6detail17trampoline_kernelINS0_14default_configENS1_36segmented_radix_sort_config_selectorIblEEZNS1_25segmented_radix_sort_implIS3_Lb0EPKbPbPKlPlN2at6native12_GLOBAL__N_18offset_tEEE10hipError_tPvRmT1_PNSt15iterator_traitsISK_E10value_typeET2_T3_PNSL_ISQ_E10value_typeET4_jRbjT5_SW_jjP12ihipStream_tbEUlT_E0_NS1_11comp_targetILNS1_3genE8ELNS1_11target_archE1030ELNS1_3gpuE2ELNS1_3repE0EEENS1_60segmented_radix_sort_warp_sort_medium_config_static_selectorELNS0_4arch9wavefront6targetE0EEEvSK_,comdat
	.globl	_ZN7rocprim17ROCPRIM_400000_NS6detail17trampoline_kernelINS0_14default_configENS1_36segmented_radix_sort_config_selectorIblEEZNS1_25segmented_radix_sort_implIS3_Lb0EPKbPbPKlPlN2at6native12_GLOBAL__N_18offset_tEEE10hipError_tPvRmT1_PNSt15iterator_traitsISK_E10value_typeET2_T3_PNSL_ISQ_E10value_typeET4_jRbjT5_SW_jjP12ihipStream_tbEUlT_E0_NS1_11comp_targetILNS1_3genE8ELNS1_11target_archE1030ELNS1_3gpuE2ELNS1_3repE0EEENS1_60segmented_radix_sort_warp_sort_medium_config_static_selectorELNS0_4arch9wavefront6targetE0EEEvSK_ ; -- Begin function _ZN7rocprim17ROCPRIM_400000_NS6detail17trampoline_kernelINS0_14default_configENS1_36segmented_radix_sort_config_selectorIblEEZNS1_25segmented_radix_sort_implIS3_Lb0EPKbPbPKlPlN2at6native12_GLOBAL__N_18offset_tEEE10hipError_tPvRmT1_PNSt15iterator_traitsISK_E10value_typeET2_T3_PNSL_ISQ_E10value_typeET4_jRbjT5_SW_jjP12ihipStream_tbEUlT_E0_NS1_11comp_targetILNS1_3genE8ELNS1_11target_archE1030ELNS1_3gpuE2ELNS1_3repE0EEENS1_60segmented_radix_sort_warp_sort_medium_config_static_selectorELNS0_4arch9wavefront6targetE0EEEvSK_
	.p2align	8
	.type	_ZN7rocprim17ROCPRIM_400000_NS6detail17trampoline_kernelINS0_14default_configENS1_36segmented_radix_sort_config_selectorIblEEZNS1_25segmented_radix_sort_implIS3_Lb0EPKbPbPKlPlN2at6native12_GLOBAL__N_18offset_tEEE10hipError_tPvRmT1_PNSt15iterator_traitsISK_E10value_typeET2_T3_PNSL_ISQ_E10value_typeET4_jRbjT5_SW_jjP12ihipStream_tbEUlT_E0_NS1_11comp_targetILNS1_3genE8ELNS1_11target_archE1030ELNS1_3gpuE2ELNS1_3repE0EEENS1_60segmented_radix_sort_warp_sort_medium_config_static_selectorELNS0_4arch9wavefront6targetE0EEEvSK_,@function
_ZN7rocprim17ROCPRIM_400000_NS6detail17trampoline_kernelINS0_14default_configENS1_36segmented_radix_sort_config_selectorIblEEZNS1_25segmented_radix_sort_implIS3_Lb0EPKbPbPKlPlN2at6native12_GLOBAL__N_18offset_tEEE10hipError_tPvRmT1_PNSt15iterator_traitsISK_E10value_typeET2_T3_PNSL_ISQ_E10value_typeET4_jRbjT5_SW_jjP12ihipStream_tbEUlT_E0_NS1_11comp_targetILNS1_3genE8ELNS1_11target_archE1030ELNS1_3gpuE2ELNS1_3repE0EEENS1_60segmented_radix_sort_warp_sort_medium_config_static_selectorELNS0_4arch9wavefront6targetE0EEEvSK_: ; @_ZN7rocprim17ROCPRIM_400000_NS6detail17trampoline_kernelINS0_14default_configENS1_36segmented_radix_sort_config_selectorIblEEZNS1_25segmented_radix_sort_implIS3_Lb0EPKbPbPKlPlN2at6native12_GLOBAL__N_18offset_tEEE10hipError_tPvRmT1_PNSt15iterator_traitsISK_E10value_typeET2_T3_PNSL_ISQ_E10value_typeET4_jRbjT5_SW_jjP12ihipStream_tbEUlT_E0_NS1_11comp_targetILNS1_3genE8ELNS1_11target_archE1030ELNS1_3gpuE2ELNS1_3repE0EEENS1_60segmented_radix_sort_warp_sort_medium_config_static_selectorELNS0_4arch9wavefront6targetE0EEEvSK_
; %bb.0:
	.section	.rodata,"a",@progbits
	.p2align	6, 0x0
	.amdhsa_kernel _ZN7rocprim17ROCPRIM_400000_NS6detail17trampoline_kernelINS0_14default_configENS1_36segmented_radix_sort_config_selectorIblEEZNS1_25segmented_radix_sort_implIS3_Lb0EPKbPbPKlPlN2at6native12_GLOBAL__N_18offset_tEEE10hipError_tPvRmT1_PNSt15iterator_traitsISK_E10value_typeET2_T3_PNSL_ISQ_E10value_typeET4_jRbjT5_SW_jjP12ihipStream_tbEUlT_E0_NS1_11comp_targetILNS1_3genE8ELNS1_11target_archE1030ELNS1_3gpuE2ELNS1_3repE0EEENS1_60segmented_radix_sort_warp_sort_medium_config_static_selectorELNS0_4arch9wavefront6targetE0EEEvSK_
		.amdhsa_group_segment_fixed_size 0
		.amdhsa_private_segment_fixed_size 0
		.amdhsa_kernarg_size 88
		.amdhsa_user_sgpr_count 15
		.amdhsa_user_sgpr_dispatch_ptr 0
		.amdhsa_user_sgpr_queue_ptr 0
		.amdhsa_user_sgpr_kernarg_segment_ptr 1
		.amdhsa_user_sgpr_dispatch_id 0
		.amdhsa_user_sgpr_private_segment_size 0
		.amdhsa_wavefront_size32 1
		.amdhsa_uses_dynamic_stack 0
		.amdhsa_enable_private_segment 0
		.amdhsa_system_sgpr_workgroup_id_x 1
		.amdhsa_system_sgpr_workgroup_id_y 0
		.amdhsa_system_sgpr_workgroup_id_z 0
		.amdhsa_system_sgpr_workgroup_info 0
		.amdhsa_system_vgpr_workitem_id 0
		.amdhsa_next_free_vgpr 1
		.amdhsa_next_free_sgpr 1
		.amdhsa_reserve_vcc 0
		.amdhsa_float_round_mode_32 0
		.amdhsa_float_round_mode_16_64 0
		.amdhsa_float_denorm_mode_32 3
		.amdhsa_float_denorm_mode_16_64 3
		.amdhsa_dx10_clamp 1
		.amdhsa_ieee_mode 1
		.amdhsa_fp16_overflow 0
		.amdhsa_workgroup_processor_mode 1
		.amdhsa_memory_ordered 1
		.amdhsa_forward_progress 0
		.amdhsa_shared_vgpr_count 0
		.amdhsa_exception_fp_ieee_invalid_op 0
		.amdhsa_exception_fp_denorm_src 0
		.amdhsa_exception_fp_ieee_div_zero 0
		.amdhsa_exception_fp_ieee_overflow 0
		.amdhsa_exception_fp_ieee_underflow 0
		.amdhsa_exception_fp_ieee_inexact 0
		.amdhsa_exception_int_div_zero 0
	.end_amdhsa_kernel
	.section	.text._ZN7rocprim17ROCPRIM_400000_NS6detail17trampoline_kernelINS0_14default_configENS1_36segmented_radix_sort_config_selectorIblEEZNS1_25segmented_radix_sort_implIS3_Lb0EPKbPbPKlPlN2at6native12_GLOBAL__N_18offset_tEEE10hipError_tPvRmT1_PNSt15iterator_traitsISK_E10value_typeET2_T3_PNSL_ISQ_E10value_typeET4_jRbjT5_SW_jjP12ihipStream_tbEUlT_E0_NS1_11comp_targetILNS1_3genE8ELNS1_11target_archE1030ELNS1_3gpuE2ELNS1_3repE0EEENS1_60segmented_radix_sort_warp_sort_medium_config_static_selectorELNS0_4arch9wavefront6targetE0EEEvSK_,"axG",@progbits,_ZN7rocprim17ROCPRIM_400000_NS6detail17trampoline_kernelINS0_14default_configENS1_36segmented_radix_sort_config_selectorIblEEZNS1_25segmented_radix_sort_implIS3_Lb0EPKbPbPKlPlN2at6native12_GLOBAL__N_18offset_tEEE10hipError_tPvRmT1_PNSt15iterator_traitsISK_E10value_typeET2_T3_PNSL_ISQ_E10value_typeET4_jRbjT5_SW_jjP12ihipStream_tbEUlT_E0_NS1_11comp_targetILNS1_3genE8ELNS1_11target_archE1030ELNS1_3gpuE2ELNS1_3repE0EEENS1_60segmented_radix_sort_warp_sort_medium_config_static_selectorELNS0_4arch9wavefront6targetE0EEEvSK_,comdat
.Lfunc_end1654:
	.size	_ZN7rocprim17ROCPRIM_400000_NS6detail17trampoline_kernelINS0_14default_configENS1_36segmented_radix_sort_config_selectorIblEEZNS1_25segmented_radix_sort_implIS3_Lb0EPKbPbPKlPlN2at6native12_GLOBAL__N_18offset_tEEE10hipError_tPvRmT1_PNSt15iterator_traitsISK_E10value_typeET2_T3_PNSL_ISQ_E10value_typeET4_jRbjT5_SW_jjP12ihipStream_tbEUlT_E0_NS1_11comp_targetILNS1_3genE8ELNS1_11target_archE1030ELNS1_3gpuE2ELNS1_3repE0EEENS1_60segmented_radix_sort_warp_sort_medium_config_static_selectorELNS0_4arch9wavefront6targetE0EEEvSK_, .Lfunc_end1654-_ZN7rocprim17ROCPRIM_400000_NS6detail17trampoline_kernelINS0_14default_configENS1_36segmented_radix_sort_config_selectorIblEEZNS1_25segmented_radix_sort_implIS3_Lb0EPKbPbPKlPlN2at6native12_GLOBAL__N_18offset_tEEE10hipError_tPvRmT1_PNSt15iterator_traitsISK_E10value_typeET2_T3_PNSL_ISQ_E10value_typeET4_jRbjT5_SW_jjP12ihipStream_tbEUlT_E0_NS1_11comp_targetILNS1_3genE8ELNS1_11target_archE1030ELNS1_3gpuE2ELNS1_3repE0EEENS1_60segmented_radix_sort_warp_sort_medium_config_static_selectorELNS0_4arch9wavefront6targetE0EEEvSK_
                                        ; -- End function
	.section	.AMDGPU.csdata,"",@progbits
; Kernel info:
; codeLenInByte = 0
; NumSgprs: 0
; NumVgprs: 0
; ScratchSize: 0
; MemoryBound: 0
; FloatMode: 240
; IeeeMode: 1
; LDSByteSize: 0 bytes/workgroup (compile time only)
; SGPRBlocks: 0
; VGPRBlocks: 0
; NumSGPRsForWavesPerEU: 1
; NumVGPRsForWavesPerEU: 1
; Occupancy: 16
; WaveLimiterHint : 0
; COMPUTE_PGM_RSRC2:SCRATCH_EN: 0
; COMPUTE_PGM_RSRC2:USER_SGPR: 15
; COMPUTE_PGM_RSRC2:TRAP_HANDLER: 0
; COMPUTE_PGM_RSRC2:TGID_X_EN: 1
; COMPUTE_PGM_RSRC2:TGID_Y_EN: 0
; COMPUTE_PGM_RSRC2:TGID_Z_EN: 0
; COMPUTE_PGM_RSRC2:TIDIG_COMP_CNT: 0
	.section	.text._ZN7rocprim17ROCPRIM_400000_NS6detail17trampoline_kernelINS0_14default_configENS1_36segmented_radix_sort_config_selectorIblEEZNS1_25segmented_radix_sort_implIS3_Lb0EPKbPbPKlPlN2at6native12_GLOBAL__N_18offset_tEEE10hipError_tPvRmT1_PNSt15iterator_traitsISK_E10value_typeET2_T3_PNSL_ISQ_E10value_typeET4_jRbjT5_SW_jjP12ihipStream_tbEUlT_E1_NS1_11comp_targetILNS1_3genE0ELNS1_11target_archE4294967295ELNS1_3gpuE0ELNS1_3repE0EEENS1_59segmented_radix_sort_warp_sort_small_config_static_selectorELNS0_4arch9wavefront6targetE0EEEvSK_,"axG",@progbits,_ZN7rocprim17ROCPRIM_400000_NS6detail17trampoline_kernelINS0_14default_configENS1_36segmented_radix_sort_config_selectorIblEEZNS1_25segmented_radix_sort_implIS3_Lb0EPKbPbPKlPlN2at6native12_GLOBAL__N_18offset_tEEE10hipError_tPvRmT1_PNSt15iterator_traitsISK_E10value_typeET2_T3_PNSL_ISQ_E10value_typeET4_jRbjT5_SW_jjP12ihipStream_tbEUlT_E1_NS1_11comp_targetILNS1_3genE0ELNS1_11target_archE4294967295ELNS1_3gpuE0ELNS1_3repE0EEENS1_59segmented_radix_sort_warp_sort_small_config_static_selectorELNS0_4arch9wavefront6targetE0EEEvSK_,comdat
	.globl	_ZN7rocprim17ROCPRIM_400000_NS6detail17trampoline_kernelINS0_14default_configENS1_36segmented_radix_sort_config_selectorIblEEZNS1_25segmented_radix_sort_implIS3_Lb0EPKbPbPKlPlN2at6native12_GLOBAL__N_18offset_tEEE10hipError_tPvRmT1_PNSt15iterator_traitsISK_E10value_typeET2_T3_PNSL_ISQ_E10value_typeET4_jRbjT5_SW_jjP12ihipStream_tbEUlT_E1_NS1_11comp_targetILNS1_3genE0ELNS1_11target_archE4294967295ELNS1_3gpuE0ELNS1_3repE0EEENS1_59segmented_radix_sort_warp_sort_small_config_static_selectorELNS0_4arch9wavefront6targetE0EEEvSK_ ; -- Begin function _ZN7rocprim17ROCPRIM_400000_NS6detail17trampoline_kernelINS0_14default_configENS1_36segmented_radix_sort_config_selectorIblEEZNS1_25segmented_radix_sort_implIS3_Lb0EPKbPbPKlPlN2at6native12_GLOBAL__N_18offset_tEEE10hipError_tPvRmT1_PNSt15iterator_traitsISK_E10value_typeET2_T3_PNSL_ISQ_E10value_typeET4_jRbjT5_SW_jjP12ihipStream_tbEUlT_E1_NS1_11comp_targetILNS1_3genE0ELNS1_11target_archE4294967295ELNS1_3gpuE0ELNS1_3repE0EEENS1_59segmented_radix_sort_warp_sort_small_config_static_selectorELNS0_4arch9wavefront6targetE0EEEvSK_
	.p2align	8
	.type	_ZN7rocprim17ROCPRIM_400000_NS6detail17trampoline_kernelINS0_14default_configENS1_36segmented_radix_sort_config_selectorIblEEZNS1_25segmented_radix_sort_implIS3_Lb0EPKbPbPKlPlN2at6native12_GLOBAL__N_18offset_tEEE10hipError_tPvRmT1_PNSt15iterator_traitsISK_E10value_typeET2_T3_PNSL_ISQ_E10value_typeET4_jRbjT5_SW_jjP12ihipStream_tbEUlT_E1_NS1_11comp_targetILNS1_3genE0ELNS1_11target_archE4294967295ELNS1_3gpuE0ELNS1_3repE0EEENS1_59segmented_radix_sort_warp_sort_small_config_static_selectorELNS0_4arch9wavefront6targetE0EEEvSK_,@function
_ZN7rocprim17ROCPRIM_400000_NS6detail17trampoline_kernelINS0_14default_configENS1_36segmented_radix_sort_config_selectorIblEEZNS1_25segmented_radix_sort_implIS3_Lb0EPKbPbPKlPlN2at6native12_GLOBAL__N_18offset_tEEE10hipError_tPvRmT1_PNSt15iterator_traitsISK_E10value_typeET2_T3_PNSL_ISQ_E10value_typeET4_jRbjT5_SW_jjP12ihipStream_tbEUlT_E1_NS1_11comp_targetILNS1_3genE0ELNS1_11target_archE4294967295ELNS1_3gpuE0ELNS1_3repE0EEENS1_59segmented_radix_sort_warp_sort_small_config_static_selectorELNS0_4arch9wavefront6targetE0EEEvSK_: ; @_ZN7rocprim17ROCPRIM_400000_NS6detail17trampoline_kernelINS0_14default_configENS1_36segmented_radix_sort_config_selectorIblEEZNS1_25segmented_radix_sort_implIS3_Lb0EPKbPbPKlPlN2at6native12_GLOBAL__N_18offset_tEEE10hipError_tPvRmT1_PNSt15iterator_traitsISK_E10value_typeET2_T3_PNSL_ISQ_E10value_typeET4_jRbjT5_SW_jjP12ihipStream_tbEUlT_E1_NS1_11comp_targetILNS1_3genE0ELNS1_11target_archE4294967295ELNS1_3gpuE0ELNS1_3repE0EEENS1_59segmented_radix_sort_warp_sort_small_config_static_selectorELNS0_4arch9wavefront6targetE0EEEvSK_
; %bb.0:
	.section	.rodata,"a",@progbits
	.p2align	6, 0x0
	.amdhsa_kernel _ZN7rocprim17ROCPRIM_400000_NS6detail17trampoline_kernelINS0_14default_configENS1_36segmented_radix_sort_config_selectorIblEEZNS1_25segmented_radix_sort_implIS3_Lb0EPKbPbPKlPlN2at6native12_GLOBAL__N_18offset_tEEE10hipError_tPvRmT1_PNSt15iterator_traitsISK_E10value_typeET2_T3_PNSL_ISQ_E10value_typeET4_jRbjT5_SW_jjP12ihipStream_tbEUlT_E1_NS1_11comp_targetILNS1_3genE0ELNS1_11target_archE4294967295ELNS1_3gpuE0ELNS1_3repE0EEENS1_59segmented_radix_sort_warp_sort_small_config_static_selectorELNS0_4arch9wavefront6targetE0EEEvSK_
		.amdhsa_group_segment_fixed_size 0
		.amdhsa_private_segment_fixed_size 0
		.amdhsa_kernarg_size 88
		.amdhsa_user_sgpr_count 15
		.amdhsa_user_sgpr_dispatch_ptr 0
		.amdhsa_user_sgpr_queue_ptr 0
		.amdhsa_user_sgpr_kernarg_segment_ptr 1
		.amdhsa_user_sgpr_dispatch_id 0
		.amdhsa_user_sgpr_private_segment_size 0
		.amdhsa_wavefront_size32 1
		.amdhsa_uses_dynamic_stack 0
		.amdhsa_enable_private_segment 0
		.amdhsa_system_sgpr_workgroup_id_x 1
		.amdhsa_system_sgpr_workgroup_id_y 0
		.amdhsa_system_sgpr_workgroup_id_z 0
		.amdhsa_system_sgpr_workgroup_info 0
		.amdhsa_system_vgpr_workitem_id 0
		.amdhsa_next_free_vgpr 1
		.amdhsa_next_free_sgpr 1
		.amdhsa_reserve_vcc 0
		.amdhsa_float_round_mode_32 0
		.amdhsa_float_round_mode_16_64 0
		.amdhsa_float_denorm_mode_32 3
		.amdhsa_float_denorm_mode_16_64 3
		.amdhsa_dx10_clamp 1
		.amdhsa_ieee_mode 1
		.amdhsa_fp16_overflow 0
		.amdhsa_workgroup_processor_mode 1
		.amdhsa_memory_ordered 1
		.amdhsa_forward_progress 0
		.amdhsa_shared_vgpr_count 0
		.amdhsa_exception_fp_ieee_invalid_op 0
		.amdhsa_exception_fp_denorm_src 0
		.amdhsa_exception_fp_ieee_div_zero 0
		.amdhsa_exception_fp_ieee_overflow 0
		.amdhsa_exception_fp_ieee_underflow 0
		.amdhsa_exception_fp_ieee_inexact 0
		.amdhsa_exception_int_div_zero 0
	.end_amdhsa_kernel
	.section	.text._ZN7rocprim17ROCPRIM_400000_NS6detail17trampoline_kernelINS0_14default_configENS1_36segmented_radix_sort_config_selectorIblEEZNS1_25segmented_radix_sort_implIS3_Lb0EPKbPbPKlPlN2at6native12_GLOBAL__N_18offset_tEEE10hipError_tPvRmT1_PNSt15iterator_traitsISK_E10value_typeET2_T3_PNSL_ISQ_E10value_typeET4_jRbjT5_SW_jjP12ihipStream_tbEUlT_E1_NS1_11comp_targetILNS1_3genE0ELNS1_11target_archE4294967295ELNS1_3gpuE0ELNS1_3repE0EEENS1_59segmented_radix_sort_warp_sort_small_config_static_selectorELNS0_4arch9wavefront6targetE0EEEvSK_,"axG",@progbits,_ZN7rocprim17ROCPRIM_400000_NS6detail17trampoline_kernelINS0_14default_configENS1_36segmented_radix_sort_config_selectorIblEEZNS1_25segmented_radix_sort_implIS3_Lb0EPKbPbPKlPlN2at6native12_GLOBAL__N_18offset_tEEE10hipError_tPvRmT1_PNSt15iterator_traitsISK_E10value_typeET2_T3_PNSL_ISQ_E10value_typeET4_jRbjT5_SW_jjP12ihipStream_tbEUlT_E1_NS1_11comp_targetILNS1_3genE0ELNS1_11target_archE4294967295ELNS1_3gpuE0ELNS1_3repE0EEENS1_59segmented_radix_sort_warp_sort_small_config_static_selectorELNS0_4arch9wavefront6targetE0EEEvSK_,comdat
.Lfunc_end1655:
	.size	_ZN7rocprim17ROCPRIM_400000_NS6detail17trampoline_kernelINS0_14default_configENS1_36segmented_radix_sort_config_selectorIblEEZNS1_25segmented_radix_sort_implIS3_Lb0EPKbPbPKlPlN2at6native12_GLOBAL__N_18offset_tEEE10hipError_tPvRmT1_PNSt15iterator_traitsISK_E10value_typeET2_T3_PNSL_ISQ_E10value_typeET4_jRbjT5_SW_jjP12ihipStream_tbEUlT_E1_NS1_11comp_targetILNS1_3genE0ELNS1_11target_archE4294967295ELNS1_3gpuE0ELNS1_3repE0EEENS1_59segmented_radix_sort_warp_sort_small_config_static_selectorELNS0_4arch9wavefront6targetE0EEEvSK_, .Lfunc_end1655-_ZN7rocprim17ROCPRIM_400000_NS6detail17trampoline_kernelINS0_14default_configENS1_36segmented_radix_sort_config_selectorIblEEZNS1_25segmented_radix_sort_implIS3_Lb0EPKbPbPKlPlN2at6native12_GLOBAL__N_18offset_tEEE10hipError_tPvRmT1_PNSt15iterator_traitsISK_E10value_typeET2_T3_PNSL_ISQ_E10value_typeET4_jRbjT5_SW_jjP12ihipStream_tbEUlT_E1_NS1_11comp_targetILNS1_3genE0ELNS1_11target_archE4294967295ELNS1_3gpuE0ELNS1_3repE0EEENS1_59segmented_radix_sort_warp_sort_small_config_static_selectorELNS0_4arch9wavefront6targetE0EEEvSK_
                                        ; -- End function
	.section	.AMDGPU.csdata,"",@progbits
; Kernel info:
; codeLenInByte = 0
; NumSgprs: 0
; NumVgprs: 0
; ScratchSize: 0
; MemoryBound: 0
; FloatMode: 240
; IeeeMode: 1
; LDSByteSize: 0 bytes/workgroup (compile time only)
; SGPRBlocks: 0
; VGPRBlocks: 0
; NumSGPRsForWavesPerEU: 1
; NumVGPRsForWavesPerEU: 1
; Occupancy: 16
; WaveLimiterHint : 0
; COMPUTE_PGM_RSRC2:SCRATCH_EN: 0
; COMPUTE_PGM_RSRC2:USER_SGPR: 15
; COMPUTE_PGM_RSRC2:TRAP_HANDLER: 0
; COMPUTE_PGM_RSRC2:TGID_X_EN: 1
; COMPUTE_PGM_RSRC2:TGID_Y_EN: 0
; COMPUTE_PGM_RSRC2:TGID_Z_EN: 0
; COMPUTE_PGM_RSRC2:TIDIG_COMP_CNT: 0
	.section	.text._ZN7rocprim17ROCPRIM_400000_NS6detail17trampoline_kernelINS0_14default_configENS1_36segmented_radix_sort_config_selectorIblEEZNS1_25segmented_radix_sort_implIS3_Lb0EPKbPbPKlPlN2at6native12_GLOBAL__N_18offset_tEEE10hipError_tPvRmT1_PNSt15iterator_traitsISK_E10value_typeET2_T3_PNSL_ISQ_E10value_typeET4_jRbjT5_SW_jjP12ihipStream_tbEUlT_E1_NS1_11comp_targetILNS1_3genE5ELNS1_11target_archE942ELNS1_3gpuE9ELNS1_3repE0EEENS1_59segmented_radix_sort_warp_sort_small_config_static_selectorELNS0_4arch9wavefront6targetE0EEEvSK_,"axG",@progbits,_ZN7rocprim17ROCPRIM_400000_NS6detail17trampoline_kernelINS0_14default_configENS1_36segmented_radix_sort_config_selectorIblEEZNS1_25segmented_radix_sort_implIS3_Lb0EPKbPbPKlPlN2at6native12_GLOBAL__N_18offset_tEEE10hipError_tPvRmT1_PNSt15iterator_traitsISK_E10value_typeET2_T3_PNSL_ISQ_E10value_typeET4_jRbjT5_SW_jjP12ihipStream_tbEUlT_E1_NS1_11comp_targetILNS1_3genE5ELNS1_11target_archE942ELNS1_3gpuE9ELNS1_3repE0EEENS1_59segmented_radix_sort_warp_sort_small_config_static_selectorELNS0_4arch9wavefront6targetE0EEEvSK_,comdat
	.globl	_ZN7rocprim17ROCPRIM_400000_NS6detail17trampoline_kernelINS0_14default_configENS1_36segmented_radix_sort_config_selectorIblEEZNS1_25segmented_radix_sort_implIS3_Lb0EPKbPbPKlPlN2at6native12_GLOBAL__N_18offset_tEEE10hipError_tPvRmT1_PNSt15iterator_traitsISK_E10value_typeET2_T3_PNSL_ISQ_E10value_typeET4_jRbjT5_SW_jjP12ihipStream_tbEUlT_E1_NS1_11comp_targetILNS1_3genE5ELNS1_11target_archE942ELNS1_3gpuE9ELNS1_3repE0EEENS1_59segmented_radix_sort_warp_sort_small_config_static_selectorELNS0_4arch9wavefront6targetE0EEEvSK_ ; -- Begin function _ZN7rocprim17ROCPRIM_400000_NS6detail17trampoline_kernelINS0_14default_configENS1_36segmented_radix_sort_config_selectorIblEEZNS1_25segmented_radix_sort_implIS3_Lb0EPKbPbPKlPlN2at6native12_GLOBAL__N_18offset_tEEE10hipError_tPvRmT1_PNSt15iterator_traitsISK_E10value_typeET2_T3_PNSL_ISQ_E10value_typeET4_jRbjT5_SW_jjP12ihipStream_tbEUlT_E1_NS1_11comp_targetILNS1_3genE5ELNS1_11target_archE942ELNS1_3gpuE9ELNS1_3repE0EEENS1_59segmented_radix_sort_warp_sort_small_config_static_selectorELNS0_4arch9wavefront6targetE0EEEvSK_
	.p2align	8
	.type	_ZN7rocprim17ROCPRIM_400000_NS6detail17trampoline_kernelINS0_14default_configENS1_36segmented_radix_sort_config_selectorIblEEZNS1_25segmented_radix_sort_implIS3_Lb0EPKbPbPKlPlN2at6native12_GLOBAL__N_18offset_tEEE10hipError_tPvRmT1_PNSt15iterator_traitsISK_E10value_typeET2_T3_PNSL_ISQ_E10value_typeET4_jRbjT5_SW_jjP12ihipStream_tbEUlT_E1_NS1_11comp_targetILNS1_3genE5ELNS1_11target_archE942ELNS1_3gpuE9ELNS1_3repE0EEENS1_59segmented_radix_sort_warp_sort_small_config_static_selectorELNS0_4arch9wavefront6targetE0EEEvSK_,@function
_ZN7rocprim17ROCPRIM_400000_NS6detail17trampoline_kernelINS0_14default_configENS1_36segmented_radix_sort_config_selectorIblEEZNS1_25segmented_radix_sort_implIS3_Lb0EPKbPbPKlPlN2at6native12_GLOBAL__N_18offset_tEEE10hipError_tPvRmT1_PNSt15iterator_traitsISK_E10value_typeET2_T3_PNSL_ISQ_E10value_typeET4_jRbjT5_SW_jjP12ihipStream_tbEUlT_E1_NS1_11comp_targetILNS1_3genE5ELNS1_11target_archE942ELNS1_3gpuE9ELNS1_3repE0EEENS1_59segmented_radix_sort_warp_sort_small_config_static_selectorELNS0_4arch9wavefront6targetE0EEEvSK_: ; @_ZN7rocprim17ROCPRIM_400000_NS6detail17trampoline_kernelINS0_14default_configENS1_36segmented_radix_sort_config_selectorIblEEZNS1_25segmented_radix_sort_implIS3_Lb0EPKbPbPKlPlN2at6native12_GLOBAL__N_18offset_tEEE10hipError_tPvRmT1_PNSt15iterator_traitsISK_E10value_typeET2_T3_PNSL_ISQ_E10value_typeET4_jRbjT5_SW_jjP12ihipStream_tbEUlT_E1_NS1_11comp_targetILNS1_3genE5ELNS1_11target_archE942ELNS1_3gpuE9ELNS1_3repE0EEENS1_59segmented_radix_sort_warp_sort_small_config_static_selectorELNS0_4arch9wavefront6targetE0EEEvSK_
; %bb.0:
	.section	.rodata,"a",@progbits
	.p2align	6, 0x0
	.amdhsa_kernel _ZN7rocprim17ROCPRIM_400000_NS6detail17trampoline_kernelINS0_14default_configENS1_36segmented_radix_sort_config_selectorIblEEZNS1_25segmented_radix_sort_implIS3_Lb0EPKbPbPKlPlN2at6native12_GLOBAL__N_18offset_tEEE10hipError_tPvRmT1_PNSt15iterator_traitsISK_E10value_typeET2_T3_PNSL_ISQ_E10value_typeET4_jRbjT5_SW_jjP12ihipStream_tbEUlT_E1_NS1_11comp_targetILNS1_3genE5ELNS1_11target_archE942ELNS1_3gpuE9ELNS1_3repE0EEENS1_59segmented_radix_sort_warp_sort_small_config_static_selectorELNS0_4arch9wavefront6targetE0EEEvSK_
		.amdhsa_group_segment_fixed_size 0
		.amdhsa_private_segment_fixed_size 0
		.amdhsa_kernarg_size 88
		.amdhsa_user_sgpr_count 15
		.amdhsa_user_sgpr_dispatch_ptr 0
		.amdhsa_user_sgpr_queue_ptr 0
		.amdhsa_user_sgpr_kernarg_segment_ptr 1
		.amdhsa_user_sgpr_dispatch_id 0
		.amdhsa_user_sgpr_private_segment_size 0
		.amdhsa_wavefront_size32 1
		.amdhsa_uses_dynamic_stack 0
		.amdhsa_enable_private_segment 0
		.amdhsa_system_sgpr_workgroup_id_x 1
		.amdhsa_system_sgpr_workgroup_id_y 0
		.amdhsa_system_sgpr_workgroup_id_z 0
		.amdhsa_system_sgpr_workgroup_info 0
		.amdhsa_system_vgpr_workitem_id 0
		.amdhsa_next_free_vgpr 1
		.amdhsa_next_free_sgpr 1
		.amdhsa_reserve_vcc 0
		.amdhsa_float_round_mode_32 0
		.amdhsa_float_round_mode_16_64 0
		.amdhsa_float_denorm_mode_32 3
		.amdhsa_float_denorm_mode_16_64 3
		.amdhsa_dx10_clamp 1
		.amdhsa_ieee_mode 1
		.amdhsa_fp16_overflow 0
		.amdhsa_workgroup_processor_mode 1
		.amdhsa_memory_ordered 1
		.amdhsa_forward_progress 0
		.amdhsa_shared_vgpr_count 0
		.amdhsa_exception_fp_ieee_invalid_op 0
		.amdhsa_exception_fp_denorm_src 0
		.amdhsa_exception_fp_ieee_div_zero 0
		.amdhsa_exception_fp_ieee_overflow 0
		.amdhsa_exception_fp_ieee_underflow 0
		.amdhsa_exception_fp_ieee_inexact 0
		.amdhsa_exception_int_div_zero 0
	.end_amdhsa_kernel
	.section	.text._ZN7rocprim17ROCPRIM_400000_NS6detail17trampoline_kernelINS0_14default_configENS1_36segmented_radix_sort_config_selectorIblEEZNS1_25segmented_radix_sort_implIS3_Lb0EPKbPbPKlPlN2at6native12_GLOBAL__N_18offset_tEEE10hipError_tPvRmT1_PNSt15iterator_traitsISK_E10value_typeET2_T3_PNSL_ISQ_E10value_typeET4_jRbjT5_SW_jjP12ihipStream_tbEUlT_E1_NS1_11comp_targetILNS1_3genE5ELNS1_11target_archE942ELNS1_3gpuE9ELNS1_3repE0EEENS1_59segmented_radix_sort_warp_sort_small_config_static_selectorELNS0_4arch9wavefront6targetE0EEEvSK_,"axG",@progbits,_ZN7rocprim17ROCPRIM_400000_NS6detail17trampoline_kernelINS0_14default_configENS1_36segmented_radix_sort_config_selectorIblEEZNS1_25segmented_radix_sort_implIS3_Lb0EPKbPbPKlPlN2at6native12_GLOBAL__N_18offset_tEEE10hipError_tPvRmT1_PNSt15iterator_traitsISK_E10value_typeET2_T3_PNSL_ISQ_E10value_typeET4_jRbjT5_SW_jjP12ihipStream_tbEUlT_E1_NS1_11comp_targetILNS1_3genE5ELNS1_11target_archE942ELNS1_3gpuE9ELNS1_3repE0EEENS1_59segmented_radix_sort_warp_sort_small_config_static_selectorELNS0_4arch9wavefront6targetE0EEEvSK_,comdat
.Lfunc_end1656:
	.size	_ZN7rocprim17ROCPRIM_400000_NS6detail17trampoline_kernelINS0_14default_configENS1_36segmented_radix_sort_config_selectorIblEEZNS1_25segmented_radix_sort_implIS3_Lb0EPKbPbPKlPlN2at6native12_GLOBAL__N_18offset_tEEE10hipError_tPvRmT1_PNSt15iterator_traitsISK_E10value_typeET2_T3_PNSL_ISQ_E10value_typeET4_jRbjT5_SW_jjP12ihipStream_tbEUlT_E1_NS1_11comp_targetILNS1_3genE5ELNS1_11target_archE942ELNS1_3gpuE9ELNS1_3repE0EEENS1_59segmented_radix_sort_warp_sort_small_config_static_selectorELNS0_4arch9wavefront6targetE0EEEvSK_, .Lfunc_end1656-_ZN7rocprim17ROCPRIM_400000_NS6detail17trampoline_kernelINS0_14default_configENS1_36segmented_radix_sort_config_selectorIblEEZNS1_25segmented_radix_sort_implIS3_Lb0EPKbPbPKlPlN2at6native12_GLOBAL__N_18offset_tEEE10hipError_tPvRmT1_PNSt15iterator_traitsISK_E10value_typeET2_T3_PNSL_ISQ_E10value_typeET4_jRbjT5_SW_jjP12ihipStream_tbEUlT_E1_NS1_11comp_targetILNS1_3genE5ELNS1_11target_archE942ELNS1_3gpuE9ELNS1_3repE0EEENS1_59segmented_radix_sort_warp_sort_small_config_static_selectorELNS0_4arch9wavefront6targetE0EEEvSK_
                                        ; -- End function
	.section	.AMDGPU.csdata,"",@progbits
; Kernel info:
; codeLenInByte = 0
; NumSgprs: 0
; NumVgprs: 0
; ScratchSize: 0
; MemoryBound: 0
; FloatMode: 240
; IeeeMode: 1
; LDSByteSize: 0 bytes/workgroup (compile time only)
; SGPRBlocks: 0
; VGPRBlocks: 0
; NumSGPRsForWavesPerEU: 1
; NumVGPRsForWavesPerEU: 1
; Occupancy: 16
; WaveLimiterHint : 0
; COMPUTE_PGM_RSRC2:SCRATCH_EN: 0
; COMPUTE_PGM_RSRC2:USER_SGPR: 15
; COMPUTE_PGM_RSRC2:TRAP_HANDLER: 0
; COMPUTE_PGM_RSRC2:TGID_X_EN: 1
; COMPUTE_PGM_RSRC2:TGID_Y_EN: 0
; COMPUTE_PGM_RSRC2:TGID_Z_EN: 0
; COMPUTE_PGM_RSRC2:TIDIG_COMP_CNT: 0
	.section	.text._ZN7rocprim17ROCPRIM_400000_NS6detail17trampoline_kernelINS0_14default_configENS1_36segmented_radix_sort_config_selectorIblEEZNS1_25segmented_radix_sort_implIS3_Lb0EPKbPbPKlPlN2at6native12_GLOBAL__N_18offset_tEEE10hipError_tPvRmT1_PNSt15iterator_traitsISK_E10value_typeET2_T3_PNSL_ISQ_E10value_typeET4_jRbjT5_SW_jjP12ihipStream_tbEUlT_E1_NS1_11comp_targetILNS1_3genE4ELNS1_11target_archE910ELNS1_3gpuE8ELNS1_3repE0EEENS1_59segmented_radix_sort_warp_sort_small_config_static_selectorELNS0_4arch9wavefront6targetE0EEEvSK_,"axG",@progbits,_ZN7rocprim17ROCPRIM_400000_NS6detail17trampoline_kernelINS0_14default_configENS1_36segmented_radix_sort_config_selectorIblEEZNS1_25segmented_radix_sort_implIS3_Lb0EPKbPbPKlPlN2at6native12_GLOBAL__N_18offset_tEEE10hipError_tPvRmT1_PNSt15iterator_traitsISK_E10value_typeET2_T3_PNSL_ISQ_E10value_typeET4_jRbjT5_SW_jjP12ihipStream_tbEUlT_E1_NS1_11comp_targetILNS1_3genE4ELNS1_11target_archE910ELNS1_3gpuE8ELNS1_3repE0EEENS1_59segmented_radix_sort_warp_sort_small_config_static_selectorELNS0_4arch9wavefront6targetE0EEEvSK_,comdat
	.globl	_ZN7rocprim17ROCPRIM_400000_NS6detail17trampoline_kernelINS0_14default_configENS1_36segmented_radix_sort_config_selectorIblEEZNS1_25segmented_radix_sort_implIS3_Lb0EPKbPbPKlPlN2at6native12_GLOBAL__N_18offset_tEEE10hipError_tPvRmT1_PNSt15iterator_traitsISK_E10value_typeET2_T3_PNSL_ISQ_E10value_typeET4_jRbjT5_SW_jjP12ihipStream_tbEUlT_E1_NS1_11comp_targetILNS1_3genE4ELNS1_11target_archE910ELNS1_3gpuE8ELNS1_3repE0EEENS1_59segmented_radix_sort_warp_sort_small_config_static_selectorELNS0_4arch9wavefront6targetE0EEEvSK_ ; -- Begin function _ZN7rocprim17ROCPRIM_400000_NS6detail17trampoline_kernelINS0_14default_configENS1_36segmented_radix_sort_config_selectorIblEEZNS1_25segmented_radix_sort_implIS3_Lb0EPKbPbPKlPlN2at6native12_GLOBAL__N_18offset_tEEE10hipError_tPvRmT1_PNSt15iterator_traitsISK_E10value_typeET2_T3_PNSL_ISQ_E10value_typeET4_jRbjT5_SW_jjP12ihipStream_tbEUlT_E1_NS1_11comp_targetILNS1_3genE4ELNS1_11target_archE910ELNS1_3gpuE8ELNS1_3repE0EEENS1_59segmented_radix_sort_warp_sort_small_config_static_selectorELNS0_4arch9wavefront6targetE0EEEvSK_
	.p2align	8
	.type	_ZN7rocprim17ROCPRIM_400000_NS6detail17trampoline_kernelINS0_14default_configENS1_36segmented_radix_sort_config_selectorIblEEZNS1_25segmented_radix_sort_implIS3_Lb0EPKbPbPKlPlN2at6native12_GLOBAL__N_18offset_tEEE10hipError_tPvRmT1_PNSt15iterator_traitsISK_E10value_typeET2_T3_PNSL_ISQ_E10value_typeET4_jRbjT5_SW_jjP12ihipStream_tbEUlT_E1_NS1_11comp_targetILNS1_3genE4ELNS1_11target_archE910ELNS1_3gpuE8ELNS1_3repE0EEENS1_59segmented_radix_sort_warp_sort_small_config_static_selectorELNS0_4arch9wavefront6targetE0EEEvSK_,@function
_ZN7rocprim17ROCPRIM_400000_NS6detail17trampoline_kernelINS0_14default_configENS1_36segmented_radix_sort_config_selectorIblEEZNS1_25segmented_radix_sort_implIS3_Lb0EPKbPbPKlPlN2at6native12_GLOBAL__N_18offset_tEEE10hipError_tPvRmT1_PNSt15iterator_traitsISK_E10value_typeET2_T3_PNSL_ISQ_E10value_typeET4_jRbjT5_SW_jjP12ihipStream_tbEUlT_E1_NS1_11comp_targetILNS1_3genE4ELNS1_11target_archE910ELNS1_3gpuE8ELNS1_3repE0EEENS1_59segmented_radix_sort_warp_sort_small_config_static_selectorELNS0_4arch9wavefront6targetE0EEEvSK_: ; @_ZN7rocprim17ROCPRIM_400000_NS6detail17trampoline_kernelINS0_14default_configENS1_36segmented_radix_sort_config_selectorIblEEZNS1_25segmented_radix_sort_implIS3_Lb0EPKbPbPKlPlN2at6native12_GLOBAL__N_18offset_tEEE10hipError_tPvRmT1_PNSt15iterator_traitsISK_E10value_typeET2_T3_PNSL_ISQ_E10value_typeET4_jRbjT5_SW_jjP12ihipStream_tbEUlT_E1_NS1_11comp_targetILNS1_3genE4ELNS1_11target_archE910ELNS1_3gpuE8ELNS1_3repE0EEENS1_59segmented_radix_sort_warp_sort_small_config_static_selectorELNS0_4arch9wavefront6targetE0EEEvSK_
; %bb.0:
	.section	.rodata,"a",@progbits
	.p2align	6, 0x0
	.amdhsa_kernel _ZN7rocprim17ROCPRIM_400000_NS6detail17trampoline_kernelINS0_14default_configENS1_36segmented_radix_sort_config_selectorIblEEZNS1_25segmented_radix_sort_implIS3_Lb0EPKbPbPKlPlN2at6native12_GLOBAL__N_18offset_tEEE10hipError_tPvRmT1_PNSt15iterator_traitsISK_E10value_typeET2_T3_PNSL_ISQ_E10value_typeET4_jRbjT5_SW_jjP12ihipStream_tbEUlT_E1_NS1_11comp_targetILNS1_3genE4ELNS1_11target_archE910ELNS1_3gpuE8ELNS1_3repE0EEENS1_59segmented_radix_sort_warp_sort_small_config_static_selectorELNS0_4arch9wavefront6targetE0EEEvSK_
		.amdhsa_group_segment_fixed_size 0
		.amdhsa_private_segment_fixed_size 0
		.amdhsa_kernarg_size 88
		.amdhsa_user_sgpr_count 15
		.amdhsa_user_sgpr_dispatch_ptr 0
		.amdhsa_user_sgpr_queue_ptr 0
		.amdhsa_user_sgpr_kernarg_segment_ptr 1
		.amdhsa_user_sgpr_dispatch_id 0
		.amdhsa_user_sgpr_private_segment_size 0
		.amdhsa_wavefront_size32 1
		.amdhsa_uses_dynamic_stack 0
		.amdhsa_enable_private_segment 0
		.amdhsa_system_sgpr_workgroup_id_x 1
		.amdhsa_system_sgpr_workgroup_id_y 0
		.amdhsa_system_sgpr_workgroup_id_z 0
		.amdhsa_system_sgpr_workgroup_info 0
		.amdhsa_system_vgpr_workitem_id 0
		.amdhsa_next_free_vgpr 1
		.amdhsa_next_free_sgpr 1
		.amdhsa_reserve_vcc 0
		.amdhsa_float_round_mode_32 0
		.amdhsa_float_round_mode_16_64 0
		.amdhsa_float_denorm_mode_32 3
		.amdhsa_float_denorm_mode_16_64 3
		.amdhsa_dx10_clamp 1
		.amdhsa_ieee_mode 1
		.amdhsa_fp16_overflow 0
		.amdhsa_workgroup_processor_mode 1
		.amdhsa_memory_ordered 1
		.amdhsa_forward_progress 0
		.amdhsa_shared_vgpr_count 0
		.amdhsa_exception_fp_ieee_invalid_op 0
		.amdhsa_exception_fp_denorm_src 0
		.amdhsa_exception_fp_ieee_div_zero 0
		.amdhsa_exception_fp_ieee_overflow 0
		.amdhsa_exception_fp_ieee_underflow 0
		.amdhsa_exception_fp_ieee_inexact 0
		.amdhsa_exception_int_div_zero 0
	.end_amdhsa_kernel
	.section	.text._ZN7rocprim17ROCPRIM_400000_NS6detail17trampoline_kernelINS0_14default_configENS1_36segmented_radix_sort_config_selectorIblEEZNS1_25segmented_radix_sort_implIS3_Lb0EPKbPbPKlPlN2at6native12_GLOBAL__N_18offset_tEEE10hipError_tPvRmT1_PNSt15iterator_traitsISK_E10value_typeET2_T3_PNSL_ISQ_E10value_typeET4_jRbjT5_SW_jjP12ihipStream_tbEUlT_E1_NS1_11comp_targetILNS1_3genE4ELNS1_11target_archE910ELNS1_3gpuE8ELNS1_3repE0EEENS1_59segmented_radix_sort_warp_sort_small_config_static_selectorELNS0_4arch9wavefront6targetE0EEEvSK_,"axG",@progbits,_ZN7rocprim17ROCPRIM_400000_NS6detail17trampoline_kernelINS0_14default_configENS1_36segmented_radix_sort_config_selectorIblEEZNS1_25segmented_radix_sort_implIS3_Lb0EPKbPbPKlPlN2at6native12_GLOBAL__N_18offset_tEEE10hipError_tPvRmT1_PNSt15iterator_traitsISK_E10value_typeET2_T3_PNSL_ISQ_E10value_typeET4_jRbjT5_SW_jjP12ihipStream_tbEUlT_E1_NS1_11comp_targetILNS1_3genE4ELNS1_11target_archE910ELNS1_3gpuE8ELNS1_3repE0EEENS1_59segmented_radix_sort_warp_sort_small_config_static_selectorELNS0_4arch9wavefront6targetE0EEEvSK_,comdat
.Lfunc_end1657:
	.size	_ZN7rocprim17ROCPRIM_400000_NS6detail17trampoline_kernelINS0_14default_configENS1_36segmented_radix_sort_config_selectorIblEEZNS1_25segmented_radix_sort_implIS3_Lb0EPKbPbPKlPlN2at6native12_GLOBAL__N_18offset_tEEE10hipError_tPvRmT1_PNSt15iterator_traitsISK_E10value_typeET2_T3_PNSL_ISQ_E10value_typeET4_jRbjT5_SW_jjP12ihipStream_tbEUlT_E1_NS1_11comp_targetILNS1_3genE4ELNS1_11target_archE910ELNS1_3gpuE8ELNS1_3repE0EEENS1_59segmented_radix_sort_warp_sort_small_config_static_selectorELNS0_4arch9wavefront6targetE0EEEvSK_, .Lfunc_end1657-_ZN7rocprim17ROCPRIM_400000_NS6detail17trampoline_kernelINS0_14default_configENS1_36segmented_radix_sort_config_selectorIblEEZNS1_25segmented_radix_sort_implIS3_Lb0EPKbPbPKlPlN2at6native12_GLOBAL__N_18offset_tEEE10hipError_tPvRmT1_PNSt15iterator_traitsISK_E10value_typeET2_T3_PNSL_ISQ_E10value_typeET4_jRbjT5_SW_jjP12ihipStream_tbEUlT_E1_NS1_11comp_targetILNS1_3genE4ELNS1_11target_archE910ELNS1_3gpuE8ELNS1_3repE0EEENS1_59segmented_radix_sort_warp_sort_small_config_static_selectorELNS0_4arch9wavefront6targetE0EEEvSK_
                                        ; -- End function
	.section	.AMDGPU.csdata,"",@progbits
; Kernel info:
; codeLenInByte = 0
; NumSgprs: 0
; NumVgprs: 0
; ScratchSize: 0
; MemoryBound: 0
; FloatMode: 240
; IeeeMode: 1
; LDSByteSize: 0 bytes/workgroup (compile time only)
; SGPRBlocks: 0
; VGPRBlocks: 0
; NumSGPRsForWavesPerEU: 1
; NumVGPRsForWavesPerEU: 1
; Occupancy: 16
; WaveLimiterHint : 0
; COMPUTE_PGM_RSRC2:SCRATCH_EN: 0
; COMPUTE_PGM_RSRC2:USER_SGPR: 15
; COMPUTE_PGM_RSRC2:TRAP_HANDLER: 0
; COMPUTE_PGM_RSRC2:TGID_X_EN: 1
; COMPUTE_PGM_RSRC2:TGID_Y_EN: 0
; COMPUTE_PGM_RSRC2:TGID_Z_EN: 0
; COMPUTE_PGM_RSRC2:TIDIG_COMP_CNT: 0
	.section	.text._ZN7rocprim17ROCPRIM_400000_NS6detail17trampoline_kernelINS0_14default_configENS1_36segmented_radix_sort_config_selectorIblEEZNS1_25segmented_radix_sort_implIS3_Lb0EPKbPbPKlPlN2at6native12_GLOBAL__N_18offset_tEEE10hipError_tPvRmT1_PNSt15iterator_traitsISK_E10value_typeET2_T3_PNSL_ISQ_E10value_typeET4_jRbjT5_SW_jjP12ihipStream_tbEUlT_E1_NS1_11comp_targetILNS1_3genE3ELNS1_11target_archE908ELNS1_3gpuE7ELNS1_3repE0EEENS1_59segmented_radix_sort_warp_sort_small_config_static_selectorELNS0_4arch9wavefront6targetE0EEEvSK_,"axG",@progbits,_ZN7rocprim17ROCPRIM_400000_NS6detail17trampoline_kernelINS0_14default_configENS1_36segmented_radix_sort_config_selectorIblEEZNS1_25segmented_radix_sort_implIS3_Lb0EPKbPbPKlPlN2at6native12_GLOBAL__N_18offset_tEEE10hipError_tPvRmT1_PNSt15iterator_traitsISK_E10value_typeET2_T3_PNSL_ISQ_E10value_typeET4_jRbjT5_SW_jjP12ihipStream_tbEUlT_E1_NS1_11comp_targetILNS1_3genE3ELNS1_11target_archE908ELNS1_3gpuE7ELNS1_3repE0EEENS1_59segmented_radix_sort_warp_sort_small_config_static_selectorELNS0_4arch9wavefront6targetE0EEEvSK_,comdat
	.globl	_ZN7rocprim17ROCPRIM_400000_NS6detail17trampoline_kernelINS0_14default_configENS1_36segmented_radix_sort_config_selectorIblEEZNS1_25segmented_radix_sort_implIS3_Lb0EPKbPbPKlPlN2at6native12_GLOBAL__N_18offset_tEEE10hipError_tPvRmT1_PNSt15iterator_traitsISK_E10value_typeET2_T3_PNSL_ISQ_E10value_typeET4_jRbjT5_SW_jjP12ihipStream_tbEUlT_E1_NS1_11comp_targetILNS1_3genE3ELNS1_11target_archE908ELNS1_3gpuE7ELNS1_3repE0EEENS1_59segmented_radix_sort_warp_sort_small_config_static_selectorELNS0_4arch9wavefront6targetE0EEEvSK_ ; -- Begin function _ZN7rocprim17ROCPRIM_400000_NS6detail17trampoline_kernelINS0_14default_configENS1_36segmented_radix_sort_config_selectorIblEEZNS1_25segmented_radix_sort_implIS3_Lb0EPKbPbPKlPlN2at6native12_GLOBAL__N_18offset_tEEE10hipError_tPvRmT1_PNSt15iterator_traitsISK_E10value_typeET2_T3_PNSL_ISQ_E10value_typeET4_jRbjT5_SW_jjP12ihipStream_tbEUlT_E1_NS1_11comp_targetILNS1_3genE3ELNS1_11target_archE908ELNS1_3gpuE7ELNS1_3repE0EEENS1_59segmented_radix_sort_warp_sort_small_config_static_selectorELNS0_4arch9wavefront6targetE0EEEvSK_
	.p2align	8
	.type	_ZN7rocprim17ROCPRIM_400000_NS6detail17trampoline_kernelINS0_14default_configENS1_36segmented_radix_sort_config_selectorIblEEZNS1_25segmented_radix_sort_implIS3_Lb0EPKbPbPKlPlN2at6native12_GLOBAL__N_18offset_tEEE10hipError_tPvRmT1_PNSt15iterator_traitsISK_E10value_typeET2_T3_PNSL_ISQ_E10value_typeET4_jRbjT5_SW_jjP12ihipStream_tbEUlT_E1_NS1_11comp_targetILNS1_3genE3ELNS1_11target_archE908ELNS1_3gpuE7ELNS1_3repE0EEENS1_59segmented_radix_sort_warp_sort_small_config_static_selectorELNS0_4arch9wavefront6targetE0EEEvSK_,@function
_ZN7rocprim17ROCPRIM_400000_NS6detail17trampoline_kernelINS0_14default_configENS1_36segmented_radix_sort_config_selectorIblEEZNS1_25segmented_radix_sort_implIS3_Lb0EPKbPbPKlPlN2at6native12_GLOBAL__N_18offset_tEEE10hipError_tPvRmT1_PNSt15iterator_traitsISK_E10value_typeET2_T3_PNSL_ISQ_E10value_typeET4_jRbjT5_SW_jjP12ihipStream_tbEUlT_E1_NS1_11comp_targetILNS1_3genE3ELNS1_11target_archE908ELNS1_3gpuE7ELNS1_3repE0EEENS1_59segmented_radix_sort_warp_sort_small_config_static_selectorELNS0_4arch9wavefront6targetE0EEEvSK_: ; @_ZN7rocprim17ROCPRIM_400000_NS6detail17trampoline_kernelINS0_14default_configENS1_36segmented_radix_sort_config_selectorIblEEZNS1_25segmented_radix_sort_implIS3_Lb0EPKbPbPKlPlN2at6native12_GLOBAL__N_18offset_tEEE10hipError_tPvRmT1_PNSt15iterator_traitsISK_E10value_typeET2_T3_PNSL_ISQ_E10value_typeET4_jRbjT5_SW_jjP12ihipStream_tbEUlT_E1_NS1_11comp_targetILNS1_3genE3ELNS1_11target_archE908ELNS1_3gpuE7ELNS1_3repE0EEENS1_59segmented_radix_sort_warp_sort_small_config_static_selectorELNS0_4arch9wavefront6targetE0EEEvSK_
; %bb.0:
	.section	.rodata,"a",@progbits
	.p2align	6, 0x0
	.amdhsa_kernel _ZN7rocprim17ROCPRIM_400000_NS6detail17trampoline_kernelINS0_14default_configENS1_36segmented_radix_sort_config_selectorIblEEZNS1_25segmented_radix_sort_implIS3_Lb0EPKbPbPKlPlN2at6native12_GLOBAL__N_18offset_tEEE10hipError_tPvRmT1_PNSt15iterator_traitsISK_E10value_typeET2_T3_PNSL_ISQ_E10value_typeET4_jRbjT5_SW_jjP12ihipStream_tbEUlT_E1_NS1_11comp_targetILNS1_3genE3ELNS1_11target_archE908ELNS1_3gpuE7ELNS1_3repE0EEENS1_59segmented_radix_sort_warp_sort_small_config_static_selectorELNS0_4arch9wavefront6targetE0EEEvSK_
		.amdhsa_group_segment_fixed_size 0
		.amdhsa_private_segment_fixed_size 0
		.amdhsa_kernarg_size 88
		.amdhsa_user_sgpr_count 15
		.amdhsa_user_sgpr_dispatch_ptr 0
		.amdhsa_user_sgpr_queue_ptr 0
		.amdhsa_user_sgpr_kernarg_segment_ptr 1
		.amdhsa_user_sgpr_dispatch_id 0
		.amdhsa_user_sgpr_private_segment_size 0
		.amdhsa_wavefront_size32 1
		.amdhsa_uses_dynamic_stack 0
		.amdhsa_enable_private_segment 0
		.amdhsa_system_sgpr_workgroup_id_x 1
		.amdhsa_system_sgpr_workgroup_id_y 0
		.amdhsa_system_sgpr_workgroup_id_z 0
		.amdhsa_system_sgpr_workgroup_info 0
		.amdhsa_system_vgpr_workitem_id 0
		.amdhsa_next_free_vgpr 1
		.amdhsa_next_free_sgpr 1
		.amdhsa_reserve_vcc 0
		.amdhsa_float_round_mode_32 0
		.amdhsa_float_round_mode_16_64 0
		.amdhsa_float_denorm_mode_32 3
		.amdhsa_float_denorm_mode_16_64 3
		.amdhsa_dx10_clamp 1
		.amdhsa_ieee_mode 1
		.amdhsa_fp16_overflow 0
		.amdhsa_workgroup_processor_mode 1
		.amdhsa_memory_ordered 1
		.amdhsa_forward_progress 0
		.amdhsa_shared_vgpr_count 0
		.amdhsa_exception_fp_ieee_invalid_op 0
		.amdhsa_exception_fp_denorm_src 0
		.amdhsa_exception_fp_ieee_div_zero 0
		.amdhsa_exception_fp_ieee_overflow 0
		.amdhsa_exception_fp_ieee_underflow 0
		.amdhsa_exception_fp_ieee_inexact 0
		.amdhsa_exception_int_div_zero 0
	.end_amdhsa_kernel
	.section	.text._ZN7rocprim17ROCPRIM_400000_NS6detail17trampoline_kernelINS0_14default_configENS1_36segmented_radix_sort_config_selectorIblEEZNS1_25segmented_radix_sort_implIS3_Lb0EPKbPbPKlPlN2at6native12_GLOBAL__N_18offset_tEEE10hipError_tPvRmT1_PNSt15iterator_traitsISK_E10value_typeET2_T3_PNSL_ISQ_E10value_typeET4_jRbjT5_SW_jjP12ihipStream_tbEUlT_E1_NS1_11comp_targetILNS1_3genE3ELNS1_11target_archE908ELNS1_3gpuE7ELNS1_3repE0EEENS1_59segmented_radix_sort_warp_sort_small_config_static_selectorELNS0_4arch9wavefront6targetE0EEEvSK_,"axG",@progbits,_ZN7rocprim17ROCPRIM_400000_NS6detail17trampoline_kernelINS0_14default_configENS1_36segmented_radix_sort_config_selectorIblEEZNS1_25segmented_radix_sort_implIS3_Lb0EPKbPbPKlPlN2at6native12_GLOBAL__N_18offset_tEEE10hipError_tPvRmT1_PNSt15iterator_traitsISK_E10value_typeET2_T3_PNSL_ISQ_E10value_typeET4_jRbjT5_SW_jjP12ihipStream_tbEUlT_E1_NS1_11comp_targetILNS1_3genE3ELNS1_11target_archE908ELNS1_3gpuE7ELNS1_3repE0EEENS1_59segmented_radix_sort_warp_sort_small_config_static_selectorELNS0_4arch9wavefront6targetE0EEEvSK_,comdat
.Lfunc_end1658:
	.size	_ZN7rocprim17ROCPRIM_400000_NS6detail17trampoline_kernelINS0_14default_configENS1_36segmented_radix_sort_config_selectorIblEEZNS1_25segmented_radix_sort_implIS3_Lb0EPKbPbPKlPlN2at6native12_GLOBAL__N_18offset_tEEE10hipError_tPvRmT1_PNSt15iterator_traitsISK_E10value_typeET2_T3_PNSL_ISQ_E10value_typeET4_jRbjT5_SW_jjP12ihipStream_tbEUlT_E1_NS1_11comp_targetILNS1_3genE3ELNS1_11target_archE908ELNS1_3gpuE7ELNS1_3repE0EEENS1_59segmented_radix_sort_warp_sort_small_config_static_selectorELNS0_4arch9wavefront6targetE0EEEvSK_, .Lfunc_end1658-_ZN7rocprim17ROCPRIM_400000_NS6detail17trampoline_kernelINS0_14default_configENS1_36segmented_radix_sort_config_selectorIblEEZNS1_25segmented_radix_sort_implIS3_Lb0EPKbPbPKlPlN2at6native12_GLOBAL__N_18offset_tEEE10hipError_tPvRmT1_PNSt15iterator_traitsISK_E10value_typeET2_T3_PNSL_ISQ_E10value_typeET4_jRbjT5_SW_jjP12ihipStream_tbEUlT_E1_NS1_11comp_targetILNS1_3genE3ELNS1_11target_archE908ELNS1_3gpuE7ELNS1_3repE0EEENS1_59segmented_radix_sort_warp_sort_small_config_static_selectorELNS0_4arch9wavefront6targetE0EEEvSK_
                                        ; -- End function
	.section	.AMDGPU.csdata,"",@progbits
; Kernel info:
; codeLenInByte = 0
; NumSgprs: 0
; NumVgprs: 0
; ScratchSize: 0
; MemoryBound: 0
; FloatMode: 240
; IeeeMode: 1
; LDSByteSize: 0 bytes/workgroup (compile time only)
; SGPRBlocks: 0
; VGPRBlocks: 0
; NumSGPRsForWavesPerEU: 1
; NumVGPRsForWavesPerEU: 1
; Occupancy: 16
; WaveLimiterHint : 0
; COMPUTE_PGM_RSRC2:SCRATCH_EN: 0
; COMPUTE_PGM_RSRC2:USER_SGPR: 15
; COMPUTE_PGM_RSRC2:TRAP_HANDLER: 0
; COMPUTE_PGM_RSRC2:TGID_X_EN: 1
; COMPUTE_PGM_RSRC2:TGID_Y_EN: 0
; COMPUTE_PGM_RSRC2:TGID_Z_EN: 0
; COMPUTE_PGM_RSRC2:TIDIG_COMP_CNT: 0
	.section	.text._ZN7rocprim17ROCPRIM_400000_NS6detail17trampoline_kernelINS0_14default_configENS1_36segmented_radix_sort_config_selectorIblEEZNS1_25segmented_radix_sort_implIS3_Lb0EPKbPbPKlPlN2at6native12_GLOBAL__N_18offset_tEEE10hipError_tPvRmT1_PNSt15iterator_traitsISK_E10value_typeET2_T3_PNSL_ISQ_E10value_typeET4_jRbjT5_SW_jjP12ihipStream_tbEUlT_E1_NS1_11comp_targetILNS1_3genE2ELNS1_11target_archE906ELNS1_3gpuE6ELNS1_3repE0EEENS1_59segmented_radix_sort_warp_sort_small_config_static_selectorELNS0_4arch9wavefront6targetE0EEEvSK_,"axG",@progbits,_ZN7rocprim17ROCPRIM_400000_NS6detail17trampoline_kernelINS0_14default_configENS1_36segmented_radix_sort_config_selectorIblEEZNS1_25segmented_radix_sort_implIS3_Lb0EPKbPbPKlPlN2at6native12_GLOBAL__N_18offset_tEEE10hipError_tPvRmT1_PNSt15iterator_traitsISK_E10value_typeET2_T3_PNSL_ISQ_E10value_typeET4_jRbjT5_SW_jjP12ihipStream_tbEUlT_E1_NS1_11comp_targetILNS1_3genE2ELNS1_11target_archE906ELNS1_3gpuE6ELNS1_3repE0EEENS1_59segmented_radix_sort_warp_sort_small_config_static_selectorELNS0_4arch9wavefront6targetE0EEEvSK_,comdat
	.globl	_ZN7rocprim17ROCPRIM_400000_NS6detail17trampoline_kernelINS0_14default_configENS1_36segmented_radix_sort_config_selectorIblEEZNS1_25segmented_radix_sort_implIS3_Lb0EPKbPbPKlPlN2at6native12_GLOBAL__N_18offset_tEEE10hipError_tPvRmT1_PNSt15iterator_traitsISK_E10value_typeET2_T3_PNSL_ISQ_E10value_typeET4_jRbjT5_SW_jjP12ihipStream_tbEUlT_E1_NS1_11comp_targetILNS1_3genE2ELNS1_11target_archE906ELNS1_3gpuE6ELNS1_3repE0EEENS1_59segmented_radix_sort_warp_sort_small_config_static_selectorELNS0_4arch9wavefront6targetE0EEEvSK_ ; -- Begin function _ZN7rocprim17ROCPRIM_400000_NS6detail17trampoline_kernelINS0_14default_configENS1_36segmented_radix_sort_config_selectorIblEEZNS1_25segmented_radix_sort_implIS3_Lb0EPKbPbPKlPlN2at6native12_GLOBAL__N_18offset_tEEE10hipError_tPvRmT1_PNSt15iterator_traitsISK_E10value_typeET2_T3_PNSL_ISQ_E10value_typeET4_jRbjT5_SW_jjP12ihipStream_tbEUlT_E1_NS1_11comp_targetILNS1_3genE2ELNS1_11target_archE906ELNS1_3gpuE6ELNS1_3repE0EEENS1_59segmented_radix_sort_warp_sort_small_config_static_selectorELNS0_4arch9wavefront6targetE0EEEvSK_
	.p2align	8
	.type	_ZN7rocprim17ROCPRIM_400000_NS6detail17trampoline_kernelINS0_14default_configENS1_36segmented_radix_sort_config_selectorIblEEZNS1_25segmented_radix_sort_implIS3_Lb0EPKbPbPKlPlN2at6native12_GLOBAL__N_18offset_tEEE10hipError_tPvRmT1_PNSt15iterator_traitsISK_E10value_typeET2_T3_PNSL_ISQ_E10value_typeET4_jRbjT5_SW_jjP12ihipStream_tbEUlT_E1_NS1_11comp_targetILNS1_3genE2ELNS1_11target_archE906ELNS1_3gpuE6ELNS1_3repE0EEENS1_59segmented_radix_sort_warp_sort_small_config_static_selectorELNS0_4arch9wavefront6targetE0EEEvSK_,@function
_ZN7rocprim17ROCPRIM_400000_NS6detail17trampoline_kernelINS0_14default_configENS1_36segmented_radix_sort_config_selectorIblEEZNS1_25segmented_radix_sort_implIS3_Lb0EPKbPbPKlPlN2at6native12_GLOBAL__N_18offset_tEEE10hipError_tPvRmT1_PNSt15iterator_traitsISK_E10value_typeET2_T3_PNSL_ISQ_E10value_typeET4_jRbjT5_SW_jjP12ihipStream_tbEUlT_E1_NS1_11comp_targetILNS1_3genE2ELNS1_11target_archE906ELNS1_3gpuE6ELNS1_3repE0EEENS1_59segmented_radix_sort_warp_sort_small_config_static_selectorELNS0_4arch9wavefront6targetE0EEEvSK_: ; @_ZN7rocprim17ROCPRIM_400000_NS6detail17trampoline_kernelINS0_14default_configENS1_36segmented_radix_sort_config_selectorIblEEZNS1_25segmented_radix_sort_implIS3_Lb0EPKbPbPKlPlN2at6native12_GLOBAL__N_18offset_tEEE10hipError_tPvRmT1_PNSt15iterator_traitsISK_E10value_typeET2_T3_PNSL_ISQ_E10value_typeET4_jRbjT5_SW_jjP12ihipStream_tbEUlT_E1_NS1_11comp_targetILNS1_3genE2ELNS1_11target_archE906ELNS1_3gpuE6ELNS1_3repE0EEENS1_59segmented_radix_sort_warp_sort_small_config_static_selectorELNS0_4arch9wavefront6targetE0EEEvSK_
; %bb.0:
	.section	.rodata,"a",@progbits
	.p2align	6, 0x0
	.amdhsa_kernel _ZN7rocprim17ROCPRIM_400000_NS6detail17trampoline_kernelINS0_14default_configENS1_36segmented_radix_sort_config_selectorIblEEZNS1_25segmented_radix_sort_implIS3_Lb0EPKbPbPKlPlN2at6native12_GLOBAL__N_18offset_tEEE10hipError_tPvRmT1_PNSt15iterator_traitsISK_E10value_typeET2_T3_PNSL_ISQ_E10value_typeET4_jRbjT5_SW_jjP12ihipStream_tbEUlT_E1_NS1_11comp_targetILNS1_3genE2ELNS1_11target_archE906ELNS1_3gpuE6ELNS1_3repE0EEENS1_59segmented_radix_sort_warp_sort_small_config_static_selectorELNS0_4arch9wavefront6targetE0EEEvSK_
		.amdhsa_group_segment_fixed_size 0
		.amdhsa_private_segment_fixed_size 0
		.amdhsa_kernarg_size 88
		.amdhsa_user_sgpr_count 15
		.amdhsa_user_sgpr_dispatch_ptr 0
		.amdhsa_user_sgpr_queue_ptr 0
		.amdhsa_user_sgpr_kernarg_segment_ptr 1
		.amdhsa_user_sgpr_dispatch_id 0
		.amdhsa_user_sgpr_private_segment_size 0
		.amdhsa_wavefront_size32 1
		.amdhsa_uses_dynamic_stack 0
		.amdhsa_enable_private_segment 0
		.amdhsa_system_sgpr_workgroup_id_x 1
		.amdhsa_system_sgpr_workgroup_id_y 0
		.amdhsa_system_sgpr_workgroup_id_z 0
		.amdhsa_system_sgpr_workgroup_info 0
		.amdhsa_system_vgpr_workitem_id 0
		.amdhsa_next_free_vgpr 1
		.amdhsa_next_free_sgpr 1
		.amdhsa_reserve_vcc 0
		.amdhsa_float_round_mode_32 0
		.amdhsa_float_round_mode_16_64 0
		.amdhsa_float_denorm_mode_32 3
		.amdhsa_float_denorm_mode_16_64 3
		.amdhsa_dx10_clamp 1
		.amdhsa_ieee_mode 1
		.amdhsa_fp16_overflow 0
		.amdhsa_workgroup_processor_mode 1
		.amdhsa_memory_ordered 1
		.amdhsa_forward_progress 0
		.amdhsa_shared_vgpr_count 0
		.amdhsa_exception_fp_ieee_invalid_op 0
		.amdhsa_exception_fp_denorm_src 0
		.amdhsa_exception_fp_ieee_div_zero 0
		.amdhsa_exception_fp_ieee_overflow 0
		.amdhsa_exception_fp_ieee_underflow 0
		.amdhsa_exception_fp_ieee_inexact 0
		.amdhsa_exception_int_div_zero 0
	.end_amdhsa_kernel
	.section	.text._ZN7rocprim17ROCPRIM_400000_NS6detail17trampoline_kernelINS0_14default_configENS1_36segmented_radix_sort_config_selectorIblEEZNS1_25segmented_radix_sort_implIS3_Lb0EPKbPbPKlPlN2at6native12_GLOBAL__N_18offset_tEEE10hipError_tPvRmT1_PNSt15iterator_traitsISK_E10value_typeET2_T3_PNSL_ISQ_E10value_typeET4_jRbjT5_SW_jjP12ihipStream_tbEUlT_E1_NS1_11comp_targetILNS1_3genE2ELNS1_11target_archE906ELNS1_3gpuE6ELNS1_3repE0EEENS1_59segmented_radix_sort_warp_sort_small_config_static_selectorELNS0_4arch9wavefront6targetE0EEEvSK_,"axG",@progbits,_ZN7rocprim17ROCPRIM_400000_NS6detail17trampoline_kernelINS0_14default_configENS1_36segmented_radix_sort_config_selectorIblEEZNS1_25segmented_radix_sort_implIS3_Lb0EPKbPbPKlPlN2at6native12_GLOBAL__N_18offset_tEEE10hipError_tPvRmT1_PNSt15iterator_traitsISK_E10value_typeET2_T3_PNSL_ISQ_E10value_typeET4_jRbjT5_SW_jjP12ihipStream_tbEUlT_E1_NS1_11comp_targetILNS1_3genE2ELNS1_11target_archE906ELNS1_3gpuE6ELNS1_3repE0EEENS1_59segmented_radix_sort_warp_sort_small_config_static_selectorELNS0_4arch9wavefront6targetE0EEEvSK_,comdat
.Lfunc_end1659:
	.size	_ZN7rocprim17ROCPRIM_400000_NS6detail17trampoline_kernelINS0_14default_configENS1_36segmented_radix_sort_config_selectorIblEEZNS1_25segmented_radix_sort_implIS3_Lb0EPKbPbPKlPlN2at6native12_GLOBAL__N_18offset_tEEE10hipError_tPvRmT1_PNSt15iterator_traitsISK_E10value_typeET2_T3_PNSL_ISQ_E10value_typeET4_jRbjT5_SW_jjP12ihipStream_tbEUlT_E1_NS1_11comp_targetILNS1_3genE2ELNS1_11target_archE906ELNS1_3gpuE6ELNS1_3repE0EEENS1_59segmented_radix_sort_warp_sort_small_config_static_selectorELNS0_4arch9wavefront6targetE0EEEvSK_, .Lfunc_end1659-_ZN7rocprim17ROCPRIM_400000_NS6detail17trampoline_kernelINS0_14default_configENS1_36segmented_radix_sort_config_selectorIblEEZNS1_25segmented_radix_sort_implIS3_Lb0EPKbPbPKlPlN2at6native12_GLOBAL__N_18offset_tEEE10hipError_tPvRmT1_PNSt15iterator_traitsISK_E10value_typeET2_T3_PNSL_ISQ_E10value_typeET4_jRbjT5_SW_jjP12ihipStream_tbEUlT_E1_NS1_11comp_targetILNS1_3genE2ELNS1_11target_archE906ELNS1_3gpuE6ELNS1_3repE0EEENS1_59segmented_radix_sort_warp_sort_small_config_static_selectorELNS0_4arch9wavefront6targetE0EEEvSK_
                                        ; -- End function
	.section	.AMDGPU.csdata,"",@progbits
; Kernel info:
; codeLenInByte = 0
; NumSgprs: 0
; NumVgprs: 0
; ScratchSize: 0
; MemoryBound: 0
; FloatMode: 240
; IeeeMode: 1
; LDSByteSize: 0 bytes/workgroup (compile time only)
; SGPRBlocks: 0
; VGPRBlocks: 0
; NumSGPRsForWavesPerEU: 1
; NumVGPRsForWavesPerEU: 1
; Occupancy: 16
; WaveLimiterHint : 0
; COMPUTE_PGM_RSRC2:SCRATCH_EN: 0
; COMPUTE_PGM_RSRC2:USER_SGPR: 15
; COMPUTE_PGM_RSRC2:TRAP_HANDLER: 0
; COMPUTE_PGM_RSRC2:TGID_X_EN: 1
; COMPUTE_PGM_RSRC2:TGID_Y_EN: 0
; COMPUTE_PGM_RSRC2:TGID_Z_EN: 0
; COMPUTE_PGM_RSRC2:TIDIG_COMP_CNT: 0
	.section	.text._ZN7rocprim17ROCPRIM_400000_NS6detail17trampoline_kernelINS0_14default_configENS1_36segmented_radix_sort_config_selectorIblEEZNS1_25segmented_radix_sort_implIS3_Lb0EPKbPbPKlPlN2at6native12_GLOBAL__N_18offset_tEEE10hipError_tPvRmT1_PNSt15iterator_traitsISK_E10value_typeET2_T3_PNSL_ISQ_E10value_typeET4_jRbjT5_SW_jjP12ihipStream_tbEUlT_E1_NS1_11comp_targetILNS1_3genE10ELNS1_11target_archE1201ELNS1_3gpuE5ELNS1_3repE0EEENS1_59segmented_radix_sort_warp_sort_small_config_static_selectorELNS0_4arch9wavefront6targetE0EEEvSK_,"axG",@progbits,_ZN7rocprim17ROCPRIM_400000_NS6detail17trampoline_kernelINS0_14default_configENS1_36segmented_radix_sort_config_selectorIblEEZNS1_25segmented_radix_sort_implIS3_Lb0EPKbPbPKlPlN2at6native12_GLOBAL__N_18offset_tEEE10hipError_tPvRmT1_PNSt15iterator_traitsISK_E10value_typeET2_T3_PNSL_ISQ_E10value_typeET4_jRbjT5_SW_jjP12ihipStream_tbEUlT_E1_NS1_11comp_targetILNS1_3genE10ELNS1_11target_archE1201ELNS1_3gpuE5ELNS1_3repE0EEENS1_59segmented_radix_sort_warp_sort_small_config_static_selectorELNS0_4arch9wavefront6targetE0EEEvSK_,comdat
	.globl	_ZN7rocprim17ROCPRIM_400000_NS6detail17trampoline_kernelINS0_14default_configENS1_36segmented_radix_sort_config_selectorIblEEZNS1_25segmented_radix_sort_implIS3_Lb0EPKbPbPKlPlN2at6native12_GLOBAL__N_18offset_tEEE10hipError_tPvRmT1_PNSt15iterator_traitsISK_E10value_typeET2_T3_PNSL_ISQ_E10value_typeET4_jRbjT5_SW_jjP12ihipStream_tbEUlT_E1_NS1_11comp_targetILNS1_3genE10ELNS1_11target_archE1201ELNS1_3gpuE5ELNS1_3repE0EEENS1_59segmented_radix_sort_warp_sort_small_config_static_selectorELNS0_4arch9wavefront6targetE0EEEvSK_ ; -- Begin function _ZN7rocprim17ROCPRIM_400000_NS6detail17trampoline_kernelINS0_14default_configENS1_36segmented_radix_sort_config_selectorIblEEZNS1_25segmented_radix_sort_implIS3_Lb0EPKbPbPKlPlN2at6native12_GLOBAL__N_18offset_tEEE10hipError_tPvRmT1_PNSt15iterator_traitsISK_E10value_typeET2_T3_PNSL_ISQ_E10value_typeET4_jRbjT5_SW_jjP12ihipStream_tbEUlT_E1_NS1_11comp_targetILNS1_3genE10ELNS1_11target_archE1201ELNS1_3gpuE5ELNS1_3repE0EEENS1_59segmented_radix_sort_warp_sort_small_config_static_selectorELNS0_4arch9wavefront6targetE0EEEvSK_
	.p2align	8
	.type	_ZN7rocprim17ROCPRIM_400000_NS6detail17trampoline_kernelINS0_14default_configENS1_36segmented_radix_sort_config_selectorIblEEZNS1_25segmented_radix_sort_implIS3_Lb0EPKbPbPKlPlN2at6native12_GLOBAL__N_18offset_tEEE10hipError_tPvRmT1_PNSt15iterator_traitsISK_E10value_typeET2_T3_PNSL_ISQ_E10value_typeET4_jRbjT5_SW_jjP12ihipStream_tbEUlT_E1_NS1_11comp_targetILNS1_3genE10ELNS1_11target_archE1201ELNS1_3gpuE5ELNS1_3repE0EEENS1_59segmented_radix_sort_warp_sort_small_config_static_selectorELNS0_4arch9wavefront6targetE0EEEvSK_,@function
_ZN7rocprim17ROCPRIM_400000_NS6detail17trampoline_kernelINS0_14default_configENS1_36segmented_radix_sort_config_selectorIblEEZNS1_25segmented_radix_sort_implIS3_Lb0EPKbPbPKlPlN2at6native12_GLOBAL__N_18offset_tEEE10hipError_tPvRmT1_PNSt15iterator_traitsISK_E10value_typeET2_T3_PNSL_ISQ_E10value_typeET4_jRbjT5_SW_jjP12ihipStream_tbEUlT_E1_NS1_11comp_targetILNS1_3genE10ELNS1_11target_archE1201ELNS1_3gpuE5ELNS1_3repE0EEENS1_59segmented_radix_sort_warp_sort_small_config_static_selectorELNS0_4arch9wavefront6targetE0EEEvSK_: ; @_ZN7rocprim17ROCPRIM_400000_NS6detail17trampoline_kernelINS0_14default_configENS1_36segmented_radix_sort_config_selectorIblEEZNS1_25segmented_radix_sort_implIS3_Lb0EPKbPbPKlPlN2at6native12_GLOBAL__N_18offset_tEEE10hipError_tPvRmT1_PNSt15iterator_traitsISK_E10value_typeET2_T3_PNSL_ISQ_E10value_typeET4_jRbjT5_SW_jjP12ihipStream_tbEUlT_E1_NS1_11comp_targetILNS1_3genE10ELNS1_11target_archE1201ELNS1_3gpuE5ELNS1_3repE0EEENS1_59segmented_radix_sort_warp_sort_small_config_static_selectorELNS0_4arch9wavefront6targetE0EEEvSK_
; %bb.0:
	.section	.rodata,"a",@progbits
	.p2align	6, 0x0
	.amdhsa_kernel _ZN7rocprim17ROCPRIM_400000_NS6detail17trampoline_kernelINS0_14default_configENS1_36segmented_radix_sort_config_selectorIblEEZNS1_25segmented_radix_sort_implIS3_Lb0EPKbPbPKlPlN2at6native12_GLOBAL__N_18offset_tEEE10hipError_tPvRmT1_PNSt15iterator_traitsISK_E10value_typeET2_T3_PNSL_ISQ_E10value_typeET4_jRbjT5_SW_jjP12ihipStream_tbEUlT_E1_NS1_11comp_targetILNS1_3genE10ELNS1_11target_archE1201ELNS1_3gpuE5ELNS1_3repE0EEENS1_59segmented_radix_sort_warp_sort_small_config_static_selectorELNS0_4arch9wavefront6targetE0EEEvSK_
		.amdhsa_group_segment_fixed_size 0
		.amdhsa_private_segment_fixed_size 0
		.amdhsa_kernarg_size 88
		.amdhsa_user_sgpr_count 15
		.amdhsa_user_sgpr_dispatch_ptr 0
		.amdhsa_user_sgpr_queue_ptr 0
		.amdhsa_user_sgpr_kernarg_segment_ptr 1
		.amdhsa_user_sgpr_dispatch_id 0
		.amdhsa_user_sgpr_private_segment_size 0
		.amdhsa_wavefront_size32 1
		.amdhsa_uses_dynamic_stack 0
		.amdhsa_enable_private_segment 0
		.amdhsa_system_sgpr_workgroup_id_x 1
		.amdhsa_system_sgpr_workgroup_id_y 0
		.amdhsa_system_sgpr_workgroup_id_z 0
		.amdhsa_system_sgpr_workgroup_info 0
		.amdhsa_system_vgpr_workitem_id 0
		.amdhsa_next_free_vgpr 1
		.amdhsa_next_free_sgpr 1
		.amdhsa_reserve_vcc 0
		.amdhsa_float_round_mode_32 0
		.amdhsa_float_round_mode_16_64 0
		.amdhsa_float_denorm_mode_32 3
		.amdhsa_float_denorm_mode_16_64 3
		.amdhsa_dx10_clamp 1
		.amdhsa_ieee_mode 1
		.amdhsa_fp16_overflow 0
		.amdhsa_workgroup_processor_mode 1
		.amdhsa_memory_ordered 1
		.amdhsa_forward_progress 0
		.amdhsa_shared_vgpr_count 0
		.amdhsa_exception_fp_ieee_invalid_op 0
		.amdhsa_exception_fp_denorm_src 0
		.amdhsa_exception_fp_ieee_div_zero 0
		.amdhsa_exception_fp_ieee_overflow 0
		.amdhsa_exception_fp_ieee_underflow 0
		.amdhsa_exception_fp_ieee_inexact 0
		.amdhsa_exception_int_div_zero 0
	.end_amdhsa_kernel
	.section	.text._ZN7rocprim17ROCPRIM_400000_NS6detail17trampoline_kernelINS0_14default_configENS1_36segmented_radix_sort_config_selectorIblEEZNS1_25segmented_radix_sort_implIS3_Lb0EPKbPbPKlPlN2at6native12_GLOBAL__N_18offset_tEEE10hipError_tPvRmT1_PNSt15iterator_traitsISK_E10value_typeET2_T3_PNSL_ISQ_E10value_typeET4_jRbjT5_SW_jjP12ihipStream_tbEUlT_E1_NS1_11comp_targetILNS1_3genE10ELNS1_11target_archE1201ELNS1_3gpuE5ELNS1_3repE0EEENS1_59segmented_radix_sort_warp_sort_small_config_static_selectorELNS0_4arch9wavefront6targetE0EEEvSK_,"axG",@progbits,_ZN7rocprim17ROCPRIM_400000_NS6detail17trampoline_kernelINS0_14default_configENS1_36segmented_radix_sort_config_selectorIblEEZNS1_25segmented_radix_sort_implIS3_Lb0EPKbPbPKlPlN2at6native12_GLOBAL__N_18offset_tEEE10hipError_tPvRmT1_PNSt15iterator_traitsISK_E10value_typeET2_T3_PNSL_ISQ_E10value_typeET4_jRbjT5_SW_jjP12ihipStream_tbEUlT_E1_NS1_11comp_targetILNS1_3genE10ELNS1_11target_archE1201ELNS1_3gpuE5ELNS1_3repE0EEENS1_59segmented_radix_sort_warp_sort_small_config_static_selectorELNS0_4arch9wavefront6targetE0EEEvSK_,comdat
.Lfunc_end1660:
	.size	_ZN7rocprim17ROCPRIM_400000_NS6detail17trampoline_kernelINS0_14default_configENS1_36segmented_radix_sort_config_selectorIblEEZNS1_25segmented_radix_sort_implIS3_Lb0EPKbPbPKlPlN2at6native12_GLOBAL__N_18offset_tEEE10hipError_tPvRmT1_PNSt15iterator_traitsISK_E10value_typeET2_T3_PNSL_ISQ_E10value_typeET4_jRbjT5_SW_jjP12ihipStream_tbEUlT_E1_NS1_11comp_targetILNS1_3genE10ELNS1_11target_archE1201ELNS1_3gpuE5ELNS1_3repE0EEENS1_59segmented_radix_sort_warp_sort_small_config_static_selectorELNS0_4arch9wavefront6targetE0EEEvSK_, .Lfunc_end1660-_ZN7rocprim17ROCPRIM_400000_NS6detail17trampoline_kernelINS0_14default_configENS1_36segmented_radix_sort_config_selectorIblEEZNS1_25segmented_radix_sort_implIS3_Lb0EPKbPbPKlPlN2at6native12_GLOBAL__N_18offset_tEEE10hipError_tPvRmT1_PNSt15iterator_traitsISK_E10value_typeET2_T3_PNSL_ISQ_E10value_typeET4_jRbjT5_SW_jjP12ihipStream_tbEUlT_E1_NS1_11comp_targetILNS1_3genE10ELNS1_11target_archE1201ELNS1_3gpuE5ELNS1_3repE0EEENS1_59segmented_radix_sort_warp_sort_small_config_static_selectorELNS0_4arch9wavefront6targetE0EEEvSK_
                                        ; -- End function
	.section	.AMDGPU.csdata,"",@progbits
; Kernel info:
; codeLenInByte = 0
; NumSgprs: 0
; NumVgprs: 0
; ScratchSize: 0
; MemoryBound: 0
; FloatMode: 240
; IeeeMode: 1
; LDSByteSize: 0 bytes/workgroup (compile time only)
; SGPRBlocks: 0
; VGPRBlocks: 0
; NumSGPRsForWavesPerEU: 1
; NumVGPRsForWavesPerEU: 1
; Occupancy: 16
; WaveLimiterHint : 0
; COMPUTE_PGM_RSRC2:SCRATCH_EN: 0
; COMPUTE_PGM_RSRC2:USER_SGPR: 15
; COMPUTE_PGM_RSRC2:TRAP_HANDLER: 0
; COMPUTE_PGM_RSRC2:TGID_X_EN: 1
; COMPUTE_PGM_RSRC2:TGID_Y_EN: 0
; COMPUTE_PGM_RSRC2:TGID_Z_EN: 0
; COMPUTE_PGM_RSRC2:TIDIG_COMP_CNT: 0
	.section	.text._ZN7rocprim17ROCPRIM_400000_NS6detail17trampoline_kernelINS0_14default_configENS1_36segmented_radix_sort_config_selectorIblEEZNS1_25segmented_radix_sort_implIS3_Lb0EPKbPbPKlPlN2at6native12_GLOBAL__N_18offset_tEEE10hipError_tPvRmT1_PNSt15iterator_traitsISK_E10value_typeET2_T3_PNSL_ISQ_E10value_typeET4_jRbjT5_SW_jjP12ihipStream_tbEUlT_E1_NS1_11comp_targetILNS1_3genE10ELNS1_11target_archE1200ELNS1_3gpuE4ELNS1_3repE0EEENS1_59segmented_radix_sort_warp_sort_small_config_static_selectorELNS0_4arch9wavefront6targetE0EEEvSK_,"axG",@progbits,_ZN7rocprim17ROCPRIM_400000_NS6detail17trampoline_kernelINS0_14default_configENS1_36segmented_radix_sort_config_selectorIblEEZNS1_25segmented_radix_sort_implIS3_Lb0EPKbPbPKlPlN2at6native12_GLOBAL__N_18offset_tEEE10hipError_tPvRmT1_PNSt15iterator_traitsISK_E10value_typeET2_T3_PNSL_ISQ_E10value_typeET4_jRbjT5_SW_jjP12ihipStream_tbEUlT_E1_NS1_11comp_targetILNS1_3genE10ELNS1_11target_archE1200ELNS1_3gpuE4ELNS1_3repE0EEENS1_59segmented_radix_sort_warp_sort_small_config_static_selectorELNS0_4arch9wavefront6targetE0EEEvSK_,comdat
	.globl	_ZN7rocprim17ROCPRIM_400000_NS6detail17trampoline_kernelINS0_14default_configENS1_36segmented_radix_sort_config_selectorIblEEZNS1_25segmented_radix_sort_implIS3_Lb0EPKbPbPKlPlN2at6native12_GLOBAL__N_18offset_tEEE10hipError_tPvRmT1_PNSt15iterator_traitsISK_E10value_typeET2_T3_PNSL_ISQ_E10value_typeET4_jRbjT5_SW_jjP12ihipStream_tbEUlT_E1_NS1_11comp_targetILNS1_3genE10ELNS1_11target_archE1200ELNS1_3gpuE4ELNS1_3repE0EEENS1_59segmented_radix_sort_warp_sort_small_config_static_selectorELNS0_4arch9wavefront6targetE0EEEvSK_ ; -- Begin function _ZN7rocprim17ROCPRIM_400000_NS6detail17trampoline_kernelINS0_14default_configENS1_36segmented_radix_sort_config_selectorIblEEZNS1_25segmented_radix_sort_implIS3_Lb0EPKbPbPKlPlN2at6native12_GLOBAL__N_18offset_tEEE10hipError_tPvRmT1_PNSt15iterator_traitsISK_E10value_typeET2_T3_PNSL_ISQ_E10value_typeET4_jRbjT5_SW_jjP12ihipStream_tbEUlT_E1_NS1_11comp_targetILNS1_3genE10ELNS1_11target_archE1200ELNS1_3gpuE4ELNS1_3repE0EEENS1_59segmented_radix_sort_warp_sort_small_config_static_selectorELNS0_4arch9wavefront6targetE0EEEvSK_
	.p2align	8
	.type	_ZN7rocprim17ROCPRIM_400000_NS6detail17trampoline_kernelINS0_14default_configENS1_36segmented_radix_sort_config_selectorIblEEZNS1_25segmented_radix_sort_implIS3_Lb0EPKbPbPKlPlN2at6native12_GLOBAL__N_18offset_tEEE10hipError_tPvRmT1_PNSt15iterator_traitsISK_E10value_typeET2_T3_PNSL_ISQ_E10value_typeET4_jRbjT5_SW_jjP12ihipStream_tbEUlT_E1_NS1_11comp_targetILNS1_3genE10ELNS1_11target_archE1200ELNS1_3gpuE4ELNS1_3repE0EEENS1_59segmented_radix_sort_warp_sort_small_config_static_selectorELNS0_4arch9wavefront6targetE0EEEvSK_,@function
_ZN7rocprim17ROCPRIM_400000_NS6detail17trampoline_kernelINS0_14default_configENS1_36segmented_radix_sort_config_selectorIblEEZNS1_25segmented_radix_sort_implIS3_Lb0EPKbPbPKlPlN2at6native12_GLOBAL__N_18offset_tEEE10hipError_tPvRmT1_PNSt15iterator_traitsISK_E10value_typeET2_T3_PNSL_ISQ_E10value_typeET4_jRbjT5_SW_jjP12ihipStream_tbEUlT_E1_NS1_11comp_targetILNS1_3genE10ELNS1_11target_archE1200ELNS1_3gpuE4ELNS1_3repE0EEENS1_59segmented_radix_sort_warp_sort_small_config_static_selectorELNS0_4arch9wavefront6targetE0EEEvSK_: ; @_ZN7rocprim17ROCPRIM_400000_NS6detail17trampoline_kernelINS0_14default_configENS1_36segmented_radix_sort_config_selectorIblEEZNS1_25segmented_radix_sort_implIS3_Lb0EPKbPbPKlPlN2at6native12_GLOBAL__N_18offset_tEEE10hipError_tPvRmT1_PNSt15iterator_traitsISK_E10value_typeET2_T3_PNSL_ISQ_E10value_typeET4_jRbjT5_SW_jjP12ihipStream_tbEUlT_E1_NS1_11comp_targetILNS1_3genE10ELNS1_11target_archE1200ELNS1_3gpuE4ELNS1_3repE0EEENS1_59segmented_radix_sort_warp_sort_small_config_static_selectorELNS0_4arch9wavefront6targetE0EEEvSK_
; %bb.0:
	.section	.rodata,"a",@progbits
	.p2align	6, 0x0
	.amdhsa_kernel _ZN7rocprim17ROCPRIM_400000_NS6detail17trampoline_kernelINS0_14default_configENS1_36segmented_radix_sort_config_selectorIblEEZNS1_25segmented_radix_sort_implIS3_Lb0EPKbPbPKlPlN2at6native12_GLOBAL__N_18offset_tEEE10hipError_tPvRmT1_PNSt15iterator_traitsISK_E10value_typeET2_T3_PNSL_ISQ_E10value_typeET4_jRbjT5_SW_jjP12ihipStream_tbEUlT_E1_NS1_11comp_targetILNS1_3genE10ELNS1_11target_archE1200ELNS1_3gpuE4ELNS1_3repE0EEENS1_59segmented_radix_sort_warp_sort_small_config_static_selectorELNS0_4arch9wavefront6targetE0EEEvSK_
		.amdhsa_group_segment_fixed_size 0
		.amdhsa_private_segment_fixed_size 0
		.amdhsa_kernarg_size 88
		.amdhsa_user_sgpr_count 15
		.amdhsa_user_sgpr_dispatch_ptr 0
		.amdhsa_user_sgpr_queue_ptr 0
		.amdhsa_user_sgpr_kernarg_segment_ptr 1
		.amdhsa_user_sgpr_dispatch_id 0
		.amdhsa_user_sgpr_private_segment_size 0
		.amdhsa_wavefront_size32 1
		.amdhsa_uses_dynamic_stack 0
		.amdhsa_enable_private_segment 0
		.amdhsa_system_sgpr_workgroup_id_x 1
		.amdhsa_system_sgpr_workgroup_id_y 0
		.amdhsa_system_sgpr_workgroup_id_z 0
		.amdhsa_system_sgpr_workgroup_info 0
		.amdhsa_system_vgpr_workitem_id 0
		.amdhsa_next_free_vgpr 1
		.amdhsa_next_free_sgpr 1
		.amdhsa_reserve_vcc 0
		.amdhsa_float_round_mode_32 0
		.amdhsa_float_round_mode_16_64 0
		.amdhsa_float_denorm_mode_32 3
		.amdhsa_float_denorm_mode_16_64 3
		.amdhsa_dx10_clamp 1
		.amdhsa_ieee_mode 1
		.amdhsa_fp16_overflow 0
		.amdhsa_workgroup_processor_mode 1
		.amdhsa_memory_ordered 1
		.amdhsa_forward_progress 0
		.amdhsa_shared_vgpr_count 0
		.amdhsa_exception_fp_ieee_invalid_op 0
		.amdhsa_exception_fp_denorm_src 0
		.amdhsa_exception_fp_ieee_div_zero 0
		.amdhsa_exception_fp_ieee_overflow 0
		.amdhsa_exception_fp_ieee_underflow 0
		.amdhsa_exception_fp_ieee_inexact 0
		.amdhsa_exception_int_div_zero 0
	.end_amdhsa_kernel
	.section	.text._ZN7rocprim17ROCPRIM_400000_NS6detail17trampoline_kernelINS0_14default_configENS1_36segmented_radix_sort_config_selectorIblEEZNS1_25segmented_radix_sort_implIS3_Lb0EPKbPbPKlPlN2at6native12_GLOBAL__N_18offset_tEEE10hipError_tPvRmT1_PNSt15iterator_traitsISK_E10value_typeET2_T3_PNSL_ISQ_E10value_typeET4_jRbjT5_SW_jjP12ihipStream_tbEUlT_E1_NS1_11comp_targetILNS1_3genE10ELNS1_11target_archE1200ELNS1_3gpuE4ELNS1_3repE0EEENS1_59segmented_radix_sort_warp_sort_small_config_static_selectorELNS0_4arch9wavefront6targetE0EEEvSK_,"axG",@progbits,_ZN7rocprim17ROCPRIM_400000_NS6detail17trampoline_kernelINS0_14default_configENS1_36segmented_radix_sort_config_selectorIblEEZNS1_25segmented_radix_sort_implIS3_Lb0EPKbPbPKlPlN2at6native12_GLOBAL__N_18offset_tEEE10hipError_tPvRmT1_PNSt15iterator_traitsISK_E10value_typeET2_T3_PNSL_ISQ_E10value_typeET4_jRbjT5_SW_jjP12ihipStream_tbEUlT_E1_NS1_11comp_targetILNS1_3genE10ELNS1_11target_archE1200ELNS1_3gpuE4ELNS1_3repE0EEENS1_59segmented_radix_sort_warp_sort_small_config_static_selectorELNS0_4arch9wavefront6targetE0EEEvSK_,comdat
.Lfunc_end1661:
	.size	_ZN7rocprim17ROCPRIM_400000_NS6detail17trampoline_kernelINS0_14default_configENS1_36segmented_radix_sort_config_selectorIblEEZNS1_25segmented_radix_sort_implIS3_Lb0EPKbPbPKlPlN2at6native12_GLOBAL__N_18offset_tEEE10hipError_tPvRmT1_PNSt15iterator_traitsISK_E10value_typeET2_T3_PNSL_ISQ_E10value_typeET4_jRbjT5_SW_jjP12ihipStream_tbEUlT_E1_NS1_11comp_targetILNS1_3genE10ELNS1_11target_archE1200ELNS1_3gpuE4ELNS1_3repE0EEENS1_59segmented_radix_sort_warp_sort_small_config_static_selectorELNS0_4arch9wavefront6targetE0EEEvSK_, .Lfunc_end1661-_ZN7rocprim17ROCPRIM_400000_NS6detail17trampoline_kernelINS0_14default_configENS1_36segmented_radix_sort_config_selectorIblEEZNS1_25segmented_radix_sort_implIS3_Lb0EPKbPbPKlPlN2at6native12_GLOBAL__N_18offset_tEEE10hipError_tPvRmT1_PNSt15iterator_traitsISK_E10value_typeET2_T3_PNSL_ISQ_E10value_typeET4_jRbjT5_SW_jjP12ihipStream_tbEUlT_E1_NS1_11comp_targetILNS1_3genE10ELNS1_11target_archE1200ELNS1_3gpuE4ELNS1_3repE0EEENS1_59segmented_radix_sort_warp_sort_small_config_static_selectorELNS0_4arch9wavefront6targetE0EEEvSK_
                                        ; -- End function
	.section	.AMDGPU.csdata,"",@progbits
; Kernel info:
; codeLenInByte = 0
; NumSgprs: 0
; NumVgprs: 0
; ScratchSize: 0
; MemoryBound: 0
; FloatMode: 240
; IeeeMode: 1
; LDSByteSize: 0 bytes/workgroup (compile time only)
; SGPRBlocks: 0
; VGPRBlocks: 0
; NumSGPRsForWavesPerEU: 1
; NumVGPRsForWavesPerEU: 1
; Occupancy: 16
; WaveLimiterHint : 0
; COMPUTE_PGM_RSRC2:SCRATCH_EN: 0
; COMPUTE_PGM_RSRC2:USER_SGPR: 15
; COMPUTE_PGM_RSRC2:TRAP_HANDLER: 0
; COMPUTE_PGM_RSRC2:TGID_X_EN: 1
; COMPUTE_PGM_RSRC2:TGID_Y_EN: 0
; COMPUTE_PGM_RSRC2:TGID_Z_EN: 0
; COMPUTE_PGM_RSRC2:TIDIG_COMP_CNT: 0
	.text
	.p2align	2                               ; -- Begin function _ZN7rocprim17ROCPRIM_400000_NS6detail26segmented_warp_sort_helperINS1_20WarpSortHelperConfigILj8ELj4ELj256EEEblLi256ELb0EvE4sortIPKbPbPKlPlEEvT_T0_T1_T2_jjjjRNS5_12storage_typeE
	.type	_ZN7rocprim17ROCPRIM_400000_NS6detail26segmented_warp_sort_helperINS1_20WarpSortHelperConfigILj8ELj4ELj256EEEblLi256ELb0EvE4sortIPKbPbPKlPlEEvT_T0_T1_T2_jjjjRNS5_12storage_typeE,@function
_ZN7rocprim17ROCPRIM_400000_NS6detail26segmented_warp_sort_helperINS1_20WarpSortHelperConfigILj8ELj4ELj256EEEblLi256ELb0EvE4sortIPKbPbPKlPlEEvT_T0_T1_T2_jjjjRNS5_12storage_typeE: ; @_ZN7rocprim17ROCPRIM_400000_NS6detail26segmented_warp_sort_helperINS1_20WarpSortHelperConfigILj8ELj4ELj256EEEblLi256ELb0EvE4sortIPKbPbPKlPlEEvT_T0_T1_T2_jjjjRNS5_12storage_typeE
; %bb.0:
	s_waitcnt vmcnt(0) expcnt(0) lgkmcnt(0)
	v_mbcnt_lo_u32_b32 v14, -1, 0
	v_add_co_u32 v0, vcc_lo, v0, v8
	v_add_co_ci_u32_e32 v1, vcc_lo, 0, v1, vcc_lo
	s_delay_alu instid0(VALU_DEP_3) | instskip(SKIP_3) | instid1(VALU_DEP_4)
	v_lshlrev_b32_e32 v53, 2, v14
	v_sub_nc_u32_e32 v14, v9, v8
	v_mov_b32_e32 v55, 1
	v_mov_b32_e32 v65, 1
	v_dual_mov_b32 v9, 0 :: v_dual_and_b32 v30, 28, v53
	s_delay_alu instid0(VALU_DEP_1)
	v_add_co_u32 v0, vcc_lo, v0, v30
	v_add_co_ci_u32_e32 v1, vcc_lo, 0, v1, vcc_lo
	v_cmp_lt_u32_e32 vcc_lo, v30, v14
	s_and_saveexec_b32 s0, vcc_lo
	s_cbranch_execz .LBB1662_2
; %bb.1:
	flat_load_u8 v65, v[0:1]
.LBB1662_2:
	s_or_b32 exec_lo, exec_lo, s0
	v_or_b32_e32 v15, 1, v30
	s_delay_alu instid0(VALU_DEP_1) | instskip(NEXT) | instid1(VALU_DEP_1)
	v_cmp_lt_u32_e64 s0, v15, v14
	s_and_saveexec_b32 s1, s0
	s_cbranch_execz .LBB1662_4
; %bb.3:
	flat_load_u8 v55, v[0:1] offset:1
.LBB1662_4:
	s_or_b32 exec_lo, exec_lo, s1
	v_or_b32_e32 v15, 2, v30
	v_mov_b32_e32 v54, 1
	v_mov_b32_e32 v64, 1
	s_delay_alu instid0(VALU_DEP_3) | instskip(NEXT) | instid1(VALU_DEP_1)
	v_cmp_lt_u32_e64 s1, v15, v14
	s_and_saveexec_b32 s2, s1
	s_cbranch_execz .LBB1662_6
; %bb.5:
	flat_load_u8 v64, v[0:1] offset:2
.LBB1662_6:
	s_or_b32 exec_lo, exec_lo, s2
	v_or_b32_e32 v15, 3, v30
	s_delay_alu instid0(VALU_DEP_1) | instskip(NEXT) | instid1(VALU_DEP_1)
	v_cmp_lt_u32_e64 s2, v15, v14
	s_and_saveexec_b32 s3, s2
	s_cbranch_execz .LBB1662_8
; %bb.7:
	flat_load_u8 v54, v[0:1] offset:3
.LBB1662_8:
	s_or_b32 exec_lo, exec_lo, s3
	v_lshlrev_b64 v[0:1], 3, v[8:9]
	v_lshlrev_b32_e32 v52, 3, v30
	; wave barrier
                                        ; implicit-def: $vgpr48_vgpr49
	s_delay_alu instid0(VALU_DEP_2) | instskip(NEXT) | instid1(VALU_DEP_1)
	v_add_co_u32 v4, s3, v4, v0
	v_add_co_ci_u32_e64 v5, s3, v5, v1, s3
	s_delay_alu instid0(VALU_DEP_2) | instskip(NEXT) | instid1(VALU_DEP_1)
	v_add_co_u32 v4, s3, v4, v52
	v_add_co_ci_u32_e64 v5, s3, 0, v5, s3
	s_and_saveexec_b32 s3, vcc_lo
	s_cbranch_execz .LBB1662_10
; %bb.9:
	flat_load_b64 v[48:49], v[4:5]
.LBB1662_10:
	s_or_b32 exec_lo, exec_lo, s3
	s_and_saveexec_b32 s3, s0
                                        ; implicit-def: $vgpr22_vgpr23_vgpr24_vgpr25_vgpr26_vgpr27_vgpr28_vgpr29
                                        ; implicit-def: $vgpr32_vgpr33_vgpr34_vgpr35_vgpr36_vgpr37_vgpr38_vgpr39
	s_cbranch_execz .LBB1662_96
; %bb.11:
	flat_load_b64 v[50:51], v[4:5] offset:8
                                        ; implicit-def: $vgpr22_vgpr23_vgpr24_vgpr25_vgpr26_vgpr27_vgpr28_vgpr29
                                        ; implicit-def: $vgpr32_vgpr33_vgpr34_vgpr35_vgpr36_vgpr37_vgpr38_vgpr39
	s_or_b32 exec_lo, exec_lo, s3
                                        ; implicit-def: $vgpr18_vgpr19
	s_and_saveexec_b32 s3, s1
	s_cbranch_execnz .LBB1662_97
.LBB1662_12:
	s_or_b32 exec_lo, exec_lo, s3
	s_and_saveexec_b32 s3, s2
	s_cbranch_execz .LBB1662_14
.LBB1662_13:
	flat_load_b64 v[38:39], v[4:5] offset:24
	s_waitcnt vmcnt(0) lgkmcnt(0)
	v_dual_mov_b32 v20, v38 :: v_dual_mov_b32 v21, v39
.LBB1662_14:
	s_or_b32 exec_lo, exec_lo, s3
	v_cmp_ne_u32_e64 s3, 0, v10
	v_cmp_ne_u32_e64 s4, 8, v11
	v_bfe_u32 v4, v31, 10, 10
	v_bfe_u32 v9, v31, 20, 10
	v_and_b32_e32 v5, 0x3ff, v31
	s_delay_alu instid0(VALU_DEP_4) | instskip(NEXT) | instid1(SALU_CYCLE_1)
	s_or_b32 s3, s3, s4
	; wave barrier
	s_and_saveexec_b32 s4, s3
	s_delay_alu instid0(SALU_CYCLE_1)
	s_xor_b32 s14, exec_lo, s4
	s_cbranch_execz .LBB1662_56
; %bb.15:
	s_load_b64 s[6:7], s[8:9], 0x0
	v_cmp_ne_u32_e64 s3, 0, v11
	v_cmp_ne_u32_e64 s4, 0, v10
	v_mov_b32_e32 v10, 0
	s_delay_alu instid0(VALU_DEP_2) | instskip(NEXT) | instid1(SALU_CYCLE_1)
	s_xor_b32 s3, s4, s3
	v_cndmask_b32_e64 v22, 0, 1, s3
	s_waitcnt lgkmcnt(0)
	s_cmp_lt_u32 s13, s7
	s_cselect_b32 s4, 14, 20
	s_delay_alu instid0(SALU_CYCLE_1) | instskip(SKIP_4) | instid1(SALU_CYCLE_1)
	s_add_u32 s4, s8, s4
	s_addc_u32 s5, s9, 0
	s_cmp_lt_u32 s12, s6
	global_load_u16 v11, v10, s[4:5]
	s_cselect_b32 s6, 12, 18
	s_add_u32 s4, s8, s6
	s_addc_u32 s5, s9, 0
	global_load_u16 v10, v10, s[4:5]
	s_mov_b32 s5, exec_lo
	s_waitcnt vmcnt(1)
	v_mad_u32_u24 v4, v9, v11, v4
	s_waitcnt vmcnt(0)
	s_delay_alu instid0(VALU_DEP_1) | instskip(NEXT) | instid1(VALU_DEP_1)
	v_mul_lo_u32 v4, v4, v10
	v_add_lshl_u32 v9, v4, v5, 2
	s_delay_alu instid0(VALU_DEP_1)
	v_cmpx_gt_u32_e32 0x400, v9
	s_cbranch_execz .LBB1662_25
; %bb.16:
	v_dual_mov_b32 v18, v26 :: v_dual_and_b32 v5, v55, v22
	v_dual_mov_b32 v19, v27 :: v_dual_and_b32 v10, v65, v22
	v_mov_b32_e32 v20, v38
	v_and_b32_e32 v11, v54, v22
	v_dual_mov_b32 v21, v39 :: v_dual_and_b32 v4, v64, v22
	s_delay_alu instid0(VALU_DEP_4) | instskip(SKIP_1) | instid1(VALU_DEP_1)
	v_cmp_gt_u16_e64 s3, v10, v5
	s_mov_b32 s6, exec_lo
	v_cndmask_b32_e64 v17, v51, v49, s3
	v_cndmask_b32_e64 v16, v50, v48, s3
	;; [unrolled: 1-line block ×4, first 2 shown]
	v_cmpx_gt_u16_e64 v4, v11
; %bb.17:
	v_mov_b32_e32 v18, v38
	v_mov_b32_e32 v20, v26
	v_dual_mov_b32 v4, 0 :: v_dual_mov_b32 v19, v39
	v_dual_mov_b32 v64, v54 :: v_dual_mov_b32 v21, v27
	v_mov_b32_e32 v54, 1
; %bb.18:
	s_or_b32 exec_lo, exec_lo, s6
	v_cndmask_b32_e64 v10, v55, 1, s3
	s_delay_alu instid0(VALU_DEP_1) | instskip(NEXT) | instid1(VALU_DEP_1)
	v_and_b32_e32 v5, v10, v22
	v_cmp_gt_u16_e64 s4, v5, v4
	s_delay_alu instid0(VALU_DEP_1) | instskip(NEXT) | instid1(SALU_CYCLE_1)
	s_and_saveexec_b32 s6, s4
	s_xor_b32 s4, exec_lo, s6
	s_cbranch_execz .LBB1662_20
; %bb.19:
	v_dual_mov_b32 v38, v21 :: v_dual_mov_b32 v37, v20
	v_dual_mov_b32 v36, v19 :: v_dual_mov_b32 v35, v18
	v_dual_mov_b32 v34, v17 :: v_dual_mov_b32 v33, v16
	v_dual_mov_b32 v32, v15 :: v_dual_mov_b32 v31, v14
	v_dual_mov_b32 v33, v18 :: v_dual_mov_b32 v34, v19
	v_dual_mov_b32 v35, v16 :: v_dual_mov_b32 v36, v17
	v_dual_mov_b32 v37, v20 :: v_dual_mov_b32 v38, v21
	s_delay_alu instid0(VALU_DEP_4) | instskip(NEXT) | instid1(VALU_DEP_4)
	v_dual_mov_b32 v5, 0 :: v_dual_mov_b32 v14, v31
	v_dual_mov_b32 v15, v32 :: v_dual_mov_b32 v16, v33
	s_delay_alu instid0(VALU_DEP_4) | instskip(NEXT) | instid1(VALU_DEP_4)
	v_dual_mov_b32 v17, v34 :: v_dual_mov_b32 v18, v35
	v_dual_mov_b32 v19, v36 :: v_dual_mov_b32 v20, v37
	;; [unrolled: 1-line block ×3, first 2 shown]
	v_mov_b32_e32 v64, 1
.LBB1662_20:
	s_or_b32 exec_lo, exec_lo, s4
	v_cndmask_b32_e64 v11, v65, v55, s3
	s_mov_b32 s6, exec_lo
	s_delay_alu instid0(VALU_DEP_1) | instskip(NEXT) | instid1(VALU_DEP_1)
	v_and_b32_e32 v4, v11, v22
	v_cmp_gt_u16_e64 s3, v4, v5
	v_and_b32_e32 v5, v54, v22
	v_and_b32_e32 v4, v64, v22
	s_delay_alu instid0(VALU_DEP_3)
	v_cndmask_b32_e64 v51, v17, v15, s3
	v_cndmask_b32_e64 v50, v16, v14, s3
	;; [unrolled: 1-line block ×4, first 2 shown]
	v_cmpx_gt_u16_e64 v4, v5
; %bb.21:
	v_dual_mov_b32 v14, v18 :: v_dual_mov_b32 v15, v19
	v_mov_b32_e32 v18, v20
	v_dual_mov_b32 v4, 0 :: v_dual_mov_b32 v19, v21
	s_delay_alu instid0(VALU_DEP_3)
	v_dual_mov_b32 v64, v54 :: v_dual_mov_b32 v21, v15
	v_mov_b32_e32 v54, 1
	v_mov_b32_e32 v20, v14
; %bb.22:
	s_or_b32 exec_lo, exec_lo, s6
	v_cndmask_b32_e64 v55, v10, 1, s3
	s_delay_alu instid0(VALU_DEP_1) | instskip(NEXT) | instid1(VALU_DEP_1)
	v_and_b32_e32 v5, v55, v22
	v_cmp_gt_u16_e64 s4, v5, v4
	v_dual_mov_b32 v4, v18 :: v_dual_mov_b32 v5, v19
	s_delay_alu instid0(VALU_DEP_2)
	s_and_saveexec_b32 s6, s4
; %bb.23:
	v_mov_b32_e32 v14, 1
	v_dual_mov_b32 v4, v50 :: v_dual_mov_b32 v5, v51
	v_dual_mov_b32 v51, v19 :: v_dual_mov_b32 v50, v18
	s_delay_alu instid0(VALU_DEP_3)
	v_dual_mov_b32 v55, v64 :: v_dual_mov_b32 v64, v14
; %bb.24:
	s_or_b32 exec_lo, exec_lo, s6
	v_cndmask_b32_e64 v65, v11, v10, s3
	v_dual_mov_b32 v19, v5 :: v_dual_mov_b32 v18, v4
.LBB1662_25:
	s_or_b32 exec_lo, exec_lo, s5
	v_and_b32_e32 v11, 0xffffff80, v9
	v_lshlrev_b16 v14, 8, v55
	v_lshlrev_b16 v15, 8, v54
	v_and_b32_e32 v16, 0xff, v64
	v_lshlrev_b32_e32 v27, 3, v53
	v_add_co_u32 v9, s3, v12, v11
	v_or_b32_e32 v12, 4, v53
	v_sub_nc_u32_e64 v17, 0x400, v11 clamp
	v_add_co_ci_u32_e64 v10, s3, 0, v13, s3
	v_and_b32_e32 v13, 0xff, v65
	v_and_b32_e32 v25, 0x78, v53
	s_delay_alu instid0(VALU_DEP_4) | instskip(NEXT) | instid1(VALU_DEP_4)
	v_min_u32_e32 v23, v17, v12
	v_mad_u64_u32 v[4:5], null, v11, 7, v[9:10]
	s_delay_alu instid0(VALU_DEP_4) | instskip(SKIP_1) | instid1(VALU_DEP_4)
	v_or_b32_e32 v13, v13, v14
	v_or_b32_e32 v14, v16, v15
	v_add_nc_u32_e32 v24, 4, v23
	v_and_b32_e32 v15, 4, v53
	v_add_co_u32 v11, s3, v9, v53
	s_delay_alu instid0(VALU_DEP_1) | instskip(NEXT) | instid1(VALU_DEP_4)
	v_add_co_ci_u32_e64 v12, s3, 0, v10, s3
	v_min_u32_e32 v24, v17, v24
	v_and_b32_e32 v16, 0xffff, v13
	v_lshlrev_b32_e32 v28, 16, v14
	v_min_u32_e32 v26, v17, v15
	v_sub_nc_u32_e32 v15, v23, v25
	v_add_co_u32 v13, s3, v4, v27
	v_sub_nc_u32_e32 v29, v24, v23
	v_add_co_ci_u32_e64 v14, s3, 0, v5, s3
	v_or_b32_e32 v31, v16, v28
	v_min_u32_e32 v28, v26, v15
	v_add_co_u32 v15, s3, 0x400, v13
	v_sub_nc_u32_e64 v27, v26, v29 clamp
	v_add_co_ci_u32_e64 v16, s3, 0, v14, s3
	s_mov_b32 s4, exec_lo
	s_clause 0x2
	flat_store_b128 v[13:14], v[48:51] offset:1024
	flat_store_b32 v[11:12], v31
	flat_store_b128 v[13:14], v[18:21] offset:1040
	; wave barrier
	v_cmpx_lt_u32_e64 v27, v28
	s_cbranch_execz .LBB1662_29
; %bb.26:
	v_add_co_u32 v29, s3, v9, v25
	s_delay_alu instid0(VALU_DEP_1) | instskip(SKIP_1) | instid1(VALU_DEP_1)
	v_add_co_ci_u32_e64 v31, s3, 0, v10, s3
	v_add_co_u32 v32, s3, v9, v23
	v_add_co_ci_u32_e64 v33, s3, 0, v10, s3
	s_mov_b32 s5, 0
	.p2align	6
.LBB1662_27:                            ; =>This Inner Loop Header: Depth=1
	v_add_nc_u32_e32 v34, v28, v27
	s_delay_alu instid0(VALU_DEP_1) | instskip(NEXT) | instid1(VALU_DEP_1)
	v_lshrrev_b32_e32 v38, 1, v34
	v_xad_u32 v36, v38, -1, v26
	v_add_co_u32 v34, s3, v29, v38
	s_delay_alu instid0(VALU_DEP_1) | instskip(NEXT) | instid1(VALU_DEP_3)
	v_add_co_ci_u32_e64 v35, s3, 0, v31, s3
	v_add_co_u32 v36, s3, v32, v36
	s_delay_alu instid0(VALU_DEP_1)
	v_add_co_ci_u32_e64 v37, s3, 0, v33, s3
	s_clause 0x1
	flat_load_u8 v34, v[34:35]
	flat_load_u8 v35, v[36:37]
	v_add_nc_u32_e32 v36, 1, v38
	s_waitcnt vmcnt(1) lgkmcnt(1)
	v_and_b32_e32 v34, v34, v22
	s_waitcnt vmcnt(0) lgkmcnt(0)
	v_and_b32_e32 v35, v35, v22
	s_delay_alu instid0(VALU_DEP_1) | instskip(NEXT) | instid1(VALU_DEP_1)
	v_cmp_gt_u16_e64 s3, v34, v35
	v_cndmask_b32_e64 v28, v28, v38, s3
	v_cndmask_b32_e64 v27, v36, v27, s3
	s_delay_alu instid0(VALU_DEP_1) | instskip(NEXT) | instid1(VALU_DEP_1)
	v_cmp_ge_u32_e64 s3, v27, v28
	s_or_b32 s5, s3, s5
	s_delay_alu instid0(SALU_CYCLE_1)
	s_and_not1_b32 exec_lo, exec_lo, s5
	s_cbranch_execnz .LBB1662_27
; %bb.28:
	s_or_b32 exec_lo, exec_lo, s5
.LBB1662_29:
	s_delay_alu instid0(SALU_CYCLE_1) | instskip(SKIP_2) | instid1(VALU_DEP_2)
	s_or_b32 exec_lo, exec_lo, s4
	v_add_nc_u32_e32 v26, v23, v26
	v_add_nc_u32_e32 v28, v27, v25
	v_sub_nc_u32_e32 v27, v26, v27
	s_delay_alu instid0(VALU_DEP_2) | instskip(NEXT) | instid1(VALU_DEP_2)
	v_cmp_le_u32_e64 s3, v28, v23
	v_cmp_le_u32_e64 s4, v27, v24
	s_delay_alu instid0(VALU_DEP_1) | instskip(NEXT) | instid1(SALU_CYCLE_1)
	s_or_b32 s3, s3, s4
	s_and_saveexec_b32 s15, s3
	s_cbranch_execz .LBB1662_35
; %bb.30:
	v_cmp_lt_u32_e64 s3, v28, v23
                                        ; implicit-def: $vgpr25
	s_delay_alu instid0(VALU_DEP_1)
	s_and_saveexec_b32 s5, s3
	s_cbranch_execz .LBB1662_32
; %bb.31:
	v_add_co_u32 v18, s4, v9, v28
	s_delay_alu instid0(VALU_DEP_1)
	v_add_co_ci_u32_e64 v19, s4, 0, v10, s4
	flat_load_u8 v25, v[18:19]
.LBB1662_32:
	s_or_b32 exec_lo, exec_lo, s5
	v_cmp_ge_u32_e64 s4, v27, v24
	s_mov_b32 s6, exec_lo
                                        ; implicit-def: $vgpr26
	v_cmpx_lt_u32_e64 v27, v24
	s_cbranch_execz .LBB1662_34
; %bb.33:
	v_add_co_u32 v18, s5, v9, v27
	s_delay_alu instid0(VALU_DEP_1)
	v_add_co_ci_u32_e64 v19, s5, 0, v10, s5
	flat_load_u8 v26, v[18:19]
.LBB1662_34:
	s_or_b32 exec_lo, exec_lo, s6
	s_waitcnt vmcnt(0) lgkmcnt(0)
	v_and_b32_e32 v18, v26, v22
	v_and_b32_e32 v19, v25, v22
	s_delay_alu instid0(VALU_DEP_1) | instskip(NEXT) | instid1(VALU_DEP_1)
	v_cmp_le_u16_e64 s5, v19, v18
	s_and_b32 s3, s3, s5
	s_delay_alu instid0(SALU_CYCLE_1) | instskip(NEXT) | instid1(SALU_CYCLE_1)
	s_or_b32 s3, s4, s3
	v_cndmask_b32_e64 v18, v27, v28, s3
	v_cndmask_b32_e64 v19, v24, v23, s3
	;; [unrolled: 1-line block ×3, first 2 shown]
	s_delay_alu instid0(VALU_DEP_3) | instskip(NEXT) | instid1(VALU_DEP_3)
	v_add_nc_u32_e32 v21, 1, v18
	v_add_nc_u32_e32 v19, -1, v19
	s_delay_alu instid0(VALU_DEP_2) | instskip(NEXT) | instid1(VALU_DEP_2)
	v_cndmask_b32_e64 v31, v28, v21, s3
	v_min_u32_e32 v19, v21, v19
	v_cndmask_b32_e64 v32, v21, v27, s3
	s_delay_alu instid0(VALU_DEP_2) | instskip(NEXT) | instid1(VALU_DEP_1)
	v_add_co_u32 v19, s4, v9, v19
	v_add_co_ci_u32_e64 v20, s4, 0, v10, s4
	v_cmp_lt_u32_e64 s4, v31, v23
	s_delay_alu instid0(VALU_DEP_4) | instskip(SKIP_4) | instid1(VALU_DEP_2)
	v_cmp_ge_u32_e64 s6, v32, v24
	flat_load_u8 v19, v[19:20]
	s_waitcnt vmcnt(0) lgkmcnt(0)
	v_cndmask_b32_e64 v29, v19, v26, s3
	v_cndmask_b32_e64 v33, v25, v19, s3
	v_and_b32_e32 v19, v29, v22
	s_delay_alu instid0(VALU_DEP_2) | instskip(NEXT) | instid1(VALU_DEP_1)
	v_and_b32_e32 v20, v33, v22
	v_cmp_le_u16_e64 s5, v20, v19
	v_mov_b32_e32 v19, 0
	s_delay_alu instid0(VALU_DEP_2) | instskip(NEXT) | instid1(VALU_DEP_1)
	s_and_b32 s4, s5, s4
	v_lshlrev_b64 v[20:21], 3, v[18:19]
	s_or_b32 s4, s6, s4
	s_delay_alu instid0(SALU_CYCLE_1) | instskip(SKIP_2) | instid1(VALU_DEP_4)
	v_cndmask_b32_e64 v18, v32, v31, s4
	v_cndmask_b32_e64 v27, v24, v23, s4
	;; [unrolled: 1-line block ×3, first 2 shown]
	v_add_co_u32 v20, s11, v4, v20
	s_delay_alu instid0(VALU_DEP_4) | instskip(NEXT) | instid1(VALU_DEP_4)
	v_add_nc_u32_e32 v34, 1, v18
	v_add_nc_u32_e32 v27, -1, v27
	v_add_co_ci_u32_e64 v21, s11, v5, v21, s11
	s_delay_alu instid0(VALU_DEP_3) | instskip(NEXT) | instid1(VALU_DEP_3)
	v_cndmask_b32_e64 v37, v31, v34, s4
	v_min_u32_e32 v27, v34, v27
	v_cndmask_b32_e64 v34, v34, v32, s4
	s_delay_alu instid0(VALU_DEP_2) | instskip(NEXT) | instid1(VALU_DEP_1)
	v_add_co_u32 v27, s5, v9, v27
	v_add_co_ci_u32_e64 v28, s5, 0, v10, s5
	v_cmp_lt_u32_e64 s5, v37, v23
	s_delay_alu instid0(VALU_DEP_4) | instskip(SKIP_4) | instid1(VALU_DEP_2)
	v_cmp_ge_u32_e64 s7, v34, v24
	flat_load_u8 v27, v[27:28]
	s_waitcnt vmcnt(0) lgkmcnt(0)
	v_cndmask_b32_e64 v35, v27, v29, s4
	v_cndmask_b32_e64 v36, v33, v27, s4
	v_and_b32_e32 v27, v35, v22
	s_delay_alu instid0(VALU_DEP_2) | instskip(NEXT) | instid1(VALU_DEP_1)
	v_and_b32_e32 v28, v36, v22
	v_cmp_le_u16_e64 s6, v28, v27
	v_lshlrev_b64 v[27:28], 3, v[18:19]
	s_delay_alu instid0(VALU_DEP_2) | instskip(NEXT) | instid1(SALU_CYCLE_1)
	s_and_b32 s5, s6, s5
	s_or_b32 s5, s7, s5
	s_delay_alu instid0(SALU_CYCLE_1) | instskip(SKIP_2) | instid1(VALU_DEP_3)
	v_cndmask_b32_e64 v18, v34, v37, s5
	v_cndmask_b32_e64 v31, v24, v23, s5
	;; [unrolled: 1-line block ×3, first 2 shown]
	v_add_nc_u32_e32 v38, 1, v18
	s_delay_alu instid0(VALU_DEP_3) | instskip(NEXT) | instid1(VALU_DEP_1)
	v_add_nc_u32_e32 v31, -1, v31
	v_min_u32_e32 v31, v38, v31
	s_delay_alu instid0(VALU_DEP_1) | instskip(NEXT) | instid1(VALU_DEP_1)
	v_add_co_u32 v31, s6, v9, v31
	v_add_co_ci_u32_e64 v32, s6, 0, v10, s6
	flat_load_u8 v31, v[31:32]
	v_cndmask_b32_e64 v32, v37, v38, s5
	s_delay_alu instid0(VALU_DEP_1) | instskip(SKIP_4) | instid1(VALU_DEP_3)
	v_cmp_lt_u32_e64 s7, v32, v23
	s_waitcnt vmcnt(0) lgkmcnt(0)
	v_cndmask_b32_e64 v39, v31, v35, s5
	v_cndmask_b32_e64 v54, v36, v31, s5
	;; [unrolled: 1-line block ×3, first 2 shown]
	v_and_b32_e32 v34, v39, v22
	s_delay_alu instid0(VALU_DEP_3) | instskip(NEXT) | instid1(VALU_DEP_3)
	v_and_b32_e32 v37, v54, v22
	v_cmp_ge_u32_e64 s6, v31, v24
	v_lshlrev_b64 v[23:24], 3, v[18:19]
	s_delay_alu instid0(VALU_DEP_3) | instskip(NEXT) | instid1(VALU_DEP_1)
	v_cmp_le_u16_e64 s10, v37, v34
	s_and_b32 s7, s10, s7
	s_delay_alu instid0(VALU_DEP_3) | instid1(SALU_CYCLE_1)
	s_or_b32 s6, s6, s7
	v_add_co_u32 v27, s7, v4, v27
	v_cndmask_b32_e64 v18, v31, v32, s6
	v_add_co_ci_u32_e64 v28, s7, v5, v28, s7
	v_add_co_u32 v23, s7, v4, v23
	s_delay_alu instid0(VALU_DEP_3) | instskip(SKIP_2) | instid1(VALU_DEP_3)
	v_lshlrev_b64 v[18:19], 3, v[18:19]
	v_add_co_ci_u32_e64 v24, s7, v5, v24, s7
	v_cndmask_b32_e64 v54, v39, v54, s6
	v_add_co_u32 v31, s7, v4, v18
	s_delay_alu instid0(VALU_DEP_1)
	v_add_co_ci_u32_e64 v32, s7, v5, v19, s7
	s_clause 0x3
	flat_load_b64 v[48:49], v[20:21] offset:1024
	flat_load_b64 v[50:51], v[27:28] offset:1024
	;; [unrolled: 1-line block ×4, first 2 shown]
.LBB1662_35:
	s_or_b32 exec_lo, exec_lo, s15
	v_and_b32_e32 v25, 0x70, v53
	v_lshlrev_b16 v26, 8, v55
	v_and_b32_e32 v27, 0xff, v65
	v_lshlrev_b16 v28, 8, v54
	v_and_b32_e32 v29, 0xff, v64
	v_or_b32_e32 v23, 8, v25
	v_and_b32_e32 v31, 12, v53
	v_or_b32_e32 v27, v27, v26
	s_mov_b32 s4, exec_lo
	v_or_b32_e32 v28, v29, v28
	v_min_u32_e32 v23, v17, v23
	v_min_u32_e32 v26, v17, v31
	v_and_b32_e32 v32, 0xffff, v27
	s_delay_alu instid0(VALU_DEP_4) | instskip(NEXT) | instid1(VALU_DEP_4)
	v_lshlrev_b32_e32 v33, 16, v28
	v_add_nc_u32_e32 v24, 8, v23
	v_sub_nc_u32_e32 v29, v23, v25
	; wave barrier
	s_delay_alu instid0(VALU_DEP_2) | instskip(NEXT) | instid1(VALU_DEP_2)
	v_min_u32_e32 v24, v17, v24
	v_min_u32_e32 v28, v26, v29
	v_or_b32_e32 v29, v32, v33
	s_waitcnt vmcnt(2) lgkmcnt(2)
	s_clause 0x1
	flat_store_b128 v[13:14], v[48:51] offset:1024
	flat_store_b32 v[11:12], v29
	s_waitcnt vmcnt(0) lgkmcnt(2)
	flat_store_b128 v[15:16], v[18:21] offset:16
	v_sub_nc_u32_e32 v31, v24, v23
	; wave barrier
	s_delay_alu instid0(VALU_DEP_1) | instskip(NEXT) | instid1(VALU_DEP_1)
	v_sub_nc_u32_e64 v27, v26, v31 clamp
	v_cmpx_lt_u32_e64 v27, v28
	s_cbranch_execz .LBB1662_39
; %bb.36:
	v_add_co_u32 v29, s3, v9, v25
	s_delay_alu instid0(VALU_DEP_1) | instskip(SKIP_1) | instid1(VALU_DEP_1)
	v_add_co_ci_u32_e64 v31, s3, 0, v10, s3
	v_add_co_u32 v32, s3, v9, v23
	v_add_co_ci_u32_e64 v33, s3, 0, v10, s3
	s_mov_b32 s5, 0
	.p2align	6
.LBB1662_37:                            ; =>This Inner Loop Header: Depth=1
	v_add_nc_u32_e32 v34, v28, v27
	s_delay_alu instid0(VALU_DEP_1) | instskip(NEXT) | instid1(VALU_DEP_1)
	v_lshrrev_b32_e32 v38, 1, v34
	v_xad_u32 v36, v38, -1, v26
	v_add_co_u32 v34, s3, v29, v38
	s_delay_alu instid0(VALU_DEP_1) | instskip(NEXT) | instid1(VALU_DEP_3)
	v_add_co_ci_u32_e64 v35, s3, 0, v31, s3
	v_add_co_u32 v36, s3, v32, v36
	s_delay_alu instid0(VALU_DEP_1)
	v_add_co_ci_u32_e64 v37, s3, 0, v33, s3
	s_clause 0x1
	flat_load_u8 v34, v[34:35]
	flat_load_u8 v35, v[36:37]
	v_add_nc_u32_e32 v36, 1, v38
	s_waitcnt vmcnt(1) lgkmcnt(1)
	v_and_b32_e32 v34, v34, v22
	s_waitcnt vmcnt(0) lgkmcnt(0)
	v_and_b32_e32 v35, v35, v22
	s_delay_alu instid0(VALU_DEP_1) | instskip(NEXT) | instid1(VALU_DEP_1)
	v_cmp_gt_u16_e64 s3, v34, v35
	v_cndmask_b32_e64 v28, v28, v38, s3
	v_cndmask_b32_e64 v27, v36, v27, s3
	s_delay_alu instid0(VALU_DEP_1) | instskip(NEXT) | instid1(VALU_DEP_1)
	v_cmp_ge_u32_e64 s3, v27, v28
	s_or_b32 s5, s3, s5
	s_delay_alu instid0(SALU_CYCLE_1)
	s_and_not1_b32 exec_lo, exec_lo, s5
	s_cbranch_execnz .LBB1662_37
; %bb.38:
	s_or_b32 exec_lo, exec_lo, s5
.LBB1662_39:
	s_delay_alu instid0(SALU_CYCLE_1) | instskip(SKIP_2) | instid1(VALU_DEP_2)
	s_or_b32 exec_lo, exec_lo, s4
	v_add_nc_u32_e32 v26, v23, v26
	v_add_nc_u32_e32 v28, v27, v25
	v_sub_nc_u32_e32 v27, v26, v27
	s_delay_alu instid0(VALU_DEP_2) | instskip(NEXT) | instid1(VALU_DEP_2)
	v_cmp_le_u32_e64 s3, v28, v23
	v_cmp_le_u32_e64 s4, v27, v24
	s_delay_alu instid0(VALU_DEP_1) | instskip(NEXT) | instid1(SALU_CYCLE_1)
	s_or_b32 s3, s3, s4
	s_and_saveexec_b32 s15, s3
	s_cbranch_execz .LBB1662_45
; %bb.40:
	v_cmp_lt_u32_e64 s3, v28, v23
                                        ; implicit-def: $vgpr25
	s_delay_alu instid0(VALU_DEP_1)
	s_and_saveexec_b32 s5, s3
	s_cbranch_execz .LBB1662_42
; %bb.41:
	v_add_co_u32 v18, s4, v9, v28
	s_delay_alu instid0(VALU_DEP_1)
	v_add_co_ci_u32_e64 v19, s4, 0, v10, s4
	flat_load_u8 v25, v[18:19]
.LBB1662_42:
	s_or_b32 exec_lo, exec_lo, s5
	v_cmp_ge_u32_e64 s4, v27, v24
	s_mov_b32 s6, exec_lo
                                        ; implicit-def: $vgpr26
	v_cmpx_lt_u32_e64 v27, v24
	s_cbranch_execz .LBB1662_44
; %bb.43:
	v_add_co_u32 v18, s5, v9, v27
	s_delay_alu instid0(VALU_DEP_1)
	v_add_co_ci_u32_e64 v19, s5, 0, v10, s5
	flat_load_u8 v26, v[18:19]
.LBB1662_44:
	s_or_b32 exec_lo, exec_lo, s6
	s_waitcnt vmcnt(0) lgkmcnt(0)
	v_and_b32_e32 v18, v26, v22
	v_and_b32_e32 v19, v25, v22
	s_delay_alu instid0(VALU_DEP_1) | instskip(NEXT) | instid1(VALU_DEP_1)
	v_cmp_le_u16_e64 s5, v19, v18
	s_and_b32 s3, s3, s5
	s_delay_alu instid0(SALU_CYCLE_1) | instskip(NEXT) | instid1(SALU_CYCLE_1)
	s_or_b32 s3, s4, s3
	v_cndmask_b32_e64 v18, v27, v28, s3
	v_cndmask_b32_e64 v19, v24, v23, s3
	;; [unrolled: 1-line block ×3, first 2 shown]
	s_delay_alu instid0(VALU_DEP_3) | instskip(NEXT) | instid1(VALU_DEP_3)
	v_add_nc_u32_e32 v21, 1, v18
	v_add_nc_u32_e32 v19, -1, v19
	s_delay_alu instid0(VALU_DEP_2) | instskip(NEXT) | instid1(VALU_DEP_2)
	v_cndmask_b32_e64 v31, v28, v21, s3
	v_min_u32_e32 v19, v21, v19
	v_cndmask_b32_e64 v32, v21, v27, s3
	s_delay_alu instid0(VALU_DEP_2) | instskip(NEXT) | instid1(VALU_DEP_1)
	v_add_co_u32 v19, s4, v9, v19
	v_add_co_ci_u32_e64 v20, s4, 0, v10, s4
	v_cmp_lt_u32_e64 s4, v31, v23
	s_delay_alu instid0(VALU_DEP_4) | instskip(SKIP_4) | instid1(VALU_DEP_2)
	v_cmp_ge_u32_e64 s6, v32, v24
	flat_load_u8 v19, v[19:20]
	s_waitcnt vmcnt(0) lgkmcnt(0)
	v_cndmask_b32_e64 v29, v19, v26, s3
	v_cndmask_b32_e64 v33, v25, v19, s3
	v_and_b32_e32 v19, v29, v22
	s_delay_alu instid0(VALU_DEP_2) | instskip(NEXT) | instid1(VALU_DEP_1)
	v_and_b32_e32 v20, v33, v22
	v_cmp_le_u16_e64 s5, v20, v19
	v_mov_b32_e32 v19, 0
	s_delay_alu instid0(VALU_DEP_2) | instskip(NEXT) | instid1(VALU_DEP_1)
	s_and_b32 s4, s5, s4
	v_lshlrev_b64 v[20:21], 3, v[18:19]
	s_or_b32 s4, s6, s4
	s_delay_alu instid0(SALU_CYCLE_1) | instskip(SKIP_2) | instid1(VALU_DEP_4)
	v_cndmask_b32_e64 v18, v32, v31, s4
	v_cndmask_b32_e64 v27, v24, v23, s4
	;; [unrolled: 1-line block ×3, first 2 shown]
	v_add_co_u32 v20, s11, v4, v20
	s_delay_alu instid0(VALU_DEP_4) | instskip(NEXT) | instid1(VALU_DEP_4)
	v_add_nc_u32_e32 v34, 1, v18
	v_add_nc_u32_e32 v27, -1, v27
	v_add_co_ci_u32_e64 v21, s11, v5, v21, s11
	s_delay_alu instid0(VALU_DEP_3) | instskip(NEXT) | instid1(VALU_DEP_3)
	v_cndmask_b32_e64 v37, v31, v34, s4
	v_min_u32_e32 v27, v34, v27
	v_cndmask_b32_e64 v34, v34, v32, s4
	s_delay_alu instid0(VALU_DEP_2) | instskip(NEXT) | instid1(VALU_DEP_1)
	v_add_co_u32 v27, s5, v9, v27
	v_add_co_ci_u32_e64 v28, s5, 0, v10, s5
	v_cmp_lt_u32_e64 s5, v37, v23
	s_delay_alu instid0(VALU_DEP_4) | instskip(SKIP_4) | instid1(VALU_DEP_2)
	v_cmp_ge_u32_e64 s7, v34, v24
	flat_load_u8 v27, v[27:28]
	s_waitcnt vmcnt(0) lgkmcnt(0)
	v_cndmask_b32_e64 v35, v27, v29, s4
	v_cndmask_b32_e64 v36, v33, v27, s4
	v_and_b32_e32 v27, v35, v22
	s_delay_alu instid0(VALU_DEP_2) | instskip(NEXT) | instid1(VALU_DEP_1)
	v_and_b32_e32 v28, v36, v22
	v_cmp_le_u16_e64 s6, v28, v27
	v_lshlrev_b64 v[27:28], 3, v[18:19]
	s_delay_alu instid0(VALU_DEP_2) | instskip(NEXT) | instid1(SALU_CYCLE_1)
	s_and_b32 s5, s6, s5
	s_or_b32 s5, s7, s5
	s_delay_alu instid0(SALU_CYCLE_1) | instskip(SKIP_2) | instid1(VALU_DEP_3)
	v_cndmask_b32_e64 v18, v34, v37, s5
	v_cndmask_b32_e64 v31, v24, v23, s5
	;; [unrolled: 1-line block ×3, first 2 shown]
	v_add_nc_u32_e32 v38, 1, v18
	s_delay_alu instid0(VALU_DEP_3) | instskip(NEXT) | instid1(VALU_DEP_1)
	v_add_nc_u32_e32 v31, -1, v31
	v_min_u32_e32 v31, v38, v31
	s_delay_alu instid0(VALU_DEP_1) | instskip(NEXT) | instid1(VALU_DEP_1)
	v_add_co_u32 v31, s6, v9, v31
	v_add_co_ci_u32_e64 v32, s6, 0, v10, s6
	flat_load_u8 v31, v[31:32]
	v_cndmask_b32_e64 v32, v37, v38, s5
	s_delay_alu instid0(VALU_DEP_1) | instskip(SKIP_4) | instid1(VALU_DEP_3)
	v_cmp_lt_u32_e64 s7, v32, v23
	s_waitcnt vmcnt(0) lgkmcnt(0)
	v_cndmask_b32_e64 v39, v31, v35, s5
	v_cndmask_b32_e64 v54, v36, v31, s5
	;; [unrolled: 1-line block ×3, first 2 shown]
	v_and_b32_e32 v34, v39, v22
	s_delay_alu instid0(VALU_DEP_3) | instskip(NEXT) | instid1(VALU_DEP_3)
	v_and_b32_e32 v37, v54, v22
	v_cmp_ge_u32_e64 s6, v31, v24
	v_lshlrev_b64 v[23:24], 3, v[18:19]
	s_delay_alu instid0(VALU_DEP_3) | instskip(NEXT) | instid1(VALU_DEP_1)
	v_cmp_le_u16_e64 s10, v37, v34
	s_and_b32 s7, s10, s7
	s_delay_alu instid0(VALU_DEP_3) | instid1(SALU_CYCLE_1)
	s_or_b32 s6, s6, s7
	v_add_co_u32 v27, s7, v4, v27
	v_cndmask_b32_e64 v18, v31, v32, s6
	v_add_co_ci_u32_e64 v28, s7, v5, v28, s7
	v_add_co_u32 v23, s7, v4, v23
	s_delay_alu instid0(VALU_DEP_3) | instskip(SKIP_2) | instid1(VALU_DEP_3)
	v_lshlrev_b64 v[18:19], 3, v[18:19]
	v_add_co_ci_u32_e64 v24, s7, v5, v24, s7
	v_cndmask_b32_e64 v54, v39, v54, s6
	v_add_co_u32 v31, s7, v4, v18
	s_delay_alu instid0(VALU_DEP_1)
	v_add_co_ci_u32_e64 v32, s7, v5, v19, s7
	s_clause 0x3
	flat_load_b64 v[48:49], v[20:21] offset:1024
	flat_load_b64 v[50:51], v[27:28] offset:1024
	;; [unrolled: 1-line block ×4, first 2 shown]
.LBB1662_45:
	s_or_b32 exec_lo, exec_lo, s15
	v_and_b32_e32 v25, 0x60, v53
	v_lshlrev_b16 v26, 8, v55
	v_and_b32_e32 v27, 0xff, v65
	v_lshlrev_b16 v28, 8, v54
	v_and_b32_e32 v29, 0xff, v64
	v_or_b32_e32 v23, 16, v25
	s_mov_b32 s4, exec_lo
	v_or_b32_e32 v26, v27, v26
	s_delay_alu instid0(VALU_DEP_3) | instskip(NEXT) | instid1(VALU_DEP_3)
	v_or_b32_e32 v27, v29, v28
	v_min_u32_e32 v23, v17, v23
	; wave barrier
	s_delay_alu instid0(VALU_DEP_3) | instskip(NEXT) | instid1(VALU_DEP_3)
	v_and_b32_e32 v31, 0xffff, v26
	v_lshlrev_b32_e32 v32, 16, v27
	s_delay_alu instid0(VALU_DEP_3) | instskip(SKIP_1) | instid1(VALU_DEP_2)
	v_add_nc_u32_e32 v24, 16, v23
	v_sub_nc_u32_e32 v28, v23, v25
	v_min_u32_e32 v24, v17, v24
	v_min_u32_e32 v17, v17, v30
	s_delay_alu instid0(VALU_DEP_2) | instskip(NEXT) | instid1(VALU_DEP_2)
	v_sub_nc_u32_e32 v29, v24, v23
	v_min_u32_e32 v27, v17, v28
	v_or_b32_e32 v28, v31, v32
	s_waitcnt vmcnt(2) lgkmcnt(2)
	s_clause 0x1
	flat_store_b128 v[13:14], v[48:51] offset:1024
	flat_store_b32 v[11:12], v28
	s_waitcnt vmcnt(0) lgkmcnt(2)
	flat_store_b128 v[15:16], v[18:21] offset:16
	v_sub_nc_u32_e64 v26, v17, v29 clamp
	; wave barrier
	s_delay_alu instid0(VALU_DEP_1)
	v_cmpx_lt_u32_e64 v26, v27
	s_cbranch_execz .LBB1662_49
; %bb.46:
	v_add_co_u32 v11, s3, v9, v25
	s_delay_alu instid0(VALU_DEP_1) | instskip(SKIP_1) | instid1(VALU_DEP_1)
	v_add_co_ci_u32_e64 v12, s3, 0, v10, s3
	v_add_co_u32 v13, s3, v9, v23
	v_add_co_ci_u32_e64 v14, s3, 0, v10, s3
	s_mov_b32 s5, 0
	.p2align	6
.LBB1662_47:                            ; =>This Inner Loop Header: Depth=1
	v_add_nc_u32_e32 v15, v27, v26
	s_delay_alu instid0(VALU_DEP_1) | instskip(NEXT) | instid1(VALU_DEP_1)
	v_lshrrev_b32_e32 v31, 1, v15
	v_xad_u32 v28, v31, -1, v17
	v_add_co_u32 v15, s3, v11, v31
	s_delay_alu instid0(VALU_DEP_1) | instskip(NEXT) | instid1(VALU_DEP_3)
	v_add_co_ci_u32_e64 v16, s3, 0, v12, s3
	v_add_co_u32 v28, s3, v13, v28
	s_delay_alu instid0(VALU_DEP_1)
	v_add_co_ci_u32_e64 v29, s3, 0, v14, s3
	s_clause 0x1
	flat_load_u8 v15, v[15:16]
	flat_load_u8 v16, v[28:29]
	v_add_nc_u32_e32 v28, 1, v31
	s_waitcnt vmcnt(1) lgkmcnt(1)
	v_and_b32_e32 v15, v15, v22
	s_waitcnt vmcnt(0) lgkmcnt(0)
	v_and_b32_e32 v16, v16, v22
	s_delay_alu instid0(VALU_DEP_1) | instskip(NEXT) | instid1(VALU_DEP_1)
	v_cmp_gt_u16_e64 s3, v15, v16
	v_cndmask_b32_e64 v27, v27, v31, s3
	v_cndmask_b32_e64 v26, v28, v26, s3
	s_delay_alu instid0(VALU_DEP_1) | instskip(NEXT) | instid1(VALU_DEP_1)
	v_cmp_ge_u32_e64 s3, v26, v27
	s_or_b32 s5, s3, s5
	s_delay_alu instid0(SALU_CYCLE_1)
	s_and_not1_b32 exec_lo, exec_lo, s5
	s_cbranch_execnz .LBB1662_47
; %bb.48:
	s_or_b32 exec_lo, exec_lo, s5
.LBB1662_49:
	s_delay_alu instid0(SALU_CYCLE_1) | instskip(SKIP_2) | instid1(VALU_DEP_2)
	s_or_b32 exec_lo, exec_lo, s4
	v_add_nc_u32_e32 v11, v23, v17
	v_add_nc_u32_e32 v14, v26, v25
	v_sub_nc_u32_e32 v13, v11, v26
	s_delay_alu instid0(VALU_DEP_2) | instskip(NEXT) | instid1(VALU_DEP_2)
	v_cmp_le_u32_e64 s3, v14, v23
	v_cmp_le_u32_e64 s4, v13, v24
	s_delay_alu instid0(VALU_DEP_1) | instskip(NEXT) | instid1(SALU_CYCLE_1)
	s_or_b32 s3, s3, s4
	s_and_saveexec_b32 s15, s3
	s_cbranch_execz .LBB1662_55
; %bb.50:
	v_cmp_lt_u32_e64 s3, v14, v23
                                        ; implicit-def: $vgpr11
	s_delay_alu instid0(VALU_DEP_1)
	s_and_saveexec_b32 s5, s3
	s_cbranch_execz .LBB1662_52
; %bb.51:
	v_add_co_u32 v11, s4, v9, v14
	s_delay_alu instid0(VALU_DEP_1)
	v_add_co_ci_u32_e64 v12, s4, 0, v10, s4
	flat_load_u8 v11, v[11:12]
.LBB1662_52:
	s_or_b32 exec_lo, exec_lo, s5
	v_cmp_ge_u32_e64 s4, v13, v24
	s_mov_b32 s6, exec_lo
                                        ; implicit-def: $vgpr12
	v_cmpx_lt_u32_e64 v13, v24
	s_cbranch_execz .LBB1662_54
; %bb.53:
	v_add_co_u32 v15, s5, v9, v13
	s_delay_alu instid0(VALU_DEP_1)
	v_add_co_ci_u32_e64 v16, s5, 0, v10, s5
	flat_load_u8 v12, v[15:16]
.LBB1662_54:
	s_or_b32 exec_lo, exec_lo, s6
	s_waitcnt vmcnt(0) lgkmcnt(0)
	v_and_b32_e32 v15, v12, v22
	v_and_b32_e32 v16, v11, v22
	s_delay_alu instid0(VALU_DEP_1) | instskip(NEXT) | instid1(VALU_DEP_1)
	v_cmp_le_u16_e64 s5, v16, v15
	s_and_b32 s3, s3, s5
	s_delay_alu instid0(SALU_CYCLE_1) | instskip(NEXT) | instid1(SALU_CYCLE_1)
	s_or_b32 s3, s4, s3
	v_cndmask_b32_e64 v15, v13, v14, s3
	v_cndmask_b32_e64 v16, v24, v23, s3
	;; [unrolled: 1-line block ×3, first 2 shown]
	s_delay_alu instid0(VALU_DEP_3) | instskip(NEXT) | instid1(VALU_DEP_3)
	v_add_nc_u32_e32 v18, 1, v15
	v_add_nc_u32_e32 v16, -1, v16
	s_delay_alu instid0(VALU_DEP_2) | instskip(NEXT) | instid1(VALU_DEP_2)
	v_cndmask_b32_e64 v19, v14, v18, s3
	v_min_u32_e32 v16, v18, v16
	v_cndmask_b32_e64 v20, v18, v13, s3
	s_delay_alu instid0(VALU_DEP_2) | instskip(NEXT) | instid1(VALU_DEP_1)
	v_add_co_u32 v16, s4, v9, v16
	v_add_co_ci_u32_e64 v17, s4, 0, v10, s4
	v_cmp_lt_u32_e64 s4, v19, v23
	s_delay_alu instid0(VALU_DEP_4) | instskip(SKIP_4) | instid1(VALU_DEP_2)
	v_cmp_ge_u32_e64 s6, v20, v24
	flat_load_u8 v16, v[16:17]
	s_waitcnt vmcnt(0) lgkmcnt(0)
	v_cndmask_b32_e64 v25, v16, v12, s3
	v_cndmask_b32_e64 v26, v11, v16, s3
	v_and_b32_e32 v14, v25, v22
	s_delay_alu instid0(VALU_DEP_2) | instskip(NEXT) | instid1(VALU_DEP_1)
	v_and_b32_e32 v16, v26, v22
	v_cmp_le_u16_e64 s5, v16, v14
	v_mov_b32_e32 v16, 0
	s_delay_alu instid0(VALU_DEP_2) | instskip(NEXT) | instid1(VALU_DEP_1)
	s_and_b32 s4, s5, s4
	v_lshlrev_b64 v[13:14], 3, v[15:16]
	s_or_b32 s4, s6, s4
	s_delay_alu instid0(SALU_CYCLE_1) | instskip(SKIP_2) | instid1(VALU_DEP_3)
	v_cndmask_b32_e64 v15, v20, v19, s4
	v_cndmask_b32_e64 v17, v24, v23, s4
	;; [unrolled: 1-line block ×3, first 2 shown]
	v_add_nc_u32_e32 v21, 1, v15
	s_delay_alu instid0(VALU_DEP_3) | instskip(NEXT) | instid1(VALU_DEP_2)
	v_add_nc_u32_e32 v17, -1, v17
	v_cndmask_b32_e64 v19, v19, v21, s4
	s_delay_alu instid0(VALU_DEP_2) | instskip(SKIP_1) | instid1(VALU_DEP_2)
	v_min_u32_e32 v17, v21, v17
	v_cndmask_b32_e64 v20, v21, v20, s4
	v_add_co_u32 v17, s5, v9, v17
	s_delay_alu instid0(VALU_DEP_1) | instskip(SKIP_1) | instid1(VALU_DEP_4)
	v_add_co_ci_u32_e64 v18, s5, 0, v10, s5
	v_cmp_lt_u32_e64 s5, v19, v23
	v_cmp_ge_u32_e64 s7, v20, v24
	flat_load_u8 v17, v[17:18]
	s_waitcnt vmcnt(0) lgkmcnt(0)
	v_cndmask_b32_e64 v27, v17, v25, s4
	v_cndmask_b32_e64 v28, v26, v17, s4
	s_delay_alu instid0(VALU_DEP_2) | instskip(NEXT) | instid1(VALU_DEP_2)
	v_and_b32_e32 v17, v27, v22
	v_and_b32_e32 v18, v28, v22
	s_delay_alu instid0(VALU_DEP_1) | instskip(SKIP_1) | instid1(VALU_DEP_2)
	v_cmp_le_u16_e64 s6, v18, v17
	v_lshlrev_b64 v[17:18], 3, v[15:16]
	s_and_b32 s5, s6, s5
	s_delay_alu instid0(SALU_CYCLE_1) | instskip(NEXT) | instid1(SALU_CYCLE_1)
	s_or_b32 s5, s7, s5
	v_cndmask_b32_e64 v15, v20, v19, s5
	v_cndmask_b32_e64 v21, v24, v23, s5
	;; [unrolled: 1-line block ×3, first 2 shown]
	s_delay_alu instid0(VALU_DEP_3) | instskip(NEXT) | instid1(VALU_DEP_3)
	v_add_nc_u32_e32 v29, 1, v15
	v_add_nc_u32_e32 v21, -1, v21
	s_delay_alu instid0(VALU_DEP_2) | instskip(NEXT) | instid1(VALU_DEP_2)
	v_cndmask_b32_e64 v19, v19, v29, s5
	v_min_u32_e32 v21, v29, v21
	v_cndmask_b32_e64 v20, v29, v20, s5
	s_delay_alu instid0(VALU_DEP_3) | instskip(NEXT) | instid1(VALU_DEP_3)
	v_cmp_lt_u32_e64 s7, v19, v23
	v_add_co_u32 v9, s6, v9, v21
	s_delay_alu instid0(VALU_DEP_1) | instskip(NEXT) | instid1(VALU_DEP_4)
	v_add_co_ci_u32_e64 v10, s6, 0, v10, s6
	v_cmp_ge_u32_e64 s6, v20, v24
	flat_load_u8 v9, v[9:10]
	s_waitcnt vmcnt(0) lgkmcnt(0)
	v_cndmask_b32_e64 v31, v9, v27, s5
	v_cndmask_b32_e64 v32, v28, v9, s5
	s_delay_alu instid0(VALU_DEP_2) | instskip(NEXT) | instid1(VALU_DEP_2)
	v_and_b32_e32 v9, v31, v22
	v_and_b32_e32 v10, v32, v22
	s_delay_alu instid0(VALU_DEP_1) | instskip(SKIP_1) | instid1(VALU_DEP_1)
	v_cmp_le_u16_e64 s10, v10, v9
	v_add_co_u32 v9, s11, v4, v13
	v_add_co_ci_u32_e64 v10, s11, v5, v14, s11
	s_delay_alu instid0(VALU_DEP_3)
	s_and_b32 s7, s10, s7
	v_lshlrev_b64 v[13:14], 3, v[15:16]
	s_or_b32 s6, s6, s7
	v_add_co_u32 v17, s7, v4, v17
	v_cndmask_b32_e64 v15, v20, v19, s6
	v_add_co_ci_u32_e64 v18, s7, v5, v18, s7
	s_delay_alu instid0(VALU_DEP_4) | instskip(NEXT) | instid1(VALU_DEP_3)
	v_add_co_u32 v13, s7, v4, v13
	v_lshlrev_b64 v[15:16], 3, v[15:16]
	v_add_co_ci_u32_e64 v14, s7, v5, v14, s7
	v_cndmask_b32_e64 v54, v31, v32, s6
	s_delay_alu instid0(VALU_DEP_3) | instskip(NEXT) | instid1(VALU_DEP_1)
	v_add_co_u32 v4, s7, v4, v15
	v_add_co_ci_u32_e64 v5, s7, v5, v16, s7
	s_clause 0x3
	flat_load_b64 v[48:49], v[9:10] offset:1024
	flat_load_b64 v[50:51], v[17:18] offset:1024
	;; [unrolled: 1-line block ×4, first 2 shown]
.LBB1662_55:
	s_or_b32 exec_lo, exec_lo, s15
	; wave barrier
	s_waitcnt vmcnt(0) lgkmcnt(0)
	s_waitcnt_vscnt null, 0x0
	s_barrier
                                        ; implicit-def: $vgpr53
                                        ; implicit-def: $vgpr12
                                        ; implicit-def: $vgpr13
                                        ; implicit-def: $vgpr4
                                        ; implicit-def: $vgpr9
                                        ; implicit-def: $vgpr5
                                        ; implicit-def: $vgpr22_vgpr23_vgpr24_vgpr25_vgpr26_vgpr27_vgpr28_vgpr29
                                        ; implicit-def: $vgpr32_vgpr33_vgpr34_vgpr35_vgpr36_vgpr37_vgpr38_vgpr39
.LBB1662_56:
	s_and_not1_saveexec_b32 s10, s14
	s_cbranch_execz .LBB1662_92
; %bb.57:
	s_load_b64 s[4:5], s[8:9], 0x0
	v_mov_b32_e32 v10, 0
	s_waitcnt lgkmcnt(0)
	s_cmp_lt_u32 s13, s5
	s_cselect_b32 s3, 14, 20
	s_delay_alu instid0(SALU_CYCLE_1)
	s_add_u32 s6, s8, s3
	s_addc_u32 s7, s9, 0
	s_cmp_lt_u32 s12, s4
	global_load_u16 v11, v10, s[6:7]
	s_cselect_b32 s3, 12, 18
	s_mov_b32 s6, exec_lo
	s_add_u32 s4, s8, s3
	s_addc_u32 s5, s9, 0
	global_load_u16 v10, v10, s[4:5]
	s_waitcnt vmcnt(1)
	v_mad_u32_u24 v4, v9, v11, v4
	s_waitcnt vmcnt(0)
	s_delay_alu instid0(VALU_DEP_1) | instskip(NEXT) | instid1(VALU_DEP_1)
	v_mul_lo_u32 v4, v4, v10
	v_add_lshl_u32 v4, v4, v5, 2
	s_delay_alu instid0(VALU_DEP_1)
	v_cmpx_gt_u32_e32 0x400, v4
	s_cbranch_execz .LBB1662_61
; %bb.58:
	v_and_b32_e32 v5, 0xff, v55
	v_and_b32_e32 v9, 0xff, v65
	;; [unrolled: 1-line block ×4, first 2 shown]
	s_mov_b32 s7, exec_lo
	s_delay_alu instid0(VALU_DEP_3) | instskip(NEXT) | instid1(VALU_DEP_2)
	v_cmp_gt_u16_e64 s3, v9, v5
	v_cmp_gt_u16_e64 s4, v11, v10
	s_delay_alu instid0(VALU_DEP_2) | instskip(SKIP_1) | instid1(VALU_DEP_3)
	v_cndmask_b32_e64 v9, v55, 1, s3
	v_cndmask_b32_e64 v5, v65, 0, s3
	;; [unrolled: 1-line block ×5, first 2 shown]
	v_and_b32_e32 v15, 0xff, v9
	v_and_b32_e32 v11, 0xff, v5
	;; [unrolled: 1-line block ×3, first 2 shown]
	v_cndmask_b32_e64 v18, v51, v49, s3
	v_cndmask_b32_e64 v19, v50, v48, s3
	;; [unrolled: 1-line block ×4, first 2 shown]
	v_cmp_gt_u16_e64 s5, v15, v14
	v_cndmask_b32_e64 v15, v38, v26, s4
	v_cndmask_b32_e64 v23, v27, v39, s4
	s_delay_alu instid0(VALU_DEP_3)
	v_cndmask_b32_e64 v14, v9, 0, s5
	v_cndmask_b32_e64 v9, v54, 1, s4
	;; [unrolled: 1-line block ×5, first 2 shown]
	v_and_b32_e32 v21, 0xff, v14
	v_and_b32_e32 v24, 0xff, v9
	s_delay_alu instid0(VALU_DEP_2) | instskip(SKIP_1) | instid1(VALU_DEP_2)
	v_cmp_gt_u16_e64 s3, v11, v21
	v_and_b32_e32 v11, 0xff, v10
	v_cndmask_b32_e64 v55, v14, 1, s3
	s_delay_alu instid0(VALU_DEP_2)
	v_cmp_gt_u16_e64 s4, v11, v24
	v_cndmask_b32_e64 v14, v23, v18, s5
	v_cndmask_b32_e64 v18, v18, v23, s5
	;; [unrolled: 1-line block ×3, first 2 shown]
	v_and_b32_e32 v23, 0xff, v55
	v_cndmask_b32_e64 v64, v10, 0, s4
	v_cndmask_b32_e64 v50, v19, v16, s3
	;; [unrolled: 1-line block ×5, first 2 shown]
	v_and_b32_e32 v10, 0xff, v64
	v_cndmask_b32_e64 v20, v15, v25, s4
	v_cndmask_b32_e64 v19, v14, v22, s4
	;; [unrolled: 1-line block ×3, first 2 shown]
	s_delay_alu instid0(VALU_DEP_4)
	v_cmpx_gt_u16_e64 v23, v10
; %bb.59:
	s_delay_alu instid0(VALU_DEP_2) | instskip(SKIP_2) | instid1(VALU_DEP_3)
	v_dual_mov_b32 v10, v18 :: v_dual_mov_b32 v11, v19
	v_dual_mov_b32 v64, 1 :: v_dual_mov_b32 v55, 0
	;; [unrolled: 1-line block ×4, first 2 shown]
; %bb.60:
	s_or_b32 exec_lo, exec_lo, s7
	v_cndmask_b32_e64 v65, v5, 0, s3
	v_cndmask_b32_e64 v54, v9, 1, s4
.LBB1662_61:
	s_or_b32 exec_lo, exec_lo, s6
	v_and_b32_e32 v11, 0xffffff80, v4
	v_lshlrev_b16 v14, 8, v55
	s_delay_alu instid0(VALU_DEP_3)
	v_lshlrev_b16 v15, 8, v54
	v_and_b32_e32 v16, 0xff, v64
	v_lshlrev_b32_e32 v26, 3, v53
	v_add_co_u32 v9, s3, v12, v11
	v_or_b32_e32 v12, 4, v53
	v_sub_nc_u32_e64 v17, 0x400, v11 clamp
	v_add_co_ci_u32_e64 v10, s3, 0, v13, s3
	v_and_b32_e32 v13, 0xff, v65
	v_and_b32_e32 v24, 0x78, v53
	s_delay_alu instid0(VALU_DEP_4) | instskip(NEXT) | instid1(VALU_DEP_4)
	v_min_u32_e32 v22, v17, v12
	v_mad_u64_u32 v[4:5], null, v11, 7, v[9:10]
	s_delay_alu instid0(VALU_DEP_4) | instskip(SKIP_1) | instid1(VALU_DEP_4)
	v_or_b32_e32 v13, v13, v14
	v_or_b32_e32 v14, v16, v15
	v_add_nc_u32_e32 v23, 4, v22
	v_and_b32_e32 v15, 4, v53
	v_add_co_u32 v11, s3, v9, v53
	s_delay_alu instid0(VALU_DEP_1) | instskip(NEXT) | instid1(VALU_DEP_4)
	v_add_co_ci_u32_e64 v12, s3, 0, v10, s3
	v_min_u32_e32 v23, v17, v23
	v_and_b32_e32 v16, 0xffff, v13
	v_lshlrev_b32_e32 v27, 16, v14
	v_min_u32_e32 v25, v17, v15
	v_sub_nc_u32_e32 v15, v22, v24
	v_add_co_u32 v13, s3, v4, v26
	v_sub_nc_u32_e32 v28, v23, v22
	v_add_co_ci_u32_e64 v14, s3, 0, v5, s3
	v_or_b32_e32 v29, v16, v27
	v_min_u32_e32 v27, v25, v15
	v_add_co_u32 v15, s3, 0x400, v13
	v_sub_nc_u32_e64 v26, v25, v28 clamp
	v_add_co_ci_u32_e64 v16, s3, 0, v14, s3
	s_mov_b32 s4, exec_lo
	s_clause 0x2
	flat_store_b128 v[13:14], v[48:51] offset:1024
	flat_store_b32 v[11:12], v29
	flat_store_b128 v[13:14], v[18:21] offset:1040
	; wave barrier
	v_cmpx_lt_u32_e64 v26, v27
	s_cbranch_execz .LBB1662_65
; %bb.62:
	v_add_co_u32 v28, s3, v9, v24
	s_delay_alu instid0(VALU_DEP_1) | instskip(SKIP_1) | instid1(VALU_DEP_1)
	v_add_co_ci_u32_e64 v29, s3, 0, v10, s3
	v_add_co_u32 v31, s3, v9, v22
	v_add_co_ci_u32_e64 v32, s3, 0, v10, s3
	s_mov_b32 s5, 0
	.p2align	6
.LBB1662_63:                            ; =>This Inner Loop Header: Depth=1
	v_add_nc_u32_e32 v33, v27, v26
	s_delay_alu instid0(VALU_DEP_1) | instskip(NEXT) | instid1(VALU_DEP_1)
	v_lshrrev_b32_e32 v37, 1, v33
	v_xad_u32 v35, v37, -1, v25
	v_add_co_u32 v33, s3, v28, v37
	s_delay_alu instid0(VALU_DEP_1) | instskip(NEXT) | instid1(VALU_DEP_3)
	v_add_co_ci_u32_e64 v34, s3, 0, v29, s3
	v_add_co_u32 v35, s3, v31, v35
	s_delay_alu instid0(VALU_DEP_1)
	v_add_co_ci_u32_e64 v36, s3, 0, v32, s3
	s_clause 0x1
	flat_load_u8 v33, v[33:34]
	flat_load_u8 v34, v[35:36]
	v_add_nc_u32_e32 v35, 1, v37
	s_waitcnt vmcnt(0) lgkmcnt(0)
	v_cmp_gt_u16_e64 s3, v33, v34
	s_delay_alu instid0(VALU_DEP_1) | instskip(NEXT) | instid1(VALU_DEP_3)
	v_cndmask_b32_e64 v27, v27, v37, s3
	v_cndmask_b32_e64 v26, v35, v26, s3
	s_delay_alu instid0(VALU_DEP_1) | instskip(NEXT) | instid1(VALU_DEP_1)
	v_cmp_ge_u32_e64 s3, v26, v27
	s_or_b32 s5, s3, s5
	s_delay_alu instid0(SALU_CYCLE_1)
	s_and_not1_b32 exec_lo, exec_lo, s5
	s_cbranch_execnz .LBB1662_63
; %bb.64:
	s_or_b32 exec_lo, exec_lo, s5
.LBB1662_65:
	s_delay_alu instid0(SALU_CYCLE_1) | instskip(SKIP_2) | instid1(VALU_DEP_2)
	s_or_b32 exec_lo, exec_lo, s4
	v_add_nc_u32_e32 v25, v22, v25
	v_add_nc_u32_e32 v27, v26, v24
	v_sub_nc_u32_e32 v26, v25, v26
	s_delay_alu instid0(VALU_DEP_2) | instskip(NEXT) | instid1(VALU_DEP_2)
	v_cmp_le_u32_e64 s3, v27, v22
	v_cmp_le_u32_e64 s4, v26, v23
	s_delay_alu instid0(VALU_DEP_1) | instskip(NEXT) | instid1(SALU_CYCLE_1)
	s_or_b32 s3, s3, s4
	s_and_saveexec_b32 s11, s3
	s_cbranch_execz .LBB1662_71
; %bb.66:
	v_cmp_lt_u32_e64 s3, v27, v22
                                        ; implicit-def: $vgpr24
	s_delay_alu instid0(VALU_DEP_1)
	s_and_saveexec_b32 s5, s3
	s_cbranch_execz .LBB1662_68
; %bb.67:
	v_add_co_u32 v18, s4, v9, v27
	s_delay_alu instid0(VALU_DEP_1)
	v_add_co_ci_u32_e64 v19, s4, 0, v10, s4
	flat_load_u8 v24, v[18:19]
.LBB1662_68:
	s_or_b32 exec_lo, exec_lo, s5
	v_cmp_ge_u32_e64 s4, v26, v23
	s_mov_b32 s6, exec_lo
                                        ; implicit-def: $vgpr25
	v_cmpx_lt_u32_e64 v26, v23
	s_cbranch_execz .LBB1662_70
; %bb.69:
	v_add_co_u32 v18, s5, v9, v26
	s_delay_alu instid0(VALU_DEP_1)
	v_add_co_ci_u32_e64 v19, s5, 0, v10, s5
	flat_load_u8 v25, v[18:19]
.LBB1662_70:
	s_or_b32 exec_lo, exec_lo, s6
	s_waitcnt vmcnt(0) lgkmcnt(0)
	v_and_b32_e32 v18, 0xff, v25
	v_and_b32_e32 v19, 0xff, v24
	s_delay_alu instid0(VALU_DEP_1) | instskip(NEXT) | instid1(VALU_DEP_1)
	v_cmp_le_u16_e64 s5, v19, v18
	s_and_b32 s3, s3, s5
	s_delay_alu instid0(SALU_CYCLE_1) | instskip(NEXT) | instid1(SALU_CYCLE_1)
	s_or_b32 s3, s4, s3
	v_cndmask_b32_e64 v18, v26, v27, s3
	v_cndmask_b32_e64 v19, v23, v22, s3
	;; [unrolled: 1-line block ×3, first 2 shown]
	s_delay_alu instid0(VALU_DEP_3) | instskip(NEXT) | instid1(VALU_DEP_3)
	v_add_nc_u32_e32 v21, 1, v18
	v_add_nc_u32_e32 v19, -1, v19
	s_delay_alu instid0(VALU_DEP_2) | instskip(NEXT) | instid1(VALU_DEP_2)
	v_cndmask_b32_e64 v28, v27, v21, s3
	v_min_u32_e32 v19, v21, v19
	v_cndmask_b32_e64 v29, v21, v26, s3
	s_delay_alu instid0(VALU_DEP_2) | instskip(NEXT) | instid1(VALU_DEP_1)
	v_add_co_u32 v19, s4, v9, v19
	v_add_co_ci_u32_e64 v20, s4, 0, v10, s4
	v_cmp_lt_u32_e64 s4, v28, v22
	s_delay_alu instid0(VALU_DEP_4) | instskip(SKIP_4) | instid1(VALU_DEP_2)
	v_cmp_ge_u32_e64 s6, v29, v23
	flat_load_u8 v19, v[19:20]
	s_waitcnt vmcnt(0) lgkmcnt(0)
	v_cndmask_b32_e64 v31, v19, v25, s3
	v_cndmask_b32_e64 v32, v24, v19, s3
	v_and_b32_e32 v19, 0xff, v31
	s_delay_alu instid0(VALU_DEP_2) | instskip(NEXT) | instid1(VALU_DEP_1)
	v_and_b32_e32 v20, 0xff, v32
	v_cmp_le_u16_e64 s5, v20, v19
	v_mov_b32_e32 v19, 0
	s_delay_alu instid0(VALU_DEP_2) | instskip(NEXT) | instid1(VALU_DEP_1)
	s_and_b32 s4, s5, s4
	v_lshlrev_b64 v[20:21], 3, v[18:19]
	s_or_b32 s4, s6, s4
	s_delay_alu instid0(SALU_CYCLE_1) | instskip(SKIP_2) | instid1(VALU_DEP_4)
	v_cndmask_b32_e64 v18, v29, v28, s4
	v_cndmask_b32_e64 v26, v23, v22, s4
	;; [unrolled: 1-line block ×3, first 2 shown]
	v_add_co_u32 v20, s9, v4, v20
	s_delay_alu instid0(VALU_DEP_4) | instskip(NEXT) | instid1(VALU_DEP_4)
	v_add_nc_u32_e32 v33, 1, v18
	v_add_nc_u32_e32 v26, -1, v26
	v_add_co_ci_u32_e64 v21, s9, v5, v21, s9
	s_delay_alu instid0(VALU_DEP_3) | instskip(NEXT) | instid1(VALU_DEP_3)
	v_cndmask_b32_e64 v36, v28, v33, s4
	v_min_u32_e32 v26, v33, v26
	v_cndmask_b32_e64 v33, v33, v29, s4
	s_delay_alu instid0(VALU_DEP_2) | instskip(NEXT) | instid1(VALU_DEP_1)
	v_add_co_u32 v26, s5, v9, v26
	v_add_co_ci_u32_e64 v27, s5, 0, v10, s5
	v_cmp_lt_u32_e64 s5, v36, v22
	s_delay_alu instid0(VALU_DEP_4) | instskip(SKIP_4) | instid1(VALU_DEP_2)
	v_cmp_ge_u32_e64 s7, v33, v23
	flat_load_u8 v26, v[26:27]
	s_waitcnt vmcnt(0) lgkmcnt(0)
	v_cndmask_b32_e64 v34, v26, v31, s4
	v_cndmask_b32_e64 v35, v32, v26, s4
	v_and_b32_e32 v26, 0xff, v34
	s_delay_alu instid0(VALU_DEP_2) | instskip(NEXT) | instid1(VALU_DEP_1)
	v_and_b32_e32 v27, 0xff, v35
	v_cmp_le_u16_e64 s6, v27, v26
	v_lshlrev_b64 v[26:27], 3, v[18:19]
	s_delay_alu instid0(VALU_DEP_2) | instskip(NEXT) | instid1(SALU_CYCLE_1)
	s_and_b32 s5, s6, s5
	s_or_b32 s5, s7, s5
	s_delay_alu instid0(SALU_CYCLE_1) | instskip(SKIP_2) | instid1(VALU_DEP_3)
	v_cndmask_b32_e64 v18, v33, v36, s5
	v_cndmask_b32_e64 v28, v23, v22, s5
	;; [unrolled: 1-line block ×3, first 2 shown]
	v_add_nc_u32_e32 v37, 1, v18
	s_delay_alu instid0(VALU_DEP_3) | instskip(NEXT) | instid1(VALU_DEP_1)
	v_add_nc_u32_e32 v28, -1, v28
	v_min_u32_e32 v28, v37, v28
	s_delay_alu instid0(VALU_DEP_1) | instskip(NEXT) | instid1(VALU_DEP_1)
	v_add_co_u32 v28, s6, v9, v28
	v_add_co_ci_u32_e64 v29, s6, 0, v10, s6
	flat_load_u8 v28, v[28:29]
	v_cndmask_b32_e64 v29, v36, v37, s5
	s_delay_alu instid0(VALU_DEP_1) | instskip(SKIP_4) | instid1(VALU_DEP_3)
	v_cmp_lt_u32_e64 s7, v29, v22
	s_waitcnt vmcnt(0) lgkmcnt(0)
	v_cndmask_b32_e64 v38, v28, v34, s5
	v_cndmask_b32_e64 v39, v35, v28, s5
	;; [unrolled: 1-line block ×3, first 2 shown]
	v_and_b32_e32 v33, 0xff, v38
	s_delay_alu instid0(VALU_DEP_3) | instskip(NEXT) | instid1(VALU_DEP_3)
	v_and_b32_e32 v36, 0xff, v39
	v_cmp_ge_u32_e64 s6, v28, v23
	v_lshlrev_b64 v[22:23], 3, v[18:19]
	s_delay_alu instid0(VALU_DEP_3) | instskip(NEXT) | instid1(VALU_DEP_1)
	v_cmp_le_u16_e64 s8, v36, v33
	s_and_b32 s7, s8, s7
	s_delay_alu instid0(VALU_DEP_3) | instid1(SALU_CYCLE_1)
	s_or_b32 s6, s6, s7
	v_add_co_u32 v26, s7, v4, v26
	v_cndmask_b32_e64 v18, v28, v29, s6
	v_add_co_ci_u32_e64 v27, s7, v5, v27, s7
	v_add_co_u32 v22, s7, v4, v22
	s_delay_alu instid0(VALU_DEP_3) | instskip(SKIP_2) | instid1(VALU_DEP_3)
	v_lshlrev_b64 v[18:19], 3, v[18:19]
	v_add_co_ci_u32_e64 v23, s7, v5, v23, s7
	v_cndmask_b32_e64 v54, v38, v39, s6
	v_add_co_u32 v28, s7, v4, v18
	s_delay_alu instid0(VALU_DEP_1)
	v_add_co_ci_u32_e64 v29, s7, v5, v19, s7
	s_clause 0x3
	flat_load_b64 v[48:49], v[20:21] offset:1024
	flat_load_b64 v[50:51], v[26:27] offset:1024
	;; [unrolled: 1-line block ×4, first 2 shown]
.LBB1662_71:
	s_or_b32 exec_lo, exec_lo, s11
	v_and_b32_e32 v24, 0x70, v53
	v_lshlrev_b16 v25, 8, v55
	v_and_b32_e32 v26, 0xff, v65
	v_lshlrev_b16 v27, 8, v54
	v_and_b32_e32 v28, 0xff, v64
	v_or_b32_e32 v22, 8, v24
	v_and_b32_e32 v29, 12, v53
	v_or_b32_e32 v26, v26, v25
	s_mov_b32 s4, exec_lo
	v_or_b32_e32 v27, v28, v27
	v_min_u32_e32 v22, v17, v22
	v_min_u32_e32 v25, v17, v29
	v_and_b32_e32 v31, 0xffff, v26
	s_delay_alu instid0(VALU_DEP_4) | instskip(NEXT) | instid1(VALU_DEP_4)
	v_lshlrev_b32_e32 v32, 16, v27
	v_add_nc_u32_e32 v23, 8, v22
	v_sub_nc_u32_e32 v28, v22, v24
	; wave barrier
	s_delay_alu instid0(VALU_DEP_2) | instskip(NEXT) | instid1(VALU_DEP_2)
	v_min_u32_e32 v23, v17, v23
	v_min_u32_e32 v27, v25, v28
	v_or_b32_e32 v28, v31, v32
	s_waitcnt vmcnt(2) lgkmcnt(2)
	s_clause 0x1
	flat_store_b128 v[13:14], v[48:51] offset:1024
	flat_store_b32 v[11:12], v28
	s_waitcnt vmcnt(0) lgkmcnt(2)
	flat_store_b128 v[15:16], v[18:21] offset:16
	v_sub_nc_u32_e32 v29, v23, v22
	; wave barrier
	s_delay_alu instid0(VALU_DEP_1) | instskip(NEXT) | instid1(VALU_DEP_1)
	v_sub_nc_u32_e64 v26, v25, v29 clamp
	v_cmpx_lt_u32_e64 v26, v27
	s_cbranch_execz .LBB1662_75
; %bb.72:
	v_add_co_u32 v28, s3, v9, v24
	s_delay_alu instid0(VALU_DEP_1) | instskip(SKIP_1) | instid1(VALU_DEP_1)
	v_add_co_ci_u32_e64 v29, s3, 0, v10, s3
	v_add_co_u32 v31, s3, v9, v22
	v_add_co_ci_u32_e64 v32, s3, 0, v10, s3
	s_mov_b32 s5, 0
	.p2align	6
.LBB1662_73:                            ; =>This Inner Loop Header: Depth=1
	v_add_nc_u32_e32 v33, v27, v26
	s_delay_alu instid0(VALU_DEP_1) | instskip(NEXT) | instid1(VALU_DEP_1)
	v_lshrrev_b32_e32 v37, 1, v33
	v_xad_u32 v35, v37, -1, v25
	v_add_co_u32 v33, s3, v28, v37
	s_delay_alu instid0(VALU_DEP_1) | instskip(NEXT) | instid1(VALU_DEP_3)
	v_add_co_ci_u32_e64 v34, s3, 0, v29, s3
	v_add_co_u32 v35, s3, v31, v35
	s_delay_alu instid0(VALU_DEP_1)
	v_add_co_ci_u32_e64 v36, s3, 0, v32, s3
	s_clause 0x1
	flat_load_u8 v33, v[33:34]
	flat_load_u8 v34, v[35:36]
	v_add_nc_u32_e32 v35, 1, v37
	s_waitcnt vmcnt(0) lgkmcnt(0)
	v_cmp_gt_u16_e64 s3, v33, v34
	s_delay_alu instid0(VALU_DEP_1) | instskip(NEXT) | instid1(VALU_DEP_3)
	v_cndmask_b32_e64 v27, v27, v37, s3
	v_cndmask_b32_e64 v26, v35, v26, s3
	s_delay_alu instid0(VALU_DEP_1) | instskip(NEXT) | instid1(VALU_DEP_1)
	v_cmp_ge_u32_e64 s3, v26, v27
	s_or_b32 s5, s3, s5
	s_delay_alu instid0(SALU_CYCLE_1)
	s_and_not1_b32 exec_lo, exec_lo, s5
	s_cbranch_execnz .LBB1662_73
; %bb.74:
	s_or_b32 exec_lo, exec_lo, s5
.LBB1662_75:
	s_delay_alu instid0(SALU_CYCLE_1) | instskip(SKIP_2) | instid1(VALU_DEP_2)
	s_or_b32 exec_lo, exec_lo, s4
	v_add_nc_u32_e32 v25, v22, v25
	v_add_nc_u32_e32 v27, v26, v24
	v_sub_nc_u32_e32 v26, v25, v26
	s_delay_alu instid0(VALU_DEP_2) | instskip(NEXT) | instid1(VALU_DEP_2)
	v_cmp_le_u32_e64 s3, v27, v22
	v_cmp_le_u32_e64 s4, v26, v23
	s_delay_alu instid0(VALU_DEP_1) | instskip(NEXT) | instid1(SALU_CYCLE_1)
	s_or_b32 s3, s3, s4
	s_and_saveexec_b32 s11, s3
	s_cbranch_execz .LBB1662_81
; %bb.76:
	v_cmp_lt_u32_e64 s3, v27, v22
                                        ; implicit-def: $vgpr24
	s_delay_alu instid0(VALU_DEP_1)
	s_and_saveexec_b32 s5, s3
	s_cbranch_execz .LBB1662_78
; %bb.77:
	v_add_co_u32 v18, s4, v9, v27
	s_delay_alu instid0(VALU_DEP_1)
	v_add_co_ci_u32_e64 v19, s4, 0, v10, s4
	flat_load_u8 v24, v[18:19]
.LBB1662_78:
	s_or_b32 exec_lo, exec_lo, s5
	v_cmp_ge_u32_e64 s4, v26, v23
	s_mov_b32 s6, exec_lo
                                        ; implicit-def: $vgpr25
	v_cmpx_lt_u32_e64 v26, v23
	s_cbranch_execz .LBB1662_80
; %bb.79:
	v_add_co_u32 v18, s5, v9, v26
	s_delay_alu instid0(VALU_DEP_1)
	v_add_co_ci_u32_e64 v19, s5, 0, v10, s5
	flat_load_u8 v25, v[18:19]
.LBB1662_80:
	s_or_b32 exec_lo, exec_lo, s6
	s_waitcnt vmcnt(0) lgkmcnt(0)
	v_and_b32_e32 v18, 0xff, v25
	v_and_b32_e32 v19, 0xff, v24
	s_delay_alu instid0(VALU_DEP_1) | instskip(NEXT) | instid1(VALU_DEP_1)
	v_cmp_le_u16_e64 s5, v19, v18
	s_and_b32 s3, s3, s5
	s_delay_alu instid0(SALU_CYCLE_1) | instskip(NEXT) | instid1(SALU_CYCLE_1)
	s_or_b32 s3, s4, s3
	v_cndmask_b32_e64 v18, v26, v27, s3
	v_cndmask_b32_e64 v19, v23, v22, s3
	;; [unrolled: 1-line block ×3, first 2 shown]
	s_delay_alu instid0(VALU_DEP_3) | instskip(NEXT) | instid1(VALU_DEP_3)
	v_add_nc_u32_e32 v21, 1, v18
	v_add_nc_u32_e32 v19, -1, v19
	s_delay_alu instid0(VALU_DEP_2) | instskip(NEXT) | instid1(VALU_DEP_2)
	v_cndmask_b32_e64 v28, v27, v21, s3
	v_min_u32_e32 v19, v21, v19
	v_cndmask_b32_e64 v29, v21, v26, s3
	s_delay_alu instid0(VALU_DEP_2) | instskip(NEXT) | instid1(VALU_DEP_1)
	v_add_co_u32 v19, s4, v9, v19
	v_add_co_ci_u32_e64 v20, s4, 0, v10, s4
	v_cmp_lt_u32_e64 s4, v28, v22
	s_delay_alu instid0(VALU_DEP_4) | instskip(SKIP_4) | instid1(VALU_DEP_2)
	v_cmp_ge_u32_e64 s6, v29, v23
	flat_load_u8 v19, v[19:20]
	s_waitcnt vmcnt(0) lgkmcnt(0)
	v_cndmask_b32_e64 v31, v19, v25, s3
	v_cndmask_b32_e64 v32, v24, v19, s3
	v_and_b32_e32 v19, 0xff, v31
	s_delay_alu instid0(VALU_DEP_2) | instskip(NEXT) | instid1(VALU_DEP_1)
	v_and_b32_e32 v20, 0xff, v32
	v_cmp_le_u16_e64 s5, v20, v19
	v_mov_b32_e32 v19, 0
	s_delay_alu instid0(VALU_DEP_2) | instskip(NEXT) | instid1(VALU_DEP_1)
	s_and_b32 s4, s5, s4
	v_lshlrev_b64 v[20:21], 3, v[18:19]
	s_or_b32 s4, s6, s4
	s_delay_alu instid0(SALU_CYCLE_1) | instskip(SKIP_2) | instid1(VALU_DEP_4)
	v_cndmask_b32_e64 v18, v29, v28, s4
	v_cndmask_b32_e64 v26, v23, v22, s4
	;; [unrolled: 1-line block ×3, first 2 shown]
	v_add_co_u32 v20, s9, v4, v20
	s_delay_alu instid0(VALU_DEP_4) | instskip(NEXT) | instid1(VALU_DEP_4)
	v_add_nc_u32_e32 v33, 1, v18
	v_add_nc_u32_e32 v26, -1, v26
	v_add_co_ci_u32_e64 v21, s9, v5, v21, s9
	s_delay_alu instid0(VALU_DEP_3) | instskip(NEXT) | instid1(VALU_DEP_3)
	v_cndmask_b32_e64 v36, v28, v33, s4
	v_min_u32_e32 v26, v33, v26
	v_cndmask_b32_e64 v33, v33, v29, s4
	s_delay_alu instid0(VALU_DEP_2) | instskip(NEXT) | instid1(VALU_DEP_1)
	v_add_co_u32 v26, s5, v9, v26
	v_add_co_ci_u32_e64 v27, s5, 0, v10, s5
	v_cmp_lt_u32_e64 s5, v36, v22
	s_delay_alu instid0(VALU_DEP_4) | instskip(SKIP_4) | instid1(VALU_DEP_2)
	v_cmp_ge_u32_e64 s7, v33, v23
	flat_load_u8 v26, v[26:27]
	s_waitcnt vmcnt(0) lgkmcnt(0)
	v_cndmask_b32_e64 v34, v26, v31, s4
	v_cndmask_b32_e64 v35, v32, v26, s4
	v_and_b32_e32 v26, 0xff, v34
	s_delay_alu instid0(VALU_DEP_2) | instskip(NEXT) | instid1(VALU_DEP_1)
	v_and_b32_e32 v27, 0xff, v35
	v_cmp_le_u16_e64 s6, v27, v26
	v_lshlrev_b64 v[26:27], 3, v[18:19]
	s_delay_alu instid0(VALU_DEP_2) | instskip(NEXT) | instid1(SALU_CYCLE_1)
	s_and_b32 s5, s6, s5
	s_or_b32 s5, s7, s5
	s_delay_alu instid0(SALU_CYCLE_1) | instskip(SKIP_2) | instid1(VALU_DEP_3)
	v_cndmask_b32_e64 v18, v33, v36, s5
	v_cndmask_b32_e64 v28, v23, v22, s5
	;; [unrolled: 1-line block ×3, first 2 shown]
	v_add_nc_u32_e32 v37, 1, v18
	s_delay_alu instid0(VALU_DEP_3) | instskip(NEXT) | instid1(VALU_DEP_1)
	v_add_nc_u32_e32 v28, -1, v28
	v_min_u32_e32 v28, v37, v28
	s_delay_alu instid0(VALU_DEP_1) | instskip(NEXT) | instid1(VALU_DEP_1)
	v_add_co_u32 v28, s6, v9, v28
	v_add_co_ci_u32_e64 v29, s6, 0, v10, s6
	flat_load_u8 v28, v[28:29]
	v_cndmask_b32_e64 v29, v36, v37, s5
	s_delay_alu instid0(VALU_DEP_1) | instskip(SKIP_4) | instid1(VALU_DEP_3)
	v_cmp_lt_u32_e64 s7, v29, v22
	s_waitcnt vmcnt(0) lgkmcnt(0)
	v_cndmask_b32_e64 v38, v28, v34, s5
	v_cndmask_b32_e64 v39, v35, v28, s5
	;; [unrolled: 1-line block ×3, first 2 shown]
	v_and_b32_e32 v33, 0xff, v38
	s_delay_alu instid0(VALU_DEP_3) | instskip(NEXT) | instid1(VALU_DEP_3)
	v_and_b32_e32 v36, 0xff, v39
	v_cmp_ge_u32_e64 s6, v28, v23
	v_lshlrev_b64 v[22:23], 3, v[18:19]
	s_delay_alu instid0(VALU_DEP_3) | instskip(NEXT) | instid1(VALU_DEP_1)
	v_cmp_le_u16_e64 s8, v36, v33
	s_and_b32 s7, s8, s7
	s_delay_alu instid0(VALU_DEP_3) | instid1(SALU_CYCLE_1)
	s_or_b32 s6, s6, s7
	v_add_co_u32 v26, s7, v4, v26
	v_cndmask_b32_e64 v18, v28, v29, s6
	v_add_co_ci_u32_e64 v27, s7, v5, v27, s7
	v_add_co_u32 v22, s7, v4, v22
	s_delay_alu instid0(VALU_DEP_3) | instskip(SKIP_2) | instid1(VALU_DEP_3)
	v_lshlrev_b64 v[18:19], 3, v[18:19]
	v_add_co_ci_u32_e64 v23, s7, v5, v23, s7
	v_cndmask_b32_e64 v54, v38, v39, s6
	v_add_co_u32 v28, s7, v4, v18
	s_delay_alu instid0(VALU_DEP_1)
	v_add_co_ci_u32_e64 v29, s7, v5, v19, s7
	s_clause 0x3
	flat_load_b64 v[48:49], v[20:21] offset:1024
	flat_load_b64 v[50:51], v[26:27] offset:1024
	;; [unrolled: 1-line block ×4, first 2 shown]
.LBB1662_81:
	s_or_b32 exec_lo, exec_lo, s11
	v_and_b32_e32 v24, 0x60, v53
	v_lshlrev_b16 v25, 8, v55
	v_and_b32_e32 v26, 0xff, v65
	v_lshlrev_b16 v27, 8, v54
	v_and_b32_e32 v28, 0xff, v64
	v_or_b32_e32 v22, 16, v24
	s_mov_b32 s4, exec_lo
	v_or_b32_e32 v25, v26, v25
	s_delay_alu instid0(VALU_DEP_3) | instskip(NEXT) | instid1(VALU_DEP_3)
	v_or_b32_e32 v26, v28, v27
	v_min_u32_e32 v22, v17, v22
	; wave barrier
	s_delay_alu instid0(VALU_DEP_3) | instskip(NEXT) | instid1(VALU_DEP_3)
	v_and_b32_e32 v29, 0xffff, v25
	v_lshlrev_b32_e32 v31, 16, v26
	s_delay_alu instid0(VALU_DEP_3) | instskip(SKIP_1) | instid1(VALU_DEP_2)
	v_add_nc_u32_e32 v23, 16, v22
	v_sub_nc_u32_e32 v27, v22, v24
	v_min_u32_e32 v23, v17, v23
	v_min_u32_e32 v17, v17, v30
	s_delay_alu instid0(VALU_DEP_2) | instskip(NEXT) | instid1(VALU_DEP_2)
	v_sub_nc_u32_e32 v28, v23, v22
	v_min_u32_e32 v26, v17, v27
	v_or_b32_e32 v27, v29, v31
	s_waitcnt vmcnt(2) lgkmcnt(2)
	s_clause 0x1
	flat_store_b128 v[13:14], v[48:51] offset:1024
	flat_store_b32 v[11:12], v27
	s_waitcnt vmcnt(0) lgkmcnt(2)
	flat_store_b128 v[15:16], v[18:21] offset:16
	v_sub_nc_u32_e64 v25, v17, v28 clamp
	; wave barrier
	s_delay_alu instid0(VALU_DEP_1)
	v_cmpx_lt_u32_e64 v25, v26
	s_cbranch_execz .LBB1662_85
; %bb.82:
	v_add_co_u32 v11, s3, v9, v24
	s_delay_alu instid0(VALU_DEP_1) | instskip(SKIP_1) | instid1(VALU_DEP_1)
	v_add_co_ci_u32_e64 v12, s3, 0, v10, s3
	v_add_co_u32 v13, s3, v9, v22
	v_add_co_ci_u32_e64 v14, s3, 0, v10, s3
	s_mov_b32 s5, 0
	.p2align	6
.LBB1662_83:                            ; =>This Inner Loop Header: Depth=1
	v_add_nc_u32_e32 v15, v26, v25
	s_delay_alu instid0(VALU_DEP_1) | instskip(NEXT) | instid1(VALU_DEP_1)
	v_lshrrev_b32_e32 v29, 1, v15
	v_xad_u32 v27, v29, -1, v17
	v_add_co_u32 v15, s3, v11, v29
	s_delay_alu instid0(VALU_DEP_1) | instskip(NEXT) | instid1(VALU_DEP_3)
	v_add_co_ci_u32_e64 v16, s3, 0, v12, s3
	v_add_co_u32 v27, s3, v13, v27
	s_delay_alu instid0(VALU_DEP_1)
	v_add_co_ci_u32_e64 v28, s3, 0, v14, s3
	s_clause 0x1
	flat_load_u8 v15, v[15:16]
	flat_load_u8 v16, v[27:28]
	v_add_nc_u32_e32 v27, 1, v29
	s_waitcnt vmcnt(0) lgkmcnt(0)
	v_cmp_gt_u16_e64 s3, v15, v16
	s_delay_alu instid0(VALU_DEP_1) | instskip(NEXT) | instid1(VALU_DEP_3)
	v_cndmask_b32_e64 v26, v26, v29, s3
	v_cndmask_b32_e64 v25, v27, v25, s3
	s_delay_alu instid0(VALU_DEP_1) | instskip(NEXT) | instid1(VALU_DEP_1)
	v_cmp_ge_u32_e64 s3, v25, v26
	s_or_b32 s5, s3, s5
	s_delay_alu instid0(SALU_CYCLE_1)
	s_and_not1_b32 exec_lo, exec_lo, s5
	s_cbranch_execnz .LBB1662_83
; %bb.84:
	s_or_b32 exec_lo, exec_lo, s5
.LBB1662_85:
	s_delay_alu instid0(SALU_CYCLE_1) | instskip(SKIP_2) | instid1(VALU_DEP_2)
	s_or_b32 exec_lo, exec_lo, s4
	v_add_nc_u32_e32 v11, v22, v17
	v_add_nc_u32_e32 v14, v25, v24
	v_sub_nc_u32_e32 v13, v11, v25
	s_delay_alu instid0(VALU_DEP_2) | instskip(NEXT) | instid1(VALU_DEP_2)
	v_cmp_le_u32_e64 s3, v14, v22
	v_cmp_le_u32_e64 s4, v13, v23
	s_delay_alu instid0(VALU_DEP_1) | instskip(NEXT) | instid1(SALU_CYCLE_1)
	s_or_b32 s3, s3, s4
	s_and_saveexec_b32 s11, s3
	s_cbranch_execz .LBB1662_91
; %bb.86:
	v_cmp_lt_u32_e64 s3, v14, v22
                                        ; implicit-def: $vgpr11
	s_delay_alu instid0(VALU_DEP_1)
	s_and_saveexec_b32 s5, s3
	s_cbranch_execz .LBB1662_88
; %bb.87:
	v_add_co_u32 v11, s4, v9, v14
	s_delay_alu instid0(VALU_DEP_1)
	v_add_co_ci_u32_e64 v12, s4, 0, v10, s4
	flat_load_u8 v11, v[11:12]
.LBB1662_88:
	s_or_b32 exec_lo, exec_lo, s5
	v_cmp_ge_u32_e64 s4, v13, v23
	s_mov_b32 s6, exec_lo
                                        ; implicit-def: $vgpr12
	v_cmpx_lt_u32_e64 v13, v23
	s_cbranch_execz .LBB1662_90
; %bb.89:
	v_add_co_u32 v15, s5, v9, v13
	s_delay_alu instid0(VALU_DEP_1)
	v_add_co_ci_u32_e64 v16, s5, 0, v10, s5
	flat_load_u8 v12, v[15:16]
.LBB1662_90:
	s_or_b32 exec_lo, exec_lo, s6
	s_waitcnt vmcnt(0) lgkmcnt(0)
	v_and_b32_e32 v15, 0xff, v12
	v_and_b32_e32 v16, 0xff, v11
	s_delay_alu instid0(VALU_DEP_1) | instskip(NEXT) | instid1(VALU_DEP_1)
	v_cmp_le_u16_e64 s5, v16, v15
	s_and_b32 s3, s3, s5
	s_delay_alu instid0(SALU_CYCLE_1) | instskip(NEXT) | instid1(SALU_CYCLE_1)
	s_or_b32 s3, s4, s3
	v_cndmask_b32_e64 v15, v13, v14, s3
	v_cndmask_b32_e64 v16, v23, v22, s3
	;; [unrolled: 1-line block ×3, first 2 shown]
	s_delay_alu instid0(VALU_DEP_3) | instskip(NEXT) | instid1(VALU_DEP_3)
	v_add_nc_u32_e32 v18, 1, v15
	v_add_nc_u32_e32 v16, -1, v16
	s_delay_alu instid0(VALU_DEP_2) | instskip(NEXT) | instid1(VALU_DEP_2)
	v_cndmask_b32_e64 v19, v14, v18, s3
	v_min_u32_e32 v16, v18, v16
	v_cndmask_b32_e64 v20, v18, v13, s3
	s_delay_alu instid0(VALU_DEP_2) | instskip(NEXT) | instid1(VALU_DEP_1)
	v_add_co_u32 v16, s4, v9, v16
	v_add_co_ci_u32_e64 v17, s4, 0, v10, s4
	v_cmp_lt_u32_e64 s4, v19, v22
	s_delay_alu instid0(VALU_DEP_4) | instskip(SKIP_4) | instid1(VALU_DEP_2)
	v_cmp_ge_u32_e64 s6, v20, v23
	flat_load_u8 v16, v[16:17]
	s_waitcnt vmcnt(0) lgkmcnt(0)
	v_cndmask_b32_e64 v24, v16, v12, s3
	v_cndmask_b32_e64 v25, v11, v16, s3
	v_and_b32_e32 v14, 0xff, v24
	s_delay_alu instid0(VALU_DEP_2) | instskip(NEXT) | instid1(VALU_DEP_1)
	v_and_b32_e32 v16, 0xff, v25
	v_cmp_le_u16_e64 s5, v16, v14
	v_mov_b32_e32 v16, 0
	s_delay_alu instid0(VALU_DEP_2) | instskip(NEXT) | instid1(VALU_DEP_1)
	s_and_b32 s4, s5, s4
	v_lshlrev_b64 v[13:14], 3, v[15:16]
	s_or_b32 s4, s6, s4
	s_delay_alu instid0(SALU_CYCLE_1) | instskip(SKIP_2) | instid1(VALU_DEP_3)
	v_cndmask_b32_e64 v15, v20, v19, s4
	v_cndmask_b32_e64 v17, v23, v22, s4
	;; [unrolled: 1-line block ×3, first 2 shown]
	v_add_nc_u32_e32 v21, 1, v15
	s_delay_alu instid0(VALU_DEP_3) | instskip(NEXT) | instid1(VALU_DEP_2)
	v_add_nc_u32_e32 v17, -1, v17
	v_cndmask_b32_e64 v19, v19, v21, s4
	s_delay_alu instid0(VALU_DEP_2) | instskip(SKIP_1) | instid1(VALU_DEP_2)
	v_min_u32_e32 v17, v21, v17
	v_cndmask_b32_e64 v20, v21, v20, s4
	v_add_co_u32 v17, s5, v9, v17
	s_delay_alu instid0(VALU_DEP_1) | instskip(SKIP_1) | instid1(VALU_DEP_4)
	v_add_co_ci_u32_e64 v18, s5, 0, v10, s5
	v_cmp_lt_u32_e64 s5, v19, v22
	v_cmp_ge_u32_e64 s7, v20, v23
	flat_load_u8 v17, v[17:18]
	s_waitcnt vmcnt(0) lgkmcnt(0)
	v_cndmask_b32_e64 v26, v17, v24, s4
	v_cndmask_b32_e64 v27, v25, v17, s4
	s_delay_alu instid0(VALU_DEP_2) | instskip(NEXT) | instid1(VALU_DEP_2)
	v_and_b32_e32 v17, 0xff, v26
	v_and_b32_e32 v18, 0xff, v27
	s_delay_alu instid0(VALU_DEP_1) | instskip(SKIP_1) | instid1(VALU_DEP_2)
	v_cmp_le_u16_e64 s6, v18, v17
	v_lshlrev_b64 v[17:18], 3, v[15:16]
	s_and_b32 s5, s6, s5
	s_delay_alu instid0(SALU_CYCLE_1) | instskip(NEXT) | instid1(SALU_CYCLE_1)
	s_or_b32 s5, s7, s5
	v_cndmask_b32_e64 v15, v20, v19, s5
	v_cndmask_b32_e64 v21, v23, v22, s5
	;; [unrolled: 1-line block ×3, first 2 shown]
	s_delay_alu instid0(VALU_DEP_3) | instskip(NEXT) | instid1(VALU_DEP_3)
	v_add_nc_u32_e32 v28, 1, v15
	v_add_nc_u32_e32 v21, -1, v21
	s_delay_alu instid0(VALU_DEP_2) | instskip(NEXT) | instid1(VALU_DEP_2)
	v_cndmask_b32_e64 v19, v19, v28, s5
	v_min_u32_e32 v21, v28, v21
	v_cndmask_b32_e64 v20, v28, v20, s5
	s_delay_alu instid0(VALU_DEP_3) | instskip(NEXT) | instid1(VALU_DEP_3)
	v_cmp_lt_u32_e64 s7, v19, v22
	v_add_co_u32 v9, s6, v9, v21
	s_delay_alu instid0(VALU_DEP_1) | instskip(NEXT) | instid1(VALU_DEP_4)
	v_add_co_ci_u32_e64 v10, s6, 0, v10, s6
	v_cmp_ge_u32_e64 s6, v20, v23
	flat_load_u8 v9, v[9:10]
	s_waitcnt vmcnt(0) lgkmcnt(0)
	v_cndmask_b32_e64 v29, v9, v26, s5
	v_cndmask_b32_e64 v31, v27, v9, s5
	s_delay_alu instid0(VALU_DEP_2) | instskip(NEXT) | instid1(VALU_DEP_2)
	v_and_b32_e32 v9, 0xff, v29
	v_and_b32_e32 v10, 0xff, v31
	s_delay_alu instid0(VALU_DEP_1) | instskip(SKIP_1) | instid1(VALU_DEP_1)
	v_cmp_le_u16_e64 s8, v10, v9
	v_add_co_u32 v9, s9, v4, v13
	v_add_co_ci_u32_e64 v10, s9, v5, v14, s9
	s_delay_alu instid0(VALU_DEP_3)
	s_and_b32 s7, s8, s7
	v_lshlrev_b64 v[13:14], 3, v[15:16]
	s_or_b32 s6, s6, s7
	v_add_co_u32 v17, s7, v4, v17
	v_cndmask_b32_e64 v15, v20, v19, s6
	v_add_co_ci_u32_e64 v18, s7, v5, v18, s7
	s_delay_alu instid0(VALU_DEP_4) | instskip(NEXT) | instid1(VALU_DEP_3)
	v_add_co_u32 v13, s7, v4, v13
	v_lshlrev_b64 v[15:16], 3, v[15:16]
	v_add_co_ci_u32_e64 v14, s7, v5, v14, s7
	v_cndmask_b32_e64 v54, v29, v31, s6
	s_delay_alu instid0(VALU_DEP_3) | instskip(NEXT) | instid1(VALU_DEP_1)
	v_add_co_u32 v4, s7, v4, v15
	v_add_co_ci_u32_e64 v5, s7, v5, v16, s7
	s_clause 0x3
	flat_load_b64 v[48:49], v[9:10] offset:1024
	flat_load_b64 v[50:51], v[17:18] offset:1024
	;; [unrolled: 1-line block ×4, first 2 shown]
.LBB1662_91:
	s_or_b32 exec_lo, exec_lo, s11
	; wave barrier
	s_waitcnt vmcnt(0) lgkmcnt(0)
	s_waitcnt_vscnt null, 0x0
	s_barrier
.LBB1662_92:
	s_or_b32 exec_lo, exec_lo, s10
	v_add_co_u32 v2, s3, v2, v8
	s_delay_alu instid0(VALU_DEP_1) | instskip(SKIP_4) | instid1(VALU_DEP_1)
	v_add_co_ci_u32_e64 v3, s3, 0, v3, s3
	s_waitcnt vmcnt(0) lgkmcnt(0)
	s_waitcnt_vscnt null, 0x0
	buffer_gl0_inv
	v_add_co_u32 v2, s3, v2, v30
	v_add_co_ci_u32_e64 v3, s3, 0, v3, s3
	; wave barrier
	s_and_saveexec_b32 s3, vcc_lo
	s_cbranch_execz .LBB1662_98
; %bb.93:
	flat_store_b8 v[2:3], v65
	s_or_b32 exec_lo, exec_lo, s3
	s_and_saveexec_b32 s3, s0
	s_cbranch_execnz .LBB1662_99
.LBB1662_94:
	s_or_b32 exec_lo, exec_lo, s3
	s_and_saveexec_b32 s3, s1
	s_cbranch_execz .LBB1662_100
.LBB1662_95:
	flat_store_b8 v[2:3], v64 offset:2
	s_or_b32 exec_lo, exec_lo, s3
	s_and_saveexec_b32 s3, s2
	s_cbranch_execnz .LBB1662_101
	s_branch .LBB1662_102
.LBB1662_96:
	s_or_b32 exec_lo, exec_lo, s3
                                        ; implicit-def: $vgpr18_vgpr19
	s_and_saveexec_b32 s3, s1
	s_cbranch_execz .LBB1662_12
.LBB1662_97:
	flat_load_b64 v[26:27], v[4:5] offset:16
	s_waitcnt vmcnt(0) lgkmcnt(0)
	v_dual_mov_b32 v18, v26 :: v_dual_mov_b32 v19, v27
	s_or_b32 exec_lo, exec_lo, s3
	s_and_saveexec_b32 s3, s2
	s_cbranch_execnz .LBB1662_13
	s_branch .LBB1662_14
.LBB1662_98:
	s_or_b32 exec_lo, exec_lo, s3
	s_and_saveexec_b32 s3, s0
	s_cbranch_execz .LBB1662_94
.LBB1662_99:
	flat_store_b8 v[2:3], v55 offset:1
	s_or_b32 exec_lo, exec_lo, s3
	s_and_saveexec_b32 s3, s1
	s_cbranch_execnz .LBB1662_95
.LBB1662_100:
	s_or_b32 exec_lo, exec_lo, s3
	s_and_saveexec_b32 s3, s2
	s_cbranch_execz .LBB1662_102
.LBB1662_101:
	flat_store_b8 v[2:3], v54 offset:3
.LBB1662_102:
	s_or_b32 exec_lo, exec_lo, s3
	v_add_co_u32 v0, s3, v6, v0
	s_delay_alu instid0(VALU_DEP_1) | instskip(NEXT) | instid1(VALU_DEP_2)
	v_add_co_ci_u32_e64 v1, s3, v7, v1, s3
	v_add_co_u32 v0, s3, v0, v52
	s_delay_alu instid0(VALU_DEP_1)
	v_add_co_ci_u32_e64 v1, s3, 0, v1, s3
	; wave barrier
	s_and_saveexec_b32 s3, vcc_lo
	s_cbranch_execz .LBB1662_107
; %bb.103:
	flat_store_b64 v[0:1], v[48:49]
	s_or_b32 exec_lo, exec_lo, s3
	s_and_saveexec_b32 s3, s0
	s_cbranch_execnz .LBB1662_108
.LBB1662_104:
	s_or_b32 exec_lo, exec_lo, s3
	s_and_saveexec_b32 s0, s1
	s_cbranch_execz .LBB1662_109
.LBB1662_105:
	flat_store_b64 v[0:1], v[18:19] offset:16
	s_or_b32 exec_lo, exec_lo, s0
	s_and_saveexec_b32 s0, s2
	s_cbranch_execnz .LBB1662_110
.LBB1662_106:
	s_or_b32 exec_lo, exec_lo, s0
	s_waitcnt lgkmcnt(0)
	s_setpc_b64 s[30:31]
.LBB1662_107:
	s_or_b32 exec_lo, exec_lo, s3
	s_and_saveexec_b32 s3, s0
	s_cbranch_execz .LBB1662_104
.LBB1662_108:
	flat_store_b64 v[0:1], v[50:51] offset:8
	s_or_b32 exec_lo, exec_lo, s3
	s_and_saveexec_b32 s0, s1
	s_cbranch_execnz .LBB1662_105
.LBB1662_109:
	s_or_b32 exec_lo, exec_lo, s0
	s_and_saveexec_b32 s0, s2
	s_cbranch_execz .LBB1662_106
.LBB1662_110:
	flat_store_b64 v[0:1], v[20:21] offset:24
	s_or_b32 exec_lo, exec_lo, s0
	s_waitcnt lgkmcnt(0)
	s_setpc_b64 s[30:31]
.Lfunc_end1662:
	.size	_ZN7rocprim17ROCPRIM_400000_NS6detail26segmented_warp_sort_helperINS1_20WarpSortHelperConfigILj8ELj4ELj256EEEblLi256ELb0EvE4sortIPKbPbPKlPlEEvT_T0_T1_T2_jjjjRNS5_12storage_typeE, .Lfunc_end1662-_ZN7rocprim17ROCPRIM_400000_NS6detail26segmented_warp_sort_helperINS1_20WarpSortHelperConfigILj8ELj4ELj256EEEblLi256ELb0EvE4sortIPKbPbPKlPlEEvT_T0_T1_T2_jjjjRNS5_12storage_typeE
                                        ; -- End function
	.section	.AMDGPU.csdata,"",@progbits
; Function info:
; codeLenInByte = 9668
; NumSgprs: 34
; NumVgprs: 66
; ScratchSize: 0
; MemoryBound: 1
	.section	.text._ZN7rocprim17ROCPRIM_400000_NS6detail17trampoline_kernelINS0_14default_configENS1_36segmented_radix_sort_config_selectorIblEEZNS1_25segmented_radix_sort_implIS3_Lb0EPKbPbPKlPlN2at6native12_GLOBAL__N_18offset_tEEE10hipError_tPvRmT1_PNSt15iterator_traitsISK_E10value_typeET2_T3_PNSL_ISQ_E10value_typeET4_jRbjT5_SW_jjP12ihipStream_tbEUlT_E1_NS1_11comp_targetILNS1_3genE9ELNS1_11target_archE1100ELNS1_3gpuE3ELNS1_3repE0EEENS1_59segmented_radix_sort_warp_sort_small_config_static_selectorELNS0_4arch9wavefront6targetE0EEEvSK_,"axG",@progbits,_ZN7rocprim17ROCPRIM_400000_NS6detail17trampoline_kernelINS0_14default_configENS1_36segmented_radix_sort_config_selectorIblEEZNS1_25segmented_radix_sort_implIS3_Lb0EPKbPbPKlPlN2at6native12_GLOBAL__N_18offset_tEEE10hipError_tPvRmT1_PNSt15iterator_traitsISK_E10value_typeET2_T3_PNSL_ISQ_E10value_typeET4_jRbjT5_SW_jjP12ihipStream_tbEUlT_E1_NS1_11comp_targetILNS1_3genE9ELNS1_11target_archE1100ELNS1_3gpuE3ELNS1_3repE0EEENS1_59segmented_radix_sort_warp_sort_small_config_static_selectorELNS0_4arch9wavefront6targetE0EEEvSK_,comdat
	.globl	_ZN7rocprim17ROCPRIM_400000_NS6detail17trampoline_kernelINS0_14default_configENS1_36segmented_radix_sort_config_selectorIblEEZNS1_25segmented_radix_sort_implIS3_Lb0EPKbPbPKlPlN2at6native12_GLOBAL__N_18offset_tEEE10hipError_tPvRmT1_PNSt15iterator_traitsISK_E10value_typeET2_T3_PNSL_ISQ_E10value_typeET4_jRbjT5_SW_jjP12ihipStream_tbEUlT_E1_NS1_11comp_targetILNS1_3genE9ELNS1_11target_archE1100ELNS1_3gpuE3ELNS1_3repE0EEENS1_59segmented_radix_sort_warp_sort_small_config_static_selectorELNS0_4arch9wavefront6targetE0EEEvSK_ ; -- Begin function _ZN7rocprim17ROCPRIM_400000_NS6detail17trampoline_kernelINS0_14default_configENS1_36segmented_radix_sort_config_selectorIblEEZNS1_25segmented_radix_sort_implIS3_Lb0EPKbPbPKlPlN2at6native12_GLOBAL__N_18offset_tEEE10hipError_tPvRmT1_PNSt15iterator_traitsISK_E10value_typeET2_T3_PNSL_ISQ_E10value_typeET4_jRbjT5_SW_jjP12ihipStream_tbEUlT_E1_NS1_11comp_targetILNS1_3genE9ELNS1_11target_archE1100ELNS1_3gpuE3ELNS1_3repE0EEENS1_59segmented_radix_sort_warp_sort_small_config_static_selectorELNS0_4arch9wavefront6targetE0EEEvSK_
	.p2align	8
	.type	_ZN7rocprim17ROCPRIM_400000_NS6detail17trampoline_kernelINS0_14default_configENS1_36segmented_radix_sort_config_selectorIblEEZNS1_25segmented_radix_sort_implIS3_Lb0EPKbPbPKlPlN2at6native12_GLOBAL__N_18offset_tEEE10hipError_tPvRmT1_PNSt15iterator_traitsISK_E10value_typeET2_T3_PNSL_ISQ_E10value_typeET4_jRbjT5_SW_jjP12ihipStream_tbEUlT_E1_NS1_11comp_targetILNS1_3genE9ELNS1_11target_archE1100ELNS1_3gpuE3ELNS1_3repE0EEENS1_59segmented_radix_sort_warp_sort_small_config_static_selectorELNS0_4arch9wavefront6targetE0EEEvSK_,@function
_ZN7rocprim17ROCPRIM_400000_NS6detail17trampoline_kernelINS0_14default_configENS1_36segmented_radix_sort_config_selectorIblEEZNS1_25segmented_radix_sort_implIS3_Lb0EPKbPbPKlPlN2at6native12_GLOBAL__N_18offset_tEEE10hipError_tPvRmT1_PNSt15iterator_traitsISK_E10value_typeET2_T3_PNSL_ISQ_E10value_typeET4_jRbjT5_SW_jjP12ihipStream_tbEUlT_E1_NS1_11comp_targetILNS1_3genE9ELNS1_11target_archE1100ELNS1_3gpuE3ELNS1_3repE0EEENS1_59segmented_radix_sort_warp_sort_small_config_static_selectorELNS0_4arch9wavefront6targetE0EEEvSK_: ; @_ZN7rocprim17ROCPRIM_400000_NS6detail17trampoline_kernelINS0_14default_configENS1_36segmented_radix_sort_config_selectorIblEEZNS1_25segmented_radix_sort_implIS3_Lb0EPKbPbPKlPlN2at6native12_GLOBAL__N_18offset_tEEE10hipError_tPvRmT1_PNSt15iterator_traitsISK_E10value_typeET2_T3_PNSL_ISQ_E10value_typeET4_jRbjT5_SW_jjP12ihipStream_tbEUlT_E1_NS1_11comp_targetILNS1_3genE9ELNS1_11target_archE1100ELNS1_3gpuE3ELNS1_3repE0EEENS1_59segmented_radix_sort_warp_sort_small_config_static_selectorELNS0_4arch9wavefront6targetE0EEEvSK_
; %bb.0:
	s_load_b32 s2, s[0:1], 0x64
	v_bfe_u32 v1, v0, 10, 10
	v_bfe_u32 v2, v0, 20, 10
	s_mov_b32 s12, s14
	s_mov_b32 s32, 0
	s_waitcnt lgkmcnt(0)
	s_lshr_b32 s3, s2, 16
	s_and_b32 s2, s2, 0xffff
	v_mad_u32_u24 v4, v2, s3, v1
	v_and_b32_e32 v1, 0x3ff, v0
	s_load_b32 s3, s[0:1], 0x34
	s_delay_alu instid0(VALU_DEP_1) | instskip(SKIP_1) | instid1(VALU_DEP_1)
	v_mad_u64_u32 v[2:3], null, v4, s2, v[1:2]
	s_mov_b32 s2, exec_lo
	v_lshrrev_b32_e32 v1, 3, v2
	s_delay_alu instid0(VALU_DEP_1) | instskip(SKIP_1) | instid1(VALU_DEP_1)
	v_lshl_add_u32 v1, s12, 5, v1
	s_waitcnt lgkmcnt(0)
	v_cmpx_gt_u32_e64 s3, v1
	s_cbranch_execz .LBB1663_6
; %bb.1:
	s_clause 0x1
	s_load_b64 s[2:3], s[0:1], 0x38
	s_load_b128 s[4:7], s[0:1], 0x40
	v_mov_b32_e32 v2, 0
	s_delay_alu instid0(VALU_DEP_1) | instskip(SKIP_1) | instid1(VALU_DEP_1)
	v_lshlrev_b64 v[1:2], 2, v[1:2]
	s_waitcnt lgkmcnt(0)
	v_sub_co_u32 v1, vcc_lo, s2, v1
	s_delay_alu instid0(VALU_DEP_2) | instskip(SKIP_4) | instid1(VALU_DEP_2)
	v_sub_co_ci_u32_e32 v2, vcc_lo, s3, v2, vcc_lo
	global_load_b32 v1, v[1:2], off offset:-4
	s_waitcnt vmcnt(0)
	v_add_nc_u32_e32 v2, s5, v1
	v_add_nc_u32_e32 v1, s7, v1
	v_mul_lo_u32 v8, v2, s4
	s_delay_alu instid0(VALU_DEP_2) | instskip(NEXT) | instid1(VALU_DEP_1)
	v_mul_lo_u32 v40, v1, s6
	v_cmp_gt_u32_e32 vcc_lo, v40, v8
	s_and_b32 exec_lo, exec_lo, vcc_lo
	s_cbranch_execz .LBB1663_6
; %bb.2:
	s_clause 0x3
	s_load_b32 s2, s[0:1], 0x30
	s_load_b128 s[24:27], s[0:1], 0x20
	s_load_b256 s[16:23], s[0:1], 0x0
	s_load_b64 s[28:29], s[0:1], 0x50
	s_mov_b32 s13, s15
	s_waitcnt lgkmcnt(0)
	s_bitcmp0_b32 s2, 0
	s_mov_b32 s2, -1
	s_cbranch_scc0 .LBB1663_4
; %bb.3:
	s_mov_b64 s[2:3], src_shared_base
	v_mov_b32_e32 v31, v0
	v_dual_mov_b32 v41, v0 :: v_dual_mov_b32 v2, s18
	v_dual_mov_b32 v0, s16 :: v_dual_mov_b32 v1, s17
	;; [unrolled: 1-line block ×6, first 2 shown]
	v_mov_b32_e32 v11, s29
	v_mov_b32_e32 v13, s3
	s_add_u32 s8, s0, 0x58
	s_addc_u32 s9, s1, 0
	s_getpc_b64 s[4:5]
	s_add_u32 s4, s4, _ZN7rocprim17ROCPRIM_400000_NS6detail26segmented_warp_sort_helperINS1_20WarpSortHelperConfigILj8ELj4ELj256EEEblLi256ELb0EvE4sortIPKbPbPKlPlEEvT_T0_T1_T2_jjjjRNS5_12storage_typeE@rel32@lo+4
	s_addc_u32 s5, s5, _ZN7rocprim17ROCPRIM_400000_NS6detail26segmented_warp_sort_helperINS1_20WarpSortHelperConfigILj8ELj4ELj256EEEblLi256ELb0EvE4sortIPKbPbPKlPlEEvT_T0_T1_T2_jjjjRNS5_12storage_typeE@rel32@hi+12
	s_mov_b64 s[18:19], s[0:1]
	s_swappc_b64 s[30:31], s[4:5]
	v_mov_b32_e32 v0, v41
	s_mov_b64 s[0:1], s[18:19]
	s_mov_b32 s2, 0
.LBB1663_4:
	s_delay_alu instid0(SALU_CYCLE_1)
	s_and_not1_b32 vcc_lo, exec_lo, s2
	s_cbranch_vccnz .LBB1663_6
; %bb.5:
	s_add_u32 s8, s0, 0x58
	s_addc_u32 s9, s1, 0
	s_mov_b64 s[0:1], src_shared_base
	v_dual_mov_b32 v31, v0 :: v_dual_mov_b32 v0, s16
	v_dual_mov_b32 v1, s17 :: v_dual_mov_b32 v2, s20
	v_dual_mov_b32 v3, s21 :: v_dual_mov_b32 v4, s22
	v_dual_mov_b32 v5, s23 :: v_dual_mov_b32 v6, s26
	v_dual_mov_b32 v7, s27 :: v_dual_mov_b32 v10, s28
	v_dual_mov_b32 v9, v40 :: v_dual_mov_b32 v12, 0
	v_mov_b32_e32 v11, s29
	v_mov_b32_e32 v13, s1
	s_getpc_b64 s[2:3]
	s_add_u32 s2, s2, _ZN7rocprim17ROCPRIM_400000_NS6detail26segmented_warp_sort_helperINS1_20WarpSortHelperConfigILj8ELj4ELj256EEEblLi256ELb0EvE4sortIPKbPbPKlPlEEvT_T0_T1_T2_jjjjRNS5_12storage_typeE@rel32@lo+4
	s_addc_u32 s3, s3, _ZN7rocprim17ROCPRIM_400000_NS6detail26segmented_warp_sort_helperINS1_20WarpSortHelperConfigILj8ELj4ELj256EEEblLi256ELb0EvE4sortIPKbPbPKlPlEEvT_T0_T1_T2_jjjjRNS5_12storage_typeE@rel32@hi+12
	s_delay_alu instid0(SALU_CYCLE_1)
	s_swappc_b64 s[30:31], s[2:3]
.LBB1663_6:
	s_endpgm
	.section	.rodata,"a",@progbits
	.p2align	6, 0x0
	.amdhsa_kernel _ZN7rocprim17ROCPRIM_400000_NS6detail17trampoline_kernelINS0_14default_configENS1_36segmented_radix_sort_config_selectorIblEEZNS1_25segmented_radix_sort_implIS3_Lb0EPKbPbPKlPlN2at6native12_GLOBAL__N_18offset_tEEE10hipError_tPvRmT1_PNSt15iterator_traitsISK_E10value_typeET2_T3_PNSL_ISQ_E10value_typeET4_jRbjT5_SW_jjP12ihipStream_tbEUlT_E1_NS1_11comp_targetILNS1_3genE9ELNS1_11target_archE1100ELNS1_3gpuE3ELNS1_3repE0EEENS1_59segmented_radix_sort_warp_sort_small_config_static_selectorELNS0_4arch9wavefront6targetE0EEEvSK_
		.amdhsa_group_segment_fixed_size 9216
		.amdhsa_private_segment_fixed_size 0
		.amdhsa_kernarg_size 344
		.amdhsa_user_sgpr_count 14
		.amdhsa_user_sgpr_dispatch_ptr 0
		.amdhsa_user_sgpr_queue_ptr 0
		.amdhsa_user_sgpr_kernarg_segment_ptr 1
		.amdhsa_user_sgpr_dispatch_id 0
		.amdhsa_user_sgpr_private_segment_size 0
		.amdhsa_wavefront_size32 1
		.amdhsa_uses_dynamic_stack 0
		.amdhsa_enable_private_segment 0
		.amdhsa_system_sgpr_workgroup_id_x 1
		.amdhsa_system_sgpr_workgroup_id_y 1
		.amdhsa_system_sgpr_workgroup_id_z 0
		.amdhsa_system_sgpr_workgroup_info 0
		.amdhsa_system_vgpr_workitem_id 2
		.amdhsa_next_free_vgpr 66
		.amdhsa_next_free_sgpr 33
		.amdhsa_reserve_vcc 1
		.amdhsa_float_round_mode_32 0
		.amdhsa_float_round_mode_16_64 0
		.amdhsa_float_denorm_mode_32 3
		.amdhsa_float_denorm_mode_16_64 3
		.amdhsa_dx10_clamp 1
		.amdhsa_ieee_mode 1
		.amdhsa_fp16_overflow 0
		.amdhsa_workgroup_processor_mode 1
		.amdhsa_memory_ordered 1
		.amdhsa_forward_progress 0
		.amdhsa_shared_vgpr_count 0
		.amdhsa_exception_fp_ieee_invalid_op 0
		.amdhsa_exception_fp_denorm_src 0
		.amdhsa_exception_fp_ieee_div_zero 0
		.amdhsa_exception_fp_ieee_overflow 0
		.amdhsa_exception_fp_ieee_underflow 0
		.amdhsa_exception_fp_ieee_inexact 0
		.amdhsa_exception_int_div_zero 0
	.end_amdhsa_kernel
	.section	.text._ZN7rocprim17ROCPRIM_400000_NS6detail17trampoline_kernelINS0_14default_configENS1_36segmented_radix_sort_config_selectorIblEEZNS1_25segmented_radix_sort_implIS3_Lb0EPKbPbPKlPlN2at6native12_GLOBAL__N_18offset_tEEE10hipError_tPvRmT1_PNSt15iterator_traitsISK_E10value_typeET2_T3_PNSL_ISQ_E10value_typeET4_jRbjT5_SW_jjP12ihipStream_tbEUlT_E1_NS1_11comp_targetILNS1_3genE9ELNS1_11target_archE1100ELNS1_3gpuE3ELNS1_3repE0EEENS1_59segmented_radix_sort_warp_sort_small_config_static_selectorELNS0_4arch9wavefront6targetE0EEEvSK_,"axG",@progbits,_ZN7rocprim17ROCPRIM_400000_NS6detail17trampoline_kernelINS0_14default_configENS1_36segmented_radix_sort_config_selectorIblEEZNS1_25segmented_radix_sort_implIS3_Lb0EPKbPbPKlPlN2at6native12_GLOBAL__N_18offset_tEEE10hipError_tPvRmT1_PNSt15iterator_traitsISK_E10value_typeET2_T3_PNSL_ISQ_E10value_typeET4_jRbjT5_SW_jjP12ihipStream_tbEUlT_E1_NS1_11comp_targetILNS1_3genE9ELNS1_11target_archE1100ELNS1_3gpuE3ELNS1_3repE0EEENS1_59segmented_radix_sort_warp_sort_small_config_static_selectorELNS0_4arch9wavefront6targetE0EEEvSK_,comdat
.Lfunc_end1663:
	.size	_ZN7rocprim17ROCPRIM_400000_NS6detail17trampoline_kernelINS0_14default_configENS1_36segmented_radix_sort_config_selectorIblEEZNS1_25segmented_radix_sort_implIS3_Lb0EPKbPbPKlPlN2at6native12_GLOBAL__N_18offset_tEEE10hipError_tPvRmT1_PNSt15iterator_traitsISK_E10value_typeET2_T3_PNSL_ISQ_E10value_typeET4_jRbjT5_SW_jjP12ihipStream_tbEUlT_E1_NS1_11comp_targetILNS1_3genE9ELNS1_11target_archE1100ELNS1_3gpuE3ELNS1_3repE0EEENS1_59segmented_radix_sort_warp_sort_small_config_static_selectorELNS0_4arch9wavefront6targetE0EEEvSK_, .Lfunc_end1663-_ZN7rocprim17ROCPRIM_400000_NS6detail17trampoline_kernelINS0_14default_configENS1_36segmented_radix_sort_config_selectorIblEEZNS1_25segmented_radix_sort_implIS3_Lb0EPKbPbPKlPlN2at6native12_GLOBAL__N_18offset_tEEE10hipError_tPvRmT1_PNSt15iterator_traitsISK_E10value_typeET2_T3_PNSL_ISQ_E10value_typeET4_jRbjT5_SW_jjP12ihipStream_tbEUlT_E1_NS1_11comp_targetILNS1_3genE9ELNS1_11target_archE1100ELNS1_3gpuE3ELNS1_3repE0EEENS1_59segmented_radix_sort_warp_sort_small_config_static_selectorELNS0_4arch9wavefront6targetE0EEEvSK_
                                        ; -- End function
	.section	.AMDGPU.csdata,"",@progbits
; Kernel info:
; codeLenInByte = 516
; NumSgprs: 35
; NumVgprs: 66
; ScratchSize: 0
; MemoryBound: 0
; FloatMode: 240
; IeeeMode: 1
; LDSByteSize: 9216 bytes/workgroup (compile time only)
; SGPRBlocks: 4
; VGPRBlocks: 8
; NumSGPRsForWavesPerEU: 35
; NumVGPRsForWavesPerEU: 66
; Occupancy: 16
; WaveLimiterHint : 0
; COMPUTE_PGM_RSRC2:SCRATCH_EN: 0
; COMPUTE_PGM_RSRC2:USER_SGPR: 14
; COMPUTE_PGM_RSRC2:TRAP_HANDLER: 0
; COMPUTE_PGM_RSRC2:TGID_X_EN: 1
; COMPUTE_PGM_RSRC2:TGID_Y_EN: 1
; COMPUTE_PGM_RSRC2:TGID_Z_EN: 0
; COMPUTE_PGM_RSRC2:TIDIG_COMP_CNT: 2
	.section	.text._ZN7rocprim17ROCPRIM_400000_NS6detail17trampoline_kernelINS0_14default_configENS1_36segmented_radix_sort_config_selectorIblEEZNS1_25segmented_radix_sort_implIS3_Lb0EPKbPbPKlPlN2at6native12_GLOBAL__N_18offset_tEEE10hipError_tPvRmT1_PNSt15iterator_traitsISK_E10value_typeET2_T3_PNSL_ISQ_E10value_typeET4_jRbjT5_SW_jjP12ihipStream_tbEUlT_E1_NS1_11comp_targetILNS1_3genE8ELNS1_11target_archE1030ELNS1_3gpuE2ELNS1_3repE0EEENS1_59segmented_radix_sort_warp_sort_small_config_static_selectorELNS0_4arch9wavefront6targetE0EEEvSK_,"axG",@progbits,_ZN7rocprim17ROCPRIM_400000_NS6detail17trampoline_kernelINS0_14default_configENS1_36segmented_radix_sort_config_selectorIblEEZNS1_25segmented_radix_sort_implIS3_Lb0EPKbPbPKlPlN2at6native12_GLOBAL__N_18offset_tEEE10hipError_tPvRmT1_PNSt15iterator_traitsISK_E10value_typeET2_T3_PNSL_ISQ_E10value_typeET4_jRbjT5_SW_jjP12ihipStream_tbEUlT_E1_NS1_11comp_targetILNS1_3genE8ELNS1_11target_archE1030ELNS1_3gpuE2ELNS1_3repE0EEENS1_59segmented_radix_sort_warp_sort_small_config_static_selectorELNS0_4arch9wavefront6targetE0EEEvSK_,comdat
	.globl	_ZN7rocprim17ROCPRIM_400000_NS6detail17trampoline_kernelINS0_14default_configENS1_36segmented_radix_sort_config_selectorIblEEZNS1_25segmented_radix_sort_implIS3_Lb0EPKbPbPKlPlN2at6native12_GLOBAL__N_18offset_tEEE10hipError_tPvRmT1_PNSt15iterator_traitsISK_E10value_typeET2_T3_PNSL_ISQ_E10value_typeET4_jRbjT5_SW_jjP12ihipStream_tbEUlT_E1_NS1_11comp_targetILNS1_3genE8ELNS1_11target_archE1030ELNS1_3gpuE2ELNS1_3repE0EEENS1_59segmented_radix_sort_warp_sort_small_config_static_selectorELNS0_4arch9wavefront6targetE0EEEvSK_ ; -- Begin function _ZN7rocprim17ROCPRIM_400000_NS6detail17trampoline_kernelINS0_14default_configENS1_36segmented_radix_sort_config_selectorIblEEZNS1_25segmented_radix_sort_implIS3_Lb0EPKbPbPKlPlN2at6native12_GLOBAL__N_18offset_tEEE10hipError_tPvRmT1_PNSt15iterator_traitsISK_E10value_typeET2_T3_PNSL_ISQ_E10value_typeET4_jRbjT5_SW_jjP12ihipStream_tbEUlT_E1_NS1_11comp_targetILNS1_3genE8ELNS1_11target_archE1030ELNS1_3gpuE2ELNS1_3repE0EEENS1_59segmented_radix_sort_warp_sort_small_config_static_selectorELNS0_4arch9wavefront6targetE0EEEvSK_
	.p2align	8
	.type	_ZN7rocprim17ROCPRIM_400000_NS6detail17trampoline_kernelINS0_14default_configENS1_36segmented_radix_sort_config_selectorIblEEZNS1_25segmented_radix_sort_implIS3_Lb0EPKbPbPKlPlN2at6native12_GLOBAL__N_18offset_tEEE10hipError_tPvRmT1_PNSt15iterator_traitsISK_E10value_typeET2_T3_PNSL_ISQ_E10value_typeET4_jRbjT5_SW_jjP12ihipStream_tbEUlT_E1_NS1_11comp_targetILNS1_3genE8ELNS1_11target_archE1030ELNS1_3gpuE2ELNS1_3repE0EEENS1_59segmented_radix_sort_warp_sort_small_config_static_selectorELNS0_4arch9wavefront6targetE0EEEvSK_,@function
_ZN7rocprim17ROCPRIM_400000_NS6detail17trampoline_kernelINS0_14default_configENS1_36segmented_radix_sort_config_selectorIblEEZNS1_25segmented_radix_sort_implIS3_Lb0EPKbPbPKlPlN2at6native12_GLOBAL__N_18offset_tEEE10hipError_tPvRmT1_PNSt15iterator_traitsISK_E10value_typeET2_T3_PNSL_ISQ_E10value_typeET4_jRbjT5_SW_jjP12ihipStream_tbEUlT_E1_NS1_11comp_targetILNS1_3genE8ELNS1_11target_archE1030ELNS1_3gpuE2ELNS1_3repE0EEENS1_59segmented_radix_sort_warp_sort_small_config_static_selectorELNS0_4arch9wavefront6targetE0EEEvSK_: ; @_ZN7rocprim17ROCPRIM_400000_NS6detail17trampoline_kernelINS0_14default_configENS1_36segmented_radix_sort_config_selectorIblEEZNS1_25segmented_radix_sort_implIS3_Lb0EPKbPbPKlPlN2at6native12_GLOBAL__N_18offset_tEEE10hipError_tPvRmT1_PNSt15iterator_traitsISK_E10value_typeET2_T3_PNSL_ISQ_E10value_typeET4_jRbjT5_SW_jjP12ihipStream_tbEUlT_E1_NS1_11comp_targetILNS1_3genE8ELNS1_11target_archE1030ELNS1_3gpuE2ELNS1_3repE0EEENS1_59segmented_radix_sort_warp_sort_small_config_static_selectorELNS0_4arch9wavefront6targetE0EEEvSK_
; %bb.0:
	.section	.rodata,"a",@progbits
	.p2align	6, 0x0
	.amdhsa_kernel _ZN7rocprim17ROCPRIM_400000_NS6detail17trampoline_kernelINS0_14default_configENS1_36segmented_radix_sort_config_selectorIblEEZNS1_25segmented_radix_sort_implIS3_Lb0EPKbPbPKlPlN2at6native12_GLOBAL__N_18offset_tEEE10hipError_tPvRmT1_PNSt15iterator_traitsISK_E10value_typeET2_T3_PNSL_ISQ_E10value_typeET4_jRbjT5_SW_jjP12ihipStream_tbEUlT_E1_NS1_11comp_targetILNS1_3genE8ELNS1_11target_archE1030ELNS1_3gpuE2ELNS1_3repE0EEENS1_59segmented_radix_sort_warp_sort_small_config_static_selectorELNS0_4arch9wavefront6targetE0EEEvSK_
		.amdhsa_group_segment_fixed_size 0
		.amdhsa_private_segment_fixed_size 0
		.amdhsa_kernarg_size 88
		.amdhsa_user_sgpr_count 15
		.amdhsa_user_sgpr_dispatch_ptr 0
		.amdhsa_user_sgpr_queue_ptr 0
		.amdhsa_user_sgpr_kernarg_segment_ptr 1
		.amdhsa_user_sgpr_dispatch_id 0
		.amdhsa_user_sgpr_private_segment_size 0
		.amdhsa_wavefront_size32 1
		.amdhsa_uses_dynamic_stack 0
		.amdhsa_enable_private_segment 0
		.amdhsa_system_sgpr_workgroup_id_x 1
		.amdhsa_system_sgpr_workgroup_id_y 0
		.amdhsa_system_sgpr_workgroup_id_z 0
		.amdhsa_system_sgpr_workgroup_info 0
		.amdhsa_system_vgpr_workitem_id 0
		.amdhsa_next_free_vgpr 1
		.amdhsa_next_free_sgpr 1
		.amdhsa_reserve_vcc 0
		.amdhsa_float_round_mode_32 0
		.amdhsa_float_round_mode_16_64 0
		.amdhsa_float_denorm_mode_32 3
		.amdhsa_float_denorm_mode_16_64 3
		.amdhsa_dx10_clamp 1
		.amdhsa_ieee_mode 1
		.amdhsa_fp16_overflow 0
		.amdhsa_workgroup_processor_mode 1
		.amdhsa_memory_ordered 1
		.amdhsa_forward_progress 0
		.amdhsa_shared_vgpr_count 0
		.amdhsa_exception_fp_ieee_invalid_op 0
		.amdhsa_exception_fp_denorm_src 0
		.amdhsa_exception_fp_ieee_div_zero 0
		.amdhsa_exception_fp_ieee_overflow 0
		.amdhsa_exception_fp_ieee_underflow 0
		.amdhsa_exception_fp_ieee_inexact 0
		.amdhsa_exception_int_div_zero 0
	.end_amdhsa_kernel
	.section	.text._ZN7rocprim17ROCPRIM_400000_NS6detail17trampoline_kernelINS0_14default_configENS1_36segmented_radix_sort_config_selectorIblEEZNS1_25segmented_radix_sort_implIS3_Lb0EPKbPbPKlPlN2at6native12_GLOBAL__N_18offset_tEEE10hipError_tPvRmT1_PNSt15iterator_traitsISK_E10value_typeET2_T3_PNSL_ISQ_E10value_typeET4_jRbjT5_SW_jjP12ihipStream_tbEUlT_E1_NS1_11comp_targetILNS1_3genE8ELNS1_11target_archE1030ELNS1_3gpuE2ELNS1_3repE0EEENS1_59segmented_radix_sort_warp_sort_small_config_static_selectorELNS0_4arch9wavefront6targetE0EEEvSK_,"axG",@progbits,_ZN7rocprim17ROCPRIM_400000_NS6detail17trampoline_kernelINS0_14default_configENS1_36segmented_radix_sort_config_selectorIblEEZNS1_25segmented_radix_sort_implIS3_Lb0EPKbPbPKlPlN2at6native12_GLOBAL__N_18offset_tEEE10hipError_tPvRmT1_PNSt15iterator_traitsISK_E10value_typeET2_T3_PNSL_ISQ_E10value_typeET4_jRbjT5_SW_jjP12ihipStream_tbEUlT_E1_NS1_11comp_targetILNS1_3genE8ELNS1_11target_archE1030ELNS1_3gpuE2ELNS1_3repE0EEENS1_59segmented_radix_sort_warp_sort_small_config_static_selectorELNS0_4arch9wavefront6targetE0EEEvSK_,comdat
.Lfunc_end1664:
	.size	_ZN7rocprim17ROCPRIM_400000_NS6detail17trampoline_kernelINS0_14default_configENS1_36segmented_radix_sort_config_selectorIblEEZNS1_25segmented_radix_sort_implIS3_Lb0EPKbPbPKlPlN2at6native12_GLOBAL__N_18offset_tEEE10hipError_tPvRmT1_PNSt15iterator_traitsISK_E10value_typeET2_T3_PNSL_ISQ_E10value_typeET4_jRbjT5_SW_jjP12ihipStream_tbEUlT_E1_NS1_11comp_targetILNS1_3genE8ELNS1_11target_archE1030ELNS1_3gpuE2ELNS1_3repE0EEENS1_59segmented_radix_sort_warp_sort_small_config_static_selectorELNS0_4arch9wavefront6targetE0EEEvSK_, .Lfunc_end1664-_ZN7rocprim17ROCPRIM_400000_NS6detail17trampoline_kernelINS0_14default_configENS1_36segmented_radix_sort_config_selectorIblEEZNS1_25segmented_radix_sort_implIS3_Lb0EPKbPbPKlPlN2at6native12_GLOBAL__N_18offset_tEEE10hipError_tPvRmT1_PNSt15iterator_traitsISK_E10value_typeET2_T3_PNSL_ISQ_E10value_typeET4_jRbjT5_SW_jjP12ihipStream_tbEUlT_E1_NS1_11comp_targetILNS1_3genE8ELNS1_11target_archE1030ELNS1_3gpuE2ELNS1_3repE0EEENS1_59segmented_radix_sort_warp_sort_small_config_static_selectorELNS0_4arch9wavefront6targetE0EEEvSK_
                                        ; -- End function
	.section	.AMDGPU.csdata,"",@progbits
; Kernel info:
; codeLenInByte = 0
; NumSgprs: 0
; NumVgprs: 0
; ScratchSize: 0
; MemoryBound: 0
; FloatMode: 240
; IeeeMode: 1
; LDSByteSize: 0 bytes/workgroup (compile time only)
; SGPRBlocks: 0
; VGPRBlocks: 0
; NumSGPRsForWavesPerEU: 1
; NumVGPRsForWavesPerEU: 1
; Occupancy: 16
; WaveLimiterHint : 0
; COMPUTE_PGM_RSRC2:SCRATCH_EN: 0
; COMPUTE_PGM_RSRC2:USER_SGPR: 15
; COMPUTE_PGM_RSRC2:TRAP_HANDLER: 0
; COMPUTE_PGM_RSRC2:TGID_X_EN: 1
; COMPUTE_PGM_RSRC2:TGID_Y_EN: 0
; COMPUTE_PGM_RSRC2:TGID_Z_EN: 0
; COMPUTE_PGM_RSRC2:TIDIG_COMP_CNT: 0
	.section	.text._ZN7rocprim17ROCPRIM_400000_NS6detail17trampoline_kernelINS0_14default_configENS1_36segmented_radix_sort_config_selectorIblEEZNS1_25segmented_radix_sort_implIS3_Lb0EPKbPbPKlPlN2at6native12_GLOBAL__N_18offset_tEEE10hipError_tPvRmT1_PNSt15iterator_traitsISK_E10value_typeET2_T3_PNSL_ISQ_E10value_typeET4_jRbjT5_SW_jjP12ihipStream_tbEUlT_E2_NS1_11comp_targetILNS1_3genE0ELNS1_11target_archE4294967295ELNS1_3gpuE0ELNS1_3repE0EEENS1_30default_config_static_selectorELNS0_4arch9wavefront6targetE0EEEvSK_,"axG",@progbits,_ZN7rocprim17ROCPRIM_400000_NS6detail17trampoline_kernelINS0_14default_configENS1_36segmented_radix_sort_config_selectorIblEEZNS1_25segmented_radix_sort_implIS3_Lb0EPKbPbPKlPlN2at6native12_GLOBAL__N_18offset_tEEE10hipError_tPvRmT1_PNSt15iterator_traitsISK_E10value_typeET2_T3_PNSL_ISQ_E10value_typeET4_jRbjT5_SW_jjP12ihipStream_tbEUlT_E2_NS1_11comp_targetILNS1_3genE0ELNS1_11target_archE4294967295ELNS1_3gpuE0ELNS1_3repE0EEENS1_30default_config_static_selectorELNS0_4arch9wavefront6targetE0EEEvSK_,comdat
	.globl	_ZN7rocprim17ROCPRIM_400000_NS6detail17trampoline_kernelINS0_14default_configENS1_36segmented_radix_sort_config_selectorIblEEZNS1_25segmented_radix_sort_implIS3_Lb0EPKbPbPKlPlN2at6native12_GLOBAL__N_18offset_tEEE10hipError_tPvRmT1_PNSt15iterator_traitsISK_E10value_typeET2_T3_PNSL_ISQ_E10value_typeET4_jRbjT5_SW_jjP12ihipStream_tbEUlT_E2_NS1_11comp_targetILNS1_3genE0ELNS1_11target_archE4294967295ELNS1_3gpuE0ELNS1_3repE0EEENS1_30default_config_static_selectorELNS0_4arch9wavefront6targetE0EEEvSK_ ; -- Begin function _ZN7rocprim17ROCPRIM_400000_NS6detail17trampoline_kernelINS0_14default_configENS1_36segmented_radix_sort_config_selectorIblEEZNS1_25segmented_radix_sort_implIS3_Lb0EPKbPbPKlPlN2at6native12_GLOBAL__N_18offset_tEEE10hipError_tPvRmT1_PNSt15iterator_traitsISK_E10value_typeET2_T3_PNSL_ISQ_E10value_typeET4_jRbjT5_SW_jjP12ihipStream_tbEUlT_E2_NS1_11comp_targetILNS1_3genE0ELNS1_11target_archE4294967295ELNS1_3gpuE0ELNS1_3repE0EEENS1_30default_config_static_selectorELNS0_4arch9wavefront6targetE0EEEvSK_
	.p2align	8
	.type	_ZN7rocprim17ROCPRIM_400000_NS6detail17trampoline_kernelINS0_14default_configENS1_36segmented_radix_sort_config_selectorIblEEZNS1_25segmented_radix_sort_implIS3_Lb0EPKbPbPKlPlN2at6native12_GLOBAL__N_18offset_tEEE10hipError_tPvRmT1_PNSt15iterator_traitsISK_E10value_typeET2_T3_PNSL_ISQ_E10value_typeET4_jRbjT5_SW_jjP12ihipStream_tbEUlT_E2_NS1_11comp_targetILNS1_3genE0ELNS1_11target_archE4294967295ELNS1_3gpuE0ELNS1_3repE0EEENS1_30default_config_static_selectorELNS0_4arch9wavefront6targetE0EEEvSK_,@function
_ZN7rocprim17ROCPRIM_400000_NS6detail17trampoline_kernelINS0_14default_configENS1_36segmented_radix_sort_config_selectorIblEEZNS1_25segmented_radix_sort_implIS3_Lb0EPKbPbPKlPlN2at6native12_GLOBAL__N_18offset_tEEE10hipError_tPvRmT1_PNSt15iterator_traitsISK_E10value_typeET2_T3_PNSL_ISQ_E10value_typeET4_jRbjT5_SW_jjP12ihipStream_tbEUlT_E2_NS1_11comp_targetILNS1_3genE0ELNS1_11target_archE4294967295ELNS1_3gpuE0ELNS1_3repE0EEENS1_30default_config_static_selectorELNS0_4arch9wavefront6targetE0EEEvSK_: ; @_ZN7rocprim17ROCPRIM_400000_NS6detail17trampoline_kernelINS0_14default_configENS1_36segmented_radix_sort_config_selectorIblEEZNS1_25segmented_radix_sort_implIS3_Lb0EPKbPbPKlPlN2at6native12_GLOBAL__N_18offset_tEEE10hipError_tPvRmT1_PNSt15iterator_traitsISK_E10value_typeET2_T3_PNSL_ISQ_E10value_typeET4_jRbjT5_SW_jjP12ihipStream_tbEUlT_E2_NS1_11comp_targetILNS1_3genE0ELNS1_11target_archE4294967295ELNS1_3gpuE0ELNS1_3repE0EEENS1_30default_config_static_selectorELNS0_4arch9wavefront6targetE0EEEvSK_
; %bb.0:
	.section	.rodata,"a",@progbits
	.p2align	6, 0x0
	.amdhsa_kernel _ZN7rocprim17ROCPRIM_400000_NS6detail17trampoline_kernelINS0_14default_configENS1_36segmented_radix_sort_config_selectorIblEEZNS1_25segmented_radix_sort_implIS3_Lb0EPKbPbPKlPlN2at6native12_GLOBAL__N_18offset_tEEE10hipError_tPvRmT1_PNSt15iterator_traitsISK_E10value_typeET2_T3_PNSL_ISQ_E10value_typeET4_jRbjT5_SW_jjP12ihipStream_tbEUlT_E2_NS1_11comp_targetILNS1_3genE0ELNS1_11target_archE4294967295ELNS1_3gpuE0ELNS1_3repE0EEENS1_30default_config_static_selectorELNS0_4arch9wavefront6targetE0EEEvSK_
		.amdhsa_group_segment_fixed_size 0
		.amdhsa_private_segment_fixed_size 0
		.amdhsa_kernarg_size 80
		.amdhsa_user_sgpr_count 15
		.amdhsa_user_sgpr_dispatch_ptr 0
		.amdhsa_user_sgpr_queue_ptr 0
		.amdhsa_user_sgpr_kernarg_segment_ptr 1
		.amdhsa_user_sgpr_dispatch_id 0
		.amdhsa_user_sgpr_private_segment_size 0
		.amdhsa_wavefront_size32 1
		.amdhsa_uses_dynamic_stack 0
		.amdhsa_enable_private_segment 0
		.amdhsa_system_sgpr_workgroup_id_x 1
		.amdhsa_system_sgpr_workgroup_id_y 0
		.amdhsa_system_sgpr_workgroup_id_z 0
		.amdhsa_system_sgpr_workgroup_info 0
		.amdhsa_system_vgpr_workitem_id 0
		.amdhsa_next_free_vgpr 1
		.amdhsa_next_free_sgpr 1
		.amdhsa_reserve_vcc 0
		.amdhsa_float_round_mode_32 0
		.amdhsa_float_round_mode_16_64 0
		.amdhsa_float_denorm_mode_32 3
		.amdhsa_float_denorm_mode_16_64 3
		.amdhsa_dx10_clamp 1
		.amdhsa_ieee_mode 1
		.amdhsa_fp16_overflow 0
		.amdhsa_workgroup_processor_mode 1
		.amdhsa_memory_ordered 1
		.amdhsa_forward_progress 0
		.amdhsa_shared_vgpr_count 0
		.amdhsa_exception_fp_ieee_invalid_op 0
		.amdhsa_exception_fp_denorm_src 0
		.amdhsa_exception_fp_ieee_div_zero 0
		.amdhsa_exception_fp_ieee_overflow 0
		.amdhsa_exception_fp_ieee_underflow 0
		.amdhsa_exception_fp_ieee_inexact 0
		.amdhsa_exception_int_div_zero 0
	.end_amdhsa_kernel
	.section	.text._ZN7rocprim17ROCPRIM_400000_NS6detail17trampoline_kernelINS0_14default_configENS1_36segmented_radix_sort_config_selectorIblEEZNS1_25segmented_radix_sort_implIS3_Lb0EPKbPbPKlPlN2at6native12_GLOBAL__N_18offset_tEEE10hipError_tPvRmT1_PNSt15iterator_traitsISK_E10value_typeET2_T3_PNSL_ISQ_E10value_typeET4_jRbjT5_SW_jjP12ihipStream_tbEUlT_E2_NS1_11comp_targetILNS1_3genE0ELNS1_11target_archE4294967295ELNS1_3gpuE0ELNS1_3repE0EEENS1_30default_config_static_selectorELNS0_4arch9wavefront6targetE0EEEvSK_,"axG",@progbits,_ZN7rocprim17ROCPRIM_400000_NS6detail17trampoline_kernelINS0_14default_configENS1_36segmented_radix_sort_config_selectorIblEEZNS1_25segmented_radix_sort_implIS3_Lb0EPKbPbPKlPlN2at6native12_GLOBAL__N_18offset_tEEE10hipError_tPvRmT1_PNSt15iterator_traitsISK_E10value_typeET2_T3_PNSL_ISQ_E10value_typeET4_jRbjT5_SW_jjP12ihipStream_tbEUlT_E2_NS1_11comp_targetILNS1_3genE0ELNS1_11target_archE4294967295ELNS1_3gpuE0ELNS1_3repE0EEENS1_30default_config_static_selectorELNS0_4arch9wavefront6targetE0EEEvSK_,comdat
.Lfunc_end1665:
	.size	_ZN7rocprim17ROCPRIM_400000_NS6detail17trampoline_kernelINS0_14default_configENS1_36segmented_radix_sort_config_selectorIblEEZNS1_25segmented_radix_sort_implIS3_Lb0EPKbPbPKlPlN2at6native12_GLOBAL__N_18offset_tEEE10hipError_tPvRmT1_PNSt15iterator_traitsISK_E10value_typeET2_T3_PNSL_ISQ_E10value_typeET4_jRbjT5_SW_jjP12ihipStream_tbEUlT_E2_NS1_11comp_targetILNS1_3genE0ELNS1_11target_archE4294967295ELNS1_3gpuE0ELNS1_3repE0EEENS1_30default_config_static_selectorELNS0_4arch9wavefront6targetE0EEEvSK_, .Lfunc_end1665-_ZN7rocprim17ROCPRIM_400000_NS6detail17trampoline_kernelINS0_14default_configENS1_36segmented_radix_sort_config_selectorIblEEZNS1_25segmented_radix_sort_implIS3_Lb0EPKbPbPKlPlN2at6native12_GLOBAL__N_18offset_tEEE10hipError_tPvRmT1_PNSt15iterator_traitsISK_E10value_typeET2_T3_PNSL_ISQ_E10value_typeET4_jRbjT5_SW_jjP12ihipStream_tbEUlT_E2_NS1_11comp_targetILNS1_3genE0ELNS1_11target_archE4294967295ELNS1_3gpuE0ELNS1_3repE0EEENS1_30default_config_static_selectorELNS0_4arch9wavefront6targetE0EEEvSK_
                                        ; -- End function
	.section	.AMDGPU.csdata,"",@progbits
; Kernel info:
; codeLenInByte = 0
; NumSgprs: 0
; NumVgprs: 0
; ScratchSize: 0
; MemoryBound: 0
; FloatMode: 240
; IeeeMode: 1
; LDSByteSize: 0 bytes/workgroup (compile time only)
; SGPRBlocks: 0
; VGPRBlocks: 0
; NumSGPRsForWavesPerEU: 1
; NumVGPRsForWavesPerEU: 1
; Occupancy: 16
; WaveLimiterHint : 0
; COMPUTE_PGM_RSRC2:SCRATCH_EN: 0
; COMPUTE_PGM_RSRC2:USER_SGPR: 15
; COMPUTE_PGM_RSRC2:TRAP_HANDLER: 0
; COMPUTE_PGM_RSRC2:TGID_X_EN: 1
; COMPUTE_PGM_RSRC2:TGID_Y_EN: 0
; COMPUTE_PGM_RSRC2:TGID_Z_EN: 0
; COMPUTE_PGM_RSRC2:TIDIG_COMP_CNT: 0
	.section	.text._ZN7rocprim17ROCPRIM_400000_NS6detail17trampoline_kernelINS0_14default_configENS1_36segmented_radix_sort_config_selectorIblEEZNS1_25segmented_radix_sort_implIS3_Lb0EPKbPbPKlPlN2at6native12_GLOBAL__N_18offset_tEEE10hipError_tPvRmT1_PNSt15iterator_traitsISK_E10value_typeET2_T3_PNSL_ISQ_E10value_typeET4_jRbjT5_SW_jjP12ihipStream_tbEUlT_E2_NS1_11comp_targetILNS1_3genE5ELNS1_11target_archE942ELNS1_3gpuE9ELNS1_3repE0EEENS1_30default_config_static_selectorELNS0_4arch9wavefront6targetE0EEEvSK_,"axG",@progbits,_ZN7rocprim17ROCPRIM_400000_NS6detail17trampoline_kernelINS0_14default_configENS1_36segmented_radix_sort_config_selectorIblEEZNS1_25segmented_radix_sort_implIS3_Lb0EPKbPbPKlPlN2at6native12_GLOBAL__N_18offset_tEEE10hipError_tPvRmT1_PNSt15iterator_traitsISK_E10value_typeET2_T3_PNSL_ISQ_E10value_typeET4_jRbjT5_SW_jjP12ihipStream_tbEUlT_E2_NS1_11comp_targetILNS1_3genE5ELNS1_11target_archE942ELNS1_3gpuE9ELNS1_3repE0EEENS1_30default_config_static_selectorELNS0_4arch9wavefront6targetE0EEEvSK_,comdat
	.globl	_ZN7rocprim17ROCPRIM_400000_NS6detail17trampoline_kernelINS0_14default_configENS1_36segmented_radix_sort_config_selectorIblEEZNS1_25segmented_radix_sort_implIS3_Lb0EPKbPbPKlPlN2at6native12_GLOBAL__N_18offset_tEEE10hipError_tPvRmT1_PNSt15iterator_traitsISK_E10value_typeET2_T3_PNSL_ISQ_E10value_typeET4_jRbjT5_SW_jjP12ihipStream_tbEUlT_E2_NS1_11comp_targetILNS1_3genE5ELNS1_11target_archE942ELNS1_3gpuE9ELNS1_3repE0EEENS1_30default_config_static_selectorELNS0_4arch9wavefront6targetE0EEEvSK_ ; -- Begin function _ZN7rocprim17ROCPRIM_400000_NS6detail17trampoline_kernelINS0_14default_configENS1_36segmented_radix_sort_config_selectorIblEEZNS1_25segmented_radix_sort_implIS3_Lb0EPKbPbPKlPlN2at6native12_GLOBAL__N_18offset_tEEE10hipError_tPvRmT1_PNSt15iterator_traitsISK_E10value_typeET2_T3_PNSL_ISQ_E10value_typeET4_jRbjT5_SW_jjP12ihipStream_tbEUlT_E2_NS1_11comp_targetILNS1_3genE5ELNS1_11target_archE942ELNS1_3gpuE9ELNS1_3repE0EEENS1_30default_config_static_selectorELNS0_4arch9wavefront6targetE0EEEvSK_
	.p2align	8
	.type	_ZN7rocprim17ROCPRIM_400000_NS6detail17trampoline_kernelINS0_14default_configENS1_36segmented_radix_sort_config_selectorIblEEZNS1_25segmented_radix_sort_implIS3_Lb0EPKbPbPKlPlN2at6native12_GLOBAL__N_18offset_tEEE10hipError_tPvRmT1_PNSt15iterator_traitsISK_E10value_typeET2_T3_PNSL_ISQ_E10value_typeET4_jRbjT5_SW_jjP12ihipStream_tbEUlT_E2_NS1_11comp_targetILNS1_3genE5ELNS1_11target_archE942ELNS1_3gpuE9ELNS1_3repE0EEENS1_30default_config_static_selectorELNS0_4arch9wavefront6targetE0EEEvSK_,@function
_ZN7rocprim17ROCPRIM_400000_NS6detail17trampoline_kernelINS0_14default_configENS1_36segmented_radix_sort_config_selectorIblEEZNS1_25segmented_radix_sort_implIS3_Lb0EPKbPbPKlPlN2at6native12_GLOBAL__N_18offset_tEEE10hipError_tPvRmT1_PNSt15iterator_traitsISK_E10value_typeET2_T3_PNSL_ISQ_E10value_typeET4_jRbjT5_SW_jjP12ihipStream_tbEUlT_E2_NS1_11comp_targetILNS1_3genE5ELNS1_11target_archE942ELNS1_3gpuE9ELNS1_3repE0EEENS1_30default_config_static_selectorELNS0_4arch9wavefront6targetE0EEEvSK_: ; @_ZN7rocprim17ROCPRIM_400000_NS6detail17trampoline_kernelINS0_14default_configENS1_36segmented_radix_sort_config_selectorIblEEZNS1_25segmented_radix_sort_implIS3_Lb0EPKbPbPKlPlN2at6native12_GLOBAL__N_18offset_tEEE10hipError_tPvRmT1_PNSt15iterator_traitsISK_E10value_typeET2_T3_PNSL_ISQ_E10value_typeET4_jRbjT5_SW_jjP12ihipStream_tbEUlT_E2_NS1_11comp_targetILNS1_3genE5ELNS1_11target_archE942ELNS1_3gpuE9ELNS1_3repE0EEENS1_30default_config_static_selectorELNS0_4arch9wavefront6targetE0EEEvSK_
; %bb.0:
	.section	.rodata,"a",@progbits
	.p2align	6, 0x0
	.amdhsa_kernel _ZN7rocprim17ROCPRIM_400000_NS6detail17trampoline_kernelINS0_14default_configENS1_36segmented_radix_sort_config_selectorIblEEZNS1_25segmented_radix_sort_implIS3_Lb0EPKbPbPKlPlN2at6native12_GLOBAL__N_18offset_tEEE10hipError_tPvRmT1_PNSt15iterator_traitsISK_E10value_typeET2_T3_PNSL_ISQ_E10value_typeET4_jRbjT5_SW_jjP12ihipStream_tbEUlT_E2_NS1_11comp_targetILNS1_3genE5ELNS1_11target_archE942ELNS1_3gpuE9ELNS1_3repE0EEENS1_30default_config_static_selectorELNS0_4arch9wavefront6targetE0EEEvSK_
		.amdhsa_group_segment_fixed_size 0
		.amdhsa_private_segment_fixed_size 0
		.amdhsa_kernarg_size 80
		.amdhsa_user_sgpr_count 15
		.amdhsa_user_sgpr_dispatch_ptr 0
		.amdhsa_user_sgpr_queue_ptr 0
		.amdhsa_user_sgpr_kernarg_segment_ptr 1
		.amdhsa_user_sgpr_dispatch_id 0
		.amdhsa_user_sgpr_private_segment_size 0
		.amdhsa_wavefront_size32 1
		.amdhsa_uses_dynamic_stack 0
		.amdhsa_enable_private_segment 0
		.amdhsa_system_sgpr_workgroup_id_x 1
		.amdhsa_system_sgpr_workgroup_id_y 0
		.amdhsa_system_sgpr_workgroup_id_z 0
		.amdhsa_system_sgpr_workgroup_info 0
		.amdhsa_system_vgpr_workitem_id 0
		.amdhsa_next_free_vgpr 1
		.amdhsa_next_free_sgpr 1
		.amdhsa_reserve_vcc 0
		.amdhsa_float_round_mode_32 0
		.amdhsa_float_round_mode_16_64 0
		.amdhsa_float_denorm_mode_32 3
		.amdhsa_float_denorm_mode_16_64 3
		.amdhsa_dx10_clamp 1
		.amdhsa_ieee_mode 1
		.amdhsa_fp16_overflow 0
		.amdhsa_workgroup_processor_mode 1
		.amdhsa_memory_ordered 1
		.amdhsa_forward_progress 0
		.amdhsa_shared_vgpr_count 0
		.amdhsa_exception_fp_ieee_invalid_op 0
		.amdhsa_exception_fp_denorm_src 0
		.amdhsa_exception_fp_ieee_div_zero 0
		.amdhsa_exception_fp_ieee_overflow 0
		.amdhsa_exception_fp_ieee_underflow 0
		.amdhsa_exception_fp_ieee_inexact 0
		.amdhsa_exception_int_div_zero 0
	.end_amdhsa_kernel
	.section	.text._ZN7rocprim17ROCPRIM_400000_NS6detail17trampoline_kernelINS0_14default_configENS1_36segmented_radix_sort_config_selectorIblEEZNS1_25segmented_radix_sort_implIS3_Lb0EPKbPbPKlPlN2at6native12_GLOBAL__N_18offset_tEEE10hipError_tPvRmT1_PNSt15iterator_traitsISK_E10value_typeET2_T3_PNSL_ISQ_E10value_typeET4_jRbjT5_SW_jjP12ihipStream_tbEUlT_E2_NS1_11comp_targetILNS1_3genE5ELNS1_11target_archE942ELNS1_3gpuE9ELNS1_3repE0EEENS1_30default_config_static_selectorELNS0_4arch9wavefront6targetE0EEEvSK_,"axG",@progbits,_ZN7rocprim17ROCPRIM_400000_NS6detail17trampoline_kernelINS0_14default_configENS1_36segmented_radix_sort_config_selectorIblEEZNS1_25segmented_radix_sort_implIS3_Lb0EPKbPbPKlPlN2at6native12_GLOBAL__N_18offset_tEEE10hipError_tPvRmT1_PNSt15iterator_traitsISK_E10value_typeET2_T3_PNSL_ISQ_E10value_typeET4_jRbjT5_SW_jjP12ihipStream_tbEUlT_E2_NS1_11comp_targetILNS1_3genE5ELNS1_11target_archE942ELNS1_3gpuE9ELNS1_3repE0EEENS1_30default_config_static_selectorELNS0_4arch9wavefront6targetE0EEEvSK_,comdat
.Lfunc_end1666:
	.size	_ZN7rocprim17ROCPRIM_400000_NS6detail17trampoline_kernelINS0_14default_configENS1_36segmented_radix_sort_config_selectorIblEEZNS1_25segmented_radix_sort_implIS3_Lb0EPKbPbPKlPlN2at6native12_GLOBAL__N_18offset_tEEE10hipError_tPvRmT1_PNSt15iterator_traitsISK_E10value_typeET2_T3_PNSL_ISQ_E10value_typeET4_jRbjT5_SW_jjP12ihipStream_tbEUlT_E2_NS1_11comp_targetILNS1_3genE5ELNS1_11target_archE942ELNS1_3gpuE9ELNS1_3repE0EEENS1_30default_config_static_selectorELNS0_4arch9wavefront6targetE0EEEvSK_, .Lfunc_end1666-_ZN7rocprim17ROCPRIM_400000_NS6detail17trampoline_kernelINS0_14default_configENS1_36segmented_radix_sort_config_selectorIblEEZNS1_25segmented_radix_sort_implIS3_Lb0EPKbPbPKlPlN2at6native12_GLOBAL__N_18offset_tEEE10hipError_tPvRmT1_PNSt15iterator_traitsISK_E10value_typeET2_T3_PNSL_ISQ_E10value_typeET4_jRbjT5_SW_jjP12ihipStream_tbEUlT_E2_NS1_11comp_targetILNS1_3genE5ELNS1_11target_archE942ELNS1_3gpuE9ELNS1_3repE0EEENS1_30default_config_static_selectorELNS0_4arch9wavefront6targetE0EEEvSK_
                                        ; -- End function
	.section	.AMDGPU.csdata,"",@progbits
; Kernel info:
; codeLenInByte = 0
; NumSgprs: 0
; NumVgprs: 0
; ScratchSize: 0
; MemoryBound: 0
; FloatMode: 240
; IeeeMode: 1
; LDSByteSize: 0 bytes/workgroup (compile time only)
; SGPRBlocks: 0
; VGPRBlocks: 0
; NumSGPRsForWavesPerEU: 1
; NumVGPRsForWavesPerEU: 1
; Occupancy: 16
; WaveLimiterHint : 0
; COMPUTE_PGM_RSRC2:SCRATCH_EN: 0
; COMPUTE_PGM_RSRC2:USER_SGPR: 15
; COMPUTE_PGM_RSRC2:TRAP_HANDLER: 0
; COMPUTE_PGM_RSRC2:TGID_X_EN: 1
; COMPUTE_PGM_RSRC2:TGID_Y_EN: 0
; COMPUTE_PGM_RSRC2:TGID_Z_EN: 0
; COMPUTE_PGM_RSRC2:TIDIG_COMP_CNT: 0
	.section	.text._ZN7rocprim17ROCPRIM_400000_NS6detail17trampoline_kernelINS0_14default_configENS1_36segmented_radix_sort_config_selectorIblEEZNS1_25segmented_radix_sort_implIS3_Lb0EPKbPbPKlPlN2at6native12_GLOBAL__N_18offset_tEEE10hipError_tPvRmT1_PNSt15iterator_traitsISK_E10value_typeET2_T3_PNSL_ISQ_E10value_typeET4_jRbjT5_SW_jjP12ihipStream_tbEUlT_E2_NS1_11comp_targetILNS1_3genE4ELNS1_11target_archE910ELNS1_3gpuE8ELNS1_3repE0EEENS1_30default_config_static_selectorELNS0_4arch9wavefront6targetE0EEEvSK_,"axG",@progbits,_ZN7rocprim17ROCPRIM_400000_NS6detail17trampoline_kernelINS0_14default_configENS1_36segmented_radix_sort_config_selectorIblEEZNS1_25segmented_radix_sort_implIS3_Lb0EPKbPbPKlPlN2at6native12_GLOBAL__N_18offset_tEEE10hipError_tPvRmT1_PNSt15iterator_traitsISK_E10value_typeET2_T3_PNSL_ISQ_E10value_typeET4_jRbjT5_SW_jjP12ihipStream_tbEUlT_E2_NS1_11comp_targetILNS1_3genE4ELNS1_11target_archE910ELNS1_3gpuE8ELNS1_3repE0EEENS1_30default_config_static_selectorELNS0_4arch9wavefront6targetE0EEEvSK_,comdat
	.globl	_ZN7rocprim17ROCPRIM_400000_NS6detail17trampoline_kernelINS0_14default_configENS1_36segmented_radix_sort_config_selectorIblEEZNS1_25segmented_radix_sort_implIS3_Lb0EPKbPbPKlPlN2at6native12_GLOBAL__N_18offset_tEEE10hipError_tPvRmT1_PNSt15iterator_traitsISK_E10value_typeET2_T3_PNSL_ISQ_E10value_typeET4_jRbjT5_SW_jjP12ihipStream_tbEUlT_E2_NS1_11comp_targetILNS1_3genE4ELNS1_11target_archE910ELNS1_3gpuE8ELNS1_3repE0EEENS1_30default_config_static_selectorELNS0_4arch9wavefront6targetE0EEEvSK_ ; -- Begin function _ZN7rocprim17ROCPRIM_400000_NS6detail17trampoline_kernelINS0_14default_configENS1_36segmented_radix_sort_config_selectorIblEEZNS1_25segmented_radix_sort_implIS3_Lb0EPKbPbPKlPlN2at6native12_GLOBAL__N_18offset_tEEE10hipError_tPvRmT1_PNSt15iterator_traitsISK_E10value_typeET2_T3_PNSL_ISQ_E10value_typeET4_jRbjT5_SW_jjP12ihipStream_tbEUlT_E2_NS1_11comp_targetILNS1_3genE4ELNS1_11target_archE910ELNS1_3gpuE8ELNS1_3repE0EEENS1_30default_config_static_selectorELNS0_4arch9wavefront6targetE0EEEvSK_
	.p2align	8
	.type	_ZN7rocprim17ROCPRIM_400000_NS6detail17trampoline_kernelINS0_14default_configENS1_36segmented_radix_sort_config_selectorIblEEZNS1_25segmented_radix_sort_implIS3_Lb0EPKbPbPKlPlN2at6native12_GLOBAL__N_18offset_tEEE10hipError_tPvRmT1_PNSt15iterator_traitsISK_E10value_typeET2_T3_PNSL_ISQ_E10value_typeET4_jRbjT5_SW_jjP12ihipStream_tbEUlT_E2_NS1_11comp_targetILNS1_3genE4ELNS1_11target_archE910ELNS1_3gpuE8ELNS1_3repE0EEENS1_30default_config_static_selectorELNS0_4arch9wavefront6targetE0EEEvSK_,@function
_ZN7rocprim17ROCPRIM_400000_NS6detail17trampoline_kernelINS0_14default_configENS1_36segmented_radix_sort_config_selectorIblEEZNS1_25segmented_radix_sort_implIS3_Lb0EPKbPbPKlPlN2at6native12_GLOBAL__N_18offset_tEEE10hipError_tPvRmT1_PNSt15iterator_traitsISK_E10value_typeET2_T3_PNSL_ISQ_E10value_typeET4_jRbjT5_SW_jjP12ihipStream_tbEUlT_E2_NS1_11comp_targetILNS1_3genE4ELNS1_11target_archE910ELNS1_3gpuE8ELNS1_3repE0EEENS1_30default_config_static_selectorELNS0_4arch9wavefront6targetE0EEEvSK_: ; @_ZN7rocprim17ROCPRIM_400000_NS6detail17trampoline_kernelINS0_14default_configENS1_36segmented_radix_sort_config_selectorIblEEZNS1_25segmented_radix_sort_implIS3_Lb0EPKbPbPKlPlN2at6native12_GLOBAL__N_18offset_tEEE10hipError_tPvRmT1_PNSt15iterator_traitsISK_E10value_typeET2_T3_PNSL_ISQ_E10value_typeET4_jRbjT5_SW_jjP12ihipStream_tbEUlT_E2_NS1_11comp_targetILNS1_3genE4ELNS1_11target_archE910ELNS1_3gpuE8ELNS1_3repE0EEENS1_30default_config_static_selectorELNS0_4arch9wavefront6targetE0EEEvSK_
; %bb.0:
	.section	.rodata,"a",@progbits
	.p2align	6, 0x0
	.amdhsa_kernel _ZN7rocprim17ROCPRIM_400000_NS6detail17trampoline_kernelINS0_14default_configENS1_36segmented_radix_sort_config_selectorIblEEZNS1_25segmented_radix_sort_implIS3_Lb0EPKbPbPKlPlN2at6native12_GLOBAL__N_18offset_tEEE10hipError_tPvRmT1_PNSt15iterator_traitsISK_E10value_typeET2_T3_PNSL_ISQ_E10value_typeET4_jRbjT5_SW_jjP12ihipStream_tbEUlT_E2_NS1_11comp_targetILNS1_3genE4ELNS1_11target_archE910ELNS1_3gpuE8ELNS1_3repE0EEENS1_30default_config_static_selectorELNS0_4arch9wavefront6targetE0EEEvSK_
		.amdhsa_group_segment_fixed_size 0
		.amdhsa_private_segment_fixed_size 0
		.amdhsa_kernarg_size 80
		.amdhsa_user_sgpr_count 15
		.amdhsa_user_sgpr_dispatch_ptr 0
		.amdhsa_user_sgpr_queue_ptr 0
		.amdhsa_user_sgpr_kernarg_segment_ptr 1
		.amdhsa_user_sgpr_dispatch_id 0
		.amdhsa_user_sgpr_private_segment_size 0
		.amdhsa_wavefront_size32 1
		.amdhsa_uses_dynamic_stack 0
		.amdhsa_enable_private_segment 0
		.amdhsa_system_sgpr_workgroup_id_x 1
		.amdhsa_system_sgpr_workgroup_id_y 0
		.amdhsa_system_sgpr_workgroup_id_z 0
		.amdhsa_system_sgpr_workgroup_info 0
		.amdhsa_system_vgpr_workitem_id 0
		.amdhsa_next_free_vgpr 1
		.amdhsa_next_free_sgpr 1
		.amdhsa_reserve_vcc 0
		.amdhsa_float_round_mode_32 0
		.amdhsa_float_round_mode_16_64 0
		.amdhsa_float_denorm_mode_32 3
		.amdhsa_float_denorm_mode_16_64 3
		.amdhsa_dx10_clamp 1
		.amdhsa_ieee_mode 1
		.amdhsa_fp16_overflow 0
		.amdhsa_workgroup_processor_mode 1
		.amdhsa_memory_ordered 1
		.amdhsa_forward_progress 0
		.amdhsa_shared_vgpr_count 0
		.amdhsa_exception_fp_ieee_invalid_op 0
		.amdhsa_exception_fp_denorm_src 0
		.amdhsa_exception_fp_ieee_div_zero 0
		.amdhsa_exception_fp_ieee_overflow 0
		.amdhsa_exception_fp_ieee_underflow 0
		.amdhsa_exception_fp_ieee_inexact 0
		.amdhsa_exception_int_div_zero 0
	.end_amdhsa_kernel
	.section	.text._ZN7rocprim17ROCPRIM_400000_NS6detail17trampoline_kernelINS0_14default_configENS1_36segmented_radix_sort_config_selectorIblEEZNS1_25segmented_radix_sort_implIS3_Lb0EPKbPbPKlPlN2at6native12_GLOBAL__N_18offset_tEEE10hipError_tPvRmT1_PNSt15iterator_traitsISK_E10value_typeET2_T3_PNSL_ISQ_E10value_typeET4_jRbjT5_SW_jjP12ihipStream_tbEUlT_E2_NS1_11comp_targetILNS1_3genE4ELNS1_11target_archE910ELNS1_3gpuE8ELNS1_3repE0EEENS1_30default_config_static_selectorELNS0_4arch9wavefront6targetE0EEEvSK_,"axG",@progbits,_ZN7rocprim17ROCPRIM_400000_NS6detail17trampoline_kernelINS0_14default_configENS1_36segmented_radix_sort_config_selectorIblEEZNS1_25segmented_radix_sort_implIS3_Lb0EPKbPbPKlPlN2at6native12_GLOBAL__N_18offset_tEEE10hipError_tPvRmT1_PNSt15iterator_traitsISK_E10value_typeET2_T3_PNSL_ISQ_E10value_typeET4_jRbjT5_SW_jjP12ihipStream_tbEUlT_E2_NS1_11comp_targetILNS1_3genE4ELNS1_11target_archE910ELNS1_3gpuE8ELNS1_3repE0EEENS1_30default_config_static_selectorELNS0_4arch9wavefront6targetE0EEEvSK_,comdat
.Lfunc_end1667:
	.size	_ZN7rocprim17ROCPRIM_400000_NS6detail17trampoline_kernelINS0_14default_configENS1_36segmented_radix_sort_config_selectorIblEEZNS1_25segmented_radix_sort_implIS3_Lb0EPKbPbPKlPlN2at6native12_GLOBAL__N_18offset_tEEE10hipError_tPvRmT1_PNSt15iterator_traitsISK_E10value_typeET2_T3_PNSL_ISQ_E10value_typeET4_jRbjT5_SW_jjP12ihipStream_tbEUlT_E2_NS1_11comp_targetILNS1_3genE4ELNS1_11target_archE910ELNS1_3gpuE8ELNS1_3repE0EEENS1_30default_config_static_selectorELNS0_4arch9wavefront6targetE0EEEvSK_, .Lfunc_end1667-_ZN7rocprim17ROCPRIM_400000_NS6detail17trampoline_kernelINS0_14default_configENS1_36segmented_radix_sort_config_selectorIblEEZNS1_25segmented_radix_sort_implIS3_Lb0EPKbPbPKlPlN2at6native12_GLOBAL__N_18offset_tEEE10hipError_tPvRmT1_PNSt15iterator_traitsISK_E10value_typeET2_T3_PNSL_ISQ_E10value_typeET4_jRbjT5_SW_jjP12ihipStream_tbEUlT_E2_NS1_11comp_targetILNS1_3genE4ELNS1_11target_archE910ELNS1_3gpuE8ELNS1_3repE0EEENS1_30default_config_static_selectorELNS0_4arch9wavefront6targetE0EEEvSK_
                                        ; -- End function
	.section	.AMDGPU.csdata,"",@progbits
; Kernel info:
; codeLenInByte = 0
; NumSgprs: 0
; NumVgprs: 0
; ScratchSize: 0
; MemoryBound: 0
; FloatMode: 240
; IeeeMode: 1
; LDSByteSize: 0 bytes/workgroup (compile time only)
; SGPRBlocks: 0
; VGPRBlocks: 0
; NumSGPRsForWavesPerEU: 1
; NumVGPRsForWavesPerEU: 1
; Occupancy: 16
; WaveLimiterHint : 0
; COMPUTE_PGM_RSRC2:SCRATCH_EN: 0
; COMPUTE_PGM_RSRC2:USER_SGPR: 15
; COMPUTE_PGM_RSRC2:TRAP_HANDLER: 0
; COMPUTE_PGM_RSRC2:TGID_X_EN: 1
; COMPUTE_PGM_RSRC2:TGID_Y_EN: 0
; COMPUTE_PGM_RSRC2:TGID_Z_EN: 0
; COMPUTE_PGM_RSRC2:TIDIG_COMP_CNT: 0
	.section	.text._ZN7rocprim17ROCPRIM_400000_NS6detail17trampoline_kernelINS0_14default_configENS1_36segmented_radix_sort_config_selectorIblEEZNS1_25segmented_radix_sort_implIS3_Lb0EPKbPbPKlPlN2at6native12_GLOBAL__N_18offset_tEEE10hipError_tPvRmT1_PNSt15iterator_traitsISK_E10value_typeET2_T3_PNSL_ISQ_E10value_typeET4_jRbjT5_SW_jjP12ihipStream_tbEUlT_E2_NS1_11comp_targetILNS1_3genE3ELNS1_11target_archE908ELNS1_3gpuE7ELNS1_3repE0EEENS1_30default_config_static_selectorELNS0_4arch9wavefront6targetE0EEEvSK_,"axG",@progbits,_ZN7rocprim17ROCPRIM_400000_NS6detail17trampoline_kernelINS0_14default_configENS1_36segmented_radix_sort_config_selectorIblEEZNS1_25segmented_radix_sort_implIS3_Lb0EPKbPbPKlPlN2at6native12_GLOBAL__N_18offset_tEEE10hipError_tPvRmT1_PNSt15iterator_traitsISK_E10value_typeET2_T3_PNSL_ISQ_E10value_typeET4_jRbjT5_SW_jjP12ihipStream_tbEUlT_E2_NS1_11comp_targetILNS1_3genE3ELNS1_11target_archE908ELNS1_3gpuE7ELNS1_3repE0EEENS1_30default_config_static_selectorELNS0_4arch9wavefront6targetE0EEEvSK_,comdat
	.globl	_ZN7rocprim17ROCPRIM_400000_NS6detail17trampoline_kernelINS0_14default_configENS1_36segmented_radix_sort_config_selectorIblEEZNS1_25segmented_radix_sort_implIS3_Lb0EPKbPbPKlPlN2at6native12_GLOBAL__N_18offset_tEEE10hipError_tPvRmT1_PNSt15iterator_traitsISK_E10value_typeET2_T3_PNSL_ISQ_E10value_typeET4_jRbjT5_SW_jjP12ihipStream_tbEUlT_E2_NS1_11comp_targetILNS1_3genE3ELNS1_11target_archE908ELNS1_3gpuE7ELNS1_3repE0EEENS1_30default_config_static_selectorELNS0_4arch9wavefront6targetE0EEEvSK_ ; -- Begin function _ZN7rocprim17ROCPRIM_400000_NS6detail17trampoline_kernelINS0_14default_configENS1_36segmented_radix_sort_config_selectorIblEEZNS1_25segmented_radix_sort_implIS3_Lb0EPKbPbPKlPlN2at6native12_GLOBAL__N_18offset_tEEE10hipError_tPvRmT1_PNSt15iterator_traitsISK_E10value_typeET2_T3_PNSL_ISQ_E10value_typeET4_jRbjT5_SW_jjP12ihipStream_tbEUlT_E2_NS1_11comp_targetILNS1_3genE3ELNS1_11target_archE908ELNS1_3gpuE7ELNS1_3repE0EEENS1_30default_config_static_selectorELNS0_4arch9wavefront6targetE0EEEvSK_
	.p2align	8
	.type	_ZN7rocprim17ROCPRIM_400000_NS6detail17trampoline_kernelINS0_14default_configENS1_36segmented_radix_sort_config_selectorIblEEZNS1_25segmented_radix_sort_implIS3_Lb0EPKbPbPKlPlN2at6native12_GLOBAL__N_18offset_tEEE10hipError_tPvRmT1_PNSt15iterator_traitsISK_E10value_typeET2_T3_PNSL_ISQ_E10value_typeET4_jRbjT5_SW_jjP12ihipStream_tbEUlT_E2_NS1_11comp_targetILNS1_3genE3ELNS1_11target_archE908ELNS1_3gpuE7ELNS1_3repE0EEENS1_30default_config_static_selectorELNS0_4arch9wavefront6targetE0EEEvSK_,@function
_ZN7rocprim17ROCPRIM_400000_NS6detail17trampoline_kernelINS0_14default_configENS1_36segmented_radix_sort_config_selectorIblEEZNS1_25segmented_radix_sort_implIS3_Lb0EPKbPbPKlPlN2at6native12_GLOBAL__N_18offset_tEEE10hipError_tPvRmT1_PNSt15iterator_traitsISK_E10value_typeET2_T3_PNSL_ISQ_E10value_typeET4_jRbjT5_SW_jjP12ihipStream_tbEUlT_E2_NS1_11comp_targetILNS1_3genE3ELNS1_11target_archE908ELNS1_3gpuE7ELNS1_3repE0EEENS1_30default_config_static_selectorELNS0_4arch9wavefront6targetE0EEEvSK_: ; @_ZN7rocprim17ROCPRIM_400000_NS6detail17trampoline_kernelINS0_14default_configENS1_36segmented_radix_sort_config_selectorIblEEZNS1_25segmented_radix_sort_implIS3_Lb0EPKbPbPKlPlN2at6native12_GLOBAL__N_18offset_tEEE10hipError_tPvRmT1_PNSt15iterator_traitsISK_E10value_typeET2_T3_PNSL_ISQ_E10value_typeET4_jRbjT5_SW_jjP12ihipStream_tbEUlT_E2_NS1_11comp_targetILNS1_3genE3ELNS1_11target_archE908ELNS1_3gpuE7ELNS1_3repE0EEENS1_30default_config_static_selectorELNS0_4arch9wavefront6targetE0EEEvSK_
; %bb.0:
	.section	.rodata,"a",@progbits
	.p2align	6, 0x0
	.amdhsa_kernel _ZN7rocprim17ROCPRIM_400000_NS6detail17trampoline_kernelINS0_14default_configENS1_36segmented_radix_sort_config_selectorIblEEZNS1_25segmented_radix_sort_implIS3_Lb0EPKbPbPKlPlN2at6native12_GLOBAL__N_18offset_tEEE10hipError_tPvRmT1_PNSt15iterator_traitsISK_E10value_typeET2_T3_PNSL_ISQ_E10value_typeET4_jRbjT5_SW_jjP12ihipStream_tbEUlT_E2_NS1_11comp_targetILNS1_3genE3ELNS1_11target_archE908ELNS1_3gpuE7ELNS1_3repE0EEENS1_30default_config_static_selectorELNS0_4arch9wavefront6targetE0EEEvSK_
		.amdhsa_group_segment_fixed_size 0
		.amdhsa_private_segment_fixed_size 0
		.amdhsa_kernarg_size 80
		.amdhsa_user_sgpr_count 15
		.amdhsa_user_sgpr_dispatch_ptr 0
		.amdhsa_user_sgpr_queue_ptr 0
		.amdhsa_user_sgpr_kernarg_segment_ptr 1
		.amdhsa_user_sgpr_dispatch_id 0
		.amdhsa_user_sgpr_private_segment_size 0
		.amdhsa_wavefront_size32 1
		.amdhsa_uses_dynamic_stack 0
		.amdhsa_enable_private_segment 0
		.amdhsa_system_sgpr_workgroup_id_x 1
		.amdhsa_system_sgpr_workgroup_id_y 0
		.amdhsa_system_sgpr_workgroup_id_z 0
		.amdhsa_system_sgpr_workgroup_info 0
		.amdhsa_system_vgpr_workitem_id 0
		.amdhsa_next_free_vgpr 1
		.amdhsa_next_free_sgpr 1
		.amdhsa_reserve_vcc 0
		.amdhsa_float_round_mode_32 0
		.amdhsa_float_round_mode_16_64 0
		.amdhsa_float_denorm_mode_32 3
		.amdhsa_float_denorm_mode_16_64 3
		.amdhsa_dx10_clamp 1
		.amdhsa_ieee_mode 1
		.amdhsa_fp16_overflow 0
		.amdhsa_workgroup_processor_mode 1
		.amdhsa_memory_ordered 1
		.amdhsa_forward_progress 0
		.amdhsa_shared_vgpr_count 0
		.amdhsa_exception_fp_ieee_invalid_op 0
		.amdhsa_exception_fp_denorm_src 0
		.amdhsa_exception_fp_ieee_div_zero 0
		.amdhsa_exception_fp_ieee_overflow 0
		.amdhsa_exception_fp_ieee_underflow 0
		.amdhsa_exception_fp_ieee_inexact 0
		.amdhsa_exception_int_div_zero 0
	.end_amdhsa_kernel
	.section	.text._ZN7rocprim17ROCPRIM_400000_NS6detail17trampoline_kernelINS0_14default_configENS1_36segmented_radix_sort_config_selectorIblEEZNS1_25segmented_radix_sort_implIS3_Lb0EPKbPbPKlPlN2at6native12_GLOBAL__N_18offset_tEEE10hipError_tPvRmT1_PNSt15iterator_traitsISK_E10value_typeET2_T3_PNSL_ISQ_E10value_typeET4_jRbjT5_SW_jjP12ihipStream_tbEUlT_E2_NS1_11comp_targetILNS1_3genE3ELNS1_11target_archE908ELNS1_3gpuE7ELNS1_3repE0EEENS1_30default_config_static_selectorELNS0_4arch9wavefront6targetE0EEEvSK_,"axG",@progbits,_ZN7rocprim17ROCPRIM_400000_NS6detail17trampoline_kernelINS0_14default_configENS1_36segmented_radix_sort_config_selectorIblEEZNS1_25segmented_radix_sort_implIS3_Lb0EPKbPbPKlPlN2at6native12_GLOBAL__N_18offset_tEEE10hipError_tPvRmT1_PNSt15iterator_traitsISK_E10value_typeET2_T3_PNSL_ISQ_E10value_typeET4_jRbjT5_SW_jjP12ihipStream_tbEUlT_E2_NS1_11comp_targetILNS1_3genE3ELNS1_11target_archE908ELNS1_3gpuE7ELNS1_3repE0EEENS1_30default_config_static_selectorELNS0_4arch9wavefront6targetE0EEEvSK_,comdat
.Lfunc_end1668:
	.size	_ZN7rocprim17ROCPRIM_400000_NS6detail17trampoline_kernelINS0_14default_configENS1_36segmented_radix_sort_config_selectorIblEEZNS1_25segmented_radix_sort_implIS3_Lb0EPKbPbPKlPlN2at6native12_GLOBAL__N_18offset_tEEE10hipError_tPvRmT1_PNSt15iterator_traitsISK_E10value_typeET2_T3_PNSL_ISQ_E10value_typeET4_jRbjT5_SW_jjP12ihipStream_tbEUlT_E2_NS1_11comp_targetILNS1_3genE3ELNS1_11target_archE908ELNS1_3gpuE7ELNS1_3repE0EEENS1_30default_config_static_selectorELNS0_4arch9wavefront6targetE0EEEvSK_, .Lfunc_end1668-_ZN7rocprim17ROCPRIM_400000_NS6detail17trampoline_kernelINS0_14default_configENS1_36segmented_radix_sort_config_selectorIblEEZNS1_25segmented_radix_sort_implIS3_Lb0EPKbPbPKlPlN2at6native12_GLOBAL__N_18offset_tEEE10hipError_tPvRmT1_PNSt15iterator_traitsISK_E10value_typeET2_T3_PNSL_ISQ_E10value_typeET4_jRbjT5_SW_jjP12ihipStream_tbEUlT_E2_NS1_11comp_targetILNS1_3genE3ELNS1_11target_archE908ELNS1_3gpuE7ELNS1_3repE0EEENS1_30default_config_static_selectorELNS0_4arch9wavefront6targetE0EEEvSK_
                                        ; -- End function
	.section	.AMDGPU.csdata,"",@progbits
; Kernel info:
; codeLenInByte = 0
; NumSgprs: 0
; NumVgprs: 0
; ScratchSize: 0
; MemoryBound: 0
; FloatMode: 240
; IeeeMode: 1
; LDSByteSize: 0 bytes/workgroup (compile time only)
; SGPRBlocks: 0
; VGPRBlocks: 0
; NumSGPRsForWavesPerEU: 1
; NumVGPRsForWavesPerEU: 1
; Occupancy: 16
; WaveLimiterHint : 0
; COMPUTE_PGM_RSRC2:SCRATCH_EN: 0
; COMPUTE_PGM_RSRC2:USER_SGPR: 15
; COMPUTE_PGM_RSRC2:TRAP_HANDLER: 0
; COMPUTE_PGM_RSRC2:TGID_X_EN: 1
; COMPUTE_PGM_RSRC2:TGID_Y_EN: 0
; COMPUTE_PGM_RSRC2:TGID_Z_EN: 0
; COMPUTE_PGM_RSRC2:TIDIG_COMP_CNT: 0
	.section	.text._ZN7rocprim17ROCPRIM_400000_NS6detail17trampoline_kernelINS0_14default_configENS1_36segmented_radix_sort_config_selectorIblEEZNS1_25segmented_radix_sort_implIS3_Lb0EPKbPbPKlPlN2at6native12_GLOBAL__N_18offset_tEEE10hipError_tPvRmT1_PNSt15iterator_traitsISK_E10value_typeET2_T3_PNSL_ISQ_E10value_typeET4_jRbjT5_SW_jjP12ihipStream_tbEUlT_E2_NS1_11comp_targetILNS1_3genE2ELNS1_11target_archE906ELNS1_3gpuE6ELNS1_3repE0EEENS1_30default_config_static_selectorELNS0_4arch9wavefront6targetE0EEEvSK_,"axG",@progbits,_ZN7rocprim17ROCPRIM_400000_NS6detail17trampoline_kernelINS0_14default_configENS1_36segmented_radix_sort_config_selectorIblEEZNS1_25segmented_radix_sort_implIS3_Lb0EPKbPbPKlPlN2at6native12_GLOBAL__N_18offset_tEEE10hipError_tPvRmT1_PNSt15iterator_traitsISK_E10value_typeET2_T3_PNSL_ISQ_E10value_typeET4_jRbjT5_SW_jjP12ihipStream_tbEUlT_E2_NS1_11comp_targetILNS1_3genE2ELNS1_11target_archE906ELNS1_3gpuE6ELNS1_3repE0EEENS1_30default_config_static_selectorELNS0_4arch9wavefront6targetE0EEEvSK_,comdat
	.globl	_ZN7rocprim17ROCPRIM_400000_NS6detail17trampoline_kernelINS0_14default_configENS1_36segmented_radix_sort_config_selectorIblEEZNS1_25segmented_radix_sort_implIS3_Lb0EPKbPbPKlPlN2at6native12_GLOBAL__N_18offset_tEEE10hipError_tPvRmT1_PNSt15iterator_traitsISK_E10value_typeET2_T3_PNSL_ISQ_E10value_typeET4_jRbjT5_SW_jjP12ihipStream_tbEUlT_E2_NS1_11comp_targetILNS1_3genE2ELNS1_11target_archE906ELNS1_3gpuE6ELNS1_3repE0EEENS1_30default_config_static_selectorELNS0_4arch9wavefront6targetE0EEEvSK_ ; -- Begin function _ZN7rocprim17ROCPRIM_400000_NS6detail17trampoline_kernelINS0_14default_configENS1_36segmented_radix_sort_config_selectorIblEEZNS1_25segmented_radix_sort_implIS3_Lb0EPKbPbPKlPlN2at6native12_GLOBAL__N_18offset_tEEE10hipError_tPvRmT1_PNSt15iterator_traitsISK_E10value_typeET2_T3_PNSL_ISQ_E10value_typeET4_jRbjT5_SW_jjP12ihipStream_tbEUlT_E2_NS1_11comp_targetILNS1_3genE2ELNS1_11target_archE906ELNS1_3gpuE6ELNS1_3repE0EEENS1_30default_config_static_selectorELNS0_4arch9wavefront6targetE0EEEvSK_
	.p2align	8
	.type	_ZN7rocprim17ROCPRIM_400000_NS6detail17trampoline_kernelINS0_14default_configENS1_36segmented_radix_sort_config_selectorIblEEZNS1_25segmented_radix_sort_implIS3_Lb0EPKbPbPKlPlN2at6native12_GLOBAL__N_18offset_tEEE10hipError_tPvRmT1_PNSt15iterator_traitsISK_E10value_typeET2_T3_PNSL_ISQ_E10value_typeET4_jRbjT5_SW_jjP12ihipStream_tbEUlT_E2_NS1_11comp_targetILNS1_3genE2ELNS1_11target_archE906ELNS1_3gpuE6ELNS1_3repE0EEENS1_30default_config_static_selectorELNS0_4arch9wavefront6targetE0EEEvSK_,@function
_ZN7rocprim17ROCPRIM_400000_NS6detail17trampoline_kernelINS0_14default_configENS1_36segmented_radix_sort_config_selectorIblEEZNS1_25segmented_radix_sort_implIS3_Lb0EPKbPbPKlPlN2at6native12_GLOBAL__N_18offset_tEEE10hipError_tPvRmT1_PNSt15iterator_traitsISK_E10value_typeET2_T3_PNSL_ISQ_E10value_typeET4_jRbjT5_SW_jjP12ihipStream_tbEUlT_E2_NS1_11comp_targetILNS1_3genE2ELNS1_11target_archE906ELNS1_3gpuE6ELNS1_3repE0EEENS1_30default_config_static_selectorELNS0_4arch9wavefront6targetE0EEEvSK_: ; @_ZN7rocprim17ROCPRIM_400000_NS6detail17trampoline_kernelINS0_14default_configENS1_36segmented_radix_sort_config_selectorIblEEZNS1_25segmented_radix_sort_implIS3_Lb0EPKbPbPKlPlN2at6native12_GLOBAL__N_18offset_tEEE10hipError_tPvRmT1_PNSt15iterator_traitsISK_E10value_typeET2_T3_PNSL_ISQ_E10value_typeET4_jRbjT5_SW_jjP12ihipStream_tbEUlT_E2_NS1_11comp_targetILNS1_3genE2ELNS1_11target_archE906ELNS1_3gpuE6ELNS1_3repE0EEENS1_30default_config_static_selectorELNS0_4arch9wavefront6targetE0EEEvSK_
; %bb.0:
	.section	.rodata,"a",@progbits
	.p2align	6, 0x0
	.amdhsa_kernel _ZN7rocprim17ROCPRIM_400000_NS6detail17trampoline_kernelINS0_14default_configENS1_36segmented_radix_sort_config_selectorIblEEZNS1_25segmented_radix_sort_implIS3_Lb0EPKbPbPKlPlN2at6native12_GLOBAL__N_18offset_tEEE10hipError_tPvRmT1_PNSt15iterator_traitsISK_E10value_typeET2_T3_PNSL_ISQ_E10value_typeET4_jRbjT5_SW_jjP12ihipStream_tbEUlT_E2_NS1_11comp_targetILNS1_3genE2ELNS1_11target_archE906ELNS1_3gpuE6ELNS1_3repE0EEENS1_30default_config_static_selectorELNS0_4arch9wavefront6targetE0EEEvSK_
		.amdhsa_group_segment_fixed_size 0
		.amdhsa_private_segment_fixed_size 0
		.amdhsa_kernarg_size 80
		.amdhsa_user_sgpr_count 15
		.amdhsa_user_sgpr_dispatch_ptr 0
		.amdhsa_user_sgpr_queue_ptr 0
		.amdhsa_user_sgpr_kernarg_segment_ptr 1
		.amdhsa_user_sgpr_dispatch_id 0
		.amdhsa_user_sgpr_private_segment_size 0
		.amdhsa_wavefront_size32 1
		.amdhsa_uses_dynamic_stack 0
		.amdhsa_enable_private_segment 0
		.amdhsa_system_sgpr_workgroup_id_x 1
		.amdhsa_system_sgpr_workgroup_id_y 0
		.amdhsa_system_sgpr_workgroup_id_z 0
		.amdhsa_system_sgpr_workgroup_info 0
		.amdhsa_system_vgpr_workitem_id 0
		.amdhsa_next_free_vgpr 1
		.amdhsa_next_free_sgpr 1
		.amdhsa_reserve_vcc 0
		.amdhsa_float_round_mode_32 0
		.amdhsa_float_round_mode_16_64 0
		.amdhsa_float_denorm_mode_32 3
		.amdhsa_float_denorm_mode_16_64 3
		.amdhsa_dx10_clamp 1
		.amdhsa_ieee_mode 1
		.amdhsa_fp16_overflow 0
		.amdhsa_workgroup_processor_mode 1
		.amdhsa_memory_ordered 1
		.amdhsa_forward_progress 0
		.amdhsa_shared_vgpr_count 0
		.amdhsa_exception_fp_ieee_invalid_op 0
		.amdhsa_exception_fp_denorm_src 0
		.amdhsa_exception_fp_ieee_div_zero 0
		.amdhsa_exception_fp_ieee_overflow 0
		.amdhsa_exception_fp_ieee_underflow 0
		.amdhsa_exception_fp_ieee_inexact 0
		.amdhsa_exception_int_div_zero 0
	.end_amdhsa_kernel
	.section	.text._ZN7rocprim17ROCPRIM_400000_NS6detail17trampoline_kernelINS0_14default_configENS1_36segmented_radix_sort_config_selectorIblEEZNS1_25segmented_radix_sort_implIS3_Lb0EPKbPbPKlPlN2at6native12_GLOBAL__N_18offset_tEEE10hipError_tPvRmT1_PNSt15iterator_traitsISK_E10value_typeET2_T3_PNSL_ISQ_E10value_typeET4_jRbjT5_SW_jjP12ihipStream_tbEUlT_E2_NS1_11comp_targetILNS1_3genE2ELNS1_11target_archE906ELNS1_3gpuE6ELNS1_3repE0EEENS1_30default_config_static_selectorELNS0_4arch9wavefront6targetE0EEEvSK_,"axG",@progbits,_ZN7rocprim17ROCPRIM_400000_NS6detail17trampoline_kernelINS0_14default_configENS1_36segmented_radix_sort_config_selectorIblEEZNS1_25segmented_radix_sort_implIS3_Lb0EPKbPbPKlPlN2at6native12_GLOBAL__N_18offset_tEEE10hipError_tPvRmT1_PNSt15iterator_traitsISK_E10value_typeET2_T3_PNSL_ISQ_E10value_typeET4_jRbjT5_SW_jjP12ihipStream_tbEUlT_E2_NS1_11comp_targetILNS1_3genE2ELNS1_11target_archE906ELNS1_3gpuE6ELNS1_3repE0EEENS1_30default_config_static_selectorELNS0_4arch9wavefront6targetE0EEEvSK_,comdat
.Lfunc_end1669:
	.size	_ZN7rocprim17ROCPRIM_400000_NS6detail17trampoline_kernelINS0_14default_configENS1_36segmented_radix_sort_config_selectorIblEEZNS1_25segmented_radix_sort_implIS3_Lb0EPKbPbPKlPlN2at6native12_GLOBAL__N_18offset_tEEE10hipError_tPvRmT1_PNSt15iterator_traitsISK_E10value_typeET2_T3_PNSL_ISQ_E10value_typeET4_jRbjT5_SW_jjP12ihipStream_tbEUlT_E2_NS1_11comp_targetILNS1_3genE2ELNS1_11target_archE906ELNS1_3gpuE6ELNS1_3repE0EEENS1_30default_config_static_selectorELNS0_4arch9wavefront6targetE0EEEvSK_, .Lfunc_end1669-_ZN7rocprim17ROCPRIM_400000_NS6detail17trampoline_kernelINS0_14default_configENS1_36segmented_radix_sort_config_selectorIblEEZNS1_25segmented_radix_sort_implIS3_Lb0EPKbPbPKlPlN2at6native12_GLOBAL__N_18offset_tEEE10hipError_tPvRmT1_PNSt15iterator_traitsISK_E10value_typeET2_T3_PNSL_ISQ_E10value_typeET4_jRbjT5_SW_jjP12ihipStream_tbEUlT_E2_NS1_11comp_targetILNS1_3genE2ELNS1_11target_archE906ELNS1_3gpuE6ELNS1_3repE0EEENS1_30default_config_static_selectorELNS0_4arch9wavefront6targetE0EEEvSK_
                                        ; -- End function
	.section	.AMDGPU.csdata,"",@progbits
; Kernel info:
; codeLenInByte = 0
; NumSgprs: 0
; NumVgprs: 0
; ScratchSize: 0
; MemoryBound: 0
; FloatMode: 240
; IeeeMode: 1
; LDSByteSize: 0 bytes/workgroup (compile time only)
; SGPRBlocks: 0
; VGPRBlocks: 0
; NumSGPRsForWavesPerEU: 1
; NumVGPRsForWavesPerEU: 1
; Occupancy: 16
; WaveLimiterHint : 0
; COMPUTE_PGM_RSRC2:SCRATCH_EN: 0
; COMPUTE_PGM_RSRC2:USER_SGPR: 15
; COMPUTE_PGM_RSRC2:TRAP_HANDLER: 0
; COMPUTE_PGM_RSRC2:TGID_X_EN: 1
; COMPUTE_PGM_RSRC2:TGID_Y_EN: 0
; COMPUTE_PGM_RSRC2:TGID_Z_EN: 0
; COMPUTE_PGM_RSRC2:TIDIG_COMP_CNT: 0
	.section	.text._ZN7rocprim17ROCPRIM_400000_NS6detail17trampoline_kernelINS0_14default_configENS1_36segmented_radix_sort_config_selectorIblEEZNS1_25segmented_radix_sort_implIS3_Lb0EPKbPbPKlPlN2at6native12_GLOBAL__N_18offset_tEEE10hipError_tPvRmT1_PNSt15iterator_traitsISK_E10value_typeET2_T3_PNSL_ISQ_E10value_typeET4_jRbjT5_SW_jjP12ihipStream_tbEUlT_E2_NS1_11comp_targetILNS1_3genE10ELNS1_11target_archE1201ELNS1_3gpuE5ELNS1_3repE0EEENS1_30default_config_static_selectorELNS0_4arch9wavefront6targetE0EEEvSK_,"axG",@progbits,_ZN7rocprim17ROCPRIM_400000_NS6detail17trampoline_kernelINS0_14default_configENS1_36segmented_radix_sort_config_selectorIblEEZNS1_25segmented_radix_sort_implIS3_Lb0EPKbPbPKlPlN2at6native12_GLOBAL__N_18offset_tEEE10hipError_tPvRmT1_PNSt15iterator_traitsISK_E10value_typeET2_T3_PNSL_ISQ_E10value_typeET4_jRbjT5_SW_jjP12ihipStream_tbEUlT_E2_NS1_11comp_targetILNS1_3genE10ELNS1_11target_archE1201ELNS1_3gpuE5ELNS1_3repE0EEENS1_30default_config_static_selectorELNS0_4arch9wavefront6targetE0EEEvSK_,comdat
	.globl	_ZN7rocprim17ROCPRIM_400000_NS6detail17trampoline_kernelINS0_14default_configENS1_36segmented_radix_sort_config_selectorIblEEZNS1_25segmented_radix_sort_implIS3_Lb0EPKbPbPKlPlN2at6native12_GLOBAL__N_18offset_tEEE10hipError_tPvRmT1_PNSt15iterator_traitsISK_E10value_typeET2_T3_PNSL_ISQ_E10value_typeET4_jRbjT5_SW_jjP12ihipStream_tbEUlT_E2_NS1_11comp_targetILNS1_3genE10ELNS1_11target_archE1201ELNS1_3gpuE5ELNS1_3repE0EEENS1_30default_config_static_selectorELNS0_4arch9wavefront6targetE0EEEvSK_ ; -- Begin function _ZN7rocprim17ROCPRIM_400000_NS6detail17trampoline_kernelINS0_14default_configENS1_36segmented_radix_sort_config_selectorIblEEZNS1_25segmented_radix_sort_implIS3_Lb0EPKbPbPKlPlN2at6native12_GLOBAL__N_18offset_tEEE10hipError_tPvRmT1_PNSt15iterator_traitsISK_E10value_typeET2_T3_PNSL_ISQ_E10value_typeET4_jRbjT5_SW_jjP12ihipStream_tbEUlT_E2_NS1_11comp_targetILNS1_3genE10ELNS1_11target_archE1201ELNS1_3gpuE5ELNS1_3repE0EEENS1_30default_config_static_selectorELNS0_4arch9wavefront6targetE0EEEvSK_
	.p2align	8
	.type	_ZN7rocprim17ROCPRIM_400000_NS6detail17trampoline_kernelINS0_14default_configENS1_36segmented_radix_sort_config_selectorIblEEZNS1_25segmented_radix_sort_implIS3_Lb0EPKbPbPKlPlN2at6native12_GLOBAL__N_18offset_tEEE10hipError_tPvRmT1_PNSt15iterator_traitsISK_E10value_typeET2_T3_PNSL_ISQ_E10value_typeET4_jRbjT5_SW_jjP12ihipStream_tbEUlT_E2_NS1_11comp_targetILNS1_3genE10ELNS1_11target_archE1201ELNS1_3gpuE5ELNS1_3repE0EEENS1_30default_config_static_selectorELNS0_4arch9wavefront6targetE0EEEvSK_,@function
_ZN7rocprim17ROCPRIM_400000_NS6detail17trampoline_kernelINS0_14default_configENS1_36segmented_radix_sort_config_selectorIblEEZNS1_25segmented_radix_sort_implIS3_Lb0EPKbPbPKlPlN2at6native12_GLOBAL__N_18offset_tEEE10hipError_tPvRmT1_PNSt15iterator_traitsISK_E10value_typeET2_T3_PNSL_ISQ_E10value_typeET4_jRbjT5_SW_jjP12ihipStream_tbEUlT_E2_NS1_11comp_targetILNS1_3genE10ELNS1_11target_archE1201ELNS1_3gpuE5ELNS1_3repE0EEENS1_30default_config_static_selectorELNS0_4arch9wavefront6targetE0EEEvSK_: ; @_ZN7rocprim17ROCPRIM_400000_NS6detail17trampoline_kernelINS0_14default_configENS1_36segmented_radix_sort_config_selectorIblEEZNS1_25segmented_radix_sort_implIS3_Lb0EPKbPbPKlPlN2at6native12_GLOBAL__N_18offset_tEEE10hipError_tPvRmT1_PNSt15iterator_traitsISK_E10value_typeET2_T3_PNSL_ISQ_E10value_typeET4_jRbjT5_SW_jjP12ihipStream_tbEUlT_E2_NS1_11comp_targetILNS1_3genE10ELNS1_11target_archE1201ELNS1_3gpuE5ELNS1_3repE0EEENS1_30default_config_static_selectorELNS0_4arch9wavefront6targetE0EEEvSK_
; %bb.0:
	.section	.rodata,"a",@progbits
	.p2align	6, 0x0
	.amdhsa_kernel _ZN7rocprim17ROCPRIM_400000_NS6detail17trampoline_kernelINS0_14default_configENS1_36segmented_radix_sort_config_selectorIblEEZNS1_25segmented_radix_sort_implIS3_Lb0EPKbPbPKlPlN2at6native12_GLOBAL__N_18offset_tEEE10hipError_tPvRmT1_PNSt15iterator_traitsISK_E10value_typeET2_T3_PNSL_ISQ_E10value_typeET4_jRbjT5_SW_jjP12ihipStream_tbEUlT_E2_NS1_11comp_targetILNS1_3genE10ELNS1_11target_archE1201ELNS1_3gpuE5ELNS1_3repE0EEENS1_30default_config_static_selectorELNS0_4arch9wavefront6targetE0EEEvSK_
		.amdhsa_group_segment_fixed_size 0
		.amdhsa_private_segment_fixed_size 0
		.amdhsa_kernarg_size 80
		.amdhsa_user_sgpr_count 15
		.amdhsa_user_sgpr_dispatch_ptr 0
		.amdhsa_user_sgpr_queue_ptr 0
		.amdhsa_user_sgpr_kernarg_segment_ptr 1
		.amdhsa_user_sgpr_dispatch_id 0
		.amdhsa_user_sgpr_private_segment_size 0
		.amdhsa_wavefront_size32 1
		.amdhsa_uses_dynamic_stack 0
		.amdhsa_enable_private_segment 0
		.amdhsa_system_sgpr_workgroup_id_x 1
		.amdhsa_system_sgpr_workgroup_id_y 0
		.amdhsa_system_sgpr_workgroup_id_z 0
		.amdhsa_system_sgpr_workgroup_info 0
		.amdhsa_system_vgpr_workitem_id 0
		.amdhsa_next_free_vgpr 1
		.amdhsa_next_free_sgpr 1
		.amdhsa_reserve_vcc 0
		.amdhsa_float_round_mode_32 0
		.amdhsa_float_round_mode_16_64 0
		.amdhsa_float_denorm_mode_32 3
		.amdhsa_float_denorm_mode_16_64 3
		.amdhsa_dx10_clamp 1
		.amdhsa_ieee_mode 1
		.amdhsa_fp16_overflow 0
		.amdhsa_workgroup_processor_mode 1
		.amdhsa_memory_ordered 1
		.amdhsa_forward_progress 0
		.amdhsa_shared_vgpr_count 0
		.amdhsa_exception_fp_ieee_invalid_op 0
		.amdhsa_exception_fp_denorm_src 0
		.amdhsa_exception_fp_ieee_div_zero 0
		.amdhsa_exception_fp_ieee_overflow 0
		.amdhsa_exception_fp_ieee_underflow 0
		.amdhsa_exception_fp_ieee_inexact 0
		.amdhsa_exception_int_div_zero 0
	.end_amdhsa_kernel
	.section	.text._ZN7rocprim17ROCPRIM_400000_NS6detail17trampoline_kernelINS0_14default_configENS1_36segmented_radix_sort_config_selectorIblEEZNS1_25segmented_radix_sort_implIS3_Lb0EPKbPbPKlPlN2at6native12_GLOBAL__N_18offset_tEEE10hipError_tPvRmT1_PNSt15iterator_traitsISK_E10value_typeET2_T3_PNSL_ISQ_E10value_typeET4_jRbjT5_SW_jjP12ihipStream_tbEUlT_E2_NS1_11comp_targetILNS1_3genE10ELNS1_11target_archE1201ELNS1_3gpuE5ELNS1_3repE0EEENS1_30default_config_static_selectorELNS0_4arch9wavefront6targetE0EEEvSK_,"axG",@progbits,_ZN7rocprim17ROCPRIM_400000_NS6detail17trampoline_kernelINS0_14default_configENS1_36segmented_radix_sort_config_selectorIblEEZNS1_25segmented_radix_sort_implIS3_Lb0EPKbPbPKlPlN2at6native12_GLOBAL__N_18offset_tEEE10hipError_tPvRmT1_PNSt15iterator_traitsISK_E10value_typeET2_T3_PNSL_ISQ_E10value_typeET4_jRbjT5_SW_jjP12ihipStream_tbEUlT_E2_NS1_11comp_targetILNS1_3genE10ELNS1_11target_archE1201ELNS1_3gpuE5ELNS1_3repE0EEENS1_30default_config_static_selectorELNS0_4arch9wavefront6targetE0EEEvSK_,comdat
.Lfunc_end1670:
	.size	_ZN7rocprim17ROCPRIM_400000_NS6detail17trampoline_kernelINS0_14default_configENS1_36segmented_radix_sort_config_selectorIblEEZNS1_25segmented_radix_sort_implIS3_Lb0EPKbPbPKlPlN2at6native12_GLOBAL__N_18offset_tEEE10hipError_tPvRmT1_PNSt15iterator_traitsISK_E10value_typeET2_T3_PNSL_ISQ_E10value_typeET4_jRbjT5_SW_jjP12ihipStream_tbEUlT_E2_NS1_11comp_targetILNS1_3genE10ELNS1_11target_archE1201ELNS1_3gpuE5ELNS1_3repE0EEENS1_30default_config_static_selectorELNS0_4arch9wavefront6targetE0EEEvSK_, .Lfunc_end1670-_ZN7rocprim17ROCPRIM_400000_NS6detail17trampoline_kernelINS0_14default_configENS1_36segmented_radix_sort_config_selectorIblEEZNS1_25segmented_radix_sort_implIS3_Lb0EPKbPbPKlPlN2at6native12_GLOBAL__N_18offset_tEEE10hipError_tPvRmT1_PNSt15iterator_traitsISK_E10value_typeET2_T3_PNSL_ISQ_E10value_typeET4_jRbjT5_SW_jjP12ihipStream_tbEUlT_E2_NS1_11comp_targetILNS1_3genE10ELNS1_11target_archE1201ELNS1_3gpuE5ELNS1_3repE0EEENS1_30default_config_static_selectorELNS0_4arch9wavefront6targetE0EEEvSK_
                                        ; -- End function
	.section	.AMDGPU.csdata,"",@progbits
; Kernel info:
; codeLenInByte = 0
; NumSgprs: 0
; NumVgprs: 0
; ScratchSize: 0
; MemoryBound: 0
; FloatMode: 240
; IeeeMode: 1
; LDSByteSize: 0 bytes/workgroup (compile time only)
; SGPRBlocks: 0
; VGPRBlocks: 0
; NumSGPRsForWavesPerEU: 1
; NumVGPRsForWavesPerEU: 1
; Occupancy: 16
; WaveLimiterHint : 0
; COMPUTE_PGM_RSRC2:SCRATCH_EN: 0
; COMPUTE_PGM_RSRC2:USER_SGPR: 15
; COMPUTE_PGM_RSRC2:TRAP_HANDLER: 0
; COMPUTE_PGM_RSRC2:TGID_X_EN: 1
; COMPUTE_PGM_RSRC2:TGID_Y_EN: 0
; COMPUTE_PGM_RSRC2:TGID_Z_EN: 0
; COMPUTE_PGM_RSRC2:TIDIG_COMP_CNT: 0
	.section	.text._ZN7rocprim17ROCPRIM_400000_NS6detail17trampoline_kernelINS0_14default_configENS1_36segmented_radix_sort_config_selectorIblEEZNS1_25segmented_radix_sort_implIS3_Lb0EPKbPbPKlPlN2at6native12_GLOBAL__N_18offset_tEEE10hipError_tPvRmT1_PNSt15iterator_traitsISK_E10value_typeET2_T3_PNSL_ISQ_E10value_typeET4_jRbjT5_SW_jjP12ihipStream_tbEUlT_E2_NS1_11comp_targetILNS1_3genE10ELNS1_11target_archE1200ELNS1_3gpuE4ELNS1_3repE0EEENS1_30default_config_static_selectorELNS0_4arch9wavefront6targetE0EEEvSK_,"axG",@progbits,_ZN7rocprim17ROCPRIM_400000_NS6detail17trampoline_kernelINS0_14default_configENS1_36segmented_radix_sort_config_selectorIblEEZNS1_25segmented_radix_sort_implIS3_Lb0EPKbPbPKlPlN2at6native12_GLOBAL__N_18offset_tEEE10hipError_tPvRmT1_PNSt15iterator_traitsISK_E10value_typeET2_T3_PNSL_ISQ_E10value_typeET4_jRbjT5_SW_jjP12ihipStream_tbEUlT_E2_NS1_11comp_targetILNS1_3genE10ELNS1_11target_archE1200ELNS1_3gpuE4ELNS1_3repE0EEENS1_30default_config_static_selectorELNS0_4arch9wavefront6targetE0EEEvSK_,comdat
	.globl	_ZN7rocprim17ROCPRIM_400000_NS6detail17trampoline_kernelINS0_14default_configENS1_36segmented_radix_sort_config_selectorIblEEZNS1_25segmented_radix_sort_implIS3_Lb0EPKbPbPKlPlN2at6native12_GLOBAL__N_18offset_tEEE10hipError_tPvRmT1_PNSt15iterator_traitsISK_E10value_typeET2_T3_PNSL_ISQ_E10value_typeET4_jRbjT5_SW_jjP12ihipStream_tbEUlT_E2_NS1_11comp_targetILNS1_3genE10ELNS1_11target_archE1200ELNS1_3gpuE4ELNS1_3repE0EEENS1_30default_config_static_selectorELNS0_4arch9wavefront6targetE0EEEvSK_ ; -- Begin function _ZN7rocprim17ROCPRIM_400000_NS6detail17trampoline_kernelINS0_14default_configENS1_36segmented_radix_sort_config_selectorIblEEZNS1_25segmented_radix_sort_implIS3_Lb0EPKbPbPKlPlN2at6native12_GLOBAL__N_18offset_tEEE10hipError_tPvRmT1_PNSt15iterator_traitsISK_E10value_typeET2_T3_PNSL_ISQ_E10value_typeET4_jRbjT5_SW_jjP12ihipStream_tbEUlT_E2_NS1_11comp_targetILNS1_3genE10ELNS1_11target_archE1200ELNS1_3gpuE4ELNS1_3repE0EEENS1_30default_config_static_selectorELNS0_4arch9wavefront6targetE0EEEvSK_
	.p2align	8
	.type	_ZN7rocprim17ROCPRIM_400000_NS6detail17trampoline_kernelINS0_14default_configENS1_36segmented_radix_sort_config_selectorIblEEZNS1_25segmented_radix_sort_implIS3_Lb0EPKbPbPKlPlN2at6native12_GLOBAL__N_18offset_tEEE10hipError_tPvRmT1_PNSt15iterator_traitsISK_E10value_typeET2_T3_PNSL_ISQ_E10value_typeET4_jRbjT5_SW_jjP12ihipStream_tbEUlT_E2_NS1_11comp_targetILNS1_3genE10ELNS1_11target_archE1200ELNS1_3gpuE4ELNS1_3repE0EEENS1_30default_config_static_selectorELNS0_4arch9wavefront6targetE0EEEvSK_,@function
_ZN7rocprim17ROCPRIM_400000_NS6detail17trampoline_kernelINS0_14default_configENS1_36segmented_radix_sort_config_selectorIblEEZNS1_25segmented_radix_sort_implIS3_Lb0EPKbPbPKlPlN2at6native12_GLOBAL__N_18offset_tEEE10hipError_tPvRmT1_PNSt15iterator_traitsISK_E10value_typeET2_T3_PNSL_ISQ_E10value_typeET4_jRbjT5_SW_jjP12ihipStream_tbEUlT_E2_NS1_11comp_targetILNS1_3genE10ELNS1_11target_archE1200ELNS1_3gpuE4ELNS1_3repE0EEENS1_30default_config_static_selectorELNS0_4arch9wavefront6targetE0EEEvSK_: ; @_ZN7rocprim17ROCPRIM_400000_NS6detail17trampoline_kernelINS0_14default_configENS1_36segmented_radix_sort_config_selectorIblEEZNS1_25segmented_radix_sort_implIS3_Lb0EPKbPbPKlPlN2at6native12_GLOBAL__N_18offset_tEEE10hipError_tPvRmT1_PNSt15iterator_traitsISK_E10value_typeET2_T3_PNSL_ISQ_E10value_typeET4_jRbjT5_SW_jjP12ihipStream_tbEUlT_E2_NS1_11comp_targetILNS1_3genE10ELNS1_11target_archE1200ELNS1_3gpuE4ELNS1_3repE0EEENS1_30default_config_static_selectorELNS0_4arch9wavefront6targetE0EEEvSK_
; %bb.0:
	.section	.rodata,"a",@progbits
	.p2align	6, 0x0
	.amdhsa_kernel _ZN7rocprim17ROCPRIM_400000_NS6detail17trampoline_kernelINS0_14default_configENS1_36segmented_radix_sort_config_selectorIblEEZNS1_25segmented_radix_sort_implIS3_Lb0EPKbPbPKlPlN2at6native12_GLOBAL__N_18offset_tEEE10hipError_tPvRmT1_PNSt15iterator_traitsISK_E10value_typeET2_T3_PNSL_ISQ_E10value_typeET4_jRbjT5_SW_jjP12ihipStream_tbEUlT_E2_NS1_11comp_targetILNS1_3genE10ELNS1_11target_archE1200ELNS1_3gpuE4ELNS1_3repE0EEENS1_30default_config_static_selectorELNS0_4arch9wavefront6targetE0EEEvSK_
		.amdhsa_group_segment_fixed_size 0
		.amdhsa_private_segment_fixed_size 0
		.amdhsa_kernarg_size 80
		.amdhsa_user_sgpr_count 15
		.amdhsa_user_sgpr_dispatch_ptr 0
		.amdhsa_user_sgpr_queue_ptr 0
		.amdhsa_user_sgpr_kernarg_segment_ptr 1
		.amdhsa_user_sgpr_dispatch_id 0
		.amdhsa_user_sgpr_private_segment_size 0
		.amdhsa_wavefront_size32 1
		.amdhsa_uses_dynamic_stack 0
		.amdhsa_enable_private_segment 0
		.amdhsa_system_sgpr_workgroup_id_x 1
		.amdhsa_system_sgpr_workgroup_id_y 0
		.amdhsa_system_sgpr_workgroup_id_z 0
		.amdhsa_system_sgpr_workgroup_info 0
		.amdhsa_system_vgpr_workitem_id 0
		.amdhsa_next_free_vgpr 1
		.amdhsa_next_free_sgpr 1
		.amdhsa_reserve_vcc 0
		.amdhsa_float_round_mode_32 0
		.amdhsa_float_round_mode_16_64 0
		.amdhsa_float_denorm_mode_32 3
		.amdhsa_float_denorm_mode_16_64 3
		.amdhsa_dx10_clamp 1
		.amdhsa_ieee_mode 1
		.amdhsa_fp16_overflow 0
		.amdhsa_workgroup_processor_mode 1
		.amdhsa_memory_ordered 1
		.amdhsa_forward_progress 0
		.amdhsa_shared_vgpr_count 0
		.amdhsa_exception_fp_ieee_invalid_op 0
		.amdhsa_exception_fp_denorm_src 0
		.amdhsa_exception_fp_ieee_div_zero 0
		.amdhsa_exception_fp_ieee_overflow 0
		.amdhsa_exception_fp_ieee_underflow 0
		.amdhsa_exception_fp_ieee_inexact 0
		.amdhsa_exception_int_div_zero 0
	.end_amdhsa_kernel
	.section	.text._ZN7rocprim17ROCPRIM_400000_NS6detail17trampoline_kernelINS0_14default_configENS1_36segmented_radix_sort_config_selectorIblEEZNS1_25segmented_radix_sort_implIS3_Lb0EPKbPbPKlPlN2at6native12_GLOBAL__N_18offset_tEEE10hipError_tPvRmT1_PNSt15iterator_traitsISK_E10value_typeET2_T3_PNSL_ISQ_E10value_typeET4_jRbjT5_SW_jjP12ihipStream_tbEUlT_E2_NS1_11comp_targetILNS1_3genE10ELNS1_11target_archE1200ELNS1_3gpuE4ELNS1_3repE0EEENS1_30default_config_static_selectorELNS0_4arch9wavefront6targetE0EEEvSK_,"axG",@progbits,_ZN7rocprim17ROCPRIM_400000_NS6detail17trampoline_kernelINS0_14default_configENS1_36segmented_radix_sort_config_selectorIblEEZNS1_25segmented_radix_sort_implIS3_Lb0EPKbPbPKlPlN2at6native12_GLOBAL__N_18offset_tEEE10hipError_tPvRmT1_PNSt15iterator_traitsISK_E10value_typeET2_T3_PNSL_ISQ_E10value_typeET4_jRbjT5_SW_jjP12ihipStream_tbEUlT_E2_NS1_11comp_targetILNS1_3genE10ELNS1_11target_archE1200ELNS1_3gpuE4ELNS1_3repE0EEENS1_30default_config_static_selectorELNS0_4arch9wavefront6targetE0EEEvSK_,comdat
.Lfunc_end1671:
	.size	_ZN7rocprim17ROCPRIM_400000_NS6detail17trampoline_kernelINS0_14default_configENS1_36segmented_radix_sort_config_selectorIblEEZNS1_25segmented_radix_sort_implIS3_Lb0EPKbPbPKlPlN2at6native12_GLOBAL__N_18offset_tEEE10hipError_tPvRmT1_PNSt15iterator_traitsISK_E10value_typeET2_T3_PNSL_ISQ_E10value_typeET4_jRbjT5_SW_jjP12ihipStream_tbEUlT_E2_NS1_11comp_targetILNS1_3genE10ELNS1_11target_archE1200ELNS1_3gpuE4ELNS1_3repE0EEENS1_30default_config_static_selectorELNS0_4arch9wavefront6targetE0EEEvSK_, .Lfunc_end1671-_ZN7rocprim17ROCPRIM_400000_NS6detail17trampoline_kernelINS0_14default_configENS1_36segmented_radix_sort_config_selectorIblEEZNS1_25segmented_radix_sort_implIS3_Lb0EPKbPbPKlPlN2at6native12_GLOBAL__N_18offset_tEEE10hipError_tPvRmT1_PNSt15iterator_traitsISK_E10value_typeET2_T3_PNSL_ISQ_E10value_typeET4_jRbjT5_SW_jjP12ihipStream_tbEUlT_E2_NS1_11comp_targetILNS1_3genE10ELNS1_11target_archE1200ELNS1_3gpuE4ELNS1_3repE0EEENS1_30default_config_static_selectorELNS0_4arch9wavefront6targetE0EEEvSK_
                                        ; -- End function
	.section	.AMDGPU.csdata,"",@progbits
; Kernel info:
; codeLenInByte = 0
; NumSgprs: 0
; NumVgprs: 0
; ScratchSize: 0
; MemoryBound: 0
; FloatMode: 240
; IeeeMode: 1
; LDSByteSize: 0 bytes/workgroup (compile time only)
; SGPRBlocks: 0
; VGPRBlocks: 0
; NumSGPRsForWavesPerEU: 1
; NumVGPRsForWavesPerEU: 1
; Occupancy: 16
; WaveLimiterHint : 0
; COMPUTE_PGM_RSRC2:SCRATCH_EN: 0
; COMPUTE_PGM_RSRC2:USER_SGPR: 15
; COMPUTE_PGM_RSRC2:TRAP_HANDLER: 0
; COMPUTE_PGM_RSRC2:TGID_X_EN: 1
; COMPUTE_PGM_RSRC2:TGID_Y_EN: 0
; COMPUTE_PGM_RSRC2:TGID_Z_EN: 0
; COMPUTE_PGM_RSRC2:TIDIG_COMP_CNT: 0
	.section	.text._ZN7rocprim17ROCPRIM_400000_NS6detail17trampoline_kernelINS0_14default_configENS1_36segmented_radix_sort_config_selectorIblEEZNS1_25segmented_radix_sort_implIS3_Lb0EPKbPbPKlPlN2at6native12_GLOBAL__N_18offset_tEEE10hipError_tPvRmT1_PNSt15iterator_traitsISK_E10value_typeET2_T3_PNSL_ISQ_E10value_typeET4_jRbjT5_SW_jjP12ihipStream_tbEUlT_E2_NS1_11comp_targetILNS1_3genE9ELNS1_11target_archE1100ELNS1_3gpuE3ELNS1_3repE0EEENS1_30default_config_static_selectorELNS0_4arch9wavefront6targetE0EEEvSK_,"axG",@progbits,_ZN7rocprim17ROCPRIM_400000_NS6detail17trampoline_kernelINS0_14default_configENS1_36segmented_radix_sort_config_selectorIblEEZNS1_25segmented_radix_sort_implIS3_Lb0EPKbPbPKlPlN2at6native12_GLOBAL__N_18offset_tEEE10hipError_tPvRmT1_PNSt15iterator_traitsISK_E10value_typeET2_T3_PNSL_ISQ_E10value_typeET4_jRbjT5_SW_jjP12ihipStream_tbEUlT_E2_NS1_11comp_targetILNS1_3genE9ELNS1_11target_archE1100ELNS1_3gpuE3ELNS1_3repE0EEENS1_30default_config_static_selectorELNS0_4arch9wavefront6targetE0EEEvSK_,comdat
	.globl	_ZN7rocprim17ROCPRIM_400000_NS6detail17trampoline_kernelINS0_14default_configENS1_36segmented_radix_sort_config_selectorIblEEZNS1_25segmented_radix_sort_implIS3_Lb0EPKbPbPKlPlN2at6native12_GLOBAL__N_18offset_tEEE10hipError_tPvRmT1_PNSt15iterator_traitsISK_E10value_typeET2_T3_PNSL_ISQ_E10value_typeET4_jRbjT5_SW_jjP12ihipStream_tbEUlT_E2_NS1_11comp_targetILNS1_3genE9ELNS1_11target_archE1100ELNS1_3gpuE3ELNS1_3repE0EEENS1_30default_config_static_selectorELNS0_4arch9wavefront6targetE0EEEvSK_ ; -- Begin function _ZN7rocprim17ROCPRIM_400000_NS6detail17trampoline_kernelINS0_14default_configENS1_36segmented_radix_sort_config_selectorIblEEZNS1_25segmented_radix_sort_implIS3_Lb0EPKbPbPKlPlN2at6native12_GLOBAL__N_18offset_tEEE10hipError_tPvRmT1_PNSt15iterator_traitsISK_E10value_typeET2_T3_PNSL_ISQ_E10value_typeET4_jRbjT5_SW_jjP12ihipStream_tbEUlT_E2_NS1_11comp_targetILNS1_3genE9ELNS1_11target_archE1100ELNS1_3gpuE3ELNS1_3repE0EEENS1_30default_config_static_selectorELNS0_4arch9wavefront6targetE0EEEvSK_
	.p2align	8
	.type	_ZN7rocprim17ROCPRIM_400000_NS6detail17trampoline_kernelINS0_14default_configENS1_36segmented_radix_sort_config_selectorIblEEZNS1_25segmented_radix_sort_implIS3_Lb0EPKbPbPKlPlN2at6native12_GLOBAL__N_18offset_tEEE10hipError_tPvRmT1_PNSt15iterator_traitsISK_E10value_typeET2_T3_PNSL_ISQ_E10value_typeET4_jRbjT5_SW_jjP12ihipStream_tbEUlT_E2_NS1_11comp_targetILNS1_3genE9ELNS1_11target_archE1100ELNS1_3gpuE3ELNS1_3repE0EEENS1_30default_config_static_selectorELNS0_4arch9wavefront6targetE0EEEvSK_,@function
_ZN7rocprim17ROCPRIM_400000_NS6detail17trampoline_kernelINS0_14default_configENS1_36segmented_radix_sort_config_selectorIblEEZNS1_25segmented_radix_sort_implIS3_Lb0EPKbPbPKlPlN2at6native12_GLOBAL__N_18offset_tEEE10hipError_tPvRmT1_PNSt15iterator_traitsISK_E10value_typeET2_T3_PNSL_ISQ_E10value_typeET4_jRbjT5_SW_jjP12ihipStream_tbEUlT_E2_NS1_11comp_targetILNS1_3genE9ELNS1_11target_archE1100ELNS1_3gpuE3ELNS1_3repE0EEENS1_30default_config_static_selectorELNS0_4arch9wavefront6targetE0EEEvSK_: ; @_ZN7rocprim17ROCPRIM_400000_NS6detail17trampoline_kernelINS0_14default_configENS1_36segmented_radix_sort_config_selectorIblEEZNS1_25segmented_radix_sort_implIS3_Lb0EPKbPbPKlPlN2at6native12_GLOBAL__N_18offset_tEEE10hipError_tPvRmT1_PNSt15iterator_traitsISK_E10value_typeET2_T3_PNSL_ISQ_E10value_typeET4_jRbjT5_SW_jjP12ihipStream_tbEUlT_E2_NS1_11comp_targetILNS1_3genE9ELNS1_11target_archE1100ELNS1_3gpuE3ELNS1_3repE0EEENS1_30default_config_static_selectorELNS0_4arch9wavefront6targetE0EEEvSK_
; %bb.0:
	s_load_b128 s[4:7], s[0:1], 0x34
	s_mov_b32 s32, 0
	s_waitcnt lgkmcnt(0)
	s_add_i32 s28, s5, s14
	s_add_i32 s29, s7, s14
	s_mul_i32 s28, s28, s4
	s_mul_i32 s29, s29, s6
	s_delay_alu instid0(SALU_CYCLE_1)
	s_cmp_le_u32 s29, s28
	s_cbranch_scc1 .LBB1672_686
; %bb.1:
	s_clause 0x3
	s_load_b32 s2, s[0:1], 0x30
	s_load_b128 s[44:47], s[0:1], 0x20
	s_load_b128 s[48:51], s[0:1], 0x44
	s_load_b256 s[36:43], s[0:1], 0x0
	s_waitcnt lgkmcnt(0)
	s_bitcmp1_b32 s2, 0
	s_mov_b32 s2, -1
	s_cselect_b32 s33, -1, 0
	s_sub_i32 s34, s29, s28
	s_delay_alu instid0(SALU_CYCLE_1)
	s_cmpk_lt_u32 s34, 0x801
	s_cbranch_scc0 .LBB1672_15
; %bb.2:
	s_cmp_lt_u32 s34, 33
	s_cbranch_scc0 .LBB1672_9
; %bb.3:
	s_load_b32 s2, s[0:1], 0x5c
	v_bfe_u32 v1, v0, 10, 10
	v_bfe_u32 v2, v0, 20, 10
	s_mov_b32 s18, exec_lo
	s_waitcnt lgkmcnt(0)
	s_lshr_b32 s3, s2, 16
	s_and_b32 s2, s2, 0xffff
	v_mad_u32_u24 v4, v2, s3, v1
	v_and_b32_e32 v1, 0x3ff, v0
	s_delay_alu instid0(VALU_DEP_1) | instskip(NEXT) | instid1(VALU_DEP_1)
	v_mad_u64_u32 v[2:3], null, v4, s2, v[1:2]
	v_cmpx_gt_u32_e32 8, v2
	s_cbranch_execz .LBB1672_8
; %bb.4:
	v_cndmask_b32_e64 v1, 0, 1, s33
	s_and_b32 s2, s48, 1
	s_delay_alu instid0(VALU_DEP_1) | instid1(SALU_CYCLE_1)
	v_cmp_ne_u32_e32 vcc_lo, s2, v1
	s_mov_b32 s2, -1
	s_cbranch_vccnz .LBB1672_6
; %bb.5:
	s_mov_b64 s[2:3], src_shared_base
	v_mov_b32_e32 v31, v0
	v_dual_mov_b32 v40, v0 :: v_dual_mov_b32 v1, s37
	v_mov_b32_e32 v0, s36
	v_dual_mov_b32 v2, s40 :: v_dual_mov_b32 v3, s41
	v_dual_mov_b32 v4, s42 :: v_dual_mov_b32 v5, s43
	;; [unrolled: 1-line block ×6, first 2 shown]
	s_add_u32 s8, s0, 0x50
	s_addc_u32 s9, s1, 0
	s_mov_b32 s12, s14
	s_mov_b32 s13, s15
	s_getpc_b64 s[4:5]
	s_add_u32 s4, s4, _ZN7rocprim17ROCPRIM_400000_NS6detail26segmented_warp_sort_helperINS1_20WarpSortHelperConfigILj8ELj4ELj256EEEblLi256ELb0EvE4sortIPKbPbPKlPlEEvT_T0_T1_T2_jjjjRNS5_12storage_typeE@rel32@lo+4
	s_addc_u32 s5, s5, _ZN7rocprim17ROCPRIM_400000_NS6detail26segmented_warp_sort_helperINS1_20WarpSortHelperConfigILj8ELj4ELj256EEEblLi256ELb0EvE4sortIPKbPbPKlPlEEvT_T0_T1_T2_jjjjRNS5_12storage_typeE@rel32@hi+12
	s_mov_b64 s[16:17], s[0:1]
	s_mov_b32 s19, s15
	s_mov_b32 s20, s14
	s_swappc_b64 s[30:31], s[4:5]
	v_mov_b32_e32 v0, v40
	s_mov_b32 s14, s20
	s_mov_b32 s15, s19
	s_mov_b64 s[0:1], s[16:17]
	s_mov_b32 s2, 0
.LBB1672_6:
	s_delay_alu instid0(SALU_CYCLE_1)
	s_and_not1_b32 vcc_lo, exec_lo, s2
	s_cbranch_vccnz .LBB1672_8
; %bb.7:
	s_mov_b64 s[2:3], src_shared_base
	v_mov_b32_e32 v31, v0
	v_dual_mov_b32 v40, v0 :: v_dual_mov_b32 v1, s37
	v_mov_b32_e32 v0, s36
	v_dual_mov_b32 v2, s38 :: v_dual_mov_b32 v3, s39
	v_dual_mov_b32 v4, s42 :: v_dual_mov_b32 v5, s43
	;; [unrolled: 1-line block ×6, first 2 shown]
	s_add_u32 s8, s0, 0x50
	s_addc_u32 s9, s1, 0
	s_mov_b32 s12, s14
	s_mov_b32 s13, s15
	s_getpc_b64 s[4:5]
	s_add_u32 s4, s4, _ZN7rocprim17ROCPRIM_400000_NS6detail26segmented_warp_sort_helperINS1_20WarpSortHelperConfigILj8ELj4ELj256EEEblLi256ELb0EvE4sortIPKbPbPKlPlEEvT_T0_T1_T2_jjjjRNS5_12storage_typeE@rel32@lo+4
	s_addc_u32 s5, s5, _ZN7rocprim17ROCPRIM_400000_NS6detail26segmented_warp_sort_helperINS1_20WarpSortHelperConfigILj8ELj4ELj256EEEblLi256ELb0EvE4sortIPKbPbPKlPlEEvT_T0_T1_T2_jjjjRNS5_12storage_typeE@rel32@hi+12
	s_mov_b64 s[16:17], s[0:1]
	s_mov_b32 s20, s15
	s_mov_b32 s19, s14
	s_swappc_b64 s[30:31], s[4:5]
	v_mov_b32_e32 v0, v40
	s_mov_b32 s14, s19
	s_mov_b32 s15, s20
	s_mov_b64 s[0:1], s[16:17]
.LBB1672_8:
	s_or_b32 exec_lo, exec_lo, s18
	s_mov_b32 s2, 0
.LBB1672_9:
	s_delay_alu instid0(SALU_CYCLE_1)
	s_and_not1_b32 vcc_lo, exec_lo, s2
	s_cbranch_vccnz .LBB1672_14
; %bb.10:
	v_cndmask_b32_e64 v1, 0, 1, s33
	s_and_b32 s2, s48, 1
	s_delay_alu instid0(VALU_DEP_1) | instid1(SALU_CYCLE_1)
	v_cmp_ne_u32_e32 vcc_lo, s2, v1
	s_mov_b32 s2, -1
	s_cbranch_vccnz .LBB1672_12
; %bb.11:
	s_mov_b64 s[2:3], src_shared_base
	v_mov_b32_e32 v31, v0
	v_dual_mov_b32 v40, v0 :: v_dual_mov_b32 v1, s37
	v_mov_b32_e32 v0, s36
	v_dual_mov_b32 v2, s40 :: v_dual_mov_b32 v3, s41
	v_dual_mov_b32 v4, s42 :: v_dual_mov_b32 v5, s43
	;; [unrolled: 1-line block ×6, first 2 shown]
	s_add_u32 s8, s0, 0x50
	s_addc_u32 s9, s1, 0
	s_mov_b32 s12, s14
	s_mov_b32 s13, s15
	s_getpc_b64 s[4:5]
	s_add_u32 s4, s4, _ZN7rocprim17ROCPRIM_400000_NS6detail40segmented_radix_sort_single_block_helperIblLj256ELj8ELb0EE4sortIPKbPbPKlPlEEbT_T0_T1_T2_jjjjRNS3_12storage_typeE@rel32@lo+4
	s_addc_u32 s5, s5, _ZN7rocprim17ROCPRIM_400000_NS6detail40segmented_radix_sort_single_block_helperIblLj256ELj8ELb0EE4sortIPKbPbPKlPlEEbT_T0_T1_T2_jjjjRNS3_12storage_typeE@rel32@hi+12
	s_mov_b64 s[26:27], s[0:1]
	s_mov_b32 s35, s15
	s_mov_b32 s48, s14
	s_swappc_b64 s[30:31], s[4:5]
	v_mov_b32_e32 v0, v40
	s_mov_b32 s14, s48
	s_mov_b32 s15, s35
	s_mov_b64 s[0:1], s[26:27]
	s_mov_b32 s2, 0
.LBB1672_12:
	s_delay_alu instid0(SALU_CYCLE_1)
	s_and_not1_b32 vcc_lo, exec_lo, s2
	s_cbranch_vccnz .LBB1672_14
; %bb.13:
	s_mov_b64 s[2:3], src_shared_base
	v_mov_b32_e32 v31, v0
	v_dual_mov_b32 v40, v0 :: v_dual_mov_b32 v1, s37
	v_mov_b32_e32 v0, s36
	v_dual_mov_b32 v2, s38 :: v_dual_mov_b32 v3, s39
	v_dual_mov_b32 v4, s42 :: v_dual_mov_b32 v5, s43
	;; [unrolled: 1-line block ×6, first 2 shown]
	s_add_u32 s8, s0, 0x50
	s_addc_u32 s9, s1, 0
	s_mov_b32 s12, s14
	s_mov_b32 s13, s15
	s_getpc_b64 s[4:5]
	s_add_u32 s4, s4, _ZN7rocprim17ROCPRIM_400000_NS6detail40segmented_radix_sort_single_block_helperIblLj256ELj8ELb0EE4sortIPKbPbPKlPlEEbT_T0_T1_T2_jjjjRNS3_12storage_typeE@rel32@lo+4
	s_addc_u32 s5, s5, _ZN7rocprim17ROCPRIM_400000_NS6detail40segmented_radix_sort_single_block_helperIblLj256ELj8ELb0EE4sortIPKbPbPKlPlEEbT_T0_T1_T2_jjjjRNS3_12storage_typeE@rel32@hi+12
	s_mov_b64 s[26:27], s[0:1]
	s_mov_b32 s48, s15
	s_mov_b32 s35, s14
	s_swappc_b64 s[30:31], s[4:5]
	v_mov_b32_e32 v0, v40
	s_mov_b32 s14, s35
	s_mov_b32 s15, s48
	s_mov_b64 s[0:1], s[26:27]
.LBB1672_14:
	s_mov_b32 s2, 0
.LBB1672_15:
	s_delay_alu instid0(SALU_CYCLE_1)
	s_and_not1_b32 vcc_lo, exec_lo, s2
	s_cbranch_vccnz .LBB1672_686
; %bb.16:
	s_cmp_ge_u32 s49, s50
	s_cbranch_scc1 .LBB1672_686
; %bb.17:
	v_dual_mov_b32 v66, 1 :: v_dual_and_b32 v1, 0x3ff, v0
	v_mov_b32_e32 v3, 0
	v_mbcnt_lo_u32_b32 v63, -1, 0
	v_bfe_u32 v45, v0, 20, 10
	s_delay_alu instid0(VALU_DEP_4) | instskip(SKIP_4) | instid1(VALU_DEP_4)
	v_lshlrev_b32_e32 v28, 2, v1
	v_lshrrev_b32_e32 v2, 3, v1
	v_or_b32_e32 v4, 31, v1
	v_lshlrev_b32_e32 v5, 5, v1
	v_add_co_u32 v33, s2, s40, v1
	v_and_b32_e32 v38, 28, v2
	v_lshlrev_b32_e32 v2, 3, v1
	v_cmp_eq_u32_e64 s3, v4, v1
	v_add_nc_u32_e32 v4, 1, v1
	v_sub_nc_u32_e32 v48, 0, v5
	v_mad_u32_u24 v40, v1, 12, v28
	v_and_b32_e32 v44, 0x700, v2
	v_mul_u32_u24_e32 v2, 9, v1
	v_cmp_ne_u32_e64 s7, 0x100, v4
	v_or_b32_e32 v29, 0x100, v1
	v_or_b32_e32 v30, 0x200, v1
	v_lshlrev_b32_e32 v5, 3, v44
	v_lshl_add_u32 v47, v2, 2, 0x420
	v_mul_u32_u24_e32 v2, 9, v4
	v_or_b32_e32 v31, 0x300, v1
	v_and_b32_e32 v32, 3, v1
	v_add_co_u32 v50, s8, s46, v5
	s_delay_alu instid0(VALU_DEP_4) | instskip(SKIP_2) | instid1(VALU_DEP_1)
	v_lshlrev_b32_e32 v49, 2, v2
	v_add_co_ci_u32_e64 v51, null, s47, 0, s8
	v_add_co_u32 v2, s8, s40, v44
	v_add_co_ci_u32_e64 v4, null, s41, 0, s8
	v_add_co_u32 v53, s8, s38, v1
	s_delay_alu instid0(VALU_DEP_1) | instskip(SKIP_1) | instid1(VALU_DEP_1)
	v_add_co_ci_u32_e64 v54, null, s39, 0, s8
	v_add_co_u32 v55, s8, s44, v5
	v_add_co_ci_u32_e64 v56, null, s45, 0, s8
	v_add_co_u32 v57, s8, s38, v44
	s_delay_alu instid0(VALU_DEP_1) | instskip(SKIP_1) | instid1(VALU_DEP_1)
	v_add_co_ci_u32_e64 v58, null, s39, 0, s8
	v_add_co_u32 v59, s8, s36, v1
	v_add_co_ci_u32_e64 v60, null, s37, 0, s8
	v_add_co_u32 v61, s8, s42, v5
	s_delay_alu instid0(VALU_DEP_1)
	v_add_co_ci_u32_e64 v62, null, s43, 0, s8
	v_add_co_u32 v64, s8, s36, v44
	v_add_co_u32 v67, vcc_lo, v2, v63
	v_add_co_ci_u32_e64 v34, null, s41, 0, s2
	v_or_b32_e32 v35, 0x400, v1
	v_or_b32_e32 v36, 0x500, v1
	;; [unrolled: 1-line block ×4, first 2 shown]
	v_cmp_gt_u32_e64 s2, 0x100, v1
	v_or_b32_e32 v41, 0x4400, v38
	v_cmp_gt_u32_e64 s4, 8, v1
	v_add_nc_u32_e32 v42, 0x4400, v28
	v_cmp_lt_u32_e64 s5, 31, v1
	v_add_nc_u32_e32 v43, 0x43fc, v38
	v_bfe_u32 v0, v0, 10, 10
	v_mad_u32_u24 v46, v1, 20, v40
	v_cmp_eq_u32_e64 s6, 0, v1
	v_mul_u32_u24_e32 v52, 7, v1
	v_add_co_ci_u32_e64 v65, null, s37, 0, s8
	v_add_co_ci_u32_e32 v68, vcc_lo, 0, v4, vcc_lo
	s_add_u32 s26, s0, 0x50
	s_mov_b32 s25, 0
	s_addc_u32 s27, s1, 0
	s_mov_b32 s30, s49
	s_branch .LBB1672_20
.LBB1672_18:                            ;   in Loop: Header=BB1672_20 Depth=1
	s_waitcnt lgkmcnt(0)
	s_barrier
.LBB1672_19:                            ;   in Loop: Header=BB1672_20 Depth=1
	s_add_i32 s30, s30, 8
	buffer_gl0_inv
	s_cmp_ge_u32 s30, s50
	s_cbranch_scc1 .LBB1672_686
.LBB1672_20:                            ; =>This Loop Header: Depth=1
                                        ;     Child Loop BB1672_24 Depth 2
                                        ;     Child Loop BB1672_74 Depth 2
	;; [unrolled: 1-line block ×8, first 2 shown]
	s_sub_i32 s0, s50, s30
	s_xor_b32 s33, s33, -1
	s_min_u32 s0, s0, 8
	ds_store_2addr_stride64_b32 v28, v3, v3 offset1:4
	s_lshl_b32 s0, -1, s0
	ds_store_2addr_stride64_b32 v28, v3, v3 offset0:8 offset1:12
	s_not_b32 s31, s0
	s_cmp_lg_u32 s30, s49
	s_mov_b32 s0, -1
	s_waitcnt lgkmcnt(0)
	s_waitcnt_vscnt null, 0x0
	s_cbranch_scc0 .LBB1672_354
; %bb.21:                               ;   in Loop: Header=BB1672_20 Depth=1
	s_and_b32 vcc_lo, exec_lo, s33
	s_cbranch_vccz .LBB1672_187
; %bb.22:                               ;   in Loop: Header=BB1672_20 Depth=1
	s_mov_b32 s0, s34
	s_mov_b32 s9, s28
	s_barrier
	buffer_gl0_inv
                                        ; implicit-def: $vgpr2
                                        ; implicit-def: $vgpr6
                                        ; implicit-def: $vgpr7
                                        ; implicit-def: $vgpr8
                                        ; implicit-def: $vgpr9
                                        ; implicit-def: $vgpr10
                                        ; implicit-def: $vgpr11
                                        ; implicit-def: $vgpr12
	s_branch .LBB1672_24
.LBB1672_23:                            ;   in Loop: Header=BB1672_24 Depth=2
	s_or_b32 exec_lo, exec_lo, s8
	s_addk_i32 s0, 0xf800
	s_cmp_ge_u32 s1, s29
	s_mov_b32 s9, s1
	s_cbranch_scc1 .LBB1672_62
.LBB1672_24:                            ;   Parent Loop BB1672_20 Depth=1
                                        ; =>  This Inner Loop Header: Depth=2
	s_add_i32 s1, s9, 0x800
	s_delay_alu instid0(SALU_CYCLE_1)
	s_cmp_gt_u32 s1, s29
	s_cbranch_scc1 .LBB1672_27
; %bb.25:                               ;   in Loop: Header=BB1672_24 Depth=2
	v_add_co_u32 v4, vcc_lo, v33, s9
	v_add_co_ci_u32_e32 v5, vcc_lo, 0, v34, vcc_lo
	s_mov_b32 s8, -1
	s_movk_i32 s12, 0x800
	s_clause 0x6
	global_load_u8 v20, v[4:5], off offset:1536
	global_load_u8 v19, v[4:5], off offset:1280
	;; [unrolled: 1-line block ×6, first 2 shown]
	global_load_u8 v14, v[4:5], off
	v_add_co_u32 v4, vcc_lo, 0x700, v4
	v_add_co_ci_u32_e32 v5, vcc_lo, 0, v5, vcc_lo
	s_cbranch_execz .LBB1672_28
; %bb.26:                               ;   in Loop: Header=BB1672_24 Depth=2
                                        ; implicit-def: $vgpr2
                                        ; implicit-def: $vgpr6
                                        ; implicit-def: $vgpr7
                                        ; implicit-def: $vgpr8
                                        ; implicit-def: $vgpr9
                                        ; implicit-def: $vgpr10
                                        ; implicit-def: $vgpr11
                                        ; implicit-def: $vgpr12
	v_mov_b32_e32 v13, s0
	s_and_saveexec_b32 s9, s8
	s_cbranch_execnz .LBB1672_39
	s_branch .LBB1672_40
.LBB1672_27:                            ;   in Loop: Header=BB1672_24 Depth=2
	s_mov_b32 s8, 0
                                        ; implicit-def: $sgpr12
                                        ; implicit-def: $vgpr14
                                        ; implicit-def: $vgpr15
                                        ; implicit-def: $vgpr16
                                        ; implicit-def: $vgpr17
                                        ; implicit-def: $vgpr18
                                        ; implicit-def: $vgpr19
                                        ; implicit-def: $vgpr20
                                        ; implicit-def: $vgpr4_vgpr5
.LBB1672_28:                            ;   in Loop: Header=BB1672_24 Depth=2
	s_add_u32 s10, s40, s9
	s_addc_u32 s11, s41, 0
	s_mov_b32 s12, exec_lo
	v_cmpx_gt_u32_e64 s0, v1
	s_cbranch_execz .LBB1672_56
; %bb.29:                               ;   in Loop: Header=BB1672_24 Depth=2
	v_add_co_u32 v4, s13, s10, v1
	s_delay_alu instid0(VALU_DEP_1) | instskip(SKIP_2) | instid1(SALU_CYCLE_1)
	v_add_co_ci_u32_e64 v5, null, s11, 0, s13
	global_load_u8 v2, v[4:5], off
	s_or_b32 exec_lo, exec_lo, s12
	s_mov_b32 s12, exec_lo
	v_cmpx_gt_u32_e64 s0, v29
	s_cbranch_execnz .LBB1672_57
.LBB1672_30:                            ;   in Loop: Header=BB1672_24 Depth=2
	s_or_b32 exec_lo, exec_lo, s12
	s_delay_alu instid0(SALU_CYCLE_1)
	s_mov_b32 s12, exec_lo
	v_cmpx_gt_u32_e64 s0, v30
	s_cbranch_execz .LBB1672_58
.LBB1672_31:                            ;   in Loop: Header=BB1672_24 Depth=2
	v_add_co_u32 v4, s13, s10, v1
	s_delay_alu instid0(VALU_DEP_1) | instskip(SKIP_2) | instid1(SALU_CYCLE_1)
	v_add_co_ci_u32_e64 v5, null, s11, 0, s13
	global_load_u8 v7, v[4:5], off offset:512
	s_or_b32 exec_lo, exec_lo, s12
	s_mov_b32 s12, exec_lo
	v_cmpx_gt_u32_e64 s0, v31
	s_cbranch_execnz .LBB1672_59
.LBB1672_32:                            ;   in Loop: Header=BB1672_24 Depth=2
	s_or_b32 exec_lo, exec_lo, s12
	s_delay_alu instid0(SALU_CYCLE_1)
	s_mov_b32 s12, exec_lo
	v_cmpx_gt_u32_e64 s0, v35
	s_cbranch_execz .LBB1672_60
.LBB1672_33:                            ;   in Loop: Header=BB1672_24 Depth=2
	v_add_co_u32 v4, s13, s10, v1
	s_delay_alu instid0(VALU_DEP_1) | instskip(SKIP_2) | instid1(SALU_CYCLE_1)
	v_add_co_ci_u32_e64 v5, null, s11, 0, s13
	global_load_u8 v9, v[4:5], off offset:1024
	s_or_b32 exec_lo, exec_lo, s12
	s_mov_b32 s12, exec_lo
	v_cmpx_gt_u32_e64 s0, v36
	s_cbranch_execnz .LBB1672_61
.LBB1672_34:                            ;   in Loop: Header=BB1672_24 Depth=2
	s_or_b32 exec_lo, exec_lo, s12
	s_delay_alu instid0(SALU_CYCLE_1)
	s_mov_b32 s12, exec_lo
	v_cmpx_gt_u32_e64 s0, v37
	s_cbranch_execz .LBB1672_36
.LBB1672_35:                            ;   in Loop: Header=BB1672_24 Depth=2
	v_add_co_u32 v4, s13, s10, v1
	s_delay_alu instid0(VALU_DEP_1)
	v_add_co_ci_u32_e64 v5, null, s11, 0, s13
	global_load_u8 v11, v[4:5], off offset:1536
.LBB1672_36:                            ;   in Loop: Header=BB1672_24 Depth=2
	s_or_b32 exec_lo, exec_lo, s12
	s_delay_alu instid0(SALU_CYCLE_1)
	s_mov_b32 s13, exec_lo
                                        ; implicit-def: $sgpr12
                                        ; implicit-def: $vgpr4_vgpr5
	v_cmpx_gt_u32_e64 s0, v39
; %bb.37:                               ;   in Loop: Header=BB1672_24 Depth=2
	v_add_co_u32 v4, s10, s10, v1
	s_delay_alu instid0(VALU_DEP_1) | instskip(SKIP_1) | instid1(VALU_DEP_2)
	v_add_co_ci_u32_e64 v5, null, s11, 0, s10
	s_sub_i32 s12, s29, s9
	v_add_co_u32 v4, vcc_lo, 0x700, v4
	s_delay_alu instid0(VALU_DEP_2)
	v_add_co_ci_u32_e32 v5, vcc_lo, 0, v5, vcc_lo
	s_or_b32 s8, s8, exec_lo
                                        ; implicit-def: $vgpr12
; %bb.38:                               ;   in Loop: Header=BB1672_24 Depth=2
	s_or_b32 exec_lo, exec_lo, s13
	s_waitcnt vmcnt(0)
	v_dual_mov_b32 v14, v2 :: v_dual_mov_b32 v17, v8
	v_dual_mov_b32 v15, v6 :: v_dual_mov_b32 v16, v7
	;; [unrolled: 1-line block ×4, first 2 shown]
	s_and_saveexec_b32 s9, s8
	s_cbranch_execz .LBB1672_40
.LBB1672_39:                            ;   in Loop: Header=BB1672_24 Depth=2
	global_load_u8 v12, v[4:5], off
	s_waitcnt vmcnt(1)
	v_dual_mov_b32 v13, s12 :: v_dual_mov_b32 v2, v14
	v_dual_mov_b32 v6, v15 :: v_dual_mov_b32 v7, v16
	;; [unrolled: 1-line block ×4, first 2 shown]
.LBB1672_40:                            ;   in Loop: Header=BB1672_24 Depth=2
	s_or_b32 exec_lo, exec_lo, s9
	s_delay_alu instid0(SALU_CYCLE_1)
	s_mov_b32 s8, exec_lo
	v_cmpx_lt_u32_e64 v1, v13
	s_cbranch_execz .LBB1672_48
; %bb.41:                               ;   in Loop: Header=BB1672_24 Depth=2
	v_and_b32_e32 v4, 1, v2
	v_lshlrev_b32_e32 v5, 2, v32
	s_delay_alu instid0(VALU_DEP_2) | instskip(NEXT) | instid1(VALU_DEP_1)
	v_lshrrev_b32_e32 v4, s30, v4
	v_and_b32_e32 v4, s31, v4
	s_delay_alu instid0(VALU_DEP_1) | instskip(SKIP_2) | instid1(SALU_CYCLE_1)
	v_lshl_or_b32 v4, v4, 4, v5
	ds_add_u32 v4, v66
	s_or_b32 exec_lo, exec_lo, s8
	s_mov_b32 s8, exec_lo
	v_cmpx_lt_u32_e64 v29, v13
	s_cbranch_execnz .LBB1672_49
.LBB1672_42:                            ;   in Loop: Header=BB1672_24 Depth=2
	s_or_b32 exec_lo, exec_lo, s8
	s_delay_alu instid0(SALU_CYCLE_1)
	s_mov_b32 s8, exec_lo
	v_cmpx_lt_u32_e64 v30, v13
	s_cbranch_execz .LBB1672_50
.LBB1672_43:                            ;   in Loop: Header=BB1672_24 Depth=2
	v_and_b32_e32 v4, 1, v7
	v_lshlrev_b32_e32 v5, 2, v32
	s_delay_alu instid0(VALU_DEP_2) | instskip(NEXT) | instid1(VALU_DEP_1)
	v_lshrrev_b32_e32 v4, s30, v4
	v_and_b32_e32 v4, s31, v4
	s_delay_alu instid0(VALU_DEP_1) | instskip(SKIP_2) | instid1(SALU_CYCLE_1)
	v_lshl_or_b32 v4, v4, 4, v5
	ds_add_u32 v4, v66
	s_or_b32 exec_lo, exec_lo, s8
	s_mov_b32 s8, exec_lo
	v_cmpx_lt_u32_e64 v31, v13
	s_cbranch_execnz .LBB1672_51
.LBB1672_44:                            ;   in Loop: Header=BB1672_24 Depth=2
	s_or_b32 exec_lo, exec_lo, s8
	s_delay_alu instid0(SALU_CYCLE_1)
	s_mov_b32 s8, exec_lo
	v_cmpx_lt_u32_e64 v35, v13
	s_cbranch_execz .LBB1672_52
.LBB1672_45:                            ;   in Loop: Header=BB1672_24 Depth=2
	v_and_b32_e32 v4, 1, v9
	v_lshlrev_b32_e32 v5, 2, v32
	s_delay_alu instid0(VALU_DEP_2) | instskip(NEXT) | instid1(VALU_DEP_1)
	v_lshrrev_b32_e32 v4, s30, v4
	v_and_b32_e32 v4, s31, v4
	s_delay_alu instid0(VALU_DEP_1) | instskip(SKIP_2) | instid1(SALU_CYCLE_1)
	v_lshl_or_b32 v4, v4, 4, v5
	ds_add_u32 v4, v66
	s_or_b32 exec_lo, exec_lo, s8
	s_mov_b32 s8, exec_lo
	v_cmpx_lt_u32_e64 v36, v13
	s_cbranch_execnz .LBB1672_53
.LBB1672_46:                            ;   in Loop: Header=BB1672_24 Depth=2
	s_or_b32 exec_lo, exec_lo, s8
	s_delay_alu instid0(SALU_CYCLE_1)
	s_mov_b32 s8, exec_lo
	v_cmpx_lt_u32_e64 v37, v13
	s_cbranch_execz .LBB1672_54
.LBB1672_47:                            ;   in Loop: Header=BB1672_24 Depth=2
	v_and_b32_e32 v4, 1, v11
	v_lshlrev_b32_e32 v5, 2, v32
	s_delay_alu instid0(VALU_DEP_2) | instskip(NEXT) | instid1(VALU_DEP_1)
	v_lshrrev_b32_e32 v4, s30, v4
	v_and_b32_e32 v4, s31, v4
	s_delay_alu instid0(VALU_DEP_1) | instskip(SKIP_2) | instid1(SALU_CYCLE_1)
	v_lshl_or_b32 v4, v4, 4, v5
	ds_add_u32 v4, v66
	s_or_b32 exec_lo, exec_lo, s8
	s_mov_b32 s8, exec_lo
	v_cmpx_lt_u32_e64 v39, v13
	s_cbranch_execz .LBB1672_23
	s_branch .LBB1672_55
.LBB1672_48:                            ;   in Loop: Header=BB1672_24 Depth=2
	s_or_b32 exec_lo, exec_lo, s8
	s_delay_alu instid0(SALU_CYCLE_1)
	s_mov_b32 s8, exec_lo
	v_cmpx_lt_u32_e64 v29, v13
	s_cbranch_execz .LBB1672_42
.LBB1672_49:                            ;   in Loop: Header=BB1672_24 Depth=2
	v_and_b32_e32 v4, 1, v6
	v_lshlrev_b32_e32 v5, 2, v32
	s_delay_alu instid0(VALU_DEP_2) | instskip(NEXT) | instid1(VALU_DEP_1)
	v_lshrrev_b32_e32 v4, s30, v4
	v_and_b32_e32 v4, s31, v4
	s_delay_alu instid0(VALU_DEP_1) | instskip(SKIP_2) | instid1(SALU_CYCLE_1)
	v_lshl_or_b32 v4, v4, 4, v5
	ds_add_u32 v4, v66
	s_or_b32 exec_lo, exec_lo, s8
	s_mov_b32 s8, exec_lo
	v_cmpx_lt_u32_e64 v30, v13
	s_cbranch_execnz .LBB1672_43
.LBB1672_50:                            ;   in Loop: Header=BB1672_24 Depth=2
	s_or_b32 exec_lo, exec_lo, s8
	s_delay_alu instid0(SALU_CYCLE_1)
	s_mov_b32 s8, exec_lo
	v_cmpx_lt_u32_e64 v31, v13
	s_cbranch_execz .LBB1672_44
.LBB1672_51:                            ;   in Loop: Header=BB1672_24 Depth=2
	v_and_b32_e32 v4, 1, v8
	v_lshlrev_b32_e32 v5, 2, v32
	s_delay_alu instid0(VALU_DEP_2) | instskip(NEXT) | instid1(VALU_DEP_1)
	v_lshrrev_b32_e32 v4, s30, v4
	v_and_b32_e32 v4, s31, v4
	s_delay_alu instid0(VALU_DEP_1) | instskip(SKIP_2) | instid1(SALU_CYCLE_1)
	v_lshl_or_b32 v4, v4, 4, v5
	ds_add_u32 v4, v66
	s_or_b32 exec_lo, exec_lo, s8
	s_mov_b32 s8, exec_lo
	v_cmpx_lt_u32_e64 v35, v13
	s_cbranch_execnz .LBB1672_45
.LBB1672_52:                            ;   in Loop: Header=BB1672_24 Depth=2
	s_or_b32 exec_lo, exec_lo, s8
	s_delay_alu instid0(SALU_CYCLE_1)
	s_mov_b32 s8, exec_lo
	v_cmpx_lt_u32_e64 v36, v13
	s_cbranch_execz .LBB1672_46
.LBB1672_53:                            ;   in Loop: Header=BB1672_24 Depth=2
	v_and_b32_e32 v4, 1, v10
	v_lshlrev_b32_e32 v5, 2, v32
	s_delay_alu instid0(VALU_DEP_2) | instskip(NEXT) | instid1(VALU_DEP_1)
	v_lshrrev_b32_e32 v4, s30, v4
	v_and_b32_e32 v4, s31, v4
	s_delay_alu instid0(VALU_DEP_1) | instskip(SKIP_2) | instid1(SALU_CYCLE_1)
	v_lshl_or_b32 v4, v4, 4, v5
	ds_add_u32 v4, v66
	s_or_b32 exec_lo, exec_lo, s8
	s_mov_b32 s8, exec_lo
	v_cmpx_lt_u32_e64 v37, v13
	s_cbranch_execnz .LBB1672_47
.LBB1672_54:                            ;   in Loop: Header=BB1672_24 Depth=2
	s_or_b32 exec_lo, exec_lo, s8
	s_delay_alu instid0(SALU_CYCLE_1)
	s_mov_b32 s8, exec_lo
	v_cmpx_lt_u32_e64 v39, v13
	s_cbranch_execz .LBB1672_23
.LBB1672_55:                            ;   in Loop: Header=BB1672_24 Depth=2
	s_waitcnt vmcnt(0)
	v_and_b32_e32 v4, 1, v12
	v_lshlrev_b32_e32 v5, 2, v32
	s_delay_alu instid0(VALU_DEP_2) | instskip(NEXT) | instid1(VALU_DEP_1)
	v_lshrrev_b32_e32 v4, s30, v4
	v_and_b32_e32 v4, s31, v4
	s_delay_alu instid0(VALU_DEP_1)
	v_lshl_or_b32 v4, v4, 4, v5
	ds_add_u32 v4, v66
	s_branch .LBB1672_23
.LBB1672_56:                            ;   in Loop: Header=BB1672_24 Depth=2
	s_or_b32 exec_lo, exec_lo, s12
	s_delay_alu instid0(SALU_CYCLE_1)
	s_mov_b32 s12, exec_lo
	v_cmpx_gt_u32_e64 s0, v29
	s_cbranch_execz .LBB1672_30
.LBB1672_57:                            ;   in Loop: Header=BB1672_24 Depth=2
	v_add_co_u32 v4, s13, s10, v1
	s_delay_alu instid0(VALU_DEP_1) | instskip(SKIP_2) | instid1(SALU_CYCLE_1)
	v_add_co_ci_u32_e64 v5, null, s11, 0, s13
	global_load_u8 v6, v[4:5], off offset:256
	s_or_b32 exec_lo, exec_lo, s12
	s_mov_b32 s12, exec_lo
	v_cmpx_gt_u32_e64 s0, v30
	s_cbranch_execnz .LBB1672_31
.LBB1672_58:                            ;   in Loop: Header=BB1672_24 Depth=2
	s_or_b32 exec_lo, exec_lo, s12
	s_delay_alu instid0(SALU_CYCLE_1)
	s_mov_b32 s12, exec_lo
	v_cmpx_gt_u32_e64 s0, v31
	s_cbranch_execz .LBB1672_32
.LBB1672_59:                            ;   in Loop: Header=BB1672_24 Depth=2
	v_add_co_u32 v4, s13, s10, v1
	s_delay_alu instid0(VALU_DEP_1) | instskip(SKIP_2) | instid1(SALU_CYCLE_1)
	v_add_co_ci_u32_e64 v5, null, s11, 0, s13
	global_load_u8 v8, v[4:5], off offset:768
	s_or_b32 exec_lo, exec_lo, s12
	s_mov_b32 s12, exec_lo
	v_cmpx_gt_u32_e64 s0, v35
	s_cbranch_execnz .LBB1672_33
.LBB1672_60:                            ;   in Loop: Header=BB1672_24 Depth=2
	s_or_b32 exec_lo, exec_lo, s12
	s_delay_alu instid0(SALU_CYCLE_1)
	s_mov_b32 s12, exec_lo
	v_cmpx_gt_u32_e64 s0, v36
	s_cbranch_execz .LBB1672_34
.LBB1672_61:                            ;   in Loop: Header=BB1672_24 Depth=2
	v_add_co_u32 v4, s13, s10, v1
	s_delay_alu instid0(VALU_DEP_1) | instskip(SKIP_2) | instid1(SALU_CYCLE_1)
	v_add_co_ci_u32_e64 v5, null, s11, 0, s13
	global_load_u8 v10, v[4:5], off offset:1280
	s_or_b32 exec_lo, exec_lo, s12
	s_mov_b32 s12, exec_lo
	v_cmpx_gt_u32_e64 s0, v37
	s_cbranch_execz .LBB1672_36
	s_branch .LBB1672_35
.LBB1672_62:                            ;   in Loop: Header=BB1672_20 Depth=1
	v_mov_b32_e32 v2, 0
	s_waitcnt vmcnt(0) lgkmcnt(0)
	s_barrier
	buffer_gl0_inv
	s_and_saveexec_b32 s0, s2
	s_cbranch_execz .LBB1672_64
; %bb.63:                               ;   in Loop: Header=BB1672_20 Depth=1
	ds_load_2addr_b64 v[4:7], v40 offset1:1
	s_waitcnt lgkmcnt(0)
	v_add_nc_u32_e32 v2, v5, v4
	s_delay_alu instid0(VALU_DEP_1)
	v_add3_u32 v2, v2, v6, v7
.LBB1672_64:                            ;   in Loop: Header=BB1672_20 Depth=1
	s_or_b32 exec_lo, exec_lo, s0
	v_and_b32_e32 v4, 15, v63
	s_delay_alu instid0(VALU_DEP_2) | instskip(SKIP_1) | instid1(VALU_DEP_3)
	v_mov_b32_dpp v5, v2 row_shr:1 row_mask:0xf bank_mask:0xf
	v_and_b32_e32 v6, 16, v63
	v_cmp_eq_u32_e64 s0, 0, v4
	v_cmp_lt_u32_e64 s1, 1, v4
	v_cmp_lt_u32_e64 s8, 3, v4
	;; [unrolled: 1-line block ×3, first 2 shown]
	v_cmp_eq_u32_e64 s10, 0, v6
	v_cndmask_b32_e64 v5, v5, 0, s0
	s_delay_alu instid0(VALU_DEP_1) | instskip(NEXT) | instid1(VALU_DEP_1)
	v_add_nc_u32_e32 v2, v5, v2
	v_mov_b32_dpp v5, v2 row_shr:2 row_mask:0xf bank_mask:0xf
	s_delay_alu instid0(VALU_DEP_1) | instskip(NEXT) | instid1(VALU_DEP_1)
	v_cndmask_b32_e64 v5, 0, v5, s1
	v_add_nc_u32_e32 v2, v2, v5
	s_delay_alu instid0(VALU_DEP_1) | instskip(NEXT) | instid1(VALU_DEP_1)
	v_mov_b32_dpp v5, v2 row_shr:4 row_mask:0xf bank_mask:0xf
	v_cndmask_b32_e64 v5, 0, v5, s8
	s_delay_alu instid0(VALU_DEP_1) | instskip(NEXT) | instid1(VALU_DEP_1)
	v_add_nc_u32_e32 v2, v2, v5
	v_mov_b32_dpp v5, v2 row_shr:8 row_mask:0xf bank_mask:0xf
	s_delay_alu instid0(VALU_DEP_1) | instskip(SKIP_1) | instid1(VALU_DEP_2)
	v_cndmask_b32_e64 v4, 0, v5, s9
	v_bfe_i32 v5, v63, 4, 1
	v_add_nc_u32_e32 v2, v2, v4
	ds_swizzle_b32 v4, v2 offset:swizzle(BROADCAST,32,15)
	s_waitcnt lgkmcnt(0)
	v_and_b32_e32 v4, v5, v4
	s_delay_alu instid0(VALU_DEP_1)
	v_add_nc_u32_e32 v4, v2, v4
	s_and_saveexec_b32 s11, s3
	s_cbranch_execz .LBB1672_66
; %bb.65:                               ;   in Loop: Header=BB1672_20 Depth=1
	ds_store_b32 v41, v4
.LBB1672_66:                            ;   in Loop: Header=BB1672_20 Depth=1
	s_or_b32 exec_lo, exec_lo, s11
	v_and_b32_e32 v2, 7, v63
	s_waitcnt lgkmcnt(0)
	s_barrier
	buffer_gl0_inv
	s_and_saveexec_b32 s11, s4
	s_cbranch_execz .LBB1672_68
; %bb.67:                               ;   in Loop: Header=BB1672_20 Depth=1
	ds_load_b32 v5, v42
	v_cmp_ne_u32_e32 vcc_lo, 0, v2
	s_waitcnt lgkmcnt(0)
	v_mov_b32_dpp v6, v5 row_shr:1 row_mask:0xf bank_mask:0xf
	s_delay_alu instid0(VALU_DEP_1) | instskip(SKIP_1) | instid1(VALU_DEP_2)
	v_cndmask_b32_e32 v6, 0, v6, vcc_lo
	v_cmp_lt_u32_e32 vcc_lo, 1, v2
	v_add_nc_u32_e32 v5, v6, v5
	s_delay_alu instid0(VALU_DEP_1) | instskip(NEXT) | instid1(VALU_DEP_1)
	v_mov_b32_dpp v6, v5 row_shr:2 row_mask:0xf bank_mask:0xf
	v_cndmask_b32_e32 v6, 0, v6, vcc_lo
	v_cmp_lt_u32_e32 vcc_lo, 3, v2
	s_delay_alu instid0(VALU_DEP_2) | instskip(NEXT) | instid1(VALU_DEP_1)
	v_add_nc_u32_e32 v5, v5, v6
	v_mov_b32_dpp v6, v5 row_shr:4 row_mask:0xf bank_mask:0xf
	s_delay_alu instid0(VALU_DEP_1) | instskip(NEXT) | instid1(VALU_DEP_1)
	v_cndmask_b32_e32 v6, 0, v6, vcc_lo
	v_add_nc_u32_e32 v5, v5, v6
	ds_store_b32 v42, v5
.LBB1672_68:                            ;   in Loop: Header=BB1672_20 Depth=1
	s_or_b32 exec_lo, exec_lo, s11
	v_mov_b32_e32 v5, 0
	s_waitcnt lgkmcnt(0)
	s_barrier
	buffer_gl0_inv
	s_and_saveexec_b32 s11, s5
	s_cbranch_execz .LBB1672_70
; %bb.69:                               ;   in Loop: Header=BB1672_20 Depth=1
	ds_load_b32 v5, v43
.LBB1672_70:                            ;   in Loop: Header=BB1672_20 Depth=1
	s_or_b32 exec_lo, exec_lo, s11
	v_add_nc_u32_e32 v6, -1, v63
	s_waitcnt lgkmcnt(0)
	v_add_nc_u32_e32 v4, v5, v4
	v_cmp_eq_u32_e64 s11, 0, v63
	s_barrier
	v_cmp_gt_i32_e32 vcc_lo, 0, v6
	buffer_gl0_inv
	v_cndmask_b32_e32 v6, v6, v63, vcc_lo
	s_delay_alu instid0(VALU_DEP_1)
	v_lshlrev_b32_e32 v69, 2, v6
	ds_bpermute_b32 v4, v69, v4
	s_and_saveexec_b32 s12, s2
	s_cbranch_execz .LBB1672_72
; %bb.71:                               ;   in Loop: Header=BB1672_20 Depth=1
	s_waitcnt lgkmcnt(0)
	v_cndmask_b32_e64 v4, v4, v5, s11
	s_delay_alu instid0(VALU_DEP_1)
	v_add_nc_u32_e32 v4, s28, v4
	ds_store_b32 v28, v4
.LBB1672_72:                            ;   in Loop: Header=BB1672_20 Depth=1
	s_or_b32 exec_lo, exec_lo, s12
	s_clause 0x1
	s_load_b32 s12, s[26:27], 0x4
	s_load_b32 s17, s[26:27], 0xc
	v_lshlrev_b32_e32 v5, 3, v63
	v_cmp_lt_u32_e64 s16, 3, v2
	v_or_b32_e32 v70, v63, v44
	s_mov_b32 s35, s34
	s_mov_b32 s24, s28
	v_add_co_u32 v71, vcc_lo, v50, v5
	v_add_co_ci_u32_e32 v72, vcc_lo, 0, v51, vcc_lo
	v_add_co_u32 v81, vcc_lo, 0xe0, v67
	v_or_b32_e32 v73, 32, v70
	v_or_b32_e32 v74, 64, v70
	;; [unrolled: 1-line block ×7, first 2 shown]
	s_waitcnt lgkmcnt(0)
	s_cmp_lt_u32 s15, s12
	v_add_co_ci_u32_e32 v82, vcc_lo, 0, v68, vcc_lo
	s_cselect_b32 s12, 14, 20
                                        ; implicit-def: $vgpr6_vgpr7
                                        ; implicit-def: $vgpr8_vgpr9
                                        ; implicit-def: $vgpr10_vgpr11
                                        ; implicit-def: $vgpr12_vgpr13
                                        ; implicit-def: $vgpr14_vgpr15
                                        ; implicit-def: $vgpr16_vgpr17
                                        ; implicit-def: $vgpr18_vgpr19
                                        ; implicit-def: $vgpr83
                                        ; implicit-def: $vgpr84
                                        ; implicit-def: $vgpr85
                                        ; implicit-def: $vgpr86
                                        ; implicit-def: $vgpr87
                                        ; implicit-def: $vgpr88
                                        ; implicit-def: $vgpr89
                                        ; implicit-def: $vgpr90
	s_delay_alu instid0(SALU_CYCLE_1)
	s_add_u32 s12, s26, s12
	s_addc_u32 s13, s27, 0
	s_and_b32 s17, s17, 0xffff
	global_load_u16 v4, v3, s[12:13]
	v_cmp_eq_u32_e64 s12, 0, v2
	v_cmp_lt_u32_e64 s13, 1, v2
	s_waitcnt vmcnt(0)
	v_mad_u32_u24 v2, v45, v4, v0
	s_delay_alu instid0(VALU_DEP_1) | instskip(NEXT) | instid1(VALU_DEP_1)
	v_mad_u64_u32 v[4:5], null, v2, s17, v[1:2]
	v_lshrrev_b32_e32 v80, 5, v4
                                        ; implicit-def: $vgpr4_vgpr5
	s_branch .LBB1672_74
.LBB1672_73:                            ;   in Loop: Header=BB1672_74 Depth=2
	s_or_b32 exec_lo, exec_lo, s17
	s_addk_i32 s35, 0xf800
	s_cmp_lt_u32 s42, s29
	s_mov_b32 s24, s42
	s_cbranch_scc0 .LBB1672_186
.LBB1672_74:                            ;   Parent Loop BB1672_20 Depth=1
                                        ; =>  This Inner Loop Header: Depth=2
	s_add_i32 s42, s24, 0x800
	s_delay_alu instid0(SALU_CYCLE_1)
	s_cmp_gt_u32 s42, s29
	s_cbranch_scc1 .LBB1672_77
; %bb.75:                               ;   in Loop: Header=BB1672_74 Depth=2
	v_add_co_u32 v20, vcc_lo, v67, s24
	v_add_co_ci_u32_e32 v21, vcc_lo, 0, v68, vcc_lo
	s_mov_b32 s19, 0
	s_mov_b32 s18, s24
	s_mov_b32 s20, -1
	s_clause 0x6
	global_load_u8 v91, v[20:21], off
	global_load_u8 v92, v[20:21], off offset:32
	global_load_u8 v93, v[20:21], off offset:64
	;; [unrolled: 1-line block ×6, first 2 shown]
	s_movk_i32 s17, 0x800
	s_cbranch_execz .LBB1672_78
; %bb.76:                               ;   in Loop: Header=BB1672_74 Depth=2
                                        ; implicit-def: $sgpr21
	v_mov_b32_e32 v98, s21
	v_mov_b32_e32 v2, s35
	s_and_saveexec_b32 s21, s20
	s_cbranch_execnz .LBB1672_93
	s_branch .LBB1672_94
.LBB1672_77:                            ;   in Loop: Header=BB1672_74 Depth=2
	s_mov_b32 s19, -1
	s_mov_b32 s20, 0
                                        ; implicit-def: $sgpr17
                                        ; implicit-def: $vgpr91
                                        ; implicit-def: $vgpr92
                                        ; implicit-def: $vgpr93
                                        ; implicit-def: $vgpr94
                                        ; implicit-def: $vgpr95
                                        ; implicit-def: $vgpr96
                                        ; implicit-def: $vgpr97
.LBB1672_78:                            ;   in Loop: Header=BB1672_74 Depth=2
	v_add_co_u32 v20, vcc_lo, v67, s24
	v_add_co_ci_u32_e32 v21, vcc_lo, 0, v68, vcc_lo
	s_waitcnt vmcnt(5)
	v_dual_mov_b32 v92, 1 :: v_dual_mov_b32 v91, 1
	s_mov_b32 s17, exec_lo
	v_cmpx_gt_u32_e64 s35, v70
	s_cbranch_execz .LBB1672_80
; %bb.79:                               ;   in Loop: Header=BB1672_74 Depth=2
	global_load_u8 v91, v[20:21], off
.LBB1672_80:                            ;   in Loop: Header=BB1672_74 Depth=2
	s_or_b32 exec_lo, exec_lo, s17
	s_delay_alu instid0(SALU_CYCLE_1)
	s_mov_b32 s17, exec_lo
	v_cmpx_gt_u32_e64 s35, v73
	s_cbranch_execz .LBB1672_82
; %bb.81:                               ;   in Loop: Header=BB1672_74 Depth=2
	global_load_u8 v92, v[20:21], off offset:32
.LBB1672_82:                            ;   in Loop: Header=BB1672_74 Depth=2
	s_or_b32 exec_lo, exec_lo, s17
	s_waitcnt vmcnt(3)
	v_dual_mov_b32 v94, 1 :: v_dual_mov_b32 v93, 1
	s_mov_b32 s17, exec_lo
	v_cmpx_gt_u32_e64 s35, v74
	s_cbranch_execz .LBB1672_84
; %bb.83:                               ;   in Loop: Header=BB1672_74 Depth=2
	global_load_u8 v93, v[20:21], off offset:64
.LBB1672_84:                            ;   in Loop: Header=BB1672_74 Depth=2
	s_or_b32 exec_lo, exec_lo, s17
	s_delay_alu instid0(SALU_CYCLE_1)
	s_mov_b32 s17, exec_lo
	v_cmpx_gt_u32_e64 s35, v75
	s_cbranch_execz .LBB1672_86
; %bb.85:                               ;   in Loop: Header=BB1672_74 Depth=2
	global_load_u8 v94, v[20:21], off offset:96
.LBB1672_86:                            ;   in Loop: Header=BB1672_74 Depth=2
	s_or_b32 exec_lo, exec_lo, s17
	s_waitcnt vmcnt(1)
	v_dual_mov_b32 v96, 1 :: v_dual_mov_b32 v95, 1
	s_mov_b32 s17, exec_lo
	v_cmpx_gt_u32_e64 s35, v76
	s_cbranch_execz .LBB1672_88
; %bb.87:                               ;   in Loop: Header=BB1672_74 Depth=2
	global_load_u8 v95, v[20:21], off offset:128
.LBB1672_88:                            ;   in Loop: Header=BB1672_74 Depth=2
	s_or_b32 exec_lo, exec_lo, s17
	s_delay_alu instid0(SALU_CYCLE_1)
	s_mov_b32 s17, exec_lo
	v_cmpx_gt_u32_e64 s35, v77
	s_cbranch_execz .LBB1672_90
; %bb.89:                               ;   in Loop: Header=BB1672_74 Depth=2
	global_load_u8 v96, v[20:21], off offset:160
.LBB1672_90:                            ;   in Loop: Header=BB1672_74 Depth=2
	s_or_b32 exec_lo, exec_lo, s17
	s_waitcnt vmcnt(0)
	v_mov_b32_e32 v97, 1
	s_mov_b32 s17, exec_lo
	v_cmpx_gt_u32_e64 s35, v78
	s_cbranch_execz .LBB1672_92
; %bb.91:                               ;   in Loop: Header=BB1672_74 Depth=2
	global_load_u8 v97, v[20:21], off offset:192
.LBB1672_92:                            ;   in Loop: Header=BB1672_74 Depth=2
	s_or_b32 exec_lo, exec_lo, s17
	v_cmp_gt_u32_e64 s20, s35, v79
	s_sub_i32 s17, s29, s24
	s_mov_b32 s21, 1
	s_mov_b64 s[18:19], s[24:25]
	v_mov_b32_e32 v98, s21
	v_mov_b32_e32 v2, s35
	s_and_saveexec_b32 s21, s20
	s_cbranch_execz .LBB1672_94
.LBB1672_93:                            ;   in Loop: Header=BB1672_74 Depth=2
	v_add_co_u32 v20, vcc_lo, v81, s18
	v_add_co_ci_u32_e32 v21, vcc_lo, s19, v82, vcc_lo
	v_mov_b32_e32 v2, s17
	global_load_u8 v98, v[20:21], off
.LBB1672_94:                            ;   in Loop: Header=BB1672_74 Depth=2
	s_or_b32 exec_lo, exec_lo, s21
	s_waitcnt vmcnt(6)
	v_and_b32_e32 v20, 0xff, v91
	ds_store_b32 v46, v3 offset:1056
	ds_store_2addr_b32 v47, v3, v3 offset0:1 offset1:2
	ds_store_2addr_b32 v47, v3, v3 offset0:3 offset1:4
	;; [unrolled: 1-line block ×4, first 2 shown]
	s_waitcnt vmcnt(0) lgkmcnt(0)
	s_barrier
	v_lshrrev_b32_e32 v20, s30, v20
	buffer_gl0_inv
	; wave barrier
	v_and_b32_e32 v21, s31, v20
	s_delay_alu instid0(VALU_DEP_1) | instskip(NEXT) | instid1(VALU_DEP_1)
	v_add_co_u32 v20, s17, v21, -1
	v_cndmask_b32_e64 v22, 0, 1, s17
	v_mad_u32_u24 v21, v21, 9, v80
	s_delay_alu instid0(VALU_DEP_2) | instskip(NEXT) | instid1(VALU_DEP_2)
	v_cmp_ne_u32_e32 vcc_lo, 0, v22
	v_lshl_add_u32 v100, v21, 2, 0x420
	v_xor_b32_e32 v20, vcc_lo, v20
	s_delay_alu instid0(VALU_DEP_1) | instskip(NEXT) | instid1(VALU_DEP_1)
	v_and_b32_e32 v20, exec_lo, v20
	v_mbcnt_lo_u32_b32 v99, v20, 0
	v_cmp_ne_u32_e64 s17, 0, v20
	s_delay_alu instid0(VALU_DEP_2) | instskip(NEXT) | instid1(VALU_DEP_2)
	v_cmp_eq_u32_e32 vcc_lo, 0, v99
	s_and_b32 s18, s17, vcc_lo
	s_delay_alu instid0(SALU_CYCLE_1)
	s_and_saveexec_b32 s17, s18
	s_cbranch_execz .LBB1672_96
; %bb.95:                               ;   in Loop: Header=BB1672_74 Depth=2
	v_bcnt_u32_b32 v20, v20, 0
	ds_store_b32 v100, v20
.LBB1672_96:                            ;   in Loop: Header=BB1672_74 Depth=2
	s_or_b32 exec_lo, exec_lo, s17
	v_and_b32_e32 v20, 0xff, v92
	; wave barrier
	s_delay_alu instid0(VALU_DEP_1) | instskip(NEXT) | instid1(VALU_DEP_1)
	v_lshrrev_b32_e32 v20, s30, v20
	v_and_b32_e32 v20, s31, v20
	s_delay_alu instid0(VALU_DEP_1) | instskip(NEXT) | instid1(VALU_DEP_1)
	v_add_co_u32 v21, s17, v20, -1
	v_cndmask_b32_e64 v22, 0, 1, s17
	v_mul_u32_u24_e32 v20, 9, v20
	s_delay_alu instid0(VALU_DEP_2) | instskip(NEXT) | instid1(VALU_DEP_2)
	v_cmp_ne_u32_e32 vcc_lo, 0, v22
	v_add_lshl_u32 v22, v20, v80, 2
	v_xor_b32_e32 v20, vcc_lo, v21
	ds_load_b32 v101, v22 offset:1056
	v_add_nc_u32_e32 v103, 0x420, v22
	; wave barrier
	v_and_b32_e32 v20, exec_lo, v20
	s_delay_alu instid0(VALU_DEP_1) | instskip(SKIP_1) | instid1(VALU_DEP_2)
	v_mbcnt_lo_u32_b32 v102, v20, 0
	v_cmp_ne_u32_e64 s17, 0, v20
	v_cmp_eq_u32_e32 vcc_lo, 0, v102
	s_delay_alu instid0(VALU_DEP_2) | instskip(NEXT) | instid1(SALU_CYCLE_1)
	s_and_b32 s18, s17, vcc_lo
	s_and_saveexec_b32 s17, s18
	s_cbranch_execz .LBB1672_98
; %bb.97:                               ;   in Loop: Header=BB1672_74 Depth=2
	s_waitcnt lgkmcnt(0)
	v_bcnt_u32_b32 v20, v20, v101
	ds_store_b32 v103, v20
.LBB1672_98:                            ;   in Loop: Header=BB1672_74 Depth=2
	s_or_b32 exec_lo, exec_lo, s17
	v_and_b32_e32 v20, 0xff, v93
	; wave barrier
	s_delay_alu instid0(VALU_DEP_1) | instskip(NEXT) | instid1(VALU_DEP_1)
	v_lshrrev_b32_e32 v20, s30, v20
	v_and_b32_e32 v20, s31, v20
	s_delay_alu instid0(VALU_DEP_1) | instskip(NEXT) | instid1(VALU_DEP_1)
	v_add_co_u32 v21, s17, v20, -1
	v_cndmask_b32_e64 v22, 0, 1, s17
	v_mul_u32_u24_e32 v20, 9, v20
	s_delay_alu instid0(VALU_DEP_2) | instskip(NEXT) | instid1(VALU_DEP_2)
	v_cmp_ne_u32_e32 vcc_lo, 0, v22
	v_add_lshl_u32 v22, v20, v80, 2
	v_xor_b32_e32 v20, vcc_lo, v21
	ds_load_b32 v104, v22 offset:1056
	v_add_nc_u32_e32 v107, 0x420, v22
	; wave barrier
	v_and_b32_e32 v20, exec_lo, v20
	s_delay_alu instid0(VALU_DEP_1) | instskip(SKIP_1) | instid1(VALU_DEP_2)
	v_mbcnt_lo_u32_b32 v105, v20, 0
	v_cmp_ne_u32_e64 s17, 0, v20
	v_cmp_eq_u32_e32 vcc_lo, 0, v105
	s_delay_alu instid0(VALU_DEP_2) | instskip(NEXT) | instid1(SALU_CYCLE_1)
	s_and_b32 s18, s17, vcc_lo
	s_and_saveexec_b32 s17, s18
	s_cbranch_execz .LBB1672_100
; %bb.99:                               ;   in Loop: Header=BB1672_74 Depth=2
	s_waitcnt lgkmcnt(0)
	v_bcnt_u32_b32 v20, v20, v104
	ds_store_b32 v107, v20
.LBB1672_100:                           ;   in Loop: Header=BB1672_74 Depth=2
	s_or_b32 exec_lo, exec_lo, s17
	v_and_b32_e32 v20, 0xff, v94
	; wave barrier
	s_delay_alu instid0(VALU_DEP_1) | instskip(NEXT) | instid1(VALU_DEP_1)
	v_lshrrev_b32_e32 v20, s30, v20
	v_and_b32_e32 v20, s31, v20
	s_delay_alu instid0(VALU_DEP_1) | instskip(NEXT) | instid1(VALU_DEP_1)
	v_add_co_u32 v21, s17, v20, -1
	v_cndmask_b32_e64 v22, 0, 1, s17
	v_mul_u32_u24_e32 v20, 9, v20
	s_delay_alu instid0(VALU_DEP_2) | instskip(NEXT) | instid1(VALU_DEP_2)
	v_cmp_ne_u32_e32 vcc_lo, 0, v22
	v_add_lshl_u32 v22, v20, v80, 2
	v_xor_b32_e32 v20, vcc_lo, v21
	ds_load_b32 v106, v22 offset:1056
	v_add_nc_u32_e32 v110, 0x420, v22
	; wave barrier
	v_and_b32_e32 v20, exec_lo, v20
	s_delay_alu instid0(VALU_DEP_1) | instskip(SKIP_1) | instid1(VALU_DEP_2)
	v_mbcnt_lo_u32_b32 v108, v20, 0
	v_cmp_ne_u32_e64 s17, 0, v20
	v_cmp_eq_u32_e32 vcc_lo, 0, v108
	s_delay_alu instid0(VALU_DEP_2) | instskip(NEXT) | instid1(SALU_CYCLE_1)
	s_and_b32 s18, s17, vcc_lo
	s_and_saveexec_b32 s17, s18
	s_cbranch_execz .LBB1672_102
; %bb.101:                              ;   in Loop: Header=BB1672_74 Depth=2
	s_waitcnt lgkmcnt(0)
	v_bcnt_u32_b32 v20, v20, v106
	ds_store_b32 v110, v20
.LBB1672_102:                           ;   in Loop: Header=BB1672_74 Depth=2
	s_or_b32 exec_lo, exec_lo, s17
	v_and_b32_e32 v20, 0xff, v95
	; wave barrier
	s_delay_alu instid0(VALU_DEP_1) | instskip(NEXT) | instid1(VALU_DEP_1)
	v_lshrrev_b32_e32 v20, s30, v20
	v_and_b32_e32 v20, s31, v20
	s_delay_alu instid0(VALU_DEP_1) | instskip(NEXT) | instid1(VALU_DEP_1)
	v_add_co_u32 v21, s17, v20, -1
	v_cndmask_b32_e64 v22, 0, 1, s17
	v_mul_u32_u24_e32 v20, 9, v20
	s_delay_alu instid0(VALU_DEP_2) | instskip(NEXT) | instid1(VALU_DEP_2)
	v_cmp_ne_u32_e32 vcc_lo, 0, v22
	v_add_lshl_u32 v22, v20, v80, 2
	v_xor_b32_e32 v20, vcc_lo, v21
	ds_load_b32 v109, v22 offset:1056
	v_add_nc_u32_e32 v113, 0x420, v22
	; wave barrier
	v_and_b32_e32 v20, exec_lo, v20
	s_delay_alu instid0(VALU_DEP_1) | instskip(SKIP_1) | instid1(VALU_DEP_2)
	v_mbcnt_lo_u32_b32 v111, v20, 0
	v_cmp_ne_u32_e64 s17, 0, v20
	v_cmp_eq_u32_e32 vcc_lo, 0, v111
	s_delay_alu instid0(VALU_DEP_2) | instskip(NEXT) | instid1(SALU_CYCLE_1)
	s_and_b32 s18, s17, vcc_lo
	s_and_saveexec_b32 s17, s18
	s_cbranch_execz .LBB1672_104
; %bb.103:                              ;   in Loop: Header=BB1672_74 Depth=2
	s_waitcnt lgkmcnt(0)
	v_bcnt_u32_b32 v20, v20, v109
	ds_store_b32 v113, v20
.LBB1672_104:                           ;   in Loop: Header=BB1672_74 Depth=2
	s_or_b32 exec_lo, exec_lo, s17
	v_and_b32_e32 v20, 0xff, v96
	; wave barrier
	s_delay_alu instid0(VALU_DEP_1) | instskip(NEXT) | instid1(VALU_DEP_1)
	v_lshrrev_b32_e32 v20, s30, v20
	v_and_b32_e32 v20, s31, v20
	s_delay_alu instid0(VALU_DEP_1) | instskip(NEXT) | instid1(VALU_DEP_1)
	v_add_co_u32 v21, s17, v20, -1
	v_cndmask_b32_e64 v22, 0, 1, s17
	v_mul_u32_u24_e32 v20, 9, v20
	s_delay_alu instid0(VALU_DEP_2) | instskip(NEXT) | instid1(VALU_DEP_2)
	v_cmp_ne_u32_e32 vcc_lo, 0, v22
	v_add_lshl_u32 v22, v20, v80, 2
	v_xor_b32_e32 v20, vcc_lo, v21
	ds_load_b32 v112, v22 offset:1056
	v_add_nc_u32_e32 v116, 0x420, v22
	; wave barrier
	v_and_b32_e32 v20, exec_lo, v20
	s_delay_alu instid0(VALU_DEP_1) | instskip(SKIP_1) | instid1(VALU_DEP_2)
	v_mbcnt_lo_u32_b32 v114, v20, 0
	v_cmp_ne_u32_e64 s17, 0, v20
	v_cmp_eq_u32_e32 vcc_lo, 0, v114
	s_delay_alu instid0(VALU_DEP_2) | instskip(NEXT) | instid1(SALU_CYCLE_1)
	s_and_b32 s18, s17, vcc_lo
	s_and_saveexec_b32 s17, s18
	s_cbranch_execz .LBB1672_106
; %bb.105:                              ;   in Loop: Header=BB1672_74 Depth=2
	s_waitcnt lgkmcnt(0)
	v_bcnt_u32_b32 v20, v20, v112
	ds_store_b32 v116, v20
.LBB1672_106:                           ;   in Loop: Header=BB1672_74 Depth=2
	s_or_b32 exec_lo, exec_lo, s17
	v_and_b32_e32 v20, 0xff, v97
	; wave barrier
	s_delay_alu instid0(VALU_DEP_1) | instskip(NEXT) | instid1(VALU_DEP_1)
	v_lshrrev_b32_e32 v20, s30, v20
	v_and_b32_e32 v20, s31, v20
	s_delay_alu instid0(VALU_DEP_1) | instskip(NEXT) | instid1(VALU_DEP_1)
	v_add_co_u32 v21, s17, v20, -1
	v_cndmask_b32_e64 v22, 0, 1, s17
	v_mul_u32_u24_e32 v20, 9, v20
	s_delay_alu instid0(VALU_DEP_2) | instskip(NEXT) | instid1(VALU_DEP_2)
	v_cmp_ne_u32_e32 vcc_lo, 0, v22
	v_add_lshl_u32 v22, v20, v80, 2
	v_xor_b32_e32 v20, vcc_lo, v21
	ds_load_b32 v115, v22 offset:1056
	v_add_nc_u32_e32 v119, 0x420, v22
	; wave barrier
	v_and_b32_e32 v20, exec_lo, v20
	s_delay_alu instid0(VALU_DEP_1) | instskip(SKIP_1) | instid1(VALU_DEP_2)
	v_mbcnt_lo_u32_b32 v117, v20, 0
	v_cmp_ne_u32_e64 s17, 0, v20
	v_cmp_eq_u32_e32 vcc_lo, 0, v117
	s_delay_alu instid0(VALU_DEP_2) | instskip(NEXT) | instid1(SALU_CYCLE_1)
	s_and_b32 s18, s17, vcc_lo
	s_and_saveexec_b32 s17, s18
	s_cbranch_execz .LBB1672_108
; %bb.107:                              ;   in Loop: Header=BB1672_74 Depth=2
	s_waitcnt lgkmcnt(0)
	v_bcnt_u32_b32 v20, v20, v115
	ds_store_b32 v119, v20
.LBB1672_108:                           ;   in Loop: Header=BB1672_74 Depth=2
	s_or_b32 exec_lo, exec_lo, s17
	v_and_b32_e32 v20, 0xff, v98
	; wave barrier
	s_delay_alu instid0(VALU_DEP_1) | instskip(NEXT) | instid1(VALU_DEP_1)
	v_lshrrev_b32_e32 v20, s30, v20
	v_and_b32_e32 v20, s31, v20
	s_delay_alu instid0(VALU_DEP_1) | instskip(NEXT) | instid1(VALU_DEP_1)
	v_add_co_u32 v21, s17, v20, -1
	v_cndmask_b32_e64 v22, 0, 1, s17
	v_mul_u32_u24_e32 v20, 9, v20
	s_delay_alu instid0(VALU_DEP_2) | instskip(NEXT) | instid1(VALU_DEP_2)
	v_cmp_ne_u32_e32 vcc_lo, 0, v22
	v_add_lshl_u32 v22, v20, v80, 2
	v_xor_b32_e32 v20, vcc_lo, v21
	ds_load_b32 v118, v22 offset:1056
	v_add_nc_u32_e32 v121, 0x420, v22
	; wave barrier
	v_and_b32_e32 v20, exec_lo, v20
	s_delay_alu instid0(VALU_DEP_1) | instskip(SKIP_1) | instid1(VALU_DEP_2)
	v_mbcnt_lo_u32_b32 v120, v20, 0
	v_cmp_ne_u32_e64 s17, 0, v20
	v_cmp_eq_u32_e32 vcc_lo, 0, v120
	s_delay_alu instid0(VALU_DEP_2) | instskip(NEXT) | instid1(SALU_CYCLE_1)
	s_and_b32 s18, s17, vcc_lo
	s_and_saveexec_b32 s17, s18
	s_cbranch_execz .LBB1672_110
; %bb.109:                              ;   in Loop: Header=BB1672_74 Depth=2
	s_waitcnt lgkmcnt(0)
	v_bcnt_u32_b32 v20, v20, v118
	ds_store_b32 v121, v20
.LBB1672_110:                           ;   in Loop: Header=BB1672_74 Depth=2
	s_or_b32 exec_lo, exec_lo, s17
	; wave barrier
	s_waitcnt lgkmcnt(0)
	s_barrier
	buffer_gl0_inv
	ds_load_b32 v122, v46 offset:1056
	ds_load_2addr_b32 v[26:27], v47 offset0:1 offset1:2
	ds_load_2addr_b32 v[24:25], v47 offset0:3 offset1:4
	;; [unrolled: 1-line block ×4, first 2 shown]
	s_waitcnt lgkmcnt(3)
	v_add3_u32 v123, v26, v122, v27
	s_waitcnt lgkmcnt(2)
	s_delay_alu instid0(VALU_DEP_1) | instskip(SKIP_1) | instid1(VALU_DEP_1)
	v_add3_u32 v123, v123, v24, v25
	s_waitcnt lgkmcnt(1)
	v_add3_u32 v123, v123, v20, v21
	s_waitcnt lgkmcnt(0)
	s_delay_alu instid0(VALU_DEP_1) | instskip(NEXT) | instid1(VALU_DEP_1)
	v_add3_u32 v23, v123, v22, v23
	v_mov_b32_dpp v123, v23 row_shr:1 row_mask:0xf bank_mask:0xf
	s_delay_alu instid0(VALU_DEP_1) | instskip(NEXT) | instid1(VALU_DEP_1)
	v_cndmask_b32_e64 v123, v123, 0, s0
	v_add_nc_u32_e32 v23, v123, v23
	s_delay_alu instid0(VALU_DEP_1) | instskip(NEXT) | instid1(VALU_DEP_1)
	v_mov_b32_dpp v123, v23 row_shr:2 row_mask:0xf bank_mask:0xf
	v_cndmask_b32_e64 v123, 0, v123, s1
	s_delay_alu instid0(VALU_DEP_1) | instskip(NEXT) | instid1(VALU_DEP_1)
	v_add_nc_u32_e32 v23, v23, v123
	v_mov_b32_dpp v123, v23 row_shr:4 row_mask:0xf bank_mask:0xf
	s_delay_alu instid0(VALU_DEP_1) | instskip(NEXT) | instid1(VALU_DEP_1)
	v_cndmask_b32_e64 v123, 0, v123, s8
	v_add_nc_u32_e32 v23, v23, v123
	s_delay_alu instid0(VALU_DEP_1) | instskip(NEXT) | instid1(VALU_DEP_1)
	v_mov_b32_dpp v123, v23 row_shr:8 row_mask:0xf bank_mask:0xf
	v_cndmask_b32_e64 v123, 0, v123, s9
	s_delay_alu instid0(VALU_DEP_1) | instskip(SKIP_3) | instid1(VALU_DEP_1)
	v_add_nc_u32_e32 v23, v23, v123
	ds_swizzle_b32 v123, v23 offset:swizzle(BROADCAST,32,15)
	s_waitcnt lgkmcnt(0)
	v_cndmask_b32_e64 v123, v123, 0, s10
	v_add_nc_u32_e32 v23, v23, v123
	s_and_saveexec_b32 s17, s3
	s_cbranch_execz .LBB1672_112
; %bb.111:                              ;   in Loop: Header=BB1672_74 Depth=2
	ds_store_b32 v38, v23 offset:1024
.LBB1672_112:                           ;   in Loop: Header=BB1672_74 Depth=2
	s_or_b32 exec_lo, exec_lo, s17
	s_waitcnt lgkmcnt(0)
	s_barrier
	buffer_gl0_inv
	s_and_saveexec_b32 s17, s4
	s_cbranch_execz .LBB1672_114
; %bb.113:                              ;   in Loop: Header=BB1672_74 Depth=2
	v_add_nc_u32_e32 v123, v46, v48
	ds_load_b32 v124, v123 offset:1024
	s_waitcnt lgkmcnt(0)
	v_mov_b32_dpp v125, v124 row_shr:1 row_mask:0xf bank_mask:0xf
	s_delay_alu instid0(VALU_DEP_1) | instskip(NEXT) | instid1(VALU_DEP_1)
	v_cndmask_b32_e64 v125, v125, 0, s12
	v_add_nc_u32_e32 v124, v125, v124
	s_delay_alu instid0(VALU_DEP_1) | instskip(NEXT) | instid1(VALU_DEP_1)
	v_mov_b32_dpp v125, v124 row_shr:2 row_mask:0xf bank_mask:0xf
	v_cndmask_b32_e64 v125, 0, v125, s13
	s_delay_alu instid0(VALU_DEP_1) | instskip(NEXT) | instid1(VALU_DEP_1)
	v_add_nc_u32_e32 v124, v124, v125
	v_mov_b32_dpp v125, v124 row_shr:4 row_mask:0xf bank_mask:0xf
	s_delay_alu instid0(VALU_DEP_1) | instskip(NEXT) | instid1(VALU_DEP_1)
	v_cndmask_b32_e64 v125, 0, v125, s16
	v_add_nc_u32_e32 v124, v124, v125
	ds_store_b32 v123, v124 offset:1024
.LBB1672_114:                           ;   in Loop: Header=BB1672_74 Depth=2
	s_or_b32 exec_lo, exec_lo, s17
	v_mov_b32_e32 v123, 0
	s_waitcnt lgkmcnt(0)
	s_barrier
	buffer_gl0_inv
	s_and_saveexec_b32 s17, s5
	s_cbranch_execz .LBB1672_116
; %bb.115:                              ;   in Loop: Header=BB1672_74 Depth=2
	ds_load_b32 v123, v38 offset:1020
.LBB1672_116:                           ;   in Loop: Header=BB1672_74 Depth=2
	s_or_b32 exec_lo, exec_lo, s17
	s_waitcnt lgkmcnt(0)
	v_add_nc_u32_e32 v23, v123, v23
	ds_bpermute_b32 v23, v69, v23
	s_waitcnt lgkmcnt(0)
	v_cndmask_b32_e64 v23, v23, v123, s11
	s_delay_alu instid0(VALU_DEP_1) | instskip(NEXT) | instid1(VALU_DEP_1)
	v_cndmask_b32_e64 v23, v23, 0, s6
	v_add_nc_u32_e32 v122, v23, v122
	s_delay_alu instid0(VALU_DEP_1) | instskip(NEXT) | instid1(VALU_DEP_1)
	v_add_nc_u32_e32 v26, v122, v26
	v_add_nc_u32_e32 v27, v26, v27
	s_delay_alu instid0(VALU_DEP_1) | instskip(NEXT) | instid1(VALU_DEP_1)
	v_add_nc_u32_e32 v24, v27, v24
	;; [unrolled: 3-line block ×3, first 2 shown]
	v_add_nc_u32_e32 v21, v20, v21
	s_delay_alu instid0(VALU_DEP_1)
	v_add_nc_u32_e32 v22, v21, v22
	ds_store_b32 v46, v23 offset:1056
	ds_store_2addr_b32 v47, v122, v26 offset0:1 offset1:2
	ds_store_2addr_b32 v47, v27, v24 offset0:3 offset1:4
	;; [unrolled: 1-line block ×4, first 2 shown]
	v_mov_b32_e32 v22, 0x800
	s_waitcnt lgkmcnt(0)
	s_barrier
	buffer_gl0_inv
	ds_load_b32 v20, v103
	ds_load_b32 v21, v107
	;; [unrolled: 1-line block ×8, first 2 shown]
	ds_load_b32 v27, v46 offset:1056
	s_and_saveexec_b32 s17, s7
	s_cbranch_execz .LBB1672_118
; %bb.117:                              ;   in Loop: Header=BB1672_74 Depth=2
	ds_load_b32 v22, v49 offset:1056
.LBB1672_118:                           ;   in Loop: Header=BB1672_74 Depth=2
	s_or_b32 exec_lo, exec_lo, s17
	s_waitcnt lgkmcnt(0)
	s_barrier
	buffer_gl0_inv
	s_and_saveexec_b32 s17, s2
	s_cbranch_execz .LBB1672_120
; %bb.119:                              ;   in Loop: Header=BB1672_74 Depth=2
	ds_load_b32 v100, v28
	s_waitcnt lgkmcnt(0)
	v_sub_nc_u32_e32 v27, v100, v27
	ds_store_b32 v28, v27
.LBB1672_120:                           ;   in Loop: Header=BB1672_74 Depth=2
	s_or_b32 exec_lo, exec_lo, s17
	v_add_nc_u32_e32 v103, v26, v99
	v_add3_u32 v100, v102, v101, v20
	v_add3_u32 v99, v105, v104, v21
	;; [unrolled: 1-line block ×7, first 2 shown]
	v_cmp_lt_u32_e64 s23, v1, v2
	ds_store_b8 v103, v91 offset:1024
	ds_store_b8 v100, v92 offset:1024
	;; [unrolled: 1-line block ×8, first 2 shown]
	s_waitcnt lgkmcnt(0)
	s_barrier
	buffer_gl0_inv
	s_and_saveexec_b32 s17, s23
	s_cbranch_execz .LBB1672_128
; %bb.121:                              ;   in Loop: Header=BB1672_74 Depth=2
	ds_load_u8 v20, v1 offset:1024
	s_waitcnt lgkmcnt(0)
	v_and_b32_e32 v21, 1, v20
	s_delay_alu instid0(VALU_DEP_1) | instskip(NEXT) | instid1(VALU_DEP_1)
	v_lshrrev_b32_e32 v21, s30, v21
	v_and_b32_e32 v21, s31, v21
	s_delay_alu instid0(VALU_DEP_1)
	v_lshlrev_b32_e32 v21, 2, v21
	ds_load_b32 v21, v21
	s_waitcnt lgkmcnt(0)
	v_add_nc_u32_e32 v21, v21, v1
	global_store_b8 v21, v20, s[38:39]
	s_or_b32 exec_lo, exec_lo, s17
	v_cmp_lt_u32_e64 s22, v29, v2
	s_delay_alu instid0(VALU_DEP_1)
	s_and_saveexec_b32 s17, s22
	s_cbranch_execnz .LBB1672_129
.LBB1672_122:                           ;   in Loop: Header=BB1672_74 Depth=2
	s_or_b32 exec_lo, exec_lo, s17
	v_cmp_lt_u32_e64 s21, v30, v2
	s_delay_alu instid0(VALU_DEP_1)
	s_and_saveexec_b32 s17, s21
	s_cbranch_execz .LBB1672_130
.LBB1672_123:                           ;   in Loop: Header=BB1672_74 Depth=2
	ds_load_u8 v20, v35 offset:512
	s_waitcnt lgkmcnt(0)
	v_and_b32_e32 v21, 1, v20
	s_delay_alu instid0(VALU_DEP_1) | instskip(NEXT) | instid1(VALU_DEP_1)
	v_lshrrev_b32_e32 v21, s30, v21
	v_and_b32_e32 v21, s31, v21
	s_delay_alu instid0(VALU_DEP_1)
	v_lshlrev_b32_e32 v21, 2, v21
	ds_load_b32 v21, v21
	s_waitcnt lgkmcnt(0)
	v_add_nc_u32_e32 v21, v21, v30
	global_store_b8 v21, v20, s[38:39]
	s_or_b32 exec_lo, exec_lo, s17
	v_cmp_lt_u32_e64 s20, v31, v2
	s_delay_alu instid0(VALU_DEP_1)
	s_and_saveexec_b32 s17, s20
	s_cbranch_execnz .LBB1672_131
.LBB1672_124:                           ;   in Loop: Header=BB1672_74 Depth=2
	s_or_b32 exec_lo, exec_lo, s17
	v_cmp_lt_u32_e64 s19, v35, v2
	s_delay_alu instid0(VALU_DEP_1)
	s_and_saveexec_b32 s17, s19
	s_cbranch_execz .LBB1672_132
.LBB1672_125:                           ;   in Loop: Header=BB1672_74 Depth=2
	ds_load_u8 v20, v35 offset:1024
	s_waitcnt lgkmcnt(0)
	v_and_b32_e32 v21, 1, v20
	s_delay_alu instid0(VALU_DEP_1) | instskip(NEXT) | instid1(VALU_DEP_1)
	v_lshrrev_b32_e32 v21, s30, v21
	v_and_b32_e32 v21, s31, v21
	s_delay_alu instid0(VALU_DEP_1)
	v_lshlrev_b32_e32 v21, 2, v21
	ds_load_b32 v21, v21
	s_waitcnt lgkmcnt(0)
	v_add_nc_u32_e32 v21, v21, v35
	global_store_b8 v21, v20, s[38:39]
	s_or_b32 exec_lo, exec_lo, s17
	v_cmp_lt_u32_e64 s18, v36, v2
	s_delay_alu instid0(VALU_DEP_1)
	s_and_saveexec_b32 s17, s18
	s_cbranch_execnz .LBB1672_133
.LBB1672_126:                           ;   in Loop: Header=BB1672_74 Depth=2
	s_or_b32 exec_lo, exec_lo, s17
	v_cmp_lt_u32_e64 s17, v37, v2
	s_delay_alu instid0(VALU_DEP_1)
	s_and_saveexec_b32 s43, s17
	s_cbranch_execz .LBB1672_134
.LBB1672_127:                           ;   in Loop: Header=BB1672_74 Depth=2
	ds_load_u8 v20, v35 offset:1536
	s_waitcnt lgkmcnt(0)
	v_and_b32_e32 v21, 1, v20
	s_delay_alu instid0(VALU_DEP_1) | instskip(NEXT) | instid1(VALU_DEP_1)
	v_lshrrev_b32_e32 v21, s30, v21
	v_and_b32_e32 v21, s31, v21
	s_delay_alu instid0(VALU_DEP_1)
	v_lshlrev_b32_e32 v21, 2, v21
	ds_load_b32 v21, v21
	s_waitcnt lgkmcnt(0)
	v_add_nc_u32_e32 v21, v21, v37
	global_store_b8 v21, v20, s[38:39]
	s_or_b32 exec_lo, exec_lo, s43
	v_cmp_lt_u32_e32 vcc_lo, v39, v2
	s_and_saveexec_b32 s43, vcc_lo
	s_cbranch_execnz .LBB1672_135
	s_branch .LBB1672_136
.LBB1672_128:                           ;   in Loop: Header=BB1672_74 Depth=2
	s_or_b32 exec_lo, exec_lo, s17
	v_cmp_lt_u32_e64 s22, v29, v2
	s_delay_alu instid0(VALU_DEP_1)
	s_and_saveexec_b32 s17, s22
	s_cbranch_execz .LBB1672_122
.LBB1672_129:                           ;   in Loop: Header=BB1672_74 Depth=2
	ds_load_u8 v20, v35 offset:256
	s_waitcnt lgkmcnt(0)
	v_and_b32_e32 v21, 1, v20
	s_delay_alu instid0(VALU_DEP_1) | instskip(NEXT) | instid1(VALU_DEP_1)
	v_lshrrev_b32_e32 v21, s30, v21
	v_and_b32_e32 v21, s31, v21
	s_delay_alu instid0(VALU_DEP_1)
	v_lshlrev_b32_e32 v21, 2, v21
	ds_load_b32 v21, v21
	s_waitcnt lgkmcnt(0)
	v_add_nc_u32_e32 v21, v21, v29
	global_store_b8 v21, v20, s[38:39]
	s_or_b32 exec_lo, exec_lo, s17
	v_cmp_lt_u32_e64 s21, v30, v2
	s_delay_alu instid0(VALU_DEP_1)
	s_and_saveexec_b32 s17, s21
	s_cbranch_execnz .LBB1672_123
.LBB1672_130:                           ;   in Loop: Header=BB1672_74 Depth=2
	s_or_b32 exec_lo, exec_lo, s17
	v_cmp_lt_u32_e64 s20, v31, v2
	s_delay_alu instid0(VALU_DEP_1)
	s_and_saveexec_b32 s17, s20
	s_cbranch_execz .LBB1672_124
.LBB1672_131:                           ;   in Loop: Header=BB1672_74 Depth=2
	ds_load_u8 v20, v35 offset:768
	s_waitcnt lgkmcnt(0)
	v_and_b32_e32 v21, 1, v20
	s_delay_alu instid0(VALU_DEP_1) | instskip(NEXT) | instid1(VALU_DEP_1)
	v_lshrrev_b32_e32 v21, s30, v21
	v_and_b32_e32 v21, s31, v21
	s_delay_alu instid0(VALU_DEP_1)
	v_lshlrev_b32_e32 v21, 2, v21
	ds_load_b32 v21, v21
	s_waitcnt lgkmcnt(0)
	v_add_nc_u32_e32 v21, v21, v31
	global_store_b8 v21, v20, s[38:39]
	s_or_b32 exec_lo, exec_lo, s17
	v_cmp_lt_u32_e64 s19, v35, v2
	s_delay_alu instid0(VALU_DEP_1)
	s_and_saveexec_b32 s17, s19
	s_cbranch_execnz .LBB1672_125
.LBB1672_132:                           ;   in Loop: Header=BB1672_74 Depth=2
	s_or_b32 exec_lo, exec_lo, s17
	v_cmp_lt_u32_e64 s18, v36, v2
	s_delay_alu instid0(VALU_DEP_1)
	s_and_saveexec_b32 s17, s18
	s_cbranch_execz .LBB1672_126
.LBB1672_133:                           ;   in Loop: Header=BB1672_74 Depth=2
	ds_load_u8 v20, v35 offset:1280
	s_waitcnt lgkmcnt(0)
	v_and_b32_e32 v21, 1, v20
	s_delay_alu instid0(VALU_DEP_1) | instskip(NEXT) | instid1(VALU_DEP_1)
	v_lshrrev_b32_e32 v21, s30, v21
	v_and_b32_e32 v21, s31, v21
	s_delay_alu instid0(VALU_DEP_1)
	v_lshlrev_b32_e32 v21, 2, v21
	ds_load_b32 v21, v21
	s_waitcnt lgkmcnt(0)
	v_add_nc_u32_e32 v21, v21, v36
	global_store_b8 v21, v20, s[38:39]
	s_or_b32 exec_lo, exec_lo, s17
	v_cmp_lt_u32_e64 s17, v37, v2
	s_delay_alu instid0(VALU_DEP_1)
	s_and_saveexec_b32 s43, s17
	s_cbranch_execnz .LBB1672_127
.LBB1672_134:                           ;   in Loop: Header=BB1672_74 Depth=2
	s_or_b32 exec_lo, exec_lo, s43
	v_cmp_lt_u32_e32 vcc_lo, v39, v2
	s_and_saveexec_b32 s43, vcc_lo
	s_cbranch_execz .LBB1672_136
.LBB1672_135:                           ;   in Loop: Header=BB1672_74 Depth=2
	ds_load_u8 v20, v35 offset:1792
	s_waitcnt lgkmcnt(0)
	v_and_b32_e32 v21, 1, v20
	s_delay_alu instid0(VALU_DEP_1) | instskip(NEXT) | instid1(VALU_DEP_1)
	v_lshrrev_b32_e32 v21, s30, v21
	v_and_b32_e32 v21, s31, v21
	s_delay_alu instid0(VALU_DEP_1)
	v_lshlrev_b32_e32 v21, 2, v21
	ds_load_b32 v21, v21
	s_waitcnt lgkmcnt(0)
	v_add_nc_u32_e32 v21, v21, v39
	global_store_b8 v21, v20, s[38:39]
.LBB1672_136:                           ;   in Loop: Header=BB1672_74 Depth=2
	s_or_b32 exec_lo, exec_lo, s43
	s_lshl_b64 s[52:53], s[24:25], 3
	s_delay_alu instid0(SALU_CYCLE_1) | instskip(NEXT) | instid1(VALU_DEP_1)
	v_add_co_u32 v20, s24, v71, s52
	v_add_co_ci_u32_e64 v21, s24, s53, v72, s24
	v_cmp_lt_u32_e64 s24, v70, v2
	s_delay_alu instid0(VALU_DEP_1) | instskip(NEXT) | instid1(SALU_CYCLE_1)
	s_and_saveexec_b32 s43, s24
	s_xor_b32 s24, exec_lo, s43
	s_cbranch_execz .LBB1672_152
; %bb.137:                              ;   in Loop: Header=BB1672_74 Depth=2
	global_load_b64 v[18:19], v[20:21], off
	s_or_b32 exec_lo, exec_lo, s24
	s_delay_alu instid0(SALU_CYCLE_1)
	s_mov_b32 s43, exec_lo
	v_cmpx_lt_u32_e64 v73, v2
	s_cbranch_execnz .LBB1672_153
.LBB1672_138:                           ;   in Loop: Header=BB1672_74 Depth=2
	s_or_b32 exec_lo, exec_lo, s43
	s_delay_alu instid0(SALU_CYCLE_1)
	s_mov_b32 s43, exec_lo
	v_cmpx_lt_u32_e64 v74, v2
	s_cbranch_execz .LBB1672_154
.LBB1672_139:                           ;   in Loop: Header=BB1672_74 Depth=2
	global_load_b64 v[14:15], v[20:21], off offset:512
	s_or_b32 exec_lo, exec_lo, s43
	s_delay_alu instid0(SALU_CYCLE_1)
	s_mov_b32 s43, exec_lo
	v_cmpx_lt_u32_e64 v75, v2
	s_cbranch_execnz .LBB1672_155
.LBB1672_140:                           ;   in Loop: Header=BB1672_74 Depth=2
	s_or_b32 exec_lo, exec_lo, s43
	s_delay_alu instid0(SALU_CYCLE_1)
	s_mov_b32 s43, exec_lo
	v_cmpx_lt_u32_e64 v76, v2
	s_cbranch_execz .LBB1672_156
.LBB1672_141:                           ;   in Loop: Header=BB1672_74 Depth=2
	global_load_b64 v[10:11], v[20:21], off offset:1024
	s_or_b32 exec_lo, exec_lo, s43
	s_delay_alu instid0(SALU_CYCLE_1)
	s_mov_b32 s43, exec_lo
	v_cmpx_lt_u32_e64 v77, v2
	s_cbranch_execnz .LBB1672_157
.LBB1672_142:                           ;   in Loop: Header=BB1672_74 Depth=2
	s_or_b32 exec_lo, exec_lo, s43
	s_delay_alu instid0(SALU_CYCLE_1)
	s_mov_b32 s43, exec_lo
	v_cmpx_lt_u32_e64 v78, v2
	s_cbranch_execz .LBB1672_158
.LBB1672_143:                           ;   in Loop: Header=BB1672_74 Depth=2
	global_load_b64 v[6:7], v[20:21], off offset:1536
	s_or_b32 exec_lo, exec_lo, s43
	s_delay_alu instid0(SALU_CYCLE_1)
	s_mov_b32 s43, exec_lo
	v_cmpx_lt_u32_e64 v79, v2
	s_cbranch_execnz .LBB1672_159
.LBB1672_144:                           ;   in Loop: Header=BB1672_74 Depth=2
	s_or_b32 exec_lo, exec_lo, s43
	s_and_saveexec_b32 s24, s23
	s_cbranch_execz .LBB1672_160
.LBB1672_145:                           ;   in Loop: Header=BB1672_74 Depth=2
	ds_load_u8 v2, v1 offset:1024
	s_waitcnt lgkmcnt(0)
	v_lshrrev_b32_e32 v2, s30, v2
	s_delay_alu instid0(VALU_DEP_1)
	v_and_b32_e32 v90, s31, v2
	s_or_b32 exec_lo, exec_lo, s24
	s_and_saveexec_b32 s24, s22
	s_cbranch_execnz .LBB1672_161
.LBB1672_146:                           ;   in Loop: Header=BB1672_74 Depth=2
	s_or_b32 exec_lo, exec_lo, s24
	s_and_saveexec_b32 s24, s21
	s_cbranch_execz .LBB1672_162
.LBB1672_147:                           ;   in Loop: Header=BB1672_74 Depth=2
	ds_load_u8 v2, v35 offset:512
	s_waitcnt lgkmcnt(0)
	v_lshrrev_b32_e32 v2, s30, v2
	s_delay_alu instid0(VALU_DEP_1)
	v_and_b32_e32 v88, s31, v2
	s_or_b32 exec_lo, exec_lo, s24
	s_and_saveexec_b32 s24, s20
	s_cbranch_execnz .LBB1672_163
.LBB1672_148:                           ;   in Loop: Header=BB1672_74 Depth=2
	s_or_b32 exec_lo, exec_lo, s24
	s_and_saveexec_b32 s24, s19
	s_cbranch_execz .LBB1672_164
.LBB1672_149:                           ;   in Loop: Header=BB1672_74 Depth=2
	ds_load_u8 v2, v35 offset:1024
	s_waitcnt lgkmcnt(0)
	v_lshrrev_b32_e32 v2, s30, v2
	s_delay_alu instid0(VALU_DEP_1)
	v_and_b32_e32 v86, s31, v2
	s_or_b32 exec_lo, exec_lo, s24
	s_and_saveexec_b32 s24, s18
	s_cbranch_execnz .LBB1672_165
.LBB1672_150:                           ;   in Loop: Header=BB1672_74 Depth=2
	s_or_b32 exec_lo, exec_lo, s24
	s_and_saveexec_b32 s24, s17
	s_cbranch_execz .LBB1672_166
.LBB1672_151:                           ;   in Loop: Header=BB1672_74 Depth=2
	ds_load_u8 v2, v35 offset:1536
	s_waitcnt lgkmcnt(0)
	v_lshrrev_b32_e32 v2, s30, v2
	s_delay_alu instid0(VALU_DEP_1)
	v_and_b32_e32 v84, s31, v2
	s_or_b32 exec_lo, exec_lo, s24
	s_and_saveexec_b32 s24, vcc_lo
	s_cbranch_execnz .LBB1672_167
	s_branch .LBB1672_168
.LBB1672_152:                           ;   in Loop: Header=BB1672_74 Depth=2
	s_or_b32 exec_lo, exec_lo, s24
	s_delay_alu instid0(SALU_CYCLE_1)
	s_mov_b32 s43, exec_lo
	v_cmpx_lt_u32_e64 v73, v2
	s_cbranch_execz .LBB1672_138
.LBB1672_153:                           ;   in Loop: Header=BB1672_74 Depth=2
	global_load_b64 v[16:17], v[20:21], off offset:256
	s_or_b32 exec_lo, exec_lo, s43
	s_delay_alu instid0(SALU_CYCLE_1)
	s_mov_b32 s43, exec_lo
	v_cmpx_lt_u32_e64 v74, v2
	s_cbranch_execnz .LBB1672_139
.LBB1672_154:                           ;   in Loop: Header=BB1672_74 Depth=2
	s_or_b32 exec_lo, exec_lo, s43
	s_delay_alu instid0(SALU_CYCLE_1)
	s_mov_b32 s43, exec_lo
	v_cmpx_lt_u32_e64 v75, v2
	s_cbranch_execz .LBB1672_140
.LBB1672_155:                           ;   in Loop: Header=BB1672_74 Depth=2
	global_load_b64 v[12:13], v[20:21], off offset:768
	s_or_b32 exec_lo, exec_lo, s43
	s_delay_alu instid0(SALU_CYCLE_1)
	s_mov_b32 s43, exec_lo
	v_cmpx_lt_u32_e64 v76, v2
	s_cbranch_execnz .LBB1672_141
.LBB1672_156:                           ;   in Loop: Header=BB1672_74 Depth=2
	s_or_b32 exec_lo, exec_lo, s43
	s_delay_alu instid0(SALU_CYCLE_1)
	s_mov_b32 s43, exec_lo
	v_cmpx_lt_u32_e64 v77, v2
	s_cbranch_execz .LBB1672_142
.LBB1672_157:                           ;   in Loop: Header=BB1672_74 Depth=2
	global_load_b64 v[8:9], v[20:21], off offset:1280
	s_or_b32 exec_lo, exec_lo, s43
	s_delay_alu instid0(SALU_CYCLE_1)
	s_mov_b32 s43, exec_lo
	v_cmpx_lt_u32_e64 v78, v2
	s_cbranch_execnz .LBB1672_143
.LBB1672_158:                           ;   in Loop: Header=BB1672_74 Depth=2
	s_or_b32 exec_lo, exec_lo, s43
	s_delay_alu instid0(SALU_CYCLE_1)
	s_mov_b32 s43, exec_lo
	v_cmpx_lt_u32_e64 v79, v2
	s_cbranch_execz .LBB1672_144
.LBB1672_159:                           ;   in Loop: Header=BB1672_74 Depth=2
	global_load_b64 v[4:5], v[20:21], off offset:1792
	s_or_b32 exec_lo, exec_lo, s43
	s_and_saveexec_b32 s24, s23
	s_cbranch_execnz .LBB1672_145
.LBB1672_160:                           ;   in Loop: Header=BB1672_74 Depth=2
	s_or_b32 exec_lo, exec_lo, s24
	s_and_saveexec_b32 s24, s22
	s_cbranch_execz .LBB1672_146
.LBB1672_161:                           ;   in Loop: Header=BB1672_74 Depth=2
	ds_load_u8 v2, v35 offset:256
	s_waitcnt lgkmcnt(0)
	v_lshrrev_b32_e32 v2, s30, v2
	s_delay_alu instid0(VALU_DEP_1)
	v_and_b32_e32 v89, s31, v2
	s_or_b32 exec_lo, exec_lo, s24
	s_and_saveexec_b32 s24, s21
	s_cbranch_execnz .LBB1672_147
.LBB1672_162:                           ;   in Loop: Header=BB1672_74 Depth=2
	s_or_b32 exec_lo, exec_lo, s24
	s_and_saveexec_b32 s24, s20
	s_cbranch_execz .LBB1672_148
.LBB1672_163:                           ;   in Loop: Header=BB1672_74 Depth=2
	ds_load_u8 v2, v35 offset:768
	s_waitcnt lgkmcnt(0)
	v_lshrrev_b32_e32 v2, s30, v2
	s_delay_alu instid0(VALU_DEP_1)
	v_and_b32_e32 v87, s31, v2
	s_or_b32 exec_lo, exec_lo, s24
	s_and_saveexec_b32 s24, s19
	s_cbranch_execnz .LBB1672_149
.LBB1672_164:                           ;   in Loop: Header=BB1672_74 Depth=2
	s_or_b32 exec_lo, exec_lo, s24
	s_and_saveexec_b32 s24, s18
	s_cbranch_execz .LBB1672_150
.LBB1672_165:                           ;   in Loop: Header=BB1672_74 Depth=2
	ds_load_u8 v2, v35 offset:1280
	s_waitcnt lgkmcnt(0)
	v_lshrrev_b32_e32 v2, s30, v2
	s_delay_alu instid0(VALU_DEP_1)
	v_and_b32_e32 v85, s31, v2
	s_or_b32 exec_lo, exec_lo, s24
	s_and_saveexec_b32 s24, s17
	s_cbranch_execnz .LBB1672_151
.LBB1672_166:                           ;   in Loop: Header=BB1672_74 Depth=2
	s_or_b32 exec_lo, exec_lo, s24
	s_and_saveexec_b32 s24, vcc_lo
	s_cbranch_execz .LBB1672_168
.LBB1672_167:                           ;   in Loop: Header=BB1672_74 Depth=2
	ds_load_u8 v2, v35 offset:1792
	s_waitcnt lgkmcnt(0)
	v_lshrrev_b32_e32 v2, s30, v2
	s_delay_alu instid0(VALU_DEP_1)
	v_and_b32_e32 v83, s31, v2
.LBB1672_168:                           ;   in Loop: Header=BB1672_74 Depth=2
	s_or_b32 exec_lo, exec_lo, s24
	v_lshlrev_b32_e32 v2, 3, v103
	v_lshlrev_b32_e32 v20, 3, v100
	;; [unrolled: 1-line block ×3, first 2 shown]
	s_waitcnt vmcnt(0)
	s_waitcnt_vscnt null, 0x0
	s_barrier
	buffer_gl0_inv
	ds_store_b64 v2, v[18:19] offset:1024
	ds_store_b64 v20, v[16:17] offset:1024
	;; [unrolled: 1-line block ×3, first 2 shown]
	v_lshlrev_b32_e32 v2, 3, v27
	v_lshlrev_b32_e32 v20, 3, v26
	;; [unrolled: 1-line block ×5, first 2 shown]
	ds_store_b64 v2, v[12:13] offset:1024
	ds_store_b64 v20, v[10:11] offset:1024
	;; [unrolled: 1-line block ×5, first 2 shown]
	s_waitcnt lgkmcnt(0)
	s_barrier
	buffer_gl0_inv
	s_and_saveexec_b32 s24, s23
	s_cbranch_execz .LBB1672_176
; %bb.169:                              ;   in Loop: Header=BB1672_74 Depth=2
	v_lshlrev_b32_e32 v2, 2, v90
	v_add_nc_u32_e32 v20, v1, v52
	ds_load_b32 v2, v2
	ds_load_b64 v[20:21], v20 offset:1024
	s_waitcnt lgkmcnt(1)
	v_add_nc_u32_e32 v2, v2, v1
	s_delay_alu instid0(VALU_DEP_1) | instskip(NEXT) | instid1(VALU_DEP_1)
	v_lshlrev_b64 v[23:24], 3, v[2:3]
	v_add_co_u32 v23, s23, s44, v23
	s_delay_alu instid0(VALU_DEP_1)
	v_add_co_ci_u32_e64 v24, s23, s45, v24, s23
	s_waitcnt lgkmcnt(0)
	global_store_b64 v[23:24], v[20:21], off
	s_or_b32 exec_lo, exec_lo, s24
	s_and_saveexec_b32 s23, s22
	s_cbranch_execnz .LBB1672_177
.LBB1672_170:                           ;   in Loop: Header=BB1672_74 Depth=2
	s_or_b32 exec_lo, exec_lo, s23
	s_and_saveexec_b32 s22, s21
	s_cbranch_execz .LBB1672_178
.LBB1672_171:                           ;   in Loop: Header=BB1672_74 Depth=2
	v_lshlrev_b32_e32 v2, 2, v88
	v_add_nc_u32_e32 v20, v35, v52
	ds_load_b32 v2, v2
	ds_load_b64 v[20:21], v20 offset:4096
	s_waitcnt lgkmcnt(1)
	v_add_nc_u32_e32 v2, v2, v30
	s_delay_alu instid0(VALU_DEP_1) | instskip(NEXT) | instid1(VALU_DEP_1)
	v_lshlrev_b64 v[23:24], 3, v[2:3]
	v_add_co_u32 v23, s21, s44, v23
	s_delay_alu instid0(VALU_DEP_1)
	v_add_co_ci_u32_e64 v24, s21, s45, v24, s21
	s_waitcnt lgkmcnt(0)
	global_store_b64 v[23:24], v[20:21], off
	s_or_b32 exec_lo, exec_lo, s22
	s_and_saveexec_b32 s21, s20
	s_cbranch_execnz .LBB1672_179
.LBB1672_172:                           ;   in Loop: Header=BB1672_74 Depth=2
	s_or_b32 exec_lo, exec_lo, s21
	s_and_saveexec_b32 s20, s19
	s_cbranch_execz .LBB1672_180
.LBB1672_173:                           ;   in Loop: Header=BB1672_74 Depth=2
	v_lshlrev_b32_e32 v2, 2, v86
	v_add_nc_u32_e32 v20, v35, v52
	ds_load_b32 v2, v2
	ds_load_b64 v[20:21], v20 offset:8192
	s_waitcnt lgkmcnt(1)
	v_add_nc_u32_e32 v2, v2, v35
	s_delay_alu instid0(VALU_DEP_1) | instskip(NEXT) | instid1(VALU_DEP_1)
	v_lshlrev_b64 v[23:24], 3, v[2:3]
	v_add_co_u32 v23, s19, s44, v23
	s_delay_alu instid0(VALU_DEP_1)
	v_add_co_ci_u32_e64 v24, s19, s45, v24, s19
	s_waitcnt lgkmcnt(0)
	global_store_b64 v[23:24], v[20:21], off
	s_or_b32 exec_lo, exec_lo, s20
	s_and_saveexec_b32 s19, s18
	s_cbranch_execnz .LBB1672_181
.LBB1672_174:                           ;   in Loop: Header=BB1672_74 Depth=2
	s_or_b32 exec_lo, exec_lo, s19
	s_and_saveexec_b32 s18, s17
	s_cbranch_execz .LBB1672_182
.LBB1672_175:                           ;   in Loop: Header=BB1672_74 Depth=2
	v_lshlrev_b32_e32 v2, 2, v84
	v_add_nc_u32_e32 v20, v35, v52
	ds_load_b32 v2, v2
	ds_load_b64 v[20:21], v20 offset:12288
	s_waitcnt lgkmcnt(1)
	v_add_nc_u32_e32 v2, v2, v37
	s_delay_alu instid0(VALU_DEP_1) | instskip(NEXT) | instid1(VALU_DEP_1)
	v_lshlrev_b64 v[23:24], 3, v[2:3]
	v_add_co_u32 v23, s17, s44, v23
	s_delay_alu instid0(VALU_DEP_1)
	v_add_co_ci_u32_e64 v24, s17, s45, v24, s17
	s_waitcnt lgkmcnt(0)
	global_store_b64 v[23:24], v[20:21], off
	s_or_b32 exec_lo, exec_lo, s18
	s_and_saveexec_b32 s17, vcc_lo
	s_cbranch_execnz .LBB1672_183
	s_branch .LBB1672_184
.LBB1672_176:                           ;   in Loop: Header=BB1672_74 Depth=2
	s_or_b32 exec_lo, exec_lo, s24
	s_and_saveexec_b32 s23, s22
	s_cbranch_execz .LBB1672_170
.LBB1672_177:                           ;   in Loop: Header=BB1672_74 Depth=2
	v_lshlrev_b32_e32 v2, 2, v89
	v_add_nc_u32_e32 v20, v35, v52
	ds_load_b32 v2, v2
	ds_load_b64 v[20:21], v20 offset:2048
	s_waitcnt lgkmcnt(1)
	v_add_nc_u32_e32 v2, v2, v29
	s_delay_alu instid0(VALU_DEP_1) | instskip(NEXT) | instid1(VALU_DEP_1)
	v_lshlrev_b64 v[23:24], 3, v[2:3]
	v_add_co_u32 v23, s22, s44, v23
	s_delay_alu instid0(VALU_DEP_1)
	v_add_co_ci_u32_e64 v24, s22, s45, v24, s22
	s_waitcnt lgkmcnt(0)
	global_store_b64 v[23:24], v[20:21], off
	s_or_b32 exec_lo, exec_lo, s23
	s_and_saveexec_b32 s22, s21
	s_cbranch_execnz .LBB1672_171
.LBB1672_178:                           ;   in Loop: Header=BB1672_74 Depth=2
	s_or_b32 exec_lo, exec_lo, s22
	s_and_saveexec_b32 s21, s20
	s_cbranch_execz .LBB1672_172
.LBB1672_179:                           ;   in Loop: Header=BB1672_74 Depth=2
	v_lshlrev_b32_e32 v2, 2, v87
	v_add_nc_u32_e32 v20, v35, v52
	ds_load_b32 v2, v2
	ds_load_b64 v[20:21], v20 offset:6144
	s_waitcnt lgkmcnt(1)
	v_add_nc_u32_e32 v2, v2, v31
	s_delay_alu instid0(VALU_DEP_1) | instskip(NEXT) | instid1(VALU_DEP_1)
	v_lshlrev_b64 v[23:24], 3, v[2:3]
	v_add_co_u32 v23, s20, s44, v23
	s_delay_alu instid0(VALU_DEP_1)
	v_add_co_ci_u32_e64 v24, s20, s45, v24, s20
	s_waitcnt lgkmcnt(0)
	global_store_b64 v[23:24], v[20:21], off
	s_or_b32 exec_lo, exec_lo, s21
	s_and_saveexec_b32 s20, s19
	s_cbranch_execnz .LBB1672_173
.LBB1672_180:                           ;   in Loop: Header=BB1672_74 Depth=2
	s_or_b32 exec_lo, exec_lo, s20
	s_and_saveexec_b32 s19, s18
	s_cbranch_execz .LBB1672_174
.LBB1672_181:                           ;   in Loop: Header=BB1672_74 Depth=2
	v_lshlrev_b32_e32 v2, 2, v85
	v_add_nc_u32_e32 v20, v35, v52
	ds_load_b32 v2, v2
	ds_load_b64 v[20:21], v20 offset:10240
	s_waitcnt lgkmcnt(1)
	v_add_nc_u32_e32 v2, v2, v36
	s_delay_alu instid0(VALU_DEP_1) | instskip(NEXT) | instid1(VALU_DEP_1)
	v_lshlrev_b64 v[23:24], 3, v[2:3]
	v_add_co_u32 v23, s18, s44, v23
	s_delay_alu instid0(VALU_DEP_1)
	v_add_co_ci_u32_e64 v24, s18, s45, v24, s18
	s_waitcnt lgkmcnt(0)
	global_store_b64 v[23:24], v[20:21], off
	s_or_b32 exec_lo, exec_lo, s19
	s_and_saveexec_b32 s18, s17
	s_cbranch_execnz .LBB1672_175
.LBB1672_182:                           ;   in Loop: Header=BB1672_74 Depth=2
	s_or_b32 exec_lo, exec_lo, s18
	s_and_saveexec_b32 s17, vcc_lo
	s_cbranch_execz .LBB1672_184
.LBB1672_183:                           ;   in Loop: Header=BB1672_74 Depth=2
	v_lshlrev_b32_e32 v2, 2, v83
	v_add_nc_u32_e32 v20, v35, v52
	ds_load_b32 v2, v2
	ds_load_b64 v[20:21], v20 offset:14336
	s_waitcnt lgkmcnt(1)
	v_add_nc_u32_e32 v2, v2, v39
	s_delay_alu instid0(VALU_DEP_1) | instskip(NEXT) | instid1(VALU_DEP_1)
	v_lshlrev_b64 v[23:24], 3, v[2:3]
	v_add_co_u32 v23, vcc_lo, s44, v23
	s_delay_alu instid0(VALU_DEP_2)
	v_add_co_ci_u32_e32 v24, vcc_lo, s45, v24, vcc_lo
	s_waitcnt lgkmcnt(0)
	global_store_b64 v[23:24], v[20:21], off
.LBB1672_184:                           ;   in Loop: Header=BB1672_74 Depth=2
	s_or_b32 exec_lo, exec_lo, s17
	s_waitcnt_vscnt null, 0x0
	s_barrier
	buffer_gl0_inv
	s_and_saveexec_b32 s17, s2
	s_cbranch_execz .LBB1672_73
; %bb.185:                              ;   in Loop: Header=BB1672_74 Depth=2
	ds_load_b32 v2, v28
	s_waitcnt lgkmcnt(0)
	v_add_nc_u32_e32 v2, v2, v22
	ds_store_b32 v28, v2
	s_branch .LBB1672_73
.LBB1672_186:                           ;   in Loop: Header=BB1672_20 Depth=1
	s_waitcnt lgkmcnt(0)
	s_mov_b32 s0, 0
	s_barrier
.LBB1672_187:                           ;   in Loop: Header=BB1672_20 Depth=1
	s_and_b32 vcc_lo, exec_lo, s0
	s_cbranch_vccz .LBB1672_353
; %bb.188:                              ;   in Loop: Header=BB1672_20 Depth=1
	s_mov_b32 s0, s34
	s_mov_b32 s9, s28
	s_barrier
	buffer_gl0_inv
                                        ; implicit-def: $vgpr2
                                        ; implicit-def: $vgpr6
                                        ; implicit-def: $vgpr7
                                        ; implicit-def: $vgpr8
                                        ; implicit-def: $vgpr9
                                        ; implicit-def: $vgpr10
                                        ; implicit-def: $vgpr11
                                        ; implicit-def: $vgpr12
	s_branch .LBB1672_190
.LBB1672_189:                           ;   in Loop: Header=BB1672_190 Depth=2
	s_or_b32 exec_lo, exec_lo, s8
	s_addk_i32 s0, 0xf800
	s_cmp_ge_u32 s1, s29
	s_mov_b32 s9, s1
	s_cbranch_scc1 .LBB1672_228
.LBB1672_190:                           ;   Parent Loop BB1672_20 Depth=1
                                        ; =>  This Inner Loop Header: Depth=2
	s_add_i32 s1, s9, 0x800
	s_delay_alu instid0(SALU_CYCLE_1)
	s_cmp_gt_u32 s1, s29
	s_cbranch_scc1 .LBB1672_193
; %bb.191:                              ;   in Loop: Header=BB1672_190 Depth=2
	v_add_co_u32 v4, vcc_lo, v53, s9
	v_add_co_ci_u32_e32 v5, vcc_lo, 0, v54, vcc_lo
	s_mov_b32 s8, -1
	s_movk_i32 s12, 0x800
	s_clause 0x6
	global_load_u8 v20, v[4:5], off offset:1536
	global_load_u8 v19, v[4:5], off offset:1280
	;; [unrolled: 1-line block ×6, first 2 shown]
	global_load_u8 v14, v[4:5], off
	v_add_co_u32 v4, vcc_lo, 0x700, v4
	v_add_co_ci_u32_e32 v5, vcc_lo, 0, v5, vcc_lo
	s_cbranch_execz .LBB1672_194
; %bb.192:                              ;   in Loop: Header=BB1672_190 Depth=2
                                        ; implicit-def: $vgpr2
                                        ; implicit-def: $vgpr6
                                        ; implicit-def: $vgpr7
                                        ; implicit-def: $vgpr8
                                        ; implicit-def: $vgpr9
                                        ; implicit-def: $vgpr10
                                        ; implicit-def: $vgpr11
                                        ; implicit-def: $vgpr12
	v_mov_b32_e32 v13, s0
	s_and_saveexec_b32 s9, s8
	s_cbranch_execnz .LBB1672_205
	s_branch .LBB1672_206
.LBB1672_193:                           ;   in Loop: Header=BB1672_190 Depth=2
	s_mov_b32 s8, 0
                                        ; implicit-def: $sgpr12
                                        ; implicit-def: $vgpr14
                                        ; implicit-def: $vgpr15
                                        ; implicit-def: $vgpr16
                                        ; implicit-def: $vgpr17
                                        ; implicit-def: $vgpr18
                                        ; implicit-def: $vgpr19
                                        ; implicit-def: $vgpr20
                                        ; implicit-def: $vgpr4_vgpr5
.LBB1672_194:                           ;   in Loop: Header=BB1672_190 Depth=2
	s_add_u32 s10, s38, s9
	s_addc_u32 s11, s39, 0
	s_mov_b32 s12, exec_lo
	v_cmpx_gt_u32_e64 s0, v1
	s_cbranch_execz .LBB1672_222
; %bb.195:                              ;   in Loop: Header=BB1672_190 Depth=2
	v_add_co_u32 v4, s13, s10, v1
	s_delay_alu instid0(VALU_DEP_1) | instskip(SKIP_2) | instid1(SALU_CYCLE_1)
	v_add_co_ci_u32_e64 v5, null, s11, 0, s13
	global_load_u8 v2, v[4:5], off
	s_or_b32 exec_lo, exec_lo, s12
	s_mov_b32 s12, exec_lo
	v_cmpx_gt_u32_e64 s0, v29
	s_cbranch_execnz .LBB1672_223
.LBB1672_196:                           ;   in Loop: Header=BB1672_190 Depth=2
	s_or_b32 exec_lo, exec_lo, s12
	s_delay_alu instid0(SALU_CYCLE_1)
	s_mov_b32 s12, exec_lo
	v_cmpx_gt_u32_e64 s0, v30
	s_cbranch_execz .LBB1672_224
.LBB1672_197:                           ;   in Loop: Header=BB1672_190 Depth=2
	v_add_co_u32 v4, s13, s10, v1
	s_delay_alu instid0(VALU_DEP_1) | instskip(SKIP_2) | instid1(SALU_CYCLE_1)
	v_add_co_ci_u32_e64 v5, null, s11, 0, s13
	global_load_u8 v7, v[4:5], off offset:512
	s_or_b32 exec_lo, exec_lo, s12
	s_mov_b32 s12, exec_lo
	v_cmpx_gt_u32_e64 s0, v31
	s_cbranch_execnz .LBB1672_225
.LBB1672_198:                           ;   in Loop: Header=BB1672_190 Depth=2
	s_or_b32 exec_lo, exec_lo, s12
	s_delay_alu instid0(SALU_CYCLE_1)
	s_mov_b32 s12, exec_lo
	v_cmpx_gt_u32_e64 s0, v35
	s_cbranch_execz .LBB1672_226
.LBB1672_199:                           ;   in Loop: Header=BB1672_190 Depth=2
	v_add_co_u32 v4, s13, s10, v1
	s_delay_alu instid0(VALU_DEP_1) | instskip(SKIP_2) | instid1(SALU_CYCLE_1)
	v_add_co_ci_u32_e64 v5, null, s11, 0, s13
	global_load_u8 v9, v[4:5], off offset:1024
	s_or_b32 exec_lo, exec_lo, s12
	s_mov_b32 s12, exec_lo
	v_cmpx_gt_u32_e64 s0, v36
	s_cbranch_execnz .LBB1672_227
.LBB1672_200:                           ;   in Loop: Header=BB1672_190 Depth=2
	s_or_b32 exec_lo, exec_lo, s12
	s_delay_alu instid0(SALU_CYCLE_1)
	s_mov_b32 s12, exec_lo
	v_cmpx_gt_u32_e64 s0, v37
	s_cbranch_execz .LBB1672_202
.LBB1672_201:                           ;   in Loop: Header=BB1672_190 Depth=2
	v_add_co_u32 v4, s13, s10, v1
	s_delay_alu instid0(VALU_DEP_1)
	v_add_co_ci_u32_e64 v5, null, s11, 0, s13
	global_load_u8 v11, v[4:5], off offset:1536
.LBB1672_202:                           ;   in Loop: Header=BB1672_190 Depth=2
	s_or_b32 exec_lo, exec_lo, s12
	s_delay_alu instid0(SALU_CYCLE_1)
	s_mov_b32 s13, exec_lo
                                        ; implicit-def: $sgpr12
                                        ; implicit-def: $vgpr4_vgpr5
	v_cmpx_gt_u32_e64 s0, v39
; %bb.203:                              ;   in Loop: Header=BB1672_190 Depth=2
	v_add_co_u32 v4, s10, s10, v1
	s_delay_alu instid0(VALU_DEP_1) | instskip(SKIP_1) | instid1(VALU_DEP_2)
	v_add_co_ci_u32_e64 v5, null, s11, 0, s10
	s_sub_i32 s12, s29, s9
	v_add_co_u32 v4, vcc_lo, 0x700, v4
	s_delay_alu instid0(VALU_DEP_2)
	v_add_co_ci_u32_e32 v5, vcc_lo, 0, v5, vcc_lo
	s_or_b32 s8, s8, exec_lo
                                        ; implicit-def: $vgpr12
; %bb.204:                              ;   in Loop: Header=BB1672_190 Depth=2
	s_or_b32 exec_lo, exec_lo, s13
	s_waitcnt vmcnt(0)
	v_dual_mov_b32 v14, v2 :: v_dual_mov_b32 v17, v8
	v_dual_mov_b32 v15, v6 :: v_dual_mov_b32 v16, v7
	;; [unrolled: 1-line block ×4, first 2 shown]
	s_and_saveexec_b32 s9, s8
	s_cbranch_execz .LBB1672_206
.LBB1672_205:                           ;   in Loop: Header=BB1672_190 Depth=2
	global_load_u8 v12, v[4:5], off
	s_waitcnt vmcnt(1)
	v_dual_mov_b32 v13, s12 :: v_dual_mov_b32 v2, v14
	v_dual_mov_b32 v6, v15 :: v_dual_mov_b32 v7, v16
	;; [unrolled: 1-line block ×4, first 2 shown]
.LBB1672_206:                           ;   in Loop: Header=BB1672_190 Depth=2
	s_or_b32 exec_lo, exec_lo, s9
	s_delay_alu instid0(SALU_CYCLE_1)
	s_mov_b32 s8, exec_lo
	v_cmpx_lt_u32_e64 v1, v13
	s_cbranch_execz .LBB1672_214
; %bb.207:                              ;   in Loop: Header=BB1672_190 Depth=2
	v_and_b32_e32 v4, 1, v2
	v_lshlrev_b32_e32 v5, 2, v32
	s_delay_alu instid0(VALU_DEP_2) | instskip(NEXT) | instid1(VALU_DEP_1)
	v_lshrrev_b32_e32 v4, s30, v4
	v_and_b32_e32 v4, s31, v4
	s_delay_alu instid0(VALU_DEP_1) | instskip(SKIP_2) | instid1(SALU_CYCLE_1)
	v_lshl_or_b32 v4, v4, 4, v5
	ds_add_u32 v4, v66
	s_or_b32 exec_lo, exec_lo, s8
	s_mov_b32 s8, exec_lo
	v_cmpx_lt_u32_e64 v29, v13
	s_cbranch_execnz .LBB1672_215
.LBB1672_208:                           ;   in Loop: Header=BB1672_190 Depth=2
	s_or_b32 exec_lo, exec_lo, s8
	s_delay_alu instid0(SALU_CYCLE_1)
	s_mov_b32 s8, exec_lo
	v_cmpx_lt_u32_e64 v30, v13
	s_cbranch_execz .LBB1672_216
.LBB1672_209:                           ;   in Loop: Header=BB1672_190 Depth=2
	v_and_b32_e32 v4, 1, v7
	v_lshlrev_b32_e32 v5, 2, v32
	s_delay_alu instid0(VALU_DEP_2) | instskip(NEXT) | instid1(VALU_DEP_1)
	v_lshrrev_b32_e32 v4, s30, v4
	v_and_b32_e32 v4, s31, v4
	s_delay_alu instid0(VALU_DEP_1) | instskip(SKIP_2) | instid1(SALU_CYCLE_1)
	v_lshl_or_b32 v4, v4, 4, v5
	ds_add_u32 v4, v66
	s_or_b32 exec_lo, exec_lo, s8
	s_mov_b32 s8, exec_lo
	v_cmpx_lt_u32_e64 v31, v13
	s_cbranch_execnz .LBB1672_217
.LBB1672_210:                           ;   in Loop: Header=BB1672_190 Depth=2
	s_or_b32 exec_lo, exec_lo, s8
	s_delay_alu instid0(SALU_CYCLE_1)
	s_mov_b32 s8, exec_lo
	v_cmpx_lt_u32_e64 v35, v13
	s_cbranch_execz .LBB1672_218
.LBB1672_211:                           ;   in Loop: Header=BB1672_190 Depth=2
	v_and_b32_e32 v4, 1, v9
	v_lshlrev_b32_e32 v5, 2, v32
	s_delay_alu instid0(VALU_DEP_2) | instskip(NEXT) | instid1(VALU_DEP_1)
	v_lshrrev_b32_e32 v4, s30, v4
	v_and_b32_e32 v4, s31, v4
	s_delay_alu instid0(VALU_DEP_1) | instskip(SKIP_2) | instid1(SALU_CYCLE_1)
	v_lshl_or_b32 v4, v4, 4, v5
	ds_add_u32 v4, v66
	s_or_b32 exec_lo, exec_lo, s8
	s_mov_b32 s8, exec_lo
	v_cmpx_lt_u32_e64 v36, v13
	s_cbranch_execnz .LBB1672_219
.LBB1672_212:                           ;   in Loop: Header=BB1672_190 Depth=2
	s_or_b32 exec_lo, exec_lo, s8
	s_delay_alu instid0(SALU_CYCLE_1)
	s_mov_b32 s8, exec_lo
	v_cmpx_lt_u32_e64 v37, v13
	s_cbranch_execz .LBB1672_220
.LBB1672_213:                           ;   in Loop: Header=BB1672_190 Depth=2
	v_and_b32_e32 v4, 1, v11
	v_lshlrev_b32_e32 v5, 2, v32
	s_delay_alu instid0(VALU_DEP_2) | instskip(NEXT) | instid1(VALU_DEP_1)
	v_lshrrev_b32_e32 v4, s30, v4
	v_and_b32_e32 v4, s31, v4
	s_delay_alu instid0(VALU_DEP_1) | instskip(SKIP_2) | instid1(SALU_CYCLE_1)
	v_lshl_or_b32 v4, v4, 4, v5
	ds_add_u32 v4, v66
	s_or_b32 exec_lo, exec_lo, s8
	s_mov_b32 s8, exec_lo
	v_cmpx_lt_u32_e64 v39, v13
	s_cbranch_execz .LBB1672_189
	s_branch .LBB1672_221
.LBB1672_214:                           ;   in Loop: Header=BB1672_190 Depth=2
	s_or_b32 exec_lo, exec_lo, s8
	s_delay_alu instid0(SALU_CYCLE_1)
	s_mov_b32 s8, exec_lo
	v_cmpx_lt_u32_e64 v29, v13
	s_cbranch_execz .LBB1672_208
.LBB1672_215:                           ;   in Loop: Header=BB1672_190 Depth=2
	v_and_b32_e32 v4, 1, v6
	v_lshlrev_b32_e32 v5, 2, v32
	s_delay_alu instid0(VALU_DEP_2) | instskip(NEXT) | instid1(VALU_DEP_1)
	v_lshrrev_b32_e32 v4, s30, v4
	v_and_b32_e32 v4, s31, v4
	s_delay_alu instid0(VALU_DEP_1) | instskip(SKIP_2) | instid1(SALU_CYCLE_1)
	v_lshl_or_b32 v4, v4, 4, v5
	ds_add_u32 v4, v66
	s_or_b32 exec_lo, exec_lo, s8
	s_mov_b32 s8, exec_lo
	v_cmpx_lt_u32_e64 v30, v13
	s_cbranch_execnz .LBB1672_209
.LBB1672_216:                           ;   in Loop: Header=BB1672_190 Depth=2
	s_or_b32 exec_lo, exec_lo, s8
	s_delay_alu instid0(SALU_CYCLE_1)
	s_mov_b32 s8, exec_lo
	v_cmpx_lt_u32_e64 v31, v13
	s_cbranch_execz .LBB1672_210
.LBB1672_217:                           ;   in Loop: Header=BB1672_190 Depth=2
	v_and_b32_e32 v4, 1, v8
	v_lshlrev_b32_e32 v5, 2, v32
	s_delay_alu instid0(VALU_DEP_2) | instskip(NEXT) | instid1(VALU_DEP_1)
	v_lshrrev_b32_e32 v4, s30, v4
	v_and_b32_e32 v4, s31, v4
	s_delay_alu instid0(VALU_DEP_1) | instskip(SKIP_2) | instid1(SALU_CYCLE_1)
	v_lshl_or_b32 v4, v4, 4, v5
	ds_add_u32 v4, v66
	s_or_b32 exec_lo, exec_lo, s8
	s_mov_b32 s8, exec_lo
	v_cmpx_lt_u32_e64 v35, v13
	s_cbranch_execnz .LBB1672_211
.LBB1672_218:                           ;   in Loop: Header=BB1672_190 Depth=2
	s_or_b32 exec_lo, exec_lo, s8
	s_delay_alu instid0(SALU_CYCLE_1)
	s_mov_b32 s8, exec_lo
	v_cmpx_lt_u32_e64 v36, v13
	s_cbranch_execz .LBB1672_212
.LBB1672_219:                           ;   in Loop: Header=BB1672_190 Depth=2
	v_and_b32_e32 v4, 1, v10
	v_lshlrev_b32_e32 v5, 2, v32
	s_delay_alu instid0(VALU_DEP_2) | instskip(NEXT) | instid1(VALU_DEP_1)
	v_lshrrev_b32_e32 v4, s30, v4
	v_and_b32_e32 v4, s31, v4
	s_delay_alu instid0(VALU_DEP_1) | instskip(SKIP_2) | instid1(SALU_CYCLE_1)
	v_lshl_or_b32 v4, v4, 4, v5
	ds_add_u32 v4, v66
	s_or_b32 exec_lo, exec_lo, s8
	s_mov_b32 s8, exec_lo
	v_cmpx_lt_u32_e64 v37, v13
	s_cbranch_execnz .LBB1672_213
.LBB1672_220:                           ;   in Loop: Header=BB1672_190 Depth=2
	s_or_b32 exec_lo, exec_lo, s8
	s_delay_alu instid0(SALU_CYCLE_1)
	s_mov_b32 s8, exec_lo
	v_cmpx_lt_u32_e64 v39, v13
	s_cbranch_execz .LBB1672_189
.LBB1672_221:                           ;   in Loop: Header=BB1672_190 Depth=2
	s_waitcnt vmcnt(0)
	v_and_b32_e32 v4, 1, v12
	v_lshlrev_b32_e32 v5, 2, v32
	s_delay_alu instid0(VALU_DEP_2) | instskip(NEXT) | instid1(VALU_DEP_1)
	v_lshrrev_b32_e32 v4, s30, v4
	v_and_b32_e32 v4, s31, v4
	s_delay_alu instid0(VALU_DEP_1)
	v_lshl_or_b32 v4, v4, 4, v5
	ds_add_u32 v4, v66
	s_branch .LBB1672_189
.LBB1672_222:                           ;   in Loop: Header=BB1672_190 Depth=2
	s_or_b32 exec_lo, exec_lo, s12
	s_delay_alu instid0(SALU_CYCLE_1)
	s_mov_b32 s12, exec_lo
	v_cmpx_gt_u32_e64 s0, v29
	s_cbranch_execz .LBB1672_196
.LBB1672_223:                           ;   in Loop: Header=BB1672_190 Depth=2
	v_add_co_u32 v4, s13, s10, v1
	s_delay_alu instid0(VALU_DEP_1) | instskip(SKIP_2) | instid1(SALU_CYCLE_1)
	v_add_co_ci_u32_e64 v5, null, s11, 0, s13
	global_load_u8 v6, v[4:5], off offset:256
	s_or_b32 exec_lo, exec_lo, s12
	s_mov_b32 s12, exec_lo
	v_cmpx_gt_u32_e64 s0, v30
	s_cbranch_execnz .LBB1672_197
.LBB1672_224:                           ;   in Loop: Header=BB1672_190 Depth=2
	s_or_b32 exec_lo, exec_lo, s12
	s_delay_alu instid0(SALU_CYCLE_1)
	s_mov_b32 s12, exec_lo
	v_cmpx_gt_u32_e64 s0, v31
	s_cbranch_execz .LBB1672_198
.LBB1672_225:                           ;   in Loop: Header=BB1672_190 Depth=2
	v_add_co_u32 v4, s13, s10, v1
	s_delay_alu instid0(VALU_DEP_1) | instskip(SKIP_2) | instid1(SALU_CYCLE_1)
	v_add_co_ci_u32_e64 v5, null, s11, 0, s13
	global_load_u8 v8, v[4:5], off offset:768
	s_or_b32 exec_lo, exec_lo, s12
	s_mov_b32 s12, exec_lo
	v_cmpx_gt_u32_e64 s0, v35
	s_cbranch_execnz .LBB1672_199
.LBB1672_226:                           ;   in Loop: Header=BB1672_190 Depth=2
	s_or_b32 exec_lo, exec_lo, s12
	s_delay_alu instid0(SALU_CYCLE_1)
	s_mov_b32 s12, exec_lo
	v_cmpx_gt_u32_e64 s0, v36
	s_cbranch_execz .LBB1672_200
.LBB1672_227:                           ;   in Loop: Header=BB1672_190 Depth=2
	v_add_co_u32 v4, s13, s10, v1
	s_delay_alu instid0(VALU_DEP_1) | instskip(SKIP_2) | instid1(SALU_CYCLE_1)
	v_add_co_ci_u32_e64 v5, null, s11, 0, s13
	global_load_u8 v10, v[4:5], off offset:1280
	s_or_b32 exec_lo, exec_lo, s12
	s_mov_b32 s12, exec_lo
	v_cmpx_gt_u32_e64 s0, v37
	s_cbranch_execz .LBB1672_202
	s_branch .LBB1672_201
.LBB1672_228:                           ;   in Loop: Header=BB1672_20 Depth=1
	v_mov_b32_e32 v2, 0
	s_waitcnt vmcnt(0) lgkmcnt(0)
	s_barrier
	buffer_gl0_inv
	s_and_saveexec_b32 s0, s2
	s_cbranch_execz .LBB1672_230
; %bb.229:                              ;   in Loop: Header=BB1672_20 Depth=1
	ds_load_2addr_b64 v[4:7], v40 offset1:1
	s_waitcnt lgkmcnt(0)
	v_add_nc_u32_e32 v2, v5, v4
	s_delay_alu instid0(VALU_DEP_1)
	v_add3_u32 v2, v2, v6, v7
.LBB1672_230:                           ;   in Loop: Header=BB1672_20 Depth=1
	s_or_b32 exec_lo, exec_lo, s0
	v_and_b32_e32 v4, 15, v63
	s_delay_alu instid0(VALU_DEP_2) | instskip(SKIP_1) | instid1(VALU_DEP_3)
	v_mov_b32_dpp v5, v2 row_shr:1 row_mask:0xf bank_mask:0xf
	v_and_b32_e32 v6, 16, v63
	v_cmp_eq_u32_e64 s0, 0, v4
	v_cmp_lt_u32_e64 s1, 1, v4
	v_cmp_lt_u32_e64 s8, 3, v4
	v_cmp_lt_u32_e64 s9, 7, v4
	v_cmp_eq_u32_e64 s10, 0, v6
	v_cndmask_b32_e64 v5, v5, 0, s0
	s_delay_alu instid0(VALU_DEP_1) | instskip(NEXT) | instid1(VALU_DEP_1)
	v_add_nc_u32_e32 v2, v5, v2
	v_mov_b32_dpp v5, v2 row_shr:2 row_mask:0xf bank_mask:0xf
	s_delay_alu instid0(VALU_DEP_1) | instskip(NEXT) | instid1(VALU_DEP_1)
	v_cndmask_b32_e64 v5, 0, v5, s1
	v_add_nc_u32_e32 v2, v2, v5
	s_delay_alu instid0(VALU_DEP_1) | instskip(NEXT) | instid1(VALU_DEP_1)
	v_mov_b32_dpp v5, v2 row_shr:4 row_mask:0xf bank_mask:0xf
	v_cndmask_b32_e64 v5, 0, v5, s8
	s_delay_alu instid0(VALU_DEP_1) | instskip(NEXT) | instid1(VALU_DEP_1)
	v_add_nc_u32_e32 v2, v2, v5
	v_mov_b32_dpp v5, v2 row_shr:8 row_mask:0xf bank_mask:0xf
	s_delay_alu instid0(VALU_DEP_1) | instskip(SKIP_1) | instid1(VALU_DEP_2)
	v_cndmask_b32_e64 v4, 0, v5, s9
	v_bfe_i32 v5, v63, 4, 1
	v_add_nc_u32_e32 v2, v2, v4
	ds_swizzle_b32 v4, v2 offset:swizzle(BROADCAST,32,15)
	s_waitcnt lgkmcnt(0)
	v_and_b32_e32 v4, v5, v4
	s_delay_alu instid0(VALU_DEP_1)
	v_add_nc_u32_e32 v4, v2, v4
	s_and_saveexec_b32 s11, s3
	s_cbranch_execz .LBB1672_232
; %bb.231:                              ;   in Loop: Header=BB1672_20 Depth=1
	ds_store_b32 v41, v4
.LBB1672_232:                           ;   in Loop: Header=BB1672_20 Depth=1
	s_or_b32 exec_lo, exec_lo, s11
	v_and_b32_e32 v2, 7, v63
	s_waitcnt lgkmcnt(0)
	s_barrier
	buffer_gl0_inv
	s_and_saveexec_b32 s11, s4
	s_cbranch_execz .LBB1672_234
; %bb.233:                              ;   in Loop: Header=BB1672_20 Depth=1
	ds_load_b32 v5, v42
	v_cmp_ne_u32_e32 vcc_lo, 0, v2
	s_waitcnt lgkmcnt(0)
	v_mov_b32_dpp v6, v5 row_shr:1 row_mask:0xf bank_mask:0xf
	s_delay_alu instid0(VALU_DEP_1) | instskip(SKIP_1) | instid1(VALU_DEP_2)
	v_cndmask_b32_e32 v6, 0, v6, vcc_lo
	v_cmp_lt_u32_e32 vcc_lo, 1, v2
	v_add_nc_u32_e32 v5, v6, v5
	s_delay_alu instid0(VALU_DEP_1) | instskip(NEXT) | instid1(VALU_DEP_1)
	v_mov_b32_dpp v6, v5 row_shr:2 row_mask:0xf bank_mask:0xf
	v_cndmask_b32_e32 v6, 0, v6, vcc_lo
	v_cmp_lt_u32_e32 vcc_lo, 3, v2
	s_delay_alu instid0(VALU_DEP_2) | instskip(NEXT) | instid1(VALU_DEP_1)
	v_add_nc_u32_e32 v5, v5, v6
	v_mov_b32_dpp v6, v5 row_shr:4 row_mask:0xf bank_mask:0xf
	s_delay_alu instid0(VALU_DEP_1) | instskip(NEXT) | instid1(VALU_DEP_1)
	v_cndmask_b32_e32 v6, 0, v6, vcc_lo
	v_add_nc_u32_e32 v5, v5, v6
	ds_store_b32 v42, v5
.LBB1672_234:                           ;   in Loop: Header=BB1672_20 Depth=1
	s_or_b32 exec_lo, exec_lo, s11
	v_mov_b32_e32 v5, 0
	s_waitcnt lgkmcnt(0)
	s_barrier
	buffer_gl0_inv
	s_and_saveexec_b32 s11, s5
	s_cbranch_execz .LBB1672_236
; %bb.235:                              ;   in Loop: Header=BB1672_20 Depth=1
	ds_load_b32 v5, v43
.LBB1672_236:                           ;   in Loop: Header=BB1672_20 Depth=1
	s_or_b32 exec_lo, exec_lo, s11
	v_add_nc_u32_e32 v6, -1, v63
	s_waitcnt lgkmcnt(0)
	v_add_nc_u32_e32 v4, v5, v4
	v_cmp_eq_u32_e64 s11, 0, v63
	s_barrier
	v_cmp_gt_i32_e32 vcc_lo, 0, v6
	buffer_gl0_inv
	v_cndmask_b32_e32 v6, v6, v63, vcc_lo
	s_delay_alu instid0(VALU_DEP_1)
	v_lshlrev_b32_e32 v69, 2, v6
	ds_bpermute_b32 v4, v69, v4
	s_and_saveexec_b32 s12, s2
	s_cbranch_execz .LBB1672_238
; %bb.237:                              ;   in Loop: Header=BB1672_20 Depth=1
	s_waitcnt lgkmcnt(0)
	v_cndmask_b32_e64 v4, v4, v5, s11
	s_delay_alu instid0(VALU_DEP_1)
	v_add_nc_u32_e32 v4, s28, v4
	ds_store_b32 v28, v4
.LBB1672_238:                           ;   in Loop: Header=BB1672_20 Depth=1
	s_or_b32 exec_lo, exec_lo, s12
	s_load_b64 s[12:13], s[26:27], 0x0
	v_add_co_u32 v71, vcc_lo, v57, v63
	v_add_co_ci_u32_e32 v72, vcc_lo, 0, v58, vcc_lo
	v_or_b32_e32 v70, v63, v44
	s_mov_b32 s35, s34
	s_mov_b32 s24, s28
                                        ; implicit-def: $vgpr8_vgpr9
                                        ; implicit-def: $vgpr10_vgpr11
                                        ; implicit-def: $vgpr12_vgpr13
                                        ; implicit-def: $vgpr14_vgpr15
                                        ; implicit-def: $vgpr16_vgpr17
                                        ; implicit-def: $vgpr18_vgpr19
                                        ; implicit-def: $vgpr85
                                        ; implicit-def: $vgpr86
                                        ; implicit-def: $vgpr87
                                        ; implicit-def: $vgpr88
                                        ; implicit-def: $vgpr89
                                        ; implicit-def: $vgpr90
                                        ; implicit-def: $vgpr91
                                        ; implicit-def: $vgpr92
	s_delay_alu instid0(VALU_DEP_1)
	v_or_b32_e32 v75, 32, v70
	v_or_b32_e32 v76, 64, v70
	;; [unrolled: 1-line block ×7, first 2 shown]
	s_waitcnt lgkmcnt(0)
	s_cmp_lt_u32 s15, s13
	s_cselect_b32 s13, 14, 20
	s_delay_alu instid0(SALU_CYCLE_1) | instskip(SKIP_4) | instid1(SALU_CYCLE_1)
	s_add_u32 s16, s26, s13
	s_addc_u32 s17, s27, 0
	s_cmp_lt_u32 s14, s12
	global_load_u16 v4, v3, s[16:17]
	s_cselect_b32 s12, 12, 18
	s_add_u32 s12, s26, s12
	s_addc_u32 s13, s27, 0
	global_load_u16 v6, v3, s[12:13]
	v_cmp_eq_u32_e64 s12, 0, v2
	v_cmp_lt_u32_e64 s13, 1, v2
	v_cmp_lt_u32_e64 s16, 3, v2
	v_lshlrev_b32_e32 v2, 3, v63
	s_delay_alu instid0(VALU_DEP_1)
	v_add_co_u32 v73, vcc_lo, v55, v2
	v_add_co_ci_u32_e32 v74, vcc_lo, 0, v56, vcc_lo
	v_add_co_u32 v83, vcc_lo, 0xe0, v71
	v_add_co_ci_u32_e32 v84, vcc_lo, 0, v72, vcc_lo
	s_waitcnt vmcnt(1)
	v_mad_u32_u24 v7, v45, v4, v0
	s_waitcnt vmcnt(0)
	s_delay_alu instid0(VALU_DEP_1) | instskip(NEXT) | instid1(VALU_DEP_1)
	v_mad_u64_u32 v[4:5], null, v7, v6, v[1:2]
                                        ; implicit-def: $vgpr6_vgpr7
	v_lshrrev_b32_e32 v82, 5, v4
                                        ; implicit-def: $vgpr4_vgpr5
	s_branch .LBB1672_240
.LBB1672_239:                           ;   in Loop: Header=BB1672_240 Depth=2
	s_or_b32 exec_lo, exec_lo, s17
	s_addk_i32 s35, 0xf800
	s_cmp_lt_u32 s42, s29
	s_mov_b32 s24, s42
	s_cbranch_scc0 .LBB1672_352
.LBB1672_240:                           ;   Parent Loop BB1672_20 Depth=1
                                        ; =>  This Inner Loop Header: Depth=2
	s_add_i32 s42, s24, 0x800
	s_delay_alu instid0(SALU_CYCLE_1)
	s_cmp_gt_u32 s42, s29
	s_cbranch_scc1 .LBB1672_243
; %bb.241:                              ;   in Loop: Header=BB1672_240 Depth=2
	v_add_co_u32 v20, vcc_lo, v71, s24
	v_add_co_ci_u32_e32 v21, vcc_lo, 0, v72, vcc_lo
	s_mov_b32 s19, 0
	s_mov_b32 s18, s24
	s_mov_b32 s20, -1
	s_clause 0x6
	global_load_u8 v93, v[20:21], off
	global_load_u8 v94, v[20:21], off offset:32
	global_load_u8 v95, v[20:21], off offset:64
	;; [unrolled: 1-line block ×6, first 2 shown]
	s_movk_i32 s17, 0x800
	s_cbranch_execz .LBB1672_244
; %bb.242:                              ;   in Loop: Header=BB1672_240 Depth=2
                                        ; implicit-def: $sgpr21
	v_mov_b32_e32 v100, s21
	v_mov_b32_e32 v2, s35
	s_and_saveexec_b32 s21, s20
	s_cbranch_execnz .LBB1672_259
	s_branch .LBB1672_260
.LBB1672_243:                           ;   in Loop: Header=BB1672_240 Depth=2
	s_mov_b32 s19, -1
	s_mov_b32 s20, 0
                                        ; implicit-def: $sgpr17
                                        ; implicit-def: $vgpr93
                                        ; implicit-def: $vgpr94
                                        ; implicit-def: $vgpr95
                                        ; implicit-def: $vgpr96
                                        ; implicit-def: $vgpr97
                                        ; implicit-def: $vgpr98
                                        ; implicit-def: $vgpr99
.LBB1672_244:                           ;   in Loop: Header=BB1672_240 Depth=2
	v_add_co_u32 v20, vcc_lo, v71, s24
	v_add_co_ci_u32_e32 v21, vcc_lo, 0, v72, vcc_lo
	s_waitcnt vmcnt(5)
	v_dual_mov_b32 v94, 1 :: v_dual_mov_b32 v93, 1
	s_mov_b32 s17, exec_lo
	v_cmpx_gt_u32_e64 s35, v70
	s_cbranch_execz .LBB1672_246
; %bb.245:                              ;   in Loop: Header=BB1672_240 Depth=2
	global_load_u8 v93, v[20:21], off
.LBB1672_246:                           ;   in Loop: Header=BB1672_240 Depth=2
	s_or_b32 exec_lo, exec_lo, s17
	s_delay_alu instid0(SALU_CYCLE_1)
	s_mov_b32 s17, exec_lo
	v_cmpx_gt_u32_e64 s35, v75
	s_cbranch_execz .LBB1672_248
; %bb.247:                              ;   in Loop: Header=BB1672_240 Depth=2
	global_load_u8 v94, v[20:21], off offset:32
.LBB1672_248:                           ;   in Loop: Header=BB1672_240 Depth=2
	s_or_b32 exec_lo, exec_lo, s17
	s_waitcnt vmcnt(3)
	v_dual_mov_b32 v96, 1 :: v_dual_mov_b32 v95, 1
	s_mov_b32 s17, exec_lo
	v_cmpx_gt_u32_e64 s35, v76
	s_cbranch_execz .LBB1672_250
; %bb.249:                              ;   in Loop: Header=BB1672_240 Depth=2
	global_load_u8 v95, v[20:21], off offset:64
.LBB1672_250:                           ;   in Loop: Header=BB1672_240 Depth=2
	s_or_b32 exec_lo, exec_lo, s17
	s_delay_alu instid0(SALU_CYCLE_1)
	s_mov_b32 s17, exec_lo
	v_cmpx_gt_u32_e64 s35, v77
	s_cbranch_execz .LBB1672_252
; %bb.251:                              ;   in Loop: Header=BB1672_240 Depth=2
	global_load_u8 v96, v[20:21], off offset:96
.LBB1672_252:                           ;   in Loop: Header=BB1672_240 Depth=2
	s_or_b32 exec_lo, exec_lo, s17
	s_waitcnt vmcnt(1)
	v_dual_mov_b32 v98, 1 :: v_dual_mov_b32 v97, 1
	s_mov_b32 s17, exec_lo
	v_cmpx_gt_u32_e64 s35, v78
	s_cbranch_execz .LBB1672_254
; %bb.253:                              ;   in Loop: Header=BB1672_240 Depth=2
	global_load_u8 v97, v[20:21], off offset:128
.LBB1672_254:                           ;   in Loop: Header=BB1672_240 Depth=2
	s_or_b32 exec_lo, exec_lo, s17
	s_delay_alu instid0(SALU_CYCLE_1)
	s_mov_b32 s17, exec_lo
	v_cmpx_gt_u32_e64 s35, v79
	s_cbranch_execz .LBB1672_256
; %bb.255:                              ;   in Loop: Header=BB1672_240 Depth=2
	global_load_u8 v98, v[20:21], off offset:160
.LBB1672_256:                           ;   in Loop: Header=BB1672_240 Depth=2
	s_or_b32 exec_lo, exec_lo, s17
	s_waitcnt vmcnt(0)
	v_mov_b32_e32 v99, 1
	s_mov_b32 s17, exec_lo
	v_cmpx_gt_u32_e64 s35, v80
	s_cbranch_execz .LBB1672_258
; %bb.257:                              ;   in Loop: Header=BB1672_240 Depth=2
	global_load_u8 v99, v[20:21], off offset:192
.LBB1672_258:                           ;   in Loop: Header=BB1672_240 Depth=2
	s_or_b32 exec_lo, exec_lo, s17
	v_cmp_gt_u32_e64 s20, s35, v81
	s_sub_i32 s17, s29, s24
	s_mov_b32 s21, 1
	s_mov_b64 s[18:19], s[24:25]
	v_mov_b32_e32 v100, s21
	v_mov_b32_e32 v2, s35
	s_and_saveexec_b32 s21, s20
	s_cbranch_execz .LBB1672_260
.LBB1672_259:                           ;   in Loop: Header=BB1672_240 Depth=2
	v_add_co_u32 v20, vcc_lo, v83, s18
	v_add_co_ci_u32_e32 v21, vcc_lo, s19, v84, vcc_lo
	v_mov_b32_e32 v2, s17
	global_load_u8 v100, v[20:21], off
.LBB1672_260:                           ;   in Loop: Header=BB1672_240 Depth=2
	s_or_b32 exec_lo, exec_lo, s21
	s_waitcnt vmcnt(6)
	v_and_b32_e32 v20, 0xff, v93
	ds_store_b32 v46, v3 offset:1056
	ds_store_2addr_b32 v47, v3, v3 offset0:1 offset1:2
	ds_store_2addr_b32 v47, v3, v3 offset0:3 offset1:4
	;; [unrolled: 1-line block ×4, first 2 shown]
	s_waitcnt vmcnt(0) lgkmcnt(0)
	s_barrier
	v_lshrrev_b32_e32 v20, s30, v20
	buffer_gl0_inv
	; wave barrier
	v_and_b32_e32 v21, s31, v20
	s_delay_alu instid0(VALU_DEP_1) | instskip(NEXT) | instid1(VALU_DEP_1)
	v_add_co_u32 v20, s17, v21, -1
	v_cndmask_b32_e64 v22, 0, 1, s17
	v_mad_u32_u24 v21, v21, 9, v82
	s_delay_alu instid0(VALU_DEP_2) | instskip(NEXT) | instid1(VALU_DEP_2)
	v_cmp_ne_u32_e32 vcc_lo, 0, v22
	v_lshl_add_u32 v102, v21, 2, 0x420
	v_xor_b32_e32 v20, vcc_lo, v20
	s_delay_alu instid0(VALU_DEP_1) | instskip(NEXT) | instid1(VALU_DEP_1)
	v_and_b32_e32 v20, exec_lo, v20
	v_mbcnt_lo_u32_b32 v101, v20, 0
	v_cmp_ne_u32_e64 s17, 0, v20
	s_delay_alu instid0(VALU_DEP_2) | instskip(NEXT) | instid1(VALU_DEP_2)
	v_cmp_eq_u32_e32 vcc_lo, 0, v101
	s_and_b32 s18, s17, vcc_lo
	s_delay_alu instid0(SALU_CYCLE_1)
	s_and_saveexec_b32 s17, s18
	s_cbranch_execz .LBB1672_262
; %bb.261:                              ;   in Loop: Header=BB1672_240 Depth=2
	v_bcnt_u32_b32 v20, v20, 0
	ds_store_b32 v102, v20
.LBB1672_262:                           ;   in Loop: Header=BB1672_240 Depth=2
	s_or_b32 exec_lo, exec_lo, s17
	v_and_b32_e32 v20, 0xff, v94
	; wave barrier
	s_delay_alu instid0(VALU_DEP_1) | instskip(NEXT) | instid1(VALU_DEP_1)
	v_lshrrev_b32_e32 v20, s30, v20
	v_and_b32_e32 v20, s31, v20
	s_delay_alu instid0(VALU_DEP_1) | instskip(NEXT) | instid1(VALU_DEP_1)
	v_add_co_u32 v21, s17, v20, -1
	v_cndmask_b32_e64 v22, 0, 1, s17
	v_mul_u32_u24_e32 v20, 9, v20
	s_delay_alu instid0(VALU_DEP_2) | instskip(NEXT) | instid1(VALU_DEP_2)
	v_cmp_ne_u32_e32 vcc_lo, 0, v22
	v_add_lshl_u32 v22, v20, v82, 2
	v_xor_b32_e32 v20, vcc_lo, v21
	ds_load_b32 v103, v22 offset:1056
	v_add_nc_u32_e32 v105, 0x420, v22
	; wave barrier
	v_and_b32_e32 v20, exec_lo, v20
	s_delay_alu instid0(VALU_DEP_1) | instskip(SKIP_1) | instid1(VALU_DEP_2)
	v_mbcnt_lo_u32_b32 v104, v20, 0
	v_cmp_ne_u32_e64 s17, 0, v20
	v_cmp_eq_u32_e32 vcc_lo, 0, v104
	s_delay_alu instid0(VALU_DEP_2) | instskip(NEXT) | instid1(SALU_CYCLE_1)
	s_and_b32 s18, s17, vcc_lo
	s_and_saveexec_b32 s17, s18
	s_cbranch_execz .LBB1672_264
; %bb.263:                              ;   in Loop: Header=BB1672_240 Depth=2
	s_waitcnt lgkmcnt(0)
	v_bcnt_u32_b32 v20, v20, v103
	ds_store_b32 v105, v20
.LBB1672_264:                           ;   in Loop: Header=BB1672_240 Depth=2
	s_or_b32 exec_lo, exec_lo, s17
	v_and_b32_e32 v20, 0xff, v95
	; wave barrier
	s_delay_alu instid0(VALU_DEP_1) | instskip(NEXT) | instid1(VALU_DEP_1)
	v_lshrrev_b32_e32 v20, s30, v20
	v_and_b32_e32 v20, s31, v20
	s_delay_alu instid0(VALU_DEP_1) | instskip(NEXT) | instid1(VALU_DEP_1)
	v_add_co_u32 v21, s17, v20, -1
	v_cndmask_b32_e64 v22, 0, 1, s17
	v_mul_u32_u24_e32 v20, 9, v20
	s_delay_alu instid0(VALU_DEP_2) | instskip(NEXT) | instid1(VALU_DEP_2)
	v_cmp_ne_u32_e32 vcc_lo, 0, v22
	v_add_lshl_u32 v22, v20, v82, 2
	v_xor_b32_e32 v20, vcc_lo, v21
	ds_load_b32 v106, v22 offset:1056
	v_add_nc_u32_e32 v109, 0x420, v22
	; wave barrier
	v_and_b32_e32 v20, exec_lo, v20
	s_delay_alu instid0(VALU_DEP_1) | instskip(SKIP_1) | instid1(VALU_DEP_2)
	v_mbcnt_lo_u32_b32 v107, v20, 0
	v_cmp_ne_u32_e64 s17, 0, v20
	v_cmp_eq_u32_e32 vcc_lo, 0, v107
	s_delay_alu instid0(VALU_DEP_2) | instskip(NEXT) | instid1(SALU_CYCLE_1)
	s_and_b32 s18, s17, vcc_lo
	s_and_saveexec_b32 s17, s18
	s_cbranch_execz .LBB1672_266
; %bb.265:                              ;   in Loop: Header=BB1672_240 Depth=2
	s_waitcnt lgkmcnt(0)
	v_bcnt_u32_b32 v20, v20, v106
	ds_store_b32 v109, v20
.LBB1672_266:                           ;   in Loop: Header=BB1672_240 Depth=2
	;; [unrolled: 31-line block ×7, first 2 shown]
	s_or_b32 exec_lo, exec_lo, s17
	; wave barrier
	s_waitcnt lgkmcnt(0)
	s_barrier
	buffer_gl0_inv
	ds_load_b32 v124, v46 offset:1056
	ds_load_2addr_b32 v[26:27], v47 offset0:1 offset1:2
	ds_load_2addr_b32 v[24:25], v47 offset0:3 offset1:4
	;; [unrolled: 1-line block ×4, first 2 shown]
	s_waitcnt lgkmcnt(3)
	v_add3_u32 v125, v26, v124, v27
	s_waitcnt lgkmcnt(2)
	s_delay_alu instid0(VALU_DEP_1) | instskip(SKIP_1) | instid1(VALU_DEP_1)
	v_add3_u32 v125, v125, v24, v25
	s_waitcnt lgkmcnt(1)
	v_add3_u32 v125, v125, v20, v21
	s_waitcnt lgkmcnt(0)
	s_delay_alu instid0(VALU_DEP_1) | instskip(NEXT) | instid1(VALU_DEP_1)
	v_add3_u32 v23, v125, v22, v23
	v_mov_b32_dpp v125, v23 row_shr:1 row_mask:0xf bank_mask:0xf
	s_delay_alu instid0(VALU_DEP_1) | instskip(NEXT) | instid1(VALU_DEP_1)
	v_cndmask_b32_e64 v125, v125, 0, s0
	v_add_nc_u32_e32 v23, v125, v23
	s_delay_alu instid0(VALU_DEP_1) | instskip(NEXT) | instid1(VALU_DEP_1)
	v_mov_b32_dpp v125, v23 row_shr:2 row_mask:0xf bank_mask:0xf
	v_cndmask_b32_e64 v125, 0, v125, s1
	s_delay_alu instid0(VALU_DEP_1) | instskip(NEXT) | instid1(VALU_DEP_1)
	v_add_nc_u32_e32 v23, v23, v125
	v_mov_b32_dpp v125, v23 row_shr:4 row_mask:0xf bank_mask:0xf
	s_delay_alu instid0(VALU_DEP_1) | instskip(NEXT) | instid1(VALU_DEP_1)
	v_cndmask_b32_e64 v125, 0, v125, s8
	v_add_nc_u32_e32 v23, v23, v125
	s_delay_alu instid0(VALU_DEP_1) | instskip(NEXT) | instid1(VALU_DEP_1)
	v_mov_b32_dpp v125, v23 row_shr:8 row_mask:0xf bank_mask:0xf
	v_cndmask_b32_e64 v125, 0, v125, s9
	s_delay_alu instid0(VALU_DEP_1) | instskip(SKIP_3) | instid1(VALU_DEP_1)
	v_add_nc_u32_e32 v23, v23, v125
	ds_swizzle_b32 v125, v23 offset:swizzle(BROADCAST,32,15)
	s_waitcnt lgkmcnt(0)
	v_cndmask_b32_e64 v125, v125, 0, s10
	v_add_nc_u32_e32 v23, v23, v125
	s_and_saveexec_b32 s17, s3
	s_cbranch_execz .LBB1672_278
; %bb.277:                              ;   in Loop: Header=BB1672_240 Depth=2
	ds_store_b32 v38, v23 offset:1024
.LBB1672_278:                           ;   in Loop: Header=BB1672_240 Depth=2
	s_or_b32 exec_lo, exec_lo, s17
	s_waitcnt lgkmcnt(0)
	s_barrier
	buffer_gl0_inv
	s_and_saveexec_b32 s17, s4
	s_cbranch_execz .LBB1672_280
; %bb.279:                              ;   in Loop: Header=BB1672_240 Depth=2
	v_add_nc_u32_e32 v125, v46, v48
	ds_load_b32 v126, v125 offset:1024
	s_waitcnt lgkmcnt(0)
	v_mov_b32_dpp v127, v126 row_shr:1 row_mask:0xf bank_mask:0xf
	s_delay_alu instid0(VALU_DEP_1) | instskip(NEXT) | instid1(VALU_DEP_1)
	v_cndmask_b32_e64 v127, v127, 0, s12
	v_add_nc_u32_e32 v126, v127, v126
	s_delay_alu instid0(VALU_DEP_1) | instskip(NEXT) | instid1(VALU_DEP_1)
	v_mov_b32_dpp v127, v126 row_shr:2 row_mask:0xf bank_mask:0xf
	v_cndmask_b32_e64 v127, 0, v127, s13
	s_delay_alu instid0(VALU_DEP_1) | instskip(NEXT) | instid1(VALU_DEP_1)
	v_add_nc_u32_e32 v126, v126, v127
	v_mov_b32_dpp v127, v126 row_shr:4 row_mask:0xf bank_mask:0xf
	s_delay_alu instid0(VALU_DEP_1) | instskip(NEXT) | instid1(VALU_DEP_1)
	v_cndmask_b32_e64 v127, 0, v127, s16
	v_add_nc_u32_e32 v126, v126, v127
	ds_store_b32 v125, v126 offset:1024
.LBB1672_280:                           ;   in Loop: Header=BB1672_240 Depth=2
	s_or_b32 exec_lo, exec_lo, s17
	v_mov_b32_e32 v125, 0
	s_waitcnt lgkmcnt(0)
	s_barrier
	buffer_gl0_inv
	s_and_saveexec_b32 s17, s5
	s_cbranch_execz .LBB1672_282
; %bb.281:                              ;   in Loop: Header=BB1672_240 Depth=2
	ds_load_b32 v125, v38 offset:1020
.LBB1672_282:                           ;   in Loop: Header=BB1672_240 Depth=2
	s_or_b32 exec_lo, exec_lo, s17
	s_waitcnt lgkmcnt(0)
	v_add_nc_u32_e32 v23, v125, v23
	ds_bpermute_b32 v23, v69, v23
	s_waitcnt lgkmcnt(0)
	v_cndmask_b32_e64 v23, v23, v125, s11
	s_delay_alu instid0(VALU_DEP_1) | instskip(NEXT) | instid1(VALU_DEP_1)
	v_cndmask_b32_e64 v23, v23, 0, s6
	v_add_nc_u32_e32 v124, v23, v124
	s_delay_alu instid0(VALU_DEP_1) | instskip(NEXT) | instid1(VALU_DEP_1)
	v_add_nc_u32_e32 v26, v124, v26
	v_add_nc_u32_e32 v27, v26, v27
	s_delay_alu instid0(VALU_DEP_1) | instskip(NEXT) | instid1(VALU_DEP_1)
	v_add_nc_u32_e32 v24, v27, v24
	;; [unrolled: 3-line block ×3, first 2 shown]
	v_add_nc_u32_e32 v21, v20, v21
	s_delay_alu instid0(VALU_DEP_1)
	v_add_nc_u32_e32 v22, v21, v22
	ds_store_b32 v46, v23 offset:1056
	ds_store_2addr_b32 v47, v124, v26 offset0:1 offset1:2
	ds_store_2addr_b32 v47, v27, v24 offset0:3 offset1:4
	;; [unrolled: 1-line block ×4, first 2 shown]
	v_mov_b32_e32 v22, 0x800
	s_waitcnt lgkmcnt(0)
	s_barrier
	buffer_gl0_inv
	ds_load_b32 v20, v105
	ds_load_b32 v21, v109
	;; [unrolled: 1-line block ×8, first 2 shown]
	ds_load_b32 v27, v46 offset:1056
	s_and_saveexec_b32 s17, s7
	s_cbranch_execz .LBB1672_284
; %bb.283:                              ;   in Loop: Header=BB1672_240 Depth=2
	ds_load_b32 v22, v49 offset:1056
.LBB1672_284:                           ;   in Loop: Header=BB1672_240 Depth=2
	s_or_b32 exec_lo, exec_lo, s17
	s_waitcnt lgkmcnt(0)
	s_barrier
	buffer_gl0_inv
	s_and_saveexec_b32 s17, s2
	s_cbranch_execz .LBB1672_286
; %bb.285:                              ;   in Loop: Header=BB1672_240 Depth=2
	ds_load_b32 v102, v28
	s_waitcnt lgkmcnt(0)
	v_sub_nc_u32_e32 v27, v102, v27
	ds_store_b32 v28, v27
.LBB1672_286:                           ;   in Loop: Header=BB1672_240 Depth=2
	s_or_b32 exec_lo, exec_lo, s17
	v_add_nc_u32_e32 v105, v26, v101
	v_add3_u32 v102, v104, v103, v20
	v_add3_u32 v101, v107, v106, v21
	;; [unrolled: 1-line block ×7, first 2 shown]
	v_cmp_lt_u32_e64 s23, v1, v2
	ds_store_b8 v105, v93 offset:1024
	ds_store_b8 v102, v94 offset:1024
	ds_store_b8 v101, v95 offset:1024
	ds_store_b8 v27, v96 offset:1024
	ds_store_b8 v26, v97 offset:1024
	ds_store_b8 v25, v98 offset:1024
	ds_store_b8 v24, v99 offset:1024
	ds_store_b8 v23, v100 offset:1024
	s_waitcnt lgkmcnt(0)
	s_barrier
	buffer_gl0_inv
	s_and_saveexec_b32 s17, s23
	s_cbranch_execz .LBB1672_294
; %bb.287:                              ;   in Loop: Header=BB1672_240 Depth=2
	ds_load_u8 v20, v1 offset:1024
	s_waitcnt lgkmcnt(0)
	v_and_b32_e32 v21, 1, v20
	s_delay_alu instid0(VALU_DEP_1) | instskip(NEXT) | instid1(VALU_DEP_1)
	v_lshrrev_b32_e32 v21, s30, v21
	v_and_b32_e32 v21, s31, v21
	s_delay_alu instid0(VALU_DEP_1)
	v_lshlrev_b32_e32 v21, 2, v21
	ds_load_b32 v21, v21
	s_waitcnt lgkmcnt(0)
	v_add_nc_u32_e32 v21, v21, v1
	global_store_b8 v21, v20, s[40:41]
	s_or_b32 exec_lo, exec_lo, s17
	v_cmp_lt_u32_e64 s22, v29, v2
	s_delay_alu instid0(VALU_DEP_1)
	s_and_saveexec_b32 s17, s22
	s_cbranch_execnz .LBB1672_295
.LBB1672_288:                           ;   in Loop: Header=BB1672_240 Depth=2
	s_or_b32 exec_lo, exec_lo, s17
	v_cmp_lt_u32_e64 s21, v30, v2
	s_delay_alu instid0(VALU_DEP_1)
	s_and_saveexec_b32 s17, s21
	s_cbranch_execz .LBB1672_296
.LBB1672_289:                           ;   in Loop: Header=BB1672_240 Depth=2
	ds_load_u8 v20, v35 offset:512
	s_waitcnt lgkmcnt(0)
	v_and_b32_e32 v21, 1, v20
	s_delay_alu instid0(VALU_DEP_1) | instskip(NEXT) | instid1(VALU_DEP_1)
	v_lshrrev_b32_e32 v21, s30, v21
	v_and_b32_e32 v21, s31, v21
	s_delay_alu instid0(VALU_DEP_1)
	v_lshlrev_b32_e32 v21, 2, v21
	ds_load_b32 v21, v21
	s_waitcnt lgkmcnt(0)
	v_add_nc_u32_e32 v21, v21, v30
	global_store_b8 v21, v20, s[40:41]
	s_or_b32 exec_lo, exec_lo, s17
	v_cmp_lt_u32_e64 s20, v31, v2
	s_delay_alu instid0(VALU_DEP_1)
	s_and_saveexec_b32 s17, s20
	s_cbranch_execnz .LBB1672_297
.LBB1672_290:                           ;   in Loop: Header=BB1672_240 Depth=2
	s_or_b32 exec_lo, exec_lo, s17
	v_cmp_lt_u32_e64 s19, v35, v2
	s_delay_alu instid0(VALU_DEP_1)
	s_and_saveexec_b32 s17, s19
	s_cbranch_execz .LBB1672_298
.LBB1672_291:                           ;   in Loop: Header=BB1672_240 Depth=2
	ds_load_u8 v20, v35 offset:1024
	s_waitcnt lgkmcnt(0)
	v_and_b32_e32 v21, 1, v20
	s_delay_alu instid0(VALU_DEP_1) | instskip(NEXT) | instid1(VALU_DEP_1)
	v_lshrrev_b32_e32 v21, s30, v21
	v_and_b32_e32 v21, s31, v21
	s_delay_alu instid0(VALU_DEP_1)
	v_lshlrev_b32_e32 v21, 2, v21
	ds_load_b32 v21, v21
	s_waitcnt lgkmcnt(0)
	v_add_nc_u32_e32 v21, v21, v35
	global_store_b8 v21, v20, s[40:41]
	s_or_b32 exec_lo, exec_lo, s17
	v_cmp_lt_u32_e64 s18, v36, v2
	s_delay_alu instid0(VALU_DEP_1)
	s_and_saveexec_b32 s17, s18
	s_cbranch_execnz .LBB1672_299
.LBB1672_292:                           ;   in Loop: Header=BB1672_240 Depth=2
	s_or_b32 exec_lo, exec_lo, s17
	v_cmp_lt_u32_e64 s17, v37, v2
	s_delay_alu instid0(VALU_DEP_1)
	s_and_saveexec_b32 s43, s17
	s_cbranch_execz .LBB1672_300
.LBB1672_293:                           ;   in Loop: Header=BB1672_240 Depth=2
	ds_load_u8 v20, v35 offset:1536
	s_waitcnt lgkmcnt(0)
	v_and_b32_e32 v21, 1, v20
	s_delay_alu instid0(VALU_DEP_1) | instskip(NEXT) | instid1(VALU_DEP_1)
	v_lshrrev_b32_e32 v21, s30, v21
	v_and_b32_e32 v21, s31, v21
	s_delay_alu instid0(VALU_DEP_1)
	v_lshlrev_b32_e32 v21, 2, v21
	ds_load_b32 v21, v21
	s_waitcnt lgkmcnt(0)
	v_add_nc_u32_e32 v21, v21, v37
	global_store_b8 v21, v20, s[40:41]
	s_or_b32 exec_lo, exec_lo, s43
	v_cmp_lt_u32_e32 vcc_lo, v39, v2
	s_and_saveexec_b32 s43, vcc_lo
	s_cbranch_execnz .LBB1672_301
	s_branch .LBB1672_302
.LBB1672_294:                           ;   in Loop: Header=BB1672_240 Depth=2
	s_or_b32 exec_lo, exec_lo, s17
	v_cmp_lt_u32_e64 s22, v29, v2
	s_delay_alu instid0(VALU_DEP_1)
	s_and_saveexec_b32 s17, s22
	s_cbranch_execz .LBB1672_288
.LBB1672_295:                           ;   in Loop: Header=BB1672_240 Depth=2
	ds_load_u8 v20, v35 offset:256
	s_waitcnt lgkmcnt(0)
	v_and_b32_e32 v21, 1, v20
	s_delay_alu instid0(VALU_DEP_1) | instskip(NEXT) | instid1(VALU_DEP_1)
	v_lshrrev_b32_e32 v21, s30, v21
	v_and_b32_e32 v21, s31, v21
	s_delay_alu instid0(VALU_DEP_1)
	v_lshlrev_b32_e32 v21, 2, v21
	ds_load_b32 v21, v21
	s_waitcnt lgkmcnt(0)
	v_add_nc_u32_e32 v21, v21, v29
	global_store_b8 v21, v20, s[40:41]
	s_or_b32 exec_lo, exec_lo, s17
	v_cmp_lt_u32_e64 s21, v30, v2
	s_delay_alu instid0(VALU_DEP_1)
	s_and_saveexec_b32 s17, s21
	s_cbranch_execnz .LBB1672_289
.LBB1672_296:                           ;   in Loop: Header=BB1672_240 Depth=2
	s_or_b32 exec_lo, exec_lo, s17
	v_cmp_lt_u32_e64 s20, v31, v2
	s_delay_alu instid0(VALU_DEP_1)
	s_and_saveexec_b32 s17, s20
	s_cbranch_execz .LBB1672_290
.LBB1672_297:                           ;   in Loop: Header=BB1672_240 Depth=2
	ds_load_u8 v20, v35 offset:768
	s_waitcnt lgkmcnt(0)
	v_and_b32_e32 v21, 1, v20
	s_delay_alu instid0(VALU_DEP_1) | instskip(NEXT) | instid1(VALU_DEP_1)
	v_lshrrev_b32_e32 v21, s30, v21
	v_and_b32_e32 v21, s31, v21
	s_delay_alu instid0(VALU_DEP_1)
	v_lshlrev_b32_e32 v21, 2, v21
	ds_load_b32 v21, v21
	s_waitcnt lgkmcnt(0)
	v_add_nc_u32_e32 v21, v21, v31
	global_store_b8 v21, v20, s[40:41]
	s_or_b32 exec_lo, exec_lo, s17
	v_cmp_lt_u32_e64 s19, v35, v2
	s_delay_alu instid0(VALU_DEP_1)
	s_and_saveexec_b32 s17, s19
	s_cbranch_execnz .LBB1672_291
.LBB1672_298:                           ;   in Loop: Header=BB1672_240 Depth=2
	s_or_b32 exec_lo, exec_lo, s17
	v_cmp_lt_u32_e64 s18, v36, v2
	s_delay_alu instid0(VALU_DEP_1)
	s_and_saveexec_b32 s17, s18
	s_cbranch_execz .LBB1672_292
.LBB1672_299:                           ;   in Loop: Header=BB1672_240 Depth=2
	ds_load_u8 v20, v35 offset:1280
	s_waitcnt lgkmcnt(0)
	v_and_b32_e32 v21, 1, v20
	s_delay_alu instid0(VALU_DEP_1) | instskip(NEXT) | instid1(VALU_DEP_1)
	v_lshrrev_b32_e32 v21, s30, v21
	v_and_b32_e32 v21, s31, v21
	s_delay_alu instid0(VALU_DEP_1)
	v_lshlrev_b32_e32 v21, 2, v21
	ds_load_b32 v21, v21
	s_waitcnt lgkmcnt(0)
	v_add_nc_u32_e32 v21, v21, v36
	global_store_b8 v21, v20, s[40:41]
	s_or_b32 exec_lo, exec_lo, s17
	v_cmp_lt_u32_e64 s17, v37, v2
	s_delay_alu instid0(VALU_DEP_1)
	s_and_saveexec_b32 s43, s17
	s_cbranch_execnz .LBB1672_293
.LBB1672_300:                           ;   in Loop: Header=BB1672_240 Depth=2
	s_or_b32 exec_lo, exec_lo, s43
	v_cmp_lt_u32_e32 vcc_lo, v39, v2
	s_and_saveexec_b32 s43, vcc_lo
	s_cbranch_execz .LBB1672_302
.LBB1672_301:                           ;   in Loop: Header=BB1672_240 Depth=2
	ds_load_u8 v20, v35 offset:1792
	s_waitcnt lgkmcnt(0)
	v_and_b32_e32 v21, 1, v20
	s_delay_alu instid0(VALU_DEP_1) | instskip(NEXT) | instid1(VALU_DEP_1)
	v_lshrrev_b32_e32 v21, s30, v21
	v_and_b32_e32 v21, s31, v21
	s_delay_alu instid0(VALU_DEP_1)
	v_lshlrev_b32_e32 v21, 2, v21
	ds_load_b32 v21, v21
	s_waitcnt lgkmcnt(0)
	v_add_nc_u32_e32 v21, v21, v39
	global_store_b8 v21, v20, s[40:41]
.LBB1672_302:                           ;   in Loop: Header=BB1672_240 Depth=2
	s_or_b32 exec_lo, exec_lo, s43
	s_lshl_b64 s[52:53], s[24:25], 3
	s_delay_alu instid0(SALU_CYCLE_1) | instskip(NEXT) | instid1(VALU_DEP_1)
	v_add_co_u32 v20, s24, v73, s52
	v_add_co_ci_u32_e64 v21, s24, s53, v74, s24
	v_cmp_lt_u32_e64 s24, v70, v2
	s_delay_alu instid0(VALU_DEP_1) | instskip(NEXT) | instid1(SALU_CYCLE_1)
	s_and_saveexec_b32 s43, s24
	s_xor_b32 s24, exec_lo, s43
	s_cbranch_execz .LBB1672_318
; %bb.303:                              ;   in Loop: Header=BB1672_240 Depth=2
	global_load_b64 v[18:19], v[20:21], off
	s_or_b32 exec_lo, exec_lo, s24
	s_delay_alu instid0(SALU_CYCLE_1)
	s_mov_b32 s43, exec_lo
	v_cmpx_lt_u32_e64 v75, v2
	s_cbranch_execnz .LBB1672_319
.LBB1672_304:                           ;   in Loop: Header=BB1672_240 Depth=2
	s_or_b32 exec_lo, exec_lo, s43
	s_delay_alu instid0(SALU_CYCLE_1)
	s_mov_b32 s43, exec_lo
	v_cmpx_lt_u32_e64 v76, v2
	s_cbranch_execz .LBB1672_320
.LBB1672_305:                           ;   in Loop: Header=BB1672_240 Depth=2
	global_load_b64 v[14:15], v[20:21], off offset:512
	s_or_b32 exec_lo, exec_lo, s43
	s_delay_alu instid0(SALU_CYCLE_1)
	s_mov_b32 s43, exec_lo
	v_cmpx_lt_u32_e64 v77, v2
	s_cbranch_execnz .LBB1672_321
.LBB1672_306:                           ;   in Loop: Header=BB1672_240 Depth=2
	s_or_b32 exec_lo, exec_lo, s43
	s_delay_alu instid0(SALU_CYCLE_1)
	s_mov_b32 s43, exec_lo
	v_cmpx_lt_u32_e64 v78, v2
	s_cbranch_execz .LBB1672_322
.LBB1672_307:                           ;   in Loop: Header=BB1672_240 Depth=2
	global_load_b64 v[10:11], v[20:21], off offset:1024
	s_or_b32 exec_lo, exec_lo, s43
	s_delay_alu instid0(SALU_CYCLE_1)
	s_mov_b32 s43, exec_lo
	v_cmpx_lt_u32_e64 v79, v2
	s_cbranch_execnz .LBB1672_323
.LBB1672_308:                           ;   in Loop: Header=BB1672_240 Depth=2
	s_or_b32 exec_lo, exec_lo, s43
	s_delay_alu instid0(SALU_CYCLE_1)
	s_mov_b32 s43, exec_lo
	v_cmpx_lt_u32_e64 v80, v2
	s_cbranch_execz .LBB1672_324
.LBB1672_309:                           ;   in Loop: Header=BB1672_240 Depth=2
	global_load_b64 v[6:7], v[20:21], off offset:1536
	s_or_b32 exec_lo, exec_lo, s43
	s_delay_alu instid0(SALU_CYCLE_1)
	s_mov_b32 s43, exec_lo
	v_cmpx_lt_u32_e64 v81, v2
	s_cbranch_execnz .LBB1672_325
.LBB1672_310:                           ;   in Loop: Header=BB1672_240 Depth=2
	s_or_b32 exec_lo, exec_lo, s43
	s_and_saveexec_b32 s24, s23
	s_cbranch_execz .LBB1672_326
.LBB1672_311:                           ;   in Loop: Header=BB1672_240 Depth=2
	ds_load_u8 v2, v1 offset:1024
	s_waitcnt lgkmcnt(0)
	v_lshrrev_b32_e32 v2, s30, v2
	s_delay_alu instid0(VALU_DEP_1)
	v_and_b32_e32 v92, s31, v2
	s_or_b32 exec_lo, exec_lo, s24
	s_and_saveexec_b32 s24, s22
	s_cbranch_execnz .LBB1672_327
.LBB1672_312:                           ;   in Loop: Header=BB1672_240 Depth=2
	s_or_b32 exec_lo, exec_lo, s24
	s_and_saveexec_b32 s24, s21
	s_cbranch_execz .LBB1672_328
.LBB1672_313:                           ;   in Loop: Header=BB1672_240 Depth=2
	ds_load_u8 v2, v35 offset:512
	s_waitcnt lgkmcnt(0)
	v_lshrrev_b32_e32 v2, s30, v2
	s_delay_alu instid0(VALU_DEP_1)
	v_and_b32_e32 v90, s31, v2
	s_or_b32 exec_lo, exec_lo, s24
	s_and_saveexec_b32 s24, s20
	s_cbranch_execnz .LBB1672_329
.LBB1672_314:                           ;   in Loop: Header=BB1672_240 Depth=2
	s_or_b32 exec_lo, exec_lo, s24
	s_and_saveexec_b32 s24, s19
	s_cbranch_execz .LBB1672_330
.LBB1672_315:                           ;   in Loop: Header=BB1672_240 Depth=2
	ds_load_u8 v2, v35 offset:1024
	s_waitcnt lgkmcnt(0)
	v_lshrrev_b32_e32 v2, s30, v2
	s_delay_alu instid0(VALU_DEP_1)
	v_and_b32_e32 v88, s31, v2
	s_or_b32 exec_lo, exec_lo, s24
	s_and_saveexec_b32 s24, s18
	s_cbranch_execnz .LBB1672_331
.LBB1672_316:                           ;   in Loop: Header=BB1672_240 Depth=2
	s_or_b32 exec_lo, exec_lo, s24
	s_and_saveexec_b32 s24, s17
	s_cbranch_execz .LBB1672_332
.LBB1672_317:                           ;   in Loop: Header=BB1672_240 Depth=2
	ds_load_u8 v2, v35 offset:1536
	s_waitcnt lgkmcnt(0)
	v_lshrrev_b32_e32 v2, s30, v2
	s_delay_alu instid0(VALU_DEP_1)
	v_and_b32_e32 v86, s31, v2
	s_or_b32 exec_lo, exec_lo, s24
	s_and_saveexec_b32 s24, vcc_lo
	s_cbranch_execnz .LBB1672_333
	s_branch .LBB1672_334
.LBB1672_318:                           ;   in Loop: Header=BB1672_240 Depth=2
	s_or_b32 exec_lo, exec_lo, s24
	s_delay_alu instid0(SALU_CYCLE_1)
	s_mov_b32 s43, exec_lo
	v_cmpx_lt_u32_e64 v75, v2
	s_cbranch_execz .LBB1672_304
.LBB1672_319:                           ;   in Loop: Header=BB1672_240 Depth=2
	global_load_b64 v[16:17], v[20:21], off offset:256
	s_or_b32 exec_lo, exec_lo, s43
	s_delay_alu instid0(SALU_CYCLE_1)
	s_mov_b32 s43, exec_lo
	v_cmpx_lt_u32_e64 v76, v2
	s_cbranch_execnz .LBB1672_305
.LBB1672_320:                           ;   in Loop: Header=BB1672_240 Depth=2
	s_or_b32 exec_lo, exec_lo, s43
	s_delay_alu instid0(SALU_CYCLE_1)
	s_mov_b32 s43, exec_lo
	v_cmpx_lt_u32_e64 v77, v2
	s_cbranch_execz .LBB1672_306
.LBB1672_321:                           ;   in Loop: Header=BB1672_240 Depth=2
	global_load_b64 v[12:13], v[20:21], off offset:768
	s_or_b32 exec_lo, exec_lo, s43
	s_delay_alu instid0(SALU_CYCLE_1)
	s_mov_b32 s43, exec_lo
	v_cmpx_lt_u32_e64 v78, v2
	s_cbranch_execnz .LBB1672_307
.LBB1672_322:                           ;   in Loop: Header=BB1672_240 Depth=2
	s_or_b32 exec_lo, exec_lo, s43
	s_delay_alu instid0(SALU_CYCLE_1)
	s_mov_b32 s43, exec_lo
	v_cmpx_lt_u32_e64 v79, v2
	s_cbranch_execz .LBB1672_308
.LBB1672_323:                           ;   in Loop: Header=BB1672_240 Depth=2
	global_load_b64 v[8:9], v[20:21], off offset:1280
	s_or_b32 exec_lo, exec_lo, s43
	s_delay_alu instid0(SALU_CYCLE_1)
	s_mov_b32 s43, exec_lo
	v_cmpx_lt_u32_e64 v80, v2
	s_cbranch_execnz .LBB1672_309
.LBB1672_324:                           ;   in Loop: Header=BB1672_240 Depth=2
	s_or_b32 exec_lo, exec_lo, s43
	s_delay_alu instid0(SALU_CYCLE_1)
	s_mov_b32 s43, exec_lo
	v_cmpx_lt_u32_e64 v81, v2
	s_cbranch_execz .LBB1672_310
.LBB1672_325:                           ;   in Loop: Header=BB1672_240 Depth=2
	global_load_b64 v[4:5], v[20:21], off offset:1792
	s_or_b32 exec_lo, exec_lo, s43
	s_and_saveexec_b32 s24, s23
	s_cbranch_execnz .LBB1672_311
.LBB1672_326:                           ;   in Loop: Header=BB1672_240 Depth=2
	s_or_b32 exec_lo, exec_lo, s24
	s_and_saveexec_b32 s24, s22
	s_cbranch_execz .LBB1672_312
.LBB1672_327:                           ;   in Loop: Header=BB1672_240 Depth=2
	ds_load_u8 v2, v35 offset:256
	s_waitcnt lgkmcnt(0)
	v_lshrrev_b32_e32 v2, s30, v2
	s_delay_alu instid0(VALU_DEP_1)
	v_and_b32_e32 v91, s31, v2
	s_or_b32 exec_lo, exec_lo, s24
	s_and_saveexec_b32 s24, s21
	s_cbranch_execnz .LBB1672_313
.LBB1672_328:                           ;   in Loop: Header=BB1672_240 Depth=2
	s_or_b32 exec_lo, exec_lo, s24
	s_and_saveexec_b32 s24, s20
	s_cbranch_execz .LBB1672_314
.LBB1672_329:                           ;   in Loop: Header=BB1672_240 Depth=2
	ds_load_u8 v2, v35 offset:768
	s_waitcnt lgkmcnt(0)
	v_lshrrev_b32_e32 v2, s30, v2
	s_delay_alu instid0(VALU_DEP_1)
	v_and_b32_e32 v89, s31, v2
	s_or_b32 exec_lo, exec_lo, s24
	s_and_saveexec_b32 s24, s19
	s_cbranch_execnz .LBB1672_315
.LBB1672_330:                           ;   in Loop: Header=BB1672_240 Depth=2
	s_or_b32 exec_lo, exec_lo, s24
	s_and_saveexec_b32 s24, s18
	s_cbranch_execz .LBB1672_316
.LBB1672_331:                           ;   in Loop: Header=BB1672_240 Depth=2
	ds_load_u8 v2, v35 offset:1280
	s_waitcnt lgkmcnt(0)
	v_lshrrev_b32_e32 v2, s30, v2
	s_delay_alu instid0(VALU_DEP_1)
	v_and_b32_e32 v87, s31, v2
	s_or_b32 exec_lo, exec_lo, s24
	s_and_saveexec_b32 s24, s17
	s_cbranch_execnz .LBB1672_317
.LBB1672_332:                           ;   in Loop: Header=BB1672_240 Depth=2
	s_or_b32 exec_lo, exec_lo, s24
	s_and_saveexec_b32 s24, vcc_lo
	s_cbranch_execz .LBB1672_334
.LBB1672_333:                           ;   in Loop: Header=BB1672_240 Depth=2
	ds_load_u8 v2, v35 offset:1792
	s_waitcnt lgkmcnt(0)
	v_lshrrev_b32_e32 v2, s30, v2
	s_delay_alu instid0(VALU_DEP_1)
	v_and_b32_e32 v85, s31, v2
.LBB1672_334:                           ;   in Loop: Header=BB1672_240 Depth=2
	s_or_b32 exec_lo, exec_lo, s24
	v_lshlrev_b32_e32 v2, 3, v105
	v_lshlrev_b32_e32 v20, 3, v102
	;; [unrolled: 1-line block ×3, first 2 shown]
	s_waitcnt vmcnt(0)
	s_waitcnt_vscnt null, 0x0
	s_barrier
	buffer_gl0_inv
	ds_store_b64 v2, v[18:19] offset:1024
	ds_store_b64 v20, v[16:17] offset:1024
	;; [unrolled: 1-line block ×3, first 2 shown]
	v_lshlrev_b32_e32 v2, 3, v27
	v_lshlrev_b32_e32 v20, 3, v26
	;; [unrolled: 1-line block ×5, first 2 shown]
	ds_store_b64 v2, v[12:13] offset:1024
	ds_store_b64 v20, v[10:11] offset:1024
	;; [unrolled: 1-line block ×5, first 2 shown]
	s_waitcnt lgkmcnt(0)
	s_barrier
	buffer_gl0_inv
	s_and_saveexec_b32 s24, s23
	s_cbranch_execz .LBB1672_342
; %bb.335:                              ;   in Loop: Header=BB1672_240 Depth=2
	v_lshlrev_b32_e32 v2, 2, v92
	v_add_nc_u32_e32 v20, v1, v52
	ds_load_b32 v2, v2
	ds_load_b64 v[20:21], v20 offset:1024
	s_waitcnt lgkmcnt(1)
	v_add_nc_u32_e32 v2, v2, v1
	s_delay_alu instid0(VALU_DEP_1) | instskip(NEXT) | instid1(VALU_DEP_1)
	v_lshlrev_b64 v[23:24], 3, v[2:3]
	v_add_co_u32 v23, s23, s46, v23
	s_delay_alu instid0(VALU_DEP_1)
	v_add_co_ci_u32_e64 v24, s23, s47, v24, s23
	s_waitcnt lgkmcnt(0)
	global_store_b64 v[23:24], v[20:21], off
	s_or_b32 exec_lo, exec_lo, s24
	s_and_saveexec_b32 s23, s22
	s_cbranch_execnz .LBB1672_343
.LBB1672_336:                           ;   in Loop: Header=BB1672_240 Depth=2
	s_or_b32 exec_lo, exec_lo, s23
	s_and_saveexec_b32 s22, s21
	s_cbranch_execz .LBB1672_344
.LBB1672_337:                           ;   in Loop: Header=BB1672_240 Depth=2
	v_lshlrev_b32_e32 v2, 2, v90
	v_add_nc_u32_e32 v20, v35, v52
	ds_load_b32 v2, v2
	ds_load_b64 v[20:21], v20 offset:4096
	s_waitcnt lgkmcnt(1)
	v_add_nc_u32_e32 v2, v2, v30
	s_delay_alu instid0(VALU_DEP_1) | instskip(NEXT) | instid1(VALU_DEP_1)
	v_lshlrev_b64 v[23:24], 3, v[2:3]
	v_add_co_u32 v23, s21, s46, v23
	s_delay_alu instid0(VALU_DEP_1)
	v_add_co_ci_u32_e64 v24, s21, s47, v24, s21
	s_waitcnt lgkmcnt(0)
	global_store_b64 v[23:24], v[20:21], off
	s_or_b32 exec_lo, exec_lo, s22
	s_and_saveexec_b32 s21, s20
	s_cbranch_execnz .LBB1672_345
.LBB1672_338:                           ;   in Loop: Header=BB1672_240 Depth=2
	s_or_b32 exec_lo, exec_lo, s21
	s_and_saveexec_b32 s20, s19
	s_cbranch_execz .LBB1672_346
.LBB1672_339:                           ;   in Loop: Header=BB1672_240 Depth=2
	v_lshlrev_b32_e32 v2, 2, v88
	v_add_nc_u32_e32 v20, v35, v52
	ds_load_b32 v2, v2
	ds_load_b64 v[20:21], v20 offset:8192
	s_waitcnt lgkmcnt(1)
	v_add_nc_u32_e32 v2, v2, v35
	s_delay_alu instid0(VALU_DEP_1) | instskip(NEXT) | instid1(VALU_DEP_1)
	v_lshlrev_b64 v[23:24], 3, v[2:3]
	v_add_co_u32 v23, s19, s46, v23
	s_delay_alu instid0(VALU_DEP_1)
	v_add_co_ci_u32_e64 v24, s19, s47, v24, s19
	s_waitcnt lgkmcnt(0)
	global_store_b64 v[23:24], v[20:21], off
	s_or_b32 exec_lo, exec_lo, s20
	s_and_saveexec_b32 s19, s18
	s_cbranch_execnz .LBB1672_347
.LBB1672_340:                           ;   in Loop: Header=BB1672_240 Depth=2
	s_or_b32 exec_lo, exec_lo, s19
	s_and_saveexec_b32 s18, s17
	s_cbranch_execz .LBB1672_348
.LBB1672_341:                           ;   in Loop: Header=BB1672_240 Depth=2
	v_lshlrev_b32_e32 v2, 2, v86
	v_add_nc_u32_e32 v20, v35, v52
	ds_load_b32 v2, v2
	ds_load_b64 v[20:21], v20 offset:12288
	s_waitcnt lgkmcnt(1)
	v_add_nc_u32_e32 v2, v2, v37
	s_delay_alu instid0(VALU_DEP_1) | instskip(NEXT) | instid1(VALU_DEP_1)
	v_lshlrev_b64 v[23:24], 3, v[2:3]
	v_add_co_u32 v23, s17, s46, v23
	s_delay_alu instid0(VALU_DEP_1)
	v_add_co_ci_u32_e64 v24, s17, s47, v24, s17
	s_waitcnt lgkmcnt(0)
	global_store_b64 v[23:24], v[20:21], off
	s_or_b32 exec_lo, exec_lo, s18
	s_and_saveexec_b32 s17, vcc_lo
	s_cbranch_execnz .LBB1672_349
	s_branch .LBB1672_350
.LBB1672_342:                           ;   in Loop: Header=BB1672_240 Depth=2
	s_or_b32 exec_lo, exec_lo, s24
	s_and_saveexec_b32 s23, s22
	s_cbranch_execz .LBB1672_336
.LBB1672_343:                           ;   in Loop: Header=BB1672_240 Depth=2
	v_lshlrev_b32_e32 v2, 2, v91
	v_add_nc_u32_e32 v20, v35, v52
	ds_load_b32 v2, v2
	ds_load_b64 v[20:21], v20 offset:2048
	s_waitcnt lgkmcnt(1)
	v_add_nc_u32_e32 v2, v2, v29
	s_delay_alu instid0(VALU_DEP_1) | instskip(NEXT) | instid1(VALU_DEP_1)
	v_lshlrev_b64 v[23:24], 3, v[2:3]
	v_add_co_u32 v23, s22, s46, v23
	s_delay_alu instid0(VALU_DEP_1)
	v_add_co_ci_u32_e64 v24, s22, s47, v24, s22
	s_waitcnt lgkmcnt(0)
	global_store_b64 v[23:24], v[20:21], off
	s_or_b32 exec_lo, exec_lo, s23
	s_and_saveexec_b32 s22, s21
	s_cbranch_execnz .LBB1672_337
.LBB1672_344:                           ;   in Loop: Header=BB1672_240 Depth=2
	s_or_b32 exec_lo, exec_lo, s22
	s_and_saveexec_b32 s21, s20
	s_cbranch_execz .LBB1672_338
.LBB1672_345:                           ;   in Loop: Header=BB1672_240 Depth=2
	v_lshlrev_b32_e32 v2, 2, v89
	v_add_nc_u32_e32 v20, v35, v52
	ds_load_b32 v2, v2
	ds_load_b64 v[20:21], v20 offset:6144
	s_waitcnt lgkmcnt(1)
	v_add_nc_u32_e32 v2, v2, v31
	s_delay_alu instid0(VALU_DEP_1) | instskip(NEXT) | instid1(VALU_DEP_1)
	v_lshlrev_b64 v[23:24], 3, v[2:3]
	v_add_co_u32 v23, s20, s46, v23
	s_delay_alu instid0(VALU_DEP_1)
	v_add_co_ci_u32_e64 v24, s20, s47, v24, s20
	s_waitcnt lgkmcnt(0)
	global_store_b64 v[23:24], v[20:21], off
	s_or_b32 exec_lo, exec_lo, s21
	s_and_saveexec_b32 s20, s19
	s_cbranch_execnz .LBB1672_339
.LBB1672_346:                           ;   in Loop: Header=BB1672_240 Depth=2
	s_or_b32 exec_lo, exec_lo, s20
	s_and_saveexec_b32 s19, s18
	s_cbranch_execz .LBB1672_340
.LBB1672_347:                           ;   in Loop: Header=BB1672_240 Depth=2
	v_lshlrev_b32_e32 v2, 2, v87
	v_add_nc_u32_e32 v20, v35, v52
	ds_load_b32 v2, v2
	ds_load_b64 v[20:21], v20 offset:10240
	s_waitcnt lgkmcnt(1)
	v_add_nc_u32_e32 v2, v2, v36
	s_delay_alu instid0(VALU_DEP_1) | instskip(NEXT) | instid1(VALU_DEP_1)
	v_lshlrev_b64 v[23:24], 3, v[2:3]
	v_add_co_u32 v23, s18, s46, v23
	s_delay_alu instid0(VALU_DEP_1)
	v_add_co_ci_u32_e64 v24, s18, s47, v24, s18
	s_waitcnt lgkmcnt(0)
	global_store_b64 v[23:24], v[20:21], off
	s_or_b32 exec_lo, exec_lo, s19
	s_and_saveexec_b32 s18, s17
	s_cbranch_execnz .LBB1672_341
.LBB1672_348:                           ;   in Loop: Header=BB1672_240 Depth=2
	s_or_b32 exec_lo, exec_lo, s18
	s_and_saveexec_b32 s17, vcc_lo
	s_cbranch_execz .LBB1672_350
.LBB1672_349:                           ;   in Loop: Header=BB1672_240 Depth=2
	v_lshlrev_b32_e32 v2, 2, v85
	v_add_nc_u32_e32 v20, v35, v52
	ds_load_b32 v2, v2
	ds_load_b64 v[20:21], v20 offset:14336
	s_waitcnt lgkmcnt(1)
	v_add_nc_u32_e32 v2, v2, v39
	s_delay_alu instid0(VALU_DEP_1) | instskip(NEXT) | instid1(VALU_DEP_1)
	v_lshlrev_b64 v[23:24], 3, v[2:3]
	v_add_co_u32 v23, vcc_lo, s46, v23
	s_delay_alu instid0(VALU_DEP_2)
	v_add_co_ci_u32_e32 v24, vcc_lo, s47, v24, vcc_lo
	s_waitcnt lgkmcnt(0)
	global_store_b64 v[23:24], v[20:21], off
.LBB1672_350:                           ;   in Loop: Header=BB1672_240 Depth=2
	s_or_b32 exec_lo, exec_lo, s17
	s_waitcnt_vscnt null, 0x0
	s_barrier
	buffer_gl0_inv
	s_and_saveexec_b32 s17, s2
	s_cbranch_execz .LBB1672_239
; %bb.351:                              ;   in Loop: Header=BB1672_240 Depth=2
	ds_load_b32 v2, v28
	s_waitcnt lgkmcnt(0)
	v_add_nc_u32_e32 v2, v2, v22
	ds_store_b32 v28, v2
	s_branch .LBB1672_239
.LBB1672_352:                           ;   in Loop: Header=BB1672_20 Depth=1
	s_waitcnt lgkmcnt(0)
	s_barrier
.LBB1672_353:                           ;   in Loop: Header=BB1672_20 Depth=1
	s_mov_b32 s0, 0
.LBB1672_354:                           ;   in Loop: Header=BB1672_20 Depth=1
	s_delay_alu instid0(SALU_CYCLE_1)
	s_and_not1_b32 vcc_lo, exec_lo, s0
	s_cbranch_vccnz .LBB1672_19
; %bb.355:                              ;   in Loop: Header=BB1672_20 Depth=1
	s_and_b32 vcc_lo, exec_lo, s33
	s_mov_b32 s0, -1
	s_cbranch_vccz .LBB1672_521
; %bb.356:                              ;   in Loop: Header=BB1672_20 Depth=1
	s_mov_b32 s0, s34
	s_mov_b32 s9, s28
	s_barrier
	buffer_gl0_inv
                                        ; implicit-def: $vgpr2
                                        ; implicit-def: $vgpr6
                                        ; implicit-def: $vgpr7
                                        ; implicit-def: $vgpr8
                                        ; implicit-def: $vgpr9
                                        ; implicit-def: $vgpr10
                                        ; implicit-def: $vgpr11
                                        ; implicit-def: $vgpr12
	s_branch .LBB1672_358
.LBB1672_357:                           ;   in Loop: Header=BB1672_358 Depth=2
	s_or_b32 exec_lo, exec_lo, s8
	s_addk_i32 s0, 0xf800
	s_cmp_ge_u32 s1, s29
	s_mov_b32 s9, s1
	s_cbranch_scc1 .LBB1672_396
.LBB1672_358:                           ;   Parent Loop BB1672_20 Depth=1
                                        ; =>  This Inner Loop Header: Depth=2
	s_add_i32 s1, s9, 0x800
	s_delay_alu instid0(SALU_CYCLE_1)
	s_cmp_gt_u32 s1, s29
	s_cbranch_scc1 .LBB1672_361
; %bb.359:                              ;   in Loop: Header=BB1672_358 Depth=2
	v_add_co_u32 v4, vcc_lo, v59, s9
	v_add_co_ci_u32_e32 v5, vcc_lo, 0, v60, vcc_lo
	s_mov_b32 s8, -1
	s_movk_i32 s12, 0x800
	s_clause 0x6
	global_load_u8 v20, v[4:5], off offset:1536
	global_load_u8 v19, v[4:5], off offset:1280
	;; [unrolled: 1-line block ×6, first 2 shown]
	global_load_u8 v14, v[4:5], off
	v_add_co_u32 v4, vcc_lo, 0x700, v4
	v_add_co_ci_u32_e32 v5, vcc_lo, 0, v5, vcc_lo
	s_cbranch_execz .LBB1672_362
; %bb.360:                              ;   in Loop: Header=BB1672_358 Depth=2
                                        ; implicit-def: $vgpr2
                                        ; implicit-def: $vgpr6
                                        ; implicit-def: $vgpr7
                                        ; implicit-def: $vgpr8
                                        ; implicit-def: $vgpr9
                                        ; implicit-def: $vgpr10
                                        ; implicit-def: $vgpr11
                                        ; implicit-def: $vgpr12
	v_mov_b32_e32 v13, s0
	s_and_saveexec_b32 s9, s8
	s_cbranch_execnz .LBB1672_373
	s_branch .LBB1672_374
.LBB1672_361:                           ;   in Loop: Header=BB1672_358 Depth=2
	s_mov_b32 s8, 0
                                        ; implicit-def: $sgpr12
                                        ; implicit-def: $vgpr14
                                        ; implicit-def: $vgpr15
                                        ; implicit-def: $vgpr16
                                        ; implicit-def: $vgpr17
                                        ; implicit-def: $vgpr18
                                        ; implicit-def: $vgpr19
                                        ; implicit-def: $vgpr20
                                        ; implicit-def: $vgpr4_vgpr5
.LBB1672_362:                           ;   in Loop: Header=BB1672_358 Depth=2
	s_add_u32 s10, s36, s9
	s_addc_u32 s11, s37, 0
	s_mov_b32 s12, exec_lo
	v_cmpx_gt_u32_e64 s0, v1
	s_cbranch_execz .LBB1672_390
; %bb.363:                              ;   in Loop: Header=BB1672_358 Depth=2
	v_add_co_u32 v4, s13, s10, v1
	s_delay_alu instid0(VALU_DEP_1) | instskip(SKIP_2) | instid1(SALU_CYCLE_1)
	v_add_co_ci_u32_e64 v5, null, s11, 0, s13
	global_load_u8 v2, v[4:5], off
	s_or_b32 exec_lo, exec_lo, s12
	s_mov_b32 s12, exec_lo
	v_cmpx_gt_u32_e64 s0, v29
	s_cbranch_execnz .LBB1672_391
.LBB1672_364:                           ;   in Loop: Header=BB1672_358 Depth=2
	s_or_b32 exec_lo, exec_lo, s12
	s_delay_alu instid0(SALU_CYCLE_1)
	s_mov_b32 s12, exec_lo
	v_cmpx_gt_u32_e64 s0, v30
	s_cbranch_execz .LBB1672_392
.LBB1672_365:                           ;   in Loop: Header=BB1672_358 Depth=2
	v_add_co_u32 v4, s13, s10, v1
	s_delay_alu instid0(VALU_DEP_1) | instskip(SKIP_2) | instid1(SALU_CYCLE_1)
	v_add_co_ci_u32_e64 v5, null, s11, 0, s13
	global_load_u8 v7, v[4:5], off offset:512
	s_or_b32 exec_lo, exec_lo, s12
	s_mov_b32 s12, exec_lo
	v_cmpx_gt_u32_e64 s0, v31
	s_cbranch_execnz .LBB1672_393
.LBB1672_366:                           ;   in Loop: Header=BB1672_358 Depth=2
	s_or_b32 exec_lo, exec_lo, s12
	s_delay_alu instid0(SALU_CYCLE_1)
	s_mov_b32 s12, exec_lo
	v_cmpx_gt_u32_e64 s0, v35
	s_cbranch_execz .LBB1672_394
.LBB1672_367:                           ;   in Loop: Header=BB1672_358 Depth=2
	v_add_co_u32 v4, s13, s10, v1
	s_delay_alu instid0(VALU_DEP_1) | instskip(SKIP_2) | instid1(SALU_CYCLE_1)
	v_add_co_ci_u32_e64 v5, null, s11, 0, s13
	global_load_u8 v9, v[4:5], off offset:1024
	s_or_b32 exec_lo, exec_lo, s12
	s_mov_b32 s12, exec_lo
	v_cmpx_gt_u32_e64 s0, v36
	s_cbranch_execnz .LBB1672_395
.LBB1672_368:                           ;   in Loop: Header=BB1672_358 Depth=2
	s_or_b32 exec_lo, exec_lo, s12
	s_delay_alu instid0(SALU_CYCLE_1)
	s_mov_b32 s12, exec_lo
	v_cmpx_gt_u32_e64 s0, v37
	s_cbranch_execz .LBB1672_370
.LBB1672_369:                           ;   in Loop: Header=BB1672_358 Depth=2
	v_add_co_u32 v4, s13, s10, v1
	s_delay_alu instid0(VALU_DEP_1)
	v_add_co_ci_u32_e64 v5, null, s11, 0, s13
	global_load_u8 v11, v[4:5], off offset:1536
.LBB1672_370:                           ;   in Loop: Header=BB1672_358 Depth=2
	s_or_b32 exec_lo, exec_lo, s12
	s_delay_alu instid0(SALU_CYCLE_1)
	s_mov_b32 s13, exec_lo
                                        ; implicit-def: $sgpr12
                                        ; implicit-def: $vgpr4_vgpr5
	v_cmpx_gt_u32_e64 s0, v39
; %bb.371:                              ;   in Loop: Header=BB1672_358 Depth=2
	v_add_co_u32 v4, s10, s10, v1
	s_delay_alu instid0(VALU_DEP_1) | instskip(SKIP_1) | instid1(VALU_DEP_2)
	v_add_co_ci_u32_e64 v5, null, s11, 0, s10
	s_sub_i32 s12, s29, s9
	v_add_co_u32 v4, vcc_lo, 0x700, v4
	s_delay_alu instid0(VALU_DEP_2)
	v_add_co_ci_u32_e32 v5, vcc_lo, 0, v5, vcc_lo
	s_or_b32 s8, s8, exec_lo
                                        ; implicit-def: $vgpr12
; %bb.372:                              ;   in Loop: Header=BB1672_358 Depth=2
	s_or_b32 exec_lo, exec_lo, s13
	s_waitcnt vmcnt(0)
	v_dual_mov_b32 v14, v2 :: v_dual_mov_b32 v17, v8
	v_dual_mov_b32 v15, v6 :: v_dual_mov_b32 v16, v7
	;; [unrolled: 1-line block ×4, first 2 shown]
	s_and_saveexec_b32 s9, s8
	s_cbranch_execz .LBB1672_374
.LBB1672_373:                           ;   in Loop: Header=BB1672_358 Depth=2
	global_load_u8 v12, v[4:5], off
	s_waitcnt vmcnt(1)
	v_dual_mov_b32 v13, s12 :: v_dual_mov_b32 v2, v14
	v_dual_mov_b32 v6, v15 :: v_dual_mov_b32 v7, v16
	;; [unrolled: 1-line block ×4, first 2 shown]
.LBB1672_374:                           ;   in Loop: Header=BB1672_358 Depth=2
	s_or_b32 exec_lo, exec_lo, s9
	s_delay_alu instid0(SALU_CYCLE_1)
	s_mov_b32 s8, exec_lo
	v_cmpx_lt_u32_e64 v1, v13
	s_cbranch_execz .LBB1672_382
; %bb.375:                              ;   in Loop: Header=BB1672_358 Depth=2
	v_and_b32_e32 v4, 1, v2
	v_lshlrev_b32_e32 v5, 2, v32
	s_delay_alu instid0(VALU_DEP_2) | instskip(NEXT) | instid1(VALU_DEP_1)
	v_lshrrev_b32_e32 v4, s49, v4
	v_and_b32_e32 v4, s31, v4
	s_delay_alu instid0(VALU_DEP_1) | instskip(SKIP_2) | instid1(SALU_CYCLE_1)
	v_lshl_or_b32 v4, v4, 4, v5
	ds_add_u32 v4, v66
	s_or_b32 exec_lo, exec_lo, s8
	s_mov_b32 s8, exec_lo
	v_cmpx_lt_u32_e64 v29, v13
	s_cbranch_execnz .LBB1672_383
.LBB1672_376:                           ;   in Loop: Header=BB1672_358 Depth=2
	s_or_b32 exec_lo, exec_lo, s8
	s_delay_alu instid0(SALU_CYCLE_1)
	s_mov_b32 s8, exec_lo
	v_cmpx_lt_u32_e64 v30, v13
	s_cbranch_execz .LBB1672_384
.LBB1672_377:                           ;   in Loop: Header=BB1672_358 Depth=2
	v_and_b32_e32 v4, 1, v7
	v_lshlrev_b32_e32 v5, 2, v32
	s_delay_alu instid0(VALU_DEP_2) | instskip(NEXT) | instid1(VALU_DEP_1)
	v_lshrrev_b32_e32 v4, s49, v4
	v_and_b32_e32 v4, s31, v4
	s_delay_alu instid0(VALU_DEP_1) | instskip(SKIP_2) | instid1(SALU_CYCLE_1)
	v_lshl_or_b32 v4, v4, 4, v5
	ds_add_u32 v4, v66
	s_or_b32 exec_lo, exec_lo, s8
	s_mov_b32 s8, exec_lo
	v_cmpx_lt_u32_e64 v31, v13
	s_cbranch_execnz .LBB1672_385
.LBB1672_378:                           ;   in Loop: Header=BB1672_358 Depth=2
	s_or_b32 exec_lo, exec_lo, s8
	s_delay_alu instid0(SALU_CYCLE_1)
	s_mov_b32 s8, exec_lo
	v_cmpx_lt_u32_e64 v35, v13
	s_cbranch_execz .LBB1672_386
.LBB1672_379:                           ;   in Loop: Header=BB1672_358 Depth=2
	v_and_b32_e32 v4, 1, v9
	v_lshlrev_b32_e32 v5, 2, v32
	s_delay_alu instid0(VALU_DEP_2) | instskip(NEXT) | instid1(VALU_DEP_1)
	v_lshrrev_b32_e32 v4, s49, v4
	v_and_b32_e32 v4, s31, v4
	s_delay_alu instid0(VALU_DEP_1) | instskip(SKIP_2) | instid1(SALU_CYCLE_1)
	v_lshl_or_b32 v4, v4, 4, v5
	ds_add_u32 v4, v66
	s_or_b32 exec_lo, exec_lo, s8
	s_mov_b32 s8, exec_lo
	v_cmpx_lt_u32_e64 v36, v13
	s_cbranch_execnz .LBB1672_387
.LBB1672_380:                           ;   in Loop: Header=BB1672_358 Depth=2
	s_or_b32 exec_lo, exec_lo, s8
	s_delay_alu instid0(SALU_CYCLE_1)
	s_mov_b32 s8, exec_lo
	v_cmpx_lt_u32_e64 v37, v13
	s_cbranch_execz .LBB1672_388
.LBB1672_381:                           ;   in Loop: Header=BB1672_358 Depth=2
	v_and_b32_e32 v4, 1, v11
	v_lshlrev_b32_e32 v5, 2, v32
	s_delay_alu instid0(VALU_DEP_2) | instskip(NEXT) | instid1(VALU_DEP_1)
	v_lshrrev_b32_e32 v4, s49, v4
	v_and_b32_e32 v4, s31, v4
	s_delay_alu instid0(VALU_DEP_1) | instskip(SKIP_2) | instid1(SALU_CYCLE_1)
	v_lshl_or_b32 v4, v4, 4, v5
	ds_add_u32 v4, v66
	s_or_b32 exec_lo, exec_lo, s8
	s_mov_b32 s8, exec_lo
	v_cmpx_lt_u32_e64 v39, v13
	s_cbranch_execz .LBB1672_357
	s_branch .LBB1672_389
.LBB1672_382:                           ;   in Loop: Header=BB1672_358 Depth=2
	s_or_b32 exec_lo, exec_lo, s8
	s_delay_alu instid0(SALU_CYCLE_1)
	s_mov_b32 s8, exec_lo
	v_cmpx_lt_u32_e64 v29, v13
	s_cbranch_execz .LBB1672_376
.LBB1672_383:                           ;   in Loop: Header=BB1672_358 Depth=2
	v_and_b32_e32 v4, 1, v6
	v_lshlrev_b32_e32 v5, 2, v32
	s_delay_alu instid0(VALU_DEP_2) | instskip(NEXT) | instid1(VALU_DEP_1)
	v_lshrrev_b32_e32 v4, s49, v4
	v_and_b32_e32 v4, s31, v4
	s_delay_alu instid0(VALU_DEP_1) | instskip(SKIP_2) | instid1(SALU_CYCLE_1)
	v_lshl_or_b32 v4, v4, 4, v5
	ds_add_u32 v4, v66
	s_or_b32 exec_lo, exec_lo, s8
	s_mov_b32 s8, exec_lo
	v_cmpx_lt_u32_e64 v30, v13
	s_cbranch_execnz .LBB1672_377
.LBB1672_384:                           ;   in Loop: Header=BB1672_358 Depth=2
	s_or_b32 exec_lo, exec_lo, s8
	s_delay_alu instid0(SALU_CYCLE_1)
	s_mov_b32 s8, exec_lo
	v_cmpx_lt_u32_e64 v31, v13
	s_cbranch_execz .LBB1672_378
.LBB1672_385:                           ;   in Loop: Header=BB1672_358 Depth=2
	v_and_b32_e32 v4, 1, v8
	v_lshlrev_b32_e32 v5, 2, v32
	s_delay_alu instid0(VALU_DEP_2) | instskip(NEXT) | instid1(VALU_DEP_1)
	v_lshrrev_b32_e32 v4, s49, v4
	v_and_b32_e32 v4, s31, v4
	s_delay_alu instid0(VALU_DEP_1) | instskip(SKIP_2) | instid1(SALU_CYCLE_1)
	v_lshl_or_b32 v4, v4, 4, v5
	ds_add_u32 v4, v66
	s_or_b32 exec_lo, exec_lo, s8
	s_mov_b32 s8, exec_lo
	v_cmpx_lt_u32_e64 v35, v13
	s_cbranch_execnz .LBB1672_379
.LBB1672_386:                           ;   in Loop: Header=BB1672_358 Depth=2
	s_or_b32 exec_lo, exec_lo, s8
	s_delay_alu instid0(SALU_CYCLE_1)
	s_mov_b32 s8, exec_lo
	v_cmpx_lt_u32_e64 v36, v13
	s_cbranch_execz .LBB1672_380
.LBB1672_387:                           ;   in Loop: Header=BB1672_358 Depth=2
	v_and_b32_e32 v4, 1, v10
	v_lshlrev_b32_e32 v5, 2, v32
	s_delay_alu instid0(VALU_DEP_2) | instskip(NEXT) | instid1(VALU_DEP_1)
	v_lshrrev_b32_e32 v4, s49, v4
	v_and_b32_e32 v4, s31, v4
	s_delay_alu instid0(VALU_DEP_1) | instskip(SKIP_2) | instid1(SALU_CYCLE_1)
	v_lshl_or_b32 v4, v4, 4, v5
	ds_add_u32 v4, v66
	s_or_b32 exec_lo, exec_lo, s8
	s_mov_b32 s8, exec_lo
	v_cmpx_lt_u32_e64 v37, v13
	s_cbranch_execnz .LBB1672_381
.LBB1672_388:                           ;   in Loop: Header=BB1672_358 Depth=2
	s_or_b32 exec_lo, exec_lo, s8
	s_delay_alu instid0(SALU_CYCLE_1)
	s_mov_b32 s8, exec_lo
	v_cmpx_lt_u32_e64 v39, v13
	s_cbranch_execz .LBB1672_357
.LBB1672_389:                           ;   in Loop: Header=BB1672_358 Depth=2
	s_waitcnt vmcnt(0)
	v_and_b32_e32 v4, 1, v12
	v_lshlrev_b32_e32 v5, 2, v32
	s_delay_alu instid0(VALU_DEP_2) | instskip(NEXT) | instid1(VALU_DEP_1)
	v_lshrrev_b32_e32 v4, s49, v4
	v_and_b32_e32 v4, s31, v4
	s_delay_alu instid0(VALU_DEP_1)
	v_lshl_or_b32 v4, v4, 4, v5
	ds_add_u32 v4, v66
	s_branch .LBB1672_357
.LBB1672_390:                           ;   in Loop: Header=BB1672_358 Depth=2
	s_or_b32 exec_lo, exec_lo, s12
	s_delay_alu instid0(SALU_CYCLE_1)
	s_mov_b32 s12, exec_lo
	v_cmpx_gt_u32_e64 s0, v29
	s_cbranch_execz .LBB1672_364
.LBB1672_391:                           ;   in Loop: Header=BB1672_358 Depth=2
	v_add_co_u32 v4, s13, s10, v1
	s_delay_alu instid0(VALU_DEP_1) | instskip(SKIP_2) | instid1(SALU_CYCLE_1)
	v_add_co_ci_u32_e64 v5, null, s11, 0, s13
	global_load_u8 v6, v[4:5], off offset:256
	s_or_b32 exec_lo, exec_lo, s12
	s_mov_b32 s12, exec_lo
	v_cmpx_gt_u32_e64 s0, v30
	s_cbranch_execnz .LBB1672_365
.LBB1672_392:                           ;   in Loop: Header=BB1672_358 Depth=2
	s_or_b32 exec_lo, exec_lo, s12
	s_delay_alu instid0(SALU_CYCLE_1)
	s_mov_b32 s12, exec_lo
	v_cmpx_gt_u32_e64 s0, v31
	s_cbranch_execz .LBB1672_366
.LBB1672_393:                           ;   in Loop: Header=BB1672_358 Depth=2
	v_add_co_u32 v4, s13, s10, v1
	s_delay_alu instid0(VALU_DEP_1) | instskip(SKIP_2) | instid1(SALU_CYCLE_1)
	v_add_co_ci_u32_e64 v5, null, s11, 0, s13
	global_load_u8 v8, v[4:5], off offset:768
	s_or_b32 exec_lo, exec_lo, s12
	s_mov_b32 s12, exec_lo
	v_cmpx_gt_u32_e64 s0, v35
	s_cbranch_execnz .LBB1672_367
.LBB1672_394:                           ;   in Loop: Header=BB1672_358 Depth=2
	s_or_b32 exec_lo, exec_lo, s12
	s_delay_alu instid0(SALU_CYCLE_1)
	s_mov_b32 s12, exec_lo
	v_cmpx_gt_u32_e64 s0, v36
	s_cbranch_execz .LBB1672_368
.LBB1672_395:                           ;   in Loop: Header=BB1672_358 Depth=2
	v_add_co_u32 v4, s13, s10, v1
	s_delay_alu instid0(VALU_DEP_1) | instskip(SKIP_2) | instid1(SALU_CYCLE_1)
	v_add_co_ci_u32_e64 v5, null, s11, 0, s13
	global_load_u8 v10, v[4:5], off offset:1280
	s_or_b32 exec_lo, exec_lo, s12
	s_mov_b32 s12, exec_lo
	v_cmpx_gt_u32_e64 s0, v37
	s_cbranch_execz .LBB1672_370
	s_branch .LBB1672_369
.LBB1672_396:                           ;   in Loop: Header=BB1672_20 Depth=1
	v_mov_b32_e32 v2, 0
	s_waitcnt vmcnt(0) lgkmcnt(0)
	s_barrier
	buffer_gl0_inv
	s_and_saveexec_b32 s0, s2
	s_cbranch_execz .LBB1672_398
; %bb.397:                              ;   in Loop: Header=BB1672_20 Depth=1
	ds_load_2addr_b64 v[4:7], v40 offset1:1
	s_waitcnt lgkmcnt(0)
	v_add_nc_u32_e32 v2, v5, v4
	s_delay_alu instid0(VALU_DEP_1)
	v_add3_u32 v2, v2, v6, v7
.LBB1672_398:                           ;   in Loop: Header=BB1672_20 Depth=1
	s_or_b32 exec_lo, exec_lo, s0
	v_and_b32_e32 v4, 15, v63
	s_delay_alu instid0(VALU_DEP_2) | instskip(SKIP_1) | instid1(VALU_DEP_3)
	v_mov_b32_dpp v5, v2 row_shr:1 row_mask:0xf bank_mask:0xf
	v_and_b32_e32 v6, 16, v63
	v_cmp_eq_u32_e64 s0, 0, v4
	v_cmp_lt_u32_e64 s1, 1, v4
	v_cmp_lt_u32_e64 s8, 3, v4
	;; [unrolled: 1-line block ×3, first 2 shown]
	v_cmp_eq_u32_e64 s10, 0, v6
	v_cndmask_b32_e64 v5, v5, 0, s0
	s_delay_alu instid0(VALU_DEP_1) | instskip(NEXT) | instid1(VALU_DEP_1)
	v_add_nc_u32_e32 v2, v5, v2
	v_mov_b32_dpp v5, v2 row_shr:2 row_mask:0xf bank_mask:0xf
	s_delay_alu instid0(VALU_DEP_1) | instskip(NEXT) | instid1(VALU_DEP_1)
	v_cndmask_b32_e64 v5, 0, v5, s1
	v_add_nc_u32_e32 v2, v2, v5
	s_delay_alu instid0(VALU_DEP_1) | instskip(NEXT) | instid1(VALU_DEP_1)
	v_mov_b32_dpp v5, v2 row_shr:4 row_mask:0xf bank_mask:0xf
	v_cndmask_b32_e64 v5, 0, v5, s8
	s_delay_alu instid0(VALU_DEP_1) | instskip(NEXT) | instid1(VALU_DEP_1)
	v_add_nc_u32_e32 v2, v2, v5
	v_mov_b32_dpp v5, v2 row_shr:8 row_mask:0xf bank_mask:0xf
	s_delay_alu instid0(VALU_DEP_1) | instskip(SKIP_1) | instid1(VALU_DEP_2)
	v_cndmask_b32_e64 v4, 0, v5, s9
	v_bfe_i32 v5, v63, 4, 1
	v_add_nc_u32_e32 v2, v2, v4
	ds_swizzle_b32 v4, v2 offset:swizzle(BROADCAST,32,15)
	s_waitcnt lgkmcnt(0)
	v_and_b32_e32 v4, v5, v4
	s_delay_alu instid0(VALU_DEP_1)
	v_add_nc_u32_e32 v4, v2, v4
	s_and_saveexec_b32 s11, s3
	s_cbranch_execz .LBB1672_400
; %bb.399:                              ;   in Loop: Header=BB1672_20 Depth=1
	ds_store_b32 v41, v4
.LBB1672_400:                           ;   in Loop: Header=BB1672_20 Depth=1
	s_or_b32 exec_lo, exec_lo, s11
	v_and_b32_e32 v2, 7, v63
	s_waitcnt lgkmcnt(0)
	s_barrier
	buffer_gl0_inv
	s_and_saveexec_b32 s11, s4
	s_cbranch_execz .LBB1672_402
; %bb.401:                              ;   in Loop: Header=BB1672_20 Depth=1
	ds_load_b32 v5, v42
	v_cmp_ne_u32_e32 vcc_lo, 0, v2
	s_waitcnt lgkmcnt(0)
	v_mov_b32_dpp v6, v5 row_shr:1 row_mask:0xf bank_mask:0xf
	s_delay_alu instid0(VALU_DEP_1) | instskip(SKIP_1) | instid1(VALU_DEP_2)
	v_cndmask_b32_e32 v6, 0, v6, vcc_lo
	v_cmp_lt_u32_e32 vcc_lo, 1, v2
	v_add_nc_u32_e32 v5, v6, v5
	s_delay_alu instid0(VALU_DEP_1) | instskip(NEXT) | instid1(VALU_DEP_1)
	v_mov_b32_dpp v6, v5 row_shr:2 row_mask:0xf bank_mask:0xf
	v_cndmask_b32_e32 v6, 0, v6, vcc_lo
	v_cmp_lt_u32_e32 vcc_lo, 3, v2
	s_delay_alu instid0(VALU_DEP_2) | instskip(NEXT) | instid1(VALU_DEP_1)
	v_add_nc_u32_e32 v5, v5, v6
	v_mov_b32_dpp v6, v5 row_shr:4 row_mask:0xf bank_mask:0xf
	s_delay_alu instid0(VALU_DEP_1) | instskip(NEXT) | instid1(VALU_DEP_1)
	v_cndmask_b32_e32 v6, 0, v6, vcc_lo
	v_add_nc_u32_e32 v5, v5, v6
	ds_store_b32 v42, v5
.LBB1672_402:                           ;   in Loop: Header=BB1672_20 Depth=1
	s_or_b32 exec_lo, exec_lo, s11
	v_mov_b32_e32 v5, 0
	s_waitcnt lgkmcnt(0)
	s_barrier
	buffer_gl0_inv
	s_and_saveexec_b32 s11, s5
	s_cbranch_execz .LBB1672_404
; %bb.403:                              ;   in Loop: Header=BB1672_20 Depth=1
	ds_load_b32 v5, v43
.LBB1672_404:                           ;   in Loop: Header=BB1672_20 Depth=1
	s_or_b32 exec_lo, exec_lo, s11
	v_add_nc_u32_e32 v6, -1, v63
	s_waitcnt lgkmcnt(0)
	v_add_nc_u32_e32 v4, v5, v4
	v_cmp_eq_u32_e64 s11, 0, v63
	s_barrier
	v_cmp_gt_i32_e32 vcc_lo, 0, v6
	buffer_gl0_inv
	v_cndmask_b32_e32 v6, v6, v63, vcc_lo
	s_delay_alu instid0(VALU_DEP_1)
	v_lshlrev_b32_e32 v69, 2, v6
	ds_bpermute_b32 v4, v69, v4
	s_and_saveexec_b32 s12, s2
	s_cbranch_execz .LBB1672_406
; %bb.405:                              ;   in Loop: Header=BB1672_20 Depth=1
	s_waitcnt lgkmcnt(0)
	v_cndmask_b32_e64 v4, v4, v5, s11
	s_delay_alu instid0(VALU_DEP_1)
	v_add_nc_u32_e32 v4, s28, v4
	ds_store_b32 v28, v4
.LBB1672_406:                           ;   in Loop: Header=BB1672_20 Depth=1
	s_or_b32 exec_lo, exec_lo, s12
	s_load_b64 s[12:13], s[26:27], 0x0
	v_add_co_u32 v71, vcc_lo, v64, v63
	v_add_co_ci_u32_e32 v72, vcc_lo, 0, v65, vcc_lo
	v_or_b32_e32 v70, v63, v44
	s_mov_b32 s35, s34
	s_mov_b32 s24, s28
                                        ; implicit-def: $vgpr8_vgpr9
                                        ; implicit-def: $vgpr10_vgpr11
                                        ; implicit-def: $vgpr12_vgpr13
                                        ; implicit-def: $vgpr14_vgpr15
                                        ; implicit-def: $vgpr16_vgpr17
                                        ; implicit-def: $vgpr18_vgpr19
                                        ; implicit-def: $vgpr85
                                        ; implicit-def: $vgpr86
                                        ; implicit-def: $vgpr87
                                        ; implicit-def: $vgpr88
                                        ; implicit-def: $vgpr89
                                        ; implicit-def: $vgpr90
                                        ; implicit-def: $vgpr91
                                        ; implicit-def: $vgpr92
	s_delay_alu instid0(VALU_DEP_1)
	v_or_b32_e32 v75, 32, v70
	v_or_b32_e32 v76, 64, v70
	;; [unrolled: 1-line block ×7, first 2 shown]
	s_waitcnt lgkmcnt(0)
	s_cmp_lt_u32 s15, s13
	s_cselect_b32 s13, 14, 20
	s_delay_alu instid0(SALU_CYCLE_1) | instskip(SKIP_4) | instid1(SALU_CYCLE_1)
	s_add_u32 s16, s26, s13
	s_addc_u32 s17, s27, 0
	s_cmp_lt_u32 s14, s12
	global_load_u16 v4, v3, s[16:17]
	s_cselect_b32 s12, 12, 18
	s_add_u32 s12, s26, s12
	s_addc_u32 s13, s27, 0
	global_load_u16 v6, v3, s[12:13]
	v_cmp_eq_u32_e64 s12, 0, v2
	v_cmp_lt_u32_e64 s13, 1, v2
	v_cmp_lt_u32_e64 s16, 3, v2
	v_lshlrev_b32_e32 v2, 3, v63
	s_delay_alu instid0(VALU_DEP_1)
	v_add_co_u32 v73, vcc_lo, v61, v2
	v_add_co_ci_u32_e32 v74, vcc_lo, 0, v62, vcc_lo
	v_add_co_u32 v83, vcc_lo, 0xe0, v71
	v_add_co_ci_u32_e32 v84, vcc_lo, 0, v72, vcc_lo
	s_waitcnt vmcnt(1)
	v_mad_u32_u24 v7, v45, v4, v0
	s_waitcnt vmcnt(0)
	s_delay_alu instid0(VALU_DEP_1) | instskip(NEXT) | instid1(VALU_DEP_1)
	v_mad_u64_u32 v[4:5], null, v7, v6, v[1:2]
                                        ; implicit-def: $vgpr6_vgpr7
	v_lshrrev_b32_e32 v82, 5, v4
                                        ; implicit-def: $vgpr4_vgpr5
	s_branch .LBB1672_408
.LBB1672_407:                           ;   in Loop: Header=BB1672_408 Depth=2
	s_or_b32 exec_lo, exec_lo, s17
	s_addk_i32 s35, 0xf800
	s_cmp_lt_u32 s42, s29
	s_mov_b32 s24, s42
	s_cbranch_scc0 .LBB1672_520
.LBB1672_408:                           ;   Parent Loop BB1672_20 Depth=1
                                        ; =>  This Inner Loop Header: Depth=2
	s_add_i32 s42, s24, 0x800
	s_delay_alu instid0(SALU_CYCLE_1)
	s_cmp_gt_u32 s42, s29
	s_cbranch_scc1 .LBB1672_411
; %bb.409:                              ;   in Loop: Header=BB1672_408 Depth=2
	v_add_co_u32 v20, vcc_lo, v71, s24
	v_add_co_ci_u32_e32 v21, vcc_lo, 0, v72, vcc_lo
	s_mov_b32 s19, 0
	s_mov_b32 s18, s24
	s_mov_b32 s20, -1
	s_clause 0x6
	global_load_u8 v93, v[20:21], off
	global_load_u8 v94, v[20:21], off offset:32
	global_load_u8 v95, v[20:21], off offset:64
	;; [unrolled: 1-line block ×6, first 2 shown]
	s_movk_i32 s17, 0x800
	s_cbranch_execz .LBB1672_412
; %bb.410:                              ;   in Loop: Header=BB1672_408 Depth=2
                                        ; implicit-def: $sgpr21
	v_mov_b32_e32 v100, s21
	v_mov_b32_e32 v2, s35
	s_and_saveexec_b32 s21, s20
	s_cbranch_execnz .LBB1672_427
	s_branch .LBB1672_428
.LBB1672_411:                           ;   in Loop: Header=BB1672_408 Depth=2
	s_mov_b32 s19, -1
	s_mov_b32 s20, 0
                                        ; implicit-def: $sgpr17
                                        ; implicit-def: $vgpr93
                                        ; implicit-def: $vgpr94
                                        ; implicit-def: $vgpr95
                                        ; implicit-def: $vgpr96
                                        ; implicit-def: $vgpr97
                                        ; implicit-def: $vgpr98
                                        ; implicit-def: $vgpr99
.LBB1672_412:                           ;   in Loop: Header=BB1672_408 Depth=2
	v_add_co_u32 v20, vcc_lo, v71, s24
	v_add_co_ci_u32_e32 v21, vcc_lo, 0, v72, vcc_lo
	s_waitcnt vmcnt(5)
	v_dual_mov_b32 v94, 1 :: v_dual_mov_b32 v93, 1
	s_mov_b32 s17, exec_lo
	v_cmpx_gt_u32_e64 s35, v70
	s_cbranch_execz .LBB1672_414
; %bb.413:                              ;   in Loop: Header=BB1672_408 Depth=2
	global_load_u8 v93, v[20:21], off
.LBB1672_414:                           ;   in Loop: Header=BB1672_408 Depth=2
	s_or_b32 exec_lo, exec_lo, s17
	s_delay_alu instid0(SALU_CYCLE_1)
	s_mov_b32 s17, exec_lo
	v_cmpx_gt_u32_e64 s35, v75
	s_cbranch_execz .LBB1672_416
; %bb.415:                              ;   in Loop: Header=BB1672_408 Depth=2
	global_load_u8 v94, v[20:21], off offset:32
.LBB1672_416:                           ;   in Loop: Header=BB1672_408 Depth=2
	s_or_b32 exec_lo, exec_lo, s17
	s_waitcnt vmcnt(3)
	v_dual_mov_b32 v96, 1 :: v_dual_mov_b32 v95, 1
	s_mov_b32 s17, exec_lo
	v_cmpx_gt_u32_e64 s35, v76
	s_cbranch_execz .LBB1672_418
; %bb.417:                              ;   in Loop: Header=BB1672_408 Depth=2
	global_load_u8 v95, v[20:21], off offset:64
.LBB1672_418:                           ;   in Loop: Header=BB1672_408 Depth=2
	s_or_b32 exec_lo, exec_lo, s17
	s_delay_alu instid0(SALU_CYCLE_1)
	s_mov_b32 s17, exec_lo
	v_cmpx_gt_u32_e64 s35, v77
	s_cbranch_execz .LBB1672_420
; %bb.419:                              ;   in Loop: Header=BB1672_408 Depth=2
	global_load_u8 v96, v[20:21], off offset:96
.LBB1672_420:                           ;   in Loop: Header=BB1672_408 Depth=2
	s_or_b32 exec_lo, exec_lo, s17
	s_waitcnt vmcnt(1)
	v_dual_mov_b32 v98, 1 :: v_dual_mov_b32 v97, 1
	s_mov_b32 s17, exec_lo
	v_cmpx_gt_u32_e64 s35, v78
	s_cbranch_execz .LBB1672_422
; %bb.421:                              ;   in Loop: Header=BB1672_408 Depth=2
	global_load_u8 v97, v[20:21], off offset:128
.LBB1672_422:                           ;   in Loop: Header=BB1672_408 Depth=2
	s_or_b32 exec_lo, exec_lo, s17
	s_delay_alu instid0(SALU_CYCLE_1)
	s_mov_b32 s17, exec_lo
	v_cmpx_gt_u32_e64 s35, v79
	s_cbranch_execz .LBB1672_424
; %bb.423:                              ;   in Loop: Header=BB1672_408 Depth=2
	global_load_u8 v98, v[20:21], off offset:160
.LBB1672_424:                           ;   in Loop: Header=BB1672_408 Depth=2
	s_or_b32 exec_lo, exec_lo, s17
	s_waitcnt vmcnt(0)
	v_mov_b32_e32 v99, 1
	s_mov_b32 s17, exec_lo
	v_cmpx_gt_u32_e64 s35, v80
	s_cbranch_execz .LBB1672_426
; %bb.425:                              ;   in Loop: Header=BB1672_408 Depth=2
	global_load_u8 v99, v[20:21], off offset:192
.LBB1672_426:                           ;   in Loop: Header=BB1672_408 Depth=2
	s_or_b32 exec_lo, exec_lo, s17
	v_cmp_gt_u32_e64 s20, s35, v81
	s_sub_i32 s17, s29, s24
	s_mov_b32 s21, 1
	s_mov_b64 s[18:19], s[24:25]
	v_mov_b32_e32 v100, s21
	v_mov_b32_e32 v2, s35
	s_and_saveexec_b32 s21, s20
	s_cbranch_execz .LBB1672_428
.LBB1672_427:                           ;   in Loop: Header=BB1672_408 Depth=2
	v_add_co_u32 v20, vcc_lo, v83, s18
	v_add_co_ci_u32_e32 v21, vcc_lo, s19, v84, vcc_lo
	v_mov_b32_e32 v2, s17
	global_load_u8 v100, v[20:21], off
.LBB1672_428:                           ;   in Loop: Header=BB1672_408 Depth=2
	s_or_b32 exec_lo, exec_lo, s21
	s_waitcnt vmcnt(6)
	v_and_b32_e32 v20, 0xff, v93
	ds_store_b32 v46, v3 offset:1056
	ds_store_2addr_b32 v47, v3, v3 offset0:1 offset1:2
	ds_store_2addr_b32 v47, v3, v3 offset0:3 offset1:4
	;; [unrolled: 1-line block ×4, first 2 shown]
	s_waitcnt vmcnt(0) lgkmcnt(0)
	s_barrier
	v_lshrrev_b32_e32 v20, s49, v20
	buffer_gl0_inv
	; wave barrier
	v_and_b32_e32 v21, s31, v20
	s_delay_alu instid0(VALU_DEP_1) | instskip(NEXT) | instid1(VALU_DEP_1)
	v_add_co_u32 v20, s17, v21, -1
	v_cndmask_b32_e64 v22, 0, 1, s17
	v_mad_u32_u24 v21, v21, 9, v82
	s_delay_alu instid0(VALU_DEP_2) | instskip(NEXT) | instid1(VALU_DEP_2)
	v_cmp_ne_u32_e32 vcc_lo, 0, v22
	v_lshl_add_u32 v102, v21, 2, 0x420
	v_xor_b32_e32 v20, vcc_lo, v20
	s_delay_alu instid0(VALU_DEP_1) | instskip(NEXT) | instid1(VALU_DEP_1)
	v_and_b32_e32 v20, exec_lo, v20
	v_mbcnt_lo_u32_b32 v101, v20, 0
	v_cmp_ne_u32_e64 s17, 0, v20
	s_delay_alu instid0(VALU_DEP_2) | instskip(NEXT) | instid1(VALU_DEP_2)
	v_cmp_eq_u32_e32 vcc_lo, 0, v101
	s_and_b32 s18, s17, vcc_lo
	s_delay_alu instid0(SALU_CYCLE_1)
	s_and_saveexec_b32 s17, s18
	s_cbranch_execz .LBB1672_430
; %bb.429:                              ;   in Loop: Header=BB1672_408 Depth=2
	v_bcnt_u32_b32 v20, v20, 0
	ds_store_b32 v102, v20
.LBB1672_430:                           ;   in Loop: Header=BB1672_408 Depth=2
	s_or_b32 exec_lo, exec_lo, s17
	v_and_b32_e32 v20, 0xff, v94
	; wave barrier
	s_delay_alu instid0(VALU_DEP_1) | instskip(NEXT) | instid1(VALU_DEP_1)
	v_lshrrev_b32_e32 v20, s49, v20
	v_and_b32_e32 v20, s31, v20
	s_delay_alu instid0(VALU_DEP_1) | instskip(NEXT) | instid1(VALU_DEP_1)
	v_add_co_u32 v21, s17, v20, -1
	v_cndmask_b32_e64 v22, 0, 1, s17
	v_mul_u32_u24_e32 v20, 9, v20
	s_delay_alu instid0(VALU_DEP_2) | instskip(NEXT) | instid1(VALU_DEP_2)
	v_cmp_ne_u32_e32 vcc_lo, 0, v22
	v_add_lshl_u32 v22, v20, v82, 2
	v_xor_b32_e32 v20, vcc_lo, v21
	ds_load_b32 v103, v22 offset:1056
	v_add_nc_u32_e32 v105, 0x420, v22
	; wave barrier
	v_and_b32_e32 v20, exec_lo, v20
	s_delay_alu instid0(VALU_DEP_1) | instskip(SKIP_1) | instid1(VALU_DEP_2)
	v_mbcnt_lo_u32_b32 v104, v20, 0
	v_cmp_ne_u32_e64 s17, 0, v20
	v_cmp_eq_u32_e32 vcc_lo, 0, v104
	s_delay_alu instid0(VALU_DEP_2) | instskip(NEXT) | instid1(SALU_CYCLE_1)
	s_and_b32 s18, s17, vcc_lo
	s_and_saveexec_b32 s17, s18
	s_cbranch_execz .LBB1672_432
; %bb.431:                              ;   in Loop: Header=BB1672_408 Depth=2
	s_waitcnt lgkmcnt(0)
	v_bcnt_u32_b32 v20, v20, v103
	ds_store_b32 v105, v20
.LBB1672_432:                           ;   in Loop: Header=BB1672_408 Depth=2
	s_or_b32 exec_lo, exec_lo, s17
	v_and_b32_e32 v20, 0xff, v95
	; wave barrier
	s_delay_alu instid0(VALU_DEP_1) | instskip(NEXT) | instid1(VALU_DEP_1)
	v_lshrrev_b32_e32 v20, s49, v20
	v_and_b32_e32 v20, s31, v20
	s_delay_alu instid0(VALU_DEP_1) | instskip(NEXT) | instid1(VALU_DEP_1)
	v_add_co_u32 v21, s17, v20, -1
	v_cndmask_b32_e64 v22, 0, 1, s17
	v_mul_u32_u24_e32 v20, 9, v20
	s_delay_alu instid0(VALU_DEP_2) | instskip(NEXT) | instid1(VALU_DEP_2)
	v_cmp_ne_u32_e32 vcc_lo, 0, v22
	v_add_lshl_u32 v22, v20, v82, 2
	v_xor_b32_e32 v20, vcc_lo, v21
	ds_load_b32 v106, v22 offset:1056
	v_add_nc_u32_e32 v109, 0x420, v22
	; wave barrier
	v_and_b32_e32 v20, exec_lo, v20
	s_delay_alu instid0(VALU_DEP_1) | instskip(SKIP_1) | instid1(VALU_DEP_2)
	v_mbcnt_lo_u32_b32 v107, v20, 0
	v_cmp_ne_u32_e64 s17, 0, v20
	v_cmp_eq_u32_e32 vcc_lo, 0, v107
	s_delay_alu instid0(VALU_DEP_2) | instskip(NEXT) | instid1(SALU_CYCLE_1)
	s_and_b32 s18, s17, vcc_lo
	s_and_saveexec_b32 s17, s18
	s_cbranch_execz .LBB1672_434
; %bb.433:                              ;   in Loop: Header=BB1672_408 Depth=2
	s_waitcnt lgkmcnt(0)
	v_bcnt_u32_b32 v20, v20, v106
	ds_store_b32 v109, v20
.LBB1672_434:                           ;   in Loop: Header=BB1672_408 Depth=2
	;; [unrolled: 31-line block ×7, first 2 shown]
	s_or_b32 exec_lo, exec_lo, s17
	; wave barrier
	s_waitcnt lgkmcnt(0)
	s_barrier
	buffer_gl0_inv
	ds_load_b32 v124, v46 offset:1056
	ds_load_2addr_b32 v[26:27], v47 offset0:1 offset1:2
	ds_load_2addr_b32 v[24:25], v47 offset0:3 offset1:4
	;; [unrolled: 1-line block ×4, first 2 shown]
	s_waitcnt lgkmcnt(3)
	v_add3_u32 v125, v26, v124, v27
	s_waitcnt lgkmcnt(2)
	s_delay_alu instid0(VALU_DEP_1) | instskip(SKIP_1) | instid1(VALU_DEP_1)
	v_add3_u32 v125, v125, v24, v25
	s_waitcnt lgkmcnt(1)
	v_add3_u32 v125, v125, v20, v21
	s_waitcnt lgkmcnt(0)
	s_delay_alu instid0(VALU_DEP_1) | instskip(NEXT) | instid1(VALU_DEP_1)
	v_add3_u32 v23, v125, v22, v23
	v_mov_b32_dpp v125, v23 row_shr:1 row_mask:0xf bank_mask:0xf
	s_delay_alu instid0(VALU_DEP_1) | instskip(NEXT) | instid1(VALU_DEP_1)
	v_cndmask_b32_e64 v125, v125, 0, s0
	v_add_nc_u32_e32 v23, v125, v23
	s_delay_alu instid0(VALU_DEP_1) | instskip(NEXT) | instid1(VALU_DEP_1)
	v_mov_b32_dpp v125, v23 row_shr:2 row_mask:0xf bank_mask:0xf
	v_cndmask_b32_e64 v125, 0, v125, s1
	s_delay_alu instid0(VALU_DEP_1) | instskip(NEXT) | instid1(VALU_DEP_1)
	v_add_nc_u32_e32 v23, v23, v125
	v_mov_b32_dpp v125, v23 row_shr:4 row_mask:0xf bank_mask:0xf
	s_delay_alu instid0(VALU_DEP_1) | instskip(NEXT) | instid1(VALU_DEP_1)
	v_cndmask_b32_e64 v125, 0, v125, s8
	v_add_nc_u32_e32 v23, v23, v125
	s_delay_alu instid0(VALU_DEP_1) | instskip(NEXT) | instid1(VALU_DEP_1)
	v_mov_b32_dpp v125, v23 row_shr:8 row_mask:0xf bank_mask:0xf
	v_cndmask_b32_e64 v125, 0, v125, s9
	s_delay_alu instid0(VALU_DEP_1) | instskip(SKIP_3) | instid1(VALU_DEP_1)
	v_add_nc_u32_e32 v23, v23, v125
	ds_swizzle_b32 v125, v23 offset:swizzle(BROADCAST,32,15)
	s_waitcnt lgkmcnt(0)
	v_cndmask_b32_e64 v125, v125, 0, s10
	v_add_nc_u32_e32 v23, v23, v125
	s_and_saveexec_b32 s17, s3
	s_cbranch_execz .LBB1672_446
; %bb.445:                              ;   in Loop: Header=BB1672_408 Depth=2
	ds_store_b32 v38, v23 offset:1024
.LBB1672_446:                           ;   in Loop: Header=BB1672_408 Depth=2
	s_or_b32 exec_lo, exec_lo, s17
	s_waitcnt lgkmcnt(0)
	s_barrier
	buffer_gl0_inv
	s_and_saveexec_b32 s17, s4
	s_cbranch_execz .LBB1672_448
; %bb.447:                              ;   in Loop: Header=BB1672_408 Depth=2
	v_add_nc_u32_e32 v125, v46, v48
	ds_load_b32 v126, v125 offset:1024
	s_waitcnt lgkmcnt(0)
	v_mov_b32_dpp v127, v126 row_shr:1 row_mask:0xf bank_mask:0xf
	s_delay_alu instid0(VALU_DEP_1) | instskip(NEXT) | instid1(VALU_DEP_1)
	v_cndmask_b32_e64 v127, v127, 0, s12
	v_add_nc_u32_e32 v126, v127, v126
	s_delay_alu instid0(VALU_DEP_1) | instskip(NEXT) | instid1(VALU_DEP_1)
	v_mov_b32_dpp v127, v126 row_shr:2 row_mask:0xf bank_mask:0xf
	v_cndmask_b32_e64 v127, 0, v127, s13
	s_delay_alu instid0(VALU_DEP_1) | instskip(NEXT) | instid1(VALU_DEP_1)
	v_add_nc_u32_e32 v126, v126, v127
	v_mov_b32_dpp v127, v126 row_shr:4 row_mask:0xf bank_mask:0xf
	s_delay_alu instid0(VALU_DEP_1) | instskip(NEXT) | instid1(VALU_DEP_1)
	v_cndmask_b32_e64 v127, 0, v127, s16
	v_add_nc_u32_e32 v126, v126, v127
	ds_store_b32 v125, v126 offset:1024
.LBB1672_448:                           ;   in Loop: Header=BB1672_408 Depth=2
	s_or_b32 exec_lo, exec_lo, s17
	v_mov_b32_e32 v125, 0
	s_waitcnt lgkmcnt(0)
	s_barrier
	buffer_gl0_inv
	s_and_saveexec_b32 s17, s5
	s_cbranch_execz .LBB1672_450
; %bb.449:                              ;   in Loop: Header=BB1672_408 Depth=2
	ds_load_b32 v125, v38 offset:1020
.LBB1672_450:                           ;   in Loop: Header=BB1672_408 Depth=2
	s_or_b32 exec_lo, exec_lo, s17
	s_waitcnt lgkmcnt(0)
	v_add_nc_u32_e32 v23, v125, v23
	ds_bpermute_b32 v23, v69, v23
	s_waitcnt lgkmcnt(0)
	v_cndmask_b32_e64 v23, v23, v125, s11
	s_delay_alu instid0(VALU_DEP_1) | instskip(NEXT) | instid1(VALU_DEP_1)
	v_cndmask_b32_e64 v23, v23, 0, s6
	v_add_nc_u32_e32 v124, v23, v124
	s_delay_alu instid0(VALU_DEP_1) | instskip(NEXT) | instid1(VALU_DEP_1)
	v_add_nc_u32_e32 v26, v124, v26
	v_add_nc_u32_e32 v27, v26, v27
	s_delay_alu instid0(VALU_DEP_1) | instskip(NEXT) | instid1(VALU_DEP_1)
	v_add_nc_u32_e32 v24, v27, v24
	;; [unrolled: 3-line block ×3, first 2 shown]
	v_add_nc_u32_e32 v21, v20, v21
	s_delay_alu instid0(VALU_DEP_1)
	v_add_nc_u32_e32 v22, v21, v22
	ds_store_b32 v46, v23 offset:1056
	ds_store_2addr_b32 v47, v124, v26 offset0:1 offset1:2
	ds_store_2addr_b32 v47, v27, v24 offset0:3 offset1:4
	;; [unrolled: 1-line block ×4, first 2 shown]
	v_mov_b32_e32 v22, 0x800
	s_waitcnt lgkmcnt(0)
	s_barrier
	buffer_gl0_inv
	ds_load_b32 v20, v105
	ds_load_b32 v21, v109
	;; [unrolled: 1-line block ×8, first 2 shown]
	ds_load_b32 v27, v46 offset:1056
	s_and_saveexec_b32 s17, s7
	s_cbranch_execz .LBB1672_452
; %bb.451:                              ;   in Loop: Header=BB1672_408 Depth=2
	ds_load_b32 v22, v49 offset:1056
.LBB1672_452:                           ;   in Loop: Header=BB1672_408 Depth=2
	s_or_b32 exec_lo, exec_lo, s17
	s_waitcnt lgkmcnt(0)
	s_barrier
	buffer_gl0_inv
	s_and_saveexec_b32 s17, s2
	s_cbranch_execz .LBB1672_454
; %bb.453:                              ;   in Loop: Header=BB1672_408 Depth=2
	ds_load_b32 v102, v28
	s_waitcnt lgkmcnt(0)
	v_sub_nc_u32_e32 v27, v102, v27
	ds_store_b32 v28, v27
.LBB1672_454:                           ;   in Loop: Header=BB1672_408 Depth=2
	s_or_b32 exec_lo, exec_lo, s17
	v_add_nc_u32_e32 v105, v26, v101
	v_add3_u32 v102, v104, v103, v20
	v_add3_u32 v101, v107, v106, v21
	;; [unrolled: 1-line block ×7, first 2 shown]
	v_cmp_lt_u32_e64 s23, v1, v2
	ds_store_b8 v105, v93 offset:1024
	ds_store_b8 v102, v94 offset:1024
	;; [unrolled: 1-line block ×8, first 2 shown]
	s_waitcnt lgkmcnt(0)
	s_barrier
	buffer_gl0_inv
	s_and_saveexec_b32 s17, s23
	s_cbranch_execz .LBB1672_462
; %bb.455:                              ;   in Loop: Header=BB1672_408 Depth=2
	ds_load_u8 v20, v1 offset:1024
	s_waitcnt lgkmcnt(0)
	v_and_b32_e32 v21, 1, v20
	s_delay_alu instid0(VALU_DEP_1) | instskip(NEXT) | instid1(VALU_DEP_1)
	v_lshrrev_b32_e32 v21, s49, v21
	v_and_b32_e32 v21, s31, v21
	s_delay_alu instid0(VALU_DEP_1)
	v_lshlrev_b32_e32 v21, 2, v21
	ds_load_b32 v21, v21
	s_waitcnt lgkmcnt(0)
	v_add_nc_u32_e32 v21, v21, v1
	global_store_b8 v21, v20, s[38:39]
	s_or_b32 exec_lo, exec_lo, s17
	v_cmp_lt_u32_e64 s22, v29, v2
	s_delay_alu instid0(VALU_DEP_1)
	s_and_saveexec_b32 s17, s22
	s_cbranch_execnz .LBB1672_463
.LBB1672_456:                           ;   in Loop: Header=BB1672_408 Depth=2
	s_or_b32 exec_lo, exec_lo, s17
	v_cmp_lt_u32_e64 s21, v30, v2
	s_delay_alu instid0(VALU_DEP_1)
	s_and_saveexec_b32 s17, s21
	s_cbranch_execz .LBB1672_464
.LBB1672_457:                           ;   in Loop: Header=BB1672_408 Depth=2
	ds_load_u8 v20, v35 offset:512
	s_waitcnt lgkmcnt(0)
	v_and_b32_e32 v21, 1, v20
	s_delay_alu instid0(VALU_DEP_1) | instskip(NEXT) | instid1(VALU_DEP_1)
	v_lshrrev_b32_e32 v21, s49, v21
	v_and_b32_e32 v21, s31, v21
	s_delay_alu instid0(VALU_DEP_1)
	v_lshlrev_b32_e32 v21, 2, v21
	ds_load_b32 v21, v21
	s_waitcnt lgkmcnt(0)
	v_add_nc_u32_e32 v21, v21, v30
	global_store_b8 v21, v20, s[38:39]
	s_or_b32 exec_lo, exec_lo, s17
	v_cmp_lt_u32_e64 s20, v31, v2
	s_delay_alu instid0(VALU_DEP_1)
	s_and_saveexec_b32 s17, s20
	s_cbranch_execnz .LBB1672_465
.LBB1672_458:                           ;   in Loop: Header=BB1672_408 Depth=2
	s_or_b32 exec_lo, exec_lo, s17
	v_cmp_lt_u32_e64 s19, v35, v2
	s_delay_alu instid0(VALU_DEP_1)
	s_and_saveexec_b32 s17, s19
	s_cbranch_execz .LBB1672_466
.LBB1672_459:                           ;   in Loop: Header=BB1672_408 Depth=2
	ds_load_u8 v20, v35 offset:1024
	s_waitcnt lgkmcnt(0)
	v_and_b32_e32 v21, 1, v20
	s_delay_alu instid0(VALU_DEP_1) | instskip(NEXT) | instid1(VALU_DEP_1)
	v_lshrrev_b32_e32 v21, s49, v21
	v_and_b32_e32 v21, s31, v21
	s_delay_alu instid0(VALU_DEP_1)
	v_lshlrev_b32_e32 v21, 2, v21
	ds_load_b32 v21, v21
	s_waitcnt lgkmcnt(0)
	v_add_nc_u32_e32 v21, v21, v35
	global_store_b8 v21, v20, s[38:39]
	s_or_b32 exec_lo, exec_lo, s17
	v_cmp_lt_u32_e64 s18, v36, v2
	s_delay_alu instid0(VALU_DEP_1)
	s_and_saveexec_b32 s17, s18
	s_cbranch_execnz .LBB1672_467
.LBB1672_460:                           ;   in Loop: Header=BB1672_408 Depth=2
	s_or_b32 exec_lo, exec_lo, s17
	v_cmp_lt_u32_e64 s17, v37, v2
	s_delay_alu instid0(VALU_DEP_1)
	s_and_saveexec_b32 s43, s17
	s_cbranch_execz .LBB1672_468
.LBB1672_461:                           ;   in Loop: Header=BB1672_408 Depth=2
	ds_load_u8 v20, v35 offset:1536
	s_waitcnt lgkmcnt(0)
	v_and_b32_e32 v21, 1, v20
	s_delay_alu instid0(VALU_DEP_1) | instskip(NEXT) | instid1(VALU_DEP_1)
	v_lshrrev_b32_e32 v21, s49, v21
	v_and_b32_e32 v21, s31, v21
	s_delay_alu instid0(VALU_DEP_1)
	v_lshlrev_b32_e32 v21, 2, v21
	ds_load_b32 v21, v21
	s_waitcnt lgkmcnt(0)
	v_add_nc_u32_e32 v21, v21, v37
	global_store_b8 v21, v20, s[38:39]
	s_or_b32 exec_lo, exec_lo, s43
	v_cmp_lt_u32_e32 vcc_lo, v39, v2
	s_and_saveexec_b32 s43, vcc_lo
	s_cbranch_execnz .LBB1672_469
	s_branch .LBB1672_470
.LBB1672_462:                           ;   in Loop: Header=BB1672_408 Depth=2
	s_or_b32 exec_lo, exec_lo, s17
	v_cmp_lt_u32_e64 s22, v29, v2
	s_delay_alu instid0(VALU_DEP_1)
	s_and_saveexec_b32 s17, s22
	s_cbranch_execz .LBB1672_456
.LBB1672_463:                           ;   in Loop: Header=BB1672_408 Depth=2
	ds_load_u8 v20, v35 offset:256
	s_waitcnt lgkmcnt(0)
	v_and_b32_e32 v21, 1, v20
	s_delay_alu instid0(VALU_DEP_1) | instskip(NEXT) | instid1(VALU_DEP_1)
	v_lshrrev_b32_e32 v21, s49, v21
	v_and_b32_e32 v21, s31, v21
	s_delay_alu instid0(VALU_DEP_1)
	v_lshlrev_b32_e32 v21, 2, v21
	ds_load_b32 v21, v21
	s_waitcnt lgkmcnt(0)
	v_add_nc_u32_e32 v21, v21, v29
	global_store_b8 v21, v20, s[38:39]
	s_or_b32 exec_lo, exec_lo, s17
	v_cmp_lt_u32_e64 s21, v30, v2
	s_delay_alu instid0(VALU_DEP_1)
	s_and_saveexec_b32 s17, s21
	s_cbranch_execnz .LBB1672_457
.LBB1672_464:                           ;   in Loop: Header=BB1672_408 Depth=2
	s_or_b32 exec_lo, exec_lo, s17
	v_cmp_lt_u32_e64 s20, v31, v2
	s_delay_alu instid0(VALU_DEP_1)
	s_and_saveexec_b32 s17, s20
	s_cbranch_execz .LBB1672_458
.LBB1672_465:                           ;   in Loop: Header=BB1672_408 Depth=2
	ds_load_u8 v20, v35 offset:768
	s_waitcnt lgkmcnt(0)
	v_and_b32_e32 v21, 1, v20
	s_delay_alu instid0(VALU_DEP_1) | instskip(NEXT) | instid1(VALU_DEP_1)
	v_lshrrev_b32_e32 v21, s49, v21
	v_and_b32_e32 v21, s31, v21
	s_delay_alu instid0(VALU_DEP_1)
	v_lshlrev_b32_e32 v21, 2, v21
	ds_load_b32 v21, v21
	s_waitcnt lgkmcnt(0)
	v_add_nc_u32_e32 v21, v21, v31
	global_store_b8 v21, v20, s[38:39]
	s_or_b32 exec_lo, exec_lo, s17
	v_cmp_lt_u32_e64 s19, v35, v2
	s_delay_alu instid0(VALU_DEP_1)
	s_and_saveexec_b32 s17, s19
	s_cbranch_execnz .LBB1672_459
.LBB1672_466:                           ;   in Loop: Header=BB1672_408 Depth=2
	s_or_b32 exec_lo, exec_lo, s17
	v_cmp_lt_u32_e64 s18, v36, v2
	s_delay_alu instid0(VALU_DEP_1)
	s_and_saveexec_b32 s17, s18
	s_cbranch_execz .LBB1672_460
.LBB1672_467:                           ;   in Loop: Header=BB1672_408 Depth=2
	ds_load_u8 v20, v35 offset:1280
	s_waitcnt lgkmcnt(0)
	v_and_b32_e32 v21, 1, v20
	s_delay_alu instid0(VALU_DEP_1) | instskip(NEXT) | instid1(VALU_DEP_1)
	v_lshrrev_b32_e32 v21, s49, v21
	v_and_b32_e32 v21, s31, v21
	s_delay_alu instid0(VALU_DEP_1)
	v_lshlrev_b32_e32 v21, 2, v21
	ds_load_b32 v21, v21
	s_waitcnt lgkmcnt(0)
	v_add_nc_u32_e32 v21, v21, v36
	global_store_b8 v21, v20, s[38:39]
	s_or_b32 exec_lo, exec_lo, s17
	v_cmp_lt_u32_e64 s17, v37, v2
	s_delay_alu instid0(VALU_DEP_1)
	s_and_saveexec_b32 s43, s17
	s_cbranch_execnz .LBB1672_461
.LBB1672_468:                           ;   in Loop: Header=BB1672_408 Depth=2
	s_or_b32 exec_lo, exec_lo, s43
	v_cmp_lt_u32_e32 vcc_lo, v39, v2
	s_and_saveexec_b32 s43, vcc_lo
	s_cbranch_execz .LBB1672_470
.LBB1672_469:                           ;   in Loop: Header=BB1672_408 Depth=2
	ds_load_u8 v20, v35 offset:1792
	s_waitcnt lgkmcnt(0)
	v_and_b32_e32 v21, 1, v20
	s_delay_alu instid0(VALU_DEP_1) | instskip(NEXT) | instid1(VALU_DEP_1)
	v_lshrrev_b32_e32 v21, s49, v21
	v_and_b32_e32 v21, s31, v21
	s_delay_alu instid0(VALU_DEP_1)
	v_lshlrev_b32_e32 v21, 2, v21
	ds_load_b32 v21, v21
	s_waitcnt lgkmcnt(0)
	v_add_nc_u32_e32 v21, v21, v39
	global_store_b8 v21, v20, s[38:39]
.LBB1672_470:                           ;   in Loop: Header=BB1672_408 Depth=2
	s_or_b32 exec_lo, exec_lo, s43
	s_lshl_b64 s[52:53], s[24:25], 3
	s_delay_alu instid0(SALU_CYCLE_1) | instskip(NEXT) | instid1(VALU_DEP_1)
	v_add_co_u32 v20, s24, v73, s52
	v_add_co_ci_u32_e64 v21, s24, s53, v74, s24
	v_cmp_lt_u32_e64 s24, v70, v2
	s_delay_alu instid0(VALU_DEP_1) | instskip(NEXT) | instid1(SALU_CYCLE_1)
	s_and_saveexec_b32 s43, s24
	s_xor_b32 s24, exec_lo, s43
	s_cbranch_execz .LBB1672_486
; %bb.471:                              ;   in Loop: Header=BB1672_408 Depth=2
	global_load_b64 v[18:19], v[20:21], off
	s_or_b32 exec_lo, exec_lo, s24
	s_delay_alu instid0(SALU_CYCLE_1)
	s_mov_b32 s43, exec_lo
	v_cmpx_lt_u32_e64 v75, v2
	s_cbranch_execnz .LBB1672_487
.LBB1672_472:                           ;   in Loop: Header=BB1672_408 Depth=2
	s_or_b32 exec_lo, exec_lo, s43
	s_delay_alu instid0(SALU_CYCLE_1)
	s_mov_b32 s43, exec_lo
	v_cmpx_lt_u32_e64 v76, v2
	s_cbranch_execz .LBB1672_488
.LBB1672_473:                           ;   in Loop: Header=BB1672_408 Depth=2
	global_load_b64 v[14:15], v[20:21], off offset:512
	s_or_b32 exec_lo, exec_lo, s43
	s_delay_alu instid0(SALU_CYCLE_1)
	s_mov_b32 s43, exec_lo
	v_cmpx_lt_u32_e64 v77, v2
	s_cbranch_execnz .LBB1672_489
.LBB1672_474:                           ;   in Loop: Header=BB1672_408 Depth=2
	s_or_b32 exec_lo, exec_lo, s43
	s_delay_alu instid0(SALU_CYCLE_1)
	s_mov_b32 s43, exec_lo
	v_cmpx_lt_u32_e64 v78, v2
	s_cbranch_execz .LBB1672_490
.LBB1672_475:                           ;   in Loop: Header=BB1672_408 Depth=2
	global_load_b64 v[10:11], v[20:21], off offset:1024
	s_or_b32 exec_lo, exec_lo, s43
	s_delay_alu instid0(SALU_CYCLE_1)
	s_mov_b32 s43, exec_lo
	v_cmpx_lt_u32_e64 v79, v2
	s_cbranch_execnz .LBB1672_491
.LBB1672_476:                           ;   in Loop: Header=BB1672_408 Depth=2
	s_or_b32 exec_lo, exec_lo, s43
	s_delay_alu instid0(SALU_CYCLE_1)
	s_mov_b32 s43, exec_lo
	v_cmpx_lt_u32_e64 v80, v2
	s_cbranch_execz .LBB1672_492
.LBB1672_477:                           ;   in Loop: Header=BB1672_408 Depth=2
	global_load_b64 v[6:7], v[20:21], off offset:1536
	s_or_b32 exec_lo, exec_lo, s43
	s_delay_alu instid0(SALU_CYCLE_1)
	s_mov_b32 s43, exec_lo
	v_cmpx_lt_u32_e64 v81, v2
	s_cbranch_execnz .LBB1672_493
.LBB1672_478:                           ;   in Loop: Header=BB1672_408 Depth=2
	s_or_b32 exec_lo, exec_lo, s43
	s_and_saveexec_b32 s24, s23
	s_cbranch_execz .LBB1672_494
.LBB1672_479:                           ;   in Loop: Header=BB1672_408 Depth=2
	ds_load_u8 v2, v1 offset:1024
	s_waitcnt lgkmcnt(0)
	v_lshrrev_b32_e32 v2, s49, v2
	s_delay_alu instid0(VALU_DEP_1)
	v_and_b32_e32 v92, s31, v2
	s_or_b32 exec_lo, exec_lo, s24
	s_and_saveexec_b32 s24, s22
	s_cbranch_execnz .LBB1672_495
.LBB1672_480:                           ;   in Loop: Header=BB1672_408 Depth=2
	s_or_b32 exec_lo, exec_lo, s24
	s_and_saveexec_b32 s24, s21
	s_cbranch_execz .LBB1672_496
.LBB1672_481:                           ;   in Loop: Header=BB1672_408 Depth=2
	ds_load_u8 v2, v35 offset:512
	s_waitcnt lgkmcnt(0)
	v_lshrrev_b32_e32 v2, s49, v2
	s_delay_alu instid0(VALU_DEP_1)
	v_and_b32_e32 v90, s31, v2
	s_or_b32 exec_lo, exec_lo, s24
	s_and_saveexec_b32 s24, s20
	s_cbranch_execnz .LBB1672_497
.LBB1672_482:                           ;   in Loop: Header=BB1672_408 Depth=2
	s_or_b32 exec_lo, exec_lo, s24
	s_and_saveexec_b32 s24, s19
	s_cbranch_execz .LBB1672_498
.LBB1672_483:                           ;   in Loop: Header=BB1672_408 Depth=2
	ds_load_u8 v2, v35 offset:1024
	s_waitcnt lgkmcnt(0)
	v_lshrrev_b32_e32 v2, s49, v2
	s_delay_alu instid0(VALU_DEP_1)
	v_and_b32_e32 v88, s31, v2
	s_or_b32 exec_lo, exec_lo, s24
	s_and_saveexec_b32 s24, s18
	s_cbranch_execnz .LBB1672_499
.LBB1672_484:                           ;   in Loop: Header=BB1672_408 Depth=2
	s_or_b32 exec_lo, exec_lo, s24
	s_and_saveexec_b32 s24, s17
	s_cbranch_execz .LBB1672_500
.LBB1672_485:                           ;   in Loop: Header=BB1672_408 Depth=2
	ds_load_u8 v2, v35 offset:1536
	s_waitcnt lgkmcnt(0)
	v_lshrrev_b32_e32 v2, s49, v2
	s_delay_alu instid0(VALU_DEP_1)
	v_and_b32_e32 v86, s31, v2
	s_or_b32 exec_lo, exec_lo, s24
	s_and_saveexec_b32 s24, vcc_lo
	s_cbranch_execnz .LBB1672_501
	s_branch .LBB1672_502
.LBB1672_486:                           ;   in Loop: Header=BB1672_408 Depth=2
	s_or_b32 exec_lo, exec_lo, s24
	s_delay_alu instid0(SALU_CYCLE_1)
	s_mov_b32 s43, exec_lo
	v_cmpx_lt_u32_e64 v75, v2
	s_cbranch_execz .LBB1672_472
.LBB1672_487:                           ;   in Loop: Header=BB1672_408 Depth=2
	global_load_b64 v[16:17], v[20:21], off offset:256
	s_or_b32 exec_lo, exec_lo, s43
	s_delay_alu instid0(SALU_CYCLE_1)
	s_mov_b32 s43, exec_lo
	v_cmpx_lt_u32_e64 v76, v2
	s_cbranch_execnz .LBB1672_473
.LBB1672_488:                           ;   in Loop: Header=BB1672_408 Depth=2
	s_or_b32 exec_lo, exec_lo, s43
	s_delay_alu instid0(SALU_CYCLE_1)
	s_mov_b32 s43, exec_lo
	v_cmpx_lt_u32_e64 v77, v2
	s_cbranch_execz .LBB1672_474
.LBB1672_489:                           ;   in Loop: Header=BB1672_408 Depth=2
	global_load_b64 v[12:13], v[20:21], off offset:768
	s_or_b32 exec_lo, exec_lo, s43
	s_delay_alu instid0(SALU_CYCLE_1)
	s_mov_b32 s43, exec_lo
	v_cmpx_lt_u32_e64 v78, v2
	s_cbranch_execnz .LBB1672_475
.LBB1672_490:                           ;   in Loop: Header=BB1672_408 Depth=2
	s_or_b32 exec_lo, exec_lo, s43
	s_delay_alu instid0(SALU_CYCLE_1)
	s_mov_b32 s43, exec_lo
	v_cmpx_lt_u32_e64 v79, v2
	s_cbranch_execz .LBB1672_476
.LBB1672_491:                           ;   in Loop: Header=BB1672_408 Depth=2
	global_load_b64 v[8:9], v[20:21], off offset:1280
	s_or_b32 exec_lo, exec_lo, s43
	s_delay_alu instid0(SALU_CYCLE_1)
	s_mov_b32 s43, exec_lo
	v_cmpx_lt_u32_e64 v80, v2
	s_cbranch_execnz .LBB1672_477
.LBB1672_492:                           ;   in Loop: Header=BB1672_408 Depth=2
	s_or_b32 exec_lo, exec_lo, s43
	s_delay_alu instid0(SALU_CYCLE_1)
	s_mov_b32 s43, exec_lo
	v_cmpx_lt_u32_e64 v81, v2
	s_cbranch_execz .LBB1672_478
.LBB1672_493:                           ;   in Loop: Header=BB1672_408 Depth=2
	global_load_b64 v[4:5], v[20:21], off offset:1792
	s_or_b32 exec_lo, exec_lo, s43
	s_and_saveexec_b32 s24, s23
	s_cbranch_execnz .LBB1672_479
.LBB1672_494:                           ;   in Loop: Header=BB1672_408 Depth=2
	s_or_b32 exec_lo, exec_lo, s24
	s_and_saveexec_b32 s24, s22
	s_cbranch_execz .LBB1672_480
.LBB1672_495:                           ;   in Loop: Header=BB1672_408 Depth=2
	ds_load_u8 v2, v35 offset:256
	s_waitcnt lgkmcnt(0)
	v_lshrrev_b32_e32 v2, s49, v2
	s_delay_alu instid0(VALU_DEP_1)
	v_and_b32_e32 v91, s31, v2
	s_or_b32 exec_lo, exec_lo, s24
	s_and_saveexec_b32 s24, s21
	s_cbranch_execnz .LBB1672_481
.LBB1672_496:                           ;   in Loop: Header=BB1672_408 Depth=2
	s_or_b32 exec_lo, exec_lo, s24
	s_and_saveexec_b32 s24, s20
	s_cbranch_execz .LBB1672_482
.LBB1672_497:                           ;   in Loop: Header=BB1672_408 Depth=2
	ds_load_u8 v2, v35 offset:768
	s_waitcnt lgkmcnt(0)
	v_lshrrev_b32_e32 v2, s49, v2
	s_delay_alu instid0(VALU_DEP_1)
	v_and_b32_e32 v89, s31, v2
	s_or_b32 exec_lo, exec_lo, s24
	s_and_saveexec_b32 s24, s19
	s_cbranch_execnz .LBB1672_483
.LBB1672_498:                           ;   in Loop: Header=BB1672_408 Depth=2
	s_or_b32 exec_lo, exec_lo, s24
	s_and_saveexec_b32 s24, s18
	s_cbranch_execz .LBB1672_484
.LBB1672_499:                           ;   in Loop: Header=BB1672_408 Depth=2
	ds_load_u8 v2, v35 offset:1280
	s_waitcnt lgkmcnt(0)
	v_lshrrev_b32_e32 v2, s49, v2
	s_delay_alu instid0(VALU_DEP_1)
	v_and_b32_e32 v87, s31, v2
	s_or_b32 exec_lo, exec_lo, s24
	s_and_saveexec_b32 s24, s17
	s_cbranch_execnz .LBB1672_485
.LBB1672_500:                           ;   in Loop: Header=BB1672_408 Depth=2
	s_or_b32 exec_lo, exec_lo, s24
	s_and_saveexec_b32 s24, vcc_lo
	s_cbranch_execz .LBB1672_502
.LBB1672_501:                           ;   in Loop: Header=BB1672_408 Depth=2
	ds_load_u8 v2, v35 offset:1792
	s_waitcnt lgkmcnt(0)
	v_lshrrev_b32_e32 v2, s49, v2
	s_delay_alu instid0(VALU_DEP_1)
	v_and_b32_e32 v85, s31, v2
.LBB1672_502:                           ;   in Loop: Header=BB1672_408 Depth=2
	s_or_b32 exec_lo, exec_lo, s24
	v_lshlrev_b32_e32 v2, 3, v105
	v_lshlrev_b32_e32 v20, 3, v102
	;; [unrolled: 1-line block ×3, first 2 shown]
	s_waitcnt vmcnt(0)
	s_waitcnt_vscnt null, 0x0
	s_barrier
	buffer_gl0_inv
	ds_store_b64 v2, v[18:19] offset:1024
	ds_store_b64 v20, v[16:17] offset:1024
	ds_store_b64 v21, v[14:15] offset:1024
	v_lshlrev_b32_e32 v2, 3, v27
	v_lshlrev_b32_e32 v20, 3, v26
	;; [unrolled: 1-line block ×5, first 2 shown]
	ds_store_b64 v2, v[12:13] offset:1024
	ds_store_b64 v20, v[10:11] offset:1024
	;; [unrolled: 1-line block ×5, first 2 shown]
	s_waitcnt lgkmcnt(0)
	s_barrier
	buffer_gl0_inv
	s_and_saveexec_b32 s24, s23
	s_cbranch_execz .LBB1672_510
; %bb.503:                              ;   in Loop: Header=BB1672_408 Depth=2
	v_lshlrev_b32_e32 v2, 2, v92
	v_add_nc_u32_e32 v20, v1, v52
	ds_load_b32 v2, v2
	ds_load_b64 v[20:21], v20 offset:1024
	s_waitcnt lgkmcnt(1)
	v_add_nc_u32_e32 v2, v2, v1
	s_delay_alu instid0(VALU_DEP_1) | instskip(NEXT) | instid1(VALU_DEP_1)
	v_lshlrev_b64 v[23:24], 3, v[2:3]
	v_add_co_u32 v23, s23, s44, v23
	s_delay_alu instid0(VALU_DEP_1)
	v_add_co_ci_u32_e64 v24, s23, s45, v24, s23
	s_waitcnt lgkmcnt(0)
	global_store_b64 v[23:24], v[20:21], off
	s_or_b32 exec_lo, exec_lo, s24
	s_and_saveexec_b32 s23, s22
	s_cbranch_execnz .LBB1672_511
.LBB1672_504:                           ;   in Loop: Header=BB1672_408 Depth=2
	s_or_b32 exec_lo, exec_lo, s23
	s_and_saveexec_b32 s22, s21
	s_cbranch_execz .LBB1672_512
.LBB1672_505:                           ;   in Loop: Header=BB1672_408 Depth=2
	v_lshlrev_b32_e32 v2, 2, v90
	v_add_nc_u32_e32 v20, v35, v52
	ds_load_b32 v2, v2
	ds_load_b64 v[20:21], v20 offset:4096
	s_waitcnt lgkmcnt(1)
	v_add_nc_u32_e32 v2, v2, v30
	s_delay_alu instid0(VALU_DEP_1) | instskip(NEXT) | instid1(VALU_DEP_1)
	v_lshlrev_b64 v[23:24], 3, v[2:3]
	v_add_co_u32 v23, s21, s44, v23
	s_delay_alu instid0(VALU_DEP_1)
	v_add_co_ci_u32_e64 v24, s21, s45, v24, s21
	s_waitcnt lgkmcnt(0)
	global_store_b64 v[23:24], v[20:21], off
	s_or_b32 exec_lo, exec_lo, s22
	s_and_saveexec_b32 s21, s20
	s_cbranch_execnz .LBB1672_513
.LBB1672_506:                           ;   in Loop: Header=BB1672_408 Depth=2
	s_or_b32 exec_lo, exec_lo, s21
	s_and_saveexec_b32 s20, s19
	s_cbranch_execz .LBB1672_514
.LBB1672_507:                           ;   in Loop: Header=BB1672_408 Depth=2
	v_lshlrev_b32_e32 v2, 2, v88
	v_add_nc_u32_e32 v20, v35, v52
	ds_load_b32 v2, v2
	ds_load_b64 v[20:21], v20 offset:8192
	s_waitcnt lgkmcnt(1)
	v_add_nc_u32_e32 v2, v2, v35
	s_delay_alu instid0(VALU_DEP_1) | instskip(NEXT) | instid1(VALU_DEP_1)
	v_lshlrev_b64 v[23:24], 3, v[2:3]
	v_add_co_u32 v23, s19, s44, v23
	s_delay_alu instid0(VALU_DEP_1)
	v_add_co_ci_u32_e64 v24, s19, s45, v24, s19
	s_waitcnt lgkmcnt(0)
	global_store_b64 v[23:24], v[20:21], off
	s_or_b32 exec_lo, exec_lo, s20
	s_and_saveexec_b32 s19, s18
	s_cbranch_execnz .LBB1672_515
.LBB1672_508:                           ;   in Loop: Header=BB1672_408 Depth=2
	s_or_b32 exec_lo, exec_lo, s19
	s_and_saveexec_b32 s18, s17
	s_cbranch_execz .LBB1672_516
.LBB1672_509:                           ;   in Loop: Header=BB1672_408 Depth=2
	v_lshlrev_b32_e32 v2, 2, v86
	v_add_nc_u32_e32 v20, v35, v52
	ds_load_b32 v2, v2
	ds_load_b64 v[20:21], v20 offset:12288
	s_waitcnt lgkmcnt(1)
	v_add_nc_u32_e32 v2, v2, v37
	s_delay_alu instid0(VALU_DEP_1) | instskip(NEXT) | instid1(VALU_DEP_1)
	v_lshlrev_b64 v[23:24], 3, v[2:3]
	v_add_co_u32 v23, s17, s44, v23
	s_delay_alu instid0(VALU_DEP_1)
	v_add_co_ci_u32_e64 v24, s17, s45, v24, s17
	s_waitcnt lgkmcnt(0)
	global_store_b64 v[23:24], v[20:21], off
	s_or_b32 exec_lo, exec_lo, s18
	s_and_saveexec_b32 s17, vcc_lo
	s_cbranch_execnz .LBB1672_517
	s_branch .LBB1672_518
.LBB1672_510:                           ;   in Loop: Header=BB1672_408 Depth=2
	s_or_b32 exec_lo, exec_lo, s24
	s_and_saveexec_b32 s23, s22
	s_cbranch_execz .LBB1672_504
.LBB1672_511:                           ;   in Loop: Header=BB1672_408 Depth=2
	v_lshlrev_b32_e32 v2, 2, v91
	v_add_nc_u32_e32 v20, v35, v52
	ds_load_b32 v2, v2
	ds_load_b64 v[20:21], v20 offset:2048
	s_waitcnt lgkmcnt(1)
	v_add_nc_u32_e32 v2, v2, v29
	s_delay_alu instid0(VALU_DEP_1) | instskip(NEXT) | instid1(VALU_DEP_1)
	v_lshlrev_b64 v[23:24], 3, v[2:3]
	v_add_co_u32 v23, s22, s44, v23
	s_delay_alu instid0(VALU_DEP_1)
	v_add_co_ci_u32_e64 v24, s22, s45, v24, s22
	s_waitcnt lgkmcnt(0)
	global_store_b64 v[23:24], v[20:21], off
	s_or_b32 exec_lo, exec_lo, s23
	s_and_saveexec_b32 s22, s21
	s_cbranch_execnz .LBB1672_505
.LBB1672_512:                           ;   in Loop: Header=BB1672_408 Depth=2
	s_or_b32 exec_lo, exec_lo, s22
	s_and_saveexec_b32 s21, s20
	s_cbranch_execz .LBB1672_506
.LBB1672_513:                           ;   in Loop: Header=BB1672_408 Depth=2
	v_lshlrev_b32_e32 v2, 2, v89
	v_add_nc_u32_e32 v20, v35, v52
	ds_load_b32 v2, v2
	ds_load_b64 v[20:21], v20 offset:6144
	s_waitcnt lgkmcnt(1)
	v_add_nc_u32_e32 v2, v2, v31
	s_delay_alu instid0(VALU_DEP_1) | instskip(NEXT) | instid1(VALU_DEP_1)
	v_lshlrev_b64 v[23:24], 3, v[2:3]
	v_add_co_u32 v23, s20, s44, v23
	s_delay_alu instid0(VALU_DEP_1)
	v_add_co_ci_u32_e64 v24, s20, s45, v24, s20
	s_waitcnt lgkmcnt(0)
	global_store_b64 v[23:24], v[20:21], off
	s_or_b32 exec_lo, exec_lo, s21
	s_and_saveexec_b32 s20, s19
	s_cbranch_execnz .LBB1672_507
.LBB1672_514:                           ;   in Loop: Header=BB1672_408 Depth=2
	s_or_b32 exec_lo, exec_lo, s20
	s_and_saveexec_b32 s19, s18
	s_cbranch_execz .LBB1672_508
.LBB1672_515:                           ;   in Loop: Header=BB1672_408 Depth=2
	v_lshlrev_b32_e32 v2, 2, v87
	v_add_nc_u32_e32 v20, v35, v52
	ds_load_b32 v2, v2
	ds_load_b64 v[20:21], v20 offset:10240
	s_waitcnt lgkmcnt(1)
	v_add_nc_u32_e32 v2, v2, v36
	s_delay_alu instid0(VALU_DEP_1) | instskip(NEXT) | instid1(VALU_DEP_1)
	v_lshlrev_b64 v[23:24], 3, v[2:3]
	v_add_co_u32 v23, s18, s44, v23
	s_delay_alu instid0(VALU_DEP_1)
	v_add_co_ci_u32_e64 v24, s18, s45, v24, s18
	s_waitcnt lgkmcnt(0)
	global_store_b64 v[23:24], v[20:21], off
	s_or_b32 exec_lo, exec_lo, s19
	s_and_saveexec_b32 s18, s17
	s_cbranch_execnz .LBB1672_509
.LBB1672_516:                           ;   in Loop: Header=BB1672_408 Depth=2
	s_or_b32 exec_lo, exec_lo, s18
	s_and_saveexec_b32 s17, vcc_lo
	s_cbranch_execz .LBB1672_518
.LBB1672_517:                           ;   in Loop: Header=BB1672_408 Depth=2
	v_lshlrev_b32_e32 v2, 2, v85
	v_add_nc_u32_e32 v20, v35, v52
	ds_load_b32 v2, v2
	ds_load_b64 v[20:21], v20 offset:14336
	s_waitcnt lgkmcnt(1)
	v_add_nc_u32_e32 v2, v2, v39
	s_delay_alu instid0(VALU_DEP_1) | instskip(NEXT) | instid1(VALU_DEP_1)
	v_lshlrev_b64 v[23:24], 3, v[2:3]
	v_add_co_u32 v23, vcc_lo, s44, v23
	s_delay_alu instid0(VALU_DEP_2)
	v_add_co_ci_u32_e32 v24, vcc_lo, s45, v24, vcc_lo
	s_waitcnt lgkmcnt(0)
	global_store_b64 v[23:24], v[20:21], off
.LBB1672_518:                           ;   in Loop: Header=BB1672_408 Depth=2
	s_or_b32 exec_lo, exec_lo, s17
	s_waitcnt_vscnt null, 0x0
	s_barrier
	buffer_gl0_inv
	s_and_saveexec_b32 s17, s2
	s_cbranch_execz .LBB1672_407
; %bb.519:                              ;   in Loop: Header=BB1672_408 Depth=2
	ds_load_b32 v2, v28
	s_waitcnt lgkmcnt(0)
	v_add_nc_u32_e32 v2, v2, v22
	ds_store_b32 v28, v2
	s_branch .LBB1672_407
.LBB1672_520:                           ;   in Loop: Header=BB1672_20 Depth=1
	s_waitcnt lgkmcnt(0)
	s_mov_b32 s0, 0
	s_barrier
.LBB1672_521:                           ;   in Loop: Header=BB1672_20 Depth=1
	s_and_b32 vcc_lo, exec_lo, s0
	s_cbranch_vccz .LBB1672_19
; %bb.522:                              ;   in Loop: Header=BB1672_20 Depth=1
	s_mov_b32 s0, s34
	s_mov_b32 s9, s28
	s_barrier
	buffer_gl0_inv
                                        ; implicit-def: $vgpr2
                                        ; implicit-def: $vgpr6
                                        ; implicit-def: $vgpr7
                                        ; implicit-def: $vgpr8
                                        ; implicit-def: $vgpr9
                                        ; implicit-def: $vgpr10
                                        ; implicit-def: $vgpr11
                                        ; implicit-def: $vgpr12
	s_branch .LBB1672_524
.LBB1672_523:                           ;   in Loop: Header=BB1672_524 Depth=2
	s_or_b32 exec_lo, exec_lo, s8
	s_addk_i32 s0, 0xf800
	s_cmp_ge_u32 s1, s29
	s_mov_b32 s9, s1
	s_cbranch_scc1 .LBB1672_562
.LBB1672_524:                           ;   Parent Loop BB1672_20 Depth=1
                                        ; =>  This Inner Loop Header: Depth=2
	s_add_i32 s1, s9, 0x800
	s_delay_alu instid0(SALU_CYCLE_1)
	s_cmp_gt_u32 s1, s29
	s_cbranch_scc1 .LBB1672_527
; %bb.525:                              ;   in Loop: Header=BB1672_524 Depth=2
	v_add_co_u32 v4, vcc_lo, v59, s9
	v_add_co_ci_u32_e32 v5, vcc_lo, 0, v60, vcc_lo
	s_mov_b32 s8, -1
	s_movk_i32 s12, 0x800
	s_clause 0x6
	global_load_u8 v20, v[4:5], off offset:1536
	global_load_u8 v19, v[4:5], off offset:1280
	;; [unrolled: 1-line block ×6, first 2 shown]
	global_load_u8 v14, v[4:5], off
	v_add_co_u32 v4, vcc_lo, 0x700, v4
	v_add_co_ci_u32_e32 v5, vcc_lo, 0, v5, vcc_lo
	s_cbranch_execz .LBB1672_528
; %bb.526:                              ;   in Loop: Header=BB1672_524 Depth=2
                                        ; implicit-def: $vgpr2
                                        ; implicit-def: $vgpr6
                                        ; implicit-def: $vgpr7
                                        ; implicit-def: $vgpr8
                                        ; implicit-def: $vgpr9
                                        ; implicit-def: $vgpr10
                                        ; implicit-def: $vgpr11
                                        ; implicit-def: $vgpr12
	v_mov_b32_e32 v13, s0
	s_and_saveexec_b32 s9, s8
	s_cbranch_execnz .LBB1672_539
	s_branch .LBB1672_540
.LBB1672_527:                           ;   in Loop: Header=BB1672_524 Depth=2
	s_mov_b32 s8, 0
                                        ; implicit-def: $sgpr12
                                        ; implicit-def: $vgpr14
                                        ; implicit-def: $vgpr15
                                        ; implicit-def: $vgpr16
                                        ; implicit-def: $vgpr17
                                        ; implicit-def: $vgpr18
                                        ; implicit-def: $vgpr19
                                        ; implicit-def: $vgpr20
                                        ; implicit-def: $vgpr4_vgpr5
.LBB1672_528:                           ;   in Loop: Header=BB1672_524 Depth=2
	s_add_u32 s10, s36, s9
	s_addc_u32 s11, s37, 0
	s_mov_b32 s12, exec_lo
	v_cmpx_gt_u32_e64 s0, v1
	s_cbranch_execz .LBB1672_556
; %bb.529:                              ;   in Loop: Header=BB1672_524 Depth=2
	v_add_co_u32 v4, s13, s10, v1
	s_delay_alu instid0(VALU_DEP_1) | instskip(SKIP_2) | instid1(SALU_CYCLE_1)
	v_add_co_ci_u32_e64 v5, null, s11, 0, s13
	global_load_u8 v2, v[4:5], off
	s_or_b32 exec_lo, exec_lo, s12
	s_mov_b32 s12, exec_lo
	v_cmpx_gt_u32_e64 s0, v29
	s_cbranch_execnz .LBB1672_557
.LBB1672_530:                           ;   in Loop: Header=BB1672_524 Depth=2
	s_or_b32 exec_lo, exec_lo, s12
	s_delay_alu instid0(SALU_CYCLE_1)
	s_mov_b32 s12, exec_lo
	v_cmpx_gt_u32_e64 s0, v30
	s_cbranch_execz .LBB1672_558
.LBB1672_531:                           ;   in Loop: Header=BB1672_524 Depth=2
	v_add_co_u32 v4, s13, s10, v1
	s_delay_alu instid0(VALU_DEP_1) | instskip(SKIP_2) | instid1(SALU_CYCLE_1)
	v_add_co_ci_u32_e64 v5, null, s11, 0, s13
	global_load_u8 v7, v[4:5], off offset:512
	s_or_b32 exec_lo, exec_lo, s12
	s_mov_b32 s12, exec_lo
	v_cmpx_gt_u32_e64 s0, v31
	s_cbranch_execnz .LBB1672_559
.LBB1672_532:                           ;   in Loop: Header=BB1672_524 Depth=2
	s_or_b32 exec_lo, exec_lo, s12
	s_delay_alu instid0(SALU_CYCLE_1)
	s_mov_b32 s12, exec_lo
	v_cmpx_gt_u32_e64 s0, v35
	s_cbranch_execz .LBB1672_560
.LBB1672_533:                           ;   in Loop: Header=BB1672_524 Depth=2
	v_add_co_u32 v4, s13, s10, v1
	s_delay_alu instid0(VALU_DEP_1) | instskip(SKIP_2) | instid1(SALU_CYCLE_1)
	v_add_co_ci_u32_e64 v5, null, s11, 0, s13
	global_load_u8 v9, v[4:5], off offset:1024
	s_or_b32 exec_lo, exec_lo, s12
	s_mov_b32 s12, exec_lo
	v_cmpx_gt_u32_e64 s0, v36
	s_cbranch_execnz .LBB1672_561
.LBB1672_534:                           ;   in Loop: Header=BB1672_524 Depth=2
	s_or_b32 exec_lo, exec_lo, s12
	s_delay_alu instid0(SALU_CYCLE_1)
	s_mov_b32 s12, exec_lo
	v_cmpx_gt_u32_e64 s0, v37
	s_cbranch_execz .LBB1672_536
.LBB1672_535:                           ;   in Loop: Header=BB1672_524 Depth=2
	v_add_co_u32 v4, s13, s10, v1
	s_delay_alu instid0(VALU_DEP_1)
	v_add_co_ci_u32_e64 v5, null, s11, 0, s13
	global_load_u8 v11, v[4:5], off offset:1536
.LBB1672_536:                           ;   in Loop: Header=BB1672_524 Depth=2
	s_or_b32 exec_lo, exec_lo, s12
	s_delay_alu instid0(SALU_CYCLE_1)
	s_mov_b32 s13, exec_lo
                                        ; implicit-def: $sgpr12
                                        ; implicit-def: $vgpr4_vgpr5
	v_cmpx_gt_u32_e64 s0, v39
; %bb.537:                              ;   in Loop: Header=BB1672_524 Depth=2
	v_add_co_u32 v4, s10, s10, v1
	s_delay_alu instid0(VALU_DEP_1) | instskip(SKIP_1) | instid1(VALU_DEP_2)
	v_add_co_ci_u32_e64 v5, null, s11, 0, s10
	s_sub_i32 s12, s29, s9
	v_add_co_u32 v4, vcc_lo, 0x700, v4
	s_delay_alu instid0(VALU_DEP_2)
	v_add_co_ci_u32_e32 v5, vcc_lo, 0, v5, vcc_lo
	s_or_b32 s8, s8, exec_lo
                                        ; implicit-def: $vgpr12
; %bb.538:                              ;   in Loop: Header=BB1672_524 Depth=2
	s_or_b32 exec_lo, exec_lo, s13
	s_waitcnt vmcnt(0)
	v_dual_mov_b32 v14, v2 :: v_dual_mov_b32 v17, v8
	v_dual_mov_b32 v15, v6 :: v_dual_mov_b32 v16, v7
	;; [unrolled: 1-line block ×4, first 2 shown]
	s_and_saveexec_b32 s9, s8
	s_cbranch_execz .LBB1672_540
.LBB1672_539:                           ;   in Loop: Header=BB1672_524 Depth=2
	global_load_u8 v12, v[4:5], off
	s_waitcnt vmcnt(1)
	v_dual_mov_b32 v13, s12 :: v_dual_mov_b32 v2, v14
	v_dual_mov_b32 v6, v15 :: v_dual_mov_b32 v7, v16
	;; [unrolled: 1-line block ×4, first 2 shown]
.LBB1672_540:                           ;   in Loop: Header=BB1672_524 Depth=2
	s_or_b32 exec_lo, exec_lo, s9
	v_lshlrev_b32_e32 v4, 2, v32
	s_mov_b32 s8, exec_lo
	v_cmpx_lt_u32_e64 v1, v13
	s_cbranch_execz .LBB1672_548
; %bb.541:                              ;   in Loop: Header=BB1672_524 Depth=2
	v_and_b32_e32 v5, 1, v2
	s_delay_alu instid0(VALU_DEP_1) | instskip(NEXT) | instid1(VALU_DEP_1)
	v_lshrrev_b32_e32 v5, s49, v5
	v_and_b32_e32 v5, s31, v5
	s_delay_alu instid0(VALU_DEP_1) | instskip(SKIP_2) | instid1(SALU_CYCLE_1)
	v_lshl_or_b32 v5, v5, 4, v4
	ds_add_u32 v5, v66
	s_or_b32 exec_lo, exec_lo, s8
	s_mov_b32 s8, exec_lo
	v_cmpx_lt_u32_e64 v29, v13
	s_cbranch_execnz .LBB1672_549
.LBB1672_542:                           ;   in Loop: Header=BB1672_524 Depth=2
	s_or_b32 exec_lo, exec_lo, s8
	s_delay_alu instid0(SALU_CYCLE_1)
	s_mov_b32 s8, exec_lo
	v_cmpx_lt_u32_e64 v30, v13
	s_cbranch_execz .LBB1672_550
.LBB1672_543:                           ;   in Loop: Header=BB1672_524 Depth=2
	v_and_b32_e32 v5, 1, v7
	s_delay_alu instid0(VALU_DEP_1) | instskip(NEXT) | instid1(VALU_DEP_1)
	v_lshrrev_b32_e32 v5, s49, v5
	v_and_b32_e32 v5, s31, v5
	s_delay_alu instid0(VALU_DEP_1) | instskip(SKIP_2) | instid1(SALU_CYCLE_1)
	v_lshl_or_b32 v5, v5, 4, v4
	ds_add_u32 v5, v66
	s_or_b32 exec_lo, exec_lo, s8
	s_mov_b32 s8, exec_lo
	v_cmpx_lt_u32_e64 v31, v13
	s_cbranch_execnz .LBB1672_551
.LBB1672_544:                           ;   in Loop: Header=BB1672_524 Depth=2
	s_or_b32 exec_lo, exec_lo, s8
	s_delay_alu instid0(SALU_CYCLE_1)
	s_mov_b32 s8, exec_lo
	v_cmpx_lt_u32_e64 v35, v13
	s_cbranch_execz .LBB1672_552
.LBB1672_545:                           ;   in Loop: Header=BB1672_524 Depth=2
	v_and_b32_e32 v5, 1, v9
	s_delay_alu instid0(VALU_DEP_1) | instskip(NEXT) | instid1(VALU_DEP_1)
	v_lshrrev_b32_e32 v5, s49, v5
	v_and_b32_e32 v5, s31, v5
	s_delay_alu instid0(VALU_DEP_1) | instskip(SKIP_2) | instid1(SALU_CYCLE_1)
	v_lshl_or_b32 v5, v5, 4, v4
	ds_add_u32 v5, v66
	s_or_b32 exec_lo, exec_lo, s8
	s_mov_b32 s8, exec_lo
	v_cmpx_lt_u32_e64 v36, v13
	s_cbranch_execnz .LBB1672_553
.LBB1672_546:                           ;   in Loop: Header=BB1672_524 Depth=2
	s_or_b32 exec_lo, exec_lo, s8
	s_delay_alu instid0(SALU_CYCLE_1)
	s_mov_b32 s8, exec_lo
	v_cmpx_lt_u32_e64 v37, v13
	s_cbranch_execz .LBB1672_554
.LBB1672_547:                           ;   in Loop: Header=BB1672_524 Depth=2
	v_and_b32_e32 v5, 1, v11
	s_delay_alu instid0(VALU_DEP_1) | instskip(NEXT) | instid1(VALU_DEP_1)
	v_lshrrev_b32_e32 v5, s49, v5
	v_and_b32_e32 v5, s31, v5
	s_delay_alu instid0(VALU_DEP_1) | instskip(SKIP_2) | instid1(SALU_CYCLE_1)
	v_lshl_or_b32 v5, v5, 4, v4
	ds_add_u32 v5, v66
	s_or_b32 exec_lo, exec_lo, s8
	s_mov_b32 s8, exec_lo
	v_cmpx_lt_u32_e64 v39, v13
	s_cbranch_execz .LBB1672_523
	s_branch .LBB1672_555
.LBB1672_548:                           ;   in Loop: Header=BB1672_524 Depth=2
	s_or_b32 exec_lo, exec_lo, s8
	s_delay_alu instid0(SALU_CYCLE_1)
	s_mov_b32 s8, exec_lo
	v_cmpx_lt_u32_e64 v29, v13
	s_cbranch_execz .LBB1672_542
.LBB1672_549:                           ;   in Loop: Header=BB1672_524 Depth=2
	v_and_b32_e32 v5, 1, v6
	s_delay_alu instid0(VALU_DEP_1) | instskip(NEXT) | instid1(VALU_DEP_1)
	v_lshrrev_b32_e32 v5, s49, v5
	v_and_b32_e32 v5, s31, v5
	s_delay_alu instid0(VALU_DEP_1) | instskip(SKIP_2) | instid1(SALU_CYCLE_1)
	v_lshl_or_b32 v5, v5, 4, v4
	ds_add_u32 v5, v66
	s_or_b32 exec_lo, exec_lo, s8
	s_mov_b32 s8, exec_lo
	v_cmpx_lt_u32_e64 v30, v13
	s_cbranch_execnz .LBB1672_543
.LBB1672_550:                           ;   in Loop: Header=BB1672_524 Depth=2
	s_or_b32 exec_lo, exec_lo, s8
	s_delay_alu instid0(SALU_CYCLE_1)
	s_mov_b32 s8, exec_lo
	v_cmpx_lt_u32_e64 v31, v13
	s_cbranch_execz .LBB1672_544
.LBB1672_551:                           ;   in Loop: Header=BB1672_524 Depth=2
	v_and_b32_e32 v5, 1, v8
	s_delay_alu instid0(VALU_DEP_1) | instskip(NEXT) | instid1(VALU_DEP_1)
	v_lshrrev_b32_e32 v5, s49, v5
	v_and_b32_e32 v5, s31, v5
	s_delay_alu instid0(VALU_DEP_1) | instskip(SKIP_2) | instid1(SALU_CYCLE_1)
	v_lshl_or_b32 v5, v5, 4, v4
	ds_add_u32 v5, v66
	s_or_b32 exec_lo, exec_lo, s8
	s_mov_b32 s8, exec_lo
	v_cmpx_lt_u32_e64 v35, v13
	s_cbranch_execnz .LBB1672_545
.LBB1672_552:                           ;   in Loop: Header=BB1672_524 Depth=2
	s_or_b32 exec_lo, exec_lo, s8
	s_delay_alu instid0(SALU_CYCLE_1)
	s_mov_b32 s8, exec_lo
	v_cmpx_lt_u32_e64 v36, v13
	s_cbranch_execz .LBB1672_546
.LBB1672_553:                           ;   in Loop: Header=BB1672_524 Depth=2
	v_and_b32_e32 v5, 1, v10
	s_delay_alu instid0(VALU_DEP_1) | instskip(NEXT) | instid1(VALU_DEP_1)
	v_lshrrev_b32_e32 v5, s49, v5
	v_and_b32_e32 v5, s31, v5
	s_delay_alu instid0(VALU_DEP_1) | instskip(SKIP_2) | instid1(SALU_CYCLE_1)
	v_lshl_or_b32 v5, v5, 4, v4
	ds_add_u32 v5, v66
	s_or_b32 exec_lo, exec_lo, s8
	s_mov_b32 s8, exec_lo
	v_cmpx_lt_u32_e64 v37, v13
	s_cbranch_execnz .LBB1672_547
.LBB1672_554:                           ;   in Loop: Header=BB1672_524 Depth=2
	s_or_b32 exec_lo, exec_lo, s8
	s_delay_alu instid0(SALU_CYCLE_1)
	s_mov_b32 s8, exec_lo
	v_cmpx_lt_u32_e64 v39, v13
	s_cbranch_execz .LBB1672_523
.LBB1672_555:                           ;   in Loop: Header=BB1672_524 Depth=2
	s_waitcnt vmcnt(0)
	v_and_b32_e32 v5, 1, v12
	s_delay_alu instid0(VALU_DEP_1) | instskip(NEXT) | instid1(VALU_DEP_1)
	v_lshrrev_b32_e32 v5, s49, v5
	v_and_b32_e32 v5, s31, v5
	s_delay_alu instid0(VALU_DEP_1)
	v_lshl_or_b32 v4, v5, 4, v4
	ds_add_u32 v4, v66
	s_branch .LBB1672_523
.LBB1672_556:                           ;   in Loop: Header=BB1672_524 Depth=2
	s_or_b32 exec_lo, exec_lo, s12
	s_delay_alu instid0(SALU_CYCLE_1)
	s_mov_b32 s12, exec_lo
	v_cmpx_gt_u32_e64 s0, v29
	s_cbranch_execz .LBB1672_530
.LBB1672_557:                           ;   in Loop: Header=BB1672_524 Depth=2
	v_add_co_u32 v4, s13, s10, v1
	s_delay_alu instid0(VALU_DEP_1) | instskip(SKIP_2) | instid1(SALU_CYCLE_1)
	v_add_co_ci_u32_e64 v5, null, s11, 0, s13
	global_load_u8 v6, v[4:5], off offset:256
	s_or_b32 exec_lo, exec_lo, s12
	s_mov_b32 s12, exec_lo
	v_cmpx_gt_u32_e64 s0, v30
	s_cbranch_execnz .LBB1672_531
.LBB1672_558:                           ;   in Loop: Header=BB1672_524 Depth=2
	s_or_b32 exec_lo, exec_lo, s12
	s_delay_alu instid0(SALU_CYCLE_1)
	s_mov_b32 s12, exec_lo
	v_cmpx_gt_u32_e64 s0, v31
	s_cbranch_execz .LBB1672_532
.LBB1672_559:                           ;   in Loop: Header=BB1672_524 Depth=2
	v_add_co_u32 v4, s13, s10, v1
	s_delay_alu instid0(VALU_DEP_1) | instskip(SKIP_2) | instid1(SALU_CYCLE_1)
	v_add_co_ci_u32_e64 v5, null, s11, 0, s13
	global_load_u8 v8, v[4:5], off offset:768
	s_or_b32 exec_lo, exec_lo, s12
	s_mov_b32 s12, exec_lo
	v_cmpx_gt_u32_e64 s0, v35
	s_cbranch_execnz .LBB1672_533
.LBB1672_560:                           ;   in Loop: Header=BB1672_524 Depth=2
	s_or_b32 exec_lo, exec_lo, s12
	s_delay_alu instid0(SALU_CYCLE_1)
	s_mov_b32 s12, exec_lo
	v_cmpx_gt_u32_e64 s0, v36
	s_cbranch_execz .LBB1672_534
.LBB1672_561:                           ;   in Loop: Header=BB1672_524 Depth=2
	v_add_co_u32 v4, s13, s10, v1
	s_delay_alu instid0(VALU_DEP_1) | instskip(SKIP_2) | instid1(SALU_CYCLE_1)
	v_add_co_ci_u32_e64 v5, null, s11, 0, s13
	global_load_u8 v10, v[4:5], off offset:1280
	s_or_b32 exec_lo, exec_lo, s12
	s_mov_b32 s12, exec_lo
	v_cmpx_gt_u32_e64 s0, v37
	s_cbranch_execz .LBB1672_536
	s_branch .LBB1672_535
.LBB1672_562:                           ;   in Loop: Header=BB1672_20 Depth=1
	v_mov_b32_e32 v2, 0
	s_waitcnt vmcnt(0) lgkmcnt(0)
	s_barrier
	buffer_gl0_inv
	s_and_saveexec_b32 s0, s2
	s_cbranch_execz .LBB1672_564
; %bb.563:                              ;   in Loop: Header=BB1672_20 Depth=1
	ds_load_2addr_b64 v[4:7], v40 offset1:1
	s_waitcnt lgkmcnt(0)
	v_add_nc_u32_e32 v2, v5, v4
	s_delay_alu instid0(VALU_DEP_1)
	v_add3_u32 v2, v2, v6, v7
.LBB1672_564:                           ;   in Loop: Header=BB1672_20 Depth=1
	s_or_b32 exec_lo, exec_lo, s0
	v_and_b32_e32 v4, 15, v63
	s_delay_alu instid0(VALU_DEP_2) | instskip(SKIP_1) | instid1(VALU_DEP_3)
	v_mov_b32_dpp v5, v2 row_shr:1 row_mask:0xf bank_mask:0xf
	v_and_b32_e32 v6, 16, v63
	v_cmp_eq_u32_e64 s0, 0, v4
	v_cmp_lt_u32_e64 s1, 1, v4
	v_cmp_lt_u32_e64 s8, 3, v4
	;; [unrolled: 1-line block ×3, first 2 shown]
	v_cmp_eq_u32_e64 s10, 0, v6
	v_cndmask_b32_e64 v5, v5, 0, s0
	s_delay_alu instid0(VALU_DEP_1) | instskip(NEXT) | instid1(VALU_DEP_1)
	v_add_nc_u32_e32 v2, v5, v2
	v_mov_b32_dpp v5, v2 row_shr:2 row_mask:0xf bank_mask:0xf
	s_delay_alu instid0(VALU_DEP_1) | instskip(NEXT) | instid1(VALU_DEP_1)
	v_cndmask_b32_e64 v5, 0, v5, s1
	v_add_nc_u32_e32 v2, v2, v5
	s_delay_alu instid0(VALU_DEP_1) | instskip(NEXT) | instid1(VALU_DEP_1)
	v_mov_b32_dpp v5, v2 row_shr:4 row_mask:0xf bank_mask:0xf
	v_cndmask_b32_e64 v5, 0, v5, s8
	s_delay_alu instid0(VALU_DEP_1) | instskip(NEXT) | instid1(VALU_DEP_1)
	v_add_nc_u32_e32 v2, v2, v5
	v_mov_b32_dpp v5, v2 row_shr:8 row_mask:0xf bank_mask:0xf
	s_delay_alu instid0(VALU_DEP_1) | instskip(SKIP_1) | instid1(VALU_DEP_2)
	v_cndmask_b32_e64 v4, 0, v5, s9
	v_bfe_i32 v5, v63, 4, 1
	v_add_nc_u32_e32 v2, v2, v4
	ds_swizzle_b32 v4, v2 offset:swizzle(BROADCAST,32,15)
	s_waitcnt lgkmcnt(0)
	v_and_b32_e32 v4, v5, v4
	s_delay_alu instid0(VALU_DEP_1)
	v_add_nc_u32_e32 v4, v2, v4
	s_and_saveexec_b32 s11, s3
	s_cbranch_execz .LBB1672_566
; %bb.565:                              ;   in Loop: Header=BB1672_20 Depth=1
	ds_store_b32 v41, v4
.LBB1672_566:                           ;   in Loop: Header=BB1672_20 Depth=1
	s_or_b32 exec_lo, exec_lo, s11
	v_and_b32_e32 v2, 7, v63
	s_waitcnt lgkmcnt(0)
	s_barrier
	buffer_gl0_inv
	s_and_saveexec_b32 s11, s4
	s_cbranch_execz .LBB1672_568
; %bb.567:                              ;   in Loop: Header=BB1672_20 Depth=1
	ds_load_b32 v5, v42
	v_cmp_ne_u32_e32 vcc_lo, 0, v2
	s_waitcnt lgkmcnt(0)
	v_mov_b32_dpp v6, v5 row_shr:1 row_mask:0xf bank_mask:0xf
	s_delay_alu instid0(VALU_DEP_1) | instskip(SKIP_1) | instid1(VALU_DEP_2)
	v_cndmask_b32_e32 v6, 0, v6, vcc_lo
	v_cmp_lt_u32_e32 vcc_lo, 1, v2
	v_add_nc_u32_e32 v5, v6, v5
	s_delay_alu instid0(VALU_DEP_1) | instskip(NEXT) | instid1(VALU_DEP_1)
	v_mov_b32_dpp v6, v5 row_shr:2 row_mask:0xf bank_mask:0xf
	v_cndmask_b32_e32 v6, 0, v6, vcc_lo
	v_cmp_lt_u32_e32 vcc_lo, 3, v2
	s_delay_alu instid0(VALU_DEP_2) | instskip(NEXT) | instid1(VALU_DEP_1)
	v_add_nc_u32_e32 v5, v5, v6
	v_mov_b32_dpp v6, v5 row_shr:4 row_mask:0xf bank_mask:0xf
	s_delay_alu instid0(VALU_DEP_1) | instskip(NEXT) | instid1(VALU_DEP_1)
	v_cndmask_b32_e32 v6, 0, v6, vcc_lo
	v_add_nc_u32_e32 v5, v5, v6
	ds_store_b32 v42, v5
.LBB1672_568:                           ;   in Loop: Header=BB1672_20 Depth=1
	s_or_b32 exec_lo, exec_lo, s11
	v_mov_b32_e32 v5, 0
	s_waitcnt lgkmcnt(0)
	s_barrier
	buffer_gl0_inv
	s_and_saveexec_b32 s11, s5
	s_cbranch_execz .LBB1672_570
; %bb.569:                              ;   in Loop: Header=BB1672_20 Depth=1
	ds_load_b32 v5, v43
.LBB1672_570:                           ;   in Loop: Header=BB1672_20 Depth=1
	s_or_b32 exec_lo, exec_lo, s11
	v_add_nc_u32_e32 v6, -1, v63
	s_waitcnt lgkmcnt(0)
	v_add_nc_u32_e32 v4, v5, v4
	v_cmp_eq_u32_e64 s11, 0, v63
	s_barrier
	v_cmp_gt_i32_e32 vcc_lo, 0, v6
	buffer_gl0_inv
	v_cndmask_b32_e32 v6, v6, v63, vcc_lo
	s_delay_alu instid0(VALU_DEP_1)
	v_lshlrev_b32_e32 v69, 2, v6
	ds_bpermute_b32 v4, v69, v4
	s_and_saveexec_b32 s12, s2
	s_cbranch_execz .LBB1672_572
; %bb.571:                              ;   in Loop: Header=BB1672_20 Depth=1
	s_waitcnt lgkmcnt(0)
	v_cndmask_b32_e64 v4, v4, v5, s11
	s_delay_alu instid0(VALU_DEP_1)
	v_add_nc_u32_e32 v4, s28, v4
	ds_store_b32 v28, v4
.LBB1672_572:                           ;   in Loop: Header=BB1672_20 Depth=1
	s_or_b32 exec_lo, exec_lo, s12
	s_load_b64 s[12:13], s[26:27], 0x0
	v_add_co_u32 v71, vcc_lo, v64, v63
	v_add_co_ci_u32_e32 v72, vcc_lo, 0, v65, vcc_lo
	v_or_b32_e32 v70, v63, v44
	s_mov_b32 s35, s34
	s_mov_b32 s24, s28
                                        ; implicit-def: $vgpr8_vgpr9
                                        ; implicit-def: $vgpr10_vgpr11
                                        ; implicit-def: $vgpr12_vgpr13
                                        ; implicit-def: $vgpr14_vgpr15
                                        ; implicit-def: $vgpr16_vgpr17
                                        ; implicit-def: $vgpr18_vgpr19
                                        ; implicit-def: $vgpr85
                                        ; implicit-def: $vgpr86
                                        ; implicit-def: $vgpr87
                                        ; implicit-def: $vgpr88
                                        ; implicit-def: $vgpr89
                                        ; implicit-def: $vgpr90
                                        ; implicit-def: $vgpr91
                                        ; implicit-def: $vgpr92
	s_delay_alu instid0(VALU_DEP_1)
	v_or_b32_e32 v75, 32, v70
	v_or_b32_e32 v76, 64, v70
	;; [unrolled: 1-line block ×7, first 2 shown]
	s_waitcnt lgkmcnt(0)
	s_cmp_lt_u32 s15, s13
	s_cselect_b32 s13, 14, 20
	s_delay_alu instid0(SALU_CYCLE_1) | instskip(SKIP_4) | instid1(SALU_CYCLE_1)
	s_add_u32 s16, s26, s13
	s_addc_u32 s17, s27, 0
	s_cmp_lt_u32 s14, s12
	global_load_u16 v4, v3, s[16:17]
	s_cselect_b32 s12, 12, 18
	s_add_u32 s12, s26, s12
	s_addc_u32 s13, s27, 0
	global_load_u16 v6, v3, s[12:13]
	v_cmp_eq_u32_e64 s12, 0, v2
	v_cmp_lt_u32_e64 s13, 1, v2
	v_cmp_lt_u32_e64 s16, 3, v2
	v_lshlrev_b32_e32 v2, 3, v63
	s_delay_alu instid0(VALU_DEP_1)
	v_add_co_u32 v73, vcc_lo, v61, v2
	v_add_co_ci_u32_e32 v74, vcc_lo, 0, v62, vcc_lo
	v_add_co_u32 v83, vcc_lo, 0xe0, v71
	v_add_co_ci_u32_e32 v84, vcc_lo, 0, v72, vcc_lo
	s_waitcnt vmcnt(1)
	v_mad_u32_u24 v7, v45, v4, v0
	s_waitcnt vmcnt(0)
	s_delay_alu instid0(VALU_DEP_1) | instskip(NEXT) | instid1(VALU_DEP_1)
	v_mad_u64_u32 v[4:5], null, v7, v6, v[1:2]
                                        ; implicit-def: $vgpr6_vgpr7
	v_lshrrev_b32_e32 v82, 5, v4
                                        ; implicit-def: $vgpr4_vgpr5
	s_branch .LBB1672_574
.LBB1672_573:                           ;   in Loop: Header=BB1672_574 Depth=2
	s_or_b32 exec_lo, exec_lo, s17
	s_addk_i32 s35, 0xf800
	s_cmp_lt_u32 s42, s29
	s_mov_b32 s24, s42
	s_cbranch_scc0 .LBB1672_18
.LBB1672_574:                           ;   Parent Loop BB1672_20 Depth=1
                                        ; =>  This Inner Loop Header: Depth=2
	s_add_i32 s42, s24, 0x800
	s_delay_alu instid0(SALU_CYCLE_1)
	s_cmp_gt_u32 s42, s29
	s_cbranch_scc1 .LBB1672_577
; %bb.575:                              ;   in Loop: Header=BB1672_574 Depth=2
	v_add_co_u32 v20, vcc_lo, v71, s24
	v_add_co_ci_u32_e32 v21, vcc_lo, 0, v72, vcc_lo
	s_mov_b32 s19, 0
	s_mov_b32 s18, s24
	s_mov_b32 s20, -1
	s_clause 0x6
	global_load_u8 v93, v[20:21], off
	global_load_u8 v94, v[20:21], off offset:32
	global_load_u8 v95, v[20:21], off offset:64
	;; [unrolled: 1-line block ×6, first 2 shown]
	s_movk_i32 s17, 0x800
	s_cbranch_execz .LBB1672_578
; %bb.576:                              ;   in Loop: Header=BB1672_574 Depth=2
                                        ; implicit-def: $sgpr21
	v_mov_b32_e32 v100, s21
	v_mov_b32_e32 v2, s35
	s_and_saveexec_b32 s21, s20
	s_cbranch_execnz .LBB1672_593
	s_branch .LBB1672_594
.LBB1672_577:                           ;   in Loop: Header=BB1672_574 Depth=2
	s_mov_b32 s19, -1
	s_mov_b32 s20, 0
                                        ; implicit-def: $sgpr17
                                        ; implicit-def: $vgpr93
                                        ; implicit-def: $vgpr94
                                        ; implicit-def: $vgpr95
                                        ; implicit-def: $vgpr96
                                        ; implicit-def: $vgpr97
                                        ; implicit-def: $vgpr98
                                        ; implicit-def: $vgpr99
.LBB1672_578:                           ;   in Loop: Header=BB1672_574 Depth=2
	v_add_co_u32 v20, vcc_lo, v71, s24
	v_add_co_ci_u32_e32 v21, vcc_lo, 0, v72, vcc_lo
	s_waitcnt vmcnt(5)
	v_dual_mov_b32 v94, 1 :: v_dual_mov_b32 v93, 1
	s_mov_b32 s17, exec_lo
	v_cmpx_gt_u32_e64 s35, v70
	s_cbranch_execz .LBB1672_580
; %bb.579:                              ;   in Loop: Header=BB1672_574 Depth=2
	global_load_u8 v93, v[20:21], off
.LBB1672_580:                           ;   in Loop: Header=BB1672_574 Depth=2
	s_or_b32 exec_lo, exec_lo, s17
	s_delay_alu instid0(SALU_CYCLE_1)
	s_mov_b32 s17, exec_lo
	v_cmpx_gt_u32_e64 s35, v75
	s_cbranch_execz .LBB1672_582
; %bb.581:                              ;   in Loop: Header=BB1672_574 Depth=2
	global_load_u8 v94, v[20:21], off offset:32
.LBB1672_582:                           ;   in Loop: Header=BB1672_574 Depth=2
	s_or_b32 exec_lo, exec_lo, s17
	s_waitcnt vmcnt(3)
	v_dual_mov_b32 v96, 1 :: v_dual_mov_b32 v95, 1
	s_mov_b32 s17, exec_lo
	v_cmpx_gt_u32_e64 s35, v76
	s_cbranch_execz .LBB1672_584
; %bb.583:                              ;   in Loop: Header=BB1672_574 Depth=2
	global_load_u8 v95, v[20:21], off offset:64
.LBB1672_584:                           ;   in Loop: Header=BB1672_574 Depth=2
	s_or_b32 exec_lo, exec_lo, s17
	s_delay_alu instid0(SALU_CYCLE_1)
	s_mov_b32 s17, exec_lo
	v_cmpx_gt_u32_e64 s35, v77
	s_cbranch_execz .LBB1672_586
; %bb.585:                              ;   in Loop: Header=BB1672_574 Depth=2
	global_load_u8 v96, v[20:21], off offset:96
.LBB1672_586:                           ;   in Loop: Header=BB1672_574 Depth=2
	s_or_b32 exec_lo, exec_lo, s17
	s_waitcnt vmcnt(1)
	v_dual_mov_b32 v98, 1 :: v_dual_mov_b32 v97, 1
	s_mov_b32 s17, exec_lo
	v_cmpx_gt_u32_e64 s35, v78
	s_cbranch_execz .LBB1672_588
; %bb.587:                              ;   in Loop: Header=BB1672_574 Depth=2
	global_load_u8 v97, v[20:21], off offset:128
.LBB1672_588:                           ;   in Loop: Header=BB1672_574 Depth=2
	s_or_b32 exec_lo, exec_lo, s17
	s_delay_alu instid0(SALU_CYCLE_1)
	s_mov_b32 s17, exec_lo
	v_cmpx_gt_u32_e64 s35, v79
	s_cbranch_execz .LBB1672_590
; %bb.589:                              ;   in Loop: Header=BB1672_574 Depth=2
	global_load_u8 v98, v[20:21], off offset:160
.LBB1672_590:                           ;   in Loop: Header=BB1672_574 Depth=2
	s_or_b32 exec_lo, exec_lo, s17
	s_waitcnt vmcnt(0)
	v_mov_b32_e32 v99, 1
	s_mov_b32 s17, exec_lo
	v_cmpx_gt_u32_e64 s35, v80
	s_cbranch_execz .LBB1672_592
; %bb.591:                              ;   in Loop: Header=BB1672_574 Depth=2
	global_load_u8 v99, v[20:21], off offset:192
.LBB1672_592:                           ;   in Loop: Header=BB1672_574 Depth=2
	s_or_b32 exec_lo, exec_lo, s17
	v_cmp_gt_u32_e64 s20, s35, v81
	s_sub_i32 s17, s29, s24
	s_mov_b32 s21, 1
	s_mov_b64 s[18:19], s[24:25]
	v_mov_b32_e32 v100, s21
	v_mov_b32_e32 v2, s35
	s_and_saveexec_b32 s21, s20
	s_cbranch_execz .LBB1672_594
.LBB1672_593:                           ;   in Loop: Header=BB1672_574 Depth=2
	v_add_co_u32 v20, vcc_lo, v83, s18
	v_add_co_ci_u32_e32 v21, vcc_lo, s19, v84, vcc_lo
	v_mov_b32_e32 v2, s17
	global_load_u8 v100, v[20:21], off
.LBB1672_594:                           ;   in Loop: Header=BB1672_574 Depth=2
	s_or_b32 exec_lo, exec_lo, s21
	s_waitcnt vmcnt(6)
	v_and_b32_e32 v20, 0xff, v93
	ds_store_b32 v46, v3 offset:1056
	ds_store_2addr_b32 v47, v3, v3 offset0:1 offset1:2
	ds_store_2addr_b32 v47, v3, v3 offset0:3 offset1:4
	;; [unrolled: 1-line block ×4, first 2 shown]
	s_waitcnt vmcnt(0) lgkmcnt(0)
	s_barrier
	v_lshrrev_b32_e32 v20, s49, v20
	buffer_gl0_inv
	; wave barrier
	v_and_b32_e32 v21, s31, v20
	s_delay_alu instid0(VALU_DEP_1) | instskip(NEXT) | instid1(VALU_DEP_1)
	v_add_co_u32 v20, s17, v21, -1
	v_cndmask_b32_e64 v22, 0, 1, s17
	v_mad_u32_u24 v21, v21, 9, v82
	s_delay_alu instid0(VALU_DEP_2) | instskip(NEXT) | instid1(VALU_DEP_2)
	v_cmp_ne_u32_e32 vcc_lo, 0, v22
	v_lshl_add_u32 v102, v21, 2, 0x420
	v_xor_b32_e32 v20, vcc_lo, v20
	s_delay_alu instid0(VALU_DEP_1) | instskip(NEXT) | instid1(VALU_DEP_1)
	v_and_b32_e32 v20, exec_lo, v20
	v_mbcnt_lo_u32_b32 v101, v20, 0
	v_cmp_ne_u32_e64 s17, 0, v20
	s_delay_alu instid0(VALU_DEP_2) | instskip(NEXT) | instid1(VALU_DEP_2)
	v_cmp_eq_u32_e32 vcc_lo, 0, v101
	s_and_b32 s18, s17, vcc_lo
	s_delay_alu instid0(SALU_CYCLE_1)
	s_and_saveexec_b32 s17, s18
	s_cbranch_execz .LBB1672_596
; %bb.595:                              ;   in Loop: Header=BB1672_574 Depth=2
	v_bcnt_u32_b32 v20, v20, 0
	ds_store_b32 v102, v20
.LBB1672_596:                           ;   in Loop: Header=BB1672_574 Depth=2
	s_or_b32 exec_lo, exec_lo, s17
	v_and_b32_e32 v20, 0xff, v94
	; wave barrier
	s_delay_alu instid0(VALU_DEP_1) | instskip(NEXT) | instid1(VALU_DEP_1)
	v_lshrrev_b32_e32 v20, s49, v20
	v_and_b32_e32 v20, s31, v20
	s_delay_alu instid0(VALU_DEP_1) | instskip(NEXT) | instid1(VALU_DEP_1)
	v_add_co_u32 v21, s17, v20, -1
	v_cndmask_b32_e64 v22, 0, 1, s17
	v_mul_u32_u24_e32 v20, 9, v20
	s_delay_alu instid0(VALU_DEP_2) | instskip(NEXT) | instid1(VALU_DEP_2)
	v_cmp_ne_u32_e32 vcc_lo, 0, v22
	v_add_lshl_u32 v22, v20, v82, 2
	v_xor_b32_e32 v20, vcc_lo, v21
	ds_load_b32 v103, v22 offset:1056
	v_add_nc_u32_e32 v105, 0x420, v22
	; wave barrier
	v_and_b32_e32 v20, exec_lo, v20
	s_delay_alu instid0(VALU_DEP_1) | instskip(SKIP_1) | instid1(VALU_DEP_2)
	v_mbcnt_lo_u32_b32 v104, v20, 0
	v_cmp_ne_u32_e64 s17, 0, v20
	v_cmp_eq_u32_e32 vcc_lo, 0, v104
	s_delay_alu instid0(VALU_DEP_2) | instskip(NEXT) | instid1(SALU_CYCLE_1)
	s_and_b32 s18, s17, vcc_lo
	s_and_saveexec_b32 s17, s18
	s_cbranch_execz .LBB1672_598
; %bb.597:                              ;   in Loop: Header=BB1672_574 Depth=2
	s_waitcnt lgkmcnt(0)
	v_bcnt_u32_b32 v20, v20, v103
	ds_store_b32 v105, v20
.LBB1672_598:                           ;   in Loop: Header=BB1672_574 Depth=2
	s_or_b32 exec_lo, exec_lo, s17
	v_and_b32_e32 v20, 0xff, v95
	; wave barrier
	s_delay_alu instid0(VALU_DEP_1) | instskip(NEXT) | instid1(VALU_DEP_1)
	v_lshrrev_b32_e32 v20, s49, v20
	v_and_b32_e32 v20, s31, v20
	s_delay_alu instid0(VALU_DEP_1) | instskip(NEXT) | instid1(VALU_DEP_1)
	v_add_co_u32 v21, s17, v20, -1
	v_cndmask_b32_e64 v22, 0, 1, s17
	v_mul_u32_u24_e32 v20, 9, v20
	s_delay_alu instid0(VALU_DEP_2) | instskip(NEXT) | instid1(VALU_DEP_2)
	v_cmp_ne_u32_e32 vcc_lo, 0, v22
	v_add_lshl_u32 v22, v20, v82, 2
	v_xor_b32_e32 v20, vcc_lo, v21
	ds_load_b32 v106, v22 offset:1056
	v_add_nc_u32_e32 v109, 0x420, v22
	; wave barrier
	v_and_b32_e32 v20, exec_lo, v20
	s_delay_alu instid0(VALU_DEP_1) | instskip(SKIP_1) | instid1(VALU_DEP_2)
	v_mbcnt_lo_u32_b32 v107, v20, 0
	v_cmp_ne_u32_e64 s17, 0, v20
	v_cmp_eq_u32_e32 vcc_lo, 0, v107
	s_delay_alu instid0(VALU_DEP_2) | instskip(NEXT) | instid1(SALU_CYCLE_1)
	s_and_b32 s18, s17, vcc_lo
	s_and_saveexec_b32 s17, s18
	s_cbranch_execz .LBB1672_600
; %bb.599:                              ;   in Loop: Header=BB1672_574 Depth=2
	s_waitcnt lgkmcnt(0)
	v_bcnt_u32_b32 v20, v20, v106
	ds_store_b32 v109, v20
.LBB1672_600:                           ;   in Loop: Header=BB1672_574 Depth=2
	;; [unrolled: 31-line block ×7, first 2 shown]
	s_or_b32 exec_lo, exec_lo, s17
	; wave barrier
	s_waitcnt lgkmcnt(0)
	s_barrier
	buffer_gl0_inv
	ds_load_b32 v124, v46 offset:1056
	ds_load_2addr_b32 v[26:27], v47 offset0:1 offset1:2
	ds_load_2addr_b32 v[24:25], v47 offset0:3 offset1:4
	;; [unrolled: 1-line block ×4, first 2 shown]
	s_waitcnt lgkmcnt(3)
	v_add3_u32 v125, v26, v124, v27
	s_waitcnt lgkmcnt(2)
	s_delay_alu instid0(VALU_DEP_1) | instskip(SKIP_1) | instid1(VALU_DEP_1)
	v_add3_u32 v125, v125, v24, v25
	s_waitcnt lgkmcnt(1)
	v_add3_u32 v125, v125, v20, v21
	s_waitcnt lgkmcnt(0)
	s_delay_alu instid0(VALU_DEP_1) | instskip(NEXT) | instid1(VALU_DEP_1)
	v_add3_u32 v23, v125, v22, v23
	v_mov_b32_dpp v125, v23 row_shr:1 row_mask:0xf bank_mask:0xf
	s_delay_alu instid0(VALU_DEP_1) | instskip(NEXT) | instid1(VALU_DEP_1)
	v_cndmask_b32_e64 v125, v125, 0, s0
	v_add_nc_u32_e32 v23, v125, v23
	s_delay_alu instid0(VALU_DEP_1) | instskip(NEXT) | instid1(VALU_DEP_1)
	v_mov_b32_dpp v125, v23 row_shr:2 row_mask:0xf bank_mask:0xf
	v_cndmask_b32_e64 v125, 0, v125, s1
	s_delay_alu instid0(VALU_DEP_1) | instskip(NEXT) | instid1(VALU_DEP_1)
	v_add_nc_u32_e32 v23, v23, v125
	v_mov_b32_dpp v125, v23 row_shr:4 row_mask:0xf bank_mask:0xf
	s_delay_alu instid0(VALU_DEP_1) | instskip(NEXT) | instid1(VALU_DEP_1)
	v_cndmask_b32_e64 v125, 0, v125, s8
	v_add_nc_u32_e32 v23, v23, v125
	s_delay_alu instid0(VALU_DEP_1) | instskip(NEXT) | instid1(VALU_DEP_1)
	v_mov_b32_dpp v125, v23 row_shr:8 row_mask:0xf bank_mask:0xf
	v_cndmask_b32_e64 v125, 0, v125, s9
	s_delay_alu instid0(VALU_DEP_1) | instskip(SKIP_3) | instid1(VALU_DEP_1)
	v_add_nc_u32_e32 v23, v23, v125
	ds_swizzle_b32 v125, v23 offset:swizzle(BROADCAST,32,15)
	s_waitcnt lgkmcnt(0)
	v_cndmask_b32_e64 v125, v125, 0, s10
	v_add_nc_u32_e32 v23, v23, v125
	s_and_saveexec_b32 s17, s3
	s_cbranch_execz .LBB1672_612
; %bb.611:                              ;   in Loop: Header=BB1672_574 Depth=2
	ds_store_b32 v38, v23 offset:1024
.LBB1672_612:                           ;   in Loop: Header=BB1672_574 Depth=2
	s_or_b32 exec_lo, exec_lo, s17
	s_waitcnt lgkmcnt(0)
	s_barrier
	buffer_gl0_inv
	s_and_saveexec_b32 s17, s4
	s_cbranch_execz .LBB1672_614
; %bb.613:                              ;   in Loop: Header=BB1672_574 Depth=2
	v_add_nc_u32_e32 v125, v46, v48
	ds_load_b32 v126, v125 offset:1024
	s_waitcnt lgkmcnt(0)
	v_mov_b32_dpp v127, v126 row_shr:1 row_mask:0xf bank_mask:0xf
	s_delay_alu instid0(VALU_DEP_1) | instskip(NEXT) | instid1(VALU_DEP_1)
	v_cndmask_b32_e64 v127, v127, 0, s12
	v_add_nc_u32_e32 v126, v127, v126
	s_delay_alu instid0(VALU_DEP_1) | instskip(NEXT) | instid1(VALU_DEP_1)
	v_mov_b32_dpp v127, v126 row_shr:2 row_mask:0xf bank_mask:0xf
	v_cndmask_b32_e64 v127, 0, v127, s13
	s_delay_alu instid0(VALU_DEP_1) | instskip(NEXT) | instid1(VALU_DEP_1)
	v_add_nc_u32_e32 v126, v126, v127
	v_mov_b32_dpp v127, v126 row_shr:4 row_mask:0xf bank_mask:0xf
	s_delay_alu instid0(VALU_DEP_1) | instskip(NEXT) | instid1(VALU_DEP_1)
	v_cndmask_b32_e64 v127, 0, v127, s16
	v_add_nc_u32_e32 v126, v126, v127
	ds_store_b32 v125, v126 offset:1024
.LBB1672_614:                           ;   in Loop: Header=BB1672_574 Depth=2
	s_or_b32 exec_lo, exec_lo, s17
	v_mov_b32_e32 v125, 0
	s_waitcnt lgkmcnt(0)
	s_barrier
	buffer_gl0_inv
	s_and_saveexec_b32 s17, s5
	s_cbranch_execz .LBB1672_616
; %bb.615:                              ;   in Loop: Header=BB1672_574 Depth=2
	ds_load_b32 v125, v38 offset:1020
.LBB1672_616:                           ;   in Loop: Header=BB1672_574 Depth=2
	s_or_b32 exec_lo, exec_lo, s17
	s_waitcnt lgkmcnt(0)
	v_add_nc_u32_e32 v23, v125, v23
	ds_bpermute_b32 v23, v69, v23
	s_waitcnt lgkmcnt(0)
	v_cndmask_b32_e64 v23, v23, v125, s11
	s_delay_alu instid0(VALU_DEP_1) | instskip(NEXT) | instid1(VALU_DEP_1)
	v_cndmask_b32_e64 v23, v23, 0, s6
	v_add_nc_u32_e32 v124, v23, v124
	s_delay_alu instid0(VALU_DEP_1) | instskip(NEXT) | instid1(VALU_DEP_1)
	v_add_nc_u32_e32 v26, v124, v26
	v_add_nc_u32_e32 v27, v26, v27
	s_delay_alu instid0(VALU_DEP_1) | instskip(NEXT) | instid1(VALU_DEP_1)
	v_add_nc_u32_e32 v24, v27, v24
	;; [unrolled: 3-line block ×3, first 2 shown]
	v_add_nc_u32_e32 v21, v20, v21
	s_delay_alu instid0(VALU_DEP_1)
	v_add_nc_u32_e32 v22, v21, v22
	ds_store_b32 v46, v23 offset:1056
	ds_store_2addr_b32 v47, v124, v26 offset0:1 offset1:2
	ds_store_2addr_b32 v47, v27, v24 offset0:3 offset1:4
	ds_store_2addr_b32 v47, v25, v20 offset0:5 offset1:6
	ds_store_2addr_b32 v47, v21, v22 offset0:7 offset1:8
	v_mov_b32_e32 v22, 0x800
	s_waitcnt lgkmcnt(0)
	s_barrier
	buffer_gl0_inv
	ds_load_b32 v20, v105
	ds_load_b32 v21, v109
	;; [unrolled: 1-line block ×8, first 2 shown]
	ds_load_b32 v27, v46 offset:1056
	s_and_saveexec_b32 s17, s7
	s_cbranch_execz .LBB1672_618
; %bb.617:                              ;   in Loop: Header=BB1672_574 Depth=2
	ds_load_b32 v22, v49 offset:1056
.LBB1672_618:                           ;   in Loop: Header=BB1672_574 Depth=2
	s_or_b32 exec_lo, exec_lo, s17
	s_waitcnt lgkmcnt(0)
	s_barrier
	buffer_gl0_inv
	s_and_saveexec_b32 s17, s2
	s_cbranch_execz .LBB1672_620
; %bb.619:                              ;   in Loop: Header=BB1672_574 Depth=2
	ds_load_b32 v102, v28
	s_waitcnt lgkmcnt(0)
	v_sub_nc_u32_e32 v27, v102, v27
	ds_store_b32 v28, v27
.LBB1672_620:                           ;   in Loop: Header=BB1672_574 Depth=2
	s_or_b32 exec_lo, exec_lo, s17
	v_add_nc_u32_e32 v105, v26, v101
	v_add3_u32 v102, v104, v103, v20
	v_add3_u32 v101, v107, v106, v21
	;; [unrolled: 1-line block ×7, first 2 shown]
	v_cmp_lt_u32_e64 s23, v1, v2
	ds_store_b8 v105, v93 offset:1024
	ds_store_b8 v102, v94 offset:1024
	;; [unrolled: 1-line block ×8, first 2 shown]
	s_waitcnt lgkmcnt(0)
	s_barrier
	buffer_gl0_inv
	s_and_saveexec_b32 s17, s23
	s_cbranch_execz .LBB1672_628
; %bb.621:                              ;   in Loop: Header=BB1672_574 Depth=2
	ds_load_u8 v20, v1 offset:1024
	s_waitcnt lgkmcnt(0)
	v_and_b32_e32 v21, 1, v20
	s_delay_alu instid0(VALU_DEP_1) | instskip(NEXT) | instid1(VALU_DEP_1)
	v_lshrrev_b32_e32 v21, s49, v21
	v_and_b32_e32 v21, s31, v21
	s_delay_alu instid0(VALU_DEP_1)
	v_lshlrev_b32_e32 v21, 2, v21
	ds_load_b32 v21, v21
	s_waitcnt lgkmcnt(0)
	v_add_nc_u32_e32 v21, v21, v1
	global_store_b8 v21, v20, s[40:41]
	s_or_b32 exec_lo, exec_lo, s17
	v_cmp_lt_u32_e64 s22, v29, v2
	s_delay_alu instid0(VALU_DEP_1)
	s_and_saveexec_b32 s17, s22
	s_cbranch_execnz .LBB1672_629
.LBB1672_622:                           ;   in Loop: Header=BB1672_574 Depth=2
	s_or_b32 exec_lo, exec_lo, s17
	v_cmp_lt_u32_e64 s21, v30, v2
	s_delay_alu instid0(VALU_DEP_1)
	s_and_saveexec_b32 s17, s21
	s_cbranch_execz .LBB1672_630
.LBB1672_623:                           ;   in Loop: Header=BB1672_574 Depth=2
	ds_load_u8 v20, v35 offset:512
	s_waitcnt lgkmcnt(0)
	v_and_b32_e32 v21, 1, v20
	s_delay_alu instid0(VALU_DEP_1) | instskip(NEXT) | instid1(VALU_DEP_1)
	v_lshrrev_b32_e32 v21, s49, v21
	v_and_b32_e32 v21, s31, v21
	s_delay_alu instid0(VALU_DEP_1)
	v_lshlrev_b32_e32 v21, 2, v21
	ds_load_b32 v21, v21
	s_waitcnt lgkmcnt(0)
	v_add_nc_u32_e32 v21, v21, v30
	global_store_b8 v21, v20, s[40:41]
	s_or_b32 exec_lo, exec_lo, s17
	v_cmp_lt_u32_e64 s20, v31, v2
	s_delay_alu instid0(VALU_DEP_1)
	s_and_saveexec_b32 s17, s20
	s_cbranch_execnz .LBB1672_631
.LBB1672_624:                           ;   in Loop: Header=BB1672_574 Depth=2
	s_or_b32 exec_lo, exec_lo, s17
	v_cmp_lt_u32_e64 s19, v35, v2
	s_delay_alu instid0(VALU_DEP_1)
	s_and_saveexec_b32 s17, s19
	s_cbranch_execz .LBB1672_632
.LBB1672_625:                           ;   in Loop: Header=BB1672_574 Depth=2
	ds_load_u8 v20, v35 offset:1024
	s_waitcnt lgkmcnt(0)
	v_and_b32_e32 v21, 1, v20
	s_delay_alu instid0(VALU_DEP_1) | instskip(NEXT) | instid1(VALU_DEP_1)
	v_lshrrev_b32_e32 v21, s49, v21
	v_and_b32_e32 v21, s31, v21
	s_delay_alu instid0(VALU_DEP_1)
	v_lshlrev_b32_e32 v21, 2, v21
	ds_load_b32 v21, v21
	s_waitcnt lgkmcnt(0)
	v_add_nc_u32_e32 v21, v21, v35
	global_store_b8 v21, v20, s[40:41]
	s_or_b32 exec_lo, exec_lo, s17
	v_cmp_lt_u32_e64 s18, v36, v2
	s_delay_alu instid0(VALU_DEP_1)
	s_and_saveexec_b32 s17, s18
	s_cbranch_execnz .LBB1672_633
.LBB1672_626:                           ;   in Loop: Header=BB1672_574 Depth=2
	s_or_b32 exec_lo, exec_lo, s17
	v_cmp_lt_u32_e64 s17, v37, v2
	s_delay_alu instid0(VALU_DEP_1)
	s_and_saveexec_b32 s43, s17
	s_cbranch_execz .LBB1672_634
.LBB1672_627:                           ;   in Loop: Header=BB1672_574 Depth=2
	ds_load_u8 v20, v35 offset:1536
	s_waitcnt lgkmcnt(0)
	v_and_b32_e32 v21, 1, v20
	s_delay_alu instid0(VALU_DEP_1) | instskip(NEXT) | instid1(VALU_DEP_1)
	v_lshrrev_b32_e32 v21, s49, v21
	v_and_b32_e32 v21, s31, v21
	s_delay_alu instid0(VALU_DEP_1)
	v_lshlrev_b32_e32 v21, 2, v21
	ds_load_b32 v21, v21
	s_waitcnt lgkmcnt(0)
	v_add_nc_u32_e32 v21, v21, v37
	global_store_b8 v21, v20, s[40:41]
	s_or_b32 exec_lo, exec_lo, s43
	v_cmp_lt_u32_e32 vcc_lo, v39, v2
	s_and_saveexec_b32 s43, vcc_lo
	s_cbranch_execnz .LBB1672_635
	s_branch .LBB1672_636
.LBB1672_628:                           ;   in Loop: Header=BB1672_574 Depth=2
	s_or_b32 exec_lo, exec_lo, s17
	v_cmp_lt_u32_e64 s22, v29, v2
	s_delay_alu instid0(VALU_DEP_1)
	s_and_saveexec_b32 s17, s22
	s_cbranch_execz .LBB1672_622
.LBB1672_629:                           ;   in Loop: Header=BB1672_574 Depth=2
	ds_load_u8 v20, v35 offset:256
	s_waitcnt lgkmcnt(0)
	v_and_b32_e32 v21, 1, v20
	s_delay_alu instid0(VALU_DEP_1) | instskip(NEXT) | instid1(VALU_DEP_1)
	v_lshrrev_b32_e32 v21, s49, v21
	v_and_b32_e32 v21, s31, v21
	s_delay_alu instid0(VALU_DEP_1)
	v_lshlrev_b32_e32 v21, 2, v21
	ds_load_b32 v21, v21
	s_waitcnt lgkmcnt(0)
	v_add_nc_u32_e32 v21, v21, v29
	global_store_b8 v21, v20, s[40:41]
	s_or_b32 exec_lo, exec_lo, s17
	v_cmp_lt_u32_e64 s21, v30, v2
	s_delay_alu instid0(VALU_DEP_1)
	s_and_saveexec_b32 s17, s21
	s_cbranch_execnz .LBB1672_623
.LBB1672_630:                           ;   in Loop: Header=BB1672_574 Depth=2
	s_or_b32 exec_lo, exec_lo, s17
	v_cmp_lt_u32_e64 s20, v31, v2
	s_delay_alu instid0(VALU_DEP_1)
	s_and_saveexec_b32 s17, s20
	s_cbranch_execz .LBB1672_624
.LBB1672_631:                           ;   in Loop: Header=BB1672_574 Depth=2
	ds_load_u8 v20, v35 offset:768
	s_waitcnt lgkmcnt(0)
	v_and_b32_e32 v21, 1, v20
	s_delay_alu instid0(VALU_DEP_1) | instskip(NEXT) | instid1(VALU_DEP_1)
	v_lshrrev_b32_e32 v21, s49, v21
	v_and_b32_e32 v21, s31, v21
	s_delay_alu instid0(VALU_DEP_1)
	v_lshlrev_b32_e32 v21, 2, v21
	ds_load_b32 v21, v21
	s_waitcnt lgkmcnt(0)
	v_add_nc_u32_e32 v21, v21, v31
	global_store_b8 v21, v20, s[40:41]
	s_or_b32 exec_lo, exec_lo, s17
	v_cmp_lt_u32_e64 s19, v35, v2
	s_delay_alu instid0(VALU_DEP_1)
	s_and_saveexec_b32 s17, s19
	s_cbranch_execnz .LBB1672_625
.LBB1672_632:                           ;   in Loop: Header=BB1672_574 Depth=2
	s_or_b32 exec_lo, exec_lo, s17
	v_cmp_lt_u32_e64 s18, v36, v2
	s_delay_alu instid0(VALU_DEP_1)
	s_and_saveexec_b32 s17, s18
	s_cbranch_execz .LBB1672_626
.LBB1672_633:                           ;   in Loop: Header=BB1672_574 Depth=2
	ds_load_u8 v20, v35 offset:1280
	s_waitcnt lgkmcnt(0)
	v_and_b32_e32 v21, 1, v20
	s_delay_alu instid0(VALU_DEP_1) | instskip(NEXT) | instid1(VALU_DEP_1)
	v_lshrrev_b32_e32 v21, s49, v21
	v_and_b32_e32 v21, s31, v21
	s_delay_alu instid0(VALU_DEP_1)
	v_lshlrev_b32_e32 v21, 2, v21
	ds_load_b32 v21, v21
	s_waitcnt lgkmcnt(0)
	v_add_nc_u32_e32 v21, v21, v36
	global_store_b8 v21, v20, s[40:41]
	s_or_b32 exec_lo, exec_lo, s17
	v_cmp_lt_u32_e64 s17, v37, v2
	s_delay_alu instid0(VALU_DEP_1)
	s_and_saveexec_b32 s43, s17
	s_cbranch_execnz .LBB1672_627
.LBB1672_634:                           ;   in Loop: Header=BB1672_574 Depth=2
	s_or_b32 exec_lo, exec_lo, s43
	v_cmp_lt_u32_e32 vcc_lo, v39, v2
	s_and_saveexec_b32 s43, vcc_lo
	s_cbranch_execz .LBB1672_636
.LBB1672_635:                           ;   in Loop: Header=BB1672_574 Depth=2
	ds_load_u8 v20, v35 offset:1792
	s_waitcnt lgkmcnt(0)
	v_and_b32_e32 v21, 1, v20
	s_delay_alu instid0(VALU_DEP_1) | instskip(NEXT) | instid1(VALU_DEP_1)
	v_lshrrev_b32_e32 v21, s49, v21
	v_and_b32_e32 v21, s31, v21
	s_delay_alu instid0(VALU_DEP_1)
	v_lshlrev_b32_e32 v21, 2, v21
	ds_load_b32 v21, v21
	s_waitcnt lgkmcnt(0)
	v_add_nc_u32_e32 v21, v21, v39
	global_store_b8 v21, v20, s[40:41]
.LBB1672_636:                           ;   in Loop: Header=BB1672_574 Depth=2
	s_or_b32 exec_lo, exec_lo, s43
	s_lshl_b64 s[52:53], s[24:25], 3
	s_delay_alu instid0(SALU_CYCLE_1) | instskip(NEXT) | instid1(VALU_DEP_1)
	v_add_co_u32 v20, s24, v73, s52
	v_add_co_ci_u32_e64 v21, s24, s53, v74, s24
	v_cmp_lt_u32_e64 s24, v70, v2
	s_delay_alu instid0(VALU_DEP_1) | instskip(NEXT) | instid1(SALU_CYCLE_1)
	s_and_saveexec_b32 s43, s24
	s_xor_b32 s24, exec_lo, s43
	s_cbranch_execz .LBB1672_652
; %bb.637:                              ;   in Loop: Header=BB1672_574 Depth=2
	global_load_b64 v[18:19], v[20:21], off
	s_or_b32 exec_lo, exec_lo, s24
	s_delay_alu instid0(SALU_CYCLE_1)
	s_mov_b32 s43, exec_lo
	v_cmpx_lt_u32_e64 v75, v2
	s_cbranch_execnz .LBB1672_653
.LBB1672_638:                           ;   in Loop: Header=BB1672_574 Depth=2
	s_or_b32 exec_lo, exec_lo, s43
	s_delay_alu instid0(SALU_CYCLE_1)
	s_mov_b32 s43, exec_lo
	v_cmpx_lt_u32_e64 v76, v2
	s_cbranch_execz .LBB1672_654
.LBB1672_639:                           ;   in Loop: Header=BB1672_574 Depth=2
	global_load_b64 v[14:15], v[20:21], off offset:512
	s_or_b32 exec_lo, exec_lo, s43
	s_delay_alu instid0(SALU_CYCLE_1)
	s_mov_b32 s43, exec_lo
	v_cmpx_lt_u32_e64 v77, v2
	s_cbranch_execnz .LBB1672_655
.LBB1672_640:                           ;   in Loop: Header=BB1672_574 Depth=2
	s_or_b32 exec_lo, exec_lo, s43
	s_delay_alu instid0(SALU_CYCLE_1)
	s_mov_b32 s43, exec_lo
	v_cmpx_lt_u32_e64 v78, v2
	s_cbranch_execz .LBB1672_656
.LBB1672_641:                           ;   in Loop: Header=BB1672_574 Depth=2
	global_load_b64 v[10:11], v[20:21], off offset:1024
	s_or_b32 exec_lo, exec_lo, s43
	s_delay_alu instid0(SALU_CYCLE_1)
	s_mov_b32 s43, exec_lo
	v_cmpx_lt_u32_e64 v79, v2
	s_cbranch_execnz .LBB1672_657
.LBB1672_642:                           ;   in Loop: Header=BB1672_574 Depth=2
	s_or_b32 exec_lo, exec_lo, s43
	s_delay_alu instid0(SALU_CYCLE_1)
	s_mov_b32 s43, exec_lo
	v_cmpx_lt_u32_e64 v80, v2
	s_cbranch_execz .LBB1672_658
.LBB1672_643:                           ;   in Loop: Header=BB1672_574 Depth=2
	global_load_b64 v[6:7], v[20:21], off offset:1536
	s_or_b32 exec_lo, exec_lo, s43
	s_delay_alu instid0(SALU_CYCLE_1)
	s_mov_b32 s43, exec_lo
	v_cmpx_lt_u32_e64 v81, v2
	s_cbranch_execnz .LBB1672_659
.LBB1672_644:                           ;   in Loop: Header=BB1672_574 Depth=2
	s_or_b32 exec_lo, exec_lo, s43
	s_and_saveexec_b32 s24, s23
	s_cbranch_execz .LBB1672_660
.LBB1672_645:                           ;   in Loop: Header=BB1672_574 Depth=2
	ds_load_u8 v2, v1 offset:1024
	s_waitcnt lgkmcnt(0)
	v_lshrrev_b32_e32 v2, s49, v2
	s_delay_alu instid0(VALU_DEP_1)
	v_and_b32_e32 v92, s31, v2
	s_or_b32 exec_lo, exec_lo, s24
	s_and_saveexec_b32 s24, s22
	s_cbranch_execnz .LBB1672_661
.LBB1672_646:                           ;   in Loop: Header=BB1672_574 Depth=2
	s_or_b32 exec_lo, exec_lo, s24
	s_and_saveexec_b32 s24, s21
	s_cbranch_execz .LBB1672_662
.LBB1672_647:                           ;   in Loop: Header=BB1672_574 Depth=2
	ds_load_u8 v2, v35 offset:512
	s_waitcnt lgkmcnt(0)
	v_lshrrev_b32_e32 v2, s49, v2
	s_delay_alu instid0(VALU_DEP_1)
	v_and_b32_e32 v90, s31, v2
	s_or_b32 exec_lo, exec_lo, s24
	s_and_saveexec_b32 s24, s20
	s_cbranch_execnz .LBB1672_663
.LBB1672_648:                           ;   in Loop: Header=BB1672_574 Depth=2
	s_or_b32 exec_lo, exec_lo, s24
	s_and_saveexec_b32 s24, s19
	s_cbranch_execz .LBB1672_664
.LBB1672_649:                           ;   in Loop: Header=BB1672_574 Depth=2
	ds_load_u8 v2, v35 offset:1024
	s_waitcnt lgkmcnt(0)
	v_lshrrev_b32_e32 v2, s49, v2
	s_delay_alu instid0(VALU_DEP_1)
	v_and_b32_e32 v88, s31, v2
	s_or_b32 exec_lo, exec_lo, s24
	s_and_saveexec_b32 s24, s18
	s_cbranch_execnz .LBB1672_665
.LBB1672_650:                           ;   in Loop: Header=BB1672_574 Depth=2
	s_or_b32 exec_lo, exec_lo, s24
	s_and_saveexec_b32 s24, s17
	s_cbranch_execz .LBB1672_666
.LBB1672_651:                           ;   in Loop: Header=BB1672_574 Depth=2
	ds_load_u8 v2, v35 offset:1536
	s_waitcnt lgkmcnt(0)
	v_lshrrev_b32_e32 v2, s49, v2
	s_delay_alu instid0(VALU_DEP_1)
	v_and_b32_e32 v86, s31, v2
	s_or_b32 exec_lo, exec_lo, s24
	s_and_saveexec_b32 s24, vcc_lo
	s_cbranch_execnz .LBB1672_667
	s_branch .LBB1672_668
.LBB1672_652:                           ;   in Loop: Header=BB1672_574 Depth=2
	s_or_b32 exec_lo, exec_lo, s24
	s_delay_alu instid0(SALU_CYCLE_1)
	s_mov_b32 s43, exec_lo
	v_cmpx_lt_u32_e64 v75, v2
	s_cbranch_execz .LBB1672_638
.LBB1672_653:                           ;   in Loop: Header=BB1672_574 Depth=2
	global_load_b64 v[16:17], v[20:21], off offset:256
	s_or_b32 exec_lo, exec_lo, s43
	s_delay_alu instid0(SALU_CYCLE_1)
	s_mov_b32 s43, exec_lo
	v_cmpx_lt_u32_e64 v76, v2
	s_cbranch_execnz .LBB1672_639
.LBB1672_654:                           ;   in Loop: Header=BB1672_574 Depth=2
	s_or_b32 exec_lo, exec_lo, s43
	s_delay_alu instid0(SALU_CYCLE_1)
	s_mov_b32 s43, exec_lo
	v_cmpx_lt_u32_e64 v77, v2
	s_cbranch_execz .LBB1672_640
.LBB1672_655:                           ;   in Loop: Header=BB1672_574 Depth=2
	global_load_b64 v[12:13], v[20:21], off offset:768
	s_or_b32 exec_lo, exec_lo, s43
	s_delay_alu instid0(SALU_CYCLE_1)
	s_mov_b32 s43, exec_lo
	v_cmpx_lt_u32_e64 v78, v2
	s_cbranch_execnz .LBB1672_641
.LBB1672_656:                           ;   in Loop: Header=BB1672_574 Depth=2
	s_or_b32 exec_lo, exec_lo, s43
	s_delay_alu instid0(SALU_CYCLE_1)
	s_mov_b32 s43, exec_lo
	v_cmpx_lt_u32_e64 v79, v2
	s_cbranch_execz .LBB1672_642
.LBB1672_657:                           ;   in Loop: Header=BB1672_574 Depth=2
	global_load_b64 v[8:9], v[20:21], off offset:1280
	s_or_b32 exec_lo, exec_lo, s43
	s_delay_alu instid0(SALU_CYCLE_1)
	s_mov_b32 s43, exec_lo
	v_cmpx_lt_u32_e64 v80, v2
	s_cbranch_execnz .LBB1672_643
.LBB1672_658:                           ;   in Loop: Header=BB1672_574 Depth=2
	s_or_b32 exec_lo, exec_lo, s43
	s_delay_alu instid0(SALU_CYCLE_1)
	s_mov_b32 s43, exec_lo
	v_cmpx_lt_u32_e64 v81, v2
	s_cbranch_execz .LBB1672_644
.LBB1672_659:                           ;   in Loop: Header=BB1672_574 Depth=2
	global_load_b64 v[4:5], v[20:21], off offset:1792
	s_or_b32 exec_lo, exec_lo, s43
	s_and_saveexec_b32 s24, s23
	s_cbranch_execnz .LBB1672_645
.LBB1672_660:                           ;   in Loop: Header=BB1672_574 Depth=2
	s_or_b32 exec_lo, exec_lo, s24
	s_and_saveexec_b32 s24, s22
	s_cbranch_execz .LBB1672_646
.LBB1672_661:                           ;   in Loop: Header=BB1672_574 Depth=2
	ds_load_u8 v2, v35 offset:256
	s_waitcnt lgkmcnt(0)
	v_lshrrev_b32_e32 v2, s49, v2
	s_delay_alu instid0(VALU_DEP_1)
	v_and_b32_e32 v91, s31, v2
	s_or_b32 exec_lo, exec_lo, s24
	s_and_saveexec_b32 s24, s21
	s_cbranch_execnz .LBB1672_647
.LBB1672_662:                           ;   in Loop: Header=BB1672_574 Depth=2
	s_or_b32 exec_lo, exec_lo, s24
	s_and_saveexec_b32 s24, s20
	s_cbranch_execz .LBB1672_648
.LBB1672_663:                           ;   in Loop: Header=BB1672_574 Depth=2
	ds_load_u8 v2, v35 offset:768
	s_waitcnt lgkmcnt(0)
	v_lshrrev_b32_e32 v2, s49, v2
	s_delay_alu instid0(VALU_DEP_1)
	v_and_b32_e32 v89, s31, v2
	s_or_b32 exec_lo, exec_lo, s24
	s_and_saveexec_b32 s24, s19
	s_cbranch_execnz .LBB1672_649
.LBB1672_664:                           ;   in Loop: Header=BB1672_574 Depth=2
	s_or_b32 exec_lo, exec_lo, s24
	s_and_saveexec_b32 s24, s18
	s_cbranch_execz .LBB1672_650
.LBB1672_665:                           ;   in Loop: Header=BB1672_574 Depth=2
	ds_load_u8 v2, v35 offset:1280
	s_waitcnt lgkmcnt(0)
	v_lshrrev_b32_e32 v2, s49, v2
	s_delay_alu instid0(VALU_DEP_1)
	v_and_b32_e32 v87, s31, v2
	s_or_b32 exec_lo, exec_lo, s24
	s_and_saveexec_b32 s24, s17
	s_cbranch_execnz .LBB1672_651
.LBB1672_666:                           ;   in Loop: Header=BB1672_574 Depth=2
	s_or_b32 exec_lo, exec_lo, s24
	s_and_saveexec_b32 s24, vcc_lo
	s_cbranch_execz .LBB1672_668
.LBB1672_667:                           ;   in Loop: Header=BB1672_574 Depth=2
	ds_load_u8 v2, v35 offset:1792
	s_waitcnt lgkmcnt(0)
	v_lshrrev_b32_e32 v2, s49, v2
	s_delay_alu instid0(VALU_DEP_1)
	v_and_b32_e32 v85, s31, v2
.LBB1672_668:                           ;   in Loop: Header=BB1672_574 Depth=2
	s_or_b32 exec_lo, exec_lo, s24
	v_lshlrev_b32_e32 v2, 3, v105
	v_lshlrev_b32_e32 v20, 3, v102
	;; [unrolled: 1-line block ×3, first 2 shown]
	s_waitcnt vmcnt(0)
	s_waitcnt_vscnt null, 0x0
	s_barrier
	buffer_gl0_inv
	ds_store_b64 v2, v[18:19] offset:1024
	ds_store_b64 v20, v[16:17] offset:1024
	;; [unrolled: 1-line block ×3, first 2 shown]
	v_lshlrev_b32_e32 v2, 3, v27
	v_lshlrev_b32_e32 v20, 3, v26
	;; [unrolled: 1-line block ×5, first 2 shown]
	ds_store_b64 v2, v[12:13] offset:1024
	ds_store_b64 v20, v[10:11] offset:1024
	;; [unrolled: 1-line block ×5, first 2 shown]
	s_waitcnt lgkmcnt(0)
	s_barrier
	buffer_gl0_inv
	s_and_saveexec_b32 s24, s23
	s_cbranch_execz .LBB1672_676
; %bb.669:                              ;   in Loop: Header=BB1672_574 Depth=2
	v_lshlrev_b32_e32 v2, 2, v92
	v_add_nc_u32_e32 v20, v1, v52
	ds_load_b32 v2, v2
	ds_load_b64 v[20:21], v20 offset:1024
	s_waitcnt lgkmcnt(1)
	v_add_nc_u32_e32 v2, v2, v1
	s_delay_alu instid0(VALU_DEP_1) | instskip(NEXT) | instid1(VALU_DEP_1)
	v_lshlrev_b64 v[23:24], 3, v[2:3]
	v_add_co_u32 v23, s23, s46, v23
	s_delay_alu instid0(VALU_DEP_1)
	v_add_co_ci_u32_e64 v24, s23, s47, v24, s23
	s_waitcnt lgkmcnt(0)
	global_store_b64 v[23:24], v[20:21], off
	s_or_b32 exec_lo, exec_lo, s24
	v_add_nc_u32_e32 v20, v35, v52
	s_and_saveexec_b32 s23, s22
	s_cbranch_execnz .LBB1672_677
.LBB1672_670:                           ;   in Loop: Header=BB1672_574 Depth=2
	s_or_b32 exec_lo, exec_lo, s23
	s_and_saveexec_b32 s22, s21
	s_cbranch_execz .LBB1672_678
.LBB1672_671:                           ;   in Loop: Header=BB1672_574 Depth=2
	v_lshlrev_b32_e32 v2, 2, v90
	ds_load_b32 v2, v2
	ds_load_b64 v[23:24], v20 offset:4096
	s_waitcnt lgkmcnt(1)
	v_add_nc_u32_e32 v2, v2, v30
	s_delay_alu instid0(VALU_DEP_1) | instskip(NEXT) | instid1(VALU_DEP_1)
	v_lshlrev_b64 v[25:26], 3, v[2:3]
	v_add_co_u32 v25, s21, s46, v25
	s_delay_alu instid0(VALU_DEP_1)
	v_add_co_ci_u32_e64 v26, s21, s47, v26, s21
	s_waitcnt lgkmcnt(0)
	global_store_b64 v[25:26], v[23:24], off
	s_or_b32 exec_lo, exec_lo, s22
	s_and_saveexec_b32 s21, s20
	s_cbranch_execnz .LBB1672_679
.LBB1672_672:                           ;   in Loop: Header=BB1672_574 Depth=2
	s_or_b32 exec_lo, exec_lo, s21
	s_and_saveexec_b32 s20, s19
	s_cbranch_execz .LBB1672_680
.LBB1672_673:                           ;   in Loop: Header=BB1672_574 Depth=2
	v_lshlrev_b32_e32 v2, 2, v88
	ds_load_b32 v2, v2
	ds_load_b64 v[23:24], v20 offset:8192
	s_waitcnt lgkmcnt(1)
	v_add_nc_u32_e32 v2, v2, v35
	s_delay_alu instid0(VALU_DEP_1) | instskip(NEXT) | instid1(VALU_DEP_1)
	v_lshlrev_b64 v[25:26], 3, v[2:3]
	v_add_co_u32 v25, s19, s46, v25
	s_delay_alu instid0(VALU_DEP_1)
	v_add_co_ci_u32_e64 v26, s19, s47, v26, s19
	s_waitcnt lgkmcnt(0)
	global_store_b64 v[25:26], v[23:24], off
	s_or_b32 exec_lo, exec_lo, s20
	s_and_saveexec_b32 s19, s18
	s_cbranch_execnz .LBB1672_681
.LBB1672_674:                           ;   in Loop: Header=BB1672_574 Depth=2
	s_or_b32 exec_lo, exec_lo, s19
	s_and_saveexec_b32 s18, s17
	s_cbranch_execz .LBB1672_682
.LBB1672_675:                           ;   in Loop: Header=BB1672_574 Depth=2
	v_lshlrev_b32_e32 v2, 2, v86
	ds_load_b32 v2, v2
	ds_load_b64 v[23:24], v20 offset:12288
	s_waitcnt lgkmcnt(1)
	v_add_nc_u32_e32 v2, v2, v37
	s_delay_alu instid0(VALU_DEP_1) | instskip(NEXT) | instid1(VALU_DEP_1)
	v_lshlrev_b64 v[25:26], 3, v[2:3]
	v_add_co_u32 v25, s17, s46, v25
	s_delay_alu instid0(VALU_DEP_1)
	v_add_co_ci_u32_e64 v26, s17, s47, v26, s17
	s_waitcnt lgkmcnt(0)
	global_store_b64 v[25:26], v[23:24], off
	s_or_b32 exec_lo, exec_lo, s18
	s_and_saveexec_b32 s17, vcc_lo
	s_cbranch_execnz .LBB1672_683
	s_branch .LBB1672_684
.LBB1672_676:                           ;   in Loop: Header=BB1672_574 Depth=2
	s_or_b32 exec_lo, exec_lo, s24
	v_add_nc_u32_e32 v20, v35, v52
	s_and_saveexec_b32 s23, s22
	s_cbranch_execz .LBB1672_670
.LBB1672_677:                           ;   in Loop: Header=BB1672_574 Depth=2
	v_lshlrev_b32_e32 v2, 2, v91
	ds_load_b32 v2, v2
	ds_load_b64 v[23:24], v20 offset:2048
	s_waitcnt lgkmcnt(1)
	v_add_nc_u32_e32 v2, v2, v29
	s_delay_alu instid0(VALU_DEP_1) | instskip(NEXT) | instid1(VALU_DEP_1)
	v_lshlrev_b64 v[25:26], 3, v[2:3]
	v_add_co_u32 v25, s22, s46, v25
	s_delay_alu instid0(VALU_DEP_1)
	v_add_co_ci_u32_e64 v26, s22, s47, v26, s22
	s_waitcnt lgkmcnt(0)
	global_store_b64 v[25:26], v[23:24], off
	s_or_b32 exec_lo, exec_lo, s23
	s_and_saveexec_b32 s22, s21
	s_cbranch_execnz .LBB1672_671
.LBB1672_678:                           ;   in Loop: Header=BB1672_574 Depth=2
	s_or_b32 exec_lo, exec_lo, s22
	s_and_saveexec_b32 s21, s20
	s_cbranch_execz .LBB1672_672
.LBB1672_679:                           ;   in Loop: Header=BB1672_574 Depth=2
	v_lshlrev_b32_e32 v2, 2, v89
	ds_load_b32 v2, v2
	ds_load_b64 v[23:24], v20 offset:6144
	s_waitcnt lgkmcnt(1)
	v_add_nc_u32_e32 v2, v2, v31
	s_delay_alu instid0(VALU_DEP_1) | instskip(NEXT) | instid1(VALU_DEP_1)
	v_lshlrev_b64 v[25:26], 3, v[2:3]
	v_add_co_u32 v25, s20, s46, v25
	s_delay_alu instid0(VALU_DEP_1)
	v_add_co_ci_u32_e64 v26, s20, s47, v26, s20
	s_waitcnt lgkmcnt(0)
	global_store_b64 v[25:26], v[23:24], off
	s_or_b32 exec_lo, exec_lo, s21
	s_and_saveexec_b32 s20, s19
	s_cbranch_execnz .LBB1672_673
.LBB1672_680:                           ;   in Loop: Header=BB1672_574 Depth=2
	s_or_b32 exec_lo, exec_lo, s20
	s_and_saveexec_b32 s19, s18
	s_cbranch_execz .LBB1672_674
.LBB1672_681:                           ;   in Loop: Header=BB1672_574 Depth=2
	v_lshlrev_b32_e32 v2, 2, v87
	ds_load_b32 v2, v2
	ds_load_b64 v[23:24], v20 offset:10240
	s_waitcnt lgkmcnt(1)
	v_add_nc_u32_e32 v2, v2, v36
	s_delay_alu instid0(VALU_DEP_1) | instskip(NEXT) | instid1(VALU_DEP_1)
	v_lshlrev_b64 v[25:26], 3, v[2:3]
	v_add_co_u32 v25, s18, s46, v25
	s_delay_alu instid0(VALU_DEP_1)
	v_add_co_ci_u32_e64 v26, s18, s47, v26, s18
	s_waitcnt lgkmcnt(0)
	global_store_b64 v[25:26], v[23:24], off
	s_or_b32 exec_lo, exec_lo, s19
	s_and_saveexec_b32 s18, s17
	s_cbranch_execnz .LBB1672_675
.LBB1672_682:                           ;   in Loop: Header=BB1672_574 Depth=2
	s_or_b32 exec_lo, exec_lo, s18
	s_and_saveexec_b32 s17, vcc_lo
	s_cbranch_execz .LBB1672_684
.LBB1672_683:                           ;   in Loop: Header=BB1672_574 Depth=2
	v_lshlrev_b32_e32 v2, 2, v85
	ds_load_b32 v2, v2
	ds_load_b64 v[20:21], v20 offset:14336
	s_waitcnt lgkmcnt(1)
	v_add_nc_u32_e32 v2, v2, v39
	s_delay_alu instid0(VALU_DEP_1) | instskip(NEXT) | instid1(VALU_DEP_1)
	v_lshlrev_b64 v[23:24], 3, v[2:3]
	v_add_co_u32 v23, vcc_lo, s46, v23
	s_delay_alu instid0(VALU_DEP_2)
	v_add_co_ci_u32_e32 v24, vcc_lo, s47, v24, vcc_lo
	s_waitcnt lgkmcnt(0)
	global_store_b64 v[23:24], v[20:21], off
.LBB1672_684:                           ;   in Loop: Header=BB1672_574 Depth=2
	s_or_b32 exec_lo, exec_lo, s17
	s_waitcnt_vscnt null, 0x0
	s_barrier
	buffer_gl0_inv
	s_and_saveexec_b32 s17, s2
	s_cbranch_execz .LBB1672_573
; %bb.685:                              ;   in Loop: Header=BB1672_574 Depth=2
	ds_load_b32 v2, v28
	s_waitcnt lgkmcnt(0)
	v_add_nc_u32_e32 v2, v2, v22
	ds_store_b32 v28, v2
	s_branch .LBB1672_573
.LBB1672_686:
	s_endpgm
	.section	.rodata,"a",@progbits
	.p2align	6, 0x0
	.amdhsa_kernel _ZN7rocprim17ROCPRIM_400000_NS6detail17trampoline_kernelINS0_14default_configENS1_36segmented_radix_sort_config_selectorIblEEZNS1_25segmented_radix_sort_implIS3_Lb0EPKbPbPKlPlN2at6native12_GLOBAL__N_18offset_tEEE10hipError_tPvRmT1_PNSt15iterator_traitsISK_E10value_typeET2_T3_PNSL_ISQ_E10value_typeET4_jRbjT5_SW_jjP12ihipStream_tbEUlT_E2_NS1_11comp_targetILNS1_3genE9ELNS1_11target_archE1100ELNS1_3gpuE3ELNS1_3repE0EEENS1_30default_config_static_selectorELNS0_4arch9wavefront6targetE0EEEvSK_
		.amdhsa_group_segment_fixed_size 17440
		.amdhsa_private_segment_fixed_size 0
		.amdhsa_kernarg_size 336
		.amdhsa_user_sgpr_count 14
		.amdhsa_user_sgpr_dispatch_ptr 0
		.amdhsa_user_sgpr_queue_ptr 0
		.amdhsa_user_sgpr_kernarg_segment_ptr 1
		.amdhsa_user_sgpr_dispatch_id 0
		.amdhsa_user_sgpr_private_segment_size 0
		.amdhsa_wavefront_size32 1
		.amdhsa_uses_dynamic_stack 0
		.amdhsa_enable_private_segment 0
		.amdhsa_system_sgpr_workgroup_id_x 1
		.amdhsa_system_sgpr_workgroup_id_y 1
		.amdhsa_system_sgpr_workgroup_id_z 0
		.amdhsa_system_sgpr_workgroup_info 0
		.amdhsa_system_vgpr_workitem_id 2
		.amdhsa_next_free_vgpr 193
		.amdhsa_next_free_sgpr 54
		.amdhsa_reserve_vcc 1
		.amdhsa_float_round_mode_32 0
		.amdhsa_float_round_mode_16_64 0
		.amdhsa_float_denorm_mode_32 3
		.amdhsa_float_denorm_mode_16_64 3
		.amdhsa_dx10_clamp 1
		.amdhsa_ieee_mode 1
		.amdhsa_fp16_overflow 0
		.amdhsa_workgroup_processor_mode 1
		.amdhsa_memory_ordered 1
		.amdhsa_forward_progress 0
		.amdhsa_shared_vgpr_count 0
		.amdhsa_exception_fp_ieee_invalid_op 0
		.amdhsa_exception_fp_denorm_src 0
		.amdhsa_exception_fp_ieee_div_zero 0
		.amdhsa_exception_fp_ieee_overflow 0
		.amdhsa_exception_fp_ieee_underflow 0
		.amdhsa_exception_fp_ieee_inexact 0
		.amdhsa_exception_int_div_zero 0
	.end_amdhsa_kernel
	.section	.text._ZN7rocprim17ROCPRIM_400000_NS6detail17trampoline_kernelINS0_14default_configENS1_36segmented_radix_sort_config_selectorIblEEZNS1_25segmented_radix_sort_implIS3_Lb0EPKbPbPKlPlN2at6native12_GLOBAL__N_18offset_tEEE10hipError_tPvRmT1_PNSt15iterator_traitsISK_E10value_typeET2_T3_PNSL_ISQ_E10value_typeET4_jRbjT5_SW_jjP12ihipStream_tbEUlT_E2_NS1_11comp_targetILNS1_3genE9ELNS1_11target_archE1100ELNS1_3gpuE3ELNS1_3repE0EEENS1_30default_config_static_selectorELNS0_4arch9wavefront6targetE0EEEvSK_,"axG",@progbits,_ZN7rocprim17ROCPRIM_400000_NS6detail17trampoline_kernelINS0_14default_configENS1_36segmented_radix_sort_config_selectorIblEEZNS1_25segmented_radix_sort_implIS3_Lb0EPKbPbPKlPlN2at6native12_GLOBAL__N_18offset_tEEE10hipError_tPvRmT1_PNSt15iterator_traitsISK_E10value_typeET2_T3_PNSL_ISQ_E10value_typeET4_jRbjT5_SW_jjP12ihipStream_tbEUlT_E2_NS1_11comp_targetILNS1_3genE9ELNS1_11target_archE1100ELNS1_3gpuE3ELNS1_3repE0EEENS1_30default_config_static_selectorELNS0_4arch9wavefront6targetE0EEEvSK_,comdat
.Lfunc_end1672:
	.size	_ZN7rocprim17ROCPRIM_400000_NS6detail17trampoline_kernelINS0_14default_configENS1_36segmented_radix_sort_config_selectorIblEEZNS1_25segmented_radix_sort_implIS3_Lb0EPKbPbPKlPlN2at6native12_GLOBAL__N_18offset_tEEE10hipError_tPvRmT1_PNSt15iterator_traitsISK_E10value_typeET2_T3_PNSL_ISQ_E10value_typeET4_jRbjT5_SW_jjP12ihipStream_tbEUlT_E2_NS1_11comp_targetILNS1_3genE9ELNS1_11target_archE1100ELNS1_3gpuE3ELNS1_3repE0EEENS1_30default_config_static_selectorELNS0_4arch9wavefront6targetE0EEEvSK_, .Lfunc_end1672-_ZN7rocprim17ROCPRIM_400000_NS6detail17trampoline_kernelINS0_14default_configENS1_36segmented_radix_sort_config_selectorIblEEZNS1_25segmented_radix_sort_implIS3_Lb0EPKbPbPKlPlN2at6native12_GLOBAL__N_18offset_tEEE10hipError_tPvRmT1_PNSt15iterator_traitsISK_E10value_typeET2_T3_PNSL_ISQ_E10value_typeET4_jRbjT5_SW_jjP12ihipStream_tbEUlT_E2_NS1_11comp_targetILNS1_3genE9ELNS1_11target_archE1100ELNS1_3gpuE3ELNS1_3repE0EEENS1_30default_config_static_selectorELNS0_4arch9wavefront6targetE0EEEvSK_
                                        ; -- End function
	.section	.AMDGPU.csdata,"",@progbits
; Kernel info:
; codeLenInByte = 31372
; NumSgprs: 56
; NumVgprs: 193
; ScratchSize: 0
; MemoryBound: 0
; FloatMode: 240
; IeeeMode: 1
; LDSByteSize: 17440 bytes/workgroup (compile time only)
; SGPRBlocks: 6
; VGPRBlocks: 24
; NumSGPRsForWavesPerEU: 56
; NumVGPRsForWavesPerEU: 193
; Occupancy: 7
; WaveLimiterHint : 1
; COMPUTE_PGM_RSRC2:SCRATCH_EN: 0
; COMPUTE_PGM_RSRC2:USER_SGPR: 14
; COMPUTE_PGM_RSRC2:TRAP_HANDLER: 0
; COMPUTE_PGM_RSRC2:TGID_X_EN: 1
; COMPUTE_PGM_RSRC2:TGID_Y_EN: 1
; COMPUTE_PGM_RSRC2:TGID_Z_EN: 0
; COMPUTE_PGM_RSRC2:TIDIG_COMP_CNT: 2
	.section	.text._ZN7rocprim17ROCPRIM_400000_NS6detail17trampoline_kernelINS0_14default_configENS1_36segmented_radix_sort_config_selectorIblEEZNS1_25segmented_radix_sort_implIS3_Lb0EPKbPbPKlPlN2at6native12_GLOBAL__N_18offset_tEEE10hipError_tPvRmT1_PNSt15iterator_traitsISK_E10value_typeET2_T3_PNSL_ISQ_E10value_typeET4_jRbjT5_SW_jjP12ihipStream_tbEUlT_E2_NS1_11comp_targetILNS1_3genE8ELNS1_11target_archE1030ELNS1_3gpuE2ELNS1_3repE0EEENS1_30default_config_static_selectorELNS0_4arch9wavefront6targetE0EEEvSK_,"axG",@progbits,_ZN7rocprim17ROCPRIM_400000_NS6detail17trampoline_kernelINS0_14default_configENS1_36segmented_radix_sort_config_selectorIblEEZNS1_25segmented_radix_sort_implIS3_Lb0EPKbPbPKlPlN2at6native12_GLOBAL__N_18offset_tEEE10hipError_tPvRmT1_PNSt15iterator_traitsISK_E10value_typeET2_T3_PNSL_ISQ_E10value_typeET4_jRbjT5_SW_jjP12ihipStream_tbEUlT_E2_NS1_11comp_targetILNS1_3genE8ELNS1_11target_archE1030ELNS1_3gpuE2ELNS1_3repE0EEENS1_30default_config_static_selectorELNS0_4arch9wavefront6targetE0EEEvSK_,comdat
	.globl	_ZN7rocprim17ROCPRIM_400000_NS6detail17trampoline_kernelINS0_14default_configENS1_36segmented_radix_sort_config_selectorIblEEZNS1_25segmented_radix_sort_implIS3_Lb0EPKbPbPKlPlN2at6native12_GLOBAL__N_18offset_tEEE10hipError_tPvRmT1_PNSt15iterator_traitsISK_E10value_typeET2_T3_PNSL_ISQ_E10value_typeET4_jRbjT5_SW_jjP12ihipStream_tbEUlT_E2_NS1_11comp_targetILNS1_3genE8ELNS1_11target_archE1030ELNS1_3gpuE2ELNS1_3repE0EEENS1_30default_config_static_selectorELNS0_4arch9wavefront6targetE0EEEvSK_ ; -- Begin function _ZN7rocprim17ROCPRIM_400000_NS6detail17trampoline_kernelINS0_14default_configENS1_36segmented_radix_sort_config_selectorIblEEZNS1_25segmented_radix_sort_implIS3_Lb0EPKbPbPKlPlN2at6native12_GLOBAL__N_18offset_tEEE10hipError_tPvRmT1_PNSt15iterator_traitsISK_E10value_typeET2_T3_PNSL_ISQ_E10value_typeET4_jRbjT5_SW_jjP12ihipStream_tbEUlT_E2_NS1_11comp_targetILNS1_3genE8ELNS1_11target_archE1030ELNS1_3gpuE2ELNS1_3repE0EEENS1_30default_config_static_selectorELNS0_4arch9wavefront6targetE0EEEvSK_
	.p2align	8
	.type	_ZN7rocprim17ROCPRIM_400000_NS6detail17trampoline_kernelINS0_14default_configENS1_36segmented_radix_sort_config_selectorIblEEZNS1_25segmented_radix_sort_implIS3_Lb0EPKbPbPKlPlN2at6native12_GLOBAL__N_18offset_tEEE10hipError_tPvRmT1_PNSt15iterator_traitsISK_E10value_typeET2_T3_PNSL_ISQ_E10value_typeET4_jRbjT5_SW_jjP12ihipStream_tbEUlT_E2_NS1_11comp_targetILNS1_3genE8ELNS1_11target_archE1030ELNS1_3gpuE2ELNS1_3repE0EEENS1_30default_config_static_selectorELNS0_4arch9wavefront6targetE0EEEvSK_,@function
_ZN7rocprim17ROCPRIM_400000_NS6detail17trampoline_kernelINS0_14default_configENS1_36segmented_radix_sort_config_selectorIblEEZNS1_25segmented_radix_sort_implIS3_Lb0EPKbPbPKlPlN2at6native12_GLOBAL__N_18offset_tEEE10hipError_tPvRmT1_PNSt15iterator_traitsISK_E10value_typeET2_T3_PNSL_ISQ_E10value_typeET4_jRbjT5_SW_jjP12ihipStream_tbEUlT_E2_NS1_11comp_targetILNS1_3genE8ELNS1_11target_archE1030ELNS1_3gpuE2ELNS1_3repE0EEENS1_30default_config_static_selectorELNS0_4arch9wavefront6targetE0EEEvSK_: ; @_ZN7rocprim17ROCPRIM_400000_NS6detail17trampoline_kernelINS0_14default_configENS1_36segmented_radix_sort_config_selectorIblEEZNS1_25segmented_radix_sort_implIS3_Lb0EPKbPbPKlPlN2at6native12_GLOBAL__N_18offset_tEEE10hipError_tPvRmT1_PNSt15iterator_traitsISK_E10value_typeET2_T3_PNSL_ISQ_E10value_typeET4_jRbjT5_SW_jjP12ihipStream_tbEUlT_E2_NS1_11comp_targetILNS1_3genE8ELNS1_11target_archE1030ELNS1_3gpuE2ELNS1_3repE0EEENS1_30default_config_static_selectorELNS0_4arch9wavefront6targetE0EEEvSK_
; %bb.0:
	.section	.rodata,"a",@progbits
	.p2align	6, 0x0
	.amdhsa_kernel _ZN7rocprim17ROCPRIM_400000_NS6detail17trampoline_kernelINS0_14default_configENS1_36segmented_radix_sort_config_selectorIblEEZNS1_25segmented_radix_sort_implIS3_Lb0EPKbPbPKlPlN2at6native12_GLOBAL__N_18offset_tEEE10hipError_tPvRmT1_PNSt15iterator_traitsISK_E10value_typeET2_T3_PNSL_ISQ_E10value_typeET4_jRbjT5_SW_jjP12ihipStream_tbEUlT_E2_NS1_11comp_targetILNS1_3genE8ELNS1_11target_archE1030ELNS1_3gpuE2ELNS1_3repE0EEENS1_30default_config_static_selectorELNS0_4arch9wavefront6targetE0EEEvSK_
		.amdhsa_group_segment_fixed_size 0
		.amdhsa_private_segment_fixed_size 0
		.amdhsa_kernarg_size 80
		.amdhsa_user_sgpr_count 15
		.amdhsa_user_sgpr_dispatch_ptr 0
		.amdhsa_user_sgpr_queue_ptr 0
		.amdhsa_user_sgpr_kernarg_segment_ptr 1
		.amdhsa_user_sgpr_dispatch_id 0
		.amdhsa_user_sgpr_private_segment_size 0
		.amdhsa_wavefront_size32 1
		.amdhsa_uses_dynamic_stack 0
		.amdhsa_enable_private_segment 0
		.amdhsa_system_sgpr_workgroup_id_x 1
		.amdhsa_system_sgpr_workgroup_id_y 0
		.amdhsa_system_sgpr_workgroup_id_z 0
		.amdhsa_system_sgpr_workgroup_info 0
		.amdhsa_system_vgpr_workitem_id 0
		.amdhsa_next_free_vgpr 1
		.amdhsa_next_free_sgpr 1
		.amdhsa_reserve_vcc 0
		.amdhsa_float_round_mode_32 0
		.amdhsa_float_round_mode_16_64 0
		.amdhsa_float_denorm_mode_32 3
		.amdhsa_float_denorm_mode_16_64 3
		.amdhsa_dx10_clamp 1
		.amdhsa_ieee_mode 1
		.amdhsa_fp16_overflow 0
		.amdhsa_workgroup_processor_mode 1
		.amdhsa_memory_ordered 1
		.amdhsa_forward_progress 0
		.amdhsa_shared_vgpr_count 0
		.amdhsa_exception_fp_ieee_invalid_op 0
		.amdhsa_exception_fp_denorm_src 0
		.amdhsa_exception_fp_ieee_div_zero 0
		.amdhsa_exception_fp_ieee_overflow 0
		.amdhsa_exception_fp_ieee_underflow 0
		.amdhsa_exception_fp_ieee_inexact 0
		.amdhsa_exception_int_div_zero 0
	.end_amdhsa_kernel
	.section	.text._ZN7rocprim17ROCPRIM_400000_NS6detail17trampoline_kernelINS0_14default_configENS1_36segmented_radix_sort_config_selectorIblEEZNS1_25segmented_radix_sort_implIS3_Lb0EPKbPbPKlPlN2at6native12_GLOBAL__N_18offset_tEEE10hipError_tPvRmT1_PNSt15iterator_traitsISK_E10value_typeET2_T3_PNSL_ISQ_E10value_typeET4_jRbjT5_SW_jjP12ihipStream_tbEUlT_E2_NS1_11comp_targetILNS1_3genE8ELNS1_11target_archE1030ELNS1_3gpuE2ELNS1_3repE0EEENS1_30default_config_static_selectorELNS0_4arch9wavefront6targetE0EEEvSK_,"axG",@progbits,_ZN7rocprim17ROCPRIM_400000_NS6detail17trampoline_kernelINS0_14default_configENS1_36segmented_radix_sort_config_selectorIblEEZNS1_25segmented_radix_sort_implIS3_Lb0EPKbPbPKlPlN2at6native12_GLOBAL__N_18offset_tEEE10hipError_tPvRmT1_PNSt15iterator_traitsISK_E10value_typeET2_T3_PNSL_ISQ_E10value_typeET4_jRbjT5_SW_jjP12ihipStream_tbEUlT_E2_NS1_11comp_targetILNS1_3genE8ELNS1_11target_archE1030ELNS1_3gpuE2ELNS1_3repE0EEENS1_30default_config_static_selectorELNS0_4arch9wavefront6targetE0EEEvSK_,comdat
.Lfunc_end1673:
	.size	_ZN7rocprim17ROCPRIM_400000_NS6detail17trampoline_kernelINS0_14default_configENS1_36segmented_radix_sort_config_selectorIblEEZNS1_25segmented_radix_sort_implIS3_Lb0EPKbPbPKlPlN2at6native12_GLOBAL__N_18offset_tEEE10hipError_tPvRmT1_PNSt15iterator_traitsISK_E10value_typeET2_T3_PNSL_ISQ_E10value_typeET4_jRbjT5_SW_jjP12ihipStream_tbEUlT_E2_NS1_11comp_targetILNS1_3genE8ELNS1_11target_archE1030ELNS1_3gpuE2ELNS1_3repE0EEENS1_30default_config_static_selectorELNS0_4arch9wavefront6targetE0EEEvSK_, .Lfunc_end1673-_ZN7rocprim17ROCPRIM_400000_NS6detail17trampoline_kernelINS0_14default_configENS1_36segmented_radix_sort_config_selectorIblEEZNS1_25segmented_radix_sort_implIS3_Lb0EPKbPbPKlPlN2at6native12_GLOBAL__N_18offset_tEEE10hipError_tPvRmT1_PNSt15iterator_traitsISK_E10value_typeET2_T3_PNSL_ISQ_E10value_typeET4_jRbjT5_SW_jjP12ihipStream_tbEUlT_E2_NS1_11comp_targetILNS1_3genE8ELNS1_11target_archE1030ELNS1_3gpuE2ELNS1_3repE0EEENS1_30default_config_static_selectorELNS0_4arch9wavefront6targetE0EEEvSK_
                                        ; -- End function
	.section	.AMDGPU.csdata,"",@progbits
; Kernel info:
; codeLenInByte = 0
; NumSgprs: 0
; NumVgprs: 0
; ScratchSize: 0
; MemoryBound: 0
; FloatMode: 240
; IeeeMode: 1
; LDSByteSize: 0 bytes/workgroup (compile time only)
; SGPRBlocks: 0
; VGPRBlocks: 0
; NumSGPRsForWavesPerEU: 1
; NumVGPRsForWavesPerEU: 1
; Occupancy: 16
; WaveLimiterHint : 0
; COMPUTE_PGM_RSRC2:SCRATCH_EN: 0
; COMPUTE_PGM_RSRC2:USER_SGPR: 15
; COMPUTE_PGM_RSRC2:TRAP_HANDLER: 0
; COMPUTE_PGM_RSRC2:TGID_X_EN: 1
; COMPUTE_PGM_RSRC2:TGID_Y_EN: 0
; COMPUTE_PGM_RSRC2:TGID_Z_EN: 0
; COMPUTE_PGM_RSRC2:TIDIG_COMP_CNT: 0
	.section	.text._ZN2at6native12_GLOBAL__N_123sort_postprocess_kernelIN3c104HalfEEEvPKT_PS5_PlPK15HIP_vector_typeIiLj2EEii,"axG",@progbits,_ZN2at6native12_GLOBAL__N_123sort_postprocess_kernelIN3c104HalfEEEvPKT_PS5_PlPK15HIP_vector_typeIiLj2EEii,comdat
	.globl	_ZN2at6native12_GLOBAL__N_123sort_postprocess_kernelIN3c104HalfEEEvPKT_PS5_PlPK15HIP_vector_typeIiLj2EEii ; -- Begin function _ZN2at6native12_GLOBAL__N_123sort_postprocess_kernelIN3c104HalfEEEvPKT_PS5_PlPK15HIP_vector_typeIiLj2EEii
	.p2align	8
	.type	_ZN2at6native12_GLOBAL__N_123sort_postprocess_kernelIN3c104HalfEEEvPKT_PS5_PlPK15HIP_vector_typeIiLj2EEii,@function
_ZN2at6native12_GLOBAL__N_123sort_postprocess_kernelIN3c104HalfEEEvPKT_PS5_PlPK15HIP_vector_typeIiLj2EEii: ; @_ZN2at6native12_GLOBAL__N_123sort_postprocess_kernelIN3c104HalfEEEvPKT_PS5_PlPK15HIP_vector_typeIiLj2EEii
; %bb.0:
	s_clause 0x1
	s_load_b32 s2, s[0:1], 0x34
	s_load_b64 s[6:7], s[0:1], 0x20
	v_mov_b32_e32 v1, 0
	s_add_u32 s4, s0, 40
	s_addc_u32 s5, s1, 0
	s_waitcnt lgkmcnt(0)
	s_and_b32 s13, s2, 0xffff
	s_mul_i32 s2, s7, s6
	v_mad_u64_u32 v[2:3], null, s13, s15, v[0:1]
	s_ashr_i32 s3, s2, 31
	s_mov_b32 s6, exec_lo
	s_delay_alu instid0(VALU_DEP_1)
	v_cmpx_gt_i64_e64 s[2:3], v[2:3]
	s_cbranch_execz .LBB1674_3
; %bb.1:
	s_abs_i32 s12, s7
	s_load_b32 s14, s[4:5], 0x0
	v_cvt_f32_u32_e32 v0, s12
	s_sub_i32 s4, 0, s12
	s_delay_alu instid0(VALU_DEP_1) | instskip(SKIP_2) | instid1(VALU_DEP_1)
	v_rcp_iflag_f32_e32 v0, v0
	s_waitcnt_depctr 0xfff
	v_mul_f32_e32 v0, 0x4f7ffffe, v0
	v_cvt_u32_f32_e32 v0, v0
	s_delay_alu instid0(VALU_DEP_1) | instskip(SKIP_4) | instid1(VALU_DEP_1)
	v_mul_lo_u32 v1, s4, v0
	s_load_b256 s[4:11], s[0:1], 0x0
	s_waitcnt lgkmcnt(0)
	s_mul_i32 s1, s14, s13
	s_mov_b32 s13, 0
	v_mul_hi_u32 v1, v0, v1
	s_delay_alu instid0(VALU_DEP_1)
	v_add_nc_u32_e32 v0, v0, v1
.LBB1674_2:                             ; =>This Inner Loop Header: Depth=1
	v_sub_nc_u32_e32 v1, 0, v2
	v_ashrrev_i32_e32 v5, 31, v2
	s_delay_alu instid0(VALU_DEP_2) | instskip(NEXT) | instid1(VALU_DEP_1)
	v_max_i32_e32 v1, v2, v1
	v_mul_hi_u32 v4, v1, v0
	s_delay_alu instid0(VALU_DEP_1) | instskip(NEXT) | instid1(VALU_DEP_1)
	v_mul_lo_u32 v4, v4, s12
	v_sub_nc_u32_e32 v1, v1, v4
	s_delay_alu instid0(VALU_DEP_1) | instskip(SKIP_1) | instid1(VALU_DEP_2)
	v_subrev_nc_u32_e32 v4, s12, v1
	v_cmp_le_u32_e32 vcc_lo, s12, v1
	v_dual_cndmask_b32 v1, v1, v4 :: v_dual_add_nc_u32 v6, v2, v5
	s_delay_alu instid0(VALU_DEP_1) | instskip(SKIP_1) | instid1(VALU_DEP_2)
	v_subrev_nc_u32_e32 v4, s12, v1
	v_cmp_le_u32_e32 vcc_lo, s12, v1
	v_cndmask_b32_e32 v1, v1, v4, vcc_lo
	s_delay_alu instid0(VALU_DEP_1) | instskip(NEXT) | instid1(VALU_DEP_1)
	v_xor_b32_e32 v1, v1, v5
	v_sub_nc_u32_e32 v4, v6, v1
	v_sub_nc_u32_e32 v6, v1, v5
	s_delay_alu instid0(VALU_DEP_2) | instskip(NEXT) | instid1(VALU_DEP_2)
	v_ashrrev_i32_e32 v5, 31, v4
	v_ashrrev_i32_e32 v7, 31, v6
	s_delay_alu instid0(VALU_DEP_2) | instskip(NEXT) | instid1(VALU_DEP_2)
	v_lshlrev_b64 v[8:9], 3, v[4:5]
	v_lshlrev_b64 v[10:11], 3, v[6:7]
	;; [unrolled: 1-line block ×4, first 2 shown]
	s_delay_alu instid0(VALU_DEP_4) | instskip(SKIP_2) | instid1(VALU_DEP_3)
	v_add_co_u32 v1, vcc_lo, s10, v8
	v_add_co_ci_u32_e32 v13, vcc_lo, s11, v9, vcc_lo
	v_add_co_u32 v8, s0, s8, v8
	v_add_co_u32 v12, vcc_lo, v1, v10
	s_delay_alu instid0(VALU_DEP_3)
	v_add_co_ci_u32_e32 v13, vcc_lo, v13, v11, vcc_lo
	v_add_co_u32 v1, vcc_lo, s4, v4
	v_add_co_ci_u32_e32 v16, vcc_lo, s5, v5, vcc_lo
	global_load_b32 v12, v[12:13], off offset:4
	v_add_co_ci_u32_e64 v9, s0, s9, v9, s0
	s_waitcnt vmcnt(0)
	v_ashrrev_i32_e32 v13, 31, v12
	s_delay_alu instid0(VALU_DEP_1) | instskip(NEXT) | instid1(VALU_DEP_1)
	v_lshlrev_b64 v[14:15], 1, v[12:13]
	v_add_co_u32 v14, vcc_lo, v1, v14
	s_delay_alu instid0(VALU_DEP_2) | instskip(SKIP_4) | instid1(VALU_DEP_1)
	v_add_co_ci_u32_e32 v15, vcc_lo, v16, v15, vcc_lo
	v_add_co_u32 v2, vcc_lo, v2, s1
	v_add_co_ci_u32_e32 v3, vcc_lo, 0, v3, vcc_lo
	global_load_u16 v1, v[14:15], off
	v_add_co_u32 v14, s0, s6, v4
	v_add_co_ci_u32_e64 v15, s0, s7, v5, s0
	v_add_co_u32 v4, s0, v8, v10
	v_cmp_le_i64_e32 vcc_lo, s[2:3], v[2:3]
	v_add_co_ci_u32_e64 v5, s0, v9, v11, s0
	v_add_co_u32 v6, s0, v14, v6
	s_delay_alu instid0(VALU_DEP_1)
	v_add_co_ci_u32_e64 v7, s0, v15, v7, s0
	s_or_b32 s13, vcc_lo, s13
	global_store_b64 v[4:5], v[12:13], off
	s_waitcnt vmcnt(0)
	global_store_b16 v[6:7], v1, off
	s_and_not1_b32 exec_lo, exec_lo, s13
	s_cbranch_execnz .LBB1674_2
.LBB1674_3:
	s_nop 0
	s_sendmsg sendmsg(MSG_DEALLOC_VGPRS)
	s_endpgm
	.section	.rodata,"a",@progbits
	.p2align	6, 0x0
	.amdhsa_kernel _ZN2at6native12_GLOBAL__N_123sort_postprocess_kernelIN3c104HalfEEEvPKT_PS5_PlPK15HIP_vector_typeIiLj2EEii
		.amdhsa_group_segment_fixed_size 0
		.amdhsa_private_segment_fixed_size 0
		.amdhsa_kernarg_size 296
		.amdhsa_user_sgpr_count 15
		.amdhsa_user_sgpr_dispatch_ptr 0
		.amdhsa_user_sgpr_queue_ptr 0
		.amdhsa_user_sgpr_kernarg_segment_ptr 1
		.amdhsa_user_sgpr_dispatch_id 0
		.amdhsa_user_sgpr_private_segment_size 0
		.amdhsa_wavefront_size32 1
		.amdhsa_uses_dynamic_stack 0
		.amdhsa_enable_private_segment 0
		.amdhsa_system_sgpr_workgroup_id_x 1
		.amdhsa_system_sgpr_workgroup_id_y 0
		.amdhsa_system_sgpr_workgroup_id_z 0
		.amdhsa_system_sgpr_workgroup_info 0
		.amdhsa_system_vgpr_workitem_id 0
		.amdhsa_next_free_vgpr 17
		.amdhsa_next_free_sgpr 16
		.amdhsa_reserve_vcc 1
		.amdhsa_float_round_mode_32 0
		.amdhsa_float_round_mode_16_64 0
		.amdhsa_float_denorm_mode_32 3
		.amdhsa_float_denorm_mode_16_64 3
		.amdhsa_dx10_clamp 1
		.amdhsa_ieee_mode 1
		.amdhsa_fp16_overflow 0
		.amdhsa_workgroup_processor_mode 1
		.amdhsa_memory_ordered 1
		.amdhsa_forward_progress 0
		.amdhsa_shared_vgpr_count 0
		.amdhsa_exception_fp_ieee_invalid_op 0
		.amdhsa_exception_fp_denorm_src 0
		.amdhsa_exception_fp_ieee_div_zero 0
		.amdhsa_exception_fp_ieee_overflow 0
		.amdhsa_exception_fp_ieee_underflow 0
		.amdhsa_exception_fp_ieee_inexact 0
		.amdhsa_exception_int_div_zero 0
	.end_amdhsa_kernel
	.section	.text._ZN2at6native12_GLOBAL__N_123sort_postprocess_kernelIN3c104HalfEEEvPKT_PS5_PlPK15HIP_vector_typeIiLj2EEii,"axG",@progbits,_ZN2at6native12_GLOBAL__N_123sort_postprocess_kernelIN3c104HalfEEEvPKT_PS5_PlPK15HIP_vector_typeIiLj2EEii,comdat
.Lfunc_end1674:
	.size	_ZN2at6native12_GLOBAL__N_123sort_postprocess_kernelIN3c104HalfEEEvPKT_PS5_PlPK15HIP_vector_typeIiLj2EEii, .Lfunc_end1674-_ZN2at6native12_GLOBAL__N_123sort_postprocess_kernelIN3c104HalfEEEvPKT_PS5_PlPK15HIP_vector_typeIiLj2EEii
                                        ; -- End function
	.section	.AMDGPU.csdata,"",@progbits
; Kernel info:
; codeLenInByte = 536
; NumSgprs: 18
; NumVgprs: 17
; ScratchSize: 0
; MemoryBound: 0
; FloatMode: 240
; IeeeMode: 1
; LDSByteSize: 0 bytes/workgroup (compile time only)
; SGPRBlocks: 2
; VGPRBlocks: 2
; NumSGPRsForWavesPerEU: 18
; NumVGPRsForWavesPerEU: 17
; Occupancy: 16
; WaveLimiterHint : 1
; COMPUTE_PGM_RSRC2:SCRATCH_EN: 0
; COMPUTE_PGM_RSRC2:USER_SGPR: 15
; COMPUTE_PGM_RSRC2:TRAP_HANDLER: 0
; COMPUTE_PGM_RSRC2:TGID_X_EN: 1
; COMPUTE_PGM_RSRC2:TGID_Y_EN: 0
; COMPUTE_PGM_RSRC2:TGID_Z_EN: 0
; COMPUTE_PGM_RSRC2:TIDIG_COMP_CNT: 0
	.section	.text._ZN7rocprim17ROCPRIM_400000_NS6detail17trampoline_kernelINS0_13select_configILj256ELj13ELNS0_17block_load_methodE3ELS4_3ELS4_3ELNS0_20block_scan_algorithmE0ELj4294967295EEENS1_25partition_config_selectorILNS1_17partition_subalgoE4EjNS0_10empty_typeEbEEZZNS1_14partition_implILS8_4ELb0ES6_15HIP_vector_typeIjLj2EENS0_17counting_iteratorIjlEEPS9_SG_NS0_5tupleIJPjSI_NS0_16reverse_iteratorISI_EEEEENSH_IJSG_SG_SG_EEES9_SI_JZNS1_25segmented_radix_sort_implINS0_14default_configELb1EPK6__halfPSP_PKlPlN2at6native12_GLOBAL__N_18offset_tEEE10hipError_tPvRmT1_PNSt15iterator_traitsIS13_E10value_typeET2_T3_PNS14_IS19_E10value_typeET4_jRbjT5_S1F_jjP12ihipStream_tbEUljE_ZNSN_ISO_Lb1ESR_SS_SU_SV_SZ_EES10_S11_S12_S13_S17_S18_S19_S1C_S1D_jS1E_jS1F_S1F_jjS1H_bEUljE0_EEES10_S11_S12_S19_S1D_S1F_T6_T7_T9_mT8_S1H_bDpT10_ENKUlT_T0_E_clISt17integral_constantIbLb0EES1V_EEDaS1Q_S1R_EUlS1Q_E_NS1_11comp_targetILNS1_3genE0ELNS1_11target_archE4294967295ELNS1_3gpuE0ELNS1_3repE0EEENS1_30default_config_static_selectorELNS0_4arch9wavefront6targetE0EEEvS13_,"axG",@progbits,_ZN7rocprim17ROCPRIM_400000_NS6detail17trampoline_kernelINS0_13select_configILj256ELj13ELNS0_17block_load_methodE3ELS4_3ELS4_3ELNS0_20block_scan_algorithmE0ELj4294967295EEENS1_25partition_config_selectorILNS1_17partition_subalgoE4EjNS0_10empty_typeEbEEZZNS1_14partition_implILS8_4ELb0ES6_15HIP_vector_typeIjLj2EENS0_17counting_iteratorIjlEEPS9_SG_NS0_5tupleIJPjSI_NS0_16reverse_iteratorISI_EEEEENSH_IJSG_SG_SG_EEES9_SI_JZNS1_25segmented_radix_sort_implINS0_14default_configELb1EPK6__halfPSP_PKlPlN2at6native12_GLOBAL__N_18offset_tEEE10hipError_tPvRmT1_PNSt15iterator_traitsIS13_E10value_typeET2_T3_PNS14_IS19_E10value_typeET4_jRbjT5_S1F_jjP12ihipStream_tbEUljE_ZNSN_ISO_Lb1ESR_SS_SU_SV_SZ_EES10_S11_S12_S13_S17_S18_S19_S1C_S1D_jS1E_jS1F_S1F_jjS1H_bEUljE0_EEES10_S11_S12_S19_S1D_S1F_T6_T7_T9_mT8_S1H_bDpT10_ENKUlT_T0_E_clISt17integral_constantIbLb0EES1V_EEDaS1Q_S1R_EUlS1Q_E_NS1_11comp_targetILNS1_3genE0ELNS1_11target_archE4294967295ELNS1_3gpuE0ELNS1_3repE0EEENS1_30default_config_static_selectorELNS0_4arch9wavefront6targetE0EEEvS13_,comdat
	.globl	_ZN7rocprim17ROCPRIM_400000_NS6detail17trampoline_kernelINS0_13select_configILj256ELj13ELNS0_17block_load_methodE3ELS4_3ELS4_3ELNS0_20block_scan_algorithmE0ELj4294967295EEENS1_25partition_config_selectorILNS1_17partition_subalgoE4EjNS0_10empty_typeEbEEZZNS1_14partition_implILS8_4ELb0ES6_15HIP_vector_typeIjLj2EENS0_17counting_iteratorIjlEEPS9_SG_NS0_5tupleIJPjSI_NS0_16reverse_iteratorISI_EEEEENSH_IJSG_SG_SG_EEES9_SI_JZNS1_25segmented_radix_sort_implINS0_14default_configELb1EPK6__halfPSP_PKlPlN2at6native12_GLOBAL__N_18offset_tEEE10hipError_tPvRmT1_PNSt15iterator_traitsIS13_E10value_typeET2_T3_PNS14_IS19_E10value_typeET4_jRbjT5_S1F_jjP12ihipStream_tbEUljE_ZNSN_ISO_Lb1ESR_SS_SU_SV_SZ_EES10_S11_S12_S13_S17_S18_S19_S1C_S1D_jS1E_jS1F_S1F_jjS1H_bEUljE0_EEES10_S11_S12_S19_S1D_S1F_T6_T7_T9_mT8_S1H_bDpT10_ENKUlT_T0_E_clISt17integral_constantIbLb0EES1V_EEDaS1Q_S1R_EUlS1Q_E_NS1_11comp_targetILNS1_3genE0ELNS1_11target_archE4294967295ELNS1_3gpuE0ELNS1_3repE0EEENS1_30default_config_static_selectorELNS0_4arch9wavefront6targetE0EEEvS13_ ; -- Begin function _ZN7rocprim17ROCPRIM_400000_NS6detail17trampoline_kernelINS0_13select_configILj256ELj13ELNS0_17block_load_methodE3ELS4_3ELS4_3ELNS0_20block_scan_algorithmE0ELj4294967295EEENS1_25partition_config_selectorILNS1_17partition_subalgoE4EjNS0_10empty_typeEbEEZZNS1_14partition_implILS8_4ELb0ES6_15HIP_vector_typeIjLj2EENS0_17counting_iteratorIjlEEPS9_SG_NS0_5tupleIJPjSI_NS0_16reverse_iteratorISI_EEEEENSH_IJSG_SG_SG_EEES9_SI_JZNS1_25segmented_radix_sort_implINS0_14default_configELb1EPK6__halfPSP_PKlPlN2at6native12_GLOBAL__N_18offset_tEEE10hipError_tPvRmT1_PNSt15iterator_traitsIS13_E10value_typeET2_T3_PNS14_IS19_E10value_typeET4_jRbjT5_S1F_jjP12ihipStream_tbEUljE_ZNSN_ISO_Lb1ESR_SS_SU_SV_SZ_EES10_S11_S12_S13_S17_S18_S19_S1C_S1D_jS1E_jS1F_S1F_jjS1H_bEUljE0_EEES10_S11_S12_S19_S1D_S1F_T6_T7_T9_mT8_S1H_bDpT10_ENKUlT_T0_E_clISt17integral_constantIbLb0EES1V_EEDaS1Q_S1R_EUlS1Q_E_NS1_11comp_targetILNS1_3genE0ELNS1_11target_archE4294967295ELNS1_3gpuE0ELNS1_3repE0EEENS1_30default_config_static_selectorELNS0_4arch9wavefront6targetE0EEEvS13_
	.p2align	8
	.type	_ZN7rocprim17ROCPRIM_400000_NS6detail17trampoline_kernelINS0_13select_configILj256ELj13ELNS0_17block_load_methodE3ELS4_3ELS4_3ELNS0_20block_scan_algorithmE0ELj4294967295EEENS1_25partition_config_selectorILNS1_17partition_subalgoE4EjNS0_10empty_typeEbEEZZNS1_14partition_implILS8_4ELb0ES6_15HIP_vector_typeIjLj2EENS0_17counting_iteratorIjlEEPS9_SG_NS0_5tupleIJPjSI_NS0_16reverse_iteratorISI_EEEEENSH_IJSG_SG_SG_EEES9_SI_JZNS1_25segmented_radix_sort_implINS0_14default_configELb1EPK6__halfPSP_PKlPlN2at6native12_GLOBAL__N_18offset_tEEE10hipError_tPvRmT1_PNSt15iterator_traitsIS13_E10value_typeET2_T3_PNS14_IS19_E10value_typeET4_jRbjT5_S1F_jjP12ihipStream_tbEUljE_ZNSN_ISO_Lb1ESR_SS_SU_SV_SZ_EES10_S11_S12_S13_S17_S18_S19_S1C_S1D_jS1E_jS1F_S1F_jjS1H_bEUljE0_EEES10_S11_S12_S19_S1D_S1F_T6_T7_T9_mT8_S1H_bDpT10_ENKUlT_T0_E_clISt17integral_constantIbLb0EES1V_EEDaS1Q_S1R_EUlS1Q_E_NS1_11comp_targetILNS1_3genE0ELNS1_11target_archE4294967295ELNS1_3gpuE0ELNS1_3repE0EEENS1_30default_config_static_selectorELNS0_4arch9wavefront6targetE0EEEvS13_,@function
_ZN7rocprim17ROCPRIM_400000_NS6detail17trampoline_kernelINS0_13select_configILj256ELj13ELNS0_17block_load_methodE3ELS4_3ELS4_3ELNS0_20block_scan_algorithmE0ELj4294967295EEENS1_25partition_config_selectorILNS1_17partition_subalgoE4EjNS0_10empty_typeEbEEZZNS1_14partition_implILS8_4ELb0ES6_15HIP_vector_typeIjLj2EENS0_17counting_iteratorIjlEEPS9_SG_NS0_5tupleIJPjSI_NS0_16reverse_iteratorISI_EEEEENSH_IJSG_SG_SG_EEES9_SI_JZNS1_25segmented_radix_sort_implINS0_14default_configELb1EPK6__halfPSP_PKlPlN2at6native12_GLOBAL__N_18offset_tEEE10hipError_tPvRmT1_PNSt15iterator_traitsIS13_E10value_typeET2_T3_PNS14_IS19_E10value_typeET4_jRbjT5_S1F_jjP12ihipStream_tbEUljE_ZNSN_ISO_Lb1ESR_SS_SU_SV_SZ_EES10_S11_S12_S13_S17_S18_S19_S1C_S1D_jS1E_jS1F_S1F_jjS1H_bEUljE0_EEES10_S11_S12_S19_S1D_S1F_T6_T7_T9_mT8_S1H_bDpT10_ENKUlT_T0_E_clISt17integral_constantIbLb0EES1V_EEDaS1Q_S1R_EUlS1Q_E_NS1_11comp_targetILNS1_3genE0ELNS1_11target_archE4294967295ELNS1_3gpuE0ELNS1_3repE0EEENS1_30default_config_static_selectorELNS0_4arch9wavefront6targetE0EEEvS13_: ; @_ZN7rocprim17ROCPRIM_400000_NS6detail17trampoline_kernelINS0_13select_configILj256ELj13ELNS0_17block_load_methodE3ELS4_3ELS4_3ELNS0_20block_scan_algorithmE0ELj4294967295EEENS1_25partition_config_selectorILNS1_17partition_subalgoE4EjNS0_10empty_typeEbEEZZNS1_14partition_implILS8_4ELb0ES6_15HIP_vector_typeIjLj2EENS0_17counting_iteratorIjlEEPS9_SG_NS0_5tupleIJPjSI_NS0_16reverse_iteratorISI_EEEEENSH_IJSG_SG_SG_EEES9_SI_JZNS1_25segmented_radix_sort_implINS0_14default_configELb1EPK6__halfPSP_PKlPlN2at6native12_GLOBAL__N_18offset_tEEE10hipError_tPvRmT1_PNSt15iterator_traitsIS13_E10value_typeET2_T3_PNS14_IS19_E10value_typeET4_jRbjT5_S1F_jjP12ihipStream_tbEUljE_ZNSN_ISO_Lb1ESR_SS_SU_SV_SZ_EES10_S11_S12_S13_S17_S18_S19_S1C_S1D_jS1E_jS1F_S1F_jjS1H_bEUljE0_EEES10_S11_S12_S19_S1D_S1F_T6_T7_T9_mT8_S1H_bDpT10_ENKUlT_T0_E_clISt17integral_constantIbLb0EES1V_EEDaS1Q_S1R_EUlS1Q_E_NS1_11comp_targetILNS1_3genE0ELNS1_11target_archE4294967295ELNS1_3gpuE0ELNS1_3repE0EEENS1_30default_config_static_selectorELNS0_4arch9wavefront6targetE0EEEvS13_
; %bb.0:
	.section	.rodata,"a",@progbits
	.p2align	6, 0x0
	.amdhsa_kernel _ZN7rocprim17ROCPRIM_400000_NS6detail17trampoline_kernelINS0_13select_configILj256ELj13ELNS0_17block_load_methodE3ELS4_3ELS4_3ELNS0_20block_scan_algorithmE0ELj4294967295EEENS1_25partition_config_selectorILNS1_17partition_subalgoE4EjNS0_10empty_typeEbEEZZNS1_14partition_implILS8_4ELb0ES6_15HIP_vector_typeIjLj2EENS0_17counting_iteratorIjlEEPS9_SG_NS0_5tupleIJPjSI_NS0_16reverse_iteratorISI_EEEEENSH_IJSG_SG_SG_EEES9_SI_JZNS1_25segmented_radix_sort_implINS0_14default_configELb1EPK6__halfPSP_PKlPlN2at6native12_GLOBAL__N_18offset_tEEE10hipError_tPvRmT1_PNSt15iterator_traitsIS13_E10value_typeET2_T3_PNS14_IS19_E10value_typeET4_jRbjT5_S1F_jjP12ihipStream_tbEUljE_ZNSN_ISO_Lb1ESR_SS_SU_SV_SZ_EES10_S11_S12_S13_S17_S18_S19_S1C_S1D_jS1E_jS1F_S1F_jjS1H_bEUljE0_EEES10_S11_S12_S19_S1D_S1F_T6_T7_T9_mT8_S1H_bDpT10_ENKUlT_T0_E_clISt17integral_constantIbLb0EES1V_EEDaS1Q_S1R_EUlS1Q_E_NS1_11comp_targetILNS1_3genE0ELNS1_11target_archE4294967295ELNS1_3gpuE0ELNS1_3repE0EEENS1_30default_config_static_selectorELNS0_4arch9wavefront6targetE0EEEvS13_
		.amdhsa_group_segment_fixed_size 0
		.amdhsa_private_segment_fixed_size 0
		.amdhsa_kernarg_size 176
		.amdhsa_user_sgpr_count 15
		.amdhsa_user_sgpr_dispatch_ptr 0
		.amdhsa_user_sgpr_queue_ptr 0
		.amdhsa_user_sgpr_kernarg_segment_ptr 1
		.amdhsa_user_sgpr_dispatch_id 0
		.amdhsa_user_sgpr_private_segment_size 0
		.amdhsa_wavefront_size32 1
		.amdhsa_uses_dynamic_stack 0
		.amdhsa_enable_private_segment 0
		.amdhsa_system_sgpr_workgroup_id_x 1
		.amdhsa_system_sgpr_workgroup_id_y 0
		.amdhsa_system_sgpr_workgroup_id_z 0
		.amdhsa_system_sgpr_workgroup_info 0
		.amdhsa_system_vgpr_workitem_id 0
		.amdhsa_next_free_vgpr 1
		.amdhsa_next_free_sgpr 1
		.amdhsa_reserve_vcc 0
		.amdhsa_float_round_mode_32 0
		.amdhsa_float_round_mode_16_64 0
		.amdhsa_float_denorm_mode_32 3
		.amdhsa_float_denorm_mode_16_64 3
		.amdhsa_dx10_clamp 1
		.amdhsa_ieee_mode 1
		.amdhsa_fp16_overflow 0
		.amdhsa_workgroup_processor_mode 1
		.amdhsa_memory_ordered 1
		.amdhsa_forward_progress 0
		.amdhsa_shared_vgpr_count 0
		.amdhsa_exception_fp_ieee_invalid_op 0
		.amdhsa_exception_fp_denorm_src 0
		.amdhsa_exception_fp_ieee_div_zero 0
		.amdhsa_exception_fp_ieee_overflow 0
		.amdhsa_exception_fp_ieee_underflow 0
		.amdhsa_exception_fp_ieee_inexact 0
		.amdhsa_exception_int_div_zero 0
	.end_amdhsa_kernel
	.section	.text._ZN7rocprim17ROCPRIM_400000_NS6detail17trampoline_kernelINS0_13select_configILj256ELj13ELNS0_17block_load_methodE3ELS4_3ELS4_3ELNS0_20block_scan_algorithmE0ELj4294967295EEENS1_25partition_config_selectorILNS1_17partition_subalgoE4EjNS0_10empty_typeEbEEZZNS1_14partition_implILS8_4ELb0ES6_15HIP_vector_typeIjLj2EENS0_17counting_iteratorIjlEEPS9_SG_NS0_5tupleIJPjSI_NS0_16reverse_iteratorISI_EEEEENSH_IJSG_SG_SG_EEES9_SI_JZNS1_25segmented_radix_sort_implINS0_14default_configELb1EPK6__halfPSP_PKlPlN2at6native12_GLOBAL__N_18offset_tEEE10hipError_tPvRmT1_PNSt15iterator_traitsIS13_E10value_typeET2_T3_PNS14_IS19_E10value_typeET4_jRbjT5_S1F_jjP12ihipStream_tbEUljE_ZNSN_ISO_Lb1ESR_SS_SU_SV_SZ_EES10_S11_S12_S13_S17_S18_S19_S1C_S1D_jS1E_jS1F_S1F_jjS1H_bEUljE0_EEES10_S11_S12_S19_S1D_S1F_T6_T7_T9_mT8_S1H_bDpT10_ENKUlT_T0_E_clISt17integral_constantIbLb0EES1V_EEDaS1Q_S1R_EUlS1Q_E_NS1_11comp_targetILNS1_3genE0ELNS1_11target_archE4294967295ELNS1_3gpuE0ELNS1_3repE0EEENS1_30default_config_static_selectorELNS0_4arch9wavefront6targetE0EEEvS13_,"axG",@progbits,_ZN7rocprim17ROCPRIM_400000_NS6detail17trampoline_kernelINS0_13select_configILj256ELj13ELNS0_17block_load_methodE3ELS4_3ELS4_3ELNS0_20block_scan_algorithmE0ELj4294967295EEENS1_25partition_config_selectorILNS1_17partition_subalgoE4EjNS0_10empty_typeEbEEZZNS1_14partition_implILS8_4ELb0ES6_15HIP_vector_typeIjLj2EENS0_17counting_iteratorIjlEEPS9_SG_NS0_5tupleIJPjSI_NS0_16reverse_iteratorISI_EEEEENSH_IJSG_SG_SG_EEES9_SI_JZNS1_25segmented_radix_sort_implINS0_14default_configELb1EPK6__halfPSP_PKlPlN2at6native12_GLOBAL__N_18offset_tEEE10hipError_tPvRmT1_PNSt15iterator_traitsIS13_E10value_typeET2_T3_PNS14_IS19_E10value_typeET4_jRbjT5_S1F_jjP12ihipStream_tbEUljE_ZNSN_ISO_Lb1ESR_SS_SU_SV_SZ_EES10_S11_S12_S13_S17_S18_S19_S1C_S1D_jS1E_jS1F_S1F_jjS1H_bEUljE0_EEES10_S11_S12_S19_S1D_S1F_T6_T7_T9_mT8_S1H_bDpT10_ENKUlT_T0_E_clISt17integral_constantIbLb0EES1V_EEDaS1Q_S1R_EUlS1Q_E_NS1_11comp_targetILNS1_3genE0ELNS1_11target_archE4294967295ELNS1_3gpuE0ELNS1_3repE0EEENS1_30default_config_static_selectorELNS0_4arch9wavefront6targetE0EEEvS13_,comdat
.Lfunc_end1675:
	.size	_ZN7rocprim17ROCPRIM_400000_NS6detail17trampoline_kernelINS0_13select_configILj256ELj13ELNS0_17block_load_methodE3ELS4_3ELS4_3ELNS0_20block_scan_algorithmE0ELj4294967295EEENS1_25partition_config_selectorILNS1_17partition_subalgoE4EjNS0_10empty_typeEbEEZZNS1_14partition_implILS8_4ELb0ES6_15HIP_vector_typeIjLj2EENS0_17counting_iteratorIjlEEPS9_SG_NS0_5tupleIJPjSI_NS0_16reverse_iteratorISI_EEEEENSH_IJSG_SG_SG_EEES9_SI_JZNS1_25segmented_radix_sort_implINS0_14default_configELb1EPK6__halfPSP_PKlPlN2at6native12_GLOBAL__N_18offset_tEEE10hipError_tPvRmT1_PNSt15iterator_traitsIS13_E10value_typeET2_T3_PNS14_IS19_E10value_typeET4_jRbjT5_S1F_jjP12ihipStream_tbEUljE_ZNSN_ISO_Lb1ESR_SS_SU_SV_SZ_EES10_S11_S12_S13_S17_S18_S19_S1C_S1D_jS1E_jS1F_S1F_jjS1H_bEUljE0_EEES10_S11_S12_S19_S1D_S1F_T6_T7_T9_mT8_S1H_bDpT10_ENKUlT_T0_E_clISt17integral_constantIbLb0EES1V_EEDaS1Q_S1R_EUlS1Q_E_NS1_11comp_targetILNS1_3genE0ELNS1_11target_archE4294967295ELNS1_3gpuE0ELNS1_3repE0EEENS1_30default_config_static_selectorELNS0_4arch9wavefront6targetE0EEEvS13_, .Lfunc_end1675-_ZN7rocprim17ROCPRIM_400000_NS6detail17trampoline_kernelINS0_13select_configILj256ELj13ELNS0_17block_load_methodE3ELS4_3ELS4_3ELNS0_20block_scan_algorithmE0ELj4294967295EEENS1_25partition_config_selectorILNS1_17partition_subalgoE4EjNS0_10empty_typeEbEEZZNS1_14partition_implILS8_4ELb0ES6_15HIP_vector_typeIjLj2EENS0_17counting_iteratorIjlEEPS9_SG_NS0_5tupleIJPjSI_NS0_16reverse_iteratorISI_EEEEENSH_IJSG_SG_SG_EEES9_SI_JZNS1_25segmented_radix_sort_implINS0_14default_configELb1EPK6__halfPSP_PKlPlN2at6native12_GLOBAL__N_18offset_tEEE10hipError_tPvRmT1_PNSt15iterator_traitsIS13_E10value_typeET2_T3_PNS14_IS19_E10value_typeET4_jRbjT5_S1F_jjP12ihipStream_tbEUljE_ZNSN_ISO_Lb1ESR_SS_SU_SV_SZ_EES10_S11_S12_S13_S17_S18_S19_S1C_S1D_jS1E_jS1F_S1F_jjS1H_bEUljE0_EEES10_S11_S12_S19_S1D_S1F_T6_T7_T9_mT8_S1H_bDpT10_ENKUlT_T0_E_clISt17integral_constantIbLb0EES1V_EEDaS1Q_S1R_EUlS1Q_E_NS1_11comp_targetILNS1_3genE0ELNS1_11target_archE4294967295ELNS1_3gpuE0ELNS1_3repE0EEENS1_30default_config_static_selectorELNS0_4arch9wavefront6targetE0EEEvS13_
                                        ; -- End function
	.section	.AMDGPU.csdata,"",@progbits
; Kernel info:
; codeLenInByte = 0
; NumSgprs: 0
; NumVgprs: 0
; ScratchSize: 0
; MemoryBound: 0
; FloatMode: 240
; IeeeMode: 1
; LDSByteSize: 0 bytes/workgroup (compile time only)
; SGPRBlocks: 0
; VGPRBlocks: 0
; NumSGPRsForWavesPerEU: 1
; NumVGPRsForWavesPerEU: 1
; Occupancy: 16
; WaveLimiterHint : 0
; COMPUTE_PGM_RSRC2:SCRATCH_EN: 0
; COMPUTE_PGM_RSRC2:USER_SGPR: 15
; COMPUTE_PGM_RSRC2:TRAP_HANDLER: 0
; COMPUTE_PGM_RSRC2:TGID_X_EN: 1
; COMPUTE_PGM_RSRC2:TGID_Y_EN: 0
; COMPUTE_PGM_RSRC2:TGID_Z_EN: 0
; COMPUTE_PGM_RSRC2:TIDIG_COMP_CNT: 0
	.section	.text._ZN7rocprim17ROCPRIM_400000_NS6detail17trampoline_kernelINS0_13select_configILj256ELj13ELNS0_17block_load_methodE3ELS4_3ELS4_3ELNS0_20block_scan_algorithmE0ELj4294967295EEENS1_25partition_config_selectorILNS1_17partition_subalgoE4EjNS0_10empty_typeEbEEZZNS1_14partition_implILS8_4ELb0ES6_15HIP_vector_typeIjLj2EENS0_17counting_iteratorIjlEEPS9_SG_NS0_5tupleIJPjSI_NS0_16reverse_iteratorISI_EEEEENSH_IJSG_SG_SG_EEES9_SI_JZNS1_25segmented_radix_sort_implINS0_14default_configELb1EPK6__halfPSP_PKlPlN2at6native12_GLOBAL__N_18offset_tEEE10hipError_tPvRmT1_PNSt15iterator_traitsIS13_E10value_typeET2_T3_PNS14_IS19_E10value_typeET4_jRbjT5_S1F_jjP12ihipStream_tbEUljE_ZNSN_ISO_Lb1ESR_SS_SU_SV_SZ_EES10_S11_S12_S13_S17_S18_S19_S1C_S1D_jS1E_jS1F_S1F_jjS1H_bEUljE0_EEES10_S11_S12_S19_S1D_S1F_T6_T7_T9_mT8_S1H_bDpT10_ENKUlT_T0_E_clISt17integral_constantIbLb0EES1V_EEDaS1Q_S1R_EUlS1Q_E_NS1_11comp_targetILNS1_3genE5ELNS1_11target_archE942ELNS1_3gpuE9ELNS1_3repE0EEENS1_30default_config_static_selectorELNS0_4arch9wavefront6targetE0EEEvS13_,"axG",@progbits,_ZN7rocprim17ROCPRIM_400000_NS6detail17trampoline_kernelINS0_13select_configILj256ELj13ELNS0_17block_load_methodE3ELS4_3ELS4_3ELNS0_20block_scan_algorithmE0ELj4294967295EEENS1_25partition_config_selectorILNS1_17partition_subalgoE4EjNS0_10empty_typeEbEEZZNS1_14partition_implILS8_4ELb0ES6_15HIP_vector_typeIjLj2EENS0_17counting_iteratorIjlEEPS9_SG_NS0_5tupleIJPjSI_NS0_16reverse_iteratorISI_EEEEENSH_IJSG_SG_SG_EEES9_SI_JZNS1_25segmented_radix_sort_implINS0_14default_configELb1EPK6__halfPSP_PKlPlN2at6native12_GLOBAL__N_18offset_tEEE10hipError_tPvRmT1_PNSt15iterator_traitsIS13_E10value_typeET2_T3_PNS14_IS19_E10value_typeET4_jRbjT5_S1F_jjP12ihipStream_tbEUljE_ZNSN_ISO_Lb1ESR_SS_SU_SV_SZ_EES10_S11_S12_S13_S17_S18_S19_S1C_S1D_jS1E_jS1F_S1F_jjS1H_bEUljE0_EEES10_S11_S12_S19_S1D_S1F_T6_T7_T9_mT8_S1H_bDpT10_ENKUlT_T0_E_clISt17integral_constantIbLb0EES1V_EEDaS1Q_S1R_EUlS1Q_E_NS1_11comp_targetILNS1_3genE5ELNS1_11target_archE942ELNS1_3gpuE9ELNS1_3repE0EEENS1_30default_config_static_selectorELNS0_4arch9wavefront6targetE0EEEvS13_,comdat
	.globl	_ZN7rocprim17ROCPRIM_400000_NS6detail17trampoline_kernelINS0_13select_configILj256ELj13ELNS0_17block_load_methodE3ELS4_3ELS4_3ELNS0_20block_scan_algorithmE0ELj4294967295EEENS1_25partition_config_selectorILNS1_17partition_subalgoE4EjNS0_10empty_typeEbEEZZNS1_14partition_implILS8_4ELb0ES6_15HIP_vector_typeIjLj2EENS0_17counting_iteratorIjlEEPS9_SG_NS0_5tupleIJPjSI_NS0_16reverse_iteratorISI_EEEEENSH_IJSG_SG_SG_EEES9_SI_JZNS1_25segmented_radix_sort_implINS0_14default_configELb1EPK6__halfPSP_PKlPlN2at6native12_GLOBAL__N_18offset_tEEE10hipError_tPvRmT1_PNSt15iterator_traitsIS13_E10value_typeET2_T3_PNS14_IS19_E10value_typeET4_jRbjT5_S1F_jjP12ihipStream_tbEUljE_ZNSN_ISO_Lb1ESR_SS_SU_SV_SZ_EES10_S11_S12_S13_S17_S18_S19_S1C_S1D_jS1E_jS1F_S1F_jjS1H_bEUljE0_EEES10_S11_S12_S19_S1D_S1F_T6_T7_T9_mT8_S1H_bDpT10_ENKUlT_T0_E_clISt17integral_constantIbLb0EES1V_EEDaS1Q_S1R_EUlS1Q_E_NS1_11comp_targetILNS1_3genE5ELNS1_11target_archE942ELNS1_3gpuE9ELNS1_3repE0EEENS1_30default_config_static_selectorELNS0_4arch9wavefront6targetE0EEEvS13_ ; -- Begin function _ZN7rocprim17ROCPRIM_400000_NS6detail17trampoline_kernelINS0_13select_configILj256ELj13ELNS0_17block_load_methodE3ELS4_3ELS4_3ELNS0_20block_scan_algorithmE0ELj4294967295EEENS1_25partition_config_selectorILNS1_17partition_subalgoE4EjNS0_10empty_typeEbEEZZNS1_14partition_implILS8_4ELb0ES6_15HIP_vector_typeIjLj2EENS0_17counting_iteratorIjlEEPS9_SG_NS0_5tupleIJPjSI_NS0_16reverse_iteratorISI_EEEEENSH_IJSG_SG_SG_EEES9_SI_JZNS1_25segmented_radix_sort_implINS0_14default_configELb1EPK6__halfPSP_PKlPlN2at6native12_GLOBAL__N_18offset_tEEE10hipError_tPvRmT1_PNSt15iterator_traitsIS13_E10value_typeET2_T3_PNS14_IS19_E10value_typeET4_jRbjT5_S1F_jjP12ihipStream_tbEUljE_ZNSN_ISO_Lb1ESR_SS_SU_SV_SZ_EES10_S11_S12_S13_S17_S18_S19_S1C_S1D_jS1E_jS1F_S1F_jjS1H_bEUljE0_EEES10_S11_S12_S19_S1D_S1F_T6_T7_T9_mT8_S1H_bDpT10_ENKUlT_T0_E_clISt17integral_constantIbLb0EES1V_EEDaS1Q_S1R_EUlS1Q_E_NS1_11comp_targetILNS1_3genE5ELNS1_11target_archE942ELNS1_3gpuE9ELNS1_3repE0EEENS1_30default_config_static_selectorELNS0_4arch9wavefront6targetE0EEEvS13_
	.p2align	8
	.type	_ZN7rocprim17ROCPRIM_400000_NS6detail17trampoline_kernelINS0_13select_configILj256ELj13ELNS0_17block_load_methodE3ELS4_3ELS4_3ELNS0_20block_scan_algorithmE0ELj4294967295EEENS1_25partition_config_selectorILNS1_17partition_subalgoE4EjNS0_10empty_typeEbEEZZNS1_14partition_implILS8_4ELb0ES6_15HIP_vector_typeIjLj2EENS0_17counting_iteratorIjlEEPS9_SG_NS0_5tupleIJPjSI_NS0_16reverse_iteratorISI_EEEEENSH_IJSG_SG_SG_EEES9_SI_JZNS1_25segmented_radix_sort_implINS0_14default_configELb1EPK6__halfPSP_PKlPlN2at6native12_GLOBAL__N_18offset_tEEE10hipError_tPvRmT1_PNSt15iterator_traitsIS13_E10value_typeET2_T3_PNS14_IS19_E10value_typeET4_jRbjT5_S1F_jjP12ihipStream_tbEUljE_ZNSN_ISO_Lb1ESR_SS_SU_SV_SZ_EES10_S11_S12_S13_S17_S18_S19_S1C_S1D_jS1E_jS1F_S1F_jjS1H_bEUljE0_EEES10_S11_S12_S19_S1D_S1F_T6_T7_T9_mT8_S1H_bDpT10_ENKUlT_T0_E_clISt17integral_constantIbLb0EES1V_EEDaS1Q_S1R_EUlS1Q_E_NS1_11comp_targetILNS1_3genE5ELNS1_11target_archE942ELNS1_3gpuE9ELNS1_3repE0EEENS1_30default_config_static_selectorELNS0_4arch9wavefront6targetE0EEEvS13_,@function
_ZN7rocprim17ROCPRIM_400000_NS6detail17trampoline_kernelINS0_13select_configILj256ELj13ELNS0_17block_load_methodE3ELS4_3ELS4_3ELNS0_20block_scan_algorithmE0ELj4294967295EEENS1_25partition_config_selectorILNS1_17partition_subalgoE4EjNS0_10empty_typeEbEEZZNS1_14partition_implILS8_4ELb0ES6_15HIP_vector_typeIjLj2EENS0_17counting_iteratorIjlEEPS9_SG_NS0_5tupleIJPjSI_NS0_16reverse_iteratorISI_EEEEENSH_IJSG_SG_SG_EEES9_SI_JZNS1_25segmented_radix_sort_implINS0_14default_configELb1EPK6__halfPSP_PKlPlN2at6native12_GLOBAL__N_18offset_tEEE10hipError_tPvRmT1_PNSt15iterator_traitsIS13_E10value_typeET2_T3_PNS14_IS19_E10value_typeET4_jRbjT5_S1F_jjP12ihipStream_tbEUljE_ZNSN_ISO_Lb1ESR_SS_SU_SV_SZ_EES10_S11_S12_S13_S17_S18_S19_S1C_S1D_jS1E_jS1F_S1F_jjS1H_bEUljE0_EEES10_S11_S12_S19_S1D_S1F_T6_T7_T9_mT8_S1H_bDpT10_ENKUlT_T0_E_clISt17integral_constantIbLb0EES1V_EEDaS1Q_S1R_EUlS1Q_E_NS1_11comp_targetILNS1_3genE5ELNS1_11target_archE942ELNS1_3gpuE9ELNS1_3repE0EEENS1_30default_config_static_selectorELNS0_4arch9wavefront6targetE0EEEvS13_: ; @_ZN7rocprim17ROCPRIM_400000_NS6detail17trampoline_kernelINS0_13select_configILj256ELj13ELNS0_17block_load_methodE3ELS4_3ELS4_3ELNS0_20block_scan_algorithmE0ELj4294967295EEENS1_25partition_config_selectorILNS1_17partition_subalgoE4EjNS0_10empty_typeEbEEZZNS1_14partition_implILS8_4ELb0ES6_15HIP_vector_typeIjLj2EENS0_17counting_iteratorIjlEEPS9_SG_NS0_5tupleIJPjSI_NS0_16reverse_iteratorISI_EEEEENSH_IJSG_SG_SG_EEES9_SI_JZNS1_25segmented_radix_sort_implINS0_14default_configELb1EPK6__halfPSP_PKlPlN2at6native12_GLOBAL__N_18offset_tEEE10hipError_tPvRmT1_PNSt15iterator_traitsIS13_E10value_typeET2_T3_PNS14_IS19_E10value_typeET4_jRbjT5_S1F_jjP12ihipStream_tbEUljE_ZNSN_ISO_Lb1ESR_SS_SU_SV_SZ_EES10_S11_S12_S13_S17_S18_S19_S1C_S1D_jS1E_jS1F_S1F_jjS1H_bEUljE0_EEES10_S11_S12_S19_S1D_S1F_T6_T7_T9_mT8_S1H_bDpT10_ENKUlT_T0_E_clISt17integral_constantIbLb0EES1V_EEDaS1Q_S1R_EUlS1Q_E_NS1_11comp_targetILNS1_3genE5ELNS1_11target_archE942ELNS1_3gpuE9ELNS1_3repE0EEENS1_30default_config_static_selectorELNS0_4arch9wavefront6targetE0EEEvS13_
; %bb.0:
	.section	.rodata,"a",@progbits
	.p2align	6, 0x0
	.amdhsa_kernel _ZN7rocprim17ROCPRIM_400000_NS6detail17trampoline_kernelINS0_13select_configILj256ELj13ELNS0_17block_load_methodE3ELS4_3ELS4_3ELNS0_20block_scan_algorithmE0ELj4294967295EEENS1_25partition_config_selectorILNS1_17partition_subalgoE4EjNS0_10empty_typeEbEEZZNS1_14partition_implILS8_4ELb0ES6_15HIP_vector_typeIjLj2EENS0_17counting_iteratorIjlEEPS9_SG_NS0_5tupleIJPjSI_NS0_16reverse_iteratorISI_EEEEENSH_IJSG_SG_SG_EEES9_SI_JZNS1_25segmented_radix_sort_implINS0_14default_configELb1EPK6__halfPSP_PKlPlN2at6native12_GLOBAL__N_18offset_tEEE10hipError_tPvRmT1_PNSt15iterator_traitsIS13_E10value_typeET2_T3_PNS14_IS19_E10value_typeET4_jRbjT5_S1F_jjP12ihipStream_tbEUljE_ZNSN_ISO_Lb1ESR_SS_SU_SV_SZ_EES10_S11_S12_S13_S17_S18_S19_S1C_S1D_jS1E_jS1F_S1F_jjS1H_bEUljE0_EEES10_S11_S12_S19_S1D_S1F_T6_T7_T9_mT8_S1H_bDpT10_ENKUlT_T0_E_clISt17integral_constantIbLb0EES1V_EEDaS1Q_S1R_EUlS1Q_E_NS1_11comp_targetILNS1_3genE5ELNS1_11target_archE942ELNS1_3gpuE9ELNS1_3repE0EEENS1_30default_config_static_selectorELNS0_4arch9wavefront6targetE0EEEvS13_
		.amdhsa_group_segment_fixed_size 0
		.amdhsa_private_segment_fixed_size 0
		.amdhsa_kernarg_size 176
		.amdhsa_user_sgpr_count 15
		.amdhsa_user_sgpr_dispatch_ptr 0
		.amdhsa_user_sgpr_queue_ptr 0
		.amdhsa_user_sgpr_kernarg_segment_ptr 1
		.amdhsa_user_sgpr_dispatch_id 0
		.amdhsa_user_sgpr_private_segment_size 0
		.amdhsa_wavefront_size32 1
		.amdhsa_uses_dynamic_stack 0
		.amdhsa_enable_private_segment 0
		.amdhsa_system_sgpr_workgroup_id_x 1
		.amdhsa_system_sgpr_workgroup_id_y 0
		.amdhsa_system_sgpr_workgroup_id_z 0
		.amdhsa_system_sgpr_workgroup_info 0
		.amdhsa_system_vgpr_workitem_id 0
		.amdhsa_next_free_vgpr 1
		.amdhsa_next_free_sgpr 1
		.amdhsa_reserve_vcc 0
		.amdhsa_float_round_mode_32 0
		.amdhsa_float_round_mode_16_64 0
		.amdhsa_float_denorm_mode_32 3
		.amdhsa_float_denorm_mode_16_64 3
		.amdhsa_dx10_clamp 1
		.amdhsa_ieee_mode 1
		.amdhsa_fp16_overflow 0
		.amdhsa_workgroup_processor_mode 1
		.amdhsa_memory_ordered 1
		.amdhsa_forward_progress 0
		.amdhsa_shared_vgpr_count 0
		.amdhsa_exception_fp_ieee_invalid_op 0
		.amdhsa_exception_fp_denorm_src 0
		.amdhsa_exception_fp_ieee_div_zero 0
		.amdhsa_exception_fp_ieee_overflow 0
		.amdhsa_exception_fp_ieee_underflow 0
		.amdhsa_exception_fp_ieee_inexact 0
		.amdhsa_exception_int_div_zero 0
	.end_amdhsa_kernel
	.section	.text._ZN7rocprim17ROCPRIM_400000_NS6detail17trampoline_kernelINS0_13select_configILj256ELj13ELNS0_17block_load_methodE3ELS4_3ELS4_3ELNS0_20block_scan_algorithmE0ELj4294967295EEENS1_25partition_config_selectorILNS1_17partition_subalgoE4EjNS0_10empty_typeEbEEZZNS1_14partition_implILS8_4ELb0ES6_15HIP_vector_typeIjLj2EENS0_17counting_iteratorIjlEEPS9_SG_NS0_5tupleIJPjSI_NS0_16reverse_iteratorISI_EEEEENSH_IJSG_SG_SG_EEES9_SI_JZNS1_25segmented_radix_sort_implINS0_14default_configELb1EPK6__halfPSP_PKlPlN2at6native12_GLOBAL__N_18offset_tEEE10hipError_tPvRmT1_PNSt15iterator_traitsIS13_E10value_typeET2_T3_PNS14_IS19_E10value_typeET4_jRbjT5_S1F_jjP12ihipStream_tbEUljE_ZNSN_ISO_Lb1ESR_SS_SU_SV_SZ_EES10_S11_S12_S13_S17_S18_S19_S1C_S1D_jS1E_jS1F_S1F_jjS1H_bEUljE0_EEES10_S11_S12_S19_S1D_S1F_T6_T7_T9_mT8_S1H_bDpT10_ENKUlT_T0_E_clISt17integral_constantIbLb0EES1V_EEDaS1Q_S1R_EUlS1Q_E_NS1_11comp_targetILNS1_3genE5ELNS1_11target_archE942ELNS1_3gpuE9ELNS1_3repE0EEENS1_30default_config_static_selectorELNS0_4arch9wavefront6targetE0EEEvS13_,"axG",@progbits,_ZN7rocprim17ROCPRIM_400000_NS6detail17trampoline_kernelINS0_13select_configILj256ELj13ELNS0_17block_load_methodE3ELS4_3ELS4_3ELNS0_20block_scan_algorithmE0ELj4294967295EEENS1_25partition_config_selectorILNS1_17partition_subalgoE4EjNS0_10empty_typeEbEEZZNS1_14partition_implILS8_4ELb0ES6_15HIP_vector_typeIjLj2EENS0_17counting_iteratorIjlEEPS9_SG_NS0_5tupleIJPjSI_NS0_16reverse_iteratorISI_EEEEENSH_IJSG_SG_SG_EEES9_SI_JZNS1_25segmented_radix_sort_implINS0_14default_configELb1EPK6__halfPSP_PKlPlN2at6native12_GLOBAL__N_18offset_tEEE10hipError_tPvRmT1_PNSt15iterator_traitsIS13_E10value_typeET2_T3_PNS14_IS19_E10value_typeET4_jRbjT5_S1F_jjP12ihipStream_tbEUljE_ZNSN_ISO_Lb1ESR_SS_SU_SV_SZ_EES10_S11_S12_S13_S17_S18_S19_S1C_S1D_jS1E_jS1F_S1F_jjS1H_bEUljE0_EEES10_S11_S12_S19_S1D_S1F_T6_T7_T9_mT8_S1H_bDpT10_ENKUlT_T0_E_clISt17integral_constantIbLb0EES1V_EEDaS1Q_S1R_EUlS1Q_E_NS1_11comp_targetILNS1_3genE5ELNS1_11target_archE942ELNS1_3gpuE9ELNS1_3repE0EEENS1_30default_config_static_selectorELNS0_4arch9wavefront6targetE0EEEvS13_,comdat
.Lfunc_end1676:
	.size	_ZN7rocprim17ROCPRIM_400000_NS6detail17trampoline_kernelINS0_13select_configILj256ELj13ELNS0_17block_load_methodE3ELS4_3ELS4_3ELNS0_20block_scan_algorithmE0ELj4294967295EEENS1_25partition_config_selectorILNS1_17partition_subalgoE4EjNS0_10empty_typeEbEEZZNS1_14partition_implILS8_4ELb0ES6_15HIP_vector_typeIjLj2EENS0_17counting_iteratorIjlEEPS9_SG_NS0_5tupleIJPjSI_NS0_16reverse_iteratorISI_EEEEENSH_IJSG_SG_SG_EEES9_SI_JZNS1_25segmented_radix_sort_implINS0_14default_configELb1EPK6__halfPSP_PKlPlN2at6native12_GLOBAL__N_18offset_tEEE10hipError_tPvRmT1_PNSt15iterator_traitsIS13_E10value_typeET2_T3_PNS14_IS19_E10value_typeET4_jRbjT5_S1F_jjP12ihipStream_tbEUljE_ZNSN_ISO_Lb1ESR_SS_SU_SV_SZ_EES10_S11_S12_S13_S17_S18_S19_S1C_S1D_jS1E_jS1F_S1F_jjS1H_bEUljE0_EEES10_S11_S12_S19_S1D_S1F_T6_T7_T9_mT8_S1H_bDpT10_ENKUlT_T0_E_clISt17integral_constantIbLb0EES1V_EEDaS1Q_S1R_EUlS1Q_E_NS1_11comp_targetILNS1_3genE5ELNS1_11target_archE942ELNS1_3gpuE9ELNS1_3repE0EEENS1_30default_config_static_selectorELNS0_4arch9wavefront6targetE0EEEvS13_, .Lfunc_end1676-_ZN7rocprim17ROCPRIM_400000_NS6detail17trampoline_kernelINS0_13select_configILj256ELj13ELNS0_17block_load_methodE3ELS4_3ELS4_3ELNS0_20block_scan_algorithmE0ELj4294967295EEENS1_25partition_config_selectorILNS1_17partition_subalgoE4EjNS0_10empty_typeEbEEZZNS1_14partition_implILS8_4ELb0ES6_15HIP_vector_typeIjLj2EENS0_17counting_iteratorIjlEEPS9_SG_NS0_5tupleIJPjSI_NS0_16reverse_iteratorISI_EEEEENSH_IJSG_SG_SG_EEES9_SI_JZNS1_25segmented_radix_sort_implINS0_14default_configELb1EPK6__halfPSP_PKlPlN2at6native12_GLOBAL__N_18offset_tEEE10hipError_tPvRmT1_PNSt15iterator_traitsIS13_E10value_typeET2_T3_PNS14_IS19_E10value_typeET4_jRbjT5_S1F_jjP12ihipStream_tbEUljE_ZNSN_ISO_Lb1ESR_SS_SU_SV_SZ_EES10_S11_S12_S13_S17_S18_S19_S1C_S1D_jS1E_jS1F_S1F_jjS1H_bEUljE0_EEES10_S11_S12_S19_S1D_S1F_T6_T7_T9_mT8_S1H_bDpT10_ENKUlT_T0_E_clISt17integral_constantIbLb0EES1V_EEDaS1Q_S1R_EUlS1Q_E_NS1_11comp_targetILNS1_3genE5ELNS1_11target_archE942ELNS1_3gpuE9ELNS1_3repE0EEENS1_30default_config_static_selectorELNS0_4arch9wavefront6targetE0EEEvS13_
                                        ; -- End function
	.section	.AMDGPU.csdata,"",@progbits
; Kernel info:
; codeLenInByte = 0
; NumSgprs: 0
; NumVgprs: 0
; ScratchSize: 0
; MemoryBound: 0
; FloatMode: 240
; IeeeMode: 1
; LDSByteSize: 0 bytes/workgroup (compile time only)
; SGPRBlocks: 0
; VGPRBlocks: 0
; NumSGPRsForWavesPerEU: 1
; NumVGPRsForWavesPerEU: 1
; Occupancy: 16
; WaveLimiterHint : 0
; COMPUTE_PGM_RSRC2:SCRATCH_EN: 0
; COMPUTE_PGM_RSRC2:USER_SGPR: 15
; COMPUTE_PGM_RSRC2:TRAP_HANDLER: 0
; COMPUTE_PGM_RSRC2:TGID_X_EN: 1
; COMPUTE_PGM_RSRC2:TGID_Y_EN: 0
; COMPUTE_PGM_RSRC2:TGID_Z_EN: 0
; COMPUTE_PGM_RSRC2:TIDIG_COMP_CNT: 0
	.section	.text._ZN7rocprim17ROCPRIM_400000_NS6detail17trampoline_kernelINS0_13select_configILj256ELj13ELNS0_17block_load_methodE3ELS4_3ELS4_3ELNS0_20block_scan_algorithmE0ELj4294967295EEENS1_25partition_config_selectorILNS1_17partition_subalgoE4EjNS0_10empty_typeEbEEZZNS1_14partition_implILS8_4ELb0ES6_15HIP_vector_typeIjLj2EENS0_17counting_iteratorIjlEEPS9_SG_NS0_5tupleIJPjSI_NS0_16reverse_iteratorISI_EEEEENSH_IJSG_SG_SG_EEES9_SI_JZNS1_25segmented_radix_sort_implINS0_14default_configELb1EPK6__halfPSP_PKlPlN2at6native12_GLOBAL__N_18offset_tEEE10hipError_tPvRmT1_PNSt15iterator_traitsIS13_E10value_typeET2_T3_PNS14_IS19_E10value_typeET4_jRbjT5_S1F_jjP12ihipStream_tbEUljE_ZNSN_ISO_Lb1ESR_SS_SU_SV_SZ_EES10_S11_S12_S13_S17_S18_S19_S1C_S1D_jS1E_jS1F_S1F_jjS1H_bEUljE0_EEES10_S11_S12_S19_S1D_S1F_T6_T7_T9_mT8_S1H_bDpT10_ENKUlT_T0_E_clISt17integral_constantIbLb0EES1V_EEDaS1Q_S1R_EUlS1Q_E_NS1_11comp_targetILNS1_3genE4ELNS1_11target_archE910ELNS1_3gpuE8ELNS1_3repE0EEENS1_30default_config_static_selectorELNS0_4arch9wavefront6targetE0EEEvS13_,"axG",@progbits,_ZN7rocprim17ROCPRIM_400000_NS6detail17trampoline_kernelINS0_13select_configILj256ELj13ELNS0_17block_load_methodE3ELS4_3ELS4_3ELNS0_20block_scan_algorithmE0ELj4294967295EEENS1_25partition_config_selectorILNS1_17partition_subalgoE4EjNS0_10empty_typeEbEEZZNS1_14partition_implILS8_4ELb0ES6_15HIP_vector_typeIjLj2EENS0_17counting_iteratorIjlEEPS9_SG_NS0_5tupleIJPjSI_NS0_16reverse_iteratorISI_EEEEENSH_IJSG_SG_SG_EEES9_SI_JZNS1_25segmented_radix_sort_implINS0_14default_configELb1EPK6__halfPSP_PKlPlN2at6native12_GLOBAL__N_18offset_tEEE10hipError_tPvRmT1_PNSt15iterator_traitsIS13_E10value_typeET2_T3_PNS14_IS19_E10value_typeET4_jRbjT5_S1F_jjP12ihipStream_tbEUljE_ZNSN_ISO_Lb1ESR_SS_SU_SV_SZ_EES10_S11_S12_S13_S17_S18_S19_S1C_S1D_jS1E_jS1F_S1F_jjS1H_bEUljE0_EEES10_S11_S12_S19_S1D_S1F_T6_T7_T9_mT8_S1H_bDpT10_ENKUlT_T0_E_clISt17integral_constantIbLb0EES1V_EEDaS1Q_S1R_EUlS1Q_E_NS1_11comp_targetILNS1_3genE4ELNS1_11target_archE910ELNS1_3gpuE8ELNS1_3repE0EEENS1_30default_config_static_selectorELNS0_4arch9wavefront6targetE0EEEvS13_,comdat
	.globl	_ZN7rocprim17ROCPRIM_400000_NS6detail17trampoline_kernelINS0_13select_configILj256ELj13ELNS0_17block_load_methodE3ELS4_3ELS4_3ELNS0_20block_scan_algorithmE0ELj4294967295EEENS1_25partition_config_selectorILNS1_17partition_subalgoE4EjNS0_10empty_typeEbEEZZNS1_14partition_implILS8_4ELb0ES6_15HIP_vector_typeIjLj2EENS0_17counting_iteratorIjlEEPS9_SG_NS0_5tupleIJPjSI_NS0_16reverse_iteratorISI_EEEEENSH_IJSG_SG_SG_EEES9_SI_JZNS1_25segmented_radix_sort_implINS0_14default_configELb1EPK6__halfPSP_PKlPlN2at6native12_GLOBAL__N_18offset_tEEE10hipError_tPvRmT1_PNSt15iterator_traitsIS13_E10value_typeET2_T3_PNS14_IS19_E10value_typeET4_jRbjT5_S1F_jjP12ihipStream_tbEUljE_ZNSN_ISO_Lb1ESR_SS_SU_SV_SZ_EES10_S11_S12_S13_S17_S18_S19_S1C_S1D_jS1E_jS1F_S1F_jjS1H_bEUljE0_EEES10_S11_S12_S19_S1D_S1F_T6_T7_T9_mT8_S1H_bDpT10_ENKUlT_T0_E_clISt17integral_constantIbLb0EES1V_EEDaS1Q_S1R_EUlS1Q_E_NS1_11comp_targetILNS1_3genE4ELNS1_11target_archE910ELNS1_3gpuE8ELNS1_3repE0EEENS1_30default_config_static_selectorELNS0_4arch9wavefront6targetE0EEEvS13_ ; -- Begin function _ZN7rocprim17ROCPRIM_400000_NS6detail17trampoline_kernelINS0_13select_configILj256ELj13ELNS0_17block_load_methodE3ELS4_3ELS4_3ELNS0_20block_scan_algorithmE0ELj4294967295EEENS1_25partition_config_selectorILNS1_17partition_subalgoE4EjNS0_10empty_typeEbEEZZNS1_14partition_implILS8_4ELb0ES6_15HIP_vector_typeIjLj2EENS0_17counting_iteratorIjlEEPS9_SG_NS0_5tupleIJPjSI_NS0_16reverse_iteratorISI_EEEEENSH_IJSG_SG_SG_EEES9_SI_JZNS1_25segmented_radix_sort_implINS0_14default_configELb1EPK6__halfPSP_PKlPlN2at6native12_GLOBAL__N_18offset_tEEE10hipError_tPvRmT1_PNSt15iterator_traitsIS13_E10value_typeET2_T3_PNS14_IS19_E10value_typeET4_jRbjT5_S1F_jjP12ihipStream_tbEUljE_ZNSN_ISO_Lb1ESR_SS_SU_SV_SZ_EES10_S11_S12_S13_S17_S18_S19_S1C_S1D_jS1E_jS1F_S1F_jjS1H_bEUljE0_EEES10_S11_S12_S19_S1D_S1F_T6_T7_T9_mT8_S1H_bDpT10_ENKUlT_T0_E_clISt17integral_constantIbLb0EES1V_EEDaS1Q_S1R_EUlS1Q_E_NS1_11comp_targetILNS1_3genE4ELNS1_11target_archE910ELNS1_3gpuE8ELNS1_3repE0EEENS1_30default_config_static_selectorELNS0_4arch9wavefront6targetE0EEEvS13_
	.p2align	8
	.type	_ZN7rocprim17ROCPRIM_400000_NS6detail17trampoline_kernelINS0_13select_configILj256ELj13ELNS0_17block_load_methodE3ELS4_3ELS4_3ELNS0_20block_scan_algorithmE0ELj4294967295EEENS1_25partition_config_selectorILNS1_17partition_subalgoE4EjNS0_10empty_typeEbEEZZNS1_14partition_implILS8_4ELb0ES6_15HIP_vector_typeIjLj2EENS0_17counting_iteratorIjlEEPS9_SG_NS0_5tupleIJPjSI_NS0_16reverse_iteratorISI_EEEEENSH_IJSG_SG_SG_EEES9_SI_JZNS1_25segmented_radix_sort_implINS0_14default_configELb1EPK6__halfPSP_PKlPlN2at6native12_GLOBAL__N_18offset_tEEE10hipError_tPvRmT1_PNSt15iterator_traitsIS13_E10value_typeET2_T3_PNS14_IS19_E10value_typeET4_jRbjT5_S1F_jjP12ihipStream_tbEUljE_ZNSN_ISO_Lb1ESR_SS_SU_SV_SZ_EES10_S11_S12_S13_S17_S18_S19_S1C_S1D_jS1E_jS1F_S1F_jjS1H_bEUljE0_EEES10_S11_S12_S19_S1D_S1F_T6_T7_T9_mT8_S1H_bDpT10_ENKUlT_T0_E_clISt17integral_constantIbLb0EES1V_EEDaS1Q_S1R_EUlS1Q_E_NS1_11comp_targetILNS1_3genE4ELNS1_11target_archE910ELNS1_3gpuE8ELNS1_3repE0EEENS1_30default_config_static_selectorELNS0_4arch9wavefront6targetE0EEEvS13_,@function
_ZN7rocprim17ROCPRIM_400000_NS6detail17trampoline_kernelINS0_13select_configILj256ELj13ELNS0_17block_load_methodE3ELS4_3ELS4_3ELNS0_20block_scan_algorithmE0ELj4294967295EEENS1_25partition_config_selectorILNS1_17partition_subalgoE4EjNS0_10empty_typeEbEEZZNS1_14partition_implILS8_4ELb0ES6_15HIP_vector_typeIjLj2EENS0_17counting_iteratorIjlEEPS9_SG_NS0_5tupleIJPjSI_NS0_16reverse_iteratorISI_EEEEENSH_IJSG_SG_SG_EEES9_SI_JZNS1_25segmented_radix_sort_implINS0_14default_configELb1EPK6__halfPSP_PKlPlN2at6native12_GLOBAL__N_18offset_tEEE10hipError_tPvRmT1_PNSt15iterator_traitsIS13_E10value_typeET2_T3_PNS14_IS19_E10value_typeET4_jRbjT5_S1F_jjP12ihipStream_tbEUljE_ZNSN_ISO_Lb1ESR_SS_SU_SV_SZ_EES10_S11_S12_S13_S17_S18_S19_S1C_S1D_jS1E_jS1F_S1F_jjS1H_bEUljE0_EEES10_S11_S12_S19_S1D_S1F_T6_T7_T9_mT8_S1H_bDpT10_ENKUlT_T0_E_clISt17integral_constantIbLb0EES1V_EEDaS1Q_S1R_EUlS1Q_E_NS1_11comp_targetILNS1_3genE4ELNS1_11target_archE910ELNS1_3gpuE8ELNS1_3repE0EEENS1_30default_config_static_selectorELNS0_4arch9wavefront6targetE0EEEvS13_: ; @_ZN7rocprim17ROCPRIM_400000_NS6detail17trampoline_kernelINS0_13select_configILj256ELj13ELNS0_17block_load_methodE3ELS4_3ELS4_3ELNS0_20block_scan_algorithmE0ELj4294967295EEENS1_25partition_config_selectorILNS1_17partition_subalgoE4EjNS0_10empty_typeEbEEZZNS1_14partition_implILS8_4ELb0ES6_15HIP_vector_typeIjLj2EENS0_17counting_iteratorIjlEEPS9_SG_NS0_5tupleIJPjSI_NS0_16reverse_iteratorISI_EEEEENSH_IJSG_SG_SG_EEES9_SI_JZNS1_25segmented_radix_sort_implINS0_14default_configELb1EPK6__halfPSP_PKlPlN2at6native12_GLOBAL__N_18offset_tEEE10hipError_tPvRmT1_PNSt15iterator_traitsIS13_E10value_typeET2_T3_PNS14_IS19_E10value_typeET4_jRbjT5_S1F_jjP12ihipStream_tbEUljE_ZNSN_ISO_Lb1ESR_SS_SU_SV_SZ_EES10_S11_S12_S13_S17_S18_S19_S1C_S1D_jS1E_jS1F_S1F_jjS1H_bEUljE0_EEES10_S11_S12_S19_S1D_S1F_T6_T7_T9_mT8_S1H_bDpT10_ENKUlT_T0_E_clISt17integral_constantIbLb0EES1V_EEDaS1Q_S1R_EUlS1Q_E_NS1_11comp_targetILNS1_3genE4ELNS1_11target_archE910ELNS1_3gpuE8ELNS1_3repE0EEENS1_30default_config_static_selectorELNS0_4arch9wavefront6targetE0EEEvS13_
; %bb.0:
	.section	.rodata,"a",@progbits
	.p2align	6, 0x0
	.amdhsa_kernel _ZN7rocprim17ROCPRIM_400000_NS6detail17trampoline_kernelINS0_13select_configILj256ELj13ELNS0_17block_load_methodE3ELS4_3ELS4_3ELNS0_20block_scan_algorithmE0ELj4294967295EEENS1_25partition_config_selectorILNS1_17partition_subalgoE4EjNS0_10empty_typeEbEEZZNS1_14partition_implILS8_4ELb0ES6_15HIP_vector_typeIjLj2EENS0_17counting_iteratorIjlEEPS9_SG_NS0_5tupleIJPjSI_NS0_16reverse_iteratorISI_EEEEENSH_IJSG_SG_SG_EEES9_SI_JZNS1_25segmented_radix_sort_implINS0_14default_configELb1EPK6__halfPSP_PKlPlN2at6native12_GLOBAL__N_18offset_tEEE10hipError_tPvRmT1_PNSt15iterator_traitsIS13_E10value_typeET2_T3_PNS14_IS19_E10value_typeET4_jRbjT5_S1F_jjP12ihipStream_tbEUljE_ZNSN_ISO_Lb1ESR_SS_SU_SV_SZ_EES10_S11_S12_S13_S17_S18_S19_S1C_S1D_jS1E_jS1F_S1F_jjS1H_bEUljE0_EEES10_S11_S12_S19_S1D_S1F_T6_T7_T9_mT8_S1H_bDpT10_ENKUlT_T0_E_clISt17integral_constantIbLb0EES1V_EEDaS1Q_S1R_EUlS1Q_E_NS1_11comp_targetILNS1_3genE4ELNS1_11target_archE910ELNS1_3gpuE8ELNS1_3repE0EEENS1_30default_config_static_selectorELNS0_4arch9wavefront6targetE0EEEvS13_
		.amdhsa_group_segment_fixed_size 0
		.amdhsa_private_segment_fixed_size 0
		.amdhsa_kernarg_size 176
		.amdhsa_user_sgpr_count 15
		.amdhsa_user_sgpr_dispatch_ptr 0
		.amdhsa_user_sgpr_queue_ptr 0
		.amdhsa_user_sgpr_kernarg_segment_ptr 1
		.amdhsa_user_sgpr_dispatch_id 0
		.amdhsa_user_sgpr_private_segment_size 0
		.amdhsa_wavefront_size32 1
		.amdhsa_uses_dynamic_stack 0
		.amdhsa_enable_private_segment 0
		.amdhsa_system_sgpr_workgroup_id_x 1
		.amdhsa_system_sgpr_workgroup_id_y 0
		.amdhsa_system_sgpr_workgroup_id_z 0
		.amdhsa_system_sgpr_workgroup_info 0
		.amdhsa_system_vgpr_workitem_id 0
		.amdhsa_next_free_vgpr 1
		.amdhsa_next_free_sgpr 1
		.amdhsa_reserve_vcc 0
		.amdhsa_float_round_mode_32 0
		.amdhsa_float_round_mode_16_64 0
		.amdhsa_float_denorm_mode_32 3
		.amdhsa_float_denorm_mode_16_64 3
		.amdhsa_dx10_clamp 1
		.amdhsa_ieee_mode 1
		.amdhsa_fp16_overflow 0
		.amdhsa_workgroup_processor_mode 1
		.amdhsa_memory_ordered 1
		.amdhsa_forward_progress 0
		.amdhsa_shared_vgpr_count 0
		.amdhsa_exception_fp_ieee_invalid_op 0
		.amdhsa_exception_fp_denorm_src 0
		.amdhsa_exception_fp_ieee_div_zero 0
		.amdhsa_exception_fp_ieee_overflow 0
		.amdhsa_exception_fp_ieee_underflow 0
		.amdhsa_exception_fp_ieee_inexact 0
		.amdhsa_exception_int_div_zero 0
	.end_amdhsa_kernel
	.section	.text._ZN7rocprim17ROCPRIM_400000_NS6detail17trampoline_kernelINS0_13select_configILj256ELj13ELNS0_17block_load_methodE3ELS4_3ELS4_3ELNS0_20block_scan_algorithmE0ELj4294967295EEENS1_25partition_config_selectorILNS1_17partition_subalgoE4EjNS0_10empty_typeEbEEZZNS1_14partition_implILS8_4ELb0ES6_15HIP_vector_typeIjLj2EENS0_17counting_iteratorIjlEEPS9_SG_NS0_5tupleIJPjSI_NS0_16reverse_iteratorISI_EEEEENSH_IJSG_SG_SG_EEES9_SI_JZNS1_25segmented_radix_sort_implINS0_14default_configELb1EPK6__halfPSP_PKlPlN2at6native12_GLOBAL__N_18offset_tEEE10hipError_tPvRmT1_PNSt15iterator_traitsIS13_E10value_typeET2_T3_PNS14_IS19_E10value_typeET4_jRbjT5_S1F_jjP12ihipStream_tbEUljE_ZNSN_ISO_Lb1ESR_SS_SU_SV_SZ_EES10_S11_S12_S13_S17_S18_S19_S1C_S1D_jS1E_jS1F_S1F_jjS1H_bEUljE0_EEES10_S11_S12_S19_S1D_S1F_T6_T7_T9_mT8_S1H_bDpT10_ENKUlT_T0_E_clISt17integral_constantIbLb0EES1V_EEDaS1Q_S1R_EUlS1Q_E_NS1_11comp_targetILNS1_3genE4ELNS1_11target_archE910ELNS1_3gpuE8ELNS1_3repE0EEENS1_30default_config_static_selectorELNS0_4arch9wavefront6targetE0EEEvS13_,"axG",@progbits,_ZN7rocprim17ROCPRIM_400000_NS6detail17trampoline_kernelINS0_13select_configILj256ELj13ELNS0_17block_load_methodE3ELS4_3ELS4_3ELNS0_20block_scan_algorithmE0ELj4294967295EEENS1_25partition_config_selectorILNS1_17partition_subalgoE4EjNS0_10empty_typeEbEEZZNS1_14partition_implILS8_4ELb0ES6_15HIP_vector_typeIjLj2EENS0_17counting_iteratorIjlEEPS9_SG_NS0_5tupleIJPjSI_NS0_16reverse_iteratorISI_EEEEENSH_IJSG_SG_SG_EEES9_SI_JZNS1_25segmented_radix_sort_implINS0_14default_configELb1EPK6__halfPSP_PKlPlN2at6native12_GLOBAL__N_18offset_tEEE10hipError_tPvRmT1_PNSt15iterator_traitsIS13_E10value_typeET2_T3_PNS14_IS19_E10value_typeET4_jRbjT5_S1F_jjP12ihipStream_tbEUljE_ZNSN_ISO_Lb1ESR_SS_SU_SV_SZ_EES10_S11_S12_S13_S17_S18_S19_S1C_S1D_jS1E_jS1F_S1F_jjS1H_bEUljE0_EEES10_S11_S12_S19_S1D_S1F_T6_T7_T9_mT8_S1H_bDpT10_ENKUlT_T0_E_clISt17integral_constantIbLb0EES1V_EEDaS1Q_S1R_EUlS1Q_E_NS1_11comp_targetILNS1_3genE4ELNS1_11target_archE910ELNS1_3gpuE8ELNS1_3repE0EEENS1_30default_config_static_selectorELNS0_4arch9wavefront6targetE0EEEvS13_,comdat
.Lfunc_end1677:
	.size	_ZN7rocprim17ROCPRIM_400000_NS6detail17trampoline_kernelINS0_13select_configILj256ELj13ELNS0_17block_load_methodE3ELS4_3ELS4_3ELNS0_20block_scan_algorithmE0ELj4294967295EEENS1_25partition_config_selectorILNS1_17partition_subalgoE4EjNS0_10empty_typeEbEEZZNS1_14partition_implILS8_4ELb0ES6_15HIP_vector_typeIjLj2EENS0_17counting_iteratorIjlEEPS9_SG_NS0_5tupleIJPjSI_NS0_16reverse_iteratorISI_EEEEENSH_IJSG_SG_SG_EEES9_SI_JZNS1_25segmented_radix_sort_implINS0_14default_configELb1EPK6__halfPSP_PKlPlN2at6native12_GLOBAL__N_18offset_tEEE10hipError_tPvRmT1_PNSt15iterator_traitsIS13_E10value_typeET2_T3_PNS14_IS19_E10value_typeET4_jRbjT5_S1F_jjP12ihipStream_tbEUljE_ZNSN_ISO_Lb1ESR_SS_SU_SV_SZ_EES10_S11_S12_S13_S17_S18_S19_S1C_S1D_jS1E_jS1F_S1F_jjS1H_bEUljE0_EEES10_S11_S12_S19_S1D_S1F_T6_T7_T9_mT8_S1H_bDpT10_ENKUlT_T0_E_clISt17integral_constantIbLb0EES1V_EEDaS1Q_S1R_EUlS1Q_E_NS1_11comp_targetILNS1_3genE4ELNS1_11target_archE910ELNS1_3gpuE8ELNS1_3repE0EEENS1_30default_config_static_selectorELNS0_4arch9wavefront6targetE0EEEvS13_, .Lfunc_end1677-_ZN7rocprim17ROCPRIM_400000_NS6detail17trampoline_kernelINS0_13select_configILj256ELj13ELNS0_17block_load_methodE3ELS4_3ELS4_3ELNS0_20block_scan_algorithmE0ELj4294967295EEENS1_25partition_config_selectorILNS1_17partition_subalgoE4EjNS0_10empty_typeEbEEZZNS1_14partition_implILS8_4ELb0ES6_15HIP_vector_typeIjLj2EENS0_17counting_iteratorIjlEEPS9_SG_NS0_5tupleIJPjSI_NS0_16reverse_iteratorISI_EEEEENSH_IJSG_SG_SG_EEES9_SI_JZNS1_25segmented_radix_sort_implINS0_14default_configELb1EPK6__halfPSP_PKlPlN2at6native12_GLOBAL__N_18offset_tEEE10hipError_tPvRmT1_PNSt15iterator_traitsIS13_E10value_typeET2_T3_PNS14_IS19_E10value_typeET4_jRbjT5_S1F_jjP12ihipStream_tbEUljE_ZNSN_ISO_Lb1ESR_SS_SU_SV_SZ_EES10_S11_S12_S13_S17_S18_S19_S1C_S1D_jS1E_jS1F_S1F_jjS1H_bEUljE0_EEES10_S11_S12_S19_S1D_S1F_T6_T7_T9_mT8_S1H_bDpT10_ENKUlT_T0_E_clISt17integral_constantIbLb0EES1V_EEDaS1Q_S1R_EUlS1Q_E_NS1_11comp_targetILNS1_3genE4ELNS1_11target_archE910ELNS1_3gpuE8ELNS1_3repE0EEENS1_30default_config_static_selectorELNS0_4arch9wavefront6targetE0EEEvS13_
                                        ; -- End function
	.section	.AMDGPU.csdata,"",@progbits
; Kernel info:
; codeLenInByte = 0
; NumSgprs: 0
; NumVgprs: 0
; ScratchSize: 0
; MemoryBound: 0
; FloatMode: 240
; IeeeMode: 1
; LDSByteSize: 0 bytes/workgroup (compile time only)
; SGPRBlocks: 0
; VGPRBlocks: 0
; NumSGPRsForWavesPerEU: 1
; NumVGPRsForWavesPerEU: 1
; Occupancy: 16
; WaveLimiterHint : 0
; COMPUTE_PGM_RSRC2:SCRATCH_EN: 0
; COMPUTE_PGM_RSRC2:USER_SGPR: 15
; COMPUTE_PGM_RSRC2:TRAP_HANDLER: 0
; COMPUTE_PGM_RSRC2:TGID_X_EN: 1
; COMPUTE_PGM_RSRC2:TGID_Y_EN: 0
; COMPUTE_PGM_RSRC2:TGID_Z_EN: 0
; COMPUTE_PGM_RSRC2:TIDIG_COMP_CNT: 0
	.section	.text._ZN7rocprim17ROCPRIM_400000_NS6detail17trampoline_kernelINS0_13select_configILj256ELj13ELNS0_17block_load_methodE3ELS4_3ELS4_3ELNS0_20block_scan_algorithmE0ELj4294967295EEENS1_25partition_config_selectorILNS1_17partition_subalgoE4EjNS0_10empty_typeEbEEZZNS1_14partition_implILS8_4ELb0ES6_15HIP_vector_typeIjLj2EENS0_17counting_iteratorIjlEEPS9_SG_NS0_5tupleIJPjSI_NS0_16reverse_iteratorISI_EEEEENSH_IJSG_SG_SG_EEES9_SI_JZNS1_25segmented_radix_sort_implINS0_14default_configELb1EPK6__halfPSP_PKlPlN2at6native12_GLOBAL__N_18offset_tEEE10hipError_tPvRmT1_PNSt15iterator_traitsIS13_E10value_typeET2_T3_PNS14_IS19_E10value_typeET4_jRbjT5_S1F_jjP12ihipStream_tbEUljE_ZNSN_ISO_Lb1ESR_SS_SU_SV_SZ_EES10_S11_S12_S13_S17_S18_S19_S1C_S1D_jS1E_jS1F_S1F_jjS1H_bEUljE0_EEES10_S11_S12_S19_S1D_S1F_T6_T7_T9_mT8_S1H_bDpT10_ENKUlT_T0_E_clISt17integral_constantIbLb0EES1V_EEDaS1Q_S1R_EUlS1Q_E_NS1_11comp_targetILNS1_3genE3ELNS1_11target_archE908ELNS1_3gpuE7ELNS1_3repE0EEENS1_30default_config_static_selectorELNS0_4arch9wavefront6targetE0EEEvS13_,"axG",@progbits,_ZN7rocprim17ROCPRIM_400000_NS6detail17trampoline_kernelINS0_13select_configILj256ELj13ELNS0_17block_load_methodE3ELS4_3ELS4_3ELNS0_20block_scan_algorithmE0ELj4294967295EEENS1_25partition_config_selectorILNS1_17partition_subalgoE4EjNS0_10empty_typeEbEEZZNS1_14partition_implILS8_4ELb0ES6_15HIP_vector_typeIjLj2EENS0_17counting_iteratorIjlEEPS9_SG_NS0_5tupleIJPjSI_NS0_16reverse_iteratorISI_EEEEENSH_IJSG_SG_SG_EEES9_SI_JZNS1_25segmented_radix_sort_implINS0_14default_configELb1EPK6__halfPSP_PKlPlN2at6native12_GLOBAL__N_18offset_tEEE10hipError_tPvRmT1_PNSt15iterator_traitsIS13_E10value_typeET2_T3_PNS14_IS19_E10value_typeET4_jRbjT5_S1F_jjP12ihipStream_tbEUljE_ZNSN_ISO_Lb1ESR_SS_SU_SV_SZ_EES10_S11_S12_S13_S17_S18_S19_S1C_S1D_jS1E_jS1F_S1F_jjS1H_bEUljE0_EEES10_S11_S12_S19_S1D_S1F_T6_T7_T9_mT8_S1H_bDpT10_ENKUlT_T0_E_clISt17integral_constantIbLb0EES1V_EEDaS1Q_S1R_EUlS1Q_E_NS1_11comp_targetILNS1_3genE3ELNS1_11target_archE908ELNS1_3gpuE7ELNS1_3repE0EEENS1_30default_config_static_selectorELNS0_4arch9wavefront6targetE0EEEvS13_,comdat
	.globl	_ZN7rocprim17ROCPRIM_400000_NS6detail17trampoline_kernelINS0_13select_configILj256ELj13ELNS0_17block_load_methodE3ELS4_3ELS4_3ELNS0_20block_scan_algorithmE0ELj4294967295EEENS1_25partition_config_selectorILNS1_17partition_subalgoE4EjNS0_10empty_typeEbEEZZNS1_14partition_implILS8_4ELb0ES6_15HIP_vector_typeIjLj2EENS0_17counting_iteratorIjlEEPS9_SG_NS0_5tupleIJPjSI_NS0_16reverse_iteratorISI_EEEEENSH_IJSG_SG_SG_EEES9_SI_JZNS1_25segmented_radix_sort_implINS0_14default_configELb1EPK6__halfPSP_PKlPlN2at6native12_GLOBAL__N_18offset_tEEE10hipError_tPvRmT1_PNSt15iterator_traitsIS13_E10value_typeET2_T3_PNS14_IS19_E10value_typeET4_jRbjT5_S1F_jjP12ihipStream_tbEUljE_ZNSN_ISO_Lb1ESR_SS_SU_SV_SZ_EES10_S11_S12_S13_S17_S18_S19_S1C_S1D_jS1E_jS1F_S1F_jjS1H_bEUljE0_EEES10_S11_S12_S19_S1D_S1F_T6_T7_T9_mT8_S1H_bDpT10_ENKUlT_T0_E_clISt17integral_constantIbLb0EES1V_EEDaS1Q_S1R_EUlS1Q_E_NS1_11comp_targetILNS1_3genE3ELNS1_11target_archE908ELNS1_3gpuE7ELNS1_3repE0EEENS1_30default_config_static_selectorELNS0_4arch9wavefront6targetE0EEEvS13_ ; -- Begin function _ZN7rocprim17ROCPRIM_400000_NS6detail17trampoline_kernelINS0_13select_configILj256ELj13ELNS0_17block_load_methodE3ELS4_3ELS4_3ELNS0_20block_scan_algorithmE0ELj4294967295EEENS1_25partition_config_selectorILNS1_17partition_subalgoE4EjNS0_10empty_typeEbEEZZNS1_14partition_implILS8_4ELb0ES6_15HIP_vector_typeIjLj2EENS0_17counting_iteratorIjlEEPS9_SG_NS0_5tupleIJPjSI_NS0_16reverse_iteratorISI_EEEEENSH_IJSG_SG_SG_EEES9_SI_JZNS1_25segmented_radix_sort_implINS0_14default_configELb1EPK6__halfPSP_PKlPlN2at6native12_GLOBAL__N_18offset_tEEE10hipError_tPvRmT1_PNSt15iterator_traitsIS13_E10value_typeET2_T3_PNS14_IS19_E10value_typeET4_jRbjT5_S1F_jjP12ihipStream_tbEUljE_ZNSN_ISO_Lb1ESR_SS_SU_SV_SZ_EES10_S11_S12_S13_S17_S18_S19_S1C_S1D_jS1E_jS1F_S1F_jjS1H_bEUljE0_EEES10_S11_S12_S19_S1D_S1F_T6_T7_T9_mT8_S1H_bDpT10_ENKUlT_T0_E_clISt17integral_constantIbLb0EES1V_EEDaS1Q_S1R_EUlS1Q_E_NS1_11comp_targetILNS1_3genE3ELNS1_11target_archE908ELNS1_3gpuE7ELNS1_3repE0EEENS1_30default_config_static_selectorELNS0_4arch9wavefront6targetE0EEEvS13_
	.p2align	8
	.type	_ZN7rocprim17ROCPRIM_400000_NS6detail17trampoline_kernelINS0_13select_configILj256ELj13ELNS0_17block_load_methodE3ELS4_3ELS4_3ELNS0_20block_scan_algorithmE0ELj4294967295EEENS1_25partition_config_selectorILNS1_17partition_subalgoE4EjNS0_10empty_typeEbEEZZNS1_14partition_implILS8_4ELb0ES6_15HIP_vector_typeIjLj2EENS0_17counting_iteratorIjlEEPS9_SG_NS0_5tupleIJPjSI_NS0_16reverse_iteratorISI_EEEEENSH_IJSG_SG_SG_EEES9_SI_JZNS1_25segmented_radix_sort_implINS0_14default_configELb1EPK6__halfPSP_PKlPlN2at6native12_GLOBAL__N_18offset_tEEE10hipError_tPvRmT1_PNSt15iterator_traitsIS13_E10value_typeET2_T3_PNS14_IS19_E10value_typeET4_jRbjT5_S1F_jjP12ihipStream_tbEUljE_ZNSN_ISO_Lb1ESR_SS_SU_SV_SZ_EES10_S11_S12_S13_S17_S18_S19_S1C_S1D_jS1E_jS1F_S1F_jjS1H_bEUljE0_EEES10_S11_S12_S19_S1D_S1F_T6_T7_T9_mT8_S1H_bDpT10_ENKUlT_T0_E_clISt17integral_constantIbLb0EES1V_EEDaS1Q_S1R_EUlS1Q_E_NS1_11comp_targetILNS1_3genE3ELNS1_11target_archE908ELNS1_3gpuE7ELNS1_3repE0EEENS1_30default_config_static_selectorELNS0_4arch9wavefront6targetE0EEEvS13_,@function
_ZN7rocprim17ROCPRIM_400000_NS6detail17trampoline_kernelINS0_13select_configILj256ELj13ELNS0_17block_load_methodE3ELS4_3ELS4_3ELNS0_20block_scan_algorithmE0ELj4294967295EEENS1_25partition_config_selectorILNS1_17partition_subalgoE4EjNS0_10empty_typeEbEEZZNS1_14partition_implILS8_4ELb0ES6_15HIP_vector_typeIjLj2EENS0_17counting_iteratorIjlEEPS9_SG_NS0_5tupleIJPjSI_NS0_16reverse_iteratorISI_EEEEENSH_IJSG_SG_SG_EEES9_SI_JZNS1_25segmented_radix_sort_implINS0_14default_configELb1EPK6__halfPSP_PKlPlN2at6native12_GLOBAL__N_18offset_tEEE10hipError_tPvRmT1_PNSt15iterator_traitsIS13_E10value_typeET2_T3_PNS14_IS19_E10value_typeET4_jRbjT5_S1F_jjP12ihipStream_tbEUljE_ZNSN_ISO_Lb1ESR_SS_SU_SV_SZ_EES10_S11_S12_S13_S17_S18_S19_S1C_S1D_jS1E_jS1F_S1F_jjS1H_bEUljE0_EEES10_S11_S12_S19_S1D_S1F_T6_T7_T9_mT8_S1H_bDpT10_ENKUlT_T0_E_clISt17integral_constantIbLb0EES1V_EEDaS1Q_S1R_EUlS1Q_E_NS1_11comp_targetILNS1_3genE3ELNS1_11target_archE908ELNS1_3gpuE7ELNS1_3repE0EEENS1_30default_config_static_selectorELNS0_4arch9wavefront6targetE0EEEvS13_: ; @_ZN7rocprim17ROCPRIM_400000_NS6detail17trampoline_kernelINS0_13select_configILj256ELj13ELNS0_17block_load_methodE3ELS4_3ELS4_3ELNS0_20block_scan_algorithmE0ELj4294967295EEENS1_25partition_config_selectorILNS1_17partition_subalgoE4EjNS0_10empty_typeEbEEZZNS1_14partition_implILS8_4ELb0ES6_15HIP_vector_typeIjLj2EENS0_17counting_iteratorIjlEEPS9_SG_NS0_5tupleIJPjSI_NS0_16reverse_iteratorISI_EEEEENSH_IJSG_SG_SG_EEES9_SI_JZNS1_25segmented_radix_sort_implINS0_14default_configELb1EPK6__halfPSP_PKlPlN2at6native12_GLOBAL__N_18offset_tEEE10hipError_tPvRmT1_PNSt15iterator_traitsIS13_E10value_typeET2_T3_PNS14_IS19_E10value_typeET4_jRbjT5_S1F_jjP12ihipStream_tbEUljE_ZNSN_ISO_Lb1ESR_SS_SU_SV_SZ_EES10_S11_S12_S13_S17_S18_S19_S1C_S1D_jS1E_jS1F_S1F_jjS1H_bEUljE0_EEES10_S11_S12_S19_S1D_S1F_T6_T7_T9_mT8_S1H_bDpT10_ENKUlT_T0_E_clISt17integral_constantIbLb0EES1V_EEDaS1Q_S1R_EUlS1Q_E_NS1_11comp_targetILNS1_3genE3ELNS1_11target_archE908ELNS1_3gpuE7ELNS1_3repE0EEENS1_30default_config_static_selectorELNS0_4arch9wavefront6targetE0EEEvS13_
; %bb.0:
	.section	.rodata,"a",@progbits
	.p2align	6, 0x0
	.amdhsa_kernel _ZN7rocprim17ROCPRIM_400000_NS6detail17trampoline_kernelINS0_13select_configILj256ELj13ELNS0_17block_load_methodE3ELS4_3ELS4_3ELNS0_20block_scan_algorithmE0ELj4294967295EEENS1_25partition_config_selectorILNS1_17partition_subalgoE4EjNS0_10empty_typeEbEEZZNS1_14partition_implILS8_4ELb0ES6_15HIP_vector_typeIjLj2EENS0_17counting_iteratorIjlEEPS9_SG_NS0_5tupleIJPjSI_NS0_16reverse_iteratorISI_EEEEENSH_IJSG_SG_SG_EEES9_SI_JZNS1_25segmented_radix_sort_implINS0_14default_configELb1EPK6__halfPSP_PKlPlN2at6native12_GLOBAL__N_18offset_tEEE10hipError_tPvRmT1_PNSt15iterator_traitsIS13_E10value_typeET2_T3_PNS14_IS19_E10value_typeET4_jRbjT5_S1F_jjP12ihipStream_tbEUljE_ZNSN_ISO_Lb1ESR_SS_SU_SV_SZ_EES10_S11_S12_S13_S17_S18_S19_S1C_S1D_jS1E_jS1F_S1F_jjS1H_bEUljE0_EEES10_S11_S12_S19_S1D_S1F_T6_T7_T9_mT8_S1H_bDpT10_ENKUlT_T0_E_clISt17integral_constantIbLb0EES1V_EEDaS1Q_S1R_EUlS1Q_E_NS1_11comp_targetILNS1_3genE3ELNS1_11target_archE908ELNS1_3gpuE7ELNS1_3repE0EEENS1_30default_config_static_selectorELNS0_4arch9wavefront6targetE0EEEvS13_
		.amdhsa_group_segment_fixed_size 0
		.amdhsa_private_segment_fixed_size 0
		.amdhsa_kernarg_size 176
		.amdhsa_user_sgpr_count 15
		.amdhsa_user_sgpr_dispatch_ptr 0
		.amdhsa_user_sgpr_queue_ptr 0
		.amdhsa_user_sgpr_kernarg_segment_ptr 1
		.amdhsa_user_sgpr_dispatch_id 0
		.amdhsa_user_sgpr_private_segment_size 0
		.amdhsa_wavefront_size32 1
		.amdhsa_uses_dynamic_stack 0
		.amdhsa_enable_private_segment 0
		.amdhsa_system_sgpr_workgroup_id_x 1
		.amdhsa_system_sgpr_workgroup_id_y 0
		.amdhsa_system_sgpr_workgroup_id_z 0
		.amdhsa_system_sgpr_workgroup_info 0
		.amdhsa_system_vgpr_workitem_id 0
		.amdhsa_next_free_vgpr 1
		.amdhsa_next_free_sgpr 1
		.amdhsa_reserve_vcc 0
		.amdhsa_float_round_mode_32 0
		.amdhsa_float_round_mode_16_64 0
		.amdhsa_float_denorm_mode_32 3
		.amdhsa_float_denorm_mode_16_64 3
		.amdhsa_dx10_clamp 1
		.amdhsa_ieee_mode 1
		.amdhsa_fp16_overflow 0
		.amdhsa_workgroup_processor_mode 1
		.amdhsa_memory_ordered 1
		.amdhsa_forward_progress 0
		.amdhsa_shared_vgpr_count 0
		.amdhsa_exception_fp_ieee_invalid_op 0
		.amdhsa_exception_fp_denorm_src 0
		.amdhsa_exception_fp_ieee_div_zero 0
		.amdhsa_exception_fp_ieee_overflow 0
		.amdhsa_exception_fp_ieee_underflow 0
		.amdhsa_exception_fp_ieee_inexact 0
		.amdhsa_exception_int_div_zero 0
	.end_amdhsa_kernel
	.section	.text._ZN7rocprim17ROCPRIM_400000_NS6detail17trampoline_kernelINS0_13select_configILj256ELj13ELNS0_17block_load_methodE3ELS4_3ELS4_3ELNS0_20block_scan_algorithmE0ELj4294967295EEENS1_25partition_config_selectorILNS1_17partition_subalgoE4EjNS0_10empty_typeEbEEZZNS1_14partition_implILS8_4ELb0ES6_15HIP_vector_typeIjLj2EENS0_17counting_iteratorIjlEEPS9_SG_NS0_5tupleIJPjSI_NS0_16reverse_iteratorISI_EEEEENSH_IJSG_SG_SG_EEES9_SI_JZNS1_25segmented_radix_sort_implINS0_14default_configELb1EPK6__halfPSP_PKlPlN2at6native12_GLOBAL__N_18offset_tEEE10hipError_tPvRmT1_PNSt15iterator_traitsIS13_E10value_typeET2_T3_PNS14_IS19_E10value_typeET4_jRbjT5_S1F_jjP12ihipStream_tbEUljE_ZNSN_ISO_Lb1ESR_SS_SU_SV_SZ_EES10_S11_S12_S13_S17_S18_S19_S1C_S1D_jS1E_jS1F_S1F_jjS1H_bEUljE0_EEES10_S11_S12_S19_S1D_S1F_T6_T7_T9_mT8_S1H_bDpT10_ENKUlT_T0_E_clISt17integral_constantIbLb0EES1V_EEDaS1Q_S1R_EUlS1Q_E_NS1_11comp_targetILNS1_3genE3ELNS1_11target_archE908ELNS1_3gpuE7ELNS1_3repE0EEENS1_30default_config_static_selectorELNS0_4arch9wavefront6targetE0EEEvS13_,"axG",@progbits,_ZN7rocprim17ROCPRIM_400000_NS6detail17trampoline_kernelINS0_13select_configILj256ELj13ELNS0_17block_load_methodE3ELS4_3ELS4_3ELNS0_20block_scan_algorithmE0ELj4294967295EEENS1_25partition_config_selectorILNS1_17partition_subalgoE4EjNS0_10empty_typeEbEEZZNS1_14partition_implILS8_4ELb0ES6_15HIP_vector_typeIjLj2EENS0_17counting_iteratorIjlEEPS9_SG_NS0_5tupleIJPjSI_NS0_16reverse_iteratorISI_EEEEENSH_IJSG_SG_SG_EEES9_SI_JZNS1_25segmented_radix_sort_implINS0_14default_configELb1EPK6__halfPSP_PKlPlN2at6native12_GLOBAL__N_18offset_tEEE10hipError_tPvRmT1_PNSt15iterator_traitsIS13_E10value_typeET2_T3_PNS14_IS19_E10value_typeET4_jRbjT5_S1F_jjP12ihipStream_tbEUljE_ZNSN_ISO_Lb1ESR_SS_SU_SV_SZ_EES10_S11_S12_S13_S17_S18_S19_S1C_S1D_jS1E_jS1F_S1F_jjS1H_bEUljE0_EEES10_S11_S12_S19_S1D_S1F_T6_T7_T9_mT8_S1H_bDpT10_ENKUlT_T0_E_clISt17integral_constantIbLb0EES1V_EEDaS1Q_S1R_EUlS1Q_E_NS1_11comp_targetILNS1_3genE3ELNS1_11target_archE908ELNS1_3gpuE7ELNS1_3repE0EEENS1_30default_config_static_selectorELNS0_4arch9wavefront6targetE0EEEvS13_,comdat
.Lfunc_end1678:
	.size	_ZN7rocprim17ROCPRIM_400000_NS6detail17trampoline_kernelINS0_13select_configILj256ELj13ELNS0_17block_load_methodE3ELS4_3ELS4_3ELNS0_20block_scan_algorithmE0ELj4294967295EEENS1_25partition_config_selectorILNS1_17partition_subalgoE4EjNS0_10empty_typeEbEEZZNS1_14partition_implILS8_4ELb0ES6_15HIP_vector_typeIjLj2EENS0_17counting_iteratorIjlEEPS9_SG_NS0_5tupleIJPjSI_NS0_16reverse_iteratorISI_EEEEENSH_IJSG_SG_SG_EEES9_SI_JZNS1_25segmented_radix_sort_implINS0_14default_configELb1EPK6__halfPSP_PKlPlN2at6native12_GLOBAL__N_18offset_tEEE10hipError_tPvRmT1_PNSt15iterator_traitsIS13_E10value_typeET2_T3_PNS14_IS19_E10value_typeET4_jRbjT5_S1F_jjP12ihipStream_tbEUljE_ZNSN_ISO_Lb1ESR_SS_SU_SV_SZ_EES10_S11_S12_S13_S17_S18_S19_S1C_S1D_jS1E_jS1F_S1F_jjS1H_bEUljE0_EEES10_S11_S12_S19_S1D_S1F_T6_T7_T9_mT8_S1H_bDpT10_ENKUlT_T0_E_clISt17integral_constantIbLb0EES1V_EEDaS1Q_S1R_EUlS1Q_E_NS1_11comp_targetILNS1_3genE3ELNS1_11target_archE908ELNS1_3gpuE7ELNS1_3repE0EEENS1_30default_config_static_selectorELNS0_4arch9wavefront6targetE0EEEvS13_, .Lfunc_end1678-_ZN7rocprim17ROCPRIM_400000_NS6detail17trampoline_kernelINS0_13select_configILj256ELj13ELNS0_17block_load_methodE3ELS4_3ELS4_3ELNS0_20block_scan_algorithmE0ELj4294967295EEENS1_25partition_config_selectorILNS1_17partition_subalgoE4EjNS0_10empty_typeEbEEZZNS1_14partition_implILS8_4ELb0ES6_15HIP_vector_typeIjLj2EENS0_17counting_iteratorIjlEEPS9_SG_NS0_5tupleIJPjSI_NS0_16reverse_iteratorISI_EEEEENSH_IJSG_SG_SG_EEES9_SI_JZNS1_25segmented_radix_sort_implINS0_14default_configELb1EPK6__halfPSP_PKlPlN2at6native12_GLOBAL__N_18offset_tEEE10hipError_tPvRmT1_PNSt15iterator_traitsIS13_E10value_typeET2_T3_PNS14_IS19_E10value_typeET4_jRbjT5_S1F_jjP12ihipStream_tbEUljE_ZNSN_ISO_Lb1ESR_SS_SU_SV_SZ_EES10_S11_S12_S13_S17_S18_S19_S1C_S1D_jS1E_jS1F_S1F_jjS1H_bEUljE0_EEES10_S11_S12_S19_S1D_S1F_T6_T7_T9_mT8_S1H_bDpT10_ENKUlT_T0_E_clISt17integral_constantIbLb0EES1V_EEDaS1Q_S1R_EUlS1Q_E_NS1_11comp_targetILNS1_3genE3ELNS1_11target_archE908ELNS1_3gpuE7ELNS1_3repE0EEENS1_30default_config_static_selectorELNS0_4arch9wavefront6targetE0EEEvS13_
                                        ; -- End function
	.section	.AMDGPU.csdata,"",@progbits
; Kernel info:
; codeLenInByte = 0
; NumSgprs: 0
; NumVgprs: 0
; ScratchSize: 0
; MemoryBound: 0
; FloatMode: 240
; IeeeMode: 1
; LDSByteSize: 0 bytes/workgroup (compile time only)
; SGPRBlocks: 0
; VGPRBlocks: 0
; NumSGPRsForWavesPerEU: 1
; NumVGPRsForWavesPerEU: 1
; Occupancy: 16
; WaveLimiterHint : 0
; COMPUTE_PGM_RSRC2:SCRATCH_EN: 0
; COMPUTE_PGM_RSRC2:USER_SGPR: 15
; COMPUTE_PGM_RSRC2:TRAP_HANDLER: 0
; COMPUTE_PGM_RSRC2:TGID_X_EN: 1
; COMPUTE_PGM_RSRC2:TGID_Y_EN: 0
; COMPUTE_PGM_RSRC2:TGID_Z_EN: 0
; COMPUTE_PGM_RSRC2:TIDIG_COMP_CNT: 0
	.section	.text._ZN7rocprim17ROCPRIM_400000_NS6detail17trampoline_kernelINS0_13select_configILj256ELj13ELNS0_17block_load_methodE3ELS4_3ELS4_3ELNS0_20block_scan_algorithmE0ELj4294967295EEENS1_25partition_config_selectorILNS1_17partition_subalgoE4EjNS0_10empty_typeEbEEZZNS1_14partition_implILS8_4ELb0ES6_15HIP_vector_typeIjLj2EENS0_17counting_iteratorIjlEEPS9_SG_NS0_5tupleIJPjSI_NS0_16reverse_iteratorISI_EEEEENSH_IJSG_SG_SG_EEES9_SI_JZNS1_25segmented_radix_sort_implINS0_14default_configELb1EPK6__halfPSP_PKlPlN2at6native12_GLOBAL__N_18offset_tEEE10hipError_tPvRmT1_PNSt15iterator_traitsIS13_E10value_typeET2_T3_PNS14_IS19_E10value_typeET4_jRbjT5_S1F_jjP12ihipStream_tbEUljE_ZNSN_ISO_Lb1ESR_SS_SU_SV_SZ_EES10_S11_S12_S13_S17_S18_S19_S1C_S1D_jS1E_jS1F_S1F_jjS1H_bEUljE0_EEES10_S11_S12_S19_S1D_S1F_T6_T7_T9_mT8_S1H_bDpT10_ENKUlT_T0_E_clISt17integral_constantIbLb0EES1V_EEDaS1Q_S1R_EUlS1Q_E_NS1_11comp_targetILNS1_3genE2ELNS1_11target_archE906ELNS1_3gpuE6ELNS1_3repE0EEENS1_30default_config_static_selectorELNS0_4arch9wavefront6targetE0EEEvS13_,"axG",@progbits,_ZN7rocprim17ROCPRIM_400000_NS6detail17trampoline_kernelINS0_13select_configILj256ELj13ELNS0_17block_load_methodE3ELS4_3ELS4_3ELNS0_20block_scan_algorithmE0ELj4294967295EEENS1_25partition_config_selectorILNS1_17partition_subalgoE4EjNS0_10empty_typeEbEEZZNS1_14partition_implILS8_4ELb0ES6_15HIP_vector_typeIjLj2EENS0_17counting_iteratorIjlEEPS9_SG_NS0_5tupleIJPjSI_NS0_16reverse_iteratorISI_EEEEENSH_IJSG_SG_SG_EEES9_SI_JZNS1_25segmented_radix_sort_implINS0_14default_configELb1EPK6__halfPSP_PKlPlN2at6native12_GLOBAL__N_18offset_tEEE10hipError_tPvRmT1_PNSt15iterator_traitsIS13_E10value_typeET2_T3_PNS14_IS19_E10value_typeET4_jRbjT5_S1F_jjP12ihipStream_tbEUljE_ZNSN_ISO_Lb1ESR_SS_SU_SV_SZ_EES10_S11_S12_S13_S17_S18_S19_S1C_S1D_jS1E_jS1F_S1F_jjS1H_bEUljE0_EEES10_S11_S12_S19_S1D_S1F_T6_T7_T9_mT8_S1H_bDpT10_ENKUlT_T0_E_clISt17integral_constantIbLb0EES1V_EEDaS1Q_S1R_EUlS1Q_E_NS1_11comp_targetILNS1_3genE2ELNS1_11target_archE906ELNS1_3gpuE6ELNS1_3repE0EEENS1_30default_config_static_selectorELNS0_4arch9wavefront6targetE0EEEvS13_,comdat
	.globl	_ZN7rocprim17ROCPRIM_400000_NS6detail17trampoline_kernelINS0_13select_configILj256ELj13ELNS0_17block_load_methodE3ELS4_3ELS4_3ELNS0_20block_scan_algorithmE0ELj4294967295EEENS1_25partition_config_selectorILNS1_17partition_subalgoE4EjNS0_10empty_typeEbEEZZNS1_14partition_implILS8_4ELb0ES6_15HIP_vector_typeIjLj2EENS0_17counting_iteratorIjlEEPS9_SG_NS0_5tupleIJPjSI_NS0_16reverse_iteratorISI_EEEEENSH_IJSG_SG_SG_EEES9_SI_JZNS1_25segmented_radix_sort_implINS0_14default_configELb1EPK6__halfPSP_PKlPlN2at6native12_GLOBAL__N_18offset_tEEE10hipError_tPvRmT1_PNSt15iterator_traitsIS13_E10value_typeET2_T3_PNS14_IS19_E10value_typeET4_jRbjT5_S1F_jjP12ihipStream_tbEUljE_ZNSN_ISO_Lb1ESR_SS_SU_SV_SZ_EES10_S11_S12_S13_S17_S18_S19_S1C_S1D_jS1E_jS1F_S1F_jjS1H_bEUljE0_EEES10_S11_S12_S19_S1D_S1F_T6_T7_T9_mT8_S1H_bDpT10_ENKUlT_T0_E_clISt17integral_constantIbLb0EES1V_EEDaS1Q_S1R_EUlS1Q_E_NS1_11comp_targetILNS1_3genE2ELNS1_11target_archE906ELNS1_3gpuE6ELNS1_3repE0EEENS1_30default_config_static_selectorELNS0_4arch9wavefront6targetE0EEEvS13_ ; -- Begin function _ZN7rocprim17ROCPRIM_400000_NS6detail17trampoline_kernelINS0_13select_configILj256ELj13ELNS0_17block_load_methodE3ELS4_3ELS4_3ELNS0_20block_scan_algorithmE0ELj4294967295EEENS1_25partition_config_selectorILNS1_17partition_subalgoE4EjNS0_10empty_typeEbEEZZNS1_14partition_implILS8_4ELb0ES6_15HIP_vector_typeIjLj2EENS0_17counting_iteratorIjlEEPS9_SG_NS0_5tupleIJPjSI_NS0_16reverse_iteratorISI_EEEEENSH_IJSG_SG_SG_EEES9_SI_JZNS1_25segmented_radix_sort_implINS0_14default_configELb1EPK6__halfPSP_PKlPlN2at6native12_GLOBAL__N_18offset_tEEE10hipError_tPvRmT1_PNSt15iterator_traitsIS13_E10value_typeET2_T3_PNS14_IS19_E10value_typeET4_jRbjT5_S1F_jjP12ihipStream_tbEUljE_ZNSN_ISO_Lb1ESR_SS_SU_SV_SZ_EES10_S11_S12_S13_S17_S18_S19_S1C_S1D_jS1E_jS1F_S1F_jjS1H_bEUljE0_EEES10_S11_S12_S19_S1D_S1F_T6_T7_T9_mT8_S1H_bDpT10_ENKUlT_T0_E_clISt17integral_constantIbLb0EES1V_EEDaS1Q_S1R_EUlS1Q_E_NS1_11comp_targetILNS1_3genE2ELNS1_11target_archE906ELNS1_3gpuE6ELNS1_3repE0EEENS1_30default_config_static_selectorELNS0_4arch9wavefront6targetE0EEEvS13_
	.p2align	8
	.type	_ZN7rocprim17ROCPRIM_400000_NS6detail17trampoline_kernelINS0_13select_configILj256ELj13ELNS0_17block_load_methodE3ELS4_3ELS4_3ELNS0_20block_scan_algorithmE0ELj4294967295EEENS1_25partition_config_selectorILNS1_17partition_subalgoE4EjNS0_10empty_typeEbEEZZNS1_14partition_implILS8_4ELb0ES6_15HIP_vector_typeIjLj2EENS0_17counting_iteratorIjlEEPS9_SG_NS0_5tupleIJPjSI_NS0_16reverse_iteratorISI_EEEEENSH_IJSG_SG_SG_EEES9_SI_JZNS1_25segmented_radix_sort_implINS0_14default_configELb1EPK6__halfPSP_PKlPlN2at6native12_GLOBAL__N_18offset_tEEE10hipError_tPvRmT1_PNSt15iterator_traitsIS13_E10value_typeET2_T3_PNS14_IS19_E10value_typeET4_jRbjT5_S1F_jjP12ihipStream_tbEUljE_ZNSN_ISO_Lb1ESR_SS_SU_SV_SZ_EES10_S11_S12_S13_S17_S18_S19_S1C_S1D_jS1E_jS1F_S1F_jjS1H_bEUljE0_EEES10_S11_S12_S19_S1D_S1F_T6_T7_T9_mT8_S1H_bDpT10_ENKUlT_T0_E_clISt17integral_constantIbLb0EES1V_EEDaS1Q_S1R_EUlS1Q_E_NS1_11comp_targetILNS1_3genE2ELNS1_11target_archE906ELNS1_3gpuE6ELNS1_3repE0EEENS1_30default_config_static_selectorELNS0_4arch9wavefront6targetE0EEEvS13_,@function
_ZN7rocprim17ROCPRIM_400000_NS6detail17trampoline_kernelINS0_13select_configILj256ELj13ELNS0_17block_load_methodE3ELS4_3ELS4_3ELNS0_20block_scan_algorithmE0ELj4294967295EEENS1_25partition_config_selectorILNS1_17partition_subalgoE4EjNS0_10empty_typeEbEEZZNS1_14partition_implILS8_4ELb0ES6_15HIP_vector_typeIjLj2EENS0_17counting_iteratorIjlEEPS9_SG_NS0_5tupleIJPjSI_NS0_16reverse_iteratorISI_EEEEENSH_IJSG_SG_SG_EEES9_SI_JZNS1_25segmented_radix_sort_implINS0_14default_configELb1EPK6__halfPSP_PKlPlN2at6native12_GLOBAL__N_18offset_tEEE10hipError_tPvRmT1_PNSt15iterator_traitsIS13_E10value_typeET2_T3_PNS14_IS19_E10value_typeET4_jRbjT5_S1F_jjP12ihipStream_tbEUljE_ZNSN_ISO_Lb1ESR_SS_SU_SV_SZ_EES10_S11_S12_S13_S17_S18_S19_S1C_S1D_jS1E_jS1F_S1F_jjS1H_bEUljE0_EEES10_S11_S12_S19_S1D_S1F_T6_T7_T9_mT8_S1H_bDpT10_ENKUlT_T0_E_clISt17integral_constantIbLb0EES1V_EEDaS1Q_S1R_EUlS1Q_E_NS1_11comp_targetILNS1_3genE2ELNS1_11target_archE906ELNS1_3gpuE6ELNS1_3repE0EEENS1_30default_config_static_selectorELNS0_4arch9wavefront6targetE0EEEvS13_: ; @_ZN7rocprim17ROCPRIM_400000_NS6detail17trampoline_kernelINS0_13select_configILj256ELj13ELNS0_17block_load_methodE3ELS4_3ELS4_3ELNS0_20block_scan_algorithmE0ELj4294967295EEENS1_25partition_config_selectorILNS1_17partition_subalgoE4EjNS0_10empty_typeEbEEZZNS1_14partition_implILS8_4ELb0ES6_15HIP_vector_typeIjLj2EENS0_17counting_iteratorIjlEEPS9_SG_NS0_5tupleIJPjSI_NS0_16reverse_iteratorISI_EEEEENSH_IJSG_SG_SG_EEES9_SI_JZNS1_25segmented_radix_sort_implINS0_14default_configELb1EPK6__halfPSP_PKlPlN2at6native12_GLOBAL__N_18offset_tEEE10hipError_tPvRmT1_PNSt15iterator_traitsIS13_E10value_typeET2_T3_PNS14_IS19_E10value_typeET4_jRbjT5_S1F_jjP12ihipStream_tbEUljE_ZNSN_ISO_Lb1ESR_SS_SU_SV_SZ_EES10_S11_S12_S13_S17_S18_S19_S1C_S1D_jS1E_jS1F_S1F_jjS1H_bEUljE0_EEES10_S11_S12_S19_S1D_S1F_T6_T7_T9_mT8_S1H_bDpT10_ENKUlT_T0_E_clISt17integral_constantIbLb0EES1V_EEDaS1Q_S1R_EUlS1Q_E_NS1_11comp_targetILNS1_3genE2ELNS1_11target_archE906ELNS1_3gpuE6ELNS1_3repE0EEENS1_30default_config_static_selectorELNS0_4arch9wavefront6targetE0EEEvS13_
; %bb.0:
	.section	.rodata,"a",@progbits
	.p2align	6, 0x0
	.amdhsa_kernel _ZN7rocprim17ROCPRIM_400000_NS6detail17trampoline_kernelINS0_13select_configILj256ELj13ELNS0_17block_load_methodE3ELS4_3ELS4_3ELNS0_20block_scan_algorithmE0ELj4294967295EEENS1_25partition_config_selectorILNS1_17partition_subalgoE4EjNS0_10empty_typeEbEEZZNS1_14partition_implILS8_4ELb0ES6_15HIP_vector_typeIjLj2EENS0_17counting_iteratorIjlEEPS9_SG_NS0_5tupleIJPjSI_NS0_16reverse_iteratorISI_EEEEENSH_IJSG_SG_SG_EEES9_SI_JZNS1_25segmented_radix_sort_implINS0_14default_configELb1EPK6__halfPSP_PKlPlN2at6native12_GLOBAL__N_18offset_tEEE10hipError_tPvRmT1_PNSt15iterator_traitsIS13_E10value_typeET2_T3_PNS14_IS19_E10value_typeET4_jRbjT5_S1F_jjP12ihipStream_tbEUljE_ZNSN_ISO_Lb1ESR_SS_SU_SV_SZ_EES10_S11_S12_S13_S17_S18_S19_S1C_S1D_jS1E_jS1F_S1F_jjS1H_bEUljE0_EEES10_S11_S12_S19_S1D_S1F_T6_T7_T9_mT8_S1H_bDpT10_ENKUlT_T0_E_clISt17integral_constantIbLb0EES1V_EEDaS1Q_S1R_EUlS1Q_E_NS1_11comp_targetILNS1_3genE2ELNS1_11target_archE906ELNS1_3gpuE6ELNS1_3repE0EEENS1_30default_config_static_selectorELNS0_4arch9wavefront6targetE0EEEvS13_
		.amdhsa_group_segment_fixed_size 0
		.amdhsa_private_segment_fixed_size 0
		.amdhsa_kernarg_size 176
		.amdhsa_user_sgpr_count 15
		.amdhsa_user_sgpr_dispatch_ptr 0
		.amdhsa_user_sgpr_queue_ptr 0
		.amdhsa_user_sgpr_kernarg_segment_ptr 1
		.amdhsa_user_sgpr_dispatch_id 0
		.amdhsa_user_sgpr_private_segment_size 0
		.amdhsa_wavefront_size32 1
		.amdhsa_uses_dynamic_stack 0
		.amdhsa_enable_private_segment 0
		.amdhsa_system_sgpr_workgroup_id_x 1
		.amdhsa_system_sgpr_workgroup_id_y 0
		.amdhsa_system_sgpr_workgroup_id_z 0
		.amdhsa_system_sgpr_workgroup_info 0
		.amdhsa_system_vgpr_workitem_id 0
		.amdhsa_next_free_vgpr 1
		.amdhsa_next_free_sgpr 1
		.amdhsa_reserve_vcc 0
		.amdhsa_float_round_mode_32 0
		.amdhsa_float_round_mode_16_64 0
		.amdhsa_float_denorm_mode_32 3
		.amdhsa_float_denorm_mode_16_64 3
		.amdhsa_dx10_clamp 1
		.amdhsa_ieee_mode 1
		.amdhsa_fp16_overflow 0
		.amdhsa_workgroup_processor_mode 1
		.amdhsa_memory_ordered 1
		.amdhsa_forward_progress 0
		.amdhsa_shared_vgpr_count 0
		.amdhsa_exception_fp_ieee_invalid_op 0
		.amdhsa_exception_fp_denorm_src 0
		.amdhsa_exception_fp_ieee_div_zero 0
		.amdhsa_exception_fp_ieee_overflow 0
		.amdhsa_exception_fp_ieee_underflow 0
		.amdhsa_exception_fp_ieee_inexact 0
		.amdhsa_exception_int_div_zero 0
	.end_amdhsa_kernel
	.section	.text._ZN7rocprim17ROCPRIM_400000_NS6detail17trampoline_kernelINS0_13select_configILj256ELj13ELNS0_17block_load_methodE3ELS4_3ELS4_3ELNS0_20block_scan_algorithmE0ELj4294967295EEENS1_25partition_config_selectorILNS1_17partition_subalgoE4EjNS0_10empty_typeEbEEZZNS1_14partition_implILS8_4ELb0ES6_15HIP_vector_typeIjLj2EENS0_17counting_iteratorIjlEEPS9_SG_NS0_5tupleIJPjSI_NS0_16reverse_iteratorISI_EEEEENSH_IJSG_SG_SG_EEES9_SI_JZNS1_25segmented_radix_sort_implINS0_14default_configELb1EPK6__halfPSP_PKlPlN2at6native12_GLOBAL__N_18offset_tEEE10hipError_tPvRmT1_PNSt15iterator_traitsIS13_E10value_typeET2_T3_PNS14_IS19_E10value_typeET4_jRbjT5_S1F_jjP12ihipStream_tbEUljE_ZNSN_ISO_Lb1ESR_SS_SU_SV_SZ_EES10_S11_S12_S13_S17_S18_S19_S1C_S1D_jS1E_jS1F_S1F_jjS1H_bEUljE0_EEES10_S11_S12_S19_S1D_S1F_T6_T7_T9_mT8_S1H_bDpT10_ENKUlT_T0_E_clISt17integral_constantIbLb0EES1V_EEDaS1Q_S1R_EUlS1Q_E_NS1_11comp_targetILNS1_3genE2ELNS1_11target_archE906ELNS1_3gpuE6ELNS1_3repE0EEENS1_30default_config_static_selectorELNS0_4arch9wavefront6targetE0EEEvS13_,"axG",@progbits,_ZN7rocprim17ROCPRIM_400000_NS6detail17trampoline_kernelINS0_13select_configILj256ELj13ELNS0_17block_load_methodE3ELS4_3ELS4_3ELNS0_20block_scan_algorithmE0ELj4294967295EEENS1_25partition_config_selectorILNS1_17partition_subalgoE4EjNS0_10empty_typeEbEEZZNS1_14partition_implILS8_4ELb0ES6_15HIP_vector_typeIjLj2EENS0_17counting_iteratorIjlEEPS9_SG_NS0_5tupleIJPjSI_NS0_16reverse_iteratorISI_EEEEENSH_IJSG_SG_SG_EEES9_SI_JZNS1_25segmented_radix_sort_implINS0_14default_configELb1EPK6__halfPSP_PKlPlN2at6native12_GLOBAL__N_18offset_tEEE10hipError_tPvRmT1_PNSt15iterator_traitsIS13_E10value_typeET2_T3_PNS14_IS19_E10value_typeET4_jRbjT5_S1F_jjP12ihipStream_tbEUljE_ZNSN_ISO_Lb1ESR_SS_SU_SV_SZ_EES10_S11_S12_S13_S17_S18_S19_S1C_S1D_jS1E_jS1F_S1F_jjS1H_bEUljE0_EEES10_S11_S12_S19_S1D_S1F_T6_T7_T9_mT8_S1H_bDpT10_ENKUlT_T0_E_clISt17integral_constantIbLb0EES1V_EEDaS1Q_S1R_EUlS1Q_E_NS1_11comp_targetILNS1_3genE2ELNS1_11target_archE906ELNS1_3gpuE6ELNS1_3repE0EEENS1_30default_config_static_selectorELNS0_4arch9wavefront6targetE0EEEvS13_,comdat
.Lfunc_end1679:
	.size	_ZN7rocprim17ROCPRIM_400000_NS6detail17trampoline_kernelINS0_13select_configILj256ELj13ELNS0_17block_load_methodE3ELS4_3ELS4_3ELNS0_20block_scan_algorithmE0ELj4294967295EEENS1_25partition_config_selectorILNS1_17partition_subalgoE4EjNS0_10empty_typeEbEEZZNS1_14partition_implILS8_4ELb0ES6_15HIP_vector_typeIjLj2EENS0_17counting_iteratorIjlEEPS9_SG_NS0_5tupleIJPjSI_NS0_16reverse_iteratorISI_EEEEENSH_IJSG_SG_SG_EEES9_SI_JZNS1_25segmented_radix_sort_implINS0_14default_configELb1EPK6__halfPSP_PKlPlN2at6native12_GLOBAL__N_18offset_tEEE10hipError_tPvRmT1_PNSt15iterator_traitsIS13_E10value_typeET2_T3_PNS14_IS19_E10value_typeET4_jRbjT5_S1F_jjP12ihipStream_tbEUljE_ZNSN_ISO_Lb1ESR_SS_SU_SV_SZ_EES10_S11_S12_S13_S17_S18_S19_S1C_S1D_jS1E_jS1F_S1F_jjS1H_bEUljE0_EEES10_S11_S12_S19_S1D_S1F_T6_T7_T9_mT8_S1H_bDpT10_ENKUlT_T0_E_clISt17integral_constantIbLb0EES1V_EEDaS1Q_S1R_EUlS1Q_E_NS1_11comp_targetILNS1_3genE2ELNS1_11target_archE906ELNS1_3gpuE6ELNS1_3repE0EEENS1_30default_config_static_selectorELNS0_4arch9wavefront6targetE0EEEvS13_, .Lfunc_end1679-_ZN7rocprim17ROCPRIM_400000_NS6detail17trampoline_kernelINS0_13select_configILj256ELj13ELNS0_17block_load_methodE3ELS4_3ELS4_3ELNS0_20block_scan_algorithmE0ELj4294967295EEENS1_25partition_config_selectorILNS1_17partition_subalgoE4EjNS0_10empty_typeEbEEZZNS1_14partition_implILS8_4ELb0ES6_15HIP_vector_typeIjLj2EENS0_17counting_iteratorIjlEEPS9_SG_NS0_5tupleIJPjSI_NS0_16reverse_iteratorISI_EEEEENSH_IJSG_SG_SG_EEES9_SI_JZNS1_25segmented_radix_sort_implINS0_14default_configELb1EPK6__halfPSP_PKlPlN2at6native12_GLOBAL__N_18offset_tEEE10hipError_tPvRmT1_PNSt15iterator_traitsIS13_E10value_typeET2_T3_PNS14_IS19_E10value_typeET4_jRbjT5_S1F_jjP12ihipStream_tbEUljE_ZNSN_ISO_Lb1ESR_SS_SU_SV_SZ_EES10_S11_S12_S13_S17_S18_S19_S1C_S1D_jS1E_jS1F_S1F_jjS1H_bEUljE0_EEES10_S11_S12_S19_S1D_S1F_T6_T7_T9_mT8_S1H_bDpT10_ENKUlT_T0_E_clISt17integral_constantIbLb0EES1V_EEDaS1Q_S1R_EUlS1Q_E_NS1_11comp_targetILNS1_3genE2ELNS1_11target_archE906ELNS1_3gpuE6ELNS1_3repE0EEENS1_30default_config_static_selectorELNS0_4arch9wavefront6targetE0EEEvS13_
                                        ; -- End function
	.section	.AMDGPU.csdata,"",@progbits
; Kernel info:
; codeLenInByte = 0
; NumSgprs: 0
; NumVgprs: 0
; ScratchSize: 0
; MemoryBound: 0
; FloatMode: 240
; IeeeMode: 1
; LDSByteSize: 0 bytes/workgroup (compile time only)
; SGPRBlocks: 0
; VGPRBlocks: 0
; NumSGPRsForWavesPerEU: 1
; NumVGPRsForWavesPerEU: 1
; Occupancy: 16
; WaveLimiterHint : 0
; COMPUTE_PGM_RSRC2:SCRATCH_EN: 0
; COMPUTE_PGM_RSRC2:USER_SGPR: 15
; COMPUTE_PGM_RSRC2:TRAP_HANDLER: 0
; COMPUTE_PGM_RSRC2:TGID_X_EN: 1
; COMPUTE_PGM_RSRC2:TGID_Y_EN: 0
; COMPUTE_PGM_RSRC2:TGID_Z_EN: 0
; COMPUTE_PGM_RSRC2:TIDIG_COMP_CNT: 0
	.section	.text._ZN7rocprim17ROCPRIM_400000_NS6detail17trampoline_kernelINS0_13select_configILj256ELj13ELNS0_17block_load_methodE3ELS4_3ELS4_3ELNS0_20block_scan_algorithmE0ELj4294967295EEENS1_25partition_config_selectorILNS1_17partition_subalgoE4EjNS0_10empty_typeEbEEZZNS1_14partition_implILS8_4ELb0ES6_15HIP_vector_typeIjLj2EENS0_17counting_iteratorIjlEEPS9_SG_NS0_5tupleIJPjSI_NS0_16reverse_iteratorISI_EEEEENSH_IJSG_SG_SG_EEES9_SI_JZNS1_25segmented_radix_sort_implINS0_14default_configELb1EPK6__halfPSP_PKlPlN2at6native12_GLOBAL__N_18offset_tEEE10hipError_tPvRmT1_PNSt15iterator_traitsIS13_E10value_typeET2_T3_PNS14_IS19_E10value_typeET4_jRbjT5_S1F_jjP12ihipStream_tbEUljE_ZNSN_ISO_Lb1ESR_SS_SU_SV_SZ_EES10_S11_S12_S13_S17_S18_S19_S1C_S1D_jS1E_jS1F_S1F_jjS1H_bEUljE0_EEES10_S11_S12_S19_S1D_S1F_T6_T7_T9_mT8_S1H_bDpT10_ENKUlT_T0_E_clISt17integral_constantIbLb0EES1V_EEDaS1Q_S1R_EUlS1Q_E_NS1_11comp_targetILNS1_3genE10ELNS1_11target_archE1200ELNS1_3gpuE4ELNS1_3repE0EEENS1_30default_config_static_selectorELNS0_4arch9wavefront6targetE0EEEvS13_,"axG",@progbits,_ZN7rocprim17ROCPRIM_400000_NS6detail17trampoline_kernelINS0_13select_configILj256ELj13ELNS0_17block_load_methodE3ELS4_3ELS4_3ELNS0_20block_scan_algorithmE0ELj4294967295EEENS1_25partition_config_selectorILNS1_17partition_subalgoE4EjNS0_10empty_typeEbEEZZNS1_14partition_implILS8_4ELb0ES6_15HIP_vector_typeIjLj2EENS0_17counting_iteratorIjlEEPS9_SG_NS0_5tupleIJPjSI_NS0_16reverse_iteratorISI_EEEEENSH_IJSG_SG_SG_EEES9_SI_JZNS1_25segmented_radix_sort_implINS0_14default_configELb1EPK6__halfPSP_PKlPlN2at6native12_GLOBAL__N_18offset_tEEE10hipError_tPvRmT1_PNSt15iterator_traitsIS13_E10value_typeET2_T3_PNS14_IS19_E10value_typeET4_jRbjT5_S1F_jjP12ihipStream_tbEUljE_ZNSN_ISO_Lb1ESR_SS_SU_SV_SZ_EES10_S11_S12_S13_S17_S18_S19_S1C_S1D_jS1E_jS1F_S1F_jjS1H_bEUljE0_EEES10_S11_S12_S19_S1D_S1F_T6_T7_T9_mT8_S1H_bDpT10_ENKUlT_T0_E_clISt17integral_constantIbLb0EES1V_EEDaS1Q_S1R_EUlS1Q_E_NS1_11comp_targetILNS1_3genE10ELNS1_11target_archE1200ELNS1_3gpuE4ELNS1_3repE0EEENS1_30default_config_static_selectorELNS0_4arch9wavefront6targetE0EEEvS13_,comdat
	.globl	_ZN7rocprim17ROCPRIM_400000_NS6detail17trampoline_kernelINS0_13select_configILj256ELj13ELNS0_17block_load_methodE3ELS4_3ELS4_3ELNS0_20block_scan_algorithmE0ELj4294967295EEENS1_25partition_config_selectorILNS1_17partition_subalgoE4EjNS0_10empty_typeEbEEZZNS1_14partition_implILS8_4ELb0ES6_15HIP_vector_typeIjLj2EENS0_17counting_iteratorIjlEEPS9_SG_NS0_5tupleIJPjSI_NS0_16reverse_iteratorISI_EEEEENSH_IJSG_SG_SG_EEES9_SI_JZNS1_25segmented_radix_sort_implINS0_14default_configELb1EPK6__halfPSP_PKlPlN2at6native12_GLOBAL__N_18offset_tEEE10hipError_tPvRmT1_PNSt15iterator_traitsIS13_E10value_typeET2_T3_PNS14_IS19_E10value_typeET4_jRbjT5_S1F_jjP12ihipStream_tbEUljE_ZNSN_ISO_Lb1ESR_SS_SU_SV_SZ_EES10_S11_S12_S13_S17_S18_S19_S1C_S1D_jS1E_jS1F_S1F_jjS1H_bEUljE0_EEES10_S11_S12_S19_S1D_S1F_T6_T7_T9_mT8_S1H_bDpT10_ENKUlT_T0_E_clISt17integral_constantIbLb0EES1V_EEDaS1Q_S1R_EUlS1Q_E_NS1_11comp_targetILNS1_3genE10ELNS1_11target_archE1200ELNS1_3gpuE4ELNS1_3repE0EEENS1_30default_config_static_selectorELNS0_4arch9wavefront6targetE0EEEvS13_ ; -- Begin function _ZN7rocprim17ROCPRIM_400000_NS6detail17trampoline_kernelINS0_13select_configILj256ELj13ELNS0_17block_load_methodE3ELS4_3ELS4_3ELNS0_20block_scan_algorithmE0ELj4294967295EEENS1_25partition_config_selectorILNS1_17partition_subalgoE4EjNS0_10empty_typeEbEEZZNS1_14partition_implILS8_4ELb0ES6_15HIP_vector_typeIjLj2EENS0_17counting_iteratorIjlEEPS9_SG_NS0_5tupleIJPjSI_NS0_16reverse_iteratorISI_EEEEENSH_IJSG_SG_SG_EEES9_SI_JZNS1_25segmented_radix_sort_implINS0_14default_configELb1EPK6__halfPSP_PKlPlN2at6native12_GLOBAL__N_18offset_tEEE10hipError_tPvRmT1_PNSt15iterator_traitsIS13_E10value_typeET2_T3_PNS14_IS19_E10value_typeET4_jRbjT5_S1F_jjP12ihipStream_tbEUljE_ZNSN_ISO_Lb1ESR_SS_SU_SV_SZ_EES10_S11_S12_S13_S17_S18_S19_S1C_S1D_jS1E_jS1F_S1F_jjS1H_bEUljE0_EEES10_S11_S12_S19_S1D_S1F_T6_T7_T9_mT8_S1H_bDpT10_ENKUlT_T0_E_clISt17integral_constantIbLb0EES1V_EEDaS1Q_S1R_EUlS1Q_E_NS1_11comp_targetILNS1_3genE10ELNS1_11target_archE1200ELNS1_3gpuE4ELNS1_3repE0EEENS1_30default_config_static_selectorELNS0_4arch9wavefront6targetE0EEEvS13_
	.p2align	8
	.type	_ZN7rocprim17ROCPRIM_400000_NS6detail17trampoline_kernelINS0_13select_configILj256ELj13ELNS0_17block_load_methodE3ELS4_3ELS4_3ELNS0_20block_scan_algorithmE0ELj4294967295EEENS1_25partition_config_selectorILNS1_17partition_subalgoE4EjNS0_10empty_typeEbEEZZNS1_14partition_implILS8_4ELb0ES6_15HIP_vector_typeIjLj2EENS0_17counting_iteratorIjlEEPS9_SG_NS0_5tupleIJPjSI_NS0_16reverse_iteratorISI_EEEEENSH_IJSG_SG_SG_EEES9_SI_JZNS1_25segmented_radix_sort_implINS0_14default_configELb1EPK6__halfPSP_PKlPlN2at6native12_GLOBAL__N_18offset_tEEE10hipError_tPvRmT1_PNSt15iterator_traitsIS13_E10value_typeET2_T3_PNS14_IS19_E10value_typeET4_jRbjT5_S1F_jjP12ihipStream_tbEUljE_ZNSN_ISO_Lb1ESR_SS_SU_SV_SZ_EES10_S11_S12_S13_S17_S18_S19_S1C_S1D_jS1E_jS1F_S1F_jjS1H_bEUljE0_EEES10_S11_S12_S19_S1D_S1F_T6_T7_T9_mT8_S1H_bDpT10_ENKUlT_T0_E_clISt17integral_constantIbLb0EES1V_EEDaS1Q_S1R_EUlS1Q_E_NS1_11comp_targetILNS1_3genE10ELNS1_11target_archE1200ELNS1_3gpuE4ELNS1_3repE0EEENS1_30default_config_static_selectorELNS0_4arch9wavefront6targetE0EEEvS13_,@function
_ZN7rocprim17ROCPRIM_400000_NS6detail17trampoline_kernelINS0_13select_configILj256ELj13ELNS0_17block_load_methodE3ELS4_3ELS4_3ELNS0_20block_scan_algorithmE0ELj4294967295EEENS1_25partition_config_selectorILNS1_17partition_subalgoE4EjNS0_10empty_typeEbEEZZNS1_14partition_implILS8_4ELb0ES6_15HIP_vector_typeIjLj2EENS0_17counting_iteratorIjlEEPS9_SG_NS0_5tupleIJPjSI_NS0_16reverse_iteratorISI_EEEEENSH_IJSG_SG_SG_EEES9_SI_JZNS1_25segmented_radix_sort_implINS0_14default_configELb1EPK6__halfPSP_PKlPlN2at6native12_GLOBAL__N_18offset_tEEE10hipError_tPvRmT1_PNSt15iterator_traitsIS13_E10value_typeET2_T3_PNS14_IS19_E10value_typeET4_jRbjT5_S1F_jjP12ihipStream_tbEUljE_ZNSN_ISO_Lb1ESR_SS_SU_SV_SZ_EES10_S11_S12_S13_S17_S18_S19_S1C_S1D_jS1E_jS1F_S1F_jjS1H_bEUljE0_EEES10_S11_S12_S19_S1D_S1F_T6_T7_T9_mT8_S1H_bDpT10_ENKUlT_T0_E_clISt17integral_constantIbLb0EES1V_EEDaS1Q_S1R_EUlS1Q_E_NS1_11comp_targetILNS1_3genE10ELNS1_11target_archE1200ELNS1_3gpuE4ELNS1_3repE0EEENS1_30default_config_static_selectorELNS0_4arch9wavefront6targetE0EEEvS13_: ; @_ZN7rocprim17ROCPRIM_400000_NS6detail17trampoline_kernelINS0_13select_configILj256ELj13ELNS0_17block_load_methodE3ELS4_3ELS4_3ELNS0_20block_scan_algorithmE0ELj4294967295EEENS1_25partition_config_selectorILNS1_17partition_subalgoE4EjNS0_10empty_typeEbEEZZNS1_14partition_implILS8_4ELb0ES6_15HIP_vector_typeIjLj2EENS0_17counting_iteratorIjlEEPS9_SG_NS0_5tupleIJPjSI_NS0_16reverse_iteratorISI_EEEEENSH_IJSG_SG_SG_EEES9_SI_JZNS1_25segmented_radix_sort_implINS0_14default_configELb1EPK6__halfPSP_PKlPlN2at6native12_GLOBAL__N_18offset_tEEE10hipError_tPvRmT1_PNSt15iterator_traitsIS13_E10value_typeET2_T3_PNS14_IS19_E10value_typeET4_jRbjT5_S1F_jjP12ihipStream_tbEUljE_ZNSN_ISO_Lb1ESR_SS_SU_SV_SZ_EES10_S11_S12_S13_S17_S18_S19_S1C_S1D_jS1E_jS1F_S1F_jjS1H_bEUljE0_EEES10_S11_S12_S19_S1D_S1F_T6_T7_T9_mT8_S1H_bDpT10_ENKUlT_T0_E_clISt17integral_constantIbLb0EES1V_EEDaS1Q_S1R_EUlS1Q_E_NS1_11comp_targetILNS1_3genE10ELNS1_11target_archE1200ELNS1_3gpuE4ELNS1_3repE0EEENS1_30default_config_static_selectorELNS0_4arch9wavefront6targetE0EEEvS13_
; %bb.0:
	.section	.rodata,"a",@progbits
	.p2align	6, 0x0
	.amdhsa_kernel _ZN7rocprim17ROCPRIM_400000_NS6detail17trampoline_kernelINS0_13select_configILj256ELj13ELNS0_17block_load_methodE3ELS4_3ELS4_3ELNS0_20block_scan_algorithmE0ELj4294967295EEENS1_25partition_config_selectorILNS1_17partition_subalgoE4EjNS0_10empty_typeEbEEZZNS1_14partition_implILS8_4ELb0ES6_15HIP_vector_typeIjLj2EENS0_17counting_iteratorIjlEEPS9_SG_NS0_5tupleIJPjSI_NS0_16reverse_iteratorISI_EEEEENSH_IJSG_SG_SG_EEES9_SI_JZNS1_25segmented_radix_sort_implINS0_14default_configELb1EPK6__halfPSP_PKlPlN2at6native12_GLOBAL__N_18offset_tEEE10hipError_tPvRmT1_PNSt15iterator_traitsIS13_E10value_typeET2_T3_PNS14_IS19_E10value_typeET4_jRbjT5_S1F_jjP12ihipStream_tbEUljE_ZNSN_ISO_Lb1ESR_SS_SU_SV_SZ_EES10_S11_S12_S13_S17_S18_S19_S1C_S1D_jS1E_jS1F_S1F_jjS1H_bEUljE0_EEES10_S11_S12_S19_S1D_S1F_T6_T7_T9_mT8_S1H_bDpT10_ENKUlT_T0_E_clISt17integral_constantIbLb0EES1V_EEDaS1Q_S1R_EUlS1Q_E_NS1_11comp_targetILNS1_3genE10ELNS1_11target_archE1200ELNS1_3gpuE4ELNS1_3repE0EEENS1_30default_config_static_selectorELNS0_4arch9wavefront6targetE0EEEvS13_
		.amdhsa_group_segment_fixed_size 0
		.amdhsa_private_segment_fixed_size 0
		.amdhsa_kernarg_size 176
		.amdhsa_user_sgpr_count 15
		.amdhsa_user_sgpr_dispatch_ptr 0
		.amdhsa_user_sgpr_queue_ptr 0
		.amdhsa_user_sgpr_kernarg_segment_ptr 1
		.amdhsa_user_sgpr_dispatch_id 0
		.amdhsa_user_sgpr_private_segment_size 0
		.amdhsa_wavefront_size32 1
		.amdhsa_uses_dynamic_stack 0
		.amdhsa_enable_private_segment 0
		.amdhsa_system_sgpr_workgroup_id_x 1
		.amdhsa_system_sgpr_workgroup_id_y 0
		.amdhsa_system_sgpr_workgroup_id_z 0
		.amdhsa_system_sgpr_workgroup_info 0
		.amdhsa_system_vgpr_workitem_id 0
		.amdhsa_next_free_vgpr 1
		.amdhsa_next_free_sgpr 1
		.amdhsa_reserve_vcc 0
		.amdhsa_float_round_mode_32 0
		.amdhsa_float_round_mode_16_64 0
		.amdhsa_float_denorm_mode_32 3
		.amdhsa_float_denorm_mode_16_64 3
		.amdhsa_dx10_clamp 1
		.amdhsa_ieee_mode 1
		.amdhsa_fp16_overflow 0
		.amdhsa_workgroup_processor_mode 1
		.amdhsa_memory_ordered 1
		.amdhsa_forward_progress 0
		.amdhsa_shared_vgpr_count 0
		.amdhsa_exception_fp_ieee_invalid_op 0
		.amdhsa_exception_fp_denorm_src 0
		.amdhsa_exception_fp_ieee_div_zero 0
		.amdhsa_exception_fp_ieee_overflow 0
		.amdhsa_exception_fp_ieee_underflow 0
		.amdhsa_exception_fp_ieee_inexact 0
		.amdhsa_exception_int_div_zero 0
	.end_amdhsa_kernel
	.section	.text._ZN7rocprim17ROCPRIM_400000_NS6detail17trampoline_kernelINS0_13select_configILj256ELj13ELNS0_17block_load_methodE3ELS4_3ELS4_3ELNS0_20block_scan_algorithmE0ELj4294967295EEENS1_25partition_config_selectorILNS1_17partition_subalgoE4EjNS0_10empty_typeEbEEZZNS1_14partition_implILS8_4ELb0ES6_15HIP_vector_typeIjLj2EENS0_17counting_iteratorIjlEEPS9_SG_NS0_5tupleIJPjSI_NS0_16reverse_iteratorISI_EEEEENSH_IJSG_SG_SG_EEES9_SI_JZNS1_25segmented_radix_sort_implINS0_14default_configELb1EPK6__halfPSP_PKlPlN2at6native12_GLOBAL__N_18offset_tEEE10hipError_tPvRmT1_PNSt15iterator_traitsIS13_E10value_typeET2_T3_PNS14_IS19_E10value_typeET4_jRbjT5_S1F_jjP12ihipStream_tbEUljE_ZNSN_ISO_Lb1ESR_SS_SU_SV_SZ_EES10_S11_S12_S13_S17_S18_S19_S1C_S1D_jS1E_jS1F_S1F_jjS1H_bEUljE0_EEES10_S11_S12_S19_S1D_S1F_T6_T7_T9_mT8_S1H_bDpT10_ENKUlT_T0_E_clISt17integral_constantIbLb0EES1V_EEDaS1Q_S1R_EUlS1Q_E_NS1_11comp_targetILNS1_3genE10ELNS1_11target_archE1200ELNS1_3gpuE4ELNS1_3repE0EEENS1_30default_config_static_selectorELNS0_4arch9wavefront6targetE0EEEvS13_,"axG",@progbits,_ZN7rocprim17ROCPRIM_400000_NS6detail17trampoline_kernelINS0_13select_configILj256ELj13ELNS0_17block_load_methodE3ELS4_3ELS4_3ELNS0_20block_scan_algorithmE0ELj4294967295EEENS1_25partition_config_selectorILNS1_17partition_subalgoE4EjNS0_10empty_typeEbEEZZNS1_14partition_implILS8_4ELb0ES6_15HIP_vector_typeIjLj2EENS0_17counting_iteratorIjlEEPS9_SG_NS0_5tupleIJPjSI_NS0_16reverse_iteratorISI_EEEEENSH_IJSG_SG_SG_EEES9_SI_JZNS1_25segmented_radix_sort_implINS0_14default_configELb1EPK6__halfPSP_PKlPlN2at6native12_GLOBAL__N_18offset_tEEE10hipError_tPvRmT1_PNSt15iterator_traitsIS13_E10value_typeET2_T3_PNS14_IS19_E10value_typeET4_jRbjT5_S1F_jjP12ihipStream_tbEUljE_ZNSN_ISO_Lb1ESR_SS_SU_SV_SZ_EES10_S11_S12_S13_S17_S18_S19_S1C_S1D_jS1E_jS1F_S1F_jjS1H_bEUljE0_EEES10_S11_S12_S19_S1D_S1F_T6_T7_T9_mT8_S1H_bDpT10_ENKUlT_T0_E_clISt17integral_constantIbLb0EES1V_EEDaS1Q_S1R_EUlS1Q_E_NS1_11comp_targetILNS1_3genE10ELNS1_11target_archE1200ELNS1_3gpuE4ELNS1_3repE0EEENS1_30default_config_static_selectorELNS0_4arch9wavefront6targetE0EEEvS13_,comdat
.Lfunc_end1680:
	.size	_ZN7rocprim17ROCPRIM_400000_NS6detail17trampoline_kernelINS0_13select_configILj256ELj13ELNS0_17block_load_methodE3ELS4_3ELS4_3ELNS0_20block_scan_algorithmE0ELj4294967295EEENS1_25partition_config_selectorILNS1_17partition_subalgoE4EjNS0_10empty_typeEbEEZZNS1_14partition_implILS8_4ELb0ES6_15HIP_vector_typeIjLj2EENS0_17counting_iteratorIjlEEPS9_SG_NS0_5tupleIJPjSI_NS0_16reverse_iteratorISI_EEEEENSH_IJSG_SG_SG_EEES9_SI_JZNS1_25segmented_radix_sort_implINS0_14default_configELb1EPK6__halfPSP_PKlPlN2at6native12_GLOBAL__N_18offset_tEEE10hipError_tPvRmT1_PNSt15iterator_traitsIS13_E10value_typeET2_T3_PNS14_IS19_E10value_typeET4_jRbjT5_S1F_jjP12ihipStream_tbEUljE_ZNSN_ISO_Lb1ESR_SS_SU_SV_SZ_EES10_S11_S12_S13_S17_S18_S19_S1C_S1D_jS1E_jS1F_S1F_jjS1H_bEUljE0_EEES10_S11_S12_S19_S1D_S1F_T6_T7_T9_mT8_S1H_bDpT10_ENKUlT_T0_E_clISt17integral_constantIbLb0EES1V_EEDaS1Q_S1R_EUlS1Q_E_NS1_11comp_targetILNS1_3genE10ELNS1_11target_archE1200ELNS1_3gpuE4ELNS1_3repE0EEENS1_30default_config_static_selectorELNS0_4arch9wavefront6targetE0EEEvS13_, .Lfunc_end1680-_ZN7rocprim17ROCPRIM_400000_NS6detail17trampoline_kernelINS0_13select_configILj256ELj13ELNS0_17block_load_methodE3ELS4_3ELS4_3ELNS0_20block_scan_algorithmE0ELj4294967295EEENS1_25partition_config_selectorILNS1_17partition_subalgoE4EjNS0_10empty_typeEbEEZZNS1_14partition_implILS8_4ELb0ES6_15HIP_vector_typeIjLj2EENS0_17counting_iteratorIjlEEPS9_SG_NS0_5tupleIJPjSI_NS0_16reverse_iteratorISI_EEEEENSH_IJSG_SG_SG_EEES9_SI_JZNS1_25segmented_radix_sort_implINS0_14default_configELb1EPK6__halfPSP_PKlPlN2at6native12_GLOBAL__N_18offset_tEEE10hipError_tPvRmT1_PNSt15iterator_traitsIS13_E10value_typeET2_T3_PNS14_IS19_E10value_typeET4_jRbjT5_S1F_jjP12ihipStream_tbEUljE_ZNSN_ISO_Lb1ESR_SS_SU_SV_SZ_EES10_S11_S12_S13_S17_S18_S19_S1C_S1D_jS1E_jS1F_S1F_jjS1H_bEUljE0_EEES10_S11_S12_S19_S1D_S1F_T6_T7_T9_mT8_S1H_bDpT10_ENKUlT_T0_E_clISt17integral_constantIbLb0EES1V_EEDaS1Q_S1R_EUlS1Q_E_NS1_11comp_targetILNS1_3genE10ELNS1_11target_archE1200ELNS1_3gpuE4ELNS1_3repE0EEENS1_30default_config_static_selectorELNS0_4arch9wavefront6targetE0EEEvS13_
                                        ; -- End function
	.section	.AMDGPU.csdata,"",@progbits
; Kernel info:
; codeLenInByte = 0
; NumSgprs: 0
; NumVgprs: 0
; ScratchSize: 0
; MemoryBound: 0
; FloatMode: 240
; IeeeMode: 1
; LDSByteSize: 0 bytes/workgroup (compile time only)
; SGPRBlocks: 0
; VGPRBlocks: 0
; NumSGPRsForWavesPerEU: 1
; NumVGPRsForWavesPerEU: 1
; Occupancy: 16
; WaveLimiterHint : 0
; COMPUTE_PGM_RSRC2:SCRATCH_EN: 0
; COMPUTE_PGM_RSRC2:USER_SGPR: 15
; COMPUTE_PGM_RSRC2:TRAP_HANDLER: 0
; COMPUTE_PGM_RSRC2:TGID_X_EN: 1
; COMPUTE_PGM_RSRC2:TGID_Y_EN: 0
; COMPUTE_PGM_RSRC2:TGID_Z_EN: 0
; COMPUTE_PGM_RSRC2:TIDIG_COMP_CNT: 0
	.section	.text._ZN7rocprim17ROCPRIM_400000_NS6detail17trampoline_kernelINS0_13select_configILj256ELj13ELNS0_17block_load_methodE3ELS4_3ELS4_3ELNS0_20block_scan_algorithmE0ELj4294967295EEENS1_25partition_config_selectorILNS1_17partition_subalgoE4EjNS0_10empty_typeEbEEZZNS1_14partition_implILS8_4ELb0ES6_15HIP_vector_typeIjLj2EENS0_17counting_iteratorIjlEEPS9_SG_NS0_5tupleIJPjSI_NS0_16reverse_iteratorISI_EEEEENSH_IJSG_SG_SG_EEES9_SI_JZNS1_25segmented_radix_sort_implINS0_14default_configELb1EPK6__halfPSP_PKlPlN2at6native12_GLOBAL__N_18offset_tEEE10hipError_tPvRmT1_PNSt15iterator_traitsIS13_E10value_typeET2_T3_PNS14_IS19_E10value_typeET4_jRbjT5_S1F_jjP12ihipStream_tbEUljE_ZNSN_ISO_Lb1ESR_SS_SU_SV_SZ_EES10_S11_S12_S13_S17_S18_S19_S1C_S1D_jS1E_jS1F_S1F_jjS1H_bEUljE0_EEES10_S11_S12_S19_S1D_S1F_T6_T7_T9_mT8_S1H_bDpT10_ENKUlT_T0_E_clISt17integral_constantIbLb0EES1V_EEDaS1Q_S1R_EUlS1Q_E_NS1_11comp_targetILNS1_3genE9ELNS1_11target_archE1100ELNS1_3gpuE3ELNS1_3repE0EEENS1_30default_config_static_selectorELNS0_4arch9wavefront6targetE0EEEvS13_,"axG",@progbits,_ZN7rocprim17ROCPRIM_400000_NS6detail17trampoline_kernelINS0_13select_configILj256ELj13ELNS0_17block_load_methodE3ELS4_3ELS4_3ELNS0_20block_scan_algorithmE0ELj4294967295EEENS1_25partition_config_selectorILNS1_17partition_subalgoE4EjNS0_10empty_typeEbEEZZNS1_14partition_implILS8_4ELb0ES6_15HIP_vector_typeIjLj2EENS0_17counting_iteratorIjlEEPS9_SG_NS0_5tupleIJPjSI_NS0_16reverse_iteratorISI_EEEEENSH_IJSG_SG_SG_EEES9_SI_JZNS1_25segmented_radix_sort_implINS0_14default_configELb1EPK6__halfPSP_PKlPlN2at6native12_GLOBAL__N_18offset_tEEE10hipError_tPvRmT1_PNSt15iterator_traitsIS13_E10value_typeET2_T3_PNS14_IS19_E10value_typeET4_jRbjT5_S1F_jjP12ihipStream_tbEUljE_ZNSN_ISO_Lb1ESR_SS_SU_SV_SZ_EES10_S11_S12_S13_S17_S18_S19_S1C_S1D_jS1E_jS1F_S1F_jjS1H_bEUljE0_EEES10_S11_S12_S19_S1D_S1F_T6_T7_T9_mT8_S1H_bDpT10_ENKUlT_T0_E_clISt17integral_constantIbLb0EES1V_EEDaS1Q_S1R_EUlS1Q_E_NS1_11comp_targetILNS1_3genE9ELNS1_11target_archE1100ELNS1_3gpuE3ELNS1_3repE0EEENS1_30default_config_static_selectorELNS0_4arch9wavefront6targetE0EEEvS13_,comdat
	.globl	_ZN7rocprim17ROCPRIM_400000_NS6detail17trampoline_kernelINS0_13select_configILj256ELj13ELNS0_17block_load_methodE3ELS4_3ELS4_3ELNS0_20block_scan_algorithmE0ELj4294967295EEENS1_25partition_config_selectorILNS1_17partition_subalgoE4EjNS0_10empty_typeEbEEZZNS1_14partition_implILS8_4ELb0ES6_15HIP_vector_typeIjLj2EENS0_17counting_iteratorIjlEEPS9_SG_NS0_5tupleIJPjSI_NS0_16reverse_iteratorISI_EEEEENSH_IJSG_SG_SG_EEES9_SI_JZNS1_25segmented_radix_sort_implINS0_14default_configELb1EPK6__halfPSP_PKlPlN2at6native12_GLOBAL__N_18offset_tEEE10hipError_tPvRmT1_PNSt15iterator_traitsIS13_E10value_typeET2_T3_PNS14_IS19_E10value_typeET4_jRbjT5_S1F_jjP12ihipStream_tbEUljE_ZNSN_ISO_Lb1ESR_SS_SU_SV_SZ_EES10_S11_S12_S13_S17_S18_S19_S1C_S1D_jS1E_jS1F_S1F_jjS1H_bEUljE0_EEES10_S11_S12_S19_S1D_S1F_T6_T7_T9_mT8_S1H_bDpT10_ENKUlT_T0_E_clISt17integral_constantIbLb0EES1V_EEDaS1Q_S1R_EUlS1Q_E_NS1_11comp_targetILNS1_3genE9ELNS1_11target_archE1100ELNS1_3gpuE3ELNS1_3repE0EEENS1_30default_config_static_selectorELNS0_4arch9wavefront6targetE0EEEvS13_ ; -- Begin function _ZN7rocprim17ROCPRIM_400000_NS6detail17trampoline_kernelINS0_13select_configILj256ELj13ELNS0_17block_load_methodE3ELS4_3ELS4_3ELNS0_20block_scan_algorithmE0ELj4294967295EEENS1_25partition_config_selectorILNS1_17partition_subalgoE4EjNS0_10empty_typeEbEEZZNS1_14partition_implILS8_4ELb0ES6_15HIP_vector_typeIjLj2EENS0_17counting_iteratorIjlEEPS9_SG_NS0_5tupleIJPjSI_NS0_16reverse_iteratorISI_EEEEENSH_IJSG_SG_SG_EEES9_SI_JZNS1_25segmented_radix_sort_implINS0_14default_configELb1EPK6__halfPSP_PKlPlN2at6native12_GLOBAL__N_18offset_tEEE10hipError_tPvRmT1_PNSt15iterator_traitsIS13_E10value_typeET2_T3_PNS14_IS19_E10value_typeET4_jRbjT5_S1F_jjP12ihipStream_tbEUljE_ZNSN_ISO_Lb1ESR_SS_SU_SV_SZ_EES10_S11_S12_S13_S17_S18_S19_S1C_S1D_jS1E_jS1F_S1F_jjS1H_bEUljE0_EEES10_S11_S12_S19_S1D_S1F_T6_T7_T9_mT8_S1H_bDpT10_ENKUlT_T0_E_clISt17integral_constantIbLb0EES1V_EEDaS1Q_S1R_EUlS1Q_E_NS1_11comp_targetILNS1_3genE9ELNS1_11target_archE1100ELNS1_3gpuE3ELNS1_3repE0EEENS1_30default_config_static_selectorELNS0_4arch9wavefront6targetE0EEEvS13_
	.p2align	8
	.type	_ZN7rocprim17ROCPRIM_400000_NS6detail17trampoline_kernelINS0_13select_configILj256ELj13ELNS0_17block_load_methodE3ELS4_3ELS4_3ELNS0_20block_scan_algorithmE0ELj4294967295EEENS1_25partition_config_selectorILNS1_17partition_subalgoE4EjNS0_10empty_typeEbEEZZNS1_14partition_implILS8_4ELb0ES6_15HIP_vector_typeIjLj2EENS0_17counting_iteratorIjlEEPS9_SG_NS0_5tupleIJPjSI_NS0_16reverse_iteratorISI_EEEEENSH_IJSG_SG_SG_EEES9_SI_JZNS1_25segmented_radix_sort_implINS0_14default_configELb1EPK6__halfPSP_PKlPlN2at6native12_GLOBAL__N_18offset_tEEE10hipError_tPvRmT1_PNSt15iterator_traitsIS13_E10value_typeET2_T3_PNS14_IS19_E10value_typeET4_jRbjT5_S1F_jjP12ihipStream_tbEUljE_ZNSN_ISO_Lb1ESR_SS_SU_SV_SZ_EES10_S11_S12_S13_S17_S18_S19_S1C_S1D_jS1E_jS1F_S1F_jjS1H_bEUljE0_EEES10_S11_S12_S19_S1D_S1F_T6_T7_T9_mT8_S1H_bDpT10_ENKUlT_T0_E_clISt17integral_constantIbLb0EES1V_EEDaS1Q_S1R_EUlS1Q_E_NS1_11comp_targetILNS1_3genE9ELNS1_11target_archE1100ELNS1_3gpuE3ELNS1_3repE0EEENS1_30default_config_static_selectorELNS0_4arch9wavefront6targetE0EEEvS13_,@function
_ZN7rocprim17ROCPRIM_400000_NS6detail17trampoline_kernelINS0_13select_configILj256ELj13ELNS0_17block_load_methodE3ELS4_3ELS4_3ELNS0_20block_scan_algorithmE0ELj4294967295EEENS1_25partition_config_selectorILNS1_17partition_subalgoE4EjNS0_10empty_typeEbEEZZNS1_14partition_implILS8_4ELb0ES6_15HIP_vector_typeIjLj2EENS0_17counting_iteratorIjlEEPS9_SG_NS0_5tupleIJPjSI_NS0_16reverse_iteratorISI_EEEEENSH_IJSG_SG_SG_EEES9_SI_JZNS1_25segmented_radix_sort_implINS0_14default_configELb1EPK6__halfPSP_PKlPlN2at6native12_GLOBAL__N_18offset_tEEE10hipError_tPvRmT1_PNSt15iterator_traitsIS13_E10value_typeET2_T3_PNS14_IS19_E10value_typeET4_jRbjT5_S1F_jjP12ihipStream_tbEUljE_ZNSN_ISO_Lb1ESR_SS_SU_SV_SZ_EES10_S11_S12_S13_S17_S18_S19_S1C_S1D_jS1E_jS1F_S1F_jjS1H_bEUljE0_EEES10_S11_S12_S19_S1D_S1F_T6_T7_T9_mT8_S1H_bDpT10_ENKUlT_T0_E_clISt17integral_constantIbLb0EES1V_EEDaS1Q_S1R_EUlS1Q_E_NS1_11comp_targetILNS1_3genE9ELNS1_11target_archE1100ELNS1_3gpuE3ELNS1_3repE0EEENS1_30default_config_static_selectorELNS0_4arch9wavefront6targetE0EEEvS13_: ; @_ZN7rocprim17ROCPRIM_400000_NS6detail17trampoline_kernelINS0_13select_configILj256ELj13ELNS0_17block_load_methodE3ELS4_3ELS4_3ELNS0_20block_scan_algorithmE0ELj4294967295EEENS1_25partition_config_selectorILNS1_17partition_subalgoE4EjNS0_10empty_typeEbEEZZNS1_14partition_implILS8_4ELb0ES6_15HIP_vector_typeIjLj2EENS0_17counting_iteratorIjlEEPS9_SG_NS0_5tupleIJPjSI_NS0_16reverse_iteratorISI_EEEEENSH_IJSG_SG_SG_EEES9_SI_JZNS1_25segmented_radix_sort_implINS0_14default_configELb1EPK6__halfPSP_PKlPlN2at6native12_GLOBAL__N_18offset_tEEE10hipError_tPvRmT1_PNSt15iterator_traitsIS13_E10value_typeET2_T3_PNS14_IS19_E10value_typeET4_jRbjT5_S1F_jjP12ihipStream_tbEUljE_ZNSN_ISO_Lb1ESR_SS_SU_SV_SZ_EES10_S11_S12_S13_S17_S18_S19_S1C_S1D_jS1E_jS1F_S1F_jjS1H_bEUljE0_EEES10_S11_S12_S19_S1D_S1F_T6_T7_T9_mT8_S1H_bDpT10_ENKUlT_T0_E_clISt17integral_constantIbLb0EES1V_EEDaS1Q_S1R_EUlS1Q_E_NS1_11comp_targetILNS1_3genE9ELNS1_11target_archE1100ELNS1_3gpuE3ELNS1_3repE0EEENS1_30default_config_static_selectorELNS0_4arch9wavefront6targetE0EEEvS13_
; %bb.0:
	s_clause 0x6
	s_load_b32 s5, s[0:1], 0x80
	s_load_b64 s[34:35], s[0:1], 0x10
	s_load_b64 s[2:3], s[0:1], 0x68
	s_load_b32 s8, s[0:1], 0x8
	s_load_b128 s[24:27], s[0:1], 0x58
	s_load_b64 s[40:41], s[0:1], 0xa8
	s_load_b256 s[16:23], s[0:1], 0x88
	s_mul_i32 s33, s15, 0xd00
	s_waitcnt lgkmcnt(0)
	s_mul_i32 s4, s5, 0xd00
	s_add_i32 s5, s5, -1
	s_add_u32 s6, s34, s4
	s_addc_u32 s7, s35, 0
	s_load_b128 s[28:31], s[26:27], 0x0
	s_cmp_eq_u32 s15, s5
	v_cmp_lt_u64_e64 s3, s[6:7], s[2:3]
	s_cselect_b32 s14, -1, 0
	s_cmp_lg_u32 s15, s5
	s_cselect_b32 s5, -1, 0
	s_add_i32 s6, s8, s33
	s_delay_alu instid0(VALU_DEP_1) | instskip(SKIP_4) | instid1(VALU_DEP_1)
	s_or_b32 s3, s5, s3
	s_add_i32 s6, s6, s34
	s_and_b32 vcc_lo, exec_lo, s3
	v_add_nc_u32_e32 v1, s6, v0
	s_mov_b32 s5, -1
	v_add_nc_u32_e32 v2, 0x100, v1
	v_add_nc_u32_e32 v3, 0x200, v1
	;; [unrolled: 1-line block ×12, first 2 shown]
	s_cbranch_vccz .LBB1681_2
; %bb.1:
	v_lshlrev_b32_e32 v14, 2, v0
	s_mov_b32 s5, 0
	ds_store_2addr_stride64_b32 v14, v1, v2 offset1:4
	ds_store_2addr_stride64_b32 v14, v3, v4 offset0:8 offset1:12
	ds_store_2addr_stride64_b32 v14, v5, v6 offset0:16 offset1:20
	;; [unrolled: 1-line block ×5, first 2 shown]
	ds_store_b32 v14, v13 offset:12288
	s_waitcnt lgkmcnt(0)
	s_barrier
.LBB1681_2:
	s_and_not1_b32 vcc_lo, exec_lo, s5
	s_add_i32 s4, s4, s34
	s_cbranch_vccnz .LBB1681_4
; %bb.3:
	v_lshlrev_b32_e32 v14, 2, v0
	ds_store_2addr_stride64_b32 v14, v1, v2 offset1:4
	ds_store_2addr_stride64_b32 v14, v3, v4 offset0:8 offset1:12
	ds_store_2addr_stride64_b32 v14, v5, v6 offset0:16 offset1:20
	;; [unrolled: 1-line block ×5, first 2 shown]
	ds_store_b32 v14, v13 offset:12288
	s_waitcnt lgkmcnt(0)
	s_barrier
.LBB1681_4:
	v_mul_u32_u24_e32 v28, 13, v0
	s_clause 0x1
	s_load_b128 s[36:39], s[0:1], 0x28
	s_load_b64 s[26:27], s[0:1], 0x38
	s_waitcnt lgkmcnt(0)
	buffer_gl0_inv
	v_cndmask_b32_e64 v26, 0, 1, s3
	s_sub_i32 s44, s2, s4
	v_lshlrev_b32_e32 v1, 2, v28
	s_and_not1_b32 vcc_lo, exec_lo, s3
	ds_load_2addr_b32 v[16:17], v1 offset1:1
	ds_load_2addr_b32 v[14:15], v1 offset0:2 offset1:3
	ds_load_2addr_b32 v[12:13], v1 offset0:4 offset1:5
	;; [unrolled: 1-line block ×5, first 2 shown]
	ds_load_b32 v27, v1 offset:48
	s_waitcnt lgkmcnt(0)
	s_barrier
	buffer_gl0_inv
	s_cbranch_vccnz .LBB1681_32
; %bb.5:
	v_add_nc_u32_e32 v1, s17, v16
	v_add_nc_u32_e32 v2, s19, v16
	s_mov_b32 s46, 0
	s_mov_b32 s45, 0
	s_mov_b32 s3, exec_lo
	v_mul_lo_u32 v1, v1, s16
	v_mul_lo_u32 v2, v2, s18
	s_delay_alu instid0(VALU_DEP_1) | instskip(NEXT) | instid1(VALU_DEP_1)
	v_sub_nc_u32_e32 v1, v1, v2
	v_cmp_lt_u32_e32 vcc_lo, s20, v1
	v_cmpx_ge_u32_e64 s20, v1
; %bb.6:
	v_add_nc_u32_e32 v1, s22, v16
	v_add_nc_u32_e32 v2, s40, v16
	s_delay_alu instid0(VALU_DEP_2) | instskip(NEXT) | instid1(VALU_DEP_2)
	v_mul_lo_u32 v1, v1, s21
	v_mul_lo_u32 v2, v2, s23
	s_delay_alu instid0(VALU_DEP_1) | instskip(NEXT) | instid1(VALU_DEP_1)
	v_sub_nc_u32_e32 v1, v1, v2
	v_cmp_lt_u32_e64 s2, s41, v1
	s_delay_alu instid0(VALU_DEP_1)
	s_and_b32 s45, s2, exec_lo
; %bb.7:
	s_or_b32 exec_lo, exec_lo, s3
	v_add_nc_u32_e32 v1, s17, v17
	v_add_nc_u32_e32 v2, s19, v17
	s_mov_b32 s4, exec_lo
	s_delay_alu instid0(VALU_DEP_2) | instskip(NEXT) | instid1(VALU_DEP_2)
	v_mul_lo_u32 v1, v1, s16
	v_mul_lo_u32 v2, v2, s18
	s_delay_alu instid0(VALU_DEP_1) | instskip(NEXT) | instid1(VALU_DEP_1)
	v_sub_nc_u32_e32 v1, v1, v2
	v_cmp_lt_u32_e64 s2, s20, v1
	v_cmpx_ge_u32_e64 s20, v1
; %bb.8:
	v_add_nc_u32_e32 v1, s22, v17
	v_add_nc_u32_e32 v2, s40, v17
	s_delay_alu instid0(VALU_DEP_2) | instskip(NEXT) | instid1(VALU_DEP_2)
	v_mul_lo_u32 v1, v1, s21
	v_mul_lo_u32 v2, v2, s23
	s_delay_alu instid0(VALU_DEP_1) | instskip(NEXT) | instid1(VALU_DEP_1)
	v_sub_nc_u32_e32 v1, v1, v2
	v_cmp_lt_u32_e64 s3, s41, v1
	s_delay_alu instid0(VALU_DEP_1)
	s_and_b32 s46, s3, exec_lo
; %bb.9:
	s_or_b32 exec_lo, exec_lo, s4
	v_add_nc_u32_e32 v1, s17, v14
	v_add_nc_u32_e32 v2, s19, v14
	s_mov_b32 s48, 0
	s_mov_b32 s47, 0
	s_mov_b32 s5, exec_lo
	v_mul_lo_u32 v1, v1, s16
	v_mul_lo_u32 v2, v2, s18
	s_delay_alu instid0(VALU_DEP_1) | instskip(NEXT) | instid1(VALU_DEP_1)
	v_sub_nc_u32_e32 v1, v1, v2
	v_cmp_lt_u32_e64 s3, s20, v1
	v_cmpx_ge_u32_e64 s20, v1
; %bb.10:
	v_add_nc_u32_e32 v1, s22, v14
	v_add_nc_u32_e32 v2, s40, v14
	s_delay_alu instid0(VALU_DEP_2) | instskip(NEXT) | instid1(VALU_DEP_2)
	v_mul_lo_u32 v1, v1, s21
	v_mul_lo_u32 v2, v2, s23
	s_delay_alu instid0(VALU_DEP_1) | instskip(NEXT) | instid1(VALU_DEP_1)
	v_sub_nc_u32_e32 v1, v1, v2
	v_cmp_lt_u32_e64 s4, s41, v1
	s_delay_alu instid0(VALU_DEP_1)
	s_and_b32 s47, s4, exec_lo
; %bb.11:
	s_or_b32 exec_lo, exec_lo, s5
	v_add_nc_u32_e32 v1, s17, v15
	v_add_nc_u32_e32 v2, s19, v15
	s_mov_b32 s6, exec_lo
	s_delay_alu instid0(VALU_DEP_2) | instskip(NEXT) | instid1(VALU_DEP_2)
	v_mul_lo_u32 v1, v1, s16
	v_mul_lo_u32 v2, v2, s18
	s_delay_alu instid0(VALU_DEP_1) | instskip(NEXT) | instid1(VALU_DEP_1)
	v_sub_nc_u32_e32 v1, v1, v2
	v_cmp_lt_u32_e64 s4, s20, v1
	v_cmpx_ge_u32_e64 s20, v1
; %bb.12:
	v_add_nc_u32_e32 v1, s22, v15
	v_add_nc_u32_e32 v2, s40, v15
	s_delay_alu instid0(VALU_DEP_2) | instskip(NEXT) | instid1(VALU_DEP_2)
	v_mul_lo_u32 v1, v1, s21
	v_mul_lo_u32 v2, v2, s23
	s_delay_alu instid0(VALU_DEP_1) | instskip(NEXT) | instid1(VALU_DEP_1)
	v_sub_nc_u32_e32 v1, v1, v2
	v_cmp_lt_u32_e64 s5, s41, v1
	s_delay_alu instid0(VALU_DEP_1)
	s_and_b32 s48, s5, exec_lo
; %bb.13:
	s_or_b32 exec_lo, exec_lo, s6
	v_add_nc_u32_e32 v1, s17, v12
	v_add_nc_u32_e32 v2, s19, v12
	s_mov_b32 s50, 0
	s_mov_b32 s49, 0
	s_mov_b32 s7, exec_lo
	v_mul_lo_u32 v1, v1, s16
	v_mul_lo_u32 v2, v2, s18
	s_delay_alu instid0(VALU_DEP_1) | instskip(NEXT) | instid1(VALU_DEP_1)
	v_sub_nc_u32_e32 v1, v1, v2
	v_cmp_lt_u32_e64 s5, s20, v1
	;; [unrolled: 47-line block ×5, first 2 shown]
	v_cmpx_ge_u32_e64 s20, v1
; %bb.26:
	v_add_nc_u32_e32 v1, s22, v6
	v_add_nc_u32_e32 v2, s40, v6
	s_delay_alu instid0(VALU_DEP_2) | instskip(NEXT) | instid1(VALU_DEP_2)
	v_mul_lo_u32 v1, v1, s21
	v_mul_lo_u32 v2, v2, s23
	s_delay_alu instid0(VALU_DEP_1) | instskip(NEXT) | instid1(VALU_DEP_1)
	v_sub_nc_u32_e32 v1, v1, v2
	v_cmp_lt_u32_e64 s12, s41, v1
	s_delay_alu instid0(VALU_DEP_1)
	s_and_b32 s57, s12, exec_lo
; %bb.27:
	s_or_b32 exec_lo, exec_lo, s13
	v_add_nc_u32_e32 v1, s17, v7
	v_add_nc_u32_e32 v2, s19, v7
	s_mov_b32 s42, exec_lo
	s_delay_alu instid0(VALU_DEP_2) | instskip(NEXT) | instid1(VALU_DEP_2)
	v_mul_lo_u32 v1, v1, s16
	v_mul_lo_u32 v2, v2, s18
	s_delay_alu instid0(VALU_DEP_1) | instskip(NEXT) | instid1(VALU_DEP_1)
	v_sub_nc_u32_e32 v1, v1, v2
	v_cmp_lt_u32_e64 s12, s20, v1
	v_cmpx_ge_u32_e64 s20, v1
; %bb.28:
	v_add_nc_u32_e32 v1, s22, v7
	v_add_nc_u32_e32 v2, s40, v7
	s_delay_alu instid0(VALU_DEP_2) | instskip(NEXT) | instid1(VALU_DEP_2)
	v_mul_lo_u32 v1, v1, s21
	v_mul_lo_u32 v2, v2, s23
	s_delay_alu instid0(VALU_DEP_1) | instskip(NEXT) | instid1(VALU_DEP_1)
	v_sub_nc_u32_e32 v1, v1, v2
	v_cmp_lt_u32_e64 s13, s41, v1
	s_delay_alu instid0(VALU_DEP_1)
	s_and_b32 s56, s13, exec_lo
; %bb.29:
	s_or_b32 exec_lo, exec_lo, s42
	v_add_nc_u32_e32 v1, s17, v27
	v_add_nc_u32_e32 v2, s19, v27
	s_mov_b32 s42, -1
	s_mov_b32 s53, 0
	s_mov_b32 s43, 0
	v_mul_lo_u32 v1, v1, s16
	v_mul_lo_u32 v2, v2, s18
	s_mov_b32 s58, exec_lo
	s_delay_alu instid0(VALU_DEP_1) | instskip(NEXT) | instid1(VALU_DEP_1)
	v_sub_nc_u32_e32 v1, v1, v2
	v_cmpx_ge_u32_e64 s20, v1
; %bb.30:
	v_add_nc_u32_e32 v1, s22, v27
	v_add_nc_u32_e32 v2, s40, v27
	s_xor_b32 s42, exec_lo, -1
	s_delay_alu instid0(VALU_DEP_2) | instskip(NEXT) | instid1(VALU_DEP_2)
	v_mul_lo_u32 v1, v1, s21
	v_mul_lo_u32 v2, v2, s23
	s_delay_alu instid0(VALU_DEP_1) | instskip(NEXT) | instid1(VALU_DEP_1)
	v_sub_nc_u32_e32 v1, v1, v2
	v_cmp_lt_u32_e64 s13, s41, v1
	s_delay_alu instid0(VALU_DEP_1)
	s_and_b32 s43, s13, exec_lo
; %bb.31:
	s_or_b32 exec_lo, exec_lo, s58
	v_cndmask_b32_e64 v48, 0, 1, s57
	v_cndmask_b32_e64 v51, 0, 1, s12
	;; [unrolled: 1-line block ×22, first 2 shown]
	v_cndmask_b32_e64 v29, 0, 1, vcc_lo
	v_cndmask_b32_e64 v52, 0, 1, s56
	s_load_b64 s[4:5], s[0:1], 0x78
	s_and_b32 vcc_lo, exec_lo, s53
	s_add_i32 s3, s44, 0xd00
	s_cbranch_vccnz .LBB1681_33
	s_branch .LBB1681_86
.LBB1681_32:
                                        ; implicit-def: $sgpr42
                                        ; implicit-def: $sgpr43
                                        ; implicit-def: $vgpr52
                                        ; implicit-def: $vgpr48
                                        ; implicit-def: $vgpr47
                                        ; implicit-def: $vgpr45
                                        ; implicit-def: $vgpr43
                                        ; implicit-def: $vgpr40
                                        ; implicit-def: $vgpr39
                                        ; implicit-def: $vgpr37
                                        ; implicit-def: $vgpr35
                                        ; implicit-def: $vgpr29
                                        ; implicit-def: $vgpr33
                                        ; implicit-def: $vgpr31
                                        ; implicit-def: $vgpr32
                                        ; implicit-def: $vgpr38
                                        ; implicit-def: $vgpr41
                                        ; implicit-def: $vgpr42
                                        ; implicit-def: $vgpr44
                                        ; implicit-def: $vgpr46
                                        ; implicit-def: $vgpr49
                                        ; implicit-def: $vgpr50
                                        ; implicit-def: $vgpr51
                                        ; implicit-def: $vgpr30
                                        ; implicit-def: $vgpr34
                                        ; implicit-def: $vgpr36
	s_load_b64 s[4:5], s[0:1], 0x78
	s_add_i32 s3, s44, 0xd00
	s_cbranch_execz .LBB1681_86
.LBB1681_33:
	v_dual_mov_b32 v30, 0 :: v_dual_mov_b32 v29, 0
	s_mov_b32 s2, 0
	s_mov_b32 s1, exec_lo
	v_cmpx_gt_u32_e64 s3, v28
	s_cbranch_execz .LBB1681_37
; %bb.34:
	v_add_nc_u32_e32 v1, s17, v16
	v_add_nc_u32_e32 v2, s19, v16
	s_mov_b32 s6, exec_lo
	s_delay_alu instid0(VALU_DEP_2) | instskip(NEXT) | instid1(VALU_DEP_2)
	v_mul_lo_u32 v1, v1, s16
	v_mul_lo_u32 v2, v2, s18
	s_delay_alu instid0(VALU_DEP_1) | instskip(NEXT) | instid1(VALU_DEP_1)
	v_sub_nc_u32_e32 v1, v1, v2
	v_cmp_lt_u32_e32 vcc_lo, s20, v1
	v_cmpx_ge_u32_e64 s20, v1
; %bb.35:
	v_add_nc_u32_e32 v1, s22, v16
	v_add_nc_u32_e32 v2, s40, v16
	s_delay_alu instid0(VALU_DEP_2) | instskip(NEXT) | instid1(VALU_DEP_2)
	v_mul_lo_u32 v1, v1, s21
	v_mul_lo_u32 v2, v2, s23
	s_delay_alu instid0(VALU_DEP_1) | instskip(NEXT) | instid1(VALU_DEP_1)
	v_sub_nc_u32_e32 v1, v1, v2
	v_cmp_lt_u32_e64 s0, s41, v1
	s_delay_alu instid0(VALU_DEP_1)
	s_and_b32 s2, s0, exec_lo
; %bb.36:
	s_or_b32 exec_lo, exec_lo, s6
	v_cndmask_b32_e64 v29, 0, 1, vcc_lo
	v_cndmask_b32_e64 v30, 0, 1, s2
.LBB1681_37:
	s_or_b32 exec_lo, exec_lo, s1
	v_dual_mov_b32 v34, 0 :: v_dual_add_nc_u32 v1, 1, v28
	v_mov_b32_e32 v33, 0
	s_mov_b32 s2, 0
	s_mov_b32 s1, exec_lo
	s_delay_alu instid0(VALU_DEP_2)
	v_cmpx_gt_u32_e64 s3, v1
	s_cbranch_execz .LBB1681_41
; %bb.38:
	v_add_nc_u32_e32 v1, s17, v17
	v_add_nc_u32_e32 v2, s19, v17
	s_mov_b32 s6, exec_lo
	s_delay_alu instid0(VALU_DEP_2) | instskip(NEXT) | instid1(VALU_DEP_2)
	v_mul_lo_u32 v1, v1, s16
	v_mul_lo_u32 v2, v2, s18
	s_delay_alu instid0(VALU_DEP_1) | instskip(NEXT) | instid1(VALU_DEP_1)
	v_sub_nc_u32_e32 v1, v1, v2
	v_cmp_lt_u32_e32 vcc_lo, s20, v1
	v_cmpx_ge_u32_e64 s20, v1
; %bb.39:
	v_add_nc_u32_e32 v1, s22, v17
	v_add_nc_u32_e32 v2, s40, v17
	s_delay_alu instid0(VALU_DEP_2) | instskip(NEXT) | instid1(VALU_DEP_2)
	v_mul_lo_u32 v1, v1, s21
	v_mul_lo_u32 v2, v2, s23
	s_delay_alu instid0(VALU_DEP_1) | instskip(NEXT) | instid1(VALU_DEP_1)
	v_sub_nc_u32_e32 v1, v1, v2
	v_cmp_lt_u32_e64 s0, s41, v1
	s_delay_alu instid0(VALU_DEP_1)
	s_and_b32 s2, s0, exec_lo
; %bb.40:
	s_or_b32 exec_lo, exec_lo, s6
	v_cndmask_b32_e64 v33, 0, 1, vcc_lo
	v_cndmask_b32_e64 v34, 0, 1, s2
.LBB1681_41:
	s_or_b32 exec_lo, exec_lo, s1
	v_dual_mov_b32 v36, 0 :: v_dual_add_nc_u32 v1, 2, v28
	v_mov_b32_e32 v31, 0
	s_mov_b32 s2, 0
	s_mov_b32 s1, exec_lo
	s_delay_alu instid0(VALU_DEP_2)
	;; [unrolled: 35-line block ×4, first 2 shown]
	v_cmpx_gt_u32_e64 s3, v1
	s_cbranch_execz .LBB1681_53
; %bb.50:
	v_add_nc_u32_e32 v1, s17, v12
	v_add_nc_u32_e32 v2, s19, v12
	s_mov_b32 s6, exec_lo
	s_delay_alu instid0(VALU_DEP_2) | instskip(NEXT) | instid1(VALU_DEP_2)
	v_mul_lo_u32 v1, v1, s16
	v_mul_lo_u32 v2, v2, s18
	s_delay_alu instid0(VALU_DEP_1) | instskip(NEXT) | instid1(VALU_DEP_1)
	v_sub_nc_u32_e32 v1, v1, v2
	v_cmp_lt_u32_e32 vcc_lo, s20, v1
	v_cmpx_ge_u32_e64 s20, v1
; %bb.51:
	v_add_nc_u32_e32 v1, s22, v12
	v_add_nc_u32_e32 v2, s40, v12
	s_delay_alu instid0(VALU_DEP_2) | instskip(NEXT) | instid1(VALU_DEP_2)
	v_mul_lo_u32 v1, v1, s21
	v_mul_lo_u32 v2, v2, s23
	s_delay_alu instid0(VALU_DEP_1) | instskip(NEXT) | instid1(VALU_DEP_1)
	v_sub_nc_u32_e32 v1, v1, v2
	v_cmp_lt_u32_e64 s0, s41, v1
	s_delay_alu instid0(VALU_DEP_1)
	s_and_b32 s2, s0, exec_lo
; %bb.52:
	s_or_b32 exec_lo, exec_lo, s6
	v_cndmask_b32_e64 v38, 0, 1, vcc_lo
	v_cndmask_b32_e64 v37, 0, 1, s2
.LBB1681_53:
	s_or_b32 exec_lo, exec_lo, s1
	v_add_nc_u32_e32 v1, 5, v28
	v_mov_b32_e32 v39, 0
	v_mov_b32_e32 v41, 0
	s_mov_b32 s2, 0
	s_mov_b32 s1, exec_lo
	v_cmpx_gt_u32_e64 s3, v1
	s_cbranch_execz .LBB1681_57
; %bb.54:
	v_add_nc_u32_e32 v1, s17, v13
	v_add_nc_u32_e32 v2, s19, v13
	s_mov_b32 s6, exec_lo
	s_delay_alu instid0(VALU_DEP_2) | instskip(NEXT) | instid1(VALU_DEP_2)
	v_mul_lo_u32 v1, v1, s16
	v_mul_lo_u32 v2, v2, s18
	s_delay_alu instid0(VALU_DEP_1) | instskip(NEXT) | instid1(VALU_DEP_1)
	v_sub_nc_u32_e32 v1, v1, v2
	v_cmp_lt_u32_e32 vcc_lo, s20, v1
	v_cmpx_ge_u32_e64 s20, v1
; %bb.55:
	v_add_nc_u32_e32 v1, s22, v13
	v_add_nc_u32_e32 v2, s40, v13
	s_delay_alu instid0(VALU_DEP_2) | instskip(NEXT) | instid1(VALU_DEP_2)
	v_mul_lo_u32 v1, v1, s21
	v_mul_lo_u32 v2, v2, s23
	s_delay_alu instid0(VALU_DEP_1) | instskip(NEXT) | instid1(VALU_DEP_1)
	v_sub_nc_u32_e32 v1, v1, v2
	v_cmp_lt_u32_e64 s0, s41, v1
	s_delay_alu instid0(VALU_DEP_1)
	s_and_b32 s2, s0, exec_lo
; %bb.56:
	s_or_b32 exec_lo, exec_lo, s6
	v_cndmask_b32_e64 v41, 0, 1, vcc_lo
	v_cndmask_b32_e64 v39, 0, 1, s2
.LBB1681_57:
	s_or_b32 exec_lo, exec_lo, s1
	v_dual_mov_b32 v40, 0 :: v_dual_add_nc_u32 v1, 6, v28
	v_mov_b32_e32 v42, 0
	s_mov_b32 s2, 0
	s_mov_b32 s1, exec_lo
	s_delay_alu instid0(VALU_DEP_2)
	v_cmpx_gt_u32_e64 s3, v1
	s_cbranch_execz .LBB1681_61
; %bb.58:
	v_add_nc_u32_e32 v1, s17, v10
	v_add_nc_u32_e32 v2, s19, v10
	s_mov_b32 s6, exec_lo
	s_delay_alu instid0(VALU_DEP_2) | instskip(NEXT) | instid1(VALU_DEP_2)
	v_mul_lo_u32 v1, v1, s16
	v_mul_lo_u32 v2, v2, s18
	s_delay_alu instid0(VALU_DEP_1) | instskip(NEXT) | instid1(VALU_DEP_1)
	v_sub_nc_u32_e32 v1, v1, v2
	v_cmp_lt_u32_e32 vcc_lo, s20, v1
	v_cmpx_ge_u32_e64 s20, v1
; %bb.59:
	v_add_nc_u32_e32 v1, s22, v10
	v_add_nc_u32_e32 v2, s40, v10
	s_delay_alu instid0(VALU_DEP_2) | instskip(NEXT) | instid1(VALU_DEP_2)
	v_mul_lo_u32 v1, v1, s21
	v_mul_lo_u32 v2, v2, s23
	s_delay_alu instid0(VALU_DEP_1) | instskip(NEXT) | instid1(VALU_DEP_1)
	v_sub_nc_u32_e32 v1, v1, v2
	v_cmp_lt_u32_e64 s0, s41, v1
	s_delay_alu instid0(VALU_DEP_1)
	s_and_b32 s2, s0, exec_lo
; %bb.60:
	s_or_b32 exec_lo, exec_lo, s6
	v_cndmask_b32_e64 v42, 0, 1, vcc_lo
	v_cndmask_b32_e64 v40, 0, 1, s2
.LBB1681_61:
	s_or_b32 exec_lo, exec_lo, s1
	v_dual_mov_b32 v44, 0 :: v_dual_add_nc_u32 v1, 7, v28
	v_mov_b32_e32 v43, 0
	s_mov_b32 s2, 0
	s_mov_b32 s1, exec_lo
	s_delay_alu instid0(VALU_DEP_2)
	;; [unrolled: 35-line block ×3, first 2 shown]
	v_cmpx_gt_u32_e64 s3, v1
	s_cbranch_execz .LBB1681_69
; %bb.66:
	v_add_nc_u32_e32 v1, s17, v8
	v_add_nc_u32_e32 v2, s19, v8
	s_mov_b32 s6, exec_lo
	s_delay_alu instid0(VALU_DEP_2) | instskip(NEXT) | instid1(VALU_DEP_2)
	v_mul_lo_u32 v1, v1, s16
	v_mul_lo_u32 v2, v2, s18
	s_delay_alu instid0(VALU_DEP_1) | instskip(NEXT) | instid1(VALU_DEP_1)
	v_sub_nc_u32_e32 v1, v1, v2
	v_cmp_lt_u32_e32 vcc_lo, s20, v1
	v_cmpx_ge_u32_e64 s20, v1
; %bb.67:
	v_add_nc_u32_e32 v1, s22, v8
	v_add_nc_u32_e32 v2, s40, v8
	s_delay_alu instid0(VALU_DEP_2) | instskip(NEXT) | instid1(VALU_DEP_2)
	v_mul_lo_u32 v1, v1, s21
	v_mul_lo_u32 v2, v2, s23
	s_delay_alu instid0(VALU_DEP_1) | instskip(NEXT) | instid1(VALU_DEP_1)
	v_sub_nc_u32_e32 v1, v1, v2
	v_cmp_lt_u32_e64 s0, s41, v1
	s_delay_alu instid0(VALU_DEP_1)
	s_and_b32 s2, s0, exec_lo
; %bb.68:
	s_or_b32 exec_lo, exec_lo, s6
	v_cndmask_b32_e64 v46, 0, 1, vcc_lo
	v_cndmask_b32_e64 v45, 0, 1, s2
.LBB1681_69:
	s_or_b32 exec_lo, exec_lo, s1
	v_add_nc_u32_e32 v1, 9, v28
	v_mov_b32_e32 v47, 0
	v_mov_b32_e32 v49, 0
	s_mov_b32 s2, 0
	s_mov_b32 s1, exec_lo
	v_cmpx_gt_u32_e64 s3, v1
	s_cbranch_execz .LBB1681_73
; %bb.70:
	v_add_nc_u32_e32 v1, s17, v9
	v_add_nc_u32_e32 v2, s19, v9
	s_mov_b32 s6, exec_lo
	s_delay_alu instid0(VALU_DEP_2) | instskip(NEXT) | instid1(VALU_DEP_2)
	v_mul_lo_u32 v1, v1, s16
	v_mul_lo_u32 v2, v2, s18
	s_delay_alu instid0(VALU_DEP_1) | instskip(NEXT) | instid1(VALU_DEP_1)
	v_sub_nc_u32_e32 v1, v1, v2
	v_cmp_lt_u32_e32 vcc_lo, s20, v1
	v_cmpx_ge_u32_e64 s20, v1
; %bb.71:
	v_add_nc_u32_e32 v1, s22, v9
	v_add_nc_u32_e32 v2, s40, v9
	s_delay_alu instid0(VALU_DEP_2) | instskip(NEXT) | instid1(VALU_DEP_2)
	v_mul_lo_u32 v1, v1, s21
	v_mul_lo_u32 v2, v2, s23
	s_delay_alu instid0(VALU_DEP_1) | instskip(NEXT) | instid1(VALU_DEP_1)
	v_sub_nc_u32_e32 v1, v1, v2
	v_cmp_lt_u32_e64 s0, s41, v1
	s_delay_alu instid0(VALU_DEP_1)
	s_and_b32 s2, s0, exec_lo
; %bb.72:
	s_or_b32 exec_lo, exec_lo, s6
	v_cndmask_b32_e64 v49, 0, 1, vcc_lo
	v_cndmask_b32_e64 v47, 0, 1, s2
.LBB1681_73:
	s_or_b32 exec_lo, exec_lo, s1
	v_dual_mov_b32 v48, 0 :: v_dual_add_nc_u32 v1, 10, v28
	v_mov_b32_e32 v50, 0
	s_mov_b32 s2, 0
	s_mov_b32 s1, exec_lo
	s_delay_alu instid0(VALU_DEP_2)
	v_cmpx_gt_u32_e64 s3, v1
	s_cbranch_execz .LBB1681_77
; %bb.74:
	v_add_nc_u32_e32 v1, s17, v6
	v_add_nc_u32_e32 v2, s19, v6
	s_mov_b32 s6, exec_lo
	s_delay_alu instid0(VALU_DEP_2) | instskip(NEXT) | instid1(VALU_DEP_2)
	v_mul_lo_u32 v1, v1, s16
	v_mul_lo_u32 v2, v2, s18
	s_delay_alu instid0(VALU_DEP_1) | instskip(NEXT) | instid1(VALU_DEP_1)
	v_sub_nc_u32_e32 v1, v1, v2
	v_cmp_lt_u32_e32 vcc_lo, s20, v1
	v_cmpx_ge_u32_e64 s20, v1
; %bb.75:
	v_add_nc_u32_e32 v1, s22, v6
	v_add_nc_u32_e32 v2, s40, v6
	s_delay_alu instid0(VALU_DEP_2) | instskip(NEXT) | instid1(VALU_DEP_2)
	v_mul_lo_u32 v1, v1, s21
	v_mul_lo_u32 v2, v2, s23
	s_delay_alu instid0(VALU_DEP_1) | instskip(NEXT) | instid1(VALU_DEP_1)
	v_sub_nc_u32_e32 v1, v1, v2
	v_cmp_lt_u32_e64 s0, s41, v1
	s_delay_alu instid0(VALU_DEP_1)
	s_and_b32 s2, s0, exec_lo
; %bb.76:
	s_or_b32 exec_lo, exec_lo, s6
	v_cndmask_b32_e64 v50, 0, 1, vcc_lo
	v_cndmask_b32_e64 v48, 0, 1, s2
.LBB1681_77:
	s_or_b32 exec_lo, exec_lo, s1
	v_dual_mov_b32 v52, 0 :: v_dual_add_nc_u32 v1, 11, v28
	v_mov_b32_e32 v51, 0
	s_mov_b32 s2, 0
	s_mov_b32 s1, exec_lo
	s_delay_alu instid0(VALU_DEP_2)
	v_cmpx_gt_u32_e64 s3, v1
	s_cbranch_execz .LBB1681_81
; %bb.78:
	v_add_nc_u32_e32 v1, s17, v7
	v_add_nc_u32_e32 v2, s19, v7
	s_mov_b32 s6, exec_lo
	s_delay_alu instid0(VALU_DEP_2) | instskip(NEXT) | instid1(VALU_DEP_2)
	v_mul_lo_u32 v1, v1, s16
	v_mul_lo_u32 v2, v2, s18
	s_delay_alu instid0(VALU_DEP_1) | instskip(NEXT) | instid1(VALU_DEP_1)
	v_sub_nc_u32_e32 v1, v1, v2
	v_cmp_lt_u32_e32 vcc_lo, s20, v1
	v_cmpx_ge_u32_e64 s20, v1
; %bb.79:
	v_add_nc_u32_e32 v1, s22, v7
	v_add_nc_u32_e32 v2, s40, v7
	s_delay_alu instid0(VALU_DEP_2) | instskip(NEXT) | instid1(VALU_DEP_2)
	v_mul_lo_u32 v1, v1, s21
	v_mul_lo_u32 v2, v2, s23
	s_delay_alu instid0(VALU_DEP_1) | instskip(NEXT) | instid1(VALU_DEP_1)
	v_sub_nc_u32_e32 v1, v1, v2
	v_cmp_lt_u32_e64 s0, s41, v1
	s_delay_alu instid0(VALU_DEP_1)
	s_and_b32 s2, s0, exec_lo
; %bb.80:
	s_or_b32 exec_lo, exec_lo, s6
	v_cndmask_b32_e64 v51, 0, 1, vcc_lo
	v_cndmask_b32_e64 v52, 0, 1, s2
.LBB1681_81:
	s_or_b32 exec_lo, exec_lo, s1
	v_add_nc_u32_e32 v1, 12, v28
	s_mov_b32 s42, 0
	s_mov_b32 s43, 0
	s_mov_b32 s0, exec_lo
	s_delay_alu instid0(VALU_DEP_1)
	v_cmpx_gt_u32_e64 s3, v1
	s_cbranch_execz .LBB1681_85
; %bb.82:
	v_add_nc_u32_e32 v1, s17, v27
	v_add_nc_u32_e32 v2, s19, v27
	s_mov_b32 s2, -1
	s_mov_b32 s6, 0
	s_mov_b32 s1, exec_lo
	v_mul_lo_u32 v1, v1, s16
	v_mul_lo_u32 v2, v2, s18
	s_delay_alu instid0(VALU_DEP_1) | instskip(NEXT) | instid1(VALU_DEP_1)
	v_sub_nc_u32_e32 v1, v1, v2
	v_cmpx_ge_u32_e64 s20, v1
; %bb.83:
	v_add_nc_u32_e32 v1, s22, v27
	v_add_nc_u32_e32 v2, s40, v27
	s_xor_b32 s2, exec_lo, -1
	s_delay_alu instid0(VALU_DEP_2) | instskip(NEXT) | instid1(VALU_DEP_2)
	v_mul_lo_u32 v1, v1, s21
	v_mul_lo_u32 v2, v2, s23
	s_delay_alu instid0(VALU_DEP_1) | instskip(NEXT) | instid1(VALU_DEP_1)
	v_sub_nc_u32_e32 v1, v1, v2
	v_cmp_lt_u32_e32 vcc_lo, s41, v1
	s_and_b32 s6, vcc_lo, exec_lo
; %bb.84:
	s_or_b32 exec_lo, exec_lo, s1
	s_delay_alu instid0(SALU_CYCLE_1)
	s_and_b32 s43, s6, exec_lo
	s_and_b32 s42, s2, exec_lo
.LBB1681_85:
	s_or_b32 exec_lo, exec_lo, s0
.LBB1681_86:
	v_and_b32_e32 v75, 0xff, v29
	v_and_b32_e32 v76, 0xff, v30
	;; [unrolled: 1-line block ×10, first 2 shown]
	v_add3_u32 v1, v71, v73, v75
	v_add3_u32 v2, v72, v74, v76
	v_and_b32_e32 v65, 0xff, v41
	v_and_b32_e32 v66, 0xff, v39
	v_and_b32_e32 v61, 0xff, v42
	v_and_b32_e32 v62, 0xff, v40
	v_add3_u32 v1, v1, v69, v67
	v_add3_u32 v2, v2, v70, v68
	v_and_b32_e32 v63, 0xff, v44
	v_and_b32_e32 v64, 0xff, v43
	v_and_b32_e32 v59, 0xff, v46
	v_and_b32_e32 v60, 0xff, v45
	;; [unrolled: 6-line block ×3, first 2 shown]
	v_add3_u32 v1, v1, v63, v59
	v_add3_u32 v2, v2, v64, v60
	v_mbcnt_lo_u32_b32 v77, -1, 0
	v_and_b32_e32 v53, 0xff, v51
	v_and_b32_e32 v54, 0xff, v52
	v_cndmask_b32_e64 v3, 0, 1, s43
	v_add3_u32 v1, v1, v57, v55
	v_cndmask_b32_e64 v4, 0, 1, s42
	v_add3_u32 v2, v2, v58, v56
	v_and_b32_e32 v81, 15, v77
	v_and_b32_e32 v80, 16, v77
	v_lshrrev_b32_e32 v78, 5, v0
	v_add3_u32 v82, v1, v53, v4
	v_add3_u32 v83, v2, v54, v3
	v_cmp_eq_u32_e64 s1, 0, v81
	v_cmp_lt_u32_e64 s0, 1, v81
	v_cmp_lt_u32_e64 s2, 3, v81
	v_cmp_lt_u32_e32 vcc_lo, 7, v81
	v_or_b32_e32 v79, 31, v0
	s_cmp_lg_u32 s15, 0
	s_mov_b32 s6, -1
	s_cbranch_scc0 .LBB1681_114
; %bb.87:
	v_mov_b32_dpp v1, v83 row_shr:1 row_mask:0xf bank_mask:0xf
	v_mov_b32_dpp v2, v82 row_shr:1 row_mask:0xf bank_mask:0xf
	s_delay_alu instid0(VALU_DEP_2) | instskip(NEXT) | instid1(VALU_DEP_1)
	v_add_nc_u32_e32 v1, v1, v83
	v_cndmask_b32_e64 v1, v1, v83, s1
	s_delay_alu instid0(VALU_DEP_1) | instskip(NEXT) | instid1(VALU_DEP_1)
	v_mov_b32_dpp v3, v1 row_shr:2 row_mask:0xf bank_mask:0xf
	v_add_nc_u32_e32 v3, v1, v3
	s_delay_alu instid0(VALU_DEP_1) | instskip(NEXT) | instid1(VALU_DEP_1)
	v_cndmask_b32_e64 v1, v1, v3, s0
	v_mov_b32_dpp v3, v1 row_shr:4 row_mask:0xf bank_mask:0xf
	s_delay_alu instid0(VALU_DEP_1) | instskip(NEXT) | instid1(VALU_DEP_1)
	v_add_nc_u32_e32 v3, v1, v3
	v_cndmask_b32_e64 v1, v1, v3, s2
	s_delay_alu instid0(VALU_DEP_1) | instskip(NEXT) | instid1(VALU_DEP_1)
	v_mov_b32_dpp v3, v1 row_shr:8 row_mask:0xf bank_mask:0xf
	v_add_nc_u32_e32 v3, v1, v3
	s_delay_alu instid0(VALU_DEP_1) | instskip(NEXT) | instid1(VALU_DEP_1)
	v_dual_cndmask_b32 v1, v1, v3 :: v_dual_add_nc_u32 v2, v2, v82
	v_cndmask_b32_e64 v2, v2, v82, s1
	s_delay_alu instid0(VALU_DEP_1) | instskip(NEXT) | instid1(VALU_DEP_1)
	v_mov_b32_dpp v4, v2 row_shr:2 row_mask:0xf bank_mask:0xf
	v_add_nc_u32_e32 v4, v2, v4
	s_delay_alu instid0(VALU_DEP_1) | instskip(NEXT) | instid1(VALU_DEP_1)
	v_cndmask_b32_e64 v2, v2, v4, s0
	v_mov_b32_dpp v4, v2 row_shr:4 row_mask:0xf bank_mask:0xf
	s_delay_alu instid0(VALU_DEP_1) | instskip(NEXT) | instid1(VALU_DEP_1)
	v_add_nc_u32_e32 v4, v2, v4
	v_cndmask_b32_e64 v2, v2, v4, s2
	s_mov_b32 s2, exec_lo
	s_delay_alu instid0(VALU_DEP_1) | instskip(NEXT) | instid1(VALU_DEP_1)
	v_mov_b32_dpp v4, v2 row_shr:8 row_mask:0xf bank_mask:0xf
	v_add_nc_u32_e32 v4, v2, v4
	s_delay_alu instid0(VALU_DEP_1)
	v_cndmask_b32_e32 v3, v2, v4, vcc_lo
	ds_swizzle_b32 v2, v1 offset:swizzle(BROADCAST,32,15)
	v_cmp_eq_u32_e32 vcc_lo, 0, v80
	s_waitcnt lgkmcnt(0)
	v_add_nc_u32_e32 v2, v1, v2
	ds_swizzle_b32 v4, v3 offset:swizzle(BROADCAST,32,15)
	v_cndmask_b32_e32 v2, v2, v1, vcc_lo
	s_waitcnt lgkmcnt(0)
	v_add_nc_u32_e32 v4, v3, v4
	s_delay_alu instid0(VALU_DEP_1)
	v_cndmask_b32_e32 v1, v4, v3, vcc_lo
	v_cmpx_eq_u32_e64 v79, v0
	s_cbranch_execz .LBB1681_89
; %bb.88:
	v_lshlrev_b32_e32 v3, 3, v78
	ds_store_b64 v3, v[1:2]
.LBB1681_89:
	s_or_b32 exec_lo, exec_lo, s2
	s_delay_alu instid0(SALU_CYCLE_1)
	s_mov_b32 s2, exec_lo
	s_waitcnt lgkmcnt(0)
	s_barrier
	buffer_gl0_inv
	v_cmpx_gt_u32_e32 8, v0
	s_cbranch_execz .LBB1681_91
; %bb.90:
	v_lshlrev_b32_e32 v5, 3, v0
	ds_load_b64 v[3:4], v5
	s_waitcnt lgkmcnt(0)
	v_mov_b32_dpp v18, v3 row_shr:1 row_mask:0xf bank_mask:0xf
	v_mov_b32_dpp v19, v4 row_shr:1 row_mask:0xf bank_mask:0xf
	s_delay_alu instid0(VALU_DEP_2) | instskip(SKIP_1) | instid1(VALU_DEP_3)
	v_add_nc_u32_e32 v18, v18, v3
	v_and_b32_e32 v20, 7, v77
	v_add_nc_u32_e32 v19, v19, v4
	s_delay_alu instid0(VALU_DEP_2) | instskip(NEXT) | instid1(VALU_DEP_2)
	v_cmp_eq_u32_e32 vcc_lo, 0, v20
	v_dual_cndmask_b32 v4, v19, v4 :: v_dual_cndmask_b32 v3, v18, v3
	v_cmp_lt_u32_e32 vcc_lo, 1, v20
	s_delay_alu instid0(VALU_DEP_2) | instskip(NEXT) | instid1(VALU_DEP_3)
	v_mov_b32_dpp v19, v4 row_shr:2 row_mask:0xf bank_mask:0xf
	v_mov_b32_dpp v18, v3 row_shr:2 row_mask:0xf bank_mask:0xf
	s_delay_alu instid0(VALU_DEP_2) | instskip(NEXT) | instid1(VALU_DEP_2)
	v_add_nc_u32_e32 v19, v4, v19
	v_add_nc_u32_e32 v18, v3, v18
	s_delay_alu instid0(VALU_DEP_1) | instskip(SKIP_1) | instid1(VALU_DEP_2)
	v_dual_cndmask_b32 v4, v4, v19 :: v_dual_cndmask_b32 v3, v3, v18
	v_cmp_lt_u32_e32 vcc_lo, 3, v20
	v_mov_b32_dpp v19, v4 row_shr:4 row_mask:0xf bank_mask:0xf
	s_delay_alu instid0(VALU_DEP_3) | instskip(NEXT) | instid1(VALU_DEP_1)
	v_mov_b32_dpp v18, v3 row_shr:4 row_mask:0xf bank_mask:0xf
	v_dual_cndmask_b32 v19, 0, v19 :: v_dual_cndmask_b32 v18, 0, v18
	s_delay_alu instid0(VALU_DEP_1) | instskip(NEXT) | instid1(VALU_DEP_2)
	v_add_nc_u32_e32 v4, v19, v4
	v_add_nc_u32_e32 v3, v18, v3
	ds_store_b64 v5, v[3:4]
.LBB1681_91:
	s_or_b32 exec_lo, exec_lo, s2
	v_cmp_gt_u32_e32 vcc_lo, 32, v0
	v_cmp_lt_u32_e64 s2, 31, v0
	s_waitcnt lgkmcnt(0)
	s_barrier
	buffer_gl0_inv
                                        ; implicit-def: $vgpr19
	s_and_saveexec_b32 s6, s2
	s_delay_alu instid0(SALU_CYCLE_1)
	s_xor_b32 s2, exec_lo, s6
	s_cbranch_execz .LBB1681_93
; %bb.92:
	v_lshl_add_u32 v3, v78, 3, -8
	ds_load_b64 v[18:19], v3
	s_waitcnt lgkmcnt(0)
	v_add_nc_u32_e32 v2, v19, v2
	v_add_nc_u32_e32 v1, v18, v1
.LBB1681_93:
	s_and_not1_saveexec_b32 s2, s2
; %bb.94:
                                        ; implicit-def: $vgpr18
; %bb.95:
	s_delay_alu instid0(SALU_CYCLE_1) | instskip(SKIP_1) | instid1(VALU_DEP_1)
	s_or_b32 exec_lo, exec_lo, s2
	v_add_nc_u32_e32 v3, -1, v77
	v_cmp_gt_i32_e64 s2, 0, v3
	s_delay_alu instid0(VALU_DEP_1) | instskip(SKIP_1) | instid1(VALU_DEP_2)
	v_cndmask_b32_e64 v3, v3, v77, s2
	v_cmp_eq_u32_e64 s2, 0, v77
	v_lshlrev_b32_e32 v3, 2, v3
	ds_bpermute_b32 v84, v3, v1
	ds_bpermute_b32 v85, v3, v2
	s_and_saveexec_b32 s6, vcc_lo
	s_cbranch_execz .LBB1681_113
; %bb.96:
	v_mov_b32_e32 v4, 0
	ds_load_b64 v[1:2], v4 offset:56
	s_waitcnt lgkmcnt(0)
	v_readfirstlane_b32 s7, v2
	s_and_saveexec_b32 s8, s2
	s_cbranch_execz .LBB1681_98
; %bb.97:
	s_add_i32 s10, s15, 32
	s_mov_b32 s11, 0
	v_mov_b32_e32 v3, 1
	s_lshl_b64 s[12:13], s[10:11], 4
	s_mov_b32 s16, s11
	s_add_u32 s12, s4, s12
	s_addc_u32 s13, s5, s13
	s_and_b32 s17, s7, 0xff000000
	s_and_b32 s19, s7, 0xff0000
	s_mov_b32 s18, s11
	v_dual_mov_b32 v21, s13 :: v_dual_mov_b32 v20, s12
	s_or_b64 s[16:17], s[18:19], s[16:17]
	s_and_b32 s19, s7, 0xff00
	s_delay_alu instid0(SALU_CYCLE_1) | instskip(SKIP_1) | instid1(SALU_CYCLE_1)
	s_or_b64 s[16:17], s[16:17], s[18:19]
	s_and_b32 s19, s7, 0xff
	s_or_b64 s[10:11], s[16:17], s[18:19]
	s_delay_alu instid0(SALU_CYCLE_1)
	v_mov_b32_e32 v2, s11
	;;#ASMSTART
	global_store_dwordx4 v[20:21], v[1:4] off	
s_waitcnt vmcnt(0)
	;;#ASMEND
.LBB1681_98:
	s_or_b32 exec_lo, exec_lo, s8
	v_xad_u32 v20, v77, -1, s15
	s_mov_b32 s9, 0
	s_mov_b32 s8, exec_lo
	s_delay_alu instid0(VALU_DEP_1) | instskip(NEXT) | instid1(VALU_DEP_1)
	v_add_nc_u32_e32 v3, 32, v20
	v_lshlrev_b64 v[2:3], 4, v[3:4]
	s_delay_alu instid0(VALU_DEP_1) | instskip(NEXT) | instid1(VALU_DEP_2)
	v_add_co_u32 v21, vcc_lo, s4, v2
	v_add_co_ci_u32_e32 v22, vcc_lo, s5, v3, vcc_lo
	;;#ASMSTART
	global_load_dwordx4 v[2:5], v[21:22] off glc	
s_waitcnt vmcnt(0)
	;;#ASMEND
	v_and_b32_e32 v5, 0xff, v3
	v_and_b32_e32 v23, 0xff00, v3
	v_or3_b32 v2, v2, 0, 0
	v_and_b32_e32 v24, 0xff000000, v3
	v_and_b32_e32 v3, 0xff0000, v3
	s_delay_alu instid0(VALU_DEP_4) | instskip(SKIP_2) | instid1(VALU_DEP_3)
	v_or3_b32 v5, 0, v5, v23
	v_and_b32_e32 v23, 0xff, v4
	v_or3_b32 v2, v2, 0, 0
	v_or3_b32 v3, v5, v3, v24
	s_delay_alu instid0(VALU_DEP_3)
	v_cmpx_eq_u16_e32 0, v23
	s_cbranch_execz .LBB1681_101
.LBB1681_99:                            ; =>This Inner Loop Header: Depth=1
	;;#ASMSTART
	global_load_dwordx4 v[2:5], v[21:22] off glc	
s_waitcnt vmcnt(0)
	;;#ASMEND
	v_and_b32_e32 v5, 0xff, v4
	s_delay_alu instid0(VALU_DEP_1) | instskip(SKIP_1) | instid1(SALU_CYCLE_1)
	v_cmp_ne_u16_e32 vcc_lo, 0, v5
	s_or_b32 s9, vcc_lo, s9
	s_and_not1_b32 exec_lo, exec_lo, s9
	s_cbranch_execnz .LBB1681_99
; %bb.100:
	s_or_b32 exec_lo, exec_lo, s9
.LBB1681_101:
	s_delay_alu instid0(SALU_CYCLE_1)
	s_or_b32 exec_lo, exec_lo, s8
	v_cmp_ne_u32_e32 vcc_lo, 31, v77
	v_lshlrev_b32_e64 v87, v77, -1
	v_add_nc_u32_e32 v91, 4, v77
	v_add_nc_u32_e32 v93, 8, v77
	;; [unrolled: 1-line block ×3, first 2 shown]
	v_add_co_ci_u32_e32 v5, vcc_lo, 0, v77, vcc_lo
	s_delay_alu instid0(VALU_DEP_1)
	v_lshlrev_b32_e32 v86, 2, v5
	ds_bpermute_b32 v21, v86, v3
	ds_bpermute_b32 v5, v86, v2
	s_waitcnt lgkmcnt(1)
	v_add_nc_u32_e32 v21, v21, v3
	v_and_b32_e32 v22, 0xff, v4
	s_waitcnt lgkmcnt(0)
	v_add_nc_u32_e32 v5, v5, v2
	s_delay_alu instid0(VALU_DEP_2) | instskip(SKIP_2) | instid1(VALU_DEP_2)
	v_cmp_eq_u16_e32 vcc_lo, 2, v22
	v_and_or_b32 v22, vcc_lo, v87, 0x80000000
	v_cmp_gt_u32_e32 vcc_lo, 30, v77
	v_ctz_i32_b32_e32 v22, v22
	v_cndmask_b32_e64 v23, 0, 1, vcc_lo
	s_delay_alu instid0(VALU_DEP_2) | instskip(NEXT) | instid1(VALU_DEP_2)
	v_cmp_lt_u32_e32 vcc_lo, v77, v22
	v_dual_cndmask_b32 v2, v2, v5 :: v_dual_lshlrev_b32 v23, 1, v23
	s_delay_alu instid0(VALU_DEP_1)
	v_add_lshl_u32 v88, v23, v77, 2
	v_cndmask_b32_e32 v3, v3, v21, vcc_lo
	v_cmp_gt_u32_e32 vcc_lo, 28, v77
	ds_bpermute_b32 v5, v88, v2
	ds_bpermute_b32 v21, v88, v3
	v_cndmask_b32_e64 v23, 0, 1, vcc_lo
	s_waitcnt lgkmcnt(1)
	v_add_nc_u32_e32 v5, v2, v5
	v_add_nc_u32_e32 v89, 2, v77
	s_waitcnt lgkmcnt(0)
	v_add_nc_u32_e32 v21, v3, v21
	s_delay_alu instid0(VALU_DEP_2) | instskip(SKIP_1) | instid1(VALU_DEP_3)
	v_cmp_gt_u32_e32 vcc_lo, v89, v22
	v_dual_cndmask_b32 v2, v5, v2 :: v_dual_lshlrev_b32 v23, 2, v23
	v_cndmask_b32_e32 v3, v21, v3, vcc_lo
	v_cmp_gt_u32_e32 vcc_lo, 24, v77
	s_delay_alu instid0(VALU_DEP_3)
	v_add_lshl_u32 v90, v23, v77, 2
	v_cndmask_b32_e64 v23, 0, 1, vcc_lo
	v_cmp_gt_u32_e32 vcc_lo, v91, v22
	ds_bpermute_b32 v5, v90, v2
	ds_bpermute_b32 v21, v90, v3
	v_lshlrev_b32_e32 v23, 3, v23
	s_delay_alu instid0(VALU_DEP_1) | instskip(SKIP_3) | instid1(VALU_DEP_1)
	v_add_lshl_u32 v92, v23, v77, 2
	s_waitcnt lgkmcnt(1)
	v_add_nc_u32_e32 v5, v2, v5
	s_waitcnt lgkmcnt(0)
	v_dual_cndmask_b32 v2, v5, v2 :: v_dual_add_nc_u32 v21, v3, v21
	s_delay_alu instid0(VALU_DEP_1)
	v_cndmask_b32_e32 v3, v21, v3, vcc_lo
	v_cmp_gt_u32_e32 vcc_lo, 16, v77
	ds_bpermute_b32 v5, v92, v2
	ds_bpermute_b32 v21, v92, v3
	v_cndmask_b32_e64 v23, 0, 1, vcc_lo
	v_cmp_gt_u32_e32 vcc_lo, v93, v22
	s_delay_alu instid0(VALU_DEP_2) | instskip(NEXT) | instid1(VALU_DEP_1)
	v_lshlrev_b32_e32 v23, 4, v23
	v_add_lshl_u32 v94, v23, v77, 2
	s_waitcnt lgkmcnt(1)
	v_add_nc_u32_e32 v5, v2, v5
	s_waitcnt lgkmcnt(0)
	s_delay_alu instid0(VALU_DEP_1) | instskip(NEXT) | instid1(VALU_DEP_1)
	v_dual_cndmask_b32 v2, v5, v2 :: v_dual_add_nc_u32 v21, v3, v21
	v_cndmask_b32_e32 v3, v21, v3, vcc_lo
	v_cmp_le_u32_e32 vcc_lo, v95, v22
	ds_bpermute_b32 v5, v94, v2
	ds_bpermute_b32 v21, v94, v3
	s_waitcnt lgkmcnt(1)
	v_cndmask_b32_e32 v5, 0, v5, vcc_lo
	s_waitcnt lgkmcnt(0)
	s_delay_alu instid0(VALU_DEP_1) | instskip(NEXT) | instid1(VALU_DEP_1)
	v_dual_cndmask_b32 v21, 0, v21 :: v_dual_add_nc_u32 v2, v5, v2
	v_add_nc_u32_e32 v3, v21, v3
	v_mov_b32_e32 v21, 0
	s_branch .LBB1681_103
.LBB1681_102:                           ;   in Loop: Header=BB1681_103 Depth=1
	s_or_b32 exec_lo, exec_lo, s8
	ds_bpermute_b32 v5, v86, v2
	ds_bpermute_b32 v24, v86, v3
	v_subrev_nc_u32_e32 v20, 32, v20
	s_waitcnt lgkmcnt(1)
	v_add_nc_u32_e32 v5, v5, v2
	v_and_b32_e32 v25, 0xff, v4
	s_waitcnt lgkmcnt(0)
	v_add_nc_u32_e32 v24, v24, v3
	s_delay_alu instid0(VALU_DEP_2) | instskip(SKIP_1) | instid1(VALU_DEP_1)
	v_cmp_eq_u16_e32 vcc_lo, 2, v25
	v_and_or_b32 v25, vcc_lo, v87, 0x80000000
	v_ctz_i32_b32_e32 v25, v25
	s_delay_alu instid0(VALU_DEP_1)
	v_cmp_lt_u32_e32 vcc_lo, v77, v25
	v_cndmask_b32_e32 v2, v2, v5, vcc_lo
	ds_bpermute_b32 v5, v88, v2
	s_waitcnt lgkmcnt(0)
	v_add_nc_u32_e32 v5, v2, v5
	v_cndmask_b32_e32 v3, v3, v24, vcc_lo
	v_cmp_gt_u32_e32 vcc_lo, v89, v25
	s_delay_alu instid0(VALU_DEP_3)
	v_cndmask_b32_e32 v2, v5, v2, vcc_lo
	ds_bpermute_b32 v24, v88, v3
	ds_bpermute_b32 v5, v90, v2
	s_waitcnt lgkmcnt(1)
	v_add_nc_u32_e32 v24, v3, v24
	s_waitcnt lgkmcnt(0)
	v_add_nc_u32_e32 v5, v2, v5
	s_delay_alu instid0(VALU_DEP_2) | instskip(SKIP_1) | instid1(VALU_DEP_3)
	v_cndmask_b32_e32 v3, v24, v3, vcc_lo
	v_cmp_gt_u32_e32 vcc_lo, v91, v25
	v_cndmask_b32_e32 v2, v5, v2, vcc_lo
	ds_bpermute_b32 v24, v90, v3
	ds_bpermute_b32 v5, v92, v2
	s_waitcnt lgkmcnt(1)
	v_add_nc_u32_e32 v24, v3, v24
	s_waitcnt lgkmcnt(0)
	v_add_nc_u32_e32 v5, v2, v5
	s_delay_alu instid0(VALU_DEP_2) | instskip(SKIP_1) | instid1(VALU_DEP_3)
	v_cndmask_b32_e32 v3, v24, v3, vcc_lo
	v_cmp_gt_u32_e32 vcc_lo, v93, v25
	v_cndmask_b32_e32 v2, v5, v2, vcc_lo
	ds_bpermute_b32 v24, v92, v3
	ds_bpermute_b32 v5, v94, v2
	s_waitcnt lgkmcnt(1)
	v_add_nc_u32_e32 v24, v3, v24
	s_delay_alu instid0(VALU_DEP_1) | instskip(SKIP_4) | instid1(VALU_DEP_1)
	v_cndmask_b32_e32 v3, v24, v3, vcc_lo
	v_cmp_le_u32_e32 vcc_lo, v95, v25
	ds_bpermute_b32 v24, v94, v3
	s_waitcnt lgkmcnt(1)
	v_cndmask_b32_e32 v5, 0, v5, vcc_lo
	v_add3_u32 v2, v2, v22, v5
	s_waitcnt lgkmcnt(0)
	v_cndmask_b32_e32 v24, 0, v24, vcc_lo
	s_delay_alu instid0(VALU_DEP_1)
	v_add3_u32 v3, v3, v23, v24
.LBB1681_103:                           ; =>This Loop Header: Depth=1
                                        ;     Child Loop BB1681_106 Depth 2
	s_delay_alu instid0(VALU_DEP_1) | instskip(SKIP_1) | instid1(VALU_DEP_2)
	v_dual_mov_b32 v23, v3 :: v_dual_and_b32 v4, 0xff, v4
	v_mov_b32_e32 v22, v2
	v_cmp_ne_u16_e32 vcc_lo, 2, v4
	v_cndmask_b32_e64 v4, 0, 1, vcc_lo
	;;#ASMSTART
	;;#ASMEND
	s_delay_alu instid0(VALU_DEP_1)
	v_cmp_ne_u32_e32 vcc_lo, 0, v4
	s_cmp_lg_u32 vcc_lo, exec_lo
	s_cbranch_scc1 .LBB1681_108
; %bb.104:                              ;   in Loop: Header=BB1681_103 Depth=1
	v_lshlrev_b64 v[2:3], 4, v[20:21]
	s_mov_b32 s8, exec_lo
	s_delay_alu instid0(VALU_DEP_1) | instskip(NEXT) | instid1(VALU_DEP_2)
	v_add_co_u32 v24, vcc_lo, s4, v2
	v_add_co_ci_u32_e32 v25, vcc_lo, s5, v3, vcc_lo
	;;#ASMSTART
	global_load_dwordx4 v[2:5], v[24:25] off glc	
s_waitcnt vmcnt(0)
	;;#ASMEND
	v_and_b32_e32 v5, 0xff, v3
	v_and_b32_e32 v96, 0xff00, v3
	v_or3_b32 v2, v2, 0, 0
	v_and_b32_e32 v97, 0xff000000, v3
	v_and_b32_e32 v3, 0xff0000, v3
	s_delay_alu instid0(VALU_DEP_4) | instskip(SKIP_2) | instid1(VALU_DEP_3)
	v_or3_b32 v5, 0, v5, v96
	v_and_b32_e32 v96, 0xff, v4
	v_or3_b32 v2, v2, 0, 0
	v_or3_b32 v3, v5, v3, v97
	s_delay_alu instid0(VALU_DEP_3)
	v_cmpx_eq_u16_e32 0, v96
	s_cbranch_execz .LBB1681_102
; %bb.105:                              ;   in Loop: Header=BB1681_103 Depth=1
	s_mov_b32 s9, 0
.LBB1681_106:                           ;   Parent Loop BB1681_103 Depth=1
                                        ; =>  This Inner Loop Header: Depth=2
	;;#ASMSTART
	global_load_dwordx4 v[2:5], v[24:25] off glc	
s_waitcnt vmcnt(0)
	;;#ASMEND
	v_and_b32_e32 v5, 0xff, v4
	s_delay_alu instid0(VALU_DEP_1) | instskip(SKIP_1) | instid1(SALU_CYCLE_1)
	v_cmp_ne_u16_e32 vcc_lo, 0, v5
	s_or_b32 s9, vcc_lo, s9
	s_and_not1_b32 exec_lo, exec_lo, s9
	s_cbranch_execnz .LBB1681_106
; %bb.107:                              ;   in Loop: Header=BB1681_103 Depth=1
	s_or_b32 exec_lo, exec_lo, s9
	s_branch .LBB1681_102
.LBB1681_108:                           ;   in Loop: Header=BB1681_103 Depth=1
                                        ; implicit-def: $vgpr4
                                        ; implicit-def: $vgpr2_vgpr3
	s_cbranch_execz .LBB1681_103
; %bb.109:
	s_and_saveexec_b32 s8, s2
	s_cbranch_execnz .LBB1681_352
; %bb.110:
	s_or_b32 exec_lo, exec_lo, s8
	s_and_saveexec_b32 s8, s2
	s_cbranch_execnz .LBB1681_353
.LBB1681_111:
	s_or_b32 exec_lo, exec_lo, s8
	v_cmp_eq_u32_e32 vcc_lo, 0, v0
	s_and_b32 exec_lo, exec_lo, vcc_lo
	s_cbranch_execz .LBB1681_113
.LBB1681_112:
	v_mov_b32_e32 v1, 0
	ds_store_b64 v1, v[22:23] offset:56
.LBB1681_113:
	s_or_b32 exec_lo, exec_lo, s6
	v_cmp_eq_u32_e32 vcc_lo, 0, v0
	v_mov_b32_e32 v1, 0
	s_waitcnt lgkmcnt(0)
	s_barrier
	buffer_gl0_inv
	v_add_nc_u32_e64 v3, 0x3400, 0
	ds_load_b64 v[20:21], v1 offset:56
	s_waitcnt lgkmcnt(0)
	s_barrier
	buffer_gl0_inv
	ds_load_2addr_b32 v[1:2], v3 offset1:2
	ds_load_2addr_b32 v[3:4], v3 offset0:4 offset1:6
	v_cndmask_b32_e64 v5, v84, v18, s2
	v_cndmask_b32_e64 v18, v85, v19, s2
	s_delay_alu instid0(VALU_DEP_2) | instskip(NEXT) | instid1(VALU_DEP_1)
	v_add_nc_u32_e32 v19, v20, v5
	v_dual_cndmask_b32 v20, v19, v20 :: v_dual_add_nc_u32 v5, v21, v18
	s_delay_alu instid0(VALU_DEP_1)
	v_cndmask_b32_e32 v5, v5, v21, vcc_lo
	s_branch .LBB1681_124
.LBB1681_114:
                                        ; implicit-def: $vgpr5
                                        ; implicit-def: $vgpr3
                                        ; implicit-def: $vgpr1
                                        ; implicit-def: $vgpr20_vgpr21
	s_and_b32 vcc_lo, exec_lo, s6
	s_cbranch_vccz .LBB1681_124
; %bb.115:
	s_waitcnt lgkmcnt(0)
	v_mov_b32_dpp v2, v83 row_shr:1 row_mask:0xf bank_mask:0xf
	v_cmp_lt_u32_e32 vcc_lo, 3, v81
	v_mov_b32_dpp v1, v82 row_shr:1 row_mask:0xf bank_mask:0xf
	s_delay_alu instid0(VALU_DEP_3) | instskip(NEXT) | instid1(VALU_DEP_1)
	v_add_nc_u32_e32 v2, v2, v83
	v_cndmask_b32_e64 v2, v2, v83, s1
	s_delay_alu instid0(VALU_DEP_1) | instskip(NEXT) | instid1(VALU_DEP_1)
	v_mov_b32_dpp v4, v2 row_shr:2 row_mask:0xf bank_mask:0xf
	v_add_nc_u32_e32 v4, v2, v4
	s_delay_alu instid0(VALU_DEP_1) | instskip(NEXT) | instid1(VALU_DEP_1)
	v_cndmask_b32_e64 v2, v2, v4, s0
	v_mov_b32_dpp v4, v2 row_shr:4 row_mask:0xf bank_mask:0xf
	s_delay_alu instid0(VALU_DEP_1) | instskip(NEXT) | instid1(VALU_DEP_1)
	v_add_nc_u32_e32 v4, v2, v4
	v_dual_cndmask_b32 v2, v2, v4 :: v_dual_add_nc_u32 v1, v1, v82
	s_delay_alu instid0(VALU_DEP_1) | instskip(NEXT) | instid1(VALU_DEP_2)
	v_cndmask_b32_e64 v1, v1, v82, s1
	v_mov_b32_dpp v4, v2 row_shr:8 row_mask:0xf bank_mask:0xf
	s_delay_alu instid0(VALU_DEP_2) | instskip(NEXT) | instid1(VALU_DEP_2)
	v_mov_b32_dpp v3, v1 row_shr:2 row_mask:0xf bank_mask:0xf
	v_add_nc_u32_e32 v4, v2, v4
	s_delay_alu instid0(VALU_DEP_2) | instskip(NEXT) | instid1(VALU_DEP_1)
	v_add_nc_u32_e32 v3, v1, v3
	v_cndmask_b32_e64 v1, v1, v3, s0
	s_mov_b32 s0, exec_lo
	s_delay_alu instid0(VALU_DEP_1) | instskip(NEXT) | instid1(VALU_DEP_1)
	v_mov_b32_dpp v3, v1 row_shr:4 row_mask:0xf bank_mask:0xf
	v_add_nc_u32_e32 v3, v1, v3
	s_delay_alu instid0(VALU_DEP_1) | instskip(SKIP_1) | instid1(VALU_DEP_2)
	v_cndmask_b32_e32 v1, v1, v3, vcc_lo
	v_cmp_lt_u32_e32 vcc_lo, 7, v81
	v_mov_b32_dpp v3, v1 row_shr:8 row_mask:0xf bank_mask:0xf
	s_delay_alu instid0(VALU_DEP_1) | instskip(NEXT) | instid1(VALU_DEP_1)
	v_dual_cndmask_b32 v2, v2, v4 :: v_dual_add_nc_u32 v3, v1, v3
	v_cndmask_b32_e32 v1, v1, v3, vcc_lo
	ds_swizzle_b32 v3, v2 offset:swizzle(BROADCAST,32,15)
	v_cmp_eq_u32_e32 vcc_lo, 0, v80
	ds_swizzle_b32 v4, v1 offset:swizzle(BROADCAST,32,15)
	s_waitcnt lgkmcnt(1)
	v_add_nc_u32_e32 v3, v2, v3
	s_waitcnt lgkmcnt(0)
	v_add_nc_u32_e32 v4, v1, v4
	s_delay_alu instid0(VALU_DEP_1)
	v_dual_cndmask_b32 v2, v3, v2 :: v_dual_cndmask_b32 v1, v4, v1
	v_cmpx_eq_u32_e64 v79, v0
	s_cbranch_execz .LBB1681_117
; %bb.116:
	v_lshlrev_b32_e32 v3, 3, v78
	ds_store_b64 v3, v[1:2]
.LBB1681_117:
	s_or_b32 exec_lo, exec_lo, s0
	s_delay_alu instid0(SALU_CYCLE_1)
	s_mov_b32 s0, exec_lo
	s_waitcnt lgkmcnt(0)
	s_barrier
	buffer_gl0_inv
	v_cmpx_gt_u32_e32 8, v0
	s_cbranch_execz .LBB1681_119
; %bb.118:
	v_lshlrev_b32_e32 v5, 3, v0
	ds_load_b64 v[3:4], v5
	s_waitcnt lgkmcnt(0)
	v_mov_b32_dpp v18, v3 row_shr:1 row_mask:0xf bank_mask:0xf
	v_mov_b32_dpp v19, v4 row_shr:1 row_mask:0xf bank_mask:0xf
	s_delay_alu instid0(VALU_DEP_2) | instskip(SKIP_1) | instid1(VALU_DEP_3)
	v_add_nc_u32_e32 v18, v18, v3
	v_and_b32_e32 v20, 7, v77
	v_add_nc_u32_e32 v19, v19, v4
	s_delay_alu instid0(VALU_DEP_2) | instskip(NEXT) | instid1(VALU_DEP_2)
	v_cmp_eq_u32_e32 vcc_lo, 0, v20
	v_dual_cndmask_b32 v4, v19, v4 :: v_dual_cndmask_b32 v3, v18, v3
	v_cmp_lt_u32_e32 vcc_lo, 1, v20
	s_delay_alu instid0(VALU_DEP_2) | instskip(NEXT) | instid1(VALU_DEP_3)
	v_mov_b32_dpp v19, v4 row_shr:2 row_mask:0xf bank_mask:0xf
	v_mov_b32_dpp v18, v3 row_shr:2 row_mask:0xf bank_mask:0xf
	s_delay_alu instid0(VALU_DEP_2) | instskip(NEXT) | instid1(VALU_DEP_2)
	v_add_nc_u32_e32 v19, v4, v19
	v_add_nc_u32_e32 v18, v3, v18
	s_delay_alu instid0(VALU_DEP_1) | instskip(SKIP_1) | instid1(VALU_DEP_2)
	v_dual_cndmask_b32 v4, v4, v19 :: v_dual_cndmask_b32 v3, v3, v18
	v_cmp_lt_u32_e32 vcc_lo, 3, v20
	v_mov_b32_dpp v19, v4 row_shr:4 row_mask:0xf bank_mask:0xf
	s_delay_alu instid0(VALU_DEP_3) | instskip(NEXT) | instid1(VALU_DEP_1)
	v_mov_b32_dpp v18, v3 row_shr:4 row_mask:0xf bank_mask:0xf
	v_dual_cndmask_b32 v19, 0, v19 :: v_dual_cndmask_b32 v18, 0, v18
	s_delay_alu instid0(VALU_DEP_1) | instskip(NEXT) | instid1(VALU_DEP_2)
	v_add_nc_u32_e32 v4, v19, v4
	v_add_nc_u32_e32 v3, v18, v3
	ds_store_b64 v5, v[3:4]
.LBB1681_119:
	s_or_b32 exec_lo, exec_lo, s0
	v_dual_mov_b32 v3, 0 :: v_dual_mov_b32 v18, 0
	v_mov_b32_e32 v19, 0
	s_mov_b32 s0, exec_lo
	s_waitcnt lgkmcnt(0)
	s_barrier
	buffer_gl0_inv
	v_cmpx_lt_u32_e32 31, v0
	s_cbranch_execz .LBB1681_121
; %bb.120:
	v_lshl_add_u32 v4, v78, 3, -8
	ds_load_b64 v[18:19], v4
.LBB1681_121:
	s_or_b32 exec_lo, exec_lo, s0
	v_add_nc_u32_e32 v4, -1, v77
	s_waitcnt lgkmcnt(0)
	v_add_nc_u32_e32 v20, v19, v2
	v_add_nc_u32_e32 v5, v18, v1
	ds_load_b64 v[1:2], v3 offset:56
	v_cmp_gt_i32_e32 vcc_lo, 0, v4
	v_cndmask_b32_e32 v4, v4, v77, vcc_lo
	v_cmp_eq_u32_e32 vcc_lo, 0, v0
	s_delay_alu instid0(VALU_DEP_2)
	v_lshlrev_b32_e32 v4, 2, v4
	ds_bpermute_b32 v5, v4, v5
	ds_bpermute_b32 v20, v4, v20
	s_waitcnt lgkmcnt(2)
	v_readfirstlane_b32 s1, v2
	s_and_saveexec_b32 s0, vcc_lo
	s_cbranch_execz .LBB1681_123
; %bb.122:
	s_mov_b32 s6, 0
	s_add_u32 s4, s4, 0x200
	s_addc_u32 s5, s5, 0
	s_and_b32 s7, s1, 0xff000000
	s_and_b32 s9, s1, 0xff0000
	s_mov_b32 s8, s6
	v_mov_b32_e32 v22, s5
	s_or_b64 s[8:9], s[8:9], s[6:7]
	s_and_b32 s7, s1, 0xff00
	v_dual_mov_b32 v4, 0 :: v_dual_mov_b32 v21, s4
	s_or_b64 s[8:9], s[8:9], s[6:7]
	s_and_b32 s7, s1, 0xff
	v_mov_b32_e32 v3, 2
	s_or_b64 s[6:7], s[8:9], s[6:7]
	s_delay_alu instid0(SALU_CYCLE_1)
	v_mov_b32_e32 v2, s7
	;;#ASMSTART
	global_store_dwordx4 v[21:22], v[1:4] off	
s_waitcnt vmcnt(0)
	;;#ASMEND
.LBB1681_123:
	s_or_b32 exec_lo, exec_lo, s0
	v_cmp_eq_u32_e64 s0, 0, v77
	v_dual_mov_b32 v3, 0 :: v_dual_mov_b32 v2, s1
	s_waitcnt lgkmcnt(0)
	s_barrier
	s_delay_alu instid0(VALU_DEP_2)
	v_cndmask_b32_e64 v4, v5, v18, s0
	v_cndmask_b32_e64 v5, v20, v19, s0
	buffer_gl0_inv
	v_cndmask_b32_e64 v20, v4, 0, vcc_lo
	v_cndmask_b32_e64 v5, v5, 0, vcc_lo
	v_mov_b32_e32 v4, 0
.LBB1681_124:
	v_and_b32_e32 v30, 1, v30
	v_and_b32_e32 v34, 1, v34
	;; [unrolled: 1-line block ×4, first 2 shown]
	s_waitcnt lgkmcnt(0)
	v_add_co_u32 v18, s0, s28, v3
	v_cmp_eq_u32_e32 vcc_lo, 1, v30
	v_add_nc_u32_e32 v22, v5, v76
	v_sub_nc_u32_e32 v5, v5, v4
	v_add_co_ci_u32_e64 v19, null, s29, 0, s0
	s_mov_b32 s2, -1
	s_delay_alu instid0(VALU_DEP_3) | instskip(SKIP_3) | instid1(VALU_DEP_3)
	v_add_nc_u32_e32 v24, v22, v72
	v_sub_nc_u32_e32 v22, v22, v4
	v_add_nc_u32_e32 v5, v5, v1
	v_sub_co_u32 v72, s0, s30, v1
	v_add_nc_u32_e32 v22, v22, v1
	v_add_nc_u32_e32 v21, v20, v75
	v_sub_nc_u32_e32 v20, v20, v3
	s_delay_alu instid0(VALU_DEP_2)
	v_add_nc_u32_e32 v23, v21, v71
	v_add_nc_u32_e32 v71, v24, v74
	v_lshlrev_b32_e32 v74, 1, v1
	v_sub_nc_u32_e32 v21, v21, v3
	v_add_nc_u32_e32 v75, v20, v5
	v_sub_nc_u32_e32 v24, v24, v4
	s_delay_alu instid0(VALU_DEP_4) | instskip(NEXT) | instid1(VALU_DEP_4)
	v_add3_u32 v28, v74, v2, v28
	v_add_nc_u32_e32 v76, v22, v21
	s_delay_alu instid0(VALU_DEP_3) | instskip(NEXT) | instid1(VALU_DEP_3)
	v_add_nc_u32_e32 v24, v24, v1
	v_sub_nc_u32_e32 v75, v28, v75
	s_delay_alu instid0(VALU_DEP_3) | instskip(NEXT) | instid1(VALU_DEP_1)
	v_sub_nc_u32_e32 v76, v28, v76
	v_dual_cndmask_b32 v5, v75, v5 :: v_dual_add_nc_u32 v30, 1, v76
	v_cmp_eq_u32_e32 vcc_lo, 1, v34
	s_delay_alu instid0(VALU_DEP_2) | instskip(SKIP_1) | instid1(VALU_DEP_4)
	v_cndmask_b32_e32 v22, v30, v22, vcc_lo
	v_cmp_eq_u32_e32 vcc_lo, 1, v29
	v_cndmask_b32_e32 v5, v5, v20, vcc_lo
	v_and_b32_e32 v20, 1, v36
	v_cmp_eq_u32_e32 vcc_lo, 1, v33
	s_delay_alu instid0(VALU_DEP_3) | instskip(SKIP_1) | instid1(VALU_DEP_4)
	v_lshlrev_b32_e32 v5, 2, v5
	v_cndmask_b32_e32 v21, v22, v21, vcc_lo
	v_cmp_eq_u32_e32 vcc_lo, 1, v20
	v_add_nc_u32_e32 v25, v23, v73
	v_sub_nc_u32_e32 v23, v23, v3
	v_and_b32_e32 v22, 1, v31
	v_sub_co_ci_u32_e64 v73, null, s31, 0, s0
	v_and_b32_e32 v31, 1, v32
	s_delay_alu instid0(VALU_DEP_4) | instskip(NEXT) | instid1(VALU_DEP_1)
	v_add_nc_u32_e32 v77, v24, v23
	v_sub_nc_u32_e32 v75, v28, v77
	s_delay_alu instid0(VALU_DEP_1) | instskip(NEXT) | instid1(VALU_DEP_1)
	v_add_nc_u32_e32 v29, 2, v75
	v_cndmask_b32_e32 v20, v29, v24, vcc_lo
	v_sub_nc_u32_e32 v24, v71, v4
	v_cmp_eq_u32_e32 vcc_lo, 1, v22
	v_add_nc_u32_e32 v69, v25, v69
	v_lshlrev_b32_e32 v29, 2, v21
	ds_store_b32 v5, v16
	ds_store_b32 v29, v17
	v_cndmask_b32_e32 v22, v20, v23, vcc_lo
	v_sub_nc_u32_e32 v23, v25, v3
	v_add_nc_u32_e32 v24, v24, v1
	v_add_co_u32 v20, vcc_lo, v72, v4
	s_delay_alu instid0(VALU_DEP_4) | instskip(SKIP_1) | instid1(VALU_DEP_4)
	v_lshlrev_b32_e32 v5, 2, v22
	v_and_b32_e32 v22, 1, v35
	v_add_nc_u32_e32 v25, v23, v24
	v_add_co_ci_u32_e32 v21, vcc_lo, 0, v73, vcc_lo
	ds_store_b32 v5, v14
	v_cmp_eq_u32_e32 vcc_lo, 1, v22
	v_sub_nc_u32_e32 v17, v28, v25
	v_sub_nc_u32_e32 v29, v69, v3
	v_add_nc_u32_e32 v67, v69, v67
	s_delay_alu instid0(VALU_DEP_3) | instskip(NEXT) | instid1(VALU_DEP_2)
	v_add_nc_u32_e32 v17, 3, v17
	v_sub_nc_u32_e32 v30, v67, v3
	s_delay_alu instid0(VALU_DEP_2) | instskip(SKIP_2) | instid1(VALU_DEP_3)
	v_cndmask_b32_e32 v17, v17, v24, vcc_lo
	v_cmp_eq_u32_e32 vcc_lo, 1, v31
	v_and_b32_e32 v24, 1, v39
	v_cndmask_b32_e32 v14, v17, v23, vcc_lo
	v_add_nc_u32_e32 v70, v71, v70
	v_and_b32_e32 v23, 1, v38
	s_delay_alu instid0(VALU_DEP_3) | instskip(NEXT) | instid1(VALU_DEP_3)
	v_lshlrev_b32_e32 v14, 2, v14
	v_add_nc_u32_e32 v68, v70, v68
	v_sub_nc_u32_e32 v16, v70, v4
	ds_store_b32 v14, v15
	v_sub_nc_u32_e32 v25, v68, v4
	v_add_nc_u32_e32 v16, v16, v1
	s_delay_alu instid0(VALU_DEP_2) | instskip(NEXT) | instid1(VALU_DEP_2)
	v_add_nc_u32_e32 v25, v25, v1
	v_add_nc_u32_e32 v32, v29, v16
	s_delay_alu instid0(VALU_DEP_2) | instskip(NEXT) | instid1(VALU_DEP_2)
	v_add_nc_u32_e32 v22, v30, v25
	v_sub_nc_u32_e32 v5, v28, v32
	s_delay_alu instid0(VALU_DEP_2) | instskip(SKIP_1) | instid1(VALU_DEP_3)
	v_sub_nc_u32_e32 v17, v28, v22
	v_and_b32_e32 v22, 1, v37
	v_add_nc_u32_e32 v5, 4, v5
	s_delay_alu instid0(VALU_DEP_3) | instskip(NEXT) | instid1(VALU_DEP_3)
	v_add_nc_u32_e32 v17, 5, v17
	v_cmp_eq_u32_e32 vcc_lo, 1, v22
	s_delay_alu instid0(VALU_DEP_3)
	v_cndmask_b32_e32 v5, v5, v16, vcc_lo
	v_cmp_eq_u32_e32 vcc_lo, 1, v24
	v_and_b32_e32 v16, 1, v41
	v_cndmask_b32_e32 v17, v17, v25, vcc_lo
	v_cmp_eq_u32_e32 vcc_lo, 1, v23
	v_cndmask_b32_e32 v5, v5, v29, vcc_lo
	s_delay_alu instid0(VALU_DEP_4) | instskip(SKIP_1) | instid1(VALU_DEP_3)
	v_cmp_eq_u32_e32 vcc_lo, 1, v16
	v_add_nc_u32_e32 v66, v68, v66
	v_dual_cndmask_b32 v16, v17, v30 :: v_dual_lshlrev_b32 v5, 2, v5
	s_delay_alu instid0(VALU_DEP_2) | instskip(SKIP_1) | instid1(VALU_DEP_3)
	v_sub_nc_u32_e32 v22, v66, v4
	v_add_nc_u32_e32 v62, v66, v62
	v_lshlrev_b32_e32 v16, 2, v16
	ds_store_b32 v5, v12
	ds_store_b32 v16, v13
	v_and_b32_e32 v12, 1, v40
	v_add_nc_u32_e32 v22, v22, v1
	v_add_nc_u32_e32 v64, v62, v64
	v_sub_nc_u32_e32 v17, v62, v4
	v_and_b32_e32 v16, 1, v43
	v_cmp_eq_u32_e32 vcc_lo, 1, v12
	v_add_nc_u32_e32 v65, v67, v65
	v_sub_nc_u32_e32 v15, v64, v4
	v_add_nc_u32_e32 v17, v17, v1
	s_delay_alu instid0(VALU_DEP_3) | instskip(NEXT) | instid1(VALU_DEP_3)
	v_sub_nc_u32_e32 v23, v65, v3
	v_add_nc_u32_e32 v15, v15, v1
	s_delay_alu instid0(VALU_DEP_2) | instskip(NEXT) | instid1(VALU_DEP_1)
	v_add_nc_u32_e32 v24, v23, v22
	v_sub_nc_u32_e32 v14, v28, v24
	v_and_b32_e32 v24, 1, v48
	s_delay_alu instid0(VALU_DEP_2) | instskip(SKIP_1) | instid1(VALU_DEP_2)
	v_add_nc_u32_e32 v13, 6, v14
	v_and_b32_e32 v14, 1, v42
	v_cndmask_b32_e32 v12, v13, v22, vcc_lo
	v_add_nc_u32_e32 v61, v65, v61
	s_delay_alu instid0(VALU_DEP_3) | instskip(SKIP_1) | instid1(VALU_DEP_3)
	v_cmp_eq_u32_e32 vcc_lo, 1, v14
	v_and_b32_e32 v22, 1, v44
	v_sub_nc_u32_e32 v25, v61, v3
	v_add_nc_u32_e32 v63, v61, v63
	v_cndmask_b32_e32 v12, v12, v23, vcc_lo
	v_cmp_eq_u32_e32 vcc_lo, 1, v16
	v_and_b32_e32 v23, 1, v46
	v_add_nc_u32_e32 v5, v25, v17
	v_sub_nc_u32_e32 v13, v63, v3
	v_lshlrev_b32_e32 v12, 2, v12
	v_add_nc_u32_e32 v59, v63, v59
	s_delay_alu instid0(VALU_DEP_4) | instskip(NEXT) | instid1(VALU_DEP_4)
	v_sub_nc_u32_e32 v5, v28, v5
	v_add_nc_u32_e32 v14, v13, v15
	s_delay_alu instid0(VALU_DEP_3) | instskip(NEXT) | instid1(VALU_DEP_3)
	v_add_nc_u32_e32 v57, v59, v57
	v_add_nc_u32_e32 v5, 7, v5
	s_delay_alu instid0(VALU_DEP_3) | instskip(NEXT) | instid1(VALU_DEP_3)
	v_sub_nc_u32_e32 v14, v28, v14
	v_add_nc_u32_e32 v55, v57, v55
	s_delay_alu instid0(VALU_DEP_3)
	v_cndmask_b32_e32 v5, v5, v17, vcc_lo
	v_cmp_eq_u32_e32 vcc_lo, 1, v22
	v_and_b32_e32 v17, 1, v45
	v_add_nc_u32_e32 v14, 8, v14
	v_sub_nc_u32_e32 v22, v59, v3
	v_add_nc_u32_e32 v53, v55, v53
	v_cndmask_b32_e32 v5, v5, v25, vcc_lo
	v_cmp_eq_u32_e32 vcc_lo, 1, v17
	v_sub_nc_u32_e32 v17, v55, v3
	v_and_b32_e32 v25, 1, v52
	s_delay_alu instid0(VALU_DEP_4)
	v_dual_cndmask_b32 v14, v14, v15 :: v_dual_lshlrev_b32 v5, 2, v5
	v_cmp_eq_u32_e32 vcc_lo, 1, v23
	v_add_nc_u32_e32 v60, v64, v60
	ds_store_b32 v12, v10
	ds_store_b32 v5, v11
	v_and_b32_e32 v11, 1, v49
	v_cndmask_b32_e32 v5, v14, v13, vcc_lo
	v_sub_nc_u32_e32 v16, v60, v4
	v_add_nc_u32_e32 v58, v60, v58
	v_and_b32_e32 v13, 1, v47
	s_delay_alu instid0(VALU_DEP_4) | instskip(NEXT) | instid1(VALU_DEP_4)
	v_lshlrev_b32_e32 v5, 2, v5
	v_add_nc_u32_e32 v16, v16, v1
	s_delay_alu instid0(VALU_DEP_4) | instskip(SKIP_2) | instid1(VALU_DEP_4)
	v_add_nc_u32_e32 v56, v58, v56
	v_sub_nc_u32_e32 v12, v58, v4
	v_cmp_eq_u32_e32 vcc_lo, 1, v13
	v_add_nc_u32_e32 v15, v22, v16
	s_delay_alu instid0(VALU_DEP_4) | instskip(NEXT) | instid1(VALU_DEP_4)
	v_sub_nc_u32_e32 v14, v56, v4
	v_add_nc_u32_e32 v12, v12, v1
	v_add_nc_u32_e32 v54, v56, v54
	s_delay_alu instid0(VALU_DEP_4) | instskip(SKIP_2) | instid1(VALU_DEP_4)
	v_sub_nc_u32_e32 v10, v28, v15
	v_sub_nc_u32_e32 v15, v57, v3
	v_add_nc_u32_e32 v14, v14, v1
	v_sub_nc_u32_e32 v23, v54, v4
	v_sub_nc_u32_e32 v3, v53, v3
	v_add_nc_u32_e32 v10, 9, v10
	v_add_nc_u32_e32 v13, v15, v12
	s_delay_alu instid0(VALU_DEP_2) | instskip(SKIP_2) | instid1(VALU_DEP_4)
	v_dual_cndmask_b32 v10, v10, v16 :: v_dual_add_nc_u32 v23, v23, v1
	v_add_nc_u32_e32 v16, v17, v14
	v_cmp_eq_u32_e32 vcc_lo, 1, v11
	v_sub_nc_u32_e32 v11, v28, v13
	v_and_b32_e32 v13, 1, v50
	s_delay_alu instid0(VALU_DEP_4) | instskip(NEXT) | instid1(VALU_DEP_3)
	v_sub_nc_u32_e32 v16, v28, v16
	v_dual_cndmask_b32 v10, v10, v22 :: v_dual_add_nc_u32 v11, 10, v11
	v_cmp_eq_u32_e32 vcc_lo, 1, v24
	v_add_nc_u32_e32 v22, v3, v23
	s_delay_alu instid0(VALU_DEP_4) | instskip(NEXT) | instid1(VALU_DEP_4)
	v_add_nc_u32_e32 v16, 11, v16
	v_dual_cndmask_b32 v11, v11, v12 :: v_dual_lshlrev_b32 v10, 2, v10
	v_cmp_eq_u32_e32 vcc_lo, 1, v25
	s_delay_alu instid0(VALU_DEP_4) | instskip(SKIP_3) | instid1(VALU_DEP_4)
	v_sub_nc_u32_e32 v22, v28, v22
	v_and_b32_e32 v12, 1, v51
	v_cndmask_b32_e32 v14, v16, v14, vcc_lo
	v_cmp_eq_u32_e32 vcc_lo, 1, v13
	v_dual_cndmask_b32 v11, v11, v15 :: v_dual_add_nc_u32 v16, 12, v22
	s_delay_alu instid0(VALU_DEP_4) | instskip(NEXT) | instid1(VALU_DEP_2)
	v_cmp_eq_u32_e32 vcc_lo, 1, v12
	v_cndmask_b32_e64 v13, v16, v23, s43
	s_delay_alu instid0(VALU_DEP_3) | instskip(NEXT) | instid1(VALU_DEP_2)
	v_dual_cndmask_b32 v12, v14, v17 :: v_dual_lshlrev_b32 v11, 2, v11
	v_cndmask_b32_e64 v3, v13, v3, s42
	s_delay_alu instid0(VALU_DEP_2)
	v_lshlrev_b32_e32 v12, 2, v12
	ds_store_b32 v5, v8
	ds_store_b32 v10, v9
	;; [unrolled: 1-line block ×4, first 2 shown]
	v_lshlrev_b32_e32 v3, 2, v3
	v_add_co_u32 v5, s0, v2, v74
	s_delay_alu instid0(VALU_DEP_1) | instskip(SKIP_4) | instid1(VALU_DEP_2)
	v_add_co_ci_u32_e64 v6, null, 0, 0, s0
	ds_store_b32 v3, v27
	v_add_co_u32 v3, vcc_lo, v5, v20
	v_add_co_ci_u32_e32 v5, vcc_lo, v6, v21, vcc_lo
	s_add_u32 s0, s34, s33
	v_add_co_u32 v3, vcc_lo, v3, v18
	s_delay_alu instid0(VALU_DEP_2) | instskip(SKIP_1) | instid1(VALU_DEP_2)
	v_add_co_ci_u32_e32 v5, vcc_lo, v5, v19, vcc_lo
	s_addc_u32 s1, s35, 0
	v_sub_co_u32 v3, vcc_lo, s0, v3
	s_delay_alu instid0(VALU_DEP_2)
	v_sub_co_ci_u32_e32 v9, vcc_lo, s1, v5, vcc_lo
	v_lshlrev_b64 v[5:6], 2, v[20:21]
	v_lshlrev_b64 v[7:8], 2, v[18:19]
	v_add_nc_u32_e32 v10, v1, v2
	s_add_u32 s1, s26, -4
	s_waitcnt lgkmcnt(0)
	s_barrier
	v_add_co_u32 v5, vcc_lo, s38, v5
	v_add_co_ci_u32_e32 v6, vcc_lo, s39, v6, vcc_lo
	v_cmp_ne_u32_e32 vcc_lo, 1, v26
	v_add_co_u32 v7, s0, s36, v7
	s_delay_alu instid0(VALU_DEP_1)
	v_add_co_ci_u32_e64 v8, s0, s37, v8, s0
	s_addc_u32 s0, s27, -1
	buffer_gl0_inv
	s_cbranch_vccz .LBB1681_128
; %bb.125:
	s_and_b32 vcc_lo, exec_lo, s2
	s_cbranch_vccnz .LBB1681_233
.LBB1681_126:
	v_cmp_eq_u32_e32 vcc_lo, 0, v0
	s_and_b32 s0, vcc_lo, s14
	s_delay_alu instid0(SALU_CYCLE_1)
	s_and_saveexec_b32 s1, s0
	s_cbranch_execnz .LBB1681_351
.LBB1681_127:
	s_nop 0
	s_sendmsg sendmsg(MSG_DEALLOC_VGPRS)
	s_endpgm
.LBB1681_128:
	s_mov_b32 s2, exec_lo
	v_cmpx_le_u32_e64 v1, v0
	s_xor_b32 s2, exec_lo, s2
	s_cbranch_execz .LBB1681_134
; %bb.129:
	s_mov_b32 s4, exec_lo
	v_cmpx_le_u32_e64 v10, v0
	s_xor_b32 s4, exec_lo, s4
	s_cbranch_execz .LBB1681_131
; %bb.130:
	v_lshlrev_b32_e32 v11, 2, v0
	ds_load_b32 v13, v11
	v_add_co_u32 v11, vcc_lo, v3, v0
	v_add_co_ci_u32_e32 v12, vcc_lo, 0, v9, vcc_lo
	s_delay_alu instid0(VALU_DEP_1) | instskip(NEXT) | instid1(VALU_DEP_1)
	v_lshlrev_b64 v[11:12], 2, v[11:12]
	v_sub_co_u32 v11, vcc_lo, s26, v11
	s_delay_alu instid0(VALU_DEP_2)
	v_sub_co_ci_u32_e32 v12, vcc_lo, s27, v12, vcc_lo
	s_waitcnt lgkmcnt(0)
	global_store_b32 v[11:12], v13, off offset:-4
.LBB1681_131:
	s_and_not1_saveexec_b32 s4, s4
	s_cbranch_execz .LBB1681_133
; %bb.132:
	v_lshlrev_b32_e32 v11, 2, v0
	v_readfirstlane_b32 s6, v5
	v_readfirstlane_b32 s7, v6
	ds_load_b32 v12, v11
	s_waitcnt lgkmcnt(0)
	global_store_b32 v11, v12, s[6:7]
.LBB1681_133:
	s_or_b32 exec_lo, exec_lo, s4
.LBB1681_134:
	s_and_not1_saveexec_b32 s2, s2
	s_cbranch_execz .LBB1681_136
; %bb.135:
	v_lshlrev_b32_e32 v11, 2, v0
	v_readfirstlane_b32 s4, v7
	v_readfirstlane_b32 s5, v8
	ds_load_b32 v12, v11
	s_waitcnt lgkmcnt(0)
	global_store_b32 v11, v12, s[4:5]
.LBB1681_136:
	s_or_b32 exec_lo, exec_lo, s2
	v_or_b32_e32 v11, 0x100, v0
	s_mov_b32 s2, exec_lo
	s_delay_alu instid0(VALU_DEP_1)
	v_cmpx_le_u32_e64 v1, v11
	s_xor_b32 s2, exec_lo, s2
	s_cbranch_execz .LBB1681_142
; %bb.137:
	s_mov_b32 s4, exec_lo
	v_cmpx_le_u32_e64 v10, v11
	s_xor_b32 s4, exec_lo, s4
	s_cbranch_execz .LBB1681_139
; %bb.138:
	v_lshlrev_b32_e32 v11, 2, v0
	ds_load_b32 v13, v11 offset:1024
	v_add_co_u32 v11, vcc_lo, v3, v0
	v_add_co_ci_u32_e32 v12, vcc_lo, 0, v9, vcc_lo
	s_delay_alu instid0(VALU_DEP_1) | instskip(NEXT) | instid1(VALU_DEP_1)
	v_lshlrev_b64 v[11:12], 2, v[11:12]
	v_sub_co_u32 v11, vcc_lo, s1, v11
	s_delay_alu instid0(VALU_DEP_2)
	v_sub_co_ci_u32_e32 v12, vcc_lo, s0, v12, vcc_lo
	s_waitcnt lgkmcnt(0)
	global_store_b32 v[11:12], v13, off offset:-1024
.LBB1681_139:
	s_and_not1_saveexec_b32 s4, s4
	s_cbranch_execz .LBB1681_141
; %bb.140:
	v_lshlrev_b32_e32 v11, 2, v0
	v_readfirstlane_b32 s6, v5
	v_readfirstlane_b32 s7, v6
	ds_load_b32 v12, v11 offset:1024
	s_waitcnt lgkmcnt(0)
	global_store_b32 v11, v12, s[6:7] offset:1024
.LBB1681_141:
	s_or_b32 exec_lo, exec_lo, s4
.LBB1681_142:
	s_and_not1_saveexec_b32 s2, s2
	s_cbranch_execz .LBB1681_144
; %bb.143:
	v_lshlrev_b32_e32 v11, 2, v0
	v_readfirstlane_b32 s4, v7
	v_readfirstlane_b32 s5, v8
	ds_load_b32 v12, v11 offset:1024
	s_waitcnt lgkmcnt(0)
	global_store_b32 v11, v12, s[4:5] offset:1024
.LBB1681_144:
	s_or_b32 exec_lo, exec_lo, s2
	v_or_b32_e32 v11, 0x200, v0
	s_mov_b32 s2, exec_lo
	s_delay_alu instid0(VALU_DEP_1)
	v_cmpx_le_u32_e64 v1, v11
	s_xor_b32 s2, exec_lo, s2
	s_cbranch_execz .LBB1681_150
; %bb.145:
	s_mov_b32 s4, exec_lo
	v_cmpx_le_u32_e64 v10, v11
	s_xor_b32 s4, exec_lo, s4
	s_cbranch_execz .LBB1681_147
; %bb.146:
	v_lshlrev_b32_e32 v11, 2, v0
	ds_load_b32 v13, v11 offset:2048
	v_add_co_u32 v11, vcc_lo, v3, v0
	v_add_co_ci_u32_e32 v12, vcc_lo, 0, v9, vcc_lo
	s_delay_alu instid0(VALU_DEP_1) | instskip(NEXT) | instid1(VALU_DEP_1)
	v_lshlrev_b64 v[11:12], 2, v[11:12]
	v_sub_co_u32 v11, vcc_lo, s1, v11
	s_delay_alu instid0(VALU_DEP_2)
	v_sub_co_ci_u32_e32 v12, vcc_lo, s0, v12, vcc_lo
	s_waitcnt lgkmcnt(0)
	global_store_b32 v[11:12], v13, off offset:-2048
.LBB1681_147:
	s_and_not1_saveexec_b32 s4, s4
	s_cbranch_execz .LBB1681_149
; %bb.148:
	v_lshlrev_b32_e32 v11, 2, v0
	v_readfirstlane_b32 s6, v5
	v_readfirstlane_b32 s7, v6
	ds_load_b32 v12, v11 offset:2048
	s_waitcnt lgkmcnt(0)
	global_store_b32 v11, v12, s[6:7] offset:2048
.LBB1681_149:
	s_or_b32 exec_lo, exec_lo, s4
.LBB1681_150:
	s_and_not1_saveexec_b32 s2, s2
	s_cbranch_execz .LBB1681_152
; %bb.151:
	v_lshlrev_b32_e32 v11, 2, v0
	v_readfirstlane_b32 s4, v7
	v_readfirstlane_b32 s5, v8
	ds_load_b32 v12, v11 offset:2048
	s_waitcnt lgkmcnt(0)
	global_store_b32 v11, v12, s[4:5] offset:2048
.LBB1681_152:
	;; [unrolled: 47-line block ×3, first 2 shown]
	s_or_b32 exec_lo, exec_lo, s2
	v_or_b32_e32 v11, 0x400, v0
	s_mov_b32 s2, exec_lo
	s_delay_alu instid0(VALU_DEP_1)
	v_cmpx_le_u32_e64 v1, v11
	s_xor_b32 s2, exec_lo, s2
	s_cbranch_execz .LBB1681_166
; %bb.161:
	s_mov_b32 s4, exec_lo
	v_cmpx_le_u32_e64 v10, v11
	s_xor_b32 s4, exec_lo, s4
	s_cbranch_execz .LBB1681_163
; %bb.162:
	v_lshlrev_b32_e32 v11, 2, v0
	ds_load_b32 v13, v11 offset:4096
	v_add_co_u32 v11, vcc_lo, v3, v0
	v_add_co_ci_u32_e32 v12, vcc_lo, 0, v9, vcc_lo
	s_delay_alu instid0(VALU_DEP_1) | instskip(NEXT) | instid1(VALU_DEP_1)
	v_lshlrev_b64 v[11:12], 2, v[11:12]
	v_sub_co_u32 v11, vcc_lo, s1, v11
	s_delay_alu instid0(VALU_DEP_2)
	v_sub_co_ci_u32_e32 v12, vcc_lo, s0, v12, vcc_lo
	s_waitcnt lgkmcnt(0)
	global_store_b32 v[11:12], v13, off offset:-4096
                                        ; implicit-def: $vgpr11
.LBB1681_163:
	s_and_not1_saveexec_b32 s4, s4
	s_cbranch_execz .LBB1681_165
; %bb.164:
	v_lshlrev_b32_e32 v12, 2, v0
	v_lshlrev_b32_e32 v11, 2, v11
	v_readfirstlane_b32 s6, v5
	v_readfirstlane_b32 s7, v6
	ds_load_b32 v12, v12 offset:4096
	s_waitcnt lgkmcnt(0)
	global_store_b32 v11, v12, s[6:7]
.LBB1681_165:
	s_or_b32 exec_lo, exec_lo, s4
                                        ; implicit-def: $vgpr11
.LBB1681_166:
	s_and_not1_saveexec_b32 s2, s2
	s_cbranch_execz .LBB1681_168
; %bb.167:
	v_lshlrev_b32_e32 v12, 2, v0
	v_lshlrev_b32_e32 v11, 2, v11
	v_readfirstlane_b32 s4, v7
	v_readfirstlane_b32 s5, v8
	ds_load_b32 v12, v12 offset:4096
	s_waitcnt lgkmcnt(0)
	global_store_b32 v11, v12, s[4:5]
.LBB1681_168:
	s_or_b32 exec_lo, exec_lo, s2
	v_or_b32_e32 v11, 0x500, v0
	s_mov_b32 s2, exec_lo
	s_delay_alu instid0(VALU_DEP_1)
	v_cmpx_le_u32_e64 v1, v11
	s_xor_b32 s2, exec_lo, s2
	s_cbranch_execz .LBB1681_174
; %bb.169:
	s_mov_b32 s4, exec_lo
	v_cmpx_le_u32_e64 v10, v11
	s_xor_b32 s4, exec_lo, s4
	s_cbranch_execz .LBB1681_171
; %bb.170:
	v_lshlrev_b32_e32 v12, 2, v0
	v_add_co_u32 v11, vcc_lo, v3, v11
	ds_load_b32 v13, v12 offset:5120
	v_add_co_ci_u32_e32 v12, vcc_lo, 0, v9, vcc_lo
	s_delay_alu instid0(VALU_DEP_1) | instskip(NEXT) | instid1(VALU_DEP_1)
	v_lshlrev_b64 v[11:12], 2, v[11:12]
	v_sub_co_u32 v11, vcc_lo, s1, v11
	s_delay_alu instid0(VALU_DEP_2)
	v_sub_co_ci_u32_e32 v12, vcc_lo, s0, v12, vcc_lo
	s_waitcnt lgkmcnt(0)
	global_store_b32 v[11:12], v13, off
                                        ; implicit-def: $vgpr11
.LBB1681_171:
	s_and_not1_saveexec_b32 s4, s4
	s_cbranch_execz .LBB1681_173
; %bb.172:
	v_lshlrev_b32_e32 v12, 2, v0
	v_lshlrev_b32_e32 v11, 2, v11
	v_readfirstlane_b32 s6, v5
	v_readfirstlane_b32 s7, v6
	ds_load_b32 v12, v12 offset:5120
	s_waitcnt lgkmcnt(0)
	global_store_b32 v11, v12, s[6:7]
.LBB1681_173:
	s_or_b32 exec_lo, exec_lo, s4
                                        ; implicit-def: $vgpr11
.LBB1681_174:
	s_and_not1_saveexec_b32 s2, s2
	s_cbranch_execz .LBB1681_176
; %bb.175:
	v_lshlrev_b32_e32 v12, 2, v0
	v_lshlrev_b32_e32 v11, 2, v11
	v_readfirstlane_b32 s4, v7
	v_readfirstlane_b32 s5, v8
	ds_load_b32 v12, v12 offset:5120
	s_waitcnt lgkmcnt(0)
	global_store_b32 v11, v12, s[4:5]
.LBB1681_176:
	s_or_b32 exec_lo, exec_lo, s2
	v_or_b32_e32 v11, 0x600, v0
	s_mov_b32 s2, exec_lo
	s_delay_alu instid0(VALU_DEP_1)
	v_cmpx_le_u32_e64 v1, v11
	s_xor_b32 s2, exec_lo, s2
	s_cbranch_execz .LBB1681_182
; %bb.177:
	s_mov_b32 s4, exec_lo
	v_cmpx_le_u32_e64 v10, v11
	s_xor_b32 s4, exec_lo, s4
	s_cbranch_execz .LBB1681_179
; %bb.178:
	v_lshlrev_b32_e32 v12, 2, v0
	v_add_co_u32 v11, vcc_lo, v3, v11
	ds_load_b32 v13, v12 offset:6144
	v_add_co_ci_u32_e32 v12, vcc_lo, 0, v9, vcc_lo
	s_delay_alu instid0(VALU_DEP_1) | instskip(NEXT) | instid1(VALU_DEP_1)
	v_lshlrev_b64 v[11:12], 2, v[11:12]
	v_sub_co_u32 v11, vcc_lo, s1, v11
	s_delay_alu instid0(VALU_DEP_2)
	v_sub_co_ci_u32_e32 v12, vcc_lo, s0, v12, vcc_lo
	s_waitcnt lgkmcnt(0)
	global_store_b32 v[11:12], v13, off
                                        ; implicit-def: $vgpr11
.LBB1681_179:
	s_and_not1_saveexec_b32 s4, s4
	s_cbranch_execz .LBB1681_181
; %bb.180:
	v_lshlrev_b32_e32 v12, 2, v0
	v_lshlrev_b32_e32 v11, 2, v11
	v_readfirstlane_b32 s6, v5
	v_readfirstlane_b32 s7, v6
	ds_load_b32 v12, v12 offset:6144
	s_waitcnt lgkmcnt(0)
	global_store_b32 v11, v12, s[6:7]
.LBB1681_181:
	s_or_b32 exec_lo, exec_lo, s4
                                        ; implicit-def: $vgpr11
.LBB1681_182:
	s_and_not1_saveexec_b32 s2, s2
	s_cbranch_execz .LBB1681_184
; %bb.183:
	v_lshlrev_b32_e32 v12, 2, v0
	v_lshlrev_b32_e32 v11, 2, v11
	v_readfirstlane_b32 s4, v7
	v_readfirstlane_b32 s5, v8
	ds_load_b32 v12, v12 offset:6144
	s_waitcnt lgkmcnt(0)
	global_store_b32 v11, v12, s[4:5]
.LBB1681_184:
	s_or_b32 exec_lo, exec_lo, s2
	v_or_b32_e32 v11, 0x700, v0
	s_mov_b32 s2, exec_lo
	s_delay_alu instid0(VALU_DEP_1)
	v_cmpx_le_u32_e64 v1, v11
	s_xor_b32 s2, exec_lo, s2
	s_cbranch_execz .LBB1681_190
; %bb.185:
	s_mov_b32 s4, exec_lo
	v_cmpx_le_u32_e64 v10, v11
	s_xor_b32 s4, exec_lo, s4
	s_cbranch_execz .LBB1681_187
; %bb.186:
	v_lshlrev_b32_e32 v12, 2, v0
	v_add_co_u32 v11, vcc_lo, v3, v11
	ds_load_b32 v13, v12 offset:7168
	v_add_co_ci_u32_e32 v12, vcc_lo, 0, v9, vcc_lo
	s_delay_alu instid0(VALU_DEP_1) | instskip(NEXT) | instid1(VALU_DEP_1)
	v_lshlrev_b64 v[11:12], 2, v[11:12]
	v_sub_co_u32 v11, vcc_lo, s1, v11
	s_delay_alu instid0(VALU_DEP_2)
	v_sub_co_ci_u32_e32 v12, vcc_lo, s0, v12, vcc_lo
	s_waitcnt lgkmcnt(0)
	global_store_b32 v[11:12], v13, off
                                        ; implicit-def: $vgpr11
.LBB1681_187:
	s_and_not1_saveexec_b32 s4, s4
	s_cbranch_execz .LBB1681_189
; %bb.188:
	v_lshlrev_b32_e32 v12, 2, v0
	v_lshlrev_b32_e32 v11, 2, v11
	v_readfirstlane_b32 s6, v5
	v_readfirstlane_b32 s7, v6
	ds_load_b32 v12, v12 offset:7168
	s_waitcnt lgkmcnt(0)
	global_store_b32 v11, v12, s[6:7]
.LBB1681_189:
	s_or_b32 exec_lo, exec_lo, s4
                                        ; implicit-def: $vgpr11
.LBB1681_190:
	s_and_not1_saveexec_b32 s2, s2
	s_cbranch_execz .LBB1681_192
; %bb.191:
	v_lshlrev_b32_e32 v12, 2, v0
	v_lshlrev_b32_e32 v11, 2, v11
	v_readfirstlane_b32 s4, v7
	v_readfirstlane_b32 s5, v8
	ds_load_b32 v12, v12 offset:7168
	s_waitcnt lgkmcnt(0)
	global_store_b32 v11, v12, s[4:5]
.LBB1681_192:
	s_or_b32 exec_lo, exec_lo, s2
	v_or_b32_e32 v11, 0x800, v0
	s_mov_b32 s2, exec_lo
	s_delay_alu instid0(VALU_DEP_1)
	v_cmpx_le_u32_e64 v1, v11
	s_xor_b32 s2, exec_lo, s2
	s_cbranch_execz .LBB1681_198
; %bb.193:
	s_mov_b32 s4, exec_lo
	v_cmpx_le_u32_e64 v10, v11
	s_xor_b32 s4, exec_lo, s4
	s_cbranch_execz .LBB1681_195
; %bb.194:
	v_lshlrev_b32_e32 v12, 2, v0
	v_add_co_u32 v11, vcc_lo, v3, v11
	ds_load_b32 v13, v12 offset:8192
	v_add_co_ci_u32_e32 v12, vcc_lo, 0, v9, vcc_lo
	s_delay_alu instid0(VALU_DEP_1) | instskip(NEXT) | instid1(VALU_DEP_1)
	v_lshlrev_b64 v[11:12], 2, v[11:12]
	v_sub_co_u32 v11, vcc_lo, s1, v11
	s_delay_alu instid0(VALU_DEP_2)
	v_sub_co_ci_u32_e32 v12, vcc_lo, s0, v12, vcc_lo
	s_waitcnt lgkmcnt(0)
	global_store_b32 v[11:12], v13, off
                                        ; implicit-def: $vgpr11
.LBB1681_195:
	s_and_not1_saveexec_b32 s4, s4
	s_cbranch_execz .LBB1681_197
; %bb.196:
	v_lshlrev_b32_e32 v12, 2, v0
	v_lshlrev_b32_e32 v11, 2, v11
	v_readfirstlane_b32 s6, v5
	v_readfirstlane_b32 s7, v6
	ds_load_b32 v12, v12 offset:8192
	s_waitcnt lgkmcnt(0)
	global_store_b32 v11, v12, s[6:7]
.LBB1681_197:
	s_or_b32 exec_lo, exec_lo, s4
                                        ; implicit-def: $vgpr11
.LBB1681_198:
	s_and_not1_saveexec_b32 s2, s2
	s_cbranch_execz .LBB1681_200
; %bb.199:
	v_lshlrev_b32_e32 v12, 2, v0
	v_lshlrev_b32_e32 v11, 2, v11
	v_readfirstlane_b32 s4, v7
	v_readfirstlane_b32 s5, v8
	ds_load_b32 v12, v12 offset:8192
	s_waitcnt lgkmcnt(0)
	global_store_b32 v11, v12, s[4:5]
.LBB1681_200:
	s_or_b32 exec_lo, exec_lo, s2
	v_or_b32_e32 v11, 0x900, v0
	s_mov_b32 s2, exec_lo
	s_delay_alu instid0(VALU_DEP_1)
	v_cmpx_le_u32_e64 v1, v11
	s_xor_b32 s2, exec_lo, s2
	s_cbranch_execz .LBB1681_206
; %bb.201:
	s_mov_b32 s4, exec_lo
	v_cmpx_le_u32_e64 v10, v11
	s_xor_b32 s4, exec_lo, s4
	s_cbranch_execz .LBB1681_203
; %bb.202:
	v_lshlrev_b32_e32 v12, 2, v0
	v_add_co_u32 v11, vcc_lo, v3, v11
	ds_load_b32 v13, v12 offset:9216
	v_add_co_ci_u32_e32 v12, vcc_lo, 0, v9, vcc_lo
	s_delay_alu instid0(VALU_DEP_1) | instskip(NEXT) | instid1(VALU_DEP_1)
	v_lshlrev_b64 v[11:12], 2, v[11:12]
	v_sub_co_u32 v11, vcc_lo, s1, v11
	s_delay_alu instid0(VALU_DEP_2)
	v_sub_co_ci_u32_e32 v12, vcc_lo, s0, v12, vcc_lo
	s_waitcnt lgkmcnt(0)
	global_store_b32 v[11:12], v13, off
                                        ; implicit-def: $vgpr11
.LBB1681_203:
	s_and_not1_saveexec_b32 s4, s4
	s_cbranch_execz .LBB1681_205
; %bb.204:
	v_lshlrev_b32_e32 v12, 2, v0
	v_lshlrev_b32_e32 v11, 2, v11
	v_readfirstlane_b32 s6, v5
	v_readfirstlane_b32 s7, v6
	ds_load_b32 v12, v12 offset:9216
	s_waitcnt lgkmcnt(0)
	global_store_b32 v11, v12, s[6:7]
.LBB1681_205:
	s_or_b32 exec_lo, exec_lo, s4
                                        ; implicit-def: $vgpr11
.LBB1681_206:
	s_and_not1_saveexec_b32 s2, s2
	s_cbranch_execz .LBB1681_208
; %bb.207:
	v_lshlrev_b32_e32 v12, 2, v0
	v_lshlrev_b32_e32 v11, 2, v11
	v_readfirstlane_b32 s4, v7
	v_readfirstlane_b32 s5, v8
	ds_load_b32 v12, v12 offset:9216
	s_waitcnt lgkmcnt(0)
	global_store_b32 v11, v12, s[4:5]
.LBB1681_208:
	s_or_b32 exec_lo, exec_lo, s2
	v_or_b32_e32 v11, 0xa00, v0
	s_mov_b32 s2, exec_lo
	s_delay_alu instid0(VALU_DEP_1)
	v_cmpx_le_u32_e64 v1, v11
	s_xor_b32 s2, exec_lo, s2
	s_cbranch_execz .LBB1681_214
; %bb.209:
	s_mov_b32 s4, exec_lo
	v_cmpx_le_u32_e64 v10, v11
	s_xor_b32 s4, exec_lo, s4
	s_cbranch_execz .LBB1681_211
; %bb.210:
	v_lshlrev_b32_e32 v12, 2, v0
	v_add_co_u32 v11, vcc_lo, v3, v11
	ds_load_b32 v13, v12 offset:10240
	v_add_co_ci_u32_e32 v12, vcc_lo, 0, v9, vcc_lo
	s_delay_alu instid0(VALU_DEP_1) | instskip(NEXT) | instid1(VALU_DEP_1)
	v_lshlrev_b64 v[11:12], 2, v[11:12]
	v_sub_co_u32 v11, vcc_lo, s1, v11
	s_delay_alu instid0(VALU_DEP_2)
	v_sub_co_ci_u32_e32 v12, vcc_lo, s0, v12, vcc_lo
	s_waitcnt lgkmcnt(0)
	global_store_b32 v[11:12], v13, off
                                        ; implicit-def: $vgpr11
.LBB1681_211:
	s_and_not1_saveexec_b32 s4, s4
	s_cbranch_execz .LBB1681_213
; %bb.212:
	v_lshlrev_b32_e32 v12, 2, v0
	v_lshlrev_b32_e32 v11, 2, v11
	v_readfirstlane_b32 s6, v5
	v_readfirstlane_b32 s7, v6
	ds_load_b32 v12, v12 offset:10240
	s_waitcnt lgkmcnt(0)
	global_store_b32 v11, v12, s[6:7]
.LBB1681_213:
	s_or_b32 exec_lo, exec_lo, s4
                                        ; implicit-def: $vgpr11
.LBB1681_214:
	s_and_not1_saveexec_b32 s2, s2
	s_cbranch_execz .LBB1681_216
; %bb.215:
	v_lshlrev_b32_e32 v12, 2, v0
	v_lshlrev_b32_e32 v11, 2, v11
	v_readfirstlane_b32 s4, v7
	v_readfirstlane_b32 s5, v8
	ds_load_b32 v12, v12 offset:10240
	s_waitcnt lgkmcnt(0)
	global_store_b32 v11, v12, s[4:5]
.LBB1681_216:
	s_or_b32 exec_lo, exec_lo, s2
	v_or_b32_e32 v11, 0xb00, v0
	s_mov_b32 s2, exec_lo
	s_delay_alu instid0(VALU_DEP_1)
	v_cmpx_le_u32_e64 v1, v11
	s_xor_b32 s2, exec_lo, s2
	s_cbranch_execz .LBB1681_222
; %bb.217:
	s_mov_b32 s4, exec_lo
	v_cmpx_le_u32_e64 v10, v11
	s_xor_b32 s4, exec_lo, s4
	s_cbranch_execz .LBB1681_219
; %bb.218:
	v_lshlrev_b32_e32 v12, 2, v0
	v_add_co_u32 v11, vcc_lo, v3, v11
	ds_load_b32 v13, v12 offset:11264
	v_add_co_ci_u32_e32 v12, vcc_lo, 0, v9, vcc_lo
	s_delay_alu instid0(VALU_DEP_1) | instskip(NEXT) | instid1(VALU_DEP_1)
	v_lshlrev_b64 v[11:12], 2, v[11:12]
	v_sub_co_u32 v11, vcc_lo, s1, v11
	s_delay_alu instid0(VALU_DEP_2)
	v_sub_co_ci_u32_e32 v12, vcc_lo, s0, v12, vcc_lo
	s_waitcnt lgkmcnt(0)
	global_store_b32 v[11:12], v13, off
                                        ; implicit-def: $vgpr11
.LBB1681_219:
	s_and_not1_saveexec_b32 s4, s4
	s_cbranch_execz .LBB1681_221
; %bb.220:
	v_lshlrev_b32_e32 v12, 2, v0
	v_lshlrev_b32_e32 v11, 2, v11
	v_readfirstlane_b32 s6, v5
	v_readfirstlane_b32 s7, v6
	ds_load_b32 v12, v12 offset:11264
	s_waitcnt lgkmcnt(0)
	global_store_b32 v11, v12, s[6:7]
.LBB1681_221:
	s_or_b32 exec_lo, exec_lo, s4
                                        ; implicit-def: $vgpr11
.LBB1681_222:
	s_and_not1_saveexec_b32 s2, s2
	s_cbranch_execz .LBB1681_224
; %bb.223:
	v_lshlrev_b32_e32 v12, 2, v0
	v_lshlrev_b32_e32 v11, 2, v11
	v_readfirstlane_b32 s4, v7
	v_readfirstlane_b32 s5, v8
	ds_load_b32 v12, v12 offset:11264
	s_waitcnt lgkmcnt(0)
	global_store_b32 v11, v12, s[4:5]
.LBB1681_224:
	s_or_b32 exec_lo, exec_lo, s2
	v_or_b32_e32 v11, 0xc00, v0
	s_mov_b32 s2, exec_lo
	s_delay_alu instid0(VALU_DEP_1)
	v_cmpx_le_u32_e64 v1, v11
	s_xor_b32 s2, exec_lo, s2
	s_cbranch_execz .LBB1681_230
; %bb.225:
	s_mov_b32 s4, exec_lo
	v_cmpx_le_u32_e64 v10, v11
	s_xor_b32 s4, exec_lo, s4
	s_cbranch_execz .LBB1681_227
; %bb.226:
	v_lshlrev_b32_e32 v12, 2, v0
	v_add_co_u32 v11, vcc_lo, v3, v11
	ds_load_b32 v13, v12 offset:12288
	v_add_co_ci_u32_e32 v12, vcc_lo, 0, v9, vcc_lo
	s_delay_alu instid0(VALU_DEP_1) | instskip(NEXT) | instid1(VALU_DEP_1)
	v_lshlrev_b64 v[11:12], 2, v[11:12]
	v_sub_co_u32 v11, vcc_lo, s1, v11
	s_delay_alu instid0(VALU_DEP_2)
	v_sub_co_ci_u32_e32 v12, vcc_lo, s0, v12, vcc_lo
	s_waitcnt lgkmcnt(0)
	global_store_b32 v[11:12], v13, off
                                        ; implicit-def: $vgpr11
.LBB1681_227:
	s_and_not1_saveexec_b32 s4, s4
	s_cbranch_execz .LBB1681_229
; %bb.228:
	v_lshlrev_b32_e32 v12, 2, v0
	v_lshlrev_b32_e32 v11, 2, v11
	v_readfirstlane_b32 s6, v5
	v_readfirstlane_b32 s7, v6
	ds_load_b32 v12, v12 offset:12288
	s_waitcnt lgkmcnt(0)
	global_store_b32 v11, v12, s[6:7]
.LBB1681_229:
	s_or_b32 exec_lo, exec_lo, s4
                                        ; implicit-def: $vgpr11
.LBB1681_230:
	s_and_not1_saveexec_b32 s2, s2
	s_cbranch_execz .LBB1681_232
; %bb.231:
	v_lshlrev_b32_e32 v12, 2, v0
	v_lshlrev_b32_e32 v11, 2, v11
	v_readfirstlane_b32 s4, v7
	v_readfirstlane_b32 s5, v8
	ds_load_b32 v12, v12 offset:12288
	s_waitcnt lgkmcnt(0)
	global_store_b32 v11, v12, s[4:5]
.LBB1681_232:
	s_or_b32 exec_lo, exec_lo, s2
	s_branch .LBB1681_126
.LBB1681_233:
	s_mov_b32 s2, exec_lo
	v_cmpx_gt_u32_e64 s3, v0
	s_cbranch_execz .LBB1681_242
; %bb.234:
	s_mov_b32 s4, exec_lo
	v_cmpx_le_u32_e64 v1, v0
	s_xor_b32 s4, exec_lo, s4
	s_cbranch_execz .LBB1681_240
; %bb.235:
	s_mov_b32 s5, exec_lo
	v_cmpx_le_u32_e64 v10, v0
	s_xor_b32 s5, exec_lo, s5
	s_cbranch_execz .LBB1681_237
; %bb.236:
	v_lshlrev_b32_e32 v11, 2, v0
	ds_load_b32 v13, v11
	v_add_co_u32 v11, vcc_lo, v3, v0
	v_add_co_ci_u32_e32 v12, vcc_lo, 0, v9, vcc_lo
	s_delay_alu instid0(VALU_DEP_1) | instskip(NEXT) | instid1(VALU_DEP_1)
	v_lshlrev_b64 v[11:12], 2, v[11:12]
	v_sub_co_u32 v11, vcc_lo, s26, v11
	s_delay_alu instid0(VALU_DEP_2)
	v_sub_co_ci_u32_e32 v12, vcc_lo, s27, v12, vcc_lo
	s_waitcnt lgkmcnt(0)
	global_store_b32 v[11:12], v13, off offset:-4
.LBB1681_237:
	s_and_not1_saveexec_b32 s5, s5
	s_cbranch_execz .LBB1681_239
; %bb.238:
	v_lshlrev_b32_e32 v11, 2, v0
	v_readfirstlane_b32 s6, v5
	v_readfirstlane_b32 s7, v6
	ds_load_b32 v12, v11
	s_waitcnt lgkmcnt(0)
	global_store_b32 v11, v12, s[6:7]
.LBB1681_239:
	s_or_b32 exec_lo, exec_lo, s5
.LBB1681_240:
	s_and_not1_saveexec_b32 s4, s4
	s_cbranch_execz .LBB1681_242
; %bb.241:
	v_lshlrev_b32_e32 v11, 2, v0
	v_readfirstlane_b32 s4, v7
	v_readfirstlane_b32 s5, v8
	ds_load_b32 v12, v11
	s_waitcnt lgkmcnt(0)
	global_store_b32 v11, v12, s[4:5]
.LBB1681_242:
	s_or_b32 exec_lo, exec_lo, s2
	v_or_b32_e32 v11, 0x100, v0
	s_mov_b32 s2, exec_lo
	s_delay_alu instid0(VALU_DEP_1)
	v_cmpx_gt_u32_e64 s3, v11
	s_cbranch_execz .LBB1681_251
; %bb.243:
	s_mov_b32 s4, exec_lo
	v_cmpx_le_u32_e64 v1, v11
	s_xor_b32 s4, exec_lo, s4
	s_cbranch_execz .LBB1681_249
; %bb.244:
	s_mov_b32 s5, exec_lo
	v_cmpx_le_u32_e64 v10, v11
	s_xor_b32 s5, exec_lo, s5
	s_cbranch_execz .LBB1681_246
; %bb.245:
	v_lshlrev_b32_e32 v11, 2, v0
	ds_load_b32 v13, v11 offset:1024
	v_add_co_u32 v11, vcc_lo, v3, v0
	v_add_co_ci_u32_e32 v12, vcc_lo, 0, v9, vcc_lo
	s_delay_alu instid0(VALU_DEP_1) | instskip(NEXT) | instid1(VALU_DEP_1)
	v_lshlrev_b64 v[11:12], 2, v[11:12]
	v_sub_co_u32 v11, vcc_lo, s1, v11
	s_delay_alu instid0(VALU_DEP_2)
	v_sub_co_ci_u32_e32 v12, vcc_lo, s0, v12, vcc_lo
	s_waitcnt lgkmcnt(0)
	global_store_b32 v[11:12], v13, off offset:-1024
.LBB1681_246:
	s_and_not1_saveexec_b32 s5, s5
	s_cbranch_execz .LBB1681_248
; %bb.247:
	v_lshlrev_b32_e32 v11, 2, v0
	v_readfirstlane_b32 s6, v5
	v_readfirstlane_b32 s7, v6
	ds_load_b32 v12, v11 offset:1024
	s_waitcnt lgkmcnt(0)
	global_store_b32 v11, v12, s[6:7] offset:1024
.LBB1681_248:
	s_or_b32 exec_lo, exec_lo, s5
.LBB1681_249:
	s_and_not1_saveexec_b32 s4, s4
	s_cbranch_execz .LBB1681_251
; %bb.250:
	v_lshlrev_b32_e32 v11, 2, v0
	v_readfirstlane_b32 s4, v7
	v_readfirstlane_b32 s5, v8
	ds_load_b32 v12, v11 offset:1024
	s_waitcnt lgkmcnt(0)
	global_store_b32 v11, v12, s[4:5] offset:1024
.LBB1681_251:
	s_or_b32 exec_lo, exec_lo, s2
	v_or_b32_e32 v11, 0x200, v0
	s_mov_b32 s2, exec_lo
	s_delay_alu instid0(VALU_DEP_1)
	v_cmpx_gt_u32_e64 s3, v11
	s_cbranch_execz .LBB1681_260
; %bb.252:
	s_mov_b32 s4, exec_lo
	v_cmpx_le_u32_e64 v1, v11
	s_xor_b32 s4, exec_lo, s4
	s_cbranch_execz .LBB1681_258
; %bb.253:
	s_mov_b32 s5, exec_lo
	v_cmpx_le_u32_e64 v10, v11
	s_xor_b32 s5, exec_lo, s5
	s_cbranch_execz .LBB1681_255
; %bb.254:
	v_lshlrev_b32_e32 v11, 2, v0
	ds_load_b32 v13, v11 offset:2048
	v_add_co_u32 v11, vcc_lo, v3, v0
	v_add_co_ci_u32_e32 v12, vcc_lo, 0, v9, vcc_lo
	s_delay_alu instid0(VALU_DEP_1) | instskip(NEXT) | instid1(VALU_DEP_1)
	v_lshlrev_b64 v[11:12], 2, v[11:12]
	v_sub_co_u32 v11, vcc_lo, s1, v11
	s_delay_alu instid0(VALU_DEP_2)
	v_sub_co_ci_u32_e32 v12, vcc_lo, s0, v12, vcc_lo
	s_waitcnt lgkmcnt(0)
	global_store_b32 v[11:12], v13, off offset:-2048
.LBB1681_255:
	s_and_not1_saveexec_b32 s5, s5
	s_cbranch_execz .LBB1681_257
; %bb.256:
	v_lshlrev_b32_e32 v11, 2, v0
	v_readfirstlane_b32 s6, v5
	v_readfirstlane_b32 s7, v6
	ds_load_b32 v12, v11 offset:2048
	s_waitcnt lgkmcnt(0)
	global_store_b32 v11, v12, s[6:7] offset:2048
.LBB1681_257:
	s_or_b32 exec_lo, exec_lo, s5
.LBB1681_258:
	s_and_not1_saveexec_b32 s4, s4
	s_cbranch_execz .LBB1681_260
; %bb.259:
	v_lshlrev_b32_e32 v11, 2, v0
	v_readfirstlane_b32 s4, v7
	v_readfirstlane_b32 s5, v8
	ds_load_b32 v12, v11 offset:2048
	s_waitcnt lgkmcnt(0)
	global_store_b32 v11, v12, s[4:5] offset:2048
.LBB1681_260:
	;; [unrolled: 51-line block ×3, first 2 shown]
	s_or_b32 exec_lo, exec_lo, s2
	v_or_b32_e32 v11, 0x400, v0
	s_mov_b32 s2, exec_lo
	s_delay_alu instid0(VALU_DEP_1)
	v_cmpx_gt_u32_e64 s3, v11
	s_cbranch_execz .LBB1681_278
; %bb.270:
	s_mov_b32 s4, exec_lo
	v_cmpx_le_u32_e64 v1, v11
	s_xor_b32 s4, exec_lo, s4
	s_cbranch_execz .LBB1681_276
; %bb.271:
	s_mov_b32 s5, exec_lo
	v_cmpx_le_u32_e64 v10, v11
	s_xor_b32 s5, exec_lo, s5
	s_cbranch_execz .LBB1681_273
; %bb.272:
	v_lshlrev_b32_e32 v11, 2, v0
	ds_load_b32 v13, v11 offset:4096
	v_add_co_u32 v11, vcc_lo, v3, v0
	v_add_co_ci_u32_e32 v12, vcc_lo, 0, v9, vcc_lo
	s_delay_alu instid0(VALU_DEP_1) | instskip(NEXT) | instid1(VALU_DEP_1)
	v_lshlrev_b64 v[11:12], 2, v[11:12]
	v_sub_co_u32 v11, vcc_lo, s1, v11
	s_delay_alu instid0(VALU_DEP_2)
	v_sub_co_ci_u32_e32 v12, vcc_lo, s0, v12, vcc_lo
	s_waitcnt lgkmcnt(0)
	global_store_b32 v[11:12], v13, off offset:-4096
                                        ; implicit-def: $vgpr11
.LBB1681_273:
	s_and_not1_saveexec_b32 s5, s5
	s_cbranch_execz .LBB1681_275
; %bb.274:
	v_lshlrev_b32_e32 v12, 2, v0
	v_lshlrev_b32_e32 v11, 2, v11
	v_readfirstlane_b32 s6, v5
	v_readfirstlane_b32 s7, v6
	ds_load_b32 v12, v12 offset:4096
	s_waitcnt lgkmcnt(0)
	global_store_b32 v11, v12, s[6:7]
.LBB1681_275:
	s_or_b32 exec_lo, exec_lo, s5
                                        ; implicit-def: $vgpr11
.LBB1681_276:
	s_and_not1_saveexec_b32 s4, s4
	s_cbranch_execz .LBB1681_278
; %bb.277:
	v_lshlrev_b32_e32 v12, 2, v0
	v_lshlrev_b32_e32 v11, 2, v11
	v_readfirstlane_b32 s4, v7
	v_readfirstlane_b32 s5, v8
	ds_load_b32 v12, v12 offset:4096
	s_waitcnt lgkmcnt(0)
	global_store_b32 v11, v12, s[4:5]
.LBB1681_278:
	s_or_b32 exec_lo, exec_lo, s2
	v_or_b32_e32 v11, 0x500, v0
	s_mov_b32 s2, exec_lo
	s_delay_alu instid0(VALU_DEP_1)
	v_cmpx_gt_u32_e64 s3, v11
	s_cbranch_execz .LBB1681_287
; %bb.279:
	s_mov_b32 s4, exec_lo
	v_cmpx_le_u32_e64 v1, v11
	s_xor_b32 s4, exec_lo, s4
	s_cbranch_execz .LBB1681_285
; %bb.280:
	s_mov_b32 s5, exec_lo
	v_cmpx_le_u32_e64 v10, v11
	s_xor_b32 s5, exec_lo, s5
	s_cbranch_execz .LBB1681_282
; %bb.281:
	v_lshlrev_b32_e32 v12, 2, v0
	v_add_co_u32 v11, vcc_lo, v3, v11
	ds_load_b32 v13, v12 offset:5120
	v_add_co_ci_u32_e32 v12, vcc_lo, 0, v9, vcc_lo
	s_delay_alu instid0(VALU_DEP_1) | instskip(NEXT) | instid1(VALU_DEP_1)
	v_lshlrev_b64 v[11:12], 2, v[11:12]
	v_sub_co_u32 v11, vcc_lo, s1, v11
	s_delay_alu instid0(VALU_DEP_2)
	v_sub_co_ci_u32_e32 v12, vcc_lo, s0, v12, vcc_lo
	s_waitcnt lgkmcnt(0)
	global_store_b32 v[11:12], v13, off
                                        ; implicit-def: $vgpr11
.LBB1681_282:
	s_and_not1_saveexec_b32 s5, s5
	s_cbranch_execz .LBB1681_284
; %bb.283:
	v_lshlrev_b32_e32 v12, 2, v0
	v_lshlrev_b32_e32 v11, 2, v11
	v_readfirstlane_b32 s6, v5
	v_readfirstlane_b32 s7, v6
	ds_load_b32 v12, v12 offset:5120
	s_waitcnt lgkmcnt(0)
	global_store_b32 v11, v12, s[6:7]
.LBB1681_284:
	s_or_b32 exec_lo, exec_lo, s5
                                        ; implicit-def: $vgpr11
.LBB1681_285:
	s_and_not1_saveexec_b32 s4, s4
	s_cbranch_execz .LBB1681_287
; %bb.286:
	v_lshlrev_b32_e32 v12, 2, v0
	v_lshlrev_b32_e32 v11, 2, v11
	v_readfirstlane_b32 s4, v7
	v_readfirstlane_b32 s5, v8
	ds_load_b32 v12, v12 offset:5120
	s_waitcnt lgkmcnt(0)
	global_store_b32 v11, v12, s[4:5]
.LBB1681_287:
	s_or_b32 exec_lo, exec_lo, s2
	v_or_b32_e32 v11, 0x600, v0
	s_mov_b32 s2, exec_lo
	s_delay_alu instid0(VALU_DEP_1)
	v_cmpx_gt_u32_e64 s3, v11
	s_cbranch_execz .LBB1681_296
; %bb.288:
	s_mov_b32 s4, exec_lo
	v_cmpx_le_u32_e64 v1, v11
	s_xor_b32 s4, exec_lo, s4
	s_cbranch_execz .LBB1681_294
; %bb.289:
	s_mov_b32 s5, exec_lo
	v_cmpx_le_u32_e64 v10, v11
	s_xor_b32 s5, exec_lo, s5
	s_cbranch_execz .LBB1681_291
; %bb.290:
	v_lshlrev_b32_e32 v12, 2, v0
	v_add_co_u32 v11, vcc_lo, v3, v11
	ds_load_b32 v13, v12 offset:6144
	v_add_co_ci_u32_e32 v12, vcc_lo, 0, v9, vcc_lo
	s_delay_alu instid0(VALU_DEP_1) | instskip(NEXT) | instid1(VALU_DEP_1)
	v_lshlrev_b64 v[11:12], 2, v[11:12]
	v_sub_co_u32 v11, vcc_lo, s1, v11
	s_delay_alu instid0(VALU_DEP_2)
	v_sub_co_ci_u32_e32 v12, vcc_lo, s0, v12, vcc_lo
	s_waitcnt lgkmcnt(0)
	global_store_b32 v[11:12], v13, off
                                        ; implicit-def: $vgpr11
.LBB1681_291:
	s_and_not1_saveexec_b32 s5, s5
	s_cbranch_execz .LBB1681_293
; %bb.292:
	v_lshlrev_b32_e32 v12, 2, v0
	v_lshlrev_b32_e32 v11, 2, v11
	v_readfirstlane_b32 s6, v5
	v_readfirstlane_b32 s7, v6
	ds_load_b32 v12, v12 offset:6144
	s_waitcnt lgkmcnt(0)
	global_store_b32 v11, v12, s[6:7]
.LBB1681_293:
	s_or_b32 exec_lo, exec_lo, s5
                                        ; implicit-def: $vgpr11
.LBB1681_294:
	s_and_not1_saveexec_b32 s4, s4
	s_cbranch_execz .LBB1681_296
; %bb.295:
	v_lshlrev_b32_e32 v12, 2, v0
	v_lshlrev_b32_e32 v11, 2, v11
	v_readfirstlane_b32 s4, v7
	v_readfirstlane_b32 s5, v8
	ds_load_b32 v12, v12 offset:6144
	s_waitcnt lgkmcnt(0)
	global_store_b32 v11, v12, s[4:5]
.LBB1681_296:
	;; [unrolled: 55-line block ×7, first 2 shown]
	s_or_b32 exec_lo, exec_lo, s2
	v_or_b32_e32 v11, 0xc00, v0
	s_mov_b32 s2, exec_lo
	s_delay_alu instid0(VALU_DEP_1)
	v_cmpx_gt_u32_e64 s3, v11
	s_cbranch_execz .LBB1681_350
; %bb.342:
	s_mov_b32 s3, exec_lo
	v_cmpx_le_u32_e64 v1, v11
	s_xor_b32 s3, exec_lo, s3
	s_cbranch_execz .LBB1681_348
; %bb.343:
	s_mov_b32 s4, exec_lo
	v_cmpx_le_u32_e64 v10, v11
	s_xor_b32 s4, exec_lo, s4
	s_cbranch_execz .LBB1681_345
; %bb.344:
	v_lshlrev_b32_e32 v5, 2, v0
	ds_load_b32 v7, v5 offset:12288
	v_add_co_u32 v5, vcc_lo, v3, v11
	v_add_co_ci_u32_e32 v6, vcc_lo, 0, v9, vcc_lo
                                        ; implicit-def: $vgpr11
	s_delay_alu instid0(VALU_DEP_1) | instskip(NEXT) | instid1(VALU_DEP_1)
	v_lshlrev_b64 v[5:6], 2, v[5:6]
	v_sub_co_u32 v5, vcc_lo, s1, v5
	s_delay_alu instid0(VALU_DEP_2)
	v_sub_co_ci_u32_e32 v6, vcc_lo, s0, v6, vcc_lo
	s_waitcnt lgkmcnt(0)
	global_store_b32 v[5:6], v7, off
                                        ; implicit-def: $vgpr5_vgpr6
.LBB1681_345:
	s_and_not1_saveexec_b32 s0, s4
	s_cbranch_execz .LBB1681_347
; %bb.346:
	v_lshlrev_b32_e32 v3, 2, v0
	v_lshlrev_b32_e32 v7, 2, v11
	v_readfirstlane_b32 s4, v5
	v_readfirstlane_b32 s5, v6
	ds_load_b32 v3, v3 offset:12288
	s_waitcnt lgkmcnt(0)
	global_store_b32 v7, v3, s[4:5]
.LBB1681_347:
	s_or_b32 exec_lo, exec_lo, s0
                                        ; implicit-def: $vgpr11
                                        ; implicit-def: $vgpr7_vgpr8
.LBB1681_348:
	s_and_not1_saveexec_b32 s0, s3
	s_cbranch_execz .LBB1681_350
; %bb.349:
	v_lshlrev_b32_e32 v3, 2, v0
	v_lshlrev_b32_e32 v5, 2, v11
	v_readfirstlane_b32 s0, v7
	v_readfirstlane_b32 s1, v8
	ds_load_b32 v3, v3 offset:12288
	s_waitcnt lgkmcnt(0)
	global_store_b32 v5, v3, s[0:1]
.LBB1681_350:
	s_or_b32 exec_lo, exec_lo, s2
	v_cmp_eq_u32_e32 vcc_lo, 0, v0
	s_and_b32 s0, vcc_lo, s14
	s_delay_alu instid0(SALU_CYCLE_1)
	s_and_saveexec_b32 s1, s0
	s_cbranch_execz .LBB1681_127
.LBB1681_351:
	v_add_co_u32 v2, s0, s30, v2
	s_delay_alu instid0(VALU_DEP_1) | instskip(SKIP_2) | instid1(VALU_DEP_4)
	v_add_co_ci_u32_e64 v3, null, s31, 0, s0
	v_add_co_u32 v0, vcc_lo, v18, v1
	v_add_co_ci_u32_e32 v1, vcc_lo, 0, v19, vcc_lo
	v_add_co_u32 v2, vcc_lo, v2, v4
	v_mov_b32_e32 v5, 0
	v_add_co_ci_u32_e32 v3, vcc_lo, 0, v3, vcc_lo
	global_store_b128 v5, v[0:3], s[24:25]
	s_nop 0
	s_sendmsg sendmsg(MSG_DEALLOC_VGPRS)
	s_endpgm
.LBB1681_352:
	v_add_nc_u32_e32 v3, s7, v23
	s_add_i32 s10, s15, 32
	s_mov_b32 s11, 0
	v_dual_mov_b32 v5, 0 :: v_dual_add_nc_u32 v2, v22, v1
	s_lshl_b64 s[10:11], s[10:11], 4
	v_and_b32_e32 v20, 0xff0000, v3
	s_add_u32 s10, s4, s10
	s_addc_u32 s11, s5, s11
	v_and_b32_e32 v4, 0xff000000, v3
	s_delay_alu instid0(VALU_DEP_1) | instskip(SKIP_2) | instid1(VALU_DEP_1)
	v_or_b32_e32 v20, v20, v4
	v_dual_mov_b32 v4, 2 :: v_dual_and_b32 v21, 0xff00, v3
	v_and_b32_e32 v3, 0xff, v3
	v_or3_b32 v3, v20, v21, v3
	v_dual_mov_b32 v21, s11 :: v_dual_mov_b32 v20, s10
	;;#ASMSTART
	global_store_dwordx4 v[20:21], v[2:5] off	
s_waitcnt vmcnt(0)
	;;#ASMEND
	s_or_b32 exec_lo, exec_lo, s8
	s_and_saveexec_b32 s8, s2
	s_cbranch_execz .LBB1681_111
.LBB1681_353:
	v_mov_b32_e32 v2, s7
	v_add_nc_u32_e64 v3, 0x3400, 0
	ds_store_2addr_b32 v3, v1, v2 offset1:2
	ds_store_2addr_b32 v3, v22, v23 offset0:4 offset1:6
	s_or_b32 exec_lo, exec_lo, s8
	v_cmp_eq_u32_e32 vcc_lo, 0, v0
	s_and_b32 exec_lo, exec_lo, vcc_lo
	s_cbranch_execnz .LBB1681_112
	s_branch .LBB1681_113
	.section	.rodata,"a",@progbits
	.p2align	6, 0x0
	.amdhsa_kernel _ZN7rocprim17ROCPRIM_400000_NS6detail17trampoline_kernelINS0_13select_configILj256ELj13ELNS0_17block_load_methodE3ELS4_3ELS4_3ELNS0_20block_scan_algorithmE0ELj4294967295EEENS1_25partition_config_selectorILNS1_17partition_subalgoE4EjNS0_10empty_typeEbEEZZNS1_14partition_implILS8_4ELb0ES6_15HIP_vector_typeIjLj2EENS0_17counting_iteratorIjlEEPS9_SG_NS0_5tupleIJPjSI_NS0_16reverse_iteratorISI_EEEEENSH_IJSG_SG_SG_EEES9_SI_JZNS1_25segmented_radix_sort_implINS0_14default_configELb1EPK6__halfPSP_PKlPlN2at6native12_GLOBAL__N_18offset_tEEE10hipError_tPvRmT1_PNSt15iterator_traitsIS13_E10value_typeET2_T3_PNS14_IS19_E10value_typeET4_jRbjT5_S1F_jjP12ihipStream_tbEUljE_ZNSN_ISO_Lb1ESR_SS_SU_SV_SZ_EES10_S11_S12_S13_S17_S18_S19_S1C_S1D_jS1E_jS1F_S1F_jjS1H_bEUljE0_EEES10_S11_S12_S19_S1D_S1F_T6_T7_T9_mT8_S1H_bDpT10_ENKUlT_T0_E_clISt17integral_constantIbLb0EES1V_EEDaS1Q_S1R_EUlS1Q_E_NS1_11comp_targetILNS1_3genE9ELNS1_11target_archE1100ELNS1_3gpuE3ELNS1_3repE0EEENS1_30default_config_static_selectorELNS0_4arch9wavefront6targetE0EEEvS13_
		.amdhsa_group_segment_fixed_size 13340
		.amdhsa_private_segment_fixed_size 0
		.amdhsa_kernarg_size 176
		.amdhsa_user_sgpr_count 15
		.amdhsa_user_sgpr_dispatch_ptr 0
		.amdhsa_user_sgpr_queue_ptr 0
		.amdhsa_user_sgpr_kernarg_segment_ptr 1
		.amdhsa_user_sgpr_dispatch_id 0
		.amdhsa_user_sgpr_private_segment_size 0
		.amdhsa_wavefront_size32 1
		.amdhsa_uses_dynamic_stack 0
		.amdhsa_enable_private_segment 0
		.amdhsa_system_sgpr_workgroup_id_x 1
		.amdhsa_system_sgpr_workgroup_id_y 0
		.amdhsa_system_sgpr_workgroup_id_z 0
		.amdhsa_system_sgpr_workgroup_info 0
		.amdhsa_system_vgpr_workitem_id 0
		.amdhsa_next_free_vgpr 98
		.amdhsa_next_free_sgpr 59
		.amdhsa_reserve_vcc 1
		.amdhsa_float_round_mode_32 0
		.amdhsa_float_round_mode_16_64 0
		.amdhsa_float_denorm_mode_32 3
		.amdhsa_float_denorm_mode_16_64 3
		.amdhsa_dx10_clamp 1
		.amdhsa_ieee_mode 1
		.amdhsa_fp16_overflow 0
		.amdhsa_workgroup_processor_mode 1
		.amdhsa_memory_ordered 1
		.amdhsa_forward_progress 0
		.amdhsa_shared_vgpr_count 0
		.amdhsa_exception_fp_ieee_invalid_op 0
		.amdhsa_exception_fp_denorm_src 0
		.amdhsa_exception_fp_ieee_div_zero 0
		.amdhsa_exception_fp_ieee_overflow 0
		.amdhsa_exception_fp_ieee_underflow 0
		.amdhsa_exception_fp_ieee_inexact 0
		.amdhsa_exception_int_div_zero 0
	.end_amdhsa_kernel
	.section	.text._ZN7rocprim17ROCPRIM_400000_NS6detail17trampoline_kernelINS0_13select_configILj256ELj13ELNS0_17block_load_methodE3ELS4_3ELS4_3ELNS0_20block_scan_algorithmE0ELj4294967295EEENS1_25partition_config_selectorILNS1_17partition_subalgoE4EjNS0_10empty_typeEbEEZZNS1_14partition_implILS8_4ELb0ES6_15HIP_vector_typeIjLj2EENS0_17counting_iteratorIjlEEPS9_SG_NS0_5tupleIJPjSI_NS0_16reverse_iteratorISI_EEEEENSH_IJSG_SG_SG_EEES9_SI_JZNS1_25segmented_radix_sort_implINS0_14default_configELb1EPK6__halfPSP_PKlPlN2at6native12_GLOBAL__N_18offset_tEEE10hipError_tPvRmT1_PNSt15iterator_traitsIS13_E10value_typeET2_T3_PNS14_IS19_E10value_typeET4_jRbjT5_S1F_jjP12ihipStream_tbEUljE_ZNSN_ISO_Lb1ESR_SS_SU_SV_SZ_EES10_S11_S12_S13_S17_S18_S19_S1C_S1D_jS1E_jS1F_S1F_jjS1H_bEUljE0_EEES10_S11_S12_S19_S1D_S1F_T6_T7_T9_mT8_S1H_bDpT10_ENKUlT_T0_E_clISt17integral_constantIbLb0EES1V_EEDaS1Q_S1R_EUlS1Q_E_NS1_11comp_targetILNS1_3genE9ELNS1_11target_archE1100ELNS1_3gpuE3ELNS1_3repE0EEENS1_30default_config_static_selectorELNS0_4arch9wavefront6targetE0EEEvS13_,"axG",@progbits,_ZN7rocprim17ROCPRIM_400000_NS6detail17trampoline_kernelINS0_13select_configILj256ELj13ELNS0_17block_load_methodE3ELS4_3ELS4_3ELNS0_20block_scan_algorithmE0ELj4294967295EEENS1_25partition_config_selectorILNS1_17partition_subalgoE4EjNS0_10empty_typeEbEEZZNS1_14partition_implILS8_4ELb0ES6_15HIP_vector_typeIjLj2EENS0_17counting_iteratorIjlEEPS9_SG_NS0_5tupleIJPjSI_NS0_16reverse_iteratorISI_EEEEENSH_IJSG_SG_SG_EEES9_SI_JZNS1_25segmented_radix_sort_implINS0_14default_configELb1EPK6__halfPSP_PKlPlN2at6native12_GLOBAL__N_18offset_tEEE10hipError_tPvRmT1_PNSt15iterator_traitsIS13_E10value_typeET2_T3_PNS14_IS19_E10value_typeET4_jRbjT5_S1F_jjP12ihipStream_tbEUljE_ZNSN_ISO_Lb1ESR_SS_SU_SV_SZ_EES10_S11_S12_S13_S17_S18_S19_S1C_S1D_jS1E_jS1F_S1F_jjS1H_bEUljE0_EEES10_S11_S12_S19_S1D_S1F_T6_T7_T9_mT8_S1H_bDpT10_ENKUlT_T0_E_clISt17integral_constantIbLb0EES1V_EEDaS1Q_S1R_EUlS1Q_E_NS1_11comp_targetILNS1_3genE9ELNS1_11target_archE1100ELNS1_3gpuE3ELNS1_3repE0EEENS1_30default_config_static_selectorELNS0_4arch9wavefront6targetE0EEEvS13_,comdat
.Lfunc_end1681:
	.size	_ZN7rocprim17ROCPRIM_400000_NS6detail17trampoline_kernelINS0_13select_configILj256ELj13ELNS0_17block_load_methodE3ELS4_3ELS4_3ELNS0_20block_scan_algorithmE0ELj4294967295EEENS1_25partition_config_selectorILNS1_17partition_subalgoE4EjNS0_10empty_typeEbEEZZNS1_14partition_implILS8_4ELb0ES6_15HIP_vector_typeIjLj2EENS0_17counting_iteratorIjlEEPS9_SG_NS0_5tupleIJPjSI_NS0_16reverse_iteratorISI_EEEEENSH_IJSG_SG_SG_EEES9_SI_JZNS1_25segmented_radix_sort_implINS0_14default_configELb1EPK6__halfPSP_PKlPlN2at6native12_GLOBAL__N_18offset_tEEE10hipError_tPvRmT1_PNSt15iterator_traitsIS13_E10value_typeET2_T3_PNS14_IS19_E10value_typeET4_jRbjT5_S1F_jjP12ihipStream_tbEUljE_ZNSN_ISO_Lb1ESR_SS_SU_SV_SZ_EES10_S11_S12_S13_S17_S18_S19_S1C_S1D_jS1E_jS1F_S1F_jjS1H_bEUljE0_EEES10_S11_S12_S19_S1D_S1F_T6_T7_T9_mT8_S1H_bDpT10_ENKUlT_T0_E_clISt17integral_constantIbLb0EES1V_EEDaS1Q_S1R_EUlS1Q_E_NS1_11comp_targetILNS1_3genE9ELNS1_11target_archE1100ELNS1_3gpuE3ELNS1_3repE0EEENS1_30default_config_static_selectorELNS0_4arch9wavefront6targetE0EEEvS13_, .Lfunc_end1681-_ZN7rocprim17ROCPRIM_400000_NS6detail17trampoline_kernelINS0_13select_configILj256ELj13ELNS0_17block_load_methodE3ELS4_3ELS4_3ELNS0_20block_scan_algorithmE0ELj4294967295EEENS1_25partition_config_selectorILNS1_17partition_subalgoE4EjNS0_10empty_typeEbEEZZNS1_14partition_implILS8_4ELb0ES6_15HIP_vector_typeIjLj2EENS0_17counting_iteratorIjlEEPS9_SG_NS0_5tupleIJPjSI_NS0_16reverse_iteratorISI_EEEEENSH_IJSG_SG_SG_EEES9_SI_JZNS1_25segmented_radix_sort_implINS0_14default_configELb1EPK6__halfPSP_PKlPlN2at6native12_GLOBAL__N_18offset_tEEE10hipError_tPvRmT1_PNSt15iterator_traitsIS13_E10value_typeET2_T3_PNS14_IS19_E10value_typeET4_jRbjT5_S1F_jjP12ihipStream_tbEUljE_ZNSN_ISO_Lb1ESR_SS_SU_SV_SZ_EES10_S11_S12_S13_S17_S18_S19_S1C_S1D_jS1E_jS1F_S1F_jjS1H_bEUljE0_EEES10_S11_S12_S19_S1D_S1F_T6_T7_T9_mT8_S1H_bDpT10_ENKUlT_T0_E_clISt17integral_constantIbLb0EES1V_EEDaS1Q_S1R_EUlS1Q_E_NS1_11comp_targetILNS1_3genE9ELNS1_11target_archE1100ELNS1_3gpuE3ELNS1_3repE0EEENS1_30default_config_static_selectorELNS0_4arch9wavefront6targetE0EEEvS13_
                                        ; -- End function
	.section	.AMDGPU.csdata,"",@progbits
; Kernel info:
; codeLenInByte = 14984
; NumSgprs: 61
; NumVgprs: 98
; ScratchSize: 0
; MemoryBound: 0
; FloatMode: 240
; IeeeMode: 1
; LDSByteSize: 13340 bytes/workgroup (compile time only)
; SGPRBlocks: 7
; VGPRBlocks: 12
; NumSGPRsForWavesPerEU: 61
; NumVGPRsForWavesPerEU: 98
; Occupancy: 12
; WaveLimiterHint : 1
; COMPUTE_PGM_RSRC2:SCRATCH_EN: 0
; COMPUTE_PGM_RSRC2:USER_SGPR: 15
; COMPUTE_PGM_RSRC2:TRAP_HANDLER: 0
; COMPUTE_PGM_RSRC2:TGID_X_EN: 1
; COMPUTE_PGM_RSRC2:TGID_Y_EN: 0
; COMPUTE_PGM_RSRC2:TGID_Z_EN: 0
; COMPUTE_PGM_RSRC2:TIDIG_COMP_CNT: 0
	.section	.text._ZN7rocprim17ROCPRIM_400000_NS6detail17trampoline_kernelINS0_13select_configILj256ELj13ELNS0_17block_load_methodE3ELS4_3ELS4_3ELNS0_20block_scan_algorithmE0ELj4294967295EEENS1_25partition_config_selectorILNS1_17partition_subalgoE4EjNS0_10empty_typeEbEEZZNS1_14partition_implILS8_4ELb0ES6_15HIP_vector_typeIjLj2EENS0_17counting_iteratorIjlEEPS9_SG_NS0_5tupleIJPjSI_NS0_16reverse_iteratorISI_EEEEENSH_IJSG_SG_SG_EEES9_SI_JZNS1_25segmented_radix_sort_implINS0_14default_configELb1EPK6__halfPSP_PKlPlN2at6native12_GLOBAL__N_18offset_tEEE10hipError_tPvRmT1_PNSt15iterator_traitsIS13_E10value_typeET2_T3_PNS14_IS19_E10value_typeET4_jRbjT5_S1F_jjP12ihipStream_tbEUljE_ZNSN_ISO_Lb1ESR_SS_SU_SV_SZ_EES10_S11_S12_S13_S17_S18_S19_S1C_S1D_jS1E_jS1F_S1F_jjS1H_bEUljE0_EEES10_S11_S12_S19_S1D_S1F_T6_T7_T9_mT8_S1H_bDpT10_ENKUlT_T0_E_clISt17integral_constantIbLb0EES1V_EEDaS1Q_S1R_EUlS1Q_E_NS1_11comp_targetILNS1_3genE8ELNS1_11target_archE1030ELNS1_3gpuE2ELNS1_3repE0EEENS1_30default_config_static_selectorELNS0_4arch9wavefront6targetE0EEEvS13_,"axG",@progbits,_ZN7rocprim17ROCPRIM_400000_NS6detail17trampoline_kernelINS0_13select_configILj256ELj13ELNS0_17block_load_methodE3ELS4_3ELS4_3ELNS0_20block_scan_algorithmE0ELj4294967295EEENS1_25partition_config_selectorILNS1_17partition_subalgoE4EjNS0_10empty_typeEbEEZZNS1_14partition_implILS8_4ELb0ES6_15HIP_vector_typeIjLj2EENS0_17counting_iteratorIjlEEPS9_SG_NS0_5tupleIJPjSI_NS0_16reverse_iteratorISI_EEEEENSH_IJSG_SG_SG_EEES9_SI_JZNS1_25segmented_radix_sort_implINS0_14default_configELb1EPK6__halfPSP_PKlPlN2at6native12_GLOBAL__N_18offset_tEEE10hipError_tPvRmT1_PNSt15iterator_traitsIS13_E10value_typeET2_T3_PNS14_IS19_E10value_typeET4_jRbjT5_S1F_jjP12ihipStream_tbEUljE_ZNSN_ISO_Lb1ESR_SS_SU_SV_SZ_EES10_S11_S12_S13_S17_S18_S19_S1C_S1D_jS1E_jS1F_S1F_jjS1H_bEUljE0_EEES10_S11_S12_S19_S1D_S1F_T6_T7_T9_mT8_S1H_bDpT10_ENKUlT_T0_E_clISt17integral_constantIbLb0EES1V_EEDaS1Q_S1R_EUlS1Q_E_NS1_11comp_targetILNS1_3genE8ELNS1_11target_archE1030ELNS1_3gpuE2ELNS1_3repE0EEENS1_30default_config_static_selectorELNS0_4arch9wavefront6targetE0EEEvS13_,comdat
	.globl	_ZN7rocprim17ROCPRIM_400000_NS6detail17trampoline_kernelINS0_13select_configILj256ELj13ELNS0_17block_load_methodE3ELS4_3ELS4_3ELNS0_20block_scan_algorithmE0ELj4294967295EEENS1_25partition_config_selectorILNS1_17partition_subalgoE4EjNS0_10empty_typeEbEEZZNS1_14partition_implILS8_4ELb0ES6_15HIP_vector_typeIjLj2EENS0_17counting_iteratorIjlEEPS9_SG_NS0_5tupleIJPjSI_NS0_16reverse_iteratorISI_EEEEENSH_IJSG_SG_SG_EEES9_SI_JZNS1_25segmented_radix_sort_implINS0_14default_configELb1EPK6__halfPSP_PKlPlN2at6native12_GLOBAL__N_18offset_tEEE10hipError_tPvRmT1_PNSt15iterator_traitsIS13_E10value_typeET2_T3_PNS14_IS19_E10value_typeET4_jRbjT5_S1F_jjP12ihipStream_tbEUljE_ZNSN_ISO_Lb1ESR_SS_SU_SV_SZ_EES10_S11_S12_S13_S17_S18_S19_S1C_S1D_jS1E_jS1F_S1F_jjS1H_bEUljE0_EEES10_S11_S12_S19_S1D_S1F_T6_T7_T9_mT8_S1H_bDpT10_ENKUlT_T0_E_clISt17integral_constantIbLb0EES1V_EEDaS1Q_S1R_EUlS1Q_E_NS1_11comp_targetILNS1_3genE8ELNS1_11target_archE1030ELNS1_3gpuE2ELNS1_3repE0EEENS1_30default_config_static_selectorELNS0_4arch9wavefront6targetE0EEEvS13_ ; -- Begin function _ZN7rocprim17ROCPRIM_400000_NS6detail17trampoline_kernelINS0_13select_configILj256ELj13ELNS0_17block_load_methodE3ELS4_3ELS4_3ELNS0_20block_scan_algorithmE0ELj4294967295EEENS1_25partition_config_selectorILNS1_17partition_subalgoE4EjNS0_10empty_typeEbEEZZNS1_14partition_implILS8_4ELb0ES6_15HIP_vector_typeIjLj2EENS0_17counting_iteratorIjlEEPS9_SG_NS0_5tupleIJPjSI_NS0_16reverse_iteratorISI_EEEEENSH_IJSG_SG_SG_EEES9_SI_JZNS1_25segmented_radix_sort_implINS0_14default_configELb1EPK6__halfPSP_PKlPlN2at6native12_GLOBAL__N_18offset_tEEE10hipError_tPvRmT1_PNSt15iterator_traitsIS13_E10value_typeET2_T3_PNS14_IS19_E10value_typeET4_jRbjT5_S1F_jjP12ihipStream_tbEUljE_ZNSN_ISO_Lb1ESR_SS_SU_SV_SZ_EES10_S11_S12_S13_S17_S18_S19_S1C_S1D_jS1E_jS1F_S1F_jjS1H_bEUljE0_EEES10_S11_S12_S19_S1D_S1F_T6_T7_T9_mT8_S1H_bDpT10_ENKUlT_T0_E_clISt17integral_constantIbLb0EES1V_EEDaS1Q_S1R_EUlS1Q_E_NS1_11comp_targetILNS1_3genE8ELNS1_11target_archE1030ELNS1_3gpuE2ELNS1_3repE0EEENS1_30default_config_static_selectorELNS0_4arch9wavefront6targetE0EEEvS13_
	.p2align	8
	.type	_ZN7rocprim17ROCPRIM_400000_NS6detail17trampoline_kernelINS0_13select_configILj256ELj13ELNS0_17block_load_methodE3ELS4_3ELS4_3ELNS0_20block_scan_algorithmE0ELj4294967295EEENS1_25partition_config_selectorILNS1_17partition_subalgoE4EjNS0_10empty_typeEbEEZZNS1_14partition_implILS8_4ELb0ES6_15HIP_vector_typeIjLj2EENS0_17counting_iteratorIjlEEPS9_SG_NS0_5tupleIJPjSI_NS0_16reverse_iteratorISI_EEEEENSH_IJSG_SG_SG_EEES9_SI_JZNS1_25segmented_radix_sort_implINS0_14default_configELb1EPK6__halfPSP_PKlPlN2at6native12_GLOBAL__N_18offset_tEEE10hipError_tPvRmT1_PNSt15iterator_traitsIS13_E10value_typeET2_T3_PNS14_IS19_E10value_typeET4_jRbjT5_S1F_jjP12ihipStream_tbEUljE_ZNSN_ISO_Lb1ESR_SS_SU_SV_SZ_EES10_S11_S12_S13_S17_S18_S19_S1C_S1D_jS1E_jS1F_S1F_jjS1H_bEUljE0_EEES10_S11_S12_S19_S1D_S1F_T6_T7_T9_mT8_S1H_bDpT10_ENKUlT_T0_E_clISt17integral_constantIbLb0EES1V_EEDaS1Q_S1R_EUlS1Q_E_NS1_11comp_targetILNS1_3genE8ELNS1_11target_archE1030ELNS1_3gpuE2ELNS1_3repE0EEENS1_30default_config_static_selectorELNS0_4arch9wavefront6targetE0EEEvS13_,@function
_ZN7rocprim17ROCPRIM_400000_NS6detail17trampoline_kernelINS0_13select_configILj256ELj13ELNS0_17block_load_methodE3ELS4_3ELS4_3ELNS0_20block_scan_algorithmE0ELj4294967295EEENS1_25partition_config_selectorILNS1_17partition_subalgoE4EjNS0_10empty_typeEbEEZZNS1_14partition_implILS8_4ELb0ES6_15HIP_vector_typeIjLj2EENS0_17counting_iteratorIjlEEPS9_SG_NS0_5tupleIJPjSI_NS0_16reverse_iteratorISI_EEEEENSH_IJSG_SG_SG_EEES9_SI_JZNS1_25segmented_radix_sort_implINS0_14default_configELb1EPK6__halfPSP_PKlPlN2at6native12_GLOBAL__N_18offset_tEEE10hipError_tPvRmT1_PNSt15iterator_traitsIS13_E10value_typeET2_T3_PNS14_IS19_E10value_typeET4_jRbjT5_S1F_jjP12ihipStream_tbEUljE_ZNSN_ISO_Lb1ESR_SS_SU_SV_SZ_EES10_S11_S12_S13_S17_S18_S19_S1C_S1D_jS1E_jS1F_S1F_jjS1H_bEUljE0_EEES10_S11_S12_S19_S1D_S1F_T6_T7_T9_mT8_S1H_bDpT10_ENKUlT_T0_E_clISt17integral_constantIbLb0EES1V_EEDaS1Q_S1R_EUlS1Q_E_NS1_11comp_targetILNS1_3genE8ELNS1_11target_archE1030ELNS1_3gpuE2ELNS1_3repE0EEENS1_30default_config_static_selectorELNS0_4arch9wavefront6targetE0EEEvS13_: ; @_ZN7rocprim17ROCPRIM_400000_NS6detail17trampoline_kernelINS0_13select_configILj256ELj13ELNS0_17block_load_methodE3ELS4_3ELS4_3ELNS0_20block_scan_algorithmE0ELj4294967295EEENS1_25partition_config_selectorILNS1_17partition_subalgoE4EjNS0_10empty_typeEbEEZZNS1_14partition_implILS8_4ELb0ES6_15HIP_vector_typeIjLj2EENS0_17counting_iteratorIjlEEPS9_SG_NS0_5tupleIJPjSI_NS0_16reverse_iteratorISI_EEEEENSH_IJSG_SG_SG_EEES9_SI_JZNS1_25segmented_radix_sort_implINS0_14default_configELb1EPK6__halfPSP_PKlPlN2at6native12_GLOBAL__N_18offset_tEEE10hipError_tPvRmT1_PNSt15iterator_traitsIS13_E10value_typeET2_T3_PNS14_IS19_E10value_typeET4_jRbjT5_S1F_jjP12ihipStream_tbEUljE_ZNSN_ISO_Lb1ESR_SS_SU_SV_SZ_EES10_S11_S12_S13_S17_S18_S19_S1C_S1D_jS1E_jS1F_S1F_jjS1H_bEUljE0_EEES10_S11_S12_S19_S1D_S1F_T6_T7_T9_mT8_S1H_bDpT10_ENKUlT_T0_E_clISt17integral_constantIbLb0EES1V_EEDaS1Q_S1R_EUlS1Q_E_NS1_11comp_targetILNS1_3genE8ELNS1_11target_archE1030ELNS1_3gpuE2ELNS1_3repE0EEENS1_30default_config_static_selectorELNS0_4arch9wavefront6targetE0EEEvS13_
; %bb.0:
	.section	.rodata,"a",@progbits
	.p2align	6, 0x0
	.amdhsa_kernel _ZN7rocprim17ROCPRIM_400000_NS6detail17trampoline_kernelINS0_13select_configILj256ELj13ELNS0_17block_load_methodE3ELS4_3ELS4_3ELNS0_20block_scan_algorithmE0ELj4294967295EEENS1_25partition_config_selectorILNS1_17partition_subalgoE4EjNS0_10empty_typeEbEEZZNS1_14partition_implILS8_4ELb0ES6_15HIP_vector_typeIjLj2EENS0_17counting_iteratorIjlEEPS9_SG_NS0_5tupleIJPjSI_NS0_16reverse_iteratorISI_EEEEENSH_IJSG_SG_SG_EEES9_SI_JZNS1_25segmented_radix_sort_implINS0_14default_configELb1EPK6__halfPSP_PKlPlN2at6native12_GLOBAL__N_18offset_tEEE10hipError_tPvRmT1_PNSt15iterator_traitsIS13_E10value_typeET2_T3_PNS14_IS19_E10value_typeET4_jRbjT5_S1F_jjP12ihipStream_tbEUljE_ZNSN_ISO_Lb1ESR_SS_SU_SV_SZ_EES10_S11_S12_S13_S17_S18_S19_S1C_S1D_jS1E_jS1F_S1F_jjS1H_bEUljE0_EEES10_S11_S12_S19_S1D_S1F_T6_T7_T9_mT8_S1H_bDpT10_ENKUlT_T0_E_clISt17integral_constantIbLb0EES1V_EEDaS1Q_S1R_EUlS1Q_E_NS1_11comp_targetILNS1_3genE8ELNS1_11target_archE1030ELNS1_3gpuE2ELNS1_3repE0EEENS1_30default_config_static_selectorELNS0_4arch9wavefront6targetE0EEEvS13_
		.amdhsa_group_segment_fixed_size 0
		.amdhsa_private_segment_fixed_size 0
		.amdhsa_kernarg_size 176
		.amdhsa_user_sgpr_count 15
		.amdhsa_user_sgpr_dispatch_ptr 0
		.amdhsa_user_sgpr_queue_ptr 0
		.amdhsa_user_sgpr_kernarg_segment_ptr 1
		.amdhsa_user_sgpr_dispatch_id 0
		.amdhsa_user_sgpr_private_segment_size 0
		.amdhsa_wavefront_size32 1
		.amdhsa_uses_dynamic_stack 0
		.amdhsa_enable_private_segment 0
		.amdhsa_system_sgpr_workgroup_id_x 1
		.amdhsa_system_sgpr_workgroup_id_y 0
		.amdhsa_system_sgpr_workgroup_id_z 0
		.amdhsa_system_sgpr_workgroup_info 0
		.amdhsa_system_vgpr_workitem_id 0
		.amdhsa_next_free_vgpr 1
		.amdhsa_next_free_sgpr 1
		.amdhsa_reserve_vcc 0
		.amdhsa_float_round_mode_32 0
		.amdhsa_float_round_mode_16_64 0
		.amdhsa_float_denorm_mode_32 3
		.amdhsa_float_denorm_mode_16_64 3
		.amdhsa_dx10_clamp 1
		.amdhsa_ieee_mode 1
		.amdhsa_fp16_overflow 0
		.amdhsa_workgroup_processor_mode 1
		.amdhsa_memory_ordered 1
		.amdhsa_forward_progress 0
		.amdhsa_shared_vgpr_count 0
		.amdhsa_exception_fp_ieee_invalid_op 0
		.amdhsa_exception_fp_denorm_src 0
		.amdhsa_exception_fp_ieee_div_zero 0
		.amdhsa_exception_fp_ieee_overflow 0
		.amdhsa_exception_fp_ieee_underflow 0
		.amdhsa_exception_fp_ieee_inexact 0
		.amdhsa_exception_int_div_zero 0
	.end_amdhsa_kernel
	.section	.text._ZN7rocprim17ROCPRIM_400000_NS6detail17trampoline_kernelINS0_13select_configILj256ELj13ELNS0_17block_load_methodE3ELS4_3ELS4_3ELNS0_20block_scan_algorithmE0ELj4294967295EEENS1_25partition_config_selectorILNS1_17partition_subalgoE4EjNS0_10empty_typeEbEEZZNS1_14partition_implILS8_4ELb0ES6_15HIP_vector_typeIjLj2EENS0_17counting_iteratorIjlEEPS9_SG_NS0_5tupleIJPjSI_NS0_16reverse_iteratorISI_EEEEENSH_IJSG_SG_SG_EEES9_SI_JZNS1_25segmented_radix_sort_implINS0_14default_configELb1EPK6__halfPSP_PKlPlN2at6native12_GLOBAL__N_18offset_tEEE10hipError_tPvRmT1_PNSt15iterator_traitsIS13_E10value_typeET2_T3_PNS14_IS19_E10value_typeET4_jRbjT5_S1F_jjP12ihipStream_tbEUljE_ZNSN_ISO_Lb1ESR_SS_SU_SV_SZ_EES10_S11_S12_S13_S17_S18_S19_S1C_S1D_jS1E_jS1F_S1F_jjS1H_bEUljE0_EEES10_S11_S12_S19_S1D_S1F_T6_T7_T9_mT8_S1H_bDpT10_ENKUlT_T0_E_clISt17integral_constantIbLb0EES1V_EEDaS1Q_S1R_EUlS1Q_E_NS1_11comp_targetILNS1_3genE8ELNS1_11target_archE1030ELNS1_3gpuE2ELNS1_3repE0EEENS1_30default_config_static_selectorELNS0_4arch9wavefront6targetE0EEEvS13_,"axG",@progbits,_ZN7rocprim17ROCPRIM_400000_NS6detail17trampoline_kernelINS0_13select_configILj256ELj13ELNS0_17block_load_methodE3ELS4_3ELS4_3ELNS0_20block_scan_algorithmE0ELj4294967295EEENS1_25partition_config_selectorILNS1_17partition_subalgoE4EjNS0_10empty_typeEbEEZZNS1_14partition_implILS8_4ELb0ES6_15HIP_vector_typeIjLj2EENS0_17counting_iteratorIjlEEPS9_SG_NS0_5tupleIJPjSI_NS0_16reverse_iteratorISI_EEEEENSH_IJSG_SG_SG_EEES9_SI_JZNS1_25segmented_radix_sort_implINS0_14default_configELb1EPK6__halfPSP_PKlPlN2at6native12_GLOBAL__N_18offset_tEEE10hipError_tPvRmT1_PNSt15iterator_traitsIS13_E10value_typeET2_T3_PNS14_IS19_E10value_typeET4_jRbjT5_S1F_jjP12ihipStream_tbEUljE_ZNSN_ISO_Lb1ESR_SS_SU_SV_SZ_EES10_S11_S12_S13_S17_S18_S19_S1C_S1D_jS1E_jS1F_S1F_jjS1H_bEUljE0_EEES10_S11_S12_S19_S1D_S1F_T6_T7_T9_mT8_S1H_bDpT10_ENKUlT_T0_E_clISt17integral_constantIbLb0EES1V_EEDaS1Q_S1R_EUlS1Q_E_NS1_11comp_targetILNS1_3genE8ELNS1_11target_archE1030ELNS1_3gpuE2ELNS1_3repE0EEENS1_30default_config_static_selectorELNS0_4arch9wavefront6targetE0EEEvS13_,comdat
.Lfunc_end1682:
	.size	_ZN7rocprim17ROCPRIM_400000_NS6detail17trampoline_kernelINS0_13select_configILj256ELj13ELNS0_17block_load_methodE3ELS4_3ELS4_3ELNS0_20block_scan_algorithmE0ELj4294967295EEENS1_25partition_config_selectorILNS1_17partition_subalgoE4EjNS0_10empty_typeEbEEZZNS1_14partition_implILS8_4ELb0ES6_15HIP_vector_typeIjLj2EENS0_17counting_iteratorIjlEEPS9_SG_NS0_5tupleIJPjSI_NS0_16reverse_iteratorISI_EEEEENSH_IJSG_SG_SG_EEES9_SI_JZNS1_25segmented_radix_sort_implINS0_14default_configELb1EPK6__halfPSP_PKlPlN2at6native12_GLOBAL__N_18offset_tEEE10hipError_tPvRmT1_PNSt15iterator_traitsIS13_E10value_typeET2_T3_PNS14_IS19_E10value_typeET4_jRbjT5_S1F_jjP12ihipStream_tbEUljE_ZNSN_ISO_Lb1ESR_SS_SU_SV_SZ_EES10_S11_S12_S13_S17_S18_S19_S1C_S1D_jS1E_jS1F_S1F_jjS1H_bEUljE0_EEES10_S11_S12_S19_S1D_S1F_T6_T7_T9_mT8_S1H_bDpT10_ENKUlT_T0_E_clISt17integral_constantIbLb0EES1V_EEDaS1Q_S1R_EUlS1Q_E_NS1_11comp_targetILNS1_3genE8ELNS1_11target_archE1030ELNS1_3gpuE2ELNS1_3repE0EEENS1_30default_config_static_selectorELNS0_4arch9wavefront6targetE0EEEvS13_, .Lfunc_end1682-_ZN7rocprim17ROCPRIM_400000_NS6detail17trampoline_kernelINS0_13select_configILj256ELj13ELNS0_17block_load_methodE3ELS4_3ELS4_3ELNS0_20block_scan_algorithmE0ELj4294967295EEENS1_25partition_config_selectorILNS1_17partition_subalgoE4EjNS0_10empty_typeEbEEZZNS1_14partition_implILS8_4ELb0ES6_15HIP_vector_typeIjLj2EENS0_17counting_iteratorIjlEEPS9_SG_NS0_5tupleIJPjSI_NS0_16reverse_iteratorISI_EEEEENSH_IJSG_SG_SG_EEES9_SI_JZNS1_25segmented_radix_sort_implINS0_14default_configELb1EPK6__halfPSP_PKlPlN2at6native12_GLOBAL__N_18offset_tEEE10hipError_tPvRmT1_PNSt15iterator_traitsIS13_E10value_typeET2_T3_PNS14_IS19_E10value_typeET4_jRbjT5_S1F_jjP12ihipStream_tbEUljE_ZNSN_ISO_Lb1ESR_SS_SU_SV_SZ_EES10_S11_S12_S13_S17_S18_S19_S1C_S1D_jS1E_jS1F_S1F_jjS1H_bEUljE0_EEES10_S11_S12_S19_S1D_S1F_T6_T7_T9_mT8_S1H_bDpT10_ENKUlT_T0_E_clISt17integral_constantIbLb0EES1V_EEDaS1Q_S1R_EUlS1Q_E_NS1_11comp_targetILNS1_3genE8ELNS1_11target_archE1030ELNS1_3gpuE2ELNS1_3repE0EEENS1_30default_config_static_selectorELNS0_4arch9wavefront6targetE0EEEvS13_
                                        ; -- End function
	.section	.AMDGPU.csdata,"",@progbits
; Kernel info:
; codeLenInByte = 0
; NumSgprs: 0
; NumVgprs: 0
; ScratchSize: 0
; MemoryBound: 0
; FloatMode: 240
; IeeeMode: 1
; LDSByteSize: 0 bytes/workgroup (compile time only)
; SGPRBlocks: 0
; VGPRBlocks: 0
; NumSGPRsForWavesPerEU: 1
; NumVGPRsForWavesPerEU: 1
; Occupancy: 16
; WaveLimiterHint : 0
; COMPUTE_PGM_RSRC2:SCRATCH_EN: 0
; COMPUTE_PGM_RSRC2:USER_SGPR: 15
; COMPUTE_PGM_RSRC2:TRAP_HANDLER: 0
; COMPUTE_PGM_RSRC2:TGID_X_EN: 1
; COMPUTE_PGM_RSRC2:TGID_Y_EN: 0
; COMPUTE_PGM_RSRC2:TGID_Z_EN: 0
; COMPUTE_PGM_RSRC2:TIDIG_COMP_CNT: 0
	.section	.text._ZN7rocprim17ROCPRIM_400000_NS6detail17trampoline_kernelINS0_13select_configILj256ELj13ELNS0_17block_load_methodE3ELS4_3ELS4_3ELNS0_20block_scan_algorithmE0ELj4294967295EEENS1_25partition_config_selectorILNS1_17partition_subalgoE4EjNS0_10empty_typeEbEEZZNS1_14partition_implILS8_4ELb0ES6_15HIP_vector_typeIjLj2EENS0_17counting_iteratorIjlEEPS9_SG_NS0_5tupleIJPjSI_NS0_16reverse_iteratorISI_EEEEENSH_IJSG_SG_SG_EEES9_SI_JZNS1_25segmented_radix_sort_implINS0_14default_configELb1EPK6__halfPSP_PKlPlN2at6native12_GLOBAL__N_18offset_tEEE10hipError_tPvRmT1_PNSt15iterator_traitsIS13_E10value_typeET2_T3_PNS14_IS19_E10value_typeET4_jRbjT5_S1F_jjP12ihipStream_tbEUljE_ZNSN_ISO_Lb1ESR_SS_SU_SV_SZ_EES10_S11_S12_S13_S17_S18_S19_S1C_S1D_jS1E_jS1F_S1F_jjS1H_bEUljE0_EEES10_S11_S12_S19_S1D_S1F_T6_T7_T9_mT8_S1H_bDpT10_ENKUlT_T0_E_clISt17integral_constantIbLb1EES1V_EEDaS1Q_S1R_EUlS1Q_E_NS1_11comp_targetILNS1_3genE0ELNS1_11target_archE4294967295ELNS1_3gpuE0ELNS1_3repE0EEENS1_30default_config_static_selectorELNS0_4arch9wavefront6targetE0EEEvS13_,"axG",@progbits,_ZN7rocprim17ROCPRIM_400000_NS6detail17trampoline_kernelINS0_13select_configILj256ELj13ELNS0_17block_load_methodE3ELS4_3ELS4_3ELNS0_20block_scan_algorithmE0ELj4294967295EEENS1_25partition_config_selectorILNS1_17partition_subalgoE4EjNS0_10empty_typeEbEEZZNS1_14partition_implILS8_4ELb0ES6_15HIP_vector_typeIjLj2EENS0_17counting_iteratorIjlEEPS9_SG_NS0_5tupleIJPjSI_NS0_16reverse_iteratorISI_EEEEENSH_IJSG_SG_SG_EEES9_SI_JZNS1_25segmented_radix_sort_implINS0_14default_configELb1EPK6__halfPSP_PKlPlN2at6native12_GLOBAL__N_18offset_tEEE10hipError_tPvRmT1_PNSt15iterator_traitsIS13_E10value_typeET2_T3_PNS14_IS19_E10value_typeET4_jRbjT5_S1F_jjP12ihipStream_tbEUljE_ZNSN_ISO_Lb1ESR_SS_SU_SV_SZ_EES10_S11_S12_S13_S17_S18_S19_S1C_S1D_jS1E_jS1F_S1F_jjS1H_bEUljE0_EEES10_S11_S12_S19_S1D_S1F_T6_T7_T9_mT8_S1H_bDpT10_ENKUlT_T0_E_clISt17integral_constantIbLb1EES1V_EEDaS1Q_S1R_EUlS1Q_E_NS1_11comp_targetILNS1_3genE0ELNS1_11target_archE4294967295ELNS1_3gpuE0ELNS1_3repE0EEENS1_30default_config_static_selectorELNS0_4arch9wavefront6targetE0EEEvS13_,comdat
	.globl	_ZN7rocprim17ROCPRIM_400000_NS6detail17trampoline_kernelINS0_13select_configILj256ELj13ELNS0_17block_load_methodE3ELS4_3ELS4_3ELNS0_20block_scan_algorithmE0ELj4294967295EEENS1_25partition_config_selectorILNS1_17partition_subalgoE4EjNS0_10empty_typeEbEEZZNS1_14partition_implILS8_4ELb0ES6_15HIP_vector_typeIjLj2EENS0_17counting_iteratorIjlEEPS9_SG_NS0_5tupleIJPjSI_NS0_16reverse_iteratorISI_EEEEENSH_IJSG_SG_SG_EEES9_SI_JZNS1_25segmented_radix_sort_implINS0_14default_configELb1EPK6__halfPSP_PKlPlN2at6native12_GLOBAL__N_18offset_tEEE10hipError_tPvRmT1_PNSt15iterator_traitsIS13_E10value_typeET2_T3_PNS14_IS19_E10value_typeET4_jRbjT5_S1F_jjP12ihipStream_tbEUljE_ZNSN_ISO_Lb1ESR_SS_SU_SV_SZ_EES10_S11_S12_S13_S17_S18_S19_S1C_S1D_jS1E_jS1F_S1F_jjS1H_bEUljE0_EEES10_S11_S12_S19_S1D_S1F_T6_T7_T9_mT8_S1H_bDpT10_ENKUlT_T0_E_clISt17integral_constantIbLb1EES1V_EEDaS1Q_S1R_EUlS1Q_E_NS1_11comp_targetILNS1_3genE0ELNS1_11target_archE4294967295ELNS1_3gpuE0ELNS1_3repE0EEENS1_30default_config_static_selectorELNS0_4arch9wavefront6targetE0EEEvS13_ ; -- Begin function _ZN7rocprim17ROCPRIM_400000_NS6detail17trampoline_kernelINS0_13select_configILj256ELj13ELNS0_17block_load_methodE3ELS4_3ELS4_3ELNS0_20block_scan_algorithmE0ELj4294967295EEENS1_25partition_config_selectorILNS1_17partition_subalgoE4EjNS0_10empty_typeEbEEZZNS1_14partition_implILS8_4ELb0ES6_15HIP_vector_typeIjLj2EENS0_17counting_iteratorIjlEEPS9_SG_NS0_5tupleIJPjSI_NS0_16reverse_iteratorISI_EEEEENSH_IJSG_SG_SG_EEES9_SI_JZNS1_25segmented_radix_sort_implINS0_14default_configELb1EPK6__halfPSP_PKlPlN2at6native12_GLOBAL__N_18offset_tEEE10hipError_tPvRmT1_PNSt15iterator_traitsIS13_E10value_typeET2_T3_PNS14_IS19_E10value_typeET4_jRbjT5_S1F_jjP12ihipStream_tbEUljE_ZNSN_ISO_Lb1ESR_SS_SU_SV_SZ_EES10_S11_S12_S13_S17_S18_S19_S1C_S1D_jS1E_jS1F_S1F_jjS1H_bEUljE0_EEES10_S11_S12_S19_S1D_S1F_T6_T7_T9_mT8_S1H_bDpT10_ENKUlT_T0_E_clISt17integral_constantIbLb1EES1V_EEDaS1Q_S1R_EUlS1Q_E_NS1_11comp_targetILNS1_3genE0ELNS1_11target_archE4294967295ELNS1_3gpuE0ELNS1_3repE0EEENS1_30default_config_static_selectorELNS0_4arch9wavefront6targetE0EEEvS13_
	.p2align	8
	.type	_ZN7rocprim17ROCPRIM_400000_NS6detail17trampoline_kernelINS0_13select_configILj256ELj13ELNS0_17block_load_methodE3ELS4_3ELS4_3ELNS0_20block_scan_algorithmE0ELj4294967295EEENS1_25partition_config_selectorILNS1_17partition_subalgoE4EjNS0_10empty_typeEbEEZZNS1_14partition_implILS8_4ELb0ES6_15HIP_vector_typeIjLj2EENS0_17counting_iteratorIjlEEPS9_SG_NS0_5tupleIJPjSI_NS0_16reverse_iteratorISI_EEEEENSH_IJSG_SG_SG_EEES9_SI_JZNS1_25segmented_radix_sort_implINS0_14default_configELb1EPK6__halfPSP_PKlPlN2at6native12_GLOBAL__N_18offset_tEEE10hipError_tPvRmT1_PNSt15iterator_traitsIS13_E10value_typeET2_T3_PNS14_IS19_E10value_typeET4_jRbjT5_S1F_jjP12ihipStream_tbEUljE_ZNSN_ISO_Lb1ESR_SS_SU_SV_SZ_EES10_S11_S12_S13_S17_S18_S19_S1C_S1D_jS1E_jS1F_S1F_jjS1H_bEUljE0_EEES10_S11_S12_S19_S1D_S1F_T6_T7_T9_mT8_S1H_bDpT10_ENKUlT_T0_E_clISt17integral_constantIbLb1EES1V_EEDaS1Q_S1R_EUlS1Q_E_NS1_11comp_targetILNS1_3genE0ELNS1_11target_archE4294967295ELNS1_3gpuE0ELNS1_3repE0EEENS1_30default_config_static_selectorELNS0_4arch9wavefront6targetE0EEEvS13_,@function
_ZN7rocprim17ROCPRIM_400000_NS6detail17trampoline_kernelINS0_13select_configILj256ELj13ELNS0_17block_load_methodE3ELS4_3ELS4_3ELNS0_20block_scan_algorithmE0ELj4294967295EEENS1_25partition_config_selectorILNS1_17partition_subalgoE4EjNS0_10empty_typeEbEEZZNS1_14partition_implILS8_4ELb0ES6_15HIP_vector_typeIjLj2EENS0_17counting_iteratorIjlEEPS9_SG_NS0_5tupleIJPjSI_NS0_16reverse_iteratorISI_EEEEENSH_IJSG_SG_SG_EEES9_SI_JZNS1_25segmented_radix_sort_implINS0_14default_configELb1EPK6__halfPSP_PKlPlN2at6native12_GLOBAL__N_18offset_tEEE10hipError_tPvRmT1_PNSt15iterator_traitsIS13_E10value_typeET2_T3_PNS14_IS19_E10value_typeET4_jRbjT5_S1F_jjP12ihipStream_tbEUljE_ZNSN_ISO_Lb1ESR_SS_SU_SV_SZ_EES10_S11_S12_S13_S17_S18_S19_S1C_S1D_jS1E_jS1F_S1F_jjS1H_bEUljE0_EEES10_S11_S12_S19_S1D_S1F_T6_T7_T9_mT8_S1H_bDpT10_ENKUlT_T0_E_clISt17integral_constantIbLb1EES1V_EEDaS1Q_S1R_EUlS1Q_E_NS1_11comp_targetILNS1_3genE0ELNS1_11target_archE4294967295ELNS1_3gpuE0ELNS1_3repE0EEENS1_30default_config_static_selectorELNS0_4arch9wavefront6targetE0EEEvS13_: ; @_ZN7rocprim17ROCPRIM_400000_NS6detail17trampoline_kernelINS0_13select_configILj256ELj13ELNS0_17block_load_methodE3ELS4_3ELS4_3ELNS0_20block_scan_algorithmE0ELj4294967295EEENS1_25partition_config_selectorILNS1_17partition_subalgoE4EjNS0_10empty_typeEbEEZZNS1_14partition_implILS8_4ELb0ES6_15HIP_vector_typeIjLj2EENS0_17counting_iteratorIjlEEPS9_SG_NS0_5tupleIJPjSI_NS0_16reverse_iteratorISI_EEEEENSH_IJSG_SG_SG_EEES9_SI_JZNS1_25segmented_radix_sort_implINS0_14default_configELb1EPK6__halfPSP_PKlPlN2at6native12_GLOBAL__N_18offset_tEEE10hipError_tPvRmT1_PNSt15iterator_traitsIS13_E10value_typeET2_T3_PNS14_IS19_E10value_typeET4_jRbjT5_S1F_jjP12ihipStream_tbEUljE_ZNSN_ISO_Lb1ESR_SS_SU_SV_SZ_EES10_S11_S12_S13_S17_S18_S19_S1C_S1D_jS1E_jS1F_S1F_jjS1H_bEUljE0_EEES10_S11_S12_S19_S1D_S1F_T6_T7_T9_mT8_S1H_bDpT10_ENKUlT_T0_E_clISt17integral_constantIbLb1EES1V_EEDaS1Q_S1R_EUlS1Q_E_NS1_11comp_targetILNS1_3genE0ELNS1_11target_archE4294967295ELNS1_3gpuE0ELNS1_3repE0EEENS1_30default_config_static_selectorELNS0_4arch9wavefront6targetE0EEEvS13_
; %bb.0:
	.section	.rodata,"a",@progbits
	.p2align	6, 0x0
	.amdhsa_kernel _ZN7rocprim17ROCPRIM_400000_NS6detail17trampoline_kernelINS0_13select_configILj256ELj13ELNS0_17block_load_methodE3ELS4_3ELS4_3ELNS0_20block_scan_algorithmE0ELj4294967295EEENS1_25partition_config_selectorILNS1_17partition_subalgoE4EjNS0_10empty_typeEbEEZZNS1_14partition_implILS8_4ELb0ES6_15HIP_vector_typeIjLj2EENS0_17counting_iteratorIjlEEPS9_SG_NS0_5tupleIJPjSI_NS0_16reverse_iteratorISI_EEEEENSH_IJSG_SG_SG_EEES9_SI_JZNS1_25segmented_radix_sort_implINS0_14default_configELb1EPK6__halfPSP_PKlPlN2at6native12_GLOBAL__N_18offset_tEEE10hipError_tPvRmT1_PNSt15iterator_traitsIS13_E10value_typeET2_T3_PNS14_IS19_E10value_typeET4_jRbjT5_S1F_jjP12ihipStream_tbEUljE_ZNSN_ISO_Lb1ESR_SS_SU_SV_SZ_EES10_S11_S12_S13_S17_S18_S19_S1C_S1D_jS1E_jS1F_S1F_jjS1H_bEUljE0_EEES10_S11_S12_S19_S1D_S1F_T6_T7_T9_mT8_S1H_bDpT10_ENKUlT_T0_E_clISt17integral_constantIbLb1EES1V_EEDaS1Q_S1R_EUlS1Q_E_NS1_11comp_targetILNS1_3genE0ELNS1_11target_archE4294967295ELNS1_3gpuE0ELNS1_3repE0EEENS1_30default_config_static_selectorELNS0_4arch9wavefront6targetE0EEEvS13_
		.amdhsa_group_segment_fixed_size 0
		.amdhsa_private_segment_fixed_size 0
		.amdhsa_kernarg_size 184
		.amdhsa_user_sgpr_count 15
		.amdhsa_user_sgpr_dispatch_ptr 0
		.amdhsa_user_sgpr_queue_ptr 0
		.amdhsa_user_sgpr_kernarg_segment_ptr 1
		.amdhsa_user_sgpr_dispatch_id 0
		.amdhsa_user_sgpr_private_segment_size 0
		.amdhsa_wavefront_size32 1
		.amdhsa_uses_dynamic_stack 0
		.amdhsa_enable_private_segment 0
		.amdhsa_system_sgpr_workgroup_id_x 1
		.amdhsa_system_sgpr_workgroup_id_y 0
		.amdhsa_system_sgpr_workgroup_id_z 0
		.amdhsa_system_sgpr_workgroup_info 0
		.amdhsa_system_vgpr_workitem_id 0
		.amdhsa_next_free_vgpr 1
		.amdhsa_next_free_sgpr 1
		.amdhsa_reserve_vcc 0
		.amdhsa_float_round_mode_32 0
		.amdhsa_float_round_mode_16_64 0
		.amdhsa_float_denorm_mode_32 3
		.amdhsa_float_denorm_mode_16_64 3
		.amdhsa_dx10_clamp 1
		.amdhsa_ieee_mode 1
		.amdhsa_fp16_overflow 0
		.amdhsa_workgroup_processor_mode 1
		.amdhsa_memory_ordered 1
		.amdhsa_forward_progress 0
		.amdhsa_shared_vgpr_count 0
		.amdhsa_exception_fp_ieee_invalid_op 0
		.amdhsa_exception_fp_denorm_src 0
		.amdhsa_exception_fp_ieee_div_zero 0
		.amdhsa_exception_fp_ieee_overflow 0
		.amdhsa_exception_fp_ieee_underflow 0
		.amdhsa_exception_fp_ieee_inexact 0
		.amdhsa_exception_int_div_zero 0
	.end_amdhsa_kernel
	.section	.text._ZN7rocprim17ROCPRIM_400000_NS6detail17trampoline_kernelINS0_13select_configILj256ELj13ELNS0_17block_load_methodE3ELS4_3ELS4_3ELNS0_20block_scan_algorithmE0ELj4294967295EEENS1_25partition_config_selectorILNS1_17partition_subalgoE4EjNS0_10empty_typeEbEEZZNS1_14partition_implILS8_4ELb0ES6_15HIP_vector_typeIjLj2EENS0_17counting_iteratorIjlEEPS9_SG_NS0_5tupleIJPjSI_NS0_16reverse_iteratorISI_EEEEENSH_IJSG_SG_SG_EEES9_SI_JZNS1_25segmented_radix_sort_implINS0_14default_configELb1EPK6__halfPSP_PKlPlN2at6native12_GLOBAL__N_18offset_tEEE10hipError_tPvRmT1_PNSt15iterator_traitsIS13_E10value_typeET2_T3_PNS14_IS19_E10value_typeET4_jRbjT5_S1F_jjP12ihipStream_tbEUljE_ZNSN_ISO_Lb1ESR_SS_SU_SV_SZ_EES10_S11_S12_S13_S17_S18_S19_S1C_S1D_jS1E_jS1F_S1F_jjS1H_bEUljE0_EEES10_S11_S12_S19_S1D_S1F_T6_T7_T9_mT8_S1H_bDpT10_ENKUlT_T0_E_clISt17integral_constantIbLb1EES1V_EEDaS1Q_S1R_EUlS1Q_E_NS1_11comp_targetILNS1_3genE0ELNS1_11target_archE4294967295ELNS1_3gpuE0ELNS1_3repE0EEENS1_30default_config_static_selectorELNS0_4arch9wavefront6targetE0EEEvS13_,"axG",@progbits,_ZN7rocprim17ROCPRIM_400000_NS6detail17trampoline_kernelINS0_13select_configILj256ELj13ELNS0_17block_load_methodE3ELS4_3ELS4_3ELNS0_20block_scan_algorithmE0ELj4294967295EEENS1_25partition_config_selectorILNS1_17partition_subalgoE4EjNS0_10empty_typeEbEEZZNS1_14partition_implILS8_4ELb0ES6_15HIP_vector_typeIjLj2EENS0_17counting_iteratorIjlEEPS9_SG_NS0_5tupleIJPjSI_NS0_16reverse_iteratorISI_EEEEENSH_IJSG_SG_SG_EEES9_SI_JZNS1_25segmented_radix_sort_implINS0_14default_configELb1EPK6__halfPSP_PKlPlN2at6native12_GLOBAL__N_18offset_tEEE10hipError_tPvRmT1_PNSt15iterator_traitsIS13_E10value_typeET2_T3_PNS14_IS19_E10value_typeET4_jRbjT5_S1F_jjP12ihipStream_tbEUljE_ZNSN_ISO_Lb1ESR_SS_SU_SV_SZ_EES10_S11_S12_S13_S17_S18_S19_S1C_S1D_jS1E_jS1F_S1F_jjS1H_bEUljE0_EEES10_S11_S12_S19_S1D_S1F_T6_T7_T9_mT8_S1H_bDpT10_ENKUlT_T0_E_clISt17integral_constantIbLb1EES1V_EEDaS1Q_S1R_EUlS1Q_E_NS1_11comp_targetILNS1_3genE0ELNS1_11target_archE4294967295ELNS1_3gpuE0ELNS1_3repE0EEENS1_30default_config_static_selectorELNS0_4arch9wavefront6targetE0EEEvS13_,comdat
.Lfunc_end1683:
	.size	_ZN7rocprim17ROCPRIM_400000_NS6detail17trampoline_kernelINS0_13select_configILj256ELj13ELNS0_17block_load_methodE3ELS4_3ELS4_3ELNS0_20block_scan_algorithmE0ELj4294967295EEENS1_25partition_config_selectorILNS1_17partition_subalgoE4EjNS0_10empty_typeEbEEZZNS1_14partition_implILS8_4ELb0ES6_15HIP_vector_typeIjLj2EENS0_17counting_iteratorIjlEEPS9_SG_NS0_5tupleIJPjSI_NS0_16reverse_iteratorISI_EEEEENSH_IJSG_SG_SG_EEES9_SI_JZNS1_25segmented_radix_sort_implINS0_14default_configELb1EPK6__halfPSP_PKlPlN2at6native12_GLOBAL__N_18offset_tEEE10hipError_tPvRmT1_PNSt15iterator_traitsIS13_E10value_typeET2_T3_PNS14_IS19_E10value_typeET4_jRbjT5_S1F_jjP12ihipStream_tbEUljE_ZNSN_ISO_Lb1ESR_SS_SU_SV_SZ_EES10_S11_S12_S13_S17_S18_S19_S1C_S1D_jS1E_jS1F_S1F_jjS1H_bEUljE0_EEES10_S11_S12_S19_S1D_S1F_T6_T7_T9_mT8_S1H_bDpT10_ENKUlT_T0_E_clISt17integral_constantIbLb1EES1V_EEDaS1Q_S1R_EUlS1Q_E_NS1_11comp_targetILNS1_3genE0ELNS1_11target_archE4294967295ELNS1_3gpuE0ELNS1_3repE0EEENS1_30default_config_static_selectorELNS0_4arch9wavefront6targetE0EEEvS13_, .Lfunc_end1683-_ZN7rocprim17ROCPRIM_400000_NS6detail17trampoline_kernelINS0_13select_configILj256ELj13ELNS0_17block_load_methodE3ELS4_3ELS4_3ELNS0_20block_scan_algorithmE0ELj4294967295EEENS1_25partition_config_selectorILNS1_17partition_subalgoE4EjNS0_10empty_typeEbEEZZNS1_14partition_implILS8_4ELb0ES6_15HIP_vector_typeIjLj2EENS0_17counting_iteratorIjlEEPS9_SG_NS0_5tupleIJPjSI_NS0_16reverse_iteratorISI_EEEEENSH_IJSG_SG_SG_EEES9_SI_JZNS1_25segmented_radix_sort_implINS0_14default_configELb1EPK6__halfPSP_PKlPlN2at6native12_GLOBAL__N_18offset_tEEE10hipError_tPvRmT1_PNSt15iterator_traitsIS13_E10value_typeET2_T3_PNS14_IS19_E10value_typeET4_jRbjT5_S1F_jjP12ihipStream_tbEUljE_ZNSN_ISO_Lb1ESR_SS_SU_SV_SZ_EES10_S11_S12_S13_S17_S18_S19_S1C_S1D_jS1E_jS1F_S1F_jjS1H_bEUljE0_EEES10_S11_S12_S19_S1D_S1F_T6_T7_T9_mT8_S1H_bDpT10_ENKUlT_T0_E_clISt17integral_constantIbLb1EES1V_EEDaS1Q_S1R_EUlS1Q_E_NS1_11comp_targetILNS1_3genE0ELNS1_11target_archE4294967295ELNS1_3gpuE0ELNS1_3repE0EEENS1_30default_config_static_selectorELNS0_4arch9wavefront6targetE0EEEvS13_
                                        ; -- End function
	.section	.AMDGPU.csdata,"",@progbits
; Kernel info:
; codeLenInByte = 0
; NumSgprs: 0
; NumVgprs: 0
; ScratchSize: 0
; MemoryBound: 0
; FloatMode: 240
; IeeeMode: 1
; LDSByteSize: 0 bytes/workgroup (compile time only)
; SGPRBlocks: 0
; VGPRBlocks: 0
; NumSGPRsForWavesPerEU: 1
; NumVGPRsForWavesPerEU: 1
; Occupancy: 16
; WaveLimiterHint : 0
; COMPUTE_PGM_RSRC2:SCRATCH_EN: 0
; COMPUTE_PGM_RSRC2:USER_SGPR: 15
; COMPUTE_PGM_RSRC2:TRAP_HANDLER: 0
; COMPUTE_PGM_RSRC2:TGID_X_EN: 1
; COMPUTE_PGM_RSRC2:TGID_Y_EN: 0
; COMPUTE_PGM_RSRC2:TGID_Z_EN: 0
; COMPUTE_PGM_RSRC2:TIDIG_COMP_CNT: 0
	.section	.text._ZN7rocprim17ROCPRIM_400000_NS6detail17trampoline_kernelINS0_13select_configILj256ELj13ELNS0_17block_load_methodE3ELS4_3ELS4_3ELNS0_20block_scan_algorithmE0ELj4294967295EEENS1_25partition_config_selectorILNS1_17partition_subalgoE4EjNS0_10empty_typeEbEEZZNS1_14partition_implILS8_4ELb0ES6_15HIP_vector_typeIjLj2EENS0_17counting_iteratorIjlEEPS9_SG_NS0_5tupleIJPjSI_NS0_16reverse_iteratorISI_EEEEENSH_IJSG_SG_SG_EEES9_SI_JZNS1_25segmented_radix_sort_implINS0_14default_configELb1EPK6__halfPSP_PKlPlN2at6native12_GLOBAL__N_18offset_tEEE10hipError_tPvRmT1_PNSt15iterator_traitsIS13_E10value_typeET2_T3_PNS14_IS19_E10value_typeET4_jRbjT5_S1F_jjP12ihipStream_tbEUljE_ZNSN_ISO_Lb1ESR_SS_SU_SV_SZ_EES10_S11_S12_S13_S17_S18_S19_S1C_S1D_jS1E_jS1F_S1F_jjS1H_bEUljE0_EEES10_S11_S12_S19_S1D_S1F_T6_T7_T9_mT8_S1H_bDpT10_ENKUlT_T0_E_clISt17integral_constantIbLb1EES1V_EEDaS1Q_S1R_EUlS1Q_E_NS1_11comp_targetILNS1_3genE5ELNS1_11target_archE942ELNS1_3gpuE9ELNS1_3repE0EEENS1_30default_config_static_selectorELNS0_4arch9wavefront6targetE0EEEvS13_,"axG",@progbits,_ZN7rocprim17ROCPRIM_400000_NS6detail17trampoline_kernelINS0_13select_configILj256ELj13ELNS0_17block_load_methodE3ELS4_3ELS4_3ELNS0_20block_scan_algorithmE0ELj4294967295EEENS1_25partition_config_selectorILNS1_17partition_subalgoE4EjNS0_10empty_typeEbEEZZNS1_14partition_implILS8_4ELb0ES6_15HIP_vector_typeIjLj2EENS0_17counting_iteratorIjlEEPS9_SG_NS0_5tupleIJPjSI_NS0_16reverse_iteratorISI_EEEEENSH_IJSG_SG_SG_EEES9_SI_JZNS1_25segmented_radix_sort_implINS0_14default_configELb1EPK6__halfPSP_PKlPlN2at6native12_GLOBAL__N_18offset_tEEE10hipError_tPvRmT1_PNSt15iterator_traitsIS13_E10value_typeET2_T3_PNS14_IS19_E10value_typeET4_jRbjT5_S1F_jjP12ihipStream_tbEUljE_ZNSN_ISO_Lb1ESR_SS_SU_SV_SZ_EES10_S11_S12_S13_S17_S18_S19_S1C_S1D_jS1E_jS1F_S1F_jjS1H_bEUljE0_EEES10_S11_S12_S19_S1D_S1F_T6_T7_T9_mT8_S1H_bDpT10_ENKUlT_T0_E_clISt17integral_constantIbLb1EES1V_EEDaS1Q_S1R_EUlS1Q_E_NS1_11comp_targetILNS1_3genE5ELNS1_11target_archE942ELNS1_3gpuE9ELNS1_3repE0EEENS1_30default_config_static_selectorELNS0_4arch9wavefront6targetE0EEEvS13_,comdat
	.globl	_ZN7rocprim17ROCPRIM_400000_NS6detail17trampoline_kernelINS0_13select_configILj256ELj13ELNS0_17block_load_methodE3ELS4_3ELS4_3ELNS0_20block_scan_algorithmE0ELj4294967295EEENS1_25partition_config_selectorILNS1_17partition_subalgoE4EjNS0_10empty_typeEbEEZZNS1_14partition_implILS8_4ELb0ES6_15HIP_vector_typeIjLj2EENS0_17counting_iteratorIjlEEPS9_SG_NS0_5tupleIJPjSI_NS0_16reverse_iteratorISI_EEEEENSH_IJSG_SG_SG_EEES9_SI_JZNS1_25segmented_radix_sort_implINS0_14default_configELb1EPK6__halfPSP_PKlPlN2at6native12_GLOBAL__N_18offset_tEEE10hipError_tPvRmT1_PNSt15iterator_traitsIS13_E10value_typeET2_T3_PNS14_IS19_E10value_typeET4_jRbjT5_S1F_jjP12ihipStream_tbEUljE_ZNSN_ISO_Lb1ESR_SS_SU_SV_SZ_EES10_S11_S12_S13_S17_S18_S19_S1C_S1D_jS1E_jS1F_S1F_jjS1H_bEUljE0_EEES10_S11_S12_S19_S1D_S1F_T6_T7_T9_mT8_S1H_bDpT10_ENKUlT_T0_E_clISt17integral_constantIbLb1EES1V_EEDaS1Q_S1R_EUlS1Q_E_NS1_11comp_targetILNS1_3genE5ELNS1_11target_archE942ELNS1_3gpuE9ELNS1_3repE0EEENS1_30default_config_static_selectorELNS0_4arch9wavefront6targetE0EEEvS13_ ; -- Begin function _ZN7rocprim17ROCPRIM_400000_NS6detail17trampoline_kernelINS0_13select_configILj256ELj13ELNS0_17block_load_methodE3ELS4_3ELS4_3ELNS0_20block_scan_algorithmE0ELj4294967295EEENS1_25partition_config_selectorILNS1_17partition_subalgoE4EjNS0_10empty_typeEbEEZZNS1_14partition_implILS8_4ELb0ES6_15HIP_vector_typeIjLj2EENS0_17counting_iteratorIjlEEPS9_SG_NS0_5tupleIJPjSI_NS0_16reverse_iteratorISI_EEEEENSH_IJSG_SG_SG_EEES9_SI_JZNS1_25segmented_radix_sort_implINS0_14default_configELb1EPK6__halfPSP_PKlPlN2at6native12_GLOBAL__N_18offset_tEEE10hipError_tPvRmT1_PNSt15iterator_traitsIS13_E10value_typeET2_T3_PNS14_IS19_E10value_typeET4_jRbjT5_S1F_jjP12ihipStream_tbEUljE_ZNSN_ISO_Lb1ESR_SS_SU_SV_SZ_EES10_S11_S12_S13_S17_S18_S19_S1C_S1D_jS1E_jS1F_S1F_jjS1H_bEUljE0_EEES10_S11_S12_S19_S1D_S1F_T6_T7_T9_mT8_S1H_bDpT10_ENKUlT_T0_E_clISt17integral_constantIbLb1EES1V_EEDaS1Q_S1R_EUlS1Q_E_NS1_11comp_targetILNS1_3genE5ELNS1_11target_archE942ELNS1_3gpuE9ELNS1_3repE0EEENS1_30default_config_static_selectorELNS0_4arch9wavefront6targetE0EEEvS13_
	.p2align	8
	.type	_ZN7rocprim17ROCPRIM_400000_NS6detail17trampoline_kernelINS0_13select_configILj256ELj13ELNS0_17block_load_methodE3ELS4_3ELS4_3ELNS0_20block_scan_algorithmE0ELj4294967295EEENS1_25partition_config_selectorILNS1_17partition_subalgoE4EjNS0_10empty_typeEbEEZZNS1_14partition_implILS8_4ELb0ES6_15HIP_vector_typeIjLj2EENS0_17counting_iteratorIjlEEPS9_SG_NS0_5tupleIJPjSI_NS0_16reverse_iteratorISI_EEEEENSH_IJSG_SG_SG_EEES9_SI_JZNS1_25segmented_radix_sort_implINS0_14default_configELb1EPK6__halfPSP_PKlPlN2at6native12_GLOBAL__N_18offset_tEEE10hipError_tPvRmT1_PNSt15iterator_traitsIS13_E10value_typeET2_T3_PNS14_IS19_E10value_typeET4_jRbjT5_S1F_jjP12ihipStream_tbEUljE_ZNSN_ISO_Lb1ESR_SS_SU_SV_SZ_EES10_S11_S12_S13_S17_S18_S19_S1C_S1D_jS1E_jS1F_S1F_jjS1H_bEUljE0_EEES10_S11_S12_S19_S1D_S1F_T6_T7_T9_mT8_S1H_bDpT10_ENKUlT_T0_E_clISt17integral_constantIbLb1EES1V_EEDaS1Q_S1R_EUlS1Q_E_NS1_11comp_targetILNS1_3genE5ELNS1_11target_archE942ELNS1_3gpuE9ELNS1_3repE0EEENS1_30default_config_static_selectorELNS0_4arch9wavefront6targetE0EEEvS13_,@function
_ZN7rocprim17ROCPRIM_400000_NS6detail17trampoline_kernelINS0_13select_configILj256ELj13ELNS0_17block_load_methodE3ELS4_3ELS4_3ELNS0_20block_scan_algorithmE0ELj4294967295EEENS1_25partition_config_selectorILNS1_17partition_subalgoE4EjNS0_10empty_typeEbEEZZNS1_14partition_implILS8_4ELb0ES6_15HIP_vector_typeIjLj2EENS0_17counting_iteratorIjlEEPS9_SG_NS0_5tupleIJPjSI_NS0_16reverse_iteratorISI_EEEEENSH_IJSG_SG_SG_EEES9_SI_JZNS1_25segmented_radix_sort_implINS0_14default_configELb1EPK6__halfPSP_PKlPlN2at6native12_GLOBAL__N_18offset_tEEE10hipError_tPvRmT1_PNSt15iterator_traitsIS13_E10value_typeET2_T3_PNS14_IS19_E10value_typeET4_jRbjT5_S1F_jjP12ihipStream_tbEUljE_ZNSN_ISO_Lb1ESR_SS_SU_SV_SZ_EES10_S11_S12_S13_S17_S18_S19_S1C_S1D_jS1E_jS1F_S1F_jjS1H_bEUljE0_EEES10_S11_S12_S19_S1D_S1F_T6_T7_T9_mT8_S1H_bDpT10_ENKUlT_T0_E_clISt17integral_constantIbLb1EES1V_EEDaS1Q_S1R_EUlS1Q_E_NS1_11comp_targetILNS1_3genE5ELNS1_11target_archE942ELNS1_3gpuE9ELNS1_3repE0EEENS1_30default_config_static_selectorELNS0_4arch9wavefront6targetE0EEEvS13_: ; @_ZN7rocprim17ROCPRIM_400000_NS6detail17trampoline_kernelINS0_13select_configILj256ELj13ELNS0_17block_load_methodE3ELS4_3ELS4_3ELNS0_20block_scan_algorithmE0ELj4294967295EEENS1_25partition_config_selectorILNS1_17partition_subalgoE4EjNS0_10empty_typeEbEEZZNS1_14partition_implILS8_4ELb0ES6_15HIP_vector_typeIjLj2EENS0_17counting_iteratorIjlEEPS9_SG_NS0_5tupleIJPjSI_NS0_16reverse_iteratorISI_EEEEENSH_IJSG_SG_SG_EEES9_SI_JZNS1_25segmented_radix_sort_implINS0_14default_configELb1EPK6__halfPSP_PKlPlN2at6native12_GLOBAL__N_18offset_tEEE10hipError_tPvRmT1_PNSt15iterator_traitsIS13_E10value_typeET2_T3_PNS14_IS19_E10value_typeET4_jRbjT5_S1F_jjP12ihipStream_tbEUljE_ZNSN_ISO_Lb1ESR_SS_SU_SV_SZ_EES10_S11_S12_S13_S17_S18_S19_S1C_S1D_jS1E_jS1F_S1F_jjS1H_bEUljE0_EEES10_S11_S12_S19_S1D_S1F_T6_T7_T9_mT8_S1H_bDpT10_ENKUlT_T0_E_clISt17integral_constantIbLb1EES1V_EEDaS1Q_S1R_EUlS1Q_E_NS1_11comp_targetILNS1_3genE5ELNS1_11target_archE942ELNS1_3gpuE9ELNS1_3repE0EEENS1_30default_config_static_selectorELNS0_4arch9wavefront6targetE0EEEvS13_
; %bb.0:
	.section	.rodata,"a",@progbits
	.p2align	6, 0x0
	.amdhsa_kernel _ZN7rocprim17ROCPRIM_400000_NS6detail17trampoline_kernelINS0_13select_configILj256ELj13ELNS0_17block_load_methodE3ELS4_3ELS4_3ELNS0_20block_scan_algorithmE0ELj4294967295EEENS1_25partition_config_selectorILNS1_17partition_subalgoE4EjNS0_10empty_typeEbEEZZNS1_14partition_implILS8_4ELb0ES6_15HIP_vector_typeIjLj2EENS0_17counting_iteratorIjlEEPS9_SG_NS0_5tupleIJPjSI_NS0_16reverse_iteratorISI_EEEEENSH_IJSG_SG_SG_EEES9_SI_JZNS1_25segmented_radix_sort_implINS0_14default_configELb1EPK6__halfPSP_PKlPlN2at6native12_GLOBAL__N_18offset_tEEE10hipError_tPvRmT1_PNSt15iterator_traitsIS13_E10value_typeET2_T3_PNS14_IS19_E10value_typeET4_jRbjT5_S1F_jjP12ihipStream_tbEUljE_ZNSN_ISO_Lb1ESR_SS_SU_SV_SZ_EES10_S11_S12_S13_S17_S18_S19_S1C_S1D_jS1E_jS1F_S1F_jjS1H_bEUljE0_EEES10_S11_S12_S19_S1D_S1F_T6_T7_T9_mT8_S1H_bDpT10_ENKUlT_T0_E_clISt17integral_constantIbLb1EES1V_EEDaS1Q_S1R_EUlS1Q_E_NS1_11comp_targetILNS1_3genE5ELNS1_11target_archE942ELNS1_3gpuE9ELNS1_3repE0EEENS1_30default_config_static_selectorELNS0_4arch9wavefront6targetE0EEEvS13_
		.amdhsa_group_segment_fixed_size 0
		.amdhsa_private_segment_fixed_size 0
		.amdhsa_kernarg_size 184
		.amdhsa_user_sgpr_count 15
		.amdhsa_user_sgpr_dispatch_ptr 0
		.amdhsa_user_sgpr_queue_ptr 0
		.amdhsa_user_sgpr_kernarg_segment_ptr 1
		.amdhsa_user_sgpr_dispatch_id 0
		.amdhsa_user_sgpr_private_segment_size 0
		.amdhsa_wavefront_size32 1
		.amdhsa_uses_dynamic_stack 0
		.amdhsa_enable_private_segment 0
		.amdhsa_system_sgpr_workgroup_id_x 1
		.amdhsa_system_sgpr_workgroup_id_y 0
		.amdhsa_system_sgpr_workgroup_id_z 0
		.amdhsa_system_sgpr_workgroup_info 0
		.amdhsa_system_vgpr_workitem_id 0
		.amdhsa_next_free_vgpr 1
		.amdhsa_next_free_sgpr 1
		.amdhsa_reserve_vcc 0
		.amdhsa_float_round_mode_32 0
		.amdhsa_float_round_mode_16_64 0
		.amdhsa_float_denorm_mode_32 3
		.amdhsa_float_denorm_mode_16_64 3
		.amdhsa_dx10_clamp 1
		.amdhsa_ieee_mode 1
		.amdhsa_fp16_overflow 0
		.amdhsa_workgroup_processor_mode 1
		.amdhsa_memory_ordered 1
		.amdhsa_forward_progress 0
		.amdhsa_shared_vgpr_count 0
		.amdhsa_exception_fp_ieee_invalid_op 0
		.amdhsa_exception_fp_denorm_src 0
		.amdhsa_exception_fp_ieee_div_zero 0
		.amdhsa_exception_fp_ieee_overflow 0
		.amdhsa_exception_fp_ieee_underflow 0
		.amdhsa_exception_fp_ieee_inexact 0
		.amdhsa_exception_int_div_zero 0
	.end_amdhsa_kernel
	.section	.text._ZN7rocprim17ROCPRIM_400000_NS6detail17trampoline_kernelINS0_13select_configILj256ELj13ELNS0_17block_load_methodE3ELS4_3ELS4_3ELNS0_20block_scan_algorithmE0ELj4294967295EEENS1_25partition_config_selectorILNS1_17partition_subalgoE4EjNS0_10empty_typeEbEEZZNS1_14partition_implILS8_4ELb0ES6_15HIP_vector_typeIjLj2EENS0_17counting_iteratorIjlEEPS9_SG_NS0_5tupleIJPjSI_NS0_16reverse_iteratorISI_EEEEENSH_IJSG_SG_SG_EEES9_SI_JZNS1_25segmented_radix_sort_implINS0_14default_configELb1EPK6__halfPSP_PKlPlN2at6native12_GLOBAL__N_18offset_tEEE10hipError_tPvRmT1_PNSt15iterator_traitsIS13_E10value_typeET2_T3_PNS14_IS19_E10value_typeET4_jRbjT5_S1F_jjP12ihipStream_tbEUljE_ZNSN_ISO_Lb1ESR_SS_SU_SV_SZ_EES10_S11_S12_S13_S17_S18_S19_S1C_S1D_jS1E_jS1F_S1F_jjS1H_bEUljE0_EEES10_S11_S12_S19_S1D_S1F_T6_T7_T9_mT8_S1H_bDpT10_ENKUlT_T0_E_clISt17integral_constantIbLb1EES1V_EEDaS1Q_S1R_EUlS1Q_E_NS1_11comp_targetILNS1_3genE5ELNS1_11target_archE942ELNS1_3gpuE9ELNS1_3repE0EEENS1_30default_config_static_selectorELNS0_4arch9wavefront6targetE0EEEvS13_,"axG",@progbits,_ZN7rocprim17ROCPRIM_400000_NS6detail17trampoline_kernelINS0_13select_configILj256ELj13ELNS0_17block_load_methodE3ELS4_3ELS4_3ELNS0_20block_scan_algorithmE0ELj4294967295EEENS1_25partition_config_selectorILNS1_17partition_subalgoE4EjNS0_10empty_typeEbEEZZNS1_14partition_implILS8_4ELb0ES6_15HIP_vector_typeIjLj2EENS0_17counting_iteratorIjlEEPS9_SG_NS0_5tupleIJPjSI_NS0_16reverse_iteratorISI_EEEEENSH_IJSG_SG_SG_EEES9_SI_JZNS1_25segmented_radix_sort_implINS0_14default_configELb1EPK6__halfPSP_PKlPlN2at6native12_GLOBAL__N_18offset_tEEE10hipError_tPvRmT1_PNSt15iterator_traitsIS13_E10value_typeET2_T3_PNS14_IS19_E10value_typeET4_jRbjT5_S1F_jjP12ihipStream_tbEUljE_ZNSN_ISO_Lb1ESR_SS_SU_SV_SZ_EES10_S11_S12_S13_S17_S18_S19_S1C_S1D_jS1E_jS1F_S1F_jjS1H_bEUljE0_EEES10_S11_S12_S19_S1D_S1F_T6_T7_T9_mT8_S1H_bDpT10_ENKUlT_T0_E_clISt17integral_constantIbLb1EES1V_EEDaS1Q_S1R_EUlS1Q_E_NS1_11comp_targetILNS1_3genE5ELNS1_11target_archE942ELNS1_3gpuE9ELNS1_3repE0EEENS1_30default_config_static_selectorELNS0_4arch9wavefront6targetE0EEEvS13_,comdat
.Lfunc_end1684:
	.size	_ZN7rocprim17ROCPRIM_400000_NS6detail17trampoline_kernelINS0_13select_configILj256ELj13ELNS0_17block_load_methodE3ELS4_3ELS4_3ELNS0_20block_scan_algorithmE0ELj4294967295EEENS1_25partition_config_selectorILNS1_17partition_subalgoE4EjNS0_10empty_typeEbEEZZNS1_14partition_implILS8_4ELb0ES6_15HIP_vector_typeIjLj2EENS0_17counting_iteratorIjlEEPS9_SG_NS0_5tupleIJPjSI_NS0_16reverse_iteratorISI_EEEEENSH_IJSG_SG_SG_EEES9_SI_JZNS1_25segmented_radix_sort_implINS0_14default_configELb1EPK6__halfPSP_PKlPlN2at6native12_GLOBAL__N_18offset_tEEE10hipError_tPvRmT1_PNSt15iterator_traitsIS13_E10value_typeET2_T3_PNS14_IS19_E10value_typeET4_jRbjT5_S1F_jjP12ihipStream_tbEUljE_ZNSN_ISO_Lb1ESR_SS_SU_SV_SZ_EES10_S11_S12_S13_S17_S18_S19_S1C_S1D_jS1E_jS1F_S1F_jjS1H_bEUljE0_EEES10_S11_S12_S19_S1D_S1F_T6_T7_T9_mT8_S1H_bDpT10_ENKUlT_T0_E_clISt17integral_constantIbLb1EES1V_EEDaS1Q_S1R_EUlS1Q_E_NS1_11comp_targetILNS1_3genE5ELNS1_11target_archE942ELNS1_3gpuE9ELNS1_3repE0EEENS1_30default_config_static_selectorELNS0_4arch9wavefront6targetE0EEEvS13_, .Lfunc_end1684-_ZN7rocprim17ROCPRIM_400000_NS6detail17trampoline_kernelINS0_13select_configILj256ELj13ELNS0_17block_load_methodE3ELS4_3ELS4_3ELNS0_20block_scan_algorithmE0ELj4294967295EEENS1_25partition_config_selectorILNS1_17partition_subalgoE4EjNS0_10empty_typeEbEEZZNS1_14partition_implILS8_4ELb0ES6_15HIP_vector_typeIjLj2EENS0_17counting_iteratorIjlEEPS9_SG_NS0_5tupleIJPjSI_NS0_16reverse_iteratorISI_EEEEENSH_IJSG_SG_SG_EEES9_SI_JZNS1_25segmented_radix_sort_implINS0_14default_configELb1EPK6__halfPSP_PKlPlN2at6native12_GLOBAL__N_18offset_tEEE10hipError_tPvRmT1_PNSt15iterator_traitsIS13_E10value_typeET2_T3_PNS14_IS19_E10value_typeET4_jRbjT5_S1F_jjP12ihipStream_tbEUljE_ZNSN_ISO_Lb1ESR_SS_SU_SV_SZ_EES10_S11_S12_S13_S17_S18_S19_S1C_S1D_jS1E_jS1F_S1F_jjS1H_bEUljE0_EEES10_S11_S12_S19_S1D_S1F_T6_T7_T9_mT8_S1H_bDpT10_ENKUlT_T0_E_clISt17integral_constantIbLb1EES1V_EEDaS1Q_S1R_EUlS1Q_E_NS1_11comp_targetILNS1_3genE5ELNS1_11target_archE942ELNS1_3gpuE9ELNS1_3repE0EEENS1_30default_config_static_selectorELNS0_4arch9wavefront6targetE0EEEvS13_
                                        ; -- End function
	.section	.AMDGPU.csdata,"",@progbits
; Kernel info:
; codeLenInByte = 0
; NumSgprs: 0
; NumVgprs: 0
; ScratchSize: 0
; MemoryBound: 0
; FloatMode: 240
; IeeeMode: 1
; LDSByteSize: 0 bytes/workgroup (compile time only)
; SGPRBlocks: 0
; VGPRBlocks: 0
; NumSGPRsForWavesPerEU: 1
; NumVGPRsForWavesPerEU: 1
; Occupancy: 16
; WaveLimiterHint : 0
; COMPUTE_PGM_RSRC2:SCRATCH_EN: 0
; COMPUTE_PGM_RSRC2:USER_SGPR: 15
; COMPUTE_PGM_RSRC2:TRAP_HANDLER: 0
; COMPUTE_PGM_RSRC2:TGID_X_EN: 1
; COMPUTE_PGM_RSRC2:TGID_Y_EN: 0
; COMPUTE_PGM_RSRC2:TGID_Z_EN: 0
; COMPUTE_PGM_RSRC2:TIDIG_COMP_CNT: 0
	.section	.text._ZN7rocprim17ROCPRIM_400000_NS6detail17trampoline_kernelINS0_13select_configILj256ELj13ELNS0_17block_load_methodE3ELS4_3ELS4_3ELNS0_20block_scan_algorithmE0ELj4294967295EEENS1_25partition_config_selectorILNS1_17partition_subalgoE4EjNS0_10empty_typeEbEEZZNS1_14partition_implILS8_4ELb0ES6_15HIP_vector_typeIjLj2EENS0_17counting_iteratorIjlEEPS9_SG_NS0_5tupleIJPjSI_NS0_16reverse_iteratorISI_EEEEENSH_IJSG_SG_SG_EEES9_SI_JZNS1_25segmented_radix_sort_implINS0_14default_configELb1EPK6__halfPSP_PKlPlN2at6native12_GLOBAL__N_18offset_tEEE10hipError_tPvRmT1_PNSt15iterator_traitsIS13_E10value_typeET2_T3_PNS14_IS19_E10value_typeET4_jRbjT5_S1F_jjP12ihipStream_tbEUljE_ZNSN_ISO_Lb1ESR_SS_SU_SV_SZ_EES10_S11_S12_S13_S17_S18_S19_S1C_S1D_jS1E_jS1F_S1F_jjS1H_bEUljE0_EEES10_S11_S12_S19_S1D_S1F_T6_T7_T9_mT8_S1H_bDpT10_ENKUlT_T0_E_clISt17integral_constantIbLb1EES1V_EEDaS1Q_S1R_EUlS1Q_E_NS1_11comp_targetILNS1_3genE4ELNS1_11target_archE910ELNS1_3gpuE8ELNS1_3repE0EEENS1_30default_config_static_selectorELNS0_4arch9wavefront6targetE0EEEvS13_,"axG",@progbits,_ZN7rocprim17ROCPRIM_400000_NS6detail17trampoline_kernelINS0_13select_configILj256ELj13ELNS0_17block_load_methodE3ELS4_3ELS4_3ELNS0_20block_scan_algorithmE0ELj4294967295EEENS1_25partition_config_selectorILNS1_17partition_subalgoE4EjNS0_10empty_typeEbEEZZNS1_14partition_implILS8_4ELb0ES6_15HIP_vector_typeIjLj2EENS0_17counting_iteratorIjlEEPS9_SG_NS0_5tupleIJPjSI_NS0_16reverse_iteratorISI_EEEEENSH_IJSG_SG_SG_EEES9_SI_JZNS1_25segmented_radix_sort_implINS0_14default_configELb1EPK6__halfPSP_PKlPlN2at6native12_GLOBAL__N_18offset_tEEE10hipError_tPvRmT1_PNSt15iterator_traitsIS13_E10value_typeET2_T3_PNS14_IS19_E10value_typeET4_jRbjT5_S1F_jjP12ihipStream_tbEUljE_ZNSN_ISO_Lb1ESR_SS_SU_SV_SZ_EES10_S11_S12_S13_S17_S18_S19_S1C_S1D_jS1E_jS1F_S1F_jjS1H_bEUljE0_EEES10_S11_S12_S19_S1D_S1F_T6_T7_T9_mT8_S1H_bDpT10_ENKUlT_T0_E_clISt17integral_constantIbLb1EES1V_EEDaS1Q_S1R_EUlS1Q_E_NS1_11comp_targetILNS1_3genE4ELNS1_11target_archE910ELNS1_3gpuE8ELNS1_3repE0EEENS1_30default_config_static_selectorELNS0_4arch9wavefront6targetE0EEEvS13_,comdat
	.globl	_ZN7rocprim17ROCPRIM_400000_NS6detail17trampoline_kernelINS0_13select_configILj256ELj13ELNS0_17block_load_methodE3ELS4_3ELS4_3ELNS0_20block_scan_algorithmE0ELj4294967295EEENS1_25partition_config_selectorILNS1_17partition_subalgoE4EjNS0_10empty_typeEbEEZZNS1_14partition_implILS8_4ELb0ES6_15HIP_vector_typeIjLj2EENS0_17counting_iteratorIjlEEPS9_SG_NS0_5tupleIJPjSI_NS0_16reverse_iteratorISI_EEEEENSH_IJSG_SG_SG_EEES9_SI_JZNS1_25segmented_radix_sort_implINS0_14default_configELb1EPK6__halfPSP_PKlPlN2at6native12_GLOBAL__N_18offset_tEEE10hipError_tPvRmT1_PNSt15iterator_traitsIS13_E10value_typeET2_T3_PNS14_IS19_E10value_typeET4_jRbjT5_S1F_jjP12ihipStream_tbEUljE_ZNSN_ISO_Lb1ESR_SS_SU_SV_SZ_EES10_S11_S12_S13_S17_S18_S19_S1C_S1D_jS1E_jS1F_S1F_jjS1H_bEUljE0_EEES10_S11_S12_S19_S1D_S1F_T6_T7_T9_mT8_S1H_bDpT10_ENKUlT_T0_E_clISt17integral_constantIbLb1EES1V_EEDaS1Q_S1R_EUlS1Q_E_NS1_11comp_targetILNS1_3genE4ELNS1_11target_archE910ELNS1_3gpuE8ELNS1_3repE0EEENS1_30default_config_static_selectorELNS0_4arch9wavefront6targetE0EEEvS13_ ; -- Begin function _ZN7rocprim17ROCPRIM_400000_NS6detail17trampoline_kernelINS0_13select_configILj256ELj13ELNS0_17block_load_methodE3ELS4_3ELS4_3ELNS0_20block_scan_algorithmE0ELj4294967295EEENS1_25partition_config_selectorILNS1_17partition_subalgoE4EjNS0_10empty_typeEbEEZZNS1_14partition_implILS8_4ELb0ES6_15HIP_vector_typeIjLj2EENS0_17counting_iteratorIjlEEPS9_SG_NS0_5tupleIJPjSI_NS0_16reverse_iteratorISI_EEEEENSH_IJSG_SG_SG_EEES9_SI_JZNS1_25segmented_radix_sort_implINS0_14default_configELb1EPK6__halfPSP_PKlPlN2at6native12_GLOBAL__N_18offset_tEEE10hipError_tPvRmT1_PNSt15iterator_traitsIS13_E10value_typeET2_T3_PNS14_IS19_E10value_typeET4_jRbjT5_S1F_jjP12ihipStream_tbEUljE_ZNSN_ISO_Lb1ESR_SS_SU_SV_SZ_EES10_S11_S12_S13_S17_S18_S19_S1C_S1D_jS1E_jS1F_S1F_jjS1H_bEUljE0_EEES10_S11_S12_S19_S1D_S1F_T6_T7_T9_mT8_S1H_bDpT10_ENKUlT_T0_E_clISt17integral_constantIbLb1EES1V_EEDaS1Q_S1R_EUlS1Q_E_NS1_11comp_targetILNS1_3genE4ELNS1_11target_archE910ELNS1_3gpuE8ELNS1_3repE0EEENS1_30default_config_static_selectorELNS0_4arch9wavefront6targetE0EEEvS13_
	.p2align	8
	.type	_ZN7rocprim17ROCPRIM_400000_NS6detail17trampoline_kernelINS0_13select_configILj256ELj13ELNS0_17block_load_methodE3ELS4_3ELS4_3ELNS0_20block_scan_algorithmE0ELj4294967295EEENS1_25partition_config_selectorILNS1_17partition_subalgoE4EjNS0_10empty_typeEbEEZZNS1_14partition_implILS8_4ELb0ES6_15HIP_vector_typeIjLj2EENS0_17counting_iteratorIjlEEPS9_SG_NS0_5tupleIJPjSI_NS0_16reverse_iteratorISI_EEEEENSH_IJSG_SG_SG_EEES9_SI_JZNS1_25segmented_radix_sort_implINS0_14default_configELb1EPK6__halfPSP_PKlPlN2at6native12_GLOBAL__N_18offset_tEEE10hipError_tPvRmT1_PNSt15iterator_traitsIS13_E10value_typeET2_T3_PNS14_IS19_E10value_typeET4_jRbjT5_S1F_jjP12ihipStream_tbEUljE_ZNSN_ISO_Lb1ESR_SS_SU_SV_SZ_EES10_S11_S12_S13_S17_S18_S19_S1C_S1D_jS1E_jS1F_S1F_jjS1H_bEUljE0_EEES10_S11_S12_S19_S1D_S1F_T6_T7_T9_mT8_S1H_bDpT10_ENKUlT_T0_E_clISt17integral_constantIbLb1EES1V_EEDaS1Q_S1R_EUlS1Q_E_NS1_11comp_targetILNS1_3genE4ELNS1_11target_archE910ELNS1_3gpuE8ELNS1_3repE0EEENS1_30default_config_static_selectorELNS0_4arch9wavefront6targetE0EEEvS13_,@function
_ZN7rocprim17ROCPRIM_400000_NS6detail17trampoline_kernelINS0_13select_configILj256ELj13ELNS0_17block_load_methodE3ELS4_3ELS4_3ELNS0_20block_scan_algorithmE0ELj4294967295EEENS1_25partition_config_selectorILNS1_17partition_subalgoE4EjNS0_10empty_typeEbEEZZNS1_14partition_implILS8_4ELb0ES6_15HIP_vector_typeIjLj2EENS0_17counting_iteratorIjlEEPS9_SG_NS0_5tupleIJPjSI_NS0_16reverse_iteratorISI_EEEEENSH_IJSG_SG_SG_EEES9_SI_JZNS1_25segmented_radix_sort_implINS0_14default_configELb1EPK6__halfPSP_PKlPlN2at6native12_GLOBAL__N_18offset_tEEE10hipError_tPvRmT1_PNSt15iterator_traitsIS13_E10value_typeET2_T3_PNS14_IS19_E10value_typeET4_jRbjT5_S1F_jjP12ihipStream_tbEUljE_ZNSN_ISO_Lb1ESR_SS_SU_SV_SZ_EES10_S11_S12_S13_S17_S18_S19_S1C_S1D_jS1E_jS1F_S1F_jjS1H_bEUljE0_EEES10_S11_S12_S19_S1D_S1F_T6_T7_T9_mT8_S1H_bDpT10_ENKUlT_T0_E_clISt17integral_constantIbLb1EES1V_EEDaS1Q_S1R_EUlS1Q_E_NS1_11comp_targetILNS1_3genE4ELNS1_11target_archE910ELNS1_3gpuE8ELNS1_3repE0EEENS1_30default_config_static_selectorELNS0_4arch9wavefront6targetE0EEEvS13_: ; @_ZN7rocprim17ROCPRIM_400000_NS6detail17trampoline_kernelINS0_13select_configILj256ELj13ELNS0_17block_load_methodE3ELS4_3ELS4_3ELNS0_20block_scan_algorithmE0ELj4294967295EEENS1_25partition_config_selectorILNS1_17partition_subalgoE4EjNS0_10empty_typeEbEEZZNS1_14partition_implILS8_4ELb0ES6_15HIP_vector_typeIjLj2EENS0_17counting_iteratorIjlEEPS9_SG_NS0_5tupleIJPjSI_NS0_16reverse_iteratorISI_EEEEENSH_IJSG_SG_SG_EEES9_SI_JZNS1_25segmented_radix_sort_implINS0_14default_configELb1EPK6__halfPSP_PKlPlN2at6native12_GLOBAL__N_18offset_tEEE10hipError_tPvRmT1_PNSt15iterator_traitsIS13_E10value_typeET2_T3_PNS14_IS19_E10value_typeET4_jRbjT5_S1F_jjP12ihipStream_tbEUljE_ZNSN_ISO_Lb1ESR_SS_SU_SV_SZ_EES10_S11_S12_S13_S17_S18_S19_S1C_S1D_jS1E_jS1F_S1F_jjS1H_bEUljE0_EEES10_S11_S12_S19_S1D_S1F_T6_T7_T9_mT8_S1H_bDpT10_ENKUlT_T0_E_clISt17integral_constantIbLb1EES1V_EEDaS1Q_S1R_EUlS1Q_E_NS1_11comp_targetILNS1_3genE4ELNS1_11target_archE910ELNS1_3gpuE8ELNS1_3repE0EEENS1_30default_config_static_selectorELNS0_4arch9wavefront6targetE0EEEvS13_
; %bb.0:
	.section	.rodata,"a",@progbits
	.p2align	6, 0x0
	.amdhsa_kernel _ZN7rocprim17ROCPRIM_400000_NS6detail17trampoline_kernelINS0_13select_configILj256ELj13ELNS0_17block_load_methodE3ELS4_3ELS4_3ELNS0_20block_scan_algorithmE0ELj4294967295EEENS1_25partition_config_selectorILNS1_17partition_subalgoE4EjNS0_10empty_typeEbEEZZNS1_14partition_implILS8_4ELb0ES6_15HIP_vector_typeIjLj2EENS0_17counting_iteratorIjlEEPS9_SG_NS0_5tupleIJPjSI_NS0_16reverse_iteratorISI_EEEEENSH_IJSG_SG_SG_EEES9_SI_JZNS1_25segmented_radix_sort_implINS0_14default_configELb1EPK6__halfPSP_PKlPlN2at6native12_GLOBAL__N_18offset_tEEE10hipError_tPvRmT1_PNSt15iterator_traitsIS13_E10value_typeET2_T3_PNS14_IS19_E10value_typeET4_jRbjT5_S1F_jjP12ihipStream_tbEUljE_ZNSN_ISO_Lb1ESR_SS_SU_SV_SZ_EES10_S11_S12_S13_S17_S18_S19_S1C_S1D_jS1E_jS1F_S1F_jjS1H_bEUljE0_EEES10_S11_S12_S19_S1D_S1F_T6_T7_T9_mT8_S1H_bDpT10_ENKUlT_T0_E_clISt17integral_constantIbLb1EES1V_EEDaS1Q_S1R_EUlS1Q_E_NS1_11comp_targetILNS1_3genE4ELNS1_11target_archE910ELNS1_3gpuE8ELNS1_3repE0EEENS1_30default_config_static_selectorELNS0_4arch9wavefront6targetE0EEEvS13_
		.amdhsa_group_segment_fixed_size 0
		.amdhsa_private_segment_fixed_size 0
		.amdhsa_kernarg_size 184
		.amdhsa_user_sgpr_count 15
		.amdhsa_user_sgpr_dispatch_ptr 0
		.amdhsa_user_sgpr_queue_ptr 0
		.amdhsa_user_sgpr_kernarg_segment_ptr 1
		.amdhsa_user_sgpr_dispatch_id 0
		.amdhsa_user_sgpr_private_segment_size 0
		.amdhsa_wavefront_size32 1
		.amdhsa_uses_dynamic_stack 0
		.amdhsa_enable_private_segment 0
		.amdhsa_system_sgpr_workgroup_id_x 1
		.amdhsa_system_sgpr_workgroup_id_y 0
		.amdhsa_system_sgpr_workgroup_id_z 0
		.amdhsa_system_sgpr_workgroup_info 0
		.amdhsa_system_vgpr_workitem_id 0
		.amdhsa_next_free_vgpr 1
		.amdhsa_next_free_sgpr 1
		.amdhsa_reserve_vcc 0
		.amdhsa_float_round_mode_32 0
		.amdhsa_float_round_mode_16_64 0
		.amdhsa_float_denorm_mode_32 3
		.amdhsa_float_denorm_mode_16_64 3
		.amdhsa_dx10_clamp 1
		.amdhsa_ieee_mode 1
		.amdhsa_fp16_overflow 0
		.amdhsa_workgroup_processor_mode 1
		.amdhsa_memory_ordered 1
		.amdhsa_forward_progress 0
		.amdhsa_shared_vgpr_count 0
		.amdhsa_exception_fp_ieee_invalid_op 0
		.amdhsa_exception_fp_denorm_src 0
		.amdhsa_exception_fp_ieee_div_zero 0
		.amdhsa_exception_fp_ieee_overflow 0
		.amdhsa_exception_fp_ieee_underflow 0
		.amdhsa_exception_fp_ieee_inexact 0
		.amdhsa_exception_int_div_zero 0
	.end_amdhsa_kernel
	.section	.text._ZN7rocprim17ROCPRIM_400000_NS6detail17trampoline_kernelINS0_13select_configILj256ELj13ELNS0_17block_load_methodE3ELS4_3ELS4_3ELNS0_20block_scan_algorithmE0ELj4294967295EEENS1_25partition_config_selectorILNS1_17partition_subalgoE4EjNS0_10empty_typeEbEEZZNS1_14partition_implILS8_4ELb0ES6_15HIP_vector_typeIjLj2EENS0_17counting_iteratorIjlEEPS9_SG_NS0_5tupleIJPjSI_NS0_16reverse_iteratorISI_EEEEENSH_IJSG_SG_SG_EEES9_SI_JZNS1_25segmented_radix_sort_implINS0_14default_configELb1EPK6__halfPSP_PKlPlN2at6native12_GLOBAL__N_18offset_tEEE10hipError_tPvRmT1_PNSt15iterator_traitsIS13_E10value_typeET2_T3_PNS14_IS19_E10value_typeET4_jRbjT5_S1F_jjP12ihipStream_tbEUljE_ZNSN_ISO_Lb1ESR_SS_SU_SV_SZ_EES10_S11_S12_S13_S17_S18_S19_S1C_S1D_jS1E_jS1F_S1F_jjS1H_bEUljE0_EEES10_S11_S12_S19_S1D_S1F_T6_T7_T9_mT8_S1H_bDpT10_ENKUlT_T0_E_clISt17integral_constantIbLb1EES1V_EEDaS1Q_S1R_EUlS1Q_E_NS1_11comp_targetILNS1_3genE4ELNS1_11target_archE910ELNS1_3gpuE8ELNS1_3repE0EEENS1_30default_config_static_selectorELNS0_4arch9wavefront6targetE0EEEvS13_,"axG",@progbits,_ZN7rocprim17ROCPRIM_400000_NS6detail17trampoline_kernelINS0_13select_configILj256ELj13ELNS0_17block_load_methodE3ELS4_3ELS4_3ELNS0_20block_scan_algorithmE0ELj4294967295EEENS1_25partition_config_selectorILNS1_17partition_subalgoE4EjNS0_10empty_typeEbEEZZNS1_14partition_implILS8_4ELb0ES6_15HIP_vector_typeIjLj2EENS0_17counting_iteratorIjlEEPS9_SG_NS0_5tupleIJPjSI_NS0_16reverse_iteratorISI_EEEEENSH_IJSG_SG_SG_EEES9_SI_JZNS1_25segmented_radix_sort_implINS0_14default_configELb1EPK6__halfPSP_PKlPlN2at6native12_GLOBAL__N_18offset_tEEE10hipError_tPvRmT1_PNSt15iterator_traitsIS13_E10value_typeET2_T3_PNS14_IS19_E10value_typeET4_jRbjT5_S1F_jjP12ihipStream_tbEUljE_ZNSN_ISO_Lb1ESR_SS_SU_SV_SZ_EES10_S11_S12_S13_S17_S18_S19_S1C_S1D_jS1E_jS1F_S1F_jjS1H_bEUljE0_EEES10_S11_S12_S19_S1D_S1F_T6_T7_T9_mT8_S1H_bDpT10_ENKUlT_T0_E_clISt17integral_constantIbLb1EES1V_EEDaS1Q_S1R_EUlS1Q_E_NS1_11comp_targetILNS1_3genE4ELNS1_11target_archE910ELNS1_3gpuE8ELNS1_3repE0EEENS1_30default_config_static_selectorELNS0_4arch9wavefront6targetE0EEEvS13_,comdat
.Lfunc_end1685:
	.size	_ZN7rocprim17ROCPRIM_400000_NS6detail17trampoline_kernelINS0_13select_configILj256ELj13ELNS0_17block_load_methodE3ELS4_3ELS4_3ELNS0_20block_scan_algorithmE0ELj4294967295EEENS1_25partition_config_selectorILNS1_17partition_subalgoE4EjNS0_10empty_typeEbEEZZNS1_14partition_implILS8_4ELb0ES6_15HIP_vector_typeIjLj2EENS0_17counting_iteratorIjlEEPS9_SG_NS0_5tupleIJPjSI_NS0_16reverse_iteratorISI_EEEEENSH_IJSG_SG_SG_EEES9_SI_JZNS1_25segmented_radix_sort_implINS0_14default_configELb1EPK6__halfPSP_PKlPlN2at6native12_GLOBAL__N_18offset_tEEE10hipError_tPvRmT1_PNSt15iterator_traitsIS13_E10value_typeET2_T3_PNS14_IS19_E10value_typeET4_jRbjT5_S1F_jjP12ihipStream_tbEUljE_ZNSN_ISO_Lb1ESR_SS_SU_SV_SZ_EES10_S11_S12_S13_S17_S18_S19_S1C_S1D_jS1E_jS1F_S1F_jjS1H_bEUljE0_EEES10_S11_S12_S19_S1D_S1F_T6_T7_T9_mT8_S1H_bDpT10_ENKUlT_T0_E_clISt17integral_constantIbLb1EES1V_EEDaS1Q_S1R_EUlS1Q_E_NS1_11comp_targetILNS1_3genE4ELNS1_11target_archE910ELNS1_3gpuE8ELNS1_3repE0EEENS1_30default_config_static_selectorELNS0_4arch9wavefront6targetE0EEEvS13_, .Lfunc_end1685-_ZN7rocprim17ROCPRIM_400000_NS6detail17trampoline_kernelINS0_13select_configILj256ELj13ELNS0_17block_load_methodE3ELS4_3ELS4_3ELNS0_20block_scan_algorithmE0ELj4294967295EEENS1_25partition_config_selectorILNS1_17partition_subalgoE4EjNS0_10empty_typeEbEEZZNS1_14partition_implILS8_4ELb0ES6_15HIP_vector_typeIjLj2EENS0_17counting_iteratorIjlEEPS9_SG_NS0_5tupleIJPjSI_NS0_16reverse_iteratorISI_EEEEENSH_IJSG_SG_SG_EEES9_SI_JZNS1_25segmented_radix_sort_implINS0_14default_configELb1EPK6__halfPSP_PKlPlN2at6native12_GLOBAL__N_18offset_tEEE10hipError_tPvRmT1_PNSt15iterator_traitsIS13_E10value_typeET2_T3_PNS14_IS19_E10value_typeET4_jRbjT5_S1F_jjP12ihipStream_tbEUljE_ZNSN_ISO_Lb1ESR_SS_SU_SV_SZ_EES10_S11_S12_S13_S17_S18_S19_S1C_S1D_jS1E_jS1F_S1F_jjS1H_bEUljE0_EEES10_S11_S12_S19_S1D_S1F_T6_T7_T9_mT8_S1H_bDpT10_ENKUlT_T0_E_clISt17integral_constantIbLb1EES1V_EEDaS1Q_S1R_EUlS1Q_E_NS1_11comp_targetILNS1_3genE4ELNS1_11target_archE910ELNS1_3gpuE8ELNS1_3repE0EEENS1_30default_config_static_selectorELNS0_4arch9wavefront6targetE0EEEvS13_
                                        ; -- End function
	.section	.AMDGPU.csdata,"",@progbits
; Kernel info:
; codeLenInByte = 0
; NumSgprs: 0
; NumVgprs: 0
; ScratchSize: 0
; MemoryBound: 0
; FloatMode: 240
; IeeeMode: 1
; LDSByteSize: 0 bytes/workgroup (compile time only)
; SGPRBlocks: 0
; VGPRBlocks: 0
; NumSGPRsForWavesPerEU: 1
; NumVGPRsForWavesPerEU: 1
; Occupancy: 16
; WaveLimiterHint : 0
; COMPUTE_PGM_RSRC2:SCRATCH_EN: 0
; COMPUTE_PGM_RSRC2:USER_SGPR: 15
; COMPUTE_PGM_RSRC2:TRAP_HANDLER: 0
; COMPUTE_PGM_RSRC2:TGID_X_EN: 1
; COMPUTE_PGM_RSRC2:TGID_Y_EN: 0
; COMPUTE_PGM_RSRC2:TGID_Z_EN: 0
; COMPUTE_PGM_RSRC2:TIDIG_COMP_CNT: 0
	.section	.text._ZN7rocprim17ROCPRIM_400000_NS6detail17trampoline_kernelINS0_13select_configILj256ELj13ELNS0_17block_load_methodE3ELS4_3ELS4_3ELNS0_20block_scan_algorithmE0ELj4294967295EEENS1_25partition_config_selectorILNS1_17partition_subalgoE4EjNS0_10empty_typeEbEEZZNS1_14partition_implILS8_4ELb0ES6_15HIP_vector_typeIjLj2EENS0_17counting_iteratorIjlEEPS9_SG_NS0_5tupleIJPjSI_NS0_16reverse_iteratorISI_EEEEENSH_IJSG_SG_SG_EEES9_SI_JZNS1_25segmented_radix_sort_implINS0_14default_configELb1EPK6__halfPSP_PKlPlN2at6native12_GLOBAL__N_18offset_tEEE10hipError_tPvRmT1_PNSt15iterator_traitsIS13_E10value_typeET2_T3_PNS14_IS19_E10value_typeET4_jRbjT5_S1F_jjP12ihipStream_tbEUljE_ZNSN_ISO_Lb1ESR_SS_SU_SV_SZ_EES10_S11_S12_S13_S17_S18_S19_S1C_S1D_jS1E_jS1F_S1F_jjS1H_bEUljE0_EEES10_S11_S12_S19_S1D_S1F_T6_T7_T9_mT8_S1H_bDpT10_ENKUlT_T0_E_clISt17integral_constantIbLb1EES1V_EEDaS1Q_S1R_EUlS1Q_E_NS1_11comp_targetILNS1_3genE3ELNS1_11target_archE908ELNS1_3gpuE7ELNS1_3repE0EEENS1_30default_config_static_selectorELNS0_4arch9wavefront6targetE0EEEvS13_,"axG",@progbits,_ZN7rocprim17ROCPRIM_400000_NS6detail17trampoline_kernelINS0_13select_configILj256ELj13ELNS0_17block_load_methodE3ELS4_3ELS4_3ELNS0_20block_scan_algorithmE0ELj4294967295EEENS1_25partition_config_selectorILNS1_17partition_subalgoE4EjNS0_10empty_typeEbEEZZNS1_14partition_implILS8_4ELb0ES6_15HIP_vector_typeIjLj2EENS0_17counting_iteratorIjlEEPS9_SG_NS0_5tupleIJPjSI_NS0_16reverse_iteratorISI_EEEEENSH_IJSG_SG_SG_EEES9_SI_JZNS1_25segmented_radix_sort_implINS0_14default_configELb1EPK6__halfPSP_PKlPlN2at6native12_GLOBAL__N_18offset_tEEE10hipError_tPvRmT1_PNSt15iterator_traitsIS13_E10value_typeET2_T3_PNS14_IS19_E10value_typeET4_jRbjT5_S1F_jjP12ihipStream_tbEUljE_ZNSN_ISO_Lb1ESR_SS_SU_SV_SZ_EES10_S11_S12_S13_S17_S18_S19_S1C_S1D_jS1E_jS1F_S1F_jjS1H_bEUljE0_EEES10_S11_S12_S19_S1D_S1F_T6_T7_T9_mT8_S1H_bDpT10_ENKUlT_T0_E_clISt17integral_constantIbLb1EES1V_EEDaS1Q_S1R_EUlS1Q_E_NS1_11comp_targetILNS1_3genE3ELNS1_11target_archE908ELNS1_3gpuE7ELNS1_3repE0EEENS1_30default_config_static_selectorELNS0_4arch9wavefront6targetE0EEEvS13_,comdat
	.globl	_ZN7rocprim17ROCPRIM_400000_NS6detail17trampoline_kernelINS0_13select_configILj256ELj13ELNS0_17block_load_methodE3ELS4_3ELS4_3ELNS0_20block_scan_algorithmE0ELj4294967295EEENS1_25partition_config_selectorILNS1_17partition_subalgoE4EjNS0_10empty_typeEbEEZZNS1_14partition_implILS8_4ELb0ES6_15HIP_vector_typeIjLj2EENS0_17counting_iteratorIjlEEPS9_SG_NS0_5tupleIJPjSI_NS0_16reverse_iteratorISI_EEEEENSH_IJSG_SG_SG_EEES9_SI_JZNS1_25segmented_radix_sort_implINS0_14default_configELb1EPK6__halfPSP_PKlPlN2at6native12_GLOBAL__N_18offset_tEEE10hipError_tPvRmT1_PNSt15iterator_traitsIS13_E10value_typeET2_T3_PNS14_IS19_E10value_typeET4_jRbjT5_S1F_jjP12ihipStream_tbEUljE_ZNSN_ISO_Lb1ESR_SS_SU_SV_SZ_EES10_S11_S12_S13_S17_S18_S19_S1C_S1D_jS1E_jS1F_S1F_jjS1H_bEUljE0_EEES10_S11_S12_S19_S1D_S1F_T6_T7_T9_mT8_S1H_bDpT10_ENKUlT_T0_E_clISt17integral_constantIbLb1EES1V_EEDaS1Q_S1R_EUlS1Q_E_NS1_11comp_targetILNS1_3genE3ELNS1_11target_archE908ELNS1_3gpuE7ELNS1_3repE0EEENS1_30default_config_static_selectorELNS0_4arch9wavefront6targetE0EEEvS13_ ; -- Begin function _ZN7rocprim17ROCPRIM_400000_NS6detail17trampoline_kernelINS0_13select_configILj256ELj13ELNS0_17block_load_methodE3ELS4_3ELS4_3ELNS0_20block_scan_algorithmE0ELj4294967295EEENS1_25partition_config_selectorILNS1_17partition_subalgoE4EjNS0_10empty_typeEbEEZZNS1_14partition_implILS8_4ELb0ES6_15HIP_vector_typeIjLj2EENS0_17counting_iteratorIjlEEPS9_SG_NS0_5tupleIJPjSI_NS0_16reverse_iteratorISI_EEEEENSH_IJSG_SG_SG_EEES9_SI_JZNS1_25segmented_radix_sort_implINS0_14default_configELb1EPK6__halfPSP_PKlPlN2at6native12_GLOBAL__N_18offset_tEEE10hipError_tPvRmT1_PNSt15iterator_traitsIS13_E10value_typeET2_T3_PNS14_IS19_E10value_typeET4_jRbjT5_S1F_jjP12ihipStream_tbEUljE_ZNSN_ISO_Lb1ESR_SS_SU_SV_SZ_EES10_S11_S12_S13_S17_S18_S19_S1C_S1D_jS1E_jS1F_S1F_jjS1H_bEUljE0_EEES10_S11_S12_S19_S1D_S1F_T6_T7_T9_mT8_S1H_bDpT10_ENKUlT_T0_E_clISt17integral_constantIbLb1EES1V_EEDaS1Q_S1R_EUlS1Q_E_NS1_11comp_targetILNS1_3genE3ELNS1_11target_archE908ELNS1_3gpuE7ELNS1_3repE0EEENS1_30default_config_static_selectorELNS0_4arch9wavefront6targetE0EEEvS13_
	.p2align	8
	.type	_ZN7rocprim17ROCPRIM_400000_NS6detail17trampoline_kernelINS0_13select_configILj256ELj13ELNS0_17block_load_methodE3ELS4_3ELS4_3ELNS0_20block_scan_algorithmE0ELj4294967295EEENS1_25partition_config_selectorILNS1_17partition_subalgoE4EjNS0_10empty_typeEbEEZZNS1_14partition_implILS8_4ELb0ES6_15HIP_vector_typeIjLj2EENS0_17counting_iteratorIjlEEPS9_SG_NS0_5tupleIJPjSI_NS0_16reverse_iteratorISI_EEEEENSH_IJSG_SG_SG_EEES9_SI_JZNS1_25segmented_radix_sort_implINS0_14default_configELb1EPK6__halfPSP_PKlPlN2at6native12_GLOBAL__N_18offset_tEEE10hipError_tPvRmT1_PNSt15iterator_traitsIS13_E10value_typeET2_T3_PNS14_IS19_E10value_typeET4_jRbjT5_S1F_jjP12ihipStream_tbEUljE_ZNSN_ISO_Lb1ESR_SS_SU_SV_SZ_EES10_S11_S12_S13_S17_S18_S19_S1C_S1D_jS1E_jS1F_S1F_jjS1H_bEUljE0_EEES10_S11_S12_S19_S1D_S1F_T6_T7_T9_mT8_S1H_bDpT10_ENKUlT_T0_E_clISt17integral_constantIbLb1EES1V_EEDaS1Q_S1R_EUlS1Q_E_NS1_11comp_targetILNS1_3genE3ELNS1_11target_archE908ELNS1_3gpuE7ELNS1_3repE0EEENS1_30default_config_static_selectorELNS0_4arch9wavefront6targetE0EEEvS13_,@function
_ZN7rocprim17ROCPRIM_400000_NS6detail17trampoline_kernelINS0_13select_configILj256ELj13ELNS0_17block_load_methodE3ELS4_3ELS4_3ELNS0_20block_scan_algorithmE0ELj4294967295EEENS1_25partition_config_selectorILNS1_17partition_subalgoE4EjNS0_10empty_typeEbEEZZNS1_14partition_implILS8_4ELb0ES6_15HIP_vector_typeIjLj2EENS0_17counting_iteratorIjlEEPS9_SG_NS0_5tupleIJPjSI_NS0_16reverse_iteratorISI_EEEEENSH_IJSG_SG_SG_EEES9_SI_JZNS1_25segmented_radix_sort_implINS0_14default_configELb1EPK6__halfPSP_PKlPlN2at6native12_GLOBAL__N_18offset_tEEE10hipError_tPvRmT1_PNSt15iterator_traitsIS13_E10value_typeET2_T3_PNS14_IS19_E10value_typeET4_jRbjT5_S1F_jjP12ihipStream_tbEUljE_ZNSN_ISO_Lb1ESR_SS_SU_SV_SZ_EES10_S11_S12_S13_S17_S18_S19_S1C_S1D_jS1E_jS1F_S1F_jjS1H_bEUljE0_EEES10_S11_S12_S19_S1D_S1F_T6_T7_T9_mT8_S1H_bDpT10_ENKUlT_T0_E_clISt17integral_constantIbLb1EES1V_EEDaS1Q_S1R_EUlS1Q_E_NS1_11comp_targetILNS1_3genE3ELNS1_11target_archE908ELNS1_3gpuE7ELNS1_3repE0EEENS1_30default_config_static_selectorELNS0_4arch9wavefront6targetE0EEEvS13_: ; @_ZN7rocprim17ROCPRIM_400000_NS6detail17trampoline_kernelINS0_13select_configILj256ELj13ELNS0_17block_load_methodE3ELS4_3ELS4_3ELNS0_20block_scan_algorithmE0ELj4294967295EEENS1_25partition_config_selectorILNS1_17partition_subalgoE4EjNS0_10empty_typeEbEEZZNS1_14partition_implILS8_4ELb0ES6_15HIP_vector_typeIjLj2EENS0_17counting_iteratorIjlEEPS9_SG_NS0_5tupleIJPjSI_NS0_16reverse_iteratorISI_EEEEENSH_IJSG_SG_SG_EEES9_SI_JZNS1_25segmented_radix_sort_implINS0_14default_configELb1EPK6__halfPSP_PKlPlN2at6native12_GLOBAL__N_18offset_tEEE10hipError_tPvRmT1_PNSt15iterator_traitsIS13_E10value_typeET2_T3_PNS14_IS19_E10value_typeET4_jRbjT5_S1F_jjP12ihipStream_tbEUljE_ZNSN_ISO_Lb1ESR_SS_SU_SV_SZ_EES10_S11_S12_S13_S17_S18_S19_S1C_S1D_jS1E_jS1F_S1F_jjS1H_bEUljE0_EEES10_S11_S12_S19_S1D_S1F_T6_T7_T9_mT8_S1H_bDpT10_ENKUlT_T0_E_clISt17integral_constantIbLb1EES1V_EEDaS1Q_S1R_EUlS1Q_E_NS1_11comp_targetILNS1_3genE3ELNS1_11target_archE908ELNS1_3gpuE7ELNS1_3repE0EEENS1_30default_config_static_selectorELNS0_4arch9wavefront6targetE0EEEvS13_
; %bb.0:
	.section	.rodata,"a",@progbits
	.p2align	6, 0x0
	.amdhsa_kernel _ZN7rocprim17ROCPRIM_400000_NS6detail17trampoline_kernelINS0_13select_configILj256ELj13ELNS0_17block_load_methodE3ELS4_3ELS4_3ELNS0_20block_scan_algorithmE0ELj4294967295EEENS1_25partition_config_selectorILNS1_17partition_subalgoE4EjNS0_10empty_typeEbEEZZNS1_14partition_implILS8_4ELb0ES6_15HIP_vector_typeIjLj2EENS0_17counting_iteratorIjlEEPS9_SG_NS0_5tupleIJPjSI_NS0_16reverse_iteratorISI_EEEEENSH_IJSG_SG_SG_EEES9_SI_JZNS1_25segmented_radix_sort_implINS0_14default_configELb1EPK6__halfPSP_PKlPlN2at6native12_GLOBAL__N_18offset_tEEE10hipError_tPvRmT1_PNSt15iterator_traitsIS13_E10value_typeET2_T3_PNS14_IS19_E10value_typeET4_jRbjT5_S1F_jjP12ihipStream_tbEUljE_ZNSN_ISO_Lb1ESR_SS_SU_SV_SZ_EES10_S11_S12_S13_S17_S18_S19_S1C_S1D_jS1E_jS1F_S1F_jjS1H_bEUljE0_EEES10_S11_S12_S19_S1D_S1F_T6_T7_T9_mT8_S1H_bDpT10_ENKUlT_T0_E_clISt17integral_constantIbLb1EES1V_EEDaS1Q_S1R_EUlS1Q_E_NS1_11comp_targetILNS1_3genE3ELNS1_11target_archE908ELNS1_3gpuE7ELNS1_3repE0EEENS1_30default_config_static_selectorELNS0_4arch9wavefront6targetE0EEEvS13_
		.amdhsa_group_segment_fixed_size 0
		.amdhsa_private_segment_fixed_size 0
		.amdhsa_kernarg_size 184
		.amdhsa_user_sgpr_count 15
		.amdhsa_user_sgpr_dispatch_ptr 0
		.amdhsa_user_sgpr_queue_ptr 0
		.amdhsa_user_sgpr_kernarg_segment_ptr 1
		.amdhsa_user_sgpr_dispatch_id 0
		.amdhsa_user_sgpr_private_segment_size 0
		.amdhsa_wavefront_size32 1
		.amdhsa_uses_dynamic_stack 0
		.amdhsa_enable_private_segment 0
		.amdhsa_system_sgpr_workgroup_id_x 1
		.amdhsa_system_sgpr_workgroup_id_y 0
		.amdhsa_system_sgpr_workgroup_id_z 0
		.amdhsa_system_sgpr_workgroup_info 0
		.amdhsa_system_vgpr_workitem_id 0
		.amdhsa_next_free_vgpr 1
		.amdhsa_next_free_sgpr 1
		.amdhsa_reserve_vcc 0
		.amdhsa_float_round_mode_32 0
		.amdhsa_float_round_mode_16_64 0
		.amdhsa_float_denorm_mode_32 3
		.amdhsa_float_denorm_mode_16_64 3
		.amdhsa_dx10_clamp 1
		.amdhsa_ieee_mode 1
		.amdhsa_fp16_overflow 0
		.amdhsa_workgroup_processor_mode 1
		.amdhsa_memory_ordered 1
		.amdhsa_forward_progress 0
		.amdhsa_shared_vgpr_count 0
		.amdhsa_exception_fp_ieee_invalid_op 0
		.amdhsa_exception_fp_denorm_src 0
		.amdhsa_exception_fp_ieee_div_zero 0
		.amdhsa_exception_fp_ieee_overflow 0
		.amdhsa_exception_fp_ieee_underflow 0
		.amdhsa_exception_fp_ieee_inexact 0
		.amdhsa_exception_int_div_zero 0
	.end_amdhsa_kernel
	.section	.text._ZN7rocprim17ROCPRIM_400000_NS6detail17trampoline_kernelINS0_13select_configILj256ELj13ELNS0_17block_load_methodE3ELS4_3ELS4_3ELNS0_20block_scan_algorithmE0ELj4294967295EEENS1_25partition_config_selectorILNS1_17partition_subalgoE4EjNS0_10empty_typeEbEEZZNS1_14partition_implILS8_4ELb0ES6_15HIP_vector_typeIjLj2EENS0_17counting_iteratorIjlEEPS9_SG_NS0_5tupleIJPjSI_NS0_16reverse_iteratorISI_EEEEENSH_IJSG_SG_SG_EEES9_SI_JZNS1_25segmented_radix_sort_implINS0_14default_configELb1EPK6__halfPSP_PKlPlN2at6native12_GLOBAL__N_18offset_tEEE10hipError_tPvRmT1_PNSt15iterator_traitsIS13_E10value_typeET2_T3_PNS14_IS19_E10value_typeET4_jRbjT5_S1F_jjP12ihipStream_tbEUljE_ZNSN_ISO_Lb1ESR_SS_SU_SV_SZ_EES10_S11_S12_S13_S17_S18_S19_S1C_S1D_jS1E_jS1F_S1F_jjS1H_bEUljE0_EEES10_S11_S12_S19_S1D_S1F_T6_T7_T9_mT8_S1H_bDpT10_ENKUlT_T0_E_clISt17integral_constantIbLb1EES1V_EEDaS1Q_S1R_EUlS1Q_E_NS1_11comp_targetILNS1_3genE3ELNS1_11target_archE908ELNS1_3gpuE7ELNS1_3repE0EEENS1_30default_config_static_selectorELNS0_4arch9wavefront6targetE0EEEvS13_,"axG",@progbits,_ZN7rocprim17ROCPRIM_400000_NS6detail17trampoline_kernelINS0_13select_configILj256ELj13ELNS0_17block_load_methodE3ELS4_3ELS4_3ELNS0_20block_scan_algorithmE0ELj4294967295EEENS1_25partition_config_selectorILNS1_17partition_subalgoE4EjNS0_10empty_typeEbEEZZNS1_14partition_implILS8_4ELb0ES6_15HIP_vector_typeIjLj2EENS0_17counting_iteratorIjlEEPS9_SG_NS0_5tupleIJPjSI_NS0_16reverse_iteratorISI_EEEEENSH_IJSG_SG_SG_EEES9_SI_JZNS1_25segmented_radix_sort_implINS0_14default_configELb1EPK6__halfPSP_PKlPlN2at6native12_GLOBAL__N_18offset_tEEE10hipError_tPvRmT1_PNSt15iterator_traitsIS13_E10value_typeET2_T3_PNS14_IS19_E10value_typeET4_jRbjT5_S1F_jjP12ihipStream_tbEUljE_ZNSN_ISO_Lb1ESR_SS_SU_SV_SZ_EES10_S11_S12_S13_S17_S18_S19_S1C_S1D_jS1E_jS1F_S1F_jjS1H_bEUljE0_EEES10_S11_S12_S19_S1D_S1F_T6_T7_T9_mT8_S1H_bDpT10_ENKUlT_T0_E_clISt17integral_constantIbLb1EES1V_EEDaS1Q_S1R_EUlS1Q_E_NS1_11comp_targetILNS1_3genE3ELNS1_11target_archE908ELNS1_3gpuE7ELNS1_3repE0EEENS1_30default_config_static_selectorELNS0_4arch9wavefront6targetE0EEEvS13_,comdat
.Lfunc_end1686:
	.size	_ZN7rocprim17ROCPRIM_400000_NS6detail17trampoline_kernelINS0_13select_configILj256ELj13ELNS0_17block_load_methodE3ELS4_3ELS4_3ELNS0_20block_scan_algorithmE0ELj4294967295EEENS1_25partition_config_selectorILNS1_17partition_subalgoE4EjNS0_10empty_typeEbEEZZNS1_14partition_implILS8_4ELb0ES6_15HIP_vector_typeIjLj2EENS0_17counting_iteratorIjlEEPS9_SG_NS0_5tupleIJPjSI_NS0_16reverse_iteratorISI_EEEEENSH_IJSG_SG_SG_EEES9_SI_JZNS1_25segmented_radix_sort_implINS0_14default_configELb1EPK6__halfPSP_PKlPlN2at6native12_GLOBAL__N_18offset_tEEE10hipError_tPvRmT1_PNSt15iterator_traitsIS13_E10value_typeET2_T3_PNS14_IS19_E10value_typeET4_jRbjT5_S1F_jjP12ihipStream_tbEUljE_ZNSN_ISO_Lb1ESR_SS_SU_SV_SZ_EES10_S11_S12_S13_S17_S18_S19_S1C_S1D_jS1E_jS1F_S1F_jjS1H_bEUljE0_EEES10_S11_S12_S19_S1D_S1F_T6_T7_T9_mT8_S1H_bDpT10_ENKUlT_T0_E_clISt17integral_constantIbLb1EES1V_EEDaS1Q_S1R_EUlS1Q_E_NS1_11comp_targetILNS1_3genE3ELNS1_11target_archE908ELNS1_3gpuE7ELNS1_3repE0EEENS1_30default_config_static_selectorELNS0_4arch9wavefront6targetE0EEEvS13_, .Lfunc_end1686-_ZN7rocprim17ROCPRIM_400000_NS6detail17trampoline_kernelINS0_13select_configILj256ELj13ELNS0_17block_load_methodE3ELS4_3ELS4_3ELNS0_20block_scan_algorithmE0ELj4294967295EEENS1_25partition_config_selectorILNS1_17partition_subalgoE4EjNS0_10empty_typeEbEEZZNS1_14partition_implILS8_4ELb0ES6_15HIP_vector_typeIjLj2EENS0_17counting_iteratorIjlEEPS9_SG_NS0_5tupleIJPjSI_NS0_16reverse_iteratorISI_EEEEENSH_IJSG_SG_SG_EEES9_SI_JZNS1_25segmented_radix_sort_implINS0_14default_configELb1EPK6__halfPSP_PKlPlN2at6native12_GLOBAL__N_18offset_tEEE10hipError_tPvRmT1_PNSt15iterator_traitsIS13_E10value_typeET2_T3_PNS14_IS19_E10value_typeET4_jRbjT5_S1F_jjP12ihipStream_tbEUljE_ZNSN_ISO_Lb1ESR_SS_SU_SV_SZ_EES10_S11_S12_S13_S17_S18_S19_S1C_S1D_jS1E_jS1F_S1F_jjS1H_bEUljE0_EEES10_S11_S12_S19_S1D_S1F_T6_T7_T9_mT8_S1H_bDpT10_ENKUlT_T0_E_clISt17integral_constantIbLb1EES1V_EEDaS1Q_S1R_EUlS1Q_E_NS1_11comp_targetILNS1_3genE3ELNS1_11target_archE908ELNS1_3gpuE7ELNS1_3repE0EEENS1_30default_config_static_selectorELNS0_4arch9wavefront6targetE0EEEvS13_
                                        ; -- End function
	.section	.AMDGPU.csdata,"",@progbits
; Kernel info:
; codeLenInByte = 0
; NumSgprs: 0
; NumVgprs: 0
; ScratchSize: 0
; MemoryBound: 0
; FloatMode: 240
; IeeeMode: 1
; LDSByteSize: 0 bytes/workgroup (compile time only)
; SGPRBlocks: 0
; VGPRBlocks: 0
; NumSGPRsForWavesPerEU: 1
; NumVGPRsForWavesPerEU: 1
; Occupancy: 16
; WaveLimiterHint : 0
; COMPUTE_PGM_RSRC2:SCRATCH_EN: 0
; COMPUTE_PGM_RSRC2:USER_SGPR: 15
; COMPUTE_PGM_RSRC2:TRAP_HANDLER: 0
; COMPUTE_PGM_RSRC2:TGID_X_EN: 1
; COMPUTE_PGM_RSRC2:TGID_Y_EN: 0
; COMPUTE_PGM_RSRC2:TGID_Z_EN: 0
; COMPUTE_PGM_RSRC2:TIDIG_COMP_CNT: 0
	.section	.text._ZN7rocprim17ROCPRIM_400000_NS6detail17trampoline_kernelINS0_13select_configILj256ELj13ELNS0_17block_load_methodE3ELS4_3ELS4_3ELNS0_20block_scan_algorithmE0ELj4294967295EEENS1_25partition_config_selectorILNS1_17partition_subalgoE4EjNS0_10empty_typeEbEEZZNS1_14partition_implILS8_4ELb0ES6_15HIP_vector_typeIjLj2EENS0_17counting_iteratorIjlEEPS9_SG_NS0_5tupleIJPjSI_NS0_16reverse_iteratorISI_EEEEENSH_IJSG_SG_SG_EEES9_SI_JZNS1_25segmented_radix_sort_implINS0_14default_configELb1EPK6__halfPSP_PKlPlN2at6native12_GLOBAL__N_18offset_tEEE10hipError_tPvRmT1_PNSt15iterator_traitsIS13_E10value_typeET2_T3_PNS14_IS19_E10value_typeET4_jRbjT5_S1F_jjP12ihipStream_tbEUljE_ZNSN_ISO_Lb1ESR_SS_SU_SV_SZ_EES10_S11_S12_S13_S17_S18_S19_S1C_S1D_jS1E_jS1F_S1F_jjS1H_bEUljE0_EEES10_S11_S12_S19_S1D_S1F_T6_T7_T9_mT8_S1H_bDpT10_ENKUlT_T0_E_clISt17integral_constantIbLb1EES1V_EEDaS1Q_S1R_EUlS1Q_E_NS1_11comp_targetILNS1_3genE2ELNS1_11target_archE906ELNS1_3gpuE6ELNS1_3repE0EEENS1_30default_config_static_selectorELNS0_4arch9wavefront6targetE0EEEvS13_,"axG",@progbits,_ZN7rocprim17ROCPRIM_400000_NS6detail17trampoline_kernelINS0_13select_configILj256ELj13ELNS0_17block_load_methodE3ELS4_3ELS4_3ELNS0_20block_scan_algorithmE0ELj4294967295EEENS1_25partition_config_selectorILNS1_17partition_subalgoE4EjNS0_10empty_typeEbEEZZNS1_14partition_implILS8_4ELb0ES6_15HIP_vector_typeIjLj2EENS0_17counting_iteratorIjlEEPS9_SG_NS0_5tupleIJPjSI_NS0_16reverse_iteratorISI_EEEEENSH_IJSG_SG_SG_EEES9_SI_JZNS1_25segmented_radix_sort_implINS0_14default_configELb1EPK6__halfPSP_PKlPlN2at6native12_GLOBAL__N_18offset_tEEE10hipError_tPvRmT1_PNSt15iterator_traitsIS13_E10value_typeET2_T3_PNS14_IS19_E10value_typeET4_jRbjT5_S1F_jjP12ihipStream_tbEUljE_ZNSN_ISO_Lb1ESR_SS_SU_SV_SZ_EES10_S11_S12_S13_S17_S18_S19_S1C_S1D_jS1E_jS1F_S1F_jjS1H_bEUljE0_EEES10_S11_S12_S19_S1D_S1F_T6_T7_T9_mT8_S1H_bDpT10_ENKUlT_T0_E_clISt17integral_constantIbLb1EES1V_EEDaS1Q_S1R_EUlS1Q_E_NS1_11comp_targetILNS1_3genE2ELNS1_11target_archE906ELNS1_3gpuE6ELNS1_3repE0EEENS1_30default_config_static_selectorELNS0_4arch9wavefront6targetE0EEEvS13_,comdat
	.globl	_ZN7rocprim17ROCPRIM_400000_NS6detail17trampoline_kernelINS0_13select_configILj256ELj13ELNS0_17block_load_methodE3ELS4_3ELS4_3ELNS0_20block_scan_algorithmE0ELj4294967295EEENS1_25partition_config_selectorILNS1_17partition_subalgoE4EjNS0_10empty_typeEbEEZZNS1_14partition_implILS8_4ELb0ES6_15HIP_vector_typeIjLj2EENS0_17counting_iteratorIjlEEPS9_SG_NS0_5tupleIJPjSI_NS0_16reverse_iteratorISI_EEEEENSH_IJSG_SG_SG_EEES9_SI_JZNS1_25segmented_radix_sort_implINS0_14default_configELb1EPK6__halfPSP_PKlPlN2at6native12_GLOBAL__N_18offset_tEEE10hipError_tPvRmT1_PNSt15iterator_traitsIS13_E10value_typeET2_T3_PNS14_IS19_E10value_typeET4_jRbjT5_S1F_jjP12ihipStream_tbEUljE_ZNSN_ISO_Lb1ESR_SS_SU_SV_SZ_EES10_S11_S12_S13_S17_S18_S19_S1C_S1D_jS1E_jS1F_S1F_jjS1H_bEUljE0_EEES10_S11_S12_S19_S1D_S1F_T6_T7_T9_mT8_S1H_bDpT10_ENKUlT_T0_E_clISt17integral_constantIbLb1EES1V_EEDaS1Q_S1R_EUlS1Q_E_NS1_11comp_targetILNS1_3genE2ELNS1_11target_archE906ELNS1_3gpuE6ELNS1_3repE0EEENS1_30default_config_static_selectorELNS0_4arch9wavefront6targetE0EEEvS13_ ; -- Begin function _ZN7rocprim17ROCPRIM_400000_NS6detail17trampoline_kernelINS0_13select_configILj256ELj13ELNS0_17block_load_methodE3ELS4_3ELS4_3ELNS0_20block_scan_algorithmE0ELj4294967295EEENS1_25partition_config_selectorILNS1_17partition_subalgoE4EjNS0_10empty_typeEbEEZZNS1_14partition_implILS8_4ELb0ES6_15HIP_vector_typeIjLj2EENS0_17counting_iteratorIjlEEPS9_SG_NS0_5tupleIJPjSI_NS0_16reverse_iteratorISI_EEEEENSH_IJSG_SG_SG_EEES9_SI_JZNS1_25segmented_radix_sort_implINS0_14default_configELb1EPK6__halfPSP_PKlPlN2at6native12_GLOBAL__N_18offset_tEEE10hipError_tPvRmT1_PNSt15iterator_traitsIS13_E10value_typeET2_T3_PNS14_IS19_E10value_typeET4_jRbjT5_S1F_jjP12ihipStream_tbEUljE_ZNSN_ISO_Lb1ESR_SS_SU_SV_SZ_EES10_S11_S12_S13_S17_S18_S19_S1C_S1D_jS1E_jS1F_S1F_jjS1H_bEUljE0_EEES10_S11_S12_S19_S1D_S1F_T6_T7_T9_mT8_S1H_bDpT10_ENKUlT_T0_E_clISt17integral_constantIbLb1EES1V_EEDaS1Q_S1R_EUlS1Q_E_NS1_11comp_targetILNS1_3genE2ELNS1_11target_archE906ELNS1_3gpuE6ELNS1_3repE0EEENS1_30default_config_static_selectorELNS0_4arch9wavefront6targetE0EEEvS13_
	.p2align	8
	.type	_ZN7rocprim17ROCPRIM_400000_NS6detail17trampoline_kernelINS0_13select_configILj256ELj13ELNS0_17block_load_methodE3ELS4_3ELS4_3ELNS0_20block_scan_algorithmE0ELj4294967295EEENS1_25partition_config_selectorILNS1_17partition_subalgoE4EjNS0_10empty_typeEbEEZZNS1_14partition_implILS8_4ELb0ES6_15HIP_vector_typeIjLj2EENS0_17counting_iteratorIjlEEPS9_SG_NS0_5tupleIJPjSI_NS0_16reverse_iteratorISI_EEEEENSH_IJSG_SG_SG_EEES9_SI_JZNS1_25segmented_radix_sort_implINS0_14default_configELb1EPK6__halfPSP_PKlPlN2at6native12_GLOBAL__N_18offset_tEEE10hipError_tPvRmT1_PNSt15iterator_traitsIS13_E10value_typeET2_T3_PNS14_IS19_E10value_typeET4_jRbjT5_S1F_jjP12ihipStream_tbEUljE_ZNSN_ISO_Lb1ESR_SS_SU_SV_SZ_EES10_S11_S12_S13_S17_S18_S19_S1C_S1D_jS1E_jS1F_S1F_jjS1H_bEUljE0_EEES10_S11_S12_S19_S1D_S1F_T6_T7_T9_mT8_S1H_bDpT10_ENKUlT_T0_E_clISt17integral_constantIbLb1EES1V_EEDaS1Q_S1R_EUlS1Q_E_NS1_11comp_targetILNS1_3genE2ELNS1_11target_archE906ELNS1_3gpuE6ELNS1_3repE0EEENS1_30default_config_static_selectorELNS0_4arch9wavefront6targetE0EEEvS13_,@function
_ZN7rocprim17ROCPRIM_400000_NS6detail17trampoline_kernelINS0_13select_configILj256ELj13ELNS0_17block_load_methodE3ELS4_3ELS4_3ELNS0_20block_scan_algorithmE0ELj4294967295EEENS1_25partition_config_selectorILNS1_17partition_subalgoE4EjNS0_10empty_typeEbEEZZNS1_14partition_implILS8_4ELb0ES6_15HIP_vector_typeIjLj2EENS0_17counting_iteratorIjlEEPS9_SG_NS0_5tupleIJPjSI_NS0_16reverse_iteratorISI_EEEEENSH_IJSG_SG_SG_EEES9_SI_JZNS1_25segmented_radix_sort_implINS0_14default_configELb1EPK6__halfPSP_PKlPlN2at6native12_GLOBAL__N_18offset_tEEE10hipError_tPvRmT1_PNSt15iterator_traitsIS13_E10value_typeET2_T3_PNS14_IS19_E10value_typeET4_jRbjT5_S1F_jjP12ihipStream_tbEUljE_ZNSN_ISO_Lb1ESR_SS_SU_SV_SZ_EES10_S11_S12_S13_S17_S18_S19_S1C_S1D_jS1E_jS1F_S1F_jjS1H_bEUljE0_EEES10_S11_S12_S19_S1D_S1F_T6_T7_T9_mT8_S1H_bDpT10_ENKUlT_T0_E_clISt17integral_constantIbLb1EES1V_EEDaS1Q_S1R_EUlS1Q_E_NS1_11comp_targetILNS1_3genE2ELNS1_11target_archE906ELNS1_3gpuE6ELNS1_3repE0EEENS1_30default_config_static_selectorELNS0_4arch9wavefront6targetE0EEEvS13_: ; @_ZN7rocprim17ROCPRIM_400000_NS6detail17trampoline_kernelINS0_13select_configILj256ELj13ELNS0_17block_load_methodE3ELS4_3ELS4_3ELNS0_20block_scan_algorithmE0ELj4294967295EEENS1_25partition_config_selectorILNS1_17partition_subalgoE4EjNS0_10empty_typeEbEEZZNS1_14partition_implILS8_4ELb0ES6_15HIP_vector_typeIjLj2EENS0_17counting_iteratorIjlEEPS9_SG_NS0_5tupleIJPjSI_NS0_16reverse_iteratorISI_EEEEENSH_IJSG_SG_SG_EEES9_SI_JZNS1_25segmented_radix_sort_implINS0_14default_configELb1EPK6__halfPSP_PKlPlN2at6native12_GLOBAL__N_18offset_tEEE10hipError_tPvRmT1_PNSt15iterator_traitsIS13_E10value_typeET2_T3_PNS14_IS19_E10value_typeET4_jRbjT5_S1F_jjP12ihipStream_tbEUljE_ZNSN_ISO_Lb1ESR_SS_SU_SV_SZ_EES10_S11_S12_S13_S17_S18_S19_S1C_S1D_jS1E_jS1F_S1F_jjS1H_bEUljE0_EEES10_S11_S12_S19_S1D_S1F_T6_T7_T9_mT8_S1H_bDpT10_ENKUlT_T0_E_clISt17integral_constantIbLb1EES1V_EEDaS1Q_S1R_EUlS1Q_E_NS1_11comp_targetILNS1_3genE2ELNS1_11target_archE906ELNS1_3gpuE6ELNS1_3repE0EEENS1_30default_config_static_selectorELNS0_4arch9wavefront6targetE0EEEvS13_
; %bb.0:
	.section	.rodata,"a",@progbits
	.p2align	6, 0x0
	.amdhsa_kernel _ZN7rocprim17ROCPRIM_400000_NS6detail17trampoline_kernelINS0_13select_configILj256ELj13ELNS0_17block_load_methodE3ELS4_3ELS4_3ELNS0_20block_scan_algorithmE0ELj4294967295EEENS1_25partition_config_selectorILNS1_17partition_subalgoE4EjNS0_10empty_typeEbEEZZNS1_14partition_implILS8_4ELb0ES6_15HIP_vector_typeIjLj2EENS0_17counting_iteratorIjlEEPS9_SG_NS0_5tupleIJPjSI_NS0_16reverse_iteratorISI_EEEEENSH_IJSG_SG_SG_EEES9_SI_JZNS1_25segmented_radix_sort_implINS0_14default_configELb1EPK6__halfPSP_PKlPlN2at6native12_GLOBAL__N_18offset_tEEE10hipError_tPvRmT1_PNSt15iterator_traitsIS13_E10value_typeET2_T3_PNS14_IS19_E10value_typeET4_jRbjT5_S1F_jjP12ihipStream_tbEUljE_ZNSN_ISO_Lb1ESR_SS_SU_SV_SZ_EES10_S11_S12_S13_S17_S18_S19_S1C_S1D_jS1E_jS1F_S1F_jjS1H_bEUljE0_EEES10_S11_S12_S19_S1D_S1F_T6_T7_T9_mT8_S1H_bDpT10_ENKUlT_T0_E_clISt17integral_constantIbLb1EES1V_EEDaS1Q_S1R_EUlS1Q_E_NS1_11comp_targetILNS1_3genE2ELNS1_11target_archE906ELNS1_3gpuE6ELNS1_3repE0EEENS1_30default_config_static_selectorELNS0_4arch9wavefront6targetE0EEEvS13_
		.amdhsa_group_segment_fixed_size 0
		.amdhsa_private_segment_fixed_size 0
		.amdhsa_kernarg_size 184
		.amdhsa_user_sgpr_count 15
		.amdhsa_user_sgpr_dispatch_ptr 0
		.amdhsa_user_sgpr_queue_ptr 0
		.amdhsa_user_sgpr_kernarg_segment_ptr 1
		.amdhsa_user_sgpr_dispatch_id 0
		.amdhsa_user_sgpr_private_segment_size 0
		.amdhsa_wavefront_size32 1
		.amdhsa_uses_dynamic_stack 0
		.amdhsa_enable_private_segment 0
		.amdhsa_system_sgpr_workgroup_id_x 1
		.amdhsa_system_sgpr_workgroup_id_y 0
		.amdhsa_system_sgpr_workgroup_id_z 0
		.amdhsa_system_sgpr_workgroup_info 0
		.amdhsa_system_vgpr_workitem_id 0
		.amdhsa_next_free_vgpr 1
		.amdhsa_next_free_sgpr 1
		.amdhsa_reserve_vcc 0
		.amdhsa_float_round_mode_32 0
		.amdhsa_float_round_mode_16_64 0
		.amdhsa_float_denorm_mode_32 3
		.amdhsa_float_denorm_mode_16_64 3
		.amdhsa_dx10_clamp 1
		.amdhsa_ieee_mode 1
		.amdhsa_fp16_overflow 0
		.amdhsa_workgroup_processor_mode 1
		.amdhsa_memory_ordered 1
		.amdhsa_forward_progress 0
		.amdhsa_shared_vgpr_count 0
		.amdhsa_exception_fp_ieee_invalid_op 0
		.amdhsa_exception_fp_denorm_src 0
		.amdhsa_exception_fp_ieee_div_zero 0
		.amdhsa_exception_fp_ieee_overflow 0
		.amdhsa_exception_fp_ieee_underflow 0
		.amdhsa_exception_fp_ieee_inexact 0
		.amdhsa_exception_int_div_zero 0
	.end_amdhsa_kernel
	.section	.text._ZN7rocprim17ROCPRIM_400000_NS6detail17trampoline_kernelINS0_13select_configILj256ELj13ELNS0_17block_load_methodE3ELS4_3ELS4_3ELNS0_20block_scan_algorithmE0ELj4294967295EEENS1_25partition_config_selectorILNS1_17partition_subalgoE4EjNS0_10empty_typeEbEEZZNS1_14partition_implILS8_4ELb0ES6_15HIP_vector_typeIjLj2EENS0_17counting_iteratorIjlEEPS9_SG_NS0_5tupleIJPjSI_NS0_16reverse_iteratorISI_EEEEENSH_IJSG_SG_SG_EEES9_SI_JZNS1_25segmented_radix_sort_implINS0_14default_configELb1EPK6__halfPSP_PKlPlN2at6native12_GLOBAL__N_18offset_tEEE10hipError_tPvRmT1_PNSt15iterator_traitsIS13_E10value_typeET2_T3_PNS14_IS19_E10value_typeET4_jRbjT5_S1F_jjP12ihipStream_tbEUljE_ZNSN_ISO_Lb1ESR_SS_SU_SV_SZ_EES10_S11_S12_S13_S17_S18_S19_S1C_S1D_jS1E_jS1F_S1F_jjS1H_bEUljE0_EEES10_S11_S12_S19_S1D_S1F_T6_T7_T9_mT8_S1H_bDpT10_ENKUlT_T0_E_clISt17integral_constantIbLb1EES1V_EEDaS1Q_S1R_EUlS1Q_E_NS1_11comp_targetILNS1_3genE2ELNS1_11target_archE906ELNS1_3gpuE6ELNS1_3repE0EEENS1_30default_config_static_selectorELNS0_4arch9wavefront6targetE0EEEvS13_,"axG",@progbits,_ZN7rocprim17ROCPRIM_400000_NS6detail17trampoline_kernelINS0_13select_configILj256ELj13ELNS0_17block_load_methodE3ELS4_3ELS4_3ELNS0_20block_scan_algorithmE0ELj4294967295EEENS1_25partition_config_selectorILNS1_17partition_subalgoE4EjNS0_10empty_typeEbEEZZNS1_14partition_implILS8_4ELb0ES6_15HIP_vector_typeIjLj2EENS0_17counting_iteratorIjlEEPS9_SG_NS0_5tupleIJPjSI_NS0_16reverse_iteratorISI_EEEEENSH_IJSG_SG_SG_EEES9_SI_JZNS1_25segmented_radix_sort_implINS0_14default_configELb1EPK6__halfPSP_PKlPlN2at6native12_GLOBAL__N_18offset_tEEE10hipError_tPvRmT1_PNSt15iterator_traitsIS13_E10value_typeET2_T3_PNS14_IS19_E10value_typeET4_jRbjT5_S1F_jjP12ihipStream_tbEUljE_ZNSN_ISO_Lb1ESR_SS_SU_SV_SZ_EES10_S11_S12_S13_S17_S18_S19_S1C_S1D_jS1E_jS1F_S1F_jjS1H_bEUljE0_EEES10_S11_S12_S19_S1D_S1F_T6_T7_T9_mT8_S1H_bDpT10_ENKUlT_T0_E_clISt17integral_constantIbLb1EES1V_EEDaS1Q_S1R_EUlS1Q_E_NS1_11comp_targetILNS1_3genE2ELNS1_11target_archE906ELNS1_3gpuE6ELNS1_3repE0EEENS1_30default_config_static_selectorELNS0_4arch9wavefront6targetE0EEEvS13_,comdat
.Lfunc_end1687:
	.size	_ZN7rocprim17ROCPRIM_400000_NS6detail17trampoline_kernelINS0_13select_configILj256ELj13ELNS0_17block_load_methodE3ELS4_3ELS4_3ELNS0_20block_scan_algorithmE0ELj4294967295EEENS1_25partition_config_selectorILNS1_17partition_subalgoE4EjNS0_10empty_typeEbEEZZNS1_14partition_implILS8_4ELb0ES6_15HIP_vector_typeIjLj2EENS0_17counting_iteratorIjlEEPS9_SG_NS0_5tupleIJPjSI_NS0_16reverse_iteratorISI_EEEEENSH_IJSG_SG_SG_EEES9_SI_JZNS1_25segmented_radix_sort_implINS0_14default_configELb1EPK6__halfPSP_PKlPlN2at6native12_GLOBAL__N_18offset_tEEE10hipError_tPvRmT1_PNSt15iterator_traitsIS13_E10value_typeET2_T3_PNS14_IS19_E10value_typeET4_jRbjT5_S1F_jjP12ihipStream_tbEUljE_ZNSN_ISO_Lb1ESR_SS_SU_SV_SZ_EES10_S11_S12_S13_S17_S18_S19_S1C_S1D_jS1E_jS1F_S1F_jjS1H_bEUljE0_EEES10_S11_S12_S19_S1D_S1F_T6_T7_T9_mT8_S1H_bDpT10_ENKUlT_T0_E_clISt17integral_constantIbLb1EES1V_EEDaS1Q_S1R_EUlS1Q_E_NS1_11comp_targetILNS1_3genE2ELNS1_11target_archE906ELNS1_3gpuE6ELNS1_3repE0EEENS1_30default_config_static_selectorELNS0_4arch9wavefront6targetE0EEEvS13_, .Lfunc_end1687-_ZN7rocprim17ROCPRIM_400000_NS6detail17trampoline_kernelINS0_13select_configILj256ELj13ELNS0_17block_load_methodE3ELS4_3ELS4_3ELNS0_20block_scan_algorithmE0ELj4294967295EEENS1_25partition_config_selectorILNS1_17partition_subalgoE4EjNS0_10empty_typeEbEEZZNS1_14partition_implILS8_4ELb0ES6_15HIP_vector_typeIjLj2EENS0_17counting_iteratorIjlEEPS9_SG_NS0_5tupleIJPjSI_NS0_16reverse_iteratorISI_EEEEENSH_IJSG_SG_SG_EEES9_SI_JZNS1_25segmented_radix_sort_implINS0_14default_configELb1EPK6__halfPSP_PKlPlN2at6native12_GLOBAL__N_18offset_tEEE10hipError_tPvRmT1_PNSt15iterator_traitsIS13_E10value_typeET2_T3_PNS14_IS19_E10value_typeET4_jRbjT5_S1F_jjP12ihipStream_tbEUljE_ZNSN_ISO_Lb1ESR_SS_SU_SV_SZ_EES10_S11_S12_S13_S17_S18_S19_S1C_S1D_jS1E_jS1F_S1F_jjS1H_bEUljE0_EEES10_S11_S12_S19_S1D_S1F_T6_T7_T9_mT8_S1H_bDpT10_ENKUlT_T0_E_clISt17integral_constantIbLb1EES1V_EEDaS1Q_S1R_EUlS1Q_E_NS1_11comp_targetILNS1_3genE2ELNS1_11target_archE906ELNS1_3gpuE6ELNS1_3repE0EEENS1_30default_config_static_selectorELNS0_4arch9wavefront6targetE0EEEvS13_
                                        ; -- End function
	.section	.AMDGPU.csdata,"",@progbits
; Kernel info:
; codeLenInByte = 0
; NumSgprs: 0
; NumVgprs: 0
; ScratchSize: 0
; MemoryBound: 0
; FloatMode: 240
; IeeeMode: 1
; LDSByteSize: 0 bytes/workgroup (compile time only)
; SGPRBlocks: 0
; VGPRBlocks: 0
; NumSGPRsForWavesPerEU: 1
; NumVGPRsForWavesPerEU: 1
; Occupancy: 16
; WaveLimiterHint : 0
; COMPUTE_PGM_RSRC2:SCRATCH_EN: 0
; COMPUTE_PGM_RSRC2:USER_SGPR: 15
; COMPUTE_PGM_RSRC2:TRAP_HANDLER: 0
; COMPUTE_PGM_RSRC2:TGID_X_EN: 1
; COMPUTE_PGM_RSRC2:TGID_Y_EN: 0
; COMPUTE_PGM_RSRC2:TGID_Z_EN: 0
; COMPUTE_PGM_RSRC2:TIDIG_COMP_CNT: 0
	.section	.text._ZN7rocprim17ROCPRIM_400000_NS6detail17trampoline_kernelINS0_13select_configILj256ELj13ELNS0_17block_load_methodE3ELS4_3ELS4_3ELNS0_20block_scan_algorithmE0ELj4294967295EEENS1_25partition_config_selectorILNS1_17partition_subalgoE4EjNS0_10empty_typeEbEEZZNS1_14partition_implILS8_4ELb0ES6_15HIP_vector_typeIjLj2EENS0_17counting_iteratorIjlEEPS9_SG_NS0_5tupleIJPjSI_NS0_16reverse_iteratorISI_EEEEENSH_IJSG_SG_SG_EEES9_SI_JZNS1_25segmented_radix_sort_implINS0_14default_configELb1EPK6__halfPSP_PKlPlN2at6native12_GLOBAL__N_18offset_tEEE10hipError_tPvRmT1_PNSt15iterator_traitsIS13_E10value_typeET2_T3_PNS14_IS19_E10value_typeET4_jRbjT5_S1F_jjP12ihipStream_tbEUljE_ZNSN_ISO_Lb1ESR_SS_SU_SV_SZ_EES10_S11_S12_S13_S17_S18_S19_S1C_S1D_jS1E_jS1F_S1F_jjS1H_bEUljE0_EEES10_S11_S12_S19_S1D_S1F_T6_T7_T9_mT8_S1H_bDpT10_ENKUlT_T0_E_clISt17integral_constantIbLb1EES1V_EEDaS1Q_S1R_EUlS1Q_E_NS1_11comp_targetILNS1_3genE10ELNS1_11target_archE1200ELNS1_3gpuE4ELNS1_3repE0EEENS1_30default_config_static_selectorELNS0_4arch9wavefront6targetE0EEEvS13_,"axG",@progbits,_ZN7rocprim17ROCPRIM_400000_NS6detail17trampoline_kernelINS0_13select_configILj256ELj13ELNS0_17block_load_methodE3ELS4_3ELS4_3ELNS0_20block_scan_algorithmE0ELj4294967295EEENS1_25partition_config_selectorILNS1_17partition_subalgoE4EjNS0_10empty_typeEbEEZZNS1_14partition_implILS8_4ELb0ES6_15HIP_vector_typeIjLj2EENS0_17counting_iteratorIjlEEPS9_SG_NS0_5tupleIJPjSI_NS0_16reverse_iteratorISI_EEEEENSH_IJSG_SG_SG_EEES9_SI_JZNS1_25segmented_radix_sort_implINS0_14default_configELb1EPK6__halfPSP_PKlPlN2at6native12_GLOBAL__N_18offset_tEEE10hipError_tPvRmT1_PNSt15iterator_traitsIS13_E10value_typeET2_T3_PNS14_IS19_E10value_typeET4_jRbjT5_S1F_jjP12ihipStream_tbEUljE_ZNSN_ISO_Lb1ESR_SS_SU_SV_SZ_EES10_S11_S12_S13_S17_S18_S19_S1C_S1D_jS1E_jS1F_S1F_jjS1H_bEUljE0_EEES10_S11_S12_S19_S1D_S1F_T6_T7_T9_mT8_S1H_bDpT10_ENKUlT_T0_E_clISt17integral_constantIbLb1EES1V_EEDaS1Q_S1R_EUlS1Q_E_NS1_11comp_targetILNS1_3genE10ELNS1_11target_archE1200ELNS1_3gpuE4ELNS1_3repE0EEENS1_30default_config_static_selectorELNS0_4arch9wavefront6targetE0EEEvS13_,comdat
	.globl	_ZN7rocprim17ROCPRIM_400000_NS6detail17trampoline_kernelINS0_13select_configILj256ELj13ELNS0_17block_load_methodE3ELS4_3ELS4_3ELNS0_20block_scan_algorithmE0ELj4294967295EEENS1_25partition_config_selectorILNS1_17partition_subalgoE4EjNS0_10empty_typeEbEEZZNS1_14partition_implILS8_4ELb0ES6_15HIP_vector_typeIjLj2EENS0_17counting_iteratorIjlEEPS9_SG_NS0_5tupleIJPjSI_NS0_16reverse_iteratorISI_EEEEENSH_IJSG_SG_SG_EEES9_SI_JZNS1_25segmented_radix_sort_implINS0_14default_configELb1EPK6__halfPSP_PKlPlN2at6native12_GLOBAL__N_18offset_tEEE10hipError_tPvRmT1_PNSt15iterator_traitsIS13_E10value_typeET2_T3_PNS14_IS19_E10value_typeET4_jRbjT5_S1F_jjP12ihipStream_tbEUljE_ZNSN_ISO_Lb1ESR_SS_SU_SV_SZ_EES10_S11_S12_S13_S17_S18_S19_S1C_S1D_jS1E_jS1F_S1F_jjS1H_bEUljE0_EEES10_S11_S12_S19_S1D_S1F_T6_T7_T9_mT8_S1H_bDpT10_ENKUlT_T0_E_clISt17integral_constantIbLb1EES1V_EEDaS1Q_S1R_EUlS1Q_E_NS1_11comp_targetILNS1_3genE10ELNS1_11target_archE1200ELNS1_3gpuE4ELNS1_3repE0EEENS1_30default_config_static_selectorELNS0_4arch9wavefront6targetE0EEEvS13_ ; -- Begin function _ZN7rocprim17ROCPRIM_400000_NS6detail17trampoline_kernelINS0_13select_configILj256ELj13ELNS0_17block_load_methodE3ELS4_3ELS4_3ELNS0_20block_scan_algorithmE0ELj4294967295EEENS1_25partition_config_selectorILNS1_17partition_subalgoE4EjNS0_10empty_typeEbEEZZNS1_14partition_implILS8_4ELb0ES6_15HIP_vector_typeIjLj2EENS0_17counting_iteratorIjlEEPS9_SG_NS0_5tupleIJPjSI_NS0_16reverse_iteratorISI_EEEEENSH_IJSG_SG_SG_EEES9_SI_JZNS1_25segmented_radix_sort_implINS0_14default_configELb1EPK6__halfPSP_PKlPlN2at6native12_GLOBAL__N_18offset_tEEE10hipError_tPvRmT1_PNSt15iterator_traitsIS13_E10value_typeET2_T3_PNS14_IS19_E10value_typeET4_jRbjT5_S1F_jjP12ihipStream_tbEUljE_ZNSN_ISO_Lb1ESR_SS_SU_SV_SZ_EES10_S11_S12_S13_S17_S18_S19_S1C_S1D_jS1E_jS1F_S1F_jjS1H_bEUljE0_EEES10_S11_S12_S19_S1D_S1F_T6_T7_T9_mT8_S1H_bDpT10_ENKUlT_T0_E_clISt17integral_constantIbLb1EES1V_EEDaS1Q_S1R_EUlS1Q_E_NS1_11comp_targetILNS1_3genE10ELNS1_11target_archE1200ELNS1_3gpuE4ELNS1_3repE0EEENS1_30default_config_static_selectorELNS0_4arch9wavefront6targetE0EEEvS13_
	.p2align	8
	.type	_ZN7rocprim17ROCPRIM_400000_NS6detail17trampoline_kernelINS0_13select_configILj256ELj13ELNS0_17block_load_methodE3ELS4_3ELS4_3ELNS0_20block_scan_algorithmE0ELj4294967295EEENS1_25partition_config_selectorILNS1_17partition_subalgoE4EjNS0_10empty_typeEbEEZZNS1_14partition_implILS8_4ELb0ES6_15HIP_vector_typeIjLj2EENS0_17counting_iteratorIjlEEPS9_SG_NS0_5tupleIJPjSI_NS0_16reverse_iteratorISI_EEEEENSH_IJSG_SG_SG_EEES9_SI_JZNS1_25segmented_radix_sort_implINS0_14default_configELb1EPK6__halfPSP_PKlPlN2at6native12_GLOBAL__N_18offset_tEEE10hipError_tPvRmT1_PNSt15iterator_traitsIS13_E10value_typeET2_T3_PNS14_IS19_E10value_typeET4_jRbjT5_S1F_jjP12ihipStream_tbEUljE_ZNSN_ISO_Lb1ESR_SS_SU_SV_SZ_EES10_S11_S12_S13_S17_S18_S19_S1C_S1D_jS1E_jS1F_S1F_jjS1H_bEUljE0_EEES10_S11_S12_S19_S1D_S1F_T6_T7_T9_mT8_S1H_bDpT10_ENKUlT_T0_E_clISt17integral_constantIbLb1EES1V_EEDaS1Q_S1R_EUlS1Q_E_NS1_11comp_targetILNS1_3genE10ELNS1_11target_archE1200ELNS1_3gpuE4ELNS1_3repE0EEENS1_30default_config_static_selectorELNS0_4arch9wavefront6targetE0EEEvS13_,@function
_ZN7rocprim17ROCPRIM_400000_NS6detail17trampoline_kernelINS0_13select_configILj256ELj13ELNS0_17block_load_methodE3ELS4_3ELS4_3ELNS0_20block_scan_algorithmE0ELj4294967295EEENS1_25partition_config_selectorILNS1_17partition_subalgoE4EjNS0_10empty_typeEbEEZZNS1_14partition_implILS8_4ELb0ES6_15HIP_vector_typeIjLj2EENS0_17counting_iteratorIjlEEPS9_SG_NS0_5tupleIJPjSI_NS0_16reverse_iteratorISI_EEEEENSH_IJSG_SG_SG_EEES9_SI_JZNS1_25segmented_radix_sort_implINS0_14default_configELb1EPK6__halfPSP_PKlPlN2at6native12_GLOBAL__N_18offset_tEEE10hipError_tPvRmT1_PNSt15iterator_traitsIS13_E10value_typeET2_T3_PNS14_IS19_E10value_typeET4_jRbjT5_S1F_jjP12ihipStream_tbEUljE_ZNSN_ISO_Lb1ESR_SS_SU_SV_SZ_EES10_S11_S12_S13_S17_S18_S19_S1C_S1D_jS1E_jS1F_S1F_jjS1H_bEUljE0_EEES10_S11_S12_S19_S1D_S1F_T6_T7_T9_mT8_S1H_bDpT10_ENKUlT_T0_E_clISt17integral_constantIbLb1EES1V_EEDaS1Q_S1R_EUlS1Q_E_NS1_11comp_targetILNS1_3genE10ELNS1_11target_archE1200ELNS1_3gpuE4ELNS1_3repE0EEENS1_30default_config_static_selectorELNS0_4arch9wavefront6targetE0EEEvS13_: ; @_ZN7rocprim17ROCPRIM_400000_NS6detail17trampoline_kernelINS0_13select_configILj256ELj13ELNS0_17block_load_methodE3ELS4_3ELS4_3ELNS0_20block_scan_algorithmE0ELj4294967295EEENS1_25partition_config_selectorILNS1_17partition_subalgoE4EjNS0_10empty_typeEbEEZZNS1_14partition_implILS8_4ELb0ES6_15HIP_vector_typeIjLj2EENS0_17counting_iteratorIjlEEPS9_SG_NS0_5tupleIJPjSI_NS0_16reverse_iteratorISI_EEEEENSH_IJSG_SG_SG_EEES9_SI_JZNS1_25segmented_radix_sort_implINS0_14default_configELb1EPK6__halfPSP_PKlPlN2at6native12_GLOBAL__N_18offset_tEEE10hipError_tPvRmT1_PNSt15iterator_traitsIS13_E10value_typeET2_T3_PNS14_IS19_E10value_typeET4_jRbjT5_S1F_jjP12ihipStream_tbEUljE_ZNSN_ISO_Lb1ESR_SS_SU_SV_SZ_EES10_S11_S12_S13_S17_S18_S19_S1C_S1D_jS1E_jS1F_S1F_jjS1H_bEUljE0_EEES10_S11_S12_S19_S1D_S1F_T6_T7_T9_mT8_S1H_bDpT10_ENKUlT_T0_E_clISt17integral_constantIbLb1EES1V_EEDaS1Q_S1R_EUlS1Q_E_NS1_11comp_targetILNS1_3genE10ELNS1_11target_archE1200ELNS1_3gpuE4ELNS1_3repE0EEENS1_30default_config_static_selectorELNS0_4arch9wavefront6targetE0EEEvS13_
; %bb.0:
	.section	.rodata,"a",@progbits
	.p2align	6, 0x0
	.amdhsa_kernel _ZN7rocprim17ROCPRIM_400000_NS6detail17trampoline_kernelINS0_13select_configILj256ELj13ELNS0_17block_load_methodE3ELS4_3ELS4_3ELNS0_20block_scan_algorithmE0ELj4294967295EEENS1_25partition_config_selectorILNS1_17partition_subalgoE4EjNS0_10empty_typeEbEEZZNS1_14partition_implILS8_4ELb0ES6_15HIP_vector_typeIjLj2EENS0_17counting_iteratorIjlEEPS9_SG_NS0_5tupleIJPjSI_NS0_16reverse_iteratorISI_EEEEENSH_IJSG_SG_SG_EEES9_SI_JZNS1_25segmented_radix_sort_implINS0_14default_configELb1EPK6__halfPSP_PKlPlN2at6native12_GLOBAL__N_18offset_tEEE10hipError_tPvRmT1_PNSt15iterator_traitsIS13_E10value_typeET2_T3_PNS14_IS19_E10value_typeET4_jRbjT5_S1F_jjP12ihipStream_tbEUljE_ZNSN_ISO_Lb1ESR_SS_SU_SV_SZ_EES10_S11_S12_S13_S17_S18_S19_S1C_S1D_jS1E_jS1F_S1F_jjS1H_bEUljE0_EEES10_S11_S12_S19_S1D_S1F_T6_T7_T9_mT8_S1H_bDpT10_ENKUlT_T0_E_clISt17integral_constantIbLb1EES1V_EEDaS1Q_S1R_EUlS1Q_E_NS1_11comp_targetILNS1_3genE10ELNS1_11target_archE1200ELNS1_3gpuE4ELNS1_3repE0EEENS1_30default_config_static_selectorELNS0_4arch9wavefront6targetE0EEEvS13_
		.amdhsa_group_segment_fixed_size 0
		.amdhsa_private_segment_fixed_size 0
		.amdhsa_kernarg_size 184
		.amdhsa_user_sgpr_count 15
		.amdhsa_user_sgpr_dispatch_ptr 0
		.amdhsa_user_sgpr_queue_ptr 0
		.amdhsa_user_sgpr_kernarg_segment_ptr 1
		.amdhsa_user_sgpr_dispatch_id 0
		.amdhsa_user_sgpr_private_segment_size 0
		.amdhsa_wavefront_size32 1
		.amdhsa_uses_dynamic_stack 0
		.amdhsa_enable_private_segment 0
		.amdhsa_system_sgpr_workgroup_id_x 1
		.amdhsa_system_sgpr_workgroup_id_y 0
		.amdhsa_system_sgpr_workgroup_id_z 0
		.amdhsa_system_sgpr_workgroup_info 0
		.amdhsa_system_vgpr_workitem_id 0
		.amdhsa_next_free_vgpr 1
		.amdhsa_next_free_sgpr 1
		.amdhsa_reserve_vcc 0
		.amdhsa_float_round_mode_32 0
		.amdhsa_float_round_mode_16_64 0
		.amdhsa_float_denorm_mode_32 3
		.amdhsa_float_denorm_mode_16_64 3
		.amdhsa_dx10_clamp 1
		.amdhsa_ieee_mode 1
		.amdhsa_fp16_overflow 0
		.amdhsa_workgroup_processor_mode 1
		.amdhsa_memory_ordered 1
		.amdhsa_forward_progress 0
		.amdhsa_shared_vgpr_count 0
		.amdhsa_exception_fp_ieee_invalid_op 0
		.amdhsa_exception_fp_denorm_src 0
		.amdhsa_exception_fp_ieee_div_zero 0
		.amdhsa_exception_fp_ieee_overflow 0
		.amdhsa_exception_fp_ieee_underflow 0
		.amdhsa_exception_fp_ieee_inexact 0
		.amdhsa_exception_int_div_zero 0
	.end_amdhsa_kernel
	.section	.text._ZN7rocprim17ROCPRIM_400000_NS6detail17trampoline_kernelINS0_13select_configILj256ELj13ELNS0_17block_load_methodE3ELS4_3ELS4_3ELNS0_20block_scan_algorithmE0ELj4294967295EEENS1_25partition_config_selectorILNS1_17partition_subalgoE4EjNS0_10empty_typeEbEEZZNS1_14partition_implILS8_4ELb0ES6_15HIP_vector_typeIjLj2EENS0_17counting_iteratorIjlEEPS9_SG_NS0_5tupleIJPjSI_NS0_16reverse_iteratorISI_EEEEENSH_IJSG_SG_SG_EEES9_SI_JZNS1_25segmented_radix_sort_implINS0_14default_configELb1EPK6__halfPSP_PKlPlN2at6native12_GLOBAL__N_18offset_tEEE10hipError_tPvRmT1_PNSt15iterator_traitsIS13_E10value_typeET2_T3_PNS14_IS19_E10value_typeET4_jRbjT5_S1F_jjP12ihipStream_tbEUljE_ZNSN_ISO_Lb1ESR_SS_SU_SV_SZ_EES10_S11_S12_S13_S17_S18_S19_S1C_S1D_jS1E_jS1F_S1F_jjS1H_bEUljE0_EEES10_S11_S12_S19_S1D_S1F_T6_T7_T9_mT8_S1H_bDpT10_ENKUlT_T0_E_clISt17integral_constantIbLb1EES1V_EEDaS1Q_S1R_EUlS1Q_E_NS1_11comp_targetILNS1_3genE10ELNS1_11target_archE1200ELNS1_3gpuE4ELNS1_3repE0EEENS1_30default_config_static_selectorELNS0_4arch9wavefront6targetE0EEEvS13_,"axG",@progbits,_ZN7rocprim17ROCPRIM_400000_NS6detail17trampoline_kernelINS0_13select_configILj256ELj13ELNS0_17block_load_methodE3ELS4_3ELS4_3ELNS0_20block_scan_algorithmE0ELj4294967295EEENS1_25partition_config_selectorILNS1_17partition_subalgoE4EjNS0_10empty_typeEbEEZZNS1_14partition_implILS8_4ELb0ES6_15HIP_vector_typeIjLj2EENS0_17counting_iteratorIjlEEPS9_SG_NS0_5tupleIJPjSI_NS0_16reverse_iteratorISI_EEEEENSH_IJSG_SG_SG_EEES9_SI_JZNS1_25segmented_radix_sort_implINS0_14default_configELb1EPK6__halfPSP_PKlPlN2at6native12_GLOBAL__N_18offset_tEEE10hipError_tPvRmT1_PNSt15iterator_traitsIS13_E10value_typeET2_T3_PNS14_IS19_E10value_typeET4_jRbjT5_S1F_jjP12ihipStream_tbEUljE_ZNSN_ISO_Lb1ESR_SS_SU_SV_SZ_EES10_S11_S12_S13_S17_S18_S19_S1C_S1D_jS1E_jS1F_S1F_jjS1H_bEUljE0_EEES10_S11_S12_S19_S1D_S1F_T6_T7_T9_mT8_S1H_bDpT10_ENKUlT_T0_E_clISt17integral_constantIbLb1EES1V_EEDaS1Q_S1R_EUlS1Q_E_NS1_11comp_targetILNS1_3genE10ELNS1_11target_archE1200ELNS1_3gpuE4ELNS1_3repE0EEENS1_30default_config_static_selectorELNS0_4arch9wavefront6targetE0EEEvS13_,comdat
.Lfunc_end1688:
	.size	_ZN7rocprim17ROCPRIM_400000_NS6detail17trampoline_kernelINS0_13select_configILj256ELj13ELNS0_17block_load_methodE3ELS4_3ELS4_3ELNS0_20block_scan_algorithmE0ELj4294967295EEENS1_25partition_config_selectorILNS1_17partition_subalgoE4EjNS0_10empty_typeEbEEZZNS1_14partition_implILS8_4ELb0ES6_15HIP_vector_typeIjLj2EENS0_17counting_iteratorIjlEEPS9_SG_NS0_5tupleIJPjSI_NS0_16reverse_iteratorISI_EEEEENSH_IJSG_SG_SG_EEES9_SI_JZNS1_25segmented_radix_sort_implINS0_14default_configELb1EPK6__halfPSP_PKlPlN2at6native12_GLOBAL__N_18offset_tEEE10hipError_tPvRmT1_PNSt15iterator_traitsIS13_E10value_typeET2_T3_PNS14_IS19_E10value_typeET4_jRbjT5_S1F_jjP12ihipStream_tbEUljE_ZNSN_ISO_Lb1ESR_SS_SU_SV_SZ_EES10_S11_S12_S13_S17_S18_S19_S1C_S1D_jS1E_jS1F_S1F_jjS1H_bEUljE0_EEES10_S11_S12_S19_S1D_S1F_T6_T7_T9_mT8_S1H_bDpT10_ENKUlT_T0_E_clISt17integral_constantIbLb1EES1V_EEDaS1Q_S1R_EUlS1Q_E_NS1_11comp_targetILNS1_3genE10ELNS1_11target_archE1200ELNS1_3gpuE4ELNS1_3repE0EEENS1_30default_config_static_selectorELNS0_4arch9wavefront6targetE0EEEvS13_, .Lfunc_end1688-_ZN7rocprim17ROCPRIM_400000_NS6detail17trampoline_kernelINS0_13select_configILj256ELj13ELNS0_17block_load_methodE3ELS4_3ELS4_3ELNS0_20block_scan_algorithmE0ELj4294967295EEENS1_25partition_config_selectorILNS1_17partition_subalgoE4EjNS0_10empty_typeEbEEZZNS1_14partition_implILS8_4ELb0ES6_15HIP_vector_typeIjLj2EENS0_17counting_iteratorIjlEEPS9_SG_NS0_5tupleIJPjSI_NS0_16reverse_iteratorISI_EEEEENSH_IJSG_SG_SG_EEES9_SI_JZNS1_25segmented_radix_sort_implINS0_14default_configELb1EPK6__halfPSP_PKlPlN2at6native12_GLOBAL__N_18offset_tEEE10hipError_tPvRmT1_PNSt15iterator_traitsIS13_E10value_typeET2_T3_PNS14_IS19_E10value_typeET4_jRbjT5_S1F_jjP12ihipStream_tbEUljE_ZNSN_ISO_Lb1ESR_SS_SU_SV_SZ_EES10_S11_S12_S13_S17_S18_S19_S1C_S1D_jS1E_jS1F_S1F_jjS1H_bEUljE0_EEES10_S11_S12_S19_S1D_S1F_T6_T7_T9_mT8_S1H_bDpT10_ENKUlT_T0_E_clISt17integral_constantIbLb1EES1V_EEDaS1Q_S1R_EUlS1Q_E_NS1_11comp_targetILNS1_3genE10ELNS1_11target_archE1200ELNS1_3gpuE4ELNS1_3repE0EEENS1_30default_config_static_selectorELNS0_4arch9wavefront6targetE0EEEvS13_
                                        ; -- End function
	.section	.AMDGPU.csdata,"",@progbits
; Kernel info:
; codeLenInByte = 0
; NumSgprs: 0
; NumVgprs: 0
; ScratchSize: 0
; MemoryBound: 0
; FloatMode: 240
; IeeeMode: 1
; LDSByteSize: 0 bytes/workgroup (compile time only)
; SGPRBlocks: 0
; VGPRBlocks: 0
; NumSGPRsForWavesPerEU: 1
; NumVGPRsForWavesPerEU: 1
; Occupancy: 16
; WaveLimiterHint : 0
; COMPUTE_PGM_RSRC2:SCRATCH_EN: 0
; COMPUTE_PGM_RSRC2:USER_SGPR: 15
; COMPUTE_PGM_RSRC2:TRAP_HANDLER: 0
; COMPUTE_PGM_RSRC2:TGID_X_EN: 1
; COMPUTE_PGM_RSRC2:TGID_Y_EN: 0
; COMPUTE_PGM_RSRC2:TGID_Z_EN: 0
; COMPUTE_PGM_RSRC2:TIDIG_COMP_CNT: 0
	.section	.text._ZN7rocprim17ROCPRIM_400000_NS6detail17trampoline_kernelINS0_13select_configILj256ELj13ELNS0_17block_load_methodE3ELS4_3ELS4_3ELNS0_20block_scan_algorithmE0ELj4294967295EEENS1_25partition_config_selectorILNS1_17partition_subalgoE4EjNS0_10empty_typeEbEEZZNS1_14partition_implILS8_4ELb0ES6_15HIP_vector_typeIjLj2EENS0_17counting_iteratorIjlEEPS9_SG_NS0_5tupleIJPjSI_NS0_16reverse_iteratorISI_EEEEENSH_IJSG_SG_SG_EEES9_SI_JZNS1_25segmented_radix_sort_implINS0_14default_configELb1EPK6__halfPSP_PKlPlN2at6native12_GLOBAL__N_18offset_tEEE10hipError_tPvRmT1_PNSt15iterator_traitsIS13_E10value_typeET2_T3_PNS14_IS19_E10value_typeET4_jRbjT5_S1F_jjP12ihipStream_tbEUljE_ZNSN_ISO_Lb1ESR_SS_SU_SV_SZ_EES10_S11_S12_S13_S17_S18_S19_S1C_S1D_jS1E_jS1F_S1F_jjS1H_bEUljE0_EEES10_S11_S12_S19_S1D_S1F_T6_T7_T9_mT8_S1H_bDpT10_ENKUlT_T0_E_clISt17integral_constantIbLb1EES1V_EEDaS1Q_S1R_EUlS1Q_E_NS1_11comp_targetILNS1_3genE9ELNS1_11target_archE1100ELNS1_3gpuE3ELNS1_3repE0EEENS1_30default_config_static_selectorELNS0_4arch9wavefront6targetE0EEEvS13_,"axG",@progbits,_ZN7rocprim17ROCPRIM_400000_NS6detail17trampoline_kernelINS0_13select_configILj256ELj13ELNS0_17block_load_methodE3ELS4_3ELS4_3ELNS0_20block_scan_algorithmE0ELj4294967295EEENS1_25partition_config_selectorILNS1_17partition_subalgoE4EjNS0_10empty_typeEbEEZZNS1_14partition_implILS8_4ELb0ES6_15HIP_vector_typeIjLj2EENS0_17counting_iteratorIjlEEPS9_SG_NS0_5tupleIJPjSI_NS0_16reverse_iteratorISI_EEEEENSH_IJSG_SG_SG_EEES9_SI_JZNS1_25segmented_radix_sort_implINS0_14default_configELb1EPK6__halfPSP_PKlPlN2at6native12_GLOBAL__N_18offset_tEEE10hipError_tPvRmT1_PNSt15iterator_traitsIS13_E10value_typeET2_T3_PNS14_IS19_E10value_typeET4_jRbjT5_S1F_jjP12ihipStream_tbEUljE_ZNSN_ISO_Lb1ESR_SS_SU_SV_SZ_EES10_S11_S12_S13_S17_S18_S19_S1C_S1D_jS1E_jS1F_S1F_jjS1H_bEUljE0_EEES10_S11_S12_S19_S1D_S1F_T6_T7_T9_mT8_S1H_bDpT10_ENKUlT_T0_E_clISt17integral_constantIbLb1EES1V_EEDaS1Q_S1R_EUlS1Q_E_NS1_11comp_targetILNS1_3genE9ELNS1_11target_archE1100ELNS1_3gpuE3ELNS1_3repE0EEENS1_30default_config_static_selectorELNS0_4arch9wavefront6targetE0EEEvS13_,comdat
	.globl	_ZN7rocprim17ROCPRIM_400000_NS6detail17trampoline_kernelINS0_13select_configILj256ELj13ELNS0_17block_load_methodE3ELS4_3ELS4_3ELNS0_20block_scan_algorithmE0ELj4294967295EEENS1_25partition_config_selectorILNS1_17partition_subalgoE4EjNS0_10empty_typeEbEEZZNS1_14partition_implILS8_4ELb0ES6_15HIP_vector_typeIjLj2EENS0_17counting_iteratorIjlEEPS9_SG_NS0_5tupleIJPjSI_NS0_16reverse_iteratorISI_EEEEENSH_IJSG_SG_SG_EEES9_SI_JZNS1_25segmented_radix_sort_implINS0_14default_configELb1EPK6__halfPSP_PKlPlN2at6native12_GLOBAL__N_18offset_tEEE10hipError_tPvRmT1_PNSt15iterator_traitsIS13_E10value_typeET2_T3_PNS14_IS19_E10value_typeET4_jRbjT5_S1F_jjP12ihipStream_tbEUljE_ZNSN_ISO_Lb1ESR_SS_SU_SV_SZ_EES10_S11_S12_S13_S17_S18_S19_S1C_S1D_jS1E_jS1F_S1F_jjS1H_bEUljE0_EEES10_S11_S12_S19_S1D_S1F_T6_T7_T9_mT8_S1H_bDpT10_ENKUlT_T0_E_clISt17integral_constantIbLb1EES1V_EEDaS1Q_S1R_EUlS1Q_E_NS1_11comp_targetILNS1_3genE9ELNS1_11target_archE1100ELNS1_3gpuE3ELNS1_3repE0EEENS1_30default_config_static_selectorELNS0_4arch9wavefront6targetE0EEEvS13_ ; -- Begin function _ZN7rocprim17ROCPRIM_400000_NS6detail17trampoline_kernelINS0_13select_configILj256ELj13ELNS0_17block_load_methodE3ELS4_3ELS4_3ELNS0_20block_scan_algorithmE0ELj4294967295EEENS1_25partition_config_selectorILNS1_17partition_subalgoE4EjNS0_10empty_typeEbEEZZNS1_14partition_implILS8_4ELb0ES6_15HIP_vector_typeIjLj2EENS0_17counting_iteratorIjlEEPS9_SG_NS0_5tupleIJPjSI_NS0_16reverse_iteratorISI_EEEEENSH_IJSG_SG_SG_EEES9_SI_JZNS1_25segmented_radix_sort_implINS0_14default_configELb1EPK6__halfPSP_PKlPlN2at6native12_GLOBAL__N_18offset_tEEE10hipError_tPvRmT1_PNSt15iterator_traitsIS13_E10value_typeET2_T3_PNS14_IS19_E10value_typeET4_jRbjT5_S1F_jjP12ihipStream_tbEUljE_ZNSN_ISO_Lb1ESR_SS_SU_SV_SZ_EES10_S11_S12_S13_S17_S18_S19_S1C_S1D_jS1E_jS1F_S1F_jjS1H_bEUljE0_EEES10_S11_S12_S19_S1D_S1F_T6_T7_T9_mT8_S1H_bDpT10_ENKUlT_T0_E_clISt17integral_constantIbLb1EES1V_EEDaS1Q_S1R_EUlS1Q_E_NS1_11comp_targetILNS1_3genE9ELNS1_11target_archE1100ELNS1_3gpuE3ELNS1_3repE0EEENS1_30default_config_static_selectorELNS0_4arch9wavefront6targetE0EEEvS13_
	.p2align	8
	.type	_ZN7rocprim17ROCPRIM_400000_NS6detail17trampoline_kernelINS0_13select_configILj256ELj13ELNS0_17block_load_methodE3ELS4_3ELS4_3ELNS0_20block_scan_algorithmE0ELj4294967295EEENS1_25partition_config_selectorILNS1_17partition_subalgoE4EjNS0_10empty_typeEbEEZZNS1_14partition_implILS8_4ELb0ES6_15HIP_vector_typeIjLj2EENS0_17counting_iteratorIjlEEPS9_SG_NS0_5tupleIJPjSI_NS0_16reverse_iteratorISI_EEEEENSH_IJSG_SG_SG_EEES9_SI_JZNS1_25segmented_radix_sort_implINS0_14default_configELb1EPK6__halfPSP_PKlPlN2at6native12_GLOBAL__N_18offset_tEEE10hipError_tPvRmT1_PNSt15iterator_traitsIS13_E10value_typeET2_T3_PNS14_IS19_E10value_typeET4_jRbjT5_S1F_jjP12ihipStream_tbEUljE_ZNSN_ISO_Lb1ESR_SS_SU_SV_SZ_EES10_S11_S12_S13_S17_S18_S19_S1C_S1D_jS1E_jS1F_S1F_jjS1H_bEUljE0_EEES10_S11_S12_S19_S1D_S1F_T6_T7_T9_mT8_S1H_bDpT10_ENKUlT_T0_E_clISt17integral_constantIbLb1EES1V_EEDaS1Q_S1R_EUlS1Q_E_NS1_11comp_targetILNS1_3genE9ELNS1_11target_archE1100ELNS1_3gpuE3ELNS1_3repE0EEENS1_30default_config_static_selectorELNS0_4arch9wavefront6targetE0EEEvS13_,@function
_ZN7rocprim17ROCPRIM_400000_NS6detail17trampoline_kernelINS0_13select_configILj256ELj13ELNS0_17block_load_methodE3ELS4_3ELS4_3ELNS0_20block_scan_algorithmE0ELj4294967295EEENS1_25partition_config_selectorILNS1_17partition_subalgoE4EjNS0_10empty_typeEbEEZZNS1_14partition_implILS8_4ELb0ES6_15HIP_vector_typeIjLj2EENS0_17counting_iteratorIjlEEPS9_SG_NS0_5tupleIJPjSI_NS0_16reverse_iteratorISI_EEEEENSH_IJSG_SG_SG_EEES9_SI_JZNS1_25segmented_radix_sort_implINS0_14default_configELb1EPK6__halfPSP_PKlPlN2at6native12_GLOBAL__N_18offset_tEEE10hipError_tPvRmT1_PNSt15iterator_traitsIS13_E10value_typeET2_T3_PNS14_IS19_E10value_typeET4_jRbjT5_S1F_jjP12ihipStream_tbEUljE_ZNSN_ISO_Lb1ESR_SS_SU_SV_SZ_EES10_S11_S12_S13_S17_S18_S19_S1C_S1D_jS1E_jS1F_S1F_jjS1H_bEUljE0_EEES10_S11_S12_S19_S1D_S1F_T6_T7_T9_mT8_S1H_bDpT10_ENKUlT_T0_E_clISt17integral_constantIbLb1EES1V_EEDaS1Q_S1R_EUlS1Q_E_NS1_11comp_targetILNS1_3genE9ELNS1_11target_archE1100ELNS1_3gpuE3ELNS1_3repE0EEENS1_30default_config_static_selectorELNS0_4arch9wavefront6targetE0EEEvS13_: ; @_ZN7rocprim17ROCPRIM_400000_NS6detail17trampoline_kernelINS0_13select_configILj256ELj13ELNS0_17block_load_methodE3ELS4_3ELS4_3ELNS0_20block_scan_algorithmE0ELj4294967295EEENS1_25partition_config_selectorILNS1_17partition_subalgoE4EjNS0_10empty_typeEbEEZZNS1_14partition_implILS8_4ELb0ES6_15HIP_vector_typeIjLj2EENS0_17counting_iteratorIjlEEPS9_SG_NS0_5tupleIJPjSI_NS0_16reverse_iteratorISI_EEEEENSH_IJSG_SG_SG_EEES9_SI_JZNS1_25segmented_radix_sort_implINS0_14default_configELb1EPK6__halfPSP_PKlPlN2at6native12_GLOBAL__N_18offset_tEEE10hipError_tPvRmT1_PNSt15iterator_traitsIS13_E10value_typeET2_T3_PNS14_IS19_E10value_typeET4_jRbjT5_S1F_jjP12ihipStream_tbEUljE_ZNSN_ISO_Lb1ESR_SS_SU_SV_SZ_EES10_S11_S12_S13_S17_S18_S19_S1C_S1D_jS1E_jS1F_S1F_jjS1H_bEUljE0_EEES10_S11_S12_S19_S1D_S1F_T6_T7_T9_mT8_S1H_bDpT10_ENKUlT_T0_E_clISt17integral_constantIbLb1EES1V_EEDaS1Q_S1R_EUlS1Q_E_NS1_11comp_targetILNS1_3genE9ELNS1_11target_archE1100ELNS1_3gpuE3ELNS1_3repE0EEENS1_30default_config_static_selectorELNS0_4arch9wavefront6targetE0EEEvS13_
; %bb.0:
	s_clause 0x7
	s_load_b64 s[34:35], s[0:1], 0x10
	s_load_b128 s[28:31], s[0:1], 0x28
	s_load_b64 s[14:15], s[0:1], 0x38
	s_load_b128 s[24:27], s[0:1], 0x58
	s_load_b64 s[4:5], s[0:1], 0x68
	s_load_b64 s[36:37], s[0:1], 0x78
	;; [unrolled: 1-line block ×3, first 2 shown]
	s_load_b256 s[16:23], s[0:1], 0x90
	v_cmp_eq_u32_e64 s2, 0, v0
	s_delay_alu instid0(VALU_DEP_1)
	s_and_saveexec_b32 s3, s2
	s_cbranch_execz .LBB1689_4
; %bb.1:
	s_mov_b32 s7, exec_lo
	s_mov_b32 s6, exec_lo
	v_mbcnt_lo_u32_b32 v1, s7, 0
                                        ; implicit-def: $vgpr2
	s_delay_alu instid0(VALU_DEP_1)
	v_cmpx_eq_u32_e32 0, v1
	s_cbranch_execz .LBB1689_3
; %bb.2:
	s_load_b64 s[8:9], s[0:1], 0x88
	s_bcnt1_i32_b32 s7, s7
	s_delay_alu instid0(SALU_CYCLE_1)
	v_dual_mov_b32 v2, 0 :: v_dual_mov_b32 v3, s7
	s_waitcnt lgkmcnt(0)
	global_atomic_add_u32 v2, v2, v3, s[8:9] glc
.LBB1689_3:
	s_or_b32 exec_lo, exec_lo, s6
	s_waitcnt vmcnt(0)
	v_readfirstlane_b32 s6, v2
	s_delay_alu instid0(VALU_DEP_1)
	v_dual_mov_b32 v2, 0 :: v_dual_add_nc_u32 v1, s6, v1
	ds_store_b32 v2, v1
.LBB1689_4:
	s_or_b32 exec_lo, exec_lo, s3
	v_mov_b32_e32 v1, 0
	s_clause 0x1
	s_load_b32 s3, s[0:1], 0x8
	s_load_b32 s0, s[0:1], 0x80
	s_waitcnt lgkmcnt(0)
	s_barrier
	buffer_gl0_inv
	ds_load_b32 v5, v1
	s_waitcnt lgkmcnt(0)
	s_barrier
	buffer_gl0_inv
	global_load_b128 v[1:4], v1, s[26:27]
	s_add_i32 s3, s3, s34
	s_mul_i32 s1, s0, 0xd00
	s_add_i32 s0, s0, -1
	s_add_u32 s6, s34, s1
	s_addc_u32 s7, s35, 0
	v_mul_lo_u32 v30, 0xd00, v5
	v_readfirstlane_b32 s26, v5
	v_cmp_lt_u64_e64 s5, s[6:7], s[4:5]
	v_cmp_ne_u32_e32 vcc_lo, s0, v5
	s_delay_alu instid0(VALU_DEP_3) | instskip(SKIP_1) | instid1(VALU_DEP_4)
	s_cmp_eq_u32 s26, s0
	s_cselect_b32 s13, -1, 0
	v_add3_u32 v5, v30, s3, v0
	s_delay_alu instid0(VALU_DEP_3) | instskip(SKIP_2) | instid1(VALU_DEP_1)
	s_or_b32 s0, s5, vcc_lo
	s_mov_b32 s3, -1
	s_and_b32 vcc_lo, exec_lo, s0
	v_add_nc_u32_e32 v6, 0x100, v5
	v_add_nc_u32_e32 v7, 0x200, v5
	;; [unrolled: 1-line block ×12, first 2 shown]
	s_cbranch_vccz .LBB1689_6
; %bb.5:
	v_lshlrev_b32_e32 v18, 2, v0
	s_mov_b32 s3, 0
	ds_store_2addr_stride64_b32 v18, v5, v6 offset1:4
	ds_store_2addr_stride64_b32 v18, v7, v8 offset0:8 offset1:12
	ds_store_2addr_stride64_b32 v18, v9, v10 offset0:16 offset1:20
	;; [unrolled: 1-line block ×5, first 2 shown]
	ds_store_b32 v18, v17 offset:12288
	s_waitcnt vmcnt(0) lgkmcnt(0)
	s_barrier
.LBB1689_6:
	s_and_not1_b32 vcc_lo, exec_lo, s3
	s_add_i32 s1, s1, s34
	s_cbranch_vccnz .LBB1689_8
; %bb.7:
	v_lshlrev_b32_e32 v18, 2, v0
	ds_store_2addr_stride64_b32 v18, v5, v6 offset1:4
	ds_store_2addr_stride64_b32 v18, v7, v8 offset0:8 offset1:12
	ds_store_2addr_stride64_b32 v18, v9, v10 offset0:16 offset1:20
	;; [unrolled: 1-line block ×5, first 2 shown]
	ds_store_b32 v18, v17 offset:12288
	s_waitcnt vmcnt(0) lgkmcnt(0)
	s_barrier
.LBB1689_8:
	v_mul_u32_u24_e32 v33, 13, v0
	s_waitcnt vmcnt(0)
	buffer_gl0_inv
	v_cndmask_b32_e64 v31, 0, 1, s0
	s_sub_i32 s40, s4, s1
	s_and_not1_b32 vcc_lo, exec_lo, s0
	v_lshlrev_b32_e32 v5, 2, v33
	ds_load_2addr_b32 v[20:21], v5 offset1:1
	ds_load_2addr_b32 v[18:19], v5 offset0:2 offset1:3
	ds_load_2addr_b32 v[16:17], v5 offset0:4 offset1:5
	;; [unrolled: 1-line block ×5, first 2 shown]
	ds_load_b32 v32, v5 offset:48
	s_waitcnt lgkmcnt(0)
	s_barrier
	buffer_gl0_inv
	s_cbranch_vccnz .LBB1689_36
; %bb.9:
	v_add_nc_u32_e32 v5, s17, v20
	v_add_nc_u32_e32 v6, s19, v20
	s_mov_b32 s42, 0
	s_mov_b32 s41, 0
	s_mov_b32 s1, exec_lo
	v_mul_lo_u32 v5, v5, s16
	v_mul_lo_u32 v6, v6, s18
	s_delay_alu instid0(VALU_DEP_1) | instskip(NEXT) | instid1(VALU_DEP_1)
	v_sub_nc_u32_e32 v5, v5, v6
	v_cmp_lt_u32_e32 vcc_lo, s20, v5
	v_cmpx_ge_u32_e64 s20, v5
; %bb.10:
	v_add_nc_u32_e32 v5, s22, v20
	v_add_nc_u32_e32 v6, s38, v20
	s_delay_alu instid0(VALU_DEP_2) | instskip(NEXT) | instid1(VALU_DEP_2)
	v_mul_lo_u32 v5, v5, s21
	v_mul_lo_u32 v6, v6, s23
	s_delay_alu instid0(VALU_DEP_1) | instskip(NEXT) | instid1(VALU_DEP_1)
	v_sub_nc_u32_e32 v5, v5, v6
	v_cmp_lt_u32_e64 s0, s39, v5
	s_delay_alu instid0(VALU_DEP_1)
	s_and_b32 s41, s0, exec_lo
; %bb.11:
	s_or_b32 exec_lo, exec_lo, s1
	v_add_nc_u32_e32 v5, s17, v21
	v_add_nc_u32_e32 v6, s19, v21
	s_mov_b32 s3, exec_lo
	s_delay_alu instid0(VALU_DEP_2) | instskip(NEXT) | instid1(VALU_DEP_2)
	v_mul_lo_u32 v5, v5, s16
	v_mul_lo_u32 v6, v6, s18
	s_delay_alu instid0(VALU_DEP_1) | instskip(NEXT) | instid1(VALU_DEP_1)
	v_sub_nc_u32_e32 v5, v5, v6
	v_cmp_lt_u32_e64 s0, s20, v5
	v_cmpx_ge_u32_e64 s20, v5
; %bb.12:
	v_add_nc_u32_e32 v5, s22, v21
	v_add_nc_u32_e32 v6, s38, v21
	s_delay_alu instid0(VALU_DEP_2) | instskip(NEXT) | instid1(VALU_DEP_2)
	v_mul_lo_u32 v5, v5, s21
	v_mul_lo_u32 v6, v6, s23
	s_delay_alu instid0(VALU_DEP_1) | instskip(NEXT) | instid1(VALU_DEP_1)
	v_sub_nc_u32_e32 v5, v5, v6
	v_cmp_lt_u32_e64 s1, s39, v5
	s_delay_alu instid0(VALU_DEP_1)
	s_and_b32 s42, s1, exec_lo
; %bb.13:
	s_or_b32 exec_lo, exec_lo, s3
	v_add_nc_u32_e32 v5, s17, v18
	v_add_nc_u32_e32 v6, s19, v18
	s_mov_b32 s44, 0
	s_mov_b32 s43, 0
	s_mov_b32 s4, exec_lo
	v_mul_lo_u32 v5, v5, s16
	v_mul_lo_u32 v6, v6, s18
	s_delay_alu instid0(VALU_DEP_1) | instskip(NEXT) | instid1(VALU_DEP_1)
	v_sub_nc_u32_e32 v5, v5, v6
	v_cmp_lt_u32_e64 s1, s20, v5
	v_cmpx_ge_u32_e64 s20, v5
; %bb.14:
	v_add_nc_u32_e32 v5, s22, v18
	v_add_nc_u32_e32 v6, s38, v18
	s_delay_alu instid0(VALU_DEP_2) | instskip(NEXT) | instid1(VALU_DEP_2)
	v_mul_lo_u32 v5, v5, s21
	v_mul_lo_u32 v6, v6, s23
	s_delay_alu instid0(VALU_DEP_1) | instskip(NEXT) | instid1(VALU_DEP_1)
	v_sub_nc_u32_e32 v5, v5, v6
	v_cmp_lt_u32_e64 s3, s39, v5
	s_delay_alu instid0(VALU_DEP_1)
	s_and_b32 s43, s3, exec_lo
; %bb.15:
	s_or_b32 exec_lo, exec_lo, s4
	v_add_nc_u32_e32 v5, s17, v19
	v_add_nc_u32_e32 v6, s19, v19
	s_mov_b32 s5, exec_lo
	s_delay_alu instid0(VALU_DEP_2) | instskip(NEXT) | instid1(VALU_DEP_2)
	v_mul_lo_u32 v5, v5, s16
	v_mul_lo_u32 v6, v6, s18
	s_delay_alu instid0(VALU_DEP_1) | instskip(NEXT) | instid1(VALU_DEP_1)
	v_sub_nc_u32_e32 v5, v5, v6
	v_cmp_lt_u32_e64 s3, s20, v5
	v_cmpx_ge_u32_e64 s20, v5
; %bb.16:
	v_add_nc_u32_e32 v5, s22, v19
	v_add_nc_u32_e32 v6, s38, v19
	s_delay_alu instid0(VALU_DEP_2) | instskip(NEXT) | instid1(VALU_DEP_2)
	v_mul_lo_u32 v5, v5, s21
	v_mul_lo_u32 v6, v6, s23
	s_delay_alu instid0(VALU_DEP_1) | instskip(NEXT) | instid1(VALU_DEP_1)
	v_sub_nc_u32_e32 v5, v5, v6
	v_cmp_lt_u32_e64 s4, s39, v5
	s_delay_alu instid0(VALU_DEP_1)
	s_and_b32 s44, s4, exec_lo
; %bb.17:
	s_or_b32 exec_lo, exec_lo, s5
	v_add_nc_u32_e32 v5, s17, v16
	v_add_nc_u32_e32 v6, s19, v16
	s_mov_b32 s46, 0
	s_mov_b32 s45, 0
	s_mov_b32 s6, exec_lo
	v_mul_lo_u32 v5, v5, s16
	v_mul_lo_u32 v6, v6, s18
	s_delay_alu instid0(VALU_DEP_1) | instskip(NEXT) | instid1(VALU_DEP_1)
	v_sub_nc_u32_e32 v5, v5, v6
	v_cmp_lt_u32_e64 s4, s20, v5
	;; [unrolled: 47-line block ×5, first 2 shown]
	v_cmpx_ge_u32_e64 s20, v5
; %bb.30:
	v_add_nc_u32_e32 v5, s22, v10
	v_add_nc_u32_e32 v6, s38, v10
	s_delay_alu instid0(VALU_DEP_2) | instskip(NEXT) | instid1(VALU_DEP_2)
	v_mul_lo_u32 v5, v5, s21
	v_mul_lo_u32 v6, v6, s23
	s_delay_alu instid0(VALU_DEP_1) | instskip(NEXT) | instid1(VALU_DEP_1)
	v_sub_nc_u32_e32 v5, v5, v6
	v_cmp_lt_u32_e64 s11, s39, v5
	s_delay_alu instid0(VALU_DEP_1)
	s_and_b32 s53, s11, exec_lo
; %bb.31:
	s_or_b32 exec_lo, exec_lo, s12
	v_add_nc_u32_e32 v5, s17, v11
	v_add_nc_u32_e32 v6, s19, v11
	s_mov_b32 s27, exec_lo
	s_delay_alu instid0(VALU_DEP_2) | instskip(NEXT) | instid1(VALU_DEP_2)
	v_mul_lo_u32 v5, v5, s16
	v_mul_lo_u32 v6, v6, s18
	s_delay_alu instid0(VALU_DEP_1) | instskip(NEXT) | instid1(VALU_DEP_1)
	v_sub_nc_u32_e32 v5, v5, v6
	v_cmp_lt_u32_e64 s11, s20, v5
	v_cmpx_ge_u32_e64 s20, v5
; %bb.32:
	v_add_nc_u32_e32 v5, s22, v11
	v_add_nc_u32_e32 v6, s38, v11
	s_delay_alu instid0(VALU_DEP_2) | instskip(NEXT) | instid1(VALU_DEP_2)
	v_mul_lo_u32 v5, v5, s21
	v_mul_lo_u32 v6, v6, s23
	s_delay_alu instid0(VALU_DEP_1) | instskip(NEXT) | instid1(VALU_DEP_1)
	v_sub_nc_u32_e32 v5, v5, v6
	v_cmp_lt_u32_e64 s12, s39, v5
	s_delay_alu instid0(VALU_DEP_1)
	s_and_b32 s52, s12, exec_lo
; %bb.33:
	s_or_b32 exec_lo, exec_lo, s27
	v_add_nc_u32_e32 v5, s17, v32
	v_add_nc_u32_e32 v6, s19, v32
	s_mov_b32 s27, -1
	s_mov_b32 s49, 0
	s_mov_b32 s33, 0
	v_mul_lo_u32 v5, v5, s16
	v_mul_lo_u32 v6, v6, s18
	s_mov_b32 s54, exec_lo
	s_delay_alu instid0(VALU_DEP_1) | instskip(NEXT) | instid1(VALU_DEP_1)
	v_sub_nc_u32_e32 v5, v5, v6
	v_cmpx_ge_u32_e64 s20, v5
; %bb.34:
	v_add_nc_u32_e32 v5, s22, v32
	v_add_nc_u32_e32 v6, s38, v32
	s_xor_b32 s27, exec_lo, -1
	s_delay_alu instid0(VALU_DEP_2) | instskip(NEXT) | instid1(VALU_DEP_2)
	v_mul_lo_u32 v5, v5, s21
	v_mul_lo_u32 v6, v6, s23
	s_delay_alu instid0(VALU_DEP_1) | instskip(NEXT) | instid1(VALU_DEP_1)
	v_sub_nc_u32_e32 v5, v5, v6
	v_cmp_lt_u32_e64 s12, s39, v5
	s_delay_alu instid0(VALU_DEP_1)
	s_and_b32 s33, s12, exec_lo
; %bb.35:
	s_or_b32 exec_lo, exec_lo, s54
	v_cndmask_b32_e64 v53, 0, 1, s53
	v_cndmask_b32_e64 v56, 0, 1, s11
	;; [unrolled: 1-line block ×22, first 2 shown]
	v_cndmask_b32_e64 v34, 0, 1, vcc_lo
	v_cndmask_b32_e64 v57, 0, 1, s52
	s_and_b32 vcc_lo, exec_lo, s49
	s_add_i32 s4, s40, 0xd00
	s_cbranch_vccnz .LBB1689_37
	s_branch .LBB1689_90
.LBB1689_36:
                                        ; implicit-def: $sgpr27
                                        ; implicit-def: $sgpr33
                                        ; implicit-def: $vgpr57
                                        ; implicit-def: $vgpr53
                                        ; implicit-def: $vgpr52
                                        ; implicit-def: $vgpr50
                                        ; implicit-def: $vgpr48
                                        ; implicit-def: $vgpr46
                                        ; implicit-def: $vgpr44
                                        ; implicit-def: $vgpr42
                                        ; implicit-def: $vgpr39
                                        ; implicit-def: $vgpr34
                                        ; implicit-def: $vgpr37
                                        ; implicit-def: $vgpr36
                                        ; implicit-def: $vgpr41
                                        ; implicit-def: $vgpr43
                                        ; implicit-def: $vgpr45
                                        ; implicit-def: $vgpr47
                                        ; implicit-def: $vgpr49
                                        ; implicit-def: $vgpr51
                                        ; implicit-def: $vgpr54
                                        ; implicit-def: $vgpr55
                                        ; implicit-def: $vgpr56
                                        ; implicit-def: $vgpr35
                                        ; implicit-def: $vgpr40
                                        ; implicit-def: $vgpr38
	s_add_i32 s4, s40, 0xd00
	s_cbranch_execz .LBB1689_90
.LBB1689_37:
	v_dual_mov_b32 v35, 0 :: v_dual_mov_b32 v34, 0
	s_mov_b32 s3, 0
	s_mov_b32 s1, exec_lo
	v_cmpx_gt_u32_e64 s4, v33
	s_cbranch_execz .LBB1689_41
; %bb.38:
	v_add_nc_u32_e32 v5, s17, v20
	v_add_nc_u32_e32 v6, s19, v20
	s_mov_b32 s5, exec_lo
	s_delay_alu instid0(VALU_DEP_2) | instskip(NEXT) | instid1(VALU_DEP_2)
	v_mul_lo_u32 v5, v5, s16
	v_mul_lo_u32 v6, v6, s18
	s_delay_alu instid0(VALU_DEP_1) | instskip(NEXT) | instid1(VALU_DEP_1)
	v_sub_nc_u32_e32 v5, v5, v6
	v_cmp_lt_u32_e32 vcc_lo, s20, v5
	v_cmpx_ge_u32_e64 s20, v5
; %bb.39:
	v_add_nc_u32_e32 v5, s22, v20
	v_add_nc_u32_e32 v6, s38, v20
	s_delay_alu instid0(VALU_DEP_2) | instskip(NEXT) | instid1(VALU_DEP_2)
	v_mul_lo_u32 v5, v5, s21
	v_mul_lo_u32 v6, v6, s23
	s_delay_alu instid0(VALU_DEP_1) | instskip(NEXT) | instid1(VALU_DEP_1)
	v_sub_nc_u32_e32 v5, v5, v6
	v_cmp_lt_u32_e64 s0, s39, v5
	s_delay_alu instid0(VALU_DEP_1)
	s_and_b32 s3, s0, exec_lo
; %bb.40:
	s_or_b32 exec_lo, exec_lo, s5
	v_cndmask_b32_e64 v34, 0, 1, vcc_lo
	v_cndmask_b32_e64 v35, 0, 1, s3
.LBB1689_41:
	s_or_b32 exec_lo, exec_lo, s1
	v_dual_mov_b32 v40, 0 :: v_dual_add_nc_u32 v5, 1, v33
	v_mov_b32_e32 v37, 0
	s_mov_b32 s3, 0
	s_mov_b32 s1, exec_lo
	s_delay_alu instid0(VALU_DEP_2)
	v_cmpx_gt_u32_e64 s4, v5
	s_cbranch_execz .LBB1689_45
; %bb.42:
	v_add_nc_u32_e32 v5, s17, v21
	v_add_nc_u32_e32 v6, s19, v21
	s_mov_b32 s5, exec_lo
	s_delay_alu instid0(VALU_DEP_2) | instskip(NEXT) | instid1(VALU_DEP_2)
	v_mul_lo_u32 v5, v5, s16
	v_mul_lo_u32 v6, v6, s18
	s_delay_alu instid0(VALU_DEP_1) | instskip(NEXT) | instid1(VALU_DEP_1)
	v_sub_nc_u32_e32 v5, v5, v6
	v_cmp_lt_u32_e32 vcc_lo, s20, v5
	v_cmpx_ge_u32_e64 s20, v5
; %bb.43:
	v_add_nc_u32_e32 v5, s22, v21
	v_add_nc_u32_e32 v6, s38, v21
	s_delay_alu instid0(VALU_DEP_2) | instskip(NEXT) | instid1(VALU_DEP_2)
	v_mul_lo_u32 v5, v5, s21
	v_mul_lo_u32 v6, v6, s23
	s_delay_alu instid0(VALU_DEP_1) | instskip(NEXT) | instid1(VALU_DEP_1)
	v_sub_nc_u32_e32 v5, v5, v6
	v_cmp_lt_u32_e64 s0, s39, v5
	s_delay_alu instid0(VALU_DEP_1)
	s_and_b32 s3, s0, exec_lo
; %bb.44:
	s_or_b32 exec_lo, exec_lo, s5
	v_cndmask_b32_e64 v37, 0, 1, vcc_lo
	v_cndmask_b32_e64 v40, 0, 1, s3
.LBB1689_45:
	s_or_b32 exec_lo, exec_lo, s1
	v_dual_mov_b32 v36, 0 :: v_dual_add_nc_u32 v5, 2, v33
	v_mov_b32_e32 v38, 0
	s_mov_b32 s3, 0
	s_mov_b32 s1, exec_lo
	s_delay_alu instid0(VALU_DEP_2)
	v_cmpx_gt_u32_e64 s4, v5
	s_cbranch_execz .LBB1689_49
; %bb.46:
	v_add_nc_u32_e32 v5, s17, v18
	v_add_nc_u32_e32 v6, s19, v18
	s_mov_b32 s5, exec_lo
	s_delay_alu instid0(VALU_DEP_2) | instskip(NEXT) | instid1(VALU_DEP_2)
	v_mul_lo_u32 v5, v5, s16
	v_mul_lo_u32 v6, v6, s18
	s_delay_alu instid0(VALU_DEP_1) | instskip(NEXT) | instid1(VALU_DEP_1)
	v_sub_nc_u32_e32 v5, v5, v6
	v_cmp_lt_u32_e32 vcc_lo, s20, v5
	v_cmpx_ge_u32_e64 s20, v5
; %bb.47:
	v_add_nc_u32_e32 v5, s22, v18
	v_add_nc_u32_e32 v6, s38, v18
	s_delay_alu instid0(VALU_DEP_2) | instskip(NEXT) | instid1(VALU_DEP_2)
	v_mul_lo_u32 v5, v5, s21
	v_mul_lo_u32 v6, v6, s23
	s_delay_alu instid0(VALU_DEP_1) | instskip(NEXT) | instid1(VALU_DEP_1)
	v_sub_nc_u32_e32 v5, v5, v6
	v_cmp_lt_u32_e64 s0, s39, v5
	s_delay_alu instid0(VALU_DEP_1)
	s_and_b32 s3, s0, exec_lo
; %bb.48:
	s_or_b32 exec_lo, exec_lo, s5
	v_cndmask_b32_e64 v36, 0, 1, vcc_lo
	v_cndmask_b32_e64 v38, 0, 1, s3
.LBB1689_49:
	s_or_b32 exec_lo, exec_lo, s1
	v_add_nc_u32_e32 v5, 3, v33
	v_mov_b32_e32 v39, 0
	v_mov_b32_e32 v41, 0
	s_mov_b32 s3, 0
	s_mov_b32 s1, exec_lo
	v_cmpx_gt_u32_e64 s4, v5
	s_cbranch_execz .LBB1689_53
; %bb.50:
	v_add_nc_u32_e32 v5, s17, v19
	v_add_nc_u32_e32 v6, s19, v19
	s_mov_b32 s5, exec_lo
	s_delay_alu instid0(VALU_DEP_2) | instskip(NEXT) | instid1(VALU_DEP_2)
	v_mul_lo_u32 v5, v5, s16
	v_mul_lo_u32 v6, v6, s18
	s_delay_alu instid0(VALU_DEP_1) | instskip(NEXT) | instid1(VALU_DEP_1)
	v_sub_nc_u32_e32 v5, v5, v6
	v_cmp_lt_u32_e32 vcc_lo, s20, v5
	v_cmpx_ge_u32_e64 s20, v5
; %bb.51:
	v_add_nc_u32_e32 v5, s22, v19
	v_add_nc_u32_e32 v6, s38, v19
	s_delay_alu instid0(VALU_DEP_2) | instskip(NEXT) | instid1(VALU_DEP_2)
	v_mul_lo_u32 v5, v5, s21
	v_mul_lo_u32 v6, v6, s23
	s_delay_alu instid0(VALU_DEP_1) | instskip(NEXT) | instid1(VALU_DEP_1)
	v_sub_nc_u32_e32 v5, v5, v6
	v_cmp_lt_u32_e64 s0, s39, v5
	s_delay_alu instid0(VALU_DEP_1)
	s_and_b32 s3, s0, exec_lo
; %bb.52:
	s_or_b32 exec_lo, exec_lo, s5
	v_cndmask_b32_e64 v41, 0, 1, vcc_lo
	v_cndmask_b32_e64 v39, 0, 1, s3
.LBB1689_53:
	s_or_b32 exec_lo, exec_lo, s1
	v_dual_mov_b32 v42, 0 :: v_dual_add_nc_u32 v5, 4, v33
	v_mov_b32_e32 v43, 0
	s_mov_b32 s3, 0
	s_mov_b32 s1, exec_lo
	s_delay_alu instid0(VALU_DEP_2)
	v_cmpx_gt_u32_e64 s4, v5
	s_cbranch_execz .LBB1689_57
; %bb.54:
	v_add_nc_u32_e32 v5, s17, v16
	v_add_nc_u32_e32 v6, s19, v16
	s_mov_b32 s5, exec_lo
	s_delay_alu instid0(VALU_DEP_2) | instskip(NEXT) | instid1(VALU_DEP_2)
	v_mul_lo_u32 v5, v5, s16
	v_mul_lo_u32 v6, v6, s18
	s_delay_alu instid0(VALU_DEP_1) | instskip(NEXT) | instid1(VALU_DEP_1)
	v_sub_nc_u32_e32 v5, v5, v6
	v_cmp_lt_u32_e32 vcc_lo, s20, v5
	v_cmpx_ge_u32_e64 s20, v5
; %bb.55:
	v_add_nc_u32_e32 v5, s22, v16
	v_add_nc_u32_e32 v6, s38, v16
	s_delay_alu instid0(VALU_DEP_2) | instskip(NEXT) | instid1(VALU_DEP_2)
	v_mul_lo_u32 v5, v5, s21
	v_mul_lo_u32 v6, v6, s23
	s_delay_alu instid0(VALU_DEP_1) | instskip(NEXT) | instid1(VALU_DEP_1)
	v_sub_nc_u32_e32 v5, v5, v6
	v_cmp_lt_u32_e64 s0, s39, v5
	s_delay_alu instid0(VALU_DEP_1)
	s_and_b32 s3, s0, exec_lo
; %bb.56:
	s_or_b32 exec_lo, exec_lo, s5
	v_cndmask_b32_e64 v43, 0, 1, vcc_lo
	v_cndmask_b32_e64 v42, 0, 1, s3
.LBB1689_57:
	s_or_b32 exec_lo, exec_lo, s1
	v_dual_mov_b32 v44, 0 :: v_dual_add_nc_u32 v5, 5, v33
	v_mov_b32_e32 v45, 0
	s_mov_b32 s3, 0
	s_mov_b32 s1, exec_lo
	s_delay_alu instid0(VALU_DEP_2)
	;; [unrolled: 35-line block ×6, first 2 shown]
	v_cmpx_gt_u32_e64 s4, v5
	s_cbranch_execz .LBB1689_77
; %bb.74:
	v_add_nc_u32_e32 v5, s17, v13
	v_add_nc_u32_e32 v6, s19, v13
	s_mov_b32 s5, exec_lo
	s_delay_alu instid0(VALU_DEP_2) | instskip(NEXT) | instid1(VALU_DEP_2)
	v_mul_lo_u32 v5, v5, s16
	v_mul_lo_u32 v6, v6, s18
	s_delay_alu instid0(VALU_DEP_1) | instskip(NEXT) | instid1(VALU_DEP_1)
	v_sub_nc_u32_e32 v5, v5, v6
	v_cmp_lt_u32_e32 vcc_lo, s20, v5
	v_cmpx_ge_u32_e64 s20, v5
; %bb.75:
	v_add_nc_u32_e32 v5, s22, v13
	v_add_nc_u32_e32 v6, s38, v13
	s_delay_alu instid0(VALU_DEP_2) | instskip(NEXT) | instid1(VALU_DEP_2)
	v_mul_lo_u32 v5, v5, s21
	v_mul_lo_u32 v6, v6, s23
	s_delay_alu instid0(VALU_DEP_1) | instskip(NEXT) | instid1(VALU_DEP_1)
	v_sub_nc_u32_e32 v5, v5, v6
	v_cmp_lt_u32_e64 s0, s39, v5
	s_delay_alu instid0(VALU_DEP_1)
	s_and_b32 s3, s0, exec_lo
; %bb.76:
	s_or_b32 exec_lo, exec_lo, s5
	v_cndmask_b32_e64 v54, 0, 1, vcc_lo
	v_cndmask_b32_e64 v52, 0, 1, s3
.LBB1689_77:
	s_or_b32 exec_lo, exec_lo, s1
	v_add_nc_u32_e32 v5, 10, v33
	v_mov_b32_e32 v53, 0
	v_mov_b32_e32 v55, 0
	s_mov_b32 s3, 0
	s_mov_b32 s1, exec_lo
	v_cmpx_gt_u32_e64 s4, v5
	s_cbranch_execz .LBB1689_81
; %bb.78:
	v_add_nc_u32_e32 v5, s17, v10
	v_add_nc_u32_e32 v6, s19, v10
	s_mov_b32 s5, exec_lo
	s_delay_alu instid0(VALU_DEP_2) | instskip(NEXT) | instid1(VALU_DEP_2)
	v_mul_lo_u32 v5, v5, s16
	v_mul_lo_u32 v6, v6, s18
	s_delay_alu instid0(VALU_DEP_1) | instskip(NEXT) | instid1(VALU_DEP_1)
	v_sub_nc_u32_e32 v5, v5, v6
	v_cmp_lt_u32_e32 vcc_lo, s20, v5
	v_cmpx_ge_u32_e64 s20, v5
; %bb.79:
	v_add_nc_u32_e32 v5, s22, v10
	v_add_nc_u32_e32 v6, s38, v10
	s_delay_alu instid0(VALU_DEP_2) | instskip(NEXT) | instid1(VALU_DEP_2)
	v_mul_lo_u32 v5, v5, s21
	v_mul_lo_u32 v6, v6, s23
	s_delay_alu instid0(VALU_DEP_1) | instskip(NEXT) | instid1(VALU_DEP_1)
	v_sub_nc_u32_e32 v5, v5, v6
	v_cmp_lt_u32_e64 s0, s39, v5
	s_delay_alu instid0(VALU_DEP_1)
	s_and_b32 s3, s0, exec_lo
; %bb.80:
	s_or_b32 exec_lo, exec_lo, s5
	v_cndmask_b32_e64 v55, 0, 1, vcc_lo
	v_cndmask_b32_e64 v53, 0, 1, s3
.LBB1689_81:
	s_or_b32 exec_lo, exec_lo, s1
	v_dual_mov_b32 v56, 0 :: v_dual_add_nc_u32 v5, 11, v33
	v_mov_b32_e32 v57, 0
	s_mov_b32 s3, 0
	s_mov_b32 s1, exec_lo
	s_delay_alu instid0(VALU_DEP_2)
	v_cmpx_gt_u32_e64 s4, v5
	s_cbranch_execz .LBB1689_85
; %bb.82:
	v_add_nc_u32_e32 v5, s17, v11
	v_add_nc_u32_e32 v6, s19, v11
	s_mov_b32 s5, exec_lo
	s_delay_alu instid0(VALU_DEP_2) | instskip(NEXT) | instid1(VALU_DEP_2)
	v_mul_lo_u32 v5, v5, s16
	v_mul_lo_u32 v6, v6, s18
	s_delay_alu instid0(VALU_DEP_1) | instskip(NEXT) | instid1(VALU_DEP_1)
	v_sub_nc_u32_e32 v5, v5, v6
	v_cmp_lt_u32_e32 vcc_lo, s20, v5
	v_cmpx_ge_u32_e64 s20, v5
; %bb.83:
	v_add_nc_u32_e32 v5, s22, v11
	v_add_nc_u32_e32 v6, s38, v11
	s_delay_alu instid0(VALU_DEP_2) | instskip(NEXT) | instid1(VALU_DEP_2)
	v_mul_lo_u32 v5, v5, s21
	v_mul_lo_u32 v6, v6, s23
	s_delay_alu instid0(VALU_DEP_1) | instskip(NEXT) | instid1(VALU_DEP_1)
	v_sub_nc_u32_e32 v5, v5, v6
	v_cmp_lt_u32_e64 s0, s39, v5
	s_delay_alu instid0(VALU_DEP_1)
	s_and_b32 s3, s0, exec_lo
; %bb.84:
	s_or_b32 exec_lo, exec_lo, s5
	v_cndmask_b32_e64 v56, 0, 1, vcc_lo
	v_cndmask_b32_e64 v57, 0, 1, s3
.LBB1689_85:
	s_or_b32 exec_lo, exec_lo, s1
	v_add_nc_u32_e32 v5, 12, v33
	s_mov_b32 s27, 0
	s_mov_b32 s33, 0
	s_mov_b32 s0, exec_lo
	s_delay_alu instid0(VALU_DEP_1)
	v_cmpx_gt_u32_e64 s4, v5
	s_cbranch_execz .LBB1689_89
; %bb.86:
	v_add_nc_u32_e32 v5, s17, v32
	v_add_nc_u32_e32 v6, s19, v32
	s_mov_b32 s3, -1
	s_mov_b32 s5, 0
	s_mov_b32 s1, exec_lo
	v_mul_lo_u32 v5, v5, s16
	v_mul_lo_u32 v6, v6, s18
	s_delay_alu instid0(VALU_DEP_1) | instskip(NEXT) | instid1(VALU_DEP_1)
	v_sub_nc_u32_e32 v5, v5, v6
	v_cmpx_ge_u32_e64 s20, v5
; %bb.87:
	v_add_nc_u32_e32 v5, s22, v32
	v_add_nc_u32_e32 v6, s38, v32
	s_xor_b32 s3, exec_lo, -1
	s_delay_alu instid0(VALU_DEP_2) | instskip(NEXT) | instid1(VALU_DEP_2)
	v_mul_lo_u32 v5, v5, s21
	v_mul_lo_u32 v6, v6, s23
	s_delay_alu instid0(VALU_DEP_1) | instskip(NEXT) | instid1(VALU_DEP_1)
	v_sub_nc_u32_e32 v5, v5, v6
	v_cmp_lt_u32_e32 vcc_lo, s39, v5
	s_and_b32 s5, vcc_lo, exec_lo
; %bb.88:
	s_or_b32 exec_lo, exec_lo, s1
	s_delay_alu instid0(SALU_CYCLE_1)
	s_and_b32 s33, s5, exec_lo
	s_and_b32 s27, s3, exec_lo
.LBB1689_89:
	s_or_b32 exec_lo, exec_lo, s0
.LBB1689_90:
	v_and_b32_e32 v80, 0xff, v34
	v_and_b32_e32 v81, 0xff, v35
	;; [unrolled: 1-line block ×10, first 2 shown]
	v_add3_u32 v5, v76, v78, v80
	v_add3_u32 v6, v77, v79, v81
	v_and_b32_e32 v70, 0xff, v45
	v_and_b32_e32 v71, 0xff, v44
	v_and_b32_e32 v64, 0xff, v47
	v_and_b32_e32 v65, 0xff, v46
	v_add3_u32 v5, v5, v74, v72
	v_add3_u32 v6, v6, v75, v73
	v_and_b32_e32 v68, 0xff, v49
	v_and_b32_e32 v69, 0xff, v48
	v_and_b32_e32 v66, 0xff, v51
	v_and_b32_e32 v67, 0xff, v50
	;; [unrolled: 6-line block ×3, first 2 shown]
	v_add3_u32 v5, v5, v68, v66
	v_add3_u32 v6, v6, v69, v67
	v_mbcnt_lo_u32_b32 v82, -1, 0
	v_and_b32_e32 v58, 0xff, v56
	v_and_b32_e32 v59, 0xff, v57
	v_cndmask_b32_e64 v7, 0, 1, s33
	v_add3_u32 v5, v5, v61, v60
	v_cndmask_b32_e64 v8, 0, 1, s27
	v_add3_u32 v6, v6, v62, v63
	v_and_b32_e32 v86, 15, v82
	v_and_b32_e32 v85, 16, v82
	v_lshrrev_b32_e32 v83, 5, v0
	v_add3_u32 v87, v5, v58, v8
	v_add3_u32 v88, v6, v59, v7
	v_cmp_eq_u32_e64 s1, 0, v86
	v_cmp_lt_u32_e64 s0, 1, v86
	v_cmp_lt_u32_e64 s3, 3, v86
	v_cmp_lt_u32_e32 vcc_lo, 7, v86
	v_or_b32_e32 v84, 31, v0
	s_cmp_lg_u32 s26, 0
	s_mov_b32 s5, -1
	s_cbranch_scc0 .LBB1689_123
; %bb.91:
	v_mov_b32_dpp v5, v88 row_shr:1 row_mask:0xf bank_mask:0xf
	v_mov_b32_dpp v6, v87 row_shr:1 row_mask:0xf bank_mask:0xf
	s_delay_alu instid0(VALU_DEP_2) | instskip(NEXT) | instid1(VALU_DEP_2)
	v_add_nc_u32_e32 v5, v5, v88
	v_add_nc_u32_e32 v6, v6, v87
	s_delay_alu instid0(VALU_DEP_2) | instskip(NEXT) | instid1(VALU_DEP_2)
	v_cndmask_b32_e64 v5, v5, v88, s1
	v_cndmask_b32_e64 v6, v6, v87, s1
	s_delay_alu instid0(VALU_DEP_2) | instskip(NEXT) | instid1(VALU_DEP_2)
	v_mov_b32_dpp v7, v5 row_shr:2 row_mask:0xf bank_mask:0xf
	v_mov_b32_dpp v8, v6 row_shr:2 row_mask:0xf bank_mask:0xf
	s_delay_alu instid0(VALU_DEP_2) | instskip(NEXT) | instid1(VALU_DEP_1)
	v_add_nc_u32_e32 v7, v5, v7
	v_cndmask_b32_e64 v5, v5, v7, s0
	s_delay_alu instid0(VALU_DEP_1) | instskip(NEXT) | instid1(VALU_DEP_1)
	v_mov_b32_dpp v7, v5 row_shr:4 row_mask:0xf bank_mask:0xf
	v_add_nc_u32_e32 v7, v5, v7
	s_delay_alu instid0(VALU_DEP_1) | instskip(NEXT) | instid1(VALU_DEP_1)
	v_cndmask_b32_e64 v5, v5, v7, s3
	v_mov_b32_dpp v7, v5 row_shr:8 row_mask:0xf bank_mask:0xf
	s_delay_alu instid0(VALU_DEP_1) | instskip(NEXT) | instid1(VALU_DEP_1)
	v_add_nc_u32_e32 v7, v5, v7
	v_dual_cndmask_b32 v5, v5, v7 :: v_dual_add_nc_u32 v8, v6, v8
	s_delay_alu instid0(VALU_DEP_1) | instskip(NEXT) | instid1(VALU_DEP_1)
	v_cndmask_b32_e64 v6, v6, v8, s0
	v_mov_b32_dpp v8, v6 row_shr:4 row_mask:0xf bank_mask:0xf
	s_delay_alu instid0(VALU_DEP_1) | instskip(NEXT) | instid1(VALU_DEP_1)
	v_add_nc_u32_e32 v8, v6, v8
	v_cndmask_b32_e64 v6, v6, v8, s3
	s_mov_b32 s3, exec_lo
	s_delay_alu instid0(VALU_DEP_1) | instskip(NEXT) | instid1(VALU_DEP_1)
	v_mov_b32_dpp v8, v6 row_shr:8 row_mask:0xf bank_mask:0xf
	v_add_nc_u32_e32 v8, v6, v8
	s_delay_alu instid0(VALU_DEP_1)
	v_cndmask_b32_e32 v7, v6, v8, vcc_lo
	ds_swizzle_b32 v6, v5 offset:swizzle(BROADCAST,32,15)
	v_cmp_eq_u32_e32 vcc_lo, 0, v85
	s_waitcnt lgkmcnt(0)
	v_add_nc_u32_e32 v6, v5, v6
	ds_swizzle_b32 v8, v7 offset:swizzle(BROADCAST,32,15)
	v_cndmask_b32_e32 v6, v6, v5, vcc_lo
	s_waitcnt lgkmcnt(0)
	v_add_nc_u32_e32 v8, v7, v8
	s_delay_alu instid0(VALU_DEP_1)
	v_cndmask_b32_e32 v5, v8, v7, vcc_lo
	v_cmpx_eq_u32_e64 v84, v0
	s_cbranch_execz .LBB1689_93
; %bb.92:
	v_lshlrev_b32_e32 v7, 3, v83
	ds_store_b64 v7, v[5:6]
.LBB1689_93:
	s_or_b32 exec_lo, exec_lo, s3
	s_delay_alu instid0(SALU_CYCLE_1)
	s_mov_b32 s3, exec_lo
	s_waitcnt lgkmcnt(0)
	s_barrier
	buffer_gl0_inv
	v_cmpx_gt_u32_e32 8, v0
	s_cbranch_execz .LBB1689_95
; %bb.94:
	v_lshlrev_b32_e32 v9, 3, v0
	ds_load_b64 v[7:8], v9
	s_waitcnt lgkmcnt(0)
	v_mov_b32_dpp v22, v7 row_shr:1 row_mask:0xf bank_mask:0xf
	v_mov_b32_dpp v23, v8 row_shr:1 row_mask:0xf bank_mask:0xf
	s_delay_alu instid0(VALU_DEP_2) | instskip(SKIP_1) | instid1(VALU_DEP_3)
	v_add_nc_u32_e32 v22, v22, v7
	v_and_b32_e32 v24, 7, v82
	v_add_nc_u32_e32 v23, v23, v8
	s_delay_alu instid0(VALU_DEP_2) | instskip(NEXT) | instid1(VALU_DEP_2)
	v_cmp_eq_u32_e32 vcc_lo, 0, v24
	v_dual_cndmask_b32 v8, v23, v8 :: v_dual_cndmask_b32 v7, v22, v7
	v_cmp_lt_u32_e32 vcc_lo, 1, v24
	s_delay_alu instid0(VALU_DEP_2) | instskip(NEXT) | instid1(VALU_DEP_3)
	v_mov_b32_dpp v23, v8 row_shr:2 row_mask:0xf bank_mask:0xf
	v_mov_b32_dpp v22, v7 row_shr:2 row_mask:0xf bank_mask:0xf
	s_delay_alu instid0(VALU_DEP_2) | instskip(NEXT) | instid1(VALU_DEP_2)
	v_add_nc_u32_e32 v23, v8, v23
	v_add_nc_u32_e32 v22, v7, v22
	s_delay_alu instid0(VALU_DEP_1) | instskip(SKIP_1) | instid1(VALU_DEP_2)
	v_dual_cndmask_b32 v8, v8, v23 :: v_dual_cndmask_b32 v7, v7, v22
	v_cmp_lt_u32_e32 vcc_lo, 3, v24
	v_mov_b32_dpp v23, v8 row_shr:4 row_mask:0xf bank_mask:0xf
	s_delay_alu instid0(VALU_DEP_3) | instskip(NEXT) | instid1(VALU_DEP_1)
	v_mov_b32_dpp v22, v7 row_shr:4 row_mask:0xf bank_mask:0xf
	v_dual_cndmask_b32 v23, 0, v23 :: v_dual_cndmask_b32 v22, 0, v22
	s_delay_alu instid0(VALU_DEP_1) | instskip(NEXT) | instid1(VALU_DEP_2)
	v_add_nc_u32_e32 v8, v23, v8
	v_add_nc_u32_e32 v7, v22, v7
	ds_store_b64 v9, v[7:8]
.LBB1689_95:
	s_or_b32 exec_lo, exec_lo, s3
	v_cmp_gt_u32_e32 vcc_lo, 32, v0
	v_cmp_lt_u32_e64 s3, 31, v0
	s_waitcnt lgkmcnt(0)
	s_barrier
	buffer_gl0_inv
                                        ; implicit-def: $vgpr23
	s_and_saveexec_b32 s5, s3
	s_delay_alu instid0(SALU_CYCLE_1)
	s_xor_b32 s3, exec_lo, s5
	s_cbranch_execz .LBB1689_97
; %bb.96:
	v_lshl_add_u32 v7, v83, 3, -8
	ds_load_b64 v[22:23], v7
	s_waitcnt lgkmcnt(0)
	v_add_nc_u32_e32 v6, v23, v6
	v_add_nc_u32_e32 v5, v22, v5
.LBB1689_97:
	s_and_not1_saveexec_b32 s3, s3
; %bb.98:
                                        ; implicit-def: $vgpr22
; %bb.99:
	s_delay_alu instid0(SALU_CYCLE_1) | instskip(SKIP_1) | instid1(VALU_DEP_1)
	s_or_b32 exec_lo, exec_lo, s3
	v_add_nc_u32_e32 v7, -1, v82
	v_cmp_gt_i32_e64 s3, 0, v7
	s_delay_alu instid0(VALU_DEP_1) | instskip(SKIP_1) | instid1(VALU_DEP_2)
	v_cndmask_b32_e64 v7, v7, v82, s3
	v_cmp_eq_u32_e64 s3, 0, v82
	v_lshlrev_b32_e32 v7, 2, v7
	ds_bpermute_b32 v89, v7, v5
	ds_bpermute_b32 v90, v7, v6
	s_and_saveexec_b32 s5, vcc_lo
	s_cbranch_execz .LBB1689_122
; %bb.100:
	v_mov_b32_e32 v8, 0
	ds_load_b64 v[5:6], v8 offset:56
	s_waitcnt lgkmcnt(0)
	v_readfirstlane_b32 s6, v6
	s_and_saveexec_b32 s7, s3
	s_cbranch_execz .LBB1689_102
; %bb.101:
	s_add_i32 s8, s26, 32
	s_mov_b32 s9, 0
	v_mov_b32_e32 v7, 1
	s_lshl_b64 s[10:11], s[8:9], 4
	s_mov_b32 s16, s9
	s_add_u32 s10, s36, s10
	s_addc_u32 s11, s37, s11
	s_and_b32 s17, s6, 0xff000000
	s_and_b32 s19, s6, 0xff0000
	s_mov_b32 s18, s9
	v_dual_mov_b32 v25, s11 :: v_dual_mov_b32 v24, s10
	s_or_b64 s[16:17], s[18:19], s[16:17]
	s_and_b32 s19, s6, 0xff00
	s_delay_alu instid0(SALU_CYCLE_1) | instskip(SKIP_1) | instid1(SALU_CYCLE_1)
	s_or_b64 s[16:17], s[16:17], s[18:19]
	s_and_b32 s19, s6, 0xff
	s_or_b64 s[8:9], s[16:17], s[18:19]
	s_delay_alu instid0(SALU_CYCLE_1)
	v_mov_b32_e32 v6, s9
	;;#ASMSTART
	global_store_dwordx4 v[24:25], v[5:8] off	
s_waitcnt vmcnt(0)
	;;#ASMEND
.LBB1689_102:
	s_or_b32 exec_lo, exec_lo, s7
	v_xad_u32 v24, v82, -1, s26
	s_mov_b32 s8, 0
	s_mov_b32 s7, exec_lo
	s_delay_alu instid0(VALU_DEP_1) | instskip(NEXT) | instid1(VALU_DEP_1)
	v_add_nc_u32_e32 v7, 32, v24
	v_lshlrev_b64 v[6:7], 4, v[7:8]
	s_delay_alu instid0(VALU_DEP_1) | instskip(NEXT) | instid1(VALU_DEP_2)
	v_add_co_u32 v25, vcc_lo, s36, v6
	v_add_co_ci_u32_e32 v26, vcc_lo, s37, v7, vcc_lo
	;;#ASMSTART
	global_load_dwordx4 v[6:9], v[25:26] off glc	
s_waitcnt vmcnt(0)
	;;#ASMEND
	v_and_b32_e32 v9, 0xff, v7
	v_and_b32_e32 v27, 0xff00, v7
	v_or3_b32 v6, v6, 0, 0
	v_and_b32_e32 v28, 0xff000000, v7
	v_and_b32_e32 v7, 0xff0000, v7
	s_delay_alu instid0(VALU_DEP_4) | instskip(SKIP_2) | instid1(VALU_DEP_3)
	v_or3_b32 v9, 0, v9, v27
	v_and_b32_e32 v27, 0xff, v8
	v_or3_b32 v6, v6, 0, 0
	v_or3_b32 v7, v9, v7, v28
	s_delay_alu instid0(VALU_DEP_3)
	v_cmpx_eq_u16_e32 0, v27
	s_cbranch_execz .LBB1689_108
; %bb.103:
	s_mov_b32 s9, 1
	.p2align	6
.LBB1689_104:                           ; =>This Loop Header: Depth=1
                                        ;     Child Loop BB1689_105 Depth 2
	s_delay_alu instid0(SALU_CYCLE_1)
	s_max_u32 s10, s9, 1
.LBB1689_105:                           ;   Parent Loop BB1689_104 Depth=1
                                        ; =>  This Inner Loop Header: Depth=2
	s_delay_alu instid0(SALU_CYCLE_1)
	s_add_i32 s10, s10, -1
	s_sleep 1
	s_cmp_eq_u32 s10, 0
	s_cbranch_scc0 .LBB1689_105
; %bb.106:                              ;   in Loop: Header=BB1689_104 Depth=1
	;;#ASMSTART
	global_load_dwordx4 v[6:9], v[25:26] off glc	
s_waitcnt vmcnt(0)
	;;#ASMEND
	v_and_b32_e32 v9, 0xff, v8
	s_cmp_lt_u32 s9, 32
	s_cselect_b32 s10, -1, 0
	s_delay_alu instid0(SALU_CYCLE_1) | instskip(NEXT) | instid1(VALU_DEP_1)
	s_cmp_lg_u32 s10, 0
	v_cmp_ne_u16_e32 vcc_lo, 0, v9
	s_addc_u32 s9, s9, 0
	s_or_b32 s8, vcc_lo, s8
	s_delay_alu instid0(SALU_CYCLE_1)
	s_and_not1_b32 exec_lo, exec_lo, s8
	s_cbranch_execnz .LBB1689_104
; %bb.107:
	s_or_b32 exec_lo, exec_lo, s8
.LBB1689_108:
	s_delay_alu instid0(SALU_CYCLE_1) | instskip(SKIP_3) | instid1(VALU_DEP_1)
	s_or_b32 exec_lo, exec_lo, s7
	v_cmp_ne_u32_e32 vcc_lo, 31, v82
	v_lshlrev_b32_e64 v92, v82, -1
	v_add_co_ci_u32_e32 v9, vcc_lo, 0, v82, vcc_lo
	v_lshlrev_b32_e32 v91, 2, v9
	ds_bpermute_b32 v25, v91, v7
	ds_bpermute_b32 v9, v91, v6
	s_waitcnt lgkmcnt(1)
	v_add_nc_u32_e32 v25, v25, v7
	v_and_b32_e32 v26, 0xff, v8
	s_waitcnt lgkmcnt(0)
	v_add_nc_u32_e32 v9, v9, v6
	s_delay_alu instid0(VALU_DEP_2) | instskip(SKIP_2) | instid1(VALU_DEP_2)
	v_cmp_eq_u16_e32 vcc_lo, 2, v26
	v_and_or_b32 v26, vcc_lo, v92, 0x80000000
	v_cmp_gt_u32_e32 vcc_lo, 30, v82
	v_ctz_i32_b32_e32 v26, v26
	v_cndmask_b32_e64 v27, 0, 1, vcc_lo
	s_delay_alu instid0(VALU_DEP_2) | instskip(NEXT) | instid1(VALU_DEP_2)
	v_cmp_lt_u32_e32 vcc_lo, v82, v26
	v_dual_cndmask_b32 v6, v6, v9 :: v_dual_lshlrev_b32 v27, 1, v27
	s_delay_alu instid0(VALU_DEP_1)
	v_add_lshl_u32 v93, v27, v82, 2
	v_cndmask_b32_e32 v7, v7, v25, vcc_lo
	v_cmp_gt_u32_e32 vcc_lo, 28, v82
	ds_bpermute_b32 v9, v93, v6
	ds_bpermute_b32 v25, v93, v7
	v_cndmask_b32_e64 v27, 0, 1, vcc_lo
	s_waitcnt lgkmcnt(1)
	v_add_nc_u32_e32 v9, v6, v9
	s_waitcnt lgkmcnt(0)
	v_add_nc_u32_e32 v25, v7, v25
	v_add_nc_u32_e32 v94, 2, v82
	s_delay_alu instid0(VALU_DEP_1) | instskip(NEXT) | instid1(VALU_DEP_3)
	v_cmp_gt_u32_e32 vcc_lo, v94, v26
	v_cndmask_b32_e32 v7, v25, v7, vcc_lo
	v_dual_cndmask_b32 v6, v9, v6 :: v_dual_lshlrev_b32 v27, 2, v27
	v_cmp_gt_u32_e32 vcc_lo, 24, v82
	s_delay_alu instid0(VALU_DEP_2) | instskip(SKIP_4) | instid1(VALU_DEP_1)
	v_add_lshl_u32 v95, v27, v82, 2
	v_cndmask_b32_e64 v27, 0, 1, vcc_lo
	ds_bpermute_b32 v25, v95, v7
	ds_bpermute_b32 v9, v95, v6
	v_lshlrev_b32_e32 v27, 3, v27
	v_add_lshl_u32 v97, v27, v82, 2
	s_waitcnt lgkmcnt(1)
	v_add_nc_u32_e32 v25, v7, v25
	v_add_nc_u32_e32 v96, 4, v82
	s_waitcnt lgkmcnt(0)
	v_add_nc_u32_e32 v9, v6, v9
	s_delay_alu instid0(VALU_DEP_2) | instskip(SKIP_1) | instid1(VALU_DEP_3)
	v_cmp_gt_u32_e32 vcc_lo, v96, v26
	v_cndmask_b32_e32 v7, v25, v7, vcc_lo
	v_cndmask_b32_e32 v6, v9, v6, vcc_lo
	v_cmp_gt_u32_e32 vcc_lo, 16, v82
	ds_bpermute_b32 v25, v97, v7
	ds_bpermute_b32 v9, v97, v6
	v_cndmask_b32_e64 v27, 0, 1, vcc_lo
	s_delay_alu instid0(VALU_DEP_1) | instskip(NEXT) | instid1(VALU_DEP_1)
	v_lshlrev_b32_e32 v27, 4, v27
	v_add_lshl_u32 v99, v27, v82, 2
	s_waitcnt lgkmcnt(1)
	v_add_nc_u32_e32 v25, v7, v25
	v_add_nc_u32_e32 v98, 8, v82
	s_waitcnt lgkmcnt(0)
	v_add_nc_u32_e32 v9, v6, v9
	s_delay_alu instid0(VALU_DEP_2) | instskip(SKIP_1) | instid1(VALU_DEP_3)
	v_cmp_gt_u32_e32 vcc_lo, v98, v26
	v_cndmask_b32_e32 v7, v25, v7, vcc_lo
	v_cndmask_b32_e32 v6, v9, v6, vcc_lo
	ds_bpermute_b32 v25, v99, v7
	ds_bpermute_b32 v9, v99, v6
	v_add_nc_u32_e32 v100, 16, v82
	s_delay_alu instid0(VALU_DEP_1) | instskip(SKIP_2) | instid1(VALU_DEP_1)
	v_cmp_le_u32_e32 vcc_lo, v100, v26
	s_waitcnt lgkmcnt(0)
	v_cndmask_b32_e32 v9, 0, v9, vcc_lo
	v_dual_cndmask_b32 v25, 0, v25 :: v_dual_add_nc_u32 v6, v9, v6
	s_delay_alu instid0(VALU_DEP_1)
	v_add_nc_u32_e32 v7, v25, v7
	v_mov_b32_e32 v25, 0
	s_branch .LBB1689_110
.LBB1689_109:                           ;   in Loop: Header=BB1689_110 Depth=1
	s_or_b32 exec_lo, exec_lo, s7
	ds_bpermute_b32 v9, v91, v6
	ds_bpermute_b32 v28, v91, v7
	v_subrev_nc_u32_e32 v24, 32, v24
	s_waitcnt lgkmcnt(1)
	v_add_nc_u32_e32 v9, v9, v6
	v_and_b32_e32 v29, 0xff, v8
	s_waitcnt lgkmcnt(0)
	v_add_nc_u32_e32 v28, v28, v7
	s_delay_alu instid0(VALU_DEP_2) | instskip(SKIP_1) | instid1(VALU_DEP_1)
	v_cmp_eq_u16_e32 vcc_lo, 2, v29
	v_and_or_b32 v29, vcc_lo, v92, 0x80000000
	v_ctz_i32_b32_e32 v29, v29
	s_delay_alu instid0(VALU_DEP_1)
	v_cmp_lt_u32_e32 vcc_lo, v82, v29
	v_cndmask_b32_e32 v6, v6, v9, vcc_lo
	ds_bpermute_b32 v9, v93, v6
	s_waitcnt lgkmcnt(0)
	v_add_nc_u32_e32 v9, v6, v9
	v_cndmask_b32_e32 v7, v7, v28, vcc_lo
	v_cmp_gt_u32_e32 vcc_lo, v94, v29
	s_delay_alu instid0(VALU_DEP_3)
	v_cndmask_b32_e32 v6, v9, v6, vcc_lo
	ds_bpermute_b32 v28, v93, v7
	ds_bpermute_b32 v9, v95, v6
	s_waitcnt lgkmcnt(1)
	v_add_nc_u32_e32 v28, v7, v28
	s_waitcnt lgkmcnt(0)
	v_add_nc_u32_e32 v9, v6, v9
	s_delay_alu instid0(VALU_DEP_2) | instskip(SKIP_1) | instid1(VALU_DEP_3)
	v_cndmask_b32_e32 v7, v28, v7, vcc_lo
	v_cmp_gt_u32_e32 vcc_lo, v96, v29
	v_cndmask_b32_e32 v6, v9, v6, vcc_lo
	ds_bpermute_b32 v28, v95, v7
	ds_bpermute_b32 v9, v97, v6
	s_waitcnt lgkmcnt(1)
	v_add_nc_u32_e32 v28, v7, v28
	s_waitcnt lgkmcnt(0)
	v_add_nc_u32_e32 v9, v6, v9
	s_delay_alu instid0(VALU_DEP_2) | instskip(SKIP_1) | instid1(VALU_DEP_3)
	v_cndmask_b32_e32 v7, v28, v7, vcc_lo
	v_cmp_gt_u32_e32 vcc_lo, v98, v29
	v_cndmask_b32_e32 v6, v9, v6, vcc_lo
	ds_bpermute_b32 v28, v97, v7
	ds_bpermute_b32 v9, v99, v6
	s_waitcnt lgkmcnt(1)
	v_add_nc_u32_e32 v28, v7, v28
	s_delay_alu instid0(VALU_DEP_1) | instskip(SKIP_4) | instid1(VALU_DEP_1)
	v_cndmask_b32_e32 v7, v28, v7, vcc_lo
	v_cmp_le_u32_e32 vcc_lo, v100, v29
	ds_bpermute_b32 v28, v99, v7
	s_waitcnt lgkmcnt(1)
	v_cndmask_b32_e32 v9, 0, v9, vcc_lo
	v_add3_u32 v6, v6, v26, v9
	s_waitcnt lgkmcnt(0)
	v_cndmask_b32_e32 v28, 0, v28, vcc_lo
	s_delay_alu instid0(VALU_DEP_1)
	v_add3_u32 v7, v7, v27, v28
.LBB1689_110:                           ; =>This Loop Header: Depth=1
                                        ;     Child Loop BB1689_113 Depth 2
                                        ;       Child Loop BB1689_114 Depth 3
	s_delay_alu instid0(VALU_DEP_1) | instskip(SKIP_1) | instid1(VALU_DEP_2)
	v_dual_mov_b32 v27, v7 :: v_dual_and_b32 v8, 0xff, v8
	v_mov_b32_e32 v26, v6
	v_cmp_ne_u16_e32 vcc_lo, 2, v8
	v_cndmask_b32_e64 v8, 0, 1, vcc_lo
	;;#ASMSTART
	;;#ASMEND
	s_delay_alu instid0(VALU_DEP_1)
	v_cmp_ne_u32_e32 vcc_lo, 0, v8
	s_cmp_lg_u32 vcc_lo, exec_lo
	s_cbranch_scc1 .LBB1689_117
; %bb.111:                              ;   in Loop: Header=BB1689_110 Depth=1
	v_lshlrev_b64 v[6:7], 4, v[24:25]
	s_mov_b32 s7, exec_lo
	s_delay_alu instid0(VALU_DEP_1) | instskip(NEXT) | instid1(VALU_DEP_2)
	v_add_co_u32 v28, vcc_lo, s36, v6
	v_add_co_ci_u32_e32 v29, vcc_lo, s37, v7, vcc_lo
	;;#ASMSTART
	global_load_dwordx4 v[6:9], v[28:29] off glc	
s_waitcnt vmcnt(0)
	;;#ASMEND
	v_and_b32_e32 v9, 0xff, v7
	v_and_b32_e32 v101, 0xff00, v7
	v_or3_b32 v6, v6, 0, 0
	v_and_b32_e32 v102, 0xff000000, v7
	v_and_b32_e32 v7, 0xff0000, v7
	s_delay_alu instid0(VALU_DEP_4) | instskip(SKIP_2) | instid1(VALU_DEP_3)
	v_or3_b32 v9, 0, v9, v101
	v_and_b32_e32 v101, 0xff, v8
	v_or3_b32 v6, v6, 0, 0
	v_or3_b32 v7, v9, v7, v102
	s_delay_alu instid0(VALU_DEP_3)
	v_cmpx_eq_u16_e32 0, v101
	s_cbranch_execz .LBB1689_109
; %bb.112:                              ;   in Loop: Header=BB1689_110 Depth=1
	s_mov_b32 s9, 1
	s_mov_b32 s8, 0
	.p2align	6
.LBB1689_113:                           ;   Parent Loop BB1689_110 Depth=1
                                        ; =>  This Loop Header: Depth=2
                                        ;       Child Loop BB1689_114 Depth 3
	s_max_u32 s10, s9, 1
.LBB1689_114:                           ;   Parent Loop BB1689_110 Depth=1
                                        ;     Parent Loop BB1689_113 Depth=2
                                        ; =>    This Inner Loop Header: Depth=3
	s_delay_alu instid0(SALU_CYCLE_1)
	s_add_i32 s10, s10, -1
	s_sleep 1
	s_cmp_eq_u32 s10, 0
	s_cbranch_scc0 .LBB1689_114
; %bb.115:                              ;   in Loop: Header=BB1689_113 Depth=2
	;;#ASMSTART
	global_load_dwordx4 v[6:9], v[28:29] off glc	
s_waitcnt vmcnt(0)
	;;#ASMEND
	v_and_b32_e32 v9, 0xff, v8
	s_cmp_lt_u32 s9, 32
	s_cselect_b32 s10, -1, 0
	s_delay_alu instid0(SALU_CYCLE_1) | instskip(NEXT) | instid1(VALU_DEP_1)
	s_cmp_lg_u32 s10, 0
	v_cmp_ne_u16_e32 vcc_lo, 0, v9
	s_addc_u32 s9, s9, 0
	s_or_b32 s8, vcc_lo, s8
	s_delay_alu instid0(SALU_CYCLE_1)
	s_and_not1_b32 exec_lo, exec_lo, s8
	s_cbranch_execnz .LBB1689_113
; %bb.116:                              ;   in Loop: Header=BB1689_110 Depth=1
	s_or_b32 exec_lo, exec_lo, s8
	s_branch .LBB1689_109
.LBB1689_117:                           ;   in Loop: Header=BB1689_110 Depth=1
                                        ; implicit-def: $vgpr8
                                        ; implicit-def: $vgpr6_vgpr7
	s_cbranch_execz .LBB1689_110
; %bb.118:
	s_and_saveexec_b32 s7, s3
	s_cbranch_execnz .LBB1689_361
; %bb.119:
	s_or_b32 exec_lo, exec_lo, s7
	s_and_saveexec_b32 s7, s3
	s_cbranch_execnz .LBB1689_362
.LBB1689_120:
	s_or_b32 exec_lo, exec_lo, s7
	s_delay_alu instid0(SALU_CYCLE_1)
	s_and_b32 exec_lo, exec_lo, s2
	s_cbranch_execz .LBB1689_122
.LBB1689_121:
	v_mov_b32_e32 v5, 0
	ds_store_b64 v5, v[26:27] offset:56
.LBB1689_122:
	s_or_b32 exec_lo, exec_lo, s5
	s_waitcnt lgkmcnt(1)
	v_cndmask_b32_e64 v22, v89, v22, s3
	v_mov_b32_e32 v5, 0
	s_waitcnt lgkmcnt(0)
	s_barrier
	buffer_gl0_inv
	v_add_nc_u32_e64 v7, 0x3400, 0
	ds_load_b64 v[24:25], v5 offset:56
	s_waitcnt lgkmcnt(0)
	s_barrier
	buffer_gl0_inv
	ds_load_2addr_b32 v[5:6], v7 offset1:2
	ds_load_2addr_b32 v[7:8], v7 offset0:4 offset1:6
	v_cndmask_b32_e64 v9, v90, v23, s3
	v_add_nc_u32_e32 v22, v24, v22
	s_delay_alu instid0(VALU_DEP_2) | instskip(NEXT) | instid1(VALU_DEP_2)
	v_add_nc_u32_e32 v9, v25, v9
	v_cndmask_b32_e64 v22, v22, v24, s2
	s_delay_alu instid0(VALU_DEP_2)
	v_cndmask_b32_e64 v9, v9, v25, s2
	s_branch .LBB1689_133
.LBB1689_123:
                                        ; implicit-def: $vgpr9
                                        ; implicit-def: $vgpr7
                                        ; implicit-def: $vgpr5
                                        ; implicit-def: $vgpr22_vgpr23
	s_and_b32 vcc_lo, exec_lo, s5
	s_cbranch_vccz .LBB1689_133
; %bb.124:
	s_waitcnt lgkmcnt(1)
	v_mov_b32_dpp v6, v88 row_shr:1 row_mask:0xf bank_mask:0xf
	v_cmp_lt_u32_e32 vcc_lo, 3, v86
	v_mov_b32_dpp v5, v87 row_shr:1 row_mask:0xf bank_mask:0xf
	s_delay_alu instid0(VALU_DEP_3) | instskip(NEXT) | instid1(VALU_DEP_1)
	v_add_nc_u32_e32 v6, v6, v88
	v_cndmask_b32_e64 v6, v6, v88, s1
	s_waitcnt lgkmcnt(0)
	s_delay_alu instid0(VALU_DEP_1) | instskip(NEXT) | instid1(VALU_DEP_1)
	v_mov_b32_dpp v8, v6 row_shr:2 row_mask:0xf bank_mask:0xf
	v_add_nc_u32_e32 v8, v6, v8
	s_delay_alu instid0(VALU_DEP_1) | instskip(NEXT) | instid1(VALU_DEP_1)
	v_cndmask_b32_e64 v6, v6, v8, s0
	v_mov_b32_dpp v8, v6 row_shr:4 row_mask:0xf bank_mask:0xf
	s_delay_alu instid0(VALU_DEP_1) | instskip(NEXT) | instid1(VALU_DEP_1)
	v_add_nc_u32_e32 v8, v6, v8
	v_dual_cndmask_b32 v6, v6, v8 :: v_dual_add_nc_u32 v5, v5, v87
	s_delay_alu instid0(VALU_DEP_1) | instskip(NEXT) | instid1(VALU_DEP_2)
	v_cndmask_b32_e64 v5, v5, v87, s1
	v_mov_b32_dpp v8, v6 row_shr:8 row_mask:0xf bank_mask:0xf
	s_delay_alu instid0(VALU_DEP_2) | instskip(NEXT) | instid1(VALU_DEP_2)
	v_mov_b32_dpp v7, v5 row_shr:2 row_mask:0xf bank_mask:0xf
	v_add_nc_u32_e32 v8, v6, v8
	s_delay_alu instid0(VALU_DEP_2) | instskip(NEXT) | instid1(VALU_DEP_1)
	v_add_nc_u32_e32 v7, v5, v7
	v_cndmask_b32_e64 v5, v5, v7, s0
	s_mov_b32 s0, exec_lo
	s_delay_alu instid0(VALU_DEP_1) | instskip(NEXT) | instid1(VALU_DEP_1)
	v_mov_b32_dpp v7, v5 row_shr:4 row_mask:0xf bank_mask:0xf
	v_add_nc_u32_e32 v7, v5, v7
	s_delay_alu instid0(VALU_DEP_1) | instskip(SKIP_1) | instid1(VALU_DEP_2)
	v_cndmask_b32_e32 v5, v5, v7, vcc_lo
	v_cmp_lt_u32_e32 vcc_lo, 7, v86
	v_mov_b32_dpp v7, v5 row_shr:8 row_mask:0xf bank_mask:0xf
	s_delay_alu instid0(VALU_DEP_1) | instskip(NEXT) | instid1(VALU_DEP_1)
	v_dual_cndmask_b32 v6, v6, v8 :: v_dual_add_nc_u32 v7, v5, v7
	v_cndmask_b32_e32 v5, v5, v7, vcc_lo
	ds_swizzle_b32 v7, v6 offset:swizzle(BROADCAST,32,15)
	v_cmp_eq_u32_e32 vcc_lo, 0, v85
	ds_swizzle_b32 v8, v5 offset:swizzle(BROADCAST,32,15)
	s_waitcnt lgkmcnt(1)
	v_add_nc_u32_e32 v7, v6, v7
	s_waitcnt lgkmcnt(0)
	v_add_nc_u32_e32 v8, v5, v8
	s_delay_alu instid0(VALU_DEP_1)
	v_dual_cndmask_b32 v6, v7, v6 :: v_dual_cndmask_b32 v5, v8, v5
	v_cmpx_eq_u32_e64 v84, v0
	s_cbranch_execz .LBB1689_126
; %bb.125:
	v_lshlrev_b32_e32 v7, 3, v83
	ds_store_b64 v7, v[5:6]
.LBB1689_126:
	s_or_b32 exec_lo, exec_lo, s0
	s_delay_alu instid0(SALU_CYCLE_1)
	s_mov_b32 s0, exec_lo
	s_waitcnt lgkmcnt(0)
	s_barrier
	buffer_gl0_inv
	v_cmpx_gt_u32_e32 8, v0
	s_cbranch_execz .LBB1689_128
; %bb.127:
	v_lshlrev_b32_e32 v9, 3, v0
	ds_load_b64 v[7:8], v9
	s_waitcnt lgkmcnt(0)
	v_mov_b32_dpp v22, v7 row_shr:1 row_mask:0xf bank_mask:0xf
	v_mov_b32_dpp v23, v8 row_shr:1 row_mask:0xf bank_mask:0xf
	s_delay_alu instid0(VALU_DEP_2) | instskip(SKIP_1) | instid1(VALU_DEP_3)
	v_add_nc_u32_e32 v22, v22, v7
	v_and_b32_e32 v24, 7, v82
	v_add_nc_u32_e32 v23, v23, v8
	s_delay_alu instid0(VALU_DEP_2) | instskip(NEXT) | instid1(VALU_DEP_2)
	v_cmp_eq_u32_e32 vcc_lo, 0, v24
	v_dual_cndmask_b32 v8, v23, v8 :: v_dual_cndmask_b32 v7, v22, v7
	v_cmp_lt_u32_e32 vcc_lo, 1, v24
	s_delay_alu instid0(VALU_DEP_2) | instskip(NEXT) | instid1(VALU_DEP_3)
	v_mov_b32_dpp v23, v8 row_shr:2 row_mask:0xf bank_mask:0xf
	v_mov_b32_dpp v22, v7 row_shr:2 row_mask:0xf bank_mask:0xf
	s_delay_alu instid0(VALU_DEP_2) | instskip(NEXT) | instid1(VALU_DEP_2)
	v_add_nc_u32_e32 v23, v8, v23
	v_add_nc_u32_e32 v22, v7, v22
	s_delay_alu instid0(VALU_DEP_1) | instskip(SKIP_1) | instid1(VALU_DEP_2)
	v_dual_cndmask_b32 v8, v8, v23 :: v_dual_cndmask_b32 v7, v7, v22
	v_cmp_lt_u32_e32 vcc_lo, 3, v24
	v_mov_b32_dpp v23, v8 row_shr:4 row_mask:0xf bank_mask:0xf
	s_delay_alu instid0(VALU_DEP_3) | instskip(NEXT) | instid1(VALU_DEP_1)
	v_mov_b32_dpp v22, v7 row_shr:4 row_mask:0xf bank_mask:0xf
	v_dual_cndmask_b32 v23, 0, v23 :: v_dual_cndmask_b32 v22, 0, v22
	s_delay_alu instid0(VALU_DEP_1) | instskip(NEXT) | instid1(VALU_DEP_2)
	v_add_nc_u32_e32 v8, v23, v8
	v_add_nc_u32_e32 v7, v22, v7
	ds_store_b64 v9, v[7:8]
.LBB1689_128:
	s_or_b32 exec_lo, exec_lo, s0
	v_dual_mov_b32 v7, 0 :: v_dual_mov_b32 v22, 0
	v_mov_b32_e32 v23, 0
	s_mov_b32 s0, exec_lo
	s_waitcnt lgkmcnt(0)
	s_barrier
	buffer_gl0_inv
	v_cmpx_lt_u32_e32 31, v0
	s_cbranch_execz .LBB1689_130
; %bb.129:
	v_lshl_add_u32 v8, v83, 3, -8
	ds_load_b64 v[22:23], v8
.LBB1689_130:
	s_or_b32 exec_lo, exec_lo, s0
	v_add_nc_u32_e32 v8, -1, v82
	s_waitcnt lgkmcnt(0)
	v_add_nc_u32_e32 v24, v23, v6
	v_add_nc_u32_e32 v9, v22, v5
	ds_load_b64 v[5:6], v7 offset:56
	v_cmp_gt_i32_e32 vcc_lo, 0, v8
	v_cndmask_b32_e32 v8, v8, v82, vcc_lo
	s_delay_alu instid0(VALU_DEP_1)
	v_lshlrev_b32_e32 v8, 2, v8
	ds_bpermute_b32 v9, v8, v9
	ds_bpermute_b32 v24, v8, v24
	s_waitcnt lgkmcnt(2)
	v_readfirstlane_b32 s0, v6
	s_and_saveexec_b32 s1, s2
	s_cbranch_execz .LBB1689_132
; %bb.131:
	s_mov_b32 s8, 0
	s_add_u32 s6, s36, 0x200
	s_addc_u32 s7, s37, 0
	s_and_b32 s9, s0, 0xff000000
	s_and_b32 s11, s0, 0xff0000
	s_mov_b32 s10, s8
	v_mov_b32_e32 v26, s7
	s_or_b64 s[10:11], s[10:11], s[8:9]
	s_and_b32 s9, s0, 0xff00
	v_dual_mov_b32 v8, 0 :: v_dual_mov_b32 v25, s6
	s_or_b64 s[10:11], s[10:11], s[8:9]
	s_and_b32 s9, s0, 0xff
	v_mov_b32_e32 v7, 2
	s_or_b64 s[8:9], s[10:11], s[8:9]
	s_delay_alu instid0(SALU_CYCLE_1)
	v_mov_b32_e32 v6, s9
	;;#ASMSTART
	global_store_dwordx4 v[25:26], v[5:8] off	
s_waitcnt vmcnt(0)
	;;#ASMEND
.LBB1689_132:
	s_or_b32 exec_lo, exec_lo, s1
	v_cmp_eq_u32_e32 vcc_lo, 0, v82
	v_dual_mov_b32 v7, 0 :: v_dual_mov_b32 v6, s0
	s_waitcnt lgkmcnt(0)
	s_barrier
	v_dual_cndmask_b32 v8, v9, v22 :: v_dual_cndmask_b32 v9, v24, v23
	buffer_gl0_inv
	v_cndmask_b32_e64 v22, v8, 0, s2
	v_cndmask_b32_e64 v9, v9, 0, s2
	v_mov_b32_e32 v8, 0
.LBB1689_133:
	s_delay_alu instid0(VALU_DEP_1) | instskip(SKIP_1) | instid1(VALU_DEP_2)
	v_add_nc_u32_e32 v24, v9, v81
	s_waitcnt lgkmcnt(0)
	v_sub_nc_u32_e32 v9, v9, v8
	v_add_co_u32 v1, vcc_lo, v1, v7
	v_and_b32_e32 v35, 1, v35
	v_add_nc_u32_e32 v26, v24, v77
	v_sub_nc_u32_e32 v24, v24, v8
	v_lshlrev_b32_e32 v77, 1, v5
	v_add_nc_u32_e32 v9, v9, v5
	v_add_co_ci_u32_e32 v2, vcc_lo, 0, v2, vcc_lo
	v_add_nc_u32_e32 v28, v26, v79
	s_delay_alu instid0(VALU_DEP_4)
	v_add3_u32 v33, v77, v6, v33
	v_and_b32_e32 v40, 1, v40
	v_and_b32_e32 v37, 1, v37
	;; [unrolled: 1-line block ×3, first 2 shown]
	v_add_nc_u32_e32 v29, v28, v75
	v_sub_nc_u32_e32 v28, v28, v8
	v_sub_co_u32 v75, vcc_lo, v3, v5
	s_add_u32 s1, s14, -4
	s_delay_alu instid0(VALU_DEP_3) | instskip(SKIP_4) | instid1(VALU_DEP_3)
	v_add_nc_u32_e32 v73, v29, v73
	v_sub_nc_u32_e32 v29, v29, v8
	v_add_nc_u32_e32 v28, v28, v5
	v_add_nc_u32_e32 v24, v24, v5
	s_mov_b32 s3, -1
	v_add_nc_u32_e32 v29, v29, v5
	v_add_nc_u32_e32 v23, v22, v80
	v_sub_nc_u32_e32 v22, v22, v7
	s_delay_alu instid0(VALU_DEP_2) | instskip(SKIP_3) | instid1(VALU_DEP_3)
	v_add_nc_u32_e32 v25, v23, v76
	v_sub_nc_u32_e32 v23, v23, v7
	v_subrev_co_ci_u32_e32 v76, vcc_lo, 0, v4, vcc_lo
	v_cmp_eq_u32_e32 vcc_lo, 1, v35
	v_add_nc_u32_e32 v79, v24, v23
	s_delay_alu instid0(VALU_DEP_1) | instskip(NEXT) | instid1(VALU_DEP_1)
	v_sub_nc_u32_e32 v79, v33, v79
	v_add_nc_u32_e32 v79, 1, v79
	v_add_nc_u32_e32 v27, v25, v78
	;; [unrolled: 1-line block ×3, first 2 shown]
	s_delay_alu instid0(VALU_DEP_1) | instskip(NEXT) | instid1(VALU_DEP_1)
	v_sub_nc_u32_e32 v78, v33, v78
	v_dual_cndmask_b32 v9, v78, v9 :: v_dual_and_b32 v34, 1, v34
	v_cmp_eq_u32_e32 vcc_lo, 1, v40
	v_cndmask_b32_e32 v24, v79, v24, vcc_lo
	s_delay_alu instid0(VALU_DEP_3) | instskip(NEXT) | instid1(VALU_DEP_4)
	v_cmp_eq_u32_e32 vcc_lo, 1, v34
	v_cndmask_b32_e32 v9, v9, v22, vcc_lo
	v_sub_nc_u32_e32 v26, v26, v8
	v_cmp_eq_u32_e32 vcc_lo, 1, v37
	v_and_b32_e32 v37, 1, v38
	s_delay_alu instid0(VALU_DEP_4) | instskip(NEXT) | instid1(VALU_DEP_4)
	v_lshlrev_b32_e32 v9, 2, v9
	v_add_nc_u32_e32 v26, v26, v5
	v_cndmask_b32_e32 v24, v24, v23, vcc_lo
	v_sub_nc_u32_e32 v25, v25, v7
	v_add_co_u32 v22, vcc_lo, v75, v8
	v_add_co_ci_u32_e32 v23, vcc_lo, 0, v76, vcc_lo
	s_delay_alu instid0(VALU_DEP_3)
	v_add_nc_u32_e32 v34, v26, v25
	v_cmp_eq_u32_e32 vcc_lo, 1, v37
	v_lshlrev_b32_e32 v24, 2, v24
	ds_store_b32 v9, v20
	v_sub_nc_u32_e32 v34, v33, v34
	ds_store_b32 v24, v21
	v_and_b32_e32 v24, 1, v39
	v_add_nc_u32_e32 v34, 2, v34
	s_delay_alu instid0(VALU_DEP_1) | instskip(SKIP_3) | instid1(VALU_DEP_4)
	v_cndmask_b32_e32 v26, v34, v26, vcc_lo
	v_cmp_eq_u32_e32 vcc_lo, 1, v36
	v_add_nc_u32_e32 v74, v27, v74
	v_sub_nc_u32_e32 v27, v27, v7
	v_cndmask_b32_e32 v25, v26, v25, vcc_lo
	s_delay_alu instid0(VALU_DEP_3) | instskip(NEXT) | instid1(VALU_DEP_3)
	v_sub_nc_u32_e32 v37, v74, v7
	v_add_nc_u32_e32 v34, v27, v28
	v_cmp_eq_u32_e32 vcc_lo, 1, v24
	v_sub_nc_u32_e32 v26, v73, v8
	v_lshlrev_b32_e32 v21, 2, v25
	v_and_b32_e32 v25, 1, v41
	v_sub_nc_u32_e32 v9, v33, v34
	v_add_nc_u32_e32 v20, v37, v29
	v_and_b32_e32 v24, 1, v42
	v_add_nc_u32_e32 v26, v26, v5
	ds_store_b32 v21, v18
	v_add_nc_u32_e32 v9, 3, v9
	v_sub_nc_u32_e32 v20, v33, v20
	s_delay_alu instid0(VALU_DEP_2) | instskip(SKIP_2) | instid1(VALU_DEP_4)
	v_cndmask_b32_e32 v9, v9, v28, vcc_lo
	v_cmp_eq_u32_e32 vcc_lo, 1, v25
	v_add_nc_u32_e32 v72, v74, v72
	v_add_nc_u32_e32 v20, 4, v20
	v_and_b32_e32 v25, 1, v43
	v_cndmask_b32_e32 v9, v9, v27, vcc_lo
	s_delay_alu instid0(VALU_DEP_4)
	v_sub_nc_u32_e32 v28, v72, v7
	v_cmp_eq_u32_e32 vcc_lo, 1, v24
	v_and_b32_e32 v24, 1, v44
	v_add_nc_u32_e32 v70, v72, v70
	v_lshlrev_b32_e32 v9, 2, v9
	v_add_nc_u32_e32 v27, v28, v26
	v_cndmask_b32_e32 v20, v20, v29, vcc_lo
	v_cmp_eq_u32_e32 vcc_lo, 1, v25
	v_and_b32_e32 v25, 1, v45
	v_add_nc_u32_e32 v64, v70, v64
	v_sub_nc_u32_e32 v18, v33, v27
	v_sub_nc_u32_e32 v27, v70, v7
	v_cndmask_b32_e32 v20, v20, v37, vcc_lo
	v_cmp_eq_u32_e32 vcc_lo, 1, v24
	ds_store_b32 v9, v19
	v_add_nc_u32_e32 v18, 5, v18
	v_and_b32_e32 v19, 1, v46
	v_lshlrev_b32_e32 v20, 2, v20
	v_add_nc_u32_e32 v68, v64, v68
	s_delay_alu instid0(VALU_DEP_4)
	v_cndmask_b32_e32 v18, v18, v26, vcc_lo
	v_cmp_eq_u32_e32 vcc_lo, 1, v25
	v_sub_nc_u32_e32 v25, v64, v7
	ds_store_b32 v20, v16
	v_and_b32_e32 v20, 1, v49
	v_add_nc_u32_e32 v66, v68, v66
	v_dual_cndmask_b32 v18, v18, v28 :: v_dual_add_nc_u32 v71, v73, v71
	v_cmp_eq_u32_e32 vcc_lo, 1, v19
	v_and_b32_e32 v19, 1, v48
	s_delay_alu instid0(VALU_DEP_4) | instskip(NEXT) | instid1(VALU_DEP_4)
	v_add_nc_u32_e32 v61, v66, v61
	v_lshlrev_b32_e32 v18, 2, v18
	v_add_nc_u32_e32 v65, v71, v65
	v_sub_nc_u32_e32 v21, v71, v8
	s_delay_alu instid0(VALU_DEP_4)
	v_add_nc_u32_e32 v60, v61, v60
	ds_store_b32 v18, v17
	v_sub_nc_u32_e32 v24, v65, v8
	v_add_nc_u32_e32 v21, v21, v5
	v_add_nc_u32_e32 v69, v65, v69
	v_and_b32_e32 v17, 1, v47
	s_delay_alu instid0(VALU_DEP_4) | instskip(NEXT) | instid1(VALU_DEP_4)
	v_add_nc_u32_e32 v24, v24, v5
	v_add_nc_u32_e32 v26, v27, v21
	s_delay_alu instid0(VALU_DEP_4) | instskip(NEXT) | instid1(VALU_DEP_3)
	v_sub_nc_u32_e32 v18, v69, v8
	v_add_nc_u32_e32 v16, v25, v24
	s_delay_alu instid0(VALU_DEP_3) | instskip(NEXT) | instid1(VALU_DEP_3)
	v_sub_nc_u32_e32 v9, v33, v26
	v_add_nc_u32_e32 v18, v18, v5
	v_sub_nc_u32_e32 v26, v60, v7
	s_delay_alu instid0(VALU_DEP_4) | instskip(NEXT) | instid1(VALU_DEP_4)
	v_sub_nc_u32_e32 v16, v33, v16
	v_add_nc_u32_e32 v9, 6, v9
	s_delay_alu instid0(VALU_DEP_1) | instskip(SKIP_2) | instid1(VALU_DEP_3)
	v_dual_cndmask_b32 v9, v9, v21 :: v_dual_add_nc_u32 v16, 7, v16
	v_cmp_eq_u32_e32 vcc_lo, 1, v19
	v_sub_nc_u32_e32 v21, v68, v7
	v_cndmask_b32_e32 v16, v16, v24, vcc_lo
	v_cmp_eq_u32_e32 vcc_lo, 1, v17
	s_delay_alu instid0(VALU_DEP_3) | instskip(SKIP_3) | instid1(VALU_DEP_4)
	v_add_nc_u32_e32 v17, v21, v18
	v_cndmask_b32_e32 v9, v9, v27, vcc_lo
	v_cmp_eq_u32_e32 vcc_lo, 1, v20
	v_add_nc_u32_e32 v67, v69, v67
	v_sub_nc_u32_e32 v17, v33, v17
	v_sub_nc_u32_e32 v20, v66, v7
	v_lshlrev_b32_e32 v9, 2, v9
	v_cndmask_b32_e32 v16, v16, v25, vcc_lo
	v_sub_nc_u32_e32 v19, v67, v8
	v_add_nc_u32_e32 v62, v67, v62
	v_sub_nc_u32_e32 v25, v61, v7
	ds_store_b32 v9, v14
	v_and_b32_e32 v9, 1, v50
	v_add_nc_u32_e32 v19, v19, v5
	v_add_nc_u32_e32 v14, 8, v17
	v_lshlrev_b32_e32 v16, 2, v16
	v_add_nc_u32_e32 v63, v62, v63
	v_cmp_eq_u32_e32 vcc_lo, 1, v9
	v_add_nc_u32_e32 v17, v20, v19
	ds_store_b32 v16, v15
	v_and_b32_e32 v15, 1, v51
	v_cndmask_b32_e32 v9, v14, v18, vcc_lo
	v_sub_nc_u32_e32 v14, v33, v17
	v_and_b32_e32 v18, 1, v52
	v_sub_nc_u32_e32 v17, v62, v8
	v_and_b32_e32 v16, 1, v54
	v_sub_nc_u32_e32 v24, v63, v8
	v_add_nc_u32_e32 v14, 9, v14
	v_cmp_eq_u32_e32 vcc_lo, 1, v18
	v_add_nc_u32_e32 v17, v17, v5
	v_add_nc_u32_e32 v35, v63, v59
	;; [unrolled: 1-line block ×3, first 2 shown]
	v_cndmask_b32_e32 v14, v14, v19, vcc_lo
	v_cmp_eq_u32_e32 vcc_lo, 1, v15
	v_add_nc_u32_e32 v15, v25, v17
	s_delay_alu instid0(VALU_DEP_4)
	v_add_nc_u32_e32 v18, v26, v24
	v_and_b32_e32 v19, 1, v55
	v_cndmask_b32_e32 v9, v9, v21, vcc_lo
	v_cmp_eq_u32_e32 vcc_lo, 1, v16
	v_sub_nc_u32_e32 v15, v33, v15
	v_sub_nc_u32_e32 v18, v33, v18
	v_and_b32_e32 v21, 1, v57
	v_sub_nc_u32_e32 v16, v35, v8
	v_cndmask_b32_e32 v14, v14, v20, vcc_lo
	v_and_b32_e32 v20, 1, v53
	v_add_nc_u32_e32 v15, 10, v15
	v_add_nc_u32_e32 v18, 11, v18
	;; [unrolled: 1-line block ×3, first 2 shown]
	v_lshlrev_b32_e32 v9, 2, v9
	v_cmp_eq_u32_e32 vcc_lo, 1, v20
	v_dual_cndmask_b32 v15, v15, v17 :: v_dual_lshlrev_b32 v14, 2, v14
	v_cmp_eq_u32_e32 vcc_lo, 1, v21
	v_and_b32_e32 v17, 1, v56
	v_cndmask_b32_e32 v18, v18, v24, vcc_lo
	v_cmp_eq_u32_e32 vcc_lo, 1, v19
	v_cndmask_b32_e32 v15, v15, v25, vcc_lo
	s_delay_alu instid0(VALU_DEP_4) | instskip(NEXT) | instid1(VALU_DEP_2)
	v_cmp_eq_u32_e32 vcc_lo, 1, v17
	v_lshlrev_b32_e32 v15, 2, v15
	v_cndmask_b32_e32 v17, v18, v26, vcc_lo
	v_add_nc_u32_e32 v40, v60, v58
	s_delay_alu instid0(VALU_DEP_2) | instskip(NEXT) | instid1(VALU_DEP_2)
	v_lshlrev_b32_e32 v17, 2, v17
	v_sub_nc_u32_e32 v7, v40, v7
	ds_store_b32 v9, v12
	ds_store_b32 v14, v13
	;; [unrolled: 1-line block ×4, first 2 shown]
	v_add_co_u32 v9, s0, v6, v77
	s_delay_alu instid0(VALU_DEP_1) | instskip(SKIP_1) | instid1(VALU_DEP_3)
	v_add_co_ci_u32_e64 v10, null, 0, 0, s0
	v_add_nc_u32_e32 v27, v7, v16
	v_add_co_u32 v9, vcc_lo, v9, v22
	s_delay_alu instid0(VALU_DEP_3) | instskip(NEXT) | instid1(VALU_DEP_3)
	v_add_co_ci_u32_e32 v10, vcc_lo, v10, v23, vcc_lo
	v_sub_nc_u32_e32 v20, v33, v27
	v_add_co_u32 v11, s0, s34, v30
	s_delay_alu instid0(VALU_DEP_4) | instskip(NEXT) | instid1(VALU_DEP_3)
	v_add_co_u32 v9, vcc_lo, v9, v1
	v_add_nc_u32_e32 v18, 12, v20
	v_add_co_ci_u32_e64 v12, null, s35, 0, s0
	v_add_co_ci_u32_e32 v10, vcc_lo, v10, v2, vcc_lo
	s_delay_alu instid0(VALU_DEP_3) | instskip(SKIP_1) | instid1(VALU_DEP_2)
	v_cndmask_b32_e64 v16, v18, v16, s33
	v_add_nc_u32_e32 v14, v5, v6
	v_cndmask_b32_e64 v7, v16, v7, s27
	s_delay_alu instid0(VALU_DEP_1)
	v_lshlrev_b32_e32 v7, 2, v7
	ds_store_b32 v7, v32
	v_sub_co_u32 v7, vcc_lo, v11, v9
	v_sub_co_ci_u32_e32 v13, vcc_lo, v12, v10, vcc_lo
	v_lshlrev_b64 v[9:10], 2, v[22:23]
	v_lshlrev_b64 v[11:12], 2, v[1:2]
	s_waitcnt lgkmcnt(0)
	s_barrier
	buffer_gl0_inv
	v_add_co_u32 v9, vcc_lo, s30, v9
	v_add_co_ci_u32_e32 v10, vcc_lo, s31, v10, vcc_lo
	v_cmp_ne_u32_e32 vcc_lo, 1, v31
	v_add_co_u32 v11, s0, s28, v11
	s_delay_alu instid0(VALU_DEP_1)
	v_add_co_ci_u32_e64 v12, s0, s29, v12, s0
	s_addc_u32 s0, s15, -1
	s_cbranch_vccz .LBB1689_137
; %bb.134:
	s_and_b32 vcc_lo, exec_lo, s3
	s_cbranch_vccnz .LBB1689_242
.LBB1689_135:
	s_and_b32 s0, s2, s13
	s_delay_alu instid0(SALU_CYCLE_1)
	s_and_saveexec_b32 s1, s0
	s_cbranch_execnz .LBB1689_360
.LBB1689_136:
	s_nop 0
	s_sendmsg sendmsg(MSG_DEALLOC_VGPRS)
	s_endpgm
.LBB1689_137:
	s_mov_b32 s3, exec_lo
	v_cmpx_le_u32_e64 v5, v0
	s_xor_b32 s3, exec_lo, s3
	s_cbranch_execz .LBB1689_143
; %bb.138:
	s_mov_b32 s5, exec_lo
	v_cmpx_le_u32_e64 v14, v0
	s_xor_b32 s5, exec_lo, s5
	s_cbranch_execz .LBB1689_140
; %bb.139:
	v_lshlrev_b32_e32 v15, 2, v0
	ds_load_b32 v17, v15
	v_add_co_u32 v15, vcc_lo, v7, v0
	v_add_co_ci_u32_e32 v16, vcc_lo, 0, v13, vcc_lo
	s_delay_alu instid0(VALU_DEP_1) | instskip(NEXT) | instid1(VALU_DEP_1)
	v_lshlrev_b64 v[15:16], 2, v[15:16]
	v_sub_co_u32 v15, vcc_lo, s14, v15
	s_delay_alu instid0(VALU_DEP_2)
	v_sub_co_ci_u32_e32 v16, vcc_lo, s15, v16, vcc_lo
	s_waitcnt lgkmcnt(0)
	global_store_b32 v[15:16], v17, off offset:-4
.LBB1689_140:
	s_and_not1_saveexec_b32 s5, s5
	s_cbranch_execz .LBB1689_142
; %bb.141:
	v_lshlrev_b32_e32 v15, 2, v0
	v_readfirstlane_b32 s6, v9
	v_readfirstlane_b32 s7, v10
	ds_load_b32 v16, v15
	s_waitcnt lgkmcnt(0)
	global_store_b32 v15, v16, s[6:7]
.LBB1689_142:
	s_or_b32 exec_lo, exec_lo, s5
.LBB1689_143:
	s_and_not1_saveexec_b32 s3, s3
	s_cbranch_execz .LBB1689_145
; %bb.144:
	v_lshlrev_b32_e32 v15, 2, v0
	v_readfirstlane_b32 s6, v11
	v_readfirstlane_b32 s7, v12
	ds_load_b32 v16, v15
	s_waitcnt lgkmcnt(0)
	global_store_b32 v15, v16, s[6:7]
.LBB1689_145:
	s_or_b32 exec_lo, exec_lo, s3
	v_or_b32_e32 v15, 0x100, v0
	s_mov_b32 s3, exec_lo
	s_delay_alu instid0(VALU_DEP_1)
	v_cmpx_le_u32_e64 v5, v15
	s_xor_b32 s3, exec_lo, s3
	s_cbranch_execz .LBB1689_151
; %bb.146:
	s_mov_b32 s5, exec_lo
	v_cmpx_le_u32_e64 v14, v15
	s_xor_b32 s5, exec_lo, s5
	s_cbranch_execz .LBB1689_148
; %bb.147:
	v_lshlrev_b32_e32 v15, 2, v0
	ds_load_b32 v17, v15 offset:1024
	v_add_co_u32 v15, vcc_lo, v7, v0
	v_add_co_ci_u32_e32 v16, vcc_lo, 0, v13, vcc_lo
	s_delay_alu instid0(VALU_DEP_1) | instskip(NEXT) | instid1(VALU_DEP_1)
	v_lshlrev_b64 v[15:16], 2, v[15:16]
	v_sub_co_u32 v15, vcc_lo, s1, v15
	s_delay_alu instid0(VALU_DEP_2)
	v_sub_co_ci_u32_e32 v16, vcc_lo, s0, v16, vcc_lo
	s_waitcnt lgkmcnt(0)
	global_store_b32 v[15:16], v17, off offset:-1024
.LBB1689_148:
	s_and_not1_saveexec_b32 s5, s5
	s_cbranch_execz .LBB1689_150
; %bb.149:
	v_lshlrev_b32_e32 v15, 2, v0
	v_readfirstlane_b32 s6, v9
	v_readfirstlane_b32 s7, v10
	ds_load_b32 v16, v15 offset:1024
	s_waitcnt lgkmcnt(0)
	global_store_b32 v15, v16, s[6:7] offset:1024
.LBB1689_150:
	s_or_b32 exec_lo, exec_lo, s5
.LBB1689_151:
	s_and_not1_saveexec_b32 s3, s3
	s_cbranch_execz .LBB1689_153
; %bb.152:
	v_lshlrev_b32_e32 v15, 2, v0
	v_readfirstlane_b32 s6, v11
	v_readfirstlane_b32 s7, v12
	ds_load_b32 v16, v15 offset:1024
	s_waitcnt lgkmcnt(0)
	global_store_b32 v15, v16, s[6:7] offset:1024
.LBB1689_153:
	s_or_b32 exec_lo, exec_lo, s3
	v_or_b32_e32 v15, 0x200, v0
	s_mov_b32 s3, exec_lo
	s_delay_alu instid0(VALU_DEP_1)
	v_cmpx_le_u32_e64 v5, v15
	s_xor_b32 s3, exec_lo, s3
	s_cbranch_execz .LBB1689_159
; %bb.154:
	s_mov_b32 s5, exec_lo
	v_cmpx_le_u32_e64 v14, v15
	s_xor_b32 s5, exec_lo, s5
	s_cbranch_execz .LBB1689_156
; %bb.155:
	v_lshlrev_b32_e32 v15, 2, v0
	ds_load_b32 v17, v15 offset:2048
	v_add_co_u32 v15, vcc_lo, v7, v0
	v_add_co_ci_u32_e32 v16, vcc_lo, 0, v13, vcc_lo
	s_delay_alu instid0(VALU_DEP_1) | instskip(NEXT) | instid1(VALU_DEP_1)
	v_lshlrev_b64 v[15:16], 2, v[15:16]
	v_sub_co_u32 v15, vcc_lo, s1, v15
	s_delay_alu instid0(VALU_DEP_2)
	v_sub_co_ci_u32_e32 v16, vcc_lo, s0, v16, vcc_lo
	s_waitcnt lgkmcnt(0)
	global_store_b32 v[15:16], v17, off offset:-2048
.LBB1689_156:
	s_and_not1_saveexec_b32 s5, s5
	s_cbranch_execz .LBB1689_158
; %bb.157:
	v_lshlrev_b32_e32 v15, 2, v0
	v_readfirstlane_b32 s6, v9
	v_readfirstlane_b32 s7, v10
	ds_load_b32 v16, v15 offset:2048
	s_waitcnt lgkmcnt(0)
	global_store_b32 v15, v16, s[6:7] offset:2048
.LBB1689_158:
	s_or_b32 exec_lo, exec_lo, s5
.LBB1689_159:
	s_and_not1_saveexec_b32 s3, s3
	s_cbranch_execz .LBB1689_161
; %bb.160:
	v_lshlrev_b32_e32 v15, 2, v0
	v_readfirstlane_b32 s6, v11
	v_readfirstlane_b32 s7, v12
	ds_load_b32 v16, v15 offset:2048
	s_waitcnt lgkmcnt(0)
	global_store_b32 v15, v16, s[6:7] offset:2048
.LBB1689_161:
	;; [unrolled: 47-line block ×3, first 2 shown]
	s_or_b32 exec_lo, exec_lo, s3
	v_or_b32_e32 v15, 0x400, v0
	s_mov_b32 s3, exec_lo
	s_delay_alu instid0(VALU_DEP_1)
	v_cmpx_le_u32_e64 v5, v15
	s_xor_b32 s3, exec_lo, s3
	s_cbranch_execz .LBB1689_175
; %bb.170:
	s_mov_b32 s5, exec_lo
	v_cmpx_le_u32_e64 v14, v15
	s_xor_b32 s5, exec_lo, s5
	s_cbranch_execz .LBB1689_172
; %bb.171:
	v_lshlrev_b32_e32 v15, 2, v0
	ds_load_b32 v17, v15 offset:4096
	v_add_co_u32 v15, vcc_lo, v7, v0
	v_add_co_ci_u32_e32 v16, vcc_lo, 0, v13, vcc_lo
	s_delay_alu instid0(VALU_DEP_1) | instskip(NEXT) | instid1(VALU_DEP_1)
	v_lshlrev_b64 v[15:16], 2, v[15:16]
	v_sub_co_u32 v15, vcc_lo, s1, v15
	s_delay_alu instid0(VALU_DEP_2)
	v_sub_co_ci_u32_e32 v16, vcc_lo, s0, v16, vcc_lo
	s_waitcnt lgkmcnt(0)
	global_store_b32 v[15:16], v17, off offset:-4096
                                        ; implicit-def: $vgpr15
.LBB1689_172:
	s_and_not1_saveexec_b32 s5, s5
	s_cbranch_execz .LBB1689_174
; %bb.173:
	v_lshlrev_b32_e32 v16, 2, v0
	v_lshlrev_b32_e32 v15, 2, v15
	v_readfirstlane_b32 s6, v9
	v_readfirstlane_b32 s7, v10
	ds_load_b32 v16, v16 offset:4096
	s_waitcnt lgkmcnt(0)
	global_store_b32 v15, v16, s[6:7]
.LBB1689_174:
	s_or_b32 exec_lo, exec_lo, s5
                                        ; implicit-def: $vgpr15
.LBB1689_175:
	s_and_not1_saveexec_b32 s3, s3
	s_cbranch_execz .LBB1689_177
; %bb.176:
	v_lshlrev_b32_e32 v16, 2, v0
	v_lshlrev_b32_e32 v15, 2, v15
	v_readfirstlane_b32 s6, v11
	v_readfirstlane_b32 s7, v12
	ds_load_b32 v16, v16 offset:4096
	s_waitcnt lgkmcnt(0)
	global_store_b32 v15, v16, s[6:7]
.LBB1689_177:
	s_or_b32 exec_lo, exec_lo, s3
	v_or_b32_e32 v15, 0x500, v0
	s_mov_b32 s3, exec_lo
	s_delay_alu instid0(VALU_DEP_1)
	v_cmpx_le_u32_e64 v5, v15
	s_xor_b32 s3, exec_lo, s3
	s_cbranch_execz .LBB1689_183
; %bb.178:
	s_mov_b32 s5, exec_lo
	v_cmpx_le_u32_e64 v14, v15
	s_xor_b32 s5, exec_lo, s5
	s_cbranch_execz .LBB1689_180
; %bb.179:
	v_lshlrev_b32_e32 v16, 2, v0
	v_add_co_u32 v15, vcc_lo, v7, v15
	ds_load_b32 v17, v16 offset:5120
	v_add_co_ci_u32_e32 v16, vcc_lo, 0, v13, vcc_lo
	s_delay_alu instid0(VALU_DEP_1) | instskip(NEXT) | instid1(VALU_DEP_1)
	v_lshlrev_b64 v[15:16], 2, v[15:16]
	v_sub_co_u32 v15, vcc_lo, s1, v15
	s_delay_alu instid0(VALU_DEP_2)
	v_sub_co_ci_u32_e32 v16, vcc_lo, s0, v16, vcc_lo
	s_waitcnt lgkmcnt(0)
	global_store_b32 v[15:16], v17, off
                                        ; implicit-def: $vgpr15
.LBB1689_180:
	s_and_not1_saveexec_b32 s5, s5
	s_cbranch_execz .LBB1689_182
; %bb.181:
	v_lshlrev_b32_e32 v16, 2, v0
	v_lshlrev_b32_e32 v15, 2, v15
	v_readfirstlane_b32 s6, v9
	v_readfirstlane_b32 s7, v10
	ds_load_b32 v16, v16 offset:5120
	s_waitcnt lgkmcnt(0)
	global_store_b32 v15, v16, s[6:7]
.LBB1689_182:
	s_or_b32 exec_lo, exec_lo, s5
                                        ; implicit-def: $vgpr15
.LBB1689_183:
	s_and_not1_saveexec_b32 s3, s3
	s_cbranch_execz .LBB1689_185
; %bb.184:
	v_lshlrev_b32_e32 v16, 2, v0
	v_lshlrev_b32_e32 v15, 2, v15
	v_readfirstlane_b32 s6, v11
	v_readfirstlane_b32 s7, v12
	ds_load_b32 v16, v16 offset:5120
	s_waitcnt lgkmcnt(0)
	global_store_b32 v15, v16, s[6:7]
.LBB1689_185:
	s_or_b32 exec_lo, exec_lo, s3
	v_or_b32_e32 v15, 0x600, v0
	s_mov_b32 s3, exec_lo
	s_delay_alu instid0(VALU_DEP_1)
	v_cmpx_le_u32_e64 v5, v15
	s_xor_b32 s3, exec_lo, s3
	s_cbranch_execz .LBB1689_191
; %bb.186:
	s_mov_b32 s5, exec_lo
	v_cmpx_le_u32_e64 v14, v15
	s_xor_b32 s5, exec_lo, s5
	s_cbranch_execz .LBB1689_188
; %bb.187:
	v_lshlrev_b32_e32 v16, 2, v0
	v_add_co_u32 v15, vcc_lo, v7, v15
	ds_load_b32 v17, v16 offset:6144
	v_add_co_ci_u32_e32 v16, vcc_lo, 0, v13, vcc_lo
	s_delay_alu instid0(VALU_DEP_1) | instskip(NEXT) | instid1(VALU_DEP_1)
	v_lshlrev_b64 v[15:16], 2, v[15:16]
	v_sub_co_u32 v15, vcc_lo, s1, v15
	s_delay_alu instid0(VALU_DEP_2)
	v_sub_co_ci_u32_e32 v16, vcc_lo, s0, v16, vcc_lo
	s_waitcnt lgkmcnt(0)
	global_store_b32 v[15:16], v17, off
                                        ; implicit-def: $vgpr15
.LBB1689_188:
	s_and_not1_saveexec_b32 s5, s5
	s_cbranch_execz .LBB1689_190
; %bb.189:
	v_lshlrev_b32_e32 v16, 2, v0
	v_lshlrev_b32_e32 v15, 2, v15
	v_readfirstlane_b32 s6, v9
	v_readfirstlane_b32 s7, v10
	ds_load_b32 v16, v16 offset:6144
	s_waitcnt lgkmcnt(0)
	global_store_b32 v15, v16, s[6:7]
.LBB1689_190:
	s_or_b32 exec_lo, exec_lo, s5
                                        ; implicit-def: $vgpr15
.LBB1689_191:
	;; [unrolled: 51-line block ×8, first 2 shown]
	s_and_not1_saveexec_b32 s3, s3
	s_cbranch_execz .LBB1689_241
; %bb.240:
	v_lshlrev_b32_e32 v16, 2, v0
	v_lshlrev_b32_e32 v15, 2, v15
	v_readfirstlane_b32 s6, v11
	v_readfirstlane_b32 s7, v12
	ds_load_b32 v16, v16 offset:12288
	s_waitcnt lgkmcnt(0)
	global_store_b32 v15, v16, s[6:7]
.LBB1689_241:
	s_or_b32 exec_lo, exec_lo, s3
	s_branch .LBB1689_135
.LBB1689_242:
	s_mov_b32 s3, exec_lo
	v_cmpx_gt_u32_e64 s4, v0
	s_cbranch_execz .LBB1689_251
; %bb.243:
	s_mov_b32 s5, exec_lo
	v_cmpx_le_u32_e64 v5, v0
	s_xor_b32 s5, exec_lo, s5
	s_cbranch_execz .LBB1689_249
; %bb.244:
	s_mov_b32 s6, exec_lo
	v_cmpx_le_u32_e64 v14, v0
	s_xor_b32 s6, exec_lo, s6
	s_cbranch_execz .LBB1689_246
; %bb.245:
	v_lshlrev_b32_e32 v15, 2, v0
	ds_load_b32 v17, v15
	v_add_co_u32 v15, vcc_lo, v7, v0
	v_add_co_ci_u32_e32 v16, vcc_lo, 0, v13, vcc_lo
	s_delay_alu instid0(VALU_DEP_1) | instskip(NEXT) | instid1(VALU_DEP_1)
	v_lshlrev_b64 v[15:16], 2, v[15:16]
	v_sub_co_u32 v15, vcc_lo, s14, v15
	s_delay_alu instid0(VALU_DEP_2)
	v_sub_co_ci_u32_e32 v16, vcc_lo, s15, v16, vcc_lo
	s_waitcnt lgkmcnt(0)
	global_store_b32 v[15:16], v17, off offset:-4
.LBB1689_246:
	s_and_not1_saveexec_b32 s6, s6
	s_cbranch_execz .LBB1689_248
; %bb.247:
	v_lshlrev_b32_e32 v15, 2, v0
	v_readfirstlane_b32 s8, v9
	v_readfirstlane_b32 s9, v10
	ds_load_b32 v16, v15
	s_waitcnt lgkmcnt(0)
	global_store_b32 v15, v16, s[8:9]
.LBB1689_248:
	s_or_b32 exec_lo, exec_lo, s6
.LBB1689_249:
	s_and_not1_saveexec_b32 s5, s5
	s_cbranch_execz .LBB1689_251
; %bb.250:
	v_lshlrev_b32_e32 v15, 2, v0
	v_readfirstlane_b32 s6, v11
	v_readfirstlane_b32 s7, v12
	ds_load_b32 v16, v15
	s_waitcnt lgkmcnt(0)
	global_store_b32 v15, v16, s[6:7]
.LBB1689_251:
	s_or_b32 exec_lo, exec_lo, s3
	v_or_b32_e32 v15, 0x100, v0
	s_mov_b32 s3, exec_lo
	s_delay_alu instid0(VALU_DEP_1)
	v_cmpx_gt_u32_e64 s4, v15
	s_cbranch_execz .LBB1689_260
; %bb.252:
	s_mov_b32 s5, exec_lo
	v_cmpx_le_u32_e64 v5, v15
	s_xor_b32 s5, exec_lo, s5
	s_cbranch_execz .LBB1689_258
; %bb.253:
	s_mov_b32 s6, exec_lo
	v_cmpx_le_u32_e64 v14, v15
	s_xor_b32 s6, exec_lo, s6
	s_cbranch_execz .LBB1689_255
; %bb.254:
	v_lshlrev_b32_e32 v15, 2, v0
	ds_load_b32 v17, v15 offset:1024
	v_add_co_u32 v15, vcc_lo, v7, v0
	v_add_co_ci_u32_e32 v16, vcc_lo, 0, v13, vcc_lo
	s_delay_alu instid0(VALU_DEP_1) | instskip(NEXT) | instid1(VALU_DEP_1)
	v_lshlrev_b64 v[15:16], 2, v[15:16]
	v_sub_co_u32 v15, vcc_lo, s1, v15
	s_delay_alu instid0(VALU_DEP_2)
	v_sub_co_ci_u32_e32 v16, vcc_lo, s0, v16, vcc_lo
	s_waitcnt lgkmcnt(0)
	global_store_b32 v[15:16], v17, off offset:-1024
.LBB1689_255:
	s_and_not1_saveexec_b32 s6, s6
	s_cbranch_execz .LBB1689_257
; %bb.256:
	v_lshlrev_b32_e32 v15, 2, v0
	v_readfirstlane_b32 s8, v9
	v_readfirstlane_b32 s9, v10
	ds_load_b32 v16, v15 offset:1024
	s_waitcnt lgkmcnt(0)
	global_store_b32 v15, v16, s[8:9] offset:1024
.LBB1689_257:
	s_or_b32 exec_lo, exec_lo, s6
.LBB1689_258:
	s_and_not1_saveexec_b32 s5, s5
	s_cbranch_execz .LBB1689_260
; %bb.259:
	v_lshlrev_b32_e32 v15, 2, v0
	v_readfirstlane_b32 s6, v11
	v_readfirstlane_b32 s7, v12
	ds_load_b32 v16, v15 offset:1024
	s_waitcnt lgkmcnt(0)
	global_store_b32 v15, v16, s[6:7] offset:1024
.LBB1689_260:
	s_or_b32 exec_lo, exec_lo, s3
	v_or_b32_e32 v15, 0x200, v0
	s_mov_b32 s3, exec_lo
	s_delay_alu instid0(VALU_DEP_1)
	v_cmpx_gt_u32_e64 s4, v15
	s_cbranch_execz .LBB1689_269
; %bb.261:
	s_mov_b32 s5, exec_lo
	v_cmpx_le_u32_e64 v5, v15
	s_xor_b32 s5, exec_lo, s5
	s_cbranch_execz .LBB1689_267
; %bb.262:
	s_mov_b32 s6, exec_lo
	v_cmpx_le_u32_e64 v14, v15
	s_xor_b32 s6, exec_lo, s6
	s_cbranch_execz .LBB1689_264
; %bb.263:
	v_lshlrev_b32_e32 v15, 2, v0
	ds_load_b32 v17, v15 offset:2048
	v_add_co_u32 v15, vcc_lo, v7, v0
	v_add_co_ci_u32_e32 v16, vcc_lo, 0, v13, vcc_lo
	s_delay_alu instid0(VALU_DEP_1) | instskip(NEXT) | instid1(VALU_DEP_1)
	v_lshlrev_b64 v[15:16], 2, v[15:16]
	v_sub_co_u32 v15, vcc_lo, s1, v15
	s_delay_alu instid0(VALU_DEP_2)
	v_sub_co_ci_u32_e32 v16, vcc_lo, s0, v16, vcc_lo
	s_waitcnt lgkmcnt(0)
	global_store_b32 v[15:16], v17, off offset:-2048
.LBB1689_264:
	s_and_not1_saveexec_b32 s6, s6
	s_cbranch_execz .LBB1689_266
; %bb.265:
	v_lshlrev_b32_e32 v15, 2, v0
	v_readfirstlane_b32 s8, v9
	v_readfirstlane_b32 s9, v10
	ds_load_b32 v16, v15 offset:2048
	s_waitcnt lgkmcnt(0)
	global_store_b32 v15, v16, s[8:9] offset:2048
.LBB1689_266:
	s_or_b32 exec_lo, exec_lo, s6
.LBB1689_267:
	s_and_not1_saveexec_b32 s5, s5
	s_cbranch_execz .LBB1689_269
; %bb.268:
	v_lshlrev_b32_e32 v15, 2, v0
	v_readfirstlane_b32 s6, v11
	v_readfirstlane_b32 s7, v12
	ds_load_b32 v16, v15 offset:2048
	s_waitcnt lgkmcnt(0)
	global_store_b32 v15, v16, s[6:7] offset:2048
.LBB1689_269:
	;; [unrolled: 51-line block ×3, first 2 shown]
	s_or_b32 exec_lo, exec_lo, s3
	v_or_b32_e32 v15, 0x400, v0
	s_mov_b32 s3, exec_lo
	s_delay_alu instid0(VALU_DEP_1)
	v_cmpx_gt_u32_e64 s4, v15
	s_cbranch_execz .LBB1689_287
; %bb.279:
	s_mov_b32 s5, exec_lo
	v_cmpx_le_u32_e64 v5, v15
	s_xor_b32 s5, exec_lo, s5
	s_cbranch_execz .LBB1689_285
; %bb.280:
	s_mov_b32 s6, exec_lo
	v_cmpx_le_u32_e64 v14, v15
	s_xor_b32 s6, exec_lo, s6
	s_cbranch_execz .LBB1689_282
; %bb.281:
	v_lshlrev_b32_e32 v15, 2, v0
	ds_load_b32 v17, v15 offset:4096
	v_add_co_u32 v15, vcc_lo, v7, v0
	v_add_co_ci_u32_e32 v16, vcc_lo, 0, v13, vcc_lo
	s_delay_alu instid0(VALU_DEP_1) | instskip(NEXT) | instid1(VALU_DEP_1)
	v_lshlrev_b64 v[15:16], 2, v[15:16]
	v_sub_co_u32 v15, vcc_lo, s1, v15
	s_delay_alu instid0(VALU_DEP_2)
	v_sub_co_ci_u32_e32 v16, vcc_lo, s0, v16, vcc_lo
	s_waitcnt lgkmcnt(0)
	global_store_b32 v[15:16], v17, off offset:-4096
                                        ; implicit-def: $vgpr15
.LBB1689_282:
	s_and_not1_saveexec_b32 s6, s6
	s_cbranch_execz .LBB1689_284
; %bb.283:
	v_lshlrev_b32_e32 v16, 2, v0
	v_lshlrev_b32_e32 v15, 2, v15
	v_readfirstlane_b32 s8, v9
	v_readfirstlane_b32 s9, v10
	ds_load_b32 v16, v16 offset:4096
	s_waitcnt lgkmcnt(0)
	global_store_b32 v15, v16, s[8:9]
.LBB1689_284:
	s_or_b32 exec_lo, exec_lo, s6
                                        ; implicit-def: $vgpr15
.LBB1689_285:
	s_and_not1_saveexec_b32 s5, s5
	s_cbranch_execz .LBB1689_287
; %bb.286:
	v_lshlrev_b32_e32 v16, 2, v0
	v_lshlrev_b32_e32 v15, 2, v15
	v_readfirstlane_b32 s6, v11
	v_readfirstlane_b32 s7, v12
	ds_load_b32 v16, v16 offset:4096
	s_waitcnt lgkmcnt(0)
	global_store_b32 v15, v16, s[6:7]
.LBB1689_287:
	s_or_b32 exec_lo, exec_lo, s3
	v_or_b32_e32 v15, 0x500, v0
	s_mov_b32 s3, exec_lo
	s_delay_alu instid0(VALU_DEP_1)
	v_cmpx_gt_u32_e64 s4, v15
	s_cbranch_execz .LBB1689_296
; %bb.288:
	s_mov_b32 s5, exec_lo
	v_cmpx_le_u32_e64 v5, v15
	s_xor_b32 s5, exec_lo, s5
	s_cbranch_execz .LBB1689_294
; %bb.289:
	s_mov_b32 s6, exec_lo
	v_cmpx_le_u32_e64 v14, v15
	s_xor_b32 s6, exec_lo, s6
	s_cbranch_execz .LBB1689_291
; %bb.290:
	v_lshlrev_b32_e32 v16, 2, v0
	v_add_co_u32 v15, vcc_lo, v7, v15
	ds_load_b32 v17, v16 offset:5120
	v_add_co_ci_u32_e32 v16, vcc_lo, 0, v13, vcc_lo
	s_delay_alu instid0(VALU_DEP_1) | instskip(NEXT) | instid1(VALU_DEP_1)
	v_lshlrev_b64 v[15:16], 2, v[15:16]
	v_sub_co_u32 v15, vcc_lo, s1, v15
	s_delay_alu instid0(VALU_DEP_2)
	v_sub_co_ci_u32_e32 v16, vcc_lo, s0, v16, vcc_lo
	s_waitcnt lgkmcnt(0)
	global_store_b32 v[15:16], v17, off
                                        ; implicit-def: $vgpr15
.LBB1689_291:
	s_and_not1_saveexec_b32 s6, s6
	s_cbranch_execz .LBB1689_293
; %bb.292:
	v_lshlrev_b32_e32 v16, 2, v0
	v_lshlrev_b32_e32 v15, 2, v15
	v_readfirstlane_b32 s8, v9
	v_readfirstlane_b32 s9, v10
	ds_load_b32 v16, v16 offset:5120
	s_waitcnt lgkmcnt(0)
	global_store_b32 v15, v16, s[8:9]
.LBB1689_293:
	s_or_b32 exec_lo, exec_lo, s6
                                        ; implicit-def: $vgpr15
.LBB1689_294:
	s_and_not1_saveexec_b32 s5, s5
	s_cbranch_execz .LBB1689_296
; %bb.295:
	v_lshlrev_b32_e32 v16, 2, v0
	v_lshlrev_b32_e32 v15, 2, v15
	v_readfirstlane_b32 s6, v11
	v_readfirstlane_b32 s7, v12
	ds_load_b32 v16, v16 offset:5120
	s_waitcnt lgkmcnt(0)
	global_store_b32 v15, v16, s[6:7]
.LBB1689_296:
	s_or_b32 exec_lo, exec_lo, s3
	v_or_b32_e32 v15, 0x600, v0
	s_mov_b32 s3, exec_lo
	s_delay_alu instid0(VALU_DEP_1)
	v_cmpx_gt_u32_e64 s4, v15
	s_cbranch_execz .LBB1689_305
; %bb.297:
	s_mov_b32 s5, exec_lo
	v_cmpx_le_u32_e64 v5, v15
	s_xor_b32 s5, exec_lo, s5
	s_cbranch_execz .LBB1689_303
; %bb.298:
	s_mov_b32 s6, exec_lo
	v_cmpx_le_u32_e64 v14, v15
	s_xor_b32 s6, exec_lo, s6
	s_cbranch_execz .LBB1689_300
; %bb.299:
	v_lshlrev_b32_e32 v16, 2, v0
	v_add_co_u32 v15, vcc_lo, v7, v15
	ds_load_b32 v17, v16 offset:6144
	v_add_co_ci_u32_e32 v16, vcc_lo, 0, v13, vcc_lo
	s_delay_alu instid0(VALU_DEP_1) | instskip(NEXT) | instid1(VALU_DEP_1)
	v_lshlrev_b64 v[15:16], 2, v[15:16]
	v_sub_co_u32 v15, vcc_lo, s1, v15
	s_delay_alu instid0(VALU_DEP_2)
	v_sub_co_ci_u32_e32 v16, vcc_lo, s0, v16, vcc_lo
	s_waitcnt lgkmcnt(0)
	global_store_b32 v[15:16], v17, off
                                        ; implicit-def: $vgpr15
.LBB1689_300:
	s_and_not1_saveexec_b32 s6, s6
	s_cbranch_execz .LBB1689_302
; %bb.301:
	v_lshlrev_b32_e32 v16, 2, v0
	v_lshlrev_b32_e32 v15, 2, v15
	v_readfirstlane_b32 s8, v9
	v_readfirstlane_b32 s9, v10
	ds_load_b32 v16, v16 offset:6144
	s_waitcnt lgkmcnt(0)
	global_store_b32 v15, v16, s[8:9]
.LBB1689_302:
	s_or_b32 exec_lo, exec_lo, s6
                                        ; implicit-def: $vgpr15
.LBB1689_303:
	s_and_not1_saveexec_b32 s5, s5
	s_cbranch_execz .LBB1689_305
; %bb.304:
	v_lshlrev_b32_e32 v16, 2, v0
	v_lshlrev_b32_e32 v15, 2, v15
	v_readfirstlane_b32 s6, v11
	v_readfirstlane_b32 s7, v12
	ds_load_b32 v16, v16 offset:6144
	s_waitcnt lgkmcnt(0)
	global_store_b32 v15, v16, s[6:7]
.LBB1689_305:
	;; [unrolled: 55-line block ×7, first 2 shown]
	s_or_b32 exec_lo, exec_lo, s3
	v_or_b32_e32 v15, 0xc00, v0
	s_mov_b32 s3, exec_lo
	s_delay_alu instid0(VALU_DEP_1)
	v_cmpx_gt_u32_e64 s4, v15
	s_cbranch_execz .LBB1689_359
; %bb.351:
	s_mov_b32 s4, exec_lo
	v_cmpx_le_u32_e64 v5, v15
	s_xor_b32 s4, exec_lo, s4
	s_cbranch_execz .LBB1689_357
; %bb.352:
	s_mov_b32 s5, exec_lo
	v_cmpx_le_u32_e64 v14, v15
	s_xor_b32 s5, exec_lo, s5
	s_cbranch_execz .LBB1689_354
; %bb.353:
	v_lshlrev_b32_e32 v0, 2, v0
	v_add_co_u32 v9, vcc_lo, v7, v15
	v_add_co_ci_u32_e32 v10, vcc_lo, 0, v13, vcc_lo
	ds_load_b32 v0, v0 offset:12288
                                        ; implicit-def: $vgpr15
	v_lshlrev_b64 v[9:10], 2, v[9:10]
	s_delay_alu instid0(VALU_DEP_1) | instskip(NEXT) | instid1(VALU_DEP_2)
	v_sub_co_u32 v9, vcc_lo, s1, v9
	v_sub_co_ci_u32_e32 v10, vcc_lo, s0, v10, vcc_lo
	s_waitcnt lgkmcnt(0)
	global_store_b32 v[9:10], v0, off
                                        ; implicit-def: $vgpr0
                                        ; implicit-def: $vgpr9_vgpr10
.LBB1689_354:
	s_and_not1_saveexec_b32 s0, s5
	s_cbranch_execz .LBB1689_356
; %bb.355:
	v_lshlrev_b32_e32 v0, 2, v0
	v_lshlrev_b32_e32 v7, 2, v15
	v_readfirstlane_b32 s6, v9
	v_readfirstlane_b32 s7, v10
	ds_load_b32 v0, v0 offset:12288
	s_waitcnt lgkmcnt(0)
	global_store_b32 v7, v0, s[6:7]
.LBB1689_356:
	s_or_b32 exec_lo, exec_lo, s0
                                        ; implicit-def: $vgpr0
                                        ; implicit-def: $vgpr15
                                        ; implicit-def: $vgpr11_vgpr12
.LBB1689_357:
	s_and_not1_saveexec_b32 s0, s4
	s_cbranch_execz .LBB1689_359
; %bb.358:
	v_lshlrev_b32_e32 v0, 2, v0
	v_lshlrev_b32_e32 v7, 2, v15
	v_readfirstlane_b32 s0, v11
	v_readfirstlane_b32 s1, v12
	ds_load_b32 v0, v0 offset:12288
	s_waitcnt lgkmcnt(0)
	global_store_b32 v7, v0, s[0:1]
.LBB1689_359:
	s_or_b32 exec_lo, exec_lo, s3
	s_and_b32 s0, s2, s13
	s_delay_alu instid0(SALU_CYCLE_1)
	s_and_saveexec_b32 s1, s0
	s_cbranch_execz .LBB1689_136
.LBB1689_360:
	v_add_co_u32 v3, vcc_lo, v3, v6
	v_add_co_ci_u32_e32 v4, vcc_lo, 0, v4, vcc_lo
	v_add_co_u32 v0, vcc_lo, v1, v5
	v_add_co_ci_u32_e32 v1, vcc_lo, 0, v2, vcc_lo
	s_delay_alu instid0(VALU_DEP_4)
	v_add_co_u32 v2, vcc_lo, v3, v8
	v_mov_b32_e32 v7, 0
	v_add_co_ci_u32_e32 v3, vcc_lo, 0, v4, vcc_lo
	global_store_b128 v7, v[0:3], s[24:25]
	s_nop 0
	s_sendmsg sendmsg(MSG_DEALLOC_VGPRS)
	s_endpgm
.LBB1689_361:
	v_add_nc_u32_e32 v7, s6, v27
	s_add_i32 s8, s26, 32
	s_mov_b32 s9, 0
	v_dual_mov_b32 v9, 0 :: v_dual_add_nc_u32 v6, v26, v5
	s_lshl_b64 s[8:9], s[8:9], 4
	v_and_b32_e32 v24, 0xff0000, v7
	s_add_u32 s8, s36, s8
	s_addc_u32 s9, s37, s9
	v_and_b32_e32 v8, 0xff000000, v7
	s_delay_alu instid0(VALU_DEP_1) | instskip(SKIP_2) | instid1(VALU_DEP_1)
	v_or_b32_e32 v24, v24, v8
	v_dual_mov_b32 v8, 2 :: v_dual_and_b32 v25, 0xff00, v7
	v_and_b32_e32 v7, 0xff, v7
	v_or3_b32 v7, v24, v25, v7
	v_dual_mov_b32 v25, s9 :: v_dual_mov_b32 v24, s8
	;;#ASMSTART
	global_store_dwordx4 v[24:25], v[6:9] off	
s_waitcnt vmcnt(0)
	;;#ASMEND
	s_or_b32 exec_lo, exec_lo, s7
	s_and_saveexec_b32 s7, s3
	s_cbranch_execz .LBB1689_120
.LBB1689_362:
	v_mov_b32_e32 v6, s6
	v_add_nc_u32_e64 v7, 0x3400, 0
	ds_store_2addr_b32 v7, v5, v6 offset1:2
	ds_store_2addr_b32 v7, v26, v27 offset0:4 offset1:6
	s_or_b32 exec_lo, exec_lo, s7
	s_delay_alu instid0(SALU_CYCLE_1)
	s_and_b32 exec_lo, exec_lo, s2
	s_cbranch_execnz .LBB1689_121
	s_branch .LBB1689_122
	.section	.rodata,"a",@progbits
	.p2align	6, 0x0
	.amdhsa_kernel _ZN7rocprim17ROCPRIM_400000_NS6detail17trampoline_kernelINS0_13select_configILj256ELj13ELNS0_17block_load_methodE3ELS4_3ELS4_3ELNS0_20block_scan_algorithmE0ELj4294967295EEENS1_25partition_config_selectorILNS1_17partition_subalgoE4EjNS0_10empty_typeEbEEZZNS1_14partition_implILS8_4ELb0ES6_15HIP_vector_typeIjLj2EENS0_17counting_iteratorIjlEEPS9_SG_NS0_5tupleIJPjSI_NS0_16reverse_iteratorISI_EEEEENSH_IJSG_SG_SG_EEES9_SI_JZNS1_25segmented_radix_sort_implINS0_14default_configELb1EPK6__halfPSP_PKlPlN2at6native12_GLOBAL__N_18offset_tEEE10hipError_tPvRmT1_PNSt15iterator_traitsIS13_E10value_typeET2_T3_PNS14_IS19_E10value_typeET4_jRbjT5_S1F_jjP12ihipStream_tbEUljE_ZNSN_ISO_Lb1ESR_SS_SU_SV_SZ_EES10_S11_S12_S13_S17_S18_S19_S1C_S1D_jS1E_jS1F_S1F_jjS1H_bEUljE0_EEES10_S11_S12_S19_S1D_S1F_T6_T7_T9_mT8_S1H_bDpT10_ENKUlT_T0_E_clISt17integral_constantIbLb1EES1V_EEDaS1Q_S1R_EUlS1Q_E_NS1_11comp_targetILNS1_3genE9ELNS1_11target_archE1100ELNS1_3gpuE3ELNS1_3repE0EEENS1_30default_config_static_selectorELNS0_4arch9wavefront6targetE0EEEvS13_
		.amdhsa_group_segment_fixed_size 13340
		.amdhsa_private_segment_fixed_size 0
		.amdhsa_kernarg_size 184
		.amdhsa_user_sgpr_count 15
		.amdhsa_user_sgpr_dispatch_ptr 0
		.amdhsa_user_sgpr_queue_ptr 0
		.amdhsa_user_sgpr_kernarg_segment_ptr 1
		.amdhsa_user_sgpr_dispatch_id 0
		.amdhsa_user_sgpr_private_segment_size 0
		.amdhsa_wavefront_size32 1
		.amdhsa_uses_dynamic_stack 0
		.amdhsa_enable_private_segment 0
		.amdhsa_system_sgpr_workgroup_id_x 1
		.amdhsa_system_sgpr_workgroup_id_y 0
		.amdhsa_system_sgpr_workgroup_id_z 0
		.amdhsa_system_sgpr_workgroup_info 0
		.amdhsa_system_vgpr_workitem_id 0
		.amdhsa_next_free_vgpr 103
		.amdhsa_next_free_sgpr 55
		.amdhsa_reserve_vcc 1
		.amdhsa_float_round_mode_32 0
		.amdhsa_float_round_mode_16_64 0
		.amdhsa_float_denorm_mode_32 3
		.amdhsa_float_denorm_mode_16_64 3
		.amdhsa_dx10_clamp 1
		.amdhsa_ieee_mode 1
		.amdhsa_fp16_overflow 0
		.amdhsa_workgroup_processor_mode 1
		.amdhsa_memory_ordered 1
		.amdhsa_forward_progress 0
		.amdhsa_shared_vgpr_count 0
		.amdhsa_exception_fp_ieee_invalid_op 0
		.amdhsa_exception_fp_denorm_src 0
		.amdhsa_exception_fp_ieee_div_zero 0
		.amdhsa_exception_fp_ieee_overflow 0
		.amdhsa_exception_fp_ieee_underflow 0
		.amdhsa_exception_fp_ieee_inexact 0
		.amdhsa_exception_int_div_zero 0
	.end_amdhsa_kernel
	.section	.text._ZN7rocprim17ROCPRIM_400000_NS6detail17trampoline_kernelINS0_13select_configILj256ELj13ELNS0_17block_load_methodE3ELS4_3ELS4_3ELNS0_20block_scan_algorithmE0ELj4294967295EEENS1_25partition_config_selectorILNS1_17partition_subalgoE4EjNS0_10empty_typeEbEEZZNS1_14partition_implILS8_4ELb0ES6_15HIP_vector_typeIjLj2EENS0_17counting_iteratorIjlEEPS9_SG_NS0_5tupleIJPjSI_NS0_16reverse_iteratorISI_EEEEENSH_IJSG_SG_SG_EEES9_SI_JZNS1_25segmented_radix_sort_implINS0_14default_configELb1EPK6__halfPSP_PKlPlN2at6native12_GLOBAL__N_18offset_tEEE10hipError_tPvRmT1_PNSt15iterator_traitsIS13_E10value_typeET2_T3_PNS14_IS19_E10value_typeET4_jRbjT5_S1F_jjP12ihipStream_tbEUljE_ZNSN_ISO_Lb1ESR_SS_SU_SV_SZ_EES10_S11_S12_S13_S17_S18_S19_S1C_S1D_jS1E_jS1F_S1F_jjS1H_bEUljE0_EEES10_S11_S12_S19_S1D_S1F_T6_T7_T9_mT8_S1H_bDpT10_ENKUlT_T0_E_clISt17integral_constantIbLb1EES1V_EEDaS1Q_S1R_EUlS1Q_E_NS1_11comp_targetILNS1_3genE9ELNS1_11target_archE1100ELNS1_3gpuE3ELNS1_3repE0EEENS1_30default_config_static_selectorELNS0_4arch9wavefront6targetE0EEEvS13_,"axG",@progbits,_ZN7rocprim17ROCPRIM_400000_NS6detail17trampoline_kernelINS0_13select_configILj256ELj13ELNS0_17block_load_methodE3ELS4_3ELS4_3ELNS0_20block_scan_algorithmE0ELj4294967295EEENS1_25partition_config_selectorILNS1_17partition_subalgoE4EjNS0_10empty_typeEbEEZZNS1_14partition_implILS8_4ELb0ES6_15HIP_vector_typeIjLj2EENS0_17counting_iteratorIjlEEPS9_SG_NS0_5tupleIJPjSI_NS0_16reverse_iteratorISI_EEEEENSH_IJSG_SG_SG_EEES9_SI_JZNS1_25segmented_radix_sort_implINS0_14default_configELb1EPK6__halfPSP_PKlPlN2at6native12_GLOBAL__N_18offset_tEEE10hipError_tPvRmT1_PNSt15iterator_traitsIS13_E10value_typeET2_T3_PNS14_IS19_E10value_typeET4_jRbjT5_S1F_jjP12ihipStream_tbEUljE_ZNSN_ISO_Lb1ESR_SS_SU_SV_SZ_EES10_S11_S12_S13_S17_S18_S19_S1C_S1D_jS1E_jS1F_S1F_jjS1H_bEUljE0_EEES10_S11_S12_S19_S1D_S1F_T6_T7_T9_mT8_S1H_bDpT10_ENKUlT_T0_E_clISt17integral_constantIbLb1EES1V_EEDaS1Q_S1R_EUlS1Q_E_NS1_11comp_targetILNS1_3genE9ELNS1_11target_archE1100ELNS1_3gpuE3ELNS1_3repE0EEENS1_30default_config_static_selectorELNS0_4arch9wavefront6targetE0EEEvS13_,comdat
.Lfunc_end1689:
	.size	_ZN7rocprim17ROCPRIM_400000_NS6detail17trampoline_kernelINS0_13select_configILj256ELj13ELNS0_17block_load_methodE3ELS4_3ELS4_3ELNS0_20block_scan_algorithmE0ELj4294967295EEENS1_25partition_config_selectorILNS1_17partition_subalgoE4EjNS0_10empty_typeEbEEZZNS1_14partition_implILS8_4ELb0ES6_15HIP_vector_typeIjLj2EENS0_17counting_iteratorIjlEEPS9_SG_NS0_5tupleIJPjSI_NS0_16reverse_iteratorISI_EEEEENSH_IJSG_SG_SG_EEES9_SI_JZNS1_25segmented_radix_sort_implINS0_14default_configELb1EPK6__halfPSP_PKlPlN2at6native12_GLOBAL__N_18offset_tEEE10hipError_tPvRmT1_PNSt15iterator_traitsIS13_E10value_typeET2_T3_PNS14_IS19_E10value_typeET4_jRbjT5_S1F_jjP12ihipStream_tbEUljE_ZNSN_ISO_Lb1ESR_SS_SU_SV_SZ_EES10_S11_S12_S13_S17_S18_S19_S1C_S1D_jS1E_jS1F_S1F_jjS1H_bEUljE0_EEES10_S11_S12_S19_S1D_S1F_T6_T7_T9_mT8_S1H_bDpT10_ENKUlT_T0_E_clISt17integral_constantIbLb1EES1V_EEDaS1Q_S1R_EUlS1Q_E_NS1_11comp_targetILNS1_3genE9ELNS1_11target_archE1100ELNS1_3gpuE3ELNS1_3repE0EEENS1_30default_config_static_selectorELNS0_4arch9wavefront6targetE0EEEvS13_, .Lfunc_end1689-_ZN7rocprim17ROCPRIM_400000_NS6detail17trampoline_kernelINS0_13select_configILj256ELj13ELNS0_17block_load_methodE3ELS4_3ELS4_3ELNS0_20block_scan_algorithmE0ELj4294967295EEENS1_25partition_config_selectorILNS1_17partition_subalgoE4EjNS0_10empty_typeEbEEZZNS1_14partition_implILS8_4ELb0ES6_15HIP_vector_typeIjLj2EENS0_17counting_iteratorIjlEEPS9_SG_NS0_5tupleIJPjSI_NS0_16reverse_iteratorISI_EEEEENSH_IJSG_SG_SG_EEES9_SI_JZNS1_25segmented_radix_sort_implINS0_14default_configELb1EPK6__halfPSP_PKlPlN2at6native12_GLOBAL__N_18offset_tEEE10hipError_tPvRmT1_PNSt15iterator_traitsIS13_E10value_typeET2_T3_PNS14_IS19_E10value_typeET4_jRbjT5_S1F_jjP12ihipStream_tbEUljE_ZNSN_ISO_Lb1ESR_SS_SU_SV_SZ_EES10_S11_S12_S13_S17_S18_S19_S1C_S1D_jS1E_jS1F_S1F_jjS1H_bEUljE0_EEES10_S11_S12_S19_S1D_S1F_T6_T7_T9_mT8_S1H_bDpT10_ENKUlT_T0_E_clISt17integral_constantIbLb1EES1V_EEDaS1Q_S1R_EUlS1Q_E_NS1_11comp_targetILNS1_3genE9ELNS1_11target_archE1100ELNS1_3gpuE3ELNS1_3repE0EEENS1_30default_config_static_selectorELNS0_4arch9wavefront6targetE0EEEvS13_
                                        ; -- End function
	.section	.AMDGPU.csdata,"",@progbits
; Kernel info:
; codeLenInByte = 15160
; NumSgprs: 57
; NumVgprs: 103
; ScratchSize: 0
; MemoryBound: 0
; FloatMode: 240
; IeeeMode: 1
; LDSByteSize: 13340 bytes/workgroup (compile time only)
; SGPRBlocks: 7
; VGPRBlocks: 12
; NumSGPRsForWavesPerEU: 57
; NumVGPRsForWavesPerEU: 103
; Occupancy: 12
; WaveLimiterHint : 1
; COMPUTE_PGM_RSRC2:SCRATCH_EN: 0
; COMPUTE_PGM_RSRC2:USER_SGPR: 15
; COMPUTE_PGM_RSRC2:TRAP_HANDLER: 0
; COMPUTE_PGM_RSRC2:TGID_X_EN: 1
; COMPUTE_PGM_RSRC2:TGID_Y_EN: 0
; COMPUTE_PGM_RSRC2:TGID_Z_EN: 0
; COMPUTE_PGM_RSRC2:TIDIG_COMP_CNT: 0
	.section	.text._ZN7rocprim17ROCPRIM_400000_NS6detail17trampoline_kernelINS0_13select_configILj256ELj13ELNS0_17block_load_methodE3ELS4_3ELS4_3ELNS0_20block_scan_algorithmE0ELj4294967295EEENS1_25partition_config_selectorILNS1_17partition_subalgoE4EjNS0_10empty_typeEbEEZZNS1_14partition_implILS8_4ELb0ES6_15HIP_vector_typeIjLj2EENS0_17counting_iteratorIjlEEPS9_SG_NS0_5tupleIJPjSI_NS0_16reverse_iteratorISI_EEEEENSH_IJSG_SG_SG_EEES9_SI_JZNS1_25segmented_radix_sort_implINS0_14default_configELb1EPK6__halfPSP_PKlPlN2at6native12_GLOBAL__N_18offset_tEEE10hipError_tPvRmT1_PNSt15iterator_traitsIS13_E10value_typeET2_T3_PNS14_IS19_E10value_typeET4_jRbjT5_S1F_jjP12ihipStream_tbEUljE_ZNSN_ISO_Lb1ESR_SS_SU_SV_SZ_EES10_S11_S12_S13_S17_S18_S19_S1C_S1D_jS1E_jS1F_S1F_jjS1H_bEUljE0_EEES10_S11_S12_S19_S1D_S1F_T6_T7_T9_mT8_S1H_bDpT10_ENKUlT_T0_E_clISt17integral_constantIbLb1EES1V_EEDaS1Q_S1R_EUlS1Q_E_NS1_11comp_targetILNS1_3genE8ELNS1_11target_archE1030ELNS1_3gpuE2ELNS1_3repE0EEENS1_30default_config_static_selectorELNS0_4arch9wavefront6targetE0EEEvS13_,"axG",@progbits,_ZN7rocprim17ROCPRIM_400000_NS6detail17trampoline_kernelINS0_13select_configILj256ELj13ELNS0_17block_load_methodE3ELS4_3ELS4_3ELNS0_20block_scan_algorithmE0ELj4294967295EEENS1_25partition_config_selectorILNS1_17partition_subalgoE4EjNS0_10empty_typeEbEEZZNS1_14partition_implILS8_4ELb0ES6_15HIP_vector_typeIjLj2EENS0_17counting_iteratorIjlEEPS9_SG_NS0_5tupleIJPjSI_NS0_16reverse_iteratorISI_EEEEENSH_IJSG_SG_SG_EEES9_SI_JZNS1_25segmented_radix_sort_implINS0_14default_configELb1EPK6__halfPSP_PKlPlN2at6native12_GLOBAL__N_18offset_tEEE10hipError_tPvRmT1_PNSt15iterator_traitsIS13_E10value_typeET2_T3_PNS14_IS19_E10value_typeET4_jRbjT5_S1F_jjP12ihipStream_tbEUljE_ZNSN_ISO_Lb1ESR_SS_SU_SV_SZ_EES10_S11_S12_S13_S17_S18_S19_S1C_S1D_jS1E_jS1F_S1F_jjS1H_bEUljE0_EEES10_S11_S12_S19_S1D_S1F_T6_T7_T9_mT8_S1H_bDpT10_ENKUlT_T0_E_clISt17integral_constantIbLb1EES1V_EEDaS1Q_S1R_EUlS1Q_E_NS1_11comp_targetILNS1_3genE8ELNS1_11target_archE1030ELNS1_3gpuE2ELNS1_3repE0EEENS1_30default_config_static_selectorELNS0_4arch9wavefront6targetE0EEEvS13_,comdat
	.globl	_ZN7rocprim17ROCPRIM_400000_NS6detail17trampoline_kernelINS0_13select_configILj256ELj13ELNS0_17block_load_methodE3ELS4_3ELS4_3ELNS0_20block_scan_algorithmE0ELj4294967295EEENS1_25partition_config_selectorILNS1_17partition_subalgoE4EjNS0_10empty_typeEbEEZZNS1_14partition_implILS8_4ELb0ES6_15HIP_vector_typeIjLj2EENS0_17counting_iteratorIjlEEPS9_SG_NS0_5tupleIJPjSI_NS0_16reverse_iteratorISI_EEEEENSH_IJSG_SG_SG_EEES9_SI_JZNS1_25segmented_radix_sort_implINS0_14default_configELb1EPK6__halfPSP_PKlPlN2at6native12_GLOBAL__N_18offset_tEEE10hipError_tPvRmT1_PNSt15iterator_traitsIS13_E10value_typeET2_T3_PNS14_IS19_E10value_typeET4_jRbjT5_S1F_jjP12ihipStream_tbEUljE_ZNSN_ISO_Lb1ESR_SS_SU_SV_SZ_EES10_S11_S12_S13_S17_S18_S19_S1C_S1D_jS1E_jS1F_S1F_jjS1H_bEUljE0_EEES10_S11_S12_S19_S1D_S1F_T6_T7_T9_mT8_S1H_bDpT10_ENKUlT_T0_E_clISt17integral_constantIbLb1EES1V_EEDaS1Q_S1R_EUlS1Q_E_NS1_11comp_targetILNS1_3genE8ELNS1_11target_archE1030ELNS1_3gpuE2ELNS1_3repE0EEENS1_30default_config_static_selectorELNS0_4arch9wavefront6targetE0EEEvS13_ ; -- Begin function _ZN7rocprim17ROCPRIM_400000_NS6detail17trampoline_kernelINS0_13select_configILj256ELj13ELNS0_17block_load_methodE3ELS4_3ELS4_3ELNS0_20block_scan_algorithmE0ELj4294967295EEENS1_25partition_config_selectorILNS1_17partition_subalgoE4EjNS0_10empty_typeEbEEZZNS1_14partition_implILS8_4ELb0ES6_15HIP_vector_typeIjLj2EENS0_17counting_iteratorIjlEEPS9_SG_NS0_5tupleIJPjSI_NS0_16reverse_iteratorISI_EEEEENSH_IJSG_SG_SG_EEES9_SI_JZNS1_25segmented_radix_sort_implINS0_14default_configELb1EPK6__halfPSP_PKlPlN2at6native12_GLOBAL__N_18offset_tEEE10hipError_tPvRmT1_PNSt15iterator_traitsIS13_E10value_typeET2_T3_PNS14_IS19_E10value_typeET4_jRbjT5_S1F_jjP12ihipStream_tbEUljE_ZNSN_ISO_Lb1ESR_SS_SU_SV_SZ_EES10_S11_S12_S13_S17_S18_S19_S1C_S1D_jS1E_jS1F_S1F_jjS1H_bEUljE0_EEES10_S11_S12_S19_S1D_S1F_T6_T7_T9_mT8_S1H_bDpT10_ENKUlT_T0_E_clISt17integral_constantIbLb1EES1V_EEDaS1Q_S1R_EUlS1Q_E_NS1_11comp_targetILNS1_3genE8ELNS1_11target_archE1030ELNS1_3gpuE2ELNS1_3repE0EEENS1_30default_config_static_selectorELNS0_4arch9wavefront6targetE0EEEvS13_
	.p2align	8
	.type	_ZN7rocprim17ROCPRIM_400000_NS6detail17trampoline_kernelINS0_13select_configILj256ELj13ELNS0_17block_load_methodE3ELS4_3ELS4_3ELNS0_20block_scan_algorithmE0ELj4294967295EEENS1_25partition_config_selectorILNS1_17partition_subalgoE4EjNS0_10empty_typeEbEEZZNS1_14partition_implILS8_4ELb0ES6_15HIP_vector_typeIjLj2EENS0_17counting_iteratorIjlEEPS9_SG_NS0_5tupleIJPjSI_NS0_16reverse_iteratorISI_EEEEENSH_IJSG_SG_SG_EEES9_SI_JZNS1_25segmented_radix_sort_implINS0_14default_configELb1EPK6__halfPSP_PKlPlN2at6native12_GLOBAL__N_18offset_tEEE10hipError_tPvRmT1_PNSt15iterator_traitsIS13_E10value_typeET2_T3_PNS14_IS19_E10value_typeET4_jRbjT5_S1F_jjP12ihipStream_tbEUljE_ZNSN_ISO_Lb1ESR_SS_SU_SV_SZ_EES10_S11_S12_S13_S17_S18_S19_S1C_S1D_jS1E_jS1F_S1F_jjS1H_bEUljE0_EEES10_S11_S12_S19_S1D_S1F_T6_T7_T9_mT8_S1H_bDpT10_ENKUlT_T0_E_clISt17integral_constantIbLb1EES1V_EEDaS1Q_S1R_EUlS1Q_E_NS1_11comp_targetILNS1_3genE8ELNS1_11target_archE1030ELNS1_3gpuE2ELNS1_3repE0EEENS1_30default_config_static_selectorELNS0_4arch9wavefront6targetE0EEEvS13_,@function
_ZN7rocprim17ROCPRIM_400000_NS6detail17trampoline_kernelINS0_13select_configILj256ELj13ELNS0_17block_load_methodE3ELS4_3ELS4_3ELNS0_20block_scan_algorithmE0ELj4294967295EEENS1_25partition_config_selectorILNS1_17partition_subalgoE4EjNS0_10empty_typeEbEEZZNS1_14partition_implILS8_4ELb0ES6_15HIP_vector_typeIjLj2EENS0_17counting_iteratorIjlEEPS9_SG_NS0_5tupleIJPjSI_NS0_16reverse_iteratorISI_EEEEENSH_IJSG_SG_SG_EEES9_SI_JZNS1_25segmented_radix_sort_implINS0_14default_configELb1EPK6__halfPSP_PKlPlN2at6native12_GLOBAL__N_18offset_tEEE10hipError_tPvRmT1_PNSt15iterator_traitsIS13_E10value_typeET2_T3_PNS14_IS19_E10value_typeET4_jRbjT5_S1F_jjP12ihipStream_tbEUljE_ZNSN_ISO_Lb1ESR_SS_SU_SV_SZ_EES10_S11_S12_S13_S17_S18_S19_S1C_S1D_jS1E_jS1F_S1F_jjS1H_bEUljE0_EEES10_S11_S12_S19_S1D_S1F_T6_T7_T9_mT8_S1H_bDpT10_ENKUlT_T0_E_clISt17integral_constantIbLb1EES1V_EEDaS1Q_S1R_EUlS1Q_E_NS1_11comp_targetILNS1_3genE8ELNS1_11target_archE1030ELNS1_3gpuE2ELNS1_3repE0EEENS1_30default_config_static_selectorELNS0_4arch9wavefront6targetE0EEEvS13_: ; @_ZN7rocprim17ROCPRIM_400000_NS6detail17trampoline_kernelINS0_13select_configILj256ELj13ELNS0_17block_load_methodE3ELS4_3ELS4_3ELNS0_20block_scan_algorithmE0ELj4294967295EEENS1_25partition_config_selectorILNS1_17partition_subalgoE4EjNS0_10empty_typeEbEEZZNS1_14partition_implILS8_4ELb0ES6_15HIP_vector_typeIjLj2EENS0_17counting_iteratorIjlEEPS9_SG_NS0_5tupleIJPjSI_NS0_16reverse_iteratorISI_EEEEENSH_IJSG_SG_SG_EEES9_SI_JZNS1_25segmented_radix_sort_implINS0_14default_configELb1EPK6__halfPSP_PKlPlN2at6native12_GLOBAL__N_18offset_tEEE10hipError_tPvRmT1_PNSt15iterator_traitsIS13_E10value_typeET2_T3_PNS14_IS19_E10value_typeET4_jRbjT5_S1F_jjP12ihipStream_tbEUljE_ZNSN_ISO_Lb1ESR_SS_SU_SV_SZ_EES10_S11_S12_S13_S17_S18_S19_S1C_S1D_jS1E_jS1F_S1F_jjS1H_bEUljE0_EEES10_S11_S12_S19_S1D_S1F_T6_T7_T9_mT8_S1H_bDpT10_ENKUlT_T0_E_clISt17integral_constantIbLb1EES1V_EEDaS1Q_S1R_EUlS1Q_E_NS1_11comp_targetILNS1_3genE8ELNS1_11target_archE1030ELNS1_3gpuE2ELNS1_3repE0EEENS1_30default_config_static_selectorELNS0_4arch9wavefront6targetE0EEEvS13_
; %bb.0:
	.section	.rodata,"a",@progbits
	.p2align	6, 0x0
	.amdhsa_kernel _ZN7rocprim17ROCPRIM_400000_NS6detail17trampoline_kernelINS0_13select_configILj256ELj13ELNS0_17block_load_methodE3ELS4_3ELS4_3ELNS0_20block_scan_algorithmE0ELj4294967295EEENS1_25partition_config_selectorILNS1_17partition_subalgoE4EjNS0_10empty_typeEbEEZZNS1_14partition_implILS8_4ELb0ES6_15HIP_vector_typeIjLj2EENS0_17counting_iteratorIjlEEPS9_SG_NS0_5tupleIJPjSI_NS0_16reverse_iteratorISI_EEEEENSH_IJSG_SG_SG_EEES9_SI_JZNS1_25segmented_radix_sort_implINS0_14default_configELb1EPK6__halfPSP_PKlPlN2at6native12_GLOBAL__N_18offset_tEEE10hipError_tPvRmT1_PNSt15iterator_traitsIS13_E10value_typeET2_T3_PNS14_IS19_E10value_typeET4_jRbjT5_S1F_jjP12ihipStream_tbEUljE_ZNSN_ISO_Lb1ESR_SS_SU_SV_SZ_EES10_S11_S12_S13_S17_S18_S19_S1C_S1D_jS1E_jS1F_S1F_jjS1H_bEUljE0_EEES10_S11_S12_S19_S1D_S1F_T6_T7_T9_mT8_S1H_bDpT10_ENKUlT_T0_E_clISt17integral_constantIbLb1EES1V_EEDaS1Q_S1R_EUlS1Q_E_NS1_11comp_targetILNS1_3genE8ELNS1_11target_archE1030ELNS1_3gpuE2ELNS1_3repE0EEENS1_30default_config_static_selectorELNS0_4arch9wavefront6targetE0EEEvS13_
		.amdhsa_group_segment_fixed_size 0
		.amdhsa_private_segment_fixed_size 0
		.amdhsa_kernarg_size 184
		.amdhsa_user_sgpr_count 15
		.amdhsa_user_sgpr_dispatch_ptr 0
		.amdhsa_user_sgpr_queue_ptr 0
		.amdhsa_user_sgpr_kernarg_segment_ptr 1
		.amdhsa_user_sgpr_dispatch_id 0
		.amdhsa_user_sgpr_private_segment_size 0
		.amdhsa_wavefront_size32 1
		.amdhsa_uses_dynamic_stack 0
		.amdhsa_enable_private_segment 0
		.amdhsa_system_sgpr_workgroup_id_x 1
		.amdhsa_system_sgpr_workgroup_id_y 0
		.amdhsa_system_sgpr_workgroup_id_z 0
		.amdhsa_system_sgpr_workgroup_info 0
		.amdhsa_system_vgpr_workitem_id 0
		.amdhsa_next_free_vgpr 1
		.amdhsa_next_free_sgpr 1
		.amdhsa_reserve_vcc 0
		.amdhsa_float_round_mode_32 0
		.amdhsa_float_round_mode_16_64 0
		.amdhsa_float_denorm_mode_32 3
		.amdhsa_float_denorm_mode_16_64 3
		.amdhsa_dx10_clamp 1
		.amdhsa_ieee_mode 1
		.amdhsa_fp16_overflow 0
		.amdhsa_workgroup_processor_mode 1
		.amdhsa_memory_ordered 1
		.amdhsa_forward_progress 0
		.amdhsa_shared_vgpr_count 0
		.amdhsa_exception_fp_ieee_invalid_op 0
		.amdhsa_exception_fp_denorm_src 0
		.amdhsa_exception_fp_ieee_div_zero 0
		.amdhsa_exception_fp_ieee_overflow 0
		.amdhsa_exception_fp_ieee_underflow 0
		.amdhsa_exception_fp_ieee_inexact 0
		.amdhsa_exception_int_div_zero 0
	.end_amdhsa_kernel
	.section	.text._ZN7rocprim17ROCPRIM_400000_NS6detail17trampoline_kernelINS0_13select_configILj256ELj13ELNS0_17block_load_methodE3ELS4_3ELS4_3ELNS0_20block_scan_algorithmE0ELj4294967295EEENS1_25partition_config_selectorILNS1_17partition_subalgoE4EjNS0_10empty_typeEbEEZZNS1_14partition_implILS8_4ELb0ES6_15HIP_vector_typeIjLj2EENS0_17counting_iteratorIjlEEPS9_SG_NS0_5tupleIJPjSI_NS0_16reverse_iteratorISI_EEEEENSH_IJSG_SG_SG_EEES9_SI_JZNS1_25segmented_radix_sort_implINS0_14default_configELb1EPK6__halfPSP_PKlPlN2at6native12_GLOBAL__N_18offset_tEEE10hipError_tPvRmT1_PNSt15iterator_traitsIS13_E10value_typeET2_T3_PNS14_IS19_E10value_typeET4_jRbjT5_S1F_jjP12ihipStream_tbEUljE_ZNSN_ISO_Lb1ESR_SS_SU_SV_SZ_EES10_S11_S12_S13_S17_S18_S19_S1C_S1D_jS1E_jS1F_S1F_jjS1H_bEUljE0_EEES10_S11_S12_S19_S1D_S1F_T6_T7_T9_mT8_S1H_bDpT10_ENKUlT_T0_E_clISt17integral_constantIbLb1EES1V_EEDaS1Q_S1R_EUlS1Q_E_NS1_11comp_targetILNS1_3genE8ELNS1_11target_archE1030ELNS1_3gpuE2ELNS1_3repE0EEENS1_30default_config_static_selectorELNS0_4arch9wavefront6targetE0EEEvS13_,"axG",@progbits,_ZN7rocprim17ROCPRIM_400000_NS6detail17trampoline_kernelINS0_13select_configILj256ELj13ELNS0_17block_load_methodE3ELS4_3ELS4_3ELNS0_20block_scan_algorithmE0ELj4294967295EEENS1_25partition_config_selectorILNS1_17partition_subalgoE4EjNS0_10empty_typeEbEEZZNS1_14partition_implILS8_4ELb0ES6_15HIP_vector_typeIjLj2EENS0_17counting_iteratorIjlEEPS9_SG_NS0_5tupleIJPjSI_NS0_16reverse_iteratorISI_EEEEENSH_IJSG_SG_SG_EEES9_SI_JZNS1_25segmented_radix_sort_implINS0_14default_configELb1EPK6__halfPSP_PKlPlN2at6native12_GLOBAL__N_18offset_tEEE10hipError_tPvRmT1_PNSt15iterator_traitsIS13_E10value_typeET2_T3_PNS14_IS19_E10value_typeET4_jRbjT5_S1F_jjP12ihipStream_tbEUljE_ZNSN_ISO_Lb1ESR_SS_SU_SV_SZ_EES10_S11_S12_S13_S17_S18_S19_S1C_S1D_jS1E_jS1F_S1F_jjS1H_bEUljE0_EEES10_S11_S12_S19_S1D_S1F_T6_T7_T9_mT8_S1H_bDpT10_ENKUlT_T0_E_clISt17integral_constantIbLb1EES1V_EEDaS1Q_S1R_EUlS1Q_E_NS1_11comp_targetILNS1_3genE8ELNS1_11target_archE1030ELNS1_3gpuE2ELNS1_3repE0EEENS1_30default_config_static_selectorELNS0_4arch9wavefront6targetE0EEEvS13_,comdat
.Lfunc_end1690:
	.size	_ZN7rocprim17ROCPRIM_400000_NS6detail17trampoline_kernelINS0_13select_configILj256ELj13ELNS0_17block_load_methodE3ELS4_3ELS4_3ELNS0_20block_scan_algorithmE0ELj4294967295EEENS1_25partition_config_selectorILNS1_17partition_subalgoE4EjNS0_10empty_typeEbEEZZNS1_14partition_implILS8_4ELb0ES6_15HIP_vector_typeIjLj2EENS0_17counting_iteratorIjlEEPS9_SG_NS0_5tupleIJPjSI_NS0_16reverse_iteratorISI_EEEEENSH_IJSG_SG_SG_EEES9_SI_JZNS1_25segmented_radix_sort_implINS0_14default_configELb1EPK6__halfPSP_PKlPlN2at6native12_GLOBAL__N_18offset_tEEE10hipError_tPvRmT1_PNSt15iterator_traitsIS13_E10value_typeET2_T3_PNS14_IS19_E10value_typeET4_jRbjT5_S1F_jjP12ihipStream_tbEUljE_ZNSN_ISO_Lb1ESR_SS_SU_SV_SZ_EES10_S11_S12_S13_S17_S18_S19_S1C_S1D_jS1E_jS1F_S1F_jjS1H_bEUljE0_EEES10_S11_S12_S19_S1D_S1F_T6_T7_T9_mT8_S1H_bDpT10_ENKUlT_T0_E_clISt17integral_constantIbLb1EES1V_EEDaS1Q_S1R_EUlS1Q_E_NS1_11comp_targetILNS1_3genE8ELNS1_11target_archE1030ELNS1_3gpuE2ELNS1_3repE0EEENS1_30default_config_static_selectorELNS0_4arch9wavefront6targetE0EEEvS13_, .Lfunc_end1690-_ZN7rocprim17ROCPRIM_400000_NS6detail17trampoline_kernelINS0_13select_configILj256ELj13ELNS0_17block_load_methodE3ELS4_3ELS4_3ELNS0_20block_scan_algorithmE0ELj4294967295EEENS1_25partition_config_selectorILNS1_17partition_subalgoE4EjNS0_10empty_typeEbEEZZNS1_14partition_implILS8_4ELb0ES6_15HIP_vector_typeIjLj2EENS0_17counting_iteratorIjlEEPS9_SG_NS0_5tupleIJPjSI_NS0_16reverse_iteratorISI_EEEEENSH_IJSG_SG_SG_EEES9_SI_JZNS1_25segmented_radix_sort_implINS0_14default_configELb1EPK6__halfPSP_PKlPlN2at6native12_GLOBAL__N_18offset_tEEE10hipError_tPvRmT1_PNSt15iterator_traitsIS13_E10value_typeET2_T3_PNS14_IS19_E10value_typeET4_jRbjT5_S1F_jjP12ihipStream_tbEUljE_ZNSN_ISO_Lb1ESR_SS_SU_SV_SZ_EES10_S11_S12_S13_S17_S18_S19_S1C_S1D_jS1E_jS1F_S1F_jjS1H_bEUljE0_EEES10_S11_S12_S19_S1D_S1F_T6_T7_T9_mT8_S1H_bDpT10_ENKUlT_T0_E_clISt17integral_constantIbLb1EES1V_EEDaS1Q_S1R_EUlS1Q_E_NS1_11comp_targetILNS1_3genE8ELNS1_11target_archE1030ELNS1_3gpuE2ELNS1_3repE0EEENS1_30default_config_static_selectorELNS0_4arch9wavefront6targetE0EEEvS13_
                                        ; -- End function
	.section	.AMDGPU.csdata,"",@progbits
; Kernel info:
; codeLenInByte = 0
; NumSgprs: 0
; NumVgprs: 0
; ScratchSize: 0
; MemoryBound: 0
; FloatMode: 240
; IeeeMode: 1
; LDSByteSize: 0 bytes/workgroup (compile time only)
; SGPRBlocks: 0
; VGPRBlocks: 0
; NumSGPRsForWavesPerEU: 1
; NumVGPRsForWavesPerEU: 1
; Occupancy: 16
; WaveLimiterHint : 0
; COMPUTE_PGM_RSRC2:SCRATCH_EN: 0
; COMPUTE_PGM_RSRC2:USER_SGPR: 15
; COMPUTE_PGM_RSRC2:TRAP_HANDLER: 0
; COMPUTE_PGM_RSRC2:TGID_X_EN: 1
; COMPUTE_PGM_RSRC2:TGID_Y_EN: 0
; COMPUTE_PGM_RSRC2:TGID_Z_EN: 0
; COMPUTE_PGM_RSRC2:TIDIG_COMP_CNT: 0
	.section	.text._ZN7rocprim17ROCPRIM_400000_NS6detail17trampoline_kernelINS0_13select_configILj256ELj13ELNS0_17block_load_methodE3ELS4_3ELS4_3ELNS0_20block_scan_algorithmE0ELj4294967295EEENS1_25partition_config_selectorILNS1_17partition_subalgoE4EjNS0_10empty_typeEbEEZZNS1_14partition_implILS8_4ELb0ES6_15HIP_vector_typeIjLj2EENS0_17counting_iteratorIjlEEPS9_SG_NS0_5tupleIJPjSI_NS0_16reverse_iteratorISI_EEEEENSH_IJSG_SG_SG_EEES9_SI_JZNS1_25segmented_radix_sort_implINS0_14default_configELb1EPK6__halfPSP_PKlPlN2at6native12_GLOBAL__N_18offset_tEEE10hipError_tPvRmT1_PNSt15iterator_traitsIS13_E10value_typeET2_T3_PNS14_IS19_E10value_typeET4_jRbjT5_S1F_jjP12ihipStream_tbEUljE_ZNSN_ISO_Lb1ESR_SS_SU_SV_SZ_EES10_S11_S12_S13_S17_S18_S19_S1C_S1D_jS1E_jS1F_S1F_jjS1H_bEUljE0_EEES10_S11_S12_S19_S1D_S1F_T6_T7_T9_mT8_S1H_bDpT10_ENKUlT_T0_E_clISt17integral_constantIbLb1EES1U_IbLb0EEEEDaS1Q_S1R_EUlS1Q_E_NS1_11comp_targetILNS1_3genE0ELNS1_11target_archE4294967295ELNS1_3gpuE0ELNS1_3repE0EEENS1_30default_config_static_selectorELNS0_4arch9wavefront6targetE0EEEvS13_,"axG",@progbits,_ZN7rocprim17ROCPRIM_400000_NS6detail17trampoline_kernelINS0_13select_configILj256ELj13ELNS0_17block_load_methodE3ELS4_3ELS4_3ELNS0_20block_scan_algorithmE0ELj4294967295EEENS1_25partition_config_selectorILNS1_17partition_subalgoE4EjNS0_10empty_typeEbEEZZNS1_14partition_implILS8_4ELb0ES6_15HIP_vector_typeIjLj2EENS0_17counting_iteratorIjlEEPS9_SG_NS0_5tupleIJPjSI_NS0_16reverse_iteratorISI_EEEEENSH_IJSG_SG_SG_EEES9_SI_JZNS1_25segmented_radix_sort_implINS0_14default_configELb1EPK6__halfPSP_PKlPlN2at6native12_GLOBAL__N_18offset_tEEE10hipError_tPvRmT1_PNSt15iterator_traitsIS13_E10value_typeET2_T3_PNS14_IS19_E10value_typeET4_jRbjT5_S1F_jjP12ihipStream_tbEUljE_ZNSN_ISO_Lb1ESR_SS_SU_SV_SZ_EES10_S11_S12_S13_S17_S18_S19_S1C_S1D_jS1E_jS1F_S1F_jjS1H_bEUljE0_EEES10_S11_S12_S19_S1D_S1F_T6_T7_T9_mT8_S1H_bDpT10_ENKUlT_T0_E_clISt17integral_constantIbLb1EES1U_IbLb0EEEEDaS1Q_S1R_EUlS1Q_E_NS1_11comp_targetILNS1_3genE0ELNS1_11target_archE4294967295ELNS1_3gpuE0ELNS1_3repE0EEENS1_30default_config_static_selectorELNS0_4arch9wavefront6targetE0EEEvS13_,comdat
	.globl	_ZN7rocprim17ROCPRIM_400000_NS6detail17trampoline_kernelINS0_13select_configILj256ELj13ELNS0_17block_load_methodE3ELS4_3ELS4_3ELNS0_20block_scan_algorithmE0ELj4294967295EEENS1_25partition_config_selectorILNS1_17partition_subalgoE4EjNS0_10empty_typeEbEEZZNS1_14partition_implILS8_4ELb0ES6_15HIP_vector_typeIjLj2EENS0_17counting_iteratorIjlEEPS9_SG_NS0_5tupleIJPjSI_NS0_16reverse_iteratorISI_EEEEENSH_IJSG_SG_SG_EEES9_SI_JZNS1_25segmented_radix_sort_implINS0_14default_configELb1EPK6__halfPSP_PKlPlN2at6native12_GLOBAL__N_18offset_tEEE10hipError_tPvRmT1_PNSt15iterator_traitsIS13_E10value_typeET2_T3_PNS14_IS19_E10value_typeET4_jRbjT5_S1F_jjP12ihipStream_tbEUljE_ZNSN_ISO_Lb1ESR_SS_SU_SV_SZ_EES10_S11_S12_S13_S17_S18_S19_S1C_S1D_jS1E_jS1F_S1F_jjS1H_bEUljE0_EEES10_S11_S12_S19_S1D_S1F_T6_T7_T9_mT8_S1H_bDpT10_ENKUlT_T0_E_clISt17integral_constantIbLb1EES1U_IbLb0EEEEDaS1Q_S1R_EUlS1Q_E_NS1_11comp_targetILNS1_3genE0ELNS1_11target_archE4294967295ELNS1_3gpuE0ELNS1_3repE0EEENS1_30default_config_static_selectorELNS0_4arch9wavefront6targetE0EEEvS13_ ; -- Begin function _ZN7rocprim17ROCPRIM_400000_NS6detail17trampoline_kernelINS0_13select_configILj256ELj13ELNS0_17block_load_methodE3ELS4_3ELS4_3ELNS0_20block_scan_algorithmE0ELj4294967295EEENS1_25partition_config_selectorILNS1_17partition_subalgoE4EjNS0_10empty_typeEbEEZZNS1_14partition_implILS8_4ELb0ES6_15HIP_vector_typeIjLj2EENS0_17counting_iteratorIjlEEPS9_SG_NS0_5tupleIJPjSI_NS0_16reverse_iteratorISI_EEEEENSH_IJSG_SG_SG_EEES9_SI_JZNS1_25segmented_radix_sort_implINS0_14default_configELb1EPK6__halfPSP_PKlPlN2at6native12_GLOBAL__N_18offset_tEEE10hipError_tPvRmT1_PNSt15iterator_traitsIS13_E10value_typeET2_T3_PNS14_IS19_E10value_typeET4_jRbjT5_S1F_jjP12ihipStream_tbEUljE_ZNSN_ISO_Lb1ESR_SS_SU_SV_SZ_EES10_S11_S12_S13_S17_S18_S19_S1C_S1D_jS1E_jS1F_S1F_jjS1H_bEUljE0_EEES10_S11_S12_S19_S1D_S1F_T6_T7_T9_mT8_S1H_bDpT10_ENKUlT_T0_E_clISt17integral_constantIbLb1EES1U_IbLb0EEEEDaS1Q_S1R_EUlS1Q_E_NS1_11comp_targetILNS1_3genE0ELNS1_11target_archE4294967295ELNS1_3gpuE0ELNS1_3repE0EEENS1_30default_config_static_selectorELNS0_4arch9wavefront6targetE0EEEvS13_
	.p2align	8
	.type	_ZN7rocprim17ROCPRIM_400000_NS6detail17trampoline_kernelINS0_13select_configILj256ELj13ELNS0_17block_load_methodE3ELS4_3ELS4_3ELNS0_20block_scan_algorithmE0ELj4294967295EEENS1_25partition_config_selectorILNS1_17partition_subalgoE4EjNS0_10empty_typeEbEEZZNS1_14partition_implILS8_4ELb0ES6_15HIP_vector_typeIjLj2EENS0_17counting_iteratorIjlEEPS9_SG_NS0_5tupleIJPjSI_NS0_16reverse_iteratorISI_EEEEENSH_IJSG_SG_SG_EEES9_SI_JZNS1_25segmented_radix_sort_implINS0_14default_configELb1EPK6__halfPSP_PKlPlN2at6native12_GLOBAL__N_18offset_tEEE10hipError_tPvRmT1_PNSt15iterator_traitsIS13_E10value_typeET2_T3_PNS14_IS19_E10value_typeET4_jRbjT5_S1F_jjP12ihipStream_tbEUljE_ZNSN_ISO_Lb1ESR_SS_SU_SV_SZ_EES10_S11_S12_S13_S17_S18_S19_S1C_S1D_jS1E_jS1F_S1F_jjS1H_bEUljE0_EEES10_S11_S12_S19_S1D_S1F_T6_T7_T9_mT8_S1H_bDpT10_ENKUlT_T0_E_clISt17integral_constantIbLb1EES1U_IbLb0EEEEDaS1Q_S1R_EUlS1Q_E_NS1_11comp_targetILNS1_3genE0ELNS1_11target_archE4294967295ELNS1_3gpuE0ELNS1_3repE0EEENS1_30default_config_static_selectorELNS0_4arch9wavefront6targetE0EEEvS13_,@function
_ZN7rocprim17ROCPRIM_400000_NS6detail17trampoline_kernelINS0_13select_configILj256ELj13ELNS0_17block_load_methodE3ELS4_3ELS4_3ELNS0_20block_scan_algorithmE0ELj4294967295EEENS1_25partition_config_selectorILNS1_17partition_subalgoE4EjNS0_10empty_typeEbEEZZNS1_14partition_implILS8_4ELb0ES6_15HIP_vector_typeIjLj2EENS0_17counting_iteratorIjlEEPS9_SG_NS0_5tupleIJPjSI_NS0_16reverse_iteratorISI_EEEEENSH_IJSG_SG_SG_EEES9_SI_JZNS1_25segmented_radix_sort_implINS0_14default_configELb1EPK6__halfPSP_PKlPlN2at6native12_GLOBAL__N_18offset_tEEE10hipError_tPvRmT1_PNSt15iterator_traitsIS13_E10value_typeET2_T3_PNS14_IS19_E10value_typeET4_jRbjT5_S1F_jjP12ihipStream_tbEUljE_ZNSN_ISO_Lb1ESR_SS_SU_SV_SZ_EES10_S11_S12_S13_S17_S18_S19_S1C_S1D_jS1E_jS1F_S1F_jjS1H_bEUljE0_EEES10_S11_S12_S19_S1D_S1F_T6_T7_T9_mT8_S1H_bDpT10_ENKUlT_T0_E_clISt17integral_constantIbLb1EES1U_IbLb0EEEEDaS1Q_S1R_EUlS1Q_E_NS1_11comp_targetILNS1_3genE0ELNS1_11target_archE4294967295ELNS1_3gpuE0ELNS1_3repE0EEENS1_30default_config_static_selectorELNS0_4arch9wavefront6targetE0EEEvS13_: ; @_ZN7rocprim17ROCPRIM_400000_NS6detail17trampoline_kernelINS0_13select_configILj256ELj13ELNS0_17block_load_methodE3ELS4_3ELS4_3ELNS0_20block_scan_algorithmE0ELj4294967295EEENS1_25partition_config_selectorILNS1_17partition_subalgoE4EjNS0_10empty_typeEbEEZZNS1_14partition_implILS8_4ELb0ES6_15HIP_vector_typeIjLj2EENS0_17counting_iteratorIjlEEPS9_SG_NS0_5tupleIJPjSI_NS0_16reverse_iteratorISI_EEEEENSH_IJSG_SG_SG_EEES9_SI_JZNS1_25segmented_radix_sort_implINS0_14default_configELb1EPK6__halfPSP_PKlPlN2at6native12_GLOBAL__N_18offset_tEEE10hipError_tPvRmT1_PNSt15iterator_traitsIS13_E10value_typeET2_T3_PNS14_IS19_E10value_typeET4_jRbjT5_S1F_jjP12ihipStream_tbEUljE_ZNSN_ISO_Lb1ESR_SS_SU_SV_SZ_EES10_S11_S12_S13_S17_S18_S19_S1C_S1D_jS1E_jS1F_S1F_jjS1H_bEUljE0_EEES10_S11_S12_S19_S1D_S1F_T6_T7_T9_mT8_S1H_bDpT10_ENKUlT_T0_E_clISt17integral_constantIbLb1EES1U_IbLb0EEEEDaS1Q_S1R_EUlS1Q_E_NS1_11comp_targetILNS1_3genE0ELNS1_11target_archE4294967295ELNS1_3gpuE0ELNS1_3repE0EEENS1_30default_config_static_selectorELNS0_4arch9wavefront6targetE0EEEvS13_
; %bb.0:
	.section	.rodata,"a",@progbits
	.p2align	6, 0x0
	.amdhsa_kernel _ZN7rocprim17ROCPRIM_400000_NS6detail17trampoline_kernelINS0_13select_configILj256ELj13ELNS0_17block_load_methodE3ELS4_3ELS4_3ELNS0_20block_scan_algorithmE0ELj4294967295EEENS1_25partition_config_selectorILNS1_17partition_subalgoE4EjNS0_10empty_typeEbEEZZNS1_14partition_implILS8_4ELb0ES6_15HIP_vector_typeIjLj2EENS0_17counting_iteratorIjlEEPS9_SG_NS0_5tupleIJPjSI_NS0_16reverse_iteratorISI_EEEEENSH_IJSG_SG_SG_EEES9_SI_JZNS1_25segmented_radix_sort_implINS0_14default_configELb1EPK6__halfPSP_PKlPlN2at6native12_GLOBAL__N_18offset_tEEE10hipError_tPvRmT1_PNSt15iterator_traitsIS13_E10value_typeET2_T3_PNS14_IS19_E10value_typeET4_jRbjT5_S1F_jjP12ihipStream_tbEUljE_ZNSN_ISO_Lb1ESR_SS_SU_SV_SZ_EES10_S11_S12_S13_S17_S18_S19_S1C_S1D_jS1E_jS1F_S1F_jjS1H_bEUljE0_EEES10_S11_S12_S19_S1D_S1F_T6_T7_T9_mT8_S1H_bDpT10_ENKUlT_T0_E_clISt17integral_constantIbLb1EES1U_IbLb0EEEEDaS1Q_S1R_EUlS1Q_E_NS1_11comp_targetILNS1_3genE0ELNS1_11target_archE4294967295ELNS1_3gpuE0ELNS1_3repE0EEENS1_30default_config_static_selectorELNS0_4arch9wavefront6targetE0EEEvS13_
		.amdhsa_group_segment_fixed_size 0
		.amdhsa_private_segment_fixed_size 0
		.amdhsa_kernarg_size 176
		.amdhsa_user_sgpr_count 15
		.amdhsa_user_sgpr_dispatch_ptr 0
		.amdhsa_user_sgpr_queue_ptr 0
		.amdhsa_user_sgpr_kernarg_segment_ptr 1
		.amdhsa_user_sgpr_dispatch_id 0
		.amdhsa_user_sgpr_private_segment_size 0
		.amdhsa_wavefront_size32 1
		.amdhsa_uses_dynamic_stack 0
		.amdhsa_enable_private_segment 0
		.amdhsa_system_sgpr_workgroup_id_x 1
		.amdhsa_system_sgpr_workgroup_id_y 0
		.amdhsa_system_sgpr_workgroup_id_z 0
		.amdhsa_system_sgpr_workgroup_info 0
		.amdhsa_system_vgpr_workitem_id 0
		.amdhsa_next_free_vgpr 1
		.amdhsa_next_free_sgpr 1
		.amdhsa_reserve_vcc 0
		.amdhsa_float_round_mode_32 0
		.amdhsa_float_round_mode_16_64 0
		.amdhsa_float_denorm_mode_32 3
		.amdhsa_float_denorm_mode_16_64 3
		.amdhsa_dx10_clamp 1
		.amdhsa_ieee_mode 1
		.amdhsa_fp16_overflow 0
		.amdhsa_workgroup_processor_mode 1
		.amdhsa_memory_ordered 1
		.amdhsa_forward_progress 0
		.amdhsa_shared_vgpr_count 0
		.amdhsa_exception_fp_ieee_invalid_op 0
		.amdhsa_exception_fp_denorm_src 0
		.amdhsa_exception_fp_ieee_div_zero 0
		.amdhsa_exception_fp_ieee_overflow 0
		.amdhsa_exception_fp_ieee_underflow 0
		.amdhsa_exception_fp_ieee_inexact 0
		.amdhsa_exception_int_div_zero 0
	.end_amdhsa_kernel
	.section	.text._ZN7rocprim17ROCPRIM_400000_NS6detail17trampoline_kernelINS0_13select_configILj256ELj13ELNS0_17block_load_methodE3ELS4_3ELS4_3ELNS0_20block_scan_algorithmE0ELj4294967295EEENS1_25partition_config_selectorILNS1_17partition_subalgoE4EjNS0_10empty_typeEbEEZZNS1_14partition_implILS8_4ELb0ES6_15HIP_vector_typeIjLj2EENS0_17counting_iteratorIjlEEPS9_SG_NS0_5tupleIJPjSI_NS0_16reverse_iteratorISI_EEEEENSH_IJSG_SG_SG_EEES9_SI_JZNS1_25segmented_radix_sort_implINS0_14default_configELb1EPK6__halfPSP_PKlPlN2at6native12_GLOBAL__N_18offset_tEEE10hipError_tPvRmT1_PNSt15iterator_traitsIS13_E10value_typeET2_T3_PNS14_IS19_E10value_typeET4_jRbjT5_S1F_jjP12ihipStream_tbEUljE_ZNSN_ISO_Lb1ESR_SS_SU_SV_SZ_EES10_S11_S12_S13_S17_S18_S19_S1C_S1D_jS1E_jS1F_S1F_jjS1H_bEUljE0_EEES10_S11_S12_S19_S1D_S1F_T6_T7_T9_mT8_S1H_bDpT10_ENKUlT_T0_E_clISt17integral_constantIbLb1EES1U_IbLb0EEEEDaS1Q_S1R_EUlS1Q_E_NS1_11comp_targetILNS1_3genE0ELNS1_11target_archE4294967295ELNS1_3gpuE0ELNS1_3repE0EEENS1_30default_config_static_selectorELNS0_4arch9wavefront6targetE0EEEvS13_,"axG",@progbits,_ZN7rocprim17ROCPRIM_400000_NS6detail17trampoline_kernelINS0_13select_configILj256ELj13ELNS0_17block_load_methodE3ELS4_3ELS4_3ELNS0_20block_scan_algorithmE0ELj4294967295EEENS1_25partition_config_selectorILNS1_17partition_subalgoE4EjNS0_10empty_typeEbEEZZNS1_14partition_implILS8_4ELb0ES6_15HIP_vector_typeIjLj2EENS0_17counting_iteratorIjlEEPS9_SG_NS0_5tupleIJPjSI_NS0_16reverse_iteratorISI_EEEEENSH_IJSG_SG_SG_EEES9_SI_JZNS1_25segmented_radix_sort_implINS0_14default_configELb1EPK6__halfPSP_PKlPlN2at6native12_GLOBAL__N_18offset_tEEE10hipError_tPvRmT1_PNSt15iterator_traitsIS13_E10value_typeET2_T3_PNS14_IS19_E10value_typeET4_jRbjT5_S1F_jjP12ihipStream_tbEUljE_ZNSN_ISO_Lb1ESR_SS_SU_SV_SZ_EES10_S11_S12_S13_S17_S18_S19_S1C_S1D_jS1E_jS1F_S1F_jjS1H_bEUljE0_EEES10_S11_S12_S19_S1D_S1F_T6_T7_T9_mT8_S1H_bDpT10_ENKUlT_T0_E_clISt17integral_constantIbLb1EES1U_IbLb0EEEEDaS1Q_S1R_EUlS1Q_E_NS1_11comp_targetILNS1_3genE0ELNS1_11target_archE4294967295ELNS1_3gpuE0ELNS1_3repE0EEENS1_30default_config_static_selectorELNS0_4arch9wavefront6targetE0EEEvS13_,comdat
.Lfunc_end1691:
	.size	_ZN7rocprim17ROCPRIM_400000_NS6detail17trampoline_kernelINS0_13select_configILj256ELj13ELNS0_17block_load_methodE3ELS4_3ELS4_3ELNS0_20block_scan_algorithmE0ELj4294967295EEENS1_25partition_config_selectorILNS1_17partition_subalgoE4EjNS0_10empty_typeEbEEZZNS1_14partition_implILS8_4ELb0ES6_15HIP_vector_typeIjLj2EENS0_17counting_iteratorIjlEEPS9_SG_NS0_5tupleIJPjSI_NS0_16reverse_iteratorISI_EEEEENSH_IJSG_SG_SG_EEES9_SI_JZNS1_25segmented_radix_sort_implINS0_14default_configELb1EPK6__halfPSP_PKlPlN2at6native12_GLOBAL__N_18offset_tEEE10hipError_tPvRmT1_PNSt15iterator_traitsIS13_E10value_typeET2_T3_PNS14_IS19_E10value_typeET4_jRbjT5_S1F_jjP12ihipStream_tbEUljE_ZNSN_ISO_Lb1ESR_SS_SU_SV_SZ_EES10_S11_S12_S13_S17_S18_S19_S1C_S1D_jS1E_jS1F_S1F_jjS1H_bEUljE0_EEES10_S11_S12_S19_S1D_S1F_T6_T7_T9_mT8_S1H_bDpT10_ENKUlT_T0_E_clISt17integral_constantIbLb1EES1U_IbLb0EEEEDaS1Q_S1R_EUlS1Q_E_NS1_11comp_targetILNS1_3genE0ELNS1_11target_archE4294967295ELNS1_3gpuE0ELNS1_3repE0EEENS1_30default_config_static_selectorELNS0_4arch9wavefront6targetE0EEEvS13_, .Lfunc_end1691-_ZN7rocprim17ROCPRIM_400000_NS6detail17trampoline_kernelINS0_13select_configILj256ELj13ELNS0_17block_load_methodE3ELS4_3ELS4_3ELNS0_20block_scan_algorithmE0ELj4294967295EEENS1_25partition_config_selectorILNS1_17partition_subalgoE4EjNS0_10empty_typeEbEEZZNS1_14partition_implILS8_4ELb0ES6_15HIP_vector_typeIjLj2EENS0_17counting_iteratorIjlEEPS9_SG_NS0_5tupleIJPjSI_NS0_16reverse_iteratorISI_EEEEENSH_IJSG_SG_SG_EEES9_SI_JZNS1_25segmented_radix_sort_implINS0_14default_configELb1EPK6__halfPSP_PKlPlN2at6native12_GLOBAL__N_18offset_tEEE10hipError_tPvRmT1_PNSt15iterator_traitsIS13_E10value_typeET2_T3_PNS14_IS19_E10value_typeET4_jRbjT5_S1F_jjP12ihipStream_tbEUljE_ZNSN_ISO_Lb1ESR_SS_SU_SV_SZ_EES10_S11_S12_S13_S17_S18_S19_S1C_S1D_jS1E_jS1F_S1F_jjS1H_bEUljE0_EEES10_S11_S12_S19_S1D_S1F_T6_T7_T9_mT8_S1H_bDpT10_ENKUlT_T0_E_clISt17integral_constantIbLb1EES1U_IbLb0EEEEDaS1Q_S1R_EUlS1Q_E_NS1_11comp_targetILNS1_3genE0ELNS1_11target_archE4294967295ELNS1_3gpuE0ELNS1_3repE0EEENS1_30default_config_static_selectorELNS0_4arch9wavefront6targetE0EEEvS13_
                                        ; -- End function
	.section	.AMDGPU.csdata,"",@progbits
; Kernel info:
; codeLenInByte = 0
; NumSgprs: 0
; NumVgprs: 0
; ScratchSize: 0
; MemoryBound: 0
; FloatMode: 240
; IeeeMode: 1
; LDSByteSize: 0 bytes/workgroup (compile time only)
; SGPRBlocks: 0
; VGPRBlocks: 0
; NumSGPRsForWavesPerEU: 1
; NumVGPRsForWavesPerEU: 1
; Occupancy: 16
; WaveLimiterHint : 0
; COMPUTE_PGM_RSRC2:SCRATCH_EN: 0
; COMPUTE_PGM_RSRC2:USER_SGPR: 15
; COMPUTE_PGM_RSRC2:TRAP_HANDLER: 0
; COMPUTE_PGM_RSRC2:TGID_X_EN: 1
; COMPUTE_PGM_RSRC2:TGID_Y_EN: 0
; COMPUTE_PGM_RSRC2:TGID_Z_EN: 0
; COMPUTE_PGM_RSRC2:TIDIG_COMP_CNT: 0
	.section	.text._ZN7rocprim17ROCPRIM_400000_NS6detail17trampoline_kernelINS0_13select_configILj256ELj13ELNS0_17block_load_methodE3ELS4_3ELS4_3ELNS0_20block_scan_algorithmE0ELj4294967295EEENS1_25partition_config_selectorILNS1_17partition_subalgoE4EjNS0_10empty_typeEbEEZZNS1_14partition_implILS8_4ELb0ES6_15HIP_vector_typeIjLj2EENS0_17counting_iteratorIjlEEPS9_SG_NS0_5tupleIJPjSI_NS0_16reverse_iteratorISI_EEEEENSH_IJSG_SG_SG_EEES9_SI_JZNS1_25segmented_radix_sort_implINS0_14default_configELb1EPK6__halfPSP_PKlPlN2at6native12_GLOBAL__N_18offset_tEEE10hipError_tPvRmT1_PNSt15iterator_traitsIS13_E10value_typeET2_T3_PNS14_IS19_E10value_typeET4_jRbjT5_S1F_jjP12ihipStream_tbEUljE_ZNSN_ISO_Lb1ESR_SS_SU_SV_SZ_EES10_S11_S12_S13_S17_S18_S19_S1C_S1D_jS1E_jS1F_S1F_jjS1H_bEUljE0_EEES10_S11_S12_S19_S1D_S1F_T6_T7_T9_mT8_S1H_bDpT10_ENKUlT_T0_E_clISt17integral_constantIbLb1EES1U_IbLb0EEEEDaS1Q_S1R_EUlS1Q_E_NS1_11comp_targetILNS1_3genE5ELNS1_11target_archE942ELNS1_3gpuE9ELNS1_3repE0EEENS1_30default_config_static_selectorELNS0_4arch9wavefront6targetE0EEEvS13_,"axG",@progbits,_ZN7rocprim17ROCPRIM_400000_NS6detail17trampoline_kernelINS0_13select_configILj256ELj13ELNS0_17block_load_methodE3ELS4_3ELS4_3ELNS0_20block_scan_algorithmE0ELj4294967295EEENS1_25partition_config_selectorILNS1_17partition_subalgoE4EjNS0_10empty_typeEbEEZZNS1_14partition_implILS8_4ELb0ES6_15HIP_vector_typeIjLj2EENS0_17counting_iteratorIjlEEPS9_SG_NS0_5tupleIJPjSI_NS0_16reverse_iteratorISI_EEEEENSH_IJSG_SG_SG_EEES9_SI_JZNS1_25segmented_radix_sort_implINS0_14default_configELb1EPK6__halfPSP_PKlPlN2at6native12_GLOBAL__N_18offset_tEEE10hipError_tPvRmT1_PNSt15iterator_traitsIS13_E10value_typeET2_T3_PNS14_IS19_E10value_typeET4_jRbjT5_S1F_jjP12ihipStream_tbEUljE_ZNSN_ISO_Lb1ESR_SS_SU_SV_SZ_EES10_S11_S12_S13_S17_S18_S19_S1C_S1D_jS1E_jS1F_S1F_jjS1H_bEUljE0_EEES10_S11_S12_S19_S1D_S1F_T6_T7_T9_mT8_S1H_bDpT10_ENKUlT_T0_E_clISt17integral_constantIbLb1EES1U_IbLb0EEEEDaS1Q_S1R_EUlS1Q_E_NS1_11comp_targetILNS1_3genE5ELNS1_11target_archE942ELNS1_3gpuE9ELNS1_3repE0EEENS1_30default_config_static_selectorELNS0_4arch9wavefront6targetE0EEEvS13_,comdat
	.globl	_ZN7rocprim17ROCPRIM_400000_NS6detail17trampoline_kernelINS0_13select_configILj256ELj13ELNS0_17block_load_methodE3ELS4_3ELS4_3ELNS0_20block_scan_algorithmE0ELj4294967295EEENS1_25partition_config_selectorILNS1_17partition_subalgoE4EjNS0_10empty_typeEbEEZZNS1_14partition_implILS8_4ELb0ES6_15HIP_vector_typeIjLj2EENS0_17counting_iteratorIjlEEPS9_SG_NS0_5tupleIJPjSI_NS0_16reverse_iteratorISI_EEEEENSH_IJSG_SG_SG_EEES9_SI_JZNS1_25segmented_radix_sort_implINS0_14default_configELb1EPK6__halfPSP_PKlPlN2at6native12_GLOBAL__N_18offset_tEEE10hipError_tPvRmT1_PNSt15iterator_traitsIS13_E10value_typeET2_T3_PNS14_IS19_E10value_typeET4_jRbjT5_S1F_jjP12ihipStream_tbEUljE_ZNSN_ISO_Lb1ESR_SS_SU_SV_SZ_EES10_S11_S12_S13_S17_S18_S19_S1C_S1D_jS1E_jS1F_S1F_jjS1H_bEUljE0_EEES10_S11_S12_S19_S1D_S1F_T6_T7_T9_mT8_S1H_bDpT10_ENKUlT_T0_E_clISt17integral_constantIbLb1EES1U_IbLb0EEEEDaS1Q_S1R_EUlS1Q_E_NS1_11comp_targetILNS1_3genE5ELNS1_11target_archE942ELNS1_3gpuE9ELNS1_3repE0EEENS1_30default_config_static_selectorELNS0_4arch9wavefront6targetE0EEEvS13_ ; -- Begin function _ZN7rocprim17ROCPRIM_400000_NS6detail17trampoline_kernelINS0_13select_configILj256ELj13ELNS0_17block_load_methodE3ELS4_3ELS4_3ELNS0_20block_scan_algorithmE0ELj4294967295EEENS1_25partition_config_selectorILNS1_17partition_subalgoE4EjNS0_10empty_typeEbEEZZNS1_14partition_implILS8_4ELb0ES6_15HIP_vector_typeIjLj2EENS0_17counting_iteratorIjlEEPS9_SG_NS0_5tupleIJPjSI_NS0_16reverse_iteratorISI_EEEEENSH_IJSG_SG_SG_EEES9_SI_JZNS1_25segmented_radix_sort_implINS0_14default_configELb1EPK6__halfPSP_PKlPlN2at6native12_GLOBAL__N_18offset_tEEE10hipError_tPvRmT1_PNSt15iterator_traitsIS13_E10value_typeET2_T3_PNS14_IS19_E10value_typeET4_jRbjT5_S1F_jjP12ihipStream_tbEUljE_ZNSN_ISO_Lb1ESR_SS_SU_SV_SZ_EES10_S11_S12_S13_S17_S18_S19_S1C_S1D_jS1E_jS1F_S1F_jjS1H_bEUljE0_EEES10_S11_S12_S19_S1D_S1F_T6_T7_T9_mT8_S1H_bDpT10_ENKUlT_T0_E_clISt17integral_constantIbLb1EES1U_IbLb0EEEEDaS1Q_S1R_EUlS1Q_E_NS1_11comp_targetILNS1_3genE5ELNS1_11target_archE942ELNS1_3gpuE9ELNS1_3repE0EEENS1_30default_config_static_selectorELNS0_4arch9wavefront6targetE0EEEvS13_
	.p2align	8
	.type	_ZN7rocprim17ROCPRIM_400000_NS6detail17trampoline_kernelINS0_13select_configILj256ELj13ELNS0_17block_load_methodE3ELS4_3ELS4_3ELNS0_20block_scan_algorithmE0ELj4294967295EEENS1_25partition_config_selectorILNS1_17partition_subalgoE4EjNS0_10empty_typeEbEEZZNS1_14partition_implILS8_4ELb0ES6_15HIP_vector_typeIjLj2EENS0_17counting_iteratorIjlEEPS9_SG_NS0_5tupleIJPjSI_NS0_16reverse_iteratorISI_EEEEENSH_IJSG_SG_SG_EEES9_SI_JZNS1_25segmented_radix_sort_implINS0_14default_configELb1EPK6__halfPSP_PKlPlN2at6native12_GLOBAL__N_18offset_tEEE10hipError_tPvRmT1_PNSt15iterator_traitsIS13_E10value_typeET2_T3_PNS14_IS19_E10value_typeET4_jRbjT5_S1F_jjP12ihipStream_tbEUljE_ZNSN_ISO_Lb1ESR_SS_SU_SV_SZ_EES10_S11_S12_S13_S17_S18_S19_S1C_S1D_jS1E_jS1F_S1F_jjS1H_bEUljE0_EEES10_S11_S12_S19_S1D_S1F_T6_T7_T9_mT8_S1H_bDpT10_ENKUlT_T0_E_clISt17integral_constantIbLb1EES1U_IbLb0EEEEDaS1Q_S1R_EUlS1Q_E_NS1_11comp_targetILNS1_3genE5ELNS1_11target_archE942ELNS1_3gpuE9ELNS1_3repE0EEENS1_30default_config_static_selectorELNS0_4arch9wavefront6targetE0EEEvS13_,@function
_ZN7rocprim17ROCPRIM_400000_NS6detail17trampoline_kernelINS0_13select_configILj256ELj13ELNS0_17block_load_methodE3ELS4_3ELS4_3ELNS0_20block_scan_algorithmE0ELj4294967295EEENS1_25partition_config_selectorILNS1_17partition_subalgoE4EjNS0_10empty_typeEbEEZZNS1_14partition_implILS8_4ELb0ES6_15HIP_vector_typeIjLj2EENS0_17counting_iteratorIjlEEPS9_SG_NS0_5tupleIJPjSI_NS0_16reverse_iteratorISI_EEEEENSH_IJSG_SG_SG_EEES9_SI_JZNS1_25segmented_radix_sort_implINS0_14default_configELb1EPK6__halfPSP_PKlPlN2at6native12_GLOBAL__N_18offset_tEEE10hipError_tPvRmT1_PNSt15iterator_traitsIS13_E10value_typeET2_T3_PNS14_IS19_E10value_typeET4_jRbjT5_S1F_jjP12ihipStream_tbEUljE_ZNSN_ISO_Lb1ESR_SS_SU_SV_SZ_EES10_S11_S12_S13_S17_S18_S19_S1C_S1D_jS1E_jS1F_S1F_jjS1H_bEUljE0_EEES10_S11_S12_S19_S1D_S1F_T6_T7_T9_mT8_S1H_bDpT10_ENKUlT_T0_E_clISt17integral_constantIbLb1EES1U_IbLb0EEEEDaS1Q_S1R_EUlS1Q_E_NS1_11comp_targetILNS1_3genE5ELNS1_11target_archE942ELNS1_3gpuE9ELNS1_3repE0EEENS1_30default_config_static_selectorELNS0_4arch9wavefront6targetE0EEEvS13_: ; @_ZN7rocprim17ROCPRIM_400000_NS6detail17trampoline_kernelINS0_13select_configILj256ELj13ELNS0_17block_load_methodE3ELS4_3ELS4_3ELNS0_20block_scan_algorithmE0ELj4294967295EEENS1_25partition_config_selectorILNS1_17partition_subalgoE4EjNS0_10empty_typeEbEEZZNS1_14partition_implILS8_4ELb0ES6_15HIP_vector_typeIjLj2EENS0_17counting_iteratorIjlEEPS9_SG_NS0_5tupleIJPjSI_NS0_16reverse_iteratorISI_EEEEENSH_IJSG_SG_SG_EEES9_SI_JZNS1_25segmented_radix_sort_implINS0_14default_configELb1EPK6__halfPSP_PKlPlN2at6native12_GLOBAL__N_18offset_tEEE10hipError_tPvRmT1_PNSt15iterator_traitsIS13_E10value_typeET2_T3_PNS14_IS19_E10value_typeET4_jRbjT5_S1F_jjP12ihipStream_tbEUljE_ZNSN_ISO_Lb1ESR_SS_SU_SV_SZ_EES10_S11_S12_S13_S17_S18_S19_S1C_S1D_jS1E_jS1F_S1F_jjS1H_bEUljE0_EEES10_S11_S12_S19_S1D_S1F_T6_T7_T9_mT8_S1H_bDpT10_ENKUlT_T0_E_clISt17integral_constantIbLb1EES1U_IbLb0EEEEDaS1Q_S1R_EUlS1Q_E_NS1_11comp_targetILNS1_3genE5ELNS1_11target_archE942ELNS1_3gpuE9ELNS1_3repE0EEENS1_30default_config_static_selectorELNS0_4arch9wavefront6targetE0EEEvS13_
; %bb.0:
	.section	.rodata,"a",@progbits
	.p2align	6, 0x0
	.amdhsa_kernel _ZN7rocprim17ROCPRIM_400000_NS6detail17trampoline_kernelINS0_13select_configILj256ELj13ELNS0_17block_load_methodE3ELS4_3ELS4_3ELNS0_20block_scan_algorithmE0ELj4294967295EEENS1_25partition_config_selectorILNS1_17partition_subalgoE4EjNS0_10empty_typeEbEEZZNS1_14partition_implILS8_4ELb0ES6_15HIP_vector_typeIjLj2EENS0_17counting_iteratorIjlEEPS9_SG_NS0_5tupleIJPjSI_NS0_16reverse_iteratorISI_EEEEENSH_IJSG_SG_SG_EEES9_SI_JZNS1_25segmented_radix_sort_implINS0_14default_configELb1EPK6__halfPSP_PKlPlN2at6native12_GLOBAL__N_18offset_tEEE10hipError_tPvRmT1_PNSt15iterator_traitsIS13_E10value_typeET2_T3_PNS14_IS19_E10value_typeET4_jRbjT5_S1F_jjP12ihipStream_tbEUljE_ZNSN_ISO_Lb1ESR_SS_SU_SV_SZ_EES10_S11_S12_S13_S17_S18_S19_S1C_S1D_jS1E_jS1F_S1F_jjS1H_bEUljE0_EEES10_S11_S12_S19_S1D_S1F_T6_T7_T9_mT8_S1H_bDpT10_ENKUlT_T0_E_clISt17integral_constantIbLb1EES1U_IbLb0EEEEDaS1Q_S1R_EUlS1Q_E_NS1_11comp_targetILNS1_3genE5ELNS1_11target_archE942ELNS1_3gpuE9ELNS1_3repE0EEENS1_30default_config_static_selectorELNS0_4arch9wavefront6targetE0EEEvS13_
		.amdhsa_group_segment_fixed_size 0
		.amdhsa_private_segment_fixed_size 0
		.amdhsa_kernarg_size 176
		.amdhsa_user_sgpr_count 15
		.amdhsa_user_sgpr_dispatch_ptr 0
		.amdhsa_user_sgpr_queue_ptr 0
		.amdhsa_user_sgpr_kernarg_segment_ptr 1
		.amdhsa_user_sgpr_dispatch_id 0
		.amdhsa_user_sgpr_private_segment_size 0
		.amdhsa_wavefront_size32 1
		.amdhsa_uses_dynamic_stack 0
		.amdhsa_enable_private_segment 0
		.amdhsa_system_sgpr_workgroup_id_x 1
		.amdhsa_system_sgpr_workgroup_id_y 0
		.amdhsa_system_sgpr_workgroup_id_z 0
		.amdhsa_system_sgpr_workgroup_info 0
		.amdhsa_system_vgpr_workitem_id 0
		.amdhsa_next_free_vgpr 1
		.amdhsa_next_free_sgpr 1
		.amdhsa_reserve_vcc 0
		.amdhsa_float_round_mode_32 0
		.amdhsa_float_round_mode_16_64 0
		.amdhsa_float_denorm_mode_32 3
		.amdhsa_float_denorm_mode_16_64 3
		.amdhsa_dx10_clamp 1
		.amdhsa_ieee_mode 1
		.amdhsa_fp16_overflow 0
		.amdhsa_workgroup_processor_mode 1
		.amdhsa_memory_ordered 1
		.amdhsa_forward_progress 0
		.amdhsa_shared_vgpr_count 0
		.amdhsa_exception_fp_ieee_invalid_op 0
		.amdhsa_exception_fp_denorm_src 0
		.amdhsa_exception_fp_ieee_div_zero 0
		.amdhsa_exception_fp_ieee_overflow 0
		.amdhsa_exception_fp_ieee_underflow 0
		.amdhsa_exception_fp_ieee_inexact 0
		.amdhsa_exception_int_div_zero 0
	.end_amdhsa_kernel
	.section	.text._ZN7rocprim17ROCPRIM_400000_NS6detail17trampoline_kernelINS0_13select_configILj256ELj13ELNS0_17block_load_methodE3ELS4_3ELS4_3ELNS0_20block_scan_algorithmE0ELj4294967295EEENS1_25partition_config_selectorILNS1_17partition_subalgoE4EjNS0_10empty_typeEbEEZZNS1_14partition_implILS8_4ELb0ES6_15HIP_vector_typeIjLj2EENS0_17counting_iteratorIjlEEPS9_SG_NS0_5tupleIJPjSI_NS0_16reverse_iteratorISI_EEEEENSH_IJSG_SG_SG_EEES9_SI_JZNS1_25segmented_radix_sort_implINS0_14default_configELb1EPK6__halfPSP_PKlPlN2at6native12_GLOBAL__N_18offset_tEEE10hipError_tPvRmT1_PNSt15iterator_traitsIS13_E10value_typeET2_T3_PNS14_IS19_E10value_typeET4_jRbjT5_S1F_jjP12ihipStream_tbEUljE_ZNSN_ISO_Lb1ESR_SS_SU_SV_SZ_EES10_S11_S12_S13_S17_S18_S19_S1C_S1D_jS1E_jS1F_S1F_jjS1H_bEUljE0_EEES10_S11_S12_S19_S1D_S1F_T6_T7_T9_mT8_S1H_bDpT10_ENKUlT_T0_E_clISt17integral_constantIbLb1EES1U_IbLb0EEEEDaS1Q_S1R_EUlS1Q_E_NS1_11comp_targetILNS1_3genE5ELNS1_11target_archE942ELNS1_3gpuE9ELNS1_3repE0EEENS1_30default_config_static_selectorELNS0_4arch9wavefront6targetE0EEEvS13_,"axG",@progbits,_ZN7rocprim17ROCPRIM_400000_NS6detail17trampoline_kernelINS0_13select_configILj256ELj13ELNS0_17block_load_methodE3ELS4_3ELS4_3ELNS0_20block_scan_algorithmE0ELj4294967295EEENS1_25partition_config_selectorILNS1_17partition_subalgoE4EjNS0_10empty_typeEbEEZZNS1_14partition_implILS8_4ELb0ES6_15HIP_vector_typeIjLj2EENS0_17counting_iteratorIjlEEPS9_SG_NS0_5tupleIJPjSI_NS0_16reverse_iteratorISI_EEEEENSH_IJSG_SG_SG_EEES9_SI_JZNS1_25segmented_radix_sort_implINS0_14default_configELb1EPK6__halfPSP_PKlPlN2at6native12_GLOBAL__N_18offset_tEEE10hipError_tPvRmT1_PNSt15iterator_traitsIS13_E10value_typeET2_T3_PNS14_IS19_E10value_typeET4_jRbjT5_S1F_jjP12ihipStream_tbEUljE_ZNSN_ISO_Lb1ESR_SS_SU_SV_SZ_EES10_S11_S12_S13_S17_S18_S19_S1C_S1D_jS1E_jS1F_S1F_jjS1H_bEUljE0_EEES10_S11_S12_S19_S1D_S1F_T6_T7_T9_mT8_S1H_bDpT10_ENKUlT_T0_E_clISt17integral_constantIbLb1EES1U_IbLb0EEEEDaS1Q_S1R_EUlS1Q_E_NS1_11comp_targetILNS1_3genE5ELNS1_11target_archE942ELNS1_3gpuE9ELNS1_3repE0EEENS1_30default_config_static_selectorELNS0_4arch9wavefront6targetE0EEEvS13_,comdat
.Lfunc_end1692:
	.size	_ZN7rocprim17ROCPRIM_400000_NS6detail17trampoline_kernelINS0_13select_configILj256ELj13ELNS0_17block_load_methodE3ELS4_3ELS4_3ELNS0_20block_scan_algorithmE0ELj4294967295EEENS1_25partition_config_selectorILNS1_17partition_subalgoE4EjNS0_10empty_typeEbEEZZNS1_14partition_implILS8_4ELb0ES6_15HIP_vector_typeIjLj2EENS0_17counting_iteratorIjlEEPS9_SG_NS0_5tupleIJPjSI_NS0_16reverse_iteratorISI_EEEEENSH_IJSG_SG_SG_EEES9_SI_JZNS1_25segmented_radix_sort_implINS0_14default_configELb1EPK6__halfPSP_PKlPlN2at6native12_GLOBAL__N_18offset_tEEE10hipError_tPvRmT1_PNSt15iterator_traitsIS13_E10value_typeET2_T3_PNS14_IS19_E10value_typeET4_jRbjT5_S1F_jjP12ihipStream_tbEUljE_ZNSN_ISO_Lb1ESR_SS_SU_SV_SZ_EES10_S11_S12_S13_S17_S18_S19_S1C_S1D_jS1E_jS1F_S1F_jjS1H_bEUljE0_EEES10_S11_S12_S19_S1D_S1F_T6_T7_T9_mT8_S1H_bDpT10_ENKUlT_T0_E_clISt17integral_constantIbLb1EES1U_IbLb0EEEEDaS1Q_S1R_EUlS1Q_E_NS1_11comp_targetILNS1_3genE5ELNS1_11target_archE942ELNS1_3gpuE9ELNS1_3repE0EEENS1_30default_config_static_selectorELNS0_4arch9wavefront6targetE0EEEvS13_, .Lfunc_end1692-_ZN7rocprim17ROCPRIM_400000_NS6detail17trampoline_kernelINS0_13select_configILj256ELj13ELNS0_17block_load_methodE3ELS4_3ELS4_3ELNS0_20block_scan_algorithmE0ELj4294967295EEENS1_25partition_config_selectorILNS1_17partition_subalgoE4EjNS0_10empty_typeEbEEZZNS1_14partition_implILS8_4ELb0ES6_15HIP_vector_typeIjLj2EENS0_17counting_iteratorIjlEEPS9_SG_NS0_5tupleIJPjSI_NS0_16reverse_iteratorISI_EEEEENSH_IJSG_SG_SG_EEES9_SI_JZNS1_25segmented_radix_sort_implINS0_14default_configELb1EPK6__halfPSP_PKlPlN2at6native12_GLOBAL__N_18offset_tEEE10hipError_tPvRmT1_PNSt15iterator_traitsIS13_E10value_typeET2_T3_PNS14_IS19_E10value_typeET4_jRbjT5_S1F_jjP12ihipStream_tbEUljE_ZNSN_ISO_Lb1ESR_SS_SU_SV_SZ_EES10_S11_S12_S13_S17_S18_S19_S1C_S1D_jS1E_jS1F_S1F_jjS1H_bEUljE0_EEES10_S11_S12_S19_S1D_S1F_T6_T7_T9_mT8_S1H_bDpT10_ENKUlT_T0_E_clISt17integral_constantIbLb1EES1U_IbLb0EEEEDaS1Q_S1R_EUlS1Q_E_NS1_11comp_targetILNS1_3genE5ELNS1_11target_archE942ELNS1_3gpuE9ELNS1_3repE0EEENS1_30default_config_static_selectorELNS0_4arch9wavefront6targetE0EEEvS13_
                                        ; -- End function
	.section	.AMDGPU.csdata,"",@progbits
; Kernel info:
; codeLenInByte = 0
; NumSgprs: 0
; NumVgprs: 0
; ScratchSize: 0
; MemoryBound: 0
; FloatMode: 240
; IeeeMode: 1
; LDSByteSize: 0 bytes/workgroup (compile time only)
; SGPRBlocks: 0
; VGPRBlocks: 0
; NumSGPRsForWavesPerEU: 1
; NumVGPRsForWavesPerEU: 1
; Occupancy: 16
; WaveLimiterHint : 0
; COMPUTE_PGM_RSRC2:SCRATCH_EN: 0
; COMPUTE_PGM_RSRC2:USER_SGPR: 15
; COMPUTE_PGM_RSRC2:TRAP_HANDLER: 0
; COMPUTE_PGM_RSRC2:TGID_X_EN: 1
; COMPUTE_PGM_RSRC2:TGID_Y_EN: 0
; COMPUTE_PGM_RSRC2:TGID_Z_EN: 0
; COMPUTE_PGM_RSRC2:TIDIG_COMP_CNT: 0
	.section	.text._ZN7rocprim17ROCPRIM_400000_NS6detail17trampoline_kernelINS0_13select_configILj256ELj13ELNS0_17block_load_methodE3ELS4_3ELS4_3ELNS0_20block_scan_algorithmE0ELj4294967295EEENS1_25partition_config_selectorILNS1_17partition_subalgoE4EjNS0_10empty_typeEbEEZZNS1_14partition_implILS8_4ELb0ES6_15HIP_vector_typeIjLj2EENS0_17counting_iteratorIjlEEPS9_SG_NS0_5tupleIJPjSI_NS0_16reverse_iteratorISI_EEEEENSH_IJSG_SG_SG_EEES9_SI_JZNS1_25segmented_radix_sort_implINS0_14default_configELb1EPK6__halfPSP_PKlPlN2at6native12_GLOBAL__N_18offset_tEEE10hipError_tPvRmT1_PNSt15iterator_traitsIS13_E10value_typeET2_T3_PNS14_IS19_E10value_typeET4_jRbjT5_S1F_jjP12ihipStream_tbEUljE_ZNSN_ISO_Lb1ESR_SS_SU_SV_SZ_EES10_S11_S12_S13_S17_S18_S19_S1C_S1D_jS1E_jS1F_S1F_jjS1H_bEUljE0_EEES10_S11_S12_S19_S1D_S1F_T6_T7_T9_mT8_S1H_bDpT10_ENKUlT_T0_E_clISt17integral_constantIbLb1EES1U_IbLb0EEEEDaS1Q_S1R_EUlS1Q_E_NS1_11comp_targetILNS1_3genE4ELNS1_11target_archE910ELNS1_3gpuE8ELNS1_3repE0EEENS1_30default_config_static_selectorELNS0_4arch9wavefront6targetE0EEEvS13_,"axG",@progbits,_ZN7rocprim17ROCPRIM_400000_NS6detail17trampoline_kernelINS0_13select_configILj256ELj13ELNS0_17block_load_methodE3ELS4_3ELS4_3ELNS0_20block_scan_algorithmE0ELj4294967295EEENS1_25partition_config_selectorILNS1_17partition_subalgoE4EjNS0_10empty_typeEbEEZZNS1_14partition_implILS8_4ELb0ES6_15HIP_vector_typeIjLj2EENS0_17counting_iteratorIjlEEPS9_SG_NS0_5tupleIJPjSI_NS0_16reverse_iteratorISI_EEEEENSH_IJSG_SG_SG_EEES9_SI_JZNS1_25segmented_radix_sort_implINS0_14default_configELb1EPK6__halfPSP_PKlPlN2at6native12_GLOBAL__N_18offset_tEEE10hipError_tPvRmT1_PNSt15iterator_traitsIS13_E10value_typeET2_T3_PNS14_IS19_E10value_typeET4_jRbjT5_S1F_jjP12ihipStream_tbEUljE_ZNSN_ISO_Lb1ESR_SS_SU_SV_SZ_EES10_S11_S12_S13_S17_S18_S19_S1C_S1D_jS1E_jS1F_S1F_jjS1H_bEUljE0_EEES10_S11_S12_S19_S1D_S1F_T6_T7_T9_mT8_S1H_bDpT10_ENKUlT_T0_E_clISt17integral_constantIbLb1EES1U_IbLb0EEEEDaS1Q_S1R_EUlS1Q_E_NS1_11comp_targetILNS1_3genE4ELNS1_11target_archE910ELNS1_3gpuE8ELNS1_3repE0EEENS1_30default_config_static_selectorELNS0_4arch9wavefront6targetE0EEEvS13_,comdat
	.globl	_ZN7rocprim17ROCPRIM_400000_NS6detail17trampoline_kernelINS0_13select_configILj256ELj13ELNS0_17block_load_methodE3ELS4_3ELS4_3ELNS0_20block_scan_algorithmE0ELj4294967295EEENS1_25partition_config_selectorILNS1_17partition_subalgoE4EjNS0_10empty_typeEbEEZZNS1_14partition_implILS8_4ELb0ES6_15HIP_vector_typeIjLj2EENS0_17counting_iteratorIjlEEPS9_SG_NS0_5tupleIJPjSI_NS0_16reverse_iteratorISI_EEEEENSH_IJSG_SG_SG_EEES9_SI_JZNS1_25segmented_radix_sort_implINS0_14default_configELb1EPK6__halfPSP_PKlPlN2at6native12_GLOBAL__N_18offset_tEEE10hipError_tPvRmT1_PNSt15iterator_traitsIS13_E10value_typeET2_T3_PNS14_IS19_E10value_typeET4_jRbjT5_S1F_jjP12ihipStream_tbEUljE_ZNSN_ISO_Lb1ESR_SS_SU_SV_SZ_EES10_S11_S12_S13_S17_S18_S19_S1C_S1D_jS1E_jS1F_S1F_jjS1H_bEUljE0_EEES10_S11_S12_S19_S1D_S1F_T6_T7_T9_mT8_S1H_bDpT10_ENKUlT_T0_E_clISt17integral_constantIbLb1EES1U_IbLb0EEEEDaS1Q_S1R_EUlS1Q_E_NS1_11comp_targetILNS1_3genE4ELNS1_11target_archE910ELNS1_3gpuE8ELNS1_3repE0EEENS1_30default_config_static_selectorELNS0_4arch9wavefront6targetE0EEEvS13_ ; -- Begin function _ZN7rocprim17ROCPRIM_400000_NS6detail17trampoline_kernelINS0_13select_configILj256ELj13ELNS0_17block_load_methodE3ELS4_3ELS4_3ELNS0_20block_scan_algorithmE0ELj4294967295EEENS1_25partition_config_selectorILNS1_17partition_subalgoE4EjNS0_10empty_typeEbEEZZNS1_14partition_implILS8_4ELb0ES6_15HIP_vector_typeIjLj2EENS0_17counting_iteratorIjlEEPS9_SG_NS0_5tupleIJPjSI_NS0_16reverse_iteratorISI_EEEEENSH_IJSG_SG_SG_EEES9_SI_JZNS1_25segmented_radix_sort_implINS0_14default_configELb1EPK6__halfPSP_PKlPlN2at6native12_GLOBAL__N_18offset_tEEE10hipError_tPvRmT1_PNSt15iterator_traitsIS13_E10value_typeET2_T3_PNS14_IS19_E10value_typeET4_jRbjT5_S1F_jjP12ihipStream_tbEUljE_ZNSN_ISO_Lb1ESR_SS_SU_SV_SZ_EES10_S11_S12_S13_S17_S18_S19_S1C_S1D_jS1E_jS1F_S1F_jjS1H_bEUljE0_EEES10_S11_S12_S19_S1D_S1F_T6_T7_T9_mT8_S1H_bDpT10_ENKUlT_T0_E_clISt17integral_constantIbLb1EES1U_IbLb0EEEEDaS1Q_S1R_EUlS1Q_E_NS1_11comp_targetILNS1_3genE4ELNS1_11target_archE910ELNS1_3gpuE8ELNS1_3repE0EEENS1_30default_config_static_selectorELNS0_4arch9wavefront6targetE0EEEvS13_
	.p2align	8
	.type	_ZN7rocprim17ROCPRIM_400000_NS6detail17trampoline_kernelINS0_13select_configILj256ELj13ELNS0_17block_load_methodE3ELS4_3ELS4_3ELNS0_20block_scan_algorithmE0ELj4294967295EEENS1_25partition_config_selectorILNS1_17partition_subalgoE4EjNS0_10empty_typeEbEEZZNS1_14partition_implILS8_4ELb0ES6_15HIP_vector_typeIjLj2EENS0_17counting_iteratorIjlEEPS9_SG_NS0_5tupleIJPjSI_NS0_16reverse_iteratorISI_EEEEENSH_IJSG_SG_SG_EEES9_SI_JZNS1_25segmented_radix_sort_implINS0_14default_configELb1EPK6__halfPSP_PKlPlN2at6native12_GLOBAL__N_18offset_tEEE10hipError_tPvRmT1_PNSt15iterator_traitsIS13_E10value_typeET2_T3_PNS14_IS19_E10value_typeET4_jRbjT5_S1F_jjP12ihipStream_tbEUljE_ZNSN_ISO_Lb1ESR_SS_SU_SV_SZ_EES10_S11_S12_S13_S17_S18_S19_S1C_S1D_jS1E_jS1F_S1F_jjS1H_bEUljE0_EEES10_S11_S12_S19_S1D_S1F_T6_T7_T9_mT8_S1H_bDpT10_ENKUlT_T0_E_clISt17integral_constantIbLb1EES1U_IbLb0EEEEDaS1Q_S1R_EUlS1Q_E_NS1_11comp_targetILNS1_3genE4ELNS1_11target_archE910ELNS1_3gpuE8ELNS1_3repE0EEENS1_30default_config_static_selectorELNS0_4arch9wavefront6targetE0EEEvS13_,@function
_ZN7rocprim17ROCPRIM_400000_NS6detail17trampoline_kernelINS0_13select_configILj256ELj13ELNS0_17block_load_methodE3ELS4_3ELS4_3ELNS0_20block_scan_algorithmE0ELj4294967295EEENS1_25partition_config_selectorILNS1_17partition_subalgoE4EjNS0_10empty_typeEbEEZZNS1_14partition_implILS8_4ELb0ES6_15HIP_vector_typeIjLj2EENS0_17counting_iteratorIjlEEPS9_SG_NS0_5tupleIJPjSI_NS0_16reverse_iteratorISI_EEEEENSH_IJSG_SG_SG_EEES9_SI_JZNS1_25segmented_radix_sort_implINS0_14default_configELb1EPK6__halfPSP_PKlPlN2at6native12_GLOBAL__N_18offset_tEEE10hipError_tPvRmT1_PNSt15iterator_traitsIS13_E10value_typeET2_T3_PNS14_IS19_E10value_typeET4_jRbjT5_S1F_jjP12ihipStream_tbEUljE_ZNSN_ISO_Lb1ESR_SS_SU_SV_SZ_EES10_S11_S12_S13_S17_S18_S19_S1C_S1D_jS1E_jS1F_S1F_jjS1H_bEUljE0_EEES10_S11_S12_S19_S1D_S1F_T6_T7_T9_mT8_S1H_bDpT10_ENKUlT_T0_E_clISt17integral_constantIbLb1EES1U_IbLb0EEEEDaS1Q_S1R_EUlS1Q_E_NS1_11comp_targetILNS1_3genE4ELNS1_11target_archE910ELNS1_3gpuE8ELNS1_3repE0EEENS1_30default_config_static_selectorELNS0_4arch9wavefront6targetE0EEEvS13_: ; @_ZN7rocprim17ROCPRIM_400000_NS6detail17trampoline_kernelINS0_13select_configILj256ELj13ELNS0_17block_load_methodE3ELS4_3ELS4_3ELNS0_20block_scan_algorithmE0ELj4294967295EEENS1_25partition_config_selectorILNS1_17partition_subalgoE4EjNS0_10empty_typeEbEEZZNS1_14partition_implILS8_4ELb0ES6_15HIP_vector_typeIjLj2EENS0_17counting_iteratorIjlEEPS9_SG_NS0_5tupleIJPjSI_NS0_16reverse_iteratorISI_EEEEENSH_IJSG_SG_SG_EEES9_SI_JZNS1_25segmented_radix_sort_implINS0_14default_configELb1EPK6__halfPSP_PKlPlN2at6native12_GLOBAL__N_18offset_tEEE10hipError_tPvRmT1_PNSt15iterator_traitsIS13_E10value_typeET2_T3_PNS14_IS19_E10value_typeET4_jRbjT5_S1F_jjP12ihipStream_tbEUljE_ZNSN_ISO_Lb1ESR_SS_SU_SV_SZ_EES10_S11_S12_S13_S17_S18_S19_S1C_S1D_jS1E_jS1F_S1F_jjS1H_bEUljE0_EEES10_S11_S12_S19_S1D_S1F_T6_T7_T9_mT8_S1H_bDpT10_ENKUlT_T0_E_clISt17integral_constantIbLb1EES1U_IbLb0EEEEDaS1Q_S1R_EUlS1Q_E_NS1_11comp_targetILNS1_3genE4ELNS1_11target_archE910ELNS1_3gpuE8ELNS1_3repE0EEENS1_30default_config_static_selectorELNS0_4arch9wavefront6targetE0EEEvS13_
; %bb.0:
	.section	.rodata,"a",@progbits
	.p2align	6, 0x0
	.amdhsa_kernel _ZN7rocprim17ROCPRIM_400000_NS6detail17trampoline_kernelINS0_13select_configILj256ELj13ELNS0_17block_load_methodE3ELS4_3ELS4_3ELNS0_20block_scan_algorithmE0ELj4294967295EEENS1_25partition_config_selectorILNS1_17partition_subalgoE4EjNS0_10empty_typeEbEEZZNS1_14partition_implILS8_4ELb0ES6_15HIP_vector_typeIjLj2EENS0_17counting_iteratorIjlEEPS9_SG_NS0_5tupleIJPjSI_NS0_16reverse_iteratorISI_EEEEENSH_IJSG_SG_SG_EEES9_SI_JZNS1_25segmented_radix_sort_implINS0_14default_configELb1EPK6__halfPSP_PKlPlN2at6native12_GLOBAL__N_18offset_tEEE10hipError_tPvRmT1_PNSt15iterator_traitsIS13_E10value_typeET2_T3_PNS14_IS19_E10value_typeET4_jRbjT5_S1F_jjP12ihipStream_tbEUljE_ZNSN_ISO_Lb1ESR_SS_SU_SV_SZ_EES10_S11_S12_S13_S17_S18_S19_S1C_S1D_jS1E_jS1F_S1F_jjS1H_bEUljE0_EEES10_S11_S12_S19_S1D_S1F_T6_T7_T9_mT8_S1H_bDpT10_ENKUlT_T0_E_clISt17integral_constantIbLb1EES1U_IbLb0EEEEDaS1Q_S1R_EUlS1Q_E_NS1_11comp_targetILNS1_3genE4ELNS1_11target_archE910ELNS1_3gpuE8ELNS1_3repE0EEENS1_30default_config_static_selectorELNS0_4arch9wavefront6targetE0EEEvS13_
		.amdhsa_group_segment_fixed_size 0
		.amdhsa_private_segment_fixed_size 0
		.amdhsa_kernarg_size 176
		.amdhsa_user_sgpr_count 15
		.amdhsa_user_sgpr_dispatch_ptr 0
		.amdhsa_user_sgpr_queue_ptr 0
		.amdhsa_user_sgpr_kernarg_segment_ptr 1
		.amdhsa_user_sgpr_dispatch_id 0
		.amdhsa_user_sgpr_private_segment_size 0
		.amdhsa_wavefront_size32 1
		.amdhsa_uses_dynamic_stack 0
		.amdhsa_enable_private_segment 0
		.amdhsa_system_sgpr_workgroup_id_x 1
		.amdhsa_system_sgpr_workgroup_id_y 0
		.amdhsa_system_sgpr_workgroup_id_z 0
		.amdhsa_system_sgpr_workgroup_info 0
		.amdhsa_system_vgpr_workitem_id 0
		.amdhsa_next_free_vgpr 1
		.amdhsa_next_free_sgpr 1
		.amdhsa_reserve_vcc 0
		.amdhsa_float_round_mode_32 0
		.amdhsa_float_round_mode_16_64 0
		.amdhsa_float_denorm_mode_32 3
		.amdhsa_float_denorm_mode_16_64 3
		.amdhsa_dx10_clamp 1
		.amdhsa_ieee_mode 1
		.amdhsa_fp16_overflow 0
		.amdhsa_workgroup_processor_mode 1
		.amdhsa_memory_ordered 1
		.amdhsa_forward_progress 0
		.amdhsa_shared_vgpr_count 0
		.amdhsa_exception_fp_ieee_invalid_op 0
		.amdhsa_exception_fp_denorm_src 0
		.amdhsa_exception_fp_ieee_div_zero 0
		.amdhsa_exception_fp_ieee_overflow 0
		.amdhsa_exception_fp_ieee_underflow 0
		.amdhsa_exception_fp_ieee_inexact 0
		.amdhsa_exception_int_div_zero 0
	.end_amdhsa_kernel
	.section	.text._ZN7rocprim17ROCPRIM_400000_NS6detail17trampoline_kernelINS0_13select_configILj256ELj13ELNS0_17block_load_methodE3ELS4_3ELS4_3ELNS0_20block_scan_algorithmE0ELj4294967295EEENS1_25partition_config_selectorILNS1_17partition_subalgoE4EjNS0_10empty_typeEbEEZZNS1_14partition_implILS8_4ELb0ES6_15HIP_vector_typeIjLj2EENS0_17counting_iteratorIjlEEPS9_SG_NS0_5tupleIJPjSI_NS0_16reverse_iteratorISI_EEEEENSH_IJSG_SG_SG_EEES9_SI_JZNS1_25segmented_radix_sort_implINS0_14default_configELb1EPK6__halfPSP_PKlPlN2at6native12_GLOBAL__N_18offset_tEEE10hipError_tPvRmT1_PNSt15iterator_traitsIS13_E10value_typeET2_T3_PNS14_IS19_E10value_typeET4_jRbjT5_S1F_jjP12ihipStream_tbEUljE_ZNSN_ISO_Lb1ESR_SS_SU_SV_SZ_EES10_S11_S12_S13_S17_S18_S19_S1C_S1D_jS1E_jS1F_S1F_jjS1H_bEUljE0_EEES10_S11_S12_S19_S1D_S1F_T6_T7_T9_mT8_S1H_bDpT10_ENKUlT_T0_E_clISt17integral_constantIbLb1EES1U_IbLb0EEEEDaS1Q_S1R_EUlS1Q_E_NS1_11comp_targetILNS1_3genE4ELNS1_11target_archE910ELNS1_3gpuE8ELNS1_3repE0EEENS1_30default_config_static_selectorELNS0_4arch9wavefront6targetE0EEEvS13_,"axG",@progbits,_ZN7rocprim17ROCPRIM_400000_NS6detail17trampoline_kernelINS0_13select_configILj256ELj13ELNS0_17block_load_methodE3ELS4_3ELS4_3ELNS0_20block_scan_algorithmE0ELj4294967295EEENS1_25partition_config_selectorILNS1_17partition_subalgoE4EjNS0_10empty_typeEbEEZZNS1_14partition_implILS8_4ELb0ES6_15HIP_vector_typeIjLj2EENS0_17counting_iteratorIjlEEPS9_SG_NS0_5tupleIJPjSI_NS0_16reverse_iteratorISI_EEEEENSH_IJSG_SG_SG_EEES9_SI_JZNS1_25segmented_radix_sort_implINS0_14default_configELb1EPK6__halfPSP_PKlPlN2at6native12_GLOBAL__N_18offset_tEEE10hipError_tPvRmT1_PNSt15iterator_traitsIS13_E10value_typeET2_T3_PNS14_IS19_E10value_typeET4_jRbjT5_S1F_jjP12ihipStream_tbEUljE_ZNSN_ISO_Lb1ESR_SS_SU_SV_SZ_EES10_S11_S12_S13_S17_S18_S19_S1C_S1D_jS1E_jS1F_S1F_jjS1H_bEUljE0_EEES10_S11_S12_S19_S1D_S1F_T6_T7_T9_mT8_S1H_bDpT10_ENKUlT_T0_E_clISt17integral_constantIbLb1EES1U_IbLb0EEEEDaS1Q_S1R_EUlS1Q_E_NS1_11comp_targetILNS1_3genE4ELNS1_11target_archE910ELNS1_3gpuE8ELNS1_3repE0EEENS1_30default_config_static_selectorELNS0_4arch9wavefront6targetE0EEEvS13_,comdat
.Lfunc_end1693:
	.size	_ZN7rocprim17ROCPRIM_400000_NS6detail17trampoline_kernelINS0_13select_configILj256ELj13ELNS0_17block_load_methodE3ELS4_3ELS4_3ELNS0_20block_scan_algorithmE0ELj4294967295EEENS1_25partition_config_selectorILNS1_17partition_subalgoE4EjNS0_10empty_typeEbEEZZNS1_14partition_implILS8_4ELb0ES6_15HIP_vector_typeIjLj2EENS0_17counting_iteratorIjlEEPS9_SG_NS0_5tupleIJPjSI_NS0_16reverse_iteratorISI_EEEEENSH_IJSG_SG_SG_EEES9_SI_JZNS1_25segmented_radix_sort_implINS0_14default_configELb1EPK6__halfPSP_PKlPlN2at6native12_GLOBAL__N_18offset_tEEE10hipError_tPvRmT1_PNSt15iterator_traitsIS13_E10value_typeET2_T3_PNS14_IS19_E10value_typeET4_jRbjT5_S1F_jjP12ihipStream_tbEUljE_ZNSN_ISO_Lb1ESR_SS_SU_SV_SZ_EES10_S11_S12_S13_S17_S18_S19_S1C_S1D_jS1E_jS1F_S1F_jjS1H_bEUljE0_EEES10_S11_S12_S19_S1D_S1F_T6_T7_T9_mT8_S1H_bDpT10_ENKUlT_T0_E_clISt17integral_constantIbLb1EES1U_IbLb0EEEEDaS1Q_S1R_EUlS1Q_E_NS1_11comp_targetILNS1_3genE4ELNS1_11target_archE910ELNS1_3gpuE8ELNS1_3repE0EEENS1_30default_config_static_selectorELNS0_4arch9wavefront6targetE0EEEvS13_, .Lfunc_end1693-_ZN7rocprim17ROCPRIM_400000_NS6detail17trampoline_kernelINS0_13select_configILj256ELj13ELNS0_17block_load_methodE3ELS4_3ELS4_3ELNS0_20block_scan_algorithmE0ELj4294967295EEENS1_25partition_config_selectorILNS1_17partition_subalgoE4EjNS0_10empty_typeEbEEZZNS1_14partition_implILS8_4ELb0ES6_15HIP_vector_typeIjLj2EENS0_17counting_iteratorIjlEEPS9_SG_NS0_5tupleIJPjSI_NS0_16reverse_iteratorISI_EEEEENSH_IJSG_SG_SG_EEES9_SI_JZNS1_25segmented_radix_sort_implINS0_14default_configELb1EPK6__halfPSP_PKlPlN2at6native12_GLOBAL__N_18offset_tEEE10hipError_tPvRmT1_PNSt15iterator_traitsIS13_E10value_typeET2_T3_PNS14_IS19_E10value_typeET4_jRbjT5_S1F_jjP12ihipStream_tbEUljE_ZNSN_ISO_Lb1ESR_SS_SU_SV_SZ_EES10_S11_S12_S13_S17_S18_S19_S1C_S1D_jS1E_jS1F_S1F_jjS1H_bEUljE0_EEES10_S11_S12_S19_S1D_S1F_T6_T7_T9_mT8_S1H_bDpT10_ENKUlT_T0_E_clISt17integral_constantIbLb1EES1U_IbLb0EEEEDaS1Q_S1R_EUlS1Q_E_NS1_11comp_targetILNS1_3genE4ELNS1_11target_archE910ELNS1_3gpuE8ELNS1_3repE0EEENS1_30default_config_static_selectorELNS0_4arch9wavefront6targetE0EEEvS13_
                                        ; -- End function
	.section	.AMDGPU.csdata,"",@progbits
; Kernel info:
; codeLenInByte = 0
; NumSgprs: 0
; NumVgprs: 0
; ScratchSize: 0
; MemoryBound: 0
; FloatMode: 240
; IeeeMode: 1
; LDSByteSize: 0 bytes/workgroup (compile time only)
; SGPRBlocks: 0
; VGPRBlocks: 0
; NumSGPRsForWavesPerEU: 1
; NumVGPRsForWavesPerEU: 1
; Occupancy: 16
; WaveLimiterHint : 0
; COMPUTE_PGM_RSRC2:SCRATCH_EN: 0
; COMPUTE_PGM_RSRC2:USER_SGPR: 15
; COMPUTE_PGM_RSRC2:TRAP_HANDLER: 0
; COMPUTE_PGM_RSRC2:TGID_X_EN: 1
; COMPUTE_PGM_RSRC2:TGID_Y_EN: 0
; COMPUTE_PGM_RSRC2:TGID_Z_EN: 0
; COMPUTE_PGM_RSRC2:TIDIG_COMP_CNT: 0
	.section	.text._ZN7rocprim17ROCPRIM_400000_NS6detail17trampoline_kernelINS0_13select_configILj256ELj13ELNS0_17block_load_methodE3ELS4_3ELS4_3ELNS0_20block_scan_algorithmE0ELj4294967295EEENS1_25partition_config_selectorILNS1_17partition_subalgoE4EjNS0_10empty_typeEbEEZZNS1_14partition_implILS8_4ELb0ES6_15HIP_vector_typeIjLj2EENS0_17counting_iteratorIjlEEPS9_SG_NS0_5tupleIJPjSI_NS0_16reverse_iteratorISI_EEEEENSH_IJSG_SG_SG_EEES9_SI_JZNS1_25segmented_radix_sort_implINS0_14default_configELb1EPK6__halfPSP_PKlPlN2at6native12_GLOBAL__N_18offset_tEEE10hipError_tPvRmT1_PNSt15iterator_traitsIS13_E10value_typeET2_T3_PNS14_IS19_E10value_typeET4_jRbjT5_S1F_jjP12ihipStream_tbEUljE_ZNSN_ISO_Lb1ESR_SS_SU_SV_SZ_EES10_S11_S12_S13_S17_S18_S19_S1C_S1D_jS1E_jS1F_S1F_jjS1H_bEUljE0_EEES10_S11_S12_S19_S1D_S1F_T6_T7_T9_mT8_S1H_bDpT10_ENKUlT_T0_E_clISt17integral_constantIbLb1EES1U_IbLb0EEEEDaS1Q_S1R_EUlS1Q_E_NS1_11comp_targetILNS1_3genE3ELNS1_11target_archE908ELNS1_3gpuE7ELNS1_3repE0EEENS1_30default_config_static_selectorELNS0_4arch9wavefront6targetE0EEEvS13_,"axG",@progbits,_ZN7rocprim17ROCPRIM_400000_NS6detail17trampoline_kernelINS0_13select_configILj256ELj13ELNS0_17block_load_methodE3ELS4_3ELS4_3ELNS0_20block_scan_algorithmE0ELj4294967295EEENS1_25partition_config_selectorILNS1_17partition_subalgoE4EjNS0_10empty_typeEbEEZZNS1_14partition_implILS8_4ELb0ES6_15HIP_vector_typeIjLj2EENS0_17counting_iteratorIjlEEPS9_SG_NS0_5tupleIJPjSI_NS0_16reverse_iteratorISI_EEEEENSH_IJSG_SG_SG_EEES9_SI_JZNS1_25segmented_radix_sort_implINS0_14default_configELb1EPK6__halfPSP_PKlPlN2at6native12_GLOBAL__N_18offset_tEEE10hipError_tPvRmT1_PNSt15iterator_traitsIS13_E10value_typeET2_T3_PNS14_IS19_E10value_typeET4_jRbjT5_S1F_jjP12ihipStream_tbEUljE_ZNSN_ISO_Lb1ESR_SS_SU_SV_SZ_EES10_S11_S12_S13_S17_S18_S19_S1C_S1D_jS1E_jS1F_S1F_jjS1H_bEUljE0_EEES10_S11_S12_S19_S1D_S1F_T6_T7_T9_mT8_S1H_bDpT10_ENKUlT_T0_E_clISt17integral_constantIbLb1EES1U_IbLb0EEEEDaS1Q_S1R_EUlS1Q_E_NS1_11comp_targetILNS1_3genE3ELNS1_11target_archE908ELNS1_3gpuE7ELNS1_3repE0EEENS1_30default_config_static_selectorELNS0_4arch9wavefront6targetE0EEEvS13_,comdat
	.globl	_ZN7rocprim17ROCPRIM_400000_NS6detail17trampoline_kernelINS0_13select_configILj256ELj13ELNS0_17block_load_methodE3ELS4_3ELS4_3ELNS0_20block_scan_algorithmE0ELj4294967295EEENS1_25partition_config_selectorILNS1_17partition_subalgoE4EjNS0_10empty_typeEbEEZZNS1_14partition_implILS8_4ELb0ES6_15HIP_vector_typeIjLj2EENS0_17counting_iteratorIjlEEPS9_SG_NS0_5tupleIJPjSI_NS0_16reverse_iteratorISI_EEEEENSH_IJSG_SG_SG_EEES9_SI_JZNS1_25segmented_radix_sort_implINS0_14default_configELb1EPK6__halfPSP_PKlPlN2at6native12_GLOBAL__N_18offset_tEEE10hipError_tPvRmT1_PNSt15iterator_traitsIS13_E10value_typeET2_T3_PNS14_IS19_E10value_typeET4_jRbjT5_S1F_jjP12ihipStream_tbEUljE_ZNSN_ISO_Lb1ESR_SS_SU_SV_SZ_EES10_S11_S12_S13_S17_S18_S19_S1C_S1D_jS1E_jS1F_S1F_jjS1H_bEUljE0_EEES10_S11_S12_S19_S1D_S1F_T6_T7_T9_mT8_S1H_bDpT10_ENKUlT_T0_E_clISt17integral_constantIbLb1EES1U_IbLb0EEEEDaS1Q_S1R_EUlS1Q_E_NS1_11comp_targetILNS1_3genE3ELNS1_11target_archE908ELNS1_3gpuE7ELNS1_3repE0EEENS1_30default_config_static_selectorELNS0_4arch9wavefront6targetE0EEEvS13_ ; -- Begin function _ZN7rocprim17ROCPRIM_400000_NS6detail17trampoline_kernelINS0_13select_configILj256ELj13ELNS0_17block_load_methodE3ELS4_3ELS4_3ELNS0_20block_scan_algorithmE0ELj4294967295EEENS1_25partition_config_selectorILNS1_17partition_subalgoE4EjNS0_10empty_typeEbEEZZNS1_14partition_implILS8_4ELb0ES6_15HIP_vector_typeIjLj2EENS0_17counting_iteratorIjlEEPS9_SG_NS0_5tupleIJPjSI_NS0_16reverse_iteratorISI_EEEEENSH_IJSG_SG_SG_EEES9_SI_JZNS1_25segmented_radix_sort_implINS0_14default_configELb1EPK6__halfPSP_PKlPlN2at6native12_GLOBAL__N_18offset_tEEE10hipError_tPvRmT1_PNSt15iterator_traitsIS13_E10value_typeET2_T3_PNS14_IS19_E10value_typeET4_jRbjT5_S1F_jjP12ihipStream_tbEUljE_ZNSN_ISO_Lb1ESR_SS_SU_SV_SZ_EES10_S11_S12_S13_S17_S18_S19_S1C_S1D_jS1E_jS1F_S1F_jjS1H_bEUljE0_EEES10_S11_S12_S19_S1D_S1F_T6_T7_T9_mT8_S1H_bDpT10_ENKUlT_T0_E_clISt17integral_constantIbLb1EES1U_IbLb0EEEEDaS1Q_S1R_EUlS1Q_E_NS1_11comp_targetILNS1_3genE3ELNS1_11target_archE908ELNS1_3gpuE7ELNS1_3repE0EEENS1_30default_config_static_selectorELNS0_4arch9wavefront6targetE0EEEvS13_
	.p2align	8
	.type	_ZN7rocprim17ROCPRIM_400000_NS6detail17trampoline_kernelINS0_13select_configILj256ELj13ELNS0_17block_load_methodE3ELS4_3ELS4_3ELNS0_20block_scan_algorithmE0ELj4294967295EEENS1_25partition_config_selectorILNS1_17partition_subalgoE4EjNS0_10empty_typeEbEEZZNS1_14partition_implILS8_4ELb0ES6_15HIP_vector_typeIjLj2EENS0_17counting_iteratorIjlEEPS9_SG_NS0_5tupleIJPjSI_NS0_16reverse_iteratorISI_EEEEENSH_IJSG_SG_SG_EEES9_SI_JZNS1_25segmented_radix_sort_implINS0_14default_configELb1EPK6__halfPSP_PKlPlN2at6native12_GLOBAL__N_18offset_tEEE10hipError_tPvRmT1_PNSt15iterator_traitsIS13_E10value_typeET2_T3_PNS14_IS19_E10value_typeET4_jRbjT5_S1F_jjP12ihipStream_tbEUljE_ZNSN_ISO_Lb1ESR_SS_SU_SV_SZ_EES10_S11_S12_S13_S17_S18_S19_S1C_S1D_jS1E_jS1F_S1F_jjS1H_bEUljE0_EEES10_S11_S12_S19_S1D_S1F_T6_T7_T9_mT8_S1H_bDpT10_ENKUlT_T0_E_clISt17integral_constantIbLb1EES1U_IbLb0EEEEDaS1Q_S1R_EUlS1Q_E_NS1_11comp_targetILNS1_3genE3ELNS1_11target_archE908ELNS1_3gpuE7ELNS1_3repE0EEENS1_30default_config_static_selectorELNS0_4arch9wavefront6targetE0EEEvS13_,@function
_ZN7rocprim17ROCPRIM_400000_NS6detail17trampoline_kernelINS0_13select_configILj256ELj13ELNS0_17block_load_methodE3ELS4_3ELS4_3ELNS0_20block_scan_algorithmE0ELj4294967295EEENS1_25partition_config_selectorILNS1_17partition_subalgoE4EjNS0_10empty_typeEbEEZZNS1_14partition_implILS8_4ELb0ES6_15HIP_vector_typeIjLj2EENS0_17counting_iteratorIjlEEPS9_SG_NS0_5tupleIJPjSI_NS0_16reverse_iteratorISI_EEEEENSH_IJSG_SG_SG_EEES9_SI_JZNS1_25segmented_radix_sort_implINS0_14default_configELb1EPK6__halfPSP_PKlPlN2at6native12_GLOBAL__N_18offset_tEEE10hipError_tPvRmT1_PNSt15iterator_traitsIS13_E10value_typeET2_T3_PNS14_IS19_E10value_typeET4_jRbjT5_S1F_jjP12ihipStream_tbEUljE_ZNSN_ISO_Lb1ESR_SS_SU_SV_SZ_EES10_S11_S12_S13_S17_S18_S19_S1C_S1D_jS1E_jS1F_S1F_jjS1H_bEUljE0_EEES10_S11_S12_S19_S1D_S1F_T6_T7_T9_mT8_S1H_bDpT10_ENKUlT_T0_E_clISt17integral_constantIbLb1EES1U_IbLb0EEEEDaS1Q_S1R_EUlS1Q_E_NS1_11comp_targetILNS1_3genE3ELNS1_11target_archE908ELNS1_3gpuE7ELNS1_3repE0EEENS1_30default_config_static_selectorELNS0_4arch9wavefront6targetE0EEEvS13_: ; @_ZN7rocprim17ROCPRIM_400000_NS6detail17trampoline_kernelINS0_13select_configILj256ELj13ELNS0_17block_load_methodE3ELS4_3ELS4_3ELNS0_20block_scan_algorithmE0ELj4294967295EEENS1_25partition_config_selectorILNS1_17partition_subalgoE4EjNS0_10empty_typeEbEEZZNS1_14partition_implILS8_4ELb0ES6_15HIP_vector_typeIjLj2EENS0_17counting_iteratorIjlEEPS9_SG_NS0_5tupleIJPjSI_NS0_16reverse_iteratorISI_EEEEENSH_IJSG_SG_SG_EEES9_SI_JZNS1_25segmented_radix_sort_implINS0_14default_configELb1EPK6__halfPSP_PKlPlN2at6native12_GLOBAL__N_18offset_tEEE10hipError_tPvRmT1_PNSt15iterator_traitsIS13_E10value_typeET2_T3_PNS14_IS19_E10value_typeET4_jRbjT5_S1F_jjP12ihipStream_tbEUljE_ZNSN_ISO_Lb1ESR_SS_SU_SV_SZ_EES10_S11_S12_S13_S17_S18_S19_S1C_S1D_jS1E_jS1F_S1F_jjS1H_bEUljE0_EEES10_S11_S12_S19_S1D_S1F_T6_T7_T9_mT8_S1H_bDpT10_ENKUlT_T0_E_clISt17integral_constantIbLb1EES1U_IbLb0EEEEDaS1Q_S1R_EUlS1Q_E_NS1_11comp_targetILNS1_3genE3ELNS1_11target_archE908ELNS1_3gpuE7ELNS1_3repE0EEENS1_30default_config_static_selectorELNS0_4arch9wavefront6targetE0EEEvS13_
; %bb.0:
	.section	.rodata,"a",@progbits
	.p2align	6, 0x0
	.amdhsa_kernel _ZN7rocprim17ROCPRIM_400000_NS6detail17trampoline_kernelINS0_13select_configILj256ELj13ELNS0_17block_load_methodE3ELS4_3ELS4_3ELNS0_20block_scan_algorithmE0ELj4294967295EEENS1_25partition_config_selectorILNS1_17partition_subalgoE4EjNS0_10empty_typeEbEEZZNS1_14partition_implILS8_4ELb0ES6_15HIP_vector_typeIjLj2EENS0_17counting_iteratorIjlEEPS9_SG_NS0_5tupleIJPjSI_NS0_16reverse_iteratorISI_EEEEENSH_IJSG_SG_SG_EEES9_SI_JZNS1_25segmented_radix_sort_implINS0_14default_configELb1EPK6__halfPSP_PKlPlN2at6native12_GLOBAL__N_18offset_tEEE10hipError_tPvRmT1_PNSt15iterator_traitsIS13_E10value_typeET2_T3_PNS14_IS19_E10value_typeET4_jRbjT5_S1F_jjP12ihipStream_tbEUljE_ZNSN_ISO_Lb1ESR_SS_SU_SV_SZ_EES10_S11_S12_S13_S17_S18_S19_S1C_S1D_jS1E_jS1F_S1F_jjS1H_bEUljE0_EEES10_S11_S12_S19_S1D_S1F_T6_T7_T9_mT8_S1H_bDpT10_ENKUlT_T0_E_clISt17integral_constantIbLb1EES1U_IbLb0EEEEDaS1Q_S1R_EUlS1Q_E_NS1_11comp_targetILNS1_3genE3ELNS1_11target_archE908ELNS1_3gpuE7ELNS1_3repE0EEENS1_30default_config_static_selectorELNS0_4arch9wavefront6targetE0EEEvS13_
		.amdhsa_group_segment_fixed_size 0
		.amdhsa_private_segment_fixed_size 0
		.amdhsa_kernarg_size 176
		.amdhsa_user_sgpr_count 15
		.amdhsa_user_sgpr_dispatch_ptr 0
		.amdhsa_user_sgpr_queue_ptr 0
		.amdhsa_user_sgpr_kernarg_segment_ptr 1
		.amdhsa_user_sgpr_dispatch_id 0
		.amdhsa_user_sgpr_private_segment_size 0
		.amdhsa_wavefront_size32 1
		.amdhsa_uses_dynamic_stack 0
		.amdhsa_enable_private_segment 0
		.amdhsa_system_sgpr_workgroup_id_x 1
		.amdhsa_system_sgpr_workgroup_id_y 0
		.amdhsa_system_sgpr_workgroup_id_z 0
		.amdhsa_system_sgpr_workgroup_info 0
		.amdhsa_system_vgpr_workitem_id 0
		.amdhsa_next_free_vgpr 1
		.amdhsa_next_free_sgpr 1
		.amdhsa_reserve_vcc 0
		.amdhsa_float_round_mode_32 0
		.amdhsa_float_round_mode_16_64 0
		.amdhsa_float_denorm_mode_32 3
		.amdhsa_float_denorm_mode_16_64 3
		.amdhsa_dx10_clamp 1
		.amdhsa_ieee_mode 1
		.amdhsa_fp16_overflow 0
		.amdhsa_workgroup_processor_mode 1
		.amdhsa_memory_ordered 1
		.amdhsa_forward_progress 0
		.amdhsa_shared_vgpr_count 0
		.amdhsa_exception_fp_ieee_invalid_op 0
		.amdhsa_exception_fp_denorm_src 0
		.amdhsa_exception_fp_ieee_div_zero 0
		.amdhsa_exception_fp_ieee_overflow 0
		.amdhsa_exception_fp_ieee_underflow 0
		.amdhsa_exception_fp_ieee_inexact 0
		.amdhsa_exception_int_div_zero 0
	.end_amdhsa_kernel
	.section	.text._ZN7rocprim17ROCPRIM_400000_NS6detail17trampoline_kernelINS0_13select_configILj256ELj13ELNS0_17block_load_methodE3ELS4_3ELS4_3ELNS0_20block_scan_algorithmE0ELj4294967295EEENS1_25partition_config_selectorILNS1_17partition_subalgoE4EjNS0_10empty_typeEbEEZZNS1_14partition_implILS8_4ELb0ES6_15HIP_vector_typeIjLj2EENS0_17counting_iteratorIjlEEPS9_SG_NS0_5tupleIJPjSI_NS0_16reverse_iteratorISI_EEEEENSH_IJSG_SG_SG_EEES9_SI_JZNS1_25segmented_radix_sort_implINS0_14default_configELb1EPK6__halfPSP_PKlPlN2at6native12_GLOBAL__N_18offset_tEEE10hipError_tPvRmT1_PNSt15iterator_traitsIS13_E10value_typeET2_T3_PNS14_IS19_E10value_typeET4_jRbjT5_S1F_jjP12ihipStream_tbEUljE_ZNSN_ISO_Lb1ESR_SS_SU_SV_SZ_EES10_S11_S12_S13_S17_S18_S19_S1C_S1D_jS1E_jS1F_S1F_jjS1H_bEUljE0_EEES10_S11_S12_S19_S1D_S1F_T6_T7_T9_mT8_S1H_bDpT10_ENKUlT_T0_E_clISt17integral_constantIbLb1EES1U_IbLb0EEEEDaS1Q_S1R_EUlS1Q_E_NS1_11comp_targetILNS1_3genE3ELNS1_11target_archE908ELNS1_3gpuE7ELNS1_3repE0EEENS1_30default_config_static_selectorELNS0_4arch9wavefront6targetE0EEEvS13_,"axG",@progbits,_ZN7rocprim17ROCPRIM_400000_NS6detail17trampoline_kernelINS0_13select_configILj256ELj13ELNS0_17block_load_methodE3ELS4_3ELS4_3ELNS0_20block_scan_algorithmE0ELj4294967295EEENS1_25partition_config_selectorILNS1_17partition_subalgoE4EjNS0_10empty_typeEbEEZZNS1_14partition_implILS8_4ELb0ES6_15HIP_vector_typeIjLj2EENS0_17counting_iteratorIjlEEPS9_SG_NS0_5tupleIJPjSI_NS0_16reverse_iteratorISI_EEEEENSH_IJSG_SG_SG_EEES9_SI_JZNS1_25segmented_radix_sort_implINS0_14default_configELb1EPK6__halfPSP_PKlPlN2at6native12_GLOBAL__N_18offset_tEEE10hipError_tPvRmT1_PNSt15iterator_traitsIS13_E10value_typeET2_T3_PNS14_IS19_E10value_typeET4_jRbjT5_S1F_jjP12ihipStream_tbEUljE_ZNSN_ISO_Lb1ESR_SS_SU_SV_SZ_EES10_S11_S12_S13_S17_S18_S19_S1C_S1D_jS1E_jS1F_S1F_jjS1H_bEUljE0_EEES10_S11_S12_S19_S1D_S1F_T6_T7_T9_mT8_S1H_bDpT10_ENKUlT_T0_E_clISt17integral_constantIbLb1EES1U_IbLb0EEEEDaS1Q_S1R_EUlS1Q_E_NS1_11comp_targetILNS1_3genE3ELNS1_11target_archE908ELNS1_3gpuE7ELNS1_3repE0EEENS1_30default_config_static_selectorELNS0_4arch9wavefront6targetE0EEEvS13_,comdat
.Lfunc_end1694:
	.size	_ZN7rocprim17ROCPRIM_400000_NS6detail17trampoline_kernelINS0_13select_configILj256ELj13ELNS0_17block_load_methodE3ELS4_3ELS4_3ELNS0_20block_scan_algorithmE0ELj4294967295EEENS1_25partition_config_selectorILNS1_17partition_subalgoE4EjNS0_10empty_typeEbEEZZNS1_14partition_implILS8_4ELb0ES6_15HIP_vector_typeIjLj2EENS0_17counting_iteratorIjlEEPS9_SG_NS0_5tupleIJPjSI_NS0_16reverse_iteratorISI_EEEEENSH_IJSG_SG_SG_EEES9_SI_JZNS1_25segmented_radix_sort_implINS0_14default_configELb1EPK6__halfPSP_PKlPlN2at6native12_GLOBAL__N_18offset_tEEE10hipError_tPvRmT1_PNSt15iterator_traitsIS13_E10value_typeET2_T3_PNS14_IS19_E10value_typeET4_jRbjT5_S1F_jjP12ihipStream_tbEUljE_ZNSN_ISO_Lb1ESR_SS_SU_SV_SZ_EES10_S11_S12_S13_S17_S18_S19_S1C_S1D_jS1E_jS1F_S1F_jjS1H_bEUljE0_EEES10_S11_S12_S19_S1D_S1F_T6_T7_T9_mT8_S1H_bDpT10_ENKUlT_T0_E_clISt17integral_constantIbLb1EES1U_IbLb0EEEEDaS1Q_S1R_EUlS1Q_E_NS1_11comp_targetILNS1_3genE3ELNS1_11target_archE908ELNS1_3gpuE7ELNS1_3repE0EEENS1_30default_config_static_selectorELNS0_4arch9wavefront6targetE0EEEvS13_, .Lfunc_end1694-_ZN7rocprim17ROCPRIM_400000_NS6detail17trampoline_kernelINS0_13select_configILj256ELj13ELNS0_17block_load_methodE3ELS4_3ELS4_3ELNS0_20block_scan_algorithmE0ELj4294967295EEENS1_25partition_config_selectorILNS1_17partition_subalgoE4EjNS0_10empty_typeEbEEZZNS1_14partition_implILS8_4ELb0ES6_15HIP_vector_typeIjLj2EENS0_17counting_iteratorIjlEEPS9_SG_NS0_5tupleIJPjSI_NS0_16reverse_iteratorISI_EEEEENSH_IJSG_SG_SG_EEES9_SI_JZNS1_25segmented_radix_sort_implINS0_14default_configELb1EPK6__halfPSP_PKlPlN2at6native12_GLOBAL__N_18offset_tEEE10hipError_tPvRmT1_PNSt15iterator_traitsIS13_E10value_typeET2_T3_PNS14_IS19_E10value_typeET4_jRbjT5_S1F_jjP12ihipStream_tbEUljE_ZNSN_ISO_Lb1ESR_SS_SU_SV_SZ_EES10_S11_S12_S13_S17_S18_S19_S1C_S1D_jS1E_jS1F_S1F_jjS1H_bEUljE0_EEES10_S11_S12_S19_S1D_S1F_T6_T7_T9_mT8_S1H_bDpT10_ENKUlT_T0_E_clISt17integral_constantIbLb1EES1U_IbLb0EEEEDaS1Q_S1R_EUlS1Q_E_NS1_11comp_targetILNS1_3genE3ELNS1_11target_archE908ELNS1_3gpuE7ELNS1_3repE0EEENS1_30default_config_static_selectorELNS0_4arch9wavefront6targetE0EEEvS13_
                                        ; -- End function
	.section	.AMDGPU.csdata,"",@progbits
; Kernel info:
; codeLenInByte = 0
; NumSgprs: 0
; NumVgprs: 0
; ScratchSize: 0
; MemoryBound: 0
; FloatMode: 240
; IeeeMode: 1
; LDSByteSize: 0 bytes/workgroup (compile time only)
; SGPRBlocks: 0
; VGPRBlocks: 0
; NumSGPRsForWavesPerEU: 1
; NumVGPRsForWavesPerEU: 1
; Occupancy: 16
; WaveLimiterHint : 0
; COMPUTE_PGM_RSRC2:SCRATCH_EN: 0
; COMPUTE_PGM_RSRC2:USER_SGPR: 15
; COMPUTE_PGM_RSRC2:TRAP_HANDLER: 0
; COMPUTE_PGM_RSRC2:TGID_X_EN: 1
; COMPUTE_PGM_RSRC2:TGID_Y_EN: 0
; COMPUTE_PGM_RSRC2:TGID_Z_EN: 0
; COMPUTE_PGM_RSRC2:TIDIG_COMP_CNT: 0
	.section	.text._ZN7rocprim17ROCPRIM_400000_NS6detail17trampoline_kernelINS0_13select_configILj256ELj13ELNS0_17block_load_methodE3ELS4_3ELS4_3ELNS0_20block_scan_algorithmE0ELj4294967295EEENS1_25partition_config_selectorILNS1_17partition_subalgoE4EjNS0_10empty_typeEbEEZZNS1_14partition_implILS8_4ELb0ES6_15HIP_vector_typeIjLj2EENS0_17counting_iteratorIjlEEPS9_SG_NS0_5tupleIJPjSI_NS0_16reverse_iteratorISI_EEEEENSH_IJSG_SG_SG_EEES9_SI_JZNS1_25segmented_radix_sort_implINS0_14default_configELb1EPK6__halfPSP_PKlPlN2at6native12_GLOBAL__N_18offset_tEEE10hipError_tPvRmT1_PNSt15iterator_traitsIS13_E10value_typeET2_T3_PNS14_IS19_E10value_typeET4_jRbjT5_S1F_jjP12ihipStream_tbEUljE_ZNSN_ISO_Lb1ESR_SS_SU_SV_SZ_EES10_S11_S12_S13_S17_S18_S19_S1C_S1D_jS1E_jS1F_S1F_jjS1H_bEUljE0_EEES10_S11_S12_S19_S1D_S1F_T6_T7_T9_mT8_S1H_bDpT10_ENKUlT_T0_E_clISt17integral_constantIbLb1EES1U_IbLb0EEEEDaS1Q_S1R_EUlS1Q_E_NS1_11comp_targetILNS1_3genE2ELNS1_11target_archE906ELNS1_3gpuE6ELNS1_3repE0EEENS1_30default_config_static_selectorELNS0_4arch9wavefront6targetE0EEEvS13_,"axG",@progbits,_ZN7rocprim17ROCPRIM_400000_NS6detail17trampoline_kernelINS0_13select_configILj256ELj13ELNS0_17block_load_methodE3ELS4_3ELS4_3ELNS0_20block_scan_algorithmE0ELj4294967295EEENS1_25partition_config_selectorILNS1_17partition_subalgoE4EjNS0_10empty_typeEbEEZZNS1_14partition_implILS8_4ELb0ES6_15HIP_vector_typeIjLj2EENS0_17counting_iteratorIjlEEPS9_SG_NS0_5tupleIJPjSI_NS0_16reverse_iteratorISI_EEEEENSH_IJSG_SG_SG_EEES9_SI_JZNS1_25segmented_radix_sort_implINS0_14default_configELb1EPK6__halfPSP_PKlPlN2at6native12_GLOBAL__N_18offset_tEEE10hipError_tPvRmT1_PNSt15iterator_traitsIS13_E10value_typeET2_T3_PNS14_IS19_E10value_typeET4_jRbjT5_S1F_jjP12ihipStream_tbEUljE_ZNSN_ISO_Lb1ESR_SS_SU_SV_SZ_EES10_S11_S12_S13_S17_S18_S19_S1C_S1D_jS1E_jS1F_S1F_jjS1H_bEUljE0_EEES10_S11_S12_S19_S1D_S1F_T6_T7_T9_mT8_S1H_bDpT10_ENKUlT_T0_E_clISt17integral_constantIbLb1EES1U_IbLb0EEEEDaS1Q_S1R_EUlS1Q_E_NS1_11comp_targetILNS1_3genE2ELNS1_11target_archE906ELNS1_3gpuE6ELNS1_3repE0EEENS1_30default_config_static_selectorELNS0_4arch9wavefront6targetE0EEEvS13_,comdat
	.globl	_ZN7rocprim17ROCPRIM_400000_NS6detail17trampoline_kernelINS0_13select_configILj256ELj13ELNS0_17block_load_methodE3ELS4_3ELS4_3ELNS0_20block_scan_algorithmE0ELj4294967295EEENS1_25partition_config_selectorILNS1_17partition_subalgoE4EjNS0_10empty_typeEbEEZZNS1_14partition_implILS8_4ELb0ES6_15HIP_vector_typeIjLj2EENS0_17counting_iteratorIjlEEPS9_SG_NS0_5tupleIJPjSI_NS0_16reverse_iteratorISI_EEEEENSH_IJSG_SG_SG_EEES9_SI_JZNS1_25segmented_radix_sort_implINS0_14default_configELb1EPK6__halfPSP_PKlPlN2at6native12_GLOBAL__N_18offset_tEEE10hipError_tPvRmT1_PNSt15iterator_traitsIS13_E10value_typeET2_T3_PNS14_IS19_E10value_typeET4_jRbjT5_S1F_jjP12ihipStream_tbEUljE_ZNSN_ISO_Lb1ESR_SS_SU_SV_SZ_EES10_S11_S12_S13_S17_S18_S19_S1C_S1D_jS1E_jS1F_S1F_jjS1H_bEUljE0_EEES10_S11_S12_S19_S1D_S1F_T6_T7_T9_mT8_S1H_bDpT10_ENKUlT_T0_E_clISt17integral_constantIbLb1EES1U_IbLb0EEEEDaS1Q_S1R_EUlS1Q_E_NS1_11comp_targetILNS1_3genE2ELNS1_11target_archE906ELNS1_3gpuE6ELNS1_3repE0EEENS1_30default_config_static_selectorELNS0_4arch9wavefront6targetE0EEEvS13_ ; -- Begin function _ZN7rocprim17ROCPRIM_400000_NS6detail17trampoline_kernelINS0_13select_configILj256ELj13ELNS0_17block_load_methodE3ELS4_3ELS4_3ELNS0_20block_scan_algorithmE0ELj4294967295EEENS1_25partition_config_selectorILNS1_17partition_subalgoE4EjNS0_10empty_typeEbEEZZNS1_14partition_implILS8_4ELb0ES6_15HIP_vector_typeIjLj2EENS0_17counting_iteratorIjlEEPS9_SG_NS0_5tupleIJPjSI_NS0_16reverse_iteratorISI_EEEEENSH_IJSG_SG_SG_EEES9_SI_JZNS1_25segmented_radix_sort_implINS0_14default_configELb1EPK6__halfPSP_PKlPlN2at6native12_GLOBAL__N_18offset_tEEE10hipError_tPvRmT1_PNSt15iterator_traitsIS13_E10value_typeET2_T3_PNS14_IS19_E10value_typeET4_jRbjT5_S1F_jjP12ihipStream_tbEUljE_ZNSN_ISO_Lb1ESR_SS_SU_SV_SZ_EES10_S11_S12_S13_S17_S18_S19_S1C_S1D_jS1E_jS1F_S1F_jjS1H_bEUljE0_EEES10_S11_S12_S19_S1D_S1F_T6_T7_T9_mT8_S1H_bDpT10_ENKUlT_T0_E_clISt17integral_constantIbLb1EES1U_IbLb0EEEEDaS1Q_S1R_EUlS1Q_E_NS1_11comp_targetILNS1_3genE2ELNS1_11target_archE906ELNS1_3gpuE6ELNS1_3repE0EEENS1_30default_config_static_selectorELNS0_4arch9wavefront6targetE0EEEvS13_
	.p2align	8
	.type	_ZN7rocprim17ROCPRIM_400000_NS6detail17trampoline_kernelINS0_13select_configILj256ELj13ELNS0_17block_load_methodE3ELS4_3ELS4_3ELNS0_20block_scan_algorithmE0ELj4294967295EEENS1_25partition_config_selectorILNS1_17partition_subalgoE4EjNS0_10empty_typeEbEEZZNS1_14partition_implILS8_4ELb0ES6_15HIP_vector_typeIjLj2EENS0_17counting_iteratorIjlEEPS9_SG_NS0_5tupleIJPjSI_NS0_16reverse_iteratorISI_EEEEENSH_IJSG_SG_SG_EEES9_SI_JZNS1_25segmented_radix_sort_implINS0_14default_configELb1EPK6__halfPSP_PKlPlN2at6native12_GLOBAL__N_18offset_tEEE10hipError_tPvRmT1_PNSt15iterator_traitsIS13_E10value_typeET2_T3_PNS14_IS19_E10value_typeET4_jRbjT5_S1F_jjP12ihipStream_tbEUljE_ZNSN_ISO_Lb1ESR_SS_SU_SV_SZ_EES10_S11_S12_S13_S17_S18_S19_S1C_S1D_jS1E_jS1F_S1F_jjS1H_bEUljE0_EEES10_S11_S12_S19_S1D_S1F_T6_T7_T9_mT8_S1H_bDpT10_ENKUlT_T0_E_clISt17integral_constantIbLb1EES1U_IbLb0EEEEDaS1Q_S1R_EUlS1Q_E_NS1_11comp_targetILNS1_3genE2ELNS1_11target_archE906ELNS1_3gpuE6ELNS1_3repE0EEENS1_30default_config_static_selectorELNS0_4arch9wavefront6targetE0EEEvS13_,@function
_ZN7rocprim17ROCPRIM_400000_NS6detail17trampoline_kernelINS0_13select_configILj256ELj13ELNS0_17block_load_methodE3ELS4_3ELS4_3ELNS0_20block_scan_algorithmE0ELj4294967295EEENS1_25partition_config_selectorILNS1_17partition_subalgoE4EjNS0_10empty_typeEbEEZZNS1_14partition_implILS8_4ELb0ES6_15HIP_vector_typeIjLj2EENS0_17counting_iteratorIjlEEPS9_SG_NS0_5tupleIJPjSI_NS0_16reverse_iteratorISI_EEEEENSH_IJSG_SG_SG_EEES9_SI_JZNS1_25segmented_radix_sort_implINS0_14default_configELb1EPK6__halfPSP_PKlPlN2at6native12_GLOBAL__N_18offset_tEEE10hipError_tPvRmT1_PNSt15iterator_traitsIS13_E10value_typeET2_T3_PNS14_IS19_E10value_typeET4_jRbjT5_S1F_jjP12ihipStream_tbEUljE_ZNSN_ISO_Lb1ESR_SS_SU_SV_SZ_EES10_S11_S12_S13_S17_S18_S19_S1C_S1D_jS1E_jS1F_S1F_jjS1H_bEUljE0_EEES10_S11_S12_S19_S1D_S1F_T6_T7_T9_mT8_S1H_bDpT10_ENKUlT_T0_E_clISt17integral_constantIbLb1EES1U_IbLb0EEEEDaS1Q_S1R_EUlS1Q_E_NS1_11comp_targetILNS1_3genE2ELNS1_11target_archE906ELNS1_3gpuE6ELNS1_3repE0EEENS1_30default_config_static_selectorELNS0_4arch9wavefront6targetE0EEEvS13_: ; @_ZN7rocprim17ROCPRIM_400000_NS6detail17trampoline_kernelINS0_13select_configILj256ELj13ELNS0_17block_load_methodE3ELS4_3ELS4_3ELNS0_20block_scan_algorithmE0ELj4294967295EEENS1_25partition_config_selectorILNS1_17partition_subalgoE4EjNS0_10empty_typeEbEEZZNS1_14partition_implILS8_4ELb0ES6_15HIP_vector_typeIjLj2EENS0_17counting_iteratorIjlEEPS9_SG_NS0_5tupleIJPjSI_NS0_16reverse_iteratorISI_EEEEENSH_IJSG_SG_SG_EEES9_SI_JZNS1_25segmented_radix_sort_implINS0_14default_configELb1EPK6__halfPSP_PKlPlN2at6native12_GLOBAL__N_18offset_tEEE10hipError_tPvRmT1_PNSt15iterator_traitsIS13_E10value_typeET2_T3_PNS14_IS19_E10value_typeET4_jRbjT5_S1F_jjP12ihipStream_tbEUljE_ZNSN_ISO_Lb1ESR_SS_SU_SV_SZ_EES10_S11_S12_S13_S17_S18_S19_S1C_S1D_jS1E_jS1F_S1F_jjS1H_bEUljE0_EEES10_S11_S12_S19_S1D_S1F_T6_T7_T9_mT8_S1H_bDpT10_ENKUlT_T0_E_clISt17integral_constantIbLb1EES1U_IbLb0EEEEDaS1Q_S1R_EUlS1Q_E_NS1_11comp_targetILNS1_3genE2ELNS1_11target_archE906ELNS1_3gpuE6ELNS1_3repE0EEENS1_30default_config_static_selectorELNS0_4arch9wavefront6targetE0EEEvS13_
; %bb.0:
	.section	.rodata,"a",@progbits
	.p2align	6, 0x0
	.amdhsa_kernel _ZN7rocprim17ROCPRIM_400000_NS6detail17trampoline_kernelINS0_13select_configILj256ELj13ELNS0_17block_load_methodE3ELS4_3ELS4_3ELNS0_20block_scan_algorithmE0ELj4294967295EEENS1_25partition_config_selectorILNS1_17partition_subalgoE4EjNS0_10empty_typeEbEEZZNS1_14partition_implILS8_4ELb0ES6_15HIP_vector_typeIjLj2EENS0_17counting_iteratorIjlEEPS9_SG_NS0_5tupleIJPjSI_NS0_16reverse_iteratorISI_EEEEENSH_IJSG_SG_SG_EEES9_SI_JZNS1_25segmented_radix_sort_implINS0_14default_configELb1EPK6__halfPSP_PKlPlN2at6native12_GLOBAL__N_18offset_tEEE10hipError_tPvRmT1_PNSt15iterator_traitsIS13_E10value_typeET2_T3_PNS14_IS19_E10value_typeET4_jRbjT5_S1F_jjP12ihipStream_tbEUljE_ZNSN_ISO_Lb1ESR_SS_SU_SV_SZ_EES10_S11_S12_S13_S17_S18_S19_S1C_S1D_jS1E_jS1F_S1F_jjS1H_bEUljE0_EEES10_S11_S12_S19_S1D_S1F_T6_T7_T9_mT8_S1H_bDpT10_ENKUlT_T0_E_clISt17integral_constantIbLb1EES1U_IbLb0EEEEDaS1Q_S1R_EUlS1Q_E_NS1_11comp_targetILNS1_3genE2ELNS1_11target_archE906ELNS1_3gpuE6ELNS1_3repE0EEENS1_30default_config_static_selectorELNS0_4arch9wavefront6targetE0EEEvS13_
		.amdhsa_group_segment_fixed_size 0
		.amdhsa_private_segment_fixed_size 0
		.amdhsa_kernarg_size 176
		.amdhsa_user_sgpr_count 15
		.amdhsa_user_sgpr_dispatch_ptr 0
		.amdhsa_user_sgpr_queue_ptr 0
		.amdhsa_user_sgpr_kernarg_segment_ptr 1
		.amdhsa_user_sgpr_dispatch_id 0
		.amdhsa_user_sgpr_private_segment_size 0
		.amdhsa_wavefront_size32 1
		.amdhsa_uses_dynamic_stack 0
		.amdhsa_enable_private_segment 0
		.amdhsa_system_sgpr_workgroup_id_x 1
		.amdhsa_system_sgpr_workgroup_id_y 0
		.amdhsa_system_sgpr_workgroup_id_z 0
		.amdhsa_system_sgpr_workgroup_info 0
		.amdhsa_system_vgpr_workitem_id 0
		.amdhsa_next_free_vgpr 1
		.amdhsa_next_free_sgpr 1
		.amdhsa_reserve_vcc 0
		.amdhsa_float_round_mode_32 0
		.amdhsa_float_round_mode_16_64 0
		.amdhsa_float_denorm_mode_32 3
		.amdhsa_float_denorm_mode_16_64 3
		.amdhsa_dx10_clamp 1
		.amdhsa_ieee_mode 1
		.amdhsa_fp16_overflow 0
		.amdhsa_workgroup_processor_mode 1
		.amdhsa_memory_ordered 1
		.amdhsa_forward_progress 0
		.amdhsa_shared_vgpr_count 0
		.amdhsa_exception_fp_ieee_invalid_op 0
		.amdhsa_exception_fp_denorm_src 0
		.amdhsa_exception_fp_ieee_div_zero 0
		.amdhsa_exception_fp_ieee_overflow 0
		.amdhsa_exception_fp_ieee_underflow 0
		.amdhsa_exception_fp_ieee_inexact 0
		.amdhsa_exception_int_div_zero 0
	.end_amdhsa_kernel
	.section	.text._ZN7rocprim17ROCPRIM_400000_NS6detail17trampoline_kernelINS0_13select_configILj256ELj13ELNS0_17block_load_methodE3ELS4_3ELS4_3ELNS0_20block_scan_algorithmE0ELj4294967295EEENS1_25partition_config_selectorILNS1_17partition_subalgoE4EjNS0_10empty_typeEbEEZZNS1_14partition_implILS8_4ELb0ES6_15HIP_vector_typeIjLj2EENS0_17counting_iteratorIjlEEPS9_SG_NS0_5tupleIJPjSI_NS0_16reverse_iteratorISI_EEEEENSH_IJSG_SG_SG_EEES9_SI_JZNS1_25segmented_radix_sort_implINS0_14default_configELb1EPK6__halfPSP_PKlPlN2at6native12_GLOBAL__N_18offset_tEEE10hipError_tPvRmT1_PNSt15iterator_traitsIS13_E10value_typeET2_T3_PNS14_IS19_E10value_typeET4_jRbjT5_S1F_jjP12ihipStream_tbEUljE_ZNSN_ISO_Lb1ESR_SS_SU_SV_SZ_EES10_S11_S12_S13_S17_S18_S19_S1C_S1D_jS1E_jS1F_S1F_jjS1H_bEUljE0_EEES10_S11_S12_S19_S1D_S1F_T6_T7_T9_mT8_S1H_bDpT10_ENKUlT_T0_E_clISt17integral_constantIbLb1EES1U_IbLb0EEEEDaS1Q_S1R_EUlS1Q_E_NS1_11comp_targetILNS1_3genE2ELNS1_11target_archE906ELNS1_3gpuE6ELNS1_3repE0EEENS1_30default_config_static_selectorELNS0_4arch9wavefront6targetE0EEEvS13_,"axG",@progbits,_ZN7rocprim17ROCPRIM_400000_NS6detail17trampoline_kernelINS0_13select_configILj256ELj13ELNS0_17block_load_methodE3ELS4_3ELS4_3ELNS0_20block_scan_algorithmE0ELj4294967295EEENS1_25partition_config_selectorILNS1_17partition_subalgoE4EjNS0_10empty_typeEbEEZZNS1_14partition_implILS8_4ELb0ES6_15HIP_vector_typeIjLj2EENS0_17counting_iteratorIjlEEPS9_SG_NS0_5tupleIJPjSI_NS0_16reverse_iteratorISI_EEEEENSH_IJSG_SG_SG_EEES9_SI_JZNS1_25segmented_radix_sort_implINS0_14default_configELb1EPK6__halfPSP_PKlPlN2at6native12_GLOBAL__N_18offset_tEEE10hipError_tPvRmT1_PNSt15iterator_traitsIS13_E10value_typeET2_T3_PNS14_IS19_E10value_typeET4_jRbjT5_S1F_jjP12ihipStream_tbEUljE_ZNSN_ISO_Lb1ESR_SS_SU_SV_SZ_EES10_S11_S12_S13_S17_S18_S19_S1C_S1D_jS1E_jS1F_S1F_jjS1H_bEUljE0_EEES10_S11_S12_S19_S1D_S1F_T6_T7_T9_mT8_S1H_bDpT10_ENKUlT_T0_E_clISt17integral_constantIbLb1EES1U_IbLb0EEEEDaS1Q_S1R_EUlS1Q_E_NS1_11comp_targetILNS1_3genE2ELNS1_11target_archE906ELNS1_3gpuE6ELNS1_3repE0EEENS1_30default_config_static_selectorELNS0_4arch9wavefront6targetE0EEEvS13_,comdat
.Lfunc_end1695:
	.size	_ZN7rocprim17ROCPRIM_400000_NS6detail17trampoline_kernelINS0_13select_configILj256ELj13ELNS0_17block_load_methodE3ELS4_3ELS4_3ELNS0_20block_scan_algorithmE0ELj4294967295EEENS1_25partition_config_selectorILNS1_17partition_subalgoE4EjNS0_10empty_typeEbEEZZNS1_14partition_implILS8_4ELb0ES6_15HIP_vector_typeIjLj2EENS0_17counting_iteratorIjlEEPS9_SG_NS0_5tupleIJPjSI_NS0_16reverse_iteratorISI_EEEEENSH_IJSG_SG_SG_EEES9_SI_JZNS1_25segmented_radix_sort_implINS0_14default_configELb1EPK6__halfPSP_PKlPlN2at6native12_GLOBAL__N_18offset_tEEE10hipError_tPvRmT1_PNSt15iterator_traitsIS13_E10value_typeET2_T3_PNS14_IS19_E10value_typeET4_jRbjT5_S1F_jjP12ihipStream_tbEUljE_ZNSN_ISO_Lb1ESR_SS_SU_SV_SZ_EES10_S11_S12_S13_S17_S18_S19_S1C_S1D_jS1E_jS1F_S1F_jjS1H_bEUljE0_EEES10_S11_S12_S19_S1D_S1F_T6_T7_T9_mT8_S1H_bDpT10_ENKUlT_T0_E_clISt17integral_constantIbLb1EES1U_IbLb0EEEEDaS1Q_S1R_EUlS1Q_E_NS1_11comp_targetILNS1_3genE2ELNS1_11target_archE906ELNS1_3gpuE6ELNS1_3repE0EEENS1_30default_config_static_selectorELNS0_4arch9wavefront6targetE0EEEvS13_, .Lfunc_end1695-_ZN7rocprim17ROCPRIM_400000_NS6detail17trampoline_kernelINS0_13select_configILj256ELj13ELNS0_17block_load_methodE3ELS4_3ELS4_3ELNS0_20block_scan_algorithmE0ELj4294967295EEENS1_25partition_config_selectorILNS1_17partition_subalgoE4EjNS0_10empty_typeEbEEZZNS1_14partition_implILS8_4ELb0ES6_15HIP_vector_typeIjLj2EENS0_17counting_iteratorIjlEEPS9_SG_NS0_5tupleIJPjSI_NS0_16reverse_iteratorISI_EEEEENSH_IJSG_SG_SG_EEES9_SI_JZNS1_25segmented_radix_sort_implINS0_14default_configELb1EPK6__halfPSP_PKlPlN2at6native12_GLOBAL__N_18offset_tEEE10hipError_tPvRmT1_PNSt15iterator_traitsIS13_E10value_typeET2_T3_PNS14_IS19_E10value_typeET4_jRbjT5_S1F_jjP12ihipStream_tbEUljE_ZNSN_ISO_Lb1ESR_SS_SU_SV_SZ_EES10_S11_S12_S13_S17_S18_S19_S1C_S1D_jS1E_jS1F_S1F_jjS1H_bEUljE0_EEES10_S11_S12_S19_S1D_S1F_T6_T7_T9_mT8_S1H_bDpT10_ENKUlT_T0_E_clISt17integral_constantIbLb1EES1U_IbLb0EEEEDaS1Q_S1R_EUlS1Q_E_NS1_11comp_targetILNS1_3genE2ELNS1_11target_archE906ELNS1_3gpuE6ELNS1_3repE0EEENS1_30default_config_static_selectorELNS0_4arch9wavefront6targetE0EEEvS13_
                                        ; -- End function
	.section	.AMDGPU.csdata,"",@progbits
; Kernel info:
; codeLenInByte = 0
; NumSgprs: 0
; NumVgprs: 0
; ScratchSize: 0
; MemoryBound: 0
; FloatMode: 240
; IeeeMode: 1
; LDSByteSize: 0 bytes/workgroup (compile time only)
; SGPRBlocks: 0
; VGPRBlocks: 0
; NumSGPRsForWavesPerEU: 1
; NumVGPRsForWavesPerEU: 1
; Occupancy: 16
; WaveLimiterHint : 0
; COMPUTE_PGM_RSRC2:SCRATCH_EN: 0
; COMPUTE_PGM_RSRC2:USER_SGPR: 15
; COMPUTE_PGM_RSRC2:TRAP_HANDLER: 0
; COMPUTE_PGM_RSRC2:TGID_X_EN: 1
; COMPUTE_PGM_RSRC2:TGID_Y_EN: 0
; COMPUTE_PGM_RSRC2:TGID_Z_EN: 0
; COMPUTE_PGM_RSRC2:TIDIG_COMP_CNT: 0
	.section	.text._ZN7rocprim17ROCPRIM_400000_NS6detail17trampoline_kernelINS0_13select_configILj256ELj13ELNS0_17block_load_methodE3ELS4_3ELS4_3ELNS0_20block_scan_algorithmE0ELj4294967295EEENS1_25partition_config_selectorILNS1_17partition_subalgoE4EjNS0_10empty_typeEbEEZZNS1_14partition_implILS8_4ELb0ES6_15HIP_vector_typeIjLj2EENS0_17counting_iteratorIjlEEPS9_SG_NS0_5tupleIJPjSI_NS0_16reverse_iteratorISI_EEEEENSH_IJSG_SG_SG_EEES9_SI_JZNS1_25segmented_radix_sort_implINS0_14default_configELb1EPK6__halfPSP_PKlPlN2at6native12_GLOBAL__N_18offset_tEEE10hipError_tPvRmT1_PNSt15iterator_traitsIS13_E10value_typeET2_T3_PNS14_IS19_E10value_typeET4_jRbjT5_S1F_jjP12ihipStream_tbEUljE_ZNSN_ISO_Lb1ESR_SS_SU_SV_SZ_EES10_S11_S12_S13_S17_S18_S19_S1C_S1D_jS1E_jS1F_S1F_jjS1H_bEUljE0_EEES10_S11_S12_S19_S1D_S1F_T6_T7_T9_mT8_S1H_bDpT10_ENKUlT_T0_E_clISt17integral_constantIbLb1EES1U_IbLb0EEEEDaS1Q_S1R_EUlS1Q_E_NS1_11comp_targetILNS1_3genE10ELNS1_11target_archE1200ELNS1_3gpuE4ELNS1_3repE0EEENS1_30default_config_static_selectorELNS0_4arch9wavefront6targetE0EEEvS13_,"axG",@progbits,_ZN7rocprim17ROCPRIM_400000_NS6detail17trampoline_kernelINS0_13select_configILj256ELj13ELNS0_17block_load_methodE3ELS4_3ELS4_3ELNS0_20block_scan_algorithmE0ELj4294967295EEENS1_25partition_config_selectorILNS1_17partition_subalgoE4EjNS0_10empty_typeEbEEZZNS1_14partition_implILS8_4ELb0ES6_15HIP_vector_typeIjLj2EENS0_17counting_iteratorIjlEEPS9_SG_NS0_5tupleIJPjSI_NS0_16reverse_iteratorISI_EEEEENSH_IJSG_SG_SG_EEES9_SI_JZNS1_25segmented_radix_sort_implINS0_14default_configELb1EPK6__halfPSP_PKlPlN2at6native12_GLOBAL__N_18offset_tEEE10hipError_tPvRmT1_PNSt15iterator_traitsIS13_E10value_typeET2_T3_PNS14_IS19_E10value_typeET4_jRbjT5_S1F_jjP12ihipStream_tbEUljE_ZNSN_ISO_Lb1ESR_SS_SU_SV_SZ_EES10_S11_S12_S13_S17_S18_S19_S1C_S1D_jS1E_jS1F_S1F_jjS1H_bEUljE0_EEES10_S11_S12_S19_S1D_S1F_T6_T7_T9_mT8_S1H_bDpT10_ENKUlT_T0_E_clISt17integral_constantIbLb1EES1U_IbLb0EEEEDaS1Q_S1R_EUlS1Q_E_NS1_11comp_targetILNS1_3genE10ELNS1_11target_archE1200ELNS1_3gpuE4ELNS1_3repE0EEENS1_30default_config_static_selectorELNS0_4arch9wavefront6targetE0EEEvS13_,comdat
	.globl	_ZN7rocprim17ROCPRIM_400000_NS6detail17trampoline_kernelINS0_13select_configILj256ELj13ELNS0_17block_load_methodE3ELS4_3ELS4_3ELNS0_20block_scan_algorithmE0ELj4294967295EEENS1_25partition_config_selectorILNS1_17partition_subalgoE4EjNS0_10empty_typeEbEEZZNS1_14partition_implILS8_4ELb0ES6_15HIP_vector_typeIjLj2EENS0_17counting_iteratorIjlEEPS9_SG_NS0_5tupleIJPjSI_NS0_16reverse_iteratorISI_EEEEENSH_IJSG_SG_SG_EEES9_SI_JZNS1_25segmented_radix_sort_implINS0_14default_configELb1EPK6__halfPSP_PKlPlN2at6native12_GLOBAL__N_18offset_tEEE10hipError_tPvRmT1_PNSt15iterator_traitsIS13_E10value_typeET2_T3_PNS14_IS19_E10value_typeET4_jRbjT5_S1F_jjP12ihipStream_tbEUljE_ZNSN_ISO_Lb1ESR_SS_SU_SV_SZ_EES10_S11_S12_S13_S17_S18_S19_S1C_S1D_jS1E_jS1F_S1F_jjS1H_bEUljE0_EEES10_S11_S12_S19_S1D_S1F_T6_T7_T9_mT8_S1H_bDpT10_ENKUlT_T0_E_clISt17integral_constantIbLb1EES1U_IbLb0EEEEDaS1Q_S1R_EUlS1Q_E_NS1_11comp_targetILNS1_3genE10ELNS1_11target_archE1200ELNS1_3gpuE4ELNS1_3repE0EEENS1_30default_config_static_selectorELNS0_4arch9wavefront6targetE0EEEvS13_ ; -- Begin function _ZN7rocprim17ROCPRIM_400000_NS6detail17trampoline_kernelINS0_13select_configILj256ELj13ELNS0_17block_load_methodE3ELS4_3ELS4_3ELNS0_20block_scan_algorithmE0ELj4294967295EEENS1_25partition_config_selectorILNS1_17partition_subalgoE4EjNS0_10empty_typeEbEEZZNS1_14partition_implILS8_4ELb0ES6_15HIP_vector_typeIjLj2EENS0_17counting_iteratorIjlEEPS9_SG_NS0_5tupleIJPjSI_NS0_16reverse_iteratorISI_EEEEENSH_IJSG_SG_SG_EEES9_SI_JZNS1_25segmented_radix_sort_implINS0_14default_configELb1EPK6__halfPSP_PKlPlN2at6native12_GLOBAL__N_18offset_tEEE10hipError_tPvRmT1_PNSt15iterator_traitsIS13_E10value_typeET2_T3_PNS14_IS19_E10value_typeET4_jRbjT5_S1F_jjP12ihipStream_tbEUljE_ZNSN_ISO_Lb1ESR_SS_SU_SV_SZ_EES10_S11_S12_S13_S17_S18_S19_S1C_S1D_jS1E_jS1F_S1F_jjS1H_bEUljE0_EEES10_S11_S12_S19_S1D_S1F_T6_T7_T9_mT8_S1H_bDpT10_ENKUlT_T0_E_clISt17integral_constantIbLb1EES1U_IbLb0EEEEDaS1Q_S1R_EUlS1Q_E_NS1_11comp_targetILNS1_3genE10ELNS1_11target_archE1200ELNS1_3gpuE4ELNS1_3repE0EEENS1_30default_config_static_selectorELNS0_4arch9wavefront6targetE0EEEvS13_
	.p2align	8
	.type	_ZN7rocprim17ROCPRIM_400000_NS6detail17trampoline_kernelINS0_13select_configILj256ELj13ELNS0_17block_load_methodE3ELS4_3ELS4_3ELNS0_20block_scan_algorithmE0ELj4294967295EEENS1_25partition_config_selectorILNS1_17partition_subalgoE4EjNS0_10empty_typeEbEEZZNS1_14partition_implILS8_4ELb0ES6_15HIP_vector_typeIjLj2EENS0_17counting_iteratorIjlEEPS9_SG_NS0_5tupleIJPjSI_NS0_16reverse_iteratorISI_EEEEENSH_IJSG_SG_SG_EEES9_SI_JZNS1_25segmented_radix_sort_implINS0_14default_configELb1EPK6__halfPSP_PKlPlN2at6native12_GLOBAL__N_18offset_tEEE10hipError_tPvRmT1_PNSt15iterator_traitsIS13_E10value_typeET2_T3_PNS14_IS19_E10value_typeET4_jRbjT5_S1F_jjP12ihipStream_tbEUljE_ZNSN_ISO_Lb1ESR_SS_SU_SV_SZ_EES10_S11_S12_S13_S17_S18_S19_S1C_S1D_jS1E_jS1F_S1F_jjS1H_bEUljE0_EEES10_S11_S12_S19_S1D_S1F_T6_T7_T9_mT8_S1H_bDpT10_ENKUlT_T0_E_clISt17integral_constantIbLb1EES1U_IbLb0EEEEDaS1Q_S1R_EUlS1Q_E_NS1_11comp_targetILNS1_3genE10ELNS1_11target_archE1200ELNS1_3gpuE4ELNS1_3repE0EEENS1_30default_config_static_selectorELNS0_4arch9wavefront6targetE0EEEvS13_,@function
_ZN7rocprim17ROCPRIM_400000_NS6detail17trampoline_kernelINS0_13select_configILj256ELj13ELNS0_17block_load_methodE3ELS4_3ELS4_3ELNS0_20block_scan_algorithmE0ELj4294967295EEENS1_25partition_config_selectorILNS1_17partition_subalgoE4EjNS0_10empty_typeEbEEZZNS1_14partition_implILS8_4ELb0ES6_15HIP_vector_typeIjLj2EENS0_17counting_iteratorIjlEEPS9_SG_NS0_5tupleIJPjSI_NS0_16reverse_iteratorISI_EEEEENSH_IJSG_SG_SG_EEES9_SI_JZNS1_25segmented_radix_sort_implINS0_14default_configELb1EPK6__halfPSP_PKlPlN2at6native12_GLOBAL__N_18offset_tEEE10hipError_tPvRmT1_PNSt15iterator_traitsIS13_E10value_typeET2_T3_PNS14_IS19_E10value_typeET4_jRbjT5_S1F_jjP12ihipStream_tbEUljE_ZNSN_ISO_Lb1ESR_SS_SU_SV_SZ_EES10_S11_S12_S13_S17_S18_S19_S1C_S1D_jS1E_jS1F_S1F_jjS1H_bEUljE0_EEES10_S11_S12_S19_S1D_S1F_T6_T7_T9_mT8_S1H_bDpT10_ENKUlT_T0_E_clISt17integral_constantIbLb1EES1U_IbLb0EEEEDaS1Q_S1R_EUlS1Q_E_NS1_11comp_targetILNS1_3genE10ELNS1_11target_archE1200ELNS1_3gpuE4ELNS1_3repE0EEENS1_30default_config_static_selectorELNS0_4arch9wavefront6targetE0EEEvS13_: ; @_ZN7rocprim17ROCPRIM_400000_NS6detail17trampoline_kernelINS0_13select_configILj256ELj13ELNS0_17block_load_methodE3ELS4_3ELS4_3ELNS0_20block_scan_algorithmE0ELj4294967295EEENS1_25partition_config_selectorILNS1_17partition_subalgoE4EjNS0_10empty_typeEbEEZZNS1_14partition_implILS8_4ELb0ES6_15HIP_vector_typeIjLj2EENS0_17counting_iteratorIjlEEPS9_SG_NS0_5tupleIJPjSI_NS0_16reverse_iteratorISI_EEEEENSH_IJSG_SG_SG_EEES9_SI_JZNS1_25segmented_radix_sort_implINS0_14default_configELb1EPK6__halfPSP_PKlPlN2at6native12_GLOBAL__N_18offset_tEEE10hipError_tPvRmT1_PNSt15iterator_traitsIS13_E10value_typeET2_T3_PNS14_IS19_E10value_typeET4_jRbjT5_S1F_jjP12ihipStream_tbEUljE_ZNSN_ISO_Lb1ESR_SS_SU_SV_SZ_EES10_S11_S12_S13_S17_S18_S19_S1C_S1D_jS1E_jS1F_S1F_jjS1H_bEUljE0_EEES10_S11_S12_S19_S1D_S1F_T6_T7_T9_mT8_S1H_bDpT10_ENKUlT_T0_E_clISt17integral_constantIbLb1EES1U_IbLb0EEEEDaS1Q_S1R_EUlS1Q_E_NS1_11comp_targetILNS1_3genE10ELNS1_11target_archE1200ELNS1_3gpuE4ELNS1_3repE0EEENS1_30default_config_static_selectorELNS0_4arch9wavefront6targetE0EEEvS13_
; %bb.0:
	.section	.rodata,"a",@progbits
	.p2align	6, 0x0
	.amdhsa_kernel _ZN7rocprim17ROCPRIM_400000_NS6detail17trampoline_kernelINS0_13select_configILj256ELj13ELNS0_17block_load_methodE3ELS4_3ELS4_3ELNS0_20block_scan_algorithmE0ELj4294967295EEENS1_25partition_config_selectorILNS1_17partition_subalgoE4EjNS0_10empty_typeEbEEZZNS1_14partition_implILS8_4ELb0ES6_15HIP_vector_typeIjLj2EENS0_17counting_iteratorIjlEEPS9_SG_NS0_5tupleIJPjSI_NS0_16reverse_iteratorISI_EEEEENSH_IJSG_SG_SG_EEES9_SI_JZNS1_25segmented_radix_sort_implINS0_14default_configELb1EPK6__halfPSP_PKlPlN2at6native12_GLOBAL__N_18offset_tEEE10hipError_tPvRmT1_PNSt15iterator_traitsIS13_E10value_typeET2_T3_PNS14_IS19_E10value_typeET4_jRbjT5_S1F_jjP12ihipStream_tbEUljE_ZNSN_ISO_Lb1ESR_SS_SU_SV_SZ_EES10_S11_S12_S13_S17_S18_S19_S1C_S1D_jS1E_jS1F_S1F_jjS1H_bEUljE0_EEES10_S11_S12_S19_S1D_S1F_T6_T7_T9_mT8_S1H_bDpT10_ENKUlT_T0_E_clISt17integral_constantIbLb1EES1U_IbLb0EEEEDaS1Q_S1R_EUlS1Q_E_NS1_11comp_targetILNS1_3genE10ELNS1_11target_archE1200ELNS1_3gpuE4ELNS1_3repE0EEENS1_30default_config_static_selectorELNS0_4arch9wavefront6targetE0EEEvS13_
		.amdhsa_group_segment_fixed_size 0
		.amdhsa_private_segment_fixed_size 0
		.amdhsa_kernarg_size 176
		.amdhsa_user_sgpr_count 15
		.amdhsa_user_sgpr_dispatch_ptr 0
		.amdhsa_user_sgpr_queue_ptr 0
		.amdhsa_user_sgpr_kernarg_segment_ptr 1
		.amdhsa_user_sgpr_dispatch_id 0
		.amdhsa_user_sgpr_private_segment_size 0
		.amdhsa_wavefront_size32 1
		.amdhsa_uses_dynamic_stack 0
		.amdhsa_enable_private_segment 0
		.amdhsa_system_sgpr_workgroup_id_x 1
		.amdhsa_system_sgpr_workgroup_id_y 0
		.amdhsa_system_sgpr_workgroup_id_z 0
		.amdhsa_system_sgpr_workgroup_info 0
		.amdhsa_system_vgpr_workitem_id 0
		.amdhsa_next_free_vgpr 1
		.amdhsa_next_free_sgpr 1
		.amdhsa_reserve_vcc 0
		.amdhsa_float_round_mode_32 0
		.amdhsa_float_round_mode_16_64 0
		.amdhsa_float_denorm_mode_32 3
		.amdhsa_float_denorm_mode_16_64 3
		.amdhsa_dx10_clamp 1
		.amdhsa_ieee_mode 1
		.amdhsa_fp16_overflow 0
		.amdhsa_workgroup_processor_mode 1
		.amdhsa_memory_ordered 1
		.amdhsa_forward_progress 0
		.amdhsa_shared_vgpr_count 0
		.amdhsa_exception_fp_ieee_invalid_op 0
		.amdhsa_exception_fp_denorm_src 0
		.amdhsa_exception_fp_ieee_div_zero 0
		.amdhsa_exception_fp_ieee_overflow 0
		.amdhsa_exception_fp_ieee_underflow 0
		.amdhsa_exception_fp_ieee_inexact 0
		.amdhsa_exception_int_div_zero 0
	.end_amdhsa_kernel
	.section	.text._ZN7rocprim17ROCPRIM_400000_NS6detail17trampoline_kernelINS0_13select_configILj256ELj13ELNS0_17block_load_methodE3ELS4_3ELS4_3ELNS0_20block_scan_algorithmE0ELj4294967295EEENS1_25partition_config_selectorILNS1_17partition_subalgoE4EjNS0_10empty_typeEbEEZZNS1_14partition_implILS8_4ELb0ES6_15HIP_vector_typeIjLj2EENS0_17counting_iteratorIjlEEPS9_SG_NS0_5tupleIJPjSI_NS0_16reverse_iteratorISI_EEEEENSH_IJSG_SG_SG_EEES9_SI_JZNS1_25segmented_radix_sort_implINS0_14default_configELb1EPK6__halfPSP_PKlPlN2at6native12_GLOBAL__N_18offset_tEEE10hipError_tPvRmT1_PNSt15iterator_traitsIS13_E10value_typeET2_T3_PNS14_IS19_E10value_typeET4_jRbjT5_S1F_jjP12ihipStream_tbEUljE_ZNSN_ISO_Lb1ESR_SS_SU_SV_SZ_EES10_S11_S12_S13_S17_S18_S19_S1C_S1D_jS1E_jS1F_S1F_jjS1H_bEUljE0_EEES10_S11_S12_S19_S1D_S1F_T6_T7_T9_mT8_S1H_bDpT10_ENKUlT_T0_E_clISt17integral_constantIbLb1EES1U_IbLb0EEEEDaS1Q_S1R_EUlS1Q_E_NS1_11comp_targetILNS1_3genE10ELNS1_11target_archE1200ELNS1_3gpuE4ELNS1_3repE0EEENS1_30default_config_static_selectorELNS0_4arch9wavefront6targetE0EEEvS13_,"axG",@progbits,_ZN7rocprim17ROCPRIM_400000_NS6detail17trampoline_kernelINS0_13select_configILj256ELj13ELNS0_17block_load_methodE3ELS4_3ELS4_3ELNS0_20block_scan_algorithmE0ELj4294967295EEENS1_25partition_config_selectorILNS1_17partition_subalgoE4EjNS0_10empty_typeEbEEZZNS1_14partition_implILS8_4ELb0ES6_15HIP_vector_typeIjLj2EENS0_17counting_iteratorIjlEEPS9_SG_NS0_5tupleIJPjSI_NS0_16reverse_iteratorISI_EEEEENSH_IJSG_SG_SG_EEES9_SI_JZNS1_25segmented_radix_sort_implINS0_14default_configELb1EPK6__halfPSP_PKlPlN2at6native12_GLOBAL__N_18offset_tEEE10hipError_tPvRmT1_PNSt15iterator_traitsIS13_E10value_typeET2_T3_PNS14_IS19_E10value_typeET4_jRbjT5_S1F_jjP12ihipStream_tbEUljE_ZNSN_ISO_Lb1ESR_SS_SU_SV_SZ_EES10_S11_S12_S13_S17_S18_S19_S1C_S1D_jS1E_jS1F_S1F_jjS1H_bEUljE0_EEES10_S11_S12_S19_S1D_S1F_T6_T7_T9_mT8_S1H_bDpT10_ENKUlT_T0_E_clISt17integral_constantIbLb1EES1U_IbLb0EEEEDaS1Q_S1R_EUlS1Q_E_NS1_11comp_targetILNS1_3genE10ELNS1_11target_archE1200ELNS1_3gpuE4ELNS1_3repE0EEENS1_30default_config_static_selectorELNS0_4arch9wavefront6targetE0EEEvS13_,comdat
.Lfunc_end1696:
	.size	_ZN7rocprim17ROCPRIM_400000_NS6detail17trampoline_kernelINS0_13select_configILj256ELj13ELNS0_17block_load_methodE3ELS4_3ELS4_3ELNS0_20block_scan_algorithmE0ELj4294967295EEENS1_25partition_config_selectorILNS1_17partition_subalgoE4EjNS0_10empty_typeEbEEZZNS1_14partition_implILS8_4ELb0ES6_15HIP_vector_typeIjLj2EENS0_17counting_iteratorIjlEEPS9_SG_NS0_5tupleIJPjSI_NS0_16reverse_iteratorISI_EEEEENSH_IJSG_SG_SG_EEES9_SI_JZNS1_25segmented_radix_sort_implINS0_14default_configELb1EPK6__halfPSP_PKlPlN2at6native12_GLOBAL__N_18offset_tEEE10hipError_tPvRmT1_PNSt15iterator_traitsIS13_E10value_typeET2_T3_PNS14_IS19_E10value_typeET4_jRbjT5_S1F_jjP12ihipStream_tbEUljE_ZNSN_ISO_Lb1ESR_SS_SU_SV_SZ_EES10_S11_S12_S13_S17_S18_S19_S1C_S1D_jS1E_jS1F_S1F_jjS1H_bEUljE0_EEES10_S11_S12_S19_S1D_S1F_T6_T7_T9_mT8_S1H_bDpT10_ENKUlT_T0_E_clISt17integral_constantIbLb1EES1U_IbLb0EEEEDaS1Q_S1R_EUlS1Q_E_NS1_11comp_targetILNS1_3genE10ELNS1_11target_archE1200ELNS1_3gpuE4ELNS1_3repE0EEENS1_30default_config_static_selectorELNS0_4arch9wavefront6targetE0EEEvS13_, .Lfunc_end1696-_ZN7rocprim17ROCPRIM_400000_NS6detail17trampoline_kernelINS0_13select_configILj256ELj13ELNS0_17block_load_methodE3ELS4_3ELS4_3ELNS0_20block_scan_algorithmE0ELj4294967295EEENS1_25partition_config_selectorILNS1_17partition_subalgoE4EjNS0_10empty_typeEbEEZZNS1_14partition_implILS8_4ELb0ES6_15HIP_vector_typeIjLj2EENS0_17counting_iteratorIjlEEPS9_SG_NS0_5tupleIJPjSI_NS0_16reverse_iteratorISI_EEEEENSH_IJSG_SG_SG_EEES9_SI_JZNS1_25segmented_radix_sort_implINS0_14default_configELb1EPK6__halfPSP_PKlPlN2at6native12_GLOBAL__N_18offset_tEEE10hipError_tPvRmT1_PNSt15iterator_traitsIS13_E10value_typeET2_T3_PNS14_IS19_E10value_typeET4_jRbjT5_S1F_jjP12ihipStream_tbEUljE_ZNSN_ISO_Lb1ESR_SS_SU_SV_SZ_EES10_S11_S12_S13_S17_S18_S19_S1C_S1D_jS1E_jS1F_S1F_jjS1H_bEUljE0_EEES10_S11_S12_S19_S1D_S1F_T6_T7_T9_mT8_S1H_bDpT10_ENKUlT_T0_E_clISt17integral_constantIbLb1EES1U_IbLb0EEEEDaS1Q_S1R_EUlS1Q_E_NS1_11comp_targetILNS1_3genE10ELNS1_11target_archE1200ELNS1_3gpuE4ELNS1_3repE0EEENS1_30default_config_static_selectorELNS0_4arch9wavefront6targetE0EEEvS13_
                                        ; -- End function
	.section	.AMDGPU.csdata,"",@progbits
; Kernel info:
; codeLenInByte = 0
; NumSgprs: 0
; NumVgprs: 0
; ScratchSize: 0
; MemoryBound: 0
; FloatMode: 240
; IeeeMode: 1
; LDSByteSize: 0 bytes/workgroup (compile time only)
; SGPRBlocks: 0
; VGPRBlocks: 0
; NumSGPRsForWavesPerEU: 1
; NumVGPRsForWavesPerEU: 1
; Occupancy: 16
; WaveLimiterHint : 0
; COMPUTE_PGM_RSRC2:SCRATCH_EN: 0
; COMPUTE_PGM_RSRC2:USER_SGPR: 15
; COMPUTE_PGM_RSRC2:TRAP_HANDLER: 0
; COMPUTE_PGM_RSRC2:TGID_X_EN: 1
; COMPUTE_PGM_RSRC2:TGID_Y_EN: 0
; COMPUTE_PGM_RSRC2:TGID_Z_EN: 0
; COMPUTE_PGM_RSRC2:TIDIG_COMP_CNT: 0
	.section	.text._ZN7rocprim17ROCPRIM_400000_NS6detail17trampoline_kernelINS0_13select_configILj256ELj13ELNS0_17block_load_methodE3ELS4_3ELS4_3ELNS0_20block_scan_algorithmE0ELj4294967295EEENS1_25partition_config_selectorILNS1_17partition_subalgoE4EjNS0_10empty_typeEbEEZZNS1_14partition_implILS8_4ELb0ES6_15HIP_vector_typeIjLj2EENS0_17counting_iteratorIjlEEPS9_SG_NS0_5tupleIJPjSI_NS0_16reverse_iteratorISI_EEEEENSH_IJSG_SG_SG_EEES9_SI_JZNS1_25segmented_radix_sort_implINS0_14default_configELb1EPK6__halfPSP_PKlPlN2at6native12_GLOBAL__N_18offset_tEEE10hipError_tPvRmT1_PNSt15iterator_traitsIS13_E10value_typeET2_T3_PNS14_IS19_E10value_typeET4_jRbjT5_S1F_jjP12ihipStream_tbEUljE_ZNSN_ISO_Lb1ESR_SS_SU_SV_SZ_EES10_S11_S12_S13_S17_S18_S19_S1C_S1D_jS1E_jS1F_S1F_jjS1H_bEUljE0_EEES10_S11_S12_S19_S1D_S1F_T6_T7_T9_mT8_S1H_bDpT10_ENKUlT_T0_E_clISt17integral_constantIbLb1EES1U_IbLb0EEEEDaS1Q_S1R_EUlS1Q_E_NS1_11comp_targetILNS1_3genE9ELNS1_11target_archE1100ELNS1_3gpuE3ELNS1_3repE0EEENS1_30default_config_static_selectorELNS0_4arch9wavefront6targetE0EEEvS13_,"axG",@progbits,_ZN7rocprim17ROCPRIM_400000_NS6detail17trampoline_kernelINS0_13select_configILj256ELj13ELNS0_17block_load_methodE3ELS4_3ELS4_3ELNS0_20block_scan_algorithmE0ELj4294967295EEENS1_25partition_config_selectorILNS1_17partition_subalgoE4EjNS0_10empty_typeEbEEZZNS1_14partition_implILS8_4ELb0ES6_15HIP_vector_typeIjLj2EENS0_17counting_iteratorIjlEEPS9_SG_NS0_5tupleIJPjSI_NS0_16reverse_iteratorISI_EEEEENSH_IJSG_SG_SG_EEES9_SI_JZNS1_25segmented_radix_sort_implINS0_14default_configELb1EPK6__halfPSP_PKlPlN2at6native12_GLOBAL__N_18offset_tEEE10hipError_tPvRmT1_PNSt15iterator_traitsIS13_E10value_typeET2_T3_PNS14_IS19_E10value_typeET4_jRbjT5_S1F_jjP12ihipStream_tbEUljE_ZNSN_ISO_Lb1ESR_SS_SU_SV_SZ_EES10_S11_S12_S13_S17_S18_S19_S1C_S1D_jS1E_jS1F_S1F_jjS1H_bEUljE0_EEES10_S11_S12_S19_S1D_S1F_T6_T7_T9_mT8_S1H_bDpT10_ENKUlT_T0_E_clISt17integral_constantIbLb1EES1U_IbLb0EEEEDaS1Q_S1R_EUlS1Q_E_NS1_11comp_targetILNS1_3genE9ELNS1_11target_archE1100ELNS1_3gpuE3ELNS1_3repE0EEENS1_30default_config_static_selectorELNS0_4arch9wavefront6targetE0EEEvS13_,comdat
	.globl	_ZN7rocprim17ROCPRIM_400000_NS6detail17trampoline_kernelINS0_13select_configILj256ELj13ELNS0_17block_load_methodE3ELS4_3ELS4_3ELNS0_20block_scan_algorithmE0ELj4294967295EEENS1_25partition_config_selectorILNS1_17partition_subalgoE4EjNS0_10empty_typeEbEEZZNS1_14partition_implILS8_4ELb0ES6_15HIP_vector_typeIjLj2EENS0_17counting_iteratorIjlEEPS9_SG_NS0_5tupleIJPjSI_NS0_16reverse_iteratorISI_EEEEENSH_IJSG_SG_SG_EEES9_SI_JZNS1_25segmented_radix_sort_implINS0_14default_configELb1EPK6__halfPSP_PKlPlN2at6native12_GLOBAL__N_18offset_tEEE10hipError_tPvRmT1_PNSt15iterator_traitsIS13_E10value_typeET2_T3_PNS14_IS19_E10value_typeET4_jRbjT5_S1F_jjP12ihipStream_tbEUljE_ZNSN_ISO_Lb1ESR_SS_SU_SV_SZ_EES10_S11_S12_S13_S17_S18_S19_S1C_S1D_jS1E_jS1F_S1F_jjS1H_bEUljE0_EEES10_S11_S12_S19_S1D_S1F_T6_T7_T9_mT8_S1H_bDpT10_ENKUlT_T0_E_clISt17integral_constantIbLb1EES1U_IbLb0EEEEDaS1Q_S1R_EUlS1Q_E_NS1_11comp_targetILNS1_3genE9ELNS1_11target_archE1100ELNS1_3gpuE3ELNS1_3repE0EEENS1_30default_config_static_selectorELNS0_4arch9wavefront6targetE0EEEvS13_ ; -- Begin function _ZN7rocprim17ROCPRIM_400000_NS6detail17trampoline_kernelINS0_13select_configILj256ELj13ELNS0_17block_load_methodE3ELS4_3ELS4_3ELNS0_20block_scan_algorithmE0ELj4294967295EEENS1_25partition_config_selectorILNS1_17partition_subalgoE4EjNS0_10empty_typeEbEEZZNS1_14partition_implILS8_4ELb0ES6_15HIP_vector_typeIjLj2EENS0_17counting_iteratorIjlEEPS9_SG_NS0_5tupleIJPjSI_NS0_16reverse_iteratorISI_EEEEENSH_IJSG_SG_SG_EEES9_SI_JZNS1_25segmented_radix_sort_implINS0_14default_configELb1EPK6__halfPSP_PKlPlN2at6native12_GLOBAL__N_18offset_tEEE10hipError_tPvRmT1_PNSt15iterator_traitsIS13_E10value_typeET2_T3_PNS14_IS19_E10value_typeET4_jRbjT5_S1F_jjP12ihipStream_tbEUljE_ZNSN_ISO_Lb1ESR_SS_SU_SV_SZ_EES10_S11_S12_S13_S17_S18_S19_S1C_S1D_jS1E_jS1F_S1F_jjS1H_bEUljE0_EEES10_S11_S12_S19_S1D_S1F_T6_T7_T9_mT8_S1H_bDpT10_ENKUlT_T0_E_clISt17integral_constantIbLb1EES1U_IbLb0EEEEDaS1Q_S1R_EUlS1Q_E_NS1_11comp_targetILNS1_3genE9ELNS1_11target_archE1100ELNS1_3gpuE3ELNS1_3repE0EEENS1_30default_config_static_selectorELNS0_4arch9wavefront6targetE0EEEvS13_
	.p2align	8
	.type	_ZN7rocprim17ROCPRIM_400000_NS6detail17trampoline_kernelINS0_13select_configILj256ELj13ELNS0_17block_load_methodE3ELS4_3ELS4_3ELNS0_20block_scan_algorithmE0ELj4294967295EEENS1_25partition_config_selectorILNS1_17partition_subalgoE4EjNS0_10empty_typeEbEEZZNS1_14partition_implILS8_4ELb0ES6_15HIP_vector_typeIjLj2EENS0_17counting_iteratorIjlEEPS9_SG_NS0_5tupleIJPjSI_NS0_16reverse_iteratorISI_EEEEENSH_IJSG_SG_SG_EEES9_SI_JZNS1_25segmented_radix_sort_implINS0_14default_configELb1EPK6__halfPSP_PKlPlN2at6native12_GLOBAL__N_18offset_tEEE10hipError_tPvRmT1_PNSt15iterator_traitsIS13_E10value_typeET2_T3_PNS14_IS19_E10value_typeET4_jRbjT5_S1F_jjP12ihipStream_tbEUljE_ZNSN_ISO_Lb1ESR_SS_SU_SV_SZ_EES10_S11_S12_S13_S17_S18_S19_S1C_S1D_jS1E_jS1F_S1F_jjS1H_bEUljE0_EEES10_S11_S12_S19_S1D_S1F_T6_T7_T9_mT8_S1H_bDpT10_ENKUlT_T0_E_clISt17integral_constantIbLb1EES1U_IbLb0EEEEDaS1Q_S1R_EUlS1Q_E_NS1_11comp_targetILNS1_3genE9ELNS1_11target_archE1100ELNS1_3gpuE3ELNS1_3repE0EEENS1_30default_config_static_selectorELNS0_4arch9wavefront6targetE0EEEvS13_,@function
_ZN7rocprim17ROCPRIM_400000_NS6detail17trampoline_kernelINS0_13select_configILj256ELj13ELNS0_17block_load_methodE3ELS4_3ELS4_3ELNS0_20block_scan_algorithmE0ELj4294967295EEENS1_25partition_config_selectorILNS1_17partition_subalgoE4EjNS0_10empty_typeEbEEZZNS1_14partition_implILS8_4ELb0ES6_15HIP_vector_typeIjLj2EENS0_17counting_iteratorIjlEEPS9_SG_NS0_5tupleIJPjSI_NS0_16reverse_iteratorISI_EEEEENSH_IJSG_SG_SG_EEES9_SI_JZNS1_25segmented_radix_sort_implINS0_14default_configELb1EPK6__halfPSP_PKlPlN2at6native12_GLOBAL__N_18offset_tEEE10hipError_tPvRmT1_PNSt15iterator_traitsIS13_E10value_typeET2_T3_PNS14_IS19_E10value_typeET4_jRbjT5_S1F_jjP12ihipStream_tbEUljE_ZNSN_ISO_Lb1ESR_SS_SU_SV_SZ_EES10_S11_S12_S13_S17_S18_S19_S1C_S1D_jS1E_jS1F_S1F_jjS1H_bEUljE0_EEES10_S11_S12_S19_S1D_S1F_T6_T7_T9_mT8_S1H_bDpT10_ENKUlT_T0_E_clISt17integral_constantIbLb1EES1U_IbLb0EEEEDaS1Q_S1R_EUlS1Q_E_NS1_11comp_targetILNS1_3genE9ELNS1_11target_archE1100ELNS1_3gpuE3ELNS1_3repE0EEENS1_30default_config_static_selectorELNS0_4arch9wavefront6targetE0EEEvS13_: ; @_ZN7rocprim17ROCPRIM_400000_NS6detail17trampoline_kernelINS0_13select_configILj256ELj13ELNS0_17block_load_methodE3ELS4_3ELS4_3ELNS0_20block_scan_algorithmE0ELj4294967295EEENS1_25partition_config_selectorILNS1_17partition_subalgoE4EjNS0_10empty_typeEbEEZZNS1_14partition_implILS8_4ELb0ES6_15HIP_vector_typeIjLj2EENS0_17counting_iteratorIjlEEPS9_SG_NS0_5tupleIJPjSI_NS0_16reverse_iteratorISI_EEEEENSH_IJSG_SG_SG_EEES9_SI_JZNS1_25segmented_radix_sort_implINS0_14default_configELb1EPK6__halfPSP_PKlPlN2at6native12_GLOBAL__N_18offset_tEEE10hipError_tPvRmT1_PNSt15iterator_traitsIS13_E10value_typeET2_T3_PNS14_IS19_E10value_typeET4_jRbjT5_S1F_jjP12ihipStream_tbEUljE_ZNSN_ISO_Lb1ESR_SS_SU_SV_SZ_EES10_S11_S12_S13_S17_S18_S19_S1C_S1D_jS1E_jS1F_S1F_jjS1H_bEUljE0_EEES10_S11_S12_S19_S1D_S1F_T6_T7_T9_mT8_S1H_bDpT10_ENKUlT_T0_E_clISt17integral_constantIbLb1EES1U_IbLb0EEEEDaS1Q_S1R_EUlS1Q_E_NS1_11comp_targetILNS1_3genE9ELNS1_11target_archE1100ELNS1_3gpuE3ELNS1_3repE0EEENS1_30default_config_static_selectorELNS0_4arch9wavefront6targetE0EEEvS13_
; %bb.0:
	s_clause 0x6
	s_load_b32 s5, s[0:1], 0x80
	s_load_b64 s[34:35], s[0:1], 0x10
	s_load_b64 s[2:3], s[0:1], 0x68
	s_load_b32 s8, s[0:1], 0x8
	s_load_b128 s[24:27], s[0:1], 0x58
	s_load_b64 s[40:41], s[0:1], 0xa8
	s_load_b256 s[16:23], s[0:1], 0x88
	s_mul_i32 s33, s15, 0xd00
	s_waitcnt lgkmcnt(0)
	s_mul_i32 s4, s5, 0xd00
	s_add_i32 s5, s5, -1
	s_add_u32 s6, s34, s4
	s_addc_u32 s7, s35, 0
	s_load_b128 s[28:31], s[26:27], 0x0
	s_cmp_eq_u32 s15, s5
	v_cmp_lt_u64_e64 s3, s[6:7], s[2:3]
	s_cselect_b32 s14, -1, 0
	s_cmp_lg_u32 s15, s5
	s_cselect_b32 s5, -1, 0
	s_add_i32 s6, s8, s33
	s_delay_alu instid0(VALU_DEP_1) | instskip(SKIP_4) | instid1(VALU_DEP_1)
	s_or_b32 s3, s5, s3
	s_add_i32 s6, s6, s34
	s_and_b32 vcc_lo, exec_lo, s3
	v_add_nc_u32_e32 v1, s6, v0
	s_mov_b32 s5, -1
	v_add_nc_u32_e32 v2, 0x100, v1
	v_add_nc_u32_e32 v3, 0x200, v1
	;; [unrolled: 1-line block ×12, first 2 shown]
	s_cbranch_vccz .LBB1697_2
; %bb.1:
	v_lshlrev_b32_e32 v14, 2, v0
	s_mov_b32 s5, 0
	ds_store_2addr_stride64_b32 v14, v1, v2 offset1:4
	ds_store_2addr_stride64_b32 v14, v3, v4 offset0:8 offset1:12
	ds_store_2addr_stride64_b32 v14, v5, v6 offset0:16 offset1:20
	;; [unrolled: 1-line block ×5, first 2 shown]
	ds_store_b32 v14, v13 offset:12288
	s_waitcnt lgkmcnt(0)
	s_barrier
.LBB1697_2:
	s_and_not1_b32 vcc_lo, exec_lo, s5
	s_add_i32 s4, s4, s34
	s_cbranch_vccnz .LBB1697_4
; %bb.3:
	v_lshlrev_b32_e32 v14, 2, v0
	ds_store_2addr_stride64_b32 v14, v1, v2 offset1:4
	ds_store_2addr_stride64_b32 v14, v3, v4 offset0:8 offset1:12
	ds_store_2addr_stride64_b32 v14, v5, v6 offset0:16 offset1:20
	;; [unrolled: 1-line block ×5, first 2 shown]
	ds_store_b32 v14, v13 offset:12288
	s_waitcnt lgkmcnt(0)
	s_barrier
.LBB1697_4:
	v_mul_u32_u24_e32 v28, 13, v0
	s_clause 0x1
	s_load_b128 s[36:39], s[0:1], 0x28
	s_load_b64 s[26:27], s[0:1], 0x38
	s_waitcnt lgkmcnt(0)
	buffer_gl0_inv
	v_cndmask_b32_e64 v26, 0, 1, s3
	s_sub_i32 s44, s2, s4
	v_lshlrev_b32_e32 v1, 2, v28
	s_and_not1_b32 vcc_lo, exec_lo, s3
	ds_load_2addr_b32 v[16:17], v1 offset1:1
	ds_load_2addr_b32 v[14:15], v1 offset0:2 offset1:3
	ds_load_2addr_b32 v[12:13], v1 offset0:4 offset1:5
	;; [unrolled: 1-line block ×5, first 2 shown]
	ds_load_b32 v27, v1 offset:48
	s_waitcnt lgkmcnt(0)
	s_barrier
	buffer_gl0_inv
	s_cbranch_vccnz .LBB1697_32
; %bb.5:
	v_add_nc_u32_e32 v1, s17, v16
	v_add_nc_u32_e32 v2, s19, v16
	s_mov_b32 s46, 0
	s_mov_b32 s45, 0
	s_mov_b32 s3, exec_lo
	v_mul_lo_u32 v1, v1, s16
	v_mul_lo_u32 v2, v2, s18
	s_delay_alu instid0(VALU_DEP_1) | instskip(NEXT) | instid1(VALU_DEP_1)
	v_sub_nc_u32_e32 v1, v1, v2
	v_cmp_lt_u32_e32 vcc_lo, s20, v1
	v_cmpx_ge_u32_e64 s20, v1
; %bb.6:
	v_add_nc_u32_e32 v1, s22, v16
	v_add_nc_u32_e32 v2, s40, v16
	s_delay_alu instid0(VALU_DEP_2) | instskip(NEXT) | instid1(VALU_DEP_2)
	v_mul_lo_u32 v1, v1, s21
	v_mul_lo_u32 v2, v2, s23
	s_delay_alu instid0(VALU_DEP_1) | instskip(NEXT) | instid1(VALU_DEP_1)
	v_sub_nc_u32_e32 v1, v1, v2
	v_cmp_lt_u32_e64 s2, s41, v1
	s_delay_alu instid0(VALU_DEP_1)
	s_and_b32 s45, s2, exec_lo
; %bb.7:
	s_or_b32 exec_lo, exec_lo, s3
	v_add_nc_u32_e32 v1, s17, v17
	v_add_nc_u32_e32 v2, s19, v17
	s_mov_b32 s4, exec_lo
	s_delay_alu instid0(VALU_DEP_2) | instskip(NEXT) | instid1(VALU_DEP_2)
	v_mul_lo_u32 v1, v1, s16
	v_mul_lo_u32 v2, v2, s18
	s_delay_alu instid0(VALU_DEP_1) | instskip(NEXT) | instid1(VALU_DEP_1)
	v_sub_nc_u32_e32 v1, v1, v2
	v_cmp_lt_u32_e64 s2, s20, v1
	v_cmpx_ge_u32_e64 s20, v1
; %bb.8:
	v_add_nc_u32_e32 v1, s22, v17
	v_add_nc_u32_e32 v2, s40, v17
	s_delay_alu instid0(VALU_DEP_2) | instskip(NEXT) | instid1(VALU_DEP_2)
	v_mul_lo_u32 v1, v1, s21
	v_mul_lo_u32 v2, v2, s23
	s_delay_alu instid0(VALU_DEP_1) | instskip(NEXT) | instid1(VALU_DEP_1)
	v_sub_nc_u32_e32 v1, v1, v2
	v_cmp_lt_u32_e64 s3, s41, v1
	s_delay_alu instid0(VALU_DEP_1)
	s_and_b32 s46, s3, exec_lo
; %bb.9:
	s_or_b32 exec_lo, exec_lo, s4
	v_add_nc_u32_e32 v1, s17, v14
	v_add_nc_u32_e32 v2, s19, v14
	s_mov_b32 s48, 0
	s_mov_b32 s47, 0
	s_mov_b32 s5, exec_lo
	v_mul_lo_u32 v1, v1, s16
	v_mul_lo_u32 v2, v2, s18
	s_delay_alu instid0(VALU_DEP_1) | instskip(NEXT) | instid1(VALU_DEP_1)
	v_sub_nc_u32_e32 v1, v1, v2
	v_cmp_lt_u32_e64 s3, s20, v1
	v_cmpx_ge_u32_e64 s20, v1
; %bb.10:
	v_add_nc_u32_e32 v1, s22, v14
	v_add_nc_u32_e32 v2, s40, v14
	s_delay_alu instid0(VALU_DEP_2) | instskip(NEXT) | instid1(VALU_DEP_2)
	v_mul_lo_u32 v1, v1, s21
	v_mul_lo_u32 v2, v2, s23
	s_delay_alu instid0(VALU_DEP_1) | instskip(NEXT) | instid1(VALU_DEP_1)
	v_sub_nc_u32_e32 v1, v1, v2
	v_cmp_lt_u32_e64 s4, s41, v1
	s_delay_alu instid0(VALU_DEP_1)
	s_and_b32 s47, s4, exec_lo
; %bb.11:
	s_or_b32 exec_lo, exec_lo, s5
	v_add_nc_u32_e32 v1, s17, v15
	v_add_nc_u32_e32 v2, s19, v15
	s_mov_b32 s6, exec_lo
	s_delay_alu instid0(VALU_DEP_2) | instskip(NEXT) | instid1(VALU_DEP_2)
	v_mul_lo_u32 v1, v1, s16
	v_mul_lo_u32 v2, v2, s18
	s_delay_alu instid0(VALU_DEP_1) | instskip(NEXT) | instid1(VALU_DEP_1)
	v_sub_nc_u32_e32 v1, v1, v2
	v_cmp_lt_u32_e64 s4, s20, v1
	v_cmpx_ge_u32_e64 s20, v1
; %bb.12:
	v_add_nc_u32_e32 v1, s22, v15
	v_add_nc_u32_e32 v2, s40, v15
	s_delay_alu instid0(VALU_DEP_2) | instskip(NEXT) | instid1(VALU_DEP_2)
	v_mul_lo_u32 v1, v1, s21
	v_mul_lo_u32 v2, v2, s23
	s_delay_alu instid0(VALU_DEP_1) | instskip(NEXT) | instid1(VALU_DEP_1)
	v_sub_nc_u32_e32 v1, v1, v2
	v_cmp_lt_u32_e64 s5, s41, v1
	s_delay_alu instid0(VALU_DEP_1)
	s_and_b32 s48, s5, exec_lo
; %bb.13:
	s_or_b32 exec_lo, exec_lo, s6
	v_add_nc_u32_e32 v1, s17, v12
	v_add_nc_u32_e32 v2, s19, v12
	s_mov_b32 s50, 0
	s_mov_b32 s49, 0
	s_mov_b32 s7, exec_lo
	v_mul_lo_u32 v1, v1, s16
	v_mul_lo_u32 v2, v2, s18
	s_delay_alu instid0(VALU_DEP_1) | instskip(NEXT) | instid1(VALU_DEP_1)
	v_sub_nc_u32_e32 v1, v1, v2
	v_cmp_lt_u32_e64 s5, s20, v1
	;; [unrolled: 47-line block ×5, first 2 shown]
	v_cmpx_ge_u32_e64 s20, v1
; %bb.26:
	v_add_nc_u32_e32 v1, s22, v6
	v_add_nc_u32_e32 v2, s40, v6
	s_delay_alu instid0(VALU_DEP_2) | instskip(NEXT) | instid1(VALU_DEP_2)
	v_mul_lo_u32 v1, v1, s21
	v_mul_lo_u32 v2, v2, s23
	s_delay_alu instid0(VALU_DEP_1) | instskip(NEXT) | instid1(VALU_DEP_1)
	v_sub_nc_u32_e32 v1, v1, v2
	v_cmp_lt_u32_e64 s12, s41, v1
	s_delay_alu instid0(VALU_DEP_1)
	s_and_b32 s57, s12, exec_lo
; %bb.27:
	s_or_b32 exec_lo, exec_lo, s13
	v_add_nc_u32_e32 v1, s17, v7
	v_add_nc_u32_e32 v2, s19, v7
	s_mov_b32 s42, exec_lo
	s_delay_alu instid0(VALU_DEP_2) | instskip(NEXT) | instid1(VALU_DEP_2)
	v_mul_lo_u32 v1, v1, s16
	v_mul_lo_u32 v2, v2, s18
	s_delay_alu instid0(VALU_DEP_1) | instskip(NEXT) | instid1(VALU_DEP_1)
	v_sub_nc_u32_e32 v1, v1, v2
	v_cmp_lt_u32_e64 s12, s20, v1
	v_cmpx_ge_u32_e64 s20, v1
; %bb.28:
	v_add_nc_u32_e32 v1, s22, v7
	v_add_nc_u32_e32 v2, s40, v7
	s_delay_alu instid0(VALU_DEP_2) | instskip(NEXT) | instid1(VALU_DEP_2)
	v_mul_lo_u32 v1, v1, s21
	v_mul_lo_u32 v2, v2, s23
	s_delay_alu instid0(VALU_DEP_1) | instskip(NEXT) | instid1(VALU_DEP_1)
	v_sub_nc_u32_e32 v1, v1, v2
	v_cmp_lt_u32_e64 s13, s41, v1
	s_delay_alu instid0(VALU_DEP_1)
	s_and_b32 s56, s13, exec_lo
; %bb.29:
	s_or_b32 exec_lo, exec_lo, s42
	v_add_nc_u32_e32 v1, s17, v27
	v_add_nc_u32_e32 v2, s19, v27
	s_mov_b32 s42, -1
	s_mov_b32 s53, 0
	s_mov_b32 s43, 0
	v_mul_lo_u32 v1, v1, s16
	v_mul_lo_u32 v2, v2, s18
	s_mov_b32 s58, exec_lo
	s_delay_alu instid0(VALU_DEP_1) | instskip(NEXT) | instid1(VALU_DEP_1)
	v_sub_nc_u32_e32 v1, v1, v2
	v_cmpx_ge_u32_e64 s20, v1
; %bb.30:
	v_add_nc_u32_e32 v1, s22, v27
	v_add_nc_u32_e32 v2, s40, v27
	s_xor_b32 s42, exec_lo, -1
	s_delay_alu instid0(VALU_DEP_2) | instskip(NEXT) | instid1(VALU_DEP_2)
	v_mul_lo_u32 v1, v1, s21
	v_mul_lo_u32 v2, v2, s23
	s_delay_alu instid0(VALU_DEP_1) | instskip(NEXT) | instid1(VALU_DEP_1)
	v_sub_nc_u32_e32 v1, v1, v2
	v_cmp_lt_u32_e64 s13, s41, v1
	s_delay_alu instid0(VALU_DEP_1)
	s_and_b32 s43, s13, exec_lo
; %bb.31:
	s_or_b32 exec_lo, exec_lo, s58
	v_cndmask_b32_e64 v48, 0, 1, s57
	v_cndmask_b32_e64 v51, 0, 1, s12
	;; [unrolled: 1-line block ×22, first 2 shown]
	v_cndmask_b32_e64 v29, 0, 1, vcc_lo
	v_cndmask_b32_e64 v52, 0, 1, s56
	s_load_b64 s[4:5], s[0:1], 0x78
	s_and_b32 vcc_lo, exec_lo, s53
	s_add_i32 s3, s44, 0xd00
	s_cbranch_vccnz .LBB1697_33
	s_branch .LBB1697_86
.LBB1697_32:
                                        ; implicit-def: $sgpr42
                                        ; implicit-def: $sgpr43
                                        ; implicit-def: $vgpr52
                                        ; implicit-def: $vgpr48
                                        ; implicit-def: $vgpr47
                                        ; implicit-def: $vgpr45
                                        ; implicit-def: $vgpr43
                                        ; implicit-def: $vgpr40
                                        ; implicit-def: $vgpr39
                                        ; implicit-def: $vgpr37
                                        ; implicit-def: $vgpr35
                                        ; implicit-def: $vgpr29
                                        ; implicit-def: $vgpr33
                                        ; implicit-def: $vgpr31
                                        ; implicit-def: $vgpr32
                                        ; implicit-def: $vgpr38
                                        ; implicit-def: $vgpr41
                                        ; implicit-def: $vgpr42
                                        ; implicit-def: $vgpr44
                                        ; implicit-def: $vgpr46
                                        ; implicit-def: $vgpr49
                                        ; implicit-def: $vgpr50
                                        ; implicit-def: $vgpr51
                                        ; implicit-def: $vgpr30
                                        ; implicit-def: $vgpr34
                                        ; implicit-def: $vgpr36
	s_load_b64 s[4:5], s[0:1], 0x78
	s_add_i32 s3, s44, 0xd00
	s_cbranch_execz .LBB1697_86
.LBB1697_33:
	v_dual_mov_b32 v30, 0 :: v_dual_mov_b32 v29, 0
	s_mov_b32 s2, 0
	s_mov_b32 s1, exec_lo
	v_cmpx_gt_u32_e64 s3, v28
	s_cbranch_execz .LBB1697_37
; %bb.34:
	v_add_nc_u32_e32 v1, s17, v16
	v_add_nc_u32_e32 v2, s19, v16
	s_mov_b32 s6, exec_lo
	s_delay_alu instid0(VALU_DEP_2) | instskip(NEXT) | instid1(VALU_DEP_2)
	v_mul_lo_u32 v1, v1, s16
	v_mul_lo_u32 v2, v2, s18
	s_delay_alu instid0(VALU_DEP_1) | instskip(NEXT) | instid1(VALU_DEP_1)
	v_sub_nc_u32_e32 v1, v1, v2
	v_cmp_lt_u32_e32 vcc_lo, s20, v1
	v_cmpx_ge_u32_e64 s20, v1
; %bb.35:
	v_add_nc_u32_e32 v1, s22, v16
	v_add_nc_u32_e32 v2, s40, v16
	s_delay_alu instid0(VALU_DEP_2) | instskip(NEXT) | instid1(VALU_DEP_2)
	v_mul_lo_u32 v1, v1, s21
	v_mul_lo_u32 v2, v2, s23
	s_delay_alu instid0(VALU_DEP_1) | instskip(NEXT) | instid1(VALU_DEP_1)
	v_sub_nc_u32_e32 v1, v1, v2
	v_cmp_lt_u32_e64 s0, s41, v1
	s_delay_alu instid0(VALU_DEP_1)
	s_and_b32 s2, s0, exec_lo
; %bb.36:
	s_or_b32 exec_lo, exec_lo, s6
	v_cndmask_b32_e64 v29, 0, 1, vcc_lo
	v_cndmask_b32_e64 v30, 0, 1, s2
.LBB1697_37:
	s_or_b32 exec_lo, exec_lo, s1
	v_dual_mov_b32 v34, 0 :: v_dual_add_nc_u32 v1, 1, v28
	v_mov_b32_e32 v33, 0
	s_mov_b32 s2, 0
	s_mov_b32 s1, exec_lo
	s_delay_alu instid0(VALU_DEP_2)
	v_cmpx_gt_u32_e64 s3, v1
	s_cbranch_execz .LBB1697_41
; %bb.38:
	v_add_nc_u32_e32 v1, s17, v17
	v_add_nc_u32_e32 v2, s19, v17
	s_mov_b32 s6, exec_lo
	s_delay_alu instid0(VALU_DEP_2) | instskip(NEXT) | instid1(VALU_DEP_2)
	v_mul_lo_u32 v1, v1, s16
	v_mul_lo_u32 v2, v2, s18
	s_delay_alu instid0(VALU_DEP_1) | instskip(NEXT) | instid1(VALU_DEP_1)
	v_sub_nc_u32_e32 v1, v1, v2
	v_cmp_lt_u32_e32 vcc_lo, s20, v1
	v_cmpx_ge_u32_e64 s20, v1
; %bb.39:
	v_add_nc_u32_e32 v1, s22, v17
	v_add_nc_u32_e32 v2, s40, v17
	s_delay_alu instid0(VALU_DEP_2) | instskip(NEXT) | instid1(VALU_DEP_2)
	v_mul_lo_u32 v1, v1, s21
	v_mul_lo_u32 v2, v2, s23
	s_delay_alu instid0(VALU_DEP_1) | instskip(NEXT) | instid1(VALU_DEP_1)
	v_sub_nc_u32_e32 v1, v1, v2
	v_cmp_lt_u32_e64 s0, s41, v1
	s_delay_alu instid0(VALU_DEP_1)
	s_and_b32 s2, s0, exec_lo
; %bb.40:
	s_or_b32 exec_lo, exec_lo, s6
	v_cndmask_b32_e64 v33, 0, 1, vcc_lo
	v_cndmask_b32_e64 v34, 0, 1, s2
.LBB1697_41:
	s_or_b32 exec_lo, exec_lo, s1
	v_dual_mov_b32 v36, 0 :: v_dual_add_nc_u32 v1, 2, v28
	v_mov_b32_e32 v31, 0
	s_mov_b32 s2, 0
	s_mov_b32 s1, exec_lo
	s_delay_alu instid0(VALU_DEP_2)
	v_cmpx_gt_u32_e64 s3, v1
	s_cbranch_execz .LBB1697_45
; %bb.42:
	v_add_nc_u32_e32 v1, s17, v14
	v_add_nc_u32_e32 v2, s19, v14
	s_mov_b32 s6, exec_lo
	s_delay_alu instid0(VALU_DEP_2) | instskip(NEXT) | instid1(VALU_DEP_2)
	v_mul_lo_u32 v1, v1, s16
	v_mul_lo_u32 v2, v2, s18
	s_delay_alu instid0(VALU_DEP_1) | instskip(NEXT) | instid1(VALU_DEP_1)
	v_sub_nc_u32_e32 v1, v1, v2
	v_cmp_lt_u32_e32 vcc_lo, s20, v1
	v_cmpx_ge_u32_e64 s20, v1
; %bb.43:
	v_add_nc_u32_e32 v1, s22, v14
	v_add_nc_u32_e32 v2, s40, v14
	s_delay_alu instid0(VALU_DEP_2) | instskip(NEXT) | instid1(VALU_DEP_2)
	v_mul_lo_u32 v1, v1, s21
	v_mul_lo_u32 v2, v2, s23
	s_delay_alu instid0(VALU_DEP_1) | instskip(NEXT) | instid1(VALU_DEP_1)
	v_sub_nc_u32_e32 v1, v1, v2
	v_cmp_lt_u32_e64 s0, s41, v1
	s_delay_alu instid0(VALU_DEP_1)
	s_and_b32 s2, s0, exec_lo
; %bb.44:
	s_or_b32 exec_lo, exec_lo, s6
	v_cndmask_b32_e64 v31, 0, 1, vcc_lo
	v_cndmask_b32_e64 v36, 0, 1, s2
.LBB1697_45:
	s_or_b32 exec_lo, exec_lo, s1
	v_dual_mov_b32 v32, 0 :: v_dual_add_nc_u32 v1, 3, v28
	v_mov_b32_e32 v35, 0
	s_mov_b32 s2, 0
	s_mov_b32 s1, exec_lo
	s_delay_alu instid0(VALU_DEP_2)
	v_cmpx_gt_u32_e64 s3, v1
	s_cbranch_execz .LBB1697_49
; %bb.46:
	v_add_nc_u32_e32 v1, s17, v15
	v_add_nc_u32_e32 v2, s19, v15
	s_mov_b32 s6, exec_lo
	s_delay_alu instid0(VALU_DEP_2) | instskip(NEXT) | instid1(VALU_DEP_2)
	v_mul_lo_u32 v1, v1, s16
	v_mul_lo_u32 v2, v2, s18
	s_delay_alu instid0(VALU_DEP_1) | instskip(NEXT) | instid1(VALU_DEP_1)
	v_sub_nc_u32_e32 v1, v1, v2
	v_cmp_lt_u32_e32 vcc_lo, s20, v1
	v_cmpx_ge_u32_e64 s20, v1
; %bb.47:
	v_add_nc_u32_e32 v1, s22, v15
	v_add_nc_u32_e32 v2, s40, v15
	s_delay_alu instid0(VALU_DEP_2) | instskip(NEXT) | instid1(VALU_DEP_2)
	v_mul_lo_u32 v1, v1, s21
	v_mul_lo_u32 v2, v2, s23
	s_delay_alu instid0(VALU_DEP_1) | instskip(NEXT) | instid1(VALU_DEP_1)
	v_sub_nc_u32_e32 v1, v1, v2
	v_cmp_lt_u32_e64 s0, s41, v1
	s_delay_alu instid0(VALU_DEP_1)
	s_and_b32 s2, s0, exec_lo
; %bb.48:
	s_or_b32 exec_lo, exec_lo, s6
	v_cndmask_b32_e64 v32, 0, 1, vcc_lo
	v_cndmask_b32_e64 v35, 0, 1, s2
.LBB1697_49:
	s_or_b32 exec_lo, exec_lo, s1
	v_dual_mov_b32 v38, 0 :: v_dual_add_nc_u32 v1, 4, v28
	v_mov_b32_e32 v37, 0
	s_mov_b32 s2, 0
	s_mov_b32 s1, exec_lo
	s_delay_alu instid0(VALU_DEP_2)
	v_cmpx_gt_u32_e64 s3, v1
	s_cbranch_execz .LBB1697_53
; %bb.50:
	v_add_nc_u32_e32 v1, s17, v12
	v_add_nc_u32_e32 v2, s19, v12
	s_mov_b32 s6, exec_lo
	s_delay_alu instid0(VALU_DEP_2) | instskip(NEXT) | instid1(VALU_DEP_2)
	v_mul_lo_u32 v1, v1, s16
	v_mul_lo_u32 v2, v2, s18
	s_delay_alu instid0(VALU_DEP_1) | instskip(NEXT) | instid1(VALU_DEP_1)
	v_sub_nc_u32_e32 v1, v1, v2
	v_cmp_lt_u32_e32 vcc_lo, s20, v1
	v_cmpx_ge_u32_e64 s20, v1
; %bb.51:
	v_add_nc_u32_e32 v1, s22, v12
	v_add_nc_u32_e32 v2, s40, v12
	s_delay_alu instid0(VALU_DEP_2) | instskip(NEXT) | instid1(VALU_DEP_2)
	v_mul_lo_u32 v1, v1, s21
	v_mul_lo_u32 v2, v2, s23
	s_delay_alu instid0(VALU_DEP_1) | instskip(NEXT) | instid1(VALU_DEP_1)
	v_sub_nc_u32_e32 v1, v1, v2
	v_cmp_lt_u32_e64 s0, s41, v1
	s_delay_alu instid0(VALU_DEP_1)
	s_and_b32 s2, s0, exec_lo
; %bb.52:
	s_or_b32 exec_lo, exec_lo, s6
	v_cndmask_b32_e64 v38, 0, 1, vcc_lo
	v_cndmask_b32_e64 v37, 0, 1, s2
.LBB1697_53:
	s_or_b32 exec_lo, exec_lo, s1
	v_add_nc_u32_e32 v1, 5, v28
	v_mov_b32_e32 v39, 0
	v_mov_b32_e32 v41, 0
	s_mov_b32 s2, 0
	s_mov_b32 s1, exec_lo
	v_cmpx_gt_u32_e64 s3, v1
	s_cbranch_execz .LBB1697_57
; %bb.54:
	v_add_nc_u32_e32 v1, s17, v13
	v_add_nc_u32_e32 v2, s19, v13
	s_mov_b32 s6, exec_lo
	s_delay_alu instid0(VALU_DEP_2) | instskip(NEXT) | instid1(VALU_DEP_2)
	v_mul_lo_u32 v1, v1, s16
	v_mul_lo_u32 v2, v2, s18
	s_delay_alu instid0(VALU_DEP_1) | instskip(NEXT) | instid1(VALU_DEP_1)
	v_sub_nc_u32_e32 v1, v1, v2
	v_cmp_lt_u32_e32 vcc_lo, s20, v1
	v_cmpx_ge_u32_e64 s20, v1
; %bb.55:
	v_add_nc_u32_e32 v1, s22, v13
	v_add_nc_u32_e32 v2, s40, v13
	s_delay_alu instid0(VALU_DEP_2) | instskip(NEXT) | instid1(VALU_DEP_2)
	v_mul_lo_u32 v1, v1, s21
	v_mul_lo_u32 v2, v2, s23
	s_delay_alu instid0(VALU_DEP_1) | instskip(NEXT) | instid1(VALU_DEP_1)
	v_sub_nc_u32_e32 v1, v1, v2
	v_cmp_lt_u32_e64 s0, s41, v1
	s_delay_alu instid0(VALU_DEP_1)
	s_and_b32 s2, s0, exec_lo
; %bb.56:
	s_or_b32 exec_lo, exec_lo, s6
	v_cndmask_b32_e64 v41, 0, 1, vcc_lo
	v_cndmask_b32_e64 v39, 0, 1, s2
.LBB1697_57:
	s_or_b32 exec_lo, exec_lo, s1
	v_dual_mov_b32 v40, 0 :: v_dual_add_nc_u32 v1, 6, v28
	v_mov_b32_e32 v42, 0
	s_mov_b32 s2, 0
	s_mov_b32 s1, exec_lo
	s_delay_alu instid0(VALU_DEP_2)
	v_cmpx_gt_u32_e64 s3, v1
	s_cbranch_execz .LBB1697_61
; %bb.58:
	v_add_nc_u32_e32 v1, s17, v10
	v_add_nc_u32_e32 v2, s19, v10
	s_mov_b32 s6, exec_lo
	s_delay_alu instid0(VALU_DEP_2) | instskip(NEXT) | instid1(VALU_DEP_2)
	v_mul_lo_u32 v1, v1, s16
	v_mul_lo_u32 v2, v2, s18
	s_delay_alu instid0(VALU_DEP_1) | instskip(NEXT) | instid1(VALU_DEP_1)
	v_sub_nc_u32_e32 v1, v1, v2
	v_cmp_lt_u32_e32 vcc_lo, s20, v1
	v_cmpx_ge_u32_e64 s20, v1
; %bb.59:
	v_add_nc_u32_e32 v1, s22, v10
	v_add_nc_u32_e32 v2, s40, v10
	s_delay_alu instid0(VALU_DEP_2) | instskip(NEXT) | instid1(VALU_DEP_2)
	v_mul_lo_u32 v1, v1, s21
	v_mul_lo_u32 v2, v2, s23
	s_delay_alu instid0(VALU_DEP_1) | instskip(NEXT) | instid1(VALU_DEP_1)
	v_sub_nc_u32_e32 v1, v1, v2
	v_cmp_lt_u32_e64 s0, s41, v1
	s_delay_alu instid0(VALU_DEP_1)
	s_and_b32 s2, s0, exec_lo
; %bb.60:
	s_or_b32 exec_lo, exec_lo, s6
	v_cndmask_b32_e64 v42, 0, 1, vcc_lo
	v_cndmask_b32_e64 v40, 0, 1, s2
.LBB1697_61:
	s_or_b32 exec_lo, exec_lo, s1
	v_dual_mov_b32 v44, 0 :: v_dual_add_nc_u32 v1, 7, v28
	v_mov_b32_e32 v43, 0
	s_mov_b32 s2, 0
	s_mov_b32 s1, exec_lo
	s_delay_alu instid0(VALU_DEP_2)
	;; [unrolled: 35-line block ×3, first 2 shown]
	v_cmpx_gt_u32_e64 s3, v1
	s_cbranch_execz .LBB1697_69
; %bb.66:
	v_add_nc_u32_e32 v1, s17, v8
	v_add_nc_u32_e32 v2, s19, v8
	s_mov_b32 s6, exec_lo
	s_delay_alu instid0(VALU_DEP_2) | instskip(NEXT) | instid1(VALU_DEP_2)
	v_mul_lo_u32 v1, v1, s16
	v_mul_lo_u32 v2, v2, s18
	s_delay_alu instid0(VALU_DEP_1) | instskip(NEXT) | instid1(VALU_DEP_1)
	v_sub_nc_u32_e32 v1, v1, v2
	v_cmp_lt_u32_e32 vcc_lo, s20, v1
	v_cmpx_ge_u32_e64 s20, v1
; %bb.67:
	v_add_nc_u32_e32 v1, s22, v8
	v_add_nc_u32_e32 v2, s40, v8
	s_delay_alu instid0(VALU_DEP_2) | instskip(NEXT) | instid1(VALU_DEP_2)
	v_mul_lo_u32 v1, v1, s21
	v_mul_lo_u32 v2, v2, s23
	s_delay_alu instid0(VALU_DEP_1) | instskip(NEXT) | instid1(VALU_DEP_1)
	v_sub_nc_u32_e32 v1, v1, v2
	v_cmp_lt_u32_e64 s0, s41, v1
	s_delay_alu instid0(VALU_DEP_1)
	s_and_b32 s2, s0, exec_lo
; %bb.68:
	s_or_b32 exec_lo, exec_lo, s6
	v_cndmask_b32_e64 v46, 0, 1, vcc_lo
	v_cndmask_b32_e64 v45, 0, 1, s2
.LBB1697_69:
	s_or_b32 exec_lo, exec_lo, s1
	v_add_nc_u32_e32 v1, 9, v28
	v_mov_b32_e32 v47, 0
	v_mov_b32_e32 v49, 0
	s_mov_b32 s2, 0
	s_mov_b32 s1, exec_lo
	v_cmpx_gt_u32_e64 s3, v1
	s_cbranch_execz .LBB1697_73
; %bb.70:
	v_add_nc_u32_e32 v1, s17, v9
	v_add_nc_u32_e32 v2, s19, v9
	s_mov_b32 s6, exec_lo
	s_delay_alu instid0(VALU_DEP_2) | instskip(NEXT) | instid1(VALU_DEP_2)
	v_mul_lo_u32 v1, v1, s16
	v_mul_lo_u32 v2, v2, s18
	s_delay_alu instid0(VALU_DEP_1) | instskip(NEXT) | instid1(VALU_DEP_1)
	v_sub_nc_u32_e32 v1, v1, v2
	v_cmp_lt_u32_e32 vcc_lo, s20, v1
	v_cmpx_ge_u32_e64 s20, v1
; %bb.71:
	v_add_nc_u32_e32 v1, s22, v9
	v_add_nc_u32_e32 v2, s40, v9
	s_delay_alu instid0(VALU_DEP_2) | instskip(NEXT) | instid1(VALU_DEP_2)
	v_mul_lo_u32 v1, v1, s21
	v_mul_lo_u32 v2, v2, s23
	s_delay_alu instid0(VALU_DEP_1) | instskip(NEXT) | instid1(VALU_DEP_1)
	v_sub_nc_u32_e32 v1, v1, v2
	v_cmp_lt_u32_e64 s0, s41, v1
	s_delay_alu instid0(VALU_DEP_1)
	s_and_b32 s2, s0, exec_lo
; %bb.72:
	s_or_b32 exec_lo, exec_lo, s6
	v_cndmask_b32_e64 v49, 0, 1, vcc_lo
	v_cndmask_b32_e64 v47, 0, 1, s2
.LBB1697_73:
	s_or_b32 exec_lo, exec_lo, s1
	v_dual_mov_b32 v48, 0 :: v_dual_add_nc_u32 v1, 10, v28
	v_mov_b32_e32 v50, 0
	s_mov_b32 s2, 0
	s_mov_b32 s1, exec_lo
	s_delay_alu instid0(VALU_DEP_2)
	v_cmpx_gt_u32_e64 s3, v1
	s_cbranch_execz .LBB1697_77
; %bb.74:
	v_add_nc_u32_e32 v1, s17, v6
	v_add_nc_u32_e32 v2, s19, v6
	s_mov_b32 s6, exec_lo
	s_delay_alu instid0(VALU_DEP_2) | instskip(NEXT) | instid1(VALU_DEP_2)
	v_mul_lo_u32 v1, v1, s16
	v_mul_lo_u32 v2, v2, s18
	s_delay_alu instid0(VALU_DEP_1) | instskip(NEXT) | instid1(VALU_DEP_1)
	v_sub_nc_u32_e32 v1, v1, v2
	v_cmp_lt_u32_e32 vcc_lo, s20, v1
	v_cmpx_ge_u32_e64 s20, v1
; %bb.75:
	v_add_nc_u32_e32 v1, s22, v6
	v_add_nc_u32_e32 v2, s40, v6
	s_delay_alu instid0(VALU_DEP_2) | instskip(NEXT) | instid1(VALU_DEP_2)
	v_mul_lo_u32 v1, v1, s21
	v_mul_lo_u32 v2, v2, s23
	s_delay_alu instid0(VALU_DEP_1) | instskip(NEXT) | instid1(VALU_DEP_1)
	v_sub_nc_u32_e32 v1, v1, v2
	v_cmp_lt_u32_e64 s0, s41, v1
	s_delay_alu instid0(VALU_DEP_1)
	s_and_b32 s2, s0, exec_lo
; %bb.76:
	s_or_b32 exec_lo, exec_lo, s6
	v_cndmask_b32_e64 v50, 0, 1, vcc_lo
	v_cndmask_b32_e64 v48, 0, 1, s2
.LBB1697_77:
	s_or_b32 exec_lo, exec_lo, s1
	v_dual_mov_b32 v52, 0 :: v_dual_add_nc_u32 v1, 11, v28
	v_mov_b32_e32 v51, 0
	s_mov_b32 s2, 0
	s_mov_b32 s1, exec_lo
	s_delay_alu instid0(VALU_DEP_2)
	v_cmpx_gt_u32_e64 s3, v1
	s_cbranch_execz .LBB1697_81
; %bb.78:
	v_add_nc_u32_e32 v1, s17, v7
	v_add_nc_u32_e32 v2, s19, v7
	s_mov_b32 s6, exec_lo
	s_delay_alu instid0(VALU_DEP_2) | instskip(NEXT) | instid1(VALU_DEP_2)
	v_mul_lo_u32 v1, v1, s16
	v_mul_lo_u32 v2, v2, s18
	s_delay_alu instid0(VALU_DEP_1) | instskip(NEXT) | instid1(VALU_DEP_1)
	v_sub_nc_u32_e32 v1, v1, v2
	v_cmp_lt_u32_e32 vcc_lo, s20, v1
	v_cmpx_ge_u32_e64 s20, v1
; %bb.79:
	v_add_nc_u32_e32 v1, s22, v7
	v_add_nc_u32_e32 v2, s40, v7
	s_delay_alu instid0(VALU_DEP_2) | instskip(NEXT) | instid1(VALU_DEP_2)
	v_mul_lo_u32 v1, v1, s21
	v_mul_lo_u32 v2, v2, s23
	s_delay_alu instid0(VALU_DEP_1) | instskip(NEXT) | instid1(VALU_DEP_1)
	v_sub_nc_u32_e32 v1, v1, v2
	v_cmp_lt_u32_e64 s0, s41, v1
	s_delay_alu instid0(VALU_DEP_1)
	s_and_b32 s2, s0, exec_lo
; %bb.80:
	s_or_b32 exec_lo, exec_lo, s6
	v_cndmask_b32_e64 v51, 0, 1, vcc_lo
	v_cndmask_b32_e64 v52, 0, 1, s2
.LBB1697_81:
	s_or_b32 exec_lo, exec_lo, s1
	v_add_nc_u32_e32 v1, 12, v28
	s_mov_b32 s42, 0
	s_mov_b32 s43, 0
	s_mov_b32 s0, exec_lo
	s_delay_alu instid0(VALU_DEP_1)
	v_cmpx_gt_u32_e64 s3, v1
	s_cbranch_execz .LBB1697_85
; %bb.82:
	v_add_nc_u32_e32 v1, s17, v27
	v_add_nc_u32_e32 v2, s19, v27
	s_mov_b32 s2, -1
	s_mov_b32 s6, 0
	s_mov_b32 s1, exec_lo
	v_mul_lo_u32 v1, v1, s16
	v_mul_lo_u32 v2, v2, s18
	s_delay_alu instid0(VALU_DEP_1) | instskip(NEXT) | instid1(VALU_DEP_1)
	v_sub_nc_u32_e32 v1, v1, v2
	v_cmpx_ge_u32_e64 s20, v1
; %bb.83:
	v_add_nc_u32_e32 v1, s22, v27
	v_add_nc_u32_e32 v2, s40, v27
	s_xor_b32 s2, exec_lo, -1
	s_delay_alu instid0(VALU_DEP_2) | instskip(NEXT) | instid1(VALU_DEP_2)
	v_mul_lo_u32 v1, v1, s21
	v_mul_lo_u32 v2, v2, s23
	s_delay_alu instid0(VALU_DEP_1) | instskip(NEXT) | instid1(VALU_DEP_1)
	v_sub_nc_u32_e32 v1, v1, v2
	v_cmp_lt_u32_e32 vcc_lo, s41, v1
	s_and_b32 s6, vcc_lo, exec_lo
; %bb.84:
	s_or_b32 exec_lo, exec_lo, s1
	s_delay_alu instid0(SALU_CYCLE_1)
	s_and_b32 s43, s6, exec_lo
	s_and_b32 s42, s2, exec_lo
.LBB1697_85:
	s_or_b32 exec_lo, exec_lo, s0
.LBB1697_86:
	v_and_b32_e32 v75, 0xff, v29
	v_and_b32_e32 v76, 0xff, v30
	;; [unrolled: 1-line block ×10, first 2 shown]
	v_add3_u32 v1, v71, v73, v75
	v_add3_u32 v2, v72, v74, v76
	v_and_b32_e32 v65, 0xff, v41
	v_and_b32_e32 v66, 0xff, v39
	v_and_b32_e32 v61, 0xff, v42
	v_and_b32_e32 v62, 0xff, v40
	v_add3_u32 v1, v1, v69, v67
	v_add3_u32 v2, v2, v70, v68
	v_and_b32_e32 v63, 0xff, v44
	v_and_b32_e32 v64, 0xff, v43
	v_and_b32_e32 v59, 0xff, v46
	v_and_b32_e32 v60, 0xff, v45
	;; [unrolled: 6-line block ×3, first 2 shown]
	v_add3_u32 v1, v1, v63, v59
	v_add3_u32 v2, v2, v64, v60
	v_mbcnt_lo_u32_b32 v77, -1, 0
	v_and_b32_e32 v53, 0xff, v51
	v_and_b32_e32 v54, 0xff, v52
	v_cndmask_b32_e64 v3, 0, 1, s43
	v_add3_u32 v1, v1, v57, v55
	v_cndmask_b32_e64 v4, 0, 1, s42
	v_add3_u32 v2, v2, v58, v56
	v_and_b32_e32 v81, 15, v77
	v_and_b32_e32 v80, 16, v77
	v_lshrrev_b32_e32 v78, 5, v0
	v_add3_u32 v82, v1, v53, v4
	v_add3_u32 v83, v2, v54, v3
	v_cmp_eq_u32_e64 s1, 0, v81
	v_cmp_lt_u32_e64 s0, 1, v81
	v_cmp_lt_u32_e64 s2, 3, v81
	v_cmp_lt_u32_e32 vcc_lo, 7, v81
	v_or_b32_e32 v79, 31, v0
	s_cmp_lg_u32 s15, 0
	s_mov_b32 s6, -1
	s_cbranch_scc0 .LBB1697_119
; %bb.87:
	v_mov_b32_dpp v1, v83 row_shr:1 row_mask:0xf bank_mask:0xf
	v_mov_b32_dpp v2, v82 row_shr:1 row_mask:0xf bank_mask:0xf
	s_delay_alu instid0(VALU_DEP_2) | instskip(NEXT) | instid1(VALU_DEP_1)
	v_add_nc_u32_e32 v1, v1, v83
	v_cndmask_b32_e64 v1, v1, v83, s1
	s_delay_alu instid0(VALU_DEP_1) | instskip(NEXT) | instid1(VALU_DEP_1)
	v_mov_b32_dpp v3, v1 row_shr:2 row_mask:0xf bank_mask:0xf
	v_add_nc_u32_e32 v3, v1, v3
	s_delay_alu instid0(VALU_DEP_1) | instskip(NEXT) | instid1(VALU_DEP_1)
	v_cndmask_b32_e64 v1, v1, v3, s0
	v_mov_b32_dpp v3, v1 row_shr:4 row_mask:0xf bank_mask:0xf
	s_delay_alu instid0(VALU_DEP_1) | instskip(NEXT) | instid1(VALU_DEP_1)
	v_add_nc_u32_e32 v3, v1, v3
	v_cndmask_b32_e64 v1, v1, v3, s2
	s_delay_alu instid0(VALU_DEP_1) | instskip(NEXT) | instid1(VALU_DEP_1)
	v_mov_b32_dpp v3, v1 row_shr:8 row_mask:0xf bank_mask:0xf
	v_add_nc_u32_e32 v3, v1, v3
	s_delay_alu instid0(VALU_DEP_1) | instskip(NEXT) | instid1(VALU_DEP_1)
	v_dual_cndmask_b32 v1, v1, v3 :: v_dual_add_nc_u32 v2, v2, v82
	v_cndmask_b32_e64 v2, v2, v82, s1
	s_delay_alu instid0(VALU_DEP_1) | instskip(NEXT) | instid1(VALU_DEP_1)
	v_mov_b32_dpp v4, v2 row_shr:2 row_mask:0xf bank_mask:0xf
	v_add_nc_u32_e32 v4, v2, v4
	s_delay_alu instid0(VALU_DEP_1) | instskip(NEXT) | instid1(VALU_DEP_1)
	v_cndmask_b32_e64 v2, v2, v4, s0
	v_mov_b32_dpp v4, v2 row_shr:4 row_mask:0xf bank_mask:0xf
	s_delay_alu instid0(VALU_DEP_1) | instskip(NEXT) | instid1(VALU_DEP_1)
	v_add_nc_u32_e32 v4, v2, v4
	v_cndmask_b32_e64 v2, v2, v4, s2
	s_mov_b32 s2, exec_lo
	s_delay_alu instid0(VALU_DEP_1) | instskip(NEXT) | instid1(VALU_DEP_1)
	v_mov_b32_dpp v4, v2 row_shr:8 row_mask:0xf bank_mask:0xf
	v_add_nc_u32_e32 v4, v2, v4
	s_delay_alu instid0(VALU_DEP_1)
	v_cndmask_b32_e32 v3, v2, v4, vcc_lo
	ds_swizzle_b32 v2, v1 offset:swizzle(BROADCAST,32,15)
	v_cmp_eq_u32_e32 vcc_lo, 0, v80
	s_waitcnt lgkmcnt(0)
	v_add_nc_u32_e32 v2, v1, v2
	ds_swizzle_b32 v4, v3 offset:swizzle(BROADCAST,32,15)
	v_cndmask_b32_e32 v2, v2, v1, vcc_lo
	s_waitcnt lgkmcnt(0)
	v_add_nc_u32_e32 v4, v3, v4
	s_delay_alu instid0(VALU_DEP_1)
	v_cndmask_b32_e32 v1, v4, v3, vcc_lo
	v_cmpx_eq_u32_e64 v79, v0
	s_cbranch_execz .LBB1697_89
; %bb.88:
	v_lshlrev_b32_e32 v3, 3, v78
	ds_store_b64 v3, v[1:2]
.LBB1697_89:
	s_or_b32 exec_lo, exec_lo, s2
	s_delay_alu instid0(SALU_CYCLE_1)
	s_mov_b32 s2, exec_lo
	s_waitcnt lgkmcnt(0)
	s_barrier
	buffer_gl0_inv
	v_cmpx_gt_u32_e32 8, v0
	s_cbranch_execz .LBB1697_91
; %bb.90:
	v_lshlrev_b32_e32 v5, 3, v0
	ds_load_b64 v[3:4], v5
	s_waitcnt lgkmcnt(0)
	v_mov_b32_dpp v18, v3 row_shr:1 row_mask:0xf bank_mask:0xf
	v_mov_b32_dpp v19, v4 row_shr:1 row_mask:0xf bank_mask:0xf
	s_delay_alu instid0(VALU_DEP_2) | instskip(SKIP_1) | instid1(VALU_DEP_3)
	v_add_nc_u32_e32 v18, v18, v3
	v_and_b32_e32 v20, 7, v77
	v_add_nc_u32_e32 v19, v19, v4
	s_delay_alu instid0(VALU_DEP_2) | instskip(NEXT) | instid1(VALU_DEP_2)
	v_cmp_eq_u32_e32 vcc_lo, 0, v20
	v_dual_cndmask_b32 v4, v19, v4 :: v_dual_cndmask_b32 v3, v18, v3
	v_cmp_lt_u32_e32 vcc_lo, 1, v20
	s_delay_alu instid0(VALU_DEP_2) | instskip(NEXT) | instid1(VALU_DEP_3)
	v_mov_b32_dpp v19, v4 row_shr:2 row_mask:0xf bank_mask:0xf
	v_mov_b32_dpp v18, v3 row_shr:2 row_mask:0xf bank_mask:0xf
	s_delay_alu instid0(VALU_DEP_2) | instskip(NEXT) | instid1(VALU_DEP_2)
	v_add_nc_u32_e32 v19, v4, v19
	v_add_nc_u32_e32 v18, v3, v18
	s_delay_alu instid0(VALU_DEP_1) | instskip(SKIP_1) | instid1(VALU_DEP_2)
	v_dual_cndmask_b32 v4, v4, v19 :: v_dual_cndmask_b32 v3, v3, v18
	v_cmp_lt_u32_e32 vcc_lo, 3, v20
	v_mov_b32_dpp v19, v4 row_shr:4 row_mask:0xf bank_mask:0xf
	s_delay_alu instid0(VALU_DEP_3) | instskip(NEXT) | instid1(VALU_DEP_1)
	v_mov_b32_dpp v18, v3 row_shr:4 row_mask:0xf bank_mask:0xf
	v_dual_cndmask_b32 v19, 0, v19 :: v_dual_cndmask_b32 v18, 0, v18
	s_delay_alu instid0(VALU_DEP_1) | instskip(NEXT) | instid1(VALU_DEP_2)
	v_add_nc_u32_e32 v4, v19, v4
	v_add_nc_u32_e32 v3, v18, v3
	ds_store_b64 v5, v[3:4]
.LBB1697_91:
	s_or_b32 exec_lo, exec_lo, s2
	v_cmp_gt_u32_e32 vcc_lo, 32, v0
	v_cmp_lt_u32_e64 s2, 31, v0
	s_waitcnt lgkmcnt(0)
	s_barrier
	buffer_gl0_inv
                                        ; implicit-def: $vgpr19
	s_and_saveexec_b32 s6, s2
	s_delay_alu instid0(SALU_CYCLE_1)
	s_xor_b32 s2, exec_lo, s6
	s_cbranch_execz .LBB1697_93
; %bb.92:
	v_lshl_add_u32 v3, v78, 3, -8
	ds_load_b64 v[18:19], v3
	s_waitcnt lgkmcnt(0)
	v_add_nc_u32_e32 v2, v19, v2
	v_add_nc_u32_e32 v1, v18, v1
.LBB1697_93:
	s_and_not1_saveexec_b32 s2, s2
; %bb.94:
                                        ; implicit-def: $vgpr18
; %bb.95:
	s_delay_alu instid0(SALU_CYCLE_1) | instskip(SKIP_1) | instid1(VALU_DEP_1)
	s_or_b32 exec_lo, exec_lo, s2
	v_add_nc_u32_e32 v3, -1, v77
	v_cmp_gt_i32_e64 s2, 0, v3
	s_delay_alu instid0(VALU_DEP_1) | instskip(SKIP_1) | instid1(VALU_DEP_2)
	v_cndmask_b32_e64 v3, v3, v77, s2
	v_cmp_eq_u32_e64 s2, 0, v77
	v_lshlrev_b32_e32 v3, 2, v3
	ds_bpermute_b32 v84, v3, v1
	ds_bpermute_b32 v85, v3, v2
	s_and_saveexec_b32 s6, vcc_lo
	s_cbranch_execz .LBB1697_118
; %bb.96:
	v_mov_b32_e32 v4, 0
	ds_load_b64 v[1:2], v4 offset:56
	s_waitcnt lgkmcnt(0)
	v_readfirstlane_b32 s7, v2
	s_and_saveexec_b32 s8, s2
	s_cbranch_execz .LBB1697_98
; %bb.97:
	s_add_i32 s10, s15, 32
	s_mov_b32 s11, 0
	v_mov_b32_e32 v3, 1
	s_lshl_b64 s[12:13], s[10:11], 4
	s_mov_b32 s16, s11
	s_add_u32 s12, s4, s12
	s_addc_u32 s13, s5, s13
	s_and_b32 s17, s7, 0xff000000
	s_and_b32 s19, s7, 0xff0000
	s_mov_b32 s18, s11
	v_dual_mov_b32 v21, s13 :: v_dual_mov_b32 v20, s12
	s_or_b64 s[16:17], s[18:19], s[16:17]
	s_and_b32 s19, s7, 0xff00
	s_delay_alu instid0(SALU_CYCLE_1) | instskip(SKIP_1) | instid1(SALU_CYCLE_1)
	s_or_b64 s[16:17], s[16:17], s[18:19]
	s_and_b32 s19, s7, 0xff
	s_or_b64 s[10:11], s[16:17], s[18:19]
	s_delay_alu instid0(SALU_CYCLE_1)
	v_mov_b32_e32 v2, s11
	;;#ASMSTART
	global_store_dwordx4 v[20:21], v[1:4] off	
s_waitcnt vmcnt(0)
	;;#ASMEND
.LBB1697_98:
	s_or_b32 exec_lo, exec_lo, s8
	v_xad_u32 v20, v77, -1, s15
	s_mov_b32 s9, 0
	s_mov_b32 s8, exec_lo
	s_delay_alu instid0(VALU_DEP_1) | instskip(NEXT) | instid1(VALU_DEP_1)
	v_add_nc_u32_e32 v3, 32, v20
	v_lshlrev_b64 v[2:3], 4, v[3:4]
	s_delay_alu instid0(VALU_DEP_1) | instskip(NEXT) | instid1(VALU_DEP_2)
	v_add_co_u32 v21, vcc_lo, s4, v2
	v_add_co_ci_u32_e32 v22, vcc_lo, s5, v3, vcc_lo
	;;#ASMSTART
	global_load_dwordx4 v[2:5], v[21:22] off glc	
s_waitcnt vmcnt(0)
	;;#ASMEND
	v_and_b32_e32 v5, 0xff, v3
	v_and_b32_e32 v23, 0xff00, v3
	v_or3_b32 v2, v2, 0, 0
	v_and_b32_e32 v24, 0xff000000, v3
	v_and_b32_e32 v3, 0xff0000, v3
	s_delay_alu instid0(VALU_DEP_4) | instskip(SKIP_2) | instid1(VALU_DEP_3)
	v_or3_b32 v5, 0, v5, v23
	v_and_b32_e32 v23, 0xff, v4
	v_or3_b32 v2, v2, 0, 0
	v_or3_b32 v3, v5, v3, v24
	s_delay_alu instid0(VALU_DEP_3)
	v_cmpx_eq_u16_e32 0, v23
	s_cbranch_execz .LBB1697_104
; %bb.99:
	s_mov_b32 s10, 1
	.p2align	6
.LBB1697_100:                           ; =>This Loop Header: Depth=1
                                        ;     Child Loop BB1697_101 Depth 2
	s_delay_alu instid0(SALU_CYCLE_1)
	s_max_u32 s11, s10, 1
.LBB1697_101:                           ;   Parent Loop BB1697_100 Depth=1
                                        ; =>  This Inner Loop Header: Depth=2
	s_delay_alu instid0(SALU_CYCLE_1)
	s_add_i32 s11, s11, -1
	s_sleep 1
	s_cmp_eq_u32 s11, 0
	s_cbranch_scc0 .LBB1697_101
; %bb.102:                              ;   in Loop: Header=BB1697_100 Depth=1
	;;#ASMSTART
	global_load_dwordx4 v[2:5], v[21:22] off glc	
s_waitcnt vmcnt(0)
	;;#ASMEND
	v_and_b32_e32 v5, 0xff, v4
	s_cmp_lt_u32 s10, 32
	s_cselect_b32 s11, -1, 0
	s_delay_alu instid0(SALU_CYCLE_1) | instskip(NEXT) | instid1(VALU_DEP_1)
	s_cmp_lg_u32 s11, 0
	v_cmp_ne_u16_e32 vcc_lo, 0, v5
	s_addc_u32 s10, s10, 0
	s_or_b32 s9, vcc_lo, s9
	s_delay_alu instid0(SALU_CYCLE_1)
	s_and_not1_b32 exec_lo, exec_lo, s9
	s_cbranch_execnz .LBB1697_100
; %bb.103:
	s_or_b32 exec_lo, exec_lo, s9
.LBB1697_104:
	s_delay_alu instid0(SALU_CYCLE_1)
	s_or_b32 exec_lo, exec_lo, s8
	v_cmp_ne_u32_e32 vcc_lo, 31, v77
	v_lshlrev_b32_e64 v87, v77, -1
	v_add_nc_u32_e32 v91, 4, v77
	v_add_nc_u32_e32 v93, 8, v77
	v_add_nc_u32_e32 v95, 16, v77
	v_add_co_ci_u32_e32 v5, vcc_lo, 0, v77, vcc_lo
	s_delay_alu instid0(VALU_DEP_1)
	v_lshlrev_b32_e32 v86, 2, v5
	ds_bpermute_b32 v21, v86, v3
	ds_bpermute_b32 v5, v86, v2
	s_waitcnt lgkmcnt(1)
	v_add_nc_u32_e32 v21, v21, v3
	v_and_b32_e32 v22, 0xff, v4
	s_waitcnt lgkmcnt(0)
	v_add_nc_u32_e32 v5, v5, v2
	s_delay_alu instid0(VALU_DEP_2) | instskip(SKIP_2) | instid1(VALU_DEP_2)
	v_cmp_eq_u16_e32 vcc_lo, 2, v22
	v_and_or_b32 v22, vcc_lo, v87, 0x80000000
	v_cmp_gt_u32_e32 vcc_lo, 30, v77
	v_ctz_i32_b32_e32 v22, v22
	v_cndmask_b32_e64 v23, 0, 1, vcc_lo
	s_delay_alu instid0(VALU_DEP_2) | instskip(NEXT) | instid1(VALU_DEP_2)
	v_cmp_lt_u32_e32 vcc_lo, v77, v22
	v_dual_cndmask_b32 v2, v2, v5 :: v_dual_lshlrev_b32 v23, 1, v23
	s_delay_alu instid0(VALU_DEP_1)
	v_add_lshl_u32 v88, v23, v77, 2
	v_cndmask_b32_e32 v3, v3, v21, vcc_lo
	v_cmp_gt_u32_e32 vcc_lo, 28, v77
	ds_bpermute_b32 v5, v88, v2
	ds_bpermute_b32 v21, v88, v3
	v_cndmask_b32_e64 v23, 0, 1, vcc_lo
	s_waitcnt lgkmcnt(1)
	v_add_nc_u32_e32 v5, v2, v5
	v_add_nc_u32_e32 v89, 2, v77
	s_waitcnt lgkmcnt(0)
	v_add_nc_u32_e32 v21, v3, v21
	s_delay_alu instid0(VALU_DEP_2) | instskip(SKIP_1) | instid1(VALU_DEP_3)
	v_cmp_gt_u32_e32 vcc_lo, v89, v22
	v_dual_cndmask_b32 v2, v5, v2 :: v_dual_lshlrev_b32 v23, 2, v23
	v_cndmask_b32_e32 v3, v21, v3, vcc_lo
	v_cmp_gt_u32_e32 vcc_lo, 24, v77
	s_delay_alu instid0(VALU_DEP_3)
	v_add_lshl_u32 v90, v23, v77, 2
	v_cndmask_b32_e64 v23, 0, 1, vcc_lo
	v_cmp_gt_u32_e32 vcc_lo, v91, v22
	ds_bpermute_b32 v5, v90, v2
	ds_bpermute_b32 v21, v90, v3
	v_lshlrev_b32_e32 v23, 3, v23
	s_delay_alu instid0(VALU_DEP_1) | instskip(SKIP_3) | instid1(VALU_DEP_1)
	v_add_lshl_u32 v92, v23, v77, 2
	s_waitcnt lgkmcnt(1)
	v_add_nc_u32_e32 v5, v2, v5
	s_waitcnt lgkmcnt(0)
	v_dual_cndmask_b32 v2, v5, v2 :: v_dual_add_nc_u32 v21, v3, v21
	s_delay_alu instid0(VALU_DEP_1)
	v_cndmask_b32_e32 v3, v21, v3, vcc_lo
	v_cmp_gt_u32_e32 vcc_lo, 16, v77
	ds_bpermute_b32 v5, v92, v2
	ds_bpermute_b32 v21, v92, v3
	v_cndmask_b32_e64 v23, 0, 1, vcc_lo
	v_cmp_gt_u32_e32 vcc_lo, v93, v22
	s_delay_alu instid0(VALU_DEP_2) | instskip(NEXT) | instid1(VALU_DEP_1)
	v_lshlrev_b32_e32 v23, 4, v23
	v_add_lshl_u32 v94, v23, v77, 2
	s_waitcnt lgkmcnt(1)
	v_add_nc_u32_e32 v5, v2, v5
	s_waitcnt lgkmcnt(0)
	s_delay_alu instid0(VALU_DEP_1) | instskip(NEXT) | instid1(VALU_DEP_1)
	v_dual_cndmask_b32 v2, v5, v2 :: v_dual_add_nc_u32 v21, v3, v21
	v_cndmask_b32_e32 v3, v21, v3, vcc_lo
	v_cmp_le_u32_e32 vcc_lo, v95, v22
	ds_bpermute_b32 v5, v94, v2
	ds_bpermute_b32 v21, v94, v3
	s_waitcnt lgkmcnt(1)
	v_cndmask_b32_e32 v5, 0, v5, vcc_lo
	s_waitcnt lgkmcnt(0)
	s_delay_alu instid0(VALU_DEP_1) | instskip(NEXT) | instid1(VALU_DEP_1)
	v_dual_cndmask_b32 v21, 0, v21 :: v_dual_add_nc_u32 v2, v5, v2
	v_add_nc_u32_e32 v3, v21, v3
	v_mov_b32_e32 v21, 0
	s_branch .LBB1697_106
.LBB1697_105:                           ;   in Loop: Header=BB1697_106 Depth=1
	s_or_b32 exec_lo, exec_lo, s8
	ds_bpermute_b32 v5, v86, v2
	ds_bpermute_b32 v24, v86, v3
	v_subrev_nc_u32_e32 v20, 32, v20
	s_waitcnt lgkmcnt(1)
	v_add_nc_u32_e32 v5, v5, v2
	v_and_b32_e32 v25, 0xff, v4
	s_waitcnt lgkmcnt(0)
	v_add_nc_u32_e32 v24, v24, v3
	s_delay_alu instid0(VALU_DEP_2) | instskip(SKIP_1) | instid1(VALU_DEP_1)
	v_cmp_eq_u16_e32 vcc_lo, 2, v25
	v_and_or_b32 v25, vcc_lo, v87, 0x80000000
	v_ctz_i32_b32_e32 v25, v25
	s_delay_alu instid0(VALU_DEP_1)
	v_cmp_lt_u32_e32 vcc_lo, v77, v25
	v_cndmask_b32_e32 v2, v2, v5, vcc_lo
	ds_bpermute_b32 v5, v88, v2
	s_waitcnt lgkmcnt(0)
	v_add_nc_u32_e32 v5, v2, v5
	v_cndmask_b32_e32 v3, v3, v24, vcc_lo
	v_cmp_gt_u32_e32 vcc_lo, v89, v25
	s_delay_alu instid0(VALU_DEP_3)
	v_cndmask_b32_e32 v2, v5, v2, vcc_lo
	ds_bpermute_b32 v24, v88, v3
	ds_bpermute_b32 v5, v90, v2
	s_waitcnt lgkmcnt(1)
	v_add_nc_u32_e32 v24, v3, v24
	s_waitcnt lgkmcnt(0)
	v_add_nc_u32_e32 v5, v2, v5
	s_delay_alu instid0(VALU_DEP_2) | instskip(SKIP_1) | instid1(VALU_DEP_3)
	v_cndmask_b32_e32 v3, v24, v3, vcc_lo
	v_cmp_gt_u32_e32 vcc_lo, v91, v25
	v_cndmask_b32_e32 v2, v5, v2, vcc_lo
	ds_bpermute_b32 v24, v90, v3
	ds_bpermute_b32 v5, v92, v2
	s_waitcnt lgkmcnt(1)
	v_add_nc_u32_e32 v24, v3, v24
	s_waitcnt lgkmcnt(0)
	v_add_nc_u32_e32 v5, v2, v5
	s_delay_alu instid0(VALU_DEP_2) | instskip(SKIP_1) | instid1(VALU_DEP_3)
	v_cndmask_b32_e32 v3, v24, v3, vcc_lo
	v_cmp_gt_u32_e32 vcc_lo, v93, v25
	v_cndmask_b32_e32 v2, v5, v2, vcc_lo
	ds_bpermute_b32 v24, v92, v3
	ds_bpermute_b32 v5, v94, v2
	s_waitcnt lgkmcnt(1)
	v_add_nc_u32_e32 v24, v3, v24
	s_delay_alu instid0(VALU_DEP_1) | instskip(SKIP_4) | instid1(VALU_DEP_1)
	v_cndmask_b32_e32 v3, v24, v3, vcc_lo
	v_cmp_le_u32_e32 vcc_lo, v95, v25
	ds_bpermute_b32 v24, v94, v3
	s_waitcnt lgkmcnt(1)
	v_cndmask_b32_e32 v5, 0, v5, vcc_lo
	v_add3_u32 v2, v2, v22, v5
	s_waitcnt lgkmcnt(0)
	v_cndmask_b32_e32 v24, 0, v24, vcc_lo
	s_delay_alu instid0(VALU_DEP_1)
	v_add3_u32 v3, v3, v23, v24
.LBB1697_106:                           ; =>This Loop Header: Depth=1
                                        ;     Child Loop BB1697_109 Depth 2
                                        ;       Child Loop BB1697_110 Depth 3
	s_delay_alu instid0(VALU_DEP_1) | instskip(SKIP_1) | instid1(VALU_DEP_2)
	v_dual_mov_b32 v23, v3 :: v_dual_and_b32 v4, 0xff, v4
	v_mov_b32_e32 v22, v2
	v_cmp_ne_u16_e32 vcc_lo, 2, v4
	v_cndmask_b32_e64 v4, 0, 1, vcc_lo
	;;#ASMSTART
	;;#ASMEND
	s_delay_alu instid0(VALU_DEP_1)
	v_cmp_ne_u32_e32 vcc_lo, 0, v4
	s_cmp_lg_u32 vcc_lo, exec_lo
	s_cbranch_scc1 .LBB1697_113
; %bb.107:                              ;   in Loop: Header=BB1697_106 Depth=1
	v_lshlrev_b64 v[2:3], 4, v[20:21]
	s_mov_b32 s8, exec_lo
	s_delay_alu instid0(VALU_DEP_1) | instskip(NEXT) | instid1(VALU_DEP_2)
	v_add_co_u32 v24, vcc_lo, s4, v2
	v_add_co_ci_u32_e32 v25, vcc_lo, s5, v3, vcc_lo
	;;#ASMSTART
	global_load_dwordx4 v[2:5], v[24:25] off glc	
s_waitcnt vmcnt(0)
	;;#ASMEND
	v_and_b32_e32 v5, 0xff, v3
	v_and_b32_e32 v96, 0xff00, v3
	v_or3_b32 v2, v2, 0, 0
	v_and_b32_e32 v97, 0xff000000, v3
	v_and_b32_e32 v3, 0xff0000, v3
	s_delay_alu instid0(VALU_DEP_4) | instskip(SKIP_2) | instid1(VALU_DEP_3)
	v_or3_b32 v5, 0, v5, v96
	v_and_b32_e32 v96, 0xff, v4
	v_or3_b32 v2, v2, 0, 0
	v_or3_b32 v3, v5, v3, v97
	s_delay_alu instid0(VALU_DEP_3)
	v_cmpx_eq_u16_e32 0, v96
	s_cbranch_execz .LBB1697_105
; %bb.108:                              ;   in Loop: Header=BB1697_106 Depth=1
	s_mov_b32 s10, 1
	s_mov_b32 s9, 0
	.p2align	6
.LBB1697_109:                           ;   Parent Loop BB1697_106 Depth=1
                                        ; =>  This Loop Header: Depth=2
                                        ;       Child Loop BB1697_110 Depth 3
	s_max_u32 s11, s10, 1
.LBB1697_110:                           ;   Parent Loop BB1697_106 Depth=1
                                        ;     Parent Loop BB1697_109 Depth=2
                                        ; =>    This Inner Loop Header: Depth=3
	s_delay_alu instid0(SALU_CYCLE_1)
	s_add_i32 s11, s11, -1
	s_sleep 1
	s_cmp_eq_u32 s11, 0
	s_cbranch_scc0 .LBB1697_110
; %bb.111:                              ;   in Loop: Header=BB1697_109 Depth=2
	;;#ASMSTART
	global_load_dwordx4 v[2:5], v[24:25] off glc	
s_waitcnt vmcnt(0)
	;;#ASMEND
	v_and_b32_e32 v5, 0xff, v4
	s_cmp_lt_u32 s10, 32
	s_cselect_b32 s11, -1, 0
	s_delay_alu instid0(SALU_CYCLE_1) | instskip(NEXT) | instid1(VALU_DEP_1)
	s_cmp_lg_u32 s11, 0
	v_cmp_ne_u16_e32 vcc_lo, 0, v5
	s_addc_u32 s10, s10, 0
	s_or_b32 s9, vcc_lo, s9
	s_delay_alu instid0(SALU_CYCLE_1)
	s_and_not1_b32 exec_lo, exec_lo, s9
	s_cbranch_execnz .LBB1697_109
; %bb.112:                              ;   in Loop: Header=BB1697_106 Depth=1
	s_or_b32 exec_lo, exec_lo, s9
	s_branch .LBB1697_105
.LBB1697_113:                           ;   in Loop: Header=BB1697_106 Depth=1
                                        ; implicit-def: $vgpr4
                                        ; implicit-def: $vgpr2_vgpr3
	s_cbranch_execz .LBB1697_106
; %bb.114:
	s_and_saveexec_b32 s8, s2
	s_cbranch_execnz .LBB1697_357
; %bb.115:
	s_or_b32 exec_lo, exec_lo, s8
	s_and_saveexec_b32 s8, s2
	s_cbranch_execnz .LBB1697_358
.LBB1697_116:
	s_or_b32 exec_lo, exec_lo, s8
	v_cmp_eq_u32_e32 vcc_lo, 0, v0
	s_and_b32 exec_lo, exec_lo, vcc_lo
	s_cbranch_execz .LBB1697_118
.LBB1697_117:
	v_mov_b32_e32 v1, 0
	ds_store_b64 v1, v[22:23] offset:56
.LBB1697_118:
	s_or_b32 exec_lo, exec_lo, s6
	v_cmp_eq_u32_e32 vcc_lo, 0, v0
	v_mov_b32_e32 v1, 0
	s_waitcnt lgkmcnt(0)
	s_barrier
	buffer_gl0_inv
	v_add_nc_u32_e64 v3, 0x3400, 0
	ds_load_b64 v[20:21], v1 offset:56
	s_waitcnt lgkmcnt(0)
	s_barrier
	buffer_gl0_inv
	ds_load_2addr_b32 v[1:2], v3 offset1:2
	ds_load_2addr_b32 v[3:4], v3 offset0:4 offset1:6
	v_cndmask_b32_e64 v5, v84, v18, s2
	v_cndmask_b32_e64 v18, v85, v19, s2
	s_delay_alu instid0(VALU_DEP_2) | instskip(NEXT) | instid1(VALU_DEP_1)
	v_add_nc_u32_e32 v19, v20, v5
	v_dual_cndmask_b32 v20, v19, v20 :: v_dual_add_nc_u32 v5, v21, v18
	s_delay_alu instid0(VALU_DEP_1)
	v_cndmask_b32_e32 v5, v5, v21, vcc_lo
	s_branch .LBB1697_129
.LBB1697_119:
                                        ; implicit-def: $vgpr5
                                        ; implicit-def: $vgpr3
                                        ; implicit-def: $vgpr1
                                        ; implicit-def: $vgpr20_vgpr21
	s_and_b32 vcc_lo, exec_lo, s6
	s_cbranch_vccz .LBB1697_129
; %bb.120:
	s_waitcnt lgkmcnt(0)
	v_mov_b32_dpp v2, v83 row_shr:1 row_mask:0xf bank_mask:0xf
	v_cmp_lt_u32_e32 vcc_lo, 3, v81
	v_mov_b32_dpp v1, v82 row_shr:1 row_mask:0xf bank_mask:0xf
	s_delay_alu instid0(VALU_DEP_3) | instskip(NEXT) | instid1(VALU_DEP_1)
	v_add_nc_u32_e32 v2, v2, v83
	v_cndmask_b32_e64 v2, v2, v83, s1
	s_delay_alu instid0(VALU_DEP_1) | instskip(NEXT) | instid1(VALU_DEP_1)
	v_mov_b32_dpp v4, v2 row_shr:2 row_mask:0xf bank_mask:0xf
	v_add_nc_u32_e32 v4, v2, v4
	s_delay_alu instid0(VALU_DEP_1) | instskip(NEXT) | instid1(VALU_DEP_1)
	v_cndmask_b32_e64 v2, v2, v4, s0
	v_mov_b32_dpp v4, v2 row_shr:4 row_mask:0xf bank_mask:0xf
	s_delay_alu instid0(VALU_DEP_1) | instskip(NEXT) | instid1(VALU_DEP_1)
	v_add_nc_u32_e32 v4, v2, v4
	v_dual_cndmask_b32 v2, v2, v4 :: v_dual_add_nc_u32 v1, v1, v82
	s_delay_alu instid0(VALU_DEP_1) | instskip(NEXT) | instid1(VALU_DEP_2)
	v_cndmask_b32_e64 v1, v1, v82, s1
	v_mov_b32_dpp v4, v2 row_shr:8 row_mask:0xf bank_mask:0xf
	s_delay_alu instid0(VALU_DEP_2) | instskip(NEXT) | instid1(VALU_DEP_2)
	v_mov_b32_dpp v3, v1 row_shr:2 row_mask:0xf bank_mask:0xf
	v_add_nc_u32_e32 v4, v2, v4
	s_delay_alu instid0(VALU_DEP_2) | instskip(NEXT) | instid1(VALU_DEP_1)
	v_add_nc_u32_e32 v3, v1, v3
	v_cndmask_b32_e64 v1, v1, v3, s0
	s_mov_b32 s0, exec_lo
	s_delay_alu instid0(VALU_DEP_1) | instskip(NEXT) | instid1(VALU_DEP_1)
	v_mov_b32_dpp v3, v1 row_shr:4 row_mask:0xf bank_mask:0xf
	v_add_nc_u32_e32 v3, v1, v3
	s_delay_alu instid0(VALU_DEP_1) | instskip(SKIP_1) | instid1(VALU_DEP_2)
	v_cndmask_b32_e32 v1, v1, v3, vcc_lo
	v_cmp_lt_u32_e32 vcc_lo, 7, v81
	v_mov_b32_dpp v3, v1 row_shr:8 row_mask:0xf bank_mask:0xf
	s_delay_alu instid0(VALU_DEP_1) | instskip(NEXT) | instid1(VALU_DEP_1)
	v_dual_cndmask_b32 v2, v2, v4 :: v_dual_add_nc_u32 v3, v1, v3
	v_cndmask_b32_e32 v1, v1, v3, vcc_lo
	ds_swizzle_b32 v3, v2 offset:swizzle(BROADCAST,32,15)
	v_cmp_eq_u32_e32 vcc_lo, 0, v80
	ds_swizzle_b32 v4, v1 offset:swizzle(BROADCAST,32,15)
	s_waitcnt lgkmcnt(1)
	v_add_nc_u32_e32 v3, v2, v3
	s_waitcnt lgkmcnt(0)
	v_add_nc_u32_e32 v4, v1, v4
	s_delay_alu instid0(VALU_DEP_1)
	v_dual_cndmask_b32 v2, v3, v2 :: v_dual_cndmask_b32 v1, v4, v1
	v_cmpx_eq_u32_e64 v79, v0
	s_cbranch_execz .LBB1697_122
; %bb.121:
	v_lshlrev_b32_e32 v3, 3, v78
	ds_store_b64 v3, v[1:2]
.LBB1697_122:
	s_or_b32 exec_lo, exec_lo, s0
	s_delay_alu instid0(SALU_CYCLE_1)
	s_mov_b32 s0, exec_lo
	s_waitcnt lgkmcnt(0)
	s_barrier
	buffer_gl0_inv
	v_cmpx_gt_u32_e32 8, v0
	s_cbranch_execz .LBB1697_124
; %bb.123:
	v_lshlrev_b32_e32 v5, 3, v0
	ds_load_b64 v[3:4], v5
	s_waitcnt lgkmcnt(0)
	v_mov_b32_dpp v18, v3 row_shr:1 row_mask:0xf bank_mask:0xf
	v_mov_b32_dpp v19, v4 row_shr:1 row_mask:0xf bank_mask:0xf
	s_delay_alu instid0(VALU_DEP_2) | instskip(SKIP_1) | instid1(VALU_DEP_3)
	v_add_nc_u32_e32 v18, v18, v3
	v_and_b32_e32 v20, 7, v77
	v_add_nc_u32_e32 v19, v19, v4
	s_delay_alu instid0(VALU_DEP_2) | instskip(NEXT) | instid1(VALU_DEP_2)
	v_cmp_eq_u32_e32 vcc_lo, 0, v20
	v_dual_cndmask_b32 v4, v19, v4 :: v_dual_cndmask_b32 v3, v18, v3
	v_cmp_lt_u32_e32 vcc_lo, 1, v20
	s_delay_alu instid0(VALU_DEP_2) | instskip(NEXT) | instid1(VALU_DEP_3)
	v_mov_b32_dpp v19, v4 row_shr:2 row_mask:0xf bank_mask:0xf
	v_mov_b32_dpp v18, v3 row_shr:2 row_mask:0xf bank_mask:0xf
	s_delay_alu instid0(VALU_DEP_2) | instskip(NEXT) | instid1(VALU_DEP_2)
	v_add_nc_u32_e32 v19, v4, v19
	v_add_nc_u32_e32 v18, v3, v18
	s_delay_alu instid0(VALU_DEP_1) | instskip(SKIP_1) | instid1(VALU_DEP_2)
	v_dual_cndmask_b32 v4, v4, v19 :: v_dual_cndmask_b32 v3, v3, v18
	v_cmp_lt_u32_e32 vcc_lo, 3, v20
	v_mov_b32_dpp v19, v4 row_shr:4 row_mask:0xf bank_mask:0xf
	s_delay_alu instid0(VALU_DEP_3) | instskip(NEXT) | instid1(VALU_DEP_1)
	v_mov_b32_dpp v18, v3 row_shr:4 row_mask:0xf bank_mask:0xf
	v_dual_cndmask_b32 v19, 0, v19 :: v_dual_cndmask_b32 v18, 0, v18
	s_delay_alu instid0(VALU_DEP_1) | instskip(NEXT) | instid1(VALU_DEP_2)
	v_add_nc_u32_e32 v4, v19, v4
	v_add_nc_u32_e32 v3, v18, v3
	ds_store_b64 v5, v[3:4]
.LBB1697_124:
	s_or_b32 exec_lo, exec_lo, s0
	v_dual_mov_b32 v3, 0 :: v_dual_mov_b32 v18, 0
	v_mov_b32_e32 v19, 0
	s_mov_b32 s0, exec_lo
	s_waitcnt lgkmcnt(0)
	s_barrier
	buffer_gl0_inv
	v_cmpx_lt_u32_e32 31, v0
	s_cbranch_execz .LBB1697_126
; %bb.125:
	v_lshl_add_u32 v4, v78, 3, -8
	ds_load_b64 v[18:19], v4
.LBB1697_126:
	s_or_b32 exec_lo, exec_lo, s0
	v_add_nc_u32_e32 v4, -1, v77
	s_waitcnt lgkmcnt(0)
	v_add_nc_u32_e32 v20, v19, v2
	v_add_nc_u32_e32 v5, v18, v1
	ds_load_b64 v[1:2], v3 offset:56
	v_cmp_gt_i32_e32 vcc_lo, 0, v4
	v_cndmask_b32_e32 v4, v4, v77, vcc_lo
	v_cmp_eq_u32_e32 vcc_lo, 0, v0
	s_delay_alu instid0(VALU_DEP_2)
	v_lshlrev_b32_e32 v4, 2, v4
	ds_bpermute_b32 v5, v4, v5
	ds_bpermute_b32 v20, v4, v20
	s_waitcnt lgkmcnt(2)
	v_readfirstlane_b32 s1, v2
	s_and_saveexec_b32 s0, vcc_lo
	s_cbranch_execz .LBB1697_128
; %bb.127:
	s_mov_b32 s6, 0
	s_add_u32 s4, s4, 0x200
	s_addc_u32 s5, s5, 0
	s_and_b32 s7, s1, 0xff000000
	s_and_b32 s9, s1, 0xff0000
	s_mov_b32 s8, s6
	v_mov_b32_e32 v22, s5
	s_or_b64 s[8:9], s[8:9], s[6:7]
	s_and_b32 s7, s1, 0xff00
	v_dual_mov_b32 v4, 0 :: v_dual_mov_b32 v21, s4
	s_or_b64 s[8:9], s[8:9], s[6:7]
	s_and_b32 s7, s1, 0xff
	v_mov_b32_e32 v3, 2
	s_or_b64 s[6:7], s[8:9], s[6:7]
	s_delay_alu instid0(SALU_CYCLE_1)
	v_mov_b32_e32 v2, s7
	;;#ASMSTART
	global_store_dwordx4 v[21:22], v[1:4] off	
s_waitcnt vmcnt(0)
	;;#ASMEND
.LBB1697_128:
	s_or_b32 exec_lo, exec_lo, s0
	v_cmp_eq_u32_e64 s0, 0, v77
	v_dual_mov_b32 v3, 0 :: v_dual_mov_b32 v2, s1
	s_waitcnt lgkmcnt(0)
	s_barrier
	s_delay_alu instid0(VALU_DEP_2)
	v_cndmask_b32_e64 v4, v5, v18, s0
	v_cndmask_b32_e64 v5, v20, v19, s0
	buffer_gl0_inv
	v_cndmask_b32_e64 v20, v4, 0, vcc_lo
	v_cndmask_b32_e64 v5, v5, 0, vcc_lo
	v_mov_b32_e32 v4, 0
.LBB1697_129:
	v_and_b32_e32 v30, 1, v30
	v_and_b32_e32 v34, 1, v34
	;; [unrolled: 1-line block ×4, first 2 shown]
	s_waitcnt lgkmcnt(0)
	v_add_co_u32 v18, s0, s28, v3
	v_cmp_eq_u32_e32 vcc_lo, 1, v30
	v_add_nc_u32_e32 v22, v5, v76
	v_sub_nc_u32_e32 v5, v5, v4
	v_add_co_ci_u32_e64 v19, null, s29, 0, s0
	s_mov_b32 s2, -1
	s_delay_alu instid0(VALU_DEP_3) | instskip(SKIP_3) | instid1(VALU_DEP_3)
	v_add_nc_u32_e32 v24, v22, v72
	v_sub_nc_u32_e32 v22, v22, v4
	v_add_nc_u32_e32 v5, v5, v1
	v_sub_co_u32 v72, s0, s30, v1
	v_add_nc_u32_e32 v22, v22, v1
	v_add_nc_u32_e32 v21, v20, v75
	v_sub_nc_u32_e32 v20, v20, v3
	s_delay_alu instid0(VALU_DEP_2)
	v_add_nc_u32_e32 v23, v21, v71
	v_add_nc_u32_e32 v71, v24, v74
	v_lshlrev_b32_e32 v74, 1, v1
	v_sub_nc_u32_e32 v21, v21, v3
	v_add_nc_u32_e32 v75, v20, v5
	v_sub_nc_u32_e32 v24, v24, v4
	s_delay_alu instid0(VALU_DEP_4) | instskip(NEXT) | instid1(VALU_DEP_4)
	v_add3_u32 v28, v74, v2, v28
	v_add_nc_u32_e32 v76, v22, v21
	s_delay_alu instid0(VALU_DEP_3) | instskip(NEXT) | instid1(VALU_DEP_3)
	v_add_nc_u32_e32 v24, v24, v1
	v_sub_nc_u32_e32 v75, v28, v75
	s_delay_alu instid0(VALU_DEP_3) | instskip(NEXT) | instid1(VALU_DEP_1)
	v_sub_nc_u32_e32 v76, v28, v76
	v_dual_cndmask_b32 v5, v75, v5 :: v_dual_add_nc_u32 v30, 1, v76
	v_cmp_eq_u32_e32 vcc_lo, 1, v34
	s_delay_alu instid0(VALU_DEP_2) | instskip(SKIP_1) | instid1(VALU_DEP_4)
	v_cndmask_b32_e32 v22, v30, v22, vcc_lo
	v_cmp_eq_u32_e32 vcc_lo, 1, v29
	v_cndmask_b32_e32 v5, v5, v20, vcc_lo
	v_and_b32_e32 v20, 1, v36
	v_cmp_eq_u32_e32 vcc_lo, 1, v33
	s_delay_alu instid0(VALU_DEP_3) | instskip(SKIP_1) | instid1(VALU_DEP_4)
	v_lshlrev_b32_e32 v5, 2, v5
	v_cndmask_b32_e32 v21, v22, v21, vcc_lo
	v_cmp_eq_u32_e32 vcc_lo, 1, v20
	v_add_nc_u32_e32 v25, v23, v73
	v_sub_nc_u32_e32 v23, v23, v3
	v_and_b32_e32 v22, 1, v31
	v_sub_co_ci_u32_e64 v73, null, s31, 0, s0
	v_and_b32_e32 v31, 1, v32
	s_delay_alu instid0(VALU_DEP_4) | instskip(NEXT) | instid1(VALU_DEP_1)
	v_add_nc_u32_e32 v77, v24, v23
	v_sub_nc_u32_e32 v75, v28, v77
	s_delay_alu instid0(VALU_DEP_1) | instskip(NEXT) | instid1(VALU_DEP_1)
	v_add_nc_u32_e32 v29, 2, v75
	v_cndmask_b32_e32 v20, v29, v24, vcc_lo
	v_sub_nc_u32_e32 v24, v71, v4
	v_cmp_eq_u32_e32 vcc_lo, 1, v22
	v_add_nc_u32_e32 v69, v25, v69
	v_lshlrev_b32_e32 v29, 2, v21
	ds_store_b32 v5, v16
	ds_store_b32 v29, v17
	v_cndmask_b32_e32 v22, v20, v23, vcc_lo
	v_sub_nc_u32_e32 v23, v25, v3
	v_add_nc_u32_e32 v24, v24, v1
	v_add_co_u32 v20, vcc_lo, v72, v4
	s_delay_alu instid0(VALU_DEP_4) | instskip(SKIP_1) | instid1(VALU_DEP_4)
	v_lshlrev_b32_e32 v5, 2, v22
	v_and_b32_e32 v22, 1, v35
	v_add_nc_u32_e32 v25, v23, v24
	v_add_co_ci_u32_e32 v21, vcc_lo, 0, v73, vcc_lo
	ds_store_b32 v5, v14
	v_cmp_eq_u32_e32 vcc_lo, 1, v22
	v_sub_nc_u32_e32 v17, v28, v25
	v_sub_nc_u32_e32 v29, v69, v3
	v_add_nc_u32_e32 v67, v69, v67
	s_delay_alu instid0(VALU_DEP_3) | instskip(NEXT) | instid1(VALU_DEP_2)
	v_add_nc_u32_e32 v17, 3, v17
	v_sub_nc_u32_e32 v30, v67, v3
	s_delay_alu instid0(VALU_DEP_2) | instskip(SKIP_2) | instid1(VALU_DEP_3)
	v_cndmask_b32_e32 v17, v17, v24, vcc_lo
	v_cmp_eq_u32_e32 vcc_lo, 1, v31
	v_and_b32_e32 v24, 1, v39
	v_cndmask_b32_e32 v14, v17, v23, vcc_lo
	v_add_nc_u32_e32 v70, v71, v70
	v_and_b32_e32 v23, 1, v38
	s_delay_alu instid0(VALU_DEP_3) | instskip(NEXT) | instid1(VALU_DEP_3)
	v_lshlrev_b32_e32 v14, 2, v14
	v_add_nc_u32_e32 v68, v70, v68
	v_sub_nc_u32_e32 v16, v70, v4
	ds_store_b32 v14, v15
	v_sub_nc_u32_e32 v25, v68, v4
	v_add_nc_u32_e32 v16, v16, v1
	s_delay_alu instid0(VALU_DEP_2) | instskip(NEXT) | instid1(VALU_DEP_2)
	v_add_nc_u32_e32 v25, v25, v1
	v_add_nc_u32_e32 v32, v29, v16
	s_delay_alu instid0(VALU_DEP_2) | instskip(NEXT) | instid1(VALU_DEP_2)
	v_add_nc_u32_e32 v22, v30, v25
	v_sub_nc_u32_e32 v5, v28, v32
	s_delay_alu instid0(VALU_DEP_2) | instskip(SKIP_1) | instid1(VALU_DEP_3)
	v_sub_nc_u32_e32 v17, v28, v22
	v_and_b32_e32 v22, 1, v37
	v_add_nc_u32_e32 v5, 4, v5
	s_delay_alu instid0(VALU_DEP_3) | instskip(NEXT) | instid1(VALU_DEP_3)
	v_add_nc_u32_e32 v17, 5, v17
	v_cmp_eq_u32_e32 vcc_lo, 1, v22
	s_delay_alu instid0(VALU_DEP_3)
	v_cndmask_b32_e32 v5, v5, v16, vcc_lo
	v_cmp_eq_u32_e32 vcc_lo, 1, v24
	v_and_b32_e32 v16, 1, v41
	v_cndmask_b32_e32 v17, v17, v25, vcc_lo
	v_cmp_eq_u32_e32 vcc_lo, 1, v23
	v_cndmask_b32_e32 v5, v5, v29, vcc_lo
	s_delay_alu instid0(VALU_DEP_4) | instskip(SKIP_1) | instid1(VALU_DEP_3)
	v_cmp_eq_u32_e32 vcc_lo, 1, v16
	v_add_nc_u32_e32 v66, v68, v66
	v_dual_cndmask_b32 v16, v17, v30 :: v_dual_lshlrev_b32 v5, 2, v5
	s_delay_alu instid0(VALU_DEP_2) | instskip(SKIP_1) | instid1(VALU_DEP_3)
	v_sub_nc_u32_e32 v22, v66, v4
	v_add_nc_u32_e32 v62, v66, v62
	v_lshlrev_b32_e32 v16, 2, v16
	ds_store_b32 v5, v12
	ds_store_b32 v16, v13
	v_and_b32_e32 v12, 1, v40
	v_add_nc_u32_e32 v22, v22, v1
	v_add_nc_u32_e32 v64, v62, v64
	v_sub_nc_u32_e32 v17, v62, v4
	v_and_b32_e32 v16, 1, v43
	v_cmp_eq_u32_e32 vcc_lo, 1, v12
	v_add_nc_u32_e32 v65, v67, v65
	v_sub_nc_u32_e32 v15, v64, v4
	v_add_nc_u32_e32 v17, v17, v1
	s_delay_alu instid0(VALU_DEP_3) | instskip(NEXT) | instid1(VALU_DEP_3)
	v_sub_nc_u32_e32 v23, v65, v3
	v_add_nc_u32_e32 v15, v15, v1
	s_delay_alu instid0(VALU_DEP_2) | instskip(NEXT) | instid1(VALU_DEP_1)
	v_add_nc_u32_e32 v24, v23, v22
	v_sub_nc_u32_e32 v14, v28, v24
	v_and_b32_e32 v24, 1, v48
	s_delay_alu instid0(VALU_DEP_2) | instskip(SKIP_1) | instid1(VALU_DEP_2)
	v_add_nc_u32_e32 v13, 6, v14
	v_and_b32_e32 v14, 1, v42
	v_cndmask_b32_e32 v12, v13, v22, vcc_lo
	v_add_nc_u32_e32 v61, v65, v61
	s_delay_alu instid0(VALU_DEP_3) | instskip(SKIP_1) | instid1(VALU_DEP_3)
	v_cmp_eq_u32_e32 vcc_lo, 1, v14
	v_and_b32_e32 v22, 1, v44
	v_sub_nc_u32_e32 v25, v61, v3
	v_add_nc_u32_e32 v63, v61, v63
	v_cndmask_b32_e32 v12, v12, v23, vcc_lo
	v_cmp_eq_u32_e32 vcc_lo, 1, v16
	v_and_b32_e32 v23, 1, v46
	v_add_nc_u32_e32 v5, v25, v17
	v_sub_nc_u32_e32 v13, v63, v3
	v_lshlrev_b32_e32 v12, 2, v12
	v_add_nc_u32_e32 v59, v63, v59
	s_delay_alu instid0(VALU_DEP_4) | instskip(NEXT) | instid1(VALU_DEP_4)
	v_sub_nc_u32_e32 v5, v28, v5
	v_add_nc_u32_e32 v14, v13, v15
	s_delay_alu instid0(VALU_DEP_3) | instskip(NEXT) | instid1(VALU_DEP_3)
	v_add_nc_u32_e32 v57, v59, v57
	v_add_nc_u32_e32 v5, 7, v5
	s_delay_alu instid0(VALU_DEP_3) | instskip(NEXT) | instid1(VALU_DEP_3)
	v_sub_nc_u32_e32 v14, v28, v14
	v_add_nc_u32_e32 v55, v57, v55
	s_delay_alu instid0(VALU_DEP_3)
	v_cndmask_b32_e32 v5, v5, v17, vcc_lo
	v_cmp_eq_u32_e32 vcc_lo, 1, v22
	v_and_b32_e32 v17, 1, v45
	v_add_nc_u32_e32 v14, 8, v14
	v_sub_nc_u32_e32 v22, v59, v3
	v_add_nc_u32_e32 v53, v55, v53
	v_cndmask_b32_e32 v5, v5, v25, vcc_lo
	v_cmp_eq_u32_e32 vcc_lo, 1, v17
	v_sub_nc_u32_e32 v17, v55, v3
	v_and_b32_e32 v25, 1, v52
	s_delay_alu instid0(VALU_DEP_4)
	v_dual_cndmask_b32 v14, v14, v15 :: v_dual_lshlrev_b32 v5, 2, v5
	v_cmp_eq_u32_e32 vcc_lo, 1, v23
	v_add_nc_u32_e32 v60, v64, v60
	ds_store_b32 v12, v10
	ds_store_b32 v5, v11
	v_and_b32_e32 v11, 1, v49
	v_cndmask_b32_e32 v5, v14, v13, vcc_lo
	v_sub_nc_u32_e32 v16, v60, v4
	v_add_nc_u32_e32 v58, v60, v58
	v_and_b32_e32 v13, 1, v47
	s_delay_alu instid0(VALU_DEP_4) | instskip(NEXT) | instid1(VALU_DEP_4)
	v_lshlrev_b32_e32 v5, 2, v5
	v_add_nc_u32_e32 v16, v16, v1
	s_delay_alu instid0(VALU_DEP_4) | instskip(SKIP_2) | instid1(VALU_DEP_4)
	v_add_nc_u32_e32 v56, v58, v56
	v_sub_nc_u32_e32 v12, v58, v4
	v_cmp_eq_u32_e32 vcc_lo, 1, v13
	v_add_nc_u32_e32 v15, v22, v16
	s_delay_alu instid0(VALU_DEP_4) | instskip(NEXT) | instid1(VALU_DEP_4)
	v_sub_nc_u32_e32 v14, v56, v4
	v_add_nc_u32_e32 v12, v12, v1
	v_add_nc_u32_e32 v54, v56, v54
	s_delay_alu instid0(VALU_DEP_4) | instskip(SKIP_2) | instid1(VALU_DEP_4)
	v_sub_nc_u32_e32 v10, v28, v15
	v_sub_nc_u32_e32 v15, v57, v3
	v_add_nc_u32_e32 v14, v14, v1
	v_sub_nc_u32_e32 v23, v54, v4
	v_sub_nc_u32_e32 v3, v53, v3
	v_add_nc_u32_e32 v10, 9, v10
	v_add_nc_u32_e32 v13, v15, v12
	s_delay_alu instid0(VALU_DEP_2) | instskip(SKIP_2) | instid1(VALU_DEP_4)
	v_dual_cndmask_b32 v10, v10, v16 :: v_dual_add_nc_u32 v23, v23, v1
	v_add_nc_u32_e32 v16, v17, v14
	v_cmp_eq_u32_e32 vcc_lo, 1, v11
	v_sub_nc_u32_e32 v11, v28, v13
	v_and_b32_e32 v13, 1, v50
	s_delay_alu instid0(VALU_DEP_4) | instskip(NEXT) | instid1(VALU_DEP_3)
	v_sub_nc_u32_e32 v16, v28, v16
	v_dual_cndmask_b32 v10, v10, v22 :: v_dual_add_nc_u32 v11, 10, v11
	v_cmp_eq_u32_e32 vcc_lo, 1, v24
	v_add_nc_u32_e32 v22, v3, v23
	s_delay_alu instid0(VALU_DEP_4) | instskip(NEXT) | instid1(VALU_DEP_4)
	v_add_nc_u32_e32 v16, 11, v16
	v_dual_cndmask_b32 v11, v11, v12 :: v_dual_lshlrev_b32 v10, 2, v10
	v_cmp_eq_u32_e32 vcc_lo, 1, v25
	s_delay_alu instid0(VALU_DEP_4) | instskip(SKIP_3) | instid1(VALU_DEP_4)
	v_sub_nc_u32_e32 v22, v28, v22
	v_and_b32_e32 v12, 1, v51
	v_cndmask_b32_e32 v14, v16, v14, vcc_lo
	v_cmp_eq_u32_e32 vcc_lo, 1, v13
	v_dual_cndmask_b32 v11, v11, v15 :: v_dual_add_nc_u32 v16, 12, v22
	s_delay_alu instid0(VALU_DEP_4) | instskip(NEXT) | instid1(VALU_DEP_2)
	v_cmp_eq_u32_e32 vcc_lo, 1, v12
	v_cndmask_b32_e64 v13, v16, v23, s43
	s_delay_alu instid0(VALU_DEP_3) | instskip(NEXT) | instid1(VALU_DEP_2)
	v_dual_cndmask_b32 v12, v14, v17 :: v_dual_lshlrev_b32 v11, 2, v11
	v_cndmask_b32_e64 v3, v13, v3, s42
	s_delay_alu instid0(VALU_DEP_2)
	v_lshlrev_b32_e32 v12, 2, v12
	ds_store_b32 v5, v8
	ds_store_b32 v10, v9
	;; [unrolled: 1-line block ×4, first 2 shown]
	v_lshlrev_b32_e32 v3, 2, v3
	v_add_co_u32 v5, s0, v2, v74
	s_delay_alu instid0(VALU_DEP_1) | instskip(SKIP_4) | instid1(VALU_DEP_2)
	v_add_co_ci_u32_e64 v6, null, 0, 0, s0
	ds_store_b32 v3, v27
	v_add_co_u32 v3, vcc_lo, v5, v20
	v_add_co_ci_u32_e32 v5, vcc_lo, v6, v21, vcc_lo
	s_add_u32 s0, s34, s33
	v_add_co_u32 v3, vcc_lo, v3, v18
	s_delay_alu instid0(VALU_DEP_2) | instskip(SKIP_1) | instid1(VALU_DEP_2)
	v_add_co_ci_u32_e32 v5, vcc_lo, v5, v19, vcc_lo
	s_addc_u32 s1, s35, 0
	v_sub_co_u32 v3, vcc_lo, s0, v3
	s_delay_alu instid0(VALU_DEP_2)
	v_sub_co_ci_u32_e32 v9, vcc_lo, s1, v5, vcc_lo
	v_lshlrev_b64 v[5:6], 2, v[20:21]
	v_lshlrev_b64 v[7:8], 2, v[18:19]
	v_add_nc_u32_e32 v10, v1, v2
	s_add_u32 s1, s26, -4
	s_waitcnt lgkmcnt(0)
	s_barrier
	v_add_co_u32 v5, vcc_lo, s38, v5
	v_add_co_ci_u32_e32 v6, vcc_lo, s39, v6, vcc_lo
	v_cmp_ne_u32_e32 vcc_lo, 1, v26
	v_add_co_u32 v7, s0, s36, v7
	s_delay_alu instid0(VALU_DEP_1)
	v_add_co_ci_u32_e64 v8, s0, s37, v8, s0
	s_addc_u32 s0, s27, -1
	buffer_gl0_inv
	s_cbranch_vccz .LBB1697_133
; %bb.130:
	s_and_b32 vcc_lo, exec_lo, s2
	s_cbranch_vccnz .LBB1697_238
.LBB1697_131:
	v_cmp_eq_u32_e32 vcc_lo, 0, v0
	s_and_b32 s0, vcc_lo, s14
	s_delay_alu instid0(SALU_CYCLE_1)
	s_and_saveexec_b32 s1, s0
	s_cbranch_execnz .LBB1697_356
.LBB1697_132:
	s_nop 0
	s_sendmsg sendmsg(MSG_DEALLOC_VGPRS)
	s_endpgm
.LBB1697_133:
	s_mov_b32 s2, exec_lo
	v_cmpx_le_u32_e64 v1, v0
	s_xor_b32 s2, exec_lo, s2
	s_cbranch_execz .LBB1697_139
; %bb.134:
	s_mov_b32 s4, exec_lo
	v_cmpx_le_u32_e64 v10, v0
	s_xor_b32 s4, exec_lo, s4
	s_cbranch_execz .LBB1697_136
; %bb.135:
	v_lshlrev_b32_e32 v11, 2, v0
	ds_load_b32 v13, v11
	v_add_co_u32 v11, vcc_lo, v3, v0
	v_add_co_ci_u32_e32 v12, vcc_lo, 0, v9, vcc_lo
	s_delay_alu instid0(VALU_DEP_1) | instskip(NEXT) | instid1(VALU_DEP_1)
	v_lshlrev_b64 v[11:12], 2, v[11:12]
	v_sub_co_u32 v11, vcc_lo, s26, v11
	s_delay_alu instid0(VALU_DEP_2)
	v_sub_co_ci_u32_e32 v12, vcc_lo, s27, v12, vcc_lo
	s_waitcnt lgkmcnt(0)
	global_store_b32 v[11:12], v13, off offset:-4
.LBB1697_136:
	s_and_not1_saveexec_b32 s4, s4
	s_cbranch_execz .LBB1697_138
; %bb.137:
	v_lshlrev_b32_e32 v11, 2, v0
	v_readfirstlane_b32 s6, v5
	v_readfirstlane_b32 s7, v6
	ds_load_b32 v12, v11
	s_waitcnt lgkmcnt(0)
	global_store_b32 v11, v12, s[6:7]
.LBB1697_138:
	s_or_b32 exec_lo, exec_lo, s4
.LBB1697_139:
	s_and_not1_saveexec_b32 s2, s2
	s_cbranch_execz .LBB1697_141
; %bb.140:
	v_lshlrev_b32_e32 v11, 2, v0
	v_readfirstlane_b32 s4, v7
	v_readfirstlane_b32 s5, v8
	ds_load_b32 v12, v11
	s_waitcnt lgkmcnt(0)
	global_store_b32 v11, v12, s[4:5]
.LBB1697_141:
	s_or_b32 exec_lo, exec_lo, s2
	v_or_b32_e32 v11, 0x100, v0
	s_mov_b32 s2, exec_lo
	s_delay_alu instid0(VALU_DEP_1)
	v_cmpx_le_u32_e64 v1, v11
	s_xor_b32 s2, exec_lo, s2
	s_cbranch_execz .LBB1697_147
; %bb.142:
	s_mov_b32 s4, exec_lo
	v_cmpx_le_u32_e64 v10, v11
	s_xor_b32 s4, exec_lo, s4
	s_cbranch_execz .LBB1697_144
; %bb.143:
	v_lshlrev_b32_e32 v11, 2, v0
	ds_load_b32 v13, v11 offset:1024
	v_add_co_u32 v11, vcc_lo, v3, v0
	v_add_co_ci_u32_e32 v12, vcc_lo, 0, v9, vcc_lo
	s_delay_alu instid0(VALU_DEP_1) | instskip(NEXT) | instid1(VALU_DEP_1)
	v_lshlrev_b64 v[11:12], 2, v[11:12]
	v_sub_co_u32 v11, vcc_lo, s1, v11
	s_delay_alu instid0(VALU_DEP_2)
	v_sub_co_ci_u32_e32 v12, vcc_lo, s0, v12, vcc_lo
	s_waitcnt lgkmcnt(0)
	global_store_b32 v[11:12], v13, off offset:-1024
.LBB1697_144:
	s_and_not1_saveexec_b32 s4, s4
	s_cbranch_execz .LBB1697_146
; %bb.145:
	v_lshlrev_b32_e32 v11, 2, v0
	v_readfirstlane_b32 s6, v5
	v_readfirstlane_b32 s7, v6
	ds_load_b32 v12, v11 offset:1024
	s_waitcnt lgkmcnt(0)
	global_store_b32 v11, v12, s[6:7] offset:1024
.LBB1697_146:
	s_or_b32 exec_lo, exec_lo, s4
.LBB1697_147:
	s_and_not1_saveexec_b32 s2, s2
	s_cbranch_execz .LBB1697_149
; %bb.148:
	v_lshlrev_b32_e32 v11, 2, v0
	v_readfirstlane_b32 s4, v7
	v_readfirstlane_b32 s5, v8
	ds_load_b32 v12, v11 offset:1024
	s_waitcnt lgkmcnt(0)
	global_store_b32 v11, v12, s[4:5] offset:1024
.LBB1697_149:
	s_or_b32 exec_lo, exec_lo, s2
	v_or_b32_e32 v11, 0x200, v0
	s_mov_b32 s2, exec_lo
	s_delay_alu instid0(VALU_DEP_1)
	v_cmpx_le_u32_e64 v1, v11
	s_xor_b32 s2, exec_lo, s2
	s_cbranch_execz .LBB1697_155
; %bb.150:
	s_mov_b32 s4, exec_lo
	v_cmpx_le_u32_e64 v10, v11
	s_xor_b32 s4, exec_lo, s4
	s_cbranch_execz .LBB1697_152
; %bb.151:
	v_lshlrev_b32_e32 v11, 2, v0
	ds_load_b32 v13, v11 offset:2048
	v_add_co_u32 v11, vcc_lo, v3, v0
	v_add_co_ci_u32_e32 v12, vcc_lo, 0, v9, vcc_lo
	s_delay_alu instid0(VALU_DEP_1) | instskip(NEXT) | instid1(VALU_DEP_1)
	v_lshlrev_b64 v[11:12], 2, v[11:12]
	v_sub_co_u32 v11, vcc_lo, s1, v11
	s_delay_alu instid0(VALU_DEP_2)
	v_sub_co_ci_u32_e32 v12, vcc_lo, s0, v12, vcc_lo
	s_waitcnt lgkmcnt(0)
	global_store_b32 v[11:12], v13, off offset:-2048
.LBB1697_152:
	s_and_not1_saveexec_b32 s4, s4
	s_cbranch_execz .LBB1697_154
; %bb.153:
	v_lshlrev_b32_e32 v11, 2, v0
	v_readfirstlane_b32 s6, v5
	v_readfirstlane_b32 s7, v6
	ds_load_b32 v12, v11 offset:2048
	s_waitcnt lgkmcnt(0)
	global_store_b32 v11, v12, s[6:7] offset:2048
.LBB1697_154:
	s_or_b32 exec_lo, exec_lo, s4
.LBB1697_155:
	s_and_not1_saveexec_b32 s2, s2
	s_cbranch_execz .LBB1697_157
; %bb.156:
	v_lshlrev_b32_e32 v11, 2, v0
	v_readfirstlane_b32 s4, v7
	v_readfirstlane_b32 s5, v8
	ds_load_b32 v12, v11 offset:2048
	s_waitcnt lgkmcnt(0)
	global_store_b32 v11, v12, s[4:5] offset:2048
.LBB1697_157:
	;; [unrolled: 47-line block ×3, first 2 shown]
	s_or_b32 exec_lo, exec_lo, s2
	v_or_b32_e32 v11, 0x400, v0
	s_mov_b32 s2, exec_lo
	s_delay_alu instid0(VALU_DEP_1)
	v_cmpx_le_u32_e64 v1, v11
	s_xor_b32 s2, exec_lo, s2
	s_cbranch_execz .LBB1697_171
; %bb.166:
	s_mov_b32 s4, exec_lo
	v_cmpx_le_u32_e64 v10, v11
	s_xor_b32 s4, exec_lo, s4
	s_cbranch_execz .LBB1697_168
; %bb.167:
	v_lshlrev_b32_e32 v11, 2, v0
	ds_load_b32 v13, v11 offset:4096
	v_add_co_u32 v11, vcc_lo, v3, v0
	v_add_co_ci_u32_e32 v12, vcc_lo, 0, v9, vcc_lo
	s_delay_alu instid0(VALU_DEP_1) | instskip(NEXT) | instid1(VALU_DEP_1)
	v_lshlrev_b64 v[11:12], 2, v[11:12]
	v_sub_co_u32 v11, vcc_lo, s1, v11
	s_delay_alu instid0(VALU_DEP_2)
	v_sub_co_ci_u32_e32 v12, vcc_lo, s0, v12, vcc_lo
	s_waitcnt lgkmcnt(0)
	global_store_b32 v[11:12], v13, off offset:-4096
                                        ; implicit-def: $vgpr11
.LBB1697_168:
	s_and_not1_saveexec_b32 s4, s4
	s_cbranch_execz .LBB1697_170
; %bb.169:
	v_lshlrev_b32_e32 v12, 2, v0
	v_lshlrev_b32_e32 v11, 2, v11
	v_readfirstlane_b32 s6, v5
	v_readfirstlane_b32 s7, v6
	ds_load_b32 v12, v12 offset:4096
	s_waitcnt lgkmcnt(0)
	global_store_b32 v11, v12, s[6:7]
.LBB1697_170:
	s_or_b32 exec_lo, exec_lo, s4
                                        ; implicit-def: $vgpr11
.LBB1697_171:
	s_and_not1_saveexec_b32 s2, s2
	s_cbranch_execz .LBB1697_173
; %bb.172:
	v_lshlrev_b32_e32 v12, 2, v0
	v_lshlrev_b32_e32 v11, 2, v11
	v_readfirstlane_b32 s4, v7
	v_readfirstlane_b32 s5, v8
	ds_load_b32 v12, v12 offset:4096
	s_waitcnt lgkmcnt(0)
	global_store_b32 v11, v12, s[4:5]
.LBB1697_173:
	s_or_b32 exec_lo, exec_lo, s2
	v_or_b32_e32 v11, 0x500, v0
	s_mov_b32 s2, exec_lo
	s_delay_alu instid0(VALU_DEP_1)
	v_cmpx_le_u32_e64 v1, v11
	s_xor_b32 s2, exec_lo, s2
	s_cbranch_execz .LBB1697_179
; %bb.174:
	s_mov_b32 s4, exec_lo
	v_cmpx_le_u32_e64 v10, v11
	s_xor_b32 s4, exec_lo, s4
	s_cbranch_execz .LBB1697_176
; %bb.175:
	v_lshlrev_b32_e32 v12, 2, v0
	v_add_co_u32 v11, vcc_lo, v3, v11
	ds_load_b32 v13, v12 offset:5120
	v_add_co_ci_u32_e32 v12, vcc_lo, 0, v9, vcc_lo
	s_delay_alu instid0(VALU_DEP_1) | instskip(NEXT) | instid1(VALU_DEP_1)
	v_lshlrev_b64 v[11:12], 2, v[11:12]
	v_sub_co_u32 v11, vcc_lo, s1, v11
	s_delay_alu instid0(VALU_DEP_2)
	v_sub_co_ci_u32_e32 v12, vcc_lo, s0, v12, vcc_lo
	s_waitcnt lgkmcnt(0)
	global_store_b32 v[11:12], v13, off
                                        ; implicit-def: $vgpr11
.LBB1697_176:
	s_and_not1_saveexec_b32 s4, s4
	s_cbranch_execz .LBB1697_178
; %bb.177:
	v_lshlrev_b32_e32 v12, 2, v0
	v_lshlrev_b32_e32 v11, 2, v11
	v_readfirstlane_b32 s6, v5
	v_readfirstlane_b32 s7, v6
	ds_load_b32 v12, v12 offset:5120
	s_waitcnt lgkmcnt(0)
	global_store_b32 v11, v12, s[6:7]
.LBB1697_178:
	s_or_b32 exec_lo, exec_lo, s4
                                        ; implicit-def: $vgpr11
.LBB1697_179:
	s_and_not1_saveexec_b32 s2, s2
	s_cbranch_execz .LBB1697_181
; %bb.180:
	v_lshlrev_b32_e32 v12, 2, v0
	v_lshlrev_b32_e32 v11, 2, v11
	v_readfirstlane_b32 s4, v7
	v_readfirstlane_b32 s5, v8
	ds_load_b32 v12, v12 offset:5120
	s_waitcnt lgkmcnt(0)
	global_store_b32 v11, v12, s[4:5]
.LBB1697_181:
	s_or_b32 exec_lo, exec_lo, s2
	v_or_b32_e32 v11, 0x600, v0
	s_mov_b32 s2, exec_lo
	s_delay_alu instid0(VALU_DEP_1)
	v_cmpx_le_u32_e64 v1, v11
	s_xor_b32 s2, exec_lo, s2
	s_cbranch_execz .LBB1697_187
; %bb.182:
	s_mov_b32 s4, exec_lo
	v_cmpx_le_u32_e64 v10, v11
	s_xor_b32 s4, exec_lo, s4
	s_cbranch_execz .LBB1697_184
; %bb.183:
	v_lshlrev_b32_e32 v12, 2, v0
	v_add_co_u32 v11, vcc_lo, v3, v11
	ds_load_b32 v13, v12 offset:6144
	v_add_co_ci_u32_e32 v12, vcc_lo, 0, v9, vcc_lo
	s_delay_alu instid0(VALU_DEP_1) | instskip(NEXT) | instid1(VALU_DEP_1)
	v_lshlrev_b64 v[11:12], 2, v[11:12]
	v_sub_co_u32 v11, vcc_lo, s1, v11
	s_delay_alu instid0(VALU_DEP_2)
	v_sub_co_ci_u32_e32 v12, vcc_lo, s0, v12, vcc_lo
	s_waitcnt lgkmcnt(0)
	global_store_b32 v[11:12], v13, off
                                        ; implicit-def: $vgpr11
.LBB1697_184:
	s_and_not1_saveexec_b32 s4, s4
	s_cbranch_execz .LBB1697_186
; %bb.185:
	v_lshlrev_b32_e32 v12, 2, v0
	v_lshlrev_b32_e32 v11, 2, v11
	v_readfirstlane_b32 s6, v5
	v_readfirstlane_b32 s7, v6
	ds_load_b32 v12, v12 offset:6144
	s_waitcnt lgkmcnt(0)
	global_store_b32 v11, v12, s[6:7]
.LBB1697_186:
	s_or_b32 exec_lo, exec_lo, s4
                                        ; implicit-def: $vgpr11
.LBB1697_187:
	;; [unrolled: 51-line block ×8, first 2 shown]
	s_and_not1_saveexec_b32 s2, s2
	s_cbranch_execz .LBB1697_237
; %bb.236:
	v_lshlrev_b32_e32 v12, 2, v0
	v_lshlrev_b32_e32 v11, 2, v11
	v_readfirstlane_b32 s4, v7
	v_readfirstlane_b32 s5, v8
	ds_load_b32 v12, v12 offset:12288
	s_waitcnt lgkmcnt(0)
	global_store_b32 v11, v12, s[4:5]
.LBB1697_237:
	s_or_b32 exec_lo, exec_lo, s2
	s_branch .LBB1697_131
.LBB1697_238:
	s_mov_b32 s2, exec_lo
	v_cmpx_gt_u32_e64 s3, v0
	s_cbranch_execz .LBB1697_247
; %bb.239:
	s_mov_b32 s4, exec_lo
	v_cmpx_le_u32_e64 v1, v0
	s_xor_b32 s4, exec_lo, s4
	s_cbranch_execz .LBB1697_245
; %bb.240:
	s_mov_b32 s5, exec_lo
	v_cmpx_le_u32_e64 v10, v0
	s_xor_b32 s5, exec_lo, s5
	s_cbranch_execz .LBB1697_242
; %bb.241:
	v_lshlrev_b32_e32 v11, 2, v0
	ds_load_b32 v13, v11
	v_add_co_u32 v11, vcc_lo, v3, v0
	v_add_co_ci_u32_e32 v12, vcc_lo, 0, v9, vcc_lo
	s_delay_alu instid0(VALU_DEP_1) | instskip(NEXT) | instid1(VALU_DEP_1)
	v_lshlrev_b64 v[11:12], 2, v[11:12]
	v_sub_co_u32 v11, vcc_lo, s26, v11
	s_delay_alu instid0(VALU_DEP_2)
	v_sub_co_ci_u32_e32 v12, vcc_lo, s27, v12, vcc_lo
	s_waitcnt lgkmcnt(0)
	global_store_b32 v[11:12], v13, off offset:-4
.LBB1697_242:
	s_and_not1_saveexec_b32 s5, s5
	s_cbranch_execz .LBB1697_244
; %bb.243:
	v_lshlrev_b32_e32 v11, 2, v0
	v_readfirstlane_b32 s6, v5
	v_readfirstlane_b32 s7, v6
	ds_load_b32 v12, v11
	s_waitcnt lgkmcnt(0)
	global_store_b32 v11, v12, s[6:7]
.LBB1697_244:
	s_or_b32 exec_lo, exec_lo, s5
.LBB1697_245:
	s_and_not1_saveexec_b32 s4, s4
	s_cbranch_execz .LBB1697_247
; %bb.246:
	v_lshlrev_b32_e32 v11, 2, v0
	v_readfirstlane_b32 s4, v7
	v_readfirstlane_b32 s5, v8
	ds_load_b32 v12, v11
	s_waitcnt lgkmcnt(0)
	global_store_b32 v11, v12, s[4:5]
.LBB1697_247:
	s_or_b32 exec_lo, exec_lo, s2
	v_or_b32_e32 v11, 0x100, v0
	s_mov_b32 s2, exec_lo
	s_delay_alu instid0(VALU_DEP_1)
	v_cmpx_gt_u32_e64 s3, v11
	s_cbranch_execz .LBB1697_256
; %bb.248:
	s_mov_b32 s4, exec_lo
	v_cmpx_le_u32_e64 v1, v11
	s_xor_b32 s4, exec_lo, s4
	s_cbranch_execz .LBB1697_254
; %bb.249:
	s_mov_b32 s5, exec_lo
	v_cmpx_le_u32_e64 v10, v11
	s_xor_b32 s5, exec_lo, s5
	s_cbranch_execz .LBB1697_251
; %bb.250:
	v_lshlrev_b32_e32 v11, 2, v0
	ds_load_b32 v13, v11 offset:1024
	v_add_co_u32 v11, vcc_lo, v3, v0
	v_add_co_ci_u32_e32 v12, vcc_lo, 0, v9, vcc_lo
	s_delay_alu instid0(VALU_DEP_1) | instskip(NEXT) | instid1(VALU_DEP_1)
	v_lshlrev_b64 v[11:12], 2, v[11:12]
	v_sub_co_u32 v11, vcc_lo, s1, v11
	s_delay_alu instid0(VALU_DEP_2)
	v_sub_co_ci_u32_e32 v12, vcc_lo, s0, v12, vcc_lo
	s_waitcnt lgkmcnt(0)
	global_store_b32 v[11:12], v13, off offset:-1024
.LBB1697_251:
	s_and_not1_saveexec_b32 s5, s5
	s_cbranch_execz .LBB1697_253
; %bb.252:
	v_lshlrev_b32_e32 v11, 2, v0
	v_readfirstlane_b32 s6, v5
	v_readfirstlane_b32 s7, v6
	ds_load_b32 v12, v11 offset:1024
	s_waitcnt lgkmcnt(0)
	global_store_b32 v11, v12, s[6:7] offset:1024
.LBB1697_253:
	s_or_b32 exec_lo, exec_lo, s5
.LBB1697_254:
	s_and_not1_saveexec_b32 s4, s4
	s_cbranch_execz .LBB1697_256
; %bb.255:
	v_lshlrev_b32_e32 v11, 2, v0
	v_readfirstlane_b32 s4, v7
	v_readfirstlane_b32 s5, v8
	ds_load_b32 v12, v11 offset:1024
	s_waitcnt lgkmcnt(0)
	global_store_b32 v11, v12, s[4:5] offset:1024
.LBB1697_256:
	s_or_b32 exec_lo, exec_lo, s2
	v_or_b32_e32 v11, 0x200, v0
	s_mov_b32 s2, exec_lo
	s_delay_alu instid0(VALU_DEP_1)
	v_cmpx_gt_u32_e64 s3, v11
	s_cbranch_execz .LBB1697_265
; %bb.257:
	s_mov_b32 s4, exec_lo
	v_cmpx_le_u32_e64 v1, v11
	s_xor_b32 s4, exec_lo, s4
	s_cbranch_execz .LBB1697_263
; %bb.258:
	s_mov_b32 s5, exec_lo
	v_cmpx_le_u32_e64 v10, v11
	s_xor_b32 s5, exec_lo, s5
	s_cbranch_execz .LBB1697_260
; %bb.259:
	v_lshlrev_b32_e32 v11, 2, v0
	ds_load_b32 v13, v11 offset:2048
	v_add_co_u32 v11, vcc_lo, v3, v0
	v_add_co_ci_u32_e32 v12, vcc_lo, 0, v9, vcc_lo
	s_delay_alu instid0(VALU_DEP_1) | instskip(NEXT) | instid1(VALU_DEP_1)
	v_lshlrev_b64 v[11:12], 2, v[11:12]
	v_sub_co_u32 v11, vcc_lo, s1, v11
	s_delay_alu instid0(VALU_DEP_2)
	v_sub_co_ci_u32_e32 v12, vcc_lo, s0, v12, vcc_lo
	s_waitcnt lgkmcnt(0)
	global_store_b32 v[11:12], v13, off offset:-2048
.LBB1697_260:
	s_and_not1_saveexec_b32 s5, s5
	s_cbranch_execz .LBB1697_262
; %bb.261:
	v_lshlrev_b32_e32 v11, 2, v0
	v_readfirstlane_b32 s6, v5
	v_readfirstlane_b32 s7, v6
	ds_load_b32 v12, v11 offset:2048
	s_waitcnt lgkmcnt(0)
	global_store_b32 v11, v12, s[6:7] offset:2048
.LBB1697_262:
	s_or_b32 exec_lo, exec_lo, s5
.LBB1697_263:
	s_and_not1_saveexec_b32 s4, s4
	s_cbranch_execz .LBB1697_265
; %bb.264:
	v_lshlrev_b32_e32 v11, 2, v0
	v_readfirstlane_b32 s4, v7
	v_readfirstlane_b32 s5, v8
	ds_load_b32 v12, v11 offset:2048
	s_waitcnt lgkmcnt(0)
	global_store_b32 v11, v12, s[4:5] offset:2048
.LBB1697_265:
	;; [unrolled: 51-line block ×3, first 2 shown]
	s_or_b32 exec_lo, exec_lo, s2
	v_or_b32_e32 v11, 0x400, v0
	s_mov_b32 s2, exec_lo
	s_delay_alu instid0(VALU_DEP_1)
	v_cmpx_gt_u32_e64 s3, v11
	s_cbranch_execz .LBB1697_283
; %bb.275:
	s_mov_b32 s4, exec_lo
	v_cmpx_le_u32_e64 v1, v11
	s_xor_b32 s4, exec_lo, s4
	s_cbranch_execz .LBB1697_281
; %bb.276:
	s_mov_b32 s5, exec_lo
	v_cmpx_le_u32_e64 v10, v11
	s_xor_b32 s5, exec_lo, s5
	s_cbranch_execz .LBB1697_278
; %bb.277:
	v_lshlrev_b32_e32 v11, 2, v0
	ds_load_b32 v13, v11 offset:4096
	v_add_co_u32 v11, vcc_lo, v3, v0
	v_add_co_ci_u32_e32 v12, vcc_lo, 0, v9, vcc_lo
	s_delay_alu instid0(VALU_DEP_1) | instskip(NEXT) | instid1(VALU_DEP_1)
	v_lshlrev_b64 v[11:12], 2, v[11:12]
	v_sub_co_u32 v11, vcc_lo, s1, v11
	s_delay_alu instid0(VALU_DEP_2)
	v_sub_co_ci_u32_e32 v12, vcc_lo, s0, v12, vcc_lo
	s_waitcnt lgkmcnt(0)
	global_store_b32 v[11:12], v13, off offset:-4096
                                        ; implicit-def: $vgpr11
.LBB1697_278:
	s_and_not1_saveexec_b32 s5, s5
	s_cbranch_execz .LBB1697_280
; %bb.279:
	v_lshlrev_b32_e32 v12, 2, v0
	v_lshlrev_b32_e32 v11, 2, v11
	v_readfirstlane_b32 s6, v5
	v_readfirstlane_b32 s7, v6
	ds_load_b32 v12, v12 offset:4096
	s_waitcnt lgkmcnt(0)
	global_store_b32 v11, v12, s[6:7]
.LBB1697_280:
	s_or_b32 exec_lo, exec_lo, s5
                                        ; implicit-def: $vgpr11
.LBB1697_281:
	s_and_not1_saveexec_b32 s4, s4
	s_cbranch_execz .LBB1697_283
; %bb.282:
	v_lshlrev_b32_e32 v12, 2, v0
	v_lshlrev_b32_e32 v11, 2, v11
	v_readfirstlane_b32 s4, v7
	v_readfirstlane_b32 s5, v8
	ds_load_b32 v12, v12 offset:4096
	s_waitcnt lgkmcnt(0)
	global_store_b32 v11, v12, s[4:5]
.LBB1697_283:
	s_or_b32 exec_lo, exec_lo, s2
	v_or_b32_e32 v11, 0x500, v0
	s_mov_b32 s2, exec_lo
	s_delay_alu instid0(VALU_DEP_1)
	v_cmpx_gt_u32_e64 s3, v11
	s_cbranch_execz .LBB1697_292
; %bb.284:
	s_mov_b32 s4, exec_lo
	v_cmpx_le_u32_e64 v1, v11
	s_xor_b32 s4, exec_lo, s4
	s_cbranch_execz .LBB1697_290
; %bb.285:
	s_mov_b32 s5, exec_lo
	v_cmpx_le_u32_e64 v10, v11
	s_xor_b32 s5, exec_lo, s5
	s_cbranch_execz .LBB1697_287
; %bb.286:
	v_lshlrev_b32_e32 v12, 2, v0
	v_add_co_u32 v11, vcc_lo, v3, v11
	ds_load_b32 v13, v12 offset:5120
	v_add_co_ci_u32_e32 v12, vcc_lo, 0, v9, vcc_lo
	s_delay_alu instid0(VALU_DEP_1) | instskip(NEXT) | instid1(VALU_DEP_1)
	v_lshlrev_b64 v[11:12], 2, v[11:12]
	v_sub_co_u32 v11, vcc_lo, s1, v11
	s_delay_alu instid0(VALU_DEP_2)
	v_sub_co_ci_u32_e32 v12, vcc_lo, s0, v12, vcc_lo
	s_waitcnt lgkmcnt(0)
	global_store_b32 v[11:12], v13, off
                                        ; implicit-def: $vgpr11
.LBB1697_287:
	s_and_not1_saveexec_b32 s5, s5
	s_cbranch_execz .LBB1697_289
; %bb.288:
	v_lshlrev_b32_e32 v12, 2, v0
	v_lshlrev_b32_e32 v11, 2, v11
	v_readfirstlane_b32 s6, v5
	v_readfirstlane_b32 s7, v6
	ds_load_b32 v12, v12 offset:5120
	s_waitcnt lgkmcnt(0)
	global_store_b32 v11, v12, s[6:7]
.LBB1697_289:
	s_or_b32 exec_lo, exec_lo, s5
                                        ; implicit-def: $vgpr11
.LBB1697_290:
	s_and_not1_saveexec_b32 s4, s4
	s_cbranch_execz .LBB1697_292
; %bb.291:
	v_lshlrev_b32_e32 v12, 2, v0
	v_lshlrev_b32_e32 v11, 2, v11
	v_readfirstlane_b32 s4, v7
	v_readfirstlane_b32 s5, v8
	ds_load_b32 v12, v12 offset:5120
	s_waitcnt lgkmcnt(0)
	global_store_b32 v11, v12, s[4:5]
.LBB1697_292:
	s_or_b32 exec_lo, exec_lo, s2
	v_or_b32_e32 v11, 0x600, v0
	s_mov_b32 s2, exec_lo
	s_delay_alu instid0(VALU_DEP_1)
	v_cmpx_gt_u32_e64 s3, v11
	s_cbranch_execz .LBB1697_301
; %bb.293:
	s_mov_b32 s4, exec_lo
	v_cmpx_le_u32_e64 v1, v11
	s_xor_b32 s4, exec_lo, s4
	s_cbranch_execz .LBB1697_299
; %bb.294:
	s_mov_b32 s5, exec_lo
	v_cmpx_le_u32_e64 v10, v11
	s_xor_b32 s5, exec_lo, s5
	s_cbranch_execz .LBB1697_296
; %bb.295:
	v_lshlrev_b32_e32 v12, 2, v0
	v_add_co_u32 v11, vcc_lo, v3, v11
	ds_load_b32 v13, v12 offset:6144
	v_add_co_ci_u32_e32 v12, vcc_lo, 0, v9, vcc_lo
	s_delay_alu instid0(VALU_DEP_1) | instskip(NEXT) | instid1(VALU_DEP_1)
	v_lshlrev_b64 v[11:12], 2, v[11:12]
	v_sub_co_u32 v11, vcc_lo, s1, v11
	s_delay_alu instid0(VALU_DEP_2)
	v_sub_co_ci_u32_e32 v12, vcc_lo, s0, v12, vcc_lo
	s_waitcnt lgkmcnt(0)
	global_store_b32 v[11:12], v13, off
                                        ; implicit-def: $vgpr11
.LBB1697_296:
	s_and_not1_saveexec_b32 s5, s5
	s_cbranch_execz .LBB1697_298
; %bb.297:
	v_lshlrev_b32_e32 v12, 2, v0
	v_lshlrev_b32_e32 v11, 2, v11
	v_readfirstlane_b32 s6, v5
	v_readfirstlane_b32 s7, v6
	ds_load_b32 v12, v12 offset:6144
	s_waitcnt lgkmcnt(0)
	global_store_b32 v11, v12, s[6:7]
.LBB1697_298:
	s_or_b32 exec_lo, exec_lo, s5
                                        ; implicit-def: $vgpr11
.LBB1697_299:
	s_and_not1_saveexec_b32 s4, s4
	s_cbranch_execz .LBB1697_301
; %bb.300:
	v_lshlrev_b32_e32 v12, 2, v0
	v_lshlrev_b32_e32 v11, 2, v11
	v_readfirstlane_b32 s4, v7
	v_readfirstlane_b32 s5, v8
	ds_load_b32 v12, v12 offset:6144
	s_waitcnt lgkmcnt(0)
	global_store_b32 v11, v12, s[4:5]
.LBB1697_301:
	;; [unrolled: 55-line block ×7, first 2 shown]
	s_or_b32 exec_lo, exec_lo, s2
	v_or_b32_e32 v11, 0xc00, v0
	s_mov_b32 s2, exec_lo
	s_delay_alu instid0(VALU_DEP_1)
	v_cmpx_gt_u32_e64 s3, v11
	s_cbranch_execz .LBB1697_355
; %bb.347:
	s_mov_b32 s3, exec_lo
	v_cmpx_le_u32_e64 v1, v11
	s_xor_b32 s3, exec_lo, s3
	s_cbranch_execz .LBB1697_353
; %bb.348:
	s_mov_b32 s4, exec_lo
	v_cmpx_le_u32_e64 v10, v11
	s_xor_b32 s4, exec_lo, s4
	s_cbranch_execz .LBB1697_350
; %bb.349:
	v_lshlrev_b32_e32 v5, 2, v0
	ds_load_b32 v7, v5 offset:12288
	v_add_co_u32 v5, vcc_lo, v3, v11
	v_add_co_ci_u32_e32 v6, vcc_lo, 0, v9, vcc_lo
                                        ; implicit-def: $vgpr11
	s_delay_alu instid0(VALU_DEP_1) | instskip(NEXT) | instid1(VALU_DEP_1)
	v_lshlrev_b64 v[5:6], 2, v[5:6]
	v_sub_co_u32 v5, vcc_lo, s1, v5
	s_delay_alu instid0(VALU_DEP_2)
	v_sub_co_ci_u32_e32 v6, vcc_lo, s0, v6, vcc_lo
	s_waitcnt lgkmcnt(0)
	global_store_b32 v[5:6], v7, off
                                        ; implicit-def: $vgpr5_vgpr6
.LBB1697_350:
	s_and_not1_saveexec_b32 s0, s4
	s_cbranch_execz .LBB1697_352
; %bb.351:
	v_lshlrev_b32_e32 v3, 2, v0
	v_lshlrev_b32_e32 v7, 2, v11
	v_readfirstlane_b32 s4, v5
	v_readfirstlane_b32 s5, v6
	ds_load_b32 v3, v3 offset:12288
	s_waitcnt lgkmcnt(0)
	global_store_b32 v7, v3, s[4:5]
.LBB1697_352:
	s_or_b32 exec_lo, exec_lo, s0
                                        ; implicit-def: $vgpr11
                                        ; implicit-def: $vgpr7_vgpr8
.LBB1697_353:
	s_and_not1_saveexec_b32 s0, s3
	s_cbranch_execz .LBB1697_355
; %bb.354:
	v_lshlrev_b32_e32 v3, 2, v0
	v_lshlrev_b32_e32 v5, 2, v11
	v_readfirstlane_b32 s0, v7
	v_readfirstlane_b32 s1, v8
	ds_load_b32 v3, v3 offset:12288
	s_waitcnt lgkmcnt(0)
	global_store_b32 v5, v3, s[0:1]
.LBB1697_355:
	s_or_b32 exec_lo, exec_lo, s2
	v_cmp_eq_u32_e32 vcc_lo, 0, v0
	s_and_b32 s0, vcc_lo, s14
	s_delay_alu instid0(SALU_CYCLE_1)
	s_and_saveexec_b32 s1, s0
	s_cbranch_execz .LBB1697_132
.LBB1697_356:
	v_add_co_u32 v2, s0, s30, v2
	s_delay_alu instid0(VALU_DEP_1) | instskip(SKIP_2) | instid1(VALU_DEP_4)
	v_add_co_ci_u32_e64 v3, null, s31, 0, s0
	v_add_co_u32 v0, vcc_lo, v18, v1
	v_add_co_ci_u32_e32 v1, vcc_lo, 0, v19, vcc_lo
	v_add_co_u32 v2, vcc_lo, v2, v4
	v_mov_b32_e32 v5, 0
	v_add_co_ci_u32_e32 v3, vcc_lo, 0, v3, vcc_lo
	global_store_b128 v5, v[0:3], s[24:25]
	s_nop 0
	s_sendmsg sendmsg(MSG_DEALLOC_VGPRS)
	s_endpgm
.LBB1697_357:
	v_add_nc_u32_e32 v3, s7, v23
	s_add_i32 s10, s15, 32
	s_mov_b32 s11, 0
	v_dual_mov_b32 v5, 0 :: v_dual_add_nc_u32 v2, v22, v1
	s_lshl_b64 s[10:11], s[10:11], 4
	v_and_b32_e32 v20, 0xff0000, v3
	s_add_u32 s10, s4, s10
	s_addc_u32 s11, s5, s11
	v_and_b32_e32 v4, 0xff000000, v3
	s_delay_alu instid0(VALU_DEP_1) | instskip(SKIP_2) | instid1(VALU_DEP_1)
	v_or_b32_e32 v20, v20, v4
	v_dual_mov_b32 v4, 2 :: v_dual_and_b32 v21, 0xff00, v3
	v_and_b32_e32 v3, 0xff, v3
	v_or3_b32 v3, v20, v21, v3
	v_dual_mov_b32 v21, s11 :: v_dual_mov_b32 v20, s10
	;;#ASMSTART
	global_store_dwordx4 v[20:21], v[2:5] off	
s_waitcnt vmcnt(0)
	;;#ASMEND
	s_or_b32 exec_lo, exec_lo, s8
	s_and_saveexec_b32 s8, s2
	s_cbranch_execz .LBB1697_116
.LBB1697_358:
	v_mov_b32_e32 v2, s7
	v_add_nc_u32_e64 v3, 0x3400, 0
	ds_store_2addr_b32 v3, v1, v2 offset1:2
	ds_store_2addr_b32 v3, v22, v23 offset0:4 offset1:6
	s_or_b32 exec_lo, exec_lo, s8
	v_cmp_eq_u32_e32 vcc_lo, 0, v0
	s_and_b32 exec_lo, exec_lo, vcc_lo
	s_cbranch_execnz .LBB1697_117
	s_branch .LBB1697_118
	.section	.rodata,"a",@progbits
	.p2align	6, 0x0
	.amdhsa_kernel _ZN7rocprim17ROCPRIM_400000_NS6detail17trampoline_kernelINS0_13select_configILj256ELj13ELNS0_17block_load_methodE3ELS4_3ELS4_3ELNS0_20block_scan_algorithmE0ELj4294967295EEENS1_25partition_config_selectorILNS1_17partition_subalgoE4EjNS0_10empty_typeEbEEZZNS1_14partition_implILS8_4ELb0ES6_15HIP_vector_typeIjLj2EENS0_17counting_iteratorIjlEEPS9_SG_NS0_5tupleIJPjSI_NS0_16reverse_iteratorISI_EEEEENSH_IJSG_SG_SG_EEES9_SI_JZNS1_25segmented_radix_sort_implINS0_14default_configELb1EPK6__halfPSP_PKlPlN2at6native12_GLOBAL__N_18offset_tEEE10hipError_tPvRmT1_PNSt15iterator_traitsIS13_E10value_typeET2_T3_PNS14_IS19_E10value_typeET4_jRbjT5_S1F_jjP12ihipStream_tbEUljE_ZNSN_ISO_Lb1ESR_SS_SU_SV_SZ_EES10_S11_S12_S13_S17_S18_S19_S1C_S1D_jS1E_jS1F_S1F_jjS1H_bEUljE0_EEES10_S11_S12_S19_S1D_S1F_T6_T7_T9_mT8_S1H_bDpT10_ENKUlT_T0_E_clISt17integral_constantIbLb1EES1U_IbLb0EEEEDaS1Q_S1R_EUlS1Q_E_NS1_11comp_targetILNS1_3genE9ELNS1_11target_archE1100ELNS1_3gpuE3ELNS1_3repE0EEENS1_30default_config_static_selectorELNS0_4arch9wavefront6targetE0EEEvS13_
		.amdhsa_group_segment_fixed_size 13340
		.amdhsa_private_segment_fixed_size 0
		.amdhsa_kernarg_size 176
		.amdhsa_user_sgpr_count 15
		.amdhsa_user_sgpr_dispatch_ptr 0
		.amdhsa_user_sgpr_queue_ptr 0
		.amdhsa_user_sgpr_kernarg_segment_ptr 1
		.amdhsa_user_sgpr_dispatch_id 0
		.amdhsa_user_sgpr_private_segment_size 0
		.amdhsa_wavefront_size32 1
		.amdhsa_uses_dynamic_stack 0
		.amdhsa_enable_private_segment 0
		.amdhsa_system_sgpr_workgroup_id_x 1
		.amdhsa_system_sgpr_workgroup_id_y 0
		.amdhsa_system_sgpr_workgroup_id_z 0
		.amdhsa_system_sgpr_workgroup_info 0
		.amdhsa_system_vgpr_workitem_id 0
		.amdhsa_next_free_vgpr 98
		.amdhsa_next_free_sgpr 59
		.amdhsa_reserve_vcc 1
		.amdhsa_float_round_mode_32 0
		.amdhsa_float_round_mode_16_64 0
		.amdhsa_float_denorm_mode_32 3
		.amdhsa_float_denorm_mode_16_64 3
		.amdhsa_dx10_clamp 1
		.amdhsa_ieee_mode 1
		.amdhsa_fp16_overflow 0
		.amdhsa_workgroup_processor_mode 1
		.amdhsa_memory_ordered 1
		.amdhsa_forward_progress 0
		.amdhsa_shared_vgpr_count 0
		.amdhsa_exception_fp_ieee_invalid_op 0
		.amdhsa_exception_fp_denorm_src 0
		.amdhsa_exception_fp_ieee_div_zero 0
		.amdhsa_exception_fp_ieee_overflow 0
		.amdhsa_exception_fp_ieee_underflow 0
		.amdhsa_exception_fp_ieee_inexact 0
		.amdhsa_exception_int_div_zero 0
	.end_amdhsa_kernel
	.section	.text._ZN7rocprim17ROCPRIM_400000_NS6detail17trampoline_kernelINS0_13select_configILj256ELj13ELNS0_17block_load_methodE3ELS4_3ELS4_3ELNS0_20block_scan_algorithmE0ELj4294967295EEENS1_25partition_config_selectorILNS1_17partition_subalgoE4EjNS0_10empty_typeEbEEZZNS1_14partition_implILS8_4ELb0ES6_15HIP_vector_typeIjLj2EENS0_17counting_iteratorIjlEEPS9_SG_NS0_5tupleIJPjSI_NS0_16reverse_iteratorISI_EEEEENSH_IJSG_SG_SG_EEES9_SI_JZNS1_25segmented_radix_sort_implINS0_14default_configELb1EPK6__halfPSP_PKlPlN2at6native12_GLOBAL__N_18offset_tEEE10hipError_tPvRmT1_PNSt15iterator_traitsIS13_E10value_typeET2_T3_PNS14_IS19_E10value_typeET4_jRbjT5_S1F_jjP12ihipStream_tbEUljE_ZNSN_ISO_Lb1ESR_SS_SU_SV_SZ_EES10_S11_S12_S13_S17_S18_S19_S1C_S1D_jS1E_jS1F_S1F_jjS1H_bEUljE0_EEES10_S11_S12_S19_S1D_S1F_T6_T7_T9_mT8_S1H_bDpT10_ENKUlT_T0_E_clISt17integral_constantIbLb1EES1U_IbLb0EEEEDaS1Q_S1R_EUlS1Q_E_NS1_11comp_targetILNS1_3genE9ELNS1_11target_archE1100ELNS1_3gpuE3ELNS1_3repE0EEENS1_30default_config_static_selectorELNS0_4arch9wavefront6targetE0EEEvS13_,"axG",@progbits,_ZN7rocprim17ROCPRIM_400000_NS6detail17trampoline_kernelINS0_13select_configILj256ELj13ELNS0_17block_load_methodE3ELS4_3ELS4_3ELNS0_20block_scan_algorithmE0ELj4294967295EEENS1_25partition_config_selectorILNS1_17partition_subalgoE4EjNS0_10empty_typeEbEEZZNS1_14partition_implILS8_4ELb0ES6_15HIP_vector_typeIjLj2EENS0_17counting_iteratorIjlEEPS9_SG_NS0_5tupleIJPjSI_NS0_16reverse_iteratorISI_EEEEENSH_IJSG_SG_SG_EEES9_SI_JZNS1_25segmented_radix_sort_implINS0_14default_configELb1EPK6__halfPSP_PKlPlN2at6native12_GLOBAL__N_18offset_tEEE10hipError_tPvRmT1_PNSt15iterator_traitsIS13_E10value_typeET2_T3_PNS14_IS19_E10value_typeET4_jRbjT5_S1F_jjP12ihipStream_tbEUljE_ZNSN_ISO_Lb1ESR_SS_SU_SV_SZ_EES10_S11_S12_S13_S17_S18_S19_S1C_S1D_jS1E_jS1F_S1F_jjS1H_bEUljE0_EEES10_S11_S12_S19_S1D_S1F_T6_T7_T9_mT8_S1H_bDpT10_ENKUlT_T0_E_clISt17integral_constantIbLb1EES1U_IbLb0EEEEDaS1Q_S1R_EUlS1Q_E_NS1_11comp_targetILNS1_3genE9ELNS1_11target_archE1100ELNS1_3gpuE3ELNS1_3repE0EEENS1_30default_config_static_selectorELNS0_4arch9wavefront6targetE0EEEvS13_,comdat
.Lfunc_end1697:
	.size	_ZN7rocprim17ROCPRIM_400000_NS6detail17trampoline_kernelINS0_13select_configILj256ELj13ELNS0_17block_load_methodE3ELS4_3ELS4_3ELNS0_20block_scan_algorithmE0ELj4294967295EEENS1_25partition_config_selectorILNS1_17partition_subalgoE4EjNS0_10empty_typeEbEEZZNS1_14partition_implILS8_4ELb0ES6_15HIP_vector_typeIjLj2EENS0_17counting_iteratorIjlEEPS9_SG_NS0_5tupleIJPjSI_NS0_16reverse_iteratorISI_EEEEENSH_IJSG_SG_SG_EEES9_SI_JZNS1_25segmented_radix_sort_implINS0_14default_configELb1EPK6__halfPSP_PKlPlN2at6native12_GLOBAL__N_18offset_tEEE10hipError_tPvRmT1_PNSt15iterator_traitsIS13_E10value_typeET2_T3_PNS14_IS19_E10value_typeET4_jRbjT5_S1F_jjP12ihipStream_tbEUljE_ZNSN_ISO_Lb1ESR_SS_SU_SV_SZ_EES10_S11_S12_S13_S17_S18_S19_S1C_S1D_jS1E_jS1F_S1F_jjS1H_bEUljE0_EEES10_S11_S12_S19_S1D_S1F_T6_T7_T9_mT8_S1H_bDpT10_ENKUlT_T0_E_clISt17integral_constantIbLb1EES1U_IbLb0EEEEDaS1Q_S1R_EUlS1Q_E_NS1_11comp_targetILNS1_3genE9ELNS1_11target_archE1100ELNS1_3gpuE3ELNS1_3repE0EEENS1_30default_config_static_selectorELNS0_4arch9wavefront6targetE0EEEvS13_, .Lfunc_end1697-_ZN7rocprim17ROCPRIM_400000_NS6detail17trampoline_kernelINS0_13select_configILj256ELj13ELNS0_17block_load_methodE3ELS4_3ELS4_3ELNS0_20block_scan_algorithmE0ELj4294967295EEENS1_25partition_config_selectorILNS1_17partition_subalgoE4EjNS0_10empty_typeEbEEZZNS1_14partition_implILS8_4ELb0ES6_15HIP_vector_typeIjLj2EENS0_17counting_iteratorIjlEEPS9_SG_NS0_5tupleIJPjSI_NS0_16reverse_iteratorISI_EEEEENSH_IJSG_SG_SG_EEES9_SI_JZNS1_25segmented_radix_sort_implINS0_14default_configELb1EPK6__halfPSP_PKlPlN2at6native12_GLOBAL__N_18offset_tEEE10hipError_tPvRmT1_PNSt15iterator_traitsIS13_E10value_typeET2_T3_PNS14_IS19_E10value_typeET4_jRbjT5_S1F_jjP12ihipStream_tbEUljE_ZNSN_ISO_Lb1ESR_SS_SU_SV_SZ_EES10_S11_S12_S13_S17_S18_S19_S1C_S1D_jS1E_jS1F_S1F_jjS1H_bEUljE0_EEES10_S11_S12_S19_S1D_S1F_T6_T7_T9_mT8_S1H_bDpT10_ENKUlT_T0_E_clISt17integral_constantIbLb1EES1U_IbLb0EEEEDaS1Q_S1R_EUlS1Q_E_NS1_11comp_targetILNS1_3genE9ELNS1_11target_archE1100ELNS1_3gpuE3ELNS1_3repE0EEENS1_30default_config_static_selectorELNS0_4arch9wavefront6targetE0EEEvS13_
                                        ; -- End function
	.section	.AMDGPU.csdata,"",@progbits
; Kernel info:
; codeLenInByte = 15084
; NumSgprs: 61
; NumVgprs: 98
; ScratchSize: 0
; MemoryBound: 0
; FloatMode: 240
; IeeeMode: 1
; LDSByteSize: 13340 bytes/workgroup (compile time only)
; SGPRBlocks: 7
; VGPRBlocks: 12
; NumSGPRsForWavesPerEU: 61
; NumVGPRsForWavesPerEU: 98
; Occupancy: 12
; WaveLimiterHint : 1
; COMPUTE_PGM_RSRC2:SCRATCH_EN: 0
; COMPUTE_PGM_RSRC2:USER_SGPR: 15
; COMPUTE_PGM_RSRC2:TRAP_HANDLER: 0
; COMPUTE_PGM_RSRC2:TGID_X_EN: 1
; COMPUTE_PGM_RSRC2:TGID_Y_EN: 0
; COMPUTE_PGM_RSRC2:TGID_Z_EN: 0
; COMPUTE_PGM_RSRC2:TIDIG_COMP_CNT: 0
	.section	.text._ZN7rocprim17ROCPRIM_400000_NS6detail17trampoline_kernelINS0_13select_configILj256ELj13ELNS0_17block_load_methodE3ELS4_3ELS4_3ELNS0_20block_scan_algorithmE0ELj4294967295EEENS1_25partition_config_selectorILNS1_17partition_subalgoE4EjNS0_10empty_typeEbEEZZNS1_14partition_implILS8_4ELb0ES6_15HIP_vector_typeIjLj2EENS0_17counting_iteratorIjlEEPS9_SG_NS0_5tupleIJPjSI_NS0_16reverse_iteratorISI_EEEEENSH_IJSG_SG_SG_EEES9_SI_JZNS1_25segmented_radix_sort_implINS0_14default_configELb1EPK6__halfPSP_PKlPlN2at6native12_GLOBAL__N_18offset_tEEE10hipError_tPvRmT1_PNSt15iterator_traitsIS13_E10value_typeET2_T3_PNS14_IS19_E10value_typeET4_jRbjT5_S1F_jjP12ihipStream_tbEUljE_ZNSN_ISO_Lb1ESR_SS_SU_SV_SZ_EES10_S11_S12_S13_S17_S18_S19_S1C_S1D_jS1E_jS1F_S1F_jjS1H_bEUljE0_EEES10_S11_S12_S19_S1D_S1F_T6_T7_T9_mT8_S1H_bDpT10_ENKUlT_T0_E_clISt17integral_constantIbLb1EES1U_IbLb0EEEEDaS1Q_S1R_EUlS1Q_E_NS1_11comp_targetILNS1_3genE8ELNS1_11target_archE1030ELNS1_3gpuE2ELNS1_3repE0EEENS1_30default_config_static_selectorELNS0_4arch9wavefront6targetE0EEEvS13_,"axG",@progbits,_ZN7rocprim17ROCPRIM_400000_NS6detail17trampoline_kernelINS0_13select_configILj256ELj13ELNS0_17block_load_methodE3ELS4_3ELS4_3ELNS0_20block_scan_algorithmE0ELj4294967295EEENS1_25partition_config_selectorILNS1_17partition_subalgoE4EjNS0_10empty_typeEbEEZZNS1_14partition_implILS8_4ELb0ES6_15HIP_vector_typeIjLj2EENS0_17counting_iteratorIjlEEPS9_SG_NS0_5tupleIJPjSI_NS0_16reverse_iteratorISI_EEEEENSH_IJSG_SG_SG_EEES9_SI_JZNS1_25segmented_radix_sort_implINS0_14default_configELb1EPK6__halfPSP_PKlPlN2at6native12_GLOBAL__N_18offset_tEEE10hipError_tPvRmT1_PNSt15iterator_traitsIS13_E10value_typeET2_T3_PNS14_IS19_E10value_typeET4_jRbjT5_S1F_jjP12ihipStream_tbEUljE_ZNSN_ISO_Lb1ESR_SS_SU_SV_SZ_EES10_S11_S12_S13_S17_S18_S19_S1C_S1D_jS1E_jS1F_S1F_jjS1H_bEUljE0_EEES10_S11_S12_S19_S1D_S1F_T6_T7_T9_mT8_S1H_bDpT10_ENKUlT_T0_E_clISt17integral_constantIbLb1EES1U_IbLb0EEEEDaS1Q_S1R_EUlS1Q_E_NS1_11comp_targetILNS1_3genE8ELNS1_11target_archE1030ELNS1_3gpuE2ELNS1_3repE0EEENS1_30default_config_static_selectorELNS0_4arch9wavefront6targetE0EEEvS13_,comdat
	.globl	_ZN7rocprim17ROCPRIM_400000_NS6detail17trampoline_kernelINS0_13select_configILj256ELj13ELNS0_17block_load_methodE3ELS4_3ELS4_3ELNS0_20block_scan_algorithmE0ELj4294967295EEENS1_25partition_config_selectorILNS1_17partition_subalgoE4EjNS0_10empty_typeEbEEZZNS1_14partition_implILS8_4ELb0ES6_15HIP_vector_typeIjLj2EENS0_17counting_iteratorIjlEEPS9_SG_NS0_5tupleIJPjSI_NS0_16reverse_iteratorISI_EEEEENSH_IJSG_SG_SG_EEES9_SI_JZNS1_25segmented_radix_sort_implINS0_14default_configELb1EPK6__halfPSP_PKlPlN2at6native12_GLOBAL__N_18offset_tEEE10hipError_tPvRmT1_PNSt15iterator_traitsIS13_E10value_typeET2_T3_PNS14_IS19_E10value_typeET4_jRbjT5_S1F_jjP12ihipStream_tbEUljE_ZNSN_ISO_Lb1ESR_SS_SU_SV_SZ_EES10_S11_S12_S13_S17_S18_S19_S1C_S1D_jS1E_jS1F_S1F_jjS1H_bEUljE0_EEES10_S11_S12_S19_S1D_S1F_T6_T7_T9_mT8_S1H_bDpT10_ENKUlT_T0_E_clISt17integral_constantIbLb1EES1U_IbLb0EEEEDaS1Q_S1R_EUlS1Q_E_NS1_11comp_targetILNS1_3genE8ELNS1_11target_archE1030ELNS1_3gpuE2ELNS1_3repE0EEENS1_30default_config_static_selectorELNS0_4arch9wavefront6targetE0EEEvS13_ ; -- Begin function _ZN7rocprim17ROCPRIM_400000_NS6detail17trampoline_kernelINS0_13select_configILj256ELj13ELNS0_17block_load_methodE3ELS4_3ELS4_3ELNS0_20block_scan_algorithmE0ELj4294967295EEENS1_25partition_config_selectorILNS1_17partition_subalgoE4EjNS0_10empty_typeEbEEZZNS1_14partition_implILS8_4ELb0ES6_15HIP_vector_typeIjLj2EENS0_17counting_iteratorIjlEEPS9_SG_NS0_5tupleIJPjSI_NS0_16reverse_iteratorISI_EEEEENSH_IJSG_SG_SG_EEES9_SI_JZNS1_25segmented_radix_sort_implINS0_14default_configELb1EPK6__halfPSP_PKlPlN2at6native12_GLOBAL__N_18offset_tEEE10hipError_tPvRmT1_PNSt15iterator_traitsIS13_E10value_typeET2_T3_PNS14_IS19_E10value_typeET4_jRbjT5_S1F_jjP12ihipStream_tbEUljE_ZNSN_ISO_Lb1ESR_SS_SU_SV_SZ_EES10_S11_S12_S13_S17_S18_S19_S1C_S1D_jS1E_jS1F_S1F_jjS1H_bEUljE0_EEES10_S11_S12_S19_S1D_S1F_T6_T7_T9_mT8_S1H_bDpT10_ENKUlT_T0_E_clISt17integral_constantIbLb1EES1U_IbLb0EEEEDaS1Q_S1R_EUlS1Q_E_NS1_11comp_targetILNS1_3genE8ELNS1_11target_archE1030ELNS1_3gpuE2ELNS1_3repE0EEENS1_30default_config_static_selectorELNS0_4arch9wavefront6targetE0EEEvS13_
	.p2align	8
	.type	_ZN7rocprim17ROCPRIM_400000_NS6detail17trampoline_kernelINS0_13select_configILj256ELj13ELNS0_17block_load_methodE3ELS4_3ELS4_3ELNS0_20block_scan_algorithmE0ELj4294967295EEENS1_25partition_config_selectorILNS1_17partition_subalgoE4EjNS0_10empty_typeEbEEZZNS1_14partition_implILS8_4ELb0ES6_15HIP_vector_typeIjLj2EENS0_17counting_iteratorIjlEEPS9_SG_NS0_5tupleIJPjSI_NS0_16reverse_iteratorISI_EEEEENSH_IJSG_SG_SG_EEES9_SI_JZNS1_25segmented_radix_sort_implINS0_14default_configELb1EPK6__halfPSP_PKlPlN2at6native12_GLOBAL__N_18offset_tEEE10hipError_tPvRmT1_PNSt15iterator_traitsIS13_E10value_typeET2_T3_PNS14_IS19_E10value_typeET4_jRbjT5_S1F_jjP12ihipStream_tbEUljE_ZNSN_ISO_Lb1ESR_SS_SU_SV_SZ_EES10_S11_S12_S13_S17_S18_S19_S1C_S1D_jS1E_jS1F_S1F_jjS1H_bEUljE0_EEES10_S11_S12_S19_S1D_S1F_T6_T7_T9_mT8_S1H_bDpT10_ENKUlT_T0_E_clISt17integral_constantIbLb1EES1U_IbLb0EEEEDaS1Q_S1R_EUlS1Q_E_NS1_11comp_targetILNS1_3genE8ELNS1_11target_archE1030ELNS1_3gpuE2ELNS1_3repE0EEENS1_30default_config_static_selectorELNS0_4arch9wavefront6targetE0EEEvS13_,@function
_ZN7rocprim17ROCPRIM_400000_NS6detail17trampoline_kernelINS0_13select_configILj256ELj13ELNS0_17block_load_methodE3ELS4_3ELS4_3ELNS0_20block_scan_algorithmE0ELj4294967295EEENS1_25partition_config_selectorILNS1_17partition_subalgoE4EjNS0_10empty_typeEbEEZZNS1_14partition_implILS8_4ELb0ES6_15HIP_vector_typeIjLj2EENS0_17counting_iteratorIjlEEPS9_SG_NS0_5tupleIJPjSI_NS0_16reverse_iteratorISI_EEEEENSH_IJSG_SG_SG_EEES9_SI_JZNS1_25segmented_radix_sort_implINS0_14default_configELb1EPK6__halfPSP_PKlPlN2at6native12_GLOBAL__N_18offset_tEEE10hipError_tPvRmT1_PNSt15iterator_traitsIS13_E10value_typeET2_T3_PNS14_IS19_E10value_typeET4_jRbjT5_S1F_jjP12ihipStream_tbEUljE_ZNSN_ISO_Lb1ESR_SS_SU_SV_SZ_EES10_S11_S12_S13_S17_S18_S19_S1C_S1D_jS1E_jS1F_S1F_jjS1H_bEUljE0_EEES10_S11_S12_S19_S1D_S1F_T6_T7_T9_mT8_S1H_bDpT10_ENKUlT_T0_E_clISt17integral_constantIbLb1EES1U_IbLb0EEEEDaS1Q_S1R_EUlS1Q_E_NS1_11comp_targetILNS1_3genE8ELNS1_11target_archE1030ELNS1_3gpuE2ELNS1_3repE0EEENS1_30default_config_static_selectorELNS0_4arch9wavefront6targetE0EEEvS13_: ; @_ZN7rocprim17ROCPRIM_400000_NS6detail17trampoline_kernelINS0_13select_configILj256ELj13ELNS0_17block_load_methodE3ELS4_3ELS4_3ELNS0_20block_scan_algorithmE0ELj4294967295EEENS1_25partition_config_selectorILNS1_17partition_subalgoE4EjNS0_10empty_typeEbEEZZNS1_14partition_implILS8_4ELb0ES6_15HIP_vector_typeIjLj2EENS0_17counting_iteratorIjlEEPS9_SG_NS0_5tupleIJPjSI_NS0_16reverse_iteratorISI_EEEEENSH_IJSG_SG_SG_EEES9_SI_JZNS1_25segmented_radix_sort_implINS0_14default_configELb1EPK6__halfPSP_PKlPlN2at6native12_GLOBAL__N_18offset_tEEE10hipError_tPvRmT1_PNSt15iterator_traitsIS13_E10value_typeET2_T3_PNS14_IS19_E10value_typeET4_jRbjT5_S1F_jjP12ihipStream_tbEUljE_ZNSN_ISO_Lb1ESR_SS_SU_SV_SZ_EES10_S11_S12_S13_S17_S18_S19_S1C_S1D_jS1E_jS1F_S1F_jjS1H_bEUljE0_EEES10_S11_S12_S19_S1D_S1F_T6_T7_T9_mT8_S1H_bDpT10_ENKUlT_T0_E_clISt17integral_constantIbLb1EES1U_IbLb0EEEEDaS1Q_S1R_EUlS1Q_E_NS1_11comp_targetILNS1_3genE8ELNS1_11target_archE1030ELNS1_3gpuE2ELNS1_3repE0EEENS1_30default_config_static_selectorELNS0_4arch9wavefront6targetE0EEEvS13_
; %bb.0:
	.section	.rodata,"a",@progbits
	.p2align	6, 0x0
	.amdhsa_kernel _ZN7rocprim17ROCPRIM_400000_NS6detail17trampoline_kernelINS0_13select_configILj256ELj13ELNS0_17block_load_methodE3ELS4_3ELS4_3ELNS0_20block_scan_algorithmE0ELj4294967295EEENS1_25partition_config_selectorILNS1_17partition_subalgoE4EjNS0_10empty_typeEbEEZZNS1_14partition_implILS8_4ELb0ES6_15HIP_vector_typeIjLj2EENS0_17counting_iteratorIjlEEPS9_SG_NS0_5tupleIJPjSI_NS0_16reverse_iteratorISI_EEEEENSH_IJSG_SG_SG_EEES9_SI_JZNS1_25segmented_radix_sort_implINS0_14default_configELb1EPK6__halfPSP_PKlPlN2at6native12_GLOBAL__N_18offset_tEEE10hipError_tPvRmT1_PNSt15iterator_traitsIS13_E10value_typeET2_T3_PNS14_IS19_E10value_typeET4_jRbjT5_S1F_jjP12ihipStream_tbEUljE_ZNSN_ISO_Lb1ESR_SS_SU_SV_SZ_EES10_S11_S12_S13_S17_S18_S19_S1C_S1D_jS1E_jS1F_S1F_jjS1H_bEUljE0_EEES10_S11_S12_S19_S1D_S1F_T6_T7_T9_mT8_S1H_bDpT10_ENKUlT_T0_E_clISt17integral_constantIbLb1EES1U_IbLb0EEEEDaS1Q_S1R_EUlS1Q_E_NS1_11comp_targetILNS1_3genE8ELNS1_11target_archE1030ELNS1_3gpuE2ELNS1_3repE0EEENS1_30default_config_static_selectorELNS0_4arch9wavefront6targetE0EEEvS13_
		.amdhsa_group_segment_fixed_size 0
		.amdhsa_private_segment_fixed_size 0
		.amdhsa_kernarg_size 176
		.amdhsa_user_sgpr_count 15
		.amdhsa_user_sgpr_dispatch_ptr 0
		.amdhsa_user_sgpr_queue_ptr 0
		.amdhsa_user_sgpr_kernarg_segment_ptr 1
		.amdhsa_user_sgpr_dispatch_id 0
		.amdhsa_user_sgpr_private_segment_size 0
		.amdhsa_wavefront_size32 1
		.amdhsa_uses_dynamic_stack 0
		.amdhsa_enable_private_segment 0
		.amdhsa_system_sgpr_workgroup_id_x 1
		.amdhsa_system_sgpr_workgroup_id_y 0
		.amdhsa_system_sgpr_workgroup_id_z 0
		.amdhsa_system_sgpr_workgroup_info 0
		.amdhsa_system_vgpr_workitem_id 0
		.amdhsa_next_free_vgpr 1
		.amdhsa_next_free_sgpr 1
		.amdhsa_reserve_vcc 0
		.amdhsa_float_round_mode_32 0
		.amdhsa_float_round_mode_16_64 0
		.amdhsa_float_denorm_mode_32 3
		.amdhsa_float_denorm_mode_16_64 3
		.amdhsa_dx10_clamp 1
		.amdhsa_ieee_mode 1
		.amdhsa_fp16_overflow 0
		.amdhsa_workgroup_processor_mode 1
		.amdhsa_memory_ordered 1
		.amdhsa_forward_progress 0
		.amdhsa_shared_vgpr_count 0
		.amdhsa_exception_fp_ieee_invalid_op 0
		.amdhsa_exception_fp_denorm_src 0
		.amdhsa_exception_fp_ieee_div_zero 0
		.amdhsa_exception_fp_ieee_overflow 0
		.amdhsa_exception_fp_ieee_underflow 0
		.amdhsa_exception_fp_ieee_inexact 0
		.amdhsa_exception_int_div_zero 0
	.end_amdhsa_kernel
	.section	.text._ZN7rocprim17ROCPRIM_400000_NS6detail17trampoline_kernelINS0_13select_configILj256ELj13ELNS0_17block_load_methodE3ELS4_3ELS4_3ELNS0_20block_scan_algorithmE0ELj4294967295EEENS1_25partition_config_selectorILNS1_17partition_subalgoE4EjNS0_10empty_typeEbEEZZNS1_14partition_implILS8_4ELb0ES6_15HIP_vector_typeIjLj2EENS0_17counting_iteratorIjlEEPS9_SG_NS0_5tupleIJPjSI_NS0_16reverse_iteratorISI_EEEEENSH_IJSG_SG_SG_EEES9_SI_JZNS1_25segmented_radix_sort_implINS0_14default_configELb1EPK6__halfPSP_PKlPlN2at6native12_GLOBAL__N_18offset_tEEE10hipError_tPvRmT1_PNSt15iterator_traitsIS13_E10value_typeET2_T3_PNS14_IS19_E10value_typeET4_jRbjT5_S1F_jjP12ihipStream_tbEUljE_ZNSN_ISO_Lb1ESR_SS_SU_SV_SZ_EES10_S11_S12_S13_S17_S18_S19_S1C_S1D_jS1E_jS1F_S1F_jjS1H_bEUljE0_EEES10_S11_S12_S19_S1D_S1F_T6_T7_T9_mT8_S1H_bDpT10_ENKUlT_T0_E_clISt17integral_constantIbLb1EES1U_IbLb0EEEEDaS1Q_S1R_EUlS1Q_E_NS1_11comp_targetILNS1_3genE8ELNS1_11target_archE1030ELNS1_3gpuE2ELNS1_3repE0EEENS1_30default_config_static_selectorELNS0_4arch9wavefront6targetE0EEEvS13_,"axG",@progbits,_ZN7rocprim17ROCPRIM_400000_NS6detail17trampoline_kernelINS0_13select_configILj256ELj13ELNS0_17block_load_methodE3ELS4_3ELS4_3ELNS0_20block_scan_algorithmE0ELj4294967295EEENS1_25partition_config_selectorILNS1_17partition_subalgoE4EjNS0_10empty_typeEbEEZZNS1_14partition_implILS8_4ELb0ES6_15HIP_vector_typeIjLj2EENS0_17counting_iteratorIjlEEPS9_SG_NS0_5tupleIJPjSI_NS0_16reverse_iteratorISI_EEEEENSH_IJSG_SG_SG_EEES9_SI_JZNS1_25segmented_radix_sort_implINS0_14default_configELb1EPK6__halfPSP_PKlPlN2at6native12_GLOBAL__N_18offset_tEEE10hipError_tPvRmT1_PNSt15iterator_traitsIS13_E10value_typeET2_T3_PNS14_IS19_E10value_typeET4_jRbjT5_S1F_jjP12ihipStream_tbEUljE_ZNSN_ISO_Lb1ESR_SS_SU_SV_SZ_EES10_S11_S12_S13_S17_S18_S19_S1C_S1D_jS1E_jS1F_S1F_jjS1H_bEUljE0_EEES10_S11_S12_S19_S1D_S1F_T6_T7_T9_mT8_S1H_bDpT10_ENKUlT_T0_E_clISt17integral_constantIbLb1EES1U_IbLb0EEEEDaS1Q_S1R_EUlS1Q_E_NS1_11comp_targetILNS1_3genE8ELNS1_11target_archE1030ELNS1_3gpuE2ELNS1_3repE0EEENS1_30default_config_static_selectorELNS0_4arch9wavefront6targetE0EEEvS13_,comdat
.Lfunc_end1698:
	.size	_ZN7rocprim17ROCPRIM_400000_NS6detail17trampoline_kernelINS0_13select_configILj256ELj13ELNS0_17block_load_methodE3ELS4_3ELS4_3ELNS0_20block_scan_algorithmE0ELj4294967295EEENS1_25partition_config_selectorILNS1_17partition_subalgoE4EjNS0_10empty_typeEbEEZZNS1_14partition_implILS8_4ELb0ES6_15HIP_vector_typeIjLj2EENS0_17counting_iteratorIjlEEPS9_SG_NS0_5tupleIJPjSI_NS0_16reverse_iteratorISI_EEEEENSH_IJSG_SG_SG_EEES9_SI_JZNS1_25segmented_radix_sort_implINS0_14default_configELb1EPK6__halfPSP_PKlPlN2at6native12_GLOBAL__N_18offset_tEEE10hipError_tPvRmT1_PNSt15iterator_traitsIS13_E10value_typeET2_T3_PNS14_IS19_E10value_typeET4_jRbjT5_S1F_jjP12ihipStream_tbEUljE_ZNSN_ISO_Lb1ESR_SS_SU_SV_SZ_EES10_S11_S12_S13_S17_S18_S19_S1C_S1D_jS1E_jS1F_S1F_jjS1H_bEUljE0_EEES10_S11_S12_S19_S1D_S1F_T6_T7_T9_mT8_S1H_bDpT10_ENKUlT_T0_E_clISt17integral_constantIbLb1EES1U_IbLb0EEEEDaS1Q_S1R_EUlS1Q_E_NS1_11comp_targetILNS1_3genE8ELNS1_11target_archE1030ELNS1_3gpuE2ELNS1_3repE0EEENS1_30default_config_static_selectorELNS0_4arch9wavefront6targetE0EEEvS13_, .Lfunc_end1698-_ZN7rocprim17ROCPRIM_400000_NS6detail17trampoline_kernelINS0_13select_configILj256ELj13ELNS0_17block_load_methodE3ELS4_3ELS4_3ELNS0_20block_scan_algorithmE0ELj4294967295EEENS1_25partition_config_selectorILNS1_17partition_subalgoE4EjNS0_10empty_typeEbEEZZNS1_14partition_implILS8_4ELb0ES6_15HIP_vector_typeIjLj2EENS0_17counting_iteratorIjlEEPS9_SG_NS0_5tupleIJPjSI_NS0_16reverse_iteratorISI_EEEEENSH_IJSG_SG_SG_EEES9_SI_JZNS1_25segmented_radix_sort_implINS0_14default_configELb1EPK6__halfPSP_PKlPlN2at6native12_GLOBAL__N_18offset_tEEE10hipError_tPvRmT1_PNSt15iterator_traitsIS13_E10value_typeET2_T3_PNS14_IS19_E10value_typeET4_jRbjT5_S1F_jjP12ihipStream_tbEUljE_ZNSN_ISO_Lb1ESR_SS_SU_SV_SZ_EES10_S11_S12_S13_S17_S18_S19_S1C_S1D_jS1E_jS1F_S1F_jjS1H_bEUljE0_EEES10_S11_S12_S19_S1D_S1F_T6_T7_T9_mT8_S1H_bDpT10_ENKUlT_T0_E_clISt17integral_constantIbLb1EES1U_IbLb0EEEEDaS1Q_S1R_EUlS1Q_E_NS1_11comp_targetILNS1_3genE8ELNS1_11target_archE1030ELNS1_3gpuE2ELNS1_3repE0EEENS1_30default_config_static_selectorELNS0_4arch9wavefront6targetE0EEEvS13_
                                        ; -- End function
	.section	.AMDGPU.csdata,"",@progbits
; Kernel info:
; codeLenInByte = 0
; NumSgprs: 0
; NumVgprs: 0
; ScratchSize: 0
; MemoryBound: 0
; FloatMode: 240
; IeeeMode: 1
; LDSByteSize: 0 bytes/workgroup (compile time only)
; SGPRBlocks: 0
; VGPRBlocks: 0
; NumSGPRsForWavesPerEU: 1
; NumVGPRsForWavesPerEU: 1
; Occupancy: 16
; WaveLimiterHint : 0
; COMPUTE_PGM_RSRC2:SCRATCH_EN: 0
; COMPUTE_PGM_RSRC2:USER_SGPR: 15
; COMPUTE_PGM_RSRC2:TRAP_HANDLER: 0
; COMPUTE_PGM_RSRC2:TGID_X_EN: 1
; COMPUTE_PGM_RSRC2:TGID_Y_EN: 0
; COMPUTE_PGM_RSRC2:TGID_Z_EN: 0
; COMPUTE_PGM_RSRC2:TIDIG_COMP_CNT: 0
	.section	.text._ZN7rocprim17ROCPRIM_400000_NS6detail17trampoline_kernelINS0_13select_configILj256ELj13ELNS0_17block_load_methodE3ELS4_3ELS4_3ELNS0_20block_scan_algorithmE0ELj4294967295EEENS1_25partition_config_selectorILNS1_17partition_subalgoE4EjNS0_10empty_typeEbEEZZNS1_14partition_implILS8_4ELb0ES6_15HIP_vector_typeIjLj2EENS0_17counting_iteratorIjlEEPS9_SG_NS0_5tupleIJPjSI_NS0_16reverse_iteratorISI_EEEEENSH_IJSG_SG_SG_EEES9_SI_JZNS1_25segmented_radix_sort_implINS0_14default_configELb1EPK6__halfPSP_PKlPlN2at6native12_GLOBAL__N_18offset_tEEE10hipError_tPvRmT1_PNSt15iterator_traitsIS13_E10value_typeET2_T3_PNS14_IS19_E10value_typeET4_jRbjT5_S1F_jjP12ihipStream_tbEUljE_ZNSN_ISO_Lb1ESR_SS_SU_SV_SZ_EES10_S11_S12_S13_S17_S18_S19_S1C_S1D_jS1E_jS1F_S1F_jjS1H_bEUljE0_EEES10_S11_S12_S19_S1D_S1F_T6_T7_T9_mT8_S1H_bDpT10_ENKUlT_T0_E_clISt17integral_constantIbLb0EES1U_IbLb1EEEEDaS1Q_S1R_EUlS1Q_E_NS1_11comp_targetILNS1_3genE0ELNS1_11target_archE4294967295ELNS1_3gpuE0ELNS1_3repE0EEENS1_30default_config_static_selectorELNS0_4arch9wavefront6targetE0EEEvS13_,"axG",@progbits,_ZN7rocprim17ROCPRIM_400000_NS6detail17trampoline_kernelINS0_13select_configILj256ELj13ELNS0_17block_load_methodE3ELS4_3ELS4_3ELNS0_20block_scan_algorithmE0ELj4294967295EEENS1_25partition_config_selectorILNS1_17partition_subalgoE4EjNS0_10empty_typeEbEEZZNS1_14partition_implILS8_4ELb0ES6_15HIP_vector_typeIjLj2EENS0_17counting_iteratorIjlEEPS9_SG_NS0_5tupleIJPjSI_NS0_16reverse_iteratorISI_EEEEENSH_IJSG_SG_SG_EEES9_SI_JZNS1_25segmented_radix_sort_implINS0_14default_configELb1EPK6__halfPSP_PKlPlN2at6native12_GLOBAL__N_18offset_tEEE10hipError_tPvRmT1_PNSt15iterator_traitsIS13_E10value_typeET2_T3_PNS14_IS19_E10value_typeET4_jRbjT5_S1F_jjP12ihipStream_tbEUljE_ZNSN_ISO_Lb1ESR_SS_SU_SV_SZ_EES10_S11_S12_S13_S17_S18_S19_S1C_S1D_jS1E_jS1F_S1F_jjS1H_bEUljE0_EEES10_S11_S12_S19_S1D_S1F_T6_T7_T9_mT8_S1H_bDpT10_ENKUlT_T0_E_clISt17integral_constantIbLb0EES1U_IbLb1EEEEDaS1Q_S1R_EUlS1Q_E_NS1_11comp_targetILNS1_3genE0ELNS1_11target_archE4294967295ELNS1_3gpuE0ELNS1_3repE0EEENS1_30default_config_static_selectorELNS0_4arch9wavefront6targetE0EEEvS13_,comdat
	.globl	_ZN7rocprim17ROCPRIM_400000_NS6detail17trampoline_kernelINS0_13select_configILj256ELj13ELNS0_17block_load_methodE3ELS4_3ELS4_3ELNS0_20block_scan_algorithmE0ELj4294967295EEENS1_25partition_config_selectorILNS1_17partition_subalgoE4EjNS0_10empty_typeEbEEZZNS1_14partition_implILS8_4ELb0ES6_15HIP_vector_typeIjLj2EENS0_17counting_iteratorIjlEEPS9_SG_NS0_5tupleIJPjSI_NS0_16reverse_iteratorISI_EEEEENSH_IJSG_SG_SG_EEES9_SI_JZNS1_25segmented_radix_sort_implINS0_14default_configELb1EPK6__halfPSP_PKlPlN2at6native12_GLOBAL__N_18offset_tEEE10hipError_tPvRmT1_PNSt15iterator_traitsIS13_E10value_typeET2_T3_PNS14_IS19_E10value_typeET4_jRbjT5_S1F_jjP12ihipStream_tbEUljE_ZNSN_ISO_Lb1ESR_SS_SU_SV_SZ_EES10_S11_S12_S13_S17_S18_S19_S1C_S1D_jS1E_jS1F_S1F_jjS1H_bEUljE0_EEES10_S11_S12_S19_S1D_S1F_T6_T7_T9_mT8_S1H_bDpT10_ENKUlT_T0_E_clISt17integral_constantIbLb0EES1U_IbLb1EEEEDaS1Q_S1R_EUlS1Q_E_NS1_11comp_targetILNS1_3genE0ELNS1_11target_archE4294967295ELNS1_3gpuE0ELNS1_3repE0EEENS1_30default_config_static_selectorELNS0_4arch9wavefront6targetE0EEEvS13_ ; -- Begin function _ZN7rocprim17ROCPRIM_400000_NS6detail17trampoline_kernelINS0_13select_configILj256ELj13ELNS0_17block_load_methodE3ELS4_3ELS4_3ELNS0_20block_scan_algorithmE0ELj4294967295EEENS1_25partition_config_selectorILNS1_17partition_subalgoE4EjNS0_10empty_typeEbEEZZNS1_14partition_implILS8_4ELb0ES6_15HIP_vector_typeIjLj2EENS0_17counting_iteratorIjlEEPS9_SG_NS0_5tupleIJPjSI_NS0_16reverse_iteratorISI_EEEEENSH_IJSG_SG_SG_EEES9_SI_JZNS1_25segmented_radix_sort_implINS0_14default_configELb1EPK6__halfPSP_PKlPlN2at6native12_GLOBAL__N_18offset_tEEE10hipError_tPvRmT1_PNSt15iterator_traitsIS13_E10value_typeET2_T3_PNS14_IS19_E10value_typeET4_jRbjT5_S1F_jjP12ihipStream_tbEUljE_ZNSN_ISO_Lb1ESR_SS_SU_SV_SZ_EES10_S11_S12_S13_S17_S18_S19_S1C_S1D_jS1E_jS1F_S1F_jjS1H_bEUljE0_EEES10_S11_S12_S19_S1D_S1F_T6_T7_T9_mT8_S1H_bDpT10_ENKUlT_T0_E_clISt17integral_constantIbLb0EES1U_IbLb1EEEEDaS1Q_S1R_EUlS1Q_E_NS1_11comp_targetILNS1_3genE0ELNS1_11target_archE4294967295ELNS1_3gpuE0ELNS1_3repE0EEENS1_30default_config_static_selectorELNS0_4arch9wavefront6targetE0EEEvS13_
	.p2align	8
	.type	_ZN7rocprim17ROCPRIM_400000_NS6detail17trampoline_kernelINS0_13select_configILj256ELj13ELNS0_17block_load_methodE3ELS4_3ELS4_3ELNS0_20block_scan_algorithmE0ELj4294967295EEENS1_25partition_config_selectorILNS1_17partition_subalgoE4EjNS0_10empty_typeEbEEZZNS1_14partition_implILS8_4ELb0ES6_15HIP_vector_typeIjLj2EENS0_17counting_iteratorIjlEEPS9_SG_NS0_5tupleIJPjSI_NS0_16reverse_iteratorISI_EEEEENSH_IJSG_SG_SG_EEES9_SI_JZNS1_25segmented_radix_sort_implINS0_14default_configELb1EPK6__halfPSP_PKlPlN2at6native12_GLOBAL__N_18offset_tEEE10hipError_tPvRmT1_PNSt15iterator_traitsIS13_E10value_typeET2_T3_PNS14_IS19_E10value_typeET4_jRbjT5_S1F_jjP12ihipStream_tbEUljE_ZNSN_ISO_Lb1ESR_SS_SU_SV_SZ_EES10_S11_S12_S13_S17_S18_S19_S1C_S1D_jS1E_jS1F_S1F_jjS1H_bEUljE0_EEES10_S11_S12_S19_S1D_S1F_T6_T7_T9_mT8_S1H_bDpT10_ENKUlT_T0_E_clISt17integral_constantIbLb0EES1U_IbLb1EEEEDaS1Q_S1R_EUlS1Q_E_NS1_11comp_targetILNS1_3genE0ELNS1_11target_archE4294967295ELNS1_3gpuE0ELNS1_3repE0EEENS1_30default_config_static_selectorELNS0_4arch9wavefront6targetE0EEEvS13_,@function
_ZN7rocprim17ROCPRIM_400000_NS6detail17trampoline_kernelINS0_13select_configILj256ELj13ELNS0_17block_load_methodE3ELS4_3ELS4_3ELNS0_20block_scan_algorithmE0ELj4294967295EEENS1_25partition_config_selectorILNS1_17partition_subalgoE4EjNS0_10empty_typeEbEEZZNS1_14partition_implILS8_4ELb0ES6_15HIP_vector_typeIjLj2EENS0_17counting_iteratorIjlEEPS9_SG_NS0_5tupleIJPjSI_NS0_16reverse_iteratorISI_EEEEENSH_IJSG_SG_SG_EEES9_SI_JZNS1_25segmented_radix_sort_implINS0_14default_configELb1EPK6__halfPSP_PKlPlN2at6native12_GLOBAL__N_18offset_tEEE10hipError_tPvRmT1_PNSt15iterator_traitsIS13_E10value_typeET2_T3_PNS14_IS19_E10value_typeET4_jRbjT5_S1F_jjP12ihipStream_tbEUljE_ZNSN_ISO_Lb1ESR_SS_SU_SV_SZ_EES10_S11_S12_S13_S17_S18_S19_S1C_S1D_jS1E_jS1F_S1F_jjS1H_bEUljE0_EEES10_S11_S12_S19_S1D_S1F_T6_T7_T9_mT8_S1H_bDpT10_ENKUlT_T0_E_clISt17integral_constantIbLb0EES1U_IbLb1EEEEDaS1Q_S1R_EUlS1Q_E_NS1_11comp_targetILNS1_3genE0ELNS1_11target_archE4294967295ELNS1_3gpuE0ELNS1_3repE0EEENS1_30default_config_static_selectorELNS0_4arch9wavefront6targetE0EEEvS13_: ; @_ZN7rocprim17ROCPRIM_400000_NS6detail17trampoline_kernelINS0_13select_configILj256ELj13ELNS0_17block_load_methodE3ELS4_3ELS4_3ELNS0_20block_scan_algorithmE0ELj4294967295EEENS1_25partition_config_selectorILNS1_17partition_subalgoE4EjNS0_10empty_typeEbEEZZNS1_14partition_implILS8_4ELb0ES6_15HIP_vector_typeIjLj2EENS0_17counting_iteratorIjlEEPS9_SG_NS0_5tupleIJPjSI_NS0_16reverse_iteratorISI_EEEEENSH_IJSG_SG_SG_EEES9_SI_JZNS1_25segmented_radix_sort_implINS0_14default_configELb1EPK6__halfPSP_PKlPlN2at6native12_GLOBAL__N_18offset_tEEE10hipError_tPvRmT1_PNSt15iterator_traitsIS13_E10value_typeET2_T3_PNS14_IS19_E10value_typeET4_jRbjT5_S1F_jjP12ihipStream_tbEUljE_ZNSN_ISO_Lb1ESR_SS_SU_SV_SZ_EES10_S11_S12_S13_S17_S18_S19_S1C_S1D_jS1E_jS1F_S1F_jjS1H_bEUljE0_EEES10_S11_S12_S19_S1D_S1F_T6_T7_T9_mT8_S1H_bDpT10_ENKUlT_T0_E_clISt17integral_constantIbLb0EES1U_IbLb1EEEEDaS1Q_S1R_EUlS1Q_E_NS1_11comp_targetILNS1_3genE0ELNS1_11target_archE4294967295ELNS1_3gpuE0ELNS1_3repE0EEENS1_30default_config_static_selectorELNS0_4arch9wavefront6targetE0EEEvS13_
; %bb.0:
	.section	.rodata,"a",@progbits
	.p2align	6, 0x0
	.amdhsa_kernel _ZN7rocprim17ROCPRIM_400000_NS6detail17trampoline_kernelINS0_13select_configILj256ELj13ELNS0_17block_load_methodE3ELS4_3ELS4_3ELNS0_20block_scan_algorithmE0ELj4294967295EEENS1_25partition_config_selectorILNS1_17partition_subalgoE4EjNS0_10empty_typeEbEEZZNS1_14partition_implILS8_4ELb0ES6_15HIP_vector_typeIjLj2EENS0_17counting_iteratorIjlEEPS9_SG_NS0_5tupleIJPjSI_NS0_16reverse_iteratorISI_EEEEENSH_IJSG_SG_SG_EEES9_SI_JZNS1_25segmented_radix_sort_implINS0_14default_configELb1EPK6__halfPSP_PKlPlN2at6native12_GLOBAL__N_18offset_tEEE10hipError_tPvRmT1_PNSt15iterator_traitsIS13_E10value_typeET2_T3_PNS14_IS19_E10value_typeET4_jRbjT5_S1F_jjP12ihipStream_tbEUljE_ZNSN_ISO_Lb1ESR_SS_SU_SV_SZ_EES10_S11_S12_S13_S17_S18_S19_S1C_S1D_jS1E_jS1F_S1F_jjS1H_bEUljE0_EEES10_S11_S12_S19_S1D_S1F_T6_T7_T9_mT8_S1H_bDpT10_ENKUlT_T0_E_clISt17integral_constantIbLb0EES1U_IbLb1EEEEDaS1Q_S1R_EUlS1Q_E_NS1_11comp_targetILNS1_3genE0ELNS1_11target_archE4294967295ELNS1_3gpuE0ELNS1_3repE0EEENS1_30default_config_static_selectorELNS0_4arch9wavefront6targetE0EEEvS13_
		.amdhsa_group_segment_fixed_size 0
		.amdhsa_private_segment_fixed_size 0
		.amdhsa_kernarg_size 184
		.amdhsa_user_sgpr_count 15
		.amdhsa_user_sgpr_dispatch_ptr 0
		.amdhsa_user_sgpr_queue_ptr 0
		.amdhsa_user_sgpr_kernarg_segment_ptr 1
		.amdhsa_user_sgpr_dispatch_id 0
		.amdhsa_user_sgpr_private_segment_size 0
		.amdhsa_wavefront_size32 1
		.amdhsa_uses_dynamic_stack 0
		.amdhsa_enable_private_segment 0
		.amdhsa_system_sgpr_workgroup_id_x 1
		.amdhsa_system_sgpr_workgroup_id_y 0
		.amdhsa_system_sgpr_workgroup_id_z 0
		.amdhsa_system_sgpr_workgroup_info 0
		.amdhsa_system_vgpr_workitem_id 0
		.amdhsa_next_free_vgpr 1
		.amdhsa_next_free_sgpr 1
		.amdhsa_reserve_vcc 0
		.amdhsa_float_round_mode_32 0
		.amdhsa_float_round_mode_16_64 0
		.amdhsa_float_denorm_mode_32 3
		.amdhsa_float_denorm_mode_16_64 3
		.amdhsa_dx10_clamp 1
		.amdhsa_ieee_mode 1
		.amdhsa_fp16_overflow 0
		.amdhsa_workgroup_processor_mode 1
		.amdhsa_memory_ordered 1
		.amdhsa_forward_progress 0
		.amdhsa_shared_vgpr_count 0
		.amdhsa_exception_fp_ieee_invalid_op 0
		.amdhsa_exception_fp_denorm_src 0
		.amdhsa_exception_fp_ieee_div_zero 0
		.amdhsa_exception_fp_ieee_overflow 0
		.amdhsa_exception_fp_ieee_underflow 0
		.amdhsa_exception_fp_ieee_inexact 0
		.amdhsa_exception_int_div_zero 0
	.end_amdhsa_kernel
	.section	.text._ZN7rocprim17ROCPRIM_400000_NS6detail17trampoline_kernelINS0_13select_configILj256ELj13ELNS0_17block_load_methodE3ELS4_3ELS4_3ELNS0_20block_scan_algorithmE0ELj4294967295EEENS1_25partition_config_selectorILNS1_17partition_subalgoE4EjNS0_10empty_typeEbEEZZNS1_14partition_implILS8_4ELb0ES6_15HIP_vector_typeIjLj2EENS0_17counting_iteratorIjlEEPS9_SG_NS0_5tupleIJPjSI_NS0_16reverse_iteratorISI_EEEEENSH_IJSG_SG_SG_EEES9_SI_JZNS1_25segmented_radix_sort_implINS0_14default_configELb1EPK6__halfPSP_PKlPlN2at6native12_GLOBAL__N_18offset_tEEE10hipError_tPvRmT1_PNSt15iterator_traitsIS13_E10value_typeET2_T3_PNS14_IS19_E10value_typeET4_jRbjT5_S1F_jjP12ihipStream_tbEUljE_ZNSN_ISO_Lb1ESR_SS_SU_SV_SZ_EES10_S11_S12_S13_S17_S18_S19_S1C_S1D_jS1E_jS1F_S1F_jjS1H_bEUljE0_EEES10_S11_S12_S19_S1D_S1F_T6_T7_T9_mT8_S1H_bDpT10_ENKUlT_T0_E_clISt17integral_constantIbLb0EES1U_IbLb1EEEEDaS1Q_S1R_EUlS1Q_E_NS1_11comp_targetILNS1_3genE0ELNS1_11target_archE4294967295ELNS1_3gpuE0ELNS1_3repE0EEENS1_30default_config_static_selectorELNS0_4arch9wavefront6targetE0EEEvS13_,"axG",@progbits,_ZN7rocprim17ROCPRIM_400000_NS6detail17trampoline_kernelINS0_13select_configILj256ELj13ELNS0_17block_load_methodE3ELS4_3ELS4_3ELNS0_20block_scan_algorithmE0ELj4294967295EEENS1_25partition_config_selectorILNS1_17partition_subalgoE4EjNS0_10empty_typeEbEEZZNS1_14partition_implILS8_4ELb0ES6_15HIP_vector_typeIjLj2EENS0_17counting_iteratorIjlEEPS9_SG_NS0_5tupleIJPjSI_NS0_16reverse_iteratorISI_EEEEENSH_IJSG_SG_SG_EEES9_SI_JZNS1_25segmented_radix_sort_implINS0_14default_configELb1EPK6__halfPSP_PKlPlN2at6native12_GLOBAL__N_18offset_tEEE10hipError_tPvRmT1_PNSt15iterator_traitsIS13_E10value_typeET2_T3_PNS14_IS19_E10value_typeET4_jRbjT5_S1F_jjP12ihipStream_tbEUljE_ZNSN_ISO_Lb1ESR_SS_SU_SV_SZ_EES10_S11_S12_S13_S17_S18_S19_S1C_S1D_jS1E_jS1F_S1F_jjS1H_bEUljE0_EEES10_S11_S12_S19_S1D_S1F_T6_T7_T9_mT8_S1H_bDpT10_ENKUlT_T0_E_clISt17integral_constantIbLb0EES1U_IbLb1EEEEDaS1Q_S1R_EUlS1Q_E_NS1_11comp_targetILNS1_3genE0ELNS1_11target_archE4294967295ELNS1_3gpuE0ELNS1_3repE0EEENS1_30default_config_static_selectorELNS0_4arch9wavefront6targetE0EEEvS13_,comdat
.Lfunc_end1699:
	.size	_ZN7rocprim17ROCPRIM_400000_NS6detail17trampoline_kernelINS0_13select_configILj256ELj13ELNS0_17block_load_methodE3ELS4_3ELS4_3ELNS0_20block_scan_algorithmE0ELj4294967295EEENS1_25partition_config_selectorILNS1_17partition_subalgoE4EjNS0_10empty_typeEbEEZZNS1_14partition_implILS8_4ELb0ES6_15HIP_vector_typeIjLj2EENS0_17counting_iteratorIjlEEPS9_SG_NS0_5tupleIJPjSI_NS0_16reverse_iteratorISI_EEEEENSH_IJSG_SG_SG_EEES9_SI_JZNS1_25segmented_radix_sort_implINS0_14default_configELb1EPK6__halfPSP_PKlPlN2at6native12_GLOBAL__N_18offset_tEEE10hipError_tPvRmT1_PNSt15iterator_traitsIS13_E10value_typeET2_T3_PNS14_IS19_E10value_typeET4_jRbjT5_S1F_jjP12ihipStream_tbEUljE_ZNSN_ISO_Lb1ESR_SS_SU_SV_SZ_EES10_S11_S12_S13_S17_S18_S19_S1C_S1D_jS1E_jS1F_S1F_jjS1H_bEUljE0_EEES10_S11_S12_S19_S1D_S1F_T6_T7_T9_mT8_S1H_bDpT10_ENKUlT_T0_E_clISt17integral_constantIbLb0EES1U_IbLb1EEEEDaS1Q_S1R_EUlS1Q_E_NS1_11comp_targetILNS1_3genE0ELNS1_11target_archE4294967295ELNS1_3gpuE0ELNS1_3repE0EEENS1_30default_config_static_selectorELNS0_4arch9wavefront6targetE0EEEvS13_, .Lfunc_end1699-_ZN7rocprim17ROCPRIM_400000_NS6detail17trampoline_kernelINS0_13select_configILj256ELj13ELNS0_17block_load_methodE3ELS4_3ELS4_3ELNS0_20block_scan_algorithmE0ELj4294967295EEENS1_25partition_config_selectorILNS1_17partition_subalgoE4EjNS0_10empty_typeEbEEZZNS1_14partition_implILS8_4ELb0ES6_15HIP_vector_typeIjLj2EENS0_17counting_iteratorIjlEEPS9_SG_NS0_5tupleIJPjSI_NS0_16reverse_iteratorISI_EEEEENSH_IJSG_SG_SG_EEES9_SI_JZNS1_25segmented_radix_sort_implINS0_14default_configELb1EPK6__halfPSP_PKlPlN2at6native12_GLOBAL__N_18offset_tEEE10hipError_tPvRmT1_PNSt15iterator_traitsIS13_E10value_typeET2_T3_PNS14_IS19_E10value_typeET4_jRbjT5_S1F_jjP12ihipStream_tbEUljE_ZNSN_ISO_Lb1ESR_SS_SU_SV_SZ_EES10_S11_S12_S13_S17_S18_S19_S1C_S1D_jS1E_jS1F_S1F_jjS1H_bEUljE0_EEES10_S11_S12_S19_S1D_S1F_T6_T7_T9_mT8_S1H_bDpT10_ENKUlT_T0_E_clISt17integral_constantIbLb0EES1U_IbLb1EEEEDaS1Q_S1R_EUlS1Q_E_NS1_11comp_targetILNS1_3genE0ELNS1_11target_archE4294967295ELNS1_3gpuE0ELNS1_3repE0EEENS1_30default_config_static_selectorELNS0_4arch9wavefront6targetE0EEEvS13_
                                        ; -- End function
	.section	.AMDGPU.csdata,"",@progbits
; Kernel info:
; codeLenInByte = 0
; NumSgprs: 0
; NumVgprs: 0
; ScratchSize: 0
; MemoryBound: 0
; FloatMode: 240
; IeeeMode: 1
; LDSByteSize: 0 bytes/workgroup (compile time only)
; SGPRBlocks: 0
; VGPRBlocks: 0
; NumSGPRsForWavesPerEU: 1
; NumVGPRsForWavesPerEU: 1
; Occupancy: 16
; WaveLimiterHint : 0
; COMPUTE_PGM_RSRC2:SCRATCH_EN: 0
; COMPUTE_PGM_RSRC2:USER_SGPR: 15
; COMPUTE_PGM_RSRC2:TRAP_HANDLER: 0
; COMPUTE_PGM_RSRC2:TGID_X_EN: 1
; COMPUTE_PGM_RSRC2:TGID_Y_EN: 0
; COMPUTE_PGM_RSRC2:TGID_Z_EN: 0
; COMPUTE_PGM_RSRC2:TIDIG_COMP_CNT: 0
	.section	.text._ZN7rocprim17ROCPRIM_400000_NS6detail17trampoline_kernelINS0_13select_configILj256ELj13ELNS0_17block_load_methodE3ELS4_3ELS4_3ELNS0_20block_scan_algorithmE0ELj4294967295EEENS1_25partition_config_selectorILNS1_17partition_subalgoE4EjNS0_10empty_typeEbEEZZNS1_14partition_implILS8_4ELb0ES6_15HIP_vector_typeIjLj2EENS0_17counting_iteratorIjlEEPS9_SG_NS0_5tupleIJPjSI_NS0_16reverse_iteratorISI_EEEEENSH_IJSG_SG_SG_EEES9_SI_JZNS1_25segmented_radix_sort_implINS0_14default_configELb1EPK6__halfPSP_PKlPlN2at6native12_GLOBAL__N_18offset_tEEE10hipError_tPvRmT1_PNSt15iterator_traitsIS13_E10value_typeET2_T3_PNS14_IS19_E10value_typeET4_jRbjT5_S1F_jjP12ihipStream_tbEUljE_ZNSN_ISO_Lb1ESR_SS_SU_SV_SZ_EES10_S11_S12_S13_S17_S18_S19_S1C_S1D_jS1E_jS1F_S1F_jjS1H_bEUljE0_EEES10_S11_S12_S19_S1D_S1F_T6_T7_T9_mT8_S1H_bDpT10_ENKUlT_T0_E_clISt17integral_constantIbLb0EES1U_IbLb1EEEEDaS1Q_S1R_EUlS1Q_E_NS1_11comp_targetILNS1_3genE5ELNS1_11target_archE942ELNS1_3gpuE9ELNS1_3repE0EEENS1_30default_config_static_selectorELNS0_4arch9wavefront6targetE0EEEvS13_,"axG",@progbits,_ZN7rocprim17ROCPRIM_400000_NS6detail17trampoline_kernelINS0_13select_configILj256ELj13ELNS0_17block_load_methodE3ELS4_3ELS4_3ELNS0_20block_scan_algorithmE0ELj4294967295EEENS1_25partition_config_selectorILNS1_17partition_subalgoE4EjNS0_10empty_typeEbEEZZNS1_14partition_implILS8_4ELb0ES6_15HIP_vector_typeIjLj2EENS0_17counting_iteratorIjlEEPS9_SG_NS0_5tupleIJPjSI_NS0_16reverse_iteratorISI_EEEEENSH_IJSG_SG_SG_EEES9_SI_JZNS1_25segmented_radix_sort_implINS0_14default_configELb1EPK6__halfPSP_PKlPlN2at6native12_GLOBAL__N_18offset_tEEE10hipError_tPvRmT1_PNSt15iterator_traitsIS13_E10value_typeET2_T3_PNS14_IS19_E10value_typeET4_jRbjT5_S1F_jjP12ihipStream_tbEUljE_ZNSN_ISO_Lb1ESR_SS_SU_SV_SZ_EES10_S11_S12_S13_S17_S18_S19_S1C_S1D_jS1E_jS1F_S1F_jjS1H_bEUljE0_EEES10_S11_S12_S19_S1D_S1F_T6_T7_T9_mT8_S1H_bDpT10_ENKUlT_T0_E_clISt17integral_constantIbLb0EES1U_IbLb1EEEEDaS1Q_S1R_EUlS1Q_E_NS1_11comp_targetILNS1_3genE5ELNS1_11target_archE942ELNS1_3gpuE9ELNS1_3repE0EEENS1_30default_config_static_selectorELNS0_4arch9wavefront6targetE0EEEvS13_,comdat
	.globl	_ZN7rocprim17ROCPRIM_400000_NS6detail17trampoline_kernelINS0_13select_configILj256ELj13ELNS0_17block_load_methodE3ELS4_3ELS4_3ELNS0_20block_scan_algorithmE0ELj4294967295EEENS1_25partition_config_selectorILNS1_17partition_subalgoE4EjNS0_10empty_typeEbEEZZNS1_14partition_implILS8_4ELb0ES6_15HIP_vector_typeIjLj2EENS0_17counting_iteratorIjlEEPS9_SG_NS0_5tupleIJPjSI_NS0_16reverse_iteratorISI_EEEEENSH_IJSG_SG_SG_EEES9_SI_JZNS1_25segmented_radix_sort_implINS0_14default_configELb1EPK6__halfPSP_PKlPlN2at6native12_GLOBAL__N_18offset_tEEE10hipError_tPvRmT1_PNSt15iterator_traitsIS13_E10value_typeET2_T3_PNS14_IS19_E10value_typeET4_jRbjT5_S1F_jjP12ihipStream_tbEUljE_ZNSN_ISO_Lb1ESR_SS_SU_SV_SZ_EES10_S11_S12_S13_S17_S18_S19_S1C_S1D_jS1E_jS1F_S1F_jjS1H_bEUljE0_EEES10_S11_S12_S19_S1D_S1F_T6_T7_T9_mT8_S1H_bDpT10_ENKUlT_T0_E_clISt17integral_constantIbLb0EES1U_IbLb1EEEEDaS1Q_S1R_EUlS1Q_E_NS1_11comp_targetILNS1_3genE5ELNS1_11target_archE942ELNS1_3gpuE9ELNS1_3repE0EEENS1_30default_config_static_selectorELNS0_4arch9wavefront6targetE0EEEvS13_ ; -- Begin function _ZN7rocprim17ROCPRIM_400000_NS6detail17trampoline_kernelINS0_13select_configILj256ELj13ELNS0_17block_load_methodE3ELS4_3ELS4_3ELNS0_20block_scan_algorithmE0ELj4294967295EEENS1_25partition_config_selectorILNS1_17partition_subalgoE4EjNS0_10empty_typeEbEEZZNS1_14partition_implILS8_4ELb0ES6_15HIP_vector_typeIjLj2EENS0_17counting_iteratorIjlEEPS9_SG_NS0_5tupleIJPjSI_NS0_16reverse_iteratorISI_EEEEENSH_IJSG_SG_SG_EEES9_SI_JZNS1_25segmented_radix_sort_implINS0_14default_configELb1EPK6__halfPSP_PKlPlN2at6native12_GLOBAL__N_18offset_tEEE10hipError_tPvRmT1_PNSt15iterator_traitsIS13_E10value_typeET2_T3_PNS14_IS19_E10value_typeET4_jRbjT5_S1F_jjP12ihipStream_tbEUljE_ZNSN_ISO_Lb1ESR_SS_SU_SV_SZ_EES10_S11_S12_S13_S17_S18_S19_S1C_S1D_jS1E_jS1F_S1F_jjS1H_bEUljE0_EEES10_S11_S12_S19_S1D_S1F_T6_T7_T9_mT8_S1H_bDpT10_ENKUlT_T0_E_clISt17integral_constantIbLb0EES1U_IbLb1EEEEDaS1Q_S1R_EUlS1Q_E_NS1_11comp_targetILNS1_3genE5ELNS1_11target_archE942ELNS1_3gpuE9ELNS1_3repE0EEENS1_30default_config_static_selectorELNS0_4arch9wavefront6targetE0EEEvS13_
	.p2align	8
	.type	_ZN7rocprim17ROCPRIM_400000_NS6detail17trampoline_kernelINS0_13select_configILj256ELj13ELNS0_17block_load_methodE3ELS4_3ELS4_3ELNS0_20block_scan_algorithmE0ELj4294967295EEENS1_25partition_config_selectorILNS1_17partition_subalgoE4EjNS0_10empty_typeEbEEZZNS1_14partition_implILS8_4ELb0ES6_15HIP_vector_typeIjLj2EENS0_17counting_iteratorIjlEEPS9_SG_NS0_5tupleIJPjSI_NS0_16reverse_iteratorISI_EEEEENSH_IJSG_SG_SG_EEES9_SI_JZNS1_25segmented_radix_sort_implINS0_14default_configELb1EPK6__halfPSP_PKlPlN2at6native12_GLOBAL__N_18offset_tEEE10hipError_tPvRmT1_PNSt15iterator_traitsIS13_E10value_typeET2_T3_PNS14_IS19_E10value_typeET4_jRbjT5_S1F_jjP12ihipStream_tbEUljE_ZNSN_ISO_Lb1ESR_SS_SU_SV_SZ_EES10_S11_S12_S13_S17_S18_S19_S1C_S1D_jS1E_jS1F_S1F_jjS1H_bEUljE0_EEES10_S11_S12_S19_S1D_S1F_T6_T7_T9_mT8_S1H_bDpT10_ENKUlT_T0_E_clISt17integral_constantIbLb0EES1U_IbLb1EEEEDaS1Q_S1R_EUlS1Q_E_NS1_11comp_targetILNS1_3genE5ELNS1_11target_archE942ELNS1_3gpuE9ELNS1_3repE0EEENS1_30default_config_static_selectorELNS0_4arch9wavefront6targetE0EEEvS13_,@function
_ZN7rocprim17ROCPRIM_400000_NS6detail17trampoline_kernelINS0_13select_configILj256ELj13ELNS0_17block_load_methodE3ELS4_3ELS4_3ELNS0_20block_scan_algorithmE0ELj4294967295EEENS1_25partition_config_selectorILNS1_17partition_subalgoE4EjNS0_10empty_typeEbEEZZNS1_14partition_implILS8_4ELb0ES6_15HIP_vector_typeIjLj2EENS0_17counting_iteratorIjlEEPS9_SG_NS0_5tupleIJPjSI_NS0_16reverse_iteratorISI_EEEEENSH_IJSG_SG_SG_EEES9_SI_JZNS1_25segmented_radix_sort_implINS0_14default_configELb1EPK6__halfPSP_PKlPlN2at6native12_GLOBAL__N_18offset_tEEE10hipError_tPvRmT1_PNSt15iterator_traitsIS13_E10value_typeET2_T3_PNS14_IS19_E10value_typeET4_jRbjT5_S1F_jjP12ihipStream_tbEUljE_ZNSN_ISO_Lb1ESR_SS_SU_SV_SZ_EES10_S11_S12_S13_S17_S18_S19_S1C_S1D_jS1E_jS1F_S1F_jjS1H_bEUljE0_EEES10_S11_S12_S19_S1D_S1F_T6_T7_T9_mT8_S1H_bDpT10_ENKUlT_T0_E_clISt17integral_constantIbLb0EES1U_IbLb1EEEEDaS1Q_S1R_EUlS1Q_E_NS1_11comp_targetILNS1_3genE5ELNS1_11target_archE942ELNS1_3gpuE9ELNS1_3repE0EEENS1_30default_config_static_selectorELNS0_4arch9wavefront6targetE0EEEvS13_: ; @_ZN7rocprim17ROCPRIM_400000_NS6detail17trampoline_kernelINS0_13select_configILj256ELj13ELNS0_17block_load_methodE3ELS4_3ELS4_3ELNS0_20block_scan_algorithmE0ELj4294967295EEENS1_25partition_config_selectorILNS1_17partition_subalgoE4EjNS0_10empty_typeEbEEZZNS1_14partition_implILS8_4ELb0ES6_15HIP_vector_typeIjLj2EENS0_17counting_iteratorIjlEEPS9_SG_NS0_5tupleIJPjSI_NS0_16reverse_iteratorISI_EEEEENSH_IJSG_SG_SG_EEES9_SI_JZNS1_25segmented_radix_sort_implINS0_14default_configELb1EPK6__halfPSP_PKlPlN2at6native12_GLOBAL__N_18offset_tEEE10hipError_tPvRmT1_PNSt15iterator_traitsIS13_E10value_typeET2_T3_PNS14_IS19_E10value_typeET4_jRbjT5_S1F_jjP12ihipStream_tbEUljE_ZNSN_ISO_Lb1ESR_SS_SU_SV_SZ_EES10_S11_S12_S13_S17_S18_S19_S1C_S1D_jS1E_jS1F_S1F_jjS1H_bEUljE0_EEES10_S11_S12_S19_S1D_S1F_T6_T7_T9_mT8_S1H_bDpT10_ENKUlT_T0_E_clISt17integral_constantIbLb0EES1U_IbLb1EEEEDaS1Q_S1R_EUlS1Q_E_NS1_11comp_targetILNS1_3genE5ELNS1_11target_archE942ELNS1_3gpuE9ELNS1_3repE0EEENS1_30default_config_static_selectorELNS0_4arch9wavefront6targetE0EEEvS13_
; %bb.0:
	.section	.rodata,"a",@progbits
	.p2align	6, 0x0
	.amdhsa_kernel _ZN7rocprim17ROCPRIM_400000_NS6detail17trampoline_kernelINS0_13select_configILj256ELj13ELNS0_17block_load_methodE3ELS4_3ELS4_3ELNS0_20block_scan_algorithmE0ELj4294967295EEENS1_25partition_config_selectorILNS1_17partition_subalgoE4EjNS0_10empty_typeEbEEZZNS1_14partition_implILS8_4ELb0ES6_15HIP_vector_typeIjLj2EENS0_17counting_iteratorIjlEEPS9_SG_NS0_5tupleIJPjSI_NS0_16reverse_iteratorISI_EEEEENSH_IJSG_SG_SG_EEES9_SI_JZNS1_25segmented_radix_sort_implINS0_14default_configELb1EPK6__halfPSP_PKlPlN2at6native12_GLOBAL__N_18offset_tEEE10hipError_tPvRmT1_PNSt15iterator_traitsIS13_E10value_typeET2_T3_PNS14_IS19_E10value_typeET4_jRbjT5_S1F_jjP12ihipStream_tbEUljE_ZNSN_ISO_Lb1ESR_SS_SU_SV_SZ_EES10_S11_S12_S13_S17_S18_S19_S1C_S1D_jS1E_jS1F_S1F_jjS1H_bEUljE0_EEES10_S11_S12_S19_S1D_S1F_T6_T7_T9_mT8_S1H_bDpT10_ENKUlT_T0_E_clISt17integral_constantIbLb0EES1U_IbLb1EEEEDaS1Q_S1R_EUlS1Q_E_NS1_11comp_targetILNS1_3genE5ELNS1_11target_archE942ELNS1_3gpuE9ELNS1_3repE0EEENS1_30default_config_static_selectorELNS0_4arch9wavefront6targetE0EEEvS13_
		.amdhsa_group_segment_fixed_size 0
		.amdhsa_private_segment_fixed_size 0
		.amdhsa_kernarg_size 184
		.amdhsa_user_sgpr_count 15
		.amdhsa_user_sgpr_dispatch_ptr 0
		.amdhsa_user_sgpr_queue_ptr 0
		.amdhsa_user_sgpr_kernarg_segment_ptr 1
		.amdhsa_user_sgpr_dispatch_id 0
		.amdhsa_user_sgpr_private_segment_size 0
		.amdhsa_wavefront_size32 1
		.amdhsa_uses_dynamic_stack 0
		.amdhsa_enable_private_segment 0
		.amdhsa_system_sgpr_workgroup_id_x 1
		.amdhsa_system_sgpr_workgroup_id_y 0
		.amdhsa_system_sgpr_workgroup_id_z 0
		.amdhsa_system_sgpr_workgroup_info 0
		.amdhsa_system_vgpr_workitem_id 0
		.amdhsa_next_free_vgpr 1
		.amdhsa_next_free_sgpr 1
		.amdhsa_reserve_vcc 0
		.amdhsa_float_round_mode_32 0
		.amdhsa_float_round_mode_16_64 0
		.amdhsa_float_denorm_mode_32 3
		.amdhsa_float_denorm_mode_16_64 3
		.amdhsa_dx10_clamp 1
		.amdhsa_ieee_mode 1
		.amdhsa_fp16_overflow 0
		.amdhsa_workgroup_processor_mode 1
		.amdhsa_memory_ordered 1
		.amdhsa_forward_progress 0
		.amdhsa_shared_vgpr_count 0
		.amdhsa_exception_fp_ieee_invalid_op 0
		.amdhsa_exception_fp_denorm_src 0
		.amdhsa_exception_fp_ieee_div_zero 0
		.amdhsa_exception_fp_ieee_overflow 0
		.amdhsa_exception_fp_ieee_underflow 0
		.amdhsa_exception_fp_ieee_inexact 0
		.amdhsa_exception_int_div_zero 0
	.end_amdhsa_kernel
	.section	.text._ZN7rocprim17ROCPRIM_400000_NS6detail17trampoline_kernelINS0_13select_configILj256ELj13ELNS0_17block_load_methodE3ELS4_3ELS4_3ELNS0_20block_scan_algorithmE0ELj4294967295EEENS1_25partition_config_selectorILNS1_17partition_subalgoE4EjNS0_10empty_typeEbEEZZNS1_14partition_implILS8_4ELb0ES6_15HIP_vector_typeIjLj2EENS0_17counting_iteratorIjlEEPS9_SG_NS0_5tupleIJPjSI_NS0_16reverse_iteratorISI_EEEEENSH_IJSG_SG_SG_EEES9_SI_JZNS1_25segmented_radix_sort_implINS0_14default_configELb1EPK6__halfPSP_PKlPlN2at6native12_GLOBAL__N_18offset_tEEE10hipError_tPvRmT1_PNSt15iterator_traitsIS13_E10value_typeET2_T3_PNS14_IS19_E10value_typeET4_jRbjT5_S1F_jjP12ihipStream_tbEUljE_ZNSN_ISO_Lb1ESR_SS_SU_SV_SZ_EES10_S11_S12_S13_S17_S18_S19_S1C_S1D_jS1E_jS1F_S1F_jjS1H_bEUljE0_EEES10_S11_S12_S19_S1D_S1F_T6_T7_T9_mT8_S1H_bDpT10_ENKUlT_T0_E_clISt17integral_constantIbLb0EES1U_IbLb1EEEEDaS1Q_S1R_EUlS1Q_E_NS1_11comp_targetILNS1_3genE5ELNS1_11target_archE942ELNS1_3gpuE9ELNS1_3repE0EEENS1_30default_config_static_selectorELNS0_4arch9wavefront6targetE0EEEvS13_,"axG",@progbits,_ZN7rocprim17ROCPRIM_400000_NS6detail17trampoline_kernelINS0_13select_configILj256ELj13ELNS0_17block_load_methodE3ELS4_3ELS4_3ELNS0_20block_scan_algorithmE0ELj4294967295EEENS1_25partition_config_selectorILNS1_17partition_subalgoE4EjNS0_10empty_typeEbEEZZNS1_14partition_implILS8_4ELb0ES6_15HIP_vector_typeIjLj2EENS0_17counting_iteratorIjlEEPS9_SG_NS0_5tupleIJPjSI_NS0_16reverse_iteratorISI_EEEEENSH_IJSG_SG_SG_EEES9_SI_JZNS1_25segmented_radix_sort_implINS0_14default_configELb1EPK6__halfPSP_PKlPlN2at6native12_GLOBAL__N_18offset_tEEE10hipError_tPvRmT1_PNSt15iterator_traitsIS13_E10value_typeET2_T3_PNS14_IS19_E10value_typeET4_jRbjT5_S1F_jjP12ihipStream_tbEUljE_ZNSN_ISO_Lb1ESR_SS_SU_SV_SZ_EES10_S11_S12_S13_S17_S18_S19_S1C_S1D_jS1E_jS1F_S1F_jjS1H_bEUljE0_EEES10_S11_S12_S19_S1D_S1F_T6_T7_T9_mT8_S1H_bDpT10_ENKUlT_T0_E_clISt17integral_constantIbLb0EES1U_IbLb1EEEEDaS1Q_S1R_EUlS1Q_E_NS1_11comp_targetILNS1_3genE5ELNS1_11target_archE942ELNS1_3gpuE9ELNS1_3repE0EEENS1_30default_config_static_selectorELNS0_4arch9wavefront6targetE0EEEvS13_,comdat
.Lfunc_end1700:
	.size	_ZN7rocprim17ROCPRIM_400000_NS6detail17trampoline_kernelINS0_13select_configILj256ELj13ELNS0_17block_load_methodE3ELS4_3ELS4_3ELNS0_20block_scan_algorithmE0ELj4294967295EEENS1_25partition_config_selectorILNS1_17partition_subalgoE4EjNS0_10empty_typeEbEEZZNS1_14partition_implILS8_4ELb0ES6_15HIP_vector_typeIjLj2EENS0_17counting_iteratorIjlEEPS9_SG_NS0_5tupleIJPjSI_NS0_16reverse_iteratorISI_EEEEENSH_IJSG_SG_SG_EEES9_SI_JZNS1_25segmented_radix_sort_implINS0_14default_configELb1EPK6__halfPSP_PKlPlN2at6native12_GLOBAL__N_18offset_tEEE10hipError_tPvRmT1_PNSt15iterator_traitsIS13_E10value_typeET2_T3_PNS14_IS19_E10value_typeET4_jRbjT5_S1F_jjP12ihipStream_tbEUljE_ZNSN_ISO_Lb1ESR_SS_SU_SV_SZ_EES10_S11_S12_S13_S17_S18_S19_S1C_S1D_jS1E_jS1F_S1F_jjS1H_bEUljE0_EEES10_S11_S12_S19_S1D_S1F_T6_T7_T9_mT8_S1H_bDpT10_ENKUlT_T0_E_clISt17integral_constantIbLb0EES1U_IbLb1EEEEDaS1Q_S1R_EUlS1Q_E_NS1_11comp_targetILNS1_3genE5ELNS1_11target_archE942ELNS1_3gpuE9ELNS1_3repE0EEENS1_30default_config_static_selectorELNS0_4arch9wavefront6targetE0EEEvS13_, .Lfunc_end1700-_ZN7rocprim17ROCPRIM_400000_NS6detail17trampoline_kernelINS0_13select_configILj256ELj13ELNS0_17block_load_methodE3ELS4_3ELS4_3ELNS0_20block_scan_algorithmE0ELj4294967295EEENS1_25partition_config_selectorILNS1_17partition_subalgoE4EjNS0_10empty_typeEbEEZZNS1_14partition_implILS8_4ELb0ES6_15HIP_vector_typeIjLj2EENS0_17counting_iteratorIjlEEPS9_SG_NS0_5tupleIJPjSI_NS0_16reverse_iteratorISI_EEEEENSH_IJSG_SG_SG_EEES9_SI_JZNS1_25segmented_radix_sort_implINS0_14default_configELb1EPK6__halfPSP_PKlPlN2at6native12_GLOBAL__N_18offset_tEEE10hipError_tPvRmT1_PNSt15iterator_traitsIS13_E10value_typeET2_T3_PNS14_IS19_E10value_typeET4_jRbjT5_S1F_jjP12ihipStream_tbEUljE_ZNSN_ISO_Lb1ESR_SS_SU_SV_SZ_EES10_S11_S12_S13_S17_S18_S19_S1C_S1D_jS1E_jS1F_S1F_jjS1H_bEUljE0_EEES10_S11_S12_S19_S1D_S1F_T6_T7_T9_mT8_S1H_bDpT10_ENKUlT_T0_E_clISt17integral_constantIbLb0EES1U_IbLb1EEEEDaS1Q_S1R_EUlS1Q_E_NS1_11comp_targetILNS1_3genE5ELNS1_11target_archE942ELNS1_3gpuE9ELNS1_3repE0EEENS1_30default_config_static_selectorELNS0_4arch9wavefront6targetE0EEEvS13_
                                        ; -- End function
	.section	.AMDGPU.csdata,"",@progbits
; Kernel info:
; codeLenInByte = 0
; NumSgprs: 0
; NumVgprs: 0
; ScratchSize: 0
; MemoryBound: 0
; FloatMode: 240
; IeeeMode: 1
; LDSByteSize: 0 bytes/workgroup (compile time only)
; SGPRBlocks: 0
; VGPRBlocks: 0
; NumSGPRsForWavesPerEU: 1
; NumVGPRsForWavesPerEU: 1
; Occupancy: 16
; WaveLimiterHint : 0
; COMPUTE_PGM_RSRC2:SCRATCH_EN: 0
; COMPUTE_PGM_RSRC2:USER_SGPR: 15
; COMPUTE_PGM_RSRC2:TRAP_HANDLER: 0
; COMPUTE_PGM_RSRC2:TGID_X_EN: 1
; COMPUTE_PGM_RSRC2:TGID_Y_EN: 0
; COMPUTE_PGM_RSRC2:TGID_Z_EN: 0
; COMPUTE_PGM_RSRC2:TIDIG_COMP_CNT: 0
	.section	.text._ZN7rocprim17ROCPRIM_400000_NS6detail17trampoline_kernelINS0_13select_configILj256ELj13ELNS0_17block_load_methodE3ELS4_3ELS4_3ELNS0_20block_scan_algorithmE0ELj4294967295EEENS1_25partition_config_selectorILNS1_17partition_subalgoE4EjNS0_10empty_typeEbEEZZNS1_14partition_implILS8_4ELb0ES6_15HIP_vector_typeIjLj2EENS0_17counting_iteratorIjlEEPS9_SG_NS0_5tupleIJPjSI_NS0_16reverse_iteratorISI_EEEEENSH_IJSG_SG_SG_EEES9_SI_JZNS1_25segmented_radix_sort_implINS0_14default_configELb1EPK6__halfPSP_PKlPlN2at6native12_GLOBAL__N_18offset_tEEE10hipError_tPvRmT1_PNSt15iterator_traitsIS13_E10value_typeET2_T3_PNS14_IS19_E10value_typeET4_jRbjT5_S1F_jjP12ihipStream_tbEUljE_ZNSN_ISO_Lb1ESR_SS_SU_SV_SZ_EES10_S11_S12_S13_S17_S18_S19_S1C_S1D_jS1E_jS1F_S1F_jjS1H_bEUljE0_EEES10_S11_S12_S19_S1D_S1F_T6_T7_T9_mT8_S1H_bDpT10_ENKUlT_T0_E_clISt17integral_constantIbLb0EES1U_IbLb1EEEEDaS1Q_S1R_EUlS1Q_E_NS1_11comp_targetILNS1_3genE4ELNS1_11target_archE910ELNS1_3gpuE8ELNS1_3repE0EEENS1_30default_config_static_selectorELNS0_4arch9wavefront6targetE0EEEvS13_,"axG",@progbits,_ZN7rocprim17ROCPRIM_400000_NS6detail17trampoline_kernelINS0_13select_configILj256ELj13ELNS0_17block_load_methodE3ELS4_3ELS4_3ELNS0_20block_scan_algorithmE0ELj4294967295EEENS1_25partition_config_selectorILNS1_17partition_subalgoE4EjNS0_10empty_typeEbEEZZNS1_14partition_implILS8_4ELb0ES6_15HIP_vector_typeIjLj2EENS0_17counting_iteratorIjlEEPS9_SG_NS0_5tupleIJPjSI_NS0_16reverse_iteratorISI_EEEEENSH_IJSG_SG_SG_EEES9_SI_JZNS1_25segmented_radix_sort_implINS0_14default_configELb1EPK6__halfPSP_PKlPlN2at6native12_GLOBAL__N_18offset_tEEE10hipError_tPvRmT1_PNSt15iterator_traitsIS13_E10value_typeET2_T3_PNS14_IS19_E10value_typeET4_jRbjT5_S1F_jjP12ihipStream_tbEUljE_ZNSN_ISO_Lb1ESR_SS_SU_SV_SZ_EES10_S11_S12_S13_S17_S18_S19_S1C_S1D_jS1E_jS1F_S1F_jjS1H_bEUljE0_EEES10_S11_S12_S19_S1D_S1F_T6_T7_T9_mT8_S1H_bDpT10_ENKUlT_T0_E_clISt17integral_constantIbLb0EES1U_IbLb1EEEEDaS1Q_S1R_EUlS1Q_E_NS1_11comp_targetILNS1_3genE4ELNS1_11target_archE910ELNS1_3gpuE8ELNS1_3repE0EEENS1_30default_config_static_selectorELNS0_4arch9wavefront6targetE0EEEvS13_,comdat
	.globl	_ZN7rocprim17ROCPRIM_400000_NS6detail17trampoline_kernelINS0_13select_configILj256ELj13ELNS0_17block_load_methodE3ELS4_3ELS4_3ELNS0_20block_scan_algorithmE0ELj4294967295EEENS1_25partition_config_selectorILNS1_17partition_subalgoE4EjNS0_10empty_typeEbEEZZNS1_14partition_implILS8_4ELb0ES6_15HIP_vector_typeIjLj2EENS0_17counting_iteratorIjlEEPS9_SG_NS0_5tupleIJPjSI_NS0_16reverse_iteratorISI_EEEEENSH_IJSG_SG_SG_EEES9_SI_JZNS1_25segmented_radix_sort_implINS0_14default_configELb1EPK6__halfPSP_PKlPlN2at6native12_GLOBAL__N_18offset_tEEE10hipError_tPvRmT1_PNSt15iterator_traitsIS13_E10value_typeET2_T3_PNS14_IS19_E10value_typeET4_jRbjT5_S1F_jjP12ihipStream_tbEUljE_ZNSN_ISO_Lb1ESR_SS_SU_SV_SZ_EES10_S11_S12_S13_S17_S18_S19_S1C_S1D_jS1E_jS1F_S1F_jjS1H_bEUljE0_EEES10_S11_S12_S19_S1D_S1F_T6_T7_T9_mT8_S1H_bDpT10_ENKUlT_T0_E_clISt17integral_constantIbLb0EES1U_IbLb1EEEEDaS1Q_S1R_EUlS1Q_E_NS1_11comp_targetILNS1_3genE4ELNS1_11target_archE910ELNS1_3gpuE8ELNS1_3repE0EEENS1_30default_config_static_selectorELNS0_4arch9wavefront6targetE0EEEvS13_ ; -- Begin function _ZN7rocprim17ROCPRIM_400000_NS6detail17trampoline_kernelINS0_13select_configILj256ELj13ELNS0_17block_load_methodE3ELS4_3ELS4_3ELNS0_20block_scan_algorithmE0ELj4294967295EEENS1_25partition_config_selectorILNS1_17partition_subalgoE4EjNS0_10empty_typeEbEEZZNS1_14partition_implILS8_4ELb0ES6_15HIP_vector_typeIjLj2EENS0_17counting_iteratorIjlEEPS9_SG_NS0_5tupleIJPjSI_NS0_16reverse_iteratorISI_EEEEENSH_IJSG_SG_SG_EEES9_SI_JZNS1_25segmented_radix_sort_implINS0_14default_configELb1EPK6__halfPSP_PKlPlN2at6native12_GLOBAL__N_18offset_tEEE10hipError_tPvRmT1_PNSt15iterator_traitsIS13_E10value_typeET2_T3_PNS14_IS19_E10value_typeET4_jRbjT5_S1F_jjP12ihipStream_tbEUljE_ZNSN_ISO_Lb1ESR_SS_SU_SV_SZ_EES10_S11_S12_S13_S17_S18_S19_S1C_S1D_jS1E_jS1F_S1F_jjS1H_bEUljE0_EEES10_S11_S12_S19_S1D_S1F_T6_T7_T9_mT8_S1H_bDpT10_ENKUlT_T0_E_clISt17integral_constantIbLb0EES1U_IbLb1EEEEDaS1Q_S1R_EUlS1Q_E_NS1_11comp_targetILNS1_3genE4ELNS1_11target_archE910ELNS1_3gpuE8ELNS1_3repE0EEENS1_30default_config_static_selectorELNS0_4arch9wavefront6targetE0EEEvS13_
	.p2align	8
	.type	_ZN7rocprim17ROCPRIM_400000_NS6detail17trampoline_kernelINS0_13select_configILj256ELj13ELNS0_17block_load_methodE3ELS4_3ELS4_3ELNS0_20block_scan_algorithmE0ELj4294967295EEENS1_25partition_config_selectorILNS1_17partition_subalgoE4EjNS0_10empty_typeEbEEZZNS1_14partition_implILS8_4ELb0ES6_15HIP_vector_typeIjLj2EENS0_17counting_iteratorIjlEEPS9_SG_NS0_5tupleIJPjSI_NS0_16reverse_iteratorISI_EEEEENSH_IJSG_SG_SG_EEES9_SI_JZNS1_25segmented_radix_sort_implINS0_14default_configELb1EPK6__halfPSP_PKlPlN2at6native12_GLOBAL__N_18offset_tEEE10hipError_tPvRmT1_PNSt15iterator_traitsIS13_E10value_typeET2_T3_PNS14_IS19_E10value_typeET4_jRbjT5_S1F_jjP12ihipStream_tbEUljE_ZNSN_ISO_Lb1ESR_SS_SU_SV_SZ_EES10_S11_S12_S13_S17_S18_S19_S1C_S1D_jS1E_jS1F_S1F_jjS1H_bEUljE0_EEES10_S11_S12_S19_S1D_S1F_T6_T7_T9_mT8_S1H_bDpT10_ENKUlT_T0_E_clISt17integral_constantIbLb0EES1U_IbLb1EEEEDaS1Q_S1R_EUlS1Q_E_NS1_11comp_targetILNS1_3genE4ELNS1_11target_archE910ELNS1_3gpuE8ELNS1_3repE0EEENS1_30default_config_static_selectorELNS0_4arch9wavefront6targetE0EEEvS13_,@function
_ZN7rocprim17ROCPRIM_400000_NS6detail17trampoline_kernelINS0_13select_configILj256ELj13ELNS0_17block_load_methodE3ELS4_3ELS4_3ELNS0_20block_scan_algorithmE0ELj4294967295EEENS1_25partition_config_selectorILNS1_17partition_subalgoE4EjNS0_10empty_typeEbEEZZNS1_14partition_implILS8_4ELb0ES6_15HIP_vector_typeIjLj2EENS0_17counting_iteratorIjlEEPS9_SG_NS0_5tupleIJPjSI_NS0_16reverse_iteratorISI_EEEEENSH_IJSG_SG_SG_EEES9_SI_JZNS1_25segmented_radix_sort_implINS0_14default_configELb1EPK6__halfPSP_PKlPlN2at6native12_GLOBAL__N_18offset_tEEE10hipError_tPvRmT1_PNSt15iterator_traitsIS13_E10value_typeET2_T3_PNS14_IS19_E10value_typeET4_jRbjT5_S1F_jjP12ihipStream_tbEUljE_ZNSN_ISO_Lb1ESR_SS_SU_SV_SZ_EES10_S11_S12_S13_S17_S18_S19_S1C_S1D_jS1E_jS1F_S1F_jjS1H_bEUljE0_EEES10_S11_S12_S19_S1D_S1F_T6_T7_T9_mT8_S1H_bDpT10_ENKUlT_T0_E_clISt17integral_constantIbLb0EES1U_IbLb1EEEEDaS1Q_S1R_EUlS1Q_E_NS1_11comp_targetILNS1_3genE4ELNS1_11target_archE910ELNS1_3gpuE8ELNS1_3repE0EEENS1_30default_config_static_selectorELNS0_4arch9wavefront6targetE0EEEvS13_: ; @_ZN7rocprim17ROCPRIM_400000_NS6detail17trampoline_kernelINS0_13select_configILj256ELj13ELNS0_17block_load_methodE3ELS4_3ELS4_3ELNS0_20block_scan_algorithmE0ELj4294967295EEENS1_25partition_config_selectorILNS1_17partition_subalgoE4EjNS0_10empty_typeEbEEZZNS1_14partition_implILS8_4ELb0ES6_15HIP_vector_typeIjLj2EENS0_17counting_iteratorIjlEEPS9_SG_NS0_5tupleIJPjSI_NS0_16reverse_iteratorISI_EEEEENSH_IJSG_SG_SG_EEES9_SI_JZNS1_25segmented_radix_sort_implINS0_14default_configELb1EPK6__halfPSP_PKlPlN2at6native12_GLOBAL__N_18offset_tEEE10hipError_tPvRmT1_PNSt15iterator_traitsIS13_E10value_typeET2_T3_PNS14_IS19_E10value_typeET4_jRbjT5_S1F_jjP12ihipStream_tbEUljE_ZNSN_ISO_Lb1ESR_SS_SU_SV_SZ_EES10_S11_S12_S13_S17_S18_S19_S1C_S1D_jS1E_jS1F_S1F_jjS1H_bEUljE0_EEES10_S11_S12_S19_S1D_S1F_T6_T7_T9_mT8_S1H_bDpT10_ENKUlT_T0_E_clISt17integral_constantIbLb0EES1U_IbLb1EEEEDaS1Q_S1R_EUlS1Q_E_NS1_11comp_targetILNS1_3genE4ELNS1_11target_archE910ELNS1_3gpuE8ELNS1_3repE0EEENS1_30default_config_static_selectorELNS0_4arch9wavefront6targetE0EEEvS13_
; %bb.0:
	.section	.rodata,"a",@progbits
	.p2align	6, 0x0
	.amdhsa_kernel _ZN7rocprim17ROCPRIM_400000_NS6detail17trampoline_kernelINS0_13select_configILj256ELj13ELNS0_17block_load_methodE3ELS4_3ELS4_3ELNS0_20block_scan_algorithmE0ELj4294967295EEENS1_25partition_config_selectorILNS1_17partition_subalgoE4EjNS0_10empty_typeEbEEZZNS1_14partition_implILS8_4ELb0ES6_15HIP_vector_typeIjLj2EENS0_17counting_iteratorIjlEEPS9_SG_NS0_5tupleIJPjSI_NS0_16reverse_iteratorISI_EEEEENSH_IJSG_SG_SG_EEES9_SI_JZNS1_25segmented_radix_sort_implINS0_14default_configELb1EPK6__halfPSP_PKlPlN2at6native12_GLOBAL__N_18offset_tEEE10hipError_tPvRmT1_PNSt15iterator_traitsIS13_E10value_typeET2_T3_PNS14_IS19_E10value_typeET4_jRbjT5_S1F_jjP12ihipStream_tbEUljE_ZNSN_ISO_Lb1ESR_SS_SU_SV_SZ_EES10_S11_S12_S13_S17_S18_S19_S1C_S1D_jS1E_jS1F_S1F_jjS1H_bEUljE0_EEES10_S11_S12_S19_S1D_S1F_T6_T7_T9_mT8_S1H_bDpT10_ENKUlT_T0_E_clISt17integral_constantIbLb0EES1U_IbLb1EEEEDaS1Q_S1R_EUlS1Q_E_NS1_11comp_targetILNS1_3genE4ELNS1_11target_archE910ELNS1_3gpuE8ELNS1_3repE0EEENS1_30default_config_static_selectorELNS0_4arch9wavefront6targetE0EEEvS13_
		.amdhsa_group_segment_fixed_size 0
		.amdhsa_private_segment_fixed_size 0
		.amdhsa_kernarg_size 184
		.amdhsa_user_sgpr_count 15
		.amdhsa_user_sgpr_dispatch_ptr 0
		.amdhsa_user_sgpr_queue_ptr 0
		.amdhsa_user_sgpr_kernarg_segment_ptr 1
		.amdhsa_user_sgpr_dispatch_id 0
		.amdhsa_user_sgpr_private_segment_size 0
		.amdhsa_wavefront_size32 1
		.amdhsa_uses_dynamic_stack 0
		.amdhsa_enable_private_segment 0
		.amdhsa_system_sgpr_workgroup_id_x 1
		.amdhsa_system_sgpr_workgroup_id_y 0
		.amdhsa_system_sgpr_workgroup_id_z 0
		.amdhsa_system_sgpr_workgroup_info 0
		.amdhsa_system_vgpr_workitem_id 0
		.amdhsa_next_free_vgpr 1
		.amdhsa_next_free_sgpr 1
		.amdhsa_reserve_vcc 0
		.amdhsa_float_round_mode_32 0
		.amdhsa_float_round_mode_16_64 0
		.amdhsa_float_denorm_mode_32 3
		.amdhsa_float_denorm_mode_16_64 3
		.amdhsa_dx10_clamp 1
		.amdhsa_ieee_mode 1
		.amdhsa_fp16_overflow 0
		.amdhsa_workgroup_processor_mode 1
		.amdhsa_memory_ordered 1
		.amdhsa_forward_progress 0
		.amdhsa_shared_vgpr_count 0
		.amdhsa_exception_fp_ieee_invalid_op 0
		.amdhsa_exception_fp_denorm_src 0
		.amdhsa_exception_fp_ieee_div_zero 0
		.amdhsa_exception_fp_ieee_overflow 0
		.amdhsa_exception_fp_ieee_underflow 0
		.amdhsa_exception_fp_ieee_inexact 0
		.amdhsa_exception_int_div_zero 0
	.end_amdhsa_kernel
	.section	.text._ZN7rocprim17ROCPRIM_400000_NS6detail17trampoline_kernelINS0_13select_configILj256ELj13ELNS0_17block_load_methodE3ELS4_3ELS4_3ELNS0_20block_scan_algorithmE0ELj4294967295EEENS1_25partition_config_selectorILNS1_17partition_subalgoE4EjNS0_10empty_typeEbEEZZNS1_14partition_implILS8_4ELb0ES6_15HIP_vector_typeIjLj2EENS0_17counting_iteratorIjlEEPS9_SG_NS0_5tupleIJPjSI_NS0_16reverse_iteratorISI_EEEEENSH_IJSG_SG_SG_EEES9_SI_JZNS1_25segmented_radix_sort_implINS0_14default_configELb1EPK6__halfPSP_PKlPlN2at6native12_GLOBAL__N_18offset_tEEE10hipError_tPvRmT1_PNSt15iterator_traitsIS13_E10value_typeET2_T3_PNS14_IS19_E10value_typeET4_jRbjT5_S1F_jjP12ihipStream_tbEUljE_ZNSN_ISO_Lb1ESR_SS_SU_SV_SZ_EES10_S11_S12_S13_S17_S18_S19_S1C_S1D_jS1E_jS1F_S1F_jjS1H_bEUljE0_EEES10_S11_S12_S19_S1D_S1F_T6_T7_T9_mT8_S1H_bDpT10_ENKUlT_T0_E_clISt17integral_constantIbLb0EES1U_IbLb1EEEEDaS1Q_S1R_EUlS1Q_E_NS1_11comp_targetILNS1_3genE4ELNS1_11target_archE910ELNS1_3gpuE8ELNS1_3repE0EEENS1_30default_config_static_selectorELNS0_4arch9wavefront6targetE0EEEvS13_,"axG",@progbits,_ZN7rocprim17ROCPRIM_400000_NS6detail17trampoline_kernelINS0_13select_configILj256ELj13ELNS0_17block_load_methodE3ELS4_3ELS4_3ELNS0_20block_scan_algorithmE0ELj4294967295EEENS1_25partition_config_selectorILNS1_17partition_subalgoE4EjNS0_10empty_typeEbEEZZNS1_14partition_implILS8_4ELb0ES6_15HIP_vector_typeIjLj2EENS0_17counting_iteratorIjlEEPS9_SG_NS0_5tupleIJPjSI_NS0_16reverse_iteratorISI_EEEEENSH_IJSG_SG_SG_EEES9_SI_JZNS1_25segmented_radix_sort_implINS0_14default_configELb1EPK6__halfPSP_PKlPlN2at6native12_GLOBAL__N_18offset_tEEE10hipError_tPvRmT1_PNSt15iterator_traitsIS13_E10value_typeET2_T3_PNS14_IS19_E10value_typeET4_jRbjT5_S1F_jjP12ihipStream_tbEUljE_ZNSN_ISO_Lb1ESR_SS_SU_SV_SZ_EES10_S11_S12_S13_S17_S18_S19_S1C_S1D_jS1E_jS1F_S1F_jjS1H_bEUljE0_EEES10_S11_S12_S19_S1D_S1F_T6_T7_T9_mT8_S1H_bDpT10_ENKUlT_T0_E_clISt17integral_constantIbLb0EES1U_IbLb1EEEEDaS1Q_S1R_EUlS1Q_E_NS1_11comp_targetILNS1_3genE4ELNS1_11target_archE910ELNS1_3gpuE8ELNS1_3repE0EEENS1_30default_config_static_selectorELNS0_4arch9wavefront6targetE0EEEvS13_,comdat
.Lfunc_end1701:
	.size	_ZN7rocprim17ROCPRIM_400000_NS6detail17trampoline_kernelINS0_13select_configILj256ELj13ELNS0_17block_load_methodE3ELS4_3ELS4_3ELNS0_20block_scan_algorithmE0ELj4294967295EEENS1_25partition_config_selectorILNS1_17partition_subalgoE4EjNS0_10empty_typeEbEEZZNS1_14partition_implILS8_4ELb0ES6_15HIP_vector_typeIjLj2EENS0_17counting_iteratorIjlEEPS9_SG_NS0_5tupleIJPjSI_NS0_16reverse_iteratorISI_EEEEENSH_IJSG_SG_SG_EEES9_SI_JZNS1_25segmented_radix_sort_implINS0_14default_configELb1EPK6__halfPSP_PKlPlN2at6native12_GLOBAL__N_18offset_tEEE10hipError_tPvRmT1_PNSt15iterator_traitsIS13_E10value_typeET2_T3_PNS14_IS19_E10value_typeET4_jRbjT5_S1F_jjP12ihipStream_tbEUljE_ZNSN_ISO_Lb1ESR_SS_SU_SV_SZ_EES10_S11_S12_S13_S17_S18_S19_S1C_S1D_jS1E_jS1F_S1F_jjS1H_bEUljE0_EEES10_S11_S12_S19_S1D_S1F_T6_T7_T9_mT8_S1H_bDpT10_ENKUlT_T0_E_clISt17integral_constantIbLb0EES1U_IbLb1EEEEDaS1Q_S1R_EUlS1Q_E_NS1_11comp_targetILNS1_3genE4ELNS1_11target_archE910ELNS1_3gpuE8ELNS1_3repE0EEENS1_30default_config_static_selectorELNS0_4arch9wavefront6targetE0EEEvS13_, .Lfunc_end1701-_ZN7rocprim17ROCPRIM_400000_NS6detail17trampoline_kernelINS0_13select_configILj256ELj13ELNS0_17block_load_methodE3ELS4_3ELS4_3ELNS0_20block_scan_algorithmE0ELj4294967295EEENS1_25partition_config_selectorILNS1_17partition_subalgoE4EjNS0_10empty_typeEbEEZZNS1_14partition_implILS8_4ELb0ES6_15HIP_vector_typeIjLj2EENS0_17counting_iteratorIjlEEPS9_SG_NS0_5tupleIJPjSI_NS0_16reverse_iteratorISI_EEEEENSH_IJSG_SG_SG_EEES9_SI_JZNS1_25segmented_radix_sort_implINS0_14default_configELb1EPK6__halfPSP_PKlPlN2at6native12_GLOBAL__N_18offset_tEEE10hipError_tPvRmT1_PNSt15iterator_traitsIS13_E10value_typeET2_T3_PNS14_IS19_E10value_typeET4_jRbjT5_S1F_jjP12ihipStream_tbEUljE_ZNSN_ISO_Lb1ESR_SS_SU_SV_SZ_EES10_S11_S12_S13_S17_S18_S19_S1C_S1D_jS1E_jS1F_S1F_jjS1H_bEUljE0_EEES10_S11_S12_S19_S1D_S1F_T6_T7_T9_mT8_S1H_bDpT10_ENKUlT_T0_E_clISt17integral_constantIbLb0EES1U_IbLb1EEEEDaS1Q_S1R_EUlS1Q_E_NS1_11comp_targetILNS1_3genE4ELNS1_11target_archE910ELNS1_3gpuE8ELNS1_3repE0EEENS1_30default_config_static_selectorELNS0_4arch9wavefront6targetE0EEEvS13_
                                        ; -- End function
	.section	.AMDGPU.csdata,"",@progbits
; Kernel info:
; codeLenInByte = 0
; NumSgprs: 0
; NumVgprs: 0
; ScratchSize: 0
; MemoryBound: 0
; FloatMode: 240
; IeeeMode: 1
; LDSByteSize: 0 bytes/workgroup (compile time only)
; SGPRBlocks: 0
; VGPRBlocks: 0
; NumSGPRsForWavesPerEU: 1
; NumVGPRsForWavesPerEU: 1
; Occupancy: 16
; WaveLimiterHint : 0
; COMPUTE_PGM_RSRC2:SCRATCH_EN: 0
; COMPUTE_PGM_RSRC2:USER_SGPR: 15
; COMPUTE_PGM_RSRC2:TRAP_HANDLER: 0
; COMPUTE_PGM_RSRC2:TGID_X_EN: 1
; COMPUTE_PGM_RSRC2:TGID_Y_EN: 0
; COMPUTE_PGM_RSRC2:TGID_Z_EN: 0
; COMPUTE_PGM_RSRC2:TIDIG_COMP_CNT: 0
	.section	.text._ZN7rocprim17ROCPRIM_400000_NS6detail17trampoline_kernelINS0_13select_configILj256ELj13ELNS0_17block_load_methodE3ELS4_3ELS4_3ELNS0_20block_scan_algorithmE0ELj4294967295EEENS1_25partition_config_selectorILNS1_17partition_subalgoE4EjNS0_10empty_typeEbEEZZNS1_14partition_implILS8_4ELb0ES6_15HIP_vector_typeIjLj2EENS0_17counting_iteratorIjlEEPS9_SG_NS0_5tupleIJPjSI_NS0_16reverse_iteratorISI_EEEEENSH_IJSG_SG_SG_EEES9_SI_JZNS1_25segmented_radix_sort_implINS0_14default_configELb1EPK6__halfPSP_PKlPlN2at6native12_GLOBAL__N_18offset_tEEE10hipError_tPvRmT1_PNSt15iterator_traitsIS13_E10value_typeET2_T3_PNS14_IS19_E10value_typeET4_jRbjT5_S1F_jjP12ihipStream_tbEUljE_ZNSN_ISO_Lb1ESR_SS_SU_SV_SZ_EES10_S11_S12_S13_S17_S18_S19_S1C_S1D_jS1E_jS1F_S1F_jjS1H_bEUljE0_EEES10_S11_S12_S19_S1D_S1F_T6_T7_T9_mT8_S1H_bDpT10_ENKUlT_T0_E_clISt17integral_constantIbLb0EES1U_IbLb1EEEEDaS1Q_S1R_EUlS1Q_E_NS1_11comp_targetILNS1_3genE3ELNS1_11target_archE908ELNS1_3gpuE7ELNS1_3repE0EEENS1_30default_config_static_selectorELNS0_4arch9wavefront6targetE0EEEvS13_,"axG",@progbits,_ZN7rocprim17ROCPRIM_400000_NS6detail17trampoline_kernelINS0_13select_configILj256ELj13ELNS0_17block_load_methodE3ELS4_3ELS4_3ELNS0_20block_scan_algorithmE0ELj4294967295EEENS1_25partition_config_selectorILNS1_17partition_subalgoE4EjNS0_10empty_typeEbEEZZNS1_14partition_implILS8_4ELb0ES6_15HIP_vector_typeIjLj2EENS0_17counting_iteratorIjlEEPS9_SG_NS0_5tupleIJPjSI_NS0_16reverse_iteratorISI_EEEEENSH_IJSG_SG_SG_EEES9_SI_JZNS1_25segmented_radix_sort_implINS0_14default_configELb1EPK6__halfPSP_PKlPlN2at6native12_GLOBAL__N_18offset_tEEE10hipError_tPvRmT1_PNSt15iterator_traitsIS13_E10value_typeET2_T3_PNS14_IS19_E10value_typeET4_jRbjT5_S1F_jjP12ihipStream_tbEUljE_ZNSN_ISO_Lb1ESR_SS_SU_SV_SZ_EES10_S11_S12_S13_S17_S18_S19_S1C_S1D_jS1E_jS1F_S1F_jjS1H_bEUljE0_EEES10_S11_S12_S19_S1D_S1F_T6_T7_T9_mT8_S1H_bDpT10_ENKUlT_T0_E_clISt17integral_constantIbLb0EES1U_IbLb1EEEEDaS1Q_S1R_EUlS1Q_E_NS1_11comp_targetILNS1_3genE3ELNS1_11target_archE908ELNS1_3gpuE7ELNS1_3repE0EEENS1_30default_config_static_selectorELNS0_4arch9wavefront6targetE0EEEvS13_,comdat
	.globl	_ZN7rocprim17ROCPRIM_400000_NS6detail17trampoline_kernelINS0_13select_configILj256ELj13ELNS0_17block_load_methodE3ELS4_3ELS4_3ELNS0_20block_scan_algorithmE0ELj4294967295EEENS1_25partition_config_selectorILNS1_17partition_subalgoE4EjNS0_10empty_typeEbEEZZNS1_14partition_implILS8_4ELb0ES6_15HIP_vector_typeIjLj2EENS0_17counting_iteratorIjlEEPS9_SG_NS0_5tupleIJPjSI_NS0_16reverse_iteratorISI_EEEEENSH_IJSG_SG_SG_EEES9_SI_JZNS1_25segmented_radix_sort_implINS0_14default_configELb1EPK6__halfPSP_PKlPlN2at6native12_GLOBAL__N_18offset_tEEE10hipError_tPvRmT1_PNSt15iterator_traitsIS13_E10value_typeET2_T3_PNS14_IS19_E10value_typeET4_jRbjT5_S1F_jjP12ihipStream_tbEUljE_ZNSN_ISO_Lb1ESR_SS_SU_SV_SZ_EES10_S11_S12_S13_S17_S18_S19_S1C_S1D_jS1E_jS1F_S1F_jjS1H_bEUljE0_EEES10_S11_S12_S19_S1D_S1F_T6_T7_T9_mT8_S1H_bDpT10_ENKUlT_T0_E_clISt17integral_constantIbLb0EES1U_IbLb1EEEEDaS1Q_S1R_EUlS1Q_E_NS1_11comp_targetILNS1_3genE3ELNS1_11target_archE908ELNS1_3gpuE7ELNS1_3repE0EEENS1_30default_config_static_selectorELNS0_4arch9wavefront6targetE0EEEvS13_ ; -- Begin function _ZN7rocprim17ROCPRIM_400000_NS6detail17trampoline_kernelINS0_13select_configILj256ELj13ELNS0_17block_load_methodE3ELS4_3ELS4_3ELNS0_20block_scan_algorithmE0ELj4294967295EEENS1_25partition_config_selectorILNS1_17partition_subalgoE4EjNS0_10empty_typeEbEEZZNS1_14partition_implILS8_4ELb0ES6_15HIP_vector_typeIjLj2EENS0_17counting_iteratorIjlEEPS9_SG_NS0_5tupleIJPjSI_NS0_16reverse_iteratorISI_EEEEENSH_IJSG_SG_SG_EEES9_SI_JZNS1_25segmented_radix_sort_implINS0_14default_configELb1EPK6__halfPSP_PKlPlN2at6native12_GLOBAL__N_18offset_tEEE10hipError_tPvRmT1_PNSt15iterator_traitsIS13_E10value_typeET2_T3_PNS14_IS19_E10value_typeET4_jRbjT5_S1F_jjP12ihipStream_tbEUljE_ZNSN_ISO_Lb1ESR_SS_SU_SV_SZ_EES10_S11_S12_S13_S17_S18_S19_S1C_S1D_jS1E_jS1F_S1F_jjS1H_bEUljE0_EEES10_S11_S12_S19_S1D_S1F_T6_T7_T9_mT8_S1H_bDpT10_ENKUlT_T0_E_clISt17integral_constantIbLb0EES1U_IbLb1EEEEDaS1Q_S1R_EUlS1Q_E_NS1_11comp_targetILNS1_3genE3ELNS1_11target_archE908ELNS1_3gpuE7ELNS1_3repE0EEENS1_30default_config_static_selectorELNS0_4arch9wavefront6targetE0EEEvS13_
	.p2align	8
	.type	_ZN7rocprim17ROCPRIM_400000_NS6detail17trampoline_kernelINS0_13select_configILj256ELj13ELNS0_17block_load_methodE3ELS4_3ELS4_3ELNS0_20block_scan_algorithmE0ELj4294967295EEENS1_25partition_config_selectorILNS1_17partition_subalgoE4EjNS0_10empty_typeEbEEZZNS1_14partition_implILS8_4ELb0ES6_15HIP_vector_typeIjLj2EENS0_17counting_iteratorIjlEEPS9_SG_NS0_5tupleIJPjSI_NS0_16reverse_iteratorISI_EEEEENSH_IJSG_SG_SG_EEES9_SI_JZNS1_25segmented_radix_sort_implINS0_14default_configELb1EPK6__halfPSP_PKlPlN2at6native12_GLOBAL__N_18offset_tEEE10hipError_tPvRmT1_PNSt15iterator_traitsIS13_E10value_typeET2_T3_PNS14_IS19_E10value_typeET4_jRbjT5_S1F_jjP12ihipStream_tbEUljE_ZNSN_ISO_Lb1ESR_SS_SU_SV_SZ_EES10_S11_S12_S13_S17_S18_S19_S1C_S1D_jS1E_jS1F_S1F_jjS1H_bEUljE0_EEES10_S11_S12_S19_S1D_S1F_T6_T7_T9_mT8_S1H_bDpT10_ENKUlT_T0_E_clISt17integral_constantIbLb0EES1U_IbLb1EEEEDaS1Q_S1R_EUlS1Q_E_NS1_11comp_targetILNS1_3genE3ELNS1_11target_archE908ELNS1_3gpuE7ELNS1_3repE0EEENS1_30default_config_static_selectorELNS0_4arch9wavefront6targetE0EEEvS13_,@function
_ZN7rocprim17ROCPRIM_400000_NS6detail17trampoline_kernelINS0_13select_configILj256ELj13ELNS0_17block_load_methodE3ELS4_3ELS4_3ELNS0_20block_scan_algorithmE0ELj4294967295EEENS1_25partition_config_selectorILNS1_17partition_subalgoE4EjNS0_10empty_typeEbEEZZNS1_14partition_implILS8_4ELb0ES6_15HIP_vector_typeIjLj2EENS0_17counting_iteratorIjlEEPS9_SG_NS0_5tupleIJPjSI_NS0_16reverse_iteratorISI_EEEEENSH_IJSG_SG_SG_EEES9_SI_JZNS1_25segmented_radix_sort_implINS0_14default_configELb1EPK6__halfPSP_PKlPlN2at6native12_GLOBAL__N_18offset_tEEE10hipError_tPvRmT1_PNSt15iterator_traitsIS13_E10value_typeET2_T3_PNS14_IS19_E10value_typeET4_jRbjT5_S1F_jjP12ihipStream_tbEUljE_ZNSN_ISO_Lb1ESR_SS_SU_SV_SZ_EES10_S11_S12_S13_S17_S18_S19_S1C_S1D_jS1E_jS1F_S1F_jjS1H_bEUljE0_EEES10_S11_S12_S19_S1D_S1F_T6_T7_T9_mT8_S1H_bDpT10_ENKUlT_T0_E_clISt17integral_constantIbLb0EES1U_IbLb1EEEEDaS1Q_S1R_EUlS1Q_E_NS1_11comp_targetILNS1_3genE3ELNS1_11target_archE908ELNS1_3gpuE7ELNS1_3repE0EEENS1_30default_config_static_selectorELNS0_4arch9wavefront6targetE0EEEvS13_: ; @_ZN7rocprim17ROCPRIM_400000_NS6detail17trampoline_kernelINS0_13select_configILj256ELj13ELNS0_17block_load_methodE3ELS4_3ELS4_3ELNS0_20block_scan_algorithmE0ELj4294967295EEENS1_25partition_config_selectorILNS1_17partition_subalgoE4EjNS0_10empty_typeEbEEZZNS1_14partition_implILS8_4ELb0ES6_15HIP_vector_typeIjLj2EENS0_17counting_iteratorIjlEEPS9_SG_NS0_5tupleIJPjSI_NS0_16reverse_iteratorISI_EEEEENSH_IJSG_SG_SG_EEES9_SI_JZNS1_25segmented_radix_sort_implINS0_14default_configELb1EPK6__halfPSP_PKlPlN2at6native12_GLOBAL__N_18offset_tEEE10hipError_tPvRmT1_PNSt15iterator_traitsIS13_E10value_typeET2_T3_PNS14_IS19_E10value_typeET4_jRbjT5_S1F_jjP12ihipStream_tbEUljE_ZNSN_ISO_Lb1ESR_SS_SU_SV_SZ_EES10_S11_S12_S13_S17_S18_S19_S1C_S1D_jS1E_jS1F_S1F_jjS1H_bEUljE0_EEES10_S11_S12_S19_S1D_S1F_T6_T7_T9_mT8_S1H_bDpT10_ENKUlT_T0_E_clISt17integral_constantIbLb0EES1U_IbLb1EEEEDaS1Q_S1R_EUlS1Q_E_NS1_11comp_targetILNS1_3genE3ELNS1_11target_archE908ELNS1_3gpuE7ELNS1_3repE0EEENS1_30default_config_static_selectorELNS0_4arch9wavefront6targetE0EEEvS13_
; %bb.0:
	.section	.rodata,"a",@progbits
	.p2align	6, 0x0
	.amdhsa_kernel _ZN7rocprim17ROCPRIM_400000_NS6detail17trampoline_kernelINS0_13select_configILj256ELj13ELNS0_17block_load_methodE3ELS4_3ELS4_3ELNS0_20block_scan_algorithmE0ELj4294967295EEENS1_25partition_config_selectorILNS1_17partition_subalgoE4EjNS0_10empty_typeEbEEZZNS1_14partition_implILS8_4ELb0ES6_15HIP_vector_typeIjLj2EENS0_17counting_iteratorIjlEEPS9_SG_NS0_5tupleIJPjSI_NS0_16reverse_iteratorISI_EEEEENSH_IJSG_SG_SG_EEES9_SI_JZNS1_25segmented_radix_sort_implINS0_14default_configELb1EPK6__halfPSP_PKlPlN2at6native12_GLOBAL__N_18offset_tEEE10hipError_tPvRmT1_PNSt15iterator_traitsIS13_E10value_typeET2_T3_PNS14_IS19_E10value_typeET4_jRbjT5_S1F_jjP12ihipStream_tbEUljE_ZNSN_ISO_Lb1ESR_SS_SU_SV_SZ_EES10_S11_S12_S13_S17_S18_S19_S1C_S1D_jS1E_jS1F_S1F_jjS1H_bEUljE0_EEES10_S11_S12_S19_S1D_S1F_T6_T7_T9_mT8_S1H_bDpT10_ENKUlT_T0_E_clISt17integral_constantIbLb0EES1U_IbLb1EEEEDaS1Q_S1R_EUlS1Q_E_NS1_11comp_targetILNS1_3genE3ELNS1_11target_archE908ELNS1_3gpuE7ELNS1_3repE0EEENS1_30default_config_static_selectorELNS0_4arch9wavefront6targetE0EEEvS13_
		.amdhsa_group_segment_fixed_size 0
		.amdhsa_private_segment_fixed_size 0
		.amdhsa_kernarg_size 184
		.amdhsa_user_sgpr_count 15
		.amdhsa_user_sgpr_dispatch_ptr 0
		.amdhsa_user_sgpr_queue_ptr 0
		.amdhsa_user_sgpr_kernarg_segment_ptr 1
		.amdhsa_user_sgpr_dispatch_id 0
		.amdhsa_user_sgpr_private_segment_size 0
		.amdhsa_wavefront_size32 1
		.amdhsa_uses_dynamic_stack 0
		.amdhsa_enable_private_segment 0
		.amdhsa_system_sgpr_workgroup_id_x 1
		.amdhsa_system_sgpr_workgroup_id_y 0
		.amdhsa_system_sgpr_workgroup_id_z 0
		.amdhsa_system_sgpr_workgroup_info 0
		.amdhsa_system_vgpr_workitem_id 0
		.amdhsa_next_free_vgpr 1
		.amdhsa_next_free_sgpr 1
		.amdhsa_reserve_vcc 0
		.amdhsa_float_round_mode_32 0
		.amdhsa_float_round_mode_16_64 0
		.amdhsa_float_denorm_mode_32 3
		.amdhsa_float_denorm_mode_16_64 3
		.amdhsa_dx10_clamp 1
		.amdhsa_ieee_mode 1
		.amdhsa_fp16_overflow 0
		.amdhsa_workgroup_processor_mode 1
		.amdhsa_memory_ordered 1
		.amdhsa_forward_progress 0
		.amdhsa_shared_vgpr_count 0
		.amdhsa_exception_fp_ieee_invalid_op 0
		.amdhsa_exception_fp_denorm_src 0
		.amdhsa_exception_fp_ieee_div_zero 0
		.amdhsa_exception_fp_ieee_overflow 0
		.amdhsa_exception_fp_ieee_underflow 0
		.amdhsa_exception_fp_ieee_inexact 0
		.amdhsa_exception_int_div_zero 0
	.end_amdhsa_kernel
	.section	.text._ZN7rocprim17ROCPRIM_400000_NS6detail17trampoline_kernelINS0_13select_configILj256ELj13ELNS0_17block_load_methodE3ELS4_3ELS4_3ELNS0_20block_scan_algorithmE0ELj4294967295EEENS1_25partition_config_selectorILNS1_17partition_subalgoE4EjNS0_10empty_typeEbEEZZNS1_14partition_implILS8_4ELb0ES6_15HIP_vector_typeIjLj2EENS0_17counting_iteratorIjlEEPS9_SG_NS0_5tupleIJPjSI_NS0_16reverse_iteratorISI_EEEEENSH_IJSG_SG_SG_EEES9_SI_JZNS1_25segmented_radix_sort_implINS0_14default_configELb1EPK6__halfPSP_PKlPlN2at6native12_GLOBAL__N_18offset_tEEE10hipError_tPvRmT1_PNSt15iterator_traitsIS13_E10value_typeET2_T3_PNS14_IS19_E10value_typeET4_jRbjT5_S1F_jjP12ihipStream_tbEUljE_ZNSN_ISO_Lb1ESR_SS_SU_SV_SZ_EES10_S11_S12_S13_S17_S18_S19_S1C_S1D_jS1E_jS1F_S1F_jjS1H_bEUljE0_EEES10_S11_S12_S19_S1D_S1F_T6_T7_T9_mT8_S1H_bDpT10_ENKUlT_T0_E_clISt17integral_constantIbLb0EES1U_IbLb1EEEEDaS1Q_S1R_EUlS1Q_E_NS1_11comp_targetILNS1_3genE3ELNS1_11target_archE908ELNS1_3gpuE7ELNS1_3repE0EEENS1_30default_config_static_selectorELNS0_4arch9wavefront6targetE0EEEvS13_,"axG",@progbits,_ZN7rocprim17ROCPRIM_400000_NS6detail17trampoline_kernelINS0_13select_configILj256ELj13ELNS0_17block_load_methodE3ELS4_3ELS4_3ELNS0_20block_scan_algorithmE0ELj4294967295EEENS1_25partition_config_selectorILNS1_17partition_subalgoE4EjNS0_10empty_typeEbEEZZNS1_14partition_implILS8_4ELb0ES6_15HIP_vector_typeIjLj2EENS0_17counting_iteratorIjlEEPS9_SG_NS0_5tupleIJPjSI_NS0_16reverse_iteratorISI_EEEEENSH_IJSG_SG_SG_EEES9_SI_JZNS1_25segmented_radix_sort_implINS0_14default_configELb1EPK6__halfPSP_PKlPlN2at6native12_GLOBAL__N_18offset_tEEE10hipError_tPvRmT1_PNSt15iterator_traitsIS13_E10value_typeET2_T3_PNS14_IS19_E10value_typeET4_jRbjT5_S1F_jjP12ihipStream_tbEUljE_ZNSN_ISO_Lb1ESR_SS_SU_SV_SZ_EES10_S11_S12_S13_S17_S18_S19_S1C_S1D_jS1E_jS1F_S1F_jjS1H_bEUljE0_EEES10_S11_S12_S19_S1D_S1F_T6_T7_T9_mT8_S1H_bDpT10_ENKUlT_T0_E_clISt17integral_constantIbLb0EES1U_IbLb1EEEEDaS1Q_S1R_EUlS1Q_E_NS1_11comp_targetILNS1_3genE3ELNS1_11target_archE908ELNS1_3gpuE7ELNS1_3repE0EEENS1_30default_config_static_selectorELNS0_4arch9wavefront6targetE0EEEvS13_,comdat
.Lfunc_end1702:
	.size	_ZN7rocprim17ROCPRIM_400000_NS6detail17trampoline_kernelINS0_13select_configILj256ELj13ELNS0_17block_load_methodE3ELS4_3ELS4_3ELNS0_20block_scan_algorithmE0ELj4294967295EEENS1_25partition_config_selectorILNS1_17partition_subalgoE4EjNS0_10empty_typeEbEEZZNS1_14partition_implILS8_4ELb0ES6_15HIP_vector_typeIjLj2EENS0_17counting_iteratorIjlEEPS9_SG_NS0_5tupleIJPjSI_NS0_16reverse_iteratorISI_EEEEENSH_IJSG_SG_SG_EEES9_SI_JZNS1_25segmented_radix_sort_implINS0_14default_configELb1EPK6__halfPSP_PKlPlN2at6native12_GLOBAL__N_18offset_tEEE10hipError_tPvRmT1_PNSt15iterator_traitsIS13_E10value_typeET2_T3_PNS14_IS19_E10value_typeET4_jRbjT5_S1F_jjP12ihipStream_tbEUljE_ZNSN_ISO_Lb1ESR_SS_SU_SV_SZ_EES10_S11_S12_S13_S17_S18_S19_S1C_S1D_jS1E_jS1F_S1F_jjS1H_bEUljE0_EEES10_S11_S12_S19_S1D_S1F_T6_T7_T9_mT8_S1H_bDpT10_ENKUlT_T0_E_clISt17integral_constantIbLb0EES1U_IbLb1EEEEDaS1Q_S1R_EUlS1Q_E_NS1_11comp_targetILNS1_3genE3ELNS1_11target_archE908ELNS1_3gpuE7ELNS1_3repE0EEENS1_30default_config_static_selectorELNS0_4arch9wavefront6targetE0EEEvS13_, .Lfunc_end1702-_ZN7rocprim17ROCPRIM_400000_NS6detail17trampoline_kernelINS0_13select_configILj256ELj13ELNS0_17block_load_methodE3ELS4_3ELS4_3ELNS0_20block_scan_algorithmE0ELj4294967295EEENS1_25partition_config_selectorILNS1_17partition_subalgoE4EjNS0_10empty_typeEbEEZZNS1_14partition_implILS8_4ELb0ES6_15HIP_vector_typeIjLj2EENS0_17counting_iteratorIjlEEPS9_SG_NS0_5tupleIJPjSI_NS0_16reverse_iteratorISI_EEEEENSH_IJSG_SG_SG_EEES9_SI_JZNS1_25segmented_radix_sort_implINS0_14default_configELb1EPK6__halfPSP_PKlPlN2at6native12_GLOBAL__N_18offset_tEEE10hipError_tPvRmT1_PNSt15iterator_traitsIS13_E10value_typeET2_T3_PNS14_IS19_E10value_typeET4_jRbjT5_S1F_jjP12ihipStream_tbEUljE_ZNSN_ISO_Lb1ESR_SS_SU_SV_SZ_EES10_S11_S12_S13_S17_S18_S19_S1C_S1D_jS1E_jS1F_S1F_jjS1H_bEUljE0_EEES10_S11_S12_S19_S1D_S1F_T6_T7_T9_mT8_S1H_bDpT10_ENKUlT_T0_E_clISt17integral_constantIbLb0EES1U_IbLb1EEEEDaS1Q_S1R_EUlS1Q_E_NS1_11comp_targetILNS1_3genE3ELNS1_11target_archE908ELNS1_3gpuE7ELNS1_3repE0EEENS1_30default_config_static_selectorELNS0_4arch9wavefront6targetE0EEEvS13_
                                        ; -- End function
	.section	.AMDGPU.csdata,"",@progbits
; Kernel info:
; codeLenInByte = 0
; NumSgprs: 0
; NumVgprs: 0
; ScratchSize: 0
; MemoryBound: 0
; FloatMode: 240
; IeeeMode: 1
; LDSByteSize: 0 bytes/workgroup (compile time only)
; SGPRBlocks: 0
; VGPRBlocks: 0
; NumSGPRsForWavesPerEU: 1
; NumVGPRsForWavesPerEU: 1
; Occupancy: 16
; WaveLimiterHint : 0
; COMPUTE_PGM_RSRC2:SCRATCH_EN: 0
; COMPUTE_PGM_RSRC2:USER_SGPR: 15
; COMPUTE_PGM_RSRC2:TRAP_HANDLER: 0
; COMPUTE_PGM_RSRC2:TGID_X_EN: 1
; COMPUTE_PGM_RSRC2:TGID_Y_EN: 0
; COMPUTE_PGM_RSRC2:TGID_Z_EN: 0
; COMPUTE_PGM_RSRC2:TIDIG_COMP_CNT: 0
	.section	.text._ZN7rocprim17ROCPRIM_400000_NS6detail17trampoline_kernelINS0_13select_configILj256ELj13ELNS0_17block_load_methodE3ELS4_3ELS4_3ELNS0_20block_scan_algorithmE0ELj4294967295EEENS1_25partition_config_selectorILNS1_17partition_subalgoE4EjNS0_10empty_typeEbEEZZNS1_14partition_implILS8_4ELb0ES6_15HIP_vector_typeIjLj2EENS0_17counting_iteratorIjlEEPS9_SG_NS0_5tupleIJPjSI_NS0_16reverse_iteratorISI_EEEEENSH_IJSG_SG_SG_EEES9_SI_JZNS1_25segmented_radix_sort_implINS0_14default_configELb1EPK6__halfPSP_PKlPlN2at6native12_GLOBAL__N_18offset_tEEE10hipError_tPvRmT1_PNSt15iterator_traitsIS13_E10value_typeET2_T3_PNS14_IS19_E10value_typeET4_jRbjT5_S1F_jjP12ihipStream_tbEUljE_ZNSN_ISO_Lb1ESR_SS_SU_SV_SZ_EES10_S11_S12_S13_S17_S18_S19_S1C_S1D_jS1E_jS1F_S1F_jjS1H_bEUljE0_EEES10_S11_S12_S19_S1D_S1F_T6_T7_T9_mT8_S1H_bDpT10_ENKUlT_T0_E_clISt17integral_constantIbLb0EES1U_IbLb1EEEEDaS1Q_S1R_EUlS1Q_E_NS1_11comp_targetILNS1_3genE2ELNS1_11target_archE906ELNS1_3gpuE6ELNS1_3repE0EEENS1_30default_config_static_selectorELNS0_4arch9wavefront6targetE0EEEvS13_,"axG",@progbits,_ZN7rocprim17ROCPRIM_400000_NS6detail17trampoline_kernelINS0_13select_configILj256ELj13ELNS0_17block_load_methodE3ELS4_3ELS4_3ELNS0_20block_scan_algorithmE0ELj4294967295EEENS1_25partition_config_selectorILNS1_17partition_subalgoE4EjNS0_10empty_typeEbEEZZNS1_14partition_implILS8_4ELb0ES6_15HIP_vector_typeIjLj2EENS0_17counting_iteratorIjlEEPS9_SG_NS0_5tupleIJPjSI_NS0_16reverse_iteratorISI_EEEEENSH_IJSG_SG_SG_EEES9_SI_JZNS1_25segmented_radix_sort_implINS0_14default_configELb1EPK6__halfPSP_PKlPlN2at6native12_GLOBAL__N_18offset_tEEE10hipError_tPvRmT1_PNSt15iterator_traitsIS13_E10value_typeET2_T3_PNS14_IS19_E10value_typeET4_jRbjT5_S1F_jjP12ihipStream_tbEUljE_ZNSN_ISO_Lb1ESR_SS_SU_SV_SZ_EES10_S11_S12_S13_S17_S18_S19_S1C_S1D_jS1E_jS1F_S1F_jjS1H_bEUljE0_EEES10_S11_S12_S19_S1D_S1F_T6_T7_T9_mT8_S1H_bDpT10_ENKUlT_T0_E_clISt17integral_constantIbLb0EES1U_IbLb1EEEEDaS1Q_S1R_EUlS1Q_E_NS1_11comp_targetILNS1_3genE2ELNS1_11target_archE906ELNS1_3gpuE6ELNS1_3repE0EEENS1_30default_config_static_selectorELNS0_4arch9wavefront6targetE0EEEvS13_,comdat
	.globl	_ZN7rocprim17ROCPRIM_400000_NS6detail17trampoline_kernelINS0_13select_configILj256ELj13ELNS0_17block_load_methodE3ELS4_3ELS4_3ELNS0_20block_scan_algorithmE0ELj4294967295EEENS1_25partition_config_selectorILNS1_17partition_subalgoE4EjNS0_10empty_typeEbEEZZNS1_14partition_implILS8_4ELb0ES6_15HIP_vector_typeIjLj2EENS0_17counting_iteratorIjlEEPS9_SG_NS0_5tupleIJPjSI_NS0_16reverse_iteratorISI_EEEEENSH_IJSG_SG_SG_EEES9_SI_JZNS1_25segmented_radix_sort_implINS0_14default_configELb1EPK6__halfPSP_PKlPlN2at6native12_GLOBAL__N_18offset_tEEE10hipError_tPvRmT1_PNSt15iterator_traitsIS13_E10value_typeET2_T3_PNS14_IS19_E10value_typeET4_jRbjT5_S1F_jjP12ihipStream_tbEUljE_ZNSN_ISO_Lb1ESR_SS_SU_SV_SZ_EES10_S11_S12_S13_S17_S18_S19_S1C_S1D_jS1E_jS1F_S1F_jjS1H_bEUljE0_EEES10_S11_S12_S19_S1D_S1F_T6_T7_T9_mT8_S1H_bDpT10_ENKUlT_T0_E_clISt17integral_constantIbLb0EES1U_IbLb1EEEEDaS1Q_S1R_EUlS1Q_E_NS1_11comp_targetILNS1_3genE2ELNS1_11target_archE906ELNS1_3gpuE6ELNS1_3repE0EEENS1_30default_config_static_selectorELNS0_4arch9wavefront6targetE0EEEvS13_ ; -- Begin function _ZN7rocprim17ROCPRIM_400000_NS6detail17trampoline_kernelINS0_13select_configILj256ELj13ELNS0_17block_load_methodE3ELS4_3ELS4_3ELNS0_20block_scan_algorithmE0ELj4294967295EEENS1_25partition_config_selectorILNS1_17partition_subalgoE4EjNS0_10empty_typeEbEEZZNS1_14partition_implILS8_4ELb0ES6_15HIP_vector_typeIjLj2EENS0_17counting_iteratorIjlEEPS9_SG_NS0_5tupleIJPjSI_NS0_16reverse_iteratorISI_EEEEENSH_IJSG_SG_SG_EEES9_SI_JZNS1_25segmented_radix_sort_implINS0_14default_configELb1EPK6__halfPSP_PKlPlN2at6native12_GLOBAL__N_18offset_tEEE10hipError_tPvRmT1_PNSt15iterator_traitsIS13_E10value_typeET2_T3_PNS14_IS19_E10value_typeET4_jRbjT5_S1F_jjP12ihipStream_tbEUljE_ZNSN_ISO_Lb1ESR_SS_SU_SV_SZ_EES10_S11_S12_S13_S17_S18_S19_S1C_S1D_jS1E_jS1F_S1F_jjS1H_bEUljE0_EEES10_S11_S12_S19_S1D_S1F_T6_T7_T9_mT8_S1H_bDpT10_ENKUlT_T0_E_clISt17integral_constantIbLb0EES1U_IbLb1EEEEDaS1Q_S1R_EUlS1Q_E_NS1_11comp_targetILNS1_3genE2ELNS1_11target_archE906ELNS1_3gpuE6ELNS1_3repE0EEENS1_30default_config_static_selectorELNS0_4arch9wavefront6targetE0EEEvS13_
	.p2align	8
	.type	_ZN7rocprim17ROCPRIM_400000_NS6detail17trampoline_kernelINS0_13select_configILj256ELj13ELNS0_17block_load_methodE3ELS4_3ELS4_3ELNS0_20block_scan_algorithmE0ELj4294967295EEENS1_25partition_config_selectorILNS1_17partition_subalgoE4EjNS0_10empty_typeEbEEZZNS1_14partition_implILS8_4ELb0ES6_15HIP_vector_typeIjLj2EENS0_17counting_iteratorIjlEEPS9_SG_NS0_5tupleIJPjSI_NS0_16reverse_iteratorISI_EEEEENSH_IJSG_SG_SG_EEES9_SI_JZNS1_25segmented_radix_sort_implINS0_14default_configELb1EPK6__halfPSP_PKlPlN2at6native12_GLOBAL__N_18offset_tEEE10hipError_tPvRmT1_PNSt15iterator_traitsIS13_E10value_typeET2_T3_PNS14_IS19_E10value_typeET4_jRbjT5_S1F_jjP12ihipStream_tbEUljE_ZNSN_ISO_Lb1ESR_SS_SU_SV_SZ_EES10_S11_S12_S13_S17_S18_S19_S1C_S1D_jS1E_jS1F_S1F_jjS1H_bEUljE0_EEES10_S11_S12_S19_S1D_S1F_T6_T7_T9_mT8_S1H_bDpT10_ENKUlT_T0_E_clISt17integral_constantIbLb0EES1U_IbLb1EEEEDaS1Q_S1R_EUlS1Q_E_NS1_11comp_targetILNS1_3genE2ELNS1_11target_archE906ELNS1_3gpuE6ELNS1_3repE0EEENS1_30default_config_static_selectorELNS0_4arch9wavefront6targetE0EEEvS13_,@function
_ZN7rocprim17ROCPRIM_400000_NS6detail17trampoline_kernelINS0_13select_configILj256ELj13ELNS0_17block_load_methodE3ELS4_3ELS4_3ELNS0_20block_scan_algorithmE0ELj4294967295EEENS1_25partition_config_selectorILNS1_17partition_subalgoE4EjNS0_10empty_typeEbEEZZNS1_14partition_implILS8_4ELb0ES6_15HIP_vector_typeIjLj2EENS0_17counting_iteratorIjlEEPS9_SG_NS0_5tupleIJPjSI_NS0_16reverse_iteratorISI_EEEEENSH_IJSG_SG_SG_EEES9_SI_JZNS1_25segmented_radix_sort_implINS0_14default_configELb1EPK6__halfPSP_PKlPlN2at6native12_GLOBAL__N_18offset_tEEE10hipError_tPvRmT1_PNSt15iterator_traitsIS13_E10value_typeET2_T3_PNS14_IS19_E10value_typeET4_jRbjT5_S1F_jjP12ihipStream_tbEUljE_ZNSN_ISO_Lb1ESR_SS_SU_SV_SZ_EES10_S11_S12_S13_S17_S18_S19_S1C_S1D_jS1E_jS1F_S1F_jjS1H_bEUljE0_EEES10_S11_S12_S19_S1D_S1F_T6_T7_T9_mT8_S1H_bDpT10_ENKUlT_T0_E_clISt17integral_constantIbLb0EES1U_IbLb1EEEEDaS1Q_S1R_EUlS1Q_E_NS1_11comp_targetILNS1_3genE2ELNS1_11target_archE906ELNS1_3gpuE6ELNS1_3repE0EEENS1_30default_config_static_selectorELNS0_4arch9wavefront6targetE0EEEvS13_: ; @_ZN7rocprim17ROCPRIM_400000_NS6detail17trampoline_kernelINS0_13select_configILj256ELj13ELNS0_17block_load_methodE3ELS4_3ELS4_3ELNS0_20block_scan_algorithmE0ELj4294967295EEENS1_25partition_config_selectorILNS1_17partition_subalgoE4EjNS0_10empty_typeEbEEZZNS1_14partition_implILS8_4ELb0ES6_15HIP_vector_typeIjLj2EENS0_17counting_iteratorIjlEEPS9_SG_NS0_5tupleIJPjSI_NS0_16reverse_iteratorISI_EEEEENSH_IJSG_SG_SG_EEES9_SI_JZNS1_25segmented_radix_sort_implINS0_14default_configELb1EPK6__halfPSP_PKlPlN2at6native12_GLOBAL__N_18offset_tEEE10hipError_tPvRmT1_PNSt15iterator_traitsIS13_E10value_typeET2_T3_PNS14_IS19_E10value_typeET4_jRbjT5_S1F_jjP12ihipStream_tbEUljE_ZNSN_ISO_Lb1ESR_SS_SU_SV_SZ_EES10_S11_S12_S13_S17_S18_S19_S1C_S1D_jS1E_jS1F_S1F_jjS1H_bEUljE0_EEES10_S11_S12_S19_S1D_S1F_T6_T7_T9_mT8_S1H_bDpT10_ENKUlT_T0_E_clISt17integral_constantIbLb0EES1U_IbLb1EEEEDaS1Q_S1R_EUlS1Q_E_NS1_11comp_targetILNS1_3genE2ELNS1_11target_archE906ELNS1_3gpuE6ELNS1_3repE0EEENS1_30default_config_static_selectorELNS0_4arch9wavefront6targetE0EEEvS13_
; %bb.0:
	.section	.rodata,"a",@progbits
	.p2align	6, 0x0
	.amdhsa_kernel _ZN7rocprim17ROCPRIM_400000_NS6detail17trampoline_kernelINS0_13select_configILj256ELj13ELNS0_17block_load_methodE3ELS4_3ELS4_3ELNS0_20block_scan_algorithmE0ELj4294967295EEENS1_25partition_config_selectorILNS1_17partition_subalgoE4EjNS0_10empty_typeEbEEZZNS1_14partition_implILS8_4ELb0ES6_15HIP_vector_typeIjLj2EENS0_17counting_iteratorIjlEEPS9_SG_NS0_5tupleIJPjSI_NS0_16reverse_iteratorISI_EEEEENSH_IJSG_SG_SG_EEES9_SI_JZNS1_25segmented_radix_sort_implINS0_14default_configELb1EPK6__halfPSP_PKlPlN2at6native12_GLOBAL__N_18offset_tEEE10hipError_tPvRmT1_PNSt15iterator_traitsIS13_E10value_typeET2_T3_PNS14_IS19_E10value_typeET4_jRbjT5_S1F_jjP12ihipStream_tbEUljE_ZNSN_ISO_Lb1ESR_SS_SU_SV_SZ_EES10_S11_S12_S13_S17_S18_S19_S1C_S1D_jS1E_jS1F_S1F_jjS1H_bEUljE0_EEES10_S11_S12_S19_S1D_S1F_T6_T7_T9_mT8_S1H_bDpT10_ENKUlT_T0_E_clISt17integral_constantIbLb0EES1U_IbLb1EEEEDaS1Q_S1R_EUlS1Q_E_NS1_11comp_targetILNS1_3genE2ELNS1_11target_archE906ELNS1_3gpuE6ELNS1_3repE0EEENS1_30default_config_static_selectorELNS0_4arch9wavefront6targetE0EEEvS13_
		.amdhsa_group_segment_fixed_size 0
		.amdhsa_private_segment_fixed_size 0
		.amdhsa_kernarg_size 184
		.amdhsa_user_sgpr_count 15
		.amdhsa_user_sgpr_dispatch_ptr 0
		.amdhsa_user_sgpr_queue_ptr 0
		.amdhsa_user_sgpr_kernarg_segment_ptr 1
		.amdhsa_user_sgpr_dispatch_id 0
		.amdhsa_user_sgpr_private_segment_size 0
		.amdhsa_wavefront_size32 1
		.amdhsa_uses_dynamic_stack 0
		.amdhsa_enable_private_segment 0
		.amdhsa_system_sgpr_workgroup_id_x 1
		.amdhsa_system_sgpr_workgroup_id_y 0
		.amdhsa_system_sgpr_workgroup_id_z 0
		.amdhsa_system_sgpr_workgroup_info 0
		.amdhsa_system_vgpr_workitem_id 0
		.amdhsa_next_free_vgpr 1
		.amdhsa_next_free_sgpr 1
		.amdhsa_reserve_vcc 0
		.amdhsa_float_round_mode_32 0
		.amdhsa_float_round_mode_16_64 0
		.amdhsa_float_denorm_mode_32 3
		.amdhsa_float_denorm_mode_16_64 3
		.amdhsa_dx10_clamp 1
		.amdhsa_ieee_mode 1
		.amdhsa_fp16_overflow 0
		.amdhsa_workgroup_processor_mode 1
		.amdhsa_memory_ordered 1
		.amdhsa_forward_progress 0
		.amdhsa_shared_vgpr_count 0
		.amdhsa_exception_fp_ieee_invalid_op 0
		.amdhsa_exception_fp_denorm_src 0
		.amdhsa_exception_fp_ieee_div_zero 0
		.amdhsa_exception_fp_ieee_overflow 0
		.amdhsa_exception_fp_ieee_underflow 0
		.amdhsa_exception_fp_ieee_inexact 0
		.amdhsa_exception_int_div_zero 0
	.end_amdhsa_kernel
	.section	.text._ZN7rocprim17ROCPRIM_400000_NS6detail17trampoline_kernelINS0_13select_configILj256ELj13ELNS0_17block_load_methodE3ELS4_3ELS4_3ELNS0_20block_scan_algorithmE0ELj4294967295EEENS1_25partition_config_selectorILNS1_17partition_subalgoE4EjNS0_10empty_typeEbEEZZNS1_14partition_implILS8_4ELb0ES6_15HIP_vector_typeIjLj2EENS0_17counting_iteratorIjlEEPS9_SG_NS0_5tupleIJPjSI_NS0_16reverse_iteratorISI_EEEEENSH_IJSG_SG_SG_EEES9_SI_JZNS1_25segmented_radix_sort_implINS0_14default_configELb1EPK6__halfPSP_PKlPlN2at6native12_GLOBAL__N_18offset_tEEE10hipError_tPvRmT1_PNSt15iterator_traitsIS13_E10value_typeET2_T3_PNS14_IS19_E10value_typeET4_jRbjT5_S1F_jjP12ihipStream_tbEUljE_ZNSN_ISO_Lb1ESR_SS_SU_SV_SZ_EES10_S11_S12_S13_S17_S18_S19_S1C_S1D_jS1E_jS1F_S1F_jjS1H_bEUljE0_EEES10_S11_S12_S19_S1D_S1F_T6_T7_T9_mT8_S1H_bDpT10_ENKUlT_T0_E_clISt17integral_constantIbLb0EES1U_IbLb1EEEEDaS1Q_S1R_EUlS1Q_E_NS1_11comp_targetILNS1_3genE2ELNS1_11target_archE906ELNS1_3gpuE6ELNS1_3repE0EEENS1_30default_config_static_selectorELNS0_4arch9wavefront6targetE0EEEvS13_,"axG",@progbits,_ZN7rocprim17ROCPRIM_400000_NS6detail17trampoline_kernelINS0_13select_configILj256ELj13ELNS0_17block_load_methodE3ELS4_3ELS4_3ELNS0_20block_scan_algorithmE0ELj4294967295EEENS1_25partition_config_selectorILNS1_17partition_subalgoE4EjNS0_10empty_typeEbEEZZNS1_14partition_implILS8_4ELb0ES6_15HIP_vector_typeIjLj2EENS0_17counting_iteratorIjlEEPS9_SG_NS0_5tupleIJPjSI_NS0_16reverse_iteratorISI_EEEEENSH_IJSG_SG_SG_EEES9_SI_JZNS1_25segmented_radix_sort_implINS0_14default_configELb1EPK6__halfPSP_PKlPlN2at6native12_GLOBAL__N_18offset_tEEE10hipError_tPvRmT1_PNSt15iterator_traitsIS13_E10value_typeET2_T3_PNS14_IS19_E10value_typeET4_jRbjT5_S1F_jjP12ihipStream_tbEUljE_ZNSN_ISO_Lb1ESR_SS_SU_SV_SZ_EES10_S11_S12_S13_S17_S18_S19_S1C_S1D_jS1E_jS1F_S1F_jjS1H_bEUljE0_EEES10_S11_S12_S19_S1D_S1F_T6_T7_T9_mT8_S1H_bDpT10_ENKUlT_T0_E_clISt17integral_constantIbLb0EES1U_IbLb1EEEEDaS1Q_S1R_EUlS1Q_E_NS1_11comp_targetILNS1_3genE2ELNS1_11target_archE906ELNS1_3gpuE6ELNS1_3repE0EEENS1_30default_config_static_selectorELNS0_4arch9wavefront6targetE0EEEvS13_,comdat
.Lfunc_end1703:
	.size	_ZN7rocprim17ROCPRIM_400000_NS6detail17trampoline_kernelINS0_13select_configILj256ELj13ELNS0_17block_load_methodE3ELS4_3ELS4_3ELNS0_20block_scan_algorithmE0ELj4294967295EEENS1_25partition_config_selectorILNS1_17partition_subalgoE4EjNS0_10empty_typeEbEEZZNS1_14partition_implILS8_4ELb0ES6_15HIP_vector_typeIjLj2EENS0_17counting_iteratorIjlEEPS9_SG_NS0_5tupleIJPjSI_NS0_16reverse_iteratorISI_EEEEENSH_IJSG_SG_SG_EEES9_SI_JZNS1_25segmented_radix_sort_implINS0_14default_configELb1EPK6__halfPSP_PKlPlN2at6native12_GLOBAL__N_18offset_tEEE10hipError_tPvRmT1_PNSt15iterator_traitsIS13_E10value_typeET2_T3_PNS14_IS19_E10value_typeET4_jRbjT5_S1F_jjP12ihipStream_tbEUljE_ZNSN_ISO_Lb1ESR_SS_SU_SV_SZ_EES10_S11_S12_S13_S17_S18_S19_S1C_S1D_jS1E_jS1F_S1F_jjS1H_bEUljE0_EEES10_S11_S12_S19_S1D_S1F_T6_T7_T9_mT8_S1H_bDpT10_ENKUlT_T0_E_clISt17integral_constantIbLb0EES1U_IbLb1EEEEDaS1Q_S1R_EUlS1Q_E_NS1_11comp_targetILNS1_3genE2ELNS1_11target_archE906ELNS1_3gpuE6ELNS1_3repE0EEENS1_30default_config_static_selectorELNS0_4arch9wavefront6targetE0EEEvS13_, .Lfunc_end1703-_ZN7rocprim17ROCPRIM_400000_NS6detail17trampoline_kernelINS0_13select_configILj256ELj13ELNS0_17block_load_methodE3ELS4_3ELS4_3ELNS0_20block_scan_algorithmE0ELj4294967295EEENS1_25partition_config_selectorILNS1_17partition_subalgoE4EjNS0_10empty_typeEbEEZZNS1_14partition_implILS8_4ELb0ES6_15HIP_vector_typeIjLj2EENS0_17counting_iteratorIjlEEPS9_SG_NS0_5tupleIJPjSI_NS0_16reverse_iteratorISI_EEEEENSH_IJSG_SG_SG_EEES9_SI_JZNS1_25segmented_radix_sort_implINS0_14default_configELb1EPK6__halfPSP_PKlPlN2at6native12_GLOBAL__N_18offset_tEEE10hipError_tPvRmT1_PNSt15iterator_traitsIS13_E10value_typeET2_T3_PNS14_IS19_E10value_typeET4_jRbjT5_S1F_jjP12ihipStream_tbEUljE_ZNSN_ISO_Lb1ESR_SS_SU_SV_SZ_EES10_S11_S12_S13_S17_S18_S19_S1C_S1D_jS1E_jS1F_S1F_jjS1H_bEUljE0_EEES10_S11_S12_S19_S1D_S1F_T6_T7_T9_mT8_S1H_bDpT10_ENKUlT_T0_E_clISt17integral_constantIbLb0EES1U_IbLb1EEEEDaS1Q_S1R_EUlS1Q_E_NS1_11comp_targetILNS1_3genE2ELNS1_11target_archE906ELNS1_3gpuE6ELNS1_3repE0EEENS1_30default_config_static_selectorELNS0_4arch9wavefront6targetE0EEEvS13_
                                        ; -- End function
	.section	.AMDGPU.csdata,"",@progbits
; Kernel info:
; codeLenInByte = 0
; NumSgprs: 0
; NumVgprs: 0
; ScratchSize: 0
; MemoryBound: 0
; FloatMode: 240
; IeeeMode: 1
; LDSByteSize: 0 bytes/workgroup (compile time only)
; SGPRBlocks: 0
; VGPRBlocks: 0
; NumSGPRsForWavesPerEU: 1
; NumVGPRsForWavesPerEU: 1
; Occupancy: 16
; WaveLimiterHint : 0
; COMPUTE_PGM_RSRC2:SCRATCH_EN: 0
; COMPUTE_PGM_RSRC2:USER_SGPR: 15
; COMPUTE_PGM_RSRC2:TRAP_HANDLER: 0
; COMPUTE_PGM_RSRC2:TGID_X_EN: 1
; COMPUTE_PGM_RSRC2:TGID_Y_EN: 0
; COMPUTE_PGM_RSRC2:TGID_Z_EN: 0
; COMPUTE_PGM_RSRC2:TIDIG_COMP_CNT: 0
	.section	.text._ZN7rocprim17ROCPRIM_400000_NS6detail17trampoline_kernelINS0_13select_configILj256ELj13ELNS0_17block_load_methodE3ELS4_3ELS4_3ELNS0_20block_scan_algorithmE0ELj4294967295EEENS1_25partition_config_selectorILNS1_17partition_subalgoE4EjNS0_10empty_typeEbEEZZNS1_14partition_implILS8_4ELb0ES6_15HIP_vector_typeIjLj2EENS0_17counting_iteratorIjlEEPS9_SG_NS0_5tupleIJPjSI_NS0_16reverse_iteratorISI_EEEEENSH_IJSG_SG_SG_EEES9_SI_JZNS1_25segmented_radix_sort_implINS0_14default_configELb1EPK6__halfPSP_PKlPlN2at6native12_GLOBAL__N_18offset_tEEE10hipError_tPvRmT1_PNSt15iterator_traitsIS13_E10value_typeET2_T3_PNS14_IS19_E10value_typeET4_jRbjT5_S1F_jjP12ihipStream_tbEUljE_ZNSN_ISO_Lb1ESR_SS_SU_SV_SZ_EES10_S11_S12_S13_S17_S18_S19_S1C_S1D_jS1E_jS1F_S1F_jjS1H_bEUljE0_EEES10_S11_S12_S19_S1D_S1F_T6_T7_T9_mT8_S1H_bDpT10_ENKUlT_T0_E_clISt17integral_constantIbLb0EES1U_IbLb1EEEEDaS1Q_S1R_EUlS1Q_E_NS1_11comp_targetILNS1_3genE10ELNS1_11target_archE1200ELNS1_3gpuE4ELNS1_3repE0EEENS1_30default_config_static_selectorELNS0_4arch9wavefront6targetE0EEEvS13_,"axG",@progbits,_ZN7rocprim17ROCPRIM_400000_NS6detail17trampoline_kernelINS0_13select_configILj256ELj13ELNS0_17block_load_methodE3ELS4_3ELS4_3ELNS0_20block_scan_algorithmE0ELj4294967295EEENS1_25partition_config_selectorILNS1_17partition_subalgoE4EjNS0_10empty_typeEbEEZZNS1_14partition_implILS8_4ELb0ES6_15HIP_vector_typeIjLj2EENS0_17counting_iteratorIjlEEPS9_SG_NS0_5tupleIJPjSI_NS0_16reverse_iteratorISI_EEEEENSH_IJSG_SG_SG_EEES9_SI_JZNS1_25segmented_radix_sort_implINS0_14default_configELb1EPK6__halfPSP_PKlPlN2at6native12_GLOBAL__N_18offset_tEEE10hipError_tPvRmT1_PNSt15iterator_traitsIS13_E10value_typeET2_T3_PNS14_IS19_E10value_typeET4_jRbjT5_S1F_jjP12ihipStream_tbEUljE_ZNSN_ISO_Lb1ESR_SS_SU_SV_SZ_EES10_S11_S12_S13_S17_S18_S19_S1C_S1D_jS1E_jS1F_S1F_jjS1H_bEUljE0_EEES10_S11_S12_S19_S1D_S1F_T6_T7_T9_mT8_S1H_bDpT10_ENKUlT_T0_E_clISt17integral_constantIbLb0EES1U_IbLb1EEEEDaS1Q_S1R_EUlS1Q_E_NS1_11comp_targetILNS1_3genE10ELNS1_11target_archE1200ELNS1_3gpuE4ELNS1_3repE0EEENS1_30default_config_static_selectorELNS0_4arch9wavefront6targetE0EEEvS13_,comdat
	.globl	_ZN7rocprim17ROCPRIM_400000_NS6detail17trampoline_kernelINS0_13select_configILj256ELj13ELNS0_17block_load_methodE3ELS4_3ELS4_3ELNS0_20block_scan_algorithmE0ELj4294967295EEENS1_25partition_config_selectorILNS1_17partition_subalgoE4EjNS0_10empty_typeEbEEZZNS1_14partition_implILS8_4ELb0ES6_15HIP_vector_typeIjLj2EENS0_17counting_iteratorIjlEEPS9_SG_NS0_5tupleIJPjSI_NS0_16reverse_iteratorISI_EEEEENSH_IJSG_SG_SG_EEES9_SI_JZNS1_25segmented_radix_sort_implINS0_14default_configELb1EPK6__halfPSP_PKlPlN2at6native12_GLOBAL__N_18offset_tEEE10hipError_tPvRmT1_PNSt15iterator_traitsIS13_E10value_typeET2_T3_PNS14_IS19_E10value_typeET4_jRbjT5_S1F_jjP12ihipStream_tbEUljE_ZNSN_ISO_Lb1ESR_SS_SU_SV_SZ_EES10_S11_S12_S13_S17_S18_S19_S1C_S1D_jS1E_jS1F_S1F_jjS1H_bEUljE0_EEES10_S11_S12_S19_S1D_S1F_T6_T7_T9_mT8_S1H_bDpT10_ENKUlT_T0_E_clISt17integral_constantIbLb0EES1U_IbLb1EEEEDaS1Q_S1R_EUlS1Q_E_NS1_11comp_targetILNS1_3genE10ELNS1_11target_archE1200ELNS1_3gpuE4ELNS1_3repE0EEENS1_30default_config_static_selectorELNS0_4arch9wavefront6targetE0EEEvS13_ ; -- Begin function _ZN7rocprim17ROCPRIM_400000_NS6detail17trampoline_kernelINS0_13select_configILj256ELj13ELNS0_17block_load_methodE3ELS4_3ELS4_3ELNS0_20block_scan_algorithmE0ELj4294967295EEENS1_25partition_config_selectorILNS1_17partition_subalgoE4EjNS0_10empty_typeEbEEZZNS1_14partition_implILS8_4ELb0ES6_15HIP_vector_typeIjLj2EENS0_17counting_iteratorIjlEEPS9_SG_NS0_5tupleIJPjSI_NS0_16reverse_iteratorISI_EEEEENSH_IJSG_SG_SG_EEES9_SI_JZNS1_25segmented_radix_sort_implINS0_14default_configELb1EPK6__halfPSP_PKlPlN2at6native12_GLOBAL__N_18offset_tEEE10hipError_tPvRmT1_PNSt15iterator_traitsIS13_E10value_typeET2_T3_PNS14_IS19_E10value_typeET4_jRbjT5_S1F_jjP12ihipStream_tbEUljE_ZNSN_ISO_Lb1ESR_SS_SU_SV_SZ_EES10_S11_S12_S13_S17_S18_S19_S1C_S1D_jS1E_jS1F_S1F_jjS1H_bEUljE0_EEES10_S11_S12_S19_S1D_S1F_T6_T7_T9_mT8_S1H_bDpT10_ENKUlT_T0_E_clISt17integral_constantIbLb0EES1U_IbLb1EEEEDaS1Q_S1R_EUlS1Q_E_NS1_11comp_targetILNS1_3genE10ELNS1_11target_archE1200ELNS1_3gpuE4ELNS1_3repE0EEENS1_30default_config_static_selectorELNS0_4arch9wavefront6targetE0EEEvS13_
	.p2align	8
	.type	_ZN7rocprim17ROCPRIM_400000_NS6detail17trampoline_kernelINS0_13select_configILj256ELj13ELNS0_17block_load_methodE3ELS4_3ELS4_3ELNS0_20block_scan_algorithmE0ELj4294967295EEENS1_25partition_config_selectorILNS1_17partition_subalgoE4EjNS0_10empty_typeEbEEZZNS1_14partition_implILS8_4ELb0ES6_15HIP_vector_typeIjLj2EENS0_17counting_iteratorIjlEEPS9_SG_NS0_5tupleIJPjSI_NS0_16reverse_iteratorISI_EEEEENSH_IJSG_SG_SG_EEES9_SI_JZNS1_25segmented_radix_sort_implINS0_14default_configELb1EPK6__halfPSP_PKlPlN2at6native12_GLOBAL__N_18offset_tEEE10hipError_tPvRmT1_PNSt15iterator_traitsIS13_E10value_typeET2_T3_PNS14_IS19_E10value_typeET4_jRbjT5_S1F_jjP12ihipStream_tbEUljE_ZNSN_ISO_Lb1ESR_SS_SU_SV_SZ_EES10_S11_S12_S13_S17_S18_S19_S1C_S1D_jS1E_jS1F_S1F_jjS1H_bEUljE0_EEES10_S11_S12_S19_S1D_S1F_T6_T7_T9_mT8_S1H_bDpT10_ENKUlT_T0_E_clISt17integral_constantIbLb0EES1U_IbLb1EEEEDaS1Q_S1R_EUlS1Q_E_NS1_11comp_targetILNS1_3genE10ELNS1_11target_archE1200ELNS1_3gpuE4ELNS1_3repE0EEENS1_30default_config_static_selectorELNS0_4arch9wavefront6targetE0EEEvS13_,@function
_ZN7rocprim17ROCPRIM_400000_NS6detail17trampoline_kernelINS0_13select_configILj256ELj13ELNS0_17block_load_methodE3ELS4_3ELS4_3ELNS0_20block_scan_algorithmE0ELj4294967295EEENS1_25partition_config_selectorILNS1_17partition_subalgoE4EjNS0_10empty_typeEbEEZZNS1_14partition_implILS8_4ELb0ES6_15HIP_vector_typeIjLj2EENS0_17counting_iteratorIjlEEPS9_SG_NS0_5tupleIJPjSI_NS0_16reverse_iteratorISI_EEEEENSH_IJSG_SG_SG_EEES9_SI_JZNS1_25segmented_radix_sort_implINS0_14default_configELb1EPK6__halfPSP_PKlPlN2at6native12_GLOBAL__N_18offset_tEEE10hipError_tPvRmT1_PNSt15iterator_traitsIS13_E10value_typeET2_T3_PNS14_IS19_E10value_typeET4_jRbjT5_S1F_jjP12ihipStream_tbEUljE_ZNSN_ISO_Lb1ESR_SS_SU_SV_SZ_EES10_S11_S12_S13_S17_S18_S19_S1C_S1D_jS1E_jS1F_S1F_jjS1H_bEUljE0_EEES10_S11_S12_S19_S1D_S1F_T6_T7_T9_mT8_S1H_bDpT10_ENKUlT_T0_E_clISt17integral_constantIbLb0EES1U_IbLb1EEEEDaS1Q_S1R_EUlS1Q_E_NS1_11comp_targetILNS1_3genE10ELNS1_11target_archE1200ELNS1_3gpuE4ELNS1_3repE0EEENS1_30default_config_static_selectorELNS0_4arch9wavefront6targetE0EEEvS13_: ; @_ZN7rocprim17ROCPRIM_400000_NS6detail17trampoline_kernelINS0_13select_configILj256ELj13ELNS0_17block_load_methodE3ELS4_3ELS4_3ELNS0_20block_scan_algorithmE0ELj4294967295EEENS1_25partition_config_selectorILNS1_17partition_subalgoE4EjNS0_10empty_typeEbEEZZNS1_14partition_implILS8_4ELb0ES6_15HIP_vector_typeIjLj2EENS0_17counting_iteratorIjlEEPS9_SG_NS0_5tupleIJPjSI_NS0_16reverse_iteratorISI_EEEEENSH_IJSG_SG_SG_EEES9_SI_JZNS1_25segmented_radix_sort_implINS0_14default_configELb1EPK6__halfPSP_PKlPlN2at6native12_GLOBAL__N_18offset_tEEE10hipError_tPvRmT1_PNSt15iterator_traitsIS13_E10value_typeET2_T3_PNS14_IS19_E10value_typeET4_jRbjT5_S1F_jjP12ihipStream_tbEUljE_ZNSN_ISO_Lb1ESR_SS_SU_SV_SZ_EES10_S11_S12_S13_S17_S18_S19_S1C_S1D_jS1E_jS1F_S1F_jjS1H_bEUljE0_EEES10_S11_S12_S19_S1D_S1F_T6_T7_T9_mT8_S1H_bDpT10_ENKUlT_T0_E_clISt17integral_constantIbLb0EES1U_IbLb1EEEEDaS1Q_S1R_EUlS1Q_E_NS1_11comp_targetILNS1_3genE10ELNS1_11target_archE1200ELNS1_3gpuE4ELNS1_3repE0EEENS1_30default_config_static_selectorELNS0_4arch9wavefront6targetE0EEEvS13_
; %bb.0:
	.section	.rodata,"a",@progbits
	.p2align	6, 0x0
	.amdhsa_kernel _ZN7rocprim17ROCPRIM_400000_NS6detail17trampoline_kernelINS0_13select_configILj256ELj13ELNS0_17block_load_methodE3ELS4_3ELS4_3ELNS0_20block_scan_algorithmE0ELj4294967295EEENS1_25partition_config_selectorILNS1_17partition_subalgoE4EjNS0_10empty_typeEbEEZZNS1_14partition_implILS8_4ELb0ES6_15HIP_vector_typeIjLj2EENS0_17counting_iteratorIjlEEPS9_SG_NS0_5tupleIJPjSI_NS0_16reverse_iteratorISI_EEEEENSH_IJSG_SG_SG_EEES9_SI_JZNS1_25segmented_radix_sort_implINS0_14default_configELb1EPK6__halfPSP_PKlPlN2at6native12_GLOBAL__N_18offset_tEEE10hipError_tPvRmT1_PNSt15iterator_traitsIS13_E10value_typeET2_T3_PNS14_IS19_E10value_typeET4_jRbjT5_S1F_jjP12ihipStream_tbEUljE_ZNSN_ISO_Lb1ESR_SS_SU_SV_SZ_EES10_S11_S12_S13_S17_S18_S19_S1C_S1D_jS1E_jS1F_S1F_jjS1H_bEUljE0_EEES10_S11_S12_S19_S1D_S1F_T6_T7_T9_mT8_S1H_bDpT10_ENKUlT_T0_E_clISt17integral_constantIbLb0EES1U_IbLb1EEEEDaS1Q_S1R_EUlS1Q_E_NS1_11comp_targetILNS1_3genE10ELNS1_11target_archE1200ELNS1_3gpuE4ELNS1_3repE0EEENS1_30default_config_static_selectorELNS0_4arch9wavefront6targetE0EEEvS13_
		.amdhsa_group_segment_fixed_size 0
		.amdhsa_private_segment_fixed_size 0
		.amdhsa_kernarg_size 184
		.amdhsa_user_sgpr_count 15
		.amdhsa_user_sgpr_dispatch_ptr 0
		.amdhsa_user_sgpr_queue_ptr 0
		.amdhsa_user_sgpr_kernarg_segment_ptr 1
		.amdhsa_user_sgpr_dispatch_id 0
		.amdhsa_user_sgpr_private_segment_size 0
		.amdhsa_wavefront_size32 1
		.amdhsa_uses_dynamic_stack 0
		.amdhsa_enable_private_segment 0
		.amdhsa_system_sgpr_workgroup_id_x 1
		.amdhsa_system_sgpr_workgroup_id_y 0
		.amdhsa_system_sgpr_workgroup_id_z 0
		.amdhsa_system_sgpr_workgroup_info 0
		.amdhsa_system_vgpr_workitem_id 0
		.amdhsa_next_free_vgpr 1
		.amdhsa_next_free_sgpr 1
		.amdhsa_reserve_vcc 0
		.amdhsa_float_round_mode_32 0
		.amdhsa_float_round_mode_16_64 0
		.amdhsa_float_denorm_mode_32 3
		.amdhsa_float_denorm_mode_16_64 3
		.amdhsa_dx10_clamp 1
		.amdhsa_ieee_mode 1
		.amdhsa_fp16_overflow 0
		.amdhsa_workgroup_processor_mode 1
		.amdhsa_memory_ordered 1
		.amdhsa_forward_progress 0
		.amdhsa_shared_vgpr_count 0
		.amdhsa_exception_fp_ieee_invalid_op 0
		.amdhsa_exception_fp_denorm_src 0
		.amdhsa_exception_fp_ieee_div_zero 0
		.amdhsa_exception_fp_ieee_overflow 0
		.amdhsa_exception_fp_ieee_underflow 0
		.amdhsa_exception_fp_ieee_inexact 0
		.amdhsa_exception_int_div_zero 0
	.end_amdhsa_kernel
	.section	.text._ZN7rocprim17ROCPRIM_400000_NS6detail17trampoline_kernelINS0_13select_configILj256ELj13ELNS0_17block_load_methodE3ELS4_3ELS4_3ELNS0_20block_scan_algorithmE0ELj4294967295EEENS1_25partition_config_selectorILNS1_17partition_subalgoE4EjNS0_10empty_typeEbEEZZNS1_14partition_implILS8_4ELb0ES6_15HIP_vector_typeIjLj2EENS0_17counting_iteratorIjlEEPS9_SG_NS0_5tupleIJPjSI_NS0_16reverse_iteratorISI_EEEEENSH_IJSG_SG_SG_EEES9_SI_JZNS1_25segmented_radix_sort_implINS0_14default_configELb1EPK6__halfPSP_PKlPlN2at6native12_GLOBAL__N_18offset_tEEE10hipError_tPvRmT1_PNSt15iterator_traitsIS13_E10value_typeET2_T3_PNS14_IS19_E10value_typeET4_jRbjT5_S1F_jjP12ihipStream_tbEUljE_ZNSN_ISO_Lb1ESR_SS_SU_SV_SZ_EES10_S11_S12_S13_S17_S18_S19_S1C_S1D_jS1E_jS1F_S1F_jjS1H_bEUljE0_EEES10_S11_S12_S19_S1D_S1F_T6_T7_T9_mT8_S1H_bDpT10_ENKUlT_T0_E_clISt17integral_constantIbLb0EES1U_IbLb1EEEEDaS1Q_S1R_EUlS1Q_E_NS1_11comp_targetILNS1_3genE10ELNS1_11target_archE1200ELNS1_3gpuE4ELNS1_3repE0EEENS1_30default_config_static_selectorELNS0_4arch9wavefront6targetE0EEEvS13_,"axG",@progbits,_ZN7rocprim17ROCPRIM_400000_NS6detail17trampoline_kernelINS0_13select_configILj256ELj13ELNS0_17block_load_methodE3ELS4_3ELS4_3ELNS0_20block_scan_algorithmE0ELj4294967295EEENS1_25partition_config_selectorILNS1_17partition_subalgoE4EjNS0_10empty_typeEbEEZZNS1_14partition_implILS8_4ELb0ES6_15HIP_vector_typeIjLj2EENS0_17counting_iteratorIjlEEPS9_SG_NS0_5tupleIJPjSI_NS0_16reverse_iteratorISI_EEEEENSH_IJSG_SG_SG_EEES9_SI_JZNS1_25segmented_radix_sort_implINS0_14default_configELb1EPK6__halfPSP_PKlPlN2at6native12_GLOBAL__N_18offset_tEEE10hipError_tPvRmT1_PNSt15iterator_traitsIS13_E10value_typeET2_T3_PNS14_IS19_E10value_typeET4_jRbjT5_S1F_jjP12ihipStream_tbEUljE_ZNSN_ISO_Lb1ESR_SS_SU_SV_SZ_EES10_S11_S12_S13_S17_S18_S19_S1C_S1D_jS1E_jS1F_S1F_jjS1H_bEUljE0_EEES10_S11_S12_S19_S1D_S1F_T6_T7_T9_mT8_S1H_bDpT10_ENKUlT_T0_E_clISt17integral_constantIbLb0EES1U_IbLb1EEEEDaS1Q_S1R_EUlS1Q_E_NS1_11comp_targetILNS1_3genE10ELNS1_11target_archE1200ELNS1_3gpuE4ELNS1_3repE0EEENS1_30default_config_static_selectorELNS0_4arch9wavefront6targetE0EEEvS13_,comdat
.Lfunc_end1704:
	.size	_ZN7rocprim17ROCPRIM_400000_NS6detail17trampoline_kernelINS0_13select_configILj256ELj13ELNS0_17block_load_methodE3ELS4_3ELS4_3ELNS0_20block_scan_algorithmE0ELj4294967295EEENS1_25partition_config_selectorILNS1_17partition_subalgoE4EjNS0_10empty_typeEbEEZZNS1_14partition_implILS8_4ELb0ES6_15HIP_vector_typeIjLj2EENS0_17counting_iteratorIjlEEPS9_SG_NS0_5tupleIJPjSI_NS0_16reverse_iteratorISI_EEEEENSH_IJSG_SG_SG_EEES9_SI_JZNS1_25segmented_radix_sort_implINS0_14default_configELb1EPK6__halfPSP_PKlPlN2at6native12_GLOBAL__N_18offset_tEEE10hipError_tPvRmT1_PNSt15iterator_traitsIS13_E10value_typeET2_T3_PNS14_IS19_E10value_typeET4_jRbjT5_S1F_jjP12ihipStream_tbEUljE_ZNSN_ISO_Lb1ESR_SS_SU_SV_SZ_EES10_S11_S12_S13_S17_S18_S19_S1C_S1D_jS1E_jS1F_S1F_jjS1H_bEUljE0_EEES10_S11_S12_S19_S1D_S1F_T6_T7_T9_mT8_S1H_bDpT10_ENKUlT_T0_E_clISt17integral_constantIbLb0EES1U_IbLb1EEEEDaS1Q_S1R_EUlS1Q_E_NS1_11comp_targetILNS1_3genE10ELNS1_11target_archE1200ELNS1_3gpuE4ELNS1_3repE0EEENS1_30default_config_static_selectorELNS0_4arch9wavefront6targetE0EEEvS13_, .Lfunc_end1704-_ZN7rocprim17ROCPRIM_400000_NS6detail17trampoline_kernelINS0_13select_configILj256ELj13ELNS0_17block_load_methodE3ELS4_3ELS4_3ELNS0_20block_scan_algorithmE0ELj4294967295EEENS1_25partition_config_selectorILNS1_17partition_subalgoE4EjNS0_10empty_typeEbEEZZNS1_14partition_implILS8_4ELb0ES6_15HIP_vector_typeIjLj2EENS0_17counting_iteratorIjlEEPS9_SG_NS0_5tupleIJPjSI_NS0_16reverse_iteratorISI_EEEEENSH_IJSG_SG_SG_EEES9_SI_JZNS1_25segmented_radix_sort_implINS0_14default_configELb1EPK6__halfPSP_PKlPlN2at6native12_GLOBAL__N_18offset_tEEE10hipError_tPvRmT1_PNSt15iterator_traitsIS13_E10value_typeET2_T3_PNS14_IS19_E10value_typeET4_jRbjT5_S1F_jjP12ihipStream_tbEUljE_ZNSN_ISO_Lb1ESR_SS_SU_SV_SZ_EES10_S11_S12_S13_S17_S18_S19_S1C_S1D_jS1E_jS1F_S1F_jjS1H_bEUljE0_EEES10_S11_S12_S19_S1D_S1F_T6_T7_T9_mT8_S1H_bDpT10_ENKUlT_T0_E_clISt17integral_constantIbLb0EES1U_IbLb1EEEEDaS1Q_S1R_EUlS1Q_E_NS1_11comp_targetILNS1_3genE10ELNS1_11target_archE1200ELNS1_3gpuE4ELNS1_3repE0EEENS1_30default_config_static_selectorELNS0_4arch9wavefront6targetE0EEEvS13_
                                        ; -- End function
	.section	.AMDGPU.csdata,"",@progbits
; Kernel info:
; codeLenInByte = 0
; NumSgprs: 0
; NumVgprs: 0
; ScratchSize: 0
; MemoryBound: 0
; FloatMode: 240
; IeeeMode: 1
; LDSByteSize: 0 bytes/workgroup (compile time only)
; SGPRBlocks: 0
; VGPRBlocks: 0
; NumSGPRsForWavesPerEU: 1
; NumVGPRsForWavesPerEU: 1
; Occupancy: 16
; WaveLimiterHint : 0
; COMPUTE_PGM_RSRC2:SCRATCH_EN: 0
; COMPUTE_PGM_RSRC2:USER_SGPR: 15
; COMPUTE_PGM_RSRC2:TRAP_HANDLER: 0
; COMPUTE_PGM_RSRC2:TGID_X_EN: 1
; COMPUTE_PGM_RSRC2:TGID_Y_EN: 0
; COMPUTE_PGM_RSRC2:TGID_Z_EN: 0
; COMPUTE_PGM_RSRC2:TIDIG_COMP_CNT: 0
	.section	.text._ZN7rocprim17ROCPRIM_400000_NS6detail17trampoline_kernelINS0_13select_configILj256ELj13ELNS0_17block_load_methodE3ELS4_3ELS4_3ELNS0_20block_scan_algorithmE0ELj4294967295EEENS1_25partition_config_selectorILNS1_17partition_subalgoE4EjNS0_10empty_typeEbEEZZNS1_14partition_implILS8_4ELb0ES6_15HIP_vector_typeIjLj2EENS0_17counting_iteratorIjlEEPS9_SG_NS0_5tupleIJPjSI_NS0_16reverse_iteratorISI_EEEEENSH_IJSG_SG_SG_EEES9_SI_JZNS1_25segmented_radix_sort_implINS0_14default_configELb1EPK6__halfPSP_PKlPlN2at6native12_GLOBAL__N_18offset_tEEE10hipError_tPvRmT1_PNSt15iterator_traitsIS13_E10value_typeET2_T3_PNS14_IS19_E10value_typeET4_jRbjT5_S1F_jjP12ihipStream_tbEUljE_ZNSN_ISO_Lb1ESR_SS_SU_SV_SZ_EES10_S11_S12_S13_S17_S18_S19_S1C_S1D_jS1E_jS1F_S1F_jjS1H_bEUljE0_EEES10_S11_S12_S19_S1D_S1F_T6_T7_T9_mT8_S1H_bDpT10_ENKUlT_T0_E_clISt17integral_constantIbLb0EES1U_IbLb1EEEEDaS1Q_S1R_EUlS1Q_E_NS1_11comp_targetILNS1_3genE9ELNS1_11target_archE1100ELNS1_3gpuE3ELNS1_3repE0EEENS1_30default_config_static_selectorELNS0_4arch9wavefront6targetE0EEEvS13_,"axG",@progbits,_ZN7rocprim17ROCPRIM_400000_NS6detail17trampoline_kernelINS0_13select_configILj256ELj13ELNS0_17block_load_methodE3ELS4_3ELS4_3ELNS0_20block_scan_algorithmE0ELj4294967295EEENS1_25partition_config_selectorILNS1_17partition_subalgoE4EjNS0_10empty_typeEbEEZZNS1_14partition_implILS8_4ELb0ES6_15HIP_vector_typeIjLj2EENS0_17counting_iteratorIjlEEPS9_SG_NS0_5tupleIJPjSI_NS0_16reverse_iteratorISI_EEEEENSH_IJSG_SG_SG_EEES9_SI_JZNS1_25segmented_radix_sort_implINS0_14default_configELb1EPK6__halfPSP_PKlPlN2at6native12_GLOBAL__N_18offset_tEEE10hipError_tPvRmT1_PNSt15iterator_traitsIS13_E10value_typeET2_T3_PNS14_IS19_E10value_typeET4_jRbjT5_S1F_jjP12ihipStream_tbEUljE_ZNSN_ISO_Lb1ESR_SS_SU_SV_SZ_EES10_S11_S12_S13_S17_S18_S19_S1C_S1D_jS1E_jS1F_S1F_jjS1H_bEUljE0_EEES10_S11_S12_S19_S1D_S1F_T6_T7_T9_mT8_S1H_bDpT10_ENKUlT_T0_E_clISt17integral_constantIbLb0EES1U_IbLb1EEEEDaS1Q_S1R_EUlS1Q_E_NS1_11comp_targetILNS1_3genE9ELNS1_11target_archE1100ELNS1_3gpuE3ELNS1_3repE0EEENS1_30default_config_static_selectorELNS0_4arch9wavefront6targetE0EEEvS13_,comdat
	.globl	_ZN7rocprim17ROCPRIM_400000_NS6detail17trampoline_kernelINS0_13select_configILj256ELj13ELNS0_17block_load_methodE3ELS4_3ELS4_3ELNS0_20block_scan_algorithmE0ELj4294967295EEENS1_25partition_config_selectorILNS1_17partition_subalgoE4EjNS0_10empty_typeEbEEZZNS1_14partition_implILS8_4ELb0ES6_15HIP_vector_typeIjLj2EENS0_17counting_iteratorIjlEEPS9_SG_NS0_5tupleIJPjSI_NS0_16reverse_iteratorISI_EEEEENSH_IJSG_SG_SG_EEES9_SI_JZNS1_25segmented_radix_sort_implINS0_14default_configELb1EPK6__halfPSP_PKlPlN2at6native12_GLOBAL__N_18offset_tEEE10hipError_tPvRmT1_PNSt15iterator_traitsIS13_E10value_typeET2_T3_PNS14_IS19_E10value_typeET4_jRbjT5_S1F_jjP12ihipStream_tbEUljE_ZNSN_ISO_Lb1ESR_SS_SU_SV_SZ_EES10_S11_S12_S13_S17_S18_S19_S1C_S1D_jS1E_jS1F_S1F_jjS1H_bEUljE0_EEES10_S11_S12_S19_S1D_S1F_T6_T7_T9_mT8_S1H_bDpT10_ENKUlT_T0_E_clISt17integral_constantIbLb0EES1U_IbLb1EEEEDaS1Q_S1R_EUlS1Q_E_NS1_11comp_targetILNS1_3genE9ELNS1_11target_archE1100ELNS1_3gpuE3ELNS1_3repE0EEENS1_30default_config_static_selectorELNS0_4arch9wavefront6targetE0EEEvS13_ ; -- Begin function _ZN7rocprim17ROCPRIM_400000_NS6detail17trampoline_kernelINS0_13select_configILj256ELj13ELNS0_17block_load_methodE3ELS4_3ELS4_3ELNS0_20block_scan_algorithmE0ELj4294967295EEENS1_25partition_config_selectorILNS1_17partition_subalgoE4EjNS0_10empty_typeEbEEZZNS1_14partition_implILS8_4ELb0ES6_15HIP_vector_typeIjLj2EENS0_17counting_iteratorIjlEEPS9_SG_NS0_5tupleIJPjSI_NS0_16reverse_iteratorISI_EEEEENSH_IJSG_SG_SG_EEES9_SI_JZNS1_25segmented_radix_sort_implINS0_14default_configELb1EPK6__halfPSP_PKlPlN2at6native12_GLOBAL__N_18offset_tEEE10hipError_tPvRmT1_PNSt15iterator_traitsIS13_E10value_typeET2_T3_PNS14_IS19_E10value_typeET4_jRbjT5_S1F_jjP12ihipStream_tbEUljE_ZNSN_ISO_Lb1ESR_SS_SU_SV_SZ_EES10_S11_S12_S13_S17_S18_S19_S1C_S1D_jS1E_jS1F_S1F_jjS1H_bEUljE0_EEES10_S11_S12_S19_S1D_S1F_T6_T7_T9_mT8_S1H_bDpT10_ENKUlT_T0_E_clISt17integral_constantIbLb0EES1U_IbLb1EEEEDaS1Q_S1R_EUlS1Q_E_NS1_11comp_targetILNS1_3genE9ELNS1_11target_archE1100ELNS1_3gpuE3ELNS1_3repE0EEENS1_30default_config_static_selectorELNS0_4arch9wavefront6targetE0EEEvS13_
	.p2align	8
	.type	_ZN7rocprim17ROCPRIM_400000_NS6detail17trampoline_kernelINS0_13select_configILj256ELj13ELNS0_17block_load_methodE3ELS4_3ELS4_3ELNS0_20block_scan_algorithmE0ELj4294967295EEENS1_25partition_config_selectorILNS1_17partition_subalgoE4EjNS0_10empty_typeEbEEZZNS1_14partition_implILS8_4ELb0ES6_15HIP_vector_typeIjLj2EENS0_17counting_iteratorIjlEEPS9_SG_NS0_5tupleIJPjSI_NS0_16reverse_iteratorISI_EEEEENSH_IJSG_SG_SG_EEES9_SI_JZNS1_25segmented_radix_sort_implINS0_14default_configELb1EPK6__halfPSP_PKlPlN2at6native12_GLOBAL__N_18offset_tEEE10hipError_tPvRmT1_PNSt15iterator_traitsIS13_E10value_typeET2_T3_PNS14_IS19_E10value_typeET4_jRbjT5_S1F_jjP12ihipStream_tbEUljE_ZNSN_ISO_Lb1ESR_SS_SU_SV_SZ_EES10_S11_S12_S13_S17_S18_S19_S1C_S1D_jS1E_jS1F_S1F_jjS1H_bEUljE0_EEES10_S11_S12_S19_S1D_S1F_T6_T7_T9_mT8_S1H_bDpT10_ENKUlT_T0_E_clISt17integral_constantIbLb0EES1U_IbLb1EEEEDaS1Q_S1R_EUlS1Q_E_NS1_11comp_targetILNS1_3genE9ELNS1_11target_archE1100ELNS1_3gpuE3ELNS1_3repE0EEENS1_30default_config_static_selectorELNS0_4arch9wavefront6targetE0EEEvS13_,@function
_ZN7rocprim17ROCPRIM_400000_NS6detail17trampoline_kernelINS0_13select_configILj256ELj13ELNS0_17block_load_methodE3ELS4_3ELS4_3ELNS0_20block_scan_algorithmE0ELj4294967295EEENS1_25partition_config_selectorILNS1_17partition_subalgoE4EjNS0_10empty_typeEbEEZZNS1_14partition_implILS8_4ELb0ES6_15HIP_vector_typeIjLj2EENS0_17counting_iteratorIjlEEPS9_SG_NS0_5tupleIJPjSI_NS0_16reverse_iteratorISI_EEEEENSH_IJSG_SG_SG_EEES9_SI_JZNS1_25segmented_radix_sort_implINS0_14default_configELb1EPK6__halfPSP_PKlPlN2at6native12_GLOBAL__N_18offset_tEEE10hipError_tPvRmT1_PNSt15iterator_traitsIS13_E10value_typeET2_T3_PNS14_IS19_E10value_typeET4_jRbjT5_S1F_jjP12ihipStream_tbEUljE_ZNSN_ISO_Lb1ESR_SS_SU_SV_SZ_EES10_S11_S12_S13_S17_S18_S19_S1C_S1D_jS1E_jS1F_S1F_jjS1H_bEUljE0_EEES10_S11_S12_S19_S1D_S1F_T6_T7_T9_mT8_S1H_bDpT10_ENKUlT_T0_E_clISt17integral_constantIbLb0EES1U_IbLb1EEEEDaS1Q_S1R_EUlS1Q_E_NS1_11comp_targetILNS1_3genE9ELNS1_11target_archE1100ELNS1_3gpuE3ELNS1_3repE0EEENS1_30default_config_static_selectorELNS0_4arch9wavefront6targetE0EEEvS13_: ; @_ZN7rocprim17ROCPRIM_400000_NS6detail17trampoline_kernelINS0_13select_configILj256ELj13ELNS0_17block_load_methodE3ELS4_3ELS4_3ELNS0_20block_scan_algorithmE0ELj4294967295EEENS1_25partition_config_selectorILNS1_17partition_subalgoE4EjNS0_10empty_typeEbEEZZNS1_14partition_implILS8_4ELb0ES6_15HIP_vector_typeIjLj2EENS0_17counting_iteratorIjlEEPS9_SG_NS0_5tupleIJPjSI_NS0_16reverse_iteratorISI_EEEEENSH_IJSG_SG_SG_EEES9_SI_JZNS1_25segmented_radix_sort_implINS0_14default_configELb1EPK6__halfPSP_PKlPlN2at6native12_GLOBAL__N_18offset_tEEE10hipError_tPvRmT1_PNSt15iterator_traitsIS13_E10value_typeET2_T3_PNS14_IS19_E10value_typeET4_jRbjT5_S1F_jjP12ihipStream_tbEUljE_ZNSN_ISO_Lb1ESR_SS_SU_SV_SZ_EES10_S11_S12_S13_S17_S18_S19_S1C_S1D_jS1E_jS1F_S1F_jjS1H_bEUljE0_EEES10_S11_S12_S19_S1D_S1F_T6_T7_T9_mT8_S1H_bDpT10_ENKUlT_T0_E_clISt17integral_constantIbLb0EES1U_IbLb1EEEEDaS1Q_S1R_EUlS1Q_E_NS1_11comp_targetILNS1_3genE9ELNS1_11target_archE1100ELNS1_3gpuE3ELNS1_3repE0EEENS1_30default_config_static_selectorELNS0_4arch9wavefront6targetE0EEEvS13_
; %bb.0:
	s_clause 0x7
	s_load_b64 s[34:35], s[0:1], 0x10
	s_load_b128 s[28:31], s[0:1], 0x28
	s_load_b64 s[14:15], s[0:1], 0x38
	s_load_b128 s[24:27], s[0:1], 0x58
	s_load_b64 s[4:5], s[0:1], 0x68
	s_load_b64 s[36:37], s[0:1], 0x78
	;; [unrolled: 1-line block ×3, first 2 shown]
	s_load_b256 s[16:23], s[0:1], 0x90
	v_cmp_eq_u32_e64 s2, 0, v0
	s_delay_alu instid0(VALU_DEP_1)
	s_and_saveexec_b32 s3, s2
	s_cbranch_execz .LBB1705_4
; %bb.1:
	s_mov_b32 s7, exec_lo
	s_mov_b32 s6, exec_lo
	v_mbcnt_lo_u32_b32 v1, s7, 0
                                        ; implicit-def: $vgpr2
	s_delay_alu instid0(VALU_DEP_1)
	v_cmpx_eq_u32_e32 0, v1
	s_cbranch_execz .LBB1705_3
; %bb.2:
	s_load_b64 s[8:9], s[0:1], 0x88
	s_bcnt1_i32_b32 s7, s7
	s_delay_alu instid0(SALU_CYCLE_1)
	v_dual_mov_b32 v2, 0 :: v_dual_mov_b32 v3, s7
	s_waitcnt lgkmcnt(0)
	global_atomic_add_u32 v2, v2, v3, s[8:9] glc
.LBB1705_3:
	s_or_b32 exec_lo, exec_lo, s6
	s_waitcnt vmcnt(0)
	v_readfirstlane_b32 s6, v2
	s_delay_alu instid0(VALU_DEP_1)
	v_dual_mov_b32 v2, 0 :: v_dual_add_nc_u32 v1, s6, v1
	ds_store_b32 v2, v1
.LBB1705_4:
	s_or_b32 exec_lo, exec_lo, s3
	v_mov_b32_e32 v1, 0
	s_clause 0x1
	s_load_b32 s3, s[0:1], 0x8
	s_load_b32 s0, s[0:1], 0x80
	s_waitcnt lgkmcnt(0)
	s_barrier
	buffer_gl0_inv
	ds_load_b32 v5, v1
	s_waitcnt lgkmcnt(0)
	s_barrier
	buffer_gl0_inv
	global_load_b128 v[1:4], v1, s[26:27]
	s_add_i32 s3, s3, s34
	s_mul_i32 s1, s0, 0xd00
	s_add_i32 s0, s0, -1
	s_add_u32 s6, s34, s1
	s_addc_u32 s7, s35, 0
	v_mul_lo_u32 v30, 0xd00, v5
	v_readfirstlane_b32 s26, v5
	v_cmp_lt_u64_e64 s5, s[6:7], s[4:5]
	v_cmp_ne_u32_e32 vcc_lo, s0, v5
	s_delay_alu instid0(VALU_DEP_3) | instskip(SKIP_1) | instid1(VALU_DEP_4)
	s_cmp_eq_u32 s26, s0
	s_cselect_b32 s13, -1, 0
	v_add3_u32 v5, v30, s3, v0
	s_delay_alu instid0(VALU_DEP_3) | instskip(SKIP_2) | instid1(VALU_DEP_1)
	s_or_b32 s0, s5, vcc_lo
	s_mov_b32 s3, -1
	s_and_b32 vcc_lo, exec_lo, s0
	v_add_nc_u32_e32 v6, 0x100, v5
	v_add_nc_u32_e32 v7, 0x200, v5
	;; [unrolled: 1-line block ×12, first 2 shown]
	s_cbranch_vccz .LBB1705_6
; %bb.5:
	v_lshlrev_b32_e32 v18, 2, v0
	s_mov_b32 s3, 0
	ds_store_2addr_stride64_b32 v18, v5, v6 offset1:4
	ds_store_2addr_stride64_b32 v18, v7, v8 offset0:8 offset1:12
	ds_store_2addr_stride64_b32 v18, v9, v10 offset0:16 offset1:20
	;; [unrolled: 1-line block ×5, first 2 shown]
	ds_store_b32 v18, v17 offset:12288
	s_waitcnt vmcnt(0) lgkmcnt(0)
	s_barrier
.LBB1705_6:
	s_and_not1_b32 vcc_lo, exec_lo, s3
	s_add_i32 s1, s1, s34
	s_cbranch_vccnz .LBB1705_8
; %bb.7:
	v_lshlrev_b32_e32 v18, 2, v0
	ds_store_2addr_stride64_b32 v18, v5, v6 offset1:4
	ds_store_2addr_stride64_b32 v18, v7, v8 offset0:8 offset1:12
	ds_store_2addr_stride64_b32 v18, v9, v10 offset0:16 offset1:20
	;; [unrolled: 1-line block ×5, first 2 shown]
	ds_store_b32 v18, v17 offset:12288
	s_waitcnt vmcnt(0) lgkmcnt(0)
	s_barrier
.LBB1705_8:
	v_mul_u32_u24_e32 v33, 13, v0
	s_waitcnt vmcnt(0)
	buffer_gl0_inv
	v_cndmask_b32_e64 v31, 0, 1, s0
	s_sub_i32 s40, s4, s1
	s_and_not1_b32 vcc_lo, exec_lo, s0
	v_lshlrev_b32_e32 v5, 2, v33
	ds_load_2addr_b32 v[20:21], v5 offset1:1
	ds_load_2addr_b32 v[18:19], v5 offset0:2 offset1:3
	ds_load_2addr_b32 v[16:17], v5 offset0:4 offset1:5
	;; [unrolled: 1-line block ×5, first 2 shown]
	ds_load_b32 v32, v5 offset:48
	s_waitcnt lgkmcnt(0)
	s_barrier
	buffer_gl0_inv
	s_cbranch_vccnz .LBB1705_36
; %bb.9:
	v_add_nc_u32_e32 v5, s17, v20
	v_add_nc_u32_e32 v6, s19, v20
	s_mov_b32 s42, 0
	s_mov_b32 s41, 0
	s_mov_b32 s1, exec_lo
	v_mul_lo_u32 v5, v5, s16
	v_mul_lo_u32 v6, v6, s18
	s_delay_alu instid0(VALU_DEP_1) | instskip(NEXT) | instid1(VALU_DEP_1)
	v_sub_nc_u32_e32 v5, v5, v6
	v_cmp_lt_u32_e32 vcc_lo, s20, v5
	v_cmpx_ge_u32_e64 s20, v5
; %bb.10:
	v_add_nc_u32_e32 v5, s22, v20
	v_add_nc_u32_e32 v6, s38, v20
	s_delay_alu instid0(VALU_DEP_2) | instskip(NEXT) | instid1(VALU_DEP_2)
	v_mul_lo_u32 v5, v5, s21
	v_mul_lo_u32 v6, v6, s23
	s_delay_alu instid0(VALU_DEP_1) | instskip(NEXT) | instid1(VALU_DEP_1)
	v_sub_nc_u32_e32 v5, v5, v6
	v_cmp_lt_u32_e64 s0, s39, v5
	s_delay_alu instid0(VALU_DEP_1)
	s_and_b32 s41, s0, exec_lo
; %bb.11:
	s_or_b32 exec_lo, exec_lo, s1
	v_add_nc_u32_e32 v5, s17, v21
	v_add_nc_u32_e32 v6, s19, v21
	s_mov_b32 s3, exec_lo
	s_delay_alu instid0(VALU_DEP_2) | instskip(NEXT) | instid1(VALU_DEP_2)
	v_mul_lo_u32 v5, v5, s16
	v_mul_lo_u32 v6, v6, s18
	s_delay_alu instid0(VALU_DEP_1) | instskip(NEXT) | instid1(VALU_DEP_1)
	v_sub_nc_u32_e32 v5, v5, v6
	v_cmp_lt_u32_e64 s0, s20, v5
	v_cmpx_ge_u32_e64 s20, v5
; %bb.12:
	v_add_nc_u32_e32 v5, s22, v21
	v_add_nc_u32_e32 v6, s38, v21
	s_delay_alu instid0(VALU_DEP_2) | instskip(NEXT) | instid1(VALU_DEP_2)
	v_mul_lo_u32 v5, v5, s21
	v_mul_lo_u32 v6, v6, s23
	s_delay_alu instid0(VALU_DEP_1) | instskip(NEXT) | instid1(VALU_DEP_1)
	v_sub_nc_u32_e32 v5, v5, v6
	v_cmp_lt_u32_e64 s1, s39, v5
	s_delay_alu instid0(VALU_DEP_1)
	s_and_b32 s42, s1, exec_lo
; %bb.13:
	s_or_b32 exec_lo, exec_lo, s3
	v_add_nc_u32_e32 v5, s17, v18
	v_add_nc_u32_e32 v6, s19, v18
	s_mov_b32 s44, 0
	s_mov_b32 s43, 0
	s_mov_b32 s4, exec_lo
	v_mul_lo_u32 v5, v5, s16
	v_mul_lo_u32 v6, v6, s18
	s_delay_alu instid0(VALU_DEP_1) | instskip(NEXT) | instid1(VALU_DEP_1)
	v_sub_nc_u32_e32 v5, v5, v6
	v_cmp_lt_u32_e64 s1, s20, v5
	v_cmpx_ge_u32_e64 s20, v5
; %bb.14:
	v_add_nc_u32_e32 v5, s22, v18
	v_add_nc_u32_e32 v6, s38, v18
	s_delay_alu instid0(VALU_DEP_2) | instskip(NEXT) | instid1(VALU_DEP_2)
	v_mul_lo_u32 v5, v5, s21
	v_mul_lo_u32 v6, v6, s23
	s_delay_alu instid0(VALU_DEP_1) | instskip(NEXT) | instid1(VALU_DEP_1)
	v_sub_nc_u32_e32 v5, v5, v6
	v_cmp_lt_u32_e64 s3, s39, v5
	s_delay_alu instid0(VALU_DEP_1)
	s_and_b32 s43, s3, exec_lo
; %bb.15:
	s_or_b32 exec_lo, exec_lo, s4
	v_add_nc_u32_e32 v5, s17, v19
	v_add_nc_u32_e32 v6, s19, v19
	s_mov_b32 s5, exec_lo
	s_delay_alu instid0(VALU_DEP_2) | instskip(NEXT) | instid1(VALU_DEP_2)
	v_mul_lo_u32 v5, v5, s16
	v_mul_lo_u32 v6, v6, s18
	s_delay_alu instid0(VALU_DEP_1) | instskip(NEXT) | instid1(VALU_DEP_1)
	v_sub_nc_u32_e32 v5, v5, v6
	v_cmp_lt_u32_e64 s3, s20, v5
	v_cmpx_ge_u32_e64 s20, v5
; %bb.16:
	v_add_nc_u32_e32 v5, s22, v19
	v_add_nc_u32_e32 v6, s38, v19
	s_delay_alu instid0(VALU_DEP_2) | instskip(NEXT) | instid1(VALU_DEP_2)
	v_mul_lo_u32 v5, v5, s21
	v_mul_lo_u32 v6, v6, s23
	s_delay_alu instid0(VALU_DEP_1) | instskip(NEXT) | instid1(VALU_DEP_1)
	v_sub_nc_u32_e32 v5, v5, v6
	v_cmp_lt_u32_e64 s4, s39, v5
	s_delay_alu instid0(VALU_DEP_1)
	s_and_b32 s44, s4, exec_lo
; %bb.17:
	s_or_b32 exec_lo, exec_lo, s5
	v_add_nc_u32_e32 v5, s17, v16
	v_add_nc_u32_e32 v6, s19, v16
	s_mov_b32 s46, 0
	s_mov_b32 s45, 0
	s_mov_b32 s6, exec_lo
	v_mul_lo_u32 v5, v5, s16
	v_mul_lo_u32 v6, v6, s18
	s_delay_alu instid0(VALU_DEP_1) | instskip(NEXT) | instid1(VALU_DEP_1)
	v_sub_nc_u32_e32 v5, v5, v6
	v_cmp_lt_u32_e64 s4, s20, v5
	;; [unrolled: 47-line block ×5, first 2 shown]
	v_cmpx_ge_u32_e64 s20, v5
; %bb.30:
	v_add_nc_u32_e32 v5, s22, v10
	v_add_nc_u32_e32 v6, s38, v10
	s_delay_alu instid0(VALU_DEP_2) | instskip(NEXT) | instid1(VALU_DEP_2)
	v_mul_lo_u32 v5, v5, s21
	v_mul_lo_u32 v6, v6, s23
	s_delay_alu instid0(VALU_DEP_1) | instskip(NEXT) | instid1(VALU_DEP_1)
	v_sub_nc_u32_e32 v5, v5, v6
	v_cmp_lt_u32_e64 s11, s39, v5
	s_delay_alu instid0(VALU_DEP_1)
	s_and_b32 s53, s11, exec_lo
; %bb.31:
	s_or_b32 exec_lo, exec_lo, s12
	v_add_nc_u32_e32 v5, s17, v11
	v_add_nc_u32_e32 v6, s19, v11
	s_mov_b32 s27, exec_lo
	s_delay_alu instid0(VALU_DEP_2) | instskip(NEXT) | instid1(VALU_DEP_2)
	v_mul_lo_u32 v5, v5, s16
	v_mul_lo_u32 v6, v6, s18
	s_delay_alu instid0(VALU_DEP_1) | instskip(NEXT) | instid1(VALU_DEP_1)
	v_sub_nc_u32_e32 v5, v5, v6
	v_cmp_lt_u32_e64 s11, s20, v5
	v_cmpx_ge_u32_e64 s20, v5
; %bb.32:
	v_add_nc_u32_e32 v5, s22, v11
	v_add_nc_u32_e32 v6, s38, v11
	s_delay_alu instid0(VALU_DEP_2) | instskip(NEXT) | instid1(VALU_DEP_2)
	v_mul_lo_u32 v5, v5, s21
	v_mul_lo_u32 v6, v6, s23
	s_delay_alu instid0(VALU_DEP_1) | instskip(NEXT) | instid1(VALU_DEP_1)
	v_sub_nc_u32_e32 v5, v5, v6
	v_cmp_lt_u32_e64 s12, s39, v5
	s_delay_alu instid0(VALU_DEP_1)
	s_and_b32 s52, s12, exec_lo
; %bb.33:
	s_or_b32 exec_lo, exec_lo, s27
	v_add_nc_u32_e32 v5, s17, v32
	v_add_nc_u32_e32 v6, s19, v32
	s_mov_b32 s27, -1
	s_mov_b32 s49, 0
	s_mov_b32 s33, 0
	v_mul_lo_u32 v5, v5, s16
	v_mul_lo_u32 v6, v6, s18
	s_mov_b32 s54, exec_lo
	s_delay_alu instid0(VALU_DEP_1) | instskip(NEXT) | instid1(VALU_DEP_1)
	v_sub_nc_u32_e32 v5, v5, v6
	v_cmpx_ge_u32_e64 s20, v5
; %bb.34:
	v_add_nc_u32_e32 v5, s22, v32
	v_add_nc_u32_e32 v6, s38, v32
	s_xor_b32 s27, exec_lo, -1
	s_delay_alu instid0(VALU_DEP_2) | instskip(NEXT) | instid1(VALU_DEP_2)
	v_mul_lo_u32 v5, v5, s21
	v_mul_lo_u32 v6, v6, s23
	s_delay_alu instid0(VALU_DEP_1) | instskip(NEXT) | instid1(VALU_DEP_1)
	v_sub_nc_u32_e32 v5, v5, v6
	v_cmp_lt_u32_e64 s12, s39, v5
	s_delay_alu instid0(VALU_DEP_1)
	s_and_b32 s33, s12, exec_lo
; %bb.35:
	s_or_b32 exec_lo, exec_lo, s54
	v_cndmask_b32_e64 v53, 0, 1, s53
	v_cndmask_b32_e64 v56, 0, 1, s11
	;; [unrolled: 1-line block ×22, first 2 shown]
	v_cndmask_b32_e64 v34, 0, 1, vcc_lo
	v_cndmask_b32_e64 v57, 0, 1, s52
	s_and_b32 vcc_lo, exec_lo, s49
	s_add_i32 s4, s40, 0xd00
	s_cbranch_vccnz .LBB1705_37
	s_branch .LBB1705_90
.LBB1705_36:
                                        ; implicit-def: $sgpr27
                                        ; implicit-def: $sgpr33
                                        ; implicit-def: $vgpr57
                                        ; implicit-def: $vgpr53
                                        ; implicit-def: $vgpr52
                                        ; implicit-def: $vgpr50
                                        ; implicit-def: $vgpr48
                                        ; implicit-def: $vgpr46
                                        ; implicit-def: $vgpr44
                                        ; implicit-def: $vgpr42
                                        ; implicit-def: $vgpr39
                                        ; implicit-def: $vgpr34
                                        ; implicit-def: $vgpr37
                                        ; implicit-def: $vgpr36
                                        ; implicit-def: $vgpr41
                                        ; implicit-def: $vgpr43
                                        ; implicit-def: $vgpr45
                                        ; implicit-def: $vgpr47
                                        ; implicit-def: $vgpr49
                                        ; implicit-def: $vgpr51
                                        ; implicit-def: $vgpr54
                                        ; implicit-def: $vgpr55
                                        ; implicit-def: $vgpr56
                                        ; implicit-def: $vgpr35
                                        ; implicit-def: $vgpr40
                                        ; implicit-def: $vgpr38
	s_add_i32 s4, s40, 0xd00
	s_cbranch_execz .LBB1705_90
.LBB1705_37:
	v_dual_mov_b32 v35, 0 :: v_dual_mov_b32 v34, 0
	s_mov_b32 s3, 0
	s_mov_b32 s1, exec_lo
	v_cmpx_gt_u32_e64 s4, v33
	s_cbranch_execz .LBB1705_41
; %bb.38:
	v_add_nc_u32_e32 v5, s17, v20
	v_add_nc_u32_e32 v6, s19, v20
	s_mov_b32 s5, exec_lo
	s_delay_alu instid0(VALU_DEP_2) | instskip(NEXT) | instid1(VALU_DEP_2)
	v_mul_lo_u32 v5, v5, s16
	v_mul_lo_u32 v6, v6, s18
	s_delay_alu instid0(VALU_DEP_1) | instskip(NEXT) | instid1(VALU_DEP_1)
	v_sub_nc_u32_e32 v5, v5, v6
	v_cmp_lt_u32_e32 vcc_lo, s20, v5
	v_cmpx_ge_u32_e64 s20, v5
; %bb.39:
	v_add_nc_u32_e32 v5, s22, v20
	v_add_nc_u32_e32 v6, s38, v20
	s_delay_alu instid0(VALU_DEP_2) | instskip(NEXT) | instid1(VALU_DEP_2)
	v_mul_lo_u32 v5, v5, s21
	v_mul_lo_u32 v6, v6, s23
	s_delay_alu instid0(VALU_DEP_1) | instskip(NEXT) | instid1(VALU_DEP_1)
	v_sub_nc_u32_e32 v5, v5, v6
	v_cmp_lt_u32_e64 s0, s39, v5
	s_delay_alu instid0(VALU_DEP_1)
	s_and_b32 s3, s0, exec_lo
; %bb.40:
	s_or_b32 exec_lo, exec_lo, s5
	v_cndmask_b32_e64 v34, 0, 1, vcc_lo
	v_cndmask_b32_e64 v35, 0, 1, s3
.LBB1705_41:
	s_or_b32 exec_lo, exec_lo, s1
	v_dual_mov_b32 v40, 0 :: v_dual_add_nc_u32 v5, 1, v33
	v_mov_b32_e32 v37, 0
	s_mov_b32 s3, 0
	s_mov_b32 s1, exec_lo
	s_delay_alu instid0(VALU_DEP_2)
	v_cmpx_gt_u32_e64 s4, v5
	s_cbranch_execz .LBB1705_45
; %bb.42:
	v_add_nc_u32_e32 v5, s17, v21
	v_add_nc_u32_e32 v6, s19, v21
	s_mov_b32 s5, exec_lo
	s_delay_alu instid0(VALU_DEP_2) | instskip(NEXT) | instid1(VALU_DEP_2)
	v_mul_lo_u32 v5, v5, s16
	v_mul_lo_u32 v6, v6, s18
	s_delay_alu instid0(VALU_DEP_1) | instskip(NEXT) | instid1(VALU_DEP_1)
	v_sub_nc_u32_e32 v5, v5, v6
	v_cmp_lt_u32_e32 vcc_lo, s20, v5
	v_cmpx_ge_u32_e64 s20, v5
; %bb.43:
	v_add_nc_u32_e32 v5, s22, v21
	v_add_nc_u32_e32 v6, s38, v21
	s_delay_alu instid0(VALU_DEP_2) | instskip(NEXT) | instid1(VALU_DEP_2)
	v_mul_lo_u32 v5, v5, s21
	v_mul_lo_u32 v6, v6, s23
	s_delay_alu instid0(VALU_DEP_1) | instskip(NEXT) | instid1(VALU_DEP_1)
	v_sub_nc_u32_e32 v5, v5, v6
	v_cmp_lt_u32_e64 s0, s39, v5
	s_delay_alu instid0(VALU_DEP_1)
	s_and_b32 s3, s0, exec_lo
; %bb.44:
	s_or_b32 exec_lo, exec_lo, s5
	v_cndmask_b32_e64 v37, 0, 1, vcc_lo
	v_cndmask_b32_e64 v40, 0, 1, s3
.LBB1705_45:
	s_or_b32 exec_lo, exec_lo, s1
	v_dual_mov_b32 v36, 0 :: v_dual_add_nc_u32 v5, 2, v33
	v_mov_b32_e32 v38, 0
	s_mov_b32 s3, 0
	s_mov_b32 s1, exec_lo
	s_delay_alu instid0(VALU_DEP_2)
	v_cmpx_gt_u32_e64 s4, v5
	s_cbranch_execz .LBB1705_49
; %bb.46:
	v_add_nc_u32_e32 v5, s17, v18
	v_add_nc_u32_e32 v6, s19, v18
	s_mov_b32 s5, exec_lo
	s_delay_alu instid0(VALU_DEP_2) | instskip(NEXT) | instid1(VALU_DEP_2)
	v_mul_lo_u32 v5, v5, s16
	v_mul_lo_u32 v6, v6, s18
	s_delay_alu instid0(VALU_DEP_1) | instskip(NEXT) | instid1(VALU_DEP_1)
	v_sub_nc_u32_e32 v5, v5, v6
	v_cmp_lt_u32_e32 vcc_lo, s20, v5
	v_cmpx_ge_u32_e64 s20, v5
; %bb.47:
	v_add_nc_u32_e32 v5, s22, v18
	v_add_nc_u32_e32 v6, s38, v18
	s_delay_alu instid0(VALU_DEP_2) | instskip(NEXT) | instid1(VALU_DEP_2)
	v_mul_lo_u32 v5, v5, s21
	v_mul_lo_u32 v6, v6, s23
	s_delay_alu instid0(VALU_DEP_1) | instskip(NEXT) | instid1(VALU_DEP_1)
	v_sub_nc_u32_e32 v5, v5, v6
	v_cmp_lt_u32_e64 s0, s39, v5
	s_delay_alu instid0(VALU_DEP_1)
	s_and_b32 s3, s0, exec_lo
; %bb.48:
	s_or_b32 exec_lo, exec_lo, s5
	v_cndmask_b32_e64 v36, 0, 1, vcc_lo
	v_cndmask_b32_e64 v38, 0, 1, s3
.LBB1705_49:
	s_or_b32 exec_lo, exec_lo, s1
	v_add_nc_u32_e32 v5, 3, v33
	v_mov_b32_e32 v39, 0
	v_mov_b32_e32 v41, 0
	s_mov_b32 s3, 0
	s_mov_b32 s1, exec_lo
	v_cmpx_gt_u32_e64 s4, v5
	s_cbranch_execz .LBB1705_53
; %bb.50:
	v_add_nc_u32_e32 v5, s17, v19
	v_add_nc_u32_e32 v6, s19, v19
	s_mov_b32 s5, exec_lo
	s_delay_alu instid0(VALU_DEP_2) | instskip(NEXT) | instid1(VALU_DEP_2)
	v_mul_lo_u32 v5, v5, s16
	v_mul_lo_u32 v6, v6, s18
	s_delay_alu instid0(VALU_DEP_1) | instskip(NEXT) | instid1(VALU_DEP_1)
	v_sub_nc_u32_e32 v5, v5, v6
	v_cmp_lt_u32_e32 vcc_lo, s20, v5
	v_cmpx_ge_u32_e64 s20, v5
; %bb.51:
	v_add_nc_u32_e32 v5, s22, v19
	v_add_nc_u32_e32 v6, s38, v19
	s_delay_alu instid0(VALU_DEP_2) | instskip(NEXT) | instid1(VALU_DEP_2)
	v_mul_lo_u32 v5, v5, s21
	v_mul_lo_u32 v6, v6, s23
	s_delay_alu instid0(VALU_DEP_1) | instskip(NEXT) | instid1(VALU_DEP_1)
	v_sub_nc_u32_e32 v5, v5, v6
	v_cmp_lt_u32_e64 s0, s39, v5
	s_delay_alu instid0(VALU_DEP_1)
	s_and_b32 s3, s0, exec_lo
; %bb.52:
	s_or_b32 exec_lo, exec_lo, s5
	v_cndmask_b32_e64 v41, 0, 1, vcc_lo
	v_cndmask_b32_e64 v39, 0, 1, s3
.LBB1705_53:
	s_or_b32 exec_lo, exec_lo, s1
	v_dual_mov_b32 v42, 0 :: v_dual_add_nc_u32 v5, 4, v33
	v_mov_b32_e32 v43, 0
	s_mov_b32 s3, 0
	s_mov_b32 s1, exec_lo
	s_delay_alu instid0(VALU_DEP_2)
	v_cmpx_gt_u32_e64 s4, v5
	s_cbranch_execz .LBB1705_57
; %bb.54:
	v_add_nc_u32_e32 v5, s17, v16
	v_add_nc_u32_e32 v6, s19, v16
	s_mov_b32 s5, exec_lo
	s_delay_alu instid0(VALU_DEP_2) | instskip(NEXT) | instid1(VALU_DEP_2)
	v_mul_lo_u32 v5, v5, s16
	v_mul_lo_u32 v6, v6, s18
	s_delay_alu instid0(VALU_DEP_1) | instskip(NEXT) | instid1(VALU_DEP_1)
	v_sub_nc_u32_e32 v5, v5, v6
	v_cmp_lt_u32_e32 vcc_lo, s20, v5
	v_cmpx_ge_u32_e64 s20, v5
; %bb.55:
	v_add_nc_u32_e32 v5, s22, v16
	v_add_nc_u32_e32 v6, s38, v16
	s_delay_alu instid0(VALU_DEP_2) | instskip(NEXT) | instid1(VALU_DEP_2)
	v_mul_lo_u32 v5, v5, s21
	v_mul_lo_u32 v6, v6, s23
	s_delay_alu instid0(VALU_DEP_1) | instskip(NEXT) | instid1(VALU_DEP_1)
	v_sub_nc_u32_e32 v5, v5, v6
	v_cmp_lt_u32_e64 s0, s39, v5
	s_delay_alu instid0(VALU_DEP_1)
	s_and_b32 s3, s0, exec_lo
; %bb.56:
	s_or_b32 exec_lo, exec_lo, s5
	v_cndmask_b32_e64 v43, 0, 1, vcc_lo
	v_cndmask_b32_e64 v42, 0, 1, s3
.LBB1705_57:
	s_or_b32 exec_lo, exec_lo, s1
	v_dual_mov_b32 v44, 0 :: v_dual_add_nc_u32 v5, 5, v33
	v_mov_b32_e32 v45, 0
	s_mov_b32 s3, 0
	s_mov_b32 s1, exec_lo
	s_delay_alu instid0(VALU_DEP_2)
	;; [unrolled: 35-line block ×6, first 2 shown]
	v_cmpx_gt_u32_e64 s4, v5
	s_cbranch_execz .LBB1705_77
; %bb.74:
	v_add_nc_u32_e32 v5, s17, v13
	v_add_nc_u32_e32 v6, s19, v13
	s_mov_b32 s5, exec_lo
	s_delay_alu instid0(VALU_DEP_2) | instskip(NEXT) | instid1(VALU_DEP_2)
	v_mul_lo_u32 v5, v5, s16
	v_mul_lo_u32 v6, v6, s18
	s_delay_alu instid0(VALU_DEP_1) | instskip(NEXT) | instid1(VALU_DEP_1)
	v_sub_nc_u32_e32 v5, v5, v6
	v_cmp_lt_u32_e32 vcc_lo, s20, v5
	v_cmpx_ge_u32_e64 s20, v5
; %bb.75:
	v_add_nc_u32_e32 v5, s22, v13
	v_add_nc_u32_e32 v6, s38, v13
	s_delay_alu instid0(VALU_DEP_2) | instskip(NEXT) | instid1(VALU_DEP_2)
	v_mul_lo_u32 v5, v5, s21
	v_mul_lo_u32 v6, v6, s23
	s_delay_alu instid0(VALU_DEP_1) | instskip(NEXT) | instid1(VALU_DEP_1)
	v_sub_nc_u32_e32 v5, v5, v6
	v_cmp_lt_u32_e64 s0, s39, v5
	s_delay_alu instid0(VALU_DEP_1)
	s_and_b32 s3, s0, exec_lo
; %bb.76:
	s_or_b32 exec_lo, exec_lo, s5
	v_cndmask_b32_e64 v54, 0, 1, vcc_lo
	v_cndmask_b32_e64 v52, 0, 1, s3
.LBB1705_77:
	s_or_b32 exec_lo, exec_lo, s1
	v_add_nc_u32_e32 v5, 10, v33
	v_mov_b32_e32 v53, 0
	v_mov_b32_e32 v55, 0
	s_mov_b32 s3, 0
	s_mov_b32 s1, exec_lo
	v_cmpx_gt_u32_e64 s4, v5
	s_cbranch_execz .LBB1705_81
; %bb.78:
	v_add_nc_u32_e32 v5, s17, v10
	v_add_nc_u32_e32 v6, s19, v10
	s_mov_b32 s5, exec_lo
	s_delay_alu instid0(VALU_DEP_2) | instskip(NEXT) | instid1(VALU_DEP_2)
	v_mul_lo_u32 v5, v5, s16
	v_mul_lo_u32 v6, v6, s18
	s_delay_alu instid0(VALU_DEP_1) | instskip(NEXT) | instid1(VALU_DEP_1)
	v_sub_nc_u32_e32 v5, v5, v6
	v_cmp_lt_u32_e32 vcc_lo, s20, v5
	v_cmpx_ge_u32_e64 s20, v5
; %bb.79:
	v_add_nc_u32_e32 v5, s22, v10
	v_add_nc_u32_e32 v6, s38, v10
	s_delay_alu instid0(VALU_DEP_2) | instskip(NEXT) | instid1(VALU_DEP_2)
	v_mul_lo_u32 v5, v5, s21
	v_mul_lo_u32 v6, v6, s23
	s_delay_alu instid0(VALU_DEP_1) | instskip(NEXT) | instid1(VALU_DEP_1)
	v_sub_nc_u32_e32 v5, v5, v6
	v_cmp_lt_u32_e64 s0, s39, v5
	s_delay_alu instid0(VALU_DEP_1)
	s_and_b32 s3, s0, exec_lo
; %bb.80:
	s_or_b32 exec_lo, exec_lo, s5
	v_cndmask_b32_e64 v55, 0, 1, vcc_lo
	v_cndmask_b32_e64 v53, 0, 1, s3
.LBB1705_81:
	s_or_b32 exec_lo, exec_lo, s1
	v_dual_mov_b32 v56, 0 :: v_dual_add_nc_u32 v5, 11, v33
	v_mov_b32_e32 v57, 0
	s_mov_b32 s3, 0
	s_mov_b32 s1, exec_lo
	s_delay_alu instid0(VALU_DEP_2)
	v_cmpx_gt_u32_e64 s4, v5
	s_cbranch_execz .LBB1705_85
; %bb.82:
	v_add_nc_u32_e32 v5, s17, v11
	v_add_nc_u32_e32 v6, s19, v11
	s_mov_b32 s5, exec_lo
	s_delay_alu instid0(VALU_DEP_2) | instskip(NEXT) | instid1(VALU_DEP_2)
	v_mul_lo_u32 v5, v5, s16
	v_mul_lo_u32 v6, v6, s18
	s_delay_alu instid0(VALU_DEP_1) | instskip(NEXT) | instid1(VALU_DEP_1)
	v_sub_nc_u32_e32 v5, v5, v6
	v_cmp_lt_u32_e32 vcc_lo, s20, v5
	v_cmpx_ge_u32_e64 s20, v5
; %bb.83:
	v_add_nc_u32_e32 v5, s22, v11
	v_add_nc_u32_e32 v6, s38, v11
	s_delay_alu instid0(VALU_DEP_2) | instskip(NEXT) | instid1(VALU_DEP_2)
	v_mul_lo_u32 v5, v5, s21
	v_mul_lo_u32 v6, v6, s23
	s_delay_alu instid0(VALU_DEP_1) | instskip(NEXT) | instid1(VALU_DEP_1)
	v_sub_nc_u32_e32 v5, v5, v6
	v_cmp_lt_u32_e64 s0, s39, v5
	s_delay_alu instid0(VALU_DEP_1)
	s_and_b32 s3, s0, exec_lo
; %bb.84:
	s_or_b32 exec_lo, exec_lo, s5
	v_cndmask_b32_e64 v56, 0, 1, vcc_lo
	v_cndmask_b32_e64 v57, 0, 1, s3
.LBB1705_85:
	s_or_b32 exec_lo, exec_lo, s1
	v_add_nc_u32_e32 v5, 12, v33
	s_mov_b32 s27, 0
	s_mov_b32 s33, 0
	s_mov_b32 s0, exec_lo
	s_delay_alu instid0(VALU_DEP_1)
	v_cmpx_gt_u32_e64 s4, v5
	s_cbranch_execz .LBB1705_89
; %bb.86:
	v_add_nc_u32_e32 v5, s17, v32
	v_add_nc_u32_e32 v6, s19, v32
	s_mov_b32 s3, -1
	s_mov_b32 s5, 0
	s_mov_b32 s1, exec_lo
	v_mul_lo_u32 v5, v5, s16
	v_mul_lo_u32 v6, v6, s18
	s_delay_alu instid0(VALU_DEP_1) | instskip(NEXT) | instid1(VALU_DEP_1)
	v_sub_nc_u32_e32 v5, v5, v6
	v_cmpx_ge_u32_e64 s20, v5
; %bb.87:
	v_add_nc_u32_e32 v5, s22, v32
	v_add_nc_u32_e32 v6, s38, v32
	s_xor_b32 s3, exec_lo, -1
	s_delay_alu instid0(VALU_DEP_2) | instskip(NEXT) | instid1(VALU_DEP_2)
	v_mul_lo_u32 v5, v5, s21
	v_mul_lo_u32 v6, v6, s23
	s_delay_alu instid0(VALU_DEP_1) | instskip(NEXT) | instid1(VALU_DEP_1)
	v_sub_nc_u32_e32 v5, v5, v6
	v_cmp_lt_u32_e32 vcc_lo, s39, v5
	s_and_b32 s5, vcc_lo, exec_lo
; %bb.88:
	s_or_b32 exec_lo, exec_lo, s1
	s_delay_alu instid0(SALU_CYCLE_1)
	s_and_b32 s33, s5, exec_lo
	s_and_b32 s27, s3, exec_lo
.LBB1705_89:
	s_or_b32 exec_lo, exec_lo, s0
.LBB1705_90:
	v_and_b32_e32 v80, 0xff, v34
	v_and_b32_e32 v81, 0xff, v35
	;; [unrolled: 1-line block ×10, first 2 shown]
	v_add3_u32 v5, v76, v78, v80
	v_add3_u32 v6, v77, v79, v81
	v_and_b32_e32 v70, 0xff, v45
	v_and_b32_e32 v71, 0xff, v44
	v_and_b32_e32 v64, 0xff, v47
	v_and_b32_e32 v65, 0xff, v46
	v_add3_u32 v5, v5, v74, v72
	v_add3_u32 v6, v6, v75, v73
	v_and_b32_e32 v68, 0xff, v49
	v_and_b32_e32 v69, 0xff, v48
	v_and_b32_e32 v66, 0xff, v51
	v_and_b32_e32 v67, 0xff, v50
	;; [unrolled: 6-line block ×3, first 2 shown]
	v_add3_u32 v5, v5, v68, v66
	v_add3_u32 v6, v6, v69, v67
	v_mbcnt_lo_u32_b32 v82, -1, 0
	v_and_b32_e32 v58, 0xff, v56
	v_and_b32_e32 v59, 0xff, v57
	v_cndmask_b32_e64 v7, 0, 1, s33
	v_add3_u32 v5, v5, v61, v60
	v_cndmask_b32_e64 v8, 0, 1, s27
	v_add3_u32 v6, v6, v62, v63
	v_and_b32_e32 v86, 15, v82
	v_and_b32_e32 v85, 16, v82
	v_lshrrev_b32_e32 v83, 5, v0
	v_add3_u32 v87, v5, v58, v8
	v_add3_u32 v88, v6, v59, v7
	v_cmp_eq_u32_e64 s1, 0, v86
	v_cmp_lt_u32_e64 s0, 1, v86
	v_cmp_lt_u32_e64 s3, 3, v86
	v_cmp_lt_u32_e32 vcc_lo, 7, v86
	v_or_b32_e32 v84, 31, v0
	s_cmp_lg_u32 s26, 0
	s_mov_b32 s5, -1
	s_cbranch_scc0 .LBB1705_118
; %bb.91:
	v_mov_b32_dpp v5, v88 row_shr:1 row_mask:0xf bank_mask:0xf
	v_mov_b32_dpp v6, v87 row_shr:1 row_mask:0xf bank_mask:0xf
	s_delay_alu instid0(VALU_DEP_2) | instskip(NEXT) | instid1(VALU_DEP_2)
	v_add_nc_u32_e32 v5, v5, v88
	v_add_nc_u32_e32 v6, v6, v87
	s_delay_alu instid0(VALU_DEP_2) | instskip(NEXT) | instid1(VALU_DEP_2)
	v_cndmask_b32_e64 v5, v5, v88, s1
	v_cndmask_b32_e64 v6, v6, v87, s1
	s_delay_alu instid0(VALU_DEP_2) | instskip(NEXT) | instid1(VALU_DEP_2)
	v_mov_b32_dpp v7, v5 row_shr:2 row_mask:0xf bank_mask:0xf
	v_mov_b32_dpp v8, v6 row_shr:2 row_mask:0xf bank_mask:0xf
	s_delay_alu instid0(VALU_DEP_2) | instskip(NEXT) | instid1(VALU_DEP_1)
	v_add_nc_u32_e32 v7, v5, v7
	v_cndmask_b32_e64 v5, v5, v7, s0
	s_delay_alu instid0(VALU_DEP_1) | instskip(NEXT) | instid1(VALU_DEP_1)
	v_mov_b32_dpp v7, v5 row_shr:4 row_mask:0xf bank_mask:0xf
	v_add_nc_u32_e32 v7, v5, v7
	s_delay_alu instid0(VALU_DEP_1) | instskip(NEXT) | instid1(VALU_DEP_1)
	v_cndmask_b32_e64 v5, v5, v7, s3
	v_mov_b32_dpp v7, v5 row_shr:8 row_mask:0xf bank_mask:0xf
	s_delay_alu instid0(VALU_DEP_1) | instskip(NEXT) | instid1(VALU_DEP_1)
	v_add_nc_u32_e32 v7, v5, v7
	v_dual_cndmask_b32 v5, v5, v7 :: v_dual_add_nc_u32 v8, v6, v8
	s_delay_alu instid0(VALU_DEP_1) | instskip(NEXT) | instid1(VALU_DEP_1)
	v_cndmask_b32_e64 v6, v6, v8, s0
	v_mov_b32_dpp v8, v6 row_shr:4 row_mask:0xf bank_mask:0xf
	s_delay_alu instid0(VALU_DEP_1) | instskip(NEXT) | instid1(VALU_DEP_1)
	v_add_nc_u32_e32 v8, v6, v8
	v_cndmask_b32_e64 v6, v6, v8, s3
	s_mov_b32 s3, exec_lo
	s_delay_alu instid0(VALU_DEP_1) | instskip(NEXT) | instid1(VALU_DEP_1)
	v_mov_b32_dpp v8, v6 row_shr:8 row_mask:0xf bank_mask:0xf
	v_add_nc_u32_e32 v8, v6, v8
	s_delay_alu instid0(VALU_DEP_1)
	v_cndmask_b32_e32 v7, v6, v8, vcc_lo
	ds_swizzle_b32 v6, v5 offset:swizzle(BROADCAST,32,15)
	v_cmp_eq_u32_e32 vcc_lo, 0, v85
	s_waitcnt lgkmcnt(0)
	v_add_nc_u32_e32 v6, v5, v6
	ds_swizzle_b32 v8, v7 offset:swizzle(BROADCAST,32,15)
	v_cndmask_b32_e32 v6, v6, v5, vcc_lo
	s_waitcnt lgkmcnt(0)
	v_add_nc_u32_e32 v8, v7, v8
	s_delay_alu instid0(VALU_DEP_1)
	v_cndmask_b32_e32 v5, v8, v7, vcc_lo
	v_cmpx_eq_u32_e64 v84, v0
	s_cbranch_execz .LBB1705_93
; %bb.92:
	v_lshlrev_b32_e32 v7, 3, v83
	ds_store_b64 v7, v[5:6]
.LBB1705_93:
	s_or_b32 exec_lo, exec_lo, s3
	s_delay_alu instid0(SALU_CYCLE_1)
	s_mov_b32 s3, exec_lo
	s_waitcnt lgkmcnt(0)
	s_barrier
	buffer_gl0_inv
	v_cmpx_gt_u32_e32 8, v0
	s_cbranch_execz .LBB1705_95
; %bb.94:
	v_lshlrev_b32_e32 v9, 3, v0
	ds_load_b64 v[7:8], v9
	s_waitcnt lgkmcnt(0)
	v_mov_b32_dpp v22, v7 row_shr:1 row_mask:0xf bank_mask:0xf
	v_mov_b32_dpp v23, v8 row_shr:1 row_mask:0xf bank_mask:0xf
	s_delay_alu instid0(VALU_DEP_2) | instskip(SKIP_1) | instid1(VALU_DEP_3)
	v_add_nc_u32_e32 v22, v22, v7
	v_and_b32_e32 v24, 7, v82
	v_add_nc_u32_e32 v23, v23, v8
	s_delay_alu instid0(VALU_DEP_2) | instskip(NEXT) | instid1(VALU_DEP_2)
	v_cmp_eq_u32_e32 vcc_lo, 0, v24
	v_dual_cndmask_b32 v8, v23, v8 :: v_dual_cndmask_b32 v7, v22, v7
	v_cmp_lt_u32_e32 vcc_lo, 1, v24
	s_delay_alu instid0(VALU_DEP_2) | instskip(NEXT) | instid1(VALU_DEP_3)
	v_mov_b32_dpp v23, v8 row_shr:2 row_mask:0xf bank_mask:0xf
	v_mov_b32_dpp v22, v7 row_shr:2 row_mask:0xf bank_mask:0xf
	s_delay_alu instid0(VALU_DEP_2) | instskip(NEXT) | instid1(VALU_DEP_2)
	v_add_nc_u32_e32 v23, v8, v23
	v_add_nc_u32_e32 v22, v7, v22
	s_delay_alu instid0(VALU_DEP_1) | instskip(SKIP_1) | instid1(VALU_DEP_2)
	v_dual_cndmask_b32 v8, v8, v23 :: v_dual_cndmask_b32 v7, v7, v22
	v_cmp_lt_u32_e32 vcc_lo, 3, v24
	v_mov_b32_dpp v23, v8 row_shr:4 row_mask:0xf bank_mask:0xf
	s_delay_alu instid0(VALU_DEP_3) | instskip(NEXT) | instid1(VALU_DEP_1)
	v_mov_b32_dpp v22, v7 row_shr:4 row_mask:0xf bank_mask:0xf
	v_dual_cndmask_b32 v23, 0, v23 :: v_dual_cndmask_b32 v22, 0, v22
	s_delay_alu instid0(VALU_DEP_1) | instskip(NEXT) | instid1(VALU_DEP_2)
	v_add_nc_u32_e32 v8, v23, v8
	v_add_nc_u32_e32 v7, v22, v7
	ds_store_b64 v9, v[7:8]
.LBB1705_95:
	s_or_b32 exec_lo, exec_lo, s3
	v_cmp_gt_u32_e32 vcc_lo, 32, v0
	v_cmp_lt_u32_e64 s3, 31, v0
	s_waitcnt lgkmcnt(0)
	s_barrier
	buffer_gl0_inv
                                        ; implicit-def: $vgpr23
	s_and_saveexec_b32 s5, s3
	s_delay_alu instid0(SALU_CYCLE_1)
	s_xor_b32 s3, exec_lo, s5
	s_cbranch_execz .LBB1705_97
; %bb.96:
	v_lshl_add_u32 v7, v83, 3, -8
	ds_load_b64 v[22:23], v7
	s_waitcnt lgkmcnt(0)
	v_add_nc_u32_e32 v6, v23, v6
	v_add_nc_u32_e32 v5, v22, v5
.LBB1705_97:
	s_and_not1_saveexec_b32 s3, s3
; %bb.98:
                                        ; implicit-def: $vgpr22
; %bb.99:
	s_delay_alu instid0(SALU_CYCLE_1) | instskip(SKIP_1) | instid1(VALU_DEP_1)
	s_or_b32 exec_lo, exec_lo, s3
	v_add_nc_u32_e32 v7, -1, v82
	v_cmp_gt_i32_e64 s3, 0, v7
	s_delay_alu instid0(VALU_DEP_1) | instskip(SKIP_1) | instid1(VALU_DEP_2)
	v_cndmask_b32_e64 v7, v7, v82, s3
	v_cmp_eq_u32_e64 s3, 0, v82
	v_lshlrev_b32_e32 v7, 2, v7
	ds_bpermute_b32 v89, v7, v5
	ds_bpermute_b32 v90, v7, v6
	s_and_saveexec_b32 s5, vcc_lo
	s_cbranch_execz .LBB1705_117
; %bb.100:
	v_mov_b32_e32 v8, 0
	ds_load_b64 v[5:6], v8 offset:56
	s_waitcnt lgkmcnt(0)
	v_readfirstlane_b32 s6, v6
	s_and_saveexec_b32 s7, s3
	s_cbranch_execz .LBB1705_102
; %bb.101:
	s_add_i32 s8, s26, 32
	s_mov_b32 s9, 0
	v_mov_b32_e32 v7, 1
	s_lshl_b64 s[10:11], s[8:9], 4
	s_mov_b32 s16, s9
	s_add_u32 s10, s36, s10
	s_addc_u32 s11, s37, s11
	s_and_b32 s17, s6, 0xff000000
	s_and_b32 s19, s6, 0xff0000
	s_mov_b32 s18, s9
	v_dual_mov_b32 v25, s11 :: v_dual_mov_b32 v24, s10
	s_or_b64 s[16:17], s[18:19], s[16:17]
	s_and_b32 s19, s6, 0xff00
	s_delay_alu instid0(SALU_CYCLE_1) | instskip(SKIP_1) | instid1(SALU_CYCLE_1)
	s_or_b64 s[16:17], s[16:17], s[18:19]
	s_and_b32 s19, s6, 0xff
	s_or_b64 s[8:9], s[16:17], s[18:19]
	s_delay_alu instid0(SALU_CYCLE_1)
	v_mov_b32_e32 v6, s9
	;;#ASMSTART
	global_store_dwordx4 v[24:25], v[5:8] off	
s_waitcnt vmcnt(0)
	;;#ASMEND
.LBB1705_102:
	s_or_b32 exec_lo, exec_lo, s7
	v_xad_u32 v24, v82, -1, s26
	s_mov_b32 s8, 0
	s_mov_b32 s7, exec_lo
	s_delay_alu instid0(VALU_DEP_1) | instskip(NEXT) | instid1(VALU_DEP_1)
	v_add_nc_u32_e32 v7, 32, v24
	v_lshlrev_b64 v[6:7], 4, v[7:8]
	s_delay_alu instid0(VALU_DEP_1) | instskip(NEXT) | instid1(VALU_DEP_2)
	v_add_co_u32 v25, vcc_lo, s36, v6
	v_add_co_ci_u32_e32 v26, vcc_lo, s37, v7, vcc_lo
	;;#ASMSTART
	global_load_dwordx4 v[6:9], v[25:26] off glc	
s_waitcnt vmcnt(0)
	;;#ASMEND
	v_and_b32_e32 v9, 0xff, v7
	v_and_b32_e32 v27, 0xff00, v7
	v_or3_b32 v6, v6, 0, 0
	v_and_b32_e32 v28, 0xff000000, v7
	v_and_b32_e32 v7, 0xff0000, v7
	s_delay_alu instid0(VALU_DEP_4) | instskip(SKIP_2) | instid1(VALU_DEP_3)
	v_or3_b32 v9, 0, v9, v27
	v_and_b32_e32 v27, 0xff, v8
	v_or3_b32 v6, v6, 0, 0
	v_or3_b32 v7, v9, v7, v28
	s_delay_alu instid0(VALU_DEP_3)
	v_cmpx_eq_u16_e32 0, v27
	s_cbranch_execz .LBB1705_105
.LBB1705_103:                           ; =>This Inner Loop Header: Depth=1
	;;#ASMSTART
	global_load_dwordx4 v[6:9], v[25:26] off glc	
s_waitcnt vmcnt(0)
	;;#ASMEND
	v_and_b32_e32 v9, 0xff, v8
	s_delay_alu instid0(VALU_DEP_1) | instskip(SKIP_1) | instid1(SALU_CYCLE_1)
	v_cmp_ne_u16_e32 vcc_lo, 0, v9
	s_or_b32 s8, vcc_lo, s8
	s_and_not1_b32 exec_lo, exec_lo, s8
	s_cbranch_execnz .LBB1705_103
; %bb.104:
	s_or_b32 exec_lo, exec_lo, s8
.LBB1705_105:
	s_delay_alu instid0(SALU_CYCLE_1) | instskip(SKIP_3) | instid1(VALU_DEP_1)
	s_or_b32 exec_lo, exec_lo, s7
	v_cmp_ne_u32_e32 vcc_lo, 31, v82
	v_lshlrev_b32_e64 v92, v82, -1
	v_add_co_ci_u32_e32 v9, vcc_lo, 0, v82, vcc_lo
	v_lshlrev_b32_e32 v91, 2, v9
	ds_bpermute_b32 v25, v91, v7
	ds_bpermute_b32 v9, v91, v6
	s_waitcnt lgkmcnt(1)
	v_add_nc_u32_e32 v25, v25, v7
	v_and_b32_e32 v26, 0xff, v8
	s_waitcnt lgkmcnt(0)
	v_add_nc_u32_e32 v9, v9, v6
	s_delay_alu instid0(VALU_DEP_2) | instskip(SKIP_2) | instid1(VALU_DEP_2)
	v_cmp_eq_u16_e32 vcc_lo, 2, v26
	v_and_or_b32 v26, vcc_lo, v92, 0x80000000
	v_cmp_gt_u32_e32 vcc_lo, 30, v82
	v_ctz_i32_b32_e32 v26, v26
	v_cndmask_b32_e64 v27, 0, 1, vcc_lo
	s_delay_alu instid0(VALU_DEP_2) | instskip(NEXT) | instid1(VALU_DEP_2)
	v_cmp_lt_u32_e32 vcc_lo, v82, v26
	v_dual_cndmask_b32 v6, v6, v9 :: v_dual_lshlrev_b32 v27, 1, v27
	s_delay_alu instid0(VALU_DEP_1)
	v_add_lshl_u32 v93, v27, v82, 2
	v_cndmask_b32_e32 v7, v7, v25, vcc_lo
	v_cmp_gt_u32_e32 vcc_lo, 28, v82
	ds_bpermute_b32 v9, v93, v6
	ds_bpermute_b32 v25, v93, v7
	v_cndmask_b32_e64 v27, 0, 1, vcc_lo
	s_waitcnt lgkmcnt(1)
	v_add_nc_u32_e32 v9, v6, v9
	s_waitcnt lgkmcnt(0)
	v_add_nc_u32_e32 v25, v7, v25
	v_add_nc_u32_e32 v94, 2, v82
	s_delay_alu instid0(VALU_DEP_1) | instskip(NEXT) | instid1(VALU_DEP_3)
	v_cmp_gt_u32_e32 vcc_lo, v94, v26
	v_cndmask_b32_e32 v7, v25, v7, vcc_lo
	v_dual_cndmask_b32 v6, v9, v6 :: v_dual_lshlrev_b32 v27, 2, v27
	v_cmp_gt_u32_e32 vcc_lo, 24, v82
	s_delay_alu instid0(VALU_DEP_2) | instskip(SKIP_4) | instid1(VALU_DEP_1)
	v_add_lshl_u32 v95, v27, v82, 2
	v_cndmask_b32_e64 v27, 0, 1, vcc_lo
	ds_bpermute_b32 v25, v95, v7
	ds_bpermute_b32 v9, v95, v6
	v_lshlrev_b32_e32 v27, 3, v27
	v_add_lshl_u32 v97, v27, v82, 2
	s_waitcnt lgkmcnt(1)
	v_add_nc_u32_e32 v25, v7, v25
	v_add_nc_u32_e32 v96, 4, v82
	s_waitcnt lgkmcnt(0)
	v_add_nc_u32_e32 v9, v6, v9
	s_delay_alu instid0(VALU_DEP_2) | instskip(SKIP_1) | instid1(VALU_DEP_3)
	v_cmp_gt_u32_e32 vcc_lo, v96, v26
	v_cndmask_b32_e32 v7, v25, v7, vcc_lo
	v_cndmask_b32_e32 v6, v9, v6, vcc_lo
	v_cmp_gt_u32_e32 vcc_lo, 16, v82
	ds_bpermute_b32 v25, v97, v7
	ds_bpermute_b32 v9, v97, v6
	v_cndmask_b32_e64 v27, 0, 1, vcc_lo
	s_delay_alu instid0(VALU_DEP_1) | instskip(NEXT) | instid1(VALU_DEP_1)
	v_lshlrev_b32_e32 v27, 4, v27
	v_add_lshl_u32 v99, v27, v82, 2
	s_waitcnt lgkmcnt(1)
	v_add_nc_u32_e32 v25, v7, v25
	v_add_nc_u32_e32 v98, 8, v82
	s_waitcnt lgkmcnt(0)
	v_add_nc_u32_e32 v9, v6, v9
	s_delay_alu instid0(VALU_DEP_2) | instskip(SKIP_1) | instid1(VALU_DEP_3)
	v_cmp_gt_u32_e32 vcc_lo, v98, v26
	v_cndmask_b32_e32 v7, v25, v7, vcc_lo
	v_cndmask_b32_e32 v6, v9, v6, vcc_lo
	ds_bpermute_b32 v25, v99, v7
	ds_bpermute_b32 v9, v99, v6
	v_add_nc_u32_e32 v100, 16, v82
	s_delay_alu instid0(VALU_DEP_1) | instskip(SKIP_2) | instid1(VALU_DEP_1)
	v_cmp_le_u32_e32 vcc_lo, v100, v26
	s_waitcnt lgkmcnt(0)
	v_cndmask_b32_e32 v9, 0, v9, vcc_lo
	v_dual_cndmask_b32 v25, 0, v25 :: v_dual_add_nc_u32 v6, v9, v6
	s_delay_alu instid0(VALU_DEP_1)
	v_add_nc_u32_e32 v7, v25, v7
	v_mov_b32_e32 v25, 0
	s_branch .LBB1705_107
.LBB1705_106:                           ;   in Loop: Header=BB1705_107 Depth=1
	s_or_b32 exec_lo, exec_lo, s7
	ds_bpermute_b32 v9, v91, v6
	ds_bpermute_b32 v28, v91, v7
	v_subrev_nc_u32_e32 v24, 32, v24
	s_waitcnt lgkmcnt(1)
	v_add_nc_u32_e32 v9, v9, v6
	v_and_b32_e32 v29, 0xff, v8
	s_waitcnt lgkmcnt(0)
	v_add_nc_u32_e32 v28, v28, v7
	s_delay_alu instid0(VALU_DEP_2) | instskip(SKIP_1) | instid1(VALU_DEP_1)
	v_cmp_eq_u16_e32 vcc_lo, 2, v29
	v_and_or_b32 v29, vcc_lo, v92, 0x80000000
	v_ctz_i32_b32_e32 v29, v29
	s_delay_alu instid0(VALU_DEP_1)
	v_cmp_lt_u32_e32 vcc_lo, v82, v29
	v_cndmask_b32_e32 v6, v6, v9, vcc_lo
	ds_bpermute_b32 v9, v93, v6
	s_waitcnt lgkmcnt(0)
	v_add_nc_u32_e32 v9, v6, v9
	v_cndmask_b32_e32 v7, v7, v28, vcc_lo
	v_cmp_gt_u32_e32 vcc_lo, v94, v29
	s_delay_alu instid0(VALU_DEP_3)
	v_cndmask_b32_e32 v6, v9, v6, vcc_lo
	ds_bpermute_b32 v28, v93, v7
	ds_bpermute_b32 v9, v95, v6
	s_waitcnt lgkmcnt(1)
	v_add_nc_u32_e32 v28, v7, v28
	s_waitcnt lgkmcnt(0)
	v_add_nc_u32_e32 v9, v6, v9
	s_delay_alu instid0(VALU_DEP_2) | instskip(SKIP_1) | instid1(VALU_DEP_3)
	v_cndmask_b32_e32 v7, v28, v7, vcc_lo
	v_cmp_gt_u32_e32 vcc_lo, v96, v29
	v_cndmask_b32_e32 v6, v9, v6, vcc_lo
	ds_bpermute_b32 v28, v95, v7
	ds_bpermute_b32 v9, v97, v6
	s_waitcnt lgkmcnt(1)
	v_add_nc_u32_e32 v28, v7, v28
	s_waitcnt lgkmcnt(0)
	v_add_nc_u32_e32 v9, v6, v9
	s_delay_alu instid0(VALU_DEP_2) | instskip(SKIP_1) | instid1(VALU_DEP_3)
	v_cndmask_b32_e32 v7, v28, v7, vcc_lo
	v_cmp_gt_u32_e32 vcc_lo, v98, v29
	v_cndmask_b32_e32 v6, v9, v6, vcc_lo
	ds_bpermute_b32 v28, v97, v7
	ds_bpermute_b32 v9, v99, v6
	s_waitcnt lgkmcnt(1)
	v_add_nc_u32_e32 v28, v7, v28
	s_delay_alu instid0(VALU_DEP_1) | instskip(SKIP_4) | instid1(VALU_DEP_1)
	v_cndmask_b32_e32 v7, v28, v7, vcc_lo
	v_cmp_le_u32_e32 vcc_lo, v100, v29
	ds_bpermute_b32 v28, v99, v7
	s_waitcnt lgkmcnt(1)
	v_cndmask_b32_e32 v9, 0, v9, vcc_lo
	v_add3_u32 v6, v6, v26, v9
	s_waitcnt lgkmcnt(0)
	v_cndmask_b32_e32 v28, 0, v28, vcc_lo
	s_delay_alu instid0(VALU_DEP_1)
	v_add3_u32 v7, v7, v27, v28
.LBB1705_107:                           ; =>This Loop Header: Depth=1
                                        ;     Child Loop BB1705_110 Depth 2
	s_delay_alu instid0(VALU_DEP_1) | instskip(SKIP_1) | instid1(VALU_DEP_2)
	v_dual_mov_b32 v27, v7 :: v_dual_and_b32 v8, 0xff, v8
	v_mov_b32_e32 v26, v6
	v_cmp_ne_u16_e32 vcc_lo, 2, v8
	v_cndmask_b32_e64 v8, 0, 1, vcc_lo
	;;#ASMSTART
	;;#ASMEND
	s_delay_alu instid0(VALU_DEP_1)
	v_cmp_ne_u32_e32 vcc_lo, 0, v8
	s_cmp_lg_u32 vcc_lo, exec_lo
	s_cbranch_scc1 .LBB1705_112
; %bb.108:                              ;   in Loop: Header=BB1705_107 Depth=1
	v_lshlrev_b64 v[6:7], 4, v[24:25]
	s_mov_b32 s7, exec_lo
	s_delay_alu instid0(VALU_DEP_1) | instskip(NEXT) | instid1(VALU_DEP_2)
	v_add_co_u32 v28, vcc_lo, s36, v6
	v_add_co_ci_u32_e32 v29, vcc_lo, s37, v7, vcc_lo
	;;#ASMSTART
	global_load_dwordx4 v[6:9], v[28:29] off glc	
s_waitcnt vmcnt(0)
	;;#ASMEND
	v_and_b32_e32 v9, 0xff, v7
	v_and_b32_e32 v101, 0xff00, v7
	v_or3_b32 v6, v6, 0, 0
	v_and_b32_e32 v102, 0xff000000, v7
	v_and_b32_e32 v7, 0xff0000, v7
	s_delay_alu instid0(VALU_DEP_4) | instskip(SKIP_2) | instid1(VALU_DEP_3)
	v_or3_b32 v9, 0, v9, v101
	v_and_b32_e32 v101, 0xff, v8
	v_or3_b32 v6, v6, 0, 0
	v_or3_b32 v7, v9, v7, v102
	s_delay_alu instid0(VALU_DEP_3)
	v_cmpx_eq_u16_e32 0, v101
	s_cbranch_execz .LBB1705_106
; %bb.109:                              ;   in Loop: Header=BB1705_107 Depth=1
	s_mov_b32 s8, 0
.LBB1705_110:                           ;   Parent Loop BB1705_107 Depth=1
                                        ; =>  This Inner Loop Header: Depth=2
	;;#ASMSTART
	global_load_dwordx4 v[6:9], v[28:29] off glc	
s_waitcnt vmcnt(0)
	;;#ASMEND
	v_and_b32_e32 v9, 0xff, v8
	s_delay_alu instid0(VALU_DEP_1) | instskip(SKIP_1) | instid1(SALU_CYCLE_1)
	v_cmp_ne_u16_e32 vcc_lo, 0, v9
	s_or_b32 s8, vcc_lo, s8
	s_and_not1_b32 exec_lo, exec_lo, s8
	s_cbranch_execnz .LBB1705_110
; %bb.111:                              ;   in Loop: Header=BB1705_107 Depth=1
	s_or_b32 exec_lo, exec_lo, s8
	s_branch .LBB1705_106
.LBB1705_112:                           ;   in Loop: Header=BB1705_107 Depth=1
                                        ; implicit-def: $vgpr8
                                        ; implicit-def: $vgpr6_vgpr7
	s_cbranch_execz .LBB1705_107
; %bb.113:
	s_and_saveexec_b32 s7, s3
	s_cbranch_execnz .LBB1705_356
; %bb.114:
	s_or_b32 exec_lo, exec_lo, s7
	s_and_saveexec_b32 s7, s3
	s_cbranch_execnz .LBB1705_357
.LBB1705_115:
	s_or_b32 exec_lo, exec_lo, s7
	s_delay_alu instid0(SALU_CYCLE_1)
	s_and_b32 exec_lo, exec_lo, s2
	s_cbranch_execz .LBB1705_117
.LBB1705_116:
	v_mov_b32_e32 v5, 0
	ds_store_b64 v5, v[26:27] offset:56
.LBB1705_117:
	s_or_b32 exec_lo, exec_lo, s5
	s_waitcnt lgkmcnt(1)
	v_cndmask_b32_e64 v22, v89, v22, s3
	v_mov_b32_e32 v5, 0
	s_waitcnt lgkmcnt(0)
	s_barrier
	buffer_gl0_inv
	v_add_nc_u32_e64 v7, 0x3400, 0
	ds_load_b64 v[24:25], v5 offset:56
	s_waitcnt lgkmcnt(0)
	s_barrier
	buffer_gl0_inv
	ds_load_2addr_b32 v[5:6], v7 offset1:2
	ds_load_2addr_b32 v[7:8], v7 offset0:4 offset1:6
	v_cndmask_b32_e64 v9, v90, v23, s3
	v_add_nc_u32_e32 v22, v24, v22
	s_delay_alu instid0(VALU_DEP_2) | instskip(NEXT) | instid1(VALU_DEP_2)
	v_add_nc_u32_e32 v9, v25, v9
	v_cndmask_b32_e64 v22, v22, v24, s2
	s_delay_alu instid0(VALU_DEP_2)
	v_cndmask_b32_e64 v9, v9, v25, s2
	s_branch .LBB1705_128
.LBB1705_118:
                                        ; implicit-def: $vgpr9
                                        ; implicit-def: $vgpr7
                                        ; implicit-def: $vgpr5
                                        ; implicit-def: $vgpr22_vgpr23
	s_and_b32 vcc_lo, exec_lo, s5
	s_cbranch_vccz .LBB1705_128
; %bb.119:
	s_waitcnt lgkmcnt(1)
	v_mov_b32_dpp v6, v88 row_shr:1 row_mask:0xf bank_mask:0xf
	v_cmp_lt_u32_e32 vcc_lo, 3, v86
	v_mov_b32_dpp v5, v87 row_shr:1 row_mask:0xf bank_mask:0xf
	s_delay_alu instid0(VALU_DEP_3) | instskip(NEXT) | instid1(VALU_DEP_1)
	v_add_nc_u32_e32 v6, v6, v88
	v_cndmask_b32_e64 v6, v6, v88, s1
	s_waitcnt lgkmcnt(0)
	s_delay_alu instid0(VALU_DEP_1) | instskip(NEXT) | instid1(VALU_DEP_1)
	v_mov_b32_dpp v8, v6 row_shr:2 row_mask:0xf bank_mask:0xf
	v_add_nc_u32_e32 v8, v6, v8
	s_delay_alu instid0(VALU_DEP_1) | instskip(NEXT) | instid1(VALU_DEP_1)
	v_cndmask_b32_e64 v6, v6, v8, s0
	v_mov_b32_dpp v8, v6 row_shr:4 row_mask:0xf bank_mask:0xf
	s_delay_alu instid0(VALU_DEP_1) | instskip(NEXT) | instid1(VALU_DEP_1)
	v_add_nc_u32_e32 v8, v6, v8
	v_dual_cndmask_b32 v6, v6, v8 :: v_dual_add_nc_u32 v5, v5, v87
	s_delay_alu instid0(VALU_DEP_1) | instskip(NEXT) | instid1(VALU_DEP_2)
	v_cndmask_b32_e64 v5, v5, v87, s1
	v_mov_b32_dpp v8, v6 row_shr:8 row_mask:0xf bank_mask:0xf
	s_delay_alu instid0(VALU_DEP_2) | instskip(NEXT) | instid1(VALU_DEP_2)
	v_mov_b32_dpp v7, v5 row_shr:2 row_mask:0xf bank_mask:0xf
	v_add_nc_u32_e32 v8, v6, v8
	s_delay_alu instid0(VALU_DEP_2) | instskip(NEXT) | instid1(VALU_DEP_1)
	v_add_nc_u32_e32 v7, v5, v7
	v_cndmask_b32_e64 v5, v5, v7, s0
	s_mov_b32 s0, exec_lo
	s_delay_alu instid0(VALU_DEP_1) | instskip(NEXT) | instid1(VALU_DEP_1)
	v_mov_b32_dpp v7, v5 row_shr:4 row_mask:0xf bank_mask:0xf
	v_add_nc_u32_e32 v7, v5, v7
	s_delay_alu instid0(VALU_DEP_1) | instskip(SKIP_1) | instid1(VALU_DEP_2)
	v_cndmask_b32_e32 v5, v5, v7, vcc_lo
	v_cmp_lt_u32_e32 vcc_lo, 7, v86
	v_mov_b32_dpp v7, v5 row_shr:8 row_mask:0xf bank_mask:0xf
	s_delay_alu instid0(VALU_DEP_1) | instskip(NEXT) | instid1(VALU_DEP_1)
	v_dual_cndmask_b32 v6, v6, v8 :: v_dual_add_nc_u32 v7, v5, v7
	v_cndmask_b32_e32 v5, v5, v7, vcc_lo
	ds_swizzle_b32 v7, v6 offset:swizzle(BROADCAST,32,15)
	v_cmp_eq_u32_e32 vcc_lo, 0, v85
	ds_swizzle_b32 v8, v5 offset:swizzle(BROADCAST,32,15)
	s_waitcnt lgkmcnt(1)
	v_add_nc_u32_e32 v7, v6, v7
	s_waitcnt lgkmcnt(0)
	v_add_nc_u32_e32 v8, v5, v8
	s_delay_alu instid0(VALU_DEP_1)
	v_dual_cndmask_b32 v6, v7, v6 :: v_dual_cndmask_b32 v5, v8, v5
	v_cmpx_eq_u32_e64 v84, v0
	s_cbranch_execz .LBB1705_121
; %bb.120:
	v_lshlrev_b32_e32 v7, 3, v83
	ds_store_b64 v7, v[5:6]
.LBB1705_121:
	s_or_b32 exec_lo, exec_lo, s0
	s_delay_alu instid0(SALU_CYCLE_1)
	s_mov_b32 s0, exec_lo
	s_waitcnt lgkmcnt(0)
	s_barrier
	buffer_gl0_inv
	v_cmpx_gt_u32_e32 8, v0
	s_cbranch_execz .LBB1705_123
; %bb.122:
	v_lshlrev_b32_e32 v9, 3, v0
	ds_load_b64 v[7:8], v9
	s_waitcnt lgkmcnt(0)
	v_mov_b32_dpp v22, v7 row_shr:1 row_mask:0xf bank_mask:0xf
	v_mov_b32_dpp v23, v8 row_shr:1 row_mask:0xf bank_mask:0xf
	s_delay_alu instid0(VALU_DEP_2) | instskip(SKIP_1) | instid1(VALU_DEP_3)
	v_add_nc_u32_e32 v22, v22, v7
	v_and_b32_e32 v24, 7, v82
	v_add_nc_u32_e32 v23, v23, v8
	s_delay_alu instid0(VALU_DEP_2) | instskip(NEXT) | instid1(VALU_DEP_2)
	v_cmp_eq_u32_e32 vcc_lo, 0, v24
	v_dual_cndmask_b32 v8, v23, v8 :: v_dual_cndmask_b32 v7, v22, v7
	v_cmp_lt_u32_e32 vcc_lo, 1, v24
	s_delay_alu instid0(VALU_DEP_2) | instskip(NEXT) | instid1(VALU_DEP_3)
	v_mov_b32_dpp v23, v8 row_shr:2 row_mask:0xf bank_mask:0xf
	v_mov_b32_dpp v22, v7 row_shr:2 row_mask:0xf bank_mask:0xf
	s_delay_alu instid0(VALU_DEP_2) | instskip(NEXT) | instid1(VALU_DEP_2)
	v_add_nc_u32_e32 v23, v8, v23
	v_add_nc_u32_e32 v22, v7, v22
	s_delay_alu instid0(VALU_DEP_1) | instskip(SKIP_1) | instid1(VALU_DEP_2)
	v_dual_cndmask_b32 v8, v8, v23 :: v_dual_cndmask_b32 v7, v7, v22
	v_cmp_lt_u32_e32 vcc_lo, 3, v24
	v_mov_b32_dpp v23, v8 row_shr:4 row_mask:0xf bank_mask:0xf
	s_delay_alu instid0(VALU_DEP_3) | instskip(NEXT) | instid1(VALU_DEP_1)
	v_mov_b32_dpp v22, v7 row_shr:4 row_mask:0xf bank_mask:0xf
	v_dual_cndmask_b32 v23, 0, v23 :: v_dual_cndmask_b32 v22, 0, v22
	s_delay_alu instid0(VALU_DEP_1) | instskip(NEXT) | instid1(VALU_DEP_2)
	v_add_nc_u32_e32 v8, v23, v8
	v_add_nc_u32_e32 v7, v22, v7
	ds_store_b64 v9, v[7:8]
.LBB1705_123:
	s_or_b32 exec_lo, exec_lo, s0
	v_dual_mov_b32 v7, 0 :: v_dual_mov_b32 v22, 0
	v_mov_b32_e32 v23, 0
	s_mov_b32 s0, exec_lo
	s_waitcnt lgkmcnt(0)
	s_barrier
	buffer_gl0_inv
	v_cmpx_lt_u32_e32 31, v0
	s_cbranch_execz .LBB1705_125
; %bb.124:
	v_lshl_add_u32 v8, v83, 3, -8
	ds_load_b64 v[22:23], v8
.LBB1705_125:
	s_or_b32 exec_lo, exec_lo, s0
	v_add_nc_u32_e32 v8, -1, v82
	s_waitcnt lgkmcnt(0)
	v_add_nc_u32_e32 v24, v23, v6
	v_add_nc_u32_e32 v9, v22, v5
	ds_load_b64 v[5:6], v7 offset:56
	v_cmp_gt_i32_e32 vcc_lo, 0, v8
	v_cndmask_b32_e32 v8, v8, v82, vcc_lo
	s_delay_alu instid0(VALU_DEP_1)
	v_lshlrev_b32_e32 v8, 2, v8
	ds_bpermute_b32 v9, v8, v9
	ds_bpermute_b32 v24, v8, v24
	s_waitcnt lgkmcnt(2)
	v_readfirstlane_b32 s0, v6
	s_and_saveexec_b32 s1, s2
	s_cbranch_execz .LBB1705_127
; %bb.126:
	s_mov_b32 s8, 0
	s_add_u32 s6, s36, 0x200
	s_addc_u32 s7, s37, 0
	s_and_b32 s9, s0, 0xff000000
	s_and_b32 s11, s0, 0xff0000
	s_mov_b32 s10, s8
	v_mov_b32_e32 v26, s7
	s_or_b64 s[10:11], s[10:11], s[8:9]
	s_and_b32 s9, s0, 0xff00
	v_dual_mov_b32 v8, 0 :: v_dual_mov_b32 v25, s6
	s_or_b64 s[10:11], s[10:11], s[8:9]
	s_and_b32 s9, s0, 0xff
	v_mov_b32_e32 v7, 2
	s_or_b64 s[8:9], s[10:11], s[8:9]
	s_delay_alu instid0(SALU_CYCLE_1)
	v_mov_b32_e32 v6, s9
	;;#ASMSTART
	global_store_dwordx4 v[25:26], v[5:8] off	
s_waitcnt vmcnt(0)
	;;#ASMEND
.LBB1705_127:
	s_or_b32 exec_lo, exec_lo, s1
	v_cmp_eq_u32_e32 vcc_lo, 0, v82
	v_dual_mov_b32 v7, 0 :: v_dual_mov_b32 v6, s0
	s_waitcnt lgkmcnt(0)
	s_barrier
	v_dual_cndmask_b32 v8, v9, v22 :: v_dual_cndmask_b32 v9, v24, v23
	buffer_gl0_inv
	v_cndmask_b32_e64 v22, v8, 0, s2
	v_cndmask_b32_e64 v9, v9, 0, s2
	v_mov_b32_e32 v8, 0
.LBB1705_128:
	s_delay_alu instid0(VALU_DEP_1) | instskip(SKIP_1) | instid1(VALU_DEP_2)
	v_add_nc_u32_e32 v24, v9, v81
	s_waitcnt lgkmcnt(0)
	v_sub_nc_u32_e32 v9, v9, v8
	v_add_co_u32 v1, vcc_lo, v1, v7
	v_and_b32_e32 v35, 1, v35
	v_add_nc_u32_e32 v26, v24, v77
	v_sub_nc_u32_e32 v24, v24, v8
	v_lshlrev_b32_e32 v77, 1, v5
	v_add_nc_u32_e32 v9, v9, v5
	v_add_co_ci_u32_e32 v2, vcc_lo, 0, v2, vcc_lo
	v_add_nc_u32_e32 v28, v26, v79
	s_delay_alu instid0(VALU_DEP_4)
	v_add3_u32 v33, v77, v6, v33
	v_and_b32_e32 v40, 1, v40
	v_and_b32_e32 v37, 1, v37
	;; [unrolled: 1-line block ×3, first 2 shown]
	v_add_nc_u32_e32 v29, v28, v75
	v_sub_nc_u32_e32 v28, v28, v8
	v_sub_co_u32 v75, vcc_lo, v3, v5
	s_add_u32 s1, s14, -4
	s_delay_alu instid0(VALU_DEP_3) | instskip(SKIP_4) | instid1(VALU_DEP_3)
	v_add_nc_u32_e32 v73, v29, v73
	v_sub_nc_u32_e32 v29, v29, v8
	v_add_nc_u32_e32 v28, v28, v5
	v_add_nc_u32_e32 v24, v24, v5
	s_mov_b32 s3, -1
	v_add_nc_u32_e32 v29, v29, v5
	v_add_nc_u32_e32 v23, v22, v80
	v_sub_nc_u32_e32 v22, v22, v7
	s_delay_alu instid0(VALU_DEP_2) | instskip(SKIP_3) | instid1(VALU_DEP_3)
	v_add_nc_u32_e32 v25, v23, v76
	v_sub_nc_u32_e32 v23, v23, v7
	v_subrev_co_ci_u32_e32 v76, vcc_lo, 0, v4, vcc_lo
	v_cmp_eq_u32_e32 vcc_lo, 1, v35
	v_add_nc_u32_e32 v79, v24, v23
	s_delay_alu instid0(VALU_DEP_1) | instskip(NEXT) | instid1(VALU_DEP_1)
	v_sub_nc_u32_e32 v79, v33, v79
	v_add_nc_u32_e32 v79, 1, v79
	v_add_nc_u32_e32 v27, v25, v78
	;; [unrolled: 1-line block ×3, first 2 shown]
	s_delay_alu instid0(VALU_DEP_1) | instskip(NEXT) | instid1(VALU_DEP_1)
	v_sub_nc_u32_e32 v78, v33, v78
	v_dual_cndmask_b32 v9, v78, v9 :: v_dual_and_b32 v34, 1, v34
	v_cmp_eq_u32_e32 vcc_lo, 1, v40
	v_cndmask_b32_e32 v24, v79, v24, vcc_lo
	s_delay_alu instid0(VALU_DEP_3) | instskip(NEXT) | instid1(VALU_DEP_4)
	v_cmp_eq_u32_e32 vcc_lo, 1, v34
	v_cndmask_b32_e32 v9, v9, v22, vcc_lo
	v_sub_nc_u32_e32 v26, v26, v8
	v_cmp_eq_u32_e32 vcc_lo, 1, v37
	v_and_b32_e32 v37, 1, v38
	s_delay_alu instid0(VALU_DEP_4) | instskip(NEXT) | instid1(VALU_DEP_4)
	v_lshlrev_b32_e32 v9, 2, v9
	v_add_nc_u32_e32 v26, v26, v5
	v_cndmask_b32_e32 v24, v24, v23, vcc_lo
	v_sub_nc_u32_e32 v25, v25, v7
	v_add_co_u32 v22, vcc_lo, v75, v8
	v_add_co_ci_u32_e32 v23, vcc_lo, 0, v76, vcc_lo
	s_delay_alu instid0(VALU_DEP_3)
	v_add_nc_u32_e32 v34, v26, v25
	v_cmp_eq_u32_e32 vcc_lo, 1, v37
	v_lshlrev_b32_e32 v24, 2, v24
	ds_store_b32 v9, v20
	v_sub_nc_u32_e32 v34, v33, v34
	ds_store_b32 v24, v21
	v_and_b32_e32 v24, 1, v39
	v_add_nc_u32_e32 v34, 2, v34
	s_delay_alu instid0(VALU_DEP_1) | instskip(SKIP_3) | instid1(VALU_DEP_4)
	v_cndmask_b32_e32 v26, v34, v26, vcc_lo
	v_cmp_eq_u32_e32 vcc_lo, 1, v36
	v_add_nc_u32_e32 v74, v27, v74
	v_sub_nc_u32_e32 v27, v27, v7
	v_cndmask_b32_e32 v25, v26, v25, vcc_lo
	s_delay_alu instid0(VALU_DEP_3) | instskip(NEXT) | instid1(VALU_DEP_3)
	v_sub_nc_u32_e32 v37, v74, v7
	v_add_nc_u32_e32 v34, v27, v28
	v_cmp_eq_u32_e32 vcc_lo, 1, v24
	v_sub_nc_u32_e32 v26, v73, v8
	v_lshlrev_b32_e32 v21, 2, v25
	v_and_b32_e32 v25, 1, v41
	v_sub_nc_u32_e32 v9, v33, v34
	v_add_nc_u32_e32 v20, v37, v29
	v_and_b32_e32 v24, 1, v42
	v_add_nc_u32_e32 v26, v26, v5
	ds_store_b32 v21, v18
	v_add_nc_u32_e32 v9, 3, v9
	v_sub_nc_u32_e32 v20, v33, v20
	s_delay_alu instid0(VALU_DEP_2) | instskip(SKIP_2) | instid1(VALU_DEP_4)
	v_cndmask_b32_e32 v9, v9, v28, vcc_lo
	v_cmp_eq_u32_e32 vcc_lo, 1, v25
	v_add_nc_u32_e32 v72, v74, v72
	v_add_nc_u32_e32 v20, 4, v20
	v_and_b32_e32 v25, 1, v43
	v_cndmask_b32_e32 v9, v9, v27, vcc_lo
	s_delay_alu instid0(VALU_DEP_4)
	v_sub_nc_u32_e32 v28, v72, v7
	v_cmp_eq_u32_e32 vcc_lo, 1, v24
	v_and_b32_e32 v24, 1, v44
	v_add_nc_u32_e32 v70, v72, v70
	v_lshlrev_b32_e32 v9, 2, v9
	v_add_nc_u32_e32 v27, v28, v26
	v_cndmask_b32_e32 v20, v20, v29, vcc_lo
	v_cmp_eq_u32_e32 vcc_lo, 1, v25
	v_and_b32_e32 v25, 1, v45
	v_add_nc_u32_e32 v64, v70, v64
	v_sub_nc_u32_e32 v18, v33, v27
	v_sub_nc_u32_e32 v27, v70, v7
	v_cndmask_b32_e32 v20, v20, v37, vcc_lo
	v_cmp_eq_u32_e32 vcc_lo, 1, v24
	ds_store_b32 v9, v19
	v_add_nc_u32_e32 v18, 5, v18
	v_and_b32_e32 v19, 1, v46
	v_lshlrev_b32_e32 v20, 2, v20
	v_add_nc_u32_e32 v68, v64, v68
	s_delay_alu instid0(VALU_DEP_4)
	v_cndmask_b32_e32 v18, v18, v26, vcc_lo
	v_cmp_eq_u32_e32 vcc_lo, 1, v25
	v_sub_nc_u32_e32 v25, v64, v7
	ds_store_b32 v20, v16
	v_and_b32_e32 v20, 1, v49
	v_add_nc_u32_e32 v66, v68, v66
	v_dual_cndmask_b32 v18, v18, v28 :: v_dual_add_nc_u32 v71, v73, v71
	v_cmp_eq_u32_e32 vcc_lo, 1, v19
	v_and_b32_e32 v19, 1, v48
	s_delay_alu instid0(VALU_DEP_4) | instskip(NEXT) | instid1(VALU_DEP_4)
	v_add_nc_u32_e32 v61, v66, v61
	v_lshlrev_b32_e32 v18, 2, v18
	v_add_nc_u32_e32 v65, v71, v65
	v_sub_nc_u32_e32 v21, v71, v8
	s_delay_alu instid0(VALU_DEP_4)
	v_add_nc_u32_e32 v60, v61, v60
	ds_store_b32 v18, v17
	v_sub_nc_u32_e32 v24, v65, v8
	v_add_nc_u32_e32 v21, v21, v5
	v_add_nc_u32_e32 v69, v65, v69
	v_and_b32_e32 v17, 1, v47
	s_delay_alu instid0(VALU_DEP_4) | instskip(NEXT) | instid1(VALU_DEP_4)
	v_add_nc_u32_e32 v24, v24, v5
	v_add_nc_u32_e32 v26, v27, v21
	s_delay_alu instid0(VALU_DEP_4) | instskip(NEXT) | instid1(VALU_DEP_3)
	v_sub_nc_u32_e32 v18, v69, v8
	v_add_nc_u32_e32 v16, v25, v24
	s_delay_alu instid0(VALU_DEP_3) | instskip(NEXT) | instid1(VALU_DEP_3)
	v_sub_nc_u32_e32 v9, v33, v26
	v_add_nc_u32_e32 v18, v18, v5
	v_sub_nc_u32_e32 v26, v60, v7
	s_delay_alu instid0(VALU_DEP_4) | instskip(NEXT) | instid1(VALU_DEP_4)
	v_sub_nc_u32_e32 v16, v33, v16
	v_add_nc_u32_e32 v9, 6, v9
	s_delay_alu instid0(VALU_DEP_1) | instskip(SKIP_2) | instid1(VALU_DEP_3)
	v_dual_cndmask_b32 v9, v9, v21 :: v_dual_add_nc_u32 v16, 7, v16
	v_cmp_eq_u32_e32 vcc_lo, 1, v19
	v_sub_nc_u32_e32 v21, v68, v7
	v_cndmask_b32_e32 v16, v16, v24, vcc_lo
	v_cmp_eq_u32_e32 vcc_lo, 1, v17
	s_delay_alu instid0(VALU_DEP_3) | instskip(SKIP_3) | instid1(VALU_DEP_4)
	v_add_nc_u32_e32 v17, v21, v18
	v_cndmask_b32_e32 v9, v9, v27, vcc_lo
	v_cmp_eq_u32_e32 vcc_lo, 1, v20
	v_add_nc_u32_e32 v67, v69, v67
	v_sub_nc_u32_e32 v17, v33, v17
	v_sub_nc_u32_e32 v20, v66, v7
	v_lshlrev_b32_e32 v9, 2, v9
	v_cndmask_b32_e32 v16, v16, v25, vcc_lo
	v_sub_nc_u32_e32 v19, v67, v8
	v_add_nc_u32_e32 v62, v67, v62
	v_sub_nc_u32_e32 v25, v61, v7
	ds_store_b32 v9, v14
	v_and_b32_e32 v9, 1, v50
	v_add_nc_u32_e32 v19, v19, v5
	v_add_nc_u32_e32 v14, 8, v17
	v_lshlrev_b32_e32 v16, 2, v16
	v_add_nc_u32_e32 v63, v62, v63
	v_cmp_eq_u32_e32 vcc_lo, 1, v9
	v_add_nc_u32_e32 v17, v20, v19
	ds_store_b32 v16, v15
	v_and_b32_e32 v15, 1, v51
	v_cndmask_b32_e32 v9, v14, v18, vcc_lo
	v_sub_nc_u32_e32 v14, v33, v17
	v_and_b32_e32 v18, 1, v52
	v_sub_nc_u32_e32 v17, v62, v8
	v_and_b32_e32 v16, 1, v54
	v_sub_nc_u32_e32 v24, v63, v8
	v_add_nc_u32_e32 v14, 9, v14
	v_cmp_eq_u32_e32 vcc_lo, 1, v18
	v_add_nc_u32_e32 v17, v17, v5
	v_add_nc_u32_e32 v35, v63, v59
	;; [unrolled: 1-line block ×3, first 2 shown]
	v_cndmask_b32_e32 v14, v14, v19, vcc_lo
	v_cmp_eq_u32_e32 vcc_lo, 1, v15
	v_add_nc_u32_e32 v15, v25, v17
	s_delay_alu instid0(VALU_DEP_4)
	v_add_nc_u32_e32 v18, v26, v24
	v_and_b32_e32 v19, 1, v55
	v_cndmask_b32_e32 v9, v9, v21, vcc_lo
	v_cmp_eq_u32_e32 vcc_lo, 1, v16
	v_sub_nc_u32_e32 v15, v33, v15
	v_sub_nc_u32_e32 v18, v33, v18
	v_and_b32_e32 v21, 1, v57
	v_sub_nc_u32_e32 v16, v35, v8
	v_cndmask_b32_e32 v14, v14, v20, vcc_lo
	v_and_b32_e32 v20, 1, v53
	v_add_nc_u32_e32 v15, 10, v15
	v_add_nc_u32_e32 v18, 11, v18
	;; [unrolled: 1-line block ×3, first 2 shown]
	v_lshlrev_b32_e32 v9, 2, v9
	v_cmp_eq_u32_e32 vcc_lo, 1, v20
	v_dual_cndmask_b32 v15, v15, v17 :: v_dual_lshlrev_b32 v14, 2, v14
	v_cmp_eq_u32_e32 vcc_lo, 1, v21
	v_and_b32_e32 v17, 1, v56
	v_cndmask_b32_e32 v18, v18, v24, vcc_lo
	v_cmp_eq_u32_e32 vcc_lo, 1, v19
	v_cndmask_b32_e32 v15, v15, v25, vcc_lo
	s_delay_alu instid0(VALU_DEP_4) | instskip(NEXT) | instid1(VALU_DEP_2)
	v_cmp_eq_u32_e32 vcc_lo, 1, v17
	v_lshlrev_b32_e32 v15, 2, v15
	v_cndmask_b32_e32 v17, v18, v26, vcc_lo
	v_add_nc_u32_e32 v40, v60, v58
	s_delay_alu instid0(VALU_DEP_2) | instskip(NEXT) | instid1(VALU_DEP_2)
	v_lshlrev_b32_e32 v17, 2, v17
	v_sub_nc_u32_e32 v7, v40, v7
	ds_store_b32 v9, v12
	ds_store_b32 v14, v13
	;; [unrolled: 1-line block ×4, first 2 shown]
	v_add_co_u32 v9, s0, v6, v77
	s_delay_alu instid0(VALU_DEP_1) | instskip(SKIP_1) | instid1(VALU_DEP_3)
	v_add_co_ci_u32_e64 v10, null, 0, 0, s0
	v_add_nc_u32_e32 v27, v7, v16
	v_add_co_u32 v9, vcc_lo, v9, v22
	s_delay_alu instid0(VALU_DEP_3) | instskip(NEXT) | instid1(VALU_DEP_3)
	v_add_co_ci_u32_e32 v10, vcc_lo, v10, v23, vcc_lo
	v_sub_nc_u32_e32 v20, v33, v27
	v_add_co_u32 v11, s0, s34, v30
	s_delay_alu instid0(VALU_DEP_4) | instskip(NEXT) | instid1(VALU_DEP_3)
	v_add_co_u32 v9, vcc_lo, v9, v1
	v_add_nc_u32_e32 v18, 12, v20
	v_add_co_ci_u32_e64 v12, null, s35, 0, s0
	v_add_co_ci_u32_e32 v10, vcc_lo, v10, v2, vcc_lo
	s_delay_alu instid0(VALU_DEP_3) | instskip(SKIP_1) | instid1(VALU_DEP_2)
	v_cndmask_b32_e64 v16, v18, v16, s33
	v_add_nc_u32_e32 v14, v5, v6
	v_cndmask_b32_e64 v7, v16, v7, s27
	s_delay_alu instid0(VALU_DEP_1)
	v_lshlrev_b32_e32 v7, 2, v7
	ds_store_b32 v7, v32
	v_sub_co_u32 v7, vcc_lo, v11, v9
	v_sub_co_ci_u32_e32 v13, vcc_lo, v12, v10, vcc_lo
	v_lshlrev_b64 v[9:10], 2, v[22:23]
	v_lshlrev_b64 v[11:12], 2, v[1:2]
	s_waitcnt lgkmcnt(0)
	s_barrier
	buffer_gl0_inv
	v_add_co_u32 v9, vcc_lo, s30, v9
	v_add_co_ci_u32_e32 v10, vcc_lo, s31, v10, vcc_lo
	v_cmp_ne_u32_e32 vcc_lo, 1, v31
	v_add_co_u32 v11, s0, s28, v11
	s_delay_alu instid0(VALU_DEP_1)
	v_add_co_ci_u32_e64 v12, s0, s29, v12, s0
	s_addc_u32 s0, s15, -1
	s_cbranch_vccz .LBB1705_132
; %bb.129:
	s_and_b32 vcc_lo, exec_lo, s3
	s_cbranch_vccnz .LBB1705_237
.LBB1705_130:
	s_and_b32 s0, s2, s13
	s_delay_alu instid0(SALU_CYCLE_1)
	s_and_saveexec_b32 s1, s0
	s_cbranch_execnz .LBB1705_355
.LBB1705_131:
	s_nop 0
	s_sendmsg sendmsg(MSG_DEALLOC_VGPRS)
	s_endpgm
.LBB1705_132:
	s_mov_b32 s3, exec_lo
	v_cmpx_le_u32_e64 v5, v0
	s_xor_b32 s3, exec_lo, s3
	s_cbranch_execz .LBB1705_138
; %bb.133:
	s_mov_b32 s5, exec_lo
	v_cmpx_le_u32_e64 v14, v0
	s_xor_b32 s5, exec_lo, s5
	s_cbranch_execz .LBB1705_135
; %bb.134:
	v_lshlrev_b32_e32 v15, 2, v0
	ds_load_b32 v17, v15
	v_add_co_u32 v15, vcc_lo, v7, v0
	v_add_co_ci_u32_e32 v16, vcc_lo, 0, v13, vcc_lo
	s_delay_alu instid0(VALU_DEP_1) | instskip(NEXT) | instid1(VALU_DEP_1)
	v_lshlrev_b64 v[15:16], 2, v[15:16]
	v_sub_co_u32 v15, vcc_lo, s14, v15
	s_delay_alu instid0(VALU_DEP_2)
	v_sub_co_ci_u32_e32 v16, vcc_lo, s15, v16, vcc_lo
	s_waitcnt lgkmcnt(0)
	global_store_b32 v[15:16], v17, off offset:-4
.LBB1705_135:
	s_and_not1_saveexec_b32 s5, s5
	s_cbranch_execz .LBB1705_137
; %bb.136:
	v_lshlrev_b32_e32 v15, 2, v0
	v_readfirstlane_b32 s6, v9
	v_readfirstlane_b32 s7, v10
	ds_load_b32 v16, v15
	s_waitcnt lgkmcnt(0)
	global_store_b32 v15, v16, s[6:7]
.LBB1705_137:
	s_or_b32 exec_lo, exec_lo, s5
.LBB1705_138:
	s_and_not1_saveexec_b32 s3, s3
	s_cbranch_execz .LBB1705_140
; %bb.139:
	v_lshlrev_b32_e32 v15, 2, v0
	v_readfirstlane_b32 s6, v11
	v_readfirstlane_b32 s7, v12
	ds_load_b32 v16, v15
	s_waitcnt lgkmcnt(0)
	global_store_b32 v15, v16, s[6:7]
.LBB1705_140:
	s_or_b32 exec_lo, exec_lo, s3
	v_or_b32_e32 v15, 0x100, v0
	s_mov_b32 s3, exec_lo
	s_delay_alu instid0(VALU_DEP_1)
	v_cmpx_le_u32_e64 v5, v15
	s_xor_b32 s3, exec_lo, s3
	s_cbranch_execz .LBB1705_146
; %bb.141:
	s_mov_b32 s5, exec_lo
	v_cmpx_le_u32_e64 v14, v15
	s_xor_b32 s5, exec_lo, s5
	s_cbranch_execz .LBB1705_143
; %bb.142:
	v_lshlrev_b32_e32 v15, 2, v0
	ds_load_b32 v17, v15 offset:1024
	v_add_co_u32 v15, vcc_lo, v7, v0
	v_add_co_ci_u32_e32 v16, vcc_lo, 0, v13, vcc_lo
	s_delay_alu instid0(VALU_DEP_1) | instskip(NEXT) | instid1(VALU_DEP_1)
	v_lshlrev_b64 v[15:16], 2, v[15:16]
	v_sub_co_u32 v15, vcc_lo, s1, v15
	s_delay_alu instid0(VALU_DEP_2)
	v_sub_co_ci_u32_e32 v16, vcc_lo, s0, v16, vcc_lo
	s_waitcnt lgkmcnt(0)
	global_store_b32 v[15:16], v17, off offset:-1024
.LBB1705_143:
	s_and_not1_saveexec_b32 s5, s5
	s_cbranch_execz .LBB1705_145
; %bb.144:
	v_lshlrev_b32_e32 v15, 2, v0
	v_readfirstlane_b32 s6, v9
	v_readfirstlane_b32 s7, v10
	ds_load_b32 v16, v15 offset:1024
	s_waitcnt lgkmcnt(0)
	global_store_b32 v15, v16, s[6:7] offset:1024
.LBB1705_145:
	s_or_b32 exec_lo, exec_lo, s5
.LBB1705_146:
	s_and_not1_saveexec_b32 s3, s3
	s_cbranch_execz .LBB1705_148
; %bb.147:
	v_lshlrev_b32_e32 v15, 2, v0
	v_readfirstlane_b32 s6, v11
	v_readfirstlane_b32 s7, v12
	ds_load_b32 v16, v15 offset:1024
	s_waitcnt lgkmcnt(0)
	global_store_b32 v15, v16, s[6:7] offset:1024
.LBB1705_148:
	s_or_b32 exec_lo, exec_lo, s3
	v_or_b32_e32 v15, 0x200, v0
	s_mov_b32 s3, exec_lo
	s_delay_alu instid0(VALU_DEP_1)
	v_cmpx_le_u32_e64 v5, v15
	s_xor_b32 s3, exec_lo, s3
	s_cbranch_execz .LBB1705_154
; %bb.149:
	s_mov_b32 s5, exec_lo
	v_cmpx_le_u32_e64 v14, v15
	s_xor_b32 s5, exec_lo, s5
	s_cbranch_execz .LBB1705_151
; %bb.150:
	v_lshlrev_b32_e32 v15, 2, v0
	ds_load_b32 v17, v15 offset:2048
	v_add_co_u32 v15, vcc_lo, v7, v0
	v_add_co_ci_u32_e32 v16, vcc_lo, 0, v13, vcc_lo
	s_delay_alu instid0(VALU_DEP_1) | instskip(NEXT) | instid1(VALU_DEP_1)
	v_lshlrev_b64 v[15:16], 2, v[15:16]
	v_sub_co_u32 v15, vcc_lo, s1, v15
	s_delay_alu instid0(VALU_DEP_2)
	v_sub_co_ci_u32_e32 v16, vcc_lo, s0, v16, vcc_lo
	s_waitcnt lgkmcnt(0)
	global_store_b32 v[15:16], v17, off offset:-2048
.LBB1705_151:
	s_and_not1_saveexec_b32 s5, s5
	s_cbranch_execz .LBB1705_153
; %bb.152:
	v_lshlrev_b32_e32 v15, 2, v0
	v_readfirstlane_b32 s6, v9
	v_readfirstlane_b32 s7, v10
	ds_load_b32 v16, v15 offset:2048
	s_waitcnt lgkmcnt(0)
	global_store_b32 v15, v16, s[6:7] offset:2048
.LBB1705_153:
	s_or_b32 exec_lo, exec_lo, s5
.LBB1705_154:
	s_and_not1_saveexec_b32 s3, s3
	s_cbranch_execz .LBB1705_156
; %bb.155:
	v_lshlrev_b32_e32 v15, 2, v0
	v_readfirstlane_b32 s6, v11
	v_readfirstlane_b32 s7, v12
	ds_load_b32 v16, v15 offset:2048
	s_waitcnt lgkmcnt(0)
	global_store_b32 v15, v16, s[6:7] offset:2048
.LBB1705_156:
	;; [unrolled: 47-line block ×3, first 2 shown]
	s_or_b32 exec_lo, exec_lo, s3
	v_or_b32_e32 v15, 0x400, v0
	s_mov_b32 s3, exec_lo
	s_delay_alu instid0(VALU_DEP_1)
	v_cmpx_le_u32_e64 v5, v15
	s_xor_b32 s3, exec_lo, s3
	s_cbranch_execz .LBB1705_170
; %bb.165:
	s_mov_b32 s5, exec_lo
	v_cmpx_le_u32_e64 v14, v15
	s_xor_b32 s5, exec_lo, s5
	s_cbranch_execz .LBB1705_167
; %bb.166:
	v_lshlrev_b32_e32 v15, 2, v0
	ds_load_b32 v17, v15 offset:4096
	v_add_co_u32 v15, vcc_lo, v7, v0
	v_add_co_ci_u32_e32 v16, vcc_lo, 0, v13, vcc_lo
	s_delay_alu instid0(VALU_DEP_1) | instskip(NEXT) | instid1(VALU_DEP_1)
	v_lshlrev_b64 v[15:16], 2, v[15:16]
	v_sub_co_u32 v15, vcc_lo, s1, v15
	s_delay_alu instid0(VALU_DEP_2)
	v_sub_co_ci_u32_e32 v16, vcc_lo, s0, v16, vcc_lo
	s_waitcnt lgkmcnt(0)
	global_store_b32 v[15:16], v17, off offset:-4096
                                        ; implicit-def: $vgpr15
.LBB1705_167:
	s_and_not1_saveexec_b32 s5, s5
	s_cbranch_execz .LBB1705_169
; %bb.168:
	v_lshlrev_b32_e32 v16, 2, v0
	v_lshlrev_b32_e32 v15, 2, v15
	v_readfirstlane_b32 s6, v9
	v_readfirstlane_b32 s7, v10
	ds_load_b32 v16, v16 offset:4096
	s_waitcnt lgkmcnt(0)
	global_store_b32 v15, v16, s[6:7]
.LBB1705_169:
	s_or_b32 exec_lo, exec_lo, s5
                                        ; implicit-def: $vgpr15
.LBB1705_170:
	s_and_not1_saveexec_b32 s3, s3
	s_cbranch_execz .LBB1705_172
; %bb.171:
	v_lshlrev_b32_e32 v16, 2, v0
	v_lshlrev_b32_e32 v15, 2, v15
	v_readfirstlane_b32 s6, v11
	v_readfirstlane_b32 s7, v12
	ds_load_b32 v16, v16 offset:4096
	s_waitcnt lgkmcnt(0)
	global_store_b32 v15, v16, s[6:7]
.LBB1705_172:
	s_or_b32 exec_lo, exec_lo, s3
	v_or_b32_e32 v15, 0x500, v0
	s_mov_b32 s3, exec_lo
	s_delay_alu instid0(VALU_DEP_1)
	v_cmpx_le_u32_e64 v5, v15
	s_xor_b32 s3, exec_lo, s3
	s_cbranch_execz .LBB1705_178
; %bb.173:
	s_mov_b32 s5, exec_lo
	v_cmpx_le_u32_e64 v14, v15
	s_xor_b32 s5, exec_lo, s5
	s_cbranch_execz .LBB1705_175
; %bb.174:
	v_lshlrev_b32_e32 v16, 2, v0
	v_add_co_u32 v15, vcc_lo, v7, v15
	ds_load_b32 v17, v16 offset:5120
	v_add_co_ci_u32_e32 v16, vcc_lo, 0, v13, vcc_lo
	s_delay_alu instid0(VALU_DEP_1) | instskip(NEXT) | instid1(VALU_DEP_1)
	v_lshlrev_b64 v[15:16], 2, v[15:16]
	v_sub_co_u32 v15, vcc_lo, s1, v15
	s_delay_alu instid0(VALU_DEP_2)
	v_sub_co_ci_u32_e32 v16, vcc_lo, s0, v16, vcc_lo
	s_waitcnt lgkmcnt(0)
	global_store_b32 v[15:16], v17, off
                                        ; implicit-def: $vgpr15
.LBB1705_175:
	s_and_not1_saveexec_b32 s5, s5
	s_cbranch_execz .LBB1705_177
; %bb.176:
	v_lshlrev_b32_e32 v16, 2, v0
	v_lshlrev_b32_e32 v15, 2, v15
	v_readfirstlane_b32 s6, v9
	v_readfirstlane_b32 s7, v10
	ds_load_b32 v16, v16 offset:5120
	s_waitcnt lgkmcnt(0)
	global_store_b32 v15, v16, s[6:7]
.LBB1705_177:
	s_or_b32 exec_lo, exec_lo, s5
                                        ; implicit-def: $vgpr15
.LBB1705_178:
	s_and_not1_saveexec_b32 s3, s3
	s_cbranch_execz .LBB1705_180
; %bb.179:
	v_lshlrev_b32_e32 v16, 2, v0
	v_lshlrev_b32_e32 v15, 2, v15
	v_readfirstlane_b32 s6, v11
	v_readfirstlane_b32 s7, v12
	ds_load_b32 v16, v16 offset:5120
	s_waitcnt lgkmcnt(0)
	global_store_b32 v15, v16, s[6:7]
.LBB1705_180:
	s_or_b32 exec_lo, exec_lo, s3
	v_or_b32_e32 v15, 0x600, v0
	s_mov_b32 s3, exec_lo
	s_delay_alu instid0(VALU_DEP_1)
	v_cmpx_le_u32_e64 v5, v15
	s_xor_b32 s3, exec_lo, s3
	s_cbranch_execz .LBB1705_186
; %bb.181:
	s_mov_b32 s5, exec_lo
	v_cmpx_le_u32_e64 v14, v15
	s_xor_b32 s5, exec_lo, s5
	s_cbranch_execz .LBB1705_183
; %bb.182:
	v_lshlrev_b32_e32 v16, 2, v0
	v_add_co_u32 v15, vcc_lo, v7, v15
	ds_load_b32 v17, v16 offset:6144
	v_add_co_ci_u32_e32 v16, vcc_lo, 0, v13, vcc_lo
	s_delay_alu instid0(VALU_DEP_1) | instskip(NEXT) | instid1(VALU_DEP_1)
	v_lshlrev_b64 v[15:16], 2, v[15:16]
	v_sub_co_u32 v15, vcc_lo, s1, v15
	s_delay_alu instid0(VALU_DEP_2)
	v_sub_co_ci_u32_e32 v16, vcc_lo, s0, v16, vcc_lo
	s_waitcnt lgkmcnt(0)
	global_store_b32 v[15:16], v17, off
                                        ; implicit-def: $vgpr15
.LBB1705_183:
	s_and_not1_saveexec_b32 s5, s5
	s_cbranch_execz .LBB1705_185
; %bb.184:
	v_lshlrev_b32_e32 v16, 2, v0
	v_lshlrev_b32_e32 v15, 2, v15
	v_readfirstlane_b32 s6, v9
	v_readfirstlane_b32 s7, v10
	ds_load_b32 v16, v16 offset:6144
	s_waitcnt lgkmcnt(0)
	global_store_b32 v15, v16, s[6:7]
.LBB1705_185:
	s_or_b32 exec_lo, exec_lo, s5
                                        ; implicit-def: $vgpr15
.LBB1705_186:
	;; [unrolled: 51-line block ×8, first 2 shown]
	s_and_not1_saveexec_b32 s3, s3
	s_cbranch_execz .LBB1705_236
; %bb.235:
	v_lshlrev_b32_e32 v16, 2, v0
	v_lshlrev_b32_e32 v15, 2, v15
	v_readfirstlane_b32 s6, v11
	v_readfirstlane_b32 s7, v12
	ds_load_b32 v16, v16 offset:12288
	s_waitcnt lgkmcnt(0)
	global_store_b32 v15, v16, s[6:7]
.LBB1705_236:
	s_or_b32 exec_lo, exec_lo, s3
	s_branch .LBB1705_130
.LBB1705_237:
	s_mov_b32 s3, exec_lo
	v_cmpx_gt_u32_e64 s4, v0
	s_cbranch_execz .LBB1705_246
; %bb.238:
	s_mov_b32 s5, exec_lo
	v_cmpx_le_u32_e64 v5, v0
	s_xor_b32 s5, exec_lo, s5
	s_cbranch_execz .LBB1705_244
; %bb.239:
	s_mov_b32 s6, exec_lo
	v_cmpx_le_u32_e64 v14, v0
	s_xor_b32 s6, exec_lo, s6
	s_cbranch_execz .LBB1705_241
; %bb.240:
	v_lshlrev_b32_e32 v15, 2, v0
	ds_load_b32 v17, v15
	v_add_co_u32 v15, vcc_lo, v7, v0
	v_add_co_ci_u32_e32 v16, vcc_lo, 0, v13, vcc_lo
	s_delay_alu instid0(VALU_DEP_1) | instskip(NEXT) | instid1(VALU_DEP_1)
	v_lshlrev_b64 v[15:16], 2, v[15:16]
	v_sub_co_u32 v15, vcc_lo, s14, v15
	s_delay_alu instid0(VALU_DEP_2)
	v_sub_co_ci_u32_e32 v16, vcc_lo, s15, v16, vcc_lo
	s_waitcnt lgkmcnt(0)
	global_store_b32 v[15:16], v17, off offset:-4
.LBB1705_241:
	s_and_not1_saveexec_b32 s6, s6
	s_cbranch_execz .LBB1705_243
; %bb.242:
	v_lshlrev_b32_e32 v15, 2, v0
	v_readfirstlane_b32 s8, v9
	v_readfirstlane_b32 s9, v10
	ds_load_b32 v16, v15
	s_waitcnt lgkmcnt(0)
	global_store_b32 v15, v16, s[8:9]
.LBB1705_243:
	s_or_b32 exec_lo, exec_lo, s6
.LBB1705_244:
	s_and_not1_saveexec_b32 s5, s5
	s_cbranch_execz .LBB1705_246
; %bb.245:
	v_lshlrev_b32_e32 v15, 2, v0
	v_readfirstlane_b32 s6, v11
	v_readfirstlane_b32 s7, v12
	ds_load_b32 v16, v15
	s_waitcnt lgkmcnt(0)
	global_store_b32 v15, v16, s[6:7]
.LBB1705_246:
	s_or_b32 exec_lo, exec_lo, s3
	v_or_b32_e32 v15, 0x100, v0
	s_mov_b32 s3, exec_lo
	s_delay_alu instid0(VALU_DEP_1)
	v_cmpx_gt_u32_e64 s4, v15
	s_cbranch_execz .LBB1705_255
; %bb.247:
	s_mov_b32 s5, exec_lo
	v_cmpx_le_u32_e64 v5, v15
	s_xor_b32 s5, exec_lo, s5
	s_cbranch_execz .LBB1705_253
; %bb.248:
	s_mov_b32 s6, exec_lo
	v_cmpx_le_u32_e64 v14, v15
	s_xor_b32 s6, exec_lo, s6
	s_cbranch_execz .LBB1705_250
; %bb.249:
	v_lshlrev_b32_e32 v15, 2, v0
	ds_load_b32 v17, v15 offset:1024
	v_add_co_u32 v15, vcc_lo, v7, v0
	v_add_co_ci_u32_e32 v16, vcc_lo, 0, v13, vcc_lo
	s_delay_alu instid0(VALU_DEP_1) | instskip(NEXT) | instid1(VALU_DEP_1)
	v_lshlrev_b64 v[15:16], 2, v[15:16]
	v_sub_co_u32 v15, vcc_lo, s1, v15
	s_delay_alu instid0(VALU_DEP_2)
	v_sub_co_ci_u32_e32 v16, vcc_lo, s0, v16, vcc_lo
	s_waitcnt lgkmcnt(0)
	global_store_b32 v[15:16], v17, off offset:-1024
.LBB1705_250:
	s_and_not1_saveexec_b32 s6, s6
	s_cbranch_execz .LBB1705_252
; %bb.251:
	v_lshlrev_b32_e32 v15, 2, v0
	v_readfirstlane_b32 s8, v9
	v_readfirstlane_b32 s9, v10
	ds_load_b32 v16, v15 offset:1024
	s_waitcnt lgkmcnt(0)
	global_store_b32 v15, v16, s[8:9] offset:1024
.LBB1705_252:
	s_or_b32 exec_lo, exec_lo, s6
.LBB1705_253:
	s_and_not1_saveexec_b32 s5, s5
	s_cbranch_execz .LBB1705_255
; %bb.254:
	v_lshlrev_b32_e32 v15, 2, v0
	v_readfirstlane_b32 s6, v11
	v_readfirstlane_b32 s7, v12
	ds_load_b32 v16, v15 offset:1024
	s_waitcnt lgkmcnt(0)
	global_store_b32 v15, v16, s[6:7] offset:1024
.LBB1705_255:
	s_or_b32 exec_lo, exec_lo, s3
	v_or_b32_e32 v15, 0x200, v0
	s_mov_b32 s3, exec_lo
	s_delay_alu instid0(VALU_DEP_1)
	v_cmpx_gt_u32_e64 s4, v15
	s_cbranch_execz .LBB1705_264
; %bb.256:
	s_mov_b32 s5, exec_lo
	v_cmpx_le_u32_e64 v5, v15
	s_xor_b32 s5, exec_lo, s5
	s_cbranch_execz .LBB1705_262
; %bb.257:
	s_mov_b32 s6, exec_lo
	v_cmpx_le_u32_e64 v14, v15
	s_xor_b32 s6, exec_lo, s6
	s_cbranch_execz .LBB1705_259
; %bb.258:
	v_lshlrev_b32_e32 v15, 2, v0
	ds_load_b32 v17, v15 offset:2048
	v_add_co_u32 v15, vcc_lo, v7, v0
	v_add_co_ci_u32_e32 v16, vcc_lo, 0, v13, vcc_lo
	s_delay_alu instid0(VALU_DEP_1) | instskip(NEXT) | instid1(VALU_DEP_1)
	v_lshlrev_b64 v[15:16], 2, v[15:16]
	v_sub_co_u32 v15, vcc_lo, s1, v15
	s_delay_alu instid0(VALU_DEP_2)
	v_sub_co_ci_u32_e32 v16, vcc_lo, s0, v16, vcc_lo
	s_waitcnt lgkmcnt(0)
	global_store_b32 v[15:16], v17, off offset:-2048
.LBB1705_259:
	s_and_not1_saveexec_b32 s6, s6
	s_cbranch_execz .LBB1705_261
; %bb.260:
	v_lshlrev_b32_e32 v15, 2, v0
	v_readfirstlane_b32 s8, v9
	v_readfirstlane_b32 s9, v10
	ds_load_b32 v16, v15 offset:2048
	s_waitcnt lgkmcnt(0)
	global_store_b32 v15, v16, s[8:9] offset:2048
.LBB1705_261:
	s_or_b32 exec_lo, exec_lo, s6
.LBB1705_262:
	s_and_not1_saveexec_b32 s5, s5
	s_cbranch_execz .LBB1705_264
; %bb.263:
	v_lshlrev_b32_e32 v15, 2, v0
	v_readfirstlane_b32 s6, v11
	v_readfirstlane_b32 s7, v12
	ds_load_b32 v16, v15 offset:2048
	s_waitcnt lgkmcnt(0)
	global_store_b32 v15, v16, s[6:7] offset:2048
.LBB1705_264:
	;; [unrolled: 51-line block ×3, first 2 shown]
	s_or_b32 exec_lo, exec_lo, s3
	v_or_b32_e32 v15, 0x400, v0
	s_mov_b32 s3, exec_lo
	s_delay_alu instid0(VALU_DEP_1)
	v_cmpx_gt_u32_e64 s4, v15
	s_cbranch_execz .LBB1705_282
; %bb.274:
	s_mov_b32 s5, exec_lo
	v_cmpx_le_u32_e64 v5, v15
	s_xor_b32 s5, exec_lo, s5
	s_cbranch_execz .LBB1705_280
; %bb.275:
	s_mov_b32 s6, exec_lo
	v_cmpx_le_u32_e64 v14, v15
	s_xor_b32 s6, exec_lo, s6
	s_cbranch_execz .LBB1705_277
; %bb.276:
	v_lshlrev_b32_e32 v15, 2, v0
	ds_load_b32 v17, v15 offset:4096
	v_add_co_u32 v15, vcc_lo, v7, v0
	v_add_co_ci_u32_e32 v16, vcc_lo, 0, v13, vcc_lo
	s_delay_alu instid0(VALU_DEP_1) | instskip(NEXT) | instid1(VALU_DEP_1)
	v_lshlrev_b64 v[15:16], 2, v[15:16]
	v_sub_co_u32 v15, vcc_lo, s1, v15
	s_delay_alu instid0(VALU_DEP_2)
	v_sub_co_ci_u32_e32 v16, vcc_lo, s0, v16, vcc_lo
	s_waitcnt lgkmcnt(0)
	global_store_b32 v[15:16], v17, off offset:-4096
                                        ; implicit-def: $vgpr15
.LBB1705_277:
	s_and_not1_saveexec_b32 s6, s6
	s_cbranch_execz .LBB1705_279
; %bb.278:
	v_lshlrev_b32_e32 v16, 2, v0
	v_lshlrev_b32_e32 v15, 2, v15
	v_readfirstlane_b32 s8, v9
	v_readfirstlane_b32 s9, v10
	ds_load_b32 v16, v16 offset:4096
	s_waitcnt lgkmcnt(0)
	global_store_b32 v15, v16, s[8:9]
.LBB1705_279:
	s_or_b32 exec_lo, exec_lo, s6
                                        ; implicit-def: $vgpr15
.LBB1705_280:
	s_and_not1_saveexec_b32 s5, s5
	s_cbranch_execz .LBB1705_282
; %bb.281:
	v_lshlrev_b32_e32 v16, 2, v0
	v_lshlrev_b32_e32 v15, 2, v15
	v_readfirstlane_b32 s6, v11
	v_readfirstlane_b32 s7, v12
	ds_load_b32 v16, v16 offset:4096
	s_waitcnt lgkmcnt(0)
	global_store_b32 v15, v16, s[6:7]
.LBB1705_282:
	s_or_b32 exec_lo, exec_lo, s3
	v_or_b32_e32 v15, 0x500, v0
	s_mov_b32 s3, exec_lo
	s_delay_alu instid0(VALU_DEP_1)
	v_cmpx_gt_u32_e64 s4, v15
	s_cbranch_execz .LBB1705_291
; %bb.283:
	s_mov_b32 s5, exec_lo
	v_cmpx_le_u32_e64 v5, v15
	s_xor_b32 s5, exec_lo, s5
	s_cbranch_execz .LBB1705_289
; %bb.284:
	s_mov_b32 s6, exec_lo
	v_cmpx_le_u32_e64 v14, v15
	s_xor_b32 s6, exec_lo, s6
	s_cbranch_execz .LBB1705_286
; %bb.285:
	v_lshlrev_b32_e32 v16, 2, v0
	v_add_co_u32 v15, vcc_lo, v7, v15
	ds_load_b32 v17, v16 offset:5120
	v_add_co_ci_u32_e32 v16, vcc_lo, 0, v13, vcc_lo
	s_delay_alu instid0(VALU_DEP_1) | instskip(NEXT) | instid1(VALU_DEP_1)
	v_lshlrev_b64 v[15:16], 2, v[15:16]
	v_sub_co_u32 v15, vcc_lo, s1, v15
	s_delay_alu instid0(VALU_DEP_2)
	v_sub_co_ci_u32_e32 v16, vcc_lo, s0, v16, vcc_lo
	s_waitcnt lgkmcnt(0)
	global_store_b32 v[15:16], v17, off
                                        ; implicit-def: $vgpr15
.LBB1705_286:
	s_and_not1_saveexec_b32 s6, s6
	s_cbranch_execz .LBB1705_288
; %bb.287:
	v_lshlrev_b32_e32 v16, 2, v0
	v_lshlrev_b32_e32 v15, 2, v15
	v_readfirstlane_b32 s8, v9
	v_readfirstlane_b32 s9, v10
	ds_load_b32 v16, v16 offset:5120
	s_waitcnt lgkmcnt(0)
	global_store_b32 v15, v16, s[8:9]
.LBB1705_288:
	s_or_b32 exec_lo, exec_lo, s6
                                        ; implicit-def: $vgpr15
.LBB1705_289:
	s_and_not1_saveexec_b32 s5, s5
	s_cbranch_execz .LBB1705_291
; %bb.290:
	v_lshlrev_b32_e32 v16, 2, v0
	v_lshlrev_b32_e32 v15, 2, v15
	v_readfirstlane_b32 s6, v11
	v_readfirstlane_b32 s7, v12
	ds_load_b32 v16, v16 offset:5120
	s_waitcnt lgkmcnt(0)
	global_store_b32 v15, v16, s[6:7]
.LBB1705_291:
	s_or_b32 exec_lo, exec_lo, s3
	v_or_b32_e32 v15, 0x600, v0
	s_mov_b32 s3, exec_lo
	s_delay_alu instid0(VALU_DEP_1)
	v_cmpx_gt_u32_e64 s4, v15
	s_cbranch_execz .LBB1705_300
; %bb.292:
	s_mov_b32 s5, exec_lo
	v_cmpx_le_u32_e64 v5, v15
	s_xor_b32 s5, exec_lo, s5
	s_cbranch_execz .LBB1705_298
; %bb.293:
	s_mov_b32 s6, exec_lo
	v_cmpx_le_u32_e64 v14, v15
	s_xor_b32 s6, exec_lo, s6
	s_cbranch_execz .LBB1705_295
; %bb.294:
	v_lshlrev_b32_e32 v16, 2, v0
	v_add_co_u32 v15, vcc_lo, v7, v15
	ds_load_b32 v17, v16 offset:6144
	v_add_co_ci_u32_e32 v16, vcc_lo, 0, v13, vcc_lo
	s_delay_alu instid0(VALU_DEP_1) | instskip(NEXT) | instid1(VALU_DEP_1)
	v_lshlrev_b64 v[15:16], 2, v[15:16]
	v_sub_co_u32 v15, vcc_lo, s1, v15
	s_delay_alu instid0(VALU_DEP_2)
	v_sub_co_ci_u32_e32 v16, vcc_lo, s0, v16, vcc_lo
	s_waitcnt lgkmcnt(0)
	global_store_b32 v[15:16], v17, off
                                        ; implicit-def: $vgpr15
.LBB1705_295:
	s_and_not1_saveexec_b32 s6, s6
	s_cbranch_execz .LBB1705_297
; %bb.296:
	v_lshlrev_b32_e32 v16, 2, v0
	v_lshlrev_b32_e32 v15, 2, v15
	v_readfirstlane_b32 s8, v9
	v_readfirstlane_b32 s9, v10
	ds_load_b32 v16, v16 offset:6144
	s_waitcnt lgkmcnt(0)
	global_store_b32 v15, v16, s[8:9]
.LBB1705_297:
	s_or_b32 exec_lo, exec_lo, s6
                                        ; implicit-def: $vgpr15
.LBB1705_298:
	s_and_not1_saveexec_b32 s5, s5
	s_cbranch_execz .LBB1705_300
; %bb.299:
	v_lshlrev_b32_e32 v16, 2, v0
	v_lshlrev_b32_e32 v15, 2, v15
	v_readfirstlane_b32 s6, v11
	v_readfirstlane_b32 s7, v12
	ds_load_b32 v16, v16 offset:6144
	s_waitcnt lgkmcnt(0)
	global_store_b32 v15, v16, s[6:7]
.LBB1705_300:
	;; [unrolled: 55-line block ×7, first 2 shown]
	s_or_b32 exec_lo, exec_lo, s3
	v_or_b32_e32 v15, 0xc00, v0
	s_mov_b32 s3, exec_lo
	s_delay_alu instid0(VALU_DEP_1)
	v_cmpx_gt_u32_e64 s4, v15
	s_cbranch_execz .LBB1705_354
; %bb.346:
	s_mov_b32 s4, exec_lo
	v_cmpx_le_u32_e64 v5, v15
	s_xor_b32 s4, exec_lo, s4
	s_cbranch_execz .LBB1705_352
; %bb.347:
	s_mov_b32 s5, exec_lo
	v_cmpx_le_u32_e64 v14, v15
	s_xor_b32 s5, exec_lo, s5
	s_cbranch_execz .LBB1705_349
; %bb.348:
	v_lshlrev_b32_e32 v0, 2, v0
	v_add_co_u32 v9, vcc_lo, v7, v15
	v_add_co_ci_u32_e32 v10, vcc_lo, 0, v13, vcc_lo
	ds_load_b32 v0, v0 offset:12288
                                        ; implicit-def: $vgpr15
	v_lshlrev_b64 v[9:10], 2, v[9:10]
	s_delay_alu instid0(VALU_DEP_1) | instskip(NEXT) | instid1(VALU_DEP_2)
	v_sub_co_u32 v9, vcc_lo, s1, v9
	v_sub_co_ci_u32_e32 v10, vcc_lo, s0, v10, vcc_lo
	s_waitcnt lgkmcnt(0)
	global_store_b32 v[9:10], v0, off
                                        ; implicit-def: $vgpr0
                                        ; implicit-def: $vgpr9_vgpr10
.LBB1705_349:
	s_and_not1_saveexec_b32 s0, s5
	s_cbranch_execz .LBB1705_351
; %bb.350:
	v_lshlrev_b32_e32 v0, 2, v0
	v_lshlrev_b32_e32 v7, 2, v15
	v_readfirstlane_b32 s6, v9
	v_readfirstlane_b32 s7, v10
	ds_load_b32 v0, v0 offset:12288
	s_waitcnt lgkmcnt(0)
	global_store_b32 v7, v0, s[6:7]
.LBB1705_351:
	s_or_b32 exec_lo, exec_lo, s0
                                        ; implicit-def: $vgpr0
                                        ; implicit-def: $vgpr15
                                        ; implicit-def: $vgpr11_vgpr12
.LBB1705_352:
	s_and_not1_saveexec_b32 s0, s4
	s_cbranch_execz .LBB1705_354
; %bb.353:
	v_lshlrev_b32_e32 v0, 2, v0
	v_lshlrev_b32_e32 v7, 2, v15
	v_readfirstlane_b32 s0, v11
	v_readfirstlane_b32 s1, v12
	ds_load_b32 v0, v0 offset:12288
	s_waitcnt lgkmcnt(0)
	global_store_b32 v7, v0, s[0:1]
.LBB1705_354:
	s_or_b32 exec_lo, exec_lo, s3
	s_and_b32 s0, s2, s13
	s_delay_alu instid0(SALU_CYCLE_1)
	s_and_saveexec_b32 s1, s0
	s_cbranch_execz .LBB1705_131
.LBB1705_355:
	v_add_co_u32 v3, vcc_lo, v3, v6
	v_add_co_ci_u32_e32 v4, vcc_lo, 0, v4, vcc_lo
	v_add_co_u32 v0, vcc_lo, v1, v5
	v_add_co_ci_u32_e32 v1, vcc_lo, 0, v2, vcc_lo
	s_delay_alu instid0(VALU_DEP_4)
	v_add_co_u32 v2, vcc_lo, v3, v8
	v_mov_b32_e32 v7, 0
	v_add_co_ci_u32_e32 v3, vcc_lo, 0, v4, vcc_lo
	global_store_b128 v7, v[0:3], s[24:25]
	s_nop 0
	s_sendmsg sendmsg(MSG_DEALLOC_VGPRS)
	s_endpgm
.LBB1705_356:
	v_add_nc_u32_e32 v7, s6, v27
	s_add_i32 s8, s26, 32
	s_mov_b32 s9, 0
	v_dual_mov_b32 v9, 0 :: v_dual_add_nc_u32 v6, v26, v5
	s_lshl_b64 s[8:9], s[8:9], 4
	v_and_b32_e32 v24, 0xff0000, v7
	s_add_u32 s8, s36, s8
	s_addc_u32 s9, s37, s9
	v_and_b32_e32 v8, 0xff000000, v7
	s_delay_alu instid0(VALU_DEP_1) | instskip(SKIP_2) | instid1(VALU_DEP_1)
	v_or_b32_e32 v24, v24, v8
	v_dual_mov_b32 v8, 2 :: v_dual_and_b32 v25, 0xff00, v7
	v_and_b32_e32 v7, 0xff, v7
	v_or3_b32 v7, v24, v25, v7
	v_dual_mov_b32 v25, s9 :: v_dual_mov_b32 v24, s8
	;;#ASMSTART
	global_store_dwordx4 v[24:25], v[6:9] off	
s_waitcnt vmcnt(0)
	;;#ASMEND
	s_or_b32 exec_lo, exec_lo, s7
	s_and_saveexec_b32 s7, s3
	s_cbranch_execz .LBB1705_115
.LBB1705_357:
	v_mov_b32_e32 v6, s6
	v_add_nc_u32_e64 v7, 0x3400, 0
	ds_store_2addr_b32 v7, v5, v6 offset1:2
	ds_store_2addr_b32 v7, v26, v27 offset0:4 offset1:6
	s_or_b32 exec_lo, exec_lo, s7
	s_delay_alu instid0(SALU_CYCLE_1)
	s_and_b32 exec_lo, exec_lo, s2
	s_cbranch_execnz .LBB1705_116
	s_branch .LBB1705_117
	.section	.rodata,"a",@progbits
	.p2align	6, 0x0
	.amdhsa_kernel _ZN7rocprim17ROCPRIM_400000_NS6detail17trampoline_kernelINS0_13select_configILj256ELj13ELNS0_17block_load_methodE3ELS4_3ELS4_3ELNS0_20block_scan_algorithmE0ELj4294967295EEENS1_25partition_config_selectorILNS1_17partition_subalgoE4EjNS0_10empty_typeEbEEZZNS1_14partition_implILS8_4ELb0ES6_15HIP_vector_typeIjLj2EENS0_17counting_iteratorIjlEEPS9_SG_NS0_5tupleIJPjSI_NS0_16reverse_iteratorISI_EEEEENSH_IJSG_SG_SG_EEES9_SI_JZNS1_25segmented_radix_sort_implINS0_14default_configELb1EPK6__halfPSP_PKlPlN2at6native12_GLOBAL__N_18offset_tEEE10hipError_tPvRmT1_PNSt15iterator_traitsIS13_E10value_typeET2_T3_PNS14_IS19_E10value_typeET4_jRbjT5_S1F_jjP12ihipStream_tbEUljE_ZNSN_ISO_Lb1ESR_SS_SU_SV_SZ_EES10_S11_S12_S13_S17_S18_S19_S1C_S1D_jS1E_jS1F_S1F_jjS1H_bEUljE0_EEES10_S11_S12_S19_S1D_S1F_T6_T7_T9_mT8_S1H_bDpT10_ENKUlT_T0_E_clISt17integral_constantIbLb0EES1U_IbLb1EEEEDaS1Q_S1R_EUlS1Q_E_NS1_11comp_targetILNS1_3genE9ELNS1_11target_archE1100ELNS1_3gpuE3ELNS1_3repE0EEENS1_30default_config_static_selectorELNS0_4arch9wavefront6targetE0EEEvS13_
		.amdhsa_group_segment_fixed_size 13340
		.amdhsa_private_segment_fixed_size 0
		.amdhsa_kernarg_size 184
		.amdhsa_user_sgpr_count 15
		.amdhsa_user_sgpr_dispatch_ptr 0
		.amdhsa_user_sgpr_queue_ptr 0
		.amdhsa_user_sgpr_kernarg_segment_ptr 1
		.amdhsa_user_sgpr_dispatch_id 0
		.amdhsa_user_sgpr_private_segment_size 0
		.amdhsa_wavefront_size32 1
		.amdhsa_uses_dynamic_stack 0
		.amdhsa_enable_private_segment 0
		.amdhsa_system_sgpr_workgroup_id_x 1
		.amdhsa_system_sgpr_workgroup_id_y 0
		.amdhsa_system_sgpr_workgroup_id_z 0
		.amdhsa_system_sgpr_workgroup_info 0
		.amdhsa_system_vgpr_workitem_id 0
		.amdhsa_next_free_vgpr 103
		.amdhsa_next_free_sgpr 55
		.amdhsa_reserve_vcc 1
		.amdhsa_float_round_mode_32 0
		.amdhsa_float_round_mode_16_64 0
		.amdhsa_float_denorm_mode_32 3
		.amdhsa_float_denorm_mode_16_64 3
		.amdhsa_dx10_clamp 1
		.amdhsa_ieee_mode 1
		.amdhsa_fp16_overflow 0
		.amdhsa_workgroup_processor_mode 1
		.amdhsa_memory_ordered 1
		.amdhsa_forward_progress 0
		.amdhsa_shared_vgpr_count 0
		.amdhsa_exception_fp_ieee_invalid_op 0
		.amdhsa_exception_fp_denorm_src 0
		.amdhsa_exception_fp_ieee_div_zero 0
		.amdhsa_exception_fp_ieee_overflow 0
		.amdhsa_exception_fp_ieee_underflow 0
		.amdhsa_exception_fp_ieee_inexact 0
		.amdhsa_exception_int_div_zero 0
	.end_amdhsa_kernel
	.section	.text._ZN7rocprim17ROCPRIM_400000_NS6detail17trampoline_kernelINS0_13select_configILj256ELj13ELNS0_17block_load_methodE3ELS4_3ELS4_3ELNS0_20block_scan_algorithmE0ELj4294967295EEENS1_25partition_config_selectorILNS1_17partition_subalgoE4EjNS0_10empty_typeEbEEZZNS1_14partition_implILS8_4ELb0ES6_15HIP_vector_typeIjLj2EENS0_17counting_iteratorIjlEEPS9_SG_NS0_5tupleIJPjSI_NS0_16reverse_iteratorISI_EEEEENSH_IJSG_SG_SG_EEES9_SI_JZNS1_25segmented_radix_sort_implINS0_14default_configELb1EPK6__halfPSP_PKlPlN2at6native12_GLOBAL__N_18offset_tEEE10hipError_tPvRmT1_PNSt15iterator_traitsIS13_E10value_typeET2_T3_PNS14_IS19_E10value_typeET4_jRbjT5_S1F_jjP12ihipStream_tbEUljE_ZNSN_ISO_Lb1ESR_SS_SU_SV_SZ_EES10_S11_S12_S13_S17_S18_S19_S1C_S1D_jS1E_jS1F_S1F_jjS1H_bEUljE0_EEES10_S11_S12_S19_S1D_S1F_T6_T7_T9_mT8_S1H_bDpT10_ENKUlT_T0_E_clISt17integral_constantIbLb0EES1U_IbLb1EEEEDaS1Q_S1R_EUlS1Q_E_NS1_11comp_targetILNS1_3genE9ELNS1_11target_archE1100ELNS1_3gpuE3ELNS1_3repE0EEENS1_30default_config_static_selectorELNS0_4arch9wavefront6targetE0EEEvS13_,"axG",@progbits,_ZN7rocprim17ROCPRIM_400000_NS6detail17trampoline_kernelINS0_13select_configILj256ELj13ELNS0_17block_load_methodE3ELS4_3ELS4_3ELNS0_20block_scan_algorithmE0ELj4294967295EEENS1_25partition_config_selectorILNS1_17partition_subalgoE4EjNS0_10empty_typeEbEEZZNS1_14partition_implILS8_4ELb0ES6_15HIP_vector_typeIjLj2EENS0_17counting_iteratorIjlEEPS9_SG_NS0_5tupleIJPjSI_NS0_16reverse_iteratorISI_EEEEENSH_IJSG_SG_SG_EEES9_SI_JZNS1_25segmented_radix_sort_implINS0_14default_configELb1EPK6__halfPSP_PKlPlN2at6native12_GLOBAL__N_18offset_tEEE10hipError_tPvRmT1_PNSt15iterator_traitsIS13_E10value_typeET2_T3_PNS14_IS19_E10value_typeET4_jRbjT5_S1F_jjP12ihipStream_tbEUljE_ZNSN_ISO_Lb1ESR_SS_SU_SV_SZ_EES10_S11_S12_S13_S17_S18_S19_S1C_S1D_jS1E_jS1F_S1F_jjS1H_bEUljE0_EEES10_S11_S12_S19_S1D_S1F_T6_T7_T9_mT8_S1H_bDpT10_ENKUlT_T0_E_clISt17integral_constantIbLb0EES1U_IbLb1EEEEDaS1Q_S1R_EUlS1Q_E_NS1_11comp_targetILNS1_3genE9ELNS1_11target_archE1100ELNS1_3gpuE3ELNS1_3repE0EEENS1_30default_config_static_selectorELNS0_4arch9wavefront6targetE0EEEvS13_,comdat
.Lfunc_end1705:
	.size	_ZN7rocprim17ROCPRIM_400000_NS6detail17trampoline_kernelINS0_13select_configILj256ELj13ELNS0_17block_load_methodE3ELS4_3ELS4_3ELNS0_20block_scan_algorithmE0ELj4294967295EEENS1_25partition_config_selectorILNS1_17partition_subalgoE4EjNS0_10empty_typeEbEEZZNS1_14partition_implILS8_4ELb0ES6_15HIP_vector_typeIjLj2EENS0_17counting_iteratorIjlEEPS9_SG_NS0_5tupleIJPjSI_NS0_16reverse_iteratorISI_EEEEENSH_IJSG_SG_SG_EEES9_SI_JZNS1_25segmented_radix_sort_implINS0_14default_configELb1EPK6__halfPSP_PKlPlN2at6native12_GLOBAL__N_18offset_tEEE10hipError_tPvRmT1_PNSt15iterator_traitsIS13_E10value_typeET2_T3_PNS14_IS19_E10value_typeET4_jRbjT5_S1F_jjP12ihipStream_tbEUljE_ZNSN_ISO_Lb1ESR_SS_SU_SV_SZ_EES10_S11_S12_S13_S17_S18_S19_S1C_S1D_jS1E_jS1F_S1F_jjS1H_bEUljE0_EEES10_S11_S12_S19_S1D_S1F_T6_T7_T9_mT8_S1H_bDpT10_ENKUlT_T0_E_clISt17integral_constantIbLb0EES1U_IbLb1EEEEDaS1Q_S1R_EUlS1Q_E_NS1_11comp_targetILNS1_3genE9ELNS1_11target_archE1100ELNS1_3gpuE3ELNS1_3repE0EEENS1_30default_config_static_selectorELNS0_4arch9wavefront6targetE0EEEvS13_, .Lfunc_end1705-_ZN7rocprim17ROCPRIM_400000_NS6detail17trampoline_kernelINS0_13select_configILj256ELj13ELNS0_17block_load_methodE3ELS4_3ELS4_3ELNS0_20block_scan_algorithmE0ELj4294967295EEENS1_25partition_config_selectorILNS1_17partition_subalgoE4EjNS0_10empty_typeEbEEZZNS1_14partition_implILS8_4ELb0ES6_15HIP_vector_typeIjLj2EENS0_17counting_iteratorIjlEEPS9_SG_NS0_5tupleIJPjSI_NS0_16reverse_iteratorISI_EEEEENSH_IJSG_SG_SG_EEES9_SI_JZNS1_25segmented_radix_sort_implINS0_14default_configELb1EPK6__halfPSP_PKlPlN2at6native12_GLOBAL__N_18offset_tEEE10hipError_tPvRmT1_PNSt15iterator_traitsIS13_E10value_typeET2_T3_PNS14_IS19_E10value_typeET4_jRbjT5_S1F_jjP12ihipStream_tbEUljE_ZNSN_ISO_Lb1ESR_SS_SU_SV_SZ_EES10_S11_S12_S13_S17_S18_S19_S1C_S1D_jS1E_jS1F_S1F_jjS1H_bEUljE0_EEES10_S11_S12_S19_S1D_S1F_T6_T7_T9_mT8_S1H_bDpT10_ENKUlT_T0_E_clISt17integral_constantIbLb0EES1U_IbLb1EEEEDaS1Q_S1R_EUlS1Q_E_NS1_11comp_targetILNS1_3genE9ELNS1_11target_archE1100ELNS1_3gpuE3ELNS1_3repE0EEENS1_30default_config_static_selectorELNS0_4arch9wavefront6targetE0EEEvS13_
                                        ; -- End function
	.section	.AMDGPU.csdata,"",@progbits
; Kernel info:
; codeLenInByte = 15060
; NumSgprs: 57
; NumVgprs: 103
; ScratchSize: 0
; MemoryBound: 0
; FloatMode: 240
; IeeeMode: 1
; LDSByteSize: 13340 bytes/workgroup (compile time only)
; SGPRBlocks: 7
; VGPRBlocks: 12
; NumSGPRsForWavesPerEU: 57
; NumVGPRsForWavesPerEU: 103
; Occupancy: 12
; WaveLimiterHint : 1
; COMPUTE_PGM_RSRC2:SCRATCH_EN: 0
; COMPUTE_PGM_RSRC2:USER_SGPR: 15
; COMPUTE_PGM_RSRC2:TRAP_HANDLER: 0
; COMPUTE_PGM_RSRC2:TGID_X_EN: 1
; COMPUTE_PGM_RSRC2:TGID_Y_EN: 0
; COMPUTE_PGM_RSRC2:TGID_Z_EN: 0
; COMPUTE_PGM_RSRC2:TIDIG_COMP_CNT: 0
	.section	.text._ZN7rocprim17ROCPRIM_400000_NS6detail17trampoline_kernelINS0_13select_configILj256ELj13ELNS0_17block_load_methodE3ELS4_3ELS4_3ELNS0_20block_scan_algorithmE0ELj4294967295EEENS1_25partition_config_selectorILNS1_17partition_subalgoE4EjNS0_10empty_typeEbEEZZNS1_14partition_implILS8_4ELb0ES6_15HIP_vector_typeIjLj2EENS0_17counting_iteratorIjlEEPS9_SG_NS0_5tupleIJPjSI_NS0_16reverse_iteratorISI_EEEEENSH_IJSG_SG_SG_EEES9_SI_JZNS1_25segmented_radix_sort_implINS0_14default_configELb1EPK6__halfPSP_PKlPlN2at6native12_GLOBAL__N_18offset_tEEE10hipError_tPvRmT1_PNSt15iterator_traitsIS13_E10value_typeET2_T3_PNS14_IS19_E10value_typeET4_jRbjT5_S1F_jjP12ihipStream_tbEUljE_ZNSN_ISO_Lb1ESR_SS_SU_SV_SZ_EES10_S11_S12_S13_S17_S18_S19_S1C_S1D_jS1E_jS1F_S1F_jjS1H_bEUljE0_EEES10_S11_S12_S19_S1D_S1F_T6_T7_T9_mT8_S1H_bDpT10_ENKUlT_T0_E_clISt17integral_constantIbLb0EES1U_IbLb1EEEEDaS1Q_S1R_EUlS1Q_E_NS1_11comp_targetILNS1_3genE8ELNS1_11target_archE1030ELNS1_3gpuE2ELNS1_3repE0EEENS1_30default_config_static_selectorELNS0_4arch9wavefront6targetE0EEEvS13_,"axG",@progbits,_ZN7rocprim17ROCPRIM_400000_NS6detail17trampoline_kernelINS0_13select_configILj256ELj13ELNS0_17block_load_methodE3ELS4_3ELS4_3ELNS0_20block_scan_algorithmE0ELj4294967295EEENS1_25partition_config_selectorILNS1_17partition_subalgoE4EjNS0_10empty_typeEbEEZZNS1_14partition_implILS8_4ELb0ES6_15HIP_vector_typeIjLj2EENS0_17counting_iteratorIjlEEPS9_SG_NS0_5tupleIJPjSI_NS0_16reverse_iteratorISI_EEEEENSH_IJSG_SG_SG_EEES9_SI_JZNS1_25segmented_radix_sort_implINS0_14default_configELb1EPK6__halfPSP_PKlPlN2at6native12_GLOBAL__N_18offset_tEEE10hipError_tPvRmT1_PNSt15iterator_traitsIS13_E10value_typeET2_T3_PNS14_IS19_E10value_typeET4_jRbjT5_S1F_jjP12ihipStream_tbEUljE_ZNSN_ISO_Lb1ESR_SS_SU_SV_SZ_EES10_S11_S12_S13_S17_S18_S19_S1C_S1D_jS1E_jS1F_S1F_jjS1H_bEUljE0_EEES10_S11_S12_S19_S1D_S1F_T6_T7_T9_mT8_S1H_bDpT10_ENKUlT_T0_E_clISt17integral_constantIbLb0EES1U_IbLb1EEEEDaS1Q_S1R_EUlS1Q_E_NS1_11comp_targetILNS1_3genE8ELNS1_11target_archE1030ELNS1_3gpuE2ELNS1_3repE0EEENS1_30default_config_static_selectorELNS0_4arch9wavefront6targetE0EEEvS13_,comdat
	.globl	_ZN7rocprim17ROCPRIM_400000_NS6detail17trampoline_kernelINS0_13select_configILj256ELj13ELNS0_17block_load_methodE3ELS4_3ELS4_3ELNS0_20block_scan_algorithmE0ELj4294967295EEENS1_25partition_config_selectorILNS1_17partition_subalgoE4EjNS0_10empty_typeEbEEZZNS1_14partition_implILS8_4ELb0ES6_15HIP_vector_typeIjLj2EENS0_17counting_iteratorIjlEEPS9_SG_NS0_5tupleIJPjSI_NS0_16reverse_iteratorISI_EEEEENSH_IJSG_SG_SG_EEES9_SI_JZNS1_25segmented_radix_sort_implINS0_14default_configELb1EPK6__halfPSP_PKlPlN2at6native12_GLOBAL__N_18offset_tEEE10hipError_tPvRmT1_PNSt15iterator_traitsIS13_E10value_typeET2_T3_PNS14_IS19_E10value_typeET4_jRbjT5_S1F_jjP12ihipStream_tbEUljE_ZNSN_ISO_Lb1ESR_SS_SU_SV_SZ_EES10_S11_S12_S13_S17_S18_S19_S1C_S1D_jS1E_jS1F_S1F_jjS1H_bEUljE0_EEES10_S11_S12_S19_S1D_S1F_T6_T7_T9_mT8_S1H_bDpT10_ENKUlT_T0_E_clISt17integral_constantIbLb0EES1U_IbLb1EEEEDaS1Q_S1R_EUlS1Q_E_NS1_11comp_targetILNS1_3genE8ELNS1_11target_archE1030ELNS1_3gpuE2ELNS1_3repE0EEENS1_30default_config_static_selectorELNS0_4arch9wavefront6targetE0EEEvS13_ ; -- Begin function _ZN7rocprim17ROCPRIM_400000_NS6detail17trampoline_kernelINS0_13select_configILj256ELj13ELNS0_17block_load_methodE3ELS4_3ELS4_3ELNS0_20block_scan_algorithmE0ELj4294967295EEENS1_25partition_config_selectorILNS1_17partition_subalgoE4EjNS0_10empty_typeEbEEZZNS1_14partition_implILS8_4ELb0ES6_15HIP_vector_typeIjLj2EENS0_17counting_iteratorIjlEEPS9_SG_NS0_5tupleIJPjSI_NS0_16reverse_iteratorISI_EEEEENSH_IJSG_SG_SG_EEES9_SI_JZNS1_25segmented_radix_sort_implINS0_14default_configELb1EPK6__halfPSP_PKlPlN2at6native12_GLOBAL__N_18offset_tEEE10hipError_tPvRmT1_PNSt15iterator_traitsIS13_E10value_typeET2_T3_PNS14_IS19_E10value_typeET4_jRbjT5_S1F_jjP12ihipStream_tbEUljE_ZNSN_ISO_Lb1ESR_SS_SU_SV_SZ_EES10_S11_S12_S13_S17_S18_S19_S1C_S1D_jS1E_jS1F_S1F_jjS1H_bEUljE0_EEES10_S11_S12_S19_S1D_S1F_T6_T7_T9_mT8_S1H_bDpT10_ENKUlT_T0_E_clISt17integral_constantIbLb0EES1U_IbLb1EEEEDaS1Q_S1R_EUlS1Q_E_NS1_11comp_targetILNS1_3genE8ELNS1_11target_archE1030ELNS1_3gpuE2ELNS1_3repE0EEENS1_30default_config_static_selectorELNS0_4arch9wavefront6targetE0EEEvS13_
	.p2align	8
	.type	_ZN7rocprim17ROCPRIM_400000_NS6detail17trampoline_kernelINS0_13select_configILj256ELj13ELNS0_17block_load_methodE3ELS4_3ELS4_3ELNS0_20block_scan_algorithmE0ELj4294967295EEENS1_25partition_config_selectorILNS1_17partition_subalgoE4EjNS0_10empty_typeEbEEZZNS1_14partition_implILS8_4ELb0ES6_15HIP_vector_typeIjLj2EENS0_17counting_iteratorIjlEEPS9_SG_NS0_5tupleIJPjSI_NS0_16reverse_iteratorISI_EEEEENSH_IJSG_SG_SG_EEES9_SI_JZNS1_25segmented_radix_sort_implINS0_14default_configELb1EPK6__halfPSP_PKlPlN2at6native12_GLOBAL__N_18offset_tEEE10hipError_tPvRmT1_PNSt15iterator_traitsIS13_E10value_typeET2_T3_PNS14_IS19_E10value_typeET4_jRbjT5_S1F_jjP12ihipStream_tbEUljE_ZNSN_ISO_Lb1ESR_SS_SU_SV_SZ_EES10_S11_S12_S13_S17_S18_S19_S1C_S1D_jS1E_jS1F_S1F_jjS1H_bEUljE0_EEES10_S11_S12_S19_S1D_S1F_T6_T7_T9_mT8_S1H_bDpT10_ENKUlT_T0_E_clISt17integral_constantIbLb0EES1U_IbLb1EEEEDaS1Q_S1R_EUlS1Q_E_NS1_11comp_targetILNS1_3genE8ELNS1_11target_archE1030ELNS1_3gpuE2ELNS1_3repE0EEENS1_30default_config_static_selectorELNS0_4arch9wavefront6targetE0EEEvS13_,@function
_ZN7rocprim17ROCPRIM_400000_NS6detail17trampoline_kernelINS0_13select_configILj256ELj13ELNS0_17block_load_methodE3ELS4_3ELS4_3ELNS0_20block_scan_algorithmE0ELj4294967295EEENS1_25partition_config_selectorILNS1_17partition_subalgoE4EjNS0_10empty_typeEbEEZZNS1_14partition_implILS8_4ELb0ES6_15HIP_vector_typeIjLj2EENS0_17counting_iteratorIjlEEPS9_SG_NS0_5tupleIJPjSI_NS0_16reverse_iteratorISI_EEEEENSH_IJSG_SG_SG_EEES9_SI_JZNS1_25segmented_radix_sort_implINS0_14default_configELb1EPK6__halfPSP_PKlPlN2at6native12_GLOBAL__N_18offset_tEEE10hipError_tPvRmT1_PNSt15iterator_traitsIS13_E10value_typeET2_T3_PNS14_IS19_E10value_typeET4_jRbjT5_S1F_jjP12ihipStream_tbEUljE_ZNSN_ISO_Lb1ESR_SS_SU_SV_SZ_EES10_S11_S12_S13_S17_S18_S19_S1C_S1D_jS1E_jS1F_S1F_jjS1H_bEUljE0_EEES10_S11_S12_S19_S1D_S1F_T6_T7_T9_mT8_S1H_bDpT10_ENKUlT_T0_E_clISt17integral_constantIbLb0EES1U_IbLb1EEEEDaS1Q_S1R_EUlS1Q_E_NS1_11comp_targetILNS1_3genE8ELNS1_11target_archE1030ELNS1_3gpuE2ELNS1_3repE0EEENS1_30default_config_static_selectorELNS0_4arch9wavefront6targetE0EEEvS13_: ; @_ZN7rocprim17ROCPRIM_400000_NS6detail17trampoline_kernelINS0_13select_configILj256ELj13ELNS0_17block_load_methodE3ELS4_3ELS4_3ELNS0_20block_scan_algorithmE0ELj4294967295EEENS1_25partition_config_selectorILNS1_17partition_subalgoE4EjNS0_10empty_typeEbEEZZNS1_14partition_implILS8_4ELb0ES6_15HIP_vector_typeIjLj2EENS0_17counting_iteratorIjlEEPS9_SG_NS0_5tupleIJPjSI_NS0_16reverse_iteratorISI_EEEEENSH_IJSG_SG_SG_EEES9_SI_JZNS1_25segmented_radix_sort_implINS0_14default_configELb1EPK6__halfPSP_PKlPlN2at6native12_GLOBAL__N_18offset_tEEE10hipError_tPvRmT1_PNSt15iterator_traitsIS13_E10value_typeET2_T3_PNS14_IS19_E10value_typeET4_jRbjT5_S1F_jjP12ihipStream_tbEUljE_ZNSN_ISO_Lb1ESR_SS_SU_SV_SZ_EES10_S11_S12_S13_S17_S18_S19_S1C_S1D_jS1E_jS1F_S1F_jjS1H_bEUljE0_EEES10_S11_S12_S19_S1D_S1F_T6_T7_T9_mT8_S1H_bDpT10_ENKUlT_T0_E_clISt17integral_constantIbLb0EES1U_IbLb1EEEEDaS1Q_S1R_EUlS1Q_E_NS1_11comp_targetILNS1_3genE8ELNS1_11target_archE1030ELNS1_3gpuE2ELNS1_3repE0EEENS1_30default_config_static_selectorELNS0_4arch9wavefront6targetE0EEEvS13_
; %bb.0:
	.section	.rodata,"a",@progbits
	.p2align	6, 0x0
	.amdhsa_kernel _ZN7rocprim17ROCPRIM_400000_NS6detail17trampoline_kernelINS0_13select_configILj256ELj13ELNS0_17block_load_methodE3ELS4_3ELS4_3ELNS0_20block_scan_algorithmE0ELj4294967295EEENS1_25partition_config_selectorILNS1_17partition_subalgoE4EjNS0_10empty_typeEbEEZZNS1_14partition_implILS8_4ELb0ES6_15HIP_vector_typeIjLj2EENS0_17counting_iteratorIjlEEPS9_SG_NS0_5tupleIJPjSI_NS0_16reverse_iteratorISI_EEEEENSH_IJSG_SG_SG_EEES9_SI_JZNS1_25segmented_radix_sort_implINS0_14default_configELb1EPK6__halfPSP_PKlPlN2at6native12_GLOBAL__N_18offset_tEEE10hipError_tPvRmT1_PNSt15iterator_traitsIS13_E10value_typeET2_T3_PNS14_IS19_E10value_typeET4_jRbjT5_S1F_jjP12ihipStream_tbEUljE_ZNSN_ISO_Lb1ESR_SS_SU_SV_SZ_EES10_S11_S12_S13_S17_S18_S19_S1C_S1D_jS1E_jS1F_S1F_jjS1H_bEUljE0_EEES10_S11_S12_S19_S1D_S1F_T6_T7_T9_mT8_S1H_bDpT10_ENKUlT_T0_E_clISt17integral_constantIbLb0EES1U_IbLb1EEEEDaS1Q_S1R_EUlS1Q_E_NS1_11comp_targetILNS1_3genE8ELNS1_11target_archE1030ELNS1_3gpuE2ELNS1_3repE0EEENS1_30default_config_static_selectorELNS0_4arch9wavefront6targetE0EEEvS13_
		.amdhsa_group_segment_fixed_size 0
		.amdhsa_private_segment_fixed_size 0
		.amdhsa_kernarg_size 184
		.amdhsa_user_sgpr_count 15
		.amdhsa_user_sgpr_dispatch_ptr 0
		.amdhsa_user_sgpr_queue_ptr 0
		.amdhsa_user_sgpr_kernarg_segment_ptr 1
		.amdhsa_user_sgpr_dispatch_id 0
		.amdhsa_user_sgpr_private_segment_size 0
		.amdhsa_wavefront_size32 1
		.amdhsa_uses_dynamic_stack 0
		.amdhsa_enable_private_segment 0
		.amdhsa_system_sgpr_workgroup_id_x 1
		.amdhsa_system_sgpr_workgroup_id_y 0
		.amdhsa_system_sgpr_workgroup_id_z 0
		.amdhsa_system_sgpr_workgroup_info 0
		.amdhsa_system_vgpr_workitem_id 0
		.amdhsa_next_free_vgpr 1
		.amdhsa_next_free_sgpr 1
		.amdhsa_reserve_vcc 0
		.amdhsa_float_round_mode_32 0
		.amdhsa_float_round_mode_16_64 0
		.amdhsa_float_denorm_mode_32 3
		.amdhsa_float_denorm_mode_16_64 3
		.amdhsa_dx10_clamp 1
		.amdhsa_ieee_mode 1
		.amdhsa_fp16_overflow 0
		.amdhsa_workgroup_processor_mode 1
		.amdhsa_memory_ordered 1
		.amdhsa_forward_progress 0
		.amdhsa_shared_vgpr_count 0
		.amdhsa_exception_fp_ieee_invalid_op 0
		.amdhsa_exception_fp_denorm_src 0
		.amdhsa_exception_fp_ieee_div_zero 0
		.amdhsa_exception_fp_ieee_overflow 0
		.amdhsa_exception_fp_ieee_underflow 0
		.amdhsa_exception_fp_ieee_inexact 0
		.amdhsa_exception_int_div_zero 0
	.end_amdhsa_kernel
	.section	.text._ZN7rocprim17ROCPRIM_400000_NS6detail17trampoline_kernelINS0_13select_configILj256ELj13ELNS0_17block_load_methodE3ELS4_3ELS4_3ELNS0_20block_scan_algorithmE0ELj4294967295EEENS1_25partition_config_selectorILNS1_17partition_subalgoE4EjNS0_10empty_typeEbEEZZNS1_14partition_implILS8_4ELb0ES6_15HIP_vector_typeIjLj2EENS0_17counting_iteratorIjlEEPS9_SG_NS0_5tupleIJPjSI_NS0_16reverse_iteratorISI_EEEEENSH_IJSG_SG_SG_EEES9_SI_JZNS1_25segmented_radix_sort_implINS0_14default_configELb1EPK6__halfPSP_PKlPlN2at6native12_GLOBAL__N_18offset_tEEE10hipError_tPvRmT1_PNSt15iterator_traitsIS13_E10value_typeET2_T3_PNS14_IS19_E10value_typeET4_jRbjT5_S1F_jjP12ihipStream_tbEUljE_ZNSN_ISO_Lb1ESR_SS_SU_SV_SZ_EES10_S11_S12_S13_S17_S18_S19_S1C_S1D_jS1E_jS1F_S1F_jjS1H_bEUljE0_EEES10_S11_S12_S19_S1D_S1F_T6_T7_T9_mT8_S1H_bDpT10_ENKUlT_T0_E_clISt17integral_constantIbLb0EES1U_IbLb1EEEEDaS1Q_S1R_EUlS1Q_E_NS1_11comp_targetILNS1_3genE8ELNS1_11target_archE1030ELNS1_3gpuE2ELNS1_3repE0EEENS1_30default_config_static_selectorELNS0_4arch9wavefront6targetE0EEEvS13_,"axG",@progbits,_ZN7rocprim17ROCPRIM_400000_NS6detail17trampoline_kernelINS0_13select_configILj256ELj13ELNS0_17block_load_methodE3ELS4_3ELS4_3ELNS0_20block_scan_algorithmE0ELj4294967295EEENS1_25partition_config_selectorILNS1_17partition_subalgoE4EjNS0_10empty_typeEbEEZZNS1_14partition_implILS8_4ELb0ES6_15HIP_vector_typeIjLj2EENS0_17counting_iteratorIjlEEPS9_SG_NS0_5tupleIJPjSI_NS0_16reverse_iteratorISI_EEEEENSH_IJSG_SG_SG_EEES9_SI_JZNS1_25segmented_radix_sort_implINS0_14default_configELb1EPK6__halfPSP_PKlPlN2at6native12_GLOBAL__N_18offset_tEEE10hipError_tPvRmT1_PNSt15iterator_traitsIS13_E10value_typeET2_T3_PNS14_IS19_E10value_typeET4_jRbjT5_S1F_jjP12ihipStream_tbEUljE_ZNSN_ISO_Lb1ESR_SS_SU_SV_SZ_EES10_S11_S12_S13_S17_S18_S19_S1C_S1D_jS1E_jS1F_S1F_jjS1H_bEUljE0_EEES10_S11_S12_S19_S1D_S1F_T6_T7_T9_mT8_S1H_bDpT10_ENKUlT_T0_E_clISt17integral_constantIbLb0EES1U_IbLb1EEEEDaS1Q_S1R_EUlS1Q_E_NS1_11comp_targetILNS1_3genE8ELNS1_11target_archE1030ELNS1_3gpuE2ELNS1_3repE0EEENS1_30default_config_static_selectorELNS0_4arch9wavefront6targetE0EEEvS13_,comdat
.Lfunc_end1706:
	.size	_ZN7rocprim17ROCPRIM_400000_NS6detail17trampoline_kernelINS0_13select_configILj256ELj13ELNS0_17block_load_methodE3ELS4_3ELS4_3ELNS0_20block_scan_algorithmE0ELj4294967295EEENS1_25partition_config_selectorILNS1_17partition_subalgoE4EjNS0_10empty_typeEbEEZZNS1_14partition_implILS8_4ELb0ES6_15HIP_vector_typeIjLj2EENS0_17counting_iteratorIjlEEPS9_SG_NS0_5tupleIJPjSI_NS0_16reverse_iteratorISI_EEEEENSH_IJSG_SG_SG_EEES9_SI_JZNS1_25segmented_radix_sort_implINS0_14default_configELb1EPK6__halfPSP_PKlPlN2at6native12_GLOBAL__N_18offset_tEEE10hipError_tPvRmT1_PNSt15iterator_traitsIS13_E10value_typeET2_T3_PNS14_IS19_E10value_typeET4_jRbjT5_S1F_jjP12ihipStream_tbEUljE_ZNSN_ISO_Lb1ESR_SS_SU_SV_SZ_EES10_S11_S12_S13_S17_S18_S19_S1C_S1D_jS1E_jS1F_S1F_jjS1H_bEUljE0_EEES10_S11_S12_S19_S1D_S1F_T6_T7_T9_mT8_S1H_bDpT10_ENKUlT_T0_E_clISt17integral_constantIbLb0EES1U_IbLb1EEEEDaS1Q_S1R_EUlS1Q_E_NS1_11comp_targetILNS1_3genE8ELNS1_11target_archE1030ELNS1_3gpuE2ELNS1_3repE0EEENS1_30default_config_static_selectorELNS0_4arch9wavefront6targetE0EEEvS13_, .Lfunc_end1706-_ZN7rocprim17ROCPRIM_400000_NS6detail17trampoline_kernelINS0_13select_configILj256ELj13ELNS0_17block_load_methodE3ELS4_3ELS4_3ELNS0_20block_scan_algorithmE0ELj4294967295EEENS1_25partition_config_selectorILNS1_17partition_subalgoE4EjNS0_10empty_typeEbEEZZNS1_14partition_implILS8_4ELb0ES6_15HIP_vector_typeIjLj2EENS0_17counting_iteratorIjlEEPS9_SG_NS0_5tupleIJPjSI_NS0_16reverse_iteratorISI_EEEEENSH_IJSG_SG_SG_EEES9_SI_JZNS1_25segmented_radix_sort_implINS0_14default_configELb1EPK6__halfPSP_PKlPlN2at6native12_GLOBAL__N_18offset_tEEE10hipError_tPvRmT1_PNSt15iterator_traitsIS13_E10value_typeET2_T3_PNS14_IS19_E10value_typeET4_jRbjT5_S1F_jjP12ihipStream_tbEUljE_ZNSN_ISO_Lb1ESR_SS_SU_SV_SZ_EES10_S11_S12_S13_S17_S18_S19_S1C_S1D_jS1E_jS1F_S1F_jjS1H_bEUljE0_EEES10_S11_S12_S19_S1D_S1F_T6_T7_T9_mT8_S1H_bDpT10_ENKUlT_T0_E_clISt17integral_constantIbLb0EES1U_IbLb1EEEEDaS1Q_S1R_EUlS1Q_E_NS1_11comp_targetILNS1_3genE8ELNS1_11target_archE1030ELNS1_3gpuE2ELNS1_3repE0EEENS1_30default_config_static_selectorELNS0_4arch9wavefront6targetE0EEEvS13_
                                        ; -- End function
	.section	.AMDGPU.csdata,"",@progbits
; Kernel info:
; codeLenInByte = 0
; NumSgprs: 0
; NumVgprs: 0
; ScratchSize: 0
; MemoryBound: 0
; FloatMode: 240
; IeeeMode: 1
; LDSByteSize: 0 bytes/workgroup (compile time only)
; SGPRBlocks: 0
; VGPRBlocks: 0
; NumSGPRsForWavesPerEU: 1
; NumVGPRsForWavesPerEU: 1
; Occupancy: 16
; WaveLimiterHint : 0
; COMPUTE_PGM_RSRC2:SCRATCH_EN: 0
; COMPUTE_PGM_RSRC2:USER_SGPR: 15
; COMPUTE_PGM_RSRC2:TRAP_HANDLER: 0
; COMPUTE_PGM_RSRC2:TGID_X_EN: 1
; COMPUTE_PGM_RSRC2:TGID_Y_EN: 0
; COMPUTE_PGM_RSRC2:TGID_Z_EN: 0
; COMPUTE_PGM_RSRC2:TIDIG_COMP_CNT: 0
	.section	.text._ZN7rocprim17ROCPRIM_400000_NS6detail17trampoline_kernelINS0_13select_configILj256ELj13ELNS0_17block_load_methodE3ELS4_3ELS4_3ELNS0_20block_scan_algorithmE0ELj4294967295EEENS1_25partition_config_selectorILNS1_17partition_subalgoE3EjNS0_10empty_typeEbEEZZNS1_14partition_implILS8_3ELb0ES6_jNS0_17counting_iteratorIjlEEPS9_SE_NS0_5tupleIJPjSE_EEENSF_IJSE_SE_EEES9_SG_JZNS1_25segmented_radix_sort_implINS0_14default_configELb1EPK6__halfPSL_PKlPlN2at6native12_GLOBAL__N_18offset_tEEE10hipError_tPvRmT1_PNSt15iterator_traitsISZ_E10value_typeET2_T3_PNS10_IS15_E10value_typeET4_jRbjT5_S1B_jjP12ihipStream_tbEUljE_EEESW_SX_SY_S15_S19_S1B_T6_T7_T9_mT8_S1D_bDpT10_ENKUlT_T0_E_clISt17integral_constantIbLb0EES1Q_EEDaS1L_S1M_EUlS1L_E_NS1_11comp_targetILNS1_3genE0ELNS1_11target_archE4294967295ELNS1_3gpuE0ELNS1_3repE0EEENS1_30default_config_static_selectorELNS0_4arch9wavefront6targetE0EEEvSZ_,"axG",@progbits,_ZN7rocprim17ROCPRIM_400000_NS6detail17trampoline_kernelINS0_13select_configILj256ELj13ELNS0_17block_load_methodE3ELS4_3ELS4_3ELNS0_20block_scan_algorithmE0ELj4294967295EEENS1_25partition_config_selectorILNS1_17partition_subalgoE3EjNS0_10empty_typeEbEEZZNS1_14partition_implILS8_3ELb0ES6_jNS0_17counting_iteratorIjlEEPS9_SE_NS0_5tupleIJPjSE_EEENSF_IJSE_SE_EEES9_SG_JZNS1_25segmented_radix_sort_implINS0_14default_configELb1EPK6__halfPSL_PKlPlN2at6native12_GLOBAL__N_18offset_tEEE10hipError_tPvRmT1_PNSt15iterator_traitsISZ_E10value_typeET2_T3_PNS10_IS15_E10value_typeET4_jRbjT5_S1B_jjP12ihipStream_tbEUljE_EEESW_SX_SY_S15_S19_S1B_T6_T7_T9_mT8_S1D_bDpT10_ENKUlT_T0_E_clISt17integral_constantIbLb0EES1Q_EEDaS1L_S1M_EUlS1L_E_NS1_11comp_targetILNS1_3genE0ELNS1_11target_archE4294967295ELNS1_3gpuE0ELNS1_3repE0EEENS1_30default_config_static_selectorELNS0_4arch9wavefront6targetE0EEEvSZ_,comdat
	.globl	_ZN7rocprim17ROCPRIM_400000_NS6detail17trampoline_kernelINS0_13select_configILj256ELj13ELNS0_17block_load_methodE3ELS4_3ELS4_3ELNS0_20block_scan_algorithmE0ELj4294967295EEENS1_25partition_config_selectorILNS1_17partition_subalgoE3EjNS0_10empty_typeEbEEZZNS1_14partition_implILS8_3ELb0ES6_jNS0_17counting_iteratorIjlEEPS9_SE_NS0_5tupleIJPjSE_EEENSF_IJSE_SE_EEES9_SG_JZNS1_25segmented_radix_sort_implINS0_14default_configELb1EPK6__halfPSL_PKlPlN2at6native12_GLOBAL__N_18offset_tEEE10hipError_tPvRmT1_PNSt15iterator_traitsISZ_E10value_typeET2_T3_PNS10_IS15_E10value_typeET4_jRbjT5_S1B_jjP12ihipStream_tbEUljE_EEESW_SX_SY_S15_S19_S1B_T6_T7_T9_mT8_S1D_bDpT10_ENKUlT_T0_E_clISt17integral_constantIbLb0EES1Q_EEDaS1L_S1M_EUlS1L_E_NS1_11comp_targetILNS1_3genE0ELNS1_11target_archE4294967295ELNS1_3gpuE0ELNS1_3repE0EEENS1_30default_config_static_selectorELNS0_4arch9wavefront6targetE0EEEvSZ_ ; -- Begin function _ZN7rocprim17ROCPRIM_400000_NS6detail17trampoline_kernelINS0_13select_configILj256ELj13ELNS0_17block_load_methodE3ELS4_3ELS4_3ELNS0_20block_scan_algorithmE0ELj4294967295EEENS1_25partition_config_selectorILNS1_17partition_subalgoE3EjNS0_10empty_typeEbEEZZNS1_14partition_implILS8_3ELb0ES6_jNS0_17counting_iteratorIjlEEPS9_SE_NS0_5tupleIJPjSE_EEENSF_IJSE_SE_EEES9_SG_JZNS1_25segmented_radix_sort_implINS0_14default_configELb1EPK6__halfPSL_PKlPlN2at6native12_GLOBAL__N_18offset_tEEE10hipError_tPvRmT1_PNSt15iterator_traitsISZ_E10value_typeET2_T3_PNS10_IS15_E10value_typeET4_jRbjT5_S1B_jjP12ihipStream_tbEUljE_EEESW_SX_SY_S15_S19_S1B_T6_T7_T9_mT8_S1D_bDpT10_ENKUlT_T0_E_clISt17integral_constantIbLb0EES1Q_EEDaS1L_S1M_EUlS1L_E_NS1_11comp_targetILNS1_3genE0ELNS1_11target_archE4294967295ELNS1_3gpuE0ELNS1_3repE0EEENS1_30default_config_static_selectorELNS0_4arch9wavefront6targetE0EEEvSZ_
	.p2align	8
	.type	_ZN7rocprim17ROCPRIM_400000_NS6detail17trampoline_kernelINS0_13select_configILj256ELj13ELNS0_17block_load_methodE3ELS4_3ELS4_3ELNS0_20block_scan_algorithmE0ELj4294967295EEENS1_25partition_config_selectorILNS1_17partition_subalgoE3EjNS0_10empty_typeEbEEZZNS1_14partition_implILS8_3ELb0ES6_jNS0_17counting_iteratorIjlEEPS9_SE_NS0_5tupleIJPjSE_EEENSF_IJSE_SE_EEES9_SG_JZNS1_25segmented_radix_sort_implINS0_14default_configELb1EPK6__halfPSL_PKlPlN2at6native12_GLOBAL__N_18offset_tEEE10hipError_tPvRmT1_PNSt15iterator_traitsISZ_E10value_typeET2_T3_PNS10_IS15_E10value_typeET4_jRbjT5_S1B_jjP12ihipStream_tbEUljE_EEESW_SX_SY_S15_S19_S1B_T6_T7_T9_mT8_S1D_bDpT10_ENKUlT_T0_E_clISt17integral_constantIbLb0EES1Q_EEDaS1L_S1M_EUlS1L_E_NS1_11comp_targetILNS1_3genE0ELNS1_11target_archE4294967295ELNS1_3gpuE0ELNS1_3repE0EEENS1_30default_config_static_selectorELNS0_4arch9wavefront6targetE0EEEvSZ_,@function
_ZN7rocprim17ROCPRIM_400000_NS6detail17trampoline_kernelINS0_13select_configILj256ELj13ELNS0_17block_load_methodE3ELS4_3ELS4_3ELNS0_20block_scan_algorithmE0ELj4294967295EEENS1_25partition_config_selectorILNS1_17partition_subalgoE3EjNS0_10empty_typeEbEEZZNS1_14partition_implILS8_3ELb0ES6_jNS0_17counting_iteratorIjlEEPS9_SE_NS0_5tupleIJPjSE_EEENSF_IJSE_SE_EEES9_SG_JZNS1_25segmented_radix_sort_implINS0_14default_configELb1EPK6__halfPSL_PKlPlN2at6native12_GLOBAL__N_18offset_tEEE10hipError_tPvRmT1_PNSt15iterator_traitsISZ_E10value_typeET2_T3_PNS10_IS15_E10value_typeET4_jRbjT5_S1B_jjP12ihipStream_tbEUljE_EEESW_SX_SY_S15_S19_S1B_T6_T7_T9_mT8_S1D_bDpT10_ENKUlT_T0_E_clISt17integral_constantIbLb0EES1Q_EEDaS1L_S1M_EUlS1L_E_NS1_11comp_targetILNS1_3genE0ELNS1_11target_archE4294967295ELNS1_3gpuE0ELNS1_3repE0EEENS1_30default_config_static_selectorELNS0_4arch9wavefront6targetE0EEEvSZ_: ; @_ZN7rocprim17ROCPRIM_400000_NS6detail17trampoline_kernelINS0_13select_configILj256ELj13ELNS0_17block_load_methodE3ELS4_3ELS4_3ELNS0_20block_scan_algorithmE0ELj4294967295EEENS1_25partition_config_selectorILNS1_17partition_subalgoE3EjNS0_10empty_typeEbEEZZNS1_14partition_implILS8_3ELb0ES6_jNS0_17counting_iteratorIjlEEPS9_SE_NS0_5tupleIJPjSE_EEENSF_IJSE_SE_EEES9_SG_JZNS1_25segmented_radix_sort_implINS0_14default_configELb1EPK6__halfPSL_PKlPlN2at6native12_GLOBAL__N_18offset_tEEE10hipError_tPvRmT1_PNSt15iterator_traitsISZ_E10value_typeET2_T3_PNS10_IS15_E10value_typeET4_jRbjT5_S1B_jjP12ihipStream_tbEUljE_EEESW_SX_SY_S15_S19_S1B_T6_T7_T9_mT8_S1D_bDpT10_ENKUlT_T0_E_clISt17integral_constantIbLb0EES1Q_EEDaS1L_S1M_EUlS1L_E_NS1_11comp_targetILNS1_3genE0ELNS1_11target_archE4294967295ELNS1_3gpuE0ELNS1_3repE0EEENS1_30default_config_static_selectorELNS0_4arch9wavefront6targetE0EEEvSZ_
; %bb.0:
	.section	.rodata,"a",@progbits
	.p2align	6, 0x0
	.amdhsa_kernel _ZN7rocprim17ROCPRIM_400000_NS6detail17trampoline_kernelINS0_13select_configILj256ELj13ELNS0_17block_load_methodE3ELS4_3ELS4_3ELNS0_20block_scan_algorithmE0ELj4294967295EEENS1_25partition_config_selectorILNS1_17partition_subalgoE3EjNS0_10empty_typeEbEEZZNS1_14partition_implILS8_3ELb0ES6_jNS0_17counting_iteratorIjlEEPS9_SE_NS0_5tupleIJPjSE_EEENSF_IJSE_SE_EEES9_SG_JZNS1_25segmented_radix_sort_implINS0_14default_configELb1EPK6__halfPSL_PKlPlN2at6native12_GLOBAL__N_18offset_tEEE10hipError_tPvRmT1_PNSt15iterator_traitsISZ_E10value_typeET2_T3_PNS10_IS15_E10value_typeET4_jRbjT5_S1B_jjP12ihipStream_tbEUljE_EEESW_SX_SY_S15_S19_S1B_T6_T7_T9_mT8_S1D_bDpT10_ENKUlT_T0_E_clISt17integral_constantIbLb0EES1Q_EEDaS1L_S1M_EUlS1L_E_NS1_11comp_targetILNS1_3genE0ELNS1_11target_archE4294967295ELNS1_3gpuE0ELNS1_3repE0EEENS1_30default_config_static_selectorELNS0_4arch9wavefront6targetE0EEEvSZ_
		.amdhsa_group_segment_fixed_size 0
		.amdhsa_private_segment_fixed_size 0
		.amdhsa_kernarg_size 144
		.amdhsa_user_sgpr_count 15
		.amdhsa_user_sgpr_dispatch_ptr 0
		.amdhsa_user_sgpr_queue_ptr 0
		.amdhsa_user_sgpr_kernarg_segment_ptr 1
		.amdhsa_user_sgpr_dispatch_id 0
		.amdhsa_user_sgpr_private_segment_size 0
		.amdhsa_wavefront_size32 1
		.amdhsa_uses_dynamic_stack 0
		.amdhsa_enable_private_segment 0
		.amdhsa_system_sgpr_workgroup_id_x 1
		.amdhsa_system_sgpr_workgroup_id_y 0
		.amdhsa_system_sgpr_workgroup_id_z 0
		.amdhsa_system_sgpr_workgroup_info 0
		.amdhsa_system_vgpr_workitem_id 0
		.amdhsa_next_free_vgpr 1
		.amdhsa_next_free_sgpr 1
		.amdhsa_reserve_vcc 0
		.amdhsa_float_round_mode_32 0
		.amdhsa_float_round_mode_16_64 0
		.amdhsa_float_denorm_mode_32 3
		.amdhsa_float_denorm_mode_16_64 3
		.amdhsa_dx10_clamp 1
		.amdhsa_ieee_mode 1
		.amdhsa_fp16_overflow 0
		.amdhsa_workgroup_processor_mode 1
		.amdhsa_memory_ordered 1
		.amdhsa_forward_progress 0
		.amdhsa_shared_vgpr_count 0
		.amdhsa_exception_fp_ieee_invalid_op 0
		.amdhsa_exception_fp_denorm_src 0
		.amdhsa_exception_fp_ieee_div_zero 0
		.amdhsa_exception_fp_ieee_overflow 0
		.amdhsa_exception_fp_ieee_underflow 0
		.amdhsa_exception_fp_ieee_inexact 0
		.amdhsa_exception_int_div_zero 0
	.end_amdhsa_kernel
	.section	.text._ZN7rocprim17ROCPRIM_400000_NS6detail17trampoline_kernelINS0_13select_configILj256ELj13ELNS0_17block_load_methodE3ELS4_3ELS4_3ELNS0_20block_scan_algorithmE0ELj4294967295EEENS1_25partition_config_selectorILNS1_17partition_subalgoE3EjNS0_10empty_typeEbEEZZNS1_14partition_implILS8_3ELb0ES6_jNS0_17counting_iteratorIjlEEPS9_SE_NS0_5tupleIJPjSE_EEENSF_IJSE_SE_EEES9_SG_JZNS1_25segmented_radix_sort_implINS0_14default_configELb1EPK6__halfPSL_PKlPlN2at6native12_GLOBAL__N_18offset_tEEE10hipError_tPvRmT1_PNSt15iterator_traitsISZ_E10value_typeET2_T3_PNS10_IS15_E10value_typeET4_jRbjT5_S1B_jjP12ihipStream_tbEUljE_EEESW_SX_SY_S15_S19_S1B_T6_T7_T9_mT8_S1D_bDpT10_ENKUlT_T0_E_clISt17integral_constantIbLb0EES1Q_EEDaS1L_S1M_EUlS1L_E_NS1_11comp_targetILNS1_3genE0ELNS1_11target_archE4294967295ELNS1_3gpuE0ELNS1_3repE0EEENS1_30default_config_static_selectorELNS0_4arch9wavefront6targetE0EEEvSZ_,"axG",@progbits,_ZN7rocprim17ROCPRIM_400000_NS6detail17trampoline_kernelINS0_13select_configILj256ELj13ELNS0_17block_load_methodE3ELS4_3ELS4_3ELNS0_20block_scan_algorithmE0ELj4294967295EEENS1_25partition_config_selectorILNS1_17partition_subalgoE3EjNS0_10empty_typeEbEEZZNS1_14partition_implILS8_3ELb0ES6_jNS0_17counting_iteratorIjlEEPS9_SE_NS0_5tupleIJPjSE_EEENSF_IJSE_SE_EEES9_SG_JZNS1_25segmented_radix_sort_implINS0_14default_configELb1EPK6__halfPSL_PKlPlN2at6native12_GLOBAL__N_18offset_tEEE10hipError_tPvRmT1_PNSt15iterator_traitsISZ_E10value_typeET2_T3_PNS10_IS15_E10value_typeET4_jRbjT5_S1B_jjP12ihipStream_tbEUljE_EEESW_SX_SY_S15_S19_S1B_T6_T7_T9_mT8_S1D_bDpT10_ENKUlT_T0_E_clISt17integral_constantIbLb0EES1Q_EEDaS1L_S1M_EUlS1L_E_NS1_11comp_targetILNS1_3genE0ELNS1_11target_archE4294967295ELNS1_3gpuE0ELNS1_3repE0EEENS1_30default_config_static_selectorELNS0_4arch9wavefront6targetE0EEEvSZ_,comdat
.Lfunc_end1707:
	.size	_ZN7rocprim17ROCPRIM_400000_NS6detail17trampoline_kernelINS0_13select_configILj256ELj13ELNS0_17block_load_methodE3ELS4_3ELS4_3ELNS0_20block_scan_algorithmE0ELj4294967295EEENS1_25partition_config_selectorILNS1_17partition_subalgoE3EjNS0_10empty_typeEbEEZZNS1_14partition_implILS8_3ELb0ES6_jNS0_17counting_iteratorIjlEEPS9_SE_NS0_5tupleIJPjSE_EEENSF_IJSE_SE_EEES9_SG_JZNS1_25segmented_radix_sort_implINS0_14default_configELb1EPK6__halfPSL_PKlPlN2at6native12_GLOBAL__N_18offset_tEEE10hipError_tPvRmT1_PNSt15iterator_traitsISZ_E10value_typeET2_T3_PNS10_IS15_E10value_typeET4_jRbjT5_S1B_jjP12ihipStream_tbEUljE_EEESW_SX_SY_S15_S19_S1B_T6_T7_T9_mT8_S1D_bDpT10_ENKUlT_T0_E_clISt17integral_constantIbLb0EES1Q_EEDaS1L_S1M_EUlS1L_E_NS1_11comp_targetILNS1_3genE0ELNS1_11target_archE4294967295ELNS1_3gpuE0ELNS1_3repE0EEENS1_30default_config_static_selectorELNS0_4arch9wavefront6targetE0EEEvSZ_, .Lfunc_end1707-_ZN7rocprim17ROCPRIM_400000_NS6detail17trampoline_kernelINS0_13select_configILj256ELj13ELNS0_17block_load_methodE3ELS4_3ELS4_3ELNS0_20block_scan_algorithmE0ELj4294967295EEENS1_25partition_config_selectorILNS1_17partition_subalgoE3EjNS0_10empty_typeEbEEZZNS1_14partition_implILS8_3ELb0ES6_jNS0_17counting_iteratorIjlEEPS9_SE_NS0_5tupleIJPjSE_EEENSF_IJSE_SE_EEES9_SG_JZNS1_25segmented_radix_sort_implINS0_14default_configELb1EPK6__halfPSL_PKlPlN2at6native12_GLOBAL__N_18offset_tEEE10hipError_tPvRmT1_PNSt15iterator_traitsISZ_E10value_typeET2_T3_PNS10_IS15_E10value_typeET4_jRbjT5_S1B_jjP12ihipStream_tbEUljE_EEESW_SX_SY_S15_S19_S1B_T6_T7_T9_mT8_S1D_bDpT10_ENKUlT_T0_E_clISt17integral_constantIbLb0EES1Q_EEDaS1L_S1M_EUlS1L_E_NS1_11comp_targetILNS1_3genE0ELNS1_11target_archE4294967295ELNS1_3gpuE0ELNS1_3repE0EEENS1_30default_config_static_selectorELNS0_4arch9wavefront6targetE0EEEvSZ_
                                        ; -- End function
	.section	.AMDGPU.csdata,"",@progbits
; Kernel info:
; codeLenInByte = 0
; NumSgprs: 0
; NumVgprs: 0
; ScratchSize: 0
; MemoryBound: 0
; FloatMode: 240
; IeeeMode: 1
; LDSByteSize: 0 bytes/workgroup (compile time only)
; SGPRBlocks: 0
; VGPRBlocks: 0
; NumSGPRsForWavesPerEU: 1
; NumVGPRsForWavesPerEU: 1
; Occupancy: 16
; WaveLimiterHint : 0
; COMPUTE_PGM_RSRC2:SCRATCH_EN: 0
; COMPUTE_PGM_RSRC2:USER_SGPR: 15
; COMPUTE_PGM_RSRC2:TRAP_HANDLER: 0
; COMPUTE_PGM_RSRC2:TGID_X_EN: 1
; COMPUTE_PGM_RSRC2:TGID_Y_EN: 0
; COMPUTE_PGM_RSRC2:TGID_Z_EN: 0
; COMPUTE_PGM_RSRC2:TIDIG_COMP_CNT: 0
	.section	.text._ZN7rocprim17ROCPRIM_400000_NS6detail17trampoline_kernelINS0_13select_configILj256ELj13ELNS0_17block_load_methodE3ELS4_3ELS4_3ELNS0_20block_scan_algorithmE0ELj4294967295EEENS1_25partition_config_selectorILNS1_17partition_subalgoE3EjNS0_10empty_typeEbEEZZNS1_14partition_implILS8_3ELb0ES6_jNS0_17counting_iteratorIjlEEPS9_SE_NS0_5tupleIJPjSE_EEENSF_IJSE_SE_EEES9_SG_JZNS1_25segmented_radix_sort_implINS0_14default_configELb1EPK6__halfPSL_PKlPlN2at6native12_GLOBAL__N_18offset_tEEE10hipError_tPvRmT1_PNSt15iterator_traitsISZ_E10value_typeET2_T3_PNS10_IS15_E10value_typeET4_jRbjT5_S1B_jjP12ihipStream_tbEUljE_EEESW_SX_SY_S15_S19_S1B_T6_T7_T9_mT8_S1D_bDpT10_ENKUlT_T0_E_clISt17integral_constantIbLb0EES1Q_EEDaS1L_S1M_EUlS1L_E_NS1_11comp_targetILNS1_3genE5ELNS1_11target_archE942ELNS1_3gpuE9ELNS1_3repE0EEENS1_30default_config_static_selectorELNS0_4arch9wavefront6targetE0EEEvSZ_,"axG",@progbits,_ZN7rocprim17ROCPRIM_400000_NS6detail17trampoline_kernelINS0_13select_configILj256ELj13ELNS0_17block_load_methodE3ELS4_3ELS4_3ELNS0_20block_scan_algorithmE0ELj4294967295EEENS1_25partition_config_selectorILNS1_17partition_subalgoE3EjNS0_10empty_typeEbEEZZNS1_14partition_implILS8_3ELb0ES6_jNS0_17counting_iteratorIjlEEPS9_SE_NS0_5tupleIJPjSE_EEENSF_IJSE_SE_EEES9_SG_JZNS1_25segmented_radix_sort_implINS0_14default_configELb1EPK6__halfPSL_PKlPlN2at6native12_GLOBAL__N_18offset_tEEE10hipError_tPvRmT1_PNSt15iterator_traitsISZ_E10value_typeET2_T3_PNS10_IS15_E10value_typeET4_jRbjT5_S1B_jjP12ihipStream_tbEUljE_EEESW_SX_SY_S15_S19_S1B_T6_T7_T9_mT8_S1D_bDpT10_ENKUlT_T0_E_clISt17integral_constantIbLb0EES1Q_EEDaS1L_S1M_EUlS1L_E_NS1_11comp_targetILNS1_3genE5ELNS1_11target_archE942ELNS1_3gpuE9ELNS1_3repE0EEENS1_30default_config_static_selectorELNS0_4arch9wavefront6targetE0EEEvSZ_,comdat
	.globl	_ZN7rocprim17ROCPRIM_400000_NS6detail17trampoline_kernelINS0_13select_configILj256ELj13ELNS0_17block_load_methodE3ELS4_3ELS4_3ELNS0_20block_scan_algorithmE0ELj4294967295EEENS1_25partition_config_selectorILNS1_17partition_subalgoE3EjNS0_10empty_typeEbEEZZNS1_14partition_implILS8_3ELb0ES6_jNS0_17counting_iteratorIjlEEPS9_SE_NS0_5tupleIJPjSE_EEENSF_IJSE_SE_EEES9_SG_JZNS1_25segmented_radix_sort_implINS0_14default_configELb1EPK6__halfPSL_PKlPlN2at6native12_GLOBAL__N_18offset_tEEE10hipError_tPvRmT1_PNSt15iterator_traitsISZ_E10value_typeET2_T3_PNS10_IS15_E10value_typeET4_jRbjT5_S1B_jjP12ihipStream_tbEUljE_EEESW_SX_SY_S15_S19_S1B_T6_T7_T9_mT8_S1D_bDpT10_ENKUlT_T0_E_clISt17integral_constantIbLb0EES1Q_EEDaS1L_S1M_EUlS1L_E_NS1_11comp_targetILNS1_3genE5ELNS1_11target_archE942ELNS1_3gpuE9ELNS1_3repE0EEENS1_30default_config_static_selectorELNS0_4arch9wavefront6targetE0EEEvSZ_ ; -- Begin function _ZN7rocprim17ROCPRIM_400000_NS6detail17trampoline_kernelINS0_13select_configILj256ELj13ELNS0_17block_load_methodE3ELS4_3ELS4_3ELNS0_20block_scan_algorithmE0ELj4294967295EEENS1_25partition_config_selectorILNS1_17partition_subalgoE3EjNS0_10empty_typeEbEEZZNS1_14partition_implILS8_3ELb0ES6_jNS0_17counting_iteratorIjlEEPS9_SE_NS0_5tupleIJPjSE_EEENSF_IJSE_SE_EEES9_SG_JZNS1_25segmented_radix_sort_implINS0_14default_configELb1EPK6__halfPSL_PKlPlN2at6native12_GLOBAL__N_18offset_tEEE10hipError_tPvRmT1_PNSt15iterator_traitsISZ_E10value_typeET2_T3_PNS10_IS15_E10value_typeET4_jRbjT5_S1B_jjP12ihipStream_tbEUljE_EEESW_SX_SY_S15_S19_S1B_T6_T7_T9_mT8_S1D_bDpT10_ENKUlT_T0_E_clISt17integral_constantIbLb0EES1Q_EEDaS1L_S1M_EUlS1L_E_NS1_11comp_targetILNS1_3genE5ELNS1_11target_archE942ELNS1_3gpuE9ELNS1_3repE0EEENS1_30default_config_static_selectorELNS0_4arch9wavefront6targetE0EEEvSZ_
	.p2align	8
	.type	_ZN7rocprim17ROCPRIM_400000_NS6detail17trampoline_kernelINS0_13select_configILj256ELj13ELNS0_17block_load_methodE3ELS4_3ELS4_3ELNS0_20block_scan_algorithmE0ELj4294967295EEENS1_25partition_config_selectorILNS1_17partition_subalgoE3EjNS0_10empty_typeEbEEZZNS1_14partition_implILS8_3ELb0ES6_jNS0_17counting_iteratorIjlEEPS9_SE_NS0_5tupleIJPjSE_EEENSF_IJSE_SE_EEES9_SG_JZNS1_25segmented_radix_sort_implINS0_14default_configELb1EPK6__halfPSL_PKlPlN2at6native12_GLOBAL__N_18offset_tEEE10hipError_tPvRmT1_PNSt15iterator_traitsISZ_E10value_typeET2_T3_PNS10_IS15_E10value_typeET4_jRbjT5_S1B_jjP12ihipStream_tbEUljE_EEESW_SX_SY_S15_S19_S1B_T6_T7_T9_mT8_S1D_bDpT10_ENKUlT_T0_E_clISt17integral_constantIbLb0EES1Q_EEDaS1L_S1M_EUlS1L_E_NS1_11comp_targetILNS1_3genE5ELNS1_11target_archE942ELNS1_3gpuE9ELNS1_3repE0EEENS1_30default_config_static_selectorELNS0_4arch9wavefront6targetE0EEEvSZ_,@function
_ZN7rocprim17ROCPRIM_400000_NS6detail17trampoline_kernelINS0_13select_configILj256ELj13ELNS0_17block_load_methodE3ELS4_3ELS4_3ELNS0_20block_scan_algorithmE0ELj4294967295EEENS1_25partition_config_selectorILNS1_17partition_subalgoE3EjNS0_10empty_typeEbEEZZNS1_14partition_implILS8_3ELb0ES6_jNS0_17counting_iteratorIjlEEPS9_SE_NS0_5tupleIJPjSE_EEENSF_IJSE_SE_EEES9_SG_JZNS1_25segmented_radix_sort_implINS0_14default_configELb1EPK6__halfPSL_PKlPlN2at6native12_GLOBAL__N_18offset_tEEE10hipError_tPvRmT1_PNSt15iterator_traitsISZ_E10value_typeET2_T3_PNS10_IS15_E10value_typeET4_jRbjT5_S1B_jjP12ihipStream_tbEUljE_EEESW_SX_SY_S15_S19_S1B_T6_T7_T9_mT8_S1D_bDpT10_ENKUlT_T0_E_clISt17integral_constantIbLb0EES1Q_EEDaS1L_S1M_EUlS1L_E_NS1_11comp_targetILNS1_3genE5ELNS1_11target_archE942ELNS1_3gpuE9ELNS1_3repE0EEENS1_30default_config_static_selectorELNS0_4arch9wavefront6targetE0EEEvSZ_: ; @_ZN7rocprim17ROCPRIM_400000_NS6detail17trampoline_kernelINS0_13select_configILj256ELj13ELNS0_17block_load_methodE3ELS4_3ELS4_3ELNS0_20block_scan_algorithmE0ELj4294967295EEENS1_25partition_config_selectorILNS1_17partition_subalgoE3EjNS0_10empty_typeEbEEZZNS1_14partition_implILS8_3ELb0ES6_jNS0_17counting_iteratorIjlEEPS9_SE_NS0_5tupleIJPjSE_EEENSF_IJSE_SE_EEES9_SG_JZNS1_25segmented_radix_sort_implINS0_14default_configELb1EPK6__halfPSL_PKlPlN2at6native12_GLOBAL__N_18offset_tEEE10hipError_tPvRmT1_PNSt15iterator_traitsISZ_E10value_typeET2_T3_PNS10_IS15_E10value_typeET4_jRbjT5_S1B_jjP12ihipStream_tbEUljE_EEESW_SX_SY_S15_S19_S1B_T6_T7_T9_mT8_S1D_bDpT10_ENKUlT_T0_E_clISt17integral_constantIbLb0EES1Q_EEDaS1L_S1M_EUlS1L_E_NS1_11comp_targetILNS1_3genE5ELNS1_11target_archE942ELNS1_3gpuE9ELNS1_3repE0EEENS1_30default_config_static_selectorELNS0_4arch9wavefront6targetE0EEEvSZ_
; %bb.0:
	.section	.rodata,"a",@progbits
	.p2align	6, 0x0
	.amdhsa_kernel _ZN7rocprim17ROCPRIM_400000_NS6detail17trampoline_kernelINS0_13select_configILj256ELj13ELNS0_17block_load_methodE3ELS4_3ELS4_3ELNS0_20block_scan_algorithmE0ELj4294967295EEENS1_25partition_config_selectorILNS1_17partition_subalgoE3EjNS0_10empty_typeEbEEZZNS1_14partition_implILS8_3ELb0ES6_jNS0_17counting_iteratorIjlEEPS9_SE_NS0_5tupleIJPjSE_EEENSF_IJSE_SE_EEES9_SG_JZNS1_25segmented_radix_sort_implINS0_14default_configELb1EPK6__halfPSL_PKlPlN2at6native12_GLOBAL__N_18offset_tEEE10hipError_tPvRmT1_PNSt15iterator_traitsISZ_E10value_typeET2_T3_PNS10_IS15_E10value_typeET4_jRbjT5_S1B_jjP12ihipStream_tbEUljE_EEESW_SX_SY_S15_S19_S1B_T6_T7_T9_mT8_S1D_bDpT10_ENKUlT_T0_E_clISt17integral_constantIbLb0EES1Q_EEDaS1L_S1M_EUlS1L_E_NS1_11comp_targetILNS1_3genE5ELNS1_11target_archE942ELNS1_3gpuE9ELNS1_3repE0EEENS1_30default_config_static_selectorELNS0_4arch9wavefront6targetE0EEEvSZ_
		.amdhsa_group_segment_fixed_size 0
		.amdhsa_private_segment_fixed_size 0
		.amdhsa_kernarg_size 144
		.amdhsa_user_sgpr_count 15
		.amdhsa_user_sgpr_dispatch_ptr 0
		.amdhsa_user_sgpr_queue_ptr 0
		.amdhsa_user_sgpr_kernarg_segment_ptr 1
		.amdhsa_user_sgpr_dispatch_id 0
		.amdhsa_user_sgpr_private_segment_size 0
		.amdhsa_wavefront_size32 1
		.amdhsa_uses_dynamic_stack 0
		.amdhsa_enable_private_segment 0
		.amdhsa_system_sgpr_workgroup_id_x 1
		.amdhsa_system_sgpr_workgroup_id_y 0
		.amdhsa_system_sgpr_workgroup_id_z 0
		.amdhsa_system_sgpr_workgroup_info 0
		.amdhsa_system_vgpr_workitem_id 0
		.amdhsa_next_free_vgpr 1
		.amdhsa_next_free_sgpr 1
		.amdhsa_reserve_vcc 0
		.amdhsa_float_round_mode_32 0
		.amdhsa_float_round_mode_16_64 0
		.amdhsa_float_denorm_mode_32 3
		.amdhsa_float_denorm_mode_16_64 3
		.amdhsa_dx10_clamp 1
		.amdhsa_ieee_mode 1
		.amdhsa_fp16_overflow 0
		.amdhsa_workgroup_processor_mode 1
		.amdhsa_memory_ordered 1
		.amdhsa_forward_progress 0
		.amdhsa_shared_vgpr_count 0
		.amdhsa_exception_fp_ieee_invalid_op 0
		.amdhsa_exception_fp_denorm_src 0
		.amdhsa_exception_fp_ieee_div_zero 0
		.amdhsa_exception_fp_ieee_overflow 0
		.amdhsa_exception_fp_ieee_underflow 0
		.amdhsa_exception_fp_ieee_inexact 0
		.amdhsa_exception_int_div_zero 0
	.end_amdhsa_kernel
	.section	.text._ZN7rocprim17ROCPRIM_400000_NS6detail17trampoline_kernelINS0_13select_configILj256ELj13ELNS0_17block_load_methodE3ELS4_3ELS4_3ELNS0_20block_scan_algorithmE0ELj4294967295EEENS1_25partition_config_selectorILNS1_17partition_subalgoE3EjNS0_10empty_typeEbEEZZNS1_14partition_implILS8_3ELb0ES6_jNS0_17counting_iteratorIjlEEPS9_SE_NS0_5tupleIJPjSE_EEENSF_IJSE_SE_EEES9_SG_JZNS1_25segmented_radix_sort_implINS0_14default_configELb1EPK6__halfPSL_PKlPlN2at6native12_GLOBAL__N_18offset_tEEE10hipError_tPvRmT1_PNSt15iterator_traitsISZ_E10value_typeET2_T3_PNS10_IS15_E10value_typeET4_jRbjT5_S1B_jjP12ihipStream_tbEUljE_EEESW_SX_SY_S15_S19_S1B_T6_T7_T9_mT8_S1D_bDpT10_ENKUlT_T0_E_clISt17integral_constantIbLb0EES1Q_EEDaS1L_S1M_EUlS1L_E_NS1_11comp_targetILNS1_3genE5ELNS1_11target_archE942ELNS1_3gpuE9ELNS1_3repE0EEENS1_30default_config_static_selectorELNS0_4arch9wavefront6targetE0EEEvSZ_,"axG",@progbits,_ZN7rocprim17ROCPRIM_400000_NS6detail17trampoline_kernelINS0_13select_configILj256ELj13ELNS0_17block_load_methodE3ELS4_3ELS4_3ELNS0_20block_scan_algorithmE0ELj4294967295EEENS1_25partition_config_selectorILNS1_17partition_subalgoE3EjNS0_10empty_typeEbEEZZNS1_14partition_implILS8_3ELb0ES6_jNS0_17counting_iteratorIjlEEPS9_SE_NS0_5tupleIJPjSE_EEENSF_IJSE_SE_EEES9_SG_JZNS1_25segmented_radix_sort_implINS0_14default_configELb1EPK6__halfPSL_PKlPlN2at6native12_GLOBAL__N_18offset_tEEE10hipError_tPvRmT1_PNSt15iterator_traitsISZ_E10value_typeET2_T3_PNS10_IS15_E10value_typeET4_jRbjT5_S1B_jjP12ihipStream_tbEUljE_EEESW_SX_SY_S15_S19_S1B_T6_T7_T9_mT8_S1D_bDpT10_ENKUlT_T0_E_clISt17integral_constantIbLb0EES1Q_EEDaS1L_S1M_EUlS1L_E_NS1_11comp_targetILNS1_3genE5ELNS1_11target_archE942ELNS1_3gpuE9ELNS1_3repE0EEENS1_30default_config_static_selectorELNS0_4arch9wavefront6targetE0EEEvSZ_,comdat
.Lfunc_end1708:
	.size	_ZN7rocprim17ROCPRIM_400000_NS6detail17trampoline_kernelINS0_13select_configILj256ELj13ELNS0_17block_load_methodE3ELS4_3ELS4_3ELNS0_20block_scan_algorithmE0ELj4294967295EEENS1_25partition_config_selectorILNS1_17partition_subalgoE3EjNS0_10empty_typeEbEEZZNS1_14partition_implILS8_3ELb0ES6_jNS0_17counting_iteratorIjlEEPS9_SE_NS0_5tupleIJPjSE_EEENSF_IJSE_SE_EEES9_SG_JZNS1_25segmented_radix_sort_implINS0_14default_configELb1EPK6__halfPSL_PKlPlN2at6native12_GLOBAL__N_18offset_tEEE10hipError_tPvRmT1_PNSt15iterator_traitsISZ_E10value_typeET2_T3_PNS10_IS15_E10value_typeET4_jRbjT5_S1B_jjP12ihipStream_tbEUljE_EEESW_SX_SY_S15_S19_S1B_T6_T7_T9_mT8_S1D_bDpT10_ENKUlT_T0_E_clISt17integral_constantIbLb0EES1Q_EEDaS1L_S1M_EUlS1L_E_NS1_11comp_targetILNS1_3genE5ELNS1_11target_archE942ELNS1_3gpuE9ELNS1_3repE0EEENS1_30default_config_static_selectorELNS0_4arch9wavefront6targetE0EEEvSZ_, .Lfunc_end1708-_ZN7rocprim17ROCPRIM_400000_NS6detail17trampoline_kernelINS0_13select_configILj256ELj13ELNS0_17block_load_methodE3ELS4_3ELS4_3ELNS0_20block_scan_algorithmE0ELj4294967295EEENS1_25partition_config_selectorILNS1_17partition_subalgoE3EjNS0_10empty_typeEbEEZZNS1_14partition_implILS8_3ELb0ES6_jNS0_17counting_iteratorIjlEEPS9_SE_NS0_5tupleIJPjSE_EEENSF_IJSE_SE_EEES9_SG_JZNS1_25segmented_radix_sort_implINS0_14default_configELb1EPK6__halfPSL_PKlPlN2at6native12_GLOBAL__N_18offset_tEEE10hipError_tPvRmT1_PNSt15iterator_traitsISZ_E10value_typeET2_T3_PNS10_IS15_E10value_typeET4_jRbjT5_S1B_jjP12ihipStream_tbEUljE_EEESW_SX_SY_S15_S19_S1B_T6_T7_T9_mT8_S1D_bDpT10_ENKUlT_T0_E_clISt17integral_constantIbLb0EES1Q_EEDaS1L_S1M_EUlS1L_E_NS1_11comp_targetILNS1_3genE5ELNS1_11target_archE942ELNS1_3gpuE9ELNS1_3repE0EEENS1_30default_config_static_selectorELNS0_4arch9wavefront6targetE0EEEvSZ_
                                        ; -- End function
	.section	.AMDGPU.csdata,"",@progbits
; Kernel info:
; codeLenInByte = 0
; NumSgprs: 0
; NumVgprs: 0
; ScratchSize: 0
; MemoryBound: 0
; FloatMode: 240
; IeeeMode: 1
; LDSByteSize: 0 bytes/workgroup (compile time only)
; SGPRBlocks: 0
; VGPRBlocks: 0
; NumSGPRsForWavesPerEU: 1
; NumVGPRsForWavesPerEU: 1
; Occupancy: 16
; WaveLimiterHint : 0
; COMPUTE_PGM_RSRC2:SCRATCH_EN: 0
; COMPUTE_PGM_RSRC2:USER_SGPR: 15
; COMPUTE_PGM_RSRC2:TRAP_HANDLER: 0
; COMPUTE_PGM_RSRC2:TGID_X_EN: 1
; COMPUTE_PGM_RSRC2:TGID_Y_EN: 0
; COMPUTE_PGM_RSRC2:TGID_Z_EN: 0
; COMPUTE_PGM_RSRC2:TIDIG_COMP_CNT: 0
	.section	.text._ZN7rocprim17ROCPRIM_400000_NS6detail17trampoline_kernelINS0_13select_configILj256ELj13ELNS0_17block_load_methodE3ELS4_3ELS4_3ELNS0_20block_scan_algorithmE0ELj4294967295EEENS1_25partition_config_selectorILNS1_17partition_subalgoE3EjNS0_10empty_typeEbEEZZNS1_14partition_implILS8_3ELb0ES6_jNS0_17counting_iteratorIjlEEPS9_SE_NS0_5tupleIJPjSE_EEENSF_IJSE_SE_EEES9_SG_JZNS1_25segmented_radix_sort_implINS0_14default_configELb1EPK6__halfPSL_PKlPlN2at6native12_GLOBAL__N_18offset_tEEE10hipError_tPvRmT1_PNSt15iterator_traitsISZ_E10value_typeET2_T3_PNS10_IS15_E10value_typeET4_jRbjT5_S1B_jjP12ihipStream_tbEUljE_EEESW_SX_SY_S15_S19_S1B_T6_T7_T9_mT8_S1D_bDpT10_ENKUlT_T0_E_clISt17integral_constantIbLb0EES1Q_EEDaS1L_S1M_EUlS1L_E_NS1_11comp_targetILNS1_3genE4ELNS1_11target_archE910ELNS1_3gpuE8ELNS1_3repE0EEENS1_30default_config_static_selectorELNS0_4arch9wavefront6targetE0EEEvSZ_,"axG",@progbits,_ZN7rocprim17ROCPRIM_400000_NS6detail17trampoline_kernelINS0_13select_configILj256ELj13ELNS0_17block_load_methodE3ELS4_3ELS4_3ELNS0_20block_scan_algorithmE0ELj4294967295EEENS1_25partition_config_selectorILNS1_17partition_subalgoE3EjNS0_10empty_typeEbEEZZNS1_14partition_implILS8_3ELb0ES6_jNS0_17counting_iteratorIjlEEPS9_SE_NS0_5tupleIJPjSE_EEENSF_IJSE_SE_EEES9_SG_JZNS1_25segmented_radix_sort_implINS0_14default_configELb1EPK6__halfPSL_PKlPlN2at6native12_GLOBAL__N_18offset_tEEE10hipError_tPvRmT1_PNSt15iterator_traitsISZ_E10value_typeET2_T3_PNS10_IS15_E10value_typeET4_jRbjT5_S1B_jjP12ihipStream_tbEUljE_EEESW_SX_SY_S15_S19_S1B_T6_T7_T9_mT8_S1D_bDpT10_ENKUlT_T0_E_clISt17integral_constantIbLb0EES1Q_EEDaS1L_S1M_EUlS1L_E_NS1_11comp_targetILNS1_3genE4ELNS1_11target_archE910ELNS1_3gpuE8ELNS1_3repE0EEENS1_30default_config_static_selectorELNS0_4arch9wavefront6targetE0EEEvSZ_,comdat
	.globl	_ZN7rocprim17ROCPRIM_400000_NS6detail17trampoline_kernelINS0_13select_configILj256ELj13ELNS0_17block_load_methodE3ELS4_3ELS4_3ELNS0_20block_scan_algorithmE0ELj4294967295EEENS1_25partition_config_selectorILNS1_17partition_subalgoE3EjNS0_10empty_typeEbEEZZNS1_14partition_implILS8_3ELb0ES6_jNS0_17counting_iteratorIjlEEPS9_SE_NS0_5tupleIJPjSE_EEENSF_IJSE_SE_EEES9_SG_JZNS1_25segmented_radix_sort_implINS0_14default_configELb1EPK6__halfPSL_PKlPlN2at6native12_GLOBAL__N_18offset_tEEE10hipError_tPvRmT1_PNSt15iterator_traitsISZ_E10value_typeET2_T3_PNS10_IS15_E10value_typeET4_jRbjT5_S1B_jjP12ihipStream_tbEUljE_EEESW_SX_SY_S15_S19_S1B_T6_T7_T9_mT8_S1D_bDpT10_ENKUlT_T0_E_clISt17integral_constantIbLb0EES1Q_EEDaS1L_S1M_EUlS1L_E_NS1_11comp_targetILNS1_3genE4ELNS1_11target_archE910ELNS1_3gpuE8ELNS1_3repE0EEENS1_30default_config_static_selectorELNS0_4arch9wavefront6targetE0EEEvSZ_ ; -- Begin function _ZN7rocprim17ROCPRIM_400000_NS6detail17trampoline_kernelINS0_13select_configILj256ELj13ELNS0_17block_load_methodE3ELS4_3ELS4_3ELNS0_20block_scan_algorithmE0ELj4294967295EEENS1_25partition_config_selectorILNS1_17partition_subalgoE3EjNS0_10empty_typeEbEEZZNS1_14partition_implILS8_3ELb0ES6_jNS0_17counting_iteratorIjlEEPS9_SE_NS0_5tupleIJPjSE_EEENSF_IJSE_SE_EEES9_SG_JZNS1_25segmented_radix_sort_implINS0_14default_configELb1EPK6__halfPSL_PKlPlN2at6native12_GLOBAL__N_18offset_tEEE10hipError_tPvRmT1_PNSt15iterator_traitsISZ_E10value_typeET2_T3_PNS10_IS15_E10value_typeET4_jRbjT5_S1B_jjP12ihipStream_tbEUljE_EEESW_SX_SY_S15_S19_S1B_T6_T7_T9_mT8_S1D_bDpT10_ENKUlT_T0_E_clISt17integral_constantIbLb0EES1Q_EEDaS1L_S1M_EUlS1L_E_NS1_11comp_targetILNS1_3genE4ELNS1_11target_archE910ELNS1_3gpuE8ELNS1_3repE0EEENS1_30default_config_static_selectorELNS0_4arch9wavefront6targetE0EEEvSZ_
	.p2align	8
	.type	_ZN7rocprim17ROCPRIM_400000_NS6detail17trampoline_kernelINS0_13select_configILj256ELj13ELNS0_17block_load_methodE3ELS4_3ELS4_3ELNS0_20block_scan_algorithmE0ELj4294967295EEENS1_25partition_config_selectorILNS1_17partition_subalgoE3EjNS0_10empty_typeEbEEZZNS1_14partition_implILS8_3ELb0ES6_jNS0_17counting_iteratorIjlEEPS9_SE_NS0_5tupleIJPjSE_EEENSF_IJSE_SE_EEES9_SG_JZNS1_25segmented_radix_sort_implINS0_14default_configELb1EPK6__halfPSL_PKlPlN2at6native12_GLOBAL__N_18offset_tEEE10hipError_tPvRmT1_PNSt15iterator_traitsISZ_E10value_typeET2_T3_PNS10_IS15_E10value_typeET4_jRbjT5_S1B_jjP12ihipStream_tbEUljE_EEESW_SX_SY_S15_S19_S1B_T6_T7_T9_mT8_S1D_bDpT10_ENKUlT_T0_E_clISt17integral_constantIbLb0EES1Q_EEDaS1L_S1M_EUlS1L_E_NS1_11comp_targetILNS1_3genE4ELNS1_11target_archE910ELNS1_3gpuE8ELNS1_3repE0EEENS1_30default_config_static_selectorELNS0_4arch9wavefront6targetE0EEEvSZ_,@function
_ZN7rocprim17ROCPRIM_400000_NS6detail17trampoline_kernelINS0_13select_configILj256ELj13ELNS0_17block_load_methodE3ELS4_3ELS4_3ELNS0_20block_scan_algorithmE0ELj4294967295EEENS1_25partition_config_selectorILNS1_17partition_subalgoE3EjNS0_10empty_typeEbEEZZNS1_14partition_implILS8_3ELb0ES6_jNS0_17counting_iteratorIjlEEPS9_SE_NS0_5tupleIJPjSE_EEENSF_IJSE_SE_EEES9_SG_JZNS1_25segmented_radix_sort_implINS0_14default_configELb1EPK6__halfPSL_PKlPlN2at6native12_GLOBAL__N_18offset_tEEE10hipError_tPvRmT1_PNSt15iterator_traitsISZ_E10value_typeET2_T3_PNS10_IS15_E10value_typeET4_jRbjT5_S1B_jjP12ihipStream_tbEUljE_EEESW_SX_SY_S15_S19_S1B_T6_T7_T9_mT8_S1D_bDpT10_ENKUlT_T0_E_clISt17integral_constantIbLb0EES1Q_EEDaS1L_S1M_EUlS1L_E_NS1_11comp_targetILNS1_3genE4ELNS1_11target_archE910ELNS1_3gpuE8ELNS1_3repE0EEENS1_30default_config_static_selectorELNS0_4arch9wavefront6targetE0EEEvSZ_: ; @_ZN7rocprim17ROCPRIM_400000_NS6detail17trampoline_kernelINS0_13select_configILj256ELj13ELNS0_17block_load_methodE3ELS4_3ELS4_3ELNS0_20block_scan_algorithmE0ELj4294967295EEENS1_25partition_config_selectorILNS1_17partition_subalgoE3EjNS0_10empty_typeEbEEZZNS1_14partition_implILS8_3ELb0ES6_jNS0_17counting_iteratorIjlEEPS9_SE_NS0_5tupleIJPjSE_EEENSF_IJSE_SE_EEES9_SG_JZNS1_25segmented_radix_sort_implINS0_14default_configELb1EPK6__halfPSL_PKlPlN2at6native12_GLOBAL__N_18offset_tEEE10hipError_tPvRmT1_PNSt15iterator_traitsISZ_E10value_typeET2_T3_PNS10_IS15_E10value_typeET4_jRbjT5_S1B_jjP12ihipStream_tbEUljE_EEESW_SX_SY_S15_S19_S1B_T6_T7_T9_mT8_S1D_bDpT10_ENKUlT_T0_E_clISt17integral_constantIbLb0EES1Q_EEDaS1L_S1M_EUlS1L_E_NS1_11comp_targetILNS1_3genE4ELNS1_11target_archE910ELNS1_3gpuE8ELNS1_3repE0EEENS1_30default_config_static_selectorELNS0_4arch9wavefront6targetE0EEEvSZ_
; %bb.0:
	.section	.rodata,"a",@progbits
	.p2align	6, 0x0
	.amdhsa_kernel _ZN7rocprim17ROCPRIM_400000_NS6detail17trampoline_kernelINS0_13select_configILj256ELj13ELNS0_17block_load_methodE3ELS4_3ELS4_3ELNS0_20block_scan_algorithmE0ELj4294967295EEENS1_25partition_config_selectorILNS1_17partition_subalgoE3EjNS0_10empty_typeEbEEZZNS1_14partition_implILS8_3ELb0ES6_jNS0_17counting_iteratorIjlEEPS9_SE_NS0_5tupleIJPjSE_EEENSF_IJSE_SE_EEES9_SG_JZNS1_25segmented_radix_sort_implINS0_14default_configELb1EPK6__halfPSL_PKlPlN2at6native12_GLOBAL__N_18offset_tEEE10hipError_tPvRmT1_PNSt15iterator_traitsISZ_E10value_typeET2_T3_PNS10_IS15_E10value_typeET4_jRbjT5_S1B_jjP12ihipStream_tbEUljE_EEESW_SX_SY_S15_S19_S1B_T6_T7_T9_mT8_S1D_bDpT10_ENKUlT_T0_E_clISt17integral_constantIbLb0EES1Q_EEDaS1L_S1M_EUlS1L_E_NS1_11comp_targetILNS1_3genE4ELNS1_11target_archE910ELNS1_3gpuE8ELNS1_3repE0EEENS1_30default_config_static_selectorELNS0_4arch9wavefront6targetE0EEEvSZ_
		.amdhsa_group_segment_fixed_size 0
		.amdhsa_private_segment_fixed_size 0
		.amdhsa_kernarg_size 144
		.amdhsa_user_sgpr_count 15
		.amdhsa_user_sgpr_dispatch_ptr 0
		.amdhsa_user_sgpr_queue_ptr 0
		.amdhsa_user_sgpr_kernarg_segment_ptr 1
		.amdhsa_user_sgpr_dispatch_id 0
		.amdhsa_user_sgpr_private_segment_size 0
		.amdhsa_wavefront_size32 1
		.amdhsa_uses_dynamic_stack 0
		.amdhsa_enable_private_segment 0
		.amdhsa_system_sgpr_workgroup_id_x 1
		.amdhsa_system_sgpr_workgroup_id_y 0
		.amdhsa_system_sgpr_workgroup_id_z 0
		.amdhsa_system_sgpr_workgroup_info 0
		.amdhsa_system_vgpr_workitem_id 0
		.amdhsa_next_free_vgpr 1
		.amdhsa_next_free_sgpr 1
		.amdhsa_reserve_vcc 0
		.amdhsa_float_round_mode_32 0
		.amdhsa_float_round_mode_16_64 0
		.amdhsa_float_denorm_mode_32 3
		.amdhsa_float_denorm_mode_16_64 3
		.amdhsa_dx10_clamp 1
		.amdhsa_ieee_mode 1
		.amdhsa_fp16_overflow 0
		.amdhsa_workgroup_processor_mode 1
		.amdhsa_memory_ordered 1
		.amdhsa_forward_progress 0
		.amdhsa_shared_vgpr_count 0
		.amdhsa_exception_fp_ieee_invalid_op 0
		.amdhsa_exception_fp_denorm_src 0
		.amdhsa_exception_fp_ieee_div_zero 0
		.amdhsa_exception_fp_ieee_overflow 0
		.amdhsa_exception_fp_ieee_underflow 0
		.amdhsa_exception_fp_ieee_inexact 0
		.amdhsa_exception_int_div_zero 0
	.end_amdhsa_kernel
	.section	.text._ZN7rocprim17ROCPRIM_400000_NS6detail17trampoline_kernelINS0_13select_configILj256ELj13ELNS0_17block_load_methodE3ELS4_3ELS4_3ELNS0_20block_scan_algorithmE0ELj4294967295EEENS1_25partition_config_selectorILNS1_17partition_subalgoE3EjNS0_10empty_typeEbEEZZNS1_14partition_implILS8_3ELb0ES6_jNS0_17counting_iteratorIjlEEPS9_SE_NS0_5tupleIJPjSE_EEENSF_IJSE_SE_EEES9_SG_JZNS1_25segmented_radix_sort_implINS0_14default_configELb1EPK6__halfPSL_PKlPlN2at6native12_GLOBAL__N_18offset_tEEE10hipError_tPvRmT1_PNSt15iterator_traitsISZ_E10value_typeET2_T3_PNS10_IS15_E10value_typeET4_jRbjT5_S1B_jjP12ihipStream_tbEUljE_EEESW_SX_SY_S15_S19_S1B_T6_T7_T9_mT8_S1D_bDpT10_ENKUlT_T0_E_clISt17integral_constantIbLb0EES1Q_EEDaS1L_S1M_EUlS1L_E_NS1_11comp_targetILNS1_3genE4ELNS1_11target_archE910ELNS1_3gpuE8ELNS1_3repE0EEENS1_30default_config_static_selectorELNS0_4arch9wavefront6targetE0EEEvSZ_,"axG",@progbits,_ZN7rocprim17ROCPRIM_400000_NS6detail17trampoline_kernelINS0_13select_configILj256ELj13ELNS0_17block_load_methodE3ELS4_3ELS4_3ELNS0_20block_scan_algorithmE0ELj4294967295EEENS1_25partition_config_selectorILNS1_17partition_subalgoE3EjNS0_10empty_typeEbEEZZNS1_14partition_implILS8_3ELb0ES6_jNS0_17counting_iteratorIjlEEPS9_SE_NS0_5tupleIJPjSE_EEENSF_IJSE_SE_EEES9_SG_JZNS1_25segmented_radix_sort_implINS0_14default_configELb1EPK6__halfPSL_PKlPlN2at6native12_GLOBAL__N_18offset_tEEE10hipError_tPvRmT1_PNSt15iterator_traitsISZ_E10value_typeET2_T3_PNS10_IS15_E10value_typeET4_jRbjT5_S1B_jjP12ihipStream_tbEUljE_EEESW_SX_SY_S15_S19_S1B_T6_T7_T9_mT8_S1D_bDpT10_ENKUlT_T0_E_clISt17integral_constantIbLb0EES1Q_EEDaS1L_S1M_EUlS1L_E_NS1_11comp_targetILNS1_3genE4ELNS1_11target_archE910ELNS1_3gpuE8ELNS1_3repE0EEENS1_30default_config_static_selectorELNS0_4arch9wavefront6targetE0EEEvSZ_,comdat
.Lfunc_end1709:
	.size	_ZN7rocprim17ROCPRIM_400000_NS6detail17trampoline_kernelINS0_13select_configILj256ELj13ELNS0_17block_load_methodE3ELS4_3ELS4_3ELNS0_20block_scan_algorithmE0ELj4294967295EEENS1_25partition_config_selectorILNS1_17partition_subalgoE3EjNS0_10empty_typeEbEEZZNS1_14partition_implILS8_3ELb0ES6_jNS0_17counting_iteratorIjlEEPS9_SE_NS0_5tupleIJPjSE_EEENSF_IJSE_SE_EEES9_SG_JZNS1_25segmented_radix_sort_implINS0_14default_configELb1EPK6__halfPSL_PKlPlN2at6native12_GLOBAL__N_18offset_tEEE10hipError_tPvRmT1_PNSt15iterator_traitsISZ_E10value_typeET2_T3_PNS10_IS15_E10value_typeET4_jRbjT5_S1B_jjP12ihipStream_tbEUljE_EEESW_SX_SY_S15_S19_S1B_T6_T7_T9_mT8_S1D_bDpT10_ENKUlT_T0_E_clISt17integral_constantIbLb0EES1Q_EEDaS1L_S1M_EUlS1L_E_NS1_11comp_targetILNS1_3genE4ELNS1_11target_archE910ELNS1_3gpuE8ELNS1_3repE0EEENS1_30default_config_static_selectorELNS0_4arch9wavefront6targetE0EEEvSZ_, .Lfunc_end1709-_ZN7rocprim17ROCPRIM_400000_NS6detail17trampoline_kernelINS0_13select_configILj256ELj13ELNS0_17block_load_methodE3ELS4_3ELS4_3ELNS0_20block_scan_algorithmE0ELj4294967295EEENS1_25partition_config_selectorILNS1_17partition_subalgoE3EjNS0_10empty_typeEbEEZZNS1_14partition_implILS8_3ELb0ES6_jNS0_17counting_iteratorIjlEEPS9_SE_NS0_5tupleIJPjSE_EEENSF_IJSE_SE_EEES9_SG_JZNS1_25segmented_radix_sort_implINS0_14default_configELb1EPK6__halfPSL_PKlPlN2at6native12_GLOBAL__N_18offset_tEEE10hipError_tPvRmT1_PNSt15iterator_traitsISZ_E10value_typeET2_T3_PNS10_IS15_E10value_typeET4_jRbjT5_S1B_jjP12ihipStream_tbEUljE_EEESW_SX_SY_S15_S19_S1B_T6_T7_T9_mT8_S1D_bDpT10_ENKUlT_T0_E_clISt17integral_constantIbLb0EES1Q_EEDaS1L_S1M_EUlS1L_E_NS1_11comp_targetILNS1_3genE4ELNS1_11target_archE910ELNS1_3gpuE8ELNS1_3repE0EEENS1_30default_config_static_selectorELNS0_4arch9wavefront6targetE0EEEvSZ_
                                        ; -- End function
	.section	.AMDGPU.csdata,"",@progbits
; Kernel info:
; codeLenInByte = 0
; NumSgprs: 0
; NumVgprs: 0
; ScratchSize: 0
; MemoryBound: 0
; FloatMode: 240
; IeeeMode: 1
; LDSByteSize: 0 bytes/workgroup (compile time only)
; SGPRBlocks: 0
; VGPRBlocks: 0
; NumSGPRsForWavesPerEU: 1
; NumVGPRsForWavesPerEU: 1
; Occupancy: 16
; WaveLimiterHint : 0
; COMPUTE_PGM_RSRC2:SCRATCH_EN: 0
; COMPUTE_PGM_RSRC2:USER_SGPR: 15
; COMPUTE_PGM_RSRC2:TRAP_HANDLER: 0
; COMPUTE_PGM_RSRC2:TGID_X_EN: 1
; COMPUTE_PGM_RSRC2:TGID_Y_EN: 0
; COMPUTE_PGM_RSRC2:TGID_Z_EN: 0
; COMPUTE_PGM_RSRC2:TIDIG_COMP_CNT: 0
	.section	.text._ZN7rocprim17ROCPRIM_400000_NS6detail17trampoline_kernelINS0_13select_configILj256ELj13ELNS0_17block_load_methodE3ELS4_3ELS4_3ELNS0_20block_scan_algorithmE0ELj4294967295EEENS1_25partition_config_selectorILNS1_17partition_subalgoE3EjNS0_10empty_typeEbEEZZNS1_14partition_implILS8_3ELb0ES6_jNS0_17counting_iteratorIjlEEPS9_SE_NS0_5tupleIJPjSE_EEENSF_IJSE_SE_EEES9_SG_JZNS1_25segmented_radix_sort_implINS0_14default_configELb1EPK6__halfPSL_PKlPlN2at6native12_GLOBAL__N_18offset_tEEE10hipError_tPvRmT1_PNSt15iterator_traitsISZ_E10value_typeET2_T3_PNS10_IS15_E10value_typeET4_jRbjT5_S1B_jjP12ihipStream_tbEUljE_EEESW_SX_SY_S15_S19_S1B_T6_T7_T9_mT8_S1D_bDpT10_ENKUlT_T0_E_clISt17integral_constantIbLb0EES1Q_EEDaS1L_S1M_EUlS1L_E_NS1_11comp_targetILNS1_3genE3ELNS1_11target_archE908ELNS1_3gpuE7ELNS1_3repE0EEENS1_30default_config_static_selectorELNS0_4arch9wavefront6targetE0EEEvSZ_,"axG",@progbits,_ZN7rocprim17ROCPRIM_400000_NS6detail17trampoline_kernelINS0_13select_configILj256ELj13ELNS0_17block_load_methodE3ELS4_3ELS4_3ELNS0_20block_scan_algorithmE0ELj4294967295EEENS1_25partition_config_selectorILNS1_17partition_subalgoE3EjNS0_10empty_typeEbEEZZNS1_14partition_implILS8_3ELb0ES6_jNS0_17counting_iteratorIjlEEPS9_SE_NS0_5tupleIJPjSE_EEENSF_IJSE_SE_EEES9_SG_JZNS1_25segmented_radix_sort_implINS0_14default_configELb1EPK6__halfPSL_PKlPlN2at6native12_GLOBAL__N_18offset_tEEE10hipError_tPvRmT1_PNSt15iterator_traitsISZ_E10value_typeET2_T3_PNS10_IS15_E10value_typeET4_jRbjT5_S1B_jjP12ihipStream_tbEUljE_EEESW_SX_SY_S15_S19_S1B_T6_T7_T9_mT8_S1D_bDpT10_ENKUlT_T0_E_clISt17integral_constantIbLb0EES1Q_EEDaS1L_S1M_EUlS1L_E_NS1_11comp_targetILNS1_3genE3ELNS1_11target_archE908ELNS1_3gpuE7ELNS1_3repE0EEENS1_30default_config_static_selectorELNS0_4arch9wavefront6targetE0EEEvSZ_,comdat
	.globl	_ZN7rocprim17ROCPRIM_400000_NS6detail17trampoline_kernelINS0_13select_configILj256ELj13ELNS0_17block_load_methodE3ELS4_3ELS4_3ELNS0_20block_scan_algorithmE0ELj4294967295EEENS1_25partition_config_selectorILNS1_17partition_subalgoE3EjNS0_10empty_typeEbEEZZNS1_14partition_implILS8_3ELb0ES6_jNS0_17counting_iteratorIjlEEPS9_SE_NS0_5tupleIJPjSE_EEENSF_IJSE_SE_EEES9_SG_JZNS1_25segmented_radix_sort_implINS0_14default_configELb1EPK6__halfPSL_PKlPlN2at6native12_GLOBAL__N_18offset_tEEE10hipError_tPvRmT1_PNSt15iterator_traitsISZ_E10value_typeET2_T3_PNS10_IS15_E10value_typeET4_jRbjT5_S1B_jjP12ihipStream_tbEUljE_EEESW_SX_SY_S15_S19_S1B_T6_T7_T9_mT8_S1D_bDpT10_ENKUlT_T0_E_clISt17integral_constantIbLb0EES1Q_EEDaS1L_S1M_EUlS1L_E_NS1_11comp_targetILNS1_3genE3ELNS1_11target_archE908ELNS1_3gpuE7ELNS1_3repE0EEENS1_30default_config_static_selectorELNS0_4arch9wavefront6targetE0EEEvSZ_ ; -- Begin function _ZN7rocprim17ROCPRIM_400000_NS6detail17trampoline_kernelINS0_13select_configILj256ELj13ELNS0_17block_load_methodE3ELS4_3ELS4_3ELNS0_20block_scan_algorithmE0ELj4294967295EEENS1_25partition_config_selectorILNS1_17partition_subalgoE3EjNS0_10empty_typeEbEEZZNS1_14partition_implILS8_3ELb0ES6_jNS0_17counting_iteratorIjlEEPS9_SE_NS0_5tupleIJPjSE_EEENSF_IJSE_SE_EEES9_SG_JZNS1_25segmented_radix_sort_implINS0_14default_configELb1EPK6__halfPSL_PKlPlN2at6native12_GLOBAL__N_18offset_tEEE10hipError_tPvRmT1_PNSt15iterator_traitsISZ_E10value_typeET2_T3_PNS10_IS15_E10value_typeET4_jRbjT5_S1B_jjP12ihipStream_tbEUljE_EEESW_SX_SY_S15_S19_S1B_T6_T7_T9_mT8_S1D_bDpT10_ENKUlT_T0_E_clISt17integral_constantIbLb0EES1Q_EEDaS1L_S1M_EUlS1L_E_NS1_11comp_targetILNS1_3genE3ELNS1_11target_archE908ELNS1_3gpuE7ELNS1_3repE0EEENS1_30default_config_static_selectorELNS0_4arch9wavefront6targetE0EEEvSZ_
	.p2align	8
	.type	_ZN7rocprim17ROCPRIM_400000_NS6detail17trampoline_kernelINS0_13select_configILj256ELj13ELNS0_17block_load_methodE3ELS4_3ELS4_3ELNS0_20block_scan_algorithmE0ELj4294967295EEENS1_25partition_config_selectorILNS1_17partition_subalgoE3EjNS0_10empty_typeEbEEZZNS1_14partition_implILS8_3ELb0ES6_jNS0_17counting_iteratorIjlEEPS9_SE_NS0_5tupleIJPjSE_EEENSF_IJSE_SE_EEES9_SG_JZNS1_25segmented_radix_sort_implINS0_14default_configELb1EPK6__halfPSL_PKlPlN2at6native12_GLOBAL__N_18offset_tEEE10hipError_tPvRmT1_PNSt15iterator_traitsISZ_E10value_typeET2_T3_PNS10_IS15_E10value_typeET4_jRbjT5_S1B_jjP12ihipStream_tbEUljE_EEESW_SX_SY_S15_S19_S1B_T6_T7_T9_mT8_S1D_bDpT10_ENKUlT_T0_E_clISt17integral_constantIbLb0EES1Q_EEDaS1L_S1M_EUlS1L_E_NS1_11comp_targetILNS1_3genE3ELNS1_11target_archE908ELNS1_3gpuE7ELNS1_3repE0EEENS1_30default_config_static_selectorELNS0_4arch9wavefront6targetE0EEEvSZ_,@function
_ZN7rocprim17ROCPRIM_400000_NS6detail17trampoline_kernelINS0_13select_configILj256ELj13ELNS0_17block_load_methodE3ELS4_3ELS4_3ELNS0_20block_scan_algorithmE0ELj4294967295EEENS1_25partition_config_selectorILNS1_17partition_subalgoE3EjNS0_10empty_typeEbEEZZNS1_14partition_implILS8_3ELb0ES6_jNS0_17counting_iteratorIjlEEPS9_SE_NS0_5tupleIJPjSE_EEENSF_IJSE_SE_EEES9_SG_JZNS1_25segmented_radix_sort_implINS0_14default_configELb1EPK6__halfPSL_PKlPlN2at6native12_GLOBAL__N_18offset_tEEE10hipError_tPvRmT1_PNSt15iterator_traitsISZ_E10value_typeET2_T3_PNS10_IS15_E10value_typeET4_jRbjT5_S1B_jjP12ihipStream_tbEUljE_EEESW_SX_SY_S15_S19_S1B_T6_T7_T9_mT8_S1D_bDpT10_ENKUlT_T0_E_clISt17integral_constantIbLb0EES1Q_EEDaS1L_S1M_EUlS1L_E_NS1_11comp_targetILNS1_3genE3ELNS1_11target_archE908ELNS1_3gpuE7ELNS1_3repE0EEENS1_30default_config_static_selectorELNS0_4arch9wavefront6targetE0EEEvSZ_: ; @_ZN7rocprim17ROCPRIM_400000_NS6detail17trampoline_kernelINS0_13select_configILj256ELj13ELNS0_17block_load_methodE3ELS4_3ELS4_3ELNS0_20block_scan_algorithmE0ELj4294967295EEENS1_25partition_config_selectorILNS1_17partition_subalgoE3EjNS0_10empty_typeEbEEZZNS1_14partition_implILS8_3ELb0ES6_jNS0_17counting_iteratorIjlEEPS9_SE_NS0_5tupleIJPjSE_EEENSF_IJSE_SE_EEES9_SG_JZNS1_25segmented_radix_sort_implINS0_14default_configELb1EPK6__halfPSL_PKlPlN2at6native12_GLOBAL__N_18offset_tEEE10hipError_tPvRmT1_PNSt15iterator_traitsISZ_E10value_typeET2_T3_PNS10_IS15_E10value_typeET4_jRbjT5_S1B_jjP12ihipStream_tbEUljE_EEESW_SX_SY_S15_S19_S1B_T6_T7_T9_mT8_S1D_bDpT10_ENKUlT_T0_E_clISt17integral_constantIbLb0EES1Q_EEDaS1L_S1M_EUlS1L_E_NS1_11comp_targetILNS1_3genE3ELNS1_11target_archE908ELNS1_3gpuE7ELNS1_3repE0EEENS1_30default_config_static_selectorELNS0_4arch9wavefront6targetE0EEEvSZ_
; %bb.0:
	.section	.rodata,"a",@progbits
	.p2align	6, 0x0
	.amdhsa_kernel _ZN7rocprim17ROCPRIM_400000_NS6detail17trampoline_kernelINS0_13select_configILj256ELj13ELNS0_17block_load_methodE3ELS4_3ELS4_3ELNS0_20block_scan_algorithmE0ELj4294967295EEENS1_25partition_config_selectorILNS1_17partition_subalgoE3EjNS0_10empty_typeEbEEZZNS1_14partition_implILS8_3ELb0ES6_jNS0_17counting_iteratorIjlEEPS9_SE_NS0_5tupleIJPjSE_EEENSF_IJSE_SE_EEES9_SG_JZNS1_25segmented_radix_sort_implINS0_14default_configELb1EPK6__halfPSL_PKlPlN2at6native12_GLOBAL__N_18offset_tEEE10hipError_tPvRmT1_PNSt15iterator_traitsISZ_E10value_typeET2_T3_PNS10_IS15_E10value_typeET4_jRbjT5_S1B_jjP12ihipStream_tbEUljE_EEESW_SX_SY_S15_S19_S1B_T6_T7_T9_mT8_S1D_bDpT10_ENKUlT_T0_E_clISt17integral_constantIbLb0EES1Q_EEDaS1L_S1M_EUlS1L_E_NS1_11comp_targetILNS1_3genE3ELNS1_11target_archE908ELNS1_3gpuE7ELNS1_3repE0EEENS1_30default_config_static_selectorELNS0_4arch9wavefront6targetE0EEEvSZ_
		.amdhsa_group_segment_fixed_size 0
		.amdhsa_private_segment_fixed_size 0
		.amdhsa_kernarg_size 144
		.amdhsa_user_sgpr_count 15
		.amdhsa_user_sgpr_dispatch_ptr 0
		.amdhsa_user_sgpr_queue_ptr 0
		.amdhsa_user_sgpr_kernarg_segment_ptr 1
		.amdhsa_user_sgpr_dispatch_id 0
		.amdhsa_user_sgpr_private_segment_size 0
		.amdhsa_wavefront_size32 1
		.amdhsa_uses_dynamic_stack 0
		.amdhsa_enable_private_segment 0
		.amdhsa_system_sgpr_workgroup_id_x 1
		.amdhsa_system_sgpr_workgroup_id_y 0
		.amdhsa_system_sgpr_workgroup_id_z 0
		.amdhsa_system_sgpr_workgroup_info 0
		.amdhsa_system_vgpr_workitem_id 0
		.amdhsa_next_free_vgpr 1
		.amdhsa_next_free_sgpr 1
		.amdhsa_reserve_vcc 0
		.amdhsa_float_round_mode_32 0
		.amdhsa_float_round_mode_16_64 0
		.amdhsa_float_denorm_mode_32 3
		.amdhsa_float_denorm_mode_16_64 3
		.amdhsa_dx10_clamp 1
		.amdhsa_ieee_mode 1
		.amdhsa_fp16_overflow 0
		.amdhsa_workgroup_processor_mode 1
		.amdhsa_memory_ordered 1
		.amdhsa_forward_progress 0
		.amdhsa_shared_vgpr_count 0
		.amdhsa_exception_fp_ieee_invalid_op 0
		.amdhsa_exception_fp_denorm_src 0
		.amdhsa_exception_fp_ieee_div_zero 0
		.amdhsa_exception_fp_ieee_overflow 0
		.amdhsa_exception_fp_ieee_underflow 0
		.amdhsa_exception_fp_ieee_inexact 0
		.amdhsa_exception_int_div_zero 0
	.end_amdhsa_kernel
	.section	.text._ZN7rocprim17ROCPRIM_400000_NS6detail17trampoline_kernelINS0_13select_configILj256ELj13ELNS0_17block_load_methodE3ELS4_3ELS4_3ELNS0_20block_scan_algorithmE0ELj4294967295EEENS1_25partition_config_selectorILNS1_17partition_subalgoE3EjNS0_10empty_typeEbEEZZNS1_14partition_implILS8_3ELb0ES6_jNS0_17counting_iteratorIjlEEPS9_SE_NS0_5tupleIJPjSE_EEENSF_IJSE_SE_EEES9_SG_JZNS1_25segmented_radix_sort_implINS0_14default_configELb1EPK6__halfPSL_PKlPlN2at6native12_GLOBAL__N_18offset_tEEE10hipError_tPvRmT1_PNSt15iterator_traitsISZ_E10value_typeET2_T3_PNS10_IS15_E10value_typeET4_jRbjT5_S1B_jjP12ihipStream_tbEUljE_EEESW_SX_SY_S15_S19_S1B_T6_T7_T9_mT8_S1D_bDpT10_ENKUlT_T0_E_clISt17integral_constantIbLb0EES1Q_EEDaS1L_S1M_EUlS1L_E_NS1_11comp_targetILNS1_3genE3ELNS1_11target_archE908ELNS1_3gpuE7ELNS1_3repE0EEENS1_30default_config_static_selectorELNS0_4arch9wavefront6targetE0EEEvSZ_,"axG",@progbits,_ZN7rocprim17ROCPRIM_400000_NS6detail17trampoline_kernelINS0_13select_configILj256ELj13ELNS0_17block_load_methodE3ELS4_3ELS4_3ELNS0_20block_scan_algorithmE0ELj4294967295EEENS1_25partition_config_selectorILNS1_17partition_subalgoE3EjNS0_10empty_typeEbEEZZNS1_14partition_implILS8_3ELb0ES6_jNS0_17counting_iteratorIjlEEPS9_SE_NS0_5tupleIJPjSE_EEENSF_IJSE_SE_EEES9_SG_JZNS1_25segmented_radix_sort_implINS0_14default_configELb1EPK6__halfPSL_PKlPlN2at6native12_GLOBAL__N_18offset_tEEE10hipError_tPvRmT1_PNSt15iterator_traitsISZ_E10value_typeET2_T3_PNS10_IS15_E10value_typeET4_jRbjT5_S1B_jjP12ihipStream_tbEUljE_EEESW_SX_SY_S15_S19_S1B_T6_T7_T9_mT8_S1D_bDpT10_ENKUlT_T0_E_clISt17integral_constantIbLb0EES1Q_EEDaS1L_S1M_EUlS1L_E_NS1_11comp_targetILNS1_3genE3ELNS1_11target_archE908ELNS1_3gpuE7ELNS1_3repE0EEENS1_30default_config_static_selectorELNS0_4arch9wavefront6targetE0EEEvSZ_,comdat
.Lfunc_end1710:
	.size	_ZN7rocprim17ROCPRIM_400000_NS6detail17trampoline_kernelINS0_13select_configILj256ELj13ELNS0_17block_load_methodE3ELS4_3ELS4_3ELNS0_20block_scan_algorithmE0ELj4294967295EEENS1_25partition_config_selectorILNS1_17partition_subalgoE3EjNS0_10empty_typeEbEEZZNS1_14partition_implILS8_3ELb0ES6_jNS0_17counting_iteratorIjlEEPS9_SE_NS0_5tupleIJPjSE_EEENSF_IJSE_SE_EEES9_SG_JZNS1_25segmented_radix_sort_implINS0_14default_configELb1EPK6__halfPSL_PKlPlN2at6native12_GLOBAL__N_18offset_tEEE10hipError_tPvRmT1_PNSt15iterator_traitsISZ_E10value_typeET2_T3_PNS10_IS15_E10value_typeET4_jRbjT5_S1B_jjP12ihipStream_tbEUljE_EEESW_SX_SY_S15_S19_S1B_T6_T7_T9_mT8_S1D_bDpT10_ENKUlT_T0_E_clISt17integral_constantIbLb0EES1Q_EEDaS1L_S1M_EUlS1L_E_NS1_11comp_targetILNS1_3genE3ELNS1_11target_archE908ELNS1_3gpuE7ELNS1_3repE0EEENS1_30default_config_static_selectorELNS0_4arch9wavefront6targetE0EEEvSZ_, .Lfunc_end1710-_ZN7rocprim17ROCPRIM_400000_NS6detail17trampoline_kernelINS0_13select_configILj256ELj13ELNS0_17block_load_methodE3ELS4_3ELS4_3ELNS0_20block_scan_algorithmE0ELj4294967295EEENS1_25partition_config_selectorILNS1_17partition_subalgoE3EjNS0_10empty_typeEbEEZZNS1_14partition_implILS8_3ELb0ES6_jNS0_17counting_iteratorIjlEEPS9_SE_NS0_5tupleIJPjSE_EEENSF_IJSE_SE_EEES9_SG_JZNS1_25segmented_radix_sort_implINS0_14default_configELb1EPK6__halfPSL_PKlPlN2at6native12_GLOBAL__N_18offset_tEEE10hipError_tPvRmT1_PNSt15iterator_traitsISZ_E10value_typeET2_T3_PNS10_IS15_E10value_typeET4_jRbjT5_S1B_jjP12ihipStream_tbEUljE_EEESW_SX_SY_S15_S19_S1B_T6_T7_T9_mT8_S1D_bDpT10_ENKUlT_T0_E_clISt17integral_constantIbLb0EES1Q_EEDaS1L_S1M_EUlS1L_E_NS1_11comp_targetILNS1_3genE3ELNS1_11target_archE908ELNS1_3gpuE7ELNS1_3repE0EEENS1_30default_config_static_selectorELNS0_4arch9wavefront6targetE0EEEvSZ_
                                        ; -- End function
	.section	.AMDGPU.csdata,"",@progbits
; Kernel info:
; codeLenInByte = 0
; NumSgprs: 0
; NumVgprs: 0
; ScratchSize: 0
; MemoryBound: 0
; FloatMode: 240
; IeeeMode: 1
; LDSByteSize: 0 bytes/workgroup (compile time only)
; SGPRBlocks: 0
; VGPRBlocks: 0
; NumSGPRsForWavesPerEU: 1
; NumVGPRsForWavesPerEU: 1
; Occupancy: 16
; WaveLimiterHint : 0
; COMPUTE_PGM_RSRC2:SCRATCH_EN: 0
; COMPUTE_PGM_RSRC2:USER_SGPR: 15
; COMPUTE_PGM_RSRC2:TRAP_HANDLER: 0
; COMPUTE_PGM_RSRC2:TGID_X_EN: 1
; COMPUTE_PGM_RSRC2:TGID_Y_EN: 0
; COMPUTE_PGM_RSRC2:TGID_Z_EN: 0
; COMPUTE_PGM_RSRC2:TIDIG_COMP_CNT: 0
	.section	.text._ZN7rocprim17ROCPRIM_400000_NS6detail17trampoline_kernelINS0_13select_configILj256ELj13ELNS0_17block_load_methodE3ELS4_3ELS4_3ELNS0_20block_scan_algorithmE0ELj4294967295EEENS1_25partition_config_selectorILNS1_17partition_subalgoE3EjNS0_10empty_typeEbEEZZNS1_14partition_implILS8_3ELb0ES6_jNS0_17counting_iteratorIjlEEPS9_SE_NS0_5tupleIJPjSE_EEENSF_IJSE_SE_EEES9_SG_JZNS1_25segmented_radix_sort_implINS0_14default_configELb1EPK6__halfPSL_PKlPlN2at6native12_GLOBAL__N_18offset_tEEE10hipError_tPvRmT1_PNSt15iterator_traitsISZ_E10value_typeET2_T3_PNS10_IS15_E10value_typeET4_jRbjT5_S1B_jjP12ihipStream_tbEUljE_EEESW_SX_SY_S15_S19_S1B_T6_T7_T9_mT8_S1D_bDpT10_ENKUlT_T0_E_clISt17integral_constantIbLb0EES1Q_EEDaS1L_S1M_EUlS1L_E_NS1_11comp_targetILNS1_3genE2ELNS1_11target_archE906ELNS1_3gpuE6ELNS1_3repE0EEENS1_30default_config_static_selectorELNS0_4arch9wavefront6targetE0EEEvSZ_,"axG",@progbits,_ZN7rocprim17ROCPRIM_400000_NS6detail17trampoline_kernelINS0_13select_configILj256ELj13ELNS0_17block_load_methodE3ELS4_3ELS4_3ELNS0_20block_scan_algorithmE0ELj4294967295EEENS1_25partition_config_selectorILNS1_17partition_subalgoE3EjNS0_10empty_typeEbEEZZNS1_14partition_implILS8_3ELb0ES6_jNS0_17counting_iteratorIjlEEPS9_SE_NS0_5tupleIJPjSE_EEENSF_IJSE_SE_EEES9_SG_JZNS1_25segmented_radix_sort_implINS0_14default_configELb1EPK6__halfPSL_PKlPlN2at6native12_GLOBAL__N_18offset_tEEE10hipError_tPvRmT1_PNSt15iterator_traitsISZ_E10value_typeET2_T3_PNS10_IS15_E10value_typeET4_jRbjT5_S1B_jjP12ihipStream_tbEUljE_EEESW_SX_SY_S15_S19_S1B_T6_T7_T9_mT8_S1D_bDpT10_ENKUlT_T0_E_clISt17integral_constantIbLb0EES1Q_EEDaS1L_S1M_EUlS1L_E_NS1_11comp_targetILNS1_3genE2ELNS1_11target_archE906ELNS1_3gpuE6ELNS1_3repE0EEENS1_30default_config_static_selectorELNS0_4arch9wavefront6targetE0EEEvSZ_,comdat
	.globl	_ZN7rocprim17ROCPRIM_400000_NS6detail17trampoline_kernelINS0_13select_configILj256ELj13ELNS0_17block_load_methodE3ELS4_3ELS4_3ELNS0_20block_scan_algorithmE0ELj4294967295EEENS1_25partition_config_selectorILNS1_17partition_subalgoE3EjNS0_10empty_typeEbEEZZNS1_14partition_implILS8_3ELb0ES6_jNS0_17counting_iteratorIjlEEPS9_SE_NS0_5tupleIJPjSE_EEENSF_IJSE_SE_EEES9_SG_JZNS1_25segmented_radix_sort_implINS0_14default_configELb1EPK6__halfPSL_PKlPlN2at6native12_GLOBAL__N_18offset_tEEE10hipError_tPvRmT1_PNSt15iterator_traitsISZ_E10value_typeET2_T3_PNS10_IS15_E10value_typeET4_jRbjT5_S1B_jjP12ihipStream_tbEUljE_EEESW_SX_SY_S15_S19_S1B_T6_T7_T9_mT8_S1D_bDpT10_ENKUlT_T0_E_clISt17integral_constantIbLb0EES1Q_EEDaS1L_S1M_EUlS1L_E_NS1_11comp_targetILNS1_3genE2ELNS1_11target_archE906ELNS1_3gpuE6ELNS1_3repE0EEENS1_30default_config_static_selectorELNS0_4arch9wavefront6targetE0EEEvSZ_ ; -- Begin function _ZN7rocprim17ROCPRIM_400000_NS6detail17trampoline_kernelINS0_13select_configILj256ELj13ELNS0_17block_load_methodE3ELS4_3ELS4_3ELNS0_20block_scan_algorithmE0ELj4294967295EEENS1_25partition_config_selectorILNS1_17partition_subalgoE3EjNS0_10empty_typeEbEEZZNS1_14partition_implILS8_3ELb0ES6_jNS0_17counting_iteratorIjlEEPS9_SE_NS0_5tupleIJPjSE_EEENSF_IJSE_SE_EEES9_SG_JZNS1_25segmented_radix_sort_implINS0_14default_configELb1EPK6__halfPSL_PKlPlN2at6native12_GLOBAL__N_18offset_tEEE10hipError_tPvRmT1_PNSt15iterator_traitsISZ_E10value_typeET2_T3_PNS10_IS15_E10value_typeET4_jRbjT5_S1B_jjP12ihipStream_tbEUljE_EEESW_SX_SY_S15_S19_S1B_T6_T7_T9_mT8_S1D_bDpT10_ENKUlT_T0_E_clISt17integral_constantIbLb0EES1Q_EEDaS1L_S1M_EUlS1L_E_NS1_11comp_targetILNS1_3genE2ELNS1_11target_archE906ELNS1_3gpuE6ELNS1_3repE0EEENS1_30default_config_static_selectorELNS0_4arch9wavefront6targetE0EEEvSZ_
	.p2align	8
	.type	_ZN7rocprim17ROCPRIM_400000_NS6detail17trampoline_kernelINS0_13select_configILj256ELj13ELNS0_17block_load_methodE3ELS4_3ELS4_3ELNS0_20block_scan_algorithmE0ELj4294967295EEENS1_25partition_config_selectorILNS1_17partition_subalgoE3EjNS0_10empty_typeEbEEZZNS1_14partition_implILS8_3ELb0ES6_jNS0_17counting_iteratorIjlEEPS9_SE_NS0_5tupleIJPjSE_EEENSF_IJSE_SE_EEES9_SG_JZNS1_25segmented_radix_sort_implINS0_14default_configELb1EPK6__halfPSL_PKlPlN2at6native12_GLOBAL__N_18offset_tEEE10hipError_tPvRmT1_PNSt15iterator_traitsISZ_E10value_typeET2_T3_PNS10_IS15_E10value_typeET4_jRbjT5_S1B_jjP12ihipStream_tbEUljE_EEESW_SX_SY_S15_S19_S1B_T6_T7_T9_mT8_S1D_bDpT10_ENKUlT_T0_E_clISt17integral_constantIbLb0EES1Q_EEDaS1L_S1M_EUlS1L_E_NS1_11comp_targetILNS1_3genE2ELNS1_11target_archE906ELNS1_3gpuE6ELNS1_3repE0EEENS1_30default_config_static_selectorELNS0_4arch9wavefront6targetE0EEEvSZ_,@function
_ZN7rocprim17ROCPRIM_400000_NS6detail17trampoline_kernelINS0_13select_configILj256ELj13ELNS0_17block_load_methodE3ELS4_3ELS4_3ELNS0_20block_scan_algorithmE0ELj4294967295EEENS1_25partition_config_selectorILNS1_17partition_subalgoE3EjNS0_10empty_typeEbEEZZNS1_14partition_implILS8_3ELb0ES6_jNS0_17counting_iteratorIjlEEPS9_SE_NS0_5tupleIJPjSE_EEENSF_IJSE_SE_EEES9_SG_JZNS1_25segmented_radix_sort_implINS0_14default_configELb1EPK6__halfPSL_PKlPlN2at6native12_GLOBAL__N_18offset_tEEE10hipError_tPvRmT1_PNSt15iterator_traitsISZ_E10value_typeET2_T3_PNS10_IS15_E10value_typeET4_jRbjT5_S1B_jjP12ihipStream_tbEUljE_EEESW_SX_SY_S15_S19_S1B_T6_T7_T9_mT8_S1D_bDpT10_ENKUlT_T0_E_clISt17integral_constantIbLb0EES1Q_EEDaS1L_S1M_EUlS1L_E_NS1_11comp_targetILNS1_3genE2ELNS1_11target_archE906ELNS1_3gpuE6ELNS1_3repE0EEENS1_30default_config_static_selectorELNS0_4arch9wavefront6targetE0EEEvSZ_: ; @_ZN7rocprim17ROCPRIM_400000_NS6detail17trampoline_kernelINS0_13select_configILj256ELj13ELNS0_17block_load_methodE3ELS4_3ELS4_3ELNS0_20block_scan_algorithmE0ELj4294967295EEENS1_25partition_config_selectorILNS1_17partition_subalgoE3EjNS0_10empty_typeEbEEZZNS1_14partition_implILS8_3ELb0ES6_jNS0_17counting_iteratorIjlEEPS9_SE_NS0_5tupleIJPjSE_EEENSF_IJSE_SE_EEES9_SG_JZNS1_25segmented_radix_sort_implINS0_14default_configELb1EPK6__halfPSL_PKlPlN2at6native12_GLOBAL__N_18offset_tEEE10hipError_tPvRmT1_PNSt15iterator_traitsISZ_E10value_typeET2_T3_PNS10_IS15_E10value_typeET4_jRbjT5_S1B_jjP12ihipStream_tbEUljE_EEESW_SX_SY_S15_S19_S1B_T6_T7_T9_mT8_S1D_bDpT10_ENKUlT_T0_E_clISt17integral_constantIbLb0EES1Q_EEDaS1L_S1M_EUlS1L_E_NS1_11comp_targetILNS1_3genE2ELNS1_11target_archE906ELNS1_3gpuE6ELNS1_3repE0EEENS1_30default_config_static_selectorELNS0_4arch9wavefront6targetE0EEEvSZ_
; %bb.0:
	.section	.rodata,"a",@progbits
	.p2align	6, 0x0
	.amdhsa_kernel _ZN7rocprim17ROCPRIM_400000_NS6detail17trampoline_kernelINS0_13select_configILj256ELj13ELNS0_17block_load_methodE3ELS4_3ELS4_3ELNS0_20block_scan_algorithmE0ELj4294967295EEENS1_25partition_config_selectorILNS1_17partition_subalgoE3EjNS0_10empty_typeEbEEZZNS1_14partition_implILS8_3ELb0ES6_jNS0_17counting_iteratorIjlEEPS9_SE_NS0_5tupleIJPjSE_EEENSF_IJSE_SE_EEES9_SG_JZNS1_25segmented_radix_sort_implINS0_14default_configELb1EPK6__halfPSL_PKlPlN2at6native12_GLOBAL__N_18offset_tEEE10hipError_tPvRmT1_PNSt15iterator_traitsISZ_E10value_typeET2_T3_PNS10_IS15_E10value_typeET4_jRbjT5_S1B_jjP12ihipStream_tbEUljE_EEESW_SX_SY_S15_S19_S1B_T6_T7_T9_mT8_S1D_bDpT10_ENKUlT_T0_E_clISt17integral_constantIbLb0EES1Q_EEDaS1L_S1M_EUlS1L_E_NS1_11comp_targetILNS1_3genE2ELNS1_11target_archE906ELNS1_3gpuE6ELNS1_3repE0EEENS1_30default_config_static_selectorELNS0_4arch9wavefront6targetE0EEEvSZ_
		.amdhsa_group_segment_fixed_size 0
		.amdhsa_private_segment_fixed_size 0
		.amdhsa_kernarg_size 144
		.amdhsa_user_sgpr_count 15
		.amdhsa_user_sgpr_dispatch_ptr 0
		.amdhsa_user_sgpr_queue_ptr 0
		.amdhsa_user_sgpr_kernarg_segment_ptr 1
		.amdhsa_user_sgpr_dispatch_id 0
		.amdhsa_user_sgpr_private_segment_size 0
		.amdhsa_wavefront_size32 1
		.amdhsa_uses_dynamic_stack 0
		.amdhsa_enable_private_segment 0
		.amdhsa_system_sgpr_workgroup_id_x 1
		.amdhsa_system_sgpr_workgroup_id_y 0
		.amdhsa_system_sgpr_workgroup_id_z 0
		.amdhsa_system_sgpr_workgroup_info 0
		.amdhsa_system_vgpr_workitem_id 0
		.amdhsa_next_free_vgpr 1
		.amdhsa_next_free_sgpr 1
		.amdhsa_reserve_vcc 0
		.amdhsa_float_round_mode_32 0
		.amdhsa_float_round_mode_16_64 0
		.amdhsa_float_denorm_mode_32 3
		.amdhsa_float_denorm_mode_16_64 3
		.amdhsa_dx10_clamp 1
		.amdhsa_ieee_mode 1
		.amdhsa_fp16_overflow 0
		.amdhsa_workgroup_processor_mode 1
		.amdhsa_memory_ordered 1
		.amdhsa_forward_progress 0
		.amdhsa_shared_vgpr_count 0
		.amdhsa_exception_fp_ieee_invalid_op 0
		.amdhsa_exception_fp_denorm_src 0
		.amdhsa_exception_fp_ieee_div_zero 0
		.amdhsa_exception_fp_ieee_overflow 0
		.amdhsa_exception_fp_ieee_underflow 0
		.amdhsa_exception_fp_ieee_inexact 0
		.amdhsa_exception_int_div_zero 0
	.end_amdhsa_kernel
	.section	.text._ZN7rocprim17ROCPRIM_400000_NS6detail17trampoline_kernelINS0_13select_configILj256ELj13ELNS0_17block_load_methodE3ELS4_3ELS4_3ELNS0_20block_scan_algorithmE0ELj4294967295EEENS1_25partition_config_selectorILNS1_17partition_subalgoE3EjNS0_10empty_typeEbEEZZNS1_14partition_implILS8_3ELb0ES6_jNS0_17counting_iteratorIjlEEPS9_SE_NS0_5tupleIJPjSE_EEENSF_IJSE_SE_EEES9_SG_JZNS1_25segmented_radix_sort_implINS0_14default_configELb1EPK6__halfPSL_PKlPlN2at6native12_GLOBAL__N_18offset_tEEE10hipError_tPvRmT1_PNSt15iterator_traitsISZ_E10value_typeET2_T3_PNS10_IS15_E10value_typeET4_jRbjT5_S1B_jjP12ihipStream_tbEUljE_EEESW_SX_SY_S15_S19_S1B_T6_T7_T9_mT8_S1D_bDpT10_ENKUlT_T0_E_clISt17integral_constantIbLb0EES1Q_EEDaS1L_S1M_EUlS1L_E_NS1_11comp_targetILNS1_3genE2ELNS1_11target_archE906ELNS1_3gpuE6ELNS1_3repE0EEENS1_30default_config_static_selectorELNS0_4arch9wavefront6targetE0EEEvSZ_,"axG",@progbits,_ZN7rocprim17ROCPRIM_400000_NS6detail17trampoline_kernelINS0_13select_configILj256ELj13ELNS0_17block_load_methodE3ELS4_3ELS4_3ELNS0_20block_scan_algorithmE0ELj4294967295EEENS1_25partition_config_selectorILNS1_17partition_subalgoE3EjNS0_10empty_typeEbEEZZNS1_14partition_implILS8_3ELb0ES6_jNS0_17counting_iteratorIjlEEPS9_SE_NS0_5tupleIJPjSE_EEENSF_IJSE_SE_EEES9_SG_JZNS1_25segmented_radix_sort_implINS0_14default_configELb1EPK6__halfPSL_PKlPlN2at6native12_GLOBAL__N_18offset_tEEE10hipError_tPvRmT1_PNSt15iterator_traitsISZ_E10value_typeET2_T3_PNS10_IS15_E10value_typeET4_jRbjT5_S1B_jjP12ihipStream_tbEUljE_EEESW_SX_SY_S15_S19_S1B_T6_T7_T9_mT8_S1D_bDpT10_ENKUlT_T0_E_clISt17integral_constantIbLb0EES1Q_EEDaS1L_S1M_EUlS1L_E_NS1_11comp_targetILNS1_3genE2ELNS1_11target_archE906ELNS1_3gpuE6ELNS1_3repE0EEENS1_30default_config_static_selectorELNS0_4arch9wavefront6targetE0EEEvSZ_,comdat
.Lfunc_end1711:
	.size	_ZN7rocprim17ROCPRIM_400000_NS6detail17trampoline_kernelINS0_13select_configILj256ELj13ELNS0_17block_load_methodE3ELS4_3ELS4_3ELNS0_20block_scan_algorithmE0ELj4294967295EEENS1_25partition_config_selectorILNS1_17partition_subalgoE3EjNS0_10empty_typeEbEEZZNS1_14partition_implILS8_3ELb0ES6_jNS0_17counting_iteratorIjlEEPS9_SE_NS0_5tupleIJPjSE_EEENSF_IJSE_SE_EEES9_SG_JZNS1_25segmented_radix_sort_implINS0_14default_configELb1EPK6__halfPSL_PKlPlN2at6native12_GLOBAL__N_18offset_tEEE10hipError_tPvRmT1_PNSt15iterator_traitsISZ_E10value_typeET2_T3_PNS10_IS15_E10value_typeET4_jRbjT5_S1B_jjP12ihipStream_tbEUljE_EEESW_SX_SY_S15_S19_S1B_T6_T7_T9_mT8_S1D_bDpT10_ENKUlT_T0_E_clISt17integral_constantIbLb0EES1Q_EEDaS1L_S1M_EUlS1L_E_NS1_11comp_targetILNS1_3genE2ELNS1_11target_archE906ELNS1_3gpuE6ELNS1_3repE0EEENS1_30default_config_static_selectorELNS0_4arch9wavefront6targetE0EEEvSZ_, .Lfunc_end1711-_ZN7rocprim17ROCPRIM_400000_NS6detail17trampoline_kernelINS0_13select_configILj256ELj13ELNS0_17block_load_methodE3ELS4_3ELS4_3ELNS0_20block_scan_algorithmE0ELj4294967295EEENS1_25partition_config_selectorILNS1_17partition_subalgoE3EjNS0_10empty_typeEbEEZZNS1_14partition_implILS8_3ELb0ES6_jNS0_17counting_iteratorIjlEEPS9_SE_NS0_5tupleIJPjSE_EEENSF_IJSE_SE_EEES9_SG_JZNS1_25segmented_radix_sort_implINS0_14default_configELb1EPK6__halfPSL_PKlPlN2at6native12_GLOBAL__N_18offset_tEEE10hipError_tPvRmT1_PNSt15iterator_traitsISZ_E10value_typeET2_T3_PNS10_IS15_E10value_typeET4_jRbjT5_S1B_jjP12ihipStream_tbEUljE_EEESW_SX_SY_S15_S19_S1B_T6_T7_T9_mT8_S1D_bDpT10_ENKUlT_T0_E_clISt17integral_constantIbLb0EES1Q_EEDaS1L_S1M_EUlS1L_E_NS1_11comp_targetILNS1_3genE2ELNS1_11target_archE906ELNS1_3gpuE6ELNS1_3repE0EEENS1_30default_config_static_selectorELNS0_4arch9wavefront6targetE0EEEvSZ_
                                        ; -- End function
	.section	.AMDGPU.csdata,"",@progbits
; Kernel info:
; codeLenInByte = 0
; NumSgprs: 0
; NumVgprs: 0
; ScratchSize: 0
; MemoryBound: 0
; FloatMode: 240
; IeeeMode: 1
; LDSByteSize: 0 bytes/workgroup (compile time only)
; SGPRBlocks: 0
; VGPRBlocks: 0
; NumSGPRsForWavesPerEU: 1
; NumVGPRsForWavesPerEU: 1
; Occupancy: 16
; WaveLimiterHint : 0
; COMPUTE_PGM_RSRC2:SCRATCH_EN: 0
; COMPUTE_PGM_RSRC2:USER_SGPR: 15
; COMPUTE_PGM_RSRC2:TRAP_HANDLER: 0
; COMPUTE_PGM_RSRC2:TGID_X_EN: 1
; COMPUTE_PGM_RSRC2:TGID_Y_EN: 0
; COMPUTE_PGM_RSRC2:TGID_Z_EN: 0
; COMPUTE_PGM_RSRC2:TIDIG_COMP_CNT: 0
	.section	.text._ZN7rocprim17ROCPRIM_400000_NS6detail17trampoline_kernelINS0_13select_configILj256ELj13ELNS0_17block_load_methodE3ELS4_3ELS4_3ELNS0_20block_scan_algorithmE0ELj4294967295EEENS1_25partition_config_selectorILNS1_17partition_subalgoE3EjNS0_10empty_typeEbEEZZNS1_14partition_implILS8_3ELb0ES6_jNS0_17counting_iteratorIjlEEPS9_SE_NS0_5tupleIJPjSE_EEENSF_IJSE_SE_EEES9_SG_JZNS1_25segmented_radix_sort_implINS0_14default_configELb1EPK6__halfPSL_PKlPlN2at6native12_GLOBAL__N_18offset_tEEE10hipError_tPvRmT1_PNSt15iterator_traitsISZ_E10value_typeET2_T3_PNS10_IS15_E10value_typeET4_jRbjT5_S1B_jjP12ihipStream_tbEUljE_EEESW_SX_SY_S15_S19_S1B_T6_T7_T9_mT8_S1D_bDpT10_ENKUlT_T0_E_clISt17integral_constantIbLb0EES1Q_EEDaS1L_S1M_EUlS1L_E_NS1_11comp_targetILNS1_3genE10ELNS1_11target_archE1200ELNS1_3gpuE4ELNS1_3repE0EEENS1_30default_config_static_selectorELNS0_4arch9wavefront6targetE0EEEvSZ_,"axG",@progbits,_ZN7rocprim17ROCPRIM_400000_NS6detail17trampoline_kernelINS0_13select_configILj256ELj13ELNS0_17block_load_methodE3ELS4_3ELS4_3ELNS0_20block_scan_algorithmE0ELj4294967295EEENS1_25partition_config_selectorILNS1_17partition_subalgoE3EjNS0_10empty_typeEbEEZZNS1_14partition_implILS8_3ELb0ES6_jNS0_17counting_iteratorIjlEEPS9_SE_NS0_5tupleIJPjSE_EEENSF_IJSE_SE_EEES9_SG_JZNS1_25segmented_radix_sort_implINS0_14default_configELb1EPK6__halfPSL_PKlPlN2at6native12_GLOBAL__N_18offset_tEEE10hipError_tPvRmT1_PNSt15iterator_traitsISZ_E10value_typeET2_T3_PNS10_IS15_E10value_typeET4_jRbjT5_S1B_jjP12ihipStream_tbEUljE_EEESW_SX_SY_S15_S19_S1B_T6_T7_T9_mT8_S1D_bDpT10_ENKUlT_T0_E_clISt17integral_constantIbLb0EES1Q_EEDaS1L_S1M_EUlS1L_E_NS1_11comp_targetILNS1_3genE10ELNS1_11target_archE1200ELNS1_3gpuE4ELNS1_3repE0EEENS1_30default_config_static_selectorELNS0_4arch9wavefront6targetE0EEEvSZ_,comdat
	.globl	_ZN7rocprim17ROCPRIM_400000_NS6detail17trampoline_kernelINS0_13select_configILj256ELj13ELNS0_17block_load_methodE3ELS4_3ELS4_3ELNS0_20block_scan_algorithmE0ELj4294967295EEENS1_25partition_config_selectorILNS1_17partition_subalgoE3EjNS0_10empty_typeEbEEZZNS1_14partition_implILS8_3ELb0ES6_jNS0_17counting_iteratorIjlEEPS9_SE_NS0_5tupleIJPjSE_EEENSF_IJSE_SE_EEES9_SG_JZNS1_25segmented_radix_sort_implINS0_14default_configELb1EPK6__halfPSL_PKlPlN2at6native12_GLOBAL__N_18offset_tEEE10hipError_tPvRmT1_PNSt15iterator_traitsISZ_E10value_typeET2_T3_PNS10_IS15_E10value_typeET4_jRbjT5_S1B_jjP12ihipStream_tbEUljE_EEESW_SX_SY_S15_S19_S1B_T6_T7_T9_mT8_S1D_bDpT10_ENKUlT_T0_E_clISt17integral_constantIbLb0EES1Q_EEDaS1L_S1M_EUlS1L_E_NS1_11comp_targetILNS1_3genE10ELNS1_11target_archE1200ELNS1_3gpuE4ELNS1_3repE0EEENS1_30default_config_static_selectorELNS0_4arch9wavefront6targetE0EEEvSZ_ ; -- Begin function _ZN7rocprim17ROCPRIM_400000_NS6detail17trampoline_kernelINS0_13select_configILj256ELj13ELNS0_17block_load_methodE3ELS4_3ELS4_3ELNS0_20block_scan_algorithmE0ELj4294967295EEENS1_25partition_config_selectorILNS1_17partition_subalgoE3EjNS0_10empty_typeEbEEZZNS1_14partition_implILS8_3ELb0ES6_jNS0_17counting_iteratorIjlEEPS9_SE_NS0_5tupleIJPjSE_EEENSF_IJSE_SE_EEES9_SG_JZNS1_25segmented_radix_sort_implINS0_14default_configELb1EPK6__halfPSL_PKlPlN2at6native12_GLOBAL__N_18offset_tEEE10hipError_tPvRmT1_PNSt15iterator_traitsISZ_E10value_typeET2_T3_PNS10_IS15_E10value_typeET4_jRbjT5_S1B_jjP12ihipStream_tbEUljE_EEESW_SX_SY_S15_S19_S1B_T6_T7_T9_mT8_S1D_bDpT10_ENKUlT_T0_E_clISt17integral_constantIbLb0EES1Q_EEDaS1L_S1M_EUlS1L_E_NS1_11comp_targetILNS1_3genE10ELNS1_11target_archE1200ELNS1_3gpuE4ELNS1_3repE0EEENS1_30default_config_static_selectorELNS0_4arch9wavefront6targetE0EEEvSZ_
	.p2align	8
	.type	_ZN7rocprim17ROCPRIM_400000_NS6detail17trampoline_kernelINS0_13select_configILj256ELj13ELNS0_17block_load_methodE3ELS4_3ELS4_3ELNS0_20block_scan_algorithmE0ELj4294967295EEENS1_25partition_config_selectorILNS1_17partition_subalgoE3EjNS0_10empty_typeEbEEZZNS1_14partition_implILS8_3ELb0ES6_jNS0_17counting_iteratorIjlEEPS9_SE_NS0_5tupleIJPjSE_EEENSF_IJSE_SE_EEES9_SG_JZNS1_25segmented_radix_sort_implINS0_14default_configELb1EPK6__halfPSL_PKlPlN2at6native12_GLOBAL__N_18offset_tEEE10hipError_tPvRmT1_PNSt15iterator_traitsISZ_E10value_typeET2_T3_PNS10_IS15_E10value_typeET4_jRbjT5_S1B_jjP12ihipStream_tbEUljE_EEESW_SX_SY_S15_S19_S1B_T6_T7_T9_mT8_S1D_bDpT10_ENKUlT_T0_E_clISt17integral_constantIbLb0EES1Q_EEDaS1L_S1M_EUlS1L_E_NS1_11comp_targetILNS1_3genE10ELNS1_11target_archE1200ELNS1_3gpuE4ELNS1_3repE0EEENS1_30default_config_static_selectorELNS0_4arch9wavefront6targetE0EEEvSZ_,@function
_ZN7rocprim17ROCPRIM_400000_NS6detail17trampoline_kernelINS0_13select_configILj256ELj13ELNS0_17block_load_methodE3ELS4_3ELS4_3ELNS0_20block_scan_algorithmE0ELj4294967295EEENS1_25partition_config_selectorILNS1_17partition_subalgoE3EjNS0_10empty_typeEbEEZZNS1_14partition_implILS8_3ELb0ES6_jNS0_17counting_iteratorIjlEEPS9_SE_NS0_5tupleIJPjSE_EEENSF_IJSE_SE_EEES9_SG_JZNS1_25segmented_radix_sort_implINS0_14default_configELb1EPK6__halfPSL_PKlPlN2at6native12_GLOBAL__N_18offset_tEEE10hipError_tPvRmT1_PNSt15iterator_traitsISZ_E10value_typeET2_T3_PNS10_IS15_E10value_typeET4_jRbjT5_S1B_jjP12ihipStream_tbEUljE_EEESW_SX_SY_S15_S19_S1B_T6_T7_T9_mT8_S1D_bDpT10_ENKUlT_T0_E_clISt17integral_constantIbLb0EES1Q_EEDaS1L_S1M_EUlS1L_E_NS1_11comp_targetILNS1_3genE10ELNS1_11target_archE1200ELNS1_3gpuE4ELNS1_3repE0EEENS1_30default_config_static_selectorELNS0_4arch9wavefront6targetE0EEEvSZ_: ; @_ZN7rocprim17ROCPRIM_400000_NS6detail17trampoline_kernelINS0_13select_configILj256ELj13ELNS0_17block_load_methodE3ELS4_3ELS4_3ELNS0_20block_scan_algorithmE0ELj4294967295EEENS1_25partition_config_selectorILNS1_17partition_subalgoE3EjNS0_10empty_typeEbEEZZNS1_14partition_implILS8_3ELb0ES6_jNS0_17counting_iteratorIjlEEPS9_SE_NS0_5tupleIJPjSE_EEENSF_IJSE_SE_EEES9_SG_JZNS1_25segmented_radix_sort_implINS0_14default_configELb1EPK6__halfPSL_PKlPlN2at6native12_GLOBAL__N_18offset_tEEE10hipError_tPvRmT1_PNSt15iterator_traitsISZ_E10value_typeET2_T3_PNS10_IS15_E10value_typeET4_jRbjT5_S1B_jjP12ihipStream_tbEUljE_EEESW_SX_SY_S15_S19_S1B_T6_T7_T9_mT8_S1D_bDpT10_ENKUlT_T0_E_clISt17integral_constantIbLb0EES1Q_EEDaS1L_S1M_EUlS1L_E_NS1_11comp_targetILNS1_3genE10ELNS1_11target_archE1200ELNS1_3gpuE4ELNS1_3repE0EEENS1_30default_config_static_selectorELNS0_4arch9wavefront6targetE0EEEvSZ_
; %bb.0:
	.section	.rodata,"a",@progbits
	.p2align	6, 0x0
	.amdhsa_kernel _ZN7rocprim17ROCPRIM_400000_NS6detail17trampoline_kernelINS0_13select_configILj256ELj13ELNS0_17block_load_methodE3ELS4_3ELS4_3ELNS0_20block_scan_algorithmE0ELj4294967295EEENS1_25partition_config_selectorILNS1_17partition_subalgoE3EjNS0_10empty_typeEbEEZZNS1_14partition_implILS8_3ELb0ES6_jNS0_17counting_iteratorIjlEEPS9_SE_NS0_5tupleIJPjSE_EEENSF_IJSE_SE_EEES9_SG_JZNS1_25segmented_radix_sort_implINS0_14default_configELb1EPK6__halfPSL_PKlPlN2at6native12_GLOBAL__N_18offset_tEEE10hipError_tPvRmT1_PNSt15iterator_traitsISZ_E10value_typeET2_T3_PNS10_IS15_E10value_typeET4_jRbjT5_S1B_jjP12ihipStream_tbEUljE_EEESW_SX_SY_S15_S19_S1B_T6_T7_T9_mT8_S1D_bDpT10_ENKUlT_T0_E_clISt17integral_constantIbLb0EES1Q_EEDaS1L_S1M_EUlS1L_E_NS1_11comp_targetILNS1_3genE10ELNS1_11target_archE1200ELNS1_3gpuE4ELNS1_3repE0EEENS1_30default_config_static_selectorELNS0_4arch9wavefront6targetE0EEEvSZ_
		.amdhsa_group_segment_fixed_size 0
		.amdhsa_private_segment_fixed_size 0
		.amdhsa_kernarg_size 144
		.amdhsa_user_sgpr_count 15
		.amdhsa_user_sgpr_dispatch_ptr 0
		.amdhsa_user_sgpr_queue_ptr 0
		.amdhsa_user_sgpr_kernarg_segment_ptr 1
		.amdhsa_user_sgpr_dispatch_id 0
		.amdhsa_user_sgpr_private_segment_size 0
		.amdhsa_wavefront_size32 1
		.amdhsa_uses_dynamic_stack 0
		.amdhsa_enable_private_segment 0
		.amdhsa_system_sgpr_workgroup_id_x 1
		.amdhsa_system_sgpr_workgroup_id_y 0
		.amdhsa_system_sgpr_workgroup_id_z 0
		.amdhsa_system_sgpr_workgroup_info 0
		.amdhsa_system_vgpr_workitem_id 0
		.amdhsa_next_free_vgpr 1
		.amdhsa_next_free_sgpr 1
		.amdhsa_reserve_vcc 0
		.amdhsa_float_round_mode_32 0
		.amdhsa_float_round_mode_16_64 0
		.amdhsa_float_denorm_mode_32 3
		.amdhsa_float_denorm_mode_16_64 3
		.amdhsa_dx10_clamp 1
		.amdhsa_ieee_mode 1
		.amdhsa_fp16_overflow 0
		.amdhsa_workgroup_processor_mode 1
		.amdhsa_memory_ordered 1
		.amdhsa_forward_progress 0
		.amdhsa_shared_vgpr_count 0
		.amdhsa_exception_fp_ieee_invalid_op 0
		.amdhsa_exception_fp_denorm_src 0
		.amdhsa_exception_fp_ieee_div_zero 0
		.amdhsa_exception_fp_ieee_overflow 0
		.amdhsa_exception_fp_ieee_underflow 0
		.amdhsa_exception_fp_ieee_inexact 0
		.amdhsa_exception_int_div_zero 0
	.end_amdhsa_kernel
	.section	.text._ZN7rocprim17ROCPRIM_400000_NS6detail17trampoline_kernelINS0_13select_configILj256ELj13ELNS0_17block_load_methodE3ELS4_3ELS4_3ELNS0_20block_scan_algorithmE0ELj4294967295EEENS1_25partition_config_selectorILNS1_17partition_subalgoE3EjNS0_10empty_typeEbEEZZNS1_14partition_implILS8_3ELb0ES6_jNS0_17counting_iteratorIjlEEPS9_SE_NS0_5tupleIJPjSE_EEENSF_IJSE_SE_EEES9_SG_JZNS1_25segmented_radix_sort_implINS0_14default_configELb1EPK6__halfPSL_PKlPlN2at6native12_GLOBAL__N_18offset_tEEE10hipError_tPvRmT1_PNSt15iterator_traitsISZ_E10value_typeET2_T3_PNS10_IS15_E10value_typeET4_jRbjT5_S1B_jjP12ihipStream_tbEUljE_EEESW_SX_SY_S15_S19_S1B_T6_T7_T9_mT8_S1D_bDpT10_ENKUlT_T0_E_clISt17integral_constantIbLb0EES1Q_EEDaS1L_S1M_EUlS1L_E_NS1_11comp_targetILNS1_3genE10ELNS1_11target_archE1200ELNS1_3gpuE4ELNS1_3repE0EEENS1_30default_config_static_selectorELNS0_4arch9wavefront6targetE0EEEvSZ_,"axG",@progbits,_ZN7rocprim17ROCPRIM_400000_NS6detail17trampoline_kernelINS0_13select_configILj256ELj13ELNS0_17block_load_methodE3ELS4_3ELS4_3ELNS0_20block_scan_algorithmE0ELj4294967295EEENS1_25partition_config_selectorILNS1_17partition_subalgoE3EjNS0_10empty_typeEbEEZZNS1_14partition_implILS8_3ELb0ES6_jNS0_17counting_iteratorIjlEEPS9_SE_NS0_5tupleIJPjSE_EEENSF_IJSE_SE_EEES9_SG_JZNS1_25segmented_radix_sort_implINS0_14default_configELb1EPK6__halfPSL_PKlPlN2at6native12_GLOBAL__N_18offset_tEEE10hipError_tPvRmT1_PNSt15iterator_traitsISZ_E10value_typeET2_T3_PNS10_IS15_E10value_typeET4_jRbjT5_S1B_jjP12ihipStream_tbEUljE_EEESW_SX_SY_S15_S19_S1B_T6_T7_T9_mT8_S1D_bDpT10_ENKUlT_T0_E_clISt17integral_constantIbLb0EES1Q_EEDaS1L_S1M_EUlS1L_E_NS1_11comp_targetILNS1_3genE10ELNS1_11target_archE1200ELNS1_3gpuE4ELNS1_3repE0EEENS1_30default_config_static_selectorELNS0_4arch9wavefront6targetE0EEEvSZ_,comdat
.Lfunc_end1712:
	.size	_ZN7rocprim17ROCPRIM_400000_NS6detail17trampoline_kernelINS0_13select_configILj256ELj13ELNS0_17block_load_methodE3ELS4_3ELS4_3ELNS0_20block_scan_algorithmE0ELj4294967295EEENS1_25partition_config_selectorILNS1_17partition_subalgoE3EjNS0_10empty_typeEbEEZZNS1_14partition_implILS8_3ELb0ES6_jNS0_17counting_iteratorIjlEEPS9_SE_NS0_5tupleIJPjSE_EEENSF_IJSE_SE_EEES9_SG_JZNS1_25segmented_radix_sort_implINS0_14default_configELb1EPK6__halfPSL_PKlPlN2at6native12_GLOBAL__N_18offset_tEEE10hipError_tPvRmT1_PNSt15iterator_traitsISZ_E10value_typeET2_T3_PNS10_IS15_E10value_typeET4_jRbjT5_S1B_jjP12ihipStream_tbEUljE_EEESW_SX_SY_S15_S19_S1B_T6_T7_T9_mT8_S1D_bDpT10_ENKUlT_T0_E_clISt17integral_constantIbLb0EES1Q_EEDaS1L_S1M_EUlS1L_E_NS1_11comp_targetILNS1_3genE10ELNS1_11target_archE1200ELNS1_3gpuE4ELNS1_3repE0EEENS1_30default_config_static_selectorELNS0_4arch9wavefront6targetE0EEEvSZ_, .Lfunc_end1712-_ZN7rocprim17ROCPRIM_400000_NS6detail17trampoline_kernelINS0_13select_configILj256ELj13ELNS0_17block_load_methodE3ELS4_3ELS4_3ELNS0_20block_scan_algorithmE0ELj4294967295EEENS1_25partition_config_selectorILNS1_17partition_subalgoE3EjNS0_10empty_typeEbEEZZNS1_14partition_implILS8_3ELb0ES6_jNS0_17counting_iteratorIjlEEPS9_SE_NS0_5tupleIJPjSE_EEENSF_IJSE_SE_EEES9_SG_JZNS1_25segmented_radix_sort_implINS0_14default_configELb1EPK6__halfPSL_PKlPlN2at6native12_GLOBAL__N_18offset_tEEE10hipError_tPvRmT1_PNSt15iterator_traitsISZ_E10value_typeET2_T3_PNS10_IS15_E10value_typeET4_jRbjT5_S1B_jjP12ihipStream_tbEUljE_EEESW_SX_SY_S15_S19_S1B_T6_T7_T9_mT8_S1D_bDpT10_ENKUlT_T0_E_clISt17integral_constantIbLb0EES1Q_EEDaS1L_S1M_EUlS1L_E_NS1_11comp_targetILNS1_3genE10ELNS1_11target_archE1200ELNS1_3gpuE4ELNS1_3repE0EEENS1_30default_config_static_selectorELNS0_4arch9wavefront6targetE0EEEvSZ_
                                        ; -- End function
	.section	.AMDGPU.csdata,"",@progbits
; Kernel info:
; codeLenInByte = 0
; NumSgprs: 0
; NumVgprs: 0
; ScratchSize: 0
; MemoryBound: 0
; FloatMode: 240
; IeeeMode: 1
; LDSByteSize: 0 bytes/workgroup (compile time only)
; SGPRBlocks: 0
; VGPRBlocks: 0
; NumSGPRsForWavesPerEU: 1
; NumVGPRsForWavesPerEU: 1
; Occupancy: 16
; WaveLimiterHint : 0
; COMPUTE_PGM_RSRC2:SCRATCH_EN: 0
; COMPUTE_PGM_RSRC2:USER_SGPR: 15
; COMPUTE_PGM_RSRC2:TRAP_HANDLER: 0
; COMPUTE_PGM_RSRC2:TGID_X_EN: 1
; COMPUTE_PGM_RSRC2:TGID_Y_EN: 0
; COMPUTE_PGM_RSRC2:TGID_Z_EN: 0
; COMPUTE_PGM_RSRC2:TIDIG_COMP_CNT: 0
	.section	.text._ZN7rocprim17ROCPRIM_400000_NS6detail17trampoline_kernelINS0_13select_configILj256ELj13ELNS0_17block_load_methodE3ELS4_3ELS4_3ELNS0_20block_scan_algorithmE0ELj4294967295EEENS1_25partition_config_selectorILNS1_17partition_subalgoE3EjNS0_10empty_typeEbEEZZNS1_14partition_implILS8_3ELb0ES6_jNS0_17counting_iteratorIjlEEPS9_SE_NS0_5tupleIJPjSE_EEENSF_IJSE_SE_EEES9_SG_JZNS1_25segmented_radix_sort_implINS0_14default_configELb1EPK6__halfPSL_PKlPlN2at6native12_GLOBAL__N_18offset_tEEE10hipError_tPvRmT1_PNSt15iterator_traitsISZ_E10value_typeET2_T3_PNS10_IS15_E10value_typeET4_jRbjT5_S1B_jjP12ihipStream_tbEUljE_EEESW_SX_SY_S15_S19_S1B_T6_T7_T9_mT8_S1D_bDpT10_ENKUlT_T0_E_clISt17integral_constantIbLb0EES1Q_EEDaS1L_S1M_EUlS1L_E_NS1_11comp_targetILNS1_3genE9ELNS1_11target_archE1100ELNS1_3gpuE3ELNS1_3repE0EEENS1_30default_config_static_selectorELNS0_4arch9wavefront6targetE0EEEvSZ_,"axG",@progbits,_ZN7rocprim17ROCPRIM_400000_NS6detail17trampoline_kernelINS0_13select_configILj256ELj13ELNS0_17block_load_methodE3ELS4_3ELS4_3ELNS0_20block_scan_algorithmE0ELj4294967295EEENS1_25partition_config_selectorILNS1_17partition_subalgoE3EjNS0_10empty_typeEbEEZZNS1_14partition_implILS8_3ELb0ES6_jNS0_17counting_iteratorIjlEEPS9_SE_NS0_5tupleIJPjSE_EEENSF_IJSE_SE_EEES9_SG_JZNS1_25segmented_radix_sort_implINS0_14default_configELb1EPK6__halfPSL_PKlPlN2at6native12_GLOBAL__N_18offset_tEEE10hipError_tPvRmT1_PNSt15iterator_traitsISZ_E10value_typeET2_T3_PNS10_IS15_E10value_typeET4_jRbjT5_S1B_jjP12ihipStream_tbEUljE_EEESW_SX_SY_S15_S19_S1B_T6_T7_T9_mT8_S1D_bDpT10_ENKUlT_T0_E_clISt17integral_constantIbLb0EES1Q_EEDaS1L_S1M_EUlS1L_E_NS1_11comp_targetILNS1_3genE9ELNS1_11target_archE1100ELNS1_3gpuE3ELNS1_3repE0EEENS1_30default_config_static_selectorELNS0_4arch9wavefront6targetE0EEEvSZ_,comdat
	.globl	_ZN7rocprim17ROCPRIM_400000_NS6detail17trampoline_kernelINS0_13select_configILj256ELj13ELNS0_17block_load_methodE3ELS4_3ELS4_3ELNS0_20block_scan_algorithmE0ELj4294967295EEENS1_25partition_config_selectorILNS1_17partition_subalgoE3EjNS0_10empty_typeEbEEZZNS1_14partition_implILS8_3ELb0ES6_jNS0_17counting_iteratorIjlEEPS9_SE_NS0_5tupleIJPjSE_EEENSF_IJSE_SE_EEES9_SG_JZNS1_25segmented_radix_sort_implINS0_14default_configELb1EPK6__halfPSL_PKlPlN2at6native12_GLOBAL__N_18offset_tEEE10hipError_tPvRmT1_PNSt15iterator_traitsISZ_E10value_typeET2_T3_PNS10_IS15_E10value_typeET4_jRbjT5_S1B_jjP12ihipStream_tbEUljE_EEESW_SX_SY_S15_S19_S1B_T6_T7_T9_mT8_S1D_bDpT10_ENKUlT_T0_E_clISt17integral_constantIbLb0EES1Q_EEDaS1L_S1M_EUlS1L_E_NS1_11comp_targetILNS1_3genE9ELNS1_11target_archE1100ELNS1_3gpuE3ELNS1_3repE0EEENS1_30default_config_static_selectorELNS0_4arch9wavefront6targetE0EEEvSZ_ ; -- Begin function _ZN7rocprim17ROCPRIM_400000_NS6detail17trampoline_kernelINS0_13select_configILj256ELj13ELNS0_17block_load_methodE3ELS4_3ELS4_3ELNS0_20block_scan_algorithmE0ELj4294967295EEENS1_25partition_config_selectorILNS1_17partition_subalgoE3EjNS0_10empty_typeEbEEZZNS1_14partition_implILS8_3ELb0ES6_jNS0_17counting_iteratorIjlEEPS9_SE_NS0_5tupleIJPjSE_EEENSF_IJSE_SE_EEES9_SG_JZNS1_25segmented_radix_sort_implINS0_14default_configELb1EPK6__halfPSL_PKlPlN2at6native12_GLOBAL__N_18offset_tEEE10hipError_tPvRmT1_PNSt15iterator_traitsISZ_E10value_typeET2_T3_PNS10_IS15_E10value_typeET4_jRbjT5_S1B_jjP12ihipStream_tbEUljE_EEESW_SX_SY_S15_S19_S1B_T6_T7_T9_mT8_S1D_bDpT10_ENKUlT_T0_E_clISt17integral_constantIbLb0EES1Q_EEDaS1L_S1M_EUlS1L_E_NS1_11comp_targetILNS1_3genE9ELNS1_11target_archE1100ELNS1_3gpuE3ELNS1_3repE0EEENS1_30default_config_static_selectorELNS0_4arch9wavefront6targetE0EEEvSZ_
	.p2align	8
	.type	_ZN7rocprim17ROCPRIM_400000_NS6detail17trampoline_kernelINS0_13select_configILj256ELj13ELNS0_17block_load_methodE3ELS4_3ELS4_3ELNS0_20block_scan_algorithmE0ELj4294967295EEENS1_25partition_config_selectorILNS1_17partition_subalgoE3EjNS0_10empty_typeEbEEZZNS1_14partition_implILS8_3ELb0ES6_jNS0_17counting_iteratorIjlEEPS9_SE_NS0_5tupleIJPjSE_EEENSF_IJSE_SE_EEES9_SG_JZNS1_25segmented_radix_sort_implINS0_14default_configELb1EPK6__halfPSL_PKlPlN2at6native12_GLOBAL__N_18offset_tEEE10hipError_tPvRmT1_PNSt15iterator_traitsISZ_E10value_typeET2_T3_PNS10_IS15_E10value_typeET4_jRbjT5_S1B_jjP12ihipStream_tbEUljE_EEESW_SX_SY_S15_S19_S1B_T6_T7_T9_mT8_S1D_bDpT10_ENKUlT_T0_E_clISt17integral_constantIbLb0EES1Q_EEDaS1L_S1M_EUlS1L_E_NS1_11comp_targetILNS1_3genE9ELNS1_11target_archE1100ELNS1_3gpuE3ELNS1_3repE0EEENS1_30default_config_static_selectorELNS0_4arch9wavefront6targetE0EEEvSZ_,@function
_ZN7rocprim17ROCPRIM_400000_NS6detail17trampoline_kernelINS0_13select_configILj256ELj13ELNS0_17block_load_methodE3ELS4_3ELS4_3ELNS0_20block_scan_algorithmE0ELj4294967295EEENS1_25partition_config_selectorILNS1_17partition_subalgoE3EjNS0_10empty_typeEbEEZZNS1_14partition_implILS8_3ELb0ES6_jNS0_17counting_iteratorIjlEEPS9_SE_NS0_5tupleIJPjSE_EEENSF_IJSE_SE_EEES9_SG_JZNS1_25segmented_radix_sort_implINS0_14default_configELb1EPK6__halfPSL_PKlPlN2at6native12_GLOBAL__N_18offset_tEEE10hipError_tPvRmT1_PNSt15iterator_traitsISZ_E10value_typeET2_T3_PNS10_IS15_E10value_typeET4_jRbjT5_S1B_jjP12ihipStream_tbEUljE_EEESW_SX_SY_S15_S19_S1B_T6_T7_T9_mT8_S1D_bDpT10_ENKUlT_T0_E_clISt17integral_constantIbLb0EES1Q_EEDaS1L_S1M_EUlS1L_E_NS1_11comp_targetILNS1_3genE9ELNS1_11target_archE1100ELNS1_3gpuE3ELNS1_3repE0EEENS1_30default_config_static_selectorELNS0_4arch9wavefront6targetE0EEEvSZ_: ; @_ZN7rocprim17ROCPRIM_400000_NS6detail17trampoline_kernelINS0_13select_configILj256ELj13ELNS0_17block_load_methodE3ELS4_3ELS4_3ELNS0_20block_scan_algorithmE0ELj4294967295EEENS1_25partition_config_selectorILNS1_17partition_subalgoE3EjNS0_10empty_typeEbEEZZNS1_14partition_implILS8_3ELb0ES6_jNS0_17counting_iteratorIjlEEPS9_SE_NS0_5tupleIJPjSE_EEENSF_IJSE_SE_EEES9_SG_JZNS1_25segmented_radix_sort_implINS0_14default_configELb1EPK6__halfPSL_PKlPlN2at6native12_GLOBAL__N_18offset_tEEE10hipError_tPvRmT1_PNSt15iterator_traitsISZ_E10value_typeET2_T3_PNS10_IS15_E10value_typeET4_jRbjT5_S1B_jjP12ihipStream_tbEUljE_EEESW_SX_SY_S15_S19_S1B_T6_T7_T9_mT8_S1D_bDpT10_ENKUlT_T0_E_clISt17integral_constantIbLb0EES1Q_EEDaS1L_S1M_EUlS1L_E_NS1_11comp_targetILNS1_3genE9ELNS1_11target_archE1100ELNS1_3gpuE3ELNS1_3repE0EEENS1_30default_config_static_selectorELNS0_4arch9wavefront6targetE0EEEvSZ_
; %bb.0:
	s_clause 0x5
	s_load_b32 s2, s[0:1], 0x70
	s_load_b64 s[16:17], s[0:1], 0x10
	s_load_b64 s[12:13], s[0:1], 0x58
	s_load_b32 s18, s[0:1], 0x8
	s_load_b128 s[8:11], s[0:1], 0x48
	s_load_b128 s[4:7], s[0:1], 0x78
	s_mul_i32 s23, s15, 0xd00
	v_lshlrev_b32_e32 v30, 2, v0
	s_waitcnt lgkmcnt(0)
	s_mul_i32 s20, s2, 0xd00
	s_add_i32 s19, s2, -1
	s_add_u32 s2, s16, s20
	s_addc_u32 s3, s17, 0
	s_cmp_eq_u32 s15, s19
	v_cmp_lt_u64_e64 s3, s[2:3], s[12:13]
	s_cselect_b32 s14, -1, 0
	s_cmp_lg_u32 s15, s19
	s_cselect_b32 s21, -1, 0
	s_add_i32 s2, s18, s23
	s_delay_alu instid0(VALU_DEP_1)
	s_or_b32 s3, s21, s3
	s_add_i32 s18, s2, s16
	s_load_b32 s2, s[0:1], 0x88
	v_add_nc_u32_e32 v1, s18, v0
	s_load_b64 s[18:19], s[10:11], 0x0
	s_and_b32 vcc_lo, exec_lo, s3
	s_mov_b32 s10, -1
	s_delay_alu instid0(VALU_DEP_1)
	v_add_nc_u32_e32 v2, 0x100, v1
	v_add_nc_u32_e32 v3, 0x200, v1
	;; [unrolled: 1-line block ×12, first 2 shown]
	s_cbranch_vccz .LBB1713_2
; %bb.1:
	ds_store_2addr_stride64_b32 v30, v1, v2 offset1:4
	ds_store_2addr_stride64_b32 v30, v3, v4 offset0:8 offset1:12
	ds_store_2addr_stride64_b32 v30, v5, v6 offset0:16 offset1:20
	;; [unrolled: 1-line block ×5, first 2 shown]
	ds_store_b32 v30, v13 offset:12288
	s_waitcnt lgkmcnt(0)
	s_mov_b32 s10, 0
	s_barrier
.LBB1713_2:
	s_and_not1_b32 vcc_lo, exec_lo, s10
	s_add_i32 s20, s20, s16
	s_cbranch_vccnz .LBB1713_4
; %bb.3:
	ds_store_2addr_stride64_b32 v30, v1, v2 offset1:4
	ds_store_2addr_stride64_b32 v30, v3, v4 offset0:8 offset1:12
	ds_store_2addr_stride64_b32 v30, v5, v6 offset0:16 offset1:20
	;; [unrolled: 1-line block ×5, first 2 shown]
	ds_store_b32 v30, v13 offset:12288
	s_waitcnt lgkmcnt(0)
	s_barrier
.LBB1713_4:
	v_mul_u32_u24_e32 v33, 13, v0
	s_waitcnt lgkmcnt(0)
	buffer_gl0_inv
	v_cndmask_b32_e64 v31, 0, 1, s3
	s_sub_i32 s22, s12, s20
	s_and_not1_b32 vcc_lo, exec_lo, s3
	v_lshlrev_b32_e32 v1, 2, v33
	ds_load_2addr_b32 v[28:29], v1 offset1:1
	ds_load_2addr_b32 v[26:27], v1 offset0:2 offset1:3
	ds_load_2addr_b32 v[24:25], v1 offset0:4 offset1:5
	;; [unrolled: 1-line block ×5, first 2 shown]
	ds_load_b32 v32, v1 offset:48
	s_waitcnt lgkmcnt(0)
	s_barrier
	buffer_gl0_inv
	s_cbranch_vccnz .LBB1713_6
; %bb.5:
	v_add_nc_u32_e32 v1, s5, v28
	v_add_nc_u32_e32 v2, s7, v28
	v_add_nc_u32_e32 v3, s5, v29
	v_add_nc_u32_e32 v4, s7, v29
	v_add_nc_u32_e32 v5, s5, v26
	v_mul_lo_u32 v1, v1, s4
	v_mul_lo_u32 v2, v2, s6
	;; [unrolled: 1-line block ×4, first 2 shown]
	v_add_nc_u32_e32 v6, s7, v26
	v_add_nc_u32_e32 v7, s5, v27
	;; [unrolled: 1-line block ×3, first 2 shown]
	v_mul_lo_u32 v5, v5, s4
	v_add_nc_u32_e32 v9, s5, v22
	v_sub_nc_u32_e32 v1, v1, v2
	v_mul_lo_u32 v2, v6, s6
	v_sub_nc_u32_e32 v3, v3, v4
	v_mul_lo_u32 v4, v7, s4
	v_mul_lo_u32 v6, v8, s6
	v_add_nc_u32_e32 v7, s5, v24
	v_cmp_lt_u32_e32 vcc_lo, s2, v1
	v_add_nc_u32_e32 v8, s5, v25
	v_add_nc_u32_e32 v10, s7, v22
	v_sub_nc_u32_e32 v2, v5, v2
	v_add_nc_u32_e32 v5, s7, v24
	v_cndmask_b32_e64 v1, 0, 1, vcc_lo
	v_sub_nc_u32_e32 v4, v4, v6
	v_mul_lo_u32 v6, v7, s4
	v_add_nc_u32_e32 v7, s7, v25
	v_cmp_lt_u32_e32 vcc_lo, s2, v3
	v_mul_lo_u32 v5, v5, s6
	v_mul_lo_u32 v8, v8, s4
	;; [unrolled: 1-line block ×4, first 2 shown]
	v_cndmask_b32_e64 v3, 0, 1, vcc_lo
	v_cmp_lt_u32_e32 vcc_lo, s2, v2
	v_mul_lo_u32 v10, v10, s6
	v_add_nc_u32_e32 v11, s5, v20
	v_sub_nc_u32_e32 v5, v6, v5
	v_add_nc_u32_e32 v12, s7, v20
	v_cndmask_b32_e64 v2, 0, 1, vcc_lo
	v_sub_nc_u32_e32 v6, v8, v7
	v_add_nc_u32_e32 v7, s5, v23
	v_add_nc_u32_e32 v8, s7, v23
	v_cmp_lt_u32_e32 vcc_lo, s2, v4
	v_sub_nc_u32_e32 v9, v9, v10
	v_mul_lo_u32 v10, v11, s4
	v_mul_lo_u32 v7, v7, s4
	;; [unrolled: 1-line block ×4, first 2 shown]
	v_cndmask_b32_e64 v4, 0, 1, vcc_lo
	v_cmp_lt_u32_e32 vcc_lo, s2, v5
	v_add_nc_u32_e32 v12, s5, v21
	v_add_nc_u32_e32 v13, s7, v18
	;; [unrolled: 1-line block ×4, first 2 shown]
	v_cndmask_b32_e64 v5, 0, 1, vcc_lo
	v_cmp_lt_u32_e32 vcc_lo, s2, v6
	v_sub_nc_u32_e32 v7, v7, v8
	v_sub_nc_u32_e32 v8, v10, v11
	v_add_nc_u32_e32 v11, s7, v21
	v_mul_lo_u32 v10, v12, s4
	v_cndmask_b32_e64 v6, 0, 1, vcc_lo
	v_cmp_lt_u32_e32 vcc_lo, s2, v9
	v_add_nc_u32_e32 v12, s5, v18
	v_mul_lo_u32 v11, v11, s6
	v_mul_lo_u32 v13, v13, s6
	;; [unrolled: 1-line block ×3, first 2 shown]
	v_cndmask_b32_e64 v9, 0, 1, vcc_lo
	v_cmp_lt_u32_e32 vcc_lo, s2, v7
	v_mul_lo_u32 v12, v12, s4
	v_mul_lo_u32 v15, v15, s6
	v_lshlrev_b16 v3, 8, v3
	v_sub_nc_u32_e32 v10, v10, v11
	v_cndmask_b32_e64 v7, 0, 1, vcc_lo
	v_cmp_lt_u32_e32 vcc_lo, s2, v8
	v_add_nc_u32_e32 v11, s5, v32
	v_or_b32_e32 v1, v1, v3
	v_sub_nc_u32_e32 v12, v12, v13
	v_sub_nc_u32_e32 v13, v14, v15
	v_cndmask_b32_e64 v8, 0, 1, vcc_lo
	v_cmp_lt_u32_e32 vcc_lo, s2, v10
	v_add_nc_u32_e32 v16, s7, v32
	v_mul_lo_u32 v11, v11, s4
	v_lshlrev_b16 v4, 8, v4
	v_lshlrev_b16 v6, 8, v6
	v_cndmask_b32_e64 v10, 0, 1, vcc_lo
	v_cmp_lt_u32_e32 vcc_lo, s2, v12
	v_mul_lo_u32 v14, v16, s6
	v_lshlrev_b16 v7, 8, v7
	v_or_b32_e32 v2, v2, v4
	v_lshlrev_b16 v10, 8, v10
	v_cndmask_b32_e64 v3, 0, 1, vcc_lo
	v_cmp_lt_u32_e32 vcc_lo, s2, v13
	v_or_b32_e32 v4, v5, v6
	v_or_b32_e32 v5, v9, v7
	v_sub_nc_u32_e32 v11, v11, v14
	v_or_b32_e32 v6, v8, v10
	v_cndmask_b32_e64 v12, 0, 1, vcc_lo
	v_and_b32_e32 v1, 0xffff, v1
	v_lshlrev_b32_e32 v2, 16, v2
	v_and_b32_e32 v4, 0xffff, v4
	v_lshlrev_b32_e32 v5, 16, v5
	v_lshlrev_b16 v12, 8, v12
	v_and_b32_e32 v6, 0xffff, v6
	v_cmp_lt_u32_e32 vcc_lo, s2, v11
	v_or_b32_e32 v39, v1, v2
	v_or_b32_e32 v37, v4, v5
	;; [unrolled: 1-line block ×3, first 2 shown]
	s_mov_b32 s3, 0
	v_cndmask_b32_e64 v34, 0, 1, vcc_lo
	s_delay_alu instid0(VALU_DEP_2) | instskip(NEXT) | instid1(VALU_DEP_1)
	v_lshlrev_b32_e32 v3, 16, v3
	v_or_b32_e32 v35, v6, v3
	s_branch .LBB1713_7
.LBB1713_6:
	s_mov_b32 s3, -1
                                        ; implicit-def: $vgpr34
                                        ; implicit-def: $vgpr35
                                        ; implicit-def: $vgpr37
                                        ; implicit-def: $vgpr39
.LBB1713_7:
	s_clause 0x1
	s_load_b64 s[10:11], s[0:1], 0x28
	s_load_b64 s[20:21], s[0:1], 0x68
	s_and_not1_b32 vcc_lo, exec_lo, s3
	s_addk_i32 s22, 0xd00
	s_cbranch_vccnz .LBB1713_35
; %bb.8:
	v_dual_mov_b32 v2, 0 :: v_dual_mov_b32 v1, 0
	s_mov_b32 s0, exec_lo
	v_cmpx_gt_u32_e64 s22, v33
; %bb.9:
	v_add_nc_u32_e32 v1, s5, v28
	v_add_nc_u32_e32 v3, s7, v28
	s_delay_alu instid0(VALU_DEP_2) | instskip(NEXT) | instid1(VALU_DEP_2)
	v_mul_lo_u32 v1, v1, s4
	v_mul_lo_u32 v3, v3, s6
	s_delay_alu instid0(VALU_DEP_1) | instskip(NEXT) | instid1(VALU_DEP_1)
	v_sub_nc_u32_e32 v1, v1, v3
	v_cmp_lt_u32_e32 vcc_lo, s2, v1
	v_cndmask_b32_e64 v1, 0, 1, vcc_lo
; %bb.10:
	s_or_b32 exec_lo, exec_lo, s0
	v_add_nc_u32_e32 v3, 1, v33
	s_mov_b32 s0, exec_lo
	s_delay_alu instid0(VALU_DEP_1)
	v_cmpx_gt_u32_e64 s22, v3
; %bb.11:
	v_add_nc_u32_e32 v2, s5, v29
	v_add_nc_u32_e32 v3, s7, v29
	s_delay_alu instid0(VALU_DEP_2) | instskip(NEXT) | instid1(VALU_DEP_2)
	v_mul_lo_u32 v2, v2, s4
	v_mul_lo_u32 v3, v3, s6
	s_delay_alu instid0(VALU_DEP_1) | instskip(NEXT) | instid1(VALU_DEP_1)
	v_sub_nc_u32_e32 v2, v2, v3
	v_cmp_lt_u32_e32 vcc_lo, s2, v2
	v_cndmask_b32_e64 v2, 0, 1, vcc_lo
; %bb.12:
	s_or_b32 exec_lo, exec_lo, s0
	v_dual_mov_b32 v4, 0 :: v_dual_add_nc_u32 v3, 2, v33
	s_delay_alu instid0(VALU_DEP_1)
	v_cmp_gt_u32_e32 vcc_lo, s22, v3
	v_mov_b32_e32 v3, 0
	s_and_saveexec_b32 s0, vcc_lo
; %bb.13:
	v_add_nc_u32_e32 v3, s5, v26
	v_add_nc_u32_e32 v5, s7, v26
	s_delay_alu instid0(VALU_DEP_2) | instskip(NEXT) | instid1(VALU_DEP_2)
	v_mul_lo_u32 v3, v3, s4
	v_mul_lo_u32 v5, v5, s6
	s_delay_alu instid0(VALU_DEP_1) | instskip(NEXT) | instid1(VALU_DEP_1)
	v_sub_nc_u32_e32 v3, v3, v5
	v_cmp_lt_u32_e32 vcc_lo, s2, v3
	v_cndmask_b32_e64 v3, 0, 1, vcc_lo
; %bb.14:
	s_or_b32 exec_lo, exec_lo, s0
	v_add_nc_u32_e32 v5, 3, v33
	s_mov_b32 s0, exec_lo
	s_delay_alu instid0(VALU_DEP_1)
	v_cmpx_gt_u32_e64 s22, v5
; %bb.15:
	v_add_nc_u32_e32 v4, s5, v27
	v_add_nc_u32_e32 v5, s7, v27
	s_delay_alu instid0(VALU_DEP_2) | instskip(NEXT) | instid1(VALU_DEP_2)
	v_mul_lo_u32 v4, v4, s4
	v_mul_lo_u32 v5, v5, s6
	s_delay_alu instid0(VALU_DEP_1) | instskip(NEXT) | instid1(VALU_DEP_1)
	v_sub_nc_u32_e32 v4, v4, v5
	v_cmp_lt_u32_e32 vcc_lo, s2, v4
	v_cndmask_b32_e64 v4, 0, 1, vcc_lo
; %bb.16:
	s_or_b32 exec_lo, exec_lo, s0
	v_dual_mov_b32 v6, 0 :: v_dual_add_nc_u32 v5, 4, v33
	s_delay_alu instid0(VALU_DEP_1)
	v_cmp_gt_u32_e32 vcc_lo, s22, v5
	v_mov_b32_e32 v5, 0
	s_and_saveexec_b32 s0, vcc_lo
	;; [unrolled: 33-line block ×5, first 2 shown]
; %bb.29:
	v_add_nc_u32_e32 v11, s5, v18
	v_add_nc_u32_e32 v13, s7, v18
	s_delay_alu instid0(VALU_DEP_2) | instskip(NEXT) | instid1(VALU_DEP_2)
	v_mul_lo_u32 v11, v11, s4
	v_mul_lo_u32 v13, v13, s6
	s_delay_alu instid0(VALU_DEP_1) | instskip(NEXT) | instid1(VALU_DEP_1)
	v_sub_nc_u32_e32 v11, v11, v13
	v_cmp_lt_u32_e32 vcc_lo, s2, v11
	v_cndmask_b32_e64 v11, 0, 1, vcc_lo
; %bb.30:
	s_or_b32 exec_lo, exec_lo, s0
	v_add_nc_u32_e32 v13, 11, v33
	s_mov_b32 s0, exec_lo
	s_delay_alu instid0(VALU_DEP_1)
	v_cmpx_gt_u32_e64 s22, v13
; %bb.31:
	v_add_nc_u32_e32 v12, s5, v19
	v_add_nc_u32_e32 v13, s7, v19
	s_delay_alu instid0(VALU_DEP_2) | instskip(NEXT) | instid1(VALU_DEP_2)
	v_mul_lo_u32 v12, v12, s4
	v_mul_lo_u32 v13, v13, s6
	s_delay_alu instid0(VALU_DEP_1) | instskip(NEXT) | instid1(VALU_DEP_1)
	v_sub_nc_u32_e32 v12, v12, v13
	v_cmp_lt_u32_e32 vcc_lo, s2, v12
	v_cndmask_b32_e64 v12, 0, 1, vcc_lo
; %bb.32:
	s_or_b32 exec_lo, exec_lo, s0
	v_dual_mov_b32 v34, 0 :: v_dual_add_nc_u32 v13, 12, v33
	s_mov_b32 s0, exec_lo
	s_delay_alu instid0(VALU_DEP_1)
	v_cmpx_gt_u32_e64 s22, v13
; %bb.33:
	v_add_nc_u32_e32 v13, s5, v32
	v_add_nc_u32_e32 v14, s7, v32
	s_delay_alu instid0(VALU_DEP_2) | instskip(NEXT) | instid1(VALU_DEP_2)
	v_mul_lo_u32 v13, v13, s4
	v_mul_lo_u32 v14, v14, s6
	s_delay_alu instid0(VALU_DEP_1) | instskip(NEXT) | instid1(VALU_DEP_1)
	v_sub_nc_u32_e32 v13, v13, v14
	v_cmp_lt_u32_e32 vcc_lo, s2, v13
	v_cndmask_b32_e64 v34, 0, 1, vcc_lo
; %bb.34:
	s_or_b32 exec_lo, exec_lo, s0
	v_lshlrev_b16 v2, 8, v2
	v_lshlrev_b16 v4, 8, v4
	;; [unrolled: 1-line block ×5, first 2 shown]
	v_or_b32_e32 v1, v1, v2
	v_lshlrev_b16 v2, 8, v12
	v_or_b32_e32 v3, v3, v4
	v_or_b32_e32 v4, v5, v6
	v_or_b32_e32 v5, v7, v8
	v_or_b32_e32 v6, v9, v10
	v_or_b32_e32 v2, v11, v2
	v_and_b32_e32 v1, 0xffff, v1
	v_lshlrev_b32_e32 v3, 16, v3
	v_and_b32_e32 v4, 0xffff, v4
	v_lshlrev_b32_e32 v5, 16, v5
	;; [unrolled: 2-line block ×3, first 2 shown]
	v_or_b32_e32 v39, v1, v3
	s_delay_alu instid0(VALU_DEP_4) | instskip(NEXT) | instid1(VALU_DEP_3)
	v_or_b32_e32 v37, v4, v5
	v_or_b32_e32 v35, v6, v2
.LBB1713_35:
	s_delay_alu instid0(VALU_DEP_3)
	v_and_b32_e32 v41, 0xff, v39
	v_bfe_u32 v42, v39, 8, 8
	v_bfe_u32 v43, v39, 16, 8
	v_lshrrev_b32_e32 v40, 24, v39
	v_and_b32_e32 v44, 0xff, v37
	v_bfe_u32 v45, v37, 8, 8
	v_bfe_u32 v46, v37, 16, 8
	v_add3_u32 v1, v42, v41, v43
	v_lshrrev_b32_e32 v38, 24, v37
	v_and_b32_e32 v47, 0xff, v35
	v_bfe_u32 v48, v35, 8, 8
	v_mbcnt_lo_u32_b32 v50, -1, 0
	v_add3_u32 v1, v1, v40, v44
	v_bfe_u32 v49, v35, 16, 8
	v_lshrrev_b32_e32 v36, 24, v35
	v_and_b32_e32 v2, 0xff, v34
	v_and_b32_e32 v3, 15, v50
	v_add3_u32 v1, v1, v45, v46
	v_or_b32_e32 v4, 31, v0
	v_and_b32_e32 v5, 16, v50
	v_lshrrev_b32_e32 v51, 5, v0
	v_cmp_eq_u32_e64 s5, 0, v3
	v_add3_u32 v1, v1, v38, v47
	v_cmp_lt_u32_e64 s4, 1, v3
	v_cmp_lt_u32_e64 s3, 3, v3
	;; [unrolled: 1-line block ×3, first 2 shown]
	v_cmp_eq_u32_e64 s1, 0, v5
	v_add3_u32 v1, v1, v48, v49
	v_cmp_eq_u32_e64 s0, v4, v0
	s_cmp_lg_u32 s15, 0
	s_mov_b32 s6, -1
	s_delay_alu instid0(VALU_DEP_2)
	v_add3_u32 v52, v1, v36, v2
	s_cbranch_scc0 .LBB1713_61
; %bb.36:
	s_delay_alu instid0(VALU_DEP_1) | instskip(NEXT) | instid1(VALU_DEP_1)
	v_mov_b32_dpp v1, v52 row_shr:1 row_mask:0xf bank_mask:0xf
	v_cndmask_b32_e64 v1, v1, 0, s5
	s_delay_alu instid0(VALU_DEP_1) | instskip(NEXT) | instid1(VALU_DEP_1)
	v_add_nc_u32_e32 v1, v1, v52
	v_mov_b32_dpp v2, v1 row_shr:2 row_mask:0xf bank_mask:0xf
	s_delay_alu instid0(VALU_DEP_1) | instskip(NEXT) | instid1(VALU_DEP_1)
	v_cndmask_b32_e64 v2, 0, v2, s4
	v_add_nc_u32_e32 v1, v1, v2
	s_delay_alu instid0(VALU_DEP_1) | instskip(NEXT) | instid1(VALU_DEP_1)
	v_mov_b32_dpp v2, v1 row_shr:4 row_mask:0xf bank_mask:0xf
	v_cndmask_b32_e64 v2, 0, v2, s3
	s_delay_alu instid0(VALU_DEP_1) | instskip(NEXT) | instid1(VALU_DEP_1)
	v_add_nc_u32_e32 v1, v1, v2
	v_mov_b32_dpp v2, v1 row_shr:8 row_mask:0xf bank_mask:0xf
	s_delay_alu instid0(VALU_DEP_1) | instskip(NEXT) | instid1(VALU_DEP_1)
	v_cndmask_b32_e64 v2, 0, v2, s2
	v_add_nc_u32_e32 v1, v1, v2
	ds_swizzle_b32 v2, v1 offset:swizzle(BROADCAST,32,15)
	s_waitcnt lgkmcnt(0)
	v_cndmask_b32_e64 v2, v2, 0, s1
	s_delay_alu instid0(VALU_DEP_1)
	v_add_nc_u32_e32 v1, v1, v2
	s_and_saveexec_b32 s6, s0
	s_cbranch_execz .LBB1713_38
; %bb.37:
	v_lshlrev_b32_e32 v2, 2, v51
	ds_store_b32 v2, v1
.LBB1713_38:
	s_or_b32 exec_lo, exec_lo, s6
	s_delay_alu instid0(SALU_CYCLE_1)
	s_mov_b32 s6, exec_lo
	s_waitcnt lgkmcnt(0)
	s_barrier
	buffer_gl0_inv
	v_cmpx_gt_u32_e32 8, v0
	s_cbranch_execz .LBB1713_40
; %bb.39:
	ds_load_b32 v2, v30
	s_waitcnt lgkmcnt(0)
	v_mov_b32_dpp v4, v2 row_shr:1 row_mask:0xf bank_mask:0xf
	v_and_b32_e32 v3, 7, v50
	s_delay_alu instid0(VALU_DEP_1) | instskip(NEXT) | instid1(VALU_DEP_3)
	v_cmp_ne_u32_e32 vcc_lo, 0, v3
	v_cndmask_b32_e32 v4, 0, v4, vcc_lo
	v_cmp_lt_u32_e32 vcc_lo, 1, v3
	s_delay_alu instid0(VALU_DEP_2) | instskip(NEXT) | instid1(VALU_DEP_1)
	v_add_nc_u32_e32 v2, v4, v2
	v_mov_b32_dpp v4, v2 row_shr:2 row_mask:0xf bank_mask:0xf
	s_delay_alu instid0(VALU_DEP_1) | instskip(SKIP_1) | instid1(VALU_DEP_2)
	v_cndmask_b32_e32 v4, 0, v4, vcc_lo
	v_cmp_lt_u32_e32 vcc_lo, 3, v3
	v_add_nc_u32_e32 v2, v2, v4
	s_delay_alu instid0(VALU_DEP_1) | instskip(NEXT) | instid1(VALU_DEP_1)
	v_mov_b32_dpp v4, v2 row_shr:4 row_mask:0xf bank_mask:0xf
	v_cndmask_b32_e32 v3, 0, v4, vcc_lo
	s_delay_alu instid0(VALU_DEP_1)
	v_add_nc_u32_e32 v2, v2, v3
	ds_store_b32 v30, v2
.LBB1713_40:
	s_or_b32 exec_lo, exec_lo, s6
	v_cmp_gt_u32_e32 vcc_lo, 32, v0
	s_mov_b32 s7, exec_lo
	s_waitcnt lgkmcnt(0)
	s_barrier
	buffer_gl0_inv
                                        ; implicit-def: $vgpr8
	v_cmpx_lt_u32_e32 31, v0
	s_cbranch_execz .LBB1713_42
; %bb.41:
	v_lshl_add_u32 v2, v51, 2, -4
	ds_load_b32 v8, v2
	s_waitcnt lgkmcnt(0)
	v_add_nc_u32_e32 v1, v8, v1
.LBB1713_42:
	s_or_b32 exec_lo, exec_lo, s7
	v_add_nc_u32_e32 v2, -1, v50
	s_delay_alu instid0(VALU_DEP_1) | instskip(NEXT) | instid1(VALU_DEP_1)
	v_cmp_gt_i32_e64 s6, 0, v2
	v_cndmask_b32_e64 v2, v2, v50, s6
	v_cmp_eq_u32_e64 s6, 0, v50
	s_delay_alu instid0(VALU_DEP_2)
	v_lshlrev_b32_e32 v2, 2, v2
	ds_bpermute_b32 v9, v2, v1
	s_and_saveexec_b32 s7, vcc_lo
	s_cbranch_execz .LBB1713_60
; %bb.43:
	v_mov_b32_e32 v4, 0
	ds_load_b32 v1, v4 offset:28
	s_and_saveexec_b32 s24, s6
	s_cbranch_execz .LBB1713_45
; %bb.44:
	s_add_i32 s26, s15, 32
	s_mov_b32 s27, 0
	v_mov_b32_e32 v2, 1
	s_lshl_b64 s[26:27], s[26:27], 3
	s_delay_alu instid0(SALU_CYCLE_1)
	s_add_u32 s26, s20, s26
	s_addc_u32 s27, s21, s27
	s_waitcnt lgkmcnt(0)
	global_store_b64 v4, v[1:2], s[26:27]
.LBB1713_45:
	s_or_b32 exec_lo, exec_lo, s24
	v_xad_u32 v2, v50, -1, s15
	s_mov_b32 s25, 0
	s_mov_b32 s24, exec_lo
	s_delay_alu instid0(VALU_DEP_1) | instskip(NEXT) | instid1(VALU_DEP_1)
	v_add_nc_u32_e32 v3, 32, v2
	v_lshlrev_b64 v[3:4], 3, v[3:4]
	s_delay_alu instid0(VALU_DEP_1) | instskip(NEXT) | instid1(VALU_DEP_2)
	v_add_co_u32 v6, vcc_lo, s20, v3
	v_add_co_ci_u32_e32 v7, vcc_lo, s21, v4, vcc_lo
	global_load_b64 v[4:5], v[6:7], off glc
	s_waitcnt vmcnt(0)
	v_and_b32_e32 v3, 0xff, v5
	s_delay_alu instid0(VALU_DEP_1)
	v_cmpx_eq_u16_e32 0, v3
	s_cbranch_execz .LBB1713_48
.LBB1713_46:                            ; =>This Inner Loop Header: Depth=1
	global_load_b64 v[4:5], v[6:7], off glc
	s_waitcnt vmcnt(0)
	v_and_b32_e32 v3, 0xff, v5
	s_delay_alu instid0(VALU_DEP_1) | instskip(SKIP_1) | instid1(SALU_CYCLE_1)
	v_cmp_ne_u16_e32 vcc_lo, 0, v3
	s_or_b32 s25, vcc_lo, s25
	s_and_not1_b32 exec_lo, exec_lo, s25
	s_cbranch_execnz .LBB1713_46
; %bb.47:
	s_or_b32 exec_lo, exec_lo, s25
.LBB1713_48:
	s_delay_alu instid0(SALU_CYCLE_1)
	s_or_b32 exec_lo, exec_lo, s24
	v_cmp_ne_u32_e32 vcc_lo, 31, v50
	v_lshlrev_b32_e64 v11, v50, -1
	v_add_nc_u32_e32 v13, 2, v50
	v_add_nc_u32_e32 v16, 4, v50
	;; [unrolled: 1-line block ×3, first 2 shown]
	v_add_co_ci_u32_e32 v3, vcc_lo, 0, v50, vcc_lo
	v_add_nc_u32_e32 v55, 16, v50
	s_delay_alu instid0(VALU_DEP_2) | instskip(SKIP_2) | instid1(VALU_DEP_1)
	v_lshlrev_b32_e32 v10, 2, v3
	ds_bpermute_b32 v6, v10, v4
	v_and_b32_e32 v3, 0xff, v5
	v_cmp_eq_u16_e32 vcc_lo, 2, v3
	v_and_or_b32 v3, vcc_lo, v11, 0x80000000
	v_cmp_gt_u32_e32 vcc_lo, 30, v50
	s_delay_alu instid0(VALU_DEP_2) | instskip(SKIP_1) | instid1(VALU_DEP_2)
	v_ctz_i32_b32_e32 v3, v3
	v_cndmask_b32_e64 v7, 0, 1, vcc_lo
	v_cmp_lt_u32_e32 vcc_lo, v50, v3
	s_waitcnt lgkmcnt(0)
	s_delay_alu instid0(VALU_DEP_2) | instskip(NEXT) | instid1(VALU_DEP_1)
	v_dual_cndmask_b32 v6, 0, v6 :: v_dual_lshlrev_b32 v7, 1, v7
	v_add_lshl_u32 v12, v7, v50, 2
	v_cmp_gt_u32_e32 vcc_lo, 28, v50
	s_delay_alu instid0(VALU_DEP_3) | instskip(SKIP_4) | instid1(VALU_DEP_1)
	v_add_nc_u32_e32 v4, v6, v4
	v_cndmask_b32_e64 v7, 0, 1, vcc_lo
	v_cmp_le_u32_e32 vcc_lo, v13, v3
	ds_bpermute_b32 v6, v12, v4
	v_lshlrev_b32_e32 v7, 2, v7
	v_add_lshl_u32 v14, v7, v50, 2
	s_waitcnt lgkmcnt(0)
	v_cndmask_b32_e32 v6, 0, v6, vcc_lo
	v_cmp_gt_u32_e32 vcc_lo, 24, v50
	s_delay_alu instid0(VALU_DEP_2) | instskip(SKIP_4) | instid1(VALU_DEP_1)
	v_add_nc_u32_e32 v4, v4, v6
	v_cndmask_b32_e64 v7, 0, 1, vcc_lo
	v_cmp_le_u32_e32 vcc_lo, v16, v3
	ds_bpermute_b32 v6, v14, v4
	v_lshlrev_b32_e32 v7, 3, v7
	v_add_lshl_u32 v17, v7, v50, 2
	s_waitcnt lgkmcnt(0)
	v_cndmask_b32_e32 v6, 0, v6, vcc_lo
	v_cmp_gt_u32_e32 vcc_lo, 16, v50
	s_delay_alu instid0(VALU_DEP_2) | instskip(SKIP_4) | instid1(VALU_DEP_1)
	v_add_nc_u32_e32 v4, v4, v6
	v_cndmask_b32_e64 v7, 0, 1, vcc_lo
	v_cmp_le_u32_e32 vcc_lo, v53, v3
	ds_bpermute_b32 v6, v17, v4
	v_lshlrev_b32_e32 v7, 4, v7
	v_add_lshl_u32 v54, v7, v50, 2
	s_waitcnt lgkmcnt(0)
	v_cndmask_b32_e32 v6, 0, v6, vcc_lo
	v_cmp_le_u32_e32 vcc_lo, v55, v3
	s_delay_alu instid0(VALU_DEP_2) | instskip(SKIP_3) | instid1(VALU_DEP_1)
	v_add_nc_u32_e32 v4, v4, v6
	ds_bpermute_b32 v6, v54, v4
	s_waitcnt lgkmcnt(0)
	v_cndmask_b32_e32 v3, 0, v6, vcc_lo
	v_dual_mov_b32 v3, 0 :: v_dual_add_nc_u32 v4, v4, v3
	s_branch .LBB1713_50
.LBB1713_49:                            ;   in Loop: Header=BB1713_50 Depth=1
	s_or_b32 exec_lo, exec_lo, s24
	ds_bpermute_b32 v7, v10, v4
	v_and_b32_e32 v6, 0xff, v5
	v_subrev_nc_u32_e32 v2, 32, v2
	s_delay_alu instid0(VALU_DEP_2) | instskip(SKIP_1) | instid1(VALU_DEP_1)
	v_cmp_eq_u16_e32 vcc_lo, 2, v6
	v_and_or_b32 v6, vcc_lo, v11, 0x80000000
	v_ctz_i32_b32_e32 v6, v6
	s_delay_alu instid0(VALU_DEP_1) | instskip(SKIP_3) | instid1(VALU_DEP_2)
	v_cmp_lt_u32_e32 vcc_lo, v50, v6
	s_waitcnt lgkmcnt(0)
	v_cndmask_b32_e32 v7, 0, v7, vcc_lo
	v_cmp_le_u32_e32 vcc_lo, v13, v6
	v_add_nc_u32_e32 v4, v7, v4
	ds_bpermute_b32 v7, v12, v4
	s_waitcnt lgkmcnt(0)
	v_cndmask_b32_e32 v7, 0, v7, vcc_lo
	v_cmp_le_u32_e32 vcc_lo, v16, v6
	s_delay_alu instid0(VALU_DEP_2) | instskip(SKIP_4) | instid1(VALU_DEP_2)
	v_add_nc_u32_e32 v4, v4, v7
	ds_bpermute_b32 v7, v14, v4
	s_waitcnt lgkmcnt(0)
	v_cndmask_b32_e32 v7, 0, v7, vcc_lo
	v_cmp_le_u32_e32 vcc_lo, v53, v6
	v_add_nc_u32_e32 v4, v4, v7
	ds_bpermute_b32 v7, v17, v4
	s_waitcnt lgkmcnt(0)
	v_cndmask_b32_e32 v7, 0, v7, vcc_lo
	v_cmp_le_u32_e32 vcc_lo, v55, v6
	s_delay_alu instid0(VALU_DEP_2) | instskip(SKIP_3) | instid1(VALU_DEP_1)
	v_add_nc_u32_e32 v4, v4, v7
	ds_bpermute_b32 v7, v54, v4
	s_waitcnt lgkmcnt(0)
	v_cndmask_b32_e32 v6, 0, v7, vcc_lo
	v_add3_u32 v4, v6, v15, v4
.LBB1713_50:                            ; =>This Loop Header: Depth=1
                                        ;     Child Loop BB1713_53 Depth 2
	v_and_b32_e32 v5, 0xff, v5
	s_delay_alu instid0(VALU_DEP_2) | instskip(NEXT) | instid1(VALU_DEP_2)
	v_mov_b32_e32 v15, v4
	v_cmp_ne_u16_e32 vcc_lo, 2, v5
	v_cndmask_b32_e64 v5, 0, 1, vcc_lo
	;;#ASMSTART
	;;#ASMEND
	s_delay_alu instid0(VALU_DEP_1)
	v_cmp_ne_u32_e32 vcc_lo, 0, v5
	s_cmp_lg_u32 vcc_lo, exec_lo
	s_cbranch_scc1 .LBB1713_55
; %bb.51:                               ;   in Loop: Header=BB1713_50 Depth=1
	v_lshlrev_b64 v[4:5], 3, v[2:3]
	s_mov_b32 s24, exec_lo
	s_delay_alu instid0(VALU_DEP_1) | instskip(NEXT) | instid1(VALU_DEP_2)
	v_add_co_u32 v6, vcc_lo, s20, v4
	v_add_co_ci_u32_e32 v7, vcc_lo, s21, v5, vcc_lo
	global_load_b64 v[4:5], v[6:7], off glc
	s_waitcnt vmcnt(0)
	v_and_b32_e32 v56, 0xff, v5
	s_delay_alu instid0(VALU_DEP_1)
	v_cmpx_eq_u16_e32 0, v56
	s_cbranch_execz .LBB1713_49
; %bb.52:                               ;   in Loop: Header=BB1713_50 Depth=1
	s_mov_b32 s25, 0
.LBB1713_53:                            ;   Parent Loop BB1713_50 Depth=1
                                        ; =>  This Inner Loop Header: Depth=2
	global_load_b64 v[4:5], v[6:7], off glc
	s_waitcnt vmcnt(0)
	v_and_b32_e32 v56, 0xff, v5
	s_delay_alu instid0(VALU_DEP_1) | instskip(SKIP_1) | instid1(SALU_CYCLE_1)
	v_cmp_ne_u16_e32 vcc_lo, 0, v56
	s_or_b32 s25, vcc_lo, s25
	s_and_not1_b32 exec_lo, exec_lo, s25
	s_cbranch_execnz .LBB1713_53
; %bb.54:                               ;   in Loop: Header=BB1713_50 Depth=1
	s_or_b32 exec_lo, exec_lo, s25
	s_branch .LBB1713_49
.LBB1713_55:                            ;   in Loop: Header=BB1713_50 Depth=1
                                        ; implicit-def: $vgpr4
                                        ; implicit-def: $vgpr5
	s_cbranch_execz .LBB1713_50
; %bb.56:
	s_and_saveexec_b32 s24, s6
	s_cbranch_execz .LBB1713_58
; %bb.57:
	s_add_i32 s26, s15, 32
	s_mov_b32 s27, 0
	v_dual_mov_b32 v3, 2 :: v_dual_add_nc_u32 v2, v15, v1
	s_lshl_b64 s[26:27], s[26:27], 3
	v_mov_b32_e32 v4, 0
	v_add_nc_u32_e64 v5, 0x3400, 0
	s_add_u32 s26, s20, s26
	s_addc_u32 s27, s21, s27
	global_store_b64 v4, v[2:3], s[26:27]
	ds_store_2addr_b32 v5, v1, v15 offset1:2
.LBB1713_58:
	s_or_b32 exec_lo, exec_lo, s24
	v_cmp_eq_u32_e32 vcc_lo, 0, v0
	s_and_b32 exec_lo, exec_lo, vcc_lo
	s_cbranch_execz .LBB1713_60
; %bb.59:
	v_mov_b32_e32 v1, 0
	ds_store_b32 v1, v15 offset:28
.LBB1713_60:
	s_or_b32 exec_lo, exec_lo, s7
	s_waitcnt lgkmcnt(0)
	v_cndmask_b32_e64 v2, v9, v8, s6
	v_cmp_ne_u32_e32 vcc_lo, 0, v0
	v_mov_b32_e32 v1, 0
	s_waitcnt_vscnt null, 0x0
	s_barrier
	buffer_gl0_inv
	v_cndmask_b32_e32 v2, 0, v2, vcc_lo
	ds_load_b32 v1, v1 offset:28
	v_add_nc_u32_e64 v11, 0x3400, 0
	s_waitcnt lgkmcnt(0)
	s_barrier
	buffer_gl0_inv
	ds_load_2addr_b32 v[16:17], v11 offset1:2
	v_add_nc_u32_e32 v1, v1, v2
	s_delay_alu instid0(VALU_DEP_1) | instskip(NEXT) | instid1(VALU_DEP_1)
	v_add_nc_u32_e32 v2, v1, v41
	v_add_nc_u32_e32 v3, v2, v42
	s_delay_alu instid0(VALU_DEP_1) | instskip(NEXT) | instid1(VALU_DEP_1)
	v_add_nc_u32_e32 v4, v3, v43
	;; [unrolled: 3-line block ×6, first 2 shown]
	v_add_nc_u32_e32 v13, v12, v36
	s_branch .LBB1713_71
.LBB1713_61:
                                        ; implicit-def: $vgpr17
                                        ; implicit-def: $vgpr1_vgpr2_vgpr3_vgpr4_vgpr5_vgpr6_vgpr7_vgpr8_vgpr9_vgpr10_vgpr11_vgpr12_vgpr13_vgpr14_vgpr15_vgpr16
	s_and_b32 vcc_lo, exec_lo, s6
	s_cbranch_vccz .LBB1713_71
; %bb.62:
	s_delay_alu instid0(VALU_DEP_1) | instskip(NEXT) | instid1(VALU_DEP_1)
	v_mov_b32_dpp v1, v52 row_shr:1 row_mask:0xf bank_mask:0xf
	v_cndmask_b32_e64 v1, v1, 0, s5
	s_delay_alu instid0(VALU_DEP_1) | instskip(NEXT) | instid1(VALU_DEP_1)
	v_add_nc_u32_e32 v1, v1, v52
	v_mov_b32_dpp v2, v1 row_shr:2 row_mask:0xf bank_mask:0xf
	s_delay_alu instid0(VALU_DEP_1) | instskip(NEXT) | instid1(VALU_DEP_1)
	v_cndmask_b32_e64 v2, 0, v2, s4
	v_add_nc_u32_e32 v1, v1, v2
	s_delay_alu instid0(VALU_DEP_1) | instskip(NEXT) | instid1(VALU_DEP_1)
	v_mov_b32_dpp v2, v1 row_shr:4 row_mask:0xf bank_mask:0xf
	v_cndmask_b32_e64 v2, 0, v2, s3
	s_delay_alu instid0(VALU_DEP_1) | instskip(NEXT) | instid1(VALU_DEP_1)
	v_add_nc_u32_e32 v1, v1, v2
	v_mov_b32_dpp v2, v1 row_shr:8 row_mask:0xf bank_mask:0xf
	s_delay_alu instid0(VALU_DEP_1) | instskip(NEXT) | instid1(VALU_DEP_1)
	v_cndmask_b32_e64 v2, 0, v2, s2
	v_add_nc_u32_e32 v1, v1, v2
	ds_swizzle_b32 v2, v1 offset:swizzle(BROADCAST,32,15)
	s_waitcnt lgkmcnt(0)
	v_cndmask_b32_e64 v2, v2, 0, s1
	s_delay_alu instid0(VALU_DEP_1)
	v_add_nc_u32_e32 v1, v1, v2
	s_and_saveexec_b32 s1, s0
	s_cbranch_execz .LBB1713_64
; %bb.63:
	v_lshlrev_b32_e32 v2, 2, v51
	ds_store_b32 v2, v1
.LBB1713_64:
	s_or_b32 exec_lo, exec_lo, s1
	s_delay_alu instid0(SALU_CYCLE_1)
	s_mov_b32 s0, exec_lo
	s_waitcnt lgkmcnt(0)
	s_barrier
	buffer_gl0_inv
	v_cmpx_gt_u32_e32 8, v0
	s_cbranch_execz .LBB1713_66
; %bb.65:
	ds_load_b32 v2, v30
	s_waitcnt lgkmcnt(0)
	v_mov_b32_dpp v4, v2 row_shr:1 row_mask:0xf bank_mask:0xf
	v_and_b32_e32 v3, 7, v50
	s_delay_alu instid0(VALU_DEP_1) | instskip(NEXT) | instid1(VALU_DEP_3)
	v_cmp_ne_u32_e32 vcc_lo, 0, v3
	v_cndmask_b32_e32 v4, 0, v4, vcc_lo
	v_cmp_lt_u32_e32 vcc_lo, 1, v3
	s_delay_alu instid0(VALU_DEP_2) | instskip(NEXT) | instid1(VALU_DEP_1)
	v_add_nc_u32_e32 v2, v4, v2
	v_mov_b32_dpp v4, v2 row_shr:2 row_mask:0xf bank_mask:0xf
	s_delay_alu instid0(VALU_DEP_1) | instskip(SKIP_1) | instid1(VALU_DEP_2)
	v_cndmask_b32_e32 v4, 0, v4, vcc_lo
	v_cmp_lt_u32_e32 vcc_lo, 3, v3
	v_add_nc_u32_e32 v2, v2, v4
	s_delay_alu instid0(VALU_DEP_1) | instskip(NEXT) | instid1(VALU_DEP_1)
	v_mov_b32_dpp v4, v2 row_shr:4 row_mask:0xf bank_mask:0xf
	v_cndmask_b32_e32 v3, 0, v4, vcc_lo
	s_delay_alu instid0(VALU_DEP_1)
	v_add_nc_u32_e32 v2, v2, v3
	ds_store_b32 v30, v2
.LBB1713_66:
	s_or_b32 exec_lo, exec_lo, s0
	v_dual_mov_b32 v3, 0 :: v_dual_mov_b32 v2, 0
	s_mov_b32 s0, exec_lo
	s_waitcnt lgkmcnt(0)
	s_barrier
	buffer_gl0_inv
	v_cmpx_lt_u32_e32 31, v0
	s_cbranch_execz .LBB1713_68
; %bb.67:
	v_lshl_add_u32 v2, v51, 2, -4
	ds_load_b32 v2, v2
.LBB1713_68:
	s_or_b32 exec_lo, exec_lo, s0
	v_add_nc_u32_e32 v4, -1, v50
	ds_load_b32 v16, v3 offset:28
	s_waitcnt lgkmcnt(1)
	v_add_nc_u32_e32 v1, v2, v1
	v_cmp_gt_i32_e32 vcc_lo, 0, v4
	v_cndmask_b32_e32 v4, v4, v50, vcc_lo
	v_cmp_eq_u32_e32 vcc_lo, 0, v0
	s_delay_alu instid0(VALU_DEP_2)
	v_lshlrev_b32_e32 v4, 2, v4
	ds_bpermute_b32 v1, v4, v1
	s_and_saveexec_b32 s0, vcc_lo
	s_cbranch_execz .LBB1713_70
; %bb.69:
	v_mov_b32_e32 v3, 0
	v_mov_b32_e32 v17, 2
	s_waitcnt lgkmcnt(1)
	global_store_b64 v3, v[16:17], s[20:21] offset:256
.LBB1713_70:
	s_or_b32 exec_lo, exec_lo, s0
	v_cmp_eq_u32_e64 s0, 0, v50
	s_waitcnt lgkmcnt(0)
	s_waitcnt_vscnt null, 0x0
	s_barrier
	buffer_gl0_inv
	v_mov_b32_e32 v17, 0
	v_cndmask_b32_e64 v1, v1, v2, s0
	s_delay_alu instid0(VALU_DEP_1) | instskip(NEXT) | instid1(VALU_DEP_1)
	v_cndmask_b32_e64 v1, v1, 0, vcc_lo
	v_add_nc_u32_e32 v2, v1, v41
	s_delay_alu instid0(VALU_DEP_1) | instskip(NEXT) | instid1(VALU_DEP_1)
	v_add_nc_u32_e32 v3, v2, v42
	v_add_nc_u32_e32 v4, v3, v43
	s_delay_alu instid0(VALU_DEP_1) | instskip(NEXT) | instid1(VALU_DEP_1)
	v_add_nc_u32_e32 v5, v4, v40
	;; [unrolled: 3-line block ×5, first 2 shown]
	v_add_nc_u32_e32 v12, v11, v49
	s_delay_alu instid0(VALU_DEP_1)
	v_add_nc_u32_e32 v13, v12, v36
.LBB1713_71:
	v_lshrrev_b32_e32 v44, 8, v39
	v_lshrrev_b32_e32 v43, 16, v39
	s_waitcnt lgkmcnt(0)
	v_sub_nc_u32_e32 v1, v1, v17
	v_and_b32_e32 v39, 1, v39
	v_sub_nc_u32_e32 v3, v3, v17
	v_add_nc_u32_e32 v33, v16, v33
	v_sub_nc_u32_e32 v2, v2, v17
	v_sub_nc_u32_e32 v4, v4, v17
	v_cmp_eq_u32_e32 vcc_lo, 1, v39
	v_and_b32_e32 v39, 1, v43
	v_sub_nc_u32_e32 v45, v33, v1
	v_and_b32_e32 v44, 1, v44
	v_sub_nc_u32_e32 v43, v33, v2
	v_lshrrev_b32_e32 v42, 8, v37
	v_lshrrev_b32_e32 v41, 16, v37
	v_cndmask_b32_e32 v1, v45, v1, vcc_lo
	v_sub_nc_u32_e32 v45, v33, v3
	v_add_nc_u32_e32 v43, 1, v43
	v_cmp_eq_u32_e32 vcc_lo, 1, v44
	v_and_b32_e32 v40, 1, v40
	v_lshlrev_b32_e32 v1, 2, v1
	v_add_nc_u32_e32 v45, 2, v45
	v_lshrrev_b32_e32 v15, 8, v35
	v_lshrrev_b32_e32 v14, 16, v35
	ds_store_b32 v1, v28
	v_cndmask_b32_e32 v1, v43, v2, vcc_lo
	v_cmp_eq_u32_e32 vcc_lo, 1, v39
	v_or_b32_e32 v28, 0x500, v0
	s_delay_alu instid0(VALU_DEP_3)
	v_dual_cndmask_b32 v2, v45, v3 :: v_dual_lshlrev_b32 v1, 2, v1
	v_sub_nc_u32_e32 v46, v33, v4
	v_cmp_eq_u32_e32 vcc_lo, 1, v40
	ds_store_b32 v1, v29
	v_lshlrev_b32_e32 v2, 2, v2
	v_add_nc_u32_e32 v46, 3, v46
	v_or_b32_e32 v29, 0x400, v0
	s_delay_alu instid0(VALU_DEP_2) | instskip(SKIP_2) | instid1(VALU_DEP_3)
	v_cndmask_b32_e32 v3, v46, v4, vcc_lo
	v_sub_nc_u32_e32 v4, v5, v17
	v_sub_nc_u32_e32 v5, v6, v17
	v_lshlrev_b32_e32 v3, 2, v3
	s_delay_alu instid0(VALU_DEP_3) | instskip(NEXT) | instid1(VALU_DEP_3)
	v_sub_nc_u32_e32 v1, v33, v4
	v_sub_nc_u32_e32 v6, v33, v5
	ds_store_b32 v2, v26
	ds_store_b32 v3, v27
	v_and_b32_e32 v2, 1, v37
	v_add_nc_u32_e32 v1, 4, v1
	v_add_nc_u32_e32 v3, 5, v6
	v_sub_nc_u32_e32 v6, v7, v17
	v_and_b32_e32 v7, 1, v42
	v_cmp_eq_u32_e32 vcc_lo, 1, v2
	v_sub_nc_u32_e32 v2, v8, v17
	v_and_b32_e32 v8, 1, v38
	v_or_b32_e32 v27, 0x600, v0
	v_or_b32_e32 v26, 0x700, v0
	v_cndmask_b32_e32 v1, v1, v4, vcc_lo
	v_sub_nc_u32_e32 v4, v33, v6
	v_cmp_eq_u32_e32 vcc_lo, 1, v7
	v_and_b32_e32 v7, 1, v41
	s_delay_alu instid0(VALU_DEP_4) | instskip(NEXT) | instid1(VALU_DEP_4)
	v_lshlrev_b32_e32 v1, 2, v1
	v_dual_cndmask_b32 v3, v3, v5 :: v_dual_add_nc_u32 v4, 6, v4
	v_sub_nc_u32_e32 v5, v33, v2
	s_delay_alu instid0(VALU_DEP_4) | instskip(SKIP_1) | instid1(VALU_DEP_4)
	v_cmp_eq_u32_e32 vcc_lo, 1, v7
	v_sub_nc_u32_e32 v7, v13, v17
	v_lshlrev_b32_e32 v3, 2, v3
	s_delay_alu instid0(VALU_DEP_4)
	v_dual_cndmask_b32 v4, v4, v6 :: v_dual_add_nc_u32 v5, 7, v5
	v_cmp_eq_u32_e32 vcc_lo, 1, v8
	v_sub_nc_u32_e32 v6, v9, v17
	ds_store_b32 v1, v24
	ds_store_b32 v3, v25
	v_or_b32_e32 v25, 0x800, v0
	v_dual_cndmask_b32 v2, v5, v2 :: v_dual_lshlrev_b32 v3, 2, v4
	v_and_b32_e32 v5, 1, v35
	v_sub_nc_u32_e32 v1, v33, v6
	v_sub_nc_u32_e32 v4, v10, v17
	v_and_b32_e32 v10, 1, v36
	v_or_b32_e32 v24, 0x900, v0
	v_cmp_eq_u32_e32 vcc_lo, 1, v5
	v_sub_nc_u32_e32 v5, v12, v17
	v_add_nc_u32_e32 v1, 8, v1
	s_delay_alu instid0(VALU_DEP_2) | instskip(NEXT) | instid1(VALU_DEP_2)
	v_sub_nc_u32_e32 v9, v33, v5
	v_dual_cndmask_b32 v1, v1, v6 :: v_dual_and_b32 v6, 1, v15
	v_add_co_u32 v15, s0, s18, v17
	s_delay_alu instid0(VALU_DEP_3)
	v_add_nc_u32_e32 v9, 11, v9
	v_lshlrev_b32_e32 v2, 2, v2
	ds_store_b32 v3, v22
	ds_store_b32 v2, v23
	v_sub_nc_u32_e32 v3, v11, v17
	v_sub_nc_u32_e32 v2, v33, v4
	v_cmp_eq_u32_e32 vcc_lo, 1, v6
	v_and_b32_e32 v11, 1, v34
	v_lshlrev_b32_e32 v1, 2, v1
	v_sub_nc_u32_e32 v8, v33, v3
	v_add_nc_u32_e32 v2, 9, v2
	v_add_co_ci_u32_e64 v17, null, s19, 0, s0
	s_add_u32 s0, s16, s23
	s_delay_alu instid0(VALU_DEP_3)
	v_add_nc_u32_e32 v6, 10, v8
	v_and_b32_e32 v8, 1, v14
	v_cndmask_b32_e32 v2, v2, v4, vcc_lo
	v_sub_nc_u32_e32 v4, v33, v7
	s_addc_u32 s1, s17, 0
	s_sub_u32 s0, s12, s0
	v_cmp_eq_u32_e32 vcc_lo, 1, v8
	v_lshlrev_b32_e32 v2, 2, v2
	v_add_nc_u32_e32 v4, 12, v4
	s_subb_u32 s1, s13, s1
	v_add_co_u32 v13, s0, s0, v16
	v_cndmask_b32_e32 v3, v6, v3, vcc_lo
	v_cmp_eq_u32_e32 vcc_lo, 1, v10
	v_add_co_ci_u32_e64 v14, null, s1, 0, s0
	v_or_b32_e32 v34, 0x100, v0
	s_delay_alu instid0(VALU_DEP_4)
	v_lshlrev_b32_e32 v3, 2, v3
	v_cndmask_b32_e32 v5, v9, v5, vcc_lo
	v_cmp_eq_u32_e32 vcc_lo, 1, v11
	v_or_b32_e32 v33, 0x200, v0
	v_or_b32_e32 v23, 0xa00, v0
	;; [unrolled: 1-line block ×3, first 2 shown]
	v_dual_cndmask_b32 v4, v4, v7 :: v_dual_lshlrev_b32 v5, 2, v5
	v_cmp_ne_u32_e32 vcc_lo, 1, v31
	s_delay_alu instid0(VALU_DEP_2)
	v_lshlrev_b32_e32 v4, 2, v4
	ds_store_b32 v1, v20
	ds_store_b32 v2, v21
	;; [unrolled: 1-line block ×5, first 2 shown]
	s_waitcnt lgkmcnt(0)
	s_barrier
	buffer_gl0_inv
	ds_load_2addr_stride64_b32 v[11:12], v30 offset1:4
	ds_load_2addr_stride64_b32 v[9:10], v30 offset0:8 offset1:12
	ds_load_2addr_stride64_b32 v[7:8], v30 offset0:16 offset1:20
	;; [unrolled: 1-line block ×5, first 2 shown]
	ds_load_b32 v18, v30 offset:12288
	v_add_co_u32 v20, s0, v13, v15
	v_or_b32_e32 v32, 0x300, v0
	v_or_b32_e32 v19, 0xc00, v0
	v_add_co_ci_u32_e64 v21, s0, v14, v17, s0
	s_mov_b32 s0, 0
	s_cbranch_vccnz .LBB1713_125
; %bb.72:
	s_mov_b32 s0, exec_lo
                                        ; implicit-def: $vgpr13_vgpr14
	v_cmpx_ge_u32_e64 v0, v16
	s_xor_b32 s0, exec_lo, s0
; %bb.73:
	v_not_b32_e32 v13, v0
	s_delay_alu instid0(VALU_DEP_1) | instskip(SKIP_1) | instid1(VALU_DEP_2)
	v_ashrrev_i32_e32 v14, 31, v13
	v_add_co_u32 v13, vcc_lo, v20, v13
	v_add_co_ci_u32_e32 v14, vcc_lo, v21, v14, vcc_lo
; %bb.74:
	s_and_not1_saveexec_b32 s0, s0
; %bb.75:
	v_add_co_u32 v13, vcc_lo, v15, v0
	v_add_co_ci_u32_e32 v14, vcc_lo, 0, v17, vcc_lo
; %bb.76:
	s_or_b32 exec_lo, exec_lo, s0
	s_delay_alu instid0(VALU_DEP_1) | instskip(SKIP_1) | instid1(VALU_DEP_1)
	v_lshlrev_b64 v[13:14], 2, v[13:14]
	s_mov_b32 s0, exec_lo
	v_add_co_u32 v13, vcc_lo, s10, v13
	s_delay_alu instid0(VALU_DEP_2)
	v_add_co_ci_u32_e32 v14, vcc_lo, s11, v14, vcc_lo
	s_waitcnt lgkmcnt(6)
	global_store_b32 v[13:14], v11, off
                                        ; implicit-def: $vgpr13_vgpr14
	v_cmpx_ge_u32_e64 v34, v16
	s_xor_b32 s0, exec_lo, s0
; %bb.77:
	v_xor_b32_e32 v13, 0xfffffeff, v0
	s_delay_alu instid0(VALU_DEP_1) | instskip(SKIP_1) | instid1(VALU_DEP_2)
	v_ashrrev_i32_e32 v14, 31, v13
	v_add_co_u32 v13, vcc_lo, v20, v13
	v_add_co_ci_u32_e32 v14, vcc_lo, v21, v14, vcc_lo
; %bb.78:
	s_and_not1_saveexec_b32 s0, s0
; %bb.79:
	v_add_co_u32 v13, vcc_lo, v15, v34
	v_add_co_ci_u32_e32 v14, vcc_lo, 0, v17, vcc_lo
; %bb.80:
	s_or_b32 exec_lo, exec_lo, s0
	s_delay_alu instid0(VALU_DEP_1) | instskip(SKIP_1) | instid1(VALU_DEP_1)
	v_lshlrev_b64 v[13:14], 2, v[13:14]
	s_mov_b32 s0, exec_lo
	v_add_co_u32 v13, vcc_lo, s10, v13
	s_delay_alu instid0(VALU_DEP_2)
	v_add_co_ci_u32_e32 v14, vcc_lo, s11, v14, vcc_lo
	global_store_b32 v[13:14], v12, off
                                        ; implicit-def: $vgpr13_vgpr14
	v_cmpx_ge_u32_e64 v33, v16
	s_xor_b32 s0, exec_lo, s0
; %bb.81:
	v_xor_b32_e32 v13, 0xfffffdff, v0
	s_delay_alu instid0(VALU_DEP_1) | instskip(SKIP_1) | instid1(VALU_DEP_2)
	v_ashrrev_i32_e32 v14, 31, v13
	v_add_co_u32 v13, vcc_lo, v20, v13
	v_add_co_ci_u32_e32 v14, vcc_lo, v21, v14, vcc_lo
; %bb.82:
	s_and_not1_saveexec_b32 s0, s0
; %bb.83:
	v_add_co_u32 v13, vcc_lo, v15, v33
	v_add_co_ci_u32_e32 v14, vcc_lo, 0, v17, vcc_lo
; %bb.84:
	s_or_b32 exec_lo, exec_lo, s0
	s_delay_alu instid0(VALU_DEP_1) | instskip(SKIP_1) | instid1(VALU_DEP_1)
	v_lshlrev_b64 v[13:14], 2, v[13:14]
	s_mov_b32 s0, exec_lo
	v_add_co_u32 v13, vcc_lo, s10, v13
	s_delay_alu instid0(VALU_DEP_2)
	v_add_co_ci_u32_e32 v14, vcc_lo, s11, v14, vcc_lo
	s_waitcnt lgkmcnt(5)
	global_store_b32 v[13:14], v9, off
                                        ; implicit-def: $vgpr13_vgpr14
	v_cmpx_ge_u32_e64 v32, v16
	s_xor_b32 s0, exec_lo, s0
; %bb.85:
	v_xor_b32_e32 v13, 0xfffffcff, v0
	s_delay_alu instid0(VALU_DEP_1) | instskip(SKIP_1) | instid1(VALU_DEP_2)
	v_ashrrev_i32_e32 v14, 31, v13
	v_add_co_u32 v13, vcc_lo, v20, v13
	v_add_co_ci_u32_e32 v14, vcc_lo, v21, v14, vcc_lo
; %bb.86:
	s_and_not1_saveexec_b32 s0, s0
; %bb.87:
	v_add_co_u32 v13, vcc_lo, v15, v32
	v_add_co_ci_u32_e32 v14, vcc_lo, 0, v17, vcc_lo
; %bb.88:
	s_or_b32 exec_lo, exec_lo, s0
	s_delay_alu instid0(VALU_DEP_1) | instskip(SKIP_1) | instid1(VALU_DEP_1)
	v_lshlrev_b64 v[13:14], 2, v[13:14]
	s_mov_b32 s0, exec_lo
	v_add_co_u32 v13, vcc_lo, s10, v13
	s_delay_alu instid0(VALU_DEP_2)
	v_add_co_ci_u32_e32 v14, vcc_lo, s11, v14, vcc_lo
	global_store_b32 v[13:14], v10, off
                                        ; implicit-def: $vgpr13_vgpr14
	v_cmpx_ge_u32_e64 v29, v16
	s_xor_b32 s0, exec_lo, s0
; %bb.89:
	v_xor_b32_e32 v13, 0xfffffbff, v0
	;; [unrolled: 47-line block ×6, first 2 shown]
	s_delay_alu instid0(VALU_DEP_1) | instskip(SKIP_1) | instid1(VALU_DEP_2)
	v_ashrrev_i32_e32 v14, 31, v13
	v_add_co_u32 v13, vcc_lo, v20, v13
	v_add_co_ci_u32_e32 v14, vcc_lo, v21, v14, vcc_lo
; %bb.122:
	s_and_not1_saveexec_b32 s0, s0
; %bb.123:
	v_add_co_u32 v13, vcc_lo, v15, v19
	v_add_co_ci_u32_e32 v14, vcc_lo, 0, v17, vcc_lo
; %bb.124:
	s_or_b32 exec_lo, exec_lo, s0
	s_mov_b32 s0, -1
	s_branch .LBB1713_205
.LBB1713_125:
                                        ; implicit-def: $vgpr13_vgpr14
	s_cbranch_execz .LBB1713_205
; %bb.126:
	s_mov_b32 s1, exec_lo
	v_cmpx_gt_u32_e64 s22, v0
	s_cbranch_execz .LBB1713_162
; %bb.127:
	s_mov_b32 s2, exec_lo
                                        ; implicit-def: $vgpr13_vgpr14
	v_cmpx_ge_u32_e64 v0, v16
	s_xor_b32 s2, exec_lo, s2
; %bb.128:
	v_not_b32_e32 v13, v0
	s_delay_alu instid0(VALU_DEP_1) | instskip(SKIP_1) | instid1(VALU_DEP_2)
	v_ashrrev_i32_e32 v14, 31, v13
	v_add_co_u32 v13, vcc_lo, v20, v13
	v_add_co_ci_u32_e32 v14, vcc_lo, v21, v14, vcc_lo
; %bb.129:
	s_and_not1_saveexec_b32 s2, s2
; %bb.130:
	v_add_co_u32 v13, vcc_lo, v15, v0
	v_add_co_ci_u32_e32 v14, vcc_lo, 0, v17, vcc_lo
; %bb.131:
	s_or_b32 exec_lo, exec_lo, s2
	s_delay_alu instid0(VALU_DEP_1) | instskip(NEXT) | instid1(VALU_DEP_1)
	v_lshlrev_b64 v[13:14], 2, v[13:14]
	v_add_co_u32 v13, vcc_lo, s10, v13
	s_delay_alu instid0(VALU_DEP_2) | instskip(SKIP_3) | instid1(SALU_CYCLE_1)
	v_add_co_ci_u32_e32 v14, vcc_lo, s11, v14, vcc_lo
	s_waitcnt lgkmcnt(6)
	global_store_b32 v[13:14], v11, off
	s_or_b32 exec_lo, exec_lo, s1
	s_mov_b32 s1, exec_lo
	v_cmpx_gt_u32_e64 s22, v34
	s_cbranch_execnz .LBB1713_163
.LBB1713_132:
	s_or_b32 exec_lo, exec_lo, s1
	s_delay_alu instid0(SALU_CYCLE_1)
	s_mov_b32 s1, exec_lo
	v_cmpx_gt_u32_e64 s22, v33
	s_cbranch_execz .LBB1713_168
.LBB1713_133:
	s_mov_b32 s2, exec_lo
                                        ; implicit-def: $vgpr11_vgpr12
	v_cmpx_ge_u32_e64 v33, v16
	s_xor_b32 s2, exec_lo, s2
	s_cbranch_execz .LBB1713_135
; %bb.134:
	s_waitcnt lgkmcnt(6)
	v_xor_b32_e32 v11, 0xfffffdff, v0
                                        ; implicit-def: $vgpr33
	s_delay_alu instid0(VALU_DEP_1) | instskip(SKIP_1) | instid1(VALU_DEP_2)
	v_ashrrev_i32_e32 v12, 31, v11
	v_add_co_u32 v11, vcc_lo, v20, v11
	v_add_co_ci_u32_e32 v12, vcc_lo, v21, v12, vcc_lo
.LBB1713_135:
	s_and_not1_saveexec_b32 s2, s2
	s_cbranch_execz .LBB1713_137
; %bb.136:
	s_waitcnt lgkmcnt(6)
	v_add_co_u32 v11, vcc_lo, v15, v33
	v_add_co_ci_u32_e32 v12, vcc_lo, 0, v17, vcc_lo
.LBB1713_137:
	s_or_b32 exec_lo, exec_lo, s2
	s_waitcnt lgkmcnt(6)
	s_delay_alu instid0(VALU_DEP_1) | instskip(NEXT) | instid1(VALU_DEP_1)
	v_lshlrev_b64 v[11:12], 2, v[11:12]
	v_add_co_u32 v11, vcc_lo, s10, v11
	s_delay_alu instid0(VALU_DEP_2) | instskip(SKIP_3) | instid1(SALU_CYCLE_1)
	v_add_co_ci_u32_e32 v12, vcc_lo, s11, v12, vcc_lo
	s_waitcnt lgkmcnt(5)
	global_store_b32 v[11:12], v9, off
	s_or_b32 exec_lo, exec_lo, s1
	s_mov_b32 s1, exec_lo
	v_cmpx_gt_u32_e64 s22, v32
	s_cbranch_execnz .LBB1713_169
.LBB1713_138:
	s_or_b32 exec_lo, exec_lo, s1
	s_delay_alu instid0(SALU_CYCLE_1)
	s_mov_b32 s1, exec_lo
	v_cmpx_gt_u32_e64 s22, v29
	s_cbranch_execz .LBB1713_174
.LBB1713_139:
	s_mov_b32 s2, exec_lo
                                        ; implicit-def: $vgpr9_vgpr10
	v_cmpx_ge_u32_e64 v29, v16
	s_xor_b32 s2, exec_lo, s2
	s_cbranch_execz .LBB1713_141
; %bb.140:
	s_waitcnt lgkmcnt(5)
	v_xor_b32_e32 v9, 0xfffffbff, v0
                                        ; implicit-def: $vgpr29
	s_delay_alu instid0(VALU_DEP_1) | instskip(SKIP_1) | instid1(VALU_DEP_2)
	v_ashrrev_i32_e32 v10, 31, v9
	v_add_co_u32 v9, vcc_lo, v20, v9
	v_add_co_ci_u32_e32 v10, vcc_lo, v21, v10, vcc_lo
.LBB1713_141:
	s_and_not1_saveexec_b32 s2, s2
	s_cbranch_execz .LBB1713_143
; %bb.142:
	s_waitcnt lgkmcnt(5)
	v_add_co_u32 v9, vcc_lo, v15, v29
	v_add_co_ci_u32_e32 v10, vcc_lo, 0, v17, vcc_lo
.LBB1713_143:
	s_or_b32 exec_lo, exec_lo, s2
	s_waitcnt lgkmcnt(5)
	s_delay_alu instid0(VALU_DEP_1) | instskip(NEXT) | instid1(VALU_DEP_1)
	v_lshlrev_b64 v[9:10], 2, v[9:10]
	v_add_co_u32 v9, vcc_lo, s10, v9
	s_delay_alu instid0(VALU_DEP_2) | instskip(SKIP_3) | instid1(SALU_CYCLE_1)
	v_add_co_ci_u32_e32 v10, vcc_lo, s11, v10, vcc_lo
	s_waitcnt lgkmcnt(4)
	global_store_b32 v[9:10], v7, off
	s_or_b32 exec_lo, exec_lo, s1
	s_mov_b32 s1, exec_lo
	v_cmpx_gt_u32_e64 s22, v28
	s_cbranch_execnz .LBB1713_175
.LBB1713_144:
	s_or_b32 exec_lo, exec_lo, s1
	s_delay_alu instid0(SALU_CYCLE_1)
	s_mov_b32 s1, exec_lo
	v_cmpx_gt_u32_e64 s22, v27
	s_cbranch_execz .LBB1713_180
.LBB1713_145:
	s_mov_b32 s2, exec_lo
                                        ; implicit-def: $vgpr7_vgpr8
	v_cmpx_ge_u32_e64 v27, v16
	s_xor_b32 s2, exec_lo, s2
	s_cbranch_execz .LBB1713_147
; %bb.146:
	s_waitcnt lgkmcnt(4)
	v_xor_b32_e32 v7, 0xfffff9ff, v0
                                        ; implicit-def: $vgpr27
	s_delay_alu instid0(VALU_DEP_1) | instskip(SKIP_1) | instid1(VALU_DEP_2)
	v_ashrrev_i32_e32 v8, 31, v7
	v_add_co_u32 v7, vcc_lo, v20, v7
	v_add_co_ci_u32_e32 v8, vcc_lo, v21, v8, vcc_lo
.LBB1713_147:
	s_and_not1_saveexec_b32 s2, s2
	s_cbranch_execz .LBB1713_149
; %bb.148:
	s_waitcnt lgkmcnt(4)
	v_add_co_u32 v7, vcc_lo, v15, v27
	v_add_co_ci_u32_e32 v8, vcc_lo, 0, v17, vcc_lo
.LBB1713_149:
	s_or_b32 exec_lo, exec_lo, s2
	s_waitcnt lgkmcnt(4)
	s_delay_alu instid0(VALU_DEP_1) | instskip(NEXT) | instid1(VALU_DEP_1)
	v_lshlrev_b64 v[7:8], 2, v[7:8]
	v_add_co_u32 v7, vcc_lo, s10, v7
	s_delay_alu instid0(VALU_DEP_2) | instskip(SKIP_3) | instid1(SALU_CYCLE_1)
	v_add_co_ci_u32_e32 v8, vcc_lo, s11, v8, vcc_lo
	s_waitcnt lgkmcnt(3)
	global_store_b32 v[7:8], v5, off
	s_or_b32 exec_lo, exec_lo, s1
	s_mov_b32 s1, exec_lo
	v_cmpx_gt_u32_e64 s22, v26
	s_cbranch_execnz .LBB1713_181
.LBB1713_150:
	s_or_b32 exec_lo, exec_lo, s1
	s_delay_alu instid0(SALU_CYCLE_1)
	s_mov_b32 s1, exec_lo
	v_cmpx_gt_u32_e64 s22, v25
	s_cbranch_execz .LBB1713_186
.LBB1713_151:
	s_mov_b32 s2, exec_lo
                                        ; implicit-def: $vgpr5_vgpr6
	v_cmpx_ge_u32_e64 v25, v16
	s_xor_b32 s2, exec_lo, s2
	s_cbranch_execz .LBB1713_153
; %bb.152:
	s_waitcnt lgkmcnt(3)
	v_xor_b32_e32 v5, 0xfffff7ff, v0
                                        ; implicit-def: $vgpr25
	s_delay_alu instid0(VALU_DEP_1) | instskip(SKIP_1) | instid1(VALU_DEP_2)
	v_ashrrev_i32_e32 v6, 31, v5
	v_add_co_u32 v5, vcc_lo, v20, v5
	v_add_co_ci_u32_e32 v6, vcc_lo, v21, v6, vcc_lo
.LBB1713_153:
	s_and_not1_saveexec_b32 s2, s2
	s_cbranch_execz .LBB1713_155
; %bb.154:
	s_waitcnt lgkmcnt(3)
	v_add_co_u32 v5, vcc_lo, v15, v25
	v_add_co_ci_u32_e32 v6, vcc_lo, 0, v17, vcc_lo
.LBB1713_155:
	s_or_b32 exec_lo, exec_lo, s2
	s_waitcnt lgkmcnt(3)
	s_delay_alu instid0(VALU_DEP_1) | instskip(NEXT) | instid1(VALU_DEP_1)
	v_lshlrev_b64 v[5:6], 2, v[5:6]
	v_add_co_u32 v5, vcc_lo, s10, v5
	s_delay_alu instid0(VALU_DEP_2) | instskip(SKIP_3) | instid1(SALU_CYCLE_1)
	v_add_co_ci_u32_e32 v6, vcc_lo, s11, v6, vcc_lo
	s_waitcnt lgkmcnt(2)
	global_store_b32 v[5:6], v3, off
	s_or_b32 exec_lo, exec_lo, s1
	s_mov_b32 s1, exec_lo
	v_cmpx_gt_u32_e64 s22, v24
	s_cbranch_execnz .LBB1713_187
.LBB1713_156:
	s_or_b32 exec_lo, exec_lo, s1
	s_delay_alu instid0(SALU_CYCLE_1)
	s_mov_b32 s1, exec_lo
	v_cmpx_gt_u32_e64 s22, v23
	s_cbranch_execz .LBB1713_192
.LBB1713_157:
	s_mov_b32 s2, exec_lo
                                        ; implicit-def: $vgpr3_vgpr4
	v_cmpx_ge_u32_e64 v23, v16
	s_xor_b32 s2, exec_lo, s2
	s_cbranch_execz .LBB1713_159
; %bb.158:
	s_waitcnt lgkmcnt(2)
	v_xor_b32_e32 v3, 0xfffff5ff, v0
                                        ; implicit-def: $vgpr23
	s_delay_alu instid0(VALU_DEP_1) | instskip(SKIP_1) | instid1(VALU_DEP_2)
	v_ashrrev_i32_e32 v4, 31, v3
	v_add_co_u32 v3, vcc_lo, v20, v3
	v_add_co_ci_u32_e32 v4, vcc_lo, v21, v4, vcc_lo
.LBB1713_159:
	s_and_not1_saveexec_b32 s2, s2
	s_cbranch_execz .LBB1713_161
; %bb.160:
	s_waitcnt lgkmcnt(2)
	v_add_co_u32 v3, vcc_lo, v15, v23
	v_add_co_ci_u32_e32 v4, vcc_lo, 0, v17, vcc_lo
.LBB1713_161:
	s_or_b32 exec_lo, exec_lo, s2
	s_waitcnt lgkmcnt(2)
	s_delay_alu instid0(VALU_DEP_1) | instskip(NEXT) | instid1(VALU_DEP_1)
	v_lshlrev_b64 v[3:4], 2, v[3:4]
	v_add_co_u32 v3, vcc_lo, s10, v3
	s_delay_alu instid0(VALU_DEP_2) | instskip(SKIP_3) | instid1(SALU_CYCLE_1)
	v_add_co_ci_u32_e32 v4, vcc_lo, s11, v4, vcc_lo
	s_waitcnt lgkmcnt(1)
	global_store_b32 v[3:4], v1, off
	s_or_b32 exec_lo, exec_lo, s1
	s_mov_b32 s1, exec_lo
	v_cmpx_gt_u32_e64 s22, v22
	s_cbranch_execz .LBB1713_198
	s_branch .LBB1713_193
.LBB1713_162:
	s_or_b32 exec_lo, exec_lo, s1
	s_delay_alu instid0(SALU_CYCLE_1)
	s_mov_b32 s1, exec_lo
	v_cmpx_gt_u32_e64 s22, v34
	s_cbranch_execz .LBB1713_132
.LBB1713_163:
	s_mov_b32 s2, exec_lo
                                        ; implicit-def: $vgpr13_vgpr14
	v_cmpx_ge_u32_e64 v34, v16
	s_xor_b32 s2, exec_lo, s2
	s_cbranch_execz .LBB1713_165
; %bb.164:
	s_waitcnt lgkmcnt(6)
	v_xor_b32_e32 v11, 0xfffffeff, v0
                                        ; implicit-def: $vgpr34
	s_delay_alu instid0(VALU_DEP_1) | instskip(SKIP_1) | instid1(VALU_DEP_2)
	v_ashrrev_i32_e32 v14, 31, v11
	v_add_co_u32 v13, vcc_lo, v20, v11
	v_add_co_ci_u32_e32 v14, vcc_lo, v21, v14, vcc_lo
.LBB1713_165:
	s_and_not1_saveexec_b32 s2, s2
; %bb.166:
	v_add_co_u32 v13, vcc_lo, v15, v34
	v_add_co_ci_u32_e32 v14, vcc_lo, 0, v17, vcc_lo
; %bb.167:
	s_or_b32 exec_lo, exec_lo, s2
	s_delay_alu instid0(VALU_DEP_1) | instskip(NEXT) | instid1(VALU_DEP_1)
	v_lshlrev_b64 v[13:14], 2, v[13:14]
	v_add_co_u32 v13, vcc_lo, s10, v13
	s_delay_alu instid0(VALU_DEP_2) | instskip(SKIP_3) | instid1(SALU_CYCLE_1)
	v_add_co_ci_u32_e32 v14, vcc_lo, s11, v14, vcc_lo
	s_waitcnt lgkmcnt(6)
	global_store_b32 v[13:14], v12, off
	s_or_b32 exec_lo, exec_lo, s1
	s_mov_b32 s1, exec_lo
	v_cmpx_gt_u32_e64 s22, v33
	s_cbranch_execnz .LBB1713_133
.LBB1713_168:
	s_or_b32 exec_lo, exec_lo, s1
	s_delay_alu instid0(SALU_CYCLE_1)
	s_mov_b32 s1, exec_lo
	v_cmpx_gt_u32_e64 s22, v32
	s_cbranch_execz .LBB1713_138
.LBB1713_169:
	s_mov_b32 s2, exec_lo
                                        ; implicit-def: $vgpr11_vgpr12
	v_cmpx_ge_u32_e64 v32, v16
	s_xor_b32 s2, exec_lo, s2
	s_cbranch_execz .LBB1713_171
; %bb.170:
	s_waitcnt lgkmcnt(5)
	v_xor_b32_e32 v9, 0xfffffcff, v0
                                        ; implicit-def: $vgpr32
	s_delay_alu instid0(VALU_DEP_1) | instskip(SKIP_1) | instid1(VALU_DEP_2)
	v_ashrrev_i32_e32 v12, 31, v9
	v_add_co_u32 v11, vcc_lo, v20, v9
	v_add_co_ci_u32_e32 v12, vcc_lo, v21, v12, vcc_lo
.LBB1713_171:
	s_and_not1_saveexec_b32 s2, s2
	s_cbranch_execz .LBB1713_173
; %bb.172:
	s_waitcnt lgkmcnt(6)
	v_add_co_u32 v11, vcc_lo, v15, v32
	v_add_co_ci_u32_e32 v12, vcc_lo, 0, v17, vcc_lo
.LBB1713_173:
	s_or_b32 exec_lo, exec_lo, s2
	s_waitcnt lgkmcnt(6)
	s_delay_alu instid0(VALU_DEP_1) | instskip(NEXT) | instid1(VALU_DEP_1)
	v_lshlrev_b64 v[11:12], 2, v[11:12]
	v_add_co_u32 v11, vcc_lo, s10, v11
	s_delay_alu instid0(VALU_DEP_2) | instskip(SKIP_3) | instid1(SALU_CYCLE_1)
	v_add_co_ci_u32_e32 v12, vcc_lo, s11, v12, vcc_lo
	s_waitcnt lgkmcnt(5)
	global_store_b32 v[11:12], v10, off
	s_or_b32 exec_lo, exec_lo, s1
	s_mov_b32 s1, exec_lo
	v_cmpx_gt_u32_e64 s22, v29
	s_cbranch_execnz .LBB1713_139
.LBB1713_174:
	s_or_b32 exec_lo, exec_lo, s1
	s_delay_alu instid0(SALU_CYCLE_1)
	s_mov_b32 s1, exec_lo
	v_cmpx_gt_u32_e64 s22, v28
	s_cbranch_execz .LBB1713_144
.LBB1713_175:
	s_mov_b32 s2, exec_lo
                                        ; implicit-def: $vgpr9_vgpr10
	v_cmpx_ge_u32_e64 v28, v16
	s_xor_b32 s2, exec_lo, s2
	s_cbranch_execz .LBB1713_177
; %bb.176:
	s_waitcnt lgkmcnt(4)
	v_xor_b32_e32 v7, 0xfffffaff, v0
                                        ; implicit-def: $vgpr28
	s_delay_alu instid0(VALU_DEP_1) | instskip(SKIP_1) | instid1(VALU_DEP_2)
	v_ashrrev_i32_e32 v10, 31, v7
	v_add_co_u32 v9, vcc_lo, v20, v7
	v_add_co_ci_u32_e32 v10, vcc_lo, v21, v10, vcc_lo
.LBB1713_177:
	s_and_not1_saveexec_b32 s2, s2
	s_cbranch_execz .LBB1713_179
; %bb.178:
	s_waitcnt lgkmcnt(5)
	v_add_co_u32 v9, vcc_lo, v15, v28
	v_add_co_ci_u32_e32 v10, vcc_lo, 0, v17, vcc_lo
.LBB1713_179:
	s_or_b32 exec_lo, exec_lo, s2
	s_waitcnt lgkmcnt(5)
	s_delay_alu instid0(VALU_DEP_1) | instskip(NEXT) | instid1(VALU_DEP_1)
	v_lshlrev_b64 v[9:10], 2, v[9:10]
	v_add_co_u32 v9, vcc_lo, s10, v9
	s_delay_alu instid0(VALU_DEP_2) | instskip(SKIP_3) | instid1(SALU_CYCLE_1)
	v_add_co_ci_u32_e32 v10, vcc_lo, s11, v10, vcc_lo
	s_waitcnt lgkmcnt(4)
	global_store_b32 v[9:10], v8, off
	s_or_b32 exec_lo, exec_lo, s1
	s_mov_b32 s1, exec_lo
	v_cmpx_gt_u32_e64 s22, v27
	s_cbranch_execnz .LBB1713_145
.LBB1713_180:
	s_or_b32 exec_lo, exec_lo, s1
	s_delay_alu instid0(SALU_CYCLE_1)
	s_mov_b32 s1, exec_lo
	v_cmpx_gt_u32_e64 s22, v26
	s_cbranch_execz .LBB1713_150
.LBB1713_181:
	s_mov_b32 s2, exec_lo
                                        ; implicit-def: $vgpr7_vgpr8
	v_cmpx_ge_u32_e64 v26, v16
	s_xor_b32 s2, exec_lo, s2
	s_cbranch_execz .LBB1713_183
; %bb.182:
	s_waitcnt lgkmcnt(3)
	v_xor_b32_e32 v5, 0xfffff8ff, v0
                                        ; implicit-def: $vgpr26
	s_delay_alu instid0(VALU_DEP_1) | instskip(SKIP_1) | instid1(VALU_DEP_2)
	v_ashrrev_i32_e32 v8, 31, v5
	v_add_co_u32 v7, vcc_lo, v20, v5
	v_add_co_ci_u32_e32 v8, vcc_lo, v21, v8, vcc_lo
.LBB1713_183:
	s_and_not1_saveexec_b32 s2, s2
	s_cbranch_execz .LBB1713_185
; %bb.184:
	s_waitcnt lgkmcnt(4)
	v_add_co_u32 v7, vcc_lo, v15, v26
	v_add_co_ci_u32_e32 v8, vcc_lo, 0, v17, vcc_lo
.LBB1713_185:
	s_or_b32 exec_lo, exec_lo, s2
	s_waitcnt lgkmcnt(4)
	s_delay_alu instid0(VALU_DEP_1) | instskip(NEXT) | instid1(VALU_DEP_1)
	v_lshlrev_b64 v[7:8], 2, v[7:8]
	v_add_co_u32 v7, vcc_lo, s10, v7
	s_delay_alu instid0(VALU_DEP_2) | instskip(SKIP_3) | instid1(SALU_CYCLE_1)
	v_add_co_ci_u32_e32 v8, vcc_lo, s11, v8, vcc_lo
	s_waitcnt lgkmcnt(3)
	global_store_b32 v[7:8], v6, off
	s_or_b32 exec_lo, exec_lo, s1
	s_mov_b32 s1, exec_lo
	v_cmpx_gt_u32_e64 s22, v25
	s_cbranch_execnz .LBB1713_151
.LBB1713_186:
	s_or_b32 exec_lo, exec_lo, s1
	s_delay_alu instid0(SALU_CYCLE_1)
	s_mov_b32 s1, exec_lo
	v_cmpx_gt_u32_e64 s22, v24
	s_cbranch_execz .LBB1713_156
.LBB1713_187:
	s_mov_b32 s2, exec_lo
                                        ; implicit-def: $vgpr5_vgpr6
	v_cmpx_ge_u32_e64 v24, v16
	s_xor_b32 s2, exec_lo, s2
	s_cbranch_execz .LBB1713_189
; %bb.188:
	s_waitcnt lgkmcnt(2)
	v_xor_b32_e32 v3, 0xfffff6ff, v0
                                        ; implicit-def: $vgpr24
	s_delay_alu instid0(VALU_DEP_1) | instskip(SKIP_1) | instid1(VALU_DEP_2)
	v_ashrrev_i32_e32 v6, 31, v3
	v_add_co_u32 v5, vcc_lo, v20, v3
	v_add_co_ci_u32_e32 v6, vcc_lo, v21, v6, vcc_lo
.LBB1713_189:
	s_and_not1_saveexec_b32 s2, s2
	s_cbranch_execz .LBB1713_191
; %bb.190:
	s_waitcnt lgkmcnt(3)
	v_add_co_u32 v5, vcc_lo, v15, v24
	v_add_co_ci_u32_e32 v6, vcc_lo, 0, v17, vcc_lo
.LBB1713_191:
	s_or_b32 exec_lo, exec_lo, s2
	s_waitcnt lgkmcnt(3)
	s_delay_alu instid0(VALU_DEP_1) | instskip(NEXT) | instid1(VALU_DEP_1)
	v_lshlrev_b64 v[5:6], 2, v[5:6]
	v_add_co_u32 v5, vcc_lo, s10, v5
	s_delay_alu instid0(VALU_DEP_2) | instskip(SKIP_3) | instid1(SALU_CYCLE_1)
	v_add_co_ci_u32_e32 v6, vcc_lo, s11, v6, vcc_lo
	s_waitcnt lgkmcnt(2)
	global_store_b32 v[5:6], v4, off
	s_or_b32 exec_lo, exec_lo, s1
	s_mov_b32 s1, exec_lo
	v_cmpx_gt_u32_e64 s22, v23
	s_cbranch_execnz .LBB1713_157
.LBB1713_192:
	s_or_b32 exec_lo, exec_lo, s1
	s_delay_alu instid0(SALU_CYCLE_1)
	s_mov_b32 s1, exec_lo
	v_cmpx_gt_u32_e64 s22, v22
	s_cbranch_execz .LBB1713_198
.LBB1713_193:
	s_mov_b32 s2, exec_lo
                                        ; implicit-def: $vgpr3_vgpr4
	v_cmpx_ge_u32_e64 v22, v16
	s_xor_b32 s2, exec_lo, s2
	s_cbranch_execz .LBB1713_195
; %bb.194:
	s_waitcnt lgkmcnt(1)
	v_xor_b32_e32 v1, 0xfffff4ff, v0
                                        ; implicit-def: $vgpr22
	s_delay_alu instid0(VALU_DEP_1) | instskip(SKIP_1) | instid1(VALU_DEP_2)
	v_ashrrev_i32_e32 v4, 31, v1
	v_add_co_u32 v3, vcc_lo, v20, v1
	v_add_co_ci_u32_e32 v4, vcc_lo, v21, v4, vcc_lo
.LBB1713_195:
	s_and_not1_saveexec_b32 s2, s2
	s_cbranch_execz .LBB1713_197
; %bb.196:
	s_waitcnt lgkmcnt(2)
	v_add_co_u32 v3, vcc_lo, v15, v22
	v_add_co_ci_u32_e32 v4, vcc_lo, 0, v17, vcc_lo
.LBB1713_197:
	s_or_b32 exec_lo, exec_lo, s2
	s_waitcnt lgkmcnt(2)
	s_delay_alu instid0(VALU_DEP_1) | instskip(NEXT) | instid1(VALU_DEP_1)
	v_lshlrev_b64 v[3:4], 2, v[3:4]
	v_add_co_u32 v3, vcc_lo, s10, v3
	s_delay_alu instid0(VALU_DEP_2)
	v_add_co_ci_u32_e32 v4, vcc_lo, s11, v4, vcc_lo
	s_waitcnt lgkmcnt(1)
	global_store_b32 v[3:4], v2, off
.LBB1713_198:
	s_or_b32 exec_lo, exec_lo, s1
	s_delay_alu instid0(SALU_CYCLE_1)
	s_mov_b32 s1, exec_lo
                                        ; implicit-def: $vgpr13_vgpr14
	v_cmpx_gt_u32_e64 s22, v19
	s_cbranch_execz .LBB1713_204
; %bb.199:
	s_mov_b32 s2, exec_lo
                                        ; implicit-def: $vgpr13_vgpr14
	v_cmpx_ge_u32_e64 v19, v16
	s_xor_b32 s2, exec_lo, s2
	s_cbranch_execz .LBB1713_201
; %bb.200:
	s_waitcnt lgkmcnt(1)
	v_xor_b32_e32 v1, 0xfffff3ff, v0
                                        ; implicit-def: $vgpr19
	s_delay_alu instid0(VALU_DEP_1) | instskip(SKIP_1) | instid1(VALU_DEP_2)
	v_ashrrev_i32_e32 v2, 31, v1
	v_add_co_u32 v13, vcc_lo, v20, v1
	v_add_co_ci_u32_e32 v14, vcc_lo, v21, v2, vcc_lo
.LBB1713_201:
	s_and_not1_saveexec_b32 s2, s2
; %bb.202:
	v_add_co_u32 v13, vcc_lo, v15, v19
	v_add_co_ci_u32_e32 v14, vcc_lo, 0, v17, vcc_lo
; %bb.203:
	s_or_b32 exec_lo, exec_lo, s2
	s_delay_alu instid0(SALU_CYCLE_1)
	s_or_b32 s0, s0, exec_lo
.LBB1713_204:
	s_or_b32 exec_lo, exec_lo, s1
.LBB1713_205:
	s_and_saveexec_b32 s1, s0
	s_cbranch_execz .LBB1713_207
; %bb.206:
	s_waitcnt lgkmcnt(1)
	v_lshlrev_b64 v[1:2], 2, v[13:14]
	s_delay_alu instid0(VALU_DEP_1) | instskip(NEXT) | instid1(VALU_DEP_2)
	v_add_co_u32 v1, vcc_lo, s10, v1
	v_add_co_ci_u32_e32 v2, vcc_lo, s11, v2, vcc_lo
	s_waitcnt lgkmcnt(0)
	global_store_b32 v[1:2], v18, off
.LBB1713_207:
	s_or_b32 exec_lo, exec_lo, s1
	v_cmp_eq_u32_e32 vcc_lo, 0, v0
	s_and_b32 s0, vcc_lo, s14
	s_delay_alu instid0(SALU_CYCLE_1)
	s_and_saveexec_b32 s1, s0
	s_cbranch_execz .LBB1713_209
; %bb.208:
	v_add_co_u32 v0, vcc_lo, v15, v16
	s_waitcnt lgkmcnt(1)
	v_mov_b32_e32 v2, 0
	v_add_co_ci_u32_e32 v1, vcc_lo, 0, v17, vcc_lo
	global_store_b64 v2, v[0:1], s[8:9]
.LBB1713_209:
	s_nop 0
	s_sendmsg sendmsg(MSG_DEALLOC_VGPRS)
	s_endpgm
	.section	.rodata,"a",@progbits
	.p2align	6, 0x0
	.amdhsa_kernel _ZN7rocprim17ROCPRIM_400000_NS6detail17trampoline_kernelINS0_13select_configILj256ELj13ELNS0_17block_load_methodE3ELS4_3ELS4_3ELNS0_20block_scan_algorithmE0ELj4294967295EEENS1_25partition_config_selectorILNS1_17partition_subalgoE3EjNS0_10empty_typeEbEEZZNS1_14partition_implILS8_3ELb0ES6_jNS0_17counting_iteratorIjlEEPS9_SE_NS0_5tupleIJPjSE_EEENSF_IJSE_SE_EEES9_SG_JZNS1_25segmented_radix_sort_implINS0_14default_configELb1EPK6__halfPSL_PKlPlN2at6native12_GLOBAL__N_18offset_tEEE10hipError_tPvRmT1_PNSt15iterator_traitsISZ_E10value_typeET2_T3_PNS10_IS15_E10value_typeET4_jRbjT5_S1B_jjP12ihipStream_tbEUljE_EEESW_SX_SY_S15_S19_S1B_T6_T7_T9_mT8_S1D_bDpT10_ENKUlT_T0_E_clISt17integral_constantIbLb0EES1Q_EEDaS1L_S1M_EUlS1L_E_NS1_11comp_targetILNS1_3genE9ELNS1_11target_archE1100ELNS1_3gpuE3ELNS1_3repE0EEENS1_30default_config_static_selectorELNS0_4arch9wavefront6targetE0EEEvSZ_
		.amdhsa_group_segment_fixed_size 13324
		.amdhsa_private_segment_fixed_size 0
		.amdhsa_kernarg_size 144
		.amdhsa_user_sgpr_count 15
		.amdhsa_user_sgpr_dispatch_ptr 0
		.amdhsa_user_sgpr_queue_ptr 0
		.amdhsa_user_sgpr_kernarg_segment_ptr 1
		.amdhsa_user_sgpr_dispatch_id 0
		.amdhsa_user_sgpr_private_segment_size 0
		.amdhsa_wavefront_size32 1
		.amdhsa_uses_dynamic_stack 0
		.amdhsa_enable_private_segment 0
		.amdhsa_system_sgpr_workgroup_id_x 1
		.amdhsa_system_sgpr_workgroup_id_y 0
		.amdhsa_system_sgpr_workgroup_id_z 0
		.amdhsa_system_sgpr_workgroup_info 0
		.amdhsa_system_vgpr_workitem_id 0
		.amdhsa_next_free_vgpr 57
		.amdhsa_next_free_sgpr 28
		.amdhsa_reserve_vcc 1
		.amdhsa_float_round_mode_32 0
		.amdhsa_float_round_mode_16_64 0
		.amdhsa_float_denorm_mode_32 3
		.amdhsa_float_denorm_mode_16_64 3
		.amdhsa_dx10_clamp 1
		.amdhsa_ieee_mode 1
		.amdhsa_fp16_overflow 0
		.amdhsa_workgroup_processor_mode 1
		.amdhsa_memory_ordered 1
		.amdhsa_forward_progress 0
		.amdhsa_shared_vgpr_count 0
		.amdhsa_exception_fp_ieee_invalid_op 0
		.amdhsa_exception_fp_denorm_src 0
		.amdhsa_exception_fp_ieee_div_zero 0
		.amdhsa_exception_fp_ieee_overflow 0
		.amdhsa_exception_fp_ieee_underflow 0
		.amdhsa_exception_fp_ieee_inexact 0
		.amdhsa_exception_int_div_zero 0
	.end_amdhsa_kernel
	.section	.text._ZN7rocprim17ROCPRIM_400000_NS6detail17trampoline_kernelINS0_13select_configILj256ELj13ELNS0_17block_load_methodE3ELS4_3ELS4_3ELNS0_20block_scan_algorithmE0ELj4294967295EEENS1_25partition_config_selectorILNS1_17partition_subalgoE3EjNS0_10empty_typeEbEEZZNS1_14partition_implILS8_3ELb0ES6_jNS0_17counting_iteratorIjlEEPS9_SE_NS0_5tupleIJPjSE_EEENSF_IJSE_SE_EEES9_SG_JZNS1_25segmented_radix_sort_implINS0_14default_configELb1EPK6__halfPSL_PKlPlN2at6native12_GLOBAL__N_18offset_tEEE10hipError_tPvRmT1_PNSt15iterator_traitsISZ_E10value_typeET2_T3_PNS10_IS15_E10value_typeET4_jRbjT5_S1B_jjP12ihipStream_tbEUljE_EEESW_SX_SY_S15_S19_S1B_T6_T7_T9_mT8_S1D_bDpT10_ENKUlT_T0_E_clISt17integral_constantIbLb0EES1Q_EEDaS1L_S1M_EUlS1L_E_NS1_11comp_targetILNS1_3genE9ELNS1_11target_archE1100ELNS1_3gpuE3ELNS1_3repE0EEENS1_30default_config_static_selectorELNS0_4arch9wavefront6targetE0EEEvSZ_,"axG",@progbits,_ZN7rocprim17ROCPRIM_400000_NS6detail17trampoline_kernelINS0_13select_configILj256ELj13ELNS0_17block_load_methodE3ELS4_3ELS4_3ELNS0_20block_scan_algorithmE0ELj4294967295EEENS1_25partition_config_selectorILNS1_17partition_subalgoE3EjNS0_10empty_typeEbEEZZNS1_14partition_implILS8_3ELb0ES6_jNS0_17counting_iteratorIjlEEPS9_SE_NS0_5tupleIJPjSE_EEENSF_IJSE_SE_EEES9_SG_JZNS1_25segmented_radix_sort_implINS0_14default_configELb1EPK6__halfPSL_PKlPlN2at6native12_GLOBAL__N_18offset_tEEE10hipError_tPvRmT1_PNSt15iterator_traitsISZ_E10value_typeET2_T3_PNS10_IS15_E10value_typeET4_jRbjT5_S1B_jjP12ihipStream_tbEUljE_EEESW_SX_SY_S15_S19_S1B_T6_T7_T9_mT8_S1D_bDpT10_ENKUlT_T0_E_clISt17integral_constantIbLb0EES1Q_EEDaS1L_S1M_EUlS1L_E_NS1_11comp_targetILNS1_3genE9ELNS1_11target_archE1100ELNS1_3gpuE3ELNS1_3repE0EEENS1_30default_config_static_selectorELNS0_4arch9wavefront6targetE0EEEvSZ_,comdat
.Lfunc_end1713:
	.size	_ZN7rocprim17ROCPRIM_400000_NS6detail17trampoline_kernelINS0_13select_configILj256ELj13ELNS0_17block_load_methodE3ELS4_3ELS4_3ELNS0_20block_scan_algorithmE0ELj4294967295EEENS1_25partition_config_selectorILNS1_17partition_subalgoE3EjNS0_10empty_typeEbEEZZNS1_14partition_implILS8_3ELb0ES6_jNS0_17counting_iteratorIjlEEPS9_SE_NS0_5tupleIJPjSE_EEENSF_IJSE_SE_EEES9_SG_JZNS1_25segmented_radix_sort_implINS0_14default_configELb1EPK6__halfPSL_PKlPlN2at6native12_GLOBAL__N_18offset_tEEE10hipError_tPvRmT1_PNSt15iterator_traitsISZ_E10value_typeET2_T3_PNS10_IS15_E10value_typeET4_jRbjT5_S1B_jjP12ihipStream_tbEUljE_EEESW_SX_SY_S15_S19_S1B_T6_T7_T9_mT8_S1D_bDpT10_ENKUlT_T0_E_clISt17integral_constantIbLb0EES1Q_EEDaS1L_S1M_EUlS1L_E_NS1_11comp_targetILNS1_3genE9ELNS1_11target_archE1100ELNS1_3gpuE3ELNS1_3repE0EEENS1_30default_config_static_selectorELNS0_4arch9wavefront6targetE0EEEvSZ_, .Lfunc_end1713-_ZN7rocprim17ROCPRIM_400000_NS6detail17trampoline_kernelINS0_13select_configILj256ELj13ELNS0_17block_load_methodE3ELS4_3ELS4_3ELNS0_20block_scan_algorithmE0ELj4294967295EEENS1_25partition_config_selectorILNS1_17partition_subalgoE3EjNS0_10empty_typeEbEEZZNS1_14partition_implILS8_3ELb0ES6_jNS0_17counting_iteratorIjlEEPS9_SE_NS0_5tupleIJPjSE_EEENSF_IJSE_SE_EEES9_SG_JZNS1_25segmented_radix_sort_implINS0_14default_configELb1EPK6__halfPSL_PKlPlN2at6native12_GLOBAL__N_18offset_tEEE10hipError_tPvRmT1_PNSt15iterator_traitsISZ_E10value_typeET2_T3_PNS10_IS15_E10value_typeET4_jRbjT5_S1B_jjP12ihipStream_tbEUljE_EEESW_SX_SY_S15_S19_S1B_T6_T7_T9_mT8_S1D_bDpT10_ENKUlT_T0_E_clISt17integral_constantIbLb0EES1Q_EEDaS1L_S1M_EUlS1L_E_NS1_11comp_targetILNS1_3genE9ELNS1_11target_archE1100ELNS1_3gpuE3ELNS1_3repE0EEENS1_30default_config_static_selectorELNS0_4arch9wavefront6targetE0EEEvSZ_
                                        ; -- End function
	.section	.AMDGPU.csdata,"",@progbits
; Kernel info:
; codeLenInByte = 8864
; NumSgprs: 30
; NumVgprs: 57
; ScratchSize: 0
; MemoryBound: 0
; FloatMode: 240
; IeeeMode: 1
; LDSByteSize: 13324 bytes/workgroup (compile time only)
; SGPRBlocks: 3
; VGPRBlocks: 7
; NumSGPRsForWavesPerEU: 30
; NumVGPRsForWavesPerEU: 57
; Occupancy: 16
; WaveLimiterHint : 0
; COMPUTE_PGM_RSRC2:SCRATCH_EN: 0
; COMPUTE_PGM_RSRC2:USER_SGPR: 15
; COMPUTE_PGM_RSRC2:TRAP_HANDLER: 0
; COMPUTE_PGM_RSRC2:TGID_X_EN: 1
; COMPUTE_PGM_RSRC2:TGID_Y_EN: 0
; COMPUTE_PGM_RSRC2:TGID_Z_EN: 0
; COMPUTE_PGM_RSRC2:TIDIG_COMP_CNT: 0
	.section	.text._ZN7rocprim17ROCPRIM_400000_NS6detail17trampoline_kernelINS0_13select_configILj256ELj13ELNS0_17block_load_methodE3ELS4_3ELS4_3ELNS0_20block_scan_algorithmE0ELj4294967295EEENS1_25partition_config_selectorILNS1_17partition_subalgoE3EjNS0_10empty_typeEbEEZZNS1_14partition_implILS8_3ELb0ES6_jNS0_17counting_iteratorIjlEEPS9_SE_NS0_5tupleIJPjSE_EEENSF_IJSE_SE_EEES9_SG_JZNS1_25segmented_radix_sort_implINS0_14default_configELb1EPK6__halfPSL_PKlPlN2at6native12_GLOBAL__N_18offset_tEEE10hipError_tPvRmT1_PNSt15iterator_traitsISZ_E10value_typeET2_T3_PNS10_IS15_E10value_typeET4_jRbjT5_S1B_jjP12ihipStream_tbEUljE_EEESW_SX_SY_S15_S19_S1B_T6_T7_T9_mT8_S1D_bDpT10_ENKUlT_T0_E_clISt17integral_constantIbLb0EES1Q_EEDaS1L_S1M_EUlS1L_E_NS1_11comp_targetILNS1_3genE8ELNS1_11target_archE1030ELNS1_3gpuE2ELNS1_3repE0EEENS1_30default_config_static_selectorELNS0_4arch9wavefront6targetE0EEEvSZ_,"axG",@progbits,_ZN7rocprim17ROCPRIM_400000_NS6detail17trampoline_kernelINS0_13select_configILj256ELj13ELNS0_17block_load_methodE3ELS4_3ELS4_3ELNS0_20block_scan_algorithmE0ELj4294967295EEENS1_25partition_config_selectorILNS1_17partition_subalgoE3EjNS0_10empty_typeEbEEZZNS1_14partition_implILS8_3ELb0ES6_jNS0_17counting_iteratorIjlEEPS9_SE_NS0_5tupleIJPjSE_EEENSF_IJSE_SE_EEES9_SG_JZNS1_25segmented_radix_sort_implINS0_14default_configELb1EPK6__halfPSL_PKlPlN2at6native12_GLOBAL__N_18offset_tEEE10hipError_tPvRmT1_PNSt15iterator_traitsISZ_E10value_typeET2_T3_PNS10_IS15_E10value_typeET4_jRbjT5_S1B_jjP12ihipStream_tbEUljE_EEESW_SX_SY_S15_S19_S1B_T6_T7_T9_mT8_S1D_bDpT10_ENKUlT_T0_E_clISt17integral_constantIbLb0EES1Q_EEDaS1L_S1M_EUlS1L_E_NS1_11comp_targetILNS1_3genE8ELNS1_11target_archE1030ELNS1_3gpuE2ELNS1_3repE0EEENS1_30default_config_static_selectorELNS0_4arch9wavefront6targetE0EEEvSZ_,comdat
	.globl	_ZN7rocprim17ROCPRIM_400000_NS6detail17trampoline_kernelINS0_13select_configILj256ELj13ELNS0_17block_load_methodE3ELS4_3ELS4_3ELNS0_20block_scan_algorithmE0ELj4294967295EEENS1_25partition_config_selectorILNS1_17partition_subalgoE3EjNS0_10empty_typeEbEEZZNS1_14partition_implILS8_3ELb0ES6_jNS0_17counting_iteratorIjlEEPS9_SE_NS0_5tupleIJPjSE_EEENSF_IJSE_SE_EEES9_SG_JZNS1_25segmented_radix_sort_implINS0_14default_configELb1EPK6__halfPSL_PKlPlN2at6native12_GLOBAL__N_18offset_tEEE10hipError_tPvRmT1_PNSt15iterator_traitsISZ_E10value_typeET2_T3_PNS10_IS15_E10value_typeET4_jRbjT5_S1B_jjP12ihipStream_tbEUljE_EEESW_SX_SY_S15_S19_S1B_T6_T7_T9_mT8_S1D_bDpT10_ENKUlT_T0_E_clISt17integral_constantIbLb0EES1Q_EEDaS1L_S1M_EUlS1L_E_NS1_11comp_targetILNS1_3genE8ELNS1_11target_archE1030ELNS1_3gpuE2ELNS1_3repE0EEENS1_30default_config_static_selectorELNS0_4arch9wavefront6targetE0EEEvSZ_ ; -- Begin function _ZN7rocprim17ROCPRIM_400000_NS6detail17trampoline_kernelINS0_13select_configILj256ELj13ELNS0_17block_load_methodE3ELS4_3ELS4_3ELNS0_20block_scan_algorithmE0ELj4294967295EEENS1_25partition_config_selectorILNS1_17partition_subalgoE3EjNS0_10empty_typeEbEEZZNS1_14partition_implILS8_3ELb0ES6_jNS0_17counting_iteratorIjlEEPS9_SE_NS0_5tupleIJPjSE_EEENSF_IJSE_SE_EEES9_SG_JZNS1_25segmented_radix_sort_implINS0_14default_configELb1EPK6__halfPSL_PKlPlN2at6native12_GLOBAL__N_18offset_tEEE10hipError_tPvRmT1_PNSt15iterator_traitsISZ_E10value_typeET2_T3_PNS10_IS15_E10value_typeET4_jRbjT5_S1B_jjP12ihipStream_tbEUljE_EEESW_SX_SY_S15_S19_S1B_T6_T7_T9_mT8_S1D_bDpT10_ENKUlT_T0_E_clISt17integral_constantIbLb0EES1Q_EEDaS1L_S1M_EUlS1L_E_NS1_11comp_targetILNS1_3genE8ELNS1_11target_archE1030ELNS1_3gpuE2ELNS1_3repE0EEENS1_30default_config_static_selectorELNS0_4arch9wavefront6targetE0EEEvSZ_
	.p2align	8
	.type	_ZN7rocprim17ROCPRIM_400000_NS6detail17trampoline_kernelINS0_13select_configILj256ELj13ELNS0_17block_load_methodE3ELS4_3ELS4_3ELNS0_20block_scan_algorithmE0ELj4294967295EEENS1_25partition_config_selectorILNS1_17partition_subalgoE3EjNS0_10empty_typeEbEEZZNS1_14partition_implILS8_3ELb0ES6_jNS0_17counting_iteratorIjlEEPS9_SE_NS0_5tupleIJPjSE_EEENSF_IJSE_SE_EEES9_SG_JZNS1_25segmented_radix_sort_implINS0_14default_configELb1EPK6__halfPSL_PKlPlN2at6native12_GLOBAL__N_18offset_tEEE10hipError_tPvRmT1_PNSt15iterator_traitsISZ_E10value_typeET2_T3_PNS10_IS15_E10value_typeET4_jRbjT5_S1B_jjP12ihipStream_tbEUljE_EEESW_SX_SY_S15_S19_S1B_T6_T7_T9_mT8_S1D_bDpT10_ENKUlT_T0_E_clISt17integral_constantIbLb0EES1Q_EEDaS1L_S1M_EUlS1L_E_NS1_11comp_targetILNS1_3genE8ELNS1_11target_archE1030ELNS1_3gpuE2ELNS1_3repE0EEENS1_30default_config_static_selectorELNS0_4arch9wavefront6targetE0EEEvSZ_,@function
_ZN7rocprim17ROCPRIM_400000_NS6detail17trampoline_kernelINS0_13select_configILj256ELj13ELNS0_17block_load_methodE3ELS4_3ELS4_3ELNS0_20block_scan_algorithmE0ELj4294967295EEENS1_25partition_config_selectorILNS1_17partition_subalgoE3EjNS0_10empty_typeEbEEZZNS1_14partition_implILS8_3ELb0ES6_jNS0_17counting_iteratorIjlEEPS9_SE_NS0_5tupleIJPjSE_EEENSF_IJSE_SE_EEES9_SG_JZNS1_25segmented_radix_sort_implINS0_14default_configELb1EPK6__halfPSL_PKlPlN2at6native12_GLOBAL__N_18offset_tEEE10hipError_tPvRmT1_PNSt15iterator_traitsISZ_E10value_typeET2_T3_PNS10_IS15_E10value_typeET4_jRbjT5_S1B_jjP12ihipStream_tbEUljE_EEESW_SX_SY_S15_S19_S1B_T6_T7_T9_mT8_S1D_bDpT10_ENKUlT_T0_E_clISt17integral_constantIbLb0EES1Q_EEDaS1L_S1M_EUlS1L_E_NS1_11comp_targetILNS1_3genE8ELNS1_11target_archE1030ELNS1_3gpuE2ELNS1_3repE0EEENS1_30default_config_static_selectorELNS0_4arch9wavefront6targetE0EEEvSZ_: ; @_ZN7rocprim17ROCPRIM_400000_NS6detail17trampoline_kernelINS0_13select_configILj256ELj13ELNS0_17block_load_methodE3ELS4_3ELS4_3ELNS0_20block_scan_algorithmE0ELj4294967295EEENS1_25partition_config_selectorILNS1_17partition_subalgoE3EjNS0_10empty_typeEbEEZZNS1_14partition_implILS8_3ELb0ES6_jNS0_17counting_iteratorIjlEEPS9_SE_NS0_5tupleIJPjSE_EEENSF_IJSE_SE_EEES9_SG_JZNS1_25segmented_radix_sort_implINS0_14default_configELb1EPK6__halfPSL_PKlPlN2at6native12_GLOBAL__N_18offset_tEEE10hipError_tPvRmT1_PNSt15iterator_traitsISZ_E10value_typeET2_T3_PNS10_IS15_E10value_typeET4_jRbjT5_S1B_jjP12ihipStream_tbEUljE_EEESW_SX_SY_S15_S19_S1B_T6_T7_T9_mT8_S1D_bDpT10_ENKUlT_T0_E_clISt17integral_constantIbLb0EES1Q_EEDaS1L_S1M_EUlS1L_E_NS1_11comp_targetILNS1_3genE8ELNS1_11target_archE1030ELNS1_3gpuE2ELNS1_3repE0EEENS1_30default_config_static_selectorELNS0_4arch9wavefront6targetE0EEEvSZ_
; %bb.0:
	.section	.rodata,"a",@progbits
	.p2align	6, 0x0
	.amdhsa_kernel _ZN7rocprim17ROCPRIM_400000_NS6detail17trampoline_kernelINS0_13select_configILj256ELj13ELNS0_17block_load_methodE3ELS4_3ELS4_3ELNS0_20block_scan_algorithmE0ELj4294967295EEENS1_25partition_config_selectorILNS1_17partition_subalgoE3EjNS0_10empty_typeEbEEZZNS1_14partition_implILS8_3ELb0ES6_jNS0_17counting_iteratorIjlEEPS9_SE_NS0_5tupleIJPjSE_EEENSF_IJSE_SE_EEES9_SG_JZNS1_25segmented_radix_sort_implINS0_14default_configELb1EPK6__halfPSL_PKlPlN2at6native12_GLOBAL__N_18offset_tEEE10hipError_tPvRmT1_PNSt15iterator_traitsISZ_E10value_typeET2_T3_PNS10_IS15_E10value_typeET4_jRbjT5_S1B_jjP12ihipStream_tbEUljE_EEESW_SX_SY_S15_S19_S1B_T6_T7_T9_mT8_S1D_bDpT10_ENKUlT_T0_E_clISt17integral_constantIbLb0EES1Q_EEDaS1L_S1M_EUlS1L_E_NS1_11comp_targetILNS1_3genE8ELNS1_11target_archE1030ELNS1_3gpuE2ELNS1_3repE0EEENS1_30default_config_static_selectorELNS0_4arch9wavefront6targetE0EEEvSZ_
		.amdhsa_group_segment_fixed_size 0
		.amdhsa_private_segment_fixed_size 0
		.amdhsa_kernarg_size 144
		.amdhsa_user_sgpr_count 15
		.amdhsa_user_sgpr_dispatch_ptr 0
		.amdhsa_user_sgpr_queue_ptr 0
		.amdhsa_user_sgpr_kernarg_segment_ptr 1
		.amdhsa_user_sgpr_dispatch_id 0
		.amdhsa_user_sgpr_private_segment_size 0
		.amdhsa_wavefront_size32 1
		.amdhsa_uses_dynamic_stack 0
		.amdhsa_enable_private_segment 0
		.amdhsa_system_sgpr_workgroup_id_x 1
		.amdhsa_system_sgpr_workgroup_id_y 0
		.amdhsa_system_sgpr_workgroup_id_z 0
		.amdhsa_system_sgpr_workgroup_info 0
		.amdhsa_system_vgpr_workitem_id 0
		.amdhsa_next_free_vgpr 1
		.amdhsa_next_free_sgpr 1
		.amdhsa_reserve_vcc 0
		.amdhsa_float_round_mode_32 0
		.amdhsa_float_round_mode_16_64 0
		.amdhsa_float_denorm_mode_32 3
		.amdhsa_float_denorm_mode_16_64 3
		.amdhsa_dx10_clamp 1
		.amdhsa_ieee_mode 1
		.amdhsa_fp16_overflow 0
		.amdhsa_workgroup_processor_mode 1
		.amdhsa_memory_ordered 1
		.amdhsa_forward_progress 0
		.amdhsa_shared_vgpr_count 0
		.amdhsa_exception_fp_ieee_invalid_op 0
		.amdhsa_exception_fp_denorm_src 0
		.amdhsa_exception_fp_ieee_div_zero 0
		.amdhsa_exception_fp_ieee_overflow 0
		.amdhsa_exception_fp_ieee_underflow 0
		.amdhsa_exception_fp_ieee_inexact 0
		.amdhsa_exception_int_div_zero 0
	.end_amdhsa_kernel
	.section	.text._ZN7rocprim17ROCPRIM_400000_NS6detail17trampoline_kernelINS0_13select_configILj256ELj13ELNS0_17block_load_methodE3ELS4_3ELS4_3ELNS0_20block_scan_algorithmE0ELj4294967295EEENS1_25partition_config_selectorILNS1_17partition_subalgoE3EjNS0_10empty_typeEbEEZZNS1_14partition_implILS8_3ELb0ES6_jNS0_17counting_iteratorIjlEEPS9_SE_NS0_5tupleIJPjSE_EEENSF_IJSE_SE_EEES9_SG_JZNS1_25segmented_radix_sort_implINS0_14default_configELb1EPK6__halfPSL_PKlPlN2at6native12_GLOBAL__N_18offset_tEEE10hipError_tPvRmT1_PNSt15iterator_traitsISZ_E10value_typeET2_T3_PNS10_IS15_E10value_typeET4_jRbjT5_S1B_jjP12ihipStream_tbEUljE_EEESW_SX_SY_S15_S19_S1B_T6_T7_T9_mT8_S1D_bDpT10_ENKUlT_T0_E_clISt17integral_constantIbLb0EES1Q_EEDaS1L_S1M_EUlS1L_E_NS1_11comp_targetILNS1_3genE8ELNS1_11target_archE1030ELNS1_3gpuE2ELNS1_3repE0EEENS1_30default_config_static_selectorELNS0_4arch9wavefront6targetE0EEEvSZ_,"axG",@progbits,_ZN7rocprim17ROCPRIM_400000_NS6detail17trampoline_kernelINS0_13select_configILj256ELj13ELNS0_17block_load_methodE3ELS4_3ELS4_3ELNS0_20block_scan_algorithmE0ELj4294967295EEENS1_25partition_config_selectorILNS1_17partition_subalgoE3EjNS0_10empty_typeEbEEZZNS1_14partition_implILS8_3ELb0ES6_jNS0_17counting_iteratorIjlEEPS9_SE_NS0_5tupleIJPjSE_EEENSF_IJSE_SE_EEES9_SG_JZNS1_25segmented_radix_sort_implINS0_14default_configELb1EPK6__halfPSL_PKlPlN2at6native12_GLOBAL__N_18offset_tEEE10hipError_tPvRmT1_PNSt15iterator_traitsISZ_E10value_typeET2_T3_PNS10_IS15_E10value_typeET4_jRbjT5_S1B_jjP12ihipStream_tbEUljE_EEESW_SX_SY_S15_S19_S1B_T6_T7_T9_mT8_S1D_bDpT10_ENKUlT_T0_E_clISt17integral_constantIbLb0EES1Q_EEDaS1L_S1M_EUlS1L_E_NS1_11comp_targetILNS1_3genE8ELNS1_11target_archE1030ELNS1_3gpuE2ELNS1_3repE0EEENS1_30default_config_static_selectorELNS0_4arch9wavefront6targetE0EEEvSZ_,comdat
.Lfunc_end1714:
	.size	_ZN7rocprim17ROCPRIM_400000_NS6detail17trampoline_kernelINS0_13select_configILj256ELj13ELNS0_17block_load_methodE3ELS4_3ELS4_3ELNS0_20block_scan_algorithmE0ELj4294967295EEENS1_25partition_config_selectorILNS1_17partition_subalgoE3EjNS0_10empty_typeEbEEZZNS1_14partition_implILS8_3ELb0ES6_jNS0_17counting_iteratorIjlEEPS9_SE_NS0_5tupleIJPjSE_EEENSF_IJSE_SE_EEES9_SG_JZNS1_25segmented_radix_sort_implINS0_14default_configELb1EPK6__halfPSL_PKlPlN2at6native12_GLOBAL__N_18offset_tEEE10hipError_tPvRmT1_PNSt15iterator_traitsISZ_E10value_typeET2_T3_PNS10_IS15_E10value_typeET4_jRbjT5_S1B_jjP12ihipStream_tbEUljE_EEESW_SX_SY_S15_S19_S1B_T6_T7_T9_mT8_S1D_bDpT10_ENKUlT_T0_E_clISt17integral_constantIbLb0EES1Q_EEDaS1L_S1M_EUlS1L_E_NS1_11comp_targetILNS1_3genE8ELNS1_11target_archE1030ELNS1_3gpuE2ELNS1_3repE0EEENS1_30default_config_static_selectorELNS0_4arch9wavefront6targetE0EEEvSZ_, .Lfunc_end1714-_ZN7rocprim17ROCPRIM_400000_NS6detail17trampoline_kernelINS0_13select_configILj256ELj13ELNS0_17block_load_methodE3ELS4_3ELS4_3ELNS0_20block_scan_algorithmE0ELj4294967295EEENS1_25partition_config_selectorILNS1_17partition_subalgoE3EjNS0_10empty_typeEbEEZZNS1_14partition_implILS8_3ELb0ES6_jNS0_17counting_iteratorIjlEEPS9_SE_NS0_5tupleIJPjSE_EEENSF_IJSE_SE_EEES9_SG_JZNS1_25segmented_radix_sort_implINS0_14default_configELb1EPK6__halfPSL_PKlPlN2at6native12_GLOBAL__N_18offset_tEEE10hipError_tPvRmT1_PNSt15iterator_traitsISZ_E10value_typeET2_T3_PNS10_IS15_E10value_typeET4_jRbjT5_S1B_jjP12ihipStream_tbEUljE_EEESW_SX_SY_S15_S19_S1B_T6_T7_T9_mT8_S1D_bDpT10_ENKUlT_T0_E_clISt17integral_constantIbLb0EES1Q_EEDaS1L_S1M_EUlS1L_E_NS1_11comp_targetILNS1_3genE8ELNS1_11target_archE1030ELNS1_3gpuE2ELNS1_3repE0EEENS1_30default_config_static_selectorELNS0_4arch9wavefront6targetE0EEEvSZ_
                                        ; -- End function
	.section	.AMDGPU.csdata,"",@progbits
; Kernel info:
; codeLenInByte = 0
; NumSgprs: 0
; NumVgprs: 0
; ScratchSize: 0
; MemoryBound: 0
; FloatMode: 240
; IeeeMode: 1
; LDSByteSize: 0 bytes/workgroup (compile time only)
; SGPRBlocks: 0
; VGPRBlocks: 0
; NumSGPRsForWavesPerEU: 1
; NumVGPRsForWavesPerEU: 1
; Occupancy: 16
; WaveLimiterHint : 0
; COMPUTE_PGM_RSRC2:SCRATCH_EN: 0
; COMPUTE_PGM_RSRC2:USER_SGPR: 15
; COMPUTE_PGM_RSRC2:TRAP_HANDLER: 0
; COMPUTE_PGM_RSRC2:TGID_X_EN: 1
; COMPUTE_PGM_RSRC2:TGID_Y_EN: 0
; COMPUTE_PGM_RSRC2:TGID_Z_EN: 0
; COMPUTE_PGM_RSRC2:TIDIG_COMP_CNT: 0
	.section	.text._ZN7rocprim17ROCPRIM_400000_NS6detail17trampoline_kernelINS0_13select_configILj256ELj13ELNS0_17block_load_methodE3ELS4_3ELS4_3ELNS0_20block_scan_algorithmE0ELj4294967295EEENS1_25partition_config_selectorILNS1_17partition_subalgoE3EjNS0_10empty_typeEbEEZZNS1_14partition_implILS8_3ELb0ES6_jNS0_17counting_iteratorIjlEEPS9_SE_NS0_5tupleIJPjSE_EEENSF_IJSE_SE_EEES9_SG_JZNS1_25segmented_radix_sort_implINS0_14default_configELb1EPK6__halfPSL_PKlPlN2at6native12_GLOBAL__N_18offset_tEEE10hipError_tPvRmT1_PNSt15iterator_traitsISZ_E10value_typeET2_T3_PNS10_IS15_E10value_typeET4_jRbjT5_S1B_jjP12ihipStream_tbEUljE_EEESW_SX_SY_S15_S19_S1B_T6_T7_T9_mT8_S1D_bDpT10_ENKUlT_T0_E_clISt17integral_constantIbLb1EES1Q_EEDaS1L_S1M_EUlS1L_E_NS1_11comp_targetILNS1_3genE0ELNS1_11target_archE4294967295ELNS1_3gpuE0ELNS1_3repE0EEENS1_30default_config_static_selectorELNS0_4arch9wavefront6targetE0EEEvSZ_,"axG",@progbits,_ZN7rocprim17ROCPRIM_400000_NS6detail17trampoline_kernelINS0_13select_configILj256ELj13ELNS0_17block_load_methodE3ELS4_3ELS4_3ELNS0_20block_scan_algorithmE0ELj4294967295EEENS1_25partition_config_selectorILNS1_17partition_subalgoE3EjNS0_10empty_typeEbEEZZNS1_14partition_implILS8_3ELb0ES6_jNS0_17counting_iteratorIjlEEPS9_SE_NS0_5tupleIJPjSE_EEENSF_IJSE_SE_EEES9_SG_JZNS1_25segmented_radix_sort_implINS0_14default_configELb1EPK6__halfPSL_PKlPlN2at6native12_GLOBAL__N_18offset_tEEE10hipError_tPvRmT1_PNSt15iterator_traitsISZ_E10value_typeET2_T3_PNS10_IS15_E10value_typeET4_jRbjT5_S1B_jjP12ihipStream_tbEUljE_EEESW_SX_SY_S15_S19_S1B_T6_T7_T9_mT8_S1D_bDpT10_ENKUlT_T0_E_clISt17integral_constantIbLb1EES1Q_EEDaS1L_S1M_EUlS1L_E_NS1_11comp_targetILNS1_3genE0ELNS1_11target_archE4294967295ELNS1_3gpuE0ELNS1_3repE0EEENS1_30default_config_static_selectorELNS0_4arch9wavefront6targetE0EEEvSZ_,comdat
	.globl	_ZN7rocprim17ROCPRIM_400000_NS6detail17trampoline_kernelINS0_13select_configILj256ELj13ELNS0_17block_load_methodE3ELS4_3ELS4_3ELNS0_20block_scan_algorithmE0ELj4294967295EEENS1_25partition_config_selectorILNS1_17partition_subalgoE3EjNS0_10empty_typeEbEEZZNS1_14partition_implILS8_3ELb0ES6_jNS0_17counting_iteratorIjlEEPS9_SE_NS0_5tupleIJPjSE_EEENSF_IJSE_SE_EEES9_SG_JZNS1_25segmented_radix_sort_implINS0_14default_configELb1EPK6__halfPSL_PKlPlN2at6native12_GLOBAL__N_18offset_tEEE10hipError_tPvRmT1_PNSt15iterator_traitsISZ_E10value_typeET2_T3_PNS10_IS15_E10value_typeET4_jRbjT5_S1B_jjP12ihipStream_tbEUljE_EEESW_SX_SY_S15_S19_S1B_T6_T7_T9_mT8_S1D_bDpT10_ENKUlT_T0_E_clISt17integral_constantIbLb1EES1Q_EEDaS1L_S1M_EUlS1L_E_NS1_11comp_targetILNS1_3genE0ELNS1_11target_archE4294967295ELNS1_3gpuE0ELNS1_3repE0EEENS1_30default_config_static_selectorELNS0_4arch9wavefront6targetE0EEEvSZ_ ; -- Begin function _ZN7rocprim17ROCPRIM_400000_NS6detail17trampoline_kernelINS0_13select_configILj256ELj13ELNS0_17block_load_methodE3ELS4_3ELS4_3ELNS0_20block_scan_algorithmE0ELj4294967295EEENS1_25partition_config_selectorILNS1_17partition_subalgoE3EjNS0_10empty_typeEbEEZZNS1_14partition_implILS8_3ELb0ES6_jNS0_17counting_iteratorIjlEEPS9_SE_NS0_5tupleIJPjSE_EEENSF_IJSE_SE_EEES9_SG_JZNS1_25segmented_radix_sort_implINS0_14default_configELb1EPK6__halfPSL_PKlPlN2at6native12_GLOBAL__N_18offset_tEEE10hipError_tPvRmT1_PNSt15iterator_traitsISZ_E10value_typeET2_T3_PNS10_IS15_E10value_typeET4_jRbjT5_S1B_jjP12ihipStream_tbEUljE_EEESW_SX_SY_S15_S19_S1B_T6_T7_T9_mT8_S1D_bDpT10_ENKUlT_T0_E_clISt17integral_constantIbLb1EES1Q_EEDaS1L_S1M_EUlS1L_E_NS1_11comp_targetILNS1_3genE0ELNS1_11target_archE4294967295ELNS1_3gpuE0ELNS1_3repE0EEENS1_30default_config_static_selectorELNS0_4arch9wavefront6targetE0EEEvSZ_
	.p2align	8
	.type	_ZN7rocprim17ROCPRIM_400000_NS6detail17trampoline_kernelINS0_13select_configILj256ELj13ELNS0_17block_load_methodE3ELS4_3ELS4_3ELNS0_20block_scan_algorithmE0ELj4294967295EEENS1_25partition_config_selectorILNS1_17partition_subalgoE3EjNS0_10empty_typeEbEEZZNS1_14partition_implILS8_3ELb0ES6_jNS0_17counting_iteratorIjlEEPS9_SE_NS0_5tupleIJPjSE_EEENSF_IJSE_SE_EEES9_SG_JZNS1_25segmented_radix_sort_implINS0_14default_configELb1EPK6__halfPSL_PKlPlN2at6native12_GLOBAL__N_18offset_tEEE10hipError_tPvRmT1_PNSt15iterator_traitsISZ_E10value_typeET2_T3_PNS10_IS15_E10value_typeET4_jRbjT5_S1B_jjP12ihipStream_tbEUljE_EEESW_SX_SY_S15_S19_S1B_T6_T7_T9_mT8_S1D_bDpT10_ENKUlT_T0_E_clISt17integral_constantIbLb1EES1Q_EEDaS1L_S1M_EUlS1L_E_NS1_11comp_targetILNS1_3genE0ELNS1_11target_archE4294967295ELNS1_3gpuE0ELNS1_3repE0EEENS1_30default_config_static_selectorELNS0_4arch9wavefront6targetE0EEEvSZ_,@function
_ZN7rocprim17ROCPRIM_400000_NS6detail17trampoline_kernelINS0_13select_configILj256ELj13ELNS0_17block_load_methodE3ELS4_3ELS4_3ELNS0_20block_scan_algorithmE0ELj4294967295EEENS1_25partition_config_selectorILNS1_17partition_subalgoE3EjNS0_10empty_typeEbEEZZNS1_14partition_implILS8_3ELb0ES6_jNS0_17counting_iteratorIjlEEPS9_SE_NS0_5tupleIJPjSE_EEENSF_IJSE_SE_EEES9_SG_JZNS1_25segmented_radix_sort_implINS0_14default_configELb1EPK6__halfPSL_PKlPlN2at6native12_GLOBAL__N_18offset_tEEE10hipError_tPvRmT1_PNSt15iterator_traitsISZ_E10value_typeET2_T3_PNS10_IS15_E10value_typeET4_jRbjT5_S1B_jjP12ihipStream_tbEUljE_EEESW_SX_SY_S15_S19_S1B_T6_T7_T9_mT8_S1D_bDpT10_ENKUlT_T0_E_clISt17integral_constantIbLb1EES1Q_EEDaS1L_S1M_EUlS1L_E_NS1_11comp_targetILNS1_3genE0ELNS1_11target_archE4294967295ELNS1_3gpuE0ELNS1_3repE0EEENS1_30default_config_static_selectorELNS0_4arch9wavefront6targetE0EEEvSZ_: ; @_ZN7rocprim17ROCPRIM_400000_NS6detail17trampoline_kernelINS0_13select_configILj256ELj13ELNS0_17block_load_methodE3ELS4_3ELS4_3ELNS0_20block_scan_algorithmE0ELj4294967295EEENS1_25partition_config_selectorILNS1_17partition_subalgoE3EjNS0_10empty_typeEbEEZZNS1_14partition_implILS8_3ELb0ES6_jNS0_17counting_iteratorIjlEEPS9_SE_NS0_5tupleIJPjSE_EEENSF_IJSE_SE_EEES9_SG_JZNS1_25segmented_radix_sort_implINS0_14default_configELb1EPK6__halfPSL_PKlPlN2at6native12_GLOBAL__N_18offset_tEEE10hipError_tPvRmT1_PNSt15iterator_traitsISZ_E10value_typeET2_T3_PNS10_IS15_E10value_typeET4_jRbjT5_S1B_jjP12ihipStream_tbEUljE_EEESW_SX_SY_S15_S19_S1B_T6_T7_T9_mT8_S1D_bDpT10_ENKUlT_T0_E_clISt17integral_constantIbLb1EES1Q_EEDaS1L_S1M_EUlS1L_E_NS1_11comp_targetILNS1_3genE0ELNS1_11target_archE4294967295ELNS1_3gpuE0ELNS1_3repE0EEENS1_30default_config_static_selectorELNS0_4arch9wavefront6targetE0EEEvSZ_
; %bb.0:
	.section	.rodata,"a",@progbits
	.p2align	6, 0x0
	.amdhsa_kernel _ZN7rocprim17ROCPRIM_400000_NS6detail17trampoline_kernelINS0_13select_configILj256ELj13ELNS0_17block_load_methodE3ELS4_3ELS4_3ELNS0_20block_scan_algorithmE0ELj4294967295EEENS1_25partition_config_selectorILNS1_17partition_subalgoE3EjNS0_10empty_typeEbEEZZNS1_14partition_implILS8_3ELb0ES6_jNS0_17counting_iteratorIjlEEPS9_SE_NS0_5tupleIJPjSE_EEENSF_IJSE_SE_EEES9_SG_JZNS1_25segmented_radix_sort_implINS0_14default_configELb1EPK6__halfPSL_PKlPlN2at6native12_GLOBAL__N_18offset_tEEE10hipError_tPvRmT1_PNSt15iterator_traitsISZ_E10value_typeET2_T3_PNS10_IS15_E10value_typeET4_jRbjT5_S1B_jjP12ihipStream_tbEUljE_EEESW_SX_SY_S15_S19_S1B_T6_T7_T9_mT8_S1D_bDpT10_ENKUlT_T0_E_clISt17integral_constantIbLb1EES1Q_EEDaS1L_S1M_EUlS1L_E_NS1_11comp_targetILNS1_3genE0ELNS1_11target_archE4294967295ELNS1_3gpuE0ELNS1_3repE0EEENS1_30default_config_static_selectorELNS0_4arch9wavefront6targetE0EEEvSZ_
		.amdhsa_group_segment_fixed_size 0
		.amdhsa_private_segment_fixed_size 0
		.amdhsa_kernarg_size 152
		.amdhsa_user_sgpr_count 15
		.amdhsa_user_sgpr_dispatch_ptr 0
		.amdhsa_user_sgpr_queue_ptr 0
		.amdhsa_user_sgpr_kernarg_segment_ptr 1
		.amdhsa_user_sgpr_dispatch_id 0
		.amdhsa_user_sgpr_private_segment_size 0
		.amdhsa_wavefront_size32 1
		.amdhsa_uses_dynamic_stack 0
		.amdhsa_enable_private_segment 0
		.amdhsa_system_sgpr_workgroup_id_x 1
		.amdhsa_system_sgpr_workgroup_id_y 0
		.amdhsa_system_sgpr_workgroup_id_z 0
		.amdhsa_system_sgpr_workgroup_info 0
		.amdhsa_system_vgpr_workitem_id 0
		.amdhsa_next_free_vgpr 1
		.amdhsa_next_free_sgpr 1
		.amdhsa_reserve_vcc 0
		.amdhsa_float_round_mode_32 0
		.amdhsa_float_round_mode_16_64 0
		.amdhsa_float_denorm_mode_32 3
		.amdhsa_float_denorm_mode_16_64 3
		.amdhsa_dx10_clamp 1
		.amdhsa_ieee_mode 1
		.amdhsa_fp16_overflow 0
		.amdhsa_workgroup_processor_mode 1
		.amdhsa_memory_ordered 1
		.amdhsa_forward_progress 0
		.amdhsa_shared_vgpr_count 0
		.amdhsa_exception_fp_ieee_invalid_op 0
		.amdhsa_exception_fp_denorm_src 0
		.amdhsa_exception_fp_ieee_div_zero 0
		.amdhsa_exception_fp_ieee_overflow 0
		.amdhsa_exception_fp_ieee_underflow 0
		.amdhsa_exception_fp_ieee_inexact 0
		.amdhsa_exception_int_div_zero 0
	.end_amdhsa_kernel
	.section	.text._ZN7rocprim17ROCPRIM_400000_NS6detail17trampoline_kernelINS0_13select_configILj256ELj13ELNS0_17block_load_methodE3ELS4_3ELS4_3ELNS0_20block_scan_algorithmE0ELj4294967295EEENS1_25partition_config_selectorILNS1_17partition_subalgoE3EjNS0_10empty_typeEbEEZZNS1_14partition_implILS8_3ELb0ES6_jNS0_17counting_iteratorIjlEEPS9_SE_NS0_5tupleIJPjSE_EEENSF_IJSE_SE_EEES9_SG_JZNS1_25segmented_radix_sort_implINS0_14default_configELb1EPK6__halfPSL_PKlPlN2at6native12_GLOBAL__N_18offset_tEEE10hipError_tPvRmT1_PNSt15iterator_traitsISZ_E10value_typeET2_T3_PNS10_IS15_E10value_typeET4_jRbjT5_S1B_jjP12ihipStream_tbEUljE_EEESW_SX_SY_S15_S19_S1B_T6_T7_T9_mT8_S1D_bDpT10_ENKUlT_T0_E_clISt17integral_constantIbLb1EES1Q_EEDaS1L_S1M_EUlS1L_E_NS1_11comp_targetILNS1_3genE0ELNS1_11target_archE4294967295ELNS1_3gpuE0ELNS1_3repE0EEENS1_30default_config_static_selectorELNS0_4arch9wavefront6targetE0EEEvSZ_,"axG",@progbits,_ZN7rocprim17ROCPRIM_400000_NS6detail17trampoline_kernelINS0_13select_configILj256ELj13ELNS0_17block_load_methodE3ELS4_3ELS4_3ELNS0_20block_scan_algorithmE0ELj4294967295EEENS1_25partition_config_selectorILNS1_17partition_subalgoE3EjNS0_10empty_typeEbEEZZNS1_14partition_implILS8_3ELb0ES6_jNS0_17counting_iteratorIjlEEPS9_SE_NS0_5tupleIJPjSE_EEENSF_IJSE_SE_EEES9_SG_JZNS1_25segmented_radix_sort_implINS0_14default_configELb1EPK6__halfPSL_PKlPlN2at6native12_GLOBAL__N_18offset_tEEE10hipError_tPvRmT1_PNSt15iterator_traitsISZ_E10value_typeET2_T3_PNS10_IS15_E10value_typeET4_jRbjT5_S1B_jjP12ihipStream_tbEUljE_EEESW_SX_SY_S15_S19_S1B_T6_T7_T9_mT8_S1D_bDpT10_ENKUlT_T0_E_clISt17integral_constantIbLb1EES1Q_EEDaS1L_S1M_EUlS1L_E_NS1_11comp_targetILNS1_3genE0ELNS1_11target_archE4294967295ELNS1_3gpuE0ELNS1_3repE0EEENS1_30default_config_static_selectorELNS0_4arch9wavefront6targetE0EEEvSZ_,comdat
.Lfunc_end1715:
	.size	_ZN7rocprim17ROCPRIM_400000_NS6detail17trampoline_kernelINS0_13select_configILj256ELj13ELNS0_17block_load_methodE3ELS4_3ELS4_3ELNS0_20block_scan_algorithmE0ELj4294967295EEENS1_25partition_config_selectorILNS1_17partition_subalgoE3EjNS0_10empty_typeEbEEZZNS1_14partition_implILS8_3ELb0ES6_jNS0_17counting_iteratorIjlEEPS9_SE_NS0_5tupleIJPjSE_EEENSF_IJSE_SE_EEES9_SG_JZNS1_25segmented_radix_sort_implINS0_14default_configELb1EPK6__halfPSL_PKlPlN2at6native12_GLOBAL__N_18offset_tEEE10hipError_tPvRmT1_PNSt15iterator_traitsISZ_E10value_typeET2_T3_PNS10_IS15_E10value_typeET4_jRbjT5_S1B_jjP12ihipStream_tbEUljE_EEESW_SX_SY_S15_S19_S1B_T6_T7_T9_mT8_S1D_bDpT10_ENKUlT_T0_E_clISt17integral_constantIbLb1EES1Q_EEDaS1L_S1M_EUlS1L_E_NS1_11comp_targetILNS1_3genE0ELNS1_11target_archE4294967295ELNS1_3gpuE0ELNS1_3repE0EEENS1_30default_config_static_selectorELNS0_4arch9wavefront6targetE0EEEvSZ_, .Lfunc_end1715-_ZN7rocprim17ROCPRIM_400000_NS6detail17trampoline_kernelINS0_13select_configILj256ELj13ELNS0_17block_load_methodE3ELS4_3ELS4_3ELNS0_20block_scan_algorithmE0ELj4294967295EEENS1_25partition_config_selectorILNS1_17partition_subalgoE3EjNS0_10empty_typeEbEEZZNS1_14partition_implILS8_3ELb0ES6_jNS0_17counting_iteratorIjlEEPS9_SE_NS0_5tupleIJPjSE_EEENSF_IJSE_SE_EEES9_SG_JZNS1_25segmented_radix_sort_implINS0_14default_configELb1EPK6__halfPSL_PKlPlN2at6native12_GLOBAL__N_18offset_tEEE10hipError_tPvRmT1_PNSt15iterator_traitsISZ_E10value_typeET2_T3_PNS10_IS15_E10value_typeET4_jRbjT5_S1B_jjP12ihipStream_tbEUljE_EEESW_SX_SY_S15_S19_S1B_T6_T7_T9_mT8_S1D_bDpT10_ENKUlT_T0_E_clISt17integral_constantIbLb1EES1Q_EEDaS1L_S1M_EUlS1L_E_NS1_11comp_targetILNS1_3genE0ELNS1_11target_archE4294967295ELNS1_3gpuE0ELNS1_3repE0EEENS1_30default_config_static_selectorELNS0_4arch9wavefront6targetE0EEEvSZ_
                                        ; -- End function
	.section	.AMDGPU.csdata,"",@progbits
; Kernel info:
; codeLenInByte = 0
; NumSgprs: 0
; NumVgprs: 0
; ScratchSize: 0
; MemoryBound: 0
; FloatMode: 240
; IeeeMode: 1
; LDSByteSize: 0 bytes/workgroup (compile time only)
; SGPRBlocks: 0
; VGPRBlocks: 0
; NumSGPRsForWavesPerEU: 1
; NumVGPRsForWavesPerEU: 1
; Occupancy: 16
; WaveLimiterHint : 0
; COMPUTE_PGM_RSRC2:SCRATCH_EN: 0
; COMPUTE_PGM_RSRC2:USER_SGPR: 15
; COMPUTE_PGM_RSRC2:TRAP_HANDLER: 0
; COMPUTE_PGM_RSRC2:TGID_X_EN: 1
; COMPUTE_PGM_RSRC2:TGID_Y_EN: 0
; COMPUTE_PGM_RSRC2:TGID_Z_EN: 0
; COMPUTE_PGM_RSRC2:TIDIG_COMP_CNT: 0
	.section	.text._ZN7rocprim17ROCPRIM_400000_NS6detail17trampoline_kernelINS0_13select_configILj256ELj13ELNS0_17block_load_methodE3ELS4_3ELS4_3ELNS0_20block_scan_algorithmE0ELj4294967295EEENS1_25partition_config_selectorILNS1_17partition_subalgoE3EjNS0_10empty_typeEbEEZZNS1_14partition_implILS8_3ELb0ES6_jNS0_17counting_iteratorIjlEEPS9_SE_NS0_5tupleIJPjSE_EEENSF_IJSE_SE_EEES9_SG_JZNS1_25segmented_radix_sort_implINS0_14default_configELb1EPK6__halfPSL_PKlPlN2at6native12_GLOBAL__N_18offset_tEEE10hipError_tPvRmT1_PNSt15iterator_traitsISZ_E10value_typeET2_T3_PNS10_IS15_E10value_typeET4_jRbjT5_S1B_jjP12ihipStream_tbEUljE_EEESW_SX_SY_S15_S19_S1B_T6_T7_T9_mT8_S1D_bDpT10_ENKUlT_T0_E_clISt17integral_constantIbLb1EES1Q_EEDaS1L_S1M_EUlS1L_E_NS1_11comp_targetILNS1_3genE5ELNS1_11target_archE942ELNS1_3gpuE9ELNS1_3repE0EEENS1_30default_config_static_selectorELNS0_4arch9wavefront6targetE0EEEvSZ_,"axG",@progbits,_ZN7rocprim17ROCPRIM_400000_NS6detail17trampoline_kernelINS0_13select_configILj256ELj13ELNS0_17block_load_methodE3ELS4_3ELS4_3ELNS0_20block_scan_algorithmE0ELj4294967295EEENS1_25partition_config_selectorILNS1_17partition_subalgoE3EjNS0_10empty_typeEbEEZZNS1_14partition_implILS8_3ELb0ES6_jNS0_17counting_iteratorIjlEEPS9_SE_NS0_5tupleIJPjSE_EEENSF_IJSE_SE_EEES9_SG_JZNS1_25segmented_radix_sort_implINS0_14default_configELb1EPK6__halfPSL_PKlPlN2at6native12_GLOBAL__N_18offset_tEEE10hipError_tPvRmT1_PNSt15iterator_traitsISZ_E10value_typeET2_T3_PNS10_IS15_E10value_typeET4_jRbjT5_S1B_jjP12ihipStream_tbEUljE_EEESW_SX_SY_S15_S19_S1B_T6_T7_T9_mT8_S1D_bDpT10_ENKUlT_T0_E_clISt17integral_constantIbLb1EES1Q_EEDaS1L_S1M_EUlS1L_E_NS1_11comp_targetILNS1_3genE5ELNS1_11target_archE942ELNS1_3gpuE9ELNS1_3repE0EEENS1_30default_config_static_selectorELNS0_4arch9wavefront6targetE0EEEvSZ_,comdat
	.globl	_ZN7rocprim17ROCPRIM_400000_NS6detail17trampoline_kernelINS0_13select_configILj256ELj13ELNS0_17block_load_methodE3ELS4_3ELS4_3ELNS0_20block_scan_algorithmE0ELj4294967295EEENS1_25partition_config_selectorILNS1_17partition_subalgoE3EjNS0_10empty_typeEbEEZZNS1_14partition_implILS8_3ELb0ES6_jNS0_17counting_iteratorIjlEEPS9_SE_NS0_5tupleIJPjSE_EEENSF_IJSE_SE_EEES9_SG_JZNS1_25segmented_radix_sort_implINS0_14default_configELb1EPK6__halfPSL_PKlPlN2at6native12_GLOBAL__N_18offset_tEEE10hipError_tPvRmT1_PNSt15iterator_traitsISZ_E10value_typeET2_T3_PNS10_IS15_E10value_typeET4_jRbjT5_S1B_jjP12ihipStream_tbEUljE_EEESW_SX_SY_S15_S19_S1B_T6_T7_T9_mT8_S1D_bDpT10_ENKUlT_T0_E_clISt17integral_constantIbLb1EES1Q_EEDaS1L_S1M_EUlS1L_E_NS1_11comp_targetILNS1_3genE5ELNS1_11target_archE942ELNS1_3gpuE9ELNS1_3repE0EEENS1_30default_config_static_selectorELNS0_4arch9wavefront6targetE0EEEvSZ_ ; -- Begin function _ZN7rocprim17ROCPRIM_400000_NS6detail17trampoline_kernelINS0_13select_configILj256ELj13ELNS0_17block_load_methodE3ELS4_3ELS4_3ELNS0_20block_scan_algorithmE0ELj4294967295EEENS1_25partition_config_selectorILNS1_17partition_subalgoE3EjNS0_10empty_typeEbEEZZNS1_14partition_implILS8_3ELb0ES6_jNS0_17counting_iteratorIjlEEPS9_SE_NS0_5tupleIJPjSE_EEENSF_IJSE_SE_EEES9_SG_JZNS1_25segmented_radix_sort_implINS0_14default_configELb1EPK6__halfPSL_PKlPlN2at6native12_GLOBAL__N_18offset_tEEE10hipError_tPvRmT1_PNSt15iterator_traitsISZ_E10value_typeET2_T3_PNS10_IS15_E10value_typeET4_jRbjT5_S1B_jjP12ihipStream_tbEUljE_EEESW_SX_SY_S15_S19_S1B_T6_T7_T9_mT8_S1D_bDpT10_ENKUlT_T0_E_clISt17integral_constantIbLb1EES1Q_EEDaS1L_S1M_EUlS1L_E_NS1_11comp_targetILNS1_3genE5ELNS1_11target_archE942ELNS1_3gpuE9ELNS1_3repE0EEENS1_30default_config_static_selectorELNS0_4arch9wavefront6targetE0EEEvSZ_
	.p2align	8
	.type	_ZN7rocprim17ROCPRIM_400000_NS6detail17trampoline_kernelINS0_13select_configILj256ELj13ELNS0_17block_load_methodE3ELS4_3ELS4_3ELNS0_20block_scan_algorithmE0ELj4294967295EEENS1_25partition_config_selectorILNS1_17partition_subalgoE3EjNS0_10empty_typeEbEEZZNS1_14partition_implILS8_3ELb0ES6_jNS0_17counting_iteratorIjlEEPS9_SE_NS0_5tupleIJPjSE_EEENSF_IJSE_SE_EEES9_SG_JZNS1_25segmented_radix_sort_implINS0_14default_configELb1EPK6__halfPSL_PKlPlN2at6native12_GLOBAL__N_18offset_tEEE10hipError_tPvRmT1_PNSt15iterator_traitsISZ_E10value_typeET2_T3_PNS10_IS15_E10value_typeET4_jRbjT5_S1B_jjP12ihipStream_tbEUljE_EEESW_SX_SY_S15_S19_S1B_T6_T7_T9_mT8_S1D_bDpT10_ENKUlT_T0_E_clISt17integral_constantIbLb1EES1Q_EEDaS1L_S1M_EUlS1L_E_NS1_11comp_targetILNS1_3genE5ELNS1_11target_archE942ELNS1_3gpuE9ELNS1_3repE0EEENS1_30default_config_static_selectorELNS0_4arch9wavefront6targetE0EEEvSZ_,@function
_ZN7rocprim17ROCPRIM_400000_NS6detail17trampoline_kernelINS0_13select_configILj256ELj13ELNS0_17block_load_methodE3ELS4_3ELS4_3ELNS0_20block_scan_algorithmE0ELj4294967295EEENS1_25partition_config_selectorILNS1_17partition_subalgoE3EjNS0_10empty_typeEbEEZZNS1_14partition_implILS8_3ELb0ES6_jNS0_17counting_iteratorIjlEEPS9_SE_NS0_5tupleIJPjSE_EEENSF_IJSE_SE_EEES9_SG_JZNS1_25segmented_radix_sort_implINS0_14default_configELb1EPK6__halfPSL_PKlPlN2at6native12_GLOBAL__N_18offset_tEEE10hipError_tPvRmT1_PNSt15iterator_traitsISZ_E10value_typeET2_T3_PNS10_IS15_E10value_typeET4_jRbjT5_S1B_jjP12ihipStream_tbEUljE_EEESW_SX_SY_S15_S19_S1B_T6_T7_T9_mT8_S1D_bDpT10_ENKUlT_T0_E_clISt17integral_constantIbLb1EES1Q_EEDaS1L_S1M_EUlS1L_E_NS1_11comp_targetILNS1_3genE5ELNS1_11target_archE942ELNS1_3gpuE9ELNS1_3repE0EEENS1_30default_config_static_selectorELNS0_4arch9wavefront6targetE0EEEvSZ_: ; @_ZN7rocprim17ROCPRIM_400000_NS6detail17trampoline_kernelINS0_13select_configILj256ELj13ELNS0_17block_load_methodE3ELS4_3ELS4_3ELNS0_20block_scan_algorithmE0ELj4294967295EEENS1_25partition_config_selectorILNS1_17partition_subalgoE3EjNS0_10empty_typeEbEEZZNS1_14partition_implILS8_3ELb0ES6_jNS0_17counting_iteratorIjlEEPS9_SE_NS0_5tupleIJPjSE_EEENSF_IJSE_SE_EEES9_SG_JZNS1_25segmented_radix_sort_implINS0_14default_configELb1EPK6__halfPSL_PKlPlN2at6native12_GLOBAL__N_18offset_tEEE10hipError_tPvRmT1_PNSt15iterator_traitsISZ_E10value_typeET2_T3_PNS10_IS15_E10value_typeET4_jRbjT5_S1B_jjP12ihipStream_tbEUljE_EEESW_SX_SY_S15_S19_S1B_T6_T7_T9_mT8_S1D_bDpT10_ENKUlT_T0_E_clISt17integral_constantIbLb1EES1Q_EEDaS1L_S1M_EUlS1L_E_NS1_11comp_targetILNS1_3genE5ELNS1_11target_archE942ELNS1_3gpuE9ELNS1_3repE0EEENS1_30default_config_static_selectorELNS0_4arch9wavefront6targetE0EEEvSZ_
; %bb.0:
	.section	.rodata,"a",@progbits
	.p2align	6, 0x0
	.amdhsa_kernel _ZN7rocprim17ROCPRIM_400000_NS6detail17trampoline_kernelINS0_13select_configILj256ELj13ELNS0_17block_load_methodE3ELS4_3ELS4_3ELNS0_20block_scan_algorithmE0ELj4294967295EEENS1_25partition_config_selectorILNS1_17partition_subalgoE3EjNS0_10empty_typeEbEEZZNS1_14partition_implILS8_3ELb0ES6_jNS0_17counting_iteratorIjlEEPS9_SE_NS0_5tupleIJPjSE_EEENSF_IJSE_SE_EEES9_SG_JZNS1_25segmented_radix_sort_implINS0_14default_configELb1EPK6__halfPSL_PKlPlN2at6native12_GLOBAL__N_18offset_tEEE10hipError_tPvRmT1_PNSt15iterator_traitsISZ_E10value_typeET2_T3_PNS10_IS15_E10value_typeET4_jRbjT5_S1B_jjP12ihipStream_tbEUljE_EEESW_SX_SY_S15_S19_S1B_T6_T7_T9_mT8_S1D_bDpT10_ENKUlT_T0_E_clISt17integral_constantIbLb1EES1Q_EEDaS1L_S1M_EUlS1L_E_NS1_11comp_targetILNS1_3genE5ELNS1_11target_archE942ELNS1_3gpuE9ELNS1_3repE0EEENS1_30default_config_static_selectorELNS0_4arch9wavefront6targetE0EEEvSZ_
		.amdhsa_group_segment_fixed_size 0
		.amdhsa_private_segment_fixed_size 0
		.amdhsa_kernarg_size 152
		.amdhsa_user_sgpr_count 15
		.amdhsa_user_sgpr_dispatch_ptr 0
		.amdhsa_user_sgpr_queue_ptr 0
		.amdhsa_user_sgpr_kernarg_segment_ptr 1
		.amdhsa_user_sgpr_dispatch_id 0
		.amdhsa_user_sgpr_private_segment_size 0
		.amdhsa_wavefront_size32 1
		.amdhsa_uses_dynamic_stack 0
		.amdhsa_enable_private_segment 0
		.amdhsa_system_sgpr_workgroup_id_x 1
		.amdhsa_system_sgpr_workgroup_id_y 0
		.amdhsa_system_sgpr_workgroup_id_z 0
		.amdhsa_system_sgpr_workgroup_info 0
		.amdhsa_system_vgpr_workitem_id 0
		.amdhsa_next_free_vgpr 1
		.amdhsa_next_free_sgpr 1
		.amdhsa_reserve_vcc 0
		.amdhsa_float_round_mode_32 0
		.amdhsa_float_round_mode_16_64 0
		.amdhsa_float_denorm_mode_32 3
		.amdhsa_float_denorm_mode_16_64 3
		.amdhsa_dx10_clamp 1
		.amdhsa_ieee_mode 1
		.amdhsa_fp16_overflow 0
		.amdhsa_workgroup_processor_mode 1
		.amdhsa_memory_ordered 1
		.amdhsa_forward_progress 0
		.amdhsa_shared_vgpr_count 0
		.amdhsa_exception_fp_ieee_invalid_op 0
		.amdhsa_exception_fp_denorm_src 0
		.amdhsa_exception_fp_ieee_div_zero 0
		.amdhsa_exception_fp_ieee_overflow 0
		.amdhsa_exception_fp_ieee_underflow 0
		.amdhsa_exception_fp_ieee_inexact 0
		.amdhsa_exception_int_div_zero 0
	.end_amdhsa_kernel
	.section	.text._ZN7rocprim17ROCPRIM_400000_NS6detail17trampoline_kernelINS0_13select_configILj256ELj13ELNS0_17block_load_methodE3ELS4_3ELS4_3ELNS0_20block_scan_algorithmE0ELj4294967295EEENS1_25partition_config_selectorILNS1_17partition_subalgoE3EjNS0_10empty_typeEbEEZZNS1_14partition_implILS8_3ELb0ES6_jNS0_17counting_iteratorIjlEEPS9_SE_NS0_5tupleIJPjSE_EEENSF_IJSE_SE_EEES9_SG_JZNS1_25segmented_radix_sort_implINS0_14default_configELb1EPK6__halfPSL_PKlPlN2at6native12_GLOBAL__N_18offset_tEEE10hipError_tPvRmT1_PNSt15iterator_traitsISZ_E10value_typeET2_T3_PNS10_IS15_E10value_typeET4_jRbjT5_S1B_jjP12ihipStream_tbEUljE_EEESW_SX_SY_S15_S19_S1B_T6_T7_T9_mT8_S1D_bDpT10_ENKUlT_T0_E_clISt17integral_constantIbLb1EES1Q_EEDaS1L_S1M_EUlS1L_E_NS1_11comp_targetILNS1_3genE5ELNS1_11target_archE942ELNS1_3gpuE9ELNS1_3repE0EEENS1_30default_config_static_selectorELNS0_4arch9wavefront6targetE0EEEvSZ_,"axG",@progbits,_ZN7rocprim17ROCPRIM_400000_NS6detail17trampoline_kernelINS0_13select_configILj256ELj13ELNS0_17block_load_methodE3ELS4_3ELS4_3ELNS0_20block_scan_algorithmE0ELj4294967295EEENS1_25partition_config_selectorILNS1_17partition_subalgoE3EjNS0_10empty_typeEbEEZZNS1_14partition_implILS8_3ELb0ES6_jNS0_17counting_iteratorIjlEEPS9_SE_NS0_5tupleIJPjSE_EEENSF_IJSE_SE_EEES9_SG_JZNS1_25segmented_radix_sort_implINS0_14default_configELb1EPK6__halfPSL_PKlPlN2at6native12_GLOBAL__N_18offset_tEEE10hipError_tPvRmT1_PNSt15iterator_traitsISZ_E10value_typeET2_T3_PNS10_IS15_E10value_typeET4_jRbjT5_S1B_jjP12ihipStream_tbEUljE_EEESW_SX_SY_S15_S19_S1B_T6_T7_T9_mT8_S1D_bDpT10_ENKUlT_T0_E_clISt17integral_constantIbLb1EES1Q_EEDaS1L_S1M_EUlS1L_E_NS1_11comp_targetILNS1_3genE5ELNS1_11target_archE942ELNS1_3gpuE9ELNS1_3repE0EEENS1_30default_config_static_selectorELNS0_4arch9wavefront6targetE0EEEvSZ_,comdat
.Lfunc_end1716:
	.size	_ZN7rocprim17ROCPRIM_400000_NS6detail17trampoline_kernelINS0_13select_configILj256ELj13ELNS0_17block_load_methodE3ELS4_3ELS4_3ELNS0_20block_scan_algorithmE0ELj4294967295EEENS1_25partition_config_selectorILNS1_17partition_subalgoE3EjNS0_10empty_typeEbEEZZNS1_14partition_implILS8_3ELb0ES6_jNS0_17counting_iteratorIjlEEPS9_SE_NS0_5tupleIJPjSE_EEENSF_IJSE_SE_EEES9_SG_JZNS1_25segmented_radix_sort_implINS0_14default_configELb1EPK6__halfPSL_PKlPlN2at6native12_GLOBAL__N_18offset_tEEE10hipError_tPvRmT1_PNSt15iterator_traitsISZ_E10value_typeET2_T3_PNS10_IS15_E10value_typeET4_jRbjT5_S1B_jjP12ihipStream_tbEUljE_EEESW_SX_SY_S15_S19_S1B_T6_T7_T9_mT8_S1D_bDpT10_ENKUlT_T0_E_clISt17integral_constantIbLb1EES1Q_EEDaS1L_S1M_EUlS1L_E_NS1_11comp_targetILNS1_3genE5ELNS1_11target_archE942ELNS1_3gpuE9ELNS1_3repE0EEENS1_30default_config_static_selectorELNS0_4arch9wavefront6targetE0EEEvSZ_, .Lfunc_end1716-_ZN7rocprim17ROCPRIM_400000_NS6detail17trampoline_kernelINS0_13select_configILj256ELj13ELNS0_17block_load_methodE3ELS4_3ELS4_3ELNS0_20block_scan_algorithmE0ELj4294967295EEENS1_25partition_config_selectorILNS1_17partition_subalgoE3EjNS0_10empty_typeEbEEZZNS1_14partition_implILS8_3ELb0ES6_jNS0_17counting_iteratorIjlEEPS9_SE_NS0_5tupleIJPjSE_EEENSF_IJSE_SE_EEES9_SG_JZNS1_25segmented_radix_sort_implINS0_14default_configELb1EPK6__halfPSL_PKlPlN2at6native12_GLOBAL__N_18offset_tEEE10hipError_tPvRmT1_PNSt15iterator_traitsISZ_E10value_typeET2_T3_PNS10_IS15_E10value_typeET4_jRbjT5_S1B_jjP12ihipStream_tbEUljE_EEESW_SX_SY_S15_S19_S1B_T6_T7_T9_mT8_S1D_bDpT10_ENKUlT_T0_E_clISt17integral_constantIbLb1EES1Q_EEDaS1L_S1M_EUlS1L_E_NS1_11comp_targetILNS1_3genE5ELNS1_11target_archE942ELNS1_3gpuE9ELNS1_3repE0EEENS1_30default_config_static_selectorELNS0_4arch9wavefront6targetE0EEEvSZ_
                                        ; -- End function
	.section	.AMDGPU.csdata,"",@progbits
; Kernel info:
; codeLenInByte = 0
; NumSgprs: 0
; NumVgprs: 0
; ScratchSize: 0
; MemoryBound: 0
; FloatMode: 240
; IeeeMode: 1
; LDSByteSize: 0 bytes/workgroup (compile time only)
; SGPRBlocks: 0
; VGPRBlocks: 0
; NumSGPRsForWavesPerEU: 1
; NumVGPRsForWavesPerEU: 1
; Occupancy: 16
; WaveLimiterHint : 0
; COMPUTE_PGM_RSRC2:SCRATCH_EN: 0
; COMPUTE_PGM_RSRC2:USER_SGPR: 15
; COMPUTE_PGM_RSRC2:TRAP_HANDLER: 0
; COMPUTE_PGM_RSRC2:TGID_X_EN: 1
; COMPUTE_PGM_RSRC2:TGID_Y_EN: 0
; COMPUTE_PGM_RSRC2:TGID_Z_EN: 0
; COMPUTE_PGM_RSRC2:TIDIG_COMP_CNT: 0
	.section	.text._ZN7rocprim17ROCPRIM_400000_NS6detail17trampoline_kernelINS0_13select_configILj256ELj13ELNS0_17block_load_methodE3ELS4_3ELS4_3ELNS0_20block_scan_algorithmE0ELj4294967295EEENS1_25partition_config_selectorILNS1_17partition_subalgoE3EjNS0_10empty_typeEbEEZZNS1_14partition_implILS8_3ELb0ES6_jNS0_17counting_iteratorIjlEEPS9_SE_NS0_5tupleIJPjSE_EEENSF_IJSE_SE_EEES9_SG_JZNS1_25segmented_radix_sort_implINS0_14default_configELb1EPK6__halfPSL_PKlPlN2at6native12_GLOBAL__N_18offset_tEEE10hipError_tPvRmT1_PNSt15iterator_traitsISZ_E10value_typeET2_T3_PNS10_IS15_E10value_typeET4_jRbjT5_S1B_jjP12ihipStream_tbEUljE_EEESW_SX_SY_S15_S19_S1B_T6_T7_T9_mT8_S1D_bDpT10_ENKUlT_T0_E_clISt17integral_constantIbLb1EES1Q_EEDaS1L_S1M_EUlS1L_E_NS1_11comp_targetILNS1_3genE4ELNS1_11target_archE910ELNS1_3gpuE8ELNS1_3repE0EEENS1_30default_config_static_selectorELNS0_4arch9wavefront6targetE0EEEvSZ_,"axG",@progbits,_ZN7rocprim17ROCPRIM_400000_NS6detail17trampoline_kernelINS0_13select_configILj256ELj13ELNS0_17block_load_methodE3ELS4_3ELS4_3ELNS0_20block_scan_algorithmE0ELj4294967295EEENS1_25partition_config_selectorILNS1_17partition_subalgoE3EjNS0_10empty_typeEbEEZZNS1_14partition_implILS8_3ELb0ES6_jNS0_17counting_iteratorIjlEEPS9_SE_NS0_5tupleIJPjSE_EEENSF_IJSE_SE_EEES9_SG_JZNS1_25segmented_radix_sort_implINS0_14default_configELb1EPK6__halfPSL_PKlPlN2at6native12_GLOBAL__N_18offset_tEEE10hipError_tPvRmT1_PNSt15iterator_traitsISZ_E10value_typeET2_T3_PNS10_IS15_E10value_typeET4_jRbjT5_S1B_jjP12ihipStream_tbEUljE_EEESW_SX_SY_S15_S19_S1B_T6_T7_T9_mT8_S1D_bDpT10_ENKUlT_T0_E_clISt17integral_constantIbLb1EES1Q_EEDaS1L_S1M_EUlS1L_E_NS1_11comp_targetILNS1_3genE4ELNS1_11target_archE910ELNS1_3gpuE8ELNS1_3repE0EEENS1_30default_config_static_selectorELNS0_4arch9wavefront6targetE0EEEvSZ_,comdat
	.globl	_ZN7rocprim17ROCPRIM_400000_NS6detail17trampoline_kernelINS0_13select_configILj256ELj13ELNS0_17block_load_methodE3ELS4_3ELS4_3ELNS0_20block_scan_algorithmE0ELj4294967295EEENS1_25partition_config_selectorILNS1_17partition_subalgoE3EjNS0_10empty_typeEbEEZZNS1_14partition_implILS8_3ELb0ES6_jNS0_17counting_iteratorIjlEEPS9_SE_NS0_5tupleIJPjSE_EEENSF_IJSE_SE_EEES9_SG_JZNS1_25segmented_radix_sort_implINS0_14default_configELb1EPK6__halfPSL_PKlPlN2at6native12_GLOBAL__N_18offset_tEEE10hipError_tPvRmT1_PNSt15iterator_traitsISZ_E10value_typeET2_T3_PNS10_IS15_E10value_typeET4_jRbjT5_S1B_jjP12ihipStream_tbEUljE_EEESW_SX_SY_S15_S19_S1B_T6_T7_T9_mT8_S1D_bDpT10_ENKUlT_T0_E_clISt17integral_constantIbLb1EES1Q_EEDaS1L_S1M_EUlS1L_E_NS1_11comp_targetILNS1_3genE4ELNS1_11target_archE910ELNS1_3gpuE8ELNS1_3repE0EEENS1_30default_config_static_selectorELNS0_4arch9wavefront6targetE0EEEvSZ_ ; -- Begin function _ZN7rocprim17ROCPRIM_400000_NS6detail17trampoline_kernelINS0_13select_configILj256ELj13ELNS0_17block_load_methodE3ELS4_3ELS4_3ELNS0_20block_scan_algorithmE0ELj4294967295EEENS1_25partition_config_selectorILNS1_17partition_subalgoE3EjNS0_10empty_typeEbEEZZNS1_14partition_implILS8_3ELb0ES6_jNS0_17counting_iteratorIjlEEPS9_SE_NS0_5tupleIJPjSE_EEENSF_IJSE_SE_EEES9_SG_JZNS1_25segmented_radix_sort_implINS0_14default_configELb1EPK6__halfPSL_PKlPlN2at6native12_GLOBAL__N_18offset_tEEE10hipError_tPvRmT1_PNSt15iterator_traitsISZ_E10value_typeET2_T3_PNS10_IS15_E10value_typeET4_jRbjT5_S1B_jjP12ihipStream_tbEUljE_EEESW_SX_SY_S15_S19_S1B_T6_T7_T9_mT8_S1D_bDpT10_ENKUlT_T0_E_clISt17integral_constantIbLb1EES1Q_EEDaS1L_S1M_EUlS1L_E_NS1_11comp_targetILNS1_3genE4ELNS1_11target_archE910ELNS1_3gpuE8ELNS1_3repE0EEENS1_30default_config_static_selectorELNS0_4arch9wavefront6targetE0EEEvSZ_
	.p2align	8
	.type	_ZN7rocprim17ROCPRIM_400000_NS6detail17trampoline_kernelINS0_13select_configILj256ELj13ELNS0_17block_load_methodE3ELS4_3ELS4_3ELNS0_20block_scan_algorithmE0ELj4294967295EEENS1_25partition_config_selectorILNS1_17partition_subalgoE3EjNS0_10empty_typeEbEEZZNS1_14partition_implILS8_3ELb0ES6_jNS0_17counting_iteratorIjlEEPS9_SE_NS0_5tupleIJPjSE_EEENSF_IJSE_SE_EEES9_SG_JZNS1_25segmented_radix_sort_implINS0_14default_configELb1EPK6__halfPSL_PKlPlN2at6native12_GLOBAL__N_18offset_tEEE10hipError_tPvRmT1_PNSt15iterator_traitsISZ_E10value_typeET2_T3_PNS10_IS15_E10value_typeET4_jRbjT5_S1B_jjP12ihipStream_tbEUljE_EEESW_SX_SY_S15_S19_S1B_T6_T7_T9_mT8_S1D_bDpT10_ENKUlT_T0_E_clISt17integral_constantIbLb1EES1Q_EEDaS1L_S1M_EUlS1L_E_NS1_11comp_targetILNS1_3genE4ELNS1_11target_archE910ELNS1_3gpuE8ELNS1_3repE0EEENS1_30default_config_static_selectorELNS0_4arch9wavefront6targetE0EEEvSZ_,@function
_ZN7rocprim17ROCPRIM_400000_NS6detail17trampoline_kernelINS0_13select_configILj256ELj13ELNS0_17block_load_methodE3ELS4_3ELS4_3ELNS0_20block_scan_algorithmE0ELj4294967295EEENS1_25partition_config_selectorILNS1_17partition_subalgoE3EjNS0_10empty_typeEbEEZZNS1_14partition_implILS8_3ELb0ES6_jNS0_17counting_iteratorIjlEEPS9_SE_NS0_5tupleIJPjSE_EEENSF_IJSE_SE_EEES9_SG_JZNS1_25segmented_radix_sort_implINS0_14default_configELb1EPK6__halfPSL_PKlPlN2at6native12_GLOBAL__N_18offset_tEEE10hipError_tPvRmT1_PNSt15iterator_traitsISZ_E10value_typeET2_T3_PNS10_IS15_E10value_typeET4_jRbjT5_S1B_jjP12ihipStream_tbEUljE_EEESW_SX_SY_S15_S19_S1B_T6_T7_T9_mT8_S1D_bDpT10_ENKUlT_T0_E_clISt17integral_constantIbLb1EES1Q_EEDaS1L_S1M_EUlS1L_E_NS1_11comp_targetILNS1_3genE4ELNS1_11target_archE910ELNS1_3gpuE8ELNS1_3repE0EEENS1_30default_config_static_selectorELNS0_4arch9wavefront6targetE0EEEvSZ_: ; @_ZN7rocprim17ROCPRIM_400000_NS6detail17trampoline_kernelINS0_13select_configILj256ELj13ELNS0_17block_load_methodE3ELS4_3ELS4_3ELNS0_20block_scan_algorithmE0ELj4294967295EEENS1_25partition_config_selectorILNS1_17partition_subalgoE3EjNS0_10empty_typeEbEEZZNS1_14partition_implILS8_3ELb0ES6_jNS0_17counting_iteratorIjlEEPS9_SE_NS0_5tupleIJPjSE_EEENSF_IJSE_SE_EEES9_SG_JZNS1_25segmented_radix_sort_implINS0_14default_configELb1EPK6__halfPSL_PKlPlN2at6native12_GLOBAL__N_18offset_tEEE10hipError_tPvRmT1_PNSt15iterator_traitsISZ_E10value_typeET2_T3_PNS10_IS15_E10value_typeET4_jRbjT5_S1B_jjP12ihipStream_tbEUljE_EEESW_SX_SY_S15_S19_S1B_T6_T7_T9_mT8_S1D_bDpT10_ENKUlT_T0_E_clISt17integral_constantIbLb1EES1Q_EEDaS1L_S1M_EUlS1L_E_NS1_11comp_targetILNS1_3genE4ELNS1_11target_archE910ELNS1_3gpuE8ELNS1_3repE0EEENS1_30default_config_static_selectorELNS0_4arch9wavefront6targetE0EEEvSZ_
; %bb.0:
	.section	.rodata,"a",@progbits
	.p2align	6, 0x0
	.amdhsa_kernel _ZN7rocprim17ROCPRIM_400000_NS6detail17trampoline_kernelINS0_13select_configILj256ELj13ELNS0_17block_load_methodE3ELS4_3ELS4_3ELNS0_20block_scan_algorithmE0ELj4294967295EEENS1_25partition_config_selectorILNS1_17partition_subalgoE3EjNS0_10empty_typeEbEEZZNS1_14partition_implILS8_3ELb0ES6_jNS0_17counting_iteratorIjlEEPS9_SE_NS0_5tupleIJPjSE_EEENSF_IJSE_SE_EEES9_SG_JZNS1_25segmented_radix_sort_implINS0_14default_configELb1EPK6__halfPSL_PKlPlN2at6native12_GLOBAL__N_18offset_tEEE10hipError_tPvRmT1_PNSt15iterator_traitsISZ_E10value_typeET2_T3_PNS10_IS15_E10value_typeET4_jRbjT5_S1B_jjP12ihipStream_tbEUljE_EEESW_SX_SY_S15_S19_S1B_T6_T7_T9_mT8_S1D_bDpT10_ENKUlT_T0_E_clISt17integral_constantIbLb1EES1Q_EEDaS1L_S1M_EUlS1L_E_NS1_11comp_targetILNS1_3genE4ELNS1_11target_archE910ELNS1_3gpuE8ELNS1_3repE0EEENS1_30default_config_static_selectorELNS0_4arch9wavefront6targetE0EEEvSZ_
		.amdhsa_group_segment_fixed_size 0
		.amdhsa_private_segment_fixed_size 0
		.amdhsa_kernarg_size 152
		.amdhsa_user_sgpr_count 15
		.amdhsa_user_sgpr_dispatch_ptr 0
		.amdhsa_user_sgpr_queue_ptr 0
		.amdhsa_user_sgpr_kernarg_segment_ptr 1
		.amdhsa_user_sgpr_dispatch_id 0
		.amdhsa_user_sgpr_private_segment_size 0
		.amdhsa_wavefront_size32 1
		.amdhsa_uses_dynamic_stack 0
		.amdhsa_enable_private_segment 0
		.amdhsa_system_sgpr_workgroup_id_x 1
		.amdhsa_system_sgpr_workgroup_id_y 0
		.amdhsa_system_sgpr_workgroup_id_z 0
		.amdhsa_system_sgpr_workgroup_info 0
		.amdhsa_system_vgpr_workitem_id 0
		.amdhsa_next_free_vgpr 1
		.amdhsa_next_free_sgpr 1
		.amdhsa_reserve_vcc 0
		.amdhsa_float_round_mode_32 0
		.amdhsa_float_round_mode_16_64 0
		.amdhsa_float_denorm_mode_32 3
		.amdhsa_float_denorm_mode_16_64 3
		.amdhsa_dx10_clamp 1
		.amdhsa_ieee_mode 1
		.amdhsa_fp16_overflow 0
		.amdhsa_workgroup_processor_mode 1
		.amdhsa_memory_ordered 1
		.amdhsa_forward_progress 0
		.amdhsa_shared_vgpr_count 0
		.amdhsa_exception_fp_ieee_invalid_op 0
		.amdhsa_exception_fp_denorm_src 0
		.amdhsa_exception_fp_ieee_div_zero 0
		.amdhsa_exception_fp_ieee_overflow 0
		.amdhsa_exception_fp_ieee_underflow 0
		.amdhsa_exception_fp_ieee_inexact 0
		.amdhsa_exception_int_div_zero 0
	.end_amdhsa_kernel
	.section	.text._ZN7rocprim17ROCPRIM_400000_NS6detail17trampoline_kernelINS0_13select_configILj256ELj13ELNS0_17block_load_methodE3ELS4_3ELS4_3ELNS0_20block_scan_algorithmE0ELj4294967295EEENS1_25partition_config_selectorILNS1_17partition_subalgoE3EjNS0_10empty_typeEbEEZZNS1_14partition_implILS8_3ELb0ES6_jNS0_17counting_iteratorIjlEEPS9_SE_NS0_5tupleIJPjSE_EEENSF_IJSE_SE_EEES9_SG_JZNS1_25segmented_radix_sort_implINS0_14default_configELb1EPK6__halfPSL_PKlPlN2at6native12_GLOBAL__N_18offset_tEEE10hipError_tPvRmT1_PNSt15iterator_traitsISZ_E10value_typeET2_T3_PNS10_IS15_E10value_typeET4_jRbjT5_S1B_jjP12ihipStream_tbEUljE_EEESW_SX_SY_S15_S19_S1B_T6_T7_T9_mT8_S1D_bDpT10_ENKUlT_T0_E_clISt17integral_constantIbLb1EES1Q_EEDaS1L_S1M_EUlS1L_E_NS1_11comp_targetILNS1_3genE4ELNS1_11target_archE910ELNS1_3gpuE8ELNS1_3repE0EEENS1_30default_config_static_selectorELNS0_4arch9wavefront6targetE0EEEvSZ_,"axG",@progbits,_ZN7rocprim17ROCPRIM_400000_NS6detail17trampoline_kernelINS0_13select_configILj256ELj13ELNS0_17block_load_methodE3ELS4_3ELS4_3ELNS0_20block_scan_algorithmE0ELj4294967295EEENS1_25partition_config_selectorILNS1_17partition_subalgoE3EjNS0_10empty_typeEbEEZZNS1_14partition_implILS8_3ELb0ES6_jNS0_17counting_iteratorIjlEEPS9_SE_NS0_5tupleIJPjSE_EEENSF_IJSE_SE_EEES9_SG_JZNS1_25segmented_radix_sort_implINS0_14default_configELb1EPK6__halfPSL_PKlPlN2at6native12_GLOBAL__N_18offset_tEEE10hipError_tPvRmT1_PNSt15iterator_traitsISZ_E10value_typeET2_T3_PNS10_IS15_E10value_typeET4_jRbjT5_S1B_jjP12ihipStream_tbEUljE_EEESW_SX_SY_S15_S19_S1B_T6_T7_T9_mT8_S1D_bDpT10_ENKUlT_T0_E_clISt17integral_constantIbLb1EES1Q_EEDaS1L_S1M_EUlS1L_E_NS1_11comp_targetILNS1_3genE4ELNS1_11target_archE910ELNS1_3gpuE8ELNS1_3repE0EEENS1_30default_config_static_selectorELNS0_4arch9wavefront6targetE0EEEvSZ_,comdat
.Lfunc_end1717:
	.size	_ZN7rocprim17ROCPRIM_400000_NS6detail17trampoline_kernelINS0_13select_configILj256ELj13ELNS0_17block_load_methodE3ELS4_3ELS4_3ELNS0_20block_scan_algorithmE0ELj4294967295EEENS1_25partition_config_selectorILNS1_17partition_subalgoE3EjNS0_10empty_typeEbEEZZNS1_14partition_implILS8_3ELb0ES6_jNS0_17counting_iteratorIjlEEPS9_SE_NS0_5tupleIJPjSE_EEENSF_IJSE_SE_EEES9_SG_JZNS1_25segmented_radix_sort_implINS0_14default_configELb1EPK6__halfPSL_PKlPlN2at6native12_GLOBAL__N_18offset_tEEE10hipError_tPvRmT1_PNSt15iterator_traitsISZ_E10value_typeET2_T3_PNS10_IS15_E10value_typeET4_jRbjT5_S1B_jjP12ihipStream_tbEUljE_EEESW_SX_SY_S15_S19_S1B_T6_T7_T9_mT8_S1D_bDpT10_ENKUlT_T0_E_clISt17integral_constantIbLb1EES1Q_EEDaS1L_S1M_EUlS1L_E_NS1_11comp_targetILNS1_3genE4ELNS1_11target_archE910ELNS1_3gpuE8ELNS1_3repE0EEENS1_30default_config_static_selectorELNS0_4arch9wavefront6targetE0EEEvSZ_, .Lfunc_end1717-_ZN7rocprim17ROCPRIM_400000_NS6detail17trampoline_kernelINS0_13select_configILj256ELj13ELNS0_17block_load_methodE3ELS4_3ELS4_3ELNS0_20block_scan_algorithmE0ELj4294967295EEENS1_25partition_config_selectorILNS1_17partition_subalgoE3EjNS0_10empty_typeEbEEZZNS1_14partition_implILS8_3ELb0ES6_jNS0_17counting_iteratorIjlEEPS9_SE_NS0_5tupleIJPjSE_EEENSF_IJSE_SE_EEES9_SG_JZNS1_25segmented_radix_sort_implINS0_14default_configELb1EPK6__halfPSL_PKlPlN2at6native12_GLOBAL__N_18offset_tEEE10hipError_tPvRmT1_PNSt15iterator_traitsISZ_E10value_typeET2_T3_PNS10_IS15_E10value_typeET4_jRbjT5_S1B_jjP12ihipStream_tbEUljE_EEESW_SX_SY_S15_S19_S1B_T6_T7_T9_mT8_S1D_bDpT10_ENKUlT_T0_E_clISt17integral_constantIbLb1EES1Q_EEDaS1L_S1M_EUlS1L_E_NS1_11comp_targetILNS1_3genE4ELNS1_11target_archE910ELNS1_3gpuE8ELNS1_3repE0EEENS1_30default_config_static_selectorELNS0_4arch9wavefront6targetE0EEEvSZ_
                                        ; -- End function
	.section	.AMDGPU.csdata,"",@progbits
; Kernel info:
; codeLenInByte = 0
; NumSgprs: 0
; NumVgprs: 0
; ScratchSize: 0
; MemoryBound: 0
; FloatMode: 240
; IeeeMode: 1
; LDSByteSize: 0 bytes/workgroup (compile time only)
; SGPRBlocks: 0
; VGPRBlocks: 0
; NumSGPRsForWavesPerEU: 1
; NumVGPRsForWavesPerEU: 1
; Occupancy: 16
; WaveLimiterHint : 0
; COMPUTE_PGM_RSRC2:SCRATCH_EN: 0
; COMPUTE_PGM_RSRC2:USER_SGPR: 15
; COMPUTE_PGM_RSRC2:TRAP_HANDLER: 0
; COMPUTE_PGM_RSRC2:TGID_X_EN: 1
; COMPUTE_PGM_RSRC2:TGID_Y_EN: 0
; COMPUTE_PGM_RSRC2:TGID_Z_EN: 0
; COMPUTE_PGM_RSRC2:TIDIG_COMP_CNT: 0
	.section	.text._ZN7rocprim17ROCPRIM_400000_NS6detail17trampoline_kernelINS0_13select_configILj256ELj13ELNS0_17block_load_methodE3ELS4_3ELS4_3ELNS0_20block_scan_algorithmE0ELj4294967295EEENS1_25partition_config_selectorILNS1_17partition_subalgoE3EjNS0_10empty_typeEbEEZZNS1_14partition_implILS8_3ELb0ES6_jNS0_17counting_iteratorIjlEEPS9_SE_NS0_5tupleIJPjSE_EEENSF_IJSE_SE_EEES9_SG_JZNS1_25segmented_radix_sort_implINS0_14default_configELb1EPK6__halfPSL_PKlPlN2at6native12_GLOBAL__N_18offset_tEEE10hipError_tPvRmT1_PNSt15iterator_traitsISZ_E10value_typeET2_T3_PNS10_IS15_E10value_typeET4_jRbjT5_S1B_jjP12ihipStream_tbEUljE_EEESW_SX_SY_S15_S19_S1B_T6_T7_T9_mT8_S1D_bDpT10_ENKUlT_T0_E_clISt17integral_constantIbLb1EES1Q_EEDaS1L_S1M_EUlS1L_E_NS1_11comp_targetILNS1_3genE3ELNS1_11target_archE908ELNS1_3gpuE7ELNS1_3repE0EEENS1_30default_config_static_selectorELNS0_4arch9wavefront6targetE0EEEvSZ_,"axG",@progbits,_ZN7rocprim17ROCPRIM_400000_NS6detail17trampoline_kernelINS0_13select_configILj256ELj13ELNS0_17block_load_methodE3ELS4_3ELS4_3ELNS0_20block_scan_algorithmE0ELj4294967295EEENS1_25partition_config_selectorILNS1_17partition_subalgoE3EjNS0_10empty_typeEbEEZZNS1_14partition_implILS8_3ELb0ES6_jNS0_17counting_iteratorIjlEEPS9_SE_NS0_5tupleIJPjSE_EEENSF_IJSE_SE_EEES9_SG_JZNS1_25segmented_radix_sort_implINS0_14default_configELb1EPK6__halfPSL_PKlPlN2at6native12_GLOBAL__N_18offset_tEEE10hipError_tPvRmT1_PNSt15iterator_traitsISZ_E10value_typeET2_T3_PNS10_IS15_E10value_typeET4_jRbjT5_S1B_jjP12ihipStream_tbEUljE_EEESW_SX_SY_S15_S19_S1B_T6_T7_T9_mT8_S1D_bDpT10_ENKUlT_T0_E_clISt17integral_constantIbLb1EES1Q_EEDaS1L_S1M_EUlS1L_E_NS1_11comp_targetILNS1_3genE3ELNS1_11target_archE908ELNS1_3gpuE7ELNS1_3repE0EEENS1_30default_config_static_selectorELNS0_4arch9wavefront6targetE0EEEvSZ_,comdat
	.globl	_ZN7rocprim17ROCPRIM_400000_NS6detail17trampoline_kernelINS0_13select_configILj256ELj13ELNS0_17block_load_methodE3ELS4_3ELS4_3ELNS0_20block_scan_algorithmE0ELj4294967295EEENS1_25partition_config_selectorILNS1_17partition_subalgoE3EjNS0_10empty_typeEbEEZZNS1_14partition_implILS8_3ELb0ES6_jNS0_17counting_iteratorIjlEEPS9_SE_NS0_5tupleIJPjSE_EEENSF_IJSE_SE_EEES9_SG_JZNS1_25segmented_radix_sort_implINS0_14default_configELb1EPK6__halfPSL_PKlPlN2at6native12_GLOBAL__N_18offset_tEEE10hipError_tPvRmT1_PNSt15iterator_traitsISZ_E10value_typeET2_T3_PNS10_IS15_E10value_typeET4_jRbjT5_S1B_jjP12ihipStream_tbEUljE_EEESW_SX_SY_S15_S19_S1B_T6_T7_T9_mT8_S1D_bDpT10_ENKUlT_T0_E_clISt17integral_constantIbLb1EES1Q_EEDaS1L_S1M_EUlS1L_E_NS1_11comp_targetILNS1_3genE3ELNS1_11target_archE908ELNS1_3gpuE7ELNS1_3repE0EEENS1_30default_config_static_selectorELNS0_4arch9wavefront6targetE0EEEvSZ_ ; -- Begin function _ZN7rocprim17ROCPRIM_400000_NS6detail17trampoline_kernelINS0_13select_configILj256ELj13ELNS0_17block_load_methodE3ELS4_3ELS4_3ELNS0_20block_scan_algorithmE0ELj4294967295EEENS1_25partition_config_selectorILNS1_17partition_subalgoE3EjNS0_10empty_typeEbEEZZNS1_14partition_implILS8_3ELb0ES6_jNS0_17counting_iteratorIjlEEPS9_SE_NS0_5tupleIJPjSE_EEENSF_IJSE_SE_EEES9_SG_JZNS1_25segmented_radix_sort_implINS0_14default_configELb1EPK6__halfPSL_PKlPlN2at6native12_GLOBAL__N_18offset_tEEE10hipError_tPvRmT1_PNSt15iterator_traitsISZ_E10value_typeET2_T3_PNS10_IS15_E10value_typeET4_jRbjT5_S1B_jjP12ihipStream_tbEUljE_EEESW_SX_SY_S15_S19_S1B_T6_T7_T9_mT8_S1D_bDpT10_ENKUlT_T0_E_clISt17integral_constantIbLb1EES1Q_EEDaS1L_S1M_EUlS1L_E_NS1_11comp_targetILNS1_3genE3ELNS1_11target_archE908ELNS1_3gpuE7ELNS1_3repE0EEENS1_30default_config_static_selectorELNS0_4arch9wavefront6targetE0EEEvSZ_
	.p2align	8
	.type	_ZN7rocprim17ROCPRIM_400000_NS6detail17trampoline_kernelINS0_13select_configILj256ELj13ELNS0_17block_load_methodE3ELS4_3ELS4_3ELNS0_20block_scan_algorithmE0ELj4294967295EEENS1_25partition_config_selectorILNS1_17partition_subalgoE3EjNS0_10empty_typeEbEEZZNS1_14partition_implILS8_3ELb0ES6_jNS0_17counting_iteratorIjlEEPS9_SE_NS0_5tupleIJPjSE_EEENSF_IJSE_SE_EEES9_SG_JZNS1_25segmented_radix_sort_implINS0_14default_configELb1EPK6__halfPSL_PKlPlN2at6native12_GLOBAL__N_18offset_tEEE10hipError_tPvRmT1_PNSt15iterator_traitsISZ_E10value_typeET2_T3_PNS10_IS15_E10value_typeET4_jRbjT5_S1B_jjP12ihipStream_tbEUljE_EEESW_SX_SY_S15_S19_S1B_T6_T7_T9_mT8_S1D_bDpT10_ENKUlT_T0_E_clISt17integral_constantIbLb1EES1Q_EEDaS1L_S1M_EUlS1L_E_NS1_11comp_targetILNS1_3genE3ELNS1_11target_archE908ELNS1_3gpuE7ELNS1_3repE0EEENS1_30default_config_static_selectorELNS0_4arch9wavefront6targetE0EEEvSZ_,@function
_ZN7rocprim17ROCPRIM_400000_NS6detail17trampoline_kernelINS0_13select_configILj256ELj13ELNS0_17block_load_methodE3ELS4_3ELS4_3ELNS0_20block_scan_algorithmE0ELj4294967295EEENS1_25partition_config_selectorILNS1_17partition_subalgoE3EjNS0_10empty_typeEbEEZZNS1_14partition_implILS8_3ELb0ES6_jNS0_17counting_iteratorIjlEEPS9_SE_NS0_5tupleIJPjSE_EEENSF_IJSE_SE_EEES9_SG_JZNS1_25segmented_radix_sort_implINS0_14default_configELb1EPK6__halfPSL_PKlPlN2at6native12_GLOBAL__N_18offset_tEEE10hipError_tPvRmT1_PNSt15iterator_traitsISZ_E10value_typeET2_T3_PNS10_IS15_E10value_typeET4_jRbjT5_S1B_jjP12ihipStream_tbEUljE_EEESW_SX_SY_S15_S19_S1B_T6_T7_T9_mT8_S1D_bDpT10_ENKUlT_T0_E_clISt17integral_constantIbLb1EES1Q_EEDaS1L_S1M_EUlS1L_E_NS1_11comp_targetILNS1_3genE3ELNS1_11target_archE908ELNS1_3gpuE7ELNS1_3repE0EEENS1_30default_config_static_selectorELNS0_4arch9wavefront6targetE0EEEvSZ_: ; @_ZN7rocprim17ROCPRIM_400000_NS6detail17trampoline_kernelINS0_13select_configILj256ELj13ELNS0_17block_load_methodE3ELS4_3ELS4_3ELNS0_20block_scan_algorithmE0ELj4294967295EEENS1_25partition_config_selectorILNS1_17partition_subalgoE3EjNS0_10empty_typeEbEEZZNS1_14partition_implILS8_3ELb0ES6_jNS0_17counting_iteratorIjlEEPS9_SE_NS0_5tupleIJPjSE_EEENSF_IJSE_SE_EEES9_SG_JZNS1_25segmented_radix_sort_implINS0_14default_configELb1EPK6__halfPSL_PKlPlN2at6native12_GLOBAL__N_18offset_tEEE10hipError_tPvRmT1_PNSt15iterator_traitsISZ_E10value_typeET2_T3_PNS10_IS15_E10value_typeET4_jRbjT5_S1B_jjP12ihipStream_tbEUljE_EEESW_SX_SY_S15_S19_S1B_T6_T7_T9_mT8_S1D_bDpT10_ENKUlT_T0_E_clISt17integral_constantIbLb1EES1Q_EEDaS1L_S1M_EUlS1L_E_NS1_11comp_targetILNS1_3genE3ELNS1_11target_archE908ELNS1_3gpuE7ELNS1_3repE0EEENS1_30default_config_static_selectorELNS0_4arch9wavefront6targetE0EEEvSZ_
; %bb.0:
	.section	.rodata,"a",@progbits
	.p2align	6, 0x0
	.amdhsa_kernel _ZN7rocprim17ROCPRIM_400000_NS6detail17trampoline_kernelINS0_13select_configILj256ELj13ELNS0_17block_load_methodE3ELS4_3ELS4_3ELNS0_20block_scan_algorithmE0ELj4294967295EEENS1_25partition_config_selectorILNS1_17partition_subalgoE3EjNS0_10empty_typeEbEEZZNS1_14partition_implILS8_3ELb0ES6_jNS0_17counting_iteratorIjlEEPS9_SE_NS0_5tupleIJPjSE_EEENSF_IJSE_SE_EEES9_SG_JZNS1_25segmented_radix_sort_implINS0_14default_configELb1EPK6__halfPSL_PKlPlN2at6native12_GLOBAL__N_18offset_tEEE10hipError_tPvRmT1_PNSt15iterator_traitsISZ_E10value_typeET2_T3_PNS10_IS15_E10value_typeET4_jRbjT5_S1B_jjP12ihipStream_tbEUljE_EEESW_SX_SY_S15_S19_S1B_T6_T7_T9_mT8_S1D_bDpT10_ENKUlT_T0_E_clISt17integral_constantIbLb1EES1Q_EEDaS1L_S1M_EUlS1L_E_NS1_11comp_targetILNS1_3genE3ELNS1_11target_archE908ELNS1_3gpuE7ELNS1_3repE0EEENS1_30default_config_static_selectorELNS0_4arch9wavefront6targetE0EEEvSZ_
		.amdhsa_group_segment_fixed_size 0
		.amdhsa_private_segment_fixed_size 0
		.amdhsa_kernarg_size 152
		.amdhsa_user_sgpr_count 15
		.amdhsa_user_sgpr_dispatch_ptr 0
		.amdhsa_user_sgpr_queue_ptr 0
		.amdhsa_user_sgpr_kernarg_segment_ptr 1
		.amdhsa_user_sgpr_dispatch_id 0
		.amdhsa_user_sgpr_private_segment_size 0
		.amdhsa_wavefront_size32 1
		.amdhsa_uses_dynamic_stack 0
		.amdhsa_enable_private_segment 0
		.amdhsa_system_sgpr_workgroup_id_x 1
		.amdhsa_system_sgpr_workgroup_id_y 0
		.amdhsa_system_sgpr_workgroup_id_z 0
		.amdhsa_system_sgpr_workgroup_info 0
		.amdhsa_system_vgpr_workitem_id 0
		.amdhsa_next_free_vgpr 1
		.amdhsa_next_free_sgpr 1
		.amdhsa_reserve_vcc 0
		.amdhsa_float_round_mode_32 0
		.amdhsa_float_round_mode_16_64 0
		.amdhsa_float_denorm_mode_32 3
		.amdhsa_float_denorm_mode_16_64 3
		.amdhsa_dx10_clamp 1
		.amdhsa_ieee_mode 1
		.amdhsa_fp16_overflow 0
		.amdhsa_workgroup_processor_mode 1
		.amdhsa_memory_ordered 1
		.amdhsa_forward_progress 0
		.amdhsa_shared_vgpr_count 0
		.amdhsa_exception_fp_ieee_invalid_op 0
		.amdhsa_exception_fp_denorm_src 0
		.amdhsa_exception_fp_ieee_div_zero 0
		.amdhsa_exception_fp_ieee_overflow 0
		.amdhsa_exception_fp_ieee_underflow 0
		.amdhsa_exception_fp_ieee_inexact 0
		.amdhsa_exception_int_div_zero 0
	.end_amdhsa_kernel
	.section	.text._ZN7rocprim17ROCPRIM_400000_NS6detail17trampoline_kernelINS0_13select_configILj256ELj13ELNS0_17block_load_methodE3ELS4_3ELS4_3ELNS0_20block_scan_algorithmE0ELj4294967295EEENS1_25partition_config_selectorILNS1_17partition_subalgoE3EjNS0_10empty_typeEbEEZZNS1_14partition_implILS8_3ELb0ES6_jNS0_17counting_iteratorIjlEEPS9_SE_NS0_5tupleIJPjSE_EEENSF_IJSE_SE_EEES9_SG_JZNS1_25segmented_radix_sort_implINS0_14default_configELb1EPK6__halfPSL_PKlPlN2at6native12_GLOBAL__N_18offset_tEEE10hipError_tPvRmT1_PNSt15iterator_traitsISZ_E10value_typeET2_T3_PNS10_IS15_E10value_typeET4_jRbjT5_S1B_jjP12ihipStream_tbEUljE_EEESW_SX_SY_S15_S19_S1B_T6_T7_T9_mT8_S1D_bDpT10_ENKUlT_T0_E_clISt17integral_constantIbLb1EES1Q_EEDaS1L_S1M_EUlS1L_E_NS1_11comp_targetILNS1_3genE3ELNS1_11target_archE908ELNS1_3gpuE7ELNS1_3repE0EEENS1_30default_config_static_selectorELNS0_4arch9wavefront6targetE0EEEvSZ_,"axG",@progbits,_ZN7rocprim17ROCPRIM_400000_NS6detail17trampoline_kernelINS0_13select_configILj256ELj13ELNS0_17block_load_methodE3ELS4_3ELS4_3ELNS0_20block_scan_algorithmE0ELj4294967295EEENS1_25partition_config_selectorILNS1_17partition_subalgoE3EjNS0_10empty_typeEbEEZZNS1_14partition_implILS8_3ELb0ES6_jNS0_17counting_iteratorIjlEEPS9_SE_NS0_5tupleIJPjSE_EEENSF_IJSE_SE_EEES9_SG_JZNS1_25segmented_radix_sort_implINS0_14default_configELb1EPK6__halfPSL_PKlPlN2at6native12_GLOBAL__N_18offset_tEEE10hipError_tPvRmT1_PNSt15iterator_traitsISZ_E10value_typeET2_T3_PNS10_IS15_E10value_typeET4_jRbjT5_S1B_jjP12ihipStream_tbEUljE_EEESW_SX_SY_S15_S19_S1B_T6_T7_T9_mT8_S1D_bDpT10_ENKUlT_T0_E_clISt17integral_constantIbLb1EES1Q_EEDaS1L_S1M_EUlS1L_E_NS1_11comp_targetILNS1_3genE3ELNS1_11target_archE908ELNS1_3gpuE7ELNS1_3repE0EEENS1_30default_config_static_selectorELNS0_4arch9wavefront6targetE0EEEvSZ_,comdat
.Lfunc_end1718:
	.size	_ZN7rocprim17ROCPRIM_400000_NS6detail17trampoline_kernelINS0_13select_configILj256ELj13ELNS0_17block_load_methodE3ELS4_3ELS4_3ELNS0_20block_scan_algorithmE0ELj4294967295EEENS1_25partition_config_selectorILNS1_17partition_subalgoE3EjNS0_10empty_typeEbEEZZNS1_14partition_implILS8_3ELb0ES6_jNS0_17counting_iteratorIjlEEPS9_SE_NS0_5tupleIJPjSE_EEENSF_IJSE_SE_EEES9_SG_JZNS1_25segmented_radix_sort_implINS0_14default_configELb1EPK6__halfPSL_PKlPlN2at6native12_GLOBAL__N_18offset_tEEE10hipError_tPvRmT1_PNSt15iterator_traitsISZ_E10value_typeET2_T3_PNS10_IS15_E10value_typeET4_jRbjT5_S1B_jjP12ihipStream_tbEUljE_EEESW_SX_SY_S15_S19_S1B_T6_T7_T9_mT8_S1D_bDpT10_ENKUlT_T0_E_clISt17integral_constantIbLb1EES1Q_EEDaS1L_S1M_EUlS1L_E_NS1_11comp_targetILNS1_3genE3ELNS1_11target_archE908ELNS1_3gpuE7ELNS1_3repE0EEENS1_30default_config_static_selectorELNS0_4arch9wavefront6targetE0EEEvSZ_, .Lfunc_end1718-_ZN7rocprim17ROCPRIM_400000_NS6detail17trampoline_kernelINS0_13select_configILj256ELj13ELNS0_17block_load_methodE3ELS4_3ELS4_3ELNS0_20block_scan_algorithmE0ELj4294967295EEENS1_25partition_config_selectorILNS1_17partition_subalgoE3EjNS0_10empty_typeEbEEZZNS1_14partition_implILS8_3ELb0ES6_jNS0_17counting_iteratorIjlEEPS9_SE_NS0_5tupleIJPjSE_EEENSF_IJSE_SE_EEES9_SG_JZNS1_25segmented_radix_sort_implINS0_14default_configELb1EPK6__halfPSL_PKlPlN2at6native12_GLOBAL__N_18offset_tEEE10hipError_tPvRmT1_PNSt15iterator_traitsISZ_E10value_typeET2_T3_PNS10_IS15_E10value_typeET4_jRbjT5_S1B_jjP12ihipStream_tbEUljE_EEESW_SX_SY_S15_S19_S1B_T6_T7_T9_mT8_S1D_bDpT10_ENKUlT_T0_E_clISt17integral_constantIbLb1EES1Q_EEDaS1L_S1M_EUlS1L_E_NS1_11comp_targetILNS1_3genE3ELNS1_11target_archE908ELNS1_3gpuE7ELNS1_3repE0EEENS1_30default_config_static_selectorELNS0_4arch9wavefront6targetE0EEEvSZ_
                                        ; -- End function
	.section	.AMDGPU.csdata,"",@progbits
; Kernel info:
; codeLenInByte = 0
; NumSgprs: 0
; NumVgprs: 0
; ScratchSize: 0
; MemoryBound: 0
; FloatMode: 240
; IeeeMode: 1
; LDSByteSize: 0 bytes/workgroup (compile time only)
; SGPRBlocks: 0
; VGPRBlocks: 0
; NumSGPRsForWavesPerEU: 1
; NumVGPRsForWavesPerEU: 1
; Occupancy: 16
; WaveLimiterHint : 0
; COMPUTE_PGM_RSRC2:SCRATCH_EN: 0
; COMPUTE_PGM_RSRC2:USER_SGPR: 15
; COMPUTE_PGM_RSRC2:TRAP_HANDLER: 0
; COMPUTE_PGM_RSRC2:TGID_X_EN: 1
; COMPUTE_PGM_RSRC2:TGID_Y_EN: 0
; COMPUTE_PGM_RSRC2:TGID_Z_EN: 0
; COMPUTE_PGM_RSRC2:TIDIG_COMP_CNT: 0
	.section	.text._ZN7rocprim17ROCPRIM_400000_NS6detail17trampoline_kernelINS0_13select_configILj256ELj13ELNS0_17block_load_methodE3ELS4_3ELS4_3ELNS0_20block_scan_algorithmE0ELj4294967295EEENS1_25partition_config_selectorILNS1_17partition_subalgoE3EjNS0_10empty_typeEbEEZZNS1_14partition_implILS8_3ELb0ES6_jNS0_17counting_iteratorIjlEEPS9_SE_NS0_5tupleIJPjSE_EEENSF_IJSE_SE_EEES9_SG_JZNS1_25segmented_radix_sort_implINS0_14default_configELb1EPK6__halfPSL_PKlPlN2at6native12_GLOBAL__N_18offset_tEEE10hipError_tPvRmT1_PNSt15iterator_traitsISZ_E10value_typeET2_T3_PNS10_IS15_E10value_typeET4_jRbjT5_S1B_jjP12ihipStream_tbEUljE_EEESW_SX_SY_S15_S19_S1B_T6_T7_T9_mT8_S1D_bDpT10_ENKUlT_T0_E_clISt17integral_constantIbLb1EES1Q_EEDaS1L_S1M_EUlS1L_E_NS1_11comp_targetILNS1_3genE2ELNS1_11target_archE906ELNS1_3gpuE6ELNS1_3repE0EEENS1_30default_config_static_selectorELNS0_4arch9wavefront6targetE0EEEvSZ_,"axG",@progbits,_ZN7rocprim17ROCPRIM_400000_NS6detail17trampoline_kernelINS0_13select_configILj256ELj13ELNS0_17block_load_methodE3ELS4_3ELS4_3ELNS0_20block_scan_algorithmE0ELj4294967295EEENS1_25partition_config_selectorILNS1_17partition_subalgoE3EjNS0_10empty_typeEbEEZZNS1_14partition_implILS8_3ELb0ES6_jNS0_17counting_iteratorIjlEEPS9_SE_NS0_5tupleIJPjSE_EEENSF_IJSE_SE_EEES9_SG_JZNS1_25segmented_radix_sort_implINS0_14default_configELb1EPK6__halfPSL_PKlPlN2at6native12_GLOBAL__N_18offset_tEEE10hipError_tPvRmT1_PNSt15iterator_traitsISZ_E10value_typeET2_T3_PNS10_IS15_E10value_typeET4_jRbjT5_S1B_jjP12ihipStream_tbEUljE_EEESW_SX_SY_S15_S19_S1B_T6_T7_T9_mT8_S1D_bDpT10_ENKUlT_T0_E_clISt17integral_constantIbLb1EES1Q_EEDaS1L_S1M_EUlS1L_E_NS1_11comp_targetILNS1_3genE2ELNS1_11target_archE906ELNS1_3gpuE6ELNS1_3repE0EEENS1_30default_config_static_selectorELNS0_4arch9wavefront6targetE0EEEvSZ_,comdat
	.globl	_ZN7rocprim17ROCPRIM_400000_NS6detail17trampoline_kernelINS0_13select_configILj256ELj13ELNS0_17block_load_methodE3ELS4_3ELS4_3ELNS0_20block_scan_algorithmE0ELj4294967295EEENS1_25partition_config_selectorILNS1_17partition_subalgoE3EjNS0_10empty_typeEbEEZZNS1_14partition_implILS8_3ELb0ES6_jNS0_17counting_iteratorIjlEEPS9_SE_NS0_5tupleIJPjSE_EEENSF_IJSE_SE_EEES9_SG_JZNS1_25segmented_radix_sort_implINS0_14default_configELb1EPK6__halfPSL_PKlPlN2at6native12_GLOBAL__N_18offset_tEEE10hipError_tPvRmT1_PNSt15iterator_traitsISZ_E10value_typeET2_T3_PNS10_IS15_E10value_typeET4_jRbjT5_S1B_jjP12ihipStream_tbEUljE_EEESW_SX_SY_S15_S19_S1B_T6_T7_T9_mT8_S1D_bDpT10_ENKUlT_T0_E_clISt17integral_constantIbLb1EES1Q_EEDaS1L_S1M_EUlS1L_E_NS1_11comp_targetILNS1_3genE2ELNS1_11target_archE906ELNS1_3gpuE6ELNS1_3repE0EEENS1_30default_config_static_selectorELNS0_4arch9wavefront6targetE0EEEvSZ_ ; -- Begin function _ZN7rocprim17ROCPRIM_400000_NS6detail17trampoline_kernelINS0_13select_configILj256ELj13ELNS0_17block_load_methodE3ELS4_3ELS4_3ELNS0_20block_scan_algorithmE0ELj4294967295EEENS1_25partition_config_selectorILNS1_17partition_subalgoE3EjNS0_10empty_typeEbEEZZNS1_14partition_implILS8_3ELb0ES6_jNS0_17counting_iteratorIjlEEPS9_SE_NS0_5tupleIJPjSE_EEENSF_IJSE_SE_EEES9_SG_JZNS1_25segmented_radix_sort_implINS0_14default_configELb1EPK6__halfPSL_PKlPlN2at6native12_GLOBAL__N_18offset_tEEE10hipError_tPvRmT1_PNSt15iterator_traitsISZ_E10value_typeET2_T3_PNS10_IS15_E10value_typeET4_jRbjT5_S1B_jjP12ihipStream_tbEUljE_EEESW_SX_SY_S15_S19_S1B_T6_T7_T9_mT8_S1D_bDpT10_ENKUlT_T0_E_clISt17integral_constantIbLb1EES1Q_EEDaS1L_S1M_EUlS1L_E_NS1_11comp_targetILNS1_3genE2ELNS1_11target_archE906ELNS1_3gpuE6ELNS1_3repE0EEENS1_30default_config_static_selectorELNS0_4arch9wavefront6targetE0EEEvSZ_
	.p2align	8
	.type	_ZN7rocprim17ROCPRIM_400000_NS6detail17trampoline_kernelINS0_13select_configILj256ELj13ELNS0_17block_load_methodE3ELS4_3ELS4_3ELNS0_20block_scan_algorithmE0ELj4294967295EEENS1_25partition_config_selectorILNS1_17partition_subalgoE3EjNS0_10empty_typeEbEEZZNS1_14partition_implILS8_3ELb0ES6_jNS0_17counting_iteratorIjlEEPS9_SE_NS0_5tupleIJPjSE_EEENSF_IJSE_SE_EEES9_SG_JZNS1_25segmented_radix_sort_implINS0_14default_configELb1EPK6__halfPSL_PKlPlN2at6native12_GLOBAL__N_18offset_tEEE10hipError_tPvRmT1_PNSt15iterator_traitsISZ_E10value_typeET2_T3_PNS10_IS15_E10value_typeET4_jRbjT5_S1B_jjP12ihipStream_tbEUljE_EEESW_SX_SY_S15_S19_S1B_T6_T7_T9_mT8_S1D_bDpT10_ENKUlT_T0_E_clISt17integral_constantIbLb1EES1Q_EEDaS1L_S1M_EUlS1L_E_NS1_11comp_targetILNS1_3genE2ELNS1_11target_archE906ELNS1_3gpuE6ELNS1_3repE0EEENS1_30default_config_static_selectorELNS0_4arch9wavefront6targetE0EEEvSZ_,@function
_ZN7rocprim17ROCPRIM_400000_NS6detail17trampoline_kernelINS0_13select_configILj256ELj13ELNS0_17block_load_methodE3ELS4_3ELS4_3ELNS0_20block_scan_algorithmE0ELj4294967295EEENS1_25partition_config_selectorILNS1_17partition_subalgoE3EjNS0_10empty_typeEbEEZZNS1_14partition_implILS8_3ELb0ES6_jNS0_17counting_iteratorIjlEEPS9_SE_NS0_5tupleIJPjSE_EEENSF_IJSE_SE_EEES9_SG_JZNS1_25segmented_radix_sort_implINS0_14default_configELb1EPK6__halfPSL_PKlPlN2at6native12_GLOBAL__N_18offset_tEEE10hipError_tPvRmT1_PNSt15iterator_traitsISZ_E10value_typeET2_T3_PNS10_IS15_E10value_typeET4_jRbjT5_S1B_jjP12ihipStream_tbEUljE_EEESW_SX_SY_S15_S19_S1B_T6_T7_T9_mT8_S1D_bDpT10_ENKUlT_T0_E_clISt17integral_constantIbLb1EES1Q_EEDaS1L_S1M_EUlS1L_E_NS1_11comp_targetILNS1_3genE2ELNS1_11target_archE906ELNS1_3gpuE6ELNS1_3repE0EEENS1_30default_config_static_selectorELNS0_4arch9wavefront6targetE0EEEvSZ_: ; @_ZN7rocprim17ROCPRIM_400000_NS6detail17trampoline_kernelINS0_13select_configILj256ELj13ELNS0_17block_load_methodE3ELS4_3ELS4_3ELNS0_20block_scan_algorithmE0ELj4294967295EEENS1_25partition_config_selectorILNS1_17partition_subalgoE3EjNS0_10empty_typeEbEEZZNS1_14partition_implILS8_3ELb0ES6_jNS0_17counting_iteratorIjlEEPS9_SE_NS0_5tupleIJPjSE_EEENSF_IJSE_SE_EEES9_SG_JZNS1_25segmented_radix_sort_implINS0_14default_configELb1EPK6__halfPSL_PKlPlN2at6native12_GLOBAL__N_18offset_tEEE10hipError_tPvRmT1_PNSt15iterator_traitsISZ_E10value_typeET2_T3_PNS10_IS15_E10value_typeET4_jRbjT5_S1B_jjP12ihipStream_tbEUljE_EEESW_SX_SY_S15_S19_S1B_T6_T7_T9_mT8_S1D_bDpT10_ENKUlT_T0_E_clISt17integral_constantIbLb1EES1Q_EEDaS1L_S1M_EUlS1L_E_NS1_11comp_targetILNS1_3genE2ELNS1_11target_archE906ELNS1_3gpuE6ELNS1_3repE0EEENS1_30default_config_static_selectorELNS0_4arch9wavefront6targetE0EEEvSZ_
; %bb.0:
	.section	.rodata,"a",@progbits
	.p2align	6, 0x0
	.amdhsa_kernel _ZN7rocprim17ROCPRIM_400000_NS6detail17trampoline_kernelINS0_13select_configILj256ELj13ELNS0_17block_load_methodE3ELS4_3ELS4_3ELNS0_20block_scan_algorithmE0ELj4294967295EEENS1_25partition_config_selectorILNS1_17partition_subalgoE3EjNS0_10empty_typeEbEEZZNS1_14partition_implILS8_3ELb0ES6_jNS0_17counting_iteratorIjlEEPS9_SE_NS0_5tupleIJPjSE_EEENSF_IJSE_SE_EEES9_SG_JZNS1_25segmented_radix_sort_implINS0_14default_configELb1EPK6__halfPSL_PKlPlN2at6native12_GLOBAL__N_18offset_tEEE10hipError_tPvRmT1_PNSt15iterator_traitsISZ_E10value_typeET2_T3_PNS10_IS15_E10value_typeET4_jRbjT5_S1B_jjP12ihipStream_tbEUljE_EEESW_SX_SY_S15_S19_S1B_T6_T7_T9_mT8_S1D_bDpT10_ENKUlT_T0_E_clISt17integral_constantIbLb1EES1Q_EEDaS1L_S1M_EUlS1L_E_NS1_11comp_targetILNS1_3genE2ELNS1_11target_archE906ELNS1_3gpuE6ELNS1_3repE0EEENS1_30default_config_static_selectorELNS0_4arch9wavefront6targetE0EEEvSZ_
		.amdhsa_group_segment_fixed_size 0
		.amdhsa_private_segment_fixed_size 0
		.amdhsa_kernarg_size 152
		.amdhsa_user_sgpr_count 15
		.amdhsa_user_sgpr_dispatch_ptr 0
		.amdhsa_user_sgpr_queue_ptr 0
		.amdhsa_user_sgpr_kernarg_segment_ptr 1
		.amdhsa_user_sgpr_dispatch_id 0
		.amdhsa_user_sgpr_private_segment_size 0
		.amdhsa_wavefront_size32 1
		.amdhsa_uses_dynamic_stack 0
		.amdhsa_enable_private_segment 0
		.amdhsa_system_sgpr_workgroup_id_x 1
		.amdhsa_system_sgpr_workgroup_id_y 0
		.amdhsa_system_sgpr_workgroup_id_z 0
		.amdhsa_system_sgpr_workgroup_info 0
		.amdhsa_system_vgpr_workitem_id 0
		.amdhsa_next_free_vgpr 1
		.amdhsa_next_free_sgpr 1
		.amdhsa_reserve_vcc 0
		.amdhsa_float_round_mode_32 0
		.amdhsa_float_round_mode_16_64 0
		.amdhsa_float_denorm_mode_32 3
		.amdhsa_float_denorm_mode_16_64 3
		.amdhsa_dx10_clamp 1
		.amdhsa_ieee_mode 1
		.amdhsa_fp16_overflow 0
		.amdhsa_workgroup_processor_mode 1
		.amdhsa_memory_ordered 1
		.amdhsa_forward_progress 0
		.amdhsa_shared_vgpr_count 0
		.amdhsa_exception_fp_ieee_invalid_op 0
		.amdhsa_exception_fp_denorm_src 0
		.amdhsa_exception_fp_ieee_div_zero 0
		.amdhsa_exception_fp_ieee_overflow 0
		.amdhsa_exception_fp_ieee_underflow 0
		.amdhsa_exception_fp_ieee_inexact 0
		.amdhsa_exception_int_div_zero 0
	.end_amdhsa_kernel
	.section	.text._ZN7rocprim17ROCPRIM_400000_NS6detail17trampoline_kernelINS0_13select_configILj256ELj13ELNS0_17block_load_methodE3ELS4_3ELS4_3ELNS0_20block_scan_algorithmE0ELj4294967295EEENS1_25partition_config_selectorILNS1_17partition_subalgoE3EjNS0_10empty_typeEbEEZZNS1_14partition_implILS8_3ELb0ES6_jNS0_17counting_iteratorIjlEEPS9_SE_NS0_5tupleIJPjSE_EEENSF_IJSE_SE_EEES9_SG_JZNS1_25segmented_radix_sort_implINS0_14default_configELb1EPK6__halfPSL_PKlPlN2at6native12_GLOBAL__N_18offset_tEEE10hipError_tPvRmT1_PNSt15iterator_traitsISZ_E10value_typeET2_T3_PNS10_IS15_E10value_typeET4_jRbjT5_S1B_jjP12ihipStream_tbEUljE_EEESW_SX_SY_S15_S19_S1B_T6_T7_T9_mT8_S1D_bDpT10_ENKUlT_T0_E_clISt17integral_constantIbLb1EES1Q_EEDaS1L_S1M_EUlS1L_E_NS1_11comp_targetILNS1_3genE2ELNS1_11target_archE906ELNS1_3gpuE6ELNS1_3repE0EEENS1_30default_config_static_selectorELNS0_4arch9wavefront6targetE0EEEvSZ_,"axG",@progbits,_ZN7rocprim17ROCPRIM_400000_NS6detail17trampoline_kernelINS0_13select_configILj256ELj13ELNS0_17block_load_methodE3ELS4_3ELS4_3ELNS0_20block_scan_algorithmE0ELj4294967295EEENS1_25partition_config_selectorILNS1_17partition_subalgoE3EjNS0_10empty_typeEbEEZZNS1_14partition_implILS8_3ELb0ES6_jNS0_17counting_iteratorIjlEEPS9_SE_NS0_5tupleIJPjSE_EEENSF_IJSE_SE_EEES9_SG_JZNS1_25segmented_radix_sort_implINS0_14default_configELb1EPK6__halfPSL_PKlPlN2at6native12_GLOBAL__N_18offset_tEEE10hipError_tPvRmT1_PNSt15iterator_traitsISZ_E10value_typeET2_T3_PNS10_IS15_E10value_typeET4_jRbjT5_S1B_jjP12ihipStream_tbEUljE_EEESW_SX_SY_S15_S19_S1B_T6_T7_T9_mT8_S1D_bDpT10_ENKUlT_T0_E_clISt17integral_constantIbLb1EES1Q_EEDaS1L_S1M_EUlS1L_E_NS1_11comp_targetILNS1_3genE2ELNS1_11target_archE906ELNS1_3gpuE6ELNS1_3repE0EEENS1_30default_config_static_selectorELNS0_4arch9wavefront6targetE0EEEvSZ_,comdat
.Lfunc_end1719:
	.size	_ZN7rocprim17ROCPRIM_400000_NS6detail17trampoline_kernelINS0_13select_configILj256ELj13ELNS0_17block_load_methodE3ELS4_3ELS4_3ELNS0_20block_scan_algorithmE0ELj4294967295EEENS1_25partition_config_selectorILNS1_17partition_subalgoE3EjNS0_10empty_typeEbEEZZNS1_14partition_implILS8_3ELb0ES6_jNS0_17counting_iteratorIjlEEPS9_SE_NS0_5tupleIJPjSE_EEENSF_IJSE_SE_EEES9_SG_JZNS1_25segmented_radix_sort_implINS0_14default_configELb1EPK6__halfPSL_PKlPlN2at6native12_GLOBAL__N_18offset_tEEE10hipError_tPvRmT1_PNSt15iterator_traitsISZ_E10value_typeET2_T3_PNS10_IS15_E10value_typeET4_jRbjT5_S1B_jjP12ihipStream_tbEUljE_EEESW_SX_SY_S15_S19_S1B_T6_T7_T9_mT8_S1D_bDpT10_ENKUlT_T0_E_clISt17integral_constantIbLb1EES1Q_EEDaS1L_S1M_EUlS1L_E_NS1_11comp_targetILNS1_3genE2ELNS1_11target_archE906ELNS1_3gpuE6ELNS1_3repE0EEENS1_30default_config_static_selectorELNS0_4arch9wavefront6targetE0EEEvSZ_, .Lfunc_end1719-_ZN7rocprim17ROCPRIM_400000_NS6detail17trampoline_kernelINS0_13select_configILj256ELj13ELNS0_17block_load_methodE3ELS4_3ELS4_3ELNS0_20block_scan_algorithmE0ELj4294967295EEENS1_25partition_config_selectorILNS1_17partition_subalgoE3EjNS0_10empty_typeEbEEZZNS1_14partition_implILS8_3ELb0ES6_jNS0_17counting_iteratorIjlEEPS9_SE_NS0_5tupleIJPjSE_EEENSF_IJSE_SE_EEES9_SG_JZNS1_25segmented_radix_sort_implINS0_14default_configELb1EPK6__halfPSL_PKlPlN2at6native12_GLOBAL__N_18offset_tEEE10hipError_tPvRmT1_PNSt15iterator_traitsISZ_E10value_typeET2_T3_PNS10_IS15_E10value_typeET4_jRbjT5_S1B_jjP12ihipStream_tbEUljE_EEESW_SX_SY_S15_S19_S1B_T6_T7_T9_mT8_S1D_bDpT10_ENKUlT_T0_E_clISt17integral_constantIbLb1EES1Q_EEDaS1L_S1M_EUlS1L_E_NS1_11comp_targetILNS1_3genE2ELNS1_11target_archE906ELNS1_3gpuE6ELNS1_3repE0EEENS1_30default_config_static_selectorELNS0_4arch9wavefront6targetE0EEEvSZ_
                                        ; -- End function
	.section	.AMDGPU.csdata,"",@progbits
; Kernel info:
; codeLenInByte = 0
; NumSgprs: 0
; NumVgprs: 0
; ScratchSize: 0
; MemoryBound: 0
; FloatMode: 240
; IeeeMode: 1
; LDSByteSize: 0 bytes/workgroup (compile time only)
; SGPRBlocks: 0
; VGPRBlocks: 0
; NumSGPRsForWavesPerEU: 1
; NumVGPRsForWavesPerEU: 1
; Occupancy: 16
; WaveLimiterHint : 0
; COMPUTE_PGM_RSRC2:SCRATCH_EN: 0
; COMPUTE_PGM_RSRC2:USER_SGPR: 15
; COMPUTE_PGM_RSRC2:TRAP_HANDLER: 0
; COMPUTE_PGM_RSRC2:TGID_X_EN: 1
; COMPUTE_PGM_RSRC2:TGID_Y_EN: 0
; COMPUTE_PGM_RSRC2:TGID_Z_EN: 0
; COMPUTE_PGM_RSRC2:TIDIG_COMP_CNT: 0
	.section	.text._ZN7rocprim17ROCPRIM_400000_NS6detail17trampoline_kernelINS0_13select_configILj256ELj13ELNS0_17block_load_methodE3ELS4_3ELS4_3ELNS0_20block_scan_algorithmE0ELj4294967295EEENS1_25partition_config_selectorILNS1_17partition_subalgoE3EjNS0_10empty_typeEbEEZZNS1_14partition_implILS8_3ELb0ES6_jNS0_17counting_iteratorIjlEEPS9_SE_NS0_5tupleIJPjSE_EEENSF_IJSE_SE_EEES9_SG_JZNS1_25segmented_radix_sort_implINS0_14default_configELb1EPK6__halfPSL_PKlPlN2at6native12_GLOBAL__N_18offset_tEEE10hipError_tPvRmT1_PNSt15iterator_traitsISZ_E10value_typeET2_T3_PNS10_IS15_E10value_typeET4_jRbjT5_S1B_jjP12ihipStream_tbEUljE_EEESW_SX_SY_S15_S19_S1B_T6_T7_T9_mT8_S1D_bDpT10_ENKUlT_T0_E_clISt17integral_constantIbLb1EES1Q_EEDaS1L_S1M_EUlS1L_E_NS1_11comp_targetILNS1_3genE10ELNS1_11target_archE1200ELNS1_3gpuE4ELNS1_3repE0EEENS1_30default_config_static_selectorELNS0_4arch9wavefront6targetE0EEEvSZ_,"axG",@progbits,_ZN7rocprim17ROCPRIM_400000_NS6detail17trampoline_kernelINS0_13select_configILj256ELj13ELNS0_17block_load_methodE3ELS4_3ELS4_3ELNS0_20block_scan_algorithmE0ELj4294967295EEENS1_25partition_config_selectorILNS1_17partition_subalgoE3EjNS0_10empty_typeEbEEZZNS1_14partition_implILS8_3ELb0ES6_jNS0_17counting_iteratorIjlEEPS9_SE_NS0_5tupleIJPjSE_EEENSF_IJSE_SE_EEES9_SG_JZNS1_25segmented_radix_sort_implINS0_14default_configELb1EPK6__halfPSL_PKlPlN2at6native12_GLOBAL__N_18offset_tEEE10hipError_tPvRmT1_PNSt15iterator_traitsISZ_E10value_typeET2_T3_PNS10_IS15_E10value_typeET4_jRbjT5_S1B_jjP12ihipStream_tbEUljE_EEESW_SX_SY_S15_S19_S1B_T6_T7_T9_mT8_S1D_bDpT10_ENKUlT_T0_E_clISt17integral_constantIbLb1EES1Q_EEDaS1L_S1M_EUlS1L_E_NS1_11comp_targetILNS1_3genE10ELNS1_11target_archE1200ELNS1_3gpuE4ELNS1_3repE0EEENS1_30default_config_static_selectorELNS0_4arch9wavefront6targetE0EEEvSZ_,comdat
	.globl	_ZN7rocprim17ROCPRIM_400000_NS6detail17trampoline_kernelINS0_13select_configILj256ELj13ELNS0_17block_load_methodE3ELS4_3ELS4_3ELNS0_20block_scan_algorithmE0ELj4294967295EEENS1_25partition_config_selectorILNS1_17partition_subalgoE3EjNS0_10empty_typeEbEEZZNS1_14partition_implILS8_3ELb0ES6_jNS0_17counting_iteratorIjlEEPS9_SE_NS0_5tupleIJPjSE_EEENSF_IJSE_SE_EEES9_SG_JZNS1_25segmented_radix_sort_implINS0_14default_configELb1EPK6__halfPSL_PKlPlN2at6native12_GLOBAL__N_18offset_tEEE10hipError_tPvRmT1_PNSt15iterator_traitsISZ_E10value_typeET2_T3_PNS10_IS15_E10value_typeET4_jRbjT5_S1B_jjP12ihipStream_tbEUljE_EEESW_SX_SY_S15_S19_S1B_T6_T7_T9_mT8_S1D_bDpT10_ENKUlT_T0_E_clISt17integral_constantIbLb1EES1Q_EEDaS1L_S1M_EUlS1L_E_NS1_11comp_targetILNS1_3genE10ELNS1_11target_archE1200ELNS1_3gpuE4ELNS1_3repE0EEENS1_30default_config_static_selectorELNS0_4arch9wavefront6targetE0EEEvSZ_ ; -- Begin function _ZN7rocprim17ROCPRIM_400000_NS6detail17trampoline_kernelINS0_13select_configILj256ELj13ELNS0_17block_load_methodE3ELS4_3ELS4_3ELNS0_20block_scan_algorithmE0ELj4294967295EEENS1_25partition_config_selectorILNS1_17partition_subalgoE3EjNS0_10empty_typeEbEEZZNS1_14partition_implILS8_3ELb0ES6_jNS0_17counting_iteratorIjlEEPS9_SE_NS0_5tupleIJPjSE_EEENSF_IJSE_SE_EEES9_SG_JZNS1_25segmented_radix_sort_implINS0_14default_configELb1EPK6__halfPSL_PKlPlN2at6native12_GLOBAL__N_18offset_tEEE10hipError_tPvRmT1_PNSt15iterator_traitsISZ_E10value_typeET2_T3_PNS10_IS15_E10value_typeET4_jRbjT5_S1B_jjP12ihipStream_tbEUljE_EEESW_SX_SY_S15_S19_S1B_T6_T7_T9_mT8_S1D_bDpT10_ENKUlT_T0_E_clISt17integral_constantIbLb1EES1Q_EEDaS1L_S1M_EUlS1L_E_NS1_11comp_targetILNS1_3genE10ELNS1_11target_archE1200ELNS1_3gpuE4ELNS1_3repE0EEENS1_30default_config_static_selectorELNS0_4arch9wavefront6targetE0EEEvSZ_
	.p2align	8
	.type	_ZN7rocprim17ROCPRIM_400000_NS6detail17trampoline_kernelINS0_13select_configILj256ELj13ELNS0_17block_load_methodE3ELS4_3ELS4_3ELNS0_20block_scan_algorithmE0ELj4294967295EEENS1_25partition_config_selectorILNS1_17partition_subalgoE3EjNS0_10empty_typeEbEEZZNS1_14partition_implILS8_3ELb0ES6_jNS0_17counting_iteratorIjlEEPS9_SE_NS0_5tupleIJPjSE_EEENSF_IJSE_SE_EEES9_SG_JZNS1_25segmented_radix_sort_implINS0_14default_configELb1EPK6__halfPSL_PKlPlN2at6native12_GLOBAL__N_18offset_tEEE10hipError_tPvRmT1_PNSt15iterator_traitsISZ_E10value_typeET2_T3_PNS10_IS15_E10value_typeET4_jRbjT5_S1B_jjP12ihipStream_tbEUljE_EEESW_SX_SY_S15_S19_S1B_T6_T7_T9_mT8_S1D_bDpT10_ENKUlT_T0_E_clISt17integral_constantIbLb1EES1Q_EEDaS1L_S1M_EUlS1L_E_NS1_11comp_targetILNS1_3genE10ELNS1_11target_archE1200ELNS1_3gpuE4ELNS1_3repE0EEENS1_30default_config_static_selectorELNS0_4arch9wavefront6targetE0EEEvSZ_,@function
_ZN7rocprim17ROCPRIM_400000_NS6detail17trampoline_kernelINS0_13select_configILj256ELj13ELNS0_17block_load_methodE3ELS4_3ELS4_3ELNS0_20block_scan_algorithmE0ELj4294967295EEENS1_25partition_config_selectorILNS1_17partition_subalgoE3EjNS0_10empty_typeEbEEZZNS1_14partition_implILS8_3ELb0ES6_jNS0_17counting_iteratorIjlEEPS9_SE_NS0_5tupleIJPjSE_EEENSF_IJSE_SE_EEES9_SG_JZNS1_25segmented_radix_sort_implINS0_14default_configELb1EPK6__halfPSL_PKlPlN2at6native12_GLOBAL__N_18offset_tEEE10hipError_tPvRmT1_PNSt15iterator_traitsISZ_E10value_typeET2_T3_PNS10_IS15_E10value_typeET4_jRbjT5_S1B_jjP12ihipStream_tbEUljE_EEESW_SX_SY_S15_S19_S1B_T6_T7_T9_mT8_S1D_bDpT10_ENKUlT_T0_E_clISt17integral_constantIbLb1EES1Q_EEDaS1L_S1M_EUlS1L_E_NS1_11comp_targetILNS1_3genE10ELNS1_11target_archE1200ELNS1_3gpuE4ELNS1_3repE0EEENS1_30default_config_static_selectorELNS0_4arch9wavefront6targetE0EEEvSZ_: ; @_ZN7rocprim17ROCPRIM_400000_NS6detail17trampoline_kernelINS0_13select_configILj256ELj13ELNS0_17block_load_methodE3ELS4_3ELS4_3ELNS0_20block_scan_algorithmE0ELj4294967295EEENS1_25partition_config_selectorILNS1_17partition_subalgoE3EjNS0_10empty_typeEbEEZZNS1_14partition_implILS8_3ELb0ES6_jNS0_17counting_iteratorIjlEEPS9_SE_NS0_5tupleIJPjSE_EEENSF_IJSE_SE_EEES9_SG_JZNS1_25segmented_radix_sort_implINS0_14default_configELb1EPK6__halfPSL_PKlPlN2at6native12_GLOBAL__N_18offset_tEEE10hipError_tPvRmT1_PNSt15iterator_traitsISZ_E10value_typeET2_T3_PNS10_IS15_E10value_typeET4_jRbjT5_S1B_jjP12ihipStream_tbEUljE_EEESW_SX_SY_S15_S19_S1B_T6_T7_T9_mT8_S1D_bDpT10_ENKUlT_T0_E_clISt17integral_constantIbLb1EES1Q_EEDaS1L_S1M_EUlS1L_E_NS1_11comp_targetILNS1_3genE10ELNS1_11target_archE1200ELNS1_3gpuE4ELNS1_3repE0EEENS1_30default_config_static_selectorELNS0_4arch9wavefront6targetE0EEEvSZ_
; %bb.0:
	.section	.rodata,"a",@progbits
	.p2align	6, 0x0
	.amdhsa_kernel _ZN7rocprim17ROCPRIM_400000_NS6detail17trampoline_kernelINS0_13select_configILj256ELj13ELNS0_17block_load_methodE3ELS4_3ELS4_3ELNS0_20block_scan_algorithmE0ELj4294967295EEENS1_25partition_config_selectorILNS1_17partition_subalgoE3EjNS0_10empty_typeEbEEZZNS1_14partition_implILS8_3ELb0ES6_jNS0_17counting_iteratorIjlEEPS9_SE_NS0_5tupleIJPjSE_EEENSF_IJSE_SE_EEES9_SG_JZNS1_25segmented_radix_sort_implINS0_14default_configELb1EPK6__halfPSL_PKlPlN2at6native12_GLOBAL__N_18offset_tEEE10hipError_tPvRmT1_PNSt15iterator_traitsISZ_E10value_typeET2_T3_PNS10_IS15_E10value_typeET4_jRbjT5_S1B_jjP12ihipStream_tbEUljE_EEESW_SX_SY_S15_S19_S1B_T6_T7_T9_mT8_S1D_bDpT10_ENKUlT_T0_E_clISt17integral_constantIbLb1EES1Q_EEDaS1L_S1M_EUlS1L_E_NS1_11comp_targetILNS1_3genE10ELNS1_11target_archE1200ELNS1_3gpuE4ELNS1_3repE0EEENS1_30default_config_static_selectorELNS0_4arch9wavefront6targetE0EEEvSZ_
		.amdhsa_group_segment_fixed_size 0
		.amdhsa_private_segment_fixed_size 0
		.amdhsa_kernarg_size 152
		.amdhsa_user_sgpr_count 15
		.amdhsa_user_sgpr_dispatch_ptr 0
		.amdhsa_user_sgpr_queue_ptr 0
		.amdhsa_user_sgpr_kernarg_segment_ptr 1
		.amdhsa_user_sgpr_dispatch_id 0
		.amdhsa_user_sgpr_private_segment_size 0
		.amdhsa_wavefront_size32 1
		.amdhsa_uses_dynamic_stack 0
		.amdhsa_enable_private_segment 0
		.amdhsa_system_sgpr_workgroup_id_x 1
		.amdhsa_system_sgpr_workgroup_id_y 0
		.amdhsa_system_sgpr_workgroup_id_z 0
		.amdhsa_system_sgpr_workgroup_info 0
		.amdhsa_system_vgpr_workitem_id 0
		.amdhsa_next_free_vgpr 1
		.amdhsa_next_free_sgpr 1
		.amdhsa_reserve_vcc 0
		.amdhsa_float_round_mode_32 0
		.amdhsa_float_round_mode_16_64 0
		.amdhsa_float_denorm_mode_32 3
		.amdhsa_float_denorm_mode_16_64 3
		.amdhsa_dx10_clamp 1
		.amdhsa_ieee_mode 1
		.amdhsa_fp16_overflow 0
		.amdhsa_workgroup_processor_mode 1
		.amdhsa_memory_ordered 1
		.amdhsa_forward_progress 0
		.amdhsa_shared_vgpr_count 0
		.amdhsa_exception_fp_ieee_invalid_op 0
		.amdhsa_exception_fp_denorm_src 0
		.amdhsa_exception_fp_ieee_div_zero 0
		.amdhsa_exception_fp_ieee_overflow 0
		.amdhsa_exception_fp_ieee_underflow 0
		.amdhsa_exception_fp_ieee_inexact 0
		.amdhsa_exception_int_div_zero 0
	.end_amdhsa_kernel
	.section	.text._ZN7rocprim17ROCPRIM_400000_NS6detail17trampoline_kernelINS0_13select_configILj256ELj13ELNS0_17block_load_methodE3ELS4_3ELS4_3ELNS0_20block_scan_algorithmE0ELj4294967295EEENS1_25partition_config_selectorILNS1_17partition_subalgoE3EjNS0_10empty_typeEbEEZZNS1_14partition_implILS8_3ELb0ES6_jNS0_17counting_iteratorIjlEEPS9_SE_NS0_5tupleIJPjSE_EEENSF_IJSE_SE_EEES9_SG_JZNS1_25segmented_radix_sort_implINS0_14default_configELb1EPK6__halfPSL_PKlPlN2at6native12_GLOBAL__N_18offset_tEEE10hipError_tPvRmT1_PNSt15iterator_traitsISZ_E10value_typeET2_T3_PNS10_IS15_E10value_typeET4_jRbjT5_S1B_jjP12ihipStream_tbEUljE_EEESW_SX_SY_S15_S19_S1B_T6_T7_T9_mT8_S1D_bDpT10_ENKUlT_T0_E_clISt17integral_constantIbLb1EES1Q_EEDaS1L_S1M_EUlS1L_E_NS1_11comp_targetILNS1_3genE10ELNS1_11target_archE1200ELNS1_3gpuE4ELNS1_3repE0EEENS1_30default_config_static_selectorELNS0_4arch9wavefront6targetE0EEEvSZ_,"axG",@progbits,_ZN7rocprim17ROCPRIM_400000_NS6detail17trampoline_kernelINS0_13select_configILj256ELj13ELNS0_17block_load_methodE3ELS4_3ELS4_3ELNS0_20block_scan_algorithmE0ELj4294967295EEENS1_25partition_config_selectorILNS1_17partition_subalgoE3EjNS0_10empty_typeEbEEZZNS1_14partition_implILS8_3ELb0ES6_jNS0_17counting_iteratorIjlEEPS9_SE_NS0_5tupleIJPjSE_EEENSF_IJSE_SE_EEES9_SG_JZNS1_25segmented_radix_sort_implINS0_14default_configELb1EPK6__halfPSL_PKlPlN2at6native12_GLOBAL__N_18offset_tEEE10hipError_tPvRmT1_PNSt15iterator_traitsISZ_E10value_typeET2_T3_PNS10_IS15_E10value_typeET4_jRbjT5_S1B_jjP12ihipStream_tbEUljE_EEESW_SX_SY_S15_S19_S1B_T6_T7_T9_mT8_S1D_bDpT10_ENKUlT_T0_E_clISt17integral_constantIbLb1EES1Q_EEDaS1L_S1M_EUlS1L_E_NS1_11comp_targetILNS1_3genE10ELNS1_11target_archE1200ELNS1_3gpuE4ELNS1_3repE0EEENS1_30default_config_static_selectorELNS0_4arch9wavefront6targetE0EEEvSZ_,comdat
.Lfunc_end1720:
	.size	_ZN7rocprim17ROCPRIM_400000_NS6detail17trampoline_kernelINS0_13select_configILj256ELj13ELNS0_17block_load_methodE3ELS4_3ELS4_3ELNS0_20block_scan_algorithmE0ELj4294967295EEENS1_25partition_config_selectorILNS1_17partition_subalgoE3EjNS0_10empty_typeEbEEZZNS1_14partition_implILS8_3ELb0ES6_jNS0_17counting_iteratorIjlEEPS9_SE_NS0_5tupleIJPjSE_EEENSF_IJSE_SE_EEES9_SG_JZNS1_25segmented_radix_sort_implINS0_14default_configELb1EPK6__halfPSL_PKlPlN2at6native12_GLOBAL__N_18offset_tEEE10hipError_tPvRmT1_PNSt15iterator_traitsISZ_E10value_typeET2_T3_PNS10_IS15_E10value_typeET4_jRbjT5_S1B_jjP12ihipStream_tbEUljE_EEESW_SX_SY_S15_S19_S1B_T6_T7_T9_mT8_S1D_bDpT10_ENKUlT_T0_E_clISt17integral_constantIbLb1EES1Q_EEDaS1L_S1M_EUlS1L_E_NS1_11comp_targetILNS1_3genE10ELNS1_11target_archE1200ELNS1_3gpuE4ELNS1_3repE0EEENS1_30default_config_static_selectorELNS0_4arch9wavefront6targetE0EEEvSZ_, .Lfunc_end1720-_ZN7rocprim17ROCPRIM_400000_NS6detail17trampoline_kernelINS0_13select_configILj256ELj13ELNS0_17block_load_methodE3ELS4_3ELS4_3ELNS0_20block_scan_algorithmE0ELj4294967295EEENS1_25partition_config_selectorILNS1_17partition_subalgoE3EjNS0_10empty_typeEbEEZZNS1_14partition_implILS8_3ELb0ES6_jNS0_17counting_iteratorIjlEEPS9_SE_NS0_5tupleIJPjSE_EEENSF_IJSE_SE_EEES9_SG_JZNS1_25segmented_radix_sort_implINS0_14default_configELb1EPK6__halfPSL_PKlPlN2at6native12_GLOBAL__N_18offset_tEEE10hipError_tPvRmT1_PNSt15iterator_traitsISZ_E10value_typeET2_T3_PNS10_IS15_E10value_typeET4_jRbjT5_S1B_jjP12ihipStream_tbEUljE_EEESW_SX_SY_S15_S19_S1B_T6_T7_T9_mT8_S1D_bDpT10_ENKUlT_T0_E_clISt17integral_constantIbLb1EES1Q_EEDaS1L_S1M_EUlS1L_E_NS1_11comp_targetILNS1_3genE10ELNS1_11target_archE1200ELNS1_3gpuE4ELNS1_3repE0EEENS1_30default_config_static_selectorELNS0_4arch9wavefront6targetE0EEEvSZ_
                                        ; -- End function
	.section	.AMDGPU.csdata,"",@progbits
; Kernel info:
; codeLenInByte = 0
; NumSgprs: 0
; NumVgprs: 0
; ScratchSize: 0
; MemoryBound: 0
; FloatMode: 240
; IeeeMode: 1
; LDSByteSize: 0 bytes/workgroup (compile time only)
; SGPRBlocks: 0
; VGPRBlocks: 0
; NumSGPRsForWavesPerEU: 1
; NumVGPRsForWavesPerEU: 1
; Occupancy: 16
; WaveLimiterHint : 0
; COMPUTE_PGM_RSRC2:SCRATCH_EN: 0
; COMPUTE_PGM_RSRC2:USER_SGPR: 15
; COMPUTE_PGM_RSRC2:TRAP_HANDLER: 0
; COMPUTE_PGM_RSRC2:TGID_X_EN: 1
; COMPUTE_PGM_RSRC2:TGID_Y_EN: 0
; COMPUTE_PGM_RSRC2:TGID_Z_EN: 0
; COMPUTE_PGM_RSRC2:TIDIG_COMP_CNT: 0
	.section	.text._ZN7rocprim17ROCPRIM_400000_NS6detail17trampoline_kernelINS0_13select_configILj256ELj13ELNS0_17block_load_methodE3ELS4_3ELS4_3ELNS0_20block_scan_algorithmE0ELj4294967295EEENS1_25partition_config_selectorILNS1_17partition_subalgoE3EjNS0_10empty_typeEbEEZZNS1_14partition_implILS8_3ELb0ES6_jNS0_17counting_iteratorIjlEEPS9_SE_NS0_5tupleIJPjSE_EEENSF_IJSE_SE_EEES9_SG_JZNS1_25segmented_radix_sort_implINS0_14default_configELb1EPK6__halfPSL_PKlPlN2at6native12_GLOBAL__N_18offset_tEEE10hipError_tPvRmT1_PNSt15iterator_traitsISZ_E10value_typeET2_T3_PNS10_IS15_E10value_typeET4_jRbjT5_S1B_jjP12ihipStream_tbEUljE_EEESW_SX_SY_S15_S19_S1B_T6_T7_T9_mT8_S1D_bDpT10_ENKUlT_T0_E_clISt17integral_constantIbLb1EES1Q_EEDaS1L_S1M_EUlS1L_E_NS1_11comp_targetILNS1_3genE9ELNS1_11target_archE1100ELNS1_3gpuE3ELNS1_3repE0EEENS1_30default_config_static_selectorELNS0_4arch9wavefront6targetE0EEEvSZ_,"axG",@progbits,_ZN7rocprim17ROCPRIM_400000_NS6detail17trampoline_kernelINS0_13select_configILj256ELj13ELNS0_17block_load_methodE3ELS4_3ELS4_3ELNS0_20block_scan_algorithmE0ELj4294967295EEENS1_25partition_config_selectorILNS1_17partition_subalgoE3EjNS0_10empty_typeEbEEZZNS1_14partition_implILS8_3ELb0ES6_jNS0_17counting_iteratorIjlEEPS9_SE_NS0_5tupleIJPjSE_EEENSF_IJSE_SE_EEES9_SG_JZNS1_25segmented_radix_sort_implINS0_14default_configELb1EPK6__halfPSL_PKlPlN2at6native12_GLOBAL__N_18offset_tEEE10hipError_tPvRmT1_PNSt15iterator_traitsISZ_E10value_typeET2_T3_PNS10_IS15_E10value_typeET4_jRbjT5_S1B_jjP12ihipStream_tbEUljE_EEESW_SX_SY_S15_S19_S1B_T6_T7_T9_mT8_S1D_bDpT10_ENKUlT_T0_E_clISt17integral_constantIbLb1EES1Q_EEDaS1L_S1M_EUlS1L_E_NS1_11comp_targetILNS1_3genE9ELNS1_11target_archE1100ELNS1_3gpuE3ELNS1_3repE0EEENS1_30default_config_static_selectorELNS0_4arch9wavefront6targetE0EEEvSZ_,comdat
	.globl	_ZN7rocprim17ROCPRIM_400000_NS6detail17trampoline_kernelINS0_13select_configILj256ELj13ELNS0_17block_load_methodE3ELS4_3ELS4_3ELNS0_20block_scan_algorithmE0ELj4294967295EEENS1_25partition_config_selectorILNS1_17partition_subalgoE3EjNS0_10empty_typeEbEEZZNS1_14partition_implILS8_3ELb0ES6_jNS0_17counting_iteratorIjlEEPS9_SE_NS0_5tupleIJPjSE_EEENSF_IJSE_SE_EEES9_SG_JZNS1_25segmented_radix_sort_implINS0_14default_configELb1EPK6__halfPSL_PKlPlN2at6native12_GLOBAL__N_18offset_tEEE10hipError_tPvRmT1_PNSt15iterator_traitsISZ_E10value_typeET2_T3_PNS10_IS15_E10value_typeET4_jRbjT5_S1B_jjP12ihipStream_tbEUljE_EEESW_SX_SY_S15_S19_S1B_T6_T7_T9_mT8_S1D_bDpT10_ENKUlT_T0_E_clISt17integral_constantIbLb1EES1Q_EEDaS1L_S1M_EUlS1L_E_NS1_11comp_targetILNS1_3genE9ELNS1_11target_archE1100ELNS1_3gpuE3ELNS1_3repE0EEENS1_30default_config_static_selectorELNS0_4arch9wavefront6targetE0EEEvSZ_ ; -- Begin function _ZN7rocprim17ROCPRIM_400000_NS6detail17trampoline_kernelINS0_13select_configILj256ELj13ELNS0_17block_load_methodE3ELS4_3ELS4_3ELNS0_20block_scan_algorithmE0ELj4294967295EEENS1_25partition_config_selectorILNS1_17partition_subalgoE3EjNS0_10empty_typeEbEEZZNS1_14partition_implILS8_3ELb0ES6_jNS0_17counting_iteratorIjlEEPS9_SE_NS0_5tupleIJPjSE_EEENSF_IJSE_SE_EEES9_SG_JZNS1_25segmented_radix_sort_implINS0_14default_configELb1EPK6__halfPSL_PKlPlN2at6native12_GLOBAL__N_18offset_tEEE10hipError_tPvRmT1_PNSt15iterator_traitsISZ_E10value_typeET2_T3_PNS10_IS15_E10value_typeET4_jRbjT5_S1B_jjP12ihipStream_tbEUljE_EEESW_SX_SY_S15_S19_S1B_T6_T7_T9_mT8_S1D_bDpT10_ENKUlT_T0_E_clISt17integral_constantIbLb1EES1Q_EEDaS1L_S1M_EUlS1L_E_NS1_11comp_targetILNS1_3genE9ELNS1_11target_archE1100ELNS1_3gpuE3ELNS1_3repE0EEENS1_30default_config_static_selectorELNS0_4arch9wavefront6targetE0EEEvSZ_
	.p2align	8
	.type	_ZN7rocprim17ROCPRIM_400000_NS6detail17trampoline_kernelINS0_13select_configILj256ELj13ELNS0_17block_load_methodE3ELS4_3ELS4_3ELNS0_20block_scan_algorithmE0ELj4294967295EEENS1_25partition_config_selectorILNS1_17partition_subalgoE3EjNS0_10empty_typeEbEEZZNS1_14partition_implILS8_3ELb0ES6_jNS0_17counting_iteratorIjlEEPS9_SE_NS0_5tupleIJPjSE_EEENSF_IJSE_SE_EEES9_SG_JZNS1_25segmented_radix_sort_implINS0_14default_configELb1EPK6__halfPSL_PKlPlN2at6native12_GLOBAL__N_18offset_tEEE10hipError_tPvRmT1_PNSt15iterator_traitsISZ_E10value_typeET2_T3_PNS10_IS15_E10value_typeET4_jRbjT5_S1B_jjP12ihipStream_tbEUljE_EEESW_SX_SY_S15_S19_S1B_T6_T7_T9_mT8_S1D_bDpT10_ENKUlT_T0_E_clISt17integral_constantIbLb1EES1Q_EEDaS1L_S1M_EUlS1L_E_NS1_11comp_targetILNS1_3genE9ELNS1_11target_archE1100ELNS1_3gpuE3ELNS1_3repE0EEENS1_30default_config_static_selectorELNS0_4arch9wavefront6targetE0EEEvSZ_,@function
_ZN7rocprim17ROCPRIM_400000_NS6detail17trampoline_kernelINS0_13select_configILj256ELj13ELNS0_17block_load_methodE3ELS4_3ELS4_3ELNS0_20block_scan_algorithmE0ELj4294967295EEENS1_25partition_config_selectorILNS1_17partition_subalgoE3EjNS0_10empty_typeEbEEZZNS1_14partition_implILS8_3ELb0ES6_jNS0_17counting_iteratorIjlEEPS9_SE_NS0_5tupleIJPjSE_EEENSF_IJSE_SE_EEES9_SG_JZNS1_25segmented_radix_sort_implINS0_14default_configELb1EPK6__halfPSL_PKlPlN2at6native12_GLOBAL__N_18offset_tEEE10hipError_tPvRmT1_PNSt15iterator_traitsISZ_E10value_typeET2_T3_PNS10_IS15_E10value_typeET4_jRbjT5_S1B_jjP12ihipStream_tbEUljE_EEESW_SX_SY_S15_S19_S1B_T6_T7_T9_mT8_S1D_bDpT10_ENKUlT_T0_E_clISt17integral_constantIbLb1EES1Q_EEDaS1L_S1M_EUlS1L_E_NS1_11comp_targetILNS1_3genE9ELNS1_11target_archE1100ELNS1_3gpuE3ELNS1_3repE0EEENS1_30default_config_static_selectorELNS0_4arch9wavefront6targetE0EEEvSZ_: ; @_ZN7rocprim17ROCPRIM_400000_NS6detail17trampoline_kernelINS0_13select_configILj256ELj13ELNS0_17block_load_methodE3ELS4_3ELS4_3ELNS0_20block_scan_algorithmE0ELj4294967295EEENS1_25partition_config_selectorILNS1_17partition_subalgoE3EjNS0_10empty_typeEbEEZZNS1_14partition_implILS8_3ELb0ES6_jNS0_17counting_iteratorIjlEEPS9_SE_NS0_5tupleIJPjSE_EEENSF_IJSE_SE_EEES9_SG_JZNS1_25segmented_radix_sort_implINS0_14default_configELb1EPK6__halfPSL_PKlPlN2at6native12_GLOBAL__N_18offset_tEEE10hipError_tPvRmT1_PNSt15iterator_traitsISZ_E10value_typeET2_T3_PNS10_IS15_E10value_typeET4_jRbjT5_S1B_jjP12ihipStream_tbEUljE_EEESW_SX_SY_S15_S19_S1B_T6_T7_T9_mT8_S1D_bDpT10_ENKUlT_T0_E_clISt17integral_constantIbLb1EES1Q_EEDaS1L_S1M_EUlS1L_E_NS1_11comp_targetILNS1_3genE9ELNS1_11target_archE1100ELNS1_3gpuE3ELNS1_3repE0EEENS1_30default_config_static_selectorELNS0_4arch9wavefront6targetE0EEEvSZ_
; %bb.0:
	s_clause 0x6
	s_load_b64 s[16:17], s[0:1], 0x10
	s_load_b64 s[12:13], s[0:1], 0x28
	s_load_b64 s[14:15], s[0:1], 0x58
	s_load_b128 s[8:11], s[0:1], 0x48
	s_load_b32 s3, s[0:1], 0x90
	s_load_b64 s[18:19], s[0:1], 0x68
	s_load_b128 s[4:7], s[0:1], 0x80
	v_cmp_eq_u32_e64 s2, 0, v0
	s_delay_alu instid0(VALU_DEP_1)
	s_and_saveexec_b32 s20, s2
	s_cbranch_execz .LBB1721_4
; %bb.1:
	s_mov_b32 s22, exec_lo
	s_mov_b32 s21, exec_lo
	v_mbcnt_lo_u32_b32 v1, s22, 0
                                        ; implicit-def: $vgpr2
	s_delay_alu instid0(VALU_DEP_1)
	v_cmpx_eq_u32_e32 0, v1
	s_cbranch_execz .LBB1721_3
; %bb.2:
	s_load_b64 s[24:25], s[0:1], 0x78
	s_bcnt1_i32_b32 s22, s22
	s_delay_alu instid0(SALU_CYCLE_1)
	v_dual_mov_b32 v2, 0 :: v_dual_mov_b32 v3, s22
	s_waitcnt lgkmcnt(0)
	global_atomic_add_u32 v2, v2, v3, s[24:25] glc
.LBB1721_3:
	s_or_b32 exec_lo, exec_lo, s21
	s_waitcnt vmcnt(0)
	v_readfirstlane_b32 s21, v2
	s_delay_alu instid0(VALU_DEP_1)
	v_dual_mov_b32 v2, 0 :: v_dual_add_nc_u32 v1, s21, v1
	ds_store_b32 v2, v1
.LBB1721_4:
	s_or_b32 exec_lo, exec_lo, s20
	v_mov_b32_e32 v1, 0
	s_clause 0x1
	s_load_b32 s20, s[0:1], 0x8
	s_load_b32 s0, s[0:1], 0x70
	s_waitcnt lgkmcnt(0)
	s_barrier
	buffer_gl0_inv
	ds_load_b32 v2, v1
	s_waitcnt lgkmcnt(0)
	s_barrier
	buffer_gl0_inv
	global_load_b64 v[18:19], v1, s[10:11]
	v_lshlrev_b32_e32 v33, 2, v0
	s_add_i32 s21, s20, s16
	s_mul_i32 s1, s0, 0xd00
	s_add_i32 s0, s0, -1
	s_add_u32 s10, s16, s1
	s_addc_u32 s11, s17, 0
	v_mul_lo_u32 v32, 0xd00, v2
	v_readfirstlane_b32 s20, v2
	v_cmp_lt_u64_e64 s11, s[10:11], s[14:15]
	v_cmp_ne_u32_e32 vcc_lo, s0, v2
	s_delay_alu instid0(VALU_DEP_3) | instskip(SKIP_1) | instid1(VALU_DEP_4)
	s_cmp_eq_u32 s20, s0
	s_cselect_b32 s10, -1, 0
	v_add3_u32 v1, v32, s21, v0
	s_delay_alu instid0(VALU_DEP_3) | instskip(SKIP_2) | instid1(VALU_DEP_1)
	s_or_b32 s0, s11, vcc_lo
	s_mov_b32 s11, -1
	s_and_b32 vcc_lo, exec_lo, s0
	v_add_nc_u32_e32 v2, 0x100, v1
	v_add_nc_u32_e32 v3, 0x200, v1
	;; [unrolled: 1-line block ×12, first 2 shown]
	s_cbranch_vccz .LBB1721_6
; %bb.5:
	ds_store_2addr_stride64_b32 v33, v1, v2 offset1:4
	ds_store_2addr_stride64_b32 v33, v3, v4 offset0:8 offset1:12
	ds_store_2addr_stride64_b32 v33, v5, v6 offset0:16 offset1:20
	;; [unrolled: 1-line block ×5, first 2 shown]
	ds_store_b32 v33, v13 offset:12288
	s_waitcnt vmcnt(0) lgkmcnt(0)
	s_mov_b32 s11, 0
	s_barrier
.LBB1721_6:
	s_and_not1_b32 vcc_lo, exec_lo, s11
	s_add_i32 s1, s1, s16
	s_cbranch_vccnz .LBB1721_8
; %bb.7:
	ds_store_2addr_stride64_b32 v33, v1, v2 offset1:4
	ds_store_2addr_stride64_b32 v33, v3, v4 offset0:8 offset1:12
	ds_store_2addr_stride64_b32 v33, v5, v6 offset0:16 offset1:20
	;; [unrolled: 1-line block ×5, first 2 shown]
	ds_store_b32 v33, v13 offset:12288
	s_waitcnt vmcnt(0) lgkmcnt(0)
	s_barrier
.LBB1721_8:
	v_mul_u32_u24_e32 v36, 13, v0
	s_waitcnt vmcnt(0)
	buffer_gl0_inv
	v_cndmask_b32_e64 v34, 0, 1, s0
	s_sub_i32 s11, s14, s1
	s_and_not1_b32 vcc_lo, exec_lo, s0
	v_lshlrev_b32_e32 v1, 2, v36
	ds_load_2addr_b32 v[30:31], v1 offset1:1
	ds_load_2addr_b32 v[28:29], v1 offset0:2 offset1:3
	ds_load_2addr_b32 v[26:27], v1 offset0:4 offset1:5
	;; [unrolled: 1-line block ×5, first 2 shown]
	ds_load_b32 v35, v1 offset:48
	s_waitcnt lgkmcnt(0)
	s_barrier
	buffer_gl0_inv
	s_cbranch_vccnz .LBB1721_10
; %bb.9:
	v_add_nc_u32_e32 v1, s5, v30
	v_add_nc_u32_e32 v2, s7, v30
	;; [unrolled: 1-line block ×5, first 2 shown]
	v_mul_lo_u32 v1, v1, s4
	v_mul_lo_u32 v2, v2, s6
	;; [unrolled: 1-line block ×4, first 2 shown]
	v_add_nc_u32_e32 v6, s7, v28
	v_add_nc_u32_e32 v7, s5, v29
	;; [unrolled: 1-line block ×3, first 2 shown]
	v_mul_lo_u32 v5, v5, s4
	v_add_nc_u32_e32 v9, s5, v24
	v_sub_nc_u32_e32 v1, v1, v2
	v_mul_lo_u32 v2, v6, s6
	v_sub_nc_u32_e32 v3, v3, v4
	v_mul_lo_u32 v4, v7, s4
	v_mul_lo_u32 v6, v8, s6
	v_add_nc_u32_e32 v7, s5, v26
	v_cmp_lt_u32_e32 vcc_lo, s3, v1
	v_add_nc_u32_e32 v8, s5, v27
	v_add_nc_u32_e32 v10, s7, v24
	v_sub_nc_u32_e32 v2, v5, v2
	v_add_nc_u32_e32 v5, s7, v26
	v_cndmask_b32_e64 v1, 0, 1, vcc_lo
	v_sub_nc_u32_e32 v4, v4, v6
	v_mul_lo_u32 v6, v7, s4
	v_add_nc_u32_e32 v7, s7, v27
	v_cmp_lt_u32_e32 vcc_lo, s3, v3
	v_mul_lo_u32 v5, v5, s6
	v_mul_lo_u32 v8, v8, s4
	;; [unrolled: 1-line block ×4, first 2 shown]
	v_cndmask_b32_e64 v3, 0, 1, vcc_lo
	v_cmp_lt_u32_e32 vcc_lo, s3, v2
	v_mul_lo_u32 v10, v10, s6
	v_add_nc_u32_e32 v11, s5, v22
	v_sub_nc_u32_e32 v5, v6, v5
	v_add_nc_u32_e32 v12, s7, v22
	v_cndmask_b32_e64 v2, 0, 1, vcc_lo
	v_sub_nc_u32_e32 v6, v8, v7
	v_add_nc_u32_e32 v7, s5, v25
	v_add_nc_u32_e32 v8, s7, v25
	v_cmp_lt_u32_e32 vcc_lo, s3, v4
	v_sub_nc_u32_e32 v9, v9, v10
	v_mul_lo_u32 v10, v11, s4
	v_mul_lo_u32 v7, v7, s4
	;; [unrolled: 1-line block ×4, first 2 shown]
	v_cndmask_b32_e64 v4, 0, 1, vcc_lo
	v_cmp_lt_u32_e32 vcc_lo, s3, v5
	v_add_nc_u32_e32 v12, s5, v23
	v_add_nc_u32_e32 v13, s7, v20
	v_add_nc_u32_e32 v14, s5, v21
	v_add_nc_u32_e32 v15, s7, v21
	v_cndmask_b32_e64 v5, 0, 1, vcc_lo
	v_cmp_lt_u32_e32 vcc_lo, s3, v6
	v_sub_nc_u32_e32 v7, v7, v8
	v_sub_nc_u32_e32 v8, v10, v11
	v_add_nc_u32_e32 v11, s7, v23
	v_mul_lo_u32 v10, v12, s4
	v_cndmask_b32_e64 v6, 0, 1, vcc_lo
	v_cmp_lt_u32_e32 vcc_lo, s3, v9
	v_add_nc_u32_e32 v12, s5, v20
	v_mul_lo_u32 v11, v11, s6
	v_mul_lo_u32 v13, v13, s6
	;; [unrolled: 1-line block ×3, first 2 shown]
	v_cndmask_b32_e64 v9, 0, 1, vcc_lo
	v_cmp_lt_u32_e32 vcc_lo, s3, v7
	v_mul_lo_u32 v12, v12, s4
	v_mul_lo_u32 v15, v15, s6
	v_lshlrev_b16 v3, 8, v3
	v_sub_nc_u32_e32 v10, v10, v11
	v_cndmask_b32_e64 v7, 0, 1, vcc_lo
	v_cmp_lt_u32_e32 vcc_lo, s3, v8
	v_add_nc_u32_e32 v11, s5, v35
	v_or_b32_e32 v1, v1, v3
	v_sub_nc_u32_e32 v12, v12, v13
	v_sub_nc_u32_e32 v13, v14, v15
	v_cndmask_b32_e64 v8, 0, 1, vcc_lo
	v_cmp_lt_u32_e32 vcc_lo, s3, v10
	v_add_nc_u32_e32 v16, s7, v35
	v_mul_lo_u32 v11, v11, s4
	v_lshlrev_b16 v4, 8, v4
	v_lshlrev_b16 v6, 8, v6
	v_cndmask_b32_e64 v10, 0, 1, vcc_lo
	v_cmp_lt_u32_e32 vcc_lo, s3, v12
	v_mul_lo_u32 v14, v16, s6
	v_lshlrev_b16 v7, 8, v7
	v_or_b32_e32 v2, v2, v4
	v_lshlrev_b16 v10, 8, v10
	v_cndmask_b32_e64 v3, 0, 1, vcc_lo
	v_cmp_lt_u32_e32 vcc_lo, s3, v13
	v_or_b32_e32 v4, v5, v6
	v_or_b32_e32 v5, v9, v7
	v_sub_nc_u32_e32 v11, v11, v14
	v_or_b32_e32 v6, v8, v10
	v_cndmask_b32_e64 v12, 0, 1, vcc_lo
	v_and_b32_e32 v1, 0xffff, v1
	v_lshlrev_b32_e32 v2, 16, v2
	v_and_b32_e32 v4, 0xffff, v4
	v_lshlrev_b32_e32 v5, 16, v5
	v_lshlrev_b16 v12, 8, v12
	v_and_b32_e32 v6, 0xffff, v6
	v_cmp_lt_u32_e32 vcc_lo, s3, v11
	v_or_b32_e32 v42, v1, v2
	v_or_b32_e32 v40, v4, v5
	;; [unrolled: 1-line block ×3, first 2 shown]
	v_cndmask_b32_e64 v37, 0, 1, vcc_lo
	s_delay_alu instid0(VALU_DEP_2) | instskip(NEXT) | instid1(VALU_DEP_1)
	v_lshlrev_b32_e32 v3, 16, v3
	v_or_b32_e32 v38, v6, v3
	s_addk_i32 s11, 0xd00
	s_cbranch_execz .LBB1721_11
	s_branch .LBB1721_38
.LBB1721_10:
                                        ; implicit-def: $vgpr37
                                        ; implicit-def: $vgpr38
                                        ; implicit-def: $vgpr40
                                        ; implicit-def: $vgpr42
	s_addk_i32 s11, 0xd00
.LBB1721_11:
	v_dual_mov_b32 v2, 0 :: v_dual_mov_b32 v1, 0
	s_mov_b32 s0, exec_lo
	v_cmpx_gt_u32_e64 s11, v36
; %bb.12:
	v_add_nc_u32_e32 v1, s5, v30
	v_add_nc_u32_e32 v3, s7, v30
	s_delay_alu instid0(VALU_DEP_2) | instskip(NEXT) | instid1(VALU_DEP_2)
	v_mul_lo_u32 v1, v1, s4
	v_mul_lo_u32 v3, v3, s6
	s_delay_alu instid0(VALU_DEP_1) | instskip(NEXT) | instid1(VALU_DEP_1)
	v_sub_nc_u32_e32 v1, v1, v3
	v_cmp_lt_u32_e32 vcc_lo, s3, v1
	v_cndmask_b32_e64 v1, 0, 1, vcc_lo
; %bb.13:
	s_or_b32 exec_lo, exec_lo, s0
	v_add_nc_u32_e32 v3, 1, v36
	s_mov_b32 s0, exec_lo
	s_delay_alu instid0(VALU_DEP_1)
	v_cmpx_gt_u32_e64 s11, v3
; %bb.14:
	v_add_nc_u32_e32 v2, s5, v31
	v_add_nc_u32_e32 v3, s7, v31
	s_delay_alu instid0(VALU_DEP_2) | instskip(NEXT) | instid1(VALU_DEP_2)
	v_mul_lo_u32 v2, v2, s4
	v_mul_lo_u32 v3, v3, s6
	s_delay_alu instid0(VALU_DEP_1) | instskip(NEXT) | instid1(VALU_DEP_1)
	v_sub_nc_u32_e32 v2, v2, v3
	v_cmp_lt_u32_e32 vcc_lo, s3, v2
	v_cndmask_b32_e64 v2, 0, 1, vcc_lo
; %bb.15:
	s_or_b32 exec_lo, exec_lo, s0
	v_dual_mov_b32 v4, 0 :: v_dual_add_nc_u32 v3, 2, v36
	s_delay_alu instid0(VALU_DEP_1)
	v_cmp_gt_u32_e32 vcc_lo, s11, v3
	v_mov_b32_e32 v3, 0
	s_and_saveexec_b32 s0, vcc_lo
; %bb.16:
	v_add_nc_u32_e32 v3, s5, v28
	v_add_nc_u32_e32 v5, s7, v28
	s_delay_alu instid0(VALU_DEP_2) | instskip(NEXT) | instid1(VALU_DEP_2)
	v_mul_lo_u32 v3, v3, s4
	v_mul_lo_u32 v5, v5, s6
	s_delay_alu instid0(VALU_DEP_1) | instskip(NEXT) | instid1(VALU_DEP_1)
	v_sub_nc_u32_e32 v3, v3, v5
	v_cmp_lt_u32_e32 vcc_lo, s3, v3
	v_cndmask_b32_e64 v3, 0, 1, vcc_lo
; %bb.17:
	s_or_b32 exec_lo, exec_lo, s0
	v_add_nc_u32_e32 v5, 3, v36
	s_mov_b32 s0, exec_lo
	s_delay_alu instid0(VALU_DEP_1)
	v_cmpx_gt_u32_e64 s11, v5
; %bb.18:
	v_add_nc_u32_e32 v4, s5, v29
	v_add_nc_u32_e32 v5, s7, v29
	s_delay_alu instid0(VALU_DEP_2) | instskip(NEXT) | instid1(VALU_DEP_2)
	v_mul_lo_u32 v4, v4, s4
	v_mul_lo_u32 v5, v5, s6
	s_delay_alu instid0(VALU_DEP_1) | instskip(NEXT) | instid1(VALU_DEP_1)
	v_sub_nc_u32_e32 v4, v4, v5
	v_cmp_lt_u32_e32 vcc_lo, s3, v4
	v_cndmask_b32_e64 v4, 0, 1, vcc_lo
; %bb.19:
	s_or_b32 exec_lo, exec_lo, s0
	v_dual_mov_b32 v6, 0 :: v_dual_add_nc_u32 v5, 4, v36
	s_delay_alu instid0(VALU_DEP_1)
	v_cmp_gt_u32_e32 vcc_lo, s11, v5
	v_mov_b32_e32 v5, 0
	s_and_saveexec_b32 s0, vcc_lo
	;; [unrolled: 33-line block ×5, first 2 shown]
; %bb.32:
	v_add_nc_u32_e32 v11, s5, v20
	v_add_nc_u32_e32 v13, s7, v20
	s_delay_alu instid0(VALU_DEP_2) | instskip(NEXT) | instid1(VALU_DEP_2)
	v_mul_lo_u32 v11, v11, s4
	v_mul_lo_u32 v13, v13, s6
	s_delay_alu instid0(VALU_DEP_1) | instskip(NEXT) | instid1(VALU_DEP_1)
	v_sub_nc_u32_e32 v11, v11, v13
	v_cmp_lt_u32_e32 vcc_lo, s3, v11
	v_cndmask_b32_e64 v11, 0, 1, vcc_lo
; %bb.33:
	s_or_b32 exec_lo, exec_lo, s0
	v_add_nc_u32_e32 v13, 11, v36
	s_mov_b32 s0, exec_lo
	s_delay_alu instid0(VALU_DEP_1)
	v_cmpx_gt_u32_e64 s11, v13
; %bb.34:
	v_add_nc_u32_e32 v12, s5, v21
	v_add_nc_u32_e32 v13, s7, v21
	s_delay_alu instid0(VALU_DEP_2) | instskip(NEXT) | instid1(VALU_DEP_2)
	v_mul_lo_u32 v12, v12, s4
	v_mul_lo_u32 v13, v13, s6
	s_delay_alu instid0(VALU_DEP_1) | instskip(NEXT) | instid1(VALU_DEP_1)
	v_sub_nc_u32_e32 v12, v12, v13
	v_cmp_lt_u32_e32 vcc_lo, s3, v12
	v_cndmask_b32_e64 v12, 0, 1, vcc_lo
; %bb.35:
	s_or_b32 exec_lo, exec_lo, s0
	v_add_nc_u32_e32 v13, 12, v36
	v_mov_b32_e32 v37, 0
	s_mov_b32 s0, exec_lo
	s_delay_alu instid0(VALU_DEP_2)
	v_cmpx_gt_u32_e64 s11, v13
; %bb.36:
	v_add_nc_u32_e32 v13, s5, v35
	v_add_nc_u32_e32 v14, s7, v35
	s_delay_alu instid0(VALU_DEP_2) | instskip(NEXT) | instid1(VALU_DEP_2)
	v_mul_lo_u32 v13, v13, s4
	v_mul_lo_u32 v14, v14, s6
	s_delay_alu instid0(VALU_DEP_1) | instskip(NEXT) | instid1(VALU_DEP_1)
	v_sub_nc_u32_e32 v13, v13, v14
	v_cmp_lt_u32_e32 vcc_lo, s3, v13
	v_cndmask_b32_e64 v37, 0, 1, vcc_lo
; %bb.37:
	s_or_b32 exec_lo, exec_lo, s0
	v_lshlrev_b16 v2, 8, v2
	v_lshlrev_b16 v4, 8, v4
	;; [unrolled: 1-line block ×5, first 2 shown]
	v_or_b32_e32 v1, v1, v2
	v_lshlrev_b16 v2, 8, v12
	v_or_b32_e32 v3, v3, v4
	v_or_b32_e32 v4, v5, v6
	;; [unrolled: 1-line block ×5, first 2 shown]
	v_and_b32_e32 v1, 0xffff, v1
	v_lshlrev_b32_e32 v3, 16, v3
	v_and_b32_e32 v4, 0xffff, v4
	v_lshlrev_b32_e32 v5, 16, v5
	;; [unrolled: 2-line block ×3, first 2 shown]
	v_or_b32_e32 v42, v1, v3
	s_delay_alu instid0(VALU_DEP_4) | instskip(NEXT) | instid1(VALU_DEP_3)
	v_or_b32_e32 v40, v4, v5
	v_or_b32_e32 v38, v6, v2
.LBB1721_38:
	s_delay_alu instid0(VALU_DEP_3)
	v_and_b32_e32 v44, 0xff, v42
	v_bfe_u32 v45, v42, 8, 8
	v_bfe_u32 v46, v42, 16, 8
	v_lshrrev_b32_e32 v43, 24, v42
	v_and_b32_e32 v47, 0xff, v40
	v_bfe_u32 v48, v40, 8, 8
	v_bfe_u32 v49, v40, 16, 8
	v_add3_u32 v1, v45, v44, v46
	v_lshrrev_b32_e32 v41, 24, v40
	v_and_b32_e32 v50, 0xff, v38
	v_bfe_u32 v51, v38, 8, 8
	v_mbcnt_lo_u32_b32 v53, -1, 0
	v_add3_u32 v1, v1, v43, v47
	v_bfe_u32 v52, v38, 16, 8
	v_lshrrev_b32_e32 v39, 24, v38
	v_and_b32_e32 v2, 0xff, v37
	v_and_b32_e32 v3, 15, v53
	v_add3_u32 v1, v1, v48, v49
	v_or_b32_e32 v4, 31, v0
	v_and_b32_e32 v5, 16, v53
	v_lshrrev_b32_e32 v54, 5, v0
	v_cmp_eq_u32_e64 s6, 0, v3
	v_add3_u32 v1, v1, v41, v50
	v_cmp_lt_u32_e64 s5, 1, v3
	v_cmp_lt_u32_e64 s4, 3, v3
	v_cmp_lt_u32_e64 s3, 7, v3
	v_cmp_eq_u32_e64 s1, 0, v5
	v_add3_u32 v1, v1, v51, v52
	v_cmp_eq_u32_e64 s0, v4, v0
	s_cmp_lg_u32 s20, 0
	s_mov_b32 s7, -1
	s_delay_alu instid0(VALU_DEP_2)
	v_add3_u32 v55, v1, v39, v2
	s_cbranch_scc0 .LBB1721_69
; %bb.39:
	s_delay_alu instid0(VALU_DEP_1) | instskip(NEXT) | instid1(VALU_DEP_1)
	v_mov_b32_dpp v1, v55 row_shr:1 row_mask:0xf bank_mask:0xf
	v_cndmask_b32_e64 v1, v1, 0, s6
	s_delay_alu instid0(VALU_DEP_1) | instskip(NEXT) | instid1(VALU_DEP_1)
	v_add_nc_u32_e32 v1, v1, v55
	v_mov_b32_dpp v2, v1 row_shr:2 row_mask:0xf bank_mask:0xf
	s_delay_alu instid0(VALU_DEP_1) | instskip(NEXT) | instid1(VALU_DEP_1)
	v_cndmask_b32_e64 v2, 0, v2, s5
	v_add_nc_u32_e32 v1, v1, v2
	s_delay_alu instid0(VALU_DEP_1) | instskip(NEXT) | instid1(VALU_DEP_1)
	v_mov_b32_dpp v2, v1 row_shr:4 row_mask:0xf bank_mask:0xf
	v_cndmask_b32_e64 v2, 0, v2, s4
	s_delay_alu instid0(VALU_DEP_1) | instskip(NEXT) | instid1(VALU_DEP_1)
	v_add_nc_u32_e32 v1, v1, v2
	v_mov_b32_dpp v2, v1 row_shr:8 row_mask:0xf bank_mask:0xf
	s_delay_alu instid0(VALU_DEP_1) | instskip(NEXT) | instid1(VALU_DEP_1)
	v_cndmask_b32_e64 v2, 0, v2, s3
	v_add_nc_u32_e32 v1, v1, v2
	ds_swizzle_b32 v2, v1 offset:swizzle(BROADCAST,32,15)
	s_waitcnt lgkmcnt(0)
	v_cndmask_b32_e64 v2, v2, 0, s1
	s_delay_alu instid0(VALU_DEP_1)
	v_add_nc_u32_e32 v1, v1, v2
	s_and_saveexec_b32 s7, s0
	s_cbranch_execz .LBB1721_41
; %bb.40:
	v_lshlrev_b32_e32 v2, 2, v54
	ds_store_b32 v2, v1
.LBB1721_41:
	s_or_b32 exec_lo, exec_lo, s7
	s_delay_alu instid0(SALU_CYCLE_1)
	s_mov_b32 s7, exec_lo
	s_waitcnt lgkmcnt(0)
	s_barrier
	buffer_gl0_inv
	v_cmpx_gt_u32_e32 8, v0
	s_cbranch_execz .LBB1721_43
; %bb.42:
	ds_load_b32 v2, v33
	s_waitcnt lgkmcnt(0)
	v_mov_b32_dpp v4, v2 row_shr:1 row_mask:0xf bank_mask:0xf
	v_and_b32_e32 v3, 7, v53
	s_delay_alu instid0(VALU_DEP_1) | instskip(NEXT) | instid1(VALU_DEP_3)
	v_cmp_ne_u32_e32 vcc_lo, 0, v3
	v_cndmask_b32_e32 v4, 0, v4, vcc_lo
	v_cmp_lt_u32_e32 vcc_lo, 1, v3
	s_delay_alu instid0(VALU_DEP_2) | instskip(NEXT) | instid1(VALU_DEP_1)
	v_add_nc_u32_e32 v2, v4, v2
	v_mov_b32_dpp v4, v2 row_shr:2 row_mask:0xf bank_mask:0xf
	s_delay_alu instid0(VALU_DEP_1) | instskip(SKIP_1) | instid1(VALU_DEP_2)
	v_cndmask_b32_e32 v4, 0, v4, vcc_lo
	v_cmp_lt_u32_e32 vcc_lo, 3, v3
	v_add_nc_u32_e32 v2, v2, v4
	s_delay_alu instid0(VALU_DEP_1) | instskip(NEXT) | instid1(VALU_DEP_1)
	v_mov_b32_dpp v4, v2 row_shr:4 row_mask:0xf bank_mask:0xf
	v_cndmask_b32_e32 v3, 0, v4, vcc_lo
	s_delay_alu instid0(VALU_DEP_1)
	v_add_nc_u32_e32 v2, v2, v3
	ds_store_b32 v33, v2
.LBB1721_43:
	s_or_b32 exec_lo, exec_lo, s7
	v_cmp_gt_u32_e32 vcc_lo, 32, v0
	s_mov_b32 s21, exec_lo
	s_waitcnt lgkmcnt(0)
	s_barrier
	buffer_gl0_inv
                                        ; implicit-def: $vgpr8
	v_cmpx_lt_u32_e32 31, v0
	s_cbranch_execz .LBB1721_45
; %bb.44:
	v_lshl_add_u32 v2, v54, 2, -4
	ds_load_b32 v8, v2
	s_waitcnt lgkmcnt(0)
	v_add_nc_u32_e32 v1, v8, v1
.LBB1721_45:
	s_or_b32 exec_lo, exec_lo, s21
	v_add_nc_u32_e32 v2, -1, v53
	s_delay_alu instid0(VALU_DEP_1) | instskip(NEXT) | instid1(VALU_DEP_1)
	v_cmp_gt_i32_e64 s7, 0, v2
	v_cndmask_b32_e64 v2, v2, v53, s7
	v_cmp_eq_u32_e64 s7, 0, v53
	s_delay_alu instid0(VALU_DEP_2)
	v_lshlrev_b32_e32 v2, 2, v2
	ds_bpermute_b32 v9, v2, v1
	s_and_saveexec_b32 s21, vcc_lo
	s_cbranch_execz .LBB1721_68
; %bb.46:
	v_mov_b32_e32 v4, 0
	ds_load_b32 v1, v4 offset:28
	s_and_saveexec_b32 s22, s7
	s_cbranch_execz .LBB1721_48
; %bb.47:
	s_add_i32 s24, s20, 32
	s_mov_b32 s25, 0
	v_mov_b32_e32 v2, 1
	s_lshl_b64 s[24:25], s[24:25], 3
	s_delay_alu instid0(SALU_CYCLE_1)
	s_add_u32 s24, s18, s24
	s_addc_u32 s25, s19, s25
	s_waitcnt lgkmcnt(0)
	global_store_b64 v4, v[1:2], s[24:25]
.LBB1721_48:
	s_or_b32 exec_lo, exec_lo, s22
	v_xad_u32 v2, v53, -1, s20
	s_mov_b32 s23, 0
	s_mov_b32 s22, exec_lo
	s_delay_alu instid0(VALU_DEP_1) | instskip(NEXT) | instid1(VALU_DEP_1)
	v_add_nc_u32_e32 v3, 32, v2
	v_lshlrev_b64 v[3:4], 3, v[3:4]
	s_delay_alu instid0(VALU_DEP_1) | instskip(NEXT) | instid1(VALU_DEP_2)
	v_add_co_u32 v6, vcc_lo, s18, v3
	v_add_co_ci_u32_e32 v7, vcc_lo, s19, v4, vcc_lo
	global_load_b64 v[4:5], v[6:7], off glc
	s_waitcnt vmcnt(0)
	v_and_b32_e32 v3, 0xff, v5
	s_delay_alu instid0(VALU_DEP_1)
	v_cmpx_eq_u16_e32 0, v3
	s_cbranch_execz .LBB1721_54
; %bb.49:
	s_mov_b32 s24, 1
	.p2align	6
.LBB1721_50:                            ; =>This Loop Header: Depth=1
                                        ;     Child Loop BB1721_51 Depth 2
	s_delay_alu instid0(SALU_CYCLE_1)
	s_max_u32 s25, s24, 1
.LBB1721_51:                            ;   Parent Loop BB1721_50 Depth=1
                                        ; =>  This Inner Loop Header: Depth=2
	s_delay_alu instid0(SALU_CYCLE_1)
	s_add_i32 s25, s25, -1
	s_sleep 1
	s_cmp_eq_u32 s25, 0
	s_cbranch_scc0 .LBB1721_51
; %bb.52:                               ;   in Loop: Header=BB1721_50 Depth=1
	global_load_b64 v[4:5], v[6:7], off glc
	s_cmp_lt_u32 s24, 32
	s_cselect_b32 s25, -1, 0
	s_delay_alu instid0(SALU_CYCLE_1) | instskip(SKIP_3) | instid1(VALU_DEP_1)
	s_cmp_lg_u32 s25, 0
	s_addc_u32 s24, s24, 0
	s_waitcnt vmcnt(0)
	v_and_b32_e32 v3, 0xff, v5
	v_cmp_ne_u16_e32 vcc_lo, 0, v3
	s_or_b32 s23, vcc_lo, s23
	s_delay_alu instid0(SALU_CYCLE_1)
	s_and_not1_b32 exec_lo, exec_lo, s23
	s_cbranch_execnz .LBB1721_50
; %bb.53:
	s_or_b32 exec_lo, exec_lo, s23
.LBB1721_54:
	s_delay_alu instid0(SALU_CYCLE_1)
	s_or_b32 exec_lo, exec_lo, s22
	v_cmp_ne_u32_e32 vcc_lo, 31, v53
	v_lshlrev_b32_e64 v11, v53, -1
	v_add_nc_u32_e32 v13, 2, v53
	v_add_nc_u32_e32 v15, 4, v53
	;; [unrolled: 1-line block ×3, first 2 shown]
	v_add_co_ci_u32_e32 v3, vcc_lo, 0, v53, vcc_lo
	v_add_nc_u32_e32 v58, 16, v53
	s_delay_alu instid0(VALU_DEP_2) | instskip(SKIP_2) | instid1(VALU_DEP_1)
	v_lshlrev_b32_e32 v10, 2, v3
	ds_bpermute_b32 v6, v10, v4
	v_and_b32_e32 v3, 0xff, v5
	v_cmp_eq_u16_e32 vcc_lo, 2, v3
	v_and_or_b32 v3, vcc_lo, v11, 0x80000000
	v_cmp_gt_u32_e32 vcc_lo, 30, v53
	s_delay_alu instid0(VALU_DEP_2) | instskip(SKIP_1) | instid1(VALU_DEP_2)
	v_ctz_i32_b32_e32 v3, v3
	v_cndmask_b32_e64 v7, 0, 1, vcc_lo
	v_cmp_lt_u32_e32 vcc_lo, v53, v3
	s_waitcnt lgkmcnt(0)
	s_delay_alu instid0(VALU_DEP_2) | instskip(NEXT) | instid1(VALU_DEP_1)
	v_dual_cndmask_b32 v6, 0, v6 :: v_dual_lshlrev_b32 v7, 1, v7
	v_add_lshl_u32 v12, v7, v53, 2
	v_cmp_gt_u32_e32 vcc_lo, 28, v53
	s_delay_alu instid0(VALU_DEP_3) | instskip(SKIP_4) | instid1(VALU_DEP_1)
	v_add_nc_u32_e32 v4, v6, v4
	v_cndmask_b32_e64 v7, 0, 1, vcc_lo
	v_cmp_le_u32_e32 vcc_lo, v13, v3
	ds_bpermute_b32 v6, v12, v4
	v_lshlrev_b32_e32 v7, 2, v7
	v_add_lshl_u32 v14, v7, v53, 2
	s_waitcnt lgkmcnt(0)
	v_cndmask_b32_e32 v6, 0, v6, vcc_lo
	v_cmp_gt_u32_e32 vcc_lo, 24, v53
	s_delay_alu instid0(VALU_DEP_2) | instskip(SKIP_4) | instid1(VALU_DEP_1)
	v_add_nc_u32_e32 v4, v4, v6
	v_cndmask_b32_e64 v7, 0, 1, vcc_lo
	v_cmp_le_u32_e32 vcc_lo, v15, v3
	ds_bpermute_b32 v6, v14, v4
	v_lshlrev_b32_e32 v7, 3, v7
	v_add_lshl_u32 v17, v7, v53, 2
	s_waitcnt lgkmcnt(0)
	v_cndmask_b32_e32 v6, 0, v6, vcc_lo
	v_cmp_gt_u32_e32 vcc_lo, 16, v53
	s_delay_alu instid0(VALU_DEP_2) | instskip(SKIP_4) | instid1(VALU_DEP_1)
	v_add_nc_u32_e32 v4, v4, v6
	v_cndmask_b32_e64 v7, 0, 1, vcc_lo
	v_cmp_le_u32_e32 vcc_lo, v56, v3
	ds_bpermute_b32 v6, v17, v4
	v_lshlrev_b32_e32 v7, 4, v7
	v_add_lshl_u32 v57, v7, v53, 2
	s_waitcnt lgkmcnt(0)
	v_cndmask_b32_e32 v6, 0, v6, vcc_lo
	v_cmp_le_u32_e32 vcc_lo, v58, v3
	s_delay_alu instid0(VALU_DEP_2) | instskip(SKIP_3) | instid1(VALU_DEP_1)
	v_add_nc_u32_e32 v4, v4, v6
	ds_bpermute_b32 v6, v57, v4
	s_waitcnt lgkmcnt(0)
	v_cndmask_b32_e32 v3, 0, v6, vcc_lo
	v_dual_mov_b32 v3, 0 :: v_dual_add_nc_u32 v4, v4, v3
	s_branch .LBB1721_56
.LBB1721_55:                            ;   in Loop: Header=BB1721_56 Depth=1
	s_or_b32 exec_lo, exec_lo, s22
	ds_bpermute_b32 v7, v10, v4
	v_and_b32_e32 v6, 0xff, v5
	v_subrev_nc_u32_e32 v2, 32, v2
	s_delay_alu instid0(VALU_DEP_2) | instskip(SKIP_1) | instid1(VALU_DEP_1)
	v_cmp_eq_u16_e32 vcc_lo, 2, v6
	v_and_or_b32 v6, vcc_lo, v11, 0x80000000
	v_ctz_i32_b32_e32 v6, v6
	s_delay_alu instid0(VALU_DEP_1) | instskip(SKIP_3) | instid1(VALU_DEP_2)
	v_cmp_lt_u32_e32 vcc_lo, v53, v6
	s_waitcnt lgkmcnt(0)
	v_cndmask_b32_e32 v7, 0, v7, vcc_lo
	v_cmp_le_u32_e32 vcc_lo, v13, v6
	v_add_nc_u32_e32 v4, v7, v4
	ds_bpermute_b32 v7, v12, v4
	s_waitcnt lgkmcnt(0)
	v_cndmask_b32_e32 v7, 0, v7, vcc_lo
	v_cmp_le_u32_e32 vcc_lo, v15, v6
	s_delay_alu instid0(VALU_DEP_2) | instskip(SKIP_4) | instid1(VALU_DEP_2)
	v_add_nc_u32_e32 v4, v4, v7
	ds_bpermute_b32 v7, v14, v4
	s_waitcnt lgkmcnt(0)
	v_cndmask_b32_e32 v7, 0, v7, vcc_lo
	v_cmp_le_u32_e32 vcc_lo, v56, v6
	v_add_nc_u32_e32 v4, v4, v7
	ds_bpermute_b32 v7, v17, v4
	s_waitcnt lgkmcnt(0)
	v_cndmask_b32_e32 v7, 0, v7, vcc_lo
	v_cmp_le_u32_e32 vcc_lo, v58, v6
	s_delay_alu instid0(VALU_DEP_2) | instskip(SKIP_3) | instid1(VALU_DEP_1)
	v_add_nc_u32_e32 v4, v4, v7
	ds_bpermute_b32 v7, v57, v4
	s_waitcnt lgkmcnt(0)
	v_cndmask_b32_e32 v6, 0, v7, vcc_lo
	v_add3_u32 v4, v6, v16, v4
.LBB1721_56:                            ; =>This Loop Header: Depth=1
                                        ;     Child Loop BB1721_59 Depth 2
                                        ;       Child Loop BB1721_60 Depth 3
	s_delay_alu instid0(VALU_DEP_1) | instskip(NEXT) | instid1(VALU_DEP_1)
	v_dual_mov_b32 v16, v4 :: v_dual_and_b32 v5, 0xff, v5
	v_cmp_ne_u16_e32 vcc_lo, 2, v5
	v_cndmask_b32_e64 v5, 0, 1, vcc_lo
	;;#ASMSTART
	;;#ASMEND
	s_delay_alu instid0(VALU_DEP_1)
	v_cmp_ne_u32_e32 vcc_lo, 0, v5
	s_cmp_lg_u32 vcc_lo, exec_lo
	s_cbranch_scc1 .LBB1721_63
; %bb.57:                               ;   in Loop: Header=BB1721_56 Depth=1
	v_lshlrev_b64 v[4:5], 3, v[2:3]
	s_mov_b32 s22, exec_lo
	s_delay_alu instid0(VALU_DEP_1) | instskip(NEXT) | instid1(VALU_DEP_2)
	v_add_co_u32 v6, vcc_lo, s18, v4
	v_add_co_ci_u32_e32 v7, vcc_lo, s19, v5, vcc_lo
	global_load_b64 v[4:5], v[6:7], off glc
	s_waitcnt vmcnt(0)
	v_and_b32_e32 v59, 0xff, v5
	s_delay_alu instid0(VALU_DEP_1)
	v_cmpx_eq_u16_e32 0, v59
	s_cbranch_execz .LBB1721_55
; %bb.58:                               ;   in Loop: Header=BB1721_56 Depth=1
	s_mov_b32 s24, 1
	s_mov_b32 s23, 0
	.p2align	6
.LBB1721_59:                            ;   Parent Loop BB1721_56 Depth=1
                                        ; =>  This Loop Header: Depth=2
                                        ;       Child Loop BB1721_60 Depth 3
	s_max_u32 s25, s24, 1
.LBB1721_60:                            ;   Parent Loop BB1721_56 Depth=1
                                        ;     Parent Loop BB1721_59 Depth=2
                                        ; =>    This Inner Loop Header: Depth=3
	s_delay_alu instid0(SALU_CYCLE_1)
	s_add_i32 s25, s25, -1
	s_sleep 1
	s_cmp_eq_u32 s25, 0
	s_cbranch_scc0 .LBB1721_60
; %bb.61:                               ;   in Loop: Header=BB1721_59 Depth=2
	global_load_b64 v[4:5], v[6:7], off glc
	s_cmp_lt_u32 s24, 32
	s_cselect_b32 s25, -1, 0
	s_delay_alu instid0(SALU_CYCLE_1) | instskip(SKIP_3) | instid1(VALU_DEP_1)
	s_cmp_lg_u32 s25, 0
	s_addc_u32 s24, s24, 0
	s_waitcnt vmcnt(0)
	v_and_b32_e32 v59, 0xff, v5
	v_cmp_ne_u16_e32 vcc_lo, 0, v59
	s_or_b32 s23, vcc_lo, s23
	s_delay_alu instid0(SALU_CYCLE_1)
	s_and_not1_b32 exec_lo, exec_lo, s23
	s_cbranch_execnz .LBB1721_59
; %bb.62:                               ;   in Loop: Header=BB1721_56 Depth=1
	s_or_b32 exec_lo, exec_lo, s23
	s_branch .LBB1721_55
.LBB1721_63:                            ;   in Loop: Header=BB1721_56 Depth=1
                                        ; implicit-def: $vgpr4
                                        ; implicit-def: $vgpr5
	s_cbranch_execz .LBB1721_56
; %bb.64:
	s_and_saveexec_b32 s22, s7
	s_cbranch_execz .LBB1721_66
; %bb.65:
	s_add_i32 s24, s20, 32
	s_mov_b32 s25, 0
	v_dual_mov_b32 v3, 2 :: v_dual_add_nc_u32 v2, v16, v1
	s_lshl_b64 s[24:25], s[24:25], 3
	v_mov_b32_e32 v4, 0
	v_add_nc_u32_e64 v5, 0x3400, 0
	s_add_u32 s24, s18, s24
	s_addc_u32 s25, s19, s25
	global_store_b64 v4, v[2:3], s[24:25]
	ds_store_2addr_b32 v5, v1, v16 offset1:2
.LBB1721_66:
	s_or_b32 exec_lo, exec_lo, s22
	s_delay_alu instid0(SALU_CYCLE_1)
	s_and_b32 exec_lo, exec_lo, s2
	s_cbranch_execz .LBB1721_68
; %bb.67:
	v_mov_b32_e32 v1, 0
	ds_store_b32 v1, v16 offset:28
.LBB1721_68:
	s_or_b32 exec_lo, exec_lo, s21
	v_mov_b32_e32 v1, 0
	s_waitcnt lgkmcnt(0)
	s_waitcnt_vscnt null, 0x0
	s_barrier
	buffer_gl0_inv
	v_cndmask_b32_e64 v2, v9, v8, s7
	ds_load_b32 v1, v1 offset:28
	v_add_nc_u32_e64 v11, 0x3400, 0
	s_waitcnt lgkmcnt(0)
	s_barrier
	v_cndmask_b32_e64 v2, v2, 0, s2
	buffer_gl0_inv
	ds_load_2addr_b32 v[16:17], v11 offset1:2
	v_add_nc_u32_e32 v1, v1, v2
	s_delay_alu instid0(VALU_DEP_1) | instskip(NEXT) | instid1(VALU_DEP_1)
	v_add_nc_u32_e32 v2, v1, v44
	v_add_nc_u32_e32 v3, v2, v45
	s_delay_alu instid0(VALU_DEP_1) | instskip(NEXT) | instid1(VALU_DEP_1)
	v_add_nc_u32_e32 v4, v3, v46
	v_add_nc_u32_e32 v5, v4, v43
	s_delay_alu instid0(VALU_DEP_1) | instskip(NEXT) | instid1(VALU_DEP_1)
	v_add_nc_u32_e32 v6, v5, v47
	v_add_nc_u32_e32 v7, v6, v48
	s_delay_alu instid0(VALU_DEP_1) | instskip(NEXT) | instid1(VALU_DEP_1)
	v_add_nc_u32_e32 v8, v7, v49
	v_add_nc_u32_e32 v9, v8, v41
	s_delay_alu instid0(VALU_DEP_1) | instskip(NEXT) | instid1(VALU_DEP_1)
	v_add_nc_u32_e32 v10, v9, v50
	v_add_nc_u32_e32 v11, v10, v51
	s_delay_alu instid0(VALU_DEP_1) | instskip(NEXT) | instid1(VALU_DEP_1)
	v_add_nc_u32_e32 v12, v11, v52
	v_add_nc_u32_e32 v13, v12, v39
	s_branch .LBB1721_79
.LBB1721_69:
                                        ; implicit-def: $vgpr17
                                        ; implicit-def: $vgpr1_vgpr2_vgpr3_vgpr4_vgpr5_vgpr6_vgpr7_vgpr8_vgpr9_vgpr10_vgpr11_vgpr12_vgpr13_vgpr14_vgpr15_vgpr16
	s_and_b32 vcc_lo, exec_lo, s7
	s_cbranch_vccz .LBB1721_79
; %bb.70:
	s_delay_alu instid0(VALU_DEP_1) | instskip(NEXT) | instid1(VALU_DEP_1)
	v_mov_b32_dpp v1, v55 row_shr:1 row_mask:0xf bank_mask:0xf
	v_cndmask_b32_e64 v1, v1, 0, s6
	s_delay_alu instid0(VALU_DEP_1) | instskip(NEXT) | instid1(VALU_DEP_1)
	v_add_nc_u32_e32 v1, v1, v55
	v_mov_b32_dpp v2, v1 row_shr:2 row_mask:0xf bank_mask:0xf
	s_delay_alu instid0(VALU_DEP_1) | instskip(NEXT) | instid1(VALU_DEP_1)
	v_cndmask_b32_e64 v2, 0, v2, s5
	v_add_nc_u32_e32 v1, v1, v2
	s_delay_alu instid0(VALU_DEP_1) | instskip(NEXT) | instid1(VALU_DEP_1)
	v_mov_b32_dpp v2, v1 row_shr:4 row_mask:0xf bank_mask:0xf
	v_cndmask_b32_e64 v2, 0, v2, s4
	s_delay_alu instid0(VALU_DEP_1) | instskip(NEXT) | instid1(VALU_DEP_1)
	v_add_nc_u32_e32 v1, v1, v2
	v_mov_b32_dpp v2, v1 row_shr:8 row_mask:0xf bank_mask:0xf
	s_delay_alu instid0(VALU_DEP_1) | instskip(NEXT) | instid1(VALU_DEP_1)
	v_cndmask_b32_e64 v2, 0, v2, s3
	v_add_nc_u32_e32 v1, v1, v2
	ds_swizzle_b32 v2, v1 offset:swizzle(BROADCAST,32,15)
	s_waitcnt lgkmcnt(0)
	v_cndmask_b32_e64 v2, v2, 0, s1
	s_delay_alu instid0(VALU_DEP_1)
	v_add_nc_u32_e32 v1, v1, v2
	s_and_saveexec_b32 s1, s0
	s_cbranch_execz .LBB1721_72
; %bb.71:
	v_lshlrev_b32_e32 v2, 2, v54
	ds_store_b32 v2, v1
.LBB1721_72:
	s_or_b32 exec_lo, exec_lo, s1
	s_delay_alu instid0(SALU_CYCLE_1)
	s_mov_b32 s0, exec_lo
	s_waitcnt lgkmcnt(0)
	s_barrier
	buffer_gl0_inv
	v_cmpx_gt_u32_e32 8, v0
	s_cbranch_execz .LBB1721_74
; %bb.73:
	ds_load_b32 v2, v33
	s_waitcnt lgkmcnt(0)
	v_mov_b32_dpp v4, v2 row_shr:1 row_mask:0xf bank_mask:0xf
	v_and_b32_e32 v3, 7, v53
	s_delay_alu instid0(VALU_DEP_1) | instskip(NEXT) | instid1(VALU_DEP_3)
	v_cmp_ne_u32_e32 vcc_lo, 0, v3
	v_cndmask_b32_e32 v4, 0, v4, vcc_lo
	v_cmp_lt_u32_e32 vcc_lo, 1, v3
	s_delay_alu instid0(VALU_DEP_2) | instskip(NEXT) | instid1(VALU_DEP_1)
	v_add_nc_u32_e32 v2, v4, v2
	v_mov_b32_dpp v4, v2 row_shr:2 row_mask:0xf bank_mask:0xf
	s_delay_alu instid0(VALU_DEP_1) | instskip(SKIP_1) | instid1(VALU_DEP_2)
	v_cndmask_b32_e32 v4, 0, v4, vcc_lo
	v_cmp_lt_u32_e32 vcc_lo, 3, v3
	v_add_nc_u32_e32 v2, v2, v4
	s_delay_alu instid0(VALU_DEP_1) | instskip(NEXT) | instid1(VALU_DEP_1)
	v_mov_b32_dpp v4, v2 row_shr:4 row_mask:0xf bank_mask:0xf
	v_cndmask_b32_e32 v3, 0, v4, vcc_lo
	s_delay_alu instid0(VALU_DEP_1)
	v_add_nc_u32_e32 v2, v2, v3
	ds_store_b32 v33, v2
.LBB1721_74:
	s_or_b32 exec_lo, exec_lo, s0
	v_dual_mov_b32 v3, 0 :: v_dual_mov_b32 v2, 0
	s_mov_b32 s0, exec_lo
	s_waitcnt lgkmcnt(0)
	s_barrier
	buffer_gl0_inv
	v_cmpx_lt_u32_e32 31, v0
	s_cbranch_execz .LBB1721_76
; %bb.75:
	v_lshl_add_u32 v2, v54, 2, -4
	ds_load_b32 v2, v2
.LBB1721_76:
	s_or_b32 exec_lo, exec_lo, s0
	v_add_nc_u32_e32 v4, -1, v53
	s_waitcnt lgkmcnt(0)
	v_add_nc_u32_e32 v1, v2, v1
	ds_load_b32 v16, v3 offset:28
	v_cmp_gt_i32_e32 vcc_lo, 0, v4
	v_cndmask_b32_e32 v4, v4, v53, vcc_lo
	s_delay_alu instid0(VALU_DEP_1)
	v_lshlrev_b32_e32 v4, 2, v4
	ds_bpermute_b32 v1, v4, v1
	s_and_saveexec_b32 s0, s2
	s_cbranch_execz .LBB1721_78
; %bb.77:
	v_mov_b32_e32 v3, 0
	v_mov_b32_e32 v17, 2
	s_waitcnt lgkmcnt(1)
	global_store_b64 v3, v[16:17], s[18:19] offset:256
.LBB1721_78:
	s_or_b32 exec_lo, exec_lo, s0
	v_cmp_eq_u32_e32 vcc_lo, 0, v53
	s_waitcnt lgkmcnt(0)
	s_waitcnt_vscnt null, 0x0
	s_barrier
	buffer_gl0_inv
	v_mov_b32_e32 v17, 0
	v_cndmask_b32_e32 v1, v1, v2, vcc_lo
	s_delay_alu instid0(VALU_DEP_1) | instskip(NEXT) | instid1(VALU_DEP_1)
	v_cndmask_b32_e64 v1, v1, 0, s2
	v_add_nc_u32_e32 v2, v1, v44
	s_delay_alu instid0(VALU_DEP_1) | instskip(NEXT) | instid1(VALU_DEP_1)
	v_add_nc_u32_e32 v3, v2, v45
	v_add_nc_u32_e32 v4, v3, v46
	s_delay_alu instid0(VALU_DEP_1) | instskip(NEXT) | instid1(VALU_DEP_1)
	v_add_nc_u32_e32 v5, v4, v43
	;; [unrolled: 3-line block ×5, first 2 shown]
	v_add_nc_u32_e32 v12, v11, v52
	s_delay_alu instid0(VALU_DEP_1)
	v_add_nc_u32_e32 v13, v12, v39
.LBB1721_79:
	s_waitcnt lgkmcnt(0)
	v_sub_nc_u32_e32 v1, v1, v17
	v_sub_nc_u32_e32 v2, v2, v17
	v_add_nc_u32_e32 v36, v16, v36
	v_lshrrev_b32_e32 v47, 8, v42
	v_lshrrev_b32_e32 v46, 16, v42
	v_sub_nc_u32_e32 v4, v4, v17
	v_sub_nc_u32_e32 v3, v3, v17
	;; [unrolled: 1-line block ×3, first 2 shown]
	v_and_b32_e32 v42, 1, v42
	v_and_b32_e32 v47, 1, v47
	;; [unrolled: 1-line block ×3, first 2 shown]
	v_lshrrev_b32_e32 v45, 8, v40
	v_lshrrev_b32_e32 v44, 16, v40
	v_cmp_eq_u32_e32 vcc_lo, 1, v42
	v_and_b32_e32 v42, 1, v46
	v_sub_nc_u32_e32 v46, v36, v2
	v_lshrrev_b32_e32 v15, 8, v38
	v_lshrrev_b32_e32 v14, 16, v38
	v_cndmask_b32_e32 v1, v48, v1, vcc_lo
	v_cmp_eq_u32_e32 vcc_lo, 1, v47
	v_add_nc_u32_e32 v46, 1, v46
	s_delay_alu instid0(VALU_DEP_3)
	v_lshlrev_b32_e32 v1, 2, v1
	ds_store_b32 v1, v30
	v_cndmask_b32_e32 v1, v46, v2, vcc_lo
	v_sub_nc_u32_e32 v48, v36, v3
	v_sub_nc_u32_e32 v49, v36, v4
	v_cmp_eq_u32_e32 vcc_lo, 1, v42
	v_or_b32_e32 v30, 0x300, v0
	v_lshlrev_b32_e32 v1, 2, v1
	v_add_nc_u32_e32 v48, 2, v48
	v_add_nc_u32_e32 v49, 3, v49
	ds_store_b32 v1, v31
	v_cndmask_b32_e32 v2, v48, v3, vcc_lo
	v_cmp_eq_u32_e32 vcc_lo, 1, v43
	v_or_b32_e32 v31, 0x200, v0
	s_delay_alu instid0(VALU_DEP_3) | instskip(SKIP_2) | instid1(VALU_DEP_3)
	v_dual_cndmask_b32 v3, v49, v4 :: v_dual_lshlrev_b32 v2, 2, v2
	v_sub_nc_u32_e32 v4, v5, v17
	v_sub_nc_u32_e32 v5, v6, v17
	v_lshlrev_b32_e32 v3, 2, v3
	s_delay_alu instid0(VALU_DEP_3) | instskip(NEXT) | instid1(VALU_DEP_3)
	v_sub_nc_u32_e32 v1, v36, v4
	v_sub_nc_u32_e32 v6, v36, v5
	ds_store_b32 v2, v28
	ds_store_b32 v3, v29
	v_and_b32_e32 v2, 1, v40
	v_add_nc_u32_e32 v1, 4, v1
	v_add_nc_u32_e32 v3, 5, v6
	v_sub_nc_u32_e32 v6, v7, v17
	v_and_b32_e32 v7, 1, v45
	v_cmp_eq_u32_e32 vcc_lo, 1, v2
	v_sub_nc_u32_e32 v2, v8, v17
	v_and_b32_e32 v8, 1, v41
	v_or_b32_e32 v29, 0x400, v0
	v_or_b32_e32 v28, 0x500, v0
	v_cndmask_b32_e32 v1, v1, v4, vcc_lo
	v_sub_nc_u32_e32 v4, v36, v6
	v_cmp_eq_u32_e32 vcc_lo, 1, v7
	v_and_b32_e32 v7, 1, v44
	s_delay_alu instid0(VALU_DEP_4) | instskip(NEXT) | instid1(VALU_DEP_4)
	v_lshlrev_b32_e32 v1, 2, v1
	v_dual_cndmask_b32 v3, v3, v5 :: v_dual_add_nc_u32 v4, 6, v4
	v_sub_nc_u32_e32 v5, v36, v2
	s_delay_alu instid0(VALU_DEP_4) | instskip(SKIP_2) | instid1(VALU_DEP_4)
	v_cmp_eq_u32_e32 vcc_lo, 1, v7
	v_sub_nc_u32_e32 v7, v13, v17
	v_add_co_u32 v13, s0, s16, v32
	v_dual_cndmask_b32 v4, v4, v6 :: v_dual_add_nc_u32 v5, 7, v5
	v_cmp_eq_u32_e32 vcc_lo, 1, v8
	v_sub_nc_u32_e32 v6, v9, v17
	v_lshlrev_b32_e32 v3, 2, v3
	ds_store_b32 v1, v26
	ds_store_b32 v3, v27
	v_cndmask_b32_e32 v2, v5, v2, vcc_lo
	v_sub_nc_u32_e32 v1, v36, v6
	v_lshlrev_b32_e32 v3, 2, v4
	v_and_b32_e32 v5, 1, v38
	v_sub_nc_u32_e32 v4, v10, v17
	v_lshlrev_b32_e32 v2, 2, v2
	v_add_nc_u32_e32 v1, 8, v1
	ds_store_b32 v3, v24
	ds_store_b32 v2, v25
	v_cmp_eq_u32_e32 vcc_lo, 1, v5
	v_sub_nc_u32_e32 v3, v11, v17
	v_sub_nc_u32_e32 v2, v36, v4
	;; [unrolled: 1-line block ×3, first 2 shown]
	v_dual_cndmask_b32 v1, v1, v6 :: v_dual_and_b32 v10, 1, v39
	v_and_b32_e32 v6, 1, v15
	v_sub_nc_u32_e32 v8, v36, v3
	v_add_nc_u32_e32 v2, 9, v2
	v_sub_nc_u32_e32 v9, v36, v5
	v_and_b32_e32 v11, 1, v37
	v_cmp_eq_u32_e32 vcc_lo, 1, v6
	v_add_nc_u32_e32 v6, 10, v8
	v_and_b32_e32 v8, 1, v14
	v_add_nc_u32_e32 v9, 11, v9
	v_dual_cndmask_b32 v2, v2, v4 :: v_dual_lshlrev_b32 v1, 2, v1
	v_sub_nc_u32_e32 v4, v36, v7
	s_delay_alu instid0(VALU_DEP_4) | instskip(SKIP_1) | instid1(VALU_DEP_4)
	v_cmp_eq_u32_e32 vcc_lo, 1, v8
	v_add_co_ci_u32_e64 v14, null, s17, 0, s0
	v_lshlrev_b32_e32 v2, 2, v2
	s_delay_alu instid0(VALU_DEP_4)
	v_dual_cndmask_b32 v3, v6, v3 :: v_dual_add_nc_u32 v4, 12, v4
	v_cmp_eq_u32_e32 vcc_lo, 1, v10
	v_or_b32_e32 v27, 0x600, v0
	v_or_b32_e32 v26, 0x700, v0
	;; [unrolled: 1-line block ×3, first 2 shown]
	v_lshlrev_b32_e32 v3, 2, v3
	v_cndmask_b32_e32 v5, v9, v5, vcc_lo
	v_cmp_eq_u32_e32 vcc_lo, 1, v11
	v_or_b32_e32 v24, 0x900, v0
	s_delay_alu instid0(VALU_DEP_3) | instskip(SKIP_2) | instid1(VALU_DEP_3)
	v_dual_cndmask_b32 v4, v4, v7 :: v_dual_lshlrev_b32 v5, 2, v5
	v_sub_co_u32 v13, vcc_lo, s14, v13
	v_sub_co_ci_u32_e32 v14, vcc_lo, s15, v14, vcc_lo
	v_lshlrev_b32_e32 v4, 2, v4
	ds_store_b32 v1, v22
	ds_store_b32 v2, v23
	;; [unrolled: 1-line block ×5, first 2 shown]
	s_waitcnt lgkmcnt(0)
	s_barrier
	buffer_gl0_inv
	ds_load_2addr_stride64_b32 v[11:12], v33 offset1:4
	ds_load_2addr_stride64_b32 v[9:10], v33 offset0:8 offset1:12
	ds_load_2addr_stride64_b32 v[7:8], v33 offset0:16 offset1:20
	;; [unrolled: 1-line block ×5, first 2 shown]
	ds_load_b32 v20, v33 offset:12288
	v_add_co_u32 v15, vcc_lo, v18, v17
	v_add_co_ci_u32_e32 v17, vcc_lo, 0, v19, vcc_lo
	v_add_co_u32 v13, vcc_lo, v13, v16
	v_add_co_ci_u32_e32 v14, vcc_lo, 0, v14, vcc_lo
	v_cmp_ne_u32_e32 vcc_lo, 1, v34
	s_delay_alu instid0(VALU_DEP_3)
	v_add_co_u32 v18, s0, v13, v15
	v_or_b32_e32 v35, 0x100, v0
	v_or_b32_e32 v23, 0xa00, v0
	;; [unrolled: 1-line block ×4, first 2 shown]
	v_add_co_ci_u32_e64 v19, s0, v14, v17, s0
	s_mov_b32 s0, 0
	s_cbranch_vccnz .LBB1721_136
; %bb.80:
	s_mov_b32 s0, exec_lo
                                        ; implicit-def: $vgpr13_vgpr14
	v_cmpx_ge_u32_e64 v0, v16
	s_xor_b32 s0, exec_lo, s0
; %bb.81:
	v_not_b32_e32 v13, v0
	s_delay_alu instid0(VALU_DEP_1) | instskip(SKIP_1) | instid1(VALU_DEP_2)
	v_ashrrev_i32_e32 v14, 31, v13
	v_add_co_u32 v13, vcc_lo, v18, v13
	v_add_co_ci_u32_e32 v14, vcc_lo, v19, v14, vcc_lo
; %bb.82:
	s_and_not1_saveexec_b32 s0, s0
; %bb.83:
	v_add_co_u32 v13, vcc_lo, v15, v0
	v_add_co_ci_u32_e32 v14, vcc_lo, 0, v17, vcc_lo
; %bb.84:
	s_or_b32 exec_lo, exec_lo, s0
	s_delay_alu instid0(VALU_DEP_1) | instskip(SKIP_1) | instid1(VALU_DEP_1)
	v_lshlrev_b64 v[13:14], 2, v[13:14]
	s_mov_b32 s0, exec_lo
	v_add_co_u32 v13, vcc_lo, s12, v13
	s_delay_alu instid0(VALU_DEP_2)
	v_add_co_ci_u32_e32 v14, vcc_lo, s13, v14, vcc_lo
	s_waitcnt lgkmcnt(6)
	global_store_b32 v[13:14], v11, off
                                        ; implicit-def: $vgpr13_vgpr14
	v_cmpx_ge_u32_e64 v35, v16
	s_xor_b32 s0, exec_lo, s0
; %bb.85:
	v_xor_b32_e32 v13, 0xfffffeff, v0
	s_delay_alu instid0(VALU_DEP_1) | instskip(SKIP_1) | instid1(VALU_DEP_2)
	v_ashrrev_i32_e32 v14, 31, v13
	v_add_co_u32 v13, vcc_lo, v18, v13
	v_add_co_ci_u32_e32 v14, vcc_lo, v19, v14, vcc_lo
; %bb.86:
	s_and_not1_saveexec_b32 s0, s0
; %bb.87:
	v_add_co_u32 v13, vcc_lo, v15, v35
	v_add_co_ci_u32_e32 v14, vcc_lo, 0, v17, vcc_lo
; %bb.88:
	s_or_b32 exec_lo, exec_lo, s0
	s_delay_alu instid0(VALU_DEP_1) | instskip(SKIP_1) | instid1(VALU_DEP_1)
	v_lshlrev_b64 v[13:14], 2, v[13:14]
	s_mov_b32 s0, exec_lo
	v_add_co_u32 v13, vcc_lo, s12, v13
	s_delay_alu instid0(VALU_DEP_2)
	v_add_co_ci_u32_e32 v14, vcc_lo, s13, v14, vcc_lo
	global_store_b32 v[13:14], v12, off
                                        ; implicit-def: $vgpr13_vgpr14
	v_cmpx_ge_u32_e64 v31, v16
	s_xor_b32 s0, exec_lo, s0
; %bb.89:
	v_xor_b32_e32 v13, 0xfffffdff, v0
	s_delay_alu instid0(VALU_DEP_1) | instskip(SKIP_1) | instid1(VALU_DEP_2)
	v_ashrrev_i32_e32 v14, 31, v13
	v_add_co_u32 v13, vcc_lo, v18, v13
	v_add_co_ci_u32_e32 v14, vcc_lo, v19, v14, vcc_lo
; %bb.90:
	s_and_not1_saveexec_b32 s0, s0
; %bb.91:
	v_add_co_u32 v13, vcc_lo, v15, v31
	v_add_co_ci_u32_e32 v14, vcc_lo, 0, v17, vcc_lo
; %bb.92:
	s_or_b32 exec_lo, exec_lo, s0
	s_delay_alu instid0(VALU_DEP_1) | instskip(SKIP_1) | instid1(VALU_DEP_1)
	v_lshlrev_b64 v[13:14], 2, v[13:14]
	s_mov_b32 s0, exec_lo
	v_add_co_u32 v13, vcc_lo, s12, v13
	s_delay_alu instid0(VALU_DEP_2)
	v_add_co_ci_u32_e32 v14, vcc_lo, s13, v14, vcc_lo
	s_waitcnt lgkmcnt(5)
	global_store_b32 v[13:14], v9, off
                                        ; implicit-def: $vgpr13_vgpr14
	v_cmpx_ge_u32_e64 v30, v16
	s_xor_b32 s0, exec_lo, s0
; %bb.93:
	v_xor_b32_e32 v13, 0xfffffcff, v0
	s_delay_alu instid0(VALU_DEP_1) | instskip(SKIP_1) | instid1(VALU_DEP_2)
	v_ashrrev_i32_e32 v14, 31, v13
	v_add_co_u32 v13, vcc_lo, v18, v13
	v_add_co_ci_u32_e32 v14, vcc_lo, v19, v14, vcc_lo
; %bb.94:
	s_and_not1_saveexec_b32 s0, s0
; %bb.95:
	v_add_co_u32 v13, vcc_lo, v15, v30
	v_add_co_ci_u32_e32 v14, vcc_lo, 0, v17, vcc_lo
; %bb.96:
	s_or_b32 exec_lo, exec_lo, s0
	s_delay_alu instid0(VALU_DEP_1) | instskip(SKIP_1) | instid1(VALU_DEP_1)
	v_lshlrev_b64 v[13:14], 2, v[13:14]
	s_mov_b32 s0, exec_lo
	v_add_co_u32 v13, vcc_lo, s12, v13
	s_delay_alu instid0(VALU_DEP_2)
	v_add_co_ci_u32_e32 v14, vcc_lo, s13, v14, vcc_lo
	global_store_b32 v[13:14], v10, off
                                        ; implicit-def: $vgpr13_vgpr14
	v_cmpx_ge_u32_e64 v29, v16
	s_xor_b32 s0, exec_lo, s0
; %bb.97:
	v_xor_b32_e32 v13, 0xfffffbff, v0
	;; [unrolled: 47-line block ×6, first 2 shown]
	s_delay_alu instid0(VALU_DEP_1) | instskip(SKIP_1) | instid1(VALU_DEP_2)
	v_ashrrev_i32_e32 v14, 31, v13
	v_add_co_u32 v13, vcc_lo, v18, v13
	v_add_co_ci_u32_e32 v14, vcc_lo, v19, v14, vcc_lo
; %bb.130:
	s_and_not1_saveexec_b32 s0, s0
; %bb.131:
	v_add_co_u32 v13, vcc_lo, v15, v21
	v_add_co_ci_u32_e32 v14, vcc_lo, 0, v17, vcc_lo
; %bb.132:
	s_or_b32 exec_lo, exec_lo, s0
	s_mov_b32 s0, -1
.LBB1721_133:
	s_delay_alu instid0(SALU_CYCLE_1)
	s_and_saveexec_b32 s1, s0
	s_cbranch_execz .LBB1721_216
.LBB1721_134:
	s_waitcnt lgkmcnt(1)
	v_lshlrev_b64 v[0:1], 2, v[13:14]
	s_delay_alu instid0(VALU_DEP_1) | instskip(NEXT) | instid1(VALU_DEP_2)
	v_add_co_u32 v0, vcc_lo, s12, v0
	v_add_co_ci_u32_e32 v1, vcc_lo, s13, v1, vcc_lo
	s_waitcnt lgkmcnt(0)
	global_store_b32 v[0:1], v20, off
	s_or_b32 exec_lo, exec_lo, s1
	s_and_b32 s0, s2, s10
	s_delay_alu instid0(SALU_CYCLE_1)
	s_and_saveexec_b32 s1, s0
	s_cbranch_execnz .LBB1721_217
.LBB1721_135:
	s_nop 0
	s_sendmsg sendmsg(MSG_DEALLOC_VGPRS)
	s_endpgm
.LBB1721_136:
                                        ; implicit-def: $vgpr13_vgpr14
	s_cbranch_execz .LBB1721_133
; %bb.137:
	s_mov_b32 s1, exec_lo
	v_cmpx_gt_u32_e64 s11, v0
	s_cbranch_execz .LBB1721_173
; %bb.138:
	s_mov_b32 s3, exec_lo
                                        ; implicit-def: $vgpr13_vgpr14
	v_cmpx_ge_u32_e64 v0, v16
	s_xor_b32 s3, exec_lo, s3
; %bb.139:
	v_not_b32_e32 v13, v0
	s_delay_alu instid0(VALU_DEP_1) | instskip(SKIP_1) | instid1(VALU_DEP_2)
	v_ashrrev_i32_e32 v14, 31, v13
	v_add_co_u32 v13, vcc_lo, v18, v13
	v_add_co_ci_u32_e32 v14, vcc_lo, v19, v14, vcc_lo
; %bb.140:
	s_and_not1_saveexec_b32 s3, s3
; %bb.141:
	v_add_co_u32 v13, vcc_lo, v15, v0
	v_add_co_ci_u32_e32 v14, vcc_lo, 0, v17, vcc_lo
; %bb.142:
	s_or_b32 exec_lo, exec_lo, s3
	s_delay_alu instid0(VALU_DEP_1) | instskip(NEXT) | instid1(VALU_DEP_1)
	v_lshlrev_b64 v[13:14], 2, v[13:14]
	v_add_co_u32 v13, vcc_lo, s12, v13
	s_delay_alu instid0(VALU_DEP_2) | instskip(SKIP_3) | instid1(SALU_CYCLE_1)
	v_add_co_ci_u32_e32 v14, vcc_lo, s13, v14, vcc_lo
	s_waitcnt lgkmcnt(6)
	global_store_b32 v[13:14], v11, off
	s_or_b32 exec_lo, exec_lo, s1
	s_mov_b32 s1, exec_lo
	v_cmpx_gt_u32_e64 s11, v35
	s_cbranch_execnz .LBB1721_174
.LBB1721_143:
	s_or_b32 exec_lo, exec_lo, s1
	s_delay_alu instid0(SALU_CYCLE_1)
	s_mov_b32 s1, exec_lo
	v_cmpx_gt_u32_e64 s11, v31
	s_cbranch_execz .LBB1721_179
.LBB1721_144:
	s_mov_b32 s3, exec_lo
                                        ; implicit-def: $vgpr11_vgpr12
	v_cmpx_ge_u32_e64 v31, v16
	s_xor_b32 s3, exec_lo, s3
	s_cbranch_execz .LBB1721_146
; %bb.145:
	s_waitcnt lgkmcnt(6)
	v_xor_b32_e32 v11, 0xfffffdff, v0
                                        ; implicit-def: $vgpr31
	s_delay_alu instid0(VALU_DEP_1) | instskip(SKIP_1) | instid1(VALU_DEP_2)
	v_ashrrev_i32_e32 v12, 31, v11
	v_add_co_u32 v11, vcc_lo, v18, v11
	v_add_co_ci_u32_e32 v12, vcc_lo, v19, v12, vcc_lo
.LBB1721_146:
	s_and_not1_saveexec_b32 s3, s3
	s_cbranch_execz .LBB1721_148
; %bb.147:
	s_waitcnt lgkmcnt(6)
	v_add_co_u32 v11, vcc_lo, v15, v31
	v_add_co_ci_u32_e32 v12, vcc_lo, 0, v17, vcc_lo
.LBB1721_148:
	s_or_b32 exec_lo, exec_lo, s3
	s_waitcnt lgkmcnt(6)
	s_delay_alu instid0(VALU_DEP_1) | instskip(NEXT) | instid1(VALU_DEP_1)
	v_lshlrev_b64 v[11:12], 2, v[11:12]
	v_add_co_u32 v11, vcc_lo, s12, v11
	s_delay_alu instid0(VALU_DEP_2) | instskip(SKIP_3) | instid1(SALU_CYCLE_1)
	v_add_co_ci_u32_e32 v12, vcc_lo, s13, v12, vcc_lo
	s_waitcnt lgkmcnt(5)
	global_store_b32 v[11:12], v9, off
	s_or_b32 exec_lo, exec_lo, s1
	s_mov_b32 s1, exec_lo
	v_cmpx_gt_u32_e64 s11, v30
	s_cbranch_execnz .LBB1721_180
.LBB1721_149:
	s_or_b32 exec_lo, exec_lo, s1
	s_delay_alu instid0(SALU_CYCLE_1)
	s_mov_b32 s1, exec_lo
	v_cmpx_gt_u32_e64 s11, v29
	s_cbranch_execz .LBB1721_185
.LBB1721_150:
	s_mov_b32 s3, exec_lo
                                        ; implicit-def: $vgpr9_vgpr10
	v_cmpx_ge_u32_e64 v29, v16
	s_xor_b32 s3, exec_lo, s3
	s_cbranch_execz .LBB1721_152
; %bb.151:
	s_waitcnt lgkmcnt(5)
	v_xor_b32_e32 v9, 0xfffffbff, v0
                                        ; implicit-def: $vgpr29
	s_delay_alu instid0(VALU_DEP_1) | instskip(SKIP_1) | instid1(VALU_DEP_2)
	v_ashrrev_i32_e32 v10, 31, v9
	v_add_co_u32 v9, vcc_lo, v18, v9
	v_add_co_ci_u32_e32 v10, vcc_lo, v19, v10, vcc_lo
.LBB1721_152:
	s_and_not1_saveexec_b32 s3, s3
	s_cbranch_execz .LBB1721_154
; %bb.153:
	s_waitcnt lgkmcnt(5)
	v_add_co_u32 v9, vcc_lo, v15, v29
	v_add_co_ci_u32_e32 v10, vcc_lo, 0, v17, vcc_lo
.LBB1721_154:
	s_or_b32 exec_lo, exec_lo, s3
	s_waitcnt lgkmcnt(5)
	s_delay_alu instid0(VALU_DEP_1) | instskip(NEXT) | instid1(VALU_DEP_1)
	v_lshlrev_b64 v[9:10], 2, v[9:10]
	v_add_co_u32 v9, vcc_lo, s12, v9
	s_delay_alu instid0(VALU_DEP_2) | instskip(SKIP_3) | instid1(SALU_CYCLE_1)
	v_add_co_ci_u32_e32 v10, vcc_lo, s13, v10, vcc_lo
	s_waitcnt lgkmcnt(4)
	global_store_b32 v[9:10], v7, off
	s_or_b32 exec_lo, exec_lo, s1
	s_mov_b32 s1, exec_lo
	v_cmpx_gt_u32_e64 s11, v28
	s_cbranch_execnz .LBB1721_186
.LBB1721_155:
	s_or_b32 exec_lo, exec_lo, s1
	s_delay_alu instid0(SALU_CYCLE_1)
	s_mov_b32 s1, exec_lo
	v_cmpx_gt_u32_e64 s11, v27
	s_cbranch_execz .LBB1721_191
.LBB1721_156:
	s_mov_b32 s3, exec_lo
                                        ; implicit-def: $vgpr7_vgpr8
	v_cmpx_ge_u32_e64 v27, v16
	s_xor_b32 s3, exec_lo, s3
	s_cbranch_execz .LBB1721_158
; %bb.157:
	s_waitcnt lgkmcnt(4)
	v_xor_b32_e32 v7, 0xfffff9ff, v0
                                        ; implicit-def: $vgpr27
	s_delay_alu instid0(VALU_DEP_1) | instskip(SKIP_1) | instid1(VALU_DEP_2)
	v_ashrrev_i32_e32 v8, 31, v7
	v_add_co_u32 v7, vcc_lo, v18, v7
	v_add_co_ci_u32_e32 v8, vcc_lo, v19, v8, vcc_lo
.LBB1721_158:
	s_and_not1_saveexec_b32 s3, s3
	s_cbranch_execz .LBB1721_160
; %bb.159:
	s_waitcnt lgkmcnt(4)
	v_add_co_u32 v7, vcc_lo, v15, v27
	v_add_co_ci_u32_e32 v8, vcc_lo, 0, v17, vcc_lo
.LBB1721_160:
	s_or_b32 exec_lo, exec_lo, s3
	s_waitcnt lgkmcnt(4)
	s_delay_alu instid0(VALU_DEP_1) | instskip(NEXT) | instid1(VALU_DEP_1)
	v_lshlrev_b64 v[7:8], 2, v[7:8]
	v_add_co_u32 v7, vcc_lo, s12, v7
	s_delay_alu instid0(VALU_DEP_2) | instskip(SKIP_3) | instid1(SALU_CYCLE_1)
	v_add_co_ci_u32_e32 v8, vcc_lo, s13, v8, vcc_lo
	s_waitcnt lgkmcnt(3)
	global_store_b32 v[7:8], v5, off
	s_or_b32 exec_lo, exec_lo, s1
	s_mov_b32 s1, exec_lo
	v_cmpx_gt_u32_e64 s11, v26
	s_cbranch_execnz .LBB1721_192
.LBB1721_161:
	s_or_b32 exec_lo, exec_lo, s1
	s_delay_alu instid0(SALU_CYCLE_1)
	s_mov_b32 s1, exec_lo
	v_cmpx_gt_u32_e64 s11, v25
	s_cbranch_execz .LBB1721_197
.LBB1721_162:
	s_mov_b32 s3, exec_lo
                                        ; implicit-def: $vgpr5_vgpr6
	v_cmpx_ge_u32_e64 v25, v16
	s_xor_b32 s3, exec_lo, s3
	s_cbranch_execz .LBB1721_164
; %bb.163:
	s_waitcnt lgkmcnt(3)
	v_xor_b32_e32 v5, 0xfffff7ff, v0
                                        ; implicit-def: $vgpr25
	s_delay_alu instid0(VALU_DEP_1) | instskip(SKIP_1) | instid1(VALU_DEP_2)
	v_ashrrev_i32_e32 v6, 31, v5
	v_add_co_u32 v5, vcc_lo, v18, v5
	v_add_co_ci_u32_e32 v6, vcc_lo, v19, v6, vcc_lo
.LBB1721_164:
	s_and_not1_saveexec_b32 s3, s3
	s_cbranch_execz .LBB1721_166
; %bb.165:
	s_waitcnt lgkmcnt(3)
	v_add_co_u32 v5, vcc_lo, v15, v25
	v_add_co_ci_u32_e32 v6, vcc_lo, 0, v17, vcc_lo
.LBB1721_166:
	s_or_b32 exec_lo, exec_lo, s3
	s_waitcnt lgkmcnt(3)
	s_delay_alu instid0(VALU_DEP_1) | instskip(NEXT) | instid1(VALU_DEP_1)
	v_lshlrev_b64 v[5:6], 2, v[5:6]
	v_add_co_u32 v5, vcc_lo, s12, v5
	s_delay_alu instid0(VALU_DEP_2) | instskip(SKIP_3) | instid1(SALU_CYCLE_1)
	v_add_co_ci_u32_e32 v6, vcc_lo, s13, v6, vcc_lo
	s_waitcnt lgkmcnt(2)
	global_store_b32 v[5:6], v3, off
	s_or_b32 exec_lo, exec_lo, s1
	s_mov_b32 s1, exec_lo
	v_cmpx_gt_u32_e64 s11, v24
	s_cbranch_execnz .LBB1721_198
.LBB1721_167:
	s_or_b32 exec_lo, exec_lo, s1
	s_delay_alu instid0(SALU_CYCLE_1)
	s_mov_b32 s1, exec_lo
	v_cmpx_gt_u32_e64 s11, v23
	s_cbranch_execz .LBB1721_203
.LBB1721_168:
	s_mov_b32 s3, exec_lo
                                        ; implicit-def: $vgpr3_vgpr4
	v_cmpx_ge_u32_e64 v23, v16
	s_xor_b32 s3, exec_lo, s3
	s_cbranch_execz .LBB1721_170
; %bb.169:
	s_waitcnt lgkmcnt(2)
	v_xor_b32_e32 v3, 0xfffff5ff, v0
                                        ; implicit-def: $vgpr23
	s_delay_alu instid0(VALU_DEP_1) | instskip(SKIP_1) | instid1(VALU_DEP_2)
	v_ashrrev_i32_e32 v4, 31, v3
	v_add_co_u32 v3, vcc_lo, v18, v3
	v_add_co_ci_u32_e32 v4, vcc_lo, v19, v4, vcc_lo
.LBB1721_170:
	s_and_not1_saveexec_b32 s3, s3
	s_cbranch_execz .LBB1721_172
; %bb.171:
	s_waitcnt lgkmcnt(2)
	v_add_co_u32 v3, vcc_lo, v15, v23
	v_add_co_ci_u32_e32 v4, vcc_lo, 0, v17, vcc_lo
.LBB1721_172:
	s_or_b32 exec_lo, exec_lo, s3
	s_waitcnt lgkmcnt(2)
	s_delay_alu instid0(VALU_DEP_1) | instskip(NEXT) | instid1(VALU_DEP_1)
	v_lshlrev_b64 v[3:4], 2, v[3:4]
	v_add_co_u32 v3, vcc_lo, s12, v3
	s_delay_alu instid0(VALU_DEP_2) | instskip(SKIP_3) | instid1(SALU_CYCLE_1)
	v_add_co_ci_u32_e32 v4, vcc_lo, s13, v4, vcc_lo
	s_waitcnt lgkmcnt(1)
	global_store_b32 v[3:4], v1, off
	s_or_b32 exec_lo, exec_lo, s1
	s_mov_b32 s1, exec_lo
	v_cmpx_gt_u32_e64 s11, v22
	s_cbranch_execz .LBB1721_209
	s_branch .LBB1721_204
.LBB1721_173:
	s_or_b32 exec_lo, exec_lo, s1
	s_delay_alu instid0(SALU_CYCLE_1)
	s_mov_b32 s1, exec_lo
	v_cmpx_gt_u32_e64 s11, v35
	s_cbranch_execz .LBB1721_143
.LBB1721_174:
	s_mov_b32 s3, exec_lo
                                        ; implicit-def: $vgpr13_vgpr14
	v_cmpx_ge_u32_e64 v35, v16
	s_xor_b32 s3, exec_lo, s3
	s_cbranch_execz .LBB1721_176
; %bb.175:
	s_waitcnt lgkmcnt(6)
	v_xor_b32_e32 v11, 0xfffffeff, v0
                                        ; implicit-def: $vgpr35
	s_delay_alu instid0(VALU_DEP_1) | instskip(SKIP_1) | instid1(VALU_DEP_2)
	v_ashrrev_i32_e32 v14, 31, v11
	v_add_co_u32 v13, vcc_lo, v18, v11
	v_add_co_ci_u32_e32 v14, vcc_lo, v19, v14, vcc_lo
.LBB1721_176:
	s_and_not1_saveexec_b32 s3, s3
; %bb.177:
	v_add_co_u32 v13, vcc_lo, v15, v35
	v_add_co_ci_u32_e32 v14, vcc_lo, 0, v17, vcc_lo
; %bb.178:
	s_or_b32 exec_lo, exec_lo, s3
	s_delay_alu instid0(VALU_DEP_1) | instskip(NEXT) | instid1(VALU_DEP_1)
	v_lshlrev_b64 v[13:14], 2, v[13:14]
	v_add_co_u32 v13, vcc_lo, s12, v13
	s_delay_alu instid0(VALU_DEP_2) | instskip(SKIP_3) | instid1(SALU_CYCLE_1)
	v_add_co_ci_u32_e32 v14, vcc_lo, s13, v14, vcc_lo
	s_waitcnt lgkmcnt(6)
	global_store_b32 v[13:14], v12, off
	s_or_b32 exec_lo, exec_lo, s1
	s_mov_b32 s1, exec_lo
	v_cmpx_gt_u32_e64 s11, v31
	s_cbranch_execnz .LBB1721_144
.LBB1721_179:
	s_or_b32 exec_lo, exec_lo, s1
	s_delay_alu instid0(SALU_CYCLE_1)
	s_mov_b32 s1, exec_lo
	v_cmpx_gt_u32_e64 s11, v30
	s_cbranch_execz .LBB1721_149
.LBB1721_180:
	s_mov_b32 s3, exec_lo
                                        ; implicit-def: $vgpr11_vgpr12
	v_cmpx_ge_u32_e64 v30, v16
	s_xor_b32 s3, exec_lo, s3
	s_cbranch_execz .LBB1721_182
; %bb.181:
	s_waitcnt lgkmcnt(5)
	v_xor_b32_e32 v9, 0xfffffcff, v0
                                        ; implicit-def: $vgpr30
	s_delay_alu instid0(VALU_DEP_1) | instskip(SKIP_1) | instid1(VALU_DEP_2)
	v_ashrrev_i32_e32 v12, 31, v9
	v_add_co_u32 v11, vcc_lo, v18, v9
	v_add_co_ci_u32_e32 v12, vcc_lo, v19, v12, vcc_lo
.LBB1721_182:
	s_and_not1_saveexec_b32 s3, s3
	s_cbranch_execz .LBB1721_184
; %bb.183:
	s_waitcnt lgkmcnt(6)
	v_add_co_u32 v11, vcc_lo, v15, v30
	v_add_co_ci_u32_e32 v12, vcc_lo, 0, v17, vcc_lo
.LBB1721_184:
	s_or_b32 exec_lo, exec_lo, s3
	s_waitcnt lgkmcnt(6)
	s_delay_alu instid0(VALU_DEP_1) | instskip(NEXT) | instid1(VALU_DEP_1)
	v_lshlrev_b64 v[11:12], 2, v[11:12]
	v_add_co_u32 v11, vcc_lo, s12, v11
	s_delay_alu instid0(VALU_DEP_2) | instskip(SKIP_3) | instid1(SALU_CYCLE_1)
	v_add_co_ci_u32_e32 v12, vcc_lo, s13, v12, vcc_lo
	s_waitcnt lgkmcnt(5)
	global_store_b32 v[11:12], v10, off
	s_or_b32 exec_lo, exec_lo, s1
	s_mov_b32 s1, exec_lo
	v_cmpx_gt_u32_e64 s11, v29
	s_cbranch_execnz .LBB1721_150
.LBB1721_185:
	s_or_b32 exec_lo, exec_lo, s1
	s_delay_alu instid0(SALU_CYCLE_1)
	s_mov_b32 s1, exec_lo
	v_cmpx_gt_u32_e64 s11, v28
	s_cbranch_execz .LBB1721_155
.LBB1721_186:
	s_mov_b32 s3, exec_lo
                                        ; implicit-def: $vgpr9_vgpr10
	v_cmpx_ge_u32_e64 v28, v16
	s_xor_b32 s3, exec_lo, s3
	s_cbranch_execz .LBB1721_188
; %bb.187:
	s_waitcnt lgkmcnt(4)
	v_xor_b32_e32 v7, 0xfffffaff, v0
                                        ; implicit-def: $vgpr28
	s_delay_alu instid0(VALU_DEP_1) | instskip(SKIP_1) | instid1(VALU_DEP_2)
	v_ashrrev_i32_e32 v10, 31, v7
	v_add_co_u32 v9, vcc_lo, v18, v7
	v_add_co_ci_u32_e32 v10, vcc_lo, v19, v10, vcc_lo
.LBB1721_188:
	s_and_not1_saveexec_b32 s3, s3
	s_cbranch_execz .LBB1721_190
; %bb.189:
	s_waitcnt lgkmcnt(5)
	v_add_co_u32 v9, vcc_lo, v15, v28
	v_add_co_ci_u32_e32 v10, vcc_lo, 0, v17, vcc_lo
.LBB1721_190:
	s_or_b32 exec_lo, exec_lo, s3
	s_waitcnt lgkmcnt(5)
	s_delay_alu instid0(VALU_DEP_1) | instskip(NEXT) | instid1(VALU_DEP_1)
	v_lshlrev_b64 v[9:10], 2, v[9:10]
	v_add_co_u32 v9, vcc_lo, s12, v9
	s_delay_alu instid0(VALU_DEP_2) | instskip(SKIP_3) | instid1(SALU_CYCLE_1)
	v_add_co_ci_u32_e32 v10, vcc_lo, s13, v10, vcc_lo
	s_waitcnt lgkmcnt(4)
	global_store_b32 v[9:10], v8, off
	s_or_b32 exec_lo, exec_lo, s1
	s_mov_b32 s1, exec_lo
	v_cmpx_gt_u32_e64 s11, v27
	s_cbranch_execnz .LBB1721_156
.LBB1721_191:
	s_or_b32 exec_lo, exec_lo, s1
	s_delay_alu instid0(SALU_CYCLE_1)
	s_mov_b32 s1, exec_lo
	v_cmpx_gt_u32_e64 s11, v26
	s_cbranch_execz .LBB1721_161
.LBB1721_192:
	s_mov_b32 s3, exec_lo
                                        ; implicit-def: $vgpr7_vgpr8
	v_cmpx_ge_u32_e64 v26, v16
	s_xor_b32 s3, exec_lo, s3
	s_cbranch_execz .LBB1721_194
; %bb.193:
	s_waitcnt lgkmcnt(3)
	v_xor_b32_e32 v5, 0xfffff8ff, v0
                                        ; implicit-def: $vgpr26
	s_delay_alu instid0(VALU_DEP_1) | instskip(SKIP_1) | instid1(VALU_DEP_2)
	v_ashrrev_i32_e32 v8, 31, v5
	v_add_co_u32 v7, vcc_lo, v18, v5
	v_add_co_ci_u32_e32 v8, vcc_lo, v19, v8, vcc_lo
.LBB1721_194:
	s_and_not1_saveexec_b32 s3, s3
	s_cbranch_execz .LBB1721_196
; %bb.195:
	s_waitcnt lgkmcnt(4)
	v_add_co_u32 v7, vcc_lo, v15, v26
	v_add_co_ci_u32_e32 v8, vcc_lo, 0, v17, vcc_lo
.LBB1721_196:
	s_or_b32 exec_lo, exec_lo, s3
	s_waitcnt lgkmcnt(4)
	s_delay_alu instid0(VALU_DEP_1) | instskip(NEXT) | instid1(VALU_DEP_1)
	v_lshlrev_b64 v[7:8], 2, v[7:8]
	v_add_co_u32 v7, vcc_lo, s12, v7
	s_delay_alu instid0(VALU_DEP_2) | instskip(SKIP_3) | instid1(SALU_CYCLE_1)
	v_add_co_ci_u32_e32 v8, vcc_lo, s13, v8, vcc_lo
	s_waitcnt lgkmcnt(3)
	global_store_b32 v[7:8], v6, off
	s_or_b32 exec_lo, exec_lo, s1
	s_mov_b32 s1, exec_lo
	v_cmpx_gt_u32_e64 s11, v25
	s_cbranch_execnz .LBB1721_162
.LBB1721_197:
	s_or_b32 exec_lo, exec_lo, s1
	s_delay_alu instid0(SALU_CYCLE_1)
	s_mov_b32 s1, exec_lo
	v_cmpx_gt_u32_e64 s11, v24
	s_cbranch_execz .LBB1721_167
.LBB1721_198:
	s_mov_b32 s3, exec_lo
                                        ; implicit-def: $vgpr5_vgpr6
	v_cmpx_ge_u32_e64 v24, v16
	s_xor_b32 s3, exec_lo, s3
	s_cbranch_execz .LBB1721_200
; %bb.199:
	s_waitcnt lgkmcnt(2)
	v_xor_b32_e32 v3, 0xfffff6ff, v0
                                        ; implicit-def: $vgpr24
	s_delay_alu instid0(VALU_DEP_1) | instskip(SKIP_1) | instid1(VALU_DEP_2)
	v_ashrrev_i32_e32 v6, 31, v3
	v_add_co_u32 v5, vcc_lo, v18, v3
	v_add_co_ci_u32_e32 v6, vcc_lo, v19, v6, vcc_lo
.LBB1721_200:
	s_and_not1_saveexec_b32 s3, s3
	s_cbranch_execz .LBB1721_202
; %bb.201:
	s_waitcnt lgkmcnt(3)
	v_add_co_u32 v5, vcc_lo, v15, v24
	v_add_co_ci_u32_e32 v6, vcc_lo, 0, v17, vcc_lo
.LBB1721_202:
	s_or_b32 exec_lo, exec_lo, s3
	s_waitcnt lgkmcnt(3)
	s_delay_alu instid0(VALU_DEP_1) | instskip(NEXT) | instid1(VALU_DEP_1)
	v_lshlrev_b64 v[5:6], 2, v[5:6]
	v_add_co_u32 v5, vcc_lo, s12, v5
	s_delay_alu instid0(VALU_DEP_2) | instskip(SKIP_3) | instid1(SALU_CYCLE_1)
	v_add_co_ci_u32_e32 v6, vcc_lo, s13, v6, vcc_lo
	s_waitcnt lgkmcnt(2)
	global_store_b32 v[5:6], v4, off
	s_or_b32 exec_lo, exec_lo, s1
	s_mov_b32 s1, exec_lo
	v_cmpx_gt_u32_e64 s11, v23
	s_cbranch_execnz .LBB1721_168
.LBB1721_203:
	s_or_b32 exec_lo, exec_lo, s1
	s_delay_alu instid0(SALU_CYCLE_1)
	s_mov_b32 s1, exec_lo
	v_cmpx_gt_u32_e64 s11, v22
	s_cbranch_execz .LBB1721_209
.LBB1721_204:
	s_mov_b32 s3, exec_lo
                                        ; implicit-def: $vgpr3_vgpr4
	v_cmpx_ge_u32_e64 v22, v16
	s_xor_b32 s3, exec_lo, s3
	s_cbranch_execz .LBB1721_206
; %bb.205:
	s_waitcnt lgkmcnt(1)
	v_xor_b32_e32 v1, 0xfffff4ff, v0
                                        ; implicit-def: $vgpr22
	s_delay_alu instid0(VALU_DEP_1) | instskip(SKIP_1) | instid1(VALU_DEP_2)
	v_ashrrev_i32_e32 v4, 31, v1
	v_add_co_u32 v3, vcc_lo, v18, v1
	v_add_co_ci_u32_e32 v4, vcc_lo, v19, v4, vcc_lo
.LBB1721_206:
	s_and_not1_saveexec_b32 s3, s3
	s_cbranch_execz .LBB1721_208
; %bb.207:
	s_waitcnt lgkmcnt(2)
	v_add_co_u32 v3, vcc_lo, v15, v22
	v_add_co_ci_u32_e32 v4, vcc_lo, 0, v17, vcc_lo
.LBB1721_208:
	s_or_b32 exec_lo, exec_lo, s3
	s_waitcnt lgkmcnt(2)
	s_delay_alu instid0(VALU_DEP_1) | instskip(NEXT) | instid1(VALU_DEP_1)
	v_lshlrev_b64 v[3:4], 2, v[3:4]
	v_add_co_u32 v3, vcc_lo, s12, v3
	s_delay_alu instid0(VALU_DEP_2)
	v_add_co_ci_u32_e32 v4, vcc_lo, s13, v4, vcc_lo
	s_waitcnt lgkmcnt(1)
	global_store_b32 v[3:4], v2, off
.LBB1721_209:
	s_or_b32 exec_lo, exec_lo, s1
	s_delay_alu instid0(SALU_CYCLE_1)
	s_mov_b32 s1, exec_lo
                                        ; implicit-def: $vgpr13_vgpr14
	v_cmpx_gt_u32_e64 s11, v21
	s_cbranch_execz .LBB1721_215
; %bb.210:
	s_mov_b32 s3, exec_lo
                                        ; implicit-def: $vgpr13_vgpr14
	v_cmpx_ge_u32_e64 v21, v16
	s_xor_b32 s3, exec_lo, s3
	s_cbranch_execz .LBB1721_212
; %bb.211:
	v_xor_b32_e32 v0, 0xfffff3ff, v0
                                        ; implicit-def: $vgpr21
	s_waitcnt lgkmcnt(1)
	s_delay_alu instid0(VALU_DEP_1) | instskip(SKIP_1) | instid1(VALU_DEP_2)
	v_ashrrev_i32_e32 v1, 31, v0
	v_add_co_u32 v13, vcc_lo, v18, v0
	v_add_co_ci_u32_e32 v14, vcc_lo, v19, v1, vcc_lo
.LBB1721_212:
	s_and_not1_saveexec_b32 s3, s3
; %bb.213:
	v_add_co_u32 v13, vcc_lo, v15, v21
	v_add_co_ci_u32_e32 v14, vcc_lo, 0, v17, vcc_lo
; %bb.214:
	s_or_b32 exec_lo, exec_lo, s3
	s_delay_alu instid0(SALU_CYCLE_1)
	s_or_b32 s0, s0, exec_lo
.LBB1721_215:
	s_or_b32 exec_lo, exec_lo, s1
	s_and_saveexec_b32 s1, s0
	s_cbranch_execnz .LBB1721_134
.LBB1721_216:
	s_or_b32 exec_lo, exec_lo, s1
	s_and_b32 s0, s2, s10
	s_delay_alu instid0(SALU_CYCLE_1)
	s_and_saveexec_b32 s1, s0
	s_cbranch_execz .LBB1721_135
.LBB1721_217:
	v_add_co_u32 v0, vcc_lo, v15, v16
	s_waitcnt lgkmcnt(1)
	v_mov_b32_e32 v2, 0
	v_add_co_ci_u32_e32 v1, vcc_lo, 0, v17, vcc_lo
	global_store_b64 v2, v[0:1], s[8:9]
	s_nop 0
	s_sendmsg sendmsg(MSG_DEALLOC_VGPRS)
	s_endpgm
	.section	.rodata,"a",@progbits
	.p2align	6, 0x0
	.amdhsa_kernel _ZN7rocprim17ROCPRIM_400000_NS6detail17trampoline_kernelINS0_13select_configILj256ELj13ELNS0_17block_load_methodE3ELS4_3ELS4_3ELNS0_20block_scan_algorithmE0ELj4294967295EEENS1_25partition_config_selectorILNS1_17partition_subalgoE3EjNS0_10empty_typeEbEEZZNS1_14partition_implILS8_3ELb0ES6_jNS0_17counting_iteratorIjlEEPS9_SE_NS0_5tupleIJPjSE_EEENSF_IJSE_SE_EEES9_SG_JZNS1_25segmented_radix_sort_implINS0_14default_configELb1EPK6__halfPSL_PKlPlN2at6native12_GLOBAL__N_18offset_tEEE10hipError_tPvRmT1_PNSt15iterator_traitsISZ_E10value_typeET2_T3_PNS10_IS15_E10value_typeET4_jRbjT5_S1B_jjP12ihipStream_tbEUljE_EEESW_SX_SY_S15_S19_S1B_T6_T7_T9_mT8_S1D_bDpT10_ENKUlT_T0_E_clISt17integral_constantIbLb1EES1Q_EEDaS1L_S1M_EUlS1L_E_NS1_11comp_targetILNS1_3genE9ELNS1_11target_archE1100ELNS1_3gpuE3ELNS1_3repE0EEENS1_30default_config_static_selectorELNS0_4arch9wavefront6targetE0EEEvSZ_
		.amdhsa_group_segment_fixed_size 13324
		.amdhsa_private_segment_fixed_size 0
		.amdhsa_kernarg_size 152
		.amdhsa_user_sgpr_count 15
		.amdhsa_user_sgpr_dispatch_ptr 0
		.amdhsa_user_sgpr_queue_ptr 0
		.amdhsa_user_sgpr_kernarg_segment_ptr 1
		.amdhsa_user_sgpr_dispatch_id 0
		.amdhsa_user_sgpr_private_segment_size 0
		.amdhsa_wavefront_size32 1
		.amdhsa_uses_dynamic_stack 0
		.amdhsa_enable_private_segment 0
		.amdhsa_system_sgpr_workgroup_id_x 1
		.amdhsa_system_sgpr_workgroup_id_y 0
		.amdhsa_system_sgpr_workgroup_id_z 0
		.amdhsa_system_sgpr_workgroup_info 0
		.amdhsa_system_vgpr_workitem_id 0
		.amdhsa_next_free_vgpr 60
		.amdhsa_next_free_sgpr 26
		.amdhsa_reserve_vcc 1
		.amdhsa_float_round_mode_32 0
		.amdhsa_float_round_mode_16_64 0
		.amdhsa_float_denorm_mode_32 3
		.amdhsa_float_denorm_mode_16_64 3
		.amdhsa_dx10_clamp 1
		.amdhsa_ieee_mode 1
		.amdhsa_fp16_overflow 0
		.amdhsa_workgroup_processor_mode 1
		.amdhsa_memory_ordered 1
		.amdhsa_forward_progress 0
		.amdhsa_shared_vgpr_count 0
		.amdhsa_exception_fp_ieee_invalid_op 0
		.amdhsa_exception_fp_denorm_src 0
		.amdhsa_exception_fp_ieee_div_zero 0
		.amdhsa_exception_fp_ieee_overflow 0
		.amdhsa_exception_fp_ieee_underflow 0
		.amdhsa_exception_fp_ieee_inexact 0
		.amdhsa_exception_int_div_zero 0
	.end_amdhsa_kernel
	.section	.text._ZN7rocprim17ROCPRIM_400000_NS6detail17trampoline_kernelINS0_13select_configILj256ELj13ELNS0_17block_load_methodE3ELS4_3ELS4_3ELNS0_20block_scan_algorithmE0ELj4294967295EEENS1_25partition_config_selectorILNS1_17partition_subalgoE3EjNS0_10empty_typeEbEEZZNS1_14partition_implILS8_3ELb0ES6_jNS0_17counting_iteratorIjlEEPS9_SE_NS0_5tupleIJPjSE_EEENSF_IJSE_SE_EEES9_SG_JZNS1_25segmented_radix_sort_implINS0_14default_configELb1EPK6__halfPSL_PKlPlN2at6native12_GLOBAL__N_18offset_tEEE10hipError_tPvRmT1_PNSt15iterator_traitsISZ_E10value_typeET2_T3_PNS10_IS15_E10value_typeET4_jRbjT5_S1B_jjP12ihipStream_tbEUljE_EEESW_SX_SY_S15_S19_S1B_T6_T7_T9_mT8_S1D_bDpT10_ENKUlT_T0_E_clISt17integral_constantIbLb1EES1Q_EEDaS1L_S1M_EUlS1L_E_NS1_11comp_targetILNS1_3genE9ELNS1_11target_archE1100ELNS1_3gpuE3ELNS1_3repE0EEENS1_30default_config_static_selectorELNS0_4arch9wavefront6targetE0EEEvSZ_,"axG",@progbits,_ZN7rocprim17ROCPRIM_400000_NS6detail17trampoline_kernelINS0_13select_configILj256ELj13ELNS0_17block_load_methodE3ELS4_3ELS4_3ELNS0_20block_scan_algorithmE0ELj4294967295EEENS1_25partition_config_selectorILNS1_17partition_subalgoE3EjNS0_10empty_typeEbEEZZNS1_14partition_implILS8_3ELb0ES6_jNS0_17counting_iteratorIjlEEPS9_SE_NS0_5tupleIJPjSE_EEENSF_IJSE_SE_EEES9_SG_JZNS1_25segmented_radix_sort_implINS0_14default_configELb1EPK6__halfPSL_PKlPlN2at6native12_GLOBAL__N_18offset_tEEE10hipError_tPvRmT1_PNSt15iterator_traitsISZ_E10value_typeET2_T3_PNS10_IS15_E10value_typeET4_jRbjT5_S1B_jjP12ihipStream_tbEUljE_EEESW_SX_SY_S15_S19_S1B_T6_T7_T9_mT8_S1D_bDpT10_ENKUlT_T0_E_clISt17integral_constantIbLb1EES1Q_EEDaS1L_S1M_EUlS1L_E_NS1_11comp_targetILNS1_3genE9ELNS1_11target_archE1100ELNS1_3gpuE3ELNS1_3repE0EEENS1_30default_config_static_selectorELNS0_4arch9wavefront6targetE0EEEvSZ_,comdat
.Lfunc_end1721:
	.size	_ZN7rocprim17ROCPRIM_400000_NS6detail17trampoline_kernelINS0_13select_configILj256ELj13ELNS0_17block_load_methodE3ELS4_3ELS4_3ELNS0_20block_scan_algorithmE0ELj4294967295EEENS1_25partition_config_selectorILNS1_17partition_subalgoE3EjNS0_10empty_typeEbEEZZNS1_14partition_implILS8_3ELb0ES6_jNS0_17counting_iteratorIjlEEPS9_SE_NS0_5tupleIJPjSE_EEENSF_IJSE_SE_EEES9_SG_JZNS1_25segmented_radix_sort_implINS0_14default_configELb1EPK6__halfPSL_PKlPlN2at6native12_GLOBAL__N_18offset_tEEE10hipError_tPvRmT1_PNSt15iterator_traitsISZ_E10value_typeET2_T3_PNS10_IS15_E10value_typeET4_jRbjT5_S1B_jjP12ihipStream_tbEUljE_EEESW_SX_SY_S15_S19_S1B_T6_T7_T9_mT8_S1D_bDpT10_ENKUlT_T0_E_clISt17integral_constantIbLb1EES1Q_EEDaS1L_S1M_EUlS1L_E_NS1_11comp_targetILNS1_3genE9ELNS1_11target_archE1100ELNS1_3gpuE3ELNS1_3repE0EEENS1_30default_config_static_selectorELNS0_4arch9wavefront6targetE0EEEvSZ_, .Lfunc_end1721-_ZN7rocprim17ROCPRIM_400000_NS6detail17trampoline_kernelINS0_13select_configILj256ELj13ELNS0_17block_load_methodE3ELS4_3ELS4_3ELNS0_20block_scan_algorithmE0ELj4294967295EEENS1_25partition_config_selectorILNS1_17partition_subalgoE3EjNS0_10empty_typeEbEEZZNS1_14partition_implILS8_3ELb0ES6_jNS0_17counting_iteratorIjlEEPS9_SE_NS0_5tupleIJPjSE_EEENSF_IJSE_SE_EEES9_SG_JZNS1_25segmented_radix_sort_implINS0_14default_configELb1EPK6__halfPSL_PKlPlN2at6native12_GLOBAL__N_18offset_tEEE10hipError_tPvRmT1_PNSt15iterator_traitsISZ_E10value_typeET2_T3_PNS10_IS15_E10value_typeET4_jRbjT5_S1B_jjP12ihipStream_tbEUljE_EEESW_SX_SY_S15_S19_S1B_T6_T7_T9_mT8_S1D_bDpT10_ENKUlT_T0_E_clISt17integral_constantIbLb1EES1Q_EEDaS1L_S1M_EUlS1L_E_NS1_11comp_targetILNS1_3genE9ELNS1_11target_archE1100ELNS1_3gpuE3ELNS1_3repE0EEENS1_30default_config_static_selectorELNS0_4arch9wavefront6targetE0EEEvSZ_
                                        ; -- End function
	.section	.AMDGPU.csdata,"",@progbits
; Kernel info:
; codeLenInByte = 9140
; NumSgprs: 28
; NumVgprs: 60
; ScratchSize: 0
; MemoryBound: 0
; FloatMode: 240
; IeeeMode: 1
; LDSByteSize: 13324 bytes/workgroup (compile time only)
; SGPRBlocks: 3
; VGPRBlocks: 7
; NumSGPRsForWavesPerEU: 28
; NumVGPRsForWavesPerEU: 60
; Occupancy: 16
; WaveLimiterHint : 0
; COMPUTE_PGM_RSRC2:SCRATCH_EN: 0
; COMPUTE_PGM_RSRC2:USER_SGPR: 15
; COMPUTE_PGM_RSRC2:TRAP_HANDLER: 0
; COMPUTE_PGM_RSRC2:TGID_X_EN: 1
; COMPUTE_PGM_RSRC2:TGID_Y_EN: 0
; COMPUTE_PGM_RSRC2:TGID_Z_EN: 0
; COMPUTE_PGM_RSRC2:TIDIG_COMP_CNT: 0
	.section	.text._ZN7rocprim17ROCPRIM_400000_NS6detail17trampoline_kernelINS0_13select_configILj256ELj13ELNS0_17block_load_methodE3ELS4_3ELS4_3ELNS0_20block_scan_algorithmE0ELj4294967295EEENS1_25partition_config_selectorILNS1_17partition_subalgoE3EjNS0_10empty_typeEbEEZZNS1_14partition_implILS8_3ELb0ES6_jNS0_17counting_iteratorIjlEEPS9_SE_NS0_5tupleIJPjSE_EEENSF_IJSE_SE_EEES9_SG_JZNS1_25segmented_radix_sort_implINS0_14default_configELb1EPK6__halfPSL_PKlPlN2at6native12_GLOBAL__N_18offset_tEEE10hipError_tPvRmT1_PNSt15iterator_traitsISZ_E10value_typeET2_T3_PNS10_IS15_E10value_typeET4_jRbjT5_S1B_jjP12ihipStream_tbEUljE_EEESW_SX_SY_S15_S19_S1B_T6_T7_T9_mT8_S1D_bDpT10_ENKUlT_T0_E_clISt17integral_constantIbLb1EES1Q_EEDaS1L_S1M_EUlS1L_E_NS1_11comp_targetILNS1_3genE8ELNS1_11target_archE1030ELNS1_3gpuE2ELNS1_3repE0EEENS1_30default_config_static_selectorELNS0_4arch9wavefront6targetE0EEEvSZ_,"axG",@progbits,_ZN7rocprim17ROCPRIM_400000_NS6detail17trampoline_kernelINS0_13select_configILj256ELj13ELNS0_17block_load_methodE3ELS4_3ELS4_3ELNS0_20block_scan_algorithmE0ELj4294967295EEENS1_25partition_config_selectorILNS1_17partition_subalgoE3EjNS0_10empty_typeEbEEZZNS1_14partition_implILS8_3ELb0ES6_jNS0_17counting_iteratorIjlEEPS9_SE_NS0_5tupleIJPjSE_EEENSF_IJSE_SE_EEES9_SG_JZNS1_25segmented_radix_sort_implINS0_14default_configELb1EPK6__halfPSL_PKlPlN2at6native12_GLOBAL__N_18offset_tEEE10hipError_tPvRmT1_PNSt15iterator_traitsISZ_E10value_typeET2_T3_PNS10_IS15_E10value_typeET4_jRbjT5_S1B_jjP12ihipStream_tbEUljE_EEESW_SX_SY_S15_S19_S1B_T6_T7_T9_mT8_S1D_bDpT10_ENKUlT_T0_E_clISt17integral_constantIbLb1EES1Q_EEDaS1L_S1M_EUlS1L_E_NS1_11comp_targetILNS1_3genE8ELNS1_11target_archE1030ELNS1_3gpuE2ELNS1_3repE0EEENS1_30default_config_static_selectorELNS0_4arch9wavefront6targetE0EEEvSZ_,comdat
	.globl	_ZN7rocprim17ROCPRIM_400000_NS6detail17trampoline_kernelINS0_13select_configILj256ELj13ELNS0_17block_load_methodE3ELS4_3ELS4_3ELNS0_20block_scan_algorithmE0ELj4294967295EEENS1_25partition_config_selectorILNS1_17partition_subalgoE3EjNS0_10empty_typeEbEEZZNS1_14partition_implILS8_3ELb0ES6_jNS0_17counting_iteratorIjlEEPS9_SE_NS0_5tupleIJPjSE_EEENSF_IJSE_SE_EEES9_SG_JZNS1_25segmented_radix_sort_implINS0_14default_configELb1EPK6__halfPSL_PKlPlN2at6native12_GLOBAL__N_18offset_tEEE10hipError_tPvRmT1_PNSt15iterator_traitsISZ_E10value_typeET2_T3_PNS10_IS15_E10value_typeET4_jRbjT5_S1B_jjP12ihipStream_tbEUljE_EEESW_SX_SY_S15_S19_S1B_T6_T7_T9_mT8_S1D_bDpT10_ENKUlT_T0_E_clISt17integral_constantIbLb1EES1Q_EEDaS1L_S1M_EUlS1L_E_NS1_11comp_targetILNS1_3genE8ELNS1_11target_archE1030ELNS1_3gpuE2ELNS1_3repE0EEENS1_30default_config_static_selectorELNS0_4arch9wavefront6targetE0EEEvSZ_ ; -- Begin function _ZN7rocprim17ROCPRIM_400000_NS6detail17trampoline_kernelINS0_13select_configILj256ELj13ELNS0_17block_load_methodE3ELS4_3ELS4_3ELNS0_20block_scan_algorithmE0ELj4294967295EEENS1_25partition_config_selectorILNS1_17partition_subalgoE3EjNS0_10empty_typeEbEEZZNS1_14partition_implILS8_3ELb0ES6_jNS0_17counting_iteratorIjlEEPS9_SE_NS0_5tupleIJPjSE_EEENSF_IJSE_SE_EEES9_SG_JZNS1_25segmented_radix_sort_implINS0_14default_configELb1EPK6__halfPSL_PKlPlN2at6native12_GLOBAL__N_18offset_tEEE10hipError_tPvRmT1_PNSt15iterator_traitsISZ_E10value_typeET2_T3_PNS10_IS15_E10value_typeET4_jRbjT5_S1B_jjP12ihipStream_tbEUljE_EEESW_SX_SY_S15_S19_S1B_T6_T7_T9_mT8_S1D_bDpT10_ENKUlT_T0_E_clISt17integral_constantIbLb1EES1Q_EEDaS1L_S1M_EUlS1L_E_NS1_11comp_targetILNS1_3genE8ELNS1_11target_archE1030ELNS1_3gpuE2ELNS1_3repE0EEENS1_30default_config_static_selectorELNS0_4arch9wavefront6targetE0EEEvSZ_
	.p2align	8
	.type	_ZN7rocprim17ROCPRIM_400000_NS6detail17trampoline_kernelINS0_13select_configILj256ELj13ELNS0_17block_load_methodE3ELS4_3ELS4_3ELNS0_20block_scan_algorithmE0ELj4294967295EEENS1_25partition_config_selectorILNS1_17partition_subalgoE3EjNS0_10empty_typeEbEEZZNS1_14partition_implILS8_3ELb0ES6_jNS0_17counting_iteratorIjlEEPS9_SE_NS0_5tupleIJPjSE_EEENSF_IJSE_SE_EEES9_SG_JZNS1_25segmented_radix_sort_implINS0_14default_configELb1EPK6__halfPSL_PKlPlN2at6native12_GLOBAL__N_18offset_tEEE10hipError_tPvRmT1_PNSt15iterator_traitsISZ_E10value_typeET2_T3_PNS10_IS15_E10value_typeET4_jRbjT5_S1B_jjP12ihipStream_tbEUljE_EEESW_SX_SY_S15_S19_S1B_T6_T7_T9_mT8_S1D_bDpT10_ENKUlT_T0_E_clISt17integral_constantIbLb1EES1Q_EEDaS1L_S1M_EUlS1L_E_NS1_11comp_targetILNS1_3genE8ELNS1_11target_archE1030ELNS1_3gpuE2ELNS1_3repE0EEENS1_30default_config_static_selectorELNS0_4arch9wavefront6targetE0EEEvSZ_,@function
_ZN7rocprim17ROCPRIM_400000_NS6detail17trampoline_kernelINS0_13select_configILj256ELj13ELNS0_17block_load_methodE3ELS4_3ELS4_3ELNS0_20block_scan_algorithmE0ELj4294967295EEENS1_25partition_config_selectorILNS1_17partition_subalgoE3EjNS0_10empty_typeEbEEZZNS1_14partition_implILS8_3ELb0ES6_jNS0_17counting_iteratorIjlEEPS9_SE_NS0_5tupleIJPjSE_EEENSF_IJSE_SE_EEES9_SG_JZNS1_25segmented_radix_sort_implINS0_14default_configELb1EPK6__halfPSL_PKlPlN2at6native12_GLOBAL__N_18offset_tEEE10hipError_tPvRmT1_PNSt15iterator_traitsISZ_E10value_typeET2_T3_PNS10_IS15_E10value_typeET4_jRbjT5_S1B_jjP12ihipStream_tbEUljE_EEESW_SX_SY_S15_S19_S1B_T6_T7_T9_mT8_S1D_bDpT10_ENKUlT_T0_E_clISt17integral_constantIbLb1EES1Q_EEDaS1L_S1M_EUlS1L_E_NS1_11comp_targetILNS1_3genE8ELNS1_11target_archE1030ELNS1_3gpuE2ELNS1_3repE0EEENS1_30default_config_static_selectorELNS0_4arch9wavefront6targetE0EEEvSZ_: ; @_ZN7rocprim17ROCPRIM_400000_NS6detail17trampoline_kernelINS0_13select_configILj256ELj13ELNS0_17block_load_methodE3ELS4_3ELS4_3ELNS0_20block_scan_algorithmE0ELj4294967295EEENS1_25partition_config_selectorILNS1_17partition_subalgoE3EjNS0_10empty_typeEbEEZZNS1_14partition_implILS8_3ELb0ES6_jNS0_17counting_iteratorIjlEEPS9_SE_NS0_5tupleIJPjSE_EEENSF_IJSE_SE_EEES9_SG_JZNS1_25segmented_radix_sort_implINS0_14default_configELb1EPK6__halfPSL_PKlPlN2at6native12_GLOBAL__N_18offset_tEEE10hipError_tPvRmT1_PNSt15iterator_traitsISZ_E10value_typeET2_T3_PNS10_IS15_E10value_typeET4_jRbjT5_S1B_jjP12ihipStream_tbEUljE_EEESW_SX_SY_S15_S19_S1B_T6_T7_T9_mT8_S1D_bDpT10_ENKUlT_T0_E_clISt17integral_constantIbLb1EES1Q_EEDaS1L_S1M_EUlS1L_E_NS1_11comp_targetILNS1_3genE8ELNS1_11target_archE1030ELNS1_3gpuE2ELNS1_3repE0EEENS1_30default_config_static_selectorELNS0_4arch9wavefront6targetE0EEEvSZ_
; %bb.0:
	.section	.rodata,"a",@progbits
	.p2align	6, 0x0
	.amdhsa_kernel _ZN7rocprim17ROCPRIM_400000_NS6detail17trampoline_kernelINS0_13select_configILj256ELj13ELNS0_17block_load_methodE3ELS4_3ELS4_3ELNS0_20block_scan_algorithmE0ELj4294967295EEENS1_25partition_config_selectorILNS1_17partition_subalgoE3EjNS0_10empty_typeEbEEZZNS1_14partition_implILS8_3ELb0ES6_jNS0_17counting_iteratorIjlEEPS9_SE_NS0_5tupleIJPjSE_EEENSF_IJSE_SE_EEES9_SG_JZNS1_25segmented_radix_sort_implINS0_14default_configELb1EPK6__halfPSL_PKlPlN2at6native12_GLOBAL__N_18offset_tEEE10hipError_tPvRmT1_PNSt15iterator_traitsISZ_E10value_typeET2_T3_PNS10_IS15_E10value_typeET4_jRbjT5_S1B_jjP12ihipStream_tbEUljE_EEESW_SX_SY_S15_S19_S1B_T6_T7_T9_mT8_S1D_bDpT10_ENKUlT_T0_E_clISt17integral_constantIbLb1EES1Q_EEDaS1L_S1M_EUlS1L_E_NS1_11comp_targetILNS1_3genE8ELNS1_11target_archE1030ELNS1_3gpuE2ELNS1_3repE0EEENS1_30default_config_static_selectorELNS0_4arch9wavefront6targetE0EEEvSZ_
		.amdhsa_group_segment_fixed_size 0
		.amdhsa_private_segment_fixed_size 0
		.amdhsa_kernarg_size 152
		.amdhsa_user_sgpr_count 15
		.amdhsa_user_sgpr_dispatch_ptr 0
		.amdhsa_user_sgpr_queue_ptr 0
		.amdhsa_user_sgpr_kernarg_segment_ptr 1
		.amdhsa_user_sgpr_dispatch_id 0
		.amdhsa_user_sgpr_private_segment_size 0
		.amdhsa_wavefront_size32 1
		.amdhsa_uses_dynamic_stack 0
		.amdhsa_enable_private_segment 0
		.amdhsa_system_sgpr_workgroup_id_x 1
		.amdhsa_system_sgpr_workgroup_id_y 0
		.amdhsa_system_sgpr_workgroup_id_z 0
		.amdhsa_system_sgpr_workgroup_info 0
		.amdhsa_system_vgpr_workitem_id 0
		.amdhsa_next_free_vgpr 1
		.amdhsa_next_free_sgpr 1
		.amdhsa_reserve_vcc 0
		.amdhsa_float_round_mode_32 0
		.amdhsa_float_round_mode_16_64 0
		.amdhsa_float_denorm_mode_32 3
		.amdhsa_float_denorm_mode_16_64 3
		.amdhsa_dx10_clamp 1
		.amdhsa_ieee_mode 1
		.amdhsa_fp16_overflow 0
		.amdhsa_workgroup_processor_mode 1
		.amdhsa_memory_ordered 1
		.amdhsa_forward_progress 0
		.amdhsa_shared_vgpr_count 0
		.amdhsa_exception_fp_ieee_invalid_op 0
		.amdhsa_exception_fp_denorm_src 0
		.amdhsa_exception_fp_ieee_div_zero 0
		.amdhsa_exception_fp_ieee_overflow 0
		.amdhsa_exception_fp_ieee_underflow 0
		.amdhsa_exception_fp_ieee_inexact 0
		.amdhsa_exception_int_div_zero 0
	.end_amdhsa_kernel
	.section	.text._ZN7rocprim17ROCPRIM_400000_NS6detail17trampoline_kernelINS0_13select_configILj256ELj13ELNS0_17block_load_methodE3ELS4_3ELS4_3ELNS0_20block_scan_algorithmE0ELj4294967295EEENS1_25partition_config_selectorILNS1_17partition_subalgoE3EjNS0_10empty_typeEbEEZZNS1_14partition_implILS8_3ELb0ES6_jNS0_17counting_iteratorIjlEEPS9_SE_NS0_5tupleIJPjSE_EEENSF_IJSE_SE_EEES9_SG_JZNS1_25segmented_radix_sort_implINS0_14default_configELb1EPK6__halfPSL_PKlPlN2at6native12_GLOBAL__N_18offset_tEEE10hipError_tPvRmT1_PNSt15iterator_traitsISZ_E10value_typeET2_T3_PNS10_IS15_E10value_typeET4_jRbjT5_S1B_jjP12ihipStream_tbEUljE_EEESW_SX_SY_S15_S19_S1B_T6_T7_T9_mT8_S1D_bDpT10_ENKUlT_T0_E_clISt17integral_constantIbLb1EES1Q_EEDaS1L_S1M_EUlS1L_E_NS1_11comp_targetILNS1_3genE8ELNS1_11target_archE1030ELNS1_3gpuE2ELNS1_3repE0EEENS1_30default_config_static_selectorELNS0_4arch9wavefront6targetE0EEEvSZ_,"axG",@progbits,_ZN7rocprim17ROCPRIM_400000_NS6detail17trampoline_kernelINS0_13select_configILj256ELj13ELNS0_17block_load_methodE3ELS4_3ELS4_3ELNS0_20block_scan_algorithmE0ELj4294967295EEENS1_25partition_config_selectorILNS1_17partition_subalgoE3EjNS0_10empty_typeEbEEZZNS1_14partition_implILS8_3ELb0ES6_jNS0_17counting_iteratorIjlEEPS9_SE_NS0_5tupleIJPjSE_EEENSF_IJSE_SE_EEES9_SG_JZNS1_25segmented_radix_sort_implINS0_14default_configELb1EPK6__halfPSL_PKlPlN2at6native12_GLOBAL__N_18offset_tEEE10hipError_tPvRmT1_PNSt15iterator_traitsISZ_E10value_typeET2_T3_PNS10_IS15_E10value_typeET4_jRbjT5_S1B_jjP12ihipStream_tbEUljE_EEESW_SX_SY_S15_S19_S1B_T6_T7_T9_mT8_S1D_bDpT10_ENKUlT_T0_E_clISt17integral_constantIbLb1EES1Q_EEDaS1L_S1M_EUlS1L_E_NS1_11comp_targetILNS1_3genE8ELNS1_11target_archE1030ELNS1_3gpuE2ELNS1_3repE0EEENS1_30default_config_static_selectorELNS0_4arch9wavefront6targetE0EEEvSZ_,comdat
.Lfunc_end1722:
	.size	_ZN7rocprim17ROCPRIM_400000_NS6detail17trampoline_kernelINS0_13select_configILj256ELj13ELNS0_17block_load_methodE3ELS4_3ELS4_3ELNS0_20block_scan_algorithmE0ELj4294967295EEENS1_25partition_config_selectorILNS1_17partition_subalgoE3EjNS0_10empty_typeEbEEZZNS1_14partition_implILS8_3ELb0ES6_jNS0_17counting_iteratorIjlEEPS9_SE_NS0_5tupleIJPjSE_EEENSF_IJSE_SE_EEES9_SG_JZNS1_25segmented_radix_sort_implINS0_14default_configELb1EPK6__halfPSL_PKlPlN2at6native12_GLOBAL__N_18offset_tEEE10hipError_tPvRmT1_PNSt15iterator_traitsISZ_E10value_typeET2_T3_PNS10_IS15_E10value_typeET4_jRbjT5_S1B_jjP12ihipStream_tbEUljE_EEESW_SX_SY_S15_S19_S1B_T6_T7_T9_mT8_S1D_bDpT10_ENKUlT_T0_E_clISt17integral_constantIbLb1EES1Q_EEDaS1L_S1M_EUlS1L_E_NS1_11comp_targetILNS1_3genE8ELNS1_11target_archE1030ELNS1_3gpuE2ELNS1_3repE0EEENS1_30default_config_static_selectorELNS0_4arch9wavefront6targetE0EEEvSZ_, .Lfunc_end1722-_ZN7rocprim17ROCPRIM_400000_NS6detail17trampoline_kernelINS0_13select_configILj256ELj13ELNS0_17block_load_methodE3ELS4_3ELS4_3ELNS0_20block_scan_algorithmE0ELj4294967295EEENS1_25partition_config_selectorILNS1_17partition_subalgoE3EjNS0_10empty_typeEbEEZZNS1_14partition_implILS8_3ELb0ES6_jNS0_17counting_iteratorIjlEEPS9_SE_NS0_5tupleIJPjSE_EEENSF_IJSE_SE_EEES9_SG_JZNS1_25segmented_radix_sort_implINS0_14default_configELb1EPK6__halfPSL_PKlPlN2at6native12_GLOBAL__N_18offset_tEEE10hipError_tPvRmT1_PNSt15iterator_traitsISZ_E10value_typeET2_T3_PNS10_IS15_E10value_typeET4_jRbjT5_S1B_jjP12ihipStream_tbEUljE_EEESW_SX_SY_S15_S19_S1B_T6_T7_T9_mT8_S1D_bDpT10_ENKUlT_T0_E_clISt17integral_constantIbLb1EES1Q_EEDaS1L_S1M_EUlS1L_E_NS1_11comp_targetILNS1_3genE8ELNS1_11target_archE1030ELNS1_3gpuE2ELNS1_3repE0EEENS1_30default_config_static_selectorELNS0_4arch9wavefront6targetE0EEEvSZ_
                                        ; -- End function
	.section	.AMDGPU.csdata,"",@progbits
; Kernel info:
; codeLenInByte = 0
; NumSgprs: 0
; NumVgprs: 0
; ScratchSize: 0
; MemoryBound: 0
; FloatMode: 240
; IeeeMode: 1
; LDSByteSize: 0 bytes/workgroup (compile time only)
; SGPRBlocks: 0
; VGPRBlocks: 0
; NumSGPRsForWavesPerEU: 1
; NumVGPRsForWavesPerEU: 1
; Occupancy: 16
; WaveLimiterHint : 0
; COMPUTE_PGM_RSRC2:SCRATCH_EN: 0
; COMPUTE_PGM_RSRC2:USER_SGPR: 15
; COMPUTE_PGM_RSRC2:TRAP_HANDLER: 0
; COMPUTE_PGM_RSRC2:TGID_X_EN: 1
; COMPUTE_PGM_RSRC2:TGID_Y_EN: 0
; COMPUTE_PGM_RSRC2:TGID_Z_EN: 0
; COMPUTE_PGM_RSRC2:TIDIG_COMP_CNT: 0
	.section	.text._ZN7rocprim17ROCPRIM_400000_NS6detail17trampoline_kernelINS0_13select_configILj256ELj13ELNS0_17block_load_methodE3ELS4_3ELS4_3ELNS0_20block_scan_algorithmE0ELj4294967295EEENS1_25partition_config_selectorILNS1_17partition_subalgoE3EjNS0_10empty_typeEbEEZZNS1_14partition_implILS8_3ELb0ES6_jNS0_17counting_iteratorIjlEEPS9_SE_NS0_5tupleIJPjSE_EEENSF_IJSE_SE_EEES9_SG_JZNS1_25segmented_radix_sort_implINS0_14default_configELb1EPK6__halfPSL_PKlPlN2at6native12_GLOBAL__N_18offset_tEEE10hipError_tPvRmT1_PNSt15iterator_traitsISZ_E10value_typeET2_T3_PNS10_IS15_E10value_typeET4_jRbjT5_S1B_jjP12ihipStream_tbEUljE_EEESW_SX_SY_S15_S19_S1B_T6_T7_T9_mT8_S1D_bDpT10_ENKUlT_T0_E_clISt17integral_constantIbLb1EES1P_IbLb0EEEEDaS1L_S1M_EUlS1L_E_NS1_11comp_targetILNS1_3genE0ELNS1_11target_archE4294967295ELNS1_3gpuE0ELNS1_3repE0EEENS1_30default_config_static_selectorELNS0_4arch9wavefront6targetE0EEEvSZ_,"axG",@progbits,_ZN7rocprim17ROCPRIM_400000_NS6detail17trampoline_kernelINS0_13select_configILj256ELj13ELNS0_17block_load_methodE3ELS4_3ELS4_3ELNS0_20block_scan_algorithmE0ELj4294967295EEENS1_25partition_config_selectorILNS1_17partition_subalgoE3EjNS0_10empty_typeEbEEZZNS1_14partition_implILS8_3ELb0ES6_jNS0_17counting_iteratorIjlEEPS9_SE_NS0_5tupleIJPjSE_EEENSF_IJSE_SE_EEES9_SG_JZNS1_25segmented_radix_sort_implINS0_14default_configELb1EPK6__halfPSL_PKlPlN2at6native12_GLOBAL__N_18offset_tEEE10hipError_tPvRmT1_PNSt15iterator_traitsISZ_E10value_typeET2_T3_PNS10_IS15_E10value_typeET4_jRbjT5_S1B_jjP12ihipStream_tbEUljE_EEESW_SX_SY_S15_S19_S1B_T6_T7_T9_mT8_S1D_bDpT10_ENKUlT_T0_E_clISt17integral_constantIbLb1EES1P_IbLb0EEEEDaS1L_S1M_EUlS1L_E_NS1_11comp_targetILNS1_3genE0ELNS1_11target_archE4294967295ELNS1_3gpuE0ELNS1_3repE0EEENS1_30default_config_static_selectorELNS0_4arch9wavefront6targetE0EEEvSZ_,comdat
	.globl	_ZN7rocprim17ROCPRIM_400000_NS6detail17trampoline_kernelINS0_13select_configILj256ELj13ELNS0_17block_load_methodE3ELS4_3ELS4_3ELNS0_20block_scan_algorithmE0ELj4294967295EEENS1_25partition_config_selectorILNS1_17partition_subalgoE3EjNS0_10empty_typeEbEEZZNS1_14partition_implILS8_3ELb0ES6_jNS0_17counting_iteratorIjlEEPS9_SE_NS0_5tupleIJPjSE_EEENSF_IJSE_SE_EEES9_SG_JZNS1_25segmented_radix_sort_implINS0_14default_configELb1EPK6__halfPSL_PKlPlN2at6native12_GLOBAL__N_18offset_tEEE10hipError_tPvRmT1_PNSt15iterator_traitsISZ_E10value_typeET2_T3_PNS10_IS15_E10value_typeET4_jRbjT5_S1B_jjP12ihipStream_tbEUljE_EEESW_SX_SY_S15_S19_S1B_T6_T7_T9_mT8_S1D_bDpT10_ENKUlT_T0_E_clISt17integral_constantIbLb1EES1P_IbLb0EEEEDaS1L_S1M_EUlS1L_E_NS1_11comp_targetILNS1_3genE0ELNS1_11target_archE4294967295ELNS1_3gpuE0ELNS1_3repE0EEENS1_30default_config_static_selectorELNS0_4arch9wavefront6targetE0EEEvSZ_ ; -- Begin function _ZN7rocprim17ROCPRIM_400000_NS6detail17trampoline_kernelINS0_13select_configILj256ELj13ELNS0_17block_load_methodE3ELS4_3ELS4_3ELNS0_20block_scan_algorithmE0ELj4294967295EEENS1_25partition_config_selectorILNS1_17partition_subalgoE3EjNS0_10empty_typeEbEEZZNS1_14partition_implILS8_3ELb0ES6_jNS0_17counting_iteratorIjlEEPS9_SE_NS0_5tupleIJPjSE_EEENSF_IJSE_SE_EEES9_SG_JZNS1_25segmented_radix_sort_implINS0_14default_configELb1EPK6__halfPSL_PKlPlN2at6native12_GLOBAL__N_18offset_tEEE10hipError_tPvRmT1_PNSt15iterator_traitsISZ_E10value_typeET2_T3_PNS10_IS15_E10value_typeET4_jRbjT5_S1B_jjP12ihipStream_tbEUljE_EEESW_SX_SY_S15_S19_S1B_T6_T7_T9_mT8_S1D_bDpT10_ENKUlT_T0_E_clISt17integral_constantIbLb1EES1P_IbLb0EEEEDaS1L_S1M_EUlS1L_E_NS1_11comp_targetILNS1_3genE0ELNS1_11target_archE4294967295ELNS1_3gpuE0ELNS1_3repE0EEENS1_30default_config_static_selectorELNS0_4arch9wavefront6targetE0EEEvSZ_
	.p2align	8
	.type	_ZN7rocprim17ROCPRIM_400000_NS6detail17trampoline_kernelINS0_13select_configILj256ELj13ELNS0_17block_load_methodE3ELS4_3ELS4_3ELNS0_20block_scan_algorithmE0ELj4294967295EEENS1_25partition_config_selectorILNS1_17partition_subalgoE3EjNS0_10empty_typeEbEEZZNS1_14partition_implILS8_3ELb0ES6_jNS0_17counting_iteratorIjlEEPS9_SE_NS0_5tupleIJPjSE_EEENSF_IJSE_SE_EEES9_SG_JZNS1_25segmented_radix_sort_implINS0_14default_configELb1EPK6__halfPSL_PKlPlN2at6native12_GLOBAL__N_18offset_tEEE10hipError_tPvRmT1_PNSt15iterator_traitsISZ_E10value_typeET2_T3_PNS10_IS15_E10value_typeET4_jRbjT5_S1B_jjP12ihipStream_tbEUljE_EEESW_SX_SY_S15_S19_S1B_T6_T7_T9_mT8_S1D_bDpT10_ENKUlT_T0_E_clISt17integral_constantIbLb1EES1P_IbLb0EEEEDaS1L_S1M_EUlS1L_E_NS1_11comp_targetILNS1_3genE0ELNS1_11target_archE4294967295ELNS1_3gpuE0ELNS1_3repE0EEENS1_30default_config_static_selectorELNS0_4arch9wavefront6targetE0EEEvSZ_,@function
_ZN7rocprim17ROCPRIM_400000_NS6detail17trampoline_kernelINS0_13select_configILj256ELj13ELNS0_17block_load_methodE3ELS4_3ELS4_3ELNS0_20block_scan_algorithmE0ELj4294967295EEENS1_25partition_config_selectorILNS1_17partition_subalgoE3EjNS0_10empty_typeEbEEZZNS1_14partition_implILS8_3ELb0ES6_jNS0_17counting_iteratorIjlEEPS9_SE_NS0_5tupleIJPjSE_EEENSF_IJSE_SE_EEES9_SG_JZNS1_25segmented_radix_sort_implINS0_14default_configELb1EPK6__halfPSL_PKlPlN2at6native12_GLOBAL__N_18offset_tEEE10hipError_tPvRmT1_PNSt15iterator_traitsISZ_E10value_typeET2_T3_PNS10_IS15_E10value_typeET4_jRbjT5_S1B_jjP12ihipStream_tbEUljE_EEESW_SX_SY_S15_S19_S1B_T6_T7_T9_mT8_S1D_bDpT10_ENKUlT_T0_E_clISt17integral_constantIbLb1EES1P_IbLb0EEEEDaS1L_S1M_EUlS1L_E_NS1_11comp_targetILNS1_3genE0ELNS1_11target_archE4294967295ELNS1_3gpuE0ELNS1_3repE0EEENS1_30default_config_static_selectorELNS0_4arch9wavefront6targetE0EEEvSZ_: ; @_ZN7rocprim17ROCPRIM_400000_NS6detail17trampoline_kernelINS0_13select_configILj256ELj13ELNS0_17block_load_methodE3ELS4_3ELS4_3ELNS0_20block_scan_algorithmE0ELj4294967295EEENS1_25partition_config_selectorILNS1_17partition_subalgoE3EjNS0_10empty_typeEbEEZZNS1_14partition_implILS8_3ELb0ES6_jNS0_17counting_iteratorIjlEEPS9_SE_NS0_5tupleIJPjSE_EEENSF_IJSE_SE_EEES9_SG_JZNS1_25segmented_radix_sort_implINS0_14default_configELb1EPK6__halfPSL_PKlPlN2at6native12_GLOBAL__N_18offset_tEEE10hipError_tPvRmT1_PNSt15iterator_traitsISZ_E10value_typeET2_T3_PNS10_IS15_E10value_typeET4_jRbjT5_S1B_jjP12ihipStream_tbEUljE_EEESW_SX_SY_S15_S19_S1B_T6_T7_T9_mT8_S1D_bDpT10_ENKUlT_T0_E_clISt17integral_constantIbLb1EES1P_IbLb0EEEEDaS1L_S1M_EUlS1L_E_NS1_11comp_targetILNS1_3genE0ELNS1_11target_archE4294967295ELNS1_3gpuE0ELNS1_3repE0EEENS1_30default_config_static_selectorELNS0_4arch9wavefront6targetE0EEEvSZ_
; %bb.0:
	.section	.rodata,"a",@progbits
	.p2align	6, 0x0
	.amdhsa_kernel _ZN7rocprim17ROCPRIM_400000_NS6detail17trampoline_kernelINS0_13select_configILj256ELj13ELNS0_17block_load_methodE3ELS4_3ELS4_3ELNS0_20block_scan_algorithmE0ELj4294967295EEENS1_25partition_config_selectorILNS1_17partition_subalgoE3EjNS0_10empty_typeEbEEZZNS1_14partition_implILS8_3ELb0ES6_jNS0_17counting_iteratorIjlEEPS9_SE_NS0_5tupleIJPjSE_EEENSF_IJSE_SE_EEES9_SG_JZNS1_25segmented_radix_sort_implINS0_14default_configELb1EPK6__halfPSL_PKlPlN2at6native12_GLOBAL__N_18offset_tEEE10hipError_tPvRmT1_PNSt15iterator_traitsISZ_E10value_typeET2_T3_PNS10_IS15_E10value_typeET4_jRbjT5_S1B_jjP12ihipStream_tbEUljE_EEESW_SX_SY_S15_S19_S1B_T6_T7_T9_mT8_S1D_bDpT10_ENKUlT_T0_E_clISt17integral_constantIbLb1EES1P_IbLb0EEEEDaS1L_S1M_EUlS1L_E_NS1_11comp_targetILNS1_3genE0ELNS1_11target_archE4294967295ELNS1_3gpuE0ELNS1_3repE0EEENS1_30default_config_static_selectorELNS0_4arch9wavefront6targetE0EEEvSZ_
		.amdhsa_group_segment_fixed_size 0
		.amdhsa_private_segment_fixed_size 0
		.amdhsa_kernarg_size 144
		.amdhsa_user_sgpr_count 15
		.amdhsa_user_sgpr_dispatch_ptr 0
		.amdhsa_user_sgpr_queue_ptr 0
		.amdhsa_user_sgpr_kernarg_segment_ptr 1
		.amdhsa_user_sgpr_dispatch_id 0
		.amdhsa_user_sgpr_private_segment_size 0
		.amdhsa_wavefront_size32 1
		.amdhsa_uses_dynamic_stack 0
		.amdhsa_enable_private_segment 0
		.amdhsa_system_sgpr_workgroup_id_x 1
		.amdhsa_system_sgpr_workgroup_id_y 0
		.amdhsa_system_sgpr_workgroup_id_z 0
		.amdhsa_system_sgpr_workgroup_info 0
		.amdhsa_system_vgpr_workitem_id 0
		.amdhsa_next_free_vgpr 1
		.amdhsa_next_free_sgpr 1
		.amdhsa_reserve_vcc 0
		.amdhsa_float_round_mode_32 0
		.amdhsa_float_round_mode_16_64 0
		.amdhsa_float_denorm_mode_32 3
		.amdhsa_float_denorm_mode_16_64 3
		.amdhsa_dx10_clamp 1
		.amdhsa_ieee_mode 1
		.amdhsa_fp16_overflow 0
		.amdhsa_workgroup_processor_mode 1
		.amdhsa_memory_ordered 1
		.amdhsa_forward_progress 0
		.amdhsa_shared_vgpr_count 0
		.amdhsa_exception_fp_ieee_invalid_op 0
		.amdhsa_exception_fp_denorm_src 0
		.amdhsa_exception_fp_ieee_div_zero 0
		.amdhsa_exception_fp_ieee_overflow 0
		.amdhsa_exception_fp_ieee_underflow 0
		.amdhsa_exception_fp_ieee_inexact 0
		.amdhsa_exception_int_div_zero 0
	.end_amdhsa_kernel
	.section	.text._ZN7rocprim17ROCPRIM_400000_NS6detail17trampoline_kernelINS0_13select_configILj256ELj13ELNS0_17block_load_methodE3ELS4_3ELS4_3ELNS0_20block_scan_algorithmE0ELj4294967295EEENS1_25partition_config_selectorILNS1_17partition_subalgoE3EjNS0_10empty_typeEbEEZZNS1_14partition_implILS8_3ELb0ES6_jNS0_17counting_iteratorIjlEEPS9_SE_NS0_5tupleIJPjSE_EEENSF_IJSE_SE_EEES9_SG_JZNS1_25segmented_radix_sort_implINS0_14default_configELb1EPK6__halfPSL_PKlPlN2at6native12_GLOBAL__N_18offset_tEEE10hipError_tPvRmT1_PNSt15iterator_traitsISZ_E10value_typeET2_T3_PNS10_IS15_E10value_typeET4_jRbjT5_S1B_jjP12ihipStream_tbEUljE_EEESW_SX_SY_S15_S19_S1B_T6_T7_T9_mT8_S1D_bDpT10_ENKUlT_T0_E_clISt17integral_constantIbLb1EES1P_IbLb0EEEEDaS1L_S1M_EUlS1L_E_NS1_11comp_targetILNS1_3genE0ELNS1_11target_archE4294967295ELNS1_3gpuE0ELNS1_3repE0EEENS1_30default_config_static_selectorELNS0_4arch9wavefront6targetE0EEEvSZ_,"axG",@progbits,_ZN7rocprim17ROCPRIM_400000_NS6detail17trampoline_kernelINS0_13select_configILj256ELj13ELNS0_17block_load_methodE3ELS4_3ELS4_3ELNS0_20block_scan_algorithmE0ELj4294967295EEENS1_25partition_config_selectorILNS1_17partition_subalgoE3EjNS0_10empty_typeEbEEZZNS1_14partition_implILS8_3ELb0ES6_jNS0_17counting_iteratorIjlEEPS9_SE_NS0_5tupleIJPjSE_EEENSF_IJSE_SE_EEES9_SG_JZNS1_25segmented_radix_sort_implINS0_14default_configELb1EPK6__halfPSL_PKlPlN2at6native12_GLOBAL__N_18offset_tEEE10hipError_tPvRmT1_PNSt15iterator_traitsISZ_E10value_typeET2_T3_PNS10_IS15_E10value_typeET4_jRbjT5_S1B_jjP12ihipStream_tbEUljE_EEESW_SX_SY_S15_S19_S1B_T6_T7_T9_mT8_S1D_bDpT10_ENKUlT_T0_E_clISt17integral_constantIbLb1EES1P_IbLb0EEEEDaS1L_S1M_EUlS1L_E_NS1_11comp_targetILNS1_3genE0ELNS1_11target_archE4294967295ELNS1_3gpuE0ELNS1_3repE0EEENS1_30default_config_static_selectorELNS0_4arch9wavefront6targetE0EEEvSZ_,comdat
.Lfunc_end1723:
	.size	_ZN7rocprim17ROCPRIM_400000_NS6detail17trampoline_kernelINS0_13select_configILj256ELj13ELNS0_17block_load_methodE3ELS4_3ELS4_3ELNS0_20block_scan_algorithmE0ELj4294967295EEENS1_25partition_config_selectorILNS1_17partition_subalgoE3EjNS0_10empty_typeEbEEZZNS1_14partition_implILS8_3ELb0ES6_jNS0_17counting_iteratorIjlEEPS9_SE_NS0_5tupleIJPjSE_EEENSF_IJSE_SE_EEES9_SG_JZNS1_25segmented_radix_sort_implINS0_14default_configELb1EPK6__halfPSL_PKlPlN2at6native12_GLOBAL__N_18offset_tEEE10hipError_tPvRmT1_PNSt15iterator_traitsISZ_E10value_typeET2_T3_PNS10_IS15_E10value_typeET4_jRbjT5_S1B_jjP12ihipStream_tbEUljE_EEESW_SX_SY_S15_S19_S1B_T6_T7_T9_mT8_S1D_bDpT10_ENKUlT_T0_E_clISt17integral_constantIbLb1EES1P_IbLb0EEEEDaS1L_S1M_EUlS1L_E_NS1_11comp_targetILNS1_3genE0ELNS1_11target_archE4294967295ELNS1_3gpuE0ELNS1_3repE0EEENS1_30default_config_static_selectorELNS0_4arch9wavefront6targetE0EEEvSZ_, .Lfunc_end1723-_ZN7rocprim17ROCPRIM_400000_NS6detail17trampoline_kernelINS0_13select_configILj256ELj13ELNS0_17block_load_methodE3ELS4_3ELS4_3ELNS0_20block_scan_algorithmE0ELj4294967295EEENS1_25partition_config_selectorILNS1_17partition_subalgoE3EjNS0_10empty_typeEbEEZZNS1_14partition_implILS8_3ELb0ES6_jNS0_17counting_iteratorIjlEEPS9_SE_NS0_5tupleIJPjSE_EEENSF_IJSE_SE_EEES9_SG_JZNS1_25segmented_radix_sort_implINS0_14default_configELb1EPK6__halfPSL_PKlPlN2at6native12_GLOBAL__N_18offset_tEEE10hipError_tPvRmT1_PNSt15iterator_traitsISZ_E10value_typeET2_T3_PNS10_IS15_E10value_typeET4_jRbjT5_S1B_jjP12ihipStream_tbEUljE_EEESW_SX_SY_S15_S19_S1B_T6_T7_T9_mT8_S1D_bDpT10_ENKUlT_T0_E_clISt17integral_constantIbLb1EES1P_IbLb0EEEEDaS1L_S1M_EUlS1L_E_NS1_11comp_targetILNS1_3genE0ELNS1_11target_archE4294967295ELNS1_3gpuE0ELNS1_3repE0EEENS1_30default_config_static_selectorELNS0_4arch9wavefront6targetE0EEEvSZ_
                                        ; -- End function
	.section	.AMDGPU.csdata,"",@progbits
; Kernel info:
; codeLenInByte = 0
; NumSgprs: 0
; NumVgprs: 0
; ScratchSize: 0
; MemoryBound: 0
; FloatMode: 240
; IeeeMode: 1
; LDSByteSize: 0 bytes/workgroup (compile time only)
; SGPRBlocks: 0
; VGPRBlocks: 0
; NumSGPRsForWavesPerEU: 1
; NumVGPRsForWavesPerEU: 1
; Occupancy: 16
; WaveLimiterHint : 0
; COMPUTE_PGM_RSRC2:SCRATCH_EN: 0
; COMPUTE_PGM_RSRC2:USER_SGPR: 15
; COMPUTE_PGM_RSRC2:TRAP_HANDLER: 0
; COMPUTE_PGM_RSRC2:TGID_X_EN: 1
; COMPUTE_PGM_RSRC2:TGID_Y_EN: 0
; COMPUTE_PGM_RSRC2:TGID_Z_EN: 0
; COMPUTE_PGM_RSRC2:TIDIG_COMP_CNT: 0
	.section	.text._ZN7rocprim17ROCPRIM_400000_NS6detail17trampoline_kernelINS0_13select_configILj256ELj13ELNS0_17block_load_methodE3ELS4_3ELS4_3ELNS0_20block_scan_algorithmE0ELj4294967295EEENS1_25partition_config_selectorILNS1_17partition_subalgoE3EjNS0_10empty_typeEbEEZZNS1_14partition_implILS8_3ELb0ES6_jNS0_17counting_iteratorIjlEEPS9_SE_NS0_5tupleIJPjSE_EEENSF_IJSE_SE_EEES9_SG_JZNS1_25segmented_radix_sort_implINS0_14default_configELb1EPK6__halfPSL_PKlPlN2at6native12_GLOBAL__N_18offset_tEEE10hipError_tPvRmT1_PNSt15iterator_traitsISZ_E10value_typeET2_T3_PNS10_IS15_E10value_typeET4_jRbjT5_S1B_jjP12ihipStream_tbEUljE_EEESW_SX_SY_S15_S19_S1B_T6_T7_T9_mT8_S1D_bDpT10_ENKUlT_T0_E_clISt17integral_constantIbLb1EES1P_IbLb0EEEEDaS1L_S1M_EUlS1L_E_NS1_11comp_targetILNS1_3genE5ELNS1_11target_archE942ELNS1_3gpuE9ELNS1_3repE0EEENS1_30default_config_static_selectorELNS0_4arch9wavefront6targetE0EEEvSZ_,"axG",@progbits,_ZN7rocprim17ROCPRIM_400000_NS6detail17trampoline_kernelINS0_13select_configILj256ELj13ELNS0_17block_load_methodE3ELS4_3ELS4_3ELNS0_20block_scan_algorithmE0ELj4294967295EEENS1_25partition_config_selectorILNS1_17partition_subalgoE3EjNS0_10empty_typeEbEEZZNS1_14partition_implILS8_3ELb0ES6_jNS0_17counting_iteratorIjlEEPS9_SE_NS0_5tupleIJPjSE_EEENSF_IJSE_SE_EEES9_SG_JZNS1_25segmented_radix_sort_implINS0_14default_configELb1EPK6__halfPSL_PKlPlN2at6native12_GLOBAL__N_18offset_tEEE10hipError_tPvRmT1_PNSt15iterator_traitsISZ_E10value_typeET2_T3_PNS10_IS15_E10value_typeET4_jRbjT5_S1B_jjP12ihipStream_tbEUljE_EEESW_SX_SY_S15_S19_S1B_T6_T7_T9_mT8_S1D_bDpT10_ENKUlT_T0_E_clISt17integral_constantIbLb1EES1P_IbLb0EEEEDaS1L_S1M_EUlS1L_E_NS1_11comp_targetILNS1_3genE5ELNS1_11target_archE942ELNS1_3gpuE9ELNS1_3repE0EEENS1_30default_config_static_selectorELNS0_4arch9wavefront6targetE0EEEvSZ_,comdat
	.globl	_ZN7rocprim17ROCPRIM_400000_NS6detail17trampoline_kernelINS0_13select_configILj256ELj13ELNS0_17block_load_methodE3ELS4_3ELS4_3ELNS0_20block_scan_algorithmE0ELj4294967295EEENS1_25partition_config_selectorILNS1_17partition_subalgoE3EjNS0_10empty_typeEbEEZZNS1_14partition_implILS8_3ELb0ES6_jNS0_17counting_iteratorIjlEEPS9_SE_NS0_5tupleIJPjSE_EEENSF_IJSE_SE_EEES9_SG_JZNS1_25segmented_radix_sort_implINS0_14default_configELb1EPK6__halfPSL_PKlPlN2at6native12_GLOBAL__N_18offset_tEEE10hipError_tPvRmT1_PNSt15iterator_traitsISZ_E10value_typeET2_T3_PNS10_IS15_E10value_typeET4_jRbjT5_S1B_jjP12ihipStream_tbEUljE_EEESW_SX_SY_S15_S19_S1B_T6_T7_T9_mT8_S1D_bDpT10_ENKUlT_T0_E_clISt17integral_constantIbLb1EES1P_IbLb0EEEEDaS1L_S1M_EUlS1L_E_NS1_11comp_targetILNS1_3genE5ELNS1_11target_archE942ELNS1_3gpuE9ELNS1_3repE0EEENS1_30default_config_static_selectorELNS0_4arch9wavefront6targetE0EEEvSZ_ ; -- Begin function _ZN7rocprim17ROCPRIM_400000_NS6detail17trampoline_kernelINS0_13select_configILj256ELj13ELNS0_17block_load_methodE3ELS4_3ELS4_3ELNS0_20block_scan_algorithmE0ELj4294967295EEENS1_25partition_config_selectorILNS1_17partition_subalgoE3EjNS0_10empty_typeEbEEZZNS1_14partition_implILS8_3ELb0ES6_jNS0_17counting_iteratorIjlEEPS9_SE_NS0_5tupleIJPjSE_EEENSF_IJSE_SE_EEES9_SG_JZNS1_25segmented_radix_sort_implINS0_14default_configELb1EPK6__halfPSL_PKlPlN2at6native12_GLOBAL__N_18offset_tEEE10hipError_tPvRmT1_PNSt15iterator_traitsISZ_E10value_typeET2_T3_PNS10_IS15_E10value_typeET4_jRbjT5_S1B_jjP12ihipStream_tbEUljE_EEESW_SX_SY_S15_S19_S1B_T6_T7_T9_mT8_S1D_bDpT10_ENKUlT_T0_E_clISt17integral_constantIbLb1EES1P_IbLb0EEEEDaS1L_S1M_EUlS1L_E_NS1_11comp_targetILNS1_3genE5ELNS1_11target_archE942ELNS1_3gpuE9ELNS1_3repE0EEENS1_30default_config_static_selectorELNS0_4arch9wavefront6targetE0EEEvSZ_
	.p2align	8
	.type	_ZN7rocprim17ROCPRIM_400000_NS6detail17trampoline_kernelINS0_13select_configILj256ELj13ELNS0_17block_load_methodE3ELS4_3ELS4_3ELNS0_20block_scan_algorithmE0ELj4294967295EEENS1_25partition_config_selectorILNS1_17partition_subalgoE3EjNS0_10empty_typeEbEEZZNS1_14partition_implILS8_3ELb0ES6_jNS0_17counting_iteratorIjlEEPS9_SE_NS0_5tupleIJPjSE_EEENSF_IJSE_SE_EEES9_SG_JZNS1_25segmented_radix_sort_implINS0_14default_configELb1EPK6__halfPSL_PKlPlN2at6native12_GLOBAL__N_18offset_tEEE10hipError_tPvRmT1_PNSt15iterator_traitsISZ_E10value_typeET2_T3_PNS10_IS15_E10value_typeET4_jRbjT5_S1B_jjP12ihipStream_tbEUljE_EEESW_SX_SY_S15_S19_S1B_T6_T7_T9_mT8_S1D_bDpT10_ENKUlT_T0_E_clISt17integral_constantIbLb1EES1P_IbLb0EEEEDaS1L_S1M_EUlS1L_E_NS1_11comp_targetILNS1_3genE5ELNS1_11target_archE942ELNS1_3gpuE9ELNS1_3repE0EEENS1_30default_config_static_selectorELNS0_4arch9wavefront6targetE0EEEvSZ_,@function
_ZN7rocprim17ROCPRIM_400000_NS6detail17trampoline_kernelINS0_13select_configILj256ELj13ELNS0_17block_load_methodE3ELS4_3ELS4_3ELNS0_20block_scan_algorithmE0ELj4294967295EEENS1_25partition_config_selectorILNS1_17partition_subalgoE3EjNS0_10empty_typeEbEEZZNS1_14partition_implILS8_3ELb0ES6_jNS0_17counting_iteratorIjlEEPS9_SE_NS0_5tupleIJPjSE_EEENSF_IJSE_SE_EEES9_SG_JZNS1_25segmented_radix_sort_implINS0_14default_configELb1EPK6__halfPSL_PKlPlN2at6native12_GLOBAL__N_18offset_tEEE10hipError_tPvRmT1_PNSt15iterator_traitsISZ_E10value_typeET2_T3_PNS10_IS15_E10value_typeET4_jRbjT5_S1B_jjP12ihipStream_tbEUljE_EEESW_SX_SY_S15_S19_S1B_T6_T7_T9_mT8_S1D_bDpT10_ENKUlT_T0_E_clISt17integral_constantIbLb1EES1P_IbLb0EEEEDaS1L_S1M_EUlS1L_E_NS1_11comp_targetILNS1_3genE5ELNS1_11target_archE942ELNS1_3gpuE9ELNS1_3repE0EEENS1_30default_config_static_selectorELNS0_4arch9wavefront6targetE0EEEvSZ_: ; @_ZN7rocprim17ROCPRIM_400000_NS6detail17trampoline_kernelINS0_13select_configILj256ELj13ELNS0_17block_load_methodE3ELS4_3ELS4_3ELNS0_20block_scan_algorithmE0ELj4294967295EEENS1_25partition_config_selectorILNS1_17partition_subalgoE3EjNS0_10empty_typeEbEEZZNS1_14partition_implILS8_3ELb0ES6_jNS0_17counting_iteratorIjlEEPS9_SE_NS0_5tupleIJPjSE_EEENSF_IJSE_SE_EEES9_SG_JZNS1_25segmented_radix_sort_implINS0_14default_configELb1EPK6__halfPSL_PKlPlN2at6native12_GLOBAL__N_18offset_tEEE10hipError_tPvRmT1_PNSt15iterator_traitsISZ_E10value_typeET2_T3_PNS10_IS15_E10value_typeET4_jRbjT5_S1B_jjP12ihipStream_tbEUljE_EEESW_SX_SY_S15_S19_S1B_T6_T7_T9_mT8_S1D_bDpT10_ENKUlT_T0_E_clISt17integral_constantIbLb1EES1P_IbLb0EEEEDaS1L_S1M_EUlS1L_E_NS1_11comp_targetILNS1_3genE5ELNS1_11target_archE942ELNS1_3gpuE9ELNS1_3repE0EEENS1_30default_config_static_selectorELNS0_4arch9wavefront6targetE0EEEvSZ_
; %bb.0:
	.section	.rodata,"a",@progbits
	.p2align	6, 0x0
	.amdhsa_kernel _ZN7rocprim17ROCPRIM_400000_NS6detail17trampoline_kernelINS0_13select_configILj256ELj13ELNS0_17block_load_methodE3ELS4_3ELS4_3ELNS0_20block_scan_algorithmE0ELj4294967295EEENS1_25partition_config_selectorILNS1_17partition_subalgoE3EjNS0_10empty_typeEbEEZZNS1_14partition_implILS8_3ELb0ES6_jNS0_17counting_iteratorIjlEEPS9_SE_NS0_5tupleIJPjSE_EEENSF_IJSE_SE_EEES9_SG_JZNS1_25segmented_radix_sort_implINS0_14default_configELb1EPK6__halfPSL_PKlPlN2at6native12_GLOBAL__N_18offset_tEEE10hipError_tPvRmT1_PNSt15iterator_traitsISZ_E10value_typeET2_T3_PNS10_IS15_E10value_typeET4_jRbjT5_S1B_jjP12ihipStream_tbEUljE_EEESW_SX_SY_S15_S19_S1B_T6_T7_T9_mT8_S1D_bDpT10_ENKUlT_T0_E_clISt17integral_constantIbLb1EES1P_IbLb0EEEEDaS1L_S1M_EUlS1L_E_NS1_11comp_targetILNS1_3genE5ELNS1_11target_archE942ELNS1_3gpuE9ELNS1_3repE0EEENS1_30default_config_static_selectorELNS0_4arch9wavefront6targetE0EEEvSZ_
		.amdhsa_group_segment_fixed_size 0
		.amdhsa_private_segment_fixed_size 0
		.amdhsa_kernarg_size 144
		.amdhsa_user_sgpr_count 15
		.amdhsa_user_sgpr_dispatch_ptr 0
		.amdhsa_user_sgpr_queue_ptr 0
		.amdhsa_user_sgpr_kernarg_segment_ptr 1
		.amdhsa_user_sgpr_dispatch_id 0
		.amdhsa_user_sgpr_private_segment_size 0
		.amdhsa_wavefront_size32 1
		.amdhsa_uses_dynamic_stack 0
		.amdhsa_enable_private_segment 0
		.amdhsa_system_sgpr_workgroup_id_x 1
		.amdhsa_system_sgpr_workgroup_id_y 0
		.amdhsa_system_sgpr_workgroup_id_z 0
		.amdhsa_system_sgpr_workgroup_info 0
		.amdhsa_system_vgpr_workitem_id 0
		.amdhsa_next_free_vgpr 1
		.amdhsa_next_free_sgpr 1
		.amdhsa_reserve_vcc 0
		.amdhsa_float_round_mode_32 0
		.amdhsa_float_round_mode_16_64 0
		.amdhsa_float_denorm_mode_32 3
		.amdhsa_float_denorm_mode_16_64 3
		.amdhsa_dx10_clamp 1
		.amdhsa_ieee_mode 1
		.amdhsa_fp16_overflow 0
		.amdhsa_workgroup_processor_mode 1
		.amdhsa_memory_ordered 1
		.amdhsa_forward_progress 0
		.amdhsa_shared_vgpr_count 0
		.amdhsa_exception_fp_ieee_invalid_op 0
		.amdhsa_exception_fp_denorm_src 0
		.amdhsa_exception_fp_ieee_div_zero 0
		.amdhsa_exception_fp_ieee_overflow 0
		.amdhsa_exception_fp_ieee_underflow 0
		.amdhsa_exception_fp_ieee_inexact 0
		.amdhsa_exception_int_div_zero 0
	.end_amdhsa_kernel
	.section	.text._ZN7rocprim17ROCPRIM_400000_NS6detail17trampoline_kernelINS0_13select_configILj256ELj13ELNS0_17block_load_methodE3ELS4_3ELS4_3ELNS0_20block_scan_algorithmE0ELj4294967295EEENS1_25partition_config_selectorILNS1_17partition_subalgoE3EjNS0_10empty_typeEbEEZZNS1_14partition_implILS8_3ELb0ES6_jNS0_17counting_iteratorIjlEEPS9_SE_NS0_5tupleIJPjSE_EEENSF_IJSE_SE_EEES9_SG_JZNS1_25segmented_radix_sort_implINS0_14default_configELb1EPK6__halfPSL_PKlPlN2at6native12_GLOBAL__N_18offset_tEEE10hipError_tPvRmT1_PNSt15iterator_traitsISZ_E10value_typeET2_T3_PNS10_IS15_E10value_typeET4_jRbjT5_S1B_jjP12ihipStream_tbEUljE_EEESW_SX_SY_S15_S19_S1B_T6_T7_T9_mT8_S1D_bDpT10_ENKUlT_T0_E_clISt17integral_constantIbLb1EES1P_IbLb0EEEEDaS1L_S1M_EUlS1L_E_NS1_11comp_targetILNS1_3genE5ELNS1_11target_archE942ELNS1_3gpuE9ELNS1_3repE0EEENS1_30default_config_static_selectorELNS0_4arch9wavefront6targetE0EEEvSZ_,"axG",@progbits,_ZN7rocprim17ROCPRIM_400000_NS6detail17trampoline_kernelINS0_13select_configILj256ELj13ELNS0_17block_load_methodE3ELS4_3ELS4_3ELNS0_20block_scan_algorithmE0ELj4294967295EEENS1_25partition_config_selectorILNS1_17partition_subalgoE3EjNS0_10empty_typeEbEEZZNS1_14partition_implILS8_3ELb0ES6_jNS0_17counting_iteratorIjlEEPS9_SE_NS0_5tupleIJPjSE_EEENSF_IJSE_SE_EEES9_SG_JZNS1_25segmented_radix_sort_implINS0_14default_configELb1EPK6__halfPSL_PKlPlN2at6native12_GLOBAL__N_18offset_tEEE10hipError_tPvRmT1_PNSt15iterator_traitsISZ_E10value_typeET2_T3_PNS10_IS15_E10value_typeET4_jRbjT5_S1B_jjP12ihipStream_tbEUljE_EEESW_SX_SY_S15_S19_S1B_T6_T7_T9_mT8_S1D_bDpT10_ENKUlT_T0_E_clISt17integral_constantIbLb1EES1P_IbLb0EEEEDaS1L_S1M_EUlS1L_E_NS1_11comp_targetILNS1_3genE5ELNS1_11target_archE942ELNS1_3gpuE9ELNS1_3repE0EEENS1_30default_config_static_selectorELNS0_4arch9wavefront6targetE0EEEvSZ_,comdat
.Lfunc_end1724:
	.size	_ZN7rocprim17ROCPRIM_400000_NS6detail17trampoline_kernelINS0_13select_configILj256ELj13ELNS0_17block_load_methodE3ELS4_3ELS4_3ELNS0_20block_scan_algorithmE0ELj4294967295EEENS1_25partition_config_selectorILNS1_17partition_subalgoE3EjNS0_10empty_typeEbEEZZNS1_14partition_implILS8_3ELb0ES6_jNS0_17counting_iteratorIjlEEPS9_SE_NS0_5tupleIJPjSE_EEENSF_IJSE_SE_EEES9_SG_JZNS1_25segmented_radix_sort_implINS0_14default_configELb1EPK6__halfPSL_PKlPlN2at6native12_GLOBAL__N_18offset_tEEE10hipError_tPvRmT1_PNSt15iterator_traitsISZ_E10value_typeET2_T3_PNS10_IS15_E10value_typeET4_jRbjT5_S1B_jjP12ihipStream_tbEUljE_EEESW_SX_SY_S15_S19_S1B_T6_T7_T9_mT8_S1D_bDpT10_ENKUlT_T0_E_clISt17integral_constantIbLb1EES1P_IbLb0EEEEDaS1L_S1M_EUlS1L_E_NS1_11comp_targetILNS1_3genE5ELNS1_11target_archE942ELNS1_3gpuE9ELNS1_3repE0EEENS1_30default_config_static_selectorELNS0_4arch9wavefront6targetE0EEEvSZ_, .Lfunc_end1724-_ZN7rocprim17ROCPRIM_400000_NS6detail17trampoline_kernelINS0_13select_configILj256ELj13ELNS0_17block_load_methodE3ELS4_3ELS4_3ELNS0_20block_scan_algorithmE0ELj4294967295EEENS1_25partition_config_selectorILNS1_17partition_subalgoE3EjNS0_10empty_typeEbEEZZNS1_14partition_implILS8_3ELb0ES6_jNS0_17counting_iteratorIjlEEPS9_SE_NS0_5tupleIJPjSE_EEENSF_IJSE_SE_EEES9_SG_JZNS1_25segmented_radix_sort_implINS0_14default_configELb1EPK6__halfPSL_PKlPlN2at6native12_GLOBAL__N_18offset_tEEE10hipError_tPvRmT1_PNSt15iterator_traitsISZ_E10value_typeET2_T3_PNS10_IS15_E10value_typeET4_jRbjT5_S1B_jjP12ihipStream_tbEUljE_EEESW_SX_SY_S15_S19_S1B_T6_T7_T9_mT8_S1D_bDpT10_ENKUlT_T0_E_clISt17integral_constantIbLb1EES1P_IbLb0EEEEDaS1L_S1M_EUlS1L_E_NS1_11comp_targetILNS1_3genE5ELNS1_11target_archE942ELNS1_3gpuE9ELNS1_3repE0EEENS1_30default_config_static_selectorELNS0_4arch9wavefront6targetE0EEEvSZ_
                                        ; -- End function
	.section	.AMDGPU.csdata,"",@progbits
; Kernel info:
; codeLenInByte = 0
; NumSgprs: 0
; NumVgprs: 0
; ScratchSize: 0
; MemoryBound: 0
; FloatMode: 240
; IeeeMode: 1
; LDSByteSize: 0 bytes/workgroup (compile time only)
; SGPRBlocks: 0
; VGPRBlocks: 0
; NumSGPRsForWavesPerEU: 1
; NumVGPRsForWavesPerEU: 1
; Occupancy: 16
; WaveLimiterHint : 0
; COMPUTE_PGM_RSRC2:SCRATCH_EN: 0
; COMPUTE_PGM_RSRC2:USER_SGPR: 15
; COMPUTE_PGM_RSRC2:TRAP_HANDLER: 0
; COMPUTE_PGM_RSRC2:TGID_X_EN: 1
; COMPUTE_PGM_RSRC2:TGID_Y_EN: 0
; COMPUTE_PGM_RSRC2:TGID_Z_EN: 0
; COMPUTE_PGM_RSRC2:TIDIG_COMP_CNT: 0
	.section	.text._ZN7rocprim17ROCPRIM_400000_NS6detail17trampoline_kernelINS0_13select_configILj256ELj13ELNS0_17block_load_methodE3ELS4_3ELS4_3ELNS0_20block_scan_algorithmE0ELj4294967295EEENS1_25partition_config_selectorILNS1_17partition_subalgoE3EjNS0_10empty_typeEbEEZZNS1_14partition_implILS8_3ELb0ES6_jNS0_17counting_iteratorIjlEEPS9_SE_NS0_5tupleIJPjSE_EEENSF_IJSE_SE_EEES9_SG_JZNS1_25segmented_radix_sort_implINS0_14default_configELb1EPK6__halfPSL_PKlPlN2at6native12_GLOBAL__N_18offset_tEEE10hipError_tPvRmT1_PNSt15iterator_traitsISZ_E10value_typeET2_T3_PNS10_IS15_E10value_typeET4_jRbjT5_S1B_jjP12ihipStream_tbEUljE_EEESW_SX_SY_S15_S19_S1B_T6_T7_T9_mT8_S1D_bDpT10_ENKUlT_T0_E_clISt17integral_constantIbLb1EES1P_IbLb0EEEEDaS1L_S1M_EUlS1L_E_NS1_11comp_targetILNS1_3genE4ELNS1_11target_archE910ELNS1_3gpuE8ELNS1_3repE0EEENS1_30default_config_static_selectorELNS0_4arch9wavefront6targetE0EEEvSZ_,"axG",@progbits,_ZN7rocprim17ROCPRIM_400000_NS6detail17trampoline_kernelINS0_13select_configILj256ELj13ELNS0_17block_load_methodE3ELS4_3ELS4_3ELNS0_20block_scan_algorithmE0ELj4294967295EEENS1_25partition_config_selectorILNS1_17partition_subalgoE3EjNS0_10empty_typeEbEEZZNS1_14partition_implILS8_3ELb0ES6_jNS0_17counting_iteratorIjlEEPS9_SE_NS0_5tupleIJPjSE_EEENSF_IJSE_SE_EEES9_SG_JZNS1_25segmented_radix_sort_implINS0_14default_configELb1EPK6__halfPSL_PKlPlN2at6native12_GLOBAL__N_18offset_tEEE10hipError_tPvRmT1_PNSt15iterator_traitsISZ_E10value_typeET2_T3_PNS10_IS15_E10value_typeET4_jRbjT5_S1B_jjP12ihipStream_tbEUljE_EEESW_SX_SY_S15_S19_S1B_T6_T7_T9_mT8_S1D_bDpT10_ENKUlT_T0_E_clISt17integral_constantIbLb1EES1P_IbLb0EEEEDaS1L_S1M_EUlS1L_E_NS1_11comp_targetILNS1_3genE4ELNS1_11target_archE910ELNS1_3gpuE8ELNS1_3repE0EEENS1_30default_config_static_selectorELNS0_4arch9wavefront6targetE0EEEvSZ_,comdat
	.globl	_ZN7rocprim17ROCPRIM_400000_NS6detail17trampoline_kernelINS0_13select_configILj256ELj13ELNS0_17block_load_methodE3ELS4_3ELS4_3ELNS0_20block_scan_algorithmE0ELj4294967295EEENS1_25partition_config_selectorILNS1_17partition_subalgoE3EjNS0_10empty_typeEbEEZZNS1_14partition_implILS8_3ELb0ES6_jNS0_17counting_iteratorIjlEEPS9_SE_NS0_5tupleIJPjSE_EEENSF_IJSE_SE_EEES9_SG_JZNS1_25segmented_radix_sort_implINS0_14default_configELb1EPK6__halfPSL_PKlPlN2at6native12_GLOBAL__N_18offset_tEEE10hipError_tPvRmT1_PNSt15iterator_traitsISZ_E10value_typeET2_T3_PNS10_IS15_E10value_typeET4_jRbjT5_S1B_jjP12ihipStream_tbEUljE_EEESW_SX_SY_S15_S19_S1B_T6_T7_T9_mT8_S1D_bDpT10_ENKUlT_T0_E_clISt17integral_constantIbLb1EES1P_IbLb0EEEEDaS1L_S1M_EUlS1L_E_NS1_11comp_targetILNS1_3genE4ELNS1_11target_archE910ELNS1_3gpuE8ELNS1_3repE0EEENS1_30default_config_static_selectorELNS0_4arch9wavefront6targetE0EEEvSZ_ ; -- Begin function _ZN7rocprim17ROCPRIM_400000_NS6detail17trampoline_kernelINS0_13select_configILj256ELj13ELNS0_17block_load_methodE3ELS4_3ELS4_3ELNS0_20block_scan_algorithmE0ELj4294967295EEENS1_25partition_config_selectorILNS1_17partition_subalgoE3EjNS0_10empty_typeEbEEZZNS1_14partition_implILS8_3ELb0ES6_jNS0_17counting_iteratorIjlEEPS9_SE_NS0_5tupleIJPjSE_EEENSF_IJSE_SE_EEES9_SG_JZNS1_25segmented_radix_sort_implINS0_14default_configELb1EPK6__halfPSL_PKlPlN2at6native12_GLOBAL__N_18offset_tEEE10hipError_tPvRmT1_PNSt15iterator_traitsISZ_E10value_typeET2_T3_PNS10_IS15_E10value_typeET4_jRbjT5_S1B_jjP12ihipStream_tbEUljE_EEESW_SX_SY_S15_S19_S1B_T6_T7_T9_mT8_S1D_bDpT10_ENKUlT_T0_E_clISt17integral_constantIbLb1EES1P_IbLb0EEEEDaS1L_S1M_EUlS1L_E_NS1_11comp_targetILNS1_3genE4ELNS1_11target_archE910ELNS1_3gpuE8ELNS1_3repE0EEENS1_30default_config_static_selectorELNS0_4arch9wavefront6targetE0EEEvSZ_
	.p2align	8
	.type	_ZN7rocprim17ROCPRIM_400000_NS6detail17trampoline_kernelINS0_13select_configILj256ELj13ELNS0_17block_load_methodE3ELS4_3ELS4_3ELNS0_20block_scan_algorithmE0ELj4294967295EEENS1_25partition_config_selectorILNS1_17partition_subalgoE3EjNS0_10empty_typeEbEEZZNS1_14partition_implILS8_3ELb0ES6_jNS0_17counting_iteratorIjlEEPS9_SE_NS0_5tupleIJPjSE_EEENSF_IJSE_SE_EEES9_SG_JZNS1_25segmented_radix_sort_implINS0_14default_configELb1EPK6__halfPSL_PKlPlN2at6native12_GLOBAL__N_18offset_tEEE10hipError_tPvRmT1_PNSt15iterator_traitsISZ_E10value_typeET2_T3_PNS10_IS15_E10value_typeET4_jRbjT5_S1B_jjP12ihipStream_tbEUljE_EEESW_SX_SY_S15_S19_S1B_T6_T7_T9_mT8_S1D_bDpT10_ENKUlT_T0_E_clISt17integral_constantIbLb1EES1P_IbLb0EEEEDaS1L_S1M_EUlS1L_E_NS1_11comp_targetILNS1_3genE4ELNS1_11target_archE910ELNS1_3gpuE8ELNS1_3repE0EEENS1_30default_config_static_selectorELNS0_4arch9wavefront6targetE0EEEvSZ_,@function
_ZN7rocprim17ROCPRIM_400000_NS6detail17trampoline_kernelINS0_13select_configILj256ELj13ELNS0_17block_load_methodE3ELS4_3ELS4_3ELNS0_20block_scan_algorithmE0ELj4294967295EEENS1_25partition_config_selectorILNS1_17partition_subalgoE3EjNS0_10empty_typeEbEEZZNS1_14partition_implILS8_3ELb0ES6_jNS0_17counting_iteratorIjlEEPS9_SE_NS0_5tupleIJPjSE_EEENSF_IJSE_SE_EEES9_SG_JZNS1_25segmented_radix_sort_implINS0_14default_configELb1EPK6__halfPSL_PKlPlN2at6native12_GLOBAL__N_18offset_tEEE10hipError_tPvRmT1_PNSt15iterator_traitsISZ_E10value_typeET2_T3_PNS10_IS15_E10value_typeET4_jRbjT5_S1B_jjP12ihipStream_tbEUljE_EEESW_SX_SY_S15_S19_S1B_T6_T7_T9_mT8_S1D_bDpT10_ENKUlT_T0_E_clISt17integral_constantIbLb1EES1P_IbLb0EEEEDaS1L_S1M_EUlS1L_E_NS1_11comp_targetILNS1_3genE4ELNS1_11target_archE910ELNS1_3gpuE8ELNS1_3repE0EEENS1_30default_config_static_selectorELNS0_4arch9wavefront6targetE0EEEvSZ_: ; @_ZN7rocprim17ROCPRIM_400000_NS6detail17trampoline_kernelINS0_13select_configILj256ELj13ELNS0_17block_load_methodE3ELS4_3ELS4_3ELNS0_20block_scan_algorithmE0ELj4294967295EEENS1_25partition_config_selectorILNS1_17partition_subalgoE3EjNS0_10empty_typeEbEEZZNS1_14partition_implILS8_3ELb0ES6_jNS0_17counting_iteratorIjlEEPS9_SE_NS0_5tupleIJPjSE_EEENSF_IJSE_SE_EEES9_SG_JZNS1_25segmented_radix_sort_implINS0_14default_configELb1EPK6__halfPSL_PKlPlN2at6native12_GLOBAL__N_18offset_tEEE10hipError_tPvRmT1_PNSt15iterator_traitsISZ_E10value_typeET2_T3_PNS10_IS15_E10value_typeET4_jRbjT5_S1B_jjP12ihipStream_tbEUljE_EEESW_SX_SY_S15_S19_S1B_T6_T7_T9_mT8_S1D_bDpT10_ENKUlT_T0_E_clISt17integral_constantIbLb1EES1P_IbLb0EEEEDaS1L_S1M_EUlS1L_E_NS1_11comp_targetILNS1_3genE4ELNS1_11target_archE910ELNS1_3gpuE8ELNS1_3repE0EEENS1_30default_config_static_selectorELNS0_4arch9wavefront6targetE0EEEvSZ_
; %bb.0:
	.section	.rodata,"a",@progbits
	.p2align	6, 0x0
	.amdhsa_kernel _ZN7rocprim17ROCPRIM_400000_NS6detail17trampoline_kernelINS0_13select_configILj256ELj13ELNS0_17block_load_methodE3ELS4_3ELS4_3ELNS0_20block_scan_algorithmE0ELj4294967295EEENS1_25partition_config_selectorILNS1_17partition_subalgoE3EjNS0_10empty_typeEbEEZZNS1_14partition_implILS8_3ELb0ES6_jNS0_17counting_iteratorIjlEEPS9_SE_NS0_5tupleIJPjSE_EEENSF_IJSE_SE_EEES9_SG_JZNS1_25segmented_radix_sort_implINS0_14default_configELb1EPK6__halfPSL_PKlPlN2at6native12_GLOBAL__N_18offset_tEEE10hipError_tPvRmT1_PNSt15iterator_traitsISZ_E10value_typeET2_T3_PNS10_IS15_E10value_typeET4_jRbjT5_S1B_jjP12ihipStream_tbEUljE_EEESW_SX_SY_S15_S19_S1B_T6_T7_T9_mT8_S1D_bDpT10_ENKUlT_T0_E_clISt17integral_constantIbLb1EES1P_IbLb0EEEEDaS1L_S1M_EUlS1L_E_NS1_11comp_targetILNS1_3genE4ELNS1_11target_archE910ELNS1_3gpuE8ELNS1_3repE0EEENS1_30default_config_static_selectorELNS0_4arch9wavefront6targetE0EEEvSZ_
		.amdhsa_group_segment_fixed_size 0
		.amdhsa_private_segment_fixed_size 0
		.amdhsa_kernarg_size 144
		.amdhsa_user_sgpr_count 15
		.amdhsa_user_sgpr_dispatch_ptr 0
		.amdhsa_user_sgpr_queue_ptr 0
		.amdhsa_user_sgpr_kernarg_segment_ptr 1
		.amdhsa_user_sgpr_dispatch_id 0
		.amdhsa_user_sgpr_private_segment_size 0
		.amdhsa_wavefront_size32 1
		.amdhsa_uses_dynamic_stack 0
		.amdhsa_enable_private_segment 0
		.amdhsa_system_sgpr_workgroup_id_x 1
		.amdhsa_system_sgpr_workgroup_id_y 0
		.amdhsa_system_sgpr_workgroup_id_z 0
		.amdhsa_system_sgpr_workgroup_info 0
		.amdhsa_system_vgpr_workitem_id 0
		.amdhsa_next_free_vgpr 1
		.amdhsa_next_free_sgpr 1
		.amdhsa_reserve_vcc 0
		.amdhsa_float_round_mode_32 0
		.amdhsa_float_round_mode_16_64 0
		.amdhsa_float_denorm_mode_32 3
		.amdhsa_float_denorm_mode_16_64 3
		.amdhsa_dx10_clamp 1
		.amdhsa_ieee_mode 1
		.amdhsa_fp16_overflow 0
		.amdhsa_workgroup_processor_mode 1
		.amdhsa_memory_ordered 1
		.amdhsa_forward_progress 0
		.amdhsa_shared_vgpr_count 0
		.amdhsa_exception_fp_ieee_invalid_op 0
		.amdhsa_exception_fp_denorm_src 0
		.amdhsa_exception_fp_ieee_div_zero 0
		.amdhsa_exception_fp_ieee_overflow 0
		.amdhsa_exception_fp_ieee_underflow 0
		.amdhsa_exception_fp_ieee_inexact 0
		.amdhsa_exception_int_div_zero 0
	.end_amdhsa_kernel
	.section	.text._ZN7rocprim17ROCPRIM_400000_NS6detail17trampoline_kernelINS0_13select_configILj256ELj13ELNS0_17block_load_methodE3ELS4_3ELS4_3ELNS0_20block_scan_algorithmE0ELj4294967295EEENS1_25partition_config_selectorILNS1_17partition_subalgoE3EjNS0_10empty_typeEbEEZZNS1_14partition_implILS8_3ELb0ES6_jNS0_17counting_iteratorIjlEEPS9_SE_NS0_5tupleIJPjSE_EEENSF_IJSE_SE_EEES9_SG_JZNS1_25segmented_radix_sort_implINS0_14default_configELb1EPK6__halfPSL_PKlPlN2at6native12_GLOBAL__N_18offset_tEEE10hipError_tPvRmT1_PNSt15iterator_traitsISZ_E10value_typeET2_T3_PNS10_IS15_E10value_typeET4_jRbjT5_S1B_jjP12ihipStream_tbEUljE_EEESW_SX_SY_S15_S19_S1B_T6_T7_T9_mT8_S1D_bDpT10_ENKUlT_T0_E_clISt17integral_constantIbLb1EES1P_IbLb0EEEEDaS1L_S1M_EUlS1L_E_NS1_11comp_targetILNS1_3genE4ELNS1_11target_archE910ELNS1_3gpuE8ELNS1_3repE0EEENS1_30default_config_static_selectorELNS0_4arch9wavefront6targetE0EEEvSZ_,"axG",@progbits,_ZN7rocprim17ROCPRIM_400000_NS6detail17trampoline_kernelINS0_13select_configILj256ELj13ELNS0_17block_load_methodE3ELS4_3ELS4_3ELNS0_20block_scan_algorithmE0ELj4294967295EEENS1_25partition_config_selectorILNS1_17partition_subalgoE3EjNS0_10empty_typeEbEEZZNS1_14partition_implILS8_3ELb0ES6_jNS0_17counting_iteratorIjlEEPS9_SE_NS0_5tupleIJPjSE_EEENSF_IJSE_SE_EEES9_SG_JZNS1_25segmented_radix_sort_implINS0_14default_configELb1EPK6__halfPSL_PKlPlN2at6native12_GLOBAL__N_18offset_tEEE10hipError_tPvRmT1_PNSt15iterator_traitsISZ_E10value_typeET2_T3_PNS10_IS15_E10value_typeET4_jRbjT5_S1B_jjP12ihipStream_tbEUljE_EEESW_SX_SY_S15_S19_S1B_T6_T7_T9_mT8_S1D_bDpT10_ENKUlT_T0_E_clISt17integral_constantIbLb1EES1P_IbLb0EEEEDaS1L_S1M_EUlS1L_E_NS1_11comp_targetILNS1_3genE4ELNS1_11target_archE910ELNS1_3gpuE8ELNS1_3repE0EEENS1_30default_config_static_selectorELNS0_4arch9wavefront6targetE0EEEvSZ_,comdat
.Lfunc_end1725:
	.size	_ZN7rocprim17ROCPRIM_400000_NS6detail17trampoline_kernelINS0_13select_configILj256ELj13ELNS0_17block_load_methodE3ELS4_3ELS4_3ELNS0_20block_scan_algorithmE0ELj4294967295EEENS1_25partition_config_selectorILNS1_17partition_subalgoE3EjNS0_10empty_typeEbEEZZNS1_14partition_implILS8_3ELb0ES6_jNS0_17counting_iteratorIjlEEPS9_SE_NS0_5tupleIJPjSE_EEENSF_IJSE_SE_EEES9_SG_JZNS1_25segmented_radix_sort_implINS0_14default_configELb1EPK6__halfPSL_PKlPlN2at6native12_GLOBAL__N_18offset_tEEE10hipError_tPvRmT1_PNSt15iterator_traitsISZ_E10value_typeET2_T3_PNS10_IS15_E10value_typeET4_jRbjT5_S1B_jjP12ihipStream_tbEUljE_EEESW_SX_SY_S15_S19_S1B_T6_T7_T9_mT8_S1D_bDpT10_ENKUlT_T0_E_clISt17integral_constantIbLb1EES1P_IbLb0EEEEDaS1L_S1M_EUlS1L_E_NS1_11comp_targetILNS1_3genE4ELNS1_11target_archE910ELNS1_3gpuE8ELNS1_3repE0EEENS1_30default_config_static_selectorELNS0_4arch9wavefront6targetE0EEEvSZ_, .Lfunc_end1725-_ZN7rocprim17ROCPRIM_400000_NS6detail17trampoline_kernelINS0_13select_configILj256ELj13ELNS0_17block_load_methodE3ELS4_3ELS4_3ELNS0_20block_scan_algorithmE0ELj4294967295EEENS1_25partition_config_selectorILNS1_17partition_subalgoE3EjNS0_10empty_typeEbEEZZNS1_14partition_implILS8_3ELb0ES6_jNS0_17counting_iteratorIjlEEPS9_SE_NS0_5tupleIJPjSE_EEENSF_IJSE_SE_EEES9_SG_JZNS1_25segmented_radix_sort_implINS0_14default_configELb1EPK6__halfPSL_PKlPlN2at6native12_GLOBAL__N_18offset_tEEE10hipError_tPvRmT1_PNSt15iterator_traitsISZ_E10value_typeET2_T3_PNS10_IS15_E10value_typeET4_jRbjT5_S1B_jjP12ihipStream_tbEUljE_EEESW_SX_SY_S15_S19_S1B_T6_T7_T9_mT8_S1D_bDpT10_ENKUlT_T0_E_clISt17integral_constantIbLb1EES1P_IbLb0EEEEDaS1L_S1M_EUlS1L_E_NS1_11comp_targetILNS1_3genE4ELNS1_11target_archE910ELNS1_3gpuE8ELNS1_3repE0EEENS1_30default_config_static_selectorELNS0_4arch9wavefront6targetE0EEEvSZ_
                                        ; -- End function
	.section	.AMDGPU.csdata,"",@progbits
; Kernel info:
; codeLenInByte = 0
; NumSgprs: 0
; NumVgprs: 0
; ScratchSize: 0
; MemoryBound: 0
; FloatMode: 240
; IeeeMode: 1
; LDSByteSize: 0 bytes/workgroup (compile time only)
; SGPRBlocks: 0
; VGPRBlocks: 0
; NumSGPRsForWavesPerEU: 1
; NumVGPRsForWavesPerEU: 1
; Occupancy: 16
; WaveLimiterHint : 0
; COMPUTE_PGM_RSRC2:SCRATCH_EN: 0
; COMPUTE_PGM_RSRC2:USER_SGPR: 15
; COMPUTE_PGM_RSRC2:TRAP_HANDLER: 0
; COMPUTE_PGM_RSRC2:TGID_X_EN: 1
; COMPUTE_PGM_RSRC2:TGID_Y_EN: 0
; COMPUTE_PGM_RSRC2:TGID_Z_EN: 0
; COMPUTE_PGM_RSRC2:TIDIG_COMP_CNT: 0
	.section	.text._ZN7rocprim17ROCPRIM_400000_NS6detail17trampoline_kernelINS0_13select_configILj256ELj13ELNS0_17block_load_methodE3ELS4_3ELS4_3ELNS0_20block_scan_algorithmE0ELj4294967295EEENS1_25partition_config_selectorILNS1_17partition_subalgoE3EjNS0_10empty_typeEbEEZZNS1_14partition_implILS8_3ELb0ES6_jNS0_17counting_iteratorIjlEEPS9_SE_NS0_5tupleIJPjSE_EEENSF_IJSE_SE_EEES9_SG_JZNS1_25segmented_radix_sort_implINS0_14default_configELb1EPK6__halfPSL_PKlPlN2at6native12_GLOBAL__N_18offset_tEEE10hipError_tPvRmT1_PNSt15iterator_traitsISZ_E10value_typeET2_T3_PNS10_IS15_E10value_typeET4_jRbjT5_S1B_jjP12ihipStream_tbEUljE_EEESW_SX_SY_S15_S19_S1B_T6_T7_T9_mT8_S1D_bDpT10_ENKUlT_T0_E_clISt17integral_constantIbLb1EES1P_IbLb0EEEEDaS1L_S1M_EUlS1L_E_NS1_11comp_targetILNS1_3genE3ELNS1_11target_archE908ELNS1_3gpuE7ELNS1_3repE0EEENS1_30default_config_static_selectorELNS0_4arch9wavefront6targetE0EEEvSZ_,"axG",@progbits,_ZN7rocprim17ROCPRIM_400000_NS6detail17trampoline_kernelINS0_13select_configILj256ELj13ELNS0_17block_load_methodE3ELS4_3ELS4_3ELNS0_20block_scan_algorithmE0ELj4294967295EEENS1_25partition_config_selectorILNS1_17partition_subalgoE3EjNS0_10empty_typeEbEEZZNS1_14partition_implILS8_3ELb0ES6_jNS0_17counting_iteratorIjlEEPS9_SE_NS0_5tupleIJPjSE_EEENSF_IJSE_SE_EEES9_SG_JZNS1_25segmented_radix_sort_implINS0_14default_configELb1EPK6__halfPSL_PKlPlN2at6native12_GLOBAL__N_18offset_tEEE10hipError_tPvRmT1_PNSt15iterator_traitsISZ_E10value_typeET2_T3_PNS10_IS15_E10value_typeET4_jRbjT5_S1B_jjP12ihipStream_tbEUljE_EEESW_SX_SY_S15_S19_S1B_T6_T7_T9_mT8_S1D_bDpT10_ENKUlT_T0_E_clISt17integral_constantIbLb1EES1P_IbLb0EEEEDaS1L_S1M_EUlS1L_E_NS1_11comp_targetILNS1_3genE3ELNS1_11target_archE908ELNS1_3gpuE7ELNS1_3repE0EEENS1_30default_config_static_selectorELNS0_4arch9wavefront6targetE0EEEvSZ_,comdat
	.globl	_ZN7rocprim17ROCPRIM_400000_NS6detail17trampoline_kernelINS0_13select_configILj256ELj13ELNS0_17block_load_methodE3ELS4_3ELS4_3ELNS0_20block_scan_algorithmE0ELj4294967295EEENS1_25partition_config_selectorILNS1_17partition_subalgoE3EjNS0_10empty_typeEbEEZZNS1_14partition_implILS8_3ELb0ES6_jNS0_17counting_iteratorIjlEEPS9_SE_NS0_5tupleIJPjSE_EEENSF_IJSE_SE_EEES9_SG_JZNS1_25segmented_radix_sort_implINS0_14default_configELb1EPK6__halfPSL_PKlPlN2at6native12_GLOBAL__N_18offset_tEEE10hipError_tPvRmT1_PNSt15iterator_traitsISZ_E10value_typeET2_T3_PNS10_IS15_E10value_typeET4_jRbjT5_S1B_jjP12ihipStream_tbEUljE_EEESW_SX_SY_S15_S19_S1B_T6_T7_T9_mT8_S1D_bDpT10_ENKUlT_T0_E_clISt17integral_constantIbLb1EES1P_IbLb0EEEEDaS1L_S1M_EUlS1L_E_NS1_11comp_targetILNS1_3genE3ELNS1_11target_archE908ELNS1_3gpuE7ELNS1_3repE0EEENS1_30default_config_static_selectorELNS0_4arch9wavefront6targetE0EEEvSZ_ ; -- Begin function _ZN7rocprim17ROCPRIM_400000_NS6detail17trampoline_kernelINS0_13select_configILj256ELj13ELNS0_17block_load_methodE3ELS4_3ELS4_3ELNS0_20block_scan_algorithmE0ELj4294967295EEENS1_25partition_config_selectorILNS1_17partition_subalgoE3EjNS0_10empty_typeEbEEZZNS1_14partition_implILS8_3ELb0ES6_jNS0_17counting_iteratorIjlEEPS9_SE_NS0_5tupleIJPjSE_EEENSF_IJSE_SE_EEES9_SG_JZNS1_25segmented_radix_sort_implINS0_14default_configELb1EPK6__halfPSL_PKlPlN2at6native12_GLOBAL__N_18offset_tEEE10hipError_tPvRmT1_PNSt15iterator_traitsISZ_E10value_typeET2_T3_PNS10_IS15_E10value_typeET4_jRbjT5_S1B_jjP12ihipStream_tbEUljE_EEESW_SX_SY_S15_S19_S1B_T6_T7_T9_mT8_S1D_bDpT10_ENKUlT_T0_E_clISt17integral_constantIbLb1EES1P_IbLb0EEEEDaS1L_S1M_EUlS1L_E_NS1_11comp_targetILNS1_3genE3ELNS1_11target_archE908ELNS1_3gpuE7ELNS1_3repE0EEENS1_30default_config_static_selectorELNS0_4arch9wavefront6targetE0EEEvSZ_
	.p2align	8
	.type	_ZN7rocprim17ROCPRIM_400000_NS6detail17trampoline_kernelINS0_13select_configILj256ELj13ELNS0_17block_load_methodE3ELS4_3ELS4_3ELNS0_20block_scan_algorithmE0ELj4294967295EEENS1_25partition_config_selectorILNS1_17partition_subalgoE3EjNS0_10empty_typeEbEEZZNS1_14partition_implILS8_3ELb0ES6_jNS0_17counting_iteratorIjlEEPS9_SE_NS0_5tupleIJPjSE_EEENSF_IJSE_SE_EEES9_SG_JZNS1_25segmented_radix_sort_implINS0_14default_configELb1EPK6__halfPSL_PKlPlN2at6native12_GLOBAL__N_18offset_tEEE10hipError_tPvRmT1_PNSt15iterator_traitsISZ_E10value_typeET2_T3_PNS10_IS15_E10value_typeET4_jRbjT5_S1B_jjP12ihipStream_tbEUljE_EEESW_SX_SY_S15_S19_S1B_T6_T7_T9_mT8_S1D_bDpT10_ENKUlT_T0_E_clISt17integral_constantIbLb1EES1P_IbLb0EEEEDaS1L_S1M_EUlS1L_E_NS1_11comp_targetILNS1_3genE3ELNS1_11target_archE908ELNS1_3gpuE7ELNS1_3repE0EEENS1_30default_config_static_selectorELNS0_4arch9wavefront6targetE0EEEvSZ_,@function
_ZN7rocprim17ROCPRIM_400000_NS6detail17trampoline_kernelINS0_13select_configILj256ELj13ELNS0_17block_load_methodE3ELS4_3ELS4_3ELNS0_20block_scan_algorithmE0ELj4294967295EEENS1_25partition_config_selectorILNS1_17partition_subalgoE3EjNS0_10empty_typeEbEEZZNS1_14partition_implILS8_3ELb0ES6_jNS0_17counting_iteratorIjlEEPS9_SE_NS0_5tupleIJPjSE_EEENSF_IJSE_SE_EEES9_SG_JZNS1_25segmented_radix_sort_implINS0_14default_configELb1EPK6__halfPSL_PKlPlN2at6native12_GLOBAL__N_18offset_tEEE10hipError_tPvRmT1_PNSt15iterator_traitsISZ_E10value_typeET2_T3_PNS10_IS15_E10value_typeET4_jRbjT5_S1B_jjP12ihipStream_tbEUljE_EEESW_SX_SY_S15_S19_S1B_T6_T7_T9_mT8_S1D_bDpT10_ENKUlT_T0_E_clISt17integral_constantIbLb1EES1P_IbLb0EEEEDaS1L_S1M_EUlS1L_E_NS1_11comp_targetILNS1_3genE3ELNS1_11target_archE908ELNS1_3gpuE7ELNS1_3repE0EEENS1_30default_config_static_selectorELNS0_4arch9wavefront6targetE0EEEvSZ_: ; @_ZN7rocprim17ROCPRIM_400000_NS6detail17trampoline_kernelINS0_13select_configILj256ELj13ELNS0_17block_load_methodE3ELS4_3ELS4_3ELNS0_20block_scan_algorithmE0ELj4294967295EEENS1_25partition_config_selectorILNS1_17partition_subalgoE3EjNS0_10empty_typeEbEEZZNS1_14partition_implILS8_3ELb0ES6_jNS0_17counting_iteratorIjlEEPS9_SE_NS0_5tupleIJPjSE_EEENSF_IJSE_SE_EEES9_SG_JZNS1_25segmented_radix_sort_implINS0_14default_configELb1EPK6__halfPSL_PKlPlN2at6native12_GLOBAL__N_18offset_tEEE10hipError_tPvRmT1_PNSt15iterator_traitsISZ_E10value_typeET2_T3_PNS10_IS15_E10value_typeET4_jRbjT5_S1B_jjP12ihipStream_tbEUljE_EEESW_SX_SY_S15_S19_S1B_T6_T7_T9_mT8_S1D_bDpT10_ENKUlT_T0_E_clISt17integral_constantIbLb1EES1P_IbLb0EEEEDaS1L_S1M_EUlS1L_E_NS1_11comp_targetILNS1_3genE3ELNS1_11target_archE908ELNS1_3gpuE7ELNS1_3repE0EEENS1_30default_config_static_selectorELNS0_4arch9wavefront6targetE0EEEvSZ_
; %bb.0:
	.section	.rodata,"a",@progbits
	.p2align	6, 0x0
	.amdhsa_kernel _ZN7rocprim17ROCPRIM_400000_NS6detail17trampoline_kernelINS0_13select_configILj256ELj13ELNS0_17block_load_methodE3ELS4_3ELS4_3ELNS0_20block_scan_algorithmE0ELj4294967295EEENS1_25partition_config_selectorILNS1_17partition_subalgoE3EjNS0_10empty_typeEbEEZZNS1_14partition_implILS8_3ELb0ES6_jNS0_17counting_iteratorIjlEEPS9_SE_NS0_5tupleIJPjSE_EEENSF_IJSE_SE_EEES9_SG_JZNS1_25segmented_radix_sort_implINS0_14default_configELb1EPK6__halfPSL_PKlPlN2at6native12_GLOBAL__N_18offset_tEEE10hipError_tPvRmT1_PNSt15iterator_traitsISZ_E10value_typeET2_T3_PNS10_IS15_E10value_typeET4_jRbjT5_S1B_jjP12ihipStream_tbEUljE_EEESW_SX_SY_S15_S19_S1B_T6_T7_T9_mT8_S1D_bDpT10_ENKUlT_T0_E_clISt17integral_constantIbLb1EES1P_IbLb0EEEEDaS1L_S1M_EUlS1L_E_NS1_11comp_targetILNS1_3genE3ELNS1_11target_archE908ELNS1_3gpuE7ELNS1_3repE0EEENS1_30default_config_static_selectorELNS0_4arch9wavefront6targetE0EEEvSZ_
		.amdhsa_group_segment_fixed_size 0
		.amdhsa_private_segment_fixed_size 0
		.amdhsa_kernarg_size 144
		.amdhsa_user_sgpr_count 15
		.amdhsa_user_sgpr_dispatch_ptr 0
		.amdhsa_user_sgpr_queue_ptr 0
		.amdhsa_user_sgpr_kernarg_segment_ptr 1
		.amdhsa_user_sgpr_dispatch_id 0
		.amdhsa_user_sgpr_private_segment_size 0
		.amdhsa_wavefront_size32 1
		.amdhsa_uses_dynamic_stack 0
		.amdhsa_enable_private_segment 0
		.amdhsa_system_sgpr_workgroup_id_x 1
		.amdhsa_system_sgpr_workgroup_id_y 0
		.amdhsa_system_sgpr_workgroup_id_z 0
		.amdhsa_system_sgpr_workgroup_info 0
		.amdhsa_system_vgpr_workitem_id 0
		.amdhsa_next_free_vgpr 1
		.amdhsa_next_free_sgpr 1
		.amdhsa_reserve_vcc 0
		.amdhsa_float_round_mode_32 0
		.amdhsa_float_round_mode_16_64 0
		.amdhsa_float_denorm_mode_32 3
		.amdhsa_float_denorm_mode_16_64 3
		.amdhsa_dx10_clamp 1
		.amdhsa_ieee_mode 1
		.amdhsa_fp16_overflow 0
		.amdhsa_workgroup_processor_mode 1
		.amdhsa_memory_ordered 1
		.amdhsa_forward_progress 0
		.amdhsa_shared_vgpr_count 0
		.amdhsa_exception_fp_ieee_invalid_op 0
		.amdhsa_exception_fp_denorm_src 0
		.amdhsa_exception_fp_ieee_div_zero 0
		.amdhsa_exception_fp_ieee_overflow 0
		.amdhsa_exception_fp_ieee_underflow 0
		.amdhsa_exception_fp_ieee_inexact 0
		.amdhsa_exception_int_div_zero 0
	.end_amdhsa_kernel
	.section	.text._ZN7rocprim17ROCPRIM_400000_NS6detail17trampoline_kernelINS0_13select_configILj256ELj13ELNS0_17block_load_methodE3ELS4_3ELS4_3ELNS0_20block_scan_algorithmE0ELj4294967295EEENS1_25partition_config_selectorILNS1_17partition_subalgoE3EjNS0_10empty_typeEbEEZZNS1_14partition_implILS8_3ELb0ES6_jNS0_17counting_iteratorIjlEEPS9_SE_NS0_5tupleIJPjSE_EEENSF_IJSE_SE_EEES9_SG_JZNS1_25segmented_radix_sort_implINS0_14default_configELb1EPK6__halfPSL_PKlPlN2at6native12_GLOBAL__N_18offset_tEEE10hipError_tPvRmT1_PNSt15iterator_traitsISZ_E10value_typeET2_T3_PNS10_IS15_E10value_typeET4_jRbjT5_S1B_jjP12ihipStream_tbEUljE_EEESW_SX_SY_S15_S19_S1B_T6_T7_T9_mT8_S1D_bDpT10_ENKUlT_T0_E_clISt17integral_constantIbLb1EES1P_IbLb0EEEEDaS1L_S1M_EUlS1L_E_NS1_11comp_targetILNS1_3genE3ELNS1_11target_archE908ELNS1_3gpuE7ELNS1_3repE0EEENS1_30default_config_static_selectorELNS0_4arch9wavefront6targetE0EEEvSZ_,"axG",@progbits,_ZN7rocprim17ROCPRIM_400000_NS6detail17trampoline_kernelINS0_13select_configILj256ELj13ELNS0_17block_load_methodE3ELS4_3ELS4_3ELNS0_20block_scan_algorithmE0ELj4294967295EEENS1_25partition_config_selectorILNS1_17partition_subalgoE3EjNS0_10empty_typeEbEEZZNS1_14partition_implILS8_3ELb0ES6_jNS0_17counting_iteratorIjlEEPS9_SE_NS0_5tupleIJPjSE_EEENSF_IJSE_SE_EEES9_SG_JZNS1_25segmented_radix_sort_implINS0_14default_configELb1EPK6__halfPSL_PKlPlN2at6native12_GLOBAL__N_18offset_tEEE10hipError_tPvRmT1_PNSt15iterator_traitsISZ_E10value_typeET2_T3_PNS10_IS15_E10value_typeET4_jRbjT5_S1B_jjP12ihipStream_tbEUljE_EEESW_SX_SY_S15_S19_S1B_T6_T7_T9_mT8_S1D_bDpT10_ENKUlT_T0_E_clISt17integral_constantIbLb1EES1P_IbLb0EEEEDaS1L_S1M_EUlS1L_E_NS1_11comp_targetILNS1_3genE3ELNS1_11target_archE908ELNS1_3gpuE7ELNS1_3repE0EEENS1_30default_config_static_selectorELNS0_4arch9wavefront6targetE0EEEvSZ_,comdat
.Lfunc_end1726:
	.size	_ZN7rocprim17ROCPRIM_400000_NS6detail17trampoline_kernelINS0_13select_configILj256ELj13ELNS0_17block_load_methodE3ELS4_3ELS4_3ELNS0_20block_scan_algorithmE0ELj4294967295EEENS1_25partition_config_selectorILNS1_17partition_subalgoE3EjNS0_10empty_typeEbEEZZNS1_14partition_implILS8_3ELb0ES6_jNS0_17counting_iteratorIjlEEPS9_SE_NS0_5tupleIJPjSE_EEENSF_IJSE_SE_EEES9_SG_JZNS1_25segmented_radix_sort_implINS0_14default_configELb1EPK6__halfPSL_PKlPlN2at6native12_GLOBAL__N_18offset_tEEE10hipError_tPvRmT1_PNSt15iterator_traitsISZ_E10value_typeET2_T3_PNS10_IS15_E10value_typeET4_jRbjT5_S1B_jjP12ihipStream_tbEUljE_EEESW_SX_SY_S15_S19_S1B_T6_T7_T9_mT8_S1D_bDpT10_ENKUlT_T0_E_clISt17integral_constantIbLb1EES1P_IbLb0EEEEDaS1L_S1M_EUlS1L_E_NS1_11comp_targetILNS1_3genE3ELNS1_11target_archE908ELNS1_3gpuE7ELNS1_3repE0EEENS1_30default_config_static_selectorELNS0_4arch9wavefront6targetE0EEEvSZ_, .Lfunc_end1726-_ZN7rocprim17ROCPRIM_400000_NS6detail17trampoline_kernelINS0_13select_configILj256ELj13ELNS0_17block_load_methodE3ELS4_3ELS4_3ELNS0_20block_scan_algorithmE0ELj4294967295EEENS1_25partition_config_selectorILNS1_17partition_subalgoE3EjNS0_10empty_typeEbEEZZNS1_14partition_implILS8_3ELb0ES6_jNS0_17counting_iteratorIjlEEPS9_SE_NS0_5tupleIJPjSE_EEENSF_IJSE_SE_EEES9_SG_JZNS1_25segmented_radix_sort_implINS0_14default_configELb1EPK6__halfPSL_PKlPlN2at6native12_GLOBAL__N_18offset_tEEE10hipError_tPvRmT1_PNSt15iterator_traitsISZ_E10value_typeET2_T3_PNS10_IS15_E10value_typeET4_jRbjT5_S1B_jjP12ihipStream_tbEUljE_EEESW_SX_SY_S15_S19_S1B_T6_T7_T9_mT8_S1D_bDpT10_ENKUlT_T0_E_clISt17integral_constantIbLb1EES1P_IbLb0EEEEDaS1L_S1M_EUlS1L_E_NS1_11comp_targetILNS1_3genE3ELNS1_11target_archE908ELNS1_3gpuE7ELNS1_3repE0EEENS1_30default_config_static_selectorELNS0_4arch9wavefront6targetE0EEEvSZ_
                                        ; -- End function
	.section	.AMDGPU.csdata,"",@progbits
; Kernel info:
; codeLenInByte = 0
; NumSgprs: 0
; NumVgprs: 0
; ScratchSize: 0
; MemoryBound: 0
; FloatMode: 240
; IeeeMode: 1
; LDSByteSize: 0 bytes/workgroup (compile time only)
; SGPRBlocks: 0
; VGPRBlocks: 0
; NumSGPRsForWavesPerEU: 1
; NumVGPRsForWavesPerEU: 1
; Occupancy: 16
; WaveLimiterHint : 0
; COMPUTE_PGM_RSRC2:SCRATCH_EN: 0
; COMPUTE_PGM_RSRC2:USER_SGPR: 15
; COMPUTE_PGM_RSRC2:TRAP_HANDLER: 0
; COMPUTE_PGM_RSRC2:TGID_X_EN: 1
; COMPUTE_PGM_RSRC2:TGID_Y_EN: 0
; COMPUTE_PGM_RSRC2:TGID_Z_EN: 0
; COMPUTE_PGM_RSRC2:TIDIG_COMP_CNT: 0
	.section	.text._ZN7rocprim17ROCPRIM_400000_NS6detail17trampoline_kernelINS0_13select_configILj256ELj13ELNS0_17block_load_methodE3ELS4_3ELS4_3ELNS0_20block_scan_algorithmE0ELj4294967295EEENS1_25partition_config_selectorILNS1_17partition_subalgoE3EjNS0_10empty_typeEbEEZZNS1_14partition_implILS8_3ELb0ES6_jNS0_17counting_iteratorIjlEEPS9_SE_NS0_5tupleIJPjSE_EEENSF_IJSE_SE_EEES9_SG_JZNS1_25segmented_radix_sort_implINS0_14default_configELb1EPK6__halfPSL_PKlPlN2at6native12_GLOBAL__N_18offset_tEEE10hipError_tPvRmT1_PNSt15iterator_traitsISZ_E10value_typeET2_T3_PNS10_IS15_E10value_typeET4_jRbjT5_S1B_jjP12ihipStream_tbEUljE_EEESW_SX_SY_S15_S19_S1B_T6_T7_T9_mT8_S1D_bDpT10_ENKUlT_T0_E_clISt17integral_constantIbLb1EES1P_IbLb0EEEEDaS1L_S1M_EUlS1L_E_NS1_11comp_targetILNS1_3genE2ELNS1_11target_archE906ELNS1_3gpuE6ELNS1_3repE0EEENS1_30default_config_static_selectorELNS0_4arch9wavefront6targetE0EEEvSZ_,"axG",@progbits,_ZN7rocprim17ROCPRIM_400000_NS6detail17trampoline_kernelINS0_13select_configILj256ELj13ELNS0_17block_load_methodE3ELS4_3ELS4_3ELNS0_20block_scan_algorithmE0ELj4294967295EEENS1_25partition_config_selectorILNS1_17partition_subalgoE3EjNS0_10empty_typeEbEEZZNS1_14partition_implILS8_3ELb0ES6_jNS0_17counting_iteratorIjlEEPS9_SE_NS0_5tupleIJPjSE_EEENSF_IJSE_SE_EEES9_SG_JZNS1_25segmented_radix_sort_implINS0_14default_configELb1EPK6__halfPSL_PKlPlN2at6native12_GLOBAL__N_18offset_tEEE10hipError_tPvRmT1_PNSt15iterator_traitsISZ_E10value_typeET2_T3_PNS10_IS15_E10value_typeET4_jRbjT5_S1B_jjP12ihipStream_tbEUljE_EEESW_SX_SY_S15_S19_S1B_T6_T7_T9_mT8_S1D_bDpT10_ENKUlT_T0_E_clISt17integral_constantIbLb1EES1P_IbLb0EEEEDaS1L_S1M_EUlS1L_E_NS1_11comp_targetILNS1_3genE2ELNS1_11target_archE906ELNS1_3gpuE6ELNS1_3repE0EEENS1_30default_config_static_selectorELNS0_4arch9wavefront6targetE0EEEvSZ_,comdat
	.globl	_ZN7rocprim17ROCPRIM_400000_NS6detail17trampoline_kernelINS0_13select_configILj256ELj13ELNS0_17block_load_methodE3ELS4_3ELS4_3ELNS0_20block_scan_algorithmE0ELj4294967295EEENS1_25partition_config_selectorILNS1_17partition_subalgoE3EjNS0_10empty_typeEbEEZZNS1_14partition_implILS8_3ELb0ES6_jNS0_17counting_iteratorIjlEEPS9_SE_NS0_5tupleIJPjSE_EEENSF_IJSE_SE_EEES9_SG_JZNS1_25segmented_radix_sort_implINS0_14default_configELb1EPK6__halfPSL_PKlPlN2at6native12_GLOBAL__N_18offset_tEEE10hipError_tPvRmT1_PNSt15iterator_traitsISZ_E10value_typeET2_T3_PNS10_IS15_E10value_typeET4_jRbjT5_S1B_jjP12ihipStream_tbEUljE_EEESW_SX_SY_S15_S19_S1B_T6_T7_T9_mT8_S1D_bDpT10_ENKUlT_T0_E_clISt17integral_constantIbLb1EES1P_IbLb0EEEEDaS1L_S1M_EUlS1L_E_NS1_11comp_targetILNS1_3genE2ELNS1_11target_archE906ELNS1_3gpuE6ELNS1_3repE0EEENS1_30default_config_static_selectorELNS0_4arch9wavefront6targetE0EEEvSZ_ ; -- Begin function _ZN7rocprim17ROCPRIM_400000_NS6detail17trampoline_kernelINS0_13select_configILj256ELj13ELNS0_17block_load_methodE3ELS4_3ELS4_3ELNS0_20block_scan_algorithmE0ELj4294967295EEENS1_25partition_config_selectorILNS1_17partition_subalgoE3EjNS0_10empty_typeEbEEZZNS1_14partition_implILS8_3ELb0ES6_jNS0_17counting_iteratorIjlEEPS9_SE_NS0_5tupleIJPjSE_EEENSF_IJSE_SE_EEES9_SG_JZNS1_25segmented_radix_sort_implINS0_14default_configELb1EPK6__halfPSL_PKlPlN2at6native12_GLOBAL__N_18offset_tEEE10hipError_tPvRmT1_PNSt15iterator_traitsISZ_E10value_typeET2_T3_PNS10_IS15_E10value_typeET4_jRbjT5_S1B_jjP12ihipStream_tbEUljE_EEESW_SX_SY_S15_S19_S1B_T6_T7_T9_mT8_S1D_bDpT10_ENKUlT_T0_E_clISt17integral_constantIbLb1EES1P_IbLb0EEEEDaS1L_S1M_EUlS1L_E_NS1_11comp_targetILNS1_3genE2ELNS1_11target_archE906ELNS1_3gpuE6ELNS1_3repE0EEENS1_30default_config_static_selectorELNS0_4arch9wavefront6targetE0EEEvSZ_
	.p2align	8
	.type	_ZN7rocprim17ROCPRIM_400000_NS6detail17trampoline_kernelINS0_13select_configILj256ELj13ELNS0_17block_load_methodE3ELS4_3ELS4_3ELNS0_20block_scan_algorithmE0ELj4294967295EEENS1_25partition_config_selectorILNS1_17partition_subalgoE3EjNS0_10empty_typeEbEEZZNS1_14partition_implILS8_3ELb0ES6_jNS0_17counting_iteratorIjlEEPS9_SE_NS0_5tupleIJPjSE_EEENSF_IJSE_SE_EEES9_SG_JZNS1_25segmented_radix_sort_implINS0_14default_configELb1EPK6__halfPSL_PKlPlN2at6native12_GLOBAL__N_18offset_tEEE10hipError_tPvRmT1_PNSt15iterator_traitsISZ_E10value_typeET2_T3_PNS10_IS15_E10value_typeET4_jRbjT5_S1B_jjP12ihipStream_tbEUljE_EEESW_SX_SY_S15_S19_S1B_T6_T7_T9_mT8_S1D_bDpT10_ENKUlT_T0_E_clISt17integral_constantIbLb1EES1P_IbLb0EEEEDaS1L_S1M_EUlS1L_E_NS1_11comp_targetILNS1_3genE2ELNS1_11target_archE906ELNS1_3gpuE6ELNS1_3repE0EEENS1_30default_config_static_selectorELNS0_4arch9wavefront6targetE0EEEvSZ_,@function
_ZN7rocprim17ROCPRIM_400000_NS6detail17trampoline_kernelINS0_13select_configILj256ELj13ELNS0_17block_load_methodE3ELS4_3ELS4_3ELNS0_20block_scan_algorithmE0ELj4294967295EEENS1_25partition_config_selectorILNS1_17partition_subalgoE3EjNS0_10empty_typeEbEEZZNS1_14partition_implILS8_3ELb0ES6_jNS0_17counting_iteratorIjlEEPS9_SE_NS0_5tupleIJPjSE_EEENSF_IJSE_SE_EEES9_SG_JZNS1_25segmented_radix_sort_implINS0_14default_configELb1EPK6__halfPSL_PKlPlN2at6native12_GLOBAL__N_18offset_tEEE10hipError_tPvRmT1_PNSt15iterator_traitsISZ_E10value_typeET2_T3_PNS10_IS15_E10value_typeET4_jRbjT5_S1B_jjP12ihipStream_tbEUljE_EEESW_SX_SY_S15_S19_S1B_T6_T7_T9_mT8_S1D_bDpT10_ENKUlT_T0_E_clISt17integral_constantIbLb1EES1P_IbLb0EEEEDaS1L_S1M_EUlS1L_E_NS1_11comp_targetILNS1_3genE2ELNS1_11target_archE906ELNS1_3gpuE6ELNS1_3repE0EEENS1_30default_config_static_selectorELNS0_4arch9wavefront6targetE0EEEvSZ_: ; @_ZN7rocprim17ROCPRIM_400000_NS6detail17trampoline_kernelINS0_13select_configILj256ELj13ELNS0_17block_load_methodE3ELS4_3ELS4_3ELNS0_20block_scan_algorithmE0ELj4294967295EEENS1_25partition_config_selectorILNS1_17partition_subalgoE3EjNS0_10empty_typeEbEEZZNS1_14partition_implILS8_3ELb0ES6_jNS0_17counting_iteratorIjlEEPS9_SE_NS0_5tupleIJPjSE_EEENSF_IJSE_SE_EEES9_SG_JZNS1_25segmented_radix_sort_implINS0_14default_configELb1EPK6__halfPSL_PKlPlN2at6native12_GLOBAL__N_18offset_tEEE10hipError_tPvRmT1_PNSt15iterator_traitsISZ_E10value_typeET2_T3_PNS10_IS15_E10value_typeET4_jRbjT5_S1B_jjP12ihipStream_tbEUljE_EEESW_SX_SY_S15_S19_S1B_T6_T7_T9_mT8_S1D_bDpT10_ENKUlT_T0_E_clISt17integral_constantIbLb1EES1P_IbLb0EEEEDaS1L_S1M_EUlS1L_E_NS1_11comp_targetILNS1_3genE2ELNS1_11target_archE906ELNS1_3gpuE6ELNS1_3repE0EEENS1_30default_config_static_selectorELNS0_4arch9wavefront6targetE0EEEvSZ_
; %bb.0:
	.section	.rodata,"a",@progbits
	.p2align	6, 0x0
	.amdhsa_kernel _ZN7rocprim17ROCPRIM_400000_NS6detail17trampoline_kernelINS0_13select_configILj256ELj13ELNS0_17block_load_methodE3ELS4_3ELS4_3ELNS0_20block_scan_algorithmE0ELj4294967295EEENS1_25partition_config_selectorILNS1_17partition_subalgoE3EjNS0_10empty_typeEbEEZZNS1_14partition_implILS8_3ELb0ES6_jNS0_17counting_iteratorIjlEEPS9_SE_NS0_5tupleIJPjSE_EEENSF_IJSE_SE_EEES9_SG_JZNS1_25segmented_radix_sort_implINS0_14default_configELb1EPK6__halfPSL_PKlPlN2at6native12_GLOBAL__N_18offset_tEEE10hipError_tPvRmT1_PNSt15iterator_traitsISZ_E10value_typeET2_T3_PNS10_IS15_E10value_typeET4_jRbjT5_S1B_jjP12ihipStream_tbEUljE_EEESW_SX_SY_S15_S19_S1B_T6_T7_T9_mT8_S1D_bDpT10_ENKUlT_T0_E_clISt17integral_constantIbLb1EES1P_IbLb0EEEEDaS1L_S1M_EUlS1L_E_NS1_11comp_targetILNS1_3genE2ELNS1_11target_archE906ELNS1_3gpuE6ELNS1_3repE0EEENS1_30default_config_static_selectorELNS0_4arch9wavefront6targetE0EEEvSZ_
		.amdhsa_group_segment_fixed_size 0
		.amdhsa_private_segment_fixed_size 0
		.amdhsa_kernarg_size 144
		.amdhsa_user_sgpr_count 15
		.amdhsa_user_sgpr_dispatch_ptr 0
		.amdhsa_user_sgpr_queue_ptr 0
		.amdhsa_user_sgpr_kernarg_segment_ptr 1
		.amdhsa_user_sgpr_dispatch_id 0
		.amdhsa_user_sgpr_private_segment_size 0
		.amdhsa_wavefront_size32 1
		.amdhsa_uses_dynamic_stack 0
		.amdhsa_enable_private_segment 0
		.amdhsa_system_sgpr_workgroup_id_x 1
		.amdhsa_system_sgpr_workgroup_id_y 0
		.amdhsa_system_sgpr_workgroup_id_z 0
		.amdhsa_system_sgpr_workgroup_info 0
		.amdhsa_system_vgpr_workitem_id 0
		.amdhsa_next_free_vgpr 1
		.amdhsa_next_free_sgpr 1
		.amdhsa_reserve_vcc 0
		.amdhsa_float_round_mode_32 0
		.amdhsa_float_round_mode_16_64 0
		.amdhsa_float_denorm_mode_32 3
		.amdhsa_float_denorm_mode_16_64 3
		.amdhsa_dx10_clamp 1
		.amdhsa_ieee_mode 1
		.amdhsa_fp16_overflow 0
		.amdhsa_workgroup_processor_mode 1
		.amdhsa_memory_ordered 1
		.amdhsa_forward_progress 0
		.amdhsa_shared_vgpr_count 0
		.amdhsa_exception_fp_ieee_invalid_op 0
		.amdhsa_exception_fp_denorm_src 0
		.amdhsa_exception_fp_ieee_div_zero 0
		.amdhsa_exception_fp_ieee_overflow 0
		.amdhsa_exception_fp_ieee_underflow 0
		.amdhsa_exception_fp_ieee_inexact 0
		.amdhsa_exception_int_div_zero 0
	.end_amdhsa_kernel
	.section	.text._ZN7rocprim17ROCPRIM_400000_NS6detail17trampoline_kernelINS0_13select_configILj256ELj13ELNS0_17block_load_methodE3ELS4_3ELS4_3ELNS0_20block_scan_algorithmE0ELj4294967295EEENS1_25partition_config_selectorILNS1_17partition_subalgoE3EjNS0_10empty_typeEbEEZZNS1_14partition_implILS8_3ELb0ES6_jNS0_17counting_iteratorIjlEEPS9_SE_NS0_5tupleIJPjSE_EEENSF_IJSE_SE_EEES9_SG_JZNS1_25segmented_radix_sort_implINS0_14default_configELb1EPK6__halfPSL_PKlPlN2at6native12_GLOBAL__N_18offset_tEEE10hipError_tPvRmT1_PNSt15iterator_traitsISZ_E10value_typeET2_T3_PNS10_IS15_E10value_typeET4_jRbjT5_S1B_jjP12ihipStream_tbEUljE_EEESW_SX_SY_S15_S19_S1B_T6_T7_T9_mT8_S1D_bDpT10_ENKUlT_T0_E_clISt17integral_constantIbLb1EES1P_IbLb0EEEEDaS1L_S1M_EUlS1L_E_NS1_11comp_targetILNS1_3genE2ELNS1_11target_archE906ELNS1_3gpuE6ELNS1_3repE0EEENS1_30default_config_static_selectorELNS0_4arch9wavefront6targetE0EEEvSZ_,"axG",@progbits,_ZN7rocprim17ROCPRIM_400000_NS6detail17trampoline_kernelINS0_13select_configILj256ELj13ELNS0_17block_load_methodE3ELS4_3ELS4_3ELNS0_20block_scan_algorithmE0ELj4294967295EEENS1_25partition_config_selectorILNS1_17partition_subalgoE3EjNS0_10empty_typeEbEEZZNS1_14partition_implILS8_3ELb0ES6_jNS0_17counting_iteratorIjlEEPS9_SE_NS0_5tupleIJPjSE_EEENSF_IJSE_SE_EEES9_SG_JZNS1_25segmented_radix_sort_implINS0_14default_configELb1EPK6__halfPSL_PKlPlN2at6native12_GLOBAL__N_18offset_tEEE10hipError_tPvRmT1_PNSt15iterator_traitsISZ_E10value_typeET2_T3_PNS10_IS15_E10value_typeET4_jRbjT5_S1B_jjP12ihipStream_tbEUljE_EEESW_SX_SY_S15_S19_S1B_T6_T7_T9_mT8_S1D_bDpT10_ENKUlT_T0_E_clISt17integral_constantIbLb1EES1P_IbLb0EEEEDaS1L_S1M_EUlS1L_E_NS1_11comp_targetILNS1_3genE2ELNS1_11target_archE906ELNS1_3gpuE6ELNS1_3repE0EEENS1_30default_config_static_selectorELNS0_4arch9wavefront6targetE0EEEvSZ_,comdat
.Lfunc_end1727:
	.size	_ZN7rocprim17ROCPRIM_400000_NS6detail17trampoline_kernelINS0_13select_configILj256ELj13ELNS0_17block_load_methodE3ELS4_3ELS4_3ELNS0_20block_scan_algorithmE0ELj4294967295EEENS1_25partition_config_selectorILNS1_17partition_subalgoE3EjNS0_10empty_typeEbEEZZNS1_14partition_implILS8_3ELb0ES6_jNS0_17counting_iteratorIjlEEPS9_SE_NS0_5tupleIJPjSE_EEENSF_IJSE_SE_EEES9_SG_JZNS1_25segmented_radix_sort_implINS0_14default_configELb1EPK6__halfPSL_PKlPlN2at6native12_GLOBAL__N_18offset_tEEE10hipError_tPvRmT1_PNSt15iterator_traitsISZ_E10value_typeET2_T3_PNS10_IS15_E10value_typeET4_jRbjT5_S1B_jjP12ihipStream_tbEUljE_EEESW_SX_SY_S15_S19_S1B_T6_T7_T9_mT8_S1D_bDpT10_ENKUlT_T0_E_clISt17integral_constantIbLb1EES1P_IbLb0EEEEDaS1L_S1M_EUlS1L_E_NS1_11comp_targetILNS1_3genE2ELNS1_11target_archE906ELNS1_3gpuE6ELNS1_3repE0EEENS1_30default_config_static_selectorELNS0_4arch9wavefront6targetE0EEEvSZ_, .Lfunc_end1727-_ZN7rocprim17ROCPRIM_400000_NS6detail17trampoline_kernelINS0_13select_configILj256ELj13ELNS0_17block_load_methodE3ELS4_3ELS4_3ELNS0_20block_scan_algorithmE0ELj4294967295EEENS1_25partition_config_selectorILNS1_17partition_subalgoE3EjNS0_10empty_typeEbEEZZNS1_14partition_implILS8_3ELb0ES6_jNS0_17counting_iteratorIjlEEPS9_SE_NS0_5tupleIJPjSE_EEENSF_IJSE_SE_EEES9_SG_JZNS1_25segmented_radix_sort_implINS0_14default_configELb1EPK6__halfPSL_PKlPlN2at6native12_GLOBAL__N_18offset_tEEE10hipError_tPvRmT1_PNSt15iterator_traitsISZ_E10value_typeET2_T3_PNS10_IS15_E10value_typeET4_jRbjT5_S1B_jjP12ihipStream_tbEUljE_EEESW_SX_SY_S15_S19_S1B_T6_T7_T9_mT8_S1D_bDpT10_ENKUlT_T0_E_clISt17integral_constantIbLb1EES1P_IbLb0EEEEDaS1L_S1M_EUlS1L_E_NS1_11comp_targetILNS1_3genE2ELNS1_11target_archE906ELNS1_3gpuE6ELNS1_3repE0EEENS1_30default_config_static_selectorELNS0_4arch9wavefront6targetE0EEEvSZ_
                                        ; -- End function
	.section	.AMDGPU.csdata,"",@progbits
; Kernel info:
; codeLenInByte = 0
; NumSgprs: 0
; NumVgprs: 0
; ScratchSize: 0
; MemoryBound: 0
; FloatMode: 240
; IeeeMode: 1
; LDSByteSize: 0 bytes/workgroup (compile time only)
; SGPRBlocks: 0
; VGPRBlocks: 0
; NumSGPRsForWavesPerEU: 1
; NumVGPRsForWavesPerEU: 1
; Occupancy: 16
; WaveLimiterHint : 0
; COMPUTE_PGM_RSRC2:SCRATCH_EN: 0
; COMPUTE_PGM_RSRC2:USER_SGPR: 15
; COMPUTE_PGM_RSRC2:TRAP_HANDLER: 0
; COMPUTE_PGM_RSRC2:TGID_X_EN: 1
; COMPUTE_PGM_RSRC2:TGID_Y_EN: 0
; COMPUTE_PGM_RSRC2:TGID_Z_EN: 0
; COMPUTE_PGM_RSRC2:TIDIG_COMP_CNT: 0
	.section	.text._ZN7rocprim17ROCPRIM_400000_NS6detail17trampoline_kernelINS0_13select_configILj256ELj13ELNS0_17block_load_methodE3ELS4_3ELS4_3ELNS0_20block_scan_algorithmE0ELj4294967295EEENS1_25partition_config_selectorILNS1_17partition_subalgoE3EjNS0_10empty_typeEbEEZZNS1_14partition_implILS8_3ELb0ES6_jNS0_17counting_iteratorIjlEEPS9_SE_NS0_5tupleIJPjSE_EEENSF_IJSE_SE_EEES9_SG_JZNS1_25segmented_radix_sort_implINS0_14default_configELb1EPK6__halfPSL_PKlPlN2at6native12_GLOBAL__N_18offset_tEEE10hipError_tPvRmT1_PNSt15iterator_traitsISZ_E10value_typeET2_T3_PNS10_IS15_E10value_typeET4_jRbjT5_S1B_jjP12ihipStream_tbEUljE_EEESW_SX_SY_S15_S19_S1B_T6_T7_T9_mT8_S1D_bDpT10_ENKUlT_T0_E_clISt17integral_constantIbLb1EES1P_IbLb0EEEEDaS1L_S1M_EUlS1L_E_NS1_11comp_targetILNS1_3genE10ELNS1_11target_archE1200ELNS1_3gpuE4ELNS1_3repE0EEENS1_30default_config_static_selectorELNS0_4arch9wavefront6targetE0EEEvSZ_,"axG",@progbits,_ZN7rocprim17ROCPRIM_400000_NS6detail17trampoline_kernelINS0_13select_configILj256ELj13ELNS0_17block_load_methodE3ELS4_3ELS4_3ELNS0_20block_scan_algorithmE0ELj4294967295EEENS1_25partition_config_selectorILNS1_17partition_subalgoE3EjNS0_10empty_typeEbEEZZNS1_14partition_implILS8_3ELb0ES6_jNS0_17counting_iteratorIjlEEPS9_SE_NS0_5tupleIJPjSE_EEENSF_IJSE_SE_EEES9_SG_JZNS1_25segmented_radix_sort_implINS0_14default_configELb1EPK6__halfPSL_PKlPlN2at6native12_GLOBAL__N_18offset_tEEE10hipError_tPvRmT1_PNSt15iterator_traitsISZ_E10value_typeET2_T3_PNS10_IS15_E10value_typeET4_jRbjT5_S1B_jjP12ihipStream_tbEUljE_EEESW_SX_SY_S15_S19_S1B_T6_T7_T9_mT8_S1D_bDpT10_ENKUlT_T0_E_clISt17integral_constantIbLb1EES1P_IbLb0EEEEDaS1L_S1M_EUlS1L_E_NS1_11comp_targetILNS1_3genE10ELNS1_11target_archE1200ELNS1_3gpuE4ELNS1_3repE0EEENS1_30default_config_static_selectorELNS0_4arch9wavefront6targetE0EEEvSZ_,comdat
	.globl	_ZN7rocprim17ROCPRIM_400000_NS6detail17trampoline_kernelINS0_13select_configILj256ELj13ELNS0_17block_load_methodE3ELS4_3ELS4_3ELNS0_20block_scan_algorithmE0ELj4294967295EEENS1_25partition_config_selectorILNS1_17partition_subalgoE3EjNS0_10empty_typeEbEEZZNS1_14partition_implILS8_3ELb0ES6_jNS0_17counting_iteratorIjlEEPS9_SE_NS0_5tupleIJPjSE_EEENSF_IJSE_SE_EEES9_SG_JZNS1_25segmented_radix_sort_implINS0_14default_configELb1EPK6__halfPSL_PKlPlN2at6native12_GLOBAL__N_18offset_tEEE10hipError_tPvRmT1_PNSt15iterator_traitsISZ_E10value_typeET2_T3_PNS10_IS15_E10value_typeET4_jRbjT5_S1B_jjP12ihipStream_tbEUljE_EEESW_SX_SY_S15_S19_S1B_T6_T7_T9_mT8_S1D_bDpT10_ENKUlT_T0_E_clISt17integral_constantIbLb1EES1P_IbLb0EEEEDaS1L_S1M_EUlS1L_E_NS1_11comp_targetILNS1_3genE10ELNS1_11target_archE1200ELNS1_3gpuE4ELNS1_3repE0EEENS1_30default_config_static_selectorELNS0_4arch9wavefront6targetE0EEEvSZ_ ; -- Begin function _ZN7rocprim17ROCPRIM_400000_NS6detail17trampoline_kernelINS0_13select_configILj256ELj13ELNS0_17block_load_methodE3ELS4_3ELS4_3ELNS0_20block_scan_algorithmE0ELj4294967295EEENS1_25partition_config_selectorILNS1_17partition_subalgoE3EjNS0_10empty_typeEbEEZZNS1_14partition_implILS8_3ELb0ES6_jNS0_17counting_iteratorIjlEEPS9_SE_NS0_5tupleIJPjSE_EEENSF_IJSE_SE_EEES9_SG_JZNS1_25segmented_radix_sort_implINS0_14default_configELb1EPK6__halfPSL_PKlPlN2at6native12_GLOBAL__N_18offset_tEEE10hipError_tPvRmT1_PNSt15iterator_traitsISZ_E10value_typeET2_T3_PNS10_IS15_E10value_typeET4_jRbjT5_S1B_jjP12ihipStream_tbEUljE_EEESW_SX_SY_S15_S19_S1B_T6_T7_T9_mT8_S1D_bDpT10_ENKUlT_T0_E_clISt17integral_constantIbLb1EES1P_IbLb0EEEEDaS1L_S1M_EUlS1L_E_NS1_11comp_targetILNS1_3genE10ELNS1_11target_archE1200ELNS1_3gpuE4ELNS1_3repE0EEENS1_30default_config_static_selectorELNS0_4arch9wavefront6targetE0EEEvSZ_
	.p2align	8
	.type	_ZN7rocprim17ROCPRIM_400000_NS6detail17trampoline_kernelINS0_13select_configILj256ELj13ELNS0_17block_load_methodE3ELS4_3ELS4_3ELNS0_20block_scan_algorithmE0ELj4294967295EEENS1_25partition_config_selectorILNS1_17partition_subalgoE3EjNS0_10empty_typeEbEEZZNS1_14partition_implILS8_3ELb0ES6_jNS0_17counting_iteratorIjlEEPS9_SE_NS0_5tupleIJPjSE_EEENSF_IJSE_SE_EEES9_SG_JZNS1_25segmented_radix_sort_implINS0_14default_configELb1EPK6__halfPSL_PKlPlN2at6native12_GLOBAL__N_18offset_tEEE10hipError_tPvRmT1_PNSt15iterator_traitsISZ_E10value_typeET2_T3_PNS10_IS15_E10value_typeET4_jRbjT5_S1B_jjP12ihipStream_tbEUljE_EEESW_SX_SY_S15_S19_S1B_T6_T7_T9_mT8_S1D_bDpT10_ENKUlT_T0_E_clISt17integral_constantIbLb1EES1P_IbLb0EEEEDaS1L_S1M_EUlS1L_E_NS1_11comp_targetILNS1_3genE10ELNS1_11target_archE1200ELNS1_3gpuE4ELNS1_3repE0EEENS1_30default_config_static_selectorELNS0_4arch9wavefront6targetE0EEEvSZ_,@function
_ZN7rocprim17ROCPRIM_400000_NS6detail17trampoline_kernelINS0_13select_configILj256ELj13ELNS0_17block_load_methodE3ELS4_3ELS4_3ELNS0_20block_scan_algorithmE0ELj4294967295EEENS1_25partition_config_selectorILNS1_17partition_subalgoE3EjNS0_10empty_typeEbEEZZNS1_14partition_implILS8_3ELb0ES6_jNS0_17counting_iteratorIjlEEPS9_SE_NS0_5tupleIJPjSE_EEENSF_IJSE_SE_EEES9_SG_JZNS1_25segmented_radix_sort_implINS0_14default_configELb1EPK6__halfPSL_PKlPlN2at6native12_GLOBAL__N_18offset_tEEE10hipError_tPvRmT1_PNSt15iterator_traitsISZ_E10value_typeET2_T3_PNS10_IS15_E10value_typeET4_jRbjT5_S1B_jjP12ihipStream_tbEUljE_EEESW_SX_SY_S15_S19_S1B_T6_T7_T9_mT8_S1D_bDpT10_ENKUlT_T0_E_clISt17integral_constantIbLb1EES1P_IbLb0EEEEDaS1L_S1M_EUlS1L_E_NS1_11comp_targetILNS1_3genE10ELNS1_11target_archE1200ELNS1_3gpuE4ELNS1_3repE0EEENS1_30default_config_static_selectorELNS0_4arch9wavefront6targetE0EEEvSZ_: ; @_ZN7rocprim17ROCPRIM_400000_NS6detail17trampoline_kernelINS0_13select_configILj256ELj13ELNS0_17block_load_methodE3ELS4_3ELS4_3ELNS0_20block_scan_algorithmE0ELj4294967295EEENS1_25partition_config_selectorILNS1_17partition_subalgoE3EjNS0_10empty_typeEbEEZZNS1_14partition_implILS8_3ELb0ES6_jNS0_17counting_iteratorIjlEEPS9_SE_NS0_5tupleIJPjSE_EEENSF_IJSE_SE_EEES9_SG_JZNS1_25segmented_radix_sort_implINS0_14default_configELb1EPK6__halfPSL_PKlPlN2at6native12_GLOBAL__N_18offset_tEEE10hipError_tPvRmT1_PNSt15iterator_traitsISZ_E10value_typeET2_T3_PNS10_IS15_E10value_typeET4_jRbjT5_S1B_jjP12ihipStream_tbEUljE_EEESW_SX_SY_S15_S19_S1B_T6_T7_T9_mT8_S1D_bDpT10_ENKUlT_T0_E_clISt17integral_constantIbLb1EES1P_IbLb0EEEEDaS1L_S1M_EUlS1L_E_NS1_11comp_targetILNS1_3genE10ELNS1_11target_archE1200ELNS1_3gpuE4ELNS1_3repE0EEENS1_30default_config_static_selectorELNS0_4arch9wavefront6targetE0EEEvSZ_
; %bb.0:
	.section	.rodata,"a",@progbits
	.p2align	6, 0x0
	.amdhsa_kernel _ZN7rocprim17ROCPRIM_400000_NS6detail17trampoline_kernelINS0_13select_configILj256ELj13ELNS0_17block_load_methodE3ELS4_3ELS4_3ELNS0_20block_scan_algorithmE0ELj4294967295EEENS1_25partition_config_selectorILNS1_17partition_subalgoE3EjNS0_10empty_typeEbEEZZNS1_14partition_implILS8_3ELb0ES6_jNS0_17counting_iteratorIjlEEPS9_SE_NS0_5tupleIJPjSE_EEENSF_IJSE_SE_EEES9_SG_JZNS1_25segmented_radix_sort_implINS0_14default_configELb1EPK6__halfPSL_PKlPlN2at6native12_GLOBAL__N_18offset_tEEE10hipError_tPvRmT1_PNSt15iterator_traitsISZ_E10value_typeET2_T3_PNS10_IS15_E10value_typeET4_jRbjT5_S1B_jjP12ihipStream_tbEUljE_EEESW_SX_SY_S15_S19_S1B_T6_T7_T9_mT8_S1D_bDpT10_ENKUlT_T0_E_clISt17integral_constantIbLb1EES1P_IbLb0EEEEDaS1L_S1M_EUlS1L_E_NS1_11comp_targetILNS1_3genE10ELNS1_11target_archE1200ELNS1_3gpuE4ELNS1_3repE0EEENS1_30default_config_static_selectorELNS0_4arch9wavefront6targetE0EEEvSZ_
		.amdhsa_group_segment_fixed_size 0
		.amdhsa_private_segment_fixed_size 0
		.amdhsa_kernarg_size 144
		.amdhsa_user_sgpr_count 15
		.amdhsa_user_sgpr_dispatch_ptr 0
		.amdhsa_user_sgpr_queue_ptr 0
		.amdhsa_user_sgpr_kernarg_segment_ptr 1
		.amdhsa_user_sgpr_dispatch_id 0
		.amdhsa_user_sgpr_private_segment_size 0
		.amdhsa_wavefront_size32 1
		.amdhsa_uses_dynamic_stack 0
		.amdhsa_enable_private_segment 0
		.amdhsa_system_sgpr_workgroup_id_x 1
		.amdhsa_system_sgpr_workgroup_id_y 0
		.amdhsa_system_sgpr_workgroup_id_z 0
		.amdhsa_system_sgpr_workgroup_info 0
		.amdhsa_system_vgpr_workitem_id 0
		.amdhsa_next_free_vgpr 1
		.amdhsa_next_free_sgpr 1
		.amdhsa_reserve_vcc 0
		.amdhsa_float_round_mode_32 0
		.amdhsa_float_round_mode_16_64 0
		.amdhsa_float_denorm_mode_32 3
		.amdhsa_float_denorm_mode_16_64 3
		.amdhsa_dx10_clamp 1
		.amdhsa_ieee_mode 1
		.amdhsa_fp16_overflow 0
		.amdhsa_workgroup_processor_mode 1
		.amdhsa_memory_ordered 1
		.amdhsa_forward_progress 0
		.amdhsa_shared_vgpr_count 0
		.amdhsa_exception_fp_ieee_invalid_op 0
		.amdhsa_exception_fp_denorm_src 0
		.amdhsa_exception_fp_ieee_div_zero 0
		.amdhsa_exception_fp_ieee_overflow 0
		.amdhsa_exception_fp_ieee_underflow 0
		.amdhsa_exception_fp_ieee_inexact 0
		.amdhsa_exception_int_div_zero 0
	.end_amdhsa_kernel
	.section	.text._ZN7rocprim17ROCPRIM_400000_NS6detail17trampoline_kernelINS0_13select_configILj256ELj13ELNS0_17block_load_methodE3ELS4_3ELS4_3ELNS0_20block_scan_algorithmE0ELj4294967295EEENS1_25partition_config_selectorILNS1_17partition_subalgoE3EjNS0_10empty_typeEbEEZZNS1_14partition_implILS8_3ELb0ES6_jNS0_17counting_iteratorIjlEEPS9_SE_NS0_5tupleIJPjSE_EEENSF_IJSE_SE_EEES9_SG_JZNS1_25segmented_radix_sort_implINS0_14default_configELb1EPK6__halfPSL_PKlPlN2at6native12_GLOBAL__N_18offset_tEEE10hipError_tPvRmT1_PNSt15iterator_traitsISZ_E10value_typeET2_T3_PNS10_IS15_E10value_typeET4_jRbjT5_S1B_jjP12ihipStream_tbEUljE_EEESW_SX_SY_S15_S19_S1B_T6_T7_T9_mT8_S1D_bDpT10_ENKUlT_T0_E_clISt17integral_constantIbLb1EES1P_IbLb0EEEEDaS1L_S1M_EUlS1L_E_NS1_11comp_targetILNS1_3genE10ELNS1_11target_archE1200ELNS1_3gpuE4ELNS1_3repE0EEENS1_30default_config_static_selectorELNS0_4arch9wavefront6targetE0EEEvSZ_,"axG",@progbits,_ZN7rocprim17ROCPRIM_400000_NS6detail17trampoline_kernelINS0_13select_configILj256ELj13ELNS0_17block_load_methodE3ELS4_3ELS4_3ELNS0_20block_scan_algorithmE0ELj4294967295EEENS1_25partition_config_selectorILNS1_17partition_subalgoE3EjNS0_10empty_typeEbEEZZNS1_14partition_implILS8_3ELb0ES6_jNS0_17counting_iteratorIjlEEPS9_SE_NS0_5tupleIJPjSE_EEENSF_IJSE_SE_EEES9_SG_JZNS1_25segmented_radix_sort_implINS0_14default_configELb1EPK6__halfPSL_PKlPlN2at6native12_GLOBAL__N_18offset_tEEE10hipError_tPvRmT1_PNSt15iterator_traitsISZ_E10value_typeET2_T3_PNS10_IS15_E10value_typeET4_jRbjT5_S1B_jjP12ihipStream_tbEUljE_EEESW_SX_SY_S15_S19_S1B_T6_T7_T9_mT8_S1D_bDpT10_ENKUlT_T0_E_clISt17integral_constantIbLb1EES1P_IbLb0EEEEDaS1L_S1M_EUlS1L_E_NS1_11comp_targetILNS1_3genE10ELNS1_11target_archE1200ELNS1_3gpuE4ELNS1_3repE0EEENS1_30default_config_static_selectorELNS0_4arch9wavefront6targetE0EEEvSZ_,comdat
.Lfunc_end1728:
	.size	_ZN7rocprim17ROCPRIM_400000_NS6detail17trampoline_kernelINS0_13select_configILj256ELj13ELNS0_17block_load_methodE3ELS4_3ELS4_3ELNS0_20block_scan_algorithmE0ELj4294967295EEENS1_25partition_config_selectorILNS1_17partition_subalgoE3EjNS0_10empty_typeEbEEZZNS1_14partition_implILS8_3ELb0ES6_jNS0_17counting_iteratorIjlEEPS9_SE_NS0_5tupleIJPjSE_EEENSF_IJSE_SE_EEES9_SG_JZNS1_25segmented_radix_sort_implINS0_14default_configELb1EPK6__halfPSL_PKlPlN2at6native12_GLOBAL__N_18offset_tEEE10hipError_tPvRmT1_PNSt15iterator_traitsISZ_E10value_typeET2_T3_PNS10_IS15_E10value_typeET4_jRbjT5_S1B_jjP12ihipStream_tbEUljE_EEESW_SX_SY_S15_S19_S1B_T6_T7_T9_mT8_S1D_bDpT10_ENKUlT_T0_E_clISt17integral_constantIbLb1EES1P_IbLb0EEEEDaS1L_S1M_EUlS1L_E_NS1_11comp_targetILNS1_3genE10ELNS1_11target_archE1200ELNS1_3gpuE4ELNS1_3repE0EEENS1_30default_config_static_selectorELNS0_4arch9wavefront6targetE0EEEvSZ_, .Lfunc_end1728-_ZN7rocprim17ROCPRIM_400000_NS6detail17trampoline_kernelINS0_13select_configILj256ELj13ELNS0_17block_load_methodE3ELS4_3ELS4_3ELNS0_20block_scan_algorithmE0ELj4294967295EEENS1_25partition_config_selectorILNS1_17partition_subalgoE3EjNS0_10empty_typeEbEEZZNS1_14partition_implILS8_3ELb0ES6_jNS0_17counting_iteratorIjlEEPS9_SE_NS0_5tupleIJPjSE_EEENSF_IJSE_SE_EEES9_SG_JZNS1_25segmented_radix_sort_implINS0_14default_configELb1EPK6__halfPSL_PKlPlN2at6native12_GLOBAL__N_18offset_tEEE10hipError_tPvRmT1_PNSt15iterator_traitsISZ_E10value_typeET2_T3_PNS10_IS15_E10value_typeET4_jRbjT5_S1B_jjP12ihipStream_tbEUljE_EEESW_SX_SY_S15_S19_S1B_T6_T7_T9_mT8_S1D_bDpT10_ENKUlT_T0_E_clISt17integral_constantIbLb1EES1P_IbLb0EEEEDaS1L_S1M_EUlS1L_E_NS1_11comp_targetILNS1_3genE10ELNS1_11target_archE1200ELNS1_3gpuE4ELNS1_3repE0EEENS1_30default_config_static_selectorELNS0_4arch9wavefront6targetE0EEEvSZ_
                                        ; -- End function
	.section	.AMDGPU.csdata,"",@progbits
; Kernel info:
; codeLenInByte = 0
; NumSgprs: 0
; NumVgprs: 0
; ScratchSize: 0
; MemoryBound: 0
; FloatMode: 240
; IeeeMode: 1
; LDSByteSize: 0 bytes/workgroup (compile time only)
; SGPRBlocks: 0
; VGPRBlocks: 0
; NumSGPRsForWavesPerEU: 1
; NumVGPRsForWavesPerEU: 1
; Occupancy: 16
; WaveLimiterHint : 0
; COMPUTE_PGM_RSRC2:SCRATCH_EN: 0
; COMPUTE_PGM_RSRC2:USER_SGPR: 15
; COMPUTE_PGM_RSRC2:TRAP_HANDLER: 0
; COMPUTE_PGM_RSRC2:TGID_X_EN: 1
; COMPUTE_PGM_RSRC2:TGID_Y_EN: 0
; COMPUTE_PGM_RSRC2:TGID_Z_EN: 0
; COMPUTE_PGM_RSRC2:TIDIG_COMP_CNT: 0
	.section	.text._ZN7rocprim17ROCPRIM_400000_NS6detail17trampoline_kernelINS0_13select_configILj256ELj13ELNS0_17block_load_methodE3ELS4_3ELS4_3ELNS0_20block_scan_algorithmE0ELj4294967295EEENS1_25partition_config_selectorILNS1_17partition_subalgoE3EjNS0_10empty_typeEbEEZZNS1_14partition_implILS8_3ELb0ES6_jNS0_17counting_iteratorIjlEEPS9_SE_NS0_5tupleIJPjSE_EEENSF_IJSE_SE_EEES9_SG_JZNS1_25segmented_radix_sort_implINS0_14default_configELb1EPK6__halfPSL_PKlPlN2at6native12_GLOBAL__N_18offset_tEEE10hipError_tPvRmT1_PNSt15iterator_traitsISZ_E10value_typeET2_T3_PNS10_IS15_E10value_typeET4_jRbjT5_S1B_jjP12ihipStream_tbEUljE_EEESW_SX_SY_S15_S19_S1B_T6_T7_T9_mT8_S1D_bDpT10_ENKUlT_T0_E_clISt17integral_constantIbLb1EES1P_IbLb0EEEEDaS1L_S1M_EUlS1L_E_NS1_11comp_targetILNS1_3genE9ELNS1_11target_archE1100ELNS1_3gpuE3ELNS1_3repE0EEENS1_30default_config_static_selectorELNS0_4arch9wavefront6targetE0EEEvSZ_,"axG",@progbits,_ZN7rocprim17ROCPRIM_400000_NS6detail17trampoline_kernelINS0_13select_configILj256ELj13ELNS0_17block_load_methodE3ELS4_3ELS4_3ELNS0_20block_scan_algorithmE0ELj4294967295EEENS1_25partition_config_selectorILNS1_17partition_subalgoE3EjNS0_10empty_typeEbEEZZNS1_14partition_implILS8_3ELb0ES6_jNS0_17counting_iteratorIjlEEPS9_SE_NS0_5tupleIJPjSE_EEENSF_IJSE_SE_EEES9_SG_JZNS1_25segmented_radix_sort_implINS0_14default_configELb1EPK6__halfPSL_PKlPlN2at6native12_GLOBAL__N_18offset_tEEE10hipError_tPvRmT1_PNSt15iterator_traitsISZ_E10value_typeET2_T3_PNS10_IS15_E10value_typeET4_jRbjT5_S1B_jjP12ihipStream_tbEUljE_EEESW_SX_SY_S15_S19_S1B_T6_T7_T9_mT8_S1D_bDpT10_ENKUlT_T0_E_clISt17integral_constantIbLb1EES1P_IbLb0EEEEDaS1L_S1M_EUlS1L_E_NS1_11comp_targetILNS1_3genE9ELNS1_11target_archE1100ELNS1_3gpuE3ELNS1_3repE0EEENS1_30default_config_static_selectorELNS0_4arch9wavefront6targetE0EEEvSZ_,comdat
	.globl	_ZN7rocprim17ROCPRIM_400000_NS6detail17trampoline_kernelINS0_13select_configILj256ELj13ELNS0_17block_load_methodE3ELS4_3ELS4_3ELNS0_20block_scan_algorithmE0ELj4294967295EEENS1_25partition_config_selectorILNS1_17partition_subalgoE3EjNS0_10empty_typeEbEEZZNS1_14partition_implILS8_3ELb0ES6_jNS0_17counting_iteratorIjlEEPS9_SE_NS0_5tupleIJPjSE_EEENSF_IJSE_SE_EEES9_SG_JZNS1_25segmented_radix_sort_implINS0_14default_configELb1EPK6__halfPSL_PKlPlN2at6native12_GLOBAL__N_18offset_tEEE10hipError_tPvRmT1_PNSt15iterator_traitsISZ_E10value_typeET2_T3_PNS10_IS15_E10value_typeET4_jRbjT5_S1B_jjP12ihipStream_tbEUljE_EEESW_SX_SY_S15_S19_S1B_T6_T7_T9_mT8_S1D_bDpT10_ENKUlT_T0_E_clISt17integral_constantIbLb1EES1P_IbLb0EEEEDaS1L_S1M_EUlS1L_E_NS1_11comp_targetILNS1_3genE9ELNS1_11target_archE1100ELNS1_3gpuE3ELNS1_3repE0EEENS1_30default_config_static_selectorELNS0_4arch9wavefront6targetE0EEEvSZ_ ; -- Begin function _ZN7rocprim17ROCPRIM_400000_NS6detail17trampoline_kernelINS0_13select_configILj256ELj13ELNS0_17block_load_methodE3ELS4_3ELS4_3ELNS0_20block_scan_algorithmE0ELj4294967295EEENS1_25partition_config_selectorILNS1_17partition_subalgoE3EjNS0_10empty_typeEbEEZZNS1_14partition_implILS8_3ELb0ES6_jNS0_17counting_iteratorIjlEEPS9_SE_NS0_5tupleIJPjSE_EEENSF_IJSE_SE_EEES9_SG_JZNS1_25segmented_radix_sort_implINS0_14default_configELb1EPK6__halfPSL_PKlPlN2at6native12_GLOBAL__N_18offset_tEEE10hipError_tPvRmT1_PNSt15iterator_traitsISZ_E10value_typeET2_T3_PNS10_IS15_E10value_typeET4_jRbjT5_S1B_jjP12ihipStream_tbEUljE_EEESW_SX_SY_S15_S19_S1B_T6_T7_T9_mT8_S1D_bDpT10_ENKUlT_T0_E_clISt17integral_constantIbLb1EES1P_IbLb0EEEEDaS1L_S1M_EUlS1L_E_NS1_11comp_targetILNS1_3genE9ELNS1_11target_archE1100ELNS1_3gpuE3ELNS1_3repE0EEENS1_30default_config_static_selectorELNS0_4arch9wavefront6targetE0EEEvSZ_
	.p2align	8
	.type	_ZN7rocprim17ROCPRIM_400000_NS6detail17trampoline_kernelINS0_13select_configILj256ELj13ELNS0_17block_load_methodE3ELS4_3ELS4_3ELNS0_20block_scan_algorithmE0ELj4294967295EEENS1_25partition_config_selectorILNS1_17partition_subalgoE3EjNS0_10empty_typeEbEEZZNS1_14partition_implILS8_3ELb0ES6_jNS0_17counting_iteratorIjlEEPS9_SE_NS0_5tupleIJPjSE_EEENSF_IJSE_SE_EEES9_SG_JZNS1_25segmented_radix_sort_implINS0_14default_configELb1EPK6__halfPSL_PKlPlN2at6native12_GLOBAL__N_18offset_tEEE10hipError_tPvRmT1_PNSt15iterator_traitsISZ_E10value_typeET2_T3_PNS10_IS15_E10value_typeET4_jRbjT5_S1B_jjP12ihipStream_tbEUljE_EEESW_SX_SY_S15_S19_S1B_T6_T7_T9_mT8_S1D_bDpT10_ENKUlT_T0_E_clISt17integral_constantIbLb1EES1P_IbLb0EEEEDaS1L_S1M_EUlS1L_E_NS1_11comp_targetILNS1_3genE9ELNS1_11target_archE1100ELNS1_3gpuE3ELNS1_3repE0EEENS1_30default_config_static_selectorELNS0_4arch9wavefront6targetE0EEEvSZ_,@function
_ZN7rocprim17ROCPRIM_400000_NS6detail17trampoline_kernelINS0_13select_configILj256ELj13ELNS0_17block_load_methodE3ELS4_3ELS4_3ELNS0_20block_scan_algorithmE0ELj4294967295EEENS1_25partition_config_selectorILNS1_17partition_subalgoE3EjNS0_10empty_typeEbEEZZNS1_14partition_implILS8_3ELb0ES6_jNS0_17counting_iteratorIjlEEPS9_SE_NS0_5tupleIJPjSE_EEENSF_IJSE_SE_EEES9_SG_JZNS1_25segmented_radix_sort_implINS0_14default_configELb1EPK6__halfPSL_PKlPlN2at6native12_GLOBAL__N_18offset_tEEE10hipError_tPvRmT1_PNSt15iterator_traitsISZ_E10value_typeET2_T3_PNS10_IS15_E10value_typeET4_jRbjT5_S1B_jjP12ihipStream_tbEUljE_EEESW_SX_SY_S15_S19_S1B_T6_T7_T9_mT8_S1D_bDpT10_ENKUlT_T0_E_clISt17integral_constantIbLb1EES1P_IbLb0EEEEDaS1L_S1M_EUlS1L_E_NS1_11comp_targetILNS1_3genE9ELNS1_11target_archE1100ELNS1_3gpuE3ELNS1_3repE0EEENS1_30default_config_static_selectorELNS0_4arch9wavefront6targetE0EEEvSZ_: ; @_ZN7rocprim17ROCPRIM_400000_NS6detail17trampoline_kernelINS0_13select_configILj256ELj13ELNS0_17block_load_methodE3ELS4_3ELS4_3ELNS0_20block_scan_algorithmE0ELj4294967295EEENS1_25partition_config_selectorILNS1_17partition_subalgoE3EjNS0_10empty_typeEbEEZZNS1_14partition_implILS8_3ELb0ES6_jNS0_17counting_iteratorIjlEEPS9_SE_NS0_5tupleIJPjSE_EEENSF_IJSE_SE_EEES9_SG_JZNS1_25segmented_radix_sort_implINS0_14default_configELb1EPK6__halfPSL_PKlPlN2at6native12_GLOBAL__N_18offset_tEEE10hipError_tPvRmT1_PNSt15iterator_traitsISZ_E10value_typeET2_T3_PNS10_IS15_E10value_typeET4_jRbjT5_S1B_jjP12ihipStream_tbEUljE_EEESW_SX_SY_S15_S19_S1B_T6_T7_T9_mT8_S1D_bDpT10_ENKUlT_T0_E_clISt17integral_constantIbLb1EES1P_IbLb0EEEEDaS1L_S1M_EUlS1L_E_NS1_11comp_targetILNS1_3genE9ELNS1_11target_archE1100ELNS1_3gpuE3ELNS1_3repE0EEENS1_30default_config_static_selectorELNS0_4arch9wavefront6targetE0EEEvSZ_
; %bb.0:
	s_clause 0x5
	s_load_b32 s2, s[0:1], 0x70
	s_load_b64 s[16:17], s[0:1], 0x10
	s_load_b64 s[12:13], s[0:1], 0x58
	s_load_b32 s18, s[0:1], 0x8
	s_load_b128 s[8:11], s[0:1], 0x48
	s_load_b128 s[4:7], s[0:1], 0x78
	s_mul_i32 s23, s15, 0xd00
	v_lshlrev_b32_e32 v30, 2, v0
	s_waitcnt lgkmcnt(0)
	s_mul_i32 s20, s2, 0xd00
	s_add_i32 s19, s2, -1
	s_add_u32 s2, s16, s20
	s_addc_u32 s3, s17, 0
	s_cmp_eq_u32 s15, s19
	v_cmp_lt_u64_e64 s3, s[2:3], s[12:13]
	s_cselect_b32 s14, -1, 0
	s_cmp_lg_u32 s15, s19
	s_cselect_b32 s21, -1, 0
	s_add_i32 s2, s18, s23
	s_delay_alu instid0(VALU_DEP_1)
	s_or_b32 s3, s21, s3
	s_add_i32 s18, s2, s16
	s_load_b32 s2, s[0:1], 0x88
	v_add_nc_u32_e32 v1, s18, v0
	s_load_b64 s[18:19], s[10:11], 0x0
	s_and_b32 vcc_lo, exec_lo, s3
	s_mov_b32 s10, -1
	s_delay_alu instid0(VALU_DEP_1)
	v_add_nc_u32_e32 v2, 0x100, v1
	v_add_nc_u32_e32 v3, 0x200, v1
	v_add_nc_u32_e32 v4, 0x300, v1
	v_add_nc_u32_e32 v5, 0x400, v1
	v_add_nc_u32_e32 v6, 0x500, v1
	v_add_nc_u32_e32 v7, 0x600, v1
	v_add_nc_u32_e32 v8, 0x700, v1
	v_add_nc_u32_e32 v9, 0x800, v1
	v_add_nc_u32_e32 v10, 0x900, v1
	v_add_nc_u32_e32 v11, 0xa00, v1
	v_add_nc_u32_e32 v12, 0xb00, v1
	v_add_nc_u32_e32 v13, 0xc00, v1
	s_cbranch_vccz .LBB1729_2
; %bb.1:
	ds_store_2addr_stride64_b32 v30, v1, v2 offset1:4
	ds_store_2addr_stride64_b32 v30, v3, v4 offset0:8 offset1:12
	ds_store_2addr_stride64_b32 v30, v5, v6 offset0:16 offset1:20
	;; [unrolled: 1-line block ×5, first 2 shown]
	ds_store_b32 v30, v13 offset:12288
	s_waitcnt lgkmcnt(0)
	s_mov_b32 s10, 0
	s_barrier
.LBB1729_2:
	s_and_not1_b32 vcc_lo, exec_lo, s10
	s_add_i32 s20, s20, s16
	s_cbranch_vccnz .LBB1729_4
; %bb.3:
	ds_store_2addr_stride64_b32 v30, v1, v2 offset1:4
	ds_store_2addr_stride64_b32 v30, v3, v4 offset0:8 offset1:12
	ds_store_2addr_stride64_b32 v30, v5, v6 offset0:16 offset1:20
	;; [unrolled: 1-line block ×5, first 2 shown]
	ds_store_b32 v30, v13 offset:12288
	s_waitcnt lgkmcnt(0)
	s_barrier
.LBB1729_4:
	v_mul_u32_u24_e32 v33, 13, v0
	s_waitcnt lgkmcnt(0)
	buffer_gl0_inv
	v_cndmask_b32_e64 v31, 0, 1, s3
	s_sub_i32 s22, s12, s20
	s_and_not1_b32 vcc_lo, exec_lo, s3
	v_lshlrev_b32_e32 v1, 2, v33
	ds_load_2addr_b32 v[28:29], v1 offset1:1
	ds_load_2addr_b32 v[26:27], v1 offset0:2 offset1:3
	ds_load_2addr_b32 v[24:25], v1 offset0:4 offset1:5
	;; [unrolled: 1-line block ×5, first 2 shown]
	ds_load_b32 v32, v1 offset:48
	s_waitcnt lgkmcnt(0)
	s_barrier
	buffer_gl0_inv
	s_cbranch_vccnz .LBB1729_6
; %bb.5:
	v_add_nc_u32_e32 v1, s5, v28
	v_add_nc_u32_e32 v2, s7, v28
	;; [unrolled: 1-line block ×5, first 2 shown]
	v_mul_lo_u32 v1, v1, s4
	v_mul_lo_u32 v2, v2, s6
	;; [unrolled: 1-line block ×4, first 2 shown]
	v_add_nc_u32_e32 v6, s7, v26
	v_add_nc_u32_e32 v7, s5, v27
	;; [unrolled: 1-line block ×3, first 2 shown]
	v_mul_lo_u32 v5, v5, s4
	v_add_nc_u32_e32 v9, s5, v22
	v_sub_nc_u32_e32 v1, v1, v2
	v_mul_lo_u32 v2, v6, s6
	v_sub_nc_u32_e32 v3, v3, v4
	v_mul_lo_u32 v4, v7, s4
	v_mul_lo_u32 v6, v8, s6
	v_add_nc_u32_e32 v7, s5, v24
	v_cmp_lt_u32_e32 vcc_lo, s2, v1
	v_add_nc_u32_e32 v8, s5, v25
	v_add_nc_u32_e32 v10, s7, v22
	v_sub_nc_u32_e32 v2, v5, v2
	v_add_nc_u32_e32 v5, s7, v24
	v_cndmask_b32_e64 v1, 0, 1, vcc_lo
	v_sub_nc_u32_e32 v4, v4, v6
	v_mul_lo_u32 v6, v7, s4
	v_add_nc_u32_e32 v7, s7, v25
	v_cmp_lt_u32_e32 vcc_lo, s2, v3
	v_mul_lo_u32 v5, v5, s6
	v_mul_lo_u32 v8, v8, s4
	;; [unrolled: 1-line block ×4, first 2 shown]
	v_cndmask_b32_e64 v3, 0, 1, vcc_lo
	v_cmp_lt_u32_e32 vcc_lo, s2, v2
	v_mul_lo_u32 v10, v10, s6
	v_add_nc_u32_e32 v11, s5, v20
	v_sub_nc_u32_e32 v5, v6, v5
	v_add_nc_u32_e32 v12, s7, v20
	v_cndmask_b32_e64 v2, 0, 1, vcc_lo
	v_sub_nc_u32_e32 v6, v8, v7
	v_add_nc_u32_e32 v7, s5, v23
	v_add_nc_u32_e32 v8, s7, v23
	v_cmp_lt_u32_e32 vcc_lo, s2, v4
	v_sub_nc_u32_e32 v9, v9, v10
	v_mul_lo_u32 v10, v11, s4
	v_mul_lo_u32 v7, v7, s4
	;; [unrolled: 1-line block ×4, first 2 shown]
	v_cndmask_b32_e64 v4, 0, 1, vcc_lo
	v_cmp_lt_u32_e32 vcc_lo, s2, v5
	v_add_nc_u32_e32 v12, s5, v21
	v_add_nc_u32_e32 v13, s7, v18
	v_add_nc_u32_e32 v14, s5, v19
	v_add_nc_u32_e32 v15, s7, v19
	v_cndmask_b32_e64 v5, 0, 1, vcc_lo
	v_cmp_lt_u32_e32 vcc_lo, s2, v6
	v_sub_nc_u32_e32 v7, v7, v8
	v_sub_nc_u32_e32 v8, v10, v11
	v_add_nc_u32_e32 v11, s7, v21
	v_mul_lo_u32 v10, v12, s4
	v_cndmask_b32_e64 v6, 0, 1, vcc_lo
	v_cmp_lt_u32_e32 vcc_lo, s2, v9
	v_add_nc_u32_e32 v12, s5, v18
	v_mul_lo_u32 v11, v11, s6
	v_mul_lo_u32 v13, v13, s6
	;; [unrolled: 1-line block ×3, first 2 shown]
	v_cndmask_b32_e64 v9, 0, 1, vcc_lo
	v_cmp_lt_u32_e32 vcc_lo, s2, v7
	v_mul_lo_u32 v12, v12, s4
	v_mul_lo_u32 v15, v15, s6
	v_lshlrev_b16 v3, 8, v3
	v_sub_nc_u32_e32 v10, v10, v11
	v_cndmask_b32_e64 v7, 0, 1, vcc_lo
	v_cmp_lt_u32_e32 vcc_lo, s2, v8
	v_add_nc_u32_e32 v11, s5, v32
	v_or_b32_e32 v1, v1, v3
	v_sub_nc_u32_e32 v12, v12, v13
	v_sub_nc_u32_e32 v13, v14, v15
	v_cndmask_b32_e64 v8, 0, 1, vcc_lo
	v_cmp_lt_u32_e32 vcc_lo, s2, v10
	v_add_nc_u32_e32 v16, s7, v32
	v_mul_lo_u32 v11, v11, s4
	v_lshlrev_b16 v4, 8, v4
	v_lshlrev_b16 v6, 8, v6
	v_cndmask_b32_e64 v10, 0, 1, vcc_lo
	v_cmp_lt_u32_e32 vcc_lo, s2, v12
	v_mul_lo_u32 v14, v16, s6
	v_lshlrev_b16 v7, 8, v7
	v_or_b32_e32 v2, v2, v4
	v_lshlrev_b16 v10, 8, v10
	v_cndmask_b32_e64 v3, 0, 1, vcc_lo
	v_cmp_lt_u32_e32 vcc_lo, s2, v13
	v_or_b32_e32 v4, v5, v6
	v_or_b32_e32 v5, v9, v7
	v_sub_nc_u32_e32 v11, v11, v14
	v_or_b32_e32 v6, v8, v10
	v_cndmask_b32_e64 v12, 0, 1, vcc_lo
	v_and_b32_e32 v1, 0xffff, v1
	v_lshlrev_b32_e32 v2, 16, v2
	v_and_b32_e32 v4, 0xffff, v4
	v_lshlrev_b32_e32 v5, 16, v5
	v_lshlrev_b16 v12, 8, v12
	v_and_b32_e32 v6, 0xffff, v6
	v_cmp_lt_u32_e32 vcc_lo, s2, v11
	v_or_b32_e32 v39, v1, v2
	v_or_b32_e32 v37, v4, v5
	;; [unrolled: 1-line block ×3, first 2 shown]
	s_mov_b32 s3, 0
	v_cndmask_b32_e64 v34, 0, 1, vcc_lo
	s_delay_alu instid0(VALU_DEP_2) | instskip(NEXT) | instid1(VALU_DEP_1)
	v_lshlrev_b32_e32 v3, 16, v3
	v_or_b32_e32 v35, v6, v3
	s_branch .LBB1729_7
.LBB1729_6:
	s_mov_b32 s3, -1
                                        ; implicit-def: $vgpr34
                                        ; implicit-def: $vgpr35
                                        ; implicit-def: $vgpr37
                                        ; implicit-def: $vgpr39
.LBB1729_7:
	s_clause 0x1
	s_load_b64 s[10:11], s[0:1], 0x28
	s_load_b64 s[20:21], s[0:1], 0x68
	s_and_not1_b32 vcc_lo, exec_lo, s3
	s_addk_i32 s22, 0xd00
	s_cbranch_vccnz .LBB1729_35
; %bb.8:
	v_dual_mov_b32 v2, 0 :: v_dual_mov_b32 v1, 0
	s_mov_b32 s0, exec_lo
	v_cmpx_gt_u32_e64 s22, v33
; %bb.9:
	v_add_nc_u32_e32 v1, s5, v28
	v_add_nc_u32_e32 v3, s7, v28
	s_delay_alu instid0(VALU_DEP_2) | instskip(NEXT) | instid1(VALU_DEP_2)
	v_mul_lo_u32 v1, v1, s4
	v_mul_lo_u32 v3, v3, s6
	s_delay_alu instid0(VALU_DEP_1) | instskip(NEXT) | instid1(VALU_DEP_1)
	v_sub_nc_u32_e32 v1, v1, v3
	v_cmp_lt_u32_e32 vcc_lo, s2, v1
	v_cndmask_b32_e64 v1, 0, 1, vcc_lo
; %bb.10:
	s_or_b32 exec_lo, exec_lo, s0
	v_add_nc_u32_e32 v3, 1, v33
	s_mov_b32 s0, exec_lo
	s_delay_alu instid0(VALU_DEP_1)
	v_cmpx_gt_u32_e64 s22, v3
; %bb.11:
	v_add_nc_u32_e32 v2, s5, v29
	v_add_nc_u32_e32 v3, s7, v29
	s_delay_alu instid0(VALU_DEP_2) | instskip(NEXT) | instid1(VALU_DEP_2)
	v_mul_lo_u32 v2, v2, s4
	v_mul_lo_u32 v3, v3, s6
	s_delay_alu instid0(VALU_DEP_1) | instskip(NEXT) | instid1(VALU_DEP_1)
	v_sub_nc_u32_e32 v2, v2, v3
	v_cmp_lt_u32_e32 vcc_lo, s2, v2
	v_cndmask_b32_e64 v2, 0, 1, vcc_lo
; %bb.12:
	s_or_b32 exec_lo, exec_lo, s0
	v_dual_mov_b32 v4, 0 :: v_dual_add_nc_u32 v3, 2, v33
	s_delay_alu instid0(VALU_DEP_1)
	v_cmp_gt_u32_e32 vcc_lo, s22, v3
	v_mov_b32_e32 v3, 0
	s_and_saveexec_b32 s0, vcc_lo
; %bb.13:
	v_add_nc_u32_e32 v3, s5, v26
	v_add_nc_u32_e32 v5, s7, v26
	s_delay_alu instid0(VALU_DEP_2) | instskip(NEXT) | instid1(VALU_DEP_2)
	v_mul_lo_u32 v3, v3, s4
	v_mul_lo_u32 v5, v5, s6
	s_delay_alu instid0(VALU_DEP_1) | instskip(NEXT) | instid1(VALU_DEP_1)
	v_sub_nc_u32_e32 v3, v3, v5
	v_cmp_lt_u32_e32 vcc_lo, s2, v3
	v_cndmask_b32_e64 v3, 0, 1, vcc_lo
; %bb.14:
	s_or_b32 exec_lo, exec_lo, s0
	v_add_nc_u32_e32 v5, 3, v33
	s_mov_b32 s0, exec_lo
	s_delay_alu instid0(VALU_DEP_1)
	v_cmpx_gt_u32_e64 s22, v5
; %bb.15:
	v_add_nc_u32_e32 v4, s5, v27
	v_add_nc_u32_e32 v5, s7, v27
	s_delay_alu instid0(VALU_DEP_2) | instskip(NEXT) | instid1(VALU_DEP_2)
	v_mul_lo_u32 v4, v4, s4
	v_mul_lo_u32 v5, v5, s6
	s_delay_alu instid0(VALU_DEP_1) | instskip(NEXT) | instid1(VALU_DEP_1)
	v_sub_nc_u32_e32 v4, v4, v5
	v_cmp_lt_u32_e32 vcc_lo, s2, v4
	v_cndmask_b32_e64 v4, 0, 1, vcc_lo
; %bb.16:
	s_or_b32 exec_lo, exec_lo, s0
	v_dual_mov_b32 v6, 0 :: v_dual_add_nc_u32 v5, 4, v33
	s_delay_alu instid0(VALU_DEP_1)
	v_cmp_gt_u32_e32 vcc_lo, s22, v5
	v_mov_b32_e32 v5, 0
	s_and_saveexec_b32 s0, vcc_lo
; %bb.17:
	v_add_nc_u32_e32 v5, s5, v24
	v_add_nc_u32_e32 v7, s7, v24
	s_delay_alu instid0(VALU_DEP_2) | instskip(NEXT) | instid1(VALU_DEP_2)
	v_mul_lo_u32 v5, v5, s4
	v_mul_lo_u32 v7, v7, s6
	s_delay_alu instid0(VALU_DEP_1) | instskip(NEXT) | instid1(VALU_DEP_1)
	v_sub_nc_u32_e32 v5, v5, v7
	v_cmp_lt_u32_e32 vcc_lo, s2, v5
	v_cndmask_b32_e64 v5, 0, 1, vcc_lo
; %bb.18:
	s_or_b32 exec_lo, exec_lo, s0
	v_add_nc_u32_e32 v7, 5, v33
	s_mov_b32 s0, exec_lo
	s_delay_alu instid0(VALU_DEP_1)
	v_cmpx_gt_u32_e64 s22, v7
; %bb.19:
	v_add_nc_u32_e32 v6, s5, v25
	v_add_nc_u32_e32 v7, s7, v25
	s_delay_alu instid0(VALU_DEP_2) | instskip(NEXT) | instid1(VALU_DEP_2)
	v_mul_lo_u32 v6, v6, s4
	v_mul_lo_u32 v7, v7, s6
	s_delay_alu instid0(VALU_DEP_1) | instskip(NEXT) | instid1(VALU_DEP_1)
	v_sub_nc_u32_e32 v6, v6, v7
	v_cmp_lt_u32_e32 vcc_lo, s2, v6
	v_cndmask_b32_e64 v6, 0, 1, vcc_lo
; %bb.20:
	s_or_b32 exec_lo, exec_lo, s0
	v_dual_mov_b32 v8, 0 :: v_dual_add_nc_u32 v7, 6, v33
	s_delay_alu instid0(VALU_DEP_1)
	v_cmp_gt_u32_e32 vcc_lo, s22, v7
	v_mov_b32_e32 v7, 0
	s_and_saveexec_b32 s0, vcc_lo
; %bb.21:
	v_add_nc_u32_e32 v7, s5, v22
	v_add_nc_u32_e32 v9, s7, v22
	s_delay_alu instid0(VALU_DEP_2) | instskip(NEXT) | instid1(VALU_DEP_2)
	v_mul_lo_u32 v7, v7, s4
	v_mul_lo_u32 v9, v9, s6
	s_delay_alu instid0(VALU_DEP_1) | instskip(NEXT) | instid1(VALU_DEP_1)
	v_sub_nc_u32_e32 v7, v7, v9
	v_cmp_lt_u32_e32 vcc_lo, s2, v7
	v_cndmask_b32_e64 v7, 0, 1, vcc_lo
; %bb.22:
	s_or_b32 exec_lo, exec_lo, s0
	v_add_nc_u32_e32 v9, 7, v33
	s_mov_b32 s0, exec_lo
	s_delay_alu instid0(VALU_DEP_1)
	v_cmpx_gt_u32_e64 s22, v9
; %bb.23:
	v_add_nc_u32_e32 v8, s5, v23
	v_add_nc_u32_e32 v9, s7, v23
	s_delay_alu instid0(VALU_DEP_2) | instskip(NEXT) | instid1(VALU_DEP_2)
	v_mul_lo_u32 v8, v8, s4
	v_mul_lo_u32 v9, v9, s6
	s_delay_alu instid0(VALU_DEP_1) | instskip(NEXT) | instid1(VALU_DEP_1)
	v_sub_nc_u32_e32 v8, v8, v9
	v_cmp_lt_u32_e32 vcc_lo, s2, v8
	v_cndmask_b32_e64 v8, 0, 1, vcc_lo
; %bb.24:
	s_or_b32 exec_lo, exec_lo, s0
	v_dual_mov_b32 v10, 0 :: v_dual_add_nc_u32 v9, 8, v33
	s_delay_alu instid0(VALU_DEP_1)
	v_cmp_gt_u32_e32 vcc_lo, s22, v9
	v_mov_b32_e32 v9, 0
	s_and_saveexec_b32 s0, vcc_lo
; %bb.25:
	v_add_nc_u32_e32 v9, s5, v20
	v_add_nc_u32_e32 v11, s7, v20
	s_delay_alu instid0(VALU_DEP_2) | instskip(NEXT) | instid1(VALU_DEP_2)
	v_mul_lo_u32 v9, v9, s4
	v_mul_lo_u32 v11, v11, s6
	s_delay_alu instid0(VALU_DEP_1) | instskip(NEXT) | instid1(VALU_DEP_1)
	v_sub_nc_u32_e32 v9, v9, v11
	v_cmp_lt_u32_e32 vcc_lo, s2, v9
	v_cndmask_b32_e64 v9, 0, 1, vcc_lo
; %bb.26:
	s_or_b32 exec_lo, exec_lo, s0
	v_add_nc_u32_e32 v11, 9, v33
	s_mov_b32 s0, exec_lo
	s_delay_alu instid0(VALU_DEP_1)
	v_cmpx_gt_u32_e64 s22, v11
; %bb.27:
	v_add_nc_u32_e32 v10, s5, v21
	v_add_nc_u32_e32 v11, s7, v21
	s_delay_alu instid0(VALU_DEP_2) | instskip(NEXT) | instid1(VALU_DEP_2)
	v_mul_lo_u32 v10, v10, s4
	v_mul_lo_u32 v11, v11, s6
	s_delay_alu instid0(VALU_DEP_1) | instskip(NEXT) | instid1(VALU_DEP_1)
	v_sub_nc_u32_e32 v10, v10, v11
	v_cmp_lt_u32_e32 vcc_lo, s2, v10
	v_cndmask_b32_e64 v10, 0, 1, vcc_lo
; %bb.28:
	s_or_b32 exec_lo, exec_lo, s0
	v_dual_mov_b32 v12, 0 :: v_dual_add_nc_u32 v11, 10, v33
	s_delay_alu instid0(VALU_DEP_1)
	v_cmp_gt_u32_e32 vcc_lo, s22, v11
	v_mov_b32_e32 v11, 0
	s_and_saveexec_b32 s0, vcc_lo
; %bb.29:
	v_add_nc_u32_e32 v11, s5, v18
	v_add_nc_u32_e32 v13, s7, v18
	s_delay_alu instid0(VALU_DEP_2) | instskip(NEXT) | instid1(VALU_DEP_2)
	v_mul_lo_u32 v11, v11, s4
	v_mul_lo_u32 v13, v13, s6
	s_delay_alu instid0(VALU_DEP_1) | instskip(NEXT) | instid1(VALU_DEP_1)
	v_sub_nc_u32_e32 v11, v11, v13
	v_cmp_lt_u32_e32 vcc_lo, s2, v11
	v_cndmask_b32_e64 v11, 0, 1, vcc_lo
; %bb.30:
	s_or_b32 exec_lo, exec_lo, s0
	v_add_nc_u32_e32 v13, 11, v33
	s_mov_b32 s0, exec_lo
	s_delay_alu instid0(VALU_DEP_1)
	v_cmpx_gt_u32_e64 s22, v13
; %bb.31:
	v_add_nc_u32_e32 v12, s5, v19
	v_add_nc_u32_e32 v13, s7, v19
	s_delay_alu instid0(VALU_DEP_2) | instskip(NEXT) | instid1(VALU_DEP_2)
	v_mul_lo_u32 v12, v12, s4
	v_mul_lo_u32 v13, v13, s6
	s_delay_alu instid0(VALU_DEP_1) | instskip(NEXT) | instid1(VALU_DEP_1)
	v_sub_nc_u32_e32 v12, v12, v13
	v_cmp_lt_u32_e32 vcc_lo, s2, v12
	v_cndmask_b32_e64 v12, 0, 1, vcc_lo
; %bb.32:
	s_or_b32 exec_lo, exec_lo, s0
	v_dual_mov_b32 v34, 0 :: v_dual_add_nc_u32 v13, 12, v33
	s_mov_b32 s0, exec_lo
	s_delay_alu instid0(VALU_DEP_1)
	v_cmpx_gt_u32_e64 s22, v13
; %bb.33:
	v_add_nc_u32_e32 v13, s5, v32
	v_add_nc_u32_e32 v14, s7, v32
	s_delay_alu instid0(VALU_DEP_2) | instskip(NEXT) | instid1(VALU_DEP_2)
	v_mul_lo_u32 v13, v13, s4
	v_mul_lo_u32 v14, v14, s6
	s_delay_alu instid0(VALU_DEP_1) | instskip(NEXT) | instid1(VALU_DEP_1)
	v_sub_nc_u32_e32 v13, v13, v14
	v_cmp_lt_u32_e32 vcc_lo, s2, v13
	v_cndmask_b32_e64 v34, 0, 1, vcc_lo
; %bb.34:
	s_or_b32 exec_lo, exec_lo, s0
	v_lshlrev_b16 v2, 8, v2
	v_lshlrev_b16 v4, 8, v4
	v_lshlrev_b16 v6, 8, v6
	v_lshlrev_b16 v8, 8, v8
	v_lshlrev_b16 v10, 8, v10
	v_or_b32_e32 v1, v1, v2
	v_lshlrev_b16 v2, 8, v12
	v_or_b32_e32 v3, v3, v4
	v_or_b32_e32 v4, v5, v6
	;; [unrolled: 1-line block ×5, first 2 shown]
	v_and_b32_e32 v1, 0xffff, v1
	v_lshlrev_b32_e32 v3, 16, v3
	v_and_b32_e32 v4, 0xffff, v4
	v_lshlrev_b32_e32 v5, 16, v5
	v_and_b32_e32 v6, 0xffff, v6
	v_lshlrev_b32_e32 v2, 16, v2
	v_or_b32_e32 v39, v1, v3
	s_delay_alu instid0(VALU_DEP_4) | instskip(NEXT) | instid1(VALU_DEP_3)
	v_or_b32_e32 v37, v4, v5
	v_or_b32_e32 v35, v6, v2
.LBB1729_35:
	s_delay_alu instid0(VALU_DEP_3)
	v_and_b32_e32 v41, 0xff, v39
	v_bfe_u32 v42, v39, 8, 8
	v_bfe_u32 v43, v39, 16, 8
	v_lshrrev_b32_e32 v40, 24, v39
	v_and_b32_e32 v44, 0xff, v37
	v_bfe_u32 v45, v37, 8, 8
	v_bfe_u32 v46, v37, 16, 8
	v_add3_u32 v1, v42, v41, v43
	v_lshrrev_b32_e32 v38, 24, v37
	v_and_b32_e32 v47, 0xff, v35
	v_bfe_u32 v48, v35, 8, 8
	v_mbcnt_lo_u32_b32 v50, -1, 0
	v_add3_u32 v1, v1, v40, v44
	v_bfe_u32 v49, v35, 16, 8
	v_lshrrev_b32_e32 v36, 24, v35
	v_and_b32_e32 v2, 0xff, v34
	v_and_b32_e32 v3, 15, v50
	v_add3_u32 v1, v1, v45, v46
	v_or_b32_e32 v4, 31, v0
	v_and_b32_e32 v5, 16, v50
	v_lshrrev_b32_e32 v51, 5, v0
	v_cmp_eq_u32_e64 s5, 0, v3
	v_add3_u32 v1, v1, v38, v47
	v_cmp_lt_u32_e64 s4, 1, v3
	v_cmp_lt_u32_e64 s3, 3, v3
	;; [unrolled: 1-line block ×3, first 2 shown]
	v_cmp_eq_u32_e64 s1, 0, v5
	v_add3_u32 v1, v1, v48, v49
	v_cmp_eq_u32_e64 s0, v4, v0
	s_cmp_lg_u32 s15, 0
	s_mov_b32 s6, -1
	s_delay_alu instid0(VALU_DEP_2)
	v_add3_u32 v52, v1, v36, v2
	s_cbranch_scc0 .LBB1729_66
; %bb.36:
	s_delay_alu instid0(VALU_DEP_1) | instskip(NEXT) | instid1(VALU_DEP_1)
	v_mov_b32_dpp v1, v52 row_shr:1 row_mask:0xf bank_mask:0xf
	v_cndmask_b32_e64 v1, v1, 0, s5
	s_delay_alu instid0(VALU_DEP_1) | instskip(NEXT) | instid1(VALU_DEP_1)
	v_add_nc_u32_e32 v1, v1, v52
	v_mov_b32_dpp v2, v1 row_shr:2 row_mask:0xf bank_mask:0xf
	s_delay_alu instid0(VALU_DEP_1) | instskip(NEXT) | instid1(VALU_DEP_1)
	v_cndmask_b32_e64 v2, 0, v2, s4
	v_add_nc_u32_e32 v1, v1, v2
	s_delay_alu instid0(VALU_DEP_1) | instskip(NEXT) | instid1(VALU_DEP_1)
	v_mov_b32_dpp v2, v1 row_shr:4 row_mask:0xf bank_mask:0xf
	v_cndmask_b32_e64 v2, 0, v2, s3
	s_delay_alu instid0(VALU_DEP_1) | instskip(NEXT) | instid1(VALU_DEP_1)
	v_add_nc_u32_e32 v1, v1, v2
	v_mov_b32_dpp v2, v1 row_shr:8 row_mask:0xf bank_mask:0xf
	s_delay_alu instid0(VALU_DEP_1) | instskip(NEXT) | instid1(VALU_DEP_1)
	v_cndmask_b32_e64 v2, 0, v2, s2
	v_add_nc_u32_e32 v1, v1, v2
	ds_swizzle_b32 v2, v1 offset:swizzle(BROADCAST,32,15)
	s_waitcnt lgkmcnt(0)
	v_cndmask_b32_e64 v2, v2, 0, s1
	s_delay_alu instid0(VALU_DEP_1)
	v_add_nc_u32_e32 v1, v1, v2
	s_and_saveexec_b32 s6, s0
	s_cbranch_execz .LBB1729_38
; %bb.37:
	v_lshlrev_b32_e32 v2, 2, v51
	ds_store_b32 v2, v1
.LBB1729_38:
	s_or_b32 exec_lo, exec_lo, s6
	s_delay_alu instid0(SALU_CYCLE_1)
	s_mov_b32 s6, exec_lo
	s_waitcnt lgkmcnt(0)
	s_barrier
	buffer_gl0_inv
	v_cmpx_gt_u32_e32 8, v0
	s_cbranch_execz .LBB1729_40
; %bb.39:
	ds_load_b32 v2, v30
	s_waitcnt lgkmcnt(0)
	v_mov_b32_dpp v4, v2 row_shr:1 row_mask:0xf bank_mask:0xf
	v_and_b32_e32 v3, 7, v50
	s_delay_alu instid0(VALU_DEP_1) | instskip(NEXT) | instid1(VALU_DEP_3)
	v_cmp_ne_u32_e32 vcc_lo, 0, v3
	v_cndmask_b32_e32 v4, 0, v4, vcc_lo
	v_cmp_lt_u32_e32 vcc_lo, 1, v3
	s_delay_alu instid0(VALU_DEP_2) | instskip(NEXT) | instid1(VALU_DEP_1)
	v_add_nc_u32_e32 v2, v4, v2
	v_mov_b32_dpp v4, v2 row_shr:2 row_mask:0xf bank_mask:0xf
	s_delay_alu instid0(VALU_DEP_1) | instskip(SKIP_1) | instid1(VALU_DEP_2)
	v_cndmask_b32_e32 v4, 0, v4, vcc_lo
	v_cmp_lt_u32_e32 vcc_lo, 3, v3
	v_add_nc_u32_e32 v2, v2, v4
	s_delay_alu instid0(VALU_DEP_1) | instskip(NEXT) | instid1(VALU_DEP_1)
	v_mov_b32_dpp v4, v2 row_shr:4 row_mask:0xf bank_mask:0xf
	v_cndmask_b32_e32 v3, 0, v4, vcc_lo
	s_delay_alu instid0(VALU_DEP_1)
	v_add_nc_u32_e32 v2, v2, v3
	ds_store_b32 v30, v2
.LBB1729_40:
	s_or_b32 exec_lo, exec_lo, s6
	v_cmp_gt_u32_e32 vcc_lo, 32, v0
	s_mov_b32 s7, exec_lo
	s_waitcnt lgkmcnt(0)
	s_barrier
	buffer_gl0_inv
                                        ; implicit-def: $vgpr8
	v_cmpx_lt_u32_e32 31, v0
	s_cbranch_execz .LBB1729_42
; %bb.41:
	v_lshl_add_u32 v2, v51, 2, -4
	ds_load_b32 v8, v2
	s_waitcnt lgkmcnt(0)
	v_add_nc_u32_e32 v1, v8, v1
.LBB1729_42:
	s_or_b32 exec_lo, exec_lo, s7
	v_add_nc_u32_e32 v2, -1, v50
	s_delay_alu instid0(VALU_DEP_1) | instskip(NEXT) | instid1(VALU_DEP_1)
	v_cmp_gt_i32_e64 s6, 0, v2
	v_cndmask_b32_e64 v2, v2, v50, s6
	v_cmp_eq_u32_e64 s6, 0, v50
	s_delay_alu instid0(VALU_DEP_2)
	v_lshlrev_b32_e32 v2, 2, v2
	ds_bpermute_b32 v9, v2, v1
	s_and_saveexec_b32 s7, vcc_lo
	s_cbranch_execz .LBB1729_65
; %bb.43:
	v_mov_b32_e32 v4, 0
	ds_load_b32 v1, v4 offset:28
	s_and_saveexec_b32 s24, s6
	s_cbranch_execz .LBB1729_45
; %bb.44:
	s_add_i32 s26, s15, 32
	s_mov_b32 s27, 0
	v_mov_b32_e32 v2, 1
	s_lshl_b64 s[26:27], s[26:27], 3
	s_delay_alu instid0(SALU_CYCLE_1)
	s_add_u32 s26, s20, s26
	s_addc_u32 s27, s21, s27
	s_waitcnt lgkmcnt(0)
	global_store_b64 v4, v[1:2], s[26:27]
.LBB1729_45:
	s_or_b32 exec_lo, exec_lo, s24
	v_xad_u32 v2, v50, -1, s15
	s_mov_b32 s25, 0
	s_mov_b32 s24, exec_lo
	s_delay_alu instid0(VALU_DEP_1) | instskip(NEXT) | instid1(VALU_DEP_1)
	v_add_nc_u32_e32 v3, 32, v2
	v_lshlrev_b64 v[3:4], 3, v[3:4]
	s_delay_alu instid0(VALU_DEP_1) | instskip(NEXT) | instid1(VALU_DEP_2)
	v_add_co_u32 v6, vcc_lo, s20, v3
	v_add_co_ci_u32_e32 v7, vcc_lo, s21, v4, vcc_lo
	global_load_b64 v[4:5], v[6:7], off glc
	s_waitcnt vmcnt(0)
	v_and_b32_e32 v3, 0xff, v5
	s_delay_alu instid0(VALU_DEP_1)
	v_cmpx_eq_u16_e32 0, v3
	s_cbranch_execz .LBB1729_51
; %bb.46:
	s_mov_b32 s26, 1
	.p2align	6
.LBB1729_47:                            ; =>This Loop Header: Depth=1
                                        ;     Child Loop BB1729_48 Depth 2
	s_delay_alu instid0(SALU_CYCLE_1)
	s_max_u32 s27, s26, 1
.LBB1729_48:                            ;   Parent Loop BB1729_47 Depth=1
                                        ; =>  This Inner Loop Header: Depth=2
	s_delay_alu instid0(SALU_CYCLE_1)
	s_add_i32 s27, s27, -1
	s_sleep 1
	s_cmp_eq_u32 s27, 0
	s_cbranch_scc0 .LBB1729_48
; %bb.49:                               ;   in Loop: Header=BB1729_47 Depth=1
	global_load_b64 v[4:5], v[6:7], off glc
	s_cmp_lt_u32 s26, 32
	s_cselect_b32 s27, -1, 0
	s_delay_alu instid0(SALU_CYCLE_1) | instskip(SKIP_3) | instid1(VALU_DEP_1)
	s_cmp_lg_u32 s27, 0
	s_addc_u32 s26, s26, 0
	s_waitcnt vmcnt(0)
	v_and_b32_e32 v3, 0xff, v5
	v_cmp_ne_u16_e32 vcc_lo, 0, v3
	s_or_b32 s25, vcc_lo, s25
	s_delay_alu instid0(SALU_CYCLE_1)
	s_and_not1_b32 exec_lo, exec_lo, s25
	s_cbranch_execnz .LBB1729_47
; %bb.50:
	s_or_b32 exec_lo, exec_lo, s25
.LBB1729_51:
	s_delay_alu instid0(SALU_CYCLE_1)
	s_or_b32 exec_lo, exec_lo, s24
	v_cmp_ne_u32_e32 vcc_lo, 31, v50
	v_lshlrev_b32_e64 v11, v50, -1
	v_add_nc_u32_e32 v13, 2, v50
	v_add_nc_u32_e32 v16, 4, v50
	;; [unrolled: 1-line block ×3, first 2 shown]
	v_add_co_ci_u32_e32 v3, vcc_lo, 0, v50, vcc_lo
	v_add_nc_u32_e32 v55, 16, v50
	s_delay_alu instid0(VALU_DEP_2) | instskip(SKIP_2) | instid1(VALU_DEP_1)
	v_lshlrev_b32_e32 v10, 2, v3
	ds_bpermute_b32 v6, v10, v4
	v_and_b32_e32 v3, 0xff, v5
	v_cmp_eq_u16_e32 vcc_lo, 2, v3
	v_and_or_b32 v3, vcc_lo, v11, 0x80000000
	v_cmp_gt_u32_e32 vcc_lo, 30, v50
	s_delay_alu instid0(VALU_DEP_2) | instskip(SKIP_1) | instid1(VALU_DEP_2)
	v_ctz_i32_b32_e32 v3, v3
	v_cndmask_b32_e64 v7, 0, 1, vcc_lo
	v_cmp_lt_u32_e32 vcc_lo, v50, v3
	s_waitcnt lgkmcnt(0)
	s_delay_alu instid0(VALU_DEP_2) | instskip(NEXT) | instid1(VALU_DEP_1)
	v_dual_cndmask_b32 v6, 0, v6 :: v_dual_lshlrev_b32 v7, 1, v7
	v_add_lshl_u32 v12, v7, v50, 2
	v_cmp_gt_u32_e32 vcc_lo, 28, v50
	s_delay_alu instid0(VALU_DEP_3) | instskip(SKIP_4) | instid1(VALU_DEP_1)
	v_add_nc_u32_e32 v4, v6, v4
	v_cndmask_b32_e64 v7, 0, 1, vcc_lo
	v_cmp_le_u32_e32 vcc_lo, v13, v3
	ds_bpermute_b32 v6, v12, v4
	v_lshlrev_b32_e32 v7, 2, v7
	v_add_lshl_u32 v14, v7, v50, 2
	s_waitcnt lgkmcnt(0)
	v_cndmask_b32_e32 v6, 0, v6, vcc_lo
	v_cmp_gt_u32_e32 vcc_lo, 24, v50
	s_delay_alu instid0(VALU_DEP_2) | instskip(SKIP_4) | instid1(VALU_DEP_1)
	v_add_nc_u32_e32 v4, v4, v6
	v_cndmask_b32_e64 v7, 0, 1, vcc_lo
	v_cmp_le_u32_e32 vcc_lo, v16, v3
	ds_bpermute_b32 v6, v14, v4
	v_lshlrev_b32_e32 v7, 3, v7
	v_add_lshl_u32 v17, v7, v50, 2
	s_waitcnt lgkmcnt(0)
	v_cndmask_b32_e32 v6, 0, v6, vcc_lo
	v_cmp_gt_u32_e32 vcc_lo, 16, v50
	s_delay_alu instid0(VALU_DEP_2) | instskip(SKIP_4) | instid1(VALU_DEP_1)
	v_add_nc_u32_e32 v4, v4, v6
	v_cndmask_b32_e64 v7, 0, 1, vcc_lo
	v_cmp_le_u32_e32 vcc_lo, v53, v3
	ds_bpermute_b32 v6, v17, v4
	v_lshlrev_b32_e32 v7, 4, v7
	v_add_lshl_u32 v54, v7, v50, 2
	s_waitcnt lgkmcnt(0)
	v_cndmask_b32_e32 v6, 0, v6, vcc_lo
	v_cmp_le_u32_e32 vcc_lo, v55, v3
	s_delay_alu instid0(VALU_DEP_2) | instskip(SKIP_3) | instid1(VALU_DEP_1)
	v_add_nc_u32_e32 v4, v4, v6
	ds_bpermute_b32 v6, v54, v4
	s_waitcnt lgkmcnt(0)
	v_cndmask_b32_e32 v3, 0, v6, vcc_lo
	v_dual_mov_b32 v3, 0 :: v_dual_add_nc_u32 v4, v4, v3
	s_branch .LBB1729_53
.LBB1729_52:                            ;   in Loop: Header=BB1729_53 Depth=1
	s_or_b32 exec_lo, exec_lo, s24
	ds_bpermute_b32 v7, v10, v4
	v_and_b32_e32 v6, 0xff, v5
	v_subrev_nc_u32_e32 v2, 32, v2
	s_delay_alu instid0(VALU_DEP_2) | instskip(SKIP_1) | instid1(VALU_DEP_1)
	v_cmp_eq_u16_e32 vcc_lo, 2, v6
	v_and_or_b32 v6, vcc_lo, v11, 0x80000000
	v_ctz_i32_b32_e32 v6, v6
	s_delay_alu instid0(VALU_DEP_1) | instskip(SKIP_3) | instid1(VALU_DEP_2)
	v_cmp_lt_u32_e32 vcc_lo, v50, v6
	s_waitcnt lgkmcnt(0)
	v_cndmask_b32_e32 v7, 0, v7, vcc_lo
	v_cmp_le_u32_e32 vcc_lo, v13, v6
	v_add_nc_u32_e32 v4, v7, v4
	ds_bpermute_b32 v7, v12, v4
	s_waitcnt lgkmcnt(0)
	v_cndmask_b32_e32 v7, 0, v7, vcc_lo
	v_cmp_le_u32_e32 vcc_lo, v16, v6
	s_delay_alu instid0(VALU_DEP_2) | instskip(SKIP_4) | instid1(VALU_DEP_2)
	v_add_nc_u32_e32 v4, v4, v7
	ds_bpermute_b32 v7, v14, v4
	s_waitcnt lgkmcnt(0)
	v_cndmask_b32_e32 v7, 0, v7, vcc_lo
	v_cmp_le_u32_e32 vcc_lo, v53, v6
	v_add_nc_u32_e32 v4, v4, v7
	ds_bpermute_b32 v7, v17, v4
	s_waitcnt lgkmcnt(0)
	v_cndmask_b32_e32 v7, 0, v7, vcc_lo
	v_cmp_le_u32_e32 vcc_lo, v55, v6
	s_delay_alu instid0(VALU_DEP_2) | instskip(SKIP_3) | instid1(VALU_DEP_1)
	v_add_nc_u32_e32 v4, v4, v7
	ds_bpermute_b32 v7, v54, v4
	s_waitcnt lgkmcnt(0)
	v_cndmask_b32_e32 v6, 0, v7, vcc_lo
	v_add3_u32 v4, v6, v15, v4
.LBB1729_53:                            ; =>This Loop Header: Depth=1
                                        ;     Child Loop BB1729_56 Depth 2
                                        ;       Child Loop BB1729_57 Depth 3
	v_and_b32_e32 v5, 0xff, v5
	s_delay_alu instid0(VALU_DEP_2) | instskip(NEXT) | instid1(VALU_DEP_2)
	v_mov_b32_e32 v15, v4
	v_cmp_ne_u16_e32 vcc_lo, 2, v5
	v_cndmask_b32_e64 v5, 0, 1, vcc_lo
	;;#ASMSTART
	;;#ASMEND
	s_delay_alu instid0(VALU_DEP_1)
	v_cmp_ne_u32_e32 vcc_lo, 0, v5
	s_cmp_lg_u32 vcc_lo, exec_lo
	s_cbranch_scc1 .LBB1729_60
; %bb.54:                               ;   in Loop: Header=BB1729_53 Depth=1
	v_lshlrev_b64 v[4:5], 3, v[2:3]
	s_mov_b32 s24, exec_lo
	s_delay_alu instid0(VALU_DEP_1) | instskip(NEXT) | instid1(VALU_DEP_2)
	v_add_co_u32 v6, vcc_lo, s20, v4
	v_add_co_ci_u32_e32 v7, vcc_lo, s21, v5, vcc_lo
	global_load_b64 v[4:5], v[6:7], off glc
	s_waitcnt vmcnt(0)
	v_and_b32_e32 v56, 0xff, v5
	s_delay_alu instid0(VALU_DEP_1)
	v_cmpx_eq_u16_e32 0, v56
	s_cbranch_execz .LBB1729_52
; %bb.55:                               ;   in Loop: Header=BB1729_53 Depth=1
	s_mov_b32 s26, 1
	s_mov_b32 s25, 0
	.p2align	6
.LBB1729_56:                            ;   Parent Loop BB1729_53 Depth=1
                                        ; =>  This Loop Header: Depth=2
                                        ;       Child Loop BB1729_57 Depth 3
	s_max_u32 s27, s26, 1
.LBB1729_57:                            ;   Parent Loop BB1729_53 Depth=1
                                        ;     Parent Loop BB1729_56 Depth=2
                                        ; =>    This Inner Loop Header: Depth=3
	s_delay_alu instid0(SALU_CYCLE_1)
	s_add_i32 s27, s27, -1
	s_sleep 1
	s_cmp_eq_u32 s27, 0
	s_cbranch_scc0 .LBB1729_57
; %bb.58:                               ;   in Loop: Header=BB1729_56 Depth=2
	global_load_b64 v[4:5], v[6:7], off glc
	s_cmp_lt_u32 s26, 32
	s_cselect_b32 s27, -1, 0
	s_delay_alu instid0(SALU_CYCLE_1) | instskip(SKIP_3) | instid1(VALU_DEP_1)
	s_cmp_lg_u32 s27, 0
	s_addc_u32 s26, s26, 0
	s_waitcnt vmcnt(0)
	v_and_b32_e32 v56, 0xff, v5
	v_cmp_ne_u16_e32 vcc_lo, 0, v56
	s_or_b32 s25, vcc_lo, s25
	s_delay_alu instid0(SALU_CYCLE_1)
	s_and_not1_b32 exec_lo, exec_lo, s25
	s_cbranch_execnz .LBB1729_56
; %bb.59:                               ;   in Loop: Header=BB1729_53 Depth=1
	s_or_b32 exec_lo, exec_lo, s25
	s_branch .LBB1729_52
.LBB1729_60:                            ;   in Loop: Header=BB1729_53 Depth=1
                                        ; implicit-def: $vgpr4
                                        ; implicit-def: $vgpr5
	s_cbranch_execz .LBB1729_53
; %bb.61:
	s_and_saveexec_b32 s24, s6
	s_cbranch_execz .LBB1729_63
; %bb.62:
	s_add_i32 s26, s15, 32
	s_mov_b32 s27, 0
	v_dual_mov_b32 v3, 2 :: v_dual_add_nc_u32 v2, v15, v1
	s_lshl_b64 s[26:27], s[26:27], 3
	v_mov_b32_e32 v4, 0
	v_add_nc_u32_e64 v5, 0x3400, 0
	s_add_u32 s26, s20, s26
	s_addc_u32 s27, s21, s27
	global_store_b64 v4, v[2:3], s[26:27]
	ds_store_2addr_b32 v5, v1, v15 offset1:2
.LBB1729_63:
	s_or_b32 exec_lo, exec_lo, s24
	v_cmp_eq_u32_e32 vcc_lo, 0, v0
	s_and_b32 exec_lo, exec_lo, vcc_lo
	s_cbranch_execz .LBB1729_65
; %bb.64:
	v_mov_b32_e32 v1, 0
	ds_store_b32 v1, v15 offset:28
.LBB1729_65:
	s_or_b32 exec_lo, exec_lo, s7
	s_waitcnt lgkmcnt(0)
	v_cndmask_b32_e64 v2, v9, v8, s6
	v_cmp_ne_u32_e32 vcc_lo, 0, v0
	v_mov_b32_e32 v1, 0
	s_waitcnt_vscnt null, 0x0
	s_barrier
	buffer_gl0_inv
	v_cndmask_b32_e32 v2, 0, v2, vcc_lo
	ds_load_b32 v1, v1 offset:28
	v_add_nc_u32_e64 v11, 0x3400, 0
	s_waitcnt lgkmcnt(0)
	s_barrier
	buffer_gl0_inv
	ds_load_2addr_b32 v[16:17], v11 offset1:2
	v_add_nc_u32_e32 v1, v1, v2
	s_delay_alu instid0(VALU_DEP_1) | instskip(NEXT) | instid1(VALU_DEP_1)
	v_add_nc_u32_e32 v2, v1, v41
	v_add_nc_u32_e32 v3, v2, v42
	s_delay_alu instid0(VALU_DEP_1) | instskip(NEXT) | instid1(VALU_DEP_1)
	v_add_nc_u32_e32 v4, v3, v43
	;; [unrolled: 3-line block ×6, first 2 shown]
	v_add_nc_u32_e32 v13, v12, v36
	s_branch .LBB1729_76
.LBB1729_66:
                                        ; implicit-def: $vgpr17
                                        ; implicit-def: $vgpr1_vgpr2_vgpr3_vgpr4_vgpr5_vgpr6_vgpr7_vgpr8_vgpr9_vgpr10_vgpr11_vgpr12_vgpr13_vgpr14_vgpr15_vgpr16
	s_and_b32 vcc_lo, exec_lo, s6
	s_cbranch_vccz .LBB1729_76
; %bb.67:
	s_delay_alu instid0(VALU_DEP_1) | instskip(NEXT) | instid1(VALU_DEP_1)
	v_mov_b32_dpp v1, v52 row_shr:1 row_mask:0xf bank_mask:0xf
	v_cndmask_b32_e64 v1, v1, 0, s5
	s_delay_alu instid0(VALU_DEP_1) | instskip(NEXT) | instid1(VALU_DEP_1)
	v_add_nc_u32_e32 v1, v1, v52
	v_mov_b32_dpp v2, v1 row_shr:2 row_mask:0xf bank_mask:0xf
	s_delay_alu instid0(VALU_DEP_1) | instskip(NEXT) | instid1(VALU_DEP_1)
	v_cndmask_b32_e64 v2, 0, v2, s4
	v_add_nc_u32_e32 v1, v1, v2
	s_delay_alu instid0(VALU_DEP_1) | instskip(NEXT) | instid1(VALU_DEP_1)
	v_mov_b32_dpp v2, v1 row_shr:4 row_mask:0xf bank_mask:0xf
	v_cndmask_b32_e64 v2, 0, v2, s3
	s_delay_alu instid0(VALU_DEP_1) | instskip(NEXT) | instid1(VALU_DEP_1)
	v_add_nc_u32_e32 v1, v1, v2
	v_mov_b32_dpp v2, v1 row_shr:8 row_mask:0xf bank_mask:0xf
	s_delay_alu instid0(VALU_DEP_1) | instskip(NEXT) | instid1(VALU_DEP_1)
	v_cndmask_b32_e64 v2, 0, v2, s2
	v_add_nc_u32_e32 v1, v1, v2
	ds_swizzle_b32 v2, v1 offset:swizzle(BROADCAST,32,15)
	s_waitcnt lgkmcnt(0)
	v_cndmask_b32_e64 v2, v2, 0, s1
	s_delay_alu instid0(VALU_DEP_1)
	v_add_nc_u32_e32 v1, v1, v2
	s_and_saveexec_b32 s1, s0
	s_cbranch_execz .LBB1729_69
; %bb.68:
	v_lshlrev_b32_e32 v2, 2, v51
	ds_store_b32 v2, v1
.LBB1729_69:
	s_or_b32 exec_lo, exec_lo, s1
	s_delay_alu instid0(SALU_CYCLE_1)
	s_mov_b32 s0, exec_lo
	s_waitcnt lgkmcnt(0)
	s_barrier
	buffer_gl0_inv
	v_cmpx_gt_u32_e32 8, v0
	s_cbranch_execz .LBB1729_71
; %bb.70:
	ds_load_b32 v2, v30
	s_waitcnt lgkmcnt(0)
	v_mov_b32_dpp v4, v2 row_shr:1 row_mask:0xf bank_mask:0xf
	v_and_b32_e32 v3, 7, v50
	s_delay_alu instid0(VALU_DEP_1) | instskip(NEXT) | instid1(VALU_DEP_3)
	v_cmp_ne_u32_e32 vcc_lo, 0, v3
	v_cndmask_b32_e32 v4, 0, v4, vcc_lo
	v_cmp_lt_u32_e32 vcc_lo, 1, v3
	s_delay_alu instid0(VALU_DEP_2) | instskip(NEXT) | instid1(VALU_DEP_1)
	v_add_nc_u32_e32 v2, v4, v2
	v_mov_b32_dpp v4, v2 row_shr:2 row_mask:0xf bank_mask:0xf
	s_delay_alu instid0(VALU_DEP_1) | instskip(SKIP_1) | instid1(VALU_DEP_2)
	v_cndmask_b32_e32 v4, 0, v4, vcc_lo
	v_cmp_lt_u32_e32 vcc_lo, 3, v3
	v_add_nc_u32_e32 v2, v2, v4
	s_delay_alu instid0(VALU_DEP_1) | instskip(NEXT) | instid1(VALU_DEP_1)
	v_mov_b32_dpp v4, v2 row_shr:4 row_mask:0xf bank_mask:0xf
	v_cndmask_b32_e32 v3, 0, v4, vcc_lo
	s_delay_alu instid0(VALU_DEP_1)
	v_add_nc_u32_e32 v2, v2, v3
	ds_store_b32 v30, v2
.LBB1729_71:
	s_or_b32 exec_lo, exec_lo, s0
	v_dual_mov_b32 v3, 0 :: v_dual_mov_b32 v2, 0
	s_mov_b32 s0, exec_lo
	s_waitcnt lgkmcnt(0)
	s_barrier
	buffer_gl0_inv
	v_cmpx_lt_u32_e32 31, v0
	s_cbranch_execz .LBB1729_73
; %bb.72:
	v_lshl_add_u32 v2, v51, 2, -4
	ds_load_b32 v2, v2
.LBB1729_73:
	s_or_b32 exec_lo, exec_lo, s0
	v_add_nc_u32_e32 v4, -1, v50
	ds_load_b32 v16, v3 offset:28
	s_waitcnt lgkmcnt(1)
	v_add_nc_u32_e32 v1, v2, v1
	v_cmp_gt_i32_e32 vcc_lo, 0, v4
	v_cndmask_b32_e32 v4, v4, v50, vcc_lo
	v_cmp_eq_u32_e32 vcc_lo, 0, v0
	s_delay_alu instid0(VALU_DEP_2)
	v_lshlrev_b32_e32 v4, 2, v4
	ds_bpermute_b32 v1, v4, v1
	s_and_saveexec_b32 s0, vcc_lo
	s_cbranch_execz .LBB1729_75
; %bb.74:
	v_mov_b32_e32 v3, 0
	v_mov_b32_e32 v17, 2
	s_waitcnt lgkmcnt(1)
	global_store_b64 v3, v[16:17], s[20:21] offset:256
.LBB1729_75:
	s_or_b32 exec_lo, exec_lo, s0
	v_cmp_eq_u32_e64 s0, 0, v50
	s_waitcnt lgkmcnt(0)
	s_waitcnt_vscnt null, 0x0
	s_barrier
	buffer_gl0_inv
	v_mov_b32_e32 v17, 0
	v_cndmask_b32_e64 v1, v1, v2, s0
	s_delay_alu instid0(VALU_DEP_1) | instskip(NEXT) | instid1(VALU_DEP_1)
	v_cndmask_b32_e64 v1, v1, 0, vcc_lo
	v_add_nc_u32_e32 v2, v1, v41
	s_delay_alu instid0(VALU_DEP_1) | instskip(NEXT) | instid1(VALU_DEP_1)
	v_add_nc_u32_e32 v3, v2, v42
	v_add_nc_u32_e32 v4, v3, v43
	s_delay_alu instid0(VALU_DEP_1) | instskip(NEXT) | instid1(VALU_DEP_1)
	v_add_nc_u32_e32 v5, v4, v40
	v_add_nc_u32_e32 v6, v5, v44
	s_delay_alu instid0(VALU_DEP_1) | instskip(NEXT) | instid1(VALU_DEP_1)
	v_add_nc_u32_e32 v7, v6, v45
	v_add_nc_u32_e32 v8, v7, v46
	s_delay_alu instid0(VALU_DEP_1) | instskip(NEXT) | instid1(VALU_DEP_1)
	v_add_nc_u32_e32 v9, v8, v38
	v_add_nc_u32_e32 v10, v9, v47
	s_delay_alu instid0(VALU_DEP_1) | instskip(NEXT) | instid1(VALU_DEP_1)
	v_add_nc_u32_e32 v11, v10, v48
	v_add_nc_u32_e32 v12, v11, v49
	s_delay_alu instid0(VALU_DEP_1)
	v_add_nc_u32_e32 v13, v12, v36
.LBB1729_76:
	v_lshrrev_b32_e32 v44, 8, v39
	v_lshrrev_b32_e32 v43, 16, v39
	s_waitcnt lgkmcnt(0)
	v_sub_nc_u32_e32 v1, v1, v17
	v_and_b32_e32 v39, 1, v39
	v_sub_nc_u32_e32 v3, v3, v17
	v_add_nc_u32_e32 v33, v16, v33
	v_sub_nc_u32_e32 v2, v2, v17
	v_sub_nc_u32_e32 v4, v4, v17
	v_cmp_eq_u32_e32 vcc_lo, 1, v39
	v_and_b32_e32 v39, 1, v43
	v_sub_nc_u32_e32 v45, v33, v1
	v_and_b32_e32 v44, 1, v44
	v_sub_nc_u32_e32 v43, v33, v2
	v_lshrrev_b32_e32 v42, 8, v37
	v_lshrrev_b32_e32 v41, 16, v37
	v_cndmask_b32_e32 v1, v45, v1, vcc_lo
	v_sub_nc_u32_e32 v45, v33, v3
	v_add_nc_u32_e32 v43, 1, v43
	v_cmp_eq_u32_e32 vcc_lo, 1, v44
	v_and_b32_e32 v40, 1, v40
	v_lshlrev_b32_e32 v1, 2, v1
	v_add_nc_u32_e32 v45, 2, v45
	v_lshrrev_b32_e32 v15, 8, v35
	v_lshrrev_b32_e32 v14, 16, v35
	ds_store_b32 v1, v28
	v_cndmask_b32_e32 v1, v43, v2, vcc_lo
	v_cmp_eq_u32_e32 vcc_lo, 1, v39
	v_or_b32_e32 v28, 0x500, v0
	s_delay_alu instid0(VALU_DEP_3)
	v_dual_cndmask_b32 v2, v45, v3 :: v_dual_lshlrev_b32 v1, 2, v1
	v_sub_nc_u32_e32 v46, v33, v4
	v_cmp_eq_u32_e32 vcc_lo, 1, v40
	ds_store_b32 v1, v29
	v_lshlrev_b32_e32 v2, 2, v2
	v_add_nc_u32_e32 v46, 3, v46
	v_or_b32_e32 v29, 0x400, v0
	s_delay_alu instid0(VALU_DEP_2) | instskip(SKIP_2) | instid1(VALU_DEP_3)
	v_cndmask_b32_e32 v3, v46, v4, vcc_lo
	v_sub_nc_u32_e32 v4, v5, v17
	v_sub_nc_u32_e32 v5, v6, v17
	v_lshlrev_b32_e32 v3, 2, v3
	s_delay_alu instid0(VALU_DEP_3) | instskip(NEXT) | instid1(VALU_DEP_3)
	v_sub_nc_u32_e32 v1, v33, v4
	v_sub_nc_u32_e32 v6, v33, v5
	ds_store_b32 v2, v26
	ds_store_b32 v3, v27
	v_and_b32_e32 v2, 1, v37
	v_add_nc_u32_e32 v1, 4, v1
	v_add_nc_u32_e32 v3, 5, v6
	v_sub_nc_u32_e32 v6, v7, v17
	v_and_b32_e32 v7, 1, v42
	v_cmp_eq_u32_e32 vcc_lo, 1, v2
	v_sub_nc_u32_e32 v2, v8, v17
	v_and_b32_e32 v8, 1, v38
	v_or_b32_e32 v27, 0x600, v0
	v_or_b32_e32 v26, 0x700, v0
	v_cndmask_b32_e32 v1, v1, v4, vcc_lo
	v_sub_nc_u32_e32 v4, v33, v6
	v_cmp_eq_u32_e32 vcc_lo, 1, v7
	v_and_b32_e32 v7, 1, v41
	s_delay_alu instid0(VALU_DEP_4) | instskip(NEXT) | instid1(VALU_DEP_4)
	v_lshlrev_b32_e32 v1, 2, v1
	v_dual_cndmask_b32 v3, v3, v5 :: v_dual_add_nc_u32 v4, 6, v4
	v_sub_nc_u32_e32 v5, v33, v2
	s_delay_alu instid0(VALU_DEP_4) | instskip(SKIP_1) | instid1(VALU_DEP_4)
	v_cmp_eq_u32_e32 vcc_lo, 1, v7
	v_sub_nc_u32_e32 v7, v13, v17
	v_lshlrev_b32_e32 v3, 2, v3
	s_delay_alu instid0(VALU_DEP_4)
	v_dual_cndmask_b32 v4, v4, v6 :: v_dual_add_nc_u32 v5, 7, v5
	v_cmp_eq_u32_e32 vcc_lo, 1, v8
	v_sub_nc_u32_e32 v6, v9, v17
	ds_store_b32 v1, v24
	ds_store_b32 v3, v25
	v_or_b32_e32 v25, 0x800, v0
	v_dual_cndmask_b32 v2, v5, v2 :: v_dual_lshlrev_b32 v3, 2, v4
	v_and_b32_e32 v5, 1, v35
	v_sub_nc_u32_e32 v1, v33, v6
	v_sub_nc_u32_e32 v4, v10, v17
	v_and_b32_e32 v10, 1, v36
	v_or_b32_e32 v24, 0x900, v0
	v_cmp_eq_u32_e32 vcc_lo, 1, v5
	v_sub_nc_u32_e32 v5, v12, v17
	v_add_nc_u32_e32 v1, 8, v1
	s_delay_alu instid0(VALU_DEP_2) | instskip(NEXT) | instid1(VALU_DEP_2)
	v_sub_nc_u32_e32 v9, v33, v5
	v_dual_cndmask_b32 v1, v1, v6 :: v_dual_and_b32 v6, 1, v15
	v_add_co_u32 v15, s0, s18, v17
	s_delay_alu instid0(VALU_DEP_3)
	v_add_nc_u32_e32 v9, 11, v9
	v_lshlrev_b32_e32 v2, 2, v2
	ds_store_b32 v3, v22
	ds_store_b32 v2, v23
	v_sub_nc_u32_e32 v3, v11, v17
	v_sub_nc_u32_e32 v2, v33, v4
	v_cmp_eq_u32_e32 vcc_lo, 1, v6
	v_and_b32_e32 v11, 1, v34
	v_lshlrev_b32_e32 v1, 2, v1
	v_sub_nc_u32_e32 v8, v33, v3
	v_add_nc_u32_e32 v2, 9, v2
	v_add_co_ci_u32_e64 v17, null, s19, 0, s0
	s_add_u32 s0, s16, s23
	s_delay_alu instid0(VALU_DEP_3)
	v_add_nc_u32_e32 v6, 10, v8
	v_and_b32_e32 v8, 1, v14
	v_cndmask_b32_e32 v2, v2, v4, vcc_lo
	v_sub_nc_u32_e32 v4, v33, v7
	s_addc_u32 s1, s17, 0
	s_sub_u32 s0, s12, s0
	v_cmp_eq_u32_e32 vcc_lo, 1, v8
	v_lshlrev_b32_e32 v2, 2, v2
	v_add_nc_u32_e32 v4, 12, v4
	s_subb_u32 s1, s13, s1
	v_add_co_u32 v13, s0, s0, v16
	v_cndmask_b32_e32 v3, v6, v3, vcc_lo
	v_cmp_eq_u32_e32 vcc_lo, 1, v10
	v_add_co_ci_u32_e64 v14, null, s1, 0, s0
	v_or_b32_e32 v34, 0x100, v0
	s_delay_alu instid0(VALU_DEP_4)
	v_lshlrev_b32_e32 v3, 2, v3
	v_cndmask_b32_e32 v5, v9, v5, vcc_lo
	v_cmp_eq_u32_e32 vcc_lo, 1, v11
	v_or_b32_e32 v33, 0x200, v0
	v_or_b32_e32 v23, 0xa00, v0
	;; [unrolled: 1-line block ×3, first 2 shown]
	v_dual_cndmask_b32 v4, v4, v7 :: v_dual_lshlrev_b32 v5, 2, v5
	v_cmp_ne_u32_e32 vcc_lo, 1, v31
	s_delay_alu instid0(VALU_DEP_2)
	v_lshlrev_b32_e32 v4, 2, v4
	ds_store_b32 v1, v20
	ds_store_b32 v2, v21
	;; [unrolled: 1-line block ×5, first 2 shown]
	s_waitcnt lgkmcnt(0)
	s_barrier
	buffer_gl0_inv
	ds_load_2addr_stride64_b32 v[11:12], v30 offset1:4
	ds_load_2addr_stride64_b32 v[9:10], v30 offset0:8 offset1:12
	ds_load_2addr_stride64_b32 v[7:8], v30 offset0:16 offset1:20
	;; [unrolled: 1-line block ×5, first 2 shown]
	ds_load_b32 v18, v30 offset:12288
	v_add_co_u32 v20, s0, v13, v15
	v_or_b32_e32 v32, 0x300, v0
	v_or_b32_e32 v19, 0xc00, v0
	v_add_co_ci_u32_e64 v21, s0, v14, v17, s0
	s_mov_b32 s0, 0
	s_cbranch_vccnz .LBB1729_130
; %bb.77:
	s_mov_b32 s0, exec_lo
                                        ; implicit-def: $vgpr13_vgpr14
	v_cmpx_ge_u32_e64 v0, v16
	s_xor_b32 s0, exec_lo, s0
; %bb.78:
	v_not_b32_e32 v13, v0
	s_delay_alu instid0(VALU_DEP_1) | instskip(SKIP_1) | instid1(VALU_DEP_2)
	v_ashrrev_i32_e32 v14, 31, v13
	v_add_co_u32 v13, vcc_lo, v20, v13
	v_add_co_ci_u32_e32 v14, vcc_lo, v21, v14, vcc_lo
; %bb.79:
	s_and_not1_saveexec_b32 s0, s0
; %bb.80:
	v_add_co_u32 v13, vcc_lo, v15, v0
	v_add_co_ci_u32_e32 v14, vcc_lo, 0, v17, vcc_lo
; %bb.81:
	s_or_b32 exec_lo, exec_lo, s0
	s_delay_alu instid0(VALU_DEP_1) | instskip(SKIP_1) | instid1(VALU_DEP_1)
	v_lshlrev_b64 v[13:14], 2, v[13:14]
	s_mov_b32 s0, exec_lo
	v_add_co_u32 v13, vcc_lo, s10, v13
	s_delay_alu instid0(VALU_DEP_2)
	v_add_co_ci_u32_e32 v14, vcc_lo, s11, v14, vcc_lo
	s_waitcnt lgkmcnt(6)
	global_store_b32 v[13:14], v11, off
                                        ; implicit-def: $vgpr13_vgpr14
	v_cmpx_ge_u32_e64 v34, v16
	s_xor_b32 s0, exec_lo, s0
; %bb.82:
	v_xor_b32_e32 v13, 0xfffffeff, v0
	s_delay_alu instid0(VALU_DEP_1) | instskip(SKIP_1) | instid1(VALU_DEP_2)
	v_ashrrev_i32_e32 v14, 31, v13
	v_add_co_u32 v13, vcc_lo, v20, v13
	v_add_co_ci_u32_e32 v14, vcc_lo, v21, v14, vcc_lo
; %bb.83:
	s_and_not1_saveexec_b32 s0, s0
; %bb.84:
	v_add_co_u32 v13, vcc_lo, v15, v34
	v_add_co_ci_u32_e32 v14, vcc_lo, 0, v17, vcc_lo
; %bb.85:
	s_or_b32 exec_lo, exec_lo, s0
	s_delay_alu instid0(VALU_DEP_1) | instskip(SKIP_1) | instid1(VALU_DEP_1)
	v_lshlrev_b64 v[13:14], 2, v[13:14]
	s_mov_b32 s0, exec_lo
	v_add_co_u32 v13, vcc_lo, s10, v13
	s_delay_alu instid0(VALU_DEP_2)
	v_add_co_ci_u32_e32 v14, vcc_lo, s11, v14, vcc_lo
	global_store_b32 v[13:14], v12, off
                                        ; implicit-def: $vgpr13_vgpr14
	v_cmpx_ge_u32_e64 v33, v16
	s_xor_b32 s0, exec_lo, s0
; %bb.86:
	v_xor_b32_e32 v13, 0xfffffdff, v0
	s_delay_alu instid0(VALU_DEP_1) | instskip(SKIP_1) | instid1(VALU_DEP_2)
	v_ashrrev_i32_e32 v14, 31, v13
	v_add_co_u32 v13, vcc_lo, v20, v13
	v_add_co_ci_u32_e32 v14, vcc_lo, v21, v14, vcc_lo
; %bb.87:
	s_and_not1_saveexec_b32 s0, s0
; %bb.88:
	v_add_co_u32 v13, vcc_lo, v15, v33
	v_add_co_ci_u32_e32 v14, vcc_lo, 0, v17, vcc_lo
; %bb.89:
	s_or_b32 exec_lo, exec_lo, s0
	s_delay_alu instid0(VALU_DEP_1) | instskip(SKIP_1) | instid1(VALU_DEP_1)
	v_lshlrev_b64 v[13:14], 2, v[13:14]
	s_mov_b32 s0, exec_lo
	v_add_co_u32 v13, vcc_lo, s10, v13
	s_delay_alu instid0(VALU_DEP_2)
	v_add_co_ci_u32_e32 v14, vcc_lo, s11, v14, vcc_lo
	s_waitcnt lgkmcnt(5)
	global_store_b32 v[13:14], v9, off
                                        ; implicit-def: $vgpr13_vgpr14
	v_cmpx_ge_u32_e64 v32, v16
	s_xor_b32 s0, exec_lo, s0
; %bb.90:
	v_xor_b32_e32 v13, 0xfffffcff, v0
	s_delay_alu instid0(VALU_DEP_1) | instskip(SKIP_1) | instid1(VALU_DEP_2)
	v_ashrrev_i32_e32 v14, 31, v13
	v_add_co_u32 v13, vcc_lo, v20, v13
	v_add_co_ci_u32_e32 v14, vcc_lo, v21, v14, vcc_lo
; %bb.91:
	s_and_not1_saveexec_b32 s0, s0
; %bb.92:
	v_add_co_u32 v13, vcc_lo, v15, v32
	v_add_co_ci_u32_e32 v14, vcc_lo, 0, v17, vcc_lo
; %bb.93:
	s_or_b32 exec_lo, exec_lo, s0
	s_delay_alu instid0(VALU_DEP_1) | instskip(SKIP_1) | instid1(VALU_DEP_1)
	v_lshlrev_b64 v[13:14], 2, v[13:14]
	s_mov_b32 s0, exec_lo
	v_add_co_u32 v13, vcc_lo, s10, v13
	s_delay_alu instid0(VALU_DEP_2)
	v_add_co_ci_u32_e32 v14, vcc_lo, s11, v14, vcc_lo
	global_store_b32 v[13:14], v10, off
                                        ; implicit-def: $vgpr13_vgpr14
	v_cmpx_ge_u32_e64 v29, v16
	s_xor_b32 s0, exec_lo, s0
; %bb.94:
	v_xor_b32_e32 v13, 0xfffffbff, v0
	;; [unrolled: 47-line block ×6, first 2 shown]
	s_delay_alu instid0(VALU_DEP_1) | instskip(SKIP_1) | instid1(VALU_DEP_2)
	v_ashrrev_i32_e32 v14, 31, v13
	v_add_co_u32 v13, vcc_lo, v20, v13
	v_add_co_ci_u32_e32 v14, vcc_lo, v21, v14, vcc_lo
; %bb.127:
	s_and_not1_saveexec_b32 s0, s0
; %bb.128:
	v_add_co_u32 v13, vcc_lo, v15, v19
	v_add_co_ci_u32_e32 v14, vcc_lo, 0, v17, vcc_lo
; %bb.129:
	s_or_b32 exec_lo, exec_lo, s0
	s_mov_b32 s0, -1
	s_branch .LBB1729_210
.LBB1729_130:
                                        ; implicit-def: $vgpr13_vgpr14
	s_cbranch_execz .LBB1729_210
; %bb.131:
	s_mov_b32 s1, exec_lo
	v_cmpx_gt_u32_e64 s22, v0
	s_cbranch_execz .LBB1729_167
; %bb.132:
	s_mov_b32 s2, exec_lo
                                        ; implicit-def: $vgpr13_vgpr14
	v_cmpx_ge_u32_e64 v0, v16
	s_xor_b32 s2, exec_lo, s2
; %bb.133:
	v_not_b32_e32 v13, v0
	s_delay_alu instid0(VALU_DEP_1) | instskip(SKIP_1) | instid1(VALU_DEP_2)
	v_ashrrev_i32_e32 v14, 31, v13
	v_add_co_u32 v13, vcc_lo, v20, v13
	v_add_co_ci_u32_e32 v14, vcc_lo, v21, v14, vcc_lo
; %bb.134:
	s_and_not1_saveexec_b32 s2, s2
; %bb.135:
	v_add_co_u32 v13, vcc_lo, v15, v0
	v_add_co_ci_u32_e32 v14, vcc_lo, 0, v17, vcc_lo
; %bb.136:
	s_or_b32 exec_lo, exec_lo, s2
	s_delay_alu instid0(VALU_DEP_1) | instskip(NEXT) | instid1(VALU_DEP_1)
	v_lshlrev_b64 v[13:14], 2, v[13:14]
	v_add_co_u32 v13, vcc_lo, s10, v13
	s_delay_alu instid0(VALU_DEP_2) | instskip(SKIP_3) | instid1(SALU_CYCLE_1)
	v_add_co_ci_u32_e32 v14, vcc_lo, s11, v14, vcc_lo
	s_waitcnt lgkmcnt(6)
	global_store_b32 v[13:14], v11, off
	s_or_b32 exec_lo, exec_lo, s1
	s_mov_b32 s1, exec_lo
	v_cmpx_gt_u32_e64 s22, v34
	s_cbranch_execnz .LBB1729_168
.LBB1729_137:
	s_or_b32 exec_lo, exec_lo, s1
	s_delay_alu instid0(SALU_CYCLE_1)
	s_mov_b32 s1, exec_lo
	v_cmpx_gt_u32_e64 s22, v33
	s_cbranch_execz .LBB1729_173
.LBB1729_138:
	s_mov_b32 s2, exec_lo
                                        ; implicit-def: $vgpr11_vgpr12
	v_cmpx_ge_u32_e64 v33, v16
	s_xor_b32 s2, exec_lo, s2
	s_cbranch_execz .LBB1729_140
; %bb.139:
	s_waitcnt lgkmcnt(6)
	v_xor_b32_e32 v11, 0xfffffdff, v0
                                        ; implicit-def: $vgpr33
	s_delay_alu instid0(VALU_DEP_1) | instskip(SKIP_1) | instid1(VALU_DEP_2)
	v_ashrrev_i32_e32 v12, 31, v11
	v_add_co_u32 v11, vcc_lo, v20, v11
	v_add_co_ci_u32_e32 v12, vcc_lo, v21, v12, vcc_lo
.LBB1729_140:
	s_and_not1_saveexec_b32 s2, s2
	s_cbranch_execz .LBB1729_142
; %bb.141:
	s_waitcnt lgkmcnt(6)
	v_add_co_u32 v11, vcc_lo, v15, v33
	v_add_co_ci_u32_e32 v12, vcc_lo, 0, v17, vcc_lo
.LBB1729_142:
	s_or_b32 exec_lo, exec_lo, s2
	s_waitcnt lgkmcnt(6)
	s_delay_alu instid0(VALU_DEP_1) | instskip(NEXT) | instid1(VALU_DEP_1)
	v_lshlrev_b64 v[11:12], 2, v[11:12]
	v_add_co_u32 v11, vcc_lo, s10, v11
	s_delay_alu instid0(VALU_DEP_2) | instskip(SKIP_3) | instid1(SALU_CYCLE_1)
	v_add_co_ci_u32_e32 v12, vcc_lo, s11, v12, vcc_lo
	s_waitcnt lgkmcnt(5)
	global_store_b32 v[11:12], v9, off
	s_or_b32 exec_lo, exec_lo, s1
	s_mov_b32 s1, exec_lo
	v_cmpx_gt_u32_e64 s22, v32
	s_cbranch_execnz .LBB1729_174
.LBB1729_143:
	s_or_b32 exec_lo, exec_lo, s1
	s_delay_alu instid0(SALU_CYCLE_1)
	s_mov_b32 s1, exec_lo
	v_cmpx_gt_u32_e64 s22, v29
	s_cbranch_execz .LBB1729_179
.LBB1729_144:
	s_mov_b32 s2, exec_lo
                                        ; implicit-def: $vgpr9_vgpr10
	v_cmpx_ge_u32_e64 v29, v16
	s_xor_b32 s2, exec_lo, s2
	s_cbranch_execz .LBB1729_146
; %bb.145:
	s_waitcnt lgkmcnt(5)
	v_xor_b32_e32 v9, 0xfffffbff, v0
                                        ; implicit-def: $vgpr29
	s_delay_alu instid0(VALU_DEP_1) | instskip(SKIP_1) | instid1(VALU_DEP_2)
	v_ashrrev_i32_e32 v10, 31, v9
	v_add_co_u32 v9, vcc_lo, v20, v9
	v_add_co_ci_u32_e32 v10, vcc_lo, v21, v10, vcc_lo
.LBB1729_146:
	s_and_not1_saveexec_b32 s2, s2
	s_cbranch_execz .LBB1729_148
; %bb.147:
	s_waitcnt lgkmcnt(5)
	v_add_co_u32 v9, vcc_lo, v15, v29
	v_add_co_ci_u32_e32 v10, vcc_lo, 0, v17, vcc_lo
.LBB1729_148:
	s_or_b32 exec_lo, exec_lo, s2
	s_waitcnt lgkmcnt(5)
	s_delay_alu instid0(VALU_DEP_1) | instskip(NEXT) | instid1(VALU_DEP_1)
	v_lshlrev_b64 v[9:10], 2, v[9:10]
	v_add_co_u32 v9, vcc_lo, s10, v9
	s_delay_alu instid0(VALU_DEP_2) | instskip(SKIP_3) | instid1(SALU_CYCLE_1)
	v_add_co_ci_u32_e32 v10, vcc_lo, s11, v10, vcc_lo
	s_waitcnt lgkmcnt(4)
	global_store_b32 v[9:10], v7, off
	s_or_b32 exec_lo, exec_lo, s1
	s_mov_b32 s1, exec_lo
	v_cmpx_gt_u32_e64 s22, v28
	s_cbranch_execnz .LBB1729_180
.LBB1729_149:
	s_or_b32 exec_lo, exec_lo, s1
	s_delay_alu instid0(SALU_CYCLE_1)
	s_mov_b32 s1, exec_lo
	v_cmpx_gt_u32_e64 s22, v27
	s_cbranch_execz .LBB1729_185
.LBB1729_150:
	s_mov_b32 s2, exec_lo
                                        ; implicit-def: $vgpr7_vgpr8
	v_cmpx_ge_u32_e64 v27, v16
	s_xor_b32 s2, exec_lo, s2
	s_cbranch_execz .LBB1729_152
; %bb.151:
	s_waitcnt lgkmcnt(4)
	v_xor_b32_e32 v7, 0xfffff9ff, v0
                                        ; implicit-def: $vgpr27
	s_delay_alu instid0(VALU_DEP_1) | instskip(SKIP_1) | instid1(VALU_DEP_2)
	v_ashrrev_i32_e32 v8, 31, v7
	v_add_co_u32 v7, vcc_lo, v20, v7
	v_add_co_ci_u32_e32 v8, vcc_lo, v21, v8, vcc_lo
.LBB1729_152:
	s_and_not1_saveexec_b32 s2, s2
	s_cbranch_execz .LBB1729_154
; %bb.153:
	s_waitcnt lgkmcnt(4)
	v_add_co_u32 v7, vcc_lo, v15, v27
	v_add_co_ci_u32_e32 v8, vcc_lo, 0, v17, vcc_lo
.LBB1729_154:
	s_or_b32 exec_lo, exec_lo, s2
	s_waitcnt lgkmcnt(4)
	s_delay_alu instid0(VALU_DEP_1) | instskip(NEXT) | instid1(VALU_DEP_1)
	v_lshlrev_b64 v[7:8], 2, v[7:8]
	v_add_co_u32 v7, vcc_lo, s10, v7
	s_delay_alu instid0(VALU_DEP_2) | instskip(SKIP_3) | instid1(SALU_CYCLE_1)
	v_add_co_ci_u32_e32 v8, vcc_lo, s11, v8, vcc_lo
	s_waitcnt lgkmcnt(3)
	global_store_b32 v[7:8], v5, off
	s_or_b32 exec_lo, exec_lo, s1
	s_mov_b32 s1, exec_lo
	v_cmpx_gt_u32_e64 s22, v26
	s_cbranch_execnz .LBB1729_186
.LBB1729_155:
	s_or_b32 exec_lo, exec_lo, s1
	s_delay_alu instid0(SALU_CYCLE_1)
	s_mov_b32 s1, exec_lo
	v_cmpx_gt_u32_e64 s22, v25
	s_cbranch_execz .LBB1729_191
.LBB1729_156:
	s_mov_b32 s2, exec_lo
                                        ; implicit-def: $vgpr5_vgpr6
	v_cmpx_ge_u32_e64 v25, v16
	s_xor_b32 s2, exec_lo, s2
	s_cbranch_execz .LBB1729_158
; %bb.157:
	s_waitcnt lgkmcnt(3)
	v_xor_b32_e32 v5, 0xfffff7ff, v0
                                        ; implicit-def: $vgpr25
	s_delay_alu instid0(VALU_DEP_1) | instskip(SKIP_1) | instid1(VALU_DEP_2)
	v_ashrrev_i32_e32 v6, 31, v5
	v_add_co_u32 v5, vcc_lo, v20, v5
	v_add_co_ci_u32_e32 v6, vcc_lo, v21, v6, vcc_lo
.LBB1729_158:
	s_and_not1_saveexec_b32 s2, s2
	s_cbranch_execz .LBB1729_160
; %bb.159:
	s_waitcnt lgkmcnt(3)
	v_add_co_u32 v5, vcc_lo, v15, v25
	v_add_co_ci_u32_e32 v6, vcc_lo, 0, v17, vcc_lo
.LBB1729_160:
	s_or_b32 exec_lo, exec_lo, s2
	s_waitcnt lgkmcnt(3)
	s_delay_alu instid0(VALU_DEP_1) | instskip(NEXT) | instid1(VALU_DEP_1)
	v_lshlrev_b64 v[5:6], 2, v[5:6]
	v_add_co_u32 v5, vcc_lo, s10, v5
	s_delay_alu instid0(VALU_DEP_2) | instskip(SKIP_3) | instid1(SALU_CYCLE_1)
	v_add_co_ci_u32_e32 v6, vcc_lo, s11, v6, vcc_lo
	s_waitcnt lgkmcnt(2)
	global_store_b32 v[5:6], v3, off
	s_or_b32 exec_lo, exec_lo, s1
	s_mov_b32 s1, exec_lo
	v_cmpx_gt_u32_e64 s22, v24
	s_cbranch_execnz .LBB1729_192
.LBB1729_161:
	s_or_b32 exec_lo, exec_lo, s1
	s_delay_alu instid0(SALU_CYCLE_1)
	s_mov_b32 s1, exec_lo
	v_cmpx_gt_u32_e64 s22, v23
	s_cbranch_execz .LBB1729_197
.LBB1729_162:
	s_mov_b32 s2, exec_lo
                                        ; implicit-def: $vgpr3_vgpr4
	v_cmpx_ge_u32_e64 v23, v16
	s_xor_b32 s2, exec_lo, s2
	s_cbranch_execz .LBB1729_164
; %bb.163:
	s_waitcnt lgkmcnt(2)
	v_xor_b32_e32 v3, 0xfffff5ff, v0
                                        ; implicit-def: $vgpr23
	s_delay_alu instid0(VALU_DEP_1) | instskip(SKIP_1) | instid1(VALU_DEP_2)
	v_ashrrev_i32_e32 v4, 31, v3
	v_add_co_u32 v3, vcc_lo, v20, v3
	v_add_co_ci_u32_e32 v4, vcc_lo, v21, v4, vcc_lo
.LBB1729_164:
	s_and_not1_saveexec_b32 s2, s2
	s_cbranch_execz .LBB1729_166
; %bb.165:
	s_waitcnt lgkmcnt(2)
	v_add_co_u32 v3, vcc_lo, v15, v23
	v_add_co_ci_u32_e32 v4, vcc_lo, 0, v17, vcc_lo
.LBB1729_166:
	s_or_b32 exec_lo, exec_lo, s2
	s_waitcnt lgkmcnt(2)
	s_delay_alu instid0(VALU_DEP_1) | instskip(NEXT) | instid1(VALU_DEP_1)
	v_lshlrev_b64 v[3:4], 2, v[3:4]
	v_add_co_u32 v3, vcc_lo, s10, v3
	s_delay_alu instid0(VALU_DEP_2) | instskip(SKIP_3) | instid1(SALU_CYCLE_1)
	v_add_co_ci_u32_e32 v4, vcc_lo, s11, v4, vcc_lo
	s_waitcnt lgkmcnt(1)
	global_store_b32 v[3:4], v1, off
	s_or_b32 exec_lo, exec_lo, s1
	s_mov_b32 s1, exec_lo
	v_cmpx_gt_u32_e64 s22, v22
	s_cbranch_execz .LBB1729_203
	s_branch .LBB1729_198
.LBB1729_167:
	s_or_b32 exec_lo, exec_lo, s1
	s_delay_alu instid0(SALU_CYCLE_1)
	s_mov_b32 s1, exec_lo
	v_cmpx_gt_u32_e64 s22, v34
	s_cbranch_execz .LBB1729_137
.LBB1729_168:
	s_mov_b32 s2, exec_lo
                                        ; implicit-def: $vgpr13_vgpr14
	v_cmpx_ge_u32_e64 v34, v16
	s_xor_b32 s2, exec_lo, s2
	s_cbranch_execz .LBB1729_170
; %bb.169:
	s_waitcnt lgkmcnt(6)
	v_xor_b32_e32 v11, 0xfffffeff, v0
                                        ; implicit-def: $vgpr34
	s_delay_alu instid0(VALU_DEP_1) | instskip(SKIP_1) | instid1(VALU_DEP_2)
	v_ashrrev_i32_e32 v14, 31, v11
	v_add_co_u32 v13, vcc_lo, v20, v11
	v_add_co_ci_u32_e32 v14, vcc_lo, v21, v14, vcc_lo
.LBB1729_170:
	s_and_not1_saveexec_b32 s2, s2
; %bb.171:
	v_add_co_u32 v13, vcc_lo, v15, v34
	v_add_co_ci_u32_e32 v14, vcc_lo, 0, v17, vcc_lo
; %bb.172:
	s_or_b32 exec_lo, exec_lo, s2
	s_delay_alu instid0(VALU_DEP_1) | instskip(NEXT) | instid1(VALU_DEP_1)
	v_lshlrev_b64 v[13:14], 2, v[13:14]
	v_add_co_u32 v13, vcc_lo, s10, v13
	s_delay_alu instid0(VALU_DEP_2) | instskip(SKIP_3) | instid1(SALU_CYCLE_1)
	v_add_co_ci_u32_e32 v14, vcc_lo, s11, v14, vcc_lo
	s_waitcnt lgkmcnt(6)
	global_store_b32 v[13:14], v12, off
	s_or_b32 exec_lo, exec_lo, s1
	s_mov_b32 s1, exec_lo
	v_cmpx_gt_u32_e64 s22, v33
	s_cbranch_execnz .LBB1729_138
.LBB1729_173:
	s_or_b32 exec_lo, exec_lo, s1
	s_delay_alu instid0(SALU_CYCLE_1)
	s_mov_b32 s1, exec_lo
	v_cmpx_gt_u32_e64 s22, v32
	s_cbranch_execz .LBB1729_143
.LBB1729_174:
	s_mov_b32 s2, exec_lo
                                        ; implicit-def: $vgpr11_vgpr12
	v_cmpx_ge_u32_e64 v32, v16
	s_xor_b32 s2, exec_lo, s2
	s_cbranch_execz .LBB1729_176
; %bb.175:
	s_waitcnt lgkmcnt(5)
	v_xor_b32_e32 v9, 0xfffffcff, v0
                                        ; implicit-def: $vgpr32
	s_delay_alu instid0(VALU_DEP_1) | instskip(SKIP_1) | instid1(VALU_DEP_2)
	v_ashrrev_i32_e32 v12, 31, v9
	v_add_co_u32 v11, vcc_lo, v20, v9
	v_add_co_ci_u32_e32 v12, vcc_lo, v21, v12, vcc_lo
.LBB1729_176:
	s_and_not1_saveexec_b32 s2, s2
	s_cbranch_execz .LBB1729_178
; %bb.177:
	s_waitcnt lgkmcnt(6)
	v_add_co_u32 v11, vcc_lo, v15, v32
	v_add_co_ci_u32_e32 v12, vcc_lo, 0, v17, vcc_lo
.LBB1729_178:
	s_or_b32 exec_lo, exec_lo, s2
	s_waitcnt lgkmcnt(6)
	s_delay_alu instid0(VALU_DEP_1) | instskip(NEXT) | instid1(VALU_DEP_1)
	v_lshlrev_b64 v[11:12], 2, v[11:12]
	v_add_co_u32 v11, vcc_lo, s10, v11
	s_delay_alu instid0(VALU_DEP_2) | instskip(SKIP_3) | instid1(SALU_CYCLE_1)
	v_add_co_ci_u32_e32 v12, vcc_lo, s11, v12, vcc_lo
	s_waitcnt lgkmcnt(5)
	global_store_b32 v[11:12], v10, off
	s_or_b32 exec_lo, exec_lo, s1
	s_mov_b32 s1, exec_lo
	v_cmpx_gt_u32_e64 s22, v29
	s_cbranch_execnz .LBB1729_144
.LBB1729_179:
	s_or_b32 exec_lo, exec_lo, s1
	s_delay_alu instid0(SALU_CYCLE_1)
	s_mov_b32 s1, exec_lo
	v_cmpx_gt_u32_e64 s22, v28
	s_cbranch_execz .LBB1729_149
.LBB1729_180:
	s_mov_b32 s2, exec_lo
                                        ; implicit-def: $vgpr9_vgpr10
	v_cmpx_ge_u32_e64 v28, v16
	s_xor_b32 s2, exec_lo, s2
	s_cbranch_execz .LBB1729_182
; %bb.181:
	s_waitcnt lgkmcnt(4)
	v_xor_b32_e32 v7, 0xfffffaff, v0
                                        ; implicit-def: $vgpr28
	s_delay_alu instid0(VALU_DEP_1) | instskip(SKIP_1) | instid1(VALU_DEP_2)
	v_ashrrev_i32_e32 v10, 31, v7
	v_add_co_u32 v9, vcc_lo, v20, v7
	v_add_co_ci_u32_e32 v10, vcc_lo, v21, v10, vcc_lo
.LBB1729_182:
	s_and_not1_saveexec_b32 s2, s2
	s_cbranch_execz .LBB1729_184
; %bb.183:
	s_waitcnt lgkmcnt(5)
	v_add_co_u32 v9, vcc_lo, v15, v28
	v_add_co_ci_u32_e32 v10, vcc_lo, 0, v17, vcc_lo
.LBB1729_184:
	s_or_b32 exec_lo, exec_lo, s2
	s_waitcnt lgkmcnt(5)
	s_delay_alu instid0(VALU_DEP_1) | instskip(NEXT) | instid1(VALU_DEP_1)
	v_lshlrev_b64 v[9:10], 2, v[9:10]
	v_add_co_u32 v9, vcc_lo, s10, v9
	s_delay_alu instid0(VALU_DEP_2) | instskip(SKIP_3) | instid1(SALU_CYCLE_1)
	v_add_co_ci_u32_e32 v10, vcc_lo, s11, v10, vcc_lo
	s_waitcnt lgkmcnt(4)
	global_store_b32 v[9:10], v8, off
	s_or_b32 exec_lo, exec_lo, s1
	s_mov_b32 s1, exec_lo
	v_cmpx_gt_u32_e64 s22, v27
	s_cbranch_execnz .LBB1729_150
.LBB1729_185:
	s_or_b32 exec_lo, exec_lo, s1
	s_delay_alu instid0(SALU_CYCLE_1)
	s_mov_b32 s1, exec_lo
	v_cmpx_gt_u32_e64 s22, v26
	s_cbranch_execz .LBB1729_155
.LBB1729_186:
	s_mov_b32 s2, exec_lo
                                        ; implicit-def: $vgpr7_vgpr8
	v_cmpx_ge_u32_e64 v26, v16
	s_xor_b32 s2, exec_lo, s2
	s_cbranch_execz .LBB1729_188
; %bb.187:
	s_waitcnt lgkmcnt(3)
	v_xor_b32_e32 v5, 0xfffff8ff, v0
                                        ; implicit-def: $vgpr26
	s_delay_alu instid0(VALU_DEP_1) | instskip(SKIP_1) | instid1(VALU_DEP_2)
	v_ashrrev_i32_e32 v8, 31, v5
	v_add_co_u32 v7, vcc_lo, v20, v5
	v_add_co_ci_u32_e32 v8, vcc_lo, v21, v8, vcc_lo
.LBB1729_188:
	s_and_not1_saveexec_b32 s2, s2
	s_cbranch_execz .LBB1729_190
; %bb.189:
	s_waitcnt lgkmcnt(4)
	v_add_co_u32 v7, vcc_lo, v15, v26
	v_add_co_ci_u32_e32 v8, vcc_lo, 0, v17, vcc_lo
.LBB1729_190:
	s_or_b32 exec_lo, exec_lo, s2
	s_waitcnt lgkmcnt(4)
	s_delay_alu instid0(VALU_DEP_1) | instskip(NEXT) | instid1(VALU_DEP_1)
	v_lshlrev_b64 v[7:8], 2, v[7:8]
	v_add_co_u32 v7, vcc_lo, s10, v7
	s_delay_alu instid0(VALU_DEP_2) | instskip(SKIP_3) | instid1(SALU_CYCLE_1)
	v_add_co_ci_u32_e32 v8, vcc_lo, s11, v8, vcc_lo
	s_waitcnt lgkmcnt(3)
	global_store_b32 v[7:8], v6, off
	s_or_b32 exec_lo, exec_lo, s1
	s_mov_b32 s1, exec_lo
	v_cmpx_gt_u32_e64 s22, v25
	s_cbranch_execnz .LBB1729_156
.LBB1729_191:
	s_or_b32 exec_lo, exec_lo, s1
	s_delay_alu instid0(SALU_CYCLE_1)
	s_mov_b32 s1, exec_lo
	v_cmpx_gt_u32_e64 s22, v24
	s_cbranch_execz .LBB1729_161
.LBB1729_192:
	s_mov_b32 s2, exec_lo
                                        ; implicit-def: $vgpr5_vgpr6
	v_cmpx_ge_u32_e64 v24, v16
	s_xor_b32 s2, exec_lo, s2
	s_cbranch_execz .LBB1729_194
; %bb.193:
	s_waitcnt lgkmcnt(2)
	v_xor_b32_e32 v3, 0xfffff6ff, v0
                                        ; implicit-def: $vgpr24
	s_delay_alu instid0(VALU_DEP_1) | instskip(SKIP_1) | instid1(VALU_DEP_2)
	v_ashrrev_i32_e32 v6, 31, v3
	v_add_co_u32 v5, vcc_lo, v20, v3
	v_add_co_ci_u32_e32 v6, vcc_lo, v21, v6, vcc_lo
.LBB1729_194:
	s_and_not1_saveexec_b32 s2, s2
	s_cbranch_execz .LBB1729_196
; %bb.195:
	s_waitcnt lgkmcnt(3)
	v_add_co_u32 v5, vcc_lo, v15, v24
	v_add_co_ci_u32_e32 v6, vcc_lo, 0, v17, vcc_lo
.LBB1729_196:
	s_or_b32 exec_lo, exec_lo, s2
	s_waitcnt lgkmcnt(3)
	s_delay_alu instid0(VALU_DEP_1) | instskip(NEXT) | instid1(VALU_DEP_1)
	v_lshlrev_b64 v[5:6], 2, v[5:6]
	v_add_co_u32 v5, vcc_lo, s10, v5
	s_delay_alu instid0(VALU_DEP_2) | instskip(SKIP_3) | instid1(SALU_CYCLE_1)
	v_add_co_ci_u32_e32 v6, vcc_lo, s11, v6, vcc_lo
	s_waitcnt lgkmcnt(2)
	global_store_b32 v[5:6], v4, off
	s_or_b32 exec_lo, exec_lo, s1
	s_mov_b32 s1, exec_lo
	v_cmpx_gt_u32_e64 s22, v23
	s_cbranch_execnz .LBB1729_162
.LBB1729_197:
	s_or_b32 exec_lo, exec_lo, s1
	s_delay_alu instid0(SALU_CYCLE_1)
	s_mov_b32 s1, exec_lo
	v_cmpx_gt_u32_e64 s22, v22
	s_cbranch_execz .LBB1729_203
.LBB1729_198:
	s_mov_b32 s2, exec_lo
                                        ; implicit-def: $vgpr3_vgpr4
	v_cmpx_ge_u32_e64 v22, v16
	s_xor_b32 s2, exec_lo, s2
	s_cbranch_execz .LBB1729_200
; %bb.199:
	s_waitcnt lgkmcnt(1)
	v_xor_b32_e32 v1, 0xfffff4ff, v0
                                        ; implicit-def: $vgpr22
	s_delay_alu instid0(VALU_DEP_1) | instskip(SKIP_1) | instid1(VALU_DEP_2)
	v_ashrrev_i32_e32 v4, 31, v1
	v_add_co_u32 v3, vcc_lo, v20, v1
	v_add_co_ci_u32_e32 v4, vcc_lo, v21, v4, vcc_lo
.LBB1729_200:
	s_and_not1_saveexec_b32 s2, s2
	s_cbranch_execz .LBB1729_202
; %bb.201:
	s_waitcnt lgkmcnt(2)
	v_add_co_u32 v3, vcc_lo, v15, v22
	v_add_co_ci_u32_e32 v4, vcc_lo, 0, v17, vcc_lo
.LBB1729_202:
	s_or_b32 exec_lo, exec_lo, s2
	s_waitcnt lgkmcnt(2)
	s_delay_alu instid0(VALU_DEP_1) | instskip(NEXT) | instid1(VALU_DEP_1)
	v_lshlrev_b64 v[3:4], 2, v[3:4]
	v_add_co_u32 v3, vcc_lo, s10, v3
	s_delay_alu instid0(VALU_DEP_2)
	v_add_co_ci_u32_e32 v4, vcc_lo, s11, v4, vcc_lo
	s_waitcnt lgkmcnt(1)
	global_store_b32 v[3:4], v2, off
.LBB1729_203:
	s_or_b32 exec_lo, exec_lo, s1
	s_delay_alu instid0(SALU_CYCLE_1)
	s_mov_b32 s1, exec_lo
                                        ; implicit-def: $vgpr13_vgpr14
	v_cmpx_gt_u32_e64 s22, v19
	s_cbranch_execz .LBB1729_209
; %bb.204:
	s_mov_b32 s2, exec_lo
                                        ; implicit-def: $vgpr13_vgpr14
	v_cmpx_ge_u32_e64 v19, v16
	s_xor_b32 s2, exec_lo, s2
	s_cbranch_execz .LBB1729_206
; %bb.205:
	s_waitcnt lgkmcnt(1)
	v_xor_b32_e32 v1, 0xfffff3ff, v0
                                        ; implicit-def: $vgpr19
	s_delay_alu instid0(VALU_DEP_1) | instskip(SKIP_1) | instid1(VALU_DEP_2)
	v_ashrrev_i32_e32 v2, 31, v1
	v_add_co_u32 v13, vcc_lo, v20, v1
	v_add_co_ci_u32_e32 v14, vcc_lo, v21, v2, vcc_lo
.LBB1729_206:
	s_and_not1_saveexec_b32 s2, s2
; %bb.207:
	v_add_co_u32 v13, vcc_lo, v15, v19
	v_add_co_ci_u32_e32 v14, vcc_lo, 0, v17, vcc_lo
; %bb.208:
	s_or_b32 exec_lo, exec_lo, s2
	s_delay_alu instid0(SALU_CYCLE_1)
	s_or_b32 s0, s0, exec_lo
.LBB1729_209:
	s_or_b32 exec_lo, exec_lo, s1
.LBB1729_210:
	s_and_saveexec_b32 s1, s0
	s_cbranch_execz .LBB1729_212
; %bb.211:
	s_waitcnt lgkmcnt(1)
	v_lshlrev_b64 v[1:2], 2, v[13:14]
	s_delay_alu instid0(VALU_DEP_1) | instskip(NEXT) | instid1(VALU_DEP_2)
	v_add_co_u32 v1, vcc_lo, s10, v1
	v_add_co_ci_u32_e32 v2, vcc_lo, s11, v2, vcc_lo
	s_waitcnt lgkmcnt(0)
	global_store_b32 v[1:2], v18, off
.LBB1729_212:
	s_or_b32 exec_lo, exec_lo, s1
	v_cmp_eq_u32_e32 vcc_lo, 0, v0
	s_and_b32 s0, vcc_lo, s14
	s_delay_alu instid0(SALU_CYCLE_1)
	s_and_saveexec_b32 s1, s0
	s_cbranch_execz .LBB1729_214
; %bb.213:
	v_add_co_u32 v0, vcc_lo, v15, v16
	s_waitcnt lgkmcnt(1)
	v_mov_b32_e32 v2, 0
	v_add_co_ci_u32_e32 v1, vcc_lo, 0, v17, vcc_lo
	global_store_b64 v2, v[0:1], s[8:9]
.LBB1729_214:
	s_nop 0
	s_sendmsg sendmsg(MSG_DEALLOC_VGPRS)
	s_endpgm
	.section	.rodata,"a",@progbits
	.p2align	6, 0x0
	.amdhsa_kernel _ZN7rocprim17ROCPRIM_400000_NS6detail17trampoline_kernelINS0_13select_configILj256ELj13ELNS0_17block_load_methodE3ELS4_3ELS4_3ELNS0_20block_scan_algorithmE0ELj4294967295EEENS1_25partition_config_selectorILNS1_17partition_subalgoE3EjNS0_10empty_typeEbEEZZNS1_14partition_implILS8_3ELb0ES6_jNS0_17counting_iteratorIjlEEPS9_SE_NS0_5tupleIJPjSE_EEENSF_IJSE_SE_EEES9_SG_JZNS1_25segmented_radix_sort_implINS0_14default_configELb1EPK6__halfPSL_PKlPlN2at6native12_GLOBAL__N_18offset_tEEE10hipError_tPvRmT1_PNSt15iterator_traitsISZ_E10value_typeET2_T3_PNS10_IS15_E10value_typeET4_jRbjT5_S1B_jjP12ihipStream_tbEUljE_EEESW_SX_SY_S15_S19_S1B_T6_T7_T9_mT8_S1D_bDpT10_ENKUlT_T0_E_clISt17integral_constantIbLb1EES1P_IbLb0EEEEDaS1L_S1M_EUlS1L_E_NS1_11comp_targetILNS1_3genE9ELNS1_11target_archE1100ELNS1_3gpuE3ELNS1_3repE0EEENS1_30default_config_static_selectorELNS0_4arch9wavefront6targetE0EEEvSZ_
		.amdhsa_group_segment_fixed_size 13324
		.amdhsa_private_segment_fixed_size 0
		.amdhsa_kernarg_size 144
		.amdhsa_user_sgpr_count 15
		.amdhsa_user_sgpr_dispatch_ptr 0
		.amdhsa_user_sgpr_queue_ptr 0
		.amdhsa_user_sgpr_kernarg_segment_ptr 1
		.amdhsa_user_sgpr_dispatch_id 0
		.amdhsa_user_sgpr_private_segment_size 0
		.amdhsa_wavefront_size32 1
		.amdhsa_uses_dynamic_stack 0
		.amdhsa_enable_private_segment 0
		.amdhsa_system_sgpr_workgroup_id_x 1
		.amdhsa_system_sgpr_workgroup_id_y 0
		.amdhsa_system_sgpr_workgroup_id_z 0
		.amdhsa_system_sgpr_workgroup_info 0
		.amdhsa_system_vgpr_workitem_id 0
		.amdhsa_next_free_vgpr 57
		.amdhsa_next_free_sgpr 28
		.amdhsa_reserve_vcc 1
		.amdhsa_float_round_mode_32 0
		.amdhsa_float_round_mode_16_64 0
		.amdhsa_float_denorm_mode_32 3
		.amdhsa_float_denorm_mode_16_64 3
		.amdhsa_dx10_clamp 1
		.amdhsa_ieee_mode 1
		.amdhsa_fp16_overflow 0
		.amdhsa_workgroup_processor_mode 1
		.amdhsa_memory_ordered 1
		.amdhsa_forward_progress 0
		.amdhsa_shared_vgpr_count 0
		.amdhsa_exception_fp_ieee_invalid_op 0
		.amdhsa_exception_fp_denorm_src 0
		.amdhsa_exception_fp_ieee_div_zero 0
		.amdhsa_exception_fp_ieee_overflow 0
		.amdhsa_exception_fp_ieee_underflow 0
		.amdhsa_exception_fp_ieee_inexact 0
		.amdhsa_exception_int_div_zero 0
	.end_amdhsa_kernel
	.section	.text._ZN7rocprim17ROCPRIM_400000_NS6detail17trampoline_kernelINS0_13select_configILj256ELj13ELNS0_17block_load_methodE3ELS4_3ELS4_3ELNS0_20block_scan_algorithmE0ELj4294967295EEENS1_25partition_config_selectorILNS1_17partition_subalgoE3EjNS0_10empty_typeEbEEZZNS1_14partition_implILS8_3ELb0ES6_jNS0_17counting_iteratorIjlEEPS9_SE_NS0_5tupleIJPjSE_EEENSF_IJSE_SE_EEES9_SG_JZNS1_25segmented_radix_sort_implINS0_14default_configELb1EPK6__halfPSL_PKlPlN2at6native12_GLOBAL__N_18offset_tEEE10hipError_tPvRmT1_PNSt15iterator_traitsISZ_E10value_typeET2_T3_PNS10_IS15_E10value_typeET4_jRbjT5_S1B_jjP12ihipStream_tbEUljE_EEESW_SX_SY_S15_S19_S1B_T6_T7_T9_mT8_S1D_bDpT10_ENKUlT_T0_E_clISt17integral_constantIbLb1EES1P_IbLb0EEEEDaS1L_S1M_EUlS1L_E_NS1_11comp_targetILNS1_3genE9ELNS1_11target_archE1100ELNS1_3gpuE3ELNS1_3repE0EEENS1_30default_config_static_selectorELNS0_4arch9wavefront6targetE0EEEvSZ_,"axG",@progbits,_ZN7rocprim17ROCPRIM_400000_NS6detail17trampoline_kernelINS0_13select_configILj256ELj13ELNS0_17block_load_methodE3ELS4_3ELS4_3ELNS0_20block_scan_algorithmE0ELj4294967295EEENS1_25partition_config_selectorILNS1_17partition_subalgoE3EjNS0_10empty_typeEbEEZZNS1_14partition_implILS8_3ELb0ES6_jNS0_17counting_iteratorIjlEEPS9_SE_NS0_5tupleIJPjSE_EEENSF_IJSE_SE_EEES9_SG_JZNS1_25segmented_radix_sort_implINS0_14default_configELb1EPK6__halfPSL_PKlPlN2at6native12_GLOBAL__N_18offset_tEEE10hipError_tPvRmT1_PNSt15iterator_traitsISZ_E10value_typeET2_T3_PNS10_IS15_E10value_typeET4_jRbjT5_S1B_jjP12ihipStream_tbEUljE_EEESW_SX_SY_S15_S19_S1B_T6_T7_T9_mT8_S1D_bDpT10_ENKUlT_T0_E_clISt17integral_constantIbLb1EES1P_IbLb0EEEEDaS1L_S1M_EUlS1L_E_NS1_11comp_targetILNS1_3genE9ELNS1_11target_archE1100ELNS1_3gpuE3ELNS1_3repE0EEENS1_30default_config_static_selectorELNS0_4arch9wavefront6targetE0EEEvSZ_,comdat
.Lfunc_end1729:
	.size	_ZN7rocprim17ROCPRIM_400000_NS6detail17trampoline_kernelINS0_13select_configILj256ELj13ELNS0_17block_load_methodE3ELS4_3ELS4_3ELNS0_20block_scan_algorithmE0ELj4294967295EEENS1_25partition_config_selectorILNS1_17partition_subalgoE3EjNS0_10empty_typeEbEEZZNS1_14partition_implILS8_3ELb0ES6_jNS0_17counting_iteratorIjlEEPS9_SE_NS0_5tupleIJPjSE_EEENSF_IJSE_SE_EEES9_SG_JZNS1_25segmented_radix_sort_implINS0_14default_configELb1EPK6__halfPSL_PKlPlN2at6native12_GLOBAL__N_18offset_tEEE10hipError_tPvRmT1_PNSt15iterator_traitsISZ_E10value_typeET2_T3_PNS10_IS15_E10value_typeET4_jRbjT5_S1B_jjP12ihipStream_tbEUljE_EEESW_SX_SY_S15_S19_S1B_T6_T7_T9_mT8_S1D_bDpT10_ENKUlT_T0_E_clISt17integral_constantIbLb1EES1P_IbLb0EEEEDaS1L_S1M_EUlS1L_E_NS1_11comp_targetILNS1_3genE9ELNS1_11target_archE1100ELNS1_3gpuE3ELNS1_3repE0EEENS1_30default_config_static_selectorELNS0_4arch9wavefront6targetE0EEEvSZ_, .Lfunc_end1729-_ZN7rocprim17ROCPRIM_400000_NS6detail17trampoline_kernelINS0_13select_configILj256ELj13ELNS0_17block_load_methodE3ELS4_3ELS4_3ELNS0_20block_scan_algorithmE0ELj4294967295EEENS1_25partition_config_selectorILNS1_17partition_subalgoE3EjNS0_10empty_typeEbEEZZNS1_14partition_implILS8_3ELb0ES6_jNS0_17counting_iteratorIjlEEPS9_SE_NS0_5tupleIJPjSE_EEENSF_IJSE_SE_EEES9_SG_JZNS1_25segmented_radix_sort_implINS0_14default_configELb1EPK6__halfPSL_PKlPlN2at6native12_GLOBAL__N_18offset_tEEE10hipError_tPvRmT1_PNSt15iterator_traitsISZ_E10value_typeET2_T3_PNS10_IS15_E10value_typeET4_jRbjT5_S1B_jjP12ihipStream_tbEUljE_EEESW_SX_SY_S15_S19_S1B_T6_T7_T9_mT8_S1D_bDpT10_ENKUlT_T0_E_clISt17integral_constantIbLb1EES1P_IbLb0EEEEDaS1L_S1M_EUlS1L_E_NS1_11comp_targetILNS1_3genE9ELNS1_11target_archE1100ELNS1_3gpuE3ELNS1_3repE0EEENS1_30default_config_static_selectorELNS0_4arch9wavefront6targetE0EEEvSZ_
                                        ; -- End function
	.section	.AMDGPU.csdata,"",@progbits
; Kernel info:
; codeLenInByte = 8964
; NumSgprs: 30
; NumVgprs: 57
; ScratchSize: 0
; MemoryBound: 0
; FloatMode: 240
; IeeeMode: 1
; LDSByteSize: 13324 bytes/workgroup (compile time only)
; SGPRBlocks: 3
; VGPRBlocks: 7
; NumSGPRsForWavesPerEU: 30
; NumVGPRsForWavesPerEU: 57
; Occupancy: 16
; WaveLimiterHint : 0
; COMPUTE_PGM_RSRC2:SCRATCH_EN: 0
; COMPUTE_PGM_RSRC2:USER_SGPR: 15
; COMPUTE_PGM_RSRC2:TRAP_HANDLER: 0
; COMPUTE_PGM_RSRC2:TGID_X_EN: 1
; COMPUTE_PGM_RSRC2:TGID_Y_EN: 0
; COMPUTE_PGM_RSRC2:TGID_Z_EN: 0
; COMPUTE_PGM_RSRC2:TIDIG_COMP_CNT: 0
	.section	.text._ZN7rocprim17ROCPRIM_400000_NS6detail17trampoline_kernelINS0_13select_configILj256ELj13ELNS0_17block_load_methodE3ELS4_3ELS4_3ELNS0_20block_scan_algorithmE0ELj4294967295EEENS1_25partition_config_selectorILNS1_17partition_subalgoE3EjNS0_10empty_typeEbEEZZNS1_14partition_implILS8_3ELb0ES6_jNS0_17counting_iteratorIjlEEPS9_SE_NS0_5tupleIJPjSE_EEENSF_IJSE_SE_EEES9_SG_JZNS1_25segmented_radix_sort_implINS0_14default_configELb1EPK6__halfPSL_PKlPlN2at6native12_GLOBAL__N_18offset_tEEE10hipError_tPvRmT1_PNSt15iterator_traitsISZ_E10value_typeET2_T3_PNS10_IS15_E10value_typeET4_jRbjT5_S1B_jjP12ihipStream_tbEUljE_EEESW_SX_SY_S15_S19_S1B_T6_T7_T9_mT8_S1D_bDpT10_ENKUlT_T0_E_clISt17integral_constantIbLb1EES1P_IbLb0EEEEDaS1L_S1M_EUlS1L_E_NS1_11comp_targetILNS1_3genE8ELNS1_11target_archE1030ELNS1_3gpuE2ELNS1_3repE0EEENS1_30default_config_static_selectorELNS0_4arch9wavefront6targetE0EEEvSZ_,"axG",@progbits,_ZN7rocprim17ROCPRIM_400000_NS6detail17trampoline_kernelINS0_13select_configILj256ELj13ELNS0_17block_load_methodE3ELS4_3ELS4_3ELNS0_20block_scan_algorithmE0ELj4294967295EEENS1_25partition_config_selectorILNS1_17partition_subalgoE3EjNS0_10empty_typeEbEEZZNS1_14partition_implILS8_3ELb0ES6_jNS0_17counting_iteratorIjlEEPS9_SE_NS0_5tupleIJPjSE_EEENSF_IJSE_SE_EEES9_SG_JZNS1_25segmented_radix_sort_implINS0_14default_configELb1EPK6__halfPSL_PKlPlN2at6native12_GLOBAL__N_18offset_tEEE10hipError_tPvRmT1_PNSt15iterator_traitsISZ_E10value_typeET2_T3_PNS10_IS15_E10value_typeET4_jRbjT5_S1B_jjP12ihipStream_tbEUljE_EEESW_SX_SY_S15_S19_S1B_T6_T7_T9_mT8_S1D_bDpT10_ENKUlT_T0_E_clISt17integral_constantIbLb1EES1P_IbLb0EEEEDaS1L_S1M_EUlS1L_E_NS1_11comp_targetILNS1_3genE8ELNS1_11target_archE1030ELNS1_3gpuE2ELNS1_3repE0EEENS1_30default_config_static_selectorELNS0_4arch9wavefront6targetE0EEEvSZ_,comdat
	.globl	_ZN7rocprim17ROCPRIM_400000_NS6detail17trampoline_kernelINS0_13select_configILj256ELj13ELNS0_17block_load_methodE3ELS4_3ELS4_3ELNS0_20block_scan_algorithmE0ELj4294967295EEENS1_25partition_config_selectorILNS1_17partition_subalgoE3EjNS0_10empty_typeEbEEZZNS1_14partition_implILS8_3ELb0ES6_jNS0_17counting_iteratorIjlEEPS9_SE_NS0_5tupleIJPjSE_EEENSF_IJSE_SE_EEES9_SG_JZNS1_25segmented_radix_sort_implINS0_14default_configELb1EPK6__halfPSL_PKlPlN2at6native12_GLOBAL__N_18offset_tEEE10hipError_tPvRmT1_PNSt15iterator_traitsISZ_E10value_typeET2_T3_PNS10_IS15_E10value_typeET4_jRbjT5_S1B_jjP12ihipStream_tbEUljE_EEESW_SX_SY_S15_S19_S1B_T6_T7_T9_mT8_S1D_bDpT10_ENKUlT_T0_E_clISt17integral_constantIbLb1EES1P_IbLb0EEEEDaS1L_S1M_EUlS1L_E_NS1_11comp_targetILNS1_3genE8ELNS1_11target_archE1030ELNS1_3gpuE2ELNS1_3repE0EEENS1_30default_config_static_selectorELNS0_4arch9wavefront6targetE0EEEvSZ_ ; -- Begin function _ZN7rocprim17ROCPRIM_400000_NS6detail17trampoline_kernelINS0_13select_configILj256ELj13ELNS0_17block_load_methodE3ELS4_3ELS4_3ELNS0_20block_scan_algorithmE0ELj4294967295EEENS1_25partition_config_selectorILNS1_17partition_subalgoE3EjNS0_10empty_typeEbEEZZNS1_14partition_implILS8_3ELb0ES6_jNS0_17counting_iteratorIjlEEPS9_SE_NS0_5tupleIJPjSE_EEENSF_IJSE_SE_EEES9_SG_JZNS1_25segmented_radix_sort_implINS0_14default_configELb1EPK6__halfPSL_PKlPlN2at6native12_GLOBAL__N_18offset_tEEE10hipError_tPvRmT1_PNSt15iterator_traitsISZ_E10value_typeET2_T3_PNS10_IS15_E10value_typeET4_jRbjT5_S1B_jjP12ihipStream_tbEUljE_EEESW_SX_SY_S15_S19_S1B_T6_T7_T9_mT8_S1D_bDpT10_ENKUlT_T0_E_clISt17integral_constantIbLb1EES1P_IbLb0EEEEDaS1L_S1M_EUlS1L_E_NS1_11comp_targetILNS1_3genE8ELNS1_11target_archE1030ELNS1_3gpuE2ELNS1_3repE0EEENS1_30default_config_static_selectorELNS0_4arch9wavefront6targetE0EEEvSZ_
	.p2align	8
	.type	_ZN7rocprim17ROCPRIM_400000_NS6detail17trampoline_kernelINS0_13select_configILj256ELj13ELNS0_17block_load_methodE3ELS4_3ELS4_3ELNS0_20block_scan_algorithmE0ELj4294967295EEENS1_25partition_config_selectorILNS1_17partition_subalgoE3EjNS0_10empty_typeEbEEZZNS1_14partition_implILS8_3ELb0ES6_jNS0_17counting_iteratorIjlEEPS9_SE_NS0_5tupleIJPjSE_EEENSF_IJSE_SE_EEES9_SG_JZNS1_25segmented_radix_sort_implINS0_14default_configELb1EPK6__halfPSL_PKlPlN2at6native12_GLOBAL__N_18offset_tEEE10hipError_tPvRmT1_PNSt15iterator_traitsISZ_E10value_typeET2_T3_PNS10_IS15_E10value_typeET4_jRbjT5_S1B_jjP12ihipStream_tbEUljE_EEESW_SX_SY_S15_S19_S1B_T6_T7_T9_mT8_S1D_bDpT10_ENKUlT_T0_E_clISt17integral_constantIbLb1EES1P_IbLb0EEEEDaS1L_S1M_EUlS1L_E_NS1_11comp_targetILNS1_3genE8ELNS1_11target_archE1030ELNS1_3gpuE2ELNS1_3repE0EEENS1_30default_config_static_selectorELNS0_4arch9wavefront6targetE0EEEvSZ_,@function
_ZN7rocprim17ROCPRIM_400000_NS6detail17trampoline_kernelINS0_13select_configILj256ELj13ELNS0_17block_load_methodE3ELS4_3ELS4_3ELNS0_20block_scan_algorithmE0ELj4294967295EEENS1_25partition_config_selectorILNS1_17partition_subalgoE3EjNS0_10empty_typeEbEEZZNS1_14partition_implILS8_3ELb0ES6_jNS0_17counting_iteratorIjlEEPS9_SE_NS0_5tupleIJPjSE_EEENSF_IJSE_SE_EEES9_SG_JZNS1_25segmented_radix_sort_implINS0_14default_configELb1EPK6__halfPSL_PKlPlN2at6native12_GLOBAL__N_18offset_tEEE10hipError_tPvRmT1_PNSt15iterator_traitsISZ_E10value_typeET2_T3_PNS10_IS15_E10value_typeET4_jRbjT5_S1B_jjP12ihipStream_tbEUljE_EEESW_SX_SY_S15_S19_S1B_T6_T7_T9_mT8_S1D_bDpT10_ENKUlT_T0_E_clISt17integral_constantIbLb1EES1P_IbLb0EEEEDaS1L_S1M_EUlS1L_E_NS1_11comp_targetILNS1_3genE8ELNS1_11target_archE1030ELNS1_3gpuE2ELNS1_3repE0EEENS1_30default_config_static_selectorELNS0_4arch9wavefront6targetE0EEEvSZ_: ; @_ZN7rocprim17ROCPRIM_400000_NS6detail17trampoline_kernelINS0_13select_configILj256ELj13ELNS0_17block_load_methodE3ELS4_3ELS4_3ELNS0_20block_scan_algorithmE0ELj4294967295EEENS1_25partition_config_selectorILNS1_17partition_subalgoE3EjNS0_10empty_typeEbEEZZNS1_14partition_implILS8_3ELb0ES6_jNS0_17counting_iteratorIjlEEPS9_SE_NS0_5tupleIJPjSE_EEENSF_IJSE_SE_EEES9_SG_JZNS1_25segmented_radix_sort_implINS0_14default_configELb1EPK6__halfPSL_PKlPlN2at6native12_GLOBAL__N_18offset_tEEE10hipError_tPvRmT1_PNSt15iterator_traitsISZ_E10value_typeET2_T3_PNS10_IS15_E10value_typeET4_jRbjT5_S1B_jjP12ihipStream_tbEUljE_EEESW_SX_SY_S15_S19_S1B_T6_T7_T9_mT8_S1D_bDpT10_ENKUlT_T0_E_clISt17integral_constantIbLb1EES1P_IbLb0EEEEDaS1L_S1M_EUlS1L_E_NS1_11comp_targetILNS1_3genE8ELNS1_11target_archE1030ELNS1_3gpuE2ELNS1_3repE0EEENS1_30default_config_static_selectorELNS0_4arch9wavefront6targetE0EEEvSZ_
; %bb.0:
	.section	.rodata,"a",@progbits
	.p2align	6, 0x0
	.amdhsa_kernel _ZN7rocprim17ROCPRIM_400000_NS6detail17trampoline_kernelINS0_13select_configILj256ELj13ELNS0_17block_load_methodE3ELS4_3ELS4_3ELNS0_20block_scan_algorithmE0ELj4294967295EEENS1_25partition_config_selectorILNS1_17partition_subalgoE3EjNS0_10empty_typeEbEEZZNS1_14partition_implILS8_3ELb0ES6_jNS0_17counting_iteratorIjlEEPS9_SE_NS0_5tupleIJPjSE_EEENSF_IJSE_SE_EEES9_SG_JZNS1_25segmented_radix_sort_implINS0_14default_configELb1EPK6__halfPSL_PKlPlN2at6native12_GLOBAL__N_18offset_tEEE10hipError_tPvRmT1_PNSt15iterator_traitsISZ_E10value_typeET2_T3_PNS10_IS15_E10value_typeET4_jRbjT5_S1B_jjP12ihipStream_tbEUljE_EEESW_SX_SY_S15_S19_S1B_T6_T7_T9_mT8_S1D_bDpT10_ENKUlT_T0_E_clISt17integral_constantIbLb1EES1P_IbLb0EEEEDaS1L_S1M_EUlS1L_E_NS1_11comp_targetILNS1_3genE8ELNS1_11target_archE1030ELNS1_3gpuE2ELNS1_3repE0EEENS1_30default_config_static_selectorELNS0_4arch9wavefront6targetE0EEEvSZ_
		.amdhsa_group_segment_fixed_size 0
		.amdhsa_private_segment_fixed_size 0
		.amdhsa_kernarg_size 144
		.amdhsa_user_sgpr_count 15
		.amdhsa_user_sgpr_dispatch_ptr 0
		.amdhsa_user_sgpr_queue_ptr 0
		.amdhsa_user_sgpr_kernarg_segment_ptr 1
		.amdhsa_user_sgpr_dispatch_id 0
		.amdhsa_user_sgpr_private_segment_size 0
		.amdhsa_wavefront_size32 1
		.amdhsa_uses_dynamic_stack 0
		.amdhsa_enable_private_segment 0
		.amdhsa_system_sgpr_workgroup_id_x 1
		.amdhsa_system_sgpr_workgroup_id_y 0
		.amdhsa_system_sgpr_workgroup_id_z 0
		.amdhsa_system_sgpr_workgroup_info 0
		.amdhsa_system_vgpr_workitem_id 0
		.amdhsa_next_free_vgpr 1
		.amdhsa_next_free_sgpr 1
		.amdhsa_reserve_vcc 0
		.amdhsa_float_round_mode_32 0
		.amdhsa_float_round_mode_16_64 0
		.amdhsa_float_denorm_mode_32 3
		.amdhsa_float_denorm_mode_16_64 3
		.amdhsa_dx10_clamp 1
		.amdhsa_ieee_mode 1
		.amdhsa_fp16_overflow 0
		.amdhsa_workgroup_processor_mode 1
		.amdhsa_memory_ordered 1
		.amdhsa_forward_progress 0
		.amdhsa_shared_vgpr_count 0
		.amdhsa_exception_fp_ieee_invalid_op 0
		.amdhsa_exception_fp_denorm_src 0
		.amdhsa_exception_fp_ieee_div_zero 0
		.amdhsa_exception_fp_ieee_overflow 0
		.amdhsa_exception_fp_ieee_underflow 0
		.amdhsa_exception_fp_ieee_inexact 0
		.amdhsa_exception_int_div_zero 0
	.end_amdhsa_kernel
	.section	.text._ZN7rocprim17ROCPRIM_400000_NS6detail17trampoline_kernelINS0_13select_configILj256ELj13ELNS0_17block_load_methodE3ELS4_3ELS4_3ELNS0_20block_scan_algorithmE0ELj4294967295EEENS1_25partition_config_selectorILNS1_17partition_subalgoE3EjNS0_10empty_typeEbEEZZNS1_14partition_implILS8_3ELb0ES6_jNS0_17counting_iteratorIjlEEPS9_SE_NS0_5tupleIJPjSE_EEENSF_IJSE_SE_EEES9_SG_JZNS1_25segmented_radix_sort_implINS0_14default_configELb1EPK6__halfPSL_PKlPlN2at6native12_GLOBAL__N_18offset_tEEE10hipError_tPvRmT1_PNSt15iterator_traitsISZ_E10value_typeET2_T3_PNS10_IS15_E10value_typeET4_jRbjT5_S1B_jjP12ihipStream_tbEUljE_EEESW_SX_SY_S15_S19_S1B_T6_T7_T9_mT8_S1D_bDpT10_ENKUlT_T0_E_clISt17integral_constantIbLb1EES1P_IbLb0EEEEDaS1L_S1M_EUlS1L_E_NS1_11comp_targetILNS1_3genE8ELNS1_11target_archE1030ELNS1_3gpuE2ELNS1_3repE0EEENS1_30default_config_static_selectorELNS0_4arch9wavefront6targetE0EEEvSZ_,"axG",@progbits,_ZN7rocprim17ROCPRIM_400000_NS6detail17trampoline_kernelINS0_13select_configILj256ELj13ELNS0_17block_load_methodE3ELS4_3ELS4_3ELNS0_20block_scan_algorithmE0ELj4294967295EEENS1_25partition_config_selectorILNS1_17partition_subalgoE3EjNS0_10empty_typeEbEEZZNS1_14partition_implILS8_3ELb0ES6_jNS0_17counting_iteratorIjlEEPS9_SE_NS0_5tupleIJPjSE_EEENSF_IJSE_SE_EEES9_SG_JZNS1_25segmented_radix_sort_implINS0_14default_configELb1EPK6__halfPSL_PKlPlN2at6native12_GLOBAL__N_18offset_tEEE10hipError_tPvRmT1_PNSt15iterator_traitsISZ_E10value_typeET2_T3_PNS10_IS15_E10value_typeET4_jRbjT5_S1B_jjP12ihipStream_tbEUljE_EEESW_SX_SY_S15_S19_S1B_T6_T7_T9_mT8_S1D_bDpT10_ENKUlT_T0_E_clISt17integral_constantIbLb1EES1P_IbLb0EEEEDaS1L_S1M_EUlS1L_E_NS1_11comp_targetILNS1_3genE8ELNS1_11target_archE1030ELNS1_3gpuE2ELNS1_3repE0EEENS1_30default_config_static_selectorELNS0_4arch9wavefront6targetE0EEEvSZ_,comdat
.Lfunc_end1730:
	.size	_ZN7rocprim17ROCPRIM_400000_NS6detail17trampoline_kernelINS0_13select_configILj256ELj13ELNS0_17block_load_methodE3ELS4_3ELS4_3ELNS0_20block_scan_algorithmE0ELj4294967295EEENS1_25partition_config_selectorILNS1_17partition_subalgoE3EjNS0_10empty_typeEbEEZZNS1_14partition_implILS8_3ELb0ES6_jNS0_17counting_iteratorIjlEEPS9_SE_NS0_5tupleIJPjSE_EEENSF_IJSE_SE_EEES9_SG_JZNS1_25segmented_radix_sort_implINS0_14default_configELb1EPK6__halfPSL_PKlPlN2at6native12_GLOBAL__N_18offset_tEEE10hipError_tPvRmT1_PNSt15iterator_traitsISZ_E10value_typeET2_T3_PNS10_IS15_E10value_typeET4_jRbjT5_S1B_jjP12ihipStream_tbEUljE_EEESW_SX_SY_S15_S19_S1B_T6_T7_T9_mT8_S1D_bDpT10_ENKUlT_T0_E_clISt17integral_constantIbLb1EES1P_IbLb0EEEEDaS1L_S1M_EUlS1L_E_NS1_11comp_targetILNS1_3genE8ELNS1_11target_archE1030ELNS1_3gpuE2ELNS1_3repE0EEENS1_30default_config_static_selectorELNS0_4arch9wavefront6targetE0EEEvSZ_, .Lfunc_end1730-_ZN7rocprim17ROCPRIM_400000_NS6detail17trampoline_kernelINS0_13select_configILj256ELj13ELNS0_17block_load_methodE3ELS4_3ELS4_3ELNS0_20block_scan_algorithmE0ELj4294967295EEENS1_25partition_config_selectorILNS1_17partition_subalgoE3EjNS0_10empty_typeEbEEZZNS1_14partition_implILS8_3ELb0ES6_jNS0_17counting_iteratorIjlEEPS9_SE_NS0_5tupleIJPjSE_EEENSF_IJSE_SE_EEES9_SG_JZNS1_25segmented_radix_sort_implINS0_14default_configELb1EPK6__halfPSL_PKlPlN2at6native12_GLOBAL__N_18offset_tEEE10hipError_tPvRmT1_PNSt15iterator_traitsISZ_E10value_typeET2_T3_PNS10_IS15_E10value_typeET4_jRbjT5_S1B_jjP12ihipStream_tbEUljE_EEESW_SX_SY_S15_S19_S1B_T6_T7_T9_mT8_S1D_bDpT10_ENKUlT_T0_E_clISt17integral_constantIbLb1EES1P_IbLb0EEEEDaS1L_S1M_EUlS1L_E_NS1_11comp_targetILNS1_3genE8ELNS1_11target_archE1030ELNS1_3gpuE2ELNS1_3repE0EEENS1_30default_config_static_selectorELNS0_4arch9wavefront6targetE0EEEvSZ_
                                        ; -- End function
	.section	.AMDGPU.csdata,"",@progbits
; Kernel info:
; codeLenInByte = 0
; NumSgprs: 0
; NumVgprs: 0
; ScratchSize: 0
; MemoryBound: 0
; FloatMode: 240
; IeeeMode: 1
; LDSByteSize: 0 bytes/workgroup (compile time only)
; SGPRBlocks: 0
; VGPRBlocks: 0
; NumSGPRsForWavesPerEU: 1
; NumVGPRsForWavesPerEU: 1
; Occupancy: 16
; WaveLimiterHint : 0
; COMPUTE_PGM_RSRC2:SCRATCH_EN: 0
; COMPUTE_PGM_RSRC2:USER_SGPR: 15
; COMPUTE_PGM_RSRC2:TRAP_HANDLER: 0
; COMPUTE_PGM_RSRC2:TGID_X_EN: 1
; COMPUTE_PGM_RSRC2:TGID_Y_EN: 0
; COMPUTE_PGM_RSRC2:TGID_Z_EN: 0
; COMPUTE_PGM_RSRC2:TIDIG_COMP_CNT: 0
	.section	.text._ZN7rocprim17ROCPRIM_400000_NS6detail17trampoline_kernelINS0_13select_configILj256ELj13ELNS0_17block_load_methodE3ELS4_3ELS4_3ELNS0_20block_scan_algorithmE0ELj4294967295EEENS1_25partition_config_selectorILNS1_17partition_subalgoE3EjNS0_10empty_typeEbEEZZNS1_14partition_implILS8_3ELb0ES6_jNS0_17counting_iteratorIjlEEPS9_SE_NS0_5tupleIJPjSE_EEENSF_IJSE_SE_EEES9_SG_JZNS1_25segmented_radix_sort_implINS0_14default_configELb1EPK6__halfPSL_PKlPlN2at6native12_GLOBAL__N_18offset_tEEE10hipError_tPvRmT1_PNSt15iterator_traitsISZ_E10value_typeET2_T3_PNS10_IS15_E10value_typeET4_jRbjT5_S1B_jjP12ihipStream_tbEUljE_EEESW_SX_SY_S15_S19_S1B_T6_T7_T9_mT8_S1D_bDpT10_ENKUlT_T0_E_clISt17integral_constantIbLb0EES1P_IbLb1EEEEDaS1L_S1M_EUlS1L_E_NS1_11comp_targetILNS1_3genE0ELNS1_11target_archE4294967295ELNS1_3gpuE0ELNS1_3repE0EEENS1_30default_config_static_selectorELNS0_4arch9wavefront6targetE0EEEvSZ_,"axG",@progbits,_ZN7rocprim17ROCPRIM_400000_NS6detail17trampoline_kernelINS0_13select_configILj256ELj13ELNS0_17block_load_methodE3ELS4_3ELS4_3ELNS0_20block_scan_algorithmE0ELj4294967295EEENS1_25partition_config_selectorILNS1_17partition_subalgoE3EjNS0_10empty_typeEbEEZZNS1_14partition_implILS8_3ELb0ES6_jNS0_17counting_iteratorIjlEEPS9_SE_NS0_5tupleIJPjSE_EEENSF_IJSE_SE_EEES9_SG_JZNS1_25segmented_radix_sort_implINS0_14default_configELb1EPK6__halfPSL_PKlPlN2at6native12_GLOBAL__N_18offset_tEEE10hipError_tPvRmT1_PNSt15iterator_traitsISZ_E10value_typeET2_T3_PNS10_IS15_E10value_typeET4_jRbjT5_S1B_jjP12ihipStream_tbEUljE_EEESW_SX_SY_S15_S19_S1B_T6_T7_T9_mT8_S1D_bDpT10_ENKUlT_T0_E_clISt17integral_constantIbLb0EES1P_IbLb1EEEEDaS1L_S1M_EUlS1L_E_NS1_11comp_targetILNS1_3genE0ELNS1_11target_archE4294967295ELNS1_3gpuE0ELNS1_3repE0EEENS1_30default_config_static_selectorELNS0_4arch9wavefront6targetE0EEEvSZ_,comdat
	.globl	_ZN7rocprim17ROCPRIM_400000_NS6detail17trampoline_kernelINS0_13select_configILj256ELj13ELNS0_17block_load_methodE3ELS4_3ELS4_3ELNS0_20block_scan_algorithmE0ELj4294967295EEENS1_25partition_config_selectorILNS1_17partition_subalgoE3EjNS0_10empty_typeEbEEZZNS1_14partition_implILS8_3ELb0ES6_jNS0_17counting_iteratorIjlEEPS9_SE_NS0_5tupleIJPjSE_EEENSF_IJSE_SE_EEES9_SG_JZNS1_25segmented_radix_sort_implINS0_14default_configELb1EPK6__halfPSL_PKlPlN2at6native12_GLOBAL__N_18offset_tEEE10hipError_tPvRmT1_PNSt15iterator_traitsISZ_E10value_typeET2_T3_PNS10_IS15_E10value_typeET4_jRbjT5_S1B_jjP12ihipStream_tbEUljE_EEESW_SX_SY_S15_S19_S1B_T6_T7_T9_mT8_S1D_bDpT10_ENKUlT_T0_E_clISt17integral_constantIbLb0EES1P_IbLb1EEEEDaS1L_S1M_EUlS1L_E_NS1_11comp_targetILNS1_3genE0ELNS1_11target_archE4294967295ELNS1_3gpuE0ELNS1_3repE0EEENS1_30default_config_static_selectorELNS0_4arch9wavefront6targetE0EEEvSZ_ ; -- Begin function _ZN7rocprim17ROCPRIM_400000_NS6detail17trampoline_kernelINS0_13select_configILj256ELj13ELNS0_17block_load_methodE3ELS4_3ELS4_3ELNS0_20block_scan_algorithmE0ELj4294967295EEENS1_25partition_config_selectorILNS1_17partition_subalgoE3EjNS0_10empty_typeEbEEZZNS1_14partition_implILS8_3ELb0ES6_jNS0_17counting_iteratorIjlEEPS9_SE_NS0_5tupleIJPjSE_EEENSF_IJSE_SE_EEES9_SG_JZNS1_25segmented_radix_sort_implINS0_14default_configELb1EPK6__halfPSL_PKlPlN2at6native12_GLOBAL__N_18offset_tEEE10hipError_tPvRmT1_PNSt15iterator_traitsISZ_E10value_typeET2_T3_PNS10_IS15_E10value_typeET4_jRbjT5_S1B_jjP12ihipStream_tbEUljE_EEESW_SX_SY_S15_S19_S1B_T6_T7_T9_mT8_S1D_bDpT10_ENKUlT_T0_E_clISt17integral_constantIbLb0EES1P_IbLb1EEEEDaS1L_S1M_EUlS1L_E_NS1_11comp_targetILNS1_3genE0ELNS1_11target_archE4294967295ELNS1_3gpuE0ELNS1_3repE0EEENS1_30default_config_static_selectorELNS0_4arch9wavefront6targetE0EEEvSZ_
	.p2align	8
	.type	_ZN7rocprim17ROCPRIM_400000_NS6detail17trampoline_kernelINS0_13select_configILj256ELj13ELNS0_17block_load_methodE3ELS4_3ELS4_3ELNS0_20block_scan_algorithmE0ELj4294967295EEENS1_25partition_config_selectorILNS1_17partition_subalgoE3EjNS0_10empty_typeEbEEZZNS1_14partition_implILS8_3ELb0ES6_jNS0_17counting_iteratorIjlEEPS9_SE_NS0_5tupleIJPjSE_EEENSF_IJSE_SE_EEES9_SG_JZNS1_25segmented_radix_sort_implINS0_14default_configELb1EPK6__halfPSL_PKlPlN2at6native12_GLOBAL__N_18offset_tEEE10hipError_tPvRmT1_PNSt15iterator_traitsISZ_E10value_typeET2_T3_PNS10_IS15_E10value_typeET4_jRbjT5_S1B_jjP12ihipStream_tbEUljE_EEESW_SX_SY_S15_S19_S1B_T6_T7_T9_mT8_S1D_bDpT10_ENKUlT_T0_E_clISt17integral_constantIbLb0EES1P_IbLb1EEEEDaS1L_S1M_EUlS1L_E_NS1_11comp_targetILNS1_3genE0ELNS1_11target_archE4294967295ELNS1_3gpuE0ELNS1_3repE0EEENS1_30default_config_static_selectorELNS0_4arch9wavefront6targetE0EEEvSZ_,@function
_ZN7rocprim17ROCPRIM_400000_NS6detail17trampoline_kernelINS0_13select_configILj256ELj13ELNS0_17block_load_methodE3ELS4_3ELS4_3ELNS0_20block_scan_algorithmE0ELj4294967295EEENS1_25partition_config_selectorILNS1_17partition_subalgoE3EjNS0_10empty_typeEbEEZZNS1_14partition_implILS8_3ELb0ES6_jNS0_17counting_iteratorIjlEEPS9_SE_NS0_5tupleIJPjSE_EEENSF_IJSE_SE_EEES9_SG_JZNS1_25segmented_radix_sort_implINS0_14default_configELb1EPK6__halfPSL_PKlPlN2at6native12_GLOBAL__N_18offset_tEEE10hipError_tPvRmT1_PNSt15iterator_traitsISZ_E10value_typeET2_T3_PNS10_IS15_E10value_typeET4_jRbjT5_S1B_jjP12ihipStream_tbEUljE_EEESW_SX_SY_S15_S19_S1B_T6_T7_T9_mT8_S1D_bDpT10_ENKUlT_T0_E_clISt17integral_constantIbLb0EES1P_IbLb1EEEEDaS1L_S1M_EUlS1L_E_NS1_11comp_targetILNS1_3genE0ELNS1_11target_archE4294967295ELNS1_3gpuE0ELNS1_3repE0EEENS1_30default_config_static_selectorELNS0_4arch9wavefront6targetE0EEEvSZ_: ; @_ZN7rocprim17ROCPRIM_400000_NS6detail17trampoline_kernelINS0_13select_configILj256ELj13ELNS0_17block_load_methodE3ELS4_3ELS4_3ELNS0_20block_scan_algorithmE0ELj4294967295EEENS1_25partition_config_selectorILNS1_17partition_subalgoE3EjNS0_10empty_typeEbEEZZNS1_14partition_implILS8_3ELb0ES6_jNS0_17counting_iteratorIjlEEPS9_SE_NS0_5tupleIJPjSE_EEENSF_IJSE_SE_EEES9_SG_JZNS1_25segmented_radix_sort_implINS0_14default_configELb1EPK6__halfPSL_PKlPlN2at6native12_GLOBAL__N_18offset_tEEE10hipError_tPvRmT1_PNSt15iterator_traitsISZ_E10value_typeET2_T3_PNS10_IS15_E10value_typeET4_jRbjT5_S1B_jjP12ihipStream_tbEUljE_EEESW_SX_SY_S15_S19_S1B_T6_T7_T9_mT8_S1D_bDpT10_ENKUlT_T0_E_clISt17integral_constantIbLb0EES1P_IbLb1EEEEDaS1L_S1M_EUlS1L_E_NS1_11comp_targetILNS1_3genE0ELNS1_11target_archE4294967295ELNS1_3gpuE0ELNS1_3repE0EEENS1_30default_config_static_selectorELNS0_4arch9wavefront6targetE0EEEvSZ_
; %bb.0:
	.section	.rodata,"a",@progbits
	.p2align	6, 0x0
	.amdhsa_kernel _ZN7rocprim17ROCPRIM_400000_NS6detail17trampoline_kernelINS0_13select_configILj256ELj13ELNS0_17block_load_methodE3ELS4_3ELS4_3ELNS0_20block_scan_algorithmE0ELj4294967295EEENS1_25partition_config_selectorILNS1_17partition_subalgoE3EjNS0_10empty_typeEbEEZZNS1_14partition_implILS8_3ELb0ES6_jNS0_17counting_iteratorIjlEEPS9_SE_NS0_5tupleIJPjSE_EEENSF_IJSE_SE_EEES9_SG_JZNS1_25segmented_radix_sort_implINS0_14default_configELb1EPK6__halfPSL_PKlPlN2at6native12_GLOBAL__N_18offset_tEEE10hipError_tPvRmT1_PNSt15iterator_traitsISZ_E10value_typeET2_T3_PNS10_IS15_E10value_typeET4_jRbjT5_S1B_jjP12ihipStream_tbEUljE_EEESW_SX_SY_S15_S19_S1B_T6_T7_T9_mT8_S1D_bDpT10_ENKUlT_T0_E_clISt17integral_constantIbLb0EES1P_IbLb1EEEEDaS1L_S1M_EUlS1L_E_NS1_11comp_targetILNS1_3genE0ELNS1_11target_archE4294967295ELNS1_3gpuE0ELNS1_3repE0EEENS1_30default_config_static_selectorELNS0_4arch9wavefront6targetE0EEEvSZ_
		.amdhsa_group_segment_fixed_size 0
		.amdhsa_private_segment_fixed_size 0
		.amdhsa_kernarg_size 152
		.amdhsa_user_sgpr_count 15
		.amdhsa_user_sgpr_dispatch_ptr 0
		.amdhsa_user_sgpr_queue_ptr 0
		.amdhsa_user_sgpr_kernarg_segment_ptr 1
		.amdhsa_user_sgpr_dispatch_id 0
		.amdhsa_user_sgpr_private_segment_size 0
		.amdhsa_wavefront_size32 1
		.amdhsa_uses_dynamic_stack 0
		.amdhsa_enable_private_segment 0
		.amdhsa_system_sgpr_workgroup_id_x 1
		.amdhsa_system_sgpr_workgroup_id_y 0
		.amdhsa_system_sgpr_workgroup_id_z 0
		.amdhsa_system_sgpr_workgroup_info 0
		.amdhsa_system_vgpr_workitem_id 0
		.amdhsa_next_free_vgpr 1
		.amdhsa_next_free_sgpr 1
		.amdhsa_reserve_vcc 0
		.amdhsa_float_round_mode_32 0
		.amdhsa_float_round_mode_16_64 0
		.amdhsa_float_denorm_mode_32 3
		.amdhsa_float_denorm_mode_16_64 3
		.amdhsa_dx10_clamp 1
		.amdhsa_ieee_mode 1
		.amdhsa_fp16_overflow 0
		.amdhsa_workgroup_processor_mode 1
		.amdhsa_memory_ordered 1
		.amdhsa_forward_progress 0
		.amdhsa_shared_vgpr_count 0
		.amdhsa_exception_fp_ieee_invalid_op 0
		.amdhsa_exception_fp_denorm_src 0
		.amdhsa_exception_fp_ieee_div_zero 0
		.amdhsa_exception_fp_ieee_overflow 0
		.amdhsa_exception_fp_ieee_underflow 0
		.amdhsa_exception_fp_ieee_inexact 0
		.amdhsa_exception_int_div_zero 0
	.end_amdhsa_kernel
	.section	.text._ZN7rocprim17ROCPRIM_400000_NS6detail17trampoline_kernelINS0_13select_configILj256ELj13ELNS0_17block_load_methodE3ELS4_3ELS4_3ELNS0_20block_scan_algorithmE0ELj4294967295EEENS1_25partition_config_selectorILNS1_17partition_subalgoE3EjNS0_10empty_typeEbEEZZNS1_14partition_implILS8_3ELb0ES6_jNS0_17counting_iteratorIjlEEPS9_SE_NS0_5tupleIJPjSE_EEENSF_IJSE_SE_EEES9_SG_JZNS1_25segmented_radix_sort_implINS0_14default_configELb1EPK6__halfPSL_PKlPlN2at6native12_GLOBAL__N_18offset_tEEE10hipError_tPvRmT1_PNSt15iterator_traitsISZ_E10value_typeET2_T3_PNS10_IS15_E10value_typeET4_jRbjT5_S1B_jjP12ihipStream_tbEUljE_EEESW_SX_SY_S15_S19_S1B_T6_T7_T9_mT8_S1D_bDpT10_ENKUlT_T0_E_clISt17integral_constantIbLb0EES1P_IbLb1EEEEDaS1L_S1M_EUlS1L_E_NS1_11comp_targetILNS1_3genE0ELNS1_11target_archE4294967295ELNS1_3gpuE0ELNS1_3repE0EEENS1_30default_config_static_selectorELNS0_4arch9wavefront6targetE0EEEvSZ_,"axG",@progbits,_ZN7rocprim17ROCPRIM_400000_NS6detail17trampoline_kernelINS0_13select_configILj256ELj13ELNS0_17block_load_methodE3ELS4_3ELS4_3ELNS0_20block_scan_algorithmE0ELj4294967295EEENS1_25partition_config_selectorILNS1_17partition_subalgoE3EjNS0_10empty_typeEbEEZZNS1_14partition_implILS8_3ELb0ES6_jNS0_17counting_iteratorIjlEEPS9_SE_NS0_5tupleIJPjSE_EEENSF_IJSE_SE_EEES9_SG_JZNS1_25segmented_radix_sort_implINS0_14default_configELb1EPK6__halfPSL_PKlPlN2at6native12_GLOBAL__N_18offset_tEEE10hipError_tPvRmT1_PNSt15iterator_traitsISZ_E10value_typeET2_T3_PNS10_IS15_E10value_typeET4_jRbjT5_S1B_jjP12ihipStream_tbEUljE_EEESW_SX_SY_S15_S19_S1B_T6_T7_T9_mT8_S1D_bDpT10_ENKUlT_T0_E_clISt17integral_constantIbLb0EES1P_IbLb1EEEEDaS1L_S1M_EUlS1L_E_NS1_11comp_targetILNS1_3genE0ELNS1_11target_archE4294967295ELNS1_3gpuE0ELNS1_3repE0EEENS1_30default_config_static_selectorELNS0_4arch9wavefront6targetE0EEEvSZ_,comdat
.Lfunc_end1731:
	.size	_ZN7rocprim17ROCPRIM_400000_NS6detail17trampoline_kernelINS0_13select_configILj256ELj13ELNS0_17block_load_methodE3ELS4_3ELS4_3ELNS0_20block_scan_algorithmE0ELj4294967295EEENS1_25partition_config_selectorILNS1_17partition_subalgoE3EjNS0_10empty_typeEbEEZZNS1_14partition_implILS8_3ELb0ES6_jNS0_17counting_iteratorIjlEEPS9_SE_NS0_5tupleIJPjSE_EEENSF_IJSE_SE_EEES9_SG_JZNS1_25segmented_radix_sort_implINS0_14default_configELb1EPK6__halfPSL_PKlPlN2at6native12_GLOBAL__N_18offset_tEEE10hipError_tPvRmT1_PNSt15iterator_traitsISZ_E10value_typeET2_T3_PNS10_IS15_E10value_typeET4_jRbjT5_S1B_jjP12ihipStream_tbEUljE_EEESW_SX_SY_S15_S19_S1B_T6_T7_T9_mT8_S1D_bDpT10_ENKUlT_T0_E_clISt17integral_constantIbLb0EES1P_IbLb1EEEEDaS1L_S1M_EUlS1L_E_NS1_11comp_targetILNS1_3genE0ELNS1_11target_archE4294967295ELNS1_3gpuE0ELNS1_3repE0EEENS1_30default_config_static_selectorELNS0_4arch9wavefront6targetE0EEEvSZ_, .Lfunc_end1731-_ZN7rocprim17ROCPRIM_400000_NS6detail17trampoline_kernelINS0_13select_configILj256ELj13ELNS0_17block_load_methodE3ELS4_3ELS4_3ELNS0_20block_scan_algorithmE0ELj4294967295EEENS1_25partition_config_selectorILNS1_17partition_subalgoE3EjNS0_10empty_typeEbEEZZNS1_14partition_implILS8_3ELb0ES6_jNS0_17counting_iteratorIjlEEPS9_SE_NS0_5tupleIJPjSE_EEENSF_IJSE_SE_EEES9_SG_JZNS1_25segmented_radix_sort_implINS0_14default_configELb1EPK6__halfPSL_PKlPlN2at6native12_GLOBAL__N_18offset_tEEE10hipError_tPvRmT1_PNSt15iterator_traitsISZ_E10value_typeET2_T3_PNS10_IS15_E10value_typeET4_jRbjT5_S1B_jjP12ihipStream_tbEUljE_EEESW_SX_SY_S15_S19_S1B_T6_T7_T9_mT8_S1D_bDpT10_ENKUlT_T0_E_clISt17integral_constantIbLb0EES1P_IbLb1EEEEDaS1L_S1M_EUlS1L_E_NS1_11comp_targetILNS1_3genE0ELNS1_11target_archE4294967295ELNS1_3gpuE0ELNS1_3repE0EEENS1_30default_config_static_selectorELNS0_4arch9wavefront6targetE0EEEvSZ_
                                        ; -- End function
	.section	.AMDGPU.csdata,"",@progbits
; Kernel info:
; codeLenInByte = 0
; NumSgprs: 0
; NumVgprs: 0
; ScratchSize: 0
; MemoryBound: 0
; FloatMode: 240
; IeeeMode: 1
; LDSByteSize: 0 bytes/workgroup (compile time only)
; SGPRBlocks: 0
; VGPRBlocks: 0
; NumSGPRsForWavesPerEU: 1
; NumVGPRsForWavesPerEU: 1
; Occupancy: 16
; WaveLimiterHint : 0
; COMPUTE_PGM_RSRC2:SCRATCH_EN: 0
; COMPUTE_PGM_RSRC2:USER_SGPR: 15
; COMPUTE_PGM_RSRC2:TRAP_HANDLER: 0
; COMPUTE_PGM_RSRC2:TGID_X_EN: 1
; COMPUTE_PGM_RSRC2:TGID_Y_EN: 0
; COMPUTE_PGM_RSRC2:TGID_Z_EN: 0
; COMPUTE_PGM_RSRC2:TIDIG_COMP_CNT: 0
	.section	.text._ZN7rocprim17ROCPRIM_400000_NS6detail17trampoline_kernelINS0_13select_configILj256ELj13ELNS0_17block_load_methodE3ELS4_3ELS4_3ELNS0_20block_scan_algorithmE0ELj4294967295EEENS1_25partition_config_selectorILNS1_17partition_subalgoE3EjNS0_10empty_typeEbEEZZNS1_14partition_implILS8_3ELb0ES6_jNS0_17counting_iteratorIjlEEPS9_SE_NS0_5tupleIJPjSE_EEENSF_IJSE_SE_EEES9_SG_JZNS1_25segmented_radix_sort_implINS0_14default_configELb1EPK6__halfPSL_PKlPlN2at6native12_GLOBAL__N_18offset_tEEE10hipError_tPvRmT1_PNSt15iterator_traitsISZ_E10value_typeET2_T3_PNS10_IS15_E10value_typeET4_jRbjT5_S1B_jjP12ihipStream_tbEUljE_EEESW_SX_SY_S15_S19_S1B_T6_T7_T9_mT8_S1D_bDpT10_ENKUlT_T0_E_clISt17integral_constantIbLb0EES1P_IbLb1EEEEDaS1L_S1M_EUlS1L_E_NS1_11comp_targetILNS1_3genE5ELNS1_11target_archE942ELNS1_3gpuE9ELNS1_3repE0EEENS1_30default_config_static_selectorELNS0_4arch9wavefront6targetE0EEEvSZ_,"axG",@progbits,_ZN7rocprim17ROCPRIM_400000_NS6detail17trampoline_kernelINS0_13select_configILj256ELj13ELNS0_17block_load_methodE3ELS4_3ELS4_3ELNS0_20block_scan_algorithmE0ELj4294967295EEENS1_25partition_config_selectorILNS1_17partition_subalgoE3EjNS0_10empty_typeEbEEZZNS1_14partition_implILS8_3ELb0ES6_jNS0_17counting_iteratorIjlEEPS9_SE_NS0_5tupleIJPjSE_EEENSF_IJSE_SE_EEES9_SG_JZNS1_25segmented_radix_sort_implINS0_14default_configELb1EPK6__halfPSL_PKlPlN2at6native12_GLOBAL__N_18offset_tEEE10hipError_tPvRmT1_PNSt15iterator_traitsISZ_E10value_typeET2_T3_PNS10_IS15_E10value_typeET4_jRbjT5_S1B_jjP12ihipStream_tbEUljE_EEESW_SX_SY_S15_S19_S1B_T6_T7_T9_mT8_S1D_bDpT10_ENKUlT_T0_E_clISt17integral_constantIbLb0EES1P_IbLb1EEEEDaS1L_S1M_EUlS1L_E_NS1_11comp_targetILNS1_3genE5ELNS1_11target_archE942ELNS1_3gpuE9ELNS1_3repE0EEENS1_30default_config_static_selectorELNS0_4arch9wavefront6targetE0EEEvSZ_,comdat
	.globl	_ZN7rocprim17ROCPRIM_400000_NS6detail17trampoline_kernelINS0_13select_configILj256ELj13ELNS0_17block_load_methodE3ELS4_3ELS4_3ELNS0_20block_scan_algorithmE0ELj4294967295EEENS1_25partition_config_selectorILNS1_17partition_subalgoE3EjNS0_10empty_typeEbEEZZNS1_14partition_implILS8_3ELb0ES6_jNS0_17counting_iteratorIjlEEPS9_SE_NS0_5tupleIJPjSE_EEENSF_IJSE_SE_EEES9_SG_JZNS1_25segmented_radix_sort_implINS0_14default_configELb1EPK6__halfPSL_PKlPlN2at6native12_GLOBAL__N_18offset_tEEE10hipError_tPvRmT1_PNSt15iterator_traitsISZ_E10value_typeET2_T3_PNS10_IS15_E10value_typeET4_jRbjT5_S1B_jjP12ihipStream_tbEUljE_EEESW_SX_SY_S15_S19_S1B_T6_T7_T9_mT8_S1D_bDpT10_ENKUlT_T0_E_clISt17integral_constantIbLb0EES1P_IbLb1EEEEDaS1L_S1M_EUlS1L_E_NS1_11comp_targetILNS1_3genE5ELNS1_11target_archE942ELNS1_3gpuE9ELNS1_3repE0EEENS1_30default_config_static_selectorELNS0_4arch9wavefront6targetE0EEEvSZ_ ; -- Begin function _ZN7rocprim17ROCPRIM_400000_NS6detail17trampoline_kernelINS0_13select_configILj256ELj13ELNS0_17block_load_methodE3ELS4_3ELS4_3ELNS0_20block_scan_algorithmE0ELj4294967295EEENS1_25partition_config_selectorILNS1_17partition_subalgoE3EjNS0_10empty_typeEbEEZZNS1_14partition_implILS8_3ELb0ES6_jNS0_17counting_iteratorIjlEEPS9_SE_NS0_5tupleIJPjSE_EEENSF_IJSE_SE_EEES9_SG_JZNS1_25segmented_radix_sort_implINS0_14default_configELb1EPK6__halfPSL_PKlPlN2at6native12_GLOBAL__N_18offset_tEEE10hipError_tPvRmT1_PNSt15iterator_traitsISZ_E10value_typeET2_T3_PNS10_IS15_E10value_typeET4_jRbjT5_S1B_jjP12ihipStream_tbEUljE_EEESW_SX_SY_S15_S19_S1B_T6_T7_T9_mT8_S1D_bDpT10_ENKUlT_T0_E_clISt17integral_constantIbLb0EES1P_IbLb1EEEEDaS1L_S1M_EUlS1L_E_NS1_11comp_targetILNS1_3genE5ELNS1_11target_archE942ELNS1_3gpuE9ELNS1_3repE0EEENS1_30default_config_static_selectorELNS0_4arch9wavefront6targetE0EEEvSZ_
	.p2align	8
	.type	_ZN7rocprim17ROCPRIM_400000_NS6detail17trampoline_kernelINS0_13select_configILj256ELj13ELNS0_17block_load_methodE3ELS4_3ELS4_3ELNS0_20block_scan_algorithmE0ELj4294967295EEENS1_25partition_config_selectorILNS1_17partition_subalgoE3EjNS0_10empty_typeEbEEZZNS1_14partition_implILS8_3ELb0ES6_jNS0_17counting_iteratorIjlEEPS9_SE_NS0_5tupleIJPjSE_EEENSF_IJSE_SE_EEES9_SG_JZNS1_25segmented_radix_sort_implINS0_14default_configELb1EPK6__halfPSL_PKlPlN2at6native12_GLOBAL__N_18offset_tEEE10hipError_tPvRmT1_PNSt15iterator_traitsISZ_E10value_typeET2_T3_PNS10_IS15_E10value_typeET4_jRbjT5_S1B_jjP12ihipStream_tbEUljE_EEESW_SX_SY_S15_S19_S1B_T6_T7_T9_mT8_S1D_bDpT10_ENKUlT_T0_E_clISt17integral_constantIbLb0EES1P_IbLb1EEEEDaS1L_S1M_EUlS1L_E_NS1_11comp_targetILNS1_3genE5ELNS1_11target_archE942ELNS1_3gpuE9ELNS1_3repE0EEENS1_30default_config_static_selectorELNS0_4arch9wavefront6targetE0EEEvSZ_,@function
_ZN7rocprim17ROCPRIM_400000_NS6detail17trampoline_kernelINS0_13select_configILj256ELj13ELNS0_17block_load_methodE3ELS4_3ELS4_3ELNS0_20block_scan_algorithmE0ELj4294967295EEENS1_25partition_config_selectorILNS1_17partition_subalgoE3EjNS0_10empty_typeEbEEZZNS1_14partition_implILS8_3ELb0ES6_jNS0_17counting_iteratorIjlEEPS9_SE_NS0_5tupleIJPjSE_EEENSF_IJSE_SE_EEES9_SG_JZNS1_25segmented_radix_sort_implINS0_14default_configELb1EPK6__halfPSL_PKlPlN2at6native12_GLOBAL__N_18offset_tEEE10hipError_tPvRmT1_PNSt15iterator_traitsISZ_E10value_typeET2_T3_PNS10_IS15_E10value_typeET4_jRbjT5_S1B_jjP12ihipStream_tbEUljE_EEESW_SX_SY_S15_S19_S1B_T6_T7_T9_mT8_S1D_bDpT10_ENKUlT_T0_E_clISt17integral_constantIbLb0EES1P_IbLb1EEEEDaS1L_S1M_EUlS1L_E_NS1_11comp_targetILNS1_3genE5ELNS1_11target_archE942ELNS1_3gpuE9ELNS1_3repE0EEENS1_30default_config_static_selectorELNS0_4arch9wavefront6targetE0EEEvSZ_: ; @_ZN7rocprim17ROCPRIM_400000_NS6detail17trampoline_kernelINS0_13select_configILj256ELj13ELNS0_17block_load_methodE3ELS4_3ELS4_3ELNS0_20block_scan_algorithmE0ELj4294967295EEENS1_25partition_config_selectorILNS1_17partition_subalgoE3EjNS0_10empty_typeEbEEZZNS1_14partition_implILS8_3ELb0ES6_jNS0_17counting_iteratorIjlEEPS9_SE_NS0_5tupleIJPjSE_EEENSF_IJSE_SE_EEES9_SG_JZNS1_25segmented_radix_sort_implINS0_14default_configELb1EPK6__halfPSL_PKlPlN2at6native12_GLOBAL__N_18offset_tEEE10hipError_tPvRmT1_PNSt15iterator_traitsISZ_E10value_typeET2_T3_PNS10_IS15_E10value_typeET4_jRbjT5_S1B_jjP12ihipStream_tbEUljE_EEESW_SX_SY_S15_S19_S1B_T6_T7_T9_mT8_S1D_bDpT10_ENKUlT_T0_E_clISt17integral_constantIbLb0EES1P_IbLb1EEEEDaS1L_S1M_EUlS1L_E_NS1_11comp_targetILNS1_3genE5ELNS1_11target_archE942ELNS1_3gpuE9ELNS1_3repE0EEENS1_30default_config_static_selectorELNS0_4arch9wavefront6targetE0EEEvSZ_
; %bb.0:
	.section	.rodata,"a",@progbits
	.p2align	6, 0x0
	.amdhsa_kernel _ZN7rocprim17ROCPRIM_400000_NS6detail17trampoline_kernelINS0_13select_configILj256ELj13ELNS0_17block_load_methodE3ELS4_3ELS4_3ELNS0_20block_scan_algorithmE0ELj4294967295EEENS1_25partition_config_selectorILNS1_17partition_subalgoE3EjNS0_10empty_typeEbEEZZNS1_14partition_implILS8_3ELb0ES6_jNS0_17counting_iteratorIjlEEPS9_SE_NS0_5tupleIJPjSE_EEENSF_IJSE_SE_EEES9_SG_JZNS1_25segmented_radix_sort_implINS0_14default_configELb1EPK6__halfPSL_PKlPlN2at6native12_GLOBAL__N_18offset_tEEE10hipError_tPvRmT1_PNSt15iterator_traitsISZ_E10value_typeET2_T3_PNS10_IS15_E10value_typeET4_jRbjT5_S1B_jjP12ihipStream_tbEUljE_EEESW_SX_SY_S15_S19_S1B_T6_T7_T9_mT8_S1D_bDpT10_ENKUlT_T0_E_clISt17integral_constantIbLb0EES1P_IbLb1EEEEDaS1L_S1M_EUlS1L_E_NS1_11comp_targetILNS1_3genE5ELNS1_11target_archE942ELNS1_3gpuE9ELNS1_3repE0EEENS1_30default_config_static_selectorELNS0_4arch9wavefront6targetE0EEEvSZ_
		.amdhsa_group_segment_fixed_size 0
		.amdhsa_private_segment_fixed_size 0
		.amdhsa_kernarg_size 152
		.amdhsa_user_sgpr_count 15
		.amdhsa_user_sgpr_dispatch_ptr 0
		.amdhsa_user_sgpr_queue_ptr 0
		.amdhsa_user_sgpr_kernarg_segment_ptr 1
		.amdhsa_user_sgpr_dispatch_id 0
		.amdhsa_user_sgpr_private_segment_size 0
		.amdhsa_wavefront_size32 1
		.amdhsa_uses_dynamic_stack 0
		.amdhsa_enable_private_segment 0
		.amdhsa_system_sgpr_workgroup_id_x 1
		.amdhsa_system_sgpr_workgroup_id_y 0
		.amdhsa_system_sgpr_workgroup_id_z 0
		.amdhsa_system_sgpr_workgroup_info 0
		.amdhsa_system_vgpr_workitem_id 0
		.amdhsa_next_free_vgpr 1
		.amdhsa_next_free_sgpr 1
		.amdhsa_reserve_vcc 0
		.amdhsa_float_round_mode_32 0
		.amdhsa_float_round_mode_16_64 0
		.amdhsa_float_denorm_mode_32 3
		.amdhsa_float_denorm_mode_16_64 3
		.amdhsa_dx10_clamp 1
		.amdhsa_ieee_mode 1
		.amdhsa_fp16_overflow 0
		.amdhsa_workgroup_processor_mode 1
		.amdhsa_memory_ordered 1
		.amdhsa_forward_progress 0
		.amdhsa_shared_vgpr_count 0
		.amdhsa_exception_fp_ieee_invalid_op 0
		.amdhsa_exception_fp_denorm_src 0
		.amdhsa_exception_fp_ieee_div_zero 0
		.amdhsa_exception_fp_ieee_overflow 0
		.amdhsa_exception_fp_ieee_underflow 0
		.amdhsa_exception_fp_ieee_inexact 0
		.amdhsa_exception_int_div_zero 0
	.end_amdhsa_kernel
	.section	.text._ZN7rocprim17ROCPRIM_400000_NS6detail17trampoline_kernelINS0_13select_configILj256ELj13ELNS0_17block_load_methodE3ELS4_3ELS4_3ELNS0_20block_scan_algorithmE0ELj4294967295EEENS1_25partition_config_selectorILNS1_17partition_subalgoE3EjNS0_10empty_typeEbEEZZNS1_14partition_implILS8_3ELb0ES6_jNS0_17counting_iteratorIjlEEPS9_SE_NS0_5tupleIJPjSE_EEENSF_IJSE_SE_EEES9_SG_JZNS1_25segmented_radix_sort_implINS0_14default_configELb1EPK6__halfPSL_PKlPlN2at6native12_GLOBAL__N_18offset_tEEE10hipError_tPvRmT1_PNSt15iterator_traitsISZ_E10value_typeET2_T3_PNS10_IS15_E10value_typeET4_jRbjT5_S1B_jjP12ihipStream_tbEUljE_EEESW_SX_SY_S15_S19_S1B_T6_T7_T9_mT8_S1D_bDpT10_ENKUlT_T0_E_clISt17integral_constantIbLb0EES1P_IbLb1EEEEDaS1L_S1M_EUlS1L_E_NS1_11comp_targetILNS1_3genE5ELNS1_11target_archE942ELNS1_3gpuE9ELNS1_3repE0EEENS1_30default_config_static_selectorELNS0_4arch9wavefront6targetE0EEEvSZ_,"axG",@progbits,_ZN7rocprim17ROCPRIM_400000_NS6detail17trampoline_kernelINS0_13select_configILj256ELj13ELNS0_17block_load_methodE3ELS4_3ELS4_3ELNS0_20block_scan_algorithmE0ELj4294967295EEENS1_25partition_config_selectorILNS1_17partition_subalgoE3EjNS0_10empty_typeEbEEZZNS1_14partition_implILS8_3ELb0ES6_jNS0_17counting_iteratorIjlEEPS9_SE_NS0_5tupleIJPjSE_EEENSF_IJSE_SE_EEES9_SG_JZNS1_25segmented_radix_sort_implINS0_14default_configELb1EPK6__halfPSL_PKlPlN2at6native12_GLOBAL__N_18offset_tEEE10hipError_tPvRmT1_PNSt15iterator_traitsISZ_E10value_typeET2_T3_PNS10_IS15_E10value_typeET4_jRbjT5_S1B_jjP12ihipStream_tbEUljE_EEESW_SX_SY_S15_S19_S1B_T6_T7_T9_mT8_S1D_bDpT10_ENKUlT_T0_E_clISt17integral_constantIbLb0EES1P_IbLb1EEEEDaS1L_S1M_EUlS1L_E_NS1_11comp_targetILNS1_3genE5ELNS1_11target_archE942ELNS1_3gpuE9ELNS1_3repE0EEENS1_30default_config_static_selectorELNS0_4arch9wavefront6targetE0EEEvSZ_,comdat
.Lfunc_end1732:
	.size	_ZN7rocprim17ROCPRIM_400000_NS6detail17trampoline_kernelINS0_13select_configILj256ELj13ELNS0_17block_load_methodE3ELS4_3ELS4_3ELNS0_20block_scan_algorithmE0ELj4294967295EEENS1_25partition_config_selectorILNS1_17partition_subalgoE3EjNS0_10empty_typeEbEEZZNS1_14partition_implILS8_3ELb0ES6_jNS0_17counting_iteratorIjlEEPS9_SE_NS0_5tupleIJPjSE_EEENSF_IJSE_SE_EEES9_SG_JZNS1_25segmented_radix_sort_implINS0_14default_configELb1EPK6__halfPSL_PKlPlN2at6native12_GLOBAL__N_18offset_tEEE10hipError_tPvRmT1_PNSt15iterator_traitsISZ_E10value_typeET2_T3_PNS10_IS15_E10value_typeET4_jRbjT5_S1B_jjP12ihipStream_tbEUljE_EEESW_SX_SY_S15_S19_S1B_T6_T7_T9_mT8_S1D_bDpT10_ENKUlT_T0_E_clISt17integral_constantIbLb0EES1P_IbLb1EEEEDaS1L_S1M_EUlS1L_E_NS1_11comp_targetILNS1_3genE5ELNS1_11target_archE942ELNS1_3gpuE9ELNS1_3repE0EEENS1_30default_config_static_selectorELNS0_4arch9wavefront6targetE0EEEvSZ_, .Lfunc_end1732-_ZN7rocprim17ROCPRIM_400000_NS6detail17trampoline_kernelINS0_13select_configILj256ELj13ELNS0_17block_load_methodE3ELS4_3ELS4_3ELNS0_20block_scan_algorithmE0ELj4294967295EEENS1_25partition_config_selectorILNS1_17partition_subalgoE3EjNS0_10empty_typeEbEEZZNS1_14partition_implILS8_3ELb0ES6_jNS0_17counting_iteratorIjlEEPS9_SE_NS0_5tupleIJPjSE_EEENSF_IJSE_SE_EEES9_SG_JZNS1_25segmented_radix_sort_implINS0_14default_configELb1EPK6__halfPSL_PKlPlN2at6native12_GLOBAL__N_18offset_tEEE10hipError_tPvRmT1_PNSt15iterator_traitsISZ_E10value_typeET2_T3_PNS10_IS15_E10value_typeET4_jRbjT5_S1B_jjP12ihipStream_tbEUljE_EEESW_SX_SY_S15_S19_S1B_T6_T7_T9_mT8_S1D_bDpT10_ENKUlT_T0_E_clISt17integral_constantIbLb0EES1P_IbLb1EEEEDaS1L_S1M_EUlS1L_E_NS1_11comp_targetILNS1_3genE5ELNS1_11target_archE942ELNS1_3gpuE9ELNS1_3repE0EEENS1_30default_config_static_selectorELNS0_4arch9wavefront6targetE0EEEvSZ_
                                        ; -- End function
	.section	.AMDGPU.csdata,"",@progbits
; Kernel info:
; codeLenInByte = 0
; NumSgprs: 0
; NumVgprs: 0
; ScratchSize: 0
; MemoryBound: 0
; FloatMode: 240
; IeeeMode: 1
; LDSByteSize: 0 bytes/workgroup (compile time only)
; SGPRBlocks: 0
; VGPRBlocks: 0
; NumSGPRsForWavesPerEU: 1
; NumVGPRsForWavesPerEU: 1
; Occupancy: 16
; WaveLimiterHint : 0
; COMPUTE_PGM_RSRC2:SCRATCH_EN: 0
; COMPUTE_PGM_RSRC2:USER_SGPR: 15
; COMPUTE_PGM_RSRC2:TRAP_HANDLER: 0
; COMPUTE_PGM_RSRC2:TGID_X_EN: 1
; COMPUTE_PGM_RSRC2:TGID_Y_EN: 0
; COMPUTE_PGM_RSRC2:TGID_Z_EN: 0
; COMPUTE_PGM_RSRC2:TIDIG_COMP_CNT: 0
	.section	.text._ZN7rocprim17ROCPRIM_400000_NS6detail17trampoline_kernelINS0_13select_configILj256ELj13ELNS0_17block_load_methodE3ELS4_3ELS4_3ELNS0_20block_scan_algorithmE0ELj4294967295EEENS1_25partition_config_selectorILNS1_17partition_subalgoE3EjNS0_10empty_typeEbEEZZNS1_14partition_implILS8_3ELb0ES6_jNS0_17counting_iteratorIjlEEPS9_SE_NS0_5tupleIJPjSE_EEENSF_IJSE_SE_EEES9_SG_JZNS1_25segmented_radix_sort_implINS0_14default_configELb1EPK6__halfPSL_PKlPlN2at6native12_GLOBAL__N_18offset_tEEE10hipError_tPvRmT1_PNSt15iterator_traitsISZ_E10value_typeET2_T3_PNS10_IS15_E10value_typeET4_jRbjT5_S1B_jjP12ihipStream_tbEUljE_EEESW_SX_SY_S15_S19_S1B_T6_T7_T9_mT8_S1D_bDpT10_ENKUlT_T0_E_clISt17integral_constantIbLb0EES1P_IbLb1EEEEDaS1L_S1M_EUlS1L_E_NS1_11comp_targetILNS1_3genE4ELNS1_11target_archE910ELNS1_3gpuE8ELNS1_3repE0EEENS1_30default_config_static_selectorELNS0_4arch9wavefront6targetE0EEEvSZ_,"axG",@progbits,_ZN7rocprim17ROCPRIM_400000_NS6detail17trampoline_kernelINS0_13select_configILj256ELj13ELNS0_17block_load_methodE3ELS4_3ELS4_3ELNS0_20block_scan_algorithmE0ELj4294967295EEENS1_25partition_config_selectorILNS1_17partition_subalgoE3EjNS0_10empty_typeEbEEZZNS1_14partition_implILS8_3ELb0ES6_jNS0_17counting_iteratorIjlEEPS9_SE_NS0_5tupleIJPjSE_EEENSF_IJSE_SE_EEES9_SG_JZNS1_25segmented_radix_sort_implINS0_14default_configELb1EPK6__halfPSL_PKlPlN2at6native12_GLOBAL__N_18offset_tEEE10hipError_tPvRmT1_PNSt15iterator_traitsISZ_E10value_typeET2_T3_PNS10_IS15_E10value_typeET4_jRbjT5_S1B_jjP12ihipStream_tbEUljE_EEESW_SX_SY_S15_S19_S1B_T6_T7_T9_mT8_S1D_bDpT10_ENKUlT_T0_E_clISt17integral_constantIbLb0EES1P_IbLb1EEEEDaS1L_S1M_EUlS1L_E_NS1_11comp_targetILNS1_3genE4ELNS1_11target_archE910ELNS1_3gpuE8ELNS1_3repE0EEENS1_30default_config_static_selectorELNS0_4arch9wavefront6targetE0EEEvSZ_,comdat
	.globl	_ZN7rocprim17ROCPRIM_400000_NS6detail17trampoline_kernelINS0_13select_configILj256ELj13ELNS0_17block_load_methodE3ELS4_3ELS4_3ELNS0_20block_scan_algorithmE0ELj4294967295EEENS1_25partition_config_selectorILNS1_17partition_subalgoE3EjNS0_10empty_typeEbEEZZNS1_14partition_implILS8_3ELb0ES6_jNS0_17counting_iteratorIjlEEPS9_SE_NS0_5tupleIJPjSE_EEENSF_IJSE_SE_EEES9_SG_JZNS1_25segmented_radix_sort_implINS0_14default_configELb1EPK6__halfPSL_PKlPlN2at6native12_GLOBAL__N_18offset_tEEE10hipError_tPvRmT1_PNSt15iterator_traitsISZ_E10value_typeET2_T3_PNS10_IS15_E10value_typeET4_jRbjT5_S1B_jjP12ihipStream_tbEUljE_EEESW_SX_SY_S15_S19_S1B_T6_T7_T9_mT8_S1D_bDpT10_ENKUlT_T0_E_clISt17integral_constantIbLb0EES1P_IbLb1EEEEDaS1L_S1M_EUlS1L_E_NS1_11comp_targetILNS1_3genE4ELNS1_11target_archE910ELNS1_3gpuE8ELNS1_3repE0EEENS1_30default_config_static_selectorELNS0_4arch9wavefront6targetE0EEEvSZ_ ; -- Begin function _ZN7rocprim17ROCPRIM_400000_NS6detail17trampoline_kernelINS0_13select_configILj256ELj13ELNS0_17block_load_methodE3ELS4_3ELS4_3ELNS0_20block_scan_algorithmE0ELj4294967295EEENS1_25partition_config_selectorILNS1_17partition_subalgoE3EjNS0_10empty_typeEbEEZZNS1_14partition_implILS8_3ELb0ES6_jNS0_17counting_iteratorIjlEEPS9_SE_NS0_5tupleIJPjSE_EEENSF_IJSE_SE_EEES9_SG_JZNS1_25segmented_radix_sort_implINS0_14default_configELb1EPK6__halfPSL_PKlPlN2at6native12_GLOBAL__N_18offset_tEEE10hipError_tPvRmT1_PNSt15iterator_traitsISZ_E10value_typeET2_T3_PNS10_IS15_E10value_typeET4_jRbjT5_S1B_jjP12ihipStream_tbEUljE_EEESW_SX_SY_S15_S19_S1B_T6_T7_T9_mT8_S1D_bDpT10_ENKUlT_T0_E_clISt17integral_constantIbLb0EES1P_IbLb1EEEEDaS1L_S1M_EUlS1L_E_NS1_11comp_targetILNS1_3genE4ELNS1_11target_archE910ELNS1_3gpuE8ELNS1_3repE0EEENS1_30default_config_static_selectorELNS0_4arch9wavefront6targetE0EEEvSZ_
	.p2align	8
	.type	_ZN7rocprim17ROCPRIM_400000_NS6detail17trampoline_kernelINS0_13select_configILj256ELj13ELNS0_17block_load_methodE3ELS4_3ELS4_3ELNS0_20block_scan_algorithmE0ELj4294967295EEENS1_25partition_config_selectorILNS1_17partition_subalgoE3EjNS0_10empty_typeEbEEZZNS1_14partition_implILS8_3ELb0ES6_jNS0_17counting_iteratorIjlEEPS9_SE_NS0_5tupleIJPjSE_EEENSF_IJSE_SE_EEES9_SG_JZNS1_25segmented_radix_sort_implINS0_14default_configELb1EPK6__halfPSL_PKlPlN2at6native12_GLOBAL__N_18offset_tEEE10hipError_tPvRmT1_PNSt15iterator_traitsISZ_E10value_typeET2_T3_PNS10_IS15_E10value_typeET4_jRbjT5_S1B_jjP12ihipStream_tbEUljE_EEESW_SX_SY_S15_S19_S1B_T6_T7_T9_mT8_S1D_bDpT10_ENKUlT_T0_E_clISt17integral_constantIbLb0EES1P_IbLb1EEEEDaS1L_S1M_EUlS1L_E_NS1_11comp_targetILNS1_3genE4ELNS1_11target_archE910ELNS1_3gpuE8ELNS1_3repE0EEENS1_30default_config_static_selectorELNS0_4arch9wavefront6targetE0EEEvSZ_,@function
_ZN7rocprim17ROCPRIM_400000_NS6detail17trampoline_kernelINS0_13select_configILj256ELj13ELNS0_17block_load_methodE3ELS4_3ELS4_3ELNS0_20block_scan_algorithmE0ELj4294967295EEENS1_25partition_config_selectorILNS1_17partition_subalgoE3EjNS0_10empty_typeEbEEZZNS1_14partition_implILS8_3ELb0ES6_jNS0_17counting_iteratorIjlEEPS9_SE_NS0_5tupleIJPjSE_EEENSF_IJSE_SE_EEES9_SG_JZNS1_25segmented_radix_sort_implINS0_14default_configELb1EPK6__halfPSL_PKlPlN2at6native12_GLOBAL__N_18offset_tEEE10hipError_tPvRmT1_PNSt15iterator_traitsISZ_E10value_typeET2_T3_PNS10_IS15_E10value_typeET4_jRbjT5_S1B_jjP12ihipStream_tbEUljE_EEESW_SX_SY_S15_S19_S1B_T6_T7_T9_mT8_S1D_bDpT10_ENKUlT_T0_E_clISt17integral_constantIbLb0EES1P_IbLb1EEEEDaS1L_S1M_EUlS1L_E_NS1_11comp_targetILNS1_3genE4ELNS1_11target_archE910ELNS1_3gpuE8ELNS1_3repE0EEENS1_30default_config_static_selectorELNS0_4arch9wavefront6targetE0EEEvSZ_: ; @_ZN7rocprim17ROCPRIM_400000_NS6detail17trampoline_kernelINS0_13select_configILj256ELj13ELNS0_17block_load_methodE3ELS4_3ELS4_3ELNS0_20block_scan_algorithmE0ELj4294967295EEENS1_25partition_config_selectorILNS1_17partition_subalgoE3EjNS0_10empty_typeEbEEZZNS1_14partition_implILS8_3ELb0ES6_jNS0_17counting_iteratorIjlEEPS9_SE_NS0_5tupleIJPjSE_EEENSF_IJSE_SE_EEES9_SG_JZNS1_25segmented_radix_sort_implINS0_14default_configELb1EPK6__halfPSL_PKlPlN2at6native12_GLOBAL__N_18offset_tEEE10hipError_tPvRmT1_PNSt15iterator_traitsISZ_E10value_typeET2_T3_PNS10_IS15_E10value_typeET4_jRbjT5_S1B_jjP12ihipStream_tbEUljE_EEESW_SX_SY_S15_S19_S1B_T6_T7_T9_mT8_S1D_bDpT10_ENKUlT_T0_E_clISt17integral_constantIbLb0EES1P_IbLb1EEEEDaS1L_S1M_EUlS1L_E_NS1_11comp_targetILNS1_3genE4ELNS1_11target_archE910ELNS1_3gpuE8ELNS1_3repE0EEENS1_30default_config_static_selectorELNS0_4arch9wavefront6targetE0EEEvSZ_
; %bb.0:
	.section	.rodata,"a",@progbits
	.p2align	6, 0x0
	.amdhsa_kernel _ZN7rocprim17ROCPRIM_400000_NS6detail17trampoline_kernelINS0_13select_configILj256ELj13ELNS0_17block_load_methodE3ELS4_3ELS4_3ELNS0_20block_scan_algorithmE0ELj4294967295EEENS1_25partition_config_selectorILNS1_17partition_subalgoE3EjNS0_10empty_typeEbEEZZNS1_14partition_implILS8_3ELb0ES6_jNS0_17counting_iteratorIjlEEPS9_SE_NS0_5tupleIJPjSE_EEENSF_IJSE_SE_EEES9_SG_JZNS1_25segmented_radix_sort_implINS0_14default_configELb1EPK6__halfPSL_PKlPlN2at6native12_GLOBAL__N_18offset_tEEE10hipError_tPvRmT1_PNSt15iterator_traitsISZ_E10value_typeET2_T3_PNS10_IS15_E10value_typeET4_jRbjT5_S1B_jjP12ihipStream_tbEUljE_EEESW_SX_SY_S15_S19_S1B_T6_T7_T9_mT8_S1D_bDpT10_ENKUlT_T0_E_clISt17integral_constantIbLb0EES1P_IbLb1EEEEDaS1L_S1M_EUlS1L_E_NS1_11comp_targetILNS1_3genE4ELNS1_11target_archE910ELNS1_3gpuE8ELNS1_3repE0EEENS1_30default_config_static_selectorELNS0_4arch9wavefront6targetE0EEEvSZ_
		.amdhsa_group_segment_fixed_size 0
		.amdhsa_private_segment_fixed_size 0
		.amdhsa_kernarg_size 152
		.amdhsa_user_sgpr_count 15
		.amdhsa_user_sgpr_dispatch_ptr 0
		.amdhsa_user_sgpr_queue_ptr 0
		.amdhsa_user_sgpr_kernarg_segment_ptr 1
		.amdhsa_user_sgpr_dispatch_id 0
		.amdhsa_user_sgpr_private_segment_size 0
		.amdhsa_wavefront_size32 1
		.amdhsa_uses_dynamic_stack 0
		.amdhsa_enable_private_segment 0
		.amdhsa_system_sgpr_workgroup_id_x 1
		.amdhsa_system_sgpr_workgroup_id_y 0
		.amdhsa_system_sgpr_workgroup_id_z 0
		.amdhsa_system_sgpr_workgroup_info 0
		.amdhsa_system_vgpr_workitem_id 0
		.amdhsa_next_free_vgpr 1
		.amdhsa_next_free_sgpr 1
		.amdhsa_reserve_vcc 0
		.amdhsa_float_round_mode_32 0
		.amdhsa_float_round_mode_16_64 0
		.amdhsa_float_denorm_mode_32 3
		.amdhsa_float_denorm_mode_16_64 3
		.amdhsa_dx10_clamp 1
		.amdhsa_ieee_mode 1
		.amdhsa_fp16_overflow 0
		.amdhsa_workgroup_processor_mode 1
		.amdhsa_memory_ordered 1
		.amdhsa_forward_progress 0
		.amdhsa_shared_vgpr_count 0
		.amdhsa_exception_fp_ieee_invalid_op 0
		.amdhsa_exception_fp_denorm_src 0
		.amdhsa_exception_fp_ieee_div_zero 0
		.amdhsa_exception_fp_ieee_overflow 0
		.amdhsa_exception_fp_ieee_underflow 0
		.amdhsa_exception_fp_ieee_inexact 0
		.amdhsa_exception_int_div_zero 0
	.end_amdhsa_kernel
	.section	.text._ZN7rocprim17ROCPRIM_400000_NS6detail17trampoline_kernelINS0_13select_configILj256ELj13ELNS0_17block_load_methodE3ELS4_3ELS4_3ELNS0_20block_scan_algorithmE0ELj4294967295EEENS1_25partition_config_selectorILNS1_17partition_subalgoE3EjNS0_10empty_typeEbEEZZNS1_14partition_implILS8_3ELb0ES6_jNS0_17counting_iteratorIjlEEPS9_SE_NS0_5tupleIJPjSE_EEENSF_IJSE_SE_EEES9_SG_JZNS1_25segmented_radix_sort_implINS0_14default_configELb1EPK6__halfPSL_PKlPlN2at6native12_GLOBAL__N_18offset_tEEE10hipError_tPvRmT1_PNSt15iterator_traitsISZ_E10value_typeET2_T3_PNS10_IS15_E10value_typeET4_jRbjT5_S1B_jjP12ihipStream_tbEUljE_EEESW_SX_SY_S15_S19_S1B_T6_T7_T9_mT8_S1D_bDpT10_ENKUlT_T0_E_clISt17integral_constantIbLb0EES1P_IbLb1EEEEDaS1L_S1M_EUlS1L_E_NS1_11comp_targetILNS1_3genE4ELNS1_11target_archE910ELNS1_3gpuE8ELNS1_3repE0EEENS1_30default_config_static_selectorELNS0_4arch9wavefront6targetE0EEEvSZ_,"axG",@progbits,_ZN7rocprim17ROCPRIM_400000_NS6detail17trampoline_kernelINS0_13select_configILj256ELj13ELNS0_17block_load_methodE3ELS4_3ELS4_3ELNS0_20block_scan_algorithmE0ELj4294967295EEENS1_25partition_config_selectorILNS1_17partition_subalgoE3EjNS0_10empty_typeEbEEZZNS1_14partition_implILS8_3ELb0ES6_jNS0_17counting_iteratorIjlEEPS9_SE_NS0_5tupleIJPjSE_EEENSF_IJSE_SE_EEES9_SG_JZNS1_25segmented_radix_sort_implINS0_14default_configELb1EPK6__halfPSL_PKlPlN2at6native12_GLOBAL__N_18offset_tEEE10hipError_tPvRmT1_PNSt15iterator_traitsISZ_E10value_typeET2_T3_PNS10_IS15_E10value_typeET4_jRbjT5_S1B_jjP12ihipStream_tbEUljE_EEESW_SX_SY_S15_S19_S1B_T6_T7_T9_mT8_S1D_bDpT10_ENKUlT_T0_E_clISt17integral_constantIbLb0EES1P_IbLb1EEEEDaS1L_S1M_EUlS1L_E_NS1_11comp_targetILNS1_3genE4ELNS1_11target_archE910ELNS1_3gpuE8ELNS1_3repE0EEENS1_30default_config_static_selectorELNS0_4arch9wavefront6targetE0EEEvSZ_,comdat
.Lfunc_end1733:
	.size	_ZN7rocprim17ROCPRIM_400000_NS6detail17trampoline_kernelINS0_13select_configILj256ELj13ELNS0_17block_load_methodE3ELS4_3ELS4_3ELNS0_20block_scan_algorithmE0ELj4294967295EEENS1_25partition_config_selectorILNS1_17partition_subalgoE3EjNS0_10empty_typeEbEEZZNS1_14partition_implILS8_3ELb0ES6_jNS0_17counting_iteratorIjlEEPS9_SE_NS0_5tupleIJPjSE_EEENSF_IJSE_SE_EEES9_SG_JZNS1_25segmented_radix_sort_implINS0_14default_configELb1EPK6__halfPSL_PKlPlN2at6native12_GLOBAL__N_18offset_tEEE10hipError_tPvRmT1_PNSt15iterator_traitsISZ_E10value_typeET2_T3_PNS10_IS15_E10value_typeET4_jRbjT5_S1B_jjP12ihipStream_tbEUljE_EEESW_SX_SY_S15_S19_S1B_T6_T7_T9_mT8_S1D_bDpT10_ENKUlT_T0_E_clISt17integral_constantIbLb0EES1P_IbLb1EEEEDaS1L_S1M_EUlS1L_E_NS1_11comp_targetILNS1_3genE4ELNS1_11target_archE910ELNS1_3gpuE8ELNS1_3repE0EEENS1_30default_config_static_selectorELNS0_4arch9wavefront6targetE0EEEvSZ_, .Lfunc_end1733-_ZN7rocprim17ROCPRIM_400000_NS6detail17trampoline_kernelINS0_13select_configILj256ELj13ELNS0_17block_load_methodE3ELS4_3ELS4_3ELNS0_20block_scan_algorithmE0ELj4294967295EEENS1_25partition_config_selectorILNS1_17partition_subalgoE3EjNS0_10empty_typeEbEEZZNS1_14partition_implILS8_3ELb0ES6_jNS0_17counting_iteratorIjlEEPS9_SE_NS0_5tupleIJPjSE_EEENSF_IJSE_SE_EEES9_SG_JZNS1_25segmented_radix_sort_implINS0_14default_configELb1EPK6__halfPSL_PKlPlN2at6native12_GLOBAL__N_18offset_tEEE10hipError_tPvRmT1_PNSt15iterator_traitsISZ_E10value_typeET2_T3_PNS10_IS15_E10value_typeET4_jRbjT5_S1B_jjP12ihipStream_tbEUljE_EEESW_SX_SY_S15_S19_S1B_T6_T7_T9_mT8_S1D_bDpT10_ENKUlT_T0_E_clISt17integral_constantIbLb0EES1P_IbLb1EEEEDaS1L_S1M_EUlS1L_E_NS1_11comp_targetILNS1_3genE4ELNS1_11target_archE910ELNS1_3gpuE8ELNS1_3repE0EEENS1_30default_config_static_selectorELNS0_4arch9wavefront6targetE0EEEvSZ_
                                        ; -- End function
	.section	.AMDGPU.csdata,"",@progbits
; Kernel info:
; codeLenInByte = 0
; NumSgprs: 0
; NumVgprs: 0
; ScratchSize: 0
; MemoryBound: 0
; FloatMode: 240
; IeeeMode: 1
; LDSByteSize: 0 bytes/workgroup (compile time only)
; SGPRBlocks: 0
; VGPRBlocks: 0
; NumSGPRsForWavesPerEU: 1
; NumVGPRsForWavesPerEU: 1
; Occupancy: 16
; WaveLimiterHint : 0
; COMPUTE_PGM_RSRC2:SCRATCH_EN: 0
; COMPUTE_PGM_RSRC2:USER_SGPR: 15
; COMPUTE_PGM_RSRC2:TRAP_HANDLER: 0
; COMPUTE_PGM_RSRC2:TGID_X_EN: 1
; COMPUTE_PGM_RSRC2:TGID_Y_EN: 0
; COMPUTE_PGM_RSRC2:TGID_Z_EN: 0
; COMPUTE_PGM_RSRC2:TIDIG_COMP_CNT: 0
	.section	.text._ZN7rocprim17ROCPRIM_400000_NS6detail17trampoline_kernelINS0_13select_configILj256ELj13ELNS0_17block_load_methodE3ELS4_3ELS4_3ELNS0_20block_scan_algorithmE0ELj4294967295EEENS1_25partition_config_selectorILNS1_17partition_subalgoE3EjNS0_10empty_typeEbEEZZNS1_14partition_implILS8_3ELb0ES6_jNS0_17counting_iteratorIjlEEPS9_SE_NS0_5tupleIJPjSE_EEENSF_IJSE_SE_EEES9_SG_JZNS1_25segmented_radix_sort_implINS0_14default_configELb1EPK6__halfPSL_PKlPlN2at6native12_GLOBAL__N_18offset_tEEE10hipError_tPvRmT1_PNSt15iterator_traitsISZ_E10value_typeET2_T3_PNS10_IS15_E10value_typeET4_jRbjT5_S1B_jjP12ihipStream_tbEUljE_EEESW_SX_SY_S15_S19_S1B_T6_T7_T9_mT8_S1D_bDpT10_ENKUlT_T0_E_clISt17integral_constantIbLb0EES1P_IbLb1EEEEDaS1L_S1M_EUlS1L_E_NS1_11comp_targetILNS1_3genE3ELNS1_11target_archE908ELNS1_3gpuE7ELNS1_3repE0EEENS1_30default_config_static_selectorELNS0_4arch9wavefront6targetE0EEEvSZ_,"axG",@progbits,_ZN7rocprim17ROCPRIM_400000_NS6detail17trampoline_kernelINS0_13select_configILj256ELj13ELNS0_17block_load_methodE3ELS4_3ELS4_3ELNS0_20block_scan_algorithmE0ELj4294967295EEENS1_25partition_config_selectorILNS1_17partition_subalgoE3EjNS0_10empty_typeEbEEZZNS1_14partition_implILS8_3ELb0ES6_jNS0_17counting_iteratorIjlEEPS9_SE_NS0_5tupleIJPjSE_EEENSF_IJSE_SE_EEES9_SG_JZNS1_25segmented_radix_sort_implINS0_14default_configELb1EPK6__halfPSL_PKlPlN2at6native12_GLOBAL__N_18offset_tEEE10hipError_tPvRmT1_PNSt15iterator_traitsISZ_E10value_typeET2_T3_PNS10_IS15_E10value_typeET4_jRbjT5_S1B_jjP12ihipStream_tbEUljE_EEESW_SX_SY_S15_S19_S1B_T6_T7_T9_mT8_S1D_bDpT10_ENKUlT_T0_E_clISt17integral_constantIbLb0EES1P_IbLb1EEEEDaS1L_S1M_EUlS1L_E_NS1_11comp_targetILNS1_3genE3ELNS1_11target_archE908ELNS1_3gpuE7ELNS1_3repE0EEENS1_30default_config_static_selectorELNS0_4arch9wavefront6targetE0EEEvSZ_,comdat
	.globl	_ZN7rocprim17ROCPRIM_400000_NS6detail17trampoline_kernelINS0_13select_configILj256ELj13ELNS0_17block_load_methodE3ELS4_3ELS4_3ELNS0_20block_scan_algorithmE0ELj4294967295EEENS1_25partition_config_selectorILNS1_17partition_subalgoE3EjNS0_10empty_typeEbEEZZNS1_14partition_implILS8_3ELb0ES6_jNS0_17counting_iteratorIjlEEPS9_SE_NS0_5tupleIJPjSE_EEENSF_IJSE_SE_EEES9_SG_JZNS1_25segmented_radix_sort_implINS0_14default_configELb1EPK6__halfPSL_PKlPlN2at6native12_GLOBAL__N_18offset_tEEE10hipError_tPvRmT1_PNSt15iterator_traitsISZ_E10value_typeET2_T3_PNS10_IS15_E10value_typeET4_jRbjT5_S1B_jjP12ihipStream_tbEUljE_EEESW_SX_SY_S15_S19_S1B_T6_T7_T9_mT8_S1D_bDpT10_ENKUlT_T0_E_clISt17integral_constantIbLb0EES1P_IbLb1EEEEDaS1L_S1M_EUlS1L_E_NS1_11comp_targetILNS1_3genE3ELNS1_11target_archE908ELNS1_3gpuE7ELNS1_3repE0EEENS1_30default_config_static_selectorELNS0_4arch9wavefront6targetE0EEEvSZ_ ; -- Begin function _ZN7rocprim17ROCPRIM_400000_NS6detail17trampoline_kernelINS0_13select_configILj256ELj13ELNS0_17block_load_methodE3ELS4_3ELS4_3ELNS0_20block_scan_algorithmE0ELj4294967295EEENS1_25partition_config_selectorILNS1_17partition_subalgoE3EjNS0_10empty_typeEbEEZZNS1_14partition_implILS8_3ELb0ES6_jNS0_17counting_iteratorIjlEEPS9_SE_NS0_5tupleIJPjSE_EEENSF_IJSE_SE_EEES9_SG_JZNS1_25segmented_radix_sort_implINS0_14default_configELb1EPK6__halfPSL_PKlPlN2at6native12_GLOBAL__N_18offset_tEEE10hipError_tPvRmT1_PNSt15iterator_traitsISZ_E10value_typeET2_T3_PNS10_IS15_E10value_typeET4_jRbjT5_S1B_jjP12ihipStream_tbEUljE_EEESW_SX_SY_S15_S19_S1B_T6_T7_T9_mT8_S1D_bDpT10_ENKUlT_T0_E_clISt17integral_constantIbLb0EES1P_IbLb1EEEEDaS1L_S1M_EUlS1L_E_NS1_11comp_targetILNS1_3genE3ELNS1_11target_archE908ELNS1_3gpuE7ELNS1_3repE0EEENS1_30default_config_static_selectorELNS0_4arch9wavefront6targetE0EEEvSZ_
	.p2align	8
	.type	_ZN7rocprim17ROCPRIM_400000_NS6detail17trampoline_kernelINS0_13select_configILj256ELj13ELNS0_17block_load_methodE3ELS4_3ELS4_3ELNS0_20block_scan_algorithmE0ELj4294967295EEENS1_25partition_config_selectorILNS1_17partition_subalgoE3EjNS0_10empty_typeEbEEZZNS1_14partition_implILS8_3ELb0ES6_jNS0_17counting_iteratorIjlEEPS9_SE_NS0_5tupleIJPjSE_EEENSF_IJSE_SE_EEES9_SG_JZNS1_25segmented_radix_sort_implINS0_14default_configELb1EPK6__halfPSL_PKlPlN2at6native12_GLOBAL__N_18offset_tEEE10hipError_tPvRmT1_PNSt15iterator_traitsISZ_E10value_typeET2_T3_PNS10_IS15_E10value_typeET4_jRbjT5_S1B_jjP12ihipStream_tbEUljE_EEESW_SX_SY_S15_S19_S1B_T6_T7_T9_mT8_S1D_bDpT10_ENKUlT_T0_E_clISt17integral_constantIbLb0EES1P_IbLb1EEEEDaS1L_S1M_EUlS1L_E_NS1_11comp_targetILNS1_3genE3ELNS1_11target_archE908ELNS1_3gpuE7ELNS1_3repE0EEENS1_30default_config_static_selectorELNS0_4arch9wavefront6targetE0EEEvSZ_,@function
_ZN7rocprim17ROCPRIM_400000_NS6detail17trampoline_kernelINS0_13select_configILj256ELj13ELNS0_17block_load_methodE3ELS4_3ELS4_3ELNS0_20block_scan_algorithmE0ELj4294967295EEENS1_25partition_config_selectorILNS1_17partition_subalgoE3EjNS0_10empty_typeEbEEZZNS1_14partition_implILS8_3ELb0ES6_jNS0_17counting_iteratorIjlEEPS9_SE_NS0_5tupleIJPjSE_EEENSF_IJSE_SE_EEES9_SG_JZNS1_25segmented_radix_sort_implINS0_14default_configELb1EPK6__halfPSL_PKlPlN2at6native12_GLOBAL__N_18offset_tEEE10hipError_tPvRmT1_PNSt15iterator_traitsISZ_E10value_typeET2_T3_PNS10_IS15_E10value_typeET4_jRbjT5_S1B_jjP12ihipStream_tbEUljE_EEESW_SX_SY_S15_S19_S1B_T6_T7_T9_mT8_S1D_bDpT10_ENKUlT_T0_E_clISt17integral_constantIbLb0EES1P_IbLb1EEEEDaS1L_S1M_EUlS1L_E_NS1_11comp_targetILNS1_3genE3ELNS1_11target_archE908ELNS1_3gpuE7ELNS1_3repE0EEENS1_30default_config_static_selectorELNS0_4arch9wavefront6targetE0EEEvSZ_: ; @_ZN7rocprim17ROCPRIM_400000_NS6detail17trampoline_kernelINS0_13select_configILj256ELj13ELNS0_17block_load_methodE3ELS4_3ELS4_3ELNS0_20block_scan_algorithmE0ELj4294967295EEENS1_25partition_config_selectorILNS1_17partition_subalgoE3EjNS0_10empty_typeEbEEZZNS1_14partition_implILS8_3ELb0ES6_jNS0_17counting_iteratorIjlEEPS9_SE_NS0_5tupleIJPjSE_EEENSF_IJSE_SE_EEES9_SG_JZNS1_25segmented_radix_sort_implINS0_14default_configELb1EPK6__halfPSL_PKlPlN2at6native12_GLOBAL__N_18offset_tEEE10hipError_tPvRmT1_PNSt15iterator_traitsISZ_E10value_typeET2_T3_PNS10_IS15_E10value_typeET4_jRbjT5_S1B_jjP12ihipStream_tbEUljE_EEESW_SX_SY_S15_S19_S1B_T6_T7_T9_mT8_S1D_bDpT10_ENKUlT_T0_E_clISt17integral_constantIbLb0EES1P_IbLb1EEEEDaS1L_S1M_EUlS1L_E_NS1_11comp_targetILNS1_3genE3ELNS1_11target_archE908ELNS1_3gpuE7ELNS1_3repE0EEENS1_30default_config_static_selectorELNS0_4arch9wavefront6targetE0EEEvSZ_
; %bb.0:
	.section	.rodata,"a",@progbits
	.p2align	6, 0x0
	.amdhsa_kernel _ZN7rocprim17ROCPRIM_400000_NS6detail17trampoline_kernelINS0_13select_configILj256ELj13ELNS0_17block_load_methodE3ELS4_3ELS4_3ELNS0_20block_scan_algorithmE0ELj4294967295EEENS1_25partition_config_selectorILNS1_17partition_subalgoE3EjNS0_10empty_typeEbEEZZNS1_14partition_implILS8_3ELb0ES6_jNS0_17counting_iteratorIjlEEPS9_SE_NS0_5tupleIJPjSE_EEENSF_IJSE_SE_EEES9_SG_JZNS1_25segmented_radix_sort_implINS0_14default_configELb1EPK6__halfPSL_PKlPlN2at6native12_GLOBAL__N_18offset_tEEE10hipError_tPvRmT1_PNSt15iterator_traitsISZ_E10value_typeET2_T3_PNS10_IS15_E10value_typeET4_jRbjT5_S1B_jjP12ihipStream_tbEUljE_EEESW_SX_SY_S15_S19_S1B_T6_T7_T9_mT8_S1D_bDpT10_ENKUlT_T0_E_clISt17integral_constantIbLb0EES1P_IbLb1EEEEDaS1L_S1M_EUlS1L_E_NS1_11comp_targetILNS1_3genE3ELNS1_11target_archE908ELNS1_3gpuE7ELNS1_3repE0EEENS1_30default_config_static_selectorELNS0_4arch9wavefront6targetE0EEEvSZ_
		.amdhsa_group_segment_fixed_size 0
		.amdhsa_private_segment_fixed_size 0
		.amdhsa_kernarg_size 152
		.amdhsa_user_sgpr_count 15
		.amdhsa_user_sgpr_dispatch_ptr 0
		.amdhsa_user_sgpr_queue_ptr 0
		.amdhsa_user_sgpr_kernarg_segment_ptr 1
		.amdhsa_user_sgpr_dispatch_id 0
		.amdhsa_user_sgpr_private_segment_size 0
		.amdhsa_wavefront_size32 1
		.amdhsa_uses_dynamic_stack 0
		.amdhsa_enable_private_segment 0
		.amdhsa_system_sgpr_workgroup_id_x 1
		.amdhsa_system_sgpr_workgroup_id_y 0
		.amdhsa_system_sgpr_workgroup_id_z 0
		.amdhsa_system_sgpr_workgroup_info 0
		.amdhsa_system_vgpr_workitem_id 0
		.amdhsa_next_free_vgpr 1
		.amdhsa_next_free_sgpr 1
		.amdhsa_reserve_vcc 0
		.amdhsa_float_round_mode_32 0
		.amdhsa_float_round_mode_16_64 0
		.amdhsa_float_denorm_mode_32 3
		.amdhsa_float_denorm_mode_16_64 3
		.amdhsa_dx10_clamp 1
		.amdhsa_ieee_mode 1
		.amdhsa_fp16_overflow 0
		.amdhsa_workgroup_processor_mode 1
		.amdhsa_memory_ordered 1
		.amdhsa_forward_progress 0
		.amdhsa_shared_vgpr_count 0
		.amdhsa_exception_fp_ieee_invalid_op 0
		.amdhsa_exception_fp_denorm_src 0
		.amdhsa_exception_fp_ieee_div_zero 0
		.amdhsa_exception_fp_ieee_overflow 0
		.amdhsa_exception_fp_ieee_underflow 0
		.amdhsa_exception_fp_ieee_inexact 0
		.amdhsa_exception_int_div_zero 0
	.end_amdhsa_kernel
	.section	.text._ZN7rocprim17ROCPRIM_400000_NS6detail17trampoline_kernelINS0_13select_configILj256ELj13ELNS0_17block_load_methodE3ELS4_3ELS4_3ELNS0_20block_scan_algorithmE0ELj4294967295EEENS1_25partition_config_selectorILNS1_17partition_subalgoE3EjNS0_10empty_typeEbEEZZNS1_14partition_implILS8_3ELb0ES6_jNS0_17counting_iteratorIjlEEPS9_SE_NS0_5tupleIJPjSE_EEENSF_IJSE_SE_EEES9_SG_JZNS1_25segmented_radix_sort_implINS0_14default_configELb1EPK6__halfPSL_PKlPlN2at6native12_GLOBAL__N_18offset_tEEE10hipError_tPvRmT1_PNSt15iterator_traitsISZ_E10value_typeET2_T3_PNS10_IS15_E10value_typeET4_jRbjT5_S1B_jjP12ihipStream_tbEUljE_EEESW_SX_SY_S15_S19_S1B_T6_T7_T9_mT8_S1D_bDpT10_ENKUlT_T0_E_clISt17integral_constantIbLb0EES1P_IbLb1EEEEDaS1L_S1M_EUlS1L_E_NS1_11comp_targetILNS1_3genE3ELNS1_11target_archE908ELNS1_3gpuE7ELNS1_3repE0EEENS1_30default_config_static_selectorELNS0_4arch9wavefront6targetE0EEEvSZ_,"axG",@progbits,_ZN7rocprim17ROCPRIM_400000_NS6detail17trampoline_kernelINS0_13select_configILj256ELj13ELNS0_17block_load_methodE3ELS4_3ELS4_3ELNS0_20block_scan_algorithmE0ELj4294967295EEENS1_25partition_config_selectorILNS1_17partition_subalgoE3EjNS0_10empty_typeEbEEZZNS1_14partition_implILS8_3ELb0ES6_jNS0_17counting_iteratorIjlEEPS9_SE_NS0_5tupleIJPjSE_EEENSF_IJSE_SE_EEES9_SG_JZNS1_25segmented_radix_sort_implINS0_14default_configELb1EPK6__halfPSL_PKlPlN2at6native12_GLOBAL__N_18offset_tEEE10hipError_tPvRmT1_PNSt15iterator_traitsISZ_E10value_typeET2_T3_PNS10_IS15_E10value_typeET4_jRbjT5_S1B_jjP12ihipStream_tbEUljE_EEESW_SX_SY_S15_S19_S1B_T6_T7_T9_mT8_S1D_bDpT10_ENKUlT_T0_E_clISt17integral_constantIbLb0EES1P_IbLb1EEEEDaS1L_S1M_EUlS1L_E_NS1_11comp_targetILNS1_3genE3ELNS1_11target_archE908ELNS1_3gpuE7ELNS1_3repE0EEENS1_30default_config_static_selectorELNS0_4arch9wavefront6targetE0EEEvSZ_,comdat
.Lfunc_end1734:
	.size	_ZN7rocprim17ROCPRIM_400000_NS6detail17trampoline_kernelINS0_13select_configILj256ELj13ELNS0_17block_load_methodE3ELS4_3ELS4_3ELNS0_20block_scan_algorithmE0ELj4294967295EEENS1_25partition_config_selectorILNS1_17partition_subalgoE3EjNS0_10empty_typeEbEEZZNS1_14partition_implILS8_3ELb0ES6_jNS0_17counting_iteratorIjlEEPS9_SE_NS0_5tupleIJPjSE_EEENSF_IJSE_SE_EEES9_SG_JZNS1_25segmented_radix_sort_implINS0_14default_configELb1EPK6__halfPSL_PKlPlN2at6native12_GLOBAL__N_18offset_tEEE10hipError_tPvRmT1_PNSt15iterator_traitsISZ_E10value_typeET2_T3_PNS10_IS15_E10value_typeET4_jRbjT5_S1B_jjP12ihipStream_tbEUljE_EEESW_SX_SY_S15_S19_S1B_T6_T7_T9_mT8_S1D_bDpT10_ENKUlT_T0_E_clISt17integral_constantIbLb0EES1P_IbLb1EEEEDaS1L_S1M_EUlS1L_E_NS1_11comp_targetILNS1_3genE3ELNS1_11target_archE908ELNS1_3gpuE7ELNS1_3repE0EEENS1_30default_config_static_selectorELNS0_4arch9wavefront6targetE0EEEvSZ_, .Lfunc_end1734-_ZN7rocprim17ROCPRIM_400000_NS6detail17trampoline_kernelINS0_13select_configILj256ELj13ELNS0_17block_load_methodE3ELS4_3ELS4_3ELNS0_20block_scan_algorithmE0ELj4294967295EEENS1_25partition_config_selectorILNS1_17partition_subalgoE3EjNS0_10empty_typeEbEEZZNS1_14partition_implILS8_3ELb0ES6_jNS0_17counting_iteratorIjlEEPS9_SE_NS0_5tupleIJPjSE_EEENSF_IJSE_SE_EEES9_SG_JZNS1_25segmented_radix_sort_implINS0_14default_configELb1EPK6__halfPSL_PKlPlN2at6native12_GLOBAL__N_18offset_tEEE10hipError_tPvRmT1_PNSt15iterator_traitsISZ_E10value_typeET2_T3_PNS10_IS15_E10value_typeET4_jRbjT5_S1B_jjP12ihipStream_tbEUljE_EEESW_SX_SY_S15_S19_S1B_T6_T7_T9_mT8_S1D_bDpT10_ENKUlT_T0_E_clISt17integral_constantIbLb0EES1P_IbLb1EEEEDaS1L_S1M_EUlS1L_E_NS1_11comp_targetILNS1_3genE3ELNS1_11target_archE908ELNS1_3gpuE7ELNS1_3repE0EEENS1_30default_config_static_selectorELNS0_4arch9wavefront6targetE0EEEvSZ_
                                        ; -- End function
	.section	.AMDGPU.csdata,"",@progbits
; Kernel info:
; codeLenInByte = 0
; NumSgprs: 0
; NumVgprs: 0
; ScratchSize: 0
; MemoryBound: 0
; FloatMode: 240
; IeeeMode: 1
; LDSByteSize: 0 bytes/workgroup (compile time only)
; SGPRBlocks: 0
; VGPRBlocks: 0
; NumSGPRsForWavesPerEU: 1
; NumVGPRsForWavesPerEU: 1
; Occupancy: 16
; WaveLimiterHint : 0
; COMPUTE_PGM_RSRC2:SCRATCH_EN: 0
; COMPUTE_PGM_RSRC2:USER_SGPR: 15
; COMPUTE_PGM_RSRC2:TRAP_HANDLER: 0
; COMPUTE_PGM_RSRC2:TGID_X_EN: 1
; COMPUTE_PGM_RSRC2:TGID_Y_EN: 0
; COMPUTE_PGM_RSRC2:TGID_Z_EN: 0
; COMPUTE_PGM_RSRC2:TIDIG_COMP_CNT: 0
	.section	.text._ZN7rocprim17ROCPRIM_400000_NS6detail17trampoline_kernelINS0_13select_configILj256ELj13ELNS0_17block_load_methodE3ELS4_3ELS4_3ELNS0_20block_scan_algorithmE0ELj4294967295EEENS1_25partition_config_selectorILNS1_17partition_subalgoE3EjNS0_10empty_typeEbEEZZNS1_14partition_implILS8_3ELb0ES6_jNS0_17counting_iteratorIjlEEPS9_SE_NS0_5tupleIJPjSE_EEENSF_IJSE_SE_EEES9_SG_JZNS1_25segmented_radix_sort_implINS0_14default_configELb1EPK6__halfPSL_PKlPlN2at6native12_GLOBAL__N_18offset_tEEE10hipError_tPvRmT1_PNSt15iterator_traitsISZ_E10value_typeET2_T3_PNS10_IS15_E10value_typeET4_jRbjT5_S1B_jjP12ihipStream_tbEUljE_EEESW_SX_SY_S15_S19_S1B_T6_T7_T9_mT8_S1D_bDpT10_ENKUlT_T0_E_clISt17integral_constantIbLb0EES1P_IbLb1EEEEDaS1L_S1M_EUlS1L_E_NS1_11comp_targetILNS1_3genE2ELNS1_11target_archE906ELNS1_3gpuE6ELNS1_3repE0EEENS1_30default_config_static_selectorELNS0_4arch9wavefront6targetE0EEEvSZ_,"axG",@progbits,_ZN7rocprim17ROCPRIM_400000_NS6detail17trampoline_kernelINS0_13select_configILj256ELj13ELNS0_17block_load_methodE3ELS4_3ELS4_3ELNS0_20block_scan_algorithmE0ELj4294967295EEENS1_25partition_config_selectorILNS1_17partition_subalgoE3EjNS0_10empty_typeEbEEZZNS1_14partition_implILS8_3ELb0ES6_jNS0_17counting_iteratorIjlEEPS9_SE_NS0_5tupleIJPjSE_EEENSF_IJSE_SE_EEES9_SG_JZNS1_25segmented_radix_sort_implINS0_14default_configELb1EPK6__halfPSL_PKlPlN2at6native12_GLOBAL__N_18offset_tEEE10hipError_tPvRmT1_PNSt15iterator_traitsISZ_E10value_typeET2_T3_PNS10_IS15_E10value_typeET4_jRbjT5_S1B_jjP12ihipStream_tbEUljE_EEESW_SX_SY_S15_S19_S1B_T6_T7_T9_mT8_S1D_bDpT10_ENKUlT_T0_E_clISt17integral_constantIbLb0EES1P_IbLb1EEEEDaS1L_S1M_EUlS1L_E_NS1_11comp_targetILNS1_3genE2ELNS1_11target_archE906ELNS1_3gpuE6ELNS1_3repE0EEENS1_30default_config_static_selectorELNS0_4arch9wavefront6targetE0EEEvSZ_,comdat
	.globl	_ZN7rocprim17ROCPRIM_400000_NS6detail17trampoline_kernelINS0_13select_configILj256ELj13ELNS0_17block_load_methodE3ELS4_3ELS4_3ELNS0_20block_scan_algorithmE0ELj4294967295EEENS1_25partition_config_selectorILNS1_17partition_subalgoE3EjNS0_10empty_typeEbEEZZNS1_14partition_implILS8_3ELb0ES6_jNS0_17counting_iteratorIjlEEPS9_SE_NS0_5tupleIJPjSE_EEENSF_IJSE_SE_EEES9_SG_JZNS1_25segmented_radix_sort_implINS0_14default_configELb1EPK6__halfPSL_PKlPlN2at6native12_GLOBAL__N_18offset_tEEE10hipError_tPvRmT1_PNSt15iterator_traitsISZ_E10value_typeET2_T3_PNS10_IS15_E10value_typeET4_jRbjT5_S1B_jjP12ihipStream_tbEUljE_EEESW_SX_SY_S15_S19_S1B_T6_T7_T9_mT8_S1D_bDpT10_ENKUlT_T0_E_clISt17integral_constantIbLb0EES1P_IbLb1EEEEDaS1L_S1M_EUlS1L_E_NS1_11comp_targetILNS1_3genE2ELNS1_11target_archE906ELNS1_3gpuE6ELNS1_3repE0EEENS1_30default_config_static_selectorELNS0_4arch9wavefront6targetE0EEEvSZ_ ; -- Begin function _ZN7rocprim17ROCPRIM_400000_NS6detail17trampoline_kernelINS0_13select_configILj256ELj13ELNS0_17block_load_methodE3ELS4_3ELS4_3ELNS0_20block_scan_algorithmE0ELj4294967295EEENS1_25partition_config_selectorILNS1_17partition_subalgoE3EjNS0_10empty_typeEbEEZZNS1_14partition_implILS8_3ELb0ES6_jNS0_17counting_iteratorIjlEEPS9_SE_NS0_5tupleIJPjSE_EEENSF_IJSE_SE_EEES9_SG_JZNS1_25segmented_radix_sort_implINS0_14default_configELb1EPK6__halfPSL_PKlPlN2at6native12_GLOBAL__N_18offset_tEEE10hipError_tPvRmT1_PNSt15iterator_traitsISZ_E10value_typeET2_T3_PNS10_IS15_E10value_typeET4_jRbjT5_S1B_jjP12ihipStream_tbEUljE_EEESW_SX_SY_S15_S19_S1B_T6_T7_T9_mT8_S1D_bDpT10_ENKUlT_T0_E_clISt17integral_constantIbLb0EES1P_IbLb1EEEEDaS1L_S1M_EUlS1L_E_NS1_11comp_targetILNS1_3genE2ELNS1_11target_archE906ELNS1_3gpuE6ELNS1_3repE0EEENS1_30default_config_static_selectorELNS0_4arch9wavefront6targetE0EEEvSZ_
	.p2align	8
	.type	_ZN7rocprim17ROCPRIM_400000_NS6detail17trampoline_kernelINS0_13select_configILj256ELj13ELNS0_17block_load_methodE3ELS4_3ELS4_3ELNS0_20block_scan_algorithmE0ELj4294967295EEENS1_25partition_config_selectorILNS1_17partition_subalgoE3EjNS0_10empty_typeEbEEZZNS1_14partition_implILS8_3ELb0ES6_jNS0_17counting_iteratorIjlEEPS9_SE_NS0_5tupleIJPjSE_EEENSF_IJSE_SE_EEES9_SG_JZNS1_25segmented_radix_sort_implINS0_14default_configELb1EPK6__halfPSL_PKlPlN2at6native12_GLOBAL__N_18offset_tEEE10hipError_tPvRmT1_PNSt15iterator_traitsISZ_E10value_typeET2_T3_PNS10_IS15_E10value_typeET4_jRbjT5_S1B_jjP12ihipStream_tbEUljE_EEESW_SX_SY_S15_S19_S1B_T6_T7_T9_mT8_S1D_bDpT10_ENKUlT_T0_E_clISt17integral_constantIbLb0EES1P_IbLb1EEEEDaS1L_S1M_EUlS1L_E_NS1_11comp_targetILNS1_3genE2ELNS1_11target_archE906ELNS1_3gpuE6ELNS1_3repE0EEENS1_30default_config_static_selectorELNS0_4arch9wavefront6targetE0EEEvSZ_,@function
_ZN7rocprim17ROCPRIM_400000_NS6detail17trampoline_kernelINS0_13select_configILj256ELj13ELNS0_17block_load_methodE3ELS4_3ELS4_3ELNS0_20block_scan_algorithmE0ELj4294967295EEENS1_25partition_config_selectorILNS1_17partition_subalgoE3EjNS0_10empty_typeEbEEZZNS1_14partition_implILS8_3ELb0ES6_jNS0_17counting_iteratorIjlEEPS9_SE_NS0_5tupleIJPjSE_EEENSF_IJSE_SE_EEES9_SG_JZNS1_25segmented_radix_sort_implINS0_14default_configELb1EPK6__halfPSL_PKlPlN2at6native12_GLOBAL__N_18offset_tEEE10hipError_tPvRmT1_PNSt15iterator_traitsISZ_E10value_typeET2_T3_PNS10_IS15_E10value_typeET4_jRbjT5_S1B_jjP12ihipStream_tbEUljE_EEESW_SX_SY_S15_S19_S1B_T6_T7_T9_mT8_S1D_bDpT10_ENKUlT_T0_E_clISt17integral_constantIbLb0EES1P_IbLb1EEEEDaS1L_S1M_EUlS1L_E_NS1_11comp_targetILNS1_3genE2ELNS1_11target_archE906ELNS1_3gpuE6ELNS1_3repE0EEENS1_30default_config_static_selectorELNS0_4arch9wavefront6targetE0EEEvSZ_: ; @_ZN7rocprim17ROCPRIM_400000_NS6detail17trampoline_kernelINS0_13select_configILj256ELj13ELNS0_17block_load_methodE3ELS4_3ELS4_3ELNS0_20block_scan_algorithmE0ELj4294967295EEENS1_25partition_config_selectorILNS1_17partition_subalgoE3EjNS0_10empty_typeEbEEZZNS1_14partition_implILS8_3ELb0ES6_jNS0_17counting_iteratorIjlEEPS9_SE_NS0_5tupleIJPjSE_EEENSF_IJSE_SE_EEES9_SG_JZNS1_25segmented_radix_sort_implINS0_14default_configELb1EPK6__halfPSL_PKlPlN2at6native12_GLOBAL__N_18offset_tEEE10hipError_tPvRmT1_PNSt15iterator_traitsISZ_E10value_typeET2_T3_PNS10_IS15_E10value_typeET4_jRbjT5_S1B_jjP12ihipStream_tbEUljE_EEESW_SX_SY_S15_S19_S1B_T6_T7_T9_mT8_S1D_bDpT10_ENKUlT_T0_E_clISt17integral_constantIbLb0EES1P_IbLb1EEEEDaS1L_S1M_EUlS1L_E_NS1_11comp_targetILNS1_3genE2ELNS1_11target_archE906ELNS1_3gpuE6ELNS1_3repE0EEENS1_30default_config_static_selectorELNS0_4arch9wavefront6targetE0EEEvSZ_
; %bb.0:
	.section	.rodata,"a",@progbits
	.p2align	6, 0x0
	.amdhsa_kernel _ZN7rocprim17ROCPRIM_400000_NS6detail17trampoline_kernelINS0_13select_configILj256ELj13ELNS0_17block_load_methodE3ELS4_3ELS4_3ELNS0_20block_scan_algorithmE0ELj4294967295EEENS1_25partition_config_selectorILNS1_17partition_subalgoE3EjNS0_10empty_typeEbEEZZNS1_14partition_implILS8_3ELb0ES6_jNS0_17counting_iteratorIjlEEPS9_SE_NS0_5tupleIJPjSE_EEENSF_IJSE_SE_EEES9_SG_JZNS1_25segmented_radix_sort_implINS0_14default_configELb1EPK6__halfPSL_PKlPlN2at6native12_GLOBAL__N_18offset_tEEE10hipError_tPvRmT1_PNSt15iterator_traitsISZ_E10value_typeET2_T3_PNS10_IS15_E10value_typeET4_jRbjT5_S1B_jjP12ihipStream_tbEUljE_EEESW_SX_SY_S15_S19_S1B_T6_T7_T9_mT8_S1D_bDpT10_ENKUlT_T0_E_clISt17integral_constantIbLb0EES1P_IbLb1EEEEDaS1L_S1M_EUlS1L_E_NS1_11comp_targetILNS1_3genE2ELNS1_11target_archE906ELNS1_3gpuE6ELNS1_3repE0EEENS1_30default_config_static_selectorELNS0_4arch9wavefront6targetE0EEEvSZ_
		.amdhsa_group_segment_fixed_size 0
		.amdhsa_private_segment_fixed_size 0
		.amdhsa_kernarg_size 152
		.amdhsa_user_sgpr_count 15
		.amdhsa_user_sgpr_dispatch_ptr 0
		.amdhsa_user_sgpr_queue_ptr 0
		.amdhsa_user_sgpr_kernarg_segment_ptr 1
		.amdhsa_user_sgpr_dispatch_id 0
		.amdhsa_user_sgpr_private_segment_size 0
		.amdhsa_wavefront_size32 1
		.amdhsa_uses_dynamic_stack 0
		.amdhsa_enable_private_segment 0
		.amdhsa_system_sgpr_workgroup_id_x 1
		.amdhsa_system_sgpr_workgroup_id_y 0
		.amdhsa_system_sgpr_workgroup_id_z 0
		.amdhsa_system_sgpr_workgroup_info 0
		.amdhsa_system_vgpr_workitem_id 0
		.amdhsa_next_free_vgpr 1
		.amdhsa_next_free_sgpr 1
		.amdhsa_reserve_vcc 0
		.amdhsa_float_round_mode_32 0
		.amdhsa_float_round_mode_16_64 0
		.amdhsa_float_denorm_mode_32 3
		.amdhsa_float_denorm_mode_16_64 3
		.amdhsa_dx10_clamp 1
		.amdhsa_ieee_mode 1
		.amdhsa_fp16_overflow 0
		.amdhsa_workgroup_processor_mode 1
		.amdhsa_memory_ordered 1
		.amdhsa_forward_progress 0
		.amdhsa_shared_vgpr_count 0
		.amdhsa_exception_fp_ieee_invalid_op 0
		.amdhsa_exception_fp_denorm_src 0
		.amdhsa_exception_fp_ieee_div_zero 0
		.amdhsa_exception_fp_ieee_overflow 0
		.amdhsa_exception_fp_ieee_underflow 0
		.amdhsa_exception_fp_ieee_inexact 0
		.amdhsa_exception_int_div_zero 0
	.end_amdhsa_kernel
	.section	.text._ZN7rocprim17ROCPRIM_400000_NS6detail17trampoline_kernelINS0_13select_configILj256ELj13ELNS0_17block_load_methodE3ELS4_3ELS4_3ELNS0_20block_scan_algorithmE0ELj4294967295EEENS1_25partition_config_selectorILNS1_17partition_subalgoE3EjNS0_10empty_typeEbEEZZNS1_14partition_implILS8_3ELb0ES6_jNS0_17counting_iteratorIjlEEPS9_SE_NS0_5tupleIJPjSE_EEENSF_IJSE_SE_EEES9_SG_JZNS1_25segmented_radix_sort_implINS0_14default_configELb1EPK6__halfPSL_PKlPlN2at6native12_GLOBAL__N_18offset_tEEE10hipError_tPvRmT1_PNSt15iterator_traitsISZ_E10value_typeET2_T3_PNS10_IS15_E10value_typeET4_jRbjT5_S1B_jjP12ihipStream_tbEUljE_EEESW_SX_SY_S15_S19_S1B_T6_T7_T9_mT8_S1D_bDpT10_ENKUlT_T0_E_clISt17integral_constantIbLb0EES1P_IbLb1EEEEDaS1L_S1M_EUlS1L_E_NS1_11comp_targetILNS1_3genE2ELNS1_11target_archE906ELNS1_3gpuE6ELNS1_3repE0EEENS1_30default_config_static_selectorELNS0_4arch9wavefront6targetE0EEEvSZ_,"axG",@progbits,_ZN7rocprim17ROCPRIM_400000_NS6detail17trampoline_kernelINS0_13select_configILj256ELj13ELNS0_17block_load_methodE3ELS4_3ELS4_3ELNS0_20block_scan_algorithmE0ELj4294967295EEENS1_25partition_config_selectorILNS1_17partition_subalgoE3EjNS0_10empty_typeEbEEZZNS1_14partition_implILS8_3ELb0ES6_jNS0_17counting_iteratorIjlEEPS9_SE_NS0_5tupleIJPjSE_EEENSF_IJSE_SE_EEES9_SG_JZNS1_25segmented_radix_sort_implINS0_14default_configELb1EPK6__halfPSL_PKlPlN2at6native12_GLOBAL__N_18offset_tEEE10hipError_tPvRmT1_PNSt15iterator_traitsISZ_E10value_typeET2_T3_PNS10_IS15_E10value_typeET4_jRbjT5_S1B_jjP12ihipStream_tbEUljE_EEESW_SX_SY_S15_S19_S1B_T6_T7_T9_mT8_S1D_bDpT10_ENKUlT_T0_E_clISt17integral_constantIbLb0EES1P_IbLb1EEEEDaS1L_S1M_EUlS1L_E_NS1_11comp_targetILNS1_3genE2ELNS1_11target_archE906ELNS1_3gpuE6ELNS1_3repE0EEENS1_30default_config_static_selectorELNS0_4arch9wavefront6targetE0EEEvSZ_,comdat
.Lfunc_end1735:
	.size	_ZN7rocprim17ROCPRIM_400000_NS6detail17trampoline_kernelINS0_13select_configILj256ELj13ELNS0_17block_load_methodE3ELS4_3ELS4_3ELNS0_20block_scan_algorithmE0ELj4294967295EEENS1_25partition_config_selectorILNS1_17partition_subalgoE3EjNS0_10empty_typeEbEEZZNS1_14partition_implILS8_3ELb0ES6_jNS0_17counting_iteratorIjlEEPS9_SE_NS0_5tupleIJPjSE_EEENSF_IJSE_SE_EEES9_SG_JZNS1_25segmented_radix_sort_implINS0_14default_configELb1EPK6__halfPSL_PKlPlN2at6native12_GLOBAL__N_18offset_tEEE10hipError_tPvRmT1_PNSt15iterator_traitsISZ_E10value_typeET2_T3_PNS10_IS15_E10value_typeET4_jRbjT5_S1B_jjP12ihipStream_tbEUljE_EEESW_SX_SY_S15_S19_S1B_T6_T7_T9_mT8_S1D_bDpT10_ENKUlT_T0_E_clISt17integral_constantIbLb0EES1P_IbLb1EEEEDaS1L_S1M_EUlS1L_E_NS1_11comp_targetILNS1_3genE2ELNS1_11target_archE906ELNS1_3gpuE6ELNS1_3repE0EEENS1_30default_config_static_selectorELNS0_4arch9wavefront6targetE0EEEvSZ_, .Lfunc_end1735-_ZN7rocprim17ROCPRIM_400000_NS6detail17trampoline_kernelINS0_13select_configILj256ELj13ELNS0_17block_load_methodE3ELS4_3ELS4_3ELNS0_20block_scan_algorithmE0ELj4294967295EEENS1_25partition_config_selectorILNS1_17partition_subalgoE3EjNS0_10empty_typeEbEEZZNS1_14partition_implILS8_3ELb0ES6_jNS0_17counting_iteratorIjlEEPS9_SE_NS0_5tupleIJPjSE_EEENSF_IJSE_SE_EEES9_SG_JZNS1_25segmented_radix_sort_implINS0_14default_configELb1EPK6__halfPSL_PKlPlN2at6native12_GLOBAL__N_18offset_tEEE10hipError_tPvRmT1_PNSt15iterator_traitsISZ_E10value_typeET2_T3_PNS10_IS15_E10value_typeET4_jRbjT5_S1B_jjP12ihipStream_tbEUljE_EEESW_SX_SY_S15_S19_S1B_T6_T7_T9_mT8_S1D_bDpT10_ENKUlT_T0_E_clISt17integral_constantIbLb0EES1P_IbLb1EEEEDaS1L_S1M_EUlS1L_E_NS1_11comp_targetILNS1_3genE2ELNS1_11target_archE906ELNS1_3gpuE6ELNS1_3repE0EEENS1_30default_config_static_selectorELNS0_4arch9wavefront6targetE0EEEvSZ_
                                        ; -- End function
	.section	.AMDGPU.csdata,"",@progbits
; Kernel info:
; codeLenInByte = 0
; NumSgprs: 0
; NumVgprs: 0
; ScratchSize: 0
; MemoryBound: 0
; FloatMode: 240
; IeeeMode: 1
; LDSByteSize: 0 bytes/workgroup (compile time only)
; SGPRBlocks: 0
; VGPRBlocks: 0
; NumSGPRsForWavesPerEU: 1
; NumVGPRsForWavesPerEU: 1
; Occupancy: 16
; WaveLimiterHint : 0
; COMPUTE_PGM_RSRC2:SCRATCH_EN: 0
; COMPUTE_PGM_RSRC2:USER_SGPR: 15
; COMPUTE_PGM_RSRC2:TRAP_HANDLER: 0
; COMPUTE_PGM_RSRC2:TGID_X_EN: 1
; COMPUTE_PGM_RSRC2:TGID_Y_EN: 0
; COMPUTE_PGM_RSRC2:TGID_Z_EN: 0
; COMPUTE_PGM_RSRC2:TIDIG_COMP_CNT: 0
	.section	.text._ZN7rocprim17ROCPRIM_400000_NS6detail17trampoline_kernelINS0_13select_configILj256ELj13ELNS0_17block_load_methodE3ELS4_3ELS4_3ELNS0_20block_scan_algorithmE0ELj4294967295EEENS1_25partition_config_selectorILNS1_17partition_subalgoE3EjNS0_10empty_typeEbEEZZNS1_14partition_implILS8_3ELb0ES6_jNS0_17counting_iteratorIjlEEPS9_SE_NS0_5tupleIJPjSE_EEENSF_IJSE_SE_EEES9_SG_JZNS1_25segmented_radix_sort_implINS0_14default_configELb1EPK6__halfPSL_PKlPlN2at6native12_GLOBAL__N_18offset_tEEE10hipError_tPvRmT1_PNSt15iterator_traitsISZ_E10value_typeET2_T3_PNS10_IS15_E10value_typeET4_jRbjT5_S1B_jjP12ihipStream_tbEUljE_EEESW_SX_SY_S15_S19_S1B_T6_T7_T9_mT8_S1D_bDpT10_ENKUlT_T0_E_clISt17integral_constantIbLb0EES1P_IbLb1EEEEDaS1L_S1M_EUlS1L_E_NS1_11comp_targetILNS1_3genE10ELNS1_11target_archE1200ELNS1_3gpuE4ELNS1_3repE0EEENS1_30default_config_static_selectorELNS0_4arch9wavefront6targetE0EEEvSZ_,"axG",@progbits,_ZN7rocprim17ROCPRIM_400000_NS6detail17trampoline_kernelINS0_13select_configILj256ELj13ELNS0_17block_load_methodE3ELS4_3ELS4_3ELNS0_20block_scan_algorithmE0ELj4294967295EEENS1_25partition_config_selectorILNS1_17partition_subalgoE3EjNS0_10empty_typeEbEEZZNS1_14partition_implILS8_3ELb0ES6_jNS0_17counting_iteratorIjlEEPS9_SE_NS0_5tupleIJPjSE_EEENSF_IJSE_SE_EEES9_SG_JZNS1_25segmented_radix_sort_implINS0_14default_configELb1EPK6__halfPSL_PKlPlN2at6native12_GLOBAL__N_18offset_tEEE10hipError_tPvRmT1_PNSt15iterator_traitsISZ_E10value_typeET2_T3_PNS10_IS15_E10value_typeET4_jRbjT5_S1B_jjP12ihipStream_tbEUljE_EEESW_SX_SY_S15_S19_S1B_T6_T7_T9_mT8_S1D_bDpT10_ENKUlT_T0_E_clISt17integral_constantIbLb0EES1P_IbLb1EEEEDaS1L_S1M_EUlS1L_E_NS1_11comp_targetILNS1_3genE10ELNS1_11target_archE1200ELNS1_3gpuE4ELNS1_3repE0EEENS1_30default_config_static_selectorELNS0_4arch9wavefront6targetE0EEEvSZ_,comdat
	.globl	_ZN7rocprim17ROCPRIM_400000_NS6detail17trampoline_kernelINS0_13select_configILj256ELj13ELNS0_17block_load_methodE3ELS4_3ELS4_3ELNS0_20block_scan_algorithmE0ELj4294967295EEENS1_25partition_config_selectorILNS1_17partition_subalgoE3EjNS0_10empty_typeEbEEZZNS1_14partition_implILS8_3ELb0ES6_jNS0_17counting_iteratorIjlEEPS9_SE_NS0_5tupleIJPjSE_EEENSF_IJSE_SE_EEES9_SG_JZNS1_25segmented_radix_sort_implINS0_14default_configELb1EPK6__halfPSL_PKlPlN2at6native12_GLOBAL__N_18offset_tEEE10hipError_tPvRmT1_PNSt15iterator_traitsISZ_E10value_typeET2_T3_PNS10_IS15_E10value_typeET4_jRbjT5_S1B_jjP12ihipStream_tbEUljE_EEESW_SX_SY_S15_S19_S1B_T6_T7_T9_mT8_S1D_bDpT10_ENKUlT_T0_E_clISt17integral_constantIbLb0EES1P_IbLb1EEEEDaS1L_S1M_EUlS1L_E_NS1_11comp_targetILNS1_3genE10ELNS1_11target_archE1200ELNS1_3gpuE4ELNS1_3repE0EEENS1_30default_config_static_selectorELNS0_4arch9wavefront6targetE0EEEvSZ_ ; -- Begin function _ZN7rocprim17ROCPRIM_400000_NS6detail17trampoline_kernelINS0_13select_configILj256ELj13ELNS0_17block_load_methodE3ELS4_3ELS4_3ELNS0_20block_scan_algorithmE0ELj4294967295EEENS1_25partition_config_selectorILNS1_17partition_subalgoE3EjNS0_10empty_typeEbEEZZNS1_14partition_implILS8_3ELb0ES6_jNS0_17counting_iteratorIjlEEPS9_SE_NS0_5tupleIJPjSE_EEENSF_IJSE_SE_EEES9_SG_JZNS1_25segmented_radix_sort_implINS0_14default_configELb1EPK6__halfPSL_PKlPlN2at6native12_GLOBAL__N_18offset_tEEE10hipError_tPvRmT1_PNSt15iterator_traitsISZ_E10value_typeET2_T3_PNS10_IS15_E10value_typeET4_jRbjT5_S1B_jjP12ihipStream_tbEUljE_EEESW_SX_SY_S15_S19_S1B_T6_T7_T9_mT8_S1D_bDpT10_ENKUlT_T0_E_clISt17integral_constantIbLb0EES1P_IbLb1EEEEDaS1L_S1M_EUlS1L_E_NS1_11comp_targetILNS1_3genE10ELNS1_11target_archE1200ELNS1_3gpuE4ELNS1_3repE0EEENS1_30default_config_static_selectorELNS0_4arch9wavefront6targetE0EEEvSZ_
	.p2align	8
	.type	_ZN7rocprim17ROCPRIM_400000_NS6detail17trampoline_kernelINS0_13select_configILj256ELj13ELNS0_17block_load_methodE3ELS4_3ELS4_3ELNS0_20block_scan_algorithmE0ELj4294967295EEENS1_25partition_config_selectorILNS1_17partition_subalgoE3EjNS0_10empty_typeEbEEZZNS1_14partition_implILS8_3ELb0ES6_jNS0_17counting_iteratorIjlEEPS9_SE_NS0_5tupleIJPjSE_EEENSF_IJSE_SE_EEES9_SG_JZNS1_25segmented_radix_sort_implINS0_14default_configELb1EPK6__halfPSL_PKlPlN2at6native12_GLOBAL__N_18offset_tEEE10hipError_tPvRmT1_PNSt15iterator_traitsISZ_E10value_typeET2_T3_PNS10_IS15_E10value_typeET4_jRbjT5_S1B_jjP12ihipStream_tbEUljE_EEESW_SX_SY_S15_S19_S1B_T6_T7_T9_mT8_S1D_bDpT10_ENKUlT_T0_E_clISt17integral_constantIbLb0EES1P_IbLb1EEEEDaS1L_S1M_EUlS1L_E_NS1_11comp_targetILNS1_3genE10ELNS1_11target_archE1200ELNS1_3gpuE4ELNS1_3repE0EEENS1_30default_config_static_selectorELNS0_4arch9wavefront6targetE0EEEvSZ_,@function
_ZN7rocprim17ROCPRIM_400000_NS6detail17trampoline_kernelINS0_13select_configILj256ELj13ELNS0_17block_load_methodE3ELS4_3ELS4_3ELNS0_20block_scan_algorithmE0ELj4294967295EEENS1_25partition_config_selectorILNS1_17partition_subalgoE3EjNS0_10empty_typeEbEEZZNS1_14partition_implILS8_3ELb0ES6_jNS0_17counting_iteratorIjlEEPS9_SE_NS0_5tupleIJPjSE_EEENSF_IJSE_SE_EEES9_SG_JZNS1_25segmented_radix_sort_implINS0_14default_configELb1EPK6__halfPSL_PKlPlN2at6native12_GLOBAL__N_18offset_tEEE10hipError_tPvRmT1_PNSt15iterator_traitsISZ_E10value_typeET2_T3_PNS10_IS15_E10value_typeET4_jRbjT5_S1B_jjP12ihipStream_tbEUljE_EEESW_SX_SY_S15_S19_S1B_T6_T7_T9_mT8_S1D_bDpT10_ENKUlT_T0_E_clISt17integral_constantIbLb0EES1P_IbLb1EEEEDaS1L_S1M_EUlS1L_E_NS1_11comp_targetILNS1_3genE10ELNS1_11target_archE1200ELNS1_3gpuE4ELNS1_3repE0EEENS1_30default_config_static_selectorELNS0_4arch9wavefront6targetE0EEEvSZ_: ; @_ZN7rocprim17ROCPRIM_400000_NS6detail17trampoline_kernelINS0_13select_configILj256ELj13ELNS0_17block_load_methodE3ELS4_3ELS4_3ELNS0_20block_scan_algorithmE0ELj4294967295EEENS1_25partition_config_selectorILNS1_17partition_subalgoE3EjNS0_10empty_typeEbEEZZNS1_14partition_implILS8_3ELb0ES6_jNS0_17counting_iteratorIjlEEPS9_SE_NS0_5tupleIJPjSE_EEENSF_IJSE_SE_EEES9_SG_JZNS1_25segmented_radix_sort_implINS0_14default_configELb1EPK6__halfPSL_PKlPlN2at6native12_GLOBAL__N_18offset_tEEE10hipError_tPvRmT1_PNSt15iterator_traitsISZ_E10value_typeET2_T3_PNS10_IS15_E10value_typeET4_jRbjT5_S1B_jjP12ihipStream_tbEUljE_EEESW_SX_SY_S15_S19_S1B_T6_T7_T9_mT8_S1D_bDpT10_ENKUlT_T0_E_clISt17integral_constantIbLb0EES1P_IbLb1EEEEDaS1L_S1M_EUlS1L_E_NS1_11comp_targetILNS1_3genE10ELNS1_11target_archE1200ELNS1_3gpuE4ELNS1_3repE0EEENS1_30default_config_static_selectorELNS0_4arch9wavefront6targetE0EEEvSZ_
; %bb.0:
	.section	.rodata,"a",@progbits
	.p2align	6, 0x0
	.amdhsa_kernel _ZN7rocprim17ROCPRIM_400000_NS6detail17trampoline_kernelINS0_13select_configILj256ELj13ELNS0_17block_load_methodE3ELS4_3ELS4_3ELNS0_20block_scan_algorithmE0ELj4294967295EEENS1_25partition_config_selectorILNS1_17partition_subalgoE3EjNS0_10empty_typeEbEEZZNS1_14partition_implILS8_3ELb0ES6_jNS0_17counting_iteratorIjlEEPS9_SE_NS0_5tupleIJPjSE_EEENSF_IJSE_SE_EEES9_SG_JZNS1_25segmented_radix_sort_implINS0_14default_configELb1EPK6__halfPSL_PKlPlN2at6native12_GLOBAL__N_18offset_tEEE10hipError_tPvRmT1_PNSt15iterator_traitsISZ_E10value_typeET2_T3_PNS10_IS15_E10value_typeET4_jRbjT5_S1B_jjP12ihipStream_tbEUljE_EEESW_SX_SY_S15_S19_S1B_T6_T7_T9_mT8_S1D_bDpT10_ENKUlT_T0_E_clISt17integral_constantIbLb0EES1P_IbLb1EEEEDaS1L_S1M_EUlS1L_E_NS1_11comp_targetILNS1_3genE10ELNS1_11target_archE1200ELNS1_3gpuE4ELNS1_3repE0EEENS1_30default_config_static_selectorELNS0_4arch9wavefront6targetE0EEEvSZ_
		.amdhsa_group_segment_fixed_size 0
		.amdhsa_private_segment_fixed_size 0
		.amdhsa_kernarg_size 152
		.amdhsa_user_sgpr_count 15
		.amdhsa_user_sgpr_dispatch_ptr 0
		.amdhsa_user_sgpr_queue_ptr 0
		.amdhsa_user_sgpr_kernarg_segment_ptr 1
		.amdhsa_user_sgpr_dispatch_id 0
		.amdhsa_user_sgpr_private_segment_size 0
		.amdhsa_wavefront_size32 1
		.amdhsa_uses_dynamic_stack 0
		.amdhsa_enable_private_segment 0
		.amdhsa_system_sgpr_workgroup_id_x 1
		.amdhsa_system_sgpr_workgroup_id_y 0
		.amdhsa_system_sgpr_workgroup_id_z 0
		.amdhsa_system_sgpr_workgroup_info 0
		.amdhsa_system_vgpr_workitem_id 0
		.amdhsa_next_free_vgpr 1
		.amdhsa_next_free_sgpr 1
		.amdhsa_reserve_vcc 0
		.amdhsa_float_round_mode_32 0
		.amdhsa_float_round_mode_16_64 0
		.amdhsa_float_denorm_mode_32 3
		.amdhsa_float_denorm_mode_16_64 3
		.amdhsa_dx10_clamp 1
		.amdhsa_ieee_mode 1
		.amdhsa_fp16_overflow 0
		.amdhsa_workgroup_processor_mode 1
		.amdhsa_memory_ordered 1
		.amdhsa_forward_progress 0
		.amdhsa_shared_vgpr_count 0
		.amdhsa_exception_fp_ieee_invalid_op 0
		.amdhsa_exception_fp_denorm_src 0
		.amdhsa_exception_fp_ieee_div_zero 0
		.amdhsa_exception_fp_ieee_overflow 0
		.amdhsa_exception_fp_ieee_underflow 0
		.amdhsa_exception_fp_ieee_inexact 0
		.amdhsa_exception_int_div_zero 0
	.end_amdhsa_kernel
	.section	.text._ZN7rocprim17ROCPRIM_400000_NS6detail17trampoline_kernelINS0_13select_configILj256ELj13ELNS0_17block_load_methodE3ELS4_3ELS4_3ELNS0_20block_scan_algorithmE0ELj4294967295EEENS1_25partition_config_selectorILNS1_17partition_subalgoE3EjNS0_10empty_typeEbEEZZNS1_14partition_implILS8_3ELb0ES6_jNS0_17counting_iteratorIjlEEPS9_SE_NS0_5tupleIJPjSE_EEENSF_IJSE_SE_EEES9_SG_JZNS1_25segmented_radix_sort_implINS0_14default_configELb1EPK6__halfPSL_PKlPlN2at6native12_GLOBAL__N_18offset_tEEE10hipError_tPvRmT1_PNSt15iterator_traitsISZ_E10value_typeET2_T3_PNS10_IS15_E10value_typeET4_jRbjT5_S1B_jjP12ihipStream_tbEUljE_EEESW_SX_SY_S15_S19_S1B_T6_T7_T9_mT8_S1D_bDpT10_ENKUlT_T0_E_clISt17integral_constantIbLb0EES1P_IbLb1EEEEDaS1L_S1M_EUlS1L_E_NS1_11comp_targetILNS1_3genE10ELNS1_11target_archE1200ELNS1_3gpuE4ELNS1_3repE0EEENS1_30default_config_static_selectorELNS0_4arch9wavefront6targetE0EEEvSZ_,"axG",@progbits,_ZN7rocprim17ROCPRIM_400000_NS6detail17trampoline_kernelINS0_13select_configILj256ELj13ELNS0_17block_load_methodE3ELS4_3ELS4_3ELNS0_20block_scan_algorithmE0ELj4294967295EEENS1_25partition_config_selectorILNS1_17partition_subalgoE3EjNS0_10empty_typeEbEEZZNS1_14partition_implILS8_3ELb0ES6_jNS0_17counting_iteratorIjlEEPS9_SE_NS0_5tupleIJPjSE_EEENSF_IJSE_SE_EEES9_SG_JZNS1_25segmented_radix_sort_implINS0_14default_configELb1EPK6__halfPSL_PKlPlN2at6native12_GLOBAL__N_18offset_tEEE10hipError_tPvRmT1_PNSt15iterator_traitsISZ_E10value_typeET2_T3_PNS10_IS15_E10value_typeET4_jRbjT5_S1B_jjP12ihipStream_tbEUljE_EEESW_SX_SY_S15_S19_S1B_T6_T7_T9_mT8_S1D_bDpT10_ENKUlT_T0_E_clISt17integral_constantIbLb0EES1P_IbLb1EEEEDaS1L_S1M_EUlS1L_E_NS1_11comp_targetILNS1_3genE10ELNS1_11target_archE1200ELNS1_3gpuE4ELNS1_3repE0EEENS1_30default_config_static_selectorELNS0_4arch9wavefront6targetE0EEEvSZ_,comdat
.Lfunc_end1736:
	.size	_ZN7rocprim17ROCPRIM_400000_NS6detail17trampoline_kernelINS0_13select_configILj256ELj13ELNS0_17block_load_methodE3ELS4_3ELS4_3ELNS0_20block_scan_algorithmE0ELj4294967295EEENS1_25partition_config_selectorILNS1_17partition_subalgoE3EjNS0_10empty_typeEbEEZZNS1_14partition_implILS8_3ELb0ES6_jNS0_17counting_iteratorIjlEEPS9_SE_NS0_5tupleIJPjSE_EEENSF_IJSE_SE_EEES9_SG_JZNS1_25segmented_radix_sort_implINS0_14default_configELb1EPK6__halfPSL_PKlPlN2at6native12_GLOBAL__N_18offset_tEEE10hipError_tPvRmT1_PNSt15iterator_traitsISZ_E10value_typeET2_T3_PNS10_IS15_E10value_typeET4_jRbjT5_S1B_jjP12ihipStream_tbEUljE_EEESW_SX_SY_S15_S19_S1B_T6_T7_T9_mT8_S1D_bDpT10_ENKUlT_T0_E_clISt17integral_constantIbLb0EES1P_IbLb1EEEEDaS1L_S1M_EUlS1L_E_NS1_11comp_targetILNS1_3genE10ELNS1_11target_archE1200ELNS1_3gpuE4ELNS1_3repE0EEENS1_30default_config_static_selectorELNS0_4arch9wavefront6targetE0EEEvSZ_, .Lfunc_end1736-_ZN7rocprim17ROCPRIM_400000_NS6detail17trampoline_kernelINS0_13select_configILj256ELj13ELNS0_17block_load_methodE3ELS4_3ELS4_3ELNS0_20block_scan_algorithmE0ELj4294967295EEENS1_25partition_config_selectorILNS1_17partition_subalgoE3EjNS0_10empty_typeEbEEZZNS1_14partition_implILS8_3ELb0ES6_jNS0_17counting_iteratorIjlEEPS9_SE_NS0_5tupleIJPjSE_EEENSF_IJSE_SE_EEES9_SG_JZNS1_25segmented_radix_sort_implINS0_14default_configELb1EPK6__halfPSL_PKlPlN2at6native12_GLOBAL__N_18offset_tEEE10hipError_tPvRmT1_PNSt15iterator_traitsISZ_E10value_typeET2_T3_PNS10_IS15_E10value_typeET4_jRbjT5_S1B_jjP12ihipStream_tbEUljE_EEESW_SX_SY_S15_S19_S1B_T6_T7_T9_mT8_S1D_bDpT10_ENKUlT_T0_E_clISt17integral_constantIbLb0EES1P_IbLb1EEEEDaS1L_S1M_EUlS1L_E_NS1_11comp_targetILNS1_3genE10ELNS1_11target_archE1200ELNS1_3gpuE4ELNS1_3repE0EEENS1_30default_config_static_selectorELNS0_4arch9wavefront6targetE0EEEvSZ_
                                        ; -- End function
	.section	.AMDGPU.csdata,"",@progbits
; Kernel info:
; codeLenInByte = 0
; NumSgprs: 0
; NumVgprs: 0
; ScratchSize: 0
; MemoryBound: 0
; FloatMode: 240
; IeeeMode: 1
; LDSByteSize: 0 bytes/workgroup (compile time only)
; SGPRBlocks: 0
; VGPRBlocks: 0
; NumSGPRsForWavesPerEU: 1
; NumVGPRsForWavesPerEU: 1
; Occupancy: 16
; WaveLimiterHint : 0
; COMPUTE_PGM_RSRC2:SCRATCH_EN: 0
; COMPUTE_PGM_RSRC2:USER_SGPR: 15
; COMPUTE_PGM_RSRC2:TRAP_HANDLER: 0
; COMPUTE_PGM_RSRC2:TGID_X_EN: 1
; COMPUTE_PGM_RSRC2:TGID_Y_EN: 0
; COMPUTE_PGM_RSRC2:TGID_Z_EN: 0
; COMPUTE_PGM_RSRC2:TIDIG_COMP_CNT: 0
	.section	.text._ZN7rocprim17ROCPRIM_400000_NS6detail17trampoline_kernelINS0_13select_configILj256ELj13ELNS0_17block_load_methodE3ELS4_3ELS4_3ELNS0_20block_scan_algorithmE0ELj4294967295EEENS1_25partition_config_selectorILNS1_17partition_subalgoE3EjNS0_10empty_typeEbEEZZNS1_14partition_implILS8_3ELb0ES6_jNS0_17counting_iteratorIjlEEPS9_SE_NS0_5tupleIJPjSE_EEENSF_IJSE_SE_EEES9_SG_JZNS1_25segmented_radix_sort_implINS0_14default_configELb1EPK6__halfPSL_PKlPlN2at6native12_GLOBAL__N_18offset_tEEE10hipError_tPvRmT1_PNSt15iterator_traitsISZ_E10value_typeET2_T3_PNS10_IS15_E10value_typeET4_jRbjT5_S1B_jjP12ihipStream_tbEUljE_EEESW_SX_SY_S15_S19_S1B_T6_T7_T9_mT8_S1D_bDpT10_ENKUlT_T0_E_clISt17integral_constantIbLb0EES1P_IbLb1EEEEDaS1L_S1M_EUlS1L_E_NS1_11comp_targetILNS1_3genE9ELNS1_11target_archE1100ELNS1_3gpuE3ELNS1_3repE0EEENS1_30default_config_static_selectorELNS0_4arch9wavefront6targetE0EEEvSZ_,"axG",@progbits,_ZN7rocprim17ROCPRIM_400000_NS6detail17trampoline_kernelINS0_13select_configILj256ELj13ELNS0_17block_load_methodE3ELS4_3ELS4_3ELNS0_20block_scan_algorithmE0ELj4294967295EEENS1_25partition_config_selectorILNS1_17partition_subalgoE3EjNS0_10empty_typeEbEEZZNS1_14partition_implILS8_3ELb0ES6_jNS0_17counting_iteratorIjlEEPS9_SE_NS0_5tupleIJPjSE_EEENSF_IJSE_SE_EEES9_SG_JZNS1_25segmented_radix_sort_implINS0_14default_configELb1EPK6__halfPSL_PKlPlN2at6native12_GLOBAL__N_18offset_tEEE10hipError_tPvRmT1_PNSt15iterator_traitsISZ_E10value_typeET2_T3_PNS10_IS15_E10value_typeET4_jRbjT5_S1B_jjP12ihipStream_tbEUljE_EEESW_SX_SY_S15_S19_S1B_T6_T7_T9_mT8_S1D_bDpT10_ENKUlT_T0_E_clISt17integral_constantIbLb0EES1P_IbLb1EEEEDaS1L_S1M_EUlS1L_E_NS1_11comp_targetILNS1_3genE9ELNS1_11target_archE1100ELNS1_3gpuE3ELNS1_3repE0EEENS1_30default_config_static_selectorELNS0_4arch9wavefront6targetE0EEEvSZ_,comdat
	.globl	_ZN7rocprim17ROCPRIM_400000_NS6detail17trampoline_kernelINS0_13select_configILj256ELj13ELNS0_17block_load_methodE3ELS4_3ELS4_3ELNS0_20block_scan_algorithmE0ELj4294967295EEENS1_25partition_config_selectorILNS1_17partition_subalgoE3EjNS0_10empty_typeEbEEZZNS1_14partition_implILS8_3ELb0ES6_jNS0_17counting_iteratorIjlEEPS9_SE_NS0_5tupleIJPjSE_EEENSF_IJSE_SE_EEES9_SG_JZNS1_25segmented_radix_sort_implINS0_14default_configELb1EPK6__halfPSL_PKlPlN2at6native12_GLOBAL__N_18offset_tEEE10hipError_tPvRmT1_PNSt15iterator_traitsISZ_E10value_typeET2_T3_PNS10_IS15_E10value_typeET4_jRbjT5_S1B_jjP12ihipStream_tbEUljE_EEESW_SX_SY_S15_S19_S1B_T6_T7_T9_mT8_S1D_bDpT10_ENKUlT_T0_E_clISt17integral_constantIbLb0EES1P_IbLb1EEEEDaS1L_S1M_EUlS1L_E_NS1_11comp_targetILNS1_3genE9ELNS1_11target_archE1100ELNS1_3gpuE3ELNS1_3repE0EEENS1_30default_config_static_selectorELNS0_4arch9wavefront6targetE0EEEvSZ_ ; -- Begin function _ZN7rocprim17ROCPRIM_400000_NS6detail17trampoline_kernelINS0_13select_configILj256ELj13ELNS0_17block_load_methodE3ELS4_3ELS4_3ELNS0_20block_scan_algorithmE0ELj4294967295EEENS1_25partition_config_selectorILNS1_17partition_subalgoE3EjNS0_10empty_typeEbEEZZNS1_14partition_implILS8_3ELb0ES6_jNS0_17counting_iteratorIjlEEPS9_SE_NS0_5tupleIJPjSE_EEENSF_IJSE_SE_EEES9_SG_JZNS1_25segmented_radix_sort_implINS0_14default_configELb1EPK6__halfPSL_PKlPlN2at6native12_GLOBAL__N_18offset_tEEE10hipError_tPvRmT1_PNSt15iterator_traitsISZ_E10value_typeET2_T3_PNS10_IS15_E10value_typeET4_jRbjT5_S1B_jjP12ihipStream_tbEUljE_EEESW_SX_SY_S15_S19_S1B_T6_T7_T9_mT8_S1D_bDpT10_ENKUlT_T0_E_clISt17integral_constantIbLb0EES1P_IbLb1EEEEDaS1L_S1M_EUlS1L_E_NS1_11comp_targetILNS1_3genE9ELNS1_11target_archE1100ELNS1_3gpuE3ELNS1_3repE0EEENS1_30default_config_static_selectorELNS0_4arch9wavefront6targetE0EEEvSZ_
	.p2align	8
	.type	_ZN7rocprim17ROCPRIM_400000_NS6detail17trampoline_kernelINS0_13select_configILj256ELj13ELNS0_17block_load_methodE3ELS4_3ELS4_3ELNS0_20block_scan_algorithmE0ELj4294967295EEENS1_25partition_config_selectorILNS1_17partition_subalgoE3EjNS0_10empty_typeEbEEZZNS1_14partition_implILS8_3ELb0ES6_jNS0_17counting_iteratorIjlEEPS9_SE_NS0_5tupleIJPjSE_EEENSF_IJSE_SE_EEES9_SG_JZNS1_25segmented_radix_sort_implINS0_14default_configELb1EPK6__halfPSL_PKlPlN2at6native12_GLOBAL__N_18offset_tEEE10hipError_tPvRmT1_PNSt15iterator_traitsISZ_E10value_typeET2_T3_PNS10_IS15_E10value_typeET4_jRbjT5_S1B_jjP12ihipStream_tbEUljE_EEESW_SX_SY_S15_S19_S1B_T6_T7_T9_mT8_S1D_bDpT10_ENKUlT_T0_E_clISt17integral_constantIbLb0EES1P_IbLb1EEEEDaS1L_S1M_EUlS1L_E_NS1_11comp_targetILNS1_3genE9ELNS1_11target_archE1100ELNS1_3gpuE3ELNS1_3repE0EEENS1_30default_config_static_selectorELNS0_4arch9wavefront6targetE0EEEvSZ_,@function
_ZN7rocprim17ROCPRIM_400000_NS6detail17trampoline_kernelINS0_13select_configILj256ELj13ELNS0_17block_load_methodE3ELS4_3ELS4_3ELNS0_20block_scan_algorithmE0ELj4294967295EEENS1_25partition_config_selectorILNS1_17partition_subalgoE3EjNS0_10empty_typeEbEEZZNS1_14partition_implILS8_3ELb0ES6_jNS0_17counting_iteratorIjlEEPS9_SE_NS0_5tupleIJPjSE_EEENSF_IJSE_SE_EEES9_SG_JZNS1_25segmented_radix_sort_implINS0_14default_configELb1EPK6__halfPSL_PKlPlN2at6native12_GLOBAL__N_18offset_tEEE10hipError_tPvRmT1_PNSt15iterator_traitsISZ_E10value_typeET2_T3_PNS10_IS15_E10value_typeET4_jRbjT5_S1B_jjP12ihipStream_tbEUljE_EEESW_SX_SY_S15_S19_S1B_T6_T7_T9_mT8_S1D_bDpT10_ENKUlT_T0_E_clISt17integral_constantIbLb0EES1P_IbLb1EEEEDaS1L_S1M_EUlS1L_E_NS1_11comp_targetILNS1_3genE9ELNS1_11target_archE1100ELNS1_3gpuE3ELNS1_3repE0EEENS1_30default_config_static_selectorELNS0_4arch9wavefront6targetE0EEEvSZ_: ; @_ZN7rocprim17ROCPRIM_400000_NS6detail17trampoline_kernelINS0_13select_configILj256ELj13ELNS0_17block_load_methodE3ELS4_3ELS4_3ELNS0_20block_scan_algorithmE0ELj4294967295EEENS1_25partition_config_selectorILNS1_17partition_subalgoE3EjNS0_10empty_typeEbEEZZNS1_14partition_implILS8_3ELb0ES6_jNS0_17counting_iteratorIjlEEPS9_SE_NS0_5tupleIJPjSE_EEENSF_IJSE_SE_EEES9_SG_JZNS1_25segmented_radix_sort_implINS0_14default_configELb1EPK6__halfPSL_PKlPlN2at6native12_GLOBAL__N_18offset_tEEE10hipError_tPvRmT1_PNSt15iterator_traitsISZ_E10value_typeET2_T3_PNS10_IS15_E10value_typeET4_jRbjT5_S1B_jjP12ihipStream_tbEUljE_EEESW_SX_SY_S15_S19_S1B_T6_T7_T9_mT8_S1D_bDpT10_ENKUlT_T0_E_clISt17integral_constantIbLb0EES1P_IbLb1EEEEDaS1L_S1M_EUlS1L_E_NS1_11comp_targetILNS1_3genE9ELNS1_11target_archE1100ELNS1_3gpuE3ELNS1_3repE0EEENS1_30default_config_static_selectorELNS0_4arch9wavefront6targetE0EEEvSZ_
; %bb.0:
	s_clause 0x6
	s_load_b64 s[16:17], s[0:1], 0x10
	s_load_b64 s[12:13], s[0:1], 0x28
	;; [unrolled: 1-line block ×3, first 2 shown]
	s_load_b128 s[8:11], s[0:1], 0x48
	s_load_b32 s3, s[0:1], 0x90
	s_load_b64 s[18:19], s[0:1], 0x68
	s_load_b128 s[4:7], s[0:1], 0x80
	v_cmp_eq_u32_e64 s2, 0, v0
	s_delay_alu instid0(VALU_DEP_1)
	s_and_saveexec_b32 s20, s2
	s_cbranch_execz .LBB1737_4
; %bb.1:
	s_mov_b32 s22, exec_lo
	s_mov_b32 s21, exec_lo
	v_mbcnt_lo_u32_b32 v1, s22, 0
                                        ; implicit-def: $vgpr2
	s_delay_alu instid0(VALU_DEP_1)
	v_cmpx_eq_u32_e32 0, v1
	s_cbranch_execz .LBB1737_3
; %bb.2:
	s_load_b64 s[24:25], s[0:1], 0x78
	s_bcnt1_i32_b32 s22, s22
	s_delay_alu instid0(SALU_CYCLE_1)
	v_dual_mov_b32 v2, 0 :: v_dual_mov_b32 v3, s22
	s_waitcnt lgkmcnt(0)
	global_atomic_add_u32 v2, v2, v3, s[24:25] glc
.LBB1737_3:
	s_or_b32 exec_lo, exec_lo, s21
	s_waitcnt vmcnt(0)
	v_readfirstlane_b32 s21, v2
	s_delay_alu instid0(VALU_DEP_1)
	v_dual_mov_b32 v2, 0 :: v_dual_add_nc_u32 v1, s21, v1
	ds_store_b32 v2, v1
.LBB1737_4:
	s_or_b32 exec_lo, exec_lo, s20
	v_mov_b32_e32 v1, 0
	s_clause 0x1
	s_load_b32 s20, s[0:1], 0x8
	s_load_b32 s0, s[0:1], 0x70
	s_waitcnt lgkmcnt(0)
	s_barrier
	buffer_gl0_inv
	ds_load_b32 v2, v1
	s_waitcnt lgkmcnt(0)
	s_barrier
	buffer_gl0_inv
	global_load_b64 v[18:19], v1, s[10:11]
	v_lshlrev_b32_e32 v33, 2, v0
	s_add_i32 s21, s20, s16
	s_mul_i32 s1, s0, 0xd00
	s_add_i32 s0, s0, -1
	s_add_u32 s10, s16, s1
	s_addc_u32 s11, s17, 0
	v_mul_lo_u32 v32, 0xd00, v2
	v_readfirstlane_b32 s20, v2
	v_cmp_lt_u64_e64 s11, s[10:11], s[14:15]
	v_cmp_ne_u32_e32 vcc_lo, s0, v2
	s_delay_alu instid0(VALU_DEP_3) | instskip(SKIP_1) | instid1(VALU_DEP_4)
	s_cmp_eq_u32 s20, s0
	s_cselect_b32 s10, -1, 0
	v_add3_u32 v1, v32, s21, v0
	s_delay_alu instid0(VALU_DEP_3) | instskip(SKIP_2) | instid1(VALU_DEP_1)
	s_or_b32 s0, s11, vcc_lo
	s_mov_b32 s11, -1
	s_and_b32 vcc_lo, exec_lo, s0
	v_add_nc_u32_e32 v2, 0x100, v1
	v_add_nc_u32_e32 v3, 0x200, v1
	;; [unrolled: 1-line block ×12, first 2 shown]
	s_cbranch_vccz .LBB1737_6
; %bb.5:
	ds_store_2addr_stride64_b32 v33, v1, v2 offset1:4
	ds_store_2addr_stride64_b32 v33, v3, v4 offset0:8 offset1:12
	ds_store_2addr_stride64_b32 v33, v5, v6 offset0:16 offset1:20
	ds_store_2addr_stride64_b32 v33, v7, v8 offset0:24 offset1:28
	ds_store_2addr_stride64_b32 v33, v9, v10 offset0:32 offset1:36
	ds_store_2addr_stride64_b32 v33, v11, v12 offset0:40 offset1:44
	ds_store_b32 v33, v13 offset:12288
	s_waitcnt vmcnt(0) lgkmcnt(0)
	s_mov_b32 s11, 0
	s_barrier
.LBB1737_6:
	s_and_not1_b32 vcc_lo, exec_lo, s11
	s_add_i32 s1, s1, s16
	s_cbranch_vccnz .LBB1737_8
; %bb.7:
	ds_store_2addr_stride64_b32 v33, v1, v2 offset1:4
	ds_store_2addr_stride64_b32 v33, v3, v4 offset0:8 offset1:12
	ds_store_2addr_stride64_b32 v33, v5, v6 offset0:16 offset1:20
	;; [unrolled: 1-line block ×5, first 2 shown]
	ds_store_b32 v33, v13 offset:12288
	s_waitcnt vmcnt(0) lgkmcnt(0)
	s_barrier
.LBB1737_8:
	v_mul_u32_u24_e32 v36, 13, v0
	s_waitcnt vmcnt(0)
	buffer_gl0_inv
	v_cndmask_b32_e64 v34, 0, 1, s0
	s_sub_i32 s11, s14, s1
	s_and_not1_b32 vcc_lo, exec_lo, s0
	v_lshlrev_b32_e32 v1, 2, v36
	ds_load_2addr_b32 v[30:31], v1 offset1:1
	ds_load_2addr_b32 v[28:29], v1 offset0:2 offset1:3
	ds_load_2addr_b32 v[26:27], v1 offset0:4 offset1:5
	;; [unrolled: 1-line block ×5, first 2 shown]
	ds_load_b32 v35, v1 offset:48
	s_waitcnt lgkmcnt(0)
	s_barrier
	buffer_gl0_inv
	s_cbranch_vccnz .LBB1737_10
; %bb.9:
	v_add_nc_u32_e32 v1, s5, v30
	v_add_nc_u32_e32 v2, s7, v30
	;; [unrolled: 1-line block ×5, first 2 shown]
	v_mul_lo_u32 v1, v1, s4
	v_mul_lo_u32 v2, v2, s6
	;; [unrolled: 1-line block ×4, first 2 shown]
	v_add_nc_u32_e32 v6, s7, v28
	v_add_nc_u32_e32 v7, s5, v29
	;; [unrolled: 1-line block ×3, first 2 shown]
	v_mul_lo_u32 v5, v5, s4
	v_add_nc_u32_e32 v9, s5, v24
	v_sub_nc_u32_e32 v1, v1, v2
	v_mul_lo_u32 v2, v6, s6
	v_sub_nc_u32_e32 v3, v3, v4
	v_mul_lo_u32 v4, v7, s4
	v_mul_lo_u32 v6, v8, s6
	v_add_nc_u32_e32 v7, s5, v26
	v_cmp_lt_u32_e32 vcc_lo, s3, v1
	v_add_nc_u32_e32 v8, s5, v27
	v_add_nc_u32_e32 v10, s7, v24
	v_sub_nc_u32_e32 v2, v5, v2
	v_add_nc_u32_e32 v5, s7, v26
	v_cndmask_b32_e64 v1, 0, 1, vcc_lo
	v_sub_nc_u32_e32 v4, v4, v6
	v_mul_lo_u32 v6, v7, s4
	v_add_nc_u32_e32 v7, s7, v27
	v_cmp_lt_u32_e32 vcc_lo, s3, v3
	v_mul_lo_u32 v5, v5, s6
	v_mul_lo_u32 v8, v8, s4
	v_mul_lo_u32 v9, v9, s4
	v_mul_lo_u32 v7, v7, s6
	v_cndmask_b32_e64 v3, 0, 1, vcc_lo
	v_cmp_lt_u32_e32 vcc_lo, s3, v2
	v_mul_lo_u32 v10, v10, s6
	v_add_nc_u32_e32 v11, s5, v22
	v_sub_nc_u32_e32 v5, v6, v5
	v_add_nc_u32_e32 v12, s7, v22
	v_cndmask_b32_e64 v2, 0, 1, vcc_lo
	v_sub_nc_u32_e32 v6, v8, v7
	v_add_nc_u32_e32 v7, s5, v25
	v_add_nc_u32_e32 v8, s7, v25
	v_cmp_lt_u32_e32 vcc_lo, s3, v4
	v_sub_nc_u32_e32 v9, v9, v10
	v_mul_lo_u32 v10, v11, s4
	v_mul_lo_u32 v7, v7, s4
	v_mul_lo_u32 v8, v8, s6
	v_mul_lo_u32 v11, v12, s6
	v_cndmask_b32_e64 v4, 0, 1, vcc_lo
	v_cmp_lt_u32_e32 vcc_lo, s3, v5
	v_add_nc_u32_e32 v12, s5, v23
	v_add_nc_u32_e32 v13, s7, v20
	;; [unrolled: 1-line block ×4, first 2 shown]
	v_cndmask_b32_e64 v5, 0, 1, vcc_lo
	v_cmp_lt_u32_e32 vcc_lo, s3, v6
	v_sub_nc_u32_e32 v7, v7, v8
	v_sub_nc_u32_e32 v8, v10, v11
	v_add_nc_u32_e32 v11, s7, v23
	v_mul_lo_u32 v10, v12, s4
	v_cndmask_b32_e64 v6, 0, 1, vcc_lo
	v_cmp_lt_u32_e32 vcc_lo, s3, v9
	v_add_nc_u32_e32 v12, s5, v20
	v_mul_lo_u32 v11, v11, s6
	v_mul_lo_u32 v13, v13, s6
	;; [unrolled: 1-line block ×3, first 2 shown]
	v_cndmask_b32_e64 v9, 0, 1, vcc_lo
	v_cmp_lt_u32_e32 vcc_lo, s3, v7
	v_mul_lo_u32 v12, v12, s4
	v_mul_lo_u32 v15, v15, s6
	v_lshlrev_b16 v3, 8, v3
	v_sub_nc_u32_e32 v10, v10, v11
	v_cndmask_b32_e64 v7, 0, 1, vcc_lo
	v_cmp_lt_u32_e32 vcc_lo, s3, v8
	v_add_nc_u32_e32 v11, s5, v35
	v_or_b32_e32 v1, v1, v3
	v_sub_nc_u32_e32 v12, v12, v13
	v_sub_nc_u32_e32 v13, v14, v15
	v_cndmask_b32_e64 v8, 0, 1, vcc_lo
	v_cmp_lt_u32_e32 vcc_lo, s3, v10
	v_add_nc_u32_e32 v16, s7, v35
	v_mul_lo_u32 v11, v11, s4
	v_lshlrev_b16 v4, 8, v4
	v_lshlrev_b16 v6, 8, v6
	v_cndmask_b32_e64 v10, 0, 1, vcc_lo
	v_cmp_lt_u32_e32 vcc_lo, s3, v12
	v_mul_lo_u32 v14, v16, s6
	v_lshlrev_b16 v7, 8, v7
	v_or_b32_e32 v2, v2, v4
	v_lshlrev_b16 v10, 8, v10
	v_cndmask_b32_e64 v3, 0, 1, vcc_lo
	v_cmp_lt_u32_e32 vcc_lo, s3, v13
	v_or_b32_e32 v4, v5, v6
	v_or_b32_e32 v5, v9, v7
	v_sub_nc_u32_e32 v11, v11, v14
	v_or_b32_e32 v6, v8, v10
	v_cndmask_b32_e64 v12, 0, 1, vcc_lo
	v_and_b32_e32 v1, 0xffff, v1
	v_lshlrev_b32_e32 v2, 16, v2
	v_and_b32_e32 v4, 0xffff, v4
	v_lshlrev_b32_e32 v5, 16, v5
	v_lshlrev_b16 v12, 8, v12
	v_and_b32_e32 v6, 0xffff, v6
	v_cmp_lt_u32_e32 vcc_lo, s3, v11
	v_or_b32_e32 v42, v1, v2
	v_or_b32_e32 v40, v4, v5
	;; [unrolled: 1-line block ×3, first 2 shown]
	v_cndmask_b32_e64 v37, 0, 1, vcc_lo
	s_delay_alu instid0(VALU_DEP_2) | instskip(NEXT) | instid1(VALU_DEP_1)
	v_lshlrev_b32_e32 v3, 16, v3
	v_or_b32_e32 v38, v6, v3
	s_addk_i32 s11, 0xd00
	s_cbranch_execz .LBB1737_11
	s_branch .LBB1737_38
.LBB1737_10:
                                        ; implicit-def: $vgpr37
                                        ; implicit-def: $vgpr38
                                        ; implicit-def: $vgpr40
                                        ; implicit-def: $vgpr42
	s_addk_i32 s11, 0xd00
.LBB1737_11:
	v_dual_mov_b32 v2, 0 :: v_dual_mov_b32 v1, 0
	s_mov_b32 s0, exec_lo
	v_cmpx_gt_u32_e64 s11, v36
; %bb.12:
	v_add_nc_u32_e32 v1, s5, v30
	v_add_nc_u32_e32 v3, s7, v30
	s_delay_alu instid0(VALU_DEP_2) | instskip(NEXT) | instid1(VALU_DEP_2)
	v_mul_lo_u32 v1, v1, s4
	v_mul_lo_u32 v3, v3, s6
	s_delay_alu instid0(VALU_DEP_1) | instskip(NEXT) | instid1(VALU_DEP_1)
	v_sub_nc_u32_e32 v1, v1, v3
	v_cmp_lt_u32_e32 vcc_lo, s3, v1
	v_cndmask_b32_e64 v1, 0, 1, vcc_lo
; %bb.13:
	s_or_b32 exec_lo, exec_lo, s0
	v_add_nc_u32_e32 v3, 1, v36
	s_mov_b32 s0, exec_lo
	s_delay_alu instid0(VALU_DEP_1)
	v_cmpx_gt_u32_e64 s11, v3
; %bb.14:
	v_add_nc_u32_e32 v2, s5, v31
	v_add_nc_u32_e32 v3, s7, v31
	s_delay_alu instid0(VALU_DEP_2) | instskip(NEXT) | instid1(VALU_DEP_2)
	v_mul_lo_u32 v2, v2, s4
	v_mul_lo_u32 v3, v3, s6
	s_delay_alu instid0(VALU_DEP_1) | instskip(NEXT) | instid1(VALU_DEP_1)
	v_sub_nc_u32_e32 v2, v2, v3
	v_cmp_lt_u32_e32 vcc_lo, s3, v2
	v_cndmask_b32_e64 v2, 0, 1, vcc_lo
; %bb.15:
	s_or_b32 exec_lo, exec_lo, s0
	v_dual_mov_b32 v4, 0 :: v_dual_add_nc_u32 v3, 2, v36
	s_delay_alu instid0(VALU_DEP_1)
	v_cmp_gt_u32_e32 vcc_lo, s11, v3
	v_mov_b32_e32 v3, 0
	s_and_saveexec_b32 s0, vcc_lo
; %bb.16:
	v_add_nc_u32_e32 v3, s5, v28
	v_add_nc_u32_e32 v5, s7, v28
	s_delay_alu instid0(VALU_DEP_2) | instskip(NEXT) | instid1(VALU_DEP_2)
	v_mul_lo_u32 v3, v3, s4
	v_mul_lo_u32 v5, v5, s6
	s_delay_alu instid0(VALU_DEP_1) | instskip(NEXT) | instid1(VALU_DEP_1)
	v_sub_nc_u32_e32 v3, v3, v5
	v_cmp_lt_u32_e32 vcc_lo, s3, v3
	v_cndmask_b32_e64 v3, 0, 1, vcc_lo
; %bb.17:
	s_or_b32 exec_lo, exec_lo, s0
	v_add_nc_u32_e32 v5, 3, v36
	s_mov_b32 s0, exec_lo
	s_delay_alu instid0(VALU_DEP_1)
	v_cmpx_gt_u32_e64 s11, v5
; %bb.18:
	v_add_nc_u32_e32 v4, s5, v29
	v_add_nc_u32_e32 v5, s7, v29
	s_delay_alu instid0(VALU_DEP_2) | instskip(NEXT) | instid1(VALU_DEP_2)
	v_mul_lo_u32 v4, v4, s4
	v_mul_lo_u32 v5, v5, s6
	s_delay_alu instid0(VALU_DEP_1) | instskip(NEXT) | instid1(VALU_DEP_1)
	v_sub_nc_u32_e32 v4, v4, v5
	v_cmp_lt_u32_e32 vcc_lo, s3, v4
	v_cndmask_b32_e64 v4, 0, 1, vcc_lo
; %bb.19:
	s_or_b32 exec_lo, exec_lo, s0
	v_dual_mov_b32 v6, 0 :: v_dual_add_nc_u32 v5, 4, v36
	s_delay_alu instid0(VALU_DEP_1)
	v_cmp_gt_u32_e32 vcc_lo, s11, v5
	v_mov_b32_e32 v5, 0
	s_and_saveexec_b32 s0, vcc_lo
	;; [unrolled: 33-line block ×5, first 2 shown]
; %bb.32:
	v_add_nc_u32_e32 v11, s5, v20
	v_add_nc_u32_e32 v13, s7, v20
	s_delay_alu instid0(VALU_DEP_2) | instskip(NEXT) | instid1(VALU_DEP_2)
	v_mul_lo_u32 v11, v11, s4
	v_mul_lo_u32 v13, v13, s6
	s_delay_alu instid0(VALU_DEP_1) | instskip(NEXT) | instid1(VALU_DEP_1)
	v_sub_nc_u32_e32 v11, v11, v13
	v_cmp_lt_u32_e32 vcc_lo, s3, v11
	v_cndmask_b32_e64 v11, 0, 1, vcc_lo
; %bb.33:
	s_or_b32 exec_lo, exec_lo, s0
	v_add_nc_u32_e32 v13, 11, v36
	s_mov_b32 s0, exec_lo
	s_delay_alu instid0(VALU_DEP_1)
	v_cmpx_gt_u32_e64 s11, v13
; %bb.34:
	v_add_nc_u32_e32 v12, s5, v21
	v_add_nc_u32_e32 v13, s7, v21
	s_delay_alu instid0(VALU_DEP_2) | instskip(NEXT) | instid1(VALU_DEP_2)
	v_mul_lo_u32 v12, v12, s4
	v_mul_lo_u32 v13, v13, s6
	s_delay_alu instid0(VALU_DEP_1) | instskip(NEXT) | instid1(VALU_DEP_1)
	v_sub_nc_u32_e32 v12, v12, v13
	v_cmp_lt_u32_e32 vcc_lo, s3, v12
	v_cndmask_b32_e64 v12, 0, 1, vcc_lo
; %bb.35:
	s_or_b32 exec_lo, exec_lo, s0
	v_add_nc_u32_e32 v13, 12, v36
	v_mov_b32_e32 v37, 0
	s_mov_b32 s0, exec_lo
	s_delay_alu instid0(VALU_DEP_2)
	v_cmpx_gt_u32_e64 s11, v13
; %bb.36:
	v_add_nc_u32_e32 v13, s5, v35
	v_add_nc_u32_e32 v14, s7, v35
	s_delay_alu instid0(VALU_DEP_2) | instskip(NEXT) | instid1(VALU_DEP_2)
	v_mul_lo_u32 v13, v13, s4
	v_mul_lo_u32 v14, v14, s6
	s_delay_alu instid0(VALU_DEP_1) | instskip(NEXT) | instid1(VALU_DEP_1)
	v_sub_nc_u32_e32 v13, v13, v14
	v_cmp_lt_u32_e32 vcc_lo, s3, v13
	v_cndmask_b32_e64 v37, 0, 1, vcc_lo
; %bb.37:
	s_or_b32 exec_lo, exec_lo, s0
	v_lshlrev_b16 v2, 8, v2
	v_lshlrev_b16 v4, 8, v4
	;; [unrolled: 1-line block ×5, first 2 shown]
	v_or_b32_e32 v1, v1, v2
	v_lshlrev_b16 v2, 8, v12
	v_or_b32_e32 v3, v3, v4
	v_or_b32_e32 v4, v5, v6
	;; [unrolled: 1-line block ×5, first 2 shown]
	v_and_b32_e32 v1, 0xffff, v1
	v_lshlrev_b32_e32 v3, 16, v3
	v_and_b32_e32 v4, 0xffff, v4
	v_lshlrev_b32_e32 v5, 16, v5
	;; [unrolled: 2-line block ×3, first 2 shown]
	v_or_b32_e32 v42, v1, v3
	s_delay_alu instid0(VALU_DEP_4) | instskip(NEXT) | instid1(VALU_DEP_3)
	v_or_b32_e32 v40, v4, v5
	v_or_b32_e32 v38, v6, v2
.LBB1737_38:
	s_delay_alu instid0(VALU_DEP_3)
	v_and_b32_e32 v44, 0xff, v42
	v_bfe_u32 v45, v42, 8, 8
	v_bfe_u32 v46, v42, 16, 8
	v_lshrrev_b32_e32 v43, 24, v42
	v_and_b32_e32 v47, 0xff, v40
	v_bfe_u32 v48, v40, 8, 8
	v_bfe_u32 v49, v40, 16, 8
	v_add3_u32 v1, v45, v44, v46
	v_lshrrev_b32_e32 v41, 24, v40
	v_and_b32_e32 v50, 0xff, v38
	v_bfe_u32 v51, v38, 8, 8
	v_mbcnt_lo_u32_b32 v53, -1, 0
	v_add3_u32 v1, v1, v43, v47
	v_bfe_u32 v52, v38, 16, 8
	v_lshrrev_b32_e32 v39, 24, v38
	v_and_b32_e32 v2, 0xff, v37
	v_and_b32_e32 v3, 15, v53
	v_add3_u32 v1, v1, v48, v49
	v_or_b32_e32 v4, 31, v0
	v_and_b32_e32 v5, 16, v53
	v_lshrrev_b32_e32 v54, 5, v0
	v_cmp_eq_u32_e64 s6, 0, v3
	v_add3_u32 v1, v1, v41, v50
	v_cmp_lt_u32_e64 s5, 1, v3
	v_cmp_lt_u32_e64 s4, 3, v3
	v_cmp_lt_u32_e64 s3, 7, v3
	v_cmp_eq_u32_e64 s1, 0, v5
	v_add3_u32 v1, v1, v51, v52
	v_cmp_eq_u32_e64 s0, v4, v0
	s_cmp_lg_u32 s20, 0
	s_mov_b32 s7, -1
	s_delay_alu instid0(VALU_DEP_2)
	v_add3_u32 v55, v1, v39, v2
	s_cbranch_scc0 .LBB1737_64
; %bb.39:
	s_delay_alu instid0(VALU_DEP_1) | instskip(NEXT) | instid1(VALU_DEP_1)
	v_mov_b32_dpp v1, v55 row_shr:1 row_mask:0xf bank_mask:0xf
	v_cndmask_b32_e64 v1, v1, 0, s6
	s_delay_alu instid0(VALU_DEP_1) | instskip(NEXT) | instid1(VALU_DEP_1)
	v_add_nc_u32_e32 v1, v1, v55
	v_mov_b32_dpp v2, v1 row_shr:2 row_mask:0xf bank_mask:0xf
	s_delay_alu instid0(VALU_DEP_1) | instskip(NEXT) | instid1(VALU_DEP_1)
	v_cndmask_b32_e64 v2, 0, v2, s5
	v_add_nc_u32_e32 v1, v1, v2
	s_delay_alu instid0(VALU_DEP_1) | instskip(NEXT) | instid1(VALU_DEP_1)
	v_mov_b32_dpp v2, v1 row_shr:4 row_mask:0xf bank_mask:0xf
	v_cndmask_b32_e64 v2, 0, v2, s4
	s_delay_alu instid0(VALU_DEP_1) | instskip(NEXT) | instid1(VALU_DEP_1)
	v_add_nc_u32_e32 v1, v1, v2
	v_mov_b32_dpp v2, v1 row_shr:8 row_mask:0xf bank_mask:0xf
	s_delay_alu instid0(VALU_DEP_1) | instskip(NEXT) | instid1(VALU_DEP_1)
	v_cndmask_b32_e64 v2, 0, v2, s3
	v_add_nc_u32_e32 v1, v1, v2
	ds_swizzle_b32 v2, v1 offset:swizzle(BROADCAST,32,15)
	s_waitcnt lgkmcnt(0)
	v_cndmask_b32_e64 v2, v2, 0, s1
	s_delay_alu instid0(VALU_DEP_1)
	v_add_nc_u32_e32 v1, v1, v2
	s_and_saveexec_b32 s7, s0
	s_cbranch_execz .LBB1737_41
; %bb.40:
	v_lshlrev_b32_e32 v2, 2, v54
	ds_store_b32 v2, v1
.LBB1737_41:
	s_or_b32 exec_lo, exec_lo, s7
	s_delay_alu instid0(SALU_CYCLE_1)
	s_mov_b32 s7, exec_lo
	s_waitcnt lgkmcnt(0)
	s_barrier
	buffer_gl0_inv
	v_cmpx_gt_u32_e32 8, v0
	s_cbranch_execz .LBB1737_43
; %bb.42:
	ds_load_b32 v2, v33
	s_waitcnt lgkmcnt(0)
	v_mov_b32_dpp v4, v2 row_shr:1 row_mask:0xf bank_mask:0xf
	v_and_b32_e32 v3, 7, v53
	s_delay_alu instid0(VALU_DEP_1) | instskip(NEXT) | instid1(VALU_DEP_3)
	v_cmp_ne_u32_e32 vcc_lo, 0, v3
	v_cndmask_b32_e32 v4, 0, v4, vcc_lo
	v_cmp_lt_u32_e32 vcc_lo, 1, v3
	s_delay_alu instid0(VALU_DEP_2) | instskip(NEXT) | instid1(VALU_DEP_1)
	v_add_nc_u32_e32 v2, v4, v2
	v_mov_b32_dpp v4, v2 row_shr:2 row_mask:0xf bank_mask:0xf
	s_delay_alu instid0(VALU_DEP_1) | instskip(SKIP_1) | instid1(VALU_DEP_2)
	v_cndmask_b32_e32 v4, 0, v4, vcc_lo
	v_cmp_lt_u32_e32 vcc_lo, 3, v3
	v_add_nc_u32_e32 v2, v2, v4
	s_delay_alu instid0(VALU_DEP_1) | instskip(NEXT) | instid1(VALU_DEP_1)
	v_mov_b32_dpp v4, v2 row_shr:4 row_mask:0xf bank_mask:0xf
	v_cndmask_b32_e32 v3, 0, v4, vcc_lo
	s_delay_alu instid0(VALU_DEP_1)
	v_add_nc_u32_e32 v2, v2, v3
	ds_store_b32 v33, v2
.LBB1737_43:
	s_or_b32 exec_lo, exec_lo, s7
	v_cmp_gt_u32_e32 vcc_lo, 32, v0
	s_mov_b32 s21, exec_lo
	s_waitcnt lgkmcnt(0)
	s_barrier
	buffer_gl0_inv
                                        ; implicit-def: $vgpr8
	v_cmpx_lt_u32_e32 31, v0
	s_cbranch_execz .LBB1737_45
; %bb.44:
	v_lshl_add_u32 v2, v54, 2, -4
	ds_load_b32 v8, v2
	s_waitcnt lgkmcnt(0)
	v_add_nc_u32_e32 v1, v8, v1
.LBB1737_45:
	s_or_b32 exec_lo, exec_lo, s21
	v_add_nc_u32_e32 v2, -1, v53
	s_delay_alu instid0(VALU_DEP_1) | instskip(NEXT) | instid1(VALU_DEP_1)
	v_cmp_gt_i32_e64 s7, 0, v2
	v_cndmask_b32_e64 v2, v2, v53, s7
	v_cmp_eq_u32_e64 s7, 0, v53
	s_delay_alu instid0(VALU_DEP_2)
	v_lshlrev_b32_e32 v2, 2, v2
	ds_bpermute_b32 v9, v2, v1
	s_and_saveexec_b32 s21, vcc_lo
	s_cbranch_execz .LBB1737_63
; %bb.46:
	v_mov_b32_e32 v4, 0
	ds_load_b32 v1, v4 offset:28
	s_and_saveexec_b32 s22, s7
	s_cbranch_execz .LBB1737_48
; %bb.47:
	s_add_i32 s24, s20, 32
	s_mov_b32 s25, 0
	v_mov_b32_e32 v2, 1
	s_lshl_b64 s[24:25], s[24:25], 3
	s_delay_alu instid0(SALU_CYCLE_1)
	s_add_u32 s24, s18, s24
	s_addc_u32 s25, s19, s25
	s_waitcnt lgkmcnt(0)
	global_store_b64 v4, v[1:2], s[24:25]
.LBB1737_48:
	s_or_b32 exec_lo, exec_lo, s22
	v_xad_u32 v2, v53, -1, s20
	s_mov_b32 s23, 0
	s_mov_b32 s22, exec_lo
	s_delay_alu instid0(VALU_DEP_1) | instskip(NEXT) | instid1(VALU_DEP_1)
	v_add_nc_u32_e32 v3, 32, v2
	v_lshlrev_b64 v[3:4], 3, v[3:4]
	s_delay_alu instid0(VALU_DEP_1) | instskip(NEXT) | instid1(VALU_DEP_2)
	v_add_co_u32 v6, vcc_lo, s18, v3
	v_add_co_ci_u32_e32 v7, vcc_lo, s19, v4, vcc_lo
	global_load_b64 v[4:5], v[6:7], off glc
	s_waitcnt vmcnt(0)
	v_and_b32_e32 v3, 0xff, v5
	s_delay_alu instid0(VALU_DEP_1)
	v_cmpx_eq_u16_e32 0, v3
	s_cbranch_execz .LBB1737_51
.LBB1737_49:                            ; =>This Inner Loop Header: Depth=1
	global_load_b64 v[4:5], v[6:7], off glc
	s_waitcnt vmcnt(0)
	v_and_b32_e32 v3, 0xff, v5
	s_delay_alu instid0(VALU_DEP_1) | instskip(SKIP_1) | instid1(SALU_CYCLE_1)
	v_cmp_ne_u16_e32 vcc_lo, 0, v3
	s_or_b32 s23, vcc_lo, s23
	s_and_not1_b32 exec_lo, exec_lo, s23
	s_cbranch_execnz .LBB1737_49
; %bb.50:
	s_or_b32 exec_lo, exec_lo, s23
.LBB1737_51:
	s_delay_alu instid0(SALU_CYCLE_1)
	s_or_b32 exec_lo, exec_lo, s22
	v_cmp_ne_u32_e32 vcc_lo, 31, v53
	v_lshlrev_b32_e64 v11, v53, -1
	v_add_nc_u32_e32 v13, 2, v53
	v_add_nc_u32_e32 v15, 4, v53
	;; [unrolled: 1-line block ×3, first 2 shown]
	v_add_co_ci_u32_e32 v3, vcc_lo, 0, v53, vcc_lo
	v_add_nc_u32_e32 v58, 16, v53
	s_delay_alu instid0(VALU_DEP_2) | instskip(SKIP_2) | instid1(VALU_DEP_1)
	v_lshlrev_b32_e32 v10, 2, v3
	ds_bpermute_b32 v6, v10, v4
	v_and_b32_e32 v3, 0xff, v5
	v_cmp_eq_u16_e32 vcc_lo, 2, v3
	v_and_or_b32 v3, vcc_lo, v11, 0x80000000
	v_cmp_gt_u32_e32 vcc_lo, 30, v53
	s_delay_alu instid0(VALU_DEP_2) | instskip(SKIP_1) | instid1(VALU_DEP_2)
	v_ctz_i32_b32_e32 v3, v3
	v_cndmask_b32_e64 v7, 0, 1, vcc_lo
	v_cmp_lt_u32_e32 vcc_lo, v53, v3
	s_waitcnt lgkmcnt(0)
	s_delay_alu instid0(VALU_DEP_2) | instskip(NEXT) | instid1(VALU_DEP_1)
	v_dual_cndmask_b32 v6, 0, v6 :: v_dual_lshlrev_b32 v7, 1, v7
	v_add_lshl_u32 v12, v7, v53, 2
	v_cmp_gt_u32_e32 vcc_lo, 28, v53
	s_delay_alu instid0(VALU_DEP_3) | instskip(SKIP_4) | instid1(VALU_DEP_1)
	v_add_nc_u32_e32 v4, v6, v4
	v_cndmask_b32_e64 v7, 0, 1, vcc_lo
	v_cmp_le_u32_e32 vcc_lo, v13, v3
	ds_bpermute_b32 v6, v12, v4
	v_lshlrev_b32_e32 v7, 2, v7
	v_add_lshl_u32 v14, v7, v53, 2
	s_waitcnt lgkmcnt(0)
	v_cndmask_b32_e32 v6, 0, v6, vcc_lo
	v_cmp_gt_u32_e32 vcc_lo, 24, v53
	s_delay_alu instid0(VALU_DEP_2) | instskip(SKIP_4) | instid1(VALU_DEP_1)
	v_add_nc_u32_e32 v4, v4, v6
	v_cndmask_b32_e64 v7, 0, 1, vcc_lo
	v_cmp_le_u32_e32 vcc_lo, v15, v3
	ds_bpermute_b32 v6, v14, v4
	v_lshlrev_b32_e32 v7, 3, v7
	v_add_lshl_u32 v17, v7, v53, 2
	s_waitcnt lgkmcnt(0)
	v_cndmask_b32_e32 v6, 0, v6, vcc_lo
	v_cmp_gt_u32_e32 vcc_lo, 16, v53
	s_delay_alu instid0(VALU_DEP_2) | instskip(SKIP_4) | instid1(VALU_DEP_1)
	v_add_nc_u32_e32 v4, v4, v6
	v_cndmask_b32_e64 v7, 0, 1, vcc_lo
	v_cmp_le_u32_e32 vcc_lo, v56, v3
	ds_bpermute_b32 v6, v17, v4
	v_lshlrev_b32_e32 v7, 4, v7
	v_add_lshl_u32 v57, v7, v53, 2
	s_waitcnt lgkmcnt(0)
	v_cndmask_b32_e32 v6, 0, v6, vcc_lo
	v_cmp_le_u32_e32 vcc_lo, v58, v3
	s_delay_alu instid0(VALU_DEP_2) | instskip(SKIP_3) | instid1(VALU_DEP_1)
	v_add_nc_u32_e32 v4, v4, v6
	ds_bpermute_b32 v6, v57, v4
	s_waitcnt lgkmcnt(0)
	v_cndmask_b32_e32 v3, 0, v6, vcc_lo
	v_dual_mov_b32 v3, 0 :: v_dual_add_nc_u32 v4, v4, v3
	s_branch .LBB1737_53
.LBB1737_52:                            ;   in Loop: Header=BB1737_53 Depth=1
	s_or_b32 exec_lo, exec_lo, s22
	ds_bpermute_b32 v7, v10, v4
	v_and_b32_e32 v6, 0xff, v5
	v_subrev_nc_u32_e32 v2, 32, v2
	s_delay_alu instid0(VALU_DEP_2) | instskip(SKIP_1) | instid1(VALU_DEP_1)
	v_cmp_eq_u16_e32 vcc_lo, 2, v6
	v_and_or_b32 v6, vcc_lo, v11, 0x80000000
	v_ctz_i32_b32_e32 v6, v6
	s_delay_alu instid0(VALU_DEP_1) | instskip(SKIP_3) | instid1(VALU_DEP_2)
	v_cmp_lt_u32_e32 vcc_lo, v53, v6
	s_waitcnt lgkmcnt(0)
	v_cndmask_b32_e32 v7, 0, v7, vcc_lo
	v_cmp_le_u32_e32 vcc_lo, v13, v6
	v_add_nc_u32_e32 v4, v7, v4
	ds_bpermute_b32 v7, v12, v4
	s_waitcnt lgkmcnt(0)
	v_cndmask_b32_e32 v7, 0, v7, vcc_lo
	v_cmp_le_u32_e32 vcc_lo, v15, v6
	s_delay_alu instid0(VALU_DEP_2) | instskip(SKIP_4) | instid1(VALU_DEP_2)
	v_add_nc_u32_e32 v4, v4, v7
	ds_bpermute_b32 v7, v14, v4
	s_waitcnt lgkmcnt(0)
	v_cndmask_b32_e32 v7, 0, v7, vcc_lo
	v_cmp_le_u32_e32 vcc_lo, v56, v6
	v_add_nc_u32_e32 v4, v4, v7
	ds_bpermute_b32 v7, v17, v4
	s_waitcnt lgkmcnt(0)
	v_cndmask_b32_e32 v7, 0, v7, vcc_lo
	v_cmp_le_u32_e32 vcc_lo, v58, v6
	s_delay_alu instid0(VALU_DEP_2) | instskip(SKIP_3) | instid1(VALU_DEP_1)
	v_add_nc_u32_e32 v4, v4, v7
	ds_bpermute_b32 v7, v57, v4
	s_waitcnt lgkmcnt(0)
	v_cndmask_b32_e32 v6, 0, v7, vcc_lo
	v_add3_u32 v4, v6, v16, v4
.LBB1737_53:                            ; =>This Loop Header: Depth=1
                                        ;     Child Loop BB1737_56 Depth 2
	s_delay_alu instid0(VALU_DEP_1) | instskip(NEXT) | instid1(VALU_DEP_1)
	v_dual_mov_b32 v16, v4 :: v_dual_and_b32 v5, 0xff, v5
	v_cmp_ne_u16_e32 vcc_lo, 2, v5
	v_cndmask_b32_e64 v5, 0, 1, vcc_lo
	;;#ASMSTART
	;;#ASMEND
	s_delay_alu instid0(VALU_DEP_1)
	v_cmp_ne_u32_e32 vcc_lo, 0, v5
	s_cmp_lg_u32 vcc_lo, exec_lo
	s_cbranch_scc1 .LBB1737_58
; %bb.54:                               ;   in Loop: Header=BB1737_53 Depth=1
	v_lshlrev_b64 v[4:5], 3, v[2:3]
	s_mov_b32 s22, exec_lo
	s_delay_alu instid0(VALU_DEP_1) | instskip(NEXT) | instid1(VALU_DEP_2)
	v_add_co_u32 v6, vcc_lo, s18, v4
	v_add_co_ci_u32_e32 v7, vcc_lo, s19, v5, vcc_lo
	global_load_b64 v[4:5], v[6:7], off glc
	s_waitcnt vmcnt(0)
	v_and_b32_e32 v59, 0xff, v5
	s_delay_alu instid0(VALU_DEP_1)
	v_cmpx_eq_u16_e32 0, v59
	s_cbranch_execz .LBB1737_52
; %bb.55:                               ;   in Loop: Header=BB1737_53 Depth=1
	s_mov_b32 s23, 0
.LBB1737_56:                            ;   Parent Loop BB1737_53 Depth=1
                                        ; =>  This Inner Loop Header: Depth=2
	global_load_b64 v[4:5], v[6:7], off glc
	s_waitcnt vmcnt(0)
	v_and_b32_e32 v59, 0xff, v5
	s_delay_alu instid0(VALU_DEP_1) | instskip(SKIP_1) | instid1(SALU_CYCLE_1)
	v_cmp_ne_u16_e32 vcc_lo, 0, v59
	s_or_b32 s23, vcc_lo, s23
	s_and_not1_b32 exec_lo, exec_lo, s23
	s_cbranch_execnz .LBB1737_56
; %bb.57:                               ;   in Loop: Header=BB1737_53 Depth=1
	s_or_b32 exec_lo, exec_lo, s23
	s_branch .LBB1737_52
.LBB1737_58:                            ;   in Loop: Header=BB1737_53 Depth=1
                                        ; implicit-def: $vgpr4
                                        ; implicit-def: $vgpr5
	s_cbranch_execz .LBB1737_53
; %bb.59:
	s_and_saveexec_b32 s22, s7
	s_cbranch_execz .LBB1737_61
; %bb.60:
	s_add_i32 s24, s20, 32
	s_mov_b32 s25, 0
	v_dual_mov_b32 v3, 2 :: v_dual_add_nc_u32 v2, v16, v1
	s_lshl_b64 s[24:25], s[24:25], 3
	v_mov_b32_e32 v4, 0
	v_add_nc_u32_e64 v5, 0x3400, 0
	s_add_u32 s24, s18, s24
	s_addc_u32 s25, s19, s25
	global_store_b64 v4, v[2:3], s[24:25]
	ds_store_2addr_b32 v5, v1, v16 offset1:2
.LBB1737_61:
	s_or_b32 exec_lo, exec_lo, s22
	s_delay_alu instid0(SALU_CYCLE_1)
	s_and_b32 exec_lo, exec_lo, s2
	s_cbranch_execz .LBB1737_63
; %bb.62:
	v_mov_b32_e32 v1, 0
	ds_store_b32 v1, v16 offset:28
.LBB1737_63:
	s_or_b32 exec_lo, exec_lo, s21
	v_mov_b32_e32 v1, 0
	s_waitcnt lgkmcnt(0)
	s_waitcnt_vscnt null, 0x0
	s_barrier
	buffer_gl0_inv
	v_cndmask_b32_e64 v2, v9, v8, s7
	ds_load_b32 v1, v1 offset:28
	v_add_nc_u32_e64 v11, 0x3400, 0
	s_waitcnt lgkmcnt(0)
	s_barrier
	v_cndmask_b32_e64 v2, v2, 0, s2
	buffer_gl0_inv
	ds_load_2addr_b32 v[16:17], v11 offset1:2
	v_add_nc_u32_e32 v1, v1, v2
	s_delay_alu instid0(VALU_DEP_1) | instskip(NEXT) | instid1(VALU_DEP_1)
	v_add_nc_u32_e32 v2, v1, v44
	v_add_nc_u32_e32 v3, v2, v45
	s_delay_alu instid0(VALU_DEP_1) | instskip(NEXT) | instid1(VALU_DEP_1)
	v_add_nc_u32_e32 v4, v3, v46
	;; [unrolled: 3-line block ×6, first 2 shown]
	v_add_nc_u32_e32 v13, v12, v39
	s_branch .LBB1737_74
.LBB1737_64:
                                        ; implicit-def: $vgpr17
                                        ; implicit-def: $vgpr1_vgpr2_vgpr3_vgpr4_vgpr5_vgpr6_vgpr7_vgpr8_vgpr9_vgpr10_vgpr11_vgpr12_vgpr13_vgpr14_vgpr15_vgpr16
	s_and_b32 vcc_lo, exec_lo, s7
	s_cbranch_vccz .LBB1737_74
; %bb.65:
	s_delay_alu instid0(VALU_DEP_1) | instskip(NEXT) | instid1(VALU_DEP_1)
	v_mov_b32_dpp v1, v55 row_shr:1 row_mask:0xf bank_mask:0xf
	v_cndmask_b32_e64 v1, v1, 0, s6
	s_delay_alu instid0(VALU_DEP_1) | instskip(NEXT) | instid1(VALU_DEP_1)
	v_add_nc_u32_e32 v1, v1, v55
	v_mov_b32_dpp v2, v1 row_shr:2 row_mask:0xf bank_mask:0xf
	s_delay_alu instid0(VALU_DEP_1) | instskip(NEXT) | instid1(VALU_DEP_1)
	v_cndmask_b32_e64 v2, 0, v2, s5
	v_add_nc_u32_e32 v1, v1, v2
	s_delay_alu instid0(VALU_DEP_1) | instskip(NEXT) | instid1(VALU_DEP_1)
	v_mov_b32_dpp v2, v1 row_shr:4 row_mask:0xf bank_mask:0xf
	v_cndmask_b32_e64 v2, 0, v2, s4
	s_delay_alu instid0(VALU_DEP_1) | instskip(NEXT) | instid1(VALU_DEP_1)
	v_add_nc_u32_e32 v1, v1, v2
	v_mov_b32_dpp v2, v1 row_shr:8 row_mask:0xf bank_mask:0xf
	s_delay_alu instid0(VALU_DEP_1) | instskip(NEXT) | instid1(VALU_DEP_1)
	v_cndmask_b32_e64 v2, 0, v2, s3
	v_add_nc_u32_e32 v1, v1, v2
	ds_swizzle_b32 v2, v1 offset:swizzle(BROADCAST,32,15)
	s_waitcnt lgkmcnt(0)
	v_cndmask_b32_e64 v2, v2, 0, s1
	s_delay_alu instid0(VALU_DEP_1)
	v_add_nc_u32_e32 v1, v1, v2
	s_and_saveexec_b32 s1, s0
	s_cbranch_execz .LBB1737_67
; %bb.66:
	v_lshlrev_b32_e32 v2, 2, v54
	ds_store_b32 v2, v1
.LBB1737_67:
	s_or_b32 exec_lo, exec_lo, s1
	s_delay_alu instid0(SALU_CYCLE_1)
	s_mov_b32 s0, exec_lo
	s_waitcnt lgkmcnt(0)
	s_barrier
	buffer_gl0_inv
	v_cmpx_gt_u32_e32 8, v0
	s_cbranch_execz .LBB1737_69
; %bb.68:
	ds_load_b32 v2, v33
	s_waitcnt lgkmcnt(0)
	v_mov_b32_dpp v4, v2 row_shr:1 row_mask:0xf bank_mask:0xf
	v_and_b32_e32 v3, 7, v53
	s_delay_alu instid0(VALU_DEP_1) | instskip(NEXT) | instid1(VALU_DEP_3)
	v_cmp_ne_u32_e32 vcc_lo, 0, v3
	v_cndmask_b32_e32 v4, 0, v4, vcc_lo
	v_cmp_lt_u32_e32 vcc_lo, 1, v3
	s_delay_alu instid0(VALU_DEP_2) | instskip(NEXT) | instid1(VALU_DEP_1)
	v_add_nc_u32_e32 v2, v4, v2
	v_mov_b32_dpp v4, v2 row_shr:2 row_mask:0xf bank_mask:0xf
	s_delay_alu instid0(VALU_DEP_1) | instskip(SKIP_1) | instid1(VALU_DEP_2)
	v_cndmask_b32_e32 v4, 0, v4, vcc_lo
	v_cmp_lt_u32_e32 vcc_lo, 3, v3
	v_add_nc_u32_e32 v2, v2, v4
	s_delay_alu instid0(VALU_DEP_1) | instskip(NEXT) | instid1(VALU_DEP_1)
	v_mov_b32_dpp v4, v2 row_shr:4 row_mask:0xf bank_mask:0xf
	v_cndmask_b32_e32 v3, 0, v4, vcc_lo
	s_delay_alu instid0(VALU_DEP_1)
	v_add_nc_u32_e32 v2, v2, v3
	ds_store_b32 v33, v2
.LBB1737_69:
	s_or_b32 exec_lo, exec_lo, s0
	v_dual_mov_b32 v3, 0 :: v_dual_mov_b32 v2, 0
	s_mov_b32 s0, exec_lo
	s_waitcnt lgkmcnt(0)
	s_barrier
	buffer_gl0_inv
	v_cmpx_lt_u32_e32 31, v0
	s_cbranch_execz .LBB1737_71
; %bb.70:
	v_lshl_add_u32 v2, v54, 2, -4
	ds_load_b32 v2, v2
.LBB1737_71:
	s_or_b32 exec_lo, exec_lo, s0
	v_add_nc_u32_e32 v4, -1, v53
	s_waitcnt lgkmcnt(0)
	v_add_nc_u32_e32 v1, v2, v1
	ds_load_b32 v16, v3 offset:28
	v_cmp_gt_i32_e32 vcc_lo, 0, v4
	v_cndmask_b32_e32 v4, v4, v53, vcc_lo
	s_delay_alu instid0(VALU_DEP_1)
	v_lshlrev_b32_e32 v4, 2, v4
	ds_bpermute_b32 v1, v4, v1
	s_and_saveexec_b32 s0, s2
	s_cbranch_execz .LBB1737_73
; %bb.72:
	v_mov_b32_e32 v3, 0
	v_mov_b32_e32 v17, 2
	s_waitcnt lgkmcnt(1)
	global_store_b64 v3, v[16:17], s[18:19] offset:256
.LBB1737_73:
	s_or_b32 exec_lo, exec_lo, s0
	v_cmp_eq_u32_e32 vcc_lo, 0, v53
	s_waitcnt lgkmcnt(0)
	s_waitcnt_vscnt null, 0x0
	s_barrier
	buffer_gl0_inv
	v_mov_b32_e32 v17, 0
	v_cndmask_b32_e32 v1, v1, v2, vcc_lo
	s_delay_alu instid0(VALU_DEP_1) | instskip(NEXT) | instid1(VALU_DEP_1)
	v_cndmask_b32_e64 v1, v1, 0, s2
	v_add_nc_u32_e32 v2, v1, v44
	s_delay_alu instid0(VALU_DEP_1) | instskip(NEXT) | instid1(VALU_DEP_1)
	v_add_nc_u32_e32 v3, v2, v45
	v_add_nc_u32_e32 v4, v3, v46
	s_delay_alu instid0(VALU_DEP_1) | instskip(NEXT) | instid1(VALU_DEP_1)
	v_add_nc_u32_e32 v5, v4, v43
	;; [unrolled: 3-line block ×5, first 2 shown]
	v_add_nc_u32_e32 v12, v11, v52
	s_delay_alu instid0(VALU_DEP_1)
	v_add_nc_u32_e32 v13, v12, v39
.LBB1737_74:
	s_waitcnt lgkmcnt(0)
	v_sub_nc_u32_e32 v1, v1, v17
	v_sub_nc_u32_e32 v2, v2, v17
	v_add_nc_u32_e32 v36, v16, v36
	v_lshrrev_b32_e32 v47, 8, v42
	v_lshrrev_b32_e32 v46, 16, v42
	v_sub_nc_u32_e32 v4, v4, v17
	v_sub_nc_u32_e32 v3, v3, v17
	;; [unrolled: 1-line block ×3, first 2 shown]
	v_and_b32_e32 v42, 1, v42
	v_and_b32_e32 v47, 1, v47
	;; [unrolled: 1-line block ×3, first 2 shown]
	v_lshrrev_b32_e32 v45, 8, v40
	v_lshrrev_b32_e32 v44, 16, v40
	v_cmp_eq_u32_e32 vcc_lo, 1, v42
	v_and_b32_e32 v42, 1, v46
	v_sub_nc_u32_e32 v46, v36, v2
	v_lshrrev_b32_e32 v15, 8, v38
	v_lshrrev_b32_e32 v14, 16, v38
	v_cndmask_b32_e32 v1, v48, v1, vcc_lo
	v_cmp_eq_u32_e32 vcc_lo, 1, v47
	v_add_nc_u32_e32 v46, 1, v46
	s_delay_alu instid0(VALU_DEP_3)
	v_lshlrev_b32_e32 v1, 2, v1
	ds_store_b32 v1, v30
	v_cndmask_b32_e32 v1, v46, v2, vcc_lo
	v_sub_nc_u32_e32 v48, v36, v3
	v_sub_nc_u32_e32 v49, v36, v4
	v_cmp_eq_u32_e32 vcc_lo, 1, v42
	v_or_b32_e32 v30, 0x300, v0
	v_lshlrev_b32_e32 v1, 2, v1
	v_add_nc_u32_e32 v48, 2, v48
	v_add_nc_u32_e32 v49, 3, v49
	ds_store_b32 v1, v31
	v_cndmask_b32_e32 v2, v48, v3, vcc_lo
	v_cmp_eq_u32_e32 vcc_lo, 1, v43
	v_or_b32_e32 v31, 0x200, v0
	s_delay_alu instid0(VALU_DEP_3) | instskip(SKIP_2) | instid1(VALU_DEP_3)
	v_dual_cndmask_b32 v3, v49, v4 :: v_dual_lshlrev_b32 v2, 2, v2
	v_sub_nc_u32_e32 v4, v5, v17
	v_sub_nc_u32_e32 v5, v6, v17
	v_lshlrev_b32_e32 v3, 2, v3
	s_delay_alu instid0(VALU_DEP_3) | instskip(NEXT) | instid1(VALU_DEP_3)
	v_sub_nc_u32_e32 v1, v36, v4
	v_sub_nc_u32_e32 v6, v36, v5
	ds_store_b32 v2, v28
	ds_store_b32 v3, v29
	v_and_b32_e32 v2, 1, v40
	v_add_nc_u32_e32 v1, 4, v1
	v_add_nc_u32_e32 v3, 5, v6
	v_sub_nc_u32_e32 v6, v7, v17
	v_and_b32_e32 v7, 1, v45
	v_cmp_eq_u32_e32 vcc_lo, 1, v2
	v_sub_nc_u32_e32 v2, v8, v17
	v_and_b32_e32 v8, 1, v41
	v_or_b32_e32 v29, 0x400, v0
	v_or_b32_e32 v28, 0x500, v0
	v_cndmask_b32_e32 v1, v1, v4, vcc_lo
	v_sub_nc_u32_e32 v4, v36, v6
	v_cmp_eq_u32_e32 vcc_lo, 1, v7
	v_and_b32_e32 v7, 1, v44
	s_delay_alu instid0(VALU_DEP_4) | instskip(NEXT) | instid1(VALU_DEP_4)
	v_lshlrev_b32_e32 v1, 2, v1
	v_dual_cndmask_b32 v3, v3, v5 :: v_dual_add_nc_u32 v4, 6, v4
	v_sub_nc_u32_e32 v5, v36, v2
	s_delay_alu instid0(VALU_DEP_4) | instskip(SKIP_2) | instid1(VALU_DEP_4)
	v_cmp_eq_u32_e32 vcc_lo, 1, v7
	v_sub_nc_u32_e32 v7, v13, v17
	v_add_co_u32 v13, s0, s16, v32
	v_dual_cndmask_b32 v4, v4, v6 :: v_dual_add_nc_u32 v5, 7, v5
	v_cmp_eq_u32_e32 vcc_lo, 1, v8
	v_sub_nc_u32_e32 v6, v9, v17
	v_lshlrev_b32_e32 v3, 2, v3
	ds_store_b32 v1, v26
	ds_store_b32 v3, v27
	v_cndmask_b32_e32 v2, v5, v2, vcc_lo
	v_sub_nc_u32_e32 v1, v36, v6
	v_lshlrev_b32_e32 v3, 2, v4
	v_and_b32_e32 v5, 1, v38
	v_sub_nc_u32_e32 v4, v10, v17
	v_lshlrev_b32_e32 v2, 2, v2
	v_add_nc_u32_e32 v1, 8, v1
	ds_store_b32 v3, v24
	ds_store_b32 v2, v25
	v_cmp_eq_u32_e32 vcc_lo, 1, v5
	v_sub_nc_u32_e32 v3, v11, v17
	v_sub_nc_u32_e32 v2, v36, v4
	;; [unrolled: 1-line block ×3, first 2 shown]
	v_dual_cndmask_b32 v1, v1, v6 :: v_dual_and_b32 v10, 1, v39
	v_and_b32_e32 v6, 1, v15
	v_sub_nc_u32_e32 v8, v36, v3
	v_add_nc_u32_e32 v2, 9, v2
	v_sub_nc_u32_e32 v9, v36, v5
	v_and_b32_e32 v11, 1, v37
	v_cmp_eq_u32_e32 vcc_lo, 1, v6
	v_add_nc_u32_e32 v6, 10, v8
	v_and_b32_e32 v8, 1, v14
	v_add_nc_u32_e32 v9, 11, v9
	v_dual_cndmask_b32 v2, v2, v4 :: v_dual_lshlrev_b32 v1, 2, v1
	v_sub_nc_u32_e32 v4, v36, v7
	s_delay_alu instid0(VALU_DEP_4) | instskip(SKIP_1) | instid1(VALU_DEP_4)
	v_cmp_eq_u32_e32 vcc_lo, 1, v8
	v_add_co_ci_u32_e64 v14, null, s17, 0, s0
	v_lshlrev_b32_e32 v2, 2, v2
	s_delay_alu instid0(VALU_DEP_4)
	v_dual_cndmask_b32 v3, v6, v3 :: v_dual_add_nc_u32 v4, 12, v4
	v_cmp_eq_u32_e32 vcc_lo, 1, v10
	v_or_b32_e32 v27, 0x600, v0
	v_or_b32_e32 v26, 0x700, v0
	;; [unrolled: 1-line block ×3, first 2 shown]
	v_lshlrev_b32_e32 v3, 2, v3
	v_cndmask_b32_e32 v5, v9, v5, vcc_lo
	v_cmp_eq_u32_e32 vcc_lo, 1, v11
	v_or_b32_e32 v24, 0x900, v0
	s_delay_alu instid0(VALU_DEP_3) | instskip(SKIP_2) | instid1(VALU_DEP_3)
	v_dual_cndmask_b32 v4, v4, v7 :: v_dual_lshlrev_b32 v5, 2, v5
	v_sub_co_u32 v13, vcc_lo, s14, v13
	v_sub_co_ci_u32_e32 v14, vcc_lo, s15, v14, vcc_lo
	v_lshlrev_b32_e32 v4, 2, v4
	ds_store_b32 v1, v22
	ds_store_b32 v2, v23
	;; [unrolled: 1-line block ×5, first 2 shown]
	s_waitcnt lgkmcnt(0)
	s_barrier
	buffer_gl0_inv
	ds_load_2addr_stride64_b32 v[11:12], v33 offset1:4
	ds_load_2addr_stride64_b32 v[9:10], v33 offset0:8 offset1:12
	ds_load_2addr_stride64_b32 v[7:8], v33 offset0:16 offset1:20
	;; [unrolled: 1-line block ×5, first 2 shown]
	ds_load_b32 v20, v33 offset:12288
	v_add_co_u32 v15, vcc_lo, v18, v17
	v_add_co_ci_u32_e32 v17, vcc_lo, 0, v19, vcc_lo
	v_add_co_u32 v13, vcc_lo, v13, v16
	v_add_co_ci_u32_e32 v14, vcc_lo, 0, v14, vcc_lo
	v_cmp_ne_u32_e32 vcc_lo, 1, v34
	s_delay_alu instid0(VALU_DEP_3)
	v_add_co_u32 v18, s0, v13, v15
	v_or_b32_e32 v35, 0x100, v0
	v_or_b32_e32 v23, 0xa00, v0
	;; [unrolled: 1-line block ×4, first 2 shown]
	v_add_co_ci_u32_e64 v19, s0, v14, v17, s0
	s_mov_b32 s0, 0
	s_cbranch_vccnz .LBB1737_131
; %bb.75:
	s_mov_b32 s0, exec_lo
                                        ; implicit-def: $vgpr13_vgpr14
	v_cmpx_ge_u32_e64 v0, v16
	s_xor_b32 s0, exec_lo, s0
; %bb.76:
	v_not_b32_e32 v13, v0
	s_delay_alu instid0(VALU_DEP_1) | instskip(SKIP_1) | instid1(VALU_DEP_2)
	v_ashrrev_i32_e32 v14, 31, v13
	v_add_co_u32 v13, vcc_lo, v18, v13
	v_add_co_ci_u32_e32 v14, vcc_lo, v19, v14, vcc_lo
; %bb.77:
	s_and_not1_saveexec_b32 s0, s0
; %bb.78:
	v_add_co_u32 v13, vcc_lo, v15, v0
	v_add_co_ci_u32_e32 v14, vcc_lo, 0, v17, vcc_lo
; %bb.79:
	s_or_b32 exec_lo, exec_lo, s0
	s_delay_alu instid0(VALU_DEP_1) | instskip(SKIP_1) | instid1(VALU_DEP_1)
	v_lshlrev_b64 v[13:14], 2, v[13:14]
	s_mov_b32 s0, exec_lo
	v_add_co_u32 v13, vcc_lo, s12, v13
	s_delay_alu instid0(VALU_DEP_2)
	v_add_co_ci_u32_e32 v14, vcc_lo, s13, v14, vcc_lo
	s_waitcnt lgkmcnt(6)
	global_store_b32 v[13:14], v11, off
                                        ; implicit-def: $vgpr13_vgpr14
	v_cmpx_ge_u32_e64 v35, v16
	s_xor_b32 s0, exec_lo, s0
; %bb.80:
	v_xor_b32_e32 v13, 0xfffffeff, v0
	s_delay_alu instid0(VALU_DEP_1) | instskip(SKIP_1) | instid1(VALU_DEP_2)
	v_ashrrev_i32_e32 v14, 31, v13
	v_add_co_u32 v13, vcc_lo, v18, v13
	v_add_co_ci_u32_e32 v14, vcc_lo, v19, v14, vcc_lo
; %bb.81:
	s_and_not1_saveexec_b32 s0, s0
; %bb.82:
	v_add_co_u32 v13, vcc_lo, v15, v35
	v_add_co_ci_u32_e32 v14, vcc_lo, 0, v17, vcc_lo
; %bb.83:
	s_or_b32 exec_lo, exec_lo, s0
	s_delay_alu instid0(VALU_DEP_1) | instskip(SKIP_1) | instid1(VALU_DEP_1)
	v_lshlrev_b64 v[13:14], 2, v[13:14]
	s_mov_b32 s0, exec_lo
	v_add_co_u32 v13, vcc_lo, s12, v13
	s_delay_alu instid0(VALU_DEP_2)
	v_add_co_ci_u32_e32 v14, vcc_lo, s13, v14, vcc_lo
	global_store_b32 v[13:14], v12, off
                                        ; implicit-def: $vgpr13_vgpr14
	v_cmpx_ge_u32_e64 v31, v16
	s_xor_b32 s0, exec_lo, s0
; %bb.84:
	v_xor_b32_e32 v13, 0xfffffdff, v0
	s_delay_alu instid0(VALU_DEP_1) | instskip(SKIP_1) | instid1(VALU_DEP_2)
	v_ashrrev_i32_e32 v14, 31, v13
	v_add_co_u32 v13, vcc_lo, v18, v13
	v_add_co_ci_u32_e32 v14, vcc_lo, v19, v14, vcc_lo
; %bb.85:
	s_and_not1_saveexec_b32 s0, s0
; %bb.86:
	v_add_co_u32 v13, vcc_lo, v15, v31
	v_add_co_ci_u32_e32 v14, vcc_lo, 0, v17, vcc_lo
; %bb.87:
	s_or_b32 exec_lo, exec_lo, s0
	s_delay_alu instid0(VALU_DEP_1) | instskip(SKIP_1) | instid1(VALU_DEP_1)
	v_lshlrev_b64 v[13:14], 2, v[13:14]
	s_mov_b32 s0, exec_lo
	v_add_co_u32 v13, vcc_lo, s12, v13
	s_delay_alu instid0(VALU_DEP_2)
	v_add_co_ci_u32_e32 v14, vcc_lo, s13, v14, vcc_lo
	s_waitcnt lgkmcnt(5)
	global_store_b32 v[13:14], v9, off
                                        ; implicit-def: $vgpr13_vgpr14
	v_cmpx_ge_u32_e64 v30, v16
	s_xor_b32 s0, exec_lo, s0
; %bb.88:
	v_xor_b32_e32 v13, 0xfffffcff, v0
	s_delay_alu instid0(VALU_DEP_1) | instskip(SKIP_1) | instid1(VALU_DEP_2)
	v_ashrrev_i32_e32 v14, 31, v13
	v_add_co_u32 v13, vcc_lo, v18, v13
	v_add_co_ci_u32_e32 v14, vcc_lo, v19, v14, vcc_lo
; %bb.89:
	s_and_not1_saveexec_b32 s0, s0
; %bb.90:
	v_add_co_u32 v13, vcc_lo, v15, v30
	v_add_co_ci_u32_e32 v14, vcc_lo, 0, v17, vcc_lo
; %bb.91:
	s_or_b32 exec_lo, exec_lo, s0
	s_delay_alu instid0(VALU_DEP_1) | instskip(SKIP_1) | instid1(VALU_DEP_1)
	v_lshlrev_b64 v[13:14], 2, v[13:14]
	s_mov_b32 s0, exec_lo
	v_add_co_u32 v13, vcc_lo, s12, v13
	s_delay_alu instid0(VALU_DEP_2)
	v_add_co_ci_u32_e32 v14, vcc_lo, s13, v14, vcc_lo
	global_store_b32 v[13:14], v10, off
                                        ; implicit-def: $vgpr13_vgpr14
	v_cmpx_ge_u32_e64 v29, v16
	s_xor_b32 s0, exec_lo, s0
; %bb.92:
	v_xor_b32_e32 v13, 0xfffffbff, v0
	;; [unrolled: 47-line block ×6, first 2 shown]
	s_delay_alu instid0(VALU_DEP_1) | instskip(SKIP_1) | instid1(VALU_DEP_2)
	v_ashrrev_i32_e32 v14, 31, v13
	v_add_co_u32 v13, vcc_lo, v18, v13
	v_add_co_ci_u32_e32 v14, vcc_lo, v19, v14, vcc_lo
; %bb.125:
	s_and_not1_saveexec_b32 s0, s0
; %bb.126:
	v_add_co_u32 v13, vcc_lo, v15, v21
	v_add_co_ci_u32_e32 v14, vcc_lo, 0, v17, vcc_lo
; %bb.127:
	s_or_b32 exec_lo, exec_lo, s0
	s_mov_b32 s0, -1
.LBB1737_128:
	s_delay_alu instid0(SALU_CYCLE_1)
	s_and_saveexec_b32 s1, s0
	s_cbranch_execz .LBB1737_211
.LBB1737_129:
	s_waitcnt lgkmcnt(1)
	v_lshlrev_b64 v[0:1], 2, v[13:14]
	s_delay_alu instid0(VALU_DEP_1) | instskip(NEXT) | instid1(VALU_DEP_2)
	v_add_co_u32 v0, vcc_lo, s12, v0
	v_add_co_ci_u32_e32 v1, vcc_lo, s13, v1, vcc_lo
	s_waitcnt lgkmcnt(0)
	global_store_b32 v[0:1], v20, off
	s_or_b32 exec_lo, exec_lo, s1
	s_and_b32 s0, s2, s10
	s_delay_alu instid0(SALU_CYCLE_1)
	s_and_saveexec_b32 s1, s0
	s_cbranch_execnz .LBB1737_212
.LBB1737_130:
	s_nop 0
	s_sendmsg sendmsg(MSG_DEALLOC_VGPRS)
	s_endpgm
.LBB1737_131:
                                        ; implicit-def: $vgpr13_vgpr14
	s_cbranch_execz .LBB1737_128
; %bb.132:
	s_mov_b32 s1, exec_lo
	v_cmpx_gt_u32_e64 s11, v0
	s_cbranch_execz .LBB1737_168
; %bb.133:
	s_mov_b32 s3, exec_lo
                                        ; implicit-def: $vgpr13_vgpr14
	v_cmpx_ge_u32_e64 v0, v16
	s_xor_b32 s3, exec_lo, s3
; %bb.134:
	v_not_b32_e32 v13, v0
	s_delay_alu instid0(VALU_DEP_1) | instskip(SKIP_1) | instid1(VALU_DEP_2)
	v_ashrrev_i32_e32 v14, 31, v13
	v_add_co_u32 v13, vcc_lo, v18, v13
	v_add_co_ci_u32_e32 v14, vcc_lo, v19, v14, vcc_lo
; %bb.135:
	s_and_not1_saveexec_b32 s3, s3
; %bb.136:
	v_add_co_u32 v13, vcc_lo, v15, v0
	v_add_co_ci_u32_e32 v14, vcc_lo, 0, v17, vcc_lo
; %bb.137:
	s_or_b32 exec_lo, exec_lo, s3
	s_delay_alu instid0(VALU_DEP_1) | instskip(NEXT) | instid1(VALU_DEP_1)
	v_lshlrev_b64 v[13:14], 2, v[13:14]
	v_add_co_u32 v13, vcc_lo, s12, v13
	s_delay_alu instid0(VALU_DEP_2) | instskip(SKIP_3) | instid1(SALU_CYCLE_1)
	v_add_co_ci_u32_e32 v14, vcc_lo, s13, v14, vcc_lo
	s_waitcnt lgkmcnt(6)
	global_store_b32 v[13:14], v11, off
	s_or_b32 exec_lo, exec_lo, s1
	s_mov_b32 s1, exec_lo
	v_cmpx_gt_u32_e64 s11, v35
	s_cbranch_execnz .LBB1737_169
.LBB1737_138:
	s_or_b32 exec_lo, exec_lo, s1
	s_delay_alu instid0(SALU_CYCLE_1)
	s_mov_b32 s1, exec_lo
	v_cmpx_gt_u32_e64 s11, v31
	s_cbranch_execz .LBB1737_174
.LBB1737_139:
	s_mov_b32 s3, exec_lo
                                        ; implicit-def: $vgpr11_vgpr12
	v_cmpx_ge_u32_e64 v31, v16
	s_xor_b32 s3, exec_lo, s3
	s_cbranch_execz .LBB1737_141
; %bb.140:
	s_waitcnt lgkmcnt(6)
	v_xor_b32_e32 v11, 0xfffffdff, v0
                                        ; implicit-def: $vgpr31
	s_delay_alu instid0(VALU_DEP_1) | instskip(SKIP_1) | instid1(VALU_DEP_2)
	v_ashrrev_i32_e32 v12, 31, v11
	v_add_co_u32 v11, vcc_lo, v18, v11
	v_add_co_ci_u32_e32 v12, vcc_lo, v19, v12, vcc_lo
.LBB1737_141:
	s_and_not1_saveexec_b32 s3, s3
	s_cbranch_execz .LBB1737_143
; %bb.142:
	s_waitcnt lgkmcnt(6)
	v_add_co_u32 v11, vcc_lo, v15, v31
	v_add_co_ci_u32_e32 v12, vcc_lo, 0, v17, vcc_lo
.LBB1737_143:
	s_or_b32 exec_lo, exec_lo, s3
	s_waitcnt lgkmcnt(6)
	s_delay_alu instid0(VALU_DEP_1) | instskip(NEXT) | instid1(VALU_DEP_1)
	v_lshlrev_b64 v[11:12], 2, v[11:12]
	v_add_co_u32 v11, vcc_lo, s12, v11
	s_delay_alu instid0(VALU_DEP_2) | instskip(SKIP_3) | instid1(SALU_CYCLE_1)
	v_add_co_ci_u32_e32 v12, vcc_lo, s13, v12, vcc_lo
	s_waitcnt lgkmcnt(5)
	global_store_b32 v[11:12], v9, off
	s_or_b32 exec_lo, exec_lo, s1
	s_mov_b32 s1, exec_lo
	v_cmpx_gt_u32_e64 s11, v30
	s_cbranch_execnz .LBB1737_175
.LBB1737_144:
	s_or_b32 exec_lo, exec_lo, s1
	s_delay_alu instid0(SALU_CYCLE_1)
	s_mov_b32 s1, exec_lo
	v_cmpx_gt_u32_e64 s11, v29
	s_cbranch_execz .LBB1737_180
.LBB1737_145:
	s_mov_b32 s3, exec_lo
                                        ; implicit-def: $vgpr9_vgpr10
	v_cmpx_ge_u32_e64 v29, v16
	s_xor_b32 s3, exec_lo, s3
	s_cbranch_execz .LBB1737_147
; %bb.146:
	s_waitcnt lgkmcnt(5)
	v_xor_b32_e32 v9, 0xfffffbff, v0
                                        ; implicit-def: $vgpr29
	s_delay_alu instid0(VALU_DEP_1) | instskip(SKIP_1) | instid1(VALU_DEP_2)
	v_ashrrev_i32_e32 v10, 31, v9
	v_add_co_u32 v9, vcc_lo, v18, v9
	v_add_co_ci_u32_e32 v10, vcc_lo, v19, v10, vcc_lo
.LBB1737_147:
	s_and_not1_saveexec_b32 s3, s3
	s_cbranch_execz .LBB1737_149
; %bb.148:
	s_waitcnt lgkmcnt(5)
	v_add_co_u32 v9, vcc_lo, v15, v29
	v_add_co_ci_u32_e32 v10, vcc_lo, 0, v17, vcc_lo
.LBB1737_149:
	s_or_b32 exec_lo, exec_lo, s3
	s_waitcnt lgkmcnt(5)
	s_delay_alu instid0(VALU_DEP_1) | instskip(NEXT) | instid1(VALU_DEP_1)
	v_lshlrev_b64 v[9:10], 2, v[9:10]
	v_add_co_u32 v9, vcc_lo, s12, v9
	s_delay_alu instid0(VALU_DEP_2) | instskip(SKIP_3) | instid1(SALU_CYCLE_1)
	v_add_co_ci_u32_e32 v10, vcc_lo, s13, v10, vcc_lo
	s_waitcnt lgkmcnt(4)
	global_store_b32 v[9:10], v7, off
	s_or_b32 exec_lo, exec_lo, s1
	s_mov_b32 s1, exec_lo
	v_cmpx_gt_u32_e64 s11, v28
	s_cbranch_execnz .LBB1737_181
.LBB1737_150:
	s_or_b32 exec_lo, exec_lo, s1
	s_delay_alu instid0(SALU_CYCLE_1)
	s_mov_b32 s1, exec_lo
	v_cmpx_gt_u32_e64 s11, v27
	s_cbranch_execz .LBB1737_186
.LBB1737_151:
	s_mov_b32 s3, exec_lo
                                        ; implicit-def: $vgpr7_vgpr8
	v_cmpx_ge_u32_e64 v27, v16
	s_xor_b32 s3, exec_lo, s3
	s_cbranch_execz .LBB1737_153
; %bb.152:
	s_waitcnt lgkmcnt(4)
	v_xor_b32_e32 v7, 0xfffff9ff, v0
                                        ; implicit-def: $vgpr27
	s_delay_alu instid0(VALU_DEP_1) | instskip(SKIP_1) | instid1(VALU_DEP_2)
	v_ashrrev_i32_e32 v8, 31, v7
	v_add_co_u32 v7, vcc_lo, v18, v7
	v_add_co_ci_u32_e32 v8, vcc_lo, v19, v8, vcc_lo
.LBB1737_153:
	s_and_not1_saveexec_b32 s3, s3
	s_cbranch_execz .LBB1737_155
; %bb.154:
	s_waitcnt lgkmcnt(4)
	v_add_co_u32 v7, vcc_lo, v15, v27
	v_add_co_ci_u32_e32 v8, vcc_lo, 0, v17, vcc_lo
.LBB1737_155:
	s_or_b32 exec_lo, exec_lo, s3
	s_waitcnt lgkmcnt(4)
	s_delay_alu instid0(VALU_DEP_1) | instskip(NEXT) | instid1(VALU_DEP_1)
	v_lshlrev_b64 v[7:8], 2, v[7:8]
	v_add_co_u32 v7, vcc_lo, s12, v7
	s_delay_alu instid0(VALU_DEP_2) | instskip(SKIP_3) | instid1(SALU_CYCLE_1)
	v_add_co_ci_u32_e32 v8, vcc_lo, s13, v8, vcc_lo
	s_waitcnt lgkmcnt(3)
	global_store_b32 v[7:8], v5, off
	s_or_b32 exec_lo, exec_lo, s1
	s_mov_b32 s1, exec_lo
	v_cmpx_gt_u32_e64 s11, v26
	s_cbranch_execnz .LBB1737_187
.LBB1737_156:
	s_or_b32 exec_lo, exec_lo, s1
	s_delay_alu instid0(SALU_CYCLE_1)
	s_mov_b32 s1, exec_lo
	v_cmpx_gt_u32_e64 s11, v25
	s_cbranch_execz .LBB1737_192
.LBB1737_157:
	s_mov_b32 s3, exec_lo
                                        ; implicit-def: $vgpr5_vgpr6
	v_cmpx_ge_u32_e64 v25, v16
	s_xor_b32 s3, exec_lo, s3
	s_cbranch_execz .LBB1737_159
; %bb.158:
	s_waitcnt lgkmcnt(3)
	v_xor_b32_e32 v5, 0xfffff7ff, v0
                                        ; implicit-def: $vgpr25
	s_delay_alu instid0(VALU_DEP_1) | instskip(SKIP_1) | instid1(VALU_DEP_2)
	v_ashrrev_i32_e32 v6, 31, v5
	v_add_co_u32 v5, vcc_lo, v18, v5
	v_add_co_ci_u32_e32 v6, vcc_lo, v19, v6, vcc_lo
.LBB1737_159:
	s_and_not1_saveexec_b32 s3, s3
	s_cbranch_execz .LBB1737_161
; %bb.160:
	s_waitcnt lgkmcnt(3)
	v_add_co_u32 v5, vcc_lo, v15, v25
	v_add_co_ci_u32_e32 v6, vcc_lo, 0, v17, vcc_lo
.LBB1737_161:
	s_or_b32 exec_lo, exec_lo, s3
	s_waitcnt lgkmcnt(3)
	s_delay_alu instid0(VALU_DEP_1) | instskip(NEXT) | instid1(VALU_DEP_1)
	v_lshlrev_b64 v[5:6], 2, v[5:6]
	v_add_co_u32 v5, vcc_lo, s12, v5
	s_delay_alu instid0(VALU_DEP_2) | instskip(SKIP_3) | instid1(SALU_CYCLE_1)
	v_add_co_ci_u32_e32 v6, vcc_lo, s13, v6, vcc_lo
	s_waitcnt lgkmcnt(2)
	global_store_b32 v[5:6], v3, off
	s_or_b32 exec_lo, exec_lo, s1
	s_mov_b32 s1, exec_lo
	v_cmpx_gt_u32_e64 s11, v24
	s_cbranch_execnz .LBB1737_193
.LBB1737_162:
	s_or_b32 exec_lo, exec_lo, s1
	s_delay_alu instid0(SALU_CYCLE_1)
	s_mov_b32 s1, exec_lo
	v_cmpx_gt_u32_e64 s11, v23
	s_cbranch_execz .LBB1737_198
.LBB1737_163:
	s_mov_b32 s3, exec_lo
                                        ; implicit-def: $vgpr3_vgpr4
	v_cmpx_ge_u32_e64 v23, v16
	s_xor_b32 s3, exec_lo, s3
	s_cbranch_execz .LBB1737_165
; %bb.164:
	s_waitcnt lgkmcnt(2)
	v_xor_b32_e32 v3, 0xfffff5ff, v0
                                        ; implicit-def: $vgpr23
	s_delay_alu instid0(VALU_DEP_1) | instskip(SKIP_1) | instid1(VALU_DEP_2)
	v_ashrrev_i32_e32 v4, 31, v3
	v_add_co_u32 v3, vcc_lo, v18, v3
	v_add_co_ci_u32_e32 v4, vcc_lo, v19, v4, vcc_lo
.LBB1737_165:
	s_and_not1_saveexec_b32 s3, s3
	s_cbranch_execz .LBB1737_167
; %bb.166:
	s_waitcnt lgkmcnt(2)
	v_add_co_u32 v3, vcc_lo, v15, v23
	v_add_co_ci_u32_e32 v4, vcc_lo, 0, v17, vcc_lo
.LBB1737_167:
	s_or_b32 exec_lo, exec_lo, s3
	s_waitcnt lgkmcnt(2)
	s_delay_alu instid0(VALU_DEP_1) | instskip(NEXT) | instid1(VALU_DEP_1)
	v_lshlrev_b64 v[3:4], 2, v[3:4]
	v_add_co_u32 v3, vcc_lo, s12, v3
	s_delay_alu instid0(VALU_DEP_2) | instskip(SKIP_3) | instid1(SALU_CYCLE_1)
	v_add_co_ci_u32_e32 v4, vcc_lo, s13, v4, vcc_lo
	s_waitcnt lgkmcnt(1)
	global_store_b32 v[3:4], v1, off
	s_or_b32 exec_lo, exec_lo, s1
	s_mov_b32 s1, exec_lo
	v_cmpx_gt_u32_e64 s11, v22
	s_cbranch_execz .LBB1737_204
	s_branch .LBB1737_199
.LBB1737_168:
	s_or_b32 exec_lo, exec_lo, s1
	s_delay_alu instid0(SALU_CYCLE_1)
	s_mov_b32 s1, exec_lo
	v_cmpx_gt_u32_e64 s11, v35
	s_cbranch_execz .LBB1737_138
.LBB1737_169:
	s_mov_b32 s3, exec_lo
                                        ; implicit-def: $vgpr13_vgpr14
	v_cmpx_ge_u32_e64 v35, v16
	s_xor_b32 s3, exec_lo, s3
	s_cbranch_execz .LBB1737_171
; %bb.170:
	s_waitcnt lgkmcnt(6)
	v_xor_b32_e32 v11, 0xfffffeff, v0
                                        ; implicit-def: $vgpr35
	s_delay_alu instid0(VALU_DEP_1) | instskip(SKIP_1) | instid1(VALU_DEP_2)
	v_ashrrev_i32_e32 v14, 31, v11
	v_add_co_u32 v13, vcc_lo, v18, v11
	v_add_co_ci_u32_e32 v14, vcc_lo, v19, v14, vcc_lo
.LBB1737_171:
	s_and_not1_saveexec_b32 s3, s3
; %bb.172:
	v_add_co_u32 v13, vcc_lo, v15, v35
	v_add_co_ci_u32_e32 v14, vcc_lo, 0, v17, vcc_lo
; %bb.173:
	s_or_b32 exec_lo, exec_lo, s3
	s_delay_alu instid0(VALU_DEP_1) | instskip(NEXT) | instid1(VALU_DEP_1)
	v_lshlrev_b64 v[13:14], 2, v[13:14]
	v_add_co_u32 v13, vcc_lo, s12, v13
	s_delay_alu instid0(VALU_DEP_2) | instskip(SKIP_3) | instid1(SALU_CYCLE_1)
	v_add_co_ci_u32_e32 v14, vcc_lo, s13, v14, vcc_lo
	s_waitcnt lgkmcnt(6)
	global_store_b32 v[13:14], v12, off
	s_or_b32 exec_lo, exec_lo, s1
	s_mov_b32 s1, exec_lo
	v_cmpx_gt_u32_e64 s11, v31
	s_cbranch_execnz .LBB1737_139
.LBB1737_174:
	s_or_b32 exec_lo, exec_lo, s1
	s_delay_alu instid0(SALU_CYCLE_1)
	s_mov_b32 s1, exec_lo
	v_cmpx_gt_u32_e64 s11, v30
	s_cbranch_execz .LBB1737_144
.LBB1737_175:
	s_mov_b32 s3, exec_lo
                                        ; implicit-def: $vgpr11_vgpr12
	v_cmpx_ge_u32_e64 v30, v16
	s_xor_b32 s3, exec_lo, s3
	s_cbranch_execz .LBB1737_177
; %bb.176:
	s_waitcnt lgkmcnt(5)
	v_xor_b32_e32 v9, 0xfffffcff, v0
                                        ; implicit-def: $vgpr30
	s_delay_alu instid0(VALU_DEP_1) | instskip(SKIP_1) | instid1(VALU_DEP_2)
	v_ashrrev_i32_e32 v12, 31, v9
	v_add_co_u32 v11, vcc_lo, v18, v9
	v_add_co_ci_u32_e32 v12, vcc_lo, v19, v12, vcc_lo
.LBB1737_177:
	s_and_not1_saveexec_b32 s3, s3
	s_cbranch_execz .LBB1737_179
; %bb.178:
	s_waitcnt lgkmcnt(6)
	v_add_co_u32 v11, vcc_lo, v15, v30
	v_add_co_ci_u32_e32 v12, vcc_lo, 0, v17, vcc_lo
.LBB1737_179:
	s_or_b32 exec_lo, exec_lo, s3
	s_waitcnt lgkmcnt(6)
	s_delay_alu instid0(VALU_DEP_1) | instskip(NEXT) | instid1(VALU_DEP_1)
	v_lshlrev_b64 v[11:12], 2, v[11:12]
	v_add_co_u32 v11, vcc_lo, s12, v11
	s_delay_alu instid0(VALU_DEP_2) | instskip(SKIP_3) | instid1(SALU_CYCLE_1)
	v_add_co_ci_u32_e32 v12, vcc_lo, s13, v12, vcc_lo
	s_waitcnt lgkmcnt(5)
	global_store_b32 v[11:12], v10, off
	s_or_b32 exec_lo, exec_lo, s1
	s_mov_b32 s1, exec_lo
	v_cmpx_gt_u32_e64 s11, v29
	s_cbranch_execnz .LBB1737_145
.LBB1737_180:
	s_or_b32 exec_lo, exec_lo, s1
	s_delay_alu instid0(SALU_CYCLE_1)
	s_mov_b32 s1, exec_lo
	v_cmpx_gt_u32_e64 s11, v28
	s_cbranch_execz .LBB1737_150
.LBB1737_181:
	s_mov_b32 s3, exec_lo
                                        ; implicit-def: $vgpr9_vgpr10
	v_cmpx_ge_u32_e64 v28, v16
	s_xor_b32 s3, exec_lo, s3
	s_cbranch_execz .LBB1737_183
; %bb.182:
	s_waitcnt lgkmcnt(4)
	v_xor_b32_e32 v7, 0xfffffaff, v0
                                        ; implicit-def: $vgpr28
	s_delay_alu instid0(VALU_DEP_1) | instskip(SKIP_1) | instid1(VALU_DEP_2)
	v_ashrrev_i32_e32 v10, 31, v7
	v_add_co_u32 v9, vcc_lo, v18, v7
	v_add_co_ci_u32_e32 v10, vcc_lo, v19, v10, vcc_lo
.LBB1737_183:
	s_and_not1_saveexec_b32 s3, s3
	s_cbranch_execz .LBB1737_185
; %bb.184:
	s_waitcnt lgkmcnt(5)
	v_add_co_u32 v9, vcc_lo, v15, v28
	v_add_co_ci_u32_e32 v10, vcc_lo, 0, v17, vcc_lo
.LBB1737_185:
	s_or_b32 exec_lo, exec_lo, s3
	s_waitcnt lgkmcnt(5)
	s_delay_alu instid0(VALU_DEP_1) | instskip(NEXT) | instid1(VALU_DEP_1)
	v_lshlrev_b64 v[9:10], 2, v[9:10]
	v_add_co_u32 v9, vcc_lo, s12, v9
	s_delay_alu instid0(VALU_DEP_2) | instskip(SKIP_3) | instid1(SALU_CYCLE_1)
	v_add_co_ci_u32_e32 v10, vcc_lo, s13, v10, vcc_lo
	s_waitcnt lgkmcnt(4)
	global_store_b32 v[9:10], v8, off
	s_or_b32 exec_lo, exec_lo, s1
	s_mov_b32 s1, exec_lo
	v_cmpx_gt_u32_e64 s11, v27
	s_cbranch_execnz .LBB1737_151
.LBB1737_186:
	s_or_b32 exec_lo, exec_lo, s1
	s_delay_alu instid0(SALU_CYCLE_1)
	s_mov_b32 s1, exec_lo
	v_cmpx_gt_u32_e64 s11, v26
	s_cbranch_execz .LBB1737_156
.LBB1737_187:
	s_mov_b32 s3, exec_lo
                                        ; implicit-def: $vgpr7_vgpr8
	v_cmpx_ge_u32_e64 v26, v16
	s_xor_b32 s3, exec_lo, s3
	s_cbranch_execz .LBB1737_189
; %bb.188:
	s_waitcnt lgkmcnt(3)
	v_xor_b32_e32 v5, 0xfffff8ff, v0
                                        ; implicit-def: $vgpr26
	s_delay_alu instid0(VALU_DEP_1) | instskip(SKIP_1) | instid1(VALU_DEP_2)
	v_ashrrev_i32_e32 v8, 31, v5
	v_add_co_u32 v7, vcc_lo, v18, v5
	v_add_co_ci_u32_e32 v8, vcc_lo, v19, v8, vcc_lo
.LBB1737_189:
	s_and_not1_saveexec_b32 s3, s3
	s_cbranch_execz .LBB1737_191
; %bb.190:
	s_waitcnt lgkmcnt(4)
	v_add_co_u32 v7, vcc_lo, v15, v26
	v_add_co_ci_u32_e32 v8, vcc_lo, 0, v17, vcc_lo
.LBB1737_191:
	s_or_b32 exec_lo, exec_lo, s3
	s_waitcnt lgkmcnt(4)
	s_delay_alu instid0(VALU_DEP_1) | instskip(NEXT) | instid1(VALU_DEP_1)
	v_lshlrev_b64 v[7:8], 2, v[7:8]
	v_add_co_u32 v7, vcc_lo, s12, v7
	s_delay_alu instid0(VALU_DEP_2) | instskip(SKIP_3) | instid1(SALU_CYCLE_1)
	v_add_co_ci_u32_e32 v8, vcc_lo, s13, v8, vcc_lo
	s_waitcnt lgkmcnt(3)
	global_store_b32 v[7:8], v6, off
	s_or_b32 exec_lo, exec_lo, s1
	s_mov_b32 s1, exec_lo
	v_cmpx_gt_u32_e64 s11, v25
	s_cbranch_execnz .LBB1737_157
.LBB1737_192:
	s_or_b32 exec_lo, exec_lo, s1
	s_delay_alu instid0(SALU_CYCLE_1)
	s_mov_b32 s1, exec_lo
	v_cmpx_gt_u32_e64 s11, v24
	s_cbranch_execz .LBB1737_162
.LBB1737_193:
	s_mov_b32 s3, exec_lo
                                        ; implicit-def: $vgpr5_vgpr6
	v_cmpx_ge_u32_e64 v24, v16
	s_xor_b32 s3, exec_lo, s3
	s_cbranch_execz .LBB1737_195
; %bb.194:
	s_waitcnt lgkmcnt(2)
	v_xor_b32_e32 v3, 0xfffff6ff, v0
                                        ; implicit-def: $vgpr24
	s_delay_alu instid0(VALU_DEP_1) | instskip(SKIP_1) | instid1(VALU_DEP_2)
	v_ashrrev_i32_e32 v6, 31, v3
	v_add_co_u32 v5, vcc_lo, v18, v3
	v_add_co_ci_u32_e32 v6, vcc_lo, v19, v6, vcc_lo
.LBB1737_195:
	s_and_not1_saveexec_b32 s3, s3
	s_cbranch_execz .LBB1737_197
; %bb.196:
	s_waitcnt lgkmcnt(3)
	v_add_co_u32 v5, vcc_lo, v15, v24
	v_add_co_ci_u32_e32 v6, vcc_lo, 0, v17, vcc_lo
.LBB1737_197:
	s_or_b32 exec_lo, exec_lo, s3
	s_waitcnt lgkmcnt(3)
	s_delay_alu instid0(VALU_DEP_1) | instskip(NEXT) | instid1(VALU_DEP_1)
	v_lshlrev_b64 v[5:6], 2, v[5:6]
	v_add_co_u32 v5, vcc_lo, s12, v5
	s_delay_alu instid0(VALU_DEP_2) | instskip(SKIP_3) | instid1(SALU_CYCLE_1)
	v_add_co_ci_u32_e32 v6, vcc_lo, s13, v6, vcc_lo
	s_waitcnt lgkmcnt(2)
	global_store_b32 v[5:6], v4, off
	s_or_b32 exec_lo, exec_lo, s1
	s_mov_b32 s1, exec_lo
	v_cmpx_gt_u32_e64 s11, v23
	s_cbranch_execnz .LBB1737_163
.LBB1737_198:
	s_or_b32 exec_lo, exec_lo, s1
	s_delay_alu instid0(SALU_CYCLE_1)
	s_mov_b32 s1, exec_lo
	v_cmpx_gt_u32_e64 s11, v22
	s_cbranch_execz .LBB1737_204
.LBB1737_199:
	s_mov_b32 s3, exec_lo
                                        ; implicit-def: $vgpr3_vgpr4
	v_cmpx_ge_u32_e64 v22, v16
	s_xor_b32 s3, exec_lo, s3
	s_cbranch_execz .LBB1737_201
; %bb.200:
	s_waitcnt lgkmcnt(1)
	v_xor_b32_e32 v1, 0xfffff4ff, v0
                                        ; implicit-def: $vgpr22
	s_delay_alu instid0(VALU_DEP_1) | instskip(SKIP_1) | instid1(VALU_DEP_2)
	v_ashrrev_i32_e32 v4, 31, v1
	v_add_co_u32 v3, vcc_lo, v18, v1
	v_add_co_ci_u32_e32 v4, vcc_lo, v19, v4, vcc_lo
.LBB1737_201:
	s_and_not1_saveexec_b32 s3, s3
	s_cbranch_execz .LBB1737_203
; %bb.202:
	s_waitcnt lgkmcnt(2)
	v_add_co_u32 v3, vcc_lo, v15, v22
	v_add_co_ci_u32_e32 v4, vcc_lo, 0, v17, vcc_lo
.LBB1737_203:
	s_or_b32 exec_lo, exec_lo, s3
	s_waitcnt lgkmcnt(2)
	s_delay_alu instid0(VALU_DEP_1) | instskip(NEXT) | instid1(VALU_DEP_1)
	v_lshlrev_b64 v[3:4], 2, v[3:4]
	v_add_co_u32 v3, vcc_lo, s12, v3
	s_delay_alu instid0(VALU_DEP_2)
	v_add_co_ci_u32_e32 v4, vcc_lo, s13, v4, vcc_lo
	s_waitcnt lgkmcnt(1)
	global_store_b32 v[3:4], v2, off
.LBB1737_204:
	s_or_b32 exec_lo, exec_lo, s1
	s_delay_alu instid0(SALU_CYCLE_1)
	s_mov_b32 s1, exec_lo
                                        ; implicit-def: $vgpr13_vgpr14
	v_cmpx_gt_u32_e64 s11, v21
	s_cbranch_execz .LBB1737_210
; %bb.205:
	s_mov_b32 s3, exec_lo
                                        ; implicit-def: $vgpr13_vgpr14
	v_cmpx_ge_u32_e64 v21, v16
	s_xor_b32 s3, exec_lo, s3
	s_cbranch_execz .LBB1737_207
; %bb.206:
	v_xor_b32_e32 v0, 0xfffff3ff, v0
                                        ; implicit-def: $vgpr21
	s_waitcnt lgkmcnt(1)
	s_delay_alu instid0(VALU_DEP_1) | instskip(SKIP_1) | instid1(VALU_DEP_2)
	v_ashrrev_i32_e32 v1, 31, v0
	v_add_co_u32 v13, vcc_lo, v18, v0
	v_add_co_ci_u32_e32 v14, vcc_lo, v19, v1, vcc_lo
.LBB1737_207:
	s_and_not1_saveexec_b32 s3, s3
; %bb.208:
	v_add_co_u32 v13, vcc_lo, v15, v21
	v_add_co_ci_u32_e32 v14, vcc_lo, 0, v17, vcc_lo
; %bb.209:
	s_or_b32 exec_lo, exec_lo, s3
	s_delay_alu instid0(SALU_CYCLE_1)
	s_or_b32 s0, s0, exec_lo
.LBB1737_210:
	s_or_b32 exec_lo, exec_lo, s1
	s_and_saveexec_b32 s1, s0
	s_cbranch_execnz .LBB1737_129
.LBB1737_211:
	s_or_b32 exec_lo, exec_lo, s1
	s_and_b32 s0, s2, s10
	s_delay_alu instid0(SALU_CYCLE_1)
	s_and_saveexec_b32 s1, s0
	s_cbranch_execz .LBB1737_130
.LBB1737_212:
	v_add_co_u32 v0, vcc_lo, v15, v16
	s_waitcnt lgkmcnt(1)
	v_mov_b32_e32 v2, 0
	v_add_co_ci_u32_e32 v1, vcc_lo, 0, v17, vcc_lo
	global_store_b64 v2, v[0:1], s[8:9]
	s_nop 0
	s_sendmsg sendmsg(MSG_DEALLOC_VGPRS)
	s_endpgm
	.section	.rodata,"a",@progbits
	.p2align	6, 0x0
	.amdhsa_kernel _ZN7rocprim17ROCPRIM_400000_NS6detail17trampoline_kernelINS0_13select_configILj256ELj13ELNS0_17block_load_methodE3ELS4_3ELS4_3ELNS0_20block_scan_algorithmE0ELj4294967295EEENS1_25partition_config_selectorILNS1_17partition_subalgoE3EjNS0_10empty_typeEbEEZZNS1_14partition_implILS8_3ELb0ES6_jNS0_17counting_iteratorIjlEEPS9_SE_NS0_5tupleIJPjSE_EEENSF_IJSE_SE_EEES9_SG_JZNS1_25segmented_radix_sort_implINS0_14default_configELb1EPK6__halfPSL_PKlPlN2at6native12_GLOBAL__N_18offset_tEEE10hipError_tPvRmT1_PNSt15iterator_traitsISZ_E10value_typeET2_T3_PNS10_IS15_E10value_typeET4_jRbjT5_S1B_jjP12ihipStream_tbEUljE_EEESW_SX_SY_S15_S19_S1B_T6_T7_T9_mT8_S1D_bDpT10_ENKUlT_T0_E_clISt17integral_constantIbLb0EES1P_IbLb1EEEEDaS1L_S1M_EUlS1L_E_NS1_11comp_targetILNS1_3genE9ELNS1_11target_archE1100ELNS1_3gpuE3ELNS1_3repE0EEENS1_30default_config_static_selectorELNS0_4arch9wavefront6targetE0EEEvSZ_
		.amdhsa_group_segment_fixed_size 13324
		.amdhsa_private_segment_fixed_size 0
		.amdhsa_kernarg_size 152
		.amdhsa_user_sgpr_count 15
		.amdhsa_user_sgpr_dispatch_ptr 0
		.amdhsa_user_sgpr_queue_ptr 0
		.amdhsa_user_sgpr_kernarg_segment_ptr 1
		.amdhsa_user_sgpr_dispatch_id 0
		.amdhsa_user_sgpr_private_segment_size 0
		.amdhsa_wavefront_size32 1
		.amdhsa_uses_dynamic_stack 0
		.amdhsa_enable_private_segment 0
		.amdhsa_system_sgpr_workgroup_id_x 1
		.amdhsa_system_sgpr_workgroup_id_y 0
		.amdhsa_system_sgpr_workgroup_id_z 0
		.amdhsa_system_sgpr_workgroup_info 0
		.amdhsa_system_vgpr_workitem_id 0
		.amdhsa_next_free_vgpr 60
		.amdhsa_next_free_sgpr 26
		.amdhsa_reserve_vcc 1
		.amdhsa_float_round_mode_32 0
		.amdhsa_float_round_mode_16_64 0
		.amdhsa_float_denorm_mode_32 3
		.amdhsa_float_denorm_mode_16_64 3
		.amdhsa_dx10_clamp 1
		.amdhsa_ieee_mode 1
		.amdhsa_fp16_overflow 0
		.amdhsa_workgroup_processor_mode 1
		.amdhsa_memory_ordered 1
		.amdhsa_forward_progress 0
		.amdhsa_shared_vgpr_count 0
		.amdhsa_exception_fp_ieee_invalid_op 0
		.amdhsa_exception_fp_denorm_src 0
		.amdhsa_exception_fp_ieee_div_zero 0
		.amdhsa_exception_fp_ieee_overflow 0
		.amdhsa_exception_fp_ieee_underflow 0
		.amdhsa_exception_fp_ieee_inexact 0
		.amdhsa_exception_int_div_zero 0
	.end_amdhsa_kernel
	.section	.text._ZN7rocprim17ROCPRIM_400000_NS6detail17trampoline_kernelINS0_13select_configILj256ELj13ELNS0_17block_load_methodE3ELS4_3ELS4_3ELNS0_20block_scan_algorithmE0ELj4294967295EEENS1_25partition_config_selectorILNS1_17partition_subalgoE3EjNS0_10empty_typeEbEEZZNS1_14partition_implILS8_3ELb0ES6_jNS0_17counting_iteratorIjlEEPS9_SE_NS0_5tupleIJPjSE_EEENSF_IJSE_SE_EEES9_SG_JZNS1_25segmented_radix_sort_implINS0_14default_configELb1EPK6__halfPSL_PKlPlN2at6native12_GLOBAL__N_18offset_tEEE10hipError_tPvRmT1_PNSt15iterator_traitsISZ_E10value_typeET2_T3_PNS10_IS15_E10value_typeET4_jRbjT5_S1B_jjP12ihipStream_tbEUljE_EEESW_SX_SY_S15_S19_S1B_T6_T7_T9_mT8_S1D_bDpT10_ENKUlT_T0_E_clISt17integral_constantIbLb0EES1P_IbLb1EEEEDaS1L_S1M_EUlS1L_E_NS1_11comp_targetILNS1_3genE9ELNS1_11target_archE1100ELNS1_3gpuE3ELNS1_3repE0EEENS1_30default_config_static_selectorELNS0_4arch9wavefront6targetE0EEEvSZ_,"axG",@progbits,_ZN7rocprim17ROCPRIM_400000_NS6detail17trampoline_kernelINS0_13select_configILj256ELj13ELNS0_17block_load_methodE3ELS4_3ELS4_3ELNS0_20block_scan_algorithmE0ELj4294967295EEENS1_25partition_config_selectorILNS1_17partition_subalgoE3EjNS0_10empty_typeEbEEZZNS1_14partition_implILS8_3ELb0ES6_jNS0_17counting_iteratorIjlEEPS9_SE_NS0_5tupleIJPjSE_EEENSF_IJSE_SE_EEES9_SG_JZNS1_25segmented_radix_sort_implINS0_14default_configELb1EPK6__halfPSL_PKlPlN2at6native12_GLOBAL__N_18offset_tEEE10hipError_tPvRmT1_PNSt15iterator_traitsISZ_E10value_typeET2_T3_PNS10_IS15_E10value_typeET4_jRbjT5_S1B_jjP12ihipStream_tbEUljE_EEESW_SX_SY_S15_S19_S1B_T6_T7_T9_mT8_S1D_bDpT10_ENKUlT_T0_E_clISt17integral_constantIbLb0EES1P_IbLb1EEEEDaS1L_S1M_EUlS1L_E_NS1_11comp_targetILNS1_3genE9ELNS1_11target_archE1100ELNS1_3gpuE3ELNS1_3repE0EEENS1_30default_config_static_selectorELNS0_4arch9wavefront6targetE0EEEvSZ_,comdat
.Lfunc_end1737:
	.size	_ZN7rocprim17ROCPRIM_400000_NS6detail17trampoline_kernelINS0_13select_configILj256ELj13ELNS0_17block_load_methodE3ELS4_3ELS4_3ELNS0_20block_scan_algorithmE0ELj4294967295EEENS1_25partition_config_selectorILNS1_17partition_subalgoE3EjNS0_10empty_typeEbEEZZNS1_14partition_implILS8_3ELb0ES6_jNS0_17counting_iteratorIjlEEPS9_SE_NS0_5tupleIJPjSE_EEENSF_IJSE_SE_EEES9_SG_JZNS1_25segmented_radix_sort_implINS0_14default_configELb1EPK6__halfPSL_PKlPlN2at6native12_GLOBAL__N_18offset_tEEE10hipError_tPvRmT1_PNSt15iterator_traitsISZ_E10value_typeET2_T3_PNS10_IS15_E10value_typeET4_jRbjT5_S1B_jjP12ihipStream_tbEUljE_EEESW_SX_SY_S15_S19_S1B_T6_T7_T9_mT8_S1D_bDpT10_ENKUlT_T0_E_clISt17integral_constantIbLb0EES1P_IbLb1EEEEDaS1L_S1M_EUlS1L_E_NS1_11comp_targetILNS1_3genE9ELNS1_11target_archE1100ELNS1_3gpuE3ELNS1_3repE0EEENS1_30default_config_static_selectorELNS0_4arch9wavefront6targetE0EEEvSZ_, .Lfunc_end1737-_ZN7rocprim17ROCPRIM_400000_NS6detail17trampoline_kernelINS0_13select_configILj256ELj13ELNS0_17block_load_methodE3ELS4_3ELS4_3ELNS0_20block_scan_algorithmE0ELj4294967295EEENS1_25partition_config_selectorILNS1_17partition_subalgoE3EjNS0_10empty_typeEbEEZZNS1_14partition_implILS8_3ELb0ES6_jNS0_17counting_iteratorIjlEEPS9_SE_NS0_5tupleIJPjSE_EEENSF_IJSE_SE_EEES9_SG_JZNS1_25segmented_radix_sort_implINS0_14default_configELb1EPK6__halfPSL_PKlPlN2at6native12_GLOBAL__N_18offset_tEEE10hipError_tPvRmT1_PNSt15iterator_traitsISZ_E10value_typeET2_T3_PNS10_IS15_E10value_typeET4_jRbjT5_S1B_jjP12ihipStream_tbEUljE_EEESW_SX_SY_S15_S19_S1B_T6_T7_T9_mT8_S1D_bDpT10_ENKUlT_T0_E_clISt17integral_constantIbLb0EES1P_IbLb1EEEEDaS1L_S1M_EUlS1L_E_NS1_11comp_targetILNS1_3genE9ELNS1_11target_archE1100ELNS1_3gpuE3ELNS1_3repE0EEENS1_30default_config_static_selectorELNS0_4arch9wavefront6targetE0EEEvSZ_
                                        ; -- End function
	.section	.AMDGPU.csdata,"",@progbits
; Kernel info:
; codeLenInByte = 9040
; NumSgprs: 28
; NumVgprs: 60
; ScratchSize: 0
; MemoryBound: 0
; FloatMode: 240
; IeeeMode: 1
; LDSByteSize: 13324 bytes/workgroup (compile time only)
; SGPRBlocks: 3
; VGPRBlocks: 7
; NumSGPRsForWavesPerEU: 28
; NumVGPRsForWavesPerEU: 60
; Occupancy: 16
; WaveLimiterHint : 0
; COMPUTE_PGM_RSRC2:SCRATCH_EN: 0
; COMPUTE_PGM_RSRC2:USER_SGPR: 15
; COMPUTE_PGM_RSRC2:TRAP_HANDLER: 0
; COMPUTE_PGM_RSRC2:TGID_X_EN: 1
; COMPUTE_PGM_RSRC2:TGID_Y_EN: 0
; COMPUTE_PGM_RSRC2:TGID_Z_EN: 0
; COMPUTE_PGM_RSRC2:TIDIG_COMP_CNT: 0
	.section	.text._ZN7rocprim17ROCPRIM_400000_NS6detail17trampoline_kernelINS0_13select_configILj256ELj13ELNS0_17block_load_methodE3ELS4_3ELS4_3ELNS0_20block_scan_algorithmE0ELj4294967295EEENS1_25partition_config_selectorILNS1_17partition_subalgoE3EjNS0_10empty_typeEbEEZZNS1_14partition_implILS8_3ELb0ES6_jNS0_17counting_iteratorIjlEEPS9_SE_NS0_5tupleIJPjSE_EEENSF_IJSE_SE_EEES9_SG_JZNS1_25segmented_radix_sort_implINS0_14default_configELb1EPK6__halfPSL_PKlPlN2at6native12_GLOBAL__N_18offset_tEEE10hipError_tPvRmT1_PNSt15iterator_traitsISZ_E10value_typeET2_T3_PNS10_IS15_E10value_typeET4_jRbjT5_S1B_jjP12ihipStream_tbEUljE_EEESW_SX_SY_S15_S19_S1B_T6_T7_T9_mT8_S1D_bDpT10_ENKUlT_T0_E_clISt17integral_constantIbLb0EES1P_IbLb1EEEEDaS1L_S1M_EUlS1L_E_NS1_11comp_targetILNS1_3genE8ELNS1_11target_archE1030ELNS1_3gpuE2ELNS1_3repE0EEENS1_30default_config_static_selectorELNS0_4arch9wavefront6targetE0EEEvSZ_,"axG",@progbits,_ZN7rocprim17ROCPRIM_400000_NS6detail17trampoline_kernelINS0_13select_configILj256ELj13ELNS0_17block_load_methodE3ELS4_3ELS4_3ELNS0_20block_scan_algorithmE0ELj4294967295EEENS1_25partition_config_selectorILNS1_17partition_subalgoE3EjNS0_10empty_typeEbEEZZNS1_14partition_implILS8_3ELb0ES6_jNS0_17counting_iteratorIjlEEPS9_SE_NS0_5tupleIJPjSE_EEENSF_IJSE_SE_EEES9_SG_JZNS1_25segmented_radix_sort_implINS0_14default_configELb1EPK6__halfPSL_PKlPlN2at6native12_GLOBAL__N_18offset_tEEE10hipError_tPvRmT1_PNSt15iterator_traitsISZ_E10value_typeET2_T3_PNS10_IS15_E10value_typeET4_jRbjT5_S1B_jjP12ihipStream_tbEUljE_EEESW_SX_SY_S15_S19_S1B_T6_T7_T9_mT8_S1D_bDpT10_ENKUlT_T0_E_clISt17integral_constantIbLb0EES1P_IbLb1EEEEDaS1L_S1M_EUlS1L_E_NS1_11comp_targetILNS1_3genE8ELNS1_11target_archE1030ELNS1_3gpuE2ELNS1_3repE0EEENS1_30default_config_static_selectorELNS0_4arch9wavefront6targetE0EEEvSZ_,comdat
	.globl	_ZN7rocprim17ROCPRIM_400000_NS6detail17trampoline_kernelINS0_13select_configILj256ELj13ELNS0_17block_load_methodE3ELS4_3ELS4_3ELNS0_20block_scan_algorithmE0ELj4294967295EEENS1_25partition_config_selectorILNS1_17partition_subalgoE3EjNS0_10empty_typeEbEEZZNS1_14partition_implILS8_3ELb0ES6_jNS0_17counting_iteratorIjlEEPS9_SE_NS0_5tupleIJPjSE_EEENSF_IJSE_SE_EEES9_SG_JZNS1_25segmented_radix_sort_implINS0_14default_configELb1EPK6__halfPSL_PKlPlN2at6native12_GLOBAL__N_18offset_tEEE10hipError_tPvRmT1_PNSt15iterator_traitsISZ_E10value_typeET2_T3_PNS10_IS15_E10value_typeET4_jRbjT5_S1B_jjP12ihipStream_tbEUljE_EEESW_SX_SY_S15_S19_S1B_T6_T7_T9_mT8_S1D_bDpT10_ENKUlT_T0_E_clISt17integral_constantIbLb0EES1P_IbLb1EEEEDaS1L_S1M_EUlS1L_E_NS1_11comp_targetILNS1_3genE8ELNS1_11target_archE1030ELNS1_3gpuE2ELNS1_3repE0EEENS1_30default_config_static_selectorELNS0_4arch9wavefront6targetE0EEEvSZ_ ; -- Begin function _ZN7rocprim17ROCPRIM_400000_NS6detail17trampoline_kernelINS0_13select_configILj256ELj13ELNS0_17block_load_methodE3ELS4_3ELS4_3ELNS0_20block_scan_algorithmE0ELj4294967295EEENS1_25partition_config_selectorILNS1_17partition_subalgoE3EjNS0_10empty_typeEbEEZZNS1_14partition_implILS8_3ELb0ES6_jNS0_17counting_iteratorIjlEEPS9_SE_NS0_5tupleIJPjSE_EEENSF_IJSE_SE_EEES9_SG_JZNS1_25segmented_radix_sort_implINS0_14default_configELb1EPK6__halfPSL_PKlPlN2at6native12_GLOBAL__N_18offset_tEEE10hipError_tPvRmT1_PNSt15iterator_traitsISZ_E10value_typeET2_T3_PNS10_IS15_E10value_typeET4_jRbjT5_S1B_jjP12ihipStream_tbEUljE_EEESW_SX_SY_S15_S19_S1B_T6_T7_T9_mT8_S1D_bDpT10_ENKUlT_T0_E_clISt17integral_constantIbLb0EES1P_IbLb1EEEEDaS1L_S1M_EUlS1L_E_NS1_11comp_targetILNS1_3genE8ELNS1_11target_archE1030ELNS1_3gpuE2ELNS1_3repE0EEENS1_30default_config_static_selectorELNS0_4arch9wavefront6targetE0EEEvSZ_
	.p2align	8
	.type	_ZN7rocprim17ROCPRIM_400000_NS6detail17trampoline_kernelINS0_13select_configILj256ELj13ELNS0_17block_load_methodE3ELS4_3ELS4_3ELNS0_20block_scan_algorithmE0ELj4294967295EEENS1_25partition_config_selectorILNS1_17partition_subalgoE3EjNS0_10empty_typeEbEEZZNS1_14partition_implILS8_3ELb0ES6_jNS0_17counting_iteratorIjlEEPS9_SE_NS0_5tupleIJPjSE_EEENSF_IJSE_SE_EEES9_SG_JZNS1_25segmented_radix_sort_implINS0_14default_configELb1EPK6__halfPSL_PKlPlN2at6native12_GLOBAL__N_18offset_tEEE10hipError_tPvRmT1_PNSt15iterator_traitsISZ_E10value_typeET2_T3_PNS10_IS15_E10value_typeET4_jRbjT5_S1B_jjP12ihipStream_tbEUljE_EEESW_SX_SY_S15_S19_S1B_T6_T7_T9_mT8_S1D_bDpT10_ENKUlT_T0_E_clISt17integral_constantIbLb0EES1P_IbLb1EEEEDaS1L_S1M_EUlS1L_E_NS1_11comp_targetILNS1_3genE8ELNS1_11target_archE1030ELNS1_3gpuE2ELNS1_3repE0EEENS1_30default_config_static_selectorELNS0_4arch9wavefront6targetE0EEEvSZ_,@function
_ZN7rocprim17ROCPRIM_400000_NS6detail17trampoline_kernelINS0_13select_configILj256ELj13ELNS0_17block_load_methodE3ELS4_3ELS4_3ELNS0_20block_scan_algorithmE0ELj4294967295EEENS1_25partition_config_selectorILNS1_17partition_subalgoE3EjNS0_10empty_typeEbEEZZNS1_14partition_implILS8_3ELb0ES6_jNS0_17counting_iteratorIjlEEPS9_SE_NS0_5tupleIJPjSE_EEENSF_IJSE_SE_EEES9_SG_JZNS1_25segmented_radix_sort_implINS0_14default_configELb1EPK6__halfPSL_PKlPlN2at6native12_GLOBAL__N_18offset_tEEE10hipError_tPvRmT1_PNSt15iterator_traitsISZ_E10value_typeET2_T3_PNS10_IS15_E10value_typeET4_jRbjT5_S1B_jjP12ihipStream_tbEUljE_EEESW_SX_SY_S15_S19_S1B_T6_T7_T9_mT8_S1D_bDpT10_ENKUlT_T0_E_clISt17integral_constantIbLb0EES1P_IbLb1EEEEDaS1L_S1M_EUlS1L_E_NS1_11comp_targetILNS1_3genE8ELNS1_11target_archE1030ELNS1_3gpuE2ELNS1_3repE0EEENS1_30default_config_static_selectorELNS0_4arch9wavefront6targetE0EEEvSZ_: ; @_ZN7rocprim17ROCPRIM_400000_NS6detail17trampoline_kernelINS0_13select_configILj256ELj13ELNS0_17block_load_methodE3ELS4_3ELS4_3ELNS0_20block_scan_algorithmE0ELj4294967295EEENS1_25partition_config_selectorILNS1_17partition_subalgoE3EjNS0_10empty_typeEbEEZZNS1_14partition_implILS8_3ELb0ES6_jNS0_17counting_iteratorIjlEEPS9_SE_NS0_5tupleIJPjSE_EEENSF_IJSE_SE_EEES9_SG_JZNS1_25segmented_radix_sort_implINS0_14default_configELb1EPK6__halfPSL_PKlPlN2at6native12_GLOBAL__N_18offset_tEEE10hipError_tPvRmT1_PNSt15iterator_traitsISZ_E10value_typeET2_T3_PNS10_IS15_E10value_typeET4_jRbjT5_S1B_jjP12ihipStream_tbEUljE_EEESW_SX_SY_S15_S19_S1B_T6_T7_T9_mT8_S1D_bDpT10_ENKUlT_T0_E_clISt17integral_constantIbLb0EES1P_IbLb1EEEEDaS1L_S1M_EUlS1L_E_NS1_11comp_targetILNS1_3genE8ELNS1_11target_archE1030ELNS1_3gpuE2ELNS1_3repE0EEENS1_30default_config_static_selectorELNS0_4arch9wavefront6targetE0EEEvSZ_
; %bb.0:
	.section	.rodata,"a",@progbits
	.p2align	6, 0x0
	.amdhsa_kernel _ZN7rocprim17ROCPRIM_400000_NS6detail17trampoline_kernelINS0_13select_configILj256ELj13ELNS0_17block_load_methodE3ELS4_3ELS4_3ELNS0_20block_scan_algorithmE0ELj4294967295EEENS1_25partition_config_selectorILNS1_17partition_subalgoE3EjNS0_10empty_typeEbEEZZNS1_14partition_implILS8_3ELb0ES6_jNS0_17counting_iteratorIjlEEPS9_SE_NS0_5tupleIJPjSE_EEENSF_IJSE_SE_EEES9_SG_JZNS1_25segmented_radix_sort_implINS0_14default_configELb1EPK6__halfPSL_PKlPlN2at6native12_GLOBAL__N_18offset_tEEE10hipError_tPvRmT1_PNSt15iterator_traitsISZ_E10value_typeET2_T3_PNS10_IS15_E10value_typeET4_jRbjT5_S1B_jjP12ihipStream_tbEUljE_EEESW_SX_SY_S15_S19_S1B_T6_T7_T9_mT8_S1D_bDpT10_ENKUlT_T0_E_clISt17integral_constantIbLb0EES1P_IbLb1EEEEDaS1L_S1M_EUlS1L_E_NS1_11comp_targetILNS1_3genE8ELNS1_11target_archE1030ELNS1_3gpuE2ELNS1_3repE0EEENS1_30default_config_static_selectorELNS0_4arch9wavefront6targetE0EEEvSZ_
		.amdhsa_group_segment_fixed_size 0
		.amdhsa_private_segment_fixed_size 0
		.amdhsa_kernarg_size 152
		.amdhsa_user_sgpr_count 15
		.amdhsa_user_sgpr_dispatch_ptr 0
		.amdhsa_user_sgpr_queue_ptr 0
		.amdhsa_user_sgpr_kernarg_segment_ptr 1
		.amdhsa_user_sgpr_dispatch_id 0
		.amdhsa_user_sgpr_private_segment_size 0
		.amdhsa_wavefront_size32 1
		.amdhsa_uses_dynamic_stack 0
		.amdhsa_enable_private_segment 0
		.amdhsa_system_sgpr_workgroup_id_x 1
		.amdhsa_system_sgpr_workgroup_id_y 0
		.amdhsa_system_sgpr_workgroup_id_z 0
		.amdhsa_system_sgpr_workgroup_info 0
		.amdhsa_system_vgpr_workitem_id 0
		.amdhsa_next_free_vgpr 1
		.amdhsa_next_free_sgpr 1
		.amdhsa_reserve_vcc 0
		.amdhsa_float_round_mode_32 0
		.amdhsa_float_round_mode_16_64 0
		.amdhsa_float_denorm_mode_32 3
		.amdhsa_float_denorm_mode_16_64 3
		.amdhsa_dx10_clamp 1
		.amdhsa_ieee_mode 1
		.amdhsa_fp16_overflow 0
		.amdhsa_workgroup_processor_mode 1
		.amdhsa_memory_ordered 1
		.amdhsa_forward_progress 0
		.amdhsa_shared_vgpr_count 0
		.amdhsa_exception_fp_ieee_invalid_op 0
		.amdhsa_exception_fp_denorm_src 0
		.amdhsa_exception_fp_ieee_div_zero 0
		.amdhsa_exception_fp_ieee_overflow 0
		.amdhsa_exception_fp_ieee_underflow 0
		.amdhsa_exception_fp_ieee_inexact 0
		.amdhsa_exception_int_div_zero 0
	.end_amdhsa_kernel
	.section	.text._ZN7rocprim17ROCPRIM_400000_NS6detail17trampoline_kernelINS0_13select_configILj256ELj13ELNS0_17block_load_methodE3ELS4_3ELS4_3ELNS0_20block_scan_algorithmE0ELj4294967295EEENS1_25partition_config_selectorILNS1_17partition_subalgoE3EjNS0_10empty_typeEbEEZZNS1_14partition_implILS8_3ELb0ES6_jNS0_17counting_iteratorIjlEEPS9_SE_NS0_5tupleIJPjSE_EEENSF_IJSE_SE_EEES9_SG_JZNS1_25segmented_radix_sort_implINS0_14default_configELb1EPK6__halfPSL_PKlPlN2at6native12_GLOBAL__N_18offset_tEEE10hipError_tPvRmT1_PNSt15iterator_traitsISZ_E10value_typeET2_T3_PNS10_IS15_E10value_typeET4_jRbjT5_S1B_jjP12ihipStream_tbEUljE_EEESW_SX_SY_S15_S19_S1B_T6_T7_T9_mT8_S1D_bDpT10_ENKUlT_T0_E_clISt17integral_constantIbLb0EES1P_IbLb1EEEEDaS1L_S1M_EUlS1L_E_NS1_11comp_targetILNS1_3genE8ELNS1_11target_archE1030ELNS1_3gpuE2ELNS1_3repE0EEENS1_30default_config_static_selectorELNS0_4arch9wavefront6targetE0EEEvSZ_,"axG",@progbits,_ZN7rocprim17ROCPRIM_400000_NS6detail17trampoline_kernelINS0_13select_configILj256ELj13ELNS0_17block_load_methodE3ELS4_3ELS4_3ELNS0_20block_scan_algorithmE0ELj4294967295EEENS1_25partition_config_selectorILNS1_17partition_subalgoE3EjNS0_10empty_typeEbEEZZNS1_14partition_implILS8_3ELb0ES6_jNS0_17counting_iteratorIjlEEPS9_SE_NS0_5tupleIJPjSE_EEENSF_IJSE_SE_EEES9_SG_JZNS1_25segmented_radix_sort_implINS0_14default_configELb1EPK6__halfPSL_PKlPlN2at6native12_GLOBAL__N_18offset_tEEE10hipError_tPvRmT1_PNSt15iterator_traitsISZ_E10value_typeET2_T3_PNS10_IS15_E10value_typeET4_jRbjT5_S1B_jjP12ihipStream_tbEUljE_EEESW_SX_SY_S15_S19_S1B_T6_T7_T9_mT8_S1D_bDpT10_ENKUlT_T0_E_clISt17integral_constantIbLb0EES1P_IbLb1EEEEDaS1L_S1M_EUlS1L_E_NS1_11comp_targetILNS1_3genE8ELNS1_11target_archE1030ELNS1_3gpuE2ELNS1_3repE0EEENS1_30default_config_static_selectorELNS0_4arch9wavefront6targetE0EEEvSZ_,comdat
.Lfunc_end1738:
	.size	_ZN7rocprim17ROCPRIM_400000_NS6detail17trampoline_kernelINS0_13select_configILj256ELj13ELNS0_17block_load_methodE3ELS4_3ELS4_3ELNS0_20block_scan_algorithmE0ELj4294967295EEENS1_25partition_config_selectorILNS1_17partition_subalgoE3EjNS0_10empty_typeEbEEZZNS1_14partition_implILS8_3ELb0ES6_jNS0_17counting_iteratorIjlEEPS9_SE_NS0_5tupleIJPjSE_EEENSF_IJSE_SE_EEES9_SG_JZNS1_25segmented_radix_sort_implINS0_14default_configELb1EPK6__halfPSL_PKlPlN2at6native12_GLOBAL__N_18offset_tEEE10hipError_tPvRmT1_PNSt15iterator_traitsISZ_E10value_typeET2_T3_PNS10_IS15_E10value_typeET4_jRbjT5_S1B_jjP12ihipStream_tbEUljE_EEESW_SX_SY_S15_S19_S1B_T6_T7_T9_mT8_S1D_bDpT10_ENKUlT_T0_E_clISt17integral_constantIbLb0EES1P_IbLb1EEEEDaS1L_S1M_EUlS1L_E_NS1_11comp_targetILNS1_3genE8ELNS1_11target_archE1030ELNS1_3gpuE2ELNS1_3repE0EEENS1_30default_config_static_selectorELNS0_4arch9wavefront6targetE0EEEvSZ_, .Lfunc_end1738-_ZN7rocprim17ROCPRIM_400000_NS6detail17trampoline_kernelINS0_13select_configILj256ELj13ELNS0_17block_load_methodE3ELS4_3ELS4_3ELNS0_20block_scan_algorithmE0ELj4294967295EEENS1_25partition_config_selectorILNS1_17partition_subalgoE3EjNS0_10empty_typeEbEEZZNS1_14partition_implILS8_3ELb0ES6_jNS0_17counting_iteratorIjlEEPS9_SE_NS0_5tupleIJPjSE_EEENSF_IJSE_SE_EEES9_SG_JZNS1_25segmented_radix_sort_implINS0_14default_configELb1EPK6__halfPSL_PKlPlN2at6native12_GLOBAL__N_18offset_tEEE10hipError_tPvRmT1_PNSt15iterator_traitsISZ_E10value_typeET2_T3_PNS10_IS15_E10value_typeET4_jRbjT5_S1B_jjP12ihipStream_tbEUljE_EEESW_SX_SY_S15_S19_S1B_T6_T7_T9_mT8_S1D_bDpT10_ENKUlT_T0_E_clISt17integral_constantIbLb0EES1P_IbLb1EEEEDaS1L_S1M_EUlS1L_E_NS1_11comp_targetILNS1_3genE8ELNS1_11target_archE1030ELNS1_3gpuE2ELNS1_3repE0EEENS1_30default_config_static_selectorELNS0_4arch9wavefront6targetE0EEEvSZ_
                                        ; -- End function
	.section	.AMDGPU.csdata,"",@progbits
; Kernel info:
; codeLenInByte = 0
; NumSgprs: 0
; NumVgprs: 0
; ScratchSize: 0
; MemoryBound: 0
; FloatMode: 240
; IeeeMode: 1
; LDSByteSize: 0 bytes/workgroup (compile time only)
; SGPRBlocks: 0
; VGPRBlocks: 0
; NumSGPRsForWavesPerEU: 1
; NumVGPRsForWavesPerEU: 1
; Occupancy: 16
; WaveLimiterHint : 0
; COMPUTE_PGM_RSRC2:SCRATCH_EN: 0
; COMPUTE_PGM_RSRC2:USER_SGPR: 15
; COMPUTE_PGM_RSRC2:TRAP_HANDLER: 0
; COMPUTE_PGM_RSRC2:TGID_X_EN: 1
; COMPUTE_PGM_RSRC2:TGID_Y_EN: 0
; COMPUTE_PGM_RSRC2:TGID_Z_EN: 0
; COMPUTE_PGM_RSRC2:TIDIG_COMP_CNT: 0
	.section	.text._ZN7rocprim17ROCPRIM_400000_NS6detail17trampoline_kernelINS0_14default_configENS1_36segmented_radix_sort_config_selectorI6__halflEEZNS1_25segmented_radix_sort_implIS3_Lb1EPKS5_PS5_PKlPlN2at6native12_GLOBAL__N_18offset_tEEE10hipError_tPvRmT1_PNSt15iterator_traitsISL_E10value_typeET2_T3_PNSM_ISR_E10value_typeET4_jRbjT5_SX_jjP12ihipStream_tbEUlT_E_NS1_11comp_targetILNS1_3genE0ELNS1_11target_archE4294967295ELNS1_3gpuE0ELNS1_3repE0EEENS1_30default_config_static_selectorELNS0_4arch9wavefront6targetE0EEEvSL_,"axG",@progbits,_ZN7rocprim17ROCPRIM_400000_NS6detail17trampoline_kernelINS0_14default_configENS1_36segmented_radix_sort_config_selectorI6__halflEEZNS1_25segmented_radix_sort_implIS3_Lb1EPKS5_PS5_PKlPlN2at6native12_GLOBAL__N_18offset_tEEE10hipError_tPvRmT1_PNSt15iterator_traitsISL_E10value_typeET2_T3_PNSM_ISR_E10value_typeET4_jRbjT5_SX_jjP12ihipStream_tbEUlT_E_NS1_11comp_targetILNS1_3genE0ELNS1_11target_archE4294967295ELNS1_3gpuE0ELNS1_3repE0EEENS1_30default_config_static_selectorELNS0_4arch9wavefront6targetE0EEEvSL_,comdat
	.globl	_ZN7rocprim17ROCPRIM_400000_NS6detail17trampoline_kernelINS0_14default_configENS1_36segmented_radix_sort_config_selectorI6__halflEEZNS1_25segmented_radix_sort_implIS3_Lb1EPKS5_PS5_PKlPlN2at6native12_GLOBAL__N_18offset_tEEE10hipError_tPvRmT1_PNSt15iterator_traitsISL_E10value_typeET2_T3_PNSM_ISR_E10value_typeET4_jRbjT5_SX_jjP12ihipStream_tbEUlT_E_NS1_11comp_targetILNS1_3genE0ELNS1_11target_archE4294967295ELNS1_3gpuE0ELNS1_3repE0EEENS1_30default_config_static_selectorELNS0_4arch9wavefront6targetE0EEEvSL_ ; -- Begin function _ZN7rocprim17ROCPRIM_400000_NS6detail17trampoline_kernelINS0_14default_configENS1_36segmented_radix_sort_config_selectorI6__halflEEZNS1_25segmented_radix_sort_implIS3_Lb1EPKS5_PS5_PKlPlN2at6native12_GLOBAL__N_18offset_tEEE10hipError_tPvRmT1_PNSt15iterator_traitsISL_E10value_typeET2_T3_PNSM_ISR_E10value_typeET4_jRbjT5_SX_jjP12ihipStream_tbEUlT_E_NS1_11comp_targetILNS1_3genE0ELNS1_11target_archE4294967295ELNS1_3gpuE0ELNS1_3repE0EEENS1_30default_config_static_selectorELNS0_4arch9wavefront6targetE0EEEvSL_
	.p2align	8
	.type	_ZN7rocprim17ROCPRIM_400000_NS6detail17trampoline_kernelINS0_14default_configENS1_36segmented_radix_sort_config_selectorI6__halflEEZNS1_25segmented_radix_sort_implIS3_Lb1EPKS5_PS5_PKlPlN2at6native12_GLOBAL__N_18offset_tEEE10hipError_tPvRmT1_PNSt15iterator_traitsISL_E10value_typeET2_T3_PNSM_ISR_E10value_typeET4_jRbjT5_SX_jjP12ihipStream_tbEUlT_E_NS1_11comp_targetILNS1_3genE0ELNS1_11target_archE4294967295ELNS1_3gpuE0ELNS1_3repE0EEENS1_30default_config_static_selectorELNS0_4arch9wavefront6targetE0EEEvSL_,@function
_ZN7rocprim17ROCPRIM_400000_NS6detail17trampoline_kernelINS0_14default_configENS1_36segmented_radix_sort_config_selectorI6__halflEEZNS1_25segmented_radix_sort_implIS3_Lb1EPKS5_PS5_PKlPlN2at6native12_GLOBAL__N_18offset_tEEE10hipError_tPvRmT1_PNSt15iterator_traitsISL_E10value_typeET2_T3_PNSM_ISR_E10value_typeET4_jRbjT5_SX_jjP12ihipStream_tbEUlT_E_NS1_11comp_targetILNS1_3genE0ELNS1_11target_archE4294967295ELNS1_3gpuE0ELNS1_3repE0EEENS1_30default_config_static_selectorELNS0_4arch9wavefront6targetE0EEEvSL_: ; @_ZN7rocprim17ROCPRIM_400000_NS6detail17trampoline_kernelINS0_14default_configENS1_36segmented_radix_sort_config_selectorI6__halflEEZNS1_25segmented_radix_sort_implIS3_Lb1EPKS5_PS5_PKlPlN2at6native12_GLOBAL__N_18offset_tEEE10hipError_tPvRmT1_PNSt15iterator_traitsISL_E10value_typeET2_T3_PNSM_ISR_E10value_typeET4_jRbjT5_SX_jjP12ihipStream_tbEUlT_E_NS1_11comp_targetILNS1_3genE0ELNS1_11target_archE4294967295ELNS1_3gpuE0ELNS1_3repE0EEENS1_30default_config_static_selectorELNS0_4arch9wavefront6targetE0EEEvSL_
; %bb.0:
	.section	.rodata,"a",@progbits
	.p2align	6, 0x0
	.amdhsa_kernel _ZN7rocprim17ROCPRIM_400000_NS6detail17trampoline_kernelINS0_14default_configENS1_36segmented_radix_sort_config_selectorI6__halflEEZNS1_25segmented_radix_sort_implIS3_Lb1EPKS5_PS5_PKlPlN2at6native12_GLOBAL__N_18offset_tEEE10hipError_tPvRmT1_PNSt15iterator_traitsISL_E10value_typeET2_T3_PNSM_ISR_E10value_typeET4_jRbjT5_SX_jjP12ihipStream_tbEUlT_E_NS1_11comp_targetILNS1_3genE0ELNS1_11target_archE4294967295ELNS1_3gpuE0ELNS1_3repE0EEENS1_30default_config_static_selectorELNS0_4arch9wavefront6targetE0EEEvSL_
		.amdhsa_group_segment_fixed_size 0
		.amdhsa_private_segment_fixed_size 0
		.amdhsa_kernarg_size 96
		.amdhsa_user_sgpr_count 15
		.amdhsa_user_sgpr_dispatch_ptr 0
		.amdhsa_user_sgpr_queue_ptr 0
		.amdhsa_user_sgpr_kernarg_segment_ptr 1
		.amdhsa_user_sgpr_dispatch_id 0
		.amdhsa_user_sgpr_private_segment_size 0
		.amdhsa_wavefront_size32 1
		.amdhsa_uses_dynamic_stack 0
		.amdhsa_enable_private_segment 0
		.amdhsa_system_sgpr_workgroup_id_x 1
		.amdhsa_system_sgpr_workgroup_id_y 0
		.amdhsa_system_sgpr_workgroup_id_z 0
		.amdhsa_system_sgpr_workgroup_info 0
		.amdhsa_system_vgpr_workitem_id 0
		.amdhsa_next_free_vgpr 1
		.amdhsa_next_free_sgpr 1
		.amdhsa_reserve_vcc 0
		.amdhsa_float_round_mode_32 0
		.amdhsa_float_round_mode_16_64 0
		.amdhsa_float_denorm_mode_32 3
		.amdhsa_float_denorm_mode_16_64 3
		.amdhsa_dx10_clamp 1
		.amdhsa_ieee_mode 1
		.amdhsa_fp16_overflow 0
		.amdhsa_workgroup_processor_mode 1
		.amdhsa_memory_ordered 1
		.amdhsa_forward_progress 0
		.amdhsa_shared_vgpr_count 0
		.amdhsa_exception_fp_ieee_invalid_op 0
		.amdhsa_exception_fp_denorm_src 0
		.amdhsa_exception_fp_ieee_div_zero 0
		.amdhsa_exception_fp_ieee_overflow 0
		.amdhsa_exception_fp_ieee_underflow 0
		.amdhsa_exception_fp_ieee_inexact 0
		.amdhsa_exception_int_div_zero 0
	.end_amdhsa_kernel
	.section	.text._ZN7rocprim17ROCPRIM_400000_NS6detail17trampoline_kernelINS0_14default_configENS1_36segmented_radix_sort_config_selectorI6__halflEEZNS1_25segmented_radix_sort_implIS3_Lb1EPKS5_PS5_PKlPlN2at6native12_GLOBAL__N_18offset_tEEE10hipError_tPvRmT1_PNSt15iterator_traitsISL_E10value_typeET2_T3_PNSM_ISR_E10value_typeET4_jRbjT5_SX_jjP12ihipStream_tbEUlT_E_NS1_11comp_targetILNS1_3genE0ELNS1_11target_archE4294967295ELNS1_3gpuE0ELNS1_3repE0EEENS1_30default_config_static_selectorELNS0_4arch9wavefront6targetE0EEEvSL_,"axG",@progbits,_ZN7rocprim17ROCPRIM_400000_NS6detail17trampoline_kernelINS0_14default_configENS1_36segmented_radix_sort_config_selectorI6__halflEEZNS1_25segmented_radix_sort_implIS3_Lb1EPKS5_PS5_PKlPlN2at6native12_GLOBAL__N_18offset_tEEE10hipError_tPvRmT1_PNSt15iterator_traitsISL_E10value_typeET2_T3_PNSM_ISR_E10value_typeET4_jRbjT5_SX_jjP12ihipStream_tbEUlT_E_NS1_11comp_targetILNS1_3genE0ELNS1_11target_archE4294967295ELNS1_3gpuE0ELNS1_3repE0EEENS1_30default_config_static_selectorELNS0_4arch9wavefront6targetE0EEEvSL_,comdat
.Lfunc_end1739:
	.size	_ZN7rocprim17ROCPRIM_400000_NS6detail17trampoline_kernelINS0_14default_configENS1_36segmented_radix_sort_config_selectorI6__halflEEZNS1_25segmented_radix_sort_implIS3_Lb1EPKS5_PS5_PKlPlN2at6native12_GLOBAL__N_18offset_tEEE10hipError_tPvRmT1_PNSt15iterator_traitsISL_E10value_typeET2_T3_PNSM_ISR_E10value_typeET4_jRbjT5_SX_jjP12ihipStream_tbEUlT_E_NS1_11comp_targetILNS1_3genE0ELNS1_11target_archE4294967295ELNS1_3gpuE0ELNS1_3repE0EEENS1_30default_config_static_selectorELNS0_4arch9wavefront6targetE0EEEvSL_, .Lfunc_end1739-_ZN7rocprim17ROCPRIM_400000_NS6detail17trampoline_kernelINS0_14default_configENS1_36segmented_radix_sort_config_selectorI6__halflEEZNS1_25segmented_radix_sort_implIS3_Lb1EPKS5_PS5_PKlPlN2at6native12_GLOBAL__N_18offset_tEEE10hipError_tPvRmT1_PNSt15iterator_traitsISL_E10value_typeET2_T3_PNSM_ISR_E10value_typeET4_jRbjT5_SX_jjP12ihipStream_tbEUlT_E_NS1_11comp_targetILNS1_3genE0ELNS1_11target_archE4294967295ELNS1_3gpuE0ELNS1_3repE0EEENS1_30default_config_static_selectorELNS0_4arch9wavefront6targetE0EEEvSL_
                                        ; -- End function
	.section	.AMDGPU.csdata,"",@progbits
; Kernel info:
; codeLenInByte = 0
; NumSgprs: 0
; NumVgprs: 0
; ScratchSize: 0
; MemoryBound: 0
; FloatMode: 240
; IeeeMode: 1
; LDSByteSize: 0 bytes/workgroup (compile time only)
; SGPRBlocks: 0
; VGPRBlocks: 0
; NumSGPRsForWavesPerEU: 1
; NumVGPRsForWavesPerEU: 1
; Occupancy: 16
; WaveLimiterHint : 0
; COMPUTE_PGM_RSRC2:SCRATCH_EN: 0
; COMPUTE_PGM_RSRC2:USER_SGPR: 15
; COMPUTE_PGM_RSRC2:TRAP_HANDLER: 0
; COMPUTE_PGM_RSRC2:TGID_X_EN: 1
; COMPUTE_PGM_RSRC2:TGID_Y_EN: 0
; COMPUTE_PGM_RSRC2:TGID_Z_EN: 0
; COMPUTE_PGM_RSRC2:TIDIG_COMP_CNT: 0
	.section	.text._ZN7rocprim17ROCPRIM_400000_NS6detail17trampoline_kernelINS0_14default_configENS1_36segmented_radix_sort_config_selectorI6__halflEEZNS1_25segmented_radix_sort_implIS3_Lb1EPKS5_PS5_PKlPlN2at6native12_GLOBAL__N_18offset_tEEE10hipError_tPvRmT1_PNSt15iterator_traitsISL_E10value_typeET2_T3_PNSM_ISR_E10value_typeET4_jRbjT5_SX_jjP12ihipStream_tbEUlT_E_NS1_11comp_targetILNS1_3genE5ELNS1_11target_archE942ELNS1_3gpuE9ELNS1_3repE0EEENS1_30default_config_static_selectorELNS0_4arch9wavefront6targetE0EEEvSL_,"axG",@progbits,_ZN7rocprim17ROCPRIM_400000_NS6detail17trampoline_kernelINS0_14default_configENS1_36segmented_radix_sort_config_selectorI6__halflEEZNS1_25segmented_radix_sort_implIS3_Lb1EPKS5_PS5_PKlPlN2at6native12_GLOBAL__N_18offset_tEEE10hipError_tPvRmT1_PNSt15iterator_traitsISL_E10value_typeET2_T3_PNSM_ISR_E10value_typeET4_jRbjT5_SX_jjP12ihipStream_tbEUlT_E_NS1_11comp_targetILNS1_3genE5ELNS1_11target_archE942ELNS1_3gpuE9ELNS1_3repE0EEENS1_30default_config_static_selectorELNS0_4arch9wavefront6targetE0EEEvSL_,comdat
	.globl	_ZN7rocprim17ROCPRIM_400000_NS6detail17trampoline_kernelINS0_14default_configENS1_36segmented_radix_sort_config_selectorI6__halflEEZNS1_25segmented_radix_sort_implIS3_Lb1EPKS5_PS5_PKlPlN2at6native12_GLOBAL__N_18offset_tEEE10hipError_tPvRmT1_PNSt15iterator_traitsISL_E10value_typeET2_T3_PNSM_ISR_E10value_typeET4_jRbjT5_SX_jjP12ihipStream_tbEUlT_E_NS1_11comp_targetILNS1_3genE5ELNS1_11target_archE942ELNS1_3gpuE9ELNS1_3repE0EEENS1_30default_config_static_selectorELNS0_4arch9wavefront6targetE0EEEvSL_ ; -- Begin function _ZN7rocprim17ROCPRIM_400000_NS6detail17trampoline_kernelINS0_14default_configENS1_36segmented_radix_sort_config_selectorI6__halflEEZNS1_25segmented_radix_sort_implIS3_Lb1EPKS5_PS5_PKlPlN2at6native12_GLOBAL__N_18offset_tEEE10hipError_tPvRmT1_PNSt15iterator_traitsISL_E10value_typeET2_T3_PNSM_ISR_E10value_typeET4_jRbjT5_SX_jjP12ihipStream_tbEUlT_E_NS1_11comp_targetILNS1_3genE5ELNS1_11target_archE942ELNS1_3gpuE9ELNS1_3repE0EEENS1_30default_config_static_selectorELNS0_4arch9wavefront6targetE0EEEvSL_
	.p2align	8
	.type	_ZN7rocprim17ROCPRIM_400000_NS6detail17trampoline_kernelINS0_14default_configENS1_36segmented_radix_sort_config_selectorI6__halflEEZNS1_25segmented_radix_sort_implIS3_Lb1EPKS5_PS5_PKlPlN2at6native12_GLOBAL__N_18offset_tEEE10hipError_tPvRmT1_PNSt15iterator_traitsISL_E10value_typeET2_T3_PNSM_ISR_E10value_typeET4_jRbjT5_SX_jjP12ihipStream_tbEUlT_E_NS1_11comp_targetILNS1_3genE5ELNS1_11target_archE942ELNS1_3gpuE9ELNS1_3repE0EEENS1_30default_config_static_selectorELNS0_4arch9wavefront6targetE0EEEvSL_,@function
_ZN7rocprim17ROCPRIM_400000_NS6detail17trampoline_kernelINS0_14default_configENS1_36segmented_radix_sort_config_selectorI6__halflEEZNS1_25segmented_radix_sort_implIS3_Lb1EPKS5_PS5_PKlPlN2at6native12_GLOBAL__N_18offset_tEEE10hipError_tPvRmT1_PNSt15iterator_traitsISL_E10value_typeET2_T3_PNSM_ISR_E10value_typeET4_jRbjT5_SX_jjP12ihipStream_tbEUlT_E_NS1_11comp_targetILNS1_3genE5ELNS1_11target_archE942ELNS1_3gpuE9ELNS1_3repE0EEENS1_30default_config_static_selectorELNS0_4arch9wavefront6targetE0EEEvSL_: ; @_ZN7rocprim17ROCPRIM_400000_NS6detail17trampoline_kernelINS0_14default_configENS1_36segmented_radix_sort_config_selectorI6__halflEEZNS1_25segmented_radix_sort_implIS3_Lb1EPKS5_PS5_PKlPlN2at6native12_GLOBAL__N_18offset_tEEE10hipError_tPvRmT1_PNSt15iterator_traitsISL_E10value_typeET2_T3_PNSM_ISR_E10value_typeET4_jRbjT5_SX_jjP12ihipStream_tbEUlT_E_NS1_11comp_targetILNS1_3genE5ELNS1_11target_archE942ELNS1_3gpuE9ELNS1_3repE0EEENS1_30default_config_static_selectorELNS0_4arch9wavefront6targetE0EEEvSL_
; %bb.0:
	.section	.rodata,"a",@progbits
	.p2align	6, 0x0
	.amdhsa_kernel _ZN7rocprim17ROCPRIM_400000_NS6detail17trampoline_kernelINS0_14default_configENS1_36segmented_radix_sort_config_selectorI6__halflEEZNS1_25segmented_radix_sort_implIS3_Lb1EPKS5_PS5_PKlPlN2at6native12_GLOBAL__N_18offset_tEEE10hipError_tPvRmT1_PNSt15iterator_traitsISL_E10value_typeET2_T3_PNSM_ISR_E10value_typeET4_jRbjT5_SX_jjP12ihipStream_tbEUlT_E_NS1_11comp_targetILNS1_3genE5ELNS1_11target_archE942ELNS1_3gpuE9ELNS1_3repE0EEENS1_30default_config_static_selectorELNS0_4arch9wavefront6targetE0EEEvSL_
		.amdhsa_group_segment_fixed_size 0
		.amdhsa_private_segment_fixed_size 0
		.amdhsa_kernarg_size 96
		.amdhsa_user_sgpr_count 15
		.amdhsa_user_sgpr_dispatch_ptr 0
		.amdhsa_user_sgpr_queue_ptr 0
		.amdhsa_user_sgpr_kernarg_segment_ptr 1
		.amdhsa_user_sgpr_dispatch_id 0
		.amdhsa_user_sgpr_private_segment_size 0
		.amdhsa_wavefront_size32 1
		.amdhsa_uses_dynamic_stack 0
		.amdhsa_enable_private_segment 0
		.amdhsa_system_sgpr_workgroup_id_x 1
		.amdhsa_system_sgpr_workgroup_id_y 0
		.amdhsa_system_sgpr_workgroup_id_z 0
		.amdhsa_system_sgpr_workgroup_info 0
		.amdhsa_system_vgpr_workitem_id 0
		.amdhsa_next_free_vgpr 1
		.amdhsa_next_free_sgpr 1
		.amdhsa_reserve_vcc 0
		.amdhsa_float_round_mode_32 0
		.amdhsa_float_round_mode_16_64 0
		.amdhsa_float_denorm_mode_32 3
		.amdhsa_float_denorm_mode_16_64 3
		.amdhsa_dx10_clamp 1
		.amdhsa_ieee_mode 1
		.amdhsa_fp16_overflow 0
		.amdhsa_workgroup_processor_mode 1
		.amdhsa_memory_ordered 1
		.amdhsa_forward_progress 0
		.amdhsa_shared_vgpr_count 0
		.amdhsa_exception_fp_ieee_invalid_op 0
		.amdhsa_exception_fp_denorm_src 0
		.amdhsa_exception_fp_ieee_div_zero 0
		.amdhsa_exception_fp_ieee_overflow 0
		.amdhsa_exception_fp_ieee_underflow 0
		.amdhsa_exception_fp_ieee_inexact 0
		.amdhsa_exception_int_div_zero 0
	.end_amdhsa_kernel
	.section	.text._ZN7rocprim17ROCPRIM_400000_NS6detail17trampoline_kernelINS0_14default_configENS1_36segmented_radix_sort_config_selectorI6__halflEEZNS1_25segmented_radix_sort_implIS3_Lb1EPKS5_PS5_PKlPlN2at6native12_GLOBAL__N_18offset_tEEE10hipError_tPvRmT1_PNSt15iterator_traitsISL_E10value_typeET2_T3_PNSM_ISR_E10value_typeET4_jRbjT5_SX_jjP12ihipStream_tbEUlT_E_NS1_11comp_targetILNS1_3genE5ELNS1_11target_archE942ELNS1_3gpuE9ELNS1_3repE0EEENS1_30default_config_static_selectorELNS0_4arch9wavefront6targetE0EEEvSL_,"axG",@progbits,_ZN7rocprim17ROCPRIM_400000_NS6detail17trampoline_kernelINS0_14default_configENS1_36segmented_radix_sort_config_selectorI6__halflEEZNS1_25segmented_radix_sort_implIS3_Lb1EPKS5_PS5_PKlPlN2at6native12_GLOBAL__N_18offset_tEEE10hipError_tPvRmT1_PNSt15iterator_traitsISL_E10value_typeET2_T3_PNSM_ISR_E10value_typeET4_jRbjT5_SX_jjP12ihipStream_tbEUlT_E_NS1_11comp_targetILNS1_3genE5ELNS1_11target_archE942ELNS1_3gpuE9ELNS1_3repE0EEENS1_30default_config_static_selectorELNS0_4arch9wavefront6targetE0EEEvSL_,comdat
.Lfunc_end1740:
	.size	_ZN7rocprim17ROCPRIM_400000_NS6detail17trampoline_kernelINS0_14default_configENS1_36segmented_radix_sort_config_selectorI6__halflEEZNS1_25segmented_radix_sort_implIS3_Lb1EPKS5_PS5_PKlPlN2at6native12_GLOBAL__N_18offset_tEEE10hipError_tPvRmT1_PNSt15iterator_traitsISL_E10value_typeET2_T3_PNSM_ISR_E10value_typeET4_jRbjT5_SX_jjP12ihipStream_tbEUlT_E_NS1_11comp_targetILNS1_3genE5ELNS1_11target_archE942ELNS1_3gpuE9ELNS1_3repE0EEENS1_30default_config_static_selectorELNS0_4arch9wavefront6targetE0EEEvSL_, .Lfunc_end1740-_ZN7rocprim17ROCPRIM_400000_NS6detail17trampoline_kernelINS0_14default_configENS1_36segmented_radix_sort_config_selectorI6__halflEEZNS1_25segmented_radix_sort_implIS3_Lb1EPKS5_PS5_PKlPlN2at6native12_GLOBAL__N_18offset_tEEE10hipError_tPvRmT1_PNSt15iterator_traitsISL_E10value_typeET2_T3_PNSM_ISR_E10value_typeET4_jRbjT5_SX_jjP12ihipStream_tbEUlT_E_NS1_11comp_targetILNS1_3genE5ELNS1_11target_archE942ELNS1_3gpuE9ELNS1_3repE0EEENS1_30default_config_static_selectorELNS0_4arch9wavefront6targetE0EEEvSL_
                                        ; -- End function
	.section	.AMDGPU.csdata,"",@progbits
; Kernel info:
; codeLenInByte = 0
; NumSgprs: 0
; NumVgprs: 0
; ScratchSize: 0
; MemoryBound: 0
; FloatMode: 240
; IeeeMode: 1
; LDSByteSize: 0 bytes/workgroup (compile time only)
; SGPRBlocks: 0
; VGPRBlocks: 0
; NumSGPRsForWavesPerEU: 1
; NumVGPRsForWavesPerEU: 1
; Occupancy: 16
; WaveLimiterHint : 0
; COMPUTE_PGM_RSRC2:SCRATCH_EN: 0
; COMPUTE_PGM_RSRC2:USER_SGPR: 15
; COMPUTE_PGM_RSRC2:TRAP_HANDLER: 0
; COMPUTE_PGM_RSRC2:TGID_X_EN: 1
; COMPUTE_PGM_RSRC2:TGID_Y_EN: 0
; COMPUTE_PGM_RSRC2:TGID_Z_EN: 0
; COMPUTE_PGM_RSRC2:TIDIG_COMP_CNT: 0
	.section	.text._ZN7rocprim17ROCPRIM_400000_NS6detail17trampoline_kernelINS0_14default_configENS1_36segmented_radix_sort_config_selectorI6__halflEEZNS1_25segmented_radix_sort_implIS3_Lb1EPKS5_PS5_PKlPlN2at6native12_GLOBAL__N_18offset_tEEE10hipError_tPvRmT1_PNSt15iterator_traitsISL_E10value_typeET2_T3_PNSM_ISR_E10value_typeET4_jRbjT5_SX_jjP12ihipStream_tbEUlT_E_NS1_11comp_targetILNS1_3genE4ELNS1_11target_archE910ELNS1_3gpuE8ELNS1_3repE0EEENS1_30default_config_static_selectorELNS0_4arch9wavefront6targetE0EEEvSL_,"axG",@progbits,_ZN7rocprim17ROCPRIM_400000_NS6detail17trampoline_kernelINS0_14default_configENS1_36segmented_radix_sort_config_selectorI6__halflEEZNS1_25segmented_radix_sort_implIS3_Lb1EPKS5_PS5_PKlPlN2at6native12_GLOBAL__N_18offset_tEEE10hipError_tPvRmT1_PNSt15iterator_traitsISL_E10value_typeET2_T3_PNSM_ISR_E10value_typeET4_jRbjT5_SX_jjP12ihipStream_tbEUlT_E_NS1_11comp_targetILNS1_3genE4ELNS1_11target_archE910ELNS1_3gpuE8ELNS1_3repE0EEENS1_30default_config_static_selectorELNS0_4arch9wavefront6targetE0EEEvSL_,comdat
	.globl	_ZN7rocprim17ROCPRIM_400000_NS6detail17trampoline_kernelINS0_14default_configENS1_36segmented_radix_sort_config_selectorI6__halflEEZNS1_25segmented_radix_sort_implIS3_Lb1EPKS5_PS5_PKlPlN2at6native12_GLOBAL__N_18offset_tEEE10hipError_tPvRmT1_PNSt15iterator_traitsISL_E10value_typeET2_T3_PNSM_ISR_E10value_typeET4_jRbjT5_SX_jjP12ihipStream_tbEUlT_E_NS1_11comp_targetILNS1_3genE4ELNS1_11target_archE910ELNS1_3gpuE8ELNS1_3repE0EEENS1_30default_config_static_selectorELNS0_4arch9wavefront6targetE0EEEvSL_ ; -- Begin function _ZN7rocprim17ROCPRIM_400000_NS6detail17trampoline_kernelINS0_14default_configENS1_36segmented_radix_sort_config_selectorI6__halflEEZNS1_25segmented_radix_sort_implIS3_Lb1EPKS5_PS5_PKlPlN2at6native12_GLOBAL__N_18offset_tEEE10hipError_tPvRmT1_PNSt15iterator_traitsISL_E10value_typeET2_T3_PNSM_ISR_E10value_typeET4_jRbjT5_SX_jjP12ihipStream_tbEUlT_E_NS1_11comp_targetILNS1_3genE4ELNS1_11target_archE910ELNS1_3gpuE8ELNS1_3repE0EEENS1_30default_config_static_selectorELNS0_4arch9wavefront6targetE0EEEvSL_
	.p2align	8
	.type	_ZN7rocprim17ROCPRIM_400000_NS6detail17trampoline_kernelINS0_14default_configENS1_36segmented_radix_sort_config_selectorI6__halflEEZNS1_25segmented_radix_sort_implIS3_Lb1EPKS5_PS5_PKlPlN2at6native12_GLOBAL__N_18offset_tEEE10hipError_tPvRmT1_PNSt15iterator_traitsISL_E10value_typeET2_T3_PNSM_ISR_E10value_typeET4_jRbjT5_SX_jjP12ihipStream_tbEUlT_E_NS1_11comp_targetILNS1_3genE4ELNS1_11target_archE910ELNS1_3gpuE8ELNS1_3repE0EEENS1_30default_config_static_selectorELNS0_4arch9wavefront6targetE0EEEvSL_,@function
_ZN7rocprim17ROCPRIM_400000_NS6detail17trampoline_kernelINS0_14default_configENS1_36segmented_radix_sort_config_selectorI6__halflEEZNS1_25segmented_radix_sort_implIS3_Lb1EPKS5_PS5_PKlPlN2at6native12_GLOBAL__N_18offset_tEEE10hipError_tPvRmT1_PNSt15iterator_traitsISL_E10value_typeET2_T3_PNSM_ISR_E10value_typeET4_jRbjT5_SX_jjP12ihipStream_tbEUlT_E_NS1_11comp_targetILNS1_3genE4ELNS1_11target_archE910ELNS1_3gpuE8ELNS1_3repE0EEENS1_30default_config_static_selectorELNS0_4arch9wavefront6targetE0EEEvSL_: ; @_ZN7rocprim17ROCPRIM_400000_NS6detail17trampoline_kernelINS0_14default_configENS1_36segmented_radix_sort_config_selectorI6__halflEEZNS1_25segmented_radix_sort_implIS3_Lb1EPKS5_PS5_PKlPlN2at6native12_GLOBAL__N_18offset_tEEE10hipError_tPvRmT1_PNSt15iterator_traitsISL_E10value_typeET2_T3_PNSM_ISR_E10value_typeET4_jRbjT5_SX_jjP12ihipStream_tbEUlT_E_NS1_11comp_targetILNS1_3genE4ELNS1_11target_archE910ELNS1_3gpuE8ELNS1_3repE0EEENS1_30default_config_static_selectorELNS0_4arch9wavefront6targetE0EEEvSL_
; %bb.0:
	.section	.rodata,"a",@progbits
	.p2align	6, 0x0
	.amdhsa_kernel _ZN7rocprim17ROCPRIM_400000_NS6detail17trampoline_kernelINS0_14default_configENS1_36segmented_radix_sort_config_selectorI6__halflEEZNS1_25segmented_radix_sort_implIS3_Lb1EPKS5_PS5_PKlPlN2at6native12_GLOBAL__N_18offset_tEEE10hipError_tPvRmT1_PNSt15iterator_traitsISL_E10value_typeET2_T3_PNSM_ISR_E10value_typeET4_jRbjT5_SX_jjP12ihipStream_tbEUlT_E_NS1_11comp_targetILNS1_3genE4ELNS1_11target_archE910ELNS1_3gpuE8ELNS1_3repE0EEENS1_30default_config_static_selectorELNS0_4arch9wavefront6targetE0EEEvSL_
		.amdhsa_group_segment_fixed_size 0
		.amdhsa_private_segment_fixed_size 0
		.amdhsa_kernarg_size 96
		.amdhsa_user_sgpr_count 15
		.amdhsa_user_sgpr_dispatch_ptr 0
		.amdhsa_user_sgpr_queue_ptr 0
		.amdhsa_user_sgpr_kernarg_segment_ptr 1
		.amdhsa_user_sgpr_dispatch_id 0
		.amdhsa_user_sgpr_private_segment_size 0
		.amdhsa_wavefront_size32 1
		.amdhsa_uses_dynamic_stack 0
		.amdhsa_enable_private_segment 0
		.amdhsa_system_sgpr_workgroup_id_x 1
		.amdhsa_system_sgpr_workgroup_id_y 0
		.amdhsa_system_sgpr_workgroup_id_z 0
		.amdhsa_system_sgpr_workgroup_info 0
		.amdhsa_system_vgpr_workitem_id 0
		.amdhsa_next_free_vgpr 1
		.amdhsa_next_free_sgpr 1
		.amdhsa_reserve_vcc 0
		.amdhsa_float_round_mode_32 0
		.amdhsa_float_round_mode_16_64 0
		.amdhsa_float_denorm_mode_32 3
		.amdhsa_float_denorm_mode_16_64 3
		.amdhsa_dx10_clamp 1
		.amdhsa_ieee_mode 1
		.amdhsa_fp16_overflow 0
		.amdhsa_workgroup_processor_mode 1
		.amdhsa_memory_ordered 1
		.amdhsa_forward_progress 0
		.amdhsa_shared_vgpr_count 0
		.amdhsa_exception_fp_ieee_invalid_op 0
		.amdhsa_exception_fp_denorm_src 0
		.amdhsa_exception_fp_ieee_div_zero 0
		.amdhsa_exception_fp_ieee_overflow 0
		.amdhsa_exception_fp_ieee_underflow 0
		.amdhsa_exception_fp_ieee_inexact 0
		.amdhsa_exception_int_div_zero 0
	.end_amdhsa_kernel
	.section	.text._ZN7rocprim17ROCPRIM_400000_NS6detail17trampoline_kernelINS0_14default_configENS1_36segmented_radix_sort_config_selectorI6__halflEEZNS1_25segmented_radix_sort_implIS3_Lb1EPKS5_PS5_PKlPlN2at6native12_GLOBAL__N_18offset_tEEE10hipError_tPvRmT1_PNSt15iterator_traitsISL_E10value_typeET2_T3_PNSM_ISR_E10value_typeET4_jRbjT5_SX_jjP12ihipStream_tbEUlT_E_NS1_11comp_targetILNS1_3genE4ELNS1_11target_archE910ELNS1_3gpuE8ELNS1_3repE0EEENS1_30default_config_static_selectorELNS0_4arch9wavefront6targetE0EEEvSL_,"axG",@progbits,_ZN7rocprim17ROCPRIM_400000_NS6detail17trampoline_kernelINS0_14default_configENS1_36segmented_radix_sort_config_selectorI6__halflEEZNS1_25segmented_radix_sort_implIS3_Lb1EPKS5_PS5_PKlPlN2at6native12_GLOBAL__N_18offset_tEEE10hipError_tPvRmT1_PNSt15iterator_traitsISL_E10value_typeET2_T3_PNSM_ISR_E10value_typeET4_jRbjT5_SX_jjP12ihipStream_tbEUlT_E_NS1_11comp_targetILNS1_3genE4ELNS1_11target_archE910ELNS1_3gpuE8ELNS1_3repE0EEENS1_30default_config_static_selectorELNS0_4arch9wavefront6targetE0EEEvSL_,comdat
.Lfunc_end1741:
	.size	_ZN7rocprim17ROCPRIM_400000_NS6detail17trampoline_kernelINS0_14default_configENS1_36segmented_radix_sort_config_selectorI6__halflEEZNS1_25segmented_radix_sort_implIS3_Lb1EPKS5_PS5_PKlPlN2at6native12_GLOBAL__N_18offset_tEEE10hipError_tPvRmT1_PNSt15iterator_traitsISL_E10value_typeET2_T3_PNSM_ISR_E10value_typeET4_jRbjT5_SX_jjP12ihipStream_tbEUlT_E_NS1_11comp_targetILNS1_3genE4ELNS1_11target_archE910ELNS1_3gpuE8ELNS1_3repE0EEENS1_30default_config_static_selectorELNS0_4arch9wavefront6targetE0EEEvSL_, .Lfunc_end1741-_ZN7rocprim17ROCPRIM_400000_NS6detail17trampoline_kernelINS0_14default_configENS1_36segmented_radix_sort_config_selectorI6__halflEEZNS1_25segmented_radix_sort_implIS3_Lb1EPKS5_PS5_PKlPlN2at6native12_GLOBAL__N_18offset_tEEE10hipError_tPvRmT1_PNSt15iterator_traitsISL_E10value_typeET2_T3_PNSM_ISR_E10value_typeET4_jRbjT5_SX_jjP12ihipStream_tbEUlT_E_NS1_11comp_targetILNS1_3genE4ELNS1_11target_archE910ELNS1_3gpuE8ELNS1_3repE0EEENS1_30default_config_static_selectorELNS0_4arch9wavefront6targetE0EEEvSL_
                                        ; -- End function
	.section	.AMDGPU.csdata,"",@progbits
; Kernel info:
; codeLenInByte = 0
; NumSgprs: 0
; NumVgprs: 0
; ScratchSize: 0
; MemoryBound: 0
; FloatMode: 240
; IeeeMode: 1
; LDSByteSize: 0 bytes/workgroup (compile time only)
; SGPRBlocks: 0
; VGPRBlocks: 0
; NumSGPRsForWavesPerEU: 1
; NumVGPRsForWavesPerEU: 1
; Occupancy: 16
; WaveLimiterHint : 0
; COMPUTE_PGM_RSRC2:SCRATCH_EN: 0
; COMPUTE_PGM_RSRC2:USER_SGPR: 15
; COMPUTE_PGM_RSRC2:TRAP_HANDLER: 0
; COMPUTE_PGM_RSRC2:TGID_X_EN: 1
; COMPUTE_PGM_RSRC2:TGID_Y_EN: 0
; COMPUTE_PGM_RSRC2:TGID_Z_EN: 0
; COMPUTE_PGM_RSRC2:TIDIG_COMP_CNT: 0
	.section	.text._ZN7rocprim17ROCPRIM_400000_NS6detail17trampoline_kernelINS0_14default_configENS1_36segmented_radix_sort_config_selectorI6__halflEEZNS1_25segmented_radix_sort_implIS3_Lb1EPKS5_PS5_PKlPlN2at6native12_GLOBAL__N_18offset_tEEE10hipError_tPvRmT1_PNSt15iterator_traitsISL_E10value_typeET2_T3_PNSM_ISR_E10value_typeET4_jRbjT5_SX_jjP12ihipStream_tbEUlT_E_NS1_11comp_targetILNS1_3genE3ELNS1_11target_archE908ELNS1_3gpuE7ELNS1_3repE0EEENS1_30default_config_static_selectorELNS0_4arch9wavefront6targetE0EEEvSL_,"axG",@progbits,_ZN7rocprim17ROCPRIM_400000_NS6detail17trampoline_kernelINS0_14default_configENS1_36segmented_radix_sort_config_selectorI6__halflEEZNS1_25segmented_radix_sort_implIS3_Lb1EPKS5_PS5_PKlPlN2at6native12_GLOBAL__N_18offset_tEEE10hipError_tPvRmT1_PNSt15iterator_traitsISL_E10value_typeET2_T3_PNSM_ISR_E10value_typeET4_jRbjT5_SX_jjP12ihipStream_tbEUlT_E_NS1_11comp_targetILNS1_3genE3ELNS1_11target_archE908ELNS1_3gpuE7ELNS1_3repE0EEENS1_30default_config_static_selectorELNS0_4arch9wavefront6targetE0EEEvSL_,comdat
	.globl	_ZN7rocprim17ROCPRIM_400000_NS6detail17trampoline_kernelINS0_14default_configENS1_36segmented_radix_sort_config_selectorI6__halflEEZNS1_25segmented_radix_sort_implIS3_Lb1EPKS5_PS5_PKlPlN2at6native12_GLOBAL__N_18offset_tEEE10hipError_tPvRmT1_PNSt15iterator_traitsISL_E10value_typeET2_T3_PNSM_ISR_E10value_typeET4_jRbjT5_SX_jjP12ihipStream_tbEUlT_E_NS1_11comp_targetILNS1_3genE3ELNS1_11target_archE908ELNS1_3gpuE7ELNS1_3repE0EEENS1_30default_config_static_selectorELNS0_4arch9wavefront6targetE0EEEvSL_ ; -- Begin function _ZN7rocprim17ROCPRIM_400000_NS6detail17trampoline_kernelINS0_14default_configENS1_36segmented_radix_sort_config_selectorI6__halflEEZNS1_25segmented_radix_sort_implIS3_Lb1EPKS5_PS5_PKlPlN2at6native12_GLOBAL__N_18offset_tEEE10hipError_tPvRmT1_PNSt15iterator_traitsISL_E10value_typeET2_T3_PNSM_ISR_E10value_typeET4_jRbjT5_SX_jjP12ihipStream_tbEUlT_E_NS1_11comp_targetILNS1_3genE3ELNS1_11target_archE908ELNS1_3gpuE7ELNS1_3repE0EEENS1_30default_config_static_selectorELNS0_4arch9wavefront6targetE0EEEvSL_
	.p2align	8
	.type	_ZN7rocprim17ROCPRIM_400000_NS6detail17trampoline_kernelINS0_14default_configENS1_36segmented_radix_sort_config_selectorI6__halflEEZNS1_25segmented_radix_sort_implIS3_Lb1EPKS5_PS5_PKlPlN2at6native12_GLOBAL__N_18offset_tEEE10hipError_tPvRmT1_PNSt15iterator_traitsISL_E10value_typeET2_T3_PNSM_ISR_E10value_typeET4_jRbjT5_SX_jjP12ihipStream_tbEUlT_E_NS1_11comp_targetILNS1_3genE3ELNS1_11target_archE908ELNS1_3gpuE7ELNS1_3repE0EEENS1_30default_config_static_selectorELNS0_4arch9wavefront6targetE0EEEvSL_,@function
_ZN7rocprim17ROCPRIM_400000_NS6detail17trampoline_kernelINS0_14default_configENS1_36segmented_radix_sort_config_selectorI6__halflEEZNS1_25segmented_radix_sort_implIS3_Lb1EPKS5_PS5_PKlPlN2at6native12_GLOBAL__N_18offset_tEEE10hipError_tPvRmT1_PNSt15iterator_traitsISL_E10value_typeET2_T3_PNSM_ISR_E10value_typeET4_jRbjT5_SX_jjP12ihipStream_tbEUlT_E_NS1_11comp_targetILNS1_3genE3ELNS1_11target_archE908ELNS1_3gpuE7ELNS1_3repE0EEENS1_30default_config_static_selectorELNS0_4arch9wavefront6targetE0EEEvSL_: ; @_ZN7rocprim17ROCPRIM_400000_NS6detail17trampoline_kernelINS0_14default_configENS1_36segmented_radix_sort_config_selectorI6__halflEEZNS1_25segmented_radix_sort_implIS3_Lb1EPKS5_PS5_PKlPlN2at6native12_GLOBAL__N_18offset_tEEE10hipError_tPvRmT1_PNSt15iterator_traitsISL_E10value_typeET2_T3_PNSM_ISR_E10value_typeET4_jRbjT5_SX_jjP12ihipStream_tbEUlT_E_NS1_11comp_targetILNS1_3genE3ELNS1_11target_archE908ELNS1_3gpuE7ELNS1_3repE0EEENS1_30default_config_static_selectorELNS0_4arch9wavefront6targetE0EEEvSL_
; %bb.0:
	.section	.rodata,"a",@progbits
	.p2align	6, 0x0
	.amdhsa_kernel _ZN7rocprim17ROCPRIM_400000_NS6detail17trampoline_kernelINS0_14default_configENS1_36segmented_radix_sort_config_selectorI6__halflEEZNS1_25segmented_radix_sort_implIS3_Lb1EPKS5_PS5_PKlPlN2at6native12_GLOBAL__N_18offset_tEEE10hipError_tPvRmT1_PNSt15iterator_traitsISL_E10value_typeET2_T3_PNSM_ISR_E10value_typeET4_jRbjT5_SX_jjP12ihipStream_tbEUlT_E_NS1_11comp_targetILNS1_3genE3ELNS1_11target_archE908ELNS1_3gpuE7ELNS1_3repE0EEENS1_30default_config_static_selectorELNS0_4arch9wavefront6targetE0EEEvSL_
		.amdhsa_group_segment_fixed_size 0
		.amdhsa_private_segment_fixed_size 0
		.amdhsa_kernarg_size 96
		.amdhsa_user_sgpr_count 15
		.amdhsa_user_sgpr_dispatch_ptr 0
		.amdhsa_user_sgpr_queue_ptr 0
		.amdhsa_user_sgpr_kernarg_segment_ptr 1
		.amdhsa_user_sgpr_dispatch_id 0
		.amdhsa_user_sgpr_private_segment_size 0
		.amdhsa_wavefront_size32 1
		.amdhsa_uses_dynamic_stack 0
		.amdhsa_enable_private_segment 0
		.amdhsa_system_sgpr_workgroup_id_x 1
		.amdhsa_system_sgpr_workgroup_id_y 0
		.amdhsa_system_sgpr_workgroup_id_z 0
		.amdhsa_system_sgpr_workgroup_info 0
		.amdhsa_system_vgpr_workitem_id 0
		.amdhsa_next_free_vgpr 1
		.amdhsa_next_free_sgpr 1
		.amdhsa_reserve_vcc 0
		.amdhsa_float_round_mode_32 0
		.amdhsa_float_round_mode_16_64 0
		.amdhsa_float_denorm_mode_32 3
		.amdhsa_float_denorm_mode_16_64 3
		.amdhsa_dx10_clamp 1
		.amdhsa_ieee_mode 1
		.amdhsa_fp16_overflow 0
		.amdhsa_workgroup_processor_mode 1
		.amdhsa_memory_ordered 1
		.amdhsa_forward_progress 0
		.amdhsa_shared_vgpr_count 0
		.amdhsa_exception_fp_ieee_invalid_op 0
		.amdhsa_exception_fp_denorm_src 0
		.amdhsa_exception_fp_ieee_div_zero 0
		.amdhsa_exception_fp_ieee_overflow 0
		.amdhsa_exception_fp_ieee_underflow 0
		.amdhsa_exception_fp_ieee_inexact 0
		.amdhsa_exception_int_div_zero 0
	.end_amdhsa_kernel
	.section	.text._ZN7rocprim17ROCPRIM_400000_NS6detail17trampoline_kernelINS0_14default_configENS1_36segmented_radix_sort_config_selectorI6__halflEEZNS1_25segmented_radix_sort_implIS3_Lb1EPKS5_PS5_PKlPlN2at6native12_GLOBAL__N_18offset_tEEE10hipError_tPvRmT1_PNSt15iterator_traitsISL_E10value_typeET2_T3_PNSM_ISR_E10value_typeET4_jRbjT5_SX_jjP12ihipStream_tbEUlT_E_NS1_11comp_targetILNS1_3genE3ELNS1_11target_archE908ELNS1_3gpuE7ELNS1_3repE0EEENS1_30default_config_static_selectorELNS0_4arch9wavefront6targetE0EEEvSL_,"axG",@progbits,_ZN7rocprim17ROCPRIM_400000_NS6detail17trampoline_kernelINS0_14default_configENS1_36segmented_radix_sort_config_selectorI6__halflEEZNS1_25segmented_radix_sort_implIS3_Lb1EPKS5_PS5_PKlPlN2at6native12_GLOBAL__N_18offset_tEEE10hipError_tPvRmT1_PNSt15iterator_traitsISL_E10value_typeET2_T3_PNSM_ISR_E10value_typeET4_jRbjT5_SX_jjP12ihipStream_tbEUlT_E_NS1_11comp_targetILNS1_3genE3ELNS1_11target_archE908ELNS1_3gpuE7ELNS1_3repE0EEENS1_30default_config_static_selectorELNS0_4arch9wavefront6targetE0EEEvSL_,comdat
.Lfunc_end1742:
	.size	_ZN7rocprim17ROCPRIM_400000_NS6detail17trampoline_kernelINS0_14default_configENS1_36segmented_radix_sort_config_selectorI6__halflEEZNS1_25segmented_radix_sort_implIS3_Lb1EPKS5_PS5_PKlPlN2at6native12_GLOBAL__N_18offset_tEEE10hipError_tPvRmT1_PNSt15iterator_traitsISL_E10value_typeET2_T3_PNSM_ISR_E10value_typeET4_jRbjT5_SX_jjP12ihipStream_tbEUlT_E_NS1_11comp_targetILNS1_3genE3ELNS1_11target_archE908ELNS1_3gpuE7ELNS1_3repE0EEENS1_30default_config_static_selectorELNS0_4arch9wavefront6targetE0EEEvSL_, .Lfunc_end1742-_ZN7rocprim17ROCPRIM_400000_NS6detail17trampoline_kernelINS0_14default_configENS1_36segmented_radix_sort_config_selectorI6__halflEEZNS1_25segmented_radix_sort_implIS3_Lb1EPKS5_PS5_PKlPlN2at6native12_GLOBAL__N_18offset_tEEE10hipError_tPvRmT1_PNSt15iterator_traitsISL_E10value_typeET2_T3_PNSM_ISR_E10value_typeET4_jRbjT5_SX_jjP12ihipStream_tbEUlT_E_NS1_11comp_targetILNS1_3genE3ELNS1_11target_archE908ELNS1_3gpuE7ELNS1_3repE0EEENS1_30default_config_static_selectorELNS0_4arch9wavefront6targetE0EEEvSL_
                                        ; -- End function
	.section	.AMDGPU.csdata,"",@progbits
; Kernel info:
; codeLenInByte = 0
; NumSgprs: 0
; NumVgprs: 0
; ScratchSize: 0
; MemoryBound: 0
; FloatMode: 240
; IeeeMode: 1
; LDSByteSize: 0 bytes/workgroup (compile time only)
; SGPRBlocks: 0
; VGPRBlocks: 0
; NumSGPRsForWavesPerEU: 1
; NumVGPRsForWavesPerEU: 1
; Occupancy: 16
; WaveLimiterHint : 0
; COMPUTE_PGM_RSRC2:SCRATCH_EN: 0
; COMPUTE_PGM_RSRC2:USER_SGPR: 15
; COMPUTE_PGM_RSRC2:TRAP_HANDLER: 0
; COMPUTE_PGM_RSRC2:TGID_X_EN: 1
; COMPUTE_PGM_RSRC2:TGID_Y_EN: 0
; COMPUTE_PGM_RSRC2:TGID_Z_EN: 0
; COMPUTE_PGM_RSRC2:TIDIG_COMP_CNT: 0
	.section	.text._ZN7rocprim17ROCPRIM_400000_NS6detail17trampoline_kernelINS0_14default_configENS1_36segmented_radix_sort_config_selectorI6__halflEEZNS1_25segmented_radix_sort_implIS3_Lb1EPKS5_PS5_PKlPlN2at6native12_GLOBAL__N_18offset_tEEE10hipError_tPvRmT1_PNSt15iterator_traitsISL_E10value_typeET2_T3_PNSM_ISR_E10value_typeET4_jRbjT5_SX_jjP12ihipStream_tbEUlT_E_NS1_11comp_targetILNS1_3genE2ELNS1_11target_archE906ELNS1_3gpuE6ELNS1_3repE0EEENS1_30default_config_static_selectorELNS0_4arch9wavefront6targetE0EEEvSL_,"axG",@progbits,_ZN7rocprim17ROCPRIM_400000_NS6detail17trampoline_kernelINS0_14default_configENS1_36segmented_radix_sort_config_selectorI6__halflEEZNS1_25segmented_radix_sort_implIS3_Lb1EPKS5_PS5_PKlPlN2at6native12_GLOBAL__N_18offset_tEEE10hipError_tPvRmT1_PNSt15iterator_traitsISL_E10value_typeET2_T3_PNSM_ISR_E10value_typeET4_jRbjT5_SX_jjP12ihipStream_tbEUlT_E_NS1_11comp_targetILNS1_3genE2ELNS1_11target_archE906ELNS1_3gpuE6ELNS1_3repE0EEENS1_30default_config_static_selectorELNS0_4arch9wavefront6targetE0EEEvSL_,comdat
	.globl	_ZN7rocprim17ROCPRIM_400000_NS6detail17trampoline_kernelINS0_14default_configENS1_36segmented_radix_sort_config_selectorI6__halflEEZNS1_25segmented_radix_sort_implIS3_Lb1EPKS5_PS5_PKlPlN2at6native12_GLOBAL__N_18offset_tEEE10hipError_tPvRmT1_PNSt15iterator_traitsISL_E10value_typeET2_T3_PNSM_ISR_E10value_typeET4_jRbjT5_SX_jjP12ihipStream_tbEUlT_E_NS1_11comp_targetILNS1_3genE2ELNS1_11target_archE906ELNS1_3gpuE6ELNS1_3repE0EEENS1_30default_config_static_selectorELNS0_4arch9wavefront6targetE0EEEvSL_ ; -- Begin function _ZN7rocprim17ROCPRIM_400000_NS6detail17trampoline_kernelINS0_14default_configENS1_36segmented_radix_sort_config_selectorI6__halflEEZNS1_25segmented_radix_sort_implIS3_Lb1EPKS5_PS5_PKlPlN2at6native12_GLOBAL__N_18offset_tEEE10hipError_tPvRmT1_PNSt15iterator_traitsISL_E10value_typeET2_T3_PNSM_ISR_E10value_typeET4_jRbjT5_SX_jjP12ihipStream_tbEUlT_E_NS1_11comp_targetILNS1_3genE2ELNS1_11target_archE906ELNS1_3gpuE6ELNS1_3repE0EEENS1_30default_config_static_selectorELNS0_4arch9wavefront6targetE0EEEvSL_
	.p2align	8
	.type	_ZN7rocprim17ROCPRIM_400000_NS6detail17trampoline_kernelINS0_14default_configENS1_36segmented_radix_sort_config_selectorI6__halflEEZNS1_25segmented_radix_sort_implIS3_Lb1EPKS5_PS5_PKlPlN2at6native12_GLOBAL__N_18offset_tEEE10hipError_tPvRmT1_PNSt15iterator_traitsISL_E10value_typeET2_T3_PNSM_ISR_E10value_typeET4_jRbjT5_SX_jjP12ihipStream_tbEUlT_E_NS1_11comp_targetILNS1_3genE2ELNS1_11target_archE906ELNS1_3gpuE6ELNS1_3repE0EEENS1_30default_config_static_selectorELNS0_4arch9wavefront6targetE0EEEvSL_,@function
_ZN7rocprim17ROCPRIM_400000_NS6detail17trampoline_kernelINS0_14default_configENS1_36segmented_radix_sort_config_selectorI6__halflEEZNS1_25segmented_radix_sort_implIS3_Lb1EPKS5_PS5_PKlPlN2at6native12_GLOBAL__N_18offset_tEEE10hipError_tPvRmT1_PNSt15iterator_traitsISL_E10value_typeET2_T3_PNSM_ISR_E10value_typeET4_jRbjT5_SX_jjP12ihipStream_tbEUlT_E_NS1_11comp_targetILNS1_3genE2ELNS1_11target_archE906ELNS1_3gpuE6ELNS1_3repE0EEENS1_30default_config_static_selectorELNS0_4arch9wavefront6targetE0EEEvSL_: ; @_ZN7rocprim17ROCPRIM_400000_NS6detail17trampoline_kernelINS0_14default_configENS1_36segmented_radix_sort_config_selectorI6__halflEEZNS1_25segmented_radix_sort_implIS3_Lb1EPKS5_PS5_PKlPlN2at6native12_GLOBAL__N_18offset_tEEE10hipError_tPvRmT1_PNSt15iterator_traitsISL_E10value_typeET2_T3_PNSM_ISR_E10value_typeET4_jRbjT5_SX_jjP12ihipStream_tbEUlT_E_NS1_11comp_targetILNS1_3genE2ELNS1_11target_archE906ELNS1_3gpuE6ELNS1_3repE0EEENS1_30default_config_static_selectorELNS0_4arch9wavefront6targetE0EEEvSL_
; %bb.0:
	.section	.rodata,"a",@progbits
	.p2align	6, 0x0
	.amdhsa_kernel _ZN7rocprim17ROCPRIM_400000_NS6detail17trampoline_kernelINS0_14default_configENS1_36segmented_radix_sort_config_selectorI6__halflEEZNS1_25segmented_radix_sort_implIS3_Lb1EPKS5_PS5_PKlPlN2at6native12_GLOBAL__N_18offset_tEEE10hipError_tPvRmT1_PNSt15iterator_traitsISL_E10value_typeET2_T3_PNSM_ISR_E10value_typeET4_jRbjT5_SX_jjP12ihipStream_tbEUlT_E_NS1_11comp_targetILNS1_3genE2ELNS1_11target_archE906ELNS1_3gpuE6ELNS1_3repE0EEENS1_30default_config_static_selectorELNS0_4arch9wavefront6targetE0EEEvSL_
		.amdhsa_group_segment_fixed_size 0
		.amdhsa_private_segment_fixed_size 0
		.amdhsa_kernarg_size 96
		.amdhsa_user_sgpr_count 15
		.amdhsa_user_sgpr_dispatch_ptr 0
		.amdhsa_user_sgpr_queue_ptr 0
		.amdhsa_user_sgpr_kernarg_segment_ptr 1
		.amdhsa_user_sgpr_dispatch_id 0
		.amdhsa_user_sgpr_private_segment_size 0
		.amdhsa_wavefront_size32 1
		.amdhsa_uses_dynamic_stack 0
		.amdhsa_enable_private_segment 0
		.amdhsa_system_sgpr_workgroup_id_x 1
		.amdhsa_system_sgpr_workgroup_id_y 0
		.amdhsa_system_sgpr_workgroup_id_z 0
		.amdhsa_system_sgpr_workgroup_info 0
		.amdhsa_system_vgpr_workitem_id 0
		.amdhsa_next_free_vgpr 1
		.amdhsa_next_free_sgpr 1
		.amdhsa_reserve_vcc 0
		.amdhsa_float_round_mode_32 0
		.amdhsa_float_round_mode_16_64 0
		.amdhsa_float_denorm_mode_32 3
		.amdhsa_float_denorm_mode_16_64 3
		.amdhsa_dx10_clamp 1
		.amdhsa_ieee_mode 1
		.amdhsa_fp16_overflow 0
		.amdhsa_workgroup_processor_mode 1
		.amdhsa_memory_ordered 1
		.amdhsa_forward_progress 0
		.amdhsa_shared_vgpr_count 0
		.amdhsa_exception_fp_ieee_invalid_op 0
		.amdhsa_exception_fp_denorm_src 0
		.amdhsa_exception_fp_ieee_div_zero 0
		.amdhsa_exception_fp_ieee_overflow 0
		.amdhsa_exception_fp_ieee_underflow 0
		.amdhsa_exception_fp_ieee_inexact 0
		.amdhsa_exception_int_div_zero 0
	.end_amdhsa_kernel
	.section	.text._ZN7rocprim17ROCPRIM_400000_NS6detail17trampoline_kernelINS0_14default_configENS1_36segmented_radix_sort_config_selectorI6__halflEEZNS1_25segmented_radix_sort_implIS3_Lb1EPKS5_PS5_PKlPlN2at6native12_GLOBAL__N_18offset_tEEE10hipError_tPvRmT1_PNSt15iterator_traitsISL_E10value_typeET2_T3_PNSM_ISR_E10value_typeET4_jRbjT5_SX_jjP12ihipStream_tbEUlT_E_NS1_11comp_targetILNS1_3genE2ELNS1_11target_archE906ELNS1_3gpuE6ELNS1_3repE0EEENS1_30default_config_static_selectorELNS0_4arch9wavefront6targetE0EEEvSL_,"axG",@progbits,_ZN7rocprim17ROCPRIM_400000_NS6detail17trampoline_kernelINS0_14default_configENS1_36segmented_radix_sort_config_selectorI6__halflEEZNS1_25segmented_radix_sort_implIS3_Lb1EPKS5_PS5_PKlPlN2at6native12_GLOBAL__N_18offset_tEEE10hipError_tPvRmT1_PNSt15iterator_traitsISL_E10value_typeET2_T3_PNSM_ISR_E10value_typeET4_jRbjT5_SX_jjP12ihipStream_tbEUlT_E_NS1_11comp_targetILNS1_3genE2ELNS1_11target_archE906ELNS1_3gpuE6ELNS1_3repE0EEENS1_30default_config_static_selectorELNS0_4arch9wavefront6targetE0EEEvSL_,comdat
.Lfunc_end1743:
	.size	_ZN7rocprim17ROCPRIM_400000_NS6detail17trampoline_kernelINS0_14default_configENS1_36segmented_radix_sort_config_selectorI6__halflEEZNS1_25segmented_radix_sort_implIS3_Lb1EPKS5_PS5_PKlPlN2at6native12_GLOBAL__N_18offset_tEEE10hipError_tPvRmT1_PNSt15iterator_traitsISL_E10value_typeET2_T3_PNSM_ISR_E10value_typeET4_jRbjT5_SX_jjP12ihipStream_tbEUlT_E_NS1_11comp_targetILNS1_3genE2ELNS1_11target_archE906ELNS1_3gpuE6ELNS1_3repE0EEENS1_30default_config_static_selectorELNS0_4arch9wavefront6targetE0EEEvSL_, .Lfunc_end1743-_ZN7rocprim17ROCPRIM_400000_NS6detail17trampoline_kernelINS0_14default_configENS1_36segmented_radix_sort_config_selectorI6__halflEEZNS1_25segmented_radix_sort_implIS3_Lb1EPKS5_PS5_PKlPlN2at6native12_GLOBAL__N_18offset_tEEE10hipError_tPvRmT1_PNSt15iterator_traitsISL_E10value_typeET2_T3_PNSM_ISR_E10value_typeET4_jRbjT5_SX_jjP12ihipStream_tbEUlT_E_NS1_11comp_targetILNS1_3genE2ELNS1_11target_archE906ELNS1_3gpuE6ELNS1_3repE0EEENS1_30default_config_static_selectorELNS0_4arch9wavefront6targetE0EEEvSL_
                                        ; -- End function
	.section	.AMDGPU.csdata,"",@progbits
; Kernel info:
; codeLenInByte = 0
; NumSgprs: 0
; NumVgprs: 0
; ScratchSize: 0
; MemoryBound: 0
; FloatMode: 240
; IeeeMode: 1
; LDSByteSize: 0 bytes/workgroup (compile time only)
; SGPRBlocks: 0
; VGPRBlocks: 0
; NumSGPRsForWavesPerEU: 1
; NumVGPRsForWavesPerEU: 1
; Occupancy: 16
; WaveLimiterHint : 0
; COMPUTE_PGM_RSRC2:SCRATCH_EN: 0
; COMPUTE_PGM_RSRC2:USER_SGPR: 15
; COMPUTE_PGM_RSRC2:TRAP_HANDLER: 0
; COMPUTE_PGM_RSRC2:TGID_X_EN: 1
; COMPUTE_PGM_RSRC2:TGID_Y_EN: 0
; COMPUTE_PGM_RSRC2:TGID_Z_EN: 0
; COMPUTE_PGM_RSRC2:TIDIG_COMP_CNT: 0
	.section	.text._ZN7rocprim17ROCPRIM_400000_NS6detail17trampoline_kernelINS0_14default_configENS1_36segmented_radix_sort_config_selectorI6__halflEEZNS1_25segmented_radix_sort_implIS3_Lb1EPKS5_PS5_PKlPlN2at6native12_GLOBAL__N_18offset_tEEE10hipError_tPvRmT1_PNSt15iterator_traitsISL_E10value_typeET2_T3_PNSM_ISR_E10value_typeET4_jRbjT5_SX_jjP12ihipStream_tbEUlT_E_NS1_11comp_targetILNS1_3genE10ELNS1_11target_archE1201ELNS1_3gpuE5ELNS1_3repE0EEENS1_30default_config_static_selectorELNS0_4arch9wavefront6targetE0EEEvSL_,"axG",@progbits,_ZN7rocprim17ROCPRIM_400000_NS6detail17trampoline_kernelINS0_14default_configENS1_36segmented_radix_sort_config_selectorI6__halflEEZNS1_25segmented_radix_sort_implIS3_Lb1EPKS5_PS5_PKlPlN2at6native12_GLOBAL__N_18offset_tEEE10hipError_tPvRmT1_PNSt15iterator_traitsISL_E10value_typeET2_T3_PNSM_ISR_E10value_typeET4_jRbjT5_SX_jjP12ihipStream_tbEUlT_E_NS1_11comp_targetILNS1_3genE10ELNS1_11target_archE1201ELNS1_3gpuE5ELNS1_3repE0EEENS1_30default_config_static_selectorELNS0_4arch9wavefront6targetE0EEEvSL_,comdat
	.globl	_ZN7rocprim17ROCPRIM_400000_NS6detail17trampoline_kernelINS0_14default_configENS1_36segmented_radix_sort_config_selectorI6__halflEEZNS1_25segmented_radix_sort_implIS3_Lb1EPKS5_PS5_PKlPlN2at6native12_GLOBAL__N_18offset_tEEE10hipError_tPvRmT1_PNSt15iterator_traitsISL_E10value_typeET2_T3_PNSM_ISR_E10value_typeET4_jRbjT5_SX_jjP12ihipStream_tbEUlT_E_NS1_11comp_targetILNS1_3genE10ELNS1_11target_archE1201ELNS1_3gpuE5ELNS1_3repE0EEENS1_30default_config_static_selectorELNS0_4arch9wavefront6targetE0EEEvSL_ ; -- Begin function _ZN7rocprim17ROCPRIM_400000_NS6detail17trampoline_kernelINS0_14default_configENS1_36segmented_radix_sort_config_selectorI6__halflEEZNS1_25segmented_radix_sort_implIS3_Lb1EPKS5_PS5_PKlPlN2at6native12_GLOBAL__N_18offset_tEEE10hipError_tPvRmT1_PNSt15iterator_traitsISL_E10value_typeET2_T3_PNSM_ISR_E10value_typeET4_jRbjT5_SX_jjP12ihipStream_tbEUlT_E_NS1_11comp_targetILNS1_3genE10ELNS1_11target_archE1201ELNS1_3gpuE5ELNS1_3repE0EEENS1_30default_config_static_selectorELNS0_4arch9wavefront6targetE0EEEvSL_
	.p2align	8
	.type	_ZN7rocprim17ROCPRIM_400000_NS6detail17trampoline_kernelINS0_14default_configENS1_36segmented_radix_sort_config_selectorI6__halflEEZNS1_25segmented_radix_sort_implIS3_Lb1EPKS5_PS5_PKlPlN2at6native12_GLOBAL__N_18offset_tEEE10hipError_tPvRmT1_PNSt15iterator_traitsISL_E10value_typeET2_T3_PNSM_ISR_E10value_typeET4_jRbjT5_SX_jjP12ihipStream_tbEUlT_E_NS1_11comp_targetILNS1_3genE10ELNS1_11target_archE1201ELNS1_3gpuE5ELNS1_3repE0EEENS1_30default_config_static_selectorELNS0_4arch9wavefront6targetE0EEEvSL_,@function
_ZN7rocprim17ROCPRIM_400000_NS6detail17trampoline_kernelINS0_14default_configENS1_36segmented_radix_sort_config_selectorI6__halflEEZNS1_25segmented_radix_sort_implIS3_Lb1EPKS5_PS5_PKlPlN2at6native12_GLOBAL__N_18offset_tEEE10hipError_tPvRmT1_PNSt15iterator_traitsISL_E10value_typeET2_T3_PNSM_ISR_E10value_typeET4_jRbjT5_SX_jjP12ihipStream_tbEUlT_E_NS1_11comp_targetILNS1_3genE10ELNS1_11target_archE1201ELNS1_3gpuE5ELNS1_3repE0EEENS1_30default_config_static_selectorELNS0_4arch9wavefront6targetE0EEEvSL_: ; @_ZN7rocprim17ROCPRIM_400000_NS6detail17trampoline_kernelINS0_14default_configENS1_36segmented_radix_sort_config_selectorI6__halflEEZNS1_25segmented_radix_sort_implIS3_Lb1EPKS5_PS5_PKlPlN2at6native12_GLOBAL__N_18offset_tEEE10hipError_tPvRmT1_PNSt15iterator_traitsISL_E10value_typeET2_T3_PNSM_ISR_E10value_typeET4_jRbjT5_SX_jjP12ihipStream_tbEUlT_E_NS1_11comp_targetILNS1_3genE10ELNS1_11target_archE1201ELNS1_3gpuE5ELNS1_3repE0EEENS1_30default_config_static_selectorELNS0_4arch9wavefront6targetE0EEEvSL_
; %bb.0:
	.section	.rodata,"a",@progbits
	.p2align	6, 0x0
	.amdhsa_kernel _ZN7rocprim17ROCPRIM_400000_NS6detail17trampoline_kernelINS0_14default_configENS1_36segmented_radix_sort_config_selectorI6__halflEEZNS1_25segmented_radix_sort_implIS3_Lb1EPKS5_PS5_PKlPlN2at6native12_GLOBAL__N_18offset_tEEE10hipError_tPvRmT1_PNSt15iterator_traitsISL_E10value_typeET2_T3_PNSM_ISR_E10value_typeET4_jRbjT5_SX_jjP12ihipStream_tbEUlT_E_NS1_11comp_targetILNS1_3genE10ELNS1_11target_archE1201ELNS1_3gpuE5ELNS1_3repE0EEENS1_30default_config_static_selectorELNS0_4arch9wavefront6targetE0EEEvSL_
		.amdhsa_group_segment_fixed_size 0
		.amdhsa_private_segment_fixed_size 0
		.amdhsa_kernarg_size 96
		.amdhsa_user_sgpr_count 15
		.amdhsa_user_sgpr_dispatch_ptr 0
		.amdhsa_user_sgpr_queue_ptr 0
		.amdhsa_user_sgpr_kernarg_segment_ptr 1
		.amdhsa_user_sgpr_dispatch_id 0
		.amdhsa_user_sgpr_private_segment_size 0
		.amdhsa_wavefront_size32 1
		.amdhsa_uses_dynamic_stack 0
		.amdhsa_enable_private_segment 0
		.amdhsa_system_sgpr_workgroup_id_x 1
		.amdhsa_system_sgpr_workgroup_id_y 0
		.amdhsa_system_sgpr_workgroup_id_z 0
		.amdhsa_system_sgpr_workgroup_info 0
		.amdhsa_system_vgpr_workitem_id 0
		.amdhsa_next_free_vgpr 1
		.amdhsa_next_free_sgpr 1
		.amdhsa_reserve_vcc 0
		.amdhsa_float_round_mode_32 0
		.amdhsa_float_round_mode_16_64 0
		.amdhsa_float_denorm_mode_32 3
		.amdhsa_float_denorm_mode_16_64 3
		.amdhsa_dx10_clamp 1
		.amdhsa_ieee_mode 1
		.amdhsa_fp16_overflow 0
		.amdhsa_workgroup_processor_mode 1
		.amdhsa_memory_ordered 1
		.amdhsa_forward_progress 0
		.amdhsa_shared_vgpr_count 0
		.amdhsa_exception_fp_ieee_invalid_op 0
		.amdhsa_exception_fp_denorm_src 0
		.amdhsa_exception_fp_ieee_div_zero 0
		.amdhsa_exception_fp_ieee_overflow 0
		.amdhsa_exception_fp_ieee_underflow 0
		.amdhsa_exception_fp_ieee_inexact 0
		.amdhsa_exception_int_div_zero 0
	.end_amdhsa_kernel
	.section	.text._ZN7rocprim17ROCPRIM_400000_NS6detail17trampoline_kernelINS0_14default_configENS1_36segmented_radix_sort_config_selectorI6__halflEEZNS1_25segmented_radix_sort_implIS3_Lb1EPKS5_PS5_PKlPlN2at6native12_GLOBAL__N_18offset_tEEE10hipError_tPvRmT1_PNSt15iterator_traitsISL_E10value_typeET2_T3_PNSM_ISR_E10value_typeET4_jRbjT5_SX_jjP12ihipStream_tbEUlT_E_NS1_11comp_targetILNS1_3genE10ELNS1_11target_archE1201ELNS1_3gpuE5ELNS1_3repE0EEENS1_30default_config_static_selectorELNS0_4arch9wavefront6targetE0EEEvSL_,"axG",@progbits,_ZN7rocprim17ROCPRIM_400000_NS6detail17trampoline_kernelINS0_14default_configENS1_36segmented_radix_sort_config_selectorI6__halflEEZNS1_25segmented_radix_sort_implIS3_Lb1EPKS5_PS5_PKlPlN2at6native12_GLOBAL__N_18offset_tEEE10hipError_tPvRmT1_PNSt15iterator_traitsISL_E10value_typeET2_T3_PNSM_ISR_E10value_typeET4_jRbjT5_SX_jjP12ihipStream_tbEUlT_E_NS1_11comp_targetILNS1_3genE10ELNS1_11target_archE1201ELNS1_3gpuE5ELNS1_3repE0EEENS1_30default_config_static_selectorELNS0_4arch9wavefront6targetE0EEEvSL_,comdat
.Lfunc_end1744:
	.size	_ZN7rocprim17ROCPRIM_400000_NS6detail17trampoline_kernelINS0_14default_configENS1_36segmented_radix_sort_config_selectorI6__halflEEZNS1_25segmented_radix_sort_implIS3_Lb1EPKS5_PS5_PKlPlN2at6native12_GLOBAL__N_18offset_tEEE10hipError_tPvRmT1_PNSt15iterator_traitsISL_E10value_typeET2_T3_PNSM_ISR_E10value_typeET4_jRbjT5_SX_jjP12ihipStream_tbEUlT_E_NS1_11comp_targetILNS1_3genE10ELNS1_11target_archE1201ELNS1_3gpuE5ELNS1_3repE0EEENS1_30default_config_static_selectorELNS0_4arch9wavefront6targetE0EEEvSL_, .Lfunc_end1744-_ZN7rocprim17ROCPRIM_400000_NS6detail17trampoline_kernelINS0_14default_configENS1_36segmented_radix_sort_config_selectorI6__halflEEZNS1_25segmented_radix_sort_implIS3_Lb1EPKS5_PS5_PKlPlN2at6native12_GLOBAL__N_18offset_tEEE10hipError_tPvRmT1_PNSt15iterator_traitsISL_E10value_typeET2_T3_PNSM_ISR_E10value_typeET4_jRbjT5_SX_jjP12ihipStream_tbEUlT_E_NS1_11comp_targetILNS1_3genE10ELNS1_11target_archE1201ELNS1_3gpuE5ELNS1_3repE0EEENS1_30default_config_static_selectorELNS0_4arch9wavefront6targetE0EEEvSL_
                                        ; -- End function
	.section	.AMDGPU.csdata,"",@progbits
; Kernel info:
; codeLenInByte = 0
; NumSgprs: 0
; NumVgprs: 0
; ScratchSize: 0
; MemoryBound: 0
; FloatMode: 240
; IeeeMode: 1
; LDSByteSize: 0 bytes/workgroup (compile time only)
; SGPRBlocks: 0
; VGPRBlocks: 0
; NumSGPRsForWavesPerEU: 1
; NumVGPRsForWavesPerEU: 1
; Occupancy: 16
; WaveLimiterHint : 0
; COMPUTE_PGM_RSRC2:SCRATCH_EN: 0
; COMPUTE_PGM_RSRC2:USER_SGPR: 15
; COMPUTE_PGM_RSRC2:TRAP_HANDLER: 0
; COMPUTE_PGM_RSRC2:TGID_X_EN: 1
; COMPUTE_PGM_RSRC2:TGID_Y_EN: 0
; COMPUTE_PGM_RSRC2:TGID_Z_EN: 0
; COMPUTE_PGM_RSRC2:TIDIG_COMP_CNT: 0
	.section	.text._ZN7rocprim17ROCPRIM_400000_NS6detail17trampoline_kernelINS0_14default_configENS1_36segmented_radix_sort_config_selectorI6__halflEEZNS1_25segmented_radix_sort_implIS3_Lb1EPKS5_PS5_PKlPlN2at6native12_GLOBAL__N_18offset_tEEE10hipError_tPvRmT1_PNSt15iterator_traitsISL_E10value_typeET2_T3_PNSM_ISR_E10value_typeET4_jRbjT5_SX_jjP12ihipStream_tbEUlT_E_NS1_11comp_targetILNS1_3genE10ELNS1_11target_archE1200ELNS1_3gpuE4ELNS1_3repE0EEENS1_30default_config_static_selectorELNS0_4arch9wavefront6targetE0EEEvSL_,"axG",@progbits,_ZN7rocprim17ROCPRIM_400000_NS6detail17trampoline_kernelINS0_14default_configENS1_36segmented_radix_sort_config_selectorI6__halflEEZNS1_25segmented_radix_sort_implIS3_Lb1EPKS5_PS5_PKlPlN2at6native12_GLOBAL__N_18offset_tEEE10hipError_tPvRmT1_PNSt15iterator_traitsISL_E10value_typeET2_T3_PNSM_ISR_E10value_typeET4_jRbjT5_SX_jjP12ihipStream_tbEUlT_E_NS1_11comp_targetILNS1_3genE10ELNS1_11target_archE1200ELNS1_3gpuE4ELNS1_3repE0EEENS1_30default_config_static_selectorELNS0_4arch9wavefront6targetE0EEEvSL_,comdat
	.globl	_ZN7rocprim17ROCPRIM_400000_NS6detail17trampoline_kernelINS0_14default_configENS1_36segmented_radix_sort_config_selectorI6__halflEEZNS1_25segmented_radix_sort_implIS3_Lb1EPKS5_PS5_PKlPlN2at6native12_GLOBAL__N_18offset_tEEE10hipError_tPvRmT1_PNSt15iterator_traitsISL_E10value_typeET2_T3_PNSM_ISR_E10value_typeET4_jRbjT5_SX_jjP12ihipStream_tbEUlT_E_NS1_11comp_targetILNS1_3genE10ELNS1_11target_archE1200ELNS1_3gpuE4ELNS1_3repE0EEENS1_30default_config_static_selectorELNS0_4arch9wavefront6targetE0EEEvSL_ ; -- Begin function _ZN7rocprim17ROCPRIM_400000_NS6detail17trampoline_kernelINS0_14default_configENS1_36segmented_radix_sort_config_selectorI6__halflEEZNS1_25segmented_radix_sort_implIS3_Lb1EPKS5_PS5_PKlPlN2at6native12_GLOBAL__N_18offset_tEEE10hipError_tPvRmT1_PNSt15iterator_traitsISL_E10value_typeET2_T3_PNSM_ISR_E10value_typeET4_jRbjT5_SX_jjP12ihipStream_tbEUlT_E_NS1_11comp_targetILNS1_3genE10ELNS1_11target_archE1200ELNS1_3gpuE4ELNS1_3repE0EEENS1_30default_config_static_selectorELNS0_4arch9wavefront6targetE0EEEvSL_
	.p2align	8
	.type	_ZN7rocprim17ROCPRIM_400000_NS6detail17trampoline_kernelINS0_14default_configENS1_36segmented_radix_sort_config_selectorI6__halflEEZNS1_25segmented_radix_sort_implIS3_Lb1EPKS5_PS5_PKlPlN2at6native12_GLOBAL__N_18offset_tEEE10hipError_tPvRmT1_PNSt15iterator_traitsISL_E10value_typeET2_T3_PNSM_ISR_E10value_typeET4_jRbjT5_SX_jjP12ihipStream_tbEUlT_E_NS1_11comp_targetILNS1_3genE10ELNS1_11target_archE1200ELNS1_3gpuE4ELNS1_3repE0EEENS1_30default_config_static_selectorELNS0_4arch9wavefront6targetE0EEEvSL_,@function
_ZN7rocprim17ROCPRIM_400000_NS6detail17trampoline_kernelINS0_14default_configENS1_36segmented_radix_sort_config_selectorI6__halflEEZNS1_25segmented_radix_sort_implIS3_Lb1EPKS5_PS5_PKlPlN2at6native12_GLOBAL__N_18offset_tEEE10hipError_tPvRmT1_PNSt15iterator_traitsISL_E10value_typeET2_T3_PNSM_ISR_E10value_typeET4_jRbjT5_SX_jjP12ihipStream_tbEUlT_E_NS1_11comp_targetILNS1_3genE10ELNS1_11target_archE1200ELNS1_3gpuE4ELNS1_3repE0EEENS1_30default_config_static_selectorELNS0_4arch9wavefront6targetE0EEEvSL_: ; @_ZN7rocprim17ROCPRIM_400000_NS6detail17trampoline_kernelINS0_14default_configENS1_36segmented_radix_sort_config_selectorI6__halflEEZNS1_25segmented_radix_sort_implIS3_Lb1EPKS5_PS5_PKlPlN2at6native12_GLOBAL__N_18offset_tEEE10hipError_tPvRmT1_PNSt15iterator_traitsISL_E10value_typeET2_T3_PNSM_ISR_E10value_typeET4_jRbjT5_SX_jjP12ihipStream_tbEUlT_E_NS1_11comp_targetILNS1_3genE10ELNS1_11target_archE1200ELNS1_3gpuE4ELNS1_3repE0EEENS1_30default_config_static_selectorELNS0_4arch9wavefront6targetE0EEEvSL_
; %bb.0:
	.section	.rodata,"a",@progbits
	.p2align	6, 0x0
	.amdhsa_kernel _ZN7rocprim17ROCPRIM_400000_NS6detail17trampoline_kernelINS0_14default_configENS1_36segmented_radix_sort_config_selectorI6__halflEEZNS1_25segmented_radix_sort_implIS3_Lb1EPKS5_PS5_PKlPlN2at6native12_GLOBAL__N_18offset_tEEE10hipError_tPvRmT1_PNSt15iterator_traitsISL_E10value_typeET2_T3_PNSM_ISR_E10value_typeET4_jRbjT5_SX_jjP12ihipStream_tbEUlT_E_NS1_11comp_targetILNS1_3genE10ELNS1_11target_archE1200ELNS1_3gpuE4ELNS1_3repE0EEENS1_30default_config_static_selectorELNS0_4arch9wavefront6targetE0EEEvSL_
		.amdhsa_group_segment_fixed_size 0
		.amdhsa_private_segment_fixed_size 0
		.amdhsa_kernarg_size 96
		.amdhsa_user_sgpr_count 15
		.amdhsa_user_sgpr_dispatch_ptr 0
		.amdhsa_user_sgpr_queue_ptr 0
		.amdhsa_user_sgpr_kernarg_segment_ptr 1
		.amdhsa_user_sgpr_dispatch_id 0
		.amdhsa_user_sgpr_private_segment_size 0
		.amdhsa_wavefront_size32 1
		.amdhsa_uses_dynamic_stack 0
		.amdhsa_enable_private_segment 0
		.amdhsa_system_sgpr_workgroup_id_x 1
		.amdhsa_system_sgpr_workgroup_id_y 0
		.amdhsa_system_sgpr_workgroup_id_z 0
		.amdhsa_system_sgpr_workgroup_info 0
		.amdhsa_system_vgpr_workitem_id 0
		.amdhsa_next_free_vgpr 1
		.amdhsa_next_free_sgpr 1
		.amdhsa_reserve_vcc 0
		.amdhsa_float_round_mode_32 0
		.amdhsa_float_round_mode_16_64 0
		.amdhsa_float_denorm_mode_32 3
		.amdhsa_float_denorm_mode_16_64 3
		.amdhsa_dx10_clamp 1
		.amdhsa_ieee_mode 1
		.amdhsa_fp16_overflow 0
		.amdhsa_workgroup_processor_mode 1
		.amdhsa_memory_ordered 1
		.amdhsa_forward_progress 0
		.amdhsa_shared_vgpr_count 0
		.amdhsa_exception_fp_ieee_invalid_op 0
		.amdhsa_exception_fp_denorm_src 0
		.amdhsa_exception_fp_ieee_div_zero 0
		.amdhsa_exception_fp_ieee_overflow 0
		.amdhsa_exception_fp_ieee_underflow 0
		.amdhsa_exception_fp_ieee_inexact 0
		.amdhsa_exception_int_div_zero 0
	.end_amdhsa_kernel
	.section	.text._ZN7rocprim17ROCPRIM_400000_NS6detail17trampoline_kernelINS0_14default_configENS1_36segmented_radix_sort_config_selectorI6__halflEEZNS1_25segmented_radix_sort_implIS3_Lb1EPKS5_PS5_PKlPlN2at6native12_GLOBAL__N_18offset_tEEE10hipError_tPvRmT1_PNSt15iterator_traitsISL_E10value_typeET2_T3_PNSM_ISR_E10value_typeET4_jRbjT5_SX_jjP12ihipStream_tbEUlT_E_NS1_11comp_targetILNS1_3genE10ELNS1_11target_archE1200ELNS1_3gpuE4ELNS1_3repE0EEENS1_30default_config_static_selectorELNS0_4arch9wavefront6targetE0EEEvSL_,"axG",@progbits,_ZN7rocprim17ROCPRIM_400000_NS6detail17trampoline_kernelINS0_14default_configENS1_36segmented_radix_sort_config_selectorI6__halflEEZNS1_25segmented_radix_sort_implIS3_Lb1EPKS5_PS5_PKlPlN2at6native12_GLOBAL__N_18offset_tEEE10hipError_tPvRmT1_PNSt15iterator_traitsISL_E10value_typeET2_T3_PNSM_ISR_E10value_typeET4_jRbjT5_SX_jjP12ihipStream_tbEUlT_E_NS1_11comp_targetILNS1_3genE10ELNS1_11target_archE1200ELNS1_3gpuE4ELNS1_3repE0EEENS1_30default_config_static_selectorELNS0_4arch9wavefront6targetE0EEEvSL_,comdat
.Lfunc_end1745:
	.size	_ZN7rocprim17ROCPRIM_400000_NS6detail17trampoline_kernelINS0_14default_configENS1_36segmented_radix_sort_config_selectorI6__halflEEZNS1_25segmented_radix_sort_implIS3_Lb1EPKS5_PS5_PKlPlN2at6native12_GLOBAL__N_18offset_tEEE10hipError_tPvRmT1_PNSt15iterator_traitsISL_E10value_typeET2_T3_PNSM_ISR_E10value_typeET4_jRbjT5_SX_jjP12ihipStream_tbEUlT_E_NS1_11comp_targetILNS1_3genE10ELNS1_11target_archE1200ELNS1_3gpuE4ELNS1_3repE0EEENS1_30default_config_static_selectorELNS0_4arch9wavefront6targetE0EEEvSL_, .Lfunc_end1745-_ZN7rocprim17ROCPRIM_400000_NS6detail17trampoline_kernelINS0_14default_configENS1_36segmented_radix_sort_config_selectorI6__halflEEZNS1_25segmented_radix_sort_implIS3_Lb1EPKS5_PS5_PKlPlN2at6native12_GLOBAL__N_18offset_tEEE10hipError_tPvRmT1_PNSt15iterator_traitsISL_E10value_typeET2_T3_PNSM_ISR_E10value_typeET4_jRbjT5_SX_jjP12ihipStream_tbEUlT_E_NS1_11comp_targetILNS1_3genE10ELNS1_11target_archE1200ELNS1_3gpuE4ELNS1_3repE0EEENS1_30default_config_static_selectorELNS0_4arch9wavefront6targetE0EEEvSL_
                                        ; -- End function
	.section	.AMDGPU.csdata,"",@progbits
; Kernel info:
; codeLenInByte = 0
; NumSgprs: 0
; NumVgprs: 0
; ScratchSize: 0
; MemoryBound: 0
; FloatMode: 240
; IeeeMode: 1
; LDSByteSize: 0 bytes/workgroup (compile time only)
; SGPRBlocks: 0
; VGPRBlocks: 0
; NumSGPRsForWavesPerEU: 1
; NumVGPRsForWavesPerEU: 1
; Occupancy: 16
; WaveLimiterHint : 0
; COMPUTE_PGM_RSRC2:SCRATCH_EN: 0
; COMPUTE_PGM_RSRC2:USER_SGPR: 15
; COMPUTE_PGM_RSRC2:TRAP_HANDLER: 0
; COMPUTE_PGM_RSRC2:TGID_X_EN: 1
; COMPUTE_PGM_RSRC2:TGID_Y_EN: 0
; COMPUTE_PGM_RSRC2:TGID_Z_EN: 0
; COMPUTE_PGM_RSRC2:TIDIG_COMP_CNT: 0
	.text
	.p2align	2                               ; -- Begin function _ZN7rocprim17ROCPRIM_400000_NS6detail40segmented_radix_sort_single_block_helperI6__halflLj256ELj16ELb1EE4sortIPKS3_PS3_PKlPlEEbT_T0_T1_T2_jjjjRNS4_12storage_typeE
	.type	_ZN7rocprim17ROCPRIM_400000_NS6detail40segmented_radix_sort_single_block_helperI6__halflLj256ELj16ELb1EE4sortIPKS3_PS3_PKlPlEEbT_T0_T1_T2_jjjjRNS4_12storage_typeE,@function
_ZN7rocprim17ROCPRIM_400000_NS6detail40segmented_radix_sort_single_block_helperI6__halflLj256ELj16ELb1EE4sortIPKS3_PS3_PKlPlEEbT_T0_T1_T2_jjjjRNS4_12storage_typeE: ; @_ZN7rocprim17ROCPRIM_400000_NS6detail40segmented_radix_sort_single_block_helperI6__halflLj256ELj16ELb1EE4sortIPKS3_PS3_PKlPlEEbT_T0_T1_T2_jjjjRNS4_12storage_typeE
; %bb.0:
	s_waitcnt vmcnt(0) expcnt(0) lgkmcnt(0)
	s_clause 0x1f
	scratch_store_b32 off, v40, s32 offset:212
	; meta instruction
	scratch_store_b32 off, v41, s32 offset:208
	; meta instruction
	;; [unrolled: 2-line block ×31, first 2 shown]
	scratch_store_b32 off, v95, s32 offset:88
	s_clause 0x15
	scratch_store_b32 off, v104, s32 offset:84
	; meta instruction
	scratch_store_b32 off, v105, s32 offset:80
	; meta instruction
	scratch_store_b32 off, v106, s32 offset:76
	; meta instruction
	scratch_store_b32 off, v107, s32 offset:72
	; meta instruction
	scratch_store_b32 off, v108, s32 offset:68
	; meta instruction
	scratch_store_b32 off, v109, s32 offset:64
	; meta instruction
	scratch_store_b32 off, v110, s32 offset:60
	; meta instruction
	scratch_store_b32 off, v111, s32 offset:56
	; meta instruction
	scratch_store_b32 off, v120, s32 offset:52
	; meta instruction
	scratch_store_b32 off, v121, s32 offset:48
	; meta instruction
	scratch_store_b32 off, v122, s32 offset:44
	; meta instruction
	scratch_store_b32 off, v123, s32 offset:40
	; meta instruction
	scratch_store_b32 off, v124, s32 offset:36
	; meta instruction
	scratch_store_b32 off, v125, s32 offset:32
	; meta instruction
	scratch_store_b32 off, v126, s32 offset:28
	; meta instruction
	scratch_store_b32 off, v127, s32 offset:24
	; meta instruction
	scratch_store_b32 off, v136, s32 offset:20
	; meta instruction
	scratch_store_b32 off, v137, s32 offset:16
	; meta instruction
	scratch_store_b32 off, v138, s32 offset:12
	; meta instruction
	scratch_store_b32 off, v139, s32 offset:8
	; meta instruction
	scratch_store_b32 off, v140, s32 offset:4
	; meta instruction
	scratch_store_b32 off, v141, s32
	v_sub_nc_u32_e32 v47, v9, v8
	s_mov_b32 s24, exec_lo
	s_delay_alu instid0(VALU_DEP_1)
	v_cmpx_gt_u32_e32 0x1001, v47
	s_cbranch_execz .LBB1746_372
; %bb.1:
	v_bfe_u32 v14, v31, 10, 10
	v_bfe_u32 v15, v31, 20, 10
	v_and_b32_e32 v34, 0x3ff, v31
	v_mbcnt_lo_u32_b32 v16, -1, 0
	s_mov_b32 s0, exec_lo
	v_cmpx_lt_u32_e32 0x800, v47
	s_xor_b32 s25, exec_lo, s0
	s_cbranch_execz .LBB1746_143
; %bb.2:
	s_load_b64 s[0:1], s[8:9], 0x0
	v_mov_b32_e32 v9, 0
	v_lshlrev_b32_e32 v19, 1, v16
	s_waitcnt lgkmcnt(0)
	s_cmp_lt_u32 s13, s1
	s_cselect_b32 s1, 14, 20
	s_delay_alu instid0(SALU_CYCLE_1) | instskip(SKIP_4) | instid1(SALU_CYCLE_1)
	s_add_u32 s2, s8, s1
	s_addc_u32 s3, s9, 0
	s_cmp_lt_u32 s12, s0
	global_load_u16 v17, v9, s[2:3]
	s_cselect_b32 s0, 12, 18
	s_add_u32 s0, s8, s0
	s_addc_u32 s1, s9, 0
	global_load_u16 v18, v9, s[0:1]
	s_waitcnt vmcnt(1)
	v_mad_u32_u24 v14, v15, v17, v14
	s_waitcnt vmcnt(0)
	s_delay_alu instid0(VALU_DEP_1) | instskip(NEXT) | instid1(VALU_DEP_1)
	v_mad_u64_u32 v[26:27], null, v14, v18, v[34:35]
	v_dual_mov_b32 v27, -1 :: v_dual_lshlrev_b32 v14, 4, v26
	v_lshlrev_b64 v[28:29], 1, v[8:9]
	v_mov_b32_e32 v17, -1
	s_delay_alu instid0(VALU_DEP_3) | instskip(NEXT) | instid1(VALU_DEP_3)
	v_dual_mov_b32 v15, v9 :: v_dual_and_b32 v14, 0xfffffe00, v14
	v_add_co_u32 v20, vcc_lo, v0, v28
	s_delay_alu instid0(VALU_DEP_4) | instskip(NEXT) | instid1(VALU_DEP_3)
	v_add_co_ci_u32_e32 v21, vcc_lo, v1, v29, vcc_lo
	v_lshlrev_b64 v[0:1], 1, v[14:15]
	s_delay_alu instid0(VALU_DEP_3) | instskip(SKIP_1) | instid1(VALU_DEP_4)
	v_add_co_u32 v19, vcc_lo, v20, v19
	v_or_b32_e32 v18, v14, v16
	v_add_co_ci_u32_e32 v20, vcc_lo, 0, v21, vcc_lo
	s_delay_alu instid0(VALU_DEP_3) | instskip(NEXT) | instid1(VALU_DEP_3)
	v_add_co_u32 v0, s0, v19, v0
	v_cmp_lt_u32_e32 vcc_lo, v18, v47
	s_delay_alu instid0(VALU_DEP_3)
	v_add_co_ci_u32_e64 v1, s0, v20, v1, s0
	s_and_saveexec_b32 s0, vcc_lo
	s_cbranch_execz .LBB1746_4
; %bb.3:
	flat_load_u16 v27, v[0:1]
.LBB1746_4:
	s_or_b32 exec_lo, exec_lo, s0
	v_or_b32_e32 v19, 32, v18
	s_delay_alu instid0(VALU_DEP_1) | instskip(NEXT) | instid1(VALU_DEP_1)
	v_cmp_lt_u32_e64 s0, v19, v47
	s_and_saveexec_b32 s1, s0
	s_cbranch_execz .LBB1746_6
; %bb.5:
	flat_load_u16 v17, v[0:1] offset:64
.LBB1746_6:
	s_or_b32 exec_lo, exec_lo, s1
	v_or_b32_e32 v19, 64, v18
	v_dual_mov_b32 v30, -1 :: v_dual_mov_b32 v31, -1
	s_delay_alu instid0(VALU_DEP_2) | instskip(NEXT) | instid1(VALU_DEP_1)
	v_cmp_lt_u32_e64 s1, v19, v47
	s_and_saveexec_b32 s2, s1
	s_cbranch_execz .LBB1746_8
; %bb.7:
	flat_load_u16 v31, v[0:1] offset:128
.LBB1746_8:
	s_or_b32 exec_lo, exec_lo, s2
	v_or_b32_e32 v19, 0x60, v18
	s_delay_alu instid0(VALU_DEP_1) | instskip(NEXT) | instid1(VALU_DEP_1)
	v_cmp_lt_u32_e64 s2, v19, v47
	s_and_saveexec_b32 s3, s2
	s_cbranch_execz .LBB1746_10
; %bb.9:
	flat_load_u16 v30, v[0:1] offset:192
.LBB1746_10:
	s_or_b32 exec_lo, exec_lo, s3
	v_or_b32_e32 v19, 0x80, v18
	v_dual_mov_b32 v32, -1 :: v_dual_mov_b32 v33, -1
	s_delay_alu instid0(VALU_DEP_2) | instskip(NEXT) | instid1(VALU_DEP_1)
	v_cmp_lt_u32_e64 s3, v19, v47
	s_and_saveexec_b32 s4, s3
	s_cbranch_execz .LBB1746_12
; %bb.11:
	flat_load_u16 v33, v[0:1] offset:256
.LBB1746_12:
	;; [unrolled: 19-line block ×7, first 2 shown]
	s_or_b32 exec_lo, exec_lo, s18
	v_or_b32_e32 v18, 0x1e0, v18
	s_delay_alu instid0(VALU_DEP_1) | instskip(NEXT) | instid1(VALU_DEP_1)
	v_cmp_lt_u32_e64 s18, v18, v47
	s_and_saveexec_b32 s19, s18
	s_cbranch_execz .LBB1746_34
; %bb.33:
	flat_load_u16 v51, v[0:1] offset:960
.LBB1746_34:
	s_or_b32 exec_lo, exec_lo, s19
	v_lshlrev_b64 v[0:1], 3, v[8:9]
	v_lshlrev_b32_e32 v8, 3, v16
                                        ; implicit-def: $vgpr22_vgpr23
	s_delay_alu instid0(VALU_DEP_2) | instskip(NEXT) | instid1(VALU_DEP_1)
	v_add_co_u32 v9, s19, v4, v0
	v_add_co_ci_u32_e64 v18, s19, v5, v1, s19
	v_lshlrev_b64 v[4:5], 3, v[14:15]
	s_delay_alu instid0(VALU_DEP_3) | instskip(NEXT) | instid1(VALU_DEP_1)
	v_add_co_u32 v8, s19, v9, v8
	v_add_co_ci_u32_e64 v9, s19, 0, v18, s19
	s_delay_alu instid0(VALU_DEP_2) | instskip(NEXT) | instid1(VALU_DEP_1)
	v_add_co_u32 v4, s19, v8, v4
	v_add_co_ci_u32_e64 v5, s19, v9, v5, s19
	s_and_saveexec_b32 s19, vcc_lo
	s_cbranch_execnz .LBB1746_196
; %bb.35:
	s_or_b32 exec_lo, exec_lo, s19
                                        ; implicit-def: $vgpr18_vgpr19
	s_and_saveexec_b32 s19, s0
	s_cbranch_execnz .LBB1746_197
.LBB1746_36:
	s_or_b32 exec_lo, exec_lo, s19
                                        ; implicit-def: $vgpr20_vgpr21
	s_and_saveexec_b32 s0, s1
	s_cbranch_execnz .LBB1746_198
.LBB1746_37:
	s_or_b32 exec_lo, exec_lo, s0
                                        ; implicit-def: $vgpr24_vgpr25
	s_and_saveexec_b32 s0, s2
	s_cbranch_execnz .LBB1746_199
.LBB1746_38:
	s_or_b32 exec_lo, exec_lo, s0
                                        ; implicit-def: $vgpr116_vgpr117
	s_and_saveexec_b32 s0, s3
	s_cbranch_execnz .LBB1746_200
.LBB1746_39:
	s_or_b32 exec_lo, exec_lo, s0
                                        ; implicit-def: $vgpr134_vgpr135
	s_and_saveexec_b32 s0, s4
	s_cbranch_execnz .LBB1746_201
.LBB1746_40:
	s_or_b32 exec_lo, exec_lo, s0
                                        ; implicit-def: $vgpr176_vgpr177
	s_and_saveexec_b32 s0, s5
	s_cbranch_execnz .LBB1746_202
.LBB1746_41:
	s_or_b32 exec_lo, exec_lo, s0
                                        ; implicit-def: $vgpr192_vgpr193
	s_and_saveexec_b32 s0, s6
	s_cbranch_execnz .LBB1746_203
.LBB1746_42:
	s_or_b32 exec_lo, exec_lo, s0
                                        ; implicit-def: $vgpr194_vgpr195
	s_and_saveexec_b32 s0, s7
	s_cbranch_execnz .LBB1746_204
.LBB1746_43:
	s_or_b32 exec_lo, exec_lo, s0
                                        ; implicit-def: $vgpr196_vgpr197
	s_and_saveexec_b32 s0, s10
	s_cbranch_execnz .LBB1746_205
.LBB1746_44:
	s_or_b32 exec_lo, exec_lo, s0
                                        ; implicit-def: $vgpr198_vgpr199
	s_and_saveexec_b32 s0, s11
	s_cbranch_execnz .LBB1746_206
.LBB1746_45:
	s_or_b32 exec_lo, exec_lo, s0
                                        ; implicit-def: $vgpr208_vgpr209
	s_and_saveexec_b32 s0, s14
	s_cbranch_execnz .LBB1746_207
.LBB1746_46:
	s_or_b32 exec_lo, exec_lo, s0
                                        ; implicit-def: $vgpr210_vgpr211
	s_and_saveexec_b32 s0, s15
	s_cbranch_execnz .LBB1746_208
.LBB1746_47:
	s_or_b32 exec_lo, exec_lo, s0
                                        ; implicit-def: $vgpr212_vgpr213
	s_and_saveexec_b32 s0, s16
	s_cbranch_execnz .LBB1746_209
.LBB1746_48:
	s_or_b32 exec_lo, exec_lo, s0
                                        ; implicit-def: $vgpr214_vgpr215
	s_and_saveexec_b32 s0, s17
	s_cbranch_execnz .LBB1746_210
.LBB1746_49:
	s_or_b32 exec_lo, exec_lo, s0
                                        ; implicit-def: $vgpr224_vgpr225
	s_and_saveexec_b32 s0, s18
	s_cbranch_execz .LBB1746_51
.LBB1746_50:
	flat_load_b64 v[224:225], v[4:5] offset:3840
.LBB1746_51:
	s_or_b32 exec_lo, exec_lo, s0
	s_waitcnt vmcnt(0) lgkmcnt(0)
	v_cmp_gt_i16_e32 vcc_lo, 0, v27
	s_mov_b32 s20, 0
	s_getpc_b64 s[0:1]
	s_add_u32 s0, s0, _ZN7rocprim17ROCPRIM_400000_NS16block_radix_sortI6__halfLj256ELj16ElLj1ELj1ELj8ELNS0_26block_radix_rank_algorithmE2ELNS0_18block_padding_hintE2ELNS0_4arch9wavefront6targetE0EE19radix_bits_per_passE@rel32@lo+4
	s_addc_u32 s1, s1, _ZN7rocprim17ROCPRIM_400000_NS16block_radix_sortI6__halfLj256ELj16ElLj1ELj1ELj8ELNS0_26block_radix_rank_algorithmE2ELNS0_18block_padding_hintE2ELNS0_4arch9wavefront6targetE0EE19radix_bits_per_passE@rel32@hi+12
	s_mov_b32 s21, s20
	s_mov_b32 s22, s20
	v_cndmask_b32_e64 v4, 0x7fff, 0, vcc_lo
	v_cmp_gt_i16_e32 vcc_lo, 0, v17
	s_mov_b32 s23, s20
	s_load_b32 s19, s[0:1], 0x0
	v_cmp_eq_u32_e64 s7, 0, v16
	v_xor_b32_e32 v141, v4, v27
	v_cndmask_b32_e64 v5, 0x7fff, 0, vcc_lo
	v_cmp_gt_i16_e32 vcc_lo, 0, v31
	v_and_b32_e32 v15, 7, v16
	v_lshrrev_b32_e32 v75, 5, v26
	v_cmp_gt_u32_e64 s5, 8, v34
	v_xor_b32_e32 v139, v5, v17
	v_cndmask_b32_e64 v4, 0x7fff, 0, vcc_lo
	v_cmp_gt_i16_e32 vcc_lo, 0, v30
	v_cmp_lt_u32_e64 s14, 1, v15
	v_cmp_lt_u32_e64 s15, 3, v15
	;; [unrolled: 1-line block ×3, first 2 shown]
	v_xor_b32_e32 v140, v4, v31
	v_cndmask_b32_e64 v5, 0x7fff, 0, vcc_lo
	v_cmp_gt_i16_e32 vcc_lo, 0, v33
	v_cmp_eq_u32_e64 s10, 0, v34
	v_sub_nc_u32_e32 v77, v11, v10
	s_waitcnt lgkmcnt(0)
	s_waitcnt_vscnt null, 0x0
	v_xor_b32_e32 v121, v5, v30
	v_cndmask_b32_e64 v8, 0x7fff, 0, vcc_lo
	v_cmp_gt_i16_e32 vcc_lo, 0, v32
	s_barrier
	buffer_gl0_inv
	v_xor_b32_e32 v120, v8, v33
	v_cndmask_b32_e64 v9, 0x7fff, 0, vcc_lo
	v_cmp_gt_i16_e32 vcc_lo, 0, v36
	s_delay_alu instid0(VALU_DEP_2) | instskip(SKIP_2) | instid1(VALU_DEP_2)
	v_xor_b32_e32 v111, v9, v32
	v_cndmask_b32_e64 v14, 0x7fff, 0, vcc_lo
	v_cmp_gt_i16_e32 vcc_lo, 0, v35
	v_xor_b32_e32 v110, v14, v36
	v_cndmask_b32_e64 v4, 0x7fff, 0, vcc_lo
	v_cmp_gt_i16_e32 vcc_lo, 0, v38
	s_delay_alu instid0(VALU_DEP_2) | instskip(SKIP_2) | instid1(VALU_DEP_2)
	v_xor_b32_e32 v122, v4, v35
	v_cndmask_b32_e64 v5, 0x7fff, 0, vcc_lo
	v_cmp_gt_i16_e32 vcc_lo, 0, v37
	;; [unrolled: 7-line block ×3, first 2 shown]
	v_xor_b32_e32 v125, v9, v48
	v_cndmask_b32_e64 v14, 0x7fff, 0, vcc_lo
	v_cmp_gt_i16_e32 vcc_lo, 0, v50
	s_delay_alu instid0(VALU_DEP_2) | instskip(SKIP_3) | instid1(VALU_DEP_3)
	v_xor_b32_e32 v126, v14, v39
	v_cndmask_b32_e64 v4, 0x7fff, 0, vcc_lo
	v_cmp_gt_i16_e32 vcc_lo, 0, v49
	v_add_nc_u32_e32 v14, -1, v16
	v_xor_b32_e32 v127, v4, v50
	v_cndmask_b32_e64 v5, 0x7fff, 0, vcc_lo
	v_cmp_gt_i16_e32 vcc_lo, 0, v52
	v_lshlrev_b32_e32 v4, 5, v34
	v_cmp_gt_i32_e64 s4, 0, v14
	s_delay_alu instid0(VALU_DEP_4) | instskip(SKIP_3) | instid1(VALU_DEP_2)
	v_xor_b32_e32 v136, v5, v49
	v_mov_b32_e32 v5, 0
	v_cndmask_b32_e64 v8, 0x7fff, 0, vcc_lo
	v_cmp_gt_i16_e32 vcc_lo, 0, v51
	v_xor_b32_e32 v137, v8, v52
	v_cndmask_b32_e64 v9, 0x7fff, 0, vcc_lo
	v_add_co_u32 v27, vcc_lo, v12, 32
	v_add_co_ci_u32_e32 v74, vcc_lo, 0, v13, vcc_lo
	s_delay_alu instid0(VALU_DEP_3)
	v_xor_b32_e32 v138, v9, v51
	v_and_b32_e32 v9, 0x3e0, v34
	v_add_co_u32 v48, vcc_lo, v12, v4
	v_and_b32_e32 v8, 15, v16
	v_add_co_ci_u32_e32 v49, vcc_lo, 0, v13, vcc_lo
	v_add_co_u32 v66, vcc_lo, v27, v4
	v_min_u32_e32 v4, 0xe0, v9
	v_and_b32_e32 v9, 16, v16
	v_add_co_ci_u32_e32 v67, vcc_lo, 0, v74, vcc_lo
	v_cmp_eq_u32_e32 vcc_lo, 0, v8
	v_cmp_lt_u32_e64 s0, 1, v8
	v_cmp_lt_u32_e64 s1, 3, v8
	;; [unrolled: 1-line block ×3, first 2 shown]
	v_cndmask_b32_e64 v8, v14, v16, s4
	v_lshlrev_b32_e32 v14, 4, v34
	v_or_b32_e32 v4, 31, v4
	v_cmp_eq_u32_e64 s3, 0, v9
	v_lshrrev_b32_e32 v9, 5, v34
	v_lshlrev_b32_e32 v76, 2, v8
	v_and_or_b32 v14, 0x3e00, v14, v16
	v_cmp_eq_u32_e64 s4, v4, v34
	v_lshlrev_b32_e32 v8, 2, v34
	v_lshlrev_b32_e32 v4, 2, v9
	s_delay_alu instid0(VALU_DEP_4) | instskip(NEXT) | instid1(VALU_DEP_2)
	v_lshlrev_b32_e32 v16, 1, v14
	v_add_co_u32 v98, s11, v12, v4
	v_add_nc_u32_e32 v4, -1, v9
	s_delay_alu instid0(VALU_DEP_3) | instskip(SKIP_2) | instid1(VALU_DEP_4)
	v_add_co_u32 v102, s16, v12, v16
	v_add_co_ci_u32_e64 v99, s11, 0, v13, s11
	v_add_co_u32 v100, s11, v12, v8
	v_lshlrev_b64 v[8:9], 2, v[4:5]
	v_add_co_ci_u32_e64 v103, s16, 0, v13, s16
	v_add_co_ci_u32_e64 v101, s11, 0, v13, s11
	v_cmp_eq_u32_e64 s11, 0, v15
	s_delay_alu instid0(VALU_DEP_3)
	v_mad_u64_u32 v[114:115], null, v14, 6, v[102:103]
	v_add_co_u32 v112, s16, v12, v8
	v_mov_b32_e32 v14, s20
	v_mov_b32_e32 v16, s22
	v_add_co_ci_u32_e64 v113, s16, v13, v9, s16
	v_mov_b32_e32 v15, s21
	v_mov_b32_e32 v17, s23
	s_branch .LBB1746_53
.LBB1746_52:                            ;   in Loop: Header=BB1746_53 Depth=1
	s_or_b32 exec_lo, exec_lo, s17
	s_delay_alu instid0(SALU_CYCLE_1) | instskip(NEXT) | instid1(SALU_CYCLE_1)
	s_and_b32 s16, exec_lo, s18
	s_or_b32 s20, s16, s20
	s_delay_alu instid0(SALU_CYCLE_1)
	s_and_not1_b32 exec_lo, exec_lo, s20
	s_cbranch_execz .LBB1746_93
.LBB1746_53:                            ; =>This Inner Loop Header: Depth=1
	v_dual_mov_b32 v78, v141 :: v_dual_mov_b32 v83, v23
	v_min_u32_e32 v4, s19, v77
	v_dual_mov_b32 v82, v22 :: v_dual_mov_b32 v97, v19
	s_delay_alu instid0(VALU_DEP_3) | instskip(SKIP_1) | instid1(VALU_DEP_4)
	v_cmp_ne_u16_e64 s16, 0x8000, v78
	v_mov_b32_e32 v70, v134
	v_lshlrev_b32_e64 v4, v4, -1
	v_dual_mov_b32 v96, v18 :: v_dual_mov_b32 v87, v21
	s_delay_alu instid0(VALU_DEP_4) | instskip(SKIP_1) | instid1(VALU_DEP_4)
	v_cndmask_b32_e64 v8, 0x7fff, v78, s16
	v_dual_mov_b32 v30, v212 :: v_dual_mov_b32 v79, v139
	v_not_b32_e32 v18, v4
	v_dual_mov_b32 v86, v20 :: v_dual_mov_b32 v85, v25
	s_delay_alu instid0(VALU_DEP_4) | instskip(SKIP_3) | instid1(VALU_DEP_4)
	v_dual_mov_b32 v71, v135 :: v_dual_and_b32 v8, 0xffff, v8
	v_mov_b32_e32 v84, v24
	v_mov_b32_e32 v80, v116
	;; [unrolled: 1-line block ×3, first 2 shown]
	v_lshrrev_b32_e32 v4, v10, v8
	v_dual_mov_b32 v8, v214 :: v_dual_mov_b32 v81, v117
	v_dual_mov_b32 v68, v176 :: v_dual_mov_b32 v31, v213
	s_delay_alu instid0(VALU_DEP_3) | instskip(SKIP_3) | instid1(VALU_DEP_4)
	v_and_b32_e32 v4, v4, v18
	v_mov_b32_e32 v32, v210
	v_mov_b32_e32 v38, v225
	v_dual_mov_b32 v88, v140 :: v_dual_mov_b32 v89, v121
	v_and_b32_e32 v19, 1, v4
	v_lshlrev_b32_e32 v20, 30, v4
	v_dual_mov_b32 v91, v111 :: v_dual_lshlrev_b32 v22, 29, v4
	v_lshlrev_b32_e32 v23, 28, v4
	s_delay_alu instid0(VALU_DEP_4) | instskip(NEXT) | instid1(VALU_DEP_1)
	v_add_co_u32 v19, s16, v19, -1
	v_cndmask_b32_e64 v21, 0, 1, s16
	v_not_b32_e32 v24, v20
	v_cmp_gt_i32_e64 s17, 0, v20
	v_not_b32_e32 v20, v22
	v_mov_b32_e32 v105, v127
	v_cmp_ne_u32_e64 s16, 0, v21
	v_ashrrev_i32_e32 v24, 31, v24
	v_lshlrev_b32_e32 v21, 27, v4
	v_ashrrev_i32_e32 v20, 31, v20
	v_mov_b32_e32 v64, v192
	v_xor_b32_e32 v19, s16, v19
	v_cmp_gt_i32_e64 s16, 0, v22
	v_not_b32_e32 v22, v23
	v_xor_b32_e32 v24, s17, v24
	v_cmp_gt_i32_e64 s17, 0, v23
	v_dual_mov_b32 v90, v120 :: v_dual_and_b32 v19, exec_lo, v19
	v_not_b32_e32 v23, v21
	v_ashrrev_i32_e32 v22, 31, v22
	v_xor_b32_e32 v20, s16, v20
	s_delay_alu instid0(VALU_DEP_4)
	v_dual_mov_b32 v104, v110 :: v_dual_and_b32 v19, v19, v24
	v_dual_mov_b32 v95, v122 :: v_dual_lshlrev_b32 v24, 26, v4
	v_cmp_gt_i32_e64 s16, 0, v21
	v_ashrrev_i32_e32 v21, 31, v23
	v_xor_b32_e32 v22, s17, v22
	v_dual_mov_b32 v94, v124 :: v_dual_and_b32 v19, v19, v20
	v_not_b32_e32 v20, v24
	v_dual_mov_b32 v108, v123 :: v_dual_lshlrev_b32 v23, 25, v4
	v_cmp_gt_i32_e64 s17, 0, v24
	v_xor_b32_e32 v21, s16, v21
	v_dual_mov_b32 v106, v126 :: v_dual_and_b32 v19, v19, v22
	v_ashrrev_i32_e32 v20, 31, v20
	v_not_b32_e32 v22, v23
	v_dual_mov_b32 v107, v125 :: v_dual_lshlrev_b32 v24, 24, v4
	s_delay_alu instid0(VALU_DEP_4) | instskip(NEXT) | instid1(VALU_DEP_4)
	v_dual_mov_b32 v92, v138 :: v_dual_and_b32 v19, v19, v21
	v_xor_b32_e32 v20, s17, v20
	v_cmp_gt_i32_e64 s16, 0, v23
	v_ashrrev_i32_e32 v21, 31, v22
	v_not_b32_e32 v22, v24
	s_delay_alu instid0(VALU_DEP_4) | instskip(SKIP_1) | instid1(VALU_DEP_4)
	v_dual_mov_b32 v54, v194 :: v_dual_and_b32 v19, v19, v20
	v_dual_mov_b32 v52, v196 :: v_dual_mov_b32 v33, v211
	v_xor_b32_e32 v20, s16, v21
	v_cmp_gt_i32_e64 s16, 0, v24
	v_ashrrev_i32_e32 v21, 31, v22
	v_dual_mov_b32 v50, v198 :: v_dual_mov_b32 v35, v208
	s_delay_alu instid0(VALU_DEP_4) | instskip(SKIP_1) | instid1(VALU_DEP_4)
	v_and_b32_e32 v19, v19, v20
	v_mov_b32_e32 v69, v177
	v_xor_b32_e32 v20, s16, v21
	v_mov_b32_e32 v65, v193
	v_mov_b32_e32 v55, v195
	;; [unrolled: 1-line block ×4, first 2 shown]
	v_and_b32_e32 v19, v19, v20
	v_lshlrev_b32_e32 v20, 3, v4
	v_dual_mov_b32 v36, v209 :: v_dual_mov_b32 v9, v215
	v_mov_b32_e32 v109, v136
	s_delay_alu instid0(VALU_DEP_4) | instskip(NEXT) | instid1(VALU_DEP_4)
	v_mbcnt_lo_u32_b32 v4, v19, 0
	v_add_lshl_u32 v20, v20, v75, 2
	v_cmp_ne_u32_e64 s17, 0, v19
	v_mov_b32_e32 v93, v137
	s_clause 0x1
	flat_store_b128 v[48:49], v[14:17] offset:32
	flat_store_b128 v[66:67], v[14:17] offset:16
	v_cmp_eq_u32_e64 s16, 0, v4
	v_add_co_u32 v116, s18, v27, v20
	s_delay_alu instid0(VALU_DEP_1) | instskip(NEXT) | instid1(VALU_DEP_3)
	v_add_co_ci_u32_e64 v117, s18, 0, v74, s18
	s_and_b32 s17, s17, s16
	s_waitcnt lgkmcnt(0)
	s_waitcnt_vscnt null, 0x0
	s_barrier
	buffer_gl0_inv
	; wave barrier
	s_and_saveexec_b32 s16, s17
	s_cbranch_execz .LBB1746_55
; %bb.54:                               ;   in Loop: Header=BB1746_53 Depth=1
	v_bcnt_u32_b32 v19, v19, 0
	flat_store_b32 v[116:117], v19
.LBB1746_55:                            ;   in Loop: Header=BB1746_53 Depth=1
	s_or_b32 exec_lo, exec_lo, s16
	v_cmp_ne_u16_e64 s16, 0x8000, v79
	; wave barrier
	s_delay_alu instid0(VALU_DEP_1) | instskip(NEXT) | instid1(VALU_DEP_1)
	v_cndmask_b32_e64 v19, 0x7fff, v79, s16
	v_and_b32_e32 v19, 0xffff, v19
	s_delay_alu instid0(VALU_DEP_1) | instskip(NEXT) | instid1(VALU_DEP_1)
	v_lshrrev_b32_e32 v19, v10, v19
	v_and_b32_e32 v19, v19, v18
	s_delay_alu instid0(VALU_DEP_1) | instskip(SKIP_3) | instid1(VALU_DEP_4)
	v_lshlrev_b32_e32 v20, 3, v19
	v_lshlrev_b32_e32 v22, 30, v19
	;; [unrolled: 1-line block ×4, first 2 shown]
	v_add_lshl_u32 v20, v20, v75, 2
	s_delay_alu instid0(VALU_DEP_1) | instskip(NEXT) | instid1(VALU_DEP_1)
	v_add_co_u32 v118, s16, v27, v20
	v_add_co_ci_u32_e64 v119, s16, 0, v74, s16
	v_and_b32_e32 v20, 1, v19
	flat_load_b32 v39, v[118:119]
	v_add_co_u32 v20, s16, v20, -1
	s_delay_alu instid0(VALU_DEP_1) | instskip(NEXT) | instid1(VALU_DEP_1)
	v_cndmask_b32_e64 v21, 0, 1, s16
	; wave barrier
	v_cmp_ne_u32_e64 s16, 0, v21
	v_not_b32_e32 v21, v22
	s_delay_alu instid0(VALU_DEP_2) | instskip(SKIP_1) | instid1(VALU_DEP_3)
	v_xor_b32_e32 v20, s16, v20
	v_cmp_gt_i32_e64 s16, 0, v22
	v_ashrrev_i32_e32 v21, 31, v21
	v_not_b32_e32 v22, v23
	s_delay_alu instid0(VALU_DEP_4) | instskip(NEXT) | instid1(VALU_DEP_3)
	v_and_b32_e32 v20, exec_lo, v20
	v_xor_b32_e32 v21, s16, v21
	v_cmp_gt_i32_e64 s16, 0, v23
	s_delay_alu instid0(VALU_DEP_4) | instskip(SKIP_1) | instid1(VALU_DEP_4)
	v_ashrrev_i32_e32 v22, 31, v22
	v_not_b32_e32 v23, v24
	v_and_b32_e32 v20, v20, v21
	v_lshlrev_b32_e32 v21, 27, v19
	s_delay_alu instid0(VALU_DEP_4) | instskip(SKIP_2) | instid1(VALU_DEP_4)
	v_xor_b32_e32 v22, s16, v22
	v_cmp_gt_i32_e64 s16, 0, v24
	v_ashrrev_i32_e32 v23, 31, v23
	v_not_b32_e32 v24, v21
	s_delay_alu instid0(VALU_DEP_4) | instskip(SKIP_1) | instid1(VALU_DEP_4)
	v_and_b32_e32 v20, v20, v22
	v_lshlrev_b32_e32 v22, 26, v19
	v_xor_b32_e32 v23, s16, v23
	v_cmp_gt_i32_e64 s16, 0, v21
	v_ashrrev_i32_e32 v21, 31, v24
	s_delay_alu instid0(VALU_DEP_4) | instskip(NEXT) | instid1(VALU_DEP_4)
	v_not_b32_e32 v24, v22
	v_and_b32_e32 v20, v20, v23
	v_lshlrev_b32_e32 v23, 25, v19
	s_delay_alu instid0(VALU_DEP_4)
	v_xor_b32_e32 v21, s16, v21
	v_cmp_gt_i32_e64 s16, 0, v22
	v_ashrrev_i32_e32 v22, 31, v24
	v_lshlrev_b32_e32 v19, 24, v19
	v_not_b32_e32 v24, v23
	v_and_b32_e32 v20, v20, v21
	s_delay_alu instid0(VALU_DEP_4) | instskip(SKIP_1) | instid1(VALU_DEP_4)
	v_xor_b32_e32 v21, s16, v22
	v_cmp_gt_i32_e64 s16, 0, v23
	v_ashrrev_i32_e32 v22, 31, v24
	v_not_b32_e32 v23, v19
	s_delay_alu instid0(VALU_DEP_4) | instskip(NEXT) | instid1(VALU_DEP_3)
	v_and_b32_e32 v20, v20, v21
	v_xor_b32_e32 v21, s16, v22
	v_cmp_gt_i32_e64 s16, 0, v19
	s_delay_alu instid0(VALU_DEP_4) | instskip(NEXT) | instid1(VALU_DEP_3)
	v_ashrrev_i32_e32 v19, 31, v23
	v_and_b32_e32 v20, v20, v21
	s_delay_alu instid0(VALU_DEP_2) | instskip(NEXT) | instid1(VALU_DEP_1)
	v_xor_b32_e32 v19, s16, v19
	v_and_b32_e32 v19, v20, v19
	s_delay_alu instid0(VALU_DEP_1) | instskip(SKIP_1) | instid1(VALU_DEP_2)
	v_mbcnt_lo_u32_b32 v180, v19, 0
	v_cmp_ne_u32_e64 s17, 0, v19
	v_cmp_eq_u32_e64 s16, 0, v180
	s_delay_alu instid0(VALU_DEP_1) | instskip(NEXT) | instid1(SALU_CYCLE_1)
	s_and_b32 s17, s17, s16
	s_and_saveexec_b32 s16, s17
	s_cbranch_execz .LBB1746_57
; %bb.56:                               ;   in Loop: Header=BB1746_53 Depth=1
	s_waitcnt vmcnt(0) lgkmcnt(0)
	v_bcnt_u32_b32 v19, v19, v39
	flat_store_b32 v[118:119], v19
.LBB1746_57:                            ;   in Loop: Header=BB1746_53 Depth=1
	s_or_b32 exec_lo, exec_lo, s16
	v_cmp_ne_u16_e64 s16, 0x8000, v88
	; wave barrier
	s_delay_alu instid0(VALU_DEP_1) | instskip(NEXT) | instid1(VALU_DEP_1)
	v_cndmask_b32_e64 v19, 0x7fff, v88, s16
	v_and_b32_e32 v19, 0xffff, v19
	s_delay_alu instid0(VALU_DEP_1) | instskip(NEXT) | instid1(VALU_DEP_1)
	v_lshrrev_b32_e32 v19, v10, v19
	v_and_b32_e32 v19, v19, v18
	s_delay_alu instid0(VALU_DEP_1) | instskip(SKIP_3) | instid1(VALU_DEP_4)
	v_lshlrev_b32_e32 v20, 3, v19
	v_lshlrev_b32_e32 v22, 30, v19
	;; [unrolled: 1-line block ×4, first 2 shown]
	v_add_lshl_u32 v20, v20, v75, 2
	s_delay_alu instid0(VALU_DEP_1) | instskip(NEXT) | instid1(VALU_DEP_1)
	v_add_co_u32 v128, s16, v27, v20
	v_add_co_ci_u32_e64 v129, s16, 0, v74, s16
	v_and_b32_e32 v20, 1, v19
	flat_load_b32 v192, v[128:129]
	v_add_co_u32 v20, s16, v20, -1
	s_delay_alu instid0(VALU_DEP_1) | instskip(NEXT) | instid1(VALU_DEP_1)
	v_cndmask_b32_e64 v21, 0, 1, s16
	; wave barrier
	v_cmp_ne_u32_e64 s16, 0, v21
	v_not_b32_e32 v21, v22
	s_delay_alu instid0(VALU_DEP_2) | instskip(SKIP_1) | instid1(VALU_DEP_3)
	v_xor_b32_e32 v20, s16, v20
	v_cmp_gt_i32_e64 s16, 0, v22
	v_ashrrev_i32_e32 v21, 31, v21
	v_not_b32_e32 v22, v23
	s_delay_alu instid0(VALU_DEP_4) | instskip(NEXT) | instid1(VALU_DEP_3)
	v_and_b32_e32 v20, exec_lo, v20
	v_xor_b32_e32 v21, s16, v21
	v_cmp_gt_i32_e64 s16, 0, v23
	s_delay_alu instid0(VALU_DEP_4) | instskip(SKIP_1) | instid1(VALU_DEP_4)
	v_ashrrev_i32_e32 v22, 31, v22
	v_not_b32_e32 v23, v24
	v_and_b32_e32 v20, v20, v21
	v_lshlrev_b32_e32 v21, 27, v19
	s_delay_alu instid0(VALU_DEP_4) | instskip(SKIP_2) | instid1(VALU_DEP_4)
	v_xor_b32_e32 v22, s16, v22
	v_cmp_gt_i32_e64 s16, 0, v24
	v_ashrrev_i32_e32 v23, 31, v23
	v_not_b32_e32 v24, v21
	s_delay_alu instid0(VALU_DEP_4) | instskip(SKIP_1) | instid1(VALU_DEP_4)
	v_and_b32_e32 v20, v20, v22
	v_lshlrev_b32_e32 v22, 26, v19
	v_xor_b32_e32 v23, s16, v23
	v_cmp_gt_i32_e64 s16, 0, v21
	v_ashrrev_i32_e32 v21, 31, v24
	s_delay_alu instid0(VALU_DEP_4) | instskip(NEXT) | instid1(VALU_DEP_4)
	v_not_b32_e32 v24, v22
	v_and_b32_e32 v20, v20, v23
	v_lshlrev_b32_e32 v23, 25, v19
	s_delay_alu instid0(VALU_DEP_4)
	v_xor_b32_e32 v21, s16, v21
	v_cmp_gt_i32_e64 s16, 0, v22
	v_ashrrev_i32_e32 v22, 31, v24
	v_lshlrev_b32_e32 v19, 24, v19
	v_not_b32_e32 v24, v23
	v_and_b32_e32 v20, v20, v21
	s_delay_alu instid0(VALU_DEP_4) | instskip(SKIP_1) | instid1(VALU_DEP_4)
	v_xor_b32_e32 v21, s16, v22
	v_cmp_gt_i32_e64 s16, 0, v23
	v_ashrrev_i32_e32 v22, 31, v24
	v_not_b32_e32 v23, v19
	s_delay_alu instid0(VALU_DEP_4) | instskip(NEXT) | instid1(VALU_DEP_3)
	v_and_b32_e32 v20, v20, v21
	v_xor_b32_e32 v21, s16, v22
	v_cmp_gt_i32_e64 s16, 0, v19
	s_delay_alu instid0(VALU_DEP_4) | instskip(NEXT) | instid1(VALU_DEP_3)
	v_ashrrev_i32_e32 v19, 31, v23
	v_and_b32_e32 v20, v20, v21
	s_delay_alu instid0(VALU_DEP_2) | instskip(NEXT) | instid1(VALU_DEP_1)
	v_xor_b32_e32 v19, s16, v19
	v_and_b32_e32 v19, v20, v19
	s_delay_alu instid0(VALU_DEP_1) | instskip(SKIP_1) | instid1(VALU_DEP_2)
	v_mbcnt_lo_u32_b32 v193, v19, 0
	v_cmp_ne_u32_e64 s17, 0, v19
	v_cmp_eq_u32_e64 s16, 0, v193
	s_delay_alu instid0(VALU_DEP_1) | instskip(NEXT) | instid1(SALU_CYCLE_1)
	s_and_b32 s17, s17, s16
	s_and_saveexec_b32 s16, s17
	s_cbranch_execz .LBB1746_59
; %bb.58:                               ;   in Loop: Header=BB1746_53 Depth=1
	s_waitcnt vmcnt(0) lgkmcnt(0)
	v_bcnt_u32_b32 v19, v19, v192
	flat_store_b32 v[128:129], v19
.LBB1746_59:                            ;   in Loop: Header=BB1746_53 Depth=1
	s_or_b32 exec_lo, exec_lo, s16
	v_cmp_ne_u16_e64 s16, 0x8000, v89
	; wave barrier
	s_delay_alu instid0(VALU_DEP_1) | instskip(NEXT) | instid1(VALU_DEP_1)
	v_cndmask_b32_e64 v19, 0x7fff, v89, s16
	v_and_b32_e32 v19, 0xffff, v19
	s_delay_alu instid0(VALU_DEP_1) | instskip(NEXT) | instid1(VALU_DEP_1)
	v_lshrrev_b32_e32 v19, v10, v19
	v_and_b32_e32 v19, v19, v18
	s_delay_alu instid0(VALU_DEP_1) | instskip(SKIP_3) | instid1(VALU_DEP_4)
	v_lshlrev_b32_e32 v20, 3, v19
	v_lshlrev_b32_e32 v22, 30, v19
	;; [unrolled: 1-line block ×4, first 2 shown]
	v_add_lshl_u32 v20, v20, v75, 2
	s_delay_alu instid0(VALU_DEP_1) | instskip(NEXT) | instid1(VALU_DEP_1)
	v_add_co_u32 v130, s16, v27, v20
	v_add_co_ci_u32_e64 v131, s16, 0, v74, s16
	v_and_b32_e32 v20, 1, v19
	flat_load_b32 v194, v[130:131]
	v_add_co_u32 v20, s16, v20, -1
	s_delay_alu instid0(VALU_DEP_1) | instskip(NEXT) | instid1(VALU_DEP_1)
	v_cndmask_b32_e64 v21, 0, 1, s16
	; wave barrier
	v_cmp_ne_u32_e64 s16, 0, v21
	v_not_b32_e32 v21, v22
	s_delay_alu instid0(VALU_DEP_2) | instskip(SKIP_1) | instid1(VALU_DEP_3)
	v_xor_b32_e32 v20, s16, v20
	v_cmp_gt_i32_e64 s16, 0, v22
	v_ashrrev_i32_e32 v21, 31, v21
	v_not_b32_e32 v22, v23
	s_delay_alu instid0(VALU_DEP_4) | instskip(NEXT) | instid1(VALU_DEP_3)
	v_and_b32_e32 v20, exec_lo, v20
	v_xor_b32_e32 v21, s16, v21
	v_cmp_gt_i32_e64 s16, 0, v23
	s_delay_alu instid0(VALU_DEP_4) | instskip(SKIP_1) | instid1(VALU_DEP_4)
	v_ashrrev_i32_e32 v22, 31, v22
	v_not_b32_e32 v23, v24
	v_and_b32_e32 v20, v20, v21
	v_lshlrev_b32_e32 v21, 27, v19
	s_delay_alu instid0(VALU_DEP_4) | instskip(SKIP_2) | instid1(VALU_DEP_4)
	v_xor_b32_e32 v22, s16, v22
	v_cmp_gt_i32_e64 s16, 0, v24
	v_ashrrev_i32_e32 v23, 31, v23
	v_not_b32_e32 v24, v21
	s_delay_alu instid0(VALU_DEP_4) | instskip(SKIP_1) | instid1(VALU_DEP_4)
	v_and_b32_e32 v20, v20, v22
	v_lshlrev_b32_e32 v22, 26, v19
	v_xor_b32_e32 v23, s16, v23
	v_cmp_gt_i32_e64 s16, 0, v21
	v_ashrrev_i32_e32 v21, 31, v24
	s_delay_alu instid0(VALU_DEP_4) | instskip(NEXT) | instid1(VALU_DEP_4)
	v_not_b32_e32 v24, v22
	v_and_b32_e32 v20, v20, v23
	v_lshlrev_b32_e32 v23, 25, v19
	s_delay_alu instid0(VALU_DEP_4)
	v_xor_b32_e32 v21, s16, v21
	v_cmp_gt_i32_e64 s16, 0, v22
	v_ashrrev_i32_e32 v22, 31, v24
	v_lshlrev_b32_e32 v19, 24, v19
	v_not_b32_e32 v24, v23
	v_and_b32_e32 v20, v20, v21
	s_delay_alu instid0(VALU_DEP_4) | instskip(SKIP_1) | instid1(VALU_DEP_4)
	v_xor_b32_e32 v21, s16, v22
	v_cmp_gt_i32_e64 s16, 0, v23
	v_ashrrev_i32_e32 v22, 31, v24
	v_not_b32_e32 v23, v19
	s_delay_alu instid0(VALU_DEP_4) | instskip(NEXT) | instid1(VALU_DEP_3)
	v_and_b32_e32 v20, v20, v21
	v_xor_b32_e32 v21, s16, v22
	v_cmp_gt_i32_e64 s16, 0, v19
	s_delay_alu instid0(VALU_DEP_4) | instskip(NEXT) | instid1(VALU_DEP_3)
	v_ashrrev_i32_e32 v19, 31, v23
	v_and_b32_e32 v20, v20, v21
	s_delay_alu instid0(VALU_DEP_2) | instskip(NEXT) | instid1(VALU_DEP_1)
	v_xor_b32_e32 v19, s16, v19
	v_and_b32_e32 v19, v20, v19
	s_delay_alu instid0(VALU_DEP_1) | instskip(SKIP_1) | instid1(VALU_DEP_2)
	v_mbcnt_lo_u32_b32 v195, v19, 0
	v_cmp_ne_u32_e64 s17, 0, v19
	v_cmp_eq_u32_e64 s16, 0, v195
	s_delay_alu instid0(VALU_DEP_1) | instskip(NEXT) | instid1(SALU_CYCLE_1)
	s_and_b32 s17, s17, s16
	s_and_saveexec_b32 s16, s17
	s_cbranch_execz .LBB1746_61
; %bb.60:                               ;   in Loop: Header=BB1746_53 Depth=1
	s_waitcnt vmcnt(0) lgkmcnt(0)
	v_bcnt_u32_b32 v19, v19, v194
	flat_store_b32 v[130:131], v19
.LBB1746_61:                            ;   in Loop: Header=BB1746_53 Depth=1
	s_or_b32 exec_lo, exec_lo, s16
	v_cmp_ne_u16_e64 s16, 0x8000, v90
	; wave barrier
	s_delay_alu instid0(VALU_DEP_1) | instskip(NEXT) | instid1(VALU_DEP_1)
	v_cndmask_b32_e64 v19, 0x7fff, v90, s16
	v_and_b32_e32 v19, 0xffff, v19
	s_delay_alu instid0(VALU_DEP_1) | instskip(NEXT) | instid1(VALU_DEP_1)
	v_lshrrev_b32_e32 v19, v10, v19
	v_and_b32_e32 v19, v19, v18
	s_delay_alu instid0(VALU_DEP_1) | instskip(SKIP_3) | instid1(VALU_DEP_4)
	v_lshlrev_b32_e32 v20, 3, v19
	v_lshlrev_b32_e32 v22, 30, v19
	;; [unrolled: 1-line block ×4, first 2 shown]
	v_add_lshl_u32 v20, v20, v75, 2
	s_delay_alu instid0(VALU_DEP_1) | instskip(NEXT) | instid1(VALU_DEP_1)
	v_add_co_u32 v132, s16, v27, v20
	v_add_co_ci_u32_e64 v133, s16, 0, v74, s16
	v_and_b32_e32 v20, 1, v19
	flat_load_b32 v196, v[132:133]
	v_add_co_u32 v20, s16, v20, -1
	s_delay_alu instid0(VALU_DEP_1) | instskip(NEXT) | instid1(VALU_DEP_1)
	v_cndmask_b32_e64 v21, 0, 1, s16
	; wave barrier
	v_cmp_ne_u32_e64 s16, 0, v21
	v_not_b32_e32 v21, v22
	s_delay_alu instid0(VALU_DEP_2) | instskip(SKIP_1) | instid1(VALU_DEP_3)
	v_xor_b32_e32 v20, s16, v20
	v_cmp_gt_i32_e64 s16, 0, v22
	v_ashrrev_i32_e32 v21, 31, v21
	v_not_b32_e32 v22, v23
	s_delay_alu instid0(VALU_DEP_4) | instskip(NEXT) | instid1(VALU_DEP_3)
	v_and_b32_e32 v20, exec_lo, v20
	v_xor_b32_e32 v21, s16, v21
	v_cmp_gt_i32_e64 s16, 0, v23
	s_delay_alu instid0(VALU_DEP_4) | instskip(SKIP_1) | instid1(VALU_DEP_4)
	v_ashrrev_i32_e32 v22, 31, v22
	v_not_b32_e32 v23, v24
	v_and_b32_e32 v20, v20, v21
	v_lshlrev_b32_e32 v21, 27, v19
	s_delay_alu instid0(VALU_DEP_4) | instskip(SKIP_2) | instid1(VALU_DEP_4)
	v_xor_b32_e32 v22, s16, v22
	v_cmp_gt_i32_e64 s16, 0, v24
	v_ashrrev_i32_e32 v23, 31, v23
	v_not_b32_e32 v24, v21
	s_delay_alu instid0(VALU_DEP_4) | instskip(SKIP_1) | instid1(VALU_DEP_4)
	v_and_b32_e32 v20, v20, v22
	v_lshlrev_b32_e32 v22, 26, v19
	v_xor_b32_e32 v23, s16, v23
	v_cmp_gt_i32_e64 s16, 0, v21
	v_ashrrev_i32_e32 v21, 31, v24
	s_delay_alu instid0(VALU_DEP_4) | instskip(NEXT) | instid1(VALU_DEP_4)
	v_not_b32_e32 v24, v22
	v_and_b32_e32 v20, v20, v23
	v_lshlrev_b32_e32 v23, 25, v19
	s_delay_alu instid0(VALU_DEP_4)
	v_xor_b32_e32 v21, s16, v21
	v_cmp_gt_i32_e64 s16, 0, v22
	v_ashrrev_i32_e32 v22, 31, v24
	v_lshlrev_b32_e32 v19, 24, v19
	v_not_b32_e32 v24, v23
	v_and_b32_e32 v20, v20, v21
	s_delay_alu instid0(VALU_DEP_4) | instskip(SKIP_1) | instid1(VALU_DEP_4)
	v_xor_b32_e32 v21, s16, v22
	v_cmp_gt_i32_e64 s16, 0, v23
	v_ashrrev_i32_e32 v22, 31, v24
	v_not_b32_e32 v23, v19
	s_delay_alu instid0(VALU_DEP_4) | instskip(NEXT) | instid1(VALU_DEP_3)
	v_and_b32_e32 v20, v20, v21
	v_xor_b32_e32 v21, s16, v22
	v_cmp_gt_i32_e64 s16, 0, v19
	s_delay_alu instid0(VALU_DEP_4) | instskip(NEXT) | instid1(VALU_DEP_3)
	v_ashrrev_i32_e32 v19, 31, v23
	v_and_b32_e32 v20, v20, v21
	s_delay_alu instid0(VALU_DEP_2) | instskip(NEXT) | instid1(VALU_DEP_1)
	v_xor_b32_e32 v19, s16, v19
	v_and_b32_e32 v19, v20, v19
	s_delay_alu instid0(VALU_DEP_1) | instskip(SKIP_1) | instid1(VALU_DEP_2)
	v_mbcnt_lo_u32_b32 v197, v19, 0
	v_cmp_ne_u32_e64 s17, 0, v19
	v_cmp_eq_u32_e64 s16, 0, v197
	s_delay_alu instid0(VALU_DEP_1) | instskip(NEXT) | instid1(SALU_CYCLE_1)
	s_and_b32 s17, s17, s16
	s_and_saveexec_b32 s16, s17
	s_cbranch_execz .LBB1746_63
; %bb.62:                               ;   in Loop: Header=BB1746_53 Depth=1
	s_waitcnt vmcnt(0) lgkmcnt(0)
	v_bcnt_u32_b32 v19, v19, v196
	flat_store_b32 v[132:133], v19
.LBB1746_63:                            ;   in Loop: Header=BB1746_53 Depth=1
	s_or_b32 exec_lo, exec_lo, s16
	v_cmp_ne_u16_e64 s16, 0x8000, v91
	; wave barrier
	s_delay_alu instid0(VALU_DEP_1) | instskip(NEXT) | instid1(VALU_DEP_1)
	v_cndmask_b32_e64 v19, 0x7fff, v91, s16
	v_and_b32_e32 v19, 0xffff, v19
	s_delay_alu instid0(VALU_DEP_1) | instskip(NEXT) | instid1(VALU_DEP_1)
	v_lshrrev_b32_e32 v19, v10, v19
	v_and_b32_e32 v19, v19, v18
	s_delay_alu instid0(VALU_DEP_1) | instskip(SKIP_3) | instid1(VALU_DEP_4)
	v_lshlrev_b32_e32 v20, 3, v19
	v_lshlrev_b32_e32 v22, 30, v19
	;; [unrolled: 1-line block ×4, first 2 shown]
	v_add_lshl_u32 v20, v20, v75, 2
	s_delay_alu instid0(VALU_DEP_1) | instskip(NEXT) | instid1(VALU_DEP_1)
	v_add_co_u32 v134, s16, v27, v20
	v_add_co_ci_u32_e64 v135, s16, 0, v74, s16
	v_and_b32_e32 v20, 1, v19
	flat_load_b32 v198, v[134:135]
	v_add_co_u32 v20, s16, v20, -1
	s_delay_alu instid0(VALU_DEP_1) | instskip(NEXT) | instid1(VALU_DEP_1)
	v_cndmask_b32_e64 v21, 0, 1, s16
	; wave barrier
	v_cmp_ne_u32_e64 s16, 0, v21
	v_not_b32_e32 v21, v22
	s_delay_alu instid0(VALU_DEP_2) | instskip(SKIP_1) | instid1(VALU_DEP_3)
	v_xor_b32_e32 v20, s16, v20
	v_cmp_gt_i32_e64 s16, 0, v22
	v_ashrrev_i32_e32 v21, 31, v21
	v_not_b32_e32 v22, v23
	s_delay_alu instid0(VALU_DEP_4) | instskip(NEXT) | instid1(VALU_DEP_3)
	v_and_b32_e32 v20, exec_lo, v20
	v_xor_b32_e32 v21, s16, v21
	v_cmp_gt_i32_e64 s16, 0, v23
	s_delay_alu instid0(VALU_DEP_4) | instskip(SKIP_1) | instid1(VALU_DEP_4)
	v_ashrrev_i32_e32 v22, 31, v22
	v_not_b32_e32 v23, v24
	v_and_b32_e32 v20, v20, v21
	v_lshlrev_b32_e32 v21, 27, v19
	s_delay_alu instid0(VALU_DEP_4) | instskip(SKIP_2) | instid1(VALU_DEP_4)
	v_xor_b32_e32 v22, s16, v22
	v_cmp_gt_i32_e64 s16, 0, v24
	v_ashrrev_i32_e32 v23, 31, v23
	v_not_b32_e32 v24, v21
	s_delay_alu instid0(VALU_DEP_4) | instskip(SKIP_1) | instid1(VALU_DEP_4)
	v_and_b32_e32 v20, v20, v22
	v_lshlrev_b32_e32 v22, 26, v19
	v_xor_b32_e32 v23, s16, v23
	v_cmp_gt_i32_e64 s16, 0, v21
	v_ashrrev_i32_e32 v21, 31, v24
	s_delay_alu instid0(VALU_DEP_4) | instskip(NEXT) | instid1(VALU_DEP_4)
	v_not_b32_e32 v24, v22
	v_and_b32_e32 v20, v20, v23
	v_lshlrev_b32_e32 v23, 25, v19
	s_delay_alu instid0(VALU_DEP_4)
	v_xor_b32_e32 v21, s16, v21
	v_cmp_gt_i32_e64 s16, 0, v22
	v_ashrrev_i32_e32 v22, 31, v24
	v_lshlrev_b32_e32 v19, 24, v19
	v_not_b32_e32 v24, v23
	v_and_b32_e32 v20, v20, v21
	s_delay_alu instid0(VALU_DEP_4) | instskip(SKIP_1) | instid1(VALU_DEP_4)
	v_xor_b32_e32 v21, s16, v22
	v_cmp_gt_i32_e64 s16, 0, v23
	v_ashrrev_i32_e32 v22, 31, v24
	v_not_b32_e32 v23, v19
	s_delay_alu instid0(VALU_DEP_4) | instskip(NEXT) | instid1(VALU_DEP_3)
	v_and_b32_e32 v20, v20, v21
	v_xor_b32_e32 v21, s16, v22
	v_cmp_gt_i32_e64 s16, 0, v19
	s_delay_alu instid0(VALU_DEP_4) | instskip(NEXT) | instid1(VALU_DEP_3)
	v_ashrrev_i32_e32 v19, 31, v23
	v_and_b32_e32 v20, v20, v21
	s_delay_alu instid0(VALU_DEP_2) | instskip(NEXT) | instid1(VALU_DEP_1)
	v_xor_b32_e32 v19, s16, v19
	v_and_b32_e32 v19, v20, v19
	s_delay_alu instid0(VALU_DEP_1) | instskip(SKIP_1) | instid1(VALU_DEP_2)
	v_mbcnt_lo_u32_b32 v199, v19, 0
	v_cmp_ne_u32_e64 s17, 0, v19
	v_cmp_eq_u32_e64 s16, 0, v199
	s_delay_alu instid0(VALU_DEP_1) | instskip(NEXT) | instid1(SALU_CYCLE_1)
	s_and_b32 s17, s17, s16
	s_and_saveexec_b32 s16, s17
	s_cbranch_execz .LBB1746_65
; %bb.64:                               ;   in Loop: Header=BB1746_53 Depth=1
	s_waitcnt vmcnt(0) lgkmcnt(0)
	v_bcnt_u32_b32 v19, v19, v198
	flat_store_b32 v[134:135], v19
.LBB1746_65:                            ;   in Loop: Header=BB1746_53 Depth=1
	s_or_b32 exec_lo, exec_lo, s16
	v_cmp_ne_u16_e64 s16, 0x8000, v104
	; wave barrier
	s_delay_alu instid0(VALU_DEP_1) | instskip(NEXT) | instid1(VALU_DEP_1)
	v_cndmask_b32_e64 v19, 0x7fff, v104, s16
	v_and_b32_e32 v19, 0xffff, v19
	s_delay_alu instid0(VALU_DEP_1) | instskip(NEXT) | instid1(VALU_DEP_1)
	v_lshrrev_b32_e32 v19, v10, v19
	v_and_b32_e32 v19, v19, v18
	s_delay_alu instid0(VALU_DEP_1) | instskip(SKIP_3) | instid1(VALU_DEP_4)
	v_lshlrev_b32_e32 v20, 3, v19
	v_lshlrev_b32_e32 v22, 30, v19
	;; [unrolled: 1-line block ×4, first 2 shown]
	v_add_lshl_u32 v20, v20, v75, 2
	s_delay_alu instid0(VALU_DEP_1) | instskip(NEXT) | instid1(VALU_DEP_1)
	v_add_co_u32 v144, s16, v27, v20
	v_add_co_ci_u32_e64 v145, s16, 0, v74, s16
	v_and_b32_e32 v20, 1, v19
	flat_load_b32 v208, v[144:145]
	v_add_co_u32 v20, s16, v20, -1
	s_delay_alu instid0(VALU_DEP_1) | instskip(NEXT) | instid1(VALU_DEP_1)
	v_cndmask_b32_e64 v21, 0, 1, s16
	; wave barrier
	v_cmp_ne_u32_e64 s16, 0, v21
	v_not_b32_e32 v21, v22
	s_delay_alu instid0(VALU_DEP_2) | instskip(SKIP_1) | instid1(VALU_DEP_3)
	v_xor_b32_e32 v20, s16, v20
	v_cmp_gt_i32_e64 s16, 0, v22
	v_ashrrev_i32_e32 v21, 31, v21
	v_not_b32_e32 v22, v23
	s_delay_alu instid0(VALU_DEP_4) | instskip(NEXT) | instid1(VALU_DEP_3)
	v_and_b32_e32 v20, exec_lo, v20
	v_xor_b32_e32 v21, s16, v21
	v_cmp_gt_i32_e64 s16, 0, v23
	s_delay_alu instid0(VALU_DEP_4) | instskip(SKIP_1) | instid1(VALU_DEP_4)
	v_ashrrev_i32_e32 v22, 31, v22
	v_not_b32_e32 v23, v24
	v_and_b32_e32 v20, v20, v21
	v_lshlrev_b32_e32 v21, 27, v19
	s_delay_alu instid0(VALU_DEP_4) | instskip(SKIP_2) | instid1(VALU_DEP_4)
	v_xor_b32_e32 v22, s16, v22
	v_cmp_gt_i32_e64 s16, 0, v24
	v_ashrrev_i32_e32 v23, 31, v23
	v_not_b32_e32 v24, v21
	s_delay_alu instid0(VALU_DEP_4) | instskip(SKIP_1) | instid1(VALU_DEP_4)
	v_and_b32_e32 v20, v20, v22
	v_lshlrev_b32_e32 v22, 26, v19
	v_xor_b32_e32 v23, s16, v23
	v_cmp_gt_i32_e64 s16, 0, v21
	v_ashrrev_i32_e32 v21, 31, v24
	s_delay_alu instid0(VALU_DEP_4) | instskip(NEXT) | instid1(VALU_DEP_4)
	v_not_b32_e32 v24, v22
	v_and_b32_e32 v20, v20, v23
	v_lshlrev_b32_e32 v23, 25, v19
	s_delay_alu instid0(VALU_DEP_4)
	v_xor_b32_e32 v21, s16, v21
	v_cmp_gt_i32_e64 s16, 0, v22
	v_ashrrev_i32_e32 v22, 31, v24
	v_lshlrev_b32_e32 v19, 24, v19
	v_not_b32_e32 v24, v23
	v_and_b32_e32 v20, v20, v21
	s_delay_alu instid0(VALU_DEP_4) | instskip(SKIP_1) | instid1(VALU_DEP_4)
	v_xor_b32_e32 v21, s16, v22
	v_cmp_gt_i32_e64 s16, 0, v23
	v_ashrrev_i32_e32 v22, 31, v24
	v_not_b32_e32 v23, v19
	s_delay_alu instid0(VALU_DEP_4) | instskip(NEXT) | instid1(VALU_DEP_3)
	v_and_b32_e32 v20, v20, v21
	v_xor_b32_e32 v21, s16, v22
	v_cmp_gt_i32_e64 s16, 0, v19
	s_delay_alu instid0(VALU_DEP_4) | instskip(NEXT) | instid1(VALU_DEP_3)
	v_ashrrev_i32_e32 v19, 31, v23
	v_and_b32_e32 v20, v20, v21
	s_delay_alu instid0(VALU_DEP_2) | instskip(NEXT) | instid1(VALU_DEP_1)
	v_xor_b32_e32 v19, s16, v19
	v_and_b32_e32 v19, v20, v19
	s_delay_alu instid0(VALU_DEP_1) | instskip(SKIP_1) | instid1(VALU_DEP_2)
	v_mbcnt_lo_u32_b32 v209, v19, 0
	v_cmp_ne_u32_e64 s17, 0, v19
	v_cmp_eq_u32_e64 s16, 0, v209
	s_delay_alu instid0(VALU_DEP_1) | instskip(NEXT) | instid1(SALU_CYCLE_1)
	s_and_b32 s17, s17, s16
	s_and_saveexec_b32 s16, s17
	s_cbranch_execz .LBB1746_67
; %bb.66:                               ;   in Loop: Header=BB1746_53 Depth=1
	s_waitcnt vmcnt(0) lgkmcnt(0)
	v_bcnt_u32_b32 v19, v19, v208
	flat_store_b32 v[144:145], v19
.LBB1746_67:                            ;   in Loop: Header=BB1746_53 Depth=1
	s_or_b32 exec_lo, exec_lo, s16
	v_cmp_ne_u16_e64 s16, 0x8000, v95
	; wave barrier
	s_delay_alu instid0(VALU_DEP_1) | instskip(NEXT) | instid1(VALU_DEP_1)
	v_cndmask_b32_e64 v19, 0x7fff, v95, s16
	v_and_b32_e32 v19, 0xffff, v19
	s_delay_alu instid0(VALU_DEP_1) | instskip(NEXT) | instid1(VALU_DEP_1)
	v_lshrrev_b32_e32 v19, v10, v19
	v_and_b32_e32 v19, v19, v18
	s_delay_alu instid0(VALU_DEP_1) | instskip(SKIP_3) | instid1(VALU_DEP_4)
	v_lshlrev_b32_e32 v20, 3, v19
	v_lshlrev_b32_e32 v22, 30, v19
	;; [unrolled: 1-line block ×4, first 2 shown]
	v_add_lshl_u32 v20, v20, v75, 2
	s_delay_alu instid0(VALU_DEP_1) | instskip(NEXT) | instid1(VALU_DEP_1)
	v_add_co_u32 v146, s16, v27, v20
	v_add_co_ci_u32_e64 v147, s16, 0, v74, s16
	v_and_b32_e32 v20, 1, v19
	flat_load_b32 v210, v[146:147]
	v_add_co_u32 v20, s16, v20, -1
	s_delay_alu instid0(VALU_DEP_1) | instskip(NEXT) | instid1(VALU_DEP_1)
	v_cndmask_b32_e64 v21, 0, 1, s16
	; wave barrier
	v_cmp_ne_u32_e64 s16, 0, v21
	v_not_b32_e32 v21, v22
	s_delay_alu instid0(VALU_DEP_2) | instskip(SKIP_1) | instid1(VALU_DEP_3)
	v_xor_b32_e32 v20, s16, v20
	v_cmp_gt_i32_e64 s16, 0, v22
	v_ashrrev_i32_e32 v21, 31, v21
	v_not_b32_e32 v22, v23
	s_delay_alu instid0(VALU_DEP_4) | instskip(NEXT) | instid1(VALU_DEP_3)
	v_and_b32_e32 v20, exec_lo, v20
	v_xor_b32_e32 v21, s16, v21
	v_cmp_gt_i32_e64 s16, 0, v23
	s_delay_alu instid0(VALU_DEP_4) | instskip(SKIP_1) | instid1(VALU_DEP_4)
	v_ashrrev_i32_e32 v22, 31, v22
	v_not_b32_e32 v23, v24
	v_and_b32_e32 v20, v20, v21
	v_lshlrev_b32_e32 v21, 27, v19
	s_delay_alu instid0(VALU_DEP_4) | instskip(SKIP_2) | instid1(VALU_DEP_4)
	v_xor_b32_e32 v22, s16, v22
	v_cmp_gt_i32_e64 s16, 0, v24
	v_ashrrev_i32_e32 v23, 31, v23
	v_not_b32_e32 v24, v21
	s_delay_alu instid0(VALU_DEP_4) | instskip(SKIP_1) | instid1(VALU_DEP_4)
	v_and_b32_e32 v20, v20, v22
	v_lshlrev_b32_e32 v22, 26, v19
	v_xor_b32_e32 v23, s16, v23
	v_cmp_gt_i32_e64 s16, 0, v21
	v_ashrrev_i32_e32 v21, 31, v24
	s_delay_alu instid0(VALU_DEP_4) | instskip(NEXT) | instid1(VALU_DEP_4)
	v_not_b32_e32 v24, v22
	v_and_b32_e32 v20, v20, v23
	v_lshlrev_b32_e32 v23, 25, v19
	s_delay_alu instid0(VALU_DEP_4)
	v_xor_b32_e32 v21, s16, v21
	v_cmp_gt_i32_e64 s16, 0, v22
	v_ashrrev_i32_e32 v22, 31, v24
	v_lshlrev_b32_e32 v19, 24, v19
	v_not_b32_e32 v24, v23
	v_and_b32_e32 v20, v20, v21
	s_delay_alu instid0(VALU_DEP_4) | instskip(SKIP_1) | instid1(VALU_DEP_4)
	v_xor_b32_e32 v21, s16, v22
	v_cmp_gt_i32_e64 s16, 0, v23
	v_ashrrev_i32_e32 v22, 31, v24
	v_not_b32_e32 v23, v19
	s_delay_alu instid0(VALU_DEP_4) | instskip(NEXT) | instid1(VALU_DEP_3)
	v_and_b32_e32 v20, v20, v21
	v_xor_b32_e32 v21, s16, v22
	v_cmp_gt_i32_e64 s16, 0, v19
	s_delay_alu instid0(VALU_DEP_4) | instskip(NEXT) | instid1(VALU_DEP_3)
	v_ashrrev_i32_e32 v19, 31, v23
	v_and_b32_e32 v20, v20, v21
	s_delay_alu instid0(VALU_DEP_2) | instskip(NEXT) | instid1(VALU_DEP_1)
	v_xor_b32_e32 v19, s16, v19
	v_and_b32_e32 v19, v20, v19
	s_delay_alu instid0(VALU_DEP_1) | instskip(SKIP_1) | instid1(VALU_DEP_2)
	v_mbcnt_lo_u32_b32 v211, v19, 0
	v_cmp_ne_u32_e64 s17, 0, v19
	v_cmp_eq_u32_e64 s16, 0, v211
	s_delay_alu instid0(VALU_DEP_1) | instskip(NEXT) | instid1(SALU_CYCLE_1)
	s_and_b32 s17, s17, s16
	s_and_saveexec_b32 s16, s17
	s_cbranch_execz .LBB1746_69
; %bb.68:                               ;   in Loop: Header=BB1746_53 Depth=1
	s_waitcnt vmcnt(0) lgkmcnt(0)
	v_bcnt_u32_b32 v19, v19, v210
	flat_store_b32 v[146:147], v19
.LBB1746_69:                            ;   in Loop: Header=BB1746_53 Depth=1
	s_or_b32 exec_lo, exec_lo, s16
	v_cmp_ne_u16_e64 s16, 0x8000, v94
	; wave barrier
	s_delay_alu instid0(VALU_DEP_1) | instskip(NEXT) | instid1(VALU_DEP_1)
	v_cndmask_b32_e64 v19, 0x7fff, v94, s16
	v_and_b32_e32 v19, 0xffff, v19
	s_delay_alu instid0(VALU_DEP_1) | instskip(NEXT) | instid1(VALU_DEP_1)
	v_lshrrev_b32_e32 v19, v10, v19
	v_and_b32_e32 v19, v19, v18
	s_delay_alu instid0(VALU_DEP_1) | instskip(SKIP_3) | instid1(VALU_DEP_4)
	v_lshlrev_b32_e32 v20, 3, v19
	v_lshlrev_b32_e32 v22, 30, v19
	;; [unrolled: 1-line block ×4, first 2 shown]
	v_add_lshl_u32 v20, v20, v75, 2
	s_delay_alu instid0(VALU_DEP_1) | instskip(NEXT) | instid1(VALU_DEP_1)
	v_add_co_u32 v148, s16, v27, v20
	v_add_co_ci_u32_e64 v149, s16, 0, v74, s16
	v_and_b32_e32 v20, 1, v19
	flat_load_b32 v212, v[148:149]
	v_add_co_u32 v20, s16, v20, -1
	s_delay_alu instid0(VALU_DEP_1) | instskip(NEXT) | instid1(VALU_DEP_1)
	v_cndmask_b32_e64 v21, 0, 1, s16
	; wave barrier
	v_cmp_ne_u32_e64 s16, 0, v21
	v_not_b32_e32 v21, v22
	s_delay_alu instid0(VALU_DEP_2) | instskip(SKIP_1) | instid1(VALU_DEP_3)
	v_xor_b32_e32 v20, s16, v20
	v_cmp_gt_i32_e64 s16, 0, v22
	v_ashrrev_i32_e32 v21, 31, v21
	v_not_b32_e32 v22, v23
	s_delay_alu instid0(VALU_DEP_4) | instskip(NEXT) | instid1(VALU_DEP_3)
	v_and_b32_e32 v20, exec_lo, v20
	v_xor_b32_e32 v21, s16, v21
	v_cmp_gt_i32_e64 s16, 0, v23
	s_delay_alu instid0(VALU_DEP_4) | instskip(SKIP_1) | instid1(VALU_DEP_4)
	v_ashrrev_i32_e32 v22, 31, v22
	v_not_b32_e32 v23, v24
	v_and_b32_e32 v20, v20, v21
	v_lshlrev_b32_e32 v21, 27, v19
	s_delay_alu instid0(VALU_DEP_4) | instskip(SKIP_2) | instid1(VALU_DEP_4)
	v_xor_b32_e32 v22, s16, v22
	v_cmp_gt_i32_e64 s16, 0, v24
	v_ashrrev_i32_e32 v23, 31, v23
	v_not_b32_e32 v24, v21
	s_delay_alu instid0(VALU_DEP_4) | instskip(SKIP_1) | instid1(VALU_DEP_4)
	v_and_b32_e32 v20, v20, v22
	v_lshlrev_b32_e32 v22, 26, v19
	v_xor_b32_e32 v23, s16, v23
	v_cmp_gt_i32_e64 s16, 0, v21
	v_ashrrev_i32_e32 v21, 31, v24
	s_delay_alu instid0(VALU_DEP_4) | instskip(NEXT) | instid1(VALU_DEP_4)
	v_not_b32_e32 v24, v22
	v_and_b32_e32 v20, v20, v23
	v_lshlrev_b32_e32 v23, 25, v19
	s_delay_alu instid0(VALU_DEP_4)
	v_xor_b32_e32 v21, s16, v21
	v_cmp_gt_i32_e64 s16, 0, v22
	v_ashrrev_i32_e32 v22, 31, v24
	v_lshlrev_b32_e32 v19, 24, v19
	v_not_b32_e32 v24, v23
	v_and_b32_e32 v20, v20, v21
	s_delay_alu instid0(VALU_DEP_4) | instskip(SKIP_1) | instid1(VALU_DEP_4)
	v_xor_b32_e32 v21, s16, v22
	v_cmp_gt_i32_e64 s16, 0, v23
	v_ashrrev_i32_e32 v22, 31, v24
	v_not_b32_e32 v23, v19
	s_delay_alu instid0(VALU_DEP_4) | instskip(NEXT) | instid1(VALU_DEP_3)
	v_and_b32_e32 v20, v20, v21
	v_xor_b32_e32 v21, s16, v22
	v_cmp_gt_i32_e64 s16, 0, v19
	s_delay_alu instid0(VALU_DEP_4) | instskip(NEXT) | instid1(VALU_DEP_3)
	v_ashrrev_i32_e32 v19, 31, v23
	v_and_b32_e32 v20, v20, v21
	s_delay_alu instid0(VALU_DEP_2) | instskip(NEXT) | instid1(VALU_DEP_1)
	v_xor_b32_e32 v19, s16, v19
	v_and_b32_e32 v19, v20, v19
	s_delay_alu instid0(VALU_DEP_1) | instskip(SKIP_1) | instid1(VALU_DEP_2)
	v_mbcnt_lo_u32_b32 v213, v19, 0
	v_cmp_ne_u32_e64 s17, 0, v19
	v_cmp_eq_u32_e64 s16, 0, v213
	s_delay_alu instid0(VALU_DEP_1) | instskip(NEXT) | instid1(SALU_CYCLE_1)
	s_and_b32 s17, s17, s16
	s_and_saveexec_b32 s16, s17
	s_cbranch_execz .LBB1746_71
; %bb.70:                               ;   in Loop: Header=BB1746_53 Depth=1
	s_waitcnt vmcnt(0) lgkmcnt(0)
	v_bcnt_u32_b32 v19, v19, v212
	flat_store_b32 v[148:149], v19
.LBB1746_71:                            ;   in Loop: Header=BB1746_53 Depth=1
	s_or_b32 exec_lo, exec_lo, s16
	v_cmp_ne_u16_e64 s16, 0x8000, v108
	; wave barrier
	s_delay_alu instid0(VALU_DEP_1) | instskip(NEXT) | instid1(VALU_DEP_1)
	v_cndmask_b32_e64 v19, 0x7fff, v108, s16
	v_and_b32_e32 v19, 0xffff, v19
	s_delay_alu instid0(VALU_DEP_1) | instskip(NEXT) | instid1(VALU_DEP_1)
	v_lshrrev_b32_e32 v19, v10, v19
	v_and_b32_e32 v19, v19, v18
	s_delay_alu instid0(VALU_DEP_1) | instskip(SKIP_3) | instid1(VALU_DEP_4)
	v_lshlrev_b32_e32 v20, 3, v19
	v_lshlrev_b32_e32 v22, 30, v19
	;; [unrolled: 1-line block ×4, first 2 shown]
	v_add_lshl_u32 v20, v20, v75, 2
	s_delay_alu instid0(VALU_DEP_1) | instskip(NEXT) | instid1(VALU_DEP_1)
	v_add_co_u32 v150, s16, v27, v20
	v_add_co_ci_u32_e64 v151, s16, 0, v74, s16
	v_and_b32_e32 v20, 1, v19
	flat_load_b32 v214, v[150:151]
	v_add_co_u32 v20, s16, v20, -1
	s_delay_alu instid0(VALU_DEP_1) | instskip(NEXT) | instid1(VALU_DEP_1)
	v_cndmask_b32_e64 v21, 0, 1, s16
	; wave barrier
	v_cmp_ne_u32_e64 s16, 0, v21
	v_not_b32_e32 v21, v22
	s_delay_alu instid0(VALU_DEP_2) | instskip(SKIP_1) | instid1(VALU_DEP_3)
	v_xor_b32_e32 v20, s16, v20
	v_cmp_gt_i32_e64 s16, 0, v22
	v_ashrrev_i32_e32 v21, 31, v21
	v_not_b32_e32 v22, v23
	s_delay_alu instid0(VALU_DEP_4) | instskip(NEXT) | instid1(VALU_DEP_3)
	v_and_b32_e32 v20, exec_lo, v20
	v_xor_b32_e32 v21, s16, v21
	v_cmp_gt_i32_e64 s16, 0, v23
	s_delay_alu instid0(VALU_DEP_4) | instskip(SKIP_1) | instid1(VALU_DEP_4)
	v_ashrrev_i32_e32 v22, 31, v22
	v_not_b32_e32 v23, v24
	v_and_b32_e32 v20, v20, v21
	v_lshlrev_b32_e32 v21, 27, v19
	s_delay_alu instid0(VALU_DEP_4) | instskip(SKIP_2) | instid1(VALU_DEP_4)
	v_xor_b32_e32 v22, s16, v22
	v_cmp_gt_i32_e64 s16, 0, v24
	v_ashrrev_i32_e32 v23, 31, v23
	v_not_b32_e32 v24, v21
	s_delay_alu instid0(VALU_DEP_4) | instskip(SKIP_1) | instid1(VALU_DEP_4)
	v_and_b32_e32 v20, v20, v22
	v_lshlrev_b32_e32 v22, 26, v19
	v_xor_b32_e32 v23, s16, v23
	v_cmp_gt_i32_e64 s16, 0, v21
	v_ashrrev_i32_e32 v21, 31, v24
	s_delay_alu instid0(VALU_DEP_4) | instskip(NEXT) | instid1(VALU_DEP_4)
	v_not_b32_e32 v24, v22
	v_and_b32_e32 v20, v20, v23
	v_lshlrev_b32_e32 v23, 25, v19
	s_delay_alu instid0(VALU_DEP_4)
	v_xor_b32_e32 v21, s16, v21
	v_cmp_gt_i32_e64 s16, 0, v22
	v_ashrrev_i32_e32 v22, 31, v24
	v_lshlrev_b32_e32 v19, 24, v19
	v_not_b32_e32 v24, v23
	v_and_b32_e32 v20, v20, v21
	s_delay_alu instid0(VALU_DEP_4) | instskip(SKIP_1) | instid1(VALU_DEP_4)
	v_xor_b32_e32 v21, s16, v22
	v_cmp_gt_i32_e64 s16, 0, v23
	v_ashrrev_i32_e32 v22, 31, v24
	v_not_b32_e32 v23, v19
	s_delay_alu instid0(VALU_DEP_4) | instskip(NEXT) | instid1(VALU_DEP_3)
	v_and_b32_e32 v20, v20, v21
	v_xor_b32_e32 v21, s16, v22
	v_cmp_gt_i32_e64 s16, 0, v19
	s_delay_alu instid0(VALU_DEP_4) | instskip(NEXT) | instid1(VALU_DEP_3)
	v_ashrrev_i32_e32 v19, 31, v23
	v_and_b32_e32 v20, v20, v21
	s_delay_alu instid0(VALU_DEP_2) | instskip(NEXT) | instid1(VALU_DEP_1)
	v_xor_b32_e32 v19, s16, v19
	v_and_b32_e32 v19, v20, v19
	s_delay_alu instid0(VALU_DEP_1) | instskip(SKIP_1) | instid1(VALU_DEP_2)
	v_mbcnt_lo_u32_b32 v215, v19, 0
	v_cmp_ne_u32_e64 s17, 0, v19
	v_cmp_eq_u32_e64 s16, 0, v215
	s_delay_alu instid0(VALU_DEP_1) | instskip(NEXT) | instid1(SALU_CYCLE_1)
	s_and_b32 s17, s17, s16
	s_and_saveexec_b32 s16, s17
	s_cbranch_execz .LBB1746_73
; %bb.72:                               ;   in Loop: Header=BB1746_53 Depth=1
	s_waitcnt vmcnt(0) lgkmcnt(0)
	v_bcnt_u32_b32 v19, v19, v214
	flat_store_b32 v[150:151], v19
.LBB1746_73:                            ;   in Loop: Header=BB1746_53 Depth=1
	s_or_b32 exec_lo, exec_lo, s16
	v_cmp_ne_u16_e64 s16, 0x8000, v107
	; wave barrier
	s_delay_alu instid0(VALU_DEP_1) | instskip(NEXT) | instid1(VALU_DEP_1)
	v_cndmask_b32_e64 v19, 0x7fff, v107, s16
	v_and_b32_e32 v19, 0xffff, v19
	s_delay_alu instid0(VALU_DEP_1) | instskip(NEXT) | instid1(VALU_DEP_1)
	v_lshrrev_b32_e32 v19, v10, v19
	v_and_b32_e32 v19, v19, v18
	s_delay_alu instid0(VALU_DEP_1) | instskip(SKIP_3) | instid1(VALU_DEP_4)
	v_lshlrev_b32_e32 v20, 3, v19
	v_lshlrev_b32_e32 v22, 30, v19
	;; [unrolled: 1-line block ×4, first 2 shown]
	v_add_lshl_u32 v20, v20, v75, 2
	s_delay_alu instid0(VALU_DEP_1) | instskip(NEXT) | instid1(VALU_DEP_1)
	v_add_co_u32 v160, s16, v27, v20
	v_add_co_ci_u32_e64 v161, s16, 0, v74, s16
	v_and_b32_e32 v20, 1, v19
	flat_load_b32 v224, v[160:161]
	v_add_co_u32 v20, s16, v20, -1
	s_delay_alu instid0(VALU_DEP_1) | instskip(NEXT) | instid1(VALU_DEP_1)
	v_cndmask_b32_e64 v21, 0, 1, s16
	; wave barrier
	v_cmp_ne_u32_e64 s16, 0, v21
	v_not_b32_e32 v21, v22
	s_delay_alu instid0(VALU_DEP_2) | instskip(SKIP_1) | instid1(VALU_DEP_3)
	v_xor_b32_e32 v20, s16, v20
	v_cmp_gt_i32_e64 s16, 0, v22
	v_ashrrev_i32_e32 v21, 31, v21
	v_not_b32_e32 v22, v23
	s_delay_alu instid0(VALU_DEP_4) | instskip(NEXT) | instid1(VALU_DEP_3)
	v_and_b32_e32 v20, exec_lo, v20
	v_xor_b32_e32 v21, s16, v21
	v_cmp_gt_i32_e64 s16, 0, v23
	s_delay_alu instid0(VALU_DEP_4) | instskip(SKIP_1) | instid1(VALU_DEP_4)
	v_ashrrev_i32_e32 v22, 31, v22
	v_not_b32_e32 v23, v24
	v_and_b32_e32 v20, v20, v21
	v_lshlrev_b32_e32 v21, 27, v19
	s_delay_alu instid0(VALU_DEP_4) | instskip(SKIP_2) | instid1(VALU_DEP_4)
	v_xor_b32_e32 v22, s16, v22
	v_cmp_gt_i32_e64 s16, 0, v24
	v_ashrrev_i32_e32 v23, 31, v23
	v_not_b32_e32 v24, v21
	s_delay_alu instid0(VALU_DEP_4) | instskip(SKIP_1) | instid1(VALU_DEP_4)
	v_and_b32_e32 v20, v20, v22
	v_lshlrev_b32_e32 v22, 26, v19
	v_xor_b32_e32 v23, s16, v23
	v_cmp_gt_i32_e64 s16, 0, v21
	v_ashrrev_i32_e32 v21, 31, v24
	s_delay_alu instid0(VALU_DEP_4) | instskip(NEXT) | instid1(VALU_DEP_4)
	v_not_b32_e32 v24, v22
	v_and_b32_e32 v20, v20, v23
	v_lshlrev_b32_e32 v23, 25, v19
	s_delay_alu instid0(VALU_DEP_4)
	v_xor_b32_e32 v21, s16, v21
	v_cmp_gt_i32_e64 s16, 0, v22
	v_ashrrev_i32_e32 v22, 31, v24
	v_lshlrev_b32_e32 v19, 24, v19
	v_not_b32_e32 v24, v23
	v_and_b32_e32 v20, v20, v21
	s_delay_alu instid0(VALU_DEP_4) | instskip(SKIP_1) | instid1(VALU_DEP_4)
	v_xor_b32_e32 v21, s16, v22
	v_cmp_gt_i32_e64 s16, 0, v23
	v_ashrrev_i32_e32 v22, 31, v24
	v_not_b32_e32 v23, v19
	s_delay_alu instid0(VALU_DEP_4) | instskip(NEXT) | instid1(VALU_DEP_3)
	v_and_b32_e32 v20, v20, v21
	v_xor_b32_e32 v21, s16, v22
	v_cmp_gt_i32_e64 s16, 0, v19
	s_delay_alu instid0(VALU_DEP_4) | instskip(NEXT) | instid1(VALU_DEP_3)
	v_ashrrev_i32_e32 v19, 31, v23
	v_and_b32_e32 v20, v20, v21
	s_delay_alu instid0(VALU_DEP_2) | instskip(NEXT) | instid1(VALU_DEP_1)
	v_xor_b32_e32 v19, s16, v19
	v_and_b32_e32 v19, v20, v19
	s_delay_alu instid0(VALU_DEP_1) | instskip(SKIP_1) | instid1(VALU_DEP_2)
	v_mbcnt_lo_u32_b32 v225, v19, 0
	v_cmp_ne_u32_e64 s17, 0, v19
	v_cmp_eq_u32_e64 s16, 0, v225
	s_delay_alu instid0(VALU_DEP_1) | instskip(NEXT) | instid1(SALU_CYCLE_1)
	s_and_b32 s17, s17, s16
	s_and_saveexec_b32 s16, s17
	s_cbranch_execz .LBB1746_75
; %bb.74:                               ;   in Loop: Header=BB1746_53 Depth=1
	s_waitcnt vmcnt(0) lgkmcnt(0)
	v_bcnt_u32_b32 v19, v19, v224
	flat_store_b32 v[160:161], v19
.LBB1746_75:                            ;   in Loop: Header=BB1746_53 Depth=1
	s_or_b32 exec_lo, exec_lo, s16
	v_cmp_ne_u16_e64 s16, 0x8000, v106
	; wave barrier
	s_delay_alu instid0(VALU_DEP_1) | instskip(NEXT) | instid1(VALU_DEP_1)
	v_cndmask_b32_e64 v19, 0x7fff, v106, s16
	v_and_b32_e32 v19, 0xffff, v19
	s_delay_alu instid0(VALU_DEP_1) | instskip(NEXT) | instid1(VALU_DEP_1)
	v_lshrrev_b32_e32 v19, v10, v19
	v_and_b32_e32 v19, v19, v18
	s_delay_alu instid0(VALU_DEP_1) | instskip(SKIP_3) | instid1(VALU_DEP_4)
	v_lshlrev_b32_e32 v20, 3, v19
	v_lshlrev_b32_e32 v22, 30, v19
	;; [unrolled: 1-line block ×4, first 2 shown]
	v_add_lshl_u32 v20, v20, v75, 2
	s_delay_alu instid0(VALU_DEP_1) | instskip(NEXT) | instid1(VALU_DEP_1)
	v_add_co_u32 v162, s16, v27, v20
	v_add_co_ci_u32_e64 v163, s16, 0, v74, s16
	v_and_b32_e32 v20, 1, v19
	flat_load_b32 v226, v[162:163]
	v_add_co_u32 v20, s16, v20, -1
	s_delay_alu instid0(VALU_DEP_1) | instskip(NEXT) | instid1(VALU_DEP_1)
	v_cndmask_b32_e64 v21, 0, 1, s16
	; wave barrier
	v_cmp_ne_u32_e64 s16, 0, v21
	v_not_b32_e32 v21, v22
	s_delay_alu instid0(VALU_DEP_2) | instskip(SKIP_1) | instid1(VALU_DEP_3)
	v_xor_b32_e32 v20, s16, v20
	v_cmp_gt_i32_e64 s16, 0, v22
	v_ashrrev_i32_e32 v21, 31, v21
	v_not_b32_e32 v22, v23
	s_delay_alu instid0(VALU_DEP_4) | instskip(NEXT) | instid1(VALU_DEP_3)
	v_and_b32_e32 v20, exec_lo, v20
	v_xor_b32_e32 v21, s16, v21
	v_cmp_gt_i32_e64 s16, 0, v23
	s_delay_alu instid0(VALU_DEP_4) | instskip(SKIP_1) | instid1(VALU_DEP_4)
	v_ashrrev_i32_e32 v22, 31, v22
	v_not_b32_e32 v23, v24
	v_and_b32_e32 v20, v20, v21
	v_lshlrev_b32_e32 v21, 27, v19
	s_delay_alu instid0(VALU_DEP_4) | instskip(SKIP_2) | instid1(VALU_DEP_4)
	v_xor_b32_e32 v22, s16, v22
	v_cmp_gt_i32_e64 s16, 0, v24
	v_ashrrev_i32_e32 v23, 31, v23
	v_not_b32_e32 v24, v21
	s_delay_alu instid0(VALU_DEP_4) | instskip(SKIP_1) | instid1(VALU_DEP_4)
	v_and_b32_e32 v20, v20, v22
	v_lshlrev_b32_e32 v22, 26, v19
	v_xor_b32_e32 v23, s16, v23
	v_cmp_gt_i32_e64 s16, 0, v21
	v_ashrrev_i32_e32 v21, 31, v24
	s_delay_alu instid0(VALU_DEP_4) | instskip(NEXT) | instid1(VALU_DEP_4)
	v_not_b32_e32 v24, v22
	v_and_b32_e32 v20, v20, v23
	v_lshlrev_b32_e32 v23, 25, v19
	s_delay_alu instid0(VALU_DEP_4)
	v_xor_b32_e32 v21, s16, v21
	v_cmp_gt_i32_e64 s16, 0, v22
	v_ashrrev_i32_e32 v22, 31, v24
	v_lshlrev_b32_e32 v19, 24, v19
	v_not_b32_e32 v24, v23
	v_and_b32_e32 v20, v20, v21
	s_delay_alu instid0(VALU_DEP_4) | instskip(SKIP_1) | instid1(VALU_DEP_4)
	v_xor_b32_e32 v21, s16, v22
	v_cmp_gt_i32_e64 s16, 0, v23
	v_ashrrev_i32_e32 v22, 31, v24
	v_not_b32_e32 v23, v19
	s_delay_alu instid0(VALU_DEP_4) | instskip(NEXT) | instid1(VALU_DEP_3)
	v_and_b32_e32 v20, v20, v21
	v_xor_b32_e32 v21, s16, v22
	v_cmp_gt_i32_e64 s16, 0, v19
	s_delay_alu instid0(VALU_DEP_4) | instskip(NEXT) | instid1(VALU_DEP_3)
	v_ashrrev_i32_e32 v19, 31, v23
	v_and_b32_e32 v20, v20, v21
	s_delay_alu instid0(VALU_DEP_2) | instskip(NEXT) | instid1(VALU_DEP_1)
	v_xor_b32_e32 v19, s16, v19
	v_and_b32_e32 v19, v20, v19
	s_delay_alu instid0(VALU_DEP_1) | instskip(SKIP_1) | instid1(VALU_DEP_2)
	v_mbcnt_lo_u32_b32 v227, v19, 0
	v_cmp_ne_u32_e64 s17, 0, v19
	v_cmp_eq_u32_e64 s16, 0, v227
	s_delay_alu instid0(VALU_DEP_1) | instskip(NEXT) | instid1(SALU_CYCLE_1)
	s_and_b32 s17, s17, s16
	s_and_saveexec_b32 s16, s17
	s_cbranch_execz .LBB1746_77
; %bb.76:                               ;   in Loop: Header=BB1746_53 Depth=1
	s_waitcnt vmcnt(0) lgkmcnt(0)
	v_bcnt_u32_b32 v19, v19, v226
	flat_store_b32 v[162:163], v19
.LBB1746_77:                            ;   in Loop: Header=BB1746_53 Depth=1
	s_or_b32 exec_lo, exec_lo, s16
	v_cmp_ne_u16_e64 s16, 0x8000, v105
	; wave barrier
	s_delay_alu instid0(VALU_DEP_1) | instskip(NEXT) | instid1(VALU_DEP_1)
	v_cndmask_b32_e64 v19, 0x7fff, v105, s16
	v_and_b32_e32 v19, 0xffff, v19
	s_delay_alu instid0(VALU_DEP_1) | instskip(NEXT) | instid1(VALU_DEP_1)
	v_lshrrev_b32_e32 v19, v10, v19
	v_and_b32_e32 v19, v19, v18
	s_delay_alu instid0(VALU_DEP_1) | instskip(SKIP_3) | instid1(VALU_DEP_4)
	v_lshlrev_b32_e32 v20, 3, v19
	v_lshlrev_b32_e32 v22, 30, v19
	;; [unrolled: 1-line block ×4, first 2 shown]
	v_add_lshl_u32 v20, v20, v75, 2
	s_delay_alu instid0(VALU_DEP_1) | instskip(NEXT) | instid1(VALU_DEP_1)
	v_add_co_u32 v164, s16, v27, v20
	v_add_co_ci_u32_e64 v165, s16, 0, v74, s16
	v_and_b32_e32 v20, 1, v19
	flat_load_b32 v228, v[164:165]
	v_add_co_u32 v20, s16, v20, -1
	s_delay_alu instid0(VALU_DEP_1) | instskip(NEXT) | instid1(VALU_DEP_1)
	v_cndmask_b32_e64 v21, 0, 1, s16
	; wave barrier
	v_cmp_ne_u32_e64 s16, 0, v21
	v_not_b32_e32 v21, v22
	s_delay_alu instid0(VALU_DEP_2) | instskip(SKIP_1) | instid1(VALU_DEP_3)
	v_xor_b32_e32 v20, s16, v20
	v_cmp_gt_i32_e64 s16, 0, v22
	v_ashrrev_i32_e32 v21, 31, v21
	v_not_b32_e32 v22, v23
	s_delay_alu instid0(VALU_DEP_4) | instskip(NEXT) | instid1(VALU_DEP_3)
	v_and_b32_e32 v20, exec_lo, v20
	v_xor_b32_e32 v21, s16, v21
	v_cmp_gt_i32_e64 s16, 0, v23
	s_delay_alu instid0(VALU_DEP_4) | instskip(SKIP_1) | instid1(VALU_DEP_4)
	v_ashrrev_i32_e32 v22, 31, v22
	v_not_b32_e32 v23, v24
	v_and_b32_e32 v20, v20, v21
	v_lshlrev_b32_e32 v21, 27, v19
	s_delay_alu instid0(VALU_DEP_4) | instskip(SKIP_2) | instid1(VALU_DEP_4)
	v_xor_b32_e32 v22, s16, v22
	v_cmp_gt_i32_e64 s16, 0, v24
	v_ashrrev_i32_e32 v23, 31, v23
	v_not_b32_e32 v24, v21
	s_delay_alu instid0(VALU_DEP_4) | instskip(SKIP_1) | instid1(VALU_DEP_4)
	v_and_b32_e32 v20, v20, v22
	v_lshlrev_b32_e32 v22, 26, v19
	v_xor_b32_e32 v23, s16, v23
	v_cmp_gt_i32_e64 s16, 0, v21
	v_ashrrev_i32_e32 v21, 31, v24
	s_delay_alu instid0(VALU_DEP_4) | instskip(NEXT) | instid1(VALU_DEP_4)
	v_not_b32_e32 v24, v22
	v_and_b32_e32 v20, v20, v23
	v_lshlrev_b32_e32 v23, 25, v19
	s_delay_alu instid0(VALU_DEP_4)
	v_xor_b32_e32 v21, s16, v21
	v_cmp_gt_i32_e64 s16, 0, v22
	v_ashrrev_i32_e32 v22, 31, v24
	v_lshlrev_b32_e32 v19, 24, v19
	v_not_b32_e32 v24, v23
	v_and_b32_e32 v20, v20, v21
	s_delay_alu instid0(VALU_DEP_4) | instskip(SKIP_1) | instid1(VALU_DEP_4)
	v_xor_b32_e32 v21, s16, v22
	v_cmp_gt_i32_e64 s16, 0, v23
	v_ashrrev_i32_e32 v22, 31, v24
	v_not_b32_e32 v23, v19
	s_delay_alu instid0(VALU_DEP_4) | instskip(NEXT) | instid1(VALU_DEP_3)
	v_and_b32_e32 v20, v20, v21
	v_xor_b32_e32 v21, s16, v22
	v_cmp_gt_i32_e64 s16, 0, v19
	s_delay_alu instid0(VALU_DEP_4) | instskip(NEXT) | instid1(VALU_DEP_3)
	v_ashrrev_i32_e32 v19, 31, v23
	v_and_b32_e32 v20, v20, v21
	s_delay_alu instid0(VALU_DEP_2) | instskip(NEXT) | instid1(VALU_DEP_1)
	v_xor_b32_e32 v19, s16, v19
	v_and_b32_e32 v19, v20, v19
	s_delay_alu instid0(VALU_DEP_1) | instskip(SKIP_1) | instid1(VALU_DEP_2)
	v_mbcnt_lo_u32_b32 v229, v19, 0
	v_cmp_ne_u32_e64 s17, 0, v19
	v_cmp_eq_u32_e64 s16, 0, v229
	s_delay_alu instid0(VALU_DEP_1) | instskip(NEXT) | instid1(SALU_CYCLE_1)
	s_and_b32 s17, s17, s16
	s_and_saveexec_b32 s16, s17
	s_cbranch_execz .LBB1746_79
; %bb.78:                               ;   in Loop: Header=BB1746_53 Depth=1
	s_waitcnt vmcnt(0) lgkmcnt(0)
	v_bcnt_u32_b32 v19, v19, v228
	flat_store_b32 v[164:165], v19
.LBB1746_79:                            ;   in Loop: Header=BB1746_53 Depth=1
	s_or_b32 exec_lo, exec_lo, s16
	v_cmp_ne_u16_e64 s16, 0x8000, v109
	; wave barrier
	s_delay_alu instid0(VALU_DEP_1) | instskip(NEXT) | instid1(VALU_DEP_1)
	v_cndmask_b32_e64 v19, 0x7fff, v109, s16
	v_and_b32_e32 v19, 0xffff, v19
	s_delay_alu instid0(VALU_DEP_1) | instskip(NEXT) | instid1(VALU_DEP_1)
	v_lshrrev_b32_e32 v19, v10, v19
	v_and_b32_e32 v19, v19, v18
	s_delay_alu instid0(VALU_DEP_1) | instskip(SKIP_3) | instid1(VALU_DEP_4)
	v_lshlrev_b32_e32 v20, 3, v19
	v_lshlrev_b32_e32 v22, 30, v19
	;; [unrolled: 1-line block ×4, first 2 shown]
	v_add_lshl_u32 v20, v20, v75, 2
	s_delay_alu instid0(VALU_DEP_1) | instskip(NEXT) | instid1(VALU_DEP_1)
	v_add_co_u32 v166, s16, v27, v20
	v_add_co_ci_u32_e64 v167, s16, 0, v74, s16
	v_and_b32_e32 v20, 1, v19
	flat_load_b32 v230, v[166:167]
	v_add_co_u32 v20, s16, v20, -1
	s_delay_alu instid0(VALU_DEP_1) | instskip(NEXT) | instid1(VALU_DEP_1)
	v_cndmask_b32_e64 v21, 0, 1, s16
	; wave barrier
	v_cmp_ne_u32_e64 s16, 0, v21
	v_not_b32_e32 v21, v22
	s_delay_alu instid0(VALU_DEP_2) | instskip(SKIP_1) | instid1(VALU_DEP_3)
	v_xor_b32_e32 v20, s16, v20
	v_cmp_gt_i32_e64 s16, 0, v22
	v_ashrrev_i32_e32 v21, 31, v21
	v_not_b32_e32 v22, v23
	s_delay_alu instid0(VALU_DEP_4) | instskip(NEXT) | instid1(VALU_DEP_3)
	v_and_b32_e32 v20, exec_lo, v20
	v_xor_b32_e32 v21, s16, v21
	v_cmp_gt_i32_e64 s16, 0, v23
	s_delay_alu instid0(VALU_DEP_4) | instskip(SKIP_1) | instid1(VALU_DEP_4)
	v_ashrrev_i32_e32 v22, 31, v22
	v_not_b32_e32 v23, v24
	v_and_b32_e32 v20, v20, v21
	v_lshlrev_b32_e32 v21, 27, v19
	s_delay_alu instid0(VALU_DEP_4) | instskip(SKIP_2) | instid1(VALU_DEP_4)
	v_xor_b32_e32 v22, s16, v22
	v_cmp_gt_i32_e64 s16, 0, v24
	v_ashrrev_i32_e32 v23, 31, v23
	v_not_b32_e32 v24, v21
	s_delay_alu instid0(VALU_DEP_4) | instskip(SKIP_1) | instid1(VALU_DEP_4)
	v_and_b32_e32 v20, v20, v22
	v_lshlrev_b32_e32 v22, 26, v19
	v_xor_b32_e32 v23, s16, v23
	v_cmp_gt_i32_e64 s16, 0, v21
	v_ashrrev_i32_e32 v21, 31, v24
	s_delay_alu instid0(VALU_DEP_4) | instskip(NEXT) | instid1(VALU_DEP_4)
	v_not_b32_e32 v24, v22
	v_and_b32_e32 v20, v20, v23
	v_lshlrev_b32_e32 v23, 25, v19
	s_delay_alu instid0(VALU_DEP_4)
	v_xor_b32_e32 v21, s16, v21
	v_cmp_gt_i32_e64 s16, 0, v22
	v_ashrrev_i32_e32 v22, 31, v24
	v_lshlrev_b32_e32 v19, 24, v19
	v_not_b32_e32 v24, v23
	v_and_b32_e32 v20, v20, v21
	s_delay_alu instid0(VALU_DEP_4) | instskip(SKIP_1) | instid1(VALU_DEP_4)
	v_xor_b32_e32 v21, s16, v22
	v_cmp_gt_i32_e64 s16, 0, v23
	v_ashrrev_i32_e32 v22, 31, v24
	v_not_b32_e32 v23, v19
	s_delay_alu instid0(VALU_DEP_4) | instskip(NEXT) | instid1(VALU_DEP_3)
	v_and_b32_e32 v20, v20, v21
	v_xor_b32_e32 v21, s16, v22
	v_cmp_gt_i32_e64 s16, 0, v19
	s_delay_alu instid0(VALU_DEP_4) | instskip(NEXT) | instid1(VALU_DEP_3)
	v_ashrrev_i32_e32 v19, 31, v23
	v_and_b32_e32 v20, v20, v21
	s_delay_alu instid0(VALU_DEP_2) | instskip(NEXT) | instid1(VALU_DEP_1)
	v_xor_b32_e32 v19, s16, v19
	v_and_b32_e32 v19, v20, v19
	s_delay_alu instid0(VALU_DEP_1) | instskip(SKIP_1) | instid1(VALU_DEP_2)
	v_mbcnt_lo_u32_b32 v231, v19, 0
	v_cmp_ne_u32_e64 s17, 0, v19
	v_cmp_eq_u32_e64 s16, 0, v231
	s_delay_alu instid0(VALU_DEP_1) | instskip(NEXT) | instid1(SALU_CYCLE_1)
	s_and_b32 s17, s17, s16
	s_and_saveexec_b32 s16, s17
	s_cbranch_execz .LBB1746_81
; %bb.80:                               ;   in Loop: Header=BB1746_53 Depth=1
	s_waitcnt vmcnt(0) lgkmcnt(0)
	v_bcnt_u32_b32 v19, v19, v230
	flat_store_b32 v[166:167], v19
.LBB1746_81:                            ;   in Loop: Header=BB1746_53 Depth=1
	s_or_b32 exec_lo, exec_lo, s16
	v_cmp_ne_u16_e64 s16, 0x8000, v93
	; wave barrier
	s_delay_alu instid0(VALU_DEP_1) | instskip(NEXT) | instid1(VALU_DEP_1)
	v_cndmask_b32_e64 v19, 0x7fff, v93, s16
	v_and_b32_e32 v19, 0xffff, v19
	s_delay_alu instid0(VALU_DEP_1) | instskip(NEXT) | instid1(VALU_DEP_1)
	v_lshrrev_b32_e32 v19, v10, v19
	v_and_b32_e32 v19, v19, v18
	s_delay_alu instid0(VALU_DEP_1) | instskip(SKIP_3) | instid1(VALU_DEP_4)
	v_lshlrev_b32_e32 v20, 3, v19
	v_lshlrev_b32_e32 v22, 30, v19
	v_lshlrev_b32_e32 v23, 29, v19
	v_lshlrev_b32_e32 v24, 28, v19
	v_add_lshl_u32 v20, v20, v75, 2
	s_delay_alu instid0(VALU_DEP_1) | instskip(NEXT) | instid1(VALU_DEP_1)
	v_add_co_u32 v176, s16, v27, v20
	v_add_co_ci_u32_e64 v177, s16, 0, v74, s16
	v_and_b32_e32 v20, 1, v19
	flat_load_b32 v240, v[176:177]
	v_add_co_u32 v20, s16, v20, -1
	s_delay_alu instid0(VALU_DEP_1) | instskip(NEXT) | instid1(VALU_DEP_1)
	v_cndmask_b32_e64 v21, 0, 1, s16
	; wave barrier
	v_cmp_ne_u32_e64 s16, 0, v21
	v_not_b32_e32 v21, v22
	s_delay_alu instid0(VALU_DEP_2) | instskip(SKIP_1) | instid1(VALU_DEP_3)
	v_xor_b32_e32 v20, s16, v20
	v_cmp_gt_i32_e64 s16, 0, v22
	v_ashrrev_i32_e32 v21, 31, v21
	v_not_b32_e32 v22, v23
	s_delay_alu instid0(VALU_DEP_4) | instskip(NEXT) | instid1(VALU_DEP_3)
	v_and_b32_e32 v20, exec_lo, v20
	v_xor_b32_e32 v21, s16, v21
	v_cmp_gt_i32_e64 s16, 0, v23
	s_delay_alu instid0(VALU_DEP_4) | instskip(SKIP_1) | instid1(VALU_DEP_4)
	v_ashrrev_i32_e32 v22, 31, v22
	v_not_b32_e32 v23, v24
	v_and_b32_e32 v20, v20, v21
	v_lshlrev_b32_e32 v21, 27, v19
	s_delay_alu instid0(VALU_DEP_4) | instskip(SKIP_2) | instid1(VALU_DEP_4)
	v_xor_b32_e32 v22, s16, v22
	v_cmp_gt_i32_e64 s16, 0, v24
	v_ashrrev_i32_e32 v23, 31, v23
	v_not_b32_e32 v24, v21
	s_delay_alu instid0(VALU_DEP_4) | instskip(SKIP_1) | instid1(VALU_DEP_4)
	v_and_b32_e32 v20, v20, v22
	v_lshlrev_b32_e32 v22, 26, v19
	v_xor_b32_e32 v23, s16, v23
	v_cmp_gt_i32_e64 s16, 0, v21
	v_ashrrev_i32_e32 v21, 31, v24
	s_delay_alu instid0(VALU_DEP_4) | instskip(NEXT) | instid1(VALU_DEP_4)
	v_not_b32_e32 v24, v22
	v_and_b32_e32 v20, v20, v23
	v_lshlrev_b32_e32 v23, 25, v19
	s_delay_alu instid0(VALU_DEP_4)
	v_xor_b32_e32 v21, s16, v21
	v_cmp_gt_i32_e64 s16, 0, v22
	v_ashrrev_i32_e32 v22, 31, v24
	v_lshlrev_b32_e32 v19, 24, v19
	v_not_b32_e32 v24, v23
	v_and_b32_e32 v20, v20, v21
	s_delay_alu instid0(VALU_DEP_4) | instskip(SKIP_1) | instid1(VALU_DEP_4)
	v_xor_b32_e32 v21, s16, v22
	v_cmp_gt_i32_e64 s16, 0, v23
	v_ashrrev_i32_e32 v22, 31, v24
	v_not_b32_e32 v23, v19
	s_delay_alu instid0(VALU_DEP_4) | instskip(NEXT) | instid1(VALU_DEP_3)
	v_and_b32_e32 v20, v20, v21
	v_xor_b32_e32 v21, s16, v22
	v_cmp_gt_i32_e64 s16, 0, v19
	s_delay_alu instid0(VALU_DEP_4) | instskip(NEXT) | instid1(VALU_DEP_3)
	v_ashrrev_i32_e32 v19, 31, v23
	v_and_b32_e32 v20, v20, v21
	s_delay_alu instid0(VALU_DEP_2) | instskip(NEXT) | instid1(VALU_DEP_1)
	v_xor_b32_e32 v19, s16, v19
	v_and_b32_e32 v19, v20, v19
	s_delay_alu instid0(VALU_DEP_1) | instskip(SKIP_1) | instid1(VALU_DEP_2)
	v_mbcnt_lo_u32_b32 v241, v19, 0
	v_cmp_ne_u32_e64 s17, 0, v19
	v_cmp_eq_u32_e64 s16, 0, v241
	s_delay_alu instid0(VALU_DEP_1) | instskip(NEXT) | instid1(SALU_CYCLE_1)
	s_and_b32 s17, s17, s16
	s_and_saveexec_b32 s16, s17
	s_cbranch_execz .LBB1746_83
; %bb.82:                               ;   in Loop: Header=BB1746_53 Depth=1
	s_waitcnt vmcnt(0) lgkmcnt(0)
	v_bcnt_u32_b32 v19, v19, v240
	flat_store_b32 v[176:177], v19
.LBB1746_83:                            ;   in Loop: Header=BB1746_53 Depth=1
	s_or_b32 exec_lo, exec_lo, s16
	v_cmp_ne_u16_e64 s16, 0x8000, v92
	; wave barrier
	s_delay_alu instid0(VALU_DEP_1) | instskip(NEXT) | instid1(VALU_DEP_1)
	v_cndmask_b32_e64 v19, 0x7fff, v92, s16
	v_and_b32_e32 v19, 0xffff, v19
	s_delay_alu instid0(VALU_DEP_1) | instskip(NEXT) | instid1(VALU_DEP_1)
	v_lshrrev_b32_e32 v19, v10, v19
	v_and_b32_e32 v18, v19, v18
	s_delay_alu instid0(VALU_DEP_1) | instskip(SKIP_3) | instid1(VALU_DEP_4)
	v_lshlrev_b32_e32 v19, 3, v18
	v_lshlrev_b32_e32 v21, 30, v18
	;; [unrolled: 1-line block ×4, first 2 shown]
	v_add_lshl_u32 v19, v19, v75, 2
	s_delay_alu instid0(VALU_DEP_1) | instskip(NEXT) | instid1(VALU_DEP_1)
	v_add_co_u32 v178, s16, v27, v19
	v_add_co_ci_u32_e64 v179, s16, 0, v74, s16
	v_and_b32_e32 v19, 1, v18
	flat_load_b32 v242, v[178:179]
	v_add_co_u32 v19, s16, v19, -1
	s_delay_alu instid0(VALU_DEP_1) | instskip(NEXT) | instid1(VALU_DEP_1)
	v_cndmask_b32_e64 v20, 0, 1, s16
	; wave barrier
	v_cmp_ne_u32_e64 s16, 0, v20
	v_not_b32_e32 v20, v21
	s_delay_alu instid0(VALU_DEP_2) | instskip(SKIP_1) | instid1(VALU_DEP_3)
	v_xor_b32_e32 v19, s16, v19
	v_cmp_gt_i32_e64 s16, 0, v21
	v_ashrrev_i32_e32 v20, 31, v20
	v_not_b32_e32 v21, v22
	s_delay_alu instid0(VALU_DEP_4) | instskip(NEXT) | instid1(VALU_DEP_3)
	v_and_b32_e32 v19, exec_lo, v19
	v_xor_b32_e32 v20, s16, v20
	v_cmp_gt_i32_e64 s16, 0, v22
	s_delay_alu instid0(VALU_DEP_4) | instskip(SKIP_1) | instid1(VALU_DEP_4)
	v_ashrrev_i32_e32 v21, 31, v21
	v_not_b32_e32 v22, v23
	v_and_b32_e32 v19, v19, v20
	v_lshlrev_b32_e32 v20, 27, v18
	s_delay_alu instid0(VALU_DEP_4) | instskip(SKIP_2) | instid1(VALU_DEP_4)
	v_xor_b32_e32 v21, s16, v21
	v_cmp_gt_i32_e64 s16, 0, v23
	v_ashrrev_i32_e32 v22, 31, v22
	v_not_b32_e32 v23, v20
	s_delay_alu instid0(VALU_DEP_4) | instskip(SKIP_1) | instid1(VALU_DEP_4)
	v_and_b32_e32 v19, v19, v21
	v_lshlrev_b32_e32 v21, 26, v18
	v_xor_b32_e32 v22, s16, v22
	v_cmp_gt_i32_e64 s16, 0, v20
	v_ashrrev_i32_e32 v20, 31, v23
	s_delay_alu instid0(VALU_DEP_4) | instskip(NEXT) | instid1(VALU_DEP_4)
	v_not_b32_e32 v23, v21
	v_and_b32_e32 v19, v19, v22
	v_lshlrev_b32_e32 v22, 25, v18
	s_delay_alu instid0(VALU_DEP_4)
	v_xor_b32_e32 v20, s16, v20
	v_cmp_gt_i32_e64 s16, 0, v21
	v_ashrrev_i32_e32 v21, 31, v23
	v_lshlrev_b32_e32 v18, 24, v18
	v_not_b32_e32 v23, v22
	v_and_b32_e32 v19, v19, v20
	s_delay_alu instid0(VALU_DEP_4) | instskip(SKIP_1) | instid1(VALU_DEP_4)
	v_xor_b32_e32 v20, s16, v21
	v_cmp_gt_i32_e64 s16, 0, v22
	v_ashrrev_i32_e32 v21, 31, v23
	v_not_b32_e32 v22, v18
	s_delay_alu instid0(VALU_DEP_4) | instskip(NEXT) | instid1(VALU_DEP_3)
	v_and_b32_e32 v19, v19, v20
	v_xor_b32_e32 v20, s16, v21
	v_cmp_gt_i32_e64 s16, 0, v18
	s_delay_alu instid0(VALU_DEP_4) | instskip(NEXT) | instid1(VALU_DEP_3)
	v_ashrrev_i32_e32 v18, 31, v22
	v_and_b32_e32 v19, v19, v20
	s_delay_alu instid0(VALU_DEP_2) | instskip(NEXT) | instid1(VALU_DEP_1)
	v_xor_b32_e32 v18, s16, v18
	v_and_b32_e32 v18, v19, v18
	s_delay_alu instid0(VALU_DEP_1) | instskip(SKIP_1) | instid1(VALU_DEP_2)
	v_mbcnt_lo_u32_b32 v243, v18, 0
	v_cmp_ne_u32_e64 s17, 0, v18
	v_cmp_eq_u32_e64 s16, 0, v243
	s_delay_alu instid0(VALU_DEP_1) | instskip(NEXT) | instid1(SALU_CYCLE_1)
	s_and_b32 s17, s17, s16
	s_and_saveexec_b32 s16, s17
	s_cbranch_execz .LBB1746_85
; %bb.84:                               ;   in Loop: Header=BB1746_53 Depth=1
	s_waitcnt vmcnt(0) lgkmcnt(0)
	v_bcnt_u32_b32 v18, v18, v242
	flat_store_b32 v[178:179], v18
.LBB1746_85:                            ;   in Loop: Header=BB1746_53 Depth=1
	s_or_b32 exec_lo, exec_lo, s16
	; wave barrier
	s_waitcnt vmcnt(0) lgkmcnt(0)
	s_waitcnt_vscnt null, 0x0
	s_barrier
	buffer_gl0_inv
	s_clause 0x1
	flat_load_b128 v[22:25], v[48:49] offset:32
	flat_load_b128 v[18:21], v[66:67] offset:16
	s_waitcnt vmcnt(1) lgkmcnt(1)
	v_add_nc_u32_e32 v181, v23, v22
	s_delay_alu instid0(VALU_DEP_1) | instskip(SKIP_1) | instid1(VALU_DEP_1)
	v_add3_u32 v181, v181, v24, v25
	s_waitcnt vmcnt(0) lgkmcnt(0)
	v_add3_u32 v181, v181, v18, v19
	s_delay_alu instid0(VALU_DEP_1) | instskip(NEXT) | instid1(VALU_DEP_1)
	v_add3_u32 v21, v181, v20, v21
	v_mov_b32_dpp v181, v21 row_shr:1 row_mask:0xf bank_mask:0xf
	s_delay_alu instid0(VALU_DEP_1) | instskip(NEXT) | instid1(VALU_DEP_1)
	v_cndmask_b32_e64 v181, v181, 0, vcc_lo
	v_add_nc_u32_e32 v21, v181, v21
	s_delay_alu instid0(VALU_DEP_1) | instskip(NEXT) | instid1(VALU_DEP_1)
	v_mov_b32_dpp v181, v21 row_shr:2 row_mask:0xf bank_mask:0xf
	v_cndmask_b32_e64 v181, 0, v181, s0
	s_delay_alu instid0(VALU_DEP_1) | instskip(NEXT) | instid1(VALU_DEP_1)
	v_add_nc_u32_e32 v21, v21, v181
	v_mov_b32_dpp v181, v21 row_shr:4 row_mask:0xf bank_mask:0xf
	s_delay_alu instid0(VALU_DEP_1) | instskip(NEXT) | instid1(VALU_DEP_1)
	v_cndmask_b32_e64 v181, 0, v181, s1
	v_add_nc_u32_e32 v21, v21, v181
	s_delay_alu instid0(VALU_DEP_1) | instskip(NEXT) | instid1(VALU_DEP_1)
	v_mov_b32_dpp v181, v21 row_shr:8 row_mask:0xf bank_mask:0xf
	v_cndmask_b32_e64 v181, 0, v181, s2
	s_delay_alu instid0(VALU_DEP_1) | instskip(SKIP_3) | instid1(VALU_DEP_1)
	v_add_nc_u32_e32 v21, v21, v181
	ds_swizzle_b32 v181, v21 offset:swizzle(BROADCAST,32,15)
	s_waitcnt lgkmcnt(0)
	v_cndmask_b32_e64 v181, v181, 0, s3
	v_add_nc_u32_e32 v21, v21, v181
	s_and_saveexec_b32 s16, s4
	s_cbranch_execz .LBB1746_87
; %bb.86:                               ;   in Loop: Header=BB1746_53 Depth=1
	flat_store_b32 v[98:99], v21
.LBB1746_87:                            ;   in Loop: Header=BB1746_53 Depth=1
	s_or_b32 exec_lo, exec_lo, s16
	s_waitcnt lgkmcnt(0)
	s_waitcnt_vscnt null, 0x0
	s_barrier
	buffer_gl0_inv
	s_and_saveexec_b32 s16, s5
	s_cbranch_execz .LBB1746_89
; %bb.88:                               ;   in Loop: Header=BB1746_53 Depth=1
	flat_load_b32 v181, v[100:101]
	s_waitcnt vmcnt(0) lgkmcnt(0)
	v_mov_b32_dpp v182, v181 row_shr:1 row_mask:0xf bank_mask:0xf
	s_delay_alu instid0(VALU_DEP_1) | instskip(NEXT) | instid1(VALU_DEP_1)
	v_cndmask_b32_e64 v182, v182, 0, s11
	v_add_nc_u32_e32 v181, v182, v181
	s_delay_alu instid0(VALU_DEP_1) | instskip(NEXT) | instid1(VALU_DEP_1)
	v_mov_b32_dpp v182, v181 row_shr:2 row_mask:0xf bank_mask:0xf
	v_cndmask_b32_e64 v182, 0, v182, s14
	s_delay_alu instid0(VALU_DEP_1) | instskip(NEXT) | instid1(VALU_DEP_1)
	v_add_nc_u32_e32 v181, v181, v182
	v_mov_b32_dpp v182, v181 row_shr:4 row_mask:0xf bank_mask:0xf
	s_delay_alu instid0(VALU_DEP_1) | instskip(NEXT) | instid1(VALU_DEP_1)
	v_cndmask_b32_e64 v182, 0, v182, s15
	v_add_nc_u32_e32 v181, v181, v182
	flat_store_b32 v[100:101], v181
.LBB1746_89:                            ;   in Loop: Header=BB1746_53 Depth=1
	s_or_b32 exec_lo, exec_lo, s16
	v_mov_b32_e32 v181, 0
	s_waitcnt lgkmcnt(0)
	s_waitcnt_vscnt null, 0x0
	s_barrier
	buffer_gl0_inv
	s_and_saveexec_b32 s16, s6
	s_cbranch_execz .LBB1746_91
; %bb.90:                               ;   in Loop: Header=BB1746_53 Depth=1
	flat_load_b32 v181, v[112:113]
.LBB1746_91:                            ;   in Loop: Header=BB1746_53 Depth=1
	s_or_b32 exec_lo, exec_lo, s16
	s_waitcnt vmcnt(0) lgkmcnt(0)
	v_add_nc_u32_e32 v21, v181, v21
	v_add_nc_u32_e32 v10, 8, v10
	s_mov_b32 s18, -1
                                        ; implicit-def: $vgpr141
                                        ; implicit-def: $vgpr139
                                        ; implicit-def: $vgpr140
                                        ; implicit-def: $vgpr121
                                        ; implicit-def: $vgpr120
                                        ; implicit-def: $vgpr111
                                        ; implicit-def: $vgpr110
                                        ; implicit-def: $vgpr122
                                        ; implicit-def: $vgpr124
                                        ; implicit-def: $vgpr123
                                        ; implicit-def: $vgpr125
                                        ; implicit-def: $vgpr126
                                        ; implicit-def: $vgpr127
                                        ; implicit-def: $vgpr136
                                        ; implicit-def: $vgpr137
                                        ; implicit-def: $vgpr138
	v_mov_b32_e32 v183, v5
	ds_bpermute_b32 v21, v76, v21
	s_waitcnt lgkmcnt(0)
	v_cndmask_b32_e64 v21, v21, v181, s7
	v_mov_b32_e32 v181, v5
	s_delay_alu instid0(VALU_DEP_2) | instskip(NEXT) | instid1(VALU_DEP_1)
	v_cndmask_b32_e64 v21, v21, 0, s10
	v_add_nc_u32_e32 v22, v21, v22
	s_delay_alu instid0(VALU_DEP_1) | instskip(NEXT) | instid1(VALU_DEP_1)
	v_add_nc_u32_e32 v23, v22, v23
	v_add_nc_u32_e32 v24, v23, v24
	s_delay_alu instid0(VALU_DEP_1) | instskip(NEXT) | instid1(VALU_DEP_1)
	v_add_nc_u32_e32 v244, v24, v25
	;; [unrolled: 3-line block ×3, first 2 shown]
	v_add_nc_u32_e32 v247, v246, v20
	s_clause 0x1
	flat_store_b128 v[48:49], v[21:24] offset:32
	flat_store_b128 v[66:67], v[244:247] offset:16
	s_waitcnt lgkmcnt(0)
	s_waitcnt_vscnt null, 0x0
	s_barrier
	buffer_gl0_inv
	s_clause 0xf
	flat_load_b32 v18, v[116:117]
	flat_load_b32 v19, v[118:119]
	;; [unrolled: 1-line block ×16, first 2 shown]
	v_mov_b32_e32 v167, v5
	v_mov_b32_e32 v179, v5
	;; [unrolled: 1-line block ×13, first 2 shown]
	v_cmp_lt_u32_e64 s16, v10, v11
	s_waitcnt vmcnt(0) lgkmcnt(0)
	v_add_nc_u32_e32 v4, v18, v4
	v_add3_u32 v182, v180, v39, v19
	v_add3_u32 v180, v193, v192, v20
	;; [unrolled: 1-line block ×4, first 2 shown]
	v_lshlrev_b64 v[18:19], 1, v[4:5]
	v_lshlrev_b64 v[20:21], 1, v[182:183]
	v_add3_u32 v164, v199, v198, v23
	v_lshlrev_b64 v[22:23], 1, v[180:181]
	v_add3_u32 v162, v209, v208, v24
	v_add3_u32 v160, v211, v210, v25
	;; [unrolled: 1-line block ×3, first 2 shown]
	v_add_co_u32 v226, s17, v12, v18
	s_delay_alu instid0(VALU_DEP_1) | instskip(SKIP_3) | instid1(VALU_DEP_1)
	v_add_co_ci_u32_e64 v227, s17, v13, v19, s17
	v_add3_u32 v132, v229, v228, v130
	v_lshlrev_b64 v[24:25], 1, v[178:179]
	v_add_co_u32 v228, s17, v12, v20
	v_add_co_ci_u32_e64 v229, s17, v13, v21, s17
	v_add3_u32 v150, v213, v212, v116
	v_add3_u32 v148, v215, v214, v117
	;; [unrolled: 1-line block ×3, first 2 shown]
	v_lshlrev_b64 v[116:117], 1, v[166:167]
	v_add_co_u32 v230, s17, v12, v22
	s_delay_alu instid0(VALU_DEP_1) | instskip(SKIP_3) | instid1(VALU_DEP_1)
	v_add_co_ci_u32_e64 v231, s17, v13, v23, s17
	v_add3_u32 v128, v241, v240, v135
	v_lshlrev_b64 v[134:135], 1, v[164:165]
	v_add_co_u32 v240, s17, v12, v24
	v_add_co_ci_u32_e64 v241, s17, v13, v25, s17
	v_add3_u32 v146, v225, v224, v118
	v_add3_u32 v118, v243, v242, v176
	v_lshlrev_b64 v[176:177], 1, v[162:163]
	v_add_co_u32 v242, s17, v12, v116
	s_delay_alu instid0(VALU_DEP_1) | instskip(SKIP_2) | instid1(VALU_DEP_1)
	v_add_co_ci_u32_e64 v243, s17, v13, v117, s17
	v_lshlrev_b64 v[192:193], 1, v[160:161]
	v_add_co_u32 v244, s17, v12, v134
	v_add_co_ci_u32_e64 v245, s17, v13, v135, s17
	v_lshlrev_b64 v[194:195], 1, v[150:151]
	v_add_co_u32 v246, s17, v12, v176
	s_delay_alu instid0(VALU_DEP_1) | instskip(SKIP_2) | instid1(VALU_DEP_1)
	v_add_co_ci_u32_e64 v247, s17, v13, v177, s17
	v_lshlrev_b64 v[196:197], 1, v[148:149]
	v_add_co_u32 v39, s17, v12, v192
	v_add_co_ci_u32_e64 v40, s17, v13, v193, s17
	;; [unrolled: 7-line block ×5, first 2 shown]
	v_add_co_u32 v43, s17, v12, v214
	s_delay_alu instid0(VALU_DEP_1) | instskip(SKIP_1) | instid1(VALU_DEP_1)
	v_add_co_ci_u32_e64 v44, s17, v13, v215, s17
	v_add_co_u32 v56, s17, v12, v224
	v_add_co_ci_u32_e64 v57, s17, v13, v225, s17
                                        ; implicit-def: $vgpr22_vgpr23
                                        ; implicit-def: $vgpr18_vgpr19
                                        ; implicit-def: $vgpr20_vgpr21
                                        ; implicit-def: $vgpr24_vgpr25
                                        ; implicit-def: $vgpr116_vgpr117
                                        ; implicit-def: $vgpr134_vgpr135
                                        ; implicit-def: $vgpr176_vgpr177
                                        ; implicit-def: $vgpr192_vgpr193
                                        ; implicit-def: $vgpr194_vgpr195
                                        ; implicit-def: $vgpr196_vgpr197
                                        ; implicit-def: $vgpr198_vgpr199
                                        ; implicit-def: $vgpr208_vgpr209
                                        ; implicit-def: $vgpr210_vgpr211
                                        ; implicit-def: $vgpr212_vgpr213
                                        ; implicit-def: $vgpr214_vgpr215
                                        ; implicit-def: $vgpr224_vgpr225
	s_and_saveexec_b32 s17, s16
	s_cbranch_execz .LBB1746_52
; %bb.92:                               ;   in Loop: Header=BB1746_53 Depth=1
	v_mad_u64_u32 v[18:19], null, v4, 6, v[226:227]
	v_mad_u64_u32 v[20:21], null, v182, 6, v[228:229]
	;; [unrolled: 1-line block ×8, first 2 shown]
	s_barrier
	buffer_gl0_inv
	s_clause 0xf
	flat_store_b16 v[226:227], v78
	flat_store_b16 v[228:229], v79
	;; [unrolled: 1-line block ×16, first 2 shown]
	s_waitcnt lgkmcnt(0)
	s_waitcnt_vscnt null, 0x0
	s_barrier
	buffer_gl0_inv
	s_clause 0xf
	flat_load_u16 v141, v[102:103]
	flat_load_u16 v139, v[102:103] offset:64
	flat_load_u16 v140, v[102:103] offset:128
	;; [unrolled: 1-line block ×15, first 2 shown]
	s_waitcnt vmcnt(0) lgkmcnt(0)
	s_barrier
	buffer_gl0_inv
	s_clause 0x7
	flat_store_b64 v[18:19], v[82:83]
	flat_store_b64 v[20:21], v[96:97]
	;; [unrolled: 1-line block ×8, first 2 shown]
	v_mad_u64_u32 v[18:19], null, v150, 6, v[41:42]
	v_mad_u64_u32 v[20:21], null, v148, 6, v[45:46]
	;; [unrolled: 1-line block ×8, first 2 shown]
	s_clause 0x7
	flat_store_b64 v[18:19], v[54:55]
	flat_store_b64 v[20:21], v[52:53]
	;; [unrolled: 1-line block ×8, first 2 shown]
	s_waitcnt lgkmcnt(0)
	s_waitcnt_vscnt null, 0x0
	s_barrier
	buffer_gl0_inv
	s_clause 0xf
	flat_load_b64 v[22:23], v[114:115]
	flat_load_b64 v[18:19], v[114:115] offset:256
	flat_load_b64 v[20:21], v[114:115] offset:512
	;; [unrolled: 1-line block ×15, first 2 shown]
	v_add_nc_u32_e32 v77, -8, v77
	s_xor_b32 s18, exec_lo, -1
	s_waitcnt vmcnt(0) lgkmcnt(0)
	s_barrier
	buffer_gl0_inv
	s_branch .LBB1746_52
.LBB1746_93:
	s_or_b32 exec_lo, exec_lo, s20
	v_or_b32_e32 v22, 0x800, v34
	v_dual_mov_b32 v27, 0 :: v_dual_lshlrev_b32 v10, 1, v34
	v_or_b32_e32 v24, 0xc00, v34
	v_lshlrev_b64 v[4:5], 3, v[4:5]
	s_delay_alu instid0(VALU_DEP_4) | instskip(NEXT) | instid1(VALU_DEP_4)
	v_lshlrev_b32_e32 v14, 1, v22
	v_add_co_u32 v10, vcc_lo, v12, v10
	v_add_co_ci_u32_e32 v11, vcc_lo, 0, v13, vcc_lo
	s_delay_alu instid0(VALU_DEP_3) | instskip(SKIP_4) | instid1(VALU_DEP_4)
	v_add_co_u32 v14, vcc_lo, v12, v14
	v_lshlrev_b32_e32 v18, 1, v24
	v_add_co_ci_u32_e32 v15, vcc_lo, 0, v13, vcc_lo
	v_add_co_u32 v16, vcc_lo, 0x1000, v10
	v_add_co_ci_u32_e32 v17, vcc_lo, 0, v11, vcc_lo
	v_add_co_u32 v18, vcc_lo, v12, v18
	v_add_co_ci_u32_e32 v19, vcc_lo, 0, v13, vcc_lo
	s_barrier
	buffer_gl0_inv
	s_clause 0xf
	flat_store_b16 v[226:227], v78
	flat_store_b16 v[228:229], v79
	;; [unrolled: 1-line block ×16, first 2 shown]
	s_waitcnt lgkmcnt(0)
	s_waitcnt_vscnt null, 0x0
	s_barrier
	buffer_gl0_inv
	s_clause 0xd
	flat_load_u16 v135, v[10:11]
	flat_load_u16 v134, v[10:11] offset:512
	flat_load_u16 v117, v[10:11] offset:1024
	flat_load_u16 v116, v[10:11] offset:1536
	flat_load_u16 v115, v[10:11] offset:2048
	flat_load_u16 v114, v[10:11] offset:2560
	flat_load_u16 v113, v[10:11] offset:3072
	flat_load_u16 v103, v[10:11] offset:3584
	flat_load_u16 v112, v[14:15]
	flat_load_u16 v102, v[16:17] offset:512
	flat_load_u16 v101, v[16:17] offset:1024
	;; [unrolled: 1-line block ×5, first 2 shown]
	v_add_co_u32 v10, vcc_lo, 0x1e00, v10
	v_lshlrev_b64 v[14:15], 3, v[182:183]
	v_add_co_ci_u32_e32 v11, vcc_lo, 0, v11, vcc_lo
	s_clause 0x1
	flat_load_u16 v99, v[18:19]
	flat_load_u16 v66, v[16:17] offset:3584
	v_add_co_u32 v4, vcc_lo, v12, v4
	v_lshlrev_b64 v[16:17], 3, v[180:181]
	v_add_co_ci_u32_e32 v5, vcc_lo, v13, v5, vcc_lo
	v_add_co_u32 v14, vcc_lo, v12, v14
	v_add_co_ci_u32_e32 v15, vcc_lo, v13, v15, vcc_lo
	s_delay_alu instid0(VALU_DEP_4)
	v_add_co_u32 v16, vcc_lo, v12, v16
	v_add_co_ci_u32_e32 v17, vcc_lo, v13, v17, vcc_lo
	v_lshlrev_b64 v[18:19], 3, v[178:179]
	s_waitcnt vmcnt(0) lgkmcnt(0)
	s_barrier
	buffer_gl0_inv
	s_clause 0x2
	flat_store_b64 v[4:5], v[82:83]
	flat_store_b64 v[14:15], v[96:97]
	;; [unrolled: 1-line block ×3, first 2 shown]
	v_lshlrev_b64 v[4:5], 3, v[166:167]
	v_add_co_u32 v14, vcc_lo, v12, v18
	v_lshlrev_b64 v[16:17], 3, v[164:165]
	v_add_co_ci_u32_e32 v15, vcc_lo, v13, v19, vcc_lo
	s_delay_alu instid0(VALU_DEP_4) | instskip(SKIP_4) | instid1(VALU_DEP_4)
	v_add_co_u32 v4, vcc_lo, v12, v4
	v_lshlrev_b64 v[18:19], 3, v[162:163]
	v_add_co_ci_u32_e32 v5, vcc_lo, v13, v5, vcc_lo
	v_add_co_u32 v16, vcc_lo, v12, v16
	v_add_co_ci_u32_e32 v17, vcc_lo, v13, v17, vcc_lo
	v_add_co_u32 v18, vcc_lo, v12, v18
	v_add_co_ci_u32_e32 v19, vcc_lo, v13, v19, vcc_lo
	flat_store_b64 v[14:15], v[84:85]
	v_lshlrev_b64 v[14:15], 3, v[160:161]
	s_clause 0x2
	flat_store_b64 v[4:5], v[80:81]
	flat_store_b64 v[16:17], v[70:71]
	;; [unrolled: 1-line block ×3, first 2 shown]
	v_lshlrev_b64 v[4:5], 3, v[150:151]
	v_lshlrev_b64 v[16:17], 3, v[148:149]
	;; [unrolled: 1-line block ×4, first 2 shown]
	v_add_co_u32 v14, vcc_lo, v12, v14
	v_add_co_ci_u32_e32 v15, vcc_lo, v13, v15, vcc_lo
	v_add_co_u32 v4, vcc_lo, v12, v4
	v_add_co_ci_u32_e32 v5, vcc_lo, v13, v5, vcc_lo
	;; [unrolled: 2-line block ×4, first 2 shown]
	flat_store_b64 v[14:15], v[64:65]
	v_lshlrev_b64 v[14:15], 3, v[144:145]
	s_clause 0x2
	flat_store_b64 v[4:5], v[54:55]
	flat_store_b64 v[16:17], v[52:53]
	;; [unrolled: 1-line block ×3, first 2 shown]
	v_lshlrev_b64 v[4:5], 3, v[132:133]
	v_lshlrev_b64 v[16:17], 3, v[130:131]
	;; [unrolled: 1-line block ×3, first 2 shown]
	v_add_nc_u32_e32 v25, 0xf00, v34
	v_add_co_u32 v14, vcc_lo, v12, v14
	v_add_co_ci_u32_e32 v15, vcc_lo, v13, v15, vcc_lo
	v_add_co_u32 v4, vcc_lo, v12, v4
	v_add_co_ci_u32_e32 v5, vcc_lo, v13, v5, vcc_lo
	;; [unrolled: 2-line block ×5, first 2 shown]
	s_clause 0x4
	flat_store_b64 v[14:15], v[35:36]
	flat_store_b64 v[4:5], v[32:33]
	;; [unrolled: 1-line block ×5, first 2 shown]
	v_lshlrev_b32_e32 v4, 3, v34
	v_lshl_or_b32 v14, v34, 3, 0x2000
	s_waitcnt lgkmcnt(0)
	s_waitcnt_vscnt null, 0x0
	s_barrier
	buffer_gl0_inv
	v_add_co_u32 v4, vcc_lo, v12, v4
	v_add_co_ci_u32_e32 v5, vcc_lo, 0, v13, vcc_lo
	v_mad_u64_u32 v[54:55], null, v25, 6, v[10:11]
	s_delay_alu instid0(VALU_DEP_3) | instskip(NEXT) | instid1(VALU_DEP_3)
	v_add_co_u32 v8, vcc_lo, 0x1000, v4
	v_add_co_ci_u32_e32 v9, vcc_lo, 0, v5, vcc_lo
	v_add_co_u32 v14, vcc_lo, v12, v14
	v_add_co_ci_u32_e32 v15, vcc_lo, 0, v13, vcc_lo
	v_add_co_u32 v16, vcc_lo, 0x2000, v4
	s_clause 0x3
	flat_load_b64 v[48:49], v[4:5]
	flat_load_b64 v[38:39], v[4:5] offset:2048
	flat_load_b64 v[36:37], v[8:9]
	flat_load_b64 v[34:35], v[8:9] offset:2048
	v_lshlrev_b32_e32 v8, 3, v22
	v_add_co_ci_u32_e32 v17, vcc_lo, 0, v5, vcc_lo
	v_add_co_u32 v18, vcc_lo, 0x3000, v4
	v_add_co_ci_u32_e32 v19, vcc_lo, 0, v5, vcc_lo
	s_delay_alu instid0(VALU_DEP_4)
	v_add_co_u32 v8, vcc_lo, v12, v8
	v_add_co_ci_u32_e32 v9, vcc_lo, 0, v13, vcc_lo
	s_clause 0x3
	flat_load_b64 v[32:33], v[14:15]
	flat_load_b64 v[30:31], v[16:17] offset:2048
	flat_load_b64 v[22:23], v[18:19]
	flat_load_b64 v[18:19], v[18:19] offset:2048
	v_add_co_u32 v14, vcc_lo, 0x4000, v4
	v_lshlrev_b32_e32 v16, 3, v24
	v_add_co_ci_u32_e32 v15, vcc_lo, 0, v5, vcc_lo
	v_add_co_u32 v50, vcc_lo, 0x5000, v4
	v_add_co_ci_u32_e32 v51, vcc_lo, 0, v5, vcc_lo
	s_delay_alu instid0(VALU_DEP_4)
	v_add_co_u32 v12, vcc_lo, v12, v16
	v_add_co_ci_u32_e32 v13, vcc_lo, 0, v13, vcc_lo
	v_add_co_u32 v52, vcc_lo, 0x6000, v4
	v_add_co_ci_u32_e32 v53, vcc_lo, 0, v5, vcc_lo
	;; [unrolled: 2-line block ×3, first 2 shown]
	s_clause 0x7
	flat_load_b64 v[24:25], v[8:9]
	flat_load_b64 v[20:21], v[14:15] offset:2048
	flat_load_b64 v[16:17], v[50:51]
	flat_load_b64 v[14:15], v[50:51] offset:2048
	;; [unrolled: 2-line block ×3, first 2 shown]
	flat_load_b64 v[8:9], v[4:5]
	flat_load_b64 v[4:5], v[54:55]
	v_lshlrev_b64 v[50:51], 1, v[26:27]
	v_add_co_u32 v2, vcc_lo, v2, v28
	v_add_co_ci_u32_e32 v3, vcc_lo, v3, v29, vcc_lo
	s_waitcnt vmcnt(0) lgkmcnt(0)
	s_delay_alu instid0(VALU_DEP_2) | instskip(NEXT) | instid1(VALU_DEP_2)
	v_add_co_u32 v2, vcc_lo, v2, v50
	v_add_co_ci_u32_e32 v3, vcc_lo, v3, v51, vcc_lo
	v_cmp_lt_u32_e32 vcc_lo, v26, v47
	s_barrier
	buffer_gl0_inv
	s_and_saveexec_b32 s1, vcc_lo
	s_cbranch_execz .LBB1746_95
; %bb.94:
	v_cmp_gt_i16_e64 s0, 0, v135
	s_delay_alu instid0(VALU_DEP_1) | instskip(NEXT) | instid1(VALU_DEP_1)
	v_cndmask_b32_e64 v28, 0x7fff, 0, s0
	v_xor_b32_e32 v28, v28, v135
	flat_store_b16 v[2:3], v28
.LBB1746_95:
	s_or_b32 exec_lo, exec_lo, s1
	v_add_nc_u32_e32 v28, 0x100, v26
	s_delay_alu instid0(VALU_DEP_1) | instskip(NEXT) | instid1(VALU_DEP_1)
	v_cmp_lt_u32_e64 s0, v28, v47
	s_and_saveexec_b32 s2, s0
	s_cbranch_execz .LBB1746_97
; %bb.96:
	v_cmp_gt_i16_e64 s1, 0, v134
	s_delay_alu instid0(VALU_DEP_1) | instskip(NEXT) | instid1(VALU_DEP_1)
	v_cndmask_b32_e64 v28, 0x7fff, 0, s1
	v_xor_b32_e32 v28, v28, v134
	flat_store_b16 v[2:3], v28 offset:512
.LBB1746_97:
	s_or_b32 exec_lo, exec_lo, s2
	v_add_nc_u32_e32 v28, 0x200, v26
	s_delay_alu instid0(VALU_DEP_1) | instskip(NEXT) | instid1(VALU_DEP_1)
	v_cmp_lt_u32_e64 s1, v28, v47
	s_and_saveexec_b32 s3, s1
	s_cbranch_execz .LBB1746_99
; %bb.98:
	v_cmp_gt_i16_e64 s2, 0, v117
	s_delay_alu instid0(VALU_DEP_1) | instskip(NEXT) | instid1(VALU_DEP_1)
	v_cndmask_b32_e64 v28, 0x7fff, 0, s2
	v_xor_b32_e32 v28, v28, v117
	flat_store_b16 v[2:3], v28 offset:1024
.LBB1746_99:
	;; [unrolled: 13-line block ×7, first 2 shown]
	s_or_b32 exec_lo, exec_lo, s10
	v_add_nc_u32_e32 v28, 0x800, v26
	s_delay_alu instid0(VALU_DEP_1) | instskip(NEXT) | instid1(VALU_DEP_1)
	v_cmp_lt_u32_e64 s7, v28, v47
	s_and_saveexec_b32 s11, s7
	s_cbranch_execz .LBB1746_111
; %bb.110:
	v_cmp_gt_i16_e64 s10, 0, v112
	s_delay_alu instid0(VALU_DEP_1) | instskip(NEXT) | instid1(VALU_DEP_1)
	v_cndmask_b32_e64 v28, 0x7fff, 0, s10
	v_xor_b32_e32 v50, v28, v112
	v_add_co_u32 v28, s10, 0x1000, v2
	s_delay_alu instid0(VALU_DEP_1)
	v_add_co_ci_u32_e64 v29, s10, 0, v3, s10
	flat_store_b16 v[28:29], v50
.LBB1746_111:
	s_or_b32 exec_lo, exec_lo, s11
	v_add_nc_u32_e32 v28, 0x900, v26
	s_delay_alu instid0(VALU_DEP_1) | instskip(NEXT) | instid1(VALU_DEP_1)
	v_cmp_lt_u32_e64 s10, v28, v47
	s_and_saveexec_b32 s14, s10
	s_cbranch_execz .LBB1746_113
; %bb.112:
	v_cmp_gt_i16_e64 s11, 0, v102
	s_delay_alu instid0(VALU_DEP_1) | instskip(NEXT) | instid1(VALU_DEP_1)
	v_cndmask_b32_e64 v28, 0x7fff, 0, s11
	v_xor_b32_e32 v50, v28, v102
	v_add_co_u32 v28, s11, 0x1000, v2
	s_delay_alu instid0(VALU_DEP_1)
	v_add_co_ci_u32_e64 v29, s11, 0, v3, s11
	flat_store_b16 v[28:29], v50 offset:512
.LBB1746_113:
	s_or_b32 exec_lo, exec_lo, s14
	v_add_nc_u32_e32 v28, 0xa00, v26
	s_delay_alu instid0(VALU_DEP_1) | instskip(NEXT) | instid1(VALU_DEP_1)
	v_cmp_lt_u32_e64 s11, v28, v47
	s_and_saveexec_b32 s15, s11
	s_cbranch_execz .LBB1746_115
; %bb.114:
	v_cmp_gt_i16_e64 s14, 0, v101
	s_delay_alu instid0(VALU_DEP_1) | instskip(NEXT) | instid1(VALU_DEP_1)
	v_cndmask_b32_e64 v28, 0x7fff, 0, s14
	v_xor_b32_e32 v50, v28, v101
	v_add_co_u32 v28, s14, 0x1000, v2
	s_delay_alu instid0(VALU_DEP_1)
	v_add_co_ci_u32_e64 v29, s14, 0, v3, s14
	flat_store_b16 v[28:29], v50 offset:1024
.LBB1746_115:
	;; [unrolled: 16-line block ×6, first 2 shown]
	s_or_b32 exec_lo, exec_lo, s19
	v_add_nc_u32_e32 v28, 0xf00, v26
	s_delay_alu instid0(VALU_DEP_1) | instskip(NEXT) | instid1(VALU_DEP_1)
	v_cmp_lt_u32_e64 s18, v28, v47
	s_and_saveexec_b32 s20, s18
	s_cbranch_execz .LBB1746_125
; %bb.124:
	v_cmp_gt_i16_e64 s19, 0, v66
	s_delay_alu instid0(VALU_DEP_1) | instskip(SKIP_1) | instid1(VALU_DEP_1)
	v_cndmask_b32_e64 v28, 0x7fff, 0, s19
	v_add_co_u32 v2, s19, 0x1000, v2
	v_add_co_ci_u32_e64 v3, s19, 0, v3, s19
	s_delay_alu instid0(VALU_DEP_3)
	v_xor_b32_e32 v28, v28, v66
	flat_store_b16 v[2:3], v28 offset:3584
.LBB1746_125:
	s_or_b32 exec_lo, exec_lo, s20
	v_lshlrev_b64 v[2:3], 3, v[26:27]
	v_add_co_u32 v0, s19, v6, v0
	s_delay_alu instid0(VALU_DEP_1) | instskip(NEXT) | instid1(VALU_DEP_2)
	v_add_co_ci_u32_e64 v1, s19, v7, v1, s19
	v_add_co_u32 v0, s19, v0, v2
	s_delay_alu instid0(VALU_DEP_1)
	v_add_co_ci_u32_e64 v1, s19, v1, v3, s19
	s_and_saveexec_b32 s19, vcc_lo
	s_cbranch_execnz .LBB1746_211
; %bb.126:
	s_or_b32 exec_lo, exec_lo, s19
	s_and_saveexec_b32 s19, s0
	s_cbranch_execnz .LBB1746_212
.LBB1746_127:
	s_or_b32 exec_lo, exec_lo, s19
	s_and_saveexec_b32 s0, s1
	s_cbranch_execnz .LBB1746_213
.LBB1746_128:
	s_or_b32 exec_lo, exec_lo, s0
	s_and_saveexec_b32 s0, s2
	s_cbranch_execnz .LBB1746_214
.LBB1746_129:
	s_or_b32 exec_lo, exec_lo, s0
	s_and_saveexec_b32 s0, s3
	s_cbranch_execnz .LBB1746_215
.LBB1746_130:
	s_or_b32 exec_lo, exec_lo, s0
	s_and_saveexec_b32 s0, s4
	s_cbranch_execnz .LBB1746_216
.LBB1746_131:
	s_or_b32 exec_lo, exec_lo, s0
	s_and_saveexec_b32 s0, s5
	s_cbranch_execnz .LBB1746_217
.LBB1746_132:
	s_or_b32 exec_lo, exec_lo, s0
	s_and_saveexec_b32 s0, s6
	s_cbranch_execnz .LBB1746_218
.LBB1746_133:
	s_or_b32 exec_lo, exec_lo, s0
	s_and_saveexec_b32 s0, s7
	s_cbranch_execnz .LBB1746_219
.LBB1746_134:
	s_or_b32 exec_lo, exec_lo, s0
	s_and_saveexec_b32 s0, s10
	s_cbranch_execnz .LBB1746_220
.LBB1746_135:
	s_or_b32 exec_lo, exec_lo, s0
	s_and_saveexec_b32 s0, s11
	s_cbranch_execnz .LBB1746_221
.LBB1746_136:
	s_or_b32 exec_lo, exec_lo, s0
	s_and_saveexec_b32 s0, s14
	s_cbranch_execnz .LBB1746_222
.LBB1746_137:
	s_or_b32 exec_lo, exec_lo, s0
	s_and_saveexec_b32 s0, s15
	s_cbranch_execnz .LBB1746_223
.LBB1746_138:
	s_or_b32 exec_lo, exec_lo, s0
	s_and_saveexec_b32 s0, s16
	s_cbranch_execnz .LBB1746_224
.LBB1746_139:
	s_or_b32 exec_lo, exec_lo, s0
	s_and_saveexec_b32 s0, s17
	s_cbranch_execnz .LBB1746_225
.LBB1746_140:
	s_or_b32 exec_lo, exec_lo, s0
	s_and_saveexec_b32 s0, s18
	s_cbranch_execz .LBB1746_142
.LBB1746_141:
	v_add_co_u32 v0, vcc_lo, 0x7000, v0
	v_add_co_ci_u32_e32 v1, vcc_lo, 0, v1, vcc_lo
	flat_store_b64 v[0:1], v[4:5] offset:2048
.LBB1746_142:
	s_or_b32 exec_lo, exec_lo, s0
                                        ; implicit-def: $vgpr47
                                        ; implicit-def: $vgpr0
                                        ; implicit-def: $vgpr1
                                        ; implicit-def: $vgpr2
                                        ; implicit-def: $vgpr3
                                        ; implicit-def: $vgpr4
                                        ; implicit-def: $vgpr5
                                        ; implicit-def: $vgpr6
                                        ; implicit-def: $vgpr7
                                        ; implicit-def: $vgpr8
                                        ; implicit-def: $vgpr10
                                        ; implicit-def: $vgpr11
                                        ; implicit-def: $vgpr12
                                        ; implicit-def: $vgpr13
                                        ; implicit-def: $vgpr14
                                        ; implicit-def: $vgpr15
                                        ; implicit-def: $vgpr34
                                        ; implicit-def: $vgpr16
.LBB1746_143:
	s_and_not1_saveexec_b32 s0, s25
	s_cbranch_execz .LBB1746_372
; %bb.144:
	s_mov_b32 s0, exec_lo
	v_cmpx_lt_u32_e32 0x400, v47
	s_xor_b32 s19, exec_lo, s0
	s_cbranch_execz .LBB1746_252
; %bb.145:
	s_load_b64 s[0:1], s[8:9], 0x0
	v_mov_b32_e32 v9, 0
	v_lshlrev_b32_e32 v19, 1, v16
	s_waitcnt lgkmcnt(0)
	s_cmp_lt_u32 s13, s1
	s_cselect_b32 s1, 14, 20
	s_delay_alu instid0(SALU_CYCLE_1) | instskip(SKIP_4) | instid1(SALU_CYCLE_1)
	s_add_u32 s2, s8, s1
	s_addc_u32 s3, s9, 0
	s_cmp_lt_u32 s12, s0
	global_load_u16 v17, v9, s[2:3]
	s_cselect_b32 s0, 12, 18
	s_add_u32 s0, s8, s0
	s_addc_u32 s1, s9, 0
	global_load_u16 v18, v9, s[0:1]
	s_waitcnt vmcnt(1)
	v_mad_u32_u24 v14, v15, v17, v14
	s_waitcnt vmcnt(0)
	s_delay_alu instid0(VALU_DEP_1) | instskip(NEXT) | instid1(VALU_DEP_1)
	v_mad_u64_u32 v[26:27], null, v14, v18, v[34:35]
	v_dual_mov_b32 v27, -1 :: v_dual_lshlrev_b32 v14, 3, v26
	v_lshlrev_b64 v[28:29], 1, v[8:9]
	v_mov_b32_e32 v17, -1
	s_delay_alu instid0(VALU_DEP_3) | instskip(NEXT) | instid1(VALU_DEP_3)
	v_dual_mov_b32 v15, v9 :: v_dual_and_b32 v14, 0xffffff00, v14
	v_add_co_u32 v20, vcc_lo, v0, v28
	s_delay_alu instid0(VALU_DEP_4) | instskip(NEXT) | instid1(VALU_DEP_3)
	v_add_co_ci_u32_e32 v21, vcc_lo, v1, v29, vcc_lo
	v_lshlrev_b64 v[0:1], 1, v[14:15]
	s_delay_alu instid0(VALU_DEP_3) | instskip(SKIP_1) | instid1(VALU_DEP_4)
	v_add_co_u32 v19, vcc_lo, v20, v19
	v_or_b32_e32 v18, v14, v16
	v_add_co_ci_u32_e32 v20, vcc_lo, 0, v21, vcc_lo
	s_delay_alu instid0(VALU_DEP_3) | instskip(NEXT) | instid1(VALU_DEP_3)
	v_add_co_u32 v0, s0, v19, v0
	v_cmp_lt_u32_e32 vcc_lo, v18, v47
	s_delay_alu instid0(VALU_DEP_3)
	v_add_co_ci_u32_e64 v1, s0, v20, v1, s0
	s_and_saveexec_b32 s0, vcc_lo
	s_cbranch_execz .LBB1746_147
; %bb.146:
	flat_load_u16 v27, v[0:1]
.LBB1746_147:
	s_or_b32 exec_lo, exec_lo, s0
	v_or_b32_e32 v19, 32, v18
	s_delay_alu instid0(VALU_DEP_1) | instskip(NEXT) | instid1(VALU_DEP_1)
	v_cmp_lt_u32_e64 s0, v19, v47
	s_and_saveexec_b32 s1, s0
	s_cbranch_execz .LBB1746_149
; %bb.148:
	flat_load_u16 v17, v[0:1] offset:64
.LBB1746_149:
	s_or_b32 exec_lo, exec_lo, s1
	v_or_b32_e32 v19, 64, v18
	v_dual_mov_b32 v30, -1 :: v_dual_mov_b32 v31, -1
	s_delay_alu instid0(VALU_DEP_2) | instskip(NEXT) | instid1(VALU_DEP_1)
	v_cmp_lt_u32_e64 s1, v19, v47
	s_and_saveexec_b32 s2, s1
	s_cbranch_execz .LBB1746_151
; %bb.150:
	flat_load_u16 v31, v[0:1] offset:128
.LBB1746_151:
	s_or_b32 exec_lo, exec_lo, s2
	v_or_b32_e32 v19, 0x60, v18
	s_delay_alu instid0(VALU_DEP_1) | instskip(NEXT) | instid1(VALU_DEP_1)
	v_cmp_lt_u32_e64 s2, v19, v47
	s_and_saveexec_b32 s3, s2
	s_cbranch_execz .LBB1746_153
; %bb.152:
	flat_load_u16 v30, v[0:1] offset:192
.LBB1746_153:
	s_or_b32 exec_lo, exec_lo, s3
	v_or_b32_e32 v19, 0x80, v18
	v_dual_mov_b32 v32, -1 :: v_dual_mov_b32 v33, -1
	s_delay_alu instid0(VALU_DEP_2) | instskip(NEXT) | instid1(VALU_DEP_1)
	v_cmp_lt_u32_e64 s3, v19, v47
	s_and_saveexec_b32 s4, s3
	s_cbranch_execz .LBB1746_155
; %bb.154:
	flat_load_u16 v33, v[0:1] offset:256
.LBB1746_155:
	;; [unrolled: 19-line block ×3, first 2 shown]
	s_or_b32 exec_lo, exec_lo, s6
	v_or_b32_e32 v18, 0xe0, v18
	s_delay_alu instid0(VALU_DEP_1) | instskip(NEXT) | instid1(VALU_DEP_1)
	v_cmp_lt_u32_e64 s6, v18, v47
	s_and_saveexec_b32 s7, s6
	s_cbranch_execz .LBB1746_161
; %bb.160:
	flat_load_u16 v35, v[0:1] offset:448
.LBB1746_161:
	s_or_b32 exec_lo, exec_lo, s7
	v_lshlrev_b64 v[0:1], 3, v[8:9]
	v_lshlrev_b32_e32 v8, 3, v16
                                        ; implicit-def: $vgpr20_vgpr21
	s_delay_alu instid0(VALU_DEP_2) | instskip(NEXT) | instid1(VALU_DEP_1)
	v_add_co_u32 v9, s7, v4, v0
	v_add_co_ci_u32_e64 v18, s7, v5, v1, s7
	v_lshlrev_b64 v[4:5], 3, v[14:15]
	s_delay_alu instid0(VALU_DEP_3) | instskip(NEXT) | instid1(VALU_DEP_1)
	v_add_co_u32 v8, s7, v9, v8
	v_add_co_ci_u32_e64 v9, s7, 0, v18, s7
	s_delay_alu instid0(VALU_DEP_2) | instskip(NEXT) | instid1(VALU_DEP_1)
	v_add_co_u32 v4, s7, v8, v4
	v_add_co_ci_u32_e64 v5, s7, v9, v5, s7
	s_and_saveexec_b32 s7, vcc_lo
	s_cbranch_execnz .LBB1746_285
; %bb.162:
	s_or_b32 exec_lo, exec_lo, s7
                                        ; implicit-def: $vgpr24_vgpr25
	s_and_saveexec_b32 s7, s0
	s_cbranch_execnz .LBB1746_286
.LBB1746_163:
	s_or_b32 exec_lo, exec_lo, s7
                                        ; implicit-def: $vgpr84_vgpr85
	s_and_saveexec_b32 s0, s1
	s_cbranch_execnz .LBB1746_287
.LBB1746_164:
	s_or_b32 exec_lo, exec_lo, s0
                                        ; implicit-def: $vgpr86_vgpr87
	s_and_saveexec_b32 s0, s2
	s_cbranch_execnz .LBB1746_288
.LBB1746_165:
	s_or_b32 exec_lo, exec_lo, s0
                                        ; implicit-def: $vgpr96_vgpr97
	s_and_saveexec_b32 s0, s3
	s_cbranch_execnz .LBB1746_289
.LBB1746_166:
	s_or_b32 exec_lo, exec_lo, s0
                                        ; implicit-def: $vgpr98_vgpr99
	s_and_saveexec_b32 s0, s4
	s_cbranch_execnz .LBB1746_290
.LBB1746_167:
	s_or_b32 exec_lo, exec_lo, s0
                                        ; implicit-def: $vgpr18_vgpr19
	s_and_saveexec_b32 s0, s5
	s_cbranch_execnz .LBB1746_291
.LBB1746_168:
	s_or_b32 exec_lo, exec_lo, s0
                                        ; implicit-def: $vgpr22_vgpr23
	s_and_saveexec_b32 s0, s6
	s_cbranch_execz .LBB1746_170
.LBB1746_169:
	flat_load_b64 v[22:23], v[4:5] offset:1792
.LBB1746_170:
	s_or_b32 exec_lo, exec_lo, s0
	s_waitcnt vmcnt(0) lgkmcnt(0)
	v_cmp_gt_i16_e32 vcc_lo, 0, v27
	s_mov_b32 s20, 0
	s_getpc_b64 s[0:1]
	s_add_u32 s0, s0, _ZN7rocprim17ROCPRIM_400000_NS16block_radix_sortI6__halfLj256ELj8ElLj1ELj1ELj8ELNS0_26block_radix_rank_algorithmE2ELNS0_18block_padding_hintE2ELNS0_4arch9wavefront6targetE0EE19radix_bits_per_passE@rel32@lo+4
	s_addc_u32 s1, s1, _ZN7rocprim17ROCPRIM_400000_NS16block_radix_sortI6__halfLj256ELj8ElLj1ELj1ELj8ELNS0_26block_radix_rank_algorithmE2ELNS0_18block_padding_hintE2ELNS0_4arch9wavefront6targetE0EE19radix_bits_per_passE@rel32@hi+12
	s_mov_b32 s21, s20
	s_mov_b32 s22, s20
	v_cndmask_b32_e64 v4, 0x7fff, 0, vcc_lo
	v_cmp_gt_i16_e32 vcc_lo, 0, v17
	s_mov_b32 s23, s20
	v_and_b32_e32 v15, 15, v16
	v_lshlrev_b32_e32 v14, 3, v34
	v_xor_b32_e32 v181, v4, v27
	v_cndmask_b32_e64 v5, 0x7fff, 0, vcc_lo
	v_cmp_gt_i16_e32 vcc_lo, 0, v31
	s_load_b32 s25, s[0:1], 0x0
	v_cmp_lt_u32_e64 s0, 1, v15
	v_cmp_lt_u32_e64 s1, 3, v15
	v_xor_b32_e32 v101, v5, v17
	v_cndmask_b32_e64 v8, 0x7fff, 0, vcc_lo
	v_cmp_gt_i16_e32 vcc_lo, 0, v30
	v_and_b32_e32 v17, 0x3e0, v34
	v_cmp_lt_u32_e64 s2, 7, v15
	v_cmp_eq_u32_e64 s7, 0, v16
	v_xor_b32_e32 v113, v8, v31
	v_cndmask_b32_e64 v9, 0x7fff, 0, vcc_lo
	v_cmp_gt_i16_e32 vcc_lo, 0, v33
	v_and_b32_e32 v37, 7, v16
	v_lshrrev_b32_e32 v135, 5, v26
	v_cmp_gt_u32_e64 s5, 8, v34
	v_xor_b32_e32 v103, v9, v30
	v_cndmask_b32_e64 v4, 0x7fff, 0, vcc_lo
	v_cmp_gt_i16_e32 vcc_lo, 0, v32
	v_cmp_lt_u32_e64 s14, 1, v37
	v_cmp_lt_u32_e64 s15, 3, v37
	;; [unrolled: 1-line block ×3, first 2 shown]
	v_xor_b32_e32 v115, v4, v33
	v_cndmask_b32_e64 v5, 0x7fff, 0, vcc_lo
	v_cmp_gt_i16_e32 vcc_lo, 0, v36
	v_lshlrev_b32_e32 v4, 5, v34
	v_cmp_eq_u32_e64 s10, 0, v34
	v_sub_nc_u32_e32 v163, v11, v10
	v_xor_b32_e32 v117, v5, v32
	v_mov_b32_e32 v5, 0
	v_cndmask_b32_e64 v8, 0x7fff, 0, vcc_lo
	v_cmp_gt_i16_e32 vcc_lo, 0, v35
	v_add_nc_u32_e32 v32, -1, v16
	s_waitcnt lgkmcnt(0)
	s_waitcnt_vscnt null, 0x0
	s_barrier
	v_xor_b32_e32 v119, v8, v36
	v_cndmask_b32_e64 v9, 0x7fff, 0, vcc_lo
	v_add_co_u32 v27, vcc_lo, v12, 32
	v_add_co_ci_u32_e32 v39, vcc_lo, 0, v13, vcc_lo
	v_add_co_u32 v8, vcc_lo, v12, v4
	s_delay_alu instid0(VALU_DEP_4)
	v_xor_b32_e32 v180, v9, v35
	v_add_co_ci_u32_e32 v9, vcc_lo, 0, v13, vcc_lo
	v_add_co_u32 v30, vcc_lo, v27, v4
	v_min_u32_e32 v4, 0xe0, v17
	v_and_b32_e32 v17, 16, v16
	v_cmp_gt_i32_e64 s4, 0, v32
	v_add_co_ci_u32_e32 v31, vcc_lo, 0, v39, vcc_lo
	s_delay_alu instid0(VALU_DEP_4) | instskip(NEXT) | instid1(VALU_DEP_4)
	v_or_b32_e32 v4, 31, v4
	v_cmp_eq_u32_e64 s3, 0, v17
	v_lshrrev_b32_e32 v17, 5, v34
	v_cmp_eq_u32_e32 vcc_lo, 0, v15
	v_cndmask_b32_e64 v15, v32, v16, s4
	v_cmp_eq_u32_e64 s4, v4, v34
	v_and_or_b32 v16, 0x1f00, v14, v16
	v_lshlrev_b32_e32 v4, 2, v17
	buffer_gl0_inv
	v_lshlrev_b32_e32 v162, 2, v15
	v_lshlrev_b32_e32 v15, 2, v34
	v_add_co_u32 v32, s11, v12, v4
	v_add_nc_u32_e32 v4, -1, v17
	v_lshlrev_b32_e32 v17, 1, v16
	v_add_co_ci_u32_e64 v33, s11, 0, v13, s11
	v_add_co_u32 v35, s11, v12, v15
	s_delay_alu instid0(VALU_DEP_1) | instskip(SKIP_4) | instid1(VALU_DEP_2)
	v_add_co_ci_u32_e64 v36, s11, 0, v13, s11
	v_cmp_eq_u32_e64 s11, 0, v37
	v_add_co_u32 v37, s16, v12, v17
	v_lshlrev_b64 v[14:15], 2, v[4:5]
	v_add_co_ci_u32_e64 v38, s16, 0, v13, s16
	v_add_co_u32 v48, s16, v12, v14
	s_delay_alu instid0(VALU_DEP_2) | instskip(NEXT) | instid1(VALU_DEP_4)
	v_mad_u64_u32 v[50:51], null, v16, 6, v[37:38]
	v_add_co_ci_u32_e64 v49, s16, v13, v15, s16
	v_dual_mov_b32 v14, s20 :: v_dual_mov_b32 v17, s23
	v_dual_mov_b32 v15, s21 :: v_dual_mov_b32 v16, s22
	s_branch .LBB1746_172
.LBB1746_171:                           ;   in Loop: Header=BB1746_172 Depth=1
	s_or_b32 exec_lo, exec_lo, s17
	s_delay_alu instid0(SALU_CYCLE_1) | instskip(NEXT) | instid1(SALU_CYCLE_1)
	s_and_b32 s16, exec_lo, s18
	s_or_b32 s20, s16, s20
	s_delay_alu instid0(SALU_CYCLE_1)
	s_and_not1_b32 exec_lo, exec_lo, s20
	s_cbranch_execz .LBB1746_226
.LBB1746_172:                           ; =>This Inner Loop Header: Depth=1
	v_mov_b32_e32 v164, v181
	v_dual_mov_b32 v64, v86 :: v_dual_mov_b32 v65, v87
	v_min_u32_e32 v4, s25, v163
	v_mov_b32_e32 v66, v84
	s_delay_alu instid0(VALU_DEP_4) | instskip(SKIP_1) | instid1(VALU_DEP_4)
	v_cmp_ne_u16_e64 s16, 0x8000, v164
	v_dual_mov_b32 v178, v103 :: v_dual_mov_b32 v179, v180
	v_lshlrev_b32_e64 v4, v4, -1
	s_clause 0x1
	flat_store_b128 v[8:9], v[14:17] offset:32
	flat_store_b128 v[30:31], v[14:17] offset:16
	v_cndmask_b32_e64 v52, 0x7fff, v164, s16
	s_waitcnt lgkmcnt(0)
	s_waitcnt_vscnt null, 0x0
	s_barrier
	v_not_b32_e32 v114, v4
	buffer_gl0_inv
	v_dual_mov_b32 v71, v21 :: v_dual_and_b32 v52, 0xffff, v52
	v_dual_mov_b32 v70, v20 :: v_dual_mov_b32 v69, v25
	v_dual_mov_b32 v68, v24 :: v_dual_mov_b32 v67, v85
	s_delay_alu instid0(VALU_DEP_3) | instskip(SKIP_1) | instid1(VALU_DEP_2)
	v_lshrrev_b32_e32 v4, v10, v52
	; wave barrier
	v_mov_b32_e32 v165, v113
	v_dual_mov_b32 v177, v115 :: v_dual_and_b32 v4, v4, v114
	v_dual_mov_b32 v54, v96 :: v_dual_mov_b32 v55, v97
	v_mov_b32_e32 v52, v98
	v_mov_b32_e32 v176, v117
	s_delay_alu instid0(VALU_DEP_4)
	v_and_b32_e32 v20, 1, v4
	v_lshlrev_b32_e32 v21, 30, v4
	v_lshlrev_b32_e32 v24, 29, v4
	;; [unrolled: 1-line block ×4, first 2 shown]
	v_add_co_u32 v20, s16, v20, -1
	s_delay_alu instid0(VALU_DEP_1)
	v_cndmask_b32_e64 v80, 0, 1, s16
	v_not_b32_e32 v84, v21
	v_cmp_gt_i32_e64 s17, 0, v21
	v_not_b32_e32 v21, v24
	v_lshlrev_b32_e32 v82, 26, v4
	v_cmp_ne_u32_e64 s16, 0, v80
	v_ashrrev_i32_e32 v80, 31, v84
	v_lshlrev_b32_e32 v83, 25, v4
	v_ashrrev_i32_e32 v21, 31, v21
	v_lshlrev_b32_e32 v85, 24, v4
	v_xor_b32_e32 v20, s16, v20
	v_cmp_gt_i32_e64 s16, 0, v24
	v_not_b32_e32 v24, v25
	v_xor_b32_e32 v80, s17, v80
	v_cmp_gt_i32_e64 s17, 0, v25
	v_and_b32_e32 v20, exec_lo, v20
	v_not_b32_e32 v25, v81
	v_ashrrev_i32_e32 v24, 31, v24
	v_xor_b32_e32 v21, s16, v21
	v_cmp_gt_i32_e64 s16, 0, v81
	v_dual_mov_b32 v167, v119 :: v_dual_and_b32 v20, v20, v80
	v_not_b32_e32 v80, v82
	v_ashrrev_i32_e32 v25, 31, v25
	v_xor_b32_e32 v24, s17, v24
	s_delay_alu instid0(VALU_DEP_4) | instskip(SKIP_3) | instid1(VALU_DEP_4)
	v_and_b32_e32 v20, v20, v21
	v_cmp_gt_i32_e64 s17, 0, v82
	v_ashrrev_i32_e32 v80, 31, v80
	v_xor_b32_e32 v25, s16, v25
	v_dual_mov_b32 v53, v99 :: v_dual_and_b32 v20, v20, v24
	s_delay_alu instid0(VALU_DEP_3) | instskip(SKIP_1) | instid1(VALU_DEP_3)
	v_xor_b32_e32 v82, s17, v80
	v_dual_mov_b32 v81, v19 :: v_dual_mov_b32 v80, v18
	v_and_b32_e32 v20, v20, v25
	v_not_b32_e32 v21, v83
	v_cmp_gt_i32_e64 s16, 0, v83
	s_delay_alu instid0(VALU_DEP_3) | instskip(NEXT) | instid1(VALU_DEP_3)
	v_dual_mov_b32 v83, v23 :: v_dual_and_b32 v20, v20, v82
	v_ashrrev_i32_e32 v21, 31, v21
	v_mov_b32_e32 v82, v22
	v_not_b32_e32 v24, v85
	v_cmp_gt_i32_e64 s17, 0, v85
	s_delay_alu instid0(VALU_DEP_4) | instskip(SKIP_1) | instid1(VALU_DEP_4)
	v_xor_b32_e32 v19, s16, v21
	v_mov_b32_e32 v166, v101
	v_ashrrev_i32_e32 v18, 31, v24
	s_delay_alu instid0(VALU_DEP_3) | instskip(NEXT) | instid1(VALU_DEP_2)
	v_and_b32_e32 v19, v20, v19
	v_xor_b32_e32 v18, s17, v18
	s_delay_alu instid0(VALU_DEP_1) | instskip(SKIP_1) | instid1(VALU_DEP_2)
	v_and_b32_e32 v18, v19, v18
	v_lshlrev_b32_e32 v19, 3, v4
	v_mbcnt_lo_u32_b32 v4, v18, 0
	s_delay_alu instid0(VALU_DEP_2) | instskip(SKIP_1) | instid1(VALU_DEP_3)
	v_add_lshl_u32 v19, v19, v135, 2
	v_cmp_ne_u32_e64 s16, 0, v18
	v_cmp_eq_u32_e64 s17, 0, v4
	s_delay_alu instid0(VALU_DEP_3) | instskip(NEXT) | instid1(VALU_DEP_1)
	v_add_co_u32 v84, s18, v27, v19
	v_add_co_ci_u32_e64 v85, s18, 0, v39, s18
	s_delay_alu instid0(VALU_DEP_3) | instskip(NEXT) | instid1(SALU_CYCLE_1)
	s_and_b32 s17, s16, s17
	s_and_saveexec_b32 s16, s17
	s_cbranch_execz .LBB1746_174
; %bb.173:                              ;   in Loop: Header=BB1746_172 Depth=1
	v_bcnt_u32_b32 v18, v18, 0
	flat_store_b32 v[84:85], v18
.LBB1746_174:                           ;   in Loop: Header=BB1746_172 Depth=1
	s_or_b32 exec_lo, exec_lo, s16
	v_cmp_ne_u16_e64 s16, 0x8000, v166
	; wave barrier
	s_delay_alu instid0(VALU_DEP_1) | instskip(NEXT) | instid1(VALU_DEP_1)
	v_cndmask_b32_e64 v18, 0x7fff, v166, s16
	v_and_b32_e32 v18, 0xffff, v18
	s_delay_alu instid0(VALU_DEP_1) | instskip(NEXT) | instid1(VALU_DEP_1)
	v_lshrrev_b32_e32 v18, v10, v18
	v_and_b32_e32 v18, v18, v114
	s_delay_alu instid0(VALU_DEP_1) | instskip(SKIP_3) | instid1(VALU_DEP_4)
	v_lshlrev_b32_e32 v19, 3, v18
	v_lshlrev_b32_e32 v21, 30, v18
	;; [unrolled: 1-line block ×4, first 2 shown]
	v_add_lshl_u32 v19, v19, v135, 2
	s_delay_alu instid0(VALU_DEP_1) | instskip(NEXT) | instid1(VALU_DEP_1)
	v_add_co_u32 v86, s16, v27, v19
	v_add_co_ci_u32_e64 v87, s16, 0, v39, s16
	v_and_b32_e32 v19, 1, v18
	flat_load_b32 v116, v[86:87]
	v_add_co_u32 v19, s16, v19, -1
	s_delay_alu instid0(VALU_DEP_1) | instskip(NEXT) | instid1(VALU_DEP_1)
	v_cndmask_b32_e64 v20, 0, 1, s16
	; wave barrier
	v_cmp_ne_u32_e64 s16, 0, v20
	v_not_b32_e32 v20, v21
	s_delay_alu instid0(VALU_DEP_2) | instskip(SKIP_1) | instid1(VALU_DEP_3)
	v_xor_b32_e32 v19, s16, v19
	v_cmp_gt_i32_e64 s16, 0, v21
	v_ashrrev_i32_e32 v20, 31, v20
	v_not_b32_e32 v21, v22
	s_delay_alu instid0(VALU_DEP_4) | instskip(NEXT) | instid1(VALU_DEP_3)
	v_and_b32_e32 v19, exec_lo, v19
	v_xor_b32_e32 v20, s16, v20
	v_cmp_gt_i32_e64 s16, 0, v22
	s_delay_alu instid0(VALU_DEP_4) | instskip(SKIP_1) | instid1(VALU_DEP_4)
	v_ashrrev_i32_e32 v21, 31, v21
	v_not_b32_e32 v22, v23
	v_and_b32_e32 v19, v19, v20
	v_lshlrev_b32_e32 v20, 27, v18
	s_delay_alu instid0(VALU_DEP_4) | instskip(SKIP_2) | instid1(VALU_DEP_4)
	v_xor_b32_e32 v21, s16, v21
	v_cmp_gt_i32_e64 s16, 0, v23
	v_ashrrev_i32_e32 v22, 31, v22
	v_not_b32_e32 v23, v20
	s_delay_alu instid0(VALU_DEP_4) | instskip(SKIP_1) | instid1(VALU_DEP_4)
	v_and_b32_e32 v19, v19, v21
	v_lshlrev_b32_e32 v21, 26, v18
	v_xor_b32_e32 v22, s16, v22
	v_cmp_gt_i32_e64 s16, 0, v20
	v_ashrrev_i32_e32 v20, 31, v23
	s_delay_alu instid0(VALU_DEP_4) | instskip(NEXT) | instid1(VALU_DEP_4)
	v_not_b32_e32 v23, v21
	v_and_b32_e32 v19, v19, v22
	v_lshlrev_b32_e32 v22, 25, v18
	s_delay_alu instid0(VALU_DEP_4)
	v_xor_b32_e32 v20, s16, v20
	v_cmp_gt_i32_e64 s16, 0, v21
	v_ashrrev_i32_e32 v21, 31, v23
	v_lshlrev_b32_e32 v18, 24, v18
	v_not_b32_e32 v23, v22
	v_and_b32_e32 v19, v19, v20
	s_delay_alu instid0(VALU_DEP_4) | instskip(SKIP_1) | instid1(VALU_DEP_4)
	v_xor_b32_e32 v20, s16, v21
	v_cmp_gt_i32_e64 s16, 0, v22
	v_ashrrev_i32_e32 v21, 31, v23
	v_not_b32_e32 v22, v18
	s_delay_alu instid0(VALU_DEP_4) | instskip(NEXT) | instid1(VALU_DEP_3)
	v_and_b32_e32 v19, v19, v20
	v_xor_b32_e32 v20, s16, v21
	v_cmp_gt_i32_e64 s16, 0, v18
	s_delay_alu instid0(VALU_DEP_4) | instskip(NEXT) | instid1(VALU_DEP_3)
	v_ashrrev_i32_e32 v18, 31, v22
	v_and_b32_e32 v19, v19, v20
	s_delay_alu instid0(VALU_DEP_2) | instskip(NEXT) | instid1(VALU_DEP_1)
	v_xor_b32_e32 v18, s16, v18
	v_and_b32_e32 v18, v19, v18
	s_delay_alu instid0(VALU_DEP_1) | instskip(SKIP_1) | instid1(VALU_DEP_2)
	v_mbcnt_lo_u32_b32 v118, v18, 0
	v_cmp_ne_u32_e64 s17, 0, v18
	v_cmp_eq_u32_e64 s16, 0, v118
	s_delay_alu instid0(VALU_DEP_1) | instskip(NEXT) | instid1(SALU_CYCLE_1)
	s_and_b32 s17, s17, s16
	s_and_saveexec_b32 s16, s17
	s_cbranch_execz .LBB1746_176
; %bb.175:                              ;   in Loop: Header=BB1746_172 Depth=1
	s_waitcnt vmcnt(0) lgkmcnt(0)
	v_bcnt_u32_b32 v18, v18, v116
	flat_store_b32 v[86:87], v18
.LBB1746_176:                           ;   in Loop: Header=BB1746_172 Depth=1
	s_or_b32 exec_lo, exec_lo, s16
	v_cmp_ne_u16_e64 s16, 0x8000, v165
	; wave barrier
	s_delay_alu instid0(VALU_DEP_1) | instskip(NEXT) | instid1(VALU_DEP_1)
	v_cndmask_b32_e64 v18, 0x7fff, v165, s16
	v_and_b32_e32 v18, 0xffff, v18
	s_delay_alu instid0(VALU_DEP_1) | instskip(NEXT) | instid1(VALU_DEP_1)
	v_lshrrev_b32_e32 v18, v10, v18
	v_and_b32_e32 v18, v18, v114
	s_delay_alu instid0(VALU_DEP_1) | instskip(SKIP_3) | instid1(VALU_DEP_4)
	v_lshlrev_b32_e32 v19, 3, v18
	v_lshlrev_b32_e32 v21, 30, v18
	;; [unrolled: 1-line block ×4, first 2 shown]
	v_add_lshl_u32 v19, v19, v135, 2
	s_delay_alu instid0(VALU_DEP_1) | instskip(NEXT) | instid1(VALU_DEP_1)
	v_add_co_u32 v96, s16, v27, v19
	v_add_co_ci_u32_e64 v97, s16, 0, v39, s16
	v_and_b32_e32 v19, 1, v18
	flat_load_b32 v128, v[96:97]
	v_add_co_u32 v19, s16, v19, -1
	s_delay_alu instid0(VALU_DEP_1) | instskip(NEXT) | instid1(VALU_DEP_1)
	v_cndmask_b32_e64 v20, 0, 1, s16
	; wave barrier
	v_cmp_ne_u32_e64 s16, 0, v20
	v_not_b32_e32 v20, v21
	s_delay_alu instid0(VALU_DEP_2) | instskip(SKIP_1) | instid1(VALU_DEP_3)
	v_xor_b32_e32 v19, s16, v19
	v_cmp_gt_i32_e64 s16, 0, v21
	v_ashrrev_i32_e32 v20, 31, v20
	v_not_b32_e32 v21, v22
	s_delay_alu instid0(VALU_DEP_4) | instskip(NEXT) | instid1(VALU_DEP_3)
	v_and_b32_e32 v19, exec_lo, v19
	v_xor_b32_e32 v20, s16, v20
	v_cmp_gt_i32_e64 s16, 0, v22
	s_delay_alu instid0(VALU_DEP_4) | instskip(SKIP_1) | instid1(VALU_DEP_4)
	v_ashrrev_i32_e32 v21, 31, v21
	v_not_b32_e32 v22, v23
	v_and_b32_e32 v19, v19, v20
	v_lshlrev_b32_e32 v20, 27, v18
	s_delay_alu instid0(VALU_DEP_4) | instskip(SKIP_2) | instid1(VALU_DEP_4)
	v_xor_b32_e32 v21, s16, v21
	v_cmp_gt_i32_e64 s16, 0, v23
	v_ashrrev_i32_e32 v22, 31, v22
	v_not_b32_e32 v23, v20
	s_delay_alu instid0(VALU_DEP_4) | instskip(SKIP_1) | instid1(VALU_DEP_4)
	v_and_b32_e32 v19, v19, v21
	v_lshlrev_b32_e32 v21, 26, v18
	v_xor_b32_e32 v22, s16, v22
	v_cmp_gt_i32_e64 s16, 0, v20
	v_ashrrev_i32_e32 v20, 31, v23
	s_delay_alu instid0(VALU_DEP_4) | instskip(NEXT) | instid1(VALU_DEP_4)
	v_not_b32_e32 v23, v21
	v_and_b32_e32 v19, v19, v22
	v_lshlrev_b32_e32 v22, 25, v18
	s_delay_alu instid0(VALU_DEP_4)
	v_xor_b32_e32 v20, s16, v20
	v_cmp_gt_i32_e64 s16, 0, v21
	v_ashrrev_i32_e32 v21, 31, v23
	v_lshlrev_b32_e32 v18, 24, v18
	v_not_b32_e32 v23, v22
	v_and_b32_e32 v19, v19, v20
	s_delay_alu instid0(VALU_DEP_4) | instskip(SKIP_1) | instid1(VALU_DEP_4)
	v_xor_b32_e32 v20, s16, v21
	v_cmp_gt_i32_e64 s16, 0, v22
	v_ashrrev_i32_e32 v21, 31, v23
	v_not_b32_e32 v22, v18
	s_delay_alu instid0(VALU_DEP_4) | instskip(NEXT) | instid1(VALU_DEP_3)
	v_and_b32_e32 v19, v19, v20
	v_xor_b32_e32 v20, s16, v21
	v_cmp_gt_i32_e64 s16, 0, v18
	s_delay_alu instid0(VALU_DEP_4) | instskip(NEXT) | instid1(VALU_DEP_3)
	v_ashrrev_i32_e32 v18, 31, v22
	v_and_b32_e32 v19, v19, v20
	s_delay_alu instid0(VALU_DEP_2) | instskip(NEXT) | instid1(VALU_DEP_1)
	v_xor_b32_e32 v18, s16, v18
	v_and_b32_e32 v18, v19, v18
	s_delay_alu instid0(VALU_DEP_1) | instskip(SKIP_1) | instid1(VALU_DEP_2)
	v_mbcnt_lo_u32_b32 v130, v18, 0
	v_cmp_ne_u32_e64 s17, 0, v18
	v_cmp_eq_u32_e64 s16, 0, v130
	s_delay_alu instid0(VALU_DEP_1) | instskip(NEXT) | instid1(SALU_CYCLE_1)
	s_and_b32 s17, s17, s16
	s_and_saveexec_b32 s16, s17
	s_cbranch_execz .LBB1746_178
; %bb.177:                              ;   in Loop: Header=BB1746_172 Depth=1
	s_waitcnt vmcnt(0) lgkmcnt(0)
	v_bcnt_u32_b32 v18, v18, v128
	flat_store_b32 v[96:97], v18
.LBB1746_178:                           ;   in Loop: Header=BB1746_172 Depth=1
	s_or_b32 exec_lo, exec_lo, s16
	v_cmp_ne_u16_e64 s16, 0x8000, v178
	; wave barrier
	s_delay_alu instid0(VALU_DEP_1) | instskip(NEXT) | instid1(VALU_DEP_1)
	v_cndmask_b32_e64 v18, 0x7fff, v178, s16
	v_and_b32_e32 v18, 0xffff, v18
	s_delay_alu instid0(VALU_DEP_1) | instskip(NEXT) | instid1(VALU_DEP_1)
	v_lshrrev_b32_e32 v18, v10, v18
	v_and_b32_e32 v18, v18, v114
	s_delay_alu instid0(VALU_DEP_1) | instskip(SKIP_3) | instid1(VALU_DEP_4)
	v_lshlrev_b32_e32 v19, 3, v18
	v_lshlrev_b32_e32 v21, 30, v18
	;; [unrolled: 1-line block ×4, first 2 shown]
	v_add_lshl_u32 v19, v19, v135, 2
	s_delay_alu instid0(VALU_DEP_1) | instskip(NEXT) | instid1(VALU_DEP_1)
	v_add_co_u32 v98, s16, v27, v19
	v_add_co_ci_u32_e64 v99, s16, 0, v39, s16
	v_and_b32_e32 v19, 1, v18
	flat_load_b32 v131, v[98:99]
	v_add_co_u32 v19, s16, v19, -1
	s_delay_alu instid0(VALU_DEP_1) | instskip(NEXT) | instid1(VALU_DEP_1)
	v_cndmask_b32_e64 v20, 0, 1, s16
	; wave barrier
	v_cmp_ne_u32_e64 s16, 0, v20
	v_not_b32_e32 v20, v21
	s_delay_alu instid0(VALU_DEP_2) | instskip(SKIP_1) | instid1(VALU_DEP_3)
	v_xor_b32_e32 v19, s16, v19
	v_cmp_gt_i32_e64 s16, 0, v21
	v_ashrrev_i32_e32 v20, 31, v20
	v_not_b32_e32 v21, v22
	s_delay_alu instid0(VALU_DEP_4) | instskip(NEXT) | instid1(VALU_DEP_3)
	v_and_b32_e32 v19, exec_lo, v19
	v_xor_b32_e32 v20, s16, v20
	v_cmp_gt_i32_e64 s16, 0, v22
	s_delay_alu instid0(VALU_DEP_4) | instskip(SKIP_1) | instid1(VALU_DEP_4)
	v_ashrrev_i32_e32 v21, 31, v21
	v_not_b32_e32 v22, v23
	v_and_b32_e32 v19, v19, v20
	v_lshlrev_b32_e32 v20, 27, v18
	s_delay_alu instid0(VALU_DEP_4) | instskip(SKIP_2) | instid1(VALU_DEP_4)
	v_xor_b32_e32 v21, s16, v21
	v_cmp_gt_i32_e64 s16, 0, v23
	v_ashrrev_i32_e32 v22, 31, v22
	v_not_b32_e32 v23, v20
	s_delay_alu instid0(VALU_DEP_4) | instskip(SKIP_1) | instid1(VALU_DEP_4)
	v_and_b32_e32 v19, v19, v21
	v_lshlrev_b32_e32 v21, 26, v18
	v_xor_b32_e32 v22, s16, v22
	v_cmp_gt_i32_e64 s16, 0, v20
	v_ashrrev_i32_e32 v20, 31, v23
	s_delay_alu instid0(VALU_DEP_4) | instskip(NEXT) | instid1(VALU_DEP_4)
	v_not_b32_e32 v23, v21
	v_and_b32_e32 v19, v19, v22
	v_lshlrev_b32_e32 v22, 25, v18
	s_delay_alu instid0(VALU_DEP_4)
	v_xor_b32_e32 v20, s16, v20
	v_cmp_gt_i32_e64 s16, 0, v21
	v_ashrrev_i32_e32 v21, 31, v23
	v_lshlrev_b32_e32 v18, 24, v18
	v_not_b32_e32 v23, v22
	v_and_b32_e32 v19, v19, v20
	s_delay_alu instid0(VALU_DEP_4) | instskip(SKIP_1) | instid1(VALU_DEP_4)
	v_xor_b32_e32 v20, s16, v21
	v_cmp_gt_i32_e64 s16, 0, v22
	v_ashrrev_i32_e32 v21, 31, v23
	v_not_b32_e32 v22, v18
	s_delay_alu instid0(VALU_DEP_4) | instskip(NEXT) | instid1(VALU_DEP_3)
	v_and_b32_e32 v19, v19, v20
	v_xor_b32_e32 v20, s16, v21
	v_cmp_gt_i32_e64 s16, 0, v18
	s_delay_alu instid0(VALU_DEP_4) | instskip(NEXT) | instid1(VALU_DEP_3)
	v_ashrrev_i32_e32 v18, 31, v22
	v_and_b32_e32 v19, v19, v20
	s_delay_alu instid0(VALU_DEP_2) | instskip(NEXT) | instid1(VALU_DEP_1)
	v_xor_b32_e32 v18, s16, v18
	v_and_b32_e32 v18, v19, v18
	s_delay_alu instid0(VALU_DEP_1) | instskip(SKIP_1) | instid1(VALU_DEP_2)
	v_mbcnt_lo_u32_b32 v132, v18, 0
	v_cmp_ne_u32_e64 s17, 0, v18
	v_cmp_eq_u32_e64 s16, 0, v132
	s_delay_alu instid0(VALU_DEP_1) | instskip(NEXT) | instid1(SALU_CYCLE_1)
	s_and_b32 s17, s17, s16
	s_and_saveexec_b32 s16, s17
	s_cbranch_execz .LBB1746_180
; %bb.179:                              ;   in Loop: Header=BB1746_172 Depth=1
	s_waitcnt vmcnt(0) lgkmcnt(0)
	v_bcnt_u32_b32 v18, v18, v131
	flat_store_b32 v[98:99], v18
.LBB1746_180:                           ;   in Loop: Header=BB1746_172 Depth=1
	s_or_b32 exec_lo, exec_lo, s16
	v_cmp_ne_u16_e64 s16, 0x8000, v177
	; wave barrier
	s_delay_alu instid0(VALU_DEP_1) | instskip(NEXT) | instid1(VALU_DEP_1)
	v_cndmask_b32_e64 v18, 0x7fff, v177, s16
	v_and_b32_e32 v18, 0xffff, v18
	s_delay_alu instid0(VALU_DEP_1) | instskip(NEXT) | instid1(VALU_DEP_1)
	v_lshrrev_b32_e32 v18, v10, v18
	v_and_b32_e32 v18, v18, v114
	s_delay_alu instid0(VALU_DEP_1) | instskip(SKIP_3) | instid1(VALU_DEP_4)
	v_lshlrev_b32_e32 v19, 3, v18
	v_lshlrev_b32_e32 v21, 30, v18
	;; [unrolled: 1-line block ×4, first 2 shown]
	v_add_lshl_u32 v19, v19, v135, 2
	s_delay_alu instid0(VALU_DEP_1) | instskip(NEXT) | instid1(VALU_DEP_1)
	v_add_co_u32 v100, s16, v27, v19
	v_add_co_ci_u32_e64 v101, s16, 0, v39, s16
	v_and_b32_e32 v19, 1, v18
	flat_load_b32 v133, v[100:101]
	v_add_co_u32 v19, s16, v19, -1
	s_delay_alu instid0(VALU_DEP_1) | instskip(NEXT) | instid1(VALU_DEP_1)
	v_cndmask_b32_e64 v20, 0, 1, s16
	; wave barrier
	v_cmp_ne_u32_e64 s16, 0, v20
	v_not_b32_e32 v20, v21
	s_delay_alu instid0(VALU_DEP_2) | instskip(SKIP_1) | instid1(VALU_DEP_3)
	v_xor_b32_e32 v19, s16, v19
	v_cmp_gt_i32_e64 s16, 0, v21
	v_ashrrev_i32_e32 v20, 31, v20
	v_not_b32_e32 v21, v22
	s_delay_alu instid0(VALU_DEP_4) | instskip(NEXT) | instid1(VALU_DEP_3)
	v_and_b32_e32 v19, exec_lo, v19
	v_xor_b32_e32 v20, s16, v20
	v_cmp_gt_i32_e64 s16, 0, v22
	s_delay_alu instid0(VALU_DEP_4) | instskip(SKIP_1) | instid1(VALU_DEP_4)
	v_ashrrev_i32_e32 v21, 31, v21
	v_not_b32_e32 v22, v23
	v_and_b32_e32 v19, v19, v20
	v_lshlrev_b32_e32 v20, 27, v18
	s_delay_alu instid0(VALU_DEP_4) | instskip(SKIP_2) | instid1(VALU_DEP_4)
	v_xor_b32_e32 v21, s16, v21
	v_cmp_gt_i32_e64 s16, 0, v23
	v_ashrrev_i32_e32 v22, 31, v22
	v_not_b32_e32 v23, v20
	s_delay_alu instid0(VALU_DEP_4) | instskip(SKIP_1) | instid1(VALU_DEP_4)
	v_and_b32_e32 v19, v19, v21
	v_lshlrev_b32_e32 v21, 26, v18
	v_xor_b32_e32 v22, s16, v22
	v_cmp_gt_i32_e64 s16, 0, v20
	v_ashrrev_i32_e32 v20, 31, v23
	s_delay_alu instid0(VALU_DEP_4) | instskip(NEXT) | instid1(VALU_DEP_4)
	v_not_b32_e32 v23, v21
	v_and_b32_e32 v19, v19, v22
	v_lshlrev_b32_e32 v22, 25, v18
	s_delay_alu instid0(VALU_DEP_4)
	v_xor_b32_e32 v20, s16, v20
	v_cmp_gt_i32_e64 s16, 0, v21
	v_ashrrev_i32_e32 v21, 31, v23
	v_lshlrev_b32_e32 v18, 24, v18
	v_not_b32_e32 v23, v22
	v_and_b32_e32 v19, v19, v20
	s_delay_alu instid0(VALU_DEP_4) | instskip(SKIP_1) | instid1(VALU_DEP_4)
	v_xor_b32_e32 v20, s16, v21
	v_cmp_gt_i32_e64 s16, 0, v22
	v_ashrrev_i32_e32 v21, 31, v23
	v_not_b32_e32 v22, v18
	s_delay_alu instid0(VALU_DEP_4) | instskip(NEXT) | instid1(VALU_DEP_3)
	v_and_b32_e32 v19, v19, v20
	v_xor_b32_e32 v20, s16, v21
	v_cmp_gt_i32_e64 s16, 0, v18
	s_delay_alu instid0(VALU_DEP_4) | instskip(NEXT) | instid1(VALU_DEP_3)
	v_ashrrev_i32_e32 v18, 31, v22
	v_and_b32_e32 v19, v19, v20
	s_delay_alu instid0(VALU_DEP_2) | instskip(NEXT) | instid1(VALU_DEP_1)
	v_xor_b32_e32 v18, s16, v18
	v_and_b32_e32 v18, v19, v18
	s_delay_alu instid0(VALU_DEP_1) | instskip(SKIP_1) | instid1(VALU_DEP_2)
	v_mbcnt_lo_u32_b32 v134, v18, 0
	v_cmp_ne_u32_e64 s17, 0, v18
	v_cmp_eq_u32_e64 s16, 0, v134
	s_delay_alu instid0(VALU_DEP_1) | instskip(NEXT) | instid1(SALU_CYCLE_1)
	s_and_b32 s17, s17, s16
	s_and_saveexec_b32 s16, s17
	s_cbranch_execz .LBB1746_182
; %bb.181:                              ;   in Loop: Header=BB1746_172 Depth=1
	s_waitcnt vmcnt(0) lgkmcnt(0)
	v_bcnt_u32_b32 v18, v18, v133
	flat_store_b32 v[100:101], v18
.LBB1746_182:                           ;   in Loop: Header=BB1746_172 Depth=1
	s_or_b32 exec_lo, exec_lo, s16
	v_cmp_ne_u16_e64 s16, 0x8000, v176
	; wave barrier
	s_delay_alu instid0(VALU_DEP_1) | instskip(NEXT) | instid1(VALU_DEP_1)
	v_cndmask_b32_e64 v18, 0x7fff, v176, s16
	v_and_b32_e32 v18, 0xffff, v18
	s_delay_alu instid0(VALU_DEP_1) | instskip(NEXT) | instid1(VALU_DEP_1)
	v_lshrrev_b32_e32 v18, v10, v18
	v_and_b32_e32 v18, v18, v114
	s_delay_alu instid0(VALU_DEP_1) | instskip(SKIP_3) | instid1(VALU_DEP_4)
	v_lshlrev_b32_e32 v19, 3, v18
	v_lshlrev_b32_e32 v21, 30, v18
	;; [unrolled: 1-line block ×4, first 2 shown]
	v_add_lshl_u32 v19, v19, v135, 2
	s_delay_alu instid0(VALU_DEP_1) | instskip(NEXT) | instid1(VALU_DEP_1)
	v_add_co_u32 v102, s16, v27, v19
	v_add_co_ci_u32_e64 v103, s16, 0, v39, s16
	v_and_b32_e32 v19, 1, v18
	flat_load_b32 v144, v[102:103]
	v_add_co_u32 v19, s16, v19, -1
	s_delay_alu instid0(VALU_DEP_1) | instskip(NEXT) | instid1(VALU_DEP_1)
	v_cndmask_b32_e64 v20, 0, 1, s16
	; wave barrier
	v_cmp_ne_u32_e64 s16, 0, v20
	v_not_b32_e32 v20, v21
	s_delay_alu instid0(VALU_DEP_2) | instskip(SKIP_1) | instid1(VALU_DEP_3)
	v_xor_b32_e32 v19, s16, v19
	v_cmp_gt_i32_e64 s16, 0, v21
	v_ashrrev_i32_e32 v20, 31, v20
	v_not_b32_e32 v21, v22
	s_delay_alu instid0(VALU_DEP_4) | instskip(NEXT) | instid1(VALU_DEP_3)
	v_and_b32_e32 v19, exec_lo, v19
	v_xor_b32_e32 v20, s16, v20
	v_cmp_gt_i32_e64 s16, 0, v22
	s_delay_alu instid0(VALU_DEP_4) | instskip(SKIP_1) | instid1(VALU_DEP_4)
	v_ashrrev_i32_e32 v21, 31, v21
	v_not_b32_e32 v22, v23
	v_and_b32_e32 v19, v19, v20
	v_lshlrev_b32_e32 v20, 27, v18
	s_delay_alu instid0(VALU_DEP_4) | instskip(SKIP_2) | instid1(VALU_DEP_4)
	v_xor_b32_e32 v21, s16, v21
	v_cmp_gt_i32_e64 s16, 0, v23
	v_ashrrev_i32_e32 v22, 31, v22
	v_not_b32_e32 v23, v20
	s_delay_alu instid0(VALU_DEP_4) | instskip(SKIP_1) | instid1(VALU_DEP_4)
	v_and_b32_e32 v19, v19, v21
	v_lshlrev_b32_e32 v21, 26, v18
	v_xor_b32_e32 v22, s16, v22
	v_cmp_gt_i32_e64 s16, 0, v20
	v_ashrrev_i32_e32 v20, 31, v23
	s_delay_alu instid0(VALU_DEP_4) | instskip(NEXT) | instid1(VALU_DEP_4)
	v_not_b32_e32 v23, v21
	v_and_b32_e32 v19, v19, v22
	v_lshlrev_b32_e32 v22, 25, v18
	s_delay_alu instid0(VALU_DEP_4)
	v_xor_b32_e32 v20, s16, v20
	v_cmp_gt_i32_e64 s16, 0, v21
	v_ashrrev_i32_e32 v21, 31, v23
	v_lshlrev_b32_e32 v18, 24, v18
	v_not_b32_e32 v23, v22
	v_and_b32_e32 v19, v19, v20
	s_delay_alu instid0(VALU_DEP_4) | instskip(SKIP_1) | instid1(VALU_DEP_4)
	v_xor_b32_e32 v20, s16, v21
	v_cmp_gt_i32_e64 s16, 0, v22
	v_ashrrev_i32_e32 v21, 31, v23
	v_not_b32_e32 v22, v18
	s_delay_alu instid0(VALU_DEP_4) | instskip(NEXT) | instid1(VALU_DEP_3)
	v_and_b32_e32 v19, v19, v20
	v_xor_b32_e32 v20, s16, v21
	v_cmp_gt_i32_e64 s16, 0, v18
	s_delay_alu instid0(VALU_DEP_4) | instskip(NEXT) | instid1(VALU_DEP_3)
	v_ashrrev_i32_e32 v18, 31, v22
	v_and_b32_e32 v19, v19, v20
	s_delay_alu instid0(VALU_DEP_2) | instskip(NEXT) | instid1(VALU_DEP_1)
	v_xor_b32_e32 v18, s16, v18
	v_and_b32_e32 v18, v19, v18
	s_delay_alu instid0(VALU_DEP_1) | instskip(SKIP_1) | instid1(VALU_DEP_2)
	v_mbcnt_lo_u32_b32 v145, v18, 0
	v_cmp_ne_u32_e64 s17, 0, v18
	v_cmp_eq_u32_e64 s16, 0, v145
	s_delay_alu instid0(VALU_DEP_1) | instskip(NEXT) | instid1(SALU_CYCLE_1)
	s_and_b32 s17, s17, s16
	s_and_saveexec_b32 s16, s17
	s_cbranch_execz .LBB1746_184
; %bb.183:                              ;   in Loop: Header=BB1746_172 Depth=1
	s_waitcnt vmcnt(0) lgkmcnt(0)
	v_bcnt_u32_b32 v18, v18, v144
	flat_store_b32 v[102:103], v18
.LBB1746_184:                           ;   in Loop: Header=BB1746_172 Depth=1
	s_or_b32 exec_lo, exec_lo, s16
	v_cmp_ne_u16_e64 s16, 0x8000, v167
	; wave barrier
	s_delay_alu instid0(VALU_DEP_1) | instskip(NEXT) | instid1(VALU_DEP_1)
	v_cndmask_b32_e64 v18, 0x7fff, v167, s16
	v_and_b32_e32 v18, 0xffff, v18
	s_delay_alu instid0(VALU_DEP_1) | instskip(NEXT) | instid1(VALU_DEP_1)
	v_lshrrev_b32_e32 v18, v10, v18
	v_and_b32_e32 v18, v18, v114
	s_delay_alu instid0(VALU_DEP_1) | instskip(SKIP_3) | instid1(VALU_DEP_4)
	v_lshlrev_b32_e32 v19, 3, v18
	v_lshlrev_b32_e32 v21, 30, v18
	;; [unrolled: 1-line block ×4, first 2 shown]
	v_add_lshl_u32 v19, v19, v135, 2
	s_delay_alu instid0(VALU_DEP_1) | instskip(NEXT) | instid1(VALU_DEP_1)
	v_add_co_u32 v112, s16, v27, v19
	v_add_co_ci_u32_e64 v113, s16, 0, v39, s16
	v_and_b32_e32 v19, 1, v18
	flat_load_b32 v146, v[112:113]
	v_add_co_u32 v19, s16, v19, -1
	s_delay_alu instid0(VALU_DEP_1) | instskip(NEXT) | instid1(VALU_DEP_1)
	v_cndmask_b32_e64 v20, 0, 1, s16
	; wave barrier
	v_cmp_ne_u32_e64 s16, 0, v20
	v_not_b32_e32 v20, v21
	s_delay_alu instid0(VALU_DEP_2) | instskip(SKIP_1) | instid1(VALU_DEP_3)
	v_xor_b32_e32 v19, s16, v19
	v_cmp_gt_i32_e64 s16, 0, v21
	v_ashrrev_i32_e32 v20, 31, v20
	v_not_b32_e32 v21, v22
	s_delay_alu instid0(VALU_DEP_4) | instskip(NEXT) | instid1(VALU_DEP_3)
	v_and_b32_e32 v19, exec_lo, v19
	v_xor_b32_e32 v20, s16, v20
	v_cmp_gt_i32_e64 s16, 0, v22
	s_delay_alu instid0(VALU_DEP_4) | instskip(SKIP_1) | instid1(VALU_DEP_4)
	v_ashrrev_i32_e32 v21, 31, v21
	v_not_b32_e32 v22, v23
	v_and_b32_e32 v19, v19, v20
	v_lshlrev_b32_e32 v20, 27, v18
	s_delay_alu instid0(VALU_DEP_4) | instskip(SKIP_2) | instid1(VALU_DEP_4)
	v_xor_b32_e32 v21, s16, v21
	v_cmp_gt_i32_e64 s16, 0, v23
	v_ashrrev_i32_e32 v22, 31, v22
	v_not_b32_e32 v23, v20
	s_delay_alu instid0(VALU_DEP_4) | instskip(SKIP_1) | instid1(VALU_DEP_4)
	v_and_b32_e32 v19, v19, v21
	v_lshlrev_b32_e32 v21, 26, v18
	v_xor_b32_e32 v22, s16, v22
	v_cmp_gt_i32_e64 s16, 0, v20
	v_ashrrev_i32_e32 v20, 31, v23
	s_delay_alu instid0(VALU_DEP_4) | instskip(NEXT) | instid1(VALU_DEP_4)
	v_not_b32_e32 v23, v21
	v_and_b32_e32 v19, v19, v22
	v_lshlrev_b32_e32 v22, 25, v18
	s_delay_alu instid0(VALU_DEP_4)
	v_xor_b32_e32 v20, s16, v20
	v_cmp_gt_i32_e64 s16, 0, v21
	v_ashrrev_i32_e32 v21, 31, v23
	v_lshlrev_b32_e32 v18, 24, v18
	v_not_b32_e32 v23, v22
	v_and_b32_e32 v19, v19, v20
	s_delay_alu instid0(VALU_DEP_4) | instskip(SKIP_1) | instid1(VALU_DEP_4)
	v_xor_b32_e32 v20, s16, v21
	v_cmp_gt_i32_e64 s16, 0, v22
	v_ashrrev_i32_e32 v21, 31, v23
	v_not_b32_e32 v22, v18
	s_delay_alu instid0(VALU_DEP_4) | instskip(NEXT) | instid1(VALU_DEP_3)
	v_and_b32_e32 v19, v19, v20
	v_xor_b32_e32 v20, s16, v21
	v_cmp_gt_i32_e64 s16, 0, v18
	s_delay_alu instid0(VALU_DEP_4) | instskip(NEXT) | instid1(VALU_DEP_3)
	v_ashrrev_i32_e32 v18, 31, v22
	v_and_b32_e32 v19, v19, v20
	s_delay_alu instid0(VALU_DEP_2) | instskip(NEXT) | instid1(VALU_DEP_1)
	v_xor_b32_e32 v18, s16, v18
	v_and_b32_e32 v18, v19, v18
	s_delay_alu instid0(VALU_DEP_1) | instskip(SKIP_1) | instid1(VALU_DEP_2)
	v_mbcnt_lo_u32_b32 v147, v18, 0
	v_cmp_ne_u32_e64 s17, 0, v18
	v_cmp_eq_u32_e64 s16, 0, v147
	s_delay_alu instid0(VALU_DEP_1) | instskip(NEXT) | instid1(SALU_CYCLE_1)
	s_and_b32 s17, s17, s16
	s_and_saveexec_b32 s16, s17
	s_cbranch_execz .LBB1746_186
; %bb.185:                              ;   in Loop: Header=BB1746_172 Depth=1
	s_waitcnt vmcnt(0) lgkmcnt(0)
	v_bcnt_u32_b32 v18, v18, v146
	flat_store_b32 v[112:113], v18
.LBB1746_186:                           ;   in Loop: Header=BB1746_172 Depth=1
	s_or_b32 exec_lo, exec_lo, s16
	v_cmp_ne_u16_e64 s16, 0x8000, v179
	; wave barrier
	s_delay_alu instid0(VALU_DEP_1) | instskip(NEXT) | instid1(VALU_DEP_1)
	v_cndmask_b32_e64 v18, 0x7fff, v179, s16
	v_and_b32_e32 v18, 0xffff, v18
	s_delay_alu instid0(VALU_DEP_1) | instskip(NEXT) | instid1(VALU_DEP_1)
	v_lshrrev_b32_e32 v18, v10, v18
	v_and_b32_e32 v18, v18, v114
	s_delay_alu instid0(VALU_DEP_1) | instskip(SKIP_3) | instid1(VALU_DEP_4)
	v_lshlrev_b32_e32 v19, 3, v18
	v_lshlrev_b32_e32 v21, 30, v18
	;; [unrolled: 1-line block ×4, first 2 shown]
	v_add_lshl_u32 v19, v19, v135, 2
	s_delay_alu instid0(VALU_DEP_1) | instskip(NEXT) | instid1(VALU_DEP_1)
	v_add_co_u32 v114, s16, v27, v19
	v_add_co_ci_u32_e64 v115, s16, 0, v39, s16
	v_and_b32_e32 v19, 1, v18
	flat_load_b32 v148, v[114:115]
	v_add_co_u32 v19, s16, v19, -1
	s_delay_alu instid0(VALU_DEP_1) | instskip(NEXT) | instid1(VALU_DEP_1)
	v_cndmask_b32_e64 v20, 0, 1, s16
	; wave barrier
	v_cmp_ne_u32_e64 s16, 0, v20
	v_not_b32_e32 v20, v21
	s_delay_alu instid0(VALU_DEP_2) | instskip(SKIP_1) | instid1(VALU_DEP_3)
	v_xor_b32_e32 v19, s16, v19
	v_cmp_gt_i32_e64 s16, 0, v21
	v_ashrrev_i32_e32 v20, 31, v20
	v_not_b32_e32 v21, v22
	s_delay_alu instid0(VALU_DEP_4) | instskip(NEXT) | instid1(VALU_DEP_3)
	v_and_b32_e32 v19, exec_lo, v19
	v_xor_b32_e32 v20, s16, v20
	v_cmp_gt_i32_e64 s16, 0, v22
	s_delay_alu instid0(VALU_DEP_4) | instskip(SKIP_1) | instid1(VALU_DEP_4)
	v_ashrrev_i32_e32 v21, 31, v21
	v_not_b32_e32 v22, v23
	v_and_b32_e32 v19, v19, v20
	v_lshlrev_b32_e32 v20, 27, v18
	s_delay_alu instid0(VALU_DEP_4) | instskip(SKIP_2) | instid1(VALU_DEP_4)
	v_xor_b32_e32 v21, s16, v21
	v_cmp_gt_i32_e64 s16, 0, v23
	v_ashrrev_i32_e32 v22, 31, v22
	v_not_b32_e32 v23, v20
	s_delay_alu instid0(VALU_DEP_4) | instskip(SKIP_1) | instid1(VALU_DEP_4)
	v_and_b32_e32 v19, v19, v21
	v_lshlrev_b32_e32 v21, 26, v18
	v_xor_b32_e32 v22, s16, v22
	v_cmp_gt_i32_e64 s16, 0, v20
	v_ashrrev_i32_e32 v20, 31, v23
	s_delay_alu instid0(VALU_DEP_4) | instskip(NEXT) | instid1(VALU_DEP_4)
	v_not_b32_e32 v23, v21
	v_and_b32_e32 v19, v19, v22
	v_lshlrev_b32_e32 v22, 25, v18
	s_delay_alu instid0(VALU_DEP_4)
	v_xor_b32_e32 v20, s16, v20
	v_cmp_gt_i32_e64 s16, 0, v21
	v_ashrrev_i32_e32 v21, 31, v23
	v_lshlrev_b32_e32 v18, 24, v18
	v_not_b32_e32 v23, v22
	v_and_b32_e32 v19, v19, v20
	s_delay_alu instid0(VALU_DEP_4) | instskip(SKIP_1) | instid1(VALU_DEP_4)
	v_xor_b32_e32 v20, s16, v21
	v_cmp_gt_i32_e64 s16, 0, v22
	v_ashrrev_i32_e32 v21, 31, v23
	v_not_b32_e32 v22, v18
	s_delay_alu instid0(VALU_DEP_4) | instskip(NEXT) | instid1(VALU_DEP_3)
	v_and_b32_e32 v19, v19, v20
	v_xor_b32_e32 v20, s16, v21
	v_cmp_gt_i32_e64 s16, 0, v18
	s_delay_alu instid0(VALU_DEP_4) | instskip(NEXT) | instid1(VALU_DEP_3)
	v_ashrrev_i32_e32 v18, 31, v22
	v_and_b32_e32 v19, v19, v20
	s_delay_alu instid0(VALU_DEP_2) | instskip(NEXT) | instid1(VALU_DEP_1)
	v_xor_b32_e32 v18, s16, v18
	v_and_b32_e32 v18, v19, v18
	s_delay_alu instid0(VALU_DEP_1) | instskip(SKIP_1) | instid1(VALU_DEP_2)
	v_mbcnt_lo_u32_b32 v149, v18, 0
	v_cmp_ne_u32_e64 s17, 0, v18
	v_cmp_eq_u32_e64 s16, 0, v149
	s_delay_alu instid0(VALU_DEP_1) | instskip(NEXT) | instid1(SALU_CYCLE_1)
	s_and_b32 s17, s17, s16
	s_and_saveexec_b32 s16, s17
	s_cbranch_execz .LBB1746_188
; %bb.187:                              ;   in Loop: Header=BB1746_172 Depth=1
	s_waitcnt vmcnt(0) lgkmcnt(0)
	v_bcnt_u32_b32 v18, v18, v148
	flat_store_b32 v[114:115], v18
.LBB1746_188:                           ;   in Loop: Header=BB1746_172 Depth=1
	s_or_b32 exec_lo, exec_lo, s16
	; wave barrier
	s_waitcnt vmcnt(0) lgkmcnt(0)
	s_waitcnt_vscnt null, 0x0
	s_barrier
	buffer_gl0_inv
	s_clause 0x1
	flat_load_b128 v[22:25], v[8:9] offset:32
	flat_load_b128 v[18:21], v[30:31] offset:16
	s_waitcnt vmcnt(1) lgkmcnt(1)
	v_add_nc_u32_e32 v117, v23, v22
	s_delay_alu instid0(VALU_DEP_1) | instskip(SKIP_1) | instid1(VALU_DEP_1)
	v_add3_u32 v117, v117, v24, v25
	s_waitcnt vmcnt(0) lgkmcnt(0)
	v_add3_u32 v117, v117, v18, v19
	s_delay_alu instid0(VALU_DEP_1) | instskip(NEXT) | instid1(VALU_DEP_1)
	v_add3_u32 v21, v117, v20, v21
	v_mov_b32_dpp v117, v21 row_shr:1 row_mask:0xf bank_mask:0xf
	s_delay_alu instid0(VALU_DEP_1) | instskip(NEXT) | instid1(VALU_DEP_1)
	v_cndmask_b32_e64 v117, v117, 0, vcc_lo
	v_add_nc_u32_e32 v21, v117, v21
	s_delay_alu instid0(VALU_DEP_1) | instskip(NEXT) | instid1(VALU_DEP_1)
	v_mov_b32_dpp v117, v21 row_shr:2 row_mask:0xf bank_mask:0xf
	v_cndmask_b32_e64 v117, 0, v117, s0
	s_delay_alu instid0(VALU_DEP_1) | instskip(NEXT) | instid1(VALU_DEP_1)
	v_add_nc_u32_e32 v21, v21, v117
	v_mov_b32_dpp v117, v21 row_shr:4 row_mask:0xf bank_mask:0xf
	s_delay_alu instid0(VALU_DEP_1) | instskip(NEXT) | instid1(VALU_DEP_1)
	v_cndmask_b32_e64 v117, 0, v117, s1
	v_add_nc_u32_e32 v21, v21, v117
	s_delay_alu instid0(VALU_DEP_1) | instskip(NEXT) | instid1(VALU_DEP_1)
	v_mov_b32_dpp v117, v21 row_shr:8 row_mask:0xf bank_mask:0xf
	v_cndmask_b32_e64 v117, 0, v117, s2
	s_delay_alu instid0(VALU_DEP_1) | instskip(SKIP_3) | instid1(VALU_DEP_1)
	v_add_nc_u32_e32 v21, v21, v117
	ds_swizzle_b32 v117, v21 offset:swizzle(BROADCAST,32,15)
	s_waitcnt lgkmcnt(0)
	v_cndmask_b32_e64 v117, v117, 0, s3
	v_add_nc_u32_e32 v21, v21, v117
	s_and_saveexec_b32 s16, s4
	s_cbranch_execz .LBB1746_190
; %bb.189:                              ;   in Loop: Header=BB1746_172 Depth=1
	flat_store_b32 v[32:33], v21
.LBB1746_190:                           ;   in Loop: Header=BB1746_172 Depth=1
	s_or_b32 exec_lo, exec_lo, s16
	s_waitcnt lgkmcnt(0)
	s_waitcnt_vscnt null, 0x0
	s_barrier
	buffer_gl0_inv
	s_and_saveexec_b32 s16, s5
	s_cbranch_execz .LBB1746_192
; %bb.191:                              ;   in Loop: Header=BB1746_172 Depth=1
	flat_load_b32 v117, v[35:36]
	s_waitcnt vmcnt(0) lgkmcnt(0)
	v_mov_b32_dpp v119, v117 row_shr:1 row_mask:0xf bank_mask:0xf
	s_delay_alu instid0(VALU_DEP_1) | instskip(NEXT) | instid1(VALU_DEP_1)
	v_cndmask_b32_e64 v119, v119, 0, s11
	v_add_nc_u32_e32 v117, v119, v117
	s_delay_alu instid0(VALU_DEP_1) | instskip(NEXT) | instid1(VALU_DEP_1)
	v_mov_b32_dpp v119, v117 row_shr:2 row_mask:0xf bank_mask:0xf
	v_cndmask_b32_e64 v119, 0, v119, s14
	s_delay_alu instid0(VALU_DEP_1) | instskip(NEXT) | instid1(VALU_DEP_1)
	v_add_nc_u32_e32 v117, v117, v119
	v_mov_b32_dpp v119, v117 row_shr:4 row_mask:0xf bank_mask:0xf
	s_delay_alu instid0(VALU_DEP_1) | instskip(NEXT) | instid1(VALU_DEP_1)
	v_cndmask_b32_e64 v119, 0, v119, s15
	v_add_nc_u32_e32 v117, v117, v119
	flat_store_b32 v[35:36], v117
.LBB1746_192:                           ;   in Loop: Header=BB1746_172 Depth=1
	s_or_b32 exec_lo, exec_lo, s16
	v_mov_b32_e32 v117, 0
	s_waitcnt lgkmcnt(0)
	s_waitcnt_vscnt null, 0x0
	s_barrier
	buffer_gl0_inv
	s_and_saveexec_b32 s16, s6
	s_cbranch_execz .LBB1746_194
; %bb.193:                              ;   in Loop: Header=BB1746_172 Depth=1
	flat_load_b32 v117, v[48:49]
.LBB1746_194:                           ;   in Loop: Header=BB1746_172 Depth=1
	s_or_b32 exec_lo, exec_lo, s16
	s_waitcnt vmcnt(0) lgkmcnt(0)
	v_add_nc_u32_e32 v21, v117, v21
	v_dual_mov_b32 v129, v5 :: v_dual_add_nc_u32 v10, 8, v10
	v_mov_b32_e32 v119, v5
	s_mov_b32 s18, -1
	ds_bpermute_b32 v21, v162, v21
	s_waitcnt lgkmcnt(0)
	v_cndmask_b32_e64 v21, v21, v117, s7
	v_mov_b32_e32 v117, v5
	s_delay_alu instid0(VALU_DEP_2) | instskip(NEXT) | instid1(VALU_DEP_1)
	v_cndmask_b32_e64 v21, v21, 0, s10
	v_add_nc_u32_e32 v22, v21, v22
	s_delay_alu instid0(VALU_DEP_1) | instskip(NEXT) | instid1(VALU_DEP_1)
	v_add_nc_u32_e32 v23, v22, v23
	v_add_nc_u32_e32 v24, v23, v24
	s_delay_alu instid0(VALU_DEP_1) | instskip(NEXT) | instid1(VALU_DEP_1)
	v_add_nc_u32_e32 v180, v24, v25
	;; [unrolled: 3-line block ×3, first 2 shown]
	v_add_nc_u32_e32 v183, v182, v20
	s_clause 0x1
	flat_store_b128 v[8:9], v[21:24] offset:32
	flat_store_b128 v[30:31], v[180:183] offset:16
	s_waitcnt lgkmcnt(0)
	s_waitcnt_vscnt null, 0x0
	s_barrier
	buffer_gl0_inv
	s_clause 0x7
	flat_load_b32 v18, v[84:85]
	flat_load_b32 v19, v[86:87]
	;; [unrolled: 1-line block ×8, first 2 shown]
	v_mov_b32_e32 v101, v5
	v_mov_b32_e32 v115, v5
	;; [unrolled: 1-line block ×4, first 2 shown]
	v_cmp_lt_u32_e64 s16, v10, v11
	s_waitcnt vmcnt(0) lgkmcnt(0)
	s_waitcnt_vscnt null, 0x0
                                        ; implicit-def: $vgpr181
                                        ; implicit-def: $vgpr180
	s_waitcnt vmcnt(7) lgkmcnt(7)
	v_add_nc_u32_e32 v4, v18, v4
	s_waitcnt vmcnt(6) lgkmcnt(6)
	v_add3_u32 v112, v118, v116, v19
	s_waitcnt vmcnt(5) lgkmcnt(5)
	v_add3_u32 v100, v130, v128, v20
	;; [unrolled: 2-line block ×4, first 2 shown]
	v_lshlrev_b64 v[18:19], 1, v[4:5]
	v_lshlrev_b64 v[20:21], 1, v[112:113]
	s_waitcnt vmcnt(2) lgkmcnt(2)
	v_add3_u32 v116, v145, v144, v23
	v_lshlrev_b64 v[22:23], 1, v[100:101]
	s_waitcnt vmcnt(0) lgkmcnt(0)
	v_add3_u32 v128, v149, v148, v25
	v_add3_u32 v118, v147, v146, v24
	v_add_co_u32 v150, s17, v12, v18
	s_delay_alu instid0(VALU_DEP_1) | instskip(SKIP_2) | instid1(VALU_DEP_1)
	v_add_co_ci_u32_e64 v151, s17, v13, v19, s17
	v_lshlrev_b64 v[24:25], 1, v[102:103]
	v_add_co_u32 v160, s17, v12, v20
	v_add_co_ci_u32_e64 v161, s17, v13, v21, s17
	v_lshlrev_b64 v[84:85], 1, v[114:115]
	v_lshlrev_b64 v[98:99], 1, v[128:129]
	v_add_co_u32 v129, s17, v12, v22
	s_delay_alu instid0(VALU_DEP_1) | instskip(SKIP_2) | instid1(VALU_DEP_1)
	v_add_co_ci_u32_e64 v130, s17, v13, v23, s17
	v_lshlrev_b64 v[86:87], 1, v[116:117]
	v_add_co_u32 v131, s17, v12, v24
	v_add_co_ci_u32_e64 v132, s17, v13, v25, s17
	v_lshlrev_b64 v[96:97], 1, v[118:119]
	v_add_co_u32 v133, s17, v12, v84
	s_delay_alu instid0(VALU_DEP_1) | instskip(SKIP_1) | instid1(VALU_DEP_1)
	v_add_co_ci_u32_e64 v134, s17, v13, v85, s17
	v_add_co_u32 v144, s17, v12, v86
	v_add_co_ci_u32_e64 v145, s17, v13, v87, s17
	v_add_co_u32 v146, s17, v12, v96
	s_delay_alu instid0(VALU_DEP_1) | instskip(SKIP_1) | instid1(VALU_DEP_1)
	v_add_co_ci_u32_e64 v147, s17, v13, v97, s17
	v_add_co_u32 v148, s17, v12, v98
	v_add_co_ci_u32_e64 v149, s17, v13, v99, s17
                                        ; implicit-def: $vgpr20_vgpr21
                                        ; implicit-def: $vgpr24_vgpr25
                                        ; implicit-def: $vgpr84_vgpr85
                                        ; implicit-def: $vgpr86_vgpr87
                                        ; implicit-def: $vgpr96_vgpr97
                                        ; implicit-def: $vgpr98_vgpr99
                                        ; implicit-def: $vgpr18_vgpr19
                                        ; implicit-def: $vgpr22_vgpr23
                                        ; implicit-def: $vgpr101
                                        ; implicit-def: $vgpr113
                                        ; implicit-def: $vgpr103
                                        ; implicit-def: $vgpr115
                                        ; implicit-def: $vgpr117
                                        ; implicit-def: $vgpr119
	s_and_saveexec_b32 s17, s16
	s_cbranch_execz .LBB1746_171
; %bb.195:                              ;   in Loop: Header=BB1746_172 Depth=1
	v_mad_u64_u32 v[18:19], null, v4, 6, v[150:151]
	v_mad_u64_u32 v[20:21], null, v112, 6, v[160:161]
	;; [unrolled: 1-line block ×8, first 2 shown]
	s_barrier
	buffer_gl0_inv
	s_clause 0x7
	flat_store_b16 v[150:151], v164
	flat_store_b16 v[160:161], v166
	;; [unrolled: 1-line block ×8, first 2 shown]
	s_waitcnt lgkmcnt(0)
	s_waitcnt_vscnt null, 0x0
	s_barrier
	buffer_gl0_inv
	s_clause 0x7
	flat_load_u16 v181, v[37:38]
	flat_load_u16 v101, v[37:38] offset:64
	flat_load_u16 v113, v[37:38] offset:128
	;; [unrolled: 1-line block ×7, first 2 shown]
	s_waitcnt vmcnt(0) lgkmcnt(0)
	s_barrier
	buffer_gl0_inv
	s_clause 0x7
	flat_store_b64 v[18:19], v[70:71]
	flat_store_b64 v[20:21], v[68:69]
	;; [unrolled: 1-line block ×8, first 2 shown]
	s_waitcnt lgkmcnt(0)
	s_waitcnt_vscnt null, 0x0
	s_barrier
	buffer_gl0_inv
	s_clause 0x7
	flat_load_b64 v[20:21], v[50:51]
	flat_load_b64 v[24:25], v[50:51] offset:256
	flat_load_b64 v[84:85], v[50:51] offset:512
	;; [unrolled: 1-line block ×7, first 2 shown]
	v_add_nc_u32_e32 v163, -8, v163
	s_xor_b32 s18, exec_lo, -1
	s_waitcnt vmcnt(0) lgkmcnt(0)
	s_barrier
	buffer_gl0_inv
	s_branch .LBB1746_171
.LBB1746_196:
	flat_load_b64 v[22:23], v[4:5]
	s_or_b32 exec_lo, exec_lo, s19
                                        ; implicit-def: $vgpr18_vgpr19
	s_and_saveexec_b32 s19, s0
	s_cbranch_execz .LBB1746_36
.LBB1746_197:
	flat_load_b64 v[18:19], v[4:5] offset:256
	s_or_b32 exec_lo, exec_lo, s19
                                        ; implicit-def: $vgpr20_vgpr21
	s_and_saveexec_b32 s0, s1
	s_cbranch_execz .LBB1746_37
.LBB1746_198:
	flat_load_b64 v[20:21], v[4:5] offset:512
	s_or_b32 exec_lo, exec_lo, s0
                                        ; implicit-def: $vgpr24_vgpr25
	s_and_saveexec_b32 s0, s2
	s_cbranch_execz .LBB1746_38
.LBB1746_199:
	flat_load_b64 v[24:25], v[4:5] offset:768
	s_or_b32 exec_lo, exec_lo, s0
                                        ; implicit-def: $vgpr116_vgpr117
	s_and_saveexec_b32 s0, s3
	s_cbranch_execz .LBB1746_39
.LBB1746_200:
	flat_load_b64 v[116:117], v[4:5] offset:1024
	s_or_b32 exec_lo, exec_lo, s0
                                        ; implicit-def: $vgpr134_vgpr135
	s_and_saveexec_b32 s0, s4
	s_cbranch_execz .LBB1746_40
.LBB1746_201:
	flat_load_b64 v[134:135], v[4:5] offset:1280
	s_or_b32 exec_lo, exec_lo, s0
                                        ; implicit-def: $vgpr176_vgpr177
	s_and_saveexec_b32 s0, s5
	s_cbranch_execz .LBB1746_41
.LBB1746_202:
	flat_load_b64 v[176:177], v[4:5] offset:1536
	s_or_b32 exec_lo, exec_lo, s0
                                        ; implicit-def: $vgpr192_vgpr193
	s_and_saveexec_b32 s0, s6
	s_cbranch_execz .LBB1746_42
.LBB1746_203:
	flat_load_b64 v[192:193], v[4:5] offset:1792
	s_or_b32 exec_lo, exec_lo, s0
                                        ; implicit-def: $vgpr194_vgpr195
	s_and_saveexec_b32 s0, s7
	s_cbranch_execz .LBB1746_43
.LBB1746_204:
	flat_load_b64 v[194:195], v[4:5] offset:2048
	s_or_b32 exec_lo, exec_lo, s0
                                        ; implicit-def: $vgpr196_vgpr197
	s_and_saveexec_b32 s0, s10
	s_cbranch_execz .LBB1746_44
.LBB1746_205:
	flat_load_b64 v[196:197], v[4:5] offset:2304
	s_or_b32 exec_lo, exec_lo, s0
                                        ; implicit-def: $vgpr198_vgpr199
	s_and_saveexec_b32 s0, s11
	s_cbranch_execz .LBB1746_45
.LBB1746_206:
	flat_load_b64 v[198:199], v[4:5] offset:2560
	s_or_b32 exec_lo, exec_lo, s0
                                        ; implicit-def: $vgpr208_vgpr209
	s_and_saveexec_b32 s0, s14
	s_cbranch_execz .LBB1746_46
.LBB1746_207:
	flat_load_b64 v[208:209], v[4:5] offset:2816
	s_or_b32 exec_lo, exec_lo, s0
                                        ; implicit-def: $vgpr210_vgpr211
	s_and_saveexec_b32 s0, s15
	s_cbranch_execz .LBB1746_47
.LBB1746_208:
	flat_load_b64 v[210:211], v[4:5] offset:3072
	s_or_b32 exec_lo, exec_lo, s0
                                        ; implicit-def: $vgpr212_vgpr213
	s_and_saveexec_b32 s0, s16
	s_cbranch_execz .LBB1746_48
.LBB1746_209:
	flat_load_b64 v[212:213], v[4:5] offset:3328
	s_or_b32 exec_lo, exec_lo, s0
                                        ; implicit-def: $vgpr214_vgpr215
	s_and_saveexec_b32 s0, s17
	s_cbranch_execz .LBB1746_49
.LBB1746_210:
	flat_load_b64 v[214:215], v[4:5] offset:3584
	s_or_b32 exec_lo, exec_lo, s0
                                        ; implicit-def: $vgpr224_vgpr225
	s_and_saveexec_b32 s0, s18
	s_cbranch_execnz .LBB1746_50
	s_branch .LBB1746_51
.LBB1746_211:
	flat_store_b64 v[0:1], v[48:49]
	s_or_b32 exec_lo, exec_lo, s19
	s_and_saveexec_b32 s19, s0
	s_cbranch_execz .LBB1746_127
.LBB1746_212:
	flat_store_b64 v[0:1], v[38:39] offset:2048
	s_or_b32 exec_lo, exec_lo, s19
	s_and_saveexec_b32 s0, s1
	s_cbranch_execz .LBB1746_128
.LBB1746_213:
	v_add_co_u32 v2, vcc_lo, 0x1000, v0
	v_add_co_ci_u32_e32 v3, vcc_lo, 0, v1, vcc_lo
	flat_store_b64 v[2:3], v[36:37]
	s_or_b32 exec_lo, exec_lo, s0
	s_and_saveexec_b32 s0, s2
	s_cbranch_execz .LBB1746_129
.LBB1746_214:
	v_add_co_u32 v2, vcc_lo, 0x1000, v0
	v_add_co_ci_u32_e32 v3, vcc_lo, 0, v1, vcc_lo
	flat_store_b64 v[2:3], v[34:35] offset:2048
	s_or_b32 exec_lo, exec_lo, s0
	s_and_saveexec_b32 s0, s3
	s_cbranch_execz .LBB1746_130
.LBB1746_215:
	v_add_co_u32 v2, vcc_lo, 0x2000, v0
	v_add_co_ci_u32_e32 v3, vcc_lo, 0, v1, vcc_lo
	flat_store_b64 v[2:3], v[32:33]
	s_or_b32 exec_lo, exec_lo, s0
	s_and_saveexec_b32 s0, s4
	s_cbranch_execz .LBB1746_131
.LBB1746_216:
	v_add_co_u32 v2, vcc_lo, 0x2000, v0
	v_add_co_ci_u32_e32 v3, vcc_lo, 0, v1, vcc_lo
	flat_store_b64 v[2:3], v[30:31] offset:2048
	s_or_b32 exec_lo, exec_lo, s0
	s_and_saveexec_b32 s0, s5
	s_cbranch_execz .LBB1746_132
.LBB1746_217:
	v_add_co_u32 v2, vcc_lo, 0x3000, v0
	v_add_co_ci_u32_e32 v3, vcc_lo, 0, v1, vcc_lo
	flat_store_b64 v[2:3], v[22:23]
	s_or_b32 exec_lo, exec_lo, s0
	s_and_saveexec_b32 s0, s6
	s_cbranch_execz .LBB1746_133
.LBB1746_218:
	v_add_co_u32 v2, vcc_lo, 0x3000, v0
	v_add_co_ci_u32_e32 v3, vcc_lo, 0, v1, vcc_lo
	flat_store_b64 v[2:3], v[18:19] offset:2048
	s_or_b32 exec_lo, exec_lo, s0
	s_and_saveexec_b32 s0, s7
	s_cbranch_execz .LBB1746_134
.LBB1746_219:
	v_add_co_u32 v2, vcc_lo, 0x4000, v0
	v_add_co_ci_u32_e32 v3, vcc_lo, 0, v1, vcc_lo
	flat_store_b64 v[2:3], v[24:25]
	s_or_b32 exec_lo, exec_lo, s0
	s_and_saveexec_b32 s0, s10
	s_cbranch_execz .LBB1746_135
.LBB1746_220:
	v_add_co_u32 v2, vcc_lo, 0x4000, v0
	v_add_co_ci_u32_e32 v3, vcc_lo, 0, v1, vcc_lo
	flat_store_b64 v[2:3], v[20:21] offset:2048
	s_or_b32 exec_lo, exec_lo, s0
	s_and_saveexec_b32 s0, s11
	s_cbranch_execz .LBB1746_136
.LBB1746_221:
	v_add_co_u32 v2, vcc_lo, 0x5000, v0
	v_add_co_ci_u32_e32 v3, vcc_lo, 0, v1, vcc_lo
	flat_store_b64 v[2:3], v[16:17]
	s_or_b32 exec_lo, exec_lo, s0
	s_and_saveexec_b32 s0, s14
	s_cbranch_execz .LBB1746_137
.LBB1746_222:
	v_add_co_u32 v2, vcc_lo, 0x5000, v0
	v_add_co_ci_u32_e32 v3, vcc_lo, 0, v1, vcc_lo
	flat_store_b64 v[2:3], v[14:15] offset:2048
	s_or_b32 exec_lo, exec_lo, s0
	s_and_saveexec_b32 s0, s15
	s_cbranch_execz .LBB1746_138
.LBB1746_223:
	v_add_co_u32 v2, vcc_lo, 0x6000, v0
	v_add_co_ci_u32_e32 v3, vcc_lo, 0, v1, vcc_lo
	flat_store_b64 v[2:3], v[12:13]
	s_or_b32 exec_lo, exec_lo, s0
	s_and_saveexec_b32 s0, s16
	s_cbranch_execz .LBB1746_139
.LBB1746_224:
	v_add_co_u32 v2, vcc_lo, 0x6000, v0
	v_add_co_ci_u32_e32 v3, vcc_lo, 0, v1, vcc_lo
	flat_store_b64 v[2:3], v[10:11] offset:2048
	s_or_b32 exec_lo, exec_lo, s0
	s_and_saveexec_b32 s0, s17
	s_cbranch_execz .LBB1746_140
.LBB1746_225:
	v_add_co_u32 v2, vcc_lo, 0x7000, v0
	v_add_co_ci_u32_e32 v3, vcc_lo, 0, v1, vcc_lo
	flat_store_b64 v[2:3], v[8:9]
	s_or_b32 exec_lo, exec_lo, s0
	s_and_saveexec_b32 s0, s18
	s_cbranch_execnz .LBB1746_141
	s_branch .LBB1746_142
.LBB1746_226:
	s_or_b32 exec_lo, exec_lo, s20
	v_lshlrev_b32_e32 v5, 1, v34
	v_mad_u64_u32 v[10:11], null, v4, 6, v[150:151]
	s_barrier
	buffer_gl0_inv
	v_add_co_u32 v8, vcc_lo, v12, v5
	v_mad_u64_u32 v[4:5], null, v112, 6, v[160:161]
	v_add_co_ci_u32_e32 v9, vcc_lo, 0, v13, vcc_lo
	s_clause 0x7
	flat_store_b16 v[150:151], v164
	flat_store_b16 v[160:161], v166
	;; [unrolled: 1-line block ×8, first 2 shown]
	s_waitcnt lgkmcnt(0)
	s_waitcnt_vscnt null, 0x0
	s_barrier
	buffer_gl0_inv
	s_clause 0x7
	flat_load_u16 v33, v[8:9]
	flat_load_u16 v32, v[8:9] offset:512
	flat_load_u16 v31, v[8:9] offset:1024
	flat_load_u16 v30, v[8:9] offset:1536
	flat_load_u16 v25, v[8:9] offset:2048
	flat_load_u16 v24, v[8:9] offset:2560
	flat_load_u16 v23, v[8:9] offset:3072
	flat_load_u16 v22, v[8:9] offset:3584
	s_waitcnt vmcnt(0) lgkmcnt(0)
	s_barrier
	buffer_gl0_inv
	s_clause 0x1
	flat_store_b64 v[10:11], v[70:71]
	flat_store_b64 v[4:5], v[68:69]
	v_mad_u64_u32 v[4:5], null, v100, 6, v[129:130]
	v_mad_u64_u32 v[10:11], null, v102, 6, v[131:132]
	;; [unrolled: 1-line block ×4, first 2 shown]
	s_clause 0x3
	flat_store_b64 v[4:5], v[66:67]
	flat_store_b64 v[10:11], v[64:65]
	;; [unrolled: 1-line block ×4, first 2 shown]
	v_mad_u64_u32 v[4:5], null, v34, 6, v[8:9]
	v_lshl_or_b32 v10, v34, 3, 0x2000
	v_mad_u64_u32 v[18:19], null, v118, 6, v[146:147]
	v_mad_u64_u32 v[20:21], null, v128, 6, v[148:149]
	s_clause 0x1
	flat_store_b64 v[18:19], v[80:81]
	flat_store_b64 v[20:21], v[82:83]
	v_add_co_u32 v8, vcc_lo, 0x1000, v4
	v_add_co_ci_u32_e32 v9, vcc_lo, 0, v5, vcc_lo
	v_add_co_u32 v10, vcc_lo, v12, v10
	v_add_co_ci_u32_e32 v11, vcc_lo, 0, v13, vcc_lo
	v_add_co_u32 v34, vcc_lo, 0x2000, v4
	v_add_co_ci_u32_e32 v35, vcc_lo, 0, v5, vcc_lo
	v_add_co_u32 v36, vcc_lo, 0x3000, v4
	s_waitcnt lgkmcnt(0)
	s_waitcnt_vscnt null, 0x0
	s_barrier
	buffer_gl0_inv
	v_add_co_ci_u32_e32 v37, vcc_lo, 0, v5, vcc_lo
	s_clause 0x7
	flat_load_b64 v[20:21], v[4:5]
	flat_load_b64 v[18:19], v[4:5] offset:2048
	flat_load_b64 v[16:17], v[8:9]
	flat_load_b64 v[14:15], v[8:9] offset:2048
	flat_load_b64 v[12:13], v[10:11]
	flat_load_b64 v[10:11], v[34:35] offset:2048
	flat_load_b64 v[8:9], v[36:37]
	flat_load_b64 v[4:5], v[36:37] offset:2048
	v_mov_b32_e32 v27, 0
	v_add_co_u32 v2, vcc_lo, v2, v28
	v_add_co_ci_u32_e32 v3, vcc_lo, v3, v29, vcc_lo
	s_delay_alu instid0(VALU_DEP_3)
	v_lshlrev_b64 v[34:35], 1, v[26:27]
	s_waitcnt vmcnt(0) lgkmcnt(0)
	s_barrier
	buffer_gl0_inv
	v_add_co_u32 v2, vcc_lo, v2, v34
	v_add_co_ci_u32_e32 v3, vcc_lo, v3, v35, vcc_lo
	v_cmp_lt_u32_e32 vcc_lo, v26, v47
	s_and_saveexec_b32 s1, vcc_lo
	s_cbranch_execz .LBB1746_228
; %bb.227:
	v_cmp_gt_i16_e64 s0, 0, v33
	s_delay_alu instid0(VALU_DEP_1) | instskip(NEXT) | instid1(VALU_DEP_1)
	v_cndmask_b32_e64 v28, 0x7fff, 0, s0
	v_xor_b32_e32 v28, v28, v33
	flat_store_b16 v[2:3], v28
.LBB1746_228:
	s_or_b32 exec_lo, exec_lo, s1
	v_add_nc_u32_e32 v28, 0x100, v26
	s_delay_alu instid0(VALU_DEP_1) | instskip(NEXT) | instid1(VALU_DEP_1)
	v_cmp_lt_u32_e64 s0, v28, v47
	s_and_saveexec_b32 s2, s0
	s_cbranch_execz .LBB1746_230
; %bb.229:
	v_cmp_gt_i16_e64 s1, 0, v32
	s_delay_alu instid0(VALU_DEP_1) | instskip(NEXT) | instid1(VALU_DEP_1)
	v_cndmask_b32_e64 v28, 0x7fff, 0, s1
	v_xor_b32_e32 v28, v28, v32
	flat_store_b16 v[2:3], v28 offset:512
.LBB1746_230:
	s_or_b32 exec_lo, exec_lo, s2
	v_add_nc_u32_e32 v28, 0x200, v26
	s_delay_alu instid0(VALU_DEP_1) | instskip(NEXT) | instid1(VALU_DEP_1)
	v_cmp_lt_u32_e64 s1, v28, v47
	s_and_saveexec_b32 s3, s1
	s_cbranch_execz .LBB1746_232
; %bb.231:
	v_cmp_gt_i16_e64 s2, 0, v31
	s_delay_alu instid0(VALU_DEP_1) | instskip(NEXT) | instid1(VALU_DEP_1)
	v_cndmask_b32_e64 v28, 0x7fff, 0, s2
	v_xor_b32_e32 v28, v28, v31
	flat_store_b16 v[2:3], v28 offset:1024
.LBB1746_232:
	;; [unrolled: 13-line block ×7, first 2 shown]
	s_or_b32 exec_lo, exec_lo, s10
	v_lshlrev_b64 v[2:3], 3, v[26:27]
	v_add_co_u32 v0, s7, v6, v0
	s_delay_alu instid0(VALU_DEP_1) | instskip(NEXT) | instid1(VALU_DEP_2)
	v_add_co_ci_u32_e64 v1, s7, v7, v1, s7
	v_add_co_u32 v0, s7, v0, v2
	s_delay_alu instid0(VALU_DEP_1)
	v_add_co_ci_u32_e64 v1, s7, v1, v3, s7
	s_and_saveexec_b32 s7, vcc_lo
	s_cbranch_execnz .LBB1746_292
; %bb.243:
	s_or_b32 exec_lo, exec_lo, s7
	s_and_saveexec_b32 s7, s0
	s_cbranch_execnz .LBB1746_293
.LBB1746_244:
	s_or_b32 exec_lo, exec_lo, s7
	s_and_saveexec_b32 s0, s1
	s_cbranch_execnz .LBB1746_294
.LBB1746_245:
	s_or_b32 exec_lo, exec_lo, s0
	s_and_saveexec_b32 s0, s2
	s_cbranch_execnz .LBB1746_295
.LBB1746_246:
	s_or_b32 exec_lo, exec_lo, s0
	s_and_saveexec_b32 s0, s3
	s_cbranch_execnz .LBB1746_296
.LBB1746_247:
	s_or_b32 exec_lo, exec_lo, s0
	s_and_saveexec_b32 s0, s4
	s_cbranch_execnz .LBB1746_297
.LBB1746_248:
	s_or_b32 exec_lo, exec_lo, s0
	s_and_saveexec_b32 s0, s5
	s_cbranch_execnz .LBB1746_298
.LBB1746_249:
	s_or_b32 exec_lo, exec_lo, s0
	s_and_saveexec_b32 s0, s6
	s_cbranch_execz .LBB1746_251
.LBB1746_250:
	v_add_co_u32 v0, vcc_lo, 0x3000, v0
	v_add_co_ci_u32_e32 v1, vcc_lo, 0, v1, vcc_lo
	flat_store_b64 v[0:1], v[4:5] offset:2048
.LBB1746_251:
	s_or_b32 exec_lo, exec_lo, s0
                                        ; implicit-def: $vgpr47
                                        ; implicit-def: $vgpr0
                                        ; implicit-def: $vgpr1
                                        ; implicit-def: $vgpr2
                                        ; implicit-def: $vgpr3
                                        ; implicit-def: $vgpr4
                                        ; implicit-def: $vgpr5
                                        ; implicit-def: $vgpr6
                                        ; implicit-def: $vgpr7
                                        ; implicit-def: $vgpr8
                                        ; implicit-def: $vgpr10
                                        ; implicit-def: $vgpr11
                                        ; implicit-def: $vgpr12
                                        ; implicit-def: $vgpr13
                                        ; implicit-def: $vgpr14
                                        ; implicit-def: $vgpr15
                                        ; implicit-def: $vgpr34
                                        ; implicit-def: $vgpr16
.LBB1746_252:
	s_and_not1_saveexec_b32 s0, s19
	s_cbranch_execz .LBB1746_372
; %bb.253:
	s_mov_b32 s0, exec_lo
	v_cmpx_lt_u32_e32 0x200, v47
	s_xor_b32 s19, exec_lo, s0
	s_cbranch_execz .LBB1746_313
; %bb.254:
	s_load_b64 s[0:1], s[8:9], 0x0
	v_mov_b32_e32 v9, 0
	s_waitcnt lgkmcnt(0)
	s_cmp_lt_u32 s13, s1
	s_cselect_b32 s1, 14, 20
	s_delay_alu instid0(SALU_CYCLE_1) | instskip(SKIP_4) | instid1(SALU_CYCLE_1)
	s_add_u32 s2, s8, s1
	s_addc_u32 s3, s9, 0
	s_cmp_lt_u32 s12, s0
	global_load_u16 v17, v9, s[2:3]
	s_cselect_b32 s0, 12, 18
	s_add_u32 s0, s8, s0
	s_addc_u32 s1, s9, 0
	global_load_u16 v18, v9, s[0:1]
	s_waitcnt vmcnt(1)
	v_mad_u32_u24 v14, v15, v17, v14
	v_mov_b32_e32 v17, -1
	s_waitcnt vmcnt(0)
	s_delay_alu instid0(VALU_DEP_2) | instskip(SKIP_1) | instid1(VALU_DEP_2)
	v_mad_u64_u32 v[35:36], null, v14, v18, v[34:35]
	v_lshlrev_b32_e32 v18, 1, v16
	v_lshlrev_b32_e32 v14, 2, v35
	v_lshlrev_b64 v[37:38], 1, v[8:9]
	s_delay_alu instid0(VALU_DEP_2) | instskip(NEXT) | instid1(VALU_DEP_2)
	v_dual_mov_b32 v15, v9 :: v_dual_and_b32 v14, 0xffffff80, v14
	v_add_co_u32 v19, vcc_lo, v0, v37
	s_delay_alu instid0(VALU_DEP_3) | instskip(NEXT) | instid1(VALU_DEP_3)
	v_add_co_ci_u32_e32 v20, vcc_lo, v1, v38, vcc_lo
	v_lshlrev_b64 v[0:1], 1, v[14:15]
	s_delay_alu instid0(VALU_DEP_3) | instskip(SKIP_1) | instid1(VALU_DEP_4)
	v_add_co_u32 v18, vcc_lo, v19, v18
	v_or_b32_e32 v21, v14, v16
	v_add_co_ci_u32_e32 v19, vcc_lo, 0, v20, vcc_lo
	s_delay_alu instid0(VALU_DEP_3) | instskip(NEXT) | instid1(VALU_DEP_3)
	v_add_co_u32 v0, vcc_lo, v18, v0
	v_cmp_lt_u32_e64 s1, v21, v47
	s_delay_alu instid0(VALU_DEP_3) | instskip(SKIP_1) | instid1(VALU_DEP_3)
	v_add_co_ci_u32_e32 v1, vcc_lo, v19, v1, vcc_lo
	v_mov_b32_e32 v18, -1
	s_and_saveexec_b32 s0, s1
	s_cbranch_execz .LBB1746_256
; %bb.255:
	flat_load_u16 v18, v[0:1]
.LBB1746_256:
	s_or_b32 exec_lo, exec_lo, s0
	v_or_b32_e32 v19, 32, v21
	s_delay_alu instid0(VALU_DEP_1) | instskip(NEXT) | instid1(VALU_DEP_1)
	v_cmp_lt_u32_e64 s2, v19, v47
	s_and_saveexec_b32 s0, s2
	s_cbranch_execz .LBB1746_258
; %bb.257:
	flat_load_u16 v17, v[0:1] offset:64
.LBB1746_258:
	s_or_b32 exec_lo, exec_lo, s0
	v_or_b32_e32 v20, 64, v21
	v_mov_b32_e32 v19, -1
	s_delay_alu instid0(VALU_DEP_2) | instskip(SKIP_1) | instid1(VALU_DEP_2)
	v_cmp_lt_u32_e64 s0, v20, v47
	v_mov_b32_e32 v20, -1
	s_and_saveexec_b32 s3, s0
	s_cbranch_execz .LBB1746_260
; %bb.259:
	flat_load_u16 v20, v[0:1] offset:128
.LBB1746_260:
	s_or_b32 exec_lo, exec_lo, s3
	v_or_b32_e32 v21, 0x60, v21
	s_delay_alu instid0(VALU_DEP_1)
	v_cmp_lt_u32_e32 vcc_lo, v21, v47
	s_and_saveexec_b32 s3, vcc_lo
	s_cbranch_execz .LBB1746_262
; %bb.261:
	flat_load_u16 v19, v[0:1] offset:192
.LBB1746_262:
	s_or_b32 exec_lo, exec_lo, s3
	v_lshlrev_b64 v[0:1], 3, v[8:9]
	v_lshlrev_b32_e32 v8, 3, v16
                                        ; implicit-def: $vgpr22_vgpr23_vgpr24_vgpr25_vgpr26_vgpr27_vgpr28_vgpr29
	s_delay_alu instid0(VALU_DEP_2) | instskip(NEXT) | instid1(VALU_DEP_1)
	v_add_co_u32 v9, s3, v4, v0
	v_add_co_ci_u32_e64 v21, s3, v5, v1, s3
	v_lshlrev_b64 v[4:5], 3, v[14:15]
	s_delay_alu instid0(VALU_DEP_3) | instskip(NEXT) | instid1(VALU_DEP_1)
	v_add_co_u32 v8, s3, v9, v8
	v_add_co_ci_u32_e64 v9, s3, 0, v21, s3
	s_delay_alu instid0(VALU_DEP_2) | instskip(NEXT) | instid1(VALU_DEP_1)
	v_add_co_u32 v4, s3, v8, v4
	v_add_co_ci_u32_e64 v5, s3, v9, v5, s3
	s_and_saveexec_b32 s3, s1
	s_cbranch_execnz .LBB1746_337
; %bb.263:
	s_or_b32 exec_lo, exec_lo, s3
	s_and_saveexec_b32 s1, s2
	s_cbranch_execnz .LBB1746_338
.LBB1746_264:
	s_or_b32 exec_lo, exec_lo, s1
	s_and_saveexec_b32 s1, s0
	s_cbranch_execnz .LBB1746_339
.LBB1746_265:
	s_or_b32 exec_lo, exec_lo, s1
	s_and_saveexec_b32 s0, vcc_lo
	s_cbranch_execz .LBB1746_267
.LBB1746_266:
	flat_load_b64 v[28:29], v[4:5] offset:768
.LBB1746_267:
	s_or_b32 exec_lo, exec_lo, s0
	s_waitcnt vmcnt(0) lgkmcnt(0)
	v_cmp_gt_i16_e32 vcc_lo, 0, v18
	s_mov_b32 s20, 0
	s_getpc_b64 s[0:1]
	s_add_u32 s0, s0, _ZN7rocprim17ROCPRIM_400000_NS16block_radix_sortI6__halfLj256ELj4ElLj1ELj1ELj8ELNS0_26block_radix_rank_algorithmE2ELNS0_18block_padding_hintE2ELNS0_4arch9wavefront6targetE0EE19radix_bits_per_passE@rel32@lo+4
	s_addc_u32 s1, s1, _ZN7rocprim17ROCPRIM_400000_NS16block_radix_sortI6__halfLj256ELj4ElLj1ELj1ELj8ELNS0_26block_radix_rank_algorithmE2ELNS0_18block_padding_hintE2ELNS0_4arch9wavefront6targetE0EE19radix_bits_per_passE@rel32@hi+12
	s_mov_b32 s21, s20
	s_mov_b32 s22, s20
	v_cndmask_b32_e64 v4, 0x7fff, 0, vcc_lo
	v_cmp_gt_i16_e32 vcc_lo, 0, v17
	s_mov_b32 s23, s20
	s_delay_alu instid0(SALU_CYCLE_1) | instskip(NEXT) | instid1(VALU_DEP_3)
	v_dual_mov_b32 v33, s23 :: v_dual_and_b32 v14, 15, v16
	v_xor_b32_e32 v113, v4, v18
	v_cndmask_b32_e64 v5, 0x7fff, 0, vcc_lo
	v_cmp_gt_i16_e32 vcc_lo, 0, v20
	v_lshlrev_b32_e32 v4, 5, v34
	v_dual_mov_b32 v32, s22 :: v_dual_and_b32 v15, 0x3e0, v34
	s_delay_alu instid0(VALU_DEP_4)
	v_xor_b32_e32 v69, v5, v17
	v_cndmask_b32_e64 v8, 0x7fff, 0, vcc_lo
	v_cmp_gt_i16_e32 vcc_lo, 0, v19
	v_add_nc_u32_e32 v17, -1, v16
	v_mov_b32_e32 v5, 0
	s_load_b32 s25, s[0:1], 0x0
	v_xor_b32_e32 v71, v8, v20
	v_cndmask_b32_e64 v9, 0x7fff, 0, vcc_lo
	v_add_co_u32 v36, vcc_lo, v12, 32
	v_add_co_ci_u32_e32 v39, vcc_lo, 0, v13, vcc_lo
	v_add_co_u32 v8, vcc_lo, v12, v4
	v_cmp_gt_i32_e64 s4, 0, v17
	v_xor_b32_e32 v112, v9, v19
	v_add_co_ci_u32_e32 v9, vcc_lo, 0, v13, vcc_lo
	v_add_co_u32 v48, vcc_lo, v36, v4
	v_add_co_ci_u32_e32 v49, vcc_lo, 0, v39, vcc_lo
	v_cmp_eq_u32_e32 vcc_lo, 0, v14
	v_cmp_lt_u32_e64 s0, 1, v14
	v_cmp_lt_u32_e64 s1, 3, v14
	;; [unrolled: 1-line block ×3, first 2 shown]
	v_cndmask_b32_e64 v14, v17, v16, s4
	v_min_u32_e32 v4, 0xe0, v15
	v_dual_mov_b32 v30, s20 :: v_dual_and_b32 v15, 16, v16
	v_cmp_eq_u32_e64 s7, 0, v16
	s_delay_alu instid0(VALU_DEP_4)
	v_dual_mov_b32 v31, s21 :: v_dual_lshlrev_b32 v98, 2, v14
	v_lshlrev_b32_e32 v14, 2, v34
	v_or_b32_e32 v4, 31, v4
	v_cmp_eq_u32_e64 s3, 0, v15
	v_lshrrev_b32_e32 v15, 5, v34
	v_and_b32_e32 v17, 7, v16
	v_and_or_b32 v16, 0xf80, v14, v16
	v_cmp_eq_u32_e64 s4, v4, v34
	v_lshrrev_b32_e32 v87, 5, v35
	v_lshlrev_b32_e32 v4, 2, v15
	v_cmp_gt_u32_e64 s5, 8, v34
	v_lshlrev_b32_e32 v18, 1, v16
	v_cmp_lt_u32_e64 s6, 31, v34
	v_cmp_eq_u32_e64 s10, 0, v34
	v_add_co_u32 v50, s11, v12, v4
	v_add_nc_u32_e32 v4, -1, v15
	v_add_co_u32 v54, s16, v12, v18
	v_add_co_ci_u32_e64 v51, s11, 0, v13, s11
	v_add_co_u32 v52, s11, v12, v14
	s_delay_alu instid0(VALU_DEP_4) | instskip(SKIP_3) | instid1(VALU_DEP_3)
	v_lshlrev_b64 v[14:15], 2, v[4:5]
	v_add_co_ci_u32_e64 v55, s16, 0, v13, s16
	v_add_co_ci_u32_e64 v53, s11, 0, v13, s11
	v_cmp_eq_u32_e64 s11, 0, v17
	v_mad_u64_u32 v[66:67], null, v16, 6, v[54:55]
	v_add_co_u32 v64, s16, v12, v14
	v_cmp_lt_u32_e64 s14, 1, v17
	v_cmp_lt_u32_e64 s15, 3, v17
	v_add_co_ci_u32_e64 v65, s16, v13, v15, s16
	v_sub_nc_u32_e32 v99, v11, v10
	s_waitcnt lgkmcnt(0)
	s_waitcnt_vscnt null, 0x0
	s_barrier
	buffer_gl0_inv
	s_branch .LBB1746_269
.LBB1746_268:                           ;   in Loop: Header=BB1746_269 Depth=1
	s_or_b32 exec_lo, exec_lo, s17
	s_delay_alu instid0(SALU_CYCLE_1) | instskip(NEXT) | instid1(SALU_CYCLE_1)
	s_and_b32 s16, exec_lo, s18
	s_or_b32 s20, s16, s20
	s_delay_alu instid0(SALU_CYCLE_1)
	s_and_not1_b32 exec_lo, exec_lo, s20
	s_cbranch_execz .LBB1746_299
.LBB1746_269:                           ; =>This Inner Loop Header: Depth=1
	v_mov_b32_e32 v100, v113
	v_min_u32_e32 v4, s25, v99
	v_mov_b32_e32 v102, v71
	s_clause 0x1
	flat_store_b128 v[8:9], v[30:33] offset:32
	flat_store_b128 v[48:49], v[30:33] offset:16
	s_waitcnt lgkmcnt(0)
	s_waitcnt_vscnt null, 0x0
	v_cmp_ne_u16_e64 s16, 0x8000, v100
	v_lshlrev_b32_e64 v4, v4, -1
	s_barrier
	buffer_gl0_inv
	v_cndmask_b32_e64 v14, 0x7fff, v100, s16
	v_not_b32_e32 v82, v4
	; wave barrier
	v_mov_b32_e32 v103, v69
	s_delay_alu instid0(VALU_DEP_3) | instskip(NEXT) | instid1(VALU_DEP_1)
	v_dual_mov_b32 v101, v112 :: v_dual_and_b32 v14, 0xffff, v14
	v_lshrrev_b32_e32 v4, v10, v14
	s_delay_alu instid0(VALU_DEP_1) | instskip(NEXT) | instid1(VALU_DEP_1)
	v_and_b32_e32 v4, v4, v82
	v_and_b32_e32 v14, 1, v4
	v_lshlrev_b32_e32 v15, 30, v4
	v_lshlrev_b32_e32 v16, 29, v4
	;; [unrolled: 1-line block ×4, first 2 shown]
	v_add_co_u32 v14, s16, v14, -1
	s_delay_alu instid0(VALU_DEP_1)
	v_cndmask_b32_e64 v18, 0, 1, s16
	v_not_b32_e32 v68, v15
	v_cmp_gt_i32_e64 s17, 0, v15
	v_not_b32_e32 v15, v16
	v_lshlrev_b32_e32 v20, 26, v4
	v_cmp_ne_u32_e64 s16, 0, v18
	v_ashrrev_i32_e32 v68, 31, v68
	v_lshlrev_b32_e32 v21, 25, v4
	v_ashrrev_i32_e32 v15, 31, v15
	v_lshlrev_b32_e32 v18, 24, v4
	v_xor_b32_e32 v14, s16, v14
	v_cmp_gt_i32_e64 s16, 0, v16
	v_not_b32_e32 v16, v17
	v_xor_b32_e32 v68, s17, v68
	v_cmp_gt_i32_e64 s17, 0, v17
	v_and_b32_e32 v14, exec_lo, v14
	v_not_b32_e32 v17, v19
	v_ashrrev_i32_e32 v16, 31, v16
	v_xor_b32_e32 v15, s16, v15
	v_cmp_gt_i32_e64 s16, 0, v19
	v_and_b32_e32 v14, v14, v68
	v_not_b32_e32 v19, v20
	v_ashrrev_i32_e32 v17, 31, v17
	v_xor_b32_e32 v16, s17, v16
	v_cmp_gt_i32_e64 s17, 0, v20
	v_and_b32_e32 v14, v14, v15
	v_not_b32_e32 v15, v21
	v_ashrrev_i32_e32 v19, 31, v19
	v_xor_b32_e32 v17, s16, v17
	v_cmp_gt_i32_e64 s16, 0, v21
	v_and_b32_e32 v14, v14, v16
	v_not_b32_e32 v16, v18
	v_ashrrev_i32_e32 v15, 31, v15
	v_xor_b32_e32 v19, s17, v19
	v_cmp_gt_i32_e64 s17, 0, v18
	v_and_b32_e32 v14, v14, v17
	v_ashrrev_i32_e32 v16, 31, v16
	v_xor_b32_e32 v15, s16, v15
	s_delay_alu instid0(VALU_DEP_3) | instskip(NEXT) | instid1(VALU_DEP_3)
	v_and_b32_e32 v14, v14, v19
	v_xor_b32_e32 v68, s17, v16
	s_delay_alu instid0(VALU_DEP_2)
	v_and_b32_e32 v70, v14, v15
	v_dual_mov_b32 v14, v22 :: v_dual_mov_b32 v15, v23
	v_dual_mov_b32 v16, v24 :: v_dual_mov_b32 v17, v25
	;; [unrolled: 1-line block ×4, first 2 shown]
	v_lshlrev_b32_e32 v23, 3, v4
	v_and_b32_e32 v22, v70, v68
	s_delay_alu instid0(VALU_DEP_2) | instskip(NEXT) | instid1(VALU_DEP_2)
	v_add_lshl_u32 v23, v23, v87, 2
	v_mbcnt_lo_u32_b32 v4, v22, 0
	v_cmp_ne_u32_e64 s16, 0, v22
	s_delay_alu instid0(VALU_DEP_3) | instskip(NEXT) | instid1(VALU_DEP_3)
	v_add_co_u32 v68, s18, v36, v23
	v_cmp_eq_u32_e64 s17, 0, v4
	v_add_co_ci_u32_e64 v69, s18, 0, v39, s18
	s_delay_alu instid0(VALU_DEP_2) | instskip(NEXT) | instid1(SALU_CYCLE_1)
	s_and_b32 s17, s16, s17
	s_and_saveexec_b32 s16, s17
	s_cbranch_execz .LBB1746_271
; %bb.270:                              ;   in Loop: Header=BB1746_269 Depth=1
	v_bcnt_u32_b32 v22, v22, 0
	flat_store_b32 v[68:69], v22
.LBB1746_271:                           ;   in Loop: Header=BB1746_269 Depth=1
	s_or_b32 exec_lo, exec_lo, s16
	v_cmp_ne_u16_e64 s16, 0x8000, v103
	; wave barrier
	s_delay_alu instid0(VALU_DEP_1) | instskip(NEXT) | instid1(VALU_DEP_1)
	v_cndmask_b32_e64 v22, 0x7fff, v103, s16
	v_and_b32_e32 v22, 0xffff, v22
	s_delay_alu instid0(VALU_DEP_1) | instskip(NEXT) | instid1(VALU_DEP_1)
	v_lshrrev_b32_e32 v22, v10, v22
	v_and_b32_e32 v22, v22, v82
	s_delay_alu instid0(VALU_DEP_1) | instskip(SKIP_3) | instid1(VALU_DEP_4)
	v_lshlrev_b32_e32 v23, 3, v22
	v_lshlrev_b32_e32 v25, 30, v22
	;; [unrolled: 1-line block ×4, first 2 shown]
	v_add_lshl_u32 v23, v23, v87, 2
	s_delay_alu instid0(VALU_DEP_1) | instskip(NEXT) | instid1(VALU_DEP_1)
	v_add_co_u32 v70, s16, v36, v23
	v_add_co_ci_u32_e64 v71, s16, 0, v39, s16
	v_and_b32_e32 v23, 1, v22
	flat_load_b32 v84, v[70:71]
	v_add_co_u32 v23, s16, v23, -1
	s_delay_alu instid0(VALU_DEP_1) | instskip(NEXT) | instid1(VALU_DEP_1)
	v_cndmask_b32_e64 v24, 0, 1, s16
	; wave barrier
	v_cmp_ne_u32_e64 s16, 0, v24
	v_not_b32_e32 v24, v25
	s_delay_alu instid0(VALU_DEP_2) | instskip(SKIP_1) | instid1(VALU_DEP_3)
	v_xor_b32_e32 v23, s16, v23
	v_cmp_gt_i32_e64 s16, 0, v25
	v_ashrrev_i32_e32 v24, 31, v24
	v_not_b32_e32 v25, v26
	s_delay_alu instid0(VALU_DEP_4) | instskip(NEXT) | instid1(VALU_DEP_3)
	v_and_b32_e32 v23, exec_lo, v23
	v_xor_b32_e32 v24, s16, v24
	v_cmp_gt_i32_e64 s16, 0, v26
	s_delay_alu instid0(VALU_DEP_4) | instskip(SKIP_1) | instid1(VALU_DEP_4)
	v_ashrrev_i32_e32 v25, 31, v25
	v_not_b32_e32 v26, v27
	v_and_b32_e32 v23, v23, v24
	v_lshlrev_b32_e32 v24, 27, v22
	s_delay_alu instid0(VALU_DEP_4) | instskip(SKIP_2) | instid1(VALU_DEP_4)
	v_xor_b32_e32 v25, s16, v25
	v_cmp_gt_i32_e64 s16, 0, v27
	v_ashrrev_i32_e32 v26, 31, v26
	v_not_b32_e32 v27, v24
	s_delay_alu instid0(VALU_DEP_4) | instskip(SKIP_1) | instid1(VALU_DEP_4)
	v_and_b32_e32 v23, v23, v25
	v_lshlrev_b32_e32 v25, 26, v22
	v_xor_b32_e32 v26, s16, v26
	v_cmp_gt_i32_e64 s16, 0, v24
	v_ashrrev_i32_e32 v24, 31, v27
	s_delay_alu instid0(VALU_DEP_4) | instskip(NEXT) | instid1(VALU_DEP_4)
	v_not_b32_e32 v27, v25
	v_and_b32_e32 v23, v23, v26
	v_lshlrev_b32_e32 v26, 25, v22
	s_delay_alu instid0(VALU_DEP_4)
	v_xor_b32_e32 v24, s16, v24
	v_cmp_gt_i32_e64 s16, 0, v25
	v_ashrrev_i32_e32 v25, 31, v27
	v_lshlrev_b32_e32 v22, 24, v22
	v_not_b32_e32 v27, v26
	v_and_b32_e32 v23, v23, v24
	s_delay_alu instid0(VALU_DEP_4) | instskip(SKIP_1) | instid1(VALU_DEP_4)
	v_xor_b32_e32 v24, s16, v25
	v_cmp_gt_i32_e64 s16, 0, v26
	v_ashrrev_i32_e32 v25, 31, v27
	v_not_b32_e32 v26, v22
	s_delay_alu instid0(VALU_DEP_4) | instskip(NEXT) | instid1(VALU_DEP_3)
	v_and_b32_e32 v23, v23, v24
	v_xor_b32_e32 v24, s16, v25
	v_cmp_gt_i32_e64 s16, 0, v22
	s_delay_alu instid0(VALU_DEP_4) | instskip(NEXT) | instid1(VALU_DEP_3)
	v_ashrrev_i32_e32 v22, 31, v26
	v_and_b32_e32 v23, v23, v24
	s_delay_alu instid0(VALU_DEP_2) | instskip(NEXT) | instid1(VALU_DEP_1)
	v_xor_b32_e32 v22, s16, v22
	v_and_b32_e32 v22, v23, v22
	s_delay_alu instid0(VALU_DEP_1) | instskip(SKIP_1) | instid1(VALU_DEP_2)
	v_mbcnt_lo_u32_b32 v85, v22, 0
	v_cmp_ne_u32_e64 s17, 0, v22
	v_cmp_eq_u32_e64 s16, 0, v85
	s_delay_alu instid0(VALU_DEP_1) | instskip(NEXT) | instid1(SALU_CYCLE_1)
	s_and_b32 s17, s17, s16
	s_and_saveexec_b32 s16, s17
	s_cbranch_execz .LBB1746_273
; %bb.272:                              ;   in Loop: Header=BB1746_269 Depth=1
	s_waitcnt vmcnt(0) lgkmcnt(0)
	v_bcnt_u32_b32 v22, v22, v84
	flat_store_b32 v[70:71], v22
.LBB1746_273:                           ;   in Loop: Header=BB1746_269 Depth=1
	s_or_b32 exec_lo, exec_lo, s16
	v_cmp_ne_u16_e64 s16, 0x8000, v102
	; wave barrier
	s_delay_alu instid0(VALU_DEP_1) | instskip(NEXT) | instid1(VALU_DEP_1)
	v_cndmask_b32_e64 v22, 0x7fff, v102, s16
	v_and_b32_e32 v22, 0xffff, v22
	s_delay_alu instid0(VALU_DEP_1) | instskip(NEXT) | instid1(VALU_DEP_1)
	v_lshrrev_b32_e32 v22, v10, v22
	v_and_b32_e32 v22, v22, v82
	s_delay_alu instid0(VALU_DEP_1) | instskip(SKIP_3) | instid1(VALU_DEP_4)
	v_lshlrev_b32_e32 v23, 3, v22
	v_lshlrev_b32_e32 v25, 30, v22
	;; [unrolled: 1-line block ×4, first 2 shown]
	v_add_lshl_u32 v23, v23, v87, 2
	s_delay_alu instid0(VALU_DEP_1) | instskip(NEXT) | instid1(VALU_DEP_1)
	v_add_co_u32 v80, s16, v36, v23
	v_add_co_ci_u32_e64 v81, s16, 0, v39, s16
	v_and_b32_e32 v23, 1, v22
	flat_load_b32 v86, v[80:81]
	v_add_co_u32 v23, s16, v23, -1
	s_delay_alu instid0(VALU_DEP_1) | instskip(NEXT) | instid1(VALU_DEP_1)
	v_cndmask_b32_e64 v24, 0, 1, s16
	; wave barrier
	v_cmp_ne_u32_e64 s16, 0, v24
	v_not_b32_e32 v24, v25
	s_delay_alu instid0(VALU_DEP_2) | instskip(SKIP_1) | instid1(VALU_DEP_3)
	v_xor_b32_e32 v23, s16, v23
	v_cmp_gt_i32_e64 s16, 0, v25
	v_ashrrev_i32_e32 v24, 31, v24
	v_not_b32_e32 v25, v26
	s_delay_alu instid0(VALU_DEP_4) | instskip(NEXT) | instid1(VALU_DEP_3)
	v_and_b32_e32 v23, exec_lo, v23
	v_xor_b32_e32 v24, s16, v24
	v_cmp_gt_i32_e64 s16, 0, v26
	s_delay_alu instid0(VALU_DEP_4) | instskip(SKIP_1) | instid1(VALU_DEP_4)
	v_ashrrev_i32_e32 v25, 31, v25
	v_not_b32_e32 v26, v27
	v_and_b32_e32 v23, v23, v24
	v_lshlrev_b32_e32 v24, 27, v22
	s_delay_alu instid0(VALU_DEP_4) | instskip(SKIP_2) | instid1(VALU_DEP_4)
	v_xor_b32_e32 v25, s16, v25
	v_cmp_gt_i32_e64 s16, 0, v27
	v_ashrrev_i32_e32 v26, 31, v26
	v_not_b32_e32 v27, v24
	s_delay_alu instid0(VALU_DEP_4) | instskip(SKIP_1) | instid1(VALU_DEP_4)
	v_and_b32_e32 v23, v23, v25
	v_lshlrev_b32_e32 v25, 26, v22
	v_xor_b32_e32 v26, s16, v26
	v_cmp_gt_i32_e64 s16, 0, v24
	v_ashrrev_i32_e32 v24, 31, v27
	s_delay_alu instid0(VALU_DEP_4) | instskip(NEXT) | instid1(VALU_DEP_4)
	v_not_b32_e32 v27, v25
	v_and_b32_e32 v23, v23, v26
	v_lshlrev_b32_e32 v26, 25, v22
	s_delay_alu instid0(VALU_DEP_4)
	v_xor_b32_e32 v24, s16, v24
	v_cmp_gt_i32_e64 s16, 0, v25
	v_ashrrev_i32_e32 v25, 31, v27
	v_lshlrev_b32_e32 v22, 24, v22
	v_not_b32_e32 v27, v26
	v_and_b32_e32 v23, v23, v24
	s_delay_alu instid0(VALU_DEP_4) | instskip(SKIP_1) | instid1(VALU_DEP_4)
	v_xor_b32_e32 v24, s16, v25
	v_cmp_gt_i32_e64 s16, 0, v26
	v_ashrrev_i32_e32 v25, 31, v27
	v_not_b32_e32 v26, v22
	s_delay_alu instid0(VALU_DEP_4) | instskip(NEXT) | instid1(VALU_DEP_3)
	v_and_b32_e32 v23, v23, v24
	v_xor_b32_e32 v24, s16, v25
	v_cmp_gt_i32_e64 s16, 0, v22
	s_delay_alu instid0(VALU_DEP_4) | instskip(NEXT) | instid1(VALU_DEP_3)
	v_ashrrev_i32_e32 v22, 31, v26
	v_and_b32_e32 v23, v23, v24
	s_delay_alu instid0(VALU_DEP_2) | instskip(NEXT) | instid1(VALU_DEP_1)
	v_xor_b32_e32 v22, s16, v22
	v_and_b32_e32 v22, v23, v22
	s_delay_alu instid0(VALU_DEP_1) | instskip(SKIP_1) | instid1(VALU_DEP_2)
	v_mbcnt_lo_u32_b32 v96, v22, 0
	v_cmp_ne_u32_e64 s17, 0, v22
	v_cmp_eq_u32_e64 s16, 0, v96
	s_delay_alu instid0(VALU_DEP_1) | instskip(NEXT) | instid1(SALU_CYCLE_1)
	s_and_b32 s17, s17, s16
	s_and_saveexec_b32 s16, s17
	s_cbranch_execz .LBB1746_275
; %bb.274:                              ;   in Loop: Header=BB1746_269 Depth=1
	s_waitcnt vmcnt(0) lgkmcnt(0)
	v_bcnt_u32_b32 v22, v22, v86
	flat_store_b32 v[80:81], v22
.LBB1746_275:                           ;   in Loop: Header=BB1746_269 Depth=1
	s_or_b32 exec_lo, exec_lo, s16
	v_cmp_ne_u16_e64 s16, 0x8000, v101
	; wave barrier
	s_delay_alu instid0(VALU_DEP_1) | instskip(NEXT) | instid1(VALU_DEP_1)
	v_cndmask_b32_e64 v22, 0x7fff, v101, s16
	v_and_b32_e32 v22, 0xffff, v22
	s_delay_alu instid0(VALU_DEP_1) | instskip(NEXT) | instid1(VALU_DEP_1)
	v_lshrrev_b32_e32 v22, v10, v22
	v_and_b32_e32 v22, v22, v82
	s_delay_alu instid0(VALU_DEP_1) | instskip(SKIP_3) | instid1(VALU_DEP_4)
	v_lshlrev_b32_e32 v23, 3, v22
	v_lshlrev_b32_e32 v25, 30, v22
	;; [unrolled: 1-line block ×4, first 2 shown]
	v_add_lshl_u32 v23, v23, v87, 2
	s_delay_alu instid0(VALU_DEP_1) | instskip(NEXT) | instid1(VALU_DEP_1)
	v_add_co_u32 v82, s16, v36, v23
	v_add_co_ci_u32_e64 v83, s16, 0, v39, s16
	v_and_b32_e32 v23, 1, v22
	flat_load_b32 v97, v[82:83]
	v_add_co_u32 v23, s16, v23, -1
	s_delay_alu instid0(VALU_DEP_1) | instskip(NEXT) | instid1(VALU_DEP_1)
	v_cndmask_b32_e64 v24, 0, 1, s16
	; wave barrier
	v_cmp_ne_u32_e64 s16, 0, v24
	v_not_b32_e32 v24, v25
	s_delay_alu instid0(VALU_DEP_2) | instskip(SKIP_1) | instid1(VALU_DEP_3)
	v_xor_b32_e32 v23, s16, v23
	v_cmp_gt_i32_e64 s16, 0, v25
	v_ashrrev_i32_e32 v24, 31, v24
	v_not_b32_e32 v25, v26
	s_delay_alu instid0(VALU_DEP_4) | instskip(NEXT) | instid1(VALU_DEP_3)
	v_and_b32_e32 v23, exec_lo, v23
	v_xor_b32_e32 v24, s16, v24
	v_cmp_gt_i32_e64 s16, 0, v26
	s_delay_alu instid0(VALU_DEP_4) | instskip(SKIP_1) | instid1(VALU_DEP_4)
	v_ashrrev_i32_e32 v25, 31, v25
	v_not_b32_e32 v26, v27
	v_and_b32_e32 v23, v23, v24
	v_lshlrev_b32_e32 v24, 27, v22
	s_delay_alu instid0(VALU_DEP_4) | instskip(SKIP_2) | instid1(VALU_DEP_4)
	v_xor_b32_e32 v25, s16, v25
	v_cmp_gt_i32_e64 s16, 0, v27
	v_ashrrev_i32_e32 v26, 31, v26
	v_not_b32_e32 v27, v24
	s_delay_alu instid0(VALU_DEP_4) | instskip(SKIP_1) | instid1(VALU_DEP_4)
	v_and_b32_e32 v23, v23, v25
	v_lshlrev_b32_e32 v25, 26, v22
	v_xor_b32_e32 v26, s16, v26
	v_cmp_gt_i32_e64 s16, 0, v24
	v_ashrrev_i32_e32 v24, 31, v27
	s_delay_alu instid0(VALU_DEP_4) | instskip(NEXT) | instid1(VALU_DEP_4)
	v_not_b32_e32 v27, v25
	v_and_b32_e32 v23, v23, v26
	v_lshlrev_b32_e32 v26, 25, v22
	s_delay_alu instid0(VALU_DEP_4)
	v_xor_b32_e32 v24, s16, v24
	v_cmp_gt_i32_e64 s16, 0, v25
	v_ashrrev_i32_e32 v25, 31, v27
	v_lshlrev_b32_e32 v22, 24, v22
	v_not_b32_e32 v27, v26
	v_and_b32_e32 v23, v23, v24
	s_delay_alu instid0(VALU_DEP_4) | instskip(SKIP_1) | instid1(VALU_DEP_4)
	v_xor_b32_e32 v24, s16, v25
	v_cmp_gt_i32_e64 s16, 0, v26
	v_ashrrev_i32_e32 v25, 31, v27
	v_not_b32_e32 v26, v22
	s_delay_alu instid0(VALU_DEP_4) | instskip(NEXT) | instid1(VALU_DEP_3)
	v_and_b32_e32 v23, v23, v24
	v_xor_b32_e32 v24, s16, v25
	v_cmp_gt_i32_e64 s16, 0, v22
	s_delay_alu instid0(VALU_DEP_4) | instskip(NEXT) | instid1(VALU_DEP_3)
	v_ashrrev_i32_e32 v22, 31, v26
	v_and_b32_e32 v23, v23, v24
	s_delay_alu instid0(VALU_DEP_2) | instskip(NEXT) | instid1(VALU_DEP_1)
	v_xor_b32_e32 v22, s16, v22
	v_and_b32_e32 v22, v23, v22
	s_delay_alu instid0(VALU_DEP_1) | instskip(SKIP_1) | instid1(VALU_DEP_2)
	v_mbcnt_lo_u32_b32 v112, v22, 0
	v_cmp_ne_u32_e64 s17, 0, v22
	v_cmp_eq_u32_e64 s16, 0, v112
	s_delay_alu instid0(VALU_DEP_1) | instskip(NEXT) | instid1(SALU_CYCLE_1)
	s_and_b32 s17, s17, s16
	s_and_saveexec_b32 s16, s17
	s_cbranch_execz .LBB1746_277
; %bb.276:                              ;   in Loop: Header=BB1746_269 Depth=1
	s_waitcnt vmcnt(0) lgkmcnt(0)
	v_bcnt_u32_b32 v22, v22, v97
	flat_store_b32 v[82:83], v22
.LBB1746_277:                           ;   in Loop: Header=BB1746_269 Depth=1
	s_or_b32 exec_lo, exec_lo, s16
	; wave barrier
	s_waitcnt vmcnt(0) lgkmcnt(0)
	s_waitcnt_vscnt null, 0x0
	s_barrier
	buffer_gl0_inv
	s_clause 0x1
	flat_load_b128 v[26:29], v[8:9] offset:32
	flat_load_b128 v[22:25], v[48:49] offset:16
	s_waitcnt vmcnt(1) lgkmcnt(1)
	v_add_nc_u32_e32 v113, v27, v26
	s_delay_alu instid0(VALU_DEP_1) | instskip(SKIP_1) | instid1(VALU_DEP_1)
	v_add3_u32 v113, v113, v28, v29
	s_waitcnt vmcnt(0) lgkmcnt(0)
	v_add3_u32 v113, v113, v22, v23
	s_delay_alu instid0(VALU_DEP_1) | instskip(NEXT) | instid1(VALU_DEP_1)
	v_add3_u32 v25, v113, v24, v25
	v_mov_b32_dpp v113, v25 row_shr:1 row_mask:0xf bank_mask:0xf
	s_delay_alu instid0(VALU_DEP_1) | instskip(NEXT) | instid1(VALU_DEP_1)
	v_cndmask_b32_e64 v113, v113, 0, vcc_lo
	v_add_nc_u32_e32 v25, v113, v25
	s_delay_alu instid0(VALU_DEP_1) | instskip(NEXT) | instid1(VALU_DEP_1)
	v_mov_b32_dpp v113, v25 row_shr:2 row_mask:0xf bank_mask:0xf
	v_cndmask_b32_e64 v113, 0, v113, s0
	s_delay_alu instid0(VALU_DEP_1) | instskip(NEXT) | instid1(VALU_DEP_1)
	v_add_nc_u32_e32 v25, v25, v113
	v_mov_b32_dpp v113, v25 row_shr:4 row_mask:0xf bank_mask:0xf
	s_delay_alu instid0(VALU_DEP_1) | instskip(NEXT) | instid1(VALU_DEP_1)
	v_cndmask_b32_e64 v113, 0, v113, s1
	v_add_nc_u32_e32 v25, v25, v113
	s_delay_alu instid0(VALU_DEP_1) | instskip(NEXT) | instid1(VALU_DEP_1)
	v_mov_b32_dpp v113, v25 row_shr:8 row_mask:0xf bank_mask:0xf
	v_cndmask_b32_e64 v113, 0, v113, s2
	s_delay_alu instid0(VALU_DEP_1) | instskip(SKIP_3) | instid1(VALU_DEP_1)
	v_add_nc_u32_e32 v25, v25, v113
	ds_swizzle_b32 v113, v25 offset:swizzle(BROADCAST,32,15)
	s_waitcnt lgkmcnt(0)
	v_cndmask_b32_e64 v113, v113, 0, s3
	v_add_nc_u32_e32 v25, v25, v113
	s_and_saveexec_b32 s16, s4
	s_cbranch_execz .LBB1746_279
; %bb.278:                              ;   in Loop: Header=BB1746_269 Depth=1
	flat_store_b32 v[50:51], v25
.LBB1746_279:                           ;   in Loop: Header=BB1746_269 Depth=1
	s_or_b32 exec_lo, exec_lo, s16
	s_waitcnt lgkmcnt(0)
	s_waitcnt_vscnt null, 0x0
	s_barrier
	buffer_gl0_inv
	s_and_saveexec_b32 s16, s5
	s_cbranch_execz .LBB1746_281
; %bb.280:                              ;   in Loop: Header=BB1746_269 Depth=1
	flat_load_b32 v113, v[52:53]
	s_waitcnt vmcnt(0) lgkmcnt(0)
	v_mov_b32_dpp v114, v113 row_shr:1 row_mask:0xf bank_mask:0xf
	s_delay_alu instid0(VALU_DEP_1) | instskip(NEXT) | instid1(VALU_DEP_1)
	v_cndmask_b32_e64 v114, v114, 0, s11
	v_add_nc_u32_e32 v113, v114, v113
	s_delay_alu instid0(VALU_DEP_1) | instskip(NEXT) | instid1(VALU_DEP_1)
	v_mov_b32_dpp v114, v113 row_shr:2 row_mask:0xf bank_mask:0xf
	v_cndmask_b32_e64 v114, 0, v114, s14
	s_delay_alu instid0(VALU_DEP_1) | instskip(NEXT) | instid1(VALU_DEP_1)
	v_add_nc_u32_e32 v113, v113, v114
	v_mov_b32_dpp v114, v113 row_shr:4 row_mask:0xf bank_mask:0xf
	s_delay_alu instid0(VALU_DEP_1) | instskip(NEXT) | instid1(VALU_DEP_1)
	v_cndmask_b32_e64 v114, 0, v114, s15
	v_add_nc_u32_e32 v113, v113, v114
	flat_store_b32 v[52:53], v113
.LBB1746_281:                           ;   in Loop: Header=BB1746_269 Depth=1
	s_or_b32 exec_lo, exec_lo, s16
	v_mov_b32_e32 v113, 0
	s_waitcnt lgkmcnt(0)
	s_waitcnt_vscnt null, 0x0
	s_barrier
	buffer_gl0_inv
	s_and_saveexec_b32 s16, s6
	s_cbranch_execz .LBB1746_283
; %bb.282:                              ;   in Loop: Header=BB1746_269 Depth=1
	flat_load_b32 v113, v[64:65]
.LBB1746_283:                           ;   in Loop: Header=BB1746_269 Depth=1
	s_or_b32 exec_lo, exec_lo, s16
	s_waitcnt vmcnt(0) lgkmcnt(0)
	v_add_nc_u32_e32 v25, v113, v25
	v_add_nc_u32_e32 v10, 8, v10
	s_mov_b32 s18, -1
	ds_bpermute_b32 v25, v98, v25
	s_waitcnt lgkmcnt(0)
	v_cndmask_b32_e64 v25, v25, v113, s7
	s_delay_alu instid0(VALU_DEP_1) | instskip(NEXT) | instid1(VALU_DEP_1)
	v_cndmask_b32_e64 v25, v25, 0, s10
	v_add_nc_u32_e32 v26, v25, v26
	s_delay_alu instid0(VALU_DEP_1) | instskip(NEXT) | instid1(VALU_DEP_1)
	v_add_nc_u32_e32 v27, v26, v27
	v_add_nc_u32_e32 v28, v27, v28
	s_delay_alu instid0(VALU_DEP_1) | instskip(NEXT) | instid1(VALU_DEP_1)
	v_add_nc_u32_e32 v113, v28, v29
	;; [unrolled: 3-line block ×3, first 2 shown]
	v_add_nc_u32_e32 v116, v115, v24
	s_clause 0x1
	flat_store_b128 v[8:9], v[25:28] offset:32
	flat_store_b128 v[48:49], v[113:116] offset:16
	s_waitcnt lgkmcnt(0)
	s_waitcnt_vscnt null, 0x0
	s_barrier
	buffer_gl0_inv
	s_clause 0x3
	flat_load_b32 v22, v[68:69]
	flat_load_b32 v23, v[70:71]
	;; [unrolled: 1-line block ×4, first 2 shown]
	v_mov_b32_e32 v71, v5
	v_mov_b32_e32 v69, v5
	;; [unrolled: 1-line block ×3, first 2 shown]
	s_waitcnt vmcnt(0) lgkmcnt(0)
	s_waitcnt_vscnt null, 0x0
                                        ; implicit-def: $vgpr113
	s_waitcnt vmcnt(3) lgkmcnt(3)
	v_add_nc_u32_e32 v4, v22, v4
	s_waitcnt vmcnt(2) lgkmcnt(2)
	v_add3_u32 v68, v85, v84, v23
	s_waitcnt vmcnt(1) lgkmcnt(1)
	v_add3_u32 v70, v96, v86, v24
	;; [unrolled: 2-line block ×3, first 2 shown]
                                        ; implicit-def: $vgpr112
	v_lshlrev_b64 v[22:23], 1, v[4:5]
	v_lshlrev_b64 v[24:25], 1, v[68:69]
	;; [unrolled: 1-line block ×3, first 2 shown]
	s_delay_alu instid0(VALU_DEP_4) | instskip(NEXT) | instid1(VALU_DEP_4)
	v_lshlrev_b64 v[28:29], 1, v[80:81]
                                        ; implicit-def: $vgpr69
                                        ; implicit-def: $vgpr71
	v_add_co_u32 v96, s17, v12, v22
	s_delay_alu instid0(VALU_DEP_1) | instskip(SKIP_1) | instid1(VALU_DEP_1)
	v_add_co_ci_u32_e64 v97, s17, v13, v23, s17
	v_add_co_u32 v85, s17, v12, v24
	v_add_co_ci_u32_e64 v86, s17, v13, v25, s17
	v_add_co_u32 v83, s17, v12, v26
	s_delay_alu instid0(VALU_DEP_1) | instskip(SKIP_1) | instid1(VALU_DEP_1)
	v_add_co_ci_u32_e64 v84, s17, v13, v27, s17
	v_add_co_u32 v81, s17, v12, v28
	v_add_co_ci_u32_e64 v82, s17, v13, v29, s17
	s_mov_b32 s17, exec_lo
                                        ; implicit-def: $vgpr22_vgpr23_vgpr24_vgpr25_vgpr26_vgpr27_vgpr28_vgpr29
	v_cmpx_lt_u32_e64 v10, v11
	s_cbranch_execz .LBB1746_268
; %bb.284:                              ;   in Loop: Header=BB1746_269 Depth=1
	v_mad_u64_u32 v[22:23], null, v4, 6, v[96:97]
	v_mad_u64_u32 v[24:25], null, v68, 6, v[85:86]
	;; [unrolled: 1-line block ×4, first 2 shown]
	s_barrier
	buffer_gl0_inv
	s_clause 0x3
	flat_store_b16 v[96:97], v100
	flat_store_b16 v[85:86], v103
	;; [unrolled: 1-line block ×4, first 2 shown]
	s_waitcnt lgkmcnt(0)
	s_waitcnt_vscnt null, 0x0
	s_barrier
	buffer_gl0_inv
	s_clause 0x3
	flat_load_u16 v113, v[54:55]
	flat_load_u16 v69, v[54:55] offset:64
	flat_load_u16 v71, v[54:55] offset:128
	;; [unrolled: 1-line block ×3, first 2 shown]
	s_waitcnt vmcnt(0) lgkmcnt(0)
	s_barrier
	buffer_gl0_inv
	s_clause 0x3
	flat_store_b64 v[22:23], v[14:15]
	flat_store_b64 v[24:25], v[16:17]
	flat_store_b64 v[26:27], v[18:19]
	flat_store_b64 v[28:29], v[20:21]
	s_waitcnt lgkmcnt(0)
	s_waitcnt_vscnt null, 0x0
	s_barrier
	buffer_gl0_inv
	s_clause 0x3
	flat_load_b64 v[22:23], v[66:67]
	flat_load_b64 v[24:25], v[66:67] offset:256
	flat_load_b64 v[26:27], v[66:67] offset:512
	flat_load_b64 v[28:29], v[66:67] offset:768
	v_add_nc_u32_e32 v99, -8, v99
	s_xor_b32 s18, exec_lo, -1
	s_waitcnt vmcnt(0) lgkmcnt(0)
	s_barrier
	buffer_gl0_inv
	s_branch .LBB1746_268
.LBB1746_285:
	flat_load_b64 v[20:21], v[4:5]
	s_or_b32 exec_lo, exec_lo, s7
                                        ; implicit-def: $vgpr24_vgpr25
	s_and_saveexec_b32 s7, s0
	s_cbranch_execz .LBB1746_163
.LBB1746_286:
	flat_load_b64 v[24:25], v[4:5] offset:256
	s_or_b32 exec_lo, exec_lo, s7
                                        ; implicit-def: $vgpr84_vgpr85
	s_and_saveexec_b32 s0, s1
	s_cbranch_execz .LBB1746_164
.LBB1746_287:
	flat_load_b64 v[84:85], v[4:5] offset:512
	s_or_b32 exec_lo, exec_lo, s0
                                        ; implicit-def: $vgpr86_vgpr87
	s_and_saveexec_b32 s0, s2
	s_cbranch_execz .LBB1746_165
.LBB1746_288:
	flat_load_b64 v[86:87], v[4:5] offset:768
	s_or_b32 exec_lo, exec_lo, s0
                                        ; implicit-def: $vgpr96_vgpr97
	s_and_saveexec_b32 s0, s3
	s_cbranch_execz .LBB1746_166
.LBB1746_289:
	flat_load_b64 v[96:97], v[4:5] offset:1024
	s_or_b32 exec_lo, exec_lo, s0
                                        ; implicit-def: $vgpr98_vgpr99
	s_and_saveexec_b32 s0, s4
	s_cbranch_execz .LBB1746_167
.LBB1746_290:
	flat_load_b64 v[98:99], v[4:5] offset:1280
	s_or_b32 exec_lo, exec_lo, s0
                                        ; implicit-def: $vgpr18_vgpr19
	s_and_saveexec_b32 s0, s5
	s_cbranch_execz .LBB1746_168
.LBB1746_291:
	flat_load_b64 v[18:19], v[4:5] offset:1536
	s_or_b32 exec_lo, exec_lo, s0
                                        ; implicit-def: $vgpr22_vgpr23
	s_and_saveexec_b32 s0, s6
	s_cbranch_execnz .LBB1746_169
	s_branch .LBB1746_170
.LBB1746_292:
	flat_store_b64 v[0:1], v[20:21]
	s_or_b32 exec_lo, exec_lo, s7
	s_and_saveexec_b32 s7, s0
	s_cbranch_execz .LBB1746_244
.LBB1746_293:
	flat_store_b64 v[0:1], v[18:19] offset:2048
	s_or_b32 exec_lo, exec_lo, s7
	s_and_saveexec_b32 s0, s1
	s_cbranch_execz .LBB1746_245
.LBB1746_294:
	v_add_co_u32 v2, vcc_lo, 0x1000, v0
	v_add_co_ci_u32_e32 v3, vcc_lo, 0, v1, vcc_lo
	flat_store_b64 v[2:3], v[16:17]
	s_or_b32 exec_lo, exec_lo, s0
	s_and_saveexec_b32 s0, s2
	s_cbranch_execz .LBB1746_246
.LBB1746_295:
	v_add_co_u32 v2, vcc_lo, 0x1000, v0
	v_add_co_ci_u32_e32 v3, vcc_lo, 0, v1, vcc_lo
	flat_store_b64 v[2:3], v[14:15] offset:2048
	s_or_b32 exec_lo, exec_lo, s0
	s_and_saveexec_b32 s0, s3
	s_cbranch_execz .LBB1746_247
.LBB1746_296:
	v_add_co_u32 v2, vcc_lo, 0x2000, v0
	v_add_co_ci_u32_e32 v3, vcc_lo, 0, v1, vcc_lo
	flat_store_b64 v[2:3], v[12:13]
	s_or_b32 exec_lo, exec_lo, s0
	s_and_saveexec_b32 s0, s4
	s_cbranch_execz .LBB1746_248
.LBB1746_297:
	v_add_co_u32 v2, vcc_lo, 0x2000, v0
	v_add_co_ci_u32_e32 v3, vcc_lo, 0, v1, vcc_lo
	flat_store_b64 v[2:3], v[10:11] offset:2048
	s_or_b32 exec_lo, exec_lo, s0
	s_and_saveexec_b32 s0, s5
	s_cbranch_execz .LBB1746_249
.LBB1746_298:
	v_add_co_u32 v2, vcc_lo, 0x3000, v0
	v_add_co_ci_u32_e32 v3, vcc_lo, 0, v1, vcc_lo
	flat_store_b64 v[2:3], v[8:9]
	s_or_b32 exec_lo, exec_lo, s0
	s_and_saveexec_b32 s0, s6
	s_cbranch_execnz .LBB1746_250
	s_branch .LBB1746_251
.LBB1746_299:
	s_or_b32 exec_lo, exec_lo, s20
	v_dual_mov_b32 v36, 0 :: v_dual_lshlrev_b32 v5, 1, v34
	v_mad_u64_u32 v[10:11], null, v4, 6, v[96:97]
	v_mad_u64_u32 v[26:27], null, v80, 6, v[81:82]
	s_delay_alu instid0(VALU_DEP_3) | instskip(SKIP_3) | instid1(VALU_DEP_3)
	v_add_co_u32 v8, vcc_lo, v12, v5
	v_add_co_ci_u32_e32 v9, vcc_lo, 0, v13, vcc_lo
	v_mad_u64_u32 v[4:5], null, v68, 6, v[85:86]
	v_mad_u64_u32 v[12:13], null, v70, 6, v[83:84]
	;; [unrolled: 1-line block ×3, first 2 shown]
	s_barrier
	buffer_gl0_inv
	s_clause 0x3
	flat_store_b16 v[96:97], v100
	flat_store_b16 v[85:86], v103
	;; [unrolled: 1-line block ×4, first 2 shown]
	s_waitcnt lgkmcnt(0)
	s_waitcnt_vscnt null, 0x0
	s_barrier
	buffer_gl0_inv
	s_clause 0x3
	flat_load_u16 v25, v[8:9]
	flat_load_u16 v24, v[8:9] offset:512
	flat_load_u16 v23, v[8:9] offset:1024
	;; [unrolled: 1-line block ×3, first 2 shown]
	s_waitcnt vmcnt(0) lgkmcnt(0)
	s_barrier
	buffer_gl0_inv
	s_clause 0x3
	flat_store_b64 v[10:11], v[14:15]
	flat_store_b64 v[4:5], v[16:17]
	;; [unrolled: 1-line block ×4, first 2 shown]
	v_add_co_u32 v4, vcc_lo, 0x1000, v28
	v_add_co_ci_u32_e32 v5, vcc_lo, 0, v29, vcc_lo
	s_waitcnt lgkmcnt(0)
	s_waitcnt_vscnt null, 0x0
	s_barrier
	buffer_gl0_inv
	s_clause 0x3
	flat_load_b64 v[12:13], v[28:29]
	flat_load_b64 v[10:11], v[28:29] offset:2048
	flat_load_b64 v[8:9], v[4:5]
	flat_load_b64 v[4:5], v[4:5] offset:2048
	v_lshlrev_b64 v[14:15], 1, v[35:36]
	v_add_co_u32 v2, vcc_lo, v2, v37
	v_add_co_ci_u32_e32 v3, vcc_lo, v3, v38, vcc_lo
	s_waitcnt vmcnt(0) lgkmcnt(0)
	s_delay_alu instid0(VALU_DEP_2) | instskip(NEXT) | instid1(VALU_DEP_2)
	v_add_co_u32 v2, vcc_lo, v2, v14
	v_add_co_ci_u32_e32 v3, vcc_lo, v3, v15, vcc_lo
	v_cmp_lt_u32_e32 vcc_lo, v35, v47
	s_barrier
	buffer_gl0_inv
	s_and_saveexec_b32 s1, vcc_lo
	s_cbranch_execz .LBB1746_301
; %bb.300:
	v_cmp_gt_i16_e64 s0, 0, v25
	s_delay_alu instid0(VALU_DEP_1) | instskip(NEXT) | instid1(VALU_DEP_1)
	v_cndmask_b32_e64 v14, 0x7fff, 0, s0
	v_xor_b32_e32 v14, v14, v25
	flat_store_b16 v[2:3], v14
.LBB1746_301:
	s_or_b32 exec_lo, exec_lo, s1
	v_add_nc_u32_e32 v14, 0x100, v35
	s_delay_alu instid0(VALU_DEP_1) | instskip(NEXT) | instid1(VALU_DEP_1)
	v_cmp_lt_u32_e64 s0, v14, v47
	s_and_saveexec_b32 s2, s0
	s_cbranch_execz .LBB1746_303
; %bb.302:
	v_cmp_gt_i16_e64 s1, 0, v24
	s_delay_alu instid0(VALU_DEP_1) | instskip(NEXT) | instid1(VALU_DEP_1)
	v_cndmask_b32_e64 v14, 0x7fff, 0, s1
	v_xor_b32_e32 v14, v14, v24
	flat_store_b16 v[2:3], v14 offset:512
.LBB1746_303:
	s_or_b32 exec_lo, exec_lo, s2
	v_add_nc_u32_e32 v14, 0x200, v35
	s_delay_alu instid0(VALU_DEP_1) | instskip(NEXT) | instid1(VALU_DEP_1)
	v_cmp_lt_u32_e64 s1, v14, v47
	s_and_saveexec_b32 s3, s1
	s_cbranch_execz .LBB1746_305
; %bb.304:
	v_cmp_gt_i16_e64 s2, 0, v23
	s_delay_alu instid0(VALU_DEP_1) | instskip(NEXT) | instid1(VALU_DEP_1)
	v_cndmask_b32_e64 v14, 0x7fff, 0, s2
	v_xor_b32_e32 v14, v14, v23
	flat_store_b16 v[2:3], v14 offset:1024
.LBB1746_305:
	s_or_b32 exec_lo, exec_lo, s3
	v_add_nc_u32_e32 v14, 0x300, v35
	s_delay_alu instid0(VALU_DEP_1) | instskip(NEXT) | instid1(VALU_DEP_1)
	v_cmp_lt_u32_e64 s2, v14, v47
	s_and_saveexec_b32 s4, s2
	s_cbranch_execz .LBB1746_307
; %bb.306:
	v_cmp_gt_i16_e64 s3, 0, v22
	s_delay_alu instid0(VALU_DEP_1) | instskip(NEXT) | instid1(VALU_DEP_1)
	v_cndmask_b32_e64 v14, 0x7fff, 0, s3
	v_xor_b32_e32 v14, v14, v22
	flat_store_b16 v[2:3], v14 offset:1536
.LBB1746_307:
	s_or_b32 exec_lo, exec_lo, s4
	v_lshlrev_b64 v[2:3], 3, v[35:36]
	v_add_co_u32 v0, s3, v6, v0
	s_delay_alu instid0(VALU_DEP_1) | instskip(NEXT) | instid1(VALU_DEP_2)
	v_add_co_ci_u32_e64 v1, s3, v7, v1, s3
	v_add_co_u32 v0, s3, v0, v2
	s_delay_alu instid0(VALU_DEP_1)
	v_add_co_ci_u32_e64 v1, s3, v1, v3, s3
	s_and_saveexec_b32 s3, vcc_lo
	s_cbranch_execnz .LBB1746_340
; %bb.308:
	s_or_b32 exec_lo, exec_lo, s3
	s_and_saveexec_b32 s3, s0
	s_cbranch_execnz .LBB1746_341
.LBB1746_309:
	s_or_b32 exec_lo, exec_lo, s3
	s_and_saveexec_b32 s0, s1
	s_cbranch_execnz .LBB1746_342
.LBB1746_310:
	s_or_b32 exec_lo, exec_lo, s0
	s_and_saveexec_b32 s0, s2
	s_cbranch_execz .LBB1746_312
.LBB1746_311:
	v_add_co_u32 v0, vcc_lo, 0x1000, v0
	v_add_co_ci_u32_e32 v1, vcc_lo, 0, v1, vcc_lo
	flat_store_b64 v[0:1], v[4:5] offset:2048
.LBB1746_312:
	s_or_b32 exec_lo, exec_lo, s0
                                        ; implicit-def: $vgpr47
                                        ; implicit-def: $vgpr0
                                        ; implicit-def: $vgpr1
                                        ; implicit-def: $vgpr2
                                        ; implicit-def: $vgpr3
                                        ; implicit-def: $vgpr4
                                        ; implicit-def: $vgpr5
                                        ; implicit-def: $vgpr6
                                        ; implicit-def: $vgpr7
                                        ; implicit-def: $vgpr8
                                        ; implicit-def: $vgpr10
                                        ; implicit-def: $vgpr11
                                        ; implicit-def: $vgpr12
                                        ; implicit-def: $vgpr13
                                        ; implicit-def: $vgpr14
                                        ; implicit-def: $vgpr15
                                        ; implicit-def: $vgpr34
                                        ; implicit-def: $vgpr16
.LBB1746_313:
	s_and_not1_saveexec_b32 s0, s19
	s_cbranch_execz .LBB1746_372
; %bb.314:
	s_load_b64 s[0:1], s[8:9], 0x0
	v_mov_b32_e32 v9, 0
	s_delay_alu instid0(VALU_DEP_1) | instskip(SKIP_3) | instid1(SALU_CYCLE_1)
	v_lshlrev_b64 v[28:29], 1, v[8:9]
	s_waitcnt lgkmcnt(0)
	s_cmp_lt_u32 s13, s1
	s_cselect_b32 s1, 14, 20
	s_add_u32 s2, s8, s1
	s_addc_u32 s3, s9, 0
	s_cmp_lt_u32 s12, s0
	global_load_u16 v17, v9, s[2:3]
	s_cselect_b32 s0, 12, 18
	s_delay_alu instid0(SALU_CYCLE_1)
	s_add_u32 s0, s8, s0
	s_addc_u32 s1, s9, 0
	global_load_u16 v18, v9, s[0:1]
	s_mov_b32 s0, exec_lo
	s_waitcnt vmcnt(1)
	v_mad_u32_u24 v14, v15, v17, v14
	s_waitcnt vmcnt(0)
	s_delay_alu instid0(VALU_DEP_1)
	v_mad_u64_u32 v[26:27], null, v14, v18, v[34:35]
	v_cmpx_lt_u32_e32 0x100, v47
	s_xor_b32 s15, exec_lo, s0
	s_cbranch_execz .LBB1746_352
; %bb.315:
	s_delay_alu instid0(VALU_DEP_2) | instskip(SKIP_2) | instid1(VALU_DEP_3)
	v_dual_mov_b32 v15, v9 :: v_dual_lshlrev_b32 v14, 1, v26
	v_dual_mov_b32 v22, -1 :: v_dual_lshlrev_b32 v17, 1, v16
	v_add_co_u32 v18, vcc_lo, v0, v28
	v_and_b32_e32 v14, 0xffffffc0, v14
	v_add_co_ci_u32_e32 v19, vcc_lo, v1, v29, vcc_lo
	s_delay_alu instid0(VALU_DEP_3) | instskip(NEXT) | instid1(VALU_DEP_3)
	v_add_co_u32 v17, vcc_lo, v18, v17
	v_lshlrev_b64 v[0:1], 1, v[14:15]
	s_delay_alu instid0(VALU_DEP_3) | instskip(NEXT) | instid1(VALU_DEP_2)
	v_add_co_ci_u32_e32 v19, vcc_lo, 0, v19, vcc_lo
	v_add_co_u32 v0, vcc_lo, v17, v0
	v_mov_b32_e32 v17, -1
	v_or_b32_e32 v18, v16, v14
	s_delay_alu instid0(VALU_DEP_4) | instskip(NEXT) | instid1(VALU_DEP_2)
	v_add_co_ci_u32_e32 v1, vcc_lo, v19, v1, vcc_lo
	v_cmp_lt_u32_e32 vcc_lo, v18, v47
	s_and_saveexec_b32 s0, vcc_lo
	s_cbranch_execz .LBB1746_317
; %bb.316:
	flat_load_u16 v22, v[0:1]
.LBB1746_317:
	s_or_b32 exec_lo, exec_lo, s0
	v_or_b32_e32 v18, 32, v18
	s_delay_alu instid0(VALU_DEP_1) | instskip(NEXT) | instid1(VALU_DEP_1)
	v_cmp_lt_u32_e64 s0, v18, v47
	s_and_saveexec_b32 s1, s0
	s_cbranch_execz .LBB1746_319
; %bb.318:
	flat_load_u16 v17, v[0:1] offset:64
.LBB1746_319:
	s_or_b32 exec_lo, exec_lo, s1
	v_lshlrev_b64 v[0:1], 3, v[8:9]
	v_lshlrev_b32_e32 v8, 3, v16
	s_delay_alu instid0(VALU_DEP_2) | instskip(NEXT) | instid1(VALU_DEP_1)
	v_add_co_u32 v9, s1, v4, v0
	v_add_co_ci_u32_e64 v18, s1, v5, v1, s1
	v_lshlrev_b64 v[4:5], 3, v[14:15]
	s_delay_alu instid0(VALU_DEP_3) | instskip(NEXT) | instid1(VALU_DEP_1)
	v_add_co_u32 v8, s1, v9, v8
	v_add_co_ci_u32_e64 v9, s1, 0, v18, s1
                                        ; implicit-def: $vgpr18_vgpr19
	s_delay_alu instid0(VALU_DEP_2) | instskip(NEXT) | instid1(VALU_DEP_1)
	v_add_co_u32 v4, s1, v8, v4
	v_add_co_ci_u32_e64 v5, s1, v9, v5, s1
	s_and_saveexec_b32 s1, vcc_lo
	s_cbranch_execz .LBB1746_321
; %bb.320:
	flat_load_b64 v[18:19], v[4:5]
.LBB1746_321:
	s_or_b32 exec_lo, exec_lo, s1
                                        ; implicit-def: $vgpr20_vgpr21
	s_and_saveexec_b32 s1, s0
	s_cbranch_execz .LBB1746_323
; %bb.322:
	flat_load_b64 v[20:21], v[4:5] offset:256
.LBB1746_323:
	s_or_b32 exec_lo, exec_lo, s1
	s_waitcnt vmcnt(0) lgkmcnt(0)
	v_cmp_gt_i16_e32 vcc_lo, 0, v22
	s_mov_b32 s16, 0
	s_getpc_b64 s[0:1]
	s_add_u32 s0, s0, _ZN7rocprim17ROCPRIM_400000_NS16block_radix_sortI6__halfLj256ELj2ElLj1ELj1ELj8ELNS0_26block_radix_rank_algorithmE2ELNS0_18block_padding_hintE2ELNS0_4arch9wavefront6targetE0EE19radix_bits_per_passE@rel32@lo+4
	s_addc_u32 s1, s1, _ZN7rocprim17ROCPRIM_400000_NS16block_radix_sortI6__halfLj256ELj2ElLj1ELj1ELj8ELNS0_26block_radix_rank_algorithmE2ELNS0_18block_padding_hintE2ELNS0_4arch9wavefront6targetE0EE19radix_bits_per_passE@rel32@hi+12
	s_mov_b32 s17, s16
	s_mov_b32 s18, s16
	v_cndmask_b32_e64 v4, 0x7fff, 0, vcc_lo
	v_cmp_gt_i16_e32 vcc_lo, 0, v17
	s_mov_b32 s19, s16
	v_and_b32_e32 v15, 0x3e0, v34
	v_and_b32_e32 v14, 15, v16
	v_xor_b32_e32 v66, v4, v22
	v_cndmask_b32_e64 v5, 0x7fff, 0, vcc_lo
	v_lshlrev_b32_e32 v4, 5, v34
	v_add_co_u32 v27, vcc_lo, v12, 32
	v_add_co_ci_u32_e32 v39, vcc_lo, 0, v13, vcc_lo
	s_delay_alu instid0(VALU_DEP_4) | instskip(SKIP_4) | instid1(VALU_DEP_3)
	v_xor_b32_e32 v25, v5, v17
	v_mov_b32_e32 v5, 0
	v_add_nc_u32_e32 v17, -1, v16
	v_add_co_u32 v8, vcc_lo, v12, v4
	v_add_co_ci_u32_e32 v9, vcc_lo, 0, v13, vcc_lo
	v_cmp_gt_i32_e64 s4, 0, v17
	v_add_co_u32 v30, vcc_lo, v27, v4
	v_min_u32_e32 v4, 0xe0, v15
	v_and_b32_e32 v15, 16, v16
	v_add_co_ci_u32_e32 v31, vcc_lo, 0, v39, vcc_lo
	s_load_b32 s20, s[0:1], 0x0
	v_cmp_eq_u32_e32 vcc_lo, 0, v14
	v_cmp_lt_u32_e64 s0, 1, v14
	v_cmp_lt_u32_e64 s1, 3, v14
	;; [unrolled: 1-line block ×3, first 2 shown]
	v_cndmask_b32_e64 v14, v17, v16, s4
	v_lshlrev_b32_e32 v17, 1, v34
	v_or_b32_e32 v4, 31, v4
	v_cmp_eq_u32_e64 s3, 0, v15
	v_lshrrev_b32_e32 v15, 5, v34
	v_cmp_eq_u32_e64 s7, 0, v16
	v_and_b32_e32 v22, 7, v16
	v_and_or_b32 v16, 0x7c0, v17, v16
	v_cmp_eq_u32_e64 s4, v4, v34
	v_lshlrev_b32_e32 v4, 2, v15
	v_lshlrev_b32_e32 v69, 2, v14
	;; [unrolled: 1-line block ×4, first 2 shown]
	v_lshrrev_b32_e32 v68, 5, v26
	v_add_co_u32 v32, s9, v12, v4
	v_add_nc_u32_e32 v4, -1, v15
	v_add_co_ci_u32_e64 v33, s9, 0, v13, s9
	v_add_co_u32 v37, s12, v12, v17
	v_add_co_u32 v35, s9, v12, v14
	s_delay_alu instid0(VALU_DEP_4) | instskip(SKIP_3) | instid1(VALU_DEP_4)
	v_lshlrev_b64 v[14:15], 2, v[4:5]
	v_add_co_ci_u32_e64 v38, s12, 0, v13, s12
	v_add_co_ci_u32_e64 v36, s9, 0, v13, s9
	v_cmp_gt_u32_e64 s5, 8, v34
	v_add_co_u32 v48, s12, v12, v14
	s_delay_alu instid0(VALU_DEP_4)
	v_mad_u64_u32 v[50:51], null, v16, 6, v[37:38]
	v_add_co_ci_u32_e64 v49, s12, v13, v15, s12
	v_mov_b32_e32 v14, s16
	v_cmp_lt_u32_e64 s6, 31, v34
	v_cmp_eq_u32_e64 s8, 0, v34
	v_cmp_eq_u32_e64 s9, 0, v22
	v_cmp_lt_u32_e64 s10, 1, v22
	v_cmp_lt_u32_e64 s11, 3, v22
	v_sub_nc_u32_e32 v70, v11, v10
	v_dual_mov_b32 v15, s17 :: v_dual_mov_b32 v16, s18
	v_mov_b32_e32 v17, s19
	s_waitcnt lgkmcnt(0)
	s_waitcnt_vscnt null, 0x0
	s_barrier
	buffer_gl0_inv
	s_branch .LBB1746_325
.LBB1746_324:                           ;   in Loop: Header=BB1746_325 Depth=1
	s_or_b32 exec_lo, exec_lo, s13
	s_delay_alu instid0(SALU_CYCLE_1) | instskip(NEXT) | instid1(SALU_CYCLE_1)
	s_and_b32 s12, exec_lo, s14
	s_or_b32 s16, s12, s16
	s_delay_alu instid0(SALU_CYCLE_1)
	s_and_not1_b32 exec_lo, exec_lo, s16
	s_cbranch_execz .LBB1746_343
.LBB1746_325:                           ; =>This Inner Loop Header: Depth=1
	v_mov_b32_e32 v71, v66
	v_min_u32_e32 v4, s20, v70
	s_clause 0x1
	flat_store_b128 v[8:9], v[14:17] offset:32
	flat_store_b128 v[30:31], v[14:17] offset:16
	s_waitcnt lgkmcnt(0)
	s_waitcnt_vscnt null, 0x0
	s_barrier
	v_cmp_ne_u16_e64 s12, 0x8000, v71
	v_lshlrev_b32_e64 v4, v4, -1
	buffer_gl0_inv
	; wave barrier
	v_cndmask_b32_e64 v22, 0x7fff, v71, s12
	s_delay_alu instid0(VALU_DEP_1) | instskip(SKIP_1) | instid1(VALU_DEP_2)
	v_dual_mov_b32 v80, v25 :: v_dual_and_b32 v23, 0xffff, v22
	v_not_b32_e32 v22, v4
	v_lshrrev_b32_e32 v4, v10, v23
	s_delay_alu instid0(VALU_DEP_1) | instskip(NEXT) | instid1(VALU_DEP_1)
	v_and_b32_e32 v4, v4, v22
	v_and_b32_e32 v23, 1, v4
	v_lshlrev_b32_e32 v24, 30, v4
	v_lshlrev_b32_e32 v52, 29, v4
	;; [unrolled: 1-line block ×4, first 2 shown]
	v_add_co_u32 v23, s12, v23, -1
	s_delay_alu instid0(VALU_DEP_1)
	v_cndmask_b32_e64 v54, 0, 1, s12
	v_not_b32_e32 v66, v24
	v_cmp_gt_i32_e64 s13, 0, v24
	v_not_b32_e32 v24, v52
	v_lshlrev_b32_e32 v64, 26, v4
	v_cmp_ne_u32_e64 s12, 0, v54
	v_ashrrev_i32_e32 v66, 31, v66
	v_lshlrev_b32_e32 v65, 25, v4
	v_ashrrev_i32_e32 v24, 31, v24
	v_lshlrev_b32_e32 v54, 24, v4
	v_xor_b32_e32 v23, s12, v23
	v_cmp_gt_i32_e64 s12, 0, v52
	v_not_b32_e32 v52, v53
	v_xor_b32_e32 v66, s13, v66
	v_cmp_gt_i32_e64 s13, 0, v53
	v_and_b32_e32 v23, exec_lo, v23
	v_not_b32_e32 v53, v55
	v_ashrrev_i32_e32 v52, 31, v52
	v_xor_b32_e32 v24, s12, v24
	v_cmp_gt_i32_e64 s12, 0, v55
	v_and_b32_e32 v23, v23, v66
	v_not_b32_e32 v55, v64
	v_ashrrev_i32_e32 v53, 31, v53
	v_xor_b32_e32 v52, s13, v52
	v_cmp_gt_i32_e64 s13, 0, v64
	v_and_b32_e32 v23, v23, v24
	;; [unrolled: 5-line block ×4, first 2 shown]
	v_ashrrev_i32_e32 v52, 31, v52
	v_xor_b32_e32 v24, s12, v24
	s_delay_alu instid0(VALU_DEP_3) | instskip(NEXT) | instid1(VALU_DEP_3)
	v_and_b32_e32 v23, v23, v55
	v_xor_b32_e32 v64, s13, v52
	v_dual_mov_b32 v55, v19 :: v_dual_mov_b32 v54, v18
	v_lshlrev_b32_e32 v19, 3, v4
	s_delay_alu instid0(VALU_DEP_4) | instskip(SKIP_1) | instid1(VALU_DEP_3)
	v_and_b32_e32 v23, v23, v24
	v_dual_mov_b32 v53, v21 :: v_dual_mov_b32 v52, v20
	v_add_lshl_u32 v19, v19, v68, 2
	s_delay_alu instid0(VALU_DEP_3) | instskip(NEXT) | instid1(VALU_DEP_2)
	v_and_b32_e32 v18, v23, v64
	v_add_co_u32 v64, s14, v27, v19
	s_delay_alu instid0(VALU_DEP_2) | instskip(SKIP_2) | instid1(VALU_DEP_3)
	v_mbcnt_lo_u32_b32 v4, v18, 0
	v_cmp_ne_u32_e64 s12, 0, v18
	v_add_co_ci_u32_e64 v65, s14, 0, v39, s14
	v_cmp_eq_u32_e64 s13, 0, v4
	s_delay_alu instid0(VALU_DEP_1) | instskip(NEXT) | instid1(SALU_CYCLE_1)
	s_and_b32 s13, s12, s13
	s_and_saveexec_b32 s12, s13
	s_cbranch_execz .LBB1746_327
; %bb.326:                              ;   in Loop: Header=BB1746_325 Depth=1
	v_bcnt_u32_b32 v18, v18, 0
	flat_store_b32 v[64:65], v18
.LBB1746_327:                           ;   in Loop: Header=BB1746_325 Depth=1
	s_or_b32 exec_lo, exec_lo, s12
	v_cmp_ne_u16_e64 s12, 0x8000, v80
	; wave barrier
	s_delay_alu instid0(VALU_DEP_1) | instskip(NEXT) | instid1(VALU_DEP_1)
	v_cndmask_b32_e64 v18, 0x7fff, v80, s12
	v_and_b32_e32 v18, 0xffff, v18
	s_delay_alu instid0(VALU_DEP_1) | instskip(NEXT) | instid1(VALU_DEP_1)
	v_lshrrev_b32_e32 v18, v10, v18
	v_and_b32_e32 v18, v18, v22
	s_delay_alu instid0(VALU_DEP_1) | instskip(SKIP_3) | instid1(VALU_DEP_4)
	v_lshlrev_b32_e32 v19, 3, v18
	v_lshlrev_b32_e32 v21, 30, v18
	;; [unrolled: 1-line block ×4, first 2 shown]
	v_add_lshl_u32 v19, v19, v68, 2
	s_delay_alu instid0(VALU_DEP_1) | instskip(NEXT) | instid1(VALU_DEP_1)
	v_add_co_u32 v66, s12, v27, v19
	v_add_co_ci_u32_e64 v67, s12, 0, v39, s12
	v_and_b32_e32 v19, 1, v18
	flat_load_b32 v81, v[66:67]
	v_add_co_u32 v19, s12, v19, -1
	s_delay_alu instid0(VALU_DEP_1) | instskip(NEXT) | instid1(VALU_DEP_1)
	v_cndmask_b32_e64 v20, 0, 1, s12
	; wave barrier
	v_cmp_ne_u32_e64 s12, 0, v20
	v_not_b32_e32 v20, v21
	s_delay_alu instid0(VALU_DEP_2) | instskip(SKIP_1) | instid1(VALU_DEP_3)
	v_xor_b32_e32 v19, s12, v19
	v_cmp_gt_i32_e64 s12, 0, v21
	v_ashrrev_i32_e32 v20, 31, v20
	v_not_b32_e32 v21, v22
	s_delay_alu instid0(VALU_DEP_4) | instskip(NEXT) | instid1(VALU_DEP_3)
	v_and_b32_e32 v19, exec_lo, v19
	v_xor_b32_e32 v20, s12, v20
	v_cmp_gt_i32_e64 s12, 0, v22
	s_delay_alu instid0(VALU_DEP_4) | instskip(SKIP_1) | instid1(VALU_DEP_4)
	v_ashrrev_i32_e32 v21, 31, v21
	v_not_b32_e32 v22, v23
	v_and_b32_e32 v19, v19, v20
	v_lshlrev_b32_e32 v20, 27, v18
	s_delay_alu instid0(VALU_DEP_4) | instskip(SKIP_2) | instid1(VALU_DEP_4)
	v_xor_b32_e32 v21, s12, v21
	v_cmp_gt_i32_e64 s12, 0, v23
	v_ashrrev_i32_e32 v22, 31, v22
	v_not_b32_e32 v23, v20
	s_delay_alu instid0(VALU_DEP_4) | instskip(SKIP_1) | instid1(VALU_DEP_4)
	v_and_b32_e32 v19, v19, v21
	v_lshlrev_b32_e32 v21, 26, v18
	v_xor_b32_e32 v22, s12, v22
	v_cmp_gt_i32_e64 s12, 0, v20
	v_ashrrev_i32_e32 v20, 31, v23
	s_delay_alu instid0(VALU_DEP_4) | instskip(NEXT) | instid1(VALU_DEP_4)
	v_not_b32_e32 v23, v21
	v_and_b32_e32 v19, v19, v22
	v_lshlrev_b32_e32 v22, 25, v18
	s_delay_alu instid0(VALU_DEP_4)
	v_xor_b32_e32 v20, s12, v20
	v_cmp_gt_i32_e64 s12, 0, v21
	v_ashrrev_i32_e32 v21, 31, v23
	v_lshlrev_b32_e32 v18, 24, v18
	v_not_b32_e32 v23, v22
	v_and_b32_e32 v19, v19, v20
	s_delay_alu instid0(VALU_DEP_4) | instskip(SKIP_1) | instid1(VALU_DEP_4)
	v_xor_b32_e32 v20, s12, v21
	v_cmp_gt_i32_e64 s12, 0, v22
	v_ashrrev_i32_e32 v21, 31, v23
	v_not_b32_e32 v22, v18
	s_delay_alu instid0(VALU_DEP_4) | instskip(NEXT) | instid1(VALU_DEP_3)
	v_and_b32_e32 v19, v19, v20
	v_xor_b32_e32 v20, s12, v21
	v_cmp_gt_i32_e64 s12, 0, v18
	s_delay_alu instid0(VALU_DEP_4) | instskip(NEXT) | instid1(VALU_DEP_3)
	v_ashrrev_i32_e32 v18, 31, v22
	v_and_b32_e32 v19, v19, v20
	s_delay_alu instid0(VALU_DEP_2) | instskip(NEXT) | instid1(VALU_DEP_1)
	v_xor_b32_e32 v18, s12, v18
	v_and_b32_e32 v18, v19, v18
	s_delay_alu instid0(VALU_DEP_1) | instskip(SKIP_1) | instid1(VALU_DEP_2)
	v_mbcnt_lo_u32_b32 v82, v18, 0
	v_cmp_ne_u32_e64 s13, 0, v18
	v_cmp_eq_u32_e64 s12, 0, v82
	s_delay_alu instid0(VALU_DEP_1) | instskip(NEXT) | instid1(SALU_CYCLE_1)
	s_and_b32 s13, s13, s12
	s_and_saveexec_b32 s12, s13
	s_cbranch_execz .LBB1746_329
; %bb.328:                              ;   in Loop: Header=BB1746_325 Depth=1
	s_waitcnt vmcnt(0) lgkmcnt(0)
	v_bcnt_u32_b32 v18, v18, v81
	flat_store_b32 v[66:67], v18
.LBB1746_329:                           ;   in Loop: Header=BB1746_325 Depth=1
	s_or_b32 exec_lo, exec_lo, s12
	; wave barrier
	s_waitcnt vmcnt(0) lgkmcnt(0)
	s_waitcnt_vscnt null, 0x0
	s_barrier
	buffer_gl0_inv
	s_clause 0x1
	flat_load_b128 v[22:25], v[8:9] offset:32
	flat_load_b128 v[18:21], v[30:31] offset:16
	s_waitcnt vmcnt(1) lgkmcnt(1)
	v_add_nc_u32_e32 v83, v23, v22
	s_delay_alu instid0(VALU_DEP_1) | instskip(SKIP_1) | instid1(VALU_DEP_1)
	v_add3_u32 v83, v83, v24, v25
	s_waitcnt vmcnt(0) lgkmcnt(0)
	v_add3_u32 v83, v83, v18, v19
	s_delay_alu instid0(VALU_DEP_1) | instskip(NEXT) | instid1(VALU_DEP_1)
	v_add3_u32 v21, v83, v20, v21
	v_mov_b32_dpp v83, v21 row_shr:1 row_mask:0xf bank_mask:0xf
	s_delay_alu instid0(VALU_DEP_1) | instskip(NEXT) | instid1(VALU_DEP_1)
	v_cndmask_b32_e64 v83, v83, 0, vcc_lo
	v_add_nc_u32_e32 v21, v83, v21
	s_delay_alu instid0(VALU_DEP_1) | instskip(NEXT) | instid1(VALU_DEP_1)
	v_mov_b32_dpp v83, v21 row_shr:2 row_mask:0xf bank_mask:0xf
	v_cndmask_b32_e64 v83, 0, v83, s0
	s_delay_alu instid0(VALU_DEP_1) | instskip(NEXT) | instid1(VALU_DEP_1)
	v_add_nc_u32_e32 v21, v21, v83
	v_mov_b32_dpp v83, v21 row_shr:4 row_mask:0xf bank_mask:0xf
	s_delay_alu instid0(VALU_DEP_1) | instskip(NEXT) | instid1(VALU_DEP_1)
	v_cndmask_b32_e64 v83, 0, v83, s1
	v_add_nc_u32_e32 v21, v21, v83
	s_delay_alu instid0(VALU_DEP_1) | instskip(NEXT) | instid1(VALU_DEP_1)
	v_mov_b32_dpp v83, v21 row_shr:8 row_mask:0xf bank_mask:0xf
	v_cndmask_b32_e64 v83, 0, v83, s2
	s_delay_alu instid0(VALU_DEP_1) | instskip(SKIP_3) | instid1(VALU_DEP_1)
	v_add_nc_u32_e32 v21, v21, v83
	ds_swizzle_b32 v83, v21 offset:swizzle(BROADCAST,32,15)
	s_waitcnt lgkmcnt(0)
	v_cndmask_b32_e64 v83, v83, 0, s3
	v_add_nc_u32_e32 v21, v21, v83
	s_and_saveexec_b32 s12, s4
	s_cbranch_execz .LBB1746_331
; %bb.330:                              ;   in Loop: Header=BB1746_325 Depth=1
	flat_store_b32 v[32:33], v21
.LBB1746_331:                           ;   in Loop: Header=BB1746_325 Depth=1
	s_or_b32 exec_lo, exec_lo, s12
	s_waitcnt lgkmcnt(0)
	s_waitcnt_vscnt null, 0x0
	s_barrier
	buffer_gl0_inv
	s_and_saveexec_b32 s12, s5
	s_cbranch_execz .LBB1746_333
; %bb.332:                              ;   in Loop: Header=BB1746_325 Depth=1
	flat_load_b32 v83, v[35:36]
	s_waitcnt vmcnt(0) lgkmcnt(0)
	v_mov_b32_dpp v84, v83 row_shr:1 row_mask:0xf bank_mask:0xf
	s_delay_alu instid0(VALU_DEP_1) | instskip(NEXT) | instid1(VALU_DEP_1)
	v_cndmask_b32_e64 v84, v84, 0, s9
	v_add_nc_u32_e32 v83, v84, v83
	s_delay_alu instid0(VALU_DEP_1) | instskip(NEXT) | instid1(VALU_DEP_1)
	v_mov_b32_dpp v84, v83 row_shr:2 row_mask:0xf bank_mask:0xf
	v_cndmask_b32_e64 v84, 0, v84, s10
	s_delay_alu instid0(VALU_DEP_1) | instskip(NEXT) | instid1(VALU_DEP_1)
	v_add_nc_u32_e32 v83, v83, v84
	v_mov_b32_dpp v84, v83 row_shr:4 row_mask:0xf bank_mask:0xf
	s_delay_alu instid0(VALU_DEP_1) | instskip(NEXT) | instid1(VALU_DEP_1)
	v_cndmask_b32_e64 v84, 0, v84, s11
	v_add_nc_u32_e32 v83, v83, v84
	flat_store_b32 v[35:36], v83
.LBB1746_333:                           ;   in Loop: Header=BB1746_325 Depth=1
	s_or_b32 exec_lo, exec_lo, s12
	v_mov_b32_e32 v83, 0
	s_waitcnt lgkmcnt(0)
	s_waitcnt_vscnt null, 0x0
	s_barrier
	buffer_gl0_inv
	s_and_saveexec_b32 s12, s6
	s_cbranch_execz .LBB1746_335
; %bb.334:                              ;   in Loop: Header=BB1746_325 Depth=1
	flat_load_b32 v83, v[48:49]
.LBB1746_335:                           ;   in Loop: Header=BB1746_325 Depth=1
	s_or_b32 exec_lo, exec_lo, s12
	s_waitcnt vmcnt(0) lgkmcnt(0)
	v_add_nc_u32_e32 v21, v83, v21
	v_add_nc_u32_e32 v10, 8, v10
	s_mov_b32 s14, -1
	ds_bpermute_b32 v21, v69, v21
	s_waitcnt lgkmcnt(0)
	v_cndmask_b32_e64 v21, v21, v83, s7
	s_delay_alu instid0(VALU_DEP_1) | instskip(NEXT) | instid1(VALU_DEP_1)
	v_cndmask_b32_e64 v21, v21, 0, s8
	v_add_nc_u32_e32 v22, v21, v22
	s_delay_alu instid0(VALU_DEP_1) | instskip(NEXT) | instid1(VALU_DEP_1)
	v_add_nc_u32_e32 v23, v22, v23
	v_add_nc_u32_e32 v24, v23, v24
	s_delay_alu instid0(VALU_DEP_1) | instskip(NEXT) | instid1(VALU_DEP_1)
	v_add_nc_u32_e32 v83, v24, v25
                                        ; implicit-def: $vgpr25
	v_add_nc_u32_e32 v84, v83, v18
	s_delay_alu instid0(VALU_DEP_1) | instskip(NEXT) | instid1(VALU_DEP_1)
	v_add_nc_u32_e32 v85, v84, v19
	v_add_nc_u32_e32 v86, v85, v20
	s_clause 0x1
	flat_store_b128 v[8:9], v[21:24] offset:32
	flat_store_b128 v[30:31], v[83:86] offset:16
	v_mov_b32_e32 v23, v5
	s_waitcnt lgkmcnt(0)
	s_waitcnt_vscnt null, 0x0
	s_barrier
	buffer_gl0_inv
	s_clause 0x1
	flat_load_b32 v18, v[64:65]
	flat_load_b32 v19, v[66:67]
	s_waitcnt vmcnt(0) lgkmcnt(0)
	s_waitcnt_vscnt null, 0x0
                                        ; implicit-def: $vgpr66
	s_waitcnt vmcnt(1) lgkmcnt(1)
	v_add_nc_u32_e32 v4, v18, v4
	s_waitcnt vmcnt(0) lgkmcnt(0)
	v_add3_u32 v22, v82, v81, v19
	s_delay_alu instid0(VALU_DEP_2) | instskip(NEXT) | instid1(VALU_DEP_2)
	v_lshlrev_b64 v[18:19], 1, v[4:5]
	v_lshlrev_b64 v[20:21], 1, v[22:23]
	s_delay_alu instid0(VALU_DEP_2) | instskip(NEXT) | instid1(VALU_DEP_1)
	v_add_co_u32 v23, s13, v12, v18
	v_add_co_ci_u32_e64 v24, s13, v13, v19, s13
	s_delay_alu instid0(VALU_DEP_3) | instskip(NEXT) | instid1(VALU_DEP_1)
	v_add_co_u32 v64, s13, v12, v20
	v_add_co_ci_u32_e64 v65, s13, v13, v21, s13
	s_mov_b32 s13, exec_lo
                                        ; implicit-def: $vgpr20_vgpr21
                                        ; implicit-def: $vgpr18_vgpr19
	v_cmpx_lt_u32_e64 v10, v11
	s_cbranch_execz .LBB1746_324
; %bb.336:                              ;   in Loop: Header=BB1746_325 Depth=1
	v_mad_u64_u32 v[18:19], null, v4, 6, v[23:24]
	v_mad_u64_u32 v[20:21], null, v22, 6, v[64:65]
	s_barrier
	buffer_gl0_inv
	s_clause 0x1
	flat_store_b16 v[23:24], v71
	flat_store_b16 v[64:65], v80
	s_waitcnt lgkmcnt(0)
	s_waitcnt_vscnt null, 0x0
	s_barrier
	buffer_gl0_inv
	s_clause 0x1
	flat_load_u16 v66, v[37:38]
	flat_load_u16 v25, v[37:38] offset:64
	s_waitcnt vmcnt(0) lgkmcnt(0)
	s_barrier
	buffer_gl0_inv
	s_clause 0x1
	flat_store_b64 v[18:19], v[54:55]
	flat_store_b64 v[20:21], v[52:53]
	s_waitcnt lgkmcnt(0)
	s_waitcnt_vscnt null, 0x0
	s_barrier
	buffer_gl0_inv
	s_clause 0x1
	flat_load_b64 v[18:19], v[50:51]
	flat_load_b64 v[20:21], v[50:51] offset:256
	v_add_nc_u32_e32 v70, -8, v70
	s_xor_b32 s14, exec_lo, -1
	s_waitcnt vmcnt(0) lgkmcnt(0)
	s_barrier
	buffer_gl0_inv
	s_branch .LBB1746_324
.LBB1746_337:
	flat_load_b64 v[22:23], v[4:5]
	s_or_b32 exec_lo, exec_lo, s3
	s_and_saveexec_b32 s1, s2
	s_cbranch_execz .LBB1746_264
.LBB1746_338:
	flat_load_b64 v[24:25], v[4:5] offset:256
	s_or_b32 exec_lo, exec_lo, s1
	s_and_saveexec_b32 s1, s0
	s_cbranch_execz .LBB1746_265
.LBB1746_339:
	flat_load_b64 v[26:27], v[4:5] offset:512
	s_or_b32 exec_lo, exec_lo, s1
	s_and_saveexec_b32 s0, vcc_lo
	s_cbranch_execnz .LBB1746_266
	s_branch .LBB1746_267
.LBB1746_340:
	flat_store_b64 v[0:1], v[12:13]
	s_or_b32 exec_lo, exec_lo, s3
	s_and_saveexec_b32 s3, s0
	s_cbranch_execz .LBB1746_309
.LBB1746_341:
	flat_store_b64 v[0:1], v[10:11] offset:2048
	s_or_b32 exec_lo, exec_lo, s3
	s_and_saveexec_b32 s0, s1
	s_cbranch_execz .LBB1746_310
.LBB1746_342:
	v_add_co_u32 v2, vcc_lo, 0x1000, v0
	v_add_co_ci_u32_e32 v3, vcc_lo, 0, v1, vcc_lo
	flat_store_b64 v[2:3], v[8:9]
	s_or_b32 exec_lo, exec_lo, s0
	s_and_saveexec_b32 s0, s2
	s_cbranch_execnz .LBB1746_311
	s_branch .LBB1746_312
.LBB1746_343:
	s_or_b32 exec_lo, exec_lo, s16
	v_lshlrev_b32_e32 v5, 1, v34
	s_barrier
	buffer_gl0_inv
	s_clause 0x1
	flat_store_b16 v[23:24], v71
	flat_store_b16 v[64:65], v80
	s_waitcnt lgkmcnt(0)
	s_waitcnt_vscnt null, 0x0
	v_add_co_u32 v8, vcc_lo, v12, v5
	v_add_co_ci_u32_e32 v9, vcc_lo, 0, v13, vcc_lo
	v_mad_u64_u32 v[12:13], null, v4, 6, v[23:24]
	v_mad_u64_u32 v[4:5], null, v22, 6, v[64:65]
	s_delay_alu instid0(VALU_DEP_3)
	v_mad_u64_u32 v[14:15], null, v34, 6, v[8:9]
	s_barrier
	buffer_gl0_inv
	s_clause 0x1
	flat_load_u16 v11, v[8:9]
	flat_load_u16 v10, v[8:9] offset:512
	s_waitcnt vmcnt(0) lgkmcnt(0)
	s_barrier
	buffer_gl0_inv
	s_clause 0x1
	flat_store_b64 v[12:13], v[54:55]
	flat_store_b64 v[4:5], v[52:53]
	s_waitcnt lgkmcnt(0)
	s_waitcnt_vscnt null, 0x0
	s_barrier
	buffer_gl0_inv
	s_clause 0x1
	flat_load_b64 v[8:9], v[14:15]
	flat_load_b64 v[4:5], v[14:15] offset:2048
	v_mov_b32_e32 v27, 0
	v_add_co_u32 v2, vcc_lo, v2, v28
	v_add_co_ci_u32_e32 v3, vcc_lo, v3, v29, vcc_lo
	s_delay_alu instid0(VALU_DEP_3)
	v_lshlrev_b64 v[12:13], 1, v[26:27]
	s_waitcnt vmcnt(0) lgkmcnt(0)
	s_barrier
	buffer_gl0_inv
	v_add_co_u32 v2, vcc_lo, v2, v12
	v_add_co_ci_u32_e32 v3, vcc_lo, v3, v13, vcc_lo
	v_cmp_lt_u32_e32 vcc_lo, v26, v47
	s_and_saveexec_b32 s1, vcc_lo
	s_cbranch_execz .LBB1746_345
; %bb.344:
	v_cmp_gt_i16_e64 s0, 0, v11
	s_delay_alu instid0(VALU_DEP_1) | instskip(NEXT) | instid1(VALU_DEP_1)
	v_cndmask_b32_e64 v12, 0x7fff, 0, s0
	v_xor_b32_e32 v11, v12, v11
	flat_store_b16 v[2:3], v11
.LBB1746_345:
	s_or_b32 exec_lo, exec_lo, s1
	v_add_nc_u32_e32 v11, 0x100, v26
	s_delay_alu instid0(VALU_DEP_1) | instskip(NEXT) | instid1(VALU_DEP_1)
	v_cmp_lt_u32_e64 s0, v11, v47
	s_and_saveexec_b32 s2, s0
	s_cbranch_execz .LBB1746_347
; %bb.346:
	v_cmp_gt_i16_e64 s1, 0, v10
	s_delay_alu instid0(VALU_DEP_1) | instskip(NEXT) | instid1(VALU_DEP_1)
	v_cndmask_b32_e64 v11, 0x7fff, 0, s1
	v_xor_b32_e32 v10, v11, v10
	flat_store_b16 v[2:3], v10 offset:512
.LBB1746_347:
	s_or_b32 exec_lo, exec_lo, s2
	v_lshlrev_b64 v[2:3], 3, v[26:27]
	v_add_co_u32 v0, s1, v6, v0
	s_delay_alu instid0(VALU_DEP_1) | instskip(NEXT) | instid1(VALU_DEP_2)
	v_add_co_ci_u32_e64 v1, s1, v7, v1, s1
	v_add_co_u32 v0, s1, v0, v2
	s_delay_alu instid0(VALU_DEP_1)
	v_add_co_ci_u32_e64 v1, s1, v1, v3, s1
	s_and_saveexec_b32 s1, vcc_lo
	s_cbranch_execz .LBB1746_349
; %bb.348:
	flat_store_b64 v[0:1], v[8:9]
.LBB1746_349:
	s_or_b32 exec_lo, exec_lo, s1
	s_and_saveexec_b32 s1, s0
	s_cbranch_execz .LBB1746_351
; %bb.350:
	flat_store_b64 v[0:1], v[4:5] offset:2048
.LBB1746_351:
	s_or_b32 exec_lo, exec_lo, s1
                                        ; implicit-def: $vgpr26_vgpr27
                                        ; implicit-def: $vgpr8_vgpr9
                                        ; implicit-def: $vgpr28_vgpr29
                                        ; implicit-def: $vgpr47
                                        ; implicit-def: $vgpr0
                                        ; implicit-def: $vgpr1
                                        ; implicit-def: $vgpr2
                                        ; implicit-def: $vgpr3
                                        ; implicit-def: $vgpr4
                                        ; implicit-def: $vgpr5
                                        ; implicit-def: $vgpr6
                                        ; implicit-def: $vgpr7
                                        ; implicit-def: $vgpr10
                                        ; implicit-def: $vgpr11
                                        ; implicit-def: $vgpr12
                                        ; implicit-def: $vgpr13
                                        ; implicit-def: $vgpr34
                                        ; implicit-def: $vgpr16
.LBB1746_352:
	s_and_not1_saveexec_b32 s0, s15
	s_cbranch_execz .LBB1746_372
; %bb.353:
	s_delay_alu instid0(VALU_DEP_2) | instskip(NEXT) | instid1(VALU_DEP_1)
	v_dual_mov_b32 v17, -1 :: v_dual_and_b32 v14, 0xffffffe0, v26
	v_or_b32_e32 v15, v16, v14
	s_delay_alu instid0(VALU_DEP_1)
	v_cmp_lt_u32_e32 vcc_lo, v15, v47
	s_and_saveexec_b32 s1, vcc_lo
	s_cbranch_execz .LBB1746_355
; %bb.354:
	v_mov_b32_e32 v15, 0
	v_lshlrev_b32_e32 v17, 1, v16
	v_add_co_u32 v18, s0, v0, v28
	s_delay_alu instid0(VALU_DEP_1) | instskip(NEXT) | instid1(VALU_DEP_4)
	v_add_co_ci_u32_e64 v19, s0, v1, v29, s0
	v_lshlrev_b64 v[0:1], 1, v[14:15]
	s_delay_alu instid0(VALU_DEP_3) | instskip(NEXT) | instid1(VALU_DEP_1)
	v_add_co_u32 v15, s0, v18, v17
	v_add_co_ci_u32_e64 v17, s0, 0, v19, s0
	s_delay_alu instid0(VALU_DEP_2) | instskip(NEXT) | instid1(VALU_DEP_1)
	v_add_co_u32 v0, s0, v15, v0
	v_add_co_ci_u32_e64 v1, s0, v17, v1, s0
	flat_load_u16 v17, v[0:1]
.LBB1746_355:
	s_or_b32 exec_lo, exec_lo, s1
	v_lshlrev_b64 v[0:1], 3, v[8:9]
                                        ; implicit-def: $vgpr18_vgpr19
	s_and_saveexec_b32 s0, vcc_lo
	s_cbranch_execz .LBB1746_357
; %bb.356:
	v_dual_mov_b32 v15, 0 :: v_dual_lshlrev_b32 v8, 3, v16
	s_delay_alu instid0(VALU_DEP_2) | instskip(NEXT) | instid1(VALU_DEP_3)
	v_add_co_u32 v9, vcc_lo, v4, v0
	v_add_co_ci_u32_e32 v18, vcc_lo, v5, v1, vcc_lo
	s_delay_alu instid0(VALU_DEP_3) | instskip(NEXT) | instid1(VALU_DEP_3)
	v_lshlrev_b64 v[4:5], 3, v[14:15]
	v_add_co_u32 v8, vcc_lo, v9, v8
	s_delay_alu instid0(VALU_DEP_3) | instskip(NEXT) | instid1(VALU_DEP_2)
	v_add_co_ci_u32_e32 v9, vcc_lo, 0, v18, vcc_lo
	v_add_co_u32 v4, vcc_lo, v8, v4
	s_delay_alu instid0(VALU_DEP_2)
	v_add_co_ci_u32_e32 v5, vcc_lo, v9, v5, vcc_lo
	flat_load_b64 v[18:19], v[4:5]
.LBB1746_357:
	s_or_b32 exec_lo, exec_lo, s0
	s_waitcnt vmcnt(0) lgkmcnt(0)
	v_cmp_gt_i16_e32 vcc_lo, 0, v17
	s_mov_b32 s16, 0
	s_getpc_b64 s[0:1]
	s_add_u32 s0, s0, _ZN7rocprim17ROCPRIM_400000_NS16block_radix_sortI6__halfLj256ELj1ElLj1ELj1ELj8ELNS0_26block_radix_rank_algorithmE2ELNS0_18block_padding_hintE2ELNS0_4arch9wavefront6targetE0EE19radix_bits_per_passE@rel32@lo+4
	s_addc_u32 s1, s1, _ZN7rocprim17ROCPRIM_400000_NS16block_radix_sortI6__halfLj256ELj1ElLj1ELj1ELj8ELNS0_26block_radix_rank_algorithmE2ELNS0_18block_padding_hintE2ELNS0_4arch9wavefront6targetE0EE19radix_bits_per_passE@rel32@hi+12
	s_mov_b32 s17, s16
	s_mov_b32 s18, s16
	v_cndmask_b32_e64 v4, 0x7fff, 0, vcc_lo
	v_add_co_u32 v27, vcc_lo, v12, 32
	s_mov_b32 s19, s16
	v_and_b32_e32 v15, 0x3e0, v34
	s_delay_alu instid0(VALU_DEP_3) | instskip(SKIP_3) | instid1(VALU_DEP_3)
	v_xor_b32_e32 v22, v4, v17
	v_dual_mov_b32 v5, 0 :: v_dual_lshlrev_b32 v4, 5, v34
	v_add_co_ci_u32_e32 v39, vcc_lo, 0, v13, vcc_lo
	v_and_b32_e32 v17, 16, v16
	v_add_co_u32 v8, vcc_lo, v12, v4
	v_add_co_ci_u32_e32 v9, vcc_lo, 0, v13, vcc_lo
	v_add_co_u32 v30, vcc_lo, v27, v4
	v_min_u32_e32 v4, 0xe0, v15
	v_add_nc_u32_e32 v20, -1, v16
	v_and_b32_e32 v14, 15, v16
	v_cmp_eq_u32_e64 s3, 0, v17
	v_lshrrev_b32_e32 v17, 5, v34
	v_or_b32_e32 v4, 31, v4
	v_cmp_gt_i32_e64 s4, 0, v20
	v_add_co_ci_u32_e32 v31, vcc_lo, 0, v39, vcc_lo
	s_load_b32 s15, s[0:1], 0x0
	v_cmp_eq_u32_e32 vcc_lo, 0, v14
	v_cmp_lt_u32_e64 s0, 1, v14
	v_cmp_lt_u32_e64 s1, 3, v14
	;; [unrolled: 1-line block ×3, first 2 shown]
	v_cndmask_b32_e64 v14, v20, v16, s4
	v_cmp_eq_u32_e64 s4, v4, v34
	v_lshlrev_b32_e32 v4, 2, v17
	v_cmp_eq_u32_e64 s7, 0, v16
	v_and_b32_e32 v20, 7, v16
	v_or_b32_e32 v16, v16, v15
	v_lshlrev_b32_e32 v65, 2, v14
	v_add_co_u32 v32, s9, v12, v4
	v_add_nc_u32_e32 v4, -1, v17
	s_delay_alu instid0(VALU_DEP_4) | instskip(SKIP_3) | instid1(VALU_DEP_4)
	v_lshlrev_b32_e32 v17, 1, v16
	v_lshlrev_b32_e32 v14, 2, v34
	v_add_co_ci_u32_e64 v33, s9, 0, v13, s9
	v_lshrrev_b32_e32 v64, 5, v26
	v_add_co_u32 v37, s12, v12, v17
	s_delay_alu instid0(VALU_DEP_4) | instskip(SKIP_4) | instid1(VALU_DEP_4)
	v_add_co_u32 v35, s9, v12, v14
	v_lshlrev_b64 v[14:15], 2, v[4:5]
	v_add_co_ci_u32_e64 v38, s12, 0, v13, s12
	v_add_co_ci_u32_e64 v36, s9, 0, v13, s9
	v_cmp_gt_u32_e64 s5, 8, v34
	v_add_co_u32 v48, s12, v12, v14
	s_delay_alu instid0(VALU_DEP_4)
	v_mad_u64_u32 v[50:51], null, v16, 6, v[37:38]
	v_add_co_ci_u32_e64 v49, s12, v13, v15, s12
	v_mov_b32_e32 v14, s16
	v_cmp_lt_u32_e64 s6, 31, v34
	v_cmp_eq_u32_e64 s8, 0, v34
	v_cmp_eq_u32_e64 s9, 0, v20
	v_cmp_lt_u32_e64 s10, 1, v20
	v_cmp_lt_u32_e64 s11, 3, v20
	v_sub_nc_u32_e32 v66, v11, v10
	v_dual_mov_b32 v15, s17 :: v_dual_mov_b32 v16, s18
	v_mov_b32_e32 v17, s19
	s_waitcnt lgkmcnt(0)
	s_waitcnt_vscnt null, 0x0
	s_barrier
	buffer_gl0_inv
	s_branch .LBB1746_359
.LBB1746_358:                           ;   in Loop: Header=BB1746_359 Depth=1
	s_or_b32 exec_lo, exec_lo, s13
	s_delay_alu instid0(SALU_CYCLE_1) | instskip(NEXT) | instid1(SALU_CYCLE_1)
	s_and_b32 s12, exec_lo, s14
	s_or_b32 s16, s12, s16
	s_delay_alu instid0(SALU_CYCLE_1)
	s_and_not1_b32 exec_lo, exec_lo, s16
	s_cbranch_execz .LBB1746_369
.LBB1746_359:                           ; =>This Inner Loop Header: Depth=1
	v_mov_b32_e32 v67, v22
	v_min_u32_e32 v20, s15, v66
	s_clause 0x1
	flat_store_b128 v[8:9], v[14:17] offset:32
	flat_store_b128 v[30:31], v[14:17] offset:16
	s_waitcnt lgkmcnt(0)
	s_waitcnt_vscnt null, 0x0
	s_barrier
	v_cmp_ne_u16_e64 s12, 0x8000, v67
	buffer_gl0_inv
	; wave barrier
	v_cndmask_b32_e64 v4, 0x7fff, v67, s12
	s_delay_alu instid0(VALU_DEP_1) | instskip(NEXT) | instid1(VALU_DEP_1)
	v_and_b32_e32 v4, 0xffff, v4
	v_lshrrev_b32_e32 v4, v10, v4
	s_delay_alu instid0(VALU_DEP_1) | instskip(NEXT) | instid1(VALU_DEP_1)
	v_bfe_u32 v4, v4, 0, v20
	v_and_b32_e32 v20, 1, v4
	v_lshlrev_b32_e32 v21, 30, v4
	v_lshlrev_b32_e32 v22, 29, v4
	;; [unrolled: 1-line block ×4, first 2 shown]
	v_add_co_u32 v20, s12, v20, -1
	s_delay_alu instid0(VALU_DEP_1)
	v_cndmask_b32_e64 v24, 0, 1, s12
	v_not_b32_e32 v54, v21
	v_cmp_gt_i32_e64 s13, 0, v21
	v_not_b32_e32 v21, v22
	v_lshlrev_b32_e32 v52, 26, v4
	v_cmp_ne_u32_e64 s12, 0, v24
	v_ashrrev_i32_e32 v54, 31, v54
	v_lshlrev_b32_e32 v53, 25, v4
	v_ashrrev_i32_e32 v21, 31, v21
	v_lshlrev_b32_e32 v24, 24, v4
	v_xor_b32_e32 v20, s12, v20
	v_cmp_gt_i32_e64 s12, 0, v22
	v_not_b32_e32 v22, v23
	v_xor_b32_e32 v54, s13, v54
	v_cmp_gt_i32_e64 s13, 0, v23
	v_and_b32_e32 v20, exec_lo, v20
	v_not_b32_e32 v23, v25
	v_ashrrev_i32_e32 v22, 31, v22
	v_xor_b32_e32 v21, s12, v21
	v_cmp_gt_i32_e64 s12, 0, v25
	v_and_b32_e32 v20, v20, v54
	v_not_b32_e32 v25, v52
	v_ashrrev_i32_e32 v23, 31, v23
	v_xor_b32_e32 v22, s13, v22
	v_cmp_gt_i32_e64 s13, 0, v52
	v_and_b32_e32 v20, v20, v21
	;; [unrolled: 5-line block ×4, first 2 shown]
	v_ashrrev_i32_e32 v22, 31, v22
	v_xor_b32_e32 v21, s12, v21
	v_dual_mov_b32 v53, v19 :: v_dual_mov_b32 v52, v18
	s_delay_alu instid0(VALU_DEP_4) | instskip(NEXT) | instid1(VALU_DEP_4)
	v_and_b32_e32 v20, v20, v25
	v_xor_b32_e32 v22, s13, v22
	v_lshlrev_b32_e32 v18, 3, v4
	s_delay_alu instid0(VALU_DEP_3) | instskip(NEXT) | instid1(VALU_DEP_2)
	v_and_b32_e32 v20, v20, v21
	v_add_lshl_u32 v18, v18, v64, 2
	s_delay_alu instid0(VALU_DEP_2) | instskip(NEXT) | instid1(VALU_DEP_2)
	v_and_b32_e32 v20, v20, v22
	v_add_co_u32 v54, s14, v27, v18
	s_delay_alu instid0(VALU_DEP_1) | instskip(NEXT) | instid1(VALU_DEP_3)
	v_add_co_ci_u32_e64 v55, s14, 0, v39, s14
	v_mbcnt_lo_u32_b32 v4, v20, 0
	v_cmp_ne_u32_e64 s12, 0, v20
	s_delay_alu instid0(VALU_DEP_2) | instskip(NEXT) | instid1(VALU_DEP_1)
	v_cmp_eq_u32_e64 s13, 0, v4
	s_and_b32 s13, s12, s13
	s_delay_alu instid0(SALU_CYCLE_1)
	s_and_saveexec_b32 s12, s13
	s_cbranch_execz .LBB1746_361
; %bb.360:                              ;   in Loop: Header=BB1746_359 Depth=1
	v_bcnt_u32_b32 v18, v20, 0
	flat_store_b32 v[54:55], v18
.LBB1746_361:                           ;   in Loop: Header=BB1746_359 Depth=1
	s_or_b32 exec_lo, exec_lo, s12
	; wave barrier
	s_waitcnt lgkmcnt(0)
	s_waitcnt_vscnt null, 0x0
	s_barrier
	buffer_gl0_inv
	s_clause 0x1
	flat_load_b128 v[22:25], v[8:9] offset:32
	flat_load_b128 v[18:21], v[30:31] offset:16
	s_waitcnt vmcnt(1) lgkmcnt(1)
	v_add_nc_u32_e32 v68, v23, v22
	s_delay_alu instid0(VALU_DEP_1) | instskip(SKIP_1) | instid1(VALU_DEP_1)
	v_add3_u32 v68, v68, v24, v25
	s_waitcnt vmcnt(0) lgkmcnt(0)
	v_add3_u32 v68, v68, v18, v19
	s_delay_alu instid0(VALU_DEP_1) | instskip(NEXT) | instid1(VALU_DEP_1)
	v_add3_u32 v21, v68, v20, v21
	v_mov_b32_dpp v68, v21 row_shr:1 row_mask:0xf bank_mask:0xf
	s_delay_alu instid0(VALU_DEP_1) | instskip(NEXT) | instid1(VALU_DEP_1)
	v_cndmask_b32_e64 v68, v68, 0, vcc_lo
	v_add_nc_u32_e32 v21, v68, v21
	s_delay_alu instid0(VALU_DEP_1) | instskip(NEXT) | instid1(VALU_DEP_1)
	v_mov_b32_dpp v68, v21 row_shr:2 row_mask:0xf bank_mask:0xf
	v_cndmask_b32_e64 v68, 0, v68, s0
	s_delay_alu instid0(VALU_DEP_1) | instskip(NEXT) | instid1(VALU_DEP_1)
	v_add_nc_u32_e32 v21, v21, v68
	v_mov_b32_dpp v68, v21 row_shr:4 row_mask:0xf bank_mask:0xf
	s_delay_alu instid0(VALU_DEP_1) | instskip(NEXT) | instid1(VALU_DEP_1)
	v_cndmask_b32_e64 v68, 0, v68, s1
	v_add_nc_u32_e32 v21, v21, v68
	s_delay_alu instid0(VALU_DEP_1) | instskip(NEXT) | instid1(VALU_DEP_1)
	v_mov_b32_dpp v68, v21 row_shr:8 row_mask:0xf bank_mask:0xf
	v_cndmask_b32_e64 v68, 0, v68, s2
	s_delay_alu instid0(VALU_DEP_1) | instskip(SKIP_3) | instid1(VALU_DEP_1)
	v_add_nc_u32_e32 v21, v21, v68
	ds_swizzle_b32 v68, v21 offset:swizzle(BROADCAST,32,15)
	s_waitcnt lgkmcnt(0)
	v_cndmask_b32_e64 v68, v68, 0, s3
	v_add_nc_u32_e32 v21, v21, v68
	s_and_saveexec_b32 s12, s4
	s_cbranch_execz .LBB1746_363
; %bb.362:                              ;   in Loop: Header=BB1746_359 Depth=1
	flat_store_b32 v[32:33], v21
.LBB1746_363:                           ;   in Loop: Header=BB1746_359 Depth=1
	s_or_b32 exec_lo, exec_lo, s12
	s_waitcnt lgkmcnt(0)
	s_waitcnt_vscnt null, 0x0
	s_barrier
	buffer_gl0_inv
	s_and_saveexec_b32 s12, s5
	s_cbranch_execz .LBB1746_365
; %bb.364:                              ;   in Loop: Header=BB1746_359 Depth=1
	flat_load_b32 v68, v[35:36]
	s_waitcnt vmcnt(0) lgkmcnt(0)
	v_mov_b32_dpp v69, v68 row_shr:1 row_mask:0xf bank_mask:0xf
	s_delay_alu instid0(VALU_DEP_1) | instskip(NEXT) | instid1(VALU_DEP_1)
	v_cndmask_b32_e64 v69, v69, 0, s9
	v_add_nc_u32_e32 v68, v69, v68
	s_delay_alu instid0(VALU_DEP_1) | instskip(NEXT) | instid1(VALU_DEP_1)
	v_mov_b32_dpp v69, v68 row_shr:2 row_mask:0xf bank_mask:0xf
	v_cndmask_b32_e64 v69, 0, v69, s10
	s_delay_alu instid0(VALU_DEP_1) | instskip(NEXT) | instid1(VALU_DEP_1)
	v_add_nc_u32_e32 v68, v68, v69
	v_mov_b32_dpp v69, v68 row_shr:4 row_mask:0xf bank_mask:0xf
	s_delay_alu instid0(VALU_DEP_1) | instskip(NEXT) | instid1(VALU_DEP_1)
	v_cndmask_b32_e64 v69, 0, v69, s11
	v_add_nc_u32_e32 v68, v68, v69
	flat_store_b32 v[35:36], v68
.LBB1746_365:                           ;   in Loop: Header=BB1746_359 Depth=1
	s_or_b32 exec_lo, exec_lo, s12
	v_mov_b32_e32 v68, 0
	s_waitcnt lgkmcnt(0)
	s_waitcnt_vscnt null, 0x0
	s_barrier
	buffer_gl0_inv
	s_and_saveexec_b32 s12, s6
	s_cbranch_execz .LBB1746_367
; %bb.366:                              ;   in Loop: Header=BB1746_359 Depth=1
	flat_load_b32 v68, v[48:49]
.LBB1746_367:                           ;   in Loop: Header=BB1746_359 Depth=1
	s_or_b32 exec_lo, exec_lo, s12
	s_waitcnt vmcnt(0) lgkmcnt(0)
	v_add_nc_u32_e32 v21, v68, v21
	v_add_nc_u32_e32 v10, 8, v10
	s_mov_b32 s14, -1
	ds_bpermute_b32 v21, v65, v21
	s_waitcnt lgkmcnt(0)
	v_cndmask_b32_e64 v21, v21, v68, s7
	s_delay_alu instid0(VALU_DEP_1) | instskip(NEXT) | instid1(VALU_DEP_1)
	v_cndmask_b32_e64 v21, v21, 0, s8
	v_add_nc_u32_e32 v22, v21, v22
	s_delay_alu instid0(VALU_DEP_1) | instskip(NEXT) | instid1(VALU_DEP_1)
	v_add_nc_u32_e32 v23, v22, v23
	v_add_nc_u32_e32 v24, v23, v24
	s_delay_alu instid0(VALU_DEP_1) | instskip(NEXT) | instid1(VALU_DEP_1)
	v_add_nc_u32_e32 v68, v24, v25
	;; [unrolled: 3-line block ×3, first 2 shown]
	v_add_nc_u32_e32 v71, v70, v20
	s_clause 0x1
	flat_store_b128 v[8:9], v[21:24] offset:32
	flat_store_b128 v[30:31], v[68:71] offset:16
	s_waitcnt lgkmcnt(0)
	s_waitcnt_vscnt null, 0x0
	s_barrier
	buffer_gl0_inv
	flat_load_b32 v18, v[54:55]
	s_waitcnt vmcnt(0) lgkmcnt(0)
	s_waitcnt_vscnt null, 0x0
                                        ; implicit-def: $vgpr22
	s_waitcnt vmcnt(0) lgkmcnt(0)
	v_add_nc_u32_e32 v4, v18, v4
	s_delay_alu instid0(VALU_DEP_1) | instskip(NEXT) | instid1(VALU_DEP_1)
	v_lshlrev_b64 v[18:19], 1, v[4:5]
	v_add_co_u32 v20, s13, v12, v18
	s_delay_alu instid0(VALU_DEP_1)
	v_add_co_ci_u32_e64 v21, s13, v13, v19, s13
	s_mov_b32 s13, exec_lo
                                        ; implicit-def: $vgpr18_vgpr19
	v_cmpx_lt_u32_e64 v10, v11
	s_cbranch_execz .LBB1746_358
; %bb.368:                              ;   in Loop: Header=BB1746_359 Depth=1
	s_delay_alu instid0(VALU_DEP_2)
	v_mad_u64_u32 v[18:19], null, v4, 6, v[20:21]
	s_barrier
	buffer_gl0_inv
	flat_store_b16 v[20:21], v67
	s_waitcnt lgkmcnt(0)
	s_waitcnt_vscnt null, 0x0
	s_barrier
	buffer_gl0_inv
	flat_load_u16 v22, v[37:38]
	s_waitcnt vmcnt(0) lgkmcnt(0)
	s_barrier
	buffer_gl0_inv
	flat_store_b64 v[18:19], v[52:53]
	s_waitcnt lgkmcnt(0)
	s_waitcnt_vscnt null, 0x0
	s_barrier
	buffer_gl0_inv
	flat_load_b64 v[18:19], v[50:51]
	v_add_nc_u32_e32 v66, -8, v66
	s_xor_b32 s14, exec_lo, -1
	s_waitcnt vmcnt(0) lgkmcnt(0)
	s_barrier
	buffer_gl0_inv
	s_branch .LBB1746_358
.LBB1746_369:
	s_or_b32 exec_lo, exec_lo, s16
	v_lshlrev_b32_e32 v5, 1, v34
	s_barrier
	buffer_gl0_inv
	flat_store_b16 v[20:21], v67
	s_waitcnt lgkmcnt(0)
	s_waitcnt_vscnt null, 0x0
	v_add_co_u32 v9, vcc_lo, v12, v5
	v_add_co_ci_u32_e32 v10, vcc_lo, 0, v13, vcc_lo
	v_mad_u64_u32 v[11:12], null, v4, 6, v[20:21]
	s_barrier
	s_delay_alu instid0(VALU_DEP_2)
	v_mad_u64_u32 v[4:5], null, v34, 6, v[9:10]
	buffer_gl0_inv
	flat_load_u16 v8, v[9:10]
	s_waitcnt vmcnt(0) lgkmcnt(0)
	s_barrier
	buffer_gl0_inv
	flat_store_b64 v[11:12], v[52:53]
	s_waitcnt lgkmcnt(0)
	s_waitcnt_vscnt null, 0x0
	s_barrier
	buffer_gl0_inv
	flat_load_b64 v[4:5], v[4:5]
	v_mov_b32_e32 v27, 0
	s_mov_b32 s0, exec_lo
	s_waitcnt vmcnt(0) lgkmcnt(0)
	s_barrier
	buffer_gl0_inv
	v_cmpx_lt_u32_e64 v26, v47
	s_cbranch_execz .LBB1746_371
; %bb.370:
	v_lshlrev_b64 v[9:10], 1, v[26:27]
	v_add_co_u32 v2, vcc_lo, v2, v28
	v_add_co_ci_u32_e32 v3, vcc_lo, v3, v29, vcc_lo
	s_delay_alu instid0(VALU_DEP_2) | instskip(NEXT) | instid1(VALU_DEP_2)
	v_add_co_u32 v2, vcc_lo, v2, v9
	v_add_co_ci_u32_e32 v3, vcc_lo, v3, v10, vcc_lo
	v_cmp_gt_i16_e32 vcc_lo, 0, v8
	v_lshlrev_b64 v[9:10], 3, v[26:27]
	v_cndmask_b32_e64 v11, 0x7fff, 0, vcc_lo
	v_add_co_u32 v0, vcc_lo, v6, v0
	v_add_co_ci_u32_e32 v1, vcc_lo, v7, v1, vcc_lo
	s_delay_alu instid0(VALU_DEP_3) | instskip(NEXT) | instid1(VALU_DEP_3)
	v_xor_b32_e32 v6, v11, v8
	v_add_co_u32 v0, vcc_lo, v0, v9
	s_delay_alu instid0(VALU_DEP_3)
	v_add_co_ci_u32_e32 v1, vcc_lo, v1, v10, vcc_lo
	flat_store_b16 v[2:3], v6
	flat_store_b64 v[0:1], v[4:5]
.LBB1746_371:
	s_or_b32 exec_lo, exec_lo, s0
.LBB1746_372:
	s_delay_alu instid0(SALU_CYCLE_1)
	s_or_b32 exec_lo, exec_lo, s24
	s_clause 0x1f
	scratch_load_b32 v141, off, s32
	scratch_load_b32 v140, off, s32 offset:4
	scratch_load_b32 v139, off, s32 offset:8
	;; [unrolled: 1-line block ×31, first 2 shown]
	s_clause 0x15
	scratch_load_b32 v77, off, s32 offset:128
	scratch_load_b32 v76, off, s32 offset:132
	;; [unrolled: 1-line block ×22, first 2 shown]
	s_waitcnt vmcnt(0) lgkmcnt(0)
	s_setpc_b64 s[30:31]
.Lfunc_end1746:
	.size	_ZN7rocprim17ROCPRIM_400000_NS6detail40segmented_radix_sort_single_block_helperI6__halflLj256ELj16ELb1EE4sortIPKS3_PS3_PKlPlEEbT_T0_T1_T2_jjjjRNS4_12storage_typeE, .Lfunc_end1746-_ZN7rocprim17ROCPRIM_400000_NS6detail40segmented_radix_sort_single_block_helperI6__halflLj256ELj16ELb1EE4sortIPKS3_PS3_PKlPlEEbT_T0_T1_T2_jjjjRNS4_12storage_typeE
                                        ; -- End function
	.section	.AMDGPU.csdata,"",@progbits
; Function info:
; codeLenInByte = 33936
; NumSgprs: 35
; NumVgprs: 248
; ScratchSize: 220
; MemoryBound: 1
	.section	.text._ZN7rocprim17ROCPRIM_400000_NS6detail17trampoline_kernelINS0_14default_configENS1_36segmented_radix_sort_config_selectorI6__halflEEZNS1_25segmented_radix_sort_implIS3_Lb1EPKS5_PS5_PKlPlN2at6native12_GLOBAL__N_18offset_tEEE10hipError_tPvRmT1_PNSt15iterator_traitsISL_E10value_typeET2_T3_PNSM_ISR_E10value_typeET4_jRbjT5_SX_jjP12ihipStream_tbEUlT_E_NS1_11comp_targetILNS1_3genE9ELNS1_11target_archE1100ELNS1_3gpuE3ELNS1_3repE0EEENS1_30default_config_static_selectorELNS0_4arch9wavefront6targetE0EEEvSL_,"axG",@progbits,_ZN7rocprim17ROCPRIM_400000_NS6detail17trampoline_kernelINS0_14default_configENS1_36segmented_radix_sort_config_selectorI6__halflEEZNS1_25segmented_radix_sort_implIS3_Lb1EPKS5_PS5_PKlPlN2at6native12_GLOBAL__N_18offset_tEEE10hipError_tPvRmT1_PNSt15iterator_traitsISL_E10value_typeET2_T3_PNSM_ISR_E10value_typeET4_jRbjT5_SX_jjP12ihipStream_tbEUlT_E_NS1_11comp_targetILNS1_3genE9ELNS1_11target_archE1100ELNS1_3gpuE3ELNS1_3repE0EEENS1_30default_config_static_selectorELNS0_4arch9wavefront6targetE0EEEvSL_,comdat
	.globl	_ZN7rocprim17ROCPRIM_400000_NS6detail17trampoline_kernelINS0_14default_configENS1_36segmented_radix_sort_config_selectorI6__halflEEZNS1_25segmented_radix_sort_implIS3_Lb1EPKS5_PS5_PKlPlN2at6native12_GLOBAL__N_18offset_tEEE10hipError_tPvRmT1_PNSt15iterator_traitsISL_E10value_typeET2_T3_PNSM_ISR_E10value_typeET4_jRbjT5_SX_jjP12ihipStream_tbEUlT_E_NS1_11comp_targetILNS1_3genE9ELNS1_11target_archE1100ELNS1_3gpuE3ELNS1_3repE0EEENS1_30default_config_static_selectorELNS0_4arch9wavefront6targetE0EEEvSL_ ; -- Begin function _ZN7rocprim17ROCPRIM_400000_NS6detail17trampoline_kernelINS0_14default_configENS1_36segmented_radix_sort_config_selectorI6__halflEEZNS1_25segmented_radix_sort_implIS3_Lb1EPKS5_PS5_PKlPlN2at6native12_GLOBAL__N_18offset_tEEE10hipError_tPvRmT1_PNSt15iterator_traitsISL_E10value_typeET2_T3_PNSM_ISR_E10value_typeET4_jRbjT5_SX_jjP12ihipStream_tbEUlT_E_NS1_11comp_targetILNS1_3genE9ELNS1_11target_archE1100ELNS1_3gpuE3ELNS1_3repE0EEENS1_30default_config_static_selectorELNS0_4arch9wavefront6targetE0EEEvSL_
	.p2align	8
	.type	_ZN7rocprim17ROCPRIM_400000_NS6detail17trampoline_kernelINS0_14default_configENS1_36segmented_radix_sort_config_selectorI6__halflEEZNS1_25segmented_radix_sort_implIS3_Lb1EPKS5_PS5_PKlPlN2at6native12_GLOBAL__N_18offset_tEEE10hipError_tPvRmT1_PNSt15iterator_traitsISL_E10value_typeET2_T3_PNSM_ISR_E10value_typeET4_jRbjT5_SX_jjP12ihipStream_tbEUlT_E_NS1_11comp_targetILNS1_3genE9ELNS1_11target_archE1100ELNS1_3gpuE3ELNS1_3repE0EEENS1_30default_config_static_selectorELNS0_4arch9wavefront6targetE0EEEvSL_,@function
_ZN7rocprim17ROCPRIM_400000_NS6detail17trampoline_kernelINS0_14default_configENS1_36segmented_radix_sort_config_selectorI6__halflEEZNS1_25segmented_radix_sort_implIS3_Lb1EPKS5_PS5_PKlPlN2at6native12_GLOBAL__N_18offset_tEEE10hipError_tPvRmT1_PNSt15iterator_traitsISL_E10value_typeET2_T3_PNSM_ISR_E10value_typeET4_jRbjT5_SX_jjP12ihipStream_tbEUlT_E_NS1_11comp_targetILNS1_3genE9ELNS1_11target_archE1100ELNS1_3gpuE3ELNS1_3repE0EEENS1_30default_config_static_selectorELNS0_4arch9wavefront6targetE0EEEvSL_: ; @_ZN7rocprim17ROCPRIM_400000_NS6detail17trampoline_kernelINS0_14default_configENS1_36segmented_radix_sort_config_selectorI6__halflEEZNS1_25segmented_radix_sort_implIS3_Lb1EPKS5_PS5_PKlPlN2at6native12_GLOBAL__N_18offset_tEEE10hipError_tPvRmT1_PNSt15iterator_traitsISL_E10value_typeET2_T3_PNSM_ISR_E10value_typeET4_jRbjT5_SX_jjP12ihipStream_tbEUlT_E_NS1_11comp_targetILNS1_3genE9ELNS1_11target_archE1100ELNS1_3gpuE3ELNS1_3repE0EEENS1_30default_config_static_selectorELNS0_4arch9wavefront6targetE0EEEvSL_
; %bb.0:
	s_clause 0x1
	s_load_b64 s[2:3], s[0:1], 0x38
	s_load_b128 s[4:7], s[0:1], 0x40
	s_mov_b32 s26, s14
	s_mov_b32 s27, 0
	;; [unrolled: 1-line block ×3, first 2 shown]
	s_lshl_b64 s[8:9], s[26:27], 2
	s_waitcnt lgkmcnt(0)
	s_add_u32 s2, s2, s8
	s_addc_u32 s3, s3, s9
	s_load_b32 s2, s[2:3], 0x0
	s_waitcnt lgkmcnt(0)
	s_add_i32 s52, s2, s5
	s_add_i32 s53, s2, s7
	s_mul_i32 s52, s52, s4
	s_mul_i32 s53, s53, s6
	s_delay_alu instid0(SALU_CYCLE_1)
	s_cmp_le_u32 s53, s52
	s_cbranch_scc1 .LBB1747_1190
; %bb.1:
	s_clause 0x3
	s_load_b32 s2, s[0:1], 0x30
	s_load_b128 s[44:47], s[0:1], 0x20
	s_load_b128 s[48:51], s[0:1], 0x50
	s_load_b256 s[36:43], s[0:1], 0x0
	s_waitcnt lgkmcnt(0)
	s_bitcmp1_b32 s2, 0
	s_mov_b32 s2, -1
	s_cselect_b32 s51, -1, 0
	s_sub_i32 s54, s53, s52
	s_delay_alu instid0(SALU_CYCLE_1)
	s_cmpk_lt_u32 s54, 0x1001
	s_cbranch_scc0 .LBB1747_7
; %bb.2:
	v_cndmask_b32_e64 v1, 0, 1, s51
	s_and_b32 s2, s48, 1
	s_delay_alu instid0(VALU_DEP_1) | instid1(SALU_CYCLE_1)
	v_cmp_ne_u32_e32 vcc_lo, s2, v1
	s_mov_b32 s2, -1
	s_cbranch_vccnz .LBB1747_4
; %bb.3:
	s_mov_b64 s[2:3], src_shared_base
	v_mov_b32_e32 v31, v0
	v_dual_mov_b32 v40, v0 :: v_dual_mov_b32 v1, s37
	v_mov_b32_e32 v0, s36
	v_dual_mov_b32 v2, s40 :: v_dual_mov_b32 v3, s41
	v_dual_mov_b32 v4, s42 :: v_dual_mov_b32 v5, s43
	;; [unrolled: 1-line block ×6, first 2 shown]
	s_add_u32 s8, s0, 0x60
	s_addc_u32 s9, s1, 0
	s_mov_b32 s12, s26
	s_mov_b32 s13, s15
	s_getpc_b64 s[4:5]
	s_add_u32 s4, s4, _ZN7rocprim17ROCPRIM_400000_NS6detail40segmented_radix_sort_single_block_helperI6__halflLj256ELj16ELb1EE4sortIPKS3_PS3_PKlPlEEbT_T0_T1_T2_jjjjRNS4_12storage_typeE@rel32@lo+4
	s_addc_u32 s5, s5, _ZN7rocprim17ROCPRIM_400000_NS6detail40segmented_radix_sort_single_block_helperI6__halflLj256ELj16ELb1EE4sortIPKS3_PS3_PKlPlEEbT_T0_T1_T2_jjjjRNS4_12storage_typeE@rel32@hi+12
	s_mov_b64 s[28:29], s[0:1]
	s_mov_b32 s27, s15
	s_swappc_b64 s[30:31], s[4:5]
	v_mov_b32_e32 v0, v40
	s_mov_b32 s15, s27
	s_mov_b64 s[0:1], s[28:29]
	s_mov_b32 s2, 0
.LBB1747_4:
	s_delay_alu instid0(SALU_CYCLE_1)
	s_and_not1_b32 vcc_lo, exec_lo, s2
	s_cbranch_vccnz .LBB1747_6
; %bb.5:
	s_mov_b64 s[2:3], src_shared_base
	v_mov_b32_e32 v31, v0
	v_dual_mov_b32 v40, v0 :: v_dual_mov_b32 v1, s37
	v_mov_b32_e32 v0, s36
	v_dual_mov_b32 v2, s38 :: v_dual_mov_b32 v3, s39
	v_dual_mov_b32 v4, s42 :: v_dual_mov_b32 v5, s43
	;; [unrolled: 1-line block ×6, first 2 shown]
	s_add_u32 s8, s0, 0x60
	s_addc_u32 s9, s1, 0
	s_mov_b32 s12, s26
	s_mov_b32 s13, s15
	s_getpc_b64 s[4:5]
	s_add_u32 s4, s4, _ZN7rocprim17ROCPRIM_400000_NS6detail40segmented_radix_sort_single_block_helperI6__halflLj256ELj16ELb1EE4sortIPKS3_PS3_PKlPlEEbT_T0_T1_T2_jjjjRNS4_12storage_typeE@rel32@lo+4
	s_addc_u32 s5, s5, _ZN7rocprim17ROCPRIM_400000_NS6detail40segmented_radix_sort_single_block_helperI6__halflLj256ELj16ELb1EE4sortIPKS3_PS3_PKlPlEEbT_T0_T1_T2_jjjjRNS4_12storage_typeE@rel32@hi+12
	s_mov_b64 s[28:29], s[0:1]
	s_mov_b32 s27, s15
	s_swappc_b64 s[30:31], s[4:5]
	v_mov_b32_e32 v0, v40
	s_mov_b32 s15, s27
	s_mov_b64 s[0:1], s[28:29]
.LBB1747_6:
	s_mov_b32 s2, 0
.LBB1747_7:
	s_delay_alu instid0(SALU_CYCLE_1)
	s_and_not1_b32 vcc_lo, exec_lo, s2
	s_cbranch_vccnz .LBB1747_1190
; %bb.8:
	s_cmp_ge_u32 s49, s50
	s_cbranch_scc1 .LBB1747_1190
; %bb.9:
	v_dual_mov_b32 v94, 1 :: v_dual_and_b32 v1, 0x3ff, v0
	v_mov_b32_e32 v3, 0
	v_bfe_u32 v70, v0, 20, 10
	v_bfe_u32 v0, v0, 10, 10
	s_delay_alu instid0(VALU_DEP_4)
	v_lshlrev_b32_e32 v44, 2, v1
	v_lshrrev_b32_e32 v4, 3, v1
	v_or_b32_e32 v5, 31, v1
	v_lshlrev_b32_e32 v6, 5, v1
	v_lshlrev_b32_e32 v2, 1, v1
	v_mad_u32_u24 v64, v1, 12, v44
	v_and_b32_e32 v62, 28, v4
	v_lshlrev_b32_e32 v4, 4, v1
	v_cmp_eq_u32_e64 s3, v5, v1
	v_add_nc_u32_e32 v5, 1, v1
	v_mad_u32_u24 v69, v1, 20, v64
	v_or_b32_e32 v55, 0x800, v1
	v_and_b32_e32 v68, 0xe00, v4
	v_mul_u32_u24_e32 v4, 9, v1
	v_or_b32_e32 v56, 0x900, v1
	v_sub_nc_u32_e32 v72, v69, v6
	v_or_b32_e32 v57, 0xa00, v1
	v_lshlrev_b32_e32 v6, 3, v68
	v_lshl_add_u32 v71, v4, 2, 0x420
	v_mul_u32_u24_e32 v4, 9, v5
	v_or_b32_e32 v58, 0xb00, v1
	v_or_b32_e32 v59, 0xc00, v1
	v_add_co_u32 v74, s8, s46, v6
	s_delay_alu instid0(VALU_DEP_4) | instskip(SKIP_4) | instid1(VALU_DEP_4)
	v_lshlrev_b32_e32 v73, 2, v4
	v_lshlrev_b32_e32 v4, 1, v68
	v_add_co_ci_u32_e64 v75, null, s47, 0, s8
	v_or_b32_e32 v60, 0xd00, v1
	v_or_b32_e32 v61, 0xe00, v1
	v_add_co_u32 v76, s8, s40, v4
	s_delay_alu instid0(VALU_DEP_1) | instskip(SKIP_1) | instid1(VALU_DEP_1)
	v_add_co_ci_u32_e64 v77, null, s41, 0, s8
	v_add_co_u32 v82, s8, s38, v2
	v_add_co_ci_u32_e64 v83, null, s39, 0, s8
	v_add_co_u32 v84, s8, s44, v6
	s_delay_alu instid0(VALU_DEP_1) | instskip(SKIP_1) | instid1(VALU_DEP_1)
	v_add_co_ci_u32_e64 v85, null, s45, 0, s8
	v_add_co_u32 v86, s8, s38, v4
	v_add_co_ci_u32_e64 v87, null, s39, 0, s8
	v_add_co_u32 v88, s8, s36, v2
	v_or_b32_e32 v63, 0xf00, v1
	v_add_co_ci_u32_e64 v89, null, s37, 0, s8
	v_add_co_u32 v90, s8, s42, v6
	v_add_co_u32 v49, s2, s40, v2
	v_add_co_ci_u32_e64 v91, null, s43, 0, s8
	v_add_co_u32 v92, s8, s36, v4
	v_or_b32_e32 v45, 0x100, v1
	v_or_b32_e32 v46, 0x200, v1
	;; [unrolled: 1-line block ×3, first 2 shown]
	v_and_b32_e32 v48, 3, v1
	v_add_co_ci_u32_e64 v50, null, s41, 0, s2
	v_or_b32_e32 v51, 0x400, v1
	v_or_b32_e32 v52, 0x500, v1
	;; [unrolled: 1-line block ×4, first 2 shown]
	v_cmp_gt_u32_e64 s2, 0x100, v1
	v_or_b32_e32 v65, 0x8400, v62
	v_cmp_gt_u32_e64 s4, 8, v1
	v_add_nc_u32_e32 v66, 0x8400, v44
	v_cmp_lt_u32_e64 s5, 31, v1
	v_add_nc_u32_e32 v67, 0x83fc, v62
	v_cmp_eq_u32_e64 s6, 0, v1
	v_cmp_ne_u32_e64 s7, 0x100, v5
	v_sub_nc_u32_e32 v78, 0, v2
	v_add_nc_u32_e32 v79, 0x400, v2
	v_lshlrev_b32_e32 v80, 3, v1
	v_mul_u32_u24_e32 v81, 6, v1
	v_add_co_ci_u32_e64 v93, null, s37, 0, s8
	v_lshlrev_b32_e32 v95, 1, v1
	v_lshlrev_b32_e32 v96, 1, v55
	;; [unrolled: 1-line block ×9, first 2 shown]
	v_mbcnt_lo_u32_b32 v104, -1, 0
	s_add_u32 s42, s0, 0x60
	s_mov_b32 s35, 0
	s_addc_u32 s43, s1, 0
	s_mov_b32 s48, s49
	s_branch .LBB1747_12
.LBB1747_10:                            ;   in Loop: Header=BB1747_12 Depth=1
	s_waitcnt lgkmcnt(0)
	s_barrier
.LBB1747_11:                            ;   in Loop: Header=BB1747_12 Depth=1
	s_add_i32 s48, s48, 8
	buffer_gl0_inv
	s_cmp_ge_u32 s48, s50
	s_cbranch_scc1 .LBB1747_1190
.LBB1747_12:                            ; =>This Loop Header: Depth=1
                                        ;     Child Loop BB1747_16 Depth 2
                                        ;     Child Loop BB1747_98 Depth 2
	;; [unrolled: 1-line block ×8, first 2 shown]
	s_sub_i32 s0, s50, s48
	s_xor_b32 s51, s51, -1
	s_min_u32 s0, s0, 8
	ds_store_2addr_stride64_b32 v44, v3, v3 offset1:4
	s_lshl_b32 s0, -1, s0
	ds_store_2addr_stride64_b32 v44, v3, v3 offset0:8 offset1:12
	s_not_b32 s55, s0
	s_cmp_lg_u32 s48, s49
	s_mov_b32 s0, -1
	s_waitcnt lgkmcnt(0)
	s_waitcnt_vscnt null, 0x0
	s_cbranch_scc0 .LBB1747_602
; %bb.13:                               ;   in Loop: Header=BB1747_12 Depth=1
	s_and_b32 vcc_lo, exec_lo, s51
	s_cbranch_vccz .LBB1747_307
; %bb.14:                               ;   in Loop: Header=BB1747_12 Depth=1
	s_mov_b32 s8, s54
	s_mov_b32 s34, s52
	s_barrier
	buffer_gl0_inv
                                        ; implicit-def: $vgpr20
                                        ; implicit-def: $vgpr2
                                        ; implicit-def: $vgpr6
                                        ; implicit-def: $vgpr7
                                        ; implicit-def: $vgpr8
                                        ; implicit-def: $vgpr9
                                        ; implicit-def: $vgpr10
                                        ; implicit-def: $vgpr11
                                        ; implicit-def: $vgpr12
                                        ; implicit-def: $vgpr13
                                        ; implicit-def: $vgpr14
                                        ; implicit-def: $vgpr15
                                        ; implicit-def: $vgpr16
                                        ; implicit-def: $vgpr17
                                        ; implicit-def: $vgpr18
                                        ; implicit-def: $vgpr19
	s_branch .LBB1747_16
.LBB1747_15:                            ;   in Loop: Header=BB1747_16 Depth=2
	s_or_b32 exec_lo, exec_lo, s0
	s_addk_i32 s8, 0xf000
	s_cmp_ge_u32 s9, s53
	s_mov_b32 s34, s9
	s_cbranch_scc1 .LBB1747_86
.LBB1747_16:                            ;   Parent Loop BB1747_12 Depth=1
                                        ; =>  This Inner Loop Header: Depth=2
	s_add_i32 s9, s34, 0x1000
	s_delay_alu instid0(SALU_CYCLE_1)
	s_cmp_gt_u32 s9, s53
	s_cbranch_scc1 .LBB1747_19
; %bb.17:                               ;   in Loop: Header=BB1747_16 Depth=2
	s_mov_b32 s1, 0
	s_mov_b32 s0, s34
	s_delay_alu instid0(SALU_CYCLE_1) | instskip(NEXT) | instid1(SALU_CYCLE_1)
	s_lshl_b64 s[10:11], s[0:1], 1
	v_add_co_u32 v4, vcc_lo, v49, s10
	v_add_co_ci_u32_e32 v5, vcc_lo, s11, v50, vcc_lo
	s_movk_i32 s11, 0x1000
	s_waitcnt vmcnt(0)
	s_delay_alu instid0(VALU_DEP_2) | instskip(NEXT) | instid1(VALU_DEP_2)
	v_add_co_u32 v36, vcc_lo, 0x1000, v4
	v_add_co_ci_u32_e32 v37, vcc_lo, 0, v5, vcc_lo
	s_clause 0xe
	global_load_u16 v22, v[4:5], off
	global_load_u16 v23, v[4:5], off offset:512
	global_load_u16 v24, v[4:5], off offset:1024
	global_load_u16 v25, v[4:5], off offset:1536
	global_load_u16 v26, v[4:5], off offset:2048
	global_load_u16 v27, v[4:5], off offset:2560
	global_load_u16 v28, v[4:5], off offset:3072
	global_load_u16 v29, v[4:5], off offset:3584
	global_load_u16 v30, v[36:37], off
	global_load_u16 v31, v[36:37], off offset:512
	global_load_u16 v32, v[36:37], off offset:1024
	;; [unrolled: 1-line block ×6, first 2 shown]
	v_add_co_u32 v4, vcc_lo, 0x1e00, v4
	v_add_co_ci_u32_e32 v5, vcc_lo, 0, v5, vcc_lo
	s_mov_b32 s10, -1
	s_cbranch_execz .LBB1747_20
; %bb.18:                               ;   in Loop: Header=BB1747_16 Depth=2
                                        ; implicit-def: $vgpr19
                                        ; implicit-def: $vgpr18
                                        ; implicit-def: $vgpr17
                                        ; implicit-def: $vgpr16
                                        ; implicit-def: $vgpr15
                                        ; implicit-def: $vgpr14
                                        ; implicit-def: $vgpr13
                                        ; implicit-def: $vgpr12
                                        ; implicit-def: $vgpr11
                                        ; implicit-def: $vgpr10
                                        ; implicit-def: $vgpr9
                                        ; implicit-def: $vgpr8
                                        ; implicit-def: $vgpr7
                                        ; implicit-def: $vgpr6
                                        ; implicit-def: $vgpr2
                                        ; implicit-def: $vgpr20
	v_mov_b32_e32 v21, s8
	s_and_saveexec_b32 s0, s10
	s_cbranch_execnz .LBB1747_39
	s_branch .LBB1747_40
.LBB1747_19:                            ;   in Loop: Header=BB1747_16 Depth=2
	s_mov_b32 s10, 0
                                        ; implicit-def: $sgpr11
                                        ; implicit-def: $vgpr22
                                        ; implicit-def: $vgpr23
                                        ; implicit-def: $vgpr24
                                        ; implicit-def: $vgpr25
                                        ; implicit-def: $vgpr26
                                        ; implicit-def: $vgpr27
                                        ; implicit-def: $vgpr28
                                        ; implicit-def: $vgpr29
                                        ; implicit-def: $vgpr30
                                        ; implicit-def: $vgpr31
                                        ; implicit-def: $vgpr32
                                        ; implicit-def: $vgpr33
                                        ; implicit-def: $vgpr34
                                        ; implicit-def: $vgpr35
                                        ; implicit-def: $vgpr36
                                        ; implicit-def: $vgpr4_vgpr5
.LBB1747_20:                            ;   in Loop: Header=BB1747_16 Depth=2
	s_lshl_b64 s[0:1], s[34:35], 1
	s_mov_b32 s11, exec_lo
	s_add_u32 s0, s40, s0
	s_addc_u32 s1, s41, s1
	v_cmpx_gt_u32_e64 s8, v1
	s_cbranch_execz .LBB1747_72
; %bb.21:                               ;   in Loop: Header=BB1747_16 Depth=2
	global_load_u16 v19, v95, s[0:1]
	s_or_b32 exec_lo, exec_lo, s11
	s_delay_alu instid0(SALU_CYCLE_1)
	s_mov_b32 s11, exec_lo
	v_cmpx_gt_u32_e64 s8, v45
	s_cbranch_execnz .LBB1747_73
.LBB1747_22:                            ;   in Loop: Header=BB1747_16 Depth=2
	s_or_b32 exec_lo, exec_lo, s11
	s_delay_alu instid0(SALU_CYCLE_1)
	s_mov_b32 s11, exec_lo
	v_cmpx_gt_u32_e64 s8, v46
	s_cbranch_execz .LBB1747_74
.LBB1747_23:                            ;   in Loop: Header=BB1747_16 Depth=2
	global_load_u16 v17, v95, s[0:1] offset:1024
	s_or_b32 exec_lo, exec_lo, s11
	s_delay_alu instid0(SALU_CYCLE_1)
	s_mov_b32 s11, exec_lo
	v_cmpx_gt_u32_e64 s8, v47
	s_cbranch_execnz .LBB1747_75
.LBB1747_24:                            ;   in Loop: Header=BB1747_16 Depth=2
	s_or_b32 exec_lo, exec_lo, s11
	s_delay_alu instid0(SALU_CYCLE_1)
	s_mov_b32 s11, exec_lo
	v_cmpx_gt_u32_e64 s8, v51
	s_cbranch_execz .LBB1747_76
.LBB1747_25:                            ;   in Loop: Header=BB1747_16 Depth=2
	global_load_u16 v15, v95, s[0:1] offset:2048
	s_or_b32 exec_lo, exec_lo, s11
	s_delay_alu instid0(SALU_CYCLE_1)
	s_mov_b32 s11, exec_lo
	v_cmpx_gt_u32_e64 s8, v52
	s_cbranch_execnz .LBB1747_77
.LBB1747_26:                            ;   in Loop: Header=BB1747_16 Depth=2
	s_or_b32 exec_lo, exec_lo, s11
	s_delay_alu instid0(SALU_CYCLE_1)
	s_mov_b32 s11, exec_lo
	v_cmpx_gt_u32_e64 s8, v53
	s_cbranch_execz .LBB1747_78
.LBB1747_27:                            ;   in Loop: Header=BB1747_16 Depth=2
	global_load_u16 v13, v95, s[0:1] offset:3072
	s_or_b32 exec_lo, exec_lo, s11
	s_delay_alu instid0(SALU_CYCLE_1)
	s_mov_b32 s11, exec_lo
	v_cmpx_gt_u32_e64 s8, v54
	s_cbranch_execnz .LBB1747_79
.LBB1747_28:                            ;   in Loop: Header=BB1747_16 Depth=2
	s_or_b32 exec_lo, exec_lo, s11
	s_delay_alu instid0(SALU_CYCLE_1)
	s_mov_b32 s11, exec_lo
	v_cmpx_gt_u32_e64 s8, v55
	s_cbranch_execz .LBB1747_80
.LBB1747_29:                            ;   in Loop: Header=BB1747_16 Depth=2
	global_load_u16 v11, v96, s[0:1]
	s_or_b32 exec_lo, exec_lo, s11
	s_delay_alu instid0(SALU_CYCLE_1)
	s_mov_b32 s11, exec_lo
	v_cmpx_gt_u32_e64 s8, v56
	s_cbranch_execnz .LBB1747_81
.LBB1747_30:                            ;   in Loop: Header=BB1747_16 Depth=2
	s_or_b32 exec_lo, exec_lo, s11
	s_delay_alu instid0(SALU_CYCLE_1)
	s_mov_b32 s11, exec_lo
	v_cmpx_gt_u32_e64 s8, v57
	s_cbranch_execz .LBB1747_82
.LBB1747_31:                            ;   in Loop: Header=BB1747_16 Depth=2
	global_load_u16 v9, v98, s[0:1]
	s_or_b32 exec_lo, exec_lo, s11
	s_delay_alu instid0(SALU_CYCLE_1)
	s_mov_b32 s11, exec_lo
	v_cmpx_gt_u32_e64 s8, v58
	s_cbranch_execnz .LBB1747_83
.LBB1747_32:                            ;   in Loop: Header=BB1747_16 Depth=2
	s_or_b32 exec_lo, exec_lo, s11
	s_delay_alu instid0(SALU_CYCLE_1)
	s_mov_b32 s11, exec_lo
	v_cmpx_gt_u32_e64 s8, v59
	s_cbranch_execz .LBB1747_84
.LBB1747_33:                            ;   in Loop: Header=BB1747_16 Depth=2
	global_load_u16 v7, v100, s[0:1]
	s_or_b32 exec_lo, exec_lo, s11
	s_delay_alu instid0(SALU_CYCLE_1)
	s_mov_b32 s11, exec_lo
	v_cmpx_gt_u32_e64 s8, v60
	s_cbranch_execnz .LBB1747_85
.LBB1747_34:                            ;   in Loop: Header=BB1747_16 Depth=2
	s_or_b32 exec_lo, exec_lo, s11
	s_delay_alu instid0(SALU_CYCLE_1)
	s_mov_b32 s11, exec_lo
	v_cmpx_gt_u32_e64 s8, v61
	s_cbranch_execz .LBB1747_36
.LBB1747_35:                            ;   in Loop: Header=BB1747_16 Depth=2
	global_load_u16 v2, v102, s[0:1]
.LBB1747_36:                            ;   in Loop: Header=BB1747_16 Depth=2
	s_or_b32 exec_lo, exec_lo, s11
	s_delay_alu instid0(SALU_CYCLE_1)
	s_mov_b32 s12, exec_lo
                                        ; implicit-def: $sgpr11
                                        ; implicit-def: $vgpr4_vgpr5
	v_cmpx_gt_u32_e64 s8, v63
; %bb.37:                               ;   in Loop: Header=BB1747_16 Depth=2
	v_add_co_u32 v4, s0, s0, v103
	s_delay_alu instid0(VALU_DEP_1)
	v_add_co_ci_u32_e64 v5, null, s1, 0, s0
	s_sub_i32 s11, s53, s34
	s_or_b32 s10, s10, exec_lo
                                        ; implicit-def: $vgpr20
; %bb.38:                               ;   in Loop: Header=BB1747_16 Depth=2
	s_or_b32 exec_lo, exec_lo, s12
	s_waitcnt vmcnt(0)
	v_dual_mov_b32 v22, v19 :: v_dual_mov_b32 v23, v18
	v_dual_mov_b32 v24, v17 :: v_dual_mov_b32 v25, v16
	;; [unrolled: 1-line block ×8, first 2 shown]
	s_and_saveexec_b32 s0, s10
	s_cbranch_execz .LBB1747_40
.LBB1747_39:                            ;   in Loop: Header=BB1747_16 Depth=2
	global_load_u16 v20, v[4:5], off
	s_waitcnt vmcnt(1)
	v_dual_mov_b32 v21, s11 :: v_dual_mov_b32 v2, v36
	v_dual_mov_b32 v6, v35 :: v_dual_mov_b32 v7, v34
	;; [unrolled: 1-line block ×8, first 2 shown]
.LBB1747_40:                            ;   in Loop: Header=BB1747_16 Depth=2
	s_or_b32 exec_lo, exec_lo, s0
	s_delay_alu instid0(SALU_CYCLE_1)
	s_mov_b32 s0, exec_lo
	v_cmpx_lt_u32_e64 v1, v21
	s_cbranch_execz .LBB1747_56
; %bb.41:                               ;   in Loop: Header=BB1747_16 Depth=2
	v_cmp_gt_i16_e32 vcc_lo, 0, v19
	v_lshlrev_b32_e32 v5, 2, v48
	v_cndmask_b32_e64 v4, 0x7fff, 0, vcc_lo
	s_delay_alu instid0(VALU_DEP_1) | instskip(NEXT) | instid1(VALU_DEP_1)
	v_xor_b32_e32 v4, v4, v19
	v_cmp_ne_u16_e32 vcc_lo, 0x8000, v4
	v_cndmask_b32_e32 v4, 0x7fff, v4, vcc_lo
	s_delay_alu instid0(VALU_DEP_1) | instskip(NEXT) | instid1(VALU_DEP_1)
	v_and_b32_e32 v4, 0xffff, v4
	v_lshrrev_b32_e32 v4, s48, v4
	s_delay_alu instid0(VALU_DEP_1) | instskip(NEXT) | instid1(VALU_DEP_1)
	v_and_b32_e32 v4, s55, v4
	v_lshl_or_b32 v4, v4, 4, v5
	ds_add_u32 v4, v94
	s_or_b32 exec_lo, exec_lo, s0
	s_delay_alu instid0(SALU_CYCLE_1)
	s_mov_b32 s0, exec_lo
	v_cmpx_lt_u32_e64 v45, v21
	s_cbranch_execnz .LBB1747_57
.LBB1747_42:                            ;   in Loop: Header=BB1747_16 Depth=2
	s_or_b32 exec_lo, exec_lo, s0
	s_delay_alu instid0(SALU_CYCLE_1)
	s_mov_b32 s0, exec_lo
	v_cmpx_lt_u32_e64 v46, v21
	s_cbranch_execz .LBB1747_58
.LBB1747_43:                            ;   in Loop: Header=BB1747_16 Depth=2
	v_cmp_gt_i16_e32 vcc_lo, 0, v17
	v_lshlrev_b32_e32 v5, 2, v48
	v_cndmask_b32_e64 v4, 0x7fff, 0, vcc_lo
	s_delay_alu instid0(VALU_DEP_1) | instskip(NEXT) | instid1(VALU_DEP_1)
	v_xor_b32_e32 v4, v4, v17
	v_cmp_ne_u16_e32 vcc_lo, 0x8000, v4
	v_cndmask_b32_e32 v4, 0x7fff, v4, vcc_lo
	s_delay_alu instid0(VALU_DEP_1) | instskip(NEXT) | instid1(VALU_DEP_1)
	v_and_b32_e32 v4, 0xffff, v4
	v_lshrrev_b32_e32 v4, s48, v4
	s_delay_alu instid0(VALU_DEP_1) | instskip(NEXT) | instid1(VALU_DEP_1)
	v_and_b32_e32 v4, s55, v4
	v_lshl_or_b32 v4, v4, 4, v5
	ds_add_u32 v4, v94
	s_or_b32 exec_lo, exec_lo, s0
	s_delay_alu instid0(SALU_CYCLE_1)
	s_mov_b32 s0, exec_lo
	v_cmpx_lt_u32_e64 v47, v21
	s_cbranch_execnz .LBB1747_59
.LBB1747_44:                            ;   in Loop: Header=BB1747_16 Depth=2
	s_or_b32 exec_lo, exec_lo, s0
	s_delay_alu instid0(SALU_CYCLE_1)
	s_mov_b32 s0, exec_lo
	v_cmpx_lt_u32_e64 v51, v21
	s_cbranch_execz .LBB1747_60
.LBB1747_45:                            ;   in Loop: Header=BB1747_16 Depth=2
	v_cmp_gt_i16_e32 vcc_lo, 0, v15
	v_lshlrev_b32_e32 v5, 2, v48
	v_cndmask_b32_e64 v4, 0x7fff, 0, vcc_lo
	s_delay_alu instid0(VALU_DEP_1) | instskip(NEXT) | instid1(VALU_DEP_1)
	v_xor_b32_e32 v4, v4, v15
	v_cmp_ne_u16_e32 vcc_lo, 0x8000, v4
	v_cndmask_b32_e32 v4, 0x7fff, v4, vcc_lo
	s_delay_alu instid0(VALU_DEP_1) | instskip(NEXT) | instid1(VALU_DEP_1)
	v_and_b32_e32 v4, 0xffff, v4
	v_lshrrev_b32_e32 v4, s48, v4
	s_delay_alu instid0(VALU_DEP_1) | instskip(NEXT) | instid1(VALU_DEP_1)
	v_and_b32_e32 v4, s55, v4
	v_lshl_or_b32 v4, v4, 4, v5
	ds_add_u32 v4, v94
	s_or_b32 exec_lo, exec_lo, s0
	s_delay_alu instid0(SALU_CYCLE_1)
	s_mov_b32 s0, exec_lo
	v_cmpx_lt_u32_e64 v52, v21
	s_cbranch_execnz .LBB1747_61
.LBB1747_46:                            ;   in Loop: Header=BB1747_16 Depth=2
	s_or_b32 exec_lo, exec_lo, s0
	s_delay_alu instid0(SALU_CYCLE_1)
	s_mov_b32 s0, exec_lo
	v_cmpx_lt_u32_e64 v53, v21
	s_cbranch_execz .LBB1747_62
.LBB1747_47:                            ;   in Loop: Header=BB1747_16 Depth=2
	v_cmp_gt_i16_e32 vcc_lo, 0, v13
	v_lshlrev_b32_e32 v5, 2, v48
	v_cndmask_b32_e64 v4, 0x7fff, 0, vcc_lo
	s_delay_alu instid0(VALU_DEP_1) | instskip(NEXT) | instid1(VALU_DEP_1)
	v_xor_b32_e32 v4, v4, v13
	v_cmp_ne_u16_e32 vcc_lo, 0x8000, v4
	v_cndmask_b32_e32 v4, 0x7fff, v4, vcc_lo
	s_delay_alu instid0(VALU_DEP_1) | instskip(NEXT) | instid1(VALU_DEP_1)
	v_and_b32_e32 v4, 0xffff, v4
	v_lshrrev_b32_e32 v4, s48, v4
	s_delay_alu instid0(VALU_DEP_1) | instskip(NEXT) | instid1(VALU_DEP_1)
	v_and_b32_e32 v4, s55, v4
	v_lshl_or_b32 v4, v4, 4, v5
	ds_add_u32 v4, v94
	s_or_b32 exec_lo, exec_lo, s0
	s_delay_alu instid0(SALU_CYCLE_1)
	s_mov_b32 s0, exec_lo
	v_cmpx_lt_u32_e64 v54, v21
	s_cbranch_execnz .LBB1747_63
.LBB1747_48:                            ;   in Loop: Header=BB1747_16 Depth=2
	s_or_b32 exec_lo, exec_lo, s0
	s_delay_alu instid0(SALU_CYCLE_1)
	s_mov_b32 s0, exec_lo
	v_cmpx_lt_u32_e64 v55, v21
	s_cbranch_execz .LBB1747_64
.LBB1747_49:                            ;   in Loop: Header=BB1747_16 Depth=2
	v_cmp_gt_i16_e32 vcc_lo, 0, v11
	v_lshlrev_b32_e32 v5, 2, v48
	v_cndmask_b32_e64 v4, 0x7fff, 0, vcc_lo
	s_delay_alu instid0(VALU_DEP_1) | instskip(NEXT) | instid1(VALU_DEP_1)
	v_xor_b32_e32 v4, v4, v11
	v_cmp_ne_u16_e32 vcc_lo, 0x8000, v4
	v_cndmask_b32_e32 v4, 0x7fff, v4, vcc_lo
	s_delay_alu instid0(VALU_DEP_1) | instskip(NEXT) | instid1(VALU_DEP_1)
	v_and_b32_e32 v4, 0xffff, v4
	v_lshrrev_b32_e32 v4, s48, v4
	s_delay_alu instid0(VALU_DEP_1) | instskip(NEXT) | instid1(VALU_DEP_1)
	v_and_b32_e32 v4, s55, v4
	v_lshl_or_b32 v4, v4, 4, v5
	ds_add_u32 v4, v94
	s_or_b32 exec_lo, exec_lo, s0
	s_delay_alu instid0(SALU_CYCLE_1)
	s_mov_b32 s0, exec_lo
	v_cmpx_lt_u32_e64 v56, v21
	s_cbranch_execnz .LBB1747_65
.LBB1747_50:                            ;   in Loop: Header=BB1747_16 Depth=2
	s_or_b32 exec_lo, exec_lo, s0
	s_delay_alu instid0(SALU_CYCLE_1)
	s_mov_b32 s0, exec_lo
	v_cmpx_lt_u32_e64 v57, v21
	s_cbranch_execz .LBB1747_66
.LBB1747_51:                            ;   in Loop: Header=BB1747_16 Depth=2
	v_cmp_gt_i16_e32 vcc_lo, 0, v9
	v_lshlrev_b32_e32 v5, 2, v48
	v_cndmask_b32_e64 v4, 0x7fff, 0, vcc_lo
	s_delay_alu instid0(VALU_DEP_1) | instskip(NEXT) | instid1(VALU_DEP_1)
	v_xor_b32_e32 v4, v4, v9
	v_cmp_ne_u16_e32 vcc_lo, 0x8000, v4
	v_cndmask_b32_e32 v4, 0x7fff, v4, vcc_lo
	s_delay_alu instid0(VALU_DEP_1) | instskip(NEXT) | instid1(VALU_DEP_1)
	v_and_b32_e32 v4, 0xffff, v4
	v_lshrrev_b32_e32 v4, s48, v4
	s_delay_alu instid0(VALU_DEP_1) | instskip(NEXT) | instid1(VALU_DEP_1)
	v_and_b32_e32 v4, s55, v4
	v_lshl_or_b32 v4, v4, 4, v5
	ds_add_u32 v4, v94
	s_or_b32 exec_lo, exec_lo, s0
	s_delay_alu instid0(SALU_CYCLE_1)
	s_mov_b32 s0, exec_lo
	v_cmpx_lt_u32_e64 v58, v21
	s_cbranch_execnz .LBB1747_67
.LBB1747_52:                            ;   in Loop: Header=BB1747_16 Depth=2
	s_or_b32 exec_lo, exec_lo, s0
	s_delay_alu instid0(SALU_CYCLE_1)
	s_mov_b32 s0, exec_lo
	v_cmpx_lt_u32_e64 v59, v21
	s_cbranch_execz .LBB1747_68
.LBB1747_53:                            ;   in Loop: Header=BB1747_16 Depth=2
	v_cmp_gt_i16_e32 vcc_lo, 0, v7
	v_lshlrev_b32_e32 v5, 2, v48
	v_cndmask_b32_e64 v4, 0x7fff, 0, vcc_lo
	s_delay_alu instid0(VALU_DEP_1) | instskip(NEXT) | instid1(VALU_DEP_1)
	v_xor_b32_e32 v4, v4, v7
	v_cmp_ne_u16_e32 vcc_lo, 0x8000, v4
	v_cndmask_b32_e32 v4, 0x7fff, v4, vcc_lo
	s_delay_alu instid0(VALU_DEP_1) | instskip(NEXT) | instid1(VALU_DEP_1)
	v_and_b32_e32 v4, 0xffff, v4
	v_lshrrev_b32_e32 v4, s48, v4
	s_delay_alu instid0(VALU_DEP_1) | instskip(NEXT) | instid1(VALU_DEP_1)
	v_and_b32_e32 v4, s55, v4
	v_lshl_or_b32 v4, v4, 4, v5
	ds_add_u32 v4, v94
	s_or_b32 exec_lo, exec_lo, s0
	s_delay_alu instid0(SALU_CYCLE_1)
	s_mov_b32 s0, exec_lo
	v_cmpx_lt_u32_e64 v60, v21
	s_cbranch_execnz .LBB1747_69
.LBB1747_54:                            ;   in Loop: Header=BB1747_16 Depth=2
	s_or_b32 exec_lo, exec_lo, s0
	s_delay_alu instid0(SALU_CYCLE_1)
	s_mov_b32 s0, exec_lo
	v_cmpx_lt_u32_e64 v61, v21
	s_cbranch_execz .LBB1747_70
.LBB1747_55:                            ;   in Loop: Header=BB1747_16 Depth=2
	v_cmp_gt_i16_e32 vcc_lo, 0, v2
	v_lshlrev_b32_e32 v5, 2, v48
	v_cndmask_b32_e64 v4, 0x7fff, 0, vcc_lo
	s_delay_alu instid0(VALU_DEP_1) | instskip(NEXT) | instid1(VALU_DEP_1)
	v_xor_b32_e32 v4, v4, v2
	v_cmp_ne_u16_e32 vcc_lo, 0x8000, v4
	v_cndmask_b32_e32 v4, 0x7fff, v4, vcc_lo
	s_delay_alu instid0(VALU_DEP_1) | instskip(NEXT) | instid1(VALU_DEP_1)
	v_and_b32_e32 v4, 0xffff, v4
	v_lshrrev_b32_e32 v4, s48, v4
	s_delay_alu instid0(VALU_DEP_1) | instskip(NEXT) | instid1(VALU_DEP_1)
	v_and_b32_e32 v4, s55, v4
	v_lshl_or_b32 v4, v4, 4, v5
	ds_add_u32 v4, v94
	s_or_b32 exec_lo, exec_lo, s0
	s_delay_alu instid0(SALU_CYCLE_1)
	s_mov_b32 s0, exec_lo
	v_cmpx_lt_u32_e64 v63, v21
	s_cbranch_execz .LBB1747_15
	s_branch .LBB1747_71
.LBB1747_56:                            ;   in Loop: Header=BB1747_16 Depth=2
	s_or_b32 exec_lo, exec_lo, s0
	s_delay_alu instid0(SALU_CYCLE_1)
	s_mov_b32 s0, exec_lo
	v_cmpx_lt_u32_e64 v45, v21
	s_cbranch_execz .LBB1747_42
.LBB1747_57:                            ;   in Loop: Header=BB1747_16 Depth=2
	v_cmp_gt_i16_e32 vcc_lo, 0, v18
	v_lshlrev_b32_e32 v5, 2, v48
	v_cndmask_b32_e64 v4, 0x7fff, 0, vcc_lo
	s_delay_alu instid0(VALU_DEP_1) | instskip(NEXT) | instid1(VALU_DEP_1)
	v_xor_b32_e32 v4, v4, v18
	v_cmp_ne_u16_e32 vcc_lo, 0x8000, v4
	v_cndmask_b32_e32 v4, 0x7fff, v4, vcc_lo
	s_delay_alu instid0(VALU_DEP_1) | instskip(NEXT) | instid1(VALU_DEP_1)
	v_and_b32_e32 v4, 0xffff, v4
	v_lshrrev_b32_e32 v4, s48, v4
	s_delay_alu instid0(VALU_DEP_1) | instskip(NEXT) | instid1(VALU_DEP_1)
	v_and_b32_e32 v4, s55, v4
	v_lshl_or_b32 v4, v4, 4, v5
	ds_add_u32 v4, v94
	s_or_b32 exec_lo, exec_lo, s0
	s_delay_alu instid0(SALU_CYCLE_1)
	s_mov_b32 s0, exec_lo
	v_cmpx_lt_u32_e64 v46, v21
	s_cbranch_execnz .LBB1747_43
.LBB1747_58:                            ;   in Loop: Header=BB1747_16 Depth=2
	s_or_b32 exec_lo, exec_lo, s0
	s_delay_alu instid0(SALU_CYCLE_1)
	s_mov_b32 s0, exec_lo
	v_cmpx_lt_u32_e64 v47, v21
	s_cbranch_execz .LBB1747_44
.LBB1747_59:                            ;   in Loop: Header=BB1747_16 Depth=2
	v_cmp_gt_i16_e32 vcc_lo, 0, v16
	v_lshlrev_b32_e32 v5, 2, v48
	v_cndmask_b32_e64 v4, 0x7fff, 0, vcc_lo
	s_delay_alu instid0(VALU_DEP_1) | instskip(NEXT) | instid1(VALU_DEP_1)
	v_xor_b32_e32 v4, v4, v16
	v_cmp_ne_u16_e32 vcc_lo, 0x8000, v4
	v_cndmask_b32_e32 v4, 0x7fff, v4, vcc_lo
	s_delay_alu instid0(VALU_DEP_1) | instskip(NEXT) | instid1(VALU_DEP_1)
	v_and_b32_e32 v4, 0xffff, v4
	v_lshrrev_b32_e32 v4, s48, v4
	s_delay_alu instid0(VALU_DEP_1) | instskip(NEXT) | instid1(VALU_DEP_1)
	v_and_b32_e32 v4, s55, v4
	v_lshl_or_b32 v4, v4, 4, v5
	ds_add_u32 v4, v94
	s_or_b32 exec_lo, exec_lo, s0
	s_delay_alu instid0(SALU_CYCLE_1)
	s_mov_b32 s0, exec_lo
	v_cmpx_lt_u32_e64 v51, v21
	s_cbranch_execnz .LBB1747_45
.LBB1747_60:                            ;   in Loop: Header=BB1747_16 Depth=2
	s_or_b32 exec_lo, exec_lo, s0
	s_delay_alu instid0(SALU_CYCLE_1)
	s_mov_b32 s0, exec_lo
	v_cmpx_lt_u32_e64 v52, v21
	s_cbranch_execz .LBB1747_46
.LBB1747_61:                            ;   in Loop: Header=BB1747_16 Depth=2
	v_cmp_gt_i16_e32 vcc_lo, 0, v14
	v_lshlrev_b32_e32 v5, 2, v48
	v_cndmask_b32_e64 v4, 0x7fff, 0, vcc_lo
	s_delay_alu instid0(VALU_DEP_1) | instskip(NEXT) | instid1(VALU_DEP_1)
	v_xor_b32_e32 v4, v4, v14
	v_cmp_ne_u16_e32 vcc_lo, 0x8000, v4
	v_cndmask_b32_e32 v4, 0x7fff, v4, vcc_lo
	s_delay_alu instid0(VALU_DEP_1) | instskip(NEXT) | instid1(VALU_DEP_1)
	v_and_b32_e32 v4, 0xffff, v4
	v_lshrrev_b32_e32 v4, s48, v4
	s_delay_alu instid0(VALU_DEP_1) | instskip(NEXT) | instid1(VALU_DEP_1)
	v_and_b32_e32 v4, s55, v4
	v_lshl_or_b32 v4, v4, 4, v5
	ds_add_u32 v4, v94
	s_or_b32 exec_lo, exec_lo, s0
	s_delay_alu instid0(SALU_CYCLE_1)
	s_mov_b32 s0, exec_lo
	v_cmpx_lt_u32_e64 v53, v21
	s_cbranch_execnz .LBB1747_47
.LBB1747_62:                            ;   in Loop: Header=BB1747_16 Depth=2
	s_or_b32 exec_lo, exec_lo, s0
	s_delay_alu instid0(SALU_CYCLE_1)
	s_mov_b32 s0, exec_lo
	v_cmpx_lt_u32_e64 v54, v21
	s_cbranch_execz .LBB1747_48
.LBB1747_63:                            ;   in Loop: Header=BB1747_16 Depth=2
	v_cmp_gt_i16_e32 vcc_lo, 0, v12
	v_lshlrev_b32_e32 v5, 2, v48
	v_cndmask_b32_e64 v4, 0x7fff, 0, vcc_lo
	s_delay_alu instid0(VALU_DEP_1) | instskip(NEXT) | instid1(VALU_DEP_1)
	v_xor_b32_e32 v4, v4, v12
	v_cmp_ne_u16_e32 vcc_lo, 0x8000, v4
	v_cndmask_b32_e32 v4, 0x7fff, v4, vcc_lo
	s_delay_alu instid0(VALU_DEP_1) | instskip(NEXT) | instid1(VALU_DEP_1)
	v_and_b32_e32 v4, 0xffff, v4
	v_lshrrev_b32_e32 v4, s48, v4
	s_delay_alu instid0(VALU_DEP_1) | instskip(NEXT) | instid1(VALU_DEP_1)
	v_and_b32_e32 v4, s55, v4
	v_lshl_or_b32 v4, v4, 4, v5
	ds_add_u32 v4, v94
	s_or_b32 exec_lo, exec_lo, s0
	s_delay_alu instid0(SALU_CYCLE_1)
	s_mov_b32 s0, exec_lo
	v_cmpx_lt_u32_e64 v55, v21
	s_cbranch_execnz .LBB1747_49
.LBB1747_64:                            ;   in Loop: Header=BB1747_16 Depth=2
	s_or_b32 exec_lo, exec_lo, s0
	s_delay_alu instid0(SALU_CYCLE_1)
	s_mov_b32 s0, exec_lo
	v_cmpx_lt_u32_e64 v56, v21
	s_cbranch_execz .LBB1747_50
.LBB1747_65:                            ;   in Loop: Header=BB1747_16 Depth=2
	v_cmp_gt_i16_e32 vcc_lo, 0, v10
	v_lshlrev_b32_e32 v5, 2, v48
	v_cndmask_b32_e64 v4, 0x7fff, 0, vcc_lo
	s_delay_alu instid0(VALU_DEP_1) | instskip(NEXT) | instid1(VALU_DEP_1)
	v_xor_b32_e32 v4, v4, v10
	v_cmp_ne_u16_e32 vcc_lo, 0x8000, v4
	v_cndmask_b32_e32 v4, 0x7fff, v4, vcc_lo
	s_delay_alu instid0(VALU_DEP_1) | instskip(NEXT) | instid1(VALU_DEP_1)
	v_and_b32_e32 v4, 0xffff, v4
	v_lshrrev_b32_e32 v4, s48, v4
	s_delay_alu instid0(VALU_DEP_1) | instskip(NEXT) | instid1(VALU_DEP_1)
	v_and_b32_e32 v4, s55, v4
	v_lshl_or_b32 v4, v4, 4, v5
	ds_add_u32 v4, v94
	s_or_b32 exec_lo, exec_lo, s0
	s_delay_alu instid0(SALU_CYCLE_1)
	s_mov_b32 s0, exec_lo
	v_cmpx_lt_u32_e64 v57, v21
	s_cbranch_execnz .LBB1747_51
.LBB1747_66:                            ;   in Loop: Header=BB1747_16 Depth=2
	s_or_b32 exec_lo, exec_lo, s0
	s_delay_alu instid0(SALU_CYCLE_1)
	s_mov_b32 s0, exec_lo
	v_cmpx_lt_u32_e64 v58, v21
	s_cbranch_execz .LBB1747_52
.LBB1747_67:                            ;   in Loop: Header=BB1747_16 Depth=2
	v_cmp_gt_i16_e32 vcc_lo, 0, v8
	v_lshlrev_b32_e32 v5, 2, v48
	v_cndmask_b32_e64 v4, 0x7fff, 0, vcc_lo
	s_delay_alu instid0(VALU_DEP_1) | instskip(NEXT) | instid1(VALU_DEP_1)
	v_xor_b32_e32 v4, v4, v8
	v_cmp_ne_u16_e32 vcc_lo, 0x8000, v4
	v_cndmask_b32_e32 v4, 0x7fff, v4, vcc_lo
	s_delay_alu instid0(VALU_DEP_1) | instskip(NEXT) | instid1(VALU_DEP_1)
	v_and_b32_e32 v4, 0xffff, v4
	v_lshrrev_b32_e32 v4, s48, v4
	s_delay_alu instid0(VALU_DEP_1) | instskip(NEXT) | instid1(VALU_DEP_1)
	v_and_b32_e32 v4, s55, v4
	v_lshl_or_b32 v4, v4, 4, v5
	ds_add_u32 v4, v94
	s_or_b32 exec_lo, exec_lo, s0
	s_delay_alu instid0(SALU_CYCLE_1)
	s_mov_b32 s0, exec_lo
	v_cmpx_lt_u32_e64 v59, v21
	s_cbranch_execnz .LBB1747_53
.LBB1747_68:                            ;   in Loop: Header=BB1747_16 Depth=2
	s_or_b32 exec_lo, exec_lo, s0
	s_delay_alu instid0(SALU_CYCLE_1)
	s_mov_b32 s0, exec_lo
	v_cmpx_lt_u32_e64 v60, v21
	s_cbranch_execz .LBB1747_54
.LBB1747_69:                            ;   in Loop: Header=BB1747_16 Depth=2
	v_cmp_gt_i16_e32 vcc_lo, 0, v6
	v_lshlrev_b32_e32 v5, 2, v48
	v_cndmask_b32_e64 v4, 0x7fff, 0, vcc_lo
	s_delay_alu instid0(VALU_DEP_1) | instskip(NEXT) | instid1(VALU_DEP_1)
	v_xor_b32_e32 v4, v4, v6
	v_cmp_ne_u16_e32 vcc_lo, 0x8000, v4
	v_cndmask_b32_e32 v4, 0x7fff, v4, vcc_lo
	s_delay_alu instid0(VALU_DEP_1) | instskip(NEXT) | instid1(VALU_DEP_1)
	v_and_b32_e32 v4, 0xffff, v4
	v_lshrrev_b32_e32 v4, s48, v4
	s_delay_alu instid0(VALU_DEP_1) | instskip(NEXT) | instid1(VALU_DEP_1)
	v_and_b32_e32 v4, s55, v4
	v_lshl_or_b32 v4, v4, 4, v5
	ds_add_u32 v4, v94
	s_or_b32 exec_lo, exec_lo, s0
	s_delay_alu instid0(SALU_CYCLE_1)
	s_mov_b32 s0, exec_lo
	v_cmpx_lt_u32_e64 v61, v21
	s_cbranch_execnz .LBB1747_55
.LBB1747_70:                            ;   in Loop: Header=BB1747_16 Depth=2
	s_or_b32 exec_lo, exec_lo, s0
	s_delay_alu instid0(SALU_CYCLE_1)
	s_mov_b32 s0, exec_lo
	v_cmpx_lt_u32_e64 v63, v21
	s_cbranch_execz .LBB1747_15
.LBB1747_71:                            ;   in Loop: Header=BB1747_16 Depth=2
	s_waitcnt vmcnt(0)
	v_cmp_gt_i16_e32 vcc_lo, 0, v20
	v_lshlrev_b32_e32 v5, 2, v48
	v_cndmask_b32_e64 v4, 0x7fff, 0, vcc_lo
	s_delay_alu instid0(VALU_DEP_1) | instskip(NEXT) | instid1(VALU_DEP_1)
	v_xor_b32_e32 v4, v4, v20
	v_cmp_ne_u16_e32 vcc_lo, 0x8000, v4
	v_cndmask_b32_e32 v4, 0x7fff, v4, vcc_lo
	s_delay_alu instid0(VALU_DEP_1) | instskip(NEXT) | instid1(VALU_DEP_1)
	v_and_b32_e32 v4, 0xffff, v4
	v_lshrrev_b32_e32 v4, s48, v4
	s_delay_alu instid0(VALU_DEP_1) | instskip(NEXT) | instid1(VALU_DEP_1)
	v_and_b32_e32 v4, s55, v4
	v_lshl_or_b32 v4, v4, 4, v5
	ds_add_u32 v4, v94
	s_branch .LBB1747_15
.LBB1747_72:                            ;   in Loop: Header=BB1747_16 Depth=2
	s_or_b32 exec_lo, exec_lo, s11
	s_delay_alu instid0(SALU_CYCLE_1)
	s_mov_b32 s11, exec_lo
	v_cmpx_gt_u32_e64 s8, v45
	s_cbranch_execz .LBB1747_22
.LBB1747_73:                            ;   in Loop: Header=BB1747_16 Depth=2
	global_load_u16 v18, v95, s[0:1] offset:512
	s_or_b32 exec_lo, exec_lo, s11
	s_delay_alu instid0(SALU_CYCLE_1)
	s_mov_b32 s11, exec_lo
	v_cmpx_gt_u32_e64 s8, v46
	s_cbranch_execnz .LBB1747_23
.LBB1747_74:                            ;   in Loop: Header=BB1747_16 Depth=2
	s_or_b32 exec_lo, exec_lo, s11
	s_delay_alu instid0(SALU_CYCLE_1)
	s_mov_b32 s11, exec_lo
	v_cmpx_gt_u32_e64 s8, v47
	s_cbranch_execz .LBB1747_24
.LBB1747_75:                            ;   in Loop: Header=BB1747_16 Depth=2
	global_load_u16 v16, v95, s[0:1] offset:1536
	s_or_b32 exec_lo, exec_lo, s11
	s_delay_alu instid0(SALU_CYCLE_1)
	s_mov_b32 s11, exec_lo
	v_cmpx_gt_u32_e64 s8, v51
	s_cbranch_execnz .LBB1747_25
.LBB1747_76:                            ;   in Loop: Header=BB1747_16 Depth=2
	s_or_b32 exec_lo, exec_lo, s11
	s_delay_alu instid0(SALU_CYCLE_1)
	s_mov_b32 s11, exec_lo
	v_cmpx_gt_u32_e64 s8, v52
	s_cbranch_execz .LBB1747_26
.LBB1747_77:                            ;   in Loop: Header=BB1747_16 Depth=2
	global_load_u16 v14, v95, s[0:1] offset:2560
	s_or_b32 exec_lo, exec_lo, s11
	s_delay_alu instid0(SALU_CYCLE_1)
	s_mov_b32 s11, exec_lo
	v_cmpx_gt_u32_e64 s8, v53
	s_cbranch_execnz .LBB1747_27
.LBB1747_78:                            ;   in Loop: Header=BB1747_16 Depth=2
	s_or_b32 exec_lo, exec_lo, s11
	s_delay_alu instid0(SALU_CYCLE_1)
	s_mov_b32 s11, exec_lo
	v_cmpx_gt_u32_e64 s8, v54
	s_cbranch_execz .LBB1747_28
.LBB1747_79:                            ;   in Loop: Header=BB1747_16 Depth=2
	global_load_u16 v12, v95, s[0:1] offset:3584
	s_or_b32 exec_lo, exec_lo, s11
	s_delay_alu instid0(SALU_CYCLE_1)
	s_mov_b32 s11, exec_lo
	v_cmpx_gt_u32_e64 s8, v55
	s_cbranch_execnz .LBB1747_29
.LBB1747_80:                            ;   in Loop: Header=BB1747_16 Depth=2
	s_or_b32 exec_lo, exec_lo, s11
	s_delay_alu instid0(SALU_CYCLE_1)
	s_mov_b32 s11, exec_lo
	v_cmpx_gt_u32_e64 s8, v56
	s_cbranch_execz .LBB1747_30
.LBB1747_81:                            ;   in Loop: Header=BB1747_16 Depth=2
	global_load_u16 v10, v97, s[0:1]
	s_or_b32 exec_lo, exec_lo, s11
	s_delay_alu instid0(SALU_CYCLE_1)
	s_mov_b32 s11, exec_lo
	v_cmpx_gt_u32_e64 s8, v57
	s_cbranch_execnz .LBB1747_31
.LBB1747_82:                            ;   in Loop: Header=BB1747_16 Depth=2
	s_or_b32 exec_lo, exec_lo, s11
	s_delay_alu instid0(SALU_CYCLE_1)
	s_mov_b32 s11, exec_lo
	v_cmpx_gt_u32_e64 s8, v58
	s_cbranch_execz .LBB1747_32
.LBB1747_83:                            ;   in Loop: Header=BB1747_16 Depth=2
	global_load_u16 v8, v99, s[0:1]
	s_or_b32 exec_lo, exec_lo, s11
	s_delay_alu instid0(SALU_CYCLE_1)
	s_mov_b32 s11, exec_lo
	v_cmpx_gt_u32_e64 s8, v59
	s_cbranch_execnz .LBB1747_33
.LBB1747_84:                            ;   in Loop: Header=BB1747_16 Depth=2
	s_or_b32 exec_lo, exec_lo, s11
	s_delay_alu instid0(SALU_CYCLE_1)
	s_mov_b32 s11, exec_lo
	v_cmpx_gt_u32_e64 s8, v60
	s_cbranch_execz .LBB1747_34
.LBB1747_85:                            ;   in Loop: Header=BB1747_16 Depth=2
	global_load_u16 v6, v101, s[0:1]
	s_or_b32 exec_lo, exec_lo, s11
	s_delay_alu instid0(SALU_CYCLE_1)
	s_mov_b32 s11, exec_lo
	v_cmpx_gt_u32_e64 s8, v61
	s_cbranch_execz .LBB1747_36
	s_branch .LBB1747_35
.LBB1747_86:                            ;   in Loop: Header=BB1747_12 Depth=1
	v_mov_b32_e32 v2, 0
	s_waitcnt vmcnt(0) lgkmcnt(0)
	s_barrier
	buffer_gl0_inv
	s_and_saveexec_b32 s0, s2
	s_cbranch_execz .LBB1747_88
; %bb.87:                               ;   in Loop: Header=BB1747_12 Depth=1
	ds_load_2addr_b64 v[4:7], v64 offset1:1
	s_waitcnt lgkmcnt(0)
	v_add_nc_u32_e32 v2, v5, v4
	s_delay_alu instid0(VALU_DEP_1)
	v_add3_u32 v2, v2, v6, v7
.LBB1747_88:                            ;   in Loop: Header=BB1747_12 Depth=1
	s_or_b32 exec_lo, exec_lo, s0
	v_and_b32_e32 v4, 15, v104
	s_delay_alu instid0(VALU_DEP_2) | instskip(SKIP_1) | instid1(VALU_DEP_3)
	v_mov_b32_dpp v5, v2 row_shr:1 row_mask:0xf bank_mask:0xf
	v_and_b32_e32 v6, 16, v104
	v_cmp_eq_u32_e64 s0, 0, v4
	v_cmp_lt_u32_e64 s1, 1, v4
	v_cmp_lt_u32_e64 s8, 3, v4
	;; [unrolled: 1-line block ×3, first 2 shown]
	v_cmp_eq_u32_e64 s10, 0, v6
	v_cndmask_b32_e64 v5, v5, 0, s0
	s_delay_alu instid0(VALU_DEP_1) | instskip(NEXT) | instid1(VALU_DEP_1)
	v_add_nc_u32_e32 v2, v5, v2
	v_mov_b32_dpp v5, v2 row_shr:2 row_mask:0xf bank_mask:0xf
	s_delay_alu instid0(VALU_DEP_1) | instskip(NEXT) | instid1(VALU_DEP_1)
	v_cndmask_b32_e64 v5, 0, v5, s1
	v_add_nc_u32_e32 v2, v2, v5
	s_delay_alu instid0(VALU_DEP_1) | instskip(NEXT) | instid1(VALU_DEP_1)
	v_mov_b32_dpp v5, v2 row_shr:4 row_mask:0xf bank_mask:0xf
	v_cndmask_b32_e64 v5, 0, v5, s8
	s_delay_alu instid0(VALU_DEP_1) | instskip(NEXT) | instid1(VALU_DEP_1)
	v_add_nc_u32_e32 v2, v2, v5
	v_mov_b32_dpp v5, v2 row_shr:8 row_mask:0xf bank_mask:0xf
	s_delay_alu instid0(VALU_DEP_1) | instskip(SKIP_1) | instid1(VALU_DEP_2)
	v_cndmask_b32_e64 v4, 0, v5, s9
	v_bfe_i32 v5, v104, 4, 1
	v_add_nc_u32_e32 v2, v2, v4
	ds_swizzle_b32 v4, v2 offset:swizzle(BROADCAST,32,15)
	s_waitcnt lgkmcnt(0)
	v_and_b32_e32 v4, v5, v4
	s_delay_alu instid0(VALU_DEP_1)
	v_add_nc_u32_e32 v4, v2, v4
	s_and_saveexec_b32 s11, s3
	s_cbranch_execz .LBB1747_90
; %bb.89:                               ;   in Loop: Header=BB1747_12 Depth=1
	ds_store_b32 v65, v4
.LBB1747_90:                            ;   in Loop: Header=BB1747_12 Depth=1
	s_or_b32 exec_lo, exec_lo, s11
	v_and_b32_e32 v2, 7, v104
	s_waitcnt lgkmcnt(0)
	s_barrier
	buffer_gl0_inv
	s_and_saveexec_b32 s11, s4
	s_cbranch_execz .LBB1747_92
; %bb.91:                               ;   in Loop: Header=BB1747_12 Depth=1
	ds_load_b32 v5, v66
	v_cmp_ne_u32_e32 vcc_lo, 0, v2
	s_waitcnt lgkmcnt(0)
	v_mov_b32_dpp v6, v5 row_shr:1 row_mask:0xf bank_mask:0xf
	s_delay_alu instid0(VALU_DEP_1) | instskip(SKIP_1) | instid1(VALU_DEP_2)
	v_cndmask_b32_e32 v6, 0, v6, vcc_lo
	v_cmp_lt_u32_e32 vcc_lo, 1, v2
	v_add_nc_u32_e32 v5, v6, v5
	s_delay_alu instid0(VALU_DEP_1) | instskip(NEXT) | instid1(VALU_DEP_1)
	v_mov_b32_dpp v6, v5 row_shr:2 row_mask:0xf bank_mask:0xf
	v_cndmask_b32_e32 v6, 0, v6, vcc_lo
	v_cmp_lt_u32_e32 vcc_lo, 3, v2
	s_delay_alu instid0(VALU_DEP_2) | instskip(NEXT) | instid1(VALU_DEP_1)
	v_add_nc_u32_e32 v5, v5, v6
	v_mov_b32_dpp v6, v5 row_shr:4 row_mask:0xf bank_mask:0xf
	s_delay_alu instid0(VALU_DEP_1) | instskip(NEXT) | instid1(VALU_DEP_1)
	v_cndmask_b32_e32 v6, 0, v6, vcc_lo
	v_add_nc_u32_e32 v5, v5, v6
	ds_store_b32 v66, v5
.LBB1747_92:                            ;   in Loop: Header=BB1747_12 Depth=1
	s_or_b32 exec_lo, exec_lo, s11
	v_mov_b32_e32 v5, 0
	s_waitcnt lgkmcnt(0)
	s_barrier
	buffer_gl0_inv
	s_and_saveexec_b32 s11, s5
	s_cbranch_execz .LBB1747_94
; %bb.93:                               ;   in Loop: Header=BB1747_12 Depth=1
	ds_load_b32 v5, v67
.LBB1747_94:                            ;   in Loop: Header=BB1747_12 Depth=1
	s_or_b32 exec_lo, exec_lo, s11
	v_add_nc_u32_e32 v6, -1, v104
	s_waitcnt lgkmcnt(0)
	v_add_nc_u32_e32 v4, v5, v4
	v_cmp_eq_u32_e64 s11, 0, v104
	s_barrier
	v_cmp_gt_i32_e32 vcc_lo, 0, v6
	buffer_gl0_inv
	v_cndmask_b32_e32 v6, v6, v104, vcc_lo
	s_delay_alu instid0(VALU_DEP_1)
	v_lshlrev_b32_e32 v105, 2, v6
	ds_bpermute_b32 v4, v105, v4
	s_and_saveexec_b32 s12, s2
	s_cbranch_execz .LBB1747_96
; %bb.95:                               ;   in Loop: Header=BB1747_12 Depth=1
	s_waitcnt lgkmcnt(0)
	v_cndmask_b32_e64 v4, v4, v5, s11
	s_delay_alu instid0(VALU_DEP_1)
	v_add_nc_u32_e32 v4, s52, v4
	ds_store_b32 v44, v4
.LBB1747_96:                            ;   in Loop: Header=BB1747_12 Depth=1
	s_or_b32 exec_lo, exec_lo, s12
	s_clause 0x1
	s_load_b32 s12, s[42:43], 0x4
	s_load_b32 s16, s[42:43], 0xc
	v_lshlrev_b32_e32 v5, 3, v104
	v_cmp_lt_u32_e64 s14, 3, v2
	v_or_b32_e32 v106, v104, v68
	s_mov_b32 s56, s54
	s_mov_b32 s34, s52
	v_add_co_u32 v107, vcc_lo, v74, v5
	v_add_co_ci_u32_e32 v108, vcc_lo, 0, v75, vcc_lo
	v_or_b32_e32 v109, 32, v106
	v_or_b32_e32 v110, 64, v106
	;; [unrolled: 1-line block ×9, first 2 shown]
	s_waitcnt lgkmcnt(0)
	s_cmp_lt_u32 s15, s12
	v_or_b32_e32 v118, 0x140, v106
	s_cselect_b32 s12, 14, 20
	v_or_b32_e32 v119, 0x160, v106
	s_add_u32 s12, s42, s12
	s_addc_u32 s13, s43, 0
	s_and_b32 s16, s16, 0xffff
	global_load_u16 v4, v3, s[12:13]
	v_cmp_eq_u32_e64 s12, 0, v2
	v_cmp_lt_u32_e64 s13, 1, v2
	v_lshlrev_b32_e32 v2, 1, v104
	v_or_b32_e32 v120, 0x180, v106
	v_or_b32_e32 v121, 0x1a0, v106
	;; [unrolled: 1-line block ×4, first 2 shown]
	v_add_co_u32 v124, vcc_lo, v76, v2
	v_add_co_ci_u32_e32 v125, vcc_lo, 0, v77, vcc_lo
                                        ; implicit-def: $vgpr8_vgpr9
                                        ; implicit-def: $vgpr10_vgpr11
                                        ; implicit-def: $vgpr12_vgpr13
                                        ; implicit-def: $vgpr14_vgpr15
                                        ; implicit-def: $vgpr16_vgpr17
                                        ; implicit-def: $vgpr18_vgpr19
                                        ; implicit-def: $vgpr20_vgpr21
                                        ; implicit-def: $vgpr22_vgpr23
                                        ; implicit-def: $vgpr24_vgpr25
                                        ; implicit-def: $vgpr26_vgpr27
                                        ; implicit-def: $vgpr28_vgpr29
                                        ; implicit-def: $vgpr30_vgpr31
                                        ; implicit-def: $vgpr32_vgpr33
                                        ; implicit-def: $vgpr34_vgpr35
                                        ; implicit-def: $vgpr129
                                        ; implicit-def: $vgpr130
                                        ; implicit-def: $vgpr131
                                        ; implicit-def: $vgpr132
                                        ; implicit-def: $vgpr133
                                        ; implicit-def: $vgpr134
                                        ; implicit-def: $vgpr135
                                        ; implicit-def: $vgpr136
                                        ; implicit-def: $vgpr137
                                        ; implicit-def: $vgpr138
                                        ; implicit-def: $vgpr139
                                        ; implicit-def: $vgpr140
                                        ; implicit-def: $vgpr141
                                        ; implicit-def: $vgpr142
                                        ; implicit-def: $vgpr143
                                        ; implicit-def: $vgpr144
	s_delay_alu instid0(VALU_DEP_2) | instskip(NEXT) | instid1(VALU_DEP_2)
	v_add_co_u32 v127, vcc_lo, 0x3c0, v124
	v_add_co_ci_u32_e32 v128, vcc_lo, 0, v125, vcc_lo
	s_waitcnt vmcnt(0)
	v_mad_u32_u24 v6, v70, v4, v0
	s_delay_alu instid0(VALU_DEP_1) | instskip(NEXT) | instid1(VALU_DEP_1)
	v_mad_u64_u32 v[4:5], null, v6, s16, v[1:2]
                                        ; implicit-def: $vgpr6_vgpr7
	v_lshrrev_b32_e32 v126, 5, v4
                                        ; implicit-def: $vgpr4_vgpr5
	s_branch .LBB1747_98
.LBB1747_97:                            ;   in Loop: Header=BB1747_98 Depth=2
	s_or_b32 exec_lo, exec_lo, s16
	s_addk_i32 s56, 0xf000
	s_cmp_lt_u32 s57, s53
	s_mov_b32 s34, s57
	s_cbranch_scc0 .LBB1747_306
.LBB1747_98:                            ;   Parent Loop BB1747_12 Depth=1
                                        ; =>  This Inner Loop Header: Depth=2
	s_add_i32 s57, s34, 0x1000
	s_delay_alu instid0(SALU_CYCLE_1)
	s_cmp_gt_u32 s57, s53
	s_cbranch_scc1 .LBB1747_101
; %bb.99:                               ;   in Loop: Header=BB1747_98 Depth=2
	s_mov_b32 s17, 0
	s_mov_b32 s16, s34
	s_delay_alu instid0(SALU_CYCLE_1) | instskip(NEXT) | instid1(SALU_CYCLE_1)
	s_lshl_b64 s[18:19], s[16:17], 1
	v_add_co_u32 v36, vcc_lo, v124, s18
	v_add_co_ci_u32_e32 v37, vcc_lo, s19, v125, vcc_lo
	s_mov_b32 s19, -1
	s_movk_i32 s18, 0x1000
	s_clause 0xe
	global_load_u16 v2, v[36:37], off
	global_load_u16 v146, v[36:37], off offset:64
	global_load_u16 v149, v[36:37], off offset:128
	;; [unrolled: 1-line block ×14, first 2 shown]
	s_cbranch_execz .LBB1747_102
; %bb.100:                              ;   in Loop: Header=BB1747_98 Depth=2
                                        ; implicit-def: $sgpr20
	v_dual_mov_b32 v36, s20 :: v_dual_mov_b32 v145, s56
	s_and_saveexec_b32 s20, s19
	s_cbranch_execnz .LBB1747_133
	s_branch .LBB1747_134
.LBB1747_101:                           ;   in Loop: Header=BB1747_98 Depth=2
	s_mov_b32 s17, -1
	s_mov_b32 s19, 0
                                        ; implicit-def: $sgpr18
                                        ; implicit-def: $vgpr2
                                        ; implicit-def: $vgpr146
                                        ; implicit-def: $vgpr149
                                        ; implicit-def: $vgpr153
                                        ; implicit-def: $vgpr157
                                        ; implicit-def: $vgpr161
                                        ; implicit-def: $vgpr165
                                        ; implicit-def: $vgpr170
                                        ; implicit-def: $vgpr169
                                        ; implicit-def: $vgpr43
                                        ; implicit-def: $vgpr42
                                        ; implicit-def: $vgpr41
                                        ; implicit-def: $vgpr40
                                        ; implicit-def: $vgpr39
                                        ; implicit-def: $vgpr38
.LBB1747_102:                           ;   in Loop: Header=BB1747_98 Depth=2
	s_lshl_b64 s[16:17], s[34:35], 1
	s_waitcnt vmcnt(13)
	v_mov_b32_e32 v146, -1
	v_add_co_u32 v36, vcc_lo, v124, s16
	v_add_co_ci_u32_e32 v37, vcc_lo, s17, v125, vcc_lo
	v_mov_b32_e32 v2, -1
	s_mov_b32 s16, exec_lo
	v_cmpx_gt_u32_e64 s56, v106
	s_cbranch_execz .LBB1747_104
; %bb.103:                              ;   in Loop: Header=BB1747_98 Depth=2
	global_load_u16 v2, v[36:37], off
.LBB1747_104:                           ;   in Loop: Header=BB1747_98 Depth=2
	s_or_b32 exec_lo, exec_lo, s16
	s_delay_alu instid0(SALU_CYCLE_1)
	s_mov_b32 s16, exec_lo
	v_cmpx_gt_u32_e64 s56, v109
	s_cbranch_execz .LBB1747_106
; %bb.105:                              ;   in Loop: Header=BB1747_98 Depth=2
	global_load_u16 v146, v[36:37], off offset:64
.LBB1747_106:                           ;   in Loop: Header=BB1747_98 Depth=2
	s_or_b32 exec_lo, exec_lo, s16
	s_waitcnt vmcnt(11)
	v_mov_b32_e32 v153, -1
	v_mov_b32_e32 v149, -1
	s_mov_b32 s16, exec_lo
	v_cmpx_gt_u32_e64 s56, v110
	s_cbranch_execz .LBB1747_108
; %bb.107:                              ;   in Loop: Header=BB1747_98 Depth=2
	global_load_u16 v149, v[36:37], off offset:128
.LBB1747_108:                           ;   in Loop: Header=BB1747_98 Depth=2
	s_or_b32 exec_lo, exec_lo, s16
	s_delay_alu instid0(SALU_CYCLE_1)
	s_mov_b32 s16, exec_lo
	v_cmpx_gt_u32_e64 s56, v111
	s_cbranch_execz .LBB1747_110
; %bb.109:                              ;   in Loop: Header=BB1747_98 Depth=2
	global_load_u16 v153, v[36:37], off offset:192
.LBB1747_110:                           ;   in Loop: Header=BB1747_98 Depth=2
	s_or_b32 exec_lo, exec_lo, s16
	s_waitcnt vmcnt(9)
	v_mov_b32_e32 v161, -1
	v_mov_b32_e32 v157, -1
	s_mov_b32 s16, exec_lo
	v_cmpx_gt_u32_e64 s56, v112
	s_cbranch_execz .LBB1747_112
; %bb.111:                              ;   in Loop: Header=BB1747_98 Depth=2
	global_load_u16 v157, v[36:37], off offset:256
.LBB1747_112:                           ;   in Loop: Header=BB1747_98 Depth=2
	s_or_b32 exec_lo, exec_lo, s16
	s_delay_alu instid0(SALU_CYCLE_1)
	s_mov_b32 s16, exec_lo
	v_cmpx_gt_u32_e64 s56, v113
	s_cbranch_execz .LBB1747_114
; %bb.113:                              ;   in Loop: Header=BB1747_98 Depth=2
	global_load_u16 v161, v[36:37], off offset:320
.LBB1747_114:                           ;   in Loop: Header=BB1747_98 Depth=2
	s_or_b32 exec_lo, exec_lo, s16
	s_waitcnt vmcnt(7)
	v_dual_mov_b32 v170, -1 :: v_dual_mov_b32 v165, -1
	s_mov_b32 s16, exec_lo
	v_cmpx_gt_u32_e64 s56, v114
	s_cbranch_execz .LBB1747_116
; %bb.115:                              ;   in Loop: Header=BB1747_98 Depth=2
	global_load_u16 v165, v[36:37], off offset:384
.LBB1747_116:                           ;   in Loop: Header=BB1747_98 Depth=2
	s_or_b32 exec_lo, exec_lo, s16
	s_delay_alu instid0(SALU_CYCLE_1)
	s_mov_b32 s16, exec_lo
	v_cmpx_gt_u32_e64 s56, v115
	s_cbranch_execz .LBB1747_118
; %bb.117:                              ;   in Loop: Header=BB1747_98 Depth=2
	global_load_u16 v170, v[36:37], off offset:448
.LBB1747_118:                           ;   in Loop: Header=BB1747_98 Depth=2
	s_or_b32 exec_lo, exec_lo, s16
	s_waitcnt vmcnt(5)
	v_mov_b32_e32 v43, -1
	v_mov_b32_e32 v169, -1
	s_mov_b32 s16, exec_lo
	v_cmpx_gt_u32_e64 s56, v116
	s_cbranch_execz .LBB1747_120
; %bb.119:                              ;   in Loop: Header=BB1747_98 Depth=2
	global_load_u16 v169, v[36:37], off offset:512
.LBB1747_120:                           ;   in Loop: Header=BB1747_98 Depth=2
	s_or_b32 exec_lo, exec_lo, s16
	s_delay_alu instid0(SALU_CYCLE_1)
	s_mov_b32 s16, exec_lo
	v_cmpx_gt_u32_e64 s56, v117
	s_cbranch_execz .LBB1747_122
; %bb.121:                              ;   in Loop: Header=BB1747_98 Depth=2
	global_load_u16 v43, v[36:37], off offset:576
.LBB1747_122:                           ;   in Loop: Header=BB1747_98 Depth=2
	s_or_b32 exec_lo, exec_lo, s16
	s_waitcnt vmcnt(3)
	v_dual_mov_b32 v41, -1 :: v_dual_mov_b32 v42, -1
	s_mov_b32 s16, exec_lo
	v_cmpx_gt_u32_e64 s56, v118
	s_cbranch_execz .LBB1747_124
; %bb.123:                              ;   in Loop: Header=BB1747_98 Depth=2
	global_load_u16 v42, v[36:37], off offset:640
.LBB1747_124:                           ;   in Loop: Header=BB1747_98 Depth=2
	s_or_b32 exec_lo, exec_lo, s16
	s_delay_alu instid0(SALU_CYCLE_1)
	s_mov_b32 s16, exec_lo
	v_cmpx_gt_u32_e64 s56, v119
	s_cbranch_execz .LBB1747_126
; %bb.125:                              ;   in Loop: Header=BB1747_98 Depth=2
	global_load_u16 v41, v[36:37], off offset:704
.LBB1747_126:                           ;   in Loop: Header=BB1747_98 Depth=2
	s_or_b32 exec_lo, exec_lo, s16
	s_waitcnt vmcnt(1)
	v_dual_mov_b32 v39, -1 :: v_dual_mov_b32 v40, -1
	s_mov_b32 s16, exec_lo
	v_cmpx_gt_u32_e64 s56, v120
	s_cbranch_execz .LBB1747_128
; %bb.127:                              ;   in Loop: Header=BB1747_98 Depth=2
	global_load_u16 v40, v[36:37], off offset:768
.LBB1747_128:                           ;   in Loop: Header=BB1747_98 Depth=2
	s_or_b32 exec_lo, exec_lo, s16
	s_delay_alu instid0(SALU_CYCLE_1)
	s_mov_b32 s16, exec_lo
	v_cmpx_gt_u32_e64 s56, v121
	s_cbranch_execz .LBB1747_130
; %bb.129:                              ;   in Loop: Header=BB1747_98 Depth=2
	global_load_u16 v39, v[36:37], off offset:832
.LBB1747_130:                           ;   in Loop: Header=BB1747_98 Depth=2
	s_or_b32 exec_lo, exec_lo, s16
	s_waitcnt vmcnt(0)
	v_mov_b32_e32 v38, -1
	s_mov_b32 s16, exec_lo
	v_cmpx_gt_u32_e64 s56, v122
	s_cbranch_execz .LBB1747_132
; %bb.131:                              ;   in Loop: Header=BB1747_98 Depth=2
	global_load_u16 v38, v[36:37], off offset:896
.LBB1747_132:                           ;   in Loop: Header=BB1747_98 Depth=2
	s_or_b32 exec_lo, exec_lo, s16
	v_cmp_gt_u32_e64 s19, s56, v123
	s_sub_i32 s18, s53, s34
	s_mov_b32 s20, -1
	s_mov_b64 s[16:17], s[34:35]
	v_dual_mov_b32 v36, s20 :: v_dual_mov_b32 v145, s56
	s_and_saveexec_b32 s20, s19
	s_cbranch_execz .LBB1747_134
.LBB1747_133:                           ;   in Loop: Header=BB1747_98 Depth=2
	s_lshl_b64 s[16:17], s[16:17], 1
	v_mov_b32_e32 v145, s18
	v_add_co_u32 v36, vcc_lo, v127, s16
	v_add_co_ci_u32_e32 v37, vcc_lo, s17, v128, vcc_lo
	global_load_u16 v36, v[36:37], off
.LBB1747_134:                           ;   in Loop: Header=BB1747_98 Depth=2
	s_or_b32 exec_lo, exec_lo, s20
	s_waitcnt vmcnt(14)
	v_cmp_gt_i16_e32 vcc_lo, 0, v2
	ds_store_b32 v69, v3 offset:1056
	ds_store_2addr_b32 v71, v3, v3 offset0:1 offset1:2
	ds_store_2addr_b32 v71, v3, v3 offset0:3 offset1:4
	;; [unrolled: 1-line block ×4, first 2 shown]
	s_waitcnt vmcnt(0) lgkmcnt(0)
	s_barrier
	v_cndmask_b32_e64 v37, 0x7fff, 0, vcc_lo
	buffer_gl0_inv
	; wave barrier
	v_xor_b32_e32 v2, v37, v2
	s_delay_alu instid0(VALU_DEP_1) | instskip(SKIP_1) | instid1(VALU_DEP_1)
	v_cmp_ne_u16_e32 vcc_lo, 0x8000, v2
	v_cndmask_b32_e32 v37, 0x7fff, v2, vcc_lo
	v_and_b32_e32 v37, 0xffff, v37
	s_delay_alu instid0(VALU_DEP_1) | instskip(NEXT) | instid1(VALU_DEP_1)
	v_lshrrev_b32_e32 v37, s48, v37
	v_and_b32_e32 v148, s55, v37
	s_delay_alu instid0(VALU_DEP_1)
	v_lshlrev_b32_e32 v150, 29, v148
	v_and_b32_e32 v37, 1, v148
	v_lshlrev_b32_e32 v147, 30, v148
	v_lshlrev_b32_e32 v151, 28, v148
	;; [unrolled: 1-line block ×4, first 2 shown]
	v_add_co_u32 v37, s16, v37, -1
	s_delay_alu instid0(VALU_DEP_1)
	v_cndmask_b32_e64 v152, 0, 1, s16
	v_not_b32_e32 v158, v147
	v_cmp_gt_i32_e64 s16, 0, v147
	v_not_b32_e32 v147, v150
	v_lshlrev_b32_e32 v156, 25, v148
	v_cmp_ne_u32_e32 vcc_lo, 0, v152
	v_ashrrev_i32_e32 v158, 31, v158
	v_lshlrev_b32_e32 v152, 24, v148
	v_ashrrev_i32_e32 v147, 31, v147
	v_mad_u32_u24 v148, v148, 9, v126
	v_xor_b32_e32 v37, vcc_lo, v37
	v_cmp_gt_i32_e32 vcc_lo, 0, v150
	v_not_b32_e32 v150, v151
	v_xor_b32_e32 v158, s16, v158
	v_cmp_gt_i32_e64 s16, 0, v151
	v_and_b32_e32 v37, exec_lo, v37
	v_not_b32_e32 v151, v154
	v_ashrrev_i32_e32 v150, 31, v150
	v_xor_b32_e32 v147, vcc_lo, v147
	v_cmp_gt_i32_e32 vcc_lo, 0, v154
	v_and_b32_e32 v37, v37, v158
	v_not_b32_e32 v154, v155
	v_ashrrev_i32_e32 v151, 31, v151
	v_xor_b32_e32 v150, s16, v150
	v_cmp_gt_i32_e64 s16, 0, v155
	v_and_b32_e32 v37, v37, v147
	v_not_b32_e32 v147, v156
	v_ashrrev_i32_e32 v154, 31, v154
	v_xor_b32_e32 v151, vcc_lo, v151
	v_cmp_gt_i32_e32 vcc_lo, 0, v156
	v_and_b32_e32 v37, v37, v150
	v_not_b32_e32 v150, v152
	v_ashrrev_i32_e32 v147, 31, v147
	v_xor_b32_e32 v154, s16, v154
	v_cmp_gt_i32_e64 s16, 0, v152
	v_and_b32_e32 v37, v37, v151
	v_ashrrev_i32_e32 v150, 31, v150
	v_xor_b32_e32 v147, vcc_lo, v147
	v_lshl_add_u32 v148, v148, 2, 0x420
	s_delay_alu instid0(VALU_DEP_4) | instskip(NEXT) | instid1(VALU_DEP_4)
	v_and_b32_e32 v37, v37, v154
	v_xor_b32_e32 v150, s16, v150
	s_delay_alu instid0(VALU_DEP_2) | instskip(NEXT) | instid1(VALU_DEP_1)
	v_and_b32_e32 v37, v37, v147
	v_and_b32_e32 v37, v37, v150
	s_delay_alu instid0(VALU_DEP_1) | instskip(SKIP_1) | instid1(VALU_DEP_2)
	v_mbcnt_lo_u32_b32 v147, v37, 0
	v_cmp_ne_u32_e64 s16, 0, v37
	v_cmp_eq_u32_e32 vcc_lo, 0, v147
	s_delay_alu instid0(VALU_DEP_2) | instskip(NEXT) | instid1(SALU_CYCLE_1)
	s_and_b32 s17, s16, vcc_lo
	s_and_saveexec_b32 s16, s17
	s_cbranch_execz .LBB1747_136
; %bb.135:                              ;   in Loop: Header=BB1747_98 Depth=2
	v_bcnt_u32_b32 v37, v37, 0
	ds_store_b32 v148, v37
.LBB1747_136:                           ;   in Loop: Header=BB1747_98 Depth=2
	s_or_b32 exec_lo, exec_lo, s16
	v_cmp_gt_i16_e64 vcc_lo, 0, v146
	; wave barrier
	s_delay_alu instid0(VALU_DEP_1) | instskip(NEXT) | instid1(VALU_DEP_1)
	v_cndmask_b32_e64 v37, 0x7fff, 0, vcc_lo
	v_xor_b32_e32 v146, v37, v146
	s_delay_alu instid0(VALU_DEP_1) | instskip(SKIP_1) | instid1(VALU_DEP_1)
	v_cmp_ne_u16_e64 vcc_lo, 0x8000, v146
	v_cndmask_b32_e32 v37, 0x7fff, v146, vcc_lo
	v_and_b32_e32 v37, 0xffff, v37
	s_delay_alu instid0(VALU_DEP_1) | instskip(NEXT) | instid1(VALU_DEP_1)
	v_lshrrev_b32_e32 v37, s48, v37
	v_and_b32_e32 v37, s55, v37
	s_delay_alu instid0(VALU_DEP_1)
	v_and_b32_e32 v150, 1, v37
	v_lshlrev_b32_e32 v151, 30, v37
	v_lshlrev_b32_e32 v152, 29, v37
	;; [unrolled: 1-line block ×4, first 2 shown]
	v_add_co_u32 v150, s16, v150, -1
	s_delay_alu instid0(VALU_DEP_1)
	v_cndmask_b32_e64 v155, 0, 1, s16
	v_not_b32_e32 v160, v151
	v_cmp_gt_i32_e64 s16, 0, v151
	v_not_b32_e32 v151, v152
	v_lshlrev_b32_e32 v158, 26, v37
	v_cmp_ne_u32_e32 vcc_lo, 0, v155
	v_ashrrev_i32_e32 v160, 31, v160
	v_lshlrev_b32_e32 v159, 25, v37
	v_ashrrev_i32_e32 v151, 31, v151
	v_lshlrev_b32_e32 v155, 24, v37
	v_xor_b32_e32 v150, vcc_lo, v150
	v_cmp_gt_i32_e32 vcc_lo, 0, v152
	v_not_b32_e32 v152, v154
	v_xor_b32_e32 v160, s16, v160
	v_cmp_gt_i32_e64 s16, 0, v154
	v_and_b32_e32 v150, exec_lo, v150
	v_not_b32_e32 v154, v156
	v_ashrrev_i32_e32 v152, 31, v152
	v_xor_b32_e32 v151, vcc_lo, v151
	v_cmp_gt_i32_e32 vcc_lo, 0, v156
	v_and_b32_e32 v150, v150, v160
	v_not_b32_e32 v156, v158
	v_ashrrev_i32_e32 v154, 31, v154
	v_xor_b32_e32 v152, s16, v152
	v_cmp_gt_i32_e64 s16, 0, v158
	v_and_b32_e32 v150, v150, v151
	v_not_b32_e32 v151, v159
	v_ashrrev_i32_e32 v156, 31, v156
	v_xor_b32_e32 v154, vcc_lo, v154
	v_cmp_gt_i32_e32 vcc_lo, 0, v159
	v_and_b32_e32 v150, v150, v152
	v_not_b32_e32 v152, v155
	v_ashrrev_i32_e32 v151, 31, v151
	v_xor_b32_e32 v156, s16, v156
	v_mul_u32_u24_e32 v37, 9, v37
	v_and_b32_e32 v150, v150, v154
	v_cmp_gt_i32_e64 s16, 0, v155
	v_ashrrev_i32_e32 v152, 31, v152
	v_xor_b32_e32 v151, vcc_lo, v151
	v_add_lshl_u32 v154, v37, v126, 2
	v_and_b32_e32 v150, v150, v156
	s_delay_alu instid0(VALU_DEP_4) | instskip(NEXT) | instid1(VALU_DEP_3)
	v_xor_b32_e32 v37, s16, v152
	v_add_nc_u32_e32 v152, 0x420, v154
	s_delay_alu instid0(VALU_DEP_3) | instskip(SKIP_2) | instid1(VALU_DEP_1)
	v_and_b32_e32 v151, v150, v151
	ds_load_b32 v150, v154 offset:1056
	; wave barrier
	v_and_b32_e32 v37, v151, v37
	v_mbcnt_lo_u32_b32 v151, v37, 0
	v_cmp_ne_u32_e64 s16, 0, v37
	s_delay_alu instid0(VALU_DEP_2) | instskip(NEXT) | instid1(VALU_DEP_2)
	v_cmp_eq_u32_e32 vcc_lo, 0, v151
	s_and_b32 s17, s16, vcc_lo
	s_delay_alu instid0(SALU_CYCLE_1)
	s_and_saveexec_b32 s16, s17
	s_cbranch_execz .LBB1747_138
; %bb.137:                              ;   in Loop: Header=BB1747_98 Depth=2
	s_waitcnt lgkmcnt(0)
	v_bcnt_u32_b32 v37, v37, v150
	ds_store_b32 v152, v37
.LBB1747_138:                           ;   in Loop: Header=BB1747_98 Depth=2
	s_or_b32 exec_lo, exec_lo, s16
	v_cmp_gt_i16_e64 vcc_lo, 0, v149
	; wave barrier
	s_delay_alu instid0(VALU_DEP_1) | instskip(NEXT) | instid1(VALU_DEP_1)
	v_cndmask_b32_e64 v37, 0x7fff, 0, vcc_lo
	v_xor_b32_e32 v149, v37, v149
	s_delay_alu instid0(VALU_DEP_1) | instskip(SKIP_1) | instid1(VALU_DEP_1)
	v_cmp_ne_u16_e64 vcc_lo, 0x8000, v149
	v_cndmask_b32_e32 v37, 0x7fff, v149, vcc_lo
	v_and_b32_e32 v37, 0xffff, v37
	s_delay_alu instid0(VALU_DEP_1) | instskip(NEXT) | instid1(VALU_DEP_1)
	v_lshrrev_b32_e32 v37, s48, v37
	v_and_b32_e32 v37, s55, v37
	s_delay_alu instid0(VALU_DEP_1)
	v_and_b32_e32 v154, 1, v37
	v_lshlrev_b32_e32 v155, 30, v37
	v_lshlrev_b32_e32 v156, 29, v37
	;; [unrolled: 1-line block ×4, first 2 shown]
	v_add_co_u32 v154, s16, v154, -1
	s_delay_alu instid0(VALU_DEP_1)
	v_cndmask_b32_e64 v159, 0, 1, s16
	v_not_b32_e32 v164, v155
	v_cmp_gt_i32_e64 s16, 0, v155
	v_not_b32_e32 v155, v156
	v_lshlrev_b32_e32 v162, 26, v37
	v_cmp_ne_u32_e32 vcc_lo, 0, v159
	v_ashrrev_i32_e32 v164, 31, v164
	v_lshlrev_b32_e32 v163, 25, v37
	v_ashrrev_i32_e32 v155, 31, v155
	v_lshlrev_b32_e32 v159, 24, v37
	v_xor_b32_e32 v154, vcc_lo, v154
	v_cmp_gt_i32_e32 vcc_lo, 0, v156
	v_not_b32_e32 v156, v158
	v_xor_b32_e32 v164, s16, v164
	v_cmp_gt_i32_e64 s16, 0, v158
	v_and_b32_e32 v154, exec_lo, v154
	v_not_b32_e32 v158, v160
	v_ashrrev_i32_e32 v156, 31, v156
	v_xor_b32_e32 v155, vcc_lo, v155
	v_cmp_gt_i32_e32 vcc_lo, 0, v160
	v_and_b32_e32 v154, v154, v164
	v_not_b32_e32 v160, v162
	v_ashrrev_i32_e32 v158, 31, v158
	v_xor_b32_e32 v156, s16, v156
	v_cmp_gt_i32_e64 s16, 0, v162
	v_and_b32_e32 v154, v154, v155
	v_not_b32_e32 v155, v163
	v_ashrrev_i32_e32 v160, 31, v160
	v_xor_b32_e32 v158, vcc_lo, v158
	v_cmp_gt_i32_e32 vcc_lo, 0, v163
	v_and_b32_e32 v154, v154, v156
	v_not_b32_e32 v156, v159
	v_ashrrev_i32_e32 v155, 31, v155
	v_xor_b32_e32 v160, s16, v160
	v_mul_u32_u24_e32 v37, 9, v37
	v_and_b32_e32 v154, v154, v158
	v_cmp_gt_i32_e64 s16, 0, v159
	v_ashrrev_i32_e32 v156, 31, v156
	v_xor_b32_e32 v155, vcc_lo, v155
	v_add_lshl_u32 v158, v37, v126, 2
	v_and_b32_e32 v154, v154, v160
	s_delay_alu instid0(VALU_DEP_4) | instskip(NEXT) | instid1(VALU_DEP_3)
	v_xor_b32_e32 v37, s16, v156
	v_add_nc_u32_e32 v156, 0x420, v158
	s_delay_alu instid0(VALU_DEP_3) | instskip(SKIP_2) | instid1(VALU_DEP_1)
	v_and_b32_e32 v155, v154, v155
	ds_load_b32 v154, v158 offset:1056
	; wave barrier
	v_and_b32_e32 v37, v155, v37
	v_mbcnt_lo_u32_b32 v155, v37, 0
	v_cmp_ne_u32_e64 s16, 0, v37
	s_delay_alu instid0(VALU_DEP_2) | instskip(NEXT) | instid1(VALU_DEP_2)
	v_cmp_eq_u32_e32 vcc_lo, 0, v155
	s_and_b32 s17, s16, vcc_lo
	s_delay_alu instid0(SALU_CYCLE_1)
	s_and_saveexec_b32 s16, s17
	s_cbranch_execz .LBB1747_140
; %bb.139:                              ;   in Loop: Header=BB1747_98 Depth=2
	s_waitcnt lgkmcnt(0)
	v_bcnt_u32_b32 v37, v37, v154
	ds_store_b32 v156, v37
.LBB1747_140:                           ;   in Loop: Header=BB1747_98 Depth=2
	s_or_b32 exec_lo, exec_lo, s16
	v_cmp_gt_i16_e64 vcc_lo, 0, v153
	; wave barrier
	s_delay_alu instid0(VALU_DEP_1) | instskip(NEXT) | instid1(VALU_DEP_1)
	v_cndmask_b32_e64 v37, 0x7fff, 0, vcc_lo
	v_xor_b32_e32 v153, v37, v153
	s_delay_alu instid0(VALU_DEP_1) | instskip(SKIP_1) | instid1(VALU_DEP_1)
	v_cmp_ne_u16_e64 vcc_lo, 0x8000, v153
	v_cndmask_b32_e32 v37, 0x7fff, v153, vcc_lo
	v_and_b32_e32 v37, 0xffff, v37
	s_delay_alu instid0(VALU_DEP_1) | instskip(NEXT) | instid1(VALU_DEP_1)
	v_lshrrev_b32_e32 v37, s48, v37
	v_and_b32_e32 v37, s55, v37
	s_delay_alu instid0(VALU_DEP_1)
	v_and_b32_e32 v158, 1, v37
	v_lshlrev_b32_e32 v159, 30, v37
	v_lshlrev_b32_e32 v160, 29, v37
	;; [unrolled: 1-line block ×4, first 2 shown]
	v_add_co_u32 v158, s16, v158, -1
	s_delay_alu instid0(VALU_DEP_1)
	v_cndmask_b32_e64 v163, 0, 1, s16
	v_not_b32_e32 v168, v159
	v_cmp_gt_i32_e64 s16, 0, v159
	v_not_b32_e32 v159, v160
	v_lshlrev_b32_e32 v166, 26, v37
	v_cmp_ne_u32_e32 vcc_lo, 0, v163
	v_ashrrev_i32_e32 v168, 31, v168
	v_lshlrev_b32_e32 v167, 25, v37
	v_ashrrev_i32_e32 v159, 31, v159
	v_lshlrev_b32_e32 v163, 24, v37
	v_xor_b32_e32 v158, vcc_lo, v158
	v_cmp_gt_i32_e32 vcc_lo, 0, v160
	v_not_b32_e32 v160, v162
	v_xor_b32_e32 v168, s16, v168
	v_cmp_gt_i32_e64 s16, 0, v162
	v_and_b32_e32 v158, exec_lo, v158
	v_not_b32_e32 v162, v164
	v_ashrrev_i32_e32 v160, 31, v160
	v_xor_b32_e32 v159, vcc_lo, v159
	v_cmp_gt_i32_e32 vcc_lo, 0, v164
	v_and_b32_e32 v158, v158, v168
	v_not_b32_e32 v164, v166
	v_ashrrev_i32_e32 v162, 31, v162
	v_xor_b32_e32 v160, s16, v160
	v_cmp_gt_i32_e64 s16, 0, v166
	v_and_b32_e32 v158, v158, v159
	v_not_b32_e32 v159, v167
	v_ashrrev_i32_e32 v164, 31, v164
	v_xor_b32_e32 v162, vcc_lo, v162
	v_cmp_gt_i32_e32 vcc_lo, 0, v167
	v_and_b32_e32 v158, v158, v160
	v_not_b32_e32 v160, v163
	v_ashrrev_i32_e32 v159, 31, v159
	v_xor_b32_e32 v164, s16, v164
	v_mul_u32_u24_e32 v37, 9, v37
	v_and_b32_e32 v158, v158, v162
	v_cmp_gt_i32_e64 s16, 0, v163
	v_ashrrev_i32_e32 v160, 31, v160
	v_xor_b32_e32 v159, vcc_lo, v159
	v_add_lshl_u32 v162, v37, v126, 2
	v_and_b32_e32 v158, v158, v164
	s_delay_alu instid0(VALU_DEP_4) | instskip(NEXT) | instid1(VALU_DEP_3)
	v_xor_b32_e32 v37, s16, v160
	v_add_nc_u32_e32 v160, 0x420, v162
	s_delay_alu instid0(VALU_DEP_3) | instskip(SKIP_2) | instid1(VALU_DEP_1)
	v_and_b32_e32 v159, v158, v159
	ds_load_b32 v158, v162 offset:1056
	; wave barrier
	v_and_b32_e32 v37, v159, v37
	v_mbcnt_lo_u32_b32 v159, v37, 0
	v_cmp_ne_u32_e64 s16, 0, v37
	s_delay_alu instid0(VALU_DEP_2) | instskip(NEXT) | instid1(VALU_DEP_2)
	v_cmp_eq_u32_e32 vcc_lo, 0, v159
	s_and_b32 s17, s16, vcc_lo
	s_delay_alu instid0(SALU_CYCLE_1)
	s_and_saveexec_b32 s16, s17
	s_cbranch_execz .LBB1747_142
; %bb.141:                              ;   in Loop: Header=BB1747_98 Depth=2
	s_waitcnt lgkmcnt(0)
	v_bcnt_u32_b32 v37, v37, v158
	ds_store_b32 v160, v37
.LBB1747_142:                           ;   in Loop: Header=BB1747_98 Depth=2
	s_or_b32 exec_lo, exec_lo, s16
	v_cmp_gt_i16_e64 vcc_lo, 0, v157
	; wave barrier
	s_delay_alu instid0(VALU_DEP_1) | instskip(NEXT) | instid1(VALU_DEP_1)
	v_cndmask_b32_e64 v37, 0x7fff, 0, vcc_lo
	v_xor_b32_e32 v157, v37, v157
	s_delay_alu instid0(VALU_DEP_1) | instskip(SKIP_1) | instid1(VALU_DEP_1)
	v_cmp_ne_u16_e64 vcc_lo, 0x8000, v157
	v_cndmask_b32_e32 v37, 0x7fff, v157, vcc_lo
	v_and_b32_e32 v37, 0xffff, v37
	s_delay_alu instid0(VALU_DEP_1) | instskip(NEXT) | instid1(VALU_DEP_1)
	v_lshrrev_b32_e32 v37, s48, v37
	v_and_b32_e32 v37, s55, v37
	s_delay_alu instid0(VALU_DEP_1)
	v_and_b32_e32 v162, 1, v37
	v_lshlrev_b32_e32 v163, 30, v37
	v_lshlrev_b32_e32 v164, 29, v37
	;; [unrolled: 1-line block ×4, first 2 shown]
	v_add_co_u32 v162, s16, v162, -1
	s_delay_alu instid0(VALU_DEP_1)
	v_cndmask_b32_e64 v167, 0, 1, s16
	v_not_b32_e32 v173, v163
	v_cmp_gt_i32_e64 s16, 0, v163
	v_not_b32_e32 v163, v164
	v_lshlrev_b32_e32 v171, 26, v37
	v_cmp_ne_u32_e32 vcc_lo, 0, v167
	v_ashrrev_i32_e32 v173, 31, v173
	v_lshlrev_b32_e32 v172, 25, v37
	v_ashrrev_i32_e32 v163, 31, v163
	v_lshlrev_b32_e32 v167, 24, v37
	v_xor_b32_e32 v162, vcc_lo, v162
	v_cmp_gt_i32_e32 vcc_lo, 0, v164
	v_not_b32_e32 v164, v166
	v_xor_b32_e32 v173, s16, v173
	v_cmp_gt_i32_e64 s16, 0, v166
	v_and_b32_e32 v162, exec_lo, v162
	v_not_b32_e32 v166, v168
	v_ashrrev_i32_e32 v164, 31, v164
	v_xor_b32_e32 v163, vcc_lo, v163
	v_cmp_gt_i32_e32 vcc_lo, 0, v168
	v_and_b32_e32 v162, v162, v173
	v_not_b32_e32 v168, v171
	v_ashrrev_i32_e32 v166, 31, v166
	v_xor_b32_e32 v164, s16, v164
	v_cmp_gt_i32_e64 s16, 0, v171
	v_and_b32_e32 v162, v162, v163
	v_not_b32_e32 v163, v172
	v_ashrrev_i32_e32 v168, 31, v168
	v_xor_b32_e32 v166, vcc_lo, v166
	v_cmp_gt_i32_e32 vcc_lo, 0, v172
	v_and_b32_e32 v162, v162, v164
	v_not_b32_e32 v164, v167
	v_ashrrev_i32_e32 v163, 31, v163
	v_xor_b32_e32 v168, s16, v168
	v_mul_u32_u24_e32 v37, 9, v37
	v_and_b32_e32 v162, v162, v166
	v_cmp_gt_i32_e64 s16, 0, v167
	v_ashrrev_i32_e32 v164, 31, v164
	v_xor_b32_e32 v163, vcc_lo, v163
	v_add_lshl_u32 v166, v37, v126, 2
	v_and_b32_e32 v162, v162, v168
	s_delay_alu instid0(VALU_DEP_4) | instskip(NEXT) | instid1(VALU_DEP_3)
	v_xor_b32_e32 v37, s16, v164
	v_add_nc_u32_e32 v164, 0x420, v166
	s_delay_alu instid0(VALU_DEP_3) | instskip(SKIP_2) | instid1(VALU_DEP_1)
	v_and_b32_e32 v163, v162, v163
	ds_load_b32 v162, v166 offset:1056
	; wave barrier
	v_and_b32_e32 v37, v163, v37
	v_mbcnt_lo_u32_b32 v163, v37, 0
	v_cmp_ne_u32_e64 s16, 0, v37
	s_delay_alu instid0(VALU_DEP_2) | instskip(NEXT) | instid1(VALU_DEP_2)
	v_cmp_eq_u32_e32 vcc_lo, 0, v163
	s_and_b32 s17, s16, vcc_lo
	s_delay_alu instid0(SALU_CYCLE_1)
	s_and_saveexec_b32 s16, s17
	s_cbranch_execz .LBB1747_144
; %bb.143:                              ;   in Loop: Header=BB1747_98 Depth=2
	s_waitcnt lgkmcnt(0)
	v_bcnt_u32_b32 v37, v37, v162
	ds_store_b32 v164, v37
.LBB1747_144:                           ;   in Loop: Header=BB1747_98 Depth=2
	s_or_b32 exec_lo, exec_lo, s16
	v_cmp_gt_i16_e64 vcc_lo, 0, v161
	; wave barrier
	s_delay_alu instid0(VALU_DEP_1) | instskip(NEXT) | instid1(VALU_DEP_1)
	v_cndmask_b32_e64 v37, 0x7fff, 0, vcc_lo
	v_xor_b32_e32 v161, v37, v161
	s_delay_alu instid0(VALU_DEP_1) | instskip(SKIP_1) | instid1(VALU_DEP_1)
	v_cmp_ne_u16_e64 vcc_lo, 0x8000, v161
	v_cndmask_b32_e32 v37, 0x7fff, v161, vcc_lo
	v_and_b32_e32 v37, 0xffff, v37
	s_delay_alu instid0(VALU_DEP_1) | instskip(NEXT) | instid1(VALU_DEP_1)
	v_lshrrev_b32_e32 v37, s48, v37
	v_and_b32_e32 v37, s55, v37
	s_delay_alu instid0(VALU_DEP_1)
	v_and_b32_e32 v166, 1, v37
	v_lshlrev_b32_e32 v167, 30, v37
	v_lshlrev_b32_e32 v168, 29, v37
	;; [unrolled: 1-line block ×4, first 2 shown]
	v_add_co_u32 v166, s16, v166, -1
	s_delay_alu instid0(VALU_DEP_1)
	v_cndmask_b32_e64 v172, 0, 1, s16
	v_not_b32_e32 v176, v167
	v_cmp_gt_i32_e64 s16, 0, v167
	v_not_b32_e32 v167, v168
	v_lshlrev_b32_e32 v174, 26, v37
	v_cmp_ne_u32_e32 vcc_lo, 0, v172
	v_ashrrev_i32_e32 v176, 31, v176
	v_lshlrev_b32_e32 v175, 25, v37
	v_ashrrev_i32_e32 v167, 31, v167
	v_lshlrev_b32_e32 v172, 24, v37
	v_xor_b32_e32 v166, vcc_lo, v166
	v_cmp_gt_i32_e32 vcc_lo, 0, v168
	v_not_b32_e32 v168, v171
	v_xor_b32_e32 v176, s16, v176
	v_cmp_gt_i32_e64 s16, 0, v171
	v_and_b32_e32 v166, exec_lo, v166
	v_not_b32_e32 v171, v173
	v_ashrrev_i32_e32 v168, 31, v168
	v_xor_b32_e32 v167, vcc_lo, v167
	v_cmp_gt_i32_e32 vcc_lo, 0, v173
	v_and_b32_e32 v166, v166, v176
	v_not_b32_e32 v173, v174
	v_ashrrev_i32_e32 v171, 31, v171
	v_xor_b32_e32 v168, s16, v168
	v_cmp_gt_i32_e64 s16, 0, v174
	v_and_b32_e32 v166, v166, v167
	v_not_b32_e32 v167, v175
	v_ashrrev_i32_e32 v173, 31, v173
	v_xor_b32_e32 v171, vcc_lo, v171
	v_cmp_gt_i32_e32 vcc_lo, 0, v175
	v_and_b32_e32 v166, v166, v168
	v_not_b32_e32 v168, v172
	v_ashrrev_i32_e32 v167, 31, v167
	v_xor_b32_e32 v173, s16, v173
	v_mul_u32_u24_e32 v37, 9, v37
	v_and_b32_e32 v166, v166, v171
	v_cmp_gt_i32_e64 s16, 0, v172
	v_ashrrev_i32_e32 v168, 31, v168
	v_xor_b32_e32 v167, vcc_lo, v167
	v_add_lshl_u32 v171, v37, v126, 2
	v_and_b32_e32 v166, v166, v173
	s_delay_alu instid0(VALU_DEP_4) | instskip(NEXT) | instid1(VALU_DEP_3)
	v_xor_b32_e32 v37, s16, v168
	v_add_nc_u32_e32 v168, 0x420, v171
	s_delay_alu instid0(VALU_DEP_3) | instskip(SKIP_2) | instid1(VALU_DEP_1)
	v_and_b32_e32 v167, v166, v167
	ds_load_b32 v166, v171 offset:1056
	; wave barrier
	v_and_b32_e32 v37, v167, v37
	v_mbcnt_lo_u32_b32 v167, v37, 0
	v_cmp_ne_u32_e64 s16, 0, v37
	s_delay_alu instid0(VALU_DEP_2) | instskip(NEXT) | instid1(VALU_DEP_2)
	v_cmp_eq_u32_e32 vcc_lo, 0, v167
	s_and_b32 s17, s16, vcc_lo
	s_delay_alu instid0(SALU_CYCLE_1)
	s_and_saveexec_b32 s16, s17
	s_cbranch_execz .LBB1747_146
; %bb.145:                              ;   in Loop: Header=BB1747_98 Depth=2
	s_waitcnt lgkmcnt(0)
	v_bcnt_u32_b32 v37, v37, v166
	ds_store_b32 v168, v37
.LBB1747_146:                           ;   in Loop: Header=BB1747_98 Depth=2
	s_or_b32 exec_lo, exec_lo, s16
	v_cmp_gt_i16_e64 vcc_lo, 0, v165
	; wave barrier
	s_delay_alu instid0(VALU_DEP_1) | instskip(NEXT) | instid1(VALU_DEP_1)
	v_cndmask_b32_e64 v37, 0x7fff, 0, vcc_lo
	v_xor_b32_e32 v165, v37, v165
	s_delay_alu instid0(VALU_DEP_1) | instskip(SKIP_1) | instid1(VALU_DEP_1)
	v_cmp_ne_u16_e64 vcc_lo, 0x8000, v165
	v_cndmask_b32_e32 v37, 0x7fff, v165, vcc_lo
	v_and_b32_e32 v37, 0xffff, v37
	s_delay_alu instid0(VALU_DEP_1) | instskip(NEXT) | instid1(VALU_DEP_1)
	v_lshrrev_b32_e32 v37, s48, v37
	v_and_b32_e32 v37, s55, v37
	s_delay_alu instid0(VALU_DEP_1)
	v_and_b32_e32 v171, 1, v37
	v_lshlrev_b32_e32 v172, 30, v37
	v_lshlrev_b32_e32 v173, 29, v37
	;; [unrolled: 1-line block ×4, first 2 shown]
	v_add_co_u32 v171, s16, v171, -1
	s_delay_alu instid0(VALU_DEP_1)
	v_cndmask_b32_e64 v175, 0, 1, s16
	v_not_b32_e32 v179, v172
	v_cmp_gt_i32_e64 s16, 0, v172
	v_not_b32_e32 v172, v173
	v_lshlrev_b32_e32 v177, 26, v37
	v_cmp_ne_u32_e32 vcc_lo, 0, v175
	v_ashrrev_i32_e32 v179, 31, v179
	v_lshlrev_b32_e32 v178, 25, v37
	v_ashrrev_i32_e32 v172, 31, v172
	v_lshlrev_b32_e32 v175, 24, v37
	v_xor_b32_e32 v171, vcc_lo, v171
	v_cmp_gt_i32_e32 vcc_lo, 0, v173
	v_not_b32_e32 v173, v174
	v_xor_b32_e32 v179, s16, v179
	v_cmp_gt_i32_e64 s16, 0, v174
	v_and_b32_e32 v171, exec_lo, v171
	v_not_b32_e32 v174, v176
	v_ashrrev_i32_e32 v173, 31, v173
	v_xor_b32_e32 v172, vcc_lo, v172
	v_cmp_gt_i32_e32 vcc_lo, 0, v176
	v_and_b32_e32 v171, v171, v179
	v_not_b32_e32 v176, v177
	v_ashrrev_i32_e32 v174, 31, v174
	v_xor_b32_e32 v173, s16, v173
	v_cmp_gt_i32_e64 s16, 0, v177
	v_and_b32_e32 v171, v171, v172
	v_not_b32_e32 v172, v178
	v_ashrrev_i32_e32 v176, 31, v176
	v_xor_b32_e32 v174, vcc_lo, v174
	v_cmp_gt_i32_e32 vcc_lo, 0, v178
	v_and_b32_e32 v171, v171, v173
	v_not_b32_e32 v173, v175
	v_ashrrev_i32_e32 v172, 31, v172
	v_xor_b32_e32 v176, s16, v176
	v_mul_u32_u24_e32 v37, 9, v37
	v_and_b32_e32 v171, v171, v174
	v_cmp_gt_i32_e64 s16, 0, v175
	v_ashrrev_i32_e32 v173, 31, v173
	v_xor_b32_e32 v172, vcc_lo, v172
	v_add_lshl_u32 v174, v37, v126, 2
	v_and_b32_e32 v171, v171, v176
	s_delay_alu instid0(VALU_DEP_4) | instskip(NEXT) | instid1(VALU_DEP_3)
	v_xor_b32_e32 v37, s16, v173
	v_add_nc_u32_e32 v173, 0x420, v174
	s_delay_alu instid0(VALU_DEP_3) | instskip(SKIP_2) | instid1(VALU_DEP_1)
	v_and_b32_e32 v172, v171, v172
	ds_load_b32 v171, v174 offset:1056
	; wave barrier
	v_and_b32_e32 v37, v172, v37
	v_mbcnt_lo_u32_b32 v172, v37, 0
	v_cmp_ne_u32_e64 s16, 0, v37
	s_delay_alu instid0(VALU_DEP_2) | instskip(NEXT) | instid1(VALU_DEP_2)
	v_cmp_eq_u32_e32 vcc_lo, 0, v172
	s_and_b32 s17, s16, vcc_lo
	s_delay_alu instid0(SALU_CYCLE_1)
	s_and_saveexec_b32 s16, s17
	s_cbranch_execz .LBB1747_148
; %bb.147:                              ;   in Loop: Header=BB1747_98 Depth=2
	s_waitcnt lgkmcnt(0)
	v_bcnt_u32_b32 v37, v37, v171
	ds_store_b32 v173, v37
.LBB1747_148:                           ;   in Loop: Header=BB1747_98 Depth=2
	s_or_b32 exec_lo, exec_lo, s16
	v_cmp_gt_i16_e64 vcc_lo, 0, v170
	; wave barrier
	s_delay_alu instid0(VALU_DEP_1) | instskip(NEXT) | instid1(VALU_DEP_1)
	v_cndmask_b32_e64 v37, 0x7fff, 0, vcc_lo
	v_xor_b32_e32 v170, v37, v170
	s_delay_alu instid0(VALU_DEP_1) | instskip(SKIP_1) | instid1(VALU_DEP_1)
	v_cmp_ne_u16_e64 vcc_lo, 0x8000, v170
	v_cndmask_b32_e32 v37, 0x7fff, v170, vcc_lo
	v_and_b32_e32 v37, 0xffff, v37
	s_delay_alu instid0(VALU_DEP_1) | instskip(NEXT) | instid1(VALU_DEP_1)
	v_lshrrev_b32_e32 v37, s48, v37
	v_and_b32_e32 v37, s55, v37
	s_delay_alu instid0(VALU_DEP_1)
	v_and_b32_e32 v174, 1, v37
	v_lshlrev_b32_e32 v175, 30, v37
	v_lshlrev_b32_e32 v176, 29, v37
	;; [unrolled: 1-line block ×4, first 2 shown]
	v_add_co_u32 v174, s16, v174, -1
	s_delay_alu instid0(VALU_DEP_1)
	v_cndmask_b32_e64 v178, 0, 1, s16
	v_not_b32_e32 v182, v175
	v_cmp_gt_i32_e64 s16, 0, v175
	v_not_b32_e32 v175, v176
	v_lshlrev_b32_e32 v180, 26, v37
	v_cmp_ne_u32_e32 vcc_lo, 0, v178
	v_ashrrev_i32_e32 v182, 31, v182
	v_lshlrev_b32_e32 v181, 25, v37
	v_ashrrev_i32_e32 v175, 31, v175
	v_lshlrev_b32_e32 v178, 24, v37
	v_xor_b32_e32 v174, vcc_lo, v174
	v_cmp_gt_i32_e32 vcc_lo, 0, v176
	v_not_b32_e32 v176, v177
	v_xor_b32_e32 v182, s16, v182
	v_cmp_gt_i32_e64 s16, 0, v177
	v_and_b32_e32 v174, exec_lo, v174
	v_not_b32_e32 v177, v179
	v_ashrrev_i32_e32 v176, 31, v176
	v_xor_b32_e32 v175, vcc_lo, v175
	v_cmp_gt_i32_e32 vcc_lo, 0, v179
	v_and_b32_e32 v174, v174, v182
	v_not_b32_e32 v179, v180
	v_ashrrev_i32_e32 v177, 31, v177
	v_xor_b32_e32 v176, s16, v176
	v_cmp_gt_i32_e64 s16, 0, v180
	v_and_b32_e32 v174, v174, v175
	v_not_b32_e32 v175, v181
	v_ashrrev_i32_e32 v179, 31, v179
	v_xor_b32_e32 v177, vcc_lo, v177
	v_cmp_gt_i32_e32 vcc_lo, 0, v181
	v_and_b32_e32 v174, v174, v176
	v_not_b32_e32 v176, v178
	v_ashrrev_i32_e32 v175, 31, v175
	v_xor_b32_e32 v179, s16, v179
	v_mul_u32_u24_e32 v37, 9, v37
	v_and_b32_e32 v174, v174, v177
	v_cmp_gt_i32_e64 s16, 0, v178
	v_ashrrev_i32_e32 v176, 31, v176
	v_xor_b32_e32 v175, vcc_lo, v175
	v_add_lshl_u32 v177, v37, v126, 2
	v_and_b32_e32 v174, v174, v179
	s_delay_alu instid0(VALU_DEP_4) | instskip(NEXT) | instid1(VALU_DEP_3)
	v_xor_b32_e32 v37, s16, v176
	v_add_nc_u32_e32 v176, 0x420, v177
	s_delay_alu instid0(VALU_DEP_3) | instskip(SKIP_2) | instid1(VALU_DEP_1)
	v_and_b32_e32 v175, v174, v175
	ds_load_b32 v174, v177 offset:1056
	; wave barrier
	v_and_b32_e32 v37, v175, v37
	v_mbcnt_lo_u32_b32 v175, v37, 0
	v_cmp_ne_u32_e64 s16, 0, v37
	s_delay_alu instid0(VALU_DEP_2) | instskip(NEXT) | instid1(VALU_DEP_2)
	v_cmp_eq_u32_e32 vcc_lo, 0, v175
	s_and_b32 s17, s16, vcc_lo
	s_delay_alu instid0(SALU_CYCLE_1)
	s_and_saveexec_b32 s16, s17
	s_cbranch_execz .LBB1747_150
; %bb.149:                              ;   in Loop: Header=BB1747_98 Depth=2
	s_waitcnt lgkmcnt(0)
	v_bcnt_u32_b32 v37, v37, v174
	ds_store_b32 v176, v37
.LBB1747_150:                           ;   in Loop: Header=BB1747_98 Depth=2
	s_or_b32 exec_lo, exec_lo, s16
	v_cmp_gt_i16_e64 vcc_lo, 0, v169
	; wave barrier
	s_delay_alu instid0(VALU_DEP_1) | instskip(NEXT) | instid1(VALU_DEP_1)
	v_cndmask_b32_e64 v37, 0x7fff, 0, vcc_lo
	v_xor_b32_e32 v169, v37, v169
	s_delay_alu instid0(VALU_DEP_1) | instskip(SKIP_1) | instid1(VALU_DEP_1)
	v_cmp_ne_u16_e64 vcc_lo, 0x8000, v169
	v_cndmask_b32_e32 v37, 0x7fff, v169, vcc_lo
	v_and_b32_e32 v37, 0xffff, v37
	s_delay_alu instid0(VALU_DEP_1) | instskip(NEXT) | instid1(VALU_DEP_1)
	v_lshrrev_b32_e32 v37, s48, v37
	v_and_b32_e32 v37, s55, v37
	s_delay_alu instid0(VALU_DEP_1)
	v_and_b32_e32 v177, 1, v37
	v_lshlrev_b32_e32 v178, 30, v37
	v_lshlrev_b32_e32 v179, 29, v37
	;; [unrolled: 1-line block ×4, first 2 shown]
	v_add_co_u32 v177, s16, v177, -1
	s_delay_alu instid0(VALU_DEP_1)
	v_cndmask_b32_e64 v181, 0, 1, s16
	v_not_b32_e32 v185, v178
	v_cmp_gt_i32_e64 s16, 0, v178
	v_not_b32_e32 v178, v179
	v_lshlrev_b32_e32 v183, 26, v37
	v_cmp_ne_u32_e32 vcc_lo, 0, v181
	v_ashrrev_i32_e32 v185, 31, v185
	v_lshlrev_b32_e32 v184, 25, v37
	v_ashrrev_i32_e32 v178, 31, v178
	v_lshlrev_b32_e32 v181, 24, v37
	v_xor_b32_e32 v177, vcc_lo, v177
	v_cmp_gt_i32_e32 vcc_lo, 0, v179
	v_not_b32_e32 v179, v180
	v_xor_b32_e32 v185, s16, v185
	v_cmp_gt_i32_e64 s16, 0, v180
	v_and_b32_e32 v177, exec_lo, v177
	v_not_b32_e32 v180, v182
	v_ashrrev_i32_e32 v179, 31, v179
	v_xor_b32_e32 v178, vcc_lo, v178
	v_cmp_gt_i32_e32 vcc_lo, 0, v182
	v_and_b32_e32 v177, v177, v185
	v_not_b32_e32 v182, v183
	v_ashrrev_i32_e32 v180, 31, v180
	v_xor_b32_e32 v179, s16, v179
	v_cmp_gt_i32_e64 s16, 0, v183
	v_and_b32_e32 v177, v177, v178
	v_not_b32_e32 v178, v184
	v_ashrrev_i32_e32 v182, 31, v182
	v_xor_b32_e32 v180, vcc_lo, v180
	v_cmp_gt_i32_e32 vcc_lo, 0, v184
	v_and_b32_e32 v177, v177, v179
	v_not_b32_e32 v179, v181
	v_ashrrev_i32_e32 v178, 31, v178
	v_xor_b32_e32 v182, s16, v182
	v_mul_u32_u24_e32 v37, 9, v37
	v_and_b32_e32 v177, v177, v180
	v_cmp_gt_i32_e64 s16, 0, v181
	v_ashrrev_i32_e32 v179, 31, v179
	v_xor_b32_e32 v178, vcc_lo, v178
	v_add_lshl_u32 v180, v37, v126, 2
	v_and_b32_e32 v177, v177, v182
	s_delay_alu instid0(VALU_DEP_4) | instskip(NEXT) | instid1(VALU_DEP_2)
	v_xor_b32_e32 v37, s16, v179
	v_and_b32_e32 v177, v177, v178
	ds_load_b32 v178, v180 offset:1056
	v_add_nc_u32_e32 v180, 0x420, v180
	; wave barrier
	v_and_b32_e32 v37, v177, v37
	s_delay_alu instid0(VALU_DEP_1) | instskip(SKIP_1) | instid1(VALU_DEP_2)
	v_mbcnt_lo_u32_b32 v179, v37, 0
	v_cmp_ne_u32_e64 s16, 0, v37
	v_cmp_eq_u32_e32 vcc_lo, 0, v179
	s_delay_alu instid0(VALU_DEP_2) | instskip(NEXT) | instid1(SALU_CYCLE_1)
	s_and_b32 s17, s16, vcc_lo
	s_and_saveexec_b32 s16, s17
	s_cbranch_execz .LBB1747_152
; %bb.151:                              ;   in Loop: Header=BB1747_98 Depth=2
	s_waitcnt lgkmcnt(0)
	v_bcnt_u32_b32 v37, v37, v178
	ds_store_b32 v180, v37
.LBB1747_152:                           ;   in Loop: Header=BB1747_98 Depth=2
	s_or_b32 exec_lo, exec_lo, s16
	v_cmp_gt_i16_e32 vcc_lo, 0, v43
	; wave barrier
	v_cndmask_b32_e64 v37, 0x7fff, 0, vcc_lo
	s_delay_alu instid0(VALU_DEP_1) | instskip(NEXT) | instid1(VALU_DEP_1)
	v_xor_b32_e32 v177, v37, v43
	v_cmp_ne_u16_e64 vcc_lo, 0x8000, v177
	v_cndmask_b32_e32 v37, 0x7fff, v177, vcc_lo
	s_delay_alu instid0(VALU_DEP_1) | instskip(NEXT) | instid1(VALU_DEP_1)
	v_and_b32_e32 v37, 0xffff, v37
	v_lshrrev_b32_e32 v37, s48, v37
	s_delay_alu instid0(VALU_DEP_1) | instskip(NEXT) | instid1(VALU_DEP_1)
	v_and_b32_e32 v37, s55, v37
	v_and_b32_e32 v43, 1, v37
	v_lshlrev_b32_e32 v181, 30, v37
	v_lshlrev_b32_e32 v182, 29, v37
	;; [unrolled: 1-line block ×4, first 2 shown]
	v_add_co_u32 v43, s16, v43, -1
	s_delay_alu instid0(VALU_DEP_1)
	v_cndmask_b32_e64 v184, 0, 1, s16
	v_not_b32_e32 v188, v181
	v_cmp_gt_i32_e64 s16, 0, v181
	v_not_b32_e32 v181, v182
	v_lshlrev_b32_e32 v186, 26, v37
	v_cmp_ne_u32_e32 vcc_lo, 0, v184
	v_ashrrev_i32_e32 v188, 31, v188
	v_lshlrev_b32_e32 v187, 25, v37
	v_ashrrev_i32_e32 v181, 31, v181
	v_lshlrev_b32_e32 v184, 24, v37
	v_xor_b32_e32 v43, vcc_lo, v43
	v_cmp_gt_i32_e32 vcc_lo, 0, v182
	v_not_b32_e32 v182, v183
	v_xor_b32_e32 v188, s16, v188
	v_cmp_gt_i32_e64 s16, 0, v183
	v_and_b32_e32 v43, exec_lo, v43
	v_not_b32_e32 v183, v185
	v_ashrrev_i32_e32 v182, 31, v182
	v_xor_b32_e32 v181, vcc_lo, v181
	v_cmp_gt_i32_e32 vcc_lo, 0, v185
	v_and_b32_e32 v43, v43, v188
	v_not_b32_e32 v185, v186
	v_ashrrev_i32_e32 v183, 31, v183
	v_xor_b32_e32 v182, s16, v182
	v_cmp_gt_i32_e64 s16, 0, v186
	v_and_b32_e32 v43, v43, v181
	v_not_b32_e32 v181, v187
	v_ashrrev_i32_e32 v185, 31, v185
	v_xor_b32_e32 v183, vcc_lo, v183
	v_cmp_gt_i32_e32 vcc_lo, 0, v187
	v_and_b32_e32 v43, v43, v182
	v_not_b32_e32 v182, v184
	v_ashrrev_i32_e32 v181, 31, v181
	v_xor_b32_e32 v185, s16, v185
	v_mul_u32_u24_e32 v37, 9, v37
	v_and_b32_e32 v43, v43, v183
	v_cmp_gt_i32_e64 s16, 0, v184
	v_ashrrev_i32_e32 v182, 31, v182
	v_xor_b32_e32 v181, vcc_lo, v181
	v_add_lshl_u32 v184, v37, v126, 2
	v_and_b32_e32 v43, v43, v185
	s_delay_alu instid0(VALU_DEP_4) | instskip(SKIP_3) | instid1(VALU_DEP_2)
	v_xor_b32_e32 v37, s16, v182
	ds_load_b32 v182, v184 offset:1056
	v_and_b32_e32 v43, v43, v181
	v_add_nc_u32_e32 v184, 0x420, v184
	; wave barrier
	v_and_b32_e32 v37, v43, v37
	s_delay_alu instid0(VALU_DEP_1) | instskip(SKIP_1) | instid1(VALU_DEP_2)
	v_mbcnt_lo_u32_b32 v183, v37, 0
	v_cmp_ne_u32_e64 s16, 0, v37
	v_cmp_eq_u32_e32 vcc_lo, 0, v183
	s_delay_alu instid0(VALU_DEP_2) | instskip(NEXT) | instid1(SALU_CYCLE_1)
	s_and_b32 s17, s16, vcc_lo
	s_and_saveexec_b32 s16, s17
	s_cbranch_execz .LBB1747_154
; %bb.153:                              ;   in Loop: Header=BB1747_98 Depth=2
	s_waitcnt lgkmcnt(0)
	v_bcnt_u32_b32 v37, v37, v182
	ds_store_b32 v184, v37
.LBB1747_154:                           ;   in Loop: Header=BB1747_98 Depth=2
	s_or_b32 exec_lo, exec_lo, s16
	v_cmp_gt_i16_e32 vcc_lo, 0, v42
	; wave barrier
	v_cndmask_b32_e64 v37, 0x7fff, 0, vcc_lo
	s_delay_alu instid0(VALU_DEP_1) | instskip(NEXT) | instid1(VALU_DEP_1)
	v_xor_b32_e32 v181, v37, v42
	v_cmp_ne_u16_e64 vcc_lo, 0x8000, v181
	v_cndmask_b32_e32 v37, 0x7fff, v181, vcc_lo
	s_delay_alu instid0(VALU_DEP_1) | instskip(NEXT) | instid1(VALU_DEP_1)
	v_and_b32_e32 v37, 0xffff, v37
	v_lshrrev_b32_e32 v37, s48, v37
	s_delay_alu instid0(VALU_DEP_1) | instskip(NEXT) | instid1(VALU_DEP_1)
	v_and_b32_e32 v37, s55, v37
	v_and_b32_e32 v42, 1, v37
	v_lshlrev_b32_e32 v43, 30, v37
	v_lshlrev_b32_e32 v185, 29, v37
	;; [unrolled: 1-line block ×4, first 2 shown]
	v_add_co_u32 v42, s16, v42, -1
	s_delay_alu instid0(VALU_DEP_1)
	v_cndmask_b32_e64 v187, 0, 1, s16
	v_not_b32_e32 v191, v43
	v_cmp_gt_i32_e64 s16, 0, v43
	v_not_b32_e32 v43, v185
	v_lshlrev_b32_e32 v189, 26, v37
	v_cmp_ne_u32_e32 vcc_lo, 0, v187
	v_ashrrev_i32_e32 v191, 31, v191
	v_lshlrev_b32_e32 v190, 25, v37
	v_ashrrev_i32_e32 v43, 31, v43
	v_lshlrev_b32_e32 v187, 24, v37
	v_xor_b32_e32 v42, vcc_lo, v42
	v_cmp_gt_i32_e32 vcc_lo, 0, v185
	v_not_b32_e32 v185, v186
	v_xor_b32_e32 v191, s16, v191
	v_cmp_gt_i32_e64 s16, 0, v186
	v_and_b32_e32 v42, exec_lo, v42
	v_not_b32_e32 v186, v188
	v_ashrrev_i32_e32 v185, 31, v185
	v_xor_b32_e32 v43, vcc_lo, v43
	v_cmp_gt_i32_e32 vcc_lo, 0, v188
	v_and_b32_e32 v42, v42, v191
	v_not_b32_e32 v188, v189
	v_ashrrev_i32_e32 v186, 31, v186
	v_xor_b32_e32 v185, s16, v185
	v_cmp_gt_i32_e64 s16, 0, v189
	v_and_b32_e32 v42, v42, v43
	v_not_b32_e32 v43, v190
	v_ashrrev_i32_e32 v188, 31, v188
	v_xor_b32_e32 v186, vcc_lo, v186
	v_cmp_gt_i32_e32 vcc_lo, 0, v190
	v_and_b32_e32 v42, v42, v185
	v_not_b32_e32 v185, v187
	v_ashrrev_i32_e32 v43, 31, v43
	v_xor_b32_e32 v188, s16, v188
	v_mul_u32_u24_e32 v37, 9, v37
	v_and_b32_e32 v42, v42, v186
	v_cmp_gt_i32_e64 s16, 0, v187
	v_ashrrev_i32_e32 v185, 31, v185
	v_xor_b32_e32 v43, vcc_lo, v43
	s_delay_alu instid0(VALU_DEP_4) | instskip(SKIP_1) | instid1(VALU_DEP_4)
	v_and_b32_e32 v42, v42, v188
	v_add_lshl_u32 v188, v37, v126, 2
	v_xor_b32_e32 v37, s16, v185
	s_delay_alu instid0(VALU_DEP_3) | instskip(SKIP_3) | instid1(VALU_DEP_1)
	v_and_b32_e32 v42, v42, v43
	ds_load_b32 v186, v188 offset:1056
	v_add_nc_u32_e32 v188, 0x420, v188
	; wave barrier
	v_and_b32_e32 v37, v42, v37
	v_mbcnt_lo_u32_b32 v187, v37, 0
	v_cmp_ne_u32_e64 s16, 0, v37
	s_delay_alu instid0(VALU_DEP_2) | instskip(NEXT) | instid1(VALU_DEP_2)
	v_cmp_eq_u32_e32 vcc_lo, 0, v187
	s_and_b32 s17, s16, vcc_lo
	s_delay_alu instid0(SALU_CYCLE_1)
	s_and_saveexec_b32 s16, s17
	s_cbranch_execz .LBB1747_156
; %bb.155:                              ;   in Loop: Header=BB1747_98 Depth=2
	s_waitcnt lgkmcnt(0)
	v_bcnt_u32_b32 v37, v37, v186
	ds_store_b32 v188, v37
.LBB1747_156:                           ;   in Loop: Header=BB1747_98 Depth=2
	s_or_b32 exec_lo, exec_lo, s16
	v_cmp_gt_i16_e32 vcc_lo, 0, v41
	; wave barrier
	v_cndmask_b32_e64 v37, 0x7fff, 0, vcc_lo
	s_delay_alu instid0(VALU_DEP_1) | instskip(NEXT) | instid1(VALU_DEP_1)
	v_xor_b32_e32 v185, v37, v41
	v_cmp_ne_u16_e64 vcc_lo, 0x8000, v185
	v_cndmask_b32_e32 v37, 0x7fff, v185, vcc_lo
	s_delay_alu instid0(VALU_DEP_1) | instskip(NEXT) | instid1(VALU_DEP_1)
	v_and_b32_e32 v37, 0xffff, v37
	v_lshrrev_b32_e32 v37, s48, v37
	s_delay_alu instid0(VALU_DEP_1) | instskip(NEXT) | instid1(VALU_DEP_1)
	v_and_b32_e32 v37, s55, v37
	v_and_b32_e32 v41, 1, v37
	v_lshlrev_b32_e32 v42, 30, v37
	v_lshlrev_b32_e32 v43, 29, v37
	;; [unrolled: 1-line block ×4, first 2 shown]
	v_add_co_u32 v41, s16, v41, -1
	s_delay_alu instid0(VALU_DEP_1)
	v_cndmask_b32_e64 v190, 0, 1, s16
	v_not_b32_e32 v194, v42
	v_cmp_gt_i32_e64 s16, 0, v42
	v_not_b32_e32 v42, v43
	v_lshlrev_b32_e32 v192, 26, v37
	v_cmp_ne_u32_e32 vcc_lo, 0, v190
	v_ashrrev_i32_e32 v194, 31, v194
	v_lshlrev_b32_e32 v193, 25, v37
	v_ashrrev_i32_e32 v42, 31, v42
	v_lshlrev_b32_e32 v190, 24, v37
	v_xor_b32_e32 v41, vcc_lo, v41
	v_cmp_gt_i32_e32 vcc_lo, 0, v43
	v_not_b32_e32 v43, v189
	v_xor_b32_e32 v194, s16, v194
	v_cmp_gt_i32_e64 s16, 0, v189
	v_and_b32_e32 v41, exec_lo, v41
	v_not_b32_e32 v189, v191
	v_ashrrev_i32_e32 v43, 31, v43
	v_xor_b32_e32 v42, vcc_lo, v42
	v_cmp_gt_i32_e32 vcc_lo, 0, v191
	v_and_b32_e32 v41, v41, v194
	v_not_b32_e32 v191, v192
	v_ashrrev_i32_e32 v189, 31, v189
	v_xor_b32_e32 v43, s16, v43
	v_cmp_gt_i32_e64 s16, 0, v192
	v_and_b32_e32 v41, v41, v42
	v_not_b32_e32 v42, v193
	v_ashrrev_i32_e32 v191, 31, v191
	v_xor_b32_e32 v189, vcc_lo, v189
	v_cmp_gt_i32_e32 vcc_lo, 0, v193
	v_and_b32_e32 v41, v41, v43
	v_not_b32_e32 v43, v190
	v_ashrrev_i32_e32 v42, 31, v42
	v_xor_b32_e32 v191, s16, v191
	v_mul_u32_u24_e32 v37, 9, v37
	v_and_b32_e32 v41, v41, v189
	v_cmp_gt_i32_e64 s16, 0, v190
	v_ashrrev_i32_e32 v43, 31, v43
	v_xor_b32_e32 v42, vcc_lo, v42
	v_add_lshl_u32 v189, v37, v126, 2
	v_and_b32_e32 v41, v41, v191
	s_delay_alu instid0(VALU_DEP_4) | instskip(SKIP_3) | instid1(VALU_DEP_2)
	v_xor_b32_e32 v37, s16, v43
	ds_load_b32 v190, v189 offset:1056
	v_and_b32_e32 v41, v41, v42
	v_add_nc_u32_e32 v192, 0x420, v189
	; wave barrier
	v_and_b32_e32 v37, v41, v37
	s_delay_alu instid0(VALU_DEP_1) | instskip(SKIP_1) | instid1(VALU_DEP_2)
	v_mbcnt_lo_u32_b32 v191, v37, 0
	v_cmp_ne_u32_e64 s16, 0, v37
	v_cmp_eq_u32_e32 vcc_lo, 0, v191
	s_delay_alu instid0(VALU_DEP_2) | instskip(NEXT) | instid1(SALU_CYCLE_1)
	s_and_b32 s17, s16, vcc_lo
	s_and_saveexec_b32 s16, s17
	s_cbranch_execz .LBB1747_158
; %bb.157:                              ;   in Loop: Header=BB1747_98 Depth=2
	s_waitcnt lgkmcnt(0)
	v_bcnt_u32_b32 v37, v37, v190
	ds_store_b32 v192, v37
.LBB1747_158:                           ;   in Loop: Header=BB1747_98 Depth=2
	s_or_b32 exec_lo, exec_lo, s16
	v_cmp_gt_i16_e32 vcc_lo, 0, v40
	; wave barrier
	v_cndmask_b32_e64 v37, 0x7fff, 0, vcc_lo
	s_delay_alu instid0(VALU_DEP_1) | instskip(NEXT) | instid1(VALU_DEP_1)
	v_xor_b32_e32 v189, v37, v40
	v_cmp_ne_u16_e64 vcc_lo, 0x8000, v189
	v_cndmask_b32_e32 v37, 0x7fff, v189, vcc_lo
	s_delay_alu instid0(VALU_DEP_1) | instskip(NEXT) | instid1(VALU_DEP_1)
	v_and_b32_e32 v37, 0xffff, v37
	v_lshrrev_b32_e32 v37, s48, v37
	s_delay_alu instid0(VALU_DEP_1) | instskip(NEXT) | instid1(VALU_DEP_1)
	v_and_b32_e32 v37, s55, v37
	v_and_b32_e32 v40, 1, v37
	v_lshlrev_b32_e32 v41, 30, v37
	v_lshlrev_b32_e32 v42, 29, v37
	;; [unrolled: 1-line block ×4, first 2 shown]
	v_add_co_u32 v40, s16, v40, -1
	s_delay_alu instid0(VALU_DEP_1)
	v_cndmask_b32_e64 v193, 0, 1, s16
	v_not_b32_e32 v197, v41
	v_cmp_gt_i32_e64 s16, 0, v41
	v_not_b32_e32 v41, v42
	v_lshlrev_b32_e32 v195, 26, v37
	v_cmp_ne_u32_e32 vcc_lo, 0, v193
	v_ashrrev_i32_e32 v197, 31, v197
	v_lshlrev_b32_e32 v196, 25, v37
	v_ashrrev_i32_e32 v41, 31, v41
	v_lshlrev_b32_e32 v193, 24, v37
	v_xor_b32_e32 v40, vcc_lo, v40
	v_cmp_gt_i32_e32 vcc_lo, 0, v42
	v_not_b32_e32 v42, v43
	v_xor_b32_e32 v197, s16, v197
	v_cmp_gt_i32_e64 s16, 0, v43
	v_and_b32_e32 v40, exec_lo, v40
	v_not_b32_e32 v43, v194
	v_ashrrev_i32_e32 v42, 31, v42
	v_xor_b32_e32 v41, vcc_lo, v41
	v_cmp_gt_i32_e32 vcc_lo, 0, v194
	v_and_b32_e32 v40, v40, v197
	v_not_b32_e32 v194, v195
	v_ashrrev_i32_e32 v43, 31, v43
	v_xor_b32_e32 v42, s16, v42
	v_cmp_gt_i32_e64 s16, 0, v195
	v_and_b32_e32 v40, v40, v41
	v_not_b32_e32 v41, v196
	v_ashrrev_i32_e32 v194, 31, v194
	v_xor_b32_e32 v43, vcc_lo, v43
	v_cmp_gt_i32_e32 vcc_lo, 0, v196
	v_and_b32_e32 v40, v40, v42
	v_not_b32_e32 v42, v193
	v_ashrrev_i32_e32 v41, 31, v41
	v_xor_b32_e32 v194, s16, v194
	v_mul_u32_u24_e32 v37, 9, v37
	v_and_b32_e32 v40, v40, v43
	v_cmp_gt_i32_e64 s16, 0, v193
	v_ashrrev_i32_e32 v42, 31, v42
	v_xor_b32_e32 v41, vcc_lo, v41
	v_add_lshl_u32 v43, v37, v126, 2
	v_and_b32_e32 v40, v40, v194
	s_delay_alu instid0(VALU_DEP_4) | instskip(SKIP_3) | instid1(VALU_DEP_2)
	v_xor_b32_e32 v37, s16, v42
	ds_load_b32 v194, v43 offset:1056
	v_and_b32_e32 v40, v40, v41
	v_add_nc_u32_e32 v196, 0x420, v43
	; wave barrier
	v_and_b32_e32 v37, v40, v37
	s_delay_alu instid0(VALU_DEP_1) | instskip(SKIP_1) | instid1(VALU_DEP_2)
	v_mbcnt_lo_u32_b32 v195, v37, 0
	v_cmp_ne_u32_e64 s16, 0, v37
	v_cmp_eq_u32_e32 vcc_lo, 0, v195
	s_delay_alu instid0(VALU_DEP_2) | instskip(NEXT) | instid1(SALU_CYCLE_1)
	s_and_b32 s17, s16, vcc_lo
	s_and_saveexec_b32 s16, s17
	s_cbranch_execz .LBB1747_160
; %bb.159:                              ;   in Loop: Header=BB1747_98 Depth=2
	s_waitcnt lgkmcnt(0)
	v_bcnt_u32_b32 v37, v37, v194
	ds_store_b32 v196, v37
.LBB1747_160:                           ;   in Loop: Header=BB1747_98 Depth=2
	s_or_b32 exec_lo, exec_lo, s16
	v_cmp_gt_i16_e32 vcc_lo, 0, v39
	; wave barrier
	v_cndmask_b32_e64 v37, 0x7fff, 0, vcc_lo
	s_delay_alu instid0(VALU_DEP_1) | instskip(NEXT) | instid1(VALU_DEP_1)
	v_xor_b32_e32 v193, v37, v39
	v_cmp_ne_u16_e64 vcc_lo, 0x8000, v193
	v_cndmask_b32_e32 v37, 0x7fff, v193, vcc_lo
	s_delay_alu instid0(VALU_DEP_1) | instskip(NEXT) | instid1(VALU_DEP_1)
	v_and_b32_e32 v37, 0xffff, v37
	v_lshrrev_b32_e32 v37, s48, v37
	s_delay_alu instid0(VALU_DEP_1) | instskip(NEXT) | instid1(VALU_DEP_1)
	v_and_b32_e32 v37, s55, v37
	v_and_b32_e32 v39, 1, v37
	v_lshlrev_b32_e32 v40, 30, v37
	v_lshlrev_b32_e32 v41, 29, v37
	;; [unrolled: 1-line block ×4, first 2 shown]
	v_add_co_u32 v39, s16, v39, -1
	s_delay_alu instid0(VALU_DEP_1)
	v_cndmask_b32_e64 v43, 0, 1, s16
	v_not_b32_e32 v200, v40
	v_cmp_gt_i32_e64 s16, 0, v40
	v_not_b32_e32 v40, v41
	v_lshlrev_b32_e32 v198, 26, v37
	v_cmp_ne_u32_e32 vcc_lo, 0, v43
	v_ashrrev_i32_e32 v200, 31, v200
	v_lshlrev_b32_e32 v199, 25, v37
	v_ashrrev_i32_e32 v40, 31, v40
	v_lshlrev_b32_e32 v43, 24, v37
	v_xor_b32_e32 v39, vcc_lo, v39
	v_cmp_gt_i32_e32 vcc_lo, 0, v41
	v_not_b32_e32 v41, v42
	v_xor_b32_e32 v200, s16, v200
	v_cmp_gt_i32_e64 s16, 0, v42
	v_and_b32_e32 v39, exec_lo, v39
	v_not_b32_e32 v42, v197
	v_ashrrev_i32_e32 v41, 31, v41
	v_xor_b32_e32 v40, vcc_lo, v40
	v_cmp_gt_i32_e32 vcc_lo, 0, v197
	v_and_b32_e32 v39, v39, v200
	v_not_b32_e32 v197, v198
	v_ashrrev_i32_e32 v42, 31, v42
	v_xor_b32_e32 v41, s16, v41
	v_cmp_gt_i32_e64 s16, 0, v198
	v_and_b32_e32 v39, v39, v40
	v_not_b32_e32 v40, v199
	v_ashrrev_i32_e32 v197, 31, v197
	v_xor_b32_e32 v42, vcc_lo, v42
	v_cmp_gt_i32_e32 vcc_lo, 0, v199
	v_and_b32_e32 v39, v39, v41
	v_not_b32_e32 v41, v43
	v_ashrrev_i32_e32 v40, 31, v40
	v_xor_b32_e32 v197, s16, v197
	v_mul_u32_u24_e32 v37, 9, v37
	v_and_b32_e32 v39, v39, v42
	v_cmp_gt_i32_e64 s16, 0, v43
	v_ashrrev_i32_e32 v41, 31, v41
	v_xor_b32_e32 v40, vcc_lo, v40
	v_add_lshl_u32 v42, v37, v126, 2
	v_and_b32_e32 v39, v39, v197
	s_delay_alu instid0(VALU_DEP_4) | instskip(SKIP_3) | instid1(VALU_DEP_2)
	v_xor_b32_e32 v37, s16, v41
	ds_load_b32 v198, v42 offset:1056
	v_and_b32_e32 v39, v39, v40
	v_add_nc_u32_e32 v200, 0x420, v42
	; wave barrier
	v_and_b32_e32 v37, v39, v37
	s_delay_alu instid0(VALU_DEP_1) | instskip(SKIP_1) | instid1(VALU_DEP_2)
	v_mbcnt_lo_u32_b32 v199, v37, 0
	v_cmp_ne_u32_e64 s16, 0, v37
	v_cmp_eq_u32_e32 vcc_lo, 0, v199
	s_delay_alu instid0(VALU_DEP_2) | instskip(NEXT) | instid1(SALU_CYCLE_1)
	s_and_b32 s17, s16, vcc_lo
	s_and_saveexec_b32 s16, s17
	s_cbranch_execz .LBB1747_162
; %bb.161:                              ;   in Loop: Header=BB1747_98 Depth=2
	s_waitcnt lgkmcnt(0)
	v_bcnt_u32_b32 v37, v37, v198
	ds_store_b32 v200, v37
.LBB1747_162:                           ;   in Loop: Header=BB1747_98 Depth=2
	s_or_b32 exec_lo, exec_lo, s16
	v_cmp_gt_i16_e32 vcc_lo, 0, v38
	; wave barrier
	v_cndmask_b32_e64 v37, 0x7fff, 0, vcc_lo
	s_delay_alu instid0(VALU_DEP_1) | instskip(NEXT) | instid1(VALU_DEP_1)
	v_xor_b32_e32 v197, v37, v38
	v_cmp_ne_u16_e64 vcc_lo, 0x8000, v197
	v_cndmask_b32_e32 v37, 0x7fff, v197, vcc_lo
	s_delay_alu instid0(VALU_DEP_1) | instskip(NEXT) | instid1(VALU_DEP_1)
	v_and_b32_e32 v37, 0xffff, v37
	v_lshrrev_b32_e32 v37, s48, v37
	s_delay_alu instid0(VALU_DEP_1) | instskip(NEXT) | instid1(VALU_DEP_1)
	v_and_b32_e32 v37, s55, v37
	v_and_b32_e32 v38, 1, v37
	v_lshlrev_b32_e32 v39, 30, v37
	v_lshlrev_b32_e32 v40, 29, v37
	;; [unrolled: 1-line block ×4, first 2 shown]
	v_add_co_u32 v38, s16, v38, -1
	s_delay_alu instid0(VALU_DEP_1)
	v_cndmask_b32_e64 v42, 0, 1, s16
	v_not_b32_e32 v203, v39
	v_cmp_gt_i32_e64 s16, 0, v39
	v_not_b32_e32 v39, v40
	v_lshlrev_b32_e32 v201, 26, v37
	v_cmp_ne_u32_e32 vcc_lo, 0, v42
	v_ashrrev_i32_e32 v203, 31, v203
	v_lshlrev_b32_e32 v202, 25, v37
	v_ashrrev_i32_e32 v39, 31, v39
	v_lshlrev_b32_e32 v42, 24, v37
	v_xor_b32_e32 v38, vcc_lo, v38
	v_cmp_gt_i32_e32 vcc_lo, 0, v40
	v_not_b32_e32 v40, v41
	v_xor_b32_e32 v203, s16, v203
	v_cmp_gt_i32_e64 s16, 0, v41
	v_and_b32_e32 v38, exec_lo, v38
	v_not_b32_e32 v41, v43
	v_ashrrev_i32_e32 v40, 31, v40
	v_xor_b32_e32 v39, vcc_lo, v39
	v_cmp_gt_i32_e32 vcc_lo, 0, v43
	v_and_b32_e32 v38, v38, v203
	v_not_b32_e32 v43, v201
	v_ashrrev_i32_e32 v41, 31, v41
	v_xor_b32_e32 v40, s16, v40
	v_cmp_gt_i32_e64 s16, 0, v201
	v_and_b32_e32 v38, v38, v39
	v_not_b32_e32 v39, v202
	v_ashrrev_i32_e32 v43, 31, v43
	v_xor_b32_e32 v41, vcc_lo, v41
	v_cmp_gt_i32_e32 vcc_lo, 0, v202
	v_and_b32_e32 v38, v38, v40
	v_not_b32_e32 v40, v42
	v_ashrrev_i32_e32 v39, 31, v39
	v_xor_b32_e32 v43, s16, v43
	v_mul_u32_u24_e32 v37, 9, v37
	v_and_b32_e32 v38, v38, v41
	v_cmp_gt_i32_e64 s16, 0, v42
	v_ashrrev_i32_e32 v40, 31, v40
	v_xor_b32_e32 v39, vcc_lo, v39
	v_add_lshl_u32 v41, v37, v126, 2
	v_and_b32_e32 v38, v38, v43
	s_delay_alu instid0(VALU_DEP_4) | instskip(SKIP_3) | instid1(VALU_DEP_2)
	v_xor_b32_e32 v37, s16, v40
	ds_load_b32 v202, v41 offset:1056
	v_and_b32_e32 v38, v38, v39
	v_add_nc_u32_e32 v204, 0x420, v41
	; wave barrier
	v_and_b32_e32 v37, v38, v37
	s_delay_alu instid0(VALU_DEP_1) | instskip(SKIP_1) | instid1(VALU_DEP_2)
	v_mbcnt_lo_u32_b32 v203, v37, 0
	v_cmp_ne_u32_e64 s16, 0, v37
	v_cmp_eq_u32_e32 vcc_lo, 0, v203
	s_delay_alu instid0(VALU_DEP_2) | instskip(NEXT) | instid1(SALU_CYCLE_1)
	s_and_b32 s17, s16, vcc_lo
	s_and_saveexec_b32 s16, s17
	s_cbranch_execz .LBB1747_164
; %bb.163:                              ;   in Loop: Header=BB1747_98 Depth=2
	s_waitcnt lgkmcnt(0)
	v_bcnt_u32_b32 v37, v37, v202
	ds_store_b32 v204, v37
.LBB1747_164:                           ;   in Loop: Header=BB1747_98 Depth=2
	s_or_b32 exec_lo, exec_lo, s16
	v_cmp_gt_i16_e32 vcc_lo, 0, v36
	; wave barrier
	v_cndmask_b32_e64 v37, 0x7fff, 0, vcc_lo
	s_delay_alu instid0(VALU_DEP_1) | instskip(NEXT) | instid1(VALU_DEP_1)
	v_xor_b32_e32 v201, v37, v36
	v_cmp_ne_u16_e64 vcc_lo, 0x8000, v201
	v_cndmask_b32_e32 v36, 0x7fff, v201, vcc_lo
	s_delay_alu instid0(VALU_DEP_1) | instskip(NEXT) | instid1(VALU_DEP_1)
	v_and_b32_e32 v36, 0xffff, v36
	v_lshrrev_b32_e32 v36, s48, v36
	s_delay_alu instid0(VALU_DEP_1) | instskip(NEXT) | instid1(VALU_DEP_1)
	v_and_b32_e32 v36, s55, v36
	v_and_b32_e32 v37, 1, v36
	v_lshlrev_b32_e32 v38, 30, v36
	v_lshlrev_b32_e32 v39, 29, v36
	v_lshlrev_b32_e32 v40, 28, v36
	v_lshlrev_b32_e32 v42, 27, v36
	v_add_co_u32 v37, s16, v37, -1
	s_delay_alu instid0(VALU_DEP_1)
	v_cndmask_b32_e64 v41, 0, 1, s16
	v_not_b32_e32 v206, v38
	v_cmp_gt_i32_e64 s16, 0, v38
	v_not_b32_e32 v38, v39
	v_lshlrev_b32_e32 v43, 26, v36
	v_cmp_ne_u32_e32 vcc_lo, 0, v41
	v_ashrrev_i32_e32 v206, 31, v206
	v_lshlrev_b32_e32 v205, 25, v36
	v_ashrrev_i32_e32 v38, 31, v38
	v_lshlrev_b32_e32 v41, 24, v36
	v_xor_b32_e32 v37, vcc_lo, v37
	v_cmp_gt_i32_e32 vcc_lo, 0, v39
	v_not_b32_e32 v39, v40
	v_xor_b32_e32 v206, s16, v206
	v_cmp_gt_i32_e64 s16, 0, v40
	v_and_b32_e32 v37, exec_lo, v37
	v_not_b32_e32 v40, v42
	v_ashrrev_i32_e32 v39, 31, v39
	v_xor_b32_e32 v38, vcc_lo, v38
	v_cmp_gt_i32_e32 vcc_lo, 0, v42
	v_and_b32_e32 v37, v37, v206
	v_not_b32_e32 v42, v43
	v_ashrrev_i32_e32 v40, 31, v40
	v_xor_b32_e32 v39, s16, v39
	v_cmp_gt_i32_e64 s16, 0, v43
	v_and_b32_e32 v37, v37, v38
	v_not_b32_e32 v38, v205
	v_ashrrev_i32_e32 v42, 31, v42
	v_xor_b32_e32 v40, vcc_lo, v40
	v_cmp_gt_i32_e32 vcc_lo, 0, v205
	v_and_b32_e32 v37, v37, v39
	v_not_b32_e32 v39, v41
	v_ashrrev_i32_e32 v38, 31, v38
	v_xor_b32_e32 v42, s16, v42
	v_mul_u32_u24_e32 v36, 9, v36
	v_and_b32_e32 v37, v37, v40
	v_cmp_gt_i32_e64 s16, 0, v41
	v_ashrrev_i32_e32 v39, 31, v39
	v_xor_b32_e32 v38, vcc_lo, v38
	v_add_lshl_u32 v40, v36, v126, 2
	v_and_b32_e32 v37, v37, v42
	s_delay_alu instid0(VALU_DEP_4) | instskip(SKIP_3) | instid1(VALU_DEP_2)
	v_xor_b32_e32 v36, s16, v39
	ds_load_b32 v205, v40 offset:1056
	v_and_b32_e32 v37, v37, v38
	v_add_nc_u32_e32 v207, 0x420, v40
	; wave barrier
	v_and_b32_e32 v36, v37, v36
	s_delay_alu instid0(VALU_DEP_1) | instskip(SKIP_1) | instid1(VALU_DEP_2)
	v_mbcnt_lo_u32_b32 v206, v36, 0
	v_cmp_ne_u32_e64 s16, 0, v36
	v_cmp_eq_u32_e32 vcc_lo, 0, v206
	s_delay_alu instid0(VALU_DEP_2) | instskip(NEXT) | instid1(SALU_CYCLE_1)
	s_and_b32 s17, s16, vcc_lo
	s_and_saveexec_b32 s16, s17
	s_cbranch_execz .LBB1747_166
; %bb.165:                              ;   in Loop: Header=BB1747_98 Depth=2
	s_waitcnt lgkmcnt(0)
	v_bcnt_u32_b32 v36, v36, v205
	ds_store_b32 v207, v36
.LBB1747_166:                           ;   in Loop: Header=BB1747_98 Depth=2
	s_or_b32 exec_lo, exec_lo, s16
	; wave barrier
	s_waitcnt lgkmcnt(0)
	s_barrier
	buffer_gl0_inv
	ds_load_b32 v208, v69 offset:1056
	ds_load_2addr_b32 v[42:43], v71 offset0:1 offset1:2
	ds_load_2addr_b32 v[40:41], v71 offset0:3 offset1:4
	;; [unrolled: 1-line block ×4, first 2 shown]
	s_waitcnt lgkmcnt(3)
	v_add3_u32 v209, v42, v208, v43
	s_waitcnt lgkmcnt(2)
	s_delay_alu instid0(VALU_DEP_1) | instskip(SKIP_1) | instid1(VALU_DEP_1)
	v_add3_u32 v209, v209, v40, v41
	s_waitcnt lgkmcnt(1)
	v_add3_u32 v209, v209, v36, v37
	s_waitcnt lgkmcnt(0)
	s_delay_alu instid0(VALU_DEP_1) | instskip(NEXT) | instid1(VALU_DEP_1)
	v_add3_u32 v39, v209, v38, v39
	v_mov_b32_dpp v209, v39 row_shr:1 row_mask:0xf bank_mask:0xf
	s_delay_alu instid0(VALU_DEP_1) | instskip(NEXT) | instid1(VALU_DEP_1)
	v_cndmask_b32_e64 v209, v209, 0, s0
	v_add_nc_u32_e32 v39, v209, v39
	s_delay_alu instid0(VALU_DEP_1) | instskip(NEXT) | instid1(VALU_DEP_1)
	v_mov_b32_dpp v209, v39 row_shr:2 row_mask:0xf bank_mask:0xf
	v_cndmask_b32_e64 v209, 0, v209, s1
	s_delay_alu instid0(VALU_DEP_1) | instskip(NEXT) | instid1(VALU_DEP_1)
	v_add_nc_u32_e32 v39, v39, v209
	v_mov_b32_dpp v209, v39 row_shr:4 row_mask:0xf bank_mask:0xf
	s_delay_alu instid0(VALU_DEP_1) | instskip(NEXT) | instid1(VALU_DEP_1)
	v_cndmask_b32_e64 v209, 0, v209, s8
	v_add_nc_u32_e32 v39, v39, v209
	s_delay_alu instid0(VALU_DEP_1) | instskip(NEXT) | instid1(VALU_DEP_1)
	v_mov_b32_dpp v209, v39 row_shr:8 row_mask:0xf bank_mask:0xf
	v_cndmask_b32_e64 v209, 0, v209, s9
	s_delay_alu instid0(VALU_DEP_1) | instskip(SKIP_3) | instid1(VALU_DEP_1)
	v_add_nc_u32_e32 v39, v39, v209
	ds_swizzle_b32 v209, v39 offset:swizzle(BROADCAST,32,15)
	s_waitcnt lgkmcnt(0)
	v_cndmask_b32_e64 v209, v209, 0, s10
	v_add_nc_u32_e32 v39, v39, v209
	s_and_saveexec_b32 s16, s3
	s_cbranch_execz .LBB1747_168
; %bb.167:                              ;   in Loop: Header=BB1747_98 Depth=2
	ds_store_b32 v62, v39 offset:1024
.LBB1747_168:                           ;   in Loop: Header=BB1747_98 Depth=2
	s_or_b32 exec_lo, exec_lo, s16
	s_waitcnt lgkmcnt(0)
	s_barrier
	buffer_gl0_inv
	s_and_saveexec_b32 s16, s4
	s_cbranch_execz .LBB1747_170
; %bb.169:                              ;   in Loop: Header=BB1747_98 Depth=2
	ds_load_b32 v209, v72 offset:1024
	s_waitcnt lgkmcnt(0)
	v_mov_b32_dpp v210, v209 row_shr:1 row_mask:0xf bank_mask:0xf
	s_delay_alu instid0(VALU_DEP_1) | instskip(NEXT) | instid1(VALU_DEP_1)
	v_cndmask_b32_e64 v210, v210, 0, s12
	v_add_nc_u32_e32 v209, v210, v209
	s_delay_alu instid0(VALU_DEP_1) | instskip(NEXT) | instid1(VALU_DEP_1)
	v_mov_b32_dpp v210, v209 row_shr:2 row_mask:0xf bank_mask:0xf
	v_cndmask_b32_e64 v210, 0, v210, s13
	s_delay_alu instid0(VALU_DEP_1) | instskip(NEXT) | instid1(VALU_DEP_1)
	v_add_nc_u32_e32 v209, v209, v210
	v_mov_b32_dpp v210, v209 row_shr:4 row_mask:0xf bank_mask:0xf
	s_delay_alu instid0(VALU_DEP_1) | instskip(NEXT) | instid1(VALU_DEP_1)
	v_cndmask_b32_e64 v210, 0, v210, s14
	v_add_nc_u32_e32 v209, v209, v210
	ds_store_b32 v72, v209 offset:1024
.LBB1747_170:                           ;   in Loop: Header=BB1747_98 Depth=2
	s_or_b32 exec_lo, exec_lo, s16
	v_mov_b32_e32 v209, 0
	s_waitcnt lgkmcnt(0)
	s_barrier
	buffer_gl0_inv
	s_and_saveexec_b32 s16, s5
	s_cbranch_execz .LBB1747_172
; %bb.171:                              ;   in Loop: Header=BB1747_98 Depth=2
	ds_load_b32 v209, v62 offset:1020
.LBB1747_172:                           ;   in Loop: Header=BB1747_98 Depth=2
	s_or_b32 exec_lo, exec_lo, s16
	s_waitcnt lgkmcnt(0)
	v_add_nc_u32_e32 v39, v209, v39
	ds_bpermute_b32 v39, v105, v39
	s_waitcnt lgkmcnt(0)
	v_cndmask_b32_e64 v39, v39, v209, s11
	s_delay_alu instid0(VALU_DEP_1) | instskip(NEXT) | instid1(VALU_DEP_1)
	v_cndmask_b32_e64 v39, v39, 0, s6
	v_add_nc_u32_e32 v208, v39, v208
	s_delay_alu instid0(VALU_DEP_1) | instskip(NEXT) | instid1(VALU_DEP_1)
	v_add_nc_u32_e32 v42, v208, v42
	v_add_nc_u32_e32 v43, v42, v43
	s_delay_alu instid0(VALU_DEP_1) | instskip(NEXT) | instid1(VALU_DEP_1)
	v_add_nc_u32_e32 v40, v43, v40
	;; [unrolled: 3-line block ×3, first 2 shown]
	v_add_nc_u32_e32 v37, v36, v37
	s_delay_alu instid0(VALU_DEP_1)
	v_add_nc_u32_e32 v38, v37, v38
	ds_store_b32 v69, v39 offset:1056
	ds_store_2addr_b32 v71, v208, v42 offset0:1 offset1:2
	ds_store_2addr_b32 v71, v43, v40 offset0:3 offset1:4
	;; [unrolled: 1-line block ×4, first 2 shown]
	v_mov_b32_e32 v38, 0x1000
	s_waitcnt lgkmcnt(0)
	s_barrier
	buffer_gl0_inv
	ds_load_b32 v39, v152
	ds_load_b32 v40, v156
	;; [unrolled: 1-line block ×16, first 2 shown]
	ds_load_b32 v156, v69 offset:1056
	s_and_saveexec_b32 s16, s7
	s_cbranch_execz .LBB1747_174
; %bb.173:                              ;   in Loop: Header=BB1747_98 Depth=2
	ds_load_b32 v38, v73 offset:1056
.LBB1747_174:                           ;   in Loop: Header=BB1747_98 Depth=2
	s_or_b32 exec_lo, exec_lo, s16
	s_waitcnt lgkmcnt(0)
	s_barrier
	buffer_gl0_inv
	s_and_saveexec_b32 s16, s2
	s_cbranch_execz .LBB1747_176
; %bb.175:                              ;   in Loop: Header=BB1747_98 Depth=2
	ds_load_b32 v160, v44
	s_waitcnt lgkmcnt(0)
	v_sub_nc_u32_e32 v156, v160, v156
	ds_store_b32 v44, v156
.LBB1747_176:                           ;   in Loop: Header=BB1747_98 Depth=2
	s_or_b32 exec_lo, exec_lo, s16
	v_add_nc_u32_e32 v168, v148, v147
	v_add3_u32 v164, v151, v150, v39
	v_add3_u32 v160, v155, v154, v40
	;; [unrolled: 1-line block ×5, first 2 shown]
	v_lshlrev_b32_e32 v158, 1, v168
	v_add3_u32 v43, v199, v198, v36
	v_lshlrev_b32_e32 v36, 1, v164
	v_add3_u32 v152, v172, v171, v173
	v_add3_u32 v151, v175, v174, v176
	ds_store_b16 v158, v2 offset:1024
	v_lshlrev_b32_e32 v2, 1, v160
	ds_store_b16 v36, v146 offset:1024
	v_lshlrev_b32_e32 v36, 1, v154
	v_add3_u32 v150, v179, v178, v180
	v_add3_u32 v42, v203, v202, v37
	v_lshlrev_b32_e32 v37, 1, v156
	v_add3_u32 v148, v183, v182, v184
	v_lshlrev_b32_e32 v158, 1, v155
	v_add3_u32 v147, v187, v186, v188
	v_add3_u32 v40, v191, v190, v192
	ds_store_b16 v2, v149 offset:1024
	ds_store_b16 v37, v153 offset:1024
	;; [unrolled: 1-line block ×3, first 2 shown]
	v_lshlrev_b32_e32 v2, 1, v152
	ds_store_b16 v36, v161 offset:1024
	v_lshlrev_b32_e32 v36, 1, v151
	v_lshlrev_b32_e32 v37, 1, v150
	;; [unrolled: 1-line block ×3, first 2 shown]
	v_add3_u32 v39, v195, v194, v196
	v_add3_u32 v41, v206, v205, v41
	ds_store_b16 v2, v165 offset:1024
	v_lshlrev_b32_e32 v2, 1, v147
	ds_store_b16 v36, v170 offset:1024
	ds_store_b16 v37, v169 offset:1024
	;; [unrolled: 1-line block ×3, first 2 shown]
	v_lshlrev_b32_e32 v36, 1, v40
	v_cmp_lt_u32_e32 vcc_lo, v1, v145
	v_lshlrev_b32_e32 v37, 1, v43
	ds_store_b16 v2, v181 offset:1024
	v_lshlrev_b32_e32 v2, 1, v39
	ds_store_b16 v36, v185 offset:1024
	v_lshlrev_b32_e32 v36, 1, v41
	v_lshlrev_b32_e32 v146, 1, v42
	ds_store_b16 v2, v189 offset:1024
	ds_store_b16 v37, v193 offset:1024
	;; [unrolled: 1-line block ×4, first 2 shown]
	s_waitcnt lgkmcnt(0)
	s_barrier
	buffer_gl0_inv
	s_and_saveexec_b32 s17, vcc_lo
	s_cbranch_execz .LBB1747_192
; %bb.177:                              ;   in Loop: Header=BB1747_98 Depth=2
	v_add_nc_u32_e32 v2, v72, v78
	ds_load_u16 v146, v2 offset:1024
	s_waitcnt lgkmcnt(0)
	v_cmp_ne_u16_e64 s16, 0x8000, v146
	s_delay_alu instid0(VALU_DEP_1) | instskip(SKIP_1) | instid1(VALU_DEP_2)
	v_cndmask_b32_e64 v2, 0x7fff, v146, s16
	v_cmp_gt_i16_e64 s16, 0, v146
	v_and_b32_e32 v2, 0xffff, v2
	s_delay_alu instid0(VALU_DEP_2) | instskip(NEXT) | instid1(VALU_DEP_2)
	v_cndmask_b32_e64 v149, 0x7fff, 0, s16
	v_lshrrev_b32_e32 v2, s48, v2
	s_delay_alu instid0(VALU_DEP_1) | instskip(NEXT) | instid1(VALU_DEP_1)
	v_and_b32_e32 v2, s55, v2
	v_lshlrev_b32_e32 v2, 2, v2
	ds_load_b32 v2, v2
	s_waitcnt lgkmcnt(0)
	v_add_nc_u32_e32 v2, v2, v1
	s_delay_alu instid0(VALU_DEP_1) | instskip(SKIP_1) | instid1(VALU_DEP_2)
	v_lshlrev_b64 v[36:37], 1, v[2:3]
	v_xor_b32_e32 v2, v149, v146
	v_add_co_u32 v36, s16, s38, v36
	s_delay_alu instid0(VALU_DEP_1) | instskip(SKIP_3) | instid1(VALU_DEP_1)
	v_add_co_ci_u32_e64 v37, s16, s39, v37, s16
	global_store_b16 v[36:37], v2, off
	s_or_b32 exec_lo, exec_lo, s17
	v_cmp_lt_u32_e64 s16, v45, v145
	s_and_saveexec_b32 s18, s16
	s_cbranch_execnz .LBB1747_193
.LBB1747_178:                           ;   in Loop: Header=BB1747_98 Depth=2
	s_or_b32 exec_lo, exec_lo, s18
	v_cmp_lt_u32_e64 s17, v46, v145
	s_delay_alu instid0(VALU_DEP_1)
	s_and_saveexec_b32 s19, s17
	s_cbranch_execz .LBB1747_194
.LBB1747_179:                           ;   in Loop: Header=BB1747_98 Depth=2
	ds_load_u16 v146, v79 offset:1024
	s_waitcnt lgkmcnt(0)
	v_cmp_ne_u16_e64 s18, 0x8000, v146
	s_delay_alu instid0(VALU_DEP_1) | instskip(SKIP_1) | instid1(VALU_DEP_2)
	v_cndmask_b32_e64 v2, 0x7fff, v146, s18
	v_cmp_gt_i16_e64 s18, 0, v146
	v_and_b32_e32 v2, 0xffff, v2
	s_delay_alu instid0(VALU_DEP_2) | instskip(NEXT) | instid1(VALU_DEP_2)
	v_cndmask_b32_e64 v149, 0x7fff, 0, s18
	v_lshrrev_b32_e32 v2, s48, v2
	s_delay_alu instid0(VALU_DEP_1) | instskip(NEXT) | instid1(VALU_DEP_1)
	v_and_b32_e32 v2, s55, v2
	v_lshlrev_b32_e32 v2, 2, v2
	ds_load_b32 v2, v2
	s_waitcnt lgkmcnt(0)
	v_add_nc_u32_e32 v2, v2, v46
	s_delay_alu instid0(VALU_DEP_1) | instskip(SKIP_1) | instid1(VALU_DEP_2)
	v_lshlrev_b64 v[36:37], 1, v[2:3]
	v_xor_b32_e32 v2, v149, v146
	v_add_co_u32 v36, s18, s38, v36
	s_delay_alu instid0(VALU_DEP_1) | instskip(SKIP_3) | instid1(VALU_DEP_1)
	v_add_co_ci_u32_e64 v37, s18, s39, v37, s18
	global_store_b16 v[36:37], v2, off
	s_or_b32 exec_lo, exec_lo, s19
	v_cmp_lt_u32_e64 s18, v47, v145
	s_and_saveexec_b32 s20, s18
	s_cbranch_execnz .LBB1747_195
.LBB1747_180:                           ;   in Loop: Header=BB1747_98 Depth=2
	s_or_b32 exec_lo, exec_lo, s20
	v_cmp_lt_u32_e64 s19, v51, v145
	s_delay_alu instid0(VALU_DEP_1)
	s_and_saveexec_b32 s21, s19
	s_cbranch_execz .LBB1747_196
.LBB1747_181:                           ;   in Loop: Header=BB1747_98 Depth=2
	ds_load_u16 v146, v79 offset:2048
	s_waitcnt lgkmcnt(0)
	v_cmp_ne_u16_e64 s20, 0x8000, v146
	s_delay_alu instid0(VALU_DEP_1) | instskip(SKIP_1) | instid1(VALU_DEP_2)
	v_cndmask_b32_e64 v2, 0x7fff, v146, s20
	v_cmp_gt_i16_e64 s20, 0, v146
	v_and_b32_e32 v2, 0xffff, v2
	s_delay_alu instid0(VALU_DEP_2) | instskip(NEXT) | instid1(VALU_DEP_2)
	v_cndmask_b32_e64 v149, 0x7fff, 0, s20
	v_lshrrev_b32_e32 v2, s48, v2
	s_delay_alu instid0(VALU_DEP_1) | instskip(NEXT) | instid1(VALU_DEP_1)
	v_and_b32_e32 v2, s55, v2
	v_lshlrev_b32_e32 v2, 2, v2
	ds_load_b32 v2, v2
	s_waitcnt lgkmcnt(0)
	v_add_nc_u32_e32 v2, v2, v51
	s_delay_alu instid0(VALU_DEP_1) | instskip(SKIP_1) | instid1(VALU_DEP_2)
	v_lshlrev_b64 v[36:37], 1, v[2:3]
	v_xor_b32_e32 v2, v149, v146
	v_add_co_u32 v36, s20, s38, v36
	s_delay_alu instid0(VALU_DEP_1) | instskip(SKIP_3) | instid1(VALU_DEP_1)
	v_add_co_ci_u32_e64 v37, s20, s39, v37, s20
	global_store_b16 v[36:37], v2, off
	s_or_b32 exec_lo, exec_lo, s21
	v_cmp_lt_u32_e64 s20, v52, v145
	s_and_saveexec_b32 s22, s20
	s_cbranch_execnz .LBB1747_197
.LBB1747_182:                           ;   in Loop: Header=BB1747_98 Depth=2
	s_or_b32 exec_lo, exec_lo, s22
	v_cmp_lt_u32_e64 s21, v53, v145
	s_delay_alu instid0(VALU_DEP_1)
	s_and_saveexec_b32 s23, s21
	s_cbranch_execz .LBB1747_198
.LBB1747_183:                           ;   in Loop: Header=BB1747_98 Depth=2
	ds_load_u16 v146, v79 offset:3072
	s_waitcnt lgkmcnt(0)
	v_cmp_ne_u16_e64 s22, 0x8000, v146
	s_delay_alu instid0(VALU_DEP_1) | instskip(SKIP_1) | instid1(VALU_DEP_2)
	v_cndmask_b32_e64 v2, 0x7fff, v146, s22
	v_cmp_gt_i16_e64 s22, 0, v146
	v_and_b32_e32 v2, 0xffff, v2
	s_delay_alu instid0(VALU_DEP_2) | instskip(NEXT) | instid1(VALU_DEP_2)
	v_cndmask_b32_e64 v149, 0x7fff, 0, s22
	v_lshrrev_b32_e32 v2, s48, v2
	s_delay_alu instid0(VALU_DEP_1) | instskip(NEXT) | instid1(VALU_DEP_1)
	v_and_b32_e32 v2, s55, v2
	v_lshlrev_b32_e32 v2, 2, v2
	ds_load_b32 v2, v2
	s_waitcnt lgkmcnt(0)
	v_add_nc_u32_e32 v2, v2, v53
	s_delay_alu instid0(VALU_DEP_1) | instskip(SKIP_1) | instid1(VALU_DEP_2)
	v_lshlrev_b64 v[36:37], 1, v[2:3]
	v_xor_b32_e32 v2, v149, v146
	v_add_co_u32 v36, s22, s38, v36
	s_delay_alu instid0(VALU_DEP_1) | instskip(SKIP_3) | instid1(VALU_DEP_1)
	v_add_co_ci_u32_e64 v37, s22, s39, v37, s22
	global_store_b16 v[36:37], v2, off
	s_or_b32 exec_lo, exec_lo, s23
	v_cmp_lt_u32_e64 s22, v54, v145
	s_and_saveexec_b32 s24, s22
	s_cbranch_execnz .LBB1747_199
.LBB1747_184:                           ;   in Loop: Header=BB1747_98 Depth=2
	s_or_b32 exec_lo, exec_lo, s24
	v_cmp_lt_u32_e64 s23, v55, v145
	s_delay_alu instid0(VALU_DEP_1)
	s_and_saveexec_b32 s25, s23
	s_cbranch_execz .LBB1747_200
.LBB1747_185:                           ;   in Loop: Header=BB1747_98 Depth=2
	ds_load_u16 v146, v79 offset:4096
	s_waitcnt lgkmcnt(0)
	v_cmp_ne_u16_e64 s24, 0x8000, v146
	s_delay_alu instid0(VALU_DEP_1) | instskip(SKIP_1) | instid1(VALU_DEP_2)
	v_cndmask_b32_e64 v2, 0x7fff, v146, s24
	v_cmp_gt_i16_e64 s24, 0, v146
	v_and_b32_e32 v2, 0xffff, v2
	s_delay_alu instid0(VALU_DEP_2) | instskip(NEXT) | instid1(VALU_DEP_2)
	v_cndmask_b32_e64 v149, 0x7fff, 0, s24
	v_lshrrev_b32_e32 v2, s48, v2
	s_delay_alu instid0(VALU_DEP_1) | instskip(NEXT) | instid1(VALU_DEP_1)
	v_and_b32_e32 v2, s55, v2
	v_lshlrev_b32_e32 v2, 2, v2
	ds_load_b32 v2, v2
	s_waitcnt lgkmcnt(0)
	v_add_nc_u32_e32 v2, v2, v55
	s_delay_alu instid0(VALU_DEP_1) | instskip(SKIP_1) | instid1(VALU_DEP_2)
	v_lshlrev_b64 v[36:37], 1, v[2:3]
	v_xor_b32_e32 v2, v149, v146
	v_add_co_u32 v36, s24, s38, v36
	s_delay_alu instid0(VALU_DEP_1) | instskip(SKIP_3) | instid1(VALU_DEP_1)
	v_add_co_ci_u32_e64 v37, s24, s39, v37, s24
	global_store_b16 v[36:37], v2, off
	s_or_b32 exec_lo, exec_lo, s25
	v_cmp_lt_u32_e64 s24, v56, v145
	s_and_saveexec_b32 s27, s24
	s_cbranch_execnz .LBB1747_201
.LBB1747_186:                           ;   in Loop: Header=BB1747_98 Depth=2
	s_or_b32 exec_lo, exec_lo, s27
	v_cmp_lt_u32_e64 s25, v57, v145
	s_delay_alu instid0(VALU_DEP_1)
	s_and_saveexec_b32 s28, s25
	s_cbranch_execz .LBB1747_202
.LBB1747_187:                           ;   in Loop: Header=BB1747_98 Depth=2
	ds_load_u16 v146, v79 offset:5120
	s_waitcnt lgkmcnt(0)
	v_cmp_ne_u16_e64 s27, 0x8000, v146
	s_delay_alu instid0(VALU_DEP_1) | instskip(SKIP_1) | instid1(VALU_DEP_2)
	v_cndmask_b32_e64 v2, 0x7fff, v146, s27
	v_cmp_gt_i16_e64 s27, 0, v146
	v_and_b32_e32 v2, 0xffff, v2
	s_delay_alu instid0(VALU_DEP_2) | instskip(NEXT) | instid1(VALU_DEP_2)
	v_cndmask_b32_e64 v149, 0x7fff, 0, s27
	v_lshrrev_b32_e32 v2, s48, v2
	s_delay_alu instid0(VALU_DEP_1) | instskip(NEXT) | instid1(VALU_DEP_1)
	v_and_b32_e32 v2, s55, v2
	v_lshlrev_b32_e32 v2, 2, v2
	ds_load_b32 v2, v2
	s_waitcnt lgkmcnt(0)
	v_add_nc_u32_e32 v2, v2, v57
	s_delay_alu instid0(VALU_DEP_1) | instskip(SKIP_1) | instid1(VALU_DEP_2)
	v_lshlrev_b64 v[36:37], 1, v[2:3]
	v_xor_b32_e32 v2, v149, v146
	v_add_co_u32 v36, s27, s38, v36
	s_delay_alu instid0(VALU_DEP_1) | instskip(SKIP_3) | instid1(VALU_DEP_1)
	v_add_co_ci_u32_e64 v37, s27, s39, v37, s27
	global_store_b16 v[36:37], v2, off
	s_or_b32 exec_lo, exec_lo, s28
	v_cmp_lt_u32_e64 s27, v58, v145
	s_and_saveexec_b32 s29, s27
	s_cbranch_execnz .LBB1747_203
.LBB1747_188:                           ;   in Loop: Header=BB1747_98 Depth=2
	s_or_b32 exec_lo, exec_lo, s29
	v_cmp_lt_u32_e64 s28, v59, v145
	s_delay_alu instid0(VALU_DEP_1)
	s_and_saveexec_b32 s30, s28
	s_cbranch_execz .LBB1747_204
.LBB1747_189:                           ;   in Loop: Header=BB1747_98 Depth=2
	ds_load_u16 v146, v79 offset:6144
	s_waitcnt lgkmcnt(0)
	v_cmp_ne_u16_e64 s29, 0x8000, v146
	s_delay_alu instid0(VALU_DEP_1) | instskip(SKIP_1) | instid1(VALU_DEP_2)
	v_cndmask_b32_e64 v2, 0x7fff, v146, s29
	v_cmp_gt_i16_e64 s29, 0, v146
	v_and_b32_e32 v2, 0xffff, v2
	s_delay_alu instid0(VALU_DEP_2) | instskip(NEXT) | instid1(VALU_DEP_2)
	v_cndmask_b32_e64 v149, 0x7fff, 0, s29
	v_lshrrev_b32_e32 v2, s48, v2
	s_delay_alu instid0(VALU_DEP_1) | instskip(NEXT) | instid1(VALU_DEP_1)
	v_and_b32_e32 v2, s55, v2
	v_lshlrev_b32_e32 v2, 2, v2
	ds_load_b32 v2, v2
	s_waitcnt lgkmcnt(0)
	v_add_nc_u32_e32 v2, v2, v59
	s_delay_alu instid0(VALU_DEP_1) | instskip(SKIP_1) | instid1(VALU_DEP_2)
	v_lshlrev_b64 v[36:37], 1, v[2:3]
	v_xor_b32_e32 v2, v149, v146
	v_add_co_u32 v36, s29, s38, v36
	s_delay_alu instid0(VALU_DEP_1) | instskip(SKIP_3) | instid1(VALU_DEP_1)
	v_add_co_ci_u32_e64 v37, s29, s39, v37, s29
	global_store_b16 v[36:37], v2, off
	s_or_b32 exec_lo, exec_lo, s30
	v_cmp_lt_u32_e64 s29, v60, v145
	s_and_saveexec_b32 s31, s29
	s_cbranch_execnz .LBB1747_205
.LBB1747_190:                           ;   in Loop: Header=BB1747_98 Depth=2
	s_or_b32 exec_lo, exec_lo, s31
	v_cmp_lt_u32_e64 s30, v61, v145
	s_delay_alu instid0(VALU_DEP_1)
	s_and_saveexec_b32 s33, s30
	s_cbranch_execz .LBB1747_206
.LBB1747_191:                           ;   in Loop: Header=BB1747_98 Depth=2
	ds_load_u16 v146, v79 offset:7168
	s_waitcnt lgkmcnt(0)
	v_cmp_ne_u16_e64 s31, 0x8000, v146
	s_delay_alu instid0(VALU_DEP_1) | instskip(SKIP_1) | instid1(VALU_DEP_2)
	v_cndmask_b32_e64 v2, 0x7fff, v146, s31
	v_cmp_gt_i16_e64 s31, 0, v146
	v_and_b32_e32 v2, 0xffff, v2
	s_delay_alu instid0(VALU_DEP_2) | instskip(NEXT) | instid1(VALU_DEP_2)
	v_cndmask_b32_e64 v149, 0x7fff, 0, s31
	v_lshrrev_b32_e32 v2, s48, v2
	s_delay_alu instid0(VALU_DEP_1) | instskip(NEXT) | instid1(VALU_DEP_1)
	v_and_b32_e32 v2, s55, v2
	v_lshlrev_b32_e32 v2, 2, v2
	ds_load_b32 v2, v2
	s_waitcnt lgkmcnt(0)
	v_add_nc_u32_e32 v2, v2, v61
	s_delay_alu instid0(VALU_DEP_1) | instskip(SKIP_1) | instid1(VALU_DEP_2)
	v_lshlrev_b64 v[36:37], 1, v[2:3]
	v_xor_b32_e32 v2, v149, v146
	v_add_co_u32 v36, s31, s38, v36
	s_delay_alu instid0(VALU_DEP_1) | instskip(SKIP_3) | instid1(VALU_DEP_1)
	v_add_co_ci_u32_e64 v37, s31, s39, v37, s31
	global_store_b16 v[36:37], v2, off
	s_or_b32 exec_lo, exec_lo, s33
	v_cmp_lt_u32_e64 s31, v63, v145
	s_and_saveexec_b32 s58, s31
	s_cbranch_execnz .LBB1747_207
	s_branch .LBB1747_208
.LBB1747_192:                           ;   in Loop: Header=BB1747_98 Depth=2
	s_or_b32 exec_lo, exec_lo, s17
	v_cmp_lt_u32_e64 s16, v45, v145
	s_delay_alu instid0(VALU_DEP_1)
	s_and_saveexec_b32 s18, s16
	s_cbranch_execz .LBB1747_178
.LBB1747_193:                           ;   in Loop: Header=BB1747_98 Depth=2
	ds_load_u16 v146, v79 offset:512
	s_waitcnt lgkmcnt(0)
	v_cmp_ne_u16_e64 s17, 0x8000, v146
	s_delay_alu instid0(VALU_DEP_1) | instskip(SKIP_1) | instid1(VALU_DEP_2)
	v_cndmask_b32_e64 v2, 0x7fff, v146, s17
	v_cmp_gt_i16_e64 s17, 0, v146
	v_and_b32_e32 v2, 0xffff, v2
	s_delay_alu instid0(VALU_DEP_2) | instskip(NEXT) | instid1(VALU_DEP_2)
	v_cndmask_b32_e64 v149, 0x7fff, 0, s17
	v_lshrrev_b32_e32 v2, s48, v2
	s_delay_alu instid0(VALU_DEP_1) | instskip(NEXT) | instid1(VALU_DEP_1)
	v_and_b32_e32 v2, s55, v2
	v_lshlrev_b32_e32 v2, 2, v2
	ds_load_b32 v2, v2
	s_waitcnt lgkmcnt(0)
	v_add_nc_u32_e32 v2, v2, v45
	s_delay_alu instid0(VALU_DEP_1) | instskip(SKIP_1) | instid1(VALU_DEP_2)
	v_lshlrev_b64 v[36:37], 1, v[2:3]
	v_xor_b32_e32 v2, v149, v146
	v_add_co_u32 v36, s17, s38, v36
	s_delay_alu instid0(VALU_DEP_1) | instskip(SKIP_3) | instid1(VALU_DEP_1)
	v_add_co_ci_u32_e64 v37, s17, s39, v37, s17
	global_store_b16 v[36:37], v2, off
	s_or_b32 exec_lo, exec_lo, s18
	v_cmp_lt_u32_e64 s17, v46, v145
	s_and_saveexec_b32 s19, s17
	s_cbranch_execnz .LBB1747_179
.LBB1747_194:                           ;   in Loop: Header=BB1747_98 Depth=2
	s_or_b32 exec_lo, exec_lo, s19
	v_cmp_lt_u32_e64 s18, v47, v145
	s_delay_alu instid0(VALU_DEP_1)
	s_and_saveexec_b32 s20, s18
	s_cbranch_execz .LBB1747_180
.LBB1747_195:                           ;   in Loop: Header=BB1747_98 Depth=2
	ds_load_u16 v146, v79 offset:1536
	s_waitcnt lgkmcnt(0)
	v_cmp_ne_u16_e64 s19, 0x8000, v146
	s_delay_alu instid0(VALU_DEP_1) | instskip(SKIP_1) | instid1(VALU_DEP_2)
	v_cndmask_b32_e64 v2, 0x7fff, v146, s19
	v_cmp_gt_i16_e64 s19, 0, v146
	v_and_b32_e32 v2, 0xffff, v2
	s_delay_alu instid0(VALU_DEP_2) | instskip(NEXT) | instid1(VALU_DEP_2)
	v_cndmask_b32_e64 v149, 0x7fff, 0, s19
	v_lshrrev_b32_e32 v2, s48, v2
	s_delay_alu instid0(VALU_DEP_1) | instskip(NEXT) | instid1(VALU_DEP_1)
	v_and_b32_e32 v2, s55, v2
	v_lshlrev_b32_e32 v2, 2, v2
	ds_load_b32 v2, v2
	s_waitcnt lgkmcnt(0)
	v_add_nc_u32_e32 v2, v2, v47
	s_delay_alu instid0(VALU_DEP_1) | instskip(SKIP_1) | instid1(VALU_DEP_2)
	v_lshlrev_b64 v[36:37], 1, v[2:3]
	v_xor_b32_e32 v2, v149, v146
	v_add_co_u32 v36, s19, s38, v36
	s_delay_alu instid0(VALU_DEP_1) | instskip(SKIP_3) | instid1(VALU_DEP_1)
	v_add_co_ci_u32_e64 v37, s19, s39, v37, s19
	global_store_b16 v[36:37], v2, off
	s_or_b32 exec_lo, exec_lo, s20
	v_cmp_lt_u32_e64 s19, v51, v145
	s_and_saveexec_b32 s21, s19
	s_cbranch_execnz .LBB1747_181
.LBB1747_196:                           ;   in Loop: Header=BB1747_98 Depth=2
	s_or_b32 exec_lo, exec_lo, s21
	v_cmp_lt_u32_e64 s20, v52, v145
	s_delay_alu instid0(VALU_DEP_1)
	s_and_saveexec_b32 s22, s20
	s_cbranch_execz .LBB1747_182
.LBB1747_197:                           ;   in Loop: Header=BB1747_98 Depth=2
	ds_load_u16 v146, v79 offset:2560
	s_waitcnt lgkmcnt(0)
	v_cmp_ne_u16_e64 s21, 0x8000, v146
	s_delay_alu instid0(VALU_DEP_1) | instskip(SKIP_1) | instid1(VALU_DEP_2)
	v_cndmask_b32_e64 v2, 0x7fff, v146, s21
	v_cmp_gt_i16_e64 s21, 0, v146
	v_and_b32_e32 v2, 0xffff, v2
	s_delay_alu instid0(VALU_DEP_2) | instskip(NEXT) | instid1(VALU_DEP_2)
	v_cndmask_b32_e64 v149, 0x7fff, 0, s21
	v_lshrrev_b32_e32 v2, s48, v2
	s_delay_alu instid0(VALU_DEP_1) | instskip(NEXT) | instid1(VALU_DEP_1)
	v_and_b32_e32 v2, s55, v2
	v_lshlrev_b32_e32 v2, 2, v2
	ds_load_b32 v2, v2
	s_waitcnt lgkmcnt(0)
	v_add_nc_u32_e32 v2, v2, v52
	s_delay_alu instid0(VALU_DEP_1) | instskip(SKIP_1) | instid1(VALU_DEP_2)
	v_lshlrev_b64 v[36:37], 1, v[2:3]
	v_xor_b32_e32 v2, v149, v146
	v_add_co_u32 v36, s21, s38, v36
	s_delay_alu instid0(VALU_DEP_1) | instskip(SKIP_3) | instid1(VALU_DEP_1)
	v_add_co_ci_u32_e64 v37, s21, s39, v37, s21
	global_store_b16 v[36:37], v2, off
	s_or_b32 exec_lo, exec_lo, s22
	v_cmp_lt_u32_e64 s21, v53, v145
	s_and_saveexec_b32 s23, s21
	s_cbranch_execnz .LBB1747_183
.LBB1747_198:                           ;   in Loop: Header=BB1747_98 Depth=2
	s_or_b32 exec_lo, exec_lo, s23
	v_cmp_lt_u32_e64 s22, v54, v145
	s_delay_alu instid0(VALU_DEP_1)
	s_and_saveexec_b32 s24, s22
	s_cbranch_execz .LBB1747_184
.LBB1747_199:                           ;   in Loop: Header=BB1747_98 Depth=2
	ds_load_u16 v146, v79 offset:3584
	s_waitcnt lgkmcnt(0)
	v_cmp_ne_u16_e64 s23, 0x8000, v146
	s_delay_alu instid0(VALU_DEP_1) | instskip(SKIP_1) | instid1(VALU_DEP_2)
	v_cndmask_b32_e64 v2, 0x7fff, v146, s23
	v_cmp_gt_i16_e64 s23, 0, v146
	v_and_b32_e32 v2, 0xffff, v2
	s_delay_alu instid0(VALU_DEP_2) | instskip(NEXT) | instid1(VALU_DEP_2)
	v_cndmask_b32_e64 v149, 0x7fff, 0, s23
	v_lshrrev_b32_e32 v2, s48, v2
	s_delay_alu instid0(VALU_DEP_1) | instskip(NEXT) | instid1(VALU_DEP_1)
	v_and_b32_e32 v2, s55, v2
	v_lshlrev_b32_e32 v2, 2, v2
	ds_load_b32 v2, v2
	s_waitcnt lgkmcnt(0)
	v_add_nc_u32_e32 v2, v2, v54
	s_delay_alu instid0(VALU_DEP_1) | instskip(SKIP_1) | instid1(VALU_DEP_2)
	v_lshlrev_b64 v[36:37], 1, v[2:3]
	v_xor_b32_e32 v2, v149, v146
	v_add_co_u32 v36, s23, s38, v36
	s_delay_alu instid0(VALU_DEP_1) | instskip(SKIP_3) | instid1(VALU_DEP_1)
	v_add_co_ci_u32_e64 v37, s23, s39, v37, s23
	global_store_b16 v[36:37], v2, off
	s_or_b32 exec_lo, exec_lo, s24
	v_cmp_lt_u32_e64 s23, v55, v145
	s_and_saveexec_b32 s25, s23
	s_cbranch_execnz .LBB1747_185
.LBB1747_200:                           ;   in Loop: Header=BB1747_98 Depth=2
	s_or_b32 exec_lo, exec_lo, s25
	v_cmp_lt_u32_e64 s24, v56, v145
	s_delay_alu instid0(VALU_DEP_1)
	s_and_saveexec_b32 s27, s24
	s_cbranch_execz .LBB1747_186
.LBB1747_201:                           ;   in Loop: Header=BB1747_98 Depth=2
	ds_load_u16 v146, v79 offset:4608
	s_waitcnt lgkmcnt(0)
	v_cmp_ne_u16_e64 s25, 0x8000, v146
	s_delay_alu instid0(VALU_DEP_1) | instskip(SKIP_1) | instid1(VALU_DEP_2)
	v_cndmask_b32_e64 v2, 0x7fff, v146, s25
	v_cmp_gt_i16_e64 s25, 0, v146
	v_and_b32_e32 v2, 0xffff, v2
	s_delay_alu instid0(VALU_DEP_2) | instskip(NEXT) | instid1(VALU_DEP_2)
	v_cndmask_b32_e64 v149, 0x7fff, 0, s25
	v_lshrrev_b32_e32 v2, s48, v2
	s_delay_alu instid0(VALU_DEP_1) | instskip(NEXT) | instid1(VALU_DEP_1)
	v_and_b32_e32 v2, s55, v2
	v_lshlrev_b32_e32 v2, 2, v2
	ds_load_b32 v2, v2
	s_waitcnt lgkmcnt(0)
	v_add_nc_u32_e32 v2, v2, v56
	s_delay_alu instid0(VALU_DEP_1) | instskip(SKIP_1) | instid1(VALU_DEP_2)
	v_lshlrev_b64 v[36:37], 1, v[2:3]
	v_xor_b32_e32 v2, v149, v146
	v_add_co_u32 v36, s25, s38, v36
	s_delay_alu instid0(VALU_DEP_1) | instskip(SKIP_3) | instid1(VALU_DEP_1)
	v_add_co_ci_u32_e64 v37, s25, s39, v37, s25
	global_store_b16 v[36:37], v2, off
	s_or_b32 exec_lo, exec_lo, s27
	v_cmp_lt_u32_e64 s25, v57, v145
	s_and_saveexec_b32 s28, s25
	s_cbranch_execnz .LBB1747_187
.LBB1747_202:                           ;   in Loop: Header=BB1747_98 Depth=2
	s_or_b32 exec_lo, exec_lo, s28
	v_cmp_lt_u32_e64 s27, v58, v145
	s_delay_alu instid0(VALU_DEP_1)
	s_and_saveexec_b32 s29, s27
	s_cbranch_execz .LBB1747_188
.LBB1747_203:                           ;   in Loop: Header=BB1747_98 Depth=2
	ds_load_u16 v146, v79 offset:5632
	s_waitcnt lgkmcnt(0)
	v_cmp_ne_u16_e64 s28, 0x8000, v146
	s_delay_alu instid0(VALU_DEP_1) | instskip(SKIP_1) | instid1(VALU_DEP_2)
	v_cndmask_b32_e64 v2, 0x7fff, v146, s28
	v_cmp_gt_i16_e64 s28, 0, v146
	v_and_b32_e32 v2, 0xffff, v2
	s_delay_alu instid0(VALU_DEP_2) | instskip(NEXT) | instid1(VALU_DEP_2)
	v_cndmask_b32_e64 v149, 0x7fff, 0, s28
	v_lshrrev_b32_e32 v2, s48, v2
	s_delay_alu instid0(VALU_DEP_1) | instskip(NEXT) | instid1(VALU_DEP_1)
	v_and_b32_e32 v2, s55, v2
	v_lshlrev_b32_e32 v2, 2, v2
	ds_load_b32 v2, v2
	s_waitcnt lgkmcnt(0)
	v_add_nc_u32_e32 v2, v2, v58
	s_delay_alu instid0(VALU_DEP_1) | instskip(SKIP_1) | instid1(VALU_DEP_2)
	v_lshlrev_b64 v[36:37], 1, v[2:3]
	v_xor_b32_e32 v2, v149, v146
	v_add_co_u32 v36, s28, s38, v36
	s_delay_alu instid0(VALU_DEP_1) | instskip(SKIP_3) | instid1(VALU_DEP_1)
	v_add_co_ci_u32_e64 v37, s28, s39, v37, s28
	global_store_b16 v[36:37], v2, off
	s_or_b32 exec_lo, exec_lo, s29
	v_cmp_lt_u32_e64 s28, v59, v145
	s_and_saveexec_b32 s30, s28
	s_cbranch_execnz .LBB1747_189
.LBB1747_204:                           ;   in Loop: Header=BB1747_98 Depth=2
	s_or_b32 exec_lo, exec_lo, s30
	v_cmp_lt_u32_e64 s29, v60, v145
	s_delay_alu instid0(VALU_DEP_1)
	s_and_saveexec_b32 s31, s29
	s_cbranch_execz .LBB1747_190
.LBB1747_205:                           ;   in Loop: Header=BB1747_98 Depth=2
	ds_load_u16 v146, v79 offset:6656
	s_waitcnt lgkmcnt(0)
	v_cmp_ne_u16_e64 s30, 0x8000, v146
	s_delay_alu instid0(VALU_DEP_1) | instskip(SKIP_1) | instid1(VALU_DEP_2)
	v_cndmask_b32_e64 v2, 0x7fff, v146, s30
	v_cmp_gt_i16_e64 s30, 0, v146
	v_and_b32_e32 v2, 0xffff, v2
	s_delay_alu instid0(VALU_DEP_2) | instskip(NEXT) | instid1(VALU_DEP_2)
	v_cndmask_b32_e64 v149, 0x7fff, 0, s30
	v_lshrrev_b32_e32 v2, s48, v2
	s_delay_alu instid0(VALU_DEP_1) | instskip(NEXT) | instid1(VALU_DEP_1)
	v_and_b32_e32 v2, s55, v2
	v_lshlrev_b32_e32 v2, 2, v2
	ds_load_b32 v2, v2
	s_waitcnt lgkmcnt(0)
	v_add_nc_u32_e32 v2, v2, v60
	s_delay_alu instid0(VALU_DEP_1) | instskip(SKIP_1) | instid1(VALU_DEP_2)
	v_lshlrev_b64 v[36:37], 1, v[2:3]
	v_xor_b32_e32 v2, v149, v146
	v_add_co_u32 v36, s30, s38, v36
	s_delay_alu instid0(VALU_DEP_1) | instskip(SKIP_3) | instid1(VALU_DEP_1)
	v_add_co_ci_u32_e64 v37, s30, s39, v37, s30
	global_store_b16 v[36:37], v2, off
	s_or_b32 exec_lo, exec_lo, s31
	v_cmp_lt_u32_e64 s30, v61, v145
	s_and_saveexec_b32 s33, s30
	s_cbranch_execnz .LBB1747_191
.LBB1747_206:                           ;   in Loop: Header=BB1747_98 Depth=2
	s_or_b32 exec_lo, exec_lo, s33
	v_cmp_lt_u32_e64 s31, v63, v145
	s_delay_alu instid0(VALU_DEP_1)
	s_and_saveexec_b32 s58, s31
	s_cbranch_execz .LBB1747_208
.LBB1747_207:                           ;   in Loop: Header=BB1747_98 Depth=2
	ds_load_u16 v146, v79 offset:7680
	s_waitcnt lgkmcnt(0)
	v_cmp_ne_u16_e64 s33, 0x8000, v146
	s_delay_alu instid0(VALU_DEP_1) | instskip(SKIP_1) | instid1(VALU_DEP_2)
	v_cndmask_b32_e64 v2, 0x7fff, v146, s33
	v_cmp_gt_i16_e64 s33, 0, v146
	v_and_b32_e32 v2, 0xffff, v2
	s_delay_alu instid0(VALU_DEP_2) | instskip(NEXT) | instid1(VALU_DEP_2)
	v_cndmask_b32_e64 v149, 0x7fff, 0, s33
	v_lshrrev_b32_e32 v2, s48, v2
	s_delay_alu instid0(VALU_DEP_1) | instskip(NEXT) | instid1(VALU_DEP_1)
	v_and_b32_e32 v2, s55, v2
	v_lshlrev_b32_e32 v2, 2, v2
	ds_load_b32 v2, v2
	s_waitcnt lgkmcnt(0)
	v_add_nc_u32_e32 v2, v2, v63
	s_delay_alu instid0(VALU_DEP_1) | instskip(SKIP_1) | instid1(VALU_DEP_2)
	v_lshlrev_b64 v[36:37], 1, v[2:3]
	v_xor_b32_e32 v2, v149, v146
	v_add_co_u32 v36, s33, s38, v36
	s_delay_alu instid0(VALU_DEP_1)
	v_add_co_ci_u32_e64 v37, s33, s39, v37, s33
	global_store_b16 v[36:37], v2, off
.LBB1747_208:                           ;   in Loop: Header=BB1747_98 Depth=2
	s_or_b32 exec_lo, exec_lo, s58
	s_lshl_b64 s[58:59], s[34:35], 3
	s_delay_alu instid0(SALU_CYCLE_1) | instskip(NEXT) | instid1(VALU_DEP_1)
	v_add_co_u32 v36, s33, v107, s58
	v_add_co_ci_u32_e64 v37, s33, s59, v108, s33
	v_cmp_lt_u32_e64 s33, v106, v145
	s_delay_alu instid0(VALU_DEP_1) | instskip(NEXT) | instid1(SALU_CYCLE_1)
	s_and_saveexec_b32 s34, s33
	s_xor_b32 s33, exec_lo, s34
	s_cbranch_execz .LBB1747_240
; %bb.209:                              ;   in Loop: Header=BB1747_98 Depth=2
	global_load_b64 v[34:35], v[36:37], off
	s_or_b32 exec_lo, exec_lo, s33
	s_delay_alu instid0(SALU_CYCLE_1)
	s_mov_b32 s34, exec_lo
	v_cmpx_lt_u32_e64 v109, v145
	s_cbranch_execnz .LBB1747_241
.LBB1747_210:                           ;   in Loop: Header=BB1747_98 Depth=2
	s_or_b32 exec_lo, exec_lo, s34
	s_delay_alu instid0(SALU_CYCLE_1)
	s_mov_b32 s34, exec_lo
	v_cmpx_lt_u32_e64 v110, v145
	s_cbranch_execz .LBB1747_242
.LBB1747_211:                           ;   in Loop: Header=BB1747_98 Depth=2
	global_load_b64 v[30:31], v[36:37], off offset:512
	s_or_b32 exec_lo, exec_lo, s34
	s_delay_alu instid0(SALU_CYCLE_1)
	s_mov_b32 s34, exec_lo
	v_cmpx_lt_u32_e64 v111, v145
	s_cbranch_execnz .LBB1747_243
.LBB1747_212:                           ;   in Loop: Header=BB1747_98 Depth=2
	s_or_b32 exec_lo, exec_lo, s34
	s_delay_alu instid0(SALU_CYCLE_1)
	s_mov_b32 s34, exec_lo
	v_cmpx_lt_u32_e64 v112, v145
	s_cbranch_execz .LBB1747_244
.LBB1747_213:                           ;   in Loop: Header=BB1747_98 Depth=2
	global_load_b64 v[26:27], v[36:37], off offset:1024
	s_or_b32 exec_lo, exec_lo, s34
	s_delay_alu instid0(SALU_CYCLE_1)
	s_mov_b32 s34, exec_lo
	v_cmpx_lt_u32_e64 v113, v145
	s_cbranch_execnz .LBB1747_245
.LBB1747_214:                           ;   in Loop: Header=BB1747_98 Depth=2
	s_or_b32 exec_lo, exec_lo, s34
	s_delay_alu instid0(SALU_CYCLE_1)
	s_mov_b32 s34, exec_lo
	v_cmpx_lt_u32_e64 v114, v145
	s_cbranch_execz .LBB1747_246
.LBB1747_215:                           ;   in Loop: Header=BB1747_98 Depth=2
	global_load_b64 v[22:23], v[36:37], off offset:1536
	s_or_b32 exec_lo, exec_lo, s34
	s_delay_alu instid0(SALU_CYCLE_1)
	s_mov_b32 s34, exec_lo
	v_cmpx_lt_u32_e64 v115, v145
	s_cbranch_execnz .LBB1747_247
.LBB1747_216:                           ;   in Loop: Header=BB1747_98 Depth=2
	s_or_b32 exec_lo, exec_lo, s34
	s_delay_alu instid0(SALU_CYCLE_1)
	s_mov_b32 s34, exec_lo
	v_cmpx_lt_u32_e64 v116, v145
	s_cbranch_execz .LBB1747_248
.LBB1747_217:                           ;   in Loop: Header=BB1747_98 Depth=2
	global_load_b64 v[18:19], v[36:37], off offset:2048
	s_or_b32 exec_lo, exec_lo, s34
	s_delay_alu instid0(SALU_CYCLE_1)
	s_mov_b32 s34, exec_lo
	v_cmpx_lt_u32_e64 v117, v145
	s_cbranch_execnz .LBB1747_249
.LBB1747_218:                           ;   in Loop: Header=BB1747_98 Depth=2
	s_or_b32 exec_lo, exec_lo, s34
	s_delay_alu instid0(SALU_CYCLE_1)
	s_mov_b32 s34, exec_lo
	v_cmpx_lt_u32_e64 v118, v145
	s_cbranch_execz .LBB1747_250
.LBB1747_219:                           ;   in Loop: Header=BB1747_98 Depth=2
	global_load_b64 v[14:15], v[36:37], off offset:2560
	s_or_b32 exec_lo, exec_lo, s34
	s_delay_alu instid0(SALU_CYCLE_1)
	s_mov_b32 s34, exec_lo
	v_cmpx_lt_u32_e64 v119, v145
	s_cbranch_execnz .LBB1747_251
.LBB1747_220:                           ;   in Loop: Header=BB1747_98 Depth=2
	s_or_b32 exec_lo, exec_lo, s34
	s_delay_alu instid0(SALU_CYCLE_1)
	s_mov_b32 s34, exec_lo
	v_cmpx_lt_u32_e64 v120, v145
	s_cbranch_execz .LBB1747_252
.LBB1747_221:                           ;   in Loop: Header=BB1747_98 Depth=2
	global_load_b64 v[10:11], v[36:37], off offset:3072
	s_or_b32 exec_lo, exec_lo, s34
	s_delay_alu instid0(SALU_CYCLE_1)
	s_mov_b32 s34, exec_lo
	v_cmpx_lt_u32_e64 v121, v145
	s_cbranch_execnz .LBB1747_253
.LBB1747_222:                           ;   in Loop: Header=BB1747_98 Depth=2
	s_or_b32 exec_lo, exec_lo, s34
	s_delay_alu instid0(SALU_CYCLE_1)
	s_mov_b32 s34, exec_lo
	v_cmpx_lt_u32_e64 v122, v145
	s_cbranch_execz .LBB1747_254
.LBB1747_223:                           ;   in Loop: Header=BB1747_98 Depth=2
	global_load_b64 v[6:7], v[36:37], off offset:3584
	s_or_b32 exec_lo, exec_lo, s34
	s_delay_alu instid0(SALU_CYCLE_1)
	s_mov_b32 s34, exec_lo
	v_cmpx_lt_u32_e64 v123, v145
	s_cbranch_execnz .LBB1747_255
.LBB1747_224:                           ;   in Loop: Header=BB1747_98 Depth=2
	s_or_b32 exec_lo, exec_lo, s34
	s_and_saveexec_b32 s34, vcc_lo
	s_cbranch_execz .LBB1747_256
.LBB1747_225:                           ;   in Loop: Header=BB1747_98 Depth=2
	v_add_nc_u32_e32 v2, v72, v78
	ds_load_u16 v2, v2 offset:1024
	s_waitcnt lgkmcnt(0)
	v_cmp_ne_u16_e64 s33, 0x8000, v2
	s_delay_alu instid0(VALU_DEP_1) | instskip(NEXT) | instid1(VALU_DEP_1)
	v_cndmask_b32_e64 v2, 0x7fff, v2, s33
	v_and_b32_e32 v2, 0xffff, v2
	s_delay_alu instid0(VALU_DEP_1) | instskip(NEXT) | instid1(VALU_DEP_1)
	v_lshrrev_b32_e32 v2, s48, v2
	v_and_b32_e32 v144, s55, v2
	s_or_b32 exec_lo, exec_lo, s34
	s_and_saveexec_b32 s34, s16
	s_cbranch_execnz .LBB1747_257
.LBB1747_226:                           ;   in Loop: Header=BB1747_98 Depth=2
	s_or_b32 exec_lo, exec_lo, s34
	s_and_saveexec_b32 s34, s17
	s_cbranch_execz .LBB1747_258
.LBB1747_227:                           ;   in Loop: Header=BB1747_98 Depth=2
	ds_load_u16 v2, v79 offset:1024
	s_waitcnt lgkmcnt(0)
	v_cmp_ne_u16_e64 s33, 0x8000, v2
	s_delay_alu instid0(VALU_DEP_1) | instskip(NEXT) | instid1(VALU_DEP_1)
	v_cndmask_b32_e64 v2, 0x7fff, v2, s33
	v_and_b32_e32 v2, 0xffff, v2
	s_delay_alu instid0(VALU_DEP_1) | instskip(NEXT) | instid1(VALU_DEP_1)
	v_lshrrev_b32_e32 v2, s48, v2
	v_and_b32_e32 v142, s55, v2
	s_or_b32 exec_lo, exec_lo, s34
	s_and_saveexec_b32 s34, s18
	s_cbranch_execnz .LBB1747_259
.LBB1747_228:                           ;   in Loop: Header=BB1747_98 Depth=2
	s_or_b32 exec_lo, exec_lo, s34
	s_and_saveexec_b32 s34, s19
	s_cbranch_execz .LBB1747_260
.LBB1747_229:                           ;   in Loop: Header=BB1747_98 Depth=2
	ds_load_u16 v2, v79 offset:2048
	s_waitcnt lgkmcnt(0)
	v_cmp_ne_u16_e64 s33, 0x8000, v2
	s_delay_alu instid0(VALU_DEP_1) | instskip(NEXT) | instid1(VALU_DEP_1)
	v_cndmask_b32_e64 v2, 0x7fff, v2, s33
	v_and_b32_e32 v2, 0xffff, v2
	s_delay_alu instid0(VALU_DEP_1) | instskip(NEXT) | instid1(VALU_DEP_1)
	v_lshrrev_b32_e32 v2, s48, v2
	v_and_b32_e32 v140, s55, v2
	s_or_b32 exec_lo, exec_lo, s34
	s_and_saveexec_b32 s34, s20
	s_cbranch_execnz .LBB1747_261
.LBB1747_230:                           ;   in Loop: Header=BB1747_98 Depth=2
	s_or_b32 exec_lo, exec_lo, s34
	s_and_saveexec_b32 s34, s21
	s_cbranch_execz .LBB1747_262
.LBB1747_231:                           ;   in Loop: Header=BB1747_98 Depth=2
	ds_load_u16 v2, v79 offset:3072
	s_waitcnt lgkmcnt(0)
	v_cmp_ne_u16_e64 s33, 0x8000, v2
	s_delay_alu instid0(VALU_DEP_1) | instskip(NEXT) | instid1(VALU_DEP_1)
	v_cndmask_b32_e64 v2, 0x7fff, v2, s33
	v_and_b32_e32 v2, 0xffff, v2
	s_delay_alu instid0(VALU_DEP_1) | instskip(NEXT) | instid1(VALU_DEP_1)
	v_lshrrev_b32_e32 v2, s48, v2
	v_and_b32_e32 v138, s55, v2
	s_or_b32 exec_lo, exec_lo, s34
	s_and_saveexec_b32 s34, s22
	s_cbranch_execnz .LBB1747_263
.LBB1747_232:                           ;   in Loop: Header=BB1747_98 Depth=2
	s_or_b32 exec_lo, exec_lo, s34
	s_and_saveexec_b32 s34, s23
	s_cbranch_execz .LBB1747_264
.LBB1747_233:                           ;   in Loop: Header=BB1747_98 Depth=2
	ds_load_u16 v2, v79 offset:4096
	s_waitcnt lgkmcnt(0)
	v_cmp_ne_u16_e64 s33, 0x8000, v2
	s_delay_alu instid0(VALU_DEP_1) | instskip(NEXT) | instid1(VALU_DEP_1)
	v_cndmask_b32_e64 v2, 0x7fff, v2, s33
	v_and_b32_e32 v2, 0xffff, v2
	s_delay_alu instid0(VALU_DEP_1) | instskip(NEXT) | instid1(VALU_DEP_1)
	v_lshrrev_b32_e32 v2, s48, v2
	v_and_b32_e32 v136, s55, v2
	s_or_b32 exec_lo, exec_lo, s34
	s_and_saveexec_b32 s34, s24
	s_cbranch_execnz .LBB1747_265
.LBB1747_234:                           ;   in Loop: Header=BB1747_98 Depth=2
	s_or_b32 exec_lo, exec_lo, s34
	s_and_saveexec_b32 s34, s25
	s_cbranch_execz .LBB1747_266
.LBB1747_235:                           ;   in Loop: Header=BB1747_98 Depth=2
	ds_load_u16 v2, v79 offset:5120
	s_waitcnt lgkmcnt(0)
	v_cmp_ne_u16_e64 s33, 0x8000, v2
	s_delay_alu instid0(VALU_DEP_1) | instskip(NEXT) | instid1(VALU_DEP_1)
	v_cndmask_b32_e64 v2, 0x7fff, v2, s33
	v_and_b32_e32 v2, 0xffff, v2
	s_delay_alu instid0(VALU_DEP_1) | instskip(NEXT) | instid1(VALU_DEP_1)
	v_lshrrev_b32_e32 v2, s48, v2
	v_and_b32_e32 v134, s55, v2
	s_or_b32 exec_lo, exec_lo, s34
	s_and_saveexec_b32 s34, s27
	s_cbranch_execnz .LBB1747_267
.LBB1747_236:                           ;   in Loop: Header=BB1747_98 Depth=2
	s_or_b32 exec_lo, exec_lo, s34
	s_and_saveexec_b32 s34, s28
	s_cbranch_execz .LBB1747_268
.LBB1747_237:                           ;   in Loop: Header=BB1747_98 Depth=2
	ds_load_u16 v2, v79 offset:6144
	s_waitcnt lgkmcnt(0)
	v_cmp_ne_u16_e64 s33, 0x8000, v2
	s_delay_alu instid0(VALU_DEP_1) | instskip(NEXT) | instid1(VALU_DEP_1)
	v_cndmask_b32_e64 v2, 0x7fff, v2, s33
	v_and_b32_e32 v2, 0xffff, v2
	s_delay_alu instid0(VALU_DEP_1) | instskip(NEXT) | instid1(VALU_DEP_1)
	v_lshrrev_b32_e32 v2, s48, v2
	v_and_b32_e32 v132, s55, v2
	s_or_b32 exec_lo, exec_lo, s34
	s_and_saveexec_b32 s34, s29
	s_cbranch_execnz .LBB1747_269
.LBB1747_238:                           ;   in Loop: Header=BB1747_98 Depth=2
	s_or_b32 exec_lo, exec_lo, s34
	s_and_saveexec_b32 s34, s30
	s_cbranch_execz .LBB1747_270
.LBB1747_239:                           ;   in Loop: Header=BB1747_98 Depth=2
	ds_load_u16 v2, v79 offset:7168
	s_waitcnt lgkmcnt(0)
	v_cmp_ne_u16_e64 s33, 0x8000, v2
	s_delay_alu instid0(VALU_DEP_1) | instskip(NEXT) | instid1(VALU_DEP_1)
	v_cndmask_b32_e64 v2, 0x7fff, v2, s33
	v_and_b32_e32 v2, 0xffff, v2
	s_delay_alu instid0(VALU_DEP_1) | instskip(NEXT) | instid1(VALU_DEP_1)
	v_lshrrev_b32_e32 v2, s48, v2
	v_and_b32_e32 v130, s55, v2
	s_or_b32 exec_lo, exec_lo, s34
	s_and_saveexec_b32 s34, s31
	s_cbranch_execnz .LBB1747_271
	s_branch .LBB1747_272
.LBB1747_240:                           ;   in Loop: Header=BB1747_98 Depth=2
	s_or_b32 exec_lo, exec_lo, s33
	s_delay_alu instid0(SALU_CYCLE_1)
	s_mov_b32 s34, exec_lo
	v_cmpx_lt_u32_e64 v109, v145
	s_cbranch_execz .LBB1747_210
.LBB1747_241:                           ;   in Loop: Header=BB1747_98 Depth=2
	global_load_b64 v[32:33], v[36:37], off offset:256
	s_or_b32 exec_lo, exec_lo, s34
	s_delay_alu instid0(SALU_CYCLE_1)
	s_mov_b32 s34, exec_lo
	v_cmpx_lt_u32_e64 v110, v145
	s_cbranch_execnz .LBB1747_211
.LBB1747_242:                           ;   in Loop: Header=BB1747_98 Depth=2
	s_or_b32 exec_lo, exec_lo, s34
	s_delay_alu instid0(SALU_CYCLE_1)
	s_mov_b32 s34, exec_lo
	v_cmpx_lt_u32_e64 v111, v145
	s_cbranch_execz .LBB1747_212
.LBB1747_243:                           ;   in Loop: Header=BB1747_98 Depth=2
	global_load_b64 v[28:29], v[36:37], off offset:768
	s_or_b32 exec_lo, exec_lo, s34
	s_delay_alu instid0(SALU_CYCLE_1)
	s_mov_b32 s34, exec_lo
	v_cmpx_lt_u32_e64 v112, v145
	s_cbranch_execnz .LBB1747_213
.LBB1747_244:                           ;   in Loop: Header=BB1747_98 Depth=2
	s_or_b32 exec_lo, exec_lo, s34
	s_delay_alu instid0(SALU_CYCLE_1)
	s_mov_b32 s34, exec_lo
	v_cmpx_lt_u32_e64 v113, v145
	s_cbranch_execz .LBB1747_214
.LBB1747_245:                           ;   in Loop: Header=BB1747_98 Depth=2
	global_load_b64 v[24:25], v[36:37], off offset:1280
	s_or_b32 exec_lo, exec_lo, s34
	s_delay_alu instid0(SALU_CYCLE_1)
	s_mov_b32 s34, exec_lo
	v_cmpx_lt_u32_e64 v114, v145
	s_cbranch_execnz .LBB1747_215
.LBB1747_246:                           ;   in Loop: Header=BB1747_98 Depth=2
	s_or_b32 exec_lo, exec_lo, s34
	s_delay_alu instid0(SALU_CYCLE_1)
	s_mov_b32 s34, exec_lo
	v_cmpx_lt_u32_e64 v115, v145
	s_cbranch_execz .LBB1747_216
.LBB1747_247:                           ;   in Loop: Header=BB1747_98 Depth=2
	global_load_b64 v[20:21], v[36:37], off offset:1792
	s_or_b32 exec_lo, exec_lo, s34
	s_delay_alu instid0(SALU_CYCLE_1)
	s_mov_b32 s34, exec_lo
	v_cmpx_lt_u32_e64 v116, v145
	s_cbranch_execnz .LBB1747_217
.LBB1747_248:                           ;   in Loop: Header=BB1747_98 Depth=2
	s_or_b32 exec_lo, exec_lo, s34
	s_delay_alu instid0(SALU_CYCLE_1)
	s_mov_b32 s34, exec_lo
	v_cmpx_lt_u32_e64 v117, v145
	s_cbranch_execz .LBB1747_218
.LBB1747_249:                           ;   in Loop: Header=BB1747_98 Depth=2
	global_load_b64 v[16:17], v[36:37], off offset:2304
	s_or_b32 exec_lo, exec_lo, s34
	s_delay_alu instid0(SALU_CYCLE_1)
	s_mov_b32 s34, exec_lo
	v_cmpx_lt_u32_e64 v118, v145
	s_cbranch_execnz .LBB1747_219
.LBB1747_250:                           ;   in Loop: Header=BB1747_98 Depth=2
	s_or_b32 exec_lo, exec_lo, s34
	s_delay_alu instid0(SALU_CYCLE_1)
	s_mov_b32 s34, exec_lo
	v_cmpx_lt_u32_e64 v119, v145
	s_cbranch_execz .LBB1747_220
.LBB1747_251:                           ;   in Loop: Header=BB1747_98 Depth=2
	global_load_b64 v[12:13], v[36:37], off offset:2816
	s_or_b32 exec_lo, exec_lo, s34
	s_delay_alu instid0(SALU_CYCLE_1)
	s_mov_b32 s34, exec_lo
	v_cmpx_lt_u32_e64 v120, v145
	s_cbranch_execnz .LBB1747_221
.LBB1747_252:                           ;   in Loop: Header=BB1747_98 Depth=2
	s_or_b32 exec_lo, exec_lo, s34
	s_delay_alu instid0(SALU_CYCLE_1)
	s_mov_b32 s34, exec_lo
	v_cmpx_lt_u32_e64 v121, v145
	s_cbranch_execz .LBB1747_222
.LBB1747_253:                           ;   in Loop: Header=BB1747_98 Depth=2
	global_load_b64 v[8:9], v[36:37], off offset:3328
	s_or_b32 exec_lo, exec_lo, s34
	s_delay_alu instid0(SALU_CYCLE_1)
	s_mov_b32 s34, exec_lo
	v_cmpx_lt_u32_e64 v122, v145
	s_cbranch_execnz .LBB1747_223
.LBB1747_254:                           ;   in Loop: Header=BB1747_98 Depth=2
	s_or_b32 exec_lo, exec_lo, s34
	s_delay_alu instid0(SALU_CYCLE_1)
	s_mov_b32 s34, exec_lo
	v_cmpx_lt_u32_e64 v123, v145
	s_cbranch_execz .LBB1747_224
.LBB1747_255:                           ;   in Loop: Header=BB1747_98 Depth=2
	global_load_b64 v[4:5], v[36:37], off offset:3840
	s_or_b32 exec_lo, exec_lo, s34
	s_and_saveexec_b32 s34, vcc_lo
	s_cbranch_execnz .LBB1747_225
.LBB1747_256:                           ;   in Loop: Header=BB1747_98 Depth=2
	s_or_b32 exec_lo, exec_lo, s34
	s_and_saveexec_b32 s34, s16
	s_cbranch_execz .LBB1747_226
.LBB1747_257:                           ;   in Loop: Header=BB1747_98 Depth=2
	ds_load_u16 v2, v79 offset:512
	s_waitcnt lgkmcnt(0)
	v_cmp_ne_u16_e64 s33, 0x8000, v2
	s_delay_alu instid0(VALU_DEP_1) | instskip(NEXT) | instid1(VALU_DEP_1)
	v_cndmask_b32_e64 v2, 0x7fff, v2, s33
	v_and_b32_e32 v2, 0xffff, v2
	s_delay_alu instid0(VALU_DEP_1) | instskip(NEXT) | instid1(VALU_DEP_1)
	v_lshrrev_b32_e32 v2, s48, v2
	v_and_b32_e32 v143, s55, v2
	s_or_b32 exec_lo, exec_lo, s34
	s_and_saveexec_b32 s34, s17
	s_cbranch_execnz .LBB1747_227
.LBB1747_258:                           ;   in Loop: Header=BB1747_98 Depth=2
	s_or_b32 exec_lo, exec_lo, s34
	s_and_saveexec_b32 s34, s18
	s_cbranch_execz .LBB1747_228
.LBB1747_259:                           ;   in Loop: Header=BB1747_98 Depth=2
	ds_load_u16 v2, v79 offset:1536
	s_waitcnt lgkmcnt(0)
	v_cmp_ne_u16_e64 s33, 0x8000, v2
	s_delay_alu instid0(VALU_DEP_1) | instskip(NEXT) | instid1(VALU_DEP_1)
	v_cndmask_b32_e64 v2, 0x7fff, v2, s33
	v_and_b32_e32 v2, 0xffff, v2
	s_delay_alu instid0(VALU_DEP_1) | instskip(NEXT) | instid1(VALU_DEP_1)
	v_lshrrev_b32_e32 v2, s48, v2
	v_and_b32_e32 v141, s55, v2
	s_or_b32 exec_lo, exec_lo, s34
	s_and_saveexec_b32 s34, s19
	s_cbranch_execnz .LBB1747_229
.LBB1747_260:                           ;   in Loop: Header=BB1747_98 Depth=2
	s_or_b32 exec_lo, exec_lo, s34
	s_and_saveexec_b32 s34, s20
	s_cbranch_execz .LBB1747_230
.LBB1747_261:                           ;   in Loop: Header=BB1747_98 Depth=2
	ds_load_u16 v2, v79 offset:2560
	s_waitcnt lgkmcnt(0)
	v_cmp_ne_u16_e64 s33, 0x8000, v2
	s_delay_alu instid0(VALU_DEP_1) | instskip(NEXT) | instid1(VALU_DEP_1)
	v_cndmask_b32_e64 v2, 0x7fff, v2, s33
	v_and_b32_e32 v2, 0xffff, v2
	s_delay_alu instid0(VALU_DEP_1) | instskip(NEXT) | instid1(VALU_DEP_1)
	v_lshrrev_b32_e32 v2, s48, v2
	v_and_b32_e32 v139, s55, v2
	s_or_b32 exec_lo, exec_lo, s34
	s_and_saveexec_b32 s34, s21
	s_cbranch_execnz .LBB1747_231
.LBB1747_262:                           ;   in Loop: Header=BB1747_98 Depth=2
	s_or_b32 exec_lo, exec_lo, s34
	s_and_saveexec_b32 s34, s22
	s_cbranch_execz .LBB1747_232
.LBB1747_263:                           ;   in Loop: Header=BB1747_98 Depth=2
	ds_load_u16 v2, v79 offset:3584
	s_waitcnt lgkmcnt(0)
	v_cmp_ne_u16_e64 s33, 0x8000, v2
	s_delay_alu instid0(VALU_DEP_1) | instskip(NEXT) | instid1(VALU_DEP_1)
	v_cndmask_b32_e64 v2, 0x7fff, v2, s33
	v_and_b32_e32 v2, 0xffff, v2
	s_delay_alu instid0(VALU_DEP_1) | instskip(NEXT) | instid1(VALU_DEP_1)
	v_lshrrev_b32_e32 v2, s48, v2
	v_and_b32_e32 v137, s55, v2
	s_or_b32 exec_lo, exec_lo, s34
	s_and_saveexec_b32 s34, s23
	s_cbranch_execnz .LBB1747_233
.LBB1747_264:                           ;   in Loop: Header=BB1747_98 Depth=2
	s_or_b32 exec_lo, exec_lo, s34
	s_and_saveexec_b32 s34, s24
	s_cbranch_execz .LBB1747_234
.LBB1747_265:                           ;   in Loop: Header=BB1747_98 Depth=2
	ds_load_u16 v2, v79 offset:4608
	s_waitcnt lgkmcnt(0)
	v_cmp_ne_u16_e64 s33, 0x8000, v2
	s_delay_alu instid0(VALU_DEP_1) | instskip(NEXT) | instid1(VALU_DEP_1)
	v_cndmask_b32_e64 v2, 0x7fff, v2, s33
	v_and_b32_e32 v2, 0xffff, v2
	s_delay_alu instid0(VALU_DEP_1) | instskip(NEXT) | instid1(VALU_DEP_1)
	v_lshrrev_b32_e32 v2, s48, v2
	v_and_b32_e32 v135, s55, v2
	s_or_b32 exec_lo, exec_lo, s34
	s_and_saveexec_b32 s34, s25
	s_cbranch_execnz .LBB1747_235
.LBB1747_266:                           ;   in Loop: Header=BB1747_98 Depth=2
	s_or_b32 exec_lo, exec_lo, s34
	s_and_saveexec_b32 s34, s27
	s_cbranch_execz .LBB1747_236
.LBB1747_267:                           ;   in Loop: Header=BB1747_98 Depth=2
	ds_load_u16 v2, v79 offset:5632
	s_waitcnt lgkmcnt(0)
	v_cmp_ne_u16_e64 s33, 0x8000, v2
	s_delay_alu instid0(VALU_DEP_1) | instskip(NEXT) | instid1(VALU_DEP_1)
	v_cndmask_b32_e64 v2, 0x7fff, v2, s33
	v_and_b32_e32 v2, 0xffff, v2
	s_delay_alu instid0(VALU_DEP_1) | instskip(NEXT) | instid1(VALU_DEP_1)
	v_lshrrev_b32_e32 v2, s48, v2
	v_and_b32_e32 v133, s55, v2
	s_or_b32 exec_lo, exec_lo, s34
	s_and_saveexec_b32 s34, s28
	s_cbranch_execnz .LBB1747_237
.LBB1747_268:                           ;   in Loop: Header=BB1747_98 Depth=2
	s_or_b32 exec_lo, exec_lo, s34
	s_and_saveexec_b32 s34, s29
	s_cbranch_execz .LBB1747_238
.LBB1747_269:                           ;   in Loop: Header=BB1747_98 Depth=2
	ds_load_u16 v2, v79 offset:6656
	s_waitcnt lgkmcnt(0)
	v_cmp_ne_u16_e64 s33, 0x8000, v2
	s_delay_alu instid0(VALU_DEP_1) | instskip(NEXT) | instid1(VALU_DEP_1)
	v_cndmask_b32_e64 v2, 0x7fff, v2, s33
	v_and_b32_e32 v2, 0xffff, v2
	s_delay_alu instid0(VALU_DEP_1) | instskip(NEXT) | instid1(VALU_DEP_1)
	v_lshrrev_b32_e32 v2, s48, v2
	v_and_b32_e32 v131, s55, v2
	s_or_b32 exec_lo, exec_lo, s34
	s_and_saveexec_b32 s34, s30
	s_cbranch_execnz .LBB1747_239
.LBB1747_270:                           ;   in Loop: Header=BB1747_98 Depth=2
	s_or_b32 exec_lo, exec_lo, s34
	s_and_saveexec_b32 s34, s31
	s_cbranch_execz .LBB1747_272
.LBB1747_271:                           ;   in Loop: Header=BB1747_98 Depth=2
	ds_load_u16 v2, v79 offset:7680
	s_waitcnt lgkmcnt(0)
	v_cmp_ne_u16_e64 s33, 0x8000, v2
	s_delay_alu instid0(VALU_DEP_1) | instskip(NEXT) | instid1(VALU_DEP_1)
	v_cndmask_b32_e64 v2, 0x7fff, v2, s33
	v_and_b32_e32 v2, 0xffff, v2
	s_delay_alu instid0(VALU_DEP_1) | instskip(NEXT) | instid1(VALU_DEP_1)
	v_lshrrev_b32_e32 v2, s48, v2
	v_and_b32_e32 v129, s55, v2
.LBB1747_272:                           ;   in Loop: Header=BB1747_98 Depth=2
	s_or_b32 exec_lo, exec_lo, s34
	v_lshlrev_b32_e32 v2, 3, v168
	v_lshlrev_b32_e32 v36, 3, v164
	s_waitcnt vmcnt(0)
	s_waitcnt_vscnt null, 0x0
	s_barrier
	buffer_gl0_inv
	ds_store_b64 v2, v[34:35] offset:1024
	v_lshlrev_b32_e32 v2, 3, v160
	v_lshlrev_b32_e32 v37, 3, v156
	;; [unrolled: 1-line block ×4, first 2 shown]
	ds_store_b64 v36, v[32:33] offset:1024
	ds_store_b64 v2, v[30:31] offset:1024
	;; [unrolled: 1-line block ×5, first 2 shown]
	v_lshlrev_b32_e32 v2, 3, v152
	v_lshlrev_b32_e32 v36, 3, v151
	;; [unrolled: 1-line block ×5, first 2 shown]
	ds_store_b64 v2, v[22:23] offset:1024
	ds_store_b64 v36, v[20:21] offset:1024
	ds_store_b64 v37, v[18:19] offset:1024
	ds_store_b64 v145, v[16:17] offset:1024
	ds_store_b64 v146, v[14:15] offset:1024
	v_lshlrev_b32_e32 v2, 3, v40
	v_lshlrev_b32_e32 v36, 3, v39
	;; [unrolled: 1-line block ×5, first 2 shown]
	ds_store_b64 v2, v[12:13] offset:1024
	ds_store_b64 v36, v[10:11] offset:1024
	;; [unrolled: 1-line block ×5, first 2 shown]
	s_waitcnt lgkmcnt(0)
	s_barrier
	buffer_gl0_inv
	s_and_saveexec_b32 s33, vcc_lo
	s_cbranch_execz .LBB1747_288
; %bb.273:                              ;   in Loop: Header=BB1747_98 Depth=2
	v_lshlrev_b32_e32 v2, 2, v144
	ds_load_b32 v2, v2
	ds_load_b64 v[36:37], v80 offset:1024
	s_waitcnt lgkmcnt(1)
	v_add_nc_u32_e32 v2, v2, v1
	s_delay_alu instid0(VALU_DEP_1) | instskip(NEXT) | instid1(VALU_DEP_1)
	v_lshlrev_b64 v[39:40], 3, v[2:3]
	v_add_co_u32 v39, vcc_lo, s44, v39
	s_delay_alu instid0(VALU_DEP_2)
	v_add_co_ci_u32_e32 v40, vcc_lo, s45, v40, vcc_lo
	s_waitcnt lgkmcnt(0)
	global_store_b64 v[39:40], v[36:37], off
	s_or_b32 exec_lo, exec_lo, s33
	s_and_saveexec_b32 s33, s16
	s_cbranch_execnz .LBB1747_289
.LBB1747_274:                           ;   in Loop: Header=BB1747_98 Depth=2
	s_or_b32 exec_lo, exec_lo, s33
	s_and_saveexec_b32 s16, s17
	s_cbranch_execz .LBB1747_290
.LBB1747_275:                           ;   in Loop: Header=BB1747_98 Depth=2
	v_lshlrev_b32_e32 v2, 2, v142
	v_add_nc_u32_e32 v36, v79, v81
	ds_load_b32 v2, v2
	ds_load_b64 v[36:37], v36 offset:4096
	s_waitcnt lgkmcnt(1)
	v_add_nc_u32_e32 v2, v2, v46
	s_delay_alu instid0(VALU_DEP_1) | instskip(NEXT) | instid1(VALU_DEP_1)
	v_lshlrev_b64 v[39:40], 3, v[2:3]
	v_add_co_u32 v39, vcc_lo, s44, v39
	s_delay_alu instid0(VALU_DEP_2)
	v_add_co_ci_u32_e32 v40, vcc_lo, s45, v40, vcc_lo
	s_waitcnt lgkmcnt(0)
	global_store_b64 v[39:40], v[36:37], off
	s_or_b32 exec_lo, exec_lo, s16
	s_and_saveexec_b32 s16, s18
	s_cbranch_execnz .LBB1747_291
.LBB1747_276:                           ;   in Loop: Header=BB1747_98 Depth=2
	s_or_b32 exec_lo, exec_lo, s16
	s_and_saveexec_b32 s16, s19
	s_cbranch_execz .LBB1747_292
.LBB1747_277:                           ;   in Loop: Header=BB1747_98 Depth=2
	v_lshlrev_b32_e32 v2, 2, v140
	v_add_nc_u32_e32 v36, v79, v81
	ds_load_b32 v2, v2
	ds_load_b64 v[36:37], v36 offset:8192
	s_waitcnt lgkmcnt(1)
	v_add_nc_u32_e32 v2, v2, v51
	s_delay_alu instid0(VALU_DEP_1) | instskip(NEXT) | instid1(VALU_DEP_1)
	v_lshlrev_b64 v[39:40], 3, v[2:3]
	v_add_co_u32 v39, vcc_lo, s44, v39
	s_delay_alu instid0(VALU_DEP_2)
	v_add_co_ci_u32_e32 v40, vcc_lo, s45, v40, vcc_lo
	s_waitcnt lgkmcnt(0)
	global_store_b64 v[39:40], v[36:37], off
	s_or_b32 exec_lo, exec_lo, s16
	s_and_saveexec_b32 s16, s20
	s_cbranch_execnz .LBB1747_293
.LBB1747_278:                           ;   in Loop: Header=BB1747_98 Depth=2
	s_or_b32 exec_lo, exec_lo, s16
	s_and_saveexec_b32 s16, s21
	s_cbranch_execz .LBB1747_294
.LBB1747_279:                           ;   in Loop: Header=BB1747_98 Depth=2
	v_lshlrev_b32_e32 v2, 2, v138
	v_add_nc_u32_e32 v36, v79, v81
	ds_load_b32 v2, v2
	ds_load_b64 v[36:37], v36 offset:12288
	s_waitcnt lgkmcnt(1)
	v_add_nc_u32_e32 v2, v2, v53
	s_delay_alu instid0(VALU_DEP_1) | instskip(NEXT) | instid1(VALU_DEP_1)
	v_lshlrev_b64 v[39:40], 3, v[2:3]
	v_add_co_u32 v39, vcc_lo, s44, v39
	s_delay_alu instid0(VALU_DEP_2)
	v_add_co_ci_u32_e32 v40, vcc_lo, s45, v40, vcc_lo
	s_waitcnt lgkmcnt(0)
	global_store_b64 v[39:40], v[36:37], off
	s_or_b32 exec_lo, exec_lo, s16
	s_and_saveexec_b32 s16, s22
	s_cbranch_execnz .LBB1747_295
.LBB1747_280:                           ;   in Loop: Header=BB1747_98 Depth=2
	s_or_b32 exec_lo, exec_lo, s16
	s_and_saveexec_b32 s16, s23
	s_cbranch_execz .LBB1747_296
.LBB1747_281:                           ;   in Loop: Header=BB1747_98 Depth=2
	v_lshlrev_b32_e32 v2, 2, v136
	v_add_nc_u32_e32 v36, v79, v81
	ds_load_b32 v2, v2
	ds_load_b64 v[36:37], v36 offset:16384
	s_waitcnt lgkmcnt(1)
	v_add_nc_u32_e32 v2, v2, v55
	s_delay_alu instid0(VALU_DEP_1) | instskip(NEXT) | instid1(VALU_DEP_1)
	v_lshlrev_b64 v[39:40], 3, v[2:3]
	v_add_co_u32 v39, vcc_lo, s44, v39
	s_delay_alu instid0(VALU_DEP_2)
	v_add_co_ci_u32_e32 v40, vcc_lo, s45, v40, vcc_lo
	s_waitcnt lgkmcnt(0)
	global_store_b64 v[39:40], v[36:37], off
	s_or_b32 exec_lo, exec_lo, s16
	s_and_saveexec_b32 s16, s24
	s_cbranch_execnz .LBB1747_297
.LBB1747_282:                           ;   in Loop: Header=BB1747_98 Depth=2
	s_or_b32 exec_lo, exec_lo, s16
	s_and_saveexec_b32 s16, s25
	s_cbranch_execz .LBB1747_298
.LBB1747_283:                           ;   in Loop: Header=BB1747_98 Depth=2
	v_lshlrev_b32_e32 v2, 2, v134
	v_add_nc_u32_e32 v36, v79, v81
	ds_load_b32 v2, v2
	ds_load_b64 v[36:37], v36 offset:20480
	s_waitcnt lgkmcnt(1)
	v_add_nc_u32_e32 v2, v2, v57
	s_delay_alu instid0(VALU_DEP_1) | instskip(NEXT) | instid1(VALU_DEP_1)
	v_lshlrev_b64 v[39:40], 3, v[2:3]
	v_add_co_u32 v39, vcc_lo, s44, v39
	s_delay_alu instid0(VALU_DEP_2)
	v_add_co_ci_u32_e32 v40, vcc_lo, s45, v40, vcc_lo
	s_waitcnt lgkmcnt(0)
	global_store_b64 v[39:40], v[36:37], off
	s_or_b32 exec_lo, exec_lo, s16
	s_and_saveexec_b32 s16, s27
	s_cbranch_execnz .LBB1747_299
.LBB1747_284:                           ;   in Loop: Header=BB1747_98 Depth=2
	s_or_b32 exec_lo, exec_lo, s16
	s_and_saveexec_b32 s16, s28
	s_cbranch_execz .LBB1747_300
.LBB1747_285:                           ;   in Loop: Header=BB1747_98 Depth=2
	v_lshlrev_b32_e32 v2, 2, v132
	v_add_nc_u32_e32 v36, v79, v81
	ds_load_b32 v2, v2
	ds_load_b64 v[36:37], v36 offset:24576
	s_waitcnt lgkmcnt(1)
	v_add_nc_u32_e32 v2, v2, v59
	s_delay_alu instid0(VALU_DEP_1) | instskip(NEXT) | instid1(VALU_DEP_1)
	v_lshlrev_b64 v[39:40], 3, v[2:3]
	v_add_co_u32 v39, vcc_lo, s44, v39
	s_delay_alu instid0(VALU_DEP_2)
	v_add_co_ci_u32_e32 v40, vcc_lo, s45, v40, vcc_lo
	s_waitcnt lgkmcnt(0)
	global_store_b64 v[39:40], v[36:37], off
	s_or_b32 exec_lo, exec_lo, s16
	s_and_saveexec_b32 s16, s29
	s_cbranch_execnz .LBB1747_301
.LBB1747_286:                           ;   in Loop: Header=BB1747_98 Depth=2
	s_or_b32 exec_lo, exec_lo, s16
	s_and_saveexec_b32 s16, s30
	s_cbranch_execz .LBB1747_302
.LBB1747_287:                           ;   in Loop: Header=BB1747_98 Depth=2
	v_lshlrev_b32_e32 v2, 2, v130
	v_add_nc_u32_e32 v36, v79, v81
	ds_load_b32 v2, v2
	ds_load_b64 v[36:37], v36 offset:28672
	s_waitcnt lgkmcnt(1)
	v_add_nc_u32_e32 v2, v2, v61
	s_delay_alu instid0(VALU_DEP_1) | instskip(NEXT) | instid1(VALU_DEP_1)
	v_lshlrev_b64 v[39:40], 3, v[2:3]
	v_add_co_u32 v39, vcc_lo, s44, v39
	s_delay_alu instid0(VALU_DEP_2)
	v_add_co_ci_u32_e32 v40, vcc_lo, s45, v40, vcc_lo
	s_waitcnt lgkmcnt(0)
	global_store_b64 v[39:40], v[36:37], off
	s_or_b32 exec_lo, exec_lo, s16
	s_and_saveexec_b32 s16, s31
	s_cbranch_execnz .LBB1747_303
	s_branch .LBB1747_304
.LBB1747_288:                           ;   in Loop: Header=BB1747_98 Depth=2
	s_or_b32 exec_lo, exec_lo, s33
	s_and_saveexec_b32 s33, s16
	s_cbranch_execz .LBB1747_274
.LBB1747_289:                           ;   in Loop: Header=BB1747_98 Depth=2
	v_lshlrev_b32_e32 v2, 2, v143
	v_add_nc_u32_e32 v36, v79, v81
	ds_load_b32 v2, v2
	ds_load_b64 v[36:37], v36 offset:2048
	s_waitcnt lgkmcnt(1)
	v_add_nc_u32_e32 v2, v2, v45
	s_delay_alu instid0(VALU_DEP_1) | instskip(NEXT) | instid1(VALU_DEP_1)
	v_lshlrev_b64 v[39:40], 3, v[2:3]
	v_add_co_u32 v39, vcc_lo, s44, v39
	s_delay_alu instid0(VALU_DEP_2)
	v_add_co_ci_u32_e32 v40, vcc_lo, s45, v40, vcc_lo
	s_waitcnt lgkmcnt(0)
	global_store_b64 v[39:40], v[36:37], off
	s_or_b32 exec_lo, exec_lo, s33
	s_and_saveexec_b32 s16, s17
	s_cbranch_execnz .LBB1747_275
.LBB1747_290:                           ;   in Loop: Header=BB1747_98 Depth=2
	s_or_b32 exec_lo, exec_lo, s16
	s_and_saveexec_b32 s16, s18
	s_cbranch_execz .LBB1747_276
.LBB1747_291:                           ;   in Loop: Header=BB1747_98 Depth=2
	v_lshlrev_b32_e32 v2, 2, v141
	v_add_nc_u32_e32 v36, v79, v81
	ds_load_b32 v2, v2
	ds_load_b64 v[36:37], v36 offset:6144
	s_waitcnt lgkmcnt(1)
	v_add_nc_u32_e32 v2, v2, v47
	s_delay_alu instid0(VALU_DEP_1) | instskip(NEXT) | instid1(VALU_DEP_1)
	v_lshlrev_b64 v[39:40], 3, v[2:3]
	v_add_co_u32 v39, vcc_lo, s44, v39
	s_delay_alu instid0(VALU_DEP_2)
	v_add_co_ci_u32_e32 v40, vcc_lo, s45, v40, vcc_lo
	s_waitcnt lgkmcnt(0)
	global_store_b64 v[39:40], v[36:37], off
	s_or_b32 exec_lo, exec_lo, s16
	s_and_saveexec_b32 s16, s19
	s_cbranch_execnz .LBB1747_277
.LBB1747_292:                           ;   in Loop: Header=BB1747_98 Depth=2
	s_or_b32 exec_lo, exec_lo, s16
	s_and_saveexec_b32 s16, s20
	s_cbranch_execz .LBB1747_278
.LBB1747_293:                           ;   in Loop: Header=BB1747_98 Depth=2
	v_lshlrev_b32_e32 v2, 2, v139
	v_add_nc_u32_e32 v36, v79, v81
	ds_load_b32 v2, v2
	ds_load_b64 v[36:37], v36 offset:10240
	s_waitcnt lgkmcnt(1)
	v_add_nc_u32_e32 v2, v2, v52
	s_delay_alu instid0(VALU_DEP_1) | instskip(NEXT) | instid1(VALU_DEP_1)
	v_lshlrev_b64 v[39:40], 3, v[2:3]
	v_add_co_u32 v39, vcc_lo, s44, v39
	s_delay_alu instid0(VALU_DEP_2)
	v_add_co_ci_u32_e32 v40, vcc_lo, s45, v40, vcc_lo
	s_waitcnt lgkmcnt(0)
	global_store_b64 v[39:40], v[36:37], off
	s_or_b32 exec_lo, exec_lo, s16
	s_and_saveexec_b32 s16, s21
	s_cbranch_execnz .LBB1747_279
.LBB1747_294:                           ;   in Loop: Header=BB1747_98 Depth=2
	s_or_b32 exec_lo, exec_lo, s16
	s_and_saveexec_b32 s16, s22
	s_cbranch_execz .LBB1747_280
.LBB1747_295:                           ;   in Loop: Header=BB1747_98 Depth=2
	v_lshlrev_b32_e32 v2, 2, v137
	v_add_nc_u32_e32 v36, v79, v81
	ds_load_b32 v2, v2
	ds_load_b64 v[36:37], v36 offset:14336
	s_waitcnt lgkmcnt(1)
	v_add_nc_u32_e32 v2, v2, v54
	s_delay_alu instid0(VALU_DEP_1) | instskip(NEXT) | instid1(VALU_DEP_1)
	v_lshlrev_b64 v[39:40], 3, v[2:3]
	v_add_co_u32 v39, vcc_lo, s44, v39
	s_delay_alu instid0(VALU_DEP_2)
	v_add_co_ci_u32_e32 v40, vcc_lo, s45, v40, vcc_lo
	s_waitcnt lgkmcnt(0)
	global_store_b64 v[39:40], v[36:37], off
	s_or_b32 exec_lo, exec_lo, s16
	s_and_saveexec_b32 s16, s23
	s_cbranch_execnz .LBB1747_281
.LBB1747_296:                           ;   in Loop: Header=BB1747_98 Depth=2
	s_or_b32 exec_lo, exec_lo, s16
	s_and_saveexec_b32 s16, s24
	s_cbranch_execz .LBB1747_282
.LBB1747_297:                           ;   in Loop: Header=BB1747_98 Depth=2
	v_lshlrev_b32_e32 v2, 2, v135
	v_add_nc_u32_e32 v36, v79, v81
	ds_load_b32 v2, v2
	ds_load_b64 v[36:37], v36 offset:18432
	s_waitcnt lgkmcnt(1)
	v_add_nc_u32_e32 v2, v2, v56
	s_delay_alu instid0(VALU_DEP_1) | instskip(NEXT) | instid1(VALU_DEP_1)
	v_lshlrev_b64 v[39:40], 3, v[2:3]
	v_add_co_u32 v39, vcc_lo, s44, v39
	s_delay_alu instid0(VALU_DEP_2)
	v_add_co_ci_u32_e32 v40, vcc_lo, s45, v40, vcc_lo
	s_waitcnt lgkmcnt(0)
	global_store_b64 v[39:40], v[36:37], off
	s_or_b32 exec_lo, exec_lo, s16
	s_and_saveexec_b32 s16, s25
	s_cbranch_execnz .LBB1747_283
.LBB1747_298:                           ;   in Loop: Header=BB1747_98 Depth=2
	s_or_b32 exec_lo, exec_lo, s16
	s_and_saveexec_b32 s16, s27
	s_cbranch_execz .LBB1747_284
.LBB1747_299:                           ;   in Loop: Header=BB1747_98 Depth=2
	v_lshlrev_b32_e32 v2, 2, v133
	v_add_nc_u32_e32 v36, v79, v81
	ds_load_b32 v2, v2
	ds_load_b64 v[36:37], v36 offset:22528
	s_waitcnt lgkmcnt(1)
	v_add_nc_u32_e32 v2, v2, v58
	s_delay_alu instid0(VALU_DEP_1) | instskip(NEXT) | instid1(VALU_DEP_1)
	v_lshlrev_b64 v[39:40], 3, v[2:3]
	v_add_co_u32 v39, vcc_lo, s44, v39
	s_delay_alu instid0(VALU_DEP_2)
	v_add_co_ci_u32_e32 v40, vcc_lo, s45, v40, vcc_lo
	s_waitcnt lgkmcnt(0)
	global_store_b64 v[39:40], v[36:37], off
	s_or_b32 exec_lo, exec_lo, s16
	s_and_saveexec_b32 s16, s28
	s_cbranch_execnz .LBB1747_285
.LBB1747_300:                           ;   in Loop: Header=BB1747_98 Depth=2
	s_or_b32 exec_lo, exec_lo, s16
	s_and_saveexec_b32 s16, s29
	s_cbranch_execz .LBB1747_286
.LBB1747_301:                           ;   in Loop: Header=BB1747_98 Depth=2
	v_lshlrev_b32_e32 v2, 2, v131
	v_add_nc_u32_e32 v36, v79, v81
	ds_load_b32 v2, v2
	ds_load_b64 v[36:37], v36 offset:26624
	s_waitcnt lgkmcnt(1)
	v_add_nc_u32_e32 v2, v2, v60
	s_delay_alu instid0(VALU_DEP_1) | instskip(NEXT) | instid1(VALU_DEP_1)
	v_lshlrev_b64 v[39:40], 3, v[2:3]
	v_add_co_u32 v39, vcc_lo, s44, v39
	s_delay_alu instid0(VALU_DEP_2)
	v_add_co_ci_u32_e32 v40, vcc_lo, s45, v40, vcc_lo
	s_waitcnt lgkmcnt(0)
	global_store_b64 v[39:40], v[36:37], off
	s_or_b32 exec_lo, exec_lo, s16
	s_and_saveexec_b32 s16, s30
	s_cbranch_execnz .LBB1747_287
.LBB1747_302:                           ;   in Loop: Header=BB1747_98 Depth=2
	s_or_b32 exec_lo, exec_lo, s16
	s_and_saveexec_b32 s16, s31
	s_cbranch_execz .LBB1747_304
.LBB1747_303:                           ;   in Loop: Header=BB1747_98 Depth=2
	v_lshlrev_b32_e32 v2, 2, v129
	v_add_nc_u32_e32 v36, v79, v81
	ds_load_b32 v2, v2
	ds_load_b64 v[36:37], v36 offset:30720
	s_waitcnt lgkmcnt(1)
	v_add_nc_u32_e32 v2, v2, v63
	s_delay_alu instid0(VALU_DEP_1) | instskip(NEXT) | instid1(VALU_DEP_1)
	v_lshlrev_b64 v[39:40], 3, v[2:3]
	v_add_co_u32 v39, vcc_lo, s44, v39
	s_delay_alu instid0(VALU_DEP_2)
	v_add_co_ci_u32_e32 v40, vcc_lo, s45, v40, vcc_lo
	s_waitcnt lgkmcnt(0)
	global_store_b64 v[39:40], v[36:37], off
.LBB1747_304:                           ;   in Loop: Header=BB1747_98 Depth=2
	s_or_b32 exec_lo, exec_lo, s16
	s_waitcnt_vscnt null, 0x0
	s_barrier
	buffer_gl0_inv
	s_and_saveexec_b32 s16, s2
	s_cbranch_execz .LBB1747_97
; %bb.305:                              ;   in Loop: Header=BB1747_98 Depth=2
	ds_load_b32 v2, v44
	s_waitcnt lgkmcnt(0)
	v_add_nc_u32_e32 v2, v2, v38
	ds_store_b32 v44, v2
	s_branch .LBB1747_97
.LBB1747_306:                           ;   in Loop: Header=BB1747_12 Depth=1
	s_waitcnt lgkmcnt(0)
	s_mov_b32 s0, 0
	s_barrier
.LBB1747_307:                           ;   in Loop: Header=BB1747_12 Depth=1
	s_and_b32 vcc_lo, exec_lo, s0
	s_cbranch_vccz .LBB1747_601
; %bb.308:                              ;   in Loop: Header=BB1747_12 Depth=1
	s_mov_b32 s8, s54
	s_mov_b32 s34, s52
	s_barrier
	buffer_gl0_inv
                                        ; implicit-def: $vgpr20
                                        ; implicit-def: $vgpr2
                                        ; implicit-def: $vgpr6
                                        ; implicit-def: $vgpr7
                                        ; implicit-def: $vgpr8
                                        ; implicit-def: $vgpr9
                                        ; implicit-def: $vgpr10
                                        ; implicit-def: $vgpr11
                                        ; implicit-def: $vgpr12
                                        ; implicit-def: $vgpr13
                                        ; implicit-def: $vgpr14
                                        ; implicit-def: $vgpr15
                                        ; implicit-def: $vgpr16
                                        ; implicit-def: $vgpr17
                                        ; implicit-def: $vgpr18
                                        ; implicit-def: $vgpr19
	s_branch .LBB1747_310
.LBB1747_309:                           ;   in Loop: Header=BB1747_310 Depth=2
	s_or_b32 exec_lo, exec_lo, s0
	s_addk_i32 s8, 0xf000
	s_cmp_ge_u32 s9, s53
	s_mov_b32 s34, s9
	s_cbranch_scc1 .LBB1747_380
.LBB1747_310:                           ;   Parent Loop BB1747_12 Depth=1
                                        ; =>  This Inner Loop Header: Depth=2
	s_add_i32 s9, s34, 0x1000
	s_delay_alu instid0(SALU_CYCLE_1)
	s_cmp_gt_u32 s9, s53
	s_cbranch_scc1 .LBB1747_313
; %bb.311:                              ;   in Loop: Header=BB1747_310 Depth=2
	s_mov_b32 s1, 0
	s_mov_b32 s0, s34
	s_delay_alu instid0(SALU_CYCLE_1) | instskip(NEXT) | instid1(SALU_CYCLE_1)
	s_lshl_b64 s[10:11], s[0:1], 1
	v_add_co_u32 v4, vcc_lo, v82, s10
	v_add_co_ci_u32_e32 v5, vcc_lo, s11, v83, vcc_lo
	s_movk_i32 s11, 0x1000
	s_waitcnt vmcnt(0)
	s_delay_alu instid0(VALU_DEP_2) | instskip(NEXT) | instid1(VALU_DEP_2)
	v_add_co_u32 v36, vcc_lo, 0x1000, v4
	v_add_co_ci_u32_e32 v37, vcc_lo, 0, v5, vcc_lo
	s_clause 0xe
	global_load_u16 v22, v[4:5], off
	global_load_u16 v23, v[4:5], off offset:512
	global_load_u16 v24, v[4:5], off offset:1024
	;; [unrolled: 1-line block ×7, first 2 shown]
	global_load_u16 v30, v[36:37], off
	global_load_u16 v31, v[36:37], off offset:512
	global_load_u16 v32, v[36:37], off offset:1024
	;; [unrolled: 1-line block ×6, first 2 shown]
	v_add_co_u32 v4, vcc_lo, 0x1e00, v4
	v_add_co_ci_u32_e32 v5, vcc_lo, 0, v5, vcc_lo
	s_mov_b32 s10, -1
	s_cbranch_execz .LBB1747_314
; %bb.312:                              ;   in Loop: Header=BB1747_310 Depth=2
                                        ; implicit-def: $vgpr19
                                        ; implicit-def: $vgpr18
                                        ; implicit-def: $vgpr17
                                        ; implicit-def: $vgpr16
                                        ; implicit-def: $vgpr15
                                        ; implicit-def: $vgpr14
                                        ; implicit-def: $vgpr13
                                        ; implicit-def: $vgpr12
                                        ; implicit-def: $vgpr11
                                        ; implicit-def: $vgpr10
                                        ; implicit-def: $vgpr9
                                        ; implicit-def: $vgpr8
                                        ; implicit-def: $vgpr7
                                        ; implicit-def: $vgpr6
                                        ; implicit-def: $vgpr2
                                        ; implicit-def: $vgpr20
	v_mov_b32_e32 v21, s8
	s_and_saveexec_b32 s0, s10
	s_cbranch_execnz .LBB1747_333
	s_branch .LBB1747_334
.LBB1747_313:                           ;   in Loop: Header=BB1747_310 Depth=2
	s_mov_b32 s10, 0
                                        ; implicit-def: $sgpr11
                                        ; implicit-def: $vgpr22
                                        ; implicit-def: $vgpr23
                                        ; implicit-def: $vgpr24
                                        ; implicit-def: $vgpr25
                                        ; implicit-def: $vgpr26
                                        ; implicit-def: $vgpr27
                                        ; implicit-def: $vgpr28
                                        ; implicit-def: $vgpr29
                                        ; implicit-def: $vgpr30
                                        ; implicit-def: $vgpr31
                                        ; implicit-def: $vgpr32
                                        ; implicit-def: $vgpr33
                                        ; implicit-def: $vgpr34
                                        ; implicit-def: $vgpr35
                                        ; implicit-def: $vgpr36
                                        ; implicit-def: $vgpr4_vgpr5
.LBB1747_314:                           ;   in Loop: Header=BB1747_310 Depth=2
	s_lshl_b64 s[0:1], s[34:35], 1
	s_mov_b32 s11, exec_lo
	s_add_u32 s0, s38, s0
	s_addc_u32 s1, s39, s1
	v_cmpx_gt_u32_e64 s8, v1
	s_cbranch_execz .LBB1747_366
; %bb.315:                              ;   in Loop: Header=BB1747_310 Depth=2
	global_load_u16 v19, v95, s[0:1]
	s_or_b32 exec_lo, exec_lo, s11
	s_delay_alu instid0(SALU_CYCLE_1)
	s_mov_b32 s11, exec_lo
	v_cmpx_gt_u32_e64 s8, v45
	s_cbranch_execnz .LBB1747_367
.LBB1747_316:                           ;   in Loop: Header=BB1747_310 Depth=2
	s_or_b32 exec_lo, exec_lo, s11
	s_delay_alu instid0(SALU_CYCLE_1)
	s_mov_b32 s11, exec_lo
	v_cmpx_gt_u32_e64 s8, v46
	s_cbranch_execz .LBB1747_368
.LBB1747_317:                           ;   in Loop: Header=BB1747_310 Depth=2
	global_load_u16 v17, v95, s[0:1] offset:1024
	s_or_b32 exec_lo, exec_lo, s11
	s_delay_alu instid0(SALU_CYCLE_1)
	s_mov_b32 s11, exec_lo
	v_cmpx_gt_u32_e64 s8, v47
	s_cbranch_execnz .LBB1747_369
.LBB1747_318:                           ;   in Loop: Header=BB1747_310 Depth=2
	s_or_b32 exec_lo, exec_lo, s11
	s_delay_alu instid0(SALU_CYCLE_1)
	s_mov_b32 s11, exec_lo
	v_cmpx_gt_u32_e64 s8, v51
	s_cbranch_execz .LBB1747_370
.LBB1747_319:                           ;   in Loop: Header=BB1747_310 Depth=2
	global_load_u16 v15, v95, s[0:1] offset:2048
	s_or_b32 exec_lo, exec_lo, s11
	s_delay_alu instid0(SALU_CYCLE_1)
	s_mov_b32 s11, exec_lo
	v_cmpx_gt_u32_e64 s8, v52
	s_cbranch_execnz .LBB1747_371
.LBB1747_320:                           ;   in Loop: Header=BB1747_310 Depth=2
	s_or_b32 exec_lo, exec_lo, s11
	s_delay_alu instid0(SALU_CYCLE_1)
	s_mov_b32 s11, exec_lo
	v_cmpx_gt_u32_e64 s8, v53
	s_cbranch_execz .LBB1747_372
.LBB1747_321:                           ;   in Loop: Header=BB1747_310 Depth=2
	global_load_u16 v13, v95, s[0:1] offset:3072
	s_or_b32 exec_lo, exec_lo, s11
	s_delay_alu instid0(SALU_CYCLE_1)
	s_mov_b32 s11, exec_lo
	v_cmpx_gt_u32_e64 s8, v54
	s_cbranch_execnz .LBB1747_373
.LBB1747_322:                           ;   in Loop: Header=BB1747_310 Depth=2
	s_or_b32 exec_lo, exec_lo, s11
	s_delay_alu instid0(SALU_CYCLE_1)
	s_mov_b32 s11, exec_lo
	v_cmpx_gt_u32_e64 s8, v55
	s_cbranch_execz .LBB1747_374
.LBB1747_323:                           ;   in Loop: Header=BB1747_310 Depth=2
	global_load_u16 v11, v96, s[0:1]
	s_or_b32 exec_lo, exec_lo, s11
	s_delay_alu instid0(SALU_CYCLE_1)
	s_mov_b32 s11, exec_lo
	v_cmpx_gt_u32_e64 s8, v56
	s_cbranch_execnz .LBB1747_375
.LBB1747_324:                           ;   in Loop: Header=BB1747_310 Depth=2
	s_or_b32 exec_lo, exec_lo, s11
	s_delay_alu instid0(SALU_CYCLE_1)
	s_mov_b32 s11, exec_lo
	v_cmpx_gt_u32_e64 s8, v57
	s_cbranch_execz .LBB1747_376
.LBB1747_325:                           ;   in Loop: Header=BB1747_310 Depth=2
	global_load_u16 v9, v98, s[0:1]
	s_or_b32 exec_lo, exec_lo, s11
	s_delay_alu instid0(SALU_CYCLE_1)
	s_mov_b32 s11, exec_lo
	v_cmpx_gt_u32_e64 s8, v58
	s_cbranch_execnz .LBB1747_377
.LBB1747_326:                           ;   in Loop: Header=BB1747_310 Depth=2
	s_or_b32 exec_lo, exec_lo, s11
	s_delay_alu instid0(SALU_CYCLE_1)
	s_mov_b32 s11, exec_lo
	v_cmpx_gt_u32_e64 s8, v59
	s_cbranch_execz .LBB1747_378
.LBB1747_327:                           ;   in Loop: Header=BB1747_310 Depth=2
	global_load_u16 v7, v100, s[0:1]
	s_or_b32 exec_lo, exec_lo, s11
	s_delay_alu instid0(SALU_CYCLE_1)
	s_mov_b32 s11, exec_lo
	v_cmpx_gt_u32_e64 s8, v60
	s_cbranch_execnz .LBB1747_379
.LBB1747_328:                           ;   in Loop: Header=BB1747_310 Depth=2
	s_or_b32 exec_lo, exec_lo, s11
	s_delay_alu instid0(SALU_CYCLE_1)
	s_mov_b32 s11, exec_lo
	v_cmpx_gt_u32_e64 s8, v61
	s_cbranch_execz .LBB1747_330
.LBB1747_329:                           ;   in Loop: Header=BB1747_310 Depth=2
	global_load_u16 v2, v102, s[0:1]
.LBB1747_330:                           ;   in Loop: Header=BB1747_310 Depth=2
	s_or_b32 exec_lo, exec_lo, s11
	s_delay_alu instid0(SALU_CYCLE_1)
	s_mov_b32 s12, exec_lo
                                        ; implicit-def: $sgpr11
                                        ; implicit-def: $vgpr4_vgpr5
	v_cmpx_gt_u32_e64 s8, v63
; %bb.331:                              ;   in Loop: Header=BB1747_310 Depth=2
	v_add_co_u32 v4, s0, s0, v103
	s_delay_alu instid0(VALU_DEP_1)
	v_add_co_ci_u32_e64 v5, null, s1, 0, s0
	s_sub_i32 s11, s53, s34
	s_or_b32 s10, s10, exec_lo
                                        ; implicit-def: $vgpr20
; %bb.332:                              ;   in Loop: Header=BB1747_310 Depth=2
	s_or_b32 exec_lo, exec_lo, s12
	s_waitcnt vmcnt(0)
	v_dual_mov_b32 v22, v19 :: v_dual_mov_b32 v23, v18
	v_dual_mov_b32 v24, v17 :: v_dual_mov_b32 v25, v16
	;; [unrolled: 1-line block ×8, first 2 shown]
	s_and_saveexec_b32 s0, s10
	s_cbranch_execz .LBB1747_334
.LBB1747_333:                           ;   in Loop: Header=BB1747_310 Depth=2
	global_load_u16 v20, v[4:5], off
	s_waitcnt vmcnt(1)
	v_dual_mov_b32 v21, s11 :: v_dual_mov_b32 v2, v36
	v_dual_mov_b32 v6, v35 :: v_dual_mov_b32 v7, v34
	;; [unrolled: 1-line block ×8, first 2 shown]
.LBB1747_334:                           ;   in Loop: Header=BB1747_310 Depth=2
	s_or_b32 exec_lo, exec_lo, s0
	s_delay_alu instid0(SALU_CYCLE_1)
	s_mov_b32 s0, exec_lo
	v_cmpx_lt_u32_e64 v1, v21
	s_cbranch_execz .LBB1747_350
; %bb.335:                              ;   in Loop: Header=BB1747_310 Depth=2
	v_cmp_gt_i16_e32 vcc_lo, 0, v19
	v_lshlrev_b32_e32 v5, 2, v48
	v_cndmask_b32_e64 v4, 0x7fff, 0, vcc_lo
	s_delay_alu instid0(VALU_DEP_1) | instskip(NEXT) | instid1(VALU_DEP_1)
	v_xor_b32_e32 v4, v4, v19
	v_cmp_ne_u16_e32 vcc_lo, 0x8000, v4
	v_cndmask_b32_e32 v4, 0x7fff, v4, vcc_lo
	s_delay_alu instid0(VALU_DEP_1) | instskip(NEXT) | instid1(VALU_DEP_1)
	v_and_b32_e32 v4, 0xffff, v4
	v_lshrrev_b32_e32 v4, s48, v4
	s_delay_alu instid0(VALU_DEP_1) | instskip(NEXT) | instid1(VALU_DEP_1)
	v_and_b32_e32 v4, s55, v4
	v_lshl_or_b32 v4, v4, 4, v5
	ds_add_u32 v4, v94
	s_or_b32 exec_lo, exec_lo, s0
	s_delay_alu instid0(SALU_CYCLE_1)
	s_mov_b32 s0, exec_lo
	v_cmpx_lt_u32_e64 v45, v21
	s_cbranch_execnz .LBB1747_351
.LBB1747_336:                           ;   in Loop: Header=BB1747_310 Depth=2
	s_or_b32 exec_lo, exec_lo, s0
	s_delay_alu instid0(SALU_CYCLE_1)
	s_mov_b32 s0, exec_lo
	v_cmpx_lt_u32_e64 v46, v21
	s_cbranch_execz .LBB1747_352
.LBB1747_337:                           ;   in Loop: Header=BB1747_310 Depth=2
	v_cmp_gt_i16_e32 vcc_lo, 0, v17
	v_lshlrev_b32_e32 v5, 2, v48
	v_cndmask_b32_e64 v4, 0x7fff, 0, vcc_lo
	s_delay_alu instid0(VALU_DEP_1) | instskip(NEXT) | instid1(VALU_DEP_1)
	v_xor_b32_e32 v4, v4, v17
	v_cmp_ne_u16_e32 vcc_lo, 0x8000, v4
	v_cndmask_b32_e32 v4, 0x7fff, v4, vcc_lo
	s_delay_alu instid0(VALU_DEP_1) | instskip(NEXT) | instid1(VALU_DEP_1)
	v_and_b32_e32 v4, 0xffff, v4
	v_lshrrev_b32_e32 v4, s48, v4
	s_delay_alu instid0(VALU_DEP_1) | instskip(NEXT) | instid1(VALU_DEP_1)
	v_and_b32_e32 v4, s55, v4
	v_lshl_or_b32 v4, v4, 4, v5
	ds_add_u32 v4, v94
	s_or_b32 exec_lo, exec_lo, s0
	s_delay_alu instid0(SALU_CYCLE_1)
	s_mov_b32 s0, exec_lo
	v_cmpx_lt_u32_e64 v47, v21
	s_cbranch_execnz .LBB1747_353
.LBB1747_338:                           ;   in Loop: Header=BB1747_310 Depth=2
	s_or_b32 exec_lo, exec_lo, s0
	s_delay_alu instid0(SALU_CYCLE_1)
	s_mov_b32 s0, exec_lo
	v_cmpx_lt_u32_e64 v51, v21
	s_cbranch_execz .LBB1747_354
.LBB1747_339:                           ;   in Loop: Header=BB1747_310 Depth=2
	v_cmp_gt_i16_e32 vcc_lo, 0, v15
	v_lshlrev_b32_e32 v5, 2, v48
	v_cndmask_b32_e64 v4, 0x7fff, 0, vcc_lo
	s_delay_alu instid0(VALU_DEP_1) | instskip(NEXT) | instid1(VALU_DEP_1)
	v_xor_b32_e32 v4, v4, v15
	v_cmp_ne_u16_e32 vcc_lo, 0x8000, v4
	v_cndmask_b32_e32 v4, 0x7fff, v4, vcc_lo
	s_delay_alu instid0(VALU_DEP_1) | instskip(NEXT) | instid1(VALU_DEP_1)
	v_and_b32_e32 v4, 0xffff, v4
	v_lshrrev_b32_e32 v4, s48, v4
	s_delay_alu instid0(VALU_DEP_1) | instskip(NEXT) | instid1(VALU_DEP_1)
	v_and_b32_e32 v4, s55, v4
	v_lshl_or_b32 v4, v4, 4, v5
	ds_add_u32 v4, v94
	s_or_b32 exec_lo, exec_lo, s0
	s_delay_alu instid0(SALU_CYCLE_1)
	s_mov_b32 s0, exec_lo
	v_cmpx_lt_u32_e64 v52, v21
	s_cbranch_execnz .LBB1747_355
.LBB1747_340:                           ;   in Loop: Header=BB1747_310 Depth=2
	s_or_b32 exec_lo, exec_lo, s0
	s_delay_alu instid0(SALU_CYCLE_1)
	s_mov_b32 s0, exec_lo
	v_cmpx_lt_u32_e64 v53, v21
	s_cbranch_execz .LBB1747_356
.LBB1747_341:                           ;   in Loop: Header=BB1747_310 Depth=2
	v_cmp_gt_i16_e32 vcc_lo, 0, v13
	v_lshlrev_b32_e32 v5, 2, v48
	v_cndmask_b32_e64 v4, 0x7fff, 0, vcc_lo
	s_delay_alu instid0(VALU_DEP_1) | instskip(NEXT) | instid1(VALU_DEP_1)
	v_xor_b32_e32 v4, v4, v13
	v_cmp_ne_u16_e32 vcc_lo, 0x8000, v4
	v_cndmask_b32_e32 v4, 0x7fff, v4, vcc_lo
	s_delay_alu instid0(VALU_DEP_1) | instskip(NEXT) | instid1(VALU_DEP_1)
	v_and_b32_e32 v4, 0xffff, v4
	v_lshrrev_b32_e32 v4, s48, v4
	s_delay_alu instid0(VALU_DEP_1) | instskip(NEXT) | instid1(VALU_DEP_1)
	v_and_b32_e32 v4, s55, v4
	v_lshl_or_b32 v4, v4, 4, v5
	ds_add_u32 v4, v94
	s_or_b32 exec_lo, exec_lo, s0
	s_delay_alu instid0(SALU_CYCLE_1)
	s_mov_b32 s0, exec_lo
	v_cmpx_lt_u32_e64 v54, v21
	s_cbranch_execnz .LBB1747_357
.LBB1747_342:                           ;   in Loop: Header=BB1747_310 Depth=2
	s_or_b32 exec_lo, exec_lo, s0
	s_delay_alu instid0(SALU_CYCLE_1)
	s_mov_b32 s0, exec_lo
	v_cmpx_lt_u32_e64 v55, v21
	s_cbranch_execz .LBB1747_358
.LBB1747_343:                           ;   in Loop: Header=BB1747_310 Depth=2
	v_cmp_gt_i16_e32 vcc_lo, 0, v11
	v_lshlrev_b32_e32 v5, 2, v48
	v_cndmask_b32_e64 v4, 0x7fff, 0, vcc_lo
	s_delay_alu instid0(VALU_DEP_1) | instskip(NEXT) | instid1(VALU_DEP_1)
	v_xor_b32_e32 v4, v4, v11
	v_cmp_ne_u16_e32 vcc_lo, 0x8000, v4
	v_cndmask_b32_e32 v4, 0x7fff, v4, vcc_lo
	s_delay_alu instid0(VALU_DEP_1) | instskip(NEXT) | instid1(VALU_DEP_1)
	v_and_b32_e32 v4, 0xffff, v4
	v_lshrrev_b32_e32 v4, s48, v4
	s_delay_alu instid0(VALU_DEP_1) | instskip(NEXT) | instid1(VALU_DEP_1)
	v_and_b32_e32 v4, s55, v4
	v_lshl_or_b32 v4, v4, 4, v5
	ds_add_u32 v4, v94
	s_or_b32 exec_lo, exec_lo, s0
	s_delay_alu instid0(SALU_CYCLE_1)
	s_mov_b32 s0, exec_lo
	v_cmpx_lt_u32_e64 v56, v21
	s_cbranch_execnz .LBB1747_359
.LBB1747_344:                           ;   in Loop: Header=BB1747_310 Depth=2
	s_or_b32 exec_lo, exec_lo, s0
	s_delay_alu instid0(SALU_CYCLE_1)
	s_mov_b32 s0, exec_lo
	v_cmpx_lt_u32_e64 v57, v21
	s_cbranch_execz .LBB1747_360
.LBB1747_345:                           ;   in Loop: Header=BB1747_310 Depth=2
	v_cmp_gt_i16_e32 vcc_lo, 0, v9
	v_lshlrev_b32_e32 v5, 2, v48
	v_cndmask_b32_e64 v4, 0x7fff, 0, vcc_lo
	s_delay_alu instid0(VALU_DEP_1) | instskip(NEXT) | instid1(VALU_DEP_1)
	v_xor_b32_e32 v4, v4, v9
	v_cmp_ne_u16_e32 vcc_lo, 0x8000, v4
	v_cndmask_b32_e32 v4, 0x7fff, v4, vcc_lo
	s_delay_alu instid0(VALU_DEP_1) | instskip(NEXT) | instid1(VALU_DEP_1)
	v_and_b32_e32 v4, 0xffff, v4
	v_lshrrev_b32_e32 v4, s48, v4
	s_delay_alu instid0(VALU_DEP_1) | instskip(NEXT) | instid1(VALU_DEP_1)
	v_and_b32_e32 v4, s55, v4
	v_lshl_or_b32 v4, v4, 4, v5
	ds_add_u32 v4, v94
	s_or_b32 exec_lo, exec_lo, s0
	s_delay_alu instid0(SALU_CYCLE_1)
	s_mov_b32 s0, exec_lo
	v_cmpx_lt_u32_e64 v58, v21
	s_cbranch_execnz .LBB1747_361
.LBB1747_346:                           ;   in Loop: Header=BB1747_310 Depth=2
	s_or_b32 exec_lo, exec_lo, s0
	s_delay_alu instid0(SALU_CYCLE_1)
	s_mov_b32 s0, exec_lo
	v_cmpx_lt_u32_e64 v59, v21
	s_cbranch_execz .LBB1747_362
.LBB1747_347:                           ;   in Loop: Header=BB1747_310 Depth=2
	v_cmp_gt_i16_e32 vcc_lo, 0, v7
	v_lshlrev_b32_e32 v5, 2, v48
	v_cndmask_b32_e64 v4, 0x7fff, 0, vcc_lo
	s_delay_alu instid0(VALU_DEP_1) | instskip(NEXT) | instid1(VALU_DEP_1)
	v_xor_b32_e32 v4, v4, v7
	v_cmp_ne_u16_e32 vcc_lo, 0x8000, v4
	v_cndmask_b32_e32 v4, 0x7fff, v4, vcc_lo
	s_delay_alu instid0(VALU_DEP_1) | instskip(NEXT) | instid1(VALU_DEP_1)
	v_and_b32_e32 v4, 0xffff, v4
	v_lshrrev_b32_e32 v4, s48, v4
	s_delay_alu instid0(VALU_DEP_1) | instskip(NEXT) | instid1(VALU_DEP_1)
	v_and_b32_e32 v4, s55, v4
	v_lshl_or_b32 v4, v4, 4, v5
	ds_add_u32 v4, v94
	s_or_b32 exec_lo, exec_lo, s0
	s_delay_alu instid0(SALU_CYCLE_1)
	s_mov_b32 s0, exec_lo
	v_cmpx_lt_u32_e64 v60, v21
	s_cbranch_execnz .LBB1747_363
.LBB1747_348:                           ;   in Loop: Header=BB1747_310 Depth=2
	s_or_b32 exec_lo, exec_lo, s0
	s_delay_alu instid0(SALU_CYCLE_1)
	s_mov_b32 s0, exec_lo
	v_cmpx_lt_u32_e64 v61, v21
	s_cbranch_execz .LBB1747_364
.LBB1747_349:                           ;   in Loop: Header=BB1747_310 Depth=2
	v_cmp_gt_i16_e32 vcc_lo, 0, v2
	v_lshlrev_b32_e32 v5, 2, v48
	v_cndmask_b32_e64 v4, 0x7fff, 0, vcc_lo
	s_delay_alu instid0(VALU_DEP_1) | instskip(NEXT) | instid1(VALU_DEP_1)
	v_xor_b32_e32 v4, v4, v2
	v_cmp_ne_u16_e32 vcc_lo, 0x8000, v4
	v_cndmask_b32_e32 v4, 0x7fff, v4, vcc_lo
	s_delay_alu instid0(VALU_DEP_1) | instskip(NEXT) | instid1(VALU_DEP_1)
	v_and_b32_e32 v4, 0xffff, v4
	v_lshrrev_b32_e32 v4, s48, v4
	s_delay_alu instid0(VALU_DEP_1) | instskip(NEXT) | instid1(VALU_DEP_1)
	v_and_b32_e32 v4, s55, v4
	v_lshl_or_b32 v4, v4, 4, v5
	ds_add_u32 v4, v94
	s_or_b32 exec_lo, exec_lo, s0
	s_delay_alu instid0(SALU_CYCLE_1)
	s_mov_b32 s0, exec_lo
	v_cmpx_lt_u32_e64 v63, v21
	s_cbranch_execz .LBB1747_309
	s_branch .LBB1747_365
.LBB1747_350:                           ;   in Loop: Header=BB1747_310 Depth=2
	s_or_b32 exec_lo, exec_lo, s0
	s_delay_alu instid0(SALU_CYCLE_1)
	s_mov_b32 s0, exec_lo
	v_cmpx_lt_u32_e64 v45, v21
	s_cbranch_execz .LBB1747_336
.LBB1747_351:                           ;   in Loop: Header=BB1747_310 Depth=2
	v_cmp_gt_i16_e32 vcc_lo, 0, v18
	v_lshlrev_b32_e32 v5, 2, v48
	v_cndmask_b32_e64 v4, 0x7fff, 0, vcc_lo
	s_delay_alu instid0(VALU_DEP_1) | instskip(NEXT) | instid1(VALU_DEP_1)
	v_xor_b32_e32 v4, v4, v18
	v_cmp_ne_u16_e32 vcc_lo, 0x8000, v4
	v_cndmask_b32_e32 v4, 0x7fff, v4, vcc_lo
	s_delay_alu instid0(VALU_DEP_1) | instskip(NEXT) | instid1(VALU_DEP_1)
	v_and_b32_e32 v4, 0xffff, v4
	v_lshrrev_b32_e32 v4, s48, v4
	s_delay_alu instid0(VALU_DEP_1) | instskip(NEXT) | instid1(VALU_DEP_1)
	v_and_b32_e32 v4, s55, v4
	v_lshl_or_b32 v4, v4, 4, v5
	ds_add_u32 v4, v94
	s_or_b32 exec_lo, exec_lo, s0
	s_delay_alu instid0(SALU_CYCLE_1)
	s_mov_b32 s0, exec_lo
	v_cmpx_lt_u32_e64 v46, v21
	s_cbranch_execnz .LBB1747_337
.LBB1747_352:                           ;   in Loop: Header=BB1747_310 Depth=2
	s_or_b32 exec_lo, exec_lo, s0
	s_delay_alu instid0(SALU_CYCLE_1)
	s_mov_b32 s0, exec_lo
	v_cmpx_lt_u32_e64 v47, v21
	s_cbranch_execz .LBB1747_338
.LBB1747_353:                           ;   in Loop: Header=BB1747_310 Depth=2
	v_cmp_gt_i16_e32 vcc_lo, 0, v16
	v_lshlrev_b32_e32 v5, 2, v48
	v_cndmask_b32_e64 v4, 0x7fff, 0, vcc_lo
	s_delay_alu instid0(VALU_DEP_1) | instskip(NEXT) | instid1(VALU_DEP_1)
	v_xor_b32_e32 v4, v4, v16
	v_cmp_ne_u16_e32 vcc_lo, 0x8000, v4
	v_cndmask_b32_e32 v4, 0x7fff, v4, vcc_lo
	s_delay_alu instid0(VALU_DEP_1) | instskip(NEXT) | instid1(VALU_DEP_1)
	v_and_b32_e32 v4, 0xffff, v4
	v_lshrrev_b32_e32 v4, s48, v4
	s_delay_alu instid0(VALU_DEP_1) | instskip(NEXT) | instid1(VALU_DEP_1)
	v_and_b32_e32 v4, s55, v4
	v_lshl_or_b32 v4, v4, 4, v5
	ds_add_u32 v4, v94
	s_or_b32 exec_lo, exec_lo, s0
	s_delay_alu instid0(SALU_CYCLE_1)
	s_mov_b32 s0, exec_lo
	v_cmpx_lt_u32_e64 v51, v21
	s_cbranch_execnz .LBB1747_339
.LBB1747_354:                           ;   in Loop: Header=BB1747_310 Depth=2
	s_or_b32 exec_lo, exec_lo, s0
	s_delay_alu instid0(SALU_CYCLE_1)
	s_mov_b32 s0, exec_lo
	v_cmpx_lt_u32_e64 v52, v21
	s_cbranch_execz .LBB1747_340
.LBB1747_355:                           ;   in Loop: Header=BB1747_310 Depth=2
	v_cmp_gt_i16_e32 vcc_lo, 0, v14
	v_lshlrev_b32_e32 v5, 2, v48
	v_cndmask_b32_e64 v4, 0x7fff, 0, vcc_lo
	s_delay_alu instid0(VALU_DEP_1) | instskip(NEXT) | instid1(VALU_DEP_1)
	v_xor_b32_e32 v4, v4, v14
	v_cmp_ne_u16_e32 vcc_lo, 0x8000, v4
	v_cndmask_b32_e32 v4, 0x7fff, v4, vcc_lo
	s_delay_alu instid0(VALU_DEP_1) | instskip(NEXT) | instid1(VALU_DEP_1)
	v_and_b32_e32 v4, 0xffff, v4
	v_lshrrev_b32_e32 v4, s48, v4
	s_delay_alu instid0(VALU_DEP_1) | instskip(NEXT) | instid1(VALU_DEP_1)
	v_and_b32_e32 v4, s55, v4
	v_lshl_or_b32 v4, v4, 4, v5
	ds_add_u32 v4, v94
	s_or_b32 exec_lo, exec_lo, s0
	s_delay_alu instid0(SALU_CYCLE_1)
	s_mov_b32 s0, exec_lo
	v_cmpx_lt_u32_e64 v53, v21
	s_cbranch_execnz .LBB1747_341
.LBB1747_356:                           ;   in Loop: Header=BB1747_310 Depth=2
	s_or_b32 exec_lo, exec_lo, s0
	s_delay_alu instid0(SALU_CYCLE_1)
	s_mov_b32 s0, exec_lo
	v_cmpx_lt_u32_e64 v54, v21
	s_cbranch_execz .LBB1747_342
.LBB1747_357:                           ;   in Loop: Header=BB1747_310 Depth=2
	v_cmp_gt_i16_e32 vcc_lo, 0, v12
	v_lshlrev_b32_e32 v5, 2, v48
	v_cndmask_b32_e64 v4, 0x7fff, 0, vcc_lo
	s_delay_alu instid0(VALU_DEP_1) | instskip(NEXT) | instid1(VALU_DEP_1)
	v_xor_b32_e32 v4, v4, v12
	v_cmp_ne_u16_e32 vcc_lo, 0x8000, v4
	v_cndmask_b32_e32 v4, 0x7fff, v4, vcc_lo
	s_delay_alu instid0(VALU_DEP_1) | instskip(NEXT) | instid1(VALU_DEP_1)
	v_and_b32_e32 v4, 0xffff, v4
	v_lshrrev_b32_e32 v4, s48, v4
	s_delay_alu instid0(VALU_DEP_1) | instskip(NEXT) | instid1(VALU_DEP_1)
	v_and_b32_e32 v4, s55, v4
	v_lshl_or_b32 v4, v4, 4, v5
	ds_add_u32 v4, v94
	s_or_b32 exec_lo, exec_lo, s0
	s_delay_alu instid0(SALU_CYCLE_1)
	s_mov_b32 s0, exec_lo
	v_cmpx_lt_u32_e64 v55, v21
	s_cbranch_execnz .LBB1747_343
.LBB1747_358:                           ;   in Loop: Header=BB1747_310 Depth=2
	s_or_b32 exec_lo, exec_lo, s0
	s_delay_alu instid0(SALU_CYCLE_1)
	s_mov_b32 s0, exec_lo
	v_cmpx_lt_u32_e64 v56, v21
	s_cbranch_execz .LBB1747_344
.LBB1747_359:                           ;   in Loop: Header=BB1747_310 Depth=2
	v_cmp_gt_i16_e32 vcc_lo, 0, v10
	v_lshlrev_b32_e32 v5, 2, v48
	v_cndmask_b32_e64 v4, 0x7fff, 0, vcc_lo
	s_delay_alu instid0(VALU_DEP_1) | instskip(NEXT) | instid1(VALU_DEP_1)
	v_xor_b32_e32 v4, v4, v10
	v_cmp_ne_u16_e32 vcc_lo, 0x8000, v4
	v_cndmask_b32_e32 v4, 0x7fff, v4, vcc_lo
	s_delay_alu instid0(VALU_DEP_1) | instskip(NEXT) | instid1(VALU_DEP_1)
	v_and_b32_e32 v4, 0xffff, v4
	v_lshrrev_b32_e32 v4, s48, v4
	s_delay_alu instid0(VALU_DEP_1) | instskip(NEXT) | instid1(VALU_DEP_1)
	v_and_b32_e32 v4, s55, v4
	v_lshl_or_b32 v4, v4, 4, v5
	ds_add_u32 v4, v94
	s_or_b32 exec_lo, exec_lo, s0
	s_delay_alu instid0(SALU_CYCLE_1)
	s_mov_b32 s0, exec_lo
	v_cmpx_lt_u32_e64 v57, v21
	s_cbranch_execnz .LBB1747_345
.LBB1747_360:                           ;   in Loop: Header=BB1747_310 Depth=2
	s_or_b32 exec_lo, exec_lo, s0
	s_delay_alu instid0(SALU_CYCLE_1)
	s_mov_b32 s0, exec_lo
	v_cmpx_lt_u32_e64 v58, v21
	s_cbranch_execz .LBB1747_346
.LBB1747_361:                           ;   in Loop: Header=BB1747_310 Depth=2
	v_cmp_gt_i16_e32 vcc_lo, 0, v8
	v_lshlrev_b32_e32 v5, 2, v48
	v_cndmask_b32_e64 v4, 0x7fff, 0, vcc_lo
	s_delay_alu instid0(VALU_DEP_1) | instskip(NEXT) | instid1(VALU_DEP_1)
	v_xor_b32_e32 v4, v4, v8
	v_cmp_ne_u16_e32 vcc_lo, 0x8000, v4
	v_cndmask_b32_e32 v4, 0x7fff, v4, vcc_lo
	s_delay_alu instid0(VALU_DEP_1) | instskip(NEXT) | instid1(VALU_DEP_1)
	v_and_b32_e32 v4, 0xffff, v4
	v_lshrrev_b32_e32 v4, s48, v4
	s_delay_alu instid0(VALU_DEP_1) | instskip(NEXT) | instid1(VALU_DEP_1)
	v_and_b32_e32 v4, s55, v4
	v_lshl_or_b32 v4, v4, 4, v5
	ds_add_u32 v4, v94
	s_or_b32 exec_lo, exec_lo, s0
	s_delay_alu instid0(SALU_CYCLE_1)
	s_mov_b32 s0, exec_lo
	v_cmpx_lt_u32_e64 v59, v21
	s_cbranch_execnz .LBB1747_347
.LBB1747_362:                           ;   in Loop: Header=BB1747_310 Depth=2
	s_or_b32 exec_lo, exec_lo, s0
	s_delay_alu instid0(SALU_CYCLE_1)
	s_mov_b32 s0, exec_lo
	v_cmpx_lt_u32_e64 v60, v21
	s_cbranch_execz .LBB1747_348
.LBB1747_363:                           ;   in Loop: Header=BB1747_310 Depth=2
	v_cmp_gt_i16_e32 vcc_lo, 0, v6
	v_lshlrev_b32_e32 v5, 2, v48
	v_cndmask_b32_e64 v4, 0x7fff, 0, vcc_lo
	s_delay_alu instid0(VALU_DEP_1) | instskip(NEXT) | instid1(VALU_DEP_1)
	v_xor_b32_e32 v4, v4, v6
	v_cmp_ne_u16_e32 vcc_lo, 0x8000, v4
	v_cndmask_b32_e32 v4, 0x7fff, v4, vcc_lo
	s_delay_alu instid0(VALU_DEP_1) | instskip(NEXT) | instid1(VALU_DEP_1)
	v_and_b32_e32 v4, 0xffff, v4
	v_lshrrev_b32_e32 v4, s48, v4
	s_delay_alu instid0(VALU_DEP_1) | instskip(NEXT) | instid1(VALU_DEP_1)
	v_and_b32_e32 v4, s55, v4
	v_lshl_or_b32 v4, v4, 4, v5
	ds_add_u32 v4, v94
	s_or_b32 exec_lo, exec_lo, s0
	s_delay_alu instid0(SALU_CYCLE_1)
	s_mov_b32 s0, exec_lo
	v_cmpx_lt_u32_e64 v61, v21
	s_cbranch_execnz .LBB1747_349
.LBB1747_364:                           ;   in Loop: Header=BB1747_310 Depth=2
	s_or_b32 exec_lo, exec_lo, s0
	s_delay_alu instid0(SALU_CYCLE_1)
	s_mov_b32 s0, exec_lo
	v_cmpx_lt_u32_e64 v63, v21
	s_cbranch_execz .LBB1747_309
.LBB1747_365:                           ;   in Loop: Header=BB1747_310 Depth=2
	s_waitcnt vmcnt(0)
	v_cmp_gt_i16_e32 vcc_lo, 0, v20
	v_lshlrev_b32_e32 v5, 2, v48
	v_cndmask_b32_e64 v4, 0x7fff, 0, vcc_lo
	s_delay_alu instid0(VALU_DEP_1) | instskip(NEXT) | instid1(VALU_DEP_1)
	v_xor_b32_e32 v4, v4, v20
	v_cmp_ne_u16_e32 vcc_lo, 0x8000, v4
	v_cndmask_b32_e32 v4, 0x7fff, v4, vcc_lo
	s_delay_alu instid0(VALU_DEP_1) | instskip(NEXT) | instid1(VALU_DEP_1)
	v_and_b32_e32 v4, 0xffff, v4
	v_lshrrev_b32_e32 v4, s48, v4
	s_delay_alu instid0(VALU_DEP_1) | instskip(NEXT) | instid1(VALU_DEP_1)
	v_and_b32_e32 v4, s55, v4
	v_lshl_or_b32 v4, v4, 4, v5
	ds_add_u32 v4, v94
	s_branch .LBB1747_309
.LBB1747_366:                           ;   in Loop: Header=BB1747_310 Depth=2
	s_or_b32 exec_lo, exec_lo, s11
	s_delay_alu instid0(SALU_CYCLE_1)
	s_mov_b32 s11, exec_lo
	v_cmpx_gt_u32_e64 s8, v45
	s_cbranch_execz .LBB1747_316
.LBB1747_367:                           ;   in Loop: Header=BB1747_310 Depth=2
	global_load_u16 v18, v95, s[0:1] offset:512
	s_or_b32 exec_lo, exec_lo, s11
	s_delay_alu instid0(SALU_CYCLE_1)
	s_mov_b32 s11, exec_lo
	v_cmpx_gt_u32_e64 s8, v46
	s_cbranch_execnz .LBB1747_317
.LBB1747_368:                           ;   in Loop: Header=BB1747_310 Depth=2
	s_or_b32 exec_lo, exec_lo, s11
	s_delay_alu instid0(SALU_CYCLE_1)
	s_mov_b32 s11, exec_lo
	v_cmpx_gt_u32_e64 s8, v47
	s_cbranch_execz .LBB1747_318
.LBB1747_369:                           ;   in Loop: Header=BB1747_310 Depth=2
	global_load_u16 v16, v95, s[0:1] offset:1536
	s_or_b32 exec_lo, exec_lo, s11
	s_delay_alu instid0(SALU_CYCLE_1)
	s_mov_b32 s11, exec_lo
	v_cmpx_gt_u32_e64 s8, v51
	s_cbranch_execnz .LBB1747_319
.LBB1747_370:                           ;   in Loop: Header=BB1747_310 Depth=2
	s_or_b32 exec_lo, exec_lo, s11
	s_delay_alu instid0(SALU_CYCLE_1)
	s_mov_b32 s11, exec_lo
	v_cmpx_gt_u32_e64 s8, v52
	s_cbranch_execz .LBB1747_320
.LBB1747_371:                           ;   in Loop: Header=BB1747_310 Depth=2
	global_load_u16 v14, v95, s[0:1] offset:2560
	s_or_b32 exec_lo, exec_lo, s11
	s_delay_alu instid0(SALU_CYCLE_1)
	s_mov_b32 s11, exec_lo
	v_cmpx_gt_u32_e64 s8, v53
	s_cbranch_execnz .LBB1747_321
.LBB1747_372:                           ;   in Loop: Header=BB1747_310 Depth=2
	s_or_b32 exec_lo, exec_lo, s11
	s_delay_alu instid0(SALU_CYCLE_1)
	s_mov_b32 s11, exec_lo
	v_cmpx_gt_u32_e64 s8, v54
	s_cbranch_execz .LBB1747_322
.LBB1747_373:                           ;   in Loop: Header=BB1747_310 Depth=2
	global_load_u16 v12, v95, s[0:1] offset:3584
	s_or_b32 exec_lo, exec_lo, s11
	s_delay_alu instid0(SALU_CYCLE_1)
	s_mov_b32 s11, exec_lo
	v_cmpx_gt_u32_e64 s8, v55
	s_cbranch_execnz .LBB1747_323
.LBB1747_374:                           ;   in Loop: Header=BB1747_310 Depth=2
	s_or_b32 exec_lo, exec_lo, s11
	s_delay_alu instid0(SALU_CYCLE_1)
	s_mov_b32 s11, exec_lo
	v_cmpx_gt_u32_e64 s8, v56
	s_cbranch_execz .LBB1747_324
.LBB1747_375:                           ;   in Loop: Header=BB1747_310 Depth=2
	global_load_u16 v10, v97, s[0:1]
	s_or_b32 exec_lo, exec_lo, s11
	s_delay_alu instid0(SALU_CYCLE_1)
	s_mov_b32 s11, exec_lo
	v_cmpx_gt_u32_e64 s8, v57
	s_cbranch_execnz .LBB1747_325
.LBB1747_376:                           ;   in Loop: Header=BB1747_310 Depth=2
	s_or_b32 exec_lo, exec_lo, s11
	s_delay_alu instid0(SALU_CYCLE_1)
	s_mov_b32 s11, exec_lo
	v_cmpx_gt_u32_e64 s8, v58
	s_cbranch_execz .LBB1747_326
.LBB1747_377:                           ;   in Loop: Header=BB1747_310 Depth=2
	global_load_u16 v8, v99, s[0:1]
	s_or_b32 exec_lo, exec_lo, s11
	s_delay_alu instid0(SALU_CYCLE_1)
	s_mov_b32 s11, exec_lo
	v_cmpx_gt_u32_e64 s8, v59
	s_cbranch_execnz .LBB1747_327
.LBB1747_378:                           ;   in Loop: Header=BB1747_310 Depth=2
	s_or_b32 exec_lo, exec_lo, s11
	s_delay_alu instid0(SALU_CYCLE_1)
	s_mov_b32 s11, exec_lo
	v_cmpx_gt_u32_e64 s8, v60
	s_cbranch_execz .LBB1747_328
.LBB1747_379:                           ;   in Loop: Header=BB1747_310 Depth=2
	global_load_u16 v6, v101, s[0:1]
	s_or_b32 exec_lo, exec_lo, s11
	s_delay_alu instid0(SALU_CYCLE_1)
	s_mov_b32 s11, exec_lo
	v_cmpx_gt_u32_e64 s8, v61
	s_cbranch_execz .LBB1747_330
	s_branch .LBB1747_329
.LBB1747_380:                           ;   in Loop: Header=BB1747_12 Depth=1
	v_mov_b32_e32 v2, 0
	s_waitcnt vmcnt(0) lgkmcnt(0)
	s_barrier
	buffer_gl0_inv
	s_and_saveexec_b32 s0, s2
	s_cbranch_execz .LBB1747_382
; %bb.381:                              ;   in Loop: Header=BB1747_12 Depth=1
	ds_load_2addr_b64 v[4:7], v64 offset1:1
	s_waitcnt lgkmcnt(0)
	v_add_nc_u32_e32 v2, v5, v4
	s_delay_alu instid0(VALU_DEP_1)
	v_add3_u32 v2, v2, v6, v7
.LBB1747_382:                           ;   in Loop: Header=BB1747_12 Depth=1
	s_or_b32 exec_lo, exec_lo, s0
	v_and_b32_e32 v4, 15, v104
	s_delay_alu instid0(VALU_DEP_2) | instskip(SKIP_1) | instid1(VALU_DEP_3)
	v_mov_b32_dpp v5, v2 row_shr:1 row_mask:0xf bank_mask:0xf
	v_and_b32_e32 v6, 16, v104
	v_cmp_eq_u32_e64 s0, 0, v4
	v_cmp_lt_u32_e64 s1, 1, v4
	v_cmp_lt_u32_e64 s8, 3, v4
	;; [unrolled: 1-line block ×3, first 2 shown]
	v_cmp_eq_u32_e64 s10, 0, v6
	v_cndmask_b32_e64 v5, v5, 0, s0
	s_delay_alu instid0(VALU_DEP_1) | instskip(NEXT) | instid1(VALU_DEP_1)
	v_add_nc_u32_e32 v2, v5, v2
	v_mov_b32_dpp v5, v2 row_shr:2 row_mask:0xf bank_mask:0xf
	s_delay_alu instid0(VALU_DEP_1) | instskip(NEXT) | instid1(VALU_DEP_1)
	v_cndmask_b32_e64 v5, 0, v5, s1
	v_add_nc_u32_e32 v2, v2, v5
	s_delay_alu instid0(VALU_DEP_1) | instskip(NEXT) | instid1(VALU_DEP_1)
	v_mov_b32_dpp v5, v2 row_shr:4 row_mask:0xf bank_mask:0xf
	v_cndmask_b32_e64 v5, 0, v5, s8
	s_delay_alu instid0(VALU_DEP_1) | instskip(NEXT) | instid1(VALU_DEP_1)
	v_add_nc_u32_e32 v2, v2, v5
	v_mov_b32_dpp v5, v2 row_shr:8 row_mask:0xf bank_mask:0xf
	s_delay_alu instid0(VALU_DEP_1) | instskip(SKIP_1) | instid1(VALU_DEP_2)
	v_cndmask_b32_e64 v4, 0, v5, s9
	v_bfe_i32 v5, v104, 4, 1
	v_add_nc_u32_e32 v2, v2, v4
	ds_swizzle_b32 v4, v2 offset:swizzle(BROADCAST,32,15)
	s_waitcnt lgkmcnt(0)
	v_and_b32_e32 v4, v5, v4
	s_delay_alu instid0(VALU_DEP_1)
	v_add_nc_u32_e32 v4, v2, v4
	s_and_saveexec_b32 s11, s3
	s_cbranch_execz .LBB1747_384
; %bb.383:                              ;   in Loop: Header=BB1747_12 Depth=1
	ds_store_b32 v65, v4
.LBB1747_384:                           ;   in Loop: Header=BB1747_12 Depth=1
	s_or_b32 exec_lo, exec_lo, s11
	v_and_b32_e32 v2, 7, v104
	s_waitcnt lgkmcnt(0)
	s_barrier
	buffer_gl0_inv
	s_and_saveexec_b32 s11, s4
	s_cbranch_execz .LBB1747_386
; %bb.385:                              ;   in Loop: Header=BB1747_12 Depth=1
	ds_load_b32 v5, v66
	v_cmp_ne_u32_e32 vcc_lo, 0, v2
	s_waitcnt lgkmcnt(0)
	v_mov_b32_dpp v6, v5 row_shr:1 row_mask:0xf bank_mask:0xf
	s_delay_alu instid0(VALU_DEP_1) | instskip(SKIP_1) | instid1(VALU_DEP_2)
	v_cndmask_b32_e32 v6, 0, v6, vcc_lo
	v_cmp_lt_u32_e32 vcc_lo, 1, v2
	v_add_nc_u32_e32 v5, v6, v5
	s_delay_alu instid0(VALU_DEP_1) | instskip(NEXT) | instid1(VALU_DEP_1)
	v_mov_b32_dpp v6, v5 row_shr:2 row_mask:0xf bank_mask:0xf
	v_cndmask_b32_e32 v6, 0, v6, vcc_lo
	v_cmp_lt_u32_e32 vcc_lo, 3, v2
	s_delay_alu instid0(VALU_DEP_2) | instskip(NEXT) | instid1(VALU_DEP_1)
	v_add_nc_u32_e32 v5, v5, v6
	v_mov_b32_dpp v6, v5 row_shr:4 row_mask:0xf bank_mask:0xf
	s_delay_alu instid0(VALU_DEP_1) | instskip(NEXT) | instid1(VALU_DEP_1)
	v_cndmask_b32_e32 v6, 0, v6, vcc_lo
	v_add_nc_u32_e32 v5, v5, v6
	ds_store_b32 v66, v5
.LBB1747_386:                           ;   in Loop: Header=BB1747_12 Depth=1
	s_or_b32 exec_lo, exec_lo, s11
	v_mov_b32_e32 v5, 0
	s_waitcnt lgkmcnt(0)
	s_barrier
	buffer_gl0_inv
	s_and_saveexec_b32 s11, s5
	s_cbranch_execz .LBB1747_388
; %bb.387:                              ;   in Loop: Header=BB1747_12 Depth=1
	ds_load_b32 v5, v67
.LBB1747_388:                           ;   in Loop: Header=BB1747_12 Depth=1
	s_or_b32 exec_lo, exec_lo, s11
	v_add_nc_u32_e32 v6, -1, v104
	s_waitcnt lgkmcnt(0)
	v_add_nc_u32_e32 v4, v5, v4
	v_cmp_eq_u32_e64 s11, 0, v104
	s_barrier
	v_cmp_gt_i32_e32 vcc_lo, 0, v6
	buffer_gl0_inv
	v_cndmask_b32_e32 v6, v6, v104, vcc_lo
	s_delay_alu instid0(VALU_DEP_1)
	v_lshlrev_b32_e32 v105, 2, v6
	ds_bpermute_b32 v4, v105, v4
	s_and_saveexec_b32 s12, s2
	s_cbranch_execz .LBB1747_390
; %bb.389:                              ;   in Loop: Header=BB1747_12 Depth=1
	s_waitcnt lgkmcnt(0)
	v_cndmask_b32_e64 v4, v4, v5, s11
	s_delay_alu instid0(VALU_DEP_1)
	v_add_nc_u32_e32 v4, s52, v4
	ds_store_b32 v44, v4
.LBB1747_390:                           ;   in Loop: Header=BB1747_12 Depth=1
	s_or_b32 exec_lo, exec_lo, s12
	s_load_b64 s[12:13], s[42:43], 0x0
	v_lshlrev_b32_e32 v5, 3, v104
	v_cmp_lt_u32_e64 s14, 3, v2
	v_or_b32_e32 v106, v104, v68
	s_mov_b32 s56, s54
	s_mov_b32 s34, s52
	v_add_co_u32 v107, vcc_lo, v84, v5
	v_add_co_ci_u32_e32 v108, vcc_lo, 0, v85, vcc_lo
	v_or_b32_e32 v109, 32, v106
	v_or_b32_e32 v110, 64, v106
	;; [unrolled: 1-line block ×10, first 2 shown]
	s_waitcnt lgkmcnt(0)
	s_cmp_lt_u32 s15, s13
	v_or_b32_e32 v119, 0x160, v106
	s_cselect_b32 s13, 14, 20
	v_or_b32_e32 v120, 0x180, v106
	s_add_u32 s16, s42, s13
	s_addc_u32 s17, s43, 0
	s_cmp_lt_u32 s26, s12
	global_load_u16 v4, v3, s[16:17]
	s_cselect_b32 s12, 12, 18
	v_or_b32_e32 v121, 0x1a0, v106
	s_add_u32 s12, s42, s12
	s_addc_u32 s13, s43, 0
	v_or_b32_e32 v122, 0x1c0, v106
	global_load_u16 v6, v3, s[12:13]
	v_cmp_eq_u32_e64 s12, 0, v2
	v_cmp_lt_u32_e64 s13, 1, v2
	v_lshlrev_b32_e32 v2, 1, v104
	v_or_b32_e32 v123, 0x1e0, v106
                                        ; implicit-def: $vgpr8_vgpr9
                                        ; implicit-def: $vgpr10_vgpr11
                                        ; implicit-def: $vgpr12_vgpr13
                                        ; implicit-def: $vgpr14_vgpr15
                                        ; implicit-def: $vgpr16_vgpr17
                                        ; implicit-def: $vgpr18_vgpr19
                                        ; implicit-def: $vgpr20_vgpr21
                                        ; implicit-def: $vgpr22_vgpr23
                                        ; implicit-def: $vgpr24_vgpr25
                                        ; implicit-def: $vgpr26_vgpr27
                                        ; implicit-def: $vgpr28_vgpr29
                                        ; implicit-def: $vgpr30_vgpr31
                                        ; implicit-def: $vgpr32_vgpr33
                                        ; implicit-def: $vgpr34_vgpr35
                                        ; implicit-def: $vgpr129
                                        ; implicit-def: $vgpr130
                                        ; implicit-def: $vgpr131
                                        ; implicit-def: $vgpr132
                                        ; implicit-def: $vgpr133
                                        ; implicit-def: $vgpr134
                                        ; implicit-def: $vgpr135
                                        ; implicit-def: $vgpr136
                                        ; implicit-def: $vgpr137
                                        ; implicit-def: $vgpr138
                                        ; implicit-def: $vgpr139
                                        ; implicit-def: $vgpr140
                                        ; implicit-def: $vgpr141
                                        ; implicit-def: $vgpr142
                                        ; implicit-def: $vgpr143
                                        ; implicit-def: $vgpr144
	s_delay_alu instid0(VALU_DEP_2) | instskip(SKIP_1) | instid1(VALU_DEP_2)
	v_add_co_u32 v124, vcc_lo, v86, v2
	v_add_co_ci_u32_e32 v125, vcc_lo, 0, v87, vcc_lo
	v_add_co_u32 v127, vcc_lo, 0x3c0, v124
	s_delay_alu instid0(VALU_DEP_2) | instskip(SKIP_3) | instid1(VALU_DEP_1)
	v_add_co_ci_u32_e32 v128, vcc_lo, 0, v125, vcc_lo
	s_waitcnt vmcnt(1)
	v_mad_u32_u24 v7, v70, v4, v0
	s_waitcnt vmcnt(0)
	v_mad_u64_u32 v[4:5], null, v7, v6, v[1:2]
                                        ; implicit-def: $vgpr6_vgpr7
	s_delay_alu instid0(VALU_DEP_1)
	v_lshrrev_b32_e32 v126, 5, v4
                                        ; implicit-def: $vgpr4_vgpr5
	s_branch .LBB1747_392
.LBB1747_391:                           ;   in Loop: Header=BB1747_392 Depth=2
	s_or_b32 exec_lo, exec_lo, s16
	s_addk_i32 s56, 0xf000
	s_cmp_lt_u32 s57, s53
	s_mov_b32 s34, s57
	s_cbranch_scc0 .LBB1747_600
.LBB1747_392:                           ;   Parent Loop BB1747_12 Depth=1
                                        ; =>  This Inner Loop Header: Depth=2
	s_add_i32 s57, s34, 0x1000
	s_delay_alu instid0(SALU_CYCLE_1)
	s_cmp_gt_u32 s57, s53
	s_cbranch_scc1 .LBB1747_395
; %bb.393:                              ;   in Loop: Header=BB1747_392 Depth=2
	s_mov_b32 s17, 0
	s_mov_b32 s16, s34
	s_delay_alu instid0(SALU_CYCLE_1) | instskip(NEXT) | instid1(SALU_CYCLE_1)
	s_lshl_b64 s[18:19], s[16:17], 1
	v_add_co_u32 v36, vcc_lo, v124, s18
	v_add_co_ci_u32_e32 v37, vcc_lo, s19, v125, vcc_lo
	s_mov_b32 s19, -1
	s_movk_i32 s18, 0x1000
	s_clause 0xe
	global_load_u16 v2, v[36:37], off
	global_load_u16 v146, v[36:37], off offset:64
	global_load_u16 v149, v[36:37], off offset:128
	;; [unrolled: 1-line block ×14, first 2 shown]
	s_cbranch_execz .LBB1747_396
; %bb.394:                              ;   in Loop: Header=BB1747_392 Depth=2
                                        ; implicit-def: $sgpr20
	v_dual_mov_b32 v36, s20 :: v_dual_mov_b32 v145, s56
	s_and_saveexec_b32 s20, s19
	s_cbranch_execnz .LBB1747_427
	s_branch .LBB1747_428
.LBB1747_395:                           ;   in Loop: Header=BB1747_392 Depth=2
	s_mov_b32 s17, -1
	s_mov_b32 s19, 0
                                        ; implicit-def: $sgpr18
                                        ; implicit-def: $vgpr2
                                        ; implicit-def: $vgpr146
                                        ; implicit-def: $vgpr149
                                        ; implicit-def: $vgpr153
                                        ; implicit-def: $vgpr157
                                        ; implicit-def: $vgpr161
                                        ; implicit-def: $vgpr165
                                        ; implicit-def: $vgpr170
                                        ; implicit-def: $vgpr169
                                        ; implicit-def: $vgpr43
                                        ; implicit-def: $vgpr42
                                        ; implicit-def: $vgpr41
                                        ; implicit-def: $vgpr40
                                        ; implicit-def: $vgpr39
                                        ; implicit-def: $vgpr38
.LBB1747_396:                           ;   in Loop: Header=BB1747_392 Depth=2
	s_lshl_b64 s[16:17], s[34:35], 1
	s_waitcnt vmcnt(13)
	v_mov_b32_e32 v146, -1
	v_add_co_u32 v36, vcc_lo, v124, s16
	v_add_co_ci_u32_e32 v37, vcc_lo, s17, v125, vcc_lo
	v_mov_b32_e32 v2, -1
	s_mov_b32 s16, exec_lo
	v_cmpx_gt_u32_e64 s56, v106
	s_cbranch_execz .LBB1747_398
; %bb.397:                              ;   in Loop: Header=BB1747_392 Depth=2
	global_load_u16 v2, v[36:37], off
.LBB1747_398:                           ;   in Loop: Header=BB1747_392 Depth=2
	s_or_b32 exec_lo, exec_lo, s16
	s_delay_alu instid0(SALU_CYCLE_1)
	s_mov_b32 s16, exec_lo
	v_cmpx_gt_u32_e64 s56, v109
	s_cbranch_execz .LBB1747_400
; %bb.399:                              ;   in Loop: Header=BB1747_392 Depth=2
	global_load_u16 v146, v[36:37], off offset:64
.LBB1747_400:                           ;   in Loop: Header=BB1747_392 Depth=2
	s_or_b32 exec_lo, exec_lo, s16
	s_waitcnt vmcnt(11)
	v_mov_b32_e32 v153, -1
	v_mov_b32_e32 v149, -1
	s_mov_b32 s16, exec_lo
	v_cmpx_gt_u32_e64 s56, v110
	s_cbranch_execz .LBB1747_402
; %bb.401:                              ;   in Loop: Header=BB1747_392 Depth=2
	global_load_u16 v149, v[36:37], off offset:128
.LBB1747_402:                           ;   in Loop: Header=BB1747_392 Depth=2
	s_or_b32 exec_lo, exec_lo, s16
	s_delay_alu instid0(SALU_CYCLE_1)
	s_mov_b32 s16, exec_lo
	v_cmpx_gt_u32_e64 s56, v111
	s_cbranch_execz .LBB1747_404
; %bb.403:                              ;   in Loop: Header=BB1747_392 Depth=2
	global_load_u16 v153, v[36:37], off offset:192
.LBB1747_404:                           ;   in Loop: Header=BB1747_392 Depth=2
	s_or_b32 exec_lo, exec_lo, s16
	s_waitcnt vmcnt(9)
	v_mov_b32_e32 v161, -1
	v_mov_b32_e32 v157, -1
	s_mov_b32 s16, exec_lo
	v_cmpx_gt_u32_e64 s56, v112
	s_cbranch_execz .LBB1747_406
; %bb.405:                              ;   in Loop: Header=BB1747_392 Depth=2
	global_load_u16 v157, v[36:37], off offset:256
.LBB1747_406:                           ;   in Loop: Header=BB1747_392 Depth=2
	s_or_b32 exec_lo, exec_lo, s16
	s_delay_alu instid0(SALU_CYCLE_1)
	s_mov_b32 s16, exec_lo
	v_cmpx_gt_u32_e64 s56, v113
	s_cbranch_execz .LBB1747_408
; %bb.407:                              ;   in Loop: Header=BB1747_392 Depth=2
	global_load_u16 v161, v[36:37], off offset:320
.LBB1747_408:                           ;   in Loop: Header=BB1747_392 Depth=2
	s_or_b32 exec_lo, exec_lo, s16
	s_waitcnt vmcnt(7)
	v_dual_mov_b32 v170, -1 :: v_dual_mov_b32 v165, -1
	s_mov_b32 s16, exec_lo
	v_cmpx_gt_u32_e64 s56, v114
	s_cbranch_execz .LBB1747_410
; %bb.409:                              ;   in Loop: Header=BB1747_392 Depth=2
	global_load_u16 v165, v[36:37], off offset:384
.LBB1747_410:                           ;   in Loop: Header=BB1747_392 Depth=2
	s_or_b32 exec_lo, exec_lo, s16
	s_delay_alu instid0(SALU_CYCLE_1)
	s_mov_b32 s16, exec_lo
	v_cmpx_gt_u32_e64 s56, v115
	s_cbranch_execz .LBB1747_412
; %bb.411:                              ;   in Loop: Header=BB1747_392 Depth=2
	global_load_u16 v170, v[36:37], off offset:448
.LBB1747_412:                           ;   in Loop: Header=BB1747_392 Depth=2
	s_or_b32 exec_lo, exec_lo, s16
	s_waitcnt vmcnt(5)
	v_mov_b32_e32 v43, -1
	v_mov_b32_e32 v169, -1
	s_mov_b32 s16, exec_lo
	v_cmpx_gt_u32_e64 s56, v116
	s_cbranch_execz .LBB1747_414
; %bb.413:                              ;   in Loop: Header=BB1747_392 Depth=2
	global_load_u16 v169, v[36:37], off offset:512
.LBB1747_414:                           ;   in Loop: Header=BB1747_392 Depth=2
	s_or_b32 exec_lo, exec_lo, s16
	s_delay_alu instid0(SALU_CYCLE_1)
	s_mov_b32 s16, exec_lo
	v_cmpx_gt_u32_e64 s56, v117
	s_cbranch_execz .LBB1747_416
; %bb.415:                              ;   in Loop: Header=BB1747_392 Depth=2
	global_load_u16 v43, v[36:37], off offset:576
.LBB1747_416:                           ;   in Loop: Header=BB1747_392 Depth=2
	s_or_b32 exec_lo, exec_lo, s16
	s_waitcnt vmcnt(3)
	v_dual_mov_b32 v41, -1 :: v_dual_mov_b32 v42, -1
	s_mov_b32 s16, exec_lo
	v_cmpx_gt_u32_e64 s56, v118
	s_cbranch_execz .LBB1747_418
; %bb.417:                              ;   in Loop: Header=BB1747_392 Depth=2
	global_load_u16 v42, v[36:37], off offset:640
.LBB1747_418:                           ;   in Loop: Header=BB1747_392 Depth=2
	s_or_b32 exec_lo, exec_lo, s16
	s_delay_alu instid0(SALU_CYCLE_1)
	s_mov_b32 s16, exec_lo
	v_cmpx_gt_u32_e64 s56, v119
	s_cbranch_execz .LBB1747_420
; %bb.419:                              ;   in Loop: Header=BB1747_392 Depth=2
	global_load_u16 v41, v[36:37], off offset:704
.LBB1747_420:                           ;   in Loop: Header=BB1747_392 Depth=2
	s_or_b32 exec_lo, exec_lo, s16
	s_waitcnt vmcnt(1)
	v_dual_mov_b32 v39, -1 :: v_dual_mov_b32 v40, -1
	s_mov_b32 s16, exec_lo
	v_cmpx_gt_u32_e64 s56, v120
	s_cbranch_execz .LBB1747_422
; %bb.421:                              ;   in Loop: Header=BB1747_392 Depth=2
	global_load_u16 v40, v[36:37], off offset:768
.LBB1747_422:                           ;   in Loop: Header=BB1747_392 Depth=2
	s_or_b32 exec_lo, exec_lo, s16
	s_delay_alu instid0(SALU_CYCLE_1)
	s_mov_b32 s16, exec_lo
	v_cmpx_gt_u32_e64 s56, v121
	s_cbranch_execz .LBB1747_424
; %bb.423:                              ;   in Loop: Header=BB1747_392 Depth=2
	global_load_u16 v39, v[36:37], off offset:832
.LBB1747_424:                           ;   in Loop: Header=BB1747_392 Depth=2
	s_or_b32 exec_lo, exec_lo, s16
	s_waitcnt vmcnt(0)
	v_mov_b32_e32 v38, -1
	s_mov_b32 s16, exec_lo
	v_cmpx_gt_u32_e64 s56, v122
	s_cbranch_execz .LBB1747_426
; %bb.425:                              ;   in Loop: Header=BB1747_392 Depth=2
	global_load_u16 v38, v[36:37], off offset:896
.LBB1747_426:                           ;   in Loop: Header=BB1747_392 Depth=2
	s_or_b32 exec_lo, exec_lo, s16
	v_cmp_gt_u32_e64 s19, s56, v123
	s_sub_i32 s18, s53, s34
	s_mov_b32 s20, -1
	s_mov_b64 s[16:17], s[34:35]
	v_dual_mov_b32 v36, s20 :: v_dual_mov_b32 v145, s56
	s_and_saveexec_b32 s20, s19
	s_cbranch_execz .LBB1747_428
.LBB1747_427:                           ;   in Loop: Header=BB1747_392 Depth=2
	s_lshl_b64 s[16:17], s[16:17], 1
	v_mov_b32_e32 v145, s18
	v_add_co_u32 v36, vcc_lo, v127, s16
	v_add_co_ci_u32_e32 v37, vcc_lo, s17, v128, vcc_lo
	global_load_u16 v36, v[36:37], off
.LBB1747_428:                           ;   in Loop: Header=BB1747_392 Depth=2
	s_or_b32 exec_lo, exec_lo, s20
	s_waitcnt vmcnt(14)
	v_cmp_gt_i16_e32 vcc_lo, 0, v2
	ds_store_b32 v69, v3 offset:1056
	ds_store_2addr_b32 v71, v3, v3 offset0:1 offset1:2
	ds_store_2addr_b32 v71, v3, v3 offset0:3 offset1:4
	;; [unrolled: 1-line block ×4, first 2 shown]
	s_waitcnt vmcnt(0) lgkmcnt(0)
	s_barrier
	v_cndmask_b32_e64 v37, 0x7fff, 0, vcc_lo
	buffer_gl0_inv
	; wave barrier
	v_xor_b32_e32 v2, v37, v2
	s_delay_alu instid0(VALU_DEP_1) | instskip(SKIP_1) | instid1(VALU_DEP_1)
	v_cmp_ne_u16_e32 vcc_lo, 0x8000, v2
	v_cndmask_b32_e32 v37, 0x7fff, v2, vcc_lo
	v_and_b32_e32 v37, 0xffff, v37
	s_delay_alu instid0(VALU_DEP_1) | instskip(NEXT) | instid1(VALU_DEP_1)
	v_lshrrev_b32_e32 v37, s48, v37
	v_and_b32_e32 v148, s55, v37
	s_delay_alu instid0(VALU_DEP_1)
	v_lshlrev_b32_e32 v150, 29, v148
	v_and_b32_e32 v37, 1, v148
	v_lshlrev_b32_e32 v147, 30, v148
	v_lshlrev_b32_e32 v151, 28, v148
	;; [unrolled: 1-line block ×4, first 2 shown]
	v_add_co_u32 v37, s16, v37, -1
	s_delay_alu instid0(VALU_DEP_1)
	v_cndmask_b32_e64 v152, 0, 1, s16
	v_not_b32_e32 v158, v147
	v_cmp_gt_i32_e64 s16, 0, v147
	v_not_b32_e32 v147, v150
	v_lshlrev_b32_e32 v156, 25, v148
	v_cmp_ne_u32_e32 vcc_lo, 0, v152
	v_ashrrev_i32_e32 v158, 31, v158
	v_lshlrev_b32_e32 v152, 24, v148
	v_ashrrev_i32_e32 v147, 31, v147
	v_mad_u32_u24 v148, v148, 9, v126
	v_xor_b32_e32 v37, vcc_lo, v37
	v_cmp_gt_i32_e32 vcc_lo, 0, v150
	v_not_b32_e32 v150, v151
	v_xor_b32_e32 v158, s16, v158
	v_cmp_gt_i32_e64 s16, 0, v151
	v_and_b32_e32 v37, exec_lo, v37
	v_not_b32_e32 v151, v154
	v_ashrrev_i32_e32 v150, 31, v150
	v_xor_b32_e32 v147, vcc_lo, v147
	v_cmp_gt_i32_e32 vcc_lo, 0, v154
	v_and_b32_e32 v37, v37, v158
	v_not_b32_e32 v154, v155
	v_ashrrev_i32_e32 v151, 31, v151
	v_xor_b32_e32 v150, s16, v150
	v_cmp_gt_i32_e64 s16, 0, v155
	v_and_b32_e32 v37, v37, v147
	v_not_b32_e32 v147, v156
	v_ashrrev_i32_e32 v154, 31, v154
	v_xor_b32_e32 v151, vcc_lo, v151
	v_cmp_gt_i32_e32 vcc_lo, 0, v156
	v_and_b32_e32 v37, v37, v150
	v_not_b32_e32 v150, v152
	v_ashrrev_i32_e32 v147, 31, v147
	v_xor_b32_e32 v154, s16, v154
	v_cmp_gt_i32_e64 s16, 0, v152
	v_and_b32_e32 v37, v37, v151
	v_ashrrev_i32_e32 v150, 31, v150
	v_xor_b32_e32 v147, vcc_lo, v147
	v_lshl_add_u32 v148, v148, 2, 0x420
	s_delay_alu instid0(VALU_DEP_4) | instskip(NEXT) | instid1(VALU_DEP_4)
	v_and_b32_e32 v37, v37, v154
	v_xor_b32_e32 v150, s16, v150
	s_delay_alu instid0(VALU_DEP_2) | instskip(NEXT) | instid1(VALU_DEP_1)
	v_and_b32_e32 v37, v37, v147
	v_and_b32_e32 v37, v37, v150
	s_delay_alu instid0(VALU_DEP_1) | instskip(SKIP_1) | instid1(VALU_DEP_2)
	v_mbcnt_lo_u32_b32 v147, v37, 0
	v_cmp_ne_u32_e64 s16, 0, v37
	v_cmp_eq_u32_e32 vcc_lo, 0, v147
	s_delay_alu instid0(VALU_DEP_2) | instskip(NEXT) | instid1(SALU_CYCLE_1)
	s_and_b32 s17, s16, vcc_lo
	s_and_saveexec_b32 s16, s17
	s_cbranch_execz .LBB1747_430
; %bb.429:                              ;   in Loop: Header=BB1747_392 Depth=2
	v_bcnt_u32_b32 v37, v37, 0
	ds_store_b32 v148, v37
.LBB1747_430:                           ;   in Loop: Header=BB1747_392 Depth=2
	s_or_b32 exec_lo, exec_lo, s16
	v_cmp_gt_i16_e64 vcc_lo, 0, v146
	; wave barrier
	s_delay_alu instid0(VALU_DEP_1) | instskip(NEXT) | instid1(VALU_DEP_1)
	v_cndmask_b32_e64 v37, 0x7fff, 0, vcc_lo
	v_xor_b32_e32 v146, v37, v146
	s_delay_alu instid0(VALU_DEP_1) | instskip(SKIP_1) | instid1(VALU_DEP_1)
	v_cmp_ne_u16_e64 vcc_lo, 0x8000, v146
	v_cndmask_b32_e32 v37, 0x7fff, v146, vcc_lo
	v_and_b32_e32 v37, 0xffff, v37
	s_delay_alu instid0(VALU_DEP_1) | instskip(NEXT) | instid1(VALU_DEP_1)
	v_lshrrev_b32_e32 v37, s48, v37
	v_and_b32_e32 v37, s55, v37
	s_delay_alu instid0(VALU_DEP_1)
	v_and_b32_e32 v150, 1, v37
	v_lshlrev_b32_e32 v151, 30, v37
	v_lshlrev_b32_e32 v152, 29, v37
	;; [unrolled: 1-line block ×4, first 2 shown]
	v_add_co_u32 v150, s16, v150, -1
	s_delay_alu instid0(VALU_DEP_1)
	v_cndmask_b32_e64 v155, 0, 1, s16
	v_not_b32_e32 v160, v151
	v_cmp_gt_i32_e64 s16, 0, v151
	v_not_b32_e32 v151, v152
	v_lshlrev_b32_e32 v158, 26, v37
	v_cmp_ne_u32_e32 vcc_lo, 0, v155
	v_ashrrev_i32_e32 v160, 31, v160
	v_lshlrev_b32_e32 v159, 25, v37
	v_ashrrev_i32_e32 v151, 31, v151
	v_lshlrev_b32_e32 v155, 24, v37
	v_xor_b32_e32 v150, vcc_lo, v150
	v_cmp_gt_i32_e32 vcc_lo, 0, v152
	v_not_b32_e32 v152, v154
	v_xor_b32_e32 v160, s16, v160
	v_cmp_gt_i32_e64 s16, 0, v154
	v_and_b32_e32 v150, exec_lo, v150
	v_not_b32_e32 v154, v156
	v_ashrrev_i32_e32 v152, 31, v152
	v_xor_b32_e32 v151, vcc_lo, v151
	v_cmp_gt_i32_e32 vcc_lo, 0, v156
	v_and_b32_e32 v150, v150, v160
	v_not_b32_e32 v156, v158
	v_ashrrev_i32_e32 v154, 31, v154
	v_xor_b32_e32 v152, s16, v152
	v_cmp_gt_i32_e64 s16, 0, v158
	v_and_b32_e32 v150, v150, v151
	v_not_b32_e32 v151, v159
	v_ashrrev_i32_e32 v156, 31, v156
	v_xor_b32_e32 v154, vcc_lo, v154
	v_cmp_gt_i32_e32 vcc_lo, 0, v159
	v_and_b32_e32 v150, v150, v152
	v_not_b32_e32 v152, v155
	v_ashrrev_i32_e32 v151, 31, v151
	v_xor_b32_e32 v156, s16, v156
	v_mul_u32_u24_e32 v37, 9, v37
	v_and_b32_e32 v150, v150, v154
	v_cmp_gt_i32_e64 s16, 0, v155
	v_ashrrev_i32_e32 v152, 31, v152
	v_xor_b32_e32 v151, vcc_lo, v151
	v_add_lshl_u32 v154, v37, v126, 2
	v_and_b32_e32 v150, v150, v156
	s_delay_alu instid0(VALU_DEP_4) | instskip(NEXT) | instid1(VALU_DEP_3)
	v_xor_b32_e32 v37, s16, v152
	v_add_nc_u32_e32 v152, 0x420, v154
	s_delay_alu instid0(VALU_DEP_3) | instskip(SKIP_2) | instid1(VALU_DEP_1)
	v_and_b32_e32 v151, v150, v151
	ds_load_b32 v150, v154 offset:1056
	; wave barrier
	v_and_b32_e32 v37, v151, v37
	v_mbcnt_lo_u32_b32 v151, v37, 0
	v_cmp_ne_u32_e64 s16, 0, v37
	s_delay_alu instid0(VALU_DEP_2) | instskip(NEXT) | instid1(VALU_DEP_2)
	v_cmp_eq_u32_e32 vcc_lo, 0, v151
	s_and_b32 s17, s16, vcc_lo
	s_delay_alu instid0(SALU_CYCLE_1)
	s_and_saveexec_b32 s16, s17
	s_cbranch_execz .LBB1747_432
; %bb.431:                              ;   in Loop: Header=BB1747_392 Depth=2
	s_waitcnt lgkmcnt(0)
	v_bcnt_u32_b32 v37, v37, v150
	ds_store_b32 v152, v37
.LBB1747_432:                           ;   in Loop: Header=BB1747_392 Depth=2
	s_or_b32 exec_lo, exec_lo, s16
	v_cmp_gt_i16_e64 vcc_lo, 0, v149
	; wave barrier
	s_delay_alu instid0(VALU_DEP_1) | instskip(NEXT) | instid1(VALU_DEP_1)
	v_cndmask_b32_e64 v37, 0x7fff, 0, vcc_lo
	v_xor_b32_e32 v149, v37, v149
	s_delay_alu instid0(VALU_DEP_1) | instskip(SKIP_1) | instid1(VALU_DEP_1)
	v_cmp_ne_u16_e64 vcc_lo, 0x8000, v149
	v_cndmask_b32_e32 v37, 0x7fff, v149, vcc_lo
	v_and_b32_e32 v37, 0xffff, v37
	s_delay_alu instid0(VALU_DEP_1) | instskip(NEXT) | instid1(VALU_DEP_1)
	v_lshrrev_b32_e32 v37, s48, v37
	v_and_b32_e32 v37, s55, v37
	s_delay_alu instid0(VALU_DEP_1)
	v_and_b32_e32 v154, 1, v37
	v_lshlrev_b32_e32 v155, 30, v37
	v_lshlrev_b32_e32 v156, 29, v37
	;; [unrolled: 1-line block ×4, first 2 shown]
	v_add_co_u32 v154, s16, v154, -1
	s_delay_alu instid0(VALU_DEP_1)
	v_cndmask_b32_e64 v159, 0, 1, s16
	v_not_b32_e32 v164, v155
	v_cmp_gt_i32_e64 s16, 0, v155
	v_not_b32_e32 v155, v156
	v_lshlrev_b32_e32 v162, 26, v37
	v_cmp_ne_u32_e32 vcc_lo, 0, v159
	v_ashrrev_i32_e32 v164, 31, v164
	v_lshlrev_b32_e32 v163, 25, v37
	v_ashrrev_i32_e32 v155, 31, v155
	v_lshlrev_b32_e32 v159, 24, v37
	v_xor_b32_e32 v154, vcc_lo, v154
	v_cmp_gt_i32_e32 vcc_lo, 0, v156
	v_not_b32_e32 v156, v158
	v_xor_b32_e32 v164, s16, v164
	v_cmp_gt_i32_e64 s16, 0, v158
	v_and_b32_e32 v154, exec_lo, v154
	v_not_b32_e32 v158, v160
	v_ashrrev_i32_e32 v156, 31, v156
	v_xor_b32_e32 v155, vcc_lo, v155
	v_cmp_gt_i32_e32 vcc_lo, 0, v160
	v_and_b32_e32 v154, v154, v164
	v_not_b32_e32 v160, v162
	v_ashrrev_i32_e32 v158, 31, v158
	v_xor_b32_e32 v156, s16, v156
	v_cmp_gt_i32_e64 s16, 0, v162
	v_and_b32_e32 v154, v154, v155
	v_not_b32_e32 v155, v163
	v_ashrrev_i32_e32 v160, 31, v160
	v_xor_b32_e32 v158, vcc_lo, v158
	v_cmp_gt_i32_e32 vcc_lo, 0, v163
	v_and_b32_e32 v154, v154, v156
	v_not_b32_e32 v156, v159
	v_ashrrev_i32_e32 v155, 31, v155
	v_xor_b32_e32 v160, s16, v160
	v_mul_u32_u24_e32 v37, 9, v37
	v_and_b32_e32 v154, v154, v158
	v_cmp_gt_i32_e64 s16, 0, v159
	v_ashrrev_i32_e32 v156, 31, v156
	v_xor_b32_e32 v155, vcc_lo, v155
	v_add_lshl_u32 v158, v37, v126, 2
	v_and_b32_e32 v154, v154, v160
	s_delay_alu instid0(VALU_DEP_4) | instskip(NEXT) | instid1(VALU_DEP_3)
	v_xor_b32_e32 v37, s16, v156
	v_add_nc_u32_e32 v156, 0x420, v158
	s_delay_alu instid0(VALU_DEP_3) | instskip(SKIP_2) | instid1(VALU_DEP_1)
	v_and_b32_e32 v155, v154, v155
	ds_load_b32 v154, v158 offset:1056
	; wave barrier
	v_and_b32_e32 v37, v155, v37
	v_mbcnt_lo_u32_b32 v155, v37, 0
	v_cmp_ne_u32_e64 s16, 0, v37
	s_delay_alu instid0(VALU_DEP_2) | instskip(NEXT) | instid1(VALU_DEP_2)
	v_cmp_eq_u32_e32 vcc_lo, 0, v155
	s_and_b32 s17, s16, vcc_lo
	s_delay_alu instid0(SALU_CYCLE_1)
	s_and_saveexec_b32 s16, s17
	s_cbranch_execz .LBB1747_434
; %bb.433:                              ;   in Loop: Header=BB1747_392 Depth=2
	s_waitcnt lgkmcnt(0)
	v_bcnt_u32_b32 v37, v37, v154
	ds_store_b32 v156, v37
.LBB1747_434:                           ;   in Loop: Header=BB1747_392 Depth=2
	s_or_b32 exec_lo, exec_lo, s16
	v_cmp_gt_i16_e64 vcc_lo, 0, v153
	; wave barrier
	s_delay_alu instid0(VALU_DEP_1) | instskip(NEXT) | instid1(VALU_DEP_1)
	v_cndmask_b32_e64 v37, 0x7fff, 0, vcc_lo
	v_xor_b32_e32 v153, v37, v153
	s_delay_alu instid0(VALU_DEP_1) | instskip(SKIP_1) | instid1(VALU_DEP_1)
	v_cmp_ne_u16_e64 vcc_lo, 0x8000, v153
	v_cndmask_b32_e32 v37, 0x7fff, v153, vcc_lo
	v_and_b32_e32 v37, 0xffff, v37
	s_delay_alu instid0(VALU_DEP_1) | instskip(NEXT) | instid1(VALU_DEP_1)
	v_lshrrev_b32_e32 v37, s48, v37
	v_and_b32_e32 v37, s55, v37
	s_delay_alu instid0(VALU_DEP_1)
	v_and_b32_e32 v158, 1, v37
	v_lshlrev_b32_e32 v159, 30, v37
	v_lshlrev_b32_e32 v160, 29, v37
	;; [unrolled: 1-line block ×4, first 2 shown]
	v_add_co_u32 v158, s16, v158, -1
	s_delay_alu instid0(VALU_DEP_1)
	v_cndmask_b32_e64 v163, 0, 1, s16
	v_not_b32_e32 v168, v159
	v_cmp_gt_i32_e64 s16, 0, v159
	v_not_b32_e32 v159, v160
	v_lshlrev_b32_e32 v166, 26, v37
	v_cmp_ne_u32_e32 vcc_lo, 0, v163
	v_ashrrev_i32_e32 v168, 31, v168
	v_lshlrev_b32_e32 v167, 25, v37
	v_ashrrev_i32_e32 v159, 31, v159
	v_lshlrev_b32_e32 v163, 24, v37
	v_xor_b32_e32 v158, vcc_lo, v158
	v_cmp_gt_i32_e32 vcc_lo, 0, v160
	v_not_b32_e32 v160, v162
	v_xor_b32_e32 v168, s16, v168
	v_cmp_gt_i32_e64 s16, 0, v162
	v_and_b32_e32 v158, exec_lo, v158
	v_not_b32_e32 v162, v164
	v_ashrrev_i32_e32 v160, 31, v160
	v_xor_b32_e32 v159, vcc_lo, v159
	v_cmp_gt_i32_e32 vcc_lo, 0, v164
	v_and_b32_e32 v158, v158, v168
	v_not_b32_e32 v164, v166
	v_ashrrev_i32_e32 v162, 31, v162
	v_xor_b32_e32 v160, s16, v160
	v_cmp_gt_i32_e64 s16, 0, v166
	v_and_b32_e32 v158, v158, v159
	v_not_b32_e32 v159, v167
	v_ashrrev_i32_e32 v164, 31, v164
	v_xor_b32_e32 v162, vcc_lo, v162
	v_cmp_gt_i32_e32 vcc_lo, 0, v167
	v_and_b32_e32 v158, v158, v160
	v_not_b32_e32 v160, v163
	v_ashrrev_i32_e32 v159, 31, v159
	v_xor_b32_e32 v164, s16, v164
	v_mul_u32_u24_e32 v37, 9, v37
	v_and_b32_e32 v158, v158, v162
	v_cmp_gt_i32_e64 s16, 0, v163
	v_ashrrev_i32_e32 v160, 31, v160
	v_xor_b32_e32 v159, vcc_lo, v159
	v_add_lshl_u32 v162, v37, v126, 2
	v_and_b32_e32 v158, v158, v164
	s_delay_alu instid0(VALU_DEP_4) | instskip(NEXT) | instid1(VALU_DEP_3)
	v_xor_b32_e32 v37, s16, v160
	v_add_nc_u32_e32 v160, 0x420, v162
	s_delay_alu instid0(VALU_DEP_3) | instskip(SKIP_2) | instid1(VALU_DEP_1)
	v_and_b32_e32 v159, v158, v159
	ds_load_b32 v158, v162 offset:1056
	; wave barrier
	v_and_b32_e32 v37, v159, v37
	v_mbcnt_lo_u32_b32 v159, v37, 0
	v_cmp_ne_u32_e64 s16, 0, v37
	s_delay_alu instid0(VALU_DEP_2) | instskip(NEXT) | instid1(VALU_DEP_2)
	v_cmp_eq_u32_e32 vcc_lo, 0, v159
	s_and_b32 s17, s16, vcc_lo
	s_delay_alu instid0(SALU_CYCLE_1)
	s_and_saveexec_b32 s16, s17
	s_cbranch_execz .LBB1747_436
; %bb.435:                              ;   in Loop: Header=BB1747_392 Depth=2
	s_waitcnt lgkmcnt(0)
	v_bcnt_u32_b32 v37, v37, v158
	ds_store_b32 v160, v37
.LBB1747_436:                           ;   in Loop: Header=BB1747_392 Depth=2
	s_or_b32 exec_lo, exec_lo, s16
	v_cmp_gt_i16_e64 vcc_lo, 0, v157
	; wave barrier
	s_delay_alu instid0(VALU_DEP_1) | instskip(NEXT) | instid1(VALU_DEP_1)
	v_cndmask_b32_e64 v37, 0x7fff, 0, vcc_lo
	v_xor_b32_e32 v157, v37, v157
	s_delay_alu instid0(VALU_DEP_1) | instskip(SKIP_1) | instid1(VALU_DEP_1)
	v_cmp_ne_u16_e64 vcc_lo, 0x8000, v157
	v_cndmask_b32_e32 v37, 0x7fff, v157, vcc_lo
	v_and_b32_e32 v37, 0xffff, v37
	s_delay_alu instid0(VALU_DEP_1) | instskip(NEXT) | instid1(VALU_DEP_1)
	v_lshrrev_b32_e32 v37, s48, v37
	v_and_b32_e32 v37, s55, v37
	s_delay_alu instid0(VALU_DEP_1)
	v_and_b32_e32 v162, 1, v37
	v_lshlrev_b32_e32 v163, 30, v37
	v_lshlrev_b32_e32 v164, 29, v37
	;; [unrolled: 1-line block ×4, first 2 shown]
	v_add_co_u32 v162, s16, v162, -1
	s_delay_alu instid0(VALU_DEP_1)
	v_cndmask_b32_e64 v167, 0, 1, s16
	v_not_b32_e32 v173, v163
	v_cmp_gt_i32_e64 s16, 0, v163
	v_not_b32_e32 v163, v164
	v_lshlrev_b32_e32 v171, 26, v37
	v_cmp_ne_u32_e32 vcc_lo, 0, v167
	v_ashrrev_i32_e32 v173, 31, v173
	v_lshlrev_b32_e32 v172, 25, v37
	v_ashrrev_i32_e32 v163, 31, v163
	v_lshlrev_b32_e32 v167, 24, v37
	v_xor_b32_e32 v162, vcc_lo, v162
	v_cmp_gt_i32_e32 vcc_lo, 0, v164
	v_not_b32_e32 v164, v166
	v_xor_b32_e32 v173, s16, v173
	v_cmp_gt_i32_e64 s16, 0, v166
	v_and_b32_e32 v162, exec_lo, v162
	v_not_b32_e32 v166, v168
	v_ashrrev_i32_e32 v164, 31, v164
	v_xor_b32_e32 v163, vcc_lo, v163
	v_cmp_gt_i32_e32 vcc_lo, 0, v168
	v_and_b32_e32 v162, v162, v173
	v_not_b32_e32 v168, v171
	v_ashrrev_i32_e32 v166, 31, v166
	v_xor_b32_e32 v164, s16, v164
	v_cmp_gt_i32_e64 s16, 0, v171
	v_and_b32_e32 v162, v162, v163
	v_not_b32_e32 v163, v172
	v_ashrrev_i32_e32 v168, 31, v168
	v_xor_b32_e32 v166, vcc_lo, v166
	v_cmp_gt_i32_e32 vcc_lo, 0, v172
	v_and_b32_e32 v162, v162, v164
	v_not_b32_e32 v164, v167
	v_ashrrev_i32_e32 v163, 31, v163
	v_xor_b32_e32 v168, s16, v168
	v_mul_u32_u24_e32 v37, 9, v37
	v_and_b32_e32 v162, v162, v166
	v_cmp_gt_i32_e64 s16, 0, v167
	v_ashrrev_i32_e32 v164, 31, v164
	v_xor_b32_e32 v163, vcc_lo, v163
	v_add_lshl_u32 v166, v37, v126, 2
	v_and_b32_e32 v162, v162, v168
	s_delay_alu instid0(VALU_DEP_4) | instskip(NEXT) | instid1(VALU_DEP_3)
	v_xor_b32_e32 v37, s16, v164
	v_add_nc_u32_e32 v164, 0x420, v166
	s_delay_alu instid0(VALU_DEP_3) | instskip(SKIP_2) | instid1(VALU_DEP_1)
	v_and_b32_e32 v163, v162, v163
	ds_load_b32 v162, v166 offset:1056
	; wave barrier
	v_and_b32_e32 v37, v163, v37
	v_mbcnt_lo_u32_b32 v163, v37, 0
	v_cmp_ne_u32_e64 s16, 0, v37
	s_delay_alu instid0(VALU_DEP_2) | instskip(NEXT) | instid1(VALU_DEP_2)
	v_cmp_eq_u32_e32 vcc_lo, 0, v163
	s_and_b32 s17, s16, vcc_lo
	s_delay_alu instid0(SALU_CYCLE_1)
	s_and_saveexec_b32 s16, s17
	s_cbranch_execz .LBB1747_438
; %bb.437:                              ;   in Loop: Header=BB1747_392 Depth=2
	s_waitcnt lgkmcnt(0)
	v_bcnt_u32_b32 v37, v37, v162
	ds_store_b32 v164, v37
.LBB1747_438:                           ;   in Loop: Header=BB1747_392 Depth=2
	s_or_b32 exec_lo, exec_lo, s16
	v_cmp_gt_i16_e64 vcc_lo, 0, v161
	; wave barrier
	s_delay_alu instid0(VALU_DEP_1) | instskip(NEXT) | instid1(VALU_DEP_1)
	v_cndmask_b32_e64 v37, 0x7fff, 0, vcc_lo
	v_xor_b32_e32 v161, v37, v161
	s_delay_alu instid0(VALU_DEP_1) | instskip(SKIP_1) | instid1(VALU_DEP_1)
	v_cmp_ne_u16_e64 vcc_lo, 0x8000, v161
	v_cndmask_b32_e32 v37, 0x7fff, v161, vcc_lo
	v_and_b32_e32 v37, 0xffff, v37
	s_delay_alu instid0(VALU_DEP_1) | instskip(NEXT) | instid1(VALU_DEP_1)
	v_lshrrev_b32_e32 v37, s48, v37
	v_and_b32_e32 v37, s55, v37
	s_delay_alu instid0(VALU_DEP_1)
	v_and_b32_e32 v166, 1, v37
	v_lshlrev_b32_e32 v167, 30, v37
	v_lshlrev_b32_e32 v168, 29, v37
	;; [unrolled: 1-line block ×4, first 2 shown]
	v_add_co_u32 v166, s16, v166, -1
	s_delay_alu instid0(VALU_DEP_1)
	v_cndmask_b32_e64 v172, 0, 1, s16
	v_not_b32_e32 v176, v167
	v_cmp_gt_i32_e64 s16, 0, v167
	v_not_b32_e32 v167, v168
	v_lshlrev_b32_e32 v174, 26, v37
	v_cmp_ne_u32_e32 vcc_lo, 0, v172
	v_ashrrev_i32_e32 v176, 31, v176
	v_lshlrev_b32_e32 v175, 25, v37
	v_ashrrev_i32_e32 v167, 31, v167
	v_lshlrev_b32_e32 v172, 24, v37
	v_xor_b32_e32 v166, vcc_lo, v166
	v_cmp_gt_i32_e32 vcc_lo, 0, v168
	v_not_b32_e32 v168, v171
	v_xor_b32_e32 v176, s16, v176
	v_cmp_gt_i32_e64 s16, 0, v171
	v_and_b32_e32 v166, exec_lo, v166
	v_not_b32_e32 v171, v173
	v_ashrrev_i32_e32 v168, 31, v168
	v_xor_b32_e32 v167, vcc_lo, v167
	v_cmp_gt_i32_e32 vcc_lo, 0, v173
	v_and_b32_e32 v166, v166, v176
	v_not_b32_e32 v173, v174
	v_ashrrev_i32_e32 v171, 31, v171
	v_xor_b32_e32 v168, s16, v168
	v_cmp_gt_i32_e64 s16, 0, v174
	v_and_b32_e32 v166, v166, v167
	v_not_b32_e32 v167, v175
	v_ashrrev_i32_e32 v173, 31, v173
	v_xor_b32_e32 v171, vcc_lo, v171
	v_cmp_gt_i32_e32 vcc_lo, 0, v175
	v_and_b32_e32 v166, v166, v168
	v_not_b32_e32 v168, v172
	v_ashrrev_i32_e32 v167, 31, v167
	v_xor_b32_e32 v173, s16, v173
	v_mul_u32_u24_e32 v37, 9, v37
	v_and_b32_e32 v166, v166, v171
	v_cmp_gt_i32_e64 s16, 0, v172
	v_ashrrev_i32_e32 v168, 31, v168
	v_xor_b32_e32 v167, vcc_lo, v167
	v_add_lshl_u32 v171, v37, v126, 2
	v_and_b32_e32 v166, v166, v173
	s_delay_alu instid0(VALU_DEP_4) | instskip(NEXT) | instid1(VALU_DEP_3)
	v_xor_b32_e32 v37, s16, v168
	v_add_nc_u32_e32 v168, 0x420, v171
	s_delay_alu instid0(VALU_DEP_3) | instskip(SKIP_2) | instid1(VALU_DEP_1)
	v_and_b32_e32 v167, v166, v167
	ds_load_b32 v166, v171 offset:1056
	; wave barrier
	v_and_b32_e32 v37, v167, v37
	v_mbcnt_lo_u32_b32 v167, v37, 0
	v_cmp_ne_u32_e64 s16, 0, v37
	s_delay_alu instid0(VALU_DEP_2) | instskip(NEXT) | instid1(VALU_DEP_2)
	v_cmp_eq_u32_e32 vcc_lo, 0, v167
	s_and_b32 s17, s16, vcc_lo
	s_delay_alu instid0(SALU_CYCLE_1)
	s_and_saveexec_b32 s16, s17
	s_cbranch_execz .LBB1747_440
; %bb.439:                              ;   in Loop: Header=BB1747_392 Depth=2
	s_waitcnt lgkmcnt(0)
	v_bcnt_u32_b32 v37, v37, v166
	ds_store_b32 v168, v37
.LBB1747_440:                           ;   in Loop: Header=BB1747_392 Depth=2
	s_or_b32 exec_lo, exec_lo, s16
	v_cmp_gt_i16_e64 vcc_lo, 0, v165
	; wave barrier
	s_delay_alu instid0(VALU_DEP_1) | instskip(NEXT) | instid1(VALU_DEP_1)
	v_cndmask_b32_e64 v37, 0x7fff, 0, vcc_lo
	v_xor_b32_e32 v165, v37, v165
	s_delay_alu instid0(VALU_DEP_1) | instskip(SKIP_1) | instid1(VALU_DEP_1)
	v_cmp_ne_u16_e64 vcc_lo, 0x8000, v165
	v_cndmask_b32_e32 v37, 0x7fff, v165, vcc_lo
	v_and_b32_e32 v37, 0xffff, v37
	s_delay_alu instid0(VALU_DEP_1) | instskip(NEXT) | instid1(VALU_DEP_1)
	v_lshrrev_b32_e32 v37, s48, v37
	v_and_b32_e32 v37, s55, v37
	s_delay_alu instid0(VALU_DEP_1)
	v_and_b32_e32 v171, 1, v37
	v_lshlrev_b32_e32 v172, 30, v37
	v_lshlrev_b32_e32 v173, 29, v37
	;; [unrolled: 1-line block ×4, first 2 shown]
	v_add_co_u32 v171, s16, v171, -1
	s_delay_alu instid0(VALU_DEP_1)
	v_cndmask_b32_e64 v175, 0, 1, s16
	v_not_b32_e32 v179, v172
	v_cmp_gt_i32_e64 s16, 0, v172
	v_not_b32_e32 v172, v173
	v_lshlrev_b32_e32 v177, 26, v37
	v_cmp_ne_u32_e32 vcc_lo, 0, v175
	v_ashrrev_i32_e32 v179, 31, v179
	v_lshlrev_b32_e32 v178, 25, v37
	v_ashrrev_i32_e32 v172, 31, v172
	v_lshlrev_b32_e32 v175, 24, v37
	v_xor_b32_e32 v171, vcc_lo, v171
	v_cmp_gt_i32_e32 vcc_lo, 0, v173
	v_not_b32_e32 v173, v174
	v_xor_b32_e32 v179, s16, v179
	v_cmp_gt_i32_e64 s16, 0, v174
	v_and_b32_e32 v171, exec_lo, v171
	v_not_b32_e32 v174, v176
	v_ashrrev_i32_e32 v173, 31, v173
	v_xor_b32_e32 v172, vcc_lo, v172
	v_cmp_gt_i32_e32 vcc_lo, 0, v176
	v_and_b32_e32 v171, v171, v179
	v_not_b32_e32 v176, v177
	v_ashrrev_i32_e32 v174, 31, v174
	v_xor_b32_e32 v173, s16, v173
	v_cmp_gt_i32_e64 s16, 0, v177
	v_and_b32_e32 v171, v171, v172
	v_not_b32_e32 v172, v178
	v_ashrrev_i32_e32 v176, 31, v176
	v_xor_b32_e32 v174, vcc_lo, v174
	v_cmp_gt_i32_e32 vcc_lo, 0, v178
	v_and_b32_e32 v171, v171, v173
	v_not_b32_e32 v173, v175
	v_ashrrev_i32_e32 v172, 31, v172
	v_xor_b32_e32 v176, s16, v176
	v_mul_u32_u24_e32 v37, 9, v37
	v_and_b32_e32 v171, v171, v174
	v_cmp_gt_i32_e64 s16, 0, v175
	v_ashrrev_i32_e32 v173, 31, v173
	v_xor_b32_e32 v172, vcc_lo, v172
	v_add_lshl_u32 v174, v37, v126, 2
	v_and_b32_e32 v171, v171, v176
	s_delay_alu instid0(VALU_DEP_4) | instskip(NEXT) | instid1(VALU_DEP_3)
	v_xor_b32_e32 v37, s16, v173
	v_add_nc_u32_e32 v173, 0x420, v174
	s_delay_alu instid0(VALU_DEP_3) | instskip(SKIP_2) | instid1(VALU_DEP_1)
	v_and_b32_e32 v172, v171, v172
	ds_load_b32 v171, v174 offset:1056
	; wave barrier
	v_and_b32_e32 v37, v172, v37
	v_mbcnt_lo_u32_b32 v172, v37, 0
	v_cmp_ne_u32_e64 s16, 0, v37
	s_delay_alu instid0(VALU_DEP_2) | instskip(NEXT) | instid1(VALU_DEP_2)
	v_cmp_eq_u32_e32 vcc_lo, 0, v172
	s_and_b32 s17, s16, vcc_lo
	s_delay_alu instid0(SALU_CYCLE_1)
	s_and_saveexec_b32 s16, s17
	s_cbranch_execz .LBB1747_442
; %bb.441:                              ;   in Loop: Header=BB1747_392 Depth=2
	s_waitcnt lgkmcnt(0)
	v_bcnt_u32_b32 v37, v37, v171
	ds_store_b32 v173, v37
.LBB1747_442:                           ;   in Loop: Header=BB1747_392 Depth=2
	s_or_b32 exec_lo, exec_lo, s16
	v_cmp_gt_i16_e64 vcc_lo, 0, v170
	; wave barrier
	s_delay_alu instid0(VALU_DEP_1) | instskip(NEXT) | instid1(VALU_DEP_1)
	v_cndmask_b32_e64 v37, 0x7fff, 0, vcc_lo
	v_xor_b32_e32 v170, v37, v170
	s_delay_alu instid0(VALU_DEP_1) | instskip(SKIP_1) | instid1(VALU_DEP_1)
	v_cmp_ne_u16_e64 vcc_lo, 0x8000, v170
	v_cndmask_b32_e32 v37, 0x7fff, v170, vcc_lo
	v_and_b32_e32 v37, 0xffff, v37
	s_delay_alu instid0(VALU_DEP_1) | instskip(NEXT) | instid1(VALU_DEP_1)
	v_lshrrev_b32_e32 v37, s48, v37
	v_and_b32_e32 v37, s55, v37
	s_delay_alu instid0(VALU_DEP_1)
	v_and_b32_e32 v174, 1, v37
	v_lshlrev_b32_e32 v175, 30, v37
	v_lshlrev_b32_e32 v176, 29, v37
	;; [unrolled: 1-line block ×4, first 2 shown]
	v_add_co_u32 v174, s16, v174, -1
	s_delay_alu instid0(VALU_DEP_1)
	v_cndmask_b32_e64 v178, 0, 1, s16
	v_not_b32_e32 v182, v175
	v_cmp_gt_i32_e64 s16, 0, v175
	v_not_b32_e32 v175, v176
	v_lshlrev_b32_e32 v180, 26, v37
	v_cmp_ne_u32_e32 vcc_lo, 0, v178
	v_ashrrev_i32_e32 v182, 31, v182
	v_lshlrev_b32_e32 v181, 25, v37
	v_ashrrev_i32_e32 v175, 31, v175
	v_lshlrev_b32_e32 v178, 24, v37
	v_xor_b32_e32 v174, vcc_lo, v174
	v_cmp_gt_i32_e32 vcc_lo, 0, v176
	v_not_b32_e32 v176, v177
	v_xor_b32_e32 v182, s16, v182
	v_cmp_gt_i32_e64 s16, 0, v177
	v_and_b32_e32 v174, exec_lo, v174
	v_not_b32_e32 v177, v179
	v_ashrrev_i32_e32 v176, 31, v176
	v_xor_b32_e32 v175, vcc_lo, v175
	v_cmp_gt_i32_e32 vcc_lo, 0, v179
	v_and_b32_e32 v174, v174, v182
	v_not_b32_e32 v179, v180
	v_ashrrev_i32_e32 v177, 31, v177
	v_xor_b32_e32 v176, s16, v176
	v_cmp_gt_i32_e64 s16, 0, v180
	v_and_b32_e32 v174, v174, v175
	v_not_b32_e32 v175, v181
	v_ashrrev_i32_e32 v179, 31, v179
	v_xor_b32_e32 v177, vcc_lo, v177
	v_cmp_gt_i32_e32 vcc_lo, 0, v181
	v_and_b32_e32 v174, v174, v176
	v_not_b32_e32 v176, v178
	v_ashrrev_i32_e32 v175, 31, v175
	v_xor_b32_e32 v179, s16, v179
	v_mul_u32_u24_e32 v37, 9, v37
	v_and_b32_e32 v174, v174, v177
	v_cmp_gt_i32_e64 s16, 0, v178
	v_ashrrev_i32_e32 v176, 31, v176
	v_xor_b32_e32 v175, vcc_lo, v175
	v_add_lshl_u32 v177, v37, v126, 2
	v_and_b32_e32 v174, v174, v179
	s_delay_alu instid0(VALU_DEP_4) | instskip(NEXT) | instid1(VALU_DEP_3)
	v_xor_b32_e32 v37, s16, v176
	v_add_nc_u32_e32 v176, 0x420, v177
	s_delay_alu instid0(VALU_DEP_3) | instskip(SKIP_2) | instid1(VALU_DEP_1)
	v_and_b32_e32 v175, v174, v175
	ds_load_b32 v174, v177 offset:1056
	; wave barrier
	v_and_b32_e32 v37, v175, v37
	v_mbcnt_lo_u32_b32 v175, v37, 0
	v_cmp_ne_u32_e64 s16, 0, v37
	s_delay_alu instid0(VALU_DEP_2) | instskip(NEXT) | instid1(VALU_DEP_2)
	v_cmp_eq_u32_e32 vcc_lo, 0, v175
	s_and_b32 s17, s16, vcc_lo
	s_delay_alu instid0(SALU_CYCLE_1)
	s_and_saveexec_b32 s16, s17
	s_cbranch_execz .LBB1747_444
; %bb.443:                              ;   in Loop: Header=BB1747_392 Depth=2
	s_waitcnt lgkmcnt(0)
	v_bcnt_u32_b32 v37, v37, v174
	ds_store_b32 v176, v37
.LBB1747_444:                           ;   in Loop: Header=BB1747_392 Depth=2
	s_or_b32 exec_lo, exec_lo, s16
	v_cmp_gt_i16_e64 vcc_lo, 0, v169
	; wave barrier
	s_delay_alu instid0(VALU_DEP_1) | instskip(NEXT) | instid1(VALU_DEP_1)
	v_cndmask_b32_e64 v37, 0x7fff, 0, vcc_lo
	v_xor_b32_e32 v169, v37, v169
	s_delay_alu instid0(VALU_DEP_1) | instskip(SKIP_1) | instid1(VALU_DEP_1)
	v_cmp_ne_u16_e64 vcc_lo, 0x8000, v169
	v_cndmask_b32_e32 v37, 0x7fff, v169, vcc_lo
	v_and_b32_e32 v37, 0xffff, v37
	s_delay_alu instid0(VALU_DEP_1) | instskip(NEXT) | instid1(VALU_DEP_1)
	v_lshrrev_b32_e32 v37, s48, v37
	v_and_b32_e32 v37, s55, v37
	s_delay_alu instid0(VALU_DEP_1)
	v_and_b32_e32 v177, 1, v37
	v_lshlrev_b32_e32 v178, 30, v37
	v_lshlrev_b32_e32 v179, 29, v37
	;; [unrolled: 1-line block ×4, first 2 shown]
	v_add_co_u32 v177, s16, v177, -1
	s_delay_alu instid0(VALU_DEP_1)
	v_cndmask_b32_e64 v181, 0, 1, s16
	v_not_b32_e32 v185, v178
	v_cmp_gt_i32_e64 s16, 0, v178
	v_not_b32_e32 v178, v179
	v_lshlrev_b32_e32 v183, 26, v37
	v_cmp_ne_u32_e32 vcc_lo, 0, v181
	v_ashrrev_i32_e32 v185, 31, v185
	v_lshlrev_b32_e32 v184, 25, v37
	v_ashrrev_i32_e32 v178, 31, v178
	v_lshlrev_b32_e32 v181, 24, v37
	v_xor_b32_e32 v177, vcc_lo, v177
	v_cmp_gt_i32_e32 vcc_lo, 0, v179
	v_not_b32_e32 v179, v180
	v_xor_b32_e32 v185, s16, v185
	v_cmp_gt_i32_e64 s16, 0, v180
	v_and_b32_e32 v177, exec_lo, v177
	v_not_b32_e32 v180, v182
	v_ashrrev_i32_e32 v179, 31, v179
	v_xor_b32_e32 v178, vcc_lo, v178
	v_cmp_gt_i32_e32 vcc_lo, 0, v182
	v_and_b32_e32 v177, v177, v185
	v_not_b32_e32 v182, v183
	v_ashrrev_i32_e32 v180, 31, v180
	v_xor_b32_e32 v179, s16, v179
	v_cmp_gt_i32_e64 s16, 0, v183
	v_and_b32_e32 v177, v177, v178
	v_not_b32_e32 v178, v184
	v_ashrrev_i32_e32 v182, 31, v182
	v_xor_b32_e32 v180, vcc_lo, v180
	v_cmp_gt_i32_e32 vcc_lo, 0, v184
	v_and_b32_e32 v177, v177, v179
	v_not_b32_e32 v179, v181
	v_ashrrev_i32_e32 v178, 31, v178
	v_xor_b32_e32 v182, s16, v182
	v_mul_u32_u24_e32 v37, 9, v37
	v_and_b32_e32 v177, v177, v180
	v_cmp_gt_i32_e64 s16, 0, v181
	v_ashrrev_i32_e32 v179, 31, v179
	v_xor_b32_e32 v178, vcc_lo, v178
	v_add_lshl_u32 v180, v37, v126, 2
	v_and_b32_e32 v177, v177, v182
	s_delay_alu instid0(VALU_DEP_4) | instskip(NEXT) | instid1(VALU_DEP_2)
	v_xor_b32_e32 v37, s16, v179
	v_and_b32_e32 v177, v177, v178
	ds_load_b32 v178, v180 offset:1056
	v_add_nc_u32_e32 v180, 0x420, v180
	; wave barrier
	v_and_b32_e32 v37, v177, v37
	s_delay_alu instid0(VALU_DEP_1) | instskip(SKIP_1) | instid1(VALU_DEP_2)
	v_mbcnt_lo_u32_b32 v179, v37, 0
	v_cmp_ne_u32_e64 s16, 0, v37
	v_cmp_eq_u32_e32 vcc_lo, 0, v179
	s_delay_alu instid0(VALU_DEP_2) | instskip(NEXT) | instid1(SALU_CYCLE_1)
	s_and_b32 s17, s16, vcc_lo
	s_and_saveexec_b32 s16, s17
	s_cbranch_execz .LBB1747_446
; %bb.445:                              ;   in Loop: Header=BB1747_392 Depth=2
	s_waitcnt lgkmcnt(0)
	v_bcnt_u32_b32 v37, v37, v178
	ds_store_b32 v180, v37
.LBB1747_446:                           ;   in Loop: Header=BB1747_392 Depth=2
	s_or_b32 exec_lo, exec_lo, s16
	v_cmp_gt_i16_e32 vcc_lo, 0, v43
	; wave barrier
	v_cndmask_b32_e64 v37, 0x7fff, 0, vcc_lo
	s_delay_alu instid0(VALU_DEP_1) | instskip(NEXT) | instid1(VALU_DEP_1)
	v_xor_b32_e32 v177, v37, v43
	v_cmp_ne_u16_e64 vcc_lo, 0x8000, v177
	v_cndmask_b32_e32 v37, 0x7fff, v177, vcc_lo
	s_delay_alu instid0(VALU_DEP_1) | instskip(NEXT) | instid1(VALU_DEP_1)
	v_and_b32_e32 v37, 0xffff, v37
	v_lshrrev_b32_e32 v37, s48, v37
	s_delay_alu instid0(VALU_DEP_1) | instskip(NEXT) | instid1(VALU_DEP_1)
	v_and_b32_e32 v37, s55, v37
	v_and_b32_e32 v43, 1, v37
	v_lshlrev_b32_e32 v181, 30, v37
	v_lshlrev_b32_e32 v182, 29, v37
	;; [unrolled: 1-line block ×4, first 2 shown]
	v_add_co_u32 v43, s16, v43, -1
	s_delay_alu instid0(VALU_DEP_1)
	v_cndmask_b32_e64 v184, 0, 1, s16
	v_not_b32_e32 v188, v181
	v_cmp_gt_i32_e64 s16, 0, v181
	v_not_b32_e32 v181, v182
	v_lshlrev_b32_e32 v186, 26, v37
	v_cmp_ne_u32_e32 vcc_lo, 0, v184
	v_ashrrev_i32_e32 v188, 31, v188
	v_lshlrev_b32_e32 v187, 25, v37
	v_ashrrev_i32_e32 v181, 31, v181
	v_lshlrev_b32_e32 v184, 24, v37
	v_xor_b32_e32 v43, vcc_lo, v43
	v_cmp_gt_i32_e32 vcc_lo, 0, v182
	v_not_b32_e32 v182, v183
	v_xor_b32_e32 v188, s16, v188
	v_cmp_gt_i32_e64 s16, 0, v183
	v_and_b32_e32 v43, exec_lo, v43
	v_not_b32_e32 v183, v185
	v_ashrrev_i32_e32 v182, 31, v182
	v_xor_b32_e32 v181, vcc_lo, v181
	v_cmp_gt_i32_e32 vcc_lo, 0, v185
	v_and_b32_e32 v43, v43, v188
	v_not_b32_e32 v185, v186
	v_ashrrev_i32_e32 v183, 31, v183
	v_xor_b32_e32 v182, s16, v182
	v_cmp_gt_i32_e64 s16, 0, v186
	v_and_b32_e32 v43, v43, v181
	v_not_b32_e32 v181, v187
	v_ashrrev_i32_e32 v185, 31, v185
	v_xor_b32_e32 v183, vcc_lo, v183
	v_cmp_gt_i32_e32 vcc_lo, 0, v187
	v_and_b32_e32 v43, v43, v182
	v_not_b32_e32 v182, v184
	v_ashrrev_i32_e32 v181, 31, v181
	v_xor_b32_e32 v185, s16, v185
	v_mul_u32_u24_e32 v37, 9, v37
	v_and_b32_e32 v43, v43, v183
	v_cmp_gt_i32_e64 s16, 0, v184
	v_ashrrev_i32_e32 v182, 31, v182
	v_xor_b32_e32 v181, vcc_lo, v181
	v_add_lshl_u32 v184, v37, v126, 2
	v_and_b32_e32 v43, v43, v185
	s_delay_alu instid0(VALU_DEP_4) | instskip(SKIP_3) | instid1(VALU_DEP_2)
	v_xor_b32_e32 v37, s16, v182
	ds_load_b32 v182, v184 offset:1056
	v_and_b32_e32 v43, v43, v181
	v_add_nc_u32_e32 v184, 0x420, v184
	; wave barrier
	v_and_b32_e32 v37, v43, v37
	s_delay_alu instid0(VALU_DEP_1) | instskip(SKIP_1) | instid1(VALU_DEP_2)
	v_mbcnt_lo_u32_b32 v183, v37, 0
	v_cmp_ne_u32_e64 s16, 0, v37
	v_cmp_eq_u32_e32 vcc_lo, 0, v183
	s_delay_alu instid0(VALU_DEP_2) | instskip(NEXT) | instid1(SALU_CYCLE_1)
	s_and_b32 s17, s16, vcc_lo
	s_and_saveexec_b32 s16, s17
	s_cbranch_execz .LBB1747_448
; %bb.447:                              ;   in Loop: Header=BB1747_392 Depth=2
	s_waitcnt lgkmcnt(0)
	v_bcnt_u32_b32 v37, v37, v182
	ds_store_b32 v184, v37
.LBB1747_448:                           ;   in Loop: Header=BB1747_392 Depth=2
	s_or_b32 exec_lo, exec_lo, s16
	v_cmp_gt_i16_e32 vcc_lo, 0, v42
	; wave barrier
	v_cndmask_b32_e64 v37, 0x7fff, 0, vcc_lo
	s_delay_alu instid0(VALU_DEP_1) | instskip(NEXT) | instid1(VALU_DEP_1)
	v_xor_b32_e32 v181, v37, v42
	v_cmp_ne_u16_e64 vcc_lo, 0x8000, v181
	v_cndmask_b32_e32 v37, 0x7fff, v181, vcc_lo
	s_delay_alu instid0(VALU_DEP_1) | instskip(NEXT) | instid1(VALU_DEP_1)
	v_and_b32_e32 v37, 0xffff, v37
	v_lshrrev_b32_e32 v37, s48, v37
	s_delay_alu instid0(VALU_DEP_1) | instskip(NEXT) | instid1(VALU_DEP_1)
	v_and_b32_e32 v37, s55, v37
	v_and_b32_e32 v42, 1, v37
	v_lshlrev_b32_e32 v43, 30, v37
	v_lshlrev_b32_e32 v185, 29, v37
	;; [unrolled: 1-line block ×4, first 2 shown]
	v_add_co_u32 v42, s16, v42, -1
	s_delay_alu instid0(VALU_DEP_1)
	v_cndmask_b32_e64 v187, 0, 1, s16
	v_not_b32_e32 v191, v43
	v_cmp_gt_i32_e64 s16, 0, v43
	v_not_b32_e32 v43, v185
	v_lshlrev_b32_e32 v189, 26, v37
	v_cmp_ne_u32_e32 vcc_lo, 0, v187
	v_ashrrev_i32_e32 v191, 31, v191
	v_lshlrev_b32_e32 v190, 25, v37
	v_ashrrev_i32_e32 v43, 31, v43
	v_lshlrev_b32_e32 v187, 24, v37
	v_xor_b32_e32 v42, vcc_lo, v42
	v_cmp_gt_i32_e32 vcc_lo, 0, v185
	v_not_b32_e32 v185, v186
	v_xor_b32_e32 v191, s16, v191
	v_cmp_gt_i32_e64 s16, 0, v186
	v_and_b32_e32 v42, exec_lo, v42
	v_not_b32_e32 v186, v188
	v_ashrrev_i32_e32 v185, 31, v185
	v_xor_b32_e32 v43, vcc_lo, v43
	v_cmp_gt_i32_e32 vcc_lo, 0, v188
	v_and_b32_e32 v42, v42, v191
	v_not_b32_e32 v188, v189
	v_ashrrev_i32_e32 v186, 31, v186
	v_xor_b32_e32 v185, s16, v185
	v_cmp_gt_i32_e64 s16, 0, v189
	v_and_b32_e32 v42, v42, v43
	v_not_b32_e32 v43, v190
	v_ashrrev_i32_e32 v188, 31, v188
	v_xor_b32_e32 v186, vcc_lo, v186
	v_cmp_gt_i32_e32 vcc_lo, 0, v190
	v_and_b32_e32 v42, v42, v185
	v_not_b32_e32 v185, v187
	v_ashrrev_i32_e32 v43, 31, v43
	v_xor_b32_e32 v188, s16, v188
	v_mul_u32_u24_e32 v37, 9, v37
	v_and_b32_e32 v42, v42, v186
	v_cmp_gt_i32_e64 s16, 0, v187
	v_ashrrev_i32_e32 v185, 31, v185
	v_xor_b32_e32 v43, vcc_lo, v43
	s_delay_alu instid0(VALU_DEP_4) | instskip(SKIP_1) | instid1(VALU_DEP_4)
	v_and_b32_e32 v42, v42, v188
	v_add_lshl_u32 v188, v37, v126, 2
	v_xor_b32_e32 v37, s16, v185
	s_delay_alu instid0(VALU_DEP_3) | instskip(SKIP_3) | instid1(VALU_DEP_1)
	v_and_b32_e32 v42, v42, v43
	ds_load_b32 v186, v188 offset:1056
	v_add_nc_u32_e32 v188, 0x420, v188
	; wave barrier
	v_and_b32_e32 v37, v42, v37
	v_mbcnt_lo_u32_b32 v187, v37, 0
	v_cmp_ne_u32_e64 s16, 0, v37
	s_delay_alu instid0(VALU_DEP_2) | instskip(NEXT) | instid1(VALU_DEP_2)
	v_cmp_eq_u32_e32 vcc_lo, 0, v187
	s_and_b32 s17, s16, vcc_lo
	s_delay_alu instid0(SALU_CYCLE_1)
	s_and_saveexec_b32 s16, s17
	s_cbranch_execz .LBB1747_450
; %bb.449:                              ;   in Loop: Header=BB1747_392 Depth=2
	s_waitcnt lgkmcnt(0)
	v_bcnt_u32_b32 v37, v37, v186
	ds_store_b32 v188, v37
.LBB1747_450:                           ;   in Loop: Header=BB1747_392 Depth=2
	s_or_b32 exec_lo, exec_lo, s16
	v_cmp_gt_i16_e32 vcc_lo, 0, v41
	; wave barrier
	v_cndmask_b32_e64 v37, 0x7fff, 0, vcc_lo
	s_delay_alu instid0(VALU_DEP_1) | instskip(NEXT) | instid1(VALU_DEP_1)
	v_xor_b32_e32 v185, v37, v41
	v_cmp_ne_u16_e64 vcc_lo, 0x8000, v185
	v_cndmask_b32_e32 v37, 0x7fff, v185, vcc_lo
	s_delay_alu instid0(VALU_DEP_1) | instskip(NEXT) | instid1(VALU_DEP_1)
	v_and_b32_e32 v37, 0xffff, v37
	v_lshrrev_b32_e32 v37, s48, v37
	s_delay_alu instid0(VALU_DEP_1) | instskip(NEXT) | instid1(VALU_DEP_1)
	v_and_b32_e32 v37, s55, v37
	v_and_b32_e32 v41, 1, v37
	v_lshlrev_b32_e32 v42, 30, v37
	v_lshlrev_b32_e32 v43, 29, v37
	;; [unrolled: 1-line block ×4, first 2 shown]
	v_add_co_u32 v41, s16, v41, -1
	s_delay_alu instid0(VALU_DEP_1)
	v_cndmask_b32_e64 v190, 0, 1, s16
	v_not_b32_e32 v194, v42
	v_cmp_gt_i32_e64 s16, 0, v42
	v_not_b32_e32 v42, v43
	v_lshlrev_b32_e32 v192, 26, v37
	v_cmp_ne_u32_e32 vcc_lo, 0, v190
	v_ashrrev_i32_e32 v194, 31, v194
	v_lshlrev_b32_e32 v193, 25, v37
	v_ashrrev_i32_e32 v42, 31, v42
	v_lshlrev_b32_e32 v190, 24, v37
	v_xor_b32_e32 v41, vcc_lo, v41
	v_cmp_gt_i32_e32 vcc_lo, 0, v43
	v_not_b32_e32 v43, v189
	v_xor_b32_e32 v194, s16, v194
	v_cmp_gt_i32_e64 s16, 0, v189
	v_and_b32_e32 v41, exec_lo, v41
	v_not_b32_e32 v189, v191
	v_ashrrev_i32_e32 v43, 31, v43
	v_xor_b32_e32 v42, vcc_lo, v42
	v_cmp_gt_i32_e32 vcc_lo, 0, v191
	v_and_b32_e32 v41, v41, v194
	v_not_b32_e32 v191, v192
	v_ashrrev_i32_e32 v189, 31, v189
	v_xor_b32_e32 v43, s16, v43
	v_cmp_gt_i32_e64 s16, 0, v192
	v_and_b32_e32 v41, v41, v42
	v_not_b32_e32 v42, v193
	v_ashrrev_i32_e32 v191, 31, v191
	v_xor_b32_e32 v189, vcc_lo, v189
	v_cmp_gt_i32_e32 vcc_lo, 0, v193
	v_and_b32_e32 v41, v41, v43
	v_not_b32_e32 v43, v190
	v_ashrrev_i32_e32 v42, 31, v42
	v_xor_b32_e32 v191, s16, v191
	v_mul_u32_u24_e32 v37, 9, v37
	v_and_b32_e32 v41, v41, v189
	v_cmp_gt_i32_e64 s16, 0, v190
	v_ashrrev_i32_e32 v43, 31, v43
	v_xor_b32_e32 v42, vcc_lo, v42
	v_add_lshl_u32 v189, v37, v126, 2
	v_and_b32_e32 v41, v41, v191
	s_delay_alu instid0(VALU_DEP_4) | instskip(SKIP_3) | instid1(VALU_DEP_2)
	v_xor_b32_e32 v37, s16, v43
	ds_load_b32 v190, v189 offset:1056
	v_and_b32_e32 v41, v41, v42
	v_add_nc_u32_e32 v192, 0x420, v189
	; wave barrier
	v_and_b32_e32 v37, v41, v37
	s_delay_alu instid0(VALU_DEP_1) | instskip(SKIP_1) | instid1(VALU_DEP_2)
	v_mbcnt_lo_u32_b32 v191, v37, 0
	v_cmp_ne_u32_e64 s16, 0, v37
	v_cmp_eq_u32_e32 vcc_lo, 0, v191
	s_delay_alu instid0(VALU_DEP_2) | instskip(NEXT) | instid1(SALU_CYCLE_1)
	s_and_b32 s17, s16, vcc_lo
	s_and_saveexec_b32 s16, s17
	s_cbranch_execz .LBB1747_452
; %bb.451:                              ;   in Loop: Header=BB1747_392 Depth=2
	s_waitcnt lgkmcnt(0)
	v_bcnt_u32_b32 v37, v37, v190
	ds_store_b32 v192, v37
.LBB1747_452:                           ;   in Loop: Header=BB1747_392 Depth=2
	s_or_b32 exec_lo, exec_lo, s16
	v_cmp_gt_i16_e32 vcc_lo, 0, v40
	; wave barrier
	v_cndmask_b32_e64 v37, 0x7fff, 0, vcc_lo
	s_delay_alu instid0(VALU_DEP_1) | instskip(NEXT) | instid1(VALU_DEP_1)
	v_xor_b32_e32 v189, v37, v40
	v_cmp_ne_u16_e64 vcc_lo, 0x8000, v189
	v_cndmask_b32_e32 v37, 0x7fff, v189, vcc_lo
	s_delay_alu instid0(VALU_DEP_1) | instskip(NEXT) | instid1(VALU_DEP_1)
	v_and_b32_e32 v37, 0xffff, v37
	v_lshrrev_b32_e32 v37, s48, v37
	s_delay_alu instid0(VALU_DEP_1) | instskip(NEXT) | instid1(VALU_DEP_1)
	v_and_b32_e32 v37, s55, v37
	v_and_b32_e32 v40, 1, v37
	v_lshlrev_b32_e32 v41, 30, v37
	v_lshlrev_b32_e32 v42, 29, v37
	;; [unrolled: 1-line block ×4, first 2 shown]
	v_add_co_u32 v40, s16, v40, -1
	s_delay_alu instid0(VALU_DEP_1)
	v_cndmask_b32_e64 v193, 0, 1, s16
	v_not_b32_e32 v197, v41
	v_cmp_gt_i32_e64 s16, 0, v41
	v_not_b32_e32 v41, v42
	v_lshlrev_b32_e32 v195, 26, v37
	v_cmp_ne_u32_e32 vcc_lo, 0, v193
	v_ashrrev_i32_e32 v197, 31, v197
	v_lshlrev_b32_e32 v196, 25, v37
	v_ashrrev_i32_e32 v41, 31, v41
	v_lshlrev_b32_e32 v193, 24, v37
	v_xor_b32_e32 v40, vcc_lo, v40
	v_cmp_gt_i32_e32 vcc_lo, 0, v42
	v_not_b32_e32 v42, v43
	v_xor_b32_e32 v197, s16, v197
	v_cmp_gt_i32_e64 s16, 0, v43
	v_and_b32_e32 v40, exec_lo, v40
	v_not_b32_e32 v43, v194
	v_ashrrev_i32_e32 v42, 31, v42
	v_xor_b32_e32 v41, vcc_lo, v41
	v_cmp_gt_i32_e32 vcc_lo, 0, v194
	v_and_b32_e32 v40, v40, v197
	v_not_b32_e32 v194, v195
	v_ashrrev_i32_e32 v43, 31, v43
	v_xor_b32_e32 v42, s16, v42
	v_cmp_gt_i32_e64 s16, 0, v195
	v_and_b32_e32 v40, v40, v41
	v_not_b32_e32 v41, v196
	v_ashrrev_i32_e32 v194, 31, v194
	v_xor_b32_e32 v43, vcc_lo, v43
	v_cmp_gt_i32_e32 vcc_lo, 0, v196
	v_and_b32_e32 v40, v40, v42
	v_not_b32_e32 v42, v193
	v_ashrrev_i32_e32 v41, 31, v41
	v_xor_b32_e32 v194, s16, v194
	v_mul_u32_u24_e32 v37, 9, v37
	v_and_b32_e32 v40, v40, v43
	v_cmp_gt_i32_e64 s16, 0, v193
	v_ashrrev_i32_e32 v42, 31, v42
	v_xor_b32_e32 v41, vcc_lo, v41
	v_add_lshl_u32 v43, v37, v126, 2
	v_and_b32_e32 v40, v40, v194
	s_delay_alu instid0(VALU_DEP_4) | instskip(SKIP_3) | instid1(VALU_DEP_2)
	v_xor_b32_e32 v37, s16, v42
	ds_load_b32 v194, v43 offset:1056
	v_and_b32_e32 v40, v40, v41
	v_add_nc_u32_e32 v196, 0x420, v43
	; wave barrier
	v_and_b32_e32 v37, v40, v37
	s_delay_alu instid0(VALU_DEP_1) | instskip(SKIP_1) | instid1(VALU_DEP_2)
	v_mbcnt_lo_u32_b32 v195, v37, 0
	v_cmp_ne_u32_e64 s16, 0, v37
	v_cmp_eq_u32_e32 vcc_lo, 0, v195
	s_delay_alu instid0(VALU_DEP_2) | instskip(NEXT) | instid1(SALU_CYCLE_1)
	s_and_b32 s17, s16, vcc_lo
	s_and_saveexec_b32 s16, s17
	s_cbranch_execz .LBB1747_454
; %bb.453:                              ;   in Loop: Header=BB1747_392 Depth=2
	s_waitcnt lgkmcnt(0)
	v_bcnt_u32_b32 v37, v37, v194
	ds_store_b32 v196, v37
.LBB1747_454:                           ;   in Loop: Header=BB1747_392 Depth=2
	s_or_b32 exec_lo, exec_lo, s16
	v_cmp_gt_i16_e32 vcc_lo, 0, v39
	; wave barrier
	v_cndmask_b32_e64 v37, 0x7fff, 0, vcc_lo
	s_delay_alu instid0(VALU_DEP_1) | instskip(NEXT) | instid1(VALU_DEP_1)
	v_xor_b32_e32 v193, v37, v39
	v_cmp_ne_u16_e64 vcc_lo, 0x8000, v193
	v_cndmask_b32_e32 v37, 0x7fff, v193, vcc_lo
	s_delay_alu instid0(VALU_DEP_1) | instskip(NEXT) | instid1(VALU_DEP_1)
	v_and_b32_e32 v37, 0xffff, v37
	v_lshrrev_b32_e32 v37, s48, v37
	s_delay_alu instid0(VALU_DEP_1) | instskip(NEXT) | instid1(VALU_DEP_1)
	v_and_b32_e32 v37, s55, v37
	v_and_b32_e32 v39, 1, v37
	v_lshlrev_b32_e32 v40, 30, v37
	v_lshlrev_b32_e32 v41, 29, v37
	;; [unrolled: 1-line block ×4, first 2 shown]
	v_add_co_u32 v39, s16, v39, -1
	s_delay_alu instid0(VALU_DEP_1)
	v_cndmask_b32_e64 v43, 0, 1, s16
	v_not_b32_e32 v200, v40
	v_cmp_gt_i32_e64 s16, 0, v40
	v_not_b32_e32 v40, v41
	v_lshlrev_b32_e32 v198, 26, v37
	v_cmp_ne_u32_e32 vcc_lo, 0, v43
	v_ashrrev_i32_e32 v200, 31, v200
	v_lshlrev_b32_e32 v199, 25, v37
	v_ashrrev_i32_e32 v40, 31, v40
	v_lshlrev_b32_e32 v43, 24, v37
	v_xor_b32_e32 v39, vcc_lo, v39
	v_cmp_gt_i32_e32 vcc_lo, 0, v41
	v_not_b32_e32 v41, v42
	v_xor_b32_e32 v200, s16, v200
	v_cmp_gt_i32_e64 s16, 0, v42
	v_and_b32_e32 v39, exec_lo, v39
	v_not_b32_e32 v42, v197
	v_ashrrev_i32_e32 v41, 31, v41
	v_xor_b32_e32 v40, vcc_lo, v40
	v_cmp_gt_i32_e32 vcc_lo, 0, v197
	v_and_b32_e32 v39, v39, v200
	v_not_b32_e32 v197, v198
	v_ashrrev_i32_e32 v42, 31, v42
	v_xor_b32_e32 v41, s16, v41
	v_cmp_gt_i32_e64 s16, 0, v198
	v_and_b32_e32 v39, v39, v40
	v_not_b32_e32 v40, v199
	v_ashrrev_i32_e32 v197, 31, v197
	v_xor_b32_e32 v42, vcc_lo, v42
	v_cmp_gt_i32_e32 vcc_lo, 0, v199
	v_and_b32_e32 v39, v39, v41
	v_not_b32_e32 v41, v43
	v_ashrrev_i32_e32 v40, 31, v40
	v_xor_b32_e32 v197, s16, v197
	v_mul_u32_u24_e32 v37, 9, v37
	v_and_b32_e32 v39, v39, v42
	v_cmp_gt_i32_e64 s16, 0, v43
	v_ashrrev_i32_e32 v41, 31, v41
	v_xor_b32_e32 v40, vcc_lo, v40
	v_add_lshl_u32 v42, v37, v126, 2
	v_and_b32_e32 v39, v39, v197
	s_delay_alu instid0(VALU_DEP_4) | instskip(SKIP_3) | instid1(VALU_DEP_2)
	v_xor_b32_e32 v37, s16, v41
	ds_load_b32 v198, v42 offset:1056
	v_and_b32_e32 v39, v39, v40
	v_add_nc_u32_e32 v200, 0x420, v42
	; wave barrier
	v_and_b32_e32 v37, v39, v37
	s_delay_alu instid0(VALU_DEP_1) | instskip(SKIP_1) | instid1(VALU_DEP_2)
	v_mbcnt_lo_u32_b32 v199, v37, 0
	v_cmp_ne_u32_e64 s16, 0, v37
	v_cmp_eq_u32_e32 vcc_lo, 0, v199
	s_delay_alu instid0(VALU_DEP_2) | instskip(NEXT) | instid1(SALU_CYCLE_1)
	s_and_b32 s17, s16, vcc_lo
	s_and_saveexec_b32 s16, s17
	s_cbranch_execz .LBB1747_456
; %bb.455:                              ;   in Loop: Header=BB1747_392 Depth=2
	s_waitcnt lgkmcnt(0)
	v_bcnt_u32_b32 v37, v37, v198
	ds_store_b32 v200, v37
.LBB1747_456:                           ;   in Loop: Header=BB1747_392 Depth=2
	s_or_b32 exec_lo, exec_lo, s16
	v_cmp_gt_i16_e32 vcc_lo, 0, v38
	; wave barrier
	v_cndmask_b32_e64 v37, 0x7fff, 0, vcc_lo
	s_delay_alu instid0(VALU_DEP_1) | instskip(NEXT) | instid1(VALU_DEP_1)
	v_xor_b32_e32 v197, v37, v38
	v_cmp_ne_u16_e64 vcc_lo, 0x8000, v197
	v_cndmask_b32_e32 v37, 0x7fff, v197, vcc_lo
	s_delay_alu instid0(VALU_DEP_1) | instskip(NEXT) | instid1(VALU_DEP_1)
	v_and_b32_e32 v37, 0xffff, v37
	v_lshrrev_b32_e32 v37, s48, v37
	s_delay_alu instid0(VALU_DEP_1) | instskip(NEXT) | instid1(VALU_DEP_1)
	v_and_b32_e32 v37, s55, v37
	v_and_b32_e32 v38, 1, v37
	v_lshlrev_b32_e32 v39, 30, v37
	v_lshlrev_b32_e32 v40, 29, v37
	;; [unrolled: 1-line block ×4, first 2 shown]
	v_add_co_u32 v38, s16, v38, -1
	s_delay_alu instid0(VALU_DEP_1)
	v_cndmask_b32_e64 v42, 0, 1, s16
	v_not_b32_e32 v203, v39
	v_cmp_gt_i32_e64 s16, 0, v39
	v_not_b32_e32 v39, v40
	v_lshlrev_b32_e32 v201, 26, v37
	v_cmp_ne_u32_e32 vcc_lo, 0, v42
	v_ashrrev_i32_e32 v203, 31, v203
	v_lshlrev_b32_e32 v202, 25, v37
	v_ashrrev_i32_e32 v39, 31, v39
	v_lshlrev_b32_e32 v42, 24, v37
	v_xor_b32_e32 v38, vcc_lo, v38
	v_cmp_gt_i32_e32 vcc_lo, 0, v40
	v_not_b32_e32 v40, v41
	v_xor_b32_e32 v203, s16, v203
	v_cmp_gt_i32_e64 s16, 0, v41
	v_and_b32_e32 v38, exec_lo, v38
	v_not_b32_e32 v41, v43
	v_ashrrev_i32_e32 v40, 31, v40
	v_xor_b32_e32 v39, vcc_lo, v39
	v_cmp_gt_i32_e32 vcc_lo, 0, v43
	v_and_b32_e32 v38, v38, v203
	v_not_b32_e32 v43, v201
	v_ashrrev_i32_e32 v41, 31, v41
	v_xor_b32_e32 v40, s16, v40
	v_cmp_gt_i32_e64 s16, 0, v201
	v_and_b32_e32 v38, v38, v39
	v_not_b32_e32 v39, v202
	v_ashrrev_i32_e32 v43, 31, v43
	v_xor_b32_e32 v41, vcc_lo, v41
	v_cmp_gt_i32_e32 vcc_lo, 0, v202
	v_and_b32_e32 v38, v38, v40
	v_not_b32_e32 v40, v42
	v_ashrrev_i32_e32 v39, 31, v39
	v_xor_b32_e32 v43, s16, v43
	v_mul_u32_u24_e32 v37, 9, v37
	v_and_b32_e32 v38, v38, v41
	v_cmp_gt_i32_e64 s16, 0, v42
	v_ashrrev_i32_e32 v40, 31, v40
	v_xor_b32_e32 v39, vcc_lo, v39
	v_add_lshl_u32 v41, v37, v126, 2
	v_and_b32_e32 v38, v38, v43
	s_delay_alu instid0(VALU_DEP_4) | instskip(SKIP_3) | instid1(VALU_DEP_2)
	v_xor_b32_e32 v37, s16, v40
	ds_load_b32 v202, v41 offset:1056
	v_and_b32_e32 v38, v38, v39
	v_add_nc_u32_e32 v204, 0x420, v41
	; wave barrier
	v_and_b32_e32 v37, v38, v37
	s_delay_alu instid0(VALU_DEP_1) | instskip(SKIP_1) | instid1(VALU_DEP_2)
	v_mbcnt_lo_u32_b32 v203, v37, 0
	v_cmp_ne_u32_e64 s16, 0, v37
	v_cmp_eq_u32_e32 vcc_lo, 0, v203
	s_delay_alu instid0(VALU_DEP_2) | instskip(NEXT) | instid1(SALU_CYCLE_1)
	s_and_b32 s17, s16, vcc_lo
	s_and_saveexec_b32 s16, s17
	s_cbranch_execz .LBB1747_458
; %bb.457:                              ;   in Loop: Header=BB1747_392 Depth=2
	s_waitcnt lgkmcnt(0)
	v_bcnt_u32_b32 v37, v37, v202
	ds_store_b32 v204, v37
.LBB1747_458:                           ;   in Loop: Header=BB1747_392 Depth=2
	s_or_b32 exec_lo, exec_lo, s16
	v_cmp_gt_i16_e32 vcc_lo, 0, v36
	; wave barrier
	v_cndmask_b32_e64 v37, 0x7fff, 0, vcc_lo
	s_delay_alu instid0(VALU_DEP_1) | instskip(NEXT) | instid1(VALU_DEP_1)
	v_xor_b32_e32 v201, v37, v36
	v_cmp_ne_u16_e64 vcc_lo, 0x8000, v201
	v_cndmask_b32_e32 v36, 0x7fff, v201, vcc_lo
	s_delay_alu instid0(VALU_DEP_1) | instskip(NEXT) | instid1(VALU_DEP_1)
	v_and_b32_e32 v36, 0xffff, v36
	v_lshrrev_b32_e32 v36, s48, v36
	s_delay_alu instid0(VALU_DEP_1) | instskip(NEXT) | instid1(VALU_DEP_1)
	v_and_b32_e32 v36, s55, v36
	v_and_b32_e32 v37, 1, v36
	v_lshlrev_b32_e32 v38, 30, v36
	v_lshlrev_b32_e32 v39, 29, v36
	;; [unrolled: 1-line block ×4, first 2 shown]
	v_add_co_u32 v37, s16, v37, -1
	s_delay_alu instid0(VALU_DEP_1)
	v_cndmask_b32_e64 v41, 0, 1, s16
	v_not_b32_e32 v206, v38
	v_cmp_gt_i32_e64 s16, 0, v38
	v_not_b32_e32 v38, v39
	v_lshlrev_b32_e32 v43, 26, v36
	v_cmp_ne_u32_e32 vcc_lo, 0, v41
	v_ashrrev_i32_e32 v206, 31, v206
	v_lshlrev_b32_e32 v205, 25, v36
	v_ashrrev_i32_e32 v38, 31, v38
	v_lshlrev_b32_e32 v41, 24, v36
	v_xor_b32_e32 v37, vcc_lo, v37
	v_cmp_gt_i32_e32 vcc_lo, 0, v39
	v_not_b32_e32 v39, v40
	v_xor_b32_e32 v206, s16, v206
	v_cmp_gt_i32_e64 s16, 0, v40
	v_and_b32_e32 v37, exec_lo, v37
	v_not_b32_e32 v40, v42
	v_ashrrev_i32_e32 v39, 31, v39
	v_xor_b32_e32 v38, vcc_lo, v38
	v_cmp_gt_i32_e32 vcc_lo, 0, v42
	v_and_b32_e32 v37, v37, v206
	v_not_b32_e32 v42, v43
	v_ashrrev_i32_e32 v40, 31, v40
	v_xor_b32_e32 v39, s16, v39
	v_cmp_gt_i32_e64 s16, 0, v43
	v_and_b32_e32 v37, v37, v38
	v_not_b32_e32 v38, v205
	v_ashrrev_i32_e32 v42, 31, v42
	v_xor_b32_e32 v40, vcc_lo, v40
	v_cmp_gt_i32_e32 vcc_lo, 0, v205
	v_and_b32_e32 v37, v37, v39
	v_not_b32_e32 v39, v41
	v_ashrrev_i32_e32 v38, 31, v38
	v_xor_b32_e32 v42, s16, v42
	v_mul_u32_u24_e32 v36, 9, v36
	v_and_b32_e32 v37, v37, v40
	v_cmp_gt_i32_e64 s16, 0, v41
	v_ashrrev_i32_e32 v39, 31, v39
	v_xor_b32_e32 v38, vcc_lo, v38
	v_add_lshl_u32 v40, v36, v126, 2
	v_and_b32_e32 v37, v37, v42
	s_delay_alu instid0(VALU_DEP_4) | instskip(SKIP_3) | instid1(VALU_DEP_2)
	v_xor_b32_e32 v36, s16, v39
	ds_load_b32 v205, v40 offset:1056
	v_and_b32_e32 v37, v37, v38
	v_add_nc_u32_e32 v207, 0x420, v40
	; wave barrier
	v_and_b32_e32 v36, v37, v36
	s_delay_alu instid0(VALU_DEP_1) | instskip(SKIP_1) | instid1(VALU_DEP_2)
	v_mbcnt_lo_u32_b32 v206, v36, 0
	v_cmp_ne_u32_e64 s16, 0, v36
	v_cmp_eq_u32_e32 vcc_lo, 0, v206
	s_delay_alu instid0(VALU_DEP_2) | instskip(NEXT) | instid1(SALU_CYCLE_1)
	s_and_b32 s17, s16, vcc_lo
	s_and_saveexec_b32 s16, s17
	s_cbranch_execz .LBB1747_460
; %bb.459:                              ;   in Loop: Header=BB1747_392 Depth=2
	s_waitcnt lgkmcnt(0)
	v_bcnt_u32_b32 v36, v36, v205
	ds_store_b32 v207, v36
.LBB1747_460:                           ;   in Loop: Header=BB1747_392 Depth=2
	s_or_b32 exec_lo, exec_lo, s16
	; wave barrier
	s_waitcnt lgkmcnt(0)
	s_barrier
	buffer_gl0_inv
	ds_load_b32 v208, v69 offset:1056
	ds_load_2addr_b32 v[42:43], v71 offset0:1 offset1:2
	ds_load_2addr_b32 v[40:41], v71 offset0:3 offset1:4
	ds_load_2addr_b32 v[36:37], v71 offset0:5 offset1:6
	ds_load_2addr_b32 v[38:39], v71 offset0:7 offset1:8
	s_waitcnt lgkmcnt(3)
	v_add3_u32 v209, v42, v208, v43
	s_waitcnt lgkmcnt(2)
	s_delay_alu instid0(VALU_DEP_1) | instskip(SKIP_1) | instid1(VALU_DEP_1)
	v_add3_u32 v209, v209, v40, v41
	s_waitcnt lgkmcnt(1)
	v_add3_u32 v209, v209, v36, v37
	s_waitcnt lgkmcnt(0)
	s_delay_alu instid0(VALU_DEP_1) | instskip(NEXT) | instid1(VALU_DEP_1)
	v_add3_u32 v39, v209, v38, v39
	v_mov_b32_dpp v209, v39 row_shr:1 row_mask:0xf bank_mask:0xf
	s_delay_alu instid0(VALU_DEP_1) | instskip(NEXT) | instid1(VALU_DEP_1)
	v_cndmask_b32_e64 v209, v209, 0, s0
	v_add_nc_u32_e32 v39, v209, v39
	s_delay_alu instid0(VALU_DEP_1) | instskip(NEXT) | instid1(VALU_DEP_1)
	v_mov_b32_dpp v209, v39 row_shr:2 row_mask:0xf bank_mask:0xf
	v_cndmask_b32_e64 v209, 0, v209, s1
	s_delay_alu instid0(VALU_DEP_1) | instskip(NEXT) | instid1(VALU_DEP_1)
	v_add_nc_u32_e32 v39, v39, v209
	v_mov_b32_dpp v209, v39 row_shr:4 row_mask:0xf bank_mask:0xf
	s_delay_alu instid0(VALU_DEP_1) | instskip(NEXT) | instid1(VALU_DEP_1)
	v_cndmask_b32_e64 v209, 0, v209, s8
	v_add_nc_u32_e32 v39, v39, v209
	s_delay_alu instid0(VALU_DEP_1) | instskip(NEXT) | instid1(VALU_DEP_1)
	v_mov_b32_dpp v209, v39 row_shr:8 row_mask:0xf bank_mask:0xf
	v_cndmask_b32_e64 v209, 0, v209, s9
	s_delay_alu instid0(VALU_DEP_1) | instskip(SKIP_3) | instid1(VALU_DEP_1)
	v_add_nc_u32_e32 v39, v39, v209
	ds_swizzle_b32 v209, v39 offset:swizzle(BROADCAST,32,15)
	s_waitcnt lgkmcnt(0)
	v_cndmask_b32_e64 v209, v209, 0, s10
	v_add_nc_u32_e32 v39, v39, v209
	s_and_saveexec_b32 s16, s3
	s_cbranch_execz .LBB1747_462
; %bb.461:                              ;   in Loop: Header=BB1747_392 Depth=2
	ds_store_b32 v62, v39 offset:1024
.LBB1747_462:                           ;   in Loop: Header=BB1747_392 Depth=2
	s_or_b32 exec_lo, exec_lo, s16
	s_waitcnt lgkmcnt(0)
	s_barrier
	buffer_gl0_inv
	s_and_saveexec_b32 s16, s4
	s_cbranch_execz .LBB1747_464
; %bb.463:                              ;   in Loop: Header=BB1747_392 Depth=2
	ds_load_b32 v209, v72 offset:1024
	s_waitcnt lgkmcnt(0)
	v_mov_b32_dpp v210, v209 row_shr:1 row_mask:0xf bank_mask:0xf
	s_delay_alu instid0(VALU_DEP_1) | instskip(NEXT) | instid1(VALU_DEP_1)
	v_cndmask_b32_e64 v210, v210, 0, s12
	v_add_nc_u32_e32 v209, v210, v209
	s_delay_alu instid0(VALU_DEP_1) | instskip(NEXT) | instid1(VALU_DEP_1)
	v_mov_b32_dpp v210, v209 row_shr:2 row_mask:0xf bank_mask:0xf
	v_cndmask_b32_e64 v210, 0, v210, s13
	s_delay_alu instid0(VALU_DEP_1) | instskip(NEXT) | instid1(VALU_DEP_1)
	v_add_nc_u32_e32 v209, v209, v210
	v_mov_b32_dpp v210, v209 row_shr:4 row_mask:0xf bank_mask:0xf
	s_delay_alu instid0(VALU_DEP_1) | instskip(NEXT) | instid1(VALU_DEP_1)
	v_cndmask_b32_e64 v210, 0, v210, s14
	v_add_nc_u32_e32 v209, v209, v210
	ds_store_b32 v72, v209 offset:1024
.LBB1747_464:                           ;   in Loop: Header=BB1747_392 Depth=2
	s_or_b32 exec_lo, exec_lo, s16
	v_mov_b32_e32 v209, 0
	s_waitcnt lgkmcnt(0)
	s_barrier
	buffer_gl0_inv
	s_and_saveexec_b32 s16, s5
	s_cbranch_execz .LBB1747_466
; %bb.465:                              ;   in Loop: Header=BB1747_392 Depth=2
	ds_load_b32 v209, v62 offset:1020
.LBB1747_466:                           ;   in Loop: Header=BB1747_392 Depth=2
	s_or_b32 exec_lo, exec_lo, s16
	s_waitcnt lgkmcnt(0)
	v_add_nc_u32_e32 v39, v209, v39
	ds_bpermute_b32 v39, v105, v39
	s_waitcnt lgkmcnt(0)
	v_cndmask_b32_e64 v39, v39, v209, s11
	s_delay_alu instid0(VALU_DEP_1) | instskip(NEXT) | instid1(VALU_DEP_1)
	v_cndmask_b32_e64 v39, v39, 0, s6
	v_add_nc_u32_e32 v208, v39, v208
	s_delay_alu instid0(VALU_DEP_1) | instskip(NEXT) | instid1(VALU_DEP_1)
	v_add_nc_u32_e32 v42, v208, v42
	v_add_nc_u32_e32 v43, v42, v43
	s_delay_alu instid0(VALU_DEP_1) | instskip(NEXT) | instid1(VALU_DEP_1)
	v_add_nc_u32_e32 v40, v43, v40
	;; [unrolled: 3-line block ×3, first 2 shown]
	v_add_nc_u32_e32 v37, v36, v37
	s_delay_alu instid0(VALU_DEP_1)
	v_add_nc_u32_e32 v38, v37, v38
	ds_store_b32 v69, v39 offset:1056
	ds_store_2addr_b32 v71, v208, v42 offset0:1 offset1:2
	ds_store_2addr_b32 v71, v43, v40 offset0:3 offset1:4
	;; [unrolled: 1-line block ×4, first 2 shown]
	v_mov_b32_e32 v38, 0x1000
	s_waitcnt lgkmcnt(0)
	s_barrier
	buffer_gl0_inv
	ds_load_b32 v39, v152
	ds_load_b32 v40, v156
	;; [unrolled: 1-line block ×16, first 2 shown]
	ds_load_b32 v156, v69 offset:1056
	s_and_saveexec_b32 s16, s7
	s_cbranch_execz .LBB1747_468
; %bb.467:                              ;   in Loop: Header=BB1747_392 Depth=2
	ds_load_b32 v38, v73 offset:1056
.LBB1747_468:                           ;   in Loop: Header=BB1747_392 Depth=2
	s_or_b32 exec_lo, exec_lo, s16
	s_waitcnt lgkmcnt(0)
	s_barrier
	buffer_gl0_inv
	s_and_saveexec_b32 s16, s2
	s_cbranch_execz .LBB1747_470
; %bb.469:                              ;   in Loop: Header=BB1747_392 Depth=2
	ds_load_b32 v160, v44
	s_waitcnt lgkmcnt(0)
	v_sub_nc_u32_e32 v156, v160, v156
	ds_store_b32 v44, v156
.LBB1747_470:                           ;   in Loop: Header=BB1747_392 Depth=2
	s_or_b32 exec_lo, exec_lo, s16
	v_add_nc_u32_e32 v168, v148, v147
	v_add3_u32 v164, v151, v150, v39
	v_add3_u32 v160, v155, v154, v40
	;; [unrolled: 1-line block ×5, first 2 shown]
	v_lshlrev_b32_e32 v158, 1, v168
	v_add3_u32 v43, v199, v198, v36
	v_lshlrev_b32_e32 v36, 1, v164
	v_add3_u32 v152, v172, v171, v173
	v_add3_u32 v151, v175, v174, v176
	ds_store_b16 v158, v2 offset:1024
	v_lshlrev_b32_e32 v2, 1, v160
	ds_store_b16 v36, v146 offset:1024
	v_lshlrev_b32_e32 v36, 1, v154
	v_add3_u32 v150, v179, v178, v180
	v_add3_u32 v42, v203, v202, v37
	v_lshlrev_b32_e32 v37, 1, v156
	v_add3_u32 v148, v183, v182, v184
	v_lshlrev_b32_e32 v158, 1, v155
	v_add3_u32 v147, v187, v186, v188
	v_add3_u32 v40, v191, v190, v192
	ds_store_b16 v2, v149 offset:1024
	ds_store_b16 v37, v153 offset:1024
	;; [unrolled: 1-line block ×3, first 2 shown]
	v_lshlrev_b32_e32 v2, 1, v152
	ds_store_b16 v36, v161 offset:1024
	v_lshlrev_b32_e32 v36, 1, v151
	v_lshlrev_b32_e32 v37, 1, v150
	;; [unrolled: 1-line block ×3, first 2 shown]
	v_add3_u32 v39, v195, v194, v196
	v_add3_u32 v41, v206, v205, v41
	ds_store_b16 v2, v165 offset:1024
	v_lshlrev_b32_e32 v2, 1, v147
	ds_store_b16 v36, v170 offset:1024
	ds_store_b16 v37, v169 offset:1024
	;; [unrolled: 1-line block ×3, first 2 shown]
	v_lshlrev_b32_e32 v36, 1, v40
	v_cmp_lt_u32_e32 vcc_lo, v1, v145
	v_lshlrev_b32_e32 v37, 1, v43
	ds_store_b16 v2, v181 offset:1024
	v_lshlrev_b32_e32 v2, 1, v39
	ds_store_b16 v36, v185 offset:1024
	v_lshlrev_b32_e32 v36, 1, v41
	v_lshlrev_b32_e32 v146, 1, v42
	ds_store_b16 v2, v189 offset:1024
	ds_store_b16 v37, v193 offset:1024
	;; [unrolled: 1-line block ×4, first 2 shown]
	s_waitcnt lgkmcnt(0)
	s_barrier
	buffer_gl0_inv
	s_and_saveexec_b32 s17, vcc_lo
	s_cbranch_execz .LBB1747_486
; %bb.471:                              ;   in Loop: Header=BB1747_392 Depth=2
	v_add_nc_u32_e32 v2, v72, v78
	ds_load_u16 v146, v2 offset:1024
	s_waitcnt lgkmcnt(0)
	v_cmp_ne_u16_e64 s16, 0x8000, v146
	s_delay_alu instid0(VALU_DEP_1) | instskip(SKIP_1) | instid1(VALU_DEP_2)
	v_cndmask_b32_e64 v2, 0x7fff, v146, s16
	v_cmp_gt_i16_e64 s16, 0, v146
	v_and_b32_e32 v2, 0xffff, v2
	s_delay_alu instid0(VALU_DEP_2) | instskip(NEXT) | instid1(VALU_DEP_2)
	v_cndmask_b32_e64 v149, 0x7fff, 0, s16
	v_lshrrev_b32_e32 v2, s48, v2
	s_delay_alu instid0(VALU_DEP_1) | instskip(NEXT) | instid1(VALU_DEP_1)
	v_and_b32_e32 v2, s55, v2
	v_lshlrev_b32_e32 v2, 2, v2
	ds_load_b32 v2, v2
	s_waitcnt lgkmcnt(0)
	v_add_nc_u32_e32 v2, v2, v1
	s_delay_alu instid0(VALU_DEP_1) | instskip(SKIP_1) | instid1(VALU_DEP_2)
	v_lshlrev_b64 v[36:37], 1, v[2:3]
	v_xor_b32_e32 v2, v149, v146
	v_add_co_u32 v36, s16, s40, v36
	s_delay_alu instid0(VALU_DEP_1) | instskip(SKIP_3) | instid1(VALU_DEP_1)
	v_add_co_ci_u32_e64 v37, s16, s41, v37, s16
	global_store_b16 v[36:37], v2, off
	s_or_b32 exec_lo, exec_lo, s17
	v_cmp_lt_u32_e64 s16, v45, v145
	s_and_saveexec_b32 s18, s16
	s_cbranch_execnz .LBB1747_487
.LBB1747_472:                           ;   in Loop: Header=BB1747_392 Depth=2
	s_or_b32 exec_lo, exec_lo, s18
	v_cmp_lt_u32_e64 s17, v46, v145
	s_delay_alu instid0(VALU_DEP_1)
	s_and_saveexec_b32 s19, s17
	s_cbranch_execz .LBB1747_488
.LBB1747_473:                           ;   in Loop: Header=BB1747_392 Depth=2
	ds_load_u16 v146, v79 offset:1024
	s_waitcnt lgkmcnt(0)
	v_cmp_ne_u16_e64 s18, 0x8000, v146
	s_delay_alu instid0(VALU_DEP_1) | instskip(SKIP_1) | instid1(VALU_DEP_2)
	v_cndmask_b32_e64 v2, 0x7fff, v146, s18
	v_cmp_gt_i16_e64 s18, 0, v146
	v_and_b32_e32 v2, 0xffff, v2
	s_delay_alu instid0(VALU_DEP_2) | instskip(NEXT) | instid1(VALU_DEP_2)
	v_cndmask_b32_e64 v149, 0x7fff, 0, s18
	v_lshrrev_b32_e32 v2, s48, v2
	s_delay_alu instid0(VALU_DEP_1) | instskip(NEXT) | instid1(VALU_DEP_1)
	v_and_b32_e32 v2, s55, v2
	v_lshlrev_b32_e32 v2, 2, v2
	ds_load_b32 v2, v2
	s_waitcnt lgkmcnt(0)
	v_add_nc_u32_e32 v2, v2, v46
	s_delay_alu instid0(VALU_DEP_1) | instskip(SKIP_1) | instid1(VALU_DEP_2)
	v_lshlrev_b64 v[36:37], 1, v[2:3]
	v_xor_b32_e32 v2, v149, v146
	v_add_co_u32 v36, s18, s40, v36
	s_delay_alu instid0(VALU_DEP_1) | instskip(SKIP_3) | instid1(VALU_DEP_1)
	v_add_co_ci_u32_e64 v37, s18, s41, v37, s18
	global_store_b16 v[36:37], v2, off
	s_or_b32 exec_lo, exec_lo, s19
	v_cmp_lt_u32_e64 s18, v47, v145
	s_and_saveexec_b32 s20, s18
	s_cbranch_execnz .LBB1747_489
.LBB1747_474:                           ;   in Loop: Header=BB1747_392 Depth=2
	s_or_b32 exec_lo, exec_lo, s20
	v_cmp_lt_u32_e64 s19, v51, v145
	s_delay_alu instid0(VALU_DEP_1)
	s_and_saveexec_b32 s21, s19
	s_cbranch_execz .LBB1747_490
.LBB1747_475:                           ;   in Loop: Header=BB1747_392 Depth=2
	ds_load_u16 v146, v79 offset:2048
	s_waitcnt lgkmcnt(0)
	v_cmp_ne_u16_e64 s20, 0x8000, v146
	s_delay_alu instid0(VALU_DEP_1) | instskip(SKIP_1) | instid1(VALU_DEP_2)
	v_cndmask_b32_e64 v2, 0x7fff, v146, s20
	v_cmp_gt_i16_e64 s20, 0, v146
	v_and_b32_e32 v2, 0xffff, v2
	s_delay_alu instid0(VALU_DEP_2) | instskip(NEXT) | instid1(VALU_DEP_2)
	v_cndmask_b32_e64 v149, 0x7fff, 0, s20
	v_lshrrev_b32_e32 v2, s48, v2
	s_delay_alu instid0(VALU_DEP_1) | instskip(NEXT) | instid1(VALU_DEP_1)
	v_and_b32_e32 v2, s55, v2
	v_lshlrev_b32_e32 v2, 2, v2
	ds_load_b32 v2, v2
	s_waitcnt lgkmcnt(0)
	v_add_nc_u32_e32 v2, v2, v51
	s_delay_alu instid0(VALU_DEP_1) | instskip(SKIP_1) | instid1(VALU_DEP_2)
	v_lshlrev_b64 v[36:37], 1, v[2:3]
	v_xor_b32_e32 v2, v149, v146
	v_add_co_u32 v36, s20, s40, v36
	s_delay_alu instid0(VALU_DEP_1) | instskip(SKIP_3) | instid1(VALU_DEP_1)
	v_add_co_ci_u32_e64 v37, s20, s41, v37, s20
	global_store_b16 v[36:37], v2, off
	s_or_b32 exec_lo, exec_lo, s21
	v_cmp_lt_u32_e64 s20, v52, v145
	s_and_saveexec_b32 s22, s20
	s_cbranch_execnz .LBB1747_491
.LBB1747_476:                           ;   in Loop: Header=BB1747_392 Depth=2
	s_or_b32 exec_lo, exec_lo, s22
	v_cmp_lt_u32_e64 s21, v53, v145
	s_delay_alu instid0(VALU_DEP_1)
	s_and_saveexec_b32 s23, s21
	s_cbranch_execz .LBB1747_492
.LBB1747_477:                           ;   in Loop: Header=BB1747_392 Depth=2
	ds_load_u16 v146, v79 offset:3072
	s_waitcnt lgkmcnt(0)
	v_cmp_ne_u16_e64 s22, 0x8000, v146
	s_delay_alu instid0(VALU_DEP_1) | instskip(SKIP_1) | instid1(VALU_DEP_2)
	v_cndmask_b32_e64 v2, 0x7fff, v146, s22
	v_cmp_gt_i16_e64 s22, 0, v146
	v_and_b32_e32 v2, 0xffff, v2
	s_delay_alu instid0(VALU_DEP_2) | instskip(NEXT) | instid1(VALU_DEP_2)
	v_cndmask_b32_e64 v149, 0x7fff, 0, s22
	v_lshrrev_b32_e32 v2, s48, v2
	s_delay_alu instid0(VALU_DEP_1) | instskip(NEXT) | instid1(VALU_DEP_1)
	v_and_b32_e32 v2, s55, v2
	v_lshlrev_b32_e32 v2, 2, v2
	ds_load_b32 v2, v2
	s_waitcnt lgkmcnt(0)
	v_add_nc_u32_e32 v2, v2, v53
	s_delay_alu instid0(VALU_DEP_1) | instskip(SKIP_1) | instid1(VALU_DEP_2)
	v_lshlrev_b64 v[36:37], 1, v[2:3]
	v_xor_b32_e32 v2, v149, v146
	v_add_co_u32 v36, s22, s40, v36
	s_delay_alu instid0(VALU_DEP_1) | instskip(SKIP_3) | instid1(VALU_DEP_1)
	v_add_co_ci_u32_e64 v37, s22, s41, v37, s22
	global_store_b16 v[36:37], v2, off
	s_or_b32 exec_lo, exec_lo, s23
	v_cmp_lt_u32_e64 s22, v54, v145
	s_and_saveexec_b32 s24, s22
	s_cbranch_execnz .LBB1747_493
.LBB1747_478:                           ;   in Loop: Header=BB1747_392 Depth=2
	s_or_b32 exec_lo, exec_lo, s24
	v_cmp_lt_u32_e64 s23, v55, v145
	s_delay_alu instid0(VALU_DEP_1)
	s_and_saveexec_b32 s25, s23
	s_cbranch_execz .LBB1747_494
.LBB1747_479:                           ;   in Loop: Header=BB1747_392 Depth=2
	ds_load_u16 v146, v79 offset:4096
	s_waitcnt lgkmcnt(0)
	v_cmp_ne_u16_e64 s24, 0x8000, v146
	s_delay_alu instid0(VALU_DEP_1) | instskip(SKIP_1) | instid1(VALU_DEP_2)
	v_cndmask_b32_e64 v2, 0x7fff, v146, s24
	v_cmp_gt_i16_e64 s24, 0, v146
	v_and_b32_e32 v2, 0xffff, v2
	s_delay_alu instid0(VALU_DEP_2) | instskip(NEXT) | instid1(VALU_DEP_2)
	v_cndmask_b32_e64 v149, 0x7fff, 0, s24
	v_lshrrev_b32_e32 v2, s48, v2
	s_delay_alu instid0(VALU_DEP_1) | instskip(NEXT) | instid1(VALU_DEP_1)
	v_and_b32_e32 v2, s55, v2
	v_lshlrev_b32_e32 v2, 2, v2
	ds_load_b32 v2, v2
	s_waitcnt lgkmcnt(0)
	v_add_nc_u32_e32 v2, v2, v55
	s_delay_alu instid0(VALU_DEP_1) | instskip(SKIP_1) | instid1(VALU_DEP_2)
	v_lshlrev_b64 v[36:37], 1, v[2:3]
	v_xor_b32_e32 v2, v149, v146
	v_add_co_u32 v36, s24, s40, v36
	s_delay_alu instid0(VALU_DEP_1) | instskip(SKIP_3) | instid1(VALU_DEP_1)
	v_add_co_ci_u32_e64 v37, s24, s41, v37, s24
	global_store_b16 v[36:37], v2, off
	s_or_b32 exec_lo, exec_lo, s25
	v_cmp_lt_u32_e64 s24, v56, v145
	s_and_saveexec_b32 s27, s24
	s_cbranch_execnz .LBB1747_495
.LBB1747_480:                           ;   in Loop: Header=BB1747_392 Depth=2
	s_or_b32 exec_lo, exec_lo, s27
	v_cmp_lt_u32_e64 s25, v57, v145
	s_delay_alu instid0(VALU_DEP_1)
	s_and_saveexec_b32 s28, s25
	s_cbranch_execz .LBB1747_496
.LBB1747_481:                           ;   in Loop: Header=BB1747_392 Depth=2
	ds_load_u16 v146, v79 offset:5120
	s_waitcnt lgkmcnt(0)
	v_cmp_ne_u16_e64 s27, 0x8000, v146
	s_delay_alu instid0(VALU_DEP_1) | instskip(SKIP_1) | instid1(VALU_DEP_2)
	v_cndmask_b32_e64 v2, 0x7fff, v146, s27
	v_cmp_gt_i16_e64 s27, 0, v146
	v_and_b32_e32 v2, 0xffff, v2
	s_delay_alu instid0(VALU_DEP_2) | instskip(NEXT) | instid1(VALU_DEP_2)
	v_cndmask_b32_e64 v149, 0x7fff, 0, s27
	v_lshrrev_b32_e32 v2, s48, v2
	s_delay_alu instid0(VALU_DEP_1) | instskip(NEXT) | instid1(VALU_DEP_1)
	v_and_b32_e32 v2, s55, v2
	v_lshlrev_b32_e32 v2, 2, v2
	ds_load_b32 v2, v2
	s_waitcnt lgkmcnt(0)
	v_add_nc_u32_e32 v2, v2, v57
	s_delay_alu instid0(VALU_DEP_1) | instskip(SKIP_1) | instid1(VALU_DEP_2)
	v_lshlrev_b64 v[36:37], 1, v[2:3]
	v_xor_b32_e32 v2, v149, v146
	v_add_co_u32 v36, s27, s40, v36
	s_delay_alu instid0(VALU_DEP_1) | instskip(SKIP_3) | instid1(VALU_DEP_1)
	v_add_co_ci_u32_e64 v37, s27, s41, v37, s27
	global_store_b16 v[36:37], v2, off
	s_or_b32 exec_lo, exec_lo, s28
	v_cmp_lt_u32_e64 s27, v58, v145
	s_and_saveexec_b32 s29, s27
	s_cbranch_execnz .LBB1747_497
.LBB1747_482:                           ;   in Loop: Header=BB1747_392 Depth=2
	s_or_b32 exec_lo, exec_lo, s29
	v_cmp_lt_u32_e64 s28, v59, v145
	s_delay_alu instid0(VALU_DEP_1)
	s_and_saveexec_b32 s30, s28
	s_cbranch_execz .LBB1747_498
.LBB1747_483:                           ;   in Loop: Header=BB1747_392 Depth=2
	ds_load_u16 v146, v79 offset:6144
	s_waitcnt lgkmcnt(0)
	v_cmp_ne_u16_e64 s29, 0x8000, v146
	s_delay_alu instid0(VALU_DEP_1) | instskip(SKIP_1) | instid1(VALU_DEP_2)
	v_cndmask_b32_e64 v2, 0x7fff, v146, s29
	v_cmp_gt_i16_e64 s29, 0, v146
	v_and_b32_e32 v2, 0xffff, v2
	s_delay_alu instid0(VALU_DEP_2) | instskip(NEXT) | instid1(VALU_DEP_2)
	v_cndmask_b32_e64 v149, 0x7fff, 0, s29
	v_lshrrev_b32_e32 v2, s48, v2
	s_delay_alu instid0(VALU_DEP_1) | instskip(NEXT) | instid1(VALU_DEP_1)
	v_and_b32_e32 v2, s55, v2
	v_lshlrev_b32_e32 v2, 2, v2
	ds_load_b32 v2, v2
	s_waitcnt lgkmcnt(0)
	v_add_nc_u32_e32 v2, v2, v59
	s_delay_alu instid0(VALU_DEP_1) | instskip(SKIP_1) | instid1(VALU_DEP_2)
	v_lshlrev_b64 v[36:37], 1, v[2:3]
	v_xor_b32_e32 v2, v149, v146
	v_add_co_u32 v36, s29, s40, v36
	s_delay_alu instid0(VALU_DEP_1) | instskip(SKIP_3) | instid1(VALU_DEP_1)
	v_add_co_ci_u32_e64 v37, s29, s41, v37, s29
	global_store_b16 v[36:37], v2, off
	s_or_b32 exec_lo, exec_lo, s30
	v_cmp_lt_u32_e64 s29, v60, v145
	s_and_saveexec_b32 s31, s29
	s_cbranch_execnz .LBB1747_499
.LBB1747_484:                           ;   in Loop: Header=BB1747_392 Depth=2
	s_or_b32 exec_lo, exec_lo, s31
	v_cmp_lt_u32_e64 s30, v61, v145
	s_delay_alu instid0(VALU_DEP_1)
	s_and_saveexec_b32 s33, s30
	s_cbranch_execz .LBB1747_500
.LBB1747_485:                           ;   in Loop: Header=BB1747_392 Depth=2
	ds_load_u16 v146, v79 offset:7168
	s_waitcnt lgkmcnt(0)
	v_cmp_ne_u16_e64 s31, 0x8000, v146
	s_delay_alu instid0(VALU_DEP_1) | instskip(SKIP_1) | instid1(VALU_DEP_2)
	v_cndmask_b32_e64 v2, 0x7fff, v146, s31
	v_cmp_gt_i16_e64 s31, 0, v146
	v_and_b32_e32 v2, 0xffff, v2
	s_delay_alu instid0(VALU_DEP_2) | instskip(NEXT) | instid1(VALU_DEP_2)
	v_cndmask_b32_e64 v149, 0x7fff, 0, s31
	v_lshrrev_b32_e32 v2, s48, v2
	s_delay_alu instid0(VALU_DEP_1) | instskip(NEXT) | instid1(VALU_DEP_1)
	v_and_b32_e32 v2, s55, v2
	v_lshlrev_b32_e32 v2, 2, v2
	ds_load_b32 v2, v2
	s_waitcnt lgkmcnt(0)
	v_add_nc_u32_e32 v2, v2, v61
	s_delay_alu instid0(VALU_DEP_1) | instskip(SKIP_1) | instid1(VALU_DEP_2)
	v_lshlrev_b64 v[36:37], 1, v[2:3]
	v_xor_b32_e32 v2, v149, v146
	v_add_co_u32 v36, s31, s40, v36
	s_delay_alu instid0(VALU_DEP_1) | instskip(SKIP_3) | instid1(VALU_DEP_1)
	v_add_co_ci_u32_e64 v37, s31, s41, v37, s31
	global_store_b16 v[36:37], v2, off
	s_or_b32 exec_lo, exec_lo, s33
	v_cmp_lt_u32_e64 s31, v63, v145
	s_and_saveexec_b32 s58, s31
	s_cbranch_execnz .LBB1747_501
	s_branch .LBB1747_502
.LBB1747_486:                           ;   in Loop: Header=BB1747_392 Depth=2
	s_or_b32 exec_lo, exec_lo, s17
	v_cmp_lt_u32_e64 s16, v45, v145
	s_delay_alu instid0(VALU_DEP_1)
	s_and_saveexec_b32 s18, s16
	s_cbranch_execz .LBB1747_472
.LBB1747_487:                           ;   in Loop: Header=BB1747_392 Depth=2
	ds_load_u16 v146, v79 offset:512
	s_waitcnt lgkmcnt(0)
	v_cmp_ne_u16_e64 s17, 0x8000, v146
	s_delay_alu instid0(VALU_DEP_1) | instskip(SKIP_1) | instid1(VALU_DEP_2)
	v_cndmask_b32_e64 v2, 0x7fff, v146, s17
	v_cmp_gt_i16_e64 s17, 0, v146
	v_and_b32_e32 v2, 0xffff, v2
	s_delay_alu instid0(VALU_DEP_2) | instskip(NEXT) | instid1(VALU_DEP_2)
	v_cndmask_b32_e64 v149, 0x7fff, 0, s17
	v_lshrrev_b32_e32 v2, s48, v2
	s_delay_alu instid0(VALU_DEP_1) | instskip(NEXT) | instid1(VALU_DEP_1)
	v_and_b32_e32 v2, s55, v2
	v_lshlrev_b32_e32 v2, 2, v2
	ds_load_b32 v2, v2
	s_waitcnt lgkmcnt(0)
	v_add_nc_u32_e32 v2, v2, v45
	s_delay_alu instid0(VALU_DEP_1) | instskip(SKIP_1) | instid1(VALU_DEP_2)
	v_lshlrev_b64 v[36:37], 1, v[2:3]
	v_xor_b32_e32 v2, v149, v146
	v_add_co_u32 v36, s17, s40, v36
	s_delay_alu instid0(VALU_DEP_1) | instskip(SKIP_3) | instid1(VALU_DEP_1)
	v_add_co_ci_u32_e64 v37, s17, s41, v37, s17
	global_store_b16 v[36:37], v2, off
	s_or_b32 exec_lo, exec_lo, s18
	v_cmp_lt_u32_e64 s17, v46, v145
	s_and_saveexec_b32 s19, s17
	s_cbranch_execnz .LBB1747_473
.LBB1747_488:                           ;   in Loop: Header=BB1747_392 Depth=2
	s_or_b32 exec_lo, exec_lo, s19
	v_cmp_lt_u32_e64 s18, v47, v145
	s_delay_alu instid0(VALU_DEP_1)
	s_and_saveexec_b32 s20, s18
	s_cbranch_execz .LBB1747_474
.LBB1747_489:                           ;   in Loop: Header=BB1747_392 Depth=2
	ds_load_u16 v146, v79 offset:1536
	s_waitcnt lgkmcnt(0)
	v_cmp_ne_u16_e64 s19, 0x8000, v146
	s_delay_alu instid0(VALU_DEP_1) | instskip(SKIP_1) | instid1(VALU_DEP_2)
	v_cndmask_b32_e64 v2, 0x7fff, v146, s19
	v_cmp_gt_i16_e64 s19, 0, v146
	v_and_b32_e32 v2, 0xffff, v2
	s_delay_alu instid0(VALU_DEP_2) | instskip(NEXT) | instid1(VALU_DEP_2)
	v_cndmask_b32_e64 v149, 0x7fff, 0, s19
	v_lshrrev_b32_e32 v2, s48, v2
	s_delay_alu instid0(VALU_DEP_1) | instskip(NEXT) | instid1(VALU_DEP_1)
	v_and_b32_e32 v2, s55, v2
	v_lshlrev_b32_e32 v2, 2, v2
	ds_load_b32 v2, v2
	s_waitcnt lgkmcnt(0)
	v_add_nc_u32_e32 v2, v2, v47
	s_delay_alu instid0(VALU_DEP_1) | instskip(SKIP_1) | instid1(VALU_DEP_2)
	v_lshlrev_b64 v[36:37], 1, v[2:3]
	v_xor_b32_e32 v2, v149, v146
	v_add_co_u32 v36, s19, s40, v36
	s_delay_alu instid0(VALU_DEP_1) | instskip(SKIP_3) | instid1(VALU_DEP_1)
	v_add_co_ci_u32_e64 v37, s19, s41, v37, s19
	global_store_b16 v[36:37], v2, off
	s_or_b32 exec_lo, exec_lo, s20
	v_cmp_lt_u32_e64 s19, v51, v145
	s_and_saveexec_b32 s21, s19
	s_cbranch_execnz .LBB1747_475
.LBB1747_490:                           ;   in Loop: Header=BB1747_392 Depth=2
	s_or_b32 exec_lo, exec_lo, s21
	v_cmp_lt_u32_e64 s20, v52, v145
	s_delay_alu instid0(VALU_DEP_1)
	s_and_saveexec_b32 s22, s20
	s_cbranch_execz .LBB1747_476
.LBB1747_491:                           ;   in Loop: Header=BB1747_392 Depth=2
	ds_load_u16 v146, v79 offset:2560
	s_waitcnt lgkmcnt(0)
	v_cmp_ne_u16_e64 s21, 0x8000, v146
	s_delay_alu instid0(VALU_DEP_1) | instskip(SKIP_1) | instid1(VALU_DEP_2)
	v_cndmask_b32_e64 v2, 0x7fff, v146, s21
	v_cmp_gt_i16_e64 s21, 0, v146
	v_and_b32_e32 v2, 0xffff, v2
	s_delay_alu instid0(VALU_DEP_2) | instskip(NEXT) | instid1(VALU_DEP_2)
	v_cndmask_b32_e64 v149, 0x7fff, 0, s21
	v_lshrrev_b32_e32 v2, s48, v2
	s_delay_alu instid0(VALU_DEP_1) | instskip(NEXT) | instid1(VALU_DEP_1)
	v_and_b32_e32 v2, s55, v2
	v_lshlrev_b32_e32 v2, 2, v2
	ds_load_b32 v2, v2
	s_waitcnt lgkmcnt(0)
	v_add_nc_u32_e32 v2, v2, v52
	s_delay_alu instid0(VALU_DEP_1) | instskip(SKIP_1) | instid1(VALU_DEP_2)
	v_lshlrev_b64 v[36:37], 1, v[2:3]
	v_xor_b32_e32 v2, v149, v146
	v_add_co_u32 v36, s21, s40, v36
	s_delay_alu instid0(VALU_DEP_1) | instskip(SKIP_3) | instid1(VALU_DEP_1)
	v_add_co_ci_u32_e64 v37, s21, s41, v37, s21
	global_store_b16 v[36:37], v2, off
	s_or_b32 exec_lo, exec_lo, s22
	v_cmp_lt_u32_e64 s21, v53, v145
	s_and_saveexec_b32 s23, s21
	s_cbranch_execnz .LBB1747_477
.LBB1747_492:                           ;   in Loop: Header=BB1747_392 Depth=2
	s_or_b32 exec_lo, exec_lo, s23
	v_cmp_lt_u32_e64 s22, v54, v145
	s_delay_alu instid0(VALU_DEP_1)
	s_and_saveexec_b32 s24, s22
	s_cbranch_execz .LBB1747_478
.LBB1747_493:                           ;   in Loop: Header=BB1747_392 Depth=2
	ds_load_u16 v146, v79 offset:3584
	s_waitcnt lgkmcnt(0)
	v_cmp_ne_u16_e64 s23, 0x8000, v146
	s_delay_alu instid0(VALU_DEP_1) | instskip(SKIP_1) | instid1(VALU_DEP_2)
	v_cndmask_b32_e64 v2, 0x7fff, v146, s23
	v_cmp_gt_i16_e64 s23, 0, v146
	v_and_b32_e32 v2, 0xffff, v2
	s_delay_alu instid0(VALU_DEP_2) | instskip(NEXT) | instid1(VALU_DEP_2)
	v_cndmask_b32_e64 v149, 0x7fff, 0, s23
	v_lshrrev_b32_e32 v2, s48, v2
	s_delay_alu instid0(VALU_DEP_1) | instskip(NEXT) | instid1(VALU_DEP_1)
	v_and_b32_e32 v2, s55, v2
	v_lshlrev_b32_e32 v2, 2, v2
	ds_load_b32 v2, v2
	s_waitcnt lgkmcnt(0)
	v_add_nc_u32_e32 v2, v2, v54
	s_delay_alu instid0(VALU_DEP_1) | instskip(SKIP_1) | instid1(VALU_DEP_2)
	v_lshlrev_b64 v[36:37], 1, v[2:3]
	v_xor_b32_e32 v2, v149, v146
	v_add_co_u32 v36, s23, s40, v36
	s_delay_alu instid0(VALU_DEP_1) | instskip(SKIP_3) | instid1(VALU_DEP_1)
	v_add_co_ci_u32_e64 v37, s23, s41, v37, s23
	global_store_b16 v[36:37], v2, off
	s_or_b32 exec_lo, exec_lo, s24
	v_cmp_lt_u32_e64 s23, v55, v145
	s_and_saveexec_b32 s25, s23
	s_cbranch_execnz .LBB1747_479
.LBB1747_494:                           ;   in Loop: Header=BB1747_392 Depth=2
	s_or_b32 exec_lo, exec_lo, s25
	v_cmp_lt_u32_e64 s24, v56, v145
	s_delay_alu instid0(VALU_DEP_1)
	s_and_saveexec_b32 s27, s24
	s_cbranch_execz .LBB1747_480
.LBB1747_495:                           ;   in Loop: Header=BB1747_392 Depth=2
	ds_load_u16 v146, v79 offset:4608
	s_waitcnt lgkmcnt(0)
	v_cmp_ne_u16_e64 s25, 0x8000, v146
	s_delay_alu instid0(VALU_DEP_1) | instskip(SKIP_1) | instid1(VALU_DEP_2)
	v_cndmask_b32_e64 v2, 0x7fff, v146, s25
	v_cmp_gt_i16_e64 s25, 0, v146
	v_and_b32_e32 v2, 0xffff, v2
	s_delay_alu instid0(VALU_DEP_2) | instskip(NEXT) | instid1(VALU_DEP_2)
	v_cndmask_b32_e64 v149, 0x7fff, 0, s25
	v_lshrrev_b32_e32 v2, s48, v2
	s_delay_alu instid0(VALU_DEP_1) | instskip(NEXT) | instid1(VALU_DEP_1)
	v_and_b32_e32 v2, s55, v2
	v_lshlrev_b32_e32 v2, 2, v2
	ds_load_b32 v2, v2
	s_waitcnt lgkmcnt(0)
	v_add_nc_u32_e32 v2, v2, v56
	s_delay_alu instid0(VALU_DEP_1) | instskip(SKIP_1) | instid1(VALU_DEP_2)
	v_lshlrev_b64 v[36:37], 1, v[2:3]
	v_xor_b32_e32 v2, v149, v146
	v_add_co_u32 v36, s25, s40, v36
	s_delay_alu instid0(VALU_DEP_1) | instskip(SKIP_3) | instid1(VALU_DEP_1)
	v_add_co_ci_u32_e64 v37, s25, s41, v37, s25
	global_store_b16 v[36:37], v2, off
	s_or_b32 exec_lo, exec_lo, s27
	v_cmp_lt_u32_e64 s25, v57, v145
	s_and_saveexec_b32 s28, s25
	s_cbranch_execnz .LBB1747_481
.LBB1747_496:                           ;   in Loop: Header=BB1747_392 Depth=2
	s_or_b32 exec_lo, exec_lo, s28
	v_cmp_lt_u32_e64 s27, v58, v145
	s_delay_alu instid0(VALU_DEP_1)
	s_and_saveexec_b32 s29, s27
	s_cbranch_execz .LBB1747_482
.LBB1747_497:                           ;   in Loop: Header=BB1747_392 Depth=2
	ds_load_u16 v146, v79 offset:5632
	s_waitcnt lgkmcnt(0)
	v_cmp_ne_u16_e64 s28, 0x8000, v146
	s_delay_alu instid0(VALU_DEP_1) | instskip(SKIP_1) | instid1(VALU_DEP_2)
	v_cndmask_b32_e64 v2, 0x7fff, v146, s28
	v_cmp_gt_i16_e64 s28, 0, v146
	v_and_b32_e32 v2, 0xffff, v2
	s_delay_alu instid0(VALU_DEP_2) | instskip(NEXT) | instid1(VALU_DEP_2)
	v_cndmask_b32_e64 v149, 0x7fff, 0, s28
	v_lshrrev_b32_e32 v2, s48, v2
	s_delay_alu instid0(VALU_DEP_1) | instskip(NEXT) | instid1(VALU_DEP_1)
	v_and_b32_e32 v2, s55, v2
	v_lshlrev_b32_e32 v2, 2, v2
	ds_load_b32 v2, v2
	s_waitcnt lgkmcnt(0)
	v_add_nc_u32_e32 v2, v2, v58
	s_delay_alu instid0(VALU_DEP_1) | instskip(SKIP_1) | instid1(VALU_DEP_2)
	v_lshlrev_b64 v[36:37], 1, v[2:3]
	v_xor_b32_e32 v2, v149, v146
	v_add_co_u32 v36, s28, s40, v36
	s_delay_alu instid0(VALU_DEP_1) | instskip(SKIP_3) | instid1(VALU_DEP_1)
	v_add_co_ci_u32_e64 v37, s28, s41, v37, s28
	global_store_b16 v[36:37], v2, off
	s_or_b32 exec_lo, exec_lo, s29
	v_cmp_lt_u32_e64 s28, v59, v145
	s_and_saveexec_b32 s30, s28
	s_cbranch_execnz .LBB1747_483
.LBB1747_498:                           ;   in Loop: Header=BB1747_392 Depth=2
	s_or_b32 exec_lo, exec_lo, s30
	v_cmp_lt_u32_e64 s29, v60, v145
	s_delay_alu instid0(VALU_DEP_1)
	s_and_saveexec_b32 s31, s29
	s_cbranch_execz .LBB1747_484
.LBB1747_499:                           ;   in Loop: Header=BB1747_392 Depth=2
	ds_load_u16 v146, v79 offset:6656
	s_waitcnt lgkmcnt(0)
	v_cmp_ne_u16_e64 s30, 0x8000, v146
	s_delay_alu instid0(VALU_DEP_1) | instskip(SKIP_1) | instid1(VALU_DEP_2)
	v_cndmask_b32_e64 v2, 0x7fff, v146, s30
	v_cmp_gt_i16_e64 s30, 0, v146
	v_and_b32_e32 v2, 0xffff, v2
	s_delay_alu instid0(VALU_DEP_2) | instskip(NEXT) | instid1(VALU_DEP_2)
	v_cndmask_b32_e64 v149, 0x7fff, 0, s30
	v_lshrrev_b32_e32 v2, s48, v2
	s_delay_alu instid0(VALU_DEP_1) | instskip(NEXT) | instid1(VALU_DEP_1)
	v_and_b32_e32 v2, s55, v2
	v_lshlrev_b32_e32 v2, 2, v2
	ds_load_b32 v2, v2
	s_waitcnt lgkmcnt(0)
	v_add_nc_u32_e32 v2, v2, v60
	s_delay_alu instid0(VALU_DEP_1) | instskip(SKIP_1) | instid1(VALU_DEP_2)
	v_lshlrev_b64 v[36:37], 1, v[2:3]
	v_xor_b32_e32 v2, v149, v146
	v_add_co_u32 v36, s30, s40, v36
	s_delay_alu instid0(VALU_DEP_1) | instskip(SKIP_3) | instid1(VALU_DEP_1)
	v_add_co_ci_u32_e64 v37, s30, s41, v37, s30
	global_store_b16 v[36:37], v2, off
	s_or_b32 exec_lo, exec_lo, s31
	v_cmp_lt_u32_e64 s30, v61, v145
	s_and_saveexec_b32 s33, s30
	s_cbranch_execnz .LBB1747_485
.LBB1747_500:                           ;   in Loop: Header=BB1747_392 Depth=2
	s_or_b32 exec_lo, exec_lo, s33
	v_cmp_lt_u32_e64 s31, v63, v145
	s_delay_alu instid0(VALU_DEP_1)
	s_and_saveexec_b32 s58, s31
	s_cbranch_execz .LBB1747_502
.LBB1747_501:                           ;   in Loop: Header=BB1747_392 Depth=2
	ds_load_u16 v146, v79 offset:7680
	s_waitcnt lgkmcnt(0)
	v_cmp_ne_u16_e64 s33, 0x8000, v146
	s_delay_alu instid0(VALU_DEP_1) | instskip(SKIP_1) | instid1(VALU_DEP_2)
	v_cndmask_b32_e64 v2, 0x7fff, v146, s33
	v_cmp_gt_i16_e64 s33, 0, v146
	v_and_b32_e32 v2, 0xffff, v2
	s_delay_alu instid0(VALU_DEP_2) | instskip(NEXT) | instid1(VALU_DEP_2)
	v_cndmask_b32_e64 v149, 0x7fff, 0, s33
	v_lshrrev_b32_e32 v2, s48, v2
	s_delay_alu instid0(VALU_DEP_1) | instskip(NEXT) | instid1(VALU_DEP_1)
	v_and_b32_e32 v2, s55, v2
	v_lshlrev_b32_e32 v2, 2, v2
	ds_load_b32 v2, v2
	s_waitcnt lgkmcnt(0)
	v_add_nc_u32_e32 v2, v2, v63
	s_delay_alu instid0(VALU_DEP_1) | instskip(SKIP_1) | instid1(VALU_DEP_2)
	v_lshlrev_b64 v[36:37], 1, v[2:3]
	v_xor_b32_e32 v2, v149, v146
	v_add_co_u32 v36, s33, s40, v36
	s_delay_alu instid0(VALU_DEP_1)
	v_add_co_ci_u32_e64 v37, s33, s41, v37, s33
	global_store_b16 v[36:37], v2, off
.LBB1747_502:                           ;   in Loop: Header=BB1747_392 Depth=2
	s_or_b32 exec_lo, exec_lo, s58
	s_lshl_b64 s[58:59], s[34:35], 3
	s_delay_alu instid0(SALU_CYCLE_1) | instskip(NEXT) | instid1(VALU_DEP_1)
	v_add_co_u32 v36, s33, v107, s58
	v_add_co_ci_u32_e64 v37, s33, s59, v108, s33
	v_cmp_lt_u32_e64 s33, v106, v145
	s_delay_alu instid0(VALU_DEP_1) | instskip(NEXT) | instid1(SALU_CYCLE_1)
	s_and_saveexec_b32 s34, s33
	s_xor_b32 s33, exec_lo, s34
	s_cbranch_execz .LBB1747_534
; %bb.503:                              ;   in Loop: Header=BB1747_392 Depth=2
	global_load_b64 v[34:35], v[36:37], off
	s_or_b32 exec_lo, exec_lo, s33
	s_delay_alu instid0(SALU_CYCLE_1)
	s_mov_b32 s34, exec_lo
	v_cmpx_lt_u32_e64 v109, v145
	s_cbranch_execnz .LBB1747_535
.LBB1747_504:                           ;   in Loop: Header=BB1747_392 Depth=2
	s_or_b32 exec_lo, exec_lo, s34
	s_delay_alu instid0(SALU_CYCLE_1)
	s_mov_b32 s34, exec_lo
	v_cmpx_lt_u32_e64 v110, v145
	s_cbranch_execz .LBB1747_536
.LBB1747_505:                           ;   in Loop: Header=BB1747_392 Depth=2
	global_load_b64 v[30:31], v[36:37], off offset:512
	s_or_b32 exec_lo, exec_lo, s34
	s_delay_alu instid0(SALU_CYCLE_1)
	s_mov_b32 s34, exec_lo
	v_cmpx_lt_u32_e64 v111, v145
	s_cbranch_execnz .LBB1747_537
.LBB1747_506:                           ;   in Loop: Header=BB1747_392 Depth=2
	s_or_b32 exec_lo, exec_lo, s34
	s_delay_alu instid0(SALU_CYCLE_1)
	s_mov_b32 s34, exec_lo
	v_cmpx_lt_u32_e64 v112, v145
	s_cbranch_execz .LBB1747_538
.LBB1747_507:                           ;   in Loop: Header=BB1747_392 Depth=2
	global_load_b64 v[26:27], v[36:37], off offset:1024
	s_or_b32 exec_lo, exec_lo, s34
	s_delay_alu instid0(SALU_CYCLE_1)
	s_mov_b32 s34, exec_lo
	v_cmpx_lt_u32_e64 v113, v145
	s_cbranch_execnz .LBB1747_539
.LBB1747_508:                           ;   in Loop: Header=BB1747_392 Depth=2
	s_or_b32 exec_lo, exec_lo, s34
	s_delay_alu instid0(SALU_CYCLE_1)
	s_mov_b32 s34, exec_lo
	v_cmpx_lt_u32_e64 v114, v145
	s_cbranch_execz .LBB1747_540
.LBB1747_509:                           ;   in Loop: Header=BB1747_392 Depth=2
	global_load_b64 v[22:23], v[36:37], off offset:1536
	s_or_b32 exec_lo, exec_lo, s34
	s_delay_alu instid0(SALU_CYCLE_1)
	s_mov_b32 s34, exec_lo
	v_cmpx_lt_u32_e64 v115, v145
	s_cbranch_execnz .LBB1747_541
.LBB1747_510:                           ;   in Loop: Header=BB1747_392 Depth=2
	s_or_b32 exec_lo, exec_lo, s34
	s_delay_alu instid0(SALU_CYCLE_1)
	s_mov_b32 s34, exec_lo
	v_cmpx_lt_u32_e64 v116, v145
	s_cbranch_execz .LBB1747_542
.LBB1747_511:                           ;   in Loop: Header=BB1747_392 Depth=2
	global_load_b64 v[18:19], v[36:37], off offset:2048
	s_or_b32 exec_lo, exec_lo, s34
	s_delay_alu instid0(SALU_CYCLE_1)
	s_mov_b32 s34, exec_lo
	v_cmpx_lt_u32_e64 v117, v145
	s_cbranch_execnz .LBB1747_543
.LBB1747_512:                           ;   in Loop: Header=BB1747_392 Depth=2
	s_or_b32 exec_lo, exec_lo, s34
	s_delay_alu instid0(SALU_CYCLE_1)
	s_mov_b32 s34, exec_lo
	v_cmpx_lt_u32_e64 v118, v145
	s_cbranch_execz .LBB1747_544
.LBB1747_513:                           ;   in Loop: Header=BB1747_392 Depth=2
	global_load_b64 v[14:15], v[36:37], off offset:2560
	s_or_b32 exec_lo, exec_lo, s34
	s_delay_alu instid0(SALU_CYCLE_1)
	s_mov_b32 s34, exec_lo
	v_cmpx_lt_u32_e64 v119, v145
	s_cbranch_execnz .LBB1747_545
.LBB1747_514:                           ;   in Loop: Header=BB1747_392 Depth=2
	s_or_b32 exec_lo, exec_lo, s34
	s_delay_alu instid0(SALU_CYCLE_1)
	s_mov_b32 s34, exec_lo
	v_cmpx_lt_u32_e64 v120, v145
	s_cbranch_execz .LBB1747_546
.LBB1747_515:                           ;   in Loop: Header=BB1747_392 Depth=2
	global_load_b64 v[10:11], v[36:37], off offset:3072
	s_or_b32 exec_lo, exec_lo, s34
	s_delay_alu instid0(SALU_CYCLE_1)
	s_mov_b32 s34, exec_lo
	v_cmpx_lt_u32_e64 v121, v145
	s_cbranch_execnz .LBB1747_547
.LBB1747_516:                           ;   in Loop: Header=BB1747_392 Depth=2
	s_or_b32 exec_lo, exec_lo, s34
	s_delay_alu instid0(SALU_CYCLE_1)
	s_mov_b32 s34, exec_lo
	v_cmpx_lt_u32_e64 v122, v145
	s_cbranch_execz .LBB1747_548
.LBB1747_517:                           ;   in Loop: Header=BB1747_392 Depth=2
	global_load_b64 v[6:7], v[36:37], off offset:3584
	s_or_b32 exec_lo, exec_lo, s34
	s_delay_alu instid0(SALU_CYCLE_1)
	s_mov_b32 s34, exec_lo
	v_cmpx_lt_u32_e64 v123, v145
	s_cbranch_execnz .LBB1747_549
.LBB1747_518:                           ;   in Loop: Header=BB1747_392 Depth=2
	s_or_b32 exec_lo, exec_lo, s34
	s_and_saveexec_b32 s34, vcc_lo
	s_cbranch_execz .LBB1747_550
.LBB1747_519:                           ;   in Loop: Header=BB1747_392 Depth=2
	v_add_nc_u32_e32 v2, v72, v78
	ds_load_u16 v2, v2 offset:1024
	s_waitcnt lgkmcnt(0)
	v_cmp_ne_u16_e64 s33, 0x8000, v2
	s_delay_alu instid0(VALU_DEP_1) | instskip(NEXT) | instid1(VALU_DEP_1)
	v_cndmask_b32_e64 v2, 0x7fff, v2, s33
	v_and_b32_e32 v2, 0xffff, v2
	s_delay_alu instid0(VALU_DEP_1) | instskip(NEXT) | instid1(VALU_DEP_1)
	v_lshrrev_b32_e32 v2, s48, v2
	v_and_b32_e32 v144, s55, v2
	s_or_b32 exec_lo, exec_lo, s34
	s_and_saveexec_b32 s34, s16
	s_cbranch_execnz .LBB1747_551
.LBB1747_520:                           ;   in Loop: Header=BB1747_392 Depth=2
	s_or_b32 exec_lo, exec_lo, s34
	s_and_saveexec_b32 s34, s17
	s_cbranch_execz .LBB1747_552
.LBB1747_521:                           ;   in Loop: Header=BB1747_392 Depth=2
	ds_load_u16 v2, v79 offset:1024
	s_waitcnt lgkmcnt(0)
	v_cmp_ne_u16_e64 s33, 0x8000, v2
	s_delay_alu instid0(VALU_DEP_1) | instskip(NEXT) | instid1(VALU_DEP_1)
	v_cndmask_b32_e64 v2, 0x7fff, v2, s33
	v_and_b32_e32 v2, 0xffff, v2
	s_delay_alu instid0(VALU_DEP_1) | instskip(NEXT) | instid1(VALU_DEP_1)
	v_lshrrev_b32_e32 v2, s48, v2
	v_and_b32_e32 v142, s55, v2
	s_or_b32 exec_lo, exec_lo, s34
	s_and_saveexec_b32 s34, s18
	s_cbranch_execnz .LBB1747_553
.LBB1747_522:                           ;   in Loop: Header=BB1747_392 Depth=2
	s_or_b32 exec_lo, exec_lo, s34
	s_and_saveexec_b32 s34, s19
	s_cbranch_execz .LBB1747_554
.LBB1747_523:                           ;   in Loop: Header=BB1747_392 Depth=2
	ds_load_u16 v2, v79 offset:2048
	s_waitcnt lgkmcnt(0)
	v_cmp_ne_u16_e64 s33, 0x8000, v2
	s_delay_alu instid0(VALU_DEP_1) | instskip(NEXT) | instid1(VALU_DEP_1)
	v_cndmask_b32_e64 v2, 0x7fff, v2, s33
	v_and_b32_e32 v2, 0xffff, v2
	s_delay_alu instid0(VALU_DEP_1) | instskip(NEXT) | instid1(VALU_DEP_1)
	v_lshrrev_b32_e32 v2, s48, v2
	v_and_b32_e32 v140, s55, v2
	s_or_b32 exec_lo, exec_lo, s34
	s_and_saveexec_b32 s34, s20
	s_cbranch_execnz .LBB1747_555
.LBB1747_524:                           ;   in Loop: Header=BB1747_392 Depth=2
	s_or_b32 exec_lo, exec_lo, s34
	s_and_saveexec_b32 s34, s21
	s_cbranch_execz .LBB1747_556
.LBB1747_525:                           ;   in Loop: Header=BB1747_392 Depth=2
	ds_load_u16 v2, v79 offset:3072
	s_waitcnt lgkmcnt(0)
	v_cmp_ne_u16_e64 s33, 0x8000, v2
	s_delay_alu instid0(VALU_DEP_1) | instskip(NEXT) | instid1(VALU_DEP_1)
	v_cndmask_b32_e64 v2, 0x7fff, v2, s33
	v_and_b32_e32 v2, 0xffff, v2
	s_delay_alu instid0(VALU_DEP_1) | instskip(NEXT) | instid1(VALU_DEP_1)
	v_lshrrev_b32_e32 v2, s48, v2
	v_and_b32_e32 v138, s55, v2
	s_or_b32 exec_lo, exec_lo, s34
	s_and_saveexec_b32 s34, s22
	s_cbranch_execnz .LBB1747_557
.LBB1747_526:                           ;   in Loop: Header=BB1747_392 Depth=2
	s_or_b32 exec_lo, exec_lo, s34
	s_and_saveexec_b32 s34, s23
	s_cbranch_execz .LBB1747_558
.LBB1747_527:                           ;   in Loop: Header=BB1747_392 Depth=2
	ds_load_u16 v2, v79 offset:4096
	s_waitcnt lgkmcnt(0)
	v_cmp_ne_u16_e64 s33, 0x8000, v2
	s_delay_alu instid0(VALU_DEP_1) | instskip(NEXT) | instid1(VALU_DEP_1)
	v_cndmask_b32_e64 v2, 0x7fff, v2, s33
	v_and_b32_e32 v2, 0xffff, v2
	s_delay_alu instid0(VALU_DEP_1) | instskip(NEXT) | instid1(VALU_DEP_1)
	v_lshrrev_b32_e32 v2, s48, v2
	v_and_b32_e32 v136, s55, v2
	s_or_b32 exec_lo, exec_lo, s34
	s_and_saveexec_b32 s34, s24
	s_cbranch_execnz .LBB1747_559
.LBB1747_528:                           ;   in Loop: Header=BB1747_392 Depth=2
	s_or_b32 exec_lo, exec_lo, s34
	s_and_saveexec_b32 s34, s25
	s_cbranch_execz .LBB1747_560
.LBB1747_529:                           ;   in Loop: Header=BB1747_392 Depth=2
	ds_load_u16 v2, v79 offset:5120
	s_waitcnt lgkmcnt(0)
	v_cmp_ne_u16_e64 s33, 0x8000, v2
	s_delay_alu instid0(VALU_DEP_1) | instskip(NEXT) | instid1(VALU_DEP_1)
	v_cndmask_b32_e64 v2, 0x7fff, v2, s33
	v_and_b32_e32 v2, 0xffff, v2
	s_delay_alu instid0(VALU_DEP_1) | instskip(NEXT) | instid1(VALU_DEP_1)
	v_lshrrev_b32_e32 v2, s48, v2
	v_and_b32_e32 v134, s55, v2
	s_or_b32 exec_lo, exec_lo, s34
	s_and_saveexec_b32 s34, s27
	s_cbranch_execnz .LBB1747_561
.LBB1747_530:                           ;   in Loop: Header=BB1747_392 Depth=2
	s_or_b32 exec_lo, exec_lo, s34
	s_and_saveexec_b32 s34, s28
	s_cbranch_execz .LBB1747_562
.LBB1747_531:                           ;   in Loop: Header=BB1747_392 Depth=2
	ds_load_u16 v2, v79 offset:6144
	s_waitcnt lgkmcnt(0)
	v_cmp_ne_u16_e64 s33, 0x8000, v2
	s_delay_alu instid0(VALU_DEP_1) | instskip(NEXT) | instid1(VALU_DEP_1)
	v_cndmask_b32_e64 v2, 0x7fff, v2, s33
	v_and_b32_e32 v2, 0xffff, v2
	s_delay_alu instid0(VALU_DEP_1) | instskip(NEXT) | instid1(VALU_DEP_1)
	v_lshrrev_b32_e32 v2, s48, v2
	v_and_b32_e32 v132, s55, v2
	s_or_b32 exec_lo, exec_lo, s34
	s_and_saveexec_b32 s34, s29
	s_cbranch_execnz .LBB1747_563
.LBB1747_532:                           ;   in Loop: Header=BB1747_392 Depth=2
	s_or_b32 exec_lo, exec_lo, s34
	s_and_saveexec_b32 s34, s30
	s_cbranch_execz .LBB1747_564
.LBB1747_533:                           ;   in Loop: Header=BB1747_392 Depth=2
	ds_load_u16 v2, v79 offset:7168
	s_waitcnt lgkmcnt(0)
	v_cmp_ne_u16_e64 s33, 0x8000, v2
	s_delay_alu instid0(VALU_DEP_1) | instskip(NEXT) | instid1(VALU_DEP_1)
	v_cndmask_b32_e64 v2, 0x7fff, v2, s33
	v_and_b32_e32 v2, 0xffff, v2
	s_delay_alu instid0(VALU_DEP_1) | instskip(NEXT) | instid1(VALU_DEP_1)
	v_lshrrev_b32_e32 v2, s48, v2
	v_and_b32_e32 v130, s55, v2
	s_or_b32 exec_lo, exec_lo, s34
	s_and_saveexec_b32 s34, s31
	s_cbranch_execnz .LBB1747_565
	s_branch .LBB1747_566
.LBB1747_534:                           ;   in Loop: Header=BB1747_392 Depth=2
	s_or_b32 exec_lo, exec_lo, s33
	s_delay_alu instid0(SALU_CYCLE_1)
	s_mov_b32 s34, exec_lo
	v_cmpx_lt_u32_e64 v109, v145
	s_cbranch_execz .LBB1747_504
.LBB1747_535:                           ;   in Loop: Header=BB1747_392 Depth=2
	global_load_b64 v[32:33], v[36:37], off offset:256
	s_or_b32 exec_lo, exec_lo, s34
	s_delay_alu instid0(SALU_CYCLE_1)
	s_mov_b32 s34, exec_lo
	v_cmpx_lt_u32_e64 v110, v145
	s_cbranch_execnz .LBB1747_505
.LBB1747_536:                           ;   in Loop: Header=BB1747_392 Depth=2
	s_or_b32 exec_lo, exec_lo, s34
	s_delay_alu instid0(SALU_CYCLE_1)
	s_mov_b32 s34, exec_lo
	v_cmpx_lt_u32_e64 v111, v145
	s_cbranch_execz .LBB1747_506
.LBB1747_537:                           ;   in Loop: Header=BB1747_392 Depth=2
	global_load_b64 v[28:29], v[36:37], off offset:768
	s_or_b32 exec_lo, exec_lo, s34
	s_delay_alu instid0(SALU_CYCLE_1)
	s_mov_b32 s34, exec_lo
	v_cmpx_lt_u32_e64 v112, v145
	s_cbranch_execnz .LBB1747_507
.LBB1747_538:                           ;   in Loop: Header=BB1747_392 Depth=2
	s_or_b32 exec_lo, exec_lo, s34
	s_delay_alu instid0(SALU_CYCLE_1)
	s_mov_b32 s34, exec_lo
	v_cmpx_lt_u32_e64 v113, v145
	s_cbranch_execz .LBB1747_508
.LBB1747_539:                           ;   in Loop: Header=BB1747_392 Depth=2
	global_load_b64 v[24:25], v[36:37], off offset:1280
	s_or_b32 exec_lo, exec_lo, s34
	s_delay_alu instid0(SALU_CYCLE_1)
	s_mov_b32 s34, exec_lo
	v_cmpx_lt_u32_e64 v114, v145
	s_cbranch_execnz .LBB1747_509
.LBB1747_540:                           ;   in Loop: Header=BB1747_392 Depth=2
	s_or_b32 exec_lo, exec_lo, s34
	s_delay_alu instid0(SALU_CYCLE_1)
	s_mov_b32 s34, exec_lo
	v_cmpx_lt_u32_e64 v115, v145
	s_cbranch_execz .LBB1747_510
.LBB1747_541:                           ;   in Loop: Header=BB1747_392 Depth=2
	global_load_b64 v[20:21], v[36:37], off offset:1792
	s_or_b32 exec_lo, exec_lo, s34
	s_delay_alu instid0(SALU_CYCLE_1)
	s_mov_b32 s34, exec_lo
	v_cmpx_lt_u32_e64 v116, v145
	s_cbranch_execnz .LBB1747_511
.LBB1747_542:                           ;   in Loop: Header=BB1747_392 Depth=2
	s_or_b32 exec_lo, exec_lo, s34
	s_delay_alu instid0(SALU_CYCLE_1)
	s_mov_b32 s34, exec_lo
	v_cmpx_lt_u32_e64 v117, v145
	s_cbranch_execz .LBB1747_512
.LBB1747_543:                           ;   in Loop: Header=BB1747_392 Depth=2
	global_load_b64 v[16:17], v[36:37], off offset:2304
	s_or_b32 exec_lo, exec_lo, s34
	s_delay_alu instid0(SALU_CYCLE_1)
	s_mov_b32 s34, exec_lo
	v_cmpx_lt_u32_e64 v118, v145
	s_cbranch_execnz .LBB1747_513
.LBB1747_544:                           ;   in Loop: Header=BB1747_392 Depth=2
	s_or_b32 exec_lo, exec_lo, s34
	s_delay_alu instid0(SALU_CYCLE_1)
	s_mov_b32 s34, exec_lo
	v_cmpx_lt_u32_e64 v119, v145
	s_cbranch_execz .LBB1747_514
.LBB1747_545:                           ;   in Loop: Header=BB1747_392 Depth=2
	global_load_b64 v[12:13], v[36:37], off offset:2816
	s_or_b32 exec_lo, exec_lo, s34
	s_delay_alu instid0(SALU_CYCLE_1)
	s_mov_b32 s34, exec_lo
	v_cmpx_lt_u32_e64 v120, v145
	s_cbranch_execnz .LBB1747_515
.LBB1747_546:                           ;   in Loop: Header=BB1747_392 Depth=2
	s_or_b32 exec_lo, exec_lo, s34
	s_delay_alu instid0(SALU_CYCLE_1)
	s_mov_b32 s34, exec_lo
	v_cmpx_lt_u32_e64 v121, v145
	s_cbranch_execz .LBB1747_516
.LBB1747_547:                           ;   in Loop: Header=BB1747_392 Depth=2
	global_load_b64 v[8:9], v[36:37], off offset:3328
	s_or_b32 exec_lo, exec_lo, s34
	s_delay_alu instid0(SALU_CYCLE_1)
	s_mov_b32 s34, exec_lo
	v_cmpx_lt_u32_e64 v122, v145
	s_cbranch_execnz .LBB1747_517
.LBB1747_548:                           ;   in Loop: Header=BB1747_392 Depth=2
	s_or_b32 exec_lo, exec_lo, s34
	s_delay_alu instid0(SALU_CYCLE_1)
	s_mov_b32 s34, exec_lo
	v_cmpx_lt_u32_e64 v123, v145
	s_cbranch_execz .LBB1747_518
.LBB1747_549:                           ;   in Loop: Header=BB1747_392 Depth=2
	global_load_b64 v[4:5], v[36:37], off offset:3840
	s_or_b32 exec_lo, exec_lo, s34
	s_and_saveexec_b32 s34, vcc_lo
	s_cbranch_execnz .LBB1747_519
.LBB1747_550:                           ;   in Loop: Header=BB1747_392 Depth=2
	s_or_b32 exec_lo, exec_lo, s34
	s_and_saveexec_b32 s34, s16
	s_cbranch_execz .LBB1747_520
.LBB1747_551:                           ;   in Loop: Header=BB1747_392 Depth=2
	ds_load_u16 v2, v79 offset:512
	s_waitcnt lgkmcnt(0)
	v_cmp_ne_u16_e64 s33, 0x8000, v2
	s_delay_alu instid0(VALU_DEP_1) | instskip(NEXT) | instid1(VALU_DEP_1)
	v_cndmask_b32_e64 v2, 0x7fff, v2, s33
	v_and_b32_e32 v2, 0xffff, v2
	s_delay_alu instid0(VALU_DEP_1) | instskip(NEXT) | instid1(VALU_DEP_1)
	v_lshrrev_b32_e32 v2, s48, v2
	v_and_b32_e32 v143, s55, v2
	s_or_b32 exec_lo, exec_lo, s34
	s_and_saveexec_b32 s34, s17
	s_cbranch_execnz .LBB1747_521
.LBB1747_552:                           ;   in Loop: Header=BB1747_392 Depth=2
	s_or_b32 exec_lo, exec_lo, s34
	s_and_saveexec_b32 s34, s18
	s_cbranch_execz .LBB1747_522
.LBB1747_553:                           ;   in Loop: Header=BB1747_392 Depth=2
	ds_load_u16 v2, v79 offset:1536
	s_waitcnt lgkmcnt(0)
	v_cmp_ne_u16_e64 s33, 0x8000, v2
	s_delay_alu instid0(VALU_DEP_1) | instskip(NEXT) | instid1(VALU_DEP_1)
	v_cndmask_b32_e64 v2, 0x7fff, v2, s33
	v_and_b32_e32 v2, 0xffff, v2
	s_delay_alu instid0(VALU_DEP_1) | instskip(NEXT) | instid1(VALU_DEP_1)
	v_lshrrev_b32_e32 v2, s48, v2
	v_and_b32_e32 v141, s55, v2
	s_or_b32 exec_lo, exec_lo, s34
	s_and_saveexec_b32 s34, s19
	s_cbranch_execnz .LBB1747_523
.LBB1747_554:                           ;   in Loop: Header=BB1747_392 Depth=2
	s_or_b32 exec_lo, exec_lo, s34
	s_and_saveexec_b32 s34, s20
	s_cbranch_execz .LBB1747_524
.LBB1747_555:                           ;   in Loop: Header=BB1747_392 Depth=2
	ds_load_u16 v2, v79 offset:2560
	s_waitcnt lgkmcnt(0)
	v_cmp_ne_u16_e64 s33, 0x8000, v2
	s_delay_alu instid0(VALU_DEP_1) | instskip(NEXT) | instid1(VALU_DEP_1)
	v_cndmask_b32_e64 v2, 0x7fff, v2, s33
	v_and_b32_e32 v2, 0xffff, v2
	s_delay_alu instid0(VALU_DEP_1) | instskip(NEXT) | instid1(VALU_DEP_1)
	v_lshrrev_b32_e32 v2, s48, v2
	v_and_b32_e32 v139, s55, v2
	s_or_b32 exec_lo, exec_lo, s34
	s_and_saveexec_b32 s34, s21
	s_cbranch_execnz .LBB1747_525
.LBB1747_556:                           ;   in Loop: Header=BB1747_392 Depth=2
	s_or_b32 exec_lo, exec_lo, s34
	s_and_saveexec_b32 s34, s22
	s_cbranch_execz .LBB1747_526
.LBB1747_557:                           ;   in Loop: Header=BB1747_392 Depth=2
	ds_load_u16 v2, v79 offset:3584
	s_waitcnt lgkmcnt(0)
	v_cmp_ne_u16_e64 s33, 0x8000, v2
	s_delay_alu instid0(VALU_DEP_1) | instskip(NEXT) | instid1(VALU_DEP_1)
	v_cndmask_b32_e64 v2, 0x7fff, v2, s33
	v_and_b32_e32 v2, 0xffff, v2
	s_delay_alu instid0(VALU_DEP_1) | instskip(NEXT) | instid1(VALU_DEP_1)
	v_lshrrev_b32_e32 v2, s48, v2
	v_and_b32_e32 v137, s55, v2
	s_or_b32 exec_lo, exec_lo, s34
	s_and_saveexec_b32 s34, s23
	s_cbranch_execnz .LBB1747_527
.LBB1747_558:                           ;   in Loop: Header=BB1747_392 Depth=2
	s_or_b32 exec_lo, exec_lo, s34
	s_and_saveexec_b32 s34, s24
	s_cbranch_execz .LBB1747_528
.LBB1747_559:                           ;   in Loop: Header=BB1747_392 Depth=2
	ds_load_u16 v2, v79 offset:4608
	s_waitcnt lgkmcnt(0)
	v_cmp_ne_u16_e64 s33, 0x8000, v2
	s_delay_alu instid0(VALU_DEP_1) | instskip(NEXT) | instid1(VALU_DEP_1)
	v_cndmask_b32_e64 v2, 0x7fff, v2, s33
	v_and_b32_e32 v2, 0xffff, v2
	s_delay_alu instid0(VALU_DEP_1) | instskip(NEXT) | instid1(VALU_DEP_1)
	v_lshrrev_b32_e32 v2, s48, v2
	v_and_b32_e32 v135, s55, v2
	s_or_b32 exec_lo, exec_lo, s34
	s_and_saveexec_b32 s34, s25
	s_cbranch_execnz .LBB1747_529
.LBB1747_560:                           ;   in Loop: Header=BB1747_392 Depth=2
	s_or_b32 exec_lo, exec_lo, s34
	s_and_saveexec_b32 s34, s27
	s_cbranch_execz .LBB1747_530
.LBB1747_561:                           ;   in Loop: Header=BB1747_392 Depth=2
	ds_load_u16 v2, v79 offset:5632
	s_waitcnt lgkmcnt(0)
	v_cmp_ne_u16_e64 s33, 0x8000, v2
	s_delay_alu instid0(VALU_DEP_1) | instskip(NEXT) | instid1(VALU_DEP_1)
	v_cndmask_b32_e64 v2, 0x7fff, v2, s33
	v_and_b32_e32 v2, 0xffff, v2
	s_delay_alu instid0(VALU_DEP_1) | instskip(NEXT) | instid1(VALU_DEP_1)
	v_lshrrev_b32_e32 v2, s48, v2
	v_and_b32_e32 v133, s55, v2
	s_or_b32 exec_lo, exec_lo, s34
	s_and_saveexec_b32 s34, s28
	s_cbranch_execnz .LBB1747_531
.LBB1747_562:                           ;   in Loop: Header=BB1747_392 Depth=2
	s_or_b32 exec_lo, exec_lo, s34
	s_and_saveexec_b32 s34, s29
	s_cbranch_execz .LBB1747_532
.LBB1747_563:                           ;   in Loop: Header=BB1747_392 Depth=2
	ds_load_u16 v2, v79 offset:6656
	s_waitcnt lgkmcnt(0)
	v_cmp_ne_u16_e64 s33, 0x8000, v2
	s_delay_alu instid0(VALU_DEP_1) | instskip(NEXT) | instid1(VALU_DEP_1)
	v_cndmask_b32_e64 v2, 0x7fff, v2, s33
	v_and_b32_e32 v2, 0xffff, v2
	s_delay_alu instid0(VALU_DEP_1) | instskip(NEXT) | instid1(VALU_DEP_1)
	v_lshrrev_b32_e32 v2, s48, v2
	v_and_b32_e32 v131, s55, v2
	s_or_b32 exec_lo, exec_lo, s34
	s_and_saveexec_b32 s34, s30
	s_cbranch_execnz .LBB1747_533
.LBB1747_564:                           ;   in Loop: Header=BB1747_392 Depth=2
	s_or_b32 exec_lo, exec_lo, s34
	s_and_saveexec_b32 s34, s31
	s_cbranch_execz .LBB1747_566
.LBB1747_565:                           ;   in Loop: Header=BB1747_392 Depth=2
	ds_load_u16 v2, v79 offset:7680
	s_waitcnt lgkmcnt(0)
	v_cmp_ne_u16_e64 s33, 0x8000, v2
	s_delay_alu instid0(VALU_DEP_1) | instskip(NEXT) | instid1(VALU_DEP_1)
	v_cndmask_b32_e64 v2, 0x7fff, v2, s33
	v_and_b32_e32 v2, 0xffff, v2
	s_delay_alu instid0(VALU_DEP_1) | instskip(NEXT) | instid1(VALU_DEP_1)
	v_lshrrev_b32_e32 v2, s48, v2
	v_and_b32_e32 v129, s55, v2
.LBB1747_566:                           ;   in Loop: Header=BB1747_392 Depth=2
	s_or_b32 exec_lo, exec_lo, s34
	v_lshlrev_b32_e32 v2, 3, v168
	v_lshlrev_b32_e32 v36, 3, v164
	s_waitcnt vmcnt(0)
	s_waitcnt_vscnt null, 0x0
	s_barrier
	buffer_gl0_inv
	ds_store_b64 v2, v[34:35] offset:1024
	v_lshlrev_b32_e32 v2, 3, v160
	v_lshlrev_b32_e32 v37, 3, v156
	;; [unrolled: 1-line block ×4, first 2 shown]
	ds_store_b64 v36, v[32:33] offset:1024
	ds_store_b64 v2, v[30:31] offset:1024
	;; [unrolled: 1-line block ×5, first 2 shown]
	v_lshlrev_b32_e32 v2, 3, v152
	v_lshlrev_b32_e32 v36, 3, v151
	v_lshlrev_b32_e32 v37, 3, v150
	v_lshlrev_b32_e32 v145, 3, v148
	v_lshlrev_b32_e32 v146, 3, v147
	ds_store_b64 v2, v[22:23] offset:1024
	ds_store_b64 v36, v[20:21] offset:1024
	;; [unrolled: 1-line block ×5, first 2 shown]
	v_lshlrev_b32_e32 v2, 3, v40
	v_lshlrev_b32_e32 v36, 3, v39
	;; [unrolled: 1-line block ×5, first 2 shown]
	ds_store_b64 v2, v[12:13] offset:1024
	ds_store_b64 v36, v[10:11] offset:1024
	;; [unrolled: 1-line block ×5, first 2 shown]
	s_waitcnt lgkmcnt(0)
	s_barrier
	buffer_gl0_inv
	s_and_saveexec_b32 s33, vcc_lo
	s_cbranch_execz .LBB1747_582
; %bb.567:                              ;   in Loop: Header=BB1747_392 Depth=2
	v_lshlrev_b32_e32 v2, 2, v144
	ds_load_b32 v2, v2
	ds_load_b64 v[36:37], v80 offset:1024
	s_waitcnt lgkmcnt(1)
	v_add_nc_u32_e32 v2, v2, v1
	s_delay_alu instid0(VALU_DEP_1) | instskip(NEXT) | instid1(VALU_DEP_1)
	v_lshlrev_b64 v[39:40], 3, v[2:3]
	v_add_co_u32 v39, vcc_lo, s46, v39
	s_delay_alu instid0(VALU_DEP_2)
	v_add_co_ci_u32_e32 v40, vcc_lo, s47, v40, vcc_lo
	s_waitcnt lgkmcnt(0)
	global_store_b64 v[39:40], v[36:37], off
	s_or_b32 exec_lo, exec_lo, s33
	s_and_saveexec_b32 s33, s16
	s_cbranch_execnz .LBB1747_583
.LBB1747_568:                           ;   in Loop: Header=BB1747_392 Depth=2
	s_or_b32 exec_lo, exec_lo, s33
	s_and_saveexec_b32 s16, s17
	s_cbranch_execz .LBB1747_584
.LBB1747_569:                           ;   in Loop: Header=BB1747_392 Depth=2
	v_lshlrev_b32_e32 v2, 2, v142
	v_add_nc_u32_e32 v36, v79, v81
	ds_load_b32 v2, v2
	ds_load_b64 v[36:37], v36 offset:4096
	s_waitcnt lgkmcnt(1)
	v_add_nc_u32_e32 v2, v2, v46
	s_delay_alu instid0(VALU_DEP_1) | instskip(NEXT) | instid1(VALU_DEP_1)
	v_lshlrev_b64 v[39:40], 3, v[2:3]
	v_add_co_u32 v39, vcc_lo, s46, v39
	s_delay_alu instid0(VALU_DEP_2)
	v_add_co_ci_u32_e32 v40, vcc_lo, s47, v40, vcc_lo
	s_waitcnt lgkmcnt(0)
	global_store_b64 v[39:40], v[36:37], off
	s_or_b32 exec_lo, exec_lo, s16
	s_and_saveexec_b32 s16, s18
	s_cbranch_execnz .LBB1747_585
.LBB1747_570:                           ;   in Loop: Header=BB1747_392 Depth=2
	s_or_b32 exec_lo, exec_lo, s16
	s_and_saveexec_b32 s16, s19
	s_cbranch_execz .LBB1747_586
.LBB1747_571:                           ;   in Loop: Header=BB1747_392 Depth=2
	v_lshlrev_b32_e32 v2, 2, v140
	v_add_nc_u32_e32 v36, v79, v81
	ds_load_b32 v2, v2
	ds_load_b64 v[36:37], v36 offset:8192
	s_waitcnt lgkmcnt(1)
	v_add_nc_u32_e32 v2, v2, v51
	s_delay_alu instid0(VALU_DEP_1) | instskip(NEXT) | instid1(VALU_DEP_1)
	v_lshlrev_b64 v[39:40], 3, v[2:3]
	v_add_co_u32 v39, vcc_lo, s46, v39
	s_delay_alu instid0(VALU_DEP_2)
	v_add_co_ci_u32_e32 v40, vcc_lo, s47, v40, vcc_lo
	s_waitcnt lgkmcnt(0)
	global_store_b64 v[39:40], v[36:37], off
	s_or_b32 exec_lo, exec_lo, s16
	s_and_saveexec_b32 s16, s20
	s_cbranch_execnz .LBB1747_587
.LBB1747_572:                           ;   in Loop: Header=BB1747_392 Depth=2
	s_or_b32 exec_lo, exec_lo, s16
	s_and_saveexec_b32 s16, s21
	s_cbranch_execz .LBB1747_588
.LBB1747_573:                           ;   in Loop: Header=BB1747_392 Depth=2
	v_lshlrev_b32_e32 v2, 2, v138
	v_add_nc_u32_e32 v36, v79, v81
	ds_load_b32 v2, v2
	ds_load_b64 v[36:37], v36 offset:12288
	s_waitcnt lgkmcnt(1)
	v_add_nc_u32_e32 v2, v2, v53
	s_delay_alu instid0(VALU_DEP_1) | instskip(NEXT) | instid1(VALU_DEP_1)
	v_lshlrev_b64 v[39:40], 3, v[2:3]
	v_add_co_u32 v39, vcc_lo, s46, v39
	s_delay_alu instid0(VALU_DEP_2)
	v_add_co_ci_u32_e32 v40, vcc_lo, s47, v40, vcc_lo
	s_waitcnt lgkmcnt(0)
	global_store_b64 v[39:40], v[36:37], off
	s_or_b32 exec_lo, exec_lo, s16
	s_and_saveexec_b32 s16, s22
	s_cbranch_execnz .LBB1747_589
.LBB1747_574:                           ;   in Loop: Header=BB1747_392 Depth=2
	s_or_b32 exec_lo, exec_lo, s16
	s_and_saveexec_b32 s16, s23
	s_cbranch_execz .LBB1747_590
.LBB1747_575:                           ;   in Loop: Header=BB1747_392 Depth=2
	v_lshlrev_b32_e32 v2, 2, v136
	v_add_nc_u32_e32 v36, v79, v81
	ds_load_b32 v2, v2
	ds_load_b64 v[36:37], v36 offset:16384
	s_waitcnt lgkmcnt(1)
	v_add_nc_u32_e32 v2, v2, v55
	s_delay_alu instid0(VALU_DEP_1) | instskip(NEXT) | instid1(VALU_DEP_1)
	v_lshlrev_b64 v[39:40], 3, v[2:3]
	v_add_co_u32 v39, vcc_lo, s46, v39
	s_delay_alu instid0(VALU_DEP_2)
	v_add_co_ci_u32_e32 v40, vcc_lo, s47, v40, vcc_lo
	s_waitcnt lgkmcnt(0)
	global_store_b64 v[39:40], v[36:37], off
	s_or_b32 exec_lo, exec_lo, s16
	s_and_saveexec_b32 s16, s24
	s_cbranch_execnz .LBB1747_591
.LBB1747_576:                           ;   in Loop: Header=BB1747_392 Depth=2
	s_or_b32 exec_lo, exec_lo, s16
	s_and_saveexec_b32 s16, s25
	s_cbranch_execz .LBB1747_592
.LBB1747_577:                           ;   in Loop: Header=BB1747_392 Depth=2
	v_lshlrev_b32_e32 v2, 2, v134
	v_add_nc_u32_e32 v36, v79, v81
	ds_load_b32 v2, v2
	ds_load_b64 v[36:37], v36 offset:20480
	s_waitcnt lgkmcnt(1)
	v_add_nc_u32_e32 v2, v2, v57
	s_delay_alu instid0(VALU_DEP_1) | instskip(NEXT) | instid1(VALU_DEP_1)
	v_lshlrev_b64 v[39:40], 3, v[2:3]
	v_add_co_u32 v39, vcc_lo, s46, v39
	s_delay_alu instid0(VALU_DEP_2)
	v_add_co_ci_u32_e32 v40, vcc_lo, s47, v40, vcc_lo
	s_waitcnt lgkmcnt(0)
	global_store_b64 v[39:40], v[36:37], off
	s_or_b32 exec_lo, exec_lo, s16
	s_and_saveexec_b32 s16, s27
	s_cbranch_execnz .LBB1747_593
.LBB1747_578:                           ;   in Loop: Header=BB1747_392 Depth=2
	s_or_b32 exec_lo, exec_lo, s16
	s_and_saveexec_b32 s16, s28
	s_cbranch_execz .LBB1747_594
.LBB1747_579:                           ;   in Loop: Header=BB1747_392 Depth=2
	v_lshlrev_b32_e32 v2, 2, v132
	v_add_nc_u32_e32 v36, v79, v81
	ds_load_b32 v2, v2
	ds_load_b64 v[36:37], v36 offset:24576
	s_waitcnt lgkmcnt(1)
	v_add_nc_u32_e32 v2, v2, v59
	s_delay_alu instid0(VALU_DEP_1) | instskip(NEXT) | instid1(VALU_DEP_1)
	v_lshlrev_b64 v[39:40], 3, v[2:3]
	v_add_co_u32 v39, vcc_lo, s46, v39
	s_delay_alu instid0(VALU_DEP_2)
	v_add_co_ci_u32_e32 v40, vcc_lo, s47, v40, vcc_lo
	s_waitcnt lgkmcnt(0)
	global_store_b64 v[39:40], v[36:37], off
	s_or_b32 exec_lo, exec_lo, s16
	s_and_saveexec_b32 s16, s29
	s_cbranch_execnz .LBB1747_595
.LBB1747_580:                           ;   in Loop: Header=BB1747_392 Depth=2
	s_or_b32 exec_lo, exec_lo, s16
	s_and_saveexec_b32 s16, s30
	s_cbranch_execz .LBB1747_596
.LBB1747_581:                           ;   in Loop: Header=BB1747_392 Depth=2
	v_lshlrev_b32_e32 v2, 2, v130
	v_add_nc_u32_e32 v36, v79, v81
	ds_load_b32 v2, v2
	ds_load_b64 v[36:37], v36 offset:28672
	s_waitcnt lgkmcnt(1)
	v_add_nc_u32_e32 v2, v2, v61
	s_delay_alu instid0(VALU_DEP_1) | instskip(NEXT) | instid1(VALU_DEP_1)
	v_lshlrev_b64 v[39:40], 3, v[2:3]
	v_add_co_u32 v39, vcc_lo, s46, v39
	s_delay_alu instid0(VALU_DEP_2)
	v_add_co_ci_u32_e32 v40, vcc_lo, s47, v40, vcc_lo
	s_waitcnt lgkmcnt(0)
	global_store_b64 v[39:40], v[36:37], off
	s_or_b32 exec_lo, exec_lo, s16
	s_and_saveexec_b32 s16, s31
	s_cbranch_execnz .LBB1747_597
	s_branch .LBB1747_598
.LBB1747_582:                           ;   in Loop: Header=BB1747_392 Depth=2
	s_or_b32 exec_lo, exec_lo, s33
	s_and_saveexec_b32 s33, s16
	s_cbranch_execz .LBB1747_568
.LBB1747_583:                           ;   in Loop: Header=BB1747_392 Depth=2
	v_lshlrev_b32_e32 v2, 2, v143
	v_add_nc_u32_e32 v36, v79, v81
	ds_load_b32 v2, v2
	ds_load_b64 v[36:37], v36 offset:2048
	s_waitcnt lgkmcnt(1)
	v_add_nc_u32_e32 v2, v2, v45
	s_delay_alu instid0(VALU_DEP_1) | instskip(NEXT) | instid1(VALU_DEP_1)
	v_lshlrev_b64 v[39:40], 3, v[2:3]
	v_add_co_u32 v39, vcc_lo, s46, v39
	s_delay_alu instid0(VALU_DEP_2)
	v_add_co_ci_u32_e32 v40, vcc_lo, s47, v40, vcc_lo
	s_waitcnt lgkmcnt(0)
	global_store_b64 v[39:40], v[36:37], off
	s_or_b32 exec_lo, exec_lo, s33
	s_and_saveexec_b32 s16, s17
	s_cbranch_execnz .LBB1747_569
.LBB1747_584:                           ;   in Loop: Header=BB1747_392 Depth=2
	s_or_b32 exec_lo, exec_lo, s16
	s_and_saveexec_b32 s16, s18
	s_cbranch_execz .LBB1747_570
.LBB1747_585:                           ;   in Loop: Header=BB1747_392 Depth=2
	v_lshlrev_b32_e32 v2, 2, v141
	v_add_nc_u32_e32 v36, v79, v81
	ds_load_b32 v2, v2
	ds_load_b64 v[36:37], v36 offset:6144
	s_waitcnt lgkmcnt(1)
	v_add_nc_u32_e32 v2, v2, v47
	s_delay_alu instid0(VALU_DEP_1) | instskip(NEXT) | instid1(VALU_DEP_1)
	v_lshlrev_b64 v[39:40], 3, v[2:3]
	v_add_co_u32 v39, vcc_lo, s46, v39
	s_delay_alu instid0(VALU_DEP_2)
	v_add_co_ci_u32_e32 v40, vcc_lo, s47, v40, vcc_lo
	s_waitcnt lgkmcnt(0)
	global_store_b64 v[39:40], v[36:37], off
	s_or_b32 exec_lo, exec_lo, s16
	s_and_saveexec_b32 s16, s19
	s_cbranch_execnz .LBB1747_571
.LBB1747_586:                           ;   in Loop: Header=BB1747_392 Depth=2
	s_or_b32 exec_lo, exec_lo, s16
	s_and_saveexec_b32 s16, s20
	s_cbranch_execz .LBB1747_572
.LBB1747_587:                           ;   in Loop: Header=BB1747_392 Depth=2
	v_lshlrev_b32_e32 v2, 2, v139
	v_add_nc_u32_e32 v36, v79, v81
	ds_load_b32 v2, v2
	ds_load_b64 v[36:37], v36 offset:10240
	s_waitcnt lgkmcnt(1)
	v_add_nc_u32_e32 v2, v2, v52
	s_delay_alu instid0(VALU_DEP_1) | instskip(NEXT) | instid1(VALU_DEP_1)
	v_lshlrev_b64 v[39:40], 3, v[2:3]
	v_add_co_u32 v39, vcc_lo, s46, v39
	s_delay_alu instid0(VALU_DEP_2)
	v_add_co_ci_u32_e32 v40, vcc_lo, s47, v40, vcc_lo
	s_waitcnt lgkmcnt(0)
	global_store_b64 v[39:40], v[36:37], off
	s_or_b32 exec_lo, exec_lo, s16
	s_and_saveexec_b32 s16, s21
	s_cbranch_execnz .LBB1747_573
.LBB1747_588:                           ;   in Loop: Header=BB1747_392 Depth=2
	s_or_b32 exec_lo, exec_lo, s16
	s_and_saveexec_b32 s16, s22
	s_cbranch_execz .LBB1747_574
.LBB1747_589:                           ;   in Loop: Header=BB1747_392 Depth=2
	v_lshlrev_b32_e32 v2, 2, v137
	v_add_nc_u32_e32 v36, v79, v81
	ds_load_b32 v2, v2
	ds_load_b64 v[36:37], v36 offset:14336
	s_waitcnt lgkmcnt(1)
	v_add_nc_u32_e32 v2, v2, v54
	s_delay_alu instid0(VALU_DEP_1) | instskip(NEXT) | instid1(VALU_DEP_1)
	v_lshlrev_b64 v[39:40], 3, v[2:3]
	v_add_co_u32 v39, vcc_lo, s46, v39
	s_delay_alu instid0(VALU_DEP_2)
	v_add_co_ci_u32_e32 v40, vcc_lo, s47, v40, vcc_lo
	s_waitcnt lgkmcnt(0)
	global_store_b64 v[39:40], v[36:37], off
	s_or_b32 exec_lo, exec_lo, s16
	s_and_saveexec_b32 s16, s23
	s_cbranch_execnz .LBB1747_575
.LBB1747_590:                           ;   in Loop: Header=BB1747_392 Depth=2
	s_or_b32 exec_lo, exec_lo, s16
	s_and_saveexec_b32 s16, s24
	s_cbranch_execz .LBB1747_576
.LBB1747_591:                           ;   in Loop: Header=BB1747_392 Depth=2
	v_lshlrev_b32_e32 v2, 2, v135
	v_add_nc_u32_e32 v36, v79, v81
	ds_load_b32 v2, v2
	ds_load_b64 v[36:37], v36 offset:18432
	s_waitcnt lgkmcnt(1)
	v_add_nc_u32_e32 v2, v2, v56
	s_delay_alu instid0(VALU_DEP_1) | instskip(NEXT) | instid1(VALU_DEP_1)
	v_lshlrev_b64 v[39:40], 3, v[2:3]
	v_add_co_u32 v39, vcc_lo, s46, v39
	s_delay_alu instid0(VALU_DEP_2)
	v_add_co_ci_u32_e32 v40, vcc_lo, s47, v40, vcc_lo
	s_waitcnt lgkmcnt(0)
	global_store_b64 v[39:40], v[36:37], off
	s_or_b32 exec_lo, exec_lo, s16
	s_and_saveexec_b32 s16, s25
	s_cbranch_execnz .LBB1747_577
.LBB1747_592:                           ;   in Loop: Header=BB1747_392 Depth=2
	s_or_b32 exec_lo, exec_lo, s16
	s_and_saveexec_b32 s16, s27
	s_cbranch_execz .LBB1747_578
.LBB1747_593:                           ;   in Loop: Header=BB1747_392 Depth=2
	v_lshlrev_b32_e32 v2, 2, v133
	v_add_nc_u32_e32 v36, v79, v81
	ds_load_b32 v2, v2
	ds_load_b64 v[36:37], v36 offset:22528
	s_waitcnt lgkmcnt(1)
	v_add_nc_u32_e32 v2, v2, v58
	s_delay_alu instid0(VALU_DEP_1) | instskip(NEXT) | instid1(VALU_DEP_1)
	v_lshlrev_b64 v[39:40], 3, v[2:3]
	v_add_co_u32 v39, vcc_lo, s46, v39
	s_delay_alu instid0(VALU_DEP_2)
	v_add_co_ci_u32_e32 v40, vcc_lo, s47, v40, vcc_lo
	s_waitcnt lgkmcnt(0)
	global_store_b64 v[39:40], v[36:37], off
	s_or_b32 exec_lo, exec_lo, s16
	s_and_saveexec_b32 s16, s28
	s_cbranch_execnz .LBB1747_579
.LBB1747_594:                           ;   in Loop: Header=BB1747_392 Depth=2
	s_or_b32 exec_lo, exec_lo, s16
	s_and_saveexec_b32 s16, s29
	s_cbranch_execz .LBB1747_580
.LBB1747_595:                           ;   in Loop: Header=BB1747_392 Depth=2
	v_lshlrev_b32_e32 v2, 2, v131
	v_add_nc_u32_e32 v36, v79, v81
	ds_load_b32 v2, v2
	ds_load_b64 v[36:37], v36 offset:26624
	s_waitcnt lgkmcnt(1)
	v_add_nc_u32_e32 v2, v2, v60
	s_delay_alu instid0(VALU_DEP_1) | instskip(NEXT) | instid1(VALU_DEP_1)
	v_lshlrev_b64 v[39:40], 3, v[2:3]
	v_add_co_u32 v39, vcc_lo, s46, v39
	s_delay_alu instid0(VALU_DEP_2)
	v_add_co_ci_u32_e32 v40, vcc_lo, s47, v40, vcc_lo
	s_waitcnt lgkmcnt(0)
	global_store_b64 v[39:40], v[36:37], off
	s_or_b32 exec_lo, exec_lo, s16
	s_and_saveexec_b32 s16, s30
	s_cbranch_execnz .LBB1747_581
.LBB1747_596:                           ;   in Loop: Header=BB1747_392 Depth=2
	s_or_b32 exec_lo, exec_lo, s16
	s_and_saveexec_b32 s16, s31
	s_cbranch_execz .LBB1747_598
.LBB1747_597:                           ;   in Loop: Header=BB1747_392 Depth=2
	v_lshlrev_b32_e32 v2, 2, v129
	v_add_nc_u32_e32 v36, v79, v81
	ds_load_b32 v2, v2
	ds_load_b64 v[36:37], v36 offset:30720
	s_waitcnt lgkmcnt(1)
	v_add_nc_u32_e32 v2, v2, v63
	s_delay_alu instid0(VALU_DEP_1) | instskip(NEXT) | instid1(VALU_DEP_1)
	v_lshlrev_b64 v[39:40], 3, v[2:3]
	v_add_co_u32 v39, vcc_lo, s46, v39
	s_delay_alu instid0(VALU_DEP_2)
	v_add_co_ci_u32_e32 v40, vcc_lo, s47, v40, vcc_lo
	s_waitcnt lgkmcnt(0)
	global_store_b64 v[39:40], v[36:37], off
.LBB1747_598:                           ;   in Loop: Header=BB1747_392 Depth=2
	s_or_b32 exec_lo, exec_lo, s16
	s_waitcnt_vscnt null, 0x0
	s_barrier
	buffer_gl0_inv
	s_and_saveexec_b32 s16, s2
	s_cbranch_execz .LBB1747_391
; %bb.599:                              ;   in Loop: Header=BB1747_392 Depth=2
	ds_load_b32 v2, v44
	s_waitcnt lgkmcnt(0)
	v_add_nc_u32_e32 v2, v2, v38
	ds_store_b32 v44, v2
	s_branch .LBB1747_391
.LBB1747_600:                           ;   in Loop: Header=BB1747_12 Depth=1
	s_waitcnt lgkmcnt(0)
	s_barrier
.LBB1747_601:                           ;   in Loop: Header=BB1747_12 Depth=1
	s_mov_b32 s0, 0
.LBB1747_602:                           ;   in Loop: Header=BB1747_12 Depth=1
	s_delay_alu instid0(SALU_CYCLE_1)
	s_and_not1_b32 vcc_lo, exec_lo, s0
	s_cbranch_vccnz .LBB1747_11
; %bb.603:                              ;   in Loop: Header=BB1747_12 Depth=1
	s_and_b32 vcc_lo, exec_lo, s51
	s_mov_b32 s0, -1
	s_cbranch_vccz .LBB1747_897
; %bb.604:                              ;   in Loop: Header=BB1747_12 Depth=1
	s_mov_b32 s8, s54
	s_mov_b32 s34, s52
	s_barrier
	buffer_gl0_inv
                                        ; implicit-def: $vgpr20
                                        ; implicit-def: $vgpr2
                                        ; implicit-def: $vgpr6
                                        ; implicit-def: $vgpr7
                                        ; implicit-def: $vgpr8
                                        ; implicit-def: $vgpr9
                                        ; implicit-def: $vgpr10
                                        ; implicit-def: $vgpr11
                                        ; implicit-def: $vgpr12
                                        ; implicit-def: $vgpr13
                                        ; implicit-def: $vgpr14
                                        ; implicit-def: $vgpr15
                                        ; implicit-def: $vgpr16
                                        ; implicit-def: $vgpr17
                                        ; implicit-def: $vgpr18
                                        ; implicit-def: $vgpr19
	s_branch .LBB1747_606
.LBB1747_605:                           ;   in Loop: Header=BB1747_606 Depth=2
	s_or_b32 exec_lo, exec_lo, s0
	s_addk_i32 s8, 0xf000
	s_cmp_ge_u32 s9, s53
	s_mov_b32 s34, s9
	s_cbranch_scc1 .LBB1747_676
.LBB1747_606:                           ;   Parent Loop BB1747_12 Depth=1
                                        ; =>  This Inner Loop Header: Depth=2
	s_add_i32 s9, s34, 0x1000
	s_delay_alu instid0(SALU_CYCLE_1)
	s_cmp_gt_u32 s9, s53
	s_cbranch_scc1 .LBB1747_609
; %bb.607:                              ;   in Loop: Header=BB1747_606 Depth=2
	s_mov_b32 s1, 0
	s_mov_b32 s0, s34
	s_delay_alu instid0(SALU_CYCLE_1) | instskip(NEXT) | instid1(SALU_CYCLE_1)
	s_lshl_b64 s[10:11], s[0:1], 1
	v_add_co_u32 v4, vcc_lo, v88, s10
	v_add_co_ci_u32_e32 v5, vcc_lo, s11, v89, vcc_lo
	s_movk_i32 s11, 0x1000
	s_waitcnt vmcnt(0)
	s_delay_alu instid0(VALU_DEP_2) | instskip(NEXT) | instid1(VALU_DEP_2)
	v_add_co_u32 v36, vcc_lo, 0x1000, v4
	v_add_co_ci_u32_e32 v37, vcc_lo, 0, v5, vcc_lo
	s_clause 0xe
	global_load_u16 v22, v[4:5], off
	global_load_u16 v23, v[4:5], off offset:512
	global_load_u16 v24, v[4:5], off offset:1024
	global_load_u16 v25, v[4:5], off offset:1536
	global_load_u16 v26, v[4:5], off offset:2048
	global_load_u16 v27, v[4:5], off offset:2560
	global_load_u16 v28, v[4:5], off offset:3072
	global_load_u16 v29, v[4:5], off offset:3584
	global_load_u16 v30, v[36:37], off
	global_load_u16 v31, v[36:37], off offset:512
	global_load_u16 v32, v[36:37], off offset:1024
	;; [unrolled: 1-line block ×6, first 2 shown]
	v_add_co_u32 v4, vcc_lo, 0x1e00, v4
	v_add_co_ci_u32_e32 v5, vcc_lo, 0, v5, vcc_lo
	s_mov_b32 s10, -1
	s_cbranch_execz .LBB1747_610
; %bb.608:                              ;   in Loop: Header=BB1747_606 Depth=2
                                        ; implicit-def: $vgpr19
                                        ; implicit-def: $vgpr18
                                        ; implicit-def: $vgpr17
                                        ; implicit-def: $vgpr16
                                        ; implicit-def: $vgpr15
                                        ; implicit-def: $vgpr14
                                        ; implicit-def: $vgpr13
                                        ; implicit-def: $vgpr12
                                        ; implicit-def: $vgpr11
                                        ; implicit-def: $vgpr10
                                        ; implicit-def: $vgpr9
                                        ; implicit-def: $vgpr8
                                        ; implicit-def: $vgpr7
                                        ; implicit-def: $vgpr6
                                        ; implicit-def: $vgpr2
                                        ; implicit-def: $vgpr20
	v_mov_b32_e32 v21, s8
	s_and_saveexec_b32 s0, s10
	s_cbranch_execnz .LBB1747_629
	s_branch .LBB1747_630
.LBB1747_609:                           ;   in Loop: Header=BB1747_606 Depth=2
	s_mov_b32 s10, 0
                                        ; implicit-def: $sgpr11
                                        ; implicit-def: $vgpr22
                                        ; implicit-def: $vgpr23
                                        ; implicit-def: $vgpr24
                                        ; implicit-def: $vgpr25
                                        ; implicit-def: $vgpr26
                                        ; implicit-def: $vgpr27
                                        ; implicit-def: $vgpr28
                                        ; implicit-def: $vgpr29
                                        ; implicit-def: $vgpr30
                                        ; implicit-def: $vgpr31
                                        ; implicit-def: $vgpr32
                                        ; implicit-def: $vgpr33
                                        ; implicit-def: $vgpr34
                                        ; implicit-def: $vgpr35
                                        ; implicit-def: $vgpr36
                                        ; implicit-def: $vgpr4_vgpr5
.LBB1747_610:                           ;   in Loop: Header=BB1747_606 Depth=2
	s_lshl_b64 s[0:1], s[34:35], 1
	s_mov_b32 s11, exec_lo
	s_add_u32 s0, s36, s0
	s_addc_u32 s1, s37, s1
	v_cmpx_gt_u32_e64 s8, v1
	s_cbranch_execz .LBB1747_662
; %bb.611:                              ;   in Loop: Header=BB1747_606 Depth=2
	global_load_u16 v19, v95, s[0:1]
	s_or_b32 exec_lo, exec_lo, s11
	s_delay_alu instid0(SALU_CYCLE_1)
	s_mov_b32 s11, exec_lo
	v_cmpx_gt_u32_e64 s8, v45
	s_cbranch_execnz .LBB1747_663
.LBB1747_612:                           ;   in Loop: Header=BB1747_606 Depth=2
	s_or_b32 exec_lo, exec_lo, s11
	s_delay_alu instid0(SALU_CYCLE_1)
	s_mov_b32 s11, exec_lo
	v_cmpx_gt_u32_e64 s8, v46
	s_cbranch_execz .LBB1747_664
.LBB1747_613:                           ;   in Loop: Header=BB1747_606 Depth=2
	global_load_u16 v17, v95, s[0:1] offset:1024
	s_or_b32 exec_lo, exec_lo, s11
	s_delay_alu instid0(SALU_CYCLE_1)
	s_mov_b32 s11, exec_lo
	v_cmpx_gt_u32_e64 s8, v47
	s_cbranch_execnz .LBB1747_665
.LBB1747_614:                           ;   in Loop: Header=BB1747_606 Depth=2
	s_or_b32 exec_lo, exec_lo, s11
	s_delay_alu instid0(SALU_CYCLE_1)
	s_mov_b32 s11, exec_lo
	v_cmpx_gt_u32_e64 s8, v51
	s_cbranch_execz .LBB1747_666
.LBB1747_615:                           ;   in Loop: Header=BB1747_606 Depth=2
	global_load_u16 v15, v95, s[0:1] offset:2048
	s_or_b32 exec_lo, exec_lo, s11
	s_delay_alu instid0(SALU_CYCLE_1)
	s_mov_b32 s11, exec_lo
	v_cmpx_gt_u32_e64 s8, v52
	s_cbranch_execnz .LBB1747_667
.LBB1747_616:                           ;   in Loop: Header=BB1747_606 Depth=2
	s_or_b32 exec_lo, exec_lo, s11
	s_delay_alu instid0(SALU_CYCLE_1)
	s_mov_b32 s11, exec_lo
	v_cmpx_gt_u32_e64 s8, v53
	s_cbranch_execz .LBB1747_668
.LBB1747_617:                           ;   in Loop: Header=BB1747_606 Depth=2
	global_load_u16 v13, v95, s[0:1] offset:3072
	s_or_b32 exec_lo, exec_lo, s11
	s_delay_alu instid0(SALU_CYCLE_1)
	s_mov_b32 s11, exec_lo
	v_cmpx_gt_u32_e64 s8, v54
	s_cbranch_execnz .LBB1747_669
.LBB1747_618:                           ;   in Loop: Header=BB1747_606 Depth=2
	s_or_b32 exec_lo, exec_lo, s11
	s_delay_alu instid0(SALU_CYCLE_1)
	s_mov_b32 s11, exec_lo
	v_cmpx_gt_u32_e64 s8, v55
	s_cbranch_execz .LBB1747_670
.LBB1747_619:                           ;   in Loop: Header=BB1747_606 Depth=2
	global_load_u16 v11, v96, s[0:1]
	s_or_b32 exec_lo, exec_lo, s11
	s_delay_alu instid0(SALU_CYCLE_1)
	s_mov_b32 s11, exec_lo
	v_cmpx_gt_u32_e64 s8, v56
	s_cbranch_execnz .LBB1747_671
.LBB1747_620:                           ;   in Loop: Header=BB1747_606 Depth=2
	s_or_b32 exec_lo, exec_lo, s11
	s_delay_alu instid0(SALU_CYCLE_1)
	s_mov_b32 s11, exec_lo
	v_cmpx_gt_u32_e64 s8, v57
	s_cbranch_execz .LBB1747_672
.LBB1747_621:                           ;   in Loop: Header=BB1747_606 Depth=2
	global_load_u16 v9, v98, s[0:1]
	s_or_b32 exec_lo, exec_lo, s11
	s_delay_alu instid0(SALU_CYCLE_1)
	s_mov_b32 s11, exec_lo
	v_cmpx_gt_u32_e64 s8, v58
	s_cbranch_execnz .LBB1747_673
.LBB1747_622:                           ;   in Loop: Header=BB1747_606 Depth=2
	s_or_b32 exec_lo, exec_lo, s11
	s_delay_alu instid0(SALU_CYCLE_1)
	s_mov_b32 s11, exec_lo
	v_cmpx_gt_u32_e64 s8, v59
	s_cbranch_execz .LBB1747_674
.LBB1747_623:                           ;   in Loop: Header=BB1747_606 Depth=2
	global_load_u16 v7, v100, s[0:1]
	s_or_b32 exec_lo, exec_lo, s11
	s_delay_alu instid0(SALU_CYCLE_1)
	s_mov_b32 s11, exec_lo
	v_cmpx_gt_u32_e64 s8, v60
	s_cbranch_execnz .LBB1747_675
.LBB1747_624:                           ;   in Loop: Header=BB1747_606 Depth=2
	s_or_b32 exec_lo, exec_lo, s11
	s_delay_alu instid0(SALU_CYCLE_1)
	s_mov_b32 s11, exec_lo
	v_cmpx_gt_u32_e64 s8, v61
	s_cbranch_execz .LBB1747_626
.LBB1747_625:                           ;   in Loop: Header=BB1747_606 Depth=2
	global_load_u16 v2, v102, s[0:1]
.LBB1747_626:                           ;   in Loop: Header=BB1747_606 Depth=2
	s_or_b32 exec_lo, exec_lo, s11
	s_delay_alu instid0(SALU_CYCLE_1)
	s_mov_b32 s12, exec_lo
                                        ; implicit-def: $sgpr11
                                        ; implicit-def: $vgpr4_vgpr5
	v_cmpx_gt_u32_e64 s8, v63
; %bb.627:                              ;   in Loop: Header=BB1747_606 Depth=2
	v_add_co_u32 v4, s0, s0, v103
	s_delay_alu instid0(VALU_DEP_1)
	v_add_co_ci_u32_e64 v5, null, s1, 0, s0
	s_sub_i32 s11, s53, s34
	s_or_b32 s10, s10, exec_lo
                                        ; implicit-def: $vgpr20
; %bb.628:                              ;   in Loop: Header=BB1747_606 Depth=2
	s_or_b32 exec_lo, exec_lo, s12
	s_waitcnt vmcnt(0)
	v_dual_mov_b32 v22, v19 :: v_dual_mov_b32 v23, v18
	v_dual_mov_b32 v24, v17 :: v_dual_mov_b32 v25, v16
	;; [unrolled: 1-line block ×8, first 2 shown]
	s_and_saveexec_b32 s0, s10
	s_cbranch_execz .LBB1747_630
.LBB1747_629:                           ;   in Loop: Header=BB1747_606 Depth=2
	global_load_u16 v20, v[4:5], off
	s_waitcnt vmcnt(1)
	v_dual_mov_b32 v21, s11 :: v_dual_mov_b32 v2, v36
	v_dual_mov_b32 v6, v35 :: v_dual_mov_b32 v7, v34
	v_dual_mov_b32 v8, v33 :: v_dual_mov_b32 v9, v32
	v_dual_mov_b32 v10, v31 :: v_dual_mov_b32 v11, v30
	v_dual_mov_b32 v12, v29 :: v_dual_mov_b32 v13, v28
	v_dual_mov_b32 v14, v27 :: v_dual_mov_b32 v15, v26
	v_dual_mov_b32 v16, v25 :: v_dual_mov_b32 v17, v24
	v_dual_mov_b32 v18, v23 :: v_dual_mov_b32 v19, v22
.LBB1747_630:                           ;   in Loop: Header=BB1747_606 Depth=2
	s_or_b32 exec_lo, exec_lo, s0
	s_delay_alu instid0(SALU_CYCLE_1)
	s_mov_b32 s0, exec_lo
	v_cmpx_lt_u32_e64 v1, v21
	s_cbranch_execz .LBB1747_646
; %bb.631:                              ;   in Loop: Header=BB1747_606 Depth=2
	v_cmp_gt_i16_e32 vcc_lo, 0, v19
	v_lshlrev_b32_e32 v5, 2, v48
	v_cndmask_b32_e64 v4, 0x7fff, 0, vcc_lo
	s_delay_alu instid0(VALU_DEP_1) | instskip(NEXT) | instid1(VALU_DEP_1)
	v_xor_b32_e32 v4, v4, v19
	v_cmp_ne_u16_e32 vcc_lo, 0x8000, v4
	v_cndmask_b32_e32 v4, 0x7fff, v4, vcc_lo
	s_delay_alu instid0(VALU_DEP_1) | instskip(NEXT) | instid1(VALU_DEP_1)
	v_and_b32_e32 v4, 0xffff, v4
	v_lshrrev_b32_e32 v4, s49, v4
	s_delay_alu instid0(VALU_DEP_1) | instskip(NEXT) | instid1(VALU_DEP_1)
	v_and_b32_e32 v4, s55, v4
	v_lshl_or_b32 v4, v4, 4, v5
	ds_add_u32 v4, v94
	s_or_b32 exec_lo, exec_lo, s0
	s_delay_alu instid0(SALU_CYCLE_1)
	s_mov_b32 s0, exec_lo
	v_cmpx_lt_u32_e64 v45, v21
	s_cbranch_execnz .LBB1747_647
.LBB1747_632:                           ;   in Loop: Header=BB1747_606 Depth=2
	s_or_b32 exec_lo, exec_lo, s0
	s_delay_alu instid0(SALU_CYCLE_1)
	s_mov_b32 s0, exec_lo
	v_cmpx_lt_u32_e64 v46, v21
	s_cbranch_execz .LBB1747_648
.LBB1747_633:                           ;   in Loop: Header=BB1747_606 Depth=2
	v_cmp_gt_i16_e32 vcc_lo, 0, v17
	v_lshlrev_b32_e32 v5, 2, v48
	v_cndmask_b32_e64 v4, 0x7fff, 0, vcc_lo
	s_delay_alu instid0(VALU_DEP_1) | instskip(NEXT) | instid1(VALU_DEP_1)
	v_xor_b32_e32 v4, v4, v17
	v_cmp_ne_u16_e32 vcc_lo, 0x8000, v4
	v_cndmask_b32_e32 v4, 0x7fff, v4, vcc_lo
	s_delay_alu instid0(VALU_DEP_1) | instskip(NEXT) | instid1(VALU_DEP_1)
	v_and_b32_e32 v4, 0xffff, v4
	v_lshrrev_b32_e32 v4, s49, v4
	s_delay_alu instid0(VALU_DEP_1) | instskip(NEXT) | instid1(VALU_DEP_1)
	v_and_b32_e32 v4, s55, v4
	v_lshl_or_b32 v4, v4, 4, v5
	ds_add_u32 v4, v94
	s_or_b32 exec_lo, exec_lo, s0
	s_delay_alu instid0(SALU_CYCLE_1)
	s_mov_b32 s0, exec_lo
	v_cmpx_lt_u32_e64 v47, v21
	s_cbranch_execnz .LBB1747_649
.LBB1747_634:                           ;   in Loop: Header=BB1747_606 Depth=2
	s_or_b32 exec_lo, exec_lo, s0
	s_delay_alu instid0(SALU_CYCLE_1)
	s_mov_b32 s0, exec_lo
	v_cmpx_lt_u32_e64 v51, v21
	s_cbranch_execz .LBB1747_650
.LBB1747_635:                           ;   in Loop: Header=BB1747_606 Depth=2
	v_cmp_gt_i16_e32 vcc_lo, 0, v15
	v_lshlrev_b32_e32 v5, 2, v48
	v_cndmask_b32_e64 v4, 0x7fff, 0, vcc_lo
	s_delay_alu instid0(VALU_DEP_1) | instskip(NEXT) | instid1(VALU_DEP_1)
	v_xor_b32_e32 v4, v4, v15
	v_cmp_ne_u16_e32 vcc_lo, 0x8000, v4
	v_cndmask_b32_e32 v4, 0x7fff, v4, vcc_lo
	s_delay_alu instid0(VALU_DEP_1) | instskip(NEXT) | instid1(VALU_DEP_1)
	v_and_b32_e32 v4, 0xffff, v4
	v_lshrrev_b32_e32 v4, s49, v4
	s_delay_alu instid0(VALU_DEP_1) | instskip(NEXT) | instid1(VALU_DEP_1)
	v_and_b32_e32 v4, s55, v4
	v_lshl_or_b32 v4, v4, 4, v5
	ds_add_u32 v4, v94
	s_or_b32 exec_lo, exec_lo, s0
	s_delay_alu instid0(SALU_CYCLE_1)
	s_mov_b32 s0, exec_lo
	v_cmpx_lt_u32_e64 v52, v21
	s_cbranch_execnz .LBB1747_651
.LBB1747_636:                           ;   in Loop: Header=BB1747_606 Depth=2
	s_or_b32 exec_lo, exec_lo, s0
	s_delay_alu instid0(SALU_CYCLE_1)
	s_mov_b32 s0, exec_lo
	v_cmpx_lt_u32_e64 v53, v21
	s_cbranch_execz .LBB1747_652
.LBB1747_637:                           ;   in Loop: Header=BB1747_606 Depth=2
	v_cmp_gt_i16_e32 vcc_lo, 0, v13
	v_lshlrev_b32_e32 v5, 2, v48
	v_cndmask_b32_e64 v4, 0x7fff, 0, vcc_lo
	s_delay_alu instid0(VALU_DEP_1) | instskip(NEXT) | instid1(VALU_DEP_1)
	v_xor_b32_e32 v4, v4, v13
	v_cmp_ne_u16_e32 vcc_lo, 0x8000, v4
	v_cndmask_b32_e32 v4, 0x7fff, v4, vcc_lo
	s_delay_alu instid0(VALU_DEP_1) | instskip(NEXT) | instid1(VALU_DEP_1)
	v_and_b32_e32 v4, 0xffff, v4
	v_lshrrev_b32_e32 v4, s49, v4
	s_delay_alu instid0(VALU_DEP_1) | instskip(NEXT) | instid1(VALU_DEP_1)
	v_and_b32_e32 v4, s55, v4
	v_lshl_or_b32 v4, v4, 4, v5
	ds_add_u32 v4, v94
	s_or_b32 exec_lo, exec_lo, s0
	s_delay_alu instid0(SALU_CYCLE_1)
	s_mov_b32 s0, exec_lo
	v_cmpx_lt_u32_e64 v54, v21
	s_cbranch_execnz .LBB1747_653
.LBB1747_638:                           ;   in Loop: Header=BB1747_606 Depth=2
	s_or_b32 exec_lo, exec_lo, s0
	s_delay_alu instid0(SALU_CYCLE_1)
	s_mov_b32 s0, exec_lo
	v_cmpx_lt_u32_e64 v55, v21
	s_cbranch_execz .LBB1747_654
.LBB1747_639:                           ;   in Loop: Header=BB1747_606 Depth=2
	v_cmp_gt_i16_e32 vcc_lo, 0, v11
	v_lshlrev_b32_e32 v5, 2, v48
	v_cndmask_b32_e64 v4, 0x7fff, 0, vcc_lo
	s_delay_alu instid0(VALU_DEP_1) | instskip(NEXT) | instid1(VALU_DEP_1)
	v_xor_b32_e32 v4, v4, v11
	v_cmp_ne_u16_e32 vcc_lo, 0x8000, v4
	v_cndmask_b32_e32 v4, 0x7fff, v4, vcc_lo
	s_delay_alu instid0(VALU_DEP_1) | instskip(NEXT) | instid1(VALU_DEP_1)
	v_and_b32_e32 v4, 0xffff, v4
	v_lshrrev_b32_e32 v4, s49, v4
	s_delay_alu instid0(VALU_DEP_1) | instskip(NEXT) | instid1(VALU_DEP_1)
	v_and_b32_e32 v4, s55, v4
	v_lshl_or_b32 v4, v4, 4, v5
	ds_add_u32 v4, v94
	s_or_b32 exec_lo, exec_lo, s0
	s_delay_alu instid0(SALU_CYCLE_1)
	s_mov_b32 s0, exec_lo
	v_cmpx_lt_u32_e64 v56, v21
	s_cbranch_execnz .LBB1747_655
.LBB1747_640:                           ;   in Loop: Header=BB1747_606 Depth=2
	s_or_b32 exec_lo, exec_lo, s0
	s_delay_alu instid0(SALU_CYCLE_1)
	s_mov_b32 s0, exec_lo
	v_cmpx_lt_u32_e64 v57, v21
	s_cbranch_execz .LBB1747_656
.LBB1747_641:                           ;   in Loop: Header=BB1747_606 Depth=2
	v_cmp_gt_i16_e32 vcc_lo, 0, v9
	v_lshlrev_b32_e32 v5, 2, v48
	v_cndmask_b32_e64 v4, 0x7fff, 0, vcc_lo
	s_delay_alu instid0(VALU_DEP_1) | instskip(NEXT) | instid1(VALU_DEP_1)
	v_xor_b32_e32 v4, v4, v9
	v_cmp_ne_u16_e32 vcc_lo, 0x8000, v4
	v_cndmask_b32_e32 v4, 0x7fff, v4, vcc_lo
	s_delay_alu instid0(VALU_DEP_1) | instskip(NEXT) | instid1(VALU_DEP_1)
	v_and_b32_e32 v4, 0xffff, v4
	v_lshrrev_b32_e32 v4, s49, v4
	s_delay_alu instid0(VALU_DEP_1) | instskip(NEXT) | instid1(VALU_DEP_1)
	v_and_b32_e32 v4, s55, v4
	v_lshl_or_b32 v4, v4, 4, v5
	ds_add_u32 v4, v94
	s_or_b32 exec_lo, exec_lo, s0
	s_delay_alu instid0(SALU_CYCLE_1)
	s_mov_b32 s0, exec_lo
	v_cmpx_lt_u32_e64 v58, v21
	s_cbranch_execnz .LBB1747_657
.LBB1747_642:                           ;   in Loop: Header=BB1747_606 Depth=2
	s_or_b32 exec_lo, exec_lo, s0
	s_delay_alu instid0(SALU_CYCLE_1)
	s_mov_b32 s0, exec_lo
	v_cmpx_lt_u32_e64 v59, v21
	s_cbranch_execz .LBB1747_658
.LBB1747_643:                           ;   in Loop: Header=BB1747_606 Depth=2
	v_cmp_gt_i16_e32 vcc_lo, 0, v7
	v_lshlrev_b32_e32 v5, 2, v48
	v_cndmask_b32_e64 v4, 0x7fff, 0, vcc_lo
	s_delay_alu instid0(VALU_DEP_1) | instskip(NEXT) | instid1(VALU_DEP_1)
	v_xor_b32_e32 v4, v4, v7
	v_cmp_ne_u16_e32 vcc_lo, 0x8000, v4
	v_cndmask_b32_e32 v4, 0x7fff, v4, vcc_lo
	s_delay_alu instid0(VALU_DEP_1) | instskip(NEXT) | instid1(VALU_DEP_1)
	v_and_b32_e32 v4, 0xffff, v4
	v_lshrrev_b32_e32 v4, s49, v4
	s_delay_alu instid0(VALU_DEP_1) | instskip(NEXT) | instid1(VALU_DEP_1)
	v_and_b32_e32 v4, s55, v4
	v_lshl_or_b32 v4, v4, 4, v5
	ds_add_u32 v4, v94
	s_or_b32 exec_lo, exec_lo, s0
	s_delay_alu instid0(SALU_CYCLE_1)
	s_mov_b32 s0, exec_lo
	v_cmpx_lt_u32_e64 v60, v21
	s_cbranch_execnz .LBB1747_659
.LBB1747_644:                           ;   in Loop: Header=BB1747_606 Depth=2
	s_or_b32 exec_lo, exec_lo, s0
	s_delay_alu instid0(SALU_CYCLE_1)
	s_mov_b32 s0, exec_lo
	v_cmpx_lt_u32_e64 v61, v21
	s_cbranch_execz .LBB1747_660
.LBB1747_645:                           ;   in Loop: Header=BB1747_606 Depth=2
	v_cmp_gt_i16_e32 vcc_lo, 0, v2
	v_lshlrev_b32_e32 v5, 2, v48
	v_cndmask_b32_e64 v4, 0x7fff, 0, vcc_lo
	s_delay_alu instid0(VALU_DEP_1) | instskip(NEXT) | instid1(VALU_DEP_1)
	v_xor_b32_e32 v4, v4, v2
	v_cmp_ne_u16_e32 vcc_lo, 0x8000, v4
	v_cndmask_b32_e32 v4, 0x7fff, v4, vcc_lo
	s_delay_alu instid0(VALU_DEP_1) | instskip(NEXT) | instid1(VALU_DEP_1)
	v_and_b32_e32 v4, 0xffff, v4
	v_lshrrev_b32_e32 v4, s49, v4
	s_delay_alu instid0(VALU_DEP_1) | instskip(NEXT) | instid1(VALU_DEP_1)
	v_and_b32_e32 v4, s55, v4
	v_lshl_or_b32 v4, v4, 4, v5
	ds_add_u32 v4, v94
	s_or_b32 exec_lo, exec_lo, s0
	s_delay_alu instid0(SALU_CYCLE_1)
	s_mov_b32 s0, exec_lo
	v_cmpx_lt_u32_e64 v63, v21
	s_cbranch_execz .LBB1747_605
	s_branch .LBB1747_661
.LBB1747_646:                           ;   in Loop: Header=BB1747_606 Depth=2
	s_or_b32 exec_lo, exec_lo, s0
	s_delay_alu instid0(SALU_CYCLE_1)
	s_mov_b32 s0, exec_lo
	v_cmpx_lt_u32_e64 v45, v21
	s_cbranch_execz .LBB1747_632
.LBB1747_647:                           ;   in Loop: Header=BB1747_606 Depth=2
	v_cmp_gt_i16_e32 vcc_lo, 0, v18
	v_lshlrev_b32_e32 v5, 2, v48
	v_cndmask_b32_e64 v4, 0x7fff, 0, vcc_lo
	s_delay_alu instid0(VALU_DEP_1) | instskip(NEXT) | instid1(VALU_DEP_1)
	v_xor_b32_e32 v4, v4, v18
	v_cmp_ne_u16_e32 vcc_lo, 0x8000, v4
	v_cndmask_b32_e32 v4, 0x7fff, v4, vcc_lo
	s_delay_alu instid0(VALU_DEP_1) | instskip(NEXT) | instid1(VALU_DEP_1)
	v_and_b32_e32 v4, 0xffff, v4
	v_lshrrev_b32_e32 v4, s49, v4
	s_delay_alu instid0(VALU_DEP_1) | instskip(NEXT) | instid1(VALU_DEP_1)
	v_and_b32_e32 v4, s55, v4
	v_lshl_or_b32 v4, v4, 4, v5
	ds_add_u32 v4, v94
	s_or_b32 exec_lo, exec_lo, s0
	s_delay_alu instid0(SALU_CYCLE_1)
	s_mov_b32 s0, exec_lo
	v_cmpx_lt_u32_e64 v46, v21
	s_cbranch_execnz .LBB1747_633
.LBB1747_648:                           ;   in Loop: Header=BB1747_606 Depth=2
	s_or_b32 exec_lo, exec_lo, s0
	s_delay_alu instid0(SALU_CYCLE_1)
	s_mov_b32 s0, exec_lo
	v_cmpx_lt_u32_e64 v47, v21
	s_cbranch_execz .LBB1747_634
.LBB1747_649:                           ;   in Loop: Header=BB1747_606 Depth=2
	v_cmp_gt_i16_e32 vcc_lo, 0, v16
	v_lshlrev_b32_e32 v5, 2, v48
	v_cndmask_b32_e64 v4, 0x7fff, 0, vcc_lo
	s_delay_alu instid0(VALU_DEP_1) | instskip(NEXT) | instid1(VALU_DEP_1)
	v_xor_b32_e32 v4, v4, v16
	v_cmp_ne_u16_e32 vcc_lo, 0x8000, v4
	v_cndmask_b32_e32 v4, 0x7fff, v4, vcc_lo
	s_delay_alu instid0(VALU_DEP_1) | instskip(NEXT) | instid1(VALU_DEP_1)
	v_and_b32_e32 v4, 0xffff, v4
	v_lshrrev_b32_e32 v4, s49, v4
	s_delay_alu instid0(VALU_DEP_1) | instskip(NEXT) | instid1(VALU_DEP_1)
	v_and_b32_e32 v4, s55, v4
	v_lshl_or_b32 v4, v4, 4, v5
	ds_add_u32 v4, v94
	s_or_b32 exec_lo, exec_lo, s0
	s_delay_alu instid0(SALU_CYCLE_1)
	s_mov_b32 s0, exec_lo
	v_cmpx_lt_u32_e64 v51, v21
	s_cbranch_execnz .LBB1747_635
.LBB1747_650:                           ;   in Loop: Header=BB1747_606 Depth=2
	s_or_b32 exec_lo, exec_lo, s0
	s_delay_alu instid0(SALU_CYCLE_1)
	s_mov_b32 s0, exec_lo
	v_cmpx_lt_u32_e64 v52, v21
	s_cbranch_execz .LBB1747_636
.LBB1747_651:                           ;   in Loop: Header=BB1747_606 Depth=2
	v_cmp_gt_i16_e32 vcc_lo, 0, v14
	v_lshlrev_b32_e32 v5, 2, v48
	v_cndmask_b32_e64 v4, 0x7fff, 0, vcc_lo
	s_delay_alu instid0(VALU_DEP_1) | instskip(NEXT) | instid1(VALU_DEP_1)
	v_xor_b32_e32 v4, v4, v14
	v_cmp_ne_u16_e32 vcc_lo, 0x8000, v4
	v_cndmask_b32_e32 v4, 0x7fff, v4, vcc_lo
	s_delay_alu instid0(VALU_DEP_1) | instskip(NEXT) | instid1(VALU_DEP_1)
	v_and_b32_e32 v4, 0xffff, v4
	v_lshrrev_b32_e32 v4, s49, v4
	s_delay_alu instid0(VALU_DEP_1) | instskip(NEXT) | instid1(VALU_DEP_1)
	v_and_b32_e32 v4, s55, v4
	v_lshl_or_b32 v4, v4, 4, v5
	ds_add_u32 v4, v94
	s_or_b32 exec_lo, exec_lo, s0
	s_delay_alu instid0(SALU_CYCLE_1)
	s_mov_b32 s0, exec_lo
	v_cmpx_lt_u32_e64 v53, v21
	s_cbranch_execnz .LBB1747_637
.LBB1747_652:                           ;   in Loop: Header=BB1747_606 Depth=2
	s_or_b32 exec_lo, exec_lo, s0
	s_delay_alu instid0(SALU_CYCLE_1)
	s_mov_b32 s0, exec_lo
	v_cmpx_lt_u32_e64 v54, v21
	s_cbranch_execz .LBB1747_638
.LBB1747_653:                           ;   in Loop: Header=BB1747_606 Depth=2
	v_cmp_gt_i16_e32 vcc_lo, 0, v12
	v_lshlrev_b32_e32 v5, 2, v48
	v_cndmask_b32_e64 v4, 0x7fff, 0, vcc_lo
	s_delay_alu instid0(VALU_DEP_1) | instskip(NEXT) | instid1(VALU_DEP_1)
	v_xor_b32_e32 v4, v4, v12
	v_cmp_ne_u16_e32 vcc_lo, 0x8000, v4
	v_cndmask_b32_e32 v4, 0x7fff, v4, vcc_lo
	s_delay_alu instid0(VALU_DEP_1) | instskip(NEXT) | instid1(VALU_DEP_1)
	v_and_b32_e32 v4, 0xffff, v4
	v_lshrrev_b32_e32 v4, s49, v4
	s_delay_alu instid0(VALU_DEP_1) | instskip(NEXT) | instid1(VALU_DEP_1)
	v_and_b32_e32 v4, s55, v4
	v_lshl_or_b32 v4, v4, 4, v5
	ds_add_u32 v4, v94
	s_or_b32 exec_lo, exec_lo, s0
	s_delay_alu instid0(SALU_CYCLE_1)
	s_mov_b32 s0, exec_lo
	v_cmpx_lt_u32_e64 v55, v21
	s_cbranch_execnz .LBB1747_639
.LBB1747_654:                           ;   in Loop: Header=BB1747_606 Depth=2
	s_or_b32 exec_lo, exec_lo, s0
	s_delay_alu instid0(SALU_CYCLE_1)
	s_mov_b32 s0, exec_lo
	v_cmpx_lt_u32_e64 v56, v21
	s_cbranch_execz .LBB1747_640
.LBB1747_655:                           ;   in Loop: Header=BB1747_606 Depth=2
	v_cmp_gt_i16_e32 vcc_lo, 0, v10
	v_lshlrev_b32_e32 v5, 2, v48
	v_cndmask_b32_e64 v4, 0x7fff, 0, vcc_lo
	s_delay_alu instid0(VALU_DEP_1) | instskip(NEXT) | instid1(VALU_DEP_1)
	v_xor_b32_e32 v4, v4, v10
	v_cmp_ne_u16_e32 vcc_lo, 0x8000, v4
	v_cndmask_b32_e32 v4, 0x7fff, v4, vcc_lo
	s_delay_alu instid0(VALU_DEP_1) | instskip(NEXT) | instid1(VALU_DEP_1)
	v_and_b32_e32 v4, 0xffff, v4
	v_lshrrev_b32_e32 v4, s49, v4
	s_delay_alu instid0(VALU_DEP_1) | instskip(NEXT) | instid1(VALU_DEP_1)
	v_and_b32_e32 v4, s55, v4
	v_lshl_or_b32 v4, v4, 4, v5
	ds_add_u32 v4, v94
	s_or_b32 exec_lo, exec_lo, s0
	s_delay_alu instid0(SALU_CYCLE_1)
	s_mov_b32 s0, exec_lo
	v_cmpx_lt_u32_e64 v57, v21
	s_cbranch_execnz .LBB1747_641
.LBB1747_656:                           ;   in Loop: Header=BB1747_606 Depth=2
	s_or_b32 exec_lo, exec_lo, s0
	s_delay_alu instid0(SALU_CYCLE_1)
	s_mov_b32 s0, exec_lo
	v_cmpx_lt_u32_e64 v58, v21
	s_cbranch_execz .LBB1747_642
.LBB1747_657:                           ;   in Loop: Header=BB1747_606 Depth=2
	v_cmp_gt_i16_e32 vcc_lo, 0, v8
	v_lshlrev_b32_e32 v5, 2, v48
	v_cndmask_b32_e64 v4, 0x7fff, 0, vcc_lo
	s_delay_alu instid0(VALU_DEP_1) | instskip(NEXT) | instid1(VALU_DEP_1)
	v_xor_b32_e32 v4, v4, v8
	v_cmp_ne_u16_e32 vcc_lo, 0x8000, v4
	v_cndmask_b32_e32 v4, 0x7fff, v4, vcc_lo
	s_delay_alu instid0(VALU_DEP_1) | instskip(NEXT) | instid1(VALU_DEP_1)
	v_and_b32_e32 v4, 0xffff, v4
	v_lshrrev_b32_e32 v4, s49, v4
	s_delay_alu instid0(VALU_DEP_1) | instskip(NEXT) | instid1(VALU_DEP_1)
	v_and_b32_e32 v4, s55, v4
	v_lshl_or_b32 v4, v4, 4, v5
	ds_add_u32 v4, v94
	s_or_b32 exec_lo, exec_lo, s0
	s_delay_alu instid0(SALU_CYCLE_1)
	s_mov_b32 s0, exec_lo
	v_cmpx_lt_u32_e64 v59, v21
	s_cbranch_execnz .LBB1747_643
.LBB1747_658:                           ;   in Loop: Header=BB1747_606 Depth=2
	s_or_b32 exec_lo, exec_lo, s0
	s_delay_alu instid0(SALU_CYCLE_1)
	s_mov_b32 s0, exec_lo
	v_cmpx_lt_u32_e64 v60, v21
	s_cbranch_execz .LBB1747_644
.LBB1747_659:                           ;   in Loop: Header=BB1747_606 Depth=2
	v_cmp_gt_i16_e32 vcc_lo, 0, v6
	v_lshlrev_b32_e32 v5, 2, v48
	v_cndmask_b32_e64 v4, 0x7fff, 0, vcc_lo
	s_delay_alu instid0(VALU_DEP_1) | instskip(NEXT) | instid1(VALU_DEP_1)
	v_xor_b32_e32 v4, v4, v6
	v_cmp_ne_u16_e32 vcc_lo, 0x8000, v4
	v_cndmask_b32_e32 v4, 0x7fff, v4, vcc_lo
	s_delay_alu instid0(VALU_DEP_1) | instskip(NEXT) | instid1(VALU_DEP_1)
	v_and_b32_e32 v4, 0xffff, v4
	v_lshrrev_b32_e32 v4, s49, v4
	s_delay_alu instid0(VALU_DEP_1) | instskip(NEXT) | instid1(VALU_DEP_1)
	v_and_b32_e32 v4, s55, v4
	v_lshl_or_b32 v4, v4, 4, v5
	ds_add_u32 v4, v94
	s_or_b32 exec_lo, exec_lo, s0
	s_delay_alu instid0(SALU_CYCLE_1)
	s_mov_b32 s0, exec_lo
	v_cmpx_lt_u32_e64 v61, v21
	s_cbranch_execnz .LBB1747_645
.LBB1747_660:                           ;   in Loop: Header=BB1747_606 Depth=2
	s_or_b32 exec_lo, exec_lo, s0
	s_delay_alu instid0(SALU_CYCLE_1)
	s_mov_b32 s0, exec_lo
	v_cmpx_lt_u32_e64 v63, v21
	s_cbranch_execz .LBB1747_605
.LBB1747_661:                           ;   in Loop: Header=BB1747_606 Depth=2
	s_waitcnt vmcnt(0)
	v_cmp_gt_i16_e32 vcc_lo, 0, v20
	v_lshlrev_b32_e32 v5, 2, v48
	v_cndmask_b32_e64 v4, 0x7fff, 0, vcc_lo
	s_delay_alu instid0(VALU_DEP_1) | instskip(NEXT) | instid1(VALU_DEP_1)
	v_xor_b32_e32 v4, v4, v20
	v_cmp_ne_u16_e32 vcc_lo, 0x8000, v4
	v_cndmask_b32_e32 v4, 0x7fff, v4, vcc_lo
	s_delay_alu instid0(VALU_DEP_1) | instskip(NEXT) | instid1(VALU_DEP_1)
	v_and_b32_e32 v4, 0xffff, v4
	v_lshrrev_b32_e32 v4, s49, v4
	s_delay_alu instid0(VALU_DEP_1) | instskip(NEXT) | instid1(VALU_DEP_1)
	v_and_b32_e32 v4, s55, v4
	v_lshl_or_b32 v4, v4, 4, v5
	ds_add_u32 v4, v94
	s_branch .LBB1747_605
.LBB1747_662:                           ;   in Loop: Header=BB1747_606 Depth=2
	s_or_b32 exec_lo, exec_lo, s11
	s_delay_alu instid0(SALU_CYCLE_1)
	s_mov_b32 s11, exec_lo
	v_cmpx_gt_u32_e64 s8, v45
	s_cbranch_execz .LBB1747_612
.LBB1747_663:                           ;   in Loop: Header=BB1747_606 Depth=2
	global_load_u16 v18, v95, s[0:1] offset:512
	s_or_b32 exec_lo, exec_lo, s11
	s_delay_alu instid0(SALU_CYCLE_1)
	s_mov_b32 s11, exec_lo
	v_cmpx_gt_u32_e64 s8, v46
	s_cbranch_execnz .LBB1747_613
.LBB1747_664:                           ;   in Loop: Header=BB1747_606 Depth=2
	s_or_b32 exec_lo, exec_lo, s11
	s_delay_alu instid0(SALU_CYCLE_1)
	s_mov_b32 s11, exec_lo
	v_cmpx_gt_u32_e64 s8, v47
	s_cbranch_execz .LBB1747_614
.LBB1747_665:                           ;   in Loop: Header=BB1747_606 Depth=2
	global_load_u16 v16, v95, s[0:1] offset:1536
	s_or_b32 exec_lo, exec_lo, s11
	s_delay_alu instid0(SALU_CYCLE_1)
	s_mov_b32 s11, exec_lo
	v_cmpx_gt_u32_e64 s8, v51
	s_cbranch_execnz .LBB1747_615
.LBB1747_666:                           ;   in Loop: Header=BB1747_606 Depth=2
	s_or_b32 exec_lo, exec_lo, s11
	s_delay_alu instid0(SALU_CYCLE_1)
	s_mov_b32 s11, exec_lo
	v_cmpx_gt_u32_e64 s8, v52
	s_cbranch_execz .LBB1747_616
.LBB1747_667:                           ;   in Loop: Header=BB1747_606 Depth=2
	global_load_u16 v14, v95, s[0:1] offset:2560
	s_or_b32 exec_lo, exec_lo, s11
	s_delay_alu instid0(SALU_CYCLE_1)
	s_mov_b32 s11, exec_lo
	v_cmpx_gt_u32_e64 s8, v53
	s_cbranch_execnz .LBB1747_617
.LBB1747_668:                           ;   in Loop: Header=BB1747_606 Depth=2
	s_or_b32 exec_lo, exec_lo, s11
	s_delay_alu instid0(SALU_CYCLE_1)
	s_mov_b32 s11, exec_lo
	v_cmpx_gt_u32_e64 s8, v54
	s_cbranch_execz .LBB1747_618
.LBB1747_669:                           ;   in Loop: Header=BB1747_606 Depth=2
	global_load_u16 v12, v95, s[0:1] offset:3584
	s_or_b32 exec_lo, exec_lo, s11
	s_delay_alu instid0(SALU_CYCLE_1)
	s_mov_b32 s11, exec_lo
	v_cmpx_gt_u32_e64 s8, v55
	s_cbranch_execnz .LBB1747_619
.LBB1747_670:                           ;   in Loop: Header=BB1747_606 Depth=2
	s_or_b32 exec_lo, exec_lo, s11
	s_delay_alu instid0(SALU_CYCLE_1)
	s_mov_b32 s11, exec_lo
	v_cmpx_gt_u32_e64 s8, v56
	s_cbranch_execz .LBB1747_620
.LBB1747_671:                           ;   in Loop: Header=BB1747_606 Depth=2
	global_load_u16 v10, v97, s[0:1]
	s_or_b32 exec_lo, exec_lo, s11
	s_delay_alu instid0(SALU_CYCLE_1)
	s_mov_b32 s11, exec_lo
	v_cmpx_gt_u32_e64 s8, v57
	s_cbranch_execnz .LBB1747_621
.LBB1747_672:                           ;   in Loop: Header=BB1747_606 Depth=2
	s_or_b32 exec_lo, exec_lo, s11
	s_delay_alu instid0(SALU_CYCLE_1)
	s_mov_b32 s11, exec_lo
	v_cmpx_gt_u32_e64 s8, v58
	s_cbranch_execz .LBB1747_622
.LBB1747_673:                           ;   in Loop: Header=BB1747_606 Depth=2
	global_load_u16 v8, v99, s[0:1]
	s_or_b32 exec_lo, exec_lo, s11
	s_delay_alu instid0(SALU_CYCLE_1)
	s_mov_b32 s11, exec_lo
	v_cmpx_gt_u32_e64 s8, v59
	s_cbranch_execnz .LBB1747_623
.LBB1747_674:                           ;   in Loop: Header=BB1747_606 Depth=2
	s_or_b32 exec_lo, exec_lo, s11
	s_delay_alu instid0(SALU_CYCLE_1)
	s_mov_b32 s11, exec_lo
	v_cmpx_gt_u32_e64 s8, v60
	s_cbranch_execz .LBB1747_624
.LBB1747_675:                           ;   in Loop: Header=BB1747_606 Depth=2
	global_load_u16 v6, v101, s[0:1]
	s_or_b32 exec_lo, exec_lo, s11
	s_delay_alu instid0(SALU_CYCLE_1)
	s_mov_b32 s11, exec_lo
	v_cmpx_gt_u32_e64 s8, v61
	s_cbranch_execz .LBB1747_626
	s_branch .LBB1747_625
.LBB1747_676:                           ;   in Loop: Header=BB1747_12 Depth=1
	v_mov_b32_e32 v2, 0
	s_waitcnt vmcnt(0) lgkmcnt(0)
	s_barrier
	buffer_gl0_inv
	s_and_saveexec_b32 s0, s2
	s_cbranch_execz .LBB1747_678
; %bb.677:                              ;   in Loop: Header=BB1747_12 Depth=1
	ds_load_2addr_b64 v[4:7], v64 offset1:1
	s_waitcnt lgkmcnt(0)
	v_add_nc_u32_e32 v2, v5, v4
	s_delay_alu instid0(VALU_DEP_1)
	v_add3_u32 v2, v2, v6, v7
.LBB1747_678:                           ;   in Loop: Header=BB1747_12 Depth=1
	s_or_b32 exec_lo, exec_lo, s0
	v_and_b32_e32 v4, 15, v104
	s_delay_alu instid0(VALU_DEP_2) | instskip(SKIP_1) | instid1(VALU_DEP_3)
	v_mov_b32_dpp v5, v2 row_shr:1 row_mask:0xf bank_mask:0xf
	v_and_b32_e32 v6, 16, v104
	v_cmp_eq_u32_e64 s0, 0, v4
	v_cmp_lt_u32_e64 s1, 1, v4
	v_cmp_lt_u32_e64 s8, 3, v4
	;; [unrolled: 1-line block ×3, first 2 shown]
	v_cmp_eq_u32_e64 s10, 0, v6
	v_cndmask_b32_e64 v5, v5, 0, s0
	s_delay_alu instid0(VALU_DEP_1) | instskip(NEXT) | instid1(VALU_DEP_1)
	v_add_nc_u32_e32 v2, v5, v2
	v_mov_b32_dpp v5, v2 row_shr:2 row_mask:0xf bank_mask:0xf
	s_delay_alu instid0(VALU_DEP_1) | instskip(NEXT) | instid1(VALU_DEP_1)
	v_cndmask_b32_e64 v5, 0, v5, s1
	v_add_nc_u32_e32 v2, v2, v5
	s_delay_alu instid0(VALU_DEP_1) | instskip(NEXT) | instid1(VALU_DEP_1)
	v_mov_b32_dpp v5, v2 row_shr:4 row_mask:0xf bank_mask:0xf
	v_cndmask_b32_e64 v5, 0, v5, s8
	s_delay_alu instid0(VALU_DEP_1) | instskip(NEXT) | instid1(VALU_DEP_1)
	v_add_nc_u32_e32 v2, v2, v5
	v_mov_b32_dpp v5, v2 row_shr:8 row_mask:0xf bank_mask:0xf
	s_delay_alu instid0(VALU_DEP_1) | instskip(SKIP_1) | instid1(VALU_DEP_2)
	v_cndmask_b32_e64 v4, 0, v5, s9
	v_bfe_i32 v5, v104, 4, 1
	v_add_nc_u32_e32 v2, v2, v4
	ds_swizzle_b32 v4, v2 offset:swizzle(BROADCAST,32,15)
	s_waitcnt lgkmcnt(0)
	v_and_b32_e32 v4, v5, v4
	s_delay_alu instid0(VALU_DEP_1)
	v_add_nc_u32_e32 v4, v2, v4
	s_and_saveexec_b32 s11, s3
	s_cbranch_execz .LBB1747_680
; %bb.679:                              ;   in Loop: Header=BB1747_12 Depth=1
	ds_store_b32 v65, v4
.LBB1747_680:                           ;   in Loop: Header=BB1747_12 Depth=1
	s_or_b32 exec_lo, exec_lo, s11
	v_and_b32_e32 v2, 7, v104
	s_waitcnt lgkmcnt(0)
	s_barrier
	buffer_gl0_inv
	s_and_saveexec_b32 s11, s4
	s_cbranch_execz .LBB1747_682
; %bb.681:                              ;   in Loop: Header=BB1747_12 Depth=1
	ds_load_b32 v5, v66
	v_cmp_ne_u32_e32 vcc_lo, 0, v2
	s_waitcnt lgkmcnt(0)
	v_mov_b32_dpp v6, v5 row_shr:1 row_mask:0xf bank_mask:0xf
	s_delay_alu instid0(VALU_DEP_1) | instskip(SKIP_1) | instid1(VALU_DEP_2)
	v_cndmask_b32_e32 v6, 0, v6, vcc_lo
	v_cmp_lt_u32_e32 vcc_lo, 1, v2
	v_add_nc_u32_e32 v5, v6, v5
	s_delay_alu instid0(VALU_DEP_1) | instskip(NEXT) | instid1(VALU_DEP_1)
	v_mov_b32_dpp v6, v5 row_shr:2 row_mask:0xf bank_mask:0xf
	v_cndmask_b32_e32 v6, 0, v6, vcc_lo
	v_cmp_lt_u32_e32 vcc_lo, 3, v2
	s_delay_alu instid0(VALU_DEP_2) | instskip(NEXT) | instid1(VALU_DEP_1)
	v_add_nc_u32_e32 v5, v5, v6
	v_mov_b32_dpp v6, v5 row_shr:4 row_mask:0xf bank_mask:0xf
	s_delay_alu instid0(VALU_DEP_1) | instskip(NEXT) | instid1(VALU_DEP_1)
	v_cndmask_b32_e32 v6, 0, v6, vcc_lo
	v_add_nc_u32_e32 v5, v5, v6
	ds_store_b32 v66, v5
.LBB1747_682:                           ;   in Loop: Header=BB1747_12 Depth=1
	s_or_b32 exec_lo, exec_lo, s11
	v_mov_b32_e32 v5, 0
	s_waitcnt lgkmcnt(0)
	s_barrier
	buffer_gl0_inv
	s_and_saveexec_b32 s11, s5
	s_cbranch_execz .LBB1747_684
; %bb.683:                              ;   in Loop: Header=BB1747_12 Depth=1
	ds_load_b32 v5, v67
.LBB1747_684:                           ;   in Loop: Header=BB1747_12 Depth=1
	s_or_b32 exec_lo, exec_lo, s11
	v_add_nc_u32_e32 v6, -1, v104
	s_waitcnt lgkmcnt(0)
	v_add_nc_u32_e32 v4, v5, v4
	v_cmp_eq_u32_e64 s11, 0, v104
	s_barrier
	v_cmp_gt_i32_e32 vcc_lo, 0, v6
	buffer_gl0_inv
	v_cndmask_b32_e32 v6, v6, v104, vcc_lo
	s_delay_alu instid0(VALU_DEP_1)
	v_lshlrev_b32_e32 v105, 2, v6
	ds_bpermute_b32 v4, v105, v4
	s_and_saveexec_b32 s12, s2
	s_cbranch_execz .LBB1747_686
; %bb.685:                              ;   in Loop: Header=BB1747_12 Depth=1
	s_waitcnt lgkmcnt(0)
	v_cndmask_b32_e64 v4, v4, v5, s11
	s_delay_alu instid0(VALU_DEP_1)
	v_add_nc_u32_e32 v4, s52, v4
	ds_store_b32 v44, v4
.LBB1747_686:                           ;   in Loop: Header=BB1747_12 Depth=1
	s_or_b32 exec_lo, exec_lo, s12
	s_load_b64 s[12:13], s[42:43], 0x0
	v_lshlrev_b32_e32 v5, 3, v104
	v_cmp_lt_u32_e64 s14, 3, v2
	v_or_b32_e32 v106, v104, v68
	s_mov_b32 s56, s54
	s_mov_b32 s34, s52
	v_add_co_u32 v107, vcc_lo, v90, v5
	v_add_co_ci_u32_e32 v108, vcc_lo, 0, v91, vcc_lo
	v_or_b32_e32 v109, 32, v106
	v_or_b32_e32 v110, 64, v106
	;; [unrolled: 1-line block ×10, first 2 shown]
	s_waitcnt lgkmcnt(0)
	s_cmp_lt_u32 s15, s13
	v_or_b32_e32 v119, 0x160, v106
	s_cselect_b32 s13, 14, 20
	v_or_b32_e32 v120, 0x180, v106
	s_add_u32 s16, s42, s13
	s_addc_u32 s17, s43, 0
	s_cmp_lt_u32 s26, s12
	global_load_u16 v4, v3, s[16:17]
	s_cselect_b32 s12, 12, 18
	v_or_b32_e32 v121, 0x1a0, v106
	s_add_u32 s12, s42, s12
	s_addc_u32 s13, s43, 0
	v_or_b32_e32 v122, 0x1c0, v106
	global_load_u16 v6, v3, s[12:13]
	v_cmp_eq_u32_e64 s12, 0, v2
	v_cmp_lt_u32_e64 s13, 1, v2
	v_lshlrev_b32_e32 v2, 1, v104
	v_or_b32_e32 v123, 0x1e0, v106
                                        ; implicit-def: $vgpr8_vgpr9
                                        ; implicit-def: $vgpr10_vgpr11
                                        ; implicit-def: $vgpr12_vgpr13
                                        ; implicit-def: $vgpr14_vgpr15
                                        ; implicit-def: $vgpr16_vgpr17
                                        ; implicit-def: $vgpr18_vgpr19
                                        ; implicit-def: $vgpr20_vgpr21
                                        ; implicit-def: $vgpr22_vgpr23
                                        ; implicit-def: $vgpr24_vgpr25
                                        ; implicit-def: $vgpr26_vgpr27
                                        ; implicit-def: $vgpr28_vgpr29
                                        ; implicit-def: $vgpr30_vgpr31
                                        ; implicit-def: $vgpr32_vgpr33
                                        ; implicit-def: $vgpr34_vgpr35
                                        ; implicit-def: $vgpr129
                                        ; implicit-def: $vgpr130
                                        ; implicit-def: $vgpr131
                                        ; implicit-def: $vgpr132
                                        ; implicit-def: $vgpr133
                                        ; implicit-def: $vgpr134
                                        ; implicit-def: $vgpr135
                                        ; implicit-def: $vgpr136
                                        ; implicit-def: $vgpr137
                                        ; implicit-def: $vgpr138
                                        ; implicit-def: $vgpr139
                                        ; implicit-def: $vgpr140
                                        ; implicit-def: $vgpr141
                                        ; implicit-def: $vgpr142
                                        ; implicit-def: $vgpr143
                                        ; implicit-def: $vgpr144
	s_delay_alu instid0(VALU_DEP_2) | instskip(SKIP_1) | instid1(VALU_DEP_2)
	v_add_co_u32 v124, vcc_lo, v92, v2
	v_add_co_ci_u32_e32 v125, vcc_lo, 0, v93, vcc_lo
	v_add_co_u32 v127, vcc_lo, 0x3c0, v124
	s_delay_alu instid0(VALU_DEP_2) | instskip(SKIP_3) | instid1(VALU_DEP_1)
	v_add_co_ci_u32_e32 v128, vcc_lo, 0, v125, vcc_lo
	s_waitcnt vmcnt(1)
	v_mad_u32_u24 v7, v70, v4, v0
	s_waitcnt vmcnt(0)
	v_mad_u64_u32 v[4:5], null, v7, v6, v[1:2]
                                        ; implicit-def: $vgpr6_vgpr7
	s_delay_alu instid0(VALU_DEP_1)
	v_lshrrev_b32_e32 v126, 5, v4
                                        ; implicit-def: $vgpr4_vgpr5
	s_branch .LBB1747_688
.LBB1747_687:                           ;   in Loop: Header=BB1747_688 Depth=2
	s_or_b32 exec_lo, exec_lo, s16
	s_addk_i32 s56, 0xf000
	s_cmp_lt_u32 s57, s53
	s_mov_b32 s34, s57
	s_cbranch_scc0 .LBB1747_896
.LBB1747_688:                           ;   Parent Loop BB1747_12 Depth=1
                                        ; =>  This Inner Loop Header: Depth=2
	s_add_i32 s57, s34, 0x1000
	s_delay_alu instid0(SALU_CYCLE_1)
	s_cmp_gt_u32 s57, s53
	s_cbranch_scc1 .LBB1747_691
; %bb.689:                              ;   in Loop: Header=BB1747_688 Depth=2
	s_mov_b32 s17, 0
	s_mov_b32 s16, s34
	s_delay_alu instid0(SALU_CYCLE_1) | instskip(NEXT) | instid1(SALU_CYCLE_1)
	s_lshl_b64 s[18:19], s[16:17], 1
	v_add_co_u32 v36, vcc_lo, v124, s18
	v_add_co_ci_u32_e32 v37, vcc_lo, s19, v125, vcc_lo
	s_mov_b32 s19, -1
	s_movk_i32 s18, 0x1000
	s_clause 0xe
	global_load_u16 v2, v[36:37], off
	global_load_u16 v146, v[36:37], off offset:64
	global_load_u16 v149, v[36:37], off offset:128
	;; [unrolled: 1-line block ×14, first 2 shown]
	s_cbranch_execz .LBB1747_692
; %bb.690:                              ;   in Loop: Header=BB1747_688 Depth=2
                                        ; implicit-def: $sgpr20
	v_dual_mov_b32 v36, s20 :: v_dual_mov_b32 v145, s56
	s_and_saveexec_b32 s20, s19
	s_cbranch_execnz .LBB1747_723
	s_branch .LBB1747_724
.LBB1747_691:                           ;   in Loop: Header=BB1747_688 Depth=2
	s_mov_b32 s17, -1
	s_mov_b32 s19, 0
                                        ; implicit-def: $sgpr18
                                        ; implicit-def: $vgpr2
                                        ; implicit-def: $vgpr146
                                        ; implicit-def: $vgpr149
                                        ; implicit-def: $vgpr153
                                        ; implicit-def: $vgpr157
                                        ; implicit-def: $vgpr161
                                        ; implicit-def: $vgpr165
                                        ; implicit-def: $vgpr170
                                        ; implicit-def: $vgpr169
                                        ; implicit-def: $vgpr43
                                        ; implicit-def: $vgpr42
                                        ; implicit-def: $vgpr41
                                        ; implicit-def: $vgpr40
                                        ; implicit-def: $vgpr39
                                        ; implicit-def: $vgpr38
.LBB1747_692:                           ;   in Loop: Header=BB1747_688 Depth=2
	s_lshl_b64 s[16:17], s[34:35], 1
	s_waitcnt vmcnt(13)
	v_mov_b32_e32 v146, -1
	v_add_co_u32 v36, vcc_lo, v124, s16
	v_add_co_ci_u32_e32 v37, vcc_lo, s17, v125, vcc_lo
	v_mov_b32_e32 v2, -1
	s_mov_b32 s16, exec_lo
	v_cmpx_gt_u32_e64 s56, v106
	s_cbranch_execz .LBB1747_694
; %bb.693:                              ;   in Loop: Header=BB1747_688 Depth=2
	global_load_u16 v2, v[36:37], off
.LBB1747_694:                           ;   in Loop: Header=BB1747_688 Depth=2
	s_or_b32 exec_lo, exec_lo, s16
	s_delay_alu instid0(SALU_CYCLE_1)
	s_mov_b32 s16, exec_lo
	v_cmpx_gt_u32_e64 s56, v109
	s_cbranch_execz .LBB1747_696
; %bb.695:                              ;   in Loop: Header=BB1747_688 Depth=2
	global_load_u16 v146, v[36:37], off offset:64
.LBB1747_696:                           ;   in Loop: Header=BB1747_688 Depth=2
	s_or_b32 exec_lo, exec_lo, s16
	s_waitcnt vmcnt(11)
	v_mov_b32_e32 v153, -1
	v_mov_b32_e32 v149, -1
	s_mov_b32 s16, exec_lo
	v_cmpx_gt_u32_e64 s56, v110
	s_cbranch_execz .LBB1747_698
; %bb.697:                              ;   in Loop: Header=BB1747_688 Depth=2
	global_load_u16 v149, v[36:37], off offset:128
.LBB1747_698:                           ;   in Loop: Header=BB1747_688 Depth=2
	s_or_b32 exec_lo, exec_lo, s16
	s_delay_alu instid0(SALU_CYCLE_1)
	s_mov_b32 s16, exec_lo
	v_cmpx_gt_u32_e64 s56, v111
	s_cbranch_execz .LBB1747_700
; %bb.699:                              ;   in Loop: Header=BB1747_688 Depth=2
	global_load_u16 v153, v[36:37], off offset:192
.LBB1747_700:                           ;   in Loop: Header=BB1747_688 Depth=2
	s_or_b32 exec_lo, exec_lo, s16
	s_waitcnt vmcnt(9)
	v_mov_b32_e32 v161, -1
	v_mov_b32_e32 v157, -1
	s_mov_b32 s16, exec_lo
	v_cmpx_gt_u32_e64 s56, v112
	s_cbranch_execz .LBB1747_702
; %bb.701:                              ;   in Loop: Header=BB1747_688 Depth=2
	global_load_u16 v157, v[36:37], off offset:256
.LBB1747_702:                           ;   in Loop: Header=BB1747_688 Depth=2
	s_or_b32 exec_lo, exec_lo, s16
	s_delay_alu instid0(SALU_CYCLE_1)
	s_mov_b32 s16, exec_lo
	v_cmpx_gt_u32_e64 s56, v113
	s_cbranch_execz .LBB1747_704
; %bb.703:                              ;   in Loop: Header=BB1747_688 Depth=2
	global_load_u16 v161, v[36:37], off offset:320
.LBB1747_704:                           ;   in Loop: Header=BB1747_688 Depth=2
	s_or_b32 exec_lo, exec_lo, s16
	s_waitcnt vmcnt(7)
	v_dual_mov_b32 v170, -1 :: v_dual_mov_b32 v165, -1
	s_mov_b32 s16, exec_lo
	v_cmpx_gt_u32_e64 s56, v114
	s_cbranch_execz .LBB1747_706
; %bb.705:                              ;   in Loop: Header=BB1747_688 Depth=2
	global_load_u16 v165, v[36:37], off offset:384
.LBB1747_706:                           ;   in Loop: Header=BB1747_688 Depth=2
	s_or_b32 exec_lo, exec_lo, s16
	s_delay_alu instid0(SALU_CYCLE_1)
	s_mov_b32 s16, exec_lo
	v_cmpx_gt_u32_e64 s56, v115
	s_cbranch_execz .LBB1747_708
; %bb.707:                              ;   in Loop: Header=BB1747_688 Depth=2
	global_load_u16 v170, v[36:37], off offset:448
.LBB1747_708:                           ;   in Loop: Header=BB1747_688 Depth=2
	s_or_b32 exec_lo, exec_lo, s16
	s_waitcnt vmcnt(5)
	v_mov_b32_e32 v43, -1
	v_mov_b32_e32 v169, -1
	s_mov_b32 s16, exec_lo
	v_cmpx_gt_u32_e64 s56, v116
	s_cbranch_execz .LBB1747_710
; %bb.709:                              ;   in Loop: Header=BB1747_688 Depth=2
	global_load_u16 v169, v[36:37], off offset:512
.LBB1747_710:                           ;   in Loop: Header=BB1747_688 Depth=2
	s_or_b32 exec_lo, exec_lo, s16
	s_delay_alu instid0(SALU_CYCLE_1)
	s_mov_b32 s16, exec_lo
	v_cmpx_gt_u32_e64 s56, v117
	s_cbranch_execz .LBB1747_712
; %bb.711:                              ;   in Loop: Header=BB1747_688 Depth=2
	global_load_u16 v43, v[36:37], off offset:576
.LBB1747_712:                           ;   in Loop: Header=BB1747_688 Depth=2
	s_or_b32 exec_lo, exec_lo, s16
	s_waitcnt vmcnt(3)
	v_dual_mov_b32 v41, -1 :: v_dual_mov_b32 v42, -1
	s_mov_b32 s16, exec_lo
	v_cmpx_gt_u32_e64 s56, v118
	s_cbranch_execz .LBB1747_714
; %bb.713:                              ;   in Loop: Header=BB1747_688 Depth=2
	global_load_u16 v42, v[36:37], off offset:640
.LBB1747_714:                           ;   in Loop: Header=BB1747_688 Depth=2
	s_or_b32 exec_lo, exec_lo, s16
	s_delay_alu instid0(SALU_CYCLE_1)
	s_mov_b32 s16, exec_lo
	v_cmpx_gt_u32_e64 s56, v119
	s_cbranch_execz .LBB1747_716
; %bb.715:                              ;   in Loop: Header=BB1747_688 Depth=2
	global_load_u16 v41, v[36:37], off offset:704
.LBB1747_716:                           ;   in Loop: Header=BB1747_688 Depth=2
	s_or_b32 exec_lo, exec_lo, s16
	s_waitcnt vmcnt(1)
	v_dual_mov_b32 v39, -1 :: v_dual_mov_b32 v40, -1
	s_mov_b32 s16, exec_lo
	v_cmpx_gt_u32_e64 s56, v120
	s_cbranch_execz .LBB1747_718
; %bb.717:                              ;   in Loop: Header=BB1747_688 Depth=2
	global_load_u16 v40, v[36:37], off offset:768
.LBB1747_718:                           ;   in Loop: Header=BB1747_688 Depth=2
	s_or_b32 exec_lo, exec_lo, s16
	s_delay_alu instid0(SALU_CYCLE_1)
	s_mov_b32 s16, exec_lo
	v_cmpx_gt_u32_e64 s56, v121
	s_cbranch_execz .LBB1747_720
; %bb.719:                              ;   in Loop: Header=BB1747_688 Depth=2
	global_load_u16 v39, v[36:37], off offset:832
.LBB1747_720:                           ;   in Loop: Header=BB1747_688 Depth=2
	s_or_b32 exec_lo, exec_lo, s16
	s_waitcnt vmcnt(0)
	v_mov_b32_e32 v38, -1
	s_mov_b32 s16, exec_lo
	v_cmpx_gt_u32_e64 s56, v122
	s_cbranch_execz .LBB1747_722
; %bb.721:                              ;   in Loop: Header=BB1747_688 Depth=2
	global_load_u16 v38, v[36:37], off offset:896
.LBB1747_722:                           ;   in Loop: Header=BB1747_688 Depth=2
	s_or_b32 exec_lo, exec_lo, s16
	v_cmp_gt_u32_e64 s19, s56, v123
	s_sub_i32 s18, s53, s34
	s_mov_b32 s20, -1
	s_mov_b64 s[16:17], s[34:35]
	v_dual_mov_b32 v36, s20 :: v_dual_mov_b32 v145, s56
	s_and_saveexec_b32 s20, s19
	s_cbranch_execz .LBB1747_724
.LBB1747_723:                           ;   in Loop: Header=BB1747_688 Depth=2
	s_lshl_b64 s[16:17], s[16:17], 1
	v_mov_b32_e32 v145, s18
	v_add_co_u32 v36, vcc_lo, v127, s16
	v_add_co_ci_u32_e32 v37, vcc_lo, s17, v128, vcc_lo
	global_load_u16 v36, v[36:37], off
.LBB1747_724:                           ;   in Loop: Header=BB1747_688 Depth=2
	s_or_b32 exec_lo, exec_lo, s20
	s_waitcnt vmcnt(14)
	v_cmp_gt_i16_e32 vcc_lo, 0, v2
	ds_store_b32 v69, v3 offset:1056
	ds_store_2addr_b32 v71, v3, v3 offset0:1 offset1:2
	ds_store_2addr_b32 v71, v3, v3 offset0:3 offset1:4
	;; [unrolled: 1-line block ×4, first 2 shown]
	s_waitcnt vmcnt(0) lgkmcnt(0)
	s_barrier
	v_cndmask_b32_e64 v37, 0x7fff, 0, vcc_lo
	buffer_gl0_inv
	; wave barrier
	v_xor_b32_e32 v2, v37, v2
	s_delay_alu instid0(VALU_DEP_1) | instskip(SKIP_1) | instid1(VALU_DEP_1)
	v_cmp_ne_u16_e32 vcc_lo, 0x8000, v2
	v_cndmask_b32_e32 v37, 0x7fff, v2, vcc_lo
	v_and_b32_e32 v37, 0xffff, v37
	s_delay_alu instid0(VALU_DEP_1) | instskip(NEXT) | instid1(VALU_DEP_1)
	v_lshrrev_b32_e32 v37, s49, v37
	v_and_b32_e32 v148, s55, v37
	s_delay_alu instid0(VALU_DEP_1)
	v_lshlrev_b32_e32 v150, 29, v148
	v_and_b32_e32 v37, 1, v148
	v_lshlrev_b32_e32 v147, 30, v148
	v_lshlrev_b32_e32 v151, 28, v148
	;; [unrolled: 1-line block ×4, first 2 shown]
	v_add_co_u32 v37, s16, v37, -1
	s_delay_alu instid0(VALU_DEP_1)
	v_cndmask_b32_e64 v152, 0, 1, s16
	v_not_b32_e32 v158, v147
	v_cmp_gt_i32_e64 s16, 0, v147
	v_not_b32_e32 v147, v150
	v_lshlrev_b32_e32 v156, 25, v148
	v_cmp_ne_u32_e32 vcc_lo, 0, v152
	v_ashrrev_i32_e32 v158, 31, v158
	v_lshlrev_b32_e32 v152, 24, v148
	v_ashrrev_i32_e32 v147, 31, v147
	v_mad_u32_u24 v148, v148, 9, v126
	v_xor_b32_e32 v37, vcc_lo, v37
	v_cmp_gt_i32_e32 vcc_lo, 0, v150
	v_not_b32_e32 v150, v151
	v_xor_b32_e32 v158, s16, v158
	v_cmp_gt_i32_e64 s16, 0, v151
	v_and_b32_e32 v37, exec_lo, v37
	v_not_b32_e32 v151, v154
	v_ashrrev_i32_e32 v150, 31, v150
	v_xor_b32_e32 v147, vcc_lo, v147
	v_cmp_gt_i32_e32 vcc_lo, 0, v154
	v_and_b32_e32 v37, v37, v158
	v_not_b32_e32 v154, v155
	v_ashrrev_i32_e32 v151, 31, v151
	v_xor_b32_e32 v150, s16, v150
	v_cmp_gt_i32_e64 s16, 0, v155
	v_and_b32_e32 v37, v37, v147
	v_not_b32_e32 v147, v156
	v_ashrrev_i32_e32 v154, 31, v154
	v_xor_b32_e32 v151, vcc_lo, v151
	v_cmp_gt_i32_e32 vcc_lo, 0, v156
	v_and_b32_e32 v37, v37, v150
	v_not_b32_e32 v150, v152
	v_ashrrev_i32_e32 v147, 31, v147
	v_xor_b32_e32 v154, s16, v154
	v_cmp_gt_i32_e64 s16, 0, v152
	v_and_b32_e32 v37, v37, v151
	v_ashrrev_i32_e32 v150, 31, v150
	v_xor_b32_e32 v147, vcc_lo, v147
	v_lshl_add_u32 v148, v148, 2, 0x420
	s_delay_alu instid0(VALU_DEP_4) | instskip(NEXT) | instid1(VALU_DEP_4)
	v_and_b32_e32 v37, v37, v154
	v_xor_b32_e32 v150, s16, v150
	s_delay_alu instid0(VALU_DEP_2) | instskip(NEXT) | instid1(VALU_DEP_1)
	v_and_b32_e32 v37, v37, v147
	v_and_b32_e32 v37, v37, v150
	s_delay_alu instid0(VALU_DEP_1) | instskip(SKIP_1) | instid1(VALU_DEP_2)
	v_mbcnt_lo_u32_b32 v147, v37, 0
	v_cmp_ne_u32_e64 s16, 0, v37
	v_cmp_eq_u32_e32 vcc_lo, 0, v147
	s_delay_alu instid0(VALU_DEP_2) | instskip(NEXT) | instid1(SALU_CYCLE_1)
	s_and_b32 s17, s16, vcc_lo
	s_and_saveexec_b32 s16, s17
	s_cbranch_execz .LBB1747_726
; %bb.725:                              ;   in Loop: Header=BB1747_688 Depth=2
	v_bcnt_u32_b32 v37, v37, 0
	ds_store_b32 v148, v37
.LBB1747_726:                           ;   in Loop: Header=BB1747_688 Depth=2
	s_or_b32 exec_lo, exec_lo, s16
	v_cmp_gt_i16_e64 vcc_lo, 0, v146
	; wave barrier
	s_delay_alu instid0(VALU_DEP_1) | instskip(NEXT) | instid1(VALU_DEP_1)
	v_cndmask_b32_e64 v37, 0x7fff, 0, vcc_lo
	v_xor_b32_e32 v146, v37, v146
	s_delay_alu instid0(VALU_DEP_1) | instskip(SKIP_1) | instid1(VALU_DEP_1)
	v_cmp_ne_u16_e64 vcc_lo, 0x8000, v146
	v_cndmask_b32_e32 v37, 0x7fff, v146, vcc_lo
	v_and_b32_e32 v37, 0xffff, v37
	s_delay_alu instid0(VALU_DEP_1) | instskip(NEXT) | instid1(VALU_DEP_1)
	v_lshrrev_b32_e32 v37, s49, v37
	v_and_b32_e32 v37, s55, v37
	s_delay_alu instid0(VALU_DEP_1)
	v_and_b32_e32 v150, 1, v37
	v_lshlrev_b32_e32 v151, 30, v37
	v_lshlrev_b32_e32 v152, 29, v37
	;; [unrolled: 1-line block ×4, first 2 shown]
	v_add_co_u32 v150, s16, v150, -1
	s_delay_alu instid0(VALU_DEP_1)
	v_cndmask_b32_e64 v155, 0, 1, s16
	v_not_b32_e32 v160, v151
	v_cmp_gt_i32_e64 s16, 0, v151
	v_not_b32_e32 v151, v152
	v_lshlrev_b32_e32 v158, 26, v37
	v_cmp_ne_u32_e32 vcc_lo, 0, v155
	v_ashrrev_i32_e32 v160, 31, v160
	v_lshlrev_b32_e32 v159, 25, v37
	v_ashrrev_i32_e32 v151, 31, v151
	v_lshlrev_b32_e32 v155, 24, v37
	v_xor_b32_e32 v150, vcc_lo, v150
	v_cmp_gt_i32_e32 vcc_lo, 0, v152
	v_not_b32_e32 v152, v154
	v_xor_b32_e32 v160, s16, v160
	v_cmp_gt_i32_e64 s16, 0, v154
	v_and_b32_e32 v150, exec_lo, v150
	v_not_b32_e32 v154, v156
	v_ashrrev_i32_e32 v152, 31, v152
	v_xor_b32_e32 v151, vcc_lo, v151
	v_cmp_gt_i32_e32 vcc_lo, 0, v156
	v_and_b32_e32 v150, v150, v160
	v_not_b32_e32 v156, v158
	v_ashrrev_i32_e32 v154, 31, v154
	v_xor_b32_e32 v152, s16, v152
	v_cmp_gt_i32_e64 s16, 0, v158
	v_and_b32_e32 v150, v150, v151
	v_not_b32_e32 v151, v159
	v_ashrrev_i32_e32 v156, 31, v156
	v_xor_b32_e32 v154, vcc_lo, v154
	v_cmp_gt_i32_e32 vcc_lo, 0, v159
	v_and_b32_e32 v150, v150, v152
	v_not_b32_e32 v152, v155
	v_ashrrev_i32_e32 v151, 31, v151
	v_xor_b32_e32 v156, s16, v156
	v_mul_u32_u24_e32 v37, 9, v37
	v_and_b32_e32 v150, v150, v154
	v_cmp_gt_i32_e64 s16, 0, v155
	v_ashrrev_i32_e32 v152, 31, v152
	v_xor_b32_e32 v151, vcc_lo, v151
	v_add_lshl_u32 v154, v37, v126, 2
	v_and_b32_e32 v150, v150, v156
	s_delay_alu instid0(VALU_DEP_4) | instskip(NEXT) | instid1(VALU_DEP_3)
	v_xor_b32_e32 v37, s16, v152
	v_add_nc_u32_e32 v152, 0x420, v154
	s_delay_alu instid0(VALU_DEP_3) | instskip(SKIP_2) | instid1(VALU_DEP_1)
	v_and_b32_e32 v151, v150, v151
	ds_load_b32 v150, v154 offset:1056
	; wave barrier
	v_and_b32_e32 v37, v151, v37
	v_mbcnt_lo_u32_b32 v151, v37, 0
	v_cmp_ne_u32_e64 s16, 0, v37
	s_delay_alu instid0(VALU_DEP_2) | instskip(NEXT) | instid1(VALU_DEP_2)
	v_cmp_eq_u32_e32 vcc_lo, 0, v151
	s_and_b32 s17, s16, vcc_lo
	s_delay_alu instid0(SALU_CYCLE_1)
	s_and_saveexec_b32 s16, s17
	s_cbranch_execz .LBB1747_728
; %bb.727:                              ;   in Loop: Header=BB1747_688 Depth=2
	s_waitcnt lgkmcnt(0)
	v_bcnt_u32_b32 v37, v37, v150
	ds_store_b32 v152, v37
.LBB1747_728:                           ;   in Loop: Header=BB1747_688 Depth=2
	s_or_b32 exec_lo, exec_lo, s16
	v_cmp_gt_i16_e64 vcc_lo, 0, v149
	; wave barrier
	s_delay_alu instid0(VALU_DEP_1) | instskip(NEXT) | instid1(VALU_DEP_1)
	v_cndmask_b32_e64 v37, 0x7fff, 0, vcc_lo
	v_xor_b32_e32 v149, v37, v149
	s_delay_alu instid0(VALU_DEP_1) | instskip(SKIP_1) | instid1(VALU_DEP_1)
	v_cmp_ne_u16_e64 vcc_lo, 0x8000, v149
	v_cndmask_b32_e32 v37, 0x7fff, v149, vcc_lo
	v_and_b32_e32 v37, 0xffff, v37
	s_delay_alu instid0(VALU_DEP_1) | instskip(NEXT) | instid1(VALU_DEP_1)
	v_lshrrev_b32_e32 v37, s49, v37
	v_and_b32_e32 v37, s55, v37
	s_delay_alu instid0(VALU_DEP_1)
	v_and_b32_e32 v154, 1, v37
	v_lshlrev_b32_e32 v155, 30, v37
	v_lshlrev_b32_e32 v156, 29, v37
	;; [unrolled: 1-line block ×4, first 2 shown]
	v_add_co_u32 v154, s16, v154, -1
	s_delay_alu instid0(VALU_DEP_1)
	v_cndmask_b32_e64 v159, 0, 1, s16
	v_not_b32_e32 v164, v155
	v_cmp_gt_i32_e64 s16, 0, v155
	v_not_b32_e32 v155, v156
	v_lshlrev_b32_e32 v162, 26, v37
	v_cmp_ne_u32_e32 vcc_lo, 0, v159
	v_ashrrev_i32_e32 v164, 31, v164
	v_lshlrev_b32_e32 v163, 25, v37
	v_ashrrev_i32_e32 v155, 31, v155
	v_lshlrev_b32_e32 v159, 24, v37
	v_xor_b32_e32 v154, vcc_lo, v154
	v_cmp_gt_i32_e32 vcc_lo, 0, v156
	v_not_b32_e32 v156, v158
	v_xor_b32_e32 v164, s16, v164
	v_cmp_gt_i32_e64 s16, 0, v158
	v_and_b32_e32 v154, exec_lo, v154
	v_not_b32_e32 v158, v160
	v_ashrrev_i32_e32 v156, 31, v156
	v_xor_b32_e32 v155, vcc_lo, v155
	v_cmp_gt_i32_e32 vcc_lo, 0, v160
	v_and_b32_e32 v154, v154, v164
	v_not_b32_e32 v160, v162
	v_ashrrev_i32_e32 v158, 31, v158
	v_xor_b32_e32 v156, s16, v156
	v_cmp_gt_i32_e64 s16, 0, v162
	v_and_b32_e32 v154, v154, v155
	v_not_b32_e32 v155, v163
	v_ashrrev_i32_e32 v160, 31, v160
	v_xor_b32_e32 v158, vcc_lo, v158
	v_cmp_gt_i32_e32 vcc_lo, 0, v163
	v_and_b32_e32 v154, v154, v156
	v_not_b32_e32 v156, v159
	v_ashrrev_i32_e32 v155, 31, v155
	v_xor_b32_e32 v160, s16, v160
	v_mul_u32_u24_e32 v37, 9, v37
	v_and_b32_e32 v154, v154, v158
	v_cmp_gt_i32_e64 s16, 0, v159
	v_ashrrev_i32_e32 v156, 31, v156
	v_xor_b32_e32 v155, vcc_lo, v155
	v_add_lshl_u32 v158, v37, v126, 2
	v_and_b32_e32 v154, v154, v160
	s_delay_alu instid0(VALU_DEP_4) | instskip(NEXT) | instid1(VALU_DEP_3)
	v_xor_b32_e32 v37, s16, v156
	v_add_nc_u32_e32 v156, 0x420, v158
	s_delay_alu instid0(VALU_DEP_3) | instskip(SKIP_2) | instid1(VALU_DEP_1)
	v_and_b32_e32 v155, v154, v155
	ds_load_b32 v154, v158 offset:1056
	; wave barrier
	v_and_b32_e32 v37, v155, v37
	v_mbcnt_lo_u32_b32 v155, v37, 0
	v_cmp_ne_u32_e64 s16, 0, v37
	s_delay_alu instid0(VALU_DEP_2) | instskip(NEXT) | instid1(VALU_DEP_2)
	v_cmp_eq_u32_e32 vcc_lo, 0, v155
	s_and_b32 s17, s16, vcc_lo
	s_delay_alu instid0(SALU_CYCLE_1)
	s_and_saveexec_b32 s16, s17
	s_cbranch_execz .LBB1747_730
; %bb.729:                              ;   in Loop: Header=BB1747_688 Depth=2
	s_waitcnt lgkmcnt(0)
	v_bcnt_u32_b32 v37, v37, v154
	ds_store_b32 v156, v37
.LBB1747_730:                           ;   in Loop: Header=BB1747_688 Depth=2
	s_or_b32 exec_lo, exec_lo, s16
	v_cmp_gt_i16_e64 vcc_lo, 0, v153
	; wave barrier
	s_delay_alu instid0(VALU_DEP_1) | instskip(NEXT) | instid1(VALU_DEP_1)
	v_cndmask_b32_e64 v37, 0x7fff, 0, vcc_lo
	v_xor_b32_e32 v153, v37, v153
	s_delay_alu instid0(VALU_DEP_1) | instskip(SKIP_1) | instid1(VALU_DEP_1)
	v_cmp_ne_u16_e64 vcc_lo, 0x8000, v153
	v_cndmask_b32_e32 v37, 0x7fff, v153, vcc_lo
	v_and_b32_e32 v37, 0xffff, v37
	s_delay_alu instid0(VALU_DEP_1) | instskip(NEXT) | instid1(VALU_DEP_1)
	v_lshrrev_b32_e32 v37, s49, v37
	v_and_b32_e32 v37, s55, v37
	s_delay_alu instid0(VALU_DEP_1)
	v_and_b32_e32 v158, 1, v37
	v_lshlrev_b32_e32 v159, 30, v37
	v_lshlrev_b32_e32 v160, 29, v37
	;; [unrolled: 1-line block ×4, first 2 shown]
	v_add_co_u32 v158, s16, v158, -1
	s_delay_alu instid0(VALU_DEP_1)
	v_cndmask_b32_e64 v163, 0, 1, s16
	v_not_b32_e32 v168, v159
	v_cmp_gt_i32_e64 s16, 0, v159
	v_not_b32_e32 v159, v160
	v_lshlrev_b32_e32 v166, 26, v37
	v_cmp_ne_u32_e32 vcc_lo, 0, v163
	v_ashrrev_i32_e32 v168, 31, v168
	v_lshlrev_b32_e32 v167, 25, v37
	v_ashrrev_i32_e32 v159, 31, v159
	v_lshlrev_b32_e32 v163, 24, v37
	v_xor_b32_e32 v158, vcc_lo, v158
	v_cmp_gt_i32_e32 vcc_lo, 0, v160
	v_not_b32_e32 v160, v162
	v_xor_b32_e32 v168, s16, v168
	v_cmp_gt_i32_e64 s16, 0, v162
	v_and_b32_e32 v158, exec_lo, v158
	v_not_b32_e32 v162, v164
	v_ashrrev_i32_e32 v160, 31, v160
	v_xor_b32_e32 v159, vcc_lo, v159
	v_cmp_gt_i32_e32 vcc_lo, 0, v164
	v_and_b32_e32 v158, v158, v168
	v_not_b32_e32 v164, v166
	v_ashrrev_i32_e32 v162, 31, v162
	v_xor_b32_e32 v160, s16, v160
	v_cmp_gt_i32_e64 s16, 0, v166
	v_and_b32_e32 v158, v158, v159
	v_not_b32_e32 v159, v167
	v_ashrrev_i32_e32 v164, 31, v164
	v_xor_b32_e32 v162, vcc_lo, v162
	v_cmp_gt_i32_e32 vcc_lo, 0, v167
	v_and_b32_e32 v158, v158, v160
	v_not_b32_e32 v160, v163
	v_ashrrev_i32_e32 v159, 31, v159
	v_xor_b32_e32 v164, s16, v164
	v_mul_u32_u24_e32 v37, 9, v37
	v_and_b32_e32 v158, v158, v162
	v_cmp_gt_i32_e64 s16, 0, v163
	v_ashrrev_i32_e32 v160, 31, v160
	v_xor_b32_e32 v159, vcc_lo, v159
	v_add_lshl_u32 v162, v37, v126, 2
	v_and_b32_e32 v158, v158, v164
	s_delay_alu instid0(VALU_DEP_4) | instskip(NEXT) | instid1(VALU_DEP_3)
	v_xor_b32_e32 v37, s16, v160
	v_add_nc_u32_e32 v160, 0x420, v162
	s_delay_alu instid0(VALU_DEP_3) | instskip(SKIP_2) | instid1(VALU_DEP_1)
	v_and_b32_e32 v159, v158, v159
	ds_load_b32 v158, v162 offset:1056
	; wave barrier
	v_and_b32_e32 v37, v159, v37
	v_mbcnt_lo_u32_b32 v159, v37, 0
	v_cmp_ne_u32_e64 s16, 0, v37
	s_delay_alu instid0(VALU_DEP_2) | instskip(NEXT) | instid1(VALU_DEP_2)
	v_cmp_eq_u32_e32 vcc_lo, 0, v159
	s_and_b32 s17, s16, vcc_lo
	s_delay_alu instid0(SALU_CYCLE_1)
	s_and_saveexec_b32 s16, s17
	s_cbranch_execz .LBB1747_732
; %bb.731:                              ;   in Loop: Header=BB1747_688 Depth=2
	s_waitcnt lgkmcnt(0)
	v_bcnt_u32_b32 v37, v37, v158
	ds_store_b32 v160, v37
.LBB1747_732:                           ;   in Loop: Header=BB1747_688 Depth=2
	s_or_b32 exec_lo, exec_lo, s16
	v_cmp_gt_i16_e64 vcc_lo, 0, v157
	; wave barrier
	s_delay_alu instid0(VALU_DEP_1) | instskip(NEXT) | instid1(VALU_DEP_1)
	v_cndmask_b32_e64 v37, 0x7fff, 0, vcc_lo
	v_xor_b32_e32 v157, v37, v157
	s_delay_alu instid0(VALU_DEP_1) | instskip(SKIP_1) | instid1(VALU_DEP_1)
	v_cmp_ne_u16_e64 vcc_lo, 0x8000, v157
	v_cndmask_b32_e32 v37, 0x7fff, v157, vcc_lo
	v_and_b32_e32 v37, 0xffff, v37
	s_delay_alu instid0(VALU_DEP_1) | instskip(NEXT) | instid1(VALU_DEP_1)
	v_lshrrev_b32_e32 v37, s49, v37
	v_and_b32_e32 v37, s55, v37
	s_delay_alu instid0(VALU_DEP_1)
	v_and_b32_e32 v162, 1, v37
	v_lshlrev_b32_e32 v163, 30, v37
	v_lshlrev_b32_e32 v164, 29, v37
	;; [unrolled: 1-line block ×4, first 2 shown]
	v_add_co_u32 v162, s16, v162, -1
	s_delay_alu instid0(VALU_DEP_1)
	v_cndmask_b32_e64 v167, 0, 1, s16
	v_not_b32_e32 v173, v163
	v_cmp_gt_i32_e64 s16, 0, v163
	v_not_b32_e32 v163, v164
	v_lshlrev_b32_e32 v171, 26, v37
	v_cmp_ne_u32_e32 vcc_lo, 0, v167
	v_ashrrev_i32_e32 v173, 31, v173
	v_lshlrev_b32_e32 v172, 25, v37
	v_ashrrev_i32_e32 v163, 31, v163
	v_lshlrev_b32_e32 v167, 24, v37
	v_xor_b32_e32 v162, vcc_lo, v162
	v_cmp_gt_i32_e32 vcc_lo, 0, v164
	v_not_b32_e32 v164, v166
	v_xor_b32_e32 v173, s16, v173
	v_cmp_gt_i32_e64 s16, 0, v166
	v_and_b32_e32 v162, exec_lo, v162
	v_not_b32_e32 v166, v168
	v_ashrrev_i32_e32 v164, 31, v164
	v_xor_b32_e32 v163, vcc_lo, v163
	v_cmp_gt_i32_e32 vcc_lo, 0, v168
	v_and_b32_e32 v162, v162, v173
	v_not_b32_e32 v168, v171
	v_ashrrev_i32_e32 v166, 31, v166
	v_xor_b32_e32 v164, s16, v164
	v_cmp_gt_i32_e64 s16, 0, v171
	v_and_b32_e32 v162, v162, v163
	v_not_b32_e32 v163, v172
	v_ashrrev_i32_e32 v168, 31, v168
	v_xor_b32_e32 v166, vcc_lo, v166
	v_cmp_gt_i32_e32 vcc_lo, 0, v172
	v_and_b32_e32 v162, v162, v164
	v_not_b32_e32 v164, v167
	v_ashrrev_i32_e32 v163, 31, v163
	v_xor_b32_e32 v168, s16, v168
	v_mul_u32_u24_e32 v37, 9, v37
	v_and_b32_e32 v162, v162, v166
	v_cmp_gt_i32_e64 s16, 0, v167
	v_ashrrev_i32_e32 v164, 31, v164
	v_xor_b32_e32 v163, vcc_lo, v163
	v_add_lshl_u32 v166, v37, v126, 2
	v_and_b32_e32 v162, v162, v168
	s_delay_alu instid0(VALU_DEP_4) | instskip(NEXT) | instid1(VALU_DEP_3)
	v_xor_b32_e32 v37, s16, v164
	v_add_nc_u32_e32 v164, 0x420, v166
	s_delay_alu instid0(VALU_DEP_3) | instskip(SKIP_2) | instid1(VALU_DEP_1)
	v_and_b32_e32 v163, v162, v163
	ds_load_b32 v162, v166 offset:1056
	; wave barrier
	v_and_b32_e32 v37, v163, v37
	v_mbcnt_lo_u32_b32 v163, v37, 0
	v_cmp_ne_u32_e64 s16, 0, v37
	s_delay_alu instid0(VALU_DEP_2) | instskip(NEXT) | instid1(VALU_DEP_2)
	v_cmp_eq_u32_e32 vcc_lo, 0, v163
	s_and_b32 s17, s16, vcc_lo
	s_delay_alu instid0(SALU_CYCLE_1)
	s_and_saveexec_b32 s16, s17
	s_cbranch_execz .LBB1747_734
; %bb.733:                              ;   in Loop: Header=BB1747_688 Depth=2
	s_waitcnt lgkmcnt(0)
	v_bcnt_u32_b32 v37, v37, v162
	ds_store_b32 v164, v37
.LBB1747_734:                           ;   in Loop: Header=BB1747_688 Depth=2
	s_or_b32 exec_lo, exec_lo, s16
	v_cmp_gt_i16_e64 vcc_lo, 0, v161
	; wave barrier
	s_delay_alu instid0(VALU_DEP_1) | instskip(NEXT) | instid1(VALU_DEP_1)
	v_cndmask_b32_e64 v37, 0x7fff, 0, vcc_lo
	v_xor_b32_e32 v161, v37, v161
	s_delay_alu instid0(VALU_DEP_1) | instskip(SKIP_1) | instid1(VALU_DEP_1)
	v_cmp_ne_u16_e64 vcc_lo, 0x8000, v161
	v_cndmask_b32_e32 v37, 0x7fff, v161, vcc_lo
	v_and_b32_e32 v37, 0xffff, v37
	s_delay_alu instid0(VALU_DEP_1) | instskip(NEXT) | instid1(VALU_DEP_1)
	v_lshrrev_b32_e32 v37, s49, v37
	v_and_b32_e32 v37, s55, v37
	s_delay_alu instid0(VALU_DEP_1)
	v_and_b32_e32 v166, 1, v37
	v_lshlrev_b32_e32 v167, 30, v37
	v_lshlrev_b32_e32 v168, 29, v37
	;; [unrolled: 1-line block ×4, first 2 shown]
	v_add_co_u32 v166, s16, v166, -1
	s_delay_alu instid0(VALU_DEP_1)
	v_cndmask_b32_e64 v172, 0, 1, s16
	v_not_b32_e32 v176, v167
	v_cmp_gt_i32_e64 s16, 0, v167
	v_not_b32_e32 v167, v168
	v_lshlrev_b32_e32 v174, 26, v37
	v_cmp_ne_u32_e32 vcc_lo, 0, v172
	v_ashrrev_i32_e32 v176, 31, v176
	v_lshlrev_b32_e32 v175, 25, v37
	v_ashrrev_i32_e32 v167, 31, v167
	v_lshlrev_b32_e32 v172, 24, v37
	v_xor_b32_e32 v166, vcc_lo, v166
	v_cmp_gt_i32_e32 vcc_lo, 0, v168
	v_not_b32_e32 v168, v171
	v_xor_b32_e32 v176, s16, v176
	v_cmp_gt_i32_e64 s16, 0, v171
	v_and_b32_e32 v166, exec_lo, v166
	v_not_b32_e32 v171, v173
	v_ashrrev_i32_e32 v168, 31, v168
	v_xor_b32_e32 v167, vcc_lo, v167
	v_cmp_gt_i32_e32 vcc_lo, 0, v173
	v_and_b32_e32 v166, v166, v176
	v_not_b32_e32 v173, v174
	v_ashrrev_i32_e32 v171, 31, v171
	v_xor_b32_e32 v168, s16, v168
	v_cmp_gt_i32_e64 s16, 0, v174
	v_and_b32_e32 v166, v166, v167
	v_not_b32_e32 v167, v175
	v_ashrrev_i32_e32 v173, 31, v173
	v_xor_b32_e32 v171, vcc_lo, v171
	v_cmp_gt_i32_e32 vcc_lo, 0, v175
	v_and_b32_e32 v166, v166, v168
	v_not_b32_e32 v168, v172
	v_ashrrev_i32_e32 v167, 31, v167
	v_xor_b32_e32 v173, s16, v173
	v_mul_u32_u24_e32 v37, 9, v37
	v_and_b32_e32 v166, v166, v171
	v_cmp_gt_i32_e64 s16, 0, v172
	v_ashrrev_i32_e32 v168, 31, v168
	v_xor_b32_e32 v167, vcc_lo, v167
	v_add_lshl_u32 v171, v37, v126, 2
	v_and_b32_e32 v166, v166, v173
	s_delay_alu instid0(VALU_DEP_4) | instskip(NEXT) | instid1(VALU_DEP_3)
	v_xor_b32_e32 v37, s16, v168
	v_add_nc_u32_e32 v168, 0x420, v171
	s_delay_alu instid0(VALU_DEP_3) | instskip(SKIP_2) | instid1(VALU_DEP_1)
	v_and_b32_e32 v167, v166, v167
	ds_load_b32 v166, v171 offset:1056
	; wave barrier
	v_and_b32_e32 v37, v167, v37
	v_mbcnt_lo_u32_b32 v167, v37, 0
	v_cmp_ne_u32_e64 s16, 0, v37
	s_delay_alu instid0(VALU_DEP_2) | instskip(NEXT) | instid1(VALU_DEP_2)
	v_cmp_eq_u32_e32 vcc_lo, 0, v167
	s_and_b32 s17, s16, vcc_lo
	s_delay_alu instid0(SALU_CYCLE_1)
	s_and_saveexec_b32 s16, s17
	s_cbranch_execz .LBB1747_736
; %bb.735:                              ;   in Loop: Header=BB1747_688 Depth=2
	s_waitcnt lgkmcnt(0)
	v_bcnt_u32_b32 v37, v37, v166
	ds_store_b32 v168, v37
.LBB1747_736:                           ;   in Loop: Header=BB1747_688 Depth=2
	s_or_b32 exec_lo, exec_lo, s16
	v_cmp_gt_i16_e64 vcc_lo, 0, v165
	; wave barrier
	s_delay_alu instid0(VALU_DEP_1) | instskip(NEXT) | instid1(VALU_DEP_1)
	v_cndmask_b32_e64 v37, 0x7fff, 0, vcc_lo
	v_xor_b32_e32 v165, v37, v165
	s_delay_alu instid0(VALU_DEP_1) | instskip(SKIP_1) | instid1(VALU_DEP_1)
	v_cmp_ne_u16_e64 vcc_lo, 0x8000, v165
	v_cndmask_b32_e32 v37, 0x7fff, v165, vcc_lo
	v_and_b32_e32 v37, 0xffff, v37
	s_delay_alu instid0(VALU_DEP_1) | instskip(NEXT) | instid1(VALU_DEP_1)
	v_lshrrev_b32_e32 v37, s49, v37
	v_and_b32_e32 v37, s55, v37
	s_delay_alu instid0(VALU_DEP_1)
	v_and_b32_e32 v171, 1, v37
	v_lshlrev_b32_e32 v172, 30, v37
	v_lshlrev_b32_e32 v173, 29, v37
	;; [unrolled: 1-line block ×4, first 2 shown]
	v_add_co_u32 v171, s16, v171, -1
	s_delay_alu instid0(VALU_DEP_1)
	v_cndmask_b32_e64 v175, 0, 1, s16
	v_not_b32_e32 v179, v172
	v_cmp_gt_i32_e64 s16, 0, v172
	v_not_b32_e32 v172, v173
	v_lshlrev_b32_e32 v177, 26, v37
	v_cmp_ne_u32_e32 vcc_lo, 0, v175
	v_ashrrev_i32_e32 v179, 31, v179
	v_lshlrev_b32_e32 v178, 25, v37
	v_ashrrev_i32_e32 v172, 31, v172
	v_lshlrev_b32_e32 v175, 24, v37
	v_xor_b32_e32 v171, vcc_lo, v171
	v_cmp_gt_i32_e32 vcc_lo, 0, v173
	v_not_b32_e32 v173, v174
	v_xor_b32_e32 v179, s16, v179
	v_cmp_gt_i32_e64 s16, 0, v174
	v_and_b32_e32 v171, exec_lo, v171
	v_not_b32_e32 v174, v176
	v_ashrrev_i32_e32 v173, 31, v173
	v_xor_b32_e32 v172, vcc_lo, v172
	v_cmp_gt_i32_e32 vcc_lo, 0, v176
	v_and_b32_e32 v171, v171, v179
	v_not_b32_e32 v176, v177
	v_ashrrev_i32_e32 v174, 31, v174
	v_xor_b32_e32 v173, s16, v173
	v_cmp_gt_i32_e64 s16, 0, v177
	v_and_b32_e32 v171, v171, v172
	v_not_b32_e32 v172, v178
	v_ashrrev_i32_e32 v176, 31, v176
	v_xor_b32_e32 v174, vcc_lo, v174
	v_cmp_gt_i32_e32 vcc_lo, 0, v178
	v_and_b32_e32 v171, v171, v173
	v_not_b32_e32 v173, v175
	v_ashrrev_i32_e32 v172, 31, v172
	v_xor_b32_e32 v176, s16, v176
	v_mul_u32_u24_e32 v37, 9, v37
	v_and_b32_e32 v171, v171, v174
	v_cmp_gt_i32_e64 s16, 0, v175
	v_ashrrev_i32_e32 v173, 31, v173
	v_xor_b32_e32 v172, vcc_lo, v172
	v_add_lshl_u32 v174, v37, v126, 2
	v_and_b32_e32 v171, v171, v176
	s_delay_alu instid0(VALU_DEP_4) | instskip(NEXT) | instid1(VALU_DEP_3)
	v_xor_b32_e32 v37, s16, v173
	v_add_nc_u32_e32 v173, 0x420, v174
	s_delay_alu instid0(VALU_DEP_3) | instskip(SKIP_2) | instid1(VALU_DEP_1)
	v_and_b32_e32 v172, v171, v172
	ds_load_b32 v171, v174 offset:1056
	; wave barrier
	v_and_b32_e32 v37, v172, v37
	v_mbcnt_lo_u32_b32 v172, v37, 0
	v_cmp_ne_u32_e64 s16, 0, v37
	s_delay_alu instid0(VALU_DEP_2) | instskip(NEXT) | instid1(VALU_DEP_2)
	v_cmp_eq_u32_e32 vcc_lo, 0, v172
	s_and_b32 s17, s16, vcc_lo
	s_delay_alu instid0(SALU_CYCLE_1)
	s_and_saveexec_b32 s16, s17
	s_cbranch_execz .LBB1747_738
; %bb.737:                              ;   in Loop: Header=BB1747_688 Depth=2
	s_waitcnt lgkmcnt(0)
	v_bcnt_u32_b32 v37, v37, v171
	ds_store_b32 v173, v37
.LBB1747_738:                           ;   in Loop: Header=BB1747_688 Depth=2
	s_or_b32 exec_lo, exec_lo, s16
	v_cmp_gt_i16_e64 vcc_lo, 0, v170
	; wave barrier
	s_delay_alu instid0(VALU_DEP_1) | instskip(NEXT) | instid1(VALU_DEP_1)
	v_cndmask_b32_e64 v37, 0x7fff, 0, vcc_lo
	v_xor_b32_e32 v170, v37, v170
	s_delay_alu instid0(VALU_DEP_1) | instskip(SKIP_1) | instid1(VALU_DEP_1)
	v_cmp_ne_u16_e64 vcc_lo, 0x8000, v170
	v_cndmask_b32_e32 v37, 0x7fff, v170, vcc_lo
	v_and_b32_e32 v37, 0xffff, v37
	s_delay_alu instid0(VALU_DEP_1) | instskip(NEXT) | instid1(VALU_DEP_1)
	v_lshrrev_b32_e32 v37, s49, v37
	v_and_b32_e32 v37, s55, v37
	s_delay_alu instid0(VALU_DEP_1)
	v_and_b32_e32 v174, 1, v37
	v_lshlrev_b32_e32 v175, 30, v37
	v_lshlrev_b32_e32 v176, 29, v37
	;; [unrolled: 1-line block ×4, first 2 shown]
	v_add_co_u32 v174, s16, v174, -1
	s_delay_alu instid0(VALU_DEP_1)
	v_cndmask_b32_e64 v178, 0, 1, s16
	v_not_b32_e32 v182, v175
	v_cmp_gt_i32_e64 s16, 0, v175
	v_not_b32_e32 v175, v176
	v_lshlrev_b32_e32 v180, 26, v37
	v_cmp_ne_u32_e32 vcc_lo, 0, v178
	v_ashrrev_i32_e32 v182, 31, v182
	v_lshlrev_b32_e32 v181, 25, v37
	v_ashrrev_i32_e32 v175, 31, v175
	v_lshlrev_b32_e32 v178, 24, v37
	v_xor_b32_e32 v174, vcc_lo, v174
	v_cmp_gt_i32_e32 vcc_lo, 0, v176
	v_not_b32_e32 v176, v177
	v_xor_b32_e32 v182, s16, v182
	v_cmp_gt_i32_e64 s16, 0, v177
	v_and_b32_e32 v174, exec_lo, v174
	v_not_b32_e32 v177, v179
	v_ashrrev_i32_e32 v176, 31, v176
	v_xor_b32_e32 v175, vcc_lo, v175
	v_cmp_gt_i32_e32 vcc_lo, 0, v179
	v_and_b32_e32 v174, v174, v182
	v_not_b32_e32 v179, v180
	v_ashrrev_i32_e32 v177, 31, v177
	v_xor_b32_e32 v176, s16, v176
	v_cmp_gt_i32_e64 s16, 0, v180
	v_and_b32_e32 v174, v174, v175
	v_not_b32_e32 v175, v181
	v_ashrrev_i32_e32 v179, 31, v179
	v_xor_b32_e32 v177, vcc_lo, v177
	v_cmp_gt_i32_e32 vcc_lo, 0, v181
	v_and_b32_e32 v174, v174, v176
	v_not_b32_e32 v176, v178
	v_ashrrev_i32_e32 v175, 31, v175
	v_xor_b32_e32 v179, s16, v179
	v_mul_u32_u24_e32 v37, 9, v37
	v_and_b32_e32 v174, v174, v177
	v_cmp_gt_i32_e64 s16, 0, v178
	v_ashrrev_i32_e32 v176, 31, v176
	v_xor_b32_e32 v175, vcc_lo, v175
	v_add_lshl_u32 v177, v37, v126, 2
	v_and_b32_e32 v174, v174, v179
	s_delay_alu instid0(VALU_DEP_4) | instskip(NEXT) | instid1(VALU_DEP_3)
	v_xor_b32_e32 v37, s16, v176
	v_add_nc_u32_e32 v176, 0x420, v177
	s_delay_alu instid0(VALU_DEP_3) | instskip(SKIP_2) | instid1(VALU_DEP_1)
	v_and_b32_e32 v175, v174, v175
	ds_load_b32 v174, v177 offset:1056
	; wave barrier
	v_and_b32_e32 v37, v175, v37
	v_mbcnt_lo_u32_b32 v175, v37, 0
	v_cmp_ne_u32_e64 s16, 0, v37
	s_delay_alu instid0(VALU_DEP_2) | instskip(NEXT) | instid1(VALU_DEP_2)
	v_cmp_eq_u32_e32 vcc_lo, 0, v175
	s_and_b32 s17, s16, vcc_lo
	s_delay_alu instid0(SALU_CYCLE_1)
	s_and_saveexec_b32 s16, s17
	s_cbranch_execz .LBB1747_740
; %bb.739:                              ;   in Loop: Header=BB1747_688 Depth=2
	s_waitcnt lgkmcnt(0)
	v_bcnt_u32_b32 v37, v37, v174
	ds_store_b32 v176, v37
.LBB1747_740:                           ;   in Loop: Header=BB1747_688 Depth=2
	s_or_b32 exec_lo, exec_lo, s16
	v_cmp_gt_i16_e64 vcc_lo, 0, v169
	; wave barrier
	s_delay_alu instid0(VALU_DEP_1) | instskip(NEXT) | instid1(VALU_DEP_1)
	v_cndmask_b32_e64 v37, 0x7fff, 0, vcc_lo
	v_xor_b32_e32 v169, v37, v169
	s_delay_alu instid0(VALU_DEP_1) | instskip(SKIP_1) | instid1(VALU_DEP_1)
	v_cmp_ne_u16_e64 vcc_lo, 0x8000, v169
	v_cndmask_b32_e32 v37, 0x7fff, v169, vcc_lo
	v_and_b32_e32 v37, 0xffff, v37
	s_delay_alu instid0(VALU_DEP_1) | instskip(NEXT) | instid1(VALU_DEP_1)
	v_lshrrev_b32_e32 v37, s49, v37
	v_and_b32_e32 v37, s55, v37
	s_delay_alu instid0(VALU_DEP_1)
	v_and_b32_e32 v177, 1, v37
	v_lshlrev_b32_e32 v178, 30, v37
	v_lshlrev_b32_e32 v179, 29, v37
	;; [unrolled: 1-line block ×4, first 2 shown]
	v_add_co_u32 v177, s16, v177, -1
	s_delay_alu instid0(VALU_DEP_1)
	v_cndmask_b32_e64 v181, 0, 1, s16
	v_not_b32_e32 v185, v178
	v_cmp_gt_i32_e64 s16, 0, v178
	v_not_b32_e32 v178, v179
	v_lshlrev_b32_e32 v183, 26, v37
	v_cmp_ne_u32_e32 vcc_lo, 0, v181
	v_ashrrev_i32_e32 v185, 31, v185
	v_lshlrev_b32_e32 v184, 25, v37
	v_ashrrev_i32_e32 v178, 31, v178
	v_lshlrev_b32_e32 v181, 24, v37
	v_xor_b32_e32 v177, vcc_lo, v177
	v_cmp_gt_i32_e32 vcc_lo, 0, v179
	v_not_b32_e32 v179, v180
	v_xor_b32_e32 v185, s16, v185
	v_cmp_gt_i32_e64 s16, 0, v180
	v_and_b32_e32 v177, exec_lo, v177
	v_not_b32_e32 v180, v182
	v_ashrrev_i32_e32 v179, 31, v179
	v_xor_b32_e32 v178, vcc_lo, v178
	v_cmp_gt_i32_e32 vcc_lo, 0, v182
	v_and_b32_e32 v177, v177, v185
	v_not_b32_e32 v182, v183
	v_ashrrev_i32_e32 v180, 31, v180
	v_xor_b32_e32 v179, s16, v179
	v_cmp_gt_i32_e64 s16, 0, v183
	v_and_b32_e32 v177, v177, v178
	v_not_b32_e32 v178, v184
	v_ashrrev_i32_e32 v182, 31, v182
	v_xor_b32_e32 v180, vcc_lo, v180
	v_cmp_gt_i32_e32 vcc_lo, 0, v184
	v_and_b32_e32 v177, v177, v179
	v_not_b32_e32 v179, v181
	v_ashrrev_i32_e32 v178, 31, v178
	v_xor_b32_e32 v182, s16, v182
	v_mul_u32_u24_e32 v37, 9, v37
	v_and_b32_e32 v177, v177, v180
	v_cmp_gt_i32_e64 s16, 0, v181
	v_ashrrev_i32_e32 v179, 31, v179
	v_xor_b32_e32 v178, vcc_lo, v178
	v_add_lshl_u32 v180, v37, v126, 2
	v_and_b32_e32 v177, v177, v182
	s_delay_alu instid0(VALU_DEP_4) | instskip(NEXT) | instid1(VALU_DEP_2)
	v_xor_b32_e32 v37, s16, v179
	v_and_b32_e32 v177, v177, v178
	ds_load_b32 v178, v180 offset:1056
	v_add_nc_u32_e32 v180, 0x420, v180
	; wave barrier
	v_and_b32_e32 v37, v177, v37
	s_delay_alu instid0(VALU_DEP_1) | instskip(SKIP_1) | instid1(VALU_DEP_2)
	v_mbcnt_lo_u32_b32 v179, v37, 0
	v_cmp_ne_u32_e64 s16, 0, v37
	v_cmp_eq_u32_e32 vcc_lo, 0, v179
	s_delay_alu instid0(VALU_DEP_2) | instskip(NEXT) | instid1(SALU_CYCLE_1)
	s_and_b32 s17, s16, vcc_lo
	s_and_saveexec_b32 s16, s17
	s_cbranch_execz .LBB1747_742
; %bb.741:                              ;   in Loop: Header=BB1747_688 Depth=2
	s_waitcnt lgkmcnt(0)
	v_bcnt_u32_b32 v37, v37, v178
	ds_store_b32 v180, v37
.LBB1747_742:                           ;   in Loop: Header=BB1747_688 Depth=2
	s_or_b32 exec_lo, exec_lo, s16
	v_cmp_gt_i16_e32 vcc_lo, 0, v43
	; wave barrier
	v_cndmask_b32_e64 v37, 0x7fff, 0, vcc_lo
	s_delay_alu instid0(VALU_DEP_1) | instskip(NEXT) | instid1(VALU_DEP_1)
	v_xor_b32_e32 v177, v37, v43
	v_cmp_ne_u16_e64 vcc_lo, 0x8000, v177
	v_cndmask_b32_e32 v37, 0x7fff, v177, vcc_lo
	s_delay_alu instid0(VALU_DEP_1) | instskip(NEXT) | instid1(VALU_DEP_1)
	v_and_b32_e32 v37, 0xffff, v37
	v_lshrrev_b32_e32 v37, s49, v37
	s_delay_alu instid0(VALU_DEP_1) | instskip(NEXT) | instid1(VALU_DEP_1)
	v_and_b32_e32 v37, s55, v37
	v_and_b32_e32 v43, 1, v37
	v_lshlrev_b32_e32 v181, 30, v37
	v_lshlrev_b32_e32 v182, 29, v37
	;; [unrolled: 1-line block ×4, first 2 shown]
	v_add_co_u32 v43, s16, v43, -1
	s_delay_alu instid0(VALU_DEP_1)
	v_cndmask_b32_e64 v184, 0, 1, s16
	v_not_b32_e32 v188, v181
	v_cmp_gt_i32_e64 s16, 0, v181
	v_not_b32_e32 v181, v182
	v_lshlrev_b32_e32 v186, 26, v37
	v_cmp_ne_u32_e32 vcc_lo, 0, v184
	v_ashrrev_i32_e32 v188, 31, v188
	v_lshlrev_b32_e32 v187, 25, v37
	v_ashrrev_i32_e32 v181, 31, v181
	v_lshlrev_b32_e32 v184, 24, v37
	v_xor_b32_e32 v43, vcc_lo, v43
	v_cmp_gt_i32_e32 vcc_lo, 0, v182
	v_not_b32_e32 v182, v183
	v_xor_b32_e32 v188, s16, v188
	v_cmp_gt_i32_e64 s16, 0, v183
	v_and_b32_e32 v43, exec_lo, v43
	v_not_b32_e32 v183, v185
	v_ashrrev_i32_e32 v182, 31, v182
	v_xor_b32_e32 v181, vcc_lo, v181
	v_cmp_gt_i32_e32 vcc_lo, 0, v185
	v_and_b32_e32 v43, v43, v188
	v_not_b32_e32 v185, v186
	v_ashrrev_i32_e32 v183, 31, v183
	v_xor_b32_e32 v182, s16, v182
	v_cmp_gt_i32_e64 s16, 0, v186
	v_and_b32_e32 v43, v43, v181
	v_not_b32_e32 v181, v187
	v_ashrrev_i32_e32 v185, 31, v185
	v_xor_b32_e32 v183, vcc_lo, v183
	v_cmp_gt_i32_e32 vcc_lo, 0, v187
	v_and_b32_e32 v43, v43, v182
	v_not_b32_e32 v182, v184
	v_ashrrev_i32_e32 v181, 31, v181
	v_xor_b32_e32 v185, s16, v185
	v_mul_u32_u24_e32 v37, 9, v37
	v_and_b32_e32 v43, v43, v183
	v_cmp_gt_i32_e64 s16, 0, v184
	v_ashrrev_i32_e32 v182, 31, v182
	v_xor_b32_e32 v181, vcc_lo, v181
	v_add_lshl_u32 v184, v37, v126, 2
	v_and_b32_e32 v43, v43, v185
	s_delay_alu instid0(VALU_DEP_4) | instskip(SKIP_3) | instid1(VALU_DEP_2)
	v_xor_b32_e32 v37, s16, v182
	ds_load_b32 v182, v184 offset:1056
	v_and_b32_e32 v43, v43, v181
	v_add_nc_u32_e32 v184, 0x420, v184
	; wave barrier
	v_and_b32_e32 v37, v43, v37
	s_delay_alu instid0(VALU_DEP_1) | instskip(SKIP_1) | instid1(VALU_DEP_2)
	v_mbcnt_lo_u32_b32 v183, v37, 0
	v_cmp_ne_u32_e64 s16, 0, v37
	v_cmp_eq_u32_e32 vcc_lo, 0, v183
	s_delay_alu instid0(VALU_DEP_2) | instskip(NEXT) | instid1(SALU_CYCLE_1)
	s_and_b32 s17, s16, vcc_lo
	s_and_saveexec_b32 s16, s17
	s_cbranch_execz .LBB1747_744
; %bb.743:                              ;   in Loop: Header=BB1747_688 Depth=2
	s_waitcnt lgkmcnt(0)
	v_bcnt_u32_b32 v37, v37, v182
	ds_store_b32 v184, v37
.LBB1747_744:                           ;   in Loop: Header=BB1747_688 Depth=2
	s_or_b32 exec_lo, exec_lo, s16
	v_cmp_gt_i16_e32 vcc_lo, 0, v42
	; wave barrier
	v_cndmask_b32_e64 v37, 0x7fff, 0, vcc_lo
	s_delay_alu instid0(VALU_DEP_1) | instskip(NEXT) | instid1(VALU_DEP_1)
	v_xor_b32_e32 v181, v37, v42
	v_cmp_ne_u16_e64 vcc_lo, 0x8000, v181
	v_cndmask_b32_e32 v37, 0x7fff, v181, vcc_lo
	s_delay_alu instid0(VALU_DEP_1) | instskip(NEXT) | instid1(VALU_DEP_1)
	v_and_b32_e32 v37, 0xffff, v37
	v_lshrrev_b32_e32 v37, s49, v37
	s_delay_alu instid0(VALU_DEP_1) | instskip(NEXT) | instid1(VALU_DEP_1)
	v_and_b32_e32 v37, s55, v37
	v_and_b32_e32 v42, 1, v37
	v_lshlrev_b32_e32 v43, 30, v37
	v_lshlrev_b32_e32 v185, 29, v37
	;; [unrolled: 1-line block ×4, first 2 shown]
	v_add_co_u32 v42, s16, v42, -1
	s_delay_alu instid0(VALU_DEP_1)
	v_cndmask_b32_e64 v187, 0, 1, s16
	v_not_b32_e32 v191, v43
	v_cmp_gt_i32_e64 s16, 0, v43
	v_not_b32_e32 v43, v185
	v_lshlrev_b32_e32 v189, 26, v37
	v_cmp_ne_u32_e32 vcc_lo, 0, v187
	v_ashrrev_i32_e32 v191, 31, v191
	v_lshlrev_b32_e32 v190, 25, v37
	v_ashrrev_i32_e32 v43, 31, v43
	v_lshlrev_b32_e32 v187, 24, v37
	v_xor_b32_e32 v42, vcc_lo, v42
	v_cmp_gt_i32_e32 vcc_lo, 0, v185
	v_not_b32_e32 v185, v186
	v_xor_b32_e32 v191, s16, v191
	v_cmp_gt_i32_e64 s16, 0, v186
	v_and_b32_e32 v42, exec_lo, v42
	v_not_b32_e32 v186, v188
	v_ashrrev_i32_e32 v185, 31, v185
	v_xor_b32_e32 v43, vcc_lo, v43
	v_cmp_gt_i32_e32 vcc_lo, 0, v188
	v_and_b32_e32 v42, v42, v191
	v_not_b32_e32 v188, v189
	v_ashrrev_i32_e32 v186, 31, v186
	v_xor_b32_e32 v185, s16, v185
	v_cmp_gt_i32_e64 s16, 0, v189
	v_and_b32_e32 v42, v42, v43
	v_not_b32_e32 v43, v190
	v_ashrrev_i32_e32 v188, 31, v188
	v_xor_b32_e32 v186, vcc_lo, v186
	v_cmp_gt_i32_e32 vcc_lo, 0, v190
	v_and_b32_e32 v42, v42, v185
	v_not_b32_e32 v185, v187
	v_ashrrev_i32_e32 v43, 31, v43
	v_xor_b32_e32 v188, s16, v188
	v_mul_u32_u24_e32 v37, 9, v37
	v_and_b32_e32 v42, v42, v186
	v_cmp_gt_i32_e64 s16, 0, v187
	v_ashrrev_i32_e32 v185, 31, v185
	v_xor_b32_e32 v43, vcc_lo, v43
	s_delay_alu instid0(VALU_DEP_4) | instskip(SKIP_1) | instid1(VALU_DEP_4)
	v_and_b32_e32 v42, v42, v188
	v_add_lshl_u32 v188, v37, v126, 2
	v_xor_b32_e32 v37, s16, v185
	s_delay_alu instid0(VALU_DEP_3) | instskip(SKIP_3) | instid1(VALU_DEP_1)
	v_and_b32_e32 v42, v42, v43
	ds_load_b32 v186, v188 offset:1056
	v_add_nc_u32_e32 v188, 0x420, v188
	; wave barrier
	v_and_b32_e32 v37, v42, v37
	v_mbcnt_lo_u32_b32 v187, v37, 0
	v_cmp_ne_u32_e64 s16, 0, v37
	s_delay_alu instid0(VALU_DEP_2) | instskip(NEXT) | instid1(VALU_DEP_2)
	v_cmp_eq_u32_e32 vcc_lo, 0, v187
	s_and_b32 s17, s16, vcc_lo
	s_delay_alu instid0(SALU_CYCLE_1)
	s_and_saveexec_b32 s16, s17
	s_cbranch_execz .LBB1747_746
; %bb.745:                              ;   in Loop: Header=BB1747_688 Depth=2
	s_waitcnt lgkmcnt(0)
	v_bcnt_u32_b32 v37, v37, v186
	ds_store_b32 v188, v37
.LBB1747_746:                           ;   in Loop: Header=BB1747_688 Depth=2
	s_or_b32 exec_lo, exec_lo, s16
	v_cmp_gt_i16_e32 vcc_lo, 0, v41
	; wave barrier
	v_cndmask_b32_e64 v37, 0x7fff, 0, vcc_lo
	s_delay_alu instid0(VALU_DEP_1) | instskip(NEXT) | instid1(VALU_DEP_1)
	v_xor_b32_e32 v185, v37, v41
	v_cmp_ne_u16_e64 vcc_lo, 0x8000, v185
	v_cndmask_b32_e32 v37, 0x7fff, v185, vcc_lo
	s_delay_alu instid0(VALU_DEP_1) | instskip(NEXT) | instid1(VALU_DEP_1)
	v_and_b32_e32 v37, 0xffff, v37
	v_lshrrev_b32_e32 v37, s49, v37
	s_delay_alu instid0(VALU_DEP_1) | instskip(NEXT) | instid1(VALU_DEP_1)
	v_and_b32_e32 v37, s55, v37
	v_and_b32_e32 v41, 1, v37
	v_lshlrev_b32_e32 v42, 30, v37
	v_lshlrev_b32_e32 v43, 29, v37
	;; [unrolled: 1-line block ×4, first 2 shown]
	v_add_co_u32 v41, s16, v41, -1
	s_delay_alu instid0(VALU_DEP_1)
	v_cndmask_b32_e64 v190, 0, 1, s16
	v_not_b32_e32 v194, v42
	v_cmp_gt_i32_e64 s16, 0, v42
	v_not_b32_e32 v42, v43
	v_lshlrev_b32_e32 v192, 26, v37
	v_cmp_ne_u32_e32 vcc_lo, 0, v190
	v_ashrrev_i32_e32 v194, 31, v194
	v_lshlrev_b32_e32 v193, 25, v37
	v_ashrrev_i32_e32 v42, 31, v42
	v_lshlrev_b32_e32 v190, 24, v37
	v_xor_b32_e32 v41, vcc_lo, v41
	v_cmp_gt_i32_e32 vcc_lo, 0, v43
	v_not_b32_e32 v43, v189
	v_xor_b32_e32 v194, s16, v194
	v_cmp_gt_i32_e64 s16, 0, v189
	v_and_b32_e32 v41, exec_lo, v41
	v_not_b32_e32 v189, v191
	v_ashrrev_i32_e32 v43, 31, v43
	v_xor_b32_e32 v42, vcc_lo, v42
	v_cmp_gt_i32_e32 vcc_lo, 0, v191
	v_and_b32_e32 v41, v41, v194
	v_not_b32_e32 v191, v192
	v_ashrrev_i32_e32 v189, 31, v189
	v_xor_b32_e32 v43, s16, v43
	v_cmp_gt_i32_e64 s16, 0, v192
	v_and_b32_e32 v41, v41, v42
	v_not_b32_e32 v42, v193
	v_ashrrev_i32_e32 v191, 31, v191
	v_xor_b32_e32 v189, vcc_lo, v189
	v_cmp_gt_i32_e32 vcc_lo, 0, v193
	v_and_b32_e32 v41, v41, v43
	v_not_b32_e32 v43, v190
	v_ashrrev_i32_e32 v42, 31, v42
	v_xor_b32_e32 v191, s16, v191
	v_mul_u32_u24_e32 v37, 9, v37
	v_and_b32_e32 v41, v41, v189
	v_cmp_gt_i32_e64 s16, 0, v190
	v_ashrrev_i32_e32 v43, 31, v43
	v_xor_b32_e32 v42, vcc_lo, v42
	v_add_lshl_u32 v189, v37, v126, 2
	v_and_b32_e32 v41, v41, v191
	s_delay_alu instid0(VALU_DEP_4) | instskip(SKIP_3) | instid1(VALU_DEP_2)
	v_xor_b32_e32 v37, s16, v43
	ds_load_b32 v190, v189 offset:1056
	v_and_b32_e32 v41, v41, v42
	v_add_nc_u32_e32 v192, 0x420, v189
	; wave barrier
	v_and_b32_e32 v37, v41, v37
	s_delay_alu instid0(VALU_DEP_1) | instskip(SKIP_1) | instid1(VALU_DEP_2)
	v_mbcnt_lo_u32_b32 v191, v37, 0
	v_cmp_ne_u32_e64 s16, 0, v37
	v_cmp_eq_u32_e32 vcc_lo, 0, v191
	s_delay_alu instid0(VALU_DEP_2) | instskip(NEXT) | instid1(SALU_CYCLE_1)
	s_and_b32 s17, s16, vcc_lo
	s_and_saveexec_b32 s16, s17
	s_cbranch_execz .LBB1747_748
; %bb.747:                              ;   in Loop: Header=BB1747_688 Depth=2
	s_waitcnt lgkmcnt(0)
	v_bcnt_u32_b32 v37, v37, v190
	ds_store_b32 v192, v37
.LBB1747_748:                           ;   in Loop: Header=BB1747_688 Depth=2
	s_or_b32 exec_lo, exec_lo, s16
	v_cmp_gt_i16_e32 vcc_lo, 0, v40
	; wave barrier
	v_cndmask_b32_e64 v37, 0x7fff, 0, vcc_lo
	s_delay_alu instid0(VALU_DEP_1) | instskip(NEXT) | instid1(VALU_DEP_1)
	v_xor_b32_e32 v189, v37, v40
	v_cmp_ne_u16_e64 vcc_lo, 0x8000, v189
	v_cndmask_b32_e32 v37, 0x7fff, v189, vcc_lo
	s_delay_alu instid0(VALU_DEP_1) | instskip(NEXT) | instid1(VALU_DEP_1)
	v_and_b32_e32 v37, 0xffff, v37
	v_lshrrev_b32_e32 v37, s49, v37
	s_delay_alu instid0(VALU_DEP_1) | instskip(NEXT) | instid1(VALU_DEP_1)
	v_and_b32_e32 v37, s55, v37
	v_and_b32_e32 v40, 1, v37
	v_lshlrev_b32_e32 v41, 30, v37
	v_lshlrev_b32_e32 v42, 29, v37
	;; [unrolled: 1-line block ×4, first 2 shown]
	v_add_co_u32 v40, s16, v40, -1
	s_delay_alu instid0(VALU_DEP_1)
	v_cndmask_b32_e64 v193, 0, 1, s16
	v_not_b32_e32 v197, v41
	v_cmp_gt_i32_e64 s16, 0, v41
	v_not_b32_e32 v41, v42
	v_lshlrev_b32_e32 v195, 26, v37
	v_cmp_ne_u32_e32 vcc_lo, 0, v193
	v_ashrrev_i32_e32 v197, 31, v197
	v_lshlrev_b32_e32 v196, 25, v37
	v_ashrrev_i32_e32 v41, 31, v41
	v_lshlrev_b32_e32 v193, 24, v37
	v_xor_b32_e32 v40, vcc_lo, v40
	v_cmp_gt_i32_e32 vcc_lo, 0, v42
	v_not_b32_e32 v42, v43
	v_xor_b32_e32 v197, s16, v197
	v_cmp_gt_i32_e64 s16, 0, v43
	v_and_b32_e32 v40, exec_lo, v40
	v_not_b32_e32 v43, v194
	v_ashrrev_i32_e32 v42, 31, v42
	v_xor_b32_e32 v41, vcc_lo, v41
	v_cmp_gt_i32_e32 vcc_lo, 0, v194
	v_and_b32_e32 v40, v40, v197
	v_not_b32_e32 v194, v195
	v_ashrrev_i32_e32 v43, 31, v43
	v_xor_b32_e32 v42, s16, v42
	v_cmp_gt_i32_e64 s16, 0, v195
	v_and_b32_e32 v40, v40, v41
	v_not_b32_e32 v41, v196
	v_ashrrev_i32_e32 v194, 31, v194
	v_xor_b32_e32 v43, vcc_lo, v43
	v_cmp_gt_i32_e32 vcc_lo, 0, v196
	v_and_b32_e32 v40, v40, v42
	v_not_b32_e32 v42, v193
	v_ashrrev_i32_e32 v41, 31, v41
	v_xor_b32_e32 v194, s16, v194
	v_mul_u32_u24_e32 v37, 9, v37
	v_and_b32_e32 v40, v40, v43
	v_cmp_gt_i32_e64 s16, 0, v193
	v_ashrrev_i32_e32 v42, 31, v42
	v_xor_b32_e32 v41, vcc_lo, v41
	v_add_lshl_u32 v43, v37, v126, 2
	v_and_b32_e32 v40, v40, v194
	s_delay_alu instid0(VALU_DEP_4) | instskip(SKIP_3) | instid1(VALU_DEP_2)
	v_xor_b32_e32 v37, s16, v42
	ds_load_b32 v194, v43 offset:1056
	v_and_b32_e32 v40, v40, v41
	v_add_nc_u32_e32 v196, 0x420, v43
	; wave barrier
	v_and_b32_e32 v37, v40, v37
	s_delay_alu instid0(VALU_DEP_1) | instskip(SKIP_1) | instid1(VALU_DEP_2)
	v_mbcnt_lo_u32_b32 v195, v37, 0
	v_cmp_ne_u32_e64 s16, 0, v37
	v_cmp_eq_u32_e32 vcc_lo, 0, v195
	s_delay_alu instid0(VALU_DEP_2) | instskip(NEXT) | instid1(SALU_CYCLE_1)
	s_and_b32 s17, s16, vcc_lo
	s_and_saveexec_b32 s16, s17
	s_cbranch_execz .LBB1747_750
; %bb.749:                              ;   in Loop: Header=BB1747_688 Depth=2
	s_waitcnt lgkmcnt(0)
	v_bcnt_u32_b32 v37, v37, v194
	ds_store_b32 v196, v37
.LBB1747_750:                           ;   in Loop: Header=BB1747_688 Depth=2
	s_or_b32 exec_lo, exec_lo, s16
	v_cmp_gt_i16_e32 vcc_lo, 0, v39
	; wave barrier
	v_cndmask_b32_e64 v37, 0x7fff, 0, vcc_lo
	s_delay_alu instid0(VALU_DEP_1) | instskip(NEXT) | instid1(VALU_DEP_1)
	v_xor_b32_e32 v193, v37, v39
	v_cmp_ne_u16_e64 vcc_lo, 0x8000, v193
	v_cndmask_b32_e32 v37, 0x7fff, v193, vcc_lo
	s_delay_alu instid0(VALU_DEP_1) | instskip(NEXT) | instid1(VALU_DEP_1)
	v_and_b32_e32 v37, 0xffff, v37
	v_lshrrev_b32_e32 v37, s49, v37
	s_delay_alu instid0(VALU_DEP_1) | instskip(NEXT) | instid1(VALU_DEP_1)
	v_and_b32_e32 v37, s55, v37
	v_and_b32_e32 v39, 1, v37
	v_lshlrev_b32_e32 v40, 30, v37
	v_lshlrev_b32_e32 v41, 29, v37
	;; [unrolled: 1-line block ×4, first 2 shown]
	v_add_co_u32 v39, s16, v39, -1
	s_delay_alu instid0(VALU_DEP_1)
	v_cndmask_b32_e64 v43, 0, 1, s16
	v_not_b32_e32 v200, v40
	v_cmp_gt_i32_e64 s16, 0, v40
	v_not_b32_e32 v40, v41
	v_lshlrev_b32_e32 v198, 26, v37
	v_cmp_ne_u32_e32 vcc_lo, 0, v43
	v_ashrrev_i32_e32 v200, 31, v200
	v_lshlrev_b32_e32 v199, 25, v37
	v_ashrrev_i32_e32 v40, 31, v40
	v_lshlrev_b32_e32 v43, 24, v37
	v_xor_b32_e32 v39, vcc_lo, v39
	v_cmp_gt_i32_e32 vcc_lo, 0, v41
	v_not_b32_e32 v41, v42
	v_xor_b32_e32 v200, s16, v200
	v_cmp_gt_i32_e64 s16, 0, v42
	v_and_b32_e32 v39, exec_lo, v39
	v_not_b32_e32 v42, v197
	v_ashrrev_i32_e32 v41, 31, v41
	v_xor_b32_e32 v40, vcc_lo, v40
	v_cmp_gt_i32_e32 vcc_lo, 0, v197
	v_and_b32_e32 v39, v39, v200
	v_not_b32_e32 v197, v198
	v_ashrrev_i32_e32 v42, 31, v42
	v_xor_b32_e32 v41, s16, v41
	v_cmp_gt_i32_e64 s16, 0, v198
	v_and_b32_e32 v39, v39, v40
	v_not_b32_e32 v40, v199
	v_ashrrev_i32_e32 v197, 31, v197
	v_xor_b32_e32 v42, vcc_lo, v42
	v_cmp_gt_i32_e32 vcc_lo, 0, v199
	v_and_b32_e32 v39, v39, v41
	v_not_b32_e32 v41, v43
	v_ashrrev_i32_e32 v40, 31, v40
	v_xor_b32_e32 v197, s16, v197
	v_mul_u32_u24_e32 v37, 9, v37
	v_and_b32_e32 v39, v39, v42
	v_cmp_gt_i32_e64 s16, 0, v43
	v_ashrrev_i32_e32 v41, 31, v41
	v_xor_b32_e32 v40, vcc_lo, v40
	v_add_lshl_u32 v42, v37, v126, 2
	v_and_b32_e32 v39, v39, v197
	s_delay_alu instid0(VALU_DEP_4) | instskip(SKIP_3) | instid1(VALU_DEP_2)
	v_xor_b32_e32 v37, s16, v41
	ds_load_b32 v198, v42 offset:1056
	v_and_b32_e32 v39, v39, v40
	v_add_nc_u32_e32 v200, 0x420, v42
	; wave barrier
	v_and_b32_e32 v37, v39, v37
	s_delay_alu instid0(VALU_DEP_1) | instskip(SKIP_1) | instid1(VALU_DEP_2)
	v_mbcnt_lo_u32_b32 v199, v37, 0
	v_cmp_ne_u32_e64 s16, 0, v37
	v_cmp_eq_u32_e32 vcc_lo, 0, v199
	s_delay_alu instid0(VALU_DEP_2) | instskip(NEXT) | instid1(SALU_CYCLE_1)
	s_and_b32 s17, s16, vcc_lo
	s_and_saveexec_b32 s16, s17
	s_cbranch_execz .LBB1747_752
; %bb.751:                              ;   in Loop: Header=BB1747_688 Depth=2
	s_waitcnt lgkmcnt(0)
	v_bcnt_u32_b32 v37, v37, v198
	ds_store_b32 v200, v37
.LBB1747_752:                           ;   in Loop: Header=BB1747_688 Depth=2
	s_or_b32 exec_lo, exec_lo, s16
	v_cmp_gt_i16_e32 vcc_lo, 0, v38
	; wave barrier
	v_cndmask_b32_e64 v37, 0x7fff, 0, vcc_lo
	s_delay_alu instid0(VALU_DEP_1) | instskip(NEXT) | instid1(VALU_DEP_1)
	v_xor_b32_e32 v197, v37, v38
	v_cmp_ne_u16_e64 vcc_lo, 0x8000, v197
	v_cndmask_b32_e32 v37, 0x7fff, v197, vcc_lo
	s_delay_alu instid0(VALU_DEP_1) | instskip(NEXT) | instid1(VALU_DEP_1)
	v_and_b32_e32 v37, 0xffff, v37
	v_lshrrev_b32_e32 v37, s49, v37
	s_delay_alu instid0(VALU_DEP_1) | instskip(NEXT) | instid1(VALU_DEP_1)
	v_and_b32_e32 v37, s55, v37
	v_and_b32_e32 v38, 1, v37
	v_lshlrev_b32_e32 v39, 30, v37
	v_lshlrev_b32_e32 v40, 29, v37
	;; [unrolled: 1-line block ×4, first 2 shown]
	v_add_co_u32 v38, s16, v38, -1
	s_delay_alu instid0(VALU_DEP_1)
	v_cndmask_b32_e64 v42, 0, 1, s16
	v_not_b32_e32 v203, v39
	v_cmp_gt_i32_e64 s16, 0, v39
	v_not_b32_e32 v39, v40
	v_lshlrev_b32_e32 v201, 26, v37
	v_cmp_ne_u32_e32 vcc_lo, 0, v42
	v_ashrrev_i32_e32 v203, 31, v203
	v_lshlrev_b32_e32 v202, 25, v37
	v_ashrrev_i32_e32 v39, 31, v39
	v_lshlrev_b32_e32 v42, 24, v37
	v_xor_b32_e32 v38, vcc_lo, v38
	v_cmp_gt_i32_e32 vcc_lo, 0, v40
	v_not_b32_e32 v40, v41
	v_xor_b32_e32 v203, s16, v203
	v_cmp_gt_i32_e64 s16, 0, v41
	v_and_b32_e32 v38, exec_lo, v38
	v_not_b32_e32 v41, v43
	v_ashrrev_i32_e32 v40, 31, v40
	v_xor_b32_e32 v39, vcc_lo, v39
	v_cmp_gt_i32_e32 vcc_lo, 0, v43
	v_and_b32_e32 v38, v38, v203
	v_not_b32_e32 v43, v201
	v_ashrrev_i32_e32 v41, 31, v41
	v_xor_b32_e32 v40, s16, v40
	v_cmp_gt_i32_e64 s16, 0, v201
	v_and_b32_e32 v38, v38, v39
	v_not_b32_e32 v39, v202
	v_ashrrev_i32_e32 v43, 31, v43
	v_xor_b32_e32 v41, vcc_lo, v41
	v_cmp_gt_i32_e32 vcc_lo, 0, v202
	v_and_b32_e32 v38, v38, v40
	v_not_b32_e32 v40, v42
	v_ashrrev_i32_e32 v39, 31, v39
	v_xor_b32_e32 v43, s16, v43
	v_mul_u32_u24_e32 v37, 9, v37
	v_and_b32_e32 v38, v38, v41
	v_cmp_gt_i32_e64 s16, 0, v42
	v_ashrrev_i32_e32 v40, 31, v40
	v_xor_b32_e32 v39, vcc_lo, v39
	v_add_lshl_u32 v41, v37, v126, 2
	v_and_b32_e32 v38, v38, v43
	s_delay_alu instid0(VALU_DEP_4) | instskip(SKIP_3) | instid1(VALU_DEP_2)
	v_xor_b32_e32 v37, s16, v40
	ds_load_b32 v202, v41 offset:1056
	v_and_b32_e32 v38, v38, v39
	v_add_nc_u32_e32 v204, 0x420, v41
	; wave barrier
	v_and_b32_e32 v37, v38, v37
	s_delay_alu instid0(VALU_DEP_1) | instskip(SKIP_1) | instid1(VALU_DEP_2)
	v_mbcnt_lo_u32_b32 v203, v37, 0
	v_cmp_ne_u32_e64 s16, 0, v37
	v_cmp_eq_u32_e32 vcc_lo, 0, v203
	s_delay_alu instid0(VALU_DEP_2) | instskip(NEXT) | instid1(SALU_CYCLE_1)
	s_and_b32 s17, s16, vcc_lo
	s_and_saveexec_b32 s16, s17
	s_cbranch_execz .LBB1747_754
; %bb.753:                              ;   in Loop: Header=BB1747_688 Depth=2
	s_waitcnt lgkmcnt(0)
	v_bcnt_u32_b32 v37, v37, v202
	ds_store_b32 v204, v37
.LBB1747_754:                           ;   in Loop: Header=BB1747_688 Depth=2
	s_or_b32 exec_lo, exec_lo, s16
	v_cmp_gt_i16_e32 vcc_lo, 0, v36
	; wave barrier
	v_cndmask_b32_e64 v37, 0x7fff, 0, vcc_lo
	s_delay_alu instid0(VALU_DEP_1) | instskip(NEXT) | instid1(VALU_DEP_1)
	v_xor_b32_e32 v201, v37, v36
	v_cmp_ne_u16_e64 vcc_lo, 0x8000, v201
	v_cndmask_b32_e32 v36, 0x7fff, v201, vcc_lo
	s_delay_alu instid0(VALU_DEP_1) | instskip(NEXT) | instid1(VALU_DEP_1)
	v_and_b32_e32 v36, 0xffff, v36
	v_lshrrev_b32_e32 v36, s49, v36
	s_delay_alu instid0(VALU_DEP_1) | instskip(NEXT) | instid1(VALU_DEP_1)
	v_and_b32_e32 v36, s55, v36
	v_and_b32_e32 v37, 1, v36
	v_lshlrev_b32_e32 v38, 30, v36
	v_lshlrev_b32_e32 v39, 29, v36
	;; [unrolled: 1-line block ×4, first 2 shown]
	v_add_co_u32 v37, s16, v37, -1
	s_delay_alu instid0(VALU_DEP_1)
	v_cndmask_b32_e64 v41, 0, 1, s16
	v_not_b32_e32 v206, v38
	v_cmp_gt_i32_e64 s16, 0, v38
	v_not_b32_e32 v38, v39
	v_lshlrev_b32_e32 v43, 26, v36
	v_cmp_ne_u32_e32 vcc_lo, 0, v41
	v_ashrrev_i32_e32 v206, 31, v206
	v_lshlrev_b32_e32 v205, 25, v36
	v_ashrrev_i32_e32 v38, 31, v38
	v_lshlrev_b32_e32 v41, 24, v36
	v_xor_b32_e32 v37, vcc_lo, v37
	v_cmp_gt_i32_e32 vcc_lo, 0, v39
	v_not_b32_e32 v39, v40
	v_xor_b32_e32 v206, s16, v206
	v_cmp_gt_i32_e64 s16, 0, v40
	v_and_b32_e32 v37, exec_lo, v37
	v_not_b32_e32 v40, v42
	v_ashrrev_i32_e32 v39, 31, v39
	v_xor_b32_e32 v38, vcc_lo, v38
	v_cmp_gt_i32_e32 vcc_lo, 0, v42
	v_and_b32_e32 v37, v37, v206
	v_not_b32_e32 v42, v43
	v_ashrrev_i32_e32 v40, 31, v40
	v_xor_b32_e32 v39, s16, v39
	v_cmp_gt_i32_e64 s16, 0, v43
	v_and_b32_e32 v37, v37, v38
	v_not_b32_e32 v38, v205
	v_ashrrev_i32_e32 v42, 31, v42
	v_xor_b32_e32 v40, vcc_lo, v40
	v_cmp_gt_i32_e32 vcc_lo, 0, v205
	v_and_b32_e32 v37, v37, v39
	v_not_b32_e32 v39, v41
	v_ashrrev_i32_e32 v38, 31, v38
	v_xor_b32_e32 v42, s16, v42
	v_mul_u32_u24_e32 v36, 9, v36
	v_and_b32_e32 v37, v37, v40
	v_cmp_gt_i32_e64 s16, 0, v41
	v_ashrrev_i32_e32 v39, 31, v39
	v_xor_b32_e32 v38, vcc_lo, v38
	v_add_lshl_u32 v40, v36, v126, 2
	v_and_b32_e32 v37, v37, v42
	s_delay_alu instid0(VALU_DEP_4) | instskip(SKIP_3) | instid1(VALU_DEP_2)
	v_xor_b32_e32 v36, s16, v39
	ds_load_b32 v205, v40 offset:1056
	v_and_b32_e32 v37, v37, v38
	v_add_nc_u32_e32 v207, 0x420, v40
	; wave barrier
	v_and_b32_e32 v36, v37, v36
	s_delay_alu instid0(VALU_DEP_1) | instskip(SKIP_1) | instid1(VALU_DEP_2)
	v_mbcnt_lo_u32_b32 v206, v36, 0
	v_cmp_ne_u32_e64 s16, 0, v36
	v_cmp_eq_u32_e32 vcc_lo, 0, v206
	s_delay_alu instid0(VALU_DEP_2) | instskip(NEXT) | instid1(SALU_CYCLE_1)
	s_and_b32 s17, s16, vcc_lo
	s_and_saveexec_b32 s16, s17
	s_cbranch_execz .LBB1747_756
; %bb.755:                              ;   in Loop: Header=BB1747_688 Depth=2
	s_waitcnt lgkmcnt(0)
	v_bcnt_u32_b32 v36, v36, v205
	ds_store_b32 v207, v36
.LBB1747_756:                           ;   in Loop: Header=BB1747_688 Depth=2
	s_or_b32 exec_lo, exec_lo, s16
	; wave barrier
	s_waitcnt lgkmcnt(0)
	s_barrier
	buffer_gl0_inv
	ds_load_b32 v208, v69 offset:1056
	ds_load_2addr_b32 v[42:43], v71 offset0:1 offset1:2
	ds_load_2addr_b32 v[40:41], v71 offset0:3 offset1:4
	;; [unrolled: 1-line block ×4, first 2 shown]
	s_waitcnt lgkmcnt(3)
	v_add3_u32 v209, v42, v208, v43
	s_waitcnt lgkmcnt(2)
	s_delay_alu instid0(VALU_DEP_1) | instskip(SKIP_1) | instid1(VALU_DEP_1)
	v_add3_u32 v209, v209, v40, v41
	s_waitcnt lgkmcnt(1)
	v_add3_u32 v209, v209, v36, v37
	s_waitcnt lgkmcnt(0)
	s_delay_alu instid0(VALU_DEP_1) | instskip(NEXT) | instid1(VALU_DEP_1)
	v_add3_u32 v39, v209, v38, v39
	v_mov_b32_dpp v209, v39 row_shr:1 row_mask:0xf bank_mask:0xf
	s_delay_alu instid0(VALU_DEP_1) | instskip(NEXT) | instid1(VALU_DEP_1)
	v_cndmask_b32_e64 v209, v209, 0, s0
	v_add_nc_u32_e32 v39, v209, v39
	s_delay_alu instid0(VALU_DEP_1) | instskip(NEXT) | instid1(VALU_DEP_1)
	v_mov_b32_dpp v209, v39 row_shr:2 row_mask:0xf bank_mask:0xf
	v_cndmask_b32_e64 v209, 0, v209, s1
	s_delay_alu instid0(VALU_DEP_1) | instskip(NEXT) | instid1(VALU_DEP_1)
	v_add_nc_u32_e32 v39, v39, v209
	v_mov_b32_dpp v209, v39 row_shr:4 row_mask:0xf bank_mask:0xf
	s_delay_alu instid0(VALU_DEP_1) | instskip(NEXT) | instid1(VALU_DEP_1)
	v_cndmask_b32_e64 v209, 0, v209, s8
	v_add_nc_u32_e32 v39, v39, v209
	s_delay_alu instid0(VALU_DEP_1) | instskip(NEXT) | instid1(VALU_DEP_1)
	v_mov_b32_dpp v209, v39 row_shr:8 row_mask:0xf bank_mask:0xf
	v_cndmask_b32_e64 v209, 0, v209, s9
	s_delay_alu instid0(VALU_DEP_1) | instskip(SKIP_3) | instid1(VALU_DEP_1)
	v_add_nc_u32_e32 v39, v39, v209
	ds_swizzle_b32 v209, v39 offset:swizzle(BROADCAST,32,15)
	s_waitcnt lgkmcnt(0)
	v_cndmask_b32_e64 v209, v209, 0, s10
	v_add_nc_u32_e32 v39, v39, v209
	s_and_saveexec_b32 s16, s3
	s_cbranch_execz .LBB1747_758
; %bb.757:                              ;   in Loop: Header=BB1747_688 Depth=2
	ds_store_b32 v62, v39 offset:1024
.LBB1747_758:                           ;   in Loop: Header=BB1747_688 Depth=2
	s_or_b32 exec_lo, exec_lo, s16
	s_waitcnt lgkmcnt(0)
	s_barrier
	buffer_gl0_inv
	s_and_saveexec_b32 s16, s4
	s_cbranch_execz .LBB1747_760
; %bb.759:                              ;   in Loop: Header=BB1747_688 Depth=2
	ds_load_b32 v209, v72 offset:1024
	s_waitcnt lgkmcnt(0)
	v_mov_b32_dpp v210, v209 row_shr:1 row_mask:0xf bank_mask:0xf
	s_delay_alu instid0(VALU_DEP_1) | instskip(NEXT) | instid1(VALU_DEP_1)
	v_cndmask_b32_e64 v210, v210, 0, s12
	v_add_nc_u32_e32 v209, v210, v209
	s_delay_alu instid0(VALU_DEP_1) | instskip(NEXT) | instid1(VALU_DEP_1)
	v_mov_b32_dpp v210, v209 row_shr:2 row_mask:0xf bank_mask:0xf
	v_cndmask_b32_e64 v210, 0, v210, s13
	s_delay_alu instid0(VALU_DEP_1) | instskip(NEXT) | instid1(VALU_DEP_1)
	v_add_nc_u32_e32 v209, v209, v210
	v_mov_b32_dpp v210, v209 row_shr:4 row_mask:0xf bank_mask:0xf
	s_delay_alu instid0(VALU_DEP_1) | instskip(NEXT) | instid1(VALU_DEP_1)
	v_cndmask_b32_e64 v210, 0, v210, s14
	v_add_nc_u32_e32 v209, v209, v210
	ds_store_b32 v72, v209 offset:1024
.LBB1747_760:                           ;   in Loop: Header=BB1747_688 Depth=2
	s_or_b32 exec_lo, exec_lo, s16
	v_mov_b32_e32 v209, 0
	s_waitcnt lgkmcnt(0)
	s_barrier
	buffer_gl0_inv
	s_and_saveexec_b32 s16, s5
	s_cbranch_execz .LBB1747_762
; %bb.761:                              ;   in Loop: Header=BB1747_688 Depth=2
	ds_load_b32 v209, v62 offset:1020
.LBB1747_762:                           ;   in Loop: Header=BB1747_688 Depth=2
	s_or_b32 exec_lo, exec_lo, s16
	s_waitcnt lgkmcnt(0)
	v_add_nc_u32_e32 v39, v209, v39
	ds_bpermute_b32 v39, v105, v39
	s_waitcnt lgkmcnt(0)
	v_cndmask_b32_e64 v39, v39, v209, s11
	s_delay_alu instid0(VALU_DEP_1) | instskip(NEXT) | instid1(VALU_DEP_1)
	v_cndmask_b32_e64 v39, v39, 0, s6
	v_add_nc_u32_e32 v208, v39, v208
	s_delay_alu instid0(VALU_DEP_1) | instskip(NEXT) | instid1(VALU_DEP_1)
	v_add_nc_u32_e32 v42, v208, v42
	v_add_nc_u32_e32 v43, v42, v43
	s_delay_alu instid0(VALU_DEP_1) | instskip(NEXT) | instid1(VALU_DEP_1)
	v_add_nc_u32_e32 v40, v43, v40
	;; [unrolled: 3-line block ×3, first 2 shown]
	v_add_nc_u32_e32 v37, v36, v37
	s_delay_alu instid0(VALU_DEP_1)
	v_add_nc_u32_e32 v38, v37, v38
	ds_store_b32 v69, v39 offset:1056
	ds_store_2addr_b32 v71, v208, v42 offset0:1 offset1:2
	ds_store_2addr_b32 v71, v43, v40 offset0:3 offset1:4
	ds_store_2addr_b32 v71, v41, v36 offset0:5 offset1:6
	ds_store_2addr_b32 v71, v37, v38 offset0:7 offset1:8
	v_mov_b32_e32 v38, 0x1000
	s_waitcnt lgkmcnt(0)
	s_barrier
	buffer_gl0_inv
	ds_load_b32 v39, v152
	ds_load_b32 v40, v156
	;; [unrolled: 1-line block ×16, first 2 shown]
	ds_load_b32 v156, v69 offset:1056
	s_and_saveexec_b32 s16, s7
	s_cbranch_execz .LBB1747_764
; %bb.763:                              ;   in Loop: Header=BB1747_688 Depth=2
	ds_load_b32 v38, v73 offset:1056
.LBB1747_764:                           ;   in Loop: Header=BB1747_688 Depth=2
	s_or_b32 exec_lo, exec_lo, s16
	s_waitcnt lgkmcnt(0)
	s_barrier
	buffer_gl0_inv
	s_and_saveexec_b32 s16, s2
	s_cbranch_execz .LBB1747_766
; %bb.765:                              ;   in Loop: Header=BB1747_688 Depth=2
	ds_load_b32 v160, v44
	s_waitcnt lgkmcnt(0)
	v_sub_nc_u32_e32 v156, v160, v156
	ds_store_b32 v44, v156
.LBB1747_766:                           ;   in Loop: Header=BB1747_688 Depth=2
	s_or_b32 exec_lo, exec_lo, s16
	v_add_nc_u32_e32 v168, v148, v147
	v_add3_u32 v164, v151, v150, v39
	v_add3_u32 v160, v155, v154, v40
	v_add3_u32 v156, v159, v158, v42
	v_add3_u32 v155, v163, v162, v43
	v_add3_u32 v154, v167, v166, v152
	v_lshlrev_b32_e32 v158, 1, v168
	v_add3_u32 v43, v199, v198, v36
	v_lshlrev_b32_e32 v36, 1, v164
	v_add3_u32 v152, v172, v171, v173
	v_add3_u32 v151, v175, v174, v176
	ds_store_b16 v158, v2 offset:1024
	v_lshlrev_b32_e32 v2, 1, v160
	ds_store_b16 v36, v146 offset:1024
	v_lshlrev_b32_e32 v36, 1, v154
	v_add3_u32 v150, v179, v178, v180
	v_add3_u32 v42, v203, v202, v37
	v_lshlrev_b32_e32 v37, 1, v156
	v_add3_u32 v148, v183, v182, v184
	v_lshlrev_b32_e32 v158, 1, v155
	v_add3_u32 v147, v187, v186, v188
	v_add3_u32 v40, v191, v190, v192
	ds_store_b16 v2, v149 offset:1024
	ds_store_b16 v37, v153 offset:1024
	;; [unrolled: 1-line block ×3, first 2 shown]
	v_lshlrev_b32_e32 v2, 1, v152
	ds_store_b16 v36, v161 offset:1024
	v_lshlrev_b32_e32 v36, 1, v151
	v_lshlrev_b32_e32 v37, 1, v150
	;; [unrolled: 1-line block ×3, first 2 shown]
	v_add3_u32 v39, v195, v194, v196
	v_add3_u32 v41, v206, v205, v41
	ds_store_b16 v2, v165 offset:1024
	v_lshlrev_b32_e32 v2, 1, v147
	ds_store_b16 v36, v170 offset:1024
	ds_store_b16 v37, v169 offset:1024
	ds_store_b16 v146, v177 offset:1024
	v_lshlrev_b32_e32 v36, 1, v40
	v_cmp_lt_u32_e32 vcc_lo, v1, v145
	v_lshlrev_b32_e32 v37, 1, v43
	ds_store_b16 v2, v181 offset:1024
	v_lshlrev_b32_e32 v2, 1, v39
	ds_store_b16 v36, v185 offset:1024
	v_lshlrev_b32_e32 v36, 1, v41
	v_lshlrev_b32_e32 v146, 1, v42
	ds_store_b16 v2, v189 offset:1024
	ds_store_b16 v37, v193 offset:1024
	;; [unrolled: 1-line block ×4, first 2 shown]
	s_waitcnt lgkmcnt(0)
	s_barrier
	buffer_gl0_inv
	s_and_saveexec_b32 s17, vcc_lo
	s_cbranch_execz .LBB1747_782
; %bb.767:                              ;   in Loop: Header=BB1747_688 Depth=2
	v_add_nc_u32_e32 v2, v72, v78
	ds_load_u16 v146, v2 offset:1024
	s_waitcnt lgkmcnt(0)
	v_cmp_ne_u16_e64 s16, 0x8000, v146
	s_delay_alu instid0(VALU_DEP_1) | instskip(SKIP_1) | instid1(VALU_DEP_2)
	v_cndmask_b32_e64 v2, 0x7fff, v146, s16
	v_cmp_gt_i16_e64 s16, 0, v146
	v_and_b32_e32 v2, 0xffff, v2
	s_delay_alu instid0(VALU_DEP_2) | instskip(NEXT) | instid1(VALU_DEP_2)
	v_cndmask_b32_e64 v149, 0x7fff, 0, s16
	v_lshrrev_b32_e32 v2, s49, v2
	s_delay_alu instid0(VALU_DEP_1) | instskip(NEXT) | instid1(VALU_DEP_1)
	v_and_b32_e32 v2, s55, v2
	v_lshlrev_b32_e32 v2, 2, v2
	ds_load_b32 v2, v2
	s_waitcnt lgkmcnt(0)
	v_add_nc_u32_e32 v2, v2, v1
	s_delay_alu instid0(VALU_DEP_1) | instskip(SKIP_1) | instid1(VALU_DEP_2)
	v_lshlrev_b64 v[36:37], 1, v[2:3]
	v_xor_b32_e32 v2, v149, v146
	v_add_co_u32 v36, s16, s38, v36
	s_delay_alu instid0(VALU_DEP_1) | instskip(SKIP_3) | instid1(VALU_DEP_1)
	v_add_co_ci_u32_e64 v37, s16, s39, v37, s16
	global_store_b16 v[36:37], v2, off
	s_or_b32 exec_lo, exec_lo, s17
	v_cmp_lt_u32_e64 s16, v45, v145
	s_and_saveexec_b32 s18, s16
	s_cbranch_execnz .LBB1747_783
.LBB1747_768:                           ;   in Loop: Header=BB1747_688 Depth=2
	s_or_b32 exec_lo, exec_lo, s18
	v_cmp_lt_u32_e64 s17, v46, v145
	s_delay_alu instid0(VALU_DEP_1)
	s_and_saveexec_b32 s19, s17
	s_cbranch_execz .LBB1747_784
.LBB1747_769:                           ;   in Loop: Header=BB1747_688 Depth=2
	ds_load_u16 v146, v79 offset:1024
	s_waitcnt lgkmcnt(0)
	v_cmp_ne_u16_e64 s18, 0x8000, v146
	s_delay_alu instid0(VALU_DEP_1) | instskip(SKIP_1) | instid1(VALU_DEP_2)
	v_cndmask_b32_e64 v2, 0x7fff, v146, s18
	v_cmp_gt_i16_e64 s18, 0, v146
	v_and_b32_e32 v2, 0xffff, v2
	s_delay_alu instid0(VALU_DEP_2) | instskip(NEXT) | instid1(VALU_DEP_2)
	v_cndmask_b32_e64 v149, 0x7fff, 0, s18
	v_lshrrev_b32_e32 v2, s49, v2
	s_delay_alu instid0(VALU_DEP_1) | instskip(NEXT) | instid1(VALU_DEP_1)
	v_and_b32_e32 v2, s55, v2
	v_lshlrev_b32_e32 v2, 2, v2
	ds_load_b32 v2, v2
	s_waitcnt lgkmcnt(0)
	v_add_nc_u32_e32 v2, v2, v46
	s_delay_alu instid0(VALU_DEP_1) | instskip(SKIP_1) | instid1(VALU_DEP_2)
	v_lshlrev_b64 v[36:37], 1, v[2:3]
	v_xor_b32_e32 v2, v149, v146
	v_add_co_u32 v36, s18, s38, v36
	s_delay_alu instid0(VALU_DEP_1) | instskip(SKIP_3) | instid1(VALU_DEP_1)
	v_add_co_ci_u32_e64 v37, s18, s39, v37, s18
	global_store_b16 v[36:37], v2, off
	s_or_b32 exec_lo, exec_lo, s19
	v_cmp_lt_u32_e64 s18, v47, v145
	s_and_saveexec_b32 s20, s18
	s_cbranch_execnz .LBB1747_785
.LBB1747_770:                           ;   in Loop: Header=BB1747_688 Depth=2
	s_or_b32 exec_lo, exec_lo, s20
	v_cmp_lt_u32_e64 s19, v51, v145
	s_delay_alu instid0(VALU_DEP_1)
	s_and_saveexec_b32 s21, s19
	s_cbranch_execz .LBB1747_786
.LBB1747_771:                           ;   in Loop: Header=BB1747_688 Depth=2
	ds_load_u16 v146, v79 offset:2048
	s_waitcnt lgkmcnt(0)
	v_cmp_ne_u16_e64 s20, 0x8000, v146
	s_delay_alu instid0(VALU_DEP_1) | instskip(SKIP_1) | instid1(VALU_DEP_2)
	v_cndmask_b32_e64 v2, 0x7fff, v146, s20
	v_cmp_gt_i16_e64 s20, 0, v146
	v_and_b32_e32 v2, 0xffff, v2
	s_delay_alu instid0(VALU_DEP_2) | instskip(NEXT) | instid1(VALU_DEP_2)
	v_cndmask_b32_e64 v149, 0x7fff, 0, s20
	v_lshrrev_b32_e32 v2, s49, v2
	s_delay_alu instid0(VALU_DEP_1) | instskip(NEXT) | instid1(VALU_DEP_1)
	v_and_b32_e32 v2, s55, v2
	v_lshlrev_b32_e32 v2, 2, v2
	ds_load_b32 v2, v2
	s_waitcnt lgkmcnt(0)
	v_add_nc_u32_e32 v2, v2, v51
	s_delay_alu instid0(VALU_DEP_1) | instskip(SKIP_1) | instid1(VALU_DEP_2)
	v_lshlrev_b64 v[36:37], 1, v[2:3]
	v_xor_b32_e32 v2, v149, v146
	v_add_co_u32 v36, s20, s38, v36
	s_delay_alu instid0(VALU_DEP_1) | instskip(SKIP_3) | instid1(VALU_DEP_1)
	v_add_co_ci_u32_e64 v37, s20, s39, v37, s20
	global_store_b16 v[36:37], v2, off
	s_or_b32 exec_lo, exec_lo, s21
	v_cmp_lt_u32_e64 s20, v52, v145
	s_and_saveexec_b32 s22, s20
	s_cbranch_execnz .LBB1747_787
.LBB1747_772:                           ;   in Loop: Header=BB1747_688 Depth=2
	s_or_b32 exec_lo, exec_lo, s22
	v_cmp_lt_u32_e64 s21, v53, v145
	s_delay_alu instid0(VALU_DEP_1)
	s_and_saveexec_b32 s23, s21
	s_cbranch_execz .LBB1747_788
.LBB1747_773:                           ;   in Loop: Header=BB1747_688 Depth=2
	ds_load_u16 v146, v79 offset:3072
	s_waitcnt lgkmcnt(0)
	v_cmp_ne_u16_e64 s22, 0x8000, v146
	s_delay_alu instid0(VALU_DEP_1) | instskip(SKIP_1) | instid1(VALU_DEP_2)
	v_cndmask_b32_e64 v2, 0x7fff, v146, s22
	v_cmp_gt_i16_e64 s22, 0, v146
	v_and_b32_e32 v2, 0xffff, v2
	s_delay_alu instid0(VALU_DEP_2) | instskip(NEXT) | instid1(VALU_DEP_2)
	v_cndmask_b32_e64 v149, 0x7fff, 0, s22
	v_lshrrev_b32_e32 v2, s49, v2
	s_delay_alu instid0(VALU_DEP_1) | instskip(NEXT) | instid1(VALU_DEP_1)
	v_and_b32_e32 v2, s55, v2
	v_lshlrev_b32_e32 v2, 2, v2
	ds_load_b32 v2, v2
	s_waitcnt lgkmcnt(0)
	v_add_nc_u32_e32 v2, v2, v53
	s_delay_alu instid0(VALU_DEP_1) | instskip(SKIP_1) | instid1(VALU_DEP_2)
	v_lshlrev_b64 v[36:37], 1, v[2:3]
	v_xor_b32_e32 v2, v149, v146
	v_add_co_u32 v36, s22, s38, v36
	s_delay_alu instid0(VALU_DEP_1) | instskip(SKIP_3) | instid1(VALU_DEP_1)
	v_add_co_ci_u32_e64 v37, s22, s39, v37, s22
	global_store_b16 v[36:37], v2, off
	s_or_b32 exec_lo, exec_lo, s23
	v_cmp_lt_u32_e64 s22, v54, v145
	s_and_saveexec_b32 s24, s22
	s_cbranch_execnz .LBB1747_789
.LBB1747_774:                           ;   in Loop: Header=BB1747_688 Depth=2
	s_or_b32 exec_lo, exec_lo, s24
	v_cmp_lt_u32_e64 s23, v55, v145
	s_delay_alu instid0(VALU_DEP_1)
	s_and_saveexec_b32 s25, s23
	s_cbranch_execz .LBB1747_790
.LBB1747_775:                           ;   in Loop: Header=BB1747_688 Depth=2
	ds_load_u16 v146, v79 offset:4096
	s_waitcnt lgkmcnt(0)
	v_cmp_ne_u16_e64 s24, 0x8000, v146
	s_delay_alu instid0(VALU_DEP_1) | instskip(SKIP_1) | instid1(VALU_DEP_2)
	v_cndmask_b32_e64 v2, 0x7fff, v146, s24
	v_cmp_gt_i16_e64 s24, 0, v146
	v_and_b32_e32 v2, 0xffff, v2
	s_delay_alu instid0(VALU_DEP_2) | instskip(NEXT) | instid1(VALU_DEP_2)
	v_cndmask_b32_e64 v149, 0x7fff, 0, s24
	v_lshrrev_b32_e32 v2, s49, v2
	s_delay_alu instid0(VALU_DEP_1) | instskip(NEXT) | instid1(VALU_DEP_1)
	v_and_b32_e32 v2, s55, v2
	v_lshlrev_b32_e32 v2, 2, v2
	ds_load_b32 v2, v2
	s_waitcnt lgkmcnt(0)
	v_add_nc_u32_e32 v2, v2, v55
	s_delay_alu instid0(VALU_DEP_1) | instskip(SKIP_1) | instid1(VALU_DEP_2)
	v_lshlrev_b64 v[36:37], 1, v[2:3]
	v_xor_b32_e32 v2, v149, v146
	v_add_co_u32 v36, s24, s38, v36
	s_delay_alu instid0(VALU_DEP_1) | instskip(SKIP_3) | instid1(VALU_DEP_1)
	v_add_co_ci_u32_e64 v37, s24, s39, v37, s24
	global_store_b16 v[36:37], v2, off
	s_or_b32 exec_lo, exec_lo, s25
	v_cmp_lt_u32_e64 s24, v56, v145
	s_and_saveexec_b32 s27, s24
	s_cbranch_execnz .LBB1747_791
.LBB1747_776:                           ;   in Loop: Header=BB1747_688 Depth=2
	s_or_b32 exec_lo, exec_lo, s27
	v_cmp_lt_u32_e64 s25, v57, v145
	s_delay_alu instid0(VALU_DEP_1)
	s_and_saveexec_b32 s28, s25
	s_cbranch_execz .LBB1747_792
.LBB1747_777:                           ;   in Loop: Header=BB1747_688 Depth=2
	ds_load_u16 v146, v79 offset:5120
	s_waitcnt lgkmcnt(0)
	v_cmp_ne_u16_e64 s27, 0x8000, v146
	s_delay_alu instid0(VALU_DEP_1) | instskip(SKIP_1) | instid1(VALU_DEP_2)
	v_cndmask_b32_e64 v2, 0x7fff, v146, s27
	v_cmp_gt_i16_e64 s27, 0, v146
	v_and_b32_e32 v2, 0xffff, v2
	s_delay_alu instid0(VALU_DEP_2) | instskip(NEXT) | instid1(VALU_DEP_2)
	v_cndmask_b32_e64 v149, 0x7fff, 0, s27
	v_lshrrev_b32_e32 v2, s49, v2
	s_delay_alu instid0(VALU_DEP_1) | instskip(NEXT) | instid1(VALU_DEP_1)
	v_and_b32_e32 v2, s55, v2
	v_lshlrev_b32_e32 v2, 2, v2
	ds_load_b32 v2, v2
	s_waitcnt lgkmcnt(0)
	v_add_nc_u32_e32 v2, v2, v57
	s_delay_alu instid0(VALU_DEP_1) | instskip(SKIP_1) | instid1(VALU_DEP_2)
	v_lshlrev_b64 v[36:37], 1, v[2:3]
	v_xor_b32_e32 v2, v149, v146
	v_add_co_u32 v36, s27, s38, v36
	s_delay_alu instid0(VALU_DEP_1) | instskip(SKIP_3) | instid1(VALU_DEP_1)
	v_add_co_ci_u32_e64 v37, s27, s39, v37, s27
	global_store_b16 v[36:37], v2, off
	s_or_b32 exec_lo, exec_lo, s28
	v_cmp_lt_u32_e64 s27, v58, v145
	s_and_saveexec_b32 s29, s27
	s_cbranch_execnz .LBB1747_793
.LBB1747_778:                           ;   in Loop: Header=BB1747_688 Depth=2
	s_or_b32 exec_lo, exec_lo, s29
	v_cmp_lt_u32_e64 s28, v59, v145
	s_delay_alu instid0(VALU_DEP_1)
	s_and_saveexec_b32 s30, s28
	s_cbranch_execz .LBB1747_794
.LBB1747_779:                           ;   in Loop: Header=BB1747_688 Depth=2
	ds_load_u16 v146, v79 offset:6144
	s_waitcnt lgkmcnt(0)
	v_cmp_ne_u16_e64 s29, 0x8000, v146
	s_delay_alu instid0(VALU_DEP_1) | instskip(SKIP_1) | instid1(VALU_DEP_2)
	v_cndmask_b32_e64 v2, 0x7fff, v146, s29
	v_cmp_gt_i16_e64 s29, 0, v146
	v_and_b32_e32 v2, 0xffff, v2
	s_delay_alu instid0(VALU_DEP_2) | instskip(NEXT) | instid1(VALU_DEP_2)
	v_cndmask_b32_e64 v149, 0x7fff, 0, s29
	v_lshrrev_b32_e32 v2, s49, v2
	s_delay_alu instid0(VALU_DEP_1) | instskip(NEXT) | instid1(VALU_DEP_1)
	v_and_b32_e32 v2, s55, v2
	v_lshlrev_b32_e32 v2, 2, v2
	ds_load_b32 v2, v2
	s_waitcnt lgkmcnt(0)
	v_add_nc_u32_e32 v2, v2, v59
	s_delay_alu instid0(VALU_DEP_1) | instskip(SKIP_1) | instid1(VALU_DEP_2)
	v_lshlrev_b64 v[36:37], 1, v[2:3]
	v_xor_b32_e32 v2, v149, v146
	v_add_co_u32 v36, s29, s38, v36
	s_delay_alu instid0(VALU_DEP_1) | instskip(SKIP_3) | instid1(VALU_DEP_1)
	v_add_co_ci_u32_e64 v37, s29, s39, v37, s29
	global_store_b16 v[36:37], v2, off
	s_or_b32 exec_lo, exec_lo, s30
	v_cmp_lt_u32_e64 s29, v60, v145
	s_and_saveexec_b32 s31, s29
	s_cbranch_execnz .LBB1747_795
.LBB1747_780:                           ;   in Loop: Header=BB1747_688 Depth=2
	s_or_b32 exec_lo, exec_lo, s31
	v_cmp_lt_u32_e64 s30, v61, v145
	s_delay_alu instid0(VALU_DEP_1)
	s_and_saveexec_b32 s33, s30
	s_cbranch_execz .LBB1747_796
.LBB1747_781:                           ;   in Loop: Header=BB1747_688 Depth=2
	ds_load_u16 v146, v79 offset:7168
	s_waitcnt lgkmcnt(0)
	v_cmp_ne_u16_e64 s31, 0x8000, v146
	s_delay_alu instid0(VALU_DEP_1) | instskip(SKIP_1) | instid1(VALU_DEP_2)
	v_cndmask_b32_e64 v2, 0x7fff, v146, s31
	v_cmp_gt_i16_e64 s31, 0, v146
	v_and_b32_e32 v2, 0xffff, v2
	s_delay_alu instid0(VALU_DEP_2) | instskip(NEXT) | instid1(VALU_DEP_2)
	v_cndmask_b32_e64 v149, 0x7fff, 0, s31
	v_lshrrev_b32_e32 v2, s49, v2
	s_delay_alu instid0(VALU_DEP_1) | instskip(NEXT) | instid1(VALU_DEP_1)
	v_and_b32_e32 v2, s55, v2
	v_lshlrev_b32_e32 v2, 2, v2
	ds_load_b32 v2, v2
	s_waitcnt lgkmcnt(0)
	v_add_nc_u32_e32 v2, v2, v61
	s_delay_alu instid0(VALU_DEP_1) | instskip(SKIP_1) | instid1(VALU_DEP_2)
	v_lshlrev_b64 v[36:37], 1, v[2:3]
	v_xor_b32_e32 v2, v149, v146
	v_add_co_u32 v36, s31, s38, v36
	s_delay_alu instid0(VALU_DEP_1) | instskip(SKIP_3) | instid1(VALU_DEP_1)
	v_add_co_ci_u32_e64 v37, s31, s39, v37, s31
	global_store_b16 v[36:37], v2, off
	s_or_b32 exec_lo, exec_lo, s33
	v_cmp_lt_u32_e64 s31, v63, v145
	s_and_saveexec_b32 s58, s31
	s_cbranch_execnz .LBB1747_797
	s_branch .LBB1747_798
.LBB1747_782:                           ;   in Loop: Header=BB1747_688 Depth=2
	s_or_b32 exec_lo, exec_lo, s17
	v_cmp_lt_u32_e64 s16, v45, v145
	s_delay_alu instid0(VALU_DEP_1)
	s_and_saveexec_b32 s18, s16
	s_cbranch_execz .LBB1747_768
.LBB1747_783:                           ;   in Loop: Header=BB1747_688 Depth=2
	ds_load_u16 v146, v79 offset:512
	s_waitcnt lgkmcnt(0)
	v_cmp_ne_u16_e64 s17, 0x8000, v146
	s_delay_alu instid0(VALU_DEP_1) | instskip(SKIP_1) | instid1(VALU_DEP_2)
	v_cndmask_b32_e64 v2, 0x7fff, v146, s17
	v_cmp_gt_i16_e64 s17, 0, v146
	v_and_b32_e32 v2, 0xffff, v2
	s_delay_alu instid0(VALU_DEP_2) | instskip(NEXT) | instid1(VALU_DEP_2)
	v_cndmask_b32_e64 v149, 0x7fff, 0, s17
	v_lshrrev_b32_e32 v2, s49, v2
	s_delay_alu instid0(VALU_DEP_1) | instskip(NEXT) | instid1(VALU_DEP_1)
	v_and_b32_e32 v2, s55, v2
	v_lshlrev_b32_e32 v2, 2, v2
	ds_load_b32 v2, v2
	s_waitcnt lgkmcnt(0)
	v_add_nc_u32_e32 v2, v2, v45
	s_delay_alu instid0(VALU_DEP_1) | instskip(SKIP_1) | instid1(VALU_DEP_2)
	v_lshlrev_b64 v[36:37], 1, v[2:3]
	v_xor_b32_e32 v2, v149, v146
	v_add_co_u32 v36, s17, s38, v36
	s_delay_alu instid0(VALU_DEP_1) | instskip(SKIP_3) | instid1(VALU_DEP_1)
	v_add_co_ci_u32_e64 v37, s17, s39, v37, s17
	global_store_b16 v[36:37], v2, off
	s_or_b32 exec_lo, exec_lo, s18
	v_cmp_lt_u32_e64 s17, v46, v145
	s_and_saveexec_b32 s19, s17
	s_cbranch_execnz .LBB1747_769
.LBB1747_784:                           ;   in Loop: Header=BB1747_688 Depth=2
	s_or_b32 exec_lo, exec_lo, s19
	v_cmp_lt_u32_e64 s18, v47, v145
	s_delay_alu instid0(VALU_DEP_1)
	s_and_saveexec_b32 s20, s18
	s_cbranch_execz .LBB1747_770
.LBB1747_785:                           ;   in Loop: Header=BB1747_688 Depth=2
	ds_load_u16 v146, v79 offset:1536
	s_waitcnt lgkmcnt(0)
	v_cmp_ne_u16_e64 s19, 0x8000, v146
	s_delay_alu instid0(VALU_DEP_1) | instskip(SKIP_1) | instid1(VALU_DEP_2)
	v_cndmask_b32_e64 v2, 0x7fff, v146, s19
	v_cmp_gt_i16_e64 s19, 0, v146
	v_and_b32_e32 v2, 0xffff, v2
	s_delay_alu instid0(VALU_DEP_2) | instskip(NEXT) | instid1(VALU_DEP_2)
	v_cndmask_b32_e64 v149, 0x7fff, 0, s19
	v_lshrrev_b32_e32 v2, s49, v2
	s_delay_alu instid0(VALU_DEP_1) | instskip(NEXT) | instid1(VALU_DEP_1)
	v_and_b32_e32 v2, s55, v2
	v_lshlrev_b32_e32 v2, 2, v2
	ds_load_b32 v2, v2
	s_waitcnt lgkmcnt(0)
	v_add_nc_u32_e32 v2, v2, v47
	s_delay_alu instid0(VALU_DEP_1) | instskip(SKIP_1) | instid1(VALU_DEP_2)
	v_lshlrev_b64 v[36:37], 1, v[2:3]
	v_xor_b32_e32 v2, v149, v146
	v_add_co_u32 v36, s19, s38, v36
	s_delay_alu instid0(VALU_DEP_1) | instskip(SKIP_3) | instid1(VALU_DEP_1)
	v_add_co_ci_u32_e64 v37, s19, s39, v37, s19
	global_store_b16 v[36:37], v2, off
	s_or_b32 exec_lo, exec_lo, s20
	v_cmp_lt_u32_e64 s19, v51, v145
	s_and_saveexec_b32 s21, s19
	s_cbranch_execnz .LBB1747_771
.LBB1747_786:                           ;   in Loop: Header=BB1747_688 Depth=2
	s_or_b32 exec_lo, exec_lo, s21
	v_cmp_lt_u32_e64 s20, v52, v145
	s_delay_alu instid0(VALU_DEP_1)
	s_and_saveexec_b32 s22, s20
	s_cbranch_execz .LBB1747_772
.LBB1747_787:                           ;   in Loop: Header=BB1747_688 Depth=2
	ds_load_u16 v146, v79 offset:2560
	s_waitcnt lgkmcnt(0)
	v_cmp_ne_u16_e64 s21, 0x8000, v146
	s_delay_alu instid0(VALU_DEP_1) | instskip(SKIP_1) | instid1(VALU_DEP_2)
	v_cndmask_b32_e64 v2, 0x7fff, v146, s21
	v_cmp_gt_i16_e64 s21, 0, v146
	v_and_b32_e32 v2, 0xffff, v2
	s_delay_alu instid0(VALU_DEP_2) | instskip(NEXT) | instid1(VALU_DEP_2)
	v_cndmask_b32_e64 v149, 0x7fff, 0, s21
	v_lshrrev_b32_e32 v2, s49, v2
	s_delay_alu instid0(VALU_DEP_1) | instskip(NEXT) | instid1(VALU_DEP_1)
	v_and_b32_e32 v2, s55, v2
	v_lshlrev_b32_e32 v2, 2, v2
	ds_load_b32 v2, v2
	s_waitcnt lgkmcnt(0)
	v_add_nc_u32_e32 v2, v2, v52
	s_delay_alu instid0(VALU_DEP_1) | instskip(SKIP_1) | instid1(VALU_DEP_2)
	v_lshlrev_b64 v[36:37], 1, v[2:3]
	v_xor_b32_e32 v2, v149, v146
	v_add_co_u32 v36, s21, s38, v36
	s_delay_alu instid0(VALU_DEP_1) | instskip(SKIP_3) | instid1(VALU_DEP_1)
	v_add_co_ci_u32_e64 v37, s21, s39, v37, s21
	global_store_b16 v[36:37], v2, off
	s_or_b32 exec_lo, exec_lo, s22
	v_cmp_lt_u32_e64 s21, v53, v145
	s_and_saveexec_b32 s23, s21
	s_cbranch_execnz .LBB1747_773
.LBB1747_788:                           ;   in Loop: Header=BB1747_688 Depth=2
	s_or_b32 exec_lo, exec_lo, s23
	v_cmp_lt_u32_e64 s22, v54, v145
	s_delay_alu instid0(VALU_DEP_1)
	s_and_saveexec_b32 s24, s22
	s_cbranch_execz .LBB1747_774
.LBB1747_789:                           ;   in Loop: Header=BB1747_688 Depth=2
	ds_load_u16 v146, v79 offset:3584
	s_waitcnt lgkmcnt(0)
	v_cmp_ne_u16_e64 s23, 0x8000, v146
	s_delay_alu instid0(VALU_DEP_1) | instskip(SKIP_1) | instid1(VALU_DEP_2)
	v_cndmask_b32_e64 v2, 0x7fff, v146, s23
	v_cmp_gt_i16_e64 s23, 0, v146
	v_and_b32_e32 v2, 0xffff, v2
	s_delay_alu instid0(VALU_DEP_2) | instskip(NEXT) | instid1(VALU_DEP_2)
	v_cndmask_b32_e64 v149, 0x7fff, 0, s23
	v_lshrrev_b32_e32 v2, s49, v2
	s_delay_alu instid0(VALU_DEP_1) | instskip(NEXT) | instid1(VALU_DEP_1)
	v_and_b32_e32 v2, s55, v2
	v_lshlrev_b32_e32 v2, 2, v2
	ds_load_b32 v2, v2
	s_waitcnt lgkmcnt(0)
	v_add_nc_u32_e32 v2, v2, v54
	s_delay_alu instid0(VALU_DEP_1) | instskip(SKIP_1) | instid1(VALU_DEP_2)
	v_lshlrev_b64 v[36:37], 1, v[2:3]
	v_xor_b32_e32 v2, v149, v146
	v_add_co_u32 v36, s23, s38, v36
	s_delay_alu instid0(VALU_DEP_1) | instskip(SKIP_3) | instid1(VALU_DEP_1)
	v_add_co_ci_u32_e64 v37, s23, s39, v37, s23
	global_store_b16 v[36:37], v2, off
	s_or_b32 exec_lo, exec_lo, s24
	v_cmp_lt_u32_e64 s23, v55, v145
	s_and_saveexec_b32 s25, s23
	s_cbranch_execnz .LBB1747_775
.LBB1747_790:                           ;   in Loop: Header=BB1747_688 Depth=2
	s_or_b32 exec_lo, exec_lo, s25
	v_cmp_lt_u32_e64 s24, v56, v145
	s_delay_alu instid0(VALU_DEP_1)
	s_and_saveexec_b32 s27, s24
	s_cbranch_execz .LBB1747_776
.LBB1747_791:                           ;   in Loop: Header=BB1747_688 Depth=2
	ds_load_u16 v146, v79 offset:4608
	s_waitcnt lgkmcnt(0)
	v_cmp_ne_u16_e64 s25, 0x8000, v146
	s_delay_alu instid0(VALU_DEP_1) | instskip(SKIP_1) | instid1(VALU_DEP_2)
	v_cndmask_b32_e64 v2, 0x7fff, v146, s25
	v_cmp_gt_i16_e64 s25, 0, v146
	v_and_b32_e32 v2, 0xffff, v2
	s_delay_alu instid0(VALU_DEP_2) | instskip(NEXT) | instid1(VALU_DEP_2)
	v_cndmask_b32_e64 v149, 0x7fff, 0, s25
	v_lshrrev_b32_e32 v2, s49, v2
	s_delay_alu instid0(VALU_DEP_1) | instskip(NEXT) | instid1(VALU_DEP_1)
	v_and_b32_e32 v2, s55, v2
	v_lshlrev_b32_e32 v2, 2, v2
	ds_load_b32 v2, v2
	s_waitcnt lgkmcnt(0)
	v_add_nc_u32_e32 v2, v2, v56
	s_delay_alu instid0(VALU_DEP_1) | instskip(SKIP_1) | instid1(VALU_DEP_2)
	v_lshlrev_b64 v[36:37], 1, v[2:3]
	v_xor_b32_e32 v2, v149, v146
	v_add_co_u32 v36, s25, s38, v36
	s_delay_alu instid0(VALU_DEP_1) | instskip(SKIP_3) | instid1(VALU_DEP_1)
	v_add_co_ci_u32_e64 v37, s25, s39, v37, s25
	global_store_b16 v[36:37], v2, off
	s_or_b32 exec_lo, exec_lo, s27
	v_cmp_lt_u32_e64 s25, v57, v145
	s_and_saveexec_b32 s28, s25
	s_cbranch_execnz .LBB1747_777
.LBB1747_792:                           ;   in Loop: Header=BB1747_688 Depth=2
	s_or_b32 exec_lo, exec_lo, s28
	v_cmp_lt_u32_e64 s27, v58, v145
	s_delay_alu instid0(VALU_DEP_1)
	s_and_saveexec_b32 s29, s27
	s_cbranch_execz .LBB1747_778
.LBB1747_793:                           ;   in Loop: Header=BB1747_688 Depth=2
	ds_load_u16 v146, v79 offset:5632
	s_waitcnt lgkmcnt(0)
	v_cmp_ne_u16_e64 s28, 0x8000, v146
	s_delay_alu instid0(VALU_DEP_1) | instskip(SKIP_1) | instid1(VALU_DEP_2)
	v_cndmask_b32_e64 v2, 0x7fff, v146, s28
	v_cmp_gt_i16_e64 s28, 0, v146
	v_and_b32_e32 v2, 0xffff, v2
	s_delay_alu instid0(VALU_DEP_2) | instskip(NEXT) | instid1(VALU_DEP_2)
	v_cndmask_b32_e64 v149, 0x7fff, 0, s28
	v_lshrrev_b32_e32 v2, s49, v2
	s_delay_alu instid0(VALU_DEP_1) | instskip(NEXT) | instid1(VALU_DEP_1)
	v_and_b32_e32 v2, s55, v2
	v_lshlrev_b32_e32 v2, 2, v2
	ds_load_b32 v2, v2
	s_waitcnt lgkmcnt(0)
	v_add_nc_u32_e32 v2, v2, v58
	s_delay_alu instid0(VALU_DEP_1) | instskip(SKIP_1) | instid1(VALU_DEP_2)
	v_lshlrev_b64 v[36:37], 1, v[2:3]
	v_xor_b32_e32 v2, v149, v146
	v_add_co_u32 v36, s28, s38, v36
	s_delay_alu instid0(VALU_DEP_1) | instskip(SKIP_3) | instid1(VALU_DEP_1)
	v_add_co_ci_u32_e64 v37, s28, s39, v37, s28
	global_store_b16 v[36:37], v2, off
	s_or_b32 exec_lo, exec_lo, s29
	v_cmp_lt_u32_e64 s28, v59, v145
	s_and_saveexec_b32 s30, s28
	s_cbranch_execnz .LBB1747_779
.LBB1747_794:                           ;   in Loop: Header=BB1747_688 Depth=2
	s_or_b32 exec_lo, exec_lo, s30
	v_cmp_lt_u32_e64 s29, v60, v145
	s_delay_alu instid0(VALU_DEP_1)
	s_and_saveexec_b32 s31, s29
	s_cbranch_execz .LBB1747_780
.LBB1747_795:                           ;   in Loop: Header=BB1747_688 Depth=2
	ds_load_u16 v146, v79 offset:6656
	s_waitcnt lgkmcnt(0)
	v_cmp_ne_u16_e64 s30, 0x8000, v146
	s_delay_alu instid0(VALU_DEP_1) | instskip(SKIP_1) | instid1(VALU_DEP_2)
	v_cndmask_b32_e64 v2, 0x7fff, v146, s30
	v_cmp_gt_i16_e64 s30, 0, v146
	v_and_b32_e32 v2, 0xffff, v2
	s_delay_alu instid0(VALU_DEP_2) | instskip(NEXT) | instid1(VALU_DEP_2)
	v_cndmask_b32_e64 v149, 0x7fff, 0, s30
	v_lshrrev_b32_e32 v2, s49, v2
	s_delay_alu instid0(VALU_DEP_1) | instskip(NEXT) | instid1(VALU_DEP_1)
	v_and_b32_e32 v2, s55, v2
	v_lshlrev_b32_e32 v2, 2, v2
	ds_load_b32 v2, v2
	s_waitcnt lgkmcnt(0)
	v_add_nc_u32_e32 v2, v2, v60
	s_delay_alu instid0(VALU_DEP_1) | instskip(SKIP_1) | instid1(VALU_DEP_2)
	v_lshlrev_b64 v[36:37], 1, v[2:3]
	v_xor_b32_e32 v2, v149, v146
	v_add_co_u32 v36, s30, s38, v36
	s_delay_alu instid0(VALU_DEP_1) | instskip(SKIP_3) | instid1(VALU_DEP_1)
	v_add_co_ci_u32_e64 v37, s30, s39, v37, s30
	global_store_b16 v[36:37], v2, off
	s_or_b32 exec_lo, exec_lo, s31
	v_cmp_lt_u32_e64 s30, v61, v145
	s_and_saveexec_b32 s33, s30
	s_cbranch_execnz .LBB1747_781
.LBB1747_796:                           ;   in Loop: Header=BB1747_688 Depth=2
	s_or_b32 exec_lo, exec_lo, s33
	v_cmp_lt_u32_e64 s31, v63, v145
	s_delay_alu instid0(VALU_DEP_1)
	s_and_saveexec_b32 s58, s31
	s_cbranch_execz .LBB1747_798
.LBB1747_797:                           ;   in Loop: Header=BB1747_688 Depth=2
	ds_load_u16 v146, v79 offset:7680
	s_waitcnt lgkmcnt(0)
	v_cmp_ne_u16_e64 s33, 0x8000, v146
	s_delay_alu instid0(VALU_DEP_1) | instskip(SKIP_1) | instid1(VALU_DEP_2)
	v_cndmask_b32_e64 v2, 0x7fff, v146, s33
	v_cmp_gt_i16_e64 s33, 0, v146
	v_and_b32_e32 v2, 0xffff, v2
	s_delay_alu instid0(VALU_DEP_2) | instskip(NEXT) | instid1(VALU_DEP_2)
	v_cndmask_b32_e64 v149, 0x7fff, 0, s33
	v_lshrrev_b32_e32 v2, s49, v2
	s_delay_alu instid0(VALU_DEP_1) | instskip(NEXT) | instid1(VALU_DEP_1)
	v_and_b32_e32 v2, s55, v2
	v_lshlrev_b32_e32 v2, 2, v2
	ds_load_b32 v2, v2
	s_waitcnt lgkmcnt(0)
	v_add_nc_u32_e32 v2, v2, v63
	s_delay_alu instid0(VALU_DEP_1) | instskip(SKIP_1) | instid1(VALU_DEP_2)
	v_lshlrev_b64 v[36:37], 1, v[2:3]
	v_xor_b32_e32 v2, v149, v146
	v_add_co_u32 v36, s33, s38, v36
	s_delay_alu instid0(VALU_DEP_1)
	v_add_co_ci_u32_e64 v37, s33, s39, v37, s33
	global_store_b16 v[36:37], v2, off
.LBB1747_798:                           ;   in Loop: Header=BB1747_688 Depth=2
	s_or_b32 exec_lo, exec_lo, s58
	s_lshl_b64 s[58:59], s[34:35], 3
	s_delay_alu instid0(SALU_CYCLE_1) | instskip(NEXT) | instid1(VALU_DEP_1)
	v_add_co_u32 v36, s33, v107, s58
	v_add_co_ci_u32_e64 v37, s33, s59, v108, s33
	v_cmp_lt_u32_e64 s33, v106, v145
	s_delay_alu instid0(VALU_DEP_1) | instskip(NEXT) | instid1(SALU_CYCLE_1)
	s_and_saveexec_b32 s34, s33
	s_xor_b32 s33, exec_lo, s34
	s_cbranch_execz .LBB1747_830
; %bb.799:                              ;   in Loop: Header=BB1747_688 Depth=2
	global_load_b64 v[34:35], v[36:37], off
	s_or_b32 exec_lo, exec_lo, s33
	s_delay_alu instid0(SALU_CYCLE_1)
	s_mov_b32 s34, exec_lo
	v_cmpx_lt_u32_e64 v109, v145
	s_cbranch_execnz .LBB1747_831
.LBB1747_800:                           ;   in Loop: Header=BB1747_688 Depth=2
	s_or_b32 exec_lo, exec_lo, s34
	s_delay_alu instid0(SALU_CYCLE_1)
	s_mov_b32 s34, exec_lo
	v_cmpx_lt_u32_e64 v110, v145
	s_cbranch_execz .LBB1747_832
.LBB1747_801:                           ;   in Loop: Header=BB1747_688 Depth=2
	global_load_b64 v[30:31], v[36:37], off offset:512
	s_or_b32 exec_lo, exec_lo, s34
	s_delay_alu instid0(SALU_CYCLE_1)
	s_mov_b32 s34, exec_lo
	v_cmpx_lt_u32_e64 v111, v145
	s_cbranch_execnz .LBB1747_833
.LBB1747_802:                           ;   in Loop: Header=BB1747_688 Depth=2
	s_or_b32 exec_lo, exec_lo, s34
	s_delay_alu instid0(SALU_CYCLE_1)
	s_mov_b32 s34, exec_lo
	v_cmpx_lt_u32_e64 v112, v145
	s_cbranch_execz .LBB1747_834
.LBB1747_803:                           ;   in Loop: Header=BB1747_688 Depth=2
	global_load_b64 v[26:27], v[36:37], off offset:1024
	s_or_b32 exec_lo, exec_lo, s34
	s_delay_alu instid0(SALU_CYCLE_1)
	s_mov_b32 s34, exec_lo
	v_cmpx_lt_u32_e64 v113, v145
	s_cbranch_execnz .LBB1747_835
.LBB1747_804:                           ;   in Loop: Header=BB1747_688 Depth=2
	s_or_b32 exec_lo, exec_lo, s34
	s_delay_alu instid0(SALU_CYCLE_1)
	s_mov_b32 s34, exec_lo
	v_cmpx_lt_u32_e64 v114, v145
	s_cbranch_execz .LBB1747_836
.LBB1747_805:                           ;   in Loop: Header=BB1747_688 Depth=2
	global_load_b64 v[22:23], v[36:37], off offset:1536
	s_or_b32 exec_lo, exec_lo, s34
	s_delay_alu instid0(SALU_CYCLE_1)
	s_mov_b32 s34, exec_lo
	v_cmpx_lt_u32_e64 v115, v145
	s_cbranch_execnz .LBB1747_837
.LBB1747_806:                           ;   in Loop: Header=BB1747_688 Depth=2
	s_or_b32 exec_lo, exec_lo, s34
	s_delay_alu instid0(SALU_CYCLE_1)
	s_mov_b32 s34, exec_lo
	v_cmpx_lt_u32_e64 v116, v145
	s_cbranch_execz .LBB1747_838
.LBB1747_807:                           ;   in Loop: Header=BB1747_688 Depth=2
	global_load_b64 v[18:19], v[36:37], off offset:2048
	s_or_b32 exec_lo, exec_lo, s34
	s_delay_alu instid0(SALU_CYCLE_1)
	s_mov_b32 s34, exec_lo
	v_cmpx_lt_u32_e64 v117, v145
	s_cbranch_execnz .LBB1747_839
.LBB1747_808:                           ;   in Loop: Header=BB1747_688 Depth=2
	s_or_b32 exec_lo, exec_lo, s34
	s_delay_alu instid0(SALU_CYCLE_1)
	s_mov_b32 s34, exec_lo
	v_cmpx_lt_u32_e64 v118, v145
	s_cbranch_execz .LBB1747_840
.LBB1747_809:                           ;   in Loop: Header=BB1747_688 Depth=2
	global_load_b64 v[14:15], v[36:37], off offset:2560
	s_or_b32 exec_lo, exec_lo, s34
	s_delay_alu instid0(SALU_CYCLE_1)
	s_mov_b32 s34, exec_lo
	v_cmpx_lt_u32_e64 v119, v145
	s_cbranch_execnz .LBB1747_841
.LBB1747_810:                           ;   in Loop: Header=BB1747_688 Depth=2
	s_or_b32 exec_lo, exec_lo, s34
	s_delay_alu instid0(SALU_CYCLE_1)
	s_mov_b32 s34, exec_lo
	v_cmpx_lt_u32_e64 v120, v145
	s_cbranch_execz .LBB1747_842
.LBB1747_811:                           ;   in Loop: Header=BB1747_688 Depth=2
	global_load_b64 v[10:11], v[36:37], off offset:3072
	s_or_b32 exec_lo, exec_lo, s34
	s_delay_alu instid0(SALU_CYCLE_1)
	s_mov_b32 s34, exec_lo
	v_cmpx_lt_u32_e64 v121, v145
	s_cbranch_execnz .LBB1747_843
.LBB1747_812:                           ;   in Loop: Header=BB1747_688 Depth=2
	s_or_b32 exec_lo, exec_lo, s34
	s_delay_alu instid0(SALU_CYCLE_1)
	s_mov_b32 s34, exec_lo
	v_cmpx_lt_u32_e64 v122, v145
	s_cbranch_execz .LBB1747_844
.LBB1747_813:                           ;   in Loop: Header=BB1747_688 Depth=2
	global_load_b64 v[6:7], v[36:37], off offset:3584
	s_or_b32 exec_lo, exec_lo, s34
	s_delay_alu instid0(SALU_CYCLE_1)
	s_mov_b32 s34, exec_lo
	v_cmpx_lt_u32_e64 v123, v145
	s_cbranch_execnz .LBB1747_845
.LBB1747_814:                           ;   in Loop: Header=BB1747_688 Depth=2
	s_or_b32 exec_lo, exec_lo, s34
	s_and_saveexec_b32 s34, vcc_lo
	s_cbranch_execz .LBB1747_846
.LBB1747_815:                           ;   in Loop: Header=BB1747_688 Depth=2
	v_add_nc_u32_e32 v2, v72, v78
	ds_load_u16 v2, v2 offset:1024
	s_waitcnt lgkmcnt(0)
	v_cmp_ne_u16_e64 s33, 0x8000, v2
	s_delay_alu instid0(VALU_DEP_1) | instskip(NEXT) | instid1(VALU_DEP_1)
	v_cndmask_b32_e64 v2, 0x7fff, v2, s33
	v_and_b32_e32 v2, 0xffff, v2
	s_delay_alu instid0(VALU_DEP_1) | instskip(NEXT) | instid1(VALU_DEP_1)
	v_lshrrev_b32_e32 v2, s49, v2
	v_and_b32_e32 v144, s55, v2
	s_or_b32 exec_lo, exec_lo, s34
	s_and_saveexec_b32 s34, s16
	s_cbranch_execnz .LBB1747_847
.LBB1747_816:                           ;   in Loop: Header=BB1747_688 Depth=2
	s_or_b32 exec_lo, exec_lo, s34
	s_and_saveexec_b32 s34, s17
	s_cbranch_execz .LBB1747_848
.LBB1747_817:                           ;   in Loop: Header=BB1747_688 Depth=2
	ds_load_u16 v2, v79 offset:1024
	s_waitcnt lgkmcnt(0)
	v_cmp_ne_u16_e64 s33, 0x8000, v2
	s_delay_alu instid0(VALU_DEP_1) | instskip(NEXT) | instid1(VALU_DEP_1)
	v_cndmask_b32_e64 v2, 0x7fff, v2, s33
	v_and_b32_e32 v2, 0xffff, v2
	s_delay_alu instid0(VALU_DEP_1) | instskip(NEXT) | instid1(VALU_DEP_1)
	v_lshrrev_b32_e32 v2, s49, v2
	v_and_b32_e32 v142, s55, v2
	s_or_b32 exec_lo, exec_lo, s34
	s_and_saveexec_b32 s34, s18
	s_cbranch_execnz .LBB1747_849
.LBB1747_818:                           ;   in Loop: Header=BB1747_688 Depth=2
	s_or_b32 exec_lo, exec_lo, s34
	s_and_saveexec_b32 s34, s19
	s_cbranch_execz .LBB1747_850
.LBB1747_819:                           ;   in Loop: Header=BB1747_688 Depth=2
	ds_load_u16 v2, v79 offset:2048
	s_waitcnt lgkmcnt(0)
	v_cmp_ne_u16_e64 s33, 0x8000, v2
	s_delay_alu instid0(VALU_DEP_1) | instskip(NEXT) | instid1(VALU_DEP_1)
	v_cndmask_b32_e64 v2, 0x7fff, v2, s33
	v_and_b32_e32 v2, 0xffff, v2
	s_delay_alu instid0(VALU_DEP_1) | instskip(NEXT) | instid1(VALU_DEP_1)
	v_lshrrev_b32_e32 v2, s49, v2
	v_and_b32_e32 v140, s55, v2
	s_or_b32 exec_lo, exec_lo, s34
	s_and_saveexec_b32 s34, s20
	s_cbranch_execnz .LBB1747_851
.LBB1747_820:                           ;   in Loop: Header=BB1747_688 Depth=2
	s_or_b32 exec_lo, exec_lo, s34
	s_and_saveexec_b32 s34, s21
	s_cbranch_execz .LBB1747_852
.LBB1747_821:                           ;   in Loop: Header=BB1747_688 Depth=2
	ds_load_u16 v2, v79 offset:3072
	s_waitcnt lgkmcnt(0)
	v_cmp_ne_u16_e64 s33, 0x8000, v2
	s_delay_alu instid0(VALU_DEP_1) | instskip(NEXT) | instid1(VALU_DEP_1)
	v_cndmask_b32_e64 v2, 0x7fff, v2, s33
	v_and_b32_e32 v2, 0xffff, v2
	s_delay_alu instid0(VALU_DEP_1) | instskip(NEXT) | instid1(VALU_DEP_1)
	v_lshrrev_b32_e32 v2, s49, v2
	v_and_b32_e32 v138, s55, v2
	s_or_b32 exec_lo, exec_lo, s34
	s_and_saveexec_b32 s34, s22
	s_cbranch_execnz .LBB1747_853
.LBB1747_822:                           ;   in Loop: Header=BB1747_688 Depth=2
	s_or_b32 exec_lo, exec_lo, s34
	s_and_saveexec_b32 s34, s23
	s_cbranch_execz .LBB1747_854
.LBB1747_823:                           ;   in Loop: Header=BB1747_688 Depth=2
	ds_load_u16 v2, v79 offset:4096
	s_waitcnt lgkmcnt(0)
	v_cmp_ne_u16_e64 s33, 0x8000, v2
	s_delay_alu instid0(VALU_DEP_1) | instskip(NEXT) | instid1(VALU_DEP_1)
	v_cndmask_b32_e64 v2, 0x7fff, v2, s33
	v_and_b32_e32 v2, 0xffff, v2
	s_delay_alu instid0(VALU_DEP_1) | instskip(NEXT) | instid1(VALU_DEP_1)
	v_lshrrev_b32_e32 v2, s49, v2
	v_and_b32_e32 v136, s55, v2
	s_or_b32 exec_lo, exec_lo, s34
	s_and_saveexec_b32 s34, s24
	s_cbranch_execnz .LBB1747_855
.LBB1747_824:                           ;   in Loop: Header=BB1747_688 Depth=2
	s_or_b32 exec_lo, exec_lo, s34
	s_and_saveexec_b32 s34, s25
	s_cbranch_execz .LBB1747_856
.LBB1747_825:                           ;   in Loop: Header=BB1747_688 Depth=2
	ds_load_u16 v2, v79 offset:5120
	s_waitcnt lgkmcnt(0)
	v_cmp_ne_u16_e64 s33, 0x8000, v2
	s_delay_alu instid0(VALU_DEP_1) | instskip(NEXT) | instid1(VALU_DEP_1)
	v_cndmask_b32_e64 v2, 0x7fff, v2, s33
	v_and_b32_e32 v2, 0xffff, v2
	s_delay_alu instid0(VALU_DEP_1) | instskip(NEXT) | instid1(VALU_DEP_1)
	v_lshrrev_b32_e32 v2, s49, v2
	v_and_b32_e32 v134, s55, v2
	s_or_b32 exec_lo, exec_lo, s34
	s_and_saveexec_b32 s34, s27
	s_cbranch_execnz .LBB1747_857
.LBB1747_826:                           ;   in Loop: Header=BB1747_688 Depth=2
	s_or_b32 exec_lo, exec_lo, s34
	s_and_saveexec_b32 s34, s28
	s_cbranch_execz .LBB1747_858
.LBB1747_827:                           ;   in Loop: Header=BB1747_688 Depth=2
	ds_load_u16 v2, v79 offset:6144
	s_waitcnt lgkmcnt(0)
	v_cmp_ne_u16_e64 s33, 0x8000, v2
	s_delay_alu instid0(VALU_DEP_1) | instskip(NEXT) | instid1(VALU_DEP_1)
	v_cndmask_b32_e64 v2, 0x7fff, v2, s33
	v_and_b32_e32 v2, 0xffff, v2
	s_delay_alu instid0(VALU_DEP_1) | instskip(NEXT) | instid1(VALU_DEP_1)
	v_lshrrev_b32_e32 v2, s49, v2
	v_and_b32_e32 v132, s55, v2
	s_or_b32 exec_lo, exec_lo, s34
	s_and_saveexec_b32 s34, s29
	s_cbranch_execnz .LBB1747_859
.LBB1747_828:                           ;   in Loop: Header=BB1747_688 Depth=2
	s_or_b32 exec_lo, exec_lo, s34
	s_and_saveexec_b32 s34, s30
	s_cbranch_execz .LBB1747_860
.LBB1747_829:                           ;   in Loop: Header=BB1747_688 Depth=2
	ds_load_u16 v2, v79 offset:7168
	s_waitcnt lgkmcnt(0)
	v_cmp_ne_u16_e64 s33, 0x8000, v2
	s_delay_alu instid0(VALU_DEP_1) | instskip(NEXT) | instid1(VALU_DEP_1)
	v_cndmask_b32_e64 v2, 0x7fff, v2, s33
	v_and_b32_e32 v2, 0xffff, v2
	s_delay_alu instid0(VALU_DEP_1) | instskip(NEXT) | instid1(VALU_DEP_1)
	v_lshrrev_b32_e32 v2, s49, v2
	v_and_b32_e32 v130, s55, v2
	s_or_b32 exec_lo, exec_lo, s34
	s_and_saveexec_b32 s34, s31
	s_cbranch_execnz .LBB1747_861
	s_branch .LBB1747_862
.LBB1747_830:                           ;   in Loop: Header=BB1747_688 Depth=2
	s_or_b32 exec_lo, exec_lo, s33
	s_delay_alu instid0(SALU_CYCLE_1)
	s_mov_b32 s34, exec_lo
	v_cmpx_lt_u32_e64 v109, v145
	s_cbranch_execz .LBB1747_800
.LBB1747_831:                           ;   in Loop: Header=BB1747_688 Depth=2
	global_load_b64 v[32:33], v[36:37], off offset:256
	s_or_b32 exec_lo, exec_lo, s34
	s_delay_alu instid0(SALU_CYCLE_1)
	s_mov_b32 s34, exec_lo
	v_cmpx_lt_u32_e64 v110, v145
	s_cbranch_execnz .LBB1747_801
.LBB1747_832:                           ;   in Loop: Header=BB1747_688 Depth=2
	s_or_b32 exec_lo, exec_lo, s34
	s_delay_alu instid0(SALU_CYCLE_1)
	s_mov_b32 s34, exec_lo
	v_cmpx_lt_u32_e64 v111, v145
	s_cbranch_execz .LBB1747_802
.LBB1747_833:                           ;   in Loop: Header=BB1747_688 Depth=2
	global_load_b64 v[28:29], v[36:37], off offset:768
	s_or_b32 exec_lo, exec_lo, s34
	s_delay_alu instid0(SALU_CYCLE_1)
	s_mov_b32 s34, exec_lo
	v_cmpx_lt_u32_e64 v112, v145
	s_cbranch_execnz .LBB1747_803
.LBB1747_834:                           ;   in Loop: Header=BB1747_688 Depth=2
	s_or_b32 exec_lo, exec_lo, s34
	s_delay_alu instid0(SALU_CYCLE_1)
	s_mov_b32 s34, exec_lo
	v_cmpx_lt_u32_e64 v113, v145
	s_cbranch_execz .LBB1747_804
.LBB1747_835:                           ;   in Loop: Header=BB1747_688 Depth=2
	global_load_b64 v[24:25], v[36:37], off offset:1280
	s_or_b32 exec_lo, exec_lo, s34
	s_delay_alu instid0(SALU_CYCLE_1)
	s_mov_b32 s34, exec_lo
	v_cmpx_lt_u32_e64 v114, v145
	s_cbranch_execnz .LBB1747_805
.LBB1747_836:                           ;   in Loop: Header=BB1747_688 Depth=2
	s_or_b32 exec_lo, exec_lo, s34
	s_delay_alu instid0(SALU_CYCLE_1)
	s_mov_b32 s34, exec_lo
	v_cmpx_lt_u32_e64 v115, v145
	s_cbranch_execz .LBB1747_806
.LBB1747_837:                           ;   in Loop: Header=BB1747_688 Depth=2
	global_load_b64 v[20:21], v[36:37], off offset:1792
	s_or_b32 exec_lo, exec_lo, s34
	s_delay_alu instid0(SALU_CYCLE_1)
	s_mov_b32 s34, exec_lo
	v_cmpx_lt_u32_e64 v116, v145
	s_cbranch_execnz .LBB1747_807
.LBB1747_838:                           ;   in Loop: Header=BB1747_688 Depth=2
	s_or_b32 exec_lo, exec_lo, s34
	s_delay_alu instid0(SALU_CYCLE_1)
	s_mov_b32 s34, exec_lo
	v_cmpx_lt_u32_e64 v117, v145
	s_cbranch_execz .LBB1747_808
.LBB1747_839:                           ;   in Loop: Header=BB1747_688 Depth=2
	global_load_b64 v[16:17], v[36:37], off offset:2304
	s_or_b32 exec_lo, exec_lo, s34
	s_delay_alu instid0(SALU_CYCLE_1)
	s_mov_b32 s34, exec_lo
	v_cmpx_lt_u32_e64 v118, v145
	s_cbranch_execnz .LBB1747_809
.LBB1747_840:                           ;   in Loop: Header=BB1747_688 Depth=2
	s_or_b32 exec_lo, exec_lo, s34
	s_delay_alu instid0(SALU_CYCLE_1)
	s_mov_b32 s34, exec_lo
	v_cmpx_lt_u32_e64 v119, v145
	s_cbranch_execz .LBB1747_810
.LBB1747_841:                           ;   in Loop: Header=BB1747_688 Depth=2
	global_load_b64 v[12:13], v[36:37], off offset:2816
	s_or_b32 exec_lo, exec_lo, s34
	s_delay_alu instid0(SALU_CYCLE_1)
	s_mov_b32 s34, exec_lo
	v_cmpx_lt_u32_e64 v120, v145
	s_cbranch_execnz .LBB1747_811
.LBB1747_842:                           ;   in Loop: Header=BB1747_688 Depth=2
	s_or_b32 exec_lo, exec_lo, s34
	s_delay_alu instid0(SALU_CYCLE_1)
	s_mov_b32 s34, exec_lo
	v_cmpx_lt_u32_e64 v121, v145
	s_cbranch_execz .LBB1747_812
.LBB1747_843:                           ;   in Loop: Header=BB1747_688 Depth=2
	global_load_b64 v[8:9], v[36:37], off offset:3328
	s_or_b32 exec_lo, exec_lo, s34
	s_delay_alu instid0(SALU_CYCLE_1)
	s_mov_b32 s34, exec_lo
	v_cmpx_lt_u32_e64 v122, v145
	s_cbranch_execnz .LBB1747_813
.LBB1747_844:                           ;   in Loop: Header=BB1747_688 Depth=2
	s_or_b32 exec_lo, exec_lo, s34
	s_delay_alu instid0(SALU_CYCLE_1)
	s_mov_b32 s34, exec_lo
	v_cmpx_lt_u32_e64 v123, v145
	s_cbranch_execz .LBB1747_814
.LBB1747_845:                           ;   in Loop: Header=BB1747_688 Depth=2
	global_load_b64 v[4:5], v[36:37], off offset:3840
	s_or_b32 exec_lo, exec_lo, s34
	s_and_saveexec_b32 s34, vcc_lo
	s_cbranch_execnz .LBB1747_815
.LBB1747_846:                           ;   in Loop: Header=BB1747_688 Depth=2
	s_or_b32 exec_lo, exec_lo, s34
	s_and_saveexec_b32 s34, s16
	s_cbranch_execz .LBB1747_816
.LBB1747_847:                           ;   in Loop: Header=BB1747_688 Depth=2
	ds_load_u16 v2, v79 offset:512
	s_waitcnt lgkmcnt(0)
	v_cmp_ne_u16_e64 s33, 0x8000, v2
	s_delay_alu instid0(VALU_DEP_1) | instskip(NEXT) | instid1(VALU_DEP_1)
	v_cndmask_b32_e64 v2, 0x7fff, v2, s33
	v_and_b32_e32 v2, 0xffff, v2
	s_delay_alu instid0(VALU_DEP_1) | instskip(NEXT) | instid1(VALU_DEP_1)
	v_lshrrev_b32_e32 v2, s49, v2
	v_and_b32_e32 v143, s55, v2
	s_or_b32 exec_lo, exec_lo, s34
	s_and_saveexec_b32 s34, s17
	s_cbranch_execnz .LBB1747_817
.LBB1747_848:                           ;   in Loop: Header=BB1747_688 Depth=2
	s_or_b32 exec_lo, exec_lo, s34
	s_and_saveexec_b32 s34, s18
	s_cbranch_execz .LBB1747_818
.LBB1747_849:                           ;   in Loop: Header=BB1747_688 Depth=2
	ds_load_u16 v2, v79 offset:1536
	s_waitcnt lgkmcnt(0)
	v_cmp_ne_u16_e64 s33, 0x8000, v2
	s_delay_alu instid0(VALU_DEP_1) | instskip(NEXT) | instid1(VALU_DEP_1)
	v_cndmask_b32_e64 v2, 0x7fff, v2, s33
	v_and_b32_e32 v2, 0xffff, v2
	s_delay_alu instid0(VALU_DEP_1) | instskip(NEXT) | instid1(VALU_DEP_1)
	v_lshrrev_b32_e32 v2, s49, v2
	v_and_b32_e32 v141, s55, v2
	s_or_b32 exec_lo, exec_lo, s34
	s_and_saveexec_b32 s34, s19
	s_cbranch_execnz .LBB1747_819
.LBB1747_850:                           ;   in Loop: Header=BB1747_688 Depth=2
	s_or_b32 exec_lo, exec_lo, s34
	s_and_saveexec_b32 s34, s20
	s_cbranch_execz .LBB1747_820
.LBB1747_851:                           ;   in Loop: Header=BB1747_688 Depth=2
	ds_load_u16 v2, v79 offset:2560
	s_waitcnt lgkmcnt(0)
	v_cmp_ne_u16_e64 s33, 0x8000, v2
	s_delay_alu instid0(VALU_DEP_1) | instskip(NEXT) | instid1(VALU_DEP_1)
	v_cndmask_b32_e64 v2, 0x7fff, v2, s33
	v_and_b32_e32 v2, 0xffff, v2
	s_delay_alu instid0(VALU_DEP_1) | instskip(NEXT) | instid1(VALU_DEP_1)
	v_lshrrev_b32_e32 v2, s49, v2
	v_and_b32_e32 v139, s55, v2
	s_or_b32 exec_lo, exec_lo, s34
	s_and_saveexec_b32 s34, s21
	s_cbranch_execnz .LBB1747_821
.LBB1747_852:                           ;   in Loop: Header=BB1747_688 Depth=2
	s_or_b32 exec_lo, exec_lo, s34
	s_and_saveexec_b32 s34, s22
	s_cbranch_execz .LBB1747_822
.LBB1747_853:                           ;   in Loop: Header=BB1747_688 Depth=2
	ds_load_u16 v2, v79 offset:3584
	s_waitcnt lgkmcnt(0)
	v_cmp_ne_u16_e64 s33, 0x8000, v2
	s_delay_alu instid0(VALU_DEP_1) | instskip(NEXT) | instid1(VALU_DEP_1)
	v_cndmask_b32_e64 v2, 0x7fff, v2, s33
	v_and_b32_e32 v2, 0xffff, v2
	s_delay_alu instid0(VALU_DEP_1) | instskip(NEXT) | instid1(VALU_DEP_1)
	v_lshrrev_b32_e32 v2, s49, v2
	v_and_b32_e32 v137, s55, v2
	s_or_b32 exec_lo, exec_lo, s34
	s_and_saveexec_b32 s34, s23
	s_cbranch_execnz .LBB1747_823
.LBB1747_854:                           ;   in Loop: Header=BB1747_688 Depth=2
	s_or_b32 exec_lo, exec_lo, s34
	s_and_saveexec_b32 s34, s24
	s_cbranch_execz .LBB1747_824
.LBB1747_855:                           ;   in Loop: Header=BB1747_688 Depth=2
	ds_load_u16 v2, v79 offset:4608
	s_waitcnt lgkmcnt(0)
	v_cmp_ne_u16_e64 s33, 0x8000, v2
	s_delay_alu instid0(VALU_DEP_1) | instskip(NEXT) | instid1(VALU_DEP_1)
	v_cndmask_b32_e64 v2, 0x7fff, v2, s33
	v_and_b32_e32 v2, 0xffff, v2
	s_delay_alu instid0(VALU_DEP_1) | instskip(NEXT) | instid1(VALU_DEP_1)
	v_lshrrev_b32_e32 v2, s49, v2
	v_and_b32_e32 v135, s55, v2
	s_or_b32 exec_lo, exec_lo, s34
	s_and_saveexec_b32 s34, s25
	s_cbranch_execnz .LBB1747_825
.LBB1747_856:                           ;   in Loop: Header=BB1747_688 Depth=2
	s_or_b32 exec_lo, exec_lo, s34
	s_and_saveexec_b32 s34, s27
	s_cbranch_execz .LBB1747_826
.LBB1747_857:                           ;   in Loop: Header=BB1747_688 Depth=2
	ds_load_u16 v2, v79 offset:5632
	s_waitcnt lgkmcnt(0)
	v_cmp_ne_u16_e64 s33, 0x8000, v2
	s_delay_alu instid0(VALU_DEP_1) | instskip(NEXT) | instid1(VALU_DEP_1)
	v_cndmask_b32_e64 v2, 0x7fff, v2, s33
	v_and_b32_e32 v2, 0xffff, v2
	s_delay_alu instid0(VALU_DEP_1) | instskip(NEXT) | instid1(VALU_DEP_1)
	v_lshrrev_b32_e32 v2, s49, v2
	v_and_b32_e32 v133, s55, v2
	s_or_b32 exec_lo, exec_lo, s34
	s_and_saveexec_b32 s34, s28
	s_cbranch_execnz .LBB1747_827
.LBB1747_858:                           ;   in Loop: Header=BB1747_688 Depth=2
	s_or_b32 exec_lo, exec_lo, s34
	s_and_saveexec_b32 s34, s29
	s_cbranch_execz .LBB1747_828
.LBB1747_859:                           ;   in Loop: Header=BB1747_688 Depth=2
	ds_load_u16 v2, v79 offset:6656
	s_waitcnt lgkmcnt(0)
	v_cmp_ne_u16_e64 s33, 0x8000, v2
	s_delay_alu instid0(VALU_DEP_1) | instskip(NEXT) | instid1(VALU_DEP_1)
	v_cndmask_b32_e64 v2, 0x7fff, v2, s33
	v_and_b32_e32 v2, 0xffff, v2
	s_delay_alu instid0(VALU_DEP_1) | instskip(NEXT) | instid1(VALU_DEP_1)
	v_lshrrev_b32_e32 v2, s49, v2
	v_and_b32_e32 v131, s55, v2
	s_or_b32 exec_lo, exec_lo, s34
	s_and_saveexec_b32 s34, s30
	s_cbranch_execnz .LBB1747_829
.LBB1747_860:                           ;   in Loop: Header=BB1747_688 Depth=2
	s_or_b32 exec_lo, exec_lo, s34
	s_and_saveexec_b32 s34, s31
	s_cbranch_execz .LBB1747_862
.LBB1747_861:                           ;   in Loop: Header=BB1747_688 Depth=2
	ds_load_u16 v2, v79 offset:7680
	s_waitcnt lgkmcnt(0)
	v_cmp_ne_u16_e64 s33, 0x8000, v2
	s_delay_alu instid0(VALU_DEP_1) | instskip(NEXT) | instid1(VALU_DEP_1)
	v_cndmask_b32_e64 v2, 0x7fff, v2, s33
	v_and_b32_e32 v2, 0xffff, v2
	s_delay_alu instid0(VALU_DEP_1) | instskip(NEXT) | instid1(VALU_DEP_1)
	v_lshrrev_b32_e32 v2, s49, v2
	v_and_b32_e32 v129, s55, v2
.LBB1747_862:                           ;   in Loop: Header=BB1747_688 Depth=2
	s_or_b32 exec_lo, exec_lo, s34
	v_lshlrev_b32_e32 v2, 3, v168
	v_lshlrev_b32_e32 v36, 3, v164
	s_waitcnt vmcnt(0)
	s_waitcnt_vscnt null, 0x0
	s_barrier
	buffer_gl0_inv
	ds_store_b64 v2, v[34:35] offset:1024
	v_lshlrev_b32_e32 v2, 3, v160
	v_lshlrev_b32_e32 v37, 3, v156
	;; [unrolled: 1-line block ×4, first 2 shown]
	ds_store_b64 v36, v[32:33] offset:1024
	ds_store_b64 v2, v[30:31] offset:1024
	ds_store_b64 v37, v[28:29] offset:1024
	ds_store_b64 v145, v[26:27] offset:1024
	ds_store_b64 v146, v[24:25] offset:1024
	v_lshlrev_b32_e32 v2, 3, v152
	v_lshlrev_b32_e32 v36, 3, v151
	;; [unrolled: 1-line block ×5, first 2 shown]
	ds_store_b64 v2, v[22:23] offset:1024
	ds_store_b64 v36, v[20:21] offset:1024
	;; [unrolled: 1-line block ×5, first 2 shown]
	v_lshlrev_b32_e32 v2, 3, v40
	v_lshlrev_b32_e32 v36, 3, v39
	;; [unrolled: 1-line block ×5, first 2 shown]
	ds_store_b64 v2, v[12:13] offset:1024
	ds_store_b64 v36, v[10:11] offset:1024
	;; [unrolled: 1-line block ×5, first 2 shown]
	s_waitcnt lgkmcnt(0)
	s_barrier
	buffer_gl0_inv
	s_and_saveexec_b32 s33, vcc_lo
	s_cbranch_execz .LBB1747_878
; %bb.863:                              ;   in Loop: Header=BB1747_688 Depth=2
	v_lshlrev_b32_e32 v2, 2, v144
	ds_load_b32 v2, v2
	ds_load_b64 v[36:37], v80 offset:1024
	s_waitcnt lgkmcnt(1)
	v_add_nc_u32_e32 v2, v2, v1
	s_delay_alu instid0(VALU_DEP_1) | instskip(NEXT) | instid1(VALU_DEP_1)
	v_lshlrev_b64 v[39:40], 3, v[2:3]
	v_add_co_u32 v39, vcc_lo, s44, v39
	s_delay_alu instid0(VALU_DEP_2)
	v_add_co_ci_u32_e32 v40, vcc_lo, s45, v40, vcc_lo
	s_waitcnt lgkmcnt(0)
	global_store_b64 v[39:40], v[36:37], off
	s_or_b32 exec_lo, exec_lo, s33
	s_and_saveexec_b32 s33, s16
	s_cbranch_execnz .LBB1747_879
.LBB1747_864:                           ;   in Loop: Header=BB1747_688 Depth=2
	s_or_b32 exec_lo, exec_lo, s33
	s_and_saveexec_b32 s16, s17
	s_cbranch_execz .LBB1747_880
.LBB1747_865:                           ;   in Loop: Header=BB1747_688 Depth=2
	v_lshlrev_b32_e32 v2, 2, v142
	v_add_nc_u32_e32 v36, v79, v81
	ds_load_b32 v2, v2
	ds_load_b64 v[36:37], v36 offset:4096
	s_waitcnt lgkmcnt(1)
	v_add_nc_u32_e32 v2, v2, v46
	s_delay_alu instid0(VALU_DEP_1) | instskip(NEXT) | instid1(VALU_DEP_1)
	v_lshlrev_b64 v[39:40], 3, v[2:3]
	v_add_co_u32 v39, vcc_lo, s44, v39
	s_delay_alu instid0(VALU_DEP_2)
	v_add_co_ci_u32_e32 v40, vcc_lo, s45, v40, vcc_lo
	s_waitcnt lgkmcnt(0)
	global_store_b64 v[39:40], v[36:37], off
	s_or_b32 exec_lo, exec_lo, s16
	s_and_saveexec_b32 s16, s18
	s_cbranch_execnz .LBB1747_881
.LBB1747_866:                           ;   in Loop: Header=BB1747_688 Depth=2
	s_or_b32 exec_lo, exec_lo, s16
	s_and_saveexec_b32 s16, s19
	s_cbranch_execz .LBB1747_882
.LBB1747_867:                           ;   in Loop: Header=BB1747_688 Depth=2
	v_lshlrev_b32_e32 v2, 2, v140
	v_add_nc_u32_e32 v36, v79, v81
	ds_load_b32 v2, v2
	ds_load_b64 v[36:37], v36 offset:8192
	s_waitcnt lgkmcnt(1)
	v_add_nc_u32_e32 v2, v2, v51
	s_delay_alu instid0(VALU_DEP_1) | instskip(NEXT) | instid1(VALU_DEP_1)
	v_lshlrev_b64 v[39:40], 3, v[2:3]
	v_add_co_u32 v39, vcc_lo, s44, v39
	s_delay_alu instid0(VALU_DEP_2)
	v_add_co_ci_u32_e32 v40, vcc_lo, s45, v40, vcc_lo
	s_waitcnt lgkmcnt(0)
	global_store_b64 v[39:40], v[36:37], off
	s_or_b32 exec_lo, exec_lo, s16
	s_and_saveexec_b32 s16, s20
	s_cbranch_execnz .LBB1747_883
.LBB1747_868:                           ;   in Loop: Header=BB1747_688 Depth=2
	s_or_b32 exec_lo, exec_lo, s16
	s_and_saveexec_b32 s16, s21
	s_cbranch_execz .LBB1747_884
.LBB1747_869:                           ;   in Loop: Header=BB1747_688 Depth=2
	v_lshlrev_b32_e32 v2, 2, v138
	v_add_nc_u32_e32 v36, v79, v81
	ds_load_b32 v2, v2
	ds_load_b64 v[36:37], v36 offset:12288
	s_waitcnt lgkmcnt(1)
	v_add_nc_u32_e32 v2, v2, v53
	s_delay_alu instid0(VALU_DEP_1) | instskip(NEXT) | instid1(VALU_DEP_1)
	v_lshlrev_b64 v[39:40], 3, v[2:3]
	v_add_co_u32 v39, vcc_lo, s44, v39
	s_delay_alu instid0(VALU_DEP_2)
	v_add_co_ci_u32_e32 v40, vcc_lo, s45, v40, vcc_lo
	s_waitcnt lgkmcnt(0)
	global_store_b64 v[39:40], v[36:37], off
	s_or_b32 exec_lo, exec_lo, s16
	s_and_saveexec_b32 s16, s22
	s_cbranch_execnz .LBB1747_885
.LBB1747_870:                           ;   in Loop: Header=BB1747_688 Depth=2
	s_or_b32 exec_lo, exec_lo, s16
	s_and_saveexec_b32 s16, s23
	s_cbranch_execz .LBB1747_886
.LBB1747_871:                           ;   in Loop: Header=BB1747_688 Depth=2
	v_lshlrev_b32_e32 v2, 2, v136
	v_add_nc_u32_e32 v36, v79, v81
	ds_load_b32 v2, v2
	ds_load_b64 v[36:37], v36 offset:16384
	s_waitcnt lgkmcnt(1)
	v_add_nc_u32_e32 v2, v2, v55
	s_delay_alu instid0(VALU_DEP_1) | instskip(NEXT) | instid1(VALU_DEP_1)
	v_lshlrev_b64 v[39:40], 3, v[2:3]
	v_add_co_u32 v39, vcc_lo, s44, v39
	s_delay_alu instid0(VALU_DEP_2)
	v_add_co_ci_u32_e32 v40, vcc_lo, s45, v40, vcc_lo
	s_waitcnt lgkmcnt(0)
	global_store_b64 v[39:40], v[36:37], off
	s_or_b32 exec_lo, exec_lo, s16
	s_and_saveexec_b32 s16, s24
	s_cbranch_execnz .LBB1747_887
.LBB1747_872:                           ;   in Loop: Header=BB1747_688 Depth=2
	s_or_b32 exec_lo, exec_lo, s16
	s_and_saveexec_b32 s16, s25
	s_cbranch_execz .LBB1747_888
.LBB1747_873:                           ;   in Loop: Header=BB1747_688 Depth=2
	v_lshlrev_b32_e32 v2, 2, v134
	v_add_nc_u32_e32 v36, v79, v81
	ds_load_b32 v2, v2
	ds_load_b64 v[36:37], v36 offset:20480
	s_waitcnt lgkmcnt(1)
	v_add_nc_u32_e32 v2, v2, v57
	s_delay_alu instid0(VALU_DEP_1) | instskip(NEXT) | instid1(VALU_DEP_1)
	v_lshlrev_b64 v[39:40], 3, v[2:3]
	v_add_co_u32 v39, vcc_lo, s44, v39
	s_delay_alu instid0(VALU_DEP_2)
	v_add_co_ci_u32_e32 v40, vcc_lo, s45, v40, vcc_lo
	s_waitcnt lgkmcnt(0)
	global_store_b64 v[39:40], v[36:37], off
	s_or_b32 exec_lo, exec_lo, s16
	s_and_saveexec_b32 s16, s27
	s_cbranch_execnz .LBB1747_889
.LBB1747_874:                           ;   in Loop: Header=BB1747_688 Depth=2
	s_or_b32 exec_lo, exec_lo, s16
	s_and_saveexec_b32 s16, s28
	s_cbranch_execz .LBB1747_890
.LBB1747_875:                           ;   in Loop: Header=BB1747_688 Depth=2
	v_lshlrev_b32_e32 v2, 2, v132
	v_add_nc_u32_e32 v36, v79, v81
	ds_load_b32 v2, v2
	ds_load_b64 v[36:37], v36 offset:24576
	s_waitcnt lgkmcnt(1)
	v_add_nc_u32_e32 v2, v2, v59
	s_delay_alu instid0(VALU_DEP_1) | instskip(NEXT) | instid1(VALU_DEP_1)
	v_lshlrev_b64 v[39:40], 3, v[2:3]
	v_add_co_u32 v39, vcc_lo, s44, v39
	s_delay_alu instid0(VALU_DEP_2)
	v_add_co_ci_u32_e32 v40, vcc_lo, s45, v40, vcc_lo
	s_waitcnt lgkmcnt(0)
	global_store_b64 v[39:40], v[36:37], off
	s_or_b32 exec_lo, exec_lo, s16
	s_and_saveexec_b32 s16, s29
	s_cbranch_execnz .LBB1747_891
.LBB1747_876:                           ;   in Loop: Header=BB1747_688 Depth=2
	s_or_b32 exec_lo, exec_lo, s16
	s_and_saveexec_b32 s16, s30
	s_cbranch_execz .LBB1747_892
.LBB1747_877:                           ;   in Loop: Header=BB1747_688 Depth=2
	v_lshlrev_b32_e32 v2, 2, v130
	v_add_nc_u32_e32 v36, v79, v81
	ds_load_b32 v2, v2
	ds_load_b64 v[36:37], v36 offset:28672
	s_waitcnt lgkmcnt(1)
	v_add_nc_u32_e32 v2, v2, v61
	s_delay_alu instid0(VALU_DEP_1) | instskip(NEXT) | instid1(VALU_DEP_1)
	v_lshlrev_b64 v[39:40], 3, v[2:3]
	v_add_co_u32 v39, vcc_lo, s44, v39
	s_delay_alu instid0(VALU_DEP_2)
	v_add_co_ci_u32_e32 v40, vcc_lo, s45, v40, vcc_lo
	s_waitcnt lgkmcnt(0)
	global_store_b64 v[39:40], v[36:37], off
	s_or_b32 exec_lo, exec_lo, s16
	s_and_saveexec_b32 s16, s31
	s_cbranch_execnz .LBB1747_893
	s_branch .LBB1747_894
.LBB1747_878:                           ;   in Loop: Header=BB1747_688 Depth=2
	s_or_b32 exec_lo, exec_lo, s33
	s_and_saveexec_b32 s33, s16
	s_cbranch_execz .LBB1747_864
.LBB1747_879:                           ;   in Loop: Header=BB1747_688 Depth=2
	v_lshlrev_b32_e32 v2, 2, v143
	v_add_nc_u32_e32 v36, v79, v81
	ds_load_b32 v2, v2
	ds_load_b64 v[36:37], v36 offset:2048
	s_waitcnt lgkmcnt(1)
	v_add_nc_u32_e32 v2, v2, v45
	s_delay_alu instid0(VALU_DEP_1) | instskip(NEXT) | instid1(VALU_DEP_1)
	v_lshlrev_b64 v[39:40], 3, v[2:3]
	v_add_co_u32 v39, vcc_lo, s44, v39
	s_delay_alu instid0(VALU_DEP_2)
	v_add_co_ci_u32_e32 v40, vcc_lo, s45, v40, vcc_lo
	s_waitcnt lgkmcnt(0)
	global_store_b64 v[39:40], v[36:37], off
	s_or_b32 exec_lo, exec_lo, s33
	s_and_saveexec_b32 s16, s17
	s_cbranch_execnz .LBB1747_865
.LBB1747_880:                           ;   in Loop: Header=BB1747_688 Depth=2
	s_or_b32 exec_lo, exec_lo, s16
	s_and_saveexec_b32 s16, s18
	s_cbranch_execz .LBB1747_866
.LBB1747_881:                           ;   in Loop: Header=BB1747_688 Depth=2
	v_lshlrev_b32_e32 v2, 2, v141
	v_add_nc_u32_e32 v36, v79, v81
	ds_load_b32 v2, v2
	ds_load_b64 v[36:37], v36 offset:6144
	s_waitcnt lgkmcnt(1)
	v_add_nc_u32_e32 v2, v2, v47
	s_delay_alu instid0(VALU_DEP_1) | instskip(NEXT) | instid1(VALU_DEP_1)
	v_lshlrev_b64 v[39:40], 3, v[2:3]
	v_add_co_u32 v39, vcc_lo, s44, v39
	s_delay_alu instid0(VALU_DEP_2)
	v_add_co_ci_u32_e32 v40, vcc_lo, s45, v40, vcc_lo
	s_waitcnt lgkmcnt(0)
	global_store_b64 v[39:40], v[36:37], off
	s_or_b32 exec_lo, exec_lo, s16
	s_and_saveexec_b32 s16, s19
	s_cbranch_execnz .LBB1747_867
.LBB1747_882:                           ;   in Loop: Header=BB1747_688 Depth=2
	s_or_b32 exec_lo, exec_lo, s16
	s_and_saveexec_b32 s16, s20
	s_cbranch_execz .LBB1747_868
.LBB1747_883:                           ;   in Loop: Header=BB1747_688 Depth=2
	v_lshlrev_b32_e32 v2, 2, v139
	v_add_nc_u32_e32 v36, v79, v81
	ds_load_b32 v2, v2
	ds_load_b64 v[36:37], v36 offset:10240
	s_waitcnt lgkmcnt(1)
	v_add_nc_u32_e32 v2, v2, v52
	s_delay_alu instid0(VALU_DEP_1) | instskip(NEXT) | instid1(VALU_DEP_1)
	v_lshlrev_b64 v[39:40], 3, v[2:3]
	v_add_co_u32 v39, vcc_lo, s44, v39
	s_delay_alu instid0(VALU_DEP_2)
	v_add_co_ci_u32_e32 v40, vcc_lo, s45, v40, vcc_lo
	s_waitcnt lgkmcnt(0)
	global_store_b64 v[39:40], v[36:37], off
	s_or_b32 exec_lo, exec_lo, s16
	s_and_saveexec_b32 s16, s21
	s_cbranch_execnz .LBB1747_869
.LBB1747_884:                           ;   in Loop: Header=BB1747_688 Depth=2
	s_or_b32 exec_lo, exec_lo, s16
	s_and_saveexec_b32 s16, s22
	s_cbranch_execz .LBB1747_870
.LBB1747_885:                           ;   in Loop: Header=BB1747_688 Depth=2
	v_lshlrev_b32_e32 v2, 2, v137
	v_add_nc_u32_e32 v36, v79, v81
	ds_load_b32 v2, v2
	ds_load_b64 v[36:37], v36 offset:14336
	s_waitcnt lgkmcnt(1)
	v_add_nc_u32_e32 v2, v2, v54
	s_delay_alu instid0(VALU_DEP_1) | instskip(NEXT) | instid1(VALU_DEP_1)
	v_lshlrev_b64 v[39:40], 3, v[2:3]
	v_add_co_u32 v39, vcc_lo, s44, v39
	s_delay_alu instid0(VALU_DEP_2)
	v_add_co_ci_u32_e32 v40, vcc_lo, s45, v40, vcc_lo
	s_waitcnt lgkmcnt(0)
	global_store_b64 v[39:40], v[36:37], off
	s_or_b32 exec_lo, exec_lo, s16
	s_and_saveexec_b32 s16, s23
	s_cbranch_execnz .LBB1747_871
.LBB1747_886:                           ;   in Loop: Header=BB1747_688 Depth=2
	s_or_b32 exec_lo, exec_lo, s16
	s_and_saveexec_b32 s16, s24
	s_cbranch_execz .LBB1747_872
.LBB1747_887:                           ;   in Loop: Header=BB1747_688 Depth=2
	v_lshlrev_b32_e32 v2, 2, v135
	v_add_nc_u32_e32 v36, v79, v81
	ds_load_b32 v2, v2
	ds_load_b64 v[36:37], v36 offset:18432
	s_waitcnt lgkmcnt(1)
	v_add_nc_u32_e32 v2, v2, v56
	s_delay_alu instid0(VALU_DEP_1) | instskip(NEXT) | instid1(VALU_DEP_1)
	v_lshlrev_b64 v[39:40], 3, v[2:3]
	v_add_co_u32 v39, vcc_lo, s44, v39
	s_delay_alu instid0(VALU_DEP_2)
	v_add_co_ci_u32_e32 v40, vcc_lo, s45, v40, vcc_lo
	s_waitcnt lgkmcnt(0)
	global_store_b64 v[39:40], v[36:37], off
	s_or_b32 exec_lo, exec_lo, s16
	s_and_saveexec_b32 s16, s25
	s_cbranch_execnz .LBB1747_873
.LBB1747_888:                           ;   in Loop: Header=BB1747_688 Depth=2
	s_or_b32 exec_lo, exec_lo, s16
	s_and_saveexec_b32 s16, s27
	s_cbranch_execz .LBB1747_874
.LBB1747_889:                           ;   in Loop: Header=BB1747_688 Depth=2
	v_lshlrev_b32_e32 v2, 2, v133
	v_add_nc_u32_e32 v36, v79, v81
	ds_load_b32 v2, v2
	ds_load_b64 v[36:37], v36 offset:22528
	s_waitcnt lgkmcnt(1)
	v_add_nc_u32_e32 v2, v2, v58
	s_delay_alu instid0(VALU_DEP_1) | instskip(NEXT) | instid1(VALU_DEP_1)
	v_lshlrev_b64 v[39:40], 3, v[2:3]
	v_add_co_u32 v39, vcc_lo, s44, v39
	s_delay_alu instid0(VALU_DEP_2)
	v_add_co_ci_u32_e32 v40, vcc_lo, s45, v40, vcc_lo
	s_waitcnt lgkmcnt(0)
	global_store_b64 v[39:40], v[36:37], off
	s_or_b32 exec_lo, exec_lo, s16
	s_and_saveexec_b32 s16, s28
	s_cbranch_execnz .LBB1747_875
.LBB1747_890:                           ;   in Loop: Header=BB1747_688 Depth=2
	s_or_b32 exec_lo, exec_lo, s16
	s_and_saveexec_b32 s16, s29
	s_cbranch_execz .LBB1747_876
.LBB1747_891:                           ;   in Loop: Header=BB1747_688 Depth=2
	v_lshlrev_b32_e32 v2, 2, v131
	v_add_nc_u32_e32 v36, v79, v81
	ds_load_b32 v2, v2
	ds_load_b64 v[36:37], v36 offset:26624
	s_waitcnt lgkmcnt(1)
	v_add_nc_u32_e32 v2, v2, v60
	s_delay_alu instid0(VALU_DEP_1) | instskip(NEXT) | instid1(VALU_DEP_1)
	v_lshlrev_b64 v[39:40], 3, v[2:3]
	v_add_co_u32 v39, vcc_lo, s44, v39
	s_delay_alu instid0(VALU_DEP_2)
	v_add_co_ci_u32_e32 v40, vcc_lo, s45, v40, vcc_lo
	s_waitcnt lgkmcnt(0)
	global_store_b64 v[39:40], v[36:37], off
	s_or_b32 exec_lo, exec_lo, s16
	s_and_saveexec_b32 s16, s30
	s_cbranch_execnz .LBB1747_877
.LBB1747_892:                           ;   in Loop: Header=BB1747_688 Depth=2
	s_or_b32 exec_lo, exec_lo, s16
	s_and_saveexec_b32 s16, s31
	s_cbranch_execz .LBB1747_894
.LBB1747_893:                           ;   in Loop: Header=BB1747_688 Depth=2
	v_lshlrev_b32_e32 v2, 2, v129
	v_add_nc_u32_e32 v36, v79, v81
	ds_load_b32 v2, v2
	ds_load_b64 v[36:37], v36 offset:30720
	s_waitcnt lgkmcnt(1)
	v_add_nc_u32_e32 v2, v2, v63
	s_delay_alu instid0(VALU_DEP_1) | instskip(NEXT) | instid1(VALU_DEP_1)
	v_lshlrev_b64 v[39:40], 3, v[2:3]
	v_add_co_u32 v39, vcc_lo, s44, v39
	s_delay_alu instid0(VALU_DEP_2)
	v_add_co_ci_u32_e32 v40, vcc_lo, s45, v40, vcc_lo
	s_waitcnt lgkmcnt(0)
	global_store_b64 v[39:40], v[36:37], off
.LBB1747_894:                           ;   in Loop: Header=BB1747_688 Depth=2
	s_or_b32 exec_lo, exec_lo, s16
	s_waitcnt_vscnt null, 0x0
	s_barrier
	buffer_gl0_inv
	s_and_saveexec_b32 s16, s2
	s_cbranch_execz .LBB1747_687
; %bb.895:                              ;   in Loop: Header=BB1747_688 Depth=2
	ds_load_b32 v2, v44
	s_waitcnt lgkmcnt(0)
	v_add_nc_u32_e32 v2, v2, v38
	ds_store_b32 v44, v2
	s_branch .LBB1747_687
.LBB1747_896:                           ;   in Loop: Header=BB1747_12 Depth=1
	s_waitcnt lgkmcnt(0)
	s_mov_b32 s0, 0
	s_barrier
.LBB1747_897:                           ;   in Loop: Header=BB1747_12 Depth=1
	s_and_b32 vcc_lo, exec_lo, s0
	s_cbranch_vccz .LBB1747_11
; %bb.898:                              ;   in Loop: Header=BB1747_12 Depth=1
	s_mov_b32 s8, s54
	s_mov_b32 s34, s52
	s_barrier
	buffer_gl0_inv
                                        ; implicit-def: $vgpr20
                                        ; implicit-def: $vgpr2
                                        ; implicit-def: $vgpr6
                                        ; implicit-def: $vgpr7
                                        ; implicit-def: $vgpr8
                                        ; implicit-def: $vgpr9
                                        ; implicit-def: $vgpr10
                                        ; implicit-def: $vgpr11
                                        ; implicit-def: $vgpr12
                                        ; implicit-def: $vgpr13
                                        ; implicit-def: $vgpr14
                                        ; implicit-def: $vgpr15
                                        ; implicit-def: $vgpr16
                                        ; implicit-def: $vgpr17
                                        ; implicit-def: $vgpr18
                                        ; implicit-def: $vgpr19
	s_branch .LBB1747_900
.LBB1747_899:                           ;   in Loop: Header=BB1747_900 Depth=2
	s_or_b32 exec_lo, exec_lo, s0
	s_addk_i32 s8, 0xf000
	s_cmp_ge_u32 s9, s53
	s_mov_b32 s34, s9
	s_cbranch_scc1 .LBB1747_970
.LBB1747_900:                           ;   Parent Loop BB1747_12 Depth=1
                                        ; =>  This Inner Loop Header: Depth=2
	s_add_i32 s9, s34, 0x1000
	s_delay_alu instid0(SALU_CYCLE_1)
	s_cmp_gt_u32 s9, s53
	s_cbranch_scc1 .LBB1747_903
; %bb.901:                              ;   in Loop: Header=BB1747_900 Depth=2
	s_mov_b32 s1, 0
	s_mov_b32 s0, s34
	s_delay_alu instid0(SALU_CYCLE_1) | instskip(NEXT) | instid1(SALU_CYCLE_1)
	s_lshl_b64 s[10:11], s[0:1], 1
	v_add_co_u32 v4, vcc_lo, v88, s10
	v_add_co_ci_u32_e32 v5, vcc_lo, s11, v89, vcc_lo
	s_movk_i32 s11, 0x1000
	s_waitcnt vmcnt(0)
	s_delay_alu instid0(VALU_DEP_2) | instskip(NEXT) | instid1(VALU_DEP_2)
	v_add_co_u32 v36, vcc_lo, 0x1000, v4
	v_add_co_ci_u32_e32 v37, vcc_lo, 0, v5, vcc_lo
	s_clause 0xe
	global_load_u16 v22, v[4:5], off
	global_load_u16 v23, v[4:5], off offset:512
	global_load_u16 v24, v[4:5], off offset:1024
	;; [unrolled: 1-line block ×7, first 2 shown]
	global_load_u16 v30, v[36:37], off
	global_load_u16 v31, v[36:37], off offset:512
	global_load_u16 v32, v[36:37], off offset:1024
	;; [unrolled: 1-line block ×6, first 2 shown]
	v_add_co_u32 v4, vcc_lo, 0x1e00, v4
	v_add_co_ci_u32_e32 v5, vcc_lo, 0, v5, vcc_lo
	s_mov_b32 s10, -1
	s_cbranch_execz .LBB1747_904
; %bb.902:                              ;   in Loop: Header=BB1747_900 Depth=2
                                        ; implicit-def: $vgpr19
                                        ; implicit-def: $vgpr18
                                        ; implicit-def: $vgpr17
                                        ; implicit-def: $vgpr16
                                        ; implicit-def: $vgpr15
                                        ; implicit-def: $vgpr14
                                        ; implicit-def: $vgpr13
                                        ; implicit-def: $vgpr12
                                        ; implicit-def: $vgpr11
                                        ; implicit-def: $vgpr10
                                        ; implicit-def: $vgpr9
                                        ; implicit-def: $vgpr8
                                        ; implicit-def: $vgpr7
                                        ; implicit-def: $vgpr6
                                        ; implicit-def: $vgpr2
                                        ; implicit-def: $vgpr20
	v_mov_b32_e32 v21, s8
	s_and_saveexec_b32 s0, s10
	s_cbranch_execnz .LBB1747_923
	s_branch .LBB1747_924
.LBB1747_903:                           ;   in Loop: Header=BB1747_900 Depth=2
	s_mov_b32 s10, 0
                                        ; implicit-def: $sgpr11
                                        ; implicit-def: $vgpr22
                                        ; implicit-def: $vgpr23
                                        ; implicit-def: $vgpr24
                                        ; implicit-def: $vgpr25
                                        ; implicit-def: $vgpr26
                                        ; implicit-def: $vgpr27
                                        ; implicit-def: $vgpr28
                                        ; implicit-def: $vgpr29
                                        ; implicit-def: $vgpr30
                                        ; implicit-def: $vgpr31
                                        ; implicit-def: $vgpr32
                                        ; implicit-def: $vgpr33
                                        ; implicit-def: $vgpr34
                                        ; implicit-def: $vgpr35
                                        ; implicit-def: $vgpr36
                                        ; implicit-def: $vgpr4_vgpr5
.LBB1747_904:                           ;   in Loop: Header=BB1747_900 Depth=2
	s_lshl_b64 s[0:1], s[34:35], 1
	s_mov_b32 s11, exec_lo
	s_add_u32 s0, s36, s0
	s_addc_u32 s1, s37, s1
	v_cmpx_gt_u32_e64 s8, v1
	s_cbranch_execz .LBB1747_956
; %bb.905:                              ;   in Loop: Header=BB1747_900 Depth=2
	global_load_u16 v19, v95, s[0:1]
	s_or_b32 exec_lo, exec_lo, s11
	s_delay_alu instid0(SALU_CYCLE_1)
	s_mov_b32 s11, exec_lo
	v_cmpx_gt_u32_e64 s8, v45
	s_cbranch_execnz .LBB1747_957
.LBB1747_906:                           ;   in Loop: Header=BB1747_900 Depth=2
	s_or_b32 exec_lo, exec_lo, s11
	s_delay_alu instid0(SALU_CYCLE_1)
	s_mov_b32 s11, exec_lo
	v_cmpx_gt_u32_e64 s8, v46
	s_cbranch_execz .LBB1747_958
.LBB1747_907:                           ;   in Loop: Header=BB1747_900 Depth=2
	global_load_u16 v17, v95, s[0:1] offset:1024
	s_or_b32 exec_lo, exec_lo, s11
	s_delay_alu instid0(SALU_CYCLE_1)
	s_mov_b32 s11, exec_lo
	v_cmpx_gt_u32_e64 s8, v47
	s_cbranch_execnz .LBB1747_959
.LBB1747_908:                           ;   in Loop: Header=BB1747_900 Depth=2
	s_or_b32 exec_lo, exec_lo, s11
	s_delay_alu instid0(SALU_CYCLE_1)
	s_mov_b32 s11, exec_lo
	v_cmpx_gt_u32_e64 s8, v51
	s_cbranch_execz .LBB1747_960
.LBB1747_909:                           ;   in Loop: Header=BB1747_900 Depth=2
	global_load_u16 v15, v95, s[0:1] offset:2048
	s_or_b32 exec_lo, exec_lo, s11
	s_delay_alu instid0(SALU_CYCLE_1)
	s_mov_b32 s11, exec_lo
	v_cmpx_gt_u32_e64 s8, v52
	s_cbranch_execnz .LBB1747_961
.LBB1747_910:                           ;   in Loop: Header=BB1747_900 Depth=2
	s_or_b32 exec_lo, exec_lo, s11
	s_delay_alu instid0(SALU_CYCLE_1)
	s_mov_b32 s11, exec_lo
	v_cmpx_gt_u32_e64 s8, v53
	s_cbranch_execz .LBB1747_962
.LBB1747_911:                           ;   in Loop: Header=BB1747_900 Depth=2
	global_load_u16 v13, v95, s[0:1] offset:3072
	s_or_b32 exec_lo, exec_lo, s11
	s_delay_alu instid0(SALU_CYCLE_1)
	s_mov_b32 s11, exec_lo
	v_cmpx_gt_u32_e64 s8, v54
	s_cbranch_execnz .LBB1747_963
.LBB1747_912:                           ;   in Loop: Header=BB1747_900 Depth=2
	s_or_b32 exec_lo, exec_lo, s11
	s_delay_alu instid0(SALU_CYCLE_1)
	s_mov_b32 s11, exec_lo
	v_cmpx_gt_u32_e64 s8, v55
	s_cbranch_execz .LBB1747_964
.LBB1747_913:                           ;   in Loop: Header=BB1747_900 Depth=2
	global_load_u16 v11, v96, s[0:1]
	s_or_b32 exec_lo, exec_lo, s11
	s_delay_alu instid0(SALU_CYCLE_1)
	s_mov_b32 s11, exec_lo
	v_cmpx_gt_u32_e64 s8, v56
	s_cbranch_execnz .LBB1747_965
.LBB1747_914:                           ;   in Loop: Header=BB1747_900 Depth=2
	s_or_b32 exec_lo, exec_lo, s11
	s_delay_alu instid0(SALU_CYCLE_1)
	s_mov_b32 s11, exec_lo
	v_cmpx_gt_u32_e64 s8, v57
	s_cbranch_execz .LBB1747_966
.LBB1747_915:                           ;   in Loop: Header=BB1747_900 Depth=2
	global_load_u16 v9, v98, s[0:1]
	s_or_b32 exec_lo, exec_lo, s11
	s_delay_alu instid0(SALU_CYCLE_1)
	s_mov_b32 s11, exec_lo
	v_cmpx_gt_u32_e64 s8, v58
	s_cbranch_execnz .LBB1747_967
.LBB1747_916:                           ;   in Loop: Header=BB1747_900 Depth=2
	s_or_b32 exec_lo, exec_lo, s11
	s_delay_alu instid0(SALU_CYCLE_1)
	s_mov_b32 s11, exec_lo
	v_cmpx_gt_u32_e64 s8, v59
	s_cbranch_execz .LBB1747_968
.LBB1747_917:                           ;   in Loop: Header=BB1747_900 Depth=2
	global_load_u16 v7, v100, s[0:1]
	s_or_b32 exec_lo, exec_lo, s11
	s_delay_alu instid0(SALU_CYCLE_1)
	s_mov_b32 s11, exec_lo
	v_cmpx_gt_u32_e64 s8, v60
	s_cbranch_execnz .LBB1747_969
.LBB1747_918:                           ;   in Loop: Header=BB1747_900 Depth=2
	s_or_b32 exec_lo, exec_lo, s11
	s_delay_alu instid0(SALU_CYCLE_1)
	s_mov_b32 s11, exec_lo
	v_cmpx_gt_u32_e64 s8, v61
	s_cbranch_execz .LBB1747_920
.LBB1747_919:                           ;   in Loop: Header=BB1747_900 Depth=2
	global_load_u16 v2, v102, s[0:1]
.LBB1747_920:                           ;   in Loop: Header=BB1747_900 Depth=2
	s_or_b32 exec_lo, exec_lo, s11
	s_delay_alu instid0(SALU_CYCLE_1)
	s_mov_b32 s12, exec_lo
                                        ; implicit-def: $sgpr11
                                        ; implicit-def: $vgpr4_vgpr5
	v_cmpx_gt_u32_e64 s8, v63
; %bb.921:                              ;   in Loop: Header=BB1747_900 Depth=2
	v_add_co_u32 v4, s0, s0, v103
	s_delay_alu instid0(VALU_DEP_1)
	v_add_co_ci_u32_e64 v5, null, s1, 0, s0
	s_sub_i32 s11, s53, s34
	s_or_b32 s10, s10, exec_lo
                                        ; implicit-def: $vgpr20
; %bb.922:                              ;   in Loop: Header=BB1747_900 Depth=2
	s_or_b32 exec_lo, exec_lo, s12
	s_waitcnt vmcnt(0)
	v_dual_mov_b32 v22, v19 :: v_dual_mov_b32 v23, v18
	v_dual_mov_b32 v24, v17 :: v_dual_mov_b32 v25, v16
	;; [unrolled: 1-line block ×8, first 2 shown]
	s_and_saveexec_b32 s0, s10
	s_cbranch_execz .LBB1747_924
.LBB1747_923:                           ;   in Loop: Header=BB1747_900 Depth=2
	global_load_u16 v20, v[4:5], off
	s_waitcnt vmcnt(1)
	v_dual_mov_b32 v21, s11 :: v_dual_mov_b32 v2, v36
	v_dual_mov_b32 v6, v35 :: v_dual_mov_b32 v7, v34
	;; [unrolled: 1-line block ×8, first 2 shown]
.LBB1747_924:                           ;   in Loop: Header=BB1747_900 Depth=2
	s_or_b32 exec_lo, exec_lo, s0
	v_lshlrev_b32_e32 v4, 2, v48
	s_mov_b32 s0, exec_lo
	v_cmpx_lt_u32_e64 v1, v21
	s_cbranch_execz .LBB1747_940
; %bb.925:                              ;   in Loop: Header=BB1747_900 Depth=2
	v_cmp_gt_i16_e32 vcc_lo, 0, v19
	v_cndmask_b32_e64 v5, 0x7fff, 0, vcc_lo
	s_delay_alu instid0(VALU_DEP_1) | instskip(NEXT) | instid1(VALU_DEP_1)
	v_xor_b32_e32 v5, v5, v19
	v_cmp_ne_u16_e32 vcc_lo, 0x8000, v5
	v_cndmask_b32_e32 v5, 0x7fff, v5, vcc_lo
	s_delay_alu instid0(VALU_DEP_1) | instskip(NEXT) | instid1(VALU_DEP_1)
	v_and_b32_e32 v5, 0xffff, v5
	v_lshrrev_b32_e32 v5, s49, v5
	s_delay_alu instid0(VALU_DEP_1) | instskip(NEXT) | instid1(VALU_DEP_1)
	v_and_b32_e32 v5, s55, v5
	v_lshl_or_b32 v5, v5, 4, v4
	ds_add_u32 v5, v94
	s_or_b32 exec_lo, exec_lo, s0
	s_delay_alu instid0(SALU_CYCLE_1)
	s_mov_b32 s0, exec_lo
	v_cmpx_lt_u32_e64 v45, v21
	s_cbranch_execnz .LBB1747_941
.LBB1747_926:                           ;   in Loop: Header=BB1747_900 Depth=2
	s_or_b32 exec_lo, exec_lo, s0
	s_delay_alu instid0(SALU_CYCLE_1)
	s_mov_b32 s0, exec_lo
	v_cmpx_lt_u32_e64 v46, v21
	s_cbranch_execz .LBB1747_942
.LBB1747_927:                           ;   in Loop: Header=BB1747_900 Depth=2
	v_cmp_gt_i16_e32 vcc_lo, 0, v17
	v_cndmask_b32_e64 v5, 0x7fff, 0, vcc_lo
	s_delay_alu instid0(VALU_DEP_1) | instskip(NEXT) | instid1(VALU_DEP_1)
	v_xor_b32_e32 v5, v5, v17
	v_cmp_ne_u16_e32 vcc_lo, 0x8000, v5
	v_cndmask_b32_e32 v5, 0x7fff, v5, vcc_lo
	s_delay_alu instid0(VALU_DEP_1) | instskip(NEXT) | instid1(VALU_DEP_1)
	v_and_b32_e32 v5, 0xffff, v5
	v_lshrrev_b32_e32 v5, s49, v5
	s_delay_alu instid0(VALU_DEP_1) | instskip(NEXT) | instid1(VALU_DEP_1)
	v_and_b32_e32 v5, s55, v5
	v_lshl_or_b32 v5, v5, 4, v4
	ds_add_u32 v5, v94
	s_or_b32 exec_lo, exec_lo, s0
	s_delay_alu instid0(SALU_CYCLE_1)
	s_mov_b32 s0, exec_lo
	v_cmpx_lt_u32_e64 v47, v21
	s_cbranch_execnz .LBB1747_943
.LBB1747_928:                           ;   in Loop: Header=BB1747_900 Depth=2
	s_or_b32 exec_lo, exec_lo, s0
	s_delay_alu instid0(SALU_CYCLE_1)
	s_mov_b32 s0, exec_lo
	v_cmpx_lt_u32_e64 v51, v21
	s_cbranch_execz .LBB1747_944
.LBB1747_929:                           ;   in Loop: Header=BB1747_900 Depth=2
	v_cmp_gt_i16_e32 vcc_lo, 0, v15
	v_cndmask_b32_e64 v5, 0x7fff, 0, vcc_lo
	s_delay_alu instid0(VALU_DEP_1) | instskip(NEXT) | instid1(VALU_DEP_1)
	v_xor_b32_e32 v5, v5, v15
	v_cmp_ne_u16_e32 vcc_lo, 0x8000, v5
	v_cndmask_b32_e32 v5, 0x7fff, v5, vcc_lo
	s_delay_alu instid0(VALU_DEP_1) | instskip(NEXT) | instid1(VALU_DEP_1)
	v_and_b32_e32 v5, 0xffff, v5
	v_lshrrev_b32_e32 v5, s49, v5
	s_delay_alu instid0(VALU_DEP_1) | instskip(NEXT) | instid1(VALU_DEP_1)
	v_and_b32_e32 v5, s55, v5
	v_lshl_or_b32 v5, v5, 4, v4
	ds_add_u32 v5, v94
	s_or_b32 exec_lo, exec_lo, s0
	s_delay_alu instid0(SALU_CYCLE_1)
	s_mov_b32 s0, exec_lo
	v_cmpx_lt_u32_e64 v52, v21
	s_cbranch_execnz .LBB1747_945
.LBB1747_930:                           ;   in Loop: Header=BB1747_900 Depth=2
	s_or_b32 exec_lo, exec_lo, s0
	s_delay_alu instid0(SALU_CYCLE_1)
	s_mov_b32 s0, exec_lo
	v_cmpx_lt_u32_e64 v53, v21
	s_cbranch_execz .LBB1747_946
.LBB1747_931:                           ;   in Loop: Header=BB1747_900 Depth=2
	v_cmp_gt_i16_e32 vcc_lo, 0, v13
	v_cndmask_b32_e64 v5, 0x7fff, 0, vcc_lo
	s_delay_alu instid0(VALU_DEP_1) | instskip(NEXT) | instid1(VALU_DEP_1)
	v_xor_b32_e32 v5, v5, v13
	v_cmp_ne_u16_e32 vcc_lo, 0x8000, v5
	v_cndmask_b32_e32 v5, 0x7fff, v5, vcc_lo
	s_delay_alu instid0(VALU_DEP_1) | instskip(NEXT) | instid1(VALU_DEP_1)
	v_and_b32_e32 v5, 0xffff, v5
	v_lshrrev_b32_e32 v5, s49, v5
	s_delay_alu instid0(VALU_DEP_1) | instskip(NEXT) | instid1(VALU_DEP_1)
	v_and_b32_e32 v5, s55, v5
	v_lshl_or_b32 v5, v5, 4, v4
	ds_add_u32 v5, v94
	s_or_b32 exec_lo, exec_lo, s0
	s_delay_alu instid0(SALU_CYCLE_1)
	s_mov_b32 s0, exec_lo
	v_cmpx_lt_u32_e64 v54, v21
	s_cbranch_execnz .LBB1747_947
.LBB1747_932:                           ;   in Loop: Header=BB1747_900 Depth=2
	s_or_b32 exec_lo, exec_lo, s0
	s_delay_alu instid0(SALU_CYCLE_1)
	s_mov_b32 s0, exec_lo
	v_cmpx_lt_u32_e64 v55, v21
	s_cbranch_execz .LBB1747_948
.LBB1747_933:                           ;   in Loop: Header=BB1747_900 Depth=2
	v_cmp_gt_i16_e32 vcc_lo, 0, v11
	v_cndmask_b32_e64 v5, 0x7fff, 0, vcc_lo
	s_delay_alu instid0(VALU_DEP_1) | instskip(NEXT) | instid1(VALU_DEP_1)
	v_xor_b32_e32 v5, v5, v11
	v_cmp_ne_u16_e32 vcc_lo, 0x8000, v5
	v_cndmask_b32_e32 v5, 0x7fff, v5, vcc_lo
	s_delay_alu instid0(VALU_DEP_1) | instskip(NEXT) | instid1(VALU_DEP_1)
	v_and_b32_e32 v5, 0xffff, v5
	v_lshrrev_b32_e32 v5, s49, v5
	s_delay_alu instid0(VALU_DEP_1) | instskip(NEXT) | instid1(VALU_DEP_1)
	v_and_b32_e32 v5, s55, v5
	v_lshl_or_b32 v5, v5, 4, v4
	ds_add_u32 v5, v94
	s_or_b32 exec_lo, exec_lo, s0
	s_delay_alu instid0(SALU_CYCLE_1)
	s_mov_b32 s0, exec_lo
	v_cmpx_lt_u32_e64 v56, v21
	s_cbranch_execnz .LBB1747_949
.LBB1747_934:                           ;   in Loop: Header=BB1747_900 Depth=2
	s_or_b32 exec_lo, exec_lo, s0
	s_delay_alu instid0(SALU_CYCLE_1)
	s_mov_b32 s0, exec_lo
	v_cmpx_lt_u32_e64 v57, v21
	s_cbranch_execz .LBB1747_950
.LBB1747_935:                           ;   in Loop: Header=BB1747_900 Depth=2
	v_cmp_gt_i16_e32 vcc_lo, 0, v9
	v_cndmask_b32_e64 v5, 0x7fff, 0, vcc_lo
	s_delay_alu instid0(VALU_DEP_1) | instskip(NEXT) | instid1(VALU_DEP_1)
	v_xor_b32_e32 v5, v5, v9
	v_cmp_ne_u16_e32 vcc_lo, 0x8000, v5
	v_cndmask_b32_e32 v5, 0x7fff, v5, vcc_lo
	s_delay_alu instid0(VALU_DEP_1) | instskip(NEXT) | instid1(VALU_DEP_1)
	v_and_b32_e32 v5, 0xffff, v5
	v_lshrrev_b32_e32 v5, s49, v5
	s_delay_alu instid0(VALU_DEP_1) | instskip(NEXT) | instid1(VALU_DEP_1)
	v_and_b32_e32 v5, s55, v5
	v_lshl_or_b32 v5, v5, 4, v4
	ds_add_u32 v5, v94
	s_or_b32 exec_lo, exec_lo, s0
	s_delay_alu instid0(SALU_CYCLE_1)
	s_mov_b32 s0, exec_lo
	v_cmpx_lt_u32_e64 v58, v21
	s_cbranch_execnz .LBB1747_951
.LBB1747_936:                           ;   in Loop: Header=BB1747_900 Depth=2
	s_or_b32 exec_lo, exec_lo, s0
	s_delay_alu instid0(SALU_CYCLE_1)
	s_mov_b32 s0, exec_lo
	v_cmpx_lt_u32_e64 v59, v21
	s_cbranch_execz .LBB1747_952
.LBB1747_937:                           ;   in Loop: Header=BB1747_900 Depth=2
	v_cmp_gt_i16_e32 vcc_lo, 0, v7
	v_cndmask_b32_e64 v5, 0x7fff, 0, vcc_lo
	s_delay_alu instid0(VALU_DEP_1) | instskip(NEXT) | instid1(VALU_DEP_1)
	v_xor_b32_e32 v5, v5, v7
	v_cmp_ne_u16_e32 vcc_lo, 0x8000, v5
	v_cndmask_b32_e32 v5, 0x7fff, v5, vcc_lo
	s_delay_alu instid0(VALU_DEP_1) | instskip(NEXT) | instid1(VALU_DEP_1)
	v_and_b32_e32 v5, 0xffff, v5
	v_lshrrev_b32_e32 v5, s49, v5
	s_delay_alu instid0(VALU_DEP_1) | instskip(NEXT) | instid1(VALU_DEP_1)
	v_and_b32_e32 v5, s55, v5
	v_lshl_or_b32 v5, v5, 4, v4
	ds_add_u32 v5, v94
	s_or_b32 exec_lo, exec_lo, s0
	s_delay_alu instid0(SALU_CYCLE_1)
	s_mov_b32 s0, exec_lo
	v_cmpx_lt_u32_e64 v60, v21
	s_cbranch_execnz .LBB1747_953
.LBB1747_938:                           ;   in Loop: Header=BB1747_900 Depth=2
	s_or_b32 exec_lo, exec_lo, s0
	s_delay_alu instid0(SALU_CYCLE_1)
	s_mov_b32 s0, exec_lo
	v_cmpx_lt_u32_e64 v61, v21
	s_cbranch_execz .LBB1747_954
.LBB1747_939:                           ;   in Loop: Header=BB1747_900 Depth=2
	v_cmp_gt_i16_e32 vcc_lo, 0, v2
	v_cndmask_b32_e64 v5, 0x7fff, 0, vcc_lo
	s_delay_alu instid0(VALU_DEP_1) | instskip(NEXT) | instid1(VALU_DEP_1)
	v_xor_b32_e32 v5, v5, v2
	v_cmp_ne_u16_e32 vcc_lo, 0x8000, v5
	v_cndmask_b32_e32 v5, 0x7fff, v5, vcc_lo
	s_delay_alu instid0(VALU_DEP_1) | instskip(NEXT) | instid1(VALU_DEP_1)
	v_and_b32_e32 v5, 0xffff, v5
	v_lshrrev_b32_e32 v5, s49, v5
	s_delay_alu instid0(VALU_DEP_1) | instskip(NEXT) | instid1(VALU_DEP_1)
	v_and_b32_e32 v5, s55, v5
	v_lshl_or_b32 v5, v5, 4, v4
	ds_add_u32 v5, v94
	s_or_b32 exec_lo, exec_lo, s0
	s_delay_alu instid0(SALU_CYCLE_1)
	s_mov_b32 s0, exec_lo
	v_cmpx_lt_u32_e64 v63, v21
	s_cbranch_execz .LBB1747_899
	s_branch .LBB1747_955
.LBB1747_940:                           ;   in Loop: Header=BB1747_900 Depth=2
	s_or_b32 exec_lo, exec_lo, s0
	s_delay_alu instid0(SALU_CYCLE_1)
	s_mov_b32 s0, exec_lo
	v_cmpx_lt_u32_e64 v45, v21
	s_cbranch_execz .LBB1747_926
.LBB1747_941:                           ;   in Loop: Header=BB1747_900 Depth=2
	v_cmp_gt_i16_e32 vcc_lo, 0, v18
	v_cndmask_b32_e64 v5, 0x7fff, 0, vcc_lo
	s_delay_alu instid0(VALU_DEP_1) | instskip(NEXT) | instid1(VALU_DEP_1)
	v_xor_b32_e32 v5, v5, v18
	v_cmp_ne_u16_e32 vcc_lo, 0x8000, v5
	v_cndmask_b32_e32 v5, 0x7fff, v5, vcc_lo
	s_delay_alu instid0(VALU_DEP_1) | instskip(NEXT) | instid1(VALU_DEP_1)
	v_and_b32_e32 v5, 0xffff, v5
	v_lshrrev_b32_e32 v5, s49, v5
	s_delay_alu instid0(VALU_DEP_1) | instskip(NEXT) | instid1(VALU_DEP_1)
	v_and_b32_e32 v5, s55, v5
	v_lshl_or_b32 v5, v5, 4, v4
	ds_add_u32 v5, v94
	s_or_b32 exec_lo, exec_lo, s0
	s_delay_alu instid0(SALU_CYCLE_1)
	s_mov_b32 s0, exec_lo
	v_cmpx_lt_u32_e64 v46, v21
	s_cbranch_execnz .LBB1747_927
.LBB1747_942:                           ;   in Loop: Header=BB1747_900 Depth=2
	s_or_b32 exec_lo, exec_lo, s0
	s_delay_alu instid0(SALU_CYCLE_1)
	s_mov_b32 s0, exec_lo
	v_cmpx_lt_u32_e64 v47, v21
	s_cbranch_execz .LBB1747_928
.LBB1747_943:                           ;   in Loop: Header=BB1747_900 Depth=2
	v_cmp_gt_i16_e32 vcc_lo, 0, v16
	v_cndmask_b32_e64 v5, 0x7fff, 0, vcc_lo
	s_delay_alu instid0(VALU_DEP_1) | instskip(NEXT) | instid1(VALU_DEP_1)
	v_xor_b32_e32 v5, v5, v16
	v_cmp_ne_u16_e32 vcc_lo, 0x8000, v5
	v_cndmask_b32_e32 v5, 0x7fff, v5, vcc_lo
	s_delay_alu instid0(VALU_DEP_1) | instskip(NEXT) | instid1(VALU_DEP_1)
	v_and_b32_e32 v5, 0xffff, v5
	v_lshrrev_b32_e32 v5, s49, v5
	s_delay_alu instid0(VALU_DEP_1) | instskip(NEXT) | instid1(VALU_DEP_1)
	v_and_b32_e32 v5, s55, v5
	v_lshl_or_b32 v5, v5, 4, v4
	ds_add_u32 v5, v94
	s_or_b32 exec_lo, exec_lo, s0
	s_delay_alu instid0(SALU_CYCLE_1)
	s_mov_b32 s0, exec_lo
	v_cmpx_lt_u32_e64 v51, v21
	s_cbranch_execnz .LBB1747_929
.LBB1747_944:                           ;   in Loop: Header=BB1747_900 Depth=2
	s_or_b32 exec_lo, exec_lo, s0
	s_delay_alu instid0(SALU_CYCLE_1)
	s_mov_b32 s0, exec_lo
	v_cmpx_lt_u32_e64 v52, v21
	s_cbranch_execz .LBB1747_930
.LBB1747_945:                           ;   in Loop: Header=BB1747_900 Depth=2
	v_cmp_gt_i16_e32 vcc_lo, 0, v14
	v_cndmask_b32_e64 v5, 0x7fff, 0, vcc_lo
	s_delay_alu instid0(VALU_DEP_1) | instskip(NEXT) | instid1(VALU_DEP_1)
	v_xor_b32_e32 v5, v5, v14
	v_cmp_ne_u16_e32 vcc_lo, 0x8000, v5
	v_cndmask_b32_e32 v5, 0x7fff, v5, vcc_lo
	s_delay_alu instid0(VALU_DEP_1) | instskip(NEXT) | instid1(VALU_DEP_1)
	v_and_b32_e32 v5, 0xffff, v5
	v_lshrrev_b32_e32 v5, s49, v5
	s_delay_alu instid0(VALU_DEP_1) | instskip(NEXT) | instid1(VALU_DEP_1)
	v_and_b32_e32 v5, s55, v5
	v_lshl_or_b32 v5, v5, 4, v4
	ds_add_u32 v5, v94
	s_or_b32 exec_lo, exec_lo, s0
	s_delay_alu instid0(SALU_CYCLE_1)
	s_mov_b32 s0, exec_lo
	v_cmpx_lt_u32_e64 v53, v21
	s_cbranch_execnz .LBB1747_931
.LBB1747_946:                           ;   in Loop: Header=BB1747_900 Depth=2
	s_or_b32 exec_lo, exec_lo, s0
	s_delay_alu instid0(SALU_CYCLE_1)
	s_mov_b32 s0, exec_lo
	v_cmpx_lt_u32_e64 v54, v21
	s_cbranch_execz .LBB1747_932
.LBB1747_947:                           ;   in Loop: Header=BB1747_900 Depth=2
	v_cmp_gt_i16_e32 vcc_lo, 0, v12
	v_cndmask_b32_e64 v5, 0x7fff, 0, vcc_lo
	s_delay_alu instid0(VALU_DEP_1) | instskip(NEXT) | instid1(VALU_DEP_1)
	v_xor_b32_e32 v5, v5, v12
	v_cmp_ne_u16_e32 vcc_lo, 0x8000, v5
	v_cndmask_b32_e32 v5, 0x7fff, v5, vcc_lo
	s_delay_alu instid0(VALU_DEP_1) | instskip(NEXT) | instid1(VALU_DEP_1)
	v_and_b32_e32 v5, 0xffff, v5
	v_lshrrev_b32_e32 v5, s49, v5
	s_delay_alu instid0(VALU_DEP_1) | instskip(NEXT) | instid1(VALU_DEP_1)
	v_and_b32_e32 v5, s55, v5
	v_lshl_or_b32 v5, v5, 4, v4
	ds_add_u32 v5, v94
	s_or_b32 exec_lo, exec_lo, s0
	s_delay_alu instid0(SALU_CYCLE_1)
	s_mov_b32 s0, exec_lo
	v_cmpx_lt_u32_e64 v55, v21
	s_cbranch_execnz .LBB1747_933
.LBB1747_948:                           ;   in Loop: Header=BB1747_900 Depth=2
	s_or_b32 exec_lo, exec_lo, s0
	s_delay_alu instid0(SALU_CYCLE_1)
	s_mov_b32 s0, exec_lo
	v_cmpx_lt_u32_e64 v56, v21
	s_cbranch_execz .LBB1747_934
.LBB1747_949:                           ;   in Loop: Header=BB1747_900 Depth=2
	v_cmp_gt_i16_e32 vcc_lo, 0, v10
	v_cndmask_b32_e64 v5, 0x7fff, 0, vcc_lo
	s_delay_alu instid0(VALU_DEP_1) | instskip(NEXT) | instid1(VALU_DEP_1)
	v_xor_b32_e32 v5, v5, v10
	v_cmp_ne_u16_e32 vcc_lo, 0x8000, v5
	v_cndmask_b32_e32 v5, 0x7fff, v5, vcc_lo
	s_delay_alu instid0(VALU_DEP_1) | instskip(NEXT) | instid1(VALU_DEP_1)
	v_and_b32_e32 v5, 0xffff, v5
	v_lshrrev_b32_e32 v5, s49, v5
	s_delay_alu instid0(VALU_DEP_1) | instskip(NEXT) | instid1(VALU_DEP_1)
	v_and_b32_e32 v5, s55, v5
	v_lshl_or_b32 v5, v5, 4, v4
	ds_add_u32 v5, v94
	s_or_b32 exec_lo, exec_lo, s0
	s_delay_alu instid0(SALU_CYCLE_1)
	s_mov_b32 s0, exec_lo
	v_cmpx_lt_u32_e64 v57, v21
	s_cbranch_execnz .LBB1747_935
.LBB1747_950:                           ;   in Loop: Header=BB1747_900 Depth=2
	s_or_b32 exec_lo, exec_lo, s0
	s_delay_alu instid0(SALU_CYCLE_1)
	s_mov_b32 s0, exec_lo
	v_cmpx_lt_u32_e64 v58, v21
	s_cbranch_execz .LBB1747_936
.LBB1747_951:                           ;   in Loop: Header=BB1747_900 Depth=2
	v_cmp_gt_i16_e32 vcc_lo, 0, v8
	v_cndmask_b32_e64 v5, 0x7fff, 0, vcc_lo
	s_delay_alu instid0(VALU_DEP_1) | instskip(NEXT) | instid1(VALU_DEP_1)
	v_xor_b32_e32 v5, v5, v8
	v_cmp_ne_u16_e32 vcc_lo, 0x8000, v5
	v_cndmask_b32_e32 v5, 0x7fff, v5, vcc_lo
	s_delay_alu instid0(VALU_DEP_1) | instskip(NEXT) | instid1(VALU_DEP_1)
	v_and_b32_e32 v5, 0xffff, v5
	v_lshrrev_b32_e32 v5, s49, v5
	s_delay_alu instid0(VALU_DEP_1) | instskip(NEXT) | instid1(VALU_DEP_1)
	v_and_b32_e32 v5, s55, v5
	v_lshl_or_b32 v5, v5, 4, v4
	ds_add_u32 v5, v94
	s_or_b32 exec_lo, exec_lo, s0
	s_delay_alu instid0(SALU_CYCLE_1)
	s_mov_b32 s0, exec_lo
	v_cmpx_lt_u32_e64 v59, v21
	s_cbranch_execnz .LBB1747_937
.LBB1747_952:                           ;   in Loop: Header=BB1747_900 Depth=2
	s_or_b32 exec_lo, exec_lo, s0
	s_delay_alu instid0(SALU_CYCLE_1)
	s_mov_b32 s0, exec_lo
	v_cmpx_lt_u32_e64 v60, v21
	s_cbranch_execz .LBB1747_938
.LBB1747_953:                           ;   in Loop: Header=BB1747_900 Depth=2
	v_cmp_gt_i16_e32 vcc_lo, 0, v6
	v_cndmask_b32_e64 v5, 0x7fff, 0, vcc_lo
	s_delay_alu instid0(VALU_DEP_1) | instskip(NEXT) | instid1(VALU_DEP_1)
	v_xor_b32_e32 v5, v5, v6
	v_cmp_ne_u16_e32 vcc_lo, 0x8000, v5
	v_cndmask_b32_e32 v5, 0x7fff, v5, vcc_lo
	s_delay_alu instid0(VALU_DEP_1) | instskip(NEXT) | instid1(VALU_DEP_1)
	v_and_b32_e32 v5, 0xffff, v5
	v_lshrrev_b32_e32 v5, s49, v5
	s_delay_alu instid0(VALU_DEP_1) | instskip(NEXT) | instid1(VALU_DEP_1)
	v_and_b32_e32 v5, s55, v5
	v_lshl_or_b32 v5, v5, 4, v4
	ds_add_u32 v5, v94
	s_or_b32 exec_lo, exec_lo, s0
	s_delay_alu instid0(SALU_CYCLE_1)
	s_mov_b32 s0, exec_lo
	v_cmpx_lt_u32_e64 v61, v21
	s_cbranch_execnz .LBB1747_939
.LBB1747_954:                           ;   in Loop: Header=BB1747_900 Depth=2
	s_or_b32 exec_lo, exec_lo, s0
	s_delay_alu instid0(SALU_CYCLE_1)
	s_mov_b32 s0, exec_lo
	v_cmpx_lt_u32_e64 v63, v21
	s_cbranch_execz .LBB1747_899
.LBB1747_955:                           ;   in Loop: Header=BB1747_900 Depth=2
	s_waitcnt vmcnt(0)
	v_cmp_gt_i16_e32 vcc_lo, 0, v20
	v_cndmask_b32_e64 v5, 0x7fff, 0, vcc_lo
	s_delay_alu instid0(VALU_DEP_1) | instskip(NEXT) | instid1(VALU_DEP_1)
	v_xor_b32_e32 v5, v5, v20
	v_cmp_ne_u16_e32 vcc_lo, 0x8000, v5
	v_cndmask_b32_e32 v5, 0x7fff, v5, vcc_lo
	s_delay_alu instid0(VALU_DEP_1) | instskip(NEXT) | instid1(VALU_DEP_1)
	v_and_b32_e32 v5, 0xffff, v5
	v_lshrrev_b32_e32 v5, s49, v5
	s_delay_alu instid0(VALU_DEP_1) | instskip(NEXT) | instid1(VALU_DEP_1)
	v_and_b32_e32 v5, s55, v5
	v_lshl_or_b32 v4, v5, 4, v4
	ds_add_u32 v4, v94
	s_branch .LBB1747_899
.LBB1747_956:                           ;   in Loop: Header=BB1747_900 Depth=2
	s_or_b32 exec_lo, exec_lo, s11
	s_delay_alu instid0(SALU_CYCLE_1)
	s_mov_b32 s11, exec_lo
	v_cmpx_gt_u32_e64 s8, v45
	s_cbranch_execz .LBB1747_906
.LBB1747_957:                           ;   in Loop: Header=BB1747_900 Depth=2
	global_load_u16 v18, v95, s[0:1] offset:512
	s_or_b32 exec_lo, exec_lo, s11
	s_delay_alu instid0(SALU_CYCLE_1)
	s_mov_b32 s11, exec_lo
	v_cmpx_gt_u32_e64 s8, v46
	s_cbranch_execnz .LBB1747_907
.LBB1747_958:                           ;   in Loop: Header=BB1747_900 Depth=2
	s_or_b32 exec_lo, exec_lo, s11
	s_delay_alu instid0(SALU_CYCLE_1)
	s_mov_b32 s11, exec_lo
	v_cmpx_gt_u32_e64 s8, v47
	s_cbranch_execz .LBB1747_908
.LBB1747_959:                           ;   in Loop: Header=BB1747_900 Depth=2
	global_load_u16 v16, v95, s[0:1] offset:1536
	s_or_b32 exec_lo, exec_lo, s11
	s_delay_alu instid0(SALU_CYCLE_1)
	s_mov_b32 s11, exec_lo
	v_cmpx_gt_u32_e64 s8, v51
	s_cbranch_execnz .LBB1747_909
.LBB1747_960:                           ;   in Loop: Header=BB1747_900 Depth=2
	s_or_b32 exec_lo, exec_lo, s11
	s_delay_alu instid0(SALU_CYCLE_1)
	s_mov_b32 s11, exec_lo
	v_cmpx_gt_u32_e64 s8, v52
	s_cbranch_execz .LBB1747_910
.LBB1747_961:                           ;   in Loop: Header=BB1747_900 Depth=2
	global_load_u16 v14, v95, s[0:1] offset:2560
	s_or_b32 exec_lo, exec_lo, s11
	s_delay_alu instid0(SALU_CYCLE_1)
	s_mov_b32 s11, exec_lo
	v_cmpx_gt_u32_e64 s8, v53
	s_cbranch_execnz .LBB1747_911
.LBB1747_962:                           ;   in Loop: Header=BB1747_900 Depth=2
	s_or_b32 exec_lo, exec_lo, s11
	s_delay_alu instid0(SALU_CYCLE_1)
	s_mov_b32 s11, exec_lo
	v_cmpx_gt_u32_e64 s8, v54
	s_cbranch_execz .LBB1747_912
.LBB1747_963:                           ;   in Loop: Header=BB1747_900 Depth=2
	global_load_u16 v12, v95, s[0:1] offset:3584
	s_or_b32 exec_lo, exec_lo, s11
	s_delay_alu instid0(SALU_CYCLE_1)
	s_mov_b32 s11, exec_lo
	v_cmpx_gt_u32_e64 s8, v55
	s_cbranch_execnz .LBB1747_913
.LBB1747_964:                           ;   in Loop: Header=BB1747_900 Depth=2
	s_or_b32 exec_lo, exec_lo, s11
	s_delay_alu instid0(SALU_CYCLE_1)
	s_mov_b32 s11, exec_lo
	v_cmpx_gt_u32_e64 s8, v56
	s_cbranch_execz .LBB1747_914
.LBB1747_965:                           ;   in Loop: Header=BB1747_900 Depth=2
	global_load_u16 v10, v97, s[0:1]
	s_or_b32 exec_lo, exec_lo, s11
	s_delay_alu instid0(SALU_CYCLE_1)
	s_mov_b32 s11, exec_lo
	v_cmpx_gt_u32_e64 s8, v57
	s_cbranch_execnz .LBB1747_915
.LBB1747_966:                           ;   in Loop: Header=BB1747_900 Depth=2
	s_or_b32 exec_lo, exec_lo, s11
	s_delay_alu instid0(SALU_CYCLE_1)
	s_mov_b32 s11, exec_lo
	v_cmpx_gt_u32_e64 s8, v58
	s_cbranch_execz .LBB1747_916
.LBB1747_967:                           ;   in Loop: Header=BB1747_900 Depth=2
	global_load_u16 v8, v99, s[0:1]
	s_or_b32 exec_lo, exec_lo, s11
	s_delay_alu instid0(SALU_CYCLE_1)
	s_mov_b32 s11, exec_lo
	v_cmpx_gt_u32_e64 s8, v59
	s_cbranch_execnz .LBB1747_917
.LBB1747_968:                           ;   in Loop: Header=BB1747_900 Depth=2
	s_or_b32 exec_lo, exec_lo, s11
	s_delay_alu instid0(SALU_CYCLE_1)
	s_mov_b32 s11, exec_lo
	v_cmpx_gt_u32_e64 s8, v60
	s_cbranch_execz .LBB1747_918
.LBB1747_969:                           ;   in Loop: Header=BB1747_900 Depth=2
	global_load_u16 v6, v101, s[0:1]
	s_or_b32 exec_lo, exec_lo, s11
	s_delay_alu instid0(SALU_CYCLE_1)
	s_mov_b32 s11, exec_lo
	v_cmpx_gt_u32_e64 s8, v61
	s_cbranch_execz .LBB1747_920
	s_branch .LBB1747_919
.LBB1747_970:                           ;   in Loop: Header=BB1747_12 Depth=1
	v_mov_b32_e32 v2, 0
	s_waitcnt vmcnt(0) lgkmcnt(0)
	s_barrier
	buffer_gl0_inv
	s_and_saveexec_b32 s0, s2
	s_cbranch_execz .LBB1747_972
; %bb.971:                              ;   in Loop: Header=BB1747_12 Depth=1
	ds_load_2addr_b64 v[4:7], v64 offset1:1
	s_waitcnt lgkmcnt(0)
	v_add_nc_u32_e32 v2, v5, v4
	s_delay_alu instid0(VALU_DEP_1)
	v_add3_u32 v2, v2, v6, v7
.LBB1747_972:                           ;   in Loop: Header=BB1747_12 Depth=1
	s_or_b32 exec_lo, exec_lo, s0
	v_and_b32_e32 v4, 15, v104
	s_delay_alu instid0(VALU_DEP_2) | instskip(SKIP_1) | instid1(VALU_DEP_3)
	v_mov_b32_dpp v5, v2 row_shr:1 row_mask:0xf bank_mask:0xf
	v_and_b32_e32 v6, 16, v104
	v_cmp_eq_u32_e64 s0, 0, v4
	v_cmp_lt_u32_e64 s1, 1, v4
	v_cmp_lt_u32_e64 s8, 3, v4
	v_cmp_lt_u32_e64 s9, 7, v4
	v_cmp_eq_u32_e64 s10, 0, v6
	v_cndmask_b32_e64 v5, v5, 0, s0
	s_delay_alu instid0(VALU_DEP_1) | instskip(NEXT) | instid1(VALU_DEP_1)
	v_add_nc_u32_e32 v2, v5, v2
	v_mov_b32_dpp v5, v2 row_shr:2 row_mask:0xf bank_mask:0xf
	s_delay_alu instid0(VALU_DEP_1) | instskip(NEXT) | instid1(VALU_DEP_1)
	v_cndmask_b32_e64 v5, 0, v5, s1
	v_add_nc_u32_e32 v2, v2, v5
	s_delay_alu instid0(VALU_DEP_1) | instskip(NEXT) | instid1(VALU_DEP_1)
	v_mov_b32_dpp v5, v2 row_shr:4 row_mask:0xf bank_mask:0xf
	v_cndmask_b32_e64 v5, 0, v5, s8
	s_delay_alu instid0(VALU_DEP_1) | instskip(NEXT) | instid1(VALU_DEP_1)
	v_add_nc_u32_e32 v2, v2, v5
	v_mov_b32_dpp v5, v2 row_shr:8 row_mask:0xf bank_mask:0xf
	s_delay_alu instid0(VALU_DEP_1) | instskip(SKIP_1) | instid1(VALU_DEP_2)
	v_cndmask_b32_e64 v4, 0, v5, s9
	v_bfe_i32 v5, v104, 4, 1
	v_add_nc_u32_e32 v2, v2, v4
	ds_swizzle_b32 v4, v2 offset:swizzle(BROADCAST,32,15)
	s_waitcnt lgkmcnt(0)
	v_and_b32_e32 v4, v5, v4
	s_delay_alu instid0(VALU_DEP_1)
	v_add_nc_u32_e32 v4, v2, v4
	s_and_saveexec_b32 s11, s3
	s_cbranch_execz .LBB1747_974
; %bb.973:                              ;   in Loop: Header=BB1747_12 Depth=1
	ds_store_b32 v65, v4
.LBB1747_974:                           ;   in Loop: Header=BB1747_12 Depth=1
	s_or_b32 exec_lo, exec_lo, s11
	v_and_b32_e32 v2, 7, v104
	s_waitcnt lgkmcnt(0)
	s_barrier
	buffer_gl0_inv
	s_and_saveexec_b32 s11, s4
	s_cbranch_execz .LBB1747_976
; %bb.975:                              ;   in Loop: Header=BB1747_12 Depth=1
	ds_load_b32 v5, v66
	v_cmp_ne_u32_e32 vcc_lo, 0, v2
	s_waitcnt lgkmcnt(0)
	v_mov_b32_dpp v6, v5 row_shr:1 row_mask:0xf bank_mask:0xf
	s_delay_alu instid0(VALU_DEP_1) | instskip(SKIP_1) | instid1(VALU_DEP_2)
	v_cndmask_b32_e32 v6, 0, v6, vcc_lo
	v_cmp_lt_u32_e32 vcc_lo, 1, v2
	v_add_nc_u32_e32 v5, v6, v5
	s_delay_alu instid0(VALU_DEP_1) | instskip(NEXT) | instid1(VALU_DEP_1)
	v_mov_b32_dpp v6, v5 row_shr:2 row_mask:0xf bank_mask:0xf
	v_cndmask_b32_e32 v6, 0, v6, vcc_lo
	v_cmp_lt_u32_e32 vcc_lo, 3, v2
	s_delay_alu instid0(VALU_DEP_2) | instskip(NEXT) | instid1(VALU_DEP_1)
	v_add_nc_u32_e32 v5, v5, v6
	v_mov_b32_dpp v6, v5 row_shr:4 row_mask:0xf bank_mask:0xf
	s_delay_alu instid0(VALU_DEP_1) | instskip(NEXT) | instid1(VALU_DEP_1)
	v_cndmask_b32_e32 v6, 0, v6, vcc_lo
	v_add_nc_u32_e32 v5, v5, v6
	ds_store_b32 v66, v5
.LBB1747_976:                           ;   in Loop: Header=BB1747_12 Depth=1
	s_or_b32 exec_lo, exec_lo, s11
	v_mov_b32_e32 v5, 0
	s_waitcnt lgkmcnt(0)
	s_barrier
	buffer_gl0_inv
	s_and_saveexec_b32 s11, s5
	s_cbranch_execz .LBB1747_978
; %bb.977:                              ;   in Loop: Header=BB1747_12 Depth=1
	ds_load_b32 v5, v67
.LBB1747_978:                           ;   in Loop: Header=BB1747_12 Depth=1
	s_or_b32 exec_lo, exec_lo, s11
	v_add_nc_u32_e32 v6, -1, v104
	s_waitcnt lgkmcnt(0)
	v_add_nc_u32_e32 v4, v5, v4
	v_cmp_eq_u32_e64 s11, 0, v104
	s_barrier
	v_cmp_gt_i32_e32 vcc_lo, 0, v6
	buffer_gl0_inv
	v_cndmask_b32_e32 v6, v6, v104, vcc_lo
	s_delay_alu instid0(VALU_DEP_1)
	v_lshlrev_b32_e32 v105, 2, v6
	ds_bpermute_b32 v4, v105, v4
	s_and_saveexec_b32 s12, s2
	s_cbranch_execz .LBB1747_980
; %bb.979:                              ;   in Loop: Header=BB1747_12 Depth=1
	s_waitcnt lgkmcnt(0)
	v_cndmask_b32_e64 v4, v4, v5, s11
	s_delay_alu instid0(VALU_DEP_1)
	v_add_nc_u32_e32 v4, s52, v4
	ds_store_b32 v44, v4
.LBB1747_980:                           ;   in Loop: Header=BB1747_12 Depth=1
	s_or_b32 exec_lo, exec_lo, s12
	s_load_b64 s[12:13], s[42:43], 0x0
	v_lshlrev_b32_e32 v5, 3, v104
	v_cmp_lt_u32_e64 s14, 3, v2
	v_or_b32_e32 v106, v104, v68
	s_mov_b32 s56, s54
	s_mov_b32 s34, s52
	v_add_co_u32 v107, vcc_lo, v90, v5
	v_add_co_ci_u32_e32 v108, vcc_lo, 0, v91, vcc_lo
	v_or_b32_e32 v109, 32, v106
	v_or_b32_e32 v110, 64, v106
	;; [unrolled: 1-line block ×10, first 2 shown]
	s_waitcnt lgkmcnt(0)
	s_cmp_lt_u32 s15, s13
	v_or_b32_e32 v119, 0x160, v106
	s_cselect_b32 s13, 14, 20
	v_or_b32_e32 v120, 0x180, v106
	s_add_u32 s16, s42, s13
	s_addc_u32 s17, s43, 0
	s_cmp_lt_u32 s26, s12
	global_load_u16 v4, v3, s[16:17]
	s_cselect_b32 s12, 12, 18
	v_or_b32_e32 v121, 0x1a0, v106
	s_add_u32 s12, s42, s12
	s_addc_u32 s13, s43, 0
	v_or_b32_e32 v122, 0x1c0, v106
	global_load_u16 v6, v3, s[12:13]
	v_cmp_eq_u32_e64 s12, 0, v2
	v_cmp_lt_u32_e64 s13, 1, v2
	v_lshlrev_b32_e32 v2, 1, v104
	v_or_b32_e32 v123, 0x1e0, v106
                                        ; implicit-def: $vgpr8_vgpr9
                                        ; implicit-def: $vgpr10_vgpr11
                                        ; implicit-def: $vgpr12_vgpr13
                                        ; implicit-def: $vgpr14_vgpr15
                                        ; implicit-def: $vgpr16_vgpr17
                                        ; implicit-def: $vgpr18_vgpr19
                                        ; implicit-def: $vgpr20_vgpr21
                                        ; implicit-def: $vgpr22_vgpr23
                                        ; implicit-def: $vgpr24_vgpr25
                                        ; implicit-def: $vgpr26_vgpr27
                                        ; implicit-def: $vgpr28_vgpr29
                                        ; implicit-def: $vgpr30_vgpr31
                                        ; implicit-def: $vgpr32_vgpr33
                                        ; implicit-def: $vgpr34_vgpr35
                                        ; implicit-def: $vgpr129
                                        ; implicit-def: $vgpr130
                                        ; implicit-def: $vgpr131
                                        ; implicit-def: $vgpr132
                                        ; implicit-def: $vgpr133
                                        ; implicit-def: $vgpr134
                                        ; implicit-def: $vgpr135
                                        ; implicit-def: $vgpr136
                                        ; implicit-def: $vgpr137
                                        ; implicit-def: $vgpr138
                                        ; implicit-def: $vgpr139
                                        ; implicit-def: $vgpr140
                                        ; implicit-def: $vgpr141
                                        ; implicit-def: $vgpr142
                                        ; implicit-def: $vgpr143
                                        ; implicit-def: $vgpr144
	s_delay_alu instid0(VALU_DEP_2) | instskip(SKIP_1) | instid1(VALU_DEP_2)
	v_add_co_u32 v124, vcc_lo, v92, v2
	v_add_co_ci_u32_e32 v125, vcc_lo, 0, v93, vcc_lo
	v_add_co_u32 v127, vcc_lo, 0x3c0, v124
	s_delay_alu instid0(VALU_DEP_2) | instskip(SKIP_3) | instid1(VALU_DEP_1)
	v_add_co_ci_u32_e32 v128, vcc_lo, 0, v125, vcc_lo
	s_waitcnt vmcnt(1)
	v_mad_u32_u24 v7, v70, v4, v0
	s_waitcnt vmcnt(0)
	v_mad_u64_u32 v[4:5], null, v7, v6, v[1:2]
                                        ; implicit-def: $vgpr6_vgpr7
	s_delay_alu instid0(VALU_DEP_1)
	v_lshrrev_b32_e32 v126, 5, v4
                                        ; implicit-def: $vgpr4_vgpr5
	s_branch .LBB1747_982
.LBB1747_981:                           ;   in Loop: Header=BB1747_982 Depth=2
	s_or_b32 exec_lo, exec_lo, s16
	s_addk_i32 s56, 0xf000
	s_cmp_lt_u32 s57, s53
	s_mov_b32 s34, s57
	s_cbranch_scc0 .LBB1747_10
.LBB1747_982:                           ;   Parent Loop BB1747_12 Depth=1
                                        ; =>  This Inner Loop Header: Depth=2
	s_add_i32 s57, s34, 0x1000
	s_delay_alu instid0(SALU_CYCLE_1)
	s_cmp_gt_u32 s57, s53
	s_cbranch_scc1 .LBB1747_985
; %bb.983:                              ;   in Loop: Header=BB1747_982 Depth=2
	s_mov_b32 s17, 0
	s_mov_b32 s16, s34
	s_delay_alu instid0(SALU_CYCLE_1) | instskip(NEXT) | instid1(SALU_CYCLE_1)
	s_lshl_b64 s[18:19], s[16:17], 1
	v_add_co_u32 v36, vcc_lo, v124, s18
	v_add_co_ci_u32_e32 v37, vcc_lo, s19, v125, vcc_lo
	s_mov_b32 s19, -1
	s_movk_i32 s18, 0x1000
	s_clause 0xe
	global_load_u16 v2, v[36:37], off
	global_load_u16 v147, v[36:37], off offset:64
	global_load_u16 v149, v[36:37], off offset:128
	;; [unrolled: 1-line block ×14, first 2 shown]
	s_cbranch_execz .LBB1747_986
; %bb.984:                              ;   in Loop: Header=BB1747_982 Depth=2
                                        ; implicit-def: $sgpr20
	v_dual_mov_b32 v36, s20 :: v_dual_mov_b32 v145, s56
	s_and_saveexec_b32 s20, s19
	s_cbranch_execnz .LBB1747_1017
	s_branch .LBB1747_1018
.LBB1747_985:                           ;   in Loop: Header=BB1747_982 Depth=2
	s_mov_b32 s17, -1
	s_mov_b32 s19, 0
                                        ; implicit-def: $sgpr18
                                        ; implicit-def: $vgpr2
                                        ; implicit-def: $vgpr147
                                        ; implicit-def: $vgpr149
                                        ; implicit-def: $vgpr153
                                        ; implicit-def: $vgpr157
                                        ; implicit-def: $vgpr161
                                        ; implicit-def: $vgpr165
                                        ; implicit-def: $vgpr170
                                        ; implicit-def: $vgpr169
                                        ; implicit-def: $vgpr43
                                        ; implicit-def: $vgpr42
                                        ; implicit-def: $vgpr41
                                        ; implicit-def: $vgpr40
                                        ; implicit-def: $vgpr39
                                        ; implicit-def: $vgpr38
.LBB1747_986:                           ;   in Loop: Header=BB1747_982 Depth=2
	s_lshl_b64 s[16:17], s[34:35], 1
	s_waitcnt vmcnt(13)
	v_dual_mov_b32 v147, -1 :: v_dual_mov_b32 v2, -1
	v_add_co_u32 v36, vcc_lo, v124, s16
	v_add_co_ci_u32_e32 v37, vcc_lo, s17, v125, vcc_lo
	s_mov_b32 s16, exec_lo
	v_cmpx_gt_u32_e64 s56, v106
	s_cbranch_execz .LBB1747_988
; %bb.987:                              ;   in Loop: Header=BB1747_982 Depth=2
	global_load_u16 v2, v[36:37], off
.LBB1747_988:                           ;   in Loop: Header=BB1747_982 Depth=2
	s_or_b32 exec_lo, exec_lo, s16
	s_delay_alu instid0(SALU_CYCLE_1)
	s_mov_b32 s16, exec_lo
	v_cmpx_gt_u32_e64 s56, v109
	s_cbranch_execz .LBB1747_990
; %bb.989:                              ;   in Loop: Header=BB1747_982 Depth=2
	global_load_u16 v147, v[36:37], off offset:64
.LBB1747_990:                           ;   in Loop: Header=BB1747_982 Depth=2
	s_or_b32 exec_lo, exec_lo, s16
	s_waitcnt vmcnt(11)
	v_mov_b32_e32 v153, -1
	v_mov_b32_e32 v149, -1
	s_mov_b32 s16, exec_lo
	v_cmpx_gt_u32_e64 s56, v110
	s_cbranch_execz .LBB1747_992
; %bb.991:                              ;   in Loop: Header=BB1747_982 Depth=2
	global_load_u16 v149, v[36:37], off offset:128
.LBB1747_992:                           ;   in Loop: Header=BB1747_982 Depth=2
	s_or_b32 exec_lo, exec_lo, s16
	s_delay_alu instid0(SALU_CYCLE_1)
	s_mov_b32 s16, exec_lo
	v_cmpx_gt_u32_e64 s56, v111
	s_cbranch_execz .LBB1747_994
; %bb.993:                              ;   in Loop: Header=BB1747_982 Depth=2
	global_load_u16 v153, v[36:37], off offset:192
.LBB1747_994:                           ;   in Loop: Header=BB1747_982 Depth=2
	s_or_b32 exec_lo, exec_lo, s16
	s_waitcnt vmcnt(9)
	v_mov_b32_e32 v161, -1
	v_mov_b32_e32 v157, -1
	s_mov_b32 s16, exec_lo
	v_cmpx_gt_u32_e64 s56, v112
	s_cbranch_execz .LBB1747_996
; %bb.995:                              ;   in Loop: Header=BB1747_982 Depth=2
	global_load_u16 v157, v[36:37], off offset:256
.LBB1747_996:                           ;   in Loop: Header=BB1747_982 Depth=2
	s_or_b32 exec_lo, exec_lo, s16
	s_delay_alu instid0(SALU_CYCLE_1)
	s_mov_b32 s16, exec_lo
	v_cmpx_gt_u32_e64 s56, v113
	s_cbranch_execz .LBB1747_998
; %bb.997:                              ;   in Loop: Header=BB1747_982 Depth=2
	global_load_u16 v161, v[36:37], off offset:320
.LBB1747_998:                           ;   in Loop: Header=BB1747_982 Depth=2
	s_or_b32 exec_lo, exec_lo, s16
	s_waitcnt vmcnt(7)
	v_dual_mov_b32 v170, -1 :: v_dual_mov_b32 v165, -1
	s_mov_b32 s16, exec_lo
	v_cmpx_gt_u32_e64 s56, v114
	s_cbranch_execz .LBB1747_1000
; %bb.999:                              ;   in Loop: Header=BB1747_982 Depth=2
	global_load_u16 v165, v[36:37], off offset:384
.LBB1747_1000:                          ;   in Loop: Header=BB1747_982 Depth=2
	s_or_b32 exec_lo, exec_lo, s16
	s_delay_alu instid0(SALU_CYCLE_1)
	s_mov_b32 s16, exec_lo
	v_cmpx_gt_u32_e64 s56, v115
	s_cbranch_execz .LBB1747_1002
; %bb.1001:                             ;   in Loop: Header=BB1747_982 Depth=2
	global_load_u16 v170, v[36:37], off offset:448
.LBB1747_1002:                          ;   in Loop: Header=BB1747_982 Depth=2
	s_or_b32 exec_lo, exec_lo, s16
	s_waitcnt vmcnt(5)
	v_mov_b32_e32 v43, -1
	v_mov_b32_e32 v169, -1
	s_mov_b32 s16, exec_lo
	v_cmpx_gt_u32_e64 s56, v116
	s_cbranch_execz .LBB1747_1004
; %bb.1003:                             ;   in Loop: Header=BB1747_982 Depth=2
	global_load_u16 v169, v[36:37], off offset:512
.LBB1747_1004:                          ;   in Loop: Header=BB1747_982 Depth=2
	s_or_b32 exec_lo, exec_lo, s16
	s_delay_alu instid0(SALU_CYCLE_1)
	s_mov_b32 s16, exec_lo
	v_cmpx_gt_u32_e64 s56, v117
	s_cbranch_execz .LBB1747_1006
; %bb.1005:                             ;   in Loop: Header=BB1747_982 Depth=2
	global_load_u16 v43, v[36:37], off offset:576
.LBB1747_1006:                          ;   in Loop: Header=BB1747_982 Depth=2
	s_or_b32 exec_lo, exec_lo, s16
	s_waitcnt vmcnt(3)
	v_dual_mov_b32 v41, -1 :: v_dual_mov_b32 v42, -1
	s_mov_b32 s16, exec_lo
	v_cmpx_gt_u32_e64 s56, v118
	s_cbranch_execz .LBB1747_1008
; %bb.1007:                             ;   in Loop: Header=BB1747_982 Depth=2
	global_load_u16 v42, v[36:37], off offset:640
.LBB1747_1008:                          ;   in Loop: Header=BB1747_982 Depth=2
	s_or_b32 exec_lo, exec_lo, s16
	s_delay_alu instid0(SALU_CYCLE_1)
	s_mov_b32 s16, exec_lo
	v_cmpx_gt_u32_e64 s56, v119
	s_cbranch_execz .LBB1747_1010
; %bb.1009:                             ;   in Loop: Header=BB1747_982 Depth=2
	global_load_u16 v41, v[36:37], off offset:704
.LBB1747_1010:                          ;   in Loop: Header=BB1747_982 Depth=2
	s_or_b32 exec_lo, exec_lo, s16
	s_waitcnt vmcnt(1)
	v_dual_mov_b32 v39, -1 :: v_dual_mov_b32 v40, -1
	s_mov_b32 s16, exec_lo
	v_cmpx_gt_u32_e64 s56, v120
	s_cbranch_execz .LBB1747_1012
; %bb.1011:                             ;   in Loop: Header=BB1747_982 Depth=2
	global_load_u16 v40, v[36:37], off offset:768
.LBB1747_1012:                          ;   in Loop: Header=BB1747_982 Depth=2
	s_or_b32 exec_lo, exec_lo, s16
	s_delay_alu instid0(SALU_CYCLE_1)
	s_mov_b32 s16, exec_lo
	v_cmpx_gt_u32_e64 s56, v121
	s_cbranch_execz .LBB1747_1014
; %bb.1013:                             ;   in Loop: Header=BB1747_982 Depth=2
	global_load_u16 v39, v[36:37], off offset:832
.LBB1747_1014:                          ;   in Loop: Header=BB1747_982 Depth=2
	s_or_b32 exec_lo, exec_lo, s16
	s_waitcnt vmcnt(0)
	v_mov_b32_e32 v38, -1
	s_mov_b32 s16, exec_lo
	v_cmpx_gt_u32_e64 s56, v122
	s_cbranch_execz .LBB1747_1016
; %bb.1015:                             ;   in Loop: Header=BB1747_982 Depth=2
	global_load_u16 v38, v[36:37], off offset:896
.LBB1747_1016:                          ;   in Loop: Header=BB1747_982 Depth=2
	s_or_b32 exec_lo, exec_lo, s16
	v_cmp_gt_u32_e64 s19, s56, v123
	s_sub_i32 s18, s53, s34
	s_mov_b32 s20, -1
	s_mov_b64 s[16:17], s[34:35]
	v_dual_mov_b32 v36, s20 :: v_dual_mov_b32 v145, s56
	s_and_saveexec_b32 s20, s19
	s_cbranch_execz .LBB1747_1018
.LBB1747_1017:                          ;   in Loop: Header=BB1747_982 Depth=2
	s_lshl_b64 s[16:17], s[16:17], 1
	v_mov_b32_e32 v145, s18
	v_add_co_u32 v36, vcc_lo, v127, s16
	v_add_co_ci_u32_e32 v37, vcc_lo, s17, v128, vcc_lo
	global_load_u16 v36, v[36:37], off
.LBB1747_1018:                          ;   in Loop: Header=BB1747_982 Depth=2
	s_or_b32 exec_lo, exec_lo, s20
	s_waitcnt vmcnt(14)
	v_cmp_gt_i16_e32 vcc_lo, 0, v2
	ds_store_b32 v69, v3 offset:1056
	ds_store_2addr_b32 v71, v3, v3 offset0:1 offset1:2
	ds_store_2addr_b32 v71, v3, v3 offset0:3 offset1:4
	;; [unrolled: 1-line block ×4, first 2 shown]
	s_waitcnt vmcnt(0) lgkmcnt(0)
	s_barrier
	v_cndmask_b32_e64 v37, 0x7fff, 0, vcc_lo
	buffer_gl0_inv
	; wave barrier
	v_xor_b32_e32 v2, v37, v2
	s_delay_alu instid0(VALU_DEP_1) | instskip(SKIP_1) | instid1(VALU_DEP_1)
	v_cmp_ne_u16_e32 vcc_lo, 0x8000, v2
	v_cndmask_b32_e32 v37, 0x7fff, v2, vcc_lo
	v_and_b32_e32 v37, 0xffff, v37
	s_delay_alu instid0(VALU_DEP_1) | instskip(NEXT) | instid1(VALU_DEP_1)
	v_lshrrev_b32_e32 v37, s49, v37
	v_and_b32_e32 v148, s55, v37
	s_delay_alu instid0(VALU_DEP_1)
	v_lshlrev_b32_e32 v146, 30, v148
	v_and_b32_e32 v37, 1, v148
	v_lshlrev_b32_e32 v150, 29, v148
	v_lshlrev_b32_e32 v151, 28, v148
	v_lshlrev_b32_e32 v154, 27, v148
	v_not_b32_e32 v158, v146
	v_add_co_u32 v37, s16, v37, -1
	s_delay_alu instid0(VALU_DEP_1)
	v_cndmask_b32_e64 v152, 0, 1, s16
	v_cmp_gt_i32_e64 s16, 0, v146
	v_not_b32_e32 v146, v150
	v_ashrrev_i32_e32 v158, 31, v158
	v_lshlrev_b32_e32 v155, 26, v148
	v_cmp_ne_u32_e32 vcc_lo, 0, v152
	v_lshlrev_b32_e32 v156, 25, v148
	v_ashrrev_i32_e32 v146, 31, v146
	v_xor_b32_e32 v158, s16, v158
	v_cmp_gt_i32_e64 s16, 0, v151
	v_xor_b32_e32 v37, vcc_lo, v37
	v_cmp_gt_i32_e32 vcc_lo, 0, v150
	v_not_b32_e32 v150, v151
	v_not_b32_e32 v151, v154
	v_lshlrev_b32_e32 v152, 24, v148
	v_and_b32_e32 v37, exec_lo, v37
	v_xor_b32_e32 v146, vcc_lo, v146
	v_ashrrev_i32_e32 v150, 31, v150
	v_cmp_gt_i32_e32 vcc_lo, 0, v154
	v_not_b32_e32 v154, v155
	v_and_b32_e32 v37, v37, v158
	v_ashrrev_i32_e32 v151, 31, v151
	v_xor_b32_e32 v150, s16, v150
	v_cmp_gt_i32_e64 s16, 0, v155
	v_ashrrev_i32_e32 v154, 31, v154
	v_and_b32_e32 v37, v37, v146
	v_not_b32_e32 v146, v156
	v_xor_b32_e32 v151, vcc_lo, v151
	v_cmp_gt_i32_e32 vcc_lo, 0, v156
	v_xor_b32_e32 v154, s16, v154
	v_and_b32_e32 v37, v37, v150
	v_not_b32_e32 v150, v152
	v_ashrrev_i32_e32 v146, 31, v146
	v_cmp_gt_i32_e64 s16, 0, v152
	v_mad_u32_u24 v148, v148, 9, v126
	v_and_b32_e32 v37, v37, v151
	v_ashrrev_i32_e32 v150, 31, v150
	v_xor_b32_e32 v146, vcc_lo, v146
	s_delay_alu instid0(VALU_DEP_4) | instskip(NEXT) | instid1(VALU_DEP_4)
	v_lshl_add_u32 v148, v148, 2, 0x420
	v_and_b32_e32 v37, v37, v154
	s_delay_alu instid0(VALU_DEP_4) | instskip(NEXT) | instid1(VALU_DEP_2)
	v_xor_b32_e32 v150, s16, v150
	v_and_b32_e32 v37, v37, v146
	s_delay_alu instid0(VALU_DEP_1) | instskip(NEXT) | instid1(VALU_DEP_1)
	v_and_b32_e32 v37, v37, v150
	v_mbcnt_lo_u32_b32 v146, v37, 0
	v_cmp_ne_u32_e64 s16, 0, v37
	s_delay_alu instid0(VALU_DEP_2) | instskip(NEXT) | instid1(VALU_DEP_2)
	v_cmp_eq_u32_e32 vcc_lo, 0, v146
	s_and_b32 s17, s16, vcc_lo
	s_delay_alu instid0(SALU_CYCLE_1)
	s_and_saveexec_b32 s16, s17
	s_cbranch_execz .LBB1747_1020
; %bb.1019:                             ;   in Loop: Header=BB1747_982 Depth=2
	v_bcnt_u32_b32 v37, v37, 0
	ds_store_b32 v148, v37
.LBB1747_1020:                          ;   in Loop: Header=BB1747_982 Depth=2
	s_or_b32 exec_lo, exec_lo, s16
	v_cmp_gt_i16_e64 vcc_lo, 0, v147
	; wave barrier
	s_delay_alu instid0(VALU_DEP_1) | instskip(NEXT) | instid1(VALU_DEP_1)
	v_cndmask_b32_e64 v37, 0x7fff, 0, vcc_lo
	v_xor_b32_e32 v147, v37, v147
	s_delay_alu instid0(VALU_DEP_1) | instskip(SKIP_1) | instid1(VALU_DEP_1)
	v_cmp_ne_u16_e64 vcc_lo, 0x8000, v147
	v_cndmask_b32_e32 v37, 0x7fff, v147, vcc_lo
	v_and_b32_e32 v37, 0xffff, v37
	s_delay_alu instid0(VALU_DEP_1) | instskip(NEXT) | instid1(VALU_DEP_1)
	v_lshrrev_b32_e32 v37, s49, v37
	v_and_b32_e32 v37, s55, v37
	s_delay_alu instid0(VALU_DEP_1)
	v_and_b32_e32 v150, 1, v37
	v_lshlrev_b32_e32 v151, 30, v37
	v_lshlrev_b32_e32 v152, 29, v37
	;; [unrolled: 1-line block ×4, first 2 shown]
	v_add_co_u32 v150, s16, v150, -1
	s_delay_alu instid0(VALU_DEP_1)
	v_cndmask_b32_e64 v155, 0, 1, s16
	v_not_b32_e32 v160, v151
	v_cmp_gt_i32_e64 s16, 0, v151
	v_not_b32_e32 v151, v152
	v_lshlrev_b32_e32 v158, 26, v37
	v_cmp_ne_u32_e32 vcc_lo, 0, v155
	v_ashrrev_i32_e32 v160, 31, v160
	v_lshlrev_b32_e32 v159, 25, v37
	v_ashrrev_i32_e32 v151, 31, v151
	v_lshlrev_b32_e32 v155, 24, v37
	v_xor_b32_e32 v150, vcc_lo, v150
	v_cmp_gt_i32_e32 vcc_lo, 0, v152
	v_not_b32_e32 v152, v154
	v_xor_b32_e32 v160, s16, v160
	v_cmp_gt_i32_e64 s16, 0, v154
	v_and_b32_e32 v150, exec_lo, v150
	v_not_b32_e32 v154, v156
	v_ashrrev_i32_e32 v152, 31, v152
	v_xor_b32_e32 v151, vcc_lo, v151
	v_cmp_gt_i32_e32 vcc_lo, 0, v156
	v_and_b32_e32 v150, v150, v160
	v_not_b32_e32 v156, v158
	v_ashrrev_i32_e32 v154, 31, v154
	v_xor_b32_e32 v152, s16, v152
	v_cmp_gt_i32_e64 s16, 0, v158
	v_and_b32_e32 v150, v150, v151
	v_not_b32_e32 v151, v159
	v_ashrrev_i32_e32 v156, 31, v156
	v_xor_b32_e32 v154, vcc_lo, v154
	v_cmp_gt_i32_e32 vcc_lo, 0, v159
	v_and_b32_e32 v150, v150, v152
	v_not_b32_e32 v152, v155
	v_ashrrev_i32_e32 v151, 31, v151
	v_xor_b32_e32 v156, s16, v156
	v_mul_u32_u24_e32 v37, 9, v37
	v_and_b32_e32 v150, v150, v154
	v_cmp_gt_i32_e64 s16, 0, v155
	v_ashrrev_i32_e32 v152, 31, v152
	v_xor_b32_e32 v151, vcc_lo, v151
	v_add_lshl_u32 v154, v37, v126, 2
	v_and_b32_e32 v150, v150, v156
	s_delay_alu instid0(VALU_DEP_4) | instskip(NEXT) | instid1(VALU_DEP_3)
	v_xor_b32_e32 v37, s16, v152
	v_add_nc_u32_e32 v152, 0x420, v154
	s_delay_alu instid0(VALU_DEP_3) | instskip(SKIP_2) | instid1(VALU_DEP_1)
	v_and_b32_e32 v151, v150, v151
	ds_load_b32 v150, v154 offset:1056
	; wave barrier
	v_and_b32_e32 v37, v151, v37
	v_mbcnt_lo_u32_b32 v151, v37, 0
	v_cmp_ne_u32_e64 s16, 0, v37
	s_delay_alu instid0(VALU_DEP_2) | instskip(NEXT) | instid1(VALU_DEP_2)
	v_cmp_eq_u32_e32 vcc_lo, 0, v151
	s_and_b32 s17, s16, vcc_lo
	s_delay_alu instid0(SALU_CYCLE_1)
	s_and_saveexec_b32 s16, s17
	s_cbranch_execz .LBB1747_1022
; %bb.1021:                             ;   in Loop: Header=BB1747_982 Depth=2
	s_waitcnt lgkmcnt(0)
	v_bcnt_u32_b32 v37, v37, v150
	ds_store_b32 v152, v37
.LBB1747_1022:                          ;   in Loop: Header=BB1747_982 Depth=2
	s_or_b32 exec_lo, exec_lo, s16
	v_cmp_gt_i16_e64 vcc_lo, 0, v149
	; wave barrier
	s_delay_alu instid0(VALU_DEP_1) | instskip(NEXT) | instid1(VALU_DEP_1)
	v_cndmask_b32_e64 v37, 0x7fff, 0, vcc_lo
	v_xor_b32_e32 v149, v37, v149
	s_delay_alu instid0(VALU_DEP_1) | instskip(SKIP_1) | instid1(VALU_DEP_1)
	v_cmp_ne_u16_e64 vcc_lo, 0x8000, v149
	v_cndmask_b32_e32 v37, 0x7fff, v149, vcc_lo
	v_and_b32_e32 v37, 0xffff, v37
	s_delay_alu instid0(VALU_DEP_1) | instskip(NEXT) | instid1(VALU_DEP_1)
	v_lshrrev_b32_e32 v37, s49, v37
	v_and_b32_e32 v37, s55, v37
	s_delay_alu instid0(VALU_DEP_1)
	v_and_b32_e32 v154, 1, v37
	v_lshlrev_b32_e32 v155, 30, v37
	v_lshlrev_b32_e32 v156, 29, v37
	;; [unrolled: 1-line block ×4, first 2 shown]
	v_add_co_u32 v154, s16, v154, -1
	s_delay_alu instid0(VALU_DEP_1)
	v_cndmask_b32_e64 v159, 0, 1, s16
	v_not_b32_e32 v164, v155
	v_cmp_gt_i32_e64 s16, 0, v155
	v_not_b32_e32 v155, v156
	v_lshlrev_b32_e32 v162, 26, v37
	v_cmp_ne_u32_e32 vcc_lo, 0, v159
	v_ashrrev_i32_e32 v164, 31, v164
	v_lshlrev_b32_e32 v163, 25, v37
	v_ashrrev_i32_e32 v155, 31, v155
	v_lshlrev_b32_e32 v159, 24, v37
	v_xor_b32_e32 v154, vcc_lo, v154
	v_cmp_gt_i32_e32 vcc_lo, 0, v156
	v_not_b32_e32 v156, v158
	v_xor_b32_e32 v164, s16, v164
	v_cmp_gt_i32_e64 s16, 0, v158
	v_and_b32_e32 v154, exec_lo, v154
	v_not_b32_e32 v158, v160
	v_ashrrev_i32_e32 v156, 31, v156
	v_xor_b32_e32 v155, vcc_lo, v155
	v_cmp_gt_i32_e32 vcc_lo, 0, v160
	v_and_b32_e32 v154, v154, v164
	v_not_b32_e32 v160, v162
	v_ashrrev_i32_e32 v158, 31, v158
	v_xor_b32_e32 v156, s16, v156
	v_cmp_gt_i32_e64 s16, 0, v162
	v_and_b32_e32 v154, v154, v155
	v_not_b32_e32 v155, v163
	v_ashrrev_i32_e32 v160, 31, v160
	v_xor_b32_e32 v158, vcc_lo, v158
	v_cmp_gt_i32_e32 vcc_lo, 0, v163
	v_and_b32_e32 v154, v154, v156
	v_not_b32_e32 v156, v159
	v_ashrrev_i32_e32 v155, 31, v155
	v_xor_b32_e32 v160, s16, v160
	v_mul_u32_u24_e32 v37, 9, v37
	v_and_b32_e32 v154, v154, v158
	v_cmp_gt_i32_e64 s16, 0, v159
	v_ashrrev_i32_e32 v156, 31, v156
	v_xor_b32_e32 v155, vcc_lo, v155
	v_add_lshl_u32 v158, v37, v126, 2
	v_and_b32_e32 v154, v154, v160
	s_delay_alu instid0(VALU_DEP_4) | instskip(NEXT) | instid1(VALU_DEP_3)
	v_xor_b32_e32 v37, s16, v156
	v_add_nc_u32_e32 v156, 0x420, v158
	s_delay_alu instid0(VALU_DEP_3) | instskip(SKIP_2) | instid1(VALU_DEP_1)
	v_and_b32_e32 v155, v154, v155
	ds_load_b32 v154, v158 offset:1056
	; wave barrier
	v_and_b32_e32 v37, v155, v37
	v_mbcnt_lo_u32_b32 v155, v37, 0
	v_cmp_ne_u32_e64 s16, 0, v37
	s_delay_alu instid0(VALU_DEP_2) | instskip(NEXT) | instid1(VALU_DEP_2)
	v_cmp_eq_u32_e32 vcc_lo, 0, v155
	s_and_b32 s17, s16, vcc_lo
	s_delay_alu instid0(SALU_CYCLE_1)
	s_and_saveexec_b32 s16, s17
	s_cbranch_execz .LBB1747_1024
; %bb.1023:                             ;   in Loop: Header=BB1747_982 Depth=2
	s_waitcnt lgkmcnt(0)
	v_bcnt_u32_b32 v37, v37, v154
	ds_store_b32 v156, v37
.LBB1747_1024:                          ;   in Loop: Header=BB1747_982 Depth=2
	s_or_b32 exec_lo, exec_lo, s16
	v_cmp_gt_i16_e64 vcc_lo, 0, v153
	; wave barrier
	s_delay_alu instid0(VALU_DEP_1) | instskip(NEXT) | instid1(VALU_DEP_1)
	v_cndmask_b32_e64 v37, 0x7fff, 0, vcc_lo
	v_xor_b32_e32 v153, v37, v153
	s_delay_alu instid0(VALU_DEP_1) | instskip(SKIP_1) | instid1(VALU_DEP_1)
	v_cmp_ne_u16_e64 vcc_lo, 0x8000, v153
	v_cndmask_b32_e32 v37, 0x7fff, v153, vcc_lo
	v_and_b32_e32 v37, 0xffff, v37
	s_delay_alu instid0(VALU_DEP_1) | instskip(NEXT) | instid1(VALU_DEP_1)
	v_lshrrev_b32_e32 v37, s49, v37
	v_and_b32_e32 v37, s55, v37
	s_delay_alu instid0(VALU_DEP_1)
	v_and_b32_e32 v158, 1, v37
	v_lshlrev_b32_e32 v159, 30, v37
	v_lshlrev_b32_e32 v160, 29, v37
	;; [unrolled: 1-line block ×4, first 2 shown]
	v_add_co_u32 v158, s16, v158, -1
	s_delay_alu instid0(VALU_DEP_1)
	v_cndmask_b32_e64 v163, 0, 1, s16
	v_not_b32_e32 v168, v159
	v_cmp_gt_i32_e64 s16, 0, v159
	v_not_b32_e32 v159, v160
	v_lshlrev_b32_e32 v166, 26, v37
	v_cmp_ne_u32_e32 vcc_lo, 0, v163
	v_ashrrev_i32_e32 v168, 31, v168
	v_lshlrev_b32_e32 v167, 25, v37
	v_ashrrev_i32_e32 v159, 31, v159
	v_lshlrev_b32_e32 v163, 24, v37
	v_xor_b32_e32 v158, vcc_lo, v158
	v_cmp_gt_i32_e32 vcc_lo, 0, v160
	v_not_b32_e32 v160, v162
	v_xor_b32_e32 v168, s16, v168
	v_cmp_gt_i32_e64 s16, 0, v162
	v_and_b32_e32 v158, exec_lo, v158
	v_not_b32_e32 v162, v164
	v_ashrrev_i32_e32 v160, 31, v160
	v_xor_b32_e32 v159, vcc_lo, v159
	v_cmp_gt_i32_e32 vcc_lo, 0, v164
	v_and_b32_e32 v158, v158, v168
	v_not_b32_e32 v164, v166
	v_ashrrev_i32_e32 v162, 31, v162
	v_xor_b32_e32 v160, s16, v160
	v_cmp_gt_i32_e64 s16, 0, v166
	v_and_b32_e32 v158, v158, v159
	v_not_b32_e32 v159, v167
	v_ashrrev_i32_e32 v164, 31, v164
	v_xor_b32_e32 v162, vcc_lo, v162
	v_cmp_gt_i32_e32 vcc_lo, 0, v167
	v_and_b32_e32 v158, v158, v160
	v_not_b32_e32 v160, v163
	v_ashrrev_i32_e32 v159, 31, v159
	v_xor_b32_e32 v164, s16, v164
	v_mul_u32_u24_e32 v37, 9, v37
	v_and_b32_e32 v158, v158, v162
	v_cmp_gt_i32_e64 s16, 0, v163
	v_ashrrev_i32_e32 v160, 31, v160
	v_xor_b32_e32 v159, vcc_lo, v159
	v_add_lshl_u32 v162, v37, v126, 2
	v_and_b32_e32 v158, v158, v164
	s_delay_alu instid0(VALU_DEP_4) | instskip(NEXT) | instid1(VALU_DEP_3)
	v_xor_b32_e32 v37, s16, v160
	v_add_nc_u32_e32 v160, 0x420, v162
	s_delay_alu instid0(VALU_DEP_3) | instskip(SKIP_2) | instid1(VALU_DEP_1)
	v_and_b32_e32 v159, v158, v159
	ds_load_b32 v158, v162 offset:1056
	; wave barrier
	v_and_b32_e32 v37, v159, v37
	v_mbcnt_lo_u32_b32 v159, v37, 0
	v_cmp_ne_u32_e64 s16, 0, v37
	s_delay_alu instid0(VALU_DEP_2) | instskip(NEXT) | instid1(VALU_DEP_2)
	v_cmp_eq_u32_e32 vcc_lo, 0, v159
	s_and_b32 s17, s16, vcc_lo
	s_delay_alu instid0(SALU_CYCLE_1)
	s_and_saveexec_b32 s16, s17
	s_cbranch_execz .LBB1747_1026
; %bb.1025:                             ;   in Loop: Header=BB1747_982 Depth=2
	s_waitcnt lgkmcnt(0)
	v_bcnt_u32_b32 v37, v37, v158
	ds_store_b32 v160, v37
.LBB1747_1026:                          ;   in Loop: Header=BB1747_982 Depth=2
	s_or_b32 exec_lo, exec_lo, s16
	v_cmp_gt_i16_e64 vcc_lo, 0, v157
	; wave barrier
	s_delay_alu instid0(VALU_DEP_1) | instskip(NEXT) | instid1(VALU_DEP_1)
	v_cndmask_b32_e64 v37, 0x7fff, 0, vcc_lo
	v_xor_b32_e32 v157, v37, v157
	s_delay_alu instid0(VALU_DEP_1) | instskip(SKIP_1) | instid1(VALU_DEP_1)
	v_cmp_ne_u16_e64 vcc_lo, 0x8000, v157
	v_cndmask_b32_e32 v37, 0x7fff, v157, vcc_lo
	v_and_b32_e32 v37, 0xffff, v37
	s_delay_alu instid0(VALU_DEP_1) | instskip(NEXT) | instid1(VALU_DEP_1)
	v_lshrrev_b32_e32 v37, s49, v37
	v_and_b32_e32 v37, s55, v37
	s_delay_alu instid0(VALU_DEP_1)
	v_and_b32_e32 v162, 1, v37
	v_lshlrev_b32_e32 v163, 30, v37
	v_lshlrev_b32_e32 v164, 29, v37
	;; [unrolled: 1-line block ×4, first 2 shown]
	v_add_co_u32 v162, s16, v162, -1
	s_delay_alu instid0(VALU_DEP_1)
	v_cndmask_b32_e64 v167, 0, 1, s16
	v_not_b32_e32 v173, v163
	v_cmp_gt_i32_e64 s16, 0, v163
	v_not_b32_e32 v163, v164
	v_lshlrev_b32_e32 v171, 26, v37
	v_cmp_ne_u32_e32 vcc_lo, 0, v167
	v_ashrrev_i32_e32 v173, 31, v173
	v_lshlrev_b32_e32 v172, 25, v37
	v_ashrrev_i32_e32 v163, 31, v163
	v_lshlrev_b32_e32 v167, 24, v37
	v_xor_b32_e32 v162, vcc_lo, v162
	v_cmp_gt_i32_e32 vcc_lo, 0, v164
	v_not_b32_e32 v164, v166
	v_xor_b32_e32 v173, s16, v173
	v_cmp_gt_i32_e64 s16, 0, v166
	v_and_b32_e32 v162, exec_lo, v162
	v_not_b32_e32 v166, v168
	v_ashrrev_i32_e32 v164, 31, v164
	v_xor_b32_e32 v163, vcc_lo, v163
	v_cmp_gt_i32_e32 vcc_lo, 0, v168
	v_and_b32_e32 v162, v162, v173
	v_not_b32_e32 v168, v171
	v_ashrrev_i32_e32 v166, 31, v166
	v_xor_b32_e32 v164, s16, v164
	v_cmp_gt_i32_e64 s16, 0, v171
	v_and_b32_e32 v162, v162, v163
	v_not_b32_e32 v163, v172
	v_ashrrev_i32_e32 v168, 31, v168
	v_xor_b32_e32 v166, vcc_lo, v166
	v_cmp_gt_i32_e32 vcc_lo, 0, v172
	v_and_b32_e32 v162, v162, v164
	v_not_b32_e32 v164, v167
	v_ashrrev_i32_e32 v163, 31, v163
	v_xor_b32_e32 v168, s16, v168
	v_mul_u32_u24_e32 v37, 9, v37
	v_and_b32_e32 v162, v162, v166
	v_cmp_gt_i32_e64 s16, 0, v167
	v_ashrrev_i32_e32 v164, 31, v164
	v_xor_b32_e32 v163, vcc_lo, v163
	v_add_lshl_u32 v166, v37, v126, 2
	v_and_b32_e32 v162, v162, v168
	s_delay_alu instid0(VALU_DEP_4) | instskip(NEXT) | instid1(VALU_DEP_3)
	v_xor_b32_e32 v37, s16, v164
	v_add_nc_u32_e32 v164, 0x420, v166
	s_delay_alu instid0(VALU_DEP_3) | instskip(SKIP_2) | instid1(VALU_DEP_1)
	v_and_b32_e32 v163, v162, v163
	ds_load_b32 v162, v166 offset:1056
	; wave barrier
	v_and_b32_e32 v37, v163, v37
	v_mbcnt_lo_u32_b32 v163, v37, 0
	v_cmp_ne_u32_e64 s16, 0, v37
	s_delay_alu instid0(VALU_DEP_2) | instskip(NEXT) | instid1(VALU_DEP_2)
	v_cmp_eq_u32_e32 vcc_lo, 0, v163
	s_and_b32 s17, s16, vcc_lo
	s_delay_alu instid0(SALU_CYCLE_1)
	s_and_saveexec_b32 s16, s17
	s_cbranch_execz .LBB1747_1028
; %bb.1027:                             ;   in Loop: Header=BB1747_982 Depth=2
	s_waitcnt lgkmcnt(0)
	v_bcnt_u32_b32 v37, v37, v162
	ds_store_b32 v164, v37
.LBB1747_1028:                          ;   in Loop: Header=BB1747_982 Depth=2
	s_or_b32 exec_lo, exec_lo, s16
	v_cmp_gt_i16_e64 vcc_lo, 0, v161
	; wave barrier
	s_delay_alu instid0(VALU_DEP_1) | instskip(NEXT) | instid1(VALU_DEP_1)
	v_cndmask_b32_e64 v37, 0x7fff, 0, vcc_lo
	v_xor_b32_e32 v161, v37, v161
	s_delay_alu instid0(VALU_DEP_1) | instskip(SKIP_1) | instid1(VALU_DEP_1)
	v_cmp_ne_u16_e64 vcc_lo, 0x8000, v161
	v_cndmask_b32_e32 v37, 0x7fff, v161, vcc_lo
	v_and_b32_e32 v37, 0xffff, v37
	s_delay_alu instid0(VALU_DEP_1) | instskip(NEXT) | instid1(VALU_DEP_1)
	v_lshrrev_b32_e32 v37, s49, v37
	v_and_b32_e32 v37, s55, v37
	s_delay_alu instid0(VALU_DEP_1)
	v_and_b32_e32 v166, 1, v37
	v_lshlrev_b32_e32 v167, 30, v37
	v_lshlrev_b32_e32 v168, 29, v37
	;; [unrolled: 1-line block ×4, first 2 shown]
	v_add_co_u32 v166, s16, v166, -1
	s_delay_alu instid0(VALU_DEP_1)
	v_cndmask_b32_e64 v172, 0, 1, s16
	v_not_b32_e32 v176, v167
	v_cmp_gt_i32_e64 s16, 0, v167
	v_not_b32_e32 v167, v168
	v_lshlrev_b32_e32 v174, 26, v37
	v_cmp_ne_u32_e32 vcc_lo, 0, v172
	v_ashrrev_i32_e32 v176, 31, v176
	v_lshlrev_b32_e32 v175, 25, v37
	v_ashrrev_i32_e32 v167, 31, v167
	v_lshlrev_b32_e32 v172, 24, v37
	v_xor_b32_e32 v166, vcc_lo, v166
	v_cmp_gt_i32_e32 vcc_lo, 0, v168
	v_not_b32_e32 v168, v171
	v_xor_b32_e32 v176, s16, v176
	v_cmp_gt_i32_e64 s16, 0, v171
	v_and_b32_e32 v166, exec_lo, v166
	v_not_b32_e32 v171, v173
	v_ashrrev_i32_e32 v168, 31, v168
	v_xor_b32_e32 v167, vcc_lo, v167
	v_cmp_gt_i32_e32 vcc_lo, 0, v173
	v_and_b32_e32 v166, v166, v176
	v_not_b32_e32 v173, v174
	v_ashrrev_i32_e32 v171, 31, v171
	v_xor_b32_e32 v168, s16, v168
	v_cmp_gt_i32_e64 s16, 0, v174
	v_and_b32_e32 v166, v166, v167
	v_not_b32_e32 v167, v175
	v_ashrrev_i32_e32 v173, 31, v173
	v_xor_b32_e32 v171, vcc_lo, v171
	v_cmp_gt_i32_e32 vcc_lo, 0, v175
	v_and_b32_e32 v166, v166, v168
	v_not_b32_e32 v168, v172
	v_ashrrev_i32_e32 v167, 31, v167
	v_xor_b32_e32 v173, s16, v173
	v_mul_u32_u24_e32 v37, 9, v37
	v_and_b32_e32 v166, v166, v171
	v_cmp_gt_i32_e64 s16, 0, v172
	v_ashrrev_i32_e32 v168, 31, v168
	v_xor_b32_e32 v167, vcc_lo, v167
	v_add_lshl_u32 v171, v37, v126, 2
	v_and_b32_e32 v166, v166, v173
	s_delay_alu instid0(VALU_DEP_4) | instskip(NEXT) | instid1(VALU_DEP_3)
	v_xor_b32_e32 v37, s16, v168
	v_add_nc_u32_e32 v168, 0x420, v171
	s_delay_alu instid0(VALU_DEP_3) | instskip(SKIP_2) | instid1(VALU_DEP_1)
	v_and_b32_e32 v167, v166, v167
	ds_load_b32 v166, v171 offset:1056
	; wave barrier
	v_and_b32_e32 v37, v167, v37
	v_mbcnt_lo_u32_b32 v167, v37, 0
	v_cmp_ne_u32_e64 s16, 0, v37
	s_delay_alu instid0(VALU_DEP_2) | instskip(NEXT) | instid1(VALU_DEP_2)
	v_cmp_eq_u32_e32 vcc_lo, 0, v167
	s_and_b32 s17, s16, vcc_lo
	s_delay_alu instid0(SALU_CYCLE_1)
	s_and_saveexec_b32 s16, s17
	s_cbranch_execz .LBB1747_1030
; %bb.1029:                             ;   in Loop: Header=BB1747_982 Depth=2
	s_waitcnt lgkmcnt(0)
	v_bcnt_u32_b32 v37, v37, v166
	ds_store_b32 v168, v37
.LBB1747_1030:                          ;   in Loop: Header=BB1747_982 Depth=2
	s_or_b32 exec_lo, exec_lo, s16
	v_cmp_gt_i16_e64 vcc_lo, 0, v165
	; wave barrier
	s_delay_alu instid0(VALU_DEP_1) | instskip(NEXT) | instid1(VALU_DEP_1)
	v_cndmask_b32_e64 v37, 0x7fff, 0, vcc_lo
	v_xor_b32_e32 v165, v37, v165
	s_delay_alu instid0(VALU_DEP_1) | instskip(SKIP_1) | instid1(VALU_DEP_1)
	v_cmp_ne_u16_e64 vcc_lo, 0x8000, v165
	v_cndmask_b32_e32 v37, 0x7fff, v165, vcc_lo
	v_and_b32_e32 v37, 0xffff, v37
	s_delay_alu instid0(VALU_DEP_1) | instskip(NEXT) | instid1(VALU_DEP_1)
	v_lshrrev_b32_e32 v37, s49, v37
	v_and_b32_e32 v37, s55, v37
	s_delay_alu instid0(VALU_DEP_1)
	v_and_b32_e32 v171, 1, v37
	v_lshlrev_b32_e32 v172, 30, v37
	v_lshlrev_b32_e32 v173, 29, v37
	;; [unrolled: 1-line block ×4, first 2 shown]
	v_add_co_u32 v171, s16, v171, -1
	s_delay_alu instid0(VALU_DEP_1)
	v_cndmask_b32_e64 v175, 0, 1, s16
	v_not_b32_e32 v179, v172
	v_cmp_gt_i32_e64 s16, 0, v172
	v_not_b32_e32 v172, v173
	v_lshlrev_b32_e32 v177, 26, v37
	v_cmp_ne_u32_e32 vcc_lo, 0, v175
	v_ashrrev_i32_e32 v179, 31, v179
	v_lshlrev_b32_e32 v178, 25, v37
	v_ashrrev_i32_e32 v172, 31, v172
	v_lshlrev_b32_e32 v175, 24, v37
	v_xor_b32_e32 v171, vcc_lo, v171
	v_cmp_gt_i32_e32 vcc_lo, 0, v173
	v_not_b32_e32 v173, v174
	v_xor_b32_e32 v179, s16, v179
	v_cmp_gt_i32_e64 s16, 0, v174
	v_and_b32_e32 v171, exec_lo, v171
	v_not_b32_e32 v174, v176
	v_ashrrev_i32_e32 v173, 31, v173
	v_xor_b32_e32 v172, vcc_lo, v172
	v_cmp_gt_i32_e32 vcc_lo, 0, v176
	v_and_b32_e32 v171, v171, v179
	v_not_b32_e32 v176, v177
	v_ashrrev_i32_e32 v174, 31, v174
	v_xor_b32_e32 v173, s16, v173
	v_cmp_gt_i32_e64 s16, 0, v177
	v_and_b32_e32 v171, v171, v172
	v_not_b32_e32 v172, v178
	v_ashrrev_i32_e32 v176, 31, v176
	v_xor_b32_e32 v174, vcc_lo, v174
	v_cmp_gt_i32_e32 vcc_lo, 0, v178
	v_and_b32_e32 v171, v171, v173
	v_not_b32_e32 v173, v175
	v_ashrrev_i32_e32 v172, 31, v172
	v_xor_b32_e32 v176, s16, v176
	v_mul_u32_u24_e32 v37, 9, v37
	v_and_b32_e32 v171, v171, v174
	v_cmp_gt_i32_e64 s16, 0, v175
	v_ashrrev_i32_e32 v173, 31, v173
	v_xor_b32_e32 v172, vcc_lo, v172
	v_add_lshl_u32 v174, v37, v126, 2
	v_and_b32_e32 v171, v171, v176
	s_delay_alu instid0(VALU_DEP_4) | instskip(NEXT) | instid1(VALU_DEP_3)
	v_xor_b32_e32 v37, s16, v173
	v_add_nc_u32_e32 v173, 0x420, v174
	s_delay_alu instid0(VALU_DEP_3) | instskip(SKIP_2) | instid1(VALU_DEP_1)
	v_and_b32_e32 v172, v171, v172
	ds_load_b32 v171, v174 offset:1056
	; wave barrier
	v_and_b32_e32 v37, v172, v37
	v_mbcnt_lo_u32_b32 v172, v37, 0
	v_cmp_ne_u32_e64 s16, 0, v37
	s_delay_alu instid0(VALU_DEP_2) | instskip(NEXT) | instid1(VALU_DEP_2)
	v_cmp_eq_u32_e32 vcc_lo, 0, v172
	s_and_b32 s17, s16, vcc_lo
	s_delay_alu instid0(SALU_CYCLE_1)
	s_and_saveexec_b32 s16, s17
	s_cbranch_execz .LBB1747_1032
; %bb.1031:                             ;   in Loop: Header=BB1747_982 Depth=2
	s_waitcnt lgkmcnt(0)
	v_bcnt_u32_b32 v37, v37, v171
	ds_store_b32 v173, v37
.LBB1747_1032:                          ;   in Loop: Header=BB1747_982 Depth=2
	s_or_b32 exec_lo, exec_lo, s16
	v_cmp_gt_i16_e64 vcc_lo, 0, v170
	; wave barrier
	s_delay_alu instid0(VALU_DEP_1) | instskip(NEXT) | instid1(VALU_DEP_1)
	v_cndmask_b32_e64 v37, 0x7fff, 0, vcc_lo
	v_xor_b32_e32 v170, v37, v170
	s_delay_alu instid0(VALU_DEP_1) | instskip(SKIP_1) | instid1(VALU_DEP_1)
	v_cmp_ne_u16_e64 vcc_lo, 0x8000, v170
	v_cndmask_b32_e32 v37, 0x7fff, v170, vcc_lo
	v_and_b32_e32 v37, 0xffff, v37
	s_delay_alu instid0(VALU_DEP_1) | instskip(NEXT) | instid1(VALU_DEP_1)
	v_lshrrev_b32_e32 v37, s49, v37
	v_and_b32_e32 v37, s55, v37
	s_delay_alu instid0(VALU_DEP_1)
	v_and_b32_e32 v174, 1, v37
	v_lshlrev_b32_e32 v175, 30, v37
	v_lshlrev_b32_e32 v176, 29, v37
	v_lshlrev_b32_e32 v177, 28, v37
	v_lshlrev_b32_e32 v179, 27, v37
	v_add_co_u32 v174, s16, v174, -1
	s_delay_alu instid0(VALU_DEP_1)
	v_cndmask_b32_e64 v178, 0, 1, s16
	v_not_b32_e32 v182, v175
	v_cmp_gt_i32_e64 s16, 0, v175
	v_not_b32_e32 v175, v176
	v_lshlrev_b32_e32 v180, 26, v37
	v_cmp_ne_u32_e32 vcc_lo, 0, v178
	v_ashrrev_i32_e32 v182, 31, v182
	v_lshlrev_b32_e32 v181, 25, v37
	v_ashrrev_i32_e32 v175, 31, v175
	v_lshlrev_b32_e32 v178, 24, v37
	v_xor_b32_e32 v174, vcc_lo, v174
	v_cmp_gt_i32_e32 vcc_lo, 0, v176
	v_not_b32_e32 v176, v177
	v_xor_b32_e32 v182, s16, v182
	v_cmp_gt_i32_e64 s16, 0, v177
	v_and_b32_e32 v174, exec_lo, v174
	v_not_b32_e32 v177, v179
	v_ashrrev_i32_e32 v176, 31, v176
	v_xor_b32_e32 v175, vcc_lo, v175
	v_cmp_gt_i32_e32 vcc_lo, 0, v179
	v_and_b32_e32 v174, v174, v182
	v_not_b32_e32 v179, v180
	v_ashrrev_i32_e32 v177, 31, v177
	v_xor_b32_e32 v176, s16, v176
	v_cmp_gt_i32_e64 s16, 0, v180
	v_and_b32_e32 v174, v174, v175
	v_not_b32_e32 v175, v181
	v_ashrrev_i32_e32 v179, 31, v179
	v_xor_b32_e32 v177, vcc_lo, v177
	v_cmp_gt_i32_e32 vcc_lo, 0, v181
	v_and_b32_e32 v174, v174, v176
	v_not_b32_e32 v176, v178
	v_ashrrev_i32_e32 v175, 31, v175
	v_xor_b32_e32 v179, s16, v179
	v_mul_u32_u24_e32 v37, 9, v37
	v_and_b32_e32 v174, v174, v177
	v_cmp_gt_i32_e64 s16, 0, v178
	v_ashrrev_i32_e32 v176, 31, v176
	v_xor_b32_e32 v175, vcc_lo, v175
	v_add_lshl_u32 v177, v37, v126, 2
	v_and_b32_e32 v174, v174, v179
	s_delay_alu instid0(VALU_DEP_4) | instskip(NEXT) | instid1(VALU_DEP_3)
	v_xor_b32_e32 v37, s16, v176
	v_add_nc_u32_e32 v176, 0x420, v177
	s_delay_alu instid0(VALU_DEP_3) | instskip(SKIP_2) | instid1(VALU_DEP_1)
	v_and_b32_e32 v175, v174, v175
	ds_load_b32 v174, v177 offset:1056
	; wave barrier
	v_and_b32_e32 v37, v175, v37
	v_mbcnt_lo_u32_b32 v175, v37, 0
	v_cmp_ne_u32_e64 s16, 0, v37
	s_delay_alu instid0(VALU_DEP_2) | instskip(NEXT) | instid1(VALU_DEP_2)
	v_cmp_eq_u32_e32 vcc_lo, 0, v175
	s_and_b32 s17, s16, vcc_lo
	s_delay_alu instid0(SALU_CYCLE_1)
	s_and_saveexec_b32 s16, s17
	s_cbranch_execz .LBB1747_1034
; %bb.1033:                             ;   in Loop: Header=BB1747_982 Depth=2
	s_waitcnt lgkmcnt(0)
	v_bcnt_u32_b32 v37, v37, v174
	ds_store_b32 v176, v37
.LBB1747_1034:                          ;   in Loop: Header=BB1747_982 Depth=2
	s_or_b32 exec_lo, exec_lo, s16
	v_cmp_gt_i16_e64 vcc_lo, 0, v169
	; wave barrier
	s_delay_alu instid0(VALU_DEP_1) | instskip(NEXT) | instid1(VALU_DEP_1)
	v_cndmask_b32_e64 v37, 0x7fff, 0, vcc_lo
	v_xor_b32_e32 v169, v37, v169
	s_delay_alu instid0(VALU_DEP_1) | instskip(SKIP_1) | instid1(VALU_DEP_1)
	v_cmp_ne_u16_e64 vcc_lo, 0x8000, v169
	v_cndmask_b32_e32 v37, 0x7fff, v169, vcc_lo
	v_and_b32_e32 v37, 0xffff, v37
	s_delay_alu instid0(VALU_DEP_1) | instskip(NEXT) | instid1(VALU_DEP_1)
	v_lshrrev_b32_e32 v37, s49, v37
	v_and_b32_e32 v37, s55, v37
	s_delay_alu instid0(VALU_DEP_1)
	v_and_b32_e32 v177, 1, v37
	v_lshlrev_b32_e32 v178, 30, v37
	v_lshlrev_b32_e32 v179, 29, v37
	;; [unrolled: 1-line block ×4, first 2 shown]
	v_add_co_u32 v177, s16, v177, -1
	s_delay_alu instid0(VALU_DEP_1)
	v_cndmask_b32_e64 v181, 0, 1, s16
	v_not_b32_e32 v185, v178
	v_cmp_gt_i32_e64 s16, 0, v178
	v_not_b32_e32 v178, v179
	v_lshlrev_b32_e32 v183, 26, v37
	v_cmp_ne_u32_e32 vcc_lo, 0, v181
	v_ashrrev_i32_e32 v185, 31, v185
	v_lshlrev_b32_e32 v184, 25, v37
	v_ashrrev_i32_e32 v178, 31, v178
	v_lshlrev_b32_e32 v181, 24, v37
	v_xor_b32_e32 v177, vcc_lo, v177
	v_cmp_gt_i32_e32 vcc_lo, 0, v179
	v_not_b32_e32 v179, v180
	v_xor_b32_e32 v185, s16, v185
	v_cmp_gt_i32_e64 s16, 0, v180
	v_and_b32_e32 v177, exec_lo, v177
	v_not_b32_e32 v180, v182
	v_ashrrev_i32_e32 v179, 31, v179
	v_xor_b32_e32 v178, vcc_lo, v178
	v_cmp_gt_i32_e32 vcc_lo, 0, v182
	v_and_b32_e32 v177, v177, v185
	v_not_b32_e32 v182, v183
	v_ashrrev_i32_e32 v180, 31, v180
	v_xor_b32_e32 v179, s16, v179
	v_cmp_gt_i32_e64 s16, 0, v183
	v_and_b32_e32 v177, v177, v178
	v_not_b32_e32 v178, v184
	v_ashrrev_i32_e32 v182, 31, v182
	v_xor_b32_e32 v180, vcc_lo, v180
	v_cmp_gt_i32_e32 vcc_lo, 0, v184
	v_and_b32_e32 v177, v177, v179
	v_not_b32_e32 v179, v181
	v_ashrrev_i32_e32 v178, 31, v178
	v_xor_b32_e32 v182, s16, v182
	v_mul_u32_u24_e32 v37, 9, v37
	v_and_b32_e32 v177, v177, v180
	v_cmp_gt_i32_e64 s16, 0, v181
	v_ashrrev_i32_e32 v179, 31, v179
	v_xor_b32_e32 v178, vcc_lo, v178
	v_add_lshl_u32 v180, v37, v126, 2
	v_and_b32_e32 v177, v177, v182
	s_delay_alu instid0(VALU_DEP_4) | instskip(NEXT) | instid1(VALU_DEP_2)
	v_xor_b32_e32 v37, s16, v179
	v_and_b32_e32 v177, v177, v178
	ds_load_b32 v178, v180 offset:1056
	v_add_nc_u32_e32 v180, 0x420, v180
	; wave barrier
	v_and_b32_e32 v37, v177, v37
	s_delay_alu instid0(VALU_DEP_1) | instskip(SKIP_1) | instid1(VALU_DEP_2)
	v_mbcnt_lo_u32_b32 v179, v37, 0
	v_cmp_ne_u32_e64 s16, 0, v37
	v_cmp_eq_u32_e32 vcc_lo, 0, v179
	s_delay_alu instid0(VALU_DEP_2) | instskip(NEXT) | instid1(SALU_CYCLE_1)
	s_and_b32 s17, s16, vcc_lo
	s_and_saveexec_b32 s16, s17
	s_cbranch_execz .LBB1747_1036
; %bb.1035:                             ;   in Loop: Header=BB1747_982 Depth=2
	s_waitcnt lgkmcnt(0)
	v_bcnt_u32_b32 v37, v37, v178
	ds_store_b32 v180, v37
.LBB1747_1036:                          ;   in Loop: Header=BB1747_982 Depth=2
	s_or_b32 exec_lo, exec_lo, s16
	v_cmp_gt_i16_e32 vcc_lo, 0, v43
	; wave barrier
	v_cndmask_b32_e64 v37, 0x7fff, 0, vcc_lo
	s_delay_alu instid0(VALU_DEP_1) | instskip(NEXT) | instid1(VALU_DEP_1)
	v_xor_b32_e32 v177, v37, v43
	v_cmp_ne_u16_e64 vcc_lo, 0x8000, v177
	v_cndmask_b32_e32 v37, 0x7fff, v177, vcc_lo
	s_delay_alu instid0(VALU_DEP_1) | instskip(NEXT) | instid1(VALU_DEP_1)
	v_and_b32_e32 v37, 0xffff, v37
	v_lshrrev_b32_e32 v37, s49, v37
	s_delay_alu instid0(VALU_DEP_1) | instskip(NEXT) | instid1(VALU_DEP_1)
	v_and_b32_e32 v37, s55, v37
	v_and_b32_e32 v43, 1, v37
	v_lshlrev_b32_e32 v181, 30, v37
	v_lshlrev_b32_e32 v182, 29, v37
	;; [unrolled: 1-line block ×4, first 2 shown]
	v_add_co_u32 v43, s16, v43, -1
	s_delay_alu instid0(VALU_DEP_1)
	v_cndmask_b32_e64 v184, 0, 1, s16
	v_not_b32_e32 v188, v181
	v_cmp_gt_i32_e64 s16, 0, v181
	v_not_b32_e32 v181, v182
	v_lshlrev_b32_e32 v186, 26, v37
	v_cmp_ne_u32_e32 vcc_lo, 0, v184
	v_ashrrev_i32_e32 v188, 31, v188
	v_lshlrev_b32_e32 v187, 25, v37
	v_ashrrev_i32_e32 v181, 31, v181
	v_lshlrev_b32_e32 v184, 24, v37
	v_xor_b32_e32 v43, vcc_lo, v43
	v_cmp_gt_i32_e32 vcc_lo, 0, v182
	v_not_b32_e32 v182, v183
	v_xor_b32_e32 v188, s16, v188
	v_cmp_gt_i32_e64 s16, 0, v183
	v_and_b32_e32 v43, exec_lo, v43
	v_not_b32_e32 v183, v185
	v_ashrrev_i32_e32 v182, 31, v182
	v_xor_b32_e32 v181, vcc_lo, v181
	v_cmp_gt_i32_e32 vcc_lo, 0, v185
	v_and_b32_e32 v43, v43, v188
	v_not_b32_e32 v185, v186
	v_ashrrev_i32_e32 v183, 31, v183
	v_xor_b32_e32 v182, s16, v182
	v_cmp_gt_i32_e64 s16, 0, v186
	v_and_b32_e32 v43, v43, v181
	v_not_b32_e32 v181, v187
	v_ashrrev_i32_e32 v185, 31, v185
	v_xor_b32_e32 v183, vcc_lo, v183
	v_cmp_gt_i32_e32 vcc_lo, 0, v187
	v_and_b32_e32 v43, v43, v182
	v_not_b32_e32 v182, v184
	v_ashrrev_i32_e32 v181, 31, v181
	v_xor_b32_e32 v185, s16, v185
	v_mul_u32_u24_e32 v37, 9, v37
	v_and_b32_e32 v43, v43, v183
	v_cmp_gt_i32_e64 s16, 0, v184
	v_ashrrev_i32_e32 v182, 31, v182
	v_xor_b32_e32 v181, vcc_lo, v181
	v_add_lshl_u32 v184, v37, v126, 2
	v_and_b32_e32 v43, v43, v185
	s_delay_alu instid0(VALU_DEP_4) | instskip(SKIP_3) | instid1(VALU_DEP_2)
	v_xor_b32_e32 v37, s16, v182
	ds_load_b32 v182, v184 offset:1056
	v_and_b32_e32 v43, v43, v181
	v_add_nc_u32_e32 v184, 0x420, v184
	; wave barrier
	v_and_b32_e32 v37, v43, v37
	s_delay_alu instid0(VALU_DEP_1) | instskip(SKIP_1) | instid1(VALU_DEP_2)
	v_mbcnt_lo_u32_b32 v183, v37, 0
	v_cmp_ne_u32_e64 s16, 0, v37
	v_cmp_eq_u32_e32 vcc_lo, 0, v183
	s_delay_alu instid0(VALU_DEP_2) | instskip(NEXT) | instid1(SALU_CYCLE_1)
	s_and_b32 s17, s16, vcc_lo
	s_and_saveexec_b32 s16, s17
	s_cbranch_execz .LBB1747_1038
; %bb.1037:                             ;   in Loop: Header=BB1747_982 Depth=2
	s_waitcnt lgkmcnt(0)
	v_bcnt_u32_b32 v37, v37, v182
	ds_store_b32 v184, v37
.LBB1747_1038:                          ;   in Loop: Header=BB1747_982 Depth=2
	s_or_b32 exec_lo, exec_lo, s16
	v_cmp_gt_i16_e32 vcc_lo, 0, v42
	; wave barrier
	v_cndmask_b32_e64 v37, 0x7fff, 0, vcc_lo
	s_delay_alu instid0(VALU_DEP_1) | instskip(NEXT) | instid1(VALU_DEP_1)
	v_xor_b32_e32 v181, v37, v42
	v_cmp_ne_u16_e64 vcc_lo, 0x8000, v181
	v_cndmask_b32_e32 v37, 0x7fff, v181, vcc_lo
	s_delay_alu instid0(VALU_DEP_1) | instskip(NEXT) | instid1(VALU_DEP_1)
	v_and_b32_e32 v37, 0xffff, v37
	v_lshrrev_b32_e32 v37, s49, v37
	s_delay_alu instid0(VALU_DEP_1) | instskip(NEXT) | instid1(VALU_DEP_1)
	v_and_b32_e32 v37, s55, v37
	v_and_b32_e32 v42, 1, v37
	v_lshlrev_b32_e32 v43, 30, v37
	v_lshlrev_b32_e32 v185, 29, v37
	;; [unrolled: 1-line block ×4, first 2 shown]
	v_add_co_u32 v42, s16, v42, -1
	s_delay_alu instid0(VALU_DEP_1)
	v_cndmask_b32_e64 v187, 0, 1, s16
	v_not_b32_e32 v191, v43
	v_cmp_gt_i32_e64 s16, 0, v43
	v_not_b32_e32 v43, v185
	v_lshlrev_b32_e32 v189, 26, v37
	v_cmp_ne_u32_e32 vcc_lo, 0, v187
	v_ashrrev_i32_e32 v191, 31, v191
	v_lshlrev_b32_e32 v190, 25, v37
	v_ashrrev_i32_e32 v43, 31, v43
	v_lshlrev_b32_e32 v187, 24, v37
	v_xor_b32_e32 v42, vcc_lo, v42
	v_cmp_gt_i32_e32 vcc_lo, 0, v185
	v_not_b32_e32 v185, v186
	v_xor_b32_e32 v191, s16, v191
	v_cmp_gt_i32_e64 s16, 0, v186
	v_and_b32_e32 v42, exec_lo, v42
	v_not_b32_e32 v186, v188
	v_ashrrev_i32_e32 v185, 31, v185
	v_xor_b32_e32 v43, vcc_lo, v43
	v_cmp_gt_i32_e32 vcc_lo, 0, v188
	v_and_b32_e32 v42, v42, v191
	v_not_b32_e32 v188, v189
	v_ashrrev_i32_e32 v186, 31, v186
	v_xor_b32_e32 v185, s16, v185
	v_cmp_gt_i32_e64 s16, 0, v189
	v_and_b32_e32 v42, v42, v43
	v_not_b32_e32 v43, v190
	v_ashrrev_i32_e32 v188, 31, v188
	v_xor_b32_e32 v186, vcc_lo, v186
	v_cmp_gt_i32_e32 vcc_lo, 0, v190
	v_and_b32_e32 v42, v42, v185
	v_not_b32_e32 v185, v187
	v_ashrrev_i32_e32 v43, 31, v43
	v_xor_b32_e32 v188, s16, v188
	v_mul_u32_u24_e32 v37, 9, v37
	v_and_b32_e32 v42, v42, v186
	v_cmp_gt_i32_e64 s16, 0, v187
	v_ashrrev_i32_e32 v185, 31, v185
	v_xor_b32_e32 v43, vcc_lo, v43
	s_delay_alu instid0(VALU_DEP_4) | instskip(SKIP_1) | instid1(VALU_DEP_4)
	v_and_b32_e32 v42, v42, v188
	v_add_lshl_u32 v188, v37, v126, 2
	v_xor_b32_e32 v37, s16, v185
	s_delay_alu instid0(VALU_DEP_3) | instskip(SKIP_3) | instid1(VALU_DEP_1)
	v_and_b32_e32 v42, v42, v43
	ds_load_b32 v186, v188 offset:1056
	v_add_nc_u32_e32 v188, 0x420, v188
	; wave barrier
	v_and_b32_e32 v37, v42, v37
	v_mbcnt_lo_u32_b32 v187, v37, 0
	v_cmp_ne_u32_e64 s16, 0, v37
	s_delay_alu instid0(VALU_DEP_2) | instskip(NEXT) | instid1(VALU_DEP_2)
	v_cmp_eq_u32_e32 vcc_lo, 0, v187
	s_and_b32 s17, s16, vcc_lo
	s_delay_alu instid0(SALU_CYCLE_1)
	s_and_saveexec_b32 s16, s17
	s_cbranch_execz .LBB1747_1040
; %bb.1039:                             ;   in Loop: Header=BB1747_982 Depth=2
	s_waitcnt lgkmcnt(0)
	v_bcnt_u32_b32 v37, v37, v186
	ds_store_b32 v188, v37
.LBB1747_1040:                          ;   in Loop: Header=BB1747_982 Depth=2
	s_or_b32 exec_lo, exec_lo, s16
	v_cmp_gt_i16_e32 vcc_lo, 0, v41
	; wave barrier
	v_cndmask_b32_e64 v37, 0x7fff, 0, vcc_lo
	s_delay_alu instid0(VALU_DEP_1) | instskip(NEXT) | instid1(VALU_DEP_1)
	v_xor_b32_e32 v185, v37, v41
	v_cmp_ne_u16_e64 vcc_lo, 0x8000, v185
	v_cndmask_b32_e32 v37, 0x7fff, v185, vcc_lo
	s_delay_alu instid0(VALU_DEP_1) | instskip(NEXT) | instid1(VALU_DEP_1)
	v_and_b32_e32 v37, 0xffff, v37
	v_lshrrev_b32_e32 v37, s49, v37
	s_delay_alu instid0(VALU_DEP_1) | instskip(NEXT) | instid1(VALU_DEP_1)
	v_and_b32_e32 v37, s55, v37
	v_and_b32_e32 v41, 1, v37
	v_lshlrev_b32_e32 v42, 30, v37
	v_lshlrev_b32_e32 v43, 29, v37
	;; [unrolled: 1-line block ×4, first 2 shown]
	v_add_co_u32 v41, s16, v41, -1
	s_delay_alu instid0(VALU_DEP_1)
	v_cndmask_b32_e64 v190, 0, 1, s16
	v_not_b32_e32 v194, v42
	v_cmp_gt_i32_e64 s16, 0, v42
	v_not_b32_e32 v42, v43
	v_lshlrev_b32_e32 v192, 26, v37
	v_cmp_ne_u32_e32 vcc_lo, 0, v190
	v_ashrrev_i32_e32 v194, 31, v194
	v_lshlrev_b32_e32 v193, 25, v37
	v_ashrrev_i32_e32 v42, 31, v42
	v_lshlrev_b32_e32 v190, 24, v37
	v_xor_b32_e32 v41, vcc_lo, v41
	v_cmp_gt_i32_e32 vcc_lo, 0, v43
	v_not_b32_e32 v43, v189
	v_xor_b32_e32 v194, s16, v194
	v_cmp_gt_i32_e64 s16, 0, v189
	v_and_b32_e32 v41, exec_lo, v41
	v_not_b32_e32 v189, v191
	v_ashrrev_i32_e32 v43, 31, v43
	v_xor_b32_e32 v42, vcc_lo, v42
	v_cmp_gt_i32_e32 vcc_lo, 0, v191
	v_and_b32_e32 v41, v41, v194
	v_not_b32_e32 v191, v192
	v_ashrrev_i32_e32 v189, 31, v189
	v_xor_b32_e32 v43, s16, v43
	v_cmp_gt_i32_e64 s16, 0, v192
	v_and_b32_e32 v41, v41, v42
	v_not_b32_e32 v42, v193
	v_ashrrev_i32_e32 v191, 31, v191
	v_xor_b32_e32 v189, vcc_lo, v189
	v_cmp_gt_i32_e32 vcc_lo, 0, v193
	v_and_b32_e32 v41, v41, v43
	v_not_b32_e32 v43, v190
	v_ashrrev_i32_e32 v42, 31, v42
	v_xor_b32_e32 v191, s16, v191
	v_mul_u32_u24_e32 v37, 9, v37
	v_and_b32_e32 v41, v41, v189
	v_cmp_gt_i32_e64 s16, 0, v190
	v_ashrrev_i32_e32 v43, 31, v43
	v_xor_b32_e32 v42, vcc_lo, v42
	v_add_lshl_u32 v189, v37, v126, 2
	v_and_b32_e32 v41, v41, v191
	s_delay_alu instid0(VALU_DEP_4) | instskip(SKIP_3) | instid1(VALU_DEP_2)
	v_xor_b32_e32 v37, s16, v43
	ds_load_b32 v190, v189 offset:1056
	v_and_b32_e32 v41, v41, v42
	v_add_nc_u32_e32 v192, 0x420, v189
	; wave barrier
	v_and_b32_e32 v37, v41, v37
	s_delay_alu instid0(VALU_DEP_1) | instskip(SKIP_1) | instid1(VALU_DEP_2)
	v_mbcnt_lo_u32_b32 v191, v37, 0
	v_cmp_ne_u32_e64 s16, 0, v37
	v_cmp_eq_u32_e32 vcc_lo, 0, v191
	s_delay_alu instid0(VALU_DEP_2) | instskip(NEXT) | instid1(SALU_CYCLE_1)
	s_and_b32 s17, s16, vcc_lo
	s_and_saveexec_b32 s16, s17
	s_cbranch_execz .LBB1747_1042
; %bb.1041:                             ;   in Loop: Header=BB1747_982 Depth=2
	s_waitcnt lgkmcnt(0)
	v_bcnt_u32_b32 v37, v37, v190
	ds_store_b32 v192, v37
.LBB1747_1042:                          ;   in Loop: Header=BB1747_982 Depth=2
	s_or_b32 exec_lo, exec_lo, s16
	v_cmp_gt_i16_e32 vcc_lo, 0, v40
	; wave barrier
	v_cndmask_b32_e64 v37, 0x7fff, 0, vcc_lo
	s_delay_alu instid0(VALU_DEP_1) | instskip(NEXT) | instid1(VALU_DEP_1)
	v_xor_b32_e32 v189, v37, v40
	v_cmp_ne_u16_e64 vcc_lo, 0x8000, v189
	v_cndmask_b32_e32 v37, 0x7fff, v189, vcc_lo
	s_delay_alu instid0(VALU_DEP_1) | instskip(NEXT) | instid1(VALU_DEP_1)
	v_and_b32_e32 v37, 0xffff, v37
	v_lshrrev_b32_e32 v37, s49, v37
	s_delay_alu instid0(VALU_DEP_1) | instskip(NEXT) | instid1(VALU_DEP_1)
	v_and_b32_e32 v37, s55, v37
	v_and_b32_e32 v40, 1, v37
	v_lshlrev_b32_e32 v41, 30, v37
	v_lshlrev_b32_e32 v42, 29, v37
	;; [unrolled: 1-line block ×4, first 2 shown]
	v_add_co_u32 v40, s16, v40, -1
	s_delay_alu instid0(VALU_DEP_1)
	v_cndmask_b32_e64 v193, 0, 1, s16
	v_not_b32_e32 v197, v41
	v_cmp_gt_i32_e64 s16, 0, v41
	v_not_b32_e32 v41, v42
	v_lshlrev_b32_e32 v195, 26, v37
	v_cmp_ne_u32_e32 vcc_lo, 0, v193
	v_ashrrev_i32_e32 v197, 31, v197
	v_lshlrev_b32_e32 v196, 25, v37
	v_ashrrev_i32_e32 v41, 31, v41
	v_lshlrev_b32_e32 v193, 24, v37
	v_xor_b32_e32 v40, vcc_lo, v40
	v_cmp_gt_i32_e32 vcc_lo, 0, v42
	v_not_b32_e32 v42, v43
	v_xor_b32_e32 v197, s16, v197
	v_cmp_gt_i32_e64 s16, 0, v43
	v_and_b32_e32 v40, exec_lo, v40
	v_not_b32_e32 v43, v194
	v_ashrrev_i32_e32 v42, 31, v42
	v_xor_b32_e32 v41, vcc_lo, v41
	v_cmp_gt_i32_e32 vcc_lo, 0, v194
	v_and_b32_e32 v40, v40, v197
	v_not_b32_e32 v194, v195
	v_ashrrev_i32_e32 v43, 31, v43
	v_xor_b32_e32 v42, s16, v42
	v_cmp_gt_i32_e64 s16, 0, v195
	v_and_b32_e32 v40, v40, v41
	v_not_b32_e32 v41, v196
	v_ashrrev_i32_e32 v194, 31, v194
	v_xor_b32_e32 v43, vcc_lo, v43
	v_cmp_gt_i32_e32 vcc_lo, 0, v196
	v_and_b32_e32 v40, v40, v42
	v_not_b32_e32 v42, v193
	v_ashrrev_i32_e32 v41, 31, v41
	v_xor_b32_e32 v194, s16, v194
	v_mul_u32_u24_e32 v37, 9, v37
	v_and_b32_e32 v40, v40, v43
	v_cmp_gt_i32_e64 s16, 0, v193
	v_ashrrev_i32_e32 v42, 31, v42
	v_xor_b32_e32 v41, vcc_lo, v41
	v_add_lshl_u32 v43, v37, v126, 2
	v_and_b32_e32 v40, v40, v194
	s_delay_alu instid0(VALU_DEP_4) | instskip(SKIP_3) | instid1(VALU_DEP_2)
	v_xor_b32_e32 v37, s16, v42
	ds_load_b32 v194, v43 offset:1056
	v_and_b32_e32 v40, v40, v41
	v_add_nc_u32_e32 v196, 0x420, v43
	; wave barrier
	v_and_b32_e32 v37, v40, v37
	s_delay_alu instid0(VALU_DEP_1) | instskip(SKIP_1) | instid1(VALU_DEP_2)
	v_mbcnt_lo_u32_b32 v195, v37, 0
	v_cmp_ne_u32_e64 s16, 0, v37
	v_cmp_eq_u32_e32 vcc_lo, 0, v195
	s_delay_alu instid0(VALU_DEP_2) | instskip(NEXT) | instid1(SALU_CYCLE_1)
	s_and_b32 s17, s16, vcc_lo
	s_and_saveexec_b32 s16, s17
	s_cbranch_execz .LBB1747_1044
; %bb.1043:                             ;   in Loop: Header=BB1747_982 Depth=2
	s_waitcnt lgkmcnt(0)
	v_bcnt_u32_b32 v37, v37, v194
	ds_store_b32 v196, v37
.LBB1747_1044:                          ;   in Loop: Header=BB1747_982 Depth=2
	s_or_b32 exec_lo, exec_lo, s16
	v_cmp_gt_i16_e32 vcc_lo, 0, v39
	; wave barrier
	v_cndmask_b32_e64 v37, 0x7fff, 0, vcc_lo
	s_delay_alu instid0(VALU_DEP_1) | instskip(NEXT) | instid1(VALU_DEP_1)
	v_xor_b32_e32 v193, v37, v39
	v_cmp_ne_u16_e64 vcc_lo, 0x8000, v193
	v_cndmask_b32_e32 v37, 0x7fff, v193, vcc_lo
	s_delay_alu instid0(VALU_DEP_1) | instskip(NEXT) | instid1(VALU_DEP_1)
	v_and_b32_e32 v37, 0xffff, v37
	v_lshrrev_b32_e32 v37, s49, v37
	s_delay_alu instid0(VALU_DEP_1) | instskip(NEXT) | instid1(VALU_DEP_1)
	v_and_b32_e32 v37, s55, v37
	v_and_b32_e32 v39, 1, v37
	v_lshlrev_b32_e32 v40, 30, v37
	v_lshlrev_b32_e32 v41, 29, v37
	;; [unrolled: 1-line block ×4, first 2 shown]
	v_add_co_u32 v39, s16, v39, -1
	s_delay_alu instid0(VALU_DEP_1)
	v_cndmask_b32_e64 v43, 0, 1, s16
	v_not_b32_e32 v200, v40
	v_cmp_gt_i32_e64 s16, 0, v40
	v_not_b32_e32 v40, v41
	v_lshlrev_b32_e32 v198, 26, v37
	v_cmp_ne_u32_e32 vcc_lo, 0, v43
	v_ashrrev_i32_e32 v200, 31, v200
	v_lshlrev_b32_e32 v199, 25, v37
	v_ashrrev_i32_e32 v40, 31, v40
	v_lshlrev_b32_e32 v43, 24, v37
	v_xor_b32_e32 v39, vcc_lo, v39
	v_cmp_gt_i32_e32 vcc_lo, 0, v41
	v_not_b32_e32 v41, v42
	v_xor_b32_e32 v200, s16, v200
	v_cmp_gt_i32_e64 s16, 0, v42
	v_and_b32_e32 v39, exec_lo, v39
	v_not_b32_e32 v42, v197
	v_ashrrev_i32_e32 v41, 31, v41
	v_xor_b32_e32 v40, vcc_lo, v40
	v_cmp_gt_i32_e32 vcc_lo, 0, v197
	v_and_b32_e32 v39, v39, v200
	v_not_b32_e32 v197, v198
	v_ashrrev_i32_e32 v42, 31, v42
	v_xor_b32_e32 v41, s16, v41
	v_cmp_gt_i32_e64 s16, 0, v198
	v_and_b32_e32 v39, v39, v40
	v_not_b32_e32 v40, v199
	v_ashrrev_i32_e32 v197, 31, v197
	v_xor_b32_e32 v42, vcc_lo, v42
	v_cmp_gt_i32_e32 vcc_lo, 0, v199
	v_and_b32_e32 v39, v39, v41
	v_not_b32_e32 v41, v43
	v_ashrrev_i32_e32 v40, 31, v40
	v_xor_b32_e32 v197, s16, v197
	v_mul_u32_u24_e32 v37, 9, v37
	v_and_b32_e32 v39, v39, v42
	v_cmp_gt_i32_e64 s16, 0, v43
	v_ashrrev_i32_e32 v41, 31, v41
	v_xor_b32_e32 v40, vcc_lo, v40
	v_add_lshl_u32 v42, v37, v126, 2
	v_and_b32_e32 v39, v39, v197
	s_delay_alu instid0(VALU_DEP_4) | instskip(SKIP_3) | instid1(VALU_DEP_2)
	v_xor_b32_e32 v37, s16, v41
	ds_load_b32 v198, v42 offset:1056
	v_and_b32_e32 v39, v39, v40
	v_add_nc_u32_e32 v200, 0x420, v42
	; wave barrier
	v_and_b32_e32 v37, v39, v37
	s_delay_alu instid0(VALU_DEP_1) | instskip(SKIP_1) | instid1(VALU_DEP_2)
	v_mbcnt_lo_u32_b32 v199, v37, 0
	v_cmp_ne_u32_e64 s16, 0, v37
	v_cmp_eq_u32_e32 vcc_lo, 0, v199
	s_delay_alu instid0(VALU_DEP_2) | instskip(NEXT) | instid1(SALU_CYCLE_1)
	s_and_b32 s17, s16, vcc_lo
	s_and_saveexec_b32 s16, s17
	s_cbranch_execz .LBB1747_1046
; %bb.1045:                             ;   in Loop: Header=BB1747_982 Depth=2
	s_waitcnt lgkmcnt(0)
	v_bcnt_u32_b32 v37, v37, v198
	ds_store_b32 v200, v37
.LBB1747_1046:                          ;   in Loop: Header=BB1747_982 Depth=2
	s_or_b32 exec_lo, exec_lo, s16
	v_cmp_gt_i16_e32 vcc_lo, 0, v38
	; wave barrier
	v_cndmask_b32_e64 v37, 0x7fff, 0, vcc_lo
	s_delay_alu instid0(VALU_DEP_1) | instskip(NEXT) | instid1(VALU_DEP_1)
	v_xor_b32_e32 v197, v37, v38
	v_cmp_ne_u16_e64 vcc_lo, 0x8000, v197
	v_cndmask_b32_e32 v37, 0x7fff, v197, vcc_lo
	s_delay_alu instid0(VALU_DEP_1) | instskip(NEXT) | instid1(VALU_DEP_1)
	v_and_b32_e32 v37, 0xffff, v37
	v_lshrrev_b32_e32 v37, s49, v37
	s_delay_alu instid0(VALU_DEP_1) | instskip(NEXT) | instid1(VALU_DEP_1)
	v_and_b32_e32 v37, s55, v37
	v_and_b32_e32 v38, 1, v37
	v_lshlrev_b32_e32 v39, 30, v37
	v_lshlrev_b32_e32 v40, 29, v37
	;; [unrolled: 1-line block ×4, first 2 shown]
	v_add_co_u32 v38, s16, v38, -1
	s_delay_alu instid0(VALU_DEP_1)
	v_cndmask_b32_e64 v42, 0, 1, s16
	v_not_b32_e32 v203, v39
	v_cmp_gt_i32_e64 s16, 0, v39
	v_not_b32_e32 v39, v40
	v_lshlrev_b32_e32 v201, 26, v37
	v_cmp_ne_u32_e32 vcc_lo, 0, v42
	v_ashrrev_i32_e32 v203, 31, v203
	v_lshlrev_b32_e32 v202, 25, v37
	v_ashrrev_i32_e32 v39, 31, v39
	v_lshlrev_b32_e32 v42, 24, v37
	v_xor_b32_e32 v38, vcc_lo, v38
	v_cmp_gt_i32_e32 vcc_lo, 0, v40
	v_not_b32_e32 v40, v41
	v_xor_b32_e32 v203, s16, v203
	v_cmp_gt_i32_e64 s16, 0, v41
	v_and_b32_e32 v38, exec_lo, v38
	v_not_b32_e32 v41, v43
	v_ashrrev_i32_e32 v40, 31, v40
	v_xor_b32_e32 v39, vcc_lo, v39
	v_cmp_gt_i32_e32 vcc_lo, 0, v43
	v_and_b32_e32 v38, v38, v203
	v_not_b32_e32 v43, v201
	v_ashrrev_i32_e32 v41, 31, v41
	v_xor_b32_e32 v40, s16, v40
	v_cmp_gt_i32_e64 s16, 0, v201
	v_and_b32_e32 v38, v38, v39
	v_not_b32_e32 v39, v202
	v_ashrrev_i32_e32 v43, 31, v43
	v_xor_b32_e32 v41, vcc_lo, v41
	v_cmp_gt_i32_e32 vcc_lo, 0, v202
	v_and_b32_e32 v38, v38, v40
	v_not_b32_e32 v40, v42
	v_ashrrev_i32_e32 v39, 31, v39
	v_xor_b32_e32 v43, s16, v43
	v_mul_u32_u24_e32 v37, 9, v37
	v_and_b32_e32 v38, v38, v41
	v_cmp_gt_i32_e64 s16, 0, v42
	v_ashrrev_i32_e32 v40, 31, v40
	v_xor_b32_e32 v39, vcc_lo, v39
	v_add_lshl_u32 v41, v37, v126, 2
	v_and_b32_e32 v38, v38, v43
	s_delay_alu instid0(VALU_DEP_4) | instskip(SKIP_3) | instid1(VALU_DEP_2)
	v_xor_b32_e32 v37, s16, v40
	ds_load_b32 v202, v41 offset:1056
	v_and_b32_e32 v38, v38, v39
	v_add_nc_u32_e32 v204, 0x420, v41
	; wave barrier
	v_and_b32_e32 v37, v38, v37
	s_delay_alu instid0(VALU_DEP_1) | instskip(SKIP_1) | instid1(VALU_DEP_2)
	v_mbcnt_lo_u32_b32 v203, v37, 0
	v_cmp_ne_u32_e64 s16, 0, v37
	v_cmp_eq_u32_e32 vcc_lo, 0, v203
	s_delay_alu instid0(VALU_DEP_2) | instskip(NEXT) | instid1(SALU_CYCLE_1)
	s_and_b32 s17, s16, vcc_lo
	s_and_saveexec_b32 s16, s17
	s_cbranch_execz .LBB1747_1048
; %bb.1047:                             ;   in Loop: Header=BB1747_982 Depth=2
	s_waitcnt lgkmcnt(0)
	v_bcnt_u32_b32 v37, v37, v202
	ds_store_b32 v204, v37
.LBB1747_1048:                          ;   in Loop: Header=BB1747_982 Depth=2
	s_or_b32 exec_lo, exec_lo, s16
	v_cmp_gt_i16_e32 vcc_lo, 0, v36
	; wave barrier
	v_cndmask_b32_e64 v37, 0x7fff, 0, vcc_lo
	s_delay_alu instid0(VALU_DEP_1) | instskip(NEXT) | instid1(VALU_DEP_1)
	v_xor_b32_e32 v201, v37, v36
	v_cmp_ne_u16_e64 vcc_lo, 0x8000, v201
	v_cndmask_b32_e32 v36, 0x7fff, v201, vcc_lo
	s_delay_alu instid0(VALU_DEP_1) | instskip(NEXT) | instid1(VALU_DEP_1)
	v_and_b32_e32 v36, 0xffff, v36
	v_lshrrev_b32_e32 v36, s49, v36
	s_delay_alu instid0(VALU_DEP_1) | instskip(NEXT) | instid1(VALU_DEP_1)
	v_and_b32_e32 v36, s55, v36
	v_and_b32_e32 v37, 1, v36
	v_lshlrev_b32_e32 v38, 30, v36
	v_lshlrev_b32_e32 v39, 29, v36
	;; [unrolled: 1-line block ×4, first 2 shown]
	v_add_co_u32 v37, s16, v37, -1
	s_delay_alu instid0(VALU_DEP_1)
	v_cndmask_b32_e64 v41, 0, 1, s16
	v_not_b32_e32 v206, v38
	v_cmp_gt_i32_e64 s16, 0, v38
	v_not_b32_e32 v38, v39
	v_lshlrev_b32_e32 v43, 26, v36
	v_cmp_ne_u32_e32 vcc_lo, 0, v41
	v_ashrrev_i32_e32 v206, 31, v206
	v_lshlrev_b32_e32 v205, 25, v36
	v_ashrrev_i32_e32 v38, 31, v38
	v_lshlrev_b32_e32 v41, 24, v36
	v_xor_b32_e32 v37, vcc_lo, v37
	v_cmp_gt_i32_e32 vcc_lo, 0, v39
	v_not_b32_e32 v39, v40
	v_xor_b32_e32 v206, s16, v206
	v_cmp_gt_i32_e64 s16, 0, v40
	v_and_b32_e32 v37, exec_lo, v37
	v_not_b32_e32 v40, v42
	v_ashrrev_i32_e32 v39, 31, v39
	v_xor_b32_e32 v38, vcc_lo, v38
	v_cmp_gt_i32_e32 vcc_lo, 0, v42
	v_and_b32_e32 v37, v37, v206
	v_not_b32_e32 v42, v43
	v_ashrrev_i32_e32 v40, 31, v40
	v_xor_b32_e32 v39, s16, v39
	v_cmp_gt_i32_e64 s16, 0, v43
	v_and_b32_e32 v37, v37, v38
	v_not_b32_e32 v38, v205
	v_ashrrev_i32_e32 v42, 31, v42
	v_xor_b32_e32 v40, vcc_lo, v40
	v_cmp_gt_i32_e32 vcc_lo, 0, v205
	v_and_b32_e32 v37, v37, v39
	v_not_b32_e32 v39, v41
	v_ashrrev_i32_e32 v38, 31, v38
	v_xor_b32_e32 v42, s16, v42
	v_mul_u32_u24_e32 v36, 9, v36
	v_and_b32_e32 v37, v37, v40
	v_cmp_gt_i32_e64 s16, 0, v41
	v_ashrrev_i32_e32 v39, 31, v39
	v_xor_b32_e32 v38, vcc_lo, v38
	v_add_lshl_u32 v40, v36, v126, 2
	v_and_b32_e32 v37, v37, v42
	s_delay_alu instid0(VALU_DEP_4) | instskip(SKIP_3) | instid1(VALU_DEP_2)
	v_xor_b32_e32 v36, s16, v39
	ds_load_b32 v205, v40 offset:1056
	v_and_b32_e32 v37, v37, v38
	v_add_nc_u32_e32 v207, 0x420, v40
	; wave barrier
	v_and_b32_e32 v36, v37, v36
	s_delay_alu instid0(VALU_DEP_1) | instskip(SKIP_1) | instid1(VALU_DEP_2)
	v_mbcnt_lo_u32_b32 v206, v36, 0
	v_cmp_ne_u32_e64 s16, 0, v36
	v_cmp_eq_u32_e32 vcc_lo, 0, v206
	s_delay_alu instid0(VALU_DEP_2) | instskip(NEXT) | instid1(SALU_CYCLE_1)
	s_and_b32 s17, s16, vcc_lo
	s_and_saveexec_b32 s16, s17
	s_cbranch_execz .LBB1747_1050
; %bb.1049:                             ;   in Loop: Header=BB1747_982 Depth=2
	s_waitcnt lgkmcnt(0)
	v_bcnt_u32_b32 v36, v36, v205
	ds_store_b32 v207, v36
.LBB1747_1050:                          ;   in Loop: Header=BB1747_982 Depth=2
	s_or_b32 exec_lo, exec_lo, s16
	; wave barrier
	s_waitcnt lgkmcnt(0)
	s_barrier
	buffer_gl0_inv
	ds_load_b32 v208, v69 offset:1056
	ds_load_2addr_b32 v[42:43], v71 offset0:1 offset1:2
	ds_load_2addr_b32 v[40:41], v71 offset0:3 offset1:4
	;; [unrolled: 1-line block ×4, first 2 shown]
	s_waitcnt lgkmcnt(3)
	v_add3_u32 v209, v42, v208, v43
	s_waitcnt lgkmcnt(2)
	s_delay_alu instid0(VALU_DEP_1) | instskip(SKIP_1) | instid1(VALU_DEP_1)
	v_add3_u32 v209, v209, v40, v41
	s_waitcnt lgkmcnt(1)
	v_add3_u32 v209, v209, v36, v37
	s_waitcnt lgkmcnt(0)
	s_delay_alu instid0(VALU_DEP_1) | instskip(NEXT) | instid1(VALU_DEP_1)
	v_add3_u32 v39, v209, v38, v39
	v_mov_b32_dpp v209, v39 row_shr:1 row_mask:0xf bank_mask:0xf
	s_delay_alu instid0(VALU_DEP_1) | instskip(NEXT) | instid1(VALU_DEP_1)
	v_cndmask_b32_e64 v209, v209, 0, s0
	v_add_nc_u32_e32 v39, v209, v39
	s_delay_alu instid0(VALU_DEP_1) | instskip(NEXT) | instid1(VALU_DEP_1)
	v_mov_b32_dpp v209, v39 row_shr:2 row_mask:0xf bank_mask:0xf
	v_cndmask_b32_e64 v209, 0, v209, s1
	s_delay_alu instid0(VALU_DEP_1) | instskip(NEXT) | instid1(VALU_DEP_1)
	v_add_nc_u32_e32 v39, v39, v209
	v_mov_b32_dpp v209, v39 row_shr:4 row_mask:0xf bank_mask:0xf
	s_delay_alu instid0(VALU_DEP_1) | instskip(NEXT) | instid1(VALU_DEP_1)
	v_cndmask_b32_e64 v209, 0, v209, s8
	v_add_nc_u32_e32 v39, v39, v209
	s_delay_alu instid0(VALU_DEP_1) | instskip(NEXT) | instid1(VALU_DEP_1)
	v_mov_b32_dpp v209, v39 row_shr:8 row_mask:0xf bank_mask:0xf
	v_cndmask_b32_e64 v209, 0, v209, s9
	s_delay_alu instid0(VALU_DEP_1) | instskip(SKIP_3) | instid1(VALU_DEP_1)
	v_add_nc_u32_e32 v39, v39, v209
	ds_swizzle_b32 v209, v39 offset:swizzle(BROADCAST,32,15)
	s_waitcnt lgkmcnt(0)
	v_cndmask_b32_e64 v209, v209, 0, s10
	v_add_nc_u32_e32 v39, v39, v209
	s_and_saveexec_b32 s16, s3
	s_cbranch_execz .LBB1747_1052
; %bb.1051:                             ;   in Loop: Header=BB1747_982 Depth=2
	ds_store_b32 v62, v39 offset:1024
.LBB1747_1052:                          ;   in Loop: Header=BB1747_982 Depth=2
	s_or_b32 exec_lo, exec_lo, s16
	s_waitcnt lgkmcnt(0)
	s_barrier
	buffer_gl0_inv
	s_and_saveexec_b32 s16, s4
	s_cbranch_execz .LBB1747_1054
; %bb.1053:                             ;   in Loop: Header=BB1747_982 Depth=2
	ds_load_b32 v209, v72 offset:1024
	s_waitcnt lgkmcnt(0)
	v_mov_b32_dpp v210, v209 row_shr:1 row_mask:0xf bank_mask:0xf
	s_delay_alu instid0(VALU_DEP_1) | instskip(NEXT) | instid1(VALU_DEP_1)
	v_cndmask_b32_e64 v210, v210, 0, s12
	v_add_nc_u32_e32 v209, v210, v209
	s_delay_alu instid0(VALU_DEP_1) | instskip(NEXT) | instid1(VALU_DEP_1)
	v_mov_b32_dpp v210, v209 row_shr:2 row_mask:0xf bank_mask:0xf
	v_cndmask_b32_e64 v210, 0, v210, s13
	s_delay_alu instid0(VALU_DEP_1) | instskip(NEXT) | instid1(VALU_DEP_1)
	v_add_nc_u32_e32 v209, v209, v210
	v_mov_b32_dpp v210, v209 row_shr:4 row_mask:0xf bank_mask:0xf
	s_delay_alu instid0(VALU_DEP_1) | instskip(NEXT) | instid1(VALU_DEP_1)
	v_cndmask_b32_e64 v210, 0, v210, s14
	v_add_nc_u32_e32 v209, v209, v210
	ds_store_b32 v72, v209 offset:1024
.LBB1747_1054:                          ;   in Loop: Header=BB1747_982 Depth=2
	s_or_b32 exec_lo, exec_lo, s16
	v_mov_b32_e32 v209, 0
	s_waitcnt lgkmcnt(0)
	s_barrier
	buffer_gl0_inv
	s_and_saveexec_b32 s16, s5
	s_cbranch_execz .LBB1747_1056
; %bb.1055:                             ;   in Loop: Header=BB1747_982 Depth=2
	ds_load_b32 v209, v62 offset:1020
.LBB1747_1056:                          ;   in Loop: Header=BB1747_982 Depth=2
	s_or_b32 exec_lo, exec_lo, s16
	s_waitcnt lgkmcnt(0)
	v_add_nc_u32_e32 v39, v209, v39
	ds_bpermute_b32 v39, v105, v39
	s_waitcnt lgkmcnt(0)
	v_cndmask_b32_e64 v39, v39, v209, s11
	s_delay_alu instid0(VALU_DEP_1) | instskip(NEXT) | instid1(VALU_DEP_1)
	v_cndmask_b32_e64 v39, v39, 0, s6
	v_add_nc_u32_e32 v208, v39, v208
	s_delay_alu instid0(VALU_DEP_1) | instskip(NEXT) | instid1(VALU_DEP_1)
	v_add_nc_u32_e32 v42, v208, v42
	v_add_nc_u32_e32 v43, v42, v43
	s_delay_alu instid0(VALU_DEP_1) | instskip(NEXT) | instid1(VALU_DEP_1)
	v_add_nc_u32_e32 v40, v43, v40
	;; [unrolled: 3-line block ×3, first 2 shown]
	v_add_nc_u32_e32 v37, v36, v37
	s_delay_alu instid0(VALU_DEP_1)
	v_add_nc_u32_e32 v38, v37, v38
	ds_store_b32 v69, v39 offset:1056
	ds_store_2addr_b32 v71, v208, v42 offset0:1 offset1:2
	ds_store_2addr_b32 v71, v43, v40 offset0:3 offset1:4
	;; [unrolled: 1-line block ×4, first 2 shown]
	v_mov_b32_e32 v38, 0x1000
	s_waitcnt lgkmcnt(0)
	s_barrier
	buffer_gl0_inv
	ds_load_b32 v39, v152
	ds_load_b32 v40, v156
	;; [unrolled: 1-line block ×16, first 2 shown]
	ds_load_b32 v156, v69 offset:1056
	s_and_saveexec_b32 s16, s7
	s_cbranch_execz .LBB1747_1058
; %bb.1057:                             ;   in Loop: Header=BB1747_982 Depth=2
	ds_load_b32 v38, v73 offset:1056
.LBB1747_1058:                          ;   in Loop: Header=BB1747_982 Depth=2
	s_or_b32 exec_lo, exec_lo, s16
	s_waitcnt lgkmcnt(0)
	s_barrier
	buffer_gl0_inv
	s_and_saveexec_b32 s16, s2
	s_cbranch_execz .LBB1747_1060
; %bb.1059:                             ;   in Loop: Header=BB1747_982 Depth=2
	ds_load_b32 v160, v44
	s_waitcnt lgkmcnt(0)
	v_sub_nc_u32_e32 v156, v160, v156
	ds_store_b32 v44, v156
.LBB1747_1060:                          ;   in Loop: Header=BB1747_982 Depth=2
	s_or_b32 exec_lo, exec_lo, s16
	v_add_nc_u32_e32 v168, v148, v146
	v_add3_u32 v164, v151, v150, v39
	v_add3_u32 v156, v159, v158, v41
	;; [unrolled: 1-line block ×4, first 2 shown]
	v_lshlrev_b32_e32 v158, 1, v168
	v_add3_u32 v154, v167, v166, v43
	v_add3_u32 v152, v172, v171, v152
	;; [unrolled: 1-line block ×3, first 2 shown]
	v_lshlrev_b32_e32 v36, 1, v164
	ds_store_b16 v158, v2 offset:1024
	v_lshlrev_b32_e32 v2, 1, v156
	v_add3_u32 v151, v175, v174, v173
	v_add3_u32 v41, v206, v205, v37
	v_lshlrev_b32_e32 v37, 1, v160
	v_lshlrev_b32_e32 v158, 1, v155
	v_add3_u32 v150, v179, v178, v176
	v_add3_u32 v146, v187, v186, v184
	ds_store_b16 v36, v147 offset:1024
	ds_store_b16 v37, v149 offset:1024
	v_lshlrev_b32_e32 v36, 1, v154
	ds_store_b16 v2, v153 offset:1024
	ds_store_b16 v158, v157 offset:1024
	v_lshlrev_b32_e32 v2, 1, v152
	v_add3_u32 v148, v183, v182, v180
	v_lshlrev_b32_e32 v37, 1, v151
	v_add3_u32 v42, v191, v190, v188
	v_add3_u32 v39, v199, v198, v196
	ds_store_b16 v36, v161 offset:1024
	v_lshlrev_b32_e32 v36, 1, v150
	ds_store_b16 v2, v165 offset:1024
	ds_store_b16 v37, v170 offset:1024
	v_lshlrev_b32_e32 v2, 1, v146
	v_add3_u32 v40, v195, v194, v192
	v_lshlrev_b32_e32 v147, 1, v148
	ds_store_b16 v36, v169 offset:1024
	ds_store_b16 v147, v177 offset:1024
	v_lshlrev_b32_e32 v36, 1, v42
	ds_store_b16 v2, v181 offset:1024
	v_lshlrev_b32_e32 v2, 1, v39
	v_lshlrev_b32_e32 v37, 1, v40
	;; [unrolled: 1-line block ×3, first 2 shown]
	ds_store_b16 v36, v185 offset:1024
	ds_store_b16 v37, v189 offset:1024
	v_lshlrev_b32_e32 v36, 1, v41
	ds_store_b16 v2, v193 offset:1024
	ds_store_b16 v147, v197 offset:1024
	v_cmp_lt_u32_e32 vcc_lo, v1, v145
	v_add_nc_u32_e32 v147, v72, v78
	ds_store_b16 v36, v201 offset:1024
	s_waitcnt lgkmcnt(0)
	s_barrier
	buffer_gl0_inv
	s_and_saveexec_b32 s17, vcc_lo
	s_cbranch_execz .LBB1747_1076
; %bb.1061:                             ;   in Loop: Header=BB1747_982 Depth=2
	ds_load_u16 v149, v147 offset:1024
	s_waitcnt lgkmcnt(0)
	v_cmp_ne_u16_e64 s16, 0x8000, v149
	s_delay_alu instid0(VALU_DEP_1) | instskip(SKIP_1) | instid1(VALU_DEP_2)
	v_cndmask_b32_e64 v2, 0x7fff, v149, s16
	v_cmp_gt_i16_e64 s16, 0, v149
	v_and_b32_e32 v2, 0xffff, v2
	s_delay_alu instid0(VALU_DEP_2) | instskip(NEXT) | instid1(VALU_DEP_2)
	v_cndmask_b32_e64 v153, 0x7fff, 0, s16
	v_lshrrev_b32_e32 v2, s49, v2
	s_delay_alu instid0(VALU_DEP_1) | instskip(NEXT) | instid1(VALU_DEP_1)
	v_and_b32_e32 v2, s55, v2
	v_lshlrev_b32_e32 v2, 2, v2
	ds_load_b32 v2, v2
	s_waitcnt lgkmcnt(0)
	v_add_nc_u32_e32 v2, v2, v1
	s_delay_alu instid0(VALU_DEP_1) | instskip(SKIP_1) | instid1(VALU_DEP_2)
	v_lshlrev_b64 v[36:37], 1, v[2:3]
	v_xor_b32_e32 v2, v153, v149
	v_add_co_u32 v36, s16, s40, v36
	s_delay_alu instid0(VALU_DEP_1) | instskip(SKIP_3) | instid1(VALU_DEP_1)
	v_add_co_ci_u32_e64 v37, s16, s41, v37, s16
	global_store_b16 v[36:37], v2, off
	s_or_b32 exec_lo, exec_lo, s17
	v_cmp_lt_u32_e64 s16, v45, v145
	s_and_saveexec_b32 s18, s16
	s_cbranch_execnz .LBB1747_1077
.LBB1747_1062:                          ;   in Loop: Header=BB1747_982 Depth=2
	s_or_b32 exec_lo, exec_lo, s18
	v_cmp_lt_u32_e64 s17, v46, v145
	s_delay_alu instid0(VALU_DEP_1)
	s_and_saveexec_b32 s19, s17
	s_cbranch_execz .LBB1747_1078
.LBB1747_1063:                          ;   in Loop: Header=BB1747_982 Depth=2
	ds_load_u16 v149, v79 offset:1024
	s_waitcnt lgkmcnt(0)
	v_cmp_ne_u16_e64 s18, 0x8000, v149
	s_delay_alu instid0(VALU_DEP_1) | instskip(SKIP_1) | instid1(VALU_DEP_2)
	v_cndmask_b32_e64 v2, 0x7fff, v149, s18
	v_cmp_gt_i16_e64 s18, 0, v149
	v_and_b32_e32 v2, 0xffff, v2
	s_delay_alu instid0(VALU_DEP_2) | instskip(NEXT) | instid1(VALU_DEP_2)
	v_cndmask_b32_e64 v153, 0x7fff, 0, s18
	v_lshrrev_b32_e32 v2, s49, v2
	s_delay_alu instid0(VALU_DEP_1) | instskip(NEXT) | instid1(VALU_DEP_1)
	v_and_b32_e32 v2, s55, v2
	v_lshlrev_b32_e32 v2, 2, v2
	ds_load_b32 v2, v2
	s_waitcnt lgkmcnt(0)
	v_add_nc_u32_e32 v2, v2, v46
	s_delay_alu instid0(VALU_DEP_1) | instskip(SKIP_1) | instid1(VALU_DEP_2)
	v_lshlrev_b64 v[36:37], 1, v[2:3]
	v_xor_b32_e32 v2, v153, v149
	v_add_co_u32 v36, s18, s40, v36
	s_delay_alu instid0(VALU_DEP_1) | instskip(SKIP_3) | instid1(VALU_DEP_1)
	v_add_co_ci_u32_e64 v37, s18, s41, v37, s18
	global_store_b16 v[36:37], v2, off
	s_or_b32 exec_lo, exec_lo, s19
	v_cmp_lt_u32_e64 s18, v47, v145
	s_and_saveexec_b32 s20, s18
	s_cbranch_execnz .LBB1747_1079
.LBB1747_1064:                          ;   in Loop: Header=BB1747_982 Depth=2
	s_or_b32 exec_lo, exec_lo, s20
	v_cmp_lt_u32_e64 s19, v51, v145
	s_delay_alu instid0(VALU_DEP_1)
	s_and_saveexec_b32 s21, s19
	s_cbranch_execz .LBB1747_1080
.LBB1747_1065:                          ;   in Loop: Header=BB1747_982 Depth=2
	ds_load_u16 v149, v79 offset:2048
	s_waitcnt lgkmcnt(0)
	v_cmp_ne_u16_e64 s20, 0x8000, v149
	s_delay_alu instid0(VALU_DEP_1) | instskip(SKIP_1) | instid1(VALU_DEP_2)
	v_cndmask_b32_e64 v2, 0x7fff, v149, s20
	v_cmp_gt_i16_e64 s20, 0, v149
	v_and_b32_e32 v2, 0xffff, v2
	s_delay_alu instid0(VALU_DEP_2) | instskip(NEXT) | instid1(VALU_DEP_2)
	v_cndmask_b32_e64 v153, 0x7fff, 0, s20
	v_lshrrev_b32_e32 v2, s49, v2
	s_delay_alu instid0(VALU_DEP_1) | instskip(NEXT) | instid1(VALU_DEP_1)
	v_and_b32_e32 v2, s55, v2
	v_lshlrev_b32_e32 v2, 2, v2
	ds_load_b32 v2, v2
	s_waitcnt lgkmcnt(0)
	v_add_nc_u32_e32 v2, v2, v51
	s_delay_alu instid0(VALU_DEP_1) | instskip(SKIP_1) | instid1(VALU_DEP_2)
	v_lshlrev_b64 v[36:37], 1, v[2:3]
	v_xor_b32_e32 v2, v153, v149
	v_add_co_u32 v36, s20, s40, v36
	s_delay_alu instid0(VALU_DEP_1) | instskip(SKIP_3) | instid1(VALU_DEP_1)
	v_add_co_ci_u32_e64 v37, s20, s41, v37, s20
	global_store_b16 v[36:37], v2, off
	s_or_b32 exec_lo, exec_lo, s21
	v_cmp_lt_u32_e64 s20, v52, v145
	s_and_saveexec_b32 s22, s20
	s_cbranch_execnz .LBB1747_1081
.LBB1747_1066:                          ;   in Loop: Header=BB1747_982 Depth=2
	s_or_b32 exec_lo, exec_lo, s22
	v_cmp_lt_u32_e64 s21, v53, v145
	s_delay_alu instid0(VALU_DEP_1)
	s_and_saveexec_b32 s23, s21
	s_cbranch_execz .LBB1747_1082
.LBB1747_1067:                          ;   in Loop: Header=BB1747_982 Depth=2
	ds_load_u16 v149, v79 offset:3072
	s_waitcnt lgkmcnt(0)
	v_cmp_ne_u16_e64 s22, 0x8000, v149
	s_delay_alu instid0(VALU_DEP_1) | instskip(SKIP_1) | instid1(VALU_DEP_2)
	v_cndmask_b32_e64 v2, 0x7fff, v149, s22
	v_cmp_gt_i16_e64 s22, 0, v149
	v_and_b32_e32 v2, 0xffff, v2
	s_delay_alu instid0(VALU_DEP_2) | instskip(NEXT) | instid1(VALU_DEP_2)
	v_cndmask_b32_e64 v153, 0x7fff, 0, s22
	v_lshrrev_b32_e32 v2, s49, v2
	s_delay_alu instid0(VALU_DEP_1) | instskip(NEXT) | instid1(VALU_DEP_1)
	v_and_b32_e32 v2, s55, v2
	v_lshlrev_b32_e32 v2, 2, v2
	ds_load_b32 v2, v2
	s_waitcnt lgkmcnt(0)
	v_add_nc_u32_e32 v2, v2, v53
	s_delay_alu instid0(VALU_DEP_1) | instskip(SKIP_1) | instid1(VALU_DEP_2)
	v_lshlrev_b64 v[36:37], 1, v[2:3]
	v_xor_b32_e32 v2, v153, v149
	v_add_co_u32 v36, s22, s40, v36
	s_delay_alu instid0(VALU_DEP_1) | instskip(SKIP_3) | instid1(VALU_DEP_1)
	v_add_co_ci_u32_e64 v37, s22, s41, v37, s22
	global_store_b16 v[36:37], v2, off
	s_or_b32 exec_lo, exec_lo, s23
	v_cmp_lt_u32_e64 s22, v54, v145
	s_and_saveexec_b32 s24, s22
	s_cbranch_execnz .LBB1747_1083
.LBB1747_1068:                          ;   in Loop: Header=BB1747_982 Depth=2
	s_or_b32 exec_lo, exec_lo, s24
	v_cmp_lt_u32_e64 s23, v55, v145
	s_delay_alu instid0(VALU_DEP_1)
	s_and_saveexec_b32 s25, s23
	s_cbranch_execz .LBB1747_1084
.LBB1747_1069:                          ;   in Loop: Header=BB1747_982 Depth=2
	ds_load_u16 v149, v79 offset:4096
	s_waitcnt lgkmcnt(0)
	v_cmp_ne_u16_e64 s24, 0x8000, v149
	s_delay_alu instid0(VALU_DEP_1) | instskip(SKIP_1) | instid1(VALU_DEP_2)
	v_cndmask_b32_e64 v2, 0x7fff, v149, s24
	v_cmp_gt_i16_e64 s24, 0, v149
	v_and_b32_e32 v2, 0xffff, v2
	s_delay_alu instid0(VALU_DEP_2) | instskip(NEXT) | instid1(VALU_DEP_2)
	v_cndmask_b32_e64 v153, 0x7fff, 0, s24
	v_lshrrev_b32_e32 v2, s49, v2
	s_delay_alu instid0(VALU_DEP_1) | instskip(NEXT) | instid1(VALU_DEP_1)
	v_and_b32_e32 v2, s55, v2
	v_lshlrev_b32_e32 v2, 2, v2
	ds_load_b32 v2, v2
	s_waitcnt lgkmcnt(0)
	v_add_nc_u32_e32 v2, v2, v55
	s_delay_alu instid0(VALU_DEP_1) | instskip(SKIP_1) | instid1(VALU_DEP_2)
	v_lshlrev_b64 v[36:37], 1, v[2:3]
	v_xor_b32_e32 v2, v153, v149
	v_add_co_u32 v36, s24, s40, v36
	s_delay_alu instid0(VALU_DEP_1) | instskip(SKIP_3) | instid1(VALU_DEP_1)
	v_add_co_ci_u32_e64 v37, s24, s41, v37, s24
	global_store_b16 v[36:37], v2, off
	s_or_b32 exec_lo, exec_lo, s25
	v_cmp_lt_u32_e64 s24, v56, v145
	s_and_saveexec_b32 s27, s24
	s_cbranch_execnz .LBB1747_1085
.LBB1747_1070:                          ;   in Loop: Header=BB1747_982 Depth=2
	s_or_b32 exec_lo, exec_lo, s27
	v_cmp_lt_u32_e64 s25, v57, v145
	s_delay_alu instid0(VALU_DEP_1)
	s_and_saveexec_b32 s28, s25
	s_cbranch_execz .LBB1747_1086
.LBB1747_1071:                          ;   in Loop: Header=BB1747_982 Depth=2
	ds_load_u16 v149, v79 offset:5120
	s_waitcnt lgkmcnt(0)
	v_cmp_ne_u16_e64 s27, 0x8000, v149
	s_delay_alu instid0(VALU_DEP_1) | instskip(SKIP_1) | instid1(VALU_DEP_2)
	v_cndmask_b32_e64 v2, 0x7fff, v149, s27
	v_cmp_gt_i16_e64 s27, 0, v149
	v_and_b32_e32 v2, 0xffff, v2
	s_delay_alu instid0(VALU_DEP_2) | instskip(NEXT) | instid1(VALU_DEP_2)
	v_cndmask_b32_e64 v153, 0x7fff, 0, s27
	v_lshrrev_b32_e32 v2, s49, v2
	s_delay_alu instid0(VALU_DEP_1) | instskip(NEXT) | instid1(VALU_DEP_1)
	v_and_b32_e32 v2, s55, v2
	v_lshlrev_b32_e32 v2, 2, v2
	ds_load_b32 v2, v2
	s_waitcnt lgkmcnt(0)
	v_add_nc_u32_e32 v2, v2, v57
	s_delay_alu instid0(VALU_DEP_1) | instskip(SKIP_1) | instid1(VALU_DEP_2)
	v_lshlrev_b64 v[36:37], 1, v[2:3]
	v_xor_b32_e32 v2, v153, v149
	v_add_co_u32 v36, s27, s40, v36
	s_delay_alu instid0(VALU_DEP_1) | instskip(SKIP_3) | instid1(VALU_DEP_1)
	v_add_co_ci_u32_e64 v37, s27, s41, v37, s27
	global_store_b16 v[36:37], v2, off
	s_or_b32 exec_lo, exec_lo, s28
	v_cmp_lt_u32_e64 s27, v58, v145
	s_and_saveexec_b32 s29, s27
	s_cbranch_execnz .LBB1747_1087
.LBB1747_1072:                          ;   in Loop: Header=BB1747_982 Depth=2
	s_or_b32 exec_lo, exec_lo, s29
	v_cmp_lt_u32_e64 s28, v59, v145
	s_delay_alu instid0(VALU_DEP_1)
	s_and_saveexec_b32 s30, s28
	s_cbranch_execz .LBB1747_1088
.LBB1747_1073:                          ;   in Loop: Header=BB1747_982 Depth=2
	ds_load_u16 v149, v79 offset:6144
	s_waitcnt lgkmcnt(0)
	v_cmp_ne_u16_e64 s29, 0x8000, v149
	s_delay_alu instid0(VALU_DEP_1) | instskip(SKIP_1) | instid1(VALU_DEP_2)
	v_cndmask_b32_e64 v2, 0x7fff, v149, s29
	v_cmp_gt_i16_e64 s29, 0, v149
	v_and_b32_e32 v2, 0xffff, v2
	s_delay_alu instid0(VALU_DEP_2) | instskip(NEXT) | instid1(VALU_DEP_2)
	v_cndmask_b32_e64 v153, 0x7fff, 0, s29
	v_lshrrev_b32_e32 v2, s49, v2
	s_delay_alu instid0(VALU_DEP_1) | instskip(NEXT) | instid1(VALU_DEP_1)
	v_and_b32_e32 v2, s55, v2
	v_lshlrev_b32_e32 v2, 2, v2
	ds_load_b32 v2, v2
	s_waitcnt lgkmcnt(0)
	v_add_nc_u32_e32 v2, v2, v59
	s_delay_alu instid0(VALU_DEP_1) | instskip(SKIP_1) | instid1(VALU_DEP_2)
	v_lshlrev_b64 v[36:37], 1, v[2:3]
	v_xor_b32_e32 v2, v153, v149
	v_add_co_u32 v36, s29, s40, v36
	s_delay_alu instid0(VALU_DEP_1) | instskip(SKIP_3) | instid1(VALU_DEP_1)
	v_add_co_ci_u32_e64 v37, s29, s41, v37, s29
	global_store_b16 v[36:37], v2, off
	s_or_b32 exec_lo, exec_lo, s30
	v_cmp_lt_u32_e64 s29, v60, v145
	s_and_saveexec_b32 s31, s29
	s_cbranch_execnz .LBB1747_1089
.LBB1747_1074:                          ;   in Loop: Header=BB1747_982 Depth=2
	s_or_b32 exec_lo, exec_lo, s31
	v_cmp_lt_u32_e64 s30, v61, v145
	s_delay_alu instid0(VALU_DEP_1)
	s_and_saveexec_b32 s33, s30
	s_cbranch_execz .LBB1747_1090
.LBB1747_1075:                          ;   in Loop: Header=BB1747_982 Depth=2
	ds_load_u16 v149, v79 offset:7168
	s_waitcnt lgkmcnt(0)
	v_cmp_ne_u16_e64 s31, 0x8000, v149
	s_delay_alu instid0(VALU_DEP_1) | instskip(SKIP_1) | instid1(VALU_DEP_2)
	v_cndmask_b32_e64 v2, 0x7fff, v149, s31
	v_cmp_gt_i16_e64 s31, 0, v149
	v_and_b32_e32 v2, 0xffff, v2
	s_delay_alu instid0(VALU_DEP_2) | instskip(NEXT) | instid1(VALU_DEP_2)
	v_cndmask_b32_e64 v153, 0x7fff, 0, s31
	v_lshrrev_b32_e32 v2, s49, v2
	s_delay_alu instid0(VALU_DEP_1) | instskip(NEXT) | instid1(VALU_DEP_1)
	v_and_b32_e32 v2, s55, v2
	v_lshlrev_b32_e32 v2, 2, v2
	ds_load_b32 v2, v2
	s_waitcnt lgkmcnt(0)
	v_add_nc_u32_e32 v2, v2, v61
	s_delay_alu instid0(VALU_DEP_1) | instskip(SKIP_1) | instid1(VALU_DEP_2)
	v_lshlrev_b64 v[36:37], 1, v[2:3]
	v_xor_b32_e32 v2, v153, v149
	v_add_co_u32 v36, s31, s40, v36
	s_delay_alu instid0(VALU_DEP_1) | instskip(SKIP_3) | instid1(VALU_DEP_1)
	v_add_co_ci_u32_e64 v37, s31, s41, v37, s31
	global_store_b16 v[36:37], v2, off
	s_or_b32 exec_lo, exec_lo, s33
	v_cmp_lt_u32_e64 s31, v63, v145
	s_and_saveexec_b32 s58, s31
	s_cbranch_execnz .LBB1747_1091
	s_branch .LBB1747_1092
.LBB1747_1076:                          ;   in Loop: Header=BB1747_982 Depth=2
	s_or_b32 exec_lo, exec_lo, s17
	v_cmp_lt_u32_e64 s16, v45, v145
	s_delay_alu instid0(VALU_DEP_1)
	s_and_saveexec_b32 s18, s16
	s_cbranch_execz .LBB1747_1062
.LBB1747_1077:                          ;   in Loop: Header=BB1747_982 Depth=2
	ds_load_u16 v149, v79 offset:512
	s_waitcnt lgkmcnt(0)
	v_cmp_ne_u16_e64 s17, 0x8000, v149
	s_delay_alu instid0(VALU_DEP_1) | instskip(SKIP_1) | instid1(VALU_DEP_2)
	v_cndmask_b32_e64 v2, 0x7fff, v149, s17
	v_cmp_gt_i16_e64 s17, 0, v149
	v_and_b32_e32 v2, 0xffff, v2
	s_delay_alu instid0(VALU_DEP_2) | instskip(NEXT) | instid1(VALU_DEP_2)
	v_cndmask_b32_e64 v153, 0x7fff, 0, s17
	v_lshrrev_b32_e32 v2, s49, v2
	s_delay_alu instid0(VALU_DEP_1) | instskip(NEXT) | instid1(VALU_DEP_1)
	v_and_b32_e32 v2, s55, v2
	v_lshlrev_b32_e32 v2, 2, v2
	ds_load_b32 v2, v2
	s_waitcnt lgkmcnt(0)
	v_add_nc_u32_e32 v2, v2, v45
	s_delay_alu instid0(VALU_DEP_1) | instskip(SKIP_1) | instid1(VALU_DEP_2)
	v_lshlrev_b64 v[36:37], 1, v[2:3]
	v_xor_b32_e32 v2, v153, v149
	v_add_co_u32 v36, s17, s40, v36
	s_delay_alu instid0(VALU_DEP_1) | instskip(SKIP_3) | instid1(VALU_DEP_1)
	v_add_co_ci_u32_e64 v37, s17, s41, v37, s17
	global_store_b16 v[36:37], v2, off
	s_or_b32 exec_lo, exec_lo, s18
	v_cmp_lt_u32_e64 s17, v46, v145
	s_and_saveexec_b32 s19, s17
	s_cbranch_execnz .LBB1747_1063
.LBB1747_1078:                          ;   in Loop: Header=BB1747_982 Depth=2
	s_or_b32 exec_lo, exec_lo, s19
	v_cmp_lt_u32_e64 s18, v47, v145
	s_delay_alu instid0(VALU_DEP_1)
	s_and_saveexec_b32 s20, s18
	s_cbranch_execz .LBB1747_1064
.LBB1747_1079:                          ;   in Loop: Header=BB1747_982 Depth=2
	ds_load_u16 v149, v79 offset:1536
	s_waitcnt lgkmcnt(0)
	v_cmp_ne_u16_e64 s19, 0x8000, v149
	s_delay_alu instid0(VALU_DEP_1) | instskip(SKIP_1) | instid1(VALU_DEP_2)
	v_cndmask_b32_e64 v2, 0x7fff, v149, s19
	v_cmp_gt_i16_e64 s19, 0, v149
	v_and_b32_e32 v2, 0xffff, v2
	s_delay_alu instid0(VALU_DEP_2) | instskip(NEXT) | instid1(VALU_DEP_2)
	v_cndmask_b32_e64 v153, 0x7fff, 0, s19
	v_lshrrev_b32_e32 v2, s49, v2
	s_delay_alu instid0(VALU_DEP_1) | instskip(NEXT) | instid1(VALU_DEP_1)
	v_and_b32_e32 v2, s55, v2
	v_lshlrev_b32_e32 v2, 2, v2
	ds_load_b32 v2, v2
	s_waitcnt lgkmcnt(0)
	v_add_nc_u32_e32 v2, v2, v47
	s_delay_alu instid0(VALU_DEP_1) | instskip(SKIP_1) | instid1(VALU_DEP_2)
	v_lshlrev_b64 v[36:37], 1, v[2:3]
	v_xor_b32_e32 v2, v153, v149
	v_add_co_u32 v36, s19, s40, v36
	s_delay_alu instid0(VALU_DEP_1) | instskip(SKIP_3) | instid1(VALU_DEP_1)
	v_add_co_ci_u32_e64 v37, s19, s41, v37, s19
	global_store_b16 v[36:37], v2, off
	s_or_b32 exec_lo, exec_lo, s20
	v_cmp_lt_u32_e64 s19, v51, v145
	s_and_saveexec_b32 s21, s19
	s_cbranch_execnz .LBB1747_1065
.LBB1747_1080:                          ;   in Loop: Header=BB1747_982 Depth=2
	s_or_b32 exec_lo, exec_lo, s21
	v_cmp_lt_u32_e64 s20, v52, v145
	s_delay_alu instid0(VALU_DEP_1)
	s_and_saveexec_b32 s22, s20
	s_cbranch_execz .LBB1747_1066
.LBB1747_1081:                          ;   in Loop: Header=BB1747_982 Depth=2
	ds_load_u16 v149, v79 offset:2560
	s_waitcnt lgkmcnt(0)
	v_cmp_ne_u16_e64 s21, 0x8000, v149
	s_delay_alu instid0(VALU_DEP_1) | instskip(SKIP_1) | instid1(VALU_DEP_2)
	v_cndmask_b32_e64 v2, 0x7fff, v149, s21
	v_cmp_gt_i16_e64 s21, 0, v149
	v_and_b32_e32 v2, 0xffff, v2
	s_delay_alu instid0(VALU_DEP_2) | instskip(NEXT) | instid1(VALU_DEP_2)
	v_cndmask_b32_e64 v153, 0x7fff, 0, s21
	v_lshrrev_b32_e32 v2, s49, v2
	s_delay_alu instid0(VALU_DEP_1) | instskip(NEXT) | instid1(VALU_DEP_1)
	v_and_b32_e32 v2, s55, v2
	v_lshlrev_b32_e32 v2, 2, v2
	ds_load_b32 v2, v2
	s_waitcnt lgkmcnt(0)
	v_add_nc_u32_e32 v2, v2, v52
	s_delay_alu instid0(VALU_DEP_1) | instskip(SKIP_1) | instid1(VALU_DEP_2)
	v_lshlrev_b64 v[36:37], 1, v[2:3]
	v_xor_b32_e32 v2, v153, v149
	v_add_co_u32 v36, s21, s40, v36
	s_delay_alu instid0(VALU_DEP_1) | instskip(SKIP_3) | instid1(VALU_DEP_1)
	v_add_co_ci_u32_e64 v37, s21, s41, v37, s21
	global_store_b16 v[36:37], v2, off
	s_or_b32 exec_lo, exec_lo, s22
	v_cmp_lt_u32_e64 s21, v53, v145
	s_and_saveexec_b32 s23, s21
	s_cbranch_execnz .LBB1747_1067
.LBB1747_1082:                          ;   in Loop: Header=BB1747_982 Depth=2
	s_or_b32 exec_lo, exec_lo, s23
	v_cmp_lt_u32_e64 s22, v54, v145
	s_delay_alu instid0(VALU_DEP_1)
	s_and_saveexec_b32 s24, s22
	s_cbranch_execz .LBB1747_1068
.LBB1747_1083:                          ;   in Loop: Header=BB1747_982 Depth=2
	ds_load_u16 v149, v79 offset:3584
	s_waitcnt lgkmcnt(0)
	v_cmp_ne_u16_e64 s23, 0x8000, v149
	s_delay_alu instid0(VALU_DEP_1) | instskip(SKIP_1) | instid1(VALU_DEP_2)
	v_cndmask_b32_e64 v2, 0x7fff, v149, s23
	v_cmp_gt_i16_e64 s23, 0, v149
	v_and_b32_e32 v2, 0xffff, v2
	s_delay_alu instid0(VALU_DEP_2) | instskip(NEXT) | instid1(VALU_DEP_2)
	v_cndmask_b32_e64 v153, 0x7fff, 0, s23
	v_lshrrev_b32_e32 v2, s49, v2
	s_delay_alu instid0(VALU_DEP_1) | instskip(NEXT) | instid1(VALU_DEP_1)
	v_and_b32_e32 v2, s55, v2
	v_lshlrev_b32_e32 v2, 2, v2
	ds_load_b32 v2, v2
	s_waitcnt lgkmcnt(0)
	v_add_nc_u32_e32 v2, v2, v54
	s_delay_alu instid0(VALU_DEP_1) | instskip(SKIP_1) | instid1(VALU_DEP_2)
	v_lshlrev_b64 v[36:37], 1, v[2:3]
	v_xor_b32_e32 v2, v153, v149
	v_add_co_u32 v36, s23, s40, v36
	s_delay_alu instid0(VALU_DEP_1) | instskip(SKIP_3) | instid1(VALU_DEP_1)
	v_add_co_ci_u32_e64 v37, s23, s41, v37, s23
	global_store_b16 v[36:37], v2, off
	s_or_b32 exec_lo, exec_lo, s24
	v_cmp_lt_u32_e64 s23, v55, v145
	s_and_saveexec_b32 s25, s23
	s_cbranch_execnz .LBB1747_1069
.LBB1747_1084:                          ;   in Loop: Header=BB1747_982 Depth=2
	s_or_b32 exec_lo, exec_lo, s25
	v_cmp_lt_u32_e64 s24, v56, v145
	s_delay_alu instid0(VALU_DEP_1)
	s_and_saveexec_b32 s27, s24
	s_cbranch_execz .LBB1747_1070
.LBB1747_1085:                          ;   in Loop: Header=BB1747_982 Depth=2
	ds_load_u16 v149, v79 offset:4608
	s_waitcnt lgkmcnt(0)
	v_cmp_ne_u16_e64 s25, 0x8000, v149
	s_delay_alu instid0(VALU_DEP_1) | instskip(SKIP_1) | instid1(VALU_DEP_2)
	v_cndmask_b32_e64 v2, 0x7fff, v149, s25
	v_cmp_gt_i16_e64 s25, 0, v149
	v_and_b32_e32 v2, 0xffff, v2
	s_delay_alu instid0(VALU_DEP_2) | instskip(NEXT) | instid1(VALU_DEP_2)
	v_cndmask_b32_e64 v153, 0x7fff, 0, s25
	v_lshrrev_b32_e32 v2, s49, v2
	s_delay_alu instid0(VALU_DEP_1) | instskip(NEXT) | instid1(VALU_DEP_1)
	v_and_b32_e32 v2, s55, v2
	v_lshlrev_b32_e32 v2, 2, v2
	ds_load_b32 v2, v2
	s_waitcnt lgkmcnt(0)
	v_add_nc_u32_e32 v2, v2, v56
	s_delay_alu instid0(VALU_DEP_1) | instskip(SKIP_1) | instid1(VALU_DEP_2)
	v_lshlrev_b64 v[36:37], 1, v[2:3]
	v_xor_b32_e32 v2, v153, v149
	v_add_co_u32 v36, s25, s40, v36
	s_delay_alu instid0(VALU_DEP_1) | instskip(SKIP_3) | instid1(VALU_DEP_1)
	v_add_co_ci_u32_e64 v37, s25, s41, v37, s25
	global_store_b16 v[36:37], v2, off
	s_or_b32 exec_lo, exec_lo, s27
	v_cmp_lt_u32_e64 s25, v57, v145
	s_and_saveexec_b32 s28, s25
	s_cbranch_execnz .LBB1747_1071
.LBB1747_1086:                          ;   in Loop: Header=BB1747_982 Depth=2
	s_or_b32 exec_lo, exec_lo, s28
	v_cmp_lt_u32_e64 s27, v58, v145
	s_delay_alu instid0(VALU_DEP_1)
	s_and_saveexec_b32 s29, s27
	s_cbranch_execz .LBB1747_1072
.LBB1747_1087:                          ;   in Loop: Header=BB1747_982 Depth=2
	ds_load_u16 v149, v79 offset:5632
	s_waitcnt lgkmcnt(0)
	v_cmp_ne_u16_e64 s28, 0x8000, v149
	s_delay_alu instid0(VALU_DEP_1) | instskip(SKIP_1) | instid1(VALU_DEP_2)
	v_cndmask_b32_e64 v2, 0x7fff, v149, s28
	v_cmp_gt_i16_e64 s28, 0, v149
	v_and_b32_e32 v2, 0xffff, v2
	s_delay_alu instid0(VALU_DEP_2) | instskip(NEXT) | instid1(VALU_DEP_2)
	v_cndmask_b32_e64 v153, 0x7fff, 0, s28
	v_lshrrev_b32_e32 v2, s49, v2
	s_delay_alu instid0(VALU_DEP_1) | instskip(NEXT) | instid1(VALU_DEP_1)
	v_and_b32_e32 v2, s55, v2
	v_lshlrev_b32_e32 v2, 2, v2
	ds_load_b32 v2, v2
	s_waitcnt lgkmcnt(0)
	v_add_nc_u32_e32 v2, v2, v58
	s_delay_alu instid0(VALU_DEP_1) | instskip(SKIP_1) | instid1(VALU_DEP_2)
	v_lshlrev_b64 v[36:37], 1, v[2:3]
	v_xor_b32_e32 v2, v153, v149
	v_add_co_u32 v36, s28, s40, v36
	s_delay_alu instid0(VALU_DEP_1) | instskip(SKIP_3) | instid1(VALU_DEP_1)
	v_add_co_ci_u32_e64 v37, s28, s41, v37, s28
	global_store_b16 v[36:37], v2, off
	s_or_b32 exec_lo, exec_lo, s29
	v_cmp_lt_u32_e64 s28, v59, v145
	s_and_saveexec_b32 s30, s28
	s_cbranch_execnz .LBB1747_1073
.LBB1747_1088:                          ;   in Loop: Header=BB1747_982 Depth=2
	s_or_b32 exec_lo, exec_lo, s30
	v_cmp_lt_u32_e64 s29, v60, v145
	s_delay_alu instid0(VALU_DEP_1)
	s_and_saveexec_b32 s31, s29
	s_cbranch_execz .LBB1747_1074
.LBB1747_1089:                          ;   in Loop: Header=BB1747_982 Depth=2
	ds_load_u16 v149, v79 offset:6656
	s_waitcnt lgkmcnt(0)
	v_cmp_ne_u16_e64 s30, 0x8000, v149
	s_delay_alu instid0(VALU_DEP_1) | instskip(SKIP_1) | instid1(VALU_DEP_2)
	v_cndmask_b32_e64 v2, 0x7fff, v149, s30
	v_cmp_gt_i16_e64 s30, 0, v149
	v_and_b32_e32 v2, 0xffff, v2
	s_delay_alu instid0(VALU_DEP_2) | instskip(NEXT) | instid1(VALU_DEP_2)
	v_cndmask_b32_e64 v153, 0x7fff, 0, s30
	v_lshrrev_b32_e32 v2, s49, v2
	s_delay_alu instid0(VALU_DEP_1) | instskip(NEXT) | instid1(VALU_DEP_1)
	v_and_b32_e32 v2, s55, v2
	v_lshlrev_b32_e32 v2, 2, v2
	ds_load_b32 v2, v2
	s_waitcnt lgkmcnt(0)
	v_add_nc_u32_e32 v2, v2, v60
	s_delay_alu instid0(VALU_DEP_1) | instskip(SKIP_1) | instid1(VALU_DEP_2)
	v_lshlrev_b64 v[36:37], 1, v[2:3]
	v_xor_b32_e32 v2, v153, v149
	v_add_co_u32 v36, s30, s40, v36
	s_delay_alu instid0(VALU_DEP_1) | instskip(SKIP_3) | instid1(VALU_DEP_1)
	v_add_co_ci_u32_e64 v37, s30, s41, v37, s30
	global_store_b16 v[36:37], v2, off
	s_or_b32 exec_lo, exec_lo, s31
	v_cmp_lt_u32_e64 s30, v61, v145
	s_and_saveexec_b32 s33, s30
	s_cbranch_execnz .LBB1747_1075
.LBB1747_1090:                          ;   in Loop: Header=BB1747_982 Depth=2
	s_or_b32 exec_lo, exec_lo, s33
	v_cmp_lt_u32_e64 s31, v63, v145
	s_delay_alu instid0(VALU_DEP_1)
	s_and_saveexec_b32 s58, s31
	s_cbranch_execz .LBB1747_1092
.LBB1747_1091:                          ;   in Loop: Header=BB1747_982 Depth=2
	ds_load_u16 v149, v79 offset:7680
	s_waitcnt lgkmcnt(0)
	v_cmp_ne_u16_e64 s33, 0x8000, v149
	s_delay_alu instid0(VALU_DEP_1) | instskip(SKIP_1) | instid1(VALU_DEP_2)
	v_cndmask_b32_e64 v2, 0x7fff, v149, s33
	v_cmp_gt_i16_e64 s33, 0, v149
	v_and_b32_e32 v2, 0xffff, v2
	s_delay_alu instid0(VALU_DEP_2) | instskip(NEXT) | instid1(VALU_DEP_2)
	v_cndmask_b32_e64 v153, 0x7fff, 0, s33
	v_lshrrev_b32_e32 v2, s49, v2
	s_delay_alu instid0(VALU_DEP_1) | instskip(NEXT) | instid1(VALU_DEP_1)
	v_and_b32_e32 v2, s55, v2
	v_lshlrev_b32_e32 v2, 2, v2
	ds_load_b32 v2, v2
	s_waitcnt lgkmcnt(0)
	v_add_nc_u32_e32 v2, v2, v63
	s_delay_alu instid0(VALU_DEP_1) | instskip(SKIP_1) | instid1(VALU_DEP_2)
	v_lshlrev_b64 v[36:37], 1, v[2:3]
	v_xor_b32_e32 v2, v153, v149
	v_add_co_u32 v36, s33, s40, v36
	s_delay_alu instid0(VALU_DEP_1)
	v_add_co_ci_u32_e64 v37, s33, s41, v37, s33
	global_store_b16 v[36:37], v2, off
.LBB1747_1092:                          ;   in Loop: Header=BB1747_982 Depth=2
	s_or_b32 exec_lo, exec_lo, s58
	s_lshl_b64 s[58:59], s[34:35], 3
	s_delay_alu instid0(SALU_CYCLE_1) | instskip(NEXT) | instid1(VALU_DEP_1)
	v_add_co_u32 v36, s33, v107, s58
	v_add_co_ci_u32_e64 v37, s33, s59, v108, s33
	v_cmp_lt_u32_e64 s33, v106, v145
	s_delay_alu instid0(VALU_DEP_1) | instskip(NEXT) | instid1(SALU_CYCLE_1)
	s_and_saveexec_b32 s34, s33
	s_xor_b32 s33, exec_lo, s34
	s_cbranch_execz .LBB1747_1124
; %bb.1093:                             ;   in Loop: Header=BB1747_982 Depth=2
	global_load_b64 v[34:35], v[36:37], off
	s_or_b32 exec_lo, exec_lo, s33
	s_delay_alu instid0(SALU_CYCLE_1)
	s_mov_b32 s34, exec_lo
	v_cmpx_lt_u32_e64 v109, v145
	s_cbranch_execnz .LBB1747_1125
.LBB1747_1094:                          ;   in Loop: Header=BB1747_982 Depth=2
	s_or_b32 exec_lo, exec_lo, s34
	s_delay_alu instid0(SALU_CYCLE_1)
	s_mov_b32 s34, exec_lo
	v_cmpx_lt_u32_e64 v110, v145
	s_cbranch_execz .LBB1747_1126
.LBB1747_1095:                          ;   in Loop: Header=BB1747_982 Depth=2
	global_load_b64 v[30:31], v[36:37], off offset:512
	s_or_b32 exec_lo, exec_lo, s34
	s_delay_alu instid0(SALU_CYCLE_1)
	s_mov_b32 s34, exec_lo
	v_cmpx_lt_u32_e64 v111, v145
	s_cbranch_execnz .LBB1747_1127
.LBB1747_1096:                          ;   in Loop: Header=BB1747_982 Depth=2
	s_or_b32 exec_lo, exec_lo, s34
	s_delay_alu instid0(SALU_CYCLE_1)
	s_mov_b32 s34, exec_lo
	v_cmpx_lt_u32_e64 v112, v145
	s_cbranch_execz .LBB1747_1128
.LBB1747_1097:                          ;   in Loop: Header=BB1747_982 Depth=2
	global_load_b64 v[26:27], v[36:37], off offset:1024
	s_or_b32 exec_lo, exec_lo, s34
	s_delay_alu instid0(SALU_CYCLE_1)
	s_mov_b32 s34, exec_lo
	v_cmpx_lt_u32_e64 v113, v145
	s_cbranch_execnz .LBB1747_1129
.LBB1747_1098:                          ;   in Loop: Header=BB1747_982 Depth=2
	s_or_b32 exec_lo, exec_lo, s34
	s_delay_alu instid0(SALU_CYCLE_1)
	s_mov_b32 s34, exec_lo
	v_cmpx_lt_u32_e64 v114, v145
	s_cbranch_execz .LBB1747_1130
.LBB1747_1099:                          ;   in Loop: Header=BB1747_982 Depth=2
	global_load_b64 v[22:23], v[36:37], off offset:1536
	s_or_b32 exec_lo, exec_lo, s34
	s_delay_alu instid0(SALU_CYCLE_1)
	s_mov_b32 s34, exec_lo
	v_cmpx_lt_u32_e64 v115, v145
	s_cbranch_execnz .LBB1747_1131
.LBB1747_1100:                          ;   in Loop: Header=BB1747_982 Depth=2
	s_or_b32 exec_lo, exec_lo, s34
	s_delay_alu instid0(SALU_CYCLE_1)
	s_mov_b32 s34, exec_lo
	v_cmpx_lt_u32_e64 v116, v145
	s_cbranch_execz .LBB1747_1132
.LBB1747_1101:                          ;   in Loop: Header=BB1747_982 Depth=2
	global_load_b64 v[18:19], v[36:37], off offset:2048
	s_or_b32 exec_lo, exec_lo, s34
	s_delay_alu instid0(SALU_CYCLE_1)
	s_mov_b32 s34, exec_lo
	v_cmpx_lt_u32_e64 v117, v145
	s_cbranch_execnz .LBB1747_1133
.LBB1747_1102:                          ;   in Loop: Header=BB1747_982 Depth=2
	s_or_b32 exec_lo, exec_lo, s34
	s_delay_alu instid0(SALU_CYCLE_1)
	s_mov_b32 s34, exec_lo
	v_cmpx_lt_u32_e64 v118, v145
	s_cbranch_execz .LBB1747_1134
.LBB1747_1103:                          ;   in Loop: Header=BB1747_982 Depth=2
	global_load_b64 v[14:15], v[36:37], off offset:2560
	s_or_b32 exec_lo, exec_lo, s34
	s_delay_alu instid0(SALU_CYCLE_1)
	s_mov_b32 s34, exec_lo
	v_cmpx_lt_u32_e64 v119, v145
	s_cbranch_execnz .LBB1747_1135
.LBB1747_1104:                          ;   in Loop: Header=BB1747_982 Depth=2
	s_or_b32 exec_lo, exec_lo, s34
	s_delay_alu instid0(SALU_CYCLE_1)
	s_mov_b32 s34, exec_lo
	v_cmpx_lt_u32_e64 v120, v145
	s_cbranch_execz .LBB1747_1136
.LBB1747_1105:                          ;   in Loop: Header=BB1747_982 Depth=2
	global_load_b64 v[10:11], v[36:37], off offset:3072
	s_or_b32 exec_lo, exec_lo, s34
	s_delay_alu instid0(SALU_CYCLE_1)
	s_mov_b32 s34, exec_lo
	v_cmpx_lt_u32_e64 v121, v145
	s_cbranch_execnz .LBB1747_1137
.LBB1747_1106:                          ;   in Loop: Header=BB1747_982 Depth=2
	s_or_b32 exec_lo, exec_lo, s34
	s_delay_alu instid0(SALU_CYCLE_1)
	s_mov_b32 s34, exec_lo
	v_cmpx_lt_u32_e64 v122, v145
	s_cbranch_execz .LBB1747_1138
.LBB1747_1107:                          ;   in Loop: Header=BB1747_982 Depth=2
	global_load_b64 v[6:7], v[36:37], off offset:3584
	s_or_b32 exec_lo, exec_lo, s34
	s_delay_alu instid0(SALU_CYCLE_1)
	s_mov_b32 s34, exec_lo
	v_cmpx_lt_u32_e64 v123, v145
	s_cbranch_execnz .LBB1747_1139
.LBB1747_1108:                          ;   in Loop: Header=BB1747_982 Depth=2
	s_or_b32 exec_lo, exec_lo, s34
	s_and_saveexec_b32 s34, vcc_lo
	s_cbranch_execz .LBB1747_1140
.LBB1747_1109:                          ;   in Loop: Header=BB1747_982 Depth=2
	ds_load_u16 v2, v147 offset:1024
	s_waitcnt lgkmcnt(0)
	v_cmp_ne_u16_e64 s33, 0x8000, v2
	s_delay_alu instid0(VALU_DEP_1) | instskip(NEXT) | instid1(VALU_DEP_1)
	v_cndmask_b32_e64 v2, 0x7fff, v2, s33
	v_and_b32_e32 v2, 0xffff, v2
	s_delay_alu instid0(VALU_DEP_1) | instskip(NEXT) | instid1(VALU_DEP_1)
	v_lshrrev_b32_e32 v2, s49, v2
	v_and_b32_e32 v144, s55, v2
	s_or_b32 exec_lo, exec_lo, s34
	s_and_saveexec_b32 s34, s16
	s_cbranch_execnz .LBB1747_1141
.LBB1747_1110:                          ;   in Loop: Header=BB1747_982 Depth=2
	s_or_b32 exec_lo, exec_lo, s34
	s_and_saveexec_b32 s34, s17
	s_cbranch_execz .LBB1747_1142
.LBB1747_1111:                          ;   in Loop: Header=BB1747_982 Depth=2
	ds_load_u16 v2, v79 offset:1024
	s_waitcnt lgkmcnt(0)
	v_cmp_ne_u16_e64 s33, 0x8000, v2
	s_delay_alu instid0(VALU_DEP_1) | instskip(NEXT) | instid1(VALU_DEP_1)
	v_cndmask_b32_e64 v2, 0x7fff, v2, s33
	v_and_b32_e32 v2, 0xffff, v2
	s_delay_alu instid0(VALU_DEP_1) | instskip(NEXT) | instid1(VALU_DEP_1)
	v_lshrrev_b32_e32 v2, s49, v2
	v_and_b32_e32 v142, s55, v2
	s_or_b32 exec_lo, exec_lo, s34
	s_and_saveexec_b32 s34, s18
	s_cbranch_execnz .LBB1747_1143
.LBB1747_1112:                          ;   in Loop: Header=BB1747_982 Depth=2
	s_or_b32 exec_lo, exec_lo, s34
	s_and_saveexec_b32 s34, s19
	s_cbranch_execz .LBB1747_1144
.LBB1747_1113:                          ;   in Loop: Header=BB1747_982 Depth=2
	ds_load_u16 v2, v79 offset:2048
	s_waitcnt lgkmcnt(0)
	v_cmp_ne_u16_e64 s33, 0x8000, v2
	s_delay_alu instid0(VALU_DEP_1) | instskip(NEXT) | instid1(VALU_DEP_1)
	v_cndmask_b32_e64 v2, 0x7fff, v2, s33
	v_and_b32_e32 v2, 0xffff, v2
	s_delay_alu instid0(VALU_DEP_1) | instskip(NEXT) | instid1(VALU_DEP_1)
	v_lshrrev_b32_e32 v2, s49, v2
	v_and_b32_e32 v140, s55, v2
	s_or_b32 exec_lo, exec_lo, s34
	s_and_saveexec_b32 s34, s20
	s_cbranch_execnz .LBB1747_1145
.LBB1747_1114:                          ;   in Loop: Header=BB1747_982 Depth=2
	s_or_b32 exec_lo, exec_lo, s34
	s_and_saveexec_b32 s34, s21
	s_cbranch_execz .LBB1747_1146
.LBB1747_1115:                          ;   in Loop: Header=BB1747_982 Depth=2
	ds_load_u16 v2, v79 offset:3072
	s_waitcnt lgkmcnt(0)
	v_cmp_ne_u16_e64 s33, 0x8000, v2
	s_delay_alu instid0(VALU_DEP_1) | instskip(NEXT) | instid1(VALU_DEP_1)
	v_cndmask_b32_e64 v2, 0x7fff, v2, s33
	v_and_b32_e32 v2, 0xffff, v2
	s_delay_alu instid0(VALU_DEP_1) | instskip(NEXT) | instid1(VALU_DEP_1)
	v_lshrrev_b32_e32 v2, s49, v2
	v_and_b32_e32 v138, s55, v2
	s_or_b32 exec_lo, exec_lo, s34
	s_and_saveexec_b32 s34, s22
	s_cbranch_execnz .LBB1747_1147
.LBB1747_1116:                          ;   in Loop: Header=BB1747_982 Depth=2
	s_or_b32 exec_lo, exec_lo, s34
	s_and_saveexec_b32 s34, s23
	s_cbranch_execz .LBB1747_1148
.LBB1747_1117:                          ;   in Loop: Header=BB1747_982 Depth=2
	ds_load_u16 v2, v79 offset:4096
	s_waitcnt lgkmcnt(0)
	v_cmp_ne_u16_e64 s33, 0x8000, v2
	s_delay_alu instid0(VALU_DEP_1) | instskip(NEXT) | instid1(VALU_DEP_1)
	v_cndmask_b32_e64 v2, 0x7fff, v2, s33
	v_and_b32_e32 v2, 0xffff, v2
	s_delay_alu instid0(VALU_DEP_1) | instskip(NEXT) | instid1(VALU_DEP_1)
	v_lshrrev_b32_e32 v2, s49, v2
	v_and_b32_e32 v136, s55, v2
	s_or_b32 exec_lo, exec_lo, s34
	s_and_saveexec_b32 s34, s24
	s_cbranch_execnz .LBB1747_1149
.LBB1747_1118:                          ;   in Loop: Header=BB1747_982 Depth=2
	s_or_b32 exec_lo, exec_lo, s34
	s_and_saveexec_b32 s34, s25
	s_cbranch_execz .LBB1747_1150
.LBB1747_1119:                          ;   in Loop: Header=BB1747_982 Depth=2
	ds_load_u16 v2, v79 offset:5120
	s_waitcnt lgkmcnt(0)
	v_cmp_ne_u16_e64 s33, 0x8000, v2
	s_delay_alu instid0(VALU_DEP_1) | instskip(NEXT) | instid1(VALU_DEP_1)
	v_cndmask_b32_e64 v2, 0x7fff, v2, s33
	v_and_b32_e32 v2, 0xffff, v2
	s_delay_alu instid0(VALU_DEP_1) | instskip(NEXT) | instid1(VALU_DEP_1)
	v_lshrrev_b32_e32 v2, s49, v2
	v_and_b32_e32 v134, s55, v2
	s_or_b32 exec_lo, exec_lo, s34
	s_and_saveexec_b32 s34, s27
	s_cbranch_execnz .LBB1747_1151
.LBB1747_1120:                          ;   in Loop: Header=BB1747_982 Depth=2
	s_or_b32 exec_lo, exec_lo, s34
	s_and_saveexec_b32 s34, s28
	s_cbranch_execz .LBB1747_1152
.LBB1747_1121:                          ;   in Loop: Header=BB1747_982 Depth=2
	ds_load_u16 v2, v79 offset:6144
	s_waitcnt lgkmcnt(0)
	v_cmp_ne_u16_e64 s33, 0x8000, v2
	s_delay_alu instid0(VALU_DEP_1) | instskip(NEXT) | instid1(VALU_DEP_1)
	v_cndmask_b32_e64 v2, 0x7fff, v2, s33
	v_and_b32_e32 v2, 0xffff, v2
	s_delay_alu instid0(VALU_DEP_1) | instskip(NEXT) | instid1(VALU_DEP_1)
	v_lshrrev_b32_e32 v2, s49, v2
	v_and_b32_e32 v132, s55, v2
	s_or_b32 exec_lo, exec_lo, s34
	s_and_saveexec_b32 s34, s29
	s_cbranch_execnz .LBB1747_1153
.LBB1747_1122:                          ;   in Loop: Header=BB1747_982 Depth=2
	s_or_b32 exec_lo, exec_lo, s34
	s_and_saveexec_b32 s34, s30
	s_cbranch_execz .LBB1747_1154
.LBB1747_1123:                          ;   in Loop: Header=BB1747_982 Depth=2
	ds_load_u16 v2, v79 offset:7168
	s_waitcnt lgkmcnt(0)
	v_cmp_ne_u16_e64 s33, 0x8000, v2
	s_delay_alu instid0(VALU_DEP_1) | instskip(NEXT) | instid1(VALU_DEP_1)
	v_cndmask_b32_e64 v2, 0x7fff, v2, s33
	v_and_b32_e32 v2, 0xffff, v2
	s_delay_alu instid0(VALU_DEP_1) | instskip(NEXT) | instid1(VALU_DEP_1)
	v_lshrrev_b32_e32 v2, s49, v2
	v_and_b32_e32 v130, s55, v2
	s_or_b32 exec_lo, exec_lo, s34
	s_and_saveexec_b32 s34, s31
	s_cbranch_execnz .LBB1747_1155
	s_branch .LBB1747_1156
.LBB1747_1124:                          ;   in Loop: Header=BB1747_982 Depth=2
	s_or_b32 exec_lo, exec_lo, s33
	s_delay_alu instid0(SALU_CYCLE_1)
	s_mov_b32 s34, exec_lo
	v_cmpx_lt_u32_e64 v109, v145
	s_cbranch_execz .LBB1747_1094
.LBB1747_1125:                          ;   in Loop: Header=BB1747_982 Depth=2
	global_load_b64 v[32:33], v[36:37], off offset:256
	s_or_b32 exec_lo, exec_lo, s34
	s_delay_alu instid0(SALU_CYCLE_1)
	s_mov_b32 s34, exec_lo
	v_cmpx_lt_u32_e64 v110, v145
	s_cbranch_execnz .LBB1747_1095
.LBB1747_1126:                          ;   in Loop: Header=BB1747_982 Depth=2
	s_or_b32 exec_lo, exec_lo, s34
	s_delay_alu instid0(SALU_CYCLE_1)
	s_mov_b32 s34, exec_lo
	v_cmpx_lt_u32_e64 v111, v145
	s_cbranch_execz .LBB1747_1096
.LBB1747_1127:                          ;   in Loop: Header=BB1747_982 Depth=2
	global_load_b64 v[28:29], v[36:37], off offset:768
	s_or_b32 exec_lo, exec_lo, s34
	s_delay_alu instid0(SALU_CYCLE_1)
	s_mov_b32 s34, exec_lo
	v_cmpx_lt_u32_e64 v112, v145
	s_cbranch_execnz .LBB1747_1097
.LBB1747_1128:                          ;   in Loop: Header=BB1747_982 Depth=2
	s_or_b32 exec_lo, exec_lo, s34
	s_delay_alu instid0(SALU_CYCLE_1)
	s_mov_b32 s34, exec_lo
	v_cmpx_lt_u32_e64 v113, v145
	s_cbranch_execz .LBB1747_1098
.LBB1747_1129:                          ;   in Loop: Header=BB1747_982 Depth=2
	global_load_b64 v[24:25], v[36:37], off offset:1280
	s_or_b32 exec_lo, exec_lo, s34
	s_delay_alu instid0(SALU_CYCLE_1)
	s_mov_b32 s34, exec_lo
	v_cmpx_lt_u32_e64 v114, v145
	s_cbranch_execnz .LBB1747_1099
.LBB1747_1130:                          ;   in Loop: Header=BB1747_982 Depth=2
	s_or_b32 exec_lo, exec_lo, s34
	s_delay_alu instid0(SALU_CYCLE_1)
	s_mov_b32 s34, exec_lo
	v_cmpx_lt_u32_e64 v115, v145
	s_cbranch_execz .LBB1747_1100
.LBB1747_1131:                          ;   in Loop: Header=BB1747_982 Depth=2
	global_load_b64 v[20:21], v[36:37], off offset:1792
	s_or_b32 exec_lo, exec_lo, s34
	s_delay_alu instid0(SALU_CYCLE_1)
	s_mov_b32 s34, exec_lo
	v_cmpx_lt_u32_e64 v116, v145
	s_cbranch_execnz .LBB1747_1101
.LBB1747_1132:                          ;   in Loop: Header=BB1747_982 Depth=2
	s_or_b32 exec_lo, exec_lo, s34
	s_delay_alu instid0(SALU_CYCLE_1)
	s_mov_b32 s34, exec_lo
	v_cmpx_lt_u32_e64 v117, v145
	s_cbranch_execz .LBB1747_1102
.LBB1747_1133:                          ;   in Loop: Header=BB1747_982 Depth=2
	global_load_b64 v[16:17], v[36:37], off offset:2304
	s_or_b32 exec_lo, exec_lo, s34
	s_delay_alu instid0(SALU_CYCLE_1)
	s_mov_b32 s34, exec_lo
	v_cmpx_lt_u32_e64 v118, v145
	s_cbranch_execnz .LBB1747_1103
.LBB1747_1134:                          ;   in Loop: Header=BB1747_982 Depth=2
	s_or_b32 exec_lo, exec_lo, s34
	s_delay_alu instid0(SALU_CYCLE_1)
	s_mov_b32 s34, exec_lo
	v_cmpx_lt_u32_e64 v119, v145
	s_cbranch_execz .LBB1747_1104
.LBB1747_1135:                          ;   in Loop: Header=BB1747_982 Depth=2
	global_load_b64 v[12:13], v[36:37], off offset:2816
	s_or_b32 exec_lo, exec_lo, s34
	s_delay_alu instid0(SALU_CYCLE_1)
	s_mov_b32 s34, exec_lo
	v_cmpx_lt_u32_e64 v120, v145
	s_cbranch_execnz .LBB1747_1105
.LBB1747_1136:                          ;   in Loop: Header=BB1747_982 Depth=2
	s_or_b32 exec_lo, exec_lo, s34
	s_delay_alu instid0(SALU_CYCLE_1)
	s_mov_b32 s34, exec_lo
	v_cmpx_lt_u32_e64 v121, v145
	s_cbranch_execz .LBB1747_1106
.LBB1747_1137:                          ;   in Loop: Header=BB1747_982 Depth=2
	global_load_b64 v[8:9], v[36:37], off offset:3328
	s_or_b32 exec_lo, exec_lo, s34
	s_delay_alu instid0(SALU_CYCLE_1)
	s_mov_b32 s34, exec_lo
	v_cmpx_lt_u32_e64 v122, v145
	s_cbranch_execnz .LBB1747_1107
.LBB1747_1138:                          ;   in Loop: Header=BB1747_982 Depth=2
	s_or_b32 exec_lo, exec_lo, s34
	s_delay_alu instid0(SALU_CYCLE_1)
	s_mov_b32 s34, exec_lo
	v_cmpx_lt_u32_e64 v123, v145
	s_cbranch_execz .LBB1747_1108
.LBB1747_1139:                          ;   in Loop: Header=BB1747_982 Depth=2
	global_load_b64 v[4:5], v[36:37], off offset:3840
	s_or_b32 exec_lo, exec_lo, s34
	s_and_saveexec_b32 s34, vcc_lo
	s_cbranch_execnz .LBB1747_1109
.LBB1747_1140:                          ;   in Loop: Header=BB1747_982 Depth=2
	s_or_b32 exec_lo, exec_lo, s34
	s_and_saveexec_b32 s34, s16
	s_cbranch_execz .LBB1747_1110
.LBB1747_1141:                          ;   in Loop: Header=BB1747_982 Depth=2
	ds_load_u16 v2, v79 offset:512
	s_waitcnt lgkmcnt(0)
	v_cmp_ne_u16_e64 s33, 0x8000, v2
	s_delay_alu instid0(VALU_DEP_1) | instskip(NEXT) | instid1(VALU_DEP_1)
	v_cndmask_b32_e64 v2, 0x7fff, v2, s33
	v_and_b32_e32 v2, 0xffff, v2
	s_delay_alu instid0(VALU_DEP_1) | instskip(NEXT) | instid1(VALU_DEP_1)
	v_lshrrev_b32_e32 v2, s49, v2
	v_and_b32_e32 v143, s55, v2
	s_or_b32 exec_lo, exec_lo, s34
	s_and_saveexec_b32 s34, s17
	s_cbranch_execnz .LBB1747_1111
.LBB1747_1142:                          ;   in Loop: Header=BB1747_982 Depth=2
	s_or_b32 exec_lo, exec_lo, s34
	s_and_saveexec_b32 s34, s18
	s_cbranch_execz .LBB1747_1112
.LBB1747_1143:                          ;   in Loop: Header=BB1747_982 Depth=2
	ds_load_u16 v2, v79 offset:1536
	s_waitcnt lgkmcnt(0)
	v_cmp_ne_u16_e64 s33, 0x8000, v2
	s_delay_alu instid0(VALU_DEP_1) | instskip(NEXT) | instid1(VALU_DEP_1)
	v_cndmask_b32_e64 v2, 0x7fff, v2, s33
	v_and_b32_e32 v2, 0xffff, v2
	s_delay_alu instid0(VALU_DEP_1) | instskip(NEXT) | instid1(VALU_DEP_1)
	v_lshrrev_b32_e32 v2, s49, v2
	v_and_b32_e32 v141, s55, v2
	s_or_b32 exec_lo, exec_lo, s34
	s_and_saveexec_b32 s34, s19
	s_cbranch_execnz .LBB1747_1113
.LBB1747_1144:                          ;   in Loop: Header=BB1747_982 Depth=2
	s_or_b32 exec_lo, exec_lo, s34
	s_and_saveexec_b32 s34, s20
	s_cbranch_execz .LBB1747_1114
.LBB1747_1145:                          ;   in Loop: Header=BB1747_982 Depth=2
	ds_load_u16 v2, v79 offset:2560
	s_waitcnt lgkmcnt(0)
	v_cmp_ne_u16_e64 s33, 0x8000, v2
	s_delay_alu instid0(VALU_DEP_1) | instskip(NEXT) | instid1(VALU_DEP_1)
	v_cndmask_b32_e64 v2, 0x7fff, v2, s33
	v_and_b32_e32 v2, 0xffff, v2
	s_delay_alu instid0(VALU_DEP_1) | instskip(NEXT) | instid1(VALU_DEP_1)
	v_lshrrev_b32_e32 v2, s49, v2
	v_and_b32_e32 v139, s55, v2
	s_or_b32 exec_lo, exec_lo, s34
	s_and_saveexec_b32 s34, s21
	s_cbranch_execnz .LBB1747_1115
.LBB1747_1146:                          ;   in Loop: Header=BB1747_982 Depth=2
	s_or_b32 exec_lo, exec_lo, s34
	s_and_saveexec_b32 s34, s22
	s_cbranch_execz .LBB1747_1116
.LBB1747_1147:                          ;   in Loop: Header=BB1747_982 Depth=2
	ds_load_u16 v2, v79 offset:3584
	s_waitcnt lgkmcnt(0)
	v_cmp_ne_u16_e64 s33, 0x8000, v2
	s_delay_alu instid0(VALU_DEP_1) | instskip(NEXT) | instid1(VALU_DEP_1)
	v_cndmask_b32_e64 v2, 0x7fff, v2, s33
	v_and_b32_e32 v2, 0xffff, v2
	s_delay_alu instid0(VALU_DEP_1) | instskip(NEXT) | instid1(VALU_DEP_1)
	v_lshrrev_b32_e32 v2, s49, v2
	v_and_b32_e32 v137, s55, v2
	s_or_b32 exec_lo, exec_lo, s34
	s_and_saveexec_b32 s34, s23
	s_cbranch_execnz .LBB1747_1117
.LBB1747_1148:                          ;   in Loop: Header=BB1747_982 Depth=2
	s_or_b32 exec_lo, exec_lo, s34
	s_and_saveexec_b32 s34, s24
	s_cbranch_execz .LBB1747_1118
.LBB1747_1149:                          ;   in Loop: Header=BB1747_982 Depth=2
	ds_load_u16 v2, v79 offset:4608
	s_waitcnt lgkmcnt(0)
	v_cmp_ne_u16_e64 s33, 0x8000, v2
	s_delay_alu instid0(VALU_DEP_1) | instskip(NEXT) | instid1(VALU_DEP_1)
	v_cndmask_b32_e64 v2, 0x7fff, v2, s33
	v_and_b32_e32 v2, 0xffff, v2
	s_delay_alu instid0(VALU_DEP_1) | instskip(NEXT) | instid1(VALU_DEP_1)
	v_lshrrev_b32_e32 v2, s49, v2
	v_and_b32_e32 v135, s55, v2
	s_or_b32 exec_lo, exec_lo, s34
	s_and_saveexec_b32 s34, s25
	s_cbranch_execnz .LBB1747_1119
.LBB1747_1150:                          ;   in Loop: Header=BB1747_982 Depth=2
	s_or_b32 exec_lo, exec_lo, s34
	s_and_saveexec_b32 s34, s27
	s_cbranch_execz .LBB1747_1120
.LBB1747_1151:                          ;   in Loop: Header=BB1747_982 Depth=2
	ds_load_u16 v2, v79 offset:5632
	s_waitcnt lgkmcnt(0)
	v_cmp_ne_u16_e64 s33, 0x8000, v2
	s_delay_alu instid0(VALU_DEP_1) | instskip(NEXT) | instid1(VALU_DEP_1)
	v_cndmask_b32_e64 v2, 0x7fff, v2, s33
	v_and_b32_e32 v2, 0xffff, v2
	s_delay_alu instid0(VALU_DEP_1) | instskip(NEXT) | instid1(VALU_DEP_1)
	v_lshrrev_b32_e32 v2, s49, v2
	v_and_b32_e32 v133, s55, v2
	s_or_b32 exec_lo, exec_lo, s34
	s_and_saveexec_b32 s34, s28
	s_cbranch_execnz .LBB1747_1121
.LBB1747_1152:                          ;   in Loop: Header=BB1747_982 Depth=2
	s_or_b32 exec_lo, exec_lo, s34
	s_and_saveexec_b32 s34, s29
	s_cbranch_execz .LBB1747_1122
.LBB1747_1153:                          ;   in Loop: Header=BB1747_982 Depth=2
	ds_load_u16 v2, v79 offset:6656
	s_waitcnt lgkmcnt(0)
	v_cmp_ne_u16_e64 s33, 0x8000, v2
	s_delay_alu instid0(VALU_DEP_1) | instskip(NEXT) | instid1(VALU_DEP_1)
	v_cndmask_b32_e64 v2, 0x7fff, v2, s33
	v_and_b32_e32 v2, 0xffff, v2
	s_delay_alu instid0(VALU_DEP_1) | instskip(NEXT) | instid1(VALU_DEP_1)
	v_lshrrev_b32_e32 v2, s49, v2
	v_and_b32_e32 v131, s55, v2
	s_or_b32 exec_lo, exec_lo, s34
	s_and_saveexec_b32 s34, s30
	s_cbranch_execnz .LBB1747_1123
.LBB1747_1154:                          ;   in Loop: Header=BB1747_982 Depth=2
	s_or_b32 exec_lo, exec_lo, s34
	s_and_saveexec_b32 s34, s31
	s_cbranch_execz .LBB1747_1156
.LBB1747_1155:                          ;   in Loop: Header=BB1747_982 Depth=2
	ds_load_u16 v2, v79 offset:7680
	s_waitcnt lgkmcnt(0)
	v_cmp_ne_u16_e64 s33, 0x8000, v2
	s_delay_alu instid0(VALU_DEP_1) | instskip(NEXT) | instid1(VALU_DEP_1)
	v_cndmask_b32_e64 v2, 0x7fff, v2, s33
	v_and_b32_e32 v2, 0xffff, v2
	s_delay_alu instid0(VALU_DEP_1) | instskip(NEXT) | instid1(VALU_DEP_1)
	v_lshrrev_b32_e32 v2, s49, v2
	v_and_b32_e32 v129, s55, v2
.LBB1747_1156:                          ;   in Loop: Header=BB1747_982 Depth=2
	s_or_b32 exec_lo, exec_lo, s34
	v_lshlrev_b32_e32 v2, 3, v168
	v_lshlrev_b32_e32 v36, 3, v164
	s_waitcnt vmcnt(0)
	s_waitcnt_vscnt null, 0x0
	s_barrier
	buffer_gl0_inv
	ds_store_b64 v2, v[34:35] offset:1024
	v_lshlrev_b32_e32 v2, 3, v160
	v_lshlrev_b32_e32 v37, 3, v156
	;; [unrolled: 1-line block ×4, first 2 shown]
	ds_store_b64 v36, v[32:33] offset:1024
	ds_store_b64 v2, v[30:31] offset:1024
	;; [unrolled: 1-line block ×5, first 2 shown]
	v_lshlrev_b32_e32 v2, 3, v152
	v_lshlrev_b32_e32 v36, 3, v151
	;; [unrolled: 1-line block ×5, first 2 shown]
	ds_store_b64 v2, v[22:23] offset:1024
	ds_store_b64 v36, v[20:21] offset:1024
	;; [unrolled: 1-line block ×5, first 2 shown]
	v_lshlrev_b32_e32 v2, 3, v42
	v_lshlrev_b32_e32 v36, 3, v40
	;; [unrolled: 1-line block ×5, first 2 shown]
	ds_store_b64 v2, v[12:13] offset:1024
	ds_store_b64 v36, v[10:11] offset:1024
	;; [unrolled: 1-line block ×5, first 2 shown]
	s_waitcnt lgkmcnt(0)
	s_barrier
	buffer_gl0_inv
	s_and_saveexec_b32 s33, vcc_lo
	s_cbranch_execz .LBB1747_1172
; %bb.1157:                             ;   in Loop: Header=BB1747_982 Depth=2
	v_lshlrev_b32_e32 v2, 2, v144
	ds_load_b32 v2, v2
	ds_load_b64 v[36:37], v80 offset:1024
	s_waitcnt lgkmcnt(1)
	v_add_nc_u32_e32 v2, v2, v1
	s_delay_alu instid0(VALU_DEP_1) | instskip(NEXT) | instid1(VALU_DEP_1)
	v_lshlrev_b64 v[39:40], 3, v[2:3]
	v_add_co_u32 v39, vcc_lo, s46, v39
	s_delay_alu instid0(VALU_DEP_2)
	v_add_co_ci_u32_e32 v40, vcc_lo, s47, v40, vcc_lo
	s_waitcnt lgkmcnt(0)
	global_store_b64 v[39:40], v[36:37], off
	s_or_b32 exec_lo, exec_lo, s33
	v_add_nc_u32_e32 v36, v79, v81
	s_and_saveexec_b32 s33, s16
	s_cbranch_execnz .LBB1747_1173
.LBB1747_1158:                          ;   in Loop: Header=BB1747_982 Depth=2
	s_or_b32 exec_lo, exec_lo, s33
	s_and_saveexec_b32 s16, s17
	s_cbranch_execz .LBB1747_1174
.LBB1747_1159:                          ;   in Loop: Header=BB1747_982 Depth=2
	v_lshlrev_b32_e32 v2, 2, v142
	ds_load_b32 v2, v2
	ds_load_b64 v[39:40], v36 offset:4096
	s_waitcnt lgkmcnt(1)
	v_add_nc_u32_e32 v2, v2, v46
	s_delay_alu instid0(VALU_DEP_1) | instskip(NEXT) | instid1(VALU_DEP_1)
	v_lshlrev_b64 v[41:42], 3, v[2:3]
	v_add_co_u32 v41, vcc_lo, s46, v41
	s_delay_alu instid0(VALU_DEP_2)
	v_add_co_ci_u32_e32 v42, vcc_lo, s47, v42, vcc_lo
	s_waitcnt lgkmcnt(0)
	global_store_b64 v[41:42], v[39:40], off
	s_or_b32 exec_lo, exec_lo, s16
	s_and_saveexec_b32 s16, s18
	s_cbranch_execnz .LBB1747_1175
.LBB1747_1160:                          ;   in Loop: Header=BB1747_982 Depth=2
	s_or_b32 exec_lo, exec_lo, s16
	s_and_saveexec_b32 s16, s19
	s_cbranch_execz .LBB1747_1176
.LBB1747_1161:                          ;   in Loop: Header=BB1747_982 Depth=2
	v_lshlrev_b32_e32 v2, 2, v140
	ds_load_b32 v2, v2
	ds_load_b64 v[39:40], v36 offset:8192
	s_waitcnt lgkmcnt(1)
	v_add_nc_u32_e32 v2, v2, v51
	s_delay_alu instid0(VALU_DEP_1) | instskip(NEXT) | instid1(VALU_DEP_1)
	v_lshlrev_b64 v[41:42], 3, v[2:3]
	v_add_co_u32 v41, vcc_lo, s46, v41
	s_delay_alu instid0(VALU_DEP_2)
	v_add_co_ci_u32_e32 v42, vcc_lo, s47, v42, vcc_lo
	s_waitcnt lgkmcnt(0)
	global_store_b64 v[41:42], v[39:40], off
	s_or_b32 exec_lo, exec_lo, s16
	s_and_saveexec_b32 s16, s20
	s_cbranch_execnz .LBB1747_1177
.LBB1747_1162:                          ;   in Loop: Header=BB1747_982 Depth=2
	s_or_b32 exec_lo, exec_lo, s16
	s_and_saveexec_b32 s16, s21
	s_cbranch_execz .LBB1747_1178
.LBB1747_1163:                          ;   in Loop: Header=BB1747_982 Depth=2
	v_lshlrev_b32_e32 v2, 2, v138
	ds_load_b32 v2, v2
	ds_load_b64 v[39:40], v36 offset:12288
	s_waitcnt lgkmcnt(1)
	v_add_nc_u32_e32 v2, v2, v53
	s_delay_alu instid0(VALU_DEP_1) | instskip(NEXT) | instid1(VALU_DEP_1)
	v_lshlrev_b64 v[41:42], 3, v[2:3]
	v_add_co_u32 v41, vcc_lo, s46, v41
	s_delay_alu instid0(VALU_DEP_2)
	v_add_co_ci_u32_e32 v42, vcc_lo, s47, v42, vcc_lo
	s_waitcnt lgkmcnt(0)
	global_store_b64 v[41:42], v[39:40], off
	s_or_b32 exec_lo, exec_lo, s16
	s_and_saveexec_b32 s16, s22
	s_cbranch_execnz .LBB1747_1179
.LBB1747_1164:                          ;   in Loop: Header=BB1747_982 Depth=2
	s_or_b32 exec_lo, exec_lo, s16
	s_and_saveexec_b32 s16, s23
	s_cbranch_execz .LBB1747_1180
.LBB1747_1165:                          ;   in Loop: Header=BB1747_982 Depth=2
	v_lshlrev_b32_e32 v2, 2, v136
	ds_load_b32 v2, v2
	ds_load_b64 v[39:40], v36 offset:16384
	s_waitcnt lgkmcnt(1)
	v_add_nc_u32_e32 v2, v2, v55
	s_delay_alu instid0(VALU_DEP_1) | instskip(NEXT) | instid1(VALU_DEP_1)
	v_lshlrev_b64 v[41:42], 3, v[2:3]
	v_add_co_u32 v41, vcc_lo, s46, v41
	s_delay_alu instid0(VALU_DEP_2)
	v_add_co_ci_u32_e32 v42, vcc_lo, s47, v42, vcc_lo
	s_waitcnt lgkmcnt(0)
	global_store_b64 v[41:42], v[39:40], off
	s_or_b32 exec_lo, exec_lo, s16
	s_and_saveexec_b32 s16, s24
	s_cbranch_execnz .LBB1747_1181
.LBB1747_1166:                          ;   in Loop: Header=BB1747_982 Depth=2
	s_or_b32 exec_lo, exec_lo, s16
	s_and_saveexec_b32 s16, s25
	s_cbranch_execz .LBB1747_1182
.LBB1747_1167:                          ;   in Loop: Header=BB1747_982 Depth=2
	v_lshlrev_b32_e32 v2, 2, v134
	ds_load_b32 v2, v2
	ds_load_b64 v[39:40], v36 offset:20480
	s_waitcnt lgkmcnt(1)
	v_add_nc_u32_e32 v2, v2, v57
	s_delay_alu instid0(VALU_DEP_1) | instskip(NEXT) | instid1(VALU_DEP_1)
	v_lshlrev_b64 v[41:42], 3, v[2:3]
	v_add_co_u32 v41, vcc_lo, s46, v41
	s_delay_alu instid0(VALU_DEP_2)
	v_add_co_ci_u32_e32 v42, vcc_lo, s47, v42, vcc_lo
	s_waitcnt lgkmcnt(0)
	global_store_b64 v[41:42], v[39:40], off
	s_or_b32 exec_lo, exec_lo, s16
	s_and_saveexec_b32 s16, s27
	s_cbranch_execnz .LBB1747_1183
.LBB1747_1168:                          ;   in Loop: Header=BB1747_982 Depth=2
	s_or_b32 exec_lo, exec_lo, s16
	s_and_saveexec_b32 s16, s28
	s_cbranch_execz .LBB1747_1184
.LBB1747_1169:                          ;   in Loop: Header=BB1747_982 Depth=2
	v_lshlrev_b32_e32 v2, 2, v132
	ds_load_b32 v2, v2
	ds_load_b64 v[39:40], v36 offset:24576
	s_waitcnt lgkmcnt(1)
	v_add_nc_u32_e32 v2, v2, v59
	s_delay_alu instid0(VALU_DEP_1) | instskip(NEXT) | instid1(VALU_DEP_1)
	v_lshlrev_b64 v[41:42], 3, v[2:3]
	v_add_co_u32 v41, vcc_lo, s46, v41
	s_delay_alu instid0(VALU_DEP_2)
	v_add_co_ci_u32_e32 v42, vcc_lo, s47, v42, vcc_lo
	s_waitcnt lgkmcnt(0)
	global_store_b64 v[41:42], v[39:40], off
	s_or_b32 exec_lo, exec_lo, s16
	s_and_saveexec_b32 s16, s29
	s_cbranch_execnz .LBB1747_1185
.LBB1747_1170:                          ;   in Loop: Header=BB1747_982 Depth=2
	s_or_b32 exec_lo, exec_lo, s16
	s_and_saveexec_b32 s16, s30
	s_cbranch_execz .LBB1747_1186
.LBB1747_1171:                          ;   in Loop: Header=BB1747_982 Depth=2
	v_lshlrev_b32_e32 v2, 2, v130
	ds_load_b32 v2, v2
	ds_load_b64 v[39:40], v36 offset:28672
	s_waitcnt lgkmcnt(1)
	v_add_nc_u32_e32 v2, v2, v61
	s_delay_alu instid0(VALU_DEP_1) | instskip(NEXT) | instid1(VALU_DEP_1)
	v_lshlrev_b64 v[41:42], 3, v[2:3]
	v_add_co_u32 v41, vcc_lo, s46, v41
	s_delay_alu instid0(VALU_DEP_2)
	v_add_co_ci_u32_e32 v42, vcc_lo, s47, v42, vcc_lo
	s_waitcnt lgkmcnt(0)
	global_store_b64 v[41:42], v[39:40], off
	s_or_b32 exec_lo, exec_lo, s16
	s_and_saveexec_b32 s16, s31
	s_cbranch_execnz .LBB1747_1187
	s_branch .LBB1747_1188
.LBB1747_1172:                          ;   in Loop: Header=BB1747_982 Depth=2
	s_or_b32 exec_lo, exec_lo, s33
	v_add_nc_u32_e32 v36, v79, v81
	s_and_saveexec_b32 s33, s16
	s_cbranch_execz .LBB1747_1158
.LBB1747_1173:                          ;   in Loop: Header=BB1747_982 Depth=2
	v_lshlrev_b32_e32 v2, 2, v143
	ds_load_b32 v2, v2
	ds_load_b64 v[39:40], v36 offset:2048
	s_waitcnt lgkmcnt(1)
	v_add_nc_u32_e32 v2, v2, v45
	s_delay_alu instid0(VALU_DEP_1) | instskip(NEXT) | instid1(VALU_DEP_1)
	v_lshlrev_b64 v[41:42], 3, v[2:3]
	v_add_co_u32 v41, vcc_lo, s46, v41
	s_delay_alu instid0(VALU_DEP_2)
	v_add_co_ci_u32_e32 v42, vcc_lo, s47, v42, vcc_lo
	s_waitcnt lgkmcnt(0)
	global_store_b64 v[41:42], v[39:40], off
	s_or_b32 exec_lo, exec_lo, s33
	s_and_saveexec_b32 s16, s17
	s_cbranch_execnz .LBB1747_1159
.LBB1747_1174:                          ;   in Loop: Header=BB1747_982 Depth=2
	s_or_b32 exec_lo, exec_lo, s16
	s_and_saveexec_b32 s16, s18
	s_cbranch_execz .LBB1747_1160
.LBB1747_1175:                          ;   in Loop: Header=BB1747_982 Depth=2
	v_lshlrev_b32_e32 v2, 2, v141
	ds_load_b32 v2, v2
	ds_load_b64 v[39:40], v36 offset:6144
	s_waitcnt lgkmcnt(1)
	v_add_nc_u32_e32 v2, v2, v47
	s_delay_alu instid0(VALU_DEP_1) | instskip(NEXT) | instid1(VALU_DEP_1)
	v_lshlrev_b64 v[41:42], 3, v[2:3]
	v_add_co_u32 v41, vcc_lo, s46, v41
	s_delay_alu instid0(VALU_DEP_2)
	v_add_co_ci_u32_e32 v42, vcc_lo, s47, v42, vcc_lo
	s_waitcnt lgkmcnt(0)
	global_store_b64 v[41:42], v[39:40], off
	s_or_b32 exec_lo, exec_lo, s16
	s_and_saveexec_b32 s16, s19
	s_cbranch_execnz .LBB1747_1161
.LBB1747_1176:                          ;   in Loop: Header=BB1747_982 Depth=2
	s_or_b32 exec_lo, exec_lo, s16
	s_and_saveexec_b32 s16, s20
	s_cbranch_execz .LBB1747_1162
.LBB1747_1177:                          ;   in Loop: Header=BB1747_982 Depth=2
	v_lshlrev_b32_e32 v2, 2, v139
	ds_load_b32 v2, v2
	ds_load_b64 v[39:40], v36 offset:10240
	s_waitcnt lgkmcnt(1)
	v_add_nc_u32_e32 v2, v2, v52
	s_delay_alu instid0(VALU_DEP_1) | instskip(NEXT) | instid1(VALU_DEP_1)
	v_lshlrev_b64 v[41:42], 3, v[2:3]
	v_add_co_u32 v41, vcc_lo, s46, v41
	s_delay_alu instid0(VALU_DEP_2)
	v_add_co_ci_u32_e32 v42, vcc_lo, s47, v42, vcc_lo
	s_waitcnt lgkmcnt(0)
	global_store_b64 v[41:42], v[39:40], off
	s_or_b32 exec_lo, exec_lo, s16
	s_and_saveexec_b32 s16, s21
	s_cbranch_execnz .LBB1747_1163
.LBB1747_1178:                          ;   in Loop: Header=BB1747_982 Depth=2
	s_or_b32 exec_lo, exec_lo, s16
	s_and_saveexec_b32 s16, s22
	s_cbranch_execz .LBB1747_1164
.LBB1747_1179:                          ;   in Loop: Header=BB1747_982 Depth=2
	v_lshlrev_b32_e32 v2, 2, v137
	ds_load_b32 v2, v2
	ds_load_b64 v[39:40], v36 offset:14336
	s_waitcnt lgkmcnt(1)
	v_add_nc_u32_e32 v2, v2, v54
	s_delay_alu instid0(VALU_DEP_1) | instskip(NEXT) | instid1(VALU_DEP_1)
	v_lshlrev_b64 v[41:42], 3, v[2:3]
	v_add_co_u32 v41, vcc_lo, s46, v41
	s_delay_alu instid0(VALU_DEP_2)
	v_add_co_ci_u32_e32 v42, vcc_lo, s47, v42, vcc_lo
	s_waitcnt lgkmcnt(0)
	global_store_b64 v[41:42], v[39:40], off
	s_or_b32 exec_lo, exec_lo, s16
	s_and_saveexec_b32 s16, s23
	s_cbranch_execnz .LBB1747_1165
.LBB1747_1180:                          ;   in Loop: Header=BB1747_982 Depth=2
	s_or_b32 exec_lo, exec_lo, s16
	s_and_saveexec_b32 s16, s24
	s_cbranch_execz .LBB1747_1166
.LBB1747_1181:                          ;   in Loop: Header=BB1747_982 Depth=2
	v_lshlrev_b32_e32 v2, 2, v135
	ds_load_b32 v2, v2
	ds_load_b64 v[39:40], v36 offset:18432
	s_waitcnt lgkmcnt(1)
	v_add_nc_u32_e32 v2, v2, v56
	s_delay_alu instid0(VALU_DEP_1) | instskip(NEXT) | instid1(VALU_DEP_1)
	v_lshlrev_b64 v[41:42], 3, v[2:3]
	v_add_co_u32 v41, vcc_lo, s46, v41
	s_delay_alu instid0(VALU_DEP_2)
	v_add_co_ci_u32_e32 v42, vcc_lo, s47, v42, vcc_lo
	s_waitcnt lgkmcnt(0)
	global_store_b64 v[41:42], v[39:40], off
	s_or_b32 exec_lo, exec_lo, s16
	s_and_saveexec_b32 s16, s25
	s_cbranch_execnz .LBB1747_1167
.LBB1747_1182:                          ;   in Loop: Header=BB1747_982 Depth=2
	s_or_b32 exec_lo, exec_lo, s16
	s_and_saveexec_b32 s16, s27
	s_cbranch_execz .LBB1747_1168
.LBB1747_1183:                          ;   in Loop: Header=BB1747_982 Depth=2
	v_lshlrev_b32_e32 v2, 2, v133
	ds_load_b32 v2, v2
	ds_load_b64 v[39:40], v36 offset:22528
	s_waitcnt lgkmcnt(1)
	v_add_nc_u32_e32 v2, v2, v58
	s_delay_alu instid0(VALU_DEP_1) | instskip(NEXT) | instid1(VALU_DEP_1)
	v_lshlrev_b64 v[41:42], 3, v[2:3]
	v_add_co_u32 v41, vcc_lo, s46, v41
	s_delay_alu instid0(VALU_DEP_2)
	v_add_co_ci_u32_e32 v42, vcc_lo, s47, v42, vcc_lo
	s_waitcnt lgkmcnt(0)
	global_store_b64 v[41:42], v[39:40], off
	s_or_b32 exec_lo, exec_lo, s16
	s_and_saveexec_b32 s16, s28
	s_cbranch_execnz .LBB1747_1169
.LBB1747_1184:                          ;   in Loop: Header=BB1747_982 Depth=2
	s_or_b32 exec_lo, exec_lo, s16
	s_and_saveexec_b32 s16, s29
	s_cbranch_execz .LBB1747_1170
.LBB1747_1185:                          ;   in Loop: Header=BB1747_982 Depth=2
	v_lshlrev_b32_e32 v2, 2, v131
	ds_load_b32 v2, v2
	ds_load_b64 v[39:40], v36 offset:26624
	s_waitcnt lgkmcnt(1)
	v_add_nc_u32_e32 v2, v2, v60
	s_delay_alu instid0(VALU_DEP_1) | instskip(NEXT) | instid1(VALU_DEP_1)
	v_lshlrev_b64 v[41:42], 3, v[2:3]
	v_add_co_u32 v41, vcc_lo, s46, v41
	s_delay_alu instid0(VALU_DEP_2)
	v_add_co_ci_u32_e32 v42, vcc_lo, s47, v42, vcc_lo
	s_waitcnt lgkmcnt(0)
	global_store_b64 v[41:42], v[39:40], off
	s_or_b32 exec_lo, exec_lo, s16
	s_and_saveexec_b32 s16, s30
	s_cbranch_execnz .LBB1747_1171
.LBB1747_1186:                          ;   in Loop: Header=BB1747_982 Depth=2
	s_or_b32 exec_lo, exec_lo, s16
	s_and_saveexec_b32 s16, s31
	s_cbranch_execz .LBB1747_1188
.LBB1747_1187:                          ;   in Loop: Header=BB1747_982 Depth=2
	v_lshlrev_b32_e32 v2, 2, v129
	ds_load_b32 v2, v2
	ds_load_b64 v[36:37], v36 offset:30720
	s_waitcnt lgkmcnt(1)
	v_add_nc_u32_e32 v2, v2, v63
	s_delay_alu instid0(VALU_DEP_1) | instskip(NEXT) | instid1(VALU_DEP_1)
	v_lshlrev_b64 v[39:40], 3, v[2:3]
	v_add_co_u32 v39, vcc_lo, s46, v39
	s_delay_alu instid0(VALU_DEP_2)
	v_add_co_ci_u32_e32 v40, vcc_lo, s47, v40, vcc_lo
	s_waitcnt lgkmcnt(0)
	global_store_b64 v[39:40], v[36:37], off
.LBB1747_1188:                          ;   in Loop: Header=BB1747_982 Depth=2
	s_or_b32 exec_lo, exec_lo, s16
	s_waitcnt_vscnt null, 0x0
	s_barrier
	buffer_gl0_inv
	s_and_saveexec_b32 s16, s2
	s_cbranch_execz .LBB1747_981
; %bb.1189:                             ;   in Loop: Header=BB1747_982 Depth=2
	ds_load_b32 v2, v44
	s_waitcnt lgkmcnt(0)
	v_add_nc_u32_e32 v2, v2, v38
	ds_store_b32 v44, v2
	s_branch .LBB1747_981
.LBB1747_1190:
	s_endpgm
	.section	.rodata,"a",@progbits
	.p2align	6, 0x0
	.amdhsa_kernel _ZN7rocprim17ROCPRIM_400000_NS6detail17trampoline_kernelINS0_14default_configENS1_36segmented_radix_sort_config_selectorI6__halflEEZNS1_25segmented_radix_sort_implIS3_Lb1EPKS5_PS5_PKlPlN2at6native12_GLOBAL__N_18offset_tEEE10hipError_tPvRmT1_PNSt15iterator_traitsISL_E10value_typeET2_T3_PNSM_ISR_E10value_typeET4_jRbjT5_SX_jjP12ihipStream_tbEUlT_E_NS1_11comp_targetILNS1_3genE9ELNS1_11target_archE1100ELNS1_3gpuE3ELNS1_3repE0EEENS1_30default_config_static_selectorELNS0_4arch9wavefront6targetE0EEEvSL_
		.amdhsa_group_segment_fixed_size 33824
		.amdhsa_private_segment_fixed_size 220
		.amdhsa_kernarg_size 352
		.amdhsa_user_sgpr_count 14
		.amdhsa_user_sgpr_dispatch_ptr 0
		.amdhsa_user_sgpr_queue_ptr 0
		.amdhsa_user_sgpr_kernarg_segment_ptr 1
		.amdhsa_user_sgpr_dispatch_id 0
		.amdhsa_user_sgpr_private_segment_size 0
		.amdhsa_wavefront_size32 1
		.amdhsa_uses_dynamic_stack 0
		.amdhsa_enable_private_segment 1
		.amdhsa_system_sgpr_workgroup_id_x 1
		.amdhsa_system_sgpr_workgroup_id_y 1
		.amdhsa_system_sgpr_workgroup_id_z 0
		.amdhsa_system_sgpr_workgroup_info 0
		.amdhsa_system_vgpr_workitem_id 2
		.amdhsa_next_free_vgpr 248
		.amdhsa_next_free_sgpr 60
		.amdhsa_reserve_vcc 1
		.amdhsa_float_round_mode_32 0
		.amdhsa_float_round_mode_16_64 0
		.amdhsa_float_denorm_mode_32 3
		.amdhsa_float_denorm_mode_16_64 3
		.amdhsa_dx10_clamp 1
		.amdhsa_ieee_mode 1
		.amdhsa_fp16_overflow 0
		.amdhsa_workgroup_processor_mode 1
		.amdhsa_memory_ordered 1
		.amdhsa_forward_progress 0
		.amdhsa_shared_vgpr_count 0
		.amdhsa_exception_fp_ieee_invalid_op 0
		.amdhsa_exception_fp_denorm_src 0
		.amdhsa_exception_fp_ieee_div_zero 0
		.amdhsa_exception_fp_ieee_overflow 0
		.amdhsa_exception_fp_ieee_underflow 0
		.amdhsa_exception_fp_ieee_inexact 0
		.amdhsa_exception_int_div_zero 0
	.end_amdhsa_kernel
	.section	.text._ZN7rocprim17ROCPRIM_400000_NS6detail17trampoline_kernelINS0_14default_configENS1_36segmented_radix_sort_config_selectorI6__halflEEZNS1_25segmented_radix_sort_implIS3_Lb1EPKS5_PS5_PKlPlN2at6native12_GLOBAL__N_18offset_tEEE10hipError_tPvRmT1_PNSt15iterator_traitsISL_E10value_typeET2_T3_PNSM_ISR_E10value_typeET4_jRbjT5_SX_jjP12ihipStream_tbEUlT_E_NS1_11comp_targetILNS1_3genE9ELNS1_11target_archE1100ELNS1_3gpuE3ELNS1_3repE0EEENS1_30default_config_static_selectorELNS0_4arch9wavefront6targetE0EEEvSL_,"axG",@progbits,_ZN7rocprim17ROCPRIM_400000_NS6detail17trampoline_kernelINS0_14default_configENS1_36segmented_radix_sort_config_selectorI6__halflEEZNS1_25segmented_radix_sort_implIS3_Lb1EPKS5_PS5_PKlPlN2at6native12_GLOBAL__N_18offset_tEEE10hipError_tPvRmT1_PNSt15iterator_traitsISL_E10value_typeET2_T3_PNSM_ISR_E10value_typeET4_jRbjT5_SX_jjP12ihipStream_tbEUlT_E_NS1_11comp_targetILNS1_3genE9ELNS1_11target_archE1100ELNS1_3gpuE3ELNS1_3repE0EEENS1_30default_config_static_selectorELNS0_4arch9wavefront6targetE0EEEvSL_,comdat
.Lfunc_end1747:
	.size	_ZN7rocprim17ROCPRIM_400000_NS6detail17trampoline_kernelINS0_14default_configENS1_36segmented_radix_sort_config_selectorI6__halflEEZNS1_25segmented_radix_sort_implIS3_Lb1EPKS5_PS5_PKlPlN2at6native12_GLOBAL__N_18offset_tEEE10hipError_tPvRmT1_PNSt15iterator_traitsISL_E10value_typeET2_T3_PNSM_ISR_E10value_typeET4_jRbjT5_SX_jjP12ihipStream_tbEUlT_E_NS1_11comp_targetILNS1_3genE9ELNS1_11target_archE1100ELNS1_3gpuE3ELNS1_3repE0EEENS1_30default_config_static_selectorELNS0_4arch9wavefront6targetE0EEEvSL_, .Lfunc_end1747-_ZN7rocprim17ROCPRIM_400000_NS6detail17trampoline_kernelINS0_14default_configENS1_36segmented_radix_sort_config_selectorI6__halflEEZNS1_25segmented_radix_sort_implIS3_Lb1EPKS5_PS5_PKlPlN2at6native12_GLOBAL__N_18offset_tEEE10hipError_tPvRmT1_PNSt15iterator_traitsISL_E10value_typeET2_T3_PNSM_ISR_E10value_typeET4_jRbjT5_SX_jjP12ihipStream_tbEUlT_E_NS1_11comp_targetILNS1_3genE9ELNS1_11target_archE1100ELNS1_3gpuE3ELNS1_3repE0EEENS1_30default_config_static_selectorELNS0_4arch9wavefront6targetE0EEEvSL_
                                        ; -- End function
	.section	.AMDGPU.csdata,"",@progbits
; Kernel info:
; codeLenInByte = 79556
; NumSgprs: 62
; NumVgprs: 248
; ScratchSize: 220
; MemoryBound: 0
; FloatMode: 240
; IeeeMode: 1
; LDSByteSize: 33824 bytes/workgroup (compile time only)
; SGPRBlocks: 7
; VGPRBlocks: 30
; NumSGPRsForWavesPerEU: 62
; NumVGPRsForWavesPerEU: 248
; Occupancy: 5
; WaveLimiterHint : 1
; COMPUTE_PGM_RSRC2:SCRATCH_EN: 1
; COMPUTE_PGM_RSRC2:USER_SGPR: 14
; COMPUTE_PGM_RSRC2:TRAP_HANDLER: 0
; COMPUTE_PGM_RSRC2:TGID_X_EN: 1
; COMPUTE_PGM_RSRC2:TGID_Y_EN: 1
; COMPUTE_PGM_RSRC2:TGID_Z_EN: 0
; COMPUTE_PGM_RSRC2:TIDIG_COMP_CNT: 2
	.section	.text._ZN7rocprim17ROCPRIM_400000_NS6detail17trampoline_kernelINS0_14default_configENS1_36segmented_radix_sort_config_selectorI6__halflEEZNS1_25segmented_radix_sort_implIS3_Lb1EPKS5_PS5_PKlPlN2at6native12_GLOBAL__N_18offset_tEEE10hipError_tPvRmT1_PNSt15iterator_traitsISL_E10value_typeET2_T3_PNSM_ISR_E10value_typeET4_jRbjT5_SX_jjP12ihipStream_tbEUlT_E_NS1_11comp_targetILNS1_3genE8ELNS1_11target_archE1030ELNS1_3gpuE2ELNS1_3repE0EEENS1_30default_config_static_selectorELNS0_4arch9wavefront6targetE0EEEvSL_,"axG",@progbits,_ZN7rocprim17ROCPRIM_400000_NS6detail17trampoline_kernelINS0_14default_configENS1_36segmented_radix_sort_config_selectorI6__halflEEZNS1_25segmented_radix_sort_implIS3_Lb1EPKS5_PS5_PKlPlN2at6native12_GLOBAL__N_18offset_tEEE10hipError_tPvRmT1_PNSt15iterator_traitsISL_E10value_typeET2_T3_PNSM_ISR_E10value_typeET4_jRbjT5_SX_jjP12ihipStream_tbEUlT_E_NS1_11comp_targetILNS1_3genE8ELNS1_11target_archE1030ELNS1_3gpuE2ELNS1_3repE0EEENS1_30default_config_static_selectorELNS0_4arch9wavefront6targetE0EEEvSL_,comdat
	.globl	_ZN7rocprim17ROCPRIM_400000_NS6detail17trampoline_kernelINS0_14default_configENS1_36segmented_radix_sort_config_selectorI6__halflEEZNS1_25segmented_radix_sort_implIS3_Lb1EPKS5_PS5_PKlPlN2at6native12_GLOBAL__N_18offset_tEEE10hipError_tPvRmT1_PNSt15iterator_traitsISL_E10value_typeET2_T3_PNSM_ISR_E10value_typeET4_jRbjT5_SX_jjP12ihipStream_tbEUlT_E_NS1_11comp_targetILNS1_3genE8ELNS1_11target_archE1030ELNS1_3gpuE2ELNS1_3repE0EEENS1_30default_config_static_selectorELNS0_4arch9wavefront6targetE0EEEvSL_ ; -- Begin function _ZN7rocprim17ROCPRIM_400000_NS6detail17trampoline_kernelINS0_14default_configENS1_36segmented_radix_sort_config_selectorI6__halflEEZNS1_25segmented_radix_sort_implIS3_Lb1EPKS5_PS5_PKlPlN2at6native12_GLOBAL__N_18offset_tEEE10hipError_tPvRmT1_PNSt15iterator_traitsISL_E10value_typeET2_T3_PNSM_ISR_E10value_typeET4_jRbjT5_SX_jjP12ihipStream_tbEUlT_E_NS1_11comp_targetILNS1_3genE8ELNS1_11target_archE1030ELNS1_3gpuE2ELNS1_3repE0EEENS1_30default_config_static_selectorELNS0_4arch9wavefront6targetE0EEEvSL_
	.p2align	8
	.type	_ZN7rocprim17ROCPRIM_400000_NS6detail17trampoline_kernelINS0_14default_configENS1_36segmented_radix_sort_config_selectorI6__halflEEZNS1_25segmented_radix_sort_implIS3_Lb1EPKS5_PS5_PKlPlN2at6native12_GLOBAL__N_18offset_tEEE10hipError_tPvRmT1_PNSt15iterator_traitsISL_E10value_typeET2_T3_PNSM_ISR_E10value_typeET4_jRbjT5_SX_jjP12ihipStream_tbEUlT_E_NS1_11comp_targetILNS1_3genE8ELNS1_11target_archE1030ELNS1_3gpuE2ELNS1_3repE0EEENS1_30default_config_static_selectorELNS0_4arch9wavefront6targetE0EEEvSL_,@function
_ZN7rocprim17ROCPRIM_400000_NS6detail17trampoline_kernelINS0_14default_configENS1_36segmented_radix_sort_config_selectorI6__halflEEZNS1_25segmented_radix_sort_implIS3_Lb1EPKS5_PS5_PKlPlN2at6native12_GLOBAL__N_18offset_tEEE10hipError_tPvRmT1_PNSt15iterator_traitsISL_E10value_typeET2_T3_PNSM_ISR_E10value_typeET4_jRbjT5_SX_jjP12ihipStream_tbEUlT_E_NS1_11comp_targetILNS1_3genE8ELNS1_11target_archE1030ELNS1_3gpuE2ELNS1_3repE0EEENS1_30default_config_static_selectorELNS0_4arch9wavefront6targetE0EEEvSL_: ; @_ZN7rocprim17ROCPRIM_400000_NS6detail17trampoline_kernelINS0_14default_configENS1_36segmented_radix_sort_config_selectorI6__halflEEZNS1_25segmented_radix_sort_implIS3_Lb1EPKS5_PS5_PKlPlN2at6native12_GLOBAL__N_18offset_tEEE10hipError_tPvRmT1_PNSt15iterator_traitsISL_E10value_typeET2_T3_PNSM_ISR_E10value_typeET4_jRbjT5_SX_jjP12ihipStream_tbEUlT_E_NS1_11comp_targetILNS1_3genE8ELNS1_11target_archE1030ELNS1_3gpuE2ELNS1_3repE0EEENS1_30default_config_static_selectorELNS0_4arch9wavefront6targetE0EEEvSL_
; %bb.0:
	.section	.rodata,"a",@progbits
	.p2align	6, 0x0
	.amdhsa_kernel _ZN7rocprim17ROCPRIM_400000_NS6detail17trampoline_kernelINS0_14default_configENS1_36segmented_radix_sort_config_selectorI6__halflEEZNS1_25segmented_radix_sort_implIS3_Lb1EPKS5_PS5_PKlPlN2at6native12_GLOBAL__N_18offset_tEEE10hipError_tPvRmT1_PNSt15iterator_traitsISL_E10value_typeET2_T3_PNSM_ISR_E10value_typeET4_jRbjT5_SX_jjP12ihipStream_tbEUlT_E_NS1_11comp_targetILNS1_3genE8ELNS1_11target_archE1030ELNS1_3gpuE2ELNS1_3repE0EEENS1_30default_config_static_selectorELNS0_4arch9wavefront6targetE0EEEvSL_
		.amdhsa_group_segment_fixed_size 0
		.amdhsa_private_segment_fixed_size 0
		.amdhsa_kernarg_size 96
		.amdhsa_user_sgpr_count 15
		.amdhsa_user_sgpr_dispatch_ptr 0
		.amdhsa_user_sgpr_queue_ptr 0
		.amdhsa_user_sgpr_kernarg_segment_ptr 1
		.amdhsa_user_sgpr_dispatch_id 0
		.amdhsa_user_sgpr_private_segment_size 0
		.amdhsa_wavefront_size32 1
		.amdhsa_uses_dynamic_stack 0
		.amdhsa_enable_private_segment 0
		.amdhsa_system_sgpr_workgroup_id_x 1
		.amdhsa_system_sgpr_workgroup_id_y 0
		.amdhsa_system_sgpr_workgroup_id_z 0
		.amdhsa_system_sgpr_workgroup_info 0
		.amdhsa_system_vgpr_workitem_id 0
		.amdhsa_next_free_vgpr 1
		.amdhsa_next_free_sgpr 1
		.amdhsa_reserve_vcc 0
		.amdhsa_float_round_mode_32 0
		.amdhsa_float_round_mode_16_64 0
		.amdhsa_float_denorm_mode_32 3
		.amdhsa_float_denorm_mode_16_64 3
		.amdhsa_dx10_clamp 1
		.amdhsa_ieee_mode 1
		.amdhsa_fp16_overflow 0
		.amdhsa_workgroup_processor_mode 1
		.amdhsa_memory_ordered 1
		.amdhsa_forward_progress 0
		.amdhsa_shared_vgpr_count 0
		.amdhsa_exception_fp_ieee_invalid_op 0
		.amdhsa_exception_fp_denorm_src 0
		.amdhsa_exception_fp_ieee_div_zero 0
		.amdhsa_exception_fp_ieee_overflow 0
		.amdhsa_exception_fp_ieee_underflow 0
		.amdhsa_exception_fp_ieee_inexact 0
		.amdhsa_exception_int_div_zero 0
	.end_amdhsa_kernel
	.section	.text._ZN7rocprim17ROCPRIM_400000_NS6detail17trampoline_kernelINS0_14default_configENS1_36segmented_radix_sort_config_selectorI6__halflEEZNS1_25segmented_radix_sort_implIS3_Lb1EPKS5_PS5_PKlPlN2at6native12_GLOBAL__N_18offset_tEEE10hipError_tPvRmT1_PNSt15iterator_traitsISL_E10value_typeET2_T3_PNSM_ISR_E10value_typeET4_jRbjT5_SX_jjP12ihipStream_tbEUlT_E_NS1_11comp_targetILNS1_3genE8ELNS1_11target_archE1030ELNS1_3gpuE2ELNS1_3repE0EEENS1_30default_config_static_selectorELNS0_4arch9wavefront6targetE0EEEvSL_,"axG",@progbits,_ZN7rocprim17ROCPRIM_400000_NS6detail17trampoline_kernelINS0_14default_configENS1_36segmented_radix_sort_config_selectorI6__halflEEZNS1_25segmented_radix_sort_implIS3_Lb1EPKS5_PS5_PKlPlN2at6native12_GLOBAL__N_18offset_tEEE10hipError_tPvRmT1_PNSt15iterator_traitsISL_E10value_typeET2_T3_PNSM_ISR_E10value_typeET4_jRbjT5_SX_jjP12ihipStream_tbEUlT_E_NS1_11comp_targetILNS1_3genE8ELNS1_11target_archE1030ELNS1_3gpuE2ELNS1_3repE0EEENS1_30default_config_static_selectorELNS0_4arch9wavefront6targetE0EEEvSL_,comdat
.Lfunc_end1748:
	.size	_ZN7rocprim17ROCPRIM_400000_NS6detail17trampoline_kernelINS0_14default_configENS1_36segmented_radix_sort_config_selectorI6__halflEEZNS1_25segmented_radix_sort_implIS3_Lb1EPKS5_PS5_PKlPlN2at6native12_GLOBAL__N_18offset_tEEE10hipError_tPvRmT1_PNSt15iterator_traitsISL_E10value_typeET2_T3_PNSM_ISR_E10value_typeET4_jRbjT5_SX_jjP12ihipStream_tbEUlT_E_NS1_11comp_targetILNS1_3genE8ELNS1_11target_archE1030ELNS1_3gpuE2ELNS1_3repE0EEENS1_30default_config_static_selectorELNS0_4arch9wavefront6targetE0EEEvSL_, .Lfunc_end1748-_ZN7rocprim17ROCPRIM_400000_NS6detail17trampoline_kernelINS0_14default_configENS1_36segmented_radix_sort_config_selectorI6__halflEEZNS1_25segmented_radix_sort_implIS3_Lb1EPKS5_PS5_PKlPlN2at6native12_GLOBAL__N_18offset_tEEE10hipError_tPvRmT1_PNSt15iterator_traitsISL_E10value_typeET2_T3_PNSM_ISR_E10value_typeET4_jRbjT5_SX_jjP12ihipStream_tbEUlT_E_NS1_11comp_targetILNS1_3genE8ELNS1_11target_archE1030ELNS1_3gpuE2ELNS1_3repE0EEENS1_30default_config_static_selectorELNS0_4arch9wavefront6targetE0EEEvSL_
                                        ; -- End function
	.section	.AMDGPU.csdata,"",@progbits
; Kernel info:
; codeLenInByte = 0
; NumSgprs: 0
; NumVgprs: 0
; ScratchSize: 0
; MemoryBound: 0
; FloatMode: 240
; IeeeMode: 1
; LDSByteSize: 0 bytes/workgroup (compile time only)
; SGPRBlocks: 0
; VGPRBlocks: 0
; NumSGPRsForWavesPerEU: 1
; NumVGPRsForWavesPerEU: 1
; Occupancy: 16
; WaveLimiterHint : 0
; COMPUTE_PGM_RSRC2:SCRATCH_EN: 0
; COMPUTE_PGM_RSRC2:USER_SGPR: 15
; COMPUTE_PGM_RSRC2:TRAP_HANDLER: 0
; COMPUTE_PGM_RSRC2:TGID_X_EN: 1
; COMPUTE_PGM_RSRC2:TGID_Y_EN: 0
; COMPUTE_PGM_RSRC2:TGID_Z_EN: 0
; COMPUTE_PGM_RSRC2:TIDIG_COMP_CNT: 0
	.section	.text._ZN7rocprim17ROCPRIM_400000_NS6detail17trampoline_kernelINS0_14default_configENS1_36segmented_radix_sort_config_selectorI6__halflEEZNS1_25segmented_radix_sort_implIS3_Lb1EPKS5_PS5_PKlPlN2at6native12_GLOBAL__N_18offset_tEEE10hipError_tPvRmT1_PNSt15iterator_traitsISL_E10value_typeET2_T3_PNSM_ISR_E10value_typeET4_jRbjT5_SX_jjP12ihipStream_tbEUlT_E0_NS1_11comp_targetILNS1_3genE0ELNS1_11target_archE4294967295ELNS1_3gpuE0ELNS1_3repE0EEENS1_60segmented_radix_sort_warp_sort_medium_config_static_selectorELNS0_4arch9wavefront6targetE0EEEvSL_,"axG",@progbits,_ZN7rocprim17ROCPRIM_400000_NS6detail17trampoline_kernelINS0_14default_configENS1_36segmented_radix_sort_config_selectorI6__halflEEZNS1_25segmented_radix_sort_implIS3_Lb1EPKS5_PS5_PKlPlN2at6native12_GLOBAL__N_18offset_tEEE10hipError_tPvRmT1_PNSt15iterator_traitsISL_E10value_typeET2_T3_PNSM_ISR_E10value_typeET4_jRbjT5_SX_jjP12ihipStream_tbEUlT_E0_NS1_11comp_targetILNS1_3genE0ELNS1_11target_archE4294967295ELNS1_3gpuE0ELNS1_3repE0EEENS1_60segmented_radix_sort_warp_sort_medium_config_static_selectorELNS0_4arch9wavefront6targetE0EEEvSL_,comdat
	.globl	_ZN7rocprim17ROCPRIM_400000_NS6detail17trampoline_kernelINS0_14default_configENS1_36segmented_radix_sort_config_selectorI6__halflEEZNS1_25segmented_radix_sort_implIS3_Lb1EPKS5_PS5_PKlPlN2at6native12_GLOBAL__N_18offset_tEEE10hipError_tPvRmT1_PNSt15iterator_traitsISL_E10value_typeET2_T3_PNSM_ISR_E10value_typeET4_jRbjT5_SX_jjP12ihipStream_tbEUlT_E0_NS1_11comp_targetILNS1_3genE0ELNS1_11target_archE4294967295ELNS1_3gpuE0ELNS1_3repE0EEENS1_60segmented_radix_sort_warp_sort_medium_config_static_selectorELNS0_4arch9wavefront6targetE0EEEvSL_ ; -- Begin function _ZN7rocprim17ROCPRIM_400000_NS6detail17trampoline_kernelINS0_14default_configENS1_36segmented_radix_sort_config_selectorI6__halflEEZNS1_25segmented_radix_sort_implIS3_Lb1EPKS5_PS5_PKlPlN2at6native12_GLOBAL__N_18offset_tEEE10hipError_tPvRmT1_PNSt15iterator_traitsISL_E10value_typeET2_T3_PNSM_ISR_E10value_typeET4_jRbjT5_SX_jjP12ihipStream_tbEUlT_E0_NS1_11comp_targetILNS1_3genE0ELNS1_11target_archE4294967295ELNS1_3gpuE0ELNS1_3repE0EEENS1_60segmented_radix_sort_warp_sort_medium_config_static_selectorELNS0_4arch9wavefront6targetE0EEEvSL_
	.p2align	8
	.type	_ZN7rocprim17ROCPRIM_400000_NS6detail17trampoline_kernelINS0_14default_configENS1_36segmented_radix_sort_config_selectorI6__halflEEZNS1_25segmented_radix_sort_implIS3_Lb1EPKS5_PS5_PKlPlN2at6native12_GLOBAL__N_18offset_tEEE10hipError_tPvRmT1_PNSt15iterator_traitsISL_E10value_typeET2_T3_PNSM_ISR_E10value_typeET4_jRbjT5_SX_jjP12ihipStream_tbEUlT_E0_NS1_11comp_targetILNS1_3genE0ELNS1_11target_archE4294967295ELNS1_3gpuE0ELNS1_3repE0EEENS1_60segmented_radix_sort_warp_sort_medium_config_static_selectorELNS0_4arch9wavefront6targetE0EEEvSL_,@function
_ZN7rocprim17ROCPRIM_400000_NS6detail17trampoline_kernelINS0_14default_configENS1_36segmented_radix_sort_config_selectorI6__halflEEZNS1_25segmented_radix_sort_implIS3_Lb1EPKS5_PS5_PKlPlN2at6native12_GLOBAL__N_18offset_tEEE10hipError_tPvRmT1_PNSt15iterator_traitsISL_E10value_typeET2_T3_PNSM_ISR_E10value_typeET4_jRbjT5_SX_jjP12ihipStream_tbEUlT_E0_NS1_11comp_targetILNS1_3genE0ELNS1_11target_archE4294967295ELNS1_3gpuE0ELNS1_3repE0EEENS1_60segmented_radix_sort_warp_sort_medium_config_static_selectorELNS0_4arch9wavefront6targetE0EEEvSL_: ; @_ZN7rocprim17ROCPRIM_400000_NS6detail17trampoline_kernelINS0_14default_configENS1_36segmented_radix_sort_config_selectorI6__halflEEZNS1_25segmented_radix_sort_implIS3_Lb1EPKS5_PS5_PKlPlN2at6native12_GLOBAL__N_18offset_tEEE10hipError_tPvRmT1_PNSt15iterator_traitsISL_E10value_typeET2_T3_PNSM_ISR_E10value_typeET4_jRbjT5_SX_jjP12ihipStream_tbEUlT_E0_NS1_11comp_targetILNS1_3genE0ELNS1_11target_archE4294967295ELNS1_3gpuE0ELNS1_3repE0EEENS1_60segmented_radix_sort_warp_sort_medium_config_static_selectorELNS0_4arch9wavefront6targetE0EEEvSL_
; %bb.0:
	.section	.rodata,"a",@progbits
	.p2align	6, 0x0
	.amdhsa_kernel _ZN7rocprim17ROCPRIM_400000_NS6detail17trampoline_kernelINS0_14default_configENS1_36segmented_radix_sort_config_selectorI6__halflEEZNS1_25segmented_radix_sort_implIS3_Lb1EPKS5_PS5_PKlPlN2at6native12_GLOBAL__N_18offset_tEEE10hipError_tPvRmT1_PNSt15iterator_traitsISL_E10value_typeET2_T3_PNSM_ISR_E10value_typeET4_jRbjT5_SX_jjP12ihipStream_tbEUlT_E0_NS1_11comp_targetILNS1_3genE0ELNS1_11target_archE4294967295ELNS1_3gpuE0ELNS1_3repE0EEENS1_60segmented_radix_sort_warp_sort_medium_config_static_selectorELNS0_4arch9wavefront6targetE0EEEvSL_
		.amdhsa_group_segment_fixed_size 0
		.amdhsa_private_segment_fixed_size 0
		.amdhsa_kernarg_size 88
		.amdhsa_user_sgpr_count 15
		.amdhsa_user_sgpr_dispatch_ptr 0
		.amdhsa_user_sgpr_queue_ptr 0
		.amdhsa_user_sgpr_kernarg_segment_ptr 1
		.amdhsa_user_sgpr_dispatch_id 0
		.amdhsa_user_sgpr_private_segment_size 0
		.amdhsa_wavefront_size32 1
		.amdhsa_uses_dynamic_stack 0
		.amdhsa_enable_private_segment 0
		.amdhsa_system_sgpr_workgroup_id_x 1
		.amdhsa_system_sgpr_workgroup_id_y 0
		.amdhsa_system_sgpr_workgroup_id_z 0
		.amdhsa_system_sgpr_workgroup_info 0
		.amdhsa_system_vgpr_workitem_id 0
		.amdhsa_next_free_vgpr 1
		.amdhsa_next_free_sgpr 1
		.amdhsa_reserve_vcc 0
		.amdhsa_float_round_mode_32 0
		.amdhsa_float_round_mode_16_64 0
		.amdhsa_float_denorm_mode_32 3
		.amdhsa_float_denorm_mode_16_64 3
		.amdhsa_dx10_clamp 1
		.amdhsa_ieee_mode 1
		.amdhsa_fp16_overflow 0
		.amdhsa_workgroup_processor_mode 1
		.amdhsa_memory_ordered 1
		.amdhsa_forward_progress 0
		.amdhsa_shared_vgpr_count 0
		.amdhsa_exception_fp_ieee_invalid_op 0
		.amdhsa_exception_fp_denorm_src 0
		.amdhsa_exception_fp_ieee_div_zero 0
		.amdhsa_exception_fp_ieee_overflow 0
		.amdhsa_exception_fp_ieee_underflow 0
		.amdhsa_exception_fp_ieee_inexact 0
		.amdhsa_exception_int_div_zero 0
	.end_amdhsa_kernel
	.section	.text._ZN7rocprim17ROCPRIM_400000_NS6detail17trampoline_kernelINS0_14default_configENS1_36segmented_radix_sort_config_selectorI6__halflEEZNS1_25segmented_radix_sort_implIS3_Lb1EPKS5_PS5_PKlPlN2at6native12_GLOBAL__N_18offset_tEEE10hipError_tPvRmT1_PNSt15iterator_traitsISL_E10value_typeET2_T3_PNSM_ISR_E10value_typeET4_jRbjT5_SX_jjP12ihipStream_tbEUlT_E0_NS1_11comp_targetILNS1_3genE0ELNS1_11target_archE4294967295ELNS1_3gpuE0ELNS1_3repE0EEENS1_60segmented_radix_sort_warp_sort_medium_config_static_selectorELNS0_4arch9wavefront6targetE0EEEvSL_,"axG",@progbits,_ZN7rocprim17ROCPRIM_400000_NS6detail17trampoline_kernelINS0_14default_configENS1_36segmented_radix_sort_config_selectorI6__halflEEZNS1_25segmented_radix_sort_implIS3_Lb1EPKS5_PS5_PKlPlN2at6native12_GLOBAL__N_18offset_tEEE10hipError_tPvRmT1_PNSt15iterator_traitsISL_E10value_typeET2_T3_PNSM_ISR_E10value_typeET4_jRbjT5_SX_jjP12ihipStream_tbEUlT_E0_NS1_11comp_targetILNS1_3genE0ELNS1_11target_archE4294967295ELNS1_3gpuE0ELNS1_3repE0EEENS1_60segmented_radix_sort_warp_sort_medium_config_static_selectorELNS0_4arch9wavefront6targetE0EEEvSL_,comdat
.Lfunc_end1749:
	.size	_ZN7rocprim17ROCPRIM_400000_NS6detail17trampoline_kernelINS0_14default_configENS1_36segmented_radix_sort_config_selectorI6__halflEEZNS1_25segmented_radix_sort_implIS3_Lb1EPKS5_PS5_PKlPlN2at6native12_GLOBAL__N_18offset_tEEE10hipError_tPvRmT1_PNSt15iterator_traitsISL_E10value_typeET2_T3_PNSM_ISR_E10value_typeET4_jRbjT5_SX_jjP12ihipStream_tbEUlT_E0_NS1_11comp_targetILNS1_3genE0ELNS1_11target_archE4294967295ELNS1_3gpuE0ELNS1_3repE0EEENS1_60segmented_radix_sort_warp_sort_medium_config_static_selectorELNS0_4arch9wavefront6targetE0EEEvSL_, .Lfunc_end1749-_ZN7rocprim17ROCPRIM_400000_NS6detail17trampoline_kernelINS0_14default_configENS1_36segmented_radix_sort_config_selectorI6__halflEEZNS1_25segmented_radix_sort_implIS3_Lb1EPKS5_PS5_PKlPlN2at6native12_GLOBAL__N_18offset_tEEE10hipError_tPvRmT1_PNSt15iterator_traitsISL_E10value_typeET2_T3_PNSM_ISR_E10value_typeET4_jRbjT5_SX_jjP12ihipStream_tbEUlT_E0_NS1_11comp_targetILNS1_3genE0ELNS1_11target_archE4294967295ELNS1_3gpuE0ELNS1_3repE0EEENS1_60segmented_radix_sort_warp_sort_medium_config_static_selectorELNS0_4arch9wavefront6targetE0EEEvSL_
                                        ; -- End function
	.section	.AMDGPU.csdata,"",@progbits
; Kernel info:
; codeLenInByte = 0
; NumSgprs: 0
; NumVgprs: 0
; ScratchSize: 0
; MemoryBound: 0
; FloatMode: 240
; IeeeMode: 1
; LDSByteSize: 0 bytes/workgroup (compile time only)
; SGPRBlocks: 0
; VGPRBlocks: 0
; NumSGPRsForWavesPerEU: 1
; NumVGPRsForWavesPerEU: 1
; Occupancy: 16
; WaveLimiterHint : 0
; COMPUTE_PGM_RSRC2:SCRATCH_EN: 0
; COMPUTE_PGM_RSRC2:USER_SGPR: 15
; COMPUTE_PGM_RSRC2:TRAP_HANDLER: 0
; COMPUTE_PGM_RSRC2:TGID_X_EN: 1
; COMPUTE_PGM_RSRC2:TGID_Y_EN: 0
; COMPUTE_PGM_RSRC2:TGID_Z_EN: 0
; COMPUTE_PGM_RSRC2:TIDIG_COMP_CNT: 0
	.section	.text._ZN7rocprim17ROCPRIM_400000_NS6detail17trampoline_kernelINS0_14default_configENS1_36segmented_radix_sort_config_selectorI6__halflEEZNS1_25segmented_radix_sort_implIS3_Lb1EPKS5_PS5_PKlPlN2at6native12_GLOBAL__N_18offset_tEEE10hipError_tPvRmT1_PNSt15iterator_traitsISL_E10value_typeET2_T3_PNSM_ISR_E10value_typeET4_jRbjT5_SX_jjP12ihipStream_tbEUlT_E0_NS1_11comp_targetILNS1_3genE5ELNS1_11target_archE942ELNS1_3gpuE9ELNS1_3repE0EEENS1_60segmented_radix_sort_warp_sort_medium_config_static_selectorELNS0_4arch9wavefront6targetE0EEEvSL_,"axG",@progbits,_ZN7rocprim17ROCPRIM_400000_NS6detail17trampoline_kernelINS0_14default_configENS1_36segmented_radix_sort_config_selectorI6__halflEEZNS1_25segmented_radix_sort_implIS3_Lb1EPKS5_PS5_PKlPlN2at6native12_GLOBAL__N_18offset_tEEE10hipError_tPvRmT1_PNSt15iterator_traitsISL_E10value_typeET2_T3_PNSM_ISR_E10value_typeET4_jRbjT5_SX_jjP12ihipStream_tbEUlT_E0_NS1_11comp_targetILNS1_3genE5ELNS1_11target_archE942ELNS1_3gpuE9ELNS1_3repE0EEENS1_60segmented_radix_sort_warp_sort_medium_config_static_selectorELNS0_4arch9wavefront6targetE0EEEvSL_,comdat
	.globl	_ZN7rocprim17ROCPRIM_400000_NS6detail17trampoline_kernelINS0_14default_configENS1_36segmented_radix_sort_config_selectorI6__halflEEZNS1_25segmented_radix_sort_implIS3_Lb1EPKS5_PS5_PKlPlN2at6native12_GLOBAL__N_18offset_tEEE10hipError_tPvRmT1_PNSt15iterator_traitsISL_E10value_typeET2_T3_PNSM_ISR_E10value_typeET4_jRbjT5_SX_jjP12ihipStream_tbEUlT_E0_NS1_11comp_targetILNS1_3genE5ELNS1_11target_archE942ELNS1_3gpuE9ELNS1_3repE0EEENS1_60segmented_radix_sort_warp_sort_medium_config_static_selectorELNS0_4arch9wavefront6targetE0EEEvSL_ ; -- Begin function _ZN7rocprim17ROCPRIM_400000_NS6detail17trampoline_kernelINS0_14default_configENS1_36segmented_radix_sort_config_selectorI6__halflEEZNS1_25segmented_radix_sort_implIS3_Lb1EPKS5_PS5_PKlPlN2at6native12_GLOBAL__N_18offset_tEEE10hipError_tPvRmT1_PNSt15iterator_traitsISL_E10value_typeET2_T3_PNSM_ISR_E10value_typeET4_jRbjT5_SX_jjP12ihipStream_tbEUlT_E0_NS1_11comp_targetILNS1_3genE5ELNS1_11target_archE942ELNS1_3gpuE9ELNS1_3repE0EEENS1_60segmented_radix_sort_warp_sort_medium_config_static_selectorELNS0_4arch9wavefront6targetE0EEEvSL_
	.p2align	8
	.type	_ZN7rocprim17ROCPRIM_400000_NS6detail17trampoline_kernelINS0_14default_configENS1_36segmented_radix_sort_config_selectorI6__halflEEZNS1_25segmented_radix_sort_implIS3_Lb1EPKS5_PS5_PKlPlN2at6native12_GLOBAL__N_18offset_tEEE10hipError_tPvRmT1_PNSt15iterator_traitsISL_E10value_typeET2_T3_PNSM_ISR_E10value_typeET4_jRbjT5_SX_jjP12ihipStream_tbEUlT_E0_NS1_11comp_targetILNS1_3genE5ELNS1_11target_archE942ELNS1_3gpuE9ELNS1_3repE0EEENS1_60segmented_radix_sort_warp_sort_medium_config_static_selectorELNS0_4arch9wavefront6targetE0EEEvSL_,@function
_ZN7rocprim17ROCPRIM_400000_NS6detail17trampoline_kernelINS0_14default_configENS1_36segmented_radix_sort_config_selectorI6__halflEEZNS1_25segmented_radix_sort_implIS3_Lb1EPKS5_PS5_PKlPlN2at6native12_GLOBAL__N_18offset_tEEE10hipError_tPvRmT1_PNSt15iterator_traitsISL_E10value_typeET2_T3_PNSM_ISR_E10value_typeET4_jRbjT5_SX_jjP12ihipStream_tbEUlT_E0_NS1_11comp_targetILNS1_3genE5ELNS1_11target_archE942ELNS1_3gpuE9ELNS1_3repE0EEENS1_60segmented_radix_sort_warp_sort_medium_config_static_selectorELNS0_4arch9wavefront6targetE0EEEvSL_: ; @_ZN7rocprim17ROCPRIM_400000_NS6detail17trampoline_kernelINS0_14default_configENS1_36segmented_radix_sort_config_selectorI6__halflEEZNS1_25segmented_radix_sort_implIS3_Lb1EPKS5_PS5_PKlPlN2at6native12_GLOBAL__N_18offset_tEEE10hipError_tPvRmT1_PNSt15iterator_traitsISL_E10value_typeET2_T3_PNSM_ISR_E10value_typeET4_jRbjT5_SX_jjP12ihipStream_tbEUlT_E0_NS1_11comp_targetILNS1_3genE5ELNS1_11target_archE942ELNS1_3gpuE9ELNS1_3repE0EEENS1_60segmented_radix_sort_warp_sort_medium_config_static_selectorELNS0_4arch9wavefront6targetE0EEEvSL_
; %bb.0:
	.section	.rodata,"a",@progbits
	.p2align	6, 0x0
	.amdhsa_kernel _ZN7rocprim17ROCPRIM_400000_NS6detail17trampoline_kernelINS0_14default_configENS1_36segmented_radix_sort_config_selectorI6__halflEEZNS1_25segmented_radix_sort_implIS3_Lb1EPKS5_PS5_PKlPlN2at6native12_GLOBAL__N_18offset_tEEE10hipError_tPvRmT1_PNSt15iterator_traitsISL_E10value_typeET2_T3_PNSM_ISR_E10value_typeET4_jRbjT5_SX_jjP12ihipStream_tbEUlT_E0_NS1_11comp_targetILNS1_3genE5ELNS1_11target_archE942ELNS1_3gpuE9ELNS1_3repE0EEENS1_60segmented_radix_sort_warp_sort_medium_config_static_selectorELNS0_4arch9wavefront6targetE0EEEvSL_
		.amdhsa_group_segment_fixed_size 0
		.amdhsa_private_segment_fixed_size 0
		.amdhsa_kernarg_size 88
		.amdhsa_user_sgpr_count 15
		.amdhsa_user_sgpr_dispatch_ptr 0
		.amdhsa_user_sgpr_queue_ptr 0
		.amdhsa_user_sgpr_kernarg_segment_ptr 1
		.amdhsa_user_sgpr_dispatch_id 0
		.amdhsa_user_sgpr_private_segment_size 0
		.amdhsa_wavefront_size32 1
		.amdhsa_uses_dynamic_stack 0
		.amdhsa_enable_private_segment 0
		.amdhsa_system_sgpr_workgroup_id_x 1
		.amdhsa_system_sgpr_workgroup_id_y 0
		.amdhsa_system_sgpr_workgroup_id_z 0
		.amdhsa_system_sgpr_workgroup_info 0
		.amdhsa_system_vgpr_workitem_id 0
		.amdhsa_next_free_vgpr 1
		.amdhsa_next_free_sgpr 1
		.amdhsa_reserve_vcc 0
		.amdhsa_float_round_mode_32 0
		.amdhsa_float_round_mode_16_64 0
		.amdhsa_float_denorm_mode_32 3
		.amdhsa_float_denorm_mode_16_64 3
		.amdhsa_dx10_clamp 1
		.amdhsa_ieee_mode 1
		.amdhsa_fp16_overflow 0
		.amdhsa_workgroup_processor_mode 1
		.amdhsa_memory_ordered 1
		.amdhsa_forward_progress 0
		.amdhsa_shared_vgpr_count 0
		.amdhsa_exception_fp_ieee_invalid_op 0
		.amdhsa_exception_fp_denorm_src 0
		.amdhsa_exception_fp_ieee_div_zero 0
		.amdhsa_exception_fp_ieee_overflow 0
		.amdhsa_exception_fp_ieee_underflow 0
		.amdhsa_exception_fp_ieee_inexact 0
		.amdhsa_exception_int_div_zero 0
	.end_amdhsa_kernel
	.section	.text._ZN7rocprim17ROCPRIM_400000_NS6detail17trampoline_kernelINS0_14default_configENS1_36segmented_radix_sort_config_selectorI6__halflEEZNS1_25segmented_radix_sort_implIS3_Lb1EPKS5_PS5_PKlPlN2at6native12_GLOBAL__N_18offset_tEEE10hipError_tPvRmT1_PNSt15iterator_traitsISL_E10value_typeET2_T3_PNSM_ISR_E10value_typeET4_jRbjT5_SX_jjP12ihipStream_tbEUlT_E0_NS1_11comp_targetILNS1_3genE5ELNS1_11target_archE942ELNS1_3gpuE9ELNS1_3repE0EEENS1_60segmented_radix_sort_warp_sort_medium_config_static_selectorELNS0_4arch9wavefront6targetE0EEEvSL_,"axG",@progbits,_ZN7rocprim17ROCPRIM_400000_NS6detail17trampoline_kernelINS0_14default_configENS1_36segmented_radix_sort_config_selectorI6__halflEEZNS1_25segmented_radix_sort_implIS3_Lb1EPKS5_PS5_PKlPlN2at6native12_GLOBAL__N_18offset_tEEE10hipError_tPvRmT1_PNSt15iterator_traitsISL_E10value_typeET2_T3_PNSM_ISR_E10value_typeET4_jRbjT5_SX_jjP12ihipStream_tbEUlT_E0_NS1_11comp_targetILNS1_3genE5ELNS1_11target_archE942ELNS1_3gpuE9ELNS1_3repE0EEENS1_60segmented_radix_sort_warp_sort_medium_config_static_selectorELNS0_4arch9wavefront6targetE0EEEvSL_,comdat
.Lfunc_end1750:
	.size	_ZN7rocprim17ROCPRIM_400000_NS6detail17trampoline_kernelINS0_14default_configENS1_36segmented_radix_sort_config_selectorI6__halflEEZNS1_25segmented_radix_sort_implIS3_Lb1EPKS5_PS5_PKlPlN2at6native12_GLOBAL__N_18offset_tEEE10hipError_tPvRmT1_PNSt15iterator_traitsISL_E10value_typeET2_T3_PNSM_ISR_E10value_typeET4_jRbjT5_SX_jjP12ihipStream_tbEUlT_E0_NS1_11comp_targetILNS1_3genE5ELNS1_11target_archE942ELNS1_3gpuE9ELNS1_3repE0EEENS1_60segmented_radix_sort_warp_sort_medium_config_static_selectorELNS0_4arch9wavefront6targetE0EEEvSL_, .Lfunc_end1750-_ZN7rocprim17ROCPRIM_400000_NS6detail17trampoline_kernelINS0_14default_configENS1_36segmented_radix_sort_config_selectorI6__halflEEZNS1_25segmented_radix_sort_implIS3_Lb1EPKS5_PS5_PKlPlN2at6native12_GLOBAL__N_18offset_tEEE10hipError_tPvRmT1_PNSt15iterator_traitsISL_E10value_typeET2_T3_PNSM_ISR_E10value_typeET4_jRbjT5_SX_jjP12ihipStream_tbEUlT_E0_NS1_11comp_targetILNS1_3genE5ELNS1_11target_archE942ELNS1_3gpuE9ELNS1_3repE0EEENS1_60segmented_radix_sort_warp_sort_medium_config_static_selectorELNS0_4arch9wavefront6targetE0EEEvSL_
                                        ; -- End function
	.section	.AMDGPU.csdata,"",@progbits
; Kernel info:
; codeLenInByte = 0
; NumSgprs: 0
; NumVgprs: 0
; ScratchSize: 0
; MemoryBound: 0
; FloatMode: 240
; IeeeMode: 1
; LDSByteSize: 0 bytes/workgroup (compile time only)
; SGPRBlocks: 0
; VGPRBlocks: 0
; NumSGPRsForWavesPerEU: 1
; NumVGPRsForWavesPerEU: 1
; Occupancy: 16
; WaveLimiterHint : 0
; COMPUTE_PGM_RSRC2:SCRATCH_EN: 0
; COMPUTE_PGM_RSRC2:USER_SGPR: 15
; COMPUTE_PGM_RSRC2:TRAP_HANDLER: 0
; COMPUTE_PGM_RSRC2:TGID_X_EN: 1
; COMPUTE_PGM_RSRC2:TGID_Y_EN: 0
; COMPUTE_PGM_RSRC2:TGID_Z_EN: 0
; COMPUTE_PGM_RSRC2:TIDIG_COMP_CNT: 0
	.section	.text._ZN7rocprim17ROCPRIM_400000_NS6detail17trampoline_kernelINS0_14default_configENS1_36segmented_radix_sort_config_selectorI6__halflEEZNS1_25segmented_radix_sort_implIS3_Lb1EPKS5_PS5_PKlPlN2at6native12_GLOBAL__N_18offset_tEEE10hipError_tPvRmT1_PNSt15iterator_traitsISL_E10value_typeET2_T3_PNSM_ISR_E10value_typeET4_jRbjT5_SX_jjP12ihipStream_tbEUlT_E0_NS1_11comp_targetILNS1_3genE4ELNS1_11target_archE910ELNS1_3gpuE8ELNS1_3repE0EEENS1_60segmented_radix_sort_warp_sort_medium_config_static_selectorELNS0_4arch9wavefront6targetE0EEEvSL_,"axG",@progbits,_ZN7rocprim17ROCPRIM_400000_NS6detail17trampoline_kernelINS0_14default_configENS1_36segmented_radix_sort_config_selectorI6__halflEEZNS1_25segmented_radix_sort_implIS3_Lb1EPKS5_PS5_PKlPlN2at6native12_GLOBAL__N_18offset_tEEE10hipError_tPvRmT1_PNSt15iterator_traitsISL_E10value_typeET2_T3_PNSM_ISR_E10value_typeET4_jRbjT5_SX_jjP12ihipStream_tbEUlT_E0_NS1_11comp_targetILNS1_3genE4ELNS1_11target_archE910ELNS1_3gpuE8ELNS1_3repE0EEENS1_60segmented_radix_sort_warp_sort_medium_config_static_selectorELNS0_4arch9wavefront6targetE0EEEvSL_,comdat
	.globl	_ZN7rocprim17ROCPRIM_400000_NS6detail17trampoline_kernelINS0_14default_configENS1_36segmented_radix_sort_config_selectorI6__halflEEZNS1_25segmented_radix_sort_implIS3_Lb1EPKS5_PS5_PKlPlN2at6native12_GLOBAL__N_18offset_tEEE10hipError_tPvRmT1_PNSt15iterator_traitsISL_E10value_typeET2_T3_PNSM_ISR_E10value_typeET4_jRbjT5_SX_jjP12ihipStream_tbEUlT_E0_NS1_11comp_targetILNS1_3genE4ELNS1_11target_archE910ELNS1_3gpuE8ELNS1_3repE0EEENS1_60segmented_radix_sort_warp_sort_medium_config_static_selectorELNS0_4arch9wavefront6targetE0EEEvSL_ ; -- Begin function _ZN7rocprim17ROCPRIM_400000_NS6detail17trampoline_kernelINS0_14default_configENS1_36segmented_radix_sort_config_selectorI6__halflEEZNS1_25segmented_radix_sort_implIS3_Lb1EPKS5_PS5_PKlPlN2at6native12_GLOBAL__N_18offset_tEEE10hipError_tPvRmT1_PNSt15iterator_traitsISL_E10value_typeET2_T3_PNSM_ISR_E10value_typeET4_jRbjT5_SX_jjP12ihipStream_tbEUlT_E0_NS1_11comp_targetILNS1_3genE4ELNS1_11target_archE910ELNS1_3gpuE8ELNS1_3repE0EEENS1_60segmented_radix_sort_warp_sort_medium_config_static_selectorELNS0_4arch9wavefront6targetE0EEEvSL_
	.p2align	8
	.type	_ZN7rocprim17ROCPRIM_400000_NS6detail17trampoline_kernelINS0_14default_configENS1_36segmented_radix_sort_config_selectorI6__halflEEZNS1_25segmented_radix_sort_implIS3_Lb1EPKS5_PS5_PKlPlN2at6native12_GLOBAL__N_18offset_tEEE10hipError_tPvRmT1_PNSt15iterator_traitsISL_E10value_typeET2_T3_PNSM_ISR_E10value_typeET4_jRbjT5_SX_jjP12ihipStream_tbEUlT_E0_NS1_11comp_targetILNS1_3genE4ELNS1_11target_archE910ELNS1_3gpuE8ELNS1_3repE0EEENS1_60segmented_radix_sort_warp_sort_medium_config_static_selectorELNS0_4arch9wavefront6targetE0EEEvSL_,@function
_ZN7rocprim17ROCPRIM_400000_NS6detail17trampoline_kernelINS0_14default_configENS1_36segmented_radix_sort_config_selectorI6__halflEEZNS1_25segmented_radix_sort_implIS3_Lb1EPKS5_PS5_PKlPlN2at6native12_GLOBAL__N_18offset_tEEE10hipError_tPvRmT1_PNSt15iterator_traitsISL_E10value_typeET2_T3_PNSM_ISR_E10value_typeET4_jRbjT5_SX_jjP12ihipStream_tbEUlT_E0_NS1_11comp_targetILNS1_3genE4ELNS1_11target_archE910ELNS1_3gpuE8ELNS1_3repE0EEENS1_60segmented_radix_sort_warp_sort_medium_config_static_selectorELNS0_4arch9wavefront6targetE0EEEvSL_: ; @_ZN7rocprim17ROCPRIM_400000_NS6detail17trampoline_kernelINS0_14default_configENS1_36segmented_radix_sort_config_selectorI6__halflEEZNS1_25segmented_radix_sort_implIS3_Lb1EPKS5_PS5_PKlPlN2at6native12_GLOBAL__N_18offset_tEEE10hipError_tPvRmT1_PNSt15iterator_traitsISL_E10value_typeET2_T3_PNSM_ISR_E10value_typeET4_jRbjT5_SX_jjP12ihipStream_tbEUlT_E0_NS1_11comp_targetILNS1_3genE4ELNS1_11target_archE910ELNS1_3gpuE8ELNS1_3repE0EEENS1_60segmented_radix_sort_warp_sort_medium_config_static_selectorELNS0_4arch9wavefront6targetE0EEEvSL_
; %bb.0:
	.section	.rodata,"a",@progbits
	.p2align	6, 0x0
	.amdhsa_kernel _ZN7rocprim17ROCPRIM_400000_NS6detail17trampoline_kernelINS0_14default_configENS1_36segmented_radix_sort_config_selectorI6__halflEEZNS1_25segmented_radix_sort_implIS3_Lb1EPKS5_PS5_PKlPlN2at6native12_GLOBAL__N_18offset_tEEE10hipError_tPvRmT1_PNSt15iterator_traitsISL_E10value_typeET2_T3_PNSM_ISR_E10value_typeET4_jRbjT5_SX_jjP12ihipStream_tbEUlT_E0_NS1_11comp_targetILNS1_3genE4ELNS1_11target_archE910ELNS1_3gpuE8ELNS1_3repE0EEENS1_60segmented_radix_sort_warp_sort_medium_config_static_selectorELNS0_4arch9wavefront6targetE0EEEvSL_
		.amdhsa_group_segment_fixed_size 0
		.amdhsa_private_segment_fixed_size 0
		.amdhsa_kernarg_size 88
		.amdhsa_user_sgpr_count 15
		.amdhsa_user_sgpr_dispatch_ptr 0
		.amdhsa_user_sgpr_queue_ptr 0
		.amdhsa_user_sgpr_kernarg_segment_ptr 1
		.amdhsa_user_sgpr_dispatch_id 0
		.amdhsa_user_sgpr_private_segment_size 0
		.amdhsa_wavefront_size32 1
		.amdhsa_uses_dynamic_stack 0
		.amdhsa_enable_private_segment 0
		.amdhsa_system_sgpr_workgroup_id_x 1
		.amdhsa_system_sgpr_workgroup_id_y 0
		.amdhsa_system_sgpr_workgroup_id_z 0
		.amdhsa_system_sgpr_workgroup_info 0
		.amdhsa_system_vgpr_workitem_id 0
		.amdhsa_next_free_vgpr 1
		.amdhsa_next_free_sgpr 1
		.amdhsa_reserve_vcc 0
		.amdhsa_float_round_mode_32 0
		.amdhsa_float_round_mode_16_64 0
		.amdhsa_float_denorm_mode_32 3
		.amdhsa_float_denorm_mode_16_64 3
		.amdhsa_dx10_clamp 1
		.amdhsa_ieee_mode 1
		.amdhsa_fp16_overflow 0
		.amdhsa_workgroup_processor_mode 1
		.amdhsa_memory_ordered 1
		.amdhsa_forward_progress 0
		.amdhsa_shared_vgpr_count 0
		.amdhsa_exception_fp_ieee_invalid_op 0
		.amdhsa_exception_fp_denorm_src 0
		.amdhsa_exception_fp_ieee_div_zero 0
		.amdhsa_exception_fp_ieee_overflow 0
		.amdhsa_exception_fp_ieee_underflow 0
		.amdhsa_exception_fp_ieee_inexact 0
		.amdhsa_exception_int_div_zero 0
	.end_amdhsa_kernel
	.section	.text._ZN7rocprim17ROCPRIM_400000_NS6detail17trampoline_kernelINS0_14default_configENS1_36segmented_radix_sort_config_selectorI6__halflEEZNS1_25segmented_radix_sort_implIS3_Lb1EPKS5_PS5_PKlPlN2at6native12_GLOBAL__N_18offset_tEEE10hipError_tPvRmT1_PNSt15iterator_traitsISL_E10value_typeET2_T3_PNSM_ISR_E10value_typeET4_jRbjT5_SX_jjP12ihipStream_tbEUlT_E0_NS1_11comp_targetILNS1_3genE4ELNS1_11target_archE910ELNS1_3gpuE8ELNS1_3repE0EEENS1_60segmented_radix_sort_warp_sort_medium_config_static_selectorELNS0_4arch9wavefront6targetE0EEEvSL_,"axG",@progbits,_ZN7rocprim17ROCPRIM_400000_NS6detail17trampoline_kernelINS0_14default_configENS1_36segmented_radix_sort_config_selectorI6__halflEEZNS1_25segmented_radix_sort_implIS3_Lb1EPKS5_PS5_PKlPlN2at6native12_GLOBAL__N_18offset_tEEE10hipError_tPvRmT1_PNSt15iterator_traitsISL_E10value_typeET2_T3_PNSM_ISR_E10value_typeET4_jRbjT5_SX_jjP12ihipStream_tbEUlT_E0_NS1_11comp_targetILNS1_3genE4ELNS1_11target_archE910ELNS1_3gpuE8ELNS1_3repE0EEENS1_60segmented_radix_sort_warp_sort_medium_config_static_selectorELNS0_4arch9wavefront6targetE0EEEvSL_,comdat
.Lfunc_end1751:
	.size	_ZN7rocprim17ROCPRIM_400000_NS6detail17trampoline_kernelINS0_14default_configENS1_36segmented_radix_sort_config_selectorI6__halflEEZNS1_25segmented_radix_sort_implIS3_Lb1EPKS5_PS5_PKlPlN2at6native12_GLOBAL__N_18offset_tEEE10hipError_tPvRmT1_PNSt15iterator_traitsISL_E10value_typeET2_T3_PNSM_ISR_E10value_typeET4_jRbjT5_SX_jjP12ihipStream_tbEUlT_E0_NS1_11comp_targetILNS1_3genE4ELNS1_11target_archE910ELNS1_3gpuE8ELNS1_3repE0EEENS1_60segmented_radix_sort_warp_sort_medium_config_static_selectorELNS0_4arch9wavefront6targetE0EEEvSL_, .Lfunc_end1751-_ZN7rocprim17ROCPRIM_400000_NS6detail17trampoline_kernelINS0_14default_configENS1_36segmented_radix_sort_config_selectorI6__halflEEZNS1_25segmented_radix_sort_implIS3_Lb1EPKS5_PS5_PKlPlN2at6native12_GLOBAL__N_18offset_tEEE10hipError_tPvRmT1_PNSt15iterator_traitsISL_E10value_typeET2_T3_PNSM_ISR_E10value_typeET4_jRbjT5_SX_jjP12ihipStream_tbEUlT_E0_NS1_11comp_targetILNS1_3genE4ELNS1_11target_archE910ELNS1_3gpuE8ELNS1_3repE0EEENS1_60segmented_radix_sort_warp_sort_medium_config_static_selectorELNS0_4arch9wavefront6targetE0EEEvSL_
                                        ; -- End function
	.section	.AMDGPU.csdata,"",@progbits
; Kernel info:
; codeLenInByte = 0
; NumSgprs: 0
; NumVgprs: 0
; ScratchSize: 0
; MemoryBound: 0
; FloatMode: 240
; IeeeMode: 1
; LDSByteSize: 0 bytes/workgroup (compile time only)
; SGPRBlocks: 0
; VGPRBlocks: 0
; NumSGPRsForWavesPerEU: 1
; NumVGPRsForWavesPerEU: 1
; Occupancy: 16
; WaveLimiterHint : 0
; COMPUTE_PGM_RSRC2:SCRATCH_EN: 0
; COMPUTE_PGM_RSRC2:USER_SGPR: 15
; COMPUTE_PGM_RSRC2:TRAP_HANDLER: 0
; COMPUTE_PGM_RSRC2:TGID_X_EN: 1
; COMPUTE_PGM_RSRC2:TGID_Y_EN: 0
; COMPUTE_PGM_RSRC2:TGID_Z_EN: 0
; COMPUTE_PGM_RSRC2:TIDIG_COMP_CNT: 0
	.section	.text._ZN7rocprim17ROCPRIM_400000_NS6detail17trampoline_kernelINS0_14default_configENS1_36segmented_radix_sort_config_selectorI6__halflEEZNS1_25segmented_radix_sort_implIS3_Lb1EPKS5_PS5_PKlPlN2at6native12_GLOBAL__N_18offset_tEEE10hipError_tPvRmT1_PNSt15iterator_traitsISL_E10value_typeET2_T3_PNSM_ISR_E10value_typeET4_jRbjT5_SX_jjP12ihipStream_tbEUlT_E0_NS1_11comp_targetILNS1_3genE3ELNS1_11target_archE908ELNS1_3gpuE7ELNS1_3repE0EEENS1_60segmented_radix_sort_warp_sort_medium_config_static_selectorELNS0_4arch9wavefront6targetE0EEEvSL_,"axG",@progbits,_ZN7rocprim17ROCPRIM_400000_NS6detail17trampoline_kernelINS0_14default_configENS1_36segmented_radix_sort_config_selectorI6__halflEEZNS1_25segmented_radix_sort_implIS3_Lb1EPKS5_PS5_PKlPlN2at6native12_GLOBAL__N_18offset_tEEE10hipError_tPvRmT1_PNSt15iterator_traitsISL_E10value_typeET2_T3_PNSM_ISR_E10value_typeET4_jRbjT5_SX_jjP12ihipStream_tbEUlT_E0_NS1_11comp_targetILNS1_3genE3ELNS1_11target_archE908ELNS1_3gpuE7ELNS1_3repE0EEENS1_60segmented_radix_sort_warp_sort_medium_config_static_selectorELNS0_4arch9wavefront6targetE0EEEvSL_,comdat
	.globl	_ZN7rocprim17ROCPRIM_400000_NS6detail17trampoline_kernelINS0_14default_configENS1_36segmented_radix_sort_config_selectorI6__halflEEZNS1_25segmented_radix_sort_implIS3_Lb1EPKS5_PS5_PKlPlN2at6native12_GLOBAL__N_18offset_tEEE10hipError_tPvRmT1_PNSt15iterator_traitsISL_E10value_typeET2_T3_PNSM_ISR_E10value_typeET4_jRbjT5_SX_jjP12ihipStream_tbEUlT_E0_NS1_11comp_targetILNS1_3genE3ELNS1_11target_archE908ELNS1_3gpuE7ELNS1_3repE0EEENS1_60segmented_radix_sort_warp_sort_medium_config_static_selectorELNS0_4arch9wavefront6targetE0EEEvSL_ ; -- Begin function _ZN7rocprim17ROCPRIM_400000_NS6detail17trampoline_kernelINS0_14default_configENS1_36segmented_radix_sort_config_selectorI6__halflEEZNS1_25segmented_radix_sort_implIS3_Lb1EPKS5_PS5_PKlPlN2at6native12_GLOBAL__N_18offset_tEEE10hipError_tPvRmT1_PNSt15iterator_traitsISL_E10value_typeET2_T3_PNSM_ISR_E10value_typeET4_jRbjT5_SX_jjP12ihipStream_tbEUlT_E0_NS1_11comp_targetILNS1_3genE3ELNS1_11target_archE908ELNS1_3gpuE7ELNS1_3repE0EEENS1_60segmented_radix_sort_warp_sort_medium_config_static_selectorELNS0_4arch9wavefront6targetE0EEEvSL_
	.p2align	8
	.type	_ZN7rocprim17ROCPRIM_400000_NS6detail17trampoline_kernelINS0_14default_configENS1_36segmented_radix_sort_config_selectorI6__halflEEZNS1_25segmented_radix_sort_implIS3_Lb1EPKS5_PS5_PKlPlN2at6native12_GLOBAL__N_18offset_tEEE10hipError_tPvRmT1_PNSt15iterator_traitsISL_E10value_typeET2_T3_PNSM_ISR_E10value_typeET4_jRbjT5_SX_jjP12ihipStream_tbEUlT_E0_NS1_11comp_targetILNS1_3genE3ELNS1_11target_archE908ELNS1_3gpuE7ELNS1_3repE0EEENS1_60segmented_radix_sort_warp_sort_medium_config_static_selectorELNS0_4arch9wavefront6targetE0EEEvSL_,@function
_ZN7rocprim17ROCPRIM_400000_NS6detail17trampoline_kernelINS0_14default_configENS1_36segmented_radix_sort_config_selectorI6__halflEEZNS1_25segmented_radix_sort_implIS3_Lb1EPKS5_PS5_PKlPlN2at6native12_GLOBAL__N_18offset_tEEE10hipError_tPvRmT1_PNSt15iterator_traitsISL_E10value_typeET2_T3_PNSM_ISR_E10value_typeET4_jRbjT5_SX_jjP12ihipStream_tbEUlT_E0_NS1_11comp_targetILNS1_3genE3ELNS1_11target_archE908ELNS1_3gpuE7ELNS1_3repE0EEENS1_60segmented_radix_sort_warp_sort_medium_config_static_selectorELNS0_4arch9wavefront6targetE0EEEvSL_: ; @_ZN7rocprim17ROCPRIM_400000_NS6detail17trampoline_kernelINS0_14default_configENS1_36segmented_radix_sort_config_selectorI6__halflEEZNS1_25segmented_radix_sort_implIS3_Lb1EPKS5_PS5_PKlPlN2at6native12_GLOBAL__N_18offset_tEEE10hipError_tPvRmT1_PNSt15iterator_traitsISL_E10value_typeET2_T3_PNSM_ISR_E10value_typeET4_jRbjT5_SX_jjP12ihipStream_tbEUlT_E0_NS1_11comp_targetILNS1_3genE3ELNS1_11target_archE908ELNS1_3gpuE7ELNS1_3repE0EEENS1_60segmented_radix_sort_warp_sort_medium_config_static_selectorELNS0_4arch9wavefront6targetE0EEEvSL_
; %bb.0:
	.section	.rodata,"a",@progbits
	.p2align	6, 0x0
	.amdhsa_kernel _ZN7rocprim17ROCPRIM_400000_NS6detail17trampoline_kernelINS0_14default_configENS1_36segmented_radix_sort_config_selectorI6__halflEEZNS1_25segmented_radix_sort_implIS3_Lb1EPKS5_PS5_PKlPlN2at6native12_GLOBAL__N_18offset_tEEE10hipError_tPvRmT1_PNSt15iterator_traitsISL_E10value_typeET2_T3_PNSM_ISR_E10value_typeET4_jRbjT5_SX_jjP12ihipStream_tbEUlT_E0_NS1_11comp_targetILNS1_3genE3ELNS1_11target_archE908ELNS1_3gpuE7ELNS1_3repE0EEENS1_60segmented_radix_sort_warp_sort_medium_config_static_selectorELNS0_4arch9wavefront6targetE0EEEvSL_
		.amdhsa_group_segment_fixed_size 0
		.amdhsa_private_segment_fixed_size 0
		.amdhsa_kernarg_size 88
		.amdhsa_user_sgpr_count 15
		.amdhsa_user_sgpr_dispatch_ptr 0
		.amdhsa_user_sgpr_queue_ptr 0
		.amdhsa_user_sgpr_kernarg_segment_ptr 1
		.amdhsa_user_sgpr_dispatch_id 0
		.amdhsa_user_sgpr_private_segment_size 0
		.amdhsa_wavefront_size32 1
		.amdhsa_uses_dynamic_stack 0
		.amdhsa_enable_private_segment 0
		.amdhsa_system_sgpr_workgroup_id_x 1
		.amdhsa_system_sgpr_workgroup_id_y 0
		.amdhsa_system_sgpr_workgroup_id_z 0
		.amdhsa_system_sgpr_workgroup_info 0
		.amdhsa_system_vgpr_workitem_id 0
		.amdhsa_next_free_vgpr 1
		.amdhsa_next_free_sgpr 1
		.amdhsa_reserve_vcc 0
		.amdhsa_float_round_mode_32 0
		.amdhsa_float_round_mode_16_64 0
		.amdhsa_float_denorm_mode_32 3
		.amdhsa_float_denorm_mode_16_64 3
		.amdhsa_dx10_clamp 1
		.amdhsa_ieee_mode 1
		.amdhsa_fp16_overflow 0
		.amdhsa_workgroup_processor_mode 1
		.amdhsa_memory_ordered 1
		.amdhsa_forward_progress 0
		.amdhsa_shared_vgpr_count 0
		.amdhsa_exception_fp_ieee_invalid_op 0
		.amdhsa_exception_fp_denorm_src 0
		.amdhsa_exception_fp_ieee_div_zero 0
		.amdhsa_exception_fp_ieee_overflow 0
		.amdhsa_exception_fp_ieee_underflow 0
		.amdhsa_exception_fp_ieee_inexact 0
		.amdhsa_exception_int_div_zero 0
	.end_amdhsa_kernel
	.section	.text._ZN7rocprim17ROCPRIM_400000_NS6detail17trampoline_kernelINS0_14default_configENS1_36segmented_radix_sort_config_selectorI6__halflEEZNS1_25segmented_radix_sort_implIS3_Lb1EPKS5_PS5_PKlPlN2at6native12_GLOBAL__N_18offset_tEEE10hipError_tPvRmT1_PNSt15iterator_traitsISL_E10value_typeET2_T3_PNSM_ISR_E10value_typeET4_jRbjT5_SX_jjP12ihipStream_tbEUlT_E0_NS1_11comp_targetILNS1_3genE3ELNS1_11target_archE908ELNS1_3gpuE7ELNS1_3repE0EEENS1_60segmented_radix_sort_warp_sort_medium_config_static_selectorELNS0_4arch9wavefront6targetE0EEEvSL_,"axG",@progbits,_ZN7rocprim17ROCPRIM_400000_NS6detail17trampoline_kernelINS0_14default_configENS1_36segmented_radix_sort_config_selectorI6__halflEEZNS1_25segmented_radix_sort_implIS3_Lb1EPKS5_PS5_PKlPlN2at6native12_GLOBAL__N_18offset_tEEE10hipError_tPvRmT1_PNSt15iterator_traitsISL_E10value_typeET2_T3_PNSM_ISR_E10value_typeET4_jRbjT5_SX_jjP12ihipStream_tbEUlT_E0_NS1_11comp_targetILNS1_3genE3ELNS1_11target_archE908ELNS1_3gpuE7ELNS1_3repE0EEENS1_60segmented_radix_sort_warp_sort_medium_config_static_selectorELNS0_4arch9wavefront6targetE0EEEvSL_,comdat
.Lfunc_end1752:
	.size	_ZN7rocprim17ROCPRIM_400000_NS6detail17trampoline_kernelINS0_14default_configENS1_36segmented_radix_sort_config_selectorI6__halflEEZNS1_25segmented_radix_sort_implIS3_Lb1EPKS5_PS5_PKlPlN2at6native12_GLOBAL__N_18offset_tEEE10hipError_tPvRmT1_PNSt15iterator_traitsISL_E10value_typeET2_T3_PNSM_ISR_E10value_typeET4_jRbjT5_SX_jjP12ihipStream_tbEUlT_E0_NS1_11comp_targetILNS1_3genE3ELNS1_11target_archE908ELNS1_3gpuE7ELNS1_3repE0EEENS1_60segmented_radix_sort_warp_sort_medium_config_static_selectorELNS0_4arch9wavefront6targetE0EEEvSL_, .Lfunc_end1752-_ZN7rocprim17ROCPRIM_400000_NS6detail17trampoline_kernelINS0_14default_configENS1_36segmented_radix_sort_config_selectorI6__halflEEZNS1_25segmented_radix_sort_implIS3_Lb1EPKS5_PS5_PKlPlN2at6native12_GLOBAL__N_18offset_tEEE10hipError_tPvRmT1_PNSt15iterator_traitsISL_E10value_typeET2_T3_PNSM_ISR_E10value_typeET4_jRbjT5_SX_jjP12ihipStream_tbEUlT_E0_NS1_11comp_targetILNS1_3genE3ELNS1_11target_archE908ELNS1_3gpuE7ELNS1_3repE0EEENS1_60segmented_radix_sort_warp_sort_medium_config_static_selectorELNS0_4arch9wavefront6targetE0EEEvSL_
                                        ; -- End function
	.section	.AMDGPU.csdata,"",@progbits
; Kernel info:
; codeLenInByte = 0
; NumSgprs: 0
; NumVgprs: 0
; ScratchSize: 0
; MemoryBound: 0
; FloatMode: 240
; IeeeMode: 1
; LDSByteSize: 0 bytes/workgroup (compile time only)
; SGPRBlocks: 0
; VGPRBlocks: 0
; NumSGPRsForWavesPerEU: 1
; NumVGPRsForWavesPerEU: 1
; Occupancy: 16
; WaveLimiterHint : 0
; COMPUTE_PGM_RSRC2:SCRATCH_EN: 0
; COMPUTE_PGM_RSRC2:USER_SGPR: 15
; COMPUTE_PGM_RSRC2:TRAP_HANDLER: 0
; COMPUTE_PGM_RSRC2:TGID_X_EN: 1
; COMPUTE_PGM_RSRC2:TGID_Y_EN: 0
; COMPUTE_PGM_RSRC2:TGID_Z_EN: 0
; COMPUTE_PGM_RSRC2:TIDIG_COMP_CNT: 0
	.section	.text._ZN7rocprim17ROCPRIM_400000_NS6detail17trampoline_kernelINS0_14default_configENS1_36segmented_radix_sort_config_selectorI6__halflEEZNS1_25segmented_radix_sort_implIS3_Lb1EPKS5_PS5_PKlPlN2at6native12_GLOBAL__N_18offset_tEEE10hipError_tPvRmT1_PNSt15iterator_traitsISL_E10value_typeET2_T3_PNSM_ISR_E10value_typeET4_jRbjT5_SX_jjP12ihipStream_tbEUlT_E0_NS1_11comp_targetILNS1_3genE2ELNS1_11target_archE906ELNS1_3gpuE6ELNS1_3repE0EEENS1_60segmented_radix_sort_warp_sort_medium_config_static_selectorELNS0_4arch9wavefront6targetE0EEEvSL_,"axG",@progbits,_ZN7rocprim17ROCPRIM_400000_NS6detail17trampoline_kernelINS0_14default_configENS1_36segmented_radix_sort_config_selectorI6__halflEEZNS1_25segmented_radix_sort_implIS3_Lb1EPKS5_PS5_PKlPlN2at6native12_GLOBAL__N_18offset_tEEE10hipError_tPvRmT1_PNSt15iterator_traitsISL_E10value_typeET2_T3_PNSM_ISR_E10value_typeET4_jRbjT5_SX_jjP12ihipStream_tbEUlT_E0_NS1_11comp_targetILNS1_3genE2ELNS1_11target_archE906ELNS1_3gpuE6ELNS1_3repE0EEENS1_60segmented_radix_sort_warp_sort_medium_config_static_selectorELNS0_4arch9wavefront6targetE0EEEvSL_,comdat
	.globl	_ZN7rocprim17ROCPRIM_400000_NS6detail17trampoline_kernelINS0_14default_configENS1_36segmented_radix_sort_config_selectorI6__halflEEZNS1_25segmented_radix_sort_implIS3_Lb1EPKS5_PS5_PKlPlN2at6native12_GLOBAL__N_18offset_tEEE10hipError_tPvRmT1_PNSt15iterator_traitsISL_E10value_typeET2_T3_PNSM_ISR_E10value_typeET4_jRbjT5_SX_jjP12ihipStream_tbEUlT_E0_NS1_11comp_targetILNS1_3genE2ELNS1_11target_archE906ELNS1_3gpuE6ELNS1_3repE0EEENS1_60segmented_radix_sort_warp_sort_medium_config_static_selectorELNS0_4arch9wavefront6targetE0EEEvSL_ ; -- Begin function _ZN7rocprim17ROCPRIM_400000_NS6detail17trampoline_kernelINS0_14default_configENS1_36segmented_radix_sort_config_selectorI6__halflEEZNS1_25segmented_radix_sort_implIS3_Lb1EPKS5_PS5_PKlPlN2at6native12_GLOBAL__N_18offset_tEEE10hipError_tPvRmT1_PNSt15iterator_traitsISL_E10value_typeET2_T3_PNSM_ISR_E10value_typeET4_jRbjT5_SX_jjP12ihipStream_tbEUlT_E0_NS1_11comp_targetILNS1_3genE2ELNS1_11target_archE906ELNS1_3gpuE6ELNS1_3repE0EEENS1_60segmented_radix_sort_warp_sort_medium_config_static_selectorELNS0_4arch9wavefront6targetE0EEEvSL_
	.p2align	8
	.type	_ZN7rocprim17ROCPRIM_400000_NS6detail17trampoline_kernelINS0_14default_configENS1_36segmented_radix_sort_config_selectorI6__halflEEZNS1_25segmented_radix_sort_implIS3_Lb1EPKS5_PS5_PKlPlN2at6native12_GLOBAL__N_18offset_tEEE10hipError_tPvRmT1_PNSt15iterator_traitsISL_E10value_typeET2_T3_PNSM_ISR_E10value_typeET4_jRbjT5_SX_jjP12ihipStream_tbEUlT_E0_NS1_11comp_targetILNS1_3genE2ELNS1_11target_archE906ELNS1_3gpuE6ELNS1_3repE0EEENS1_60segmented_radix_sort_warp_sort_medium_config_static_selectorELNS0_4arch9wavefront6targetE0EEEvSL_,@function
_ZN7rocprim17ROCPRIM_400000_NS6detail17trampoline_kernelINS0_14default_configENS1_36segmented_radix_sort_config_selectorI6__halflEEZNS1_25segmented_radix_sort_implIS3_Lb1EPKS5_PS5_PKlPlN2at6native12_GLOBAL__N_18offset_tEEE10hipError_tPvRmT1_PNSt15iterator_traitsISL_E10value_typeET2_T3_PNSM_ISR_E10value_typeET4_jRbjT5_SX_jjP12ihipStream_tbEUlT_E0_NS1_11comp_targetILNS1_3genE2ELNS1_11target_archE906ELNS1_3gpuE6ELNS1_3repE0EEENS1_60segmented_radix_sort_warp_sort_medium_config_static_selectorELNS0_4arch9wavefront6targetE0EEEvSL_: ; @_ZN7rocprim17ROCPRIM_400000_NS6detail17trampoline_kernelINS0_14default_configENS1_36segmented_radix_sort_config_selectorI6__halflEEZNS1_25segmented_radix_sort_implIS3_Lb1EPKS5_PS5_PKlPlN2at6native12_GLOBAL__N_18offset_tEEE10hipError_tPvRmT1_PNSt15iterator_traitsISL_E10value_typeET2_T3_PNSM_ISR_E10value_typeET4_jRbjT5_SX_jjP12ihipStream_tbEUlT_E0_NS1_11comp_targetILNS1_3genE2ELNS1_11target_archE906ELNS1_3gpuE6ELNS1_3repE0EEENS1_60segmented_radix_sort_warp_sort_medium_config_static_selectorELNS0_4arch9wavefront6targetE0EEEvSL_
; %bb.0:
	.section	.rodata,"a",@progbits
	.p2align	6, 0x0
	.amdhsa_kernel _ZN7rocprim17ROCPRIM_400000_NS6detail17trampoline_kernelINS0_14default_configENS1_36segmented_radix_sort_config_selectorI6__halflEEZNS1_25segmented_radix_sort_implIS3_Lb1EPKS5_PS5_PKlPlN2at6native12_GLOBAL__N_18offset_tEEE10hipError_tPvRmT1_PNSt15iterator_traitsISL_E10value_typeET2_T3_PNSM_ISR_E10value_typeET4_jRbjT5_SX_jjP12ihipStream_tbEUlT_E0_NS1_11comp_targetILNS1_3genE2ELNS1_11target_archE906ELNS1_3gpuE6ELNS1_3repE0EEENS1_60segmented_radix_sort_warp_sort_medium_config_static_selectorELNS0_4arch9wavefront6targetE0EEEvSL_
		.amdhsa_group_segment_fixed_size 0
		.amdhsa_private_segment_fixed_size 0
		.amdhsa_kernarg_size 88
		.amdhsa_user_sgpr_count 15
		.amdhsa_user_sgpr_dispatch_ptr 0
		.amdhsa_user_sgpr_queue_ptr 0
		.amdhsa_user_sgpr_kernarg_segment_ptr 1
		.amdhsa_user_sgpr_dispatch_id 0
		.amdhsa_user_sgpr_private_segment_size 0
		.amdhsa_wavefront_size32 1
		.amdhsa_uses_dynamic_stack 0
		.amdhsa_enable_private_segment 0
		.amdhsa_system_sgpr_workgroup_id_x 1
		.amdhsa_system_sgpr_workgroup_id_y 0
		.amdhsa_system_sgpr_workgroup_id_z 0
		.amdhsa_system_sgpr_workgroup_info 0
		.amdhsa_system_vgpr_workitem_id 0
		.amdhsa_next_free_vgpr 1
		.amdhsa_next_free_sgpr 1
		.amdhsa_reserve_vcc 0
		.amdhsa_float_round_mode_32 0
		.amdhsa_float_round_mode_16_64 0
		.amdhsa_float_denorm_mode_32 3
		.amdhsa_float_denorm_mode_16_64 3
		.amdhsa_dx10_clamp 1
		.amdhsa_ieee_mode 1
		.amdhsa_fp16_overflow 0
		.amdhsa_workgroup_processor_mode 1
		.amdhsa_memory_ordered 1
		.amdhsa_forward_progress 0
		.amdhsa_shared_vgpr_count 0
		.amdhsa_exception_fp_ieee_invalid_op 0
		.amdhsa_exception_fp_denorm_src 0
		.amdhsa_exception_fp_ieee_div_zero 0
		.amdhsa_exception_fp_ieee_overflow 0
		.amdhsa_exception_fp_ieee_underflow 0
		.amdhsa_exception_fp_ieee_inexact 0
		.amdhsa_exception_int_div_zero 0
	.end_amdhsa_kernel
	.section	.text._ZN7rocprim17ROCPRIM_400000_NS6detail17trampoline_kernelINS0_14default_configENS1_36segmented_radix_sort_config_selectorI6__halflEEZNS1_25segmented_radix_sort_implIS3_Lb1EPKS5_PS5_PKlPlN2at6native12_GLOBAL__N_18offset_tEEE10hipError_tPvRmT1_PNSt15iterator_traitsISL_E10value_typeET2_T3_PNSM_ISR_E10value_typeET4_jRbjT5_SX_jjP12ihipStream_tbEUlT_E0_NS1_11comp_targetILNS1_3genE2ELNS1_11target_archE906ELNS1_3gpuE6ELNS1_3repE0EEENS1_60segmented_radix_sort_warp_sort_medium_config_static_selectorELNS0_4arch9wavefront6targetE0EEEvSL_,"axG",@progbits,_ZN7rocprim17ROCPRIM_400000_NS6detail17trampoline_kernelINS0_14default_configENS1_36segmented_radix_sort_config_selectorI6__halflEEZNS1_25segmented_radix_sort_implIS3_Lb1EPKS5_PS5_PKlPlN2at6native12_GLOBAL__N_18offset_tEEE10hipError_tPvRmT1_PNSt15iterator_traitsISL_E10value_typeET2_T3_PNSM_ISR_E10value_typeET4_jRbjT5_SX_jjP12ihipStream_tbEUlT_E0_NS1_11comp_targetILNS1_3genE2ELNS1_11target_archE906ELNS1_3gpuE6ELNS1_3repE0EEENS1_60segmented_radix_sort_warp_sort_medium_config_static_selectorELNS0_4arch9wavefront6targetE0EEEvSL_,comdat
.Lfunc_end1753:
	.size	_ZN7rocprim17ROCPRIM_400000_NS6detail17trampoline_kernelINS0_14default_configENS1_36segmented_radix_sort_config_selectorI6__halflEEZNS1_25segmented_radix_sort_implIS3_Lb1EPKS5_PS5_PKlPlN2at6native12_GLOBAL__N_18offset_tEEE10hipError_tPvRmT1_PNSt15iterator_traitsISL_E10value_typeET2_T3_PNSM_ISR_E10value_typeET4_jRbjT5_SX_jjP12ihipStream_tbEUlT_E0_NS1_11comp_targetILNS1_3genE2ELNS1_11target_archE906ELNS1_3gpuE6ELNS1_3repE0EEENS1_60segmented_radix_sort_warp_sort_medium_config_static_selectorELNS0_4arch9wavefront6targetE0EEEvSL_, .Lfunc_end1753-_ZN7rocprim17ROCPRIM_400000_NS6detail17trampoline_kernelINS0_14default_configENS1_36segmented_radix_sort_config_selectorI6__halflEEZNS1_25segmented_radix_sort_implIS3_Lb1EPKS5_PS5_PKlPlN2at6native12_GLOBAL__N_18offset_tEEE10hipError_tPvRmT1_PNSt15iterator_traitsISL_E10value_typeET2_T3_PNSM_ISR_E10value_typeET4_jRbjT5_SX_jjP12ihipStream_tbEUlT_E0_NS1_11comp_targetILNS1_3genE2ELNS1_11target_archE906ELNS1_3gpuE6ELNS1_3repE0EEENS1_60segmented_radix_sort_warp_sort_medium_config_static_selectorELNS0_4arch9wavefront6targetE0EEEvSL_
                                        ; -- End function
	.section	.AMDGPU.csdata,"",@progbits
; Kernel info:
; codeLenInByte = 0
; NumSgprs: 0
; NumVgprs: 0
; ScratchSize: 0
; MemoryBound: 0
; FloatMode: 240
; IeeeMode: 1
; LDSByteSize: 0 bytes/workgroup (compile time only)
; SGPRBlocks: 0
; VGPRBlocks: 0
; NumSGPRsForWavesPerEU: 1
; NumVGPRsForWavesPerEU: 1
; Occupancy: 16
; WaveLimiterHint : 0
; COMPUTE_PGM_RSRC2:SCRATCH_EN: 0
; COMPUTE_PGM_RSRC2:USER_SGPR: 15
; COMPUTE_PGM_RSRC2:TRAP_HANDLER: 0
; COMPUTE_PGM_RSRC2:TGID_X_EN: 1
; COMPUTE_PGM_RSRC2:TGID_Y_EN: 0
; COMPUTE_PGM_RSRC2:TGID_Z_EN: 0
; COMPUTE_PGM_RSRC2:TIDIG_COMP_CNT: 0
	.section	.text._ZN7rocprim17ROCPRIM_400000_NS6detail17trampoline_kernelINS0_14default_configENS1_36segmented_radix_sort_config_selectorI6__halflEEZNS1_25segmented_radix_sort_implIS3_Lb1EPKS5_PS5_PKlPlN2at6native12_GLOBAL__N_18offset_tEEE10hipError_tPvRmT1_PNSt15iterator_traitsISL_E10value_typeET2_T3_PNSM_ISR_E10value_typeET4_jRbjT5_SX_jjP12ihipStream_tbEUlT_E0_NS1_11comp_targetILNS1_3genE10ELNS1_11target_archE1201ELNS1_3gpuE5ELNS1_3repE0EEENS1_60segmented_radix_sort_warp_sort_medium_config_static_selectorELNS0_4arch9wavefront6targetE0EEEvSL_,"axG",@progbits,_ZN7rocprim17ROCPRIM_400000_NS6detail17trampoline_kernelINS0_14default_configENS1_36segmented_radix_sort_config_selectorI6__halflEEZNS1_25segmented_radix_sort_implIS3_Lb1EPKS5_PS5_PKlPlN2at6native12_GLOBAL__N_18offset_tEEE10hipError_tPvRmT1_PNSt15iterator_traitsISL_E10value_typeET2_T3_PNSM_ISR_E10value_typeET4_jRbjT5_SX_jjP12ihipStream_tbEUlT_E0_NS1_11comp_targetILNS1_3genE10ELNS1_11target_archE1201ELNS1_3gpuE5ELNS1_3repE0EEENS1_60segmented_radix_sort_warp_sort_medium_config_static_selectorELNS0_4arch9wavefront6targetE0EEEvSL_,comdat
	.globl	_ZN7rocprim17ROCPRIM_400000_NS6detail17trampoline_kernelINS0_14default_configENS1_36segmented_radix_sort_config_selectorI6__halflEEZNS1_25segmented_radix_sort_implIS3_Lb1EPKS5_PS5_PKlPlN2at6native12_GLOBAL__N_18offset_tEEE10hipError_tPvRmT1_PNSt15iterator_traitsISL_E10value_typeET2_T3_PNSM_ISR_E10value_typeET4_jRbjT5_SX_jjP12ihipStream_tbEUlT_E0_NS1_11comp_targetILNS1_3genE10ELNS1_11target_archE1201ELNS1_3gpuE5ELNS1_3repE0EEENS1_60segmented_radix_sort_warp_sort_medium_config_static_selectorELNS0_4arch9wavefront6targetE0EEEvSL_ ; -- Begin function _ZN7rocprim17ROCPRIM_400000_NS6detail17trampoline_kernelINS0_14default_configENS1_36segmented_radix_sort_config_selectorI6__halflEEZNS1_25segmented_radix_sort_implIS3_Lb1EPKS5_PS5_PKlPlN2at6native12_GLOBAL__N_18offset_tEEE10hipError_tPvRmT1_PNSt15iterator_traitsISL_E10value_typeET2_T3_PNSM_ISR_E10value_typeET4_jRbjT5_SX_jjP12ihipStream_tbEUlT_E0_NS1_11comp_targetILNS1_3genE10ELNS1_11target_archE1201ELNS1_3gpuE5ELNS1_3repE0EEENS1_60segmented_radix_sort_warp_sort_medium_config_static_selectorELNS0_4arch9wavefront6targetE0EEEvSL_
	.p2align	8
	.type	_ZN7rocprim17ROCPRIM_400000_NS6detail17trampoline_kernelINS0_14default_configENS1_36segmented_radix_sort_config_selectorI6__halflEEZNS1_25segmented_radix_sort_implIS3_Lb1EPKS5_PS5_PKlPlN2at6native12_GLOBAL__N_18offset_tEEE10hipError_tPvRmT1_PNSt15iterator_traitsISL_E10value_typeET2_T3_PNSM_ISR_E10value_typeET4_jRbjT5_SX_jjP12ihipStream_tbEUlT_E0_NS1_11comp_targetILNS1_3genE10ELNS1_11target_archE1201ELNS1_3gpuE5ELNS1_3repE0EEENS1_60segmented_radix_sort_warp_sort_medium_config_static_selectorELNS0_4arch9wavefront6targetE0EEEvSL_,@function
_ZN7rocprim17ROCPRIM_400000_NS6detail17trampoline_kernelINS0_14default_configENS1_36segmented_radix_sort_config_selectorI6__halflEEZNS1_25segmented_radix_sort_implIS3_Lb1EPKS5_PS5_PKlPlN2at6native12_GLOBAL__N_18offset_tEEE10hipError_tPvRmT1_PNSt15iterator_traitsISL_E10value_typeET2_T3_PNSM_ISR_E10value_typeET4_jRbjT5_SX_jjP12ihipStream_tbEUlT_E0_NS1_11comp_targetILNS1_3genE10ELNS1_11target_archE1201ELNS1_3gpuE5ELNS1_3repE0EEENS1_60segmented_radix_sort_warp_sort_medium_config_static_selectorELNS0_4arch9wavefront6targetE0EEEvSL_: ; @_ZN7rocprim17ROCPRIM_400000_NS6detail17trampoline_kernelINS0_14default_configENS1_36segmented_radix_sort_config_selectorI6__halflEEZNS1_25segmented_radix_sort_implIS3_Lb1EPKS5_PS5_PKlPlN2at6native12_GLOBAL__N_18offset_tEEE10hipError_tPvRmT1_PNSt15iterator_traitsISL_E10value_typeET2_T3_PNSM_ISR_E10value_typeET4_jRbjT5_SX_jjP12ihipStream_tbEUlT_E0_NS1_11comp_targetILNS1_3genE10ELNS1_11target_archE1201ELNS1_3gpuE5ELNS1_3repE0EEENS1_60segmented_radix_sort_warp_sort_medium_config_static_selectorELNS0_4arch9wavefront6targetE0EEEvSL_
; %bb.0:
	.section	.rodata,"a",@progbits
	.p2align	6, 0x0
	.amdhsa_kernel _ZN7rocprim17ROCPRIM_400000_NS6detail17trampoline_kernelINS0_14default_configENS1_36segmented_radix_sort_config_selectorI6__halflEEZNS1_25segmented_radix_sort_implIS3_Lb1EPKS5_PS5_PKlPlN2at6native12_GLOBAL__N_18offset_tEEE10hipError_tPvRmT1_PNSt15iterator_traitsISL_E10value_typeET2_T3_PNSM_ISR_E10value_typeET4_jRbjT5_SX_jjP12ihipStream_tbEUlT_E0_NS1_11comp_targetILNS1_3genE10ELNS1_11target_archE1201ELNS1_3gpuE5ELNS1_3repE0EEENS1_60segmented_radix_sort_warp_sort_medium_config_static_selectorELNS0_4arch9wavefront6targetE0EEEvSL_
		.amdhsa_group_segment_fixed_size 0
		.amdhsa_private_segment_fixed_size 0
		.amdhsa_kernarg_size 88
		.amdhsa_user_sgpr_count 15
		.amdhsa_user_sgpr_dispatch_ptr 0
		.amdhsa_user_sgpr_queue_ptr 0
		.amdhsa_user_sgpr_kernarg_segment_ptr 1
		.amdhsa_user_sgpr_dispatch_id 0
		.amdhsa_user_sgpr_private_segment_size 0
		.amdhsa_wavefront_size32 1
		.amdhsa_uses_dynamic_stack 0
		.amdhsa_enable_private_segment 0
		.amdhsa_system_sgpr_workgroup_id_x 1
		.amdhsa_system_sgpr_workgroup_id_y 0
		.amdhsa_system_sgpr_workgroup_id_z 0
		.amdhsa_system_sgpr_workgroup_info 0
		.amdhsa_system_vgpr_workitem_id 0
		.amdhsa_next_free_vgpr 1
		.amdhsa_next_free_sgpr 1
		.amdhsa_reserve_vcc 0
		.amdhsa_float_round_mode_32 0
		.amdhsa_float_round_mode_16_64 0
		.amdhsa_float_denorm_mode_32 3
		.amdhsa_float_denorm_mode_16_64 3
		.amdhsa_dx10_clamp 1
		.amdhsa_ieee_mode 1
		.amdhsa_fp16_overflow 0
		.amdhsa_workgroup_processor_mode 1
		.amdhsa_memory_ordered 1
		.amdhsa_forward_progress 0
		.amdhsa_shared_vgpr_count 0
		.amdhsa_exception_fp_ieee_invalid_op 0
		.amdhsa_exception_fp_denorm_src 0
		.amdhsa_exception_fp_ieee_div_zero 0
		.amdhsa_exception_fp_ieee_overflow 0
		.amdhsa_exception_fp_ieee_underflow 0
		.amdhsa_exception_fp_ieee_inexact 0
		.amdhsa_exception_int_div_zero 0
	.end_amdhsa_kernel
	.section	.text._ZN7rocprim17ROCPRIM_400000_NS6detail17trampoline_kernelINS0_14default_configENS1_36segmented_radix_sort_config_selectorI6__halflEEZNS1_25segmented_radix_sort_implIS3_Lb1EPKS5_PS5_PKlPlN2at6native12_GLOBAL__N_18offset_tEEE10hipError_tPvRmT1_PNSt15iterator_traitsISL_E10value_typeET2_T3_PNSM_ISR_E10value_typeET4_jRbjT5_SX_jjP12ihipStream_tbEUlT_E0_NS1_11comp_targetILNS1_3genE10ELNS1_11target_archE1201ELNS1_3gpuE5ELNS1_3repE0EEENS1_60segmented_radix_sort_warp_sort_medium_config_static_selectorELNS0_4arch9wavefront6targetE0EEEvSL_,"axG",@progbits,_ZN7rocprim17ROCPRIM_400000_NS6detail17trampoline_kernelINS0_14default_configENS1_36segmented_radix_sort_config_selectorI6__halflEEZNS1_25segmented_radix_sort_implIS3_Lb1EPKS5_PS5_PKlPlN2at6native12_GLOBAL__N_18offset_tEEE10hipError_tPvRmT1_PNSt15iterator_traitsISL_E10value_typeET2_T3_PNSM_ISR_E10value_typeET4_jRbjT5_SX_jjP12ihipStream_tbEUlT_E0_NS1_11comp_targetILNS1_3genE10ELNS1_11target_archE1201ELNS1_3gpuE5ELNS1_3repE0EEENS1_60segmented_radix_sort_warp_sort_medium_config_static_selectorELNS0_4arch9wavefront6targetE0EEEvSL_,comdat
.Lfunc_end1754:
	.size	_ZN7rocprim17ROCPRIM_400000_NS6detail17trampoline_kernelINS0_14default_configENS1_36segmented_radix_sort_config_selectorI6__halflEEZNS1_25segmented_radix_sort_implIS3_Lb1EPKS5_PS5_PKlPlN2at6native12_GLOBAL__N_18offset_tEEE10hipError_tPvRmT1_PNSt15iterator_traitsISL_E10value_typeET2_T3_PNSM_ISR_E10value_typeET4_jRbjT5_SX_jjP12ihipStream_tbEUlT_E0_NS1_11comp_targetILNS1_3genE10ELNS1_11target_archE1201ELNS1_3gpuE5ELNS1_3repE0EEENS1_60segmented_radix_sort_warp_sort_medium_config_static_selectorELNS0_4arch9wavefront6targetE0EEEvSL_, .Lfunc_end1754-_ZN7rocprim17ROCPRIM_400000_NS6detail17trampoline_kernelINS0_14default_configENS1_36segmented_radix_sort_config_selectorI6__halflEEZNS1_25segmented_radix_sort_implIS3_Lb1EPKS5_PS5_PKlPlN2at6native12_GLOBAL__N_18offset_tEEE10hipError_tPvRmT1_PNSt15iterator_traitsISL_E10value_typeET2_T3_PNSM_ISR_E10value_typeET4_jRbjT5_SX_jjP12ihipStream_tbEUlT_E0_NS1_11comp_targetILNS1_3genE10ELNS1_11target_archE1201ELNS1_3gpuE5ELNS1_3repE0EEENS1_60segmented_radix_sort_warp_sort_medium_config_static_selectorELNS0_4arch9wavefront6targetE0EEEvSL_
                                        ; -- End function
	.section	.AMDGPU.csdata,"",@progbits
; Kernel info:
; codeLenInByte = 0
; NumSgprs: 0
; NumVgprs: 0
; ScratchSize: 0
; MemoryBound: 0
; FloatMode: 240
; IeeeMode: 1
; LDSByteSize: 0 bytes/workgroup (compile time only)
; SGPRBlocks: 0
; VGPRBlocks: 0
; NumSGPRsForWavesPerEU: 1
; NumVGPRsForWavesPerEU: 1
; Occupancy: 16
; WaveLimiterHint : 0
; COMPUTE_PGM_RSRC2:SCRATCH_EN: 0
; COMPUTE_PGM_RSRC2:USER_SGPR: 15
; COMPUTE_PGM_RSRC2:TRAP_HANDLER: 0
; COMPUTE_PGM_RSRC2:TGID_X_EN: 1
; COMPUTE_PGM_RSRC2:TGID_Y_EN: 0
; COMPUTE_PGM_RSRC2:TGID_Z_EN: 0
; COMPUTE_PGM_RSRC2:TIDIG_COMP_CNT: 0
	.section	.text._ZN7rocprim17ROCPRIM_400000_NS6detail17trampoline_kernelINS0_14default_configENS1_36segmented_radix_sort_config_selectorI6__halflEEZNS1_25segmented_radix_sort_implIS3_Lb1EPKS5_PS5_PKlPlN2at6native12_GLOBAL__N_18offset_tEEE10hipError_tPvRmT1_PNSt15iterator_traitsISL_E10value_typeET2_T3_PNSM_ISR_E10value_typeET4_jRbjT5_SX_jjP12ihipStream_tbEUlT_E0_NS1_11comp_targetILNS1_3genE10ELNS1_11target_archE1200ELNS1_3gpuE4ELNS1_3repE0EEENS1_60segmented_radix_sort_warp_sort_medium_config_static_selectorELNS0_4arch9wavefront6targetE0EEEvSL_,"axG",@progbits,_ZN7rocprim17ROCPRIM_400000_NS6detail17trampoline_kernelINS0_14default_configENS1_36segmented_radix_sort_config_selectorI6__halflEEZNS1_25segmented_radix_sort_implIS3_Lb1EPKS5_PS5_PKlPlN2at6native12_GLOBAL__N_18offset_tEEE10hipError_tPvRmT1_PNSt15iterator_traitsISL_E10value_typeET2_T3_PNSM_ISR_E10value_typeET4_jRbjT5_SX_jjP12ihipStream_tbEUlT_E0_NS1_11comp_targetILNS1_3genE10ELNS1_11target_archE1200ELNS1_3gpuE4ELNS1_3repE0EEENS1_60segmented_radix_sort_warp_sort_medium_config_static_selectorELNS0_4arch9wavefront6targetE0EEEvSL_,comdat
	.globl	_ZN7rocprim17ROCPRIM_400000_NS6detail17trampoline_kernelINS0_14default_configENS1_36segmented_radix_sort_config_selectorI6__halflEEZNS1_25segmented_radix_sort_implIS3_Lb1EPKS5_PS5_PKlPlN2at6native12_GLOBAL__N_18offset_tEEE10hipError_tPvRmT1_PNSt15iterator_traitsISL_E10value_typeET2_T3_PNSM_ISR_E10value_typeET4_jRbjT5_SX_jjP12ihipStream_tbEUlT_E0_NS1_11comp_targetILNS1_3genE10ELNS1_11target_archE1200ELNS1_3gpuE4ELNS1_3repE0EEENS1_60segmented_radix_sort_warp_sort_medium_config_static_selectorELNS0_4arch9wavefront6targetE0EEEvSL_ ; -- Begin function _ZN7rocprim17ROCPRIM_400000_NS6detail17trampoline_kernelINS0_14default_configENS1_36segmented_radix_sort_config_selectorI6__halflEEZNS1_25segmented_radix_sort_implIS3_Lb1EPKS5_PS5_PKlPlN2at6native12_GLOBAL__N_18offset_tEEE10hipError_tPvRmT1_PNSt15iterator_traitsISL_E10value_typeET2_T3_PNSM_ISR_E10value_typeET4_jRbjT5_SX_jjP12ihipStream_tbEUlT_E0_NS1_11comp_targetILNS1_3genE10ELNS1_11target_archE1200ELNS1_3gpuE4ELNS1_3repE0EEENS1_60segmented_radix_sort_warp_sort_medium_config_static_selectorELNS0_4arch9wavefront6targetE0EEEvSL_
	.p2align	8
	.type	_ZN7rocprim17ROCPRIM_400000_NS6detail17trampoline_kernelINS0_14default_configENS1_36segmented_radix_sort_config_selectorI6__halflEEZNS1_25segmented_radix_sort_implIS3_Lb1EPKS5_PS5_PKlPlN2at6native12_GLOBAL__N_18offset_tEEE10hipError_tPvRmT1_PNSt15iterator_traitsISL_E10value_typeET2_T3_PNSM_ISR_E10value_typeET4_jRbjT5_SX_jjP12ihipStream_tbEUlT_E0_NS1_11comp_targetILNS1_3genE10ELNS1_11target_archE1200ELNS1_3gpuE4ELNS1_3repE0EEENS1_60segmented_radix_sort_warp_sort_medium_config_static_selectorELNS0_4arch9wavefront6targetE0EEEvSL_,@function
_ZN7rocprim17ROCPRIM_400000_NS6detail17trampoline_kernelINS0_14default_configENS1_36segmented_radix_sort_config_selectorI6__halflEEZNS1_25segmented_radix_sort_implIS3_Lb1EPKS5_PS5_PKlPlN2at6native12_GLOBAL__N_18offset_tEEE10hipError_tPvRmT1_PNSt15iterator_traitsISL_E10value_typeET2_T3_PNSM_ISR_E10value_typeET4_jRbjT5_SX_jjP12ihipStream_tbEUlT_E0_NS1_11comp_targetILNS1_3genE10ELNS1_11target_archE1200ELNS1_3gpuE4ELNS1_3repE0EEENS1_60segmented_radix_sort_warp_sort_medium_config_static_selectorELNS0_4arch9wavefront6targetE0EEEvSL_: ; @_ZN7rocprim17ROCPRIM_400000_NS6detail17trampoline_kernelINS0_14default_configENS1_36segmented_radix_sort_config_selectorI6__halflEEZNS1_25segmented_radix_sort_implIS3_Lb1EPKS5_PS5_PKlPlN2at6native12_GLOBAL__N_18offset_tEEE10hipError_tPvRmT1_PNSt15iterator_traitsISL_E10value_typeET2_T3_PNSM_ISR_E10value_typeET4_jRbjT5_SX_jjP12ihipStream_tbEUlT_E0_NS1_11comp_targetILNS1_3genE10ELNS1_11target_archE1200ELNS1_3gpuE4ELNS1_3repE0EEENS1_60segmented_radix_sort_warp_sort_medium_config_static_selectorELNS0_4arch9wavefront6targetE0EEEvSL_
; %bb.0:
	.section	.rodata,"a",@progbits
	.p2align	6, 0x0
	.amdhsa_kernel _ZN7rocprim17ROCPRIM_400000_NS6detail17trampoline_kernelINS0_14default_configENS1_36segmented_radix_sort_config_selectorI6__halflEEZNS1_25segmented_radix_sort_implIS3_Lb1EPKS5_PS5_PKlPlN2at6native12_GLOBAL__N_18offset_tEEE10hipError_tPvRmT1_PNSt15iterator_traitsISL_E10value_typeET2_T3_PNSM_ISR_E10value_typeET4_jRbjT5_SX_jjP12ihipStream_tbEUlT_E0_NS1_11comp_targetILNS1_3genE10ELNS1_11target_archE1200ELNS1_3gpuE4ELNS1_3repE0EEENS1_60segmented_radix_sort_warp_sort_medium_config_static_selectorELNS0_4arch9wavefront6targetE0EEEvSL_
		.amdhsa_group_segment_fixed_size 0
		.amdhsa_private_segment_fixed_size 0
		.amdhsa_kernarg_size 88
		.amdhsa_user_sgpr_count 15
		.amdhsa_user_sgpr_dispatch_ptr 0
		.amdhsa_user_sgpr_queue_ptr 0
		.amdhsa_user_sgpr_kernarg_segment_ptr 1
		.amdhsa_user_sgpr_dispatch_id 0
		.amdhsa_user_sgpr_private_segment_size 0
		.amdhsa_wavefront_size32 1
		.amdhsa_uses_dynamic_stack 0
		.amdhsa_enable_private_segment 0
		.amdhsa_system_sgpr_workgroup_id_x 1
		.amdhsa_system_sgpr_workgroup_id_y 0
		.amdhsa_system_sgpr_workgroup_id_z 0
		.amdhsa_system_sgpr_workgroup_info 0
		.amdhsa_system_vgpr_workitem_id 0
		.amdhsa_next_free_vgpr 1
		.amdhsa_next_free_sgpr 1
		.amdhsa_reserve_vcc 0
		.amdhsa_float_round_mode_32 0
		.amdhsa_float_round_mode_16_64 0
		.amdhsa_float_denorm_mode_32 3
		.amdhsa_float_denorm_mode_16_64 3
		.amdhsa_dx10_clamp 1
		.amdhsa_ieee_mode 1
		.amdhsa_fp16_overflow 0
		.amdhsa_workgroup_processor_mode 1
		.amdhsa_memory_ordered 1
		.amdhsa_forward_progress 0
		.amdhsa_shared_vgpr_count 0
		.amdhsa_exception_fp_ieee_invalid_op 0
		.amdhsa_exception_fp_denorm_src 0
		.amdhsa_exception_fp_ieee_div_zero 0
		.amdhsa_exception_fp_ieee_overflow 0
		.amdhsa_exception_fp_ieee_underflow 0
		.amdhsa_exception_fp_ieee_inexact 0
		.amdhsa_exception_int_div_zero 0
	.end_amdhsa_kernel
	.section	.text._ZN7rocprim17ROCPRIM_400000_NS6detail17trampoline_kernelINS0_14default_configENS1_36segmented_radix_sort_config_selectorI6__halflEEZNS1_25segmented_radix_sort_implIS3_Lb1EPKS5_PS5_PKlPlN2at6native12_GLOBAL__N_18offset_tEEE10hipError_tPvRmT1_PNSt15iterator_traitsISL_E10value_typeET2_T3_PNSM_ISR_E10value_typeET4_jRbjT5_SX_jjP12ihipStream_tbEUlT_E0_NS1_11comp_targetILNS1_3genE10ELNS1_11target_archE1200ELNS1_3gpuE4ELNS1_3repE0EEENS1_60segmented_radix_sort_warp_sort_medium_config_static_selectorELNS0_4arch9wavefront6targetE0EEEvSL_,"axG",@progbits,_ZN7rocprim17ROCPRIM_400000_NS6detail17trampoline_kernelINS0_14default_configENS1_36segmented_radix_sort_config_selectorI6__halflEEZNS1_25segmented_radix_sort_implIS3_Lb1EPKS5_PS5_PKlPlN2at6native12_GLOBAL__N_18offset_tEEE10hipError_tPvRmT1_PNSt15iterator_traitsISL_E10value_typeET2_T3_PNSM_ISR_E10value_typeET4_jRbjT5_SX_jjP12ihipStream_tbEUlT_E0_NS1_11comp_targetILNS1_3genE10ELNS1_11target_archE1200ELNS1_3gpuE4ELNS1_3repE0EEENS1_60segmented_radix_sort_warp_sort_medium_config_static_selectorELNS0_4arch9wavefront6targetE0EEEvSL_,comdat
.Lfunc_end1755:
	.size	_ZN7rocprim17ROCPRIM_400000_NS6detail17trampoline_kernelINS0_14default_configENS1_36segmented_radix_sort_config_selectorI6__halflEEZNS1_25segmented_radix_sort_implIS3_Lb1EPKS5_PS5_PKlPlN2at6native12_GLOBAL__N_18offset_tEEE10hipError_tPvRmT1_PNSt15iterator_traitsISL_E10value_typeET2_T3_PNSM_ISR_E10value_typeET4_jRbjT5_SX_jjP12ihipStream_tbEUlT_E0_NS1_11comp_targetILNS1_3genE10ELNS1_11target_archE1200ELNS1_3gpuE4ELNS1_3repE0EEENS1_60segmented_radix_sort_warp_sort_medium_config_static_selectorELNS0_4arch9wavefront6targetE0EEEvSL_, .Lfunc_end1755-_ZN7rocprim17ROCPRIM_400000_NS6detail17trampoline_kernelINS0_14default_configENS1_36segmented_radix_sort_config_selectorI6__halflEEZNS1_25segmented_radix_sort_implIS3_Lb1EPKS5_PS5_PKlPlN2at6native12_GLOBAL__N_18offset_tEEE10hipError_tPvRmT1_PNSt15iterator_traitsISL_E10value_typeET2_T3_PNSM_ISR_E10value_typeET4_jRbjT5_SX_jjP12ihipStream_tbEUlT_E0_NS1_11comp_targetILNS1_3genE10ELNS1_11target_archE1200ELNS1_3gpuE4ELNS1_3repE0EEENS1_60segmented_radix_sort_warp_sort_medium_config_static_selectorELNS0_4arch9wavefront6targetE0EEEvSL_
                                        ; -- End function
	.section	.AMDGPU.csdata,"",@progbits
; Kernel info:
; codeLenInByte = 0
; NumSgprs: 0
; NumVgprs: 0
; ScratchSize: 0
; MemoryBound: 0
; FloatMode: 240
; IeeeMode: 1
; LDSByteSize: 0 bytes/workgroup (compile time only)
; SGPRBlocks: 0
; VGPRBlocks: 0
; NumSGPRsForWavesPerEU: 1
; NumVGPRsForWavesPerEU: 1
; Occupancy: 16
; WaveLimiterHint : 0
; COMPUTE_PGM_RSRC2:SCRATCH_EN: 0
; COMPUTE_PGM_RSRC2:USER_SGPR: 15
; COMPUTE_PGM_RSRC2:TRAP_HANDLER: 0
; COMPUTE_PGM_RSRC2:TGID_X_EN: 1
; COMPUTE_PGM_RSRC2:TGID_Y_EN: 0
; COMPUTE_PGM_RSRC2:TGID_Z_EN: 0
; COMPUTE_PGM_RSRC2:TIDIG_COMP_CNT: 0
	.text
	.p2align	2                               ; -- Begin function _ZN7rocprim17ROCPRIM_400000_NS6detail26segmented_warp_sort_helperINS1_20WarpSortHelperConfigILj16ELj8ELj256EEE6__halflLi256ELb1EvE4sortIPKS5_PS5_PKlPlEEvT_T0_T1_T2_jjjjRNS6_12storage_typeE
	.type	_ZN7rocprim17ROCPRIM_400000_NS6detail26segmented_warp_sort_helperINS1_20WarpSortHelperConfigILj16ELj8ELj256EEE6__halflLi256ELb1EvE4sortIPKS5_PS5_PKlPlEEvT_T0_T1_T2_jjjjRNS6_12storage_typeE,@function
_ZN7rocprim17ROCPRIM_400000_NS6detail26segmented_warp_sort_helperINS1_20WarpSortHelperConfigILj16ELj8ELj256EEE6__halflLi256ELb1EvE4sortIPKS5_PS5_PKlPlEEvT_T0_T1_T2_jjjjRNS6_12storage_typeE: ; @_ZN7rocprim17ROCPRIM_400000_NS6detail26segmented_warp_sort_helperINS1_20WarpSortHelperConfigILj16ELj8ELj256EEE6__halflLi256ELb1EvE4sortIPKS5_PS5_PKlPlEEvT_T0_T1_T2_jjjjRNS6_12storage_typeE
; %bb.0:
	s_waitcnt vmcnt(0) expcnt(0) lgkmcnt(0)
	v_mov_b32_e32 v10, v9
	v_mbcnt_lo_u32_b32 v9, -1, 0
	v_dual_mov_b32 v36, 0xffff :: v_dual_mov_b32 v39, 0xffff
	s_delay_alu instid0(VALU_DEP_2) | instskip(SKIP_2) | instid1(VALU_DEP_3)
	v_lshlrev_b32_e32 v35, 3, v9
	v_mov_b32_e32 v9, 0
	v_sub_nc_u32_e32 v10, v10, v8
	v_and_b32_e32 v34, 0x78, v35
	s_delay_alu instid0(VALU_DEP_3) | instskip(NEXT) | instid1(VALU_DEP_2)
	v_lshlrev_b64 v[11:12], 1, v[8:9]
	v_lshlrev_b32_e32 v32, 1, v34
	s_delay_alu instid0(VALU_DEP_2) | instskip(NEXT) | instid1(VALU_DEP_3)
	v_add_co_u32 v0, vcc_lo, v0, v11
	v_add_co_ci_u32_e32 v1, vcc_lo, v1, v12, vcc_lo
	s_delay_alu instid0(VALU_DEP_2) | instskip(NEXT) | instid1(VALU_DEP_2)
	v_add_co_u32 v0, vcc_lo, v0, v32
	v_add_co_ci_u32_e32 v1, vcc_lo, 0, v1, vcc_lo
	v_cmp_lt_u32_e32 vcc_lo, v34, v10
	s_and_saveexec_b32 s0, vcc_lo
	s_cbranch_execz .LBB1756_2
; %bb.1:
	flat_load_u16 v36, v[0:1]
.LBB1756_2:
	s_or_b32 exec_lo, exec_lo, s0
	v_or_b32_e32 v13, 1, v34
	s_delay_alu instid0(VALU_DEP_1) | instskip(NEXT) | instid1(VALU_DEP_1)
	v_cmp_lt_u32_e64 s0, v13, v10
	s_and_saveexec_b32 s1, s0
	s_cbranch_execz .LBB1756_4
; %bb.3:
	flat_load_u16 v39, v[0:1] offset:2
.LBB1756_4:
	s_or_b32 exec_lo, exec_lo, s1
	v_or_b32_e32 v13, 2, v34
	v_dual_mov_b32 v51, 0xffff :: v_dual_mov_b32 v48, 0xffff
	s_delay_alu instid0(VALU_DEP_2) | instskip(NEXT) | instid1(VALU_DEP_1)
	v_cmp_lt_u32_e64 s1, v13, v10
	s_and_saveexec_b32 s2, s1
	s_cbranch_execz .LBB1756_6
; %bb.5:
	flat_load_u16 v48, v[0:1] offset:4
.LBB1756_6:
	s_or_b32 exec_lo, exec_lo, s2
	v_or_b32_e32 v13, 3, v34
	s_delay_alu instid0(VALU_DEP_1) | instskip(NEXT) | instid1(VALU_DEP_1)
	v_cmp_lt_u32_e64 s2, v13, v10
	s_and_saveexec_b32 s3, s2
	s_cbranch_execz .LBB1756_8
; %bb.7:
	flat_load_u16 v51, v[0:1] offset:6
.LBB1756_8:
	s_or_b32 exec_lo, exec_lo, s3
	v_or_b32_e32 v13, 4, v34
	v_dual_mov_b32 v38, 0xffff :: v_dual_mov_b32 v49, 0xffff
	s_delay_alu instid0(VALU_DEP_2) | instskip(NEXT) | instid1(VALU_DEP_1)
	v_cmp_lt_u32_e64 s3, v13, v10
	s_and_saveexec_b32 s4, s3
	s_cbranch_execz .LBB1756_10
; %bb.9:
	flat_load_u16 v49, v[0:1] offset:8
.LBB1756_10:
	;; [unrolled: 19-line block ×3, first 2 shown]
	s_or_b32 exec_lo, exec_lo, s6
	v_or_b32_e32 v13, 7, v34
	s_delay_alu instid0(VALU_DEP_1) | instskip(NEXT) | instid1(VALU_DEP_1)
	v_cmp_lt_u32_e64 s6, v13, v10
	s_and_saveexec_b32 s7, s6
	s_cbranch_execz .LBB1756_16
; %bb.15:
	flat_load_u16 v37, v[0:1] offset:14
.LBB1756_16:
	s_or_b32 exec_lo, exec_lo, s7
	v_lshlrev_b64 v[0:1], 3, v[8:9]
	v_lshlrev_b32_e32 v33, 3, v34
	; wave barrier
	s_delay_alu instid0(VALU_DEP_2) | instskip(NEXT) | instid1(VALU_DEP_1)
	v_add_co_u32 v4, s7, v4, v0
	v_add_co_ci_u32_e64 v5, s7, v5, v1, s7
	s_delay_alu instid0(VALU_DEP_2) | instskip(NEXT) | instid1(VALU_DEP_1)
	v_add_co_u32 v13, s7, v4, v33
	v_add_co_ci_u32_e64 v14, s7, 0, v5, s7
                                        ; implicit-def: $vgpr4_vgpr5
	s_and_saveexec_b32 s7, vcc_lo
	s_cbranch_execnz .LBB1756_261
; %bb.17:
	s_or_b32 exec_lo, exec_lo, s7
                                        ; implicit-def: $vgpr8_vgpr9
	s_and_saveexec_b32 s7, s0
	s_cbranch_execnz .LBB1756_262
.LBB1756_18:
	s_or_b32 exec_lo, exec_lo, s7
                                        ; implicit-def: $vgpr15_vgpr16
	s_and_saveexec_b32 s7, s1
	s_cbranch_execnz .LBB1756_263
.LBB1756_19:
	s_or_b32 exec_lo, exec_lo, s7
                                        ; implicit-def: $vgpr17_vgpr18
	s_and_saveexec_b32 s7, s2
	s_cbranch_execnz .LBB1756_264
.LBB1756_20:
	s_or_b32 exec_lo, exec_lo, s7
                                        ; implicit-def: $vgpr19_vgpr20
	s_and_saveexec_b32 s7, s3
	s_cbranch_execnz .LBB1756_265
.LBB1756_21:
	s_or_b32 exec_lo, exec_lo, s7
                                        ; implicit-def: $vgpr23_vgpr24
	s_and_saveexec_b32 s7, s4
	s_cbranch_execnz .LBB1756_266
.LBB1756_22:
	s_or_b32 exec_lo, exec_lo, s7
                                        ; implicit-def: $vgpr21_vgpr22
	s_and_saveexec_b32 s7, s5
	s_cbranch_execnz .LBB1756_267
.LBB1756_23:
	s_or_b32 exec_lo, exec_lo, s7
                                        ; implicit-def: $vgpr25_vgpr26
	s_and_saveexec_b32 s7, s6
	s_cbranch_execz .LBB1756_25
.LBB1756_24:
	flat_load_b64 v[25:26], v[13:14] offset:56
.LBB1756_25:
	s_or_b32 exec_lo, exec_lo, s7
	; wave barrier
	s_load_b64 s[10:11], s[8:9], 0x0
	v_mov_b32_e32 v10, 0
	v_bfe_u32 v14, v31, 10, 10
	v_bfe_u32 v27, v31, 20, 10
	s_waitcnt lgkmcnt(0)
	s_cmp_lt_u32 s13, s11
	s_cselect_b32 s7, 14, 20
	s_delay_alu instid0(SALU_CYCLE_1) | instskip(SKIP_4) | instid1(SALU_CYCLE_1)
	s_add_u32 s14, s8, s7
	s_addc_u32 s15, s9, 0
	s_cmp_lt_u32 s12, s10
	global_load_u16 v13, v10, s[14:15]
	s_cselect_b32 s7, 12, 18
	s_add_u32 s8, s8, s7
	s_addc_u32 s9, s9, 0
	global_load_u16 v10, v10, s[8:9]
	s_mov_b32 s8, exec_lo
	s_waitcnt vmcnt(1)
	v_mad_u32_u24 v13, v27, v13, v14
	s_waitcnt vmcnt(0)
	s_delay_alu instid0(VALU_DEP_1) | instskip(SKIP_1) | instid1(VALU_DEP_1)
	v_mul_lo_u32 v10, v13, v10
	v_and_b32_e32 v13, 0x3ff, v31
	v_add_lshl_u32 v10, v10, v13, 3
	s_delay_alu instid0(VALU_DEP_1)
	v_cmpx_gt_u32_e32 0x800, v10
	s_cbranch_execz .LBB1756_83
; %bb.26:
	v_add_f16_e32 v13, 0, v39
	v_add_f16_e32 v14, 0, v36
	v_mov_b32_e32 v31, v39
	s_mov_b32 s9, exec_lo
	s_delay_alu instid0(VALU_DEP_3) | instskip(NEXT) | instid1(VALU_DEP_1)
	v_cmp_lt_i16_e64 s7, -1, v13
	v_cndmask_b32_e64 v27, -1, 0xffff8000, s7
	v_cmp_lt_i16_e64 s7, -1, v14
	s_delay_alu instid0(VALU_DEP_2) | instskip(NEXT) | instid1(VALU_DEP_2)
	v_xor_b32_e32 v13, v27, v13
	v_cndmask_b32_e64 v28, -1, 0xffff8000, s7
	s_delay_alu instid0(VALU_DEP_1) | instskip(SKIP_1) | instid1(VALU_DEP_2)
	v_xor_b32_e32 v14, v28, v14
	v_dual_mov_b32 v28, v9 :: v_dual_mov_b32 v27, v8
	v_cmpx_gt_u16_e64 v13, v14
; %bb.27:
	v_dual_mov_b32 v31, v36 :: v_dual_mov_b32 v36, v39
	v_dual_mov_b32 v28, v5 :: v_dual_mov_b32 v27, v4
	;; [unrolled: 1-line block ×3, first 2 shown]
; %bb.28:
	s_or_b32 exec_lo, exec_lo, s9
	v_add_f16_e32 v8, 0, v51
	v_add_f16_e32 v9, 0, v48
	v_mov_b32_e32 v30, v18
	v_dual_mov_b32 v52, v51 :: v_dual_mov_b32 v29, v17
	s_delay_alu instid0(VALU_DEP_4) | instskip(SKIP_1) | instid1(VALU_DEP_1)
	v_cmp_lt_i16_e64 s7, -1, v8
	s_mov_b32 s9, exec_lo
	v_cndmask_b32_e64 v13, -1, 0xffff8000, s7
	v_cmp_lt_i16_e64 s7, -1, v9
	s_delay_alu instid0(VALU_DEP_2) | instskip(NEXT) | instid1(VALU_DEP_2)
	v_xor_b32_e32 v8, v13, v8
	v_cndmask_b32_e64 v14, -1, 0xffff8000, s7
	s_delay_alu instid0(VALU_DEP_1) | instskip(NEXT) | instid1(VALU_DEP_1)
	v_xor_b32_e32 v9, v14, v9
	v_cmpx_gt_u16_e64 v8, v9
; %bb.29:
	v_mov_b32_e32 v30, v16
	v_dual_mov_b32 v52, v48 :: v_dual_mov_b32 v29, v15
	v_dual_mov_b32 v48, v51 :: v_dual_mov_b32 v15, v17
	v_mov_b32_e32 v16, v18
; %bb.30:
	s_or_b32 exec_lo, exec_lo, s9
	v_add_f16_e32 v8, 0, v38
	v_add_f16_e32 v9, 0, v49
	v_mov_b32_e32 v51, v49
	s_mov_b32 s9, exec_lo
	s_delay_alu instid0(VALU_DEP_3) | instskip(NEXT) | instid1(VALU_DEP_1)
	v_cmp_lt_i16_e64 s7, -1, v8
	v_cndmask_b32_e64 v13, -1, 0xffff8000, s7
	v_cmp_lt_i16_e64 s7, -1, v9
	s_delay_alu instid0(VALU_DEP_2) | instskip(NEXT) | instid1(VALU_DEP_2)
	v_xor_b32_e32 v8, v13, v8
	v_cndmask_b32_e64 v14, -1, 0xffff8000, s7
	s_delay_alu instid0(VALU_DEP_1) | instskip(SKIP_1) | instid1(VALU_DEP_2)
	v_xor_b32_e32 v9, v14, v9
	v_dual_mov_b32 v13, v23 :: v_dual_mov_b32 v14, v24
	v_cmpx_gt_u16_e64 v8, v9
; %bb.31:
	v_dual_mov_b32 v13, v19 :: v_dual_mov_b32 v14, v20
	v_dual_mov_b32 v19, v23 :: v_dual_mov_b32 v20, v24
	;; [unrolled: 1-line block ×3, first 2 shown]
; %bb.32:
	s_or_b32 exec_lo, exec_lo, s9
	v_add_f16_e32 v8, 0, v37
	v_add_f16_e32 v9, 0, v50
	v_mov_b32_e32 v49, v50
	s_mov_b32 s9, exec_lo
	s_delay_alu instid0(VALU_DEP_3) | instskip(NEXT) | instid1(VALU_DEP_1)
	v_cmp_lt_i16_e64 s7, -1, v8
	v_cndmask_b32_e64 v17, -1, 0xffff8000, s7
	v_cmp_lt_i16_e64 s7, -1, v9
	s_delay_alu instid0(VALU_DEP_2) | instskip(NEXT) | instid1(VALU_DEP_2)
	v_xor_b32_e32 v17, v17, v8
	v_cndmask_b32_e64 v18, -1, 0xffff8000, s7
	s_delay_alu instid0(VALU_DEP_1) | instskip(SKIP_1) | instid1(VALU_DEP_2)
	v_xor_b32_e32 v18, v18, v9
	v_dual_mov_b32 v8, v25 :: v_dual_mov_b32 v9, v26
	v_cmpx_gt_u16_e64 v17, v18
; %bb.33:
	v_dual_mov_b32 v8, v21 :: v_dual_mov_b32 v9, v22
	v_dual_mov_b32 v21, v25 :: v_dual_mov_b32 v22, v26
	v_mov_b32_e32 v49, v37
	v_mov_b32_e32 v37, v50
; %bb.34:
	s_or_b32 exec_lo, exec_lo, s9
	v_add_f16_e32 v17, 0, v48
	v_add_f16_e32 v18, 0, v31
	v_mov_b32_e32 v39, v48
	s_delay_alu instid0(VALU_DEP_3) | instskip(NEXT) | instid1(VALU_DEP_1)
	v_cmp_lt_i16_e64 s7, -1, v17
	v_cndmask_b32_e64 v23, -1, 0xffff8000, s7
	s_delay_alu instid0(VALU_DEP_4) | instskip(NEXT) | instid1(VALU_DEP_2)
	v_cmp_lt_i16_e64 s7, -1, v18
	v_xor_b32_e32 v17, v23, v17
	s_delay_alu instid0(VALU_DEP_2) | instskip(NEXT) | instid1(VALU_DEP_1)
	v_cndmask_b32_e64 v24, -1, 0xffff8000, s7
	v_xor_b32_e32 v18, v24, v18
	v_dual_mov_b32 v24, v16 :: v_dual_mov_b32 v23, v15
	s_delay_alu instid0(VALU_DEP_2) | instskip(NEXT) | instid1(VALU_DEP_1)
	v_cmp_gt_u16_e64 s7, v17, v18
	s_and_saveexec_b32 s9, s7
	s_delay_alu instid0(SALU_CYCLE_1)
	s_xor_b32 s7, exec_lo, s9
; %bb.35:
	v_mov_b32_e32 v23, v27
	v_dual_mov_b32 v39, v31 :: v_dual_mov_b32 v24, v28
	v_mov_b32_e32 v28, v16
	v_mov_b32_e32 v31, v48
	;; [unrolled: 1-line block ×3, first 2 shown]
; %bb.36:
	s_or_b32 exec_lo, exec_lo, s7
	v_add_f16_e32 v15, 0, v51
	v_add_f16_e32 v16, 0, v52
	v_dual_mov_b32 v26, v20 :: v_dual_mov_b32 v25, v19
	s_mov_b32 s9, exec_lo
	s_delay_alu instid0(VALU_DEP_3) | instskip(NEXT) | instid1(VALU_DEP_1)
	v_cmp_lt_i16_e64 s7, -1, v15
	v_cndmask_b32_e64 v17, -1, 0xffff8000, s7
	v_cmp_lt_i16_e64 s7, -1, v16
	s_delay_alu instid0(VALU_DEP_2) | instskip(NEXT) | instid1(VALU_DEP_2)
	v_xor_b32_e32 v15, v17, v15
	v_cndmask_b32_e64 v18, -1, 0xffff8000, s7
	v_mov_b32_e32 v17, v52
	s_delay_alu instid0(VALU_DEP_2) | instskip(NEXT) | instid1(VALU_DEP_1)
	v_xor_b32_e32 v16, v18, v16
	v_cmpx_gt_u16_e64 v15, v16
; %bb.37:
	v_mov_b32_e32 v25, v29
	v_dual_mov_b32 v17, v51 :: v_dual_mov_b32 v26, v30
	v_dual_mov_b32 v30, v20 :: v_dual_mov_b32 v29, v19
	v_mov_b32_e32 v51, v52
; %bb.38:
	s_or_b32 exec_lo, exec_lo, s9
	v_add_f16_e32 v15, 0, v49
	v_add_f16_e32 v16, 0, v38
	v_mov_b32_e32 v48, v38
	s_mov_b32 s9, exec_lo
	s_delay_alu instid0(VALU_DEP_3) | instskip(NEXT) | instid1(VALU_DEP_1)
	v_cmp_lt_i16_e64 s7, -1, v15
	v_cndmask_b32_e64 v18, -1, 0xffff8000, s7
	v_cmp_lt_i16_e64 s7, -1, v16
	s_delay_alu instid0(VALU_DEP_2) | instskip(NEXT) | instid1(VALU_DEP_2)
	v_xor_b32_e32 v18, v18, v15
	v_cndmask_b32_e64 v19, -1, 0xffff8000, s7
	s_delay_alu instid0(VALU_DEP_1) | instskip(SKIP_1) | instid1(VALU_DEP_2)
	v_xor_b32_e32 v19, v19, v16
	v_dual_mov_b32 v15, v21 :: v_dual_mov_b32 v16, v22
	v_cmpx_gt_u16_e64 v18, v19
; %bb.39:
	v_dual_mov_b32 v16, v14 :: v_dual_mov_b32 v15, v13
	v_dual_mov_b32 v13, v21 :: v_dual_mov_b32 v14, v22
	;; [unrolled: 1-line block ×3, first 2 shown]
; %bb.40:
	s_or_b32 exec_lo, exec_lo, s9
	v_add_f16_e32 v18, 0, v31
	v_add_f16_e32 v19, 0, v36
	v_mov_b32_e32 v38, v31
	s_delay_alu instid0(VALU_DEP_3) | instskip(NEXT) | instid1(VALU_DEP_1)
	v_cmp_lt_i16_e64 s7, -1, v18
	v_cndmask_b32_e64 v20, -1, 0xffff8000, s7
	s_delay_alu instid0(VALU_DEP_4) | instskip(NEXT) | instid1(VALU_DEP_2)
	v_cmp_lt_i16_e64 s7, -1, v19
	v_xor_b32_e32 v18, v20, v18
	s_delay_alu instid0(VALU_DEP_2) | instskip(NEXT) | instid1(VALU_DEP_1)
	v_cndmask_b32_e64 v21, -1, 0xffff8000, s7
	v_xor_b32_e32 v19, v21, v19
	s_delay_alu instid0(VALU_DEP_1) | instskip(SKIP_1) | instid1(VALU_DEP_2)
	v_cmp_gt_u16_e64 s7, v18, v19
	v_dual_mov_b32 v19, v27 :: v_dual_mov_b32 v20, v28
	s_and_saveexec_b32 s9, s7
; %bb.41:
	v_mov_b32_e32 v20, v5
	v_mov_b32_e32 v38, v36
	v_dual_mov_b32 v36, v31 :: v_dual_mov_b32 v19, v4
	v_dual_mov_b32 v4, v27 :: v_dual_mov_b32 v5, v28
; %bb.42:
	s_or_b32 exec_lo, exec_lo, s9
	v_add_f16_e32 v18, 0, v17
	v_add_f16_e32 v21, 0, v39
	v_mov_b32_e32 v53, v17
	s_mov_b32 s9, exec_lo
	s_delay_alu instid0(VALU_DEP_3) | instskip(NEXT) | instid1(VALU_DEP_1)
	v_cmp_lt_i16_e64 s7, -1, v18
	v_cndmask_b32_e64 v22, -1, 0xffff8000, s7
	v_cmp_lt_i16_e64 s7, -1, v21
	s_delay_alu instid0(VALU_DEP_2) | instskip(NEXT) | instid1(VALU_DEP_2)
	v_xor_b32_e32 v18, v22, v18
	v_cndmask_b32_e64 v27, -1, 0xffff8000, s7
	s_delay_alu instid0(VALU_DEP_1) | instskip(SKIP_1) | instid1(VALU_DEP_2)
	v_xor_b32_e32 v21, v27, v21
	v_dual_mov_b32 v27, v29 :: v_dual_mov_b32 v28, v30
	v_cmpx_gt_u16_e64 v18, v21
; %bb.43:
	v_dual_mov_b32 v53, v39 :: v_dual_mov_b32 v28, v24
	v_mov_b32_e32 v27, v23
	v_mov_b32_e32 v23, v29
	v_dual_mov_b32 v39, v17 :: v_dual_mov_b32 v24, v30
; %bb.44:
	s_or_b32 exec_lo, exec_lo, s9
	v_add_f16_e32 v17, 0, v48
	v_add_f16_e32 v18, 0, v51
	v_mov_b32_e32 v52, v51
	s_mov_b32 s9, exec_lo
	s_delay_alu instid0(VALU_DEP_3) | instskip(NEXT) | instid1(VALU_DEP_1)
	v_cmp_lt_i16_e64 s7, -1, v17
	v_cndmask_b32_e64 v21, -1, 0xffff8000, s7
	v_cmp_lt_i16_e64 s7, -1, v18
	s_delay_alu instid0(VALU_DEP_2) | instskip(NEXT) | instid1(VALU_DEP_2)
	v_xor_b32_e32 v21, v21, v17
	v_cndmask_b32_e64 v22, -1, 0xffff8000, s7
	s_delay_alu instid0(VALU_DEP_1) | instskip(SKIP_1) | instid1(VALU_DEP_2)
	v_xor_b32_e32 v22, v22, v18
	v_dual_mov_b32 v18, v14 :: v_dual_mov_b32 v17, v13
	v_cmpx_gt_u16_e64 v21, v22
; %bb.45:
	v_dual_mov_b32 v17, v25 :: v_dual_mov_b32 v18, v26
	v_dual_mov_b32 v26, v14 :: v_dual_mov_b32 v25, v13
	v_mov_b32_e32 v52, v48
	v_mov_b32_e32 v48, v51
; %bb.46:
	s_or_b32 exec_lo, exec_lo, s9
	v_add_f16_e32 v13, 0, v37
	v_add_f16_e32 v14, 0, v49
	v_mov_b32_e32 v50, v49
	s_mov_b32 s9, exec_lo
	s_delay_alu instid0(VALU_DEP_3) | instskip(NEXT) | instid1(VALU_DEP_1)
	v_cmp_lt_i16_e64 s7, -1, v13
	v_cndmask_b32_e64 v21, -1, 0xffff8000, s7
	v_cmp_lt_i16_e64 s7, -1, v14
	s_delay_alu instid0(VALU_DEP_2) | instskip(NEXT) | instid1(VALU_DEP_2)
	v_xor_b32_e32 v21, v21, v13
	v_cndmask_b32_e64 v22, -1, 0xffff8000, s7
	s_delay_alu instid0(VALU_DEP_1) | instskip(SKIP_1) | instid1(VALU_DEP_2)
	v_xor_b32_e32 v22, v22, v14
	v_dual_mov_b32 v14, v9 :: v_dual_mov_b32 v13, v8
	v_cmpx_gt_u16_e64 v21, v22
; %bb.47:
	v_dual_mov_b32 v13, v15 :: v_dual_mov_b32 v14, v16
	v_dual_mov_b32 v16, v9 :: v_dual_mov_b32 v15, v8
	v_mov_b32_e32 v50, v37
	v_mov_b32_e32 v37, v49
; %bb.48:
	s_or_b32 exec_lo, exec_lo, s9
	v_add_f16_e32 v8, 0, v39
	v_add_f16_e32 v9, 0, v38
	v_dual_mov_b32 v31, v39 :: v_dual_mov_b32 v30, v24
	v_mov_b32_e32 v29, v23
	s_delay_alu instid0(VALU_DEP_4) | instskip(SKIP_1) | instid1(VALU_DEP_1)
	v_cmp_lt_i16_e64 s7, -1, v8
	s_mov_b32 s9, exec_lo
	v_cndmask_b32_e64 v21, -1, 0xffff8000, s7
	v_cmp_lt_i16_e64 s7, -1, v9
	s_delay_alu instid0(VALU_DEP_2) | instskip(NEXT) | instid1(VALU_DEP_2)
	v_xor_b32_e32 v8, v21, v8
	v_cndmask_b32_e64 v22, -1, 0xffff8000, s7
	s_delay_alu instid0(VALU_DEP_1) | instskip(NEXT) | instid1(VALU_DEP_1)
	v_xor_b32_e32 v9, v22, v9
	v_cmpx_gt_u16_e64 v8, v9
; %bb.49:
	v_dual_mov_b32 v31, v38 :: v_dual_mov_b32 v38, v39
	v_dual_mov_b32 v30, v20 :: v_dual_mov_b32 v29, v19
	;; [unrolled: 1-line block ×3, first 2 shown]
; %bb.50:
	s_or_b32 exec_lo, exec_lo, s9
	v_add_f16_e32 v8, 0, v52
	v_add_f16_e32 v9, 0, v53
	v_mov_b32_e32 v49, v53
	s_mov_b32 s9, exec_lo
	s_delay_alu instid0(VALU_DEP_3) | instskip(NEXT) | instid1(VALU_DEP_1)
	v_cmp_lt_i16_e64 s7, -1, v8
	v_cndmask_b32_e64 v21, -1, 0xffff8000, s7
	v_cmp_lt_i16_e64 s7, -1, v9
	s_delay_alu instid0(VALU_DEP_2) | instskip(NEXT) | instid1(VALU_DEP_2)
	v_xor_b32_e32 v8, v21, v8
	v_cndmask_b32_e64 v22, -1, 0xffff8000, s7
	s_delay_alu instid0(VALU_DEP_1) | instskip(SKIP_1) | instid1(VALU_DEP_2)
	v_xor_b32_e32 v9, v22, v9
	v_dual_mov_b32 v21, v25 :: v_dual_mov_b32 v22, v26
	v_cmpx_gt_u16_e64 v8, v9
; %bb.51:
	v_mov_b32_e32 v49, v52
	v_dual_mov_b32 v21, v27 :: v_dual_mov_b32 v22, v28
	v_dual_mov_b32 v28, v26 :: v_dual_mov_b32 v27, v25
	v_mov_b32_e32 v52, v53
; %bb.52:
	s_or_b32 exec_lo, exec_lo, s9
	v_add_f16_e32 v8, 0, v50
	v_add_f16_e32 v9, 0, v48
	v_mov_b32_e32 v39, v48
	s_mov_b32 s9, exec_lo
	s_delay_alu instid0(VALU_DEP_3) | instskip(NEXT) | instid1(VALU_DEP_1)
	v_cmp_lt_i16_e64 s7, -1, v8
	v_cndmask_b32_e64 v23, -1, 0xffff8000, s7
	v_cmp_lt_i16_e64 s7, -1, v9
	s_delay_alu instid0(VALU_DEP_2) | instskip(NEXT) | instid1(VALU_DEP_2)
	v_xor_b32_e32 v23, v23, v8
	v_cndmask_b32_e64 v24, -1, 0xffff8000, s7
	s_delay_alu instid0(VALU_DEP_1) | instskip(SKIP_1) | instid1(VALU_DEP_2)
	v_xor_b32_e32 v24, v24, v9
	v_dual_mov_b32 v8, v15 :: v_dual_mov_b32 v9, v16
	v_cmpx_gt_u16_e64 v23, v24
; %bb.53:
	v_dual_mov_b32 v8, v17 :: v_dual_mov_b32 v9, v18
	v_dual_mov_b32 v18, v16 :: v_dual_mov_b32 v17, v15
	;; [unrolled: 1-line block ×3, first 2 shown]
; %bb.54:
	s_or_b32 exec_lo, exec_lo, s9
	v_add_f16_e32 v15, 0, v38
	v_add_f16_e32 v16, 0, v36
	v_mov_b32_e32 v48, v38
	s_mov_b32 s9, exec_lo
	s_delay_alu instid0(VALU_DEP_3) | instskip(NEXT) | instid1(VALU_DEP_1)
	v_cmp_lt_i16_e64 s7, -1, v15
	v_cndmask_b32_e64 v23, -1, 0xffff8000, s7
	v_cmp_lt_i16_e64 s7, -1, v16
	s_delay_alu instid0(VALU_DEP_2) | instskip(NEXT) | instid1(VALU_DEP_2)
	v_xor_b32_e32 v15, v23, v15
	v_cndmask_b32_e64 v24, -1, 0xffff8000, s7
	s_delay_alu instid0(VALU_DEP_1) | instskip(SKIP_1) | instid1(VALU_DEP_2)
	v_xor_b32_e32 v16, v24, v16
	v_dual_mov_b32 v24, v20 :: v_dual_mov_b32 v23, v19
	v_cmpx_gt_u16_e64 v15, v16
; %bb.55:
	v_mov_b32_e32 v24, v5
	v_mov_b32_e32 v48, v36
	v_dual_mov_b32 v36, v38 :: v_dual_mov_b32 v23, v4
	v_dual_mov_b32 v4, v19 :: v_dual_mov_b32 v5, v20
; %bb.56:
	s_or_b32 exec_lo, exec_lo, s9
	v_add_f16_e32 v15, 0, v49
	v_add_f16_e32 v16, 0, v31
	v_dual_mov_b32 v38, v49 :: v_dual_mov_b32 v25, v27
	v_mov_b32_e32 v26, v28
	s_delay_alu instid0(VALU_DEP_4) | instskip(SKIP_1) | instid1(VALU_DEP_1)
	v_cmp_lt_i16_e64 s7, -1, v15
	s_mov_b32 s9, exec_lo
	v_cndmask_b32_e64 v19, -1, 0xffff8000, s7
	v_cmp_lt_i16_e64 s7, -1, v16
	s_delay_alu instid0(VALU_DEP_2) | instskip(NEXT) | instid1(VALU_DEP_2)
	v_xor_b32_e32 v15, v19, v15
	v_cndmask_b32_e64 v20, -1, 0xffff8000, s7
	s_delay_alu instid0(VALU_DEP_1) | instskip(NEXT) | instid1(VALU_DEP_1)
	v_xor_b32_e32 v16, v20, v16
	v_cmpx_gt_u16_e64 v15, v16
; %bb.57:
	v_dual_mov_b32 v38, v31 :: v_dual_mov_b32 v31, v49
	v_dual_mov_b32 v25, v29 :: v_dual_mov_b32 v26, v30
	;; [unrolled: 1-line block ×3, first 2 shown]
; %bb.58:
	s_or_b32 exec_lo, exec_lo, s9
	v_add_f16_e32 v15, 0, v39
	v_add_f16_e32 v16, 0, v52
	v_mov_b32_e32 v53, v52
	s_mov_b32 s9, exec_lo
	s_delay_alu instid0(VALU_DEP_3) | instskip(NEXT) | instid1(VALU_DEP_1)
	v_cmp_lt_i16_e64 s7, -1, v15
	v_cndmask_b32_e64 v19, -1, 0xffff8000, s7
	v_cmp_lt_i16_e64 s7, -1, v16
	s_delay_alu instid0(VALU_DEP_2) | instskip(NEXT) | instid1(VALU_DEP_2)
	v_xor_b32_e32 v15, v19, v15
	v_cndmask_b32_e64 v20, -1, 0xffff8000, s7
	s_delay_alu instid0(VALU_DEP_1) | instskip(SKIP_1) | instid1(VALU_DEP_2)
	v_xor_b32_e32 v16, v20, v16
	v_dual_mov_b32 v20, v18 :: v_dual_mov_b32 v19, v17
	v_cmpx_gt_u16_e64 v15, v16
; %bb.59:
	v_dual_mov_b32 v19, v21 :: v_dual_mov_b32 v20, v22
	v_dual_mov_b32 v22, v18 :: v_dual_mov_b32 v21, v17
	v_mov_b32_e32 v53, v39
	v_mov_b32_e32 v39, v52
; %bb.60:
	s_or_b32 exec_lo, exec_lo, s9
	v_add_f16_e32 v15, 0, v37
	v_add_f16_e32 v16, 0, v50
	v_mov_b32_e32 v51, v50
	s_mov_b32 s9, exec_lo
	s_delay_alu instid0(VALU_DEP_3) | instskip(NEXT) | instid1(VALU_DEP_1)
	v_cmp_lt_i16_e64 s7, -1, v15
	v_cndmask_b32_e64 v17, -1, 0xffff8000, s7
	v_cmp_lt_i16_e64 s7, -1, v16
	s_delay_alu instid0(VALU_DEP_2) | instskip(NEXT) | instid1(VALU_DEP_2)
	v_xor_b32_e32 v17, v17, v15
	v_cndmask_b32_e64 v18, -1, 0xffff8000, s7
	s_delay_alu instid0(VALU_DEP_1) | instskip(SKIP_1) | instid1(VALU_DEP_2)
	v_xor_b32_e32 v18, v18, v16
	v_dual_mov_b32 v16, v14 :: v_dual_mov_b32 v15, v13
	v_cmpx_gt_u16_e64 v17, v18
; %bb.61:
	v_dual_mov_b32 v16, v9 :: v_dual_mov_b32 v15, v8
	v_dual_mov_b32 v8, v13 :: v_dual_mov_b32 v9, v14
	v_mov_b32_e32 v51, v37
	v_mov_b32_e32 v37, v50
; %bb.62:
	s_or_b32 exec_lo, exec_lo, s9
	v_add_f16_e32 v13, 0, v31
	v_add_f16_e32 v14, 0, v48
	v_dual_mov_b32 v50, v31 :: v_dual_mov_b32 v27, v29
	v_mov_b32_e32 v28, v30
	s_delay_alu instid0(VALU_DEP_4) | instskip(SKIP_1) | instid1(VALU_DEP_1)
	v_cmp_lt_i16_e64 s7, -1, v13
	s_mov_b32 s9, exec_lo
	v_cndmask_b32_e64 v17, -1, 0xffff8000, s7
	v_cmp_lt_i16_e64 s7, -1, v14
	s_delay_alu instid0(VALU_DEP_2) | instskip(NEXT) | instid1(VALU_DEP_2)
	v_xor_b32_e32 v13, v17, v13
	v_cndmask_b32_e64 v18, -1, 0xffff8000, s7
	s_delay_alu instid0(VALU_DEP_1) | instskip(NEXT) | instid1(VALU_DEP_1)
	v_xor_b32_e32 v14, v18, v14
	v_cmpx_gt_u16_e64 v13, v14
; %bb.63:
	v_mov_b32_e32 v28, v24
	v_dual_mov_b32 v50, v48 :: v_dual_mov_b32 v27, v23
	v_dual_mov_b32 v48, v31 :: v_dual_mov_b32 v23, v29
	v_mov_b32_e32 v24, v30
; %bb.64:
	s_or_b32 exec_lo, exec_lo, s9
	v_add_f16_e32 v13, 0, v53
	v_add_f16_e32 v14, 0, v38
	v_mov_b32_e32 v29, v38
	s_delay_alu instid0(VALU_DEP_3) | instskip(NEXT) | instid1(VALU_DEP_1)
	v_cmp_lt_i16_e64 s7, -1, v13
	v_cndmask_b32_e64 v17, -1, 0xffff8000, s7
	s_delay_alu instid0(VALU_DEP_4) | instskip(NEXT) | instid1(VALU_DEP_2)
	v_cmp_lt_i16_e64 s7, -1, v14
	v_xor_b32_e32 v13, v17, v13
	s_delay_alu instid0(VALU_DEP_2) | instskip(NEXT) | instid1(VALU_DEP_1)
	v_cndmask_b32_e64 v18, -1, 0xffff8000, s7
	v_xor_b32_e32 v14, v18, v14
	s_delay_alu instid0(VALU_DEP_1) | instskip(SKIP_1) | instid1(VALU_DEP_2)
	v_cmp_gt_u16_e64 s7, v13, v14
	v_dual_mov_b32 v13, v21 :: v_dual_mov_b32 v14, v22
	s_and_saveexec_b32 s9, s7
; %bb.65:
	v_mov_b32_e32 v13, v25
	v_dual_mov_b32 v29, v53 :: v_dual_mov_b32 v14, v26
	v_dual_mov_b32 v26, v22 :: v_dual_mov_b32 v25, v21
	v_mov_b32_e32 v53, v38
; %bb.66:
	s_or_b32 exec_lo, exec_lo, s9
	v_add_f16_e32 v17, 0, v51
	v_add_f16_e32 v18, 0, v39
	v_mov_b32_e32 v38, v39
	s_mov_b32 s9, exec_lo
	s_delay_alu instid0(VALU_DEP_3) | instskip(NEXT) | instid1(VALU_DEP_1)
	v_cmp_lt_i16_e64 s7, -1, v17
	v_cndmask_b32_e64 v21, -1, 0xffff8000, s7
	v_cmp_lt_i16_e64 s7, -1, v18
	s_delay_alu instid0(VALU_DEP_2) | instskip(NEXT) | instid1(VALU_DEP_2)
	v_xor_b32_e32 v17, v21, v17
	v_cndmask_b32_e64 v22, -1, 0xffff8000, s7
	s_delay_alu instid0(VALU_DEP_1) | instskip(SKIP_1) | instid1(VALU_DEP_2)
	v_xor_b32_e32 v18, v22, v18
	v_dual_mov_b32 v22, v9 :: v_dual_mov_b32 v21, v8
	v_cmpx_gt_u16_e64 v17, v18
; %bb.67:
	v_dual_mov_b32 v22, v20 :: v_dual_mov_b32 v21, v19
	v_dual_mov_b32 v20, v9 :: v_dual_mov_b32 v19, v8
	v_mov_b32_e32 v38, v51
	v_mov_b32_e32 v51, v39
; %bb.68:
	s_or_b32 exec_lo, exec_lo, s9
	v_add_f16_e32 v8, 0, v48
	v_add_f16_e32 v9, 0, v36
	v_mov_b32_e32 v39, v48
	s_delay_alu instid0(VALU_DEP_3) | instskip(NEXT) | instid1(VALU_DEP_1)
	v_cmp_lt_i16_e64 s7, -1, v8
	v_cndmask_b32_e64 v17, -1, 0xffff8000, s7
	s_delay_alu instid0(VALU_DEP_4) | instskip(NEXT) | instid1(VALU_DEP_2)
	v_cmp_lt_i16_e64 s7, -1, v9
	v_xor_b32_e32 v8, v17, v8
	s_delay_alu instid0(VALU_DEP_2) | instskip(NEXT) | instid1(VALU_DEP_1)
	v_cndmask_b32_e64 v18, -1, 0xffff8000, s7
	v_xor_b32_e32 v9, v18, v9
	s_delay_alu instid0(VALU_DEP_1) | instskip(SKIP_1) | instid1(VALU_DEP_2)
	v_cmp_gt_u16_e64 s7, v8, v9
	v_dual_mov_b32 v8, v23 :: v_dual_mov_b32 v9, v24
	s_and_saveexec_b32 s9, s7
; %bb.69:
	v_mov_b32_e32 v39, v36
	v_dual_mov_b32 v36, v48 :: v_dual_mov_b32 v9, v5
	v_mov_b32_e32 v8, v4
	v_dual_mov_b32 v4, v23 :: v_dual_mov_b32 v5, v24
; %bb.70:
	s_or_b32 exec_lo, exec_lo, s9
	v_add_f16_e32 v17, 0, v29
	v_add_f16_e32 v18, 0, v50
	s_delay_alu instid0(VALU_DEP_2) | instskip(NEXT) | instid1(VALU_DEP_1)
	v_cmp_lt_i16_e64 s7, -1, v17
	v_cndmask_b32_e64 v23, -1, 0xffff8000, s7
	s_delay_alu instid0(VALU_DEP_3) | instskip(NEXT) | instid1(VALU_DEP_2)
	v_cmp_lt_i16_e64 s7, -1, v18
	v_xor_b32_e32 v17, v23, v17
	s_delay_alu instid0(VALU_DEP_2) | instskip(SKIP_1) | instid1(VALU_DEP_2)
	v_cndmask_b32_e64 v24, -1, 0xffff8000, s7
	v_mov_b32_e32 v23, v29
	v_xor_b32_e32 v18, v24, v18
	s_delay_alu instid0(VALU_DEP_1) | instskip(SKIP_1) | instid1(VALU_DEP_2)
	v_cmp_gt_u16_e64 s7, v17, v18
	v_dual_mov_b32 v17, v25 :: v_dual_mov_b32 v18, v26
	s_and_saveexec_b32 s9, s7
; %bb.71:
	v_dual_mov_b32 v23, v50 :: v_dual_mov_b32 v50, v29
	v_dual_mov_b32 v17, v27 :: v_dual_mov_b32 v18, v28
	v_dual_mov_b32 v28, v26 :: v_dual_mov_b32 v27, v25
; %bb.72:
	s_or_b32 exec_lo, exec_lo, s9
	v_add_f16_e32 v24, 0, v38
	v_add_f16_e32 v25, 0, v53
	v_mov_b32_e32 v49, v53
	s_mov_b32 s9, exec_lo
	s_delay_alu instid0(VALU_DEP_3) | instskip(NEXT) | instid1(VALU_DEP_1)
	v_cmp_lt_i16_e64 s7, -1, v24
	v_cndmask_b32_e64 v26, -1, 0xffff8000, s7
	v_cmp_lt_i16_e64 s7, -1, v25
	s_delay_alu instid0(VALU_DEP_2) | instskip(NEXT) | instid1(VALU_DEP_2)
	v_xor_b32_e32 v24, v26, v24
	v_cndmask_b32_e64 v29, -1, 0xffff8000, s7
	s_delay_alu instid0(VALU_DEP_1) | instskip(SKIP_1) | instid1(VALU_DEP_2)
	v_xor_b32_e32 v25, v29, v25
	v_dual_mov_b32 v30, v20 :: v_dual_mov_b32 v29, v19
	v_cmpx_gt_u16_e64 v24, v25
; %bb.73:
	v_dual_mov_b32 v30, v14 :: v_dual_mov_b32 v29, v13
	v_dual_mov_b32 v13, v19 :: v_dual_mov_b32 v14, v20
	;; [unrolled: 1-line block ×3, first 2 shown]
; %bb.74:
	s_or_b32 exec_lo, exec_lo, s9
	v_add_f16_e32 v19, 0, v37
	v_add_f16_e32 v20, 0, v51
	v_mov_b32_e32 v31, v51
	s_mov_b32 s9, exec_lo
	s_delay_alu instid0(VALU_DEP_3) | instskip(NEXT) | instid1(VALU_DEP_1)
	v_cmp_lt_i16_e64 s7, -1, v19
	v_cndmask_b32_e64 v24, -1, 0xffff8000, s7
	v_cmp_lt_i16_e64 s7, -1, v20
	s_delay_alu instid0(VALU_DEP_2) | instskip(NEXT) | instid1(VALU_DEP_2)
	v_xor_b32_e32 v19, v24, v19
	v_cndmask_b32_e64 v25, -1, 0xffff8000, s7
	s_delay_alu instid0(VALU_DEP_1) | instskip(SKIP_1) | instid1(VALU_DEP_2)
	v_xor_b32_e32 v20, v25, v20
	v_dual_mov_b32 v26, v16 :: v_dual_mov_b32 v25, v15
	v_cmpx_gt_u16_e64 v19, v20
; %bb.75:
	v_dual_mov_b32 v26, v22 :: v_dual_mov_b32 v25, v21
	v_dual_mov_b32 v22, v16 :: v_dual_mov_b32 v21, v15
	v_mov_b32_e32 v31, v37
	v_mov_b32_e32 v37, v51
; %bb.76:
	s_or_b32 exec_lo, exec_lo, s9
	v_add_f16_e32 v15, 0, v50
	v_add_f16_e32 v16, 0, v39
	v_mov_b32_e32 v48, v50
	s_delay_alu instid0(VALU_DEP_3) | instskip(NEXT) | instid1(VALU_DEP_1)
	v_cmp_lt_i16_e64 s7, -1, v15
	v_cndmask_b32_e64 v19, -1, 0xffff8000, s7
	s_delay_alu instid0(VALU_DEP_4) | instskip(NEXT) | instid1(VALU_DEP_2)
	v_cmp_lt_i16_e64 s7, -1, v16
	v_xor_b32_e32 v15, v19, v15
	s_delay_alu instid0(VALU_DEP_2) | instskip(NEXT) | instid1(VALU_DEP_1)
	v_cndmask_b32_e64 v20, -1, 0xffff8000, s7
	v_xor_b32_e32 v16, v20, v16
	s_delay_alu instid0(VALU_DEP_1) | instskip(SKIP_1) | instid1(VALU_DEP_2)
	v_cmp_gt_u16_e64 s7, v15, v16
	v_dual_mov_b32 v15, v27 :: v_dual_mov_b32 v16, v28
	s_and_saveexec_b32 s9, s7
; %bb.77:
	v_dual_mov_b32 v48, v39 :: v_dual_mov_b32 v39, v50
	v_dual_mov_b32 v16, v9 :: v_dual_mov_b32 v15, v8
	v_dual_mov_b32 v8, v27 :: v_dual_mov_b32 v9, v28
; %bb.78:
	s_or_b32 exec_lo, exec_lo, s9
	v_add_f16_e32 v19, 0, v49
	v_add_f16_e32 v20, 0, v23
	v_mov_b32_e32 v51, v23
	s_delay_alu instid0(VALU_DEP_3) | instskip(NEXT) | instid1(VALU_DEP_1)
	v_cmp_lt_i16_e64 s7, -1, v19
	v_cndmask_b32_e64 v24, -1, 0xffff8000, s7
	s_delay_alu instid0(VALU_DEP_4) | instskip(NEXT) | instid1(VALU_DEP_2)
	v_cmp_lt_i16_e64 s7, -1, v20
	v_xor_b32_e32 v19, v24, v19
	s_delay_alu instid0(VALU_DEP_2) | instskip(NEXT) | instid1(VALU_DEP_1)
	v_cndmask_b32_e64 v27, -1, 0xffff8000, s7
	v_xor_b32_e32 v20, v27, v20
	s_delay_alu instid0(VALU_DEP_1) | instskip(SKIP_1) | instid1(VALU_DEP_2)
	v_cmp_gt_u16_e64 s7, v19, v20
	v_dual_mov_b32 v20, v14 :: v_dual_mov_b32 v19, v13
	s_and_saveexec_b32 s9, s7
; %bb.79:
	v_dual_mov_b32 v51, v49 :: v_dual_mov_b32 v20, v18
	v_dual_mov_b32 v19, v17 :: v_dual_mov_b32 v18, v14
	v_mov_b32_e32 v17, v13
	v_mov_b32_e32 v49, v23
; %bb.80:
	s_or_b32 exec_lo, exec_lo, s9
	v_add_f16_e32 v13, 0, v31
	v_add_f16_e32 v14, 0, v38
	v_mov_b32_e32 v50, v31
	s_mov_b32 s9, exec_lo
	s_delay_alu instid0(VALU_DEP_3) | instskip(NEXT) | instid1(VALU_DEP_1)
	v_cmp_lt_i16_e64 s7, -1, v13
	v_cndmask_b32_e64 v23, -1, 0xffff8000, s7
	v_cmp_lt_i16_e64 s7, -1, v14
	s_delay_alu instid0(VALU_DEP_2) | instskip(NEXT) | instid1(VALU_DEP_2)
	v_xor_b32_e32 v13, v23, v13
	v_cndmask_b32_e64 v24, -1, 0xffff8000, s7
	s_delay_alu instid0(VALU_DEP_1) | instskip(SKIP_1) | instid1(VALU_DEP_2)
	v_xor_b32_e32 v14, v24, v14
	v_dual_mov_b32 v23, v29 :: v_dual_mov_b32 v24, v30
	v_cmpx_gt_u16_e64 v13, v14
; %bb.81:
	v_mov_b32_e32 v24, v22
	v_dual_mov_b32 v50, v38 :: v_dual_mov_b32 v23, v21
	v_dual_mov_b32 v38, v31 :: v_dual_mov_b32 v21, v29
	v_mov_b32_e32 v22, v30
; %bb.82:
	s_or_b32 exec_lo, exec_lo, s9
.LBB1756_83:
	s_delay_alu instid0(SALU_CYCLE_1) | instskip(SKIP_4) | instid1(VALU_DEP_3)
	s_or_b32 exec_lo, exec_lo, s8
	v_and_b32_e32 v28, 0xffffff00, v10
	v_or_b32_e32 v29, 8, v35
	v_and_b32_e32 v54, 0xf0, v35
	s_mov_b32 s8, exec_lo
	v_sub_nc_u32_e64 v27, 0x800, v28 clamp
	v_lshlrev_b32_e32 v10, 1, v28
	s_delay_alu instid0(VALU_DEP_2) | instskip(SKIP_1) | instid1(VALU_DEP_3)
	v_min_u32_e32 v30, v27, v29
	v_and_b32_e32 v29, 8, v35
	v_mad_u64_u32 v[13:14], null, v28, 6, v[10:11]
	v_lshl_or_b32 v14, v35, 1, v10
	s_delay_alu instid0(VALU_DEP_4) | instskip(NEXT) | instid1(VALU_DEP_4)
	v_add_nc_u32_e32 v31, 8, v30
	v_min_u32_e32 v55, v27, v29
	v_sub_nc_u32_e32 v29, v30, v54
	v_lshl_or_b32 v53, v54, 1, v10
	ds_store_b16 v14, v36
	v_min_u32_e32 v31, v27, v31
	v_lshl_add_u32 v28, v35, 3, v13
	v_min_u32_e32 v29, v55, v29
	ds_store_b64 v28, v[4:5] offset:4096
	ds_store_b16 v14, v39 offset:2
	ds_store_b64 v28, v[8:9] offset:4104
	ds_store_b16 v14, v48 offset:4
	;; [unrolled: 2-line block ×3, first 2 shown]
	v_sub_nc_u32_e32 v52, v31, v30
	ds_store_b64 v28, v[17:18] offset:4120
	ds_store_b16 v14, v49 offset:8
	ds_store_b64 v28, v[19:20] offset:4128
	ds_store_b16 v14, v38 offset:10
	ds_store_b64 v28, v[23:24] offset:4136
	ds_store_b16 v14, v50 offset:12
	ds_store_b64 v28, v[21:22] offset:4144
	ds_store_b16 v14, v37 offset:14
	ds_store_b64 v28, v[25:26] offset:4152
	v_sub_nc_u32_e64 v52, v55, v52 clamp
	; wave barrier
	s_delay_alu instid0(VALU_DEP_1)
	v_cmpx_lt_u32_e64 v52, v29
	s_cbranch_execz .LBB1756_87
; %bb.84:
	v_lshlrev_b32_e32 v64, 1, v30
	v_lshlrev_b32_e32 v65, 1, v55
	s_mov_b32 s9, 0
	s_delay_alu instid0(VALU_DEP_1)
	v_add3_u32 v64, v10, v64, v65
	s_set_inst_prefetch_distance 0x1
	.p2align	6
.LBB1756_85:                            ; =>This Inner Loop Header: Depth=1
	v_add_nc_u32_e32 v65, v29, v52
	s_delay_alu instid0(VALU_DEP_1) | instskip(SKIP_1) | instid1(VALU_DEP_2)
	v_lshrrev_b32_e32 v66, 1, v65
	v_and_b32_e32 v65, -2, v65
	v_not_b32_e32 v67, v66
	s_delay_alu instid0(VALU_DEP_2) | instskip(NEXT) | instid1(VALU_DEP_2)
	v_add_nc_u32_e32 v65, v53, v65
	v_lshl_add_u32 v67, v67, 1, v64
	ds_load_u16 v65, v65
	ds_load_u16 v67, v67
	s_waitcnt lgkmcnt(1)
	v_add_f16_e32 v65, 0, v65
	s_waitcnt lgkmcnt(0)
	v_add_f16_e32 v67, 0, v67
	s_delay_alu instid0(VALU_DEP_2) | instskip(NEXT) | instid1(VALU_DEP_1)
	v_cmp_lt_i16_e64 s7, -1, v65
	v_cndmask_b32_e64 v68, -1, 0xffff8000, s7
	s_delay_alu instid0(VALU_DEP_3) | instskip(NEXT) | instid1(VALU_DEP_2)
	v_cmp_lt_i16_e64 s7, -1, v67
	v_xor_b32_e32 v65, v68, v65
	s_delay_alu instid0(VALU_DEP_2) | instskip(SKIP_1) | instid1(VALU_DEP_2)
	v_cndmask_b32_e64 v69, -1, 0xffff8000, s7
	v_add_nc_u32_e32 v68, 1, v66
	v_xor_b32_e32 v67, v69, v67
	s_delay_alu instid0(VALU_DEP_1) | instskip(NEXT) | instid1(VALU_DEP_1)
	v_cmp_gt_u16_e64 s7, v67, v65
	v_cndmask_b32_e64 v29, v29, v66, s7
	s_delay_alu instid0(VALU_DEP_4) | instskip(NEXT) | instid1(VALU_DEP_1)
	v_cndmask_b32_e64 v52, v68, v52, s7
	v_cmp_ge_u32_e64 s7, v52, v29
	s_delay_alu instid0(VALU_DEP_1) | instskip(NEXT) | instid1(SALU_CYCLE_1)
	s_or_b32 s9, s7, s9
	s_and_not1_b32 exec_lo, exec_lo, s9
	s_cbranch_execnz .LBB1756_85
; %bb.86:
	s_set_inst_prefetch_distance 0x2
	s_or_b32 exec_lo, exec_lo, s9
.LBB1756_87:
	s_delay_alu instid0(SALU_CYCLE_1) | instskip(SKIP_3) | instid1(VALU_DEP_3)
	s_or_b32 exec_lo, exec_lo, s8
	v_add_nc_u32_e32 v55, v30, v55
	v_add_nc_u32_e32 v54, v52, v54
	;; [unrolled: 1-line block ×3, first 2 shown]
	v_sub_nc_u32_e32 v55, v55, v52
	s_delay_alu instid0(VALU_DEP_3) | instskip(NEXT) | instid1(VALU_DEP_2)
	v_cmp_le_u32_e64 s7, v54, v30
	v_cmp_le_u32_e64 s8, v55, v31
	s_delay_alu instid0(VALU_DEP_1) | instskip(NEXT) | instid1(SALU_CYCLE_1)
	s_or_b32 s7, s7, s8
	s_and_saveexec_b32 s9, s7
	s_cbranch_execz .LBB1756_123
; %bb.88:
	v_cmp_ge_u32_e64 s7, v54, v30
	s_mov_b32 s10, exec_lo
                                        ; implicit-def: $vgpr36
	v_cmpx_lt_u32_e64 v54, v30
	s_cbranch_execz .LBB1756_90
; %bb.89:
	v_lshl_add_u32 v4, v52, 1, v53
	ds_load_u16 v36, v4
.LBB1756_90:
	s_or_b32 exec_lo, exec_lo, s10
	v_cmp_ge_u32_e64 s10, v55, v31
	s_mov_b32 s11, exec_lo
                                        ; implicit-def: $vgpr37
	v_cmpx_lt_u32_e64 v55, v31
	s_cbranch_execz .LBB1756_92
; %bb.91:
	v_lshl_add_u32 v4, v55, 1, v10
	ds_load_u16 v37, v4
.LBB1756_92:
	s_or_b32 exec_lo, exec_lo, s11
	s_or_b32 s7, s7, s10
	s_mov_b32 s8, -1
	s_xor_b32 s7, s7, -1
	s_delay_alu instid0(SALU_CYCLE_1)
	s_and_saveexec_b32 s11, s7
	s_cbranch_execz .LBB1756_94
; %bb.93:
	s_waitcnt lgkmcnt(0)
	v_add_f16_e32 v4, 0, v37
	v_add_f16_e32 v5, 0, v36
	s_and_not1_b32 s10, s10, exec_lo
	s_delay_alu instid0(VALU_DEP_2) | instskip(NEXT) | instid1(VALU_DEP_1)
	v_cmp_lt_i16_e64 s7, -1, v4
	v_cndmask_b32_e64 v8, -1, 0xffff8000, s7
	s_delay_alu instid0(VALU_DEP_3) | instskip(NEXT) | instid1(VALU_DEP_2)
	v_cmp_lt_i16_e64 s7, -1, v5
	v_xor_b32_e32 v4, v8, v4
	s_delay_alu instid0(VALU_DEP_2) | instskip(NEXT) | instid1(VALU_DEP_1)
	v_cndmask_b32_e64 v9, -1, 0xffff8000, s7
	v_xor_b32_e32 v5, v9, v5
	s_delay_alu instid0(VALU_DEP_1) | instskip(NEXT) | instid1(VALU_DEP_1)
	v_cmp_le_u16_e64 s7, v4, v5
	s_and_b32 s7, s7, exec_lo
	s_delay_alu instid0(SALU_CYCLE_1)
	s_or_b32 s10, s10, s7
.LBB1756_94:
	s_or_b32 exec_lo, exec_lo, s11
	v_cndmask_b32_e64 v4, v55, v54, s10
	v_cndmask_b32_e64 v5, v31, v30, s10
	s_mov_b32 s11, exec_lo
	s_delay_alu instid0(VALU_DEP_2) | instskip(NEXT) | instid1(VALU_DEP_2)
	v_add_nc_u32_e32 v8, 1, v4
	v_add_nc_u32_e32 v5, -1, v5
	v_lshl_add_u32 v4, v4, 3, v13
	s_delay_alu instid0(VALU_DEP_3) | instskip(NEXT) | instid1(VALU_DEP_3)
	v_cndmask_b32_e64 v15, v8, v55, s10
	v_min_u32_e32 v5, v8, v5
	v_cndmask_b32_e64 v16, v54, v8, s10
	s_delay_alu instid0(VALU_DEP_2)
	v_lshl_add_u32 v5, v5, 1, v10
	ds_load_u16 v9, v5
	ds_load_b64 v[4:5], v4 offset:4096
	s_waitcnt lgkmcnt(1)
	v_cndmask_b32_e64 v39, v9, v37, s10
	v_cndmask_b32_e64 v52, v36, v9, s10
	v_cmpx_lt_u32_e64 v15, v31
	s_cbranch_execz .LBB1756_98
; %bb.95:
	s_mov_b32 s12, 0
	s_mov_b32 s8, exec_lo
	v_cmpx_lt_u32_e64 v16, v30
; %bb.96:
	v_add_f16_e32 v8, 0, v39
	v_add_f16_e32 v9, 0, v52
	s_delay_alu instid0(VALU_DEP_2) | instskip(NEXT) | instid1(VALU_DEP_1)
	v_cmp_lt_i16_e64 s7, -1, v8
	v_cndmask_b32_e64 v17, -1, 0xffff8000, s7
	s_delay_alu instid0(VALU_DEP_3) | instskip(NEXT) | instid1(VALU_DEP_2)
	v_cmp_lt_i16_e64 s7, -1, v9
	v_xor_b32_e32 v8, v17, v8
	s_delay_alu instid0(VALU_DEP_2) | instskip(NEXT) | instid1(VALU_DEP_1)
	v_cndmask_b32_e64 v18, -1, 0xffff8000, s7
	v_xor_b32_e32 v9, v18, v9
	s_delay_alu instid0(VALU_DEP_1) | instskip(NEXT) | instid1(VALU_DEP_1)
	v_cmp_le_u16_e64 s7, v8, v9
	s_and_b32 s12, s7, exec_lo
; %bb.97:
	s_or_b32 exec_lo, exec_lo, s8
	s_delay_alu instid0(SALU_CYCLE_1)
	s_or_not1_b32 s8, s12, exec_lo
.LBB1756_98:
	s_or_b32 exec_lo, exec_lo, s11
	v_cndmask_b32_e64 v8, v15, v16, s8
	v_cndmask_b32_e64 v9, v31, v30, s8
	s_mov_b32 s12, -1
	s_mov_b32 s11, -1
	s_mov_b32 s13, exec_lo
	v_add_nc_u32_e32 v18, 1, v8
	v_add_nc_u32_e32 v9, -1, v9
	v_lshl_add_u32 v8, v8, 3, v13
	s_delay_alu instid0(VALU_DEP_3) | instskip(NEXT) | instid1(VALU_DEP_3)
	v_cndmask_b32_e64 v17, v18, v15, s8
	v_min_u32_e32 v9, v18, v9
	v_cndmask_b32_e64 v18, v16, v18, s8
	s_delay_alu instid0(VALU_DEP_2)
	v_lshl_add_u32 v9, v9, 1, v10
	ds_load_u16 v19, v9
	ds_load_b64 v[8:9], v8 offset:4096
	s_waitcnt lgkmcnt(1)
	v_cndmask_b32_e64 v48, v19, v39, s8
	v_cndmask_b32_e64 v53, v52, v19, s8
	v_cmpx_lt_u32_e64 v17, v31
	s_cbranch_execz .LBB1756_102
; %bb.99:
	s_mov_b32 s14, 0
	s_mov_b32 s11, exec_lo
	v_cmpx_lt_u32_e64 v18, v30
; %bb.100:
	v_add_f16_e32 v15, 0, v48
	v_add_f16_e32 v16, 0, v53
	s_delay_alu instid0(VALU_DEP_2) | instskip(NEXT) | instid1(VALU_DEP_1)
	v_cmp_lt_i16_e64 s7, -1, v15
	v_cndmask_b32_e64 v19, -1, 0xffff8000, s7
	s_delay_alu instid0(VALU_DEP_3) | instskip(NEXT) | instid1(VALU_DEP_2)
	v_cmp_lt_i16_e64 s7, -1, v16
	v_xor_b32_e32 v15, v19, v15
	s_delay_alu instid0(VALU_DEP_2) | instskip(NEXT) | instid1(VALU_DEP_1)
	v_cndmask_b32_e64 v20, -1, 0xffff8000, s7
	v_xor_b32_e32 v16, v20, v16
	s_delay_alu instid0(VALU_DEP_1) | instskip(NEXT) | instid1(VALU_DEP_1)
	v_cmp_le_u16_e64 s7, v15, v16
	s_and_b32 s14, s7, exec_lo
; %bb.101:
	s_or_b32 exec_lo, exec_lo, s11
	s_delay_alu instid0(SALU_CYCLE_1)
	s_or_not1_b32 s11, s14, exec_lo
.LBB1756_102:
	s_or_b32 exec_lo, exec_lo, s13
	v_cndmask_b32_e64 v15, v17, v18, s11
	v_cndmask_b32_e64 v16, v31, v30, s11
	s_mov_b32 s13, exec_lo
	s_delay_alu instid0(VALU_DEP_2) | instskip(NEXT) | instid1(VALU_DEP_2)
	v_add_nc_u32_e32 v20, 1, v15
	v_add_nc_u32_e32 v16, -1, v16
	v_lshl_add_u32 v15, v15, 3, v13
	s_delay_alu instid0(VALU_DEP_3) | instskip(NEXT) | instid1(VALU_DEP_3)
	v_cndmask_b32_e64 v19, v20, v17, s11
	v_min_u32_e32 v16, v20, v16
	v_cndmask_b32_e64 v20, v18, v20, s11
	s_delay_alu instid0(VALU_DEP_2)
	v_lshl_add_u32 v16, v16, 1, v10
	ds_load_u16 v21, v16
	ds_load_b64 v[15:16], v15 offset:4096
	s_waitcnt lgkmcnt(1)
	v_cndmask_b32_e64 v51, v21, v48, s11
	v_cndmask_b32_e64 v54, v53, v21, s11
	v_cmpx_lt_u32_e64 v19, v31
	s_cbranch_execz .LBB1756_106
; %bb.103:
	s_mov_b32 s14, 0
	s_mov_b32 s12, exec_lo
	v_cmpx_lt_u32_e64 v20, v30
; %bb.104:
	v_add_f16_e32 v17, 0, v51
	v_add_f16_e32 v18, 0, v54
	s_delay_alu instid0(VALU_DEP_2) | instskip(NEXT) | instid1(VALU_DEP_1)
	v_cmp_lt_i16_e64 s7, -1, v17
	v_cndmask_b32_e64 v21, -1, 0xffff8000, s7
	s_delay_alu instid0(VALU_DEP_3) | instskip(NEXT) | instid1(VALU_DEP_2)
	v_cmp_lt_i16_e64 s7, -1, v18
	v_xor_b32_e32 v17, v21, v17
	s_delay_alu instid0(VALU_DEP_2) | instskip(NEXT) | instid1(VALU_DEP_1)
	v_cndmask_b32_e64 v22, -1, 0xffff8000, s7
	v_xor_b32_e32 v18, v22, v18
	s_delay_alu instid0(VALU_DEP_1) | instskip(NEXT) | instid1(VALU_DEP_1)
	v_cmp_le_u16_e64 s7, v17, v18
	s_and_b32 s14, s7, exec_lo
; %bb.105:
	s_or_b32 exec_lo, exec_lo, s12
	s_delay_alu instid0(SALU_CYCLE_1)
	s_or_not1_b32 s12, s14, exec_lo
.LBB1756_106:
	s_or_b32 exec_lo, exec_lo, s13
	v_cndmask_b32_e64 v17, v19, v20, s12
	v_cndmask_b32_e64 v18, v31, v30, s12
	s_mov_b32 s14, -1
	s_mov_b32 s13, -1
	s_mov_b32 s15, exec_lo
	v_add_nc_u32_e32 v22, 1, v17
	v_add_nc_u32_e32 v18, -1, v18
	v_lshl_add_u32 v17, v17, 3, v13
	s_delay_alu instid0(VALU_DEP_3) | instskip(NEXT) | instid1(VALU_DEP_3)
	v_cndmask_b32_e64 v21, v22, v19, s12
	v_min_u32_e32 v18, v22, v18
	v_cndmask_b32_e64 v22, v20, v22, s12
	s_delay_alu instid0(VALU_DEP_2)
	v_lshl_add_u32 v18, v18, 1, v10
	ds_load_u16 v23, v18
	ds_load_b64 v[17:18], v17 offset:4096
	s_waitcnt lgkmcnt(1)
	v_cndmask_b32_e64 v49, v23, v51, s12
	v_cndmask_b32_e64 v55, v54, v23, s12
	v_cmpx_lt_u32_e64 v21, v31
	s_cbranch_execz .LBB1756_110
; %bb.107:
	s_mov_b32 s16, 0
	s_mov_b32 s13, exec_lo
	v_cmpx_lt_u32_e64 v22, v30
; %bb.108:
	v_add_f16_e32 v19, 0, v49
	v_add_f16_e32 v20, 0, v55
	s_delay_alu instid0(VALU_DEP_2) | instskip(NEXT) | instid1(VALU_DEP_1)
	v_cmp_lt_i16_e64 s7, -1, v19
	v_cndmask_b32_e64 v23, -1, 0xffff8000, s7
	s_delay_alu instid0(VALU_DEP_3) | instskip(NEXT) | instid1(VALU_DEP_2)
	v_cmp_lt_i16_e64 s7, -1, v20
	v_xor_b32_e32 v19, v23, v19
	s_delay_alu instid0(VALU_DEP_2) | instskip(NEXT) | instid1(VALU_DEP_1)
	v_cndmask_b32_e64 v24, -1, 0xffff8000, s7
	v_xor_b32_e32 v20, v24, v20
	s_delay_alu instid0(VALU_DEP_1) | instskip(NEXT) | instid1(VALU_DEP_1)
	v_cmp_le_u16_e64 s7, v19, v20
	s_and_b32 s16, s7, exec_lo
; %bb.109:
	s_or_b32 exec_lo, exec_lo, s13
	s_delay_alu instid0(SALU_CYCLE_1)
	s_or_not1_b32 s13, s16, exec_lo
.LBB1756_110:
	s_or_b32 exec_lo, exec_lo, s15
	v_cndmask_b32_e64 v19, v21, v22, s13
	v_cndmask_b32_e64 v20, v31, v30, s13
	s_mov_b32 s15, exec_lo
	s_delay_alu instid0(VALU_DEP_2) | instskip(NEXT) | instid1(VALU_DEP_2)
	v_add_nc_u32_e32 v23, 1, v19
	v_add_nc_u32_e32 v20, -1, v20
	v_lshl_add_u32 v19, v19, 3, v13
	s_delay_alu instid0(VALU_DEP_3) | instskip(NEXT) | instid1(VALU_DEP_3)
	v_cndmask_b32_e64 v21, v23, v21, s13
	v_min_u32_e32 v20, v23, v20
	v_cndmask_b32_e64 v22, v22, v23, s13
	s_delay_alu instid0(VALU_DEP_2)
	v_lshl_add_u32 v20, v20, 1, v10
	ds_load_u16 v24, v20
	ds_load_b64 v[19:20], v19 offset:4096
	s_waitcnt lgkmcnt(1)
	v_cndmask_b32_e64 v38, v24, v49, s13
	v_cndmask_b32_e64 v64, v55, v24, s13
	v_cmpx_lt_u32_e64 v21, v31
	s_cbranch_execz .LBB1756_114
; %bb.111:
	s_mov_b32 s16, 0
	s_mov_b32 s14, exec_lo
	v_cmpx_lt_u32_e64 v22, v30
; %bb.112:
	v_add_f16_e32 v23, 0, v38
	v_add_f16_e32 v24, 0, v64
	s_delay_alu instid0(VALU_DEP_2) | instskip(NEXT) | instid1(VALU_DEP_1)
	v_cmp_lt_i16_e64 s7, -1, v23
	v_cndmask_b32_e64 v25, -1, 0xffff8000, s7
	s_delay_alu instid0(VALU_DEP_3) | instskip(NEXT) | instid1(VALU_DEP_2)
	v_cmp_lt_i16_e64 s7, -1, v24
	v_xor_b32_e32 v23, v25, v23
	s_delay_alu instid0(VALU_DEP_2) | instskip(NEXT) | instid1(VALU_DEP_1)
	v_cndmask_b32_e64 v26, -1, 0xffff8000, s7
	v_xor_b32_e32 v24, v26, v24
	s_delay_alu instid0(VALU_DEP_1) | instskip(NEXT) | instid1(VALU_DEP_1)
	v_cmp_le_u16_e64 s7, v23, v24
	s_and_b32 s16, s7, exec_lo
; %bb.113:
	s_or_b32 exec_lo, exec_lo, s14
	s_delay_alu instid0(SALU_CYCLE_1)
	s_or_not1_b32 s14, s16, exec_lo
.LBB1756_114:
	s_or_b32 exec_lo, exec_lo, s15
	v_cndmask_b32_e64 v23, v21, v22, s14
	v_cndmask_b32_e64 v24, v31, v30, s14
	s_mov_b32 s15, -1
	s_mov_b32 s16, -1
	s_mov_b32 s17, exec_lo
	v_add_nc_u32_e32 v26, 1, v23
	v_add_nc_u32_e32 v24, -1, v24
	v_lshl_add_u32 v23, v23, 3, v13
	s_delay_alu instid0(VALU_DEP_3) | instskip(NEXT) | instid1(VALU_DEP_3)
	v_cndmask_b32_e64 v25, v26, v21, s14
	v_min_u32_e32 v24, v26, v24
	v_cndmask_b32_e64 v26, v22, v26, s14
	s_delay_alu instid0(VALU_DEP_2)
	v_lshl_add_u32 v24, v24, 1, v10
	ds_load_u16 v65, v24
	ds_load_b64 v[23:24], v23 offset:4096
	s_waitcnt lgkmcnt(1)
	v_cndmask_b32_e64 v50, v65, v38, s14
	v_cndmask_b32_e64 v65, v64, v65, s14
	v_cmpx_lt_u32_e64 v25, v31
	s_cbranch_execz .LBB1756_118
; %bb.115:
	s_mov_b32 s18, 0
	s_mov_b32 s16, exec_lo
	v_cmpx_lt_u32_e64 v26, v30
; %bb.116:
	v_add_f16_e32 v21, 0, v50
	v_add_f16_e32 v22, 0, v65
	s_delay_alu instid0(VALU_DEP_2) | instskip(NEXT) | instid1(VALU_DEP_1)
	v_cmp_lt_i16_e64 s7, -1, v21
	v_cndmask_b32_e64 v66, -1, 0xffff8000, s7
	s_delay_alu instid0(VALU_DEP_3) | instskip(NEXT) | instid1(VALU_DEP_2)
	v_cmp_lt_i16_e64 s7, -1, v22
	v_xor_b32_e32 v21, v66, v21
	s_delay_alu instid0(VALU_DEP_2) | instskip(NEXT) | instid1(VALU_DEP_1)
	v_cndmask_b32_e64 v67, -1, 0xffff8000, s7
	v_xor_b32_e32 v22, v67, v22
	s_delay_alu instid0(VALU_DEP_1) | instskip(NEXT) | instid1(VALU_DEP_1)
	v_cmp_le_u16_e64 s7, v21, v22
	s_and_b32 s18, s7, exec_lo
; %bb.117:
	s_or_b32 exec_lo, exec_lo, s16
	s_delay_alu instid0(SALU_CYCLE_1)
	s_or_not1_b32 s16, s18, exec_lo
.LBB1756_118:
	s_or_b32 exec_lo, exec_lo, s17
	v_cndmask_b32_e64 v21, v25, v26, s16
	v_cndmask_b32_e64 v22, v31, v30, s16
	s_mov_b32 s17, exec_lo
	s_delay_alu instid0(VALU_DEP_2) | instskip(NEXT) | instid1(VALU_DEP_2)
	v_add_nc_u32_e32 v66, 1, v21
	v_add_nc_u32_e32 v22, -1, v22
	v_lshl_add_u32 v21, v21, 3, v13
	s_delay_alu instid0(VALU_DEP_3) | instskip(NEXT) | instid1(VALU_DEP_3)
	v_cndmask_b32_e64 v25, v66, v25, s16
	v_min_u32_e32 v22, v66, v22
	v_cndmask_b32_e64 v26, v26, v66, s16
	s_delay_alu instid0(VALU_DEP_2)
	v_lshl_add_u32 v22, v22, 1, v10
	ds_load_u16 v67, v22
	ds_load_b64 v[21:22], v21 offset:4096
	s_waitcnt lgkmcnt(1)
	v_cndmask_b32_e64 v66, v67, v50, s16
	v_cndmask_b32_e64 v67, v65, v67, s16
	v_cmpx_lt_u32_e64 v25, v31
	s_cbranch_execz .LBB1756_122
; %bb.119:
	s_mov_b32 s18, 0
	s_mov_b32 s15, exec_lo
	v_cmpx_lt_u32_e64 v26, v30
; %bb.120:
	v_add_f16_e32 v30, 0, v66
	v_add_f16_e32 v31, 0, v67
	s_delay_alu instid0(VALU_DEP_2) | instskip(NEXT) | instid1(VALU_DEP_1)
	v_cmp_lt_i16_e64 s7, -1, v30
	v_cndmask_b32_e64 v68, -1, 0xffff8000, s7
	s_delay_alu instid0(VALU_DEP_3) | instskip(NEXT) | instid1(VALU_DEP_2)
	v_cmp_lt_i16_e64 s7, -1, v31
	v_xor_b32_e32 v30, v68, v30
	s_delay_alu instid0(VALU_DEP_2) | instskip(NEXT) | instid1(VALU_DEP_1)
	v_cndmask_b32_e64 v69, -1, 0xffff8000, s7
	v_xor_b32_e32 v31, v69, v31
	s_delay_alu instid0(VALU_DEP_1) | instskip(NEXT) | instid1(VALU_DEP_1)
	v_cmp_le_u16_e64 s7, v30, v31
	s_and_b32 s18, s7, exec_lo
; %bb.121:
	s_or_b32 exec_lo, exec_lo, s15
	s_delay_alu instid0(SALU_CYCLE_1)
	s_or_not1_b32 s15, s18, exec_lo
.LBB1756_122:
	s_or_b32 exec_lo, exec_lo, s17
	v_cndmask_b32_e64 v25, v25, v26, s15
	v_cndmask_b32_e64 v50, v50, v65, s16
	;; [unrolled: 1-line block ×5, first 2 shown]
	v_lshl_add_u32 v25, v25, 3, v13
	v_cndmask_b32_e64 v48, v48, v53, s11
	v_cndmask_b32_e64 v39, v39, v52, s8
	;; [unrolled: 1-line block ×4, first 2 shown]
	ds_load_b64 v[25:26], v25 offset:4096
.LBB1756_123:
	s_or_b32 exec_lo, exec_lo, s9
	v_and_b32_e32 v54, 0xe0, v35
	v_and_b32_e32 v52, 24, v35
	s_mov_b32 s8, exec_lo
	; wave barrier
	s_delay_alu instid0(VALU_DEP_2) | instskip(NEXT) | instid1(VALU_DEP_2)
	v_or_b32_e32 v30, 16, v54
	v_min_u32_e32 v55, v27, v52
	ds_store_b16 v14, v36
	ds_store_b64 v28, v[4:5] offset:4096
	ds_store_b16 v14, v39 offset:2
	ds_store_b64 v29, v[8:9] offset:8
	ds_store_b16 v14, v48 offset:4
	ds_store_b64 v29, v[15:16] offset:16
	ds_store_b16 v14, v51 offset:6
	ds_store_b64 v29, v[17:18] offset:24
	v_min_u32_e32 v30, v27, v30
	ds_store_b16 v14, v49 offset:8
	ds_store_b64 v29, v[19:20] offset:32
	ds_store_b16 v14, v38 offset:10
	ds_store_b64 v29, v[23:24] offset:40
	ds_store_b16 v14, v50 offset:12
	s_waitcnt lgkmcnt(14)
	ds_store_b64 v29, v[21:22] offset:48
	ds_store_b16 v14, v37 offset:14
	s_waitcnt lgkmcnt(15)
	ds_store_b64 v29, v[25:26] offset:56
	v_add_nc_u32_e32 v31, 16, v30
	v_sub_nc_u32_e32 v53, v30, v54
	; wave barrier
	s_delay_alu instid0(VALU_DEP_2) | instskip(NEXT) | instid1(VALU_DEP_2)
	v_min_u32_e32 v31, v27, v31
	v_min_u32_e32 v64, v55, v53
	v_lshl_add_u32 v53, v54, 1, v10
	s_delay_alu instid0(VALU_DEP_3) | instskip(NEXT) | instid1(VALU_DEP_1)
	v_sub_nc_u32_e32 v52, v31, v30
	v_sub_nc_u32_e64 v52, v55, v52 clamp
	s_delay_alu instid0(VALU_DEP_1)
	v_cmpx_lt_u32_e64 v52, v64
	s_cbranch_execz .LBB1756_127
; %bb.124:
	v_lshlrev_b32_e32 v65, 1, v30
	v_lshlrev_b32_e32 v66, 1, v55
	s_mov_b32 s9, 0
	s_delay_alu instid0(VALU_DEP_1)
	v_add3_u32 v65, v10, v65, v66
	s_set_inst_prefetch_distance 0x1
	.p2align	6
.LBB1756_125:                           ; =>This Inner Loop Header: Depth=1
	v_add_nc_u32_e32 v66, v64, v52
	s_delay_alu instid0(VALU_DEP_1) | instskip(SKIP_1) | instid1(VALU_DEP_2)
	v_lshrrev_b32_e32 v67, 1, v66
	v_and_b32_e32 v66, -2, v66
	v_not_b32_e32 v68, v67
	s_delay_alu instid0(VALU_DEP_2) | instskip(NEXT) | instid1(VALU_DEP_2)
	v_add_nc_u32_e32 v66, v53, v66
	v_lshl_add_u32 v68, v68, 1, v65
	ds_load_u16 v66, v66
	ds_load_u16 v68, v68
	s_waitcnt lgkmcnt(1)
	v_add_f16_e32 v66, 0, v66
	s_waitcnt lgkmcnt(0)
	v_add_f16_e32 v68, 0, v68
	s_delay_alu instid0(VALU_DEP_2) | instskip(NEXT) | instid1(VALU_DEP_1)
	v_cmp_lt_i16_e64 s7, -1, v66
	v_cndmask_b32_e64 v69, -1, 0xffff8000, s7
	s_delay_alu instid0(VALU_DEP_3) | instskip(NEXT) | instid1(VALU_DEP_2)
	v_cmp_lt_i16_e64 s7, -1, v68
	v_xor_b32_e32 v66, v69, v66
	s_delay_alu instid0(VALU_DEP_2) | instskip(SKIP_1) | instid1(VALU_DEP_2)
	v_cndmask_b32_e64 v70, -1, 0xffff8000, s7
	v_add_nc_u32_e32 v69, 1, v67
	v_xor_b32_e32 v68, v70, v68
	s_delay_alu instid0(VALU_DEP_1) | instskip(NEXT) | instid1(VALU_DEP_1)
	v_cmp_gt_u16_e64 s7, v68, v66
	v_cndmask_b32_e64 v64, v64, v67, s7
	s_delay_alu instid0(VALU_DEP_4) | instskip(NEXT) | instid1(VALU_DEP_1)
	v_cndmask_b32_e64 v52, v69, v52, s7
	v_cmp_ge_u32_e64 s7, v52, v64
	s_delay_alu instid0(VALU_DEP_1) | instskip(NEXT) | instid1(SALU_CYCLE_1)
	s_or_b32 s9, s7, s9
	s_and_not1_b32 exec_lo, exec_lo, s9
	s_cbranch_execnz .LBB1756_125
; %bb.126:
	s_set_inst_prefetch_distance 0x2
	s_or_b32 exec_lo, exec_lo, s9
.LBB1756_127:
	s_delay_alu instid0(SALU_CYCLE_1) | instskip(SKIP_2) | instid1(VALU_DEP_2)
	s_or_b32 exec_lo, exec_lo, s8
	v_add_nc_u32_e32 v55, v30, v55
	v_add_nc_u32_e32 v54, v52, v54
	v_sub_nc_u32_e32 v55, v55, v52
	s_delay_alu instid0(VALU_DEP_2) | instskip(NEXT) | instid1(VALU_DEP_2)
	v_cmp_le_u32_e64 s7, v54, v30
	v_cmp_le_u32_e64 s8, v55, v31
	s_delay_alu instid0(VALU_DEP_1) | instskip(NEXT) | instid1(SALU_CYCLE_1)
	s_or_b32 s7, s7, s8
	s_and_saveexec_b32 s9, s7
	s_cbranch_execz .LBB1756_163
; %bb.128:
	v_cmp_ge_u32_e64 s7, v54, v30
	s_mov_b32 s10, exec_lo
                                        ; implicit-def: $vgpr36
	v_cmpx_lt_u32_e64 v54, v30
	s_cbranch_execz .LBB1756_130
; %bb.129:
	v_lshl_add_u32 v4, v52, 1, v53
	ds_load_u16 v36, v4
.LBB1756_130:
	s_or_b32 exec_lo, exec_lo, s10
	v_cmp_ge_u32_e64 s10, v55, v31
	s_mov_b32 s11, exec_lo
                                        ; implicit-def: $vgpr37
	v_cmpx_lt_u32_e64 v55, v31
	s_cbranch_execz .LBB1756_132
; %bb.131:
	v_lshl_add_u32 v4, v55, 1, v10
	ds_load_u16 v37, v4
.LBB1756_132:
	s_or_b32 exec_lo, exec_lo, s11
	s_or_b32 s7, s7, s10
	s_mov_b32 s8, -1
	s_xor_b32 s7, s7, -1
	s_delay_alu instid0(SALU_CYCLE_1)
	s_and_saveexec_b32 s11, s7
	s_cbranch_execz .LBB1756_134
; %bb.133:
	s_waitcnt lgkmcnt(0)
	v_add_f16_e32 v4, 0, v37
	v_add_f16_e32 v5, 0, v36
	s_and_not1_b32 s10, s10, exec_lo
	s_delay_alu instid0(VALU_DEP_2) | instskip(NEXT) | instid1(VALU_DEP_1)
	v_cmp_lt_i16_e64 s7, -1, v4
	v_cndmask_b32_e64 v8, -1, 0xffff8000, s7
	s_delay_alu instid0(VALU_DEP_3) | instskip(NEXT) | instid1(VALU_DEP_2)
	v_cmp_lt_i16_e64 s7, -1, v5
	v_xor_b32_e32 v4, v8, v4
	s_delay_alu instid0(VALU_DEP_2) | instskip(NEXT) | instid1(VALU_DEP_1)
	v_cndmask_b32_e64 v9, -1, 0xffff8000, s7
	v_xor_b32_e32 v5, v9, v5
	s_delay_alu instid0(VALU_DEP_1) | instskip(NEXT) | instid1(VALU_DEP_1)
	v_cmp_le_u16_e64 s7, v4, v5
	s_and_b32 s7, s7, exec_lo
	s_delay_alu instid0(SALU_CYCLE_1)
	s_or_b32 s10, s10, s7
.LBB1756_134:
	s_or_b32 exec_lo, exec_lo, s11
	v_cndmask_b32_e64 v4, v55, v54, s10
	v_cndmask_b32_e64 v5, v31, v30, s10
	s_mov_b32 s11, exec_lo
	s_delay_alu instid0(VALU_DEP_2) | instskip(NEXT) | instid1(VALU_DEP_2)
	v_add_nc_u32_e32 v8, 1, v4
	v_add_nc_u32_e32 v5, -1, v5
	v_lshl_add_u32 v4, v4, 3, v13
	s_delay_alu instid0(VALU_DEP_3) | instskip(NEXT) | instid1(VALU_DEP_3)
	v_cndmask_b32_e64 v15, v8, v55, s10
	v_min_u32_e32 v5, v8, v5
	v_cndmask_b32_e64 v16, v54, v8, s10
	s_delay_alu instid0(VALU_DEP_2)
	v_lshl_add_u32 v5, v5, 1, v10
	ds_load_u16 v9, v5
	ds_load_b64 v[4:5], v4 offset:4096
	s_waitcnt lgkmcnt(1)
	v_cndmask_b32_e64 v39, v9, v37, s10
	v_cndmask_b32_e64 v52, v36, v9, s10
	v_cmpx_lt_u32_e64 v15, v31
	s_cbranch_execz .LBB1756_138
; %bb.135:
	s_mov_b32 s12, 0
	s_mov_b32 s8, exec_lo
	v_cmpx_lt_u32_e64 v16, v30
; %bb.136:
	v_add_f16_e32 v8, 0, v39
	v_add_f16_e32 v9, 0, v52
	s_delay_alu instid0(VALU_DEP_2) | instskip(NEXT) | instid1(VALU_DEP_1)
	v_cmp_lt_i16_e64 s7, -1, v8
	v_cndmask_b32_e64 v17, -1, 0xffff8000, s7
	s_delay_alu instid0(VALU_DEP_3) | instskip(NEXT) | instid1(VALU_DEP_2)
	v_cmp_lt_i16_e64 s7, -1, v9
	v_xor_b32_e32 v8, v17, v8
	s_delay_alu instid0(VALU_DEP_2) | instskip(NEXT) | instid1(VALU_DEP_1)
	v_cndmask_b32_e64 v18, -1, 0xffff8000, s7
	v_xor_b32_e32 v9, v18, v9
	s_delay_alu instid0(VALU_DEP_1) | instskip(NEXT) | instid1(VALU_DEP_1)
	v_cmp_le_u16_e64 s7, v8, v9
	s_and_b32 s12, s7, exec_lo
; %bb.137:
	s_or_b32 exec_lo, exec_lo, s8
	s_delay_alu instid0(SALU_CYCLE_1)
	s_or_not1_b32 s8, s12, exec_lo
.LBB1756_138:
	s_or_b32 exec_lo, exec_lo, s11
	v_cndmask_b32_e64 v8, v15, v16, s8
	v_cndmask_b32_e64 v9, v31, v30, s8
	s_mov_b32 s12, -1
	s_mov_b32 s11, -1
	s_mov_b32 s13, exec_lo
	v_add_nc_u32_e32 v18, 1, v8
	v_add_nc_u32_e32 v9, -1, v9
	v_lshl_add_u32 v8, v8, 3, v13
	s_delay_alu instid0(VALU_DEP_3) | instskip(NEXT) | instid1(VALU_DEP_3)
	v_cndmask_b32_e64 v17, v18, v15, s8
	v_min_u32_e32 v9, v18, v9
	v_cndmask_b32_e64 v18, v16, v18, s8
	s_delay_alu instid0(VALU_DEP_2)
	v_lshl_add_u32 v9, v9, 1, v10
	ds_load_u16 v19, v9
	ds_load_b64 v[8:9], v8 offset:4096
	s_waitcnt lgkmcnt(1)
	v_cndmask_b32_e64 v48, v19, v39, s8
	v_cndmask_b32_e64 v53, v52, v19, s8
	v_cmpx_lt_u32_e64 v17, v31
	s_cbranch_execz .LBB1756_142
; %bb.139:
	s_mov_b32 s14, 0
	s_mov_b32 s11, exec_lo
	v_cmpx_lt_u32_e64 v18, v30
; %bb.140:
	v_add_f16_e32 v15, 0, v48
	v_add_f16_e32 v16, 0, v53
	s_delay_alu instid0(VALU_DEP_2) | instskip(NEXT) | instid1(VALU_DEP_1)
	v_cmp_lt_i16_e64 s7, -1, v15
	v_cndmask_b32_e64 v19, -1, 0xffff8000, s7
	s_delay_alu instid0(VALU_DEP_3) | instskip(NEXT) | instid1(VALU_DEP_2)
	v_cmp_lt_i16_e64 s7, -1, v16
	v_xor_b32_e32 v15, v19, v15
	s_delay_alu instid0(VALU_DEP_2) | instskip(NEXT) | instid1(VALU_DEP_1)
	v_cndmask_b32_e64 v20, -1, 0xffff8000, s7
	v_xor_b32_e32 v16, v20, v16
	s_delay_alu instid0(VALU_DEP_1) | instskip(NEXT) | instid1(VALU_DEP_1)
	v_cmp_le_u16_e64 s7, v15, v16
	s_and_b32 s14, s7, exec_lo
; %bb.141:
	s_or_b32 exec_lo, exec_lo, s11
	s_delay_alu instid0(SALU_CYCLE_1)
	s_or_not1_b32 s11, s14, exec_lo
.LBB1756_142:
	s_or_b32 exec_lo, exec_lo, s13
	v_cndmask_b32_e64 v15, v17, v18, s11
	v_cndmask_b32_e64 v16, v31, v30, s11
	s_mov_b32 s13, exec_lo
	s_delay_alu instid0(VALU_DEP_2) | instskip(NEXT) | instid1(VALU_DEP_2)
	v_add_nc_u32_e32 v20, 1, v15
	v_add_nc_u32_e32 v16, -1, v16
	v_lshl_add_u32 v15, v15, 3, v13
	s_delay_alu instid0(VALU_DEP_3) | instskip(NEXT) | instid1(VALU_DEP_3)
	v_cndmask_b32_e64 v19, v20, v17, s11
	v_min_u32_e32 v16, v20, v16
	v_cndmask_b32_e64 v20, v18, v20, s11
	s_delay_alu instid0(VALU_DEP_2)
	v_lshl_add_u32 v16, v16, 1, v10
	ds_load_u16 v21, v16
	ds_load_b64 v[15:16], v15 offset:4096
	s_waitcnt lgkmcnt(1)
	v_cndmask_b32_e64 v51, v21, v48, s11
	v_cndmask_b32_e64 v54, v53, v21, s11
	v_cmpx_lt_u32_e64 v19, v31
	s_cbranch_execz .LBB1756_146
; %bb.143:
	s_mov_b32 s14, 0
	s_mov_b32 s12, exec_lo
	v_cmpx_lt_u32_e64 v20, v30
; %bb.144:
	v_add_f16_e32 v17, 0, v51
	v_add_f16_e32 v18, 0, v54
	s_delay_alu instid0(VALU_DEP_2) | instskip(NEXT) | instid1(VALU_DEP_1)
	v_cmp_lt_i16_e64 s7, -1, v17
	v_cndmask_b32_e64 v21, -1, 0xffff8000, s7
	s_delay_alu instid0(VALU_DEP_3) | instskip(NEXT) | instid1(VALU_DEP_2)
	v_cmp_lt_i16_e64 s7, -1, v18
	v_xor_b32_e32 v17, v21, v17
	s_delay_alu instid0(VALU_DEP_2) | instskip(NEXT) | instid1(VALU_DEP_1)
	v_cndmask_b32_e64 v22, -1, 0xffff8000, s7
	v_xor_b32_e32 v18, v22, v18
	s_delay_alu instid0(VALU_DEP_1) | instskip(NEXT) | instid1(VALU_DEP_1)
	v_cmp_le_u16_e64 s7, v17, v18
	s_and_b32 s14, s7, exec_lo
; %bb.145:
	s_or_b32 exec_lo, exec_lo, s12
	s_delay_alu instid0(SALU_CYCLE_1)
	s_or_not1_b32 s12, s14, exec_lo
.LBB1756_146:
	s_or_b32 exec_lo, exec_lo, s13
	v_cndmask_b32_e64 v17, v19, v20, s12
	v_cndmask_b32_e64 v18, v31, v30, s12
	s_mov_b32 s14, -1
	s_mov_b32 s13, -1
	s_mov_b32 s15, exec_lo
	v_add_nc_u32_e32 v22, 1, v17
	v_add_nc_u32_e32 v18, -1, v18
	v_lshl_add_u32 v17, v17, 3, v13
	s_delay_alu instid0(VALU_DEP_3) | instskip(NEXT) | instid1(VALU_DEP_3)
	v_cndmask_b32_e64 v21, v22, v19, s12
	v_min_u32_e32 v18, v22, v18
	v_cndmask_b32_e64 v22, v20, v22, s12
	s_delay_alu instid0(VALU_DEP_2)
	v_lshl_add_u32 v18, v18, 1, v10
	ds_load_u16 v23, v18
	ds_load_b64 v[17:18], v17 offset:4096
	s_waitcnt lgkmcnt(1)
	v_cndmask_b32_e64 v49, v23, v51, s12
	v_cndmask_b32_e64 v55, v54, v23, s12
	v_cmpx_lt_u32_e64 v21, v31
	s_cbranch_execz .LBB1756_150
; %bb.147:
	s_mov_b32 s16, 0
	s_mov_b32 s13, exec_lo
	v_cmpx_lt_u32_e64 v22, v30
; %bb.148:
	v_add_f16_e32 v19, 0, v49
	v_add_f16_e32 v20, 0, v55
	s_delay_alu instid0(VALU_DEP_2) | instskip(NEXT) | instid1(VALU_DEP_1)
	v_cmp_lt_i16_e64 s7, -1, v19
	v_cndmask_b32_e64 v23, -1, 0xffff8000, s7
	s_delay_alu instid0(VALU_DEP_3) | instskip(NEXT) | instid1(VALU_DEP_2)
	v_cmp_lt_i16_e64 s7, -1, v20
	v_xor_b32_e32 v19, v23, v19
	s_delay_alu instid0(VALU_DEP_2) | instskip(NEXT) | instid1(VALU_DEP_1)
	v_cndmask_b32_e64 v24, -1, 0xffff8000, s7
	v_xor_b32_e32 v20, v24, v20
	s_delay_alu instid0(VALU_DEP_1) | instskip(NEXT) | instid1(VALU_DEP_1)
	v_cmp_le_u16_e64 s7, v19, v20
	s_and_b32 s16, s7, exec_lo
; %bb.149:
	s_or_b32 exec_lo, exec_lo, s13
	s_delay_alu instid0(SALU_CYCLE_1)
	s_or_not1_b32 s13, s16, exec_lo
.LBB1756_150:
	s_or_b32 exec_lo, exec_lo, s15
	v_cndmask_b32_e64 v19, v21, v22, s13
	v_cndmask_b32_e64 v20, v31, v30, s13
	s_mov_b32 s15, exec_lo
	s_delay_alu instid0(VALU_DEP_2) | instskip(NEXT) | instid1(VALU_DEP_2)
	v_add_nc_u32_e32 v23, 1, v19
	v_add_nc_u32_e32 v20, -1, v20
	v_lshl_add_u32 v19, v19, 3, v13
	s_delay_alu instid0(VALU_DEP_3) | instskip(NEXT) | instid1(VALU_DEP_3)
	v_cndmask_b32_e64 v21, v23, v21, s13
	v_min_u32_e32 v20, v23, v20
	v_cndmask_b32_e64 v22, v22, v23, s13
	s_delay_alu instid0(VALU_DEP_2)
	v_lshl_add_u32 v20, v20, 1, v10
	ds_load_u16 v24, v20
	ds_load_b64 v[19:20], v19 offset:4096
	s_waitcnt lgkmcnt(1)
	v_cndmask_b32_e64 v38, v24, v49, s13
	v_cndmask_b32_e64 v64, v55, v24, s13
	v_cmpx_lt_u32_e64 v21, v31
	s_cbranch_execz .LBB1756_154
; %bb.151:
	s_mov_b32 s16, 0
	s_mov_b32 s14, exec_lo
	v_cmpx_lt_u32_e64 v22, v30
; %bb.152:
	v_add_f16_e32 v23, 0, v38
	v_add_f16_e32 v24, 0, v64
	s_delay_alu instid0(VALU_DEP_2) | instskip(NEXT) | instid1(VALU_DEP_1)
	v_cmp_lt_i16_e64 s7, -1, v23
	v_cndmask_b32_e64 v25, -1, 0xffff8000, s7
	s_delay_alu instid0(VALU_DEP_3) | instskip(NEXT) | instid1(VALU_DEP_2)
	v_cmp_lt_i16_e64 s7, -1, v24
	v_xor_b32_e32 v23, v25, v23
	s_delay_alu instid0(VALU_DEP_2) | instskip(NEXT) | instid1(VALU_DEP_1)
	v_cndmask_b32_e64 v26, -1, 0xffff8000, s7
	v_xor_b32_e32 v24, v26, v24
	s_delay_alu instid0(VALU_DEP_1) | instskip(NEXT) | instid1(VALU_DEP_1)
	v_cmp_le_u16_e64 s7, v23, v24
	s_and_b32 s16, s7, exec_lo
; %bb.153:
	s_or_b32 exec_lo, exec_lo, s14
	s_delay_alu instid0(SALU_CYCLE_1)
	s_or_not1_b32 s14, s16, exec_lo
.LBB1756_154:
	s_or_b32 exec_lo, exec_lo, s15
	v_cndmask_b32_e64 v23, v21, v22, s14
	v_cndmask_b32_e64 v24, v31, v30, s14
	s_mov_b32 s15, -1
	s_mov_b32 s16, -1
	s_mov_b32 s17, exec_lo
	v_add_nc_u32_e32 v26, 1, v23
	v_add_nc_u32_e32 v24, -1, v24
	v_lshl_add_u32 v23, v23, 3, v13
	s_delay_alu instid0(VALU_DEP_3) | instskip(NEXT) | instid1(VALU_DEP_3)
	v_cndmask_b32_e64 v25, v26, v21, s14
	v_min_u32_e32 v24, v26, v24
	v_cndmask_b32_e64 v26, v22, v26, s14
	s_delay_alu instid0(VALU_DEP_2)
	v_lshl_add_u32 v24, v24, 1, v10
	ds_load_u16 v65, v24
	ds_load_b64 v[23:24], v23 offset:4096
	s_waitcnt lgkmcnt(1)
	v_cndmask_b32_e64 v50, v65, v38, s14
	v_cndmask_b32_e64 v65, v64, v65, s14
	v_cmpx_lt_u32_e64 v25, v31
	s_cbranch_execz .LBB1756_158
; %bb.155:
	s_mov_b32 s18, 0
	s_mov_b32 s16, exec_lo
	v_cmpx_lt_u32_e64 v26, v30
; %bb.156:
	v_add_f16_e32 v21, 0, v50
	v_add_f16_e32 v22, 0, v65
	s_delay_alu instid0(VALU_DEP_2) | instskip(NEXT) | instid1(VALU_DEP_1)
	v_cmp_lt_i16_e64 s7, -1, v21
	v_cndmask_b32_e64 v66, -1, 0xffff8000, s7
	s_delay_alu instid0(VALU_DEP_3) | instskip(NEXT) | instid1(VALU_DEP_2)
	v_cmp_lt_i16_e64 s7, -1, v22
	v_xor_b32_e32 v21, v66, v21
	s_delay_alu instid0(VALU_DEP_2) | instskip(NEXT) | instid1(VALU_DEP_1)
	v_cndmask_b32_e64 v67, -1, 0xffff8000, s7
	v_xor_b32_e32 v22, v67, v22
	s_delay_alu instid0(VALU_DEP_1) | instskip(NEXT) | instid1(VALU_DEP_1)
	v_cmp_le_u16_e64 s7, v21, v22
	s_and_b32 s18, s7, exec_lo
; %bb.157:
	s_or_b32 exec_lo, exec_lo, s16
	s_delay_alu instid0(SALU_CYCLE_1)
	s_or_not1_b32 s16, s18, exec_lo
.LBB1756_158:
	s_or_b32 exec_lo, exec_lo, s17
	v_cndmask_b32_e64 v21, v25, v26, s16
	v_cndmask_b32_e64 v22, v31, v30, s16
	s_mov_b32 s17, exec_lo
	s_delay_alu instid0(VALU_DEP_2) | instskip(NEXT) | instid1(VALU_DEP_2)
	v_add_nc_u32_e32 v66, 1, v21
	v_add_nc_u32_e32 v22, -1, v22
	v_lshl_add_u32 v21, v21, 3, v13
	s_delay_alu instid0(VALU_DEP_3) | instskip(NEXT) | instid1(VALU_DEP_3)
	v_cndmask_b32_e64 v25, v66, v25, s16
	v_min_u32_e32 v22, v66, v22
	v_cndmask_b32_e64 v26, v26, v66, s16
	s_delay_alu instid0(VALU_DEP_2)
	v_lshl_add_u32 v22, v22, 1, v10
	ds_load_u16 v67, v22
	ds_load_b64 v[21:22], v21 offset:4096
	s_waitcnt lgkmcnt(1)
	v_cndmask_b32_e64 v66, v67, v50, s16
	v_cndmask_b32_e64 v67, v65, v67, s16
	v_cmpx_lt_u32_e64 v25, v31
	s_cbranch_execz .LBB1756_162
; %bb.159:
	s_mov_b32 s18, 0
	s_mov_b32 s15, exec_lo
	v_cmpx_lt_u32_e64 v26, v30
; %bb.160:
	v_add_f16_e32 v30, 0, v66
	v_add_f16_e32 v31, 0, v67
	s_delay_alu instid0(VALU_DEP_2) | instskip(NEXT) | instid1(VALU_DEP_1)
	v_cmp_lt_i16_e64 s7, -1, v30
	v_cndmask_b32_e64 v68, -1, 0xffff8000, s7
	s_delay_alu instid0(VALU_DEP_3) | instskip(NEXT) | instid1(VALU_DEP_2)
	v_cmp_lt_i16_e64 s7, -1, v31
	v_xor_b32_e32 v30, v68, v30
	s_delay_alu instid0(VALU_DEP_2) | instskip(NEXT) | instid1(VALU_DEP_1)
	v_cndmask_b32_e64 v69, -1, 0xffff8000, s7
	v_xor_b32_e32 v31, v69, v31
	s_delay_alu instid0(VALU_DEP_1) | instskip(NEXT) | instid1(VALU_DEP_1)
	v_cmp_le_u16_e64 s7, v30, v31
	s_and_b32 s18, s7, exec_lo
; %bb.161:
	s_or_b32 exec_lo, exec_lo, s15
	s_delay_alu instid0(SALU_CYCLE_1)
	s_or_not1_b32 s15, s18, exec_lo
.LBB1756_162:
	s_or_b32 exec_lo, exec_lo, s17
	v_cndmask_b32_e64 v25, v25, v26, s15
	v_cndmask_b32_e64 v50, v50, v65, s16
	;; [unrolled: 1-line block ×5, first 2 shown]
	v_lshl_add_u32 v25, v25, 3, v13
	v_cndmask_b32_e64 v48, v48, v53, s11
	v_cndmask_b32_e64 v39, v39, v52, s8
	;; [unrolled: 1-line block ×4, first 2 shown]
	ds_load_b64 v[25:26], v25 offset:4096
.LBB1756_163:
	s_or_b32 exec_lo, exec_lo, s9
	v_and_b32_e32 v54, 0xc0, v35
	v_and_b32_e32 v52, 56, v35
	s_mov_b32 s8, exec_lo
	; wave barrier
	s_delay_alu instid0(VALU_DEP_2) | instskip(NEXT) | instid1(VALU_DEP_2)
	v_or_b32_e32 v30, 32, v54
	v_min_u32_e32 v55, v27, v52
	ds_store_b16 v14, v36
	ds_store_b64 v28, v[4:5] offset:4096
	ds_store_b16 v14, v39 offset:2
	ds_store_b64 v29, v[8:9] offset:8
	ds_store_b16 v14, v48 offset:4
	;; [unrolled: 2-line block ×3, first 2 shown]
	ds_store_b64 v29, v[17:18] offset:24
	v_min_u32_e32 v30, v27, v30
	ds_store_b16 v14, v49 offset:8
	ds_store_b64 v29, v[19:20] offset:32
	ds_store_b16 v14, v38 offset:10
	ds_store_b64 v29, v[23:24] offset:40
	ds_store_b16 v14, v50 offset:12
	s_waitcnt lgkmcnt(14)
	ds_store_b64 v29, v[21:22] offset:48
	ds_store_b16 v14, v37 offset:14
	s_waitcnt lgkmcnt(15)
	ds_store_b64 v29, v[25:26] offset:56
	v_add_nc_u32_e32 v31, 32, v30
	v_sub_nc_u32_e32 v53, v30, v54
	; wave barrier
	s_delay_alu instid0(VALU_DEP_2) | instskip(NEXT) | instid1(VALU_DEP_2)
	v_min_u32_e32 v31, v27, v31
	v_min_u32_e32 v64, v55, v53
	v_lshl_add_u32 v53, v54, 1, v10
	s_delay_alu instid0(VALU_DEP_3) | instskip(NEXT) | instid1(VALU_DEP_1)
	v_sub_nc_u32_e32 v52, v31, v30
	v_sub_nc_u32_e64 v52, v55, v52 clamp
	s_delay_alu instid0(VALU_DEP_1)
	v_cmpx_lt_u32_e64 v52, v64
	s_cbranch_execz .LBB1756_167
; %bb.164:
	v_lshlrev_b32_e32 v65, 1, v30
	v_lshlrev_b32_e32 v66, 1, v55
	s_mov_b32 s9, 0
	s_delay_alu instid0(VALU_DEP_1)
	v_add3_u32 v65, v10, v65, v66
	s_set_inst_prefetch_distance 0x1
	.p2align	6
.LBB1756_165:                           ; =>This Inner Loop Header: Depth=1
	v_add_nc_u32_e32 v66, v64, v52
	s_delay_alu instid0(VALU_DEP_1) | instskip(SKIP_1) | instid1(VALU_DEP_2)
	v_lshrrev_b32_e32 v67, 1, v66
	v_and_b32_e32 v66, -2, v66
	v_not_b32_e32 v68, v67
	s_delay_alu instid0(VALU_DEP_2) | instskip(NEXT) | instid1(VALU_DEP_2)
	v_add_nc_u32_e32 v66, v53, v66
	v_lshl_add_u32 v68, v68, 1, v65
	ds_load_u16 v66, v66
	ds_load_u16 v68, v68
	s_waitcnt lgkmcnt(1)
	v_add_f16_e32 v66, 0, v66
	s_waitcnt lgkmcnt(0)
	v_add_f16_e32 v68, 0, v68
	s_delay_alu instid0(VALU_DEP_2) | instskip(NEXT) | instid1(VALU_DEP_1)
	v_cmp_lt_i16_e64 s7, -1, v66
	v_cndmask_b32_e64 v69, -1, 0xffff8000, s7
	s_delay_alu instid0(VALU_DEP_3) | instskip(NEXT) | instid1(VALU_DEP_2)
	v_cmp_lt_i16_e64 s7, -1, v68
	v_xor_b32_e32 v66, v69, v66
	s_delay_alu instid0(VALU_DEP_2) | instskip(SKIP_1) | instid1(VALU_DEP_2)
	v_cndmask_b32_e64 v70, -1, 0xffff8000, s7
	v_add_nc_u32_e32 v69, 1, v67
	v_xor_b32_e32 v68, v70, v68
	s_delay_alu instid0(VALU_DEP_1) | instskip(NEXT) | instid1(VALU_DEP_1)
	v_cmp_gt_u16_e64 s7, v68, v66
	v_cndmask_b32_e64 v64, v64, v67, s7
	s_delay_alu instid0(VALU_DEP_4) | instskip(NEXT) | instid1(VALU_DEP_1)
	v_cndmask_b32_e64 v52, v69, v52, s7
	v_cmp_ge_u32_e64 s7, v52, v64
	s_delay_alu instid0(VALU_DEP_1) | instskip(NEXT) | instid1(SALU_CYCLE_1)
	s_or_b32 s9, s7, s9
	s_and_not1_b32 exec_lo, exec_lo, s9
	s_cbranch_execnz .LBB1756_165
; %bb.166:
	s_set_inst_prefetch_distance 0x2
	s_or_b32 exec_lo, exec_lo, s9
.LBB1756_167:
	s_delay_alu instid0(SALU_CYCLE_1) | instskip(SKIP_2) | instid1(VALU_DEP_2)
	s_or_b32 exec_lo, exec_lo, s8
	v_add_nc_u32_e32 v55, v30, v55
	v_add_nc_u32_e32 v54, v52, v54
	v_sub_nc_u32_e32 v55, v55, v52
	s_delay_alu instid0(VALU_DEP_2) | instskip(NEXT) | instid1(VALU_DEP_2)
	v_cmp_le_u32_e64 s7, v54, v30
	v_cmp_le_u32_e64 s8, v55, v31
	s_delay_alu instid0(VALU_DEP_1) | instskip(NEXT) | instid1(SALU_CYCLE_1)
	s_or_b32 s7, s7, s8
	s_and_saveexec_b32 s9, s7
	s_cbranch_execz .LBB1756_203
; %bb.168:
	v_cmp_ge_u32_e64 s7, v54, v30
	s_mov_b32 s10, exec_lo
                                        ; implicit-def: $vgpr36
	v_cmpx_lt_u32_e64 v54, v30
	s_cbranch_execz .LBB1756_170
; %bb.169:
	v_lshl_add_u32 v4, v52, 1, v53
	ds_load_u16 v36, v4
.LBB1756_170:
	s_or_b32 exec_lo, exec_lo, s10
	v_cmp_ge_u32_e64 s10, v55, v31
	s_mov_b32 s11, exec_lo
                                        ; implicit-def: $vgpr37
	v_cmpx_lt_u32_e64 v55, v31
	s_cbranch_execz .LBB1756_172
; %bb.171:
	v_lshl_add_u32 v4, v55, 1, v10
	ds_load_u16 v37, v4
.LBB1756_172:
	s_or_b32 exec_lo, exec_lo, s11
	s_or_b32 s7, s7, s10
	s_mov_b32 s8, -1
	s_xor_b32 s7, s7, -1
	s_delay_alu instid0(SALU_CYCLE_1)
	s_and_saveexec_b32 s11, s7
	s_cbranch_execz .LBB1756_174
; %bb.173:
	s_waitcnt lgkmcnt(0)
	v_add_f16_e32 v4, 0, v37
	v_add_f16_e32 v5, 0, v36
	s_and_not1_b32 s10, s10, exec_lo
	s_delay_alu instid0(VALU_DEP_2) | instskip(NEXT) | instid1(VALU_DEP_1)
	v_cmp_lt_i16_e64 s7, -1, v4
	v_cndmask_b32_e64 v8, -1, 0xffff8000, s7
	s_delay_alu instid0(VALU_DEP_3) | instskip(NEXT) | instid1(VALU_DEP_2)
	v_cmp_lt_i16_e64 s7, -1, v5
	v_xor_b32_e32 v4, v8, v4
	s_delay_alu instid0(VALU_DEP_2) | instskip(NEXT) | instid1(VALU_DEP_1)
	v_cndmask_b32_e64 v9, -1, 0xffff8000, s7
	v_xor_b32_e32 v5, v9, v5
	s_delay_alu instid0(VALU_DEP_1) | instskip(NEXT) | instid1(VALU_DEP_1)
	v_cmp_le_u16_e64 s7, v4, v5
	s_and_b32 s7, s7, exec_lo
	s_delay_alu instid0(SALU_CYCLE_1)
	s_or_b32 s10, s10, s7
.LBB1756_174:
	s_or_b32 exec_lo, exec_lo, s11
	v_cndmask_b32_e64 v4, v55, v54, s10
	v_cndmask_b32_e64 v5, v31, v30, s10
	s_mov_b32 s11, exec_lo
	s_delay_alu instid0(VALU_DEP_2) | instskip(NEXT) | instid1(VALU_DEP_2)
	v_add_nc_u32_e32 v8, 1, v4
	v_add_nc_u32_e32 v5, -1, v5
	v_lshl_add_u32 v4, v4, 3, v13
	s_delay_alu instid0(VALU_DEP_3) | instskip(NEXT) | instid1(VALU_DEP_3)
	v_cndmask_b32_e64 v15, v8, v55, s10
	v_min_u32_e32 v5, v8, v5
	v_cndmask_b32_e64 v16, v54, v8, s10
	s_delay_alu instid0(VALU_DEP_2)
	v_lshl_add_u32 v5, v5, 1, v10
	ds_load_u16 v9, v5
	ds_load_b64 v[4:5], v4 offset:4096
	s_waitcnt lgkmcnt(1)
	v_cndmask_b32_e64 v39, v9, v37, s10
	v_cndmask_b32_e64 v52, v36, v9, s10
	v_cmpx_lt_u32_e64 v15, v31
	s_cbranch_execz .LBB1756_178
; %bb.175:
	s_mov_b32 s12, 0
	s_mov_b32 s8, exec_lo
	v_cmpx_lt_u32_e64 v16, v30
; %bb.176:
	v_add_f16_e32 v8, 0, v39
	v_add_f16_e32 v9, 0, v52
	s_delay_alu instid0(VALU_DEP_2) | instskip(NEXT) | instid1(VALU_DEP_1)
	v_cmp_lt_i16_e64 s7, -1, v8
	v_cndmask_b32_e64 v17, -1, 0xffff8000, s7
	s_delay_alu instid0(VALU_DEP_3) | instskip(NEXT) | instid1(VALU_DEP_2)
	v_cmp_lt_i16_e64 s7, -1, v9
	v_xor_b32_e32 v8, v17, v8
	s_delay_alu instid0(VALU_DEP_2) | instskip(NEXT) | instid1(VALU_DEP_1)
	v_cndmask_b32_e64 v18, -1, 0xffff8000, s7
	v_xor_b32_e32 v9, v18, v9
	s_delay_alu instid0(VALU_DEP_1) | instskip(NEXT) | instid1(VALU_DEP_1)
	v_cmp_le_u16_e64 s7, v8, v9
	s_and_b32 s12, s7, exec_lo
; %bb.177:
	s_or_b32 exec_lo, exec_lo, s8
	s_delay_alu instid0(SALU_CYCLE_1)
	s_or_not1_b32 s8, s12, exec_lo
.LBB1756_178:
	s_or_b32 exec_lo, exec_lo, s11
	v_cndmask_b32_e64 v8, v15, v16, s8
	v_cndmask_b32_e64 v9, v31, v30, s8
	s_mov_b32 s12, -1
	s_mov_b32 s11, -1
	s_mov_b32 s13, exec_lo
	v_add_nc_u32_e32 v18, 1, v8
	v_add_nc_u32_e32 v9, -1, v9
	v_lshl_add_u32 v8, v8, 3, v13
	s_delay_alu instid0(VALU_DEP_3) | instskip(NEXT) | instid1(VALU_DEP_3)
	v_cndmask_b32_e64 v17, v18, v15, s8
	v_min_u32_e32 v9, v18, v9
	v_cndmask_b32_e64 v18, v16, v18, s8
	s_delay_alu instid0(VALU_DEP_2)
	v_lshl_add_u32 v9, v9, 1, v10
	ds_load_u16 v19, v9
	ds_load_b64 v[8:9], v8 offset:4096
	s_waitcnt lgkmcnt(1)
	v_cndmask_b32_e64 v48, v19, v39, s8
	v_cndmask_b32_e64 v53, v52, v19, s8
	v_cmpx_lt_u32_e64 v17, v31
	s_cbranch_execz .LBB1756_182
; %bb.179:
	s_mov_b32 s14, 0
	s_mov_b32 s11, exec_lo
	v_cmpx_lt_u32_e64 v18, v30
; %bb.180:
	v_add_f16_e32 v15, 0, v48
	v_add_f16_e32 v16, 0, v53
	s_delay_alu instid0(VALU_DEP_2) | instskip(NEXT) | instid1(VALU_DEP_1)
	v_cmp_lt_i16_e64 s7, -1, v15
	v_cndmask_b32_e64 v19, -1, 0xffff8000, s7
	s_delay_alu instid0(VALU_DEP_3) | instskip(NEXT) | instid1(VALU_DEP_2)
	v_cmp_lt_i16_e64 s7, -1, v16
	v_xor_b32_e32 v15, v19, v15
	s_delay_alu instid0(VALU_DEP_2) | instskip(NEXT) | instid1(VALU_DEP_1)
	v_cndmask_b32_e64 v20, -1, 0xffff8000, s7
	v_xor_b32_e32 v16, v20, v16
	s_delay_alu instid0(VALU_DEP_1) | instskip(NEXT) | instid1(VALU_DEP_1)
	v_cmp_le_u16_e64 s7, v15, v16
	s_and_b32 s14, s7, exec_lo
; %bb.181:
	s_or_b32 exec_lo, exec_lo, s11
	s_delay_alu instid0(SALU_CYCLE_1)
	s_or_not1_b32 s11, s14, exec_lo
.LBB1756_182:
	s_or_b32 exec_lo, exec_lo, s13
	v_cndmask_b32_e64 v15, v17, v18, s11
	v_cndmask_b32_e64 v16, v31, v30, s11
	s_mov_b32 s13, exec_lo
	s_delay_alu instid0(VALU_DEP_2) | instskip(NEXT) | instid1(VALU_DEP_2)
	v_add_nc_u32_e32 v20, 1, v15
	v_add_nc_u32_e32 v16, -1, v16
	v_lshl_add_u32 v15, v15, 3, v13
	s_delay_alu instid0(VALU_DEP_3) | instskip(NEXT) | instid1(VALU_DEP_3)
	v_cndmask_b32_e64 v19, v20, v17, s11
	v_min_u32_e32 v16, v20, v16
	v_cndmask_b32_e64 v20, v18, v20, s11
	s_delay_alu instid0(VALU_DEP_2)
	v_lshl_add_u32 v16, v16, 1, v10
	ds_load_u16 v21, v16
	ds_load_b64 v[15:16], v15 offset:4096
	s_waitcnt lgkmcnt(1)
	v_cndmask_b32_e64 v51, v21, v48, s11
	v_cndmask_b32_e64 v54, v53, v21, s11
	v_cmpx_lt_u32_e64 v19, v31
	s_cbranch_execz .LBB1756_186
; %bb.183:
	s_mov_b32 s14, 0
	s_mov_b32 s12, exec_lo
	v_cmpx_lt_u32_e64 v20, v30
; %bb.184:
	v_add_f16_e32 v17, 0, v51
	v_add_f16_e32 v18, 0, v54
	s_delay_alu instid0(VALU_DEP_2) | instskip(NEXT) | instid1(VALU_DEP_1)
	v_cmp_lt_i16_e64 s7, -1, v17
	v_cndmask_b32_e64 v21, -1, 0xffff8000, s7
	s_delay_alu instid0(VALU_DEP_3) | instskip(NEXT) | instid1(VALU_DEP_2)
	v_cmp_lt_i16_e64 s7, -1, v18
	v_xor_b32_e32 v17, v21, v17
	s_delay_alu instid0(VALU_DEP_2) | instskip(NEXT) | instid1(VALU_DEP_1)
	v_cndmask_b32_e64 v22, -1, 0xffff8000, s7
	v_xor_b32_e32 v18, v22, v18
	s_delay_alu instid0(VALU_DEP_1) | instskip(NEXT) | instid1(VALU_DEP_1)
	v_cmp_le_u16_e64 s7, v17, v18
	s_and_b32 s14, s7, exec_lo
; %bb.185:
	s_or_b32 exec_lo, exec_lo, s12
	s_delay_alu instid0(SALU_CYCLE_1)
	s_or_not1_b32 s12, s14, exec_lo
.LBB1756_186:
	s_or_b32 exec_lo, exec_lo, s13
	v_cndmask_b32_e64 v17, v19, v20, s12
	v_cndmask_b32_e64 v18, v31, v30, s12
	s_mov_b32 s14, -1
	s_mov_b32 s13, -1
	s_mov_b32 s15, exec_lo
	v_add_nc_u32_e32 v22, 1, v17
	v_add_nc_u32_e32 v18, -1, v18
	v_lshl_add_u32 v17, v17, 3, v13
	s_delay_alu instid0(VALU_DEP_3) | instskip(NEXT) | instid1(VALU_DEP_3)
	v_cndmask_b32_e64 v21, v22, v19, s12
	v_min_u32_e32 v18, v22, v18
	v_cndmask_b32_e64 v22, v20, v22, s12
	s_delay_alu instid0(VALU_DEP_2)
	v_lshl_add_u32 v18, v18, 1, v10
	ds_load_u16 v23, v18
	ds_load_b64 v[17:18], v17 offset:4096
	s_waitcnt lgkmcnt(1)
	v_cndmask_b32_e64 v49, v23, v51, s12
	v_cndmask_b32_e64 v55, v54, v23, s12
	v_cmpx_lt_u32_e64 v21, v31
	s_cbranch_execz .LBB1756_190
; %bb.187:
	s_mov_b32 s16, 0
	s_mov_b32 s13, exec_lo
	v_cmpx_lt_u32_e64 v22, v30
; %bb.188:
	v_add_f16_e32 v19, 0, v49
	v_add_f16_e32 v20, 0, v55
	s_delay_alu instid0(VALU_DEP_2) | instskip(NEXT) | instid1(VALU_DEP_1)
	v_cmp_lt_i16_e64 s7, -1, v19
	v_cndmask_b32_e64 v23, -1, 0xffff8000, s7
	s_delay_alu instid0(VALU_DEP_3) | instskip(NEXT) | instid1(VALU_DEP_2)
	v_cmp_lt_i16_e64 s7, -1, v20
	v_xor_b32_e32 v19, v23, v19
	s_delay_alu instid0(VALU_DEP_2) | instskip(NEXT) | instid1(VALU_DEP_1)
	v_cndmask_b32_e64 v24, -1, 0xffff8000, s7
	v_xor_b32_e32 v20, v24, v20
	s_delay_alu instid0(VALU_DEP_1) | instskip(NEXT) | instid1(VALU_DEP_1)
	v_cmp_le_u16_e64 s7, v19, v20
	s_and_b32 s16, s7, exec_lo
; %bb.189:
	s_or_b32 exec_lo, exec_lo, s13
	s_delay_alu instid0(SALU_CYCLE_1)
	s_or_not1_b32 s13, s16, exec_lo
.LBB1756_190:
	s_or_b32 exec_lo, exec_lo, s15
	v_cndmask_b32_e64 v19, v21, v22, s13
	v_cndmask_b32_e64 v20, v31, v30, s13
	s_mov_b32 s15, exec_lo
	s_delay_alu instid0(VALU_DEP_2) | instskip(NEXT) | instid1(VALU_DEP_2)
	v_add_nc_u32_e32 v23, 1, v19
	v_add_nc_u32_e32 v20, -1, v20
	v_lshl_add_u32 v19, v19, 3, v13
	s_delay_alu instid0(VALU_DEP_3) | instskip(NEXT) | instid1(VALU_DEP_3)
	v_cndmask_b32_e64 v21, v23, v21, s13
	v_min_u32_e32 v20, v23, v20
	v_cndmask_b32_e64 v22, v22, v23, s13
	s_delay_alu instid0(VALU_DEP_2)
	v_lshl_add_u32 v20, v20, 1, v10
	ds_load_u16 v24, v20
	ds_load_b64 v[19:20], v19 offset:4096
	s_waitcnt lgkmcnt(1)
	v_cndmask_b32_e64 v38, v24, v49, s13
	v_cndmask_b32_e64 v64, v55, v24, s13
	v_cmpx_lt_u32_e64 v21, v31
	s_cbranch_execz .LBB1756_194
; %bb.191:
	s_mov_b32 s16, 0
	s_mov_b32 s14, exec_lo
	v_cmpx_lt_u32_e64 v22, v30
; %bb.192:
	v_add_f16_e32 v23, 0, v38
	v_add_f16_e32 v24, 0, v64
	s_delay_alu instid0(VALU_DEP_2) | instskip(NEXT) | instid1(VALU_DEP_1)
	v_cmp_lt_i16_e64 s7, -1, v23
	v_cndmask_b32_e64 v25, -1, 0xffff8000, s7
	s_delay_alu instid0(VALU_DEP_3) | instskip(NEXT) | instid1(VALU_DEP_2)
	v_cmp_lt_i16_e64 s7, -1, v24
	v_xor_b32_e32 v23, v25, v23
	s_delay_alu instid0(VALU_DEP_2) | instskip(NEXT) | instid1(VALU_DEP_1)
	v_cndmask_b32_e64 v26, -1, 0xffff8000, s7
	v_xor_b32_e32 v24, v26, v24
	s_delay_alu instid0(VALU_DEP_1) | instskip(NEXT) | instid1(VALU_DEP_1)
	v_cmp_le_u16_e64 s7, v23, v24
	s_and_b32 s16, s7, exec_lo
; %bb.193:
	s_or_b32 exec_lo, exec_lo, s14
	s_delay_alu instid0(SALU_CYCLE_1)
	s_or_not1_b32 s14, s16, exec_lo
.LBB1756_194:
	s_or_b32 exec_lo, exec_lo, s15
	v_cndmask_b32_e64 v23, v21, v22, s14
	v_cndmask_b32_e64 v24, v31, v30, s14
	s_mov_b32 s15, -1
	s_mov_b32 s16, -1
	s_mov_b32 s17, exec_lo
	v_add_nc_u32_e32 v26, 1, v23
	v_add_nc_u32_e32 v24, -1, v24
	v_lshl_add_u32 v23, v23, 3, v13
	s_delay_alu instid0(VALU_DEP_3) | instskip(NEXT) | instid1(VALU_DEP_3)
	v_cndmask_b32_e64 v25, v26, v21, s14
	v_min_u32_e32 v24, v26, v24
	v_cndmask_b32_e64 v26, v22, v26, s14
	s_delay_alu instid0(VALU_DEP_2)
	v_lshl_add_u32 v24, v24, 1, v10
	ds_load_u16 v65, v24
	ds_load_b64 v[23:24], v23 offset:4096
	s_waitcnt lgkmcnt(1)
	v_cndmask_b32_e64 v50, v65, v38, s14
	v_cndmask_b32_e64 v65, v64, v65, s14
	v_cmpx_lt_u32_e64 v25, v31
	s_cbranch_execz .LBB1756_198
; %bb.195:
	s_mov_b32 s18, 0
	s_mov_b32 s16, exec_lo
	v_cmpx_lt_u32_e64 v26, v30
; %bb.196:
	v_add_f16_e32 v21, 0, v50
	v_add_f16_e32 v22, 0, v65
	s_delay_alu instid0(VALU_DEP_2) | instskip(NEXT) | instid1(VALU_DEP_1)
	v_cmp_lt_i16_e64 s7, -1, v21
	v_cndmask_b32_e64 v66, -1, 0xffff8000, s7
	s_delay_alu instid0(VALU_DEP_3) | instskip(NEXT) | instid1(VALU_DEP_2)
	v_cmp_lt_i16_e64 s7, -1, v22
	v_xor_b32_e32 v21, v66, v21
	s_delay_alu instid0(VALU_DEP_2) | instskip(NEXT) | instid1(VALU_DEP_1)
	v_cndmask_b32_e64 v67, -1, 0xffff8000, s7
	v_xor_b32_e32 v22, v67, v22
	s_delay_alu instid0(VALU_DEP_1) | instskip(NEXT) | instid1(VALU_DEP_1)
	v_cmp_le_u16_e64 s7, v21, v22
	s_and_b32 s18, s7, exec_lo
; %bb.197:
	s_or_b32 exec_lo, exec_lo, s16
	s_delay_alu instid0(SALU_CYCLE_1)
	s_or_not1_b32 s16, s18, exec_lo
.LBB1756_198:
	s_or_b32 exec_lo, exec_lo, s17
	v_cndmask_b32_e64 v21, v25, v26, s16
	v_cndmask_b32_e64 v22, v31, v30, s16
	s_mov_b32 s17, exec_lo
	s_delay_alu instid0(VALU_DEP_2) | instskip(NEXT) | instid1(VALU_DEP_2)
	v_add_nc_u32_e32 v66, 1, v21
	v_add_nc_u32_e32 v22, -1, v22
	v_lshl_add_u32 v21, v21, 3, v13
	s_delay_alu instid0(VALU_DEP_3) | instskip(NEXT) | instid1(VALU_DEP_3)
	v_cndmask_b32_e64 v25, v66, v25, s16
	v_min_u32_e32 v22, v66, v22
	v_cndmask_b32_e64 v26, v26, v66, s16
	s_delay_alu instid0(VALU_DEP_2)
	v_lshl_add_u32 v22, v22, 1, v10
	ds_load_u16 v67, v22
	ds_load_b64 v[21:22], v21 offset:4096
	s_waitcnt lgkmcnt(1)
	v_cndmask_b32_e64 v66, v67, v50, s16
	v_cndmask_b32_e64 v67, v65, v67, s16
	v_cmpx_lt_u32_e64 v25, v31
	s_cbranch_execz .LBB1756_202
; %bb.199:
	s_mov_b32 s18, 0
	s_mov_b32 s15, exec_lo
	v_cmpx_lt_u32_e64 v26, v30
; %bb.200:
	v_add_f16_e32 v30, 0, v66
	v_add_f16_e32 v31, 0, v67
	s_delay_alu instid0(VALU_DEP_2) | instskip(NEXT) | instid1(VALU_DEP_1)
	v_cmp_lt_i16_e64 s7, -1, v30
	v_cndmask_b32_e64 v68, -1, 0xffff8000, s7
	s_delay_alu instid0(VALU_DEP_3) | instskip(NEXT) | instid1(VALU_DEP_2)
	v_cmp_lt_i16_e64 s7, -1, v31
	v_xor_b32_e32 v30, v68, v30
	s_delay_alu instid0(VALU_DEP_2) | instskip(NEXT) | instid1(VALU_DEP_1)
	v_cndmask_b32_e64 v69, -1, 0xffff8000, s7
	v_xor_b32_e32 v31, v69, v31
	s_delay_alu instid0(VALU_DEP_1) | instskip(NEXT) | instid1(VALU_DEP_1)
	v_cmp_le_u16_e64 s7, v30, v31
	s_and_b32 s18, s7, exec_lo
; %bb.201:
	s_or_b32 exec_lo, exec_lo, s15
	s_delay_alu instid0(SALU_CYCLE_1)
	s_or_not1_b32 s15, s18, exec_lo
.LBB1756_202:
	s_or_b32 exec_lo, exec_lo, s17
	v_cndmask_b32_e64 v25, v25, v26, s15
	v_cndmask_b32_e64 v50, v50, v65, s16
	;; [unrolled: 1-line block ×5, first 2 shown]
	v_lshl_add_u32 v25, v25, 3, v13
	v_cndmask_b32_e64 v48, v48, v53, s11
	v_cndmask_b32_e64 v39, v39, v52, s8
	;; [unrolled: 1-line block ×4, first 2 shown]
	ds_load_b64 v[25:26], v25 offset:4096
.LBB1756_203:
	s_or_b32 exec_lo, exec_lo, s9
	v_and_b32_e32 v35, 0x80, v35
	; wave barrier
	ds_store_b16 v14, v36
	ds_store_b64 v28, v[4:5] offset:4096
	ds_store_b16 v14, v39 offset:2
	ds_store_b64 v29, v[8:9] offset:8
	ds_store_b16 v14, v48 offset:4
	v_or_b32_e32 v30, 64, v35
	v_min_u32_e32 v34, v27, v34
	s_mov_b32 s8, exec_lo
	ds_store_b64 v29, v[15:16] offset:16
	ds_store_b16 v14, v51 offset:6
	ds_store_b64 v29, v[17:18] offset:24
	ds_store_b16 v14, v49 offset:8
	;; [unrolled: 2-line block ×3, first 2 shown]
	v_min_u32_e32 v30, v27, v30
	ds_store_b64 v29, v[23:24] offset:40
	ds_store_b16 v14, v50 offset:12
	s_waitcnt lgkmcnt(14)
	ds_store_b64 v29, v[21:22] offset:48
	ds_store_b16 v14, v37 offset:14
	s_waitcnt lgkmcnt(15)
	ds_store_b64 v29, v[25:26] offset:56
	; wave barrier
	v_add_nc_u32_e32 v31, 64, v30
	s_delay_alu instid0(VALU_DEP_1) | instskip(SKIP_1) | instid1(VALU_DEP_2)
	v_min_u32_e32 v28, v27, v31
	v_sub_nc_u32_e32 v31, v30, v35
	v_sub_nc_u32_e32 v27, v28, v30
	s_delay_alu instid0(VALU_DEP_2) | instskip(SKIP_1) | instid1(VALU_DEP_3)
	v_min_u32_e32 v52, v34, v31
	v_lshl_add_u32 v31, v35, 1, v10
	v_sub_nc_u32_e64 v27, v34, v27 clamp
	s_delay_alu instid0(VALU_DEP_1)
	v_cmpx_lt_u32_e64 v27, v52
	s_cbranch_execz .LBB1756_207
; %bb.204:
	v_lshlrev_b32_e32 v14, 1, v30
	v_lshlrev_b32_e32 v29, 1, v34
	s_mov_b32 s9, 0
	s_delay_alu instid0(VALU_DEP_1)
	v_add3_u32 v14, v10, v14, v29
	s_set_inst_prefetch_distance 0x1
	.p2align	6
.LBB1756_205:                           ; =>This Inner Loop Header: Depth=1
	v_add_nc_u32_e32 v29, v52, v27
	s_delay_alu instid0(VALU_DEP_1) | instskip(SKIP_1) | instid1(VALU_DEP_2)
	v_lshrrev_b32_e32 v53, 1, v29
	v_and_b32_e32 v29, -2, v29
	v_not_b32_e32 v54, v53
	s_delay_alu instid0(VALU_DEP_2) | instskip(NEXT) | instid1(VALU_DEP_2)
	v_add_nc_u32_e32 v29, v31, v29
	v_lshl_add_u32 v54, v54, 1, v14
	ds_load_u16 v29, v29
	ds_load_u16 v54, v54
	s_waitcnt lgkmcnt(1)
	v_add_f16_e32 v29, 0, v29
	s_waitcnt lgkmcnt(0)
	v_add_f16_e32 v54, 0, v54
	s_delay_alu instid0(VALU_DEP_2) | instskip(NEXT) | instid1(VALU_DEP_1)
	v_cmp_lt_i16_e64 s7, -1, v29
	v_cndmask_b32_e64 v55, -1, 0xffff8000, s7
	s_delay_alu instid0(VALU_DEP_3) | instskip(NEXT) | instid1(VALU_DEP_2)
	v_cmp_lt_i16_e64 s7, -1, v54
	v_xor_b32_e32 v29, v55, v29
	s_delay_alu instid0(VALU_DEP_2) | instskip(SKIP_1) | instid1(VALU_DEP_2)
	v_cndmask_b32_e64 v64, -1, 0xffff8000, s7
	v_add_nc_u32_e32 v55, 1, v53
	v_xor_b32_e32 v54, v64, v54
	s_delay_alu instid0(VALU_DEP_1) | instskip(NEXT) | instid1(VALU_DEP_1)
	v_cmp_gt_u16_e64 s7, v54, v29
	v_cndmask_b32_e64 v52, v52, v53, s7
	s_delay_alu instid0(VALU_DEP_4) | instskip(NEXT) | instid1(VALU_DEP_1)
	v_cndmask_b32_e64 v27, v55, v27, s7
	v_cmp_ge_u32_e64 s7, v27, v52
	s_delay_alu instid0(VALU_DEP_1) | instskip(NEXT) | instid1(SALU_CYCLE_1)
	s_or_b32 s9, s7, s9
	s_and_not1_b32 exec_lo, exec_lo, s9
	s_cbranch_execnz .LBB1756_205
; %bb.206:
	s_set_inst_prefetch_distance 0x2
	s_or_b32 exec_lo, exec_lo, s9
.LBB1756_207:
	s_delay_alu instid0(SALU_CYCLE_1) | instskip(SKIP_2) | instid1(VALU_DEP_2)
	s_or_b32 exec_lo, exec_lo, s8
	v_add_nc_u32_e32 v14, v30, v34
	v_add_nc_u32_e32 v29, v27, v35
	v_sub_nc_u32_e32 v34, v14, v27
	s_delay_alu instid0(VALU_DEP_2) | instskip(NEXT) | instid1(VALU_DEP_2)
	v_cmp_le_u32_e64 s7, v29, v30
	v_cmp_le_u32_e64 s8, v34, v28
	s_delay_alu instid0(VALU_DEP_1) | instskip(NEXT) | instid1(SALU_CYCLE_1)
	s_or_b32 s7, s7, s8
	s_and_saveexec_b32 s9, s7
	s_cbranch_execz .LBB1756_243
; %bb.208:
	v_cmp_ge_u32_e64 s7, v29, v30
	s_mov_b32 s10, exec_lo
                                        ; implicit-def: $vgpr14
	v_cmpx_lt_u32_e64 v29, v30
	s_cbranch_execz .LBB1756_210
; %bb.209:
	v_lshl_add_u32 v4, v27, 1, v31
	ds_load_u16 v14, v4
.LBB1756_210:
	s_or_b32 exec_lo, exec_lo, s10
	v_cmp_ge_u32_e64 s10, v34, v28
	s_mov_b32 s11, exec_lo
                                        ; implicit-def: $vgpr27
	v_cmpx_lt_u32_e64 v34, v28
	s_cbranch_execz .LBB1756_212
; %bb.211:
	v_lshl_add_u32 v4, v34, 1, v10
	ds_load_u16 v27, v4
.LBB1756_212:
	s_or_b32 exec_lo, exec_lo, s11
	s_or_b32 s7, s7, s10
	s_mov_b32 s8, -1
	s_xor_b32 s7, s7, -1
	s_delay_alu instid0(SALU_CYCLE_1)
	s_and_saveexec_b32 s11, s7
	s_cbranch_execz .LBB1756_214
; %bb.213:
	s_waitcnt lgkmcnt(0)
	v_add_f16_e32 v4, 0, v27
	v_add_f16_e32 v5, 0, v14
	s_and_not1_b32 s10, s10, exec_lo
	s_delay_alu instid0(VALU_DEP_2) | instskip(NEXT) | instid1(VALU_DEP_1)
	v_cmp_lt_i16_e64 s7, -1, v4
	v_cndmask_b32_e64 v8, -1, 0xffff8000, s7
	s_delay_alu instid0(VALU_DEP_3) | instskip(NEXT) | instid1(VALU_DEP_2)
	v_cmp_lt_i16_e64 s7, -1, v5
	v_xor_b32_e32 v4, v8, v4
	s_delay_alu instid0(VALU_DEP_2) | instskip(NEXT) | instid1(VALU_DEP_1)
	v_cndmask_b32_e64 v9, -1, 0xffff8000, s7
	v_xor_b32_e32 v5, v9, v5
	s_delay_alu instid0(VALU_DEP_1) | instskip(NEXT) | instid1(VALU_DEP_1)
	v_cmp_le_u16_e64 s7, v4, v5
	s_and_b32 s7, s7, exec_lo
	s_delay_alu instid0(SALU_CYCLE_1)
	s_or_b32 s10, s10, s7
.LBB1756_214:
	s_or_b32 exec_lo, exec_lo, s11
	v_cndmask_b32_e64 v4, v34, v29, s10
	v_cndmask_b32_e64 v5, v28, v30, s10
	s_mov_b32 s11, exec_lo
	s_delay_alu instid0(VALU_DEP_2) | instskip(NEXT) | instid1(VALU_DEP_2)
	v_add_nc_u32_e32 v8, 1, v4
	v_add_nc_u32_e32 v5, -1, v5
	v_lshl_add_u32 v4, v4, 3, v13
	s_delay_alu instid0(VALU_DEP_3) | instskip(NEXT) | instid1(VALU_DEP_3)
	v_cndmask_b32_e64 v15, v8, v34, s10
	v_min_u32_e32 v5, v8, v5
	v_cndmask_b32_e64 v16, v29, v8, s10
	s_delay_alu instid0(VALU_DEP_2)
	v_lshl_add_u32 v5, v5, 1, v10
	ds_load_u16 v9, v5
	ds_load_b64 v[4:5], v4 offset:4096
	s_waitcnt lgkmcnt(1)
	v_cndmask_b32_e64 v29, v9, v27, s10
	v_cndmask_b32_e64 v31, v14, v9, s10
	v_cmpx_lt_u32_e64 v15, v28
	s_cbranch_execz .LBB1756_218
; %bb.215:
	s_mov_b32 s12, 0
	s_mov_b32 s8, exec_lo
	v_cmpx_lt_u32_e64 v16, v30
; %bb.216:
	v_add_f16_e32 v8, 0, v29
	v_add_f16_e32 v9, 0, v31
	s_delay_alu instid0(VALU_DEP_2) | instskip(NEXT) | instid1(VALU_DEP_1)
	v_cmp_lt_i16_e64 s7, -1, v8
	v_cndmask_b32_e64 v17, -1, 0xffff8000, s7
	s_delay_alu instid0(VALU_DEP_3) | instskip(NEXT) | instid1(VALU_DEP_2)
	v_cmp_lt_i16_e64 s7, -1, v9
	v_xor_b32_e32 v8, v17, v8
	s_delay_alu instid0(VALU_DEP_2) | instskip(NEXT) | instid1(VALU_DEP_1)
	v_cndmask_b32_e64 v18, -1, 0xffff8000, s7
	v_xor_b32_e32 v9, v18, v9
	s_delay_alu instid0(VALU_DEP_1) | instskip(NEXT) | instid1(VALU_DEP_1)
	v_cmp_le_u16_e64 s7, v8, v9
	s_and_b32 s12, s7, exec_lo
; %bb.217:
	s_or_b32 exec_lo, exec_lo, s8
	s_delay_alu instid0(SALU_CYCLE_1)
	s_or_not1_b32 s8, s12, exec_lo
.LBB1756_218:
	s_or_b32 exec_lo, exec_lo, s11
	v_cndmask_b32_e64 v8, v15, v16, s8
	v_cndmask_b32_e64 v9, v28, v30, s8
	s_mov_b32 s12, -1
	s_mov_b32 s11, -1
	s_mov_b32 s13, exec_lo
	v_add_nc_u32_e32 v18, 1, v8
	v_add_nc_u32_e32 v9, -1, v9
	v_lshl_add_u32 v8, v8, 3, v13
	s_delay_alu instid0(VALU_DEP_3) | instskip(NEXT) | instid1(VALU_DEP_3)
	v_cndmask_b32_e64 v17, v18, v15, s8
	v_min_u32_e32 v9, v18, v9
	v_cndmask_b32_e64 v18, v16, v18, s8
	s_delay_alu instid0(VALU_DEP_2)
	v_lshl_add_u32 v9, v9, 1, v10
	ds_load_u16 v19, v9
	ds_load_b64 v[8:9], v8 offset:4096
	s_waitcnt lgkmcnt(1)
	v_cndmask_b32_e64 v34, v19, v29, s8
	v_cndmask_b32_e64 v35, v31, v19, s8
	v_cmpx_lt_u32_e64 v17, v28
	s_cbranch_execz .LBB1756_222
; %bb.219:
	s_mov_b32 s14, 0
	s_mov_b32 s11, exec_lo
	v_cmpx_lt_u32_e64 v18, v30
; %bb.220:
	v_add_f16_e32 v15, 0, v34
	v_add_f16_e32 v16, 0, v35
	s_delay_alu instid0(VALU_DEP_2) | instskip(NEXT) | instid1(VALU_DEP_1)
	v_cmp_lt_i16_e64 s7, -1, v15
	v_cndmask_b32_e64 v19, -1, 0xffff8000, s7
	s_delay_alu instid0(VALU_DEP_3) | instskip(NEXT) | instid1(VALU_DEP_2)
	v_cmp_lt_i16_e64 s7, -1, v16
	v_xor_b32_e32 v15, v19, v15
	s_delay_alu instid0(VALU_DEP_2) | instskip(NEXT) | instid1(VALU_DEP_1)
	v_cndmask_b32_e64 v20, -1, 0xffff8000, s7
	v_xor_b32_e32 v16, v20, v16
	s_delay_alu instid0(VALU_DEP_1) | instskip(NEXT) | instid1(VALU_DEP_1)
	v_cmp_le_u16_e64 s7, v15, v16
	s_and_b32 s14, s7, exec_lo
; %bb.221:
	s_or_b32 exec_lo, exec_lo, s11
	s_delay_alu instid0(SALU_CYCLE_1)
	s_or_not1_b32 s11, s14, exec_lo
.LBB1756_222:
	s_or_b32 exec_lo, exec_lo, s13
	v_cndmask_b32_e64 v15, v17, v18, s11
	v_cndmask_b32_e64 v16, v28, v30, s11
	s_mov_b32 s13, exec_lo
	s_delay_alu instid0(VALU_DEP_2) | instskip(NEXT) | instid1(VALU_DEP_2)
	v_add_nc_u32_e32 v20, 1, v15
	v_add_nc_u32_e32 v16, -1, v16
	v_lshl_add_u32 v15, v15, 3, v13
	s_delay_alu instid0(VALU_DEP_3) | instskip(NEXT) | instid1(VALU_DEP_3)
	v_cndmask_b32_e64 v19, v20, v17, s11
	v_min_u32_e32 v16, v20, v16
	v_cndmask_b32_e64 v20, v18, v20, s11
	s_delay_alu instid0(VALU_DEP_2)
	v_lshl_add_u32 v16, v16, 1, v10
	ds_load_u16 v21, v16
	ds_load_b64 v[15:16], v15 offset:4096
	s_waitcnt lgkmcnt(1)
	v_cndmask_b32_e64 v36, v21, v34, s11
	v_cndmask_b32_e64 v37, v35, v21, s11
	v_cmpx_lt_u32_e64 v19, v28
	s_cbranch_execz .LBB1756_226
; %bb.223:
	s_mov_b32 s14, 0
	s_mov_b32 s12, exec_lo
	v_cmpx_lt_u32_e64 v20, v30
; %bb.224:
	v_add_f16_e32 v17, 0, v36
	v_add_f16_e32 v18, 0, v37
	s_delay_alu instid0(VALU_DEP_2) | instskip(NEXT) | instid1(VALU_DEP_1)
	v_cmp_lt_i16_e64 s7, -1, v17
	v_cndmask_b32_e64 v21, -1, 0xffff8000, s7
	s_delay_alu instid0(VALU_DEP_3) | instskip(NEXT) | instid1(VALU_DEP_2)
	v_cmp_lt_i16_e64 s7, -1, v18
	v_xor_b32_e32 v17, v21, v17
	s_delay_alu instid0(VALU_DEP_2) | instskip(NEXT) | instid1(VALU_DEP_1)
	v_cndmask_b32_e64 v22, -1, 0xffff8000, s7
	v_xor_b32_e32 v18, v22, v18
	s_delay_alu instid0(VALU_DEP_1) | instskip(NEXT) | instid1(VALU_DEP_1)
	v_cmp_le_u16_e64 s7, v17, v18
	s_and_b32 s14, s7, exec_lo
; %bb.225:
	s_or_b32 exec_lo, exec_lo, s12
	s_delay_alu instid0(SALU_CYCLE_1)
	s_or_not1_b32 s12, s14, exec_lo
.LBB1756_226:
	s_or_b32 exec_lo, exec_lo, s13
	v_cndmask_b32_e64 v17, v19, v20, s12
	v_cndmask_b32_e64 v18, v28, v30, s12
	s_mov_b32 s14, -1
	s_mov_b32 s13, -1
	s_mov_b32 s15, exec_lo
	v_add_nc_u32_e32 v22, 1, v17
	v_add_nc_u32_e32 v18, -1, v18
	v_lshl_add_u32 v17, v17, 3, v13
	s_delay_alu instid0(VALU_DEP_3) | instskip(NEXT) | instid1(VALU_DEP_3)
	v_cndmask_b32_e64 v21, v22, v19, s12
	v_min_u32_e32 v18, v22, v18
	v_cndmask_b32_e64 v22, v20, v22, s12
	s_delay_alu instid0(VALU_DEP_2)
	v_lshl_add_u32 v18, v18, 1, v10
	ds_load_u16 v23, v18
	ds_load_b64 v[17:18], v17 offset:4096
	s_waitcnt lgkmcnt(1)
	v_cndmask_b32_e64 v39, v23, v36, s12
	v_cndmask_b32_e64 v48, v37, v23, s12
	v_cmpx_lt_u32_e64 v21, v28
	s_cbranch_execz .LBB1756_230
; %bb.227:
	s_mov_b32 s16, 0
	s_mov_b32 s13, exec_lo
	v_cmpx_lt_u32_e64 v22, v30
; %bb.228:
	v_add_f16_e32 v19, 0, v39
	v_add_f16_e32 v20, 0, v48
	s_delay_alu instid0(VALU_DEP_2) | instskip(NEXT) | instid1(VALU_DEP_1)
	v_cmp_lt_i16_e64 s7, -1, v19
	v_cndmask_b32_e64 v23, -1, 0xffff8000, s7
	s_delay_alu instid0(VALU_DEP_3) | instskip(NEXT) | instid1(VALU_DEP_2)
	v_cmp_lt_i16_e64 s7, -1, v20
	v_xor_b32_e32 v19, v23, v19
	s_delay_alu instid0(VALU_DEP_2) | instskip(NEXT) | instid1(VALU_DEP_1)
	v_cndmask_b32_e64 v24, -1, 0xffff8000, s7
	v_xor_b32_e32 v20, v24, v20
	s_delay_alu instid0(VALU_DEP_1) | instskip(NEXT) | instid1(VALU_DEP_1)
	v_cmp_le_u16_e64 s7, v19, v20
	s_and_b32 s16, s7, exec_lo
; %bb.229:
	s_or_b32 exec_lo, exec_lo, s13
	s_delay_alu instid0(SALU_CYCLE_1)
	s_or_not1_b32 s13, s16, exec_lo
.LBB1756_230:
	s_or_b32 exec_lo, exec_lo, s15
	v_cndmask_b32_e64 v19, v21, v22, s13
	v_cndmask_b32_e64 v20, v28, v30, s13
	s_mov_b32 s15, exec_lo
	s_delay_alu instid0(VALU_DEP_2) | instskip(NEXT) | instid1(VALU_DEP_2)
	v_add_nc_u32_e32 v23, 1, v19
	v_add_nc_u32_e32 v20, -1, v20
	v_lshl_add_u32 v19, v19, 3, v13
	s_delay_alu instid0(VALU_DEP_3) | instskip(NEXT) | instid1(VALU_DEP_3)
	v_cndmask_b32_e64 v21, v23, v21, s13
	v_min_u32_e32 v20, v23, v20
	v_cndmask_b32_e64 v22, v22, v23, s13
	s_delay_alu instid0(VALU_DEP_2)
	v_lshl_add_u32 v20, v20, 1, v10
	ds_load_u16 v24, v20
	ds_load_b64 v[19:20], v19 offset:4096
	s_waitcnt lgkmcnt(1)
	v_cndmask_b32_e64 v38, v24, v39, s13
	v_cndmask_b32_e64 v49, v48, v24, s13
	v_cmpx_lt_u32_e64 v21, v28
	s_cbranch_execz .LBB1756_234
; %bb.231:
	s_mov_b32 s16, 0
	s_mov_b32 s14, exec_lo
	v_cmpx_lt_u32_e64 v22, v30
; %bb.232:
	v_add_f16_e32 v23, 0, v38
	v_add_f16_e32 v24, 0, v49
	s_delay_alu instid0(VALU_DEP_2) | instskip(NEXT) | instid1(VALU_DEP_1)
	v_cmp_lt_i16_e64 s7, -1, v23
	v_cndmask_b32_e64 v25, -1, 0xffff8000, s7
	s_delay_alu instid0(VALU_DEP_3) | instskip(NEXT) | instid1(VALU_DEP_2)
	v_cmp_lt_i16_e64 s7, -1, v24
	v_xor_b32_e32 v23, v25, v23
	s_delay_alu instid0(VALU_DEP_2) | instskip(NEXT) | instid1(VALU_DEP_1)
	v_cndmask_b32_e64 v26, -1, 0xffff8000, s7
	v_xor_b32_e32 v24, v26, v24
	s_delay_alu instid0(VALU_DEP_1) | instskip(NEXT) | instid1(VALU_DEP_1)
	v_cmp_le_u16_e64 s7, v23, v24
	s_and_b32 s16, s7, exec_lo
; %bb.233:
	s_or_b32 exec_lo, exec_lo, s14
	s_delay_alu instid0(SALU_CYCLE_1)
	s_or_not1_b32 s14, s16, exec_lo
.LBB1756_234:
	s_or_b32 exec_lo, exec_lo, s15
	v_cndmask_b32_e64 v23, v21, v22, s14
	v_cndmask_b32_e64 v24, v28, v30, s14
	s_mov_b32 s15, -1
	s_mov_b32 s16, -1
	s_mov_b32 s17, exec_lo
	v_add_nc_u32_e32 v26, 1, v23
	v_add_nc_u32_e32 v24, -1, v24
	v_lshl_add_u32 v23, v23, 3, v13
	s_delay_alu instid0(VALU_DEP_3) | instskip(NEXT) | instid1(VALU_DEP_3)
	v_cndmask_b32_e64 v25, v26, v21, s14
	v_min_u32_e32 v24, v26, v24
	v_cndmask_b32_e64 v26, v22, v26, s14
	s_delay_alu instid0(VALU_DEP_2)
	v_lshl_add_u32 v24, v24, 1, v10
	ds_load_u16 v51, v24
	ds_load_b64 v[23:24], v23 offset:4096
	s_waitcnt lgkmcnt(1)
	v_cndmask_b32_e64 v50, v51, v38, s14
	v_cndmask_b32_e64 v51, v49, v51, s14
	v_cmpx_lt_u32_e64 v25, v28
	s_cbranch_execz .LBB1756_238
; %bb.235:
	s_mov_b32 s18, 0
	s_mov_b32 s16, exec_lo
	v_cmpx_lt_u32_e64 v26, v30
; %bb.236:
	v_add_f16_e32 v21, 0, v50
	v_add_f16_e32 v22, 0, v51
	s_delay_alu instid0(VALU_DEP_2) | instskip(NEXT) | instid1(VALU_DEP_1)
	v_cmp_lt_i16_e64 s7, -1, v21
	v_cndmask_b32_e64 v52, -1, 0xffff8000, s7
	s_delay_alu instid0(VALU_DEP_3) | instskip(NEXT) | instid1(VALU_DEP_2)
	v_cmp_lt_i16_e64 s7, -1, v22
	v_xor_b32_e32 v21, v52, v21
	s_delay_alu instid0(VALU_DEP_2) | instskip(NEXT) | instid1(VALU_DEP_1)
	v_cndmask_b32_e64 v53, -1, 0xffff8000, s7
	v_xor_b32_e32 v22, v53, v22
	s_delay_alu instid0(VALU_DEP_1) | instskip(NEXT) | instid1(VALU_DEP_1)
	v_cmp_le_u16_e64 s7, v21, v22
	s_and_b32 s18, s7, exec_lo
; %bb.237:
	s_or_b32 exec_lo, exec_lo, s16
	s_delay_alu instid0(SALU_CYCLE_1)
	s_or_not1_b32 s16, s18, exec_lo
.LBB1756_238:
	s_or_b32 exec_lo, exec_lo, s17
	v_cndmask_b32_e64 v21, v25, v26, s16
	v_cndmask_b32_e64 v22, v28, v30, s16
	s_mov_b32 s17, exec_lo
	s_delay_alu instid0(VALU_DEP_2) | instskip(NEXT) | instid1(VALU_DEP_2)
	v_add_nc_u32_e32 v52, 1, v21
	v_add_nc_u32_e32 v22, -1, v22
	s_delay_alu instid0(VALU_DEP_2) | instskip(NEXT) | instid1(VALU_DEP_2)
	v_cndmask_b32_e64 v25, v52, v25, s16
	v_min_u32_e32 v22, v52, v22
	v_cndmask_b32_e64 v26, v26, v52, s16
	s_delay_alu instid0(VALU_DEP_2)
	v_lshl_add_u32 v10, v22, 1, v10
	ds_load_u16 v53, v10
	v_lshl_add_u32 v10, v21, 3, v13
	ds_load_b64 v[21:22], v10 offset:4096
	s_waitcnt lgkmcnt(1)
	v_cndmask_b32_e64 v10, v53, v50, s16
	v_cndmask_b32_e64 v52, v51, v53, s16
	v_cmpx_lt_u32_e64 v25, v28
	s_cbranch_execz .LBB1756_242
; %bb.239:
	s_mov_b32 s18, 0
	s_mov_b32 s15, exec_lo
	v_cmpx_lt_u32_e64 v26, v30
; %bb.240:
	v_add_f16_e32 v28, 0, v10
	v_add_f16_e32 v30, 0, v52
	s_delay_alu instid0(VALU_DEP_2) | instskip(NEXT) | instid1(VALU_DEP_1)
	v_cmp_lt_i16_e64 s7, -1, v28
	v_cndmask_b32_e64 v53, -1, 0xffff8000, s7
	s_delay_alu instid0(VALU_DEP_3) | instskip(NEXT) | instid1(VALU_DEP_2)
	v_cmp_lt_i16_e64 s7, -1, v30
	v_xor_b32_e32 v28, v53, v28
	s_delay_alu instid0(VALU_DEP_2) | instskip(NEXT) | instid1(VALU_DEP_1)
	v_cndmask_b32_e64 v54, -1, 0xffff8000, s7
	v_xor_b32_e32 v30, v54, v30
	s_delay_alu instid0(VALU_DEP_1) | instskip(NEXT) | instid1(VALU_DEP_1)
	v_cmp_le_u16_e64 s7, v28, v30
	s_and_b32 s18, s7, exec_lo
; %bb.241:
	s_or_b32 exec_lo, exec_lo, s15
	s_delay_alu instid0(SALU_CYCLE_1)
	s_or_not1_b32 s15, s18, exec_lo
.LBB1756_242:
	s_or_b32 exec_lo, exec_lo, s17
	v_cndmask_b32_e64 v25, v25, v26, s15
	v_cndmask_b32_e64 v50, v50, v51, s16
	;; [unrolled: 1-line block ×5, first 2 shown]
	v_lshl_add_u32 v13, v25, 3, v13
	v_cndmask_b32_e64 v48, v34, v35, s11
	v_cndmask_b32_e64 v39, v29, v31, s8
	;; [unrolled: 1-line block ×4, first 2 shown]
	ds_load_b64 v[25:26], v13 offset:4096
.LBB1756_243:
	s_or_b32 exec_lo, exec_lo, s9
	v_add_co_u32 v2, s7, v2, v11
	s_delay_alu instid0(VALU_DEP_1) | instskip(NEXT) | instid1(VALU_DEP_2)
	v_add_co_ci_u32_e64 v3, s7, v3, v12, s7
	v_add_co_u32 v2, s7, v2, v32
	s_delay_alu instid0(VALU_DEP_1)
	v_add_co_ci_u32_e64 v3, s7, 0, v3, s7
	; wave barrier
	s_waitcnt lgkmcnt(0)
	s_waitcnt_vscnt null, 0x0
	s_barrier
	buffer_gl0_inv
	; wave barrier
	s_and_saveexec_b32 s7, vcc_lo
	s_cbranch_execnz .LBB1756_268
; %bb.244:
	s_or_b32 exec_lo, exec_lo, s7
	s_and_saveexec_b32 s7, s0
	s_cbranch_execnz .LBB1756_269
.LBB1756_245:
	s_or_b32 exec_lo, exec_lo, s7
	s_and_saveexec_b32 s7, s1
	s_cbranch_execnz .LBB1756_270
.LBB1756_246:
	s_or_b32 exec_lo, exec_lo, s7
	s_and_saveexec_b32 s7, s2
	s_cbranch_execnz .LBB1756_271
.LBB1756_247:
	s_or_b32 exec_lo, exec_lo, s7
	s_and_saveexec_b32 s7, s3
	s_cbranch_execnz .LBB1756_272
.LBB1756_248:
	s_or_b32 exec_lo, exec_lo, s7
	s_and_saveexec_b32 s7, s4
	s_cbranch_execnz .LBB1756_273
.LBB1756_249:
	s_or_b32 exec_lo, exec_lo, s7
	s_and_saveexec_b32 s7, s5
	s_cbranch_execnz .LBB1756_274
.LBB1756_250:
	s_or_b32 exec_lo, exec_lo, s7
	s_and_saveexec_b32 s7, s6
	s_cbranch_execz .LBB1756_252
.LBB1756_251:
	flat_store_b16 v[2:3], v37 offset:14
.LBB1756_252:
	s_or_b32 exec_lo, exec_lo, s7
	v_add_co_u32 v0, s7, v6, v0
	s_delay_alu instid0(VALU_DEP_1) | instskip(NEXT) | instid1(VALU_DEP_2)
	v_add_co_ci_u32_e64 v1, s7, v7, v1, s7
	v_add_co_u32 v0, s7, v0, v33
	s_delay_alu instid0(VALU_DEP_1)
	v_add_co_ci_u32_e64 v1, s7, 0, v1, s7
	; wave barrier
	s_and_saveexec_b32 s7, vcc_lo
	s_cbranch_execnz .LBB1756_275
; %bb.253:
	s_or_b32 exec_lo, exec_lo, s7
	s_and_saveexec_b32 s7, s0
	s_cbranch_execnz .LBB1756_276
.LBB1756_254:
	s_or_b32 exec_lo, exec_lo, s7
	s_and_saveexec_b32 s0, s1
	s_cbranch_execnz .LBB1756_277
.LBB1756_255:
	s_or_b32 exec_lo, exec_lo, s0
	s_and_saveexec_b32 s0, s2
	s_cbranch_execnz .LBB1756_278
.LBB1756_256:
	s_or_b32 exec_lo, exec_lo, s0
	s_and_saveexec_b32 s0, s3
	s_cbranch_execnz .LBB1756_279
.LBB1756_257:
	s_or_b32 exec_lo, exec_lo, s0
	s_and_saveexec_b32 s0, s4
	s_cbranch_execnz .LBB1756_280
.LBB1756_258:
	s_or_b32 exec_lo, exec_lo, s0
	s_and_saveexec_b32 s0, s5
	s_cbranch_execnz .LBB1756_281
.LBB1756_259:
	s_or_b32 exec_lo, exec_lo, s0
	s_and_saveexec_b32 s0, s6
	s_cbranch_execnz .LBB1756_282
.LBB1756_260:
	s_or_b32 exec_lo, exec_lo, s0
	s_waitcnt lgkmcnt(0)
	s_setpc_b64 s[30:31]
.LBB1756_261:
	flat_load_b64 v[4:5], v[13:14]
	s_or_b32 exec_lo, exec_lo, s7
                                        ; implicit-def: $vgpr8_vgpr9
	s_and_saveexec_b32 s7, s0
	s_cbranch_execz .LBB1756_18
.LBB1756_262:
	flat_load_b64 v[8:9], v[13:14] offset:8
	s_or_b32 exec_lo, exec_lo, s7
                                        ; implicit-def: $vgpr15_vgpr16
	s_and_saveexec_b32 s7, s1
	s_cbranch_execz .LBB1756_19
.LBB1756_263:
	flat_load_b64 v[15:16], v[13:14] offset:16
	s_or_b32 exec_lo, exec_lo, s7
                                        ; implicit-def: $vgpr17_vgpr18
	s_and_saveexec_b32 s7, s2
	s_cbranch_execz .LBB1756_20
.LBB1756_264:
	flat_load_b64 v[17:18], v[13:14] offset:24
	s_or_b32 exec_lo, exec_lo, s7
                                        ; implicit-def: $vgpr19_vgpr20
	s_and_saveexec_b32 s7, s3
	s_cbranch_execz .LBB1756_21
.LBB1756_265:
	flat_load_b64 v[19:20], v[13:14] offset:32
	s_or_b32 exec_lo, exec_lo, s7
                                        ; implicit-def: $vgpr23_vgpr24
	s_and_saveexec_b32 s7, s4
	s_cbranch_execz .LBB1756_22
.LBB1756_266:
	flat_load_b64 v[23:24], v[13:14] offset:40
	s_or_b32 exec_lo, exec_lo, s7
                                        ; implicit-def: $vgpr21_vgpr22
	s_and_saveexec_b32 s7, s5
	s_cbranch_execz .LBB1756_23
.LBB1756_267:
	flat_load_b64 v[21:22], v[13:14] offset:48
	s_or_b32 exec_lo, exec_lo, s7
                                        ; implicit-def: $vgpr25_vgpr26
	s_and_saveexec_b32 s7, s6
	s_cbranch_execnz .LBB1756_24
	s_branch .LBB1756_25
.LBB1756_268:
	flat_store_b16 v[2:3], v36
	s_or_b32 exec_lo, exec_lo, s7
	s_and_saveexec_b32 s7, s0
	s_cbranch_execz .LBB1756_245
.LBB1756_269:
	flat_store_b16 v[2:3], v39 offset:2
	s_or_b32 exec_lo, exec_lo, s7
	s_and_saveexec_b32 s7, s1
	s_cbranch_execz .LBB1756_246
.LBB1756_270:
	flat_store_b16 v[2:3], v48 offset:4
	s_or_b32 exec_lo, exec_lo, s7
	s_and_saveexec_b32 s7, s2
	s_cbranch_execz .LBB1756_247
.LBB1756_271:
	flat_store_b16 v[2:3], v51 offset:6
	s_or_b32 exec_lo, exec_lo, s7
	s_and_saveexec_b32 s7, s3
	s_cbranch_execz .LBB1756_248
.LBB1756_272:
	flat_store_b16 v[2:3], v49 offset:8
	s_or_b32 exec_lo, exec_lo, s7
	s_and_saveexec_b32 s7, s4
	s_cbranch_execz .LBB1756_249
.LBB1756_273:
	flat_store_b16 v[2:3], v38 offset:10
	s_or_b32 exec_lo, exec_lo, s7
	s_and_saveexec_b32 s7, s5
	s_cbranch_execz .LBB1756_250
.LBB1756_274:
	flat_store_b16 v[2:3], v50 offset:12
	s_or_b32 exec_lo, exec_lo, s7
	s_and_saveexec_b32 s7, s6
	s_cbranch_execnz .LBB1756_251
	s_branch .LBB1756_252
.LBB1756_275:
	flat_store_b64 v[0:1], v[4:5]
	s_or_b32 exec_lo, exec_lo, s7
	s_and_saveexec_b32 s7, s0
	s_cbranch_execz .LBB1756_254
.LBB1756_276:
	flat_store_b64 v[0:1], v[8:9] offset:8
	s_or_b32 exec_lo, exec_lo, s7
	s_and_saveexec_b32 s0, s1
	s_cbranch_execz .LBB1756_255
.LBB1756_277:
	flat_store_b64 v[0:1], v[15:16] offset:16
	s_or_b32 exec_lo, exec_lo, s0
	s_and_saveexec_b32 s0, s2
	s_cbranch_execz .LBB1756_256
.LBB1756_278:
	flat_store_b64 v[0:1], v[17:18] offset:24
	s_or_b32 exec_lo, exec_lo, s0
	s_and_saveexec_b32 s0, s3
	s_cbranch_execz .LBB1756_257
.LBB1756_279:
	flat_store_b64 v[0:1], v[19:20] offset:32
	s_or_b32 exec_lo, exec_lo, s0
	s_and_saveexec_b32 s0, s4
	s_cbranch_execz .LBB1756_258
.LBB1756_280:
	flat_store_b64 v[0:1], v[23:24] offset:40
	s_or_b32 exec_lo, exec_lo, s0
	s_and_saveexec_b32 s0, s5
	s_cbranch_execz .LBB1756_259
.LBB1756_281:
	flat_store_b64 v[0:1], v[21:22] offset:48
	s_or_b32 exec_lo, exec_lo, s0
	s_and_saveexec_b32 s0, s6
	s_cbranch_execz .LBB1756_260
.LBB1756_282:
	flat_store_b64 v[0:1], v[25:26] offset:56
	s_or_b32 exec_lo, exec_lo, s0
	s_waitcnt lgkmcnt(0)
	s_setpc_b64 s[30:31]
.Lfunc_end1756:
	.size	_ZN7rocprim17ROCPRIM_400000_NS6detail26segmented_warp_sort_helperINS1_20WarpSortHelperConfigILj16ELj8ELj256EEE6__halflLi256ELb1EvE4sortIPKS5_PS5_PKlPlEEvT_T0_T1_T2_jjjjRNS6_12storage_typeE, .Lfunc_end1756-_ZN7rocprim17ROCPRIM_400000_NS6detail26segmented_warp_sort_helperINS1_20WarpSortHelperConfigILj16ELj8ELj256EEE6__halflLi256ELb1EvE4sortIPKS5_PS5_PKlPlEEvT_T0_T1_T2_jjjjRNS6_12storage_typeE
                                        ; -- End function
	.section	.AMDGPU.csdata,"",@progbits
; Function info:
; codeLenInByte = 14944
; NumSgprs: 34
; NumVgprs: 71
; ScratchSize: 0
; MemoryBound: 0
	.section	.text._ZN7rocprim17ROCPRIM_400000_NS6detail17trampoline_kernelINS0_14default_configENS1_36segmented_radix_sort_config_selectorI6__halflEEZNS1_25segmented_radix_sort_implIS3_Lb1EPKS5_PS5_PKlPlN2at6native12_GLOBAL__N_18offset_tEEE10hipError_tPvRmT1_PNSt15iterator_traitsISL_E10value_typeET2_T3_PNSM_ISR_E10value_typeET4_jRbjT5_SX_jjP12ihipStream_tbEUlT_E0_NS1_11comp_targetILNS1_3genE9ELNS1_11target_archE1100ELNS1_3gpuE3ELNS1_3repE0EEENS1_60segmented_radix_sort_warp_sort_medium_config_static_selectorELNS0_4arch9wavefront6targetE0EEEvSL_,"axG",@progbits,_ZN7rocprim17ROCPRIM_400000_NS6detail17trampoline_kernelINS0_14default_configENS1_36segmented_radix_sort_config_selectorI6__halflEEZNS1_25segmented_radix_sort_implIS3_Lb1EPKS5_PS5_PKlPlN2at6native12_GLOBAL__N_18offset_tEEE10hipError_tPvRmT1_PNSt15iterator_traitsISL_E10value_typeET2_T3_PNSM_ISR_E10value_typeET4_jRbjT5_SX_jjP12ihipStream_tbEUlT_E0_NS1_11comp_targetILNS1_3genE9ELNS1_11target_archE1100ELNS1_3gpuE3ELNS1_3repE0EEENS1_60segmented_radix_sort_warp_sort_medium_config_static_selectorELNS0_4arch9wavefront6targetE0EEEvSL_,comdat
	.globl	_ZN7rocprim17ROCPRIM_400000_NS6detail17trampoline_kernelINS0_14default_configENS1_36segmented_radix_sort_config_selectorI6__halflEEZNS1_25segmented_radix_sort_implIS3_Lb1EPKS5_PS5_PKlPlN2at6native12_GLOBAL__N_18offset_tEEE10hipError_tPvRmT1_PNSt15iterator_traitsISL_E10value_typeET2_T3_PNSM_ISR_E10value_typeET4_jRbjT5_SX_jjP12ihipStream_tbEUlT_E0_NS1_11comp_targetILNS1_3genE9ELNS1_11target_archE1100ELNS1_3gpuE3ELNS1_3repE0EEENS1_60segmented_radix_sort_warp_sort_medium_config_static_selectorELNS0_4arch9wavefront6targetE0EEEvSL_ ; -- Begin function _ZN7rocprim17ROCPRIM_400000_NS6detail17trampoline_kernelINS0_14default_configENS1_36segmented_radix_sort_config_selectorI6__halflEEZNS1_25segmented_radix_sort_implIS3_Lb1EPKS5_PS5_PKlPlN2at6native12_GLOBAL__N_18offset_tEEE10hipError_tPvRmT1_PNSt15iterator_traitsISL_E10value_typeET2_T3_PNSM_ISR_E10value_typeET4_jRbjT5_SX_jjP12ihipStream_tbEUlT_E0_NS1_11comp_targetILNS1_3genE9ELNS1_11target_archE1100ELNS1_3gpuE3ELNS1_3repE0EEENS1_60segmented_radix_sort_warp_sort_medium_config_static_selectorELNS0_4arch9wavefront6targetE0EEEvSL_
	.p2align	8
	.type	_ZN7rocprim17ROCPRIM_400000_NS6detail17trampoline_kernelINS0_14default_configENS1_36segmented_radix_sort_config_selectorI6__halflEEZNS1_25segmented_radix_sort_implIS3_Lb1EPKS5_PS5_PKlPlN2at6native12_GLOBAL__N_18offset_tEEE10hipError_tPvRmT1_PNSt15iterator_traitsISL_E10value_typeET2_T3_PNSM_ISR_E10value_typeET4_jRbjT5_SX_jjP12ihipStream_tbEUlT_E0_NS1_11comp_targetILNS1_3genE9ELNS1_11target_archE1100ELNS1_3gpuE3ELNS1_3repE0EEENS1_60segmented_radix_sort_warp_sort_medium_config_static_selectorELNS0_4arch9wavefront6targetE0EEEvSL_,@function
_ZN7rocprim17ROCPRIM_400000_NS6detail17trampoline_kernelINS0_14default_configENS1_36segmented_radix_sort_config_selectorI6__halflEEZNS1_25segmented_radix_sort_implIS3_Lb1EPKS5_PS5_PKlPlN2at6native12_GLOBAL__N_18offset_tEEE10hipError_tPvRmT1_PNSt15iterator_traitsISL_E10value_typeET2_T3_PNSM_ISR_E10value_typeET4_jRbjT5_SX_jjP12ihipStream_tbEUlT_E0_NS1_11comp_targetILNS1_3genE9ELNS1_11target_archE1100ELNS1_3gpuE3ELNS1_3repE0EEENS1_60segmented_radix_sort_warp_sort_medium_config_static_selectorELNS0_4arch9wavefront6targetE0EEEvSL_: ; @_ZN7rocprim17ROCPRIM_400000_NS6detail17trampoline_kernelINS0_14default_configENS1_36segmented_radix_sort_config_selectorI6__halflEEZNS1_25segmented_radix_sort_implIS3_Lb1EPKS5_PS5_PKlPlN2at6native12_GLOBAL__N_18offset_tEEE10hipError_tPvRmT1_PNSt15iterator_traitsISL_E10value_typeET2_T3_PNSM_ISR_E10value_typeET4_jRbjT5_SX_jjP12ihipStream_tbEUlT_E0_NS1_11comp_targetILNS1_3genE9ELNS1_11target_archE1100ELNS1_3gpuE3ELNS1_3repE0EEENS1_60segmented_radix_sort_warp_sort_medium_config_static_selectorELNS0_4arch9wavefront6targetE0EEEvSL_
; %bb.0:
	s_load_b32 s2, s[0:1], 0x64
	v_bfe_u32 v1, v0, 10, 10
	v_bfe_u32 v2, v0, 20, 10
	s_mov_b32 s32, 0
	s_waitcnt lgkmcnt(0)
	s_lshr_b32 s3, s2, 16
	s_and_b32 s2, s2, 0xffff
	v_mad_u32_u24 v4, v2, s3, v1
	v_and_b32_e32 v1, 0x3ff, v0
	s_load_b32 s3, s[0:1], 0x34
	s_delay_alu instid0(VALU_DEP_1) | instskip(SKIP_1) | instid1(VALU_DEP_1)
	v_mad_u64_u32 v[2:3], null, v4, s2, v[1:2]
	s_mov_b32 s2, exec_lo
	v_lshrrev_b32_e32 v1, 4, v2
	s_delay_alu instid0(VALU_DEP_1) | instskip(SKIP_1) | instid1(VALU_DEP_1)
	v_lshl_add_u32 v1, s14, 4, v1
	s_waitcnt lgkmcnt(0)
	v_cmpx_gt_u32_e64 s3, v1
	s_cbranch_execz .LBB1757_6
; %bb.1:
	s_clause 0x1
	s_load_b64 s[2:3], s[0:1], 0x38
	s_load_b128 s[4:7], s[0:1], 0x40
	v_mov_b32_e32 v2, 0
	s_delay_alu instid0(VALU_DEP_1) | instskip(SKIP_1) | instid1(VALU_DEP_1)
	v_lshlrev_b64 v[1:2], 2, v[1:2]
	s_waitcnt lgkmcnt(0)
	v_add_co_u32 v1, vcc_lo, s2, v1
	s_delay_alu instid0(VALU_DEP_2) | instskip(SKIP_4) | instid1(VALU_DEP_2)
	v_add_co_ci_u32_e32 v2, vcc_lo, s3, v2, vcc_lo
	global_load_b32 v1, v[1:2], off
	s_waitcnt vmcnt(0)
	v_add_nc_u32_e32 v2, s5, v1
	v_add_nc_u32_e32 v1, s7, v1
	v_mul_lo_u32 v40, v2, s4
	s_delay_alu instid0(VALU_DEP_2) | instskip(NEXT) | instid1(VALU_DEP_1)
	v_mul_lo_u32 v41, v1, s6
	v_cmp_gt_u32_e32 vcc_lo, v41, v40
	s_and_b32 exec_lo, exec_lo, vcc_lo
	s_cbranch_execz .LBB1757_6
; %bb.2:
	s_clause 0x2
	s_load_b32 s2, s[0:1], 0x30
	s_load_b128 s[36:39], s[0:1], 0x20
	s_load_b256 s[20:27], s[0:1], 0x0
	s_waitcnt lgkmcnt(0)
	s_bitcmp0_b32 s2, 0
	s_mov_b32 s2, -1
	s_cbranch_scc0 .LBB1757_4
; %bb.3:
	v_mov_b32_e32 v31, v0
	v_dual_mov_b32 v42, v0 :: v_dual_mov_b32 v1, s21
	v_mov_b32_e32 v0, s20
	v_dual_mov_b32 v2, s22 :: v_dual_mov_b32 v3, s23
	v_dual_mov_b32 v4, s26 :: v_dual_mov_b32 v5, s27
	;; [unrolled: 1-line block ×4, first 2 shown]
	s_add_u32 s8, s0, 0x58
	s_addc_u32 s9, s1, 0
	s_mov_b32 s12, s14
	s_mov_b32 s13, s15
	s_getpc_b64 s[2:3]
	s_add_u32 s2, s2, _ZN7rocprim17ROCPRIM_400000_NS6detail26segmented_warp_sort_helperINS1_20WarpSortHelperConfigILj16ELj8ELj256EEE6__halflLi256ELb1EvE4sortIPKS5_PS5_PKlPlEEvT_T0_T1_T2_jjjjRNS6_12storage_typeE@rel32@lo+4
	s_addc_u32 s3, s3, _ZN7rocprim17ROCPRIM_400000_NS6detail26segmented_warp_sort_helperINS1_20WarpSortHelperConfigILj16ELj8ELj256EEE6__halflLi256ELb1EvE4sortIPKS5_PS5_PKlPlEEvT_T0_T1_T2_jjjjRNS6_12storage_typeE@rel32@hi+12
	s_mov_b64 s[22:23], s[0:1]
	s_mov_b32 s19, s15
	s_mov_b32 s28, s14
	s_swappc_b64 s[30:31], s[2:3]
	v_mov_b32_e32 v0, v42
	s_mov_b32 s14, s28
	s_mov_b32 s15, s19
	s_mov_b64 s[0:1], s[22:23]
	s_mov_b32 s2, 0
.LBB1757_4:
	s_delay_alu instid0(SALU_CYCLE_1)
	s_and_not1_b32 vcc_lo, exec_lo, s2
	s_cbranch_vccnz .LBB1757_6
; %bb.5:
	v_dual_mov_b32 v31, v0 :: v_dual_mov_b32 v0, s20
	v_dual_mov_b32 v1, s21 :: v_dual_mov_b32 v2, s24
	;; [unrolled: 1-line block ×5, first 2 shown]
	v_mov_b32_e32 v9, v41
	s_add_u32 s8, s0, 0x58
	s_addc_u32 s9, s1, 0
	s_mov_b32 s12, s14
	s_mov_b32 s13, s15
	s_getpc_b64 s[0:1]
	s_add_u32 s0, s0, _ZN7rocprim17ROCPRIM_400000_NS6detail26segmented_warp_sort_helperINS1_20WarpSortHelperConfigILj16ELj8ELj256EEE6__halflLi256ELb1EvE4sortIPKS5_PS5_PKlPlEEvT_T0_T1_T2_jjjjRNS6_12storage_typeE@rel32@lo+4
	s_addc_u32 s1, s1, _ZN7rocprim17ROCPRIM_400000_NS6detail26segmented_warp_sort_helperINS1_20WarpSortHelperConfigILj16ELj8ELj256EEE6__halflLi256ELb1EvE4sortIPKS5_PS5_PKlPlEEvT_T0_T1_T2_jjjjRNS6_12storage_typeE@rel32@hi+12
	s_delay_alu instid0(SALU_CYCLE_1)
	s_swappc_b64 s[30:31], s[0:1]
.LBB1757_6:
	s_endpgm
	.section	.rodata,"a",@progbits
	.p2align	6, 0x0
	.amdhsa_kernel _ZN7rocprim17ROCPRIM_400000_NS6detail17trampoline_kernelINS0_14default_configENS1_36segmented_radix_sort_config_selectorI6__halflEEZNS1_25segmented_radix_sort_implIS3_Lb1EPKS5_PS5_PKlPlN2at6native12_GLOBAL__N_18offset_tEEE10hipError_tPvRmT1_PNSt15iterator_traitsISL_E10value_typeET2_T3_PNSM_ISR_E10value_typeET4_jRbjT5_SX_jjP12ihipStream_tbEUlT_E0_NS1_11comp_targetILNS1_3genE9ELNS1_11target_archE1100ELNS1_3gpuE3ELNS1_3repE0EEENS1_60segmented_radix_sort_warp_sort_medium_config_static_selectorELNS0_4arch9wavefront6targetE0EEEvSL_
		.amdhsa_group_segment_fixed_size 20480
		.amdhsa_private_segment_fixed_size 0
		.amdhsa_kernarg_size 344
		.amdhsa_user_sgpr_count 14
		.amdhsa_user_sgpr_dispatch_ptr 0
		.amdhsa_user_sgpr_queue_ptr 0
		.amdhsa_user_sgpr_kernarg_segment_ptr 1
		.amdhsa_user_sgpr_dispatch_id 0
		.amdhsa_user_sgpr_private_segment_size 0
		.amdhsa_wavefront_size32 1
		.amdhsa_uses_dynamic_stack 0
		.amdhsa_enable_private_segment 0
		.amdhsa_system_sgpr_workgroup_id_x 1
		.amdhsa_system_sgpr_workgroup_id_y 1
		.amdhsa_system_sgpr_workgroup_id_z 0
		.amdhsa_system_sgpr_workgroup_info 0
		.amdhsa_system_vgpr_workitem_id 2
		.amdhsa_next_free_vgpr 71
		.amdhsa_next_free_sgpr 40
		.amdhsa_reserve_vcc 1
		.amdhsa_float_round_mode_32 0
		.amdhsa_float_round_mode_16_64 0
		.amdhsa_float_denorm_mode_32 3
		.amdhsa_float_denorm_mode_16_64 3
		.amdhsa_dx10_clamp 1
		.amdhsa_ieee_mode 1
		.amdhsa_fp16_overflow 0
		.amdhsa_workgroup_processor_mode 1
		.amdhsa_memory_ordered 1
		.amdhsa_forward_progress 0
		.amdhsa_shared_vgpr_count 0
		.amdhsa_exception_fp_ieee_invalid_op 0
		.amdhsa_exception_fp_denorm_src 0
		.amdhsa_exception_fp_ieee_div_zero 0
		.amdhsa_exception_fp_ieee_overflow 0
		.amdhsa_exception_fp_ieee_underflow 0
		.amdhsa_exception_fp_ieee_inexact 0
		.amdhsa_exception_int_div_zero 0
	.end_amdhsa_kernel
	.section	.text._ZN7rocprim17ROCPRIM_400000_NS6detail17trampoline_kernelINS0_14default_configENS1_36segmented_radix_sort_config_selectorI6__halflEEZNS1_25segmented_radix_sort_implIS3_Lb1EPKS5_PS5_PKlPlN2at6native12_GLOBAL__N_18offset_tEEE10hipError_tPvRmT1_PNSt15iterator_traitsISL_E10value_typeET2_T3_PNSM_ISR_E10value_typeET4_jRbjT5_SX_jjP12ihipStream_tbEUlT_E0_NS1_11comp_targetILNS1_3genE9ELNS1_11target_archE1100ELNS1_3gpuE3ELNS1_3repE0EEENS1_60segmented_radix_sort_warp_sort_medium_config_static_selectorELNS0_4arch9wavefront6targetE0EEEvSL_,"axG",@progbits,_ZN7rocprim17ROCPRIM_400000_NS6detail17trampoline_kernelINS0_14default_configENS1_36segmented_radix_sort_config_selectorI6__halflEEZNS1_25segmented_radix_sort_implIS3_Lb1EPKS5_PS5_PKlPlN2at6native12_GLOBAL__N_18offset_tEEE10hipError_tPvRmT1_PNSt15iterator_traitsISL_E10value_typeET2_T3_PNSM_ISR_E10value_typeET4_jRbjT5_SX_jjP12ihipStream_tbEUlT_E0_NS1_11comp_targetILNS1_3genE9ELNS1_11target_archE1100ELNS1_3gpuE3ELNS1_3repE0EEENS1_60segmented_radix_sort_warp_sort_medium_config_static_selectorELNS0_4arch9wavefront6targetE0EEEvSL_,comdat
.Lfunc_end1757:
	.size	_ZN7rocprim17ROCPRIM_400000_NS6detail17trampoline_kernelINS0_14default_configENS1_36segmented_radix_sort_config_selectorI6__halflEEZNS1_25segmented_radix_sort_implIS3_Lb1EPKS5_PS5_PKlPlN2at6native12_GLOBAL__N_18offset_tEEE10hipError_tPvRmT1_PNSt15iterator_traitsISL_E10value_typeET2_T3_PNSM_ISR_E10value_typeET4_jRbjT5_SX_jjP12ihipStream_tbEUlT_E0_NS1_11comp_targetILNS1_3genE9ELNS1_11target_archE1100ELNS1_3gpuE3ELNS1_3repE0EEENS1_60segmented_radix_sort_warp_sort_medium_config_static_selectorELNS0_4arch9wavefront6targetE0EEEvSL_, .Lfunc_end1757-_ZN7rocprim17ROCPRIM_400000_NS6detail17trampoline_kernelINS0_14default_configENS1_36segmented_radix_sort_config_selectorI6__halflEEZNS1_25segmented_radix_sort_implIS3_Lb1EPKS5_PS5_PKlPlN2at6native12_GLOBAL__N_18offset_tEEE10hipError_tPvRmT1_PNSt15iterator_traitsISL_E10value_typeET2_T3_PNSM_ISR_E10value_typeET4_jRbjT5_SX_jjP12ihipStream_tbEUlT_E0_NS1_11comp_targetILNS1_3genE9ELNS1_11target_archE1100ELNS1_3gpuE3ELNS1_3repE0EEENS1_60segmented_radix_sort_warp_sort_medium_config_static_selectorELNS0_4arch9wavefront6targetE0EEEvSL_
                                        ; -- End function
	.section	.AMDGPU.csdata,"",@progbits
; Kernel info:
; codeLenInByte = 500
; NumSgprs: 42
; NumVgprs: 71
; ScratchSize: 0
; MemoryBound: 0
; FloatMode: 240
; IeeeMode: 1
; LDSByteSize: 20480 bytes/workgroup (compile time only)
; SGPRBlocks: 5
; VGPRBlocks: 8
; NumSGPRsForWavesPerEU: 42
; NumVGPRsForWavesPerEU: 71
; Occupancy: 12
; WaveLimiterHint : 0
; COMPUTE_PGM_RSRC2:SCRATCH_EN: 0
; COMPUTE_PGM_RSRC2:USER_SGPR: 14
; COMPUTE_PGM_RSRC2:TRAP_HANDLER: 0
; COMPUTE_PGM_RSRC2:TGID_X_EN: 1
; COMPUTE_PGM_RSRC2:TGID_Y_EN: 1
; COMPUTE_PGM_RSRC2:TGID_Z_EN: 0
; COMPUTE_PGM_RSRC2:TIDIG_COMP_CNT: 2
	.section	.text._ZN7rocprim17ROCPRIM_400000_NS6detail17trampoline_kernelINS0_14default_configENS1_36segmented_radix_sort_config_selectorI6__halflEEZNS1_25segmented_radix_sort_implIS3_Lb1EPKS5_PS5_PKlPlN2at6native12_GLOBAL__N_18offset_tEEE10hipError_tPvRmT1_PNSt15iterator_traitsISL_E10value_typeET2_T3_PNSM_ISR_E10value_typeET4_jRbjT5_SX_jjP12ihipStream_tbEUlT_E0_NS1_11comp_targetILNS1_3genE8ELNS1_11target_archE1030ELNS1_3gpuE2ELNS1_3repE0EEENS1_60segmented_radix_sort_warp_sort_medium_config_static_selectorELNS0_4arch9wavefront6targetE0EEEvSL_,"axG",@progbits,_ZN7rocprim17ROCPRIM_400000_NS6detail17trampoline_kernelINS0_14default_configENS1_36segmented_radix_sort_config_selectorI6__halflEEZNS1_25segmented_radix_sort_implIS3_Lb1EPKS5_PS5_PKlPlN2at6native12_GLOBAL__N_18offset_tEEE10hipError_tPvRmT1_PNSt15iterator_traitsISL_E10value_typeET2_T3_PNSM_ISR_E10value_typeET4_jRbjT5_SX_jjP12ihipStream_tbEUlT_E0_NS1_11comp_targetILNS1_3genE8ELNS1_11target_archE1030ELNS1_3gpuE2ELNS1_3repE0EEENS1_60segmented_radix_sort_warp_sort_medium_config_static_selectorELNS0_4arch9wavefront6targetE0EEEvSL_,comdat
	.globl	_ZN7rocprim17ROCPRIM_400000_NS6detail17trampoline_kernelINS0_14default_configENS1_36segmented_radix_sort_config_selectorI6__halflEEZNS1_25segmented_radix_sort_implIS3_Lb1EPKS5_PS5_PKlPlN2at6native12_GLOBAL__N_18offset_tEEE10hipError_tPvRmT1_PNSt15iterator_traitsISL_E10value_typeET2_T3_PNSM_ISR_E10value_typeET4_jRbjT5_SX_jjP12ihipStream_tbEUlT_E0_NS1_11comp_targetILNS1_3genE8ELNS1_11target_archE1030ELNS1_3gpuE2ELNS1_3repE0EEENS1_60segmented_radix_sort_warp_sort_medium_config_static_selectorELNS0_4arch9wavefront6targetE0EEEvSL_ ; -- Begin function _ZN7rocprim17ROCPRIM_400000_NS6detail17trampoline_kernelINS0_14default_configENS1_36segmented_radix_sort_config_selectorI6__halflEEZNS1_25segmented_radix_sort_implIS3_Lb1EPKS5_PS5_PKlPlN2at6native12_GLOBAL__N_18offset_tEEE10hipError_tPvRmT1_PNSt15iterator_traitsISL_E10value_typeET2_T3_PNSM_ISR_E10value_typeET4_jRbjT5_SX_jjP12ihipStream_tbEUlT_E0_NS1_11comp_targetILNS1_3genE8ELNS1_11target_archE1030ELNS1_3gpuE2ELNS1_3repE0EEENS1_60segmented_radix_sort_warp_sort_medium_config_static_selectorELNS0_4arch9wavefront6targetE0EEEvSL_
	.p2align	8
	.type	_ZN7rocprim17ROCPRIM_400000_NS6detail17trampoline_kernelINS0_14default_configENS1_36segmented_radix_sort_config_selectorI6__halflEEZNS1_25segmented_radix_sort_implIS3_Lb1EPKS5_PS5_PKlPlN2at6native12_GLOBAL__N_18offset_tEEE10hipError_tPvRmT1_PNSt15iterator_traitsISL_E10value_typeET2_T3_PNSM_ISR_E10value_typeET4_jRbjT5_SX_jjP12ihipStream_tbEUlT_E0_NS1_11comp_targetILNS1_3genE8ELNS1_11target_archE1030ELNS1_3gpuE2ELNS1_3repE0EEENS1_60segmented_radix_sort_warp_sort_medium_config_static_selectorELNS0_4arch9wavefront6targetE0EEEvSL_,@function
_ZN7rocprim17ROCPRIM_400000_NS6detail17trampoline_kernelINS0_14default_configENS1_36segmented_radix_sort_config_selectorI6__halflEEZNS1_25segmented_radix_sort_implIS3_Lb1EPKS5_PS5_PKlPlN2at6native12_GLOBAL__N_18offset_tEEE10hipError_tPvRmT1_PNSt15iterator_traitsISL_E10value_typeET2_T3_PNSM_ISR_E10value_typeET4_jRbjT5_SX_jjP12ihipStream_tbEUlT_E0_NS1_11comp_targetILNS1_3genE8ELNS1_11target_archE1030ELNS1_3gpuE2ELNS1_3repE0EEENS1_60segmented_radix_sort_warp_sort_medium_config_static_selectorELNS0_4arch9wavefront6targetE0EEEvSL_: ; @_ZN7rocprim17ROCPRIM_400000_NS6detail17trampoline_kernelINS0_14default_configENS1_36segmented_radix_sort_config_selectorI6__halflEEZNS1_25segmented_radix_sort_implIS3_Lb1EPKS5_PS5_PKlPlN2at6native12_GLOBAL__N_18offset_tEEE10hipError_tPvRmT1_PNSt15iterator_traitsISL_E10value_typeET2_T3_PNSM_ISR_E10value_typeET4_jRbjT5_SX_jjP12ihipStream_tbEUlT_E0_NS1_11comp_targetILNS1_3genE8ELNS1_11target_archE1030ELNS1_3gpuE2ELNS1_3repE0EEENS1_60segmented_radix_sort_warp_sort_medium_config_static_selectorELNS0_4arch9wavefront6targetE0EEEvSL_
; %bb.0:
	.section	.rodata,"a",@progbits
	.p2align	6, 0x0
	.amdhsa_kernel _ZN7rocprim17ROCPRIM_400000_NS6detail17trampoline_kernelINS0_14default_configENS1_36segmented_radix_sort_config_selectorI6__halflEEZNS1_25segmented_radix_sort_implIS3_Lb1EPKS5_PS5_PKlPlN2at6native12_GLOBAL__N_18offset_tEEE10hipError_tPvRmT1_PNSt15iterator_traitsISL_E10value_typeET2_T3_PNSM_ISR_E10value_typeET4_jRbjT5_SX_jjP12ihipStream_tbEUlT_E0_NS1_11comp_targetILNS1_3genE8ELNS1_11target_archE1030ELNS1_3gpuE2ELNS1_3repE0EEENS1_60segmented_radix_sort_warp_sort_medium_config_static_selectorELNS0_4arch9wavefront6targetE0EEEvSL_
		.amdhsa_group_segment_fixed_size 0
		.amdhsa_private_segment_fixed_size 0
		.amdhsa_kernarg_size 88
		.amdhsa_user_sgpr_count 15
		.amdhsa_user_sgpr_dispatch_ptr 0
		.amdhsa_user_sgpr_queue_ptr 0
		.amdhsa_user_sgpr_kernarg_segment_ptr 1
		.amdhsa_user_sgpr_dispatch_id 0
		.amdhsa_user_sgpr_private_segment_size 0
		.amdhsa_wavefront_size32 1
		.amdhsa_uses_dynamic_stack 0
		.amdhsa_enable_private_segment 0
		.amdhsa_system_sgpr_workgroup_id_x 1
		.amdhsa_system_sgpr_workgroup_id_y 0
		.amdhsa_system_sgpr_workgroup_id_z 0
		.amdhsa_system_sgpr_workgroup_info 0
		.amdhsa_system_vgpr_workitem_id 0
		.amdhsa_next_free_vgpr 1
		.amdhsa_next_free_sgpr 1
		.amdhsa_reserve_vcc 0
		.amdhsa_float_round_mode_32 0
		.amdhsa_float_round_mode_16_64 0
		.amdhsa_float_denorm_mode_32 3
		.amdhsa_float_denorm_mode_16_64 3
		.amdhsa_dx10_clamp 1
		.amdhsa_ieee_mode 1
		.amdhsa_fp16_overflow 0
		.amdhsa_workgroup_processor_mode 1
		.amdhsa_memory_ordered 1
		.amdhsa_forward_progress 0
		.amdhsa_shared_vgpr_count 0
		.amdhsa_exception_fp_ieee_invalid_op 0
		.amdhsa_exception_fp_denorm_src 0
		.amdhsa_exception_fp_ieee_div_zero 0
		.amdhsa_exception_fp_ieee_overflow 0
		.amdhsa_exception_fp_ieee_underflow 0
		.amdhsa_exception_fp_ieee_inexact 0
		.amdhsa_exception_int_div_zero 0
	.end_amdhsa_kernel
	.section	.text._ZN7rocprim17ROCPRIM_400000_NS6detail17trampoline_kernelINS0_14default_configENS1_36segmented_radix_sort_config_selectorI6__halflEEZNS1_25segmented_radix_sort_implIS3_Lb1EPKS5_PS5_PKlPlN2at6native12_GLOBAL__N_18offset_tEEE10hipError_tPvRmT1_PNSt15iterator_traitsISL_E10value_typeET2_T3_PNSM_ISR_E10value_typeET4_jRbjT5_SX_jjP12ihipStream_tbEUlT_E0_NS1_11comp_targetILNS1_3genE8ELNS1_11target_archE1030ELNS1_3gpuE2ELNS1_3repE0EEENS1_60segmented_radix_sort_warp_sort_medium_config_static_selectorELNS0_4arch9wavefront6targetE0EEEvSL_,"axG",@progbits,_ZN7rocprim17ROCPRIM_400000_NS6detail17trampoline_kernelINS0_14default_configENS1_36segmented_radix_sort_config_selectorI6__halflEEZNS1_25segmented_radix_sort_implIS3_Lb1EPKS5_PS5_PKlPlN2at6native12_GLOBAL__N_18offset_tEEE10hipError_tPvRmT1_PNSt15iterator_traitsISL_E10value_typeET2_T3_PNSM_ISR_E10value_typeET4_jRbjT5_SX_jjP12ihipStream_tbEUlT_E0_NS1_11comp_targetILNS1_3genE8ELNS1_11target_archE1030ELNS1_3gpuE2ELNS1_3repE0EEENS1_60segmented_radix_sort_warp_sort_medium_config_static_selectorELNS0_4arch9wavefront6targetE0EEEvSL_,comdat
.Lfunc_end1758:
	.size	_ZN7rocprim17ROCPRIM_400000_NS6detail17trampoline_kernelINS0_14default_configENS1_36segmented_radix_sort_config_selectorI6__halflEEZNS1_25segmented_radix_sort_implIS3_Lb1EPKS5_PS5_PKlPlN2at6native12_GLOBAL__N_18offset_tEEE10hipError_tPvRmT1_PNSt15iterator_traitsISL_E10value_typeET2_T3_PNSM_ISR_E10value_typeET4_jRbjT5_SX_jjP12ihipStream_tbEUlT_E0_NS1_11comp_targetILNS1_3genE8ELNS1_11target_archE1030ELNS1_3gpuE2ELNS1_3repE0EEENS1_60segmented_radix_sort_warp_sort_medium_config_static_selectorELNS0_4arch9wavefront6targetE0EEEvSL_, .Lfunc_end1758-_ZN7rocprim17ROCPRIM_400000_NS6detail17trampoline_kernelINS0_14default_configENS1_36segmented_radix_sort_config_selectorI6__halflEEZNS1_25segmented_radix_sort_implIS3_Lb1EPKS5_PS5_PKlPlN2at6native12_GLOBAL__N_18offset_tEEE10hipError_tPvRmT1_PNSt15iterator_traitsISL_E10value_typeET2_T3_PNSM_ISR_E10value_typeET4_jRbjT5_SX_jjP12ihipStream_tbEUlT_E0_NS1_11comp_targetILNS1_3genE8ELNS1_11target_archE1030ELNS1_3gpuE2ELNS1_3repE0EEENS1_60segmented_radix_sort_warp_sort_medium_config_static_selectorELNS0_4arch9wavefront6targetE0EEEvSL_
                                        ; -- End function
	.section	.AMDGPU.csdata,"",@progbits
; Kernel info:
; codeLenInByte = 0
; NumSgprs: 0
; NumVgprs: 0
; ScratchSize: 0
; MemoryBound: 0
; FloatMode: 240
; IeeeMode: 1
; LDSByteSize: 0 bytes/workgroup (compile time only)
; SGPRBlocks: 0
; VGPRBlocks: 0
; NumSGPRsForWavesPerEU: 1
; NumVGPRsForWavesPerEU: 1
; Occupancy: 16
; WaveLimiterHint : 0
; COMPUTE_PGM_RSRC2:SCRATCH_EN: 0
; COMPUTE_PGM_RSRC2:USER_SGPR: 15
; COMPUTE_PGM_RSRC2:TRAP_HANDLER: 0
; COMPUTE_PGM_RSRC2:TGID_X_EN: 1
; COMPUTE_PGM_RSRC2:TGID_Y_EN: 0
; COMPUTE_PGM_RSRC2:TGID_Z_EN: 0
; COMPUTE_PGM_RSRC2:TIDIG_COMP_CNT: 0
	.section	.text._ZN7rocprim17ROCPRIM_400000_NS6detail17trampoline_kernelINS0_14default_configENS1_36segmented_radix_sort_config_selectorI6__halflEEZNS1_25segmented_radix_sort_implIS3_Lb1EPKS5_PS5_PKlPlN2at6native12_GLOBAL__N_18offset_tEEE10hipError_tPvRmT1_PNSt15iterator_traitsISL_E10value_typeET2_T3_PNSM_ISR_E10value_typeET4_jRbjT5_SX_jjP12ihipStream_tbEUlT_E1_NS1_11comp_targetILNS1_3genE0ELNS1_11target_archE4294967295ELNS1_3gpuE0ELNS1_3repE0EEENS1_59segmented_radix_sort_warp_sort_small_config_static_selectorELNS0_4arch9wavefront6targetE0EEEvSL_,"axG",@progbits,_ZN7rocprim17ROCPRIM_400000_NS6detail17trampoline_kernelINS0_14default_configENS1_36segmented_radix_sort_config_selectorI6__halflEEZNS1_25segmented_radix_sort_implIS3_Lb1EPKS5_PS5_PKlPlN2at6native12_GLOBAL__N_18offset_tEEE10hipError_tPvRmT1_PNSt15iterator_traitsISL_E10value_typeET2_T3_PNSM_ISR_E10value_typeET4_jRbjT5_SX_jjP12ihipStream_tbEUlT_E1_NS1_11comp_targetILNS1_3genE0ELNS1_11target_archE4294967295ELNS1_3gpuE0ELNS1_3repE0EEENS1_59segmented_radix_sort_warp_sort_small_config_static_selectorELNS0_4arch9wavefront6targetE0EEEvSL_,comdat
	.globl	_ZN7rocprim17ROCPRIM_400000_NS6detail17trampoline_kernelINS0_14default_configENS1_36segmented_radix_sort_config_selectorI6__halflEEZNS1_25segmented_radix_sort_implIS3_Lb1EPKS5_PS5_PKlPlN2at6native12_GLOBAL__N_18offset_tEEE10hipError_tPvRmT1_PNSt15iterator_traitsISL_E10value_typeET2_T3_PNSM_ISR_E10value_typeET4_jRbjT5_SX_jjP12ihipStream_tbEUlT_E1_NS1_11comp_targetILNS1_3genE0ELNS1_11target_archE4294967295ELNS1_3gpuE0ELNS1_3repE0EEENS1_59segmented_radix_sort_warp_sort_small_config_static_selectorELNS0_4arch9wavefront6targetE0EEEvSL_ ; -- Begin function _ZN7rocprim17ROCPRIM_400000_NS6detail17trampoline_kernelINS0_14default_configENS1_36segmented_radix_sort_config_selectorI6__halflEEZNS1_25segmented_radix_sort_implIS3_Lb1EPKS5_PS5_PKlPlN2at6native12_GLOBAL__N_18offset_tEEE10hipError_tPvRmT1_PNSt15iterator_traitsISL_E10value_typeET2_T3_PNSM_ISR_E10value_typeET4_jRbjT5_SX_jjP12ihipStream_tbEUlT_E1_NS1_11comp_targetILNS1_3genE0ELNS1_11target_archE4294967295ELNS1_3gpuE0ELNS1_3repE0EEENS1_59segmented_radix_sort_warp_sort_small_config_static_selectorELNS0_4arch9wavefront6targetE0EEEvSL_
	.p2align	8
	.type	_ZN7rocprim17ROCPRIM_400000_NS6detail17trampoline_kernelINS0_14default_configENS1_36segmented_radix_sort_config_selectorI6__halflEEZNS1_25segmented_radix_sort_implIS3_Lb1EPKS5_PS5_PKlPlN2at6native12_GLOBAL__N_18offset_tEEE10hipError_tPvRmT1_PNSt15iterator_traitsISL_E10value_typeET2_T3_PNSM_ISR_E10value_typeET4_jRbjT5_SX_jjP12ihipStream_tbEUlT_E1_NS1_11comp_targetILNS1_3genE0ELNS1_11target_archE4294967295ELNS1_3gpuE0ELNS1_3repE0EEENS1_59segmented_radix_sort_warp_sort_small_config_static_selectorELNS0_4arch9wavefront6targetE0EEEvSL_,@function
_ZN7rocprim17ROCPRIM_400000_NS6detail17trampoline_kernelINS0_14default_configENS1_36segmented_radix_sort_config_selectorI6__halflEEZNS1_25segmented_radix_sort_implIS3_Lb1EPKS5_PS5_PKlPlN2at6native12_GLOBAL__N_18offset_tEEE10hipError_tPvRmT1_PNSt15iterator_traitsISL_E10value_typeET2_T3_PNSM_ISR_E10value_typeET4_jRbjT5_SX_jjP12ihipStream_tbEUlT_E1_NS1_11comp_targetILNS1_3genE0ELNS1_11target_archE4294967295ELNS1_3gpuE0ELNS1_3repE0EEENS1_59segmented_radix_sort_warp_sort_small_config_static_selectorELNS0_4arch9wavefront6targetE0EEEvSL_: ; @_ZN7rocprim17ROCPRIM_400000_NS6detail17trampoline_kernelINS0_14default_configENS1_36segmented_radix_sort_config_selectorI6__halflEEZNS1_25segmented_radix_sort_implIS3_Lb1EPKS5_PS5_PKlPlN2at6native12_GLOBAL__N_18offset_tEEE10hipError_tPvRmT1_PNSt15iterator_traitsISL_E10value_typeET2_T3_PNSM_ISR_E10value_typeET4_jRbjT5_SX_jjP12ihipStream_tbEUlT_E1_NS1_11comp_targetILNS1_3genE0ELNS1_11target_archE4294967295ELNS1_3gpuE0ELNS1_3repE0EEENS1_59segmented_radix_sort_warp_sort_small_config_static_selectorELNS0_4arch9wavefront6targetE0EEEvSL_
; %bb.0:
	.section	.rodata,"a",@progbits
	.p2align	6, 0x0
	.amdhsa_kernel _ZN7rocprim17ROCPRIM_400000_NS6detail17trampoline_kernelINS0_14default_configENS1_36segmented_radix_sort_config_selectorI6__halflEEZNS1_25segmented_radix_sort_implIS3_Lb1EPKS5_PS5_PKlPlN2at6native12_GLOBAL__N_18offset_tEEE10hipError_tPvRmT1_PNSt15iterator_traitsISL_E10value_typeET2_T3_PNSM_ISR_E10value_typeET4_jRbjT5_SX_jjP12ihipStream_tbEUlT_E1_NS1_11comp_targetILNS1_3genE0ELNS1_11target_archE4294967295ELNS1_3gpuE0ELNS1_3repE0EEENS1_59segmented_radix_sort_warp_sort_small_config_static_selectorELNS0_4arch9wavefront6targetE0EEEvSL_
		.amdhsa_group_segment_fixed_size 0
		.amdhsa_private_segment_fixed_size 0
		.amdhsa_kernarg_size 88
		.amdhsa_user_sgpr_count 15
		.amdhsa_user_sgpr_dispatch_ptr 0
		.amdhsa_user_sgpr_queue_ptr 0
		.amdhsa_user_sgpr_kernarg_segment_ptr 1
		.amdhsa_user_sgpr_dispatch_id 0
		.amdhsa_user_sgpr_private_segment_size 0
		.amdhsa_wavefront_size32 1
		.amdhsa_uses_dynamic_stack 0
		.amdhsa_enable_private_segment 0
		.amdhsa_system_sgpr_workgroup_id_x 1
		.amdhsa_system_sgpr_workgroup_id_y 0
		.amdhsa_system_sgpr_workgroup_id_z 0
		.amdhsa_system_sgpr_workgroup_info 0
		.amdhsa_system_vgpr_workitem_id 0
		.amdhsa_next_free_vgpr 1
		.amdhsa_next_free_sgpr 1
		.amdhsa_reserve_vcc 0
		.amdhsa_float_round_mode_32 0
		.amdhsa_float_round_mode_16_64 0
		.amdhsa_float_denorm_mode_32 3
		.amdhsa_float_denorm_mode_16_64 3
		.amdhsa_dx10_clamp 1
		.amdhsa_ieee_mode 1
		.amdhsa_fp16_overflow 0
		.amdhsa_workgroup_processor_mode 1
		.amdhsa_memory_ordered 1
		.amdhsa_forward_progress 0
		.amdhsa_shared_vgpr_count 0
		.amdhsa_exception_fp_ieee_invalid_op 0
		.amdhsa_exception_fp_denorm_src 0
		.amdhsa_exception_fp_ieee_div_zero 0
		.amdhsa_exception_fp_ieee_overflow 0
		.amdhsa_exception_fp_ieee_underflow 0
		.amdhsa_exception_fp_ieee_inexact 0
		.amdhsa_exception_int_div_zero 0
	.end_amdhsa_kernel
	.section	.text._ZN7rocprim17ROCPRIM_400000_NS6detail17trampoline_kernelINS0_14default_configENS1_36segmented_radix_sort_config_selectorI6__halflEEZNS1_25segmented_radix_sort_implIS3_Lb1EPKS5_PS5_PKlPlN2at6native12_GLOBAL__N_18offset_tEEE10hipError_tPvRmT1_PNSt15iterator_traitsISL_E10value_typeET2_T3_PNSM_ISR_E10value_typeET4_jRbjT5_SX_jjP12ihipStream_tbEUlT_E1_NS1_11comp_targetILNS1_3genE0ELNS1_11target_archE4294967295ELNS1_3gpuE0ELNS1_3repE0EEENS1_59segmented_radix_sort_warp_sort_small_config_static_selectorELNS0_4arch9wavefront6targetE0EEEvSL_,"axG",@progbits,_ZN7rocprim17ROCPRIM_400000_NS6detail17trampoline_kernelINS0_14default_configENS1_36segmented_radix_sort_config_selectorI6__halflEEZNS1_25segmented_radix_sort_implIS3_Lb1EPKS5_PS5_PKlPlN2at6native12_GLOBAL__N_18offset_tEEE10hipError_tPvRmT1_PNSt15iterator_traitsISL_E10value_typeET2_T3_PNSM_ISR_E10value_typeET4_jRbjT5_SX_jjP12ihipStream_tbEUlT_E1_NS1_11comp_targetILNS1_3genE0ELNS1_11target_archE4294967295ELNS1_3gpuE0ELNS1_3repE0EEENS1_59segmented_radix_sort_warp_sort_small_config_static_selectorELNS0_4arch9wavefront6targetE0EEEvSL_,comdat
.Lfunc_end1759:
	.size	_ZN7rocprim17ROCPRIM_400000_NS6detail17trampoline_kernelINS0_14default_configENS1_36segmented_radix_sort_config_selectorI6__halflEEZNS1_25segmented_radix_sort_implIS3_Lb1EPKS5_PS5_PKlPlN2at6native12_GLOBAL__N_18offset_tEEE10hipError_tPvRmT1_PNSt15iterator_traitsISL_E10value_typeET2_T3_PNSM_ISR_E10value_typeET4_jRbjT5_SX_jjP12ihipStream_tbEUlT_E1_NS1_11comp_targetILNS1_3genE0ELNS1_11target_archE4294967295ELNS1_3gpuE0ELNS1_3repE0EEENS1_59segmented_radix_sort_warp_sort_small_config_static_selectorELNS0_4arch9wavefront6targetE0EEEvSL_, .Lfunc_end1759-_ZN7rocprim17ROCPRIM_400000_NS6detail17trampoline_kernelINS0_14default_configENS1_36segmented_radix_sort_config_selectorI6__halflEEZNS1_25segmented_radix_sort_implIS3_Lb1EPKS5_PS5_PKlPlN2at6native12_GLOBAL__N_18offset_tEEE10hipError_tPvRmT1_PNSt15iterator_traitsISL_E10value_typeET2_T3_PNSM_ISR_E10value_typeET4_jRbjT5_SX_jjP12ihipStream_tbEUlT_E1_NS1_11comp_targetILNS1_3genE0ELNS1_11target_archE4294967295ELNS1_3gpuE0ELNS1_3repE0EEENS1_59segmented_radix_sort_warp_sort_small_config_static_selectorELNS0_4arch9wavefront6targetE0EEEvSL_
                                        ; -- End function
	.section	.AMDGPU.csdata,"",@progbits
; Kernel info:
; codeLenInByte = 0
; NumSgprs: 0
; NumVgprs: 0
; ScratchSize: 0
; MemoryBound: 0
; FloatMode: 240
; IeeeMode: 1
; LDSByteSize: 0 bytes/workgroup (compile time only)
; SGPRBlocks: 0
; VGPRBlocks: 0
; NumSGPRsForWavesPerEU: 1
; NumVGPRsForWavesPerEU: 1
; Occupancy: 16
; WaveLimiterHint : 0
; COMPUTE_PGM_RSRC2:SCRATCH_EN: 0
; COMPUTE_PGM_RSRC2:USER_SGPR: 15
; COMPUTE_PGM_RSRC2:TRAP_HANDLER: 0
; COMPUTE_PGM_RSRC2:TGID_X_EN: 1
; COMPUTE_PGM_RSRC2:TGID_Y_EN: 0
; COMPUTE_PGM_RSRC2:TGID_Z_EN: 0
; COMPUTE_PGM_RSRC2:TIDIG_COMP_CNT: 0
	.section	.text._ZN7rocprim17ROCPRIM_400000_NS6detail17trampoline_kernelINS0_14default_configENS1_36segmented_radix_sort_config_selectorI6__halflEEZNS1_25segmented_radix_sort_implIS3_Lb1EPKS5_PS5_PKlPlN2at6native12_GLOBAL__N_18offset_tEEE10hipError_tPvRmT1_PNSt15iterator_traitsISL_E10value_typeET2_T3_PNSM_ISR_E10value_typeET4_jRbjT5_SX_jjP12ihipStream_tbEUlT_E1_NS1_11comp_targetILNS1_3genE5ELNS1_11target_archE942ELNS1_3gpuE9ELNS1_3repE0EEENS1_59segmented_radix_sort_warp_sort_small_config_static_selectorELNS0_4arch9wavefront6targetE0EEEvSL_,"axG",@progbits,_ZN7rocprim17ROCPRIM_400000_NS6detail17trampoline_kernelINS0_14default_configENS1_36segmented_radix_sort_config_selectorI6__halflEEZNS1_25segmented_radix_sort_implIS3_Lb1EPKS5_PS5_PKlPlN2at6native12_GLOBAL__N_18offset_tEEE10hipError_tPvRmT1_PNSt15iterator_traitsISL_E10value_typeET2_T3_PNSM_ISR_E10value_typeET4_jRbjT5_SX_jjP12ihipStream_tbEUlT_E1_NS1_11comp_targetILNS1_3genE5ELNS1_11target_archE942ELNS1_3gpuE9ELNS1_3repE0EEENS1_59segmented_radix_sort_warp_sort_small_config_static_selectorELNS0_4arch9wavefront6targetE0EEEvSL_,comdat
	.globl	_ZN7rocprim17ROCPRIM_400000_NS6detail17trampoline_kernelINS0_14default_configENS1_36segmented_radix_sort_config_selectorI6__halflEEZNS1_25segmented_radix_sort_implIS3_Lb1EPKS5_PS5_PKlPlN2at6native12_GLOBAL__N_18offset_tEEE10hipError_tPvRmT1_PNSt15iterator_traitsISL_E10value_typeET2_T3_PNSM_ISR_E10value_typeET4_jRbjT5_SX_jjP12ihipStream_tbEUlT_E1_NS1_11comp_targetILNS1_3genE5ELNS1_11target_archE942ELNS1_3gpuE9ELNS1_3repE0EEENS1_59segmented_radix_sort_warp_sort_small_config_static_selectorELNS0_4arch9wavefront6targetE0EEEvSL_ ; -- Begin function _ZN7rocprim17ROCPRIM_400000_NS6detail17trampoline_kernelINS0_14default_configENS1_36segmented_radix_sort_config_selectorI6__halflEEZNS1_25segmented_radix_sort_implIS3_Lb1EPKS5_PS5_PKlPlN2at6native12_GLOBAL__N_18offset_tEEE10hipError_tPvRmT1_PNSt15iterator_traitsISL_E10value_typeET2_T3_PNSM_ISR_E10value_typeET4_jRbjT5_SX_jjP12ihipStream_tbEUlT_E1_NS1_11comp_targetILNS1_3genE5ELNS1_11target_archE942ELNS1_3gpuE9ELNS1_3repE0EEENS1_59segmented_radix_sort_warp_sort_small_config_static_selectorELNS0_4arch9wavefront6targetE0EEEvSL_
	.p2align	8
	.type	_ZN7rocprim17ROCPRIM_400000_NS6detail17trampoline_kernelINS0_14default_configENS1_36segmented_radix_sort_config_selectorI6__halflEEZNS1_25segmented_radix_sort_implIS3_Lb1EPKS5_PS5_PKlPlN2at6native12_GLOBAL__N_18offset_tEEE10hipError_tPvRmT1_PNSt15iterator_traitsISL_E10value_typeET2_T3_PNSM_ISR_E10value_typeET4_jRbjT5_SX_jjP12ihipStream_tbEUlT_E1_NS1_11comp_targetILNS1_3genE5ELNS1_11target_archE942ELNS1_3gpuE9ELNS1_3repE0EEENS1_59segmented_radix_sort_warp_sort_small_config_static_selectorELNS0_4arch9wavefront6targetE0EEEvSL_,@function
_ZN7rocprim17ROCPRIM_400000_NS6detail17trampoline_kernelINS0_14default_configENS1_36segmented_radix_sort_config_selectorI6__halflEEZNS1_25segmented_radix_sort_implIS3_Lb1EPKS5_PS5_PKlPlN2at6native12_GLOBAL__N_18offset_tEEE10hipError_tPvRmT1_PNSt15iterator_traitsISL_E10value_typeET2_T3_PNSM_ISR_E10value_typeET4_jRbjT5_SX_jjP12ihipStream_tbEUlT_E1_NS1_11comp_targetILNS1_3genE5ELNS1_11target_archE942ELNS1_3gpuE9ELNS1_3repE0EEENS1_59segmented_radix_sort_warp_sort_small_config_static_selectorELNS0_4arch9wavefront6targetE0EEEvSL_: ; @_ZN7rocprim17ROCPRIM_400000_NS6detail17trampoline_kernelINS0_14default_configENS1_36segmented_radix_sort_config_selectorI6__halflEEZNS1_25segmented_radix_sort_implIS3_Lb1EPKS5_PS5_PKlPlN2at6native12_GLOBAL__N_18offset_tEEE10hipError_tPvRmT1_PNSt15iterator_traitsISL_E10value_typeET2_T3_PNSM_ISR_E10value_typeET4_jRbjT5_SX_jjP12ihipStream_tbEUlT_E1_NS1_11comp_targetILNS1_3genE5ELNS1_11target_archE942ELNS1_3gpuE9ELNS1_3repE0EEENS1_59segmented_radix_sort_warp_sort_small_config_static_selectorELNS0_4arch9wavefront6targetE0EEEvSL_
; %bb.0:
	.section	.rodata,"a",@progbits
	.p2align	6, 0x0
	.amdhsa_kernel _ZN7rocprim17ROCPRIM_400000_NS6detail17trampoline_kernelINS0_14default_configENS1_36segmented_radix_sort_config_selectorI6__halflEEZNS1_25segmented_radix_sort_implIS3_Lb1EPKS5_PS5_PKlPlN2at6native12_GLOBAL__N_18offset_tEEE10hipError_tPvRmT1_PNSt15iterator_traitsISL_E10value_typeET2_T3_PNSM_ISR_E10value_typeET4_jRbjT5_SX_jjP12ihipStream_tbEUlT_E1_NS1_11comp_targetILNS1_3genE5ELNS1_11target_archE942ELNS1_3gpuE9ELNS1_3repE0EEENS1_59segmented_radix_sort_warp_sort_small_config_static_selectorELNS0_4arch9wavefront6targetE0EEEvSL_
		.amdhsa_group_segment_fixed_size 0
		.amdhsa_private_segment_fixed_size 0
		.amdhsa_kernarg_size 88
		.amdhsa_user_sgpr_count 15
		.amdhsa_user_sgpr_dispatch_ptr 0
		.amdhsa_user_sgpr_queue_ptr 0
		.amdhsa_user_sgpr_kernarg_segment_ptr 1
		.amdhsa_user_sgpr_dispatch_id 0
		.amdhsa_user_sgpr_private_segment_size 0
		.amdhsa_wavefront_size32 1
		.amdhsa_uses_dynamic_stack 0
		.amdhsa_enable_private_segment 0
		.amdhsa_system_sgpr_workgroup_id_x 1
		.amdhsa_system_sgpr_workgroup_id_y 0
		.amdhsa_system_sgpr_workgroup_id_z 0
		.amdhsa_system_sgpr_workgroup_info 0
		.amdhsa_system_vgpr_workitem_id 0
		.amdhsa_next_free_vgpr 1
		.amdhsa_next_free_sgpr 1
		.amdhsa_reserve_vcc 0
		.amdhsa_float_round_mode_32 0
		.amdhsa_float_round_mode_16_64 0
		.amdhsa_float_denorm_mode_32 3
		.amdhsa_float_denorm_mode_16_64 3
		.amdhsa_dx10_clamp 1
		.amdhsa_ieee_mode 1
		.amdhsa_fp16_overflow 0
		.amdhsa_workgroup_processor_mode 1
		.amdhsa_memory_ordered 1
		.amdhsa_forward_progress 0
		.amdhsa_shared_vgpr_count 0
		.amdhsa_exception_fp_ieee_invalid_op 0
		.amdhsa_exception_fp_denorm_src 0
		.amdhsa_exception_fp_ieee_div_zero 0
		.amdhsa_exception_fp_ieee_overflow 0
		.amdhsa_exception_fp_ieee_underflow 0
		.amdhsa_exception_fp_ieee_inexact 0
		.amdhsa_exception_int_div_zero 0
	.end_amdhsa_kernel
	.section	.text._ZN7rocprim17ROCPRIM_400000_NS6detail17trampoline_kernelINS0_14default_configENS1_36segmented_radix_sort_config_selectorI6__halflEEZNS1_25segmented_radix_sort_implIS3_Lb1EPKS5_PS5_PKlPlN2at6native12_GLOBAL__N_18offset_tEEE10hipError_tPvRmT1_PNSt15iterator_traitsISL_E10value_typeET2_T3_PNSM_ISR_E10value_typeET4_jRbjT5_SX_jjP12ihipStream_tbEUlT_E1_NS1_11comp_targetILNS1_3genE5ELNS1_11target_archE942ELNS1_3gpuE9ELNS1_3repE0EEENS1_59segmented_radix_sort_warp_sort_small_config_static_selectorELNS0_4arch9wavefront6targetE0EEEvSL_,"axG",@progbits,_ZN7rocprim17ROCPRIM_400000_NS6detail17trampoline_kernelINS0_14default_configENS1_36segmented_radix_sort_config_selectorI6__halflEEZNS1_25segmented_radix_sort_implIS3_Lb1EPKS5_PS5_PKlPlN2at6native12_GLOBAL__N_18offset_tEEE10hipError_tPvRmT1_PNSt15iterator_traitsISL_E10value_typeET2_T3_PNSM_ISR_E10value_typeET4_jRbjT5_SX_jjP12ihipStream_tbEUlT_E1_NS1_11comp_targetILNS1_3genE5ELNS1_11target_archE942ELNS1_3gpuE9ELNS1_3repE0EEENS1_59segmented_radix_sort_warp_sort_small_config_static_selectorELNS0_4arch9wavefront6targetE0EEEvSL_,comdat
.Lfunc_end1760:
	.size	_ZN7rocprim17ROCPRIM_400000_NS6detail17trampoline_kernelINS0_14default_configENS1_36segmented_radix_sort_config_selectorI6__halflEEZNS1_25segmented_radix_sort_implIS3_Lb1EPKS5_PS5_PKlPlN2at6native12_GLOBAL__N_18offset_tEEE10hipError_tPvRmT1_PNSt15iterator_traitsISL_E10value_typeET2_T3_PNSM_ISR_E10value_typeET4_jRbjT5_SX_jjP12ihipStream_tbEUlT_E1_NS1_11comp_targetILNS1_3genE5ELNS1_11target_archE942ELNS1_3gpuE9ELNS1_3repE0EEENS1_59segmented_radix_sort_warp_sort_small_config_static_selectorELNS0_4arch9wavefront6targetE0EEEvSL_, .Lfunc_end1760-_ZN7rocprim17ROCPRIM_400000_NS6detail17trampoline_kernelINS0_14default_configENS1_36segmented_radix_sort_config_selectorI6__halflEEZNS1_25segmented_radix_sort_implIS3_Lb1EPKS5_PS5_PKlPlN2at6native12_GLOBAL__N_18offset_tEEE10hipError_tPvRmT1_PNSt15iterator_traitsISL_E10value_typeET2_T3_PNSM_ISR_E10value_typeET4_jRbjT5_SX_jjP12ihipStream_tbEUlT_E1_NS1_11comp_targetILNS1_3genE5ELNS1_11target_archE942ELNS1_3gpuE9ELNS1_3repE0EEENS1_59segmented_radix_sort_warp_sort_small_config_static_selectorELNS0_4arch9wavefront6targetE0EEEvSL_
                                        ; -- End function
	.section	.AMDGPU.csdata,"",@progbits
; Kernel info:
; codeLenInByte = 0
; NumSgprs: 0
; NumVgprs: 0
; ScratchSize: 0
; MemoryBound: 0
; FloatMode: 240
; IeeeMode: 1
; LDSByteSize: 0 bytes/workgroup (compile time only)
; SGPRBlocks: 0
; VGPRBlocks: 0
; NumSGPRsForWavesPerEU: 1
; NumVGPRsForWavesPerEU: 1
; Occupancy: 16
; WaveLimiterHint : 0
; COMPUTE_PGM_RSRC2:SCRATCH_EN: 0
; COMPUTE_PGM_RSRC2:USER_SGPR: 15
; COMPUTE_PGM_RSRC2:TRAP_HANDLER: 0
; COMPUTE_PGM_RSRC2:TGID_X_EN: 1
; COMPUTE_PGM_RSRC2:TGID_Y_EN: 0
; COMPUTE_PGM_RSRC2:TGID_Z_EN: 0
; COMPUTE_PGM_RSRC2:TIDIG_COMP_CNT: 0
	.section	.text._ZN7rocprim17ROCPRIM_400000_NS6detail17trampoline_kernelINS0_14default_configENS1_36segmented_radix_sort_config_selectorI6__halflEEZNS1_25segmented_radix_sort_implIS3_Lb1EPKS5_PS5_PKlPlN2at6native12_GLOBAL__N_18offset_tEEE10hipError_tPvRmT1_PNSt15iterator_traitsISL_E10value_typeET2_T3_PNSM_ISR_E10value_typeET4_jRbjT5_SX_jjP12ihipStream_tbEUlT_E1_NS1_11comp_targetILNS1_3genE4ELNS1_11target_archE910ELNS1_3gpuE8ELNS1_3repE0EEENS1_59segmented_radix_sort_warp_sort_small_config_static_selectorELNS0_4arch9wavefront6targetE0EEEvSL_,"axG",@progbits,_ZN7rocprim17ROCPRIM_400000_NS6detail17trampoline_kernelINS0_14default_configENS1_36segmented_radix_sort_config_selectorI6__halflEEZNS1_25segmented_radix_sort_implIS3_Lb1EPKS5_PS5_PKlPlN2at6native12_GLOBAL__N_18offset_tEEE10hipError_tPvRmT1_PNSt15iterator_traitsISL_E10value_typeET2_T3_PNSM_ISR_E10value_typeET4_jRbjT5_SX_jjP12ihipStream_tbEUlT_E1_NS1_11comp_targetILNS1_3genE4ELNS1_11target_archE910ELNS1_3gpuE8ELNS1_3repE0EEENS1_59segmented_radix_sort_warp_sort_small_config_static_selectorELNS0_4arch9wavefront6targetE0EEEvSL_,comdat
	.globl	_ZN7rocprim17ROCPRIM_400000_NS6detail17trampoline_kernelINS0_14default_configENS1_36segmented_radix_sort_config_selectorI6__halflEEZNS1_25segmented_radix_sort_implIS3_Lb1EPKS5_PS5_PKlPlN2at6native12_GLOBAL__N_18offset_tEEE10hipError_tPvRmT1_PNSt15iterator_traitsISL_E10value_typeET2_T3_PNSM_ISR_E10value_typeET4_jRbjT5_SX_jjP12ihipStream_tbEUlT_E1_NS1_11comp_targetILNS1_3genE4ELNS1_11target_archE910ELNS1_3gpuE8ELNS1_3repE0EEENS1_59segmented_radix_sort_warp_sort_small_config_static_selectorELNS0_4arch9wavefront6targetE0EEEvSL_ ; -- Begin function _ZN7rocprim17ROCPRIM_400000_NS6detail17trampoline_kernelINS0_14default_configENS1_36segmented_radix_sort_config_selectorI6__halflEEZNS1_25segmented_radix_sort_implIS3_Lb1EPKS5_PS5_PKlPlN2at6native12_GLOBAL__N_18offset_tEEE10hipError_tPvRmT1_PNSt15iterator_traitsISL_E10value_typeET2_T3_PNSM_ISR_E10value_typeET4_jRbjT5_SX_jjP12ihipStream_tbEUlT_E1_NS1_11comp_targetILNS1_3genE4ELNS1_11target_archE910ELNS1_3gpuE8ELNS1_3repE0EEENS1_59segmented_radix_sort_warp_sort_small_config_static_selectorELNS0_4arch9wavefront6targetE0EEEvSL_
	.p2align	8
	.type	_ZN7rocprim17ROCPRIM_400000_NS6detail17trampoline_kernelINS0_14default_configENS1_36segmented_radix_sort_config_selectorI6__halflEEZNS1_25segmented_radix_sort_implIS3_Lb1EPKS5_PS5_PKlPlN2at6native12_GLOBAL__N_18offset_tEEE10hipError_tPvRmT1_PNSt15iterator_traitsISL_E10value_typeET2_T3_PNSM_ISR_E10value_typeET4_jRbjT5_SX_jjP12ihipStream_tbEUlT_E1_NS1_11comp_targetILNS1_3genE4ELNS1_11target_archE910ELNS1_3gpuE8ELNS1_3repE0EEENS1_59segmented_radix_sort_warp_sort_small_config_static_selectorELNS0_4arch9wavefront6targetE0EEEvSL_,@function
_ZN7rocprim17ROCPRIM_400000_NS6detail17trampoline_kernelINS0_14default_configENS1_36segmented_radix_sort_config_selectorI6__halflEEZNS1_25segmented_radix_sort_implIS3_Lb1EPKS5_PS5_PKlPlN2at6native12_GLOBAL__N_18offset_tEEE10hipError_tPvRmT1_PNSt15iterator_traitsISL_E10value_typeET2_T3_PNSM_ISR_E10value_typeET4_jRbjT5_SX_jjP12ihipStream_tbEUlT_E1_NS1_11comp_targetILNS1_3genE4ELNS1_11target_archE910ELNS1_3gpuE8ELNS1_3repE0EEENS1_59segmented_radix_sort_warp_sort_small_config_static_selectorELNS0_4arch9wavefront6targetE0EEEvSL_: ; @_ZN7rocprim17ROCPRIM_400000_NS6detail17trampoline_kernelINS0_14default_configENS1_36segmented_radix_sort_config_selectorI6__halflEEZNS1_25segmented_radix_sort_implIS3_Lb1EPKS5_PS5_PKlPlN2at6native12_GLOBAL__N_18offset_tEEE10hipError_tPvRmT1_PNSt15iterator_traitsISL_E10value_typeET2_T3_PNSM_ISR_E10value_typeET4_jRbjT5_SX_jjP12ihipStream_tbEUlT_E1_NS1_11comp_targetILNS1_3genE4ELNS1_11target_archE910ELNS1_3gpuE8ELNS1_3repE0EEENS1_59segmented_radix_sort_warp_sort_small_config_static_selectorELNS0_4arch9wavefront6targetE0EEEvSL_
; %bb.0:
	.section	.rodata,"a",@progbits
	.p2align	6, 0x0
	.amdhsa_kernel _ZN7rocprim17ROCPRIM_400000_NS6detail17trampoline_kernelINS0_14default_configENS1_36segmented_radix_sort_config_selectorI6__halflEEZNS1_25segmented_radix_sort_implIS3_Lb1EPKS5_PS5_PKlPlN2at6native12_GLOBAL__N_18offset_tEEE10hipError_tPvRmT1_PNSt15iterator_traitsISL_E10value_typeET2_T3_PNSM_ISR_E10value_typeET4_jRbjT5_SX_jjP12ihipStream_tbEUlT_E1_NS1_11comp_targetILNS1_3genE4ELNS1_11target_archE910ELNS1_3gpuE8ELNS1_3repE0EEENS1_59segmented_radix_sort_warp_sort_small_config_static_selectorELNS0_4arch9wavefront6targetE0EEEvSL_
		.amdhsa_group_segment_fixed_size 0
		.amdhsa_private_segment_fixed_size 0
		.amdhsa_kernarg_size 88
		.amdhsa_user_sgpr_count 15
		.amdhsa_user_sgpr_dispatch_ptr 0
		.amdhsa_user_sgpr_queue_ptr 0
		.amdhsa_user_sgpr_kernarg_segment_ptr 1
		.amdhsa_user_sgpr_dispatch_id 0
		.amdhsa_user_sgpr_private_segment_size 0
		.amdhsa_wavefront_size32 1
		.amdhsa_uses_dynamic_stack 0
		.amdhsa_enable_private_segment 0
		.amdhsa_system_sgpr_workgroup_id_x 1
		.amdhsa_system_sgpr_workgroup_id_y 0
		.amdhsa_system_sgpr_workgroup_id_z 0
		.amdhsa_system_sgpr_workgroup_info 0
		.amdhsa_system_vgpr_workitem_id 0
		.amdhsa_next_free_vgpr 1
		.amdhsa_next_free_sgpr 1
		.amdhsa_reserve_vcc 0
		.amdhsa_float_round_mode_32 0
		.amdhsa_float_round_mode_16_64 0
		.amdhsa_float_denorm_mode_32 3
		.amdhsa_float_denorm_mode_16_64 3
		.amdhsa_dx10_clamp 1
		.amdhsa_ieee_mode 1
		.amdhsa_fp16_overflow 0
		.amdhsa_workgroup_processor_mode 1
		.amdhsa_memory_ordered 1
		.amdhsa_forward_progress 0
		.amdhsa_shared_vgpr_count 0
		.amdhsa_exception_fp_ieee_invalid_op 0
		.amdhsa_exception_fp_denorm_src 0
		.amdhsa_exception_fp_ieee_div_zero 0
		.amdhsa_exception_fp_ieee_overflow 0
		.amdhsa_exception_fp_ieee_underflow 0
		.amdhsa_exception_fp_ieee_inexact 0
		.amdhsa_exception_int_div_zero 0
	.end_amdhsa_kernel
	.section	.text._ZN7rocprim17ROCPRIM_400000_NS6detail17trampoline_kernelINS0_14default_configENS1_36segmented_radix_sort_config_selectorI6__halflEEZNS1_25segmented_radix_sort_implIS3_Lb1EPKS5_PS5_PKlPlN2at6native12_GLOBAL__N_18offset_tEEE10hipError_tPvRmT1_PNSt15iterator_traitsISL_E10value_typeET2_T3_PNSM_ISR_E10value_typeET4_jRbjT5_SX_jjP12ihipStream_tbEUlT_E1_NS1_11comp_targetILNS1_3genE4ELNS1_11target_archE910ELNS1_3gpuE8ELNS1_3repE0EEENS1_59segmented_radix_sort_warp_sort_small_config_static_selectorELNS0_4arch9wavefront6targetE0EEEvSL_,"axG",@progbits,_ZN7rocprim17ROCPRIM_400000_NS6detail17trampoline_kernelINS0_14default_configENS1_36segmented_radix_sort_config_selectorI6__halflEEZNS1_25segmented_radix_sort_implIS3_Lb1EPKS5_PS5_PKlPlN2at6native12_GLOBAL__N_18offset_tEEE10hipError_tPvRmT1_PNSt15iterator_traitsISL_E10value_typeET2_T3_PNSM_ISR_E10value_typeET4_jRbjT5_SX_jjP12ihipStream_tbEUlT_E1_NS1_11comp_targetILNS1_3genE4ELNS1_11target_archE910ELNS1_3gpuE8ELNS1_3repE0EEENS1_59segmented_radix_sort_warp_sort_small_config_static_selectorELNS0_4arch9wavefront6targetE0EEEvSL_,comdat
.Lfunc_end1761:
	.size	_ZN7rocprim17ROCPRIM_400000_NS6detail17trampoline_kernelINS0_14default_configENS1_36segmented_radix_sort_config_selectorI6__halflEEZNS1_25segmented_radix_sort_implIS3_Lb1EPKS5_PS5_PKlPlN2at6native12_GLOBAL__N_18offset_tEEE10hipError_tPvRmT1_PNSt15iterator_traitsISL_E10value_typeET2_T3_PNSM_ISR_E10value_typeET4_jRbjT5_SX_jjP12ihipStream_tbEUlT_E1_NS1_11comp_targetILNS1_3genE4ELNS1_11target_archE910ELNS1_3gpuE8ELNS1_3repE0EEENS1_59segmented_radix_sort_warp_sort_small_config_static_selectorELNS0_4arch9wavefront6targetE0EEEvSL_, .Lfunc_end1761-_ZN7rocprim17ROCPRIM_400000_NS6detail17trampoline_kernelINS0_14default_configENS1_36segmented_radix_sort_config_selectorI6__halflEEZNS1_25segmented_radix_sort_implIS3_Lb1EPKS5_PS5_PKlPlN2at6native12_GLOBAL__N_18offset_tEEE10hipError_tPvRmT1_PNSt15iterator_traitsISL_E10value_typeET2_T3_PNSM_ISR_E10value_typeET4_jRbjT5_SX_jjP12ihipStream_tbEUlT_E1_NS1_11comp_targetILNS1_3genE4ELNS1_11target_archE910ELNS1_3gpuE8ELNS1_3repE0EEENS1_59segmented_radix_sort_warp_sort_small_config_static_selectorELNS0_4arch9wavefront6targetE0EEEvSL_
                                        ; -- End function
	.section	.AMDGPU.csdata,"",@progbits
; Kernel info:
; codeLenInByte = 0
; NumSgprs: 0
; NumVgprs: 0
; ScratchSize: 0
; MemoryBound: 0
; FloatMode: 240
; IeeeMode: 1
; LDSByteSize: 0 bytes/workgroup (compile time only)
; SGPRBlocks: 0
; VGPRBlocks: 0
; NumSGPRsForWavesPerEU: 1
; NumVGPRsForWavesPerEU: 1
; Occupancy: 16
; WaveLimiterHint : 0
; COMPUTE_PGM_RSRC2:SCRATCH_EN: 0
; COMPUTE_PGM_RSRC2:USER_SGPR: 15
; COMPUTE_PGM_RSRC2:TRAP_HANDLER: 0
; COMPUTE_PGM_RSRC2:TGID_X_EN: 1
; COMPUTE_PGM_RSRC2:TGID_Y_EN: 0
; COMPUTE_PGM_RSRC2:TGID_Z_EN: 0
; COMPUTE_PGM_RSRC2:TIDIG_COMP_CNT: 0
	.section	.text._ZN7rocprim17ROCPRIM_400000_NS6detail17trampoline_kernelINS0_14default_configENS1_36segmented_radix_sort_config_selectorI6__halflEEZNS1_25segmented_radix_sort_implIS3_Lb1EPKS5_PS5_PKlPlN2at6native12_GLOBAL__N_18offset_tEEE10hipError_tPvRmT1_PNSt15iterator_traitsISL_E10value_typeET2_T3_PNSM_ISR_E10value_typeET4_jRbjT5_SX_jjP12ihipStream_tbEUlT_E1_NS1_11comp_targetILNS1_3genE3ELNS1_11target_archE908ELNS1_3gpuE7ELNS1_3repE0EEENS1_59segmented_radix_sort_warp_sort_small_config_static_selectorELNS0_4arch9wavefront6targetE0EEEvSL_,"axG",@progbits,_ZN7rocprim17ROCPRIM_400000_NS6detail17trampoline_kernelINS0_14default_configENS1_36segmented_radix_sort_config_selectorI6__halflEEZNS1_25segmented_radix_sort_implIS3_Lb1EPKS5_PS5_PKlPlN2at6native12_GLOBAL__N_18offset_tEEE10hipError_tPvRmT1_PNSt15iterator_traitsISL_E10value_typeET2_T3_PNSM_ISR_E10value_typeET4_jRbjT5_SX_jjP12ihipStream_tbEUlT_E1_NS1_11comp_targetILNS1_3genE3ELNS1_11target_archE908ELNS1_3gpuE7ELNS1_3repE0EEENS1_59segmented_radix_sort_warp_sort_small_config_static_selectorELNS0_4arch9wavefront6targetE0EEEvSL_,comdat
	.globl	_ZN7rocprim17ROCPRIM_400000_NS6detail17trampoline_kernelINS0_14default_configENS1_36segmented_radix_sort_config_selectorI6__halflEEZNS1_25segmented_radix_sort_implIS3_Lb1EPKS5_PS5_PKlPlN2at6native12_GLOBAL__N_18offset_tEEE10hipError_tPvRmT1_PNSt15iterator_traitsISL_E10value_typeET2_T3_PNSM_ISR_E10value_typeET4_jRbjT5_SX_jjP12ihipStream_tbEUlT_E1_NS1_11comp_targetILNS1_3genE3ELNS1_11target_archE908ELNS1_3gpuE7ELNS1_3repE0EEENS1_59segmented_radix_sort_warp_sort_small_config_static_selectorELNS0_4arch9wavefront6targetE0EEEvSL_ ; -- Begin function _ZN7rocprim17ROCPRIM_400000_NS6detail17trampoline_kernelINS0_14default_configENS1_36segmented_radix_sort_config_selectorI6__halflEEZNS1_25segmented_radix_sort_implIS3_Lb1EPKS5_PS5_PKlPlN2at6native12_GLOBAL__N_18offset_tEEE10hipError_tPvRmT1_PNSt15iterator_traitsISL_E10value_typeET2_T3_PNSM_ISR_E10value_typeET4_jRbjT5_SX_jjP12ihipStream_tbEUlT_E1_NS1_11comp_targetILNS1_3genE3ELNS1_11target_archE908ELNS1_3gpuE7ELNS1_3repE0EEENS1_59segmented_radix_sort_warp_sort_small_config_static_selectorELNS0_4arch9wavefront6targetE0EEEvSL_
	.p2align	8
	.type	_ZN7rocprim17ROCPRIM_400000_NS6detail17trampoline_kernelINS0_14default_configENS1_36segmented_radix_sort_config_selectorI6__halflEEZNS1_25segmented_radix_sort_implIS3_Lb1EPKS5_PS5_PKlPlN2at6native12_GLOBAL__N_18offset_tEEE10hipError_tPvRmT1_PNSt15iterator_traitsISL_E10value_typeET2_T3_PNSM_ISR_E10value_typeET4_jRbjT5_SX_jjP12ihipStream_tbEUlT_E1_NS1_11comp_targetILNS1_3genE3ELNS1_11target_archE908ELNS1_3gpuE7ELNS1_3repE0EEENS1_59segmented_radix_sort_warp_sort_small_config_static_selectorELNS0_4arch9wavefront6targetE0EEEvSL_,@function
_ZN7rocprim17ROCPRIM_400000_NS6detail17trampoline_kernelINS0_14default_configENS1_36segmented_radix_sort_config_selectorI6__halflEEZNS1_25segmented_radix_sort_implIS3_Lb1EPKS5_PS5_PKlPlN2at6native12_GLOBAL__N_18offset_tEEE10hipError_tPvRmT1_PNSt15iterator_traitsISL_E10value_typeET2_T3_PNSM_ISR_E10value_typeET4_jRbjT5_SX_jjP12ihipStream_tbEUlT_E1_NS1_11comp_targetILNS1_3genE3ELNS1_11target_archE908ELNS1_3gpuE7ELNS1_3repE0EEENS1_59segmented_radix_sort_warp_sort_small_config_static_selectorELNS0_4arch9wavefront6targetE0EEEvSL_: ; @_ZN7rocprim17ROCPRIM_400000_NS6detail17trampoline_kernelINS0_14default_configENS1_36segmented_radix_sort_config_selectorI6__halflEEZNS1_25segmented_radix_sort_implIS3_Lb1EPKS5_PS5_PKlPlN2at6native12_GLOBAL__N_18offset_tEEE10hipError_tPvRmT1_PNSt15iterator_traitsISL_E10value_typeET2_T3_PNSM_ISR_E10value_typeET4_jRbjT5_SX_jjP12ihipStream_tbEUlT_E1_NS1_11comp_targetILNS1_3genE3ELNS1_11target_archE908ELNS1_3gpuE7ELNS1_3repE0EEENS1_59segmented_radix_sort_warp_sort_small_config_static_selectorELNS0_4arch9wavefront6targetE0EEEvSL_
; %bb.0:
	.section	.rodata,"a",@progbits
	.p2align	6, 0x0
	.amdhsa_kernel _ZN7rocprim17ROCPRIM_400000_NS6detail17trampoline_kernelINS0_14default_configENS1_36segmented_radix_sort_config_selectorI6__halflEEZNS1_25segmented_radix_sort_implIS3_Lb1EPKS5_PS5_PKlPlN2at6native12_GLOBAL__N_18offset_tEEE10hipError_tPvRmT1_PNSt15iterator_traitsISL_E10value_typeET2_T3_PNSM_ISR_E10value_typeET4_jRbjT5_SX_jjP12ihipStream_tbEUlT_E1_NS1_11comp_targetILNS1_3genE3ELNS1_11target_archE908ELNS1_3gpuE7ELNS1_3repE0EEENS1_59segmented_radix_sort_warp_sort_small_config_static_selectorELNS0_4arch9wavefront6targetE0EEEvSL_
		.amdhsa_group_segment_fixed_size 0
		.amdhsa_private_segment_fixed_size 0
		.amdhsa_kernarg_size 88
		.amdhsa_user_sgpr_count 15
		.amdhsa_user_sgpr_dispatch_ptr 0
		.amdhsa_user_sgpr_queue_ptr 0
		.amdhsa_user_sgpr_kernarg_segment_ptr 1
		.amdhsa_user_sgpr_dispatch_id 0
		.amdhsa_user_sgpr_private_segment_size 0
		.amdhsa_wavefront_size32 1
		.amdhsa_uses_dynamic_stack 0
		.amdhsa_enable_private_segment 0
		.amdhsa_system_sgpr_workgroup_id_x 1
		.amdhsa_system_sgpr_workgroup_id_y 0
		.amdhsa_system_sgpr_workgroup_id_z 0
		.amdhsa_system_sgpr_workgroup_info 0
		.amdhsa_system_vgpr_workitem_id 0
		.amdhsa_next_free_vgpr 1
		.amdhsa_next_free_sgpr 1
		.amdhsa_reserve_vcc 0
		.amdhsa_float_round_mode_32 0
		.amdhsa_float_round_mode_16_64 0
		.amdhsa_float_denorm_mode_32 3
		.amdhsa_float_denorm_mode_16_64 3
		.amdhsa_dx10_clamp 1
		.amdhsa_ieee_mode 1
		.amdhsa_fp16_overflow 0
		.amdhsa_workgroup_processor_mode 1
		.amdhsa_memory_ordered 1
		.amdhsa_forward_progress 0
		.amdhsa_shared_vgpr_count 0
		.amdhsa_exception_fp_ieee_invalid_op 0
		.amdhsa_exception_fp_denorm_src 0
		.amdhsa_exception_fp_ieee_div_zero 0
		.amdhsa_exception_fp_ieee_overflow 0
		.amdhsa_exception_fp_ieee_underflow 0
		.amdhsa_exception_fp_ieee_inexact 0
		.amdhsa_exception_int_div_zero 0
	.end_amdhsa_kernel
	.section	.text._ZN7rocprim17ROCPRIM_400000_NS6detail17trampoline_kernelINS0_14default_configENS1_36segmented_radix_sort_config_selectorI6__halflEEZNS1_25segmented_radix_sort_implIS3_Lb1EPKS5_PS5_PKlPlN2at6native12_GLOBAL__N_18offset_tEEE10hipError_tPvRmT1_PNSt15iterator_traitsISL_E10value_typeET2_T3_PNSM_ISR_E10value_typeET4_jRbjT5_SX_jjP12ihipStream_tbEUlT_E1_NS1_11comp_targetILNS1_3genE3ELNS1_11target_archE908ELNS1_3gpuE7ELNS1_3repE0EEENS1_59segmented_radix_sort_warp_sort_small_config_static_selectorELNS0_4arch9wavefront6targetE0EEEvSL_,"axG",@progbits,_ZN7rocprim17ROCPRIM_400000_NS6detail17trampoline_kernelINS0_14default_configENS1_36segmented_radix_sort_config_selectorI6__halflEEZNS1_25segmented_radix_sort_implIS3_Lb1EPKS5_PS5_PKlPlN2at6native12_GLOBAL__N_18offset_tEEE10hipError_tPvRmT1_PNSt15iterator_traitsISL_E10value_typeET2_T3_PNSM_ISR_E10value_typeET4_jRbjT5_SX_jjP12ihipStream_tbEUlT_E1_NS1_11comp_targetILNS1_3genE3ELNS1_11target_archE908ELNS1_3gpuE7ELNS1_3repE0EEENS1_59segmented_radix_sort_warp_sort_small_config_static_selectorELNS0_4arch9wavefront6targetE0EEEvSL_,comdat
.Lfunc_end1762:
	.size	_ZN7rocprim17ROCPRIM_400000_NS6detail17trampoline_kernelINS0_14default_configENS1_36segmented_radix_sort_config_selectorI6__halflEEZNS1_25segmented_radix_sort_implIS3_Lb1EPKS5_PS5_PKlPlN2at6native12_GLOBAL__N_18offset_tEEE10hipError_tPvRmT1_PNSt15iterator_traitsISL_E10value_typeET2_T3_PNSM_ISR_E10value_typeET4_jRbjT5_SX_jjP12ihipStream_tbEUlT_E1_NS1_11comp_targetILNS1_3genE3ELNS1_11target_archE908ELNS1_3gpuE7ELNS1_3repE0EEENS1_59segmented_radix_sort_warp_sort_small_config_static_selectorELNS0_4arch9wavefront6targetE0EEEvSL_, .Lfunc_end1762-_ZN7rocprim17ROCPRIM_400000_NS6detail17trampoline_kernelINS0_14default_configENS1_36segmented_radix_sort_config_selectorI6__halflEEZNS1_25segmented_radix_sort_implIS3_Lb1EPKS5_PS5_PKlPlN2at6native12_GLOBAL__N_18offset_tEEE10hipError_tPvRmT1_PNSt15iterator_traitsISL_E10value_typeET2_T3_PNSM_ISR_E10value_typeET4_jRbjT5_SX_jjP12ihipStream_tbEUlT_E1_NS1_11comp_targetILNS1_3genE3ELNS1_11target_archE908ELNS1_3gpuE7ELNS1_3repE0EEENS1_59segmented_radix_sort_warp_sort_small_config_static_selectorELNS0_4arch9wavefront6targetE0EEEvSL_
                                        ; -- End function
	.section	.AMDGPU.csdata,"",@progbits
; Kernel info:
; codeLenInByte = 0
; NumSgprs: 0
; NumVgprs: 0
; ScratchSize: 0
; MemoryBound: 0
; FloatMode: 240
; IeeeMode: 1
; LDSByteSize: 0 bytes/workgroup (compile time only)
; SGPRBlocks: 0
; VGPRBlocks: 0
; NumSGPRsForWavesPerEU: 1
; NumVGPRsForWavesPerEU: 1
; Occupancy: 16
; WaveLimiterHint : 0
; COMPUTE_PGM_RSRC2:SCRATCH_EN: 0
; COMPUTE_PGM_RSRC2:USER_SGPR: 15
; COMPUTE_PGM_RSRC2:TRAP_HANDLER: 0
; COMPUTE_PGM_RSRC2:TGID_X_EN: 1
; COMPUTE_PGM_RSRC2:TGID_Y_EN: 0
; COMPUTE_PGM_RSRC2:TGID_Z_EN: 0
; COMPUTE_PGM_RSRC2:TIDIG_COMP_CNT: 0
	.section	.text._ZN7rocprim17ROCPRIM_400000_NS6detail17trampoline_kernelINS0_14default_configENS1_36segmented_radix_sort_config_selectorI6__halflEEZNS1_25segmented_radix_sort_implIS3_Lb1EPKS5_PS5_PKlPlN2at6native12_GLOBAL__N_18offset_tEEE10hipError_tPvRmT1_PNSt15iterator_traitsISL_E10value_typeET2_T3_PNSM_ISR_E10value_typeET4_jRbjT5_SX_jjP12ihipStream_tbEUlT_E1_NS1_11comp_targetILNS1_3genE2ELNS1_11target_archE906ELNS1_3gpuE6ELNS1_3repE0EEENS1_59segmented_radix_sort_warp_sort_small_config_static_selectorELNS0_4arch9wavefront6targetE0EEEvSL_,"axG",@progbits,_ZN7rocprim17ROCPRIM_400000_NS6detail17trampoline_kernelINS0_14default_configENS1_36segmented_radix_sort_config_selectorI6__halflEEZNS1_25segmented_radix_sort_implIS3_Lb1EPKS5_PS5_PKlPlN2at6native12_GLOBAL__N_18offset_tEEE10hipError_tPvRmT1_PNSt15iterator_traitsISL_E10value_typeET2_T3_PNSM_ISR_E10value_typeET4_jRbjT5_SX_jjP12ihipStream_tbEUlT_E1_NS1_11comp_targetILNS1_3genE2ELNS1_11target_archE906ELNS1_3gpuE6ELNS1_3repE0EEENS1_59segmented_radix_sort_warp_sort_small_config_static_selectorELNS0_4arch9wavefront6targetE0EEEvSL_,comdat
	.globl	_ZN7rocprim17ROCPRIM_400000_NS6detail17trampoline_kernelINS0_14default_configENS1_36segmented_radix_sort_config_selectorI6__halflEEZNS1_25segmented_radix_sort_implIS3_Lb1EPKS5_PS5_PKlPlN2at6native12_GLOBAL__N_18offset_tEEE10hipError_tPvRmT1_PNSt15iterator_traitsISL_E10value_typeET2_T3_PNSM_ISR_E10value_typeET4_jRbjT5_SX_jjP12ihipStream_tbEUlT_E1_NS1_11comp_targetILNS1_3genE2ELNS1_11target_archE906ELNS1_3gpuE6ELNS1_3repE0EEENS1_59segmented_radix_sort_warp_sort_small_config_static_selectorELNS0_4arch9wavefront6targetE0EEEvSL_ ; -- Begin function _ZN7rocprim17ROCPRIM_400000_NS6detail17trampoline_kernelINS0_14default_configENS1_36segmented_radix_sort_config_selectorI6__halflEEZNS1_25segmented_radix_sort_implIS3_Lb1EPKS5_PS5_PKlPlN2at6native12_GLOBAL__N_18offset_tEEE10hipError_tPvRmT1_PNSt15iterator_traitsISL_E10value_typeET2_T3_PNSM_ISR_E10value_typeET4_jRbjT5_SX_jjP12ihipStream_tbEUlT_E1_NS1_11comp_targetILNS1_3genE2ELNS1_11target_archE906ELNS1_3gpuE6ELNS1_3repE0EEENS1_59segmented_radix_sort_warp_sort_small_config_static_selectorELNS0_4arch9wavefront6targetE0EEEvSL_
	.p2align	8
	.type	_ZN7rocprim17ROCPRIM_400000_NS6detail17trampoline_kernelINS0_14default_configENS1_36segmented_radix_sort_config_selectorI6__halflEEZNS1_25segmented_radix_sort_implIS3_Lb1EPKS5_PS5_PKlPlN2at6native12_GLOBAL__N_18offset_tEEE10hipError_tPvRmT1_PNSt15iterator_traitsISL_E10value_typeET2_T3_PNSM_ISR_E10value_typeET4_jRbjT5_SX_jjP12ihipStream_tbEUlT_E1_NS1_11comp_targetILNS1_3genE2ELNS1_11target_archE906ELNS1_3gpuE6ELNS1_3repE0EEENS1_59segmented_radix_sort_warp_sort_small_config_static_selectorELNS0_4arch9wavefront6targetE0EEEvSL_,@function
_ZN7rocprim17ROCPRIM_400000_NS6detail17trampoline_kernelINS0_14default_configENS1_36segmented_radix_sort_config_selectorI6__halflEEZNS1_25segmented_radix_sort_implIS3_Lb1EPKS5_PS5_PKlPlN2at6native12_GLOBAL__N_18offset_tEEE10hipError_tPvRmT1_PNSt15iterator_traitsISL_E10value_typeET2_T3_PNSM_ISR_E10value_typeET4_jRbjT5_SX_jjP12ihipStream_tbEUlT_E1_NS1_11comp_targetILNS1_3genE2ELNS1_11target_archE906ELNS1_3gpuE6ELNS1_3repE0EEENS1_59segmented_radix_sort_warp_sort_small_config_static_selectorELNS0_4arch9wavefront6targetE0EEEvSL_: ; @_ZN7rocprim17ROCPRIM_400000_NS6detail17trampoline_kernelINS0_14default_configENS1_36segmented_radix_sort_config_selectorI6__halflEEZNS1_25segmented_radix_sort_implIS3_Lb1EPKS5_PS5_PKlPlN2at6native12_GLOBAL__N_18offset_tEEE10hipError_tPvRmT1_PNSt15iterator_traitsISL_E10value_typeET2_T3_PNSM_ISR_E10value_typeET4_jRbjT5_SX_jjP12ihipStream_tbEUlT_E1_NS1_11comp_targetILNS1_3genE2ELNS1_11target_archE906ELNS1_3gpuE6ELNS1_3repE0EEENS1_59segmented_radix_sort_warp_sort_small_config_static_selectorELNS0_4arch9wavefront6targetE0EEEvSL_
; %bb.0:
	.section	.rodata,"a",@progbits
	.p2align	6, 0x0
	.amdhsa_kernel _ZN7rocprim17ROCPRIM_400000_NS6detail17trampoline_kernelINS0_14default_configENS1_36segmented_radix_sort_config_selectorI6__halflEEZNS1_25segmented_radix_sort_implIS3_Lb1EPKS5_PS5_PKlPlN2at6native12_GLOBAL__N_18offset_tEEE10hipError_tPvRmT1_PNSt15iterator_traitsISL_E10value_typeET2_T3_PNSM_ISR_E10value_typeET4_jRbjT5_SX_jjP12ihipStream_tbEUlT_E1_NS1_11comp_targetILNS1_3genE2ELNS1_11target_archE906ELNS1_3gpuE6ELNS1_3repE0EEENS1_59segmented_radix_sort_warp_sort_small_config_static_selectorELNS0_4arch9wavefront6targetE0EEEvSL_
		.amdhsa_group_segment_fixed_size 0
		.amdhsa_private_segment_fixed_size 0
		.amdhsa_kernarg_size 88
		.amdhsa_user_sgpr_count 15
		.amdhsa_user_sgpr_dispatch_ptr 0
		.amdhsa_user_sgpr_queue_ptr 0
		.amdhsa_user_sgpr_kernarg_segment_ptr 1
		.amdhsa_user_sgpr_dispatch_id 0
		.amdhsa_user_sgpr_private_segment_size 0
		.amdhsa_wavefront_size32 1
		.amdhsa_uses_dynamic_stack 0
		.amdhsa_enable_private_segment 0
		.amdhsa_system_sgpr_workgroup_id_x 1
		.amdhsa_system_sgpr_workgroup_id_y 0
		.amdhsa_system_sgpr_workgroup_id_z 0
		.amdhsa_system_sgpr_workgroup_info 0
		.amdhsa_system_vgpr_workitem_id 0
		.amdhsa_next_free_vgpr 1
		.amdhsa_next_free_sgpr 1
		.amdhsa_reserve_vcc 0
		.amdhsa_float_round_mode_32 0
		.amdhsa_float_round_mode_16_64 0
		.amdhsa_float_denorm_mode_32 3
		.amdhsa_float_denorm_mode_16_64 3
		.amdhsa_dx10_clamp 1
		.amdhsa_ieee_mode 1
		.amdhsa_fp16_overflow 0
		.amdhsa_workgroup_processor_mode 1
		.amdhsa_memory_ordered 1
		.amdhsa_forward_progress 0
		.amdhsa_shared_vgpr_count 0
		.amdhsa_exception_fp_ieee_invalid_op 0
		.amdhsa_exception_fp_denorm_src 0
		.amdhsa_exception_fp_ieee_div_zero 0
		.amdhsa_exception_fp_ieee_overflow 0
		.amdhsa_exception_fp_ieee_underflow 0
		.amdhsa_exception_fp_ieee_inexact 0
		.amdhsa_exception_int_div_zero 0
	.end_amdhsa_kernel
	.section	.text._ZN7rocprim17ROCPRIM_400000_NS6detail17trampoline_kernelINS0_14default_configENS1_36segmented_radix_sort_config_selectorI6__halflEEZNS1_25segmented_radix_sort_implIS3_Lb1EPKS5_PS5_PKlPlN2at6native12_GLOBAL__N_18offset_tEEE10hipError_tPvRmT1_PNSt15iterator_traitsISL_E10value_typeET2_T3_PNSM_ISR_E10value_typeET4_jRbjT5_SX_jjP12ihipStream_tbEUlT_E1_NS1_11comp_targetILNS1_3genE2ELNS1_11target_archE906ELNS1_3gpuE6ELNS1_3repE0EEENS1_59segmented_radix_sort_warp_sort_small_config_static_selectorELNS0_4arch9wavefront6targetE0EEEvSL_,"axG",@progbits,_ZN7rocprim17ROCPRIM_400000_NS6detail17trampoline_kernelINS0_14default_configENS1_36segmented_radix_sort_config_selectorI6__halflEEZNS1_25segmented_radix_sort_implIS3_Lb1EPKS5_PS5_PKlPlN2at6native12_GLOBAL__N_18offset_tEEE10hipError_tPvRmT1_PNSt15iterator_traitsISL_E10value_typeET2_T3_PNSM_ISR_E10value_typeET4_jRbjT5_SX_jjP12ihipStream_tbEUlT_E1_NS1_11comp_targetILNS1_3genE2ELNS1_11target_archE906ELNS1_3gpuE6ELNS1_3repE0EEENS1_59segmented_radix_sort_warp_sort_small_config_static_selectorELNS0_4arch9wavefront6targetE0EEEvSL_,comdat
.Lfunc_end1763:
	.size	_ZN7rocprim17ROCPRIM_400000_NS6detail17trampoline_kernelINS0_14default_configENS1_36segmented_radix_sort_config_selectorI6__halflEEZNS1_25segmented_radix_sort_implIS3_Lb1EPKS5_PS5_PKlPlN2at6native12_GLOBAL__N_18offset_tEEE10hipError_tPvRmT1_PNSt15iterator_traitsISL_E10value_typeET2_T3_PNSM_ISR_E10value_typeET4_jRbjT5_SX_jjP12ihipStream_tbEUlT_E1_NS1_11comp_targetILNS1_3genE2ELNS1_11target_archE906ELNS1_3gpuE6ELNS1_3repE0EEENS1_59segmented_radix_sort_warp_sort_small_config_static_selectorELNS0_4arch9wavefront6targetE0EEEvSL_, .Lfunc_end1763-_ZN7rocprim17ROCPRIM_400000_NS6detail17trampoline_kernelINS0_14default_configENS1_36segmented_radix_sort_config_selectorI6__halflEEZNS1_25segmented_radix_sort_implIS3_Lb1EPKS5_PS5_PKlPlN2at6native12_GLOBAL__N_18offset_tEEE10hipError_tPvRmT1_PNSt15iterator_traitsISL_E10value_typeET2_T3_PNSM_ISR_E10value_typeET4_jRbjT5_SX_jjP12ihipStream_tbEUlT_E1_NS1_11comp_targetILNS1_3genE2ELNS1_11target_archE906ELNS1_3gpuE6ELNS1_3repE0EEENS1_59segmented_radix_sort_warp_sort_small_config_static_selectorELNS0_4arch9wavefront6targetE0EEEvSL_
                                        ; -- End function
	.section	.AMDGPU.csdata,"",@progbits
; Kernel info:
; codeLenInByte = 0
; NumSgprs: 0
; NumVgprs: 0
; ScratchSize: 0
; MemoryBound: 0
; FloatMode: 240
; IeeeMode: 1
; LDSByteSize: 0 bytes/workgroup (compile time only)
; SGPRBlocks: 0
; VGPRBlocks: 0
; NumSGPRsForWavesPerEU: 1
; NumVGPRsForWavesPerEU: 1
; Occupancy: 16
; WaveLimiterHint : 0
; COMPUTE_PGM_RSRC2:SCRATCH_EN: 0
; COMPUTE_PGM_RSRC2:USER_SGPR: 15
; COMPUTE_PGM_RSRC2:TRAP_HANDLER: 0
; COMPUTE_PGM_RSRC2:TGID_X_EN: 1
; COMPUTE_PGM_RSRC2:TGID_Y_EN: 0
; COMPUTE_PGM_RSRC2:TGID_Z_EN: 0
; COMPUTE_PGM_RSRC2:TIDIG_COMP_CNT: 0
	.section	.text._ZN7rocprim17ROCPRIM_400000_NS6detail17trampoline_kernelINS0_14default_configENS1_36segmented_radix_sort_config_selectorI6__halflEEZNS1_25segmented_radix_sort_implIS3_Lb1EPKS5_PS5_PKlPlN2at6native12_GLOBAL__N_18offset_tEEE10hipError_tPvRmT1_PNSt15iterator_traitsISL_E10value_typeET2_T3_PNSM_ISR_E10value_typeET4_jRbjT5_SX_jjP12ihipStream_tbEUlT_E1_NS1_11comp_targetILNS1_3genE10ELNS1_11target_archE1201ELNS1_3gpuE5ELNS1_3repE0EEENS1_59segmented_radix_sort_warp_sort_small_config_static_selectorELNS0_4arch9wavefront6targetE0EEEvSL_,"axG",@progbits,_ZN7rocprim17ROCPRIM_400000_NS6detail17trampoline_kernelINS0_14default_configENS1_36segmented_radix_sort_config_selectorI6__halflEEZNS1_25segmented_radix_sort_implIS3_Lb1EPKS5_PS5_PKlPlN2at6native12_GLOBAL__N_18offset_tEEE10hipError_tPvRmT1_PNSt15iterator_traitsISL_E10value_typeET2_T3_PNSM_ISR_E10value_typeET4_jRbjT5_SX_jjP12ihipStream_tbEUlT_E1_NS1_11comp_targetILNS1_3genE10ELNS1_11target_archE1201ELNS1_3gpuE5ELNS1_3repE0EEENS1_59segmented_radix_sort_warp_sort_small_config_static_selectorELNS0_4arch9wavefront6targetE0EEEvSL_,comdat
	.globl	_ZN7rocprim17ROCPRIM_400000_NS6detail17trampoline_kernelINS0_14default_configENS1_36segmented_radix_sort_config_selectorI6__halflEEZNS1_25segmented_radix_sort_implIS3_Lb1EPKS5_PS5_PKlPlN2at6native12_GLOBAL__N_18offset_tEEE10hipError_tPvRmT1_PNSt15iterator_traitsISL_E10value_typeET2_T3_PNSM_ISR_E10value_typeET4_jRbjT5_SX_jjP12ihipStream_tbEUlT_E1_NS1_11comp_targetILNS1_3genE10ELNS1_11target_archE1201ELNS1_3gpuE5ELNS1_3repE0EEENS1_59segmented_radix_sort_warp_sort_small_config_static_selectorELNS0_4arch9wavefront6targetE0EEEvSL_ ; -- Begin function _ZN7rocprim17ROCPRIM_400000_NS6detail17trampoline_kernelINS0_14default_configENS1_36segmented_radix_sort_config_selectorI6__halflEEZNS1_25segmented_radix_sort_implIS3_Lb1EPKS5_PS5_PKlPlN2at6native12_GLOBAL__N_18offset_tEEE10hipError_tPvRmT1_PNSt15iterator_traitsISL_E10value_typeET2_T3_PNSM_ISR_E10value_typeET4_jRbjT5_SX_jjP12ihipStream_tbEUlT_E1_NS1_11comp_targetILNS1_3genE10ELNS1_11target_archE1201ELNS1_3gpuE5ELNS1_3repE0EEENS1_59segmented_radix_sort_warp_sort_small_config_static_selectorELNS0_4arch9wavefront6targetE0EEEvSL_
	.p2align	8
	.type	_ZN7rocprim17ROCPRIM_400000_NS6detail17trampoline_kernelINS0_14default_configENS1_36segmented_radix_sort_config_selectorI6__halflEEZNS1_25segmented_radix_sort_implIS3_Lb1EPKS5_PS5_PKlPlN2at6native12_GLOBAL__N_18offset_tEEE10hipError_tPvRmT1_PNSt15iterator_traitsISL_E10value_typeET2_T3_PNSM_ISR_E10value_typeET4_jRbjT5_SX_jjP12ihipStream_tbEUlT_E1_NS1_11comp_targetILNS1_3genE10ELNS1_11target_archE1201ELNS1_3gpuE5ELNS1_3repE0EEENS1_59segmented_radix_sort_warp_sort_small_config_static_selectorELNS0_4arch9wavefront6targetE0EEEvSL_,@function
_ZN7rocprim17ROCPRIM_400000_NS6detail17trampoline_kernelINS0_14default_configENS1_36segmented_radix_sort_config_selectorI6__halflEEZNS1_25segmented_radix_sort_implIS3_Lb1EPKS5_PS5_PKlPlN2at6native12_GLOBAL__N_18offset_tEEE10hipError_tPvRmT1_PNSt15iterator_traitsISL_E10value_typeET2_T3_PNSM_ISR_E10value_typeET4_jRbjT5_SX_jjP12ihipStream_tbEUlT_E1_NS1_11comp_targetILNS1_3genE10ELNS1_11target_archE1201ELNS1_3gpuE5ELNS1_3repE0EEENS1_59segmented_radix_sort_warp_sort_small_config_static_selectorELNS0_4arch9wavefront6targetE0EEEvSL_: ; @_ZN7rocprim17ROCPRIM_400000_NS6detail17trampoline_kernelINS0_14default_configENS1_36segmented_radix_sort_config_selectorI6__halflEEZNS1_25segmented_radix_sort_implIS3_Lb1EPKS5_PS5_PKlPlN2at6native12_GLOBAL__N_18offset_tEEE10hipError_tPvRmT1_PNSt15iterator_traitsISL_E10value_typeET2_T3_PNSM_ISR_E10value_typeET4_jRbjT5_SX_jjP12ihipStream_tbEUlT_E1_NS1_11comp_targetILNS1_3genE10ELNS1_11target_archE1201ELNS1_3gpuE5ELNS1_3repE0EEENS1_59segmented_radix_sort_warp_sort_small_config_static_selectorELNS0_4arch9wavefront6targetE0EEEvSL_
; %bb.0:
	.section	.rodata,"a",@progbits
	.p2align	6, 0x0
	.amdhsa_kernel _ZN7rocprim17ROCPRIM_400000_NS6detail17trampoline_kernelINS0_14default_configENS1_36segmented_radix_sort_config_selectorI6__halflEEZNS1_25segmented_radix_sort_implIS3_Lb1EPKS5_PS5_PKlPlN2at6native12_GLOBAL__N_18offset_tEEE10hipError_tPvRmT1_PNSt15iterator_traitsISL_E10value_typeET2_T3_PNSM_ISR_E10value_typeET4_jRbjT5_SX_jjP12ihipStream_tbEUlT_E1_NS1_11comp_targetILNS1_3genE10ELNS1_11target_archE1201ELNS1_3gpuE5ELNS1_3repE0EEENS1_59segmented_radix_sort_warp_sort_small_config_static_selectorELNS0_4arch9wavefront6targetE0EEEvSL_
		.amdhsa_group_segment_fixed_size 0
		.amdhsa_private_segment_fixed_size 0
		.amdhsa_kernarg_size 88
		.amdhsa_user_sgpr_count 15
		.amdhsa_user_sgpr_dispatch_ptr 0
		.amdhsa_user_sgpr_queue_ptr 0
		.amdhsa_user_sgpr_kernarg_segment_ptr 1
		.amdhsa_user_sgpr_dispatch_id 0
		.amdhsa_user_sgpr_private_segment_size 0
		.amdhsa_wavefront_size32 1
		.amdhsa_uses_dynamic_stack 0
		.amdhsa_enable_private_segment 0
		.amdhsa_system_sgpr_workgroup_id_x 1
		.amdhsa_system_sgpr_workgroup_id_y 0
		.amdhsa_system_sgpr_workgroup_id_z 0
		.amdhsa_system_sgpr_workgroup_info 0
		.amdhsa_system_vgpr_workitem_id 0
		.amdhsa_next_free_vgpr 1
		.amdhsa_next_free_sgpr 1
		.amdhsa_reserve_vcc 0
		.amdhsa_float_round_mode_32 0
		.amdhsa_float_round_mode_16_64 0
		.amdhsa_float_denorm_mode_32 3
		.amdhsa_float_denorm_mode_16_64 3
		.amdhsa_dx10_clamp 1
		.amdhsa_ieee_mode 1
		.amdhsa_fp16_overflow 0
		.amdhsa_workgroup_processor_mode 1
		.amdhsa_memory_ordered 1
		.amdhsa_forward_progress 0
		.amdhsa_shared_vgpr_count 0
		.amdhsa_exception_fp_ieee_invalid_op 0
		.amdhsa_exception_fp_denorm_src 0
		.amdhsa_exception_fp_ieee_div_zero 0
		.amdhsa_exception_fp_ieee_overflow 0
		.amdhsa_exception_fp_ieee_underflow 0
		.amdhsa_exception_fp_ieee_inexact 0
		.amdhsa_exception_int_div_zero 0
	.end_amdhsa_kernel
	.section	.text._ZN7rocprim17ROCPRIM_400000_NS6detail17trampoline_kernelINS0_14default_configENS1_36segmented_radix_sort_config_selectorI6__halflEEZNS1_25segmented_radix_sort_implIS3_Lb1EPKS5_PS5_PKlPlN2at6native12_GLOBAL__N_18offset_tEEE10hipError_tPvRmT1_PNSt15iterator_traitsISL_E10value_typeET2_T3_PNSM_ISR_E10value_typeET4_jRbjT5_SX_jjP12ihipStream_tbEUlT_E1_NS1_11comp_targetILNS1_3genE10ELNS1_11target_archE1201ELNS1_3gpuE5ELNS1_3repE0EEENS1_59segmented_radix_sort_warp_sort_small_config_static_selectorELNS0_4arch9wavefront6targetE0EEEvSL_,"axG",@progbits,_ZN7rocprim17ROCPRIM_400000_NS6detail17trampoline_kernelINS0_14default_configENS1_36segmented_radix_sort_config_selectorI6__halflEEZNS1_25segmented_radix_sort_implIS3_Lb1EPKS5_PS5_PKlPlN2at6native12_GLOBAL__N_18offset_tEEE10hipError_tPvRmT1_PNSt15iterator_traitsISL_E10value_typeET2_T3_PNSM_ISR_E10value_typeET4_jRbjT5_SX_jjP12ihipStream_tbEUlT_E1_NS1_11comp_targetILNS1_3genE10ELNS1_11target_archE1201ELNS1_3gpuE5ELNS1_3repE0EEENS1_59segmented_radix_sort_warp_sort_small_config_static_selectorELNS0_4arch9wavefront6targetE0EEEvSL_,comdat
.Lfunc_end1764:
	.size	_ZN7rocprim17ROCPRIM_400000_NS6detail17trampoline_kernelINS0_14default_configENS1_36segmented_radix_sort_config_selectorI6__halflEEZNS1_25segmented_radix_sort_implIS3_Lb1EPKS5_PS5_PKlPlN2at6native12_GLOBAL__N_18offset_tEEE10hipError_tPvRmT1_PNSt15iterator_traitsISL_E10value_typeET2_T3_PNSM_ISR_E10value_typeET4_jRbjT5_SX_jjP12ihipStream_tbEUlT_E1_NS1_11comp_targetILNS1_3genE10ELNS1_11target_archE1201ELNS1_3gpuE5ELNS1_3repE0EEENS1_59segmented_radix_sort_warp_sort_small_config_static_selectorELNS0_4arch9wavefront6targetE0EEEvSL_, .Lfunc_end1764-_ZN7rocprim17ROCPRIM_400000_NS6detail17trampoline_kernelINS0_14default_configENS1_36segmented_radix_sort_config_selectorI6__halflEEZNS1_25segmented_radix_sort_implIS3_Lb1EPKS5_PS5_PKlPlN2at6native12_GLOBAL__N_18offset_tEEE10hipError_tPvRmT1_PNSt15iterator_traitsISL_E10value_typeET2_T3_PNSM_ISR_E10value_typeET4_jRbjT5_SX_jjP12ihipStream_tbEUlT_E1_NS1_11comp_targetILNS1_3genE10ELNS1_11target_archE1201ELNS1_3gpuE5ELNS1_3repE0EEENS1_59segmented_radix_sort_warp_sort_small_config_static_selectorELNS0_4arch9wavefront6targetE0EEEvSL_
                                        ; -- End function
	.section	.AMDGPU.csdata,"",@progbits
; Kernel info:
; codeLenInByte = 0
; NumSgprs: 0
; NumVgprs: 0
; ScratchSize: 0
; MemoryBound: 0
; FloatMode: 240
; IeeeMode: 1
; LDSByteSize: 0 bytes/workgroup (compile time only)
; SGPRBlocks: 0
; VGPRBlocks: 0
; NumSGPRsForWavesPerEU: 1
; NumVGPRsForWavesPerEU: 1
; Occupancy: 16
; WaveLimiterHint : 0
; COMPUTE_PGM_RSRC2:SCRATCH_EN: 0
; COMPUTE_PGM_RSRC2:USER_SGPR: 15
; COMPUTE_PGM_RSRC2:TRAP_HANDLER: 0
; COMPUTE_PGM_RSRC2:TGID_X_EN: 1
; COMPUTE_PGM_RSRC2:TGID_Y_EN: 0
; COMPUTE_PGM_RSRC2:TGID_Z_EN: 0
; COMPUTE_PGM_RSRC2:TIDIG_COMP_CNT: 0
	.section	.text._ZN7rocprim17ROCPRIM_400000_NS6detail17trampoline_kernelINS0_14default_configENS1_36segmented_radix_sort_config_selectorI6__halflEEZNS1_25segmented_radix_sort_implIS3_Lb1EPKS5_PS5_PKlPlN2at6native12_GLOBAL__N_18offset_tEEE10hipError_tPvRmT1_PNSt15iterator_traitsISL_E10value_typeET2_T3_PNSM_ISR_E10value_typeET4_jRbjT5_SX_jjP12ihipStream_tbEUlT_E1_NS1_11comp_targetILNS1_3genE10ELNS1_11target_archE1200ELNS1_3gpuE4ELNS1_3repE0EEENS1_59segmented_radix_sort_warp_sort_small_config_static_selectorELNS0_4arch9wavefront6targetE0EEEvSL_,"axG",@progbits,_ZN7rocprim17ROCPRIM_400000_NS6detail17trampoline_kernelINS0_14default_configENS1_36segmented_radix_sort_config_selectorI6__halflEEZNS1_25segmented_radix_sort_implIS3_Lb1EPKS5_PS5_PKlPlN2at6native12_GLOBAL__N_18offset_tEEE10hipError_tPvRmT1_PNSt15iterator_traitsISL_E10value_typeET2_T3_PNSM_ISR_E10value_typeET4_jRbjT5_SX_jjP12ihipStream_tbEUlT_E1_NS1_11comp_targetILNS1_3genE10ELNS1_11target_archE1200ELNS1_3gpuE4ELNS1_3repE0EEENS1_59segmented_radix_sort_warp_sort_small_config_static_selectorELNS0_4arch9wavefront6targetE0EEEvSL_,comdat
	.globl	_ZN7rocprim17ROCPRIM_400000_NS6detail17trampoline_kernelINS0_14default_configENS1_36segmented_radix_sort_config_selectorI6__halflEEZNS1_25segmented_radix_sort_implIS3_Lb1EPKS5_PS5_PKlPlN2at6native12_GLOBAL__N_18offset_tEEE10hipError_tPvRmT1_PNSt15iterator_traitsISL_E10value_typeET2_T3_PNSM_ISR_E10value_typeET4_jRbjT5_SX_jjP12ihipStream_tbEUlT_E1_NS1_11comp_targetILNS1_3genE10ELNS1_11target_archE1200ELNS1_3gpuE4ELNS1_3repE0EEENS1_59segmented_radix_sort_warp_sort_small_config_static_selectorELNS0_4arch9wavefront6targetE0EEEvSL_ ; -- Begin function _ZN7rocprim17ROCPRIM_400000_NS6detail17trampoline_kernelINS0_14default_configENS1_36segmented_radix_sort_config_selectorI6__halflEEZNS1_25segmented_radix_sort_implIS3_Lb1EPKS5_PS5_PKlPlN2at6native12_GLOBAL__N_18offset_tEEE10hipError_tPvRmT1_PNSt15iterator_traitsISL_E10value_typeET2_T3_PNSM_ISR_E10value_typeET4_jRbjT5_SX_jjP12ihipStream_tbEUlT_E1_NS1_11comp_targetILNS1_3genE10ELNS1_11target_archE1200ELNS1_3gpuE4ELNS1_3repE0EEENS1_59segmented_radix_sort_warp_sort_small_config_static_selectorELNS0_4arch9wavefront6targetE0EEEvSL_
	.p2align	8
	.type	_ZN7rocprim17ROCPRIM_400000_NS6detail17trampoline_kernelINS0_14default_configENS1_36segmented_radix_sort_config_selectorI6__halflEEZNS1_25segmented_radix_sort_implIS3_Lb1EPKS5_PS5_PKlPlN2at6native12_GLOBAL__N_18offset_tEEE10hipError_tPvRmT1_PNSt15iterator_traitsISL_E10value_typeET2_T3_PNSM_ISR_E10value_typeET4_jRbjT5_SX_jjP12ihipStream_tbEUlT_E1_NS1_11comp_targetILNS1_3genE10ELNS1_11target_archE1200ELNS1_3gpuE4ELNS1_3repE0EEENS1_59segmented_radix_sort_warp_sort_small_config_static_selectorELNS0_4arch9wavefront6targetE0EEEvSL_,@function
_ZN7rocprim17ROCPRIM_400000_NS6detail17trampoline_kernelINS0_14default_configENS1_36segmented_radix_sort_config_selectorI6__halflEEZNS1_25segmented_radix_sort_implIS3_Lb1EPKS5_PS5_PKlPlN2at6native12_GLOBAL__N_18offset_tEEE10hipError_tPvRmT1_PNSt15iterator_traitsISL_E10value_typeET2_T3_PNSM_ISR_E10value_typeET4_jRbjT5_SX_jjP12ihipStream_tbEUlT_E1_NS1_11comp_targetILNS1_3genE10ELNS1_11target_archE1200ELNS1_3gpuE4ELNS1_3repE0EEENS1_59segmented_radix_sort_warp_sort_small_config_static_selectorELNS0_4arch9wavefront6targetE0EEEvSL_: ; @_ZN7rocprim17ROCPRIM_400000_NS6detail17trampoline_kernelINS0_14default_configENS1_36segmented_radix_sort_config_selectorI6__halflEEZNS1_25segmented_radix_sort_implIS3_Lb1EPKS5_PS5_PKlPlN2at6native12_GLOBAL__N_18offset_tEEE10hipError_tPvRmT1_PNSt15iterator_traitsISL_E10value_typeET2_T3_PNSM_ISR_E10value_typeET4_jRbjT5_SX_jjP12ihipStream_tbEUlT_E1_NS1_11comp_targetILNS1_3genE10ELNS1_11target_archE1200ELNS1_3gpuE4ELNS1_3repE0EEENS1_59segmented_radix_sort_warp_sort_small_config_static_selectorELNS0_4arch9wavefront6targetE0EEEvSL_
; %bb.0:
	.section	.rodata,"a",@progbits
	.p2align	6, 0x0
	.amdhsa_kernel _ZN7rocprim17ROCPRIM_400000_NS6detail17trampoline_kernelINS0_14default_configENS1_36segmented_radix_sort_config_selectorI6__halflEEZNS1_25segmented_radix_sort_implIS3_Lb1EPKS5_PS5_PKlPlN2at6native12_GLOBAL__N_18offset_tEEE10hipError_tPvRmT1_PNSt15iterator_traitsISL_E10value_typeET2_T3_PNSM_ISR_E10value_typeET4_jRbjT5_SX_jjP12ihipStream_tbEUlT_E1_NS1_11comp_targetILNS1_3genE10ELNS1_11target_archE1200ELNS1_3gpuE4ELNS1_3repE0EEENS1_59segmented_radix_sort_warp_sort_small_config_static_selectorELNS0_4arch9wavefront6targetE0EEEvSL_
		.amdhsa_group_segment_fixed_size 0
		.amdhsa_private_segment_fixed_size 0
		.amdhsa_kernarg_size 88
		.amdhsa_user_sgpr_count 15
		.amdhsa_user_sgpr_dispatch_ptr 0
		.amdhsa_user_sgpr_queue_ptr 0
		.amdhsa_user_sgpr_kernarg_segment_ptr 1
		.amdhsa_user_sgpr_dispatch_id 0
		.amdhsa_user_sgpr_private_segment_size 0
		.amdhsa_wavefront_size32 1
		.amdhsa_uses_dynamic_stack 0
		.amdhsa_enable_private_segment 0
		.amdhsa_system_sgpr_workgroup_id_x 1
		.amdhsa_system_sgpr_workgroup_id_y 0
		.amdhsa_system_sgpr_workgroup_id_z 0
		.amdhsa_system_sgpr_workgroup_info 0
		.amdhsa_system_vgpr_workitem_id 0
		.amdhsa_next_free_vgpr 1
		.amdhsa_next_free_sgpr 1
		.amdhsa_reserve_vcc 0
		.amdhsa_float_round_mode_32 0
		.amdhsa_float_round_mode_16_64 0
		.amdhsa_float_denorm_mode_32 3
		.amdhsa_float_denorm_mode_16_64 3
		.amdhsa_dx10_clamp 1
		.amdhsa_ieee_mode 1
		.amdhsa_fp16_overflow 0
		.amdhsa_workgroup_processor_mode 1
		.amdhsa_memory_ordered 1
		.amdhsa_forward_progress 0
		.amdhsa_shared_vgpr_count 0
		.amdhsa_exception_fp_ieee_invalid_op 0
		.amdhsa_exception_fp_denorm_src 0
		.amdhsa_exception_fp_ieee_div_zero 0
		.amdhsa_exception_fp_ieee_overflow 0
		.amdhsa_exception_fp_ieee_underflow 0
		.amdhsa_exception_fp_ieee_inexact 0
		.amdhsa_exception_int_div_zero 0
	.end_amdhsa_kernel
	.section	.text._ZN7rocprim17ROCPRIM_400000_NS6detail17trampoline_kernelINS0_14default_configENS1_36segmented_radix_sort_config_selectorI6__halflEEZNS1_25segmented_radix_sort_implIS3_Lb1EPKS5_PS5_PKlPlN2at6native12_GLOBAL__N_18offset_tEEE10hipError_tPvRmT1_PNSt15iterator_traitsISL_E10value_typeET2_T3_PNSM_ISR_E10value_typeET4_jRbjT5_SX_jjP12ihipStream_tbEUlT_E1_NS1_11comp_targetILNS1_3genE10ELNS1_11target_archE1200ELNS1_3gpuE4ELNS1_3repE0EEENS1_59segmented_radix_sort_warp_sort_small_config_static_selectorELNS0_4arch9wavefront6targetE0EEEvSL_,"axG",@progbits,_ZN7rocprim17ROCPRIM_400000_NS6detail17trampoline_kernelINS0_14default_configENS1_36segmented_radix_sort_config_selectorI6__halflEEZNS1_25segmented_radix_sort_implIS3_Lb1EPKS5_PS5_PKlPlN2at6native12_GLOBAL__N_18offset_tEEE10hipError_tPvRmT1_PNSt15iterator_traitsISL_E10value_typeET2_T3_PNSM_ISR_E10value_typeET4_jRbjT5_SX_jjP12ihipStream_tbEUlT_E1_NS1_11comp_targetILNS1_3genE10ELNS1_11target_archE1200ELNS1_3gpuE4ELNS1_3repE0EEENS1_59segmented_radix_sort_warp_sort_small_config_static_selectorELNS0_4arch9wavefront6targetE0EEEvSL_,comdat
.Lfunc_end1765:
	.size	_ZN7rocprim17ROCPRIM_400000_NS6detail17trampoline_kernelINS0_14default_configENS1_36segmented_radix_sort_config_selectorI6__halflEEZNS1_25segmented_radix_sort_implIS3_Lb1EPKS5_PS5_PKlPlN2at6native12_GLOBAL__N_18offset_tEEE10hipError_tPvRmT1_PNSt15iterator_traitsISL_E10value_typeET2_T3_PNSM_ISR_E10value_typeET4_jRbjT5_SX_jjP12ihipStream_tbEUlT_E1_NS1_11comp_targetILNS1_3genE10ELNS1_11target_archE1200ELNS1_3gpuE4ELNS1_3repE0EEENS1_59segmented_radix_sort_warp_sort_small_config_static_selectorELNS0_4arch9wavefront6targetE0EEEvSL_, .Lfunc_end1765-_ZN7rocprim17ROCPRIM_400000_NS6detail17trampoline_kernelINS0_14default_configENS1_36segmented_radix_sort_config_selectorI6__halflEEZNS1_25segmented_radix_sort_implIS3_Lb1EPKS5_PS5_PKlPlN2at6native12_GLOBAL__N_18offset_tEEE10hipError_tPvRmT1_PNSt15iterator_traitsISL_E10value_typeET2_T3_PNSM_ISR_E10value_typeET4_jRbjT5_SX_jjP12ihipStream_tbEUlT_E1_NS1_11comp_targetILNS1_3genE10ELNS1_11target_archE1200ELNS1_3gpuE4ELNS1_3repE0EEENS1_59segmented_radix_sort_warp_sort_small_config_static_selectorELNS0_4arch9wavefront6targetE0EEEvSL_
                                        ; -- End function
	.section	.AMDGPU.csdata,"",@progbits
; Kernel info:
; codeLenInByte = 0
; NumSgprs: 0
; NumVgprs: 0
; ScratchSize: 0
; MemoryBound: 0
; FloatMode: 240
; IeeeMode: 1
; LDSByteSize: 0 bytes/workgroup (compile time only)
; SGPRBlocks: 0
; VGPRBlocks: 0
; NumSGPRsForWavesPerEU: 1
; NumVGPRsForWavesPerEU: 1
; Occupancy: 16
; WaveLimiterHint : 0
; COMPUTE_PGM_RSRC2:SCRATCH_EN: 0
; COMPUTE_PGM_RSRC2:USER_SGPR: 15
; COMPUTE_PGM_RSRC2:TRAP_HANDLER: 0
; COMPUTE_PGM_RSRC2:TGID_X_EN: 1
; COMPUTE_PGM_RSRC2:TGID_Y_EN: 0
; COMPUTE_PGM_RSRC2:TGID_Z_EN: 0
; COMPUTE_PGM_RSRC2:TIDIG_COMP_CNT: 0
	.text
	.p2align	2                               ; -- Begin function _ZN7rocprim17ROCPRIM_400000_NS6detail26segmented_warp_sort_helperINS1_20WarpSortHelperConfigILj8ELj4ELj256EEE6__halflLi256ELb1EvE4sortIPKS5_PS5_PKlPlEEvT_SA_T0_T1_SD_T2_bjjjjRNS6_12storage_typeE
	.type	_ZN7rocprim17ROCPRIM_400000_NS6detail26segmented_warp_sort_helperINS1_20WarpSortHelperConfigILj8ELj4ELj256EEE6__halflLi256ELb1EvE4sortIPKS5_PS5_PKlPlEEvT_SA_T0_T1_SD_T2_bjjjjRNS6_12storage_typeE,@function
_ZN7rocprim17ROCPRIM_400000_NS6detail26segmented_warp_sort_helperINS1_20WarpSortHelperConfigILj8ELj4ELj256EEE6__halflLi256ELb1EvE4sortIPKS5_PS5_PKlPlEEvT_SA_T0_T1_SD_T2_bjjjjRNS6_12storage_typeE: ; @_ZN7rocprim17ROCPRIM_400000_NS6detail26segmented_warp_sort_helperINS1_20WarpSortHelperConfigILj8ELj4ELj256EEE6__halflLi256ELb1EvE4sortIPKS5_PS5_PKlPlEEvT_SA_T0_T1_SD_T2_bjjjjRNS6_12storage_typeE
; %bb.0:
	s_waitcnt vmcnt(0) expcnt(0) lgkmcnt(0)
	v_mov_b32_e32 v17, v14
	v_mbcnt_lo_u32_b32 v14, -1, 0
	v_and_b32_e32 v12, 1, v12
	s_mov_b32 s5, 0
	s_delay_alu instid0(VALU_DEP_2) | instskip(SKIP_1) | instid1(VALU_DEP_3)
	v_dual_mov_b32 v14, 0 :: v_dual_lshlrev_b32 v37, 2, v14
	v_sub_nc_u32_e32 v25, v17, v13
	v_cmp_eq_u32_e64 s0, 1, v12
                                        ; implicit-def: $vgpr17_vgpr18_vgpr19_vgpr20_vgpr21_vgpr22_vgpr23_vgpr24
	s_delay_alu instid0(VALU_DEP_3) | instskip(NEXT) | instid1(VALU_DEP_4)
	v_and_b32_e32 v35, 28, v37
	v_lshlrev_b64 v[33:34], 1, v[13:14]
	s_delay_alu instid0(VALU_DEP_3) | instskip(NEXT) | instid1(VALU_DEP_2)
	s_xor_b32 s0, s0, -1
	v_lshlrev_b32_e32 v36, 1, v35
	s_delay_alu instid0(VALU_DEP_2) | instskip(NEXT) | instid1(VALU_DEP_3)
	v_add_co_u32 v0, vcc_lo, v0, v33
	v_add_co_ci_u32_e32 v1, vcc_lo, v1, v34, vcc_lo
	s_delay_alu instid0(VALU_DEP_2) | instskip(NEXT) | instid1(VALU_DEP_2)
	v_add_co_u32 v0, vcc_lo, v0, v36
	v_add_co_ci_u32_e32 v1, vcc_lo, 0, v1, vcc_lo
	v_cmp_lt_u32_e32 vcc_lo, v35, v25
	s_and_saveexec_b32 s1, s0
	s_delay_alu instid0(SALU_CYCLE_1)
	s_xor_b32 s6, exec_lo, s1
	s_cbranch_execnz .LBB1766_4
; %bb.1:
	s_and_not1_saveexec_b32 s6, s6
	s_cbranch_execnz .LBB1766_109
.LBB1766_2:
	s_or_b32 exec_lo, exec_lo, s6
	s_and_saveexec_b32 s0, s5
	s_cbranch_execnz .LBB1766_214
.LBB1766_3:
	s_or_b32 exec_lo, exec_lo, s0
	s_waitcnt lgkmcnt(0)
	s_setpc_b64 s[30:31]
.LBB1766_4:
	v_dual_mov_b32 v39, 0xffff :: v_dual_mov_b32 v48, 0xffff
	s_and_saveexec_b32 s0, vcc_lo
	s_cbranch_execz .LBB1766_6
; %bb.5:
	flat_load_u16 v48, v[0:1]
.LBB1766_6:
	s_or_b32 exec_lo, exec_lo, s0
	v_or_b32_e32 v4, 1, v35
	s_delay_alu instid0(VALU_DEP_1) | instskip(NEXT) | instid1(VALU_DEP_1)
	v_cmp_lt_u32_e64 s0, v4, v25
	s_and_saveexec_b32 s1, s0
	s_cbranch_execz .LBB1766_8
; %bb.7:
	flat_load_u16 v39, v[0:1] offset:2
.LBB1766_8:
	s_or_b32 exec_lo, exec_lo, s1
	v_or_b32_e32 v4, 2, v35
	v_dual_mov_b32 v12, 0xffff :: v_dual_mov_b32 v49, 0xffff
	s_delay_alu instid0(VALU_DEP_2) | instskip(NEXT) | instid1(VALU_DEP_1)
	v_cmp_lt_u32_e64 s1, v4, v25
	s_and_saveexec_b32 s2, s1
	s_cbranch_execz .LBB1766_10
; %bb.9:
	flat_load_u16 v49, v[0:1] offset:4
.LBB1766_10:
	s_or_b32 exec_lo, exec_lo, s2
	v_or_b32_e32 v4, 3, v35
	s_delay_alu instid0(VALU_DEP_1) | instskip(NEXT) | instid1(VALU_DEP_1)
	v_cmp_lt_u32_e64 s2, v4, v25
	s_and_saveexec_b32 s3, s2
	s_cbranch_execz .LBB1766_12
; %bb.11:
	flat_load_u16 v12, v[0:1] offset:6
.LBB1766_12:
	s_or_b32 exec_lo, exec_lo, s3
	v_lshlrev_b64 v[0:1], 3, v[13:14]
	v_lshlrev_b32_e32 v38, 3, v35
	; wave barrier
                                        ; implicit-def: $vgpr17_vgpr18_vgpr19_vgpr20_vgpr21_vgpr22_vgpr23_vgpr24
	s_delay_alu instid0(VALU_DEP_2) | instskip(NEXT) | instid1(VALU_DEP_1)
	v_add_co_u32 v4, s3, v6, v0
	v_add_co_ci_u32_e64 v5, s3, v7, v1, s3
	s_delay_alu instid0(VALU_DEP_2) | instskip(NEXT) | instid1(VALU_DEP_1)
	v_add_co_u32 v4, s3, v4, v38
	v_add_co_ci_u32_e64 v5, s3, 0, v5, s3
	s_and_saveexec_b32 s3, vcc_lo
	s_cbranch_execnz .LBB1766_215
; %bb.13:
	s_or_b32 exec_lo, exec_lo, s3
	s_and_saveexec_b32 s3, s0
	s_cbranch_execnz .LBB1766_216
.LBB1766_14:
	s_or_b32 exec_lo, exec_lo, s3
	s_and_saveexec_b32 s3, s1
	s_cbranch_execnz .LBB1766_217
.LBB1766_15:
	s_or_b32 exec_lo, exec_lo, s3
	s_and_saveexec_b32 s3, s2
	s_cbranch_execz .LBB1766_17
.LBB1766_16:
	flat_load_b64 v[23:24], v[4:5] offset:24
.LBB1766_17:
	s_or_b32 exec_lo, exec_lo, s3
	; wave barrier
	s_load_b64 s[4:5], s[8:9], 0x0
	v_mov_b32_e32 v4, 0
	v_bfe_u32 v6, v31, 10, 10
	v_bfe_u32 v7, v31, 20, 10
	s_waitcnt lgkmcnt(0)
	s_cmp_lt_u32 s13, s5
	s_cselect_b32 s3, 14, 20
	s_delay_alu instid0(SALU_CYCLE_1) | instskip(SKIP_4) | instid1(SALU_CYCLE_1)
	s_add_u32 s10, s8, s3
	s_addc_u32 s11, s9, 0
	s_cmp_lt_u32 s12, s4
	global_load_u16 v5, v4, s[10:11]
	s_cselect_b32 s3, 12, 18
	s_add_u32 s4, s8, s3
	s_addc_u32 s5, s9, 0
	global_load_u16 v4, v4, s[4:5]
	s_mov_b32 s5, exec_lo
	s_waitcnt vmcnt(1)
	v_mad_u32_u24 v5, v7, v5, v6
	s_waitcnt vmcnt(0)
	s_delay_alu instid0(VALU_DEP_1) | instskip(SKIP_1) | instid1(VALU_DEP_1)
	v_mul_lo_u32 v4, v5, v4
	v_and_b32_e32 v5, 0x3ff, v31
	v_add_lshl_u32 v4, v4, v5, 2
	s_delay_alu instid0(VALU_DEP_1)
	v_cmpx_gt_u32_e32 0x400, v4
	s_cbranch_execz .LBB1766_27
; %bb.18:
	v_add_f16_e32 v5, 0, v39
	v_add_f16_e32 v6, 0, v48
	;; [unrolled: 1-line block ×4, first 2 shown]
	s_mov_b32 s7, exec_lo
	v_cmp_lt_i16_e64 s3, -1, v5
	v_dual_mov_b32 v30, v22 :: v_dual_mov_b32 v29, v21
	v_dual_mov_b32 v32, v24 :: v_dual_mov_b32 v31, v23
	s_delay_alu instid0(VALU_DEP_3) | instskip(SKIP_1) | instid1(VALU_DEP_2)
	v_cndmask_b32_e64 v11, -1, 0xffff8000, s3
	v_cmp_lt_i16_e64 s3, -1, v6
	v_xor_b32_e32 v5, v11, v5
	s_delay_alu instid0(VALU_DEP_2) | instskip(SKIP_1) | instid1(VALU_DEP_2)
	v_cndmask_b32_e64 v25, -1, 0xffff8000, s3
	v_cmp_lt_i16_e64 s3, -1, v10
	v_xor_b32_e32 v6, v25, v6
	s_delay_alu instid0(VALU_DEP_2) | instskip(SKIP_1) | instid1(VALU_DEP_2)
	v_cndmask_b32_e64 v11, -1, 0xffff8000, s3
	v_cmp_lt_i16_e64 s3, -1, v7
	v_xor_b32_e32 v11, v11, v10
	s_delay_alu instid0(VALU_DEP_2) | instskip(SKIP_2) | instid1(VALU_DEP_3)
	v_cndmask_b32_e64 v25, -1, 0xffff8000, s3
	v_cmp_gt_u16_e64 s3, v5, v6
	v_mov_b32_e32 v5, v49
	v_xor_b32_e32 v6, v25, v7
	s_delay_alu instid0(VALU_DEP_3)
	v_cndmask_b32_e64 v28, v20, v18, s3
	v_cndmask_b32_e64 v27, v19, v17, s3
	;; [unrolled: 1-line block ×4, first 2 shown]
	v_cmpx_gt_u16_e64 v11, v6
; %bb.19:
	v_dual_mov_b32 v7, v10 :: v_dual_mov_b32 v6, v11
	v_dual_mov_b32 v5, v12 :: v_dual_mov_b32 v12, v49
	;; [unrolled: 1-line block ×4, first 2 shown]
; %bb.20:
	s_or_b32 exec_lo, exec_lo, s7
	v_cndmask_b32_e64 v11, v39, v48, s3
	s_delay_alu instid0(VALU_DEP_1) | instskip(NEXT) | instid1(VALU_DEP_1)
	v_add_f16_e32 v10, 0, v11
	v_cmp_lt_i16_e64 s4, -1, v10
	s_delay_alu instid0(VALU_DEP_1) | instskip(NEXT) | instid1(VALU_DEP_1)
	v_cndmask_b32_e64 v17, -1, 0xffff8000, s4
	v_xor_b32_e32 v18, v17, v10
	v_mov_b32_e32 v17, v7
	s_delay_alu instid0(VALU_DEP_2) | instskip(SKIP_1) | instid1(VALU_DEP_2)
	v_cmp_gt_u16_e64 s4, v6, v18
	v_mov_b32_e32 v6, v11
	s_and_saveexec_b32 s7, s4
	s_delay_alu instid0(SALU_CYCLE_1)
	s_xor_b32 s4, exec_lo, s7
	s_cbranch_execz .LBB1766_22
; %bb.21:
	v_dual_mov_b32 v17, v25 :: v_dual_mov_b32 v18, v26
	v_dual_mov_b32 v23, v31 :: v_dual_mov_b32 v24, v32
	;; [unrolled: 1-line block ×7, first 2 shown]
	s_delay_alu instid0(VALU_DEP_3) | instskip(NEXT) | instid1(VALU_DEP_3)
	v_dual_mov_b32 v32, v24 :: v_dual_mov_b32 v31, v23
	v_dual_mov_b32 v28, v20 :: v_dual_mov_b32 v27, v19
	s_delay_alu instid0(VALU_DEP_3)
	v_dual_mov_b32 v30, v22 :: v_dual_mov_b32 v29, v21
	v_dual_mov_b32 v26, v18 :: v_dual_mov_b32 v25, v17
	;; [unrolled: 1-line block ×3, first 2 shown]
	v_mov_b32_e32 v5, v11
	v_mov_b32_e32 v10, v7
.LBB1766_22:
	s_or_b32 exec_lo, exec_lo, s4
	v_cndmask_b32_e64 v7, v48, v39, s3
	s_delay_alu instid0(VALU_DEP_2)
	v_cmp_lt_i16_e64 s3, -1, v10
	v_add_f16_e32 v19, 0, v12
	v_mov_b32_e32 v21, v29
	s_mov_b32 s7, exec_lo
	v_add_f16_e32 v11, 0, v7
	v_cndmask_b32_e64 v18, -1, 0xffff8000, s3
	v_mov_b32_e32 v24, v32
	s_delay_alu instid0(VALU_DEP_3) | instskip(NEXT) | instid1(VALU_DEP_3)
	v_cmp_lt_i16_e64 s3, -1, v11
	v_xor_b32_e32 v10, v18, v10
	s_delay_alu instid0(VALU_DEP_2) | instskip(SKIP_1) | instid1(VALU_DEP_2)
	v_cndmask_b32_e64 v20, -1, 0xffff8000, s3
	v_cmp_lt_i16_e64 s3, -1, v17
	v_xor_b32_e32 v18, v20, v11
	s_delay_alu instid0(VALU_DEP_2) | instskip(SKIP_1) | instid1(VALU_DEP_2)
	v_cndmask_b32_e64 v22, -1, 0xffff8000, s3
	v_cmp_lt_i16_e64 s3, -1, v19
	v_xor_b32_e32 v11, v22, v17
	v_mov_b32_e32 v22, v30
	s_delay_alu instid0(VALU_DEP_3) | instskip(SKIP_2) | instid1(VALU_DEP_3)
	v_cndmask_b32_e64 v23, -1, 0xffff8000, s3
	v_cmp_gt_u16_e64 s3, v10, v18
	v_mov_b32_e32 v10, v5
	v_xor_b32_e32 v29, v23, v19
	v_mov_b32_e32 v23, v31
	s_delay_alu instid0(VALU_DEP_4)
	v_cndmask_b32_e64 v20, v28, v26, s3
	v_cndmask_b32_e64 v19, v27, v25, s3
	;; [unrolled: 1-line block ×4, first 2 shown]
	v_cmpx_gt_u16_e64 v29, v11
; %bb.23:
	s_delay_alu instid0(VALU_DEP_2)
	v_dual_mov_b32 v48, v17 :: v_dual_mov_b32 v49, v18
	v_dual_mov_b32 v50, v19 :: v_dual_mov_b32 v51, v20
	;; [unrolled: 1-line block ×9, first 2 shown]
	v_mov_b32_e32 v24, v55
; %bb.24:
	s_or_b32 exec_lo, exec_lo, s7
	v_cndmask_b32_e64 v39, v6, v7, s3
	v_mov_b32_e32 v49, v10
	s_mov_b32 s7, exec_lo
	s_delay_alu instid0(VALU_DEP_2) | instskip(NEXT) | instid1(VALU_DEP_1)
	v_add_f16_e32 v5, 0, v39
	v_cmp_lt_i16_e64 s4, -1, v5
	s_delay_alu instid0(VALU_DEP_1) | instskip(NEXT) | instid1(VALU_DEP_1)
	v_cndmask_b32_e64 v25, -1, 0xffff8000, s4
	v_xor_b32_e32 v5, v25, v5
	s_delay_alu instid0(VALU_DEP_1)
	v_cmpx_gt_u16_e64 v11, v5
; %bb.25:
	v_dual_mov_b32 v25, v17 :: v_dual_mov_b32 v26, v18
	v_dual_mov_b32 v27, v21 :: v_dual_mov_b32 v28, v22
	;; [unrolled: 1-line block ×4, first 2 shown]
	s_delay_alu instid0(VALU_DEP_4) | instskip(NEXT) | instid1(VALU_DEP_4)
	v_dual_mov_b32 v17, v25 :: v_dual_mov_b32 v18, v26
	v_dual_mov_b32 v19, v27 :: v_dual_mov_b32 v20, v28
	s_delay_alu instid0(VALU_DEP_4) | instskip(NEXT) | instid1(VALU_DEP_4)
	v_dual_mov_b32 v21, v29 :: v_dual_mov_b32 v22, v30
	v_dual_mov_b32 v23, v31 :: v_dual_mov_b32 v24, v32
	v_mov_b32_e32 v49, v39
	v_mov_b32_e32 v39, v10
; %bb.26:
	s_or_b32 exec_lo, exec_lo, s7
	v_cndmask_b32_e64 v48, v7, v6, s3
.LBB1766_27:
	s_or_b32 exec_lo, exec_lo, s5
	v_dual_mov_b32 v28, 0 :: v_dual_and_b32 v27, 0xffffff80, v4
	v_or_b32_e32 v6, 4, v37
	v_lshlrev_b32_e32 v10, 1, v37
	v_and_b32_e32 v11, 4, v37
	s_delay_alu instid0(VALU_DEP_4)
	v_sub_nc_u32_e64 v31, 0x400, v27 clamp
	v_lshlrev_b64 v[4:5], 1, v[27:28]
	v_lshlrev_b32_e32 v25, 3, v37
	v_and_b32_e32 v29, 0x78, v37
	v_perm_b32 v54, v12, v49, 0x5040100
	v_min_u32_e32 v32, v31, v6
	v_min_u32_e32 v30, v31, v11
	v_add_co_u32 v6, s3, v15, v4
	s_delay_alu instid0(VALU_DEP_1) | instskip(NEXT) | instid1(VALU_DEP_4)
	v_add_co_ci_u32_e64 v7, s3, v16, v5, s3
	v_add_nc_u32_e32 v15, 4, v32
	s_delay_alu instid0(VALU_DEP_3) | instskip(NEXT) | instid1(VALU_DEP_3)
	v_add_co_u32 v10, s3, v6, v10
	v_mad_u64_u32 v[4:5], null, v27, 6, v[6:7]
	s_delay_alu instid0(VALU_DEP_3) | instskip(SKIP_3) | instid1(VALU_DEP_4)
	v_min_u32_e32 v50, v31, v15
	v_add_co_ci_u32_e64 v11, s3, 0, v7, s3
	v_sub_nc_u32_e32 v26, v32, v29
	v_perm_b32 v53, v39, v48, 0x5040100
	v_sub_nc_u32_e32 v27, v50, v32
	v_add_co_u32 v15, s3, v4, v25
	s_delay_alu instid0(VALU_DEP_1) | instskip(NEXT) | instid1(VALU_DEP_3)
	v_add_co_ci_u32_e64 v16, s3, 0, v5, s3
	v_sub_nc_u32_e64 v51, v30, v27 clamp
	s_delay_alu instid0(VALU_DEP_3) | instskip(SKIP_1) | instid1(VALU_DEP_4)
	v_add_co_u32 v25, s3, 0x800, v15
	v_min_u32_e32 v52, v30, v26
	v_add_co_ci_u32_e64 v26, s3, 0, v16, s3
	s_mov_b32 s4, 0
	s_mov_b32 s5, exec_lo
	s_clause 0x2
	flat_store_b128 v[15:16], v[17:20] offset:2048
	flat_store_b64 v[10:11], v[53:54]
	flat_store_b128 v[15:16], v[21:24] offset:2064
	; wave barrier
	v_cmpx_lt_u32_e64 v51, v52
	s_cbranch_execz .LBB1766_31
; %bb.28:
	v_lshlrev_b32_e32 v27, 1, v29
	v_lshlrev_b32_e32 v55, 1, v32
	s_delay_alu instid0(VALU_DEP_2) | instskip(NEXT) | instid1(VALU_DEP_1)
	v_add_co_u32 v53, s3, v6, v27
	v_add_co_ci_u32_e64 v54, s3, 0, v7, s3
	s_delay_alu instid0(VALU_DEP_3) | instskip(NEXT) | instid1(VALU_DEP_1)
	v_add_co_u32 v55, s3, v6, v55
	v_add_co_ci_u32_e64 v64, s3, 0, v7, s3
	s_set_inst_prefetch_distance 0x1
	.p2align	6
.LBB1766_29:                            ; =>This Inner Loop Header: Depth=1
	v_add_nc_u32_e32 v27, v52, v51
	s_delay_alu instid0(VALU_DEP_1) | instskip(SKIP_1) | instid1(VALU_DEP_2)
	v_lshrrev_b32_e32 v69, 1, v27
	v_and_b32_e32 v65, -2, v27
	v_xad_u32 v27, v69, -1, v30
	s_delay_alu instid0(VALU_DEP_2) | instskip(NEXT) | instid1(VALU_DEP_1)
	v_add_co_u32 v65, s3, v53, v65
	v_add_co_ci_u32_e64 v66, s3, 0, v54, s3
	s_delay_alu instid0(VALU_DEP_3) | instskip(NEXT) | instid1(VALU_DEP_1)
	v_lshlrev_b64 v[67:68], 1, v[27:28]
	v_add_co_u32 v67, s3, v55, v67
	s_delay_alu instid0(VALU_DEP_1)
	v_add_co_ci_u32_e64 v68, s3, v64, v68, s3
	s_clause 0x1
	flat_load_u16 v27, v[65:66]
	flat_load_u16 v65, v[67:68]
	s_waitcnt vmcnt(1) lgkmcnt(1)
	v_add_f16_e32 v27, 0, v27
	s_waitcnt vmcnt(0) lgkmcnt(0)
	v_add_f16_e32 v65, 0, v65
	s_delay_alu instid0(VALU_DEP_2) | instskip(NEXT) | instid1(VALU_DEP_1)
	v_cmp_lt_i16_e64 s3, -1, v27
	v_cndmask_b32_e64 v66, -1, 0xffff8000, s3
	s_delay_alu instid0(VALU_DEP_3) | instskip(NEXT) | instid1(VALU_DEP_2)
	v_cmp_lt_i16_e64 s3, -1, v65
	v_xor_b32_e32 v27, v66, v27
	s_delay_alu instid0(VALU_DEP_2) | instskip(SKIP_1) | instid1(VALU_DEP_2)
	v_cndmask_b32_e64 v67, -1, 0xffff8000, s3
	v_add_nc_u32_e32 v66, 1, v69
	v_xor_b32_e32 v65, v67, v65
	s_delay_alu instid0(VALU_DEP_1) | instskip(NEXT) | instid1(VALU_DEP_1)
	v_cmp_gt_u16_e64 s3, v65, v27
	v_cndmask_b32_e64 v52, v52, v69, s3
	s_delay_alu instid0(VALU_DEP_4) | instskip(NEXT) | instid1(VALU_DEP_1)
	v_cndmask_b32_e64 v51, v66, v51, s3
	v_cmp_ge_u32_e64 s3, v51, v52
	s_delay_alu instid0(VALU_DEP_1) | instskip(NEXT) | instid1(SALU_CYCLE_1)
	s_or_b32 s4, s3, s4
	s_and_not1_b32 exec_lo, exec_lo, s4
	s_cbranch_execnz .LBB1766_29
; %bb.30:
	s_set_inst_prefetch_distance 0x2
	s_or_b32 exec_lo, exec_lo, s4
.LBB1766_31:
	s_delay_alu instid0(SALU_CYCLE_1) | instskip(SKIP_2) | instid1(VALU_DEP_2)
	s_or_b32 exec_lo, exec_lo, s5
	v_add_nc_u32_e32 v28, v32, v30
	v_add_nc_u32_e32 v27, v51, v29
	v_sub_nc_u32_e32 v29, v28, v51
	s_delay_alu instid0(VALU_DEP_2) | instskip(NEXT) | instid1(VALU_DEP_2)
	v_cmp_le_u32_e64 s3, v27, v32
	v_cmp_le_u32_e64 s4, v29, v50
	s_delay_alu instid0(VALU_DEP_1) | instskip(NEXT) | instid1(SALU_CYCLE_1)
	s_or_b32 s3, s3, s4
	s_and_saveexec_b32 s5, s3
	s_cbranch_execz .LBB1766_51
; %bb.32:
	v_cmp_ge_u32_e64 s3, v27, v32
	s_mov_b32 s7, exec_lo
                                        ; implicit-def: $vgpr12
	v_cmpx_lt_u32_e64 v27, v32
	s_cbranch_execz .LBB1766_34
; %bb.33:
	v_mov_b32_e32 v28, 0
	s_delay_alu instid0(VALU_DEP_1) | instskip(NEXT) | instid1(VALU_DEP_1)
	v_lshlrev_b64 v[17:18], 1, v[27:28]
	v_add_co_u32 v17, s4, v6, v17
	s_delay_alu instid0(VALU_DEP_1)
	v_add_co_ci_u32_e64 v18, s4, v7, v18, s4
	flat_load_u16 v12, v[17:18]
.LBB1766_34:
	s_or_b32 exec_lo, exec_lo, s7
	v_cmp_ge_u32_e64 s7, v29, v50
	s_mov_b32 s10, exec_lo
                                        ; implicit-def: $vgpr28
	v_cmpx_lt_u32_e64 v29, v50
	s_cbranch_execz .LBB1766_36
; %bb.35:
	v_mov_b32_e32 v30, 0
	s_delay_alu instid0(VALU_DEP_1) | instskip(NEXT) | instid1(VALU_DEP_1)
	v_lshlrev_b64 v[17:18], 1, v[29:30]
	v_add_co_u32 v17, s4, v6, v17
	s_delay_alu instid0(VALU_DEP_1)
	v_add_co_ci_u32_e64 v18, s4, v7, v18, s4
	flat_load_u16 v28, v[17:18]
.LBB1766_36:
	s_or_b32 exec_lo, exec_lo, s10
	s_or_b32 s3, s3, s7
	s_mov_b32 s4, -1
	s_xor_b32 s3, s3, -1
	s_delay_alu instid0(SALU_CYCLE_1)
	s_and_saveexec_b32 s10, s3
	s_cbranch_execz .LBB1766_38
; %bb.37:
	s_waitcnt vmcnt(0) lgkmcnt(0)
	v_add_f16_e32 v17, 0, v28
	v_add_f16_e32 v18, 0, v12
	s_and_not1_b32 s7, s7, exec_lo
	s_delay_alu instid0(VALU_DEP_2) | instskip(NEXT) | instid1(VALU_DEP_1)
	v_cmp_lt_i16_e64 s3, -1, v17
	v_cndmask_b32_e64 v19, -1, 0xffff8000, s3
	s_delay_alu instid0(VALU_DEP_3) | instskip(NEXT) | instid1(VALU_DEP_2)
	v_cmp_lt_i16_e64 s3, -1, v18
	v_xor_b32_e32 v17, v19, v17
	s_delay_alu instid0(VALU_DEP_2) | instskip(NEXT) | instid1(VALU_DEP_1)
	v_cndmask_b32_e64 v20, -1, 0xffff8000, s3
	v_xor_b32_e32 v18, v20, v18
	s_delay_alu instid0(VALU_DEP_1) | instskip(NEXT) | instid1(VALU_DEP_1)
	v_cmp_le_u16_e64 s3, v17, v18
	s_and_b32 s3, s3, exec_lo
	s_delay_alu instid0(SALU_CYCLE_1)
	s_or_b32 s7, s7, s3
.LBB1766_38:
	s_or_b32 exec_lo, exec_lo, s10
	v_cndmask_b32_e64 v19, v29, v27, s7
	v_cndmask_b32_e64 v17, v50, v32, s7
	v_mov_b32_e32 v20, 0
	s_mov_b32 s11, 0
	s_mov_b32 s10, exec_lo
	v_add_nc_u32_e32 v23, 1, v19
	v_add_nc_u32_e32 v21, -1, v17
	v_lshlrev_b64 v[17:18], 3, v[19:20]
	s_delay_alu instid0(VALU_DEP_2) | instskip(NEXT) | instid1(VALU_DEP_1)
	v_min_u32_e32 v19, v23, v21
	v_lshlrev_b64 v[21:22], 1, v[19:20]
	s_delay_alu instid0(VALU_DEP_1) | instskip(NEXT) | instid1(VALU_DEP_1)
	v_add_co_u32 v21, s3, v6, v21
	v_add_co_ci_u32_e64 v22, s3, v7, v22, s3
	v_add_co_u32 v17, s3, v4, v17
	s_delay_alu instid0(VALU_DEP_1)
	v_add_co_ci_u32_e64 v18, s3, v5, v18, s3
	s_clause 0x1
	flat_load_u16 v19, v[21:22]
	flat_load_b64 v[17:18], v[17:18] offset:2048
	v_cndmask_b32_e64 v21, v23, v29, s7
	v_cndmask_b32_e64 v22, v27, v23, s7
	s_waitcnt vmcnt(1) lgkmcnt(1)
	v_cndmask_b32_e64 v27, v19, v28, s7
	v_cndmask_b32_e64 v29, v12, v19, s7
	v_cmpx_lt_u32_e64 v21, v50
	s_cbranch_execz .LBB1766_42
; %bb.39:
	s_mov_b32 s4, exec_lo
	v_cmpx_lt_u32_e64 v22, v32
; %bb.40:
	v_add_f16_e32 v19, 0, v27
	v_add_f16_e32 v23, 0, v29
	s_delay_alu instid0(VALU_DEP_2) | instskip(NEXT) | instid1(VALU_DEP_1)
	v_cmp_lt_i16_e64 s3, -1, v19
	v_cndmask_b32_e64 v24, -1, 0xffff8000, s3
	s_delay_alu instid0(VALU_DEP_3) | instskip(NEXT) | instid1(VALU_DEP_2)
	v_cmp_lt_i16_e64 s3, -1, v23
	v_xor_b32_e32 v19, v24, v19
	s_delay_alu instid0(VALU_DEP_2) | instskip(NEXT) | instid1(VALU_DEP_1)
	v_cndmask_b32_e64 v30, -1, 0xffff8000, s3
	v_xor_b32_e32 v23, v30, v23
	s_delay_alu instid0(VALU_DEP_1) | instskip(NEXT) | instid1(VALU_DEP_1)
	v_cmp_le_u16_e64 s3, v19, v23
	s_and_b32 s11, s3, exec_lo
; %bb.41:
	s_or_b32 exec_lo, exec_lo, s4
	s_delay_alu instid0(SALU_CYCLE_1)
	s_or_not1_b32 s4, s11, exec_lo
.LBB1766_42:
	s_or_b32 exec_lo, exec_lo, s10
	v_cndmask_b32_e64 v19, v21, v22, s4
	v_cndmask_b32_e64 v23, v50, v32, s4
	s_mov_b32 s15, 0
	s_mov_b32 s10, -1
	s_mov_b32 s11, -1
	v_add_nc_u32_e32 v30, 1, v19
	v_add_nc_u32_e32 v39, -1, v23
	v_lshlrev_b64 v[23:24], 3, v[19:20]
	s_mov_b32 s14, exec_lo
	s_delay_alu instid0(VALU_DEP_3) | instskip(NEXT) | instid1(VALU_DEP_3)
	v_cndmask_b32_e64 v48, v30, v21, s4
	v_min_u32_e32 v19, v30, v39
	v_cndmask_b32_e64 v49, v22, v30, s4
	s_delay_alu instid0(VALU_DEP_2) | instskip(NEXT) | instid1(VALU_DEP_1)
	v_lshlrev_b64 v[19:20], 1, v[19:20]
	v_add_co_u32 v19, s3, v6, v19
	s_delay_alu instid0(VALU_DEP_1) | instskip(SKIP_2) | instid1(VALU_DEP_1)
	v_add_co_ci_u32_e64 v20, s3, v7, v20, s3
	flat_load_u16 v39, v[19:20]
	v_add_co_u32 v19, s3, v4, v23
	v_add_co_ci_u32_e64 v20, s3, v5, v24, s3
	flat_load_b64 v[19:20], v[19:20] offset:2048
	s_waitcnt vmcnt(1) lgkmcnt(1)
	v_cndmask_b32_e64 v30, v39, v27, s4
	v_cndmask_b32_e64 v39, v29, v39, s4
	v_cmpx_lt_u32_e64 v48, v50
	s_cbranch_execz .LBB1766_46
; %bb.43:
	s_mov_b32 s11, exec_lo
	v_cmpx_lt_u32_e64 v49, v32
; %bb.44:
	v_add_f16_e32 v21, 0, v30
	v_add_f16_e32 v22, 0, v39
	s_delay_alu instid0(VALU_DEP_2) | instskip(NEXT) | instid1(VALU_DEP_1)
	v_cmp_lt_i16_e64 s3, -1, v21
	v_cndmask_b32_e64 v23, -1, 0xffff8000, s3
	s_delay_alu instid0(VALU_DEP_3) | instskip(NEXT) | instid1(VALU_DEP_2)
	v_cmp_lt_i16_e64 s3, -1, v22
	v_xor_b32_e32 v21, v23, v21
	s_delay_alu instid0(VALU_DEP_2) | instskip(NEXT) | instid1(VALU_DEP_1)
	v_cndmask_b32_e64 v24, -1, 0xffff8000, s3
	v_xor_b32_e32 v22, v24, v22
	s_delay_alu instid0(VALU_DEP_1) | instskip(NEXT) | instid1(VALU_DEP_1)
	v_cmp_le_u16_e64 s3, v21, v22
	s_and_b32 s15, s3, exec_lo
; %bb.45:
	s_or_b32 exec_lo, exec_lo, s11
	s_delay_alu instid0(SALU_CYCLE_1)
	s_or_not1_b32 s11, s15, exec_lo
.LBB1766_46:
	s_or_b32 exec_lo, exec_lo, s14
	v_cndmask_b32_e64 v23, v48, v49, s11
	v_cndmask_b32_e64 v21, v50, v32, s11
	v_mov_b32_e32 v24, 0
	s_mov_b32 s15, 0
	s_mov_b32 s14, exec_lo
	v_add_nc_u32_e32 v53, 1, v23
	v_add_nc_u32_e32 v51, -1, v21
	v_lshlrev_b64 v[21:22], 3, v[23:24]
	s_delay_alu instid0(VALU_DEP_2) | instskip(NEXT) | instid1(VALU_DEP_1)
	v_min_u32_e32 v23, v53, v51
	v_lshlrev_b64 v[51:52], 1, v[23:24]
	v_cndmask_b32_e64 v23, v53, v48, s11
	v_cndmask_b32_e64 v48, v49, v53, s11
	s_delay_alu instid0(VALU_DEP_3) | instskip(NEXT) | instid1(VALU_DEP_1)
	v_add_co_u32 v51, s3, v6, v51
	v_add_co_ci_u32_e64 v52, s3, v7, v52, s3
	v_add_co_u32 v21, s3, v4, v21
	s_delay_alu instid0(VALU_DEP_1)
	v_add_co_ci_u32_e64 v22, s3, v5, v22, s3
	s_clause 0x1
	flat_load_u16 v52, v[51:52]
	flat_load_b64 v[21:22], v[21:22] offset:2048
	s_waitcnt vmcnt(1) lgkmcnt(1)
	v_cndmask_b32_e64 v51, v52, v30, s11
	v_cndmask_b32_e64 v52, v39, v52, s11
	v_cmpx_lt_u32_e64 v23, v50
	s_cbranch_execz .LBB1766_50
; %bb.47:
	s_mov_b32 s10, exec_lo
	v_cmpx_lt_u32_e64 v48, v32
; %bb.48:
	v_add_f16_e32 v32, 0, v51
	v_add_f16_e32 v49, 0, v52
	s_delay_alu instid0(VALU_DEP_2) | instskip(NEXT) | instid1(VALU_DEP_1)
	v_cmp_lt_i16_e64 s3, -1, v32
	v_cndmask_b32_e64 v50, -1, 0xffff8000, s3
	s_delay_alu instid0(VALU_DEP_3) | instskip(NEXT) | instid1(VALU_DEP_2)
	v_cmp_lt_i16_e64 s3, -1, v49
	v_xor_b32_e32 v32, v50, v32
	s_delay_alu instid0(VALU_DEP_2) | instskip(NEXT) | instid1(VALU_DEP_1)
	v_cndmask_b32_e64 v53, -1, 0xffff8000, s3
	v_xor_b32_e32 v49, v53, v49
	s_delay_alu instid0(VALU_DEP_1) | instskip(NEXT) | instid1(VALU_DEP_1)
	v_cmp_le_u16_e64 s3, v32, v49
	s_and_b32 s15, s3, exec_lo
; %bb.49:
	s_or_b32 exec_lo, exec_lo, s10
	s_delay_alu instid0(SALU_CYCLE_1)
	s_or_not1_b32 s10, s15, exec_lo
.LBB1766_50:
	s_or_b32 exec_lo, exec_lo, s14
	v_cndmask_b32_e64 v23, v23, v48, s10
	v_cndmask_b32_e64 v49, v30, v39, s11
	;; [unrolled: 1-line block ×5, first 2 shown]
	v_lshlrev_b64 v[23:24], 3, v[23:24]
	s_delay_alu instid0(VALU_DEP_1) | instskip(NEXT) | instid1(VALU_DEP_1)
	v_add_co_u32 v23, s3, v4, v23
	v_add_co_ci_u32_e64 v24, s3, v5, v24, s3
	flat_load_b64 v[23:24], v[23:24] offset:2048
.LBB1766_51:
	s_or_b32 exec_lo, exec_lo, s5
	v_and_b32_e32 v29, 0x70, v37
	v_and_b32_e32 v28, 12, v37
	s_mov_b32 s4, exec_lo
	; wave barrier
	s_delay_alu instid0(VALU_DEP_2) | instskip(NEXT) | instid1(VALU_DEP_2)
	v_or_b32_e32 v27, 8, v29
	v_min_u32_e32 v30, v31, v28
	s_delay_alu instid0(VALU_DEP_2) | instskip(NEXT) | instid1(VALU_DEP_1)
	v_min_u32_e32 v32, v31, v27
	v_add_nc_u32_e32 v27, 8, v32
	s_delay_alu instid0(VALU_DEP_1) | instskip(SKIP_1) | instid1(VALU_DEP_2)
	v_min_u32_e32 v50, v31, v27
	v_sub_nc_u32_e32 v27, v32, v29
	v_sub_nc_u32_e32 v28, v50, v32
	s_delay_alu instid0(VALU_DEP_2) | instskip(SKIP_1) | instid1(VALU_DEP_3)
	v_min_u32_e32 v52, v30, v27
	v_perm_b32 v27, v39, v48, 0x5040100
	v_sub_nc_u32_e64 v51, v30, v28 clamp
	v_perm_b32 v28, v12, v49, 0x5040100
	s_clause 0x1
	flat_store_b128 v[15:16], v[17:20] offset:2048
	flat_store_b64 v[10:11], v[27:28]
	s_waitcnt vmcnt(0) lgkmcnt(2)
	flat_store_b128 v[25:26], v[21:24] offset:16
	; wave barrier
	v_cmpx_lt_u32_e64 v51, v52
	s_cbranch_execz .LBB1766_55
; %bb.52:
	v_lshlrev_b32_e32 v27, 1, v29
	v_lshlrev_b32_e32 v28, 1, v32
	s_mov_b32 s5, 0
	s_delay_alu instid0(VALU_DEP_2) | instskip(NEXT) | instid1(VALU_DEP_1)
	v_add_co_u32 v53, s3, v6, v27
	v_add_co_ci_u32_e64 v54, s3, 0, v7, s3
	s_delay_alu instid0(VALU_DEP_3)
	v_add_co_u32 v55, s3, v6, v28
	v_mov_b32_e32 v28, 0
	v_add_co_ci_u32_e64 v64, s3, 0, v7, s3
	s_set_inst_prefetch_distance 0x1
	.p2align	6
.LBB1766_53:                            ; =>This Inner Loop Header: Depth=1
	v_add_nc_u32_e32 v27, v52, v51
	s_delay_alu instid0(VALU_DEP_1) | instskip(SKIP_1) | instid1(VALU_DEP_2)
	v_lshrrev_b32_e32 v69, 1, v27
	v_and_b32_e32 v65, -2, v27
	v_xad_u32 v27, v69, -1, v30
	s_delay_alu instid0(VALU_DEP_2) | instskip(NEXT) | instid1(VALU_DEP_1)
	v_add_co_u32 v65, s3, v53, v65
	v_add_co_ci_u32_e64 v66, s3, 0, v54, s3
	s_delay_alu instid0(VALU_DEP_3) | instskip(NEXT) | instid1(VALU_DEP_1)
	v_lshlrev_b64 v[67:68], 1, v[27:28]
	v_add_co_u32 v67, s3, v55, v67
	s_delay_alu instid0(VALU_DEP_1)
	v_add_co_ci_u32_e64 v68, s3, v64, v68, s3
	s_clause 0x1
	flat_load_u16 v27, v[65:66]
	flat_load_u16 v65, v[67:68]
	s_waitcnt vmcnt(1) lgkmcnt(1)
	v_add_f16_e32 v27, 0, v27
	s_waitcnt vmcnt(0) lgkmcnt(0)
	v_add_f16_e32 v65, 0, v65
	s_delay_alu instid0(VALU_DEP_2) | instskip(NEXT) | instid1(VALU_DEP_1)
	v_cmp_lt_i16_e64 s3, -1, v27
	v_cndmask_b32_e64 v66, -1, 0xffff8000, s3
	s_delay_alu instid0(VALU_DEP_3) | instskip(NEXT) | instid1(VALU_DEP_2)
	v_cmp_lt_i16_e64 s3, -1, v65
	v_xor_b32_e32 v27, v66, v27
	s_delay_alu instid0(VALU_DEP_2) | instskip(SKIP_1) | instid1(VALU_DEP_2)
	v_cndmask_b32_e64 v67, -1, 0xffff8000, s3
	v_add_nc_u32_e32 v66, 1, v69
	v_xor_b32_e32 v65, v67, v65
	s_delay_alu instid0(VALU_DEP_1) | instskip(NEXT) | instid1(VALU_DEP_1)
	v_cmp_gt_u16_e64 s3, v65, v27
	v_cndmask_b32_e64 v52, v52, v69, s3
	s_delay_alu instid0(VALU_DEP_4) | instskip(NEXT) | instid1(VALU_DEP_1)
	v_cndmask_b32_e64 v51, v66, v51, s3
	v_cmp_ge_u32_e64 s3, v51, v52
	s_delay_alu instid0(VALU_DEP_1) | instskip(NEXT) | instid1(SALU_CYCLE_1)
	s_or_b32 s5, s3, s5
	s_and_not1_b32 exec_lo, exec_lo, s5
	s_cbranch_execnz .LBB1766_53
; %bb.54:
	s_set_inst_prefetch_distance 0x2
	s_or_b32 exec_lo, exec_lo, s5
.LBB1766_55:
	s_delay_alu instid0(SALU_CYCLE_1) | instskip(SKIP_2) | instid1(VALU_DEP_2)
	s_or_b32 exec_lo, exec_lo, s4
	v_add_nc_u32_e32 v28, v32, v30
	v_add_nc_u32_e32 v27, v51, v29
	v_sub_nc_u32_e32 v29, v28, v51
	s_delay_alu instid0(VALU_DEP_2) | instskip(NEXT) | instid1(VALU_DEP_2)
	v_cmp_le_u32_e64 s3, v27, v32
	v_cmp_le_u32_e64 s4, v29, v50
	s_delay_alu instid0(VALU_DEP_1) | instskip(NEXT) | instid1(SALU_CYCLE_1)
	s_or_b32 s3, s3, s4
	s_and_saveexec_b32 s5, s3
	s_cbranch_execz .LBB1766_75
; %bb.56:
	v_cmp_ge_u32_e64 s3, v27, v32
	s_mov_b32 s7, exec_lo
                                        ; implicit-def: $vgpr12
	v_cmpx_lt_u32_e64 v27, v32
	s_cbranch_execz .LBB1766_58
; %bb.57:
	v_mov_b32_e32 v28, 0
	s_delay_alu instid0(VALU_DEP_1) | instskip(NEXT) | instid1(VALU_DEP_1)
	v_lshlrev_b64 v[17:18], 1, v[27:28]
	v_add_co_u32 v17, s4, v6, v17
	s_delay_alu instid0(VALU_DEP_1)
	v_add_co_ci_u32_e64 v18, s4, v7, v18, s4
	flat_load_u16 v12, v[17:18]
.LBB1766_58:
	s_or_b32 exec_lo, exec_lo, s7
	v_cmp_ge_u32_e64 s7, v29, v50
	s_mov_b32 s10, exec_lo
                                        ; implicit-def: $vgpr28
	v_cmpx_lt_u32_e64 v29, v50
	s_cbranch_execz .LBB1766_60
; %bb.59:
	v_mov_b32_e32 v30, 0
	s_delay_alu instid0(VALU_DEP_1) | instskip(NEXT) | instid1(VALU_DEP_1)
	v_lshlrev_b64 v[17:18], 1, v[29:30]
	v_add_co_u32 v17, s4, v6, v17
	s_delay_alu instid0(VALU_DEP_1)
	v_add_co_ci_u32_e64 v18, s4, v7, v18, s4
	flat_load_u16 v28, v[17:18]
.LBB1766_60:
	s_or_b32 exec_lo, exec_lo, s10
	s_or_b32 s3, s3, s7
	s_mov_b32 s4, -1
	s_xor_b32 s3, s3, -1
	s_delay_alu instid0(SALU_CYCLE_1)
	s_and_saveexec_b32 s10, s3
	s_cbranch_execz .LBB1766_62
; %bb.61:
	s_waitcnt vmcnt(0) lgkmcnt(0)
	v_add_f16_e32 v17, 0, v28
	v_add_f16_e32 v18, 0, v12
	s_and_not1_b32 s7, s7, exec_lo
	s_delay_alu instid0(VALU_DEP_2) | instskip(NEXT) | instid1(VALU_DEP_1)
	v_cmp_lt_i16_e64 s3, -1, v17
	v_cndmask_b32_e64 v19, -1, 0xffff8000, s3
	s_delay_alu instid0(VALU_DEP_3) | instskip(NEXT) | instid1(VALU_DEP_2)
	v_cmp_lt_i16_e64 s3, -1, v18
	v_xor_b32_e32 v17, v19, v17
	s_delay_alu instid0(VALU_DEP_2) | instskip(NEXT) | instid1(VALU_DEP_1)
	v_cndmask_b32_e64 v20, -1, 0xffff8000, s3
	v_xor_b32_e32 v18, v20, v18
	s_delay_alu instid0(VALU_DEP_1) | instskip(NEXT) | instid1(VALU_DEP_1)
	v_cmp_le_u16_e64 s3, v17, v18
	s_and_b32 s3, s3, exec_lo
	s_delay_alu instid0(SALU_CYCLE_1)
	s_or_b32 s7, s7, s3
.LBB1766_62:
	s_or_b32 exec_lo, exec_lo, s10
	v_cndmask_b32_e64 v19, v29, v27, s7
	v_cndmask_b32_e64 v17, v50, v32, s7
	v_mov_b32_e32 v20, 0
	s_mov_b32 s11, 0
	s_mov_b32 s10, exec_lo
	v_add_nc_u32_e32 v23, 1, v19
	v_add_nc_u32_e32 v21, -1, v17
	v_lshlrev_b64 v[17:18], 3, v[19:20]
	s_delay_alu instid0(VALU_DEP_2) | instskip(NEXT) | instid1(VALU_DEP_1)
	v_min_u32_e32 v19, v23, v21
	v_lshlrev_b64 v[21:22], 1, v[19:20]
	s_delay_alu instid0(VALU_DEP_1) | instskip(NEXT) | instid1(VALU_DEP_1)
	v_add_co_u32 v21, s3, v6, v21
	v_add_co_ci_u32_e64 v22, s3, v7, v22, s3
	v_add_co_u32 v17, s3, v4, v17
	s_delay_alu instid0(VALU_DEP_1)
	v_add_co_ci_u32_e64 v18, s3, v5, v18, s3
	s_clause 0x1
	flat_load_u16 v19, v[21:22]
	flat_load_b64 v[17:18], v[17:18] offset:2048
	v_cndmask_b32_e64 v21, v23, v29, s7
	v_cndmask_b32_e64 v22, v27, v23, s7
	s_waitcnt vmcnt(1) lgkmcnt(1)
	v_cndmask_b32_e64 v27, v19, v28, s7
	v_cndmask_b32_e64 v29, v12, v19, s7
	v_cmpx_lt_u32_e64 v21, v50
	s_cbranch_execz .LBB1766_66
; %bb.63:
	s_mov_b32 s4, exec_lo
	v_cmpx_lt_u32_e64 v22, v32
; %bb.64:
	v_add_f16_e32 v19, 0, v27
	v_add_f16_e32 v23, 0, v29
	s_delay_alu instid0(VALU_DEP_2) | instskip(NEXT) | instid1(VALU_DEP_1)
	v_cmp_lt_i16_e64 s3, -1, v19
	v_cndmask_b32_e64 v24, -1, 0xffff8000, s3
	s_delay_alu instid0(VALU_DEP_3) | instskip(NEXT) | instid1(VALU_DEP_2)
	v_cmp_lt_i16_e64 s3, -1, v23
	v_xor_b32_e32 v19, v24, v19
	s_delay_alu instid0(VALU_DEP_2) | instskip(NEXT) | instid1(VALU_DEP_1)
	v_cndmask_b32_e64 v30, -1, 0xffff8000, s3
	v_xor_b32_e32 v23, v30, v23
	s_delay_alu instid0(VALU_DEP_1) | instskip(NEXT) | instid1(VALU_DEP_1)
	v_cmp_le_u16_e64 s3, v19, v23
	s_and_b32 s11, s3, exec_lo
; %bb.65:
	s_or_b32 exec_lo, exec_lo, s4
	s_delay_alu instid0(SALU_CYCLE_1)
	s_or_not1_b32 s4, s11, exec_lo
.LBB1766_66:
	s_or_b32 exec_lo, exec_lo, s10
	v_cndmask_b32_e64 v19, v21, v22, s4
	v_cndmask_b32_e64 v23, v50, v32, s4
	s_mov_b32 s15, 0
	s_mov_b32 s10, -1
	s_mov_b32 s11, -1
	v_add_nc_u32_e32 v30, 1, v19
	v_add_nc_u32_e32 v39, -1, v23
	v_lshlrev_b64 v[23:24], 3, v[19:20]
	s_mov_b32 s14, exec_lo
	s_delay_alu instid0(VALU_DEP_3) | instskip(NEXT) | instid1(VALU_DEP_3)
	v_cndmask_b32_e64 v48, v30, v21, s4
	v_min_u32_e32 v19, v30, v39
	v_cndmask_b32_e64 v49, v22, v30, s4
	s_delay_alu instid0(VALU_DEP_2) | instskip(NEXT) | instid1(VALU_DEP_1)
	v_lshlrev_b64 v[19:20], 1, v[19:20]
	v_add_co_u32 v19, s3, v6, v19
	s_delay_alu instid0(VALU_DEP_1) | instskip(SKIP_2) | instid1(VALU_DEP_1)
	v_add_co_ci_u32_e64 v20, s3, v7, v20, s3
	flat_load_u16 v39, v[19:20]
	v_add_co_u32 v19, s3, v4, v23
	v_add_co_ci_u32_e64 v20, s3, v5, v24, s3
	flat_load_b64 v[19:20], v[19:20] offset:2048
	s_waitcnt vmcnt(1) lgkmcnt(1)
	v_cndmask_b32_e64 v30, v39, v27, s4
	v_cndmask_b32_e64 v39, v29, v39, s4
	v_cmpx_lt_u32_e64 v48, v50
	s_cbranch_execz .LBB1766_70
; %bb.67:
	s_mov_b32 s11, exec_lo
	v_cmpx_lt_u32_e64 v49, v32
; %bb.68:
	v_add_f16_e32 v21, 0, v30
	v_add_f16_e32 v22, 0, v39
	s_delay_alu instid0(VALU_DEP_2) | instskip(NEXT) | instid1(VALU_DEP_1)
	v_cmp_lt_i16_e64 s3, -1, v21
	v_cndmask_b32_e64 v23, -1, 0xffff8000, s3
	s_delay_alu instid0(VALU_DEP_3) | instskip(NEXT) | instid1(VALU_DEP_2)
	v_cmp_lt_i16_e64 s3, -1, v22
	v_xor_b32_e32 v21, v23, v21
	s_delay_alu instid0(VALU_DEP_2) | instskip(NEXT) | instid1(VALU_DEP_1)
	v_cndmask_b32_e64 v24, -1, 0xffff8000, s3
	v_xor_b32_e32 v22, v24, v22
	s_delay_alu instid0(VALU_DEP_1) | instskip(NEXT) | instid1(VALU_DEP_1)
	v_cmp_le_u16_e64 s3, v21, v22
	s_and_b32 s15, s3, exec_lo
; %bb.69:
	s_or_b32 exec_lo, exec_lo, s11
	s_delay_alu instid0(SALU_CYCLE_1)
	s_or_not1_b32 s11, s15, exec_lo
.LBB1766_70:
	s_or_b32 exec_lo, exec_lo, s14
	v_cndmask_b32_e64 v23, v48, v49, s11
	v_cndmask_b32_e64 v21, v50, v32, s11
	v_mov_b32_e32 v24, 0
	s_mov_b32 s15, 0
	s_mov_b32 s14, exec_lo
	v_add_nc_u32_e32 v53, 1, v23
	v_add_nc_u32_e32 v51, -1, v21
	v_lshlrev_b64 v[21:22], 3, v[23:24]
	s_delay_alu instid0(VALU_DEP_2) | instskip(NEXT) | instid1(VALU_DEP_1)
	v_min_u32_e32 v23, v53, v51
	v_lshlrev_b64 v[51:52], 1, v[23:24]
	v_cndmask_b32_e64 v23, v53, v48, s11
	v_cndmask_b32_e64 v48, v49, v53, s11
	s_delay_alu instid0(VALU_DEP_3) | instskip(NEXT) | instid1(VALU_DEP_1)
	v_add_co_u32 v51, s3, v6, v51
	v_add_co_ci_u32_e64 v52, s3, v7, v52, s3
	v_add_co_u32 v21, s3, v4, v21
	s_delay_alu instid0(VALU_DEP_1)
	v_add_co_ci_u32_e64 v22, s3, v5, v22, s3
	s_clause 0x1
	flat_load_u16 v52, v[51:52]
	flat_load_b64 v[21:22], v[21:22] offset:2048
	s_waitcnt vmcnt(1) lgkmcnt(1)
	v_cndmask_b32_e64 v51, v52, v30, s11
	v_cndmask_b32_e64 v52, v39, v52, s11
	v_cmpx_lt_u32_e64 v23, v50
	s_cbranch_execz .LBB1766_74
; %bb.71:
	s_mov_b32 s10, exec_lo
	v_cmpx_lt_u32_e64 v48, v32
; %bb.72:
	v_add_f16_e32 v32, 0, v51
	v_add_f16_e32 v49, 0, v52
	s_delay_alu instid0(VALU_DEP_2) | instskip(NEXT) | instid1(VALU_DEP_1)
	v_cmp_lt_i16_e64 s3, -1, v32
	v_cndmask_b32_e64 v50, -1, 0xffff8000, s3
	s_delay_alu instid0(VALU_DEP_3) | instskip(NEXT) | instid1(VALU_DEP_2)
	v_cmp_lt_i16_e64 s3, -1, v49
	v_xor_b32_e32 v32, v50, v32
	s_delay_alu instid0(VALU_DEP_2) | instskip(NEXT) | instid1(VALU_DEP_1)
	v_cndmask_b32_e64 v53, -1, 0xffff8000, s3
	v_xor_b32_e32 v49, v53, v49
	s_delay_alu instid0(VALU_DEP_1) | instskip(NEXT) | instid1(VALU_DEP_1)
	v_cmp_le_u16_e64 s3, v32, v49
	s_and_b32 s15, s3, exec_lo
; %bb.73:
	s_or_b32 exec_lo, exec_lo, s10
	s_delay_alu instid0(SALU_CYCLE_1)
	s_or_not1_b32 s10, s15, exec_lo
.LBB1766_74:
	s_or_b32 exec_lo, exec_lo, s14
	v_cndmask_b32_e64 v23, v23, v48, s10
	v_cndmask_b32_e64 v49, v30, v39, s11
	;; [unrolled: 1-line block ×5, first 2 shown]
	v_lshlrev_b64 v[23:24], 3, v[23:24]
	s_delay_alu instid0(VALU_DEP_1) | instskip(NEXT) | instid1(VALU_DEP_1)
	v_add_co_u32 v23, s3, v4, v23
	v_add_co_ci_u32_e64 v24, s3, v5, v24, s3
	flat_load_b64 v[23:24], v[23:24] offset:2048
.LBB1766_75:
	s_or_b32 exec_lo, exec_lo, s5
	v_and_b32_e32 v29, 0x60, v37
	v_min_u32_e32 v30, v31, v35
	v_perm_b32 v51, v12, v49, 0x5040100
	v_perm_b32 v50, v39, v48, 0x5040100
	s_mov_b32 s4, exec_lo
	v_or_b32_e32 v27, 16, v29
	; wave barrier
	s_clause 0x1
	flat_store_b128 v[15:16], v[17:20] offset:2048
	flat_store_b64 v[10:11], v[50:51]
	s_waitcnt vmcnt(0) lgkmcnt(2)
	flat_store_b128 v[25:26], v[21:24] offset:16
	v_min_u32_e32 v27, v31, v27
	; wave barrier
	s_delay_alu instid0(VALU_DEP_1) | instskip(NEXT) | instid1(VALU_DEP_1)
	v_add_nc_u32_e32 v28, 16, v27
	v_min_u32_e32 v28, v31, v28
	v_sub_nc_u32_e32 v31, v27, v29
	s_delay_alu instid0(VALU_DEP_2) | instskip(NEXT) | instid1(VALU_DEP_2)
	v_sub_nc_u32_e32 v37, v28, v27
	v_min_u32_e32 v32, v30, v31
	s_delay_alu instid0(VALU_DEP_2) | instskip(NEXT) | instid1(VALU_DEP_1)
	v_sub_nc_u32_e64 v31, v30, v37 clamp
	v_cmpx_lt_u32_e64 v31, v32
	s_cbranch_execz .LBB1766_79
; %bb.76:
	v_lshlrev_b32_e32 v10, 1, v29
	v_lshlrev_b32_e32 v11, 1, v27
	s_mov_b32 s5, 0
	s_delay_alu instid0(VALU_DEP_2) | instskip(NEXT) | instid1(VALU_DEP_1)
	v_add_co_u32 v15, s3, v6, v10
	v_add_co_ci_u32_e64 v16, s3, 0, v7, s3
	s_delay_alu instid0(VALU_DEP_3)
	v_add_co_u32 v25, s3, v6, v11
	v_mov_b32_e32 v11, 0
	v_add_co_ci_u32_e64 v26, s3, 0, v7, s3
	s_set_inst_prefetch_distance 0x1
	.p2align	6
.LBB1766_77:                            ; =>This Inner Loop Header: Depth=1
	v_add_nc_u32_e32 v10, v32, v31
	s_delay_alu instid0(VALU_DEP_1) | instskip(SKIP_1) | instid1(VALU_DEP_2)
	v_lshrrev_b32_e32 v37, 1, v10
	v_and_b32_e32 v50, -2, v10
	v_xad_u32 v10, v37, -1, v30
	s_delay_alu instid0(VALU_DEP_2) | instskip(NEXT) | instid1(VALU_DEP_1)
	v_add_co_u32 v50, s3, v15, v50
	v_add_co_ci_u32_e64 v51, s3, 0, v16, s3
	s_delay_alu instid0(VALU_DEP_3) | instskip(NEXT) | instid1(VALU_DEP_1)
	v_lshlrev_b64 v[52:53], 1, v[10:11]
	v_add_co_u32 v52, s3, v25, v52
	s_delay_alu instid0(VALU_DEP_1)
	v_add_co_ci_u32_e64 v53, s3, v26, v53, s3
	s_clause 0x1
	flat_load_u16 v10, v[50:51]
	flat_load_u16 v50, v[52:53]
	s_waitcnt vmcnt(1) lgkmcnt(1)
	v_add_f16_e32 v10, 0, v10
	s_waitcnt vmcnt(0) lgkmcnt(0)
	v_add_f16_e32 v50, 0, v50
	s_delay_alu instid0(VALU_DEP_2) | instskip(NEXT) | instid1(VALU_DEP_1)
	v_cmp_lt_i16_e64 s3, -1, v10
	v_cndmask_b32_e64 v51, -1, 0xffff8000, s3
	s_delay_alu instid0(VALU_DEP_3) | instskip(NEXT) | instid1(VALU_DEP_2)
	v_cmp_lt_i16_e64 s3, -1, v50
	v_xor_b32_e32 v10, v51, v10
	s_delay_alu instid0(VALU_DEP_2) | instskip(SKIP_1) | instid1(VALU_DEP_2)
	v_cndmask_b32_e64 v52, -1, 0xffff8000, s3
	v_add_nc_u32_e32 v51, 1, v37
	v_xor_b32_e32 v50, v52, v50
	s_delay_alu instid0(VALU_DEP_1) | instskip(NEXT) | instid1(VALU_DEP_1)
	v_cmp_gt_u16_e64 s3, v50, v10
	v_cndmask_b32_e64 v32, v32, v37, s3
	s_delay_alu instid0(VALU_DEP_4) | instskip(NEXT) | instid1(VALU_DEP_1)
	v_cndmask_b32_e64 v31, v51, v31, s3
	v_cmp_ge_u32_e64 s3, v31, v32
	s_delay_alu instid0(VALU_DEP_1) | instskip(NEXT) | instid1(SALU_CYCLE_1)
	s_or_b32 s5, s3, s5
	s_and_not1_b32 exec_lo, exec_lo, s5
	s_cbranch_execnz .LBB1766_77
; %bb.78:
	s_set_inst_prefetch_distance 0x2
	s_or_b32 exec_lo, exec_lo, s5
.LBB1766_79:
	s_delay_alu instid0(SALU_CYCLE_1) | instskip(SKIP_2) | instid1(VALU_DEP_2)
	s_or_b32 exec_lo, exec_lo, s4
	v_add_nc_u32_e32 v11, v27, v30
	v_add_nc_u32_e32 v10, v31, v29
	v_sub_nc_u32_e32 v15, v11, v31
	s_delay_alu instid0(VALU_DEP_2) | instskip(NEXT) | instid1(VALU_DEP_2)
	v_cmp_le_u32_e64 s3, v10, v27
	v_cmp_le_u32_e64 s4, v15, v28
	s_delay_alu instid0(VALU_DEP_1) | instskip(NEXT) | instid1(SALU_CYCLE_1)
	s_or_b32 s3, s3, s4
	s_and_saveexec_b32 s5, s3
	s_cbranch_execz .LBB1766_99
; %bb.80:
	v_cmp_ge_u32_e64 s3, v10, v27
	s_mov_b32 s7, exec_lo
                                        ; implicit-def: $vgpr25
	v_cmpx_lt_u32_e64 v10, v27
	s_cbranch_execz .LBB1766_82
; %bb.81:
	v_mov_b32_e32 v11, 0
	s_delay_alu instid0(VALU_DEP_1) | instskip(NEXT) | instid1(VALU_DEP_1)
	v_lshlrev_b64 v[11:12], 1, v[10:11]
	v_add_co_u32 v11, s4, v6, v11
	s_delay_alu instid0(VALU_DEP_1)
	v_add_co_ci_u32_e64 v12, s4, v7, v12, s4
	flat_load_u16 v25, v[11:12]
.LBB1766_82:
	s_or_b32 exec_lo, exec_lo, s7
	v_cmp_ge_u32_e64 s7, v15, v28
	s_mov_b32 s10, exec_lo
                                        ; implicit-def: $vgpr16
	v_cmpx_lt_u32_e64 v15, v28
	s_cbranch_execz .LBB1766_84
; %bb.83:
	v_mov_b32_e32 v16, 0
	s_delay_alu instid0(VALU_DEP_1) | instskip(NEXT) | instid1(VALU_DEP_1)
	v_lshlrev_b64 v[11:12], 1, v[15:16]
	v_add_co_u32 v11, s4, v6, v11
	s_delay_alu instid0(VALU_DEP_1)
	v_add_co_ci_u32_e64 v12, s4, v7, v12, s4
	flat_load_u16 v16, v[11:12]
.LBB1766_84:
	s_or_b32 exec_lo, exec_lo, s10
	s_or_b32 s3, s3, s7
	s_mov_b32 s4, -1
	s_xor_b32 s3, s3, -1
	s_delay_alu instid0(SALU_CYCLE_1)
	s_and_saveexec_b32 s10, s3
	s_cbranch_execz .LBB1766_86
; %bb.85:
	s_waitcnt vmcnt(0) lgkmcnt(0)
	v_add_f16_e32 v11, 0, v16
	v_add_f16_e32 v12, 0, v25
	s_and_not1_b32 s7, s7, exec_lo
	s_delay_alu instid0(VALU_DEP_2) | instskip(NEXT) | instid1(VALU_DEP_1)
	v_cmp_lt_i16_e64 s3, -1, v11
	v_cndmask_b32_e64 v17, -1, 0xffff8000, s3
	s_delay_alu instid0(VALU_DEP_3) | instskip(NEXT) | instid1(VALU_DEP_2)
	v_cmp_lt_i16_e64 s3, -1, v12
	v_xor_b32_e32 v11, v17, v11
	s_delay_alu instid0(VALU_DEP_2) | instskip(NEXT) | instid1(VALU_DEP_1)
	v_cndmask_b32_e64 v18, -1, 0xffff8000, s3
	v_xor_b32_e32 v12, v18, v12
	s_delay_alu instid0(VALU_DEP_1) | instskip(NEXT) | instid1(VALU_DEP_1)
	v_cmp_le_u16_e64 s3, v11, v12
	s_and_b32 s3, s3, exec_lo
	s_delay_alu instid0(SALU_CYCLE_1)
	s_or_b32 s7, s7, s3
.LBB1766_86:
	s_or_b32 exec_lo, exec_lo, s10
	v_cndmask_b32_e64 v11, v15, v10, s7
	v_cndmask_b32_e64 v17, v28, v27, s7
	v_mov_b32_e32 v12, 0
	s_mov_b32 s11, 0
	s_mov_b32 s10, exec_lo
	v_add_nc_u32_e32 v22, 1, v11
	v_add_nc_u32_e32 v19, -1, v17
	v_lshlrev_b64 v[17:18], 3, v[11:12]
	s_delay_alu instid0(VALU_DEP_3) | instskip(NEXT) | instid1(VALU_DEP_3)
	v_cndmask_b32_e64 v21, v22, v15, s7
	v_min_u32_e32 v11, v22, v19
	v_cndmask_b32_e64 v10, v10, v22, s7
	s_delay_alu instid0(VALU_DEP_2) | instskip(NEXT) | instid1(VALU_DEP_1)
	v_lshlrev_b64 v[19:20], 1, v[11:12]
	v_add_co_u32 v19, s3, v6, v19
	s_delay_alu instid0(VALU_DEP_1) | instskip(SKIP_1) | instid1(VALU_DEP_1)
	v_add_co_ci_u32_e64 v20, s3, v7, v20, s3
	v_add_co_u32 v17, s3, v4, v17
	v_add_co_ci_u32_e64 v18, s3, v5, v18, s3
	s_clause 0x1
	flat_load_u16 v11, v[19:20]
	flat_load_b64 v[17:18], v[17:18] offset:2048
	s_waitcnt vmcnt(1) lgkmcnt(1)
	v_cndmask_b32_e64 v15, v11, v16, s7
	v_cndmask_b32_e64 v26, v25, v11, s7
	v_cmpx_lt_u32_e64 v21, v28
	s_cbranch_execz .LBB1766_90
; %bb.87:
	s_mov_b32 s4, exec_lo
	v_cmpx_lt_u32_e64 v10, v27
; %bb.88:
	v_add_f16_e32 v11, 0, v15
	v_add_f16_e32 v19, 0, v26
	s_delay_alu instid0(VALU_DEP_2) | instskip(NEXT) | instid1(VALU_DEP_1)
	v_cmp_lt_i16_e64 s3, -1, v11
	v_cndmask_b32_e64 v20, -1, 0xffff8000, s3
	s_delay_alu instid0(VALU_DEP_3) | instskip(NEXT) | instid1(VALU_DEP_2)
	v_cmp_lt_i16_e64 s3, -1, v19
	v_xor_b32_e32 v11, v20, v11
	s_delay_alu instid0(VALU_DEP_2) | instskip(NEXT) | instid1(VALU_DEP_1)
	v_cndmask_b32_e64 v22, -1, 0xffff8000, s3
	v_xor_b32_e32 v19, v22, v19
	s_delay_alu instid0(VALU_DEP_1) | instskip(NEXT) | instid1(VALU_DEP_1)
	v_cmp_le_u16_e64 s3, v11, v19
	s_and_b32 s11, s3, exec_lo
; %bb.89:
	s_or_b32 exec_lo, exec_lo, s4
	s_delay_alu instid0(SALU_CYCLE_1)
	s_or_not1_b32 s4, s11, exec_lo
.LBB1766_90:
	s_or_b32 exec_lo, exec_lo, s10
	v_cndmask_b32_e64 v11, v21, v10, s4
	v_cndmask_b32_e64 v19, v28, v27, s4
	s_mov_b32 s15, 0
	s_mov_b32 s10, -1
	s_mov_b32 s11, -1
	v_add_nc_u32_e32 v22, 1, v11
	v_add_nc_u32_e32 v23, -1, v19
	v_lshlrev_b64 v[19:20], 3, v[11:12]
	s_mov_b32 s14, exec_lo
	s_delay_alu instid0(VALU_DEP_3) | instskip(NEXT) | instid1(VALU_DEP_3)
	v_cndmask_b32_e64 v24, v10, v22, s4
	v_min_u32_e32 v11, v22, v23
	v_cndmask_b32_e64 v23, v22, v21, s4
	s_delay_alu instid0(VALU_DEP_2) | instskip(NEXT) | instid1(VALU_DEP_1)
	v_lshlrev_b64 v[11:12], 1, v[11:12]
	v_add_co_u32 v11, s3, v6, v11
	s_delay_alu instid0(VALU_DEP_1) | instskip(SKIP_2) | instid1(VALU_DEP_1)
	v_add_co_ci_u32_e64 v12, s3, v7, v12, s3
	flat_load_u16 v29, v[11:12]
	v_add_co_u32 v11, s3, v4, v19
	v_add_co_ci_u32_e64 v12, s3, v5, v20, s3
	flat_load_b64 v[19:20], v[11:12] offset:2048
	s_waitcnt vmcnt(1) lgkmcnt(1)
	v_cndmask_b32_e64 v12, v29, v15, s4
	v_cndmask_b32_e64 v29, v26, v29, s4
	v_cmpx_lt_u32_e64 v23, v28
	s_cbranch_execz .LBB1766_94
; %bb.91:
	s_mov_b32 s11, exec_lo
	v_cmpx_lt_u32_e64 v24, v27
; %bb.92:
	v_add_f16_e32 v10, 0, v12
	v_add_f16_e32 v11, 0, v29
	s_delay_alu instid0(VALU_DEP_2) | instskip(NEXT) | instid1(VALU_DEP_1)
	v_cmp_lt_i16_e64 s3, -1, v10
	v_cndmask_b32_e64 v21, -1, 0xffff8000, s3
	s_delay_alu instid0(VALU_DEP_3) | instskip(NEXT) | instid1(VALU_DEP_2)
	v_cmp_lt_i16_e64 s3, -1, v11
	v_xor_b32_e32 v10, v21, v10
	s_delay_alu instid0(VALU_DEP_2) | instskip(NEXT) | instid1(VALU_DEP_1)
	v_cndmask_b32_e64 v22, -1, 0xffff8000, s3
	v_xor_b32_e32 v11, v22, v11
	s_delay_alu instid0(VALU_DEP_1) | instskip(NEXT) | instid1(VALU_DEP_1)
	v_cmp_le_u16_e64 s3, v10, v11
	s_and_b32 s15, s3, exec_lo
; %bb.93:
	s_or_b32 exec_lo, exec_lo, s11
	s_delay_alu instid0(SALU_CYCLE_1)
	s_or_not1_b32 s11, s15, exec_lo
.LBB1766_94:
	s_or_b32 exec_lo, exec_lo, s14
	v_cndmask_b32_e64 v10, v23, v24, s11
	v_cndmask_b32_e64 v21, v28, v27, s11
	v_mov_b32_e32 v11, 0
	s_mov_b32 s15, 0
	s_mov_b32 s14, exec_lo
	v_add_nc_u32_e32 v32, 1, v10
	v_add_nc_u32_e32 v30, -1, v21
	v_lshlrev_b64 v[21:22], 3, v[10:11]
	s_delay_alu instid0(VALU_DEP_2) | instskip(NEXT) | instid1(VALU_DEP_1)
	v_min_u32_e32 v10, v32, v30
	v_lshlrev_b64 v[30:31], 1, v[10:11]
	v_cndmask_b32_e64 v10, v32, v23, s11
	v_cndmask_b32_e64 v23, v24, v32, s11
	s_delay_alu instid0(VALU_DEP_3) | instskip(NEXT) | instid1(VALU_DEP_1)
	v_add_co_u32 v6, s3, v6, v30
	v_add_co_ci_u32_e64 v7, s3, v7, v31, s3
	flat_load_u16 v30, v[6:7]
	v_add_co_u32 v6, s3, v4, v21
	s_delay_alu instid0(VALU_DEP_1)
	v_add_co_ci_u32_e64 v7, s3, v5, v22, s3
	flat_load_b64 v[21:22], v[6:7] offset:2048
	s_waitcnt vmcnt(1) lgkmcnt(1)
	v_cndmask_b32_e64 v6, v30, v12, s11
	v_cndmask_b32_e64 v7, v29, v30, s11
	v_cmpx_lt_u32_e64 v10, v28
	s_cbranch_execz .LBB1766_98
; %bb.95:
	s_mov_b32 s10, exec_lo
	v_cmpx_lt_u32_e64 v23, v27
; %bb.96:
	v_add_f16_e32 v24, 0, v6
	v_add_f16_e32 v27, 0, v7
	s_delay_alu instid0(VALU_DEP_2) | instskip(NEXT) | instid1(VALU_DEP_1)
	v_cmp_lt_i16_e64 s3, -1, v24
	v_cndmask_b32_e64 v28, -1, 0xffff8000, s3
	s_delay_alu instid0(VALU_DEP_3) | instskip(NEXT) | instid1(VALU_DEP_2)
	v_cmp_lt_i16_e64 s3, -1, v27
	v_xor_b32_e32 v24, v28, v24
	s_delay_alu instid0(VALU_DEP_2) | instskip(NEXT) | instid1(VALU_DEP_1)
	v_cndmask_b32_e64 v30, -1, 0xffff8000, s3
	v_xor_b32_e32 v27, v30, v27
	s_delay_alu instid0(VALU_DEP_1) | instskip(NEXT) | instid1(VALU_DEP_1)
	v_cmp_le_u16_e64 s3, v24, v27
	s_and_b32 s15, s3, exec_lo
; %bb.97:
	s_or_b32 exec_lo, exec_lo, s10
	s_delay_alu instid0(SALU_CYCLE_1)
	s_or_not1_b32 s10, s15, exec_lo
.LBB1766_98:
	s_or_b32 exec_lo, exec_lo, s14
	v_cndmask_b32_e64 v10, v10, v23, s10
	v_cndmask_b32_e64 v49, v12, v29, s11
	;; [unrolled: 1-line block ×5, first 2 shown]
	v_lshlrev_b64 v[10:11], 3, v[10:11]
	s_delay_alu instid0(VALU_DEP_1) | instskip(NEXT) | instid1(VALU_DEP_1)
	v_add_co_u32 v4, s3, v4, v10
	v_add_co_ci_u32_e64 v5, s3, v5, v11, s3
	flat_load_b64 v[23:24], v[4:5] offset:2048
.LBB1766_99:
	s_or_b32 exec_lo, exec_lo, s5
	v_add_co_u32 v2, s3, v2, v33
	s_delay_alu instid0(VALU_DEP_1) | instskip(NEXT) | instid1(VALU_DEP_2)
	v_add_co_ci_u32_e64 v3, s3, v3, v34, s3
	v_add_co_u32 v2, s3, v2, v36
	s_delay_alu instid0(VALU_DEP_1)
	v_add_co_ci_u32_e64 v3, s3, 0, v3, s3
	; wave barrier
	s_waitcnt vmcnt(0) lgkmcnt(0)
	s_waitcnt_vscnt null, 0x0
	s_barrier
	buffer_gl0_inv
	; wave barrier
	s_and_saveexec_b32 s3, vcc_lo
	s_cbranch_execnz .LBB1766_218
; %bb.100:
	s_or_b32 exec_lo, exec_lo, s3
	s_and_saveexec_b32 s3, s0
	s_cbranch_execnz .LBB1766_219
.LBB1766_101:
	s_or_b32 exec_lo, exec_lo, s3
	s_and_saveexec_b32 s3, s1
	s_cbranch_execnz .LBB1766_220
.LBB1766_102:
	s_or_b32 exec_lo, exec_lo, s3
	s_and_saveexec_b32 s3, s2
	s_cbranch_execz .LBB1766_104
.LBB1766_103:
	flat_store_b16 v[2:3], v12 offset:6
.LBB1766_104:
	s_or_b32 exec_lo, exec_lo, s3
	v_add_co_u32 v0, s3, v8, v0
	s_delay_alu instid0(VALU_DEP_1) | instskip(NEXT) | instid1(VALU_DEP_2)
	v_add_co_ci_u32_e64 v1, s3, v9, v1, s3
	v_add_co_u32 v0, s3, v0, v38
	s_delay_alu instid0(VALU_DEP_1)
	v_add_co_ci_u32_e64 v1, s3, 0, v1, s3
	; wave barrier
	s_and_saveexec_b32 s3, vcc_lo
	s_cbranch_execnz .LBB1766_221
; %bb.105:
	s_or_b32 exec_lo, exec_lo, s3
	s_and_saveexec_b32 s3, s0
	s_cbranch_execnz .LBB1766_222
.LBB1766_106:
	s_or_b32 exec_lo, exec_lo, s3
	s_and_saveexec_b32 s0, s1
	s_cbranch_execz .LBB1766_108
.LBB1766_107:
	flat_store_b64 v[0:1], v[21:22] offset:16
.LBB1766_108:
	s_or_b32 exec_lo, exec_lo, s0
	s_delay_alu instid0(SALU_CYCLE_1)
	s_and_b32 s5, s2, exec_lo
                                        ; implicit-def: $vgpr25
                                        ; implicit-def: $vgpr37
                                        ; implicit-def: $vgpr0_vgpr1
                                        ; implicit-def: $vgpr4
                                        ; implicit-def: $vgpr5
                                        ; implicit-def: $vgpr6
                                        ; implicit-def: $vgpr7
                                        ; implicit-def: $vgpr10
                                        ; implicit-def: $vgpr15
                                        ; implicit-def: $vgpr16
                                        ; implicit-def: $vgpr33_vgpr34
                                        ; implicit-def: $vgpr36
                                        ; implicit-def: $vgpr31
	s_and_not1_saveexec_b32 s6, s6
	s_cbranch_execz .LBB1766_2
.LBB1766_109:
	v_dual_mov_b32 v39, 0xffff :: v_dual_mov_b32 v48, 0xffff
	s_and_saveexec_b32 s0, vcc_lo
	s_cbranch_execz .LBB1766_111
; %bb.110:
	flat_load_u16 v48, v[0:1]
.LBB1766_111:
	s_or_b32 exec_lo, exec_lo, s0
	v_or_b32_e32 v2, 1, v35
	s_delay_alu instid0(VALU_DEP_1) | instskip(NEXT) | instid1(VALU_DEP_1)
	v_cmp_lt_u32_e64 s1, v2, v25
	s_and_saveexec_b32 s0, s1
	s_cbranch_execz .LBB1766_113
; %bb.112:
	flat_load_u16 v39, v[0:1] offset:2
.LBB1766_113:
	s_or_b32 exec_lo, exec_lo, s0
	v_or_b32_e32 v2, 2, v35
	v_dual_mov_b32 v38, 0xffff :: v_dual_mov_b32 v49, 0xffff
	s_delay_alu instid0(VALU_DEP_2) | instskip(NEXT) | instid1(VALU_DEP_1)
	v_cmp_lt_u32_e64 s2, v2, v25
	s_and_saveexec_b32 s0, s2
	s_cbranch_execz .LBB1766_115
; %bb.114:
	flat_load_u16 v49, v[0:1] offset:4
.LBB1766_115:
	s_or_b32 exec_lo, exec_lo, s0
	v_or_b32_e32 v2, 3, v35
	s_delay_alu instid0(VALU_DEP_1) | instskip(NEXT) | instid1(VALU_DEP_1)
	v_cmp_lt_u32_e64 s0, v2, v25
	s_and_saveexec_b32 s3, s0
	s_cbranch_execz .LBB1766_117
; %bb.116:
	flat_load_u16 v38, v[0:1] offset:6
.LBB1766_117:
	s_or_b32 exec_lo, exec_lo, s3
	v_lshlrev_b64 v[0:1], 3, v[13:14]
	v_lshlrev_b32_e32 v12, 3, v35
	; wave barrier
                                        ; implicit-def: $vgpr17_vgpr18_vgpr19_vgpr20_vgpr21_vgpr22_vgpr23_vgpr24
	s_delay_alu instid0(VALU_DEP_2) | instskip(NEXT) | instid1(VALU_DEP_1)
	v_add_co_u32 v2, s3, v6, v0
	v_add_co_ci_u32_e64 v3, s3, v7, v1, s3
	s_delay_alu instid0(VALU_DEP_2) | instskip(NEXT) | instid1(VALU_DEP_1)
	v_add_co_u32 v2, s3, v2, v12
	v_add_co_ci_u32_e64 v3, s3, 0, v3, s3
	s_and_saveexec_b32 s3, vcc_lo
	s_cbranch_execnz .LBB1766_223
; %bb.118:
	s_or_b32 exec_lo, exec_lo, s3
	s_and_saveexec_b32 s3, s1
	s_cbranch_execnz .LBB1766_224
.LBB1766_119:
	s_or_b32 exec_lo, exec_lo, s3
	s_and_saveexec_b32 s3, s2
	s_cbranch_execnz .LBB1766_225
.LBB1766_120:
	s_or_b32 exec_lo, exec_lo, s3
	s_and_saveexec_b32 s3, s0
	s_cbranch_execz .LBB1766_122
.LBB1766_121:
	flat_load_b64 v[23:24], v[2:3] offset:24
.LBB1766_122:
	s_or_b32 exec_lo, exec_lo, s3
	; wave barrier
	s_load_b64 s[10:11], s[8:9], 0x0
	v_mov_b32_e32 v2, 0
	v_bfe_u32 v6, v31, 10, 10
	v_bfe_u32 v7, v31, 20, 10
	s_mov_b32 s7, exec_lo
	s_waitcnt lgkmcnt(0)
	s_cmp_lt_u32 s13, s11
	s_cselect_b32 s3, 14, 20
	s_delay_alu instid0(SALU_CYCLE_1) | instskip(SKIP_4) | instid1(SALU_CYCLE_1)
	s_add_u32 s14, s8, s3
	s_addc_u32 s15, s9, 0
	s_cmp_lt_u32 s12, s10
	global_load_u16 v3, v2, s[14:15]
	s_cselect_b32 s3, 12, 18
	s_add_u32 s8, s8, s3
	s_addc_u32 s9, s9, 0
	global_load_u16 v2, v2, s[8:9]
	s_waitcnt vmcnt(1)
	v_mad_u32_u24 v3, v7, v3, v6
	s_waitcnt vmcnt(0)
	s_delay_alu instid0(VALU_DEP_1) | instskip(SKIP_1) | instid1(VALU_DEP_1)
	v_mul_lo_u32 v2, v3, v2
	v_and_b32_e32 v3, 0x3ff, v31
	v_add_lshl_u32 v2, v2, v3, 2
	s_delay_alu instid0(VALU_DEP_1)
	v_cmpx_gt_u32_e32 0x400, v2
	s_cbranch_execz .LBB1766_132
; %bb.123:
	v_add_f16_e32 v3, 0, v39
	v_add_f16_e32 v6, 0, v48
	;; [unrolled: 1-line block ×4, first 2 shown]
	s_mov_b32 s8, exec_lo
	v_cmp_lt_i16_e64 s3, -1, v3
	v_dual_mov_b32 v30, v22 :: v_dual_mov_b32 v29, v21
	v_dual_mov_b32 v32, v24 :: v_dual_mov_b32 v31, v23
	s_delay_alu instid0(VALU_DEP_3) | instskip(SKIP_1) | instid1(VALU_DEP_2)
	v_cndmask_b32_e64 v9, -1, 0xffff8000, s3
	v_cmp_lt_i16_e64 s3, -1, v6
	v_xor_b32_e32 v3, v9, v3
	s_delay_alu instid0(VALU_DEP_2) | instskip(SKIP_1) | instid1(VALU_DEP_2)
	v_cndmask_b32_e64 v25, -1, 0xffff8000, s3
	v_cmp_lt_i16_e64 s3, -1, v8
	v_xor_b32_e32 v6, v25, v6
	s_delay_alu instid0(VALU_DEP_2) | instskip(SKIP_1) | instid1(VALU_DEP_2)
	v_cndmask_b32_e64 v9, -1, 0xffff8000, s3
	v_cmp_lt_i16_e64 s3, -1, v7
	v_xor_b32_e32 v9, v9, v8
	s_delay_alu instid0(VALU_DEP_2) | instskip(SKIP_2) | instid1(VALU_DEP_3)
	v_cndmask_b32_e64 v25, -1, 0xffff8000, s3
	v_cmp_gt_u16_e64 s3, v3, v6
	v_mov_b32_e32 v3, v49
	v_xor_b32_e32 v6, v25, v7
	s_delay_alu instid0(VALU_DEP_3)
	v_cndmask_b32_e64 v28, v20, v18, s3
	v_cndmask_b32_e64 v27, v19, v17, s3
	;; [unrolled: 1-line block ×4, first 2 shown]
	v_cmpx_gt_u16_e64 v9, v6
; %bb.124:
	v_dual_mov_b32 v7, v8 :: v_dual_mov_b32 v6, v9
	v_dual_mov_b32 v3, v38 :: v_dual_mov_b32 v38, v49
	;; [unrolled: 1-line block ×4, first 2 shown]
; %bb.125:
	s_or_b32 exec_lo, exec_lo, s8
	v_cndmask_b32_e64 v9, v39, v48, s3
	s_delay_alu instid0(VALU_DEP_1) | instskip(NEXT) | instid1(VALU_DEP_1)
	v_add_f16_e32 v8, 0, v9
	v_cmp_lt_i16_e64 s4, -1, v8
	s_delay_alu instid0(VALU_DEP_1) | instskip(NEXT) | instid1(VALU_DEP_1)
	v_cndmask_b32_e64 v17, -1, 0xffff8000, s4
	v_xor_b32_e32 v18, v17, v8
	v_mov_b32_e32 v17, v7
	s_delay_alu instid0(VALU_DEP_2) | instskip(SKIP_1) | instid1(VALU_DEP_2)
	v_cmp_gt_u16_e64 s4, v6, v18
	v_mov_b32_e32 v6, v9
	s_and_saveexec_b32 s8, s4
	s_delay_alu instid0(SALU_CYCLE_1)
	s_xor_b32 s4, exec_lo, s8
	s_cbranch_execz .LBB1766_127
; %bb.126:
	v_dual_mov_b32 v17, v25 :: v_dual_mov_b32 v18, v26
	v_dual_mov_b32 v23, v31 :: v_dual_mov_b32 v24, v32
	;; [unrolled: 1-line block ×7, first 2 shown]
	s_delay_alu instid0(VALU_DEP_3) | instskip(NEXT) | instid1(VALU_DEP_3)
	v_dual_mov_b32 v32, v24 :: v_dual_mov_b32 v31, v23
	v_dual_mov_b32 v28, v20 :: v_dual_mov_b32 v27, v19
	s_delay_alu instid0(VALU_DEP_3)
	v_dual_mov_b32 v30, v22 :: v_dual_mov_b32 v29, v21
	v_dual_mov_b32 v26, v18 :: v_dual_mov_b32 v25, v17
	;; [unrolled: 1-line block ×4, first 2 shown]
.LBB1766_127:
	s_or_b32 exec_lo, exec_lo, s4
	v_cndmask_b32_e64 v7, v48, v39, s3
	s_delay_alu instid0(VALU_DEP_2)
	v_cmp_lt_i16_e64 s3, -1, v8
	v_add_f16_e32 v19, 0, v38
	v_mov_b32_e32 v21, v29
	s_mov_b32 s8, exec_lo
	v_add_f16_e32 v9, 0, v7
	v_cndmask_b32_e64 v18, -1, 0xffff8000, s3
	v_mov_b32_e32 v24, v32
	s_delay_alu instid0(VALU_DEP_3) | instskip(NEXT) | instid1(VALU_DEP_3)
	v_cmp_lt_i16_e64 s3, -1, v9
	v_xor_b32_e32 v8, v18, v8
	s_delay_alu instid0(VALU_DEP_2) | instskip(SKIP_1) | instid1(VALU_DEP_2)
	v_cndmask_b32_e64 v20, -1, 0xffff8000, s3
	v_cmp_lt_i16_e64 s3, -1, v17
	v_xor_b32_e32 v18, v20, v9
	s_delay_alu instid0(VALU_DEP_2) | instskip(SKIP_1) | instid1(VALU_DEP_2)
	v_cndmask_b32_e64 v22, -1, 0xffff8000, s3
	v_cmp_lt_i16_e64 s3, -1, v19
	v_xor_b32_e32 v9, v22, v17
	v_mov_b32_e32 v22, v30
	s_delay_alu instid0(VALU_DEP_3) | instskip(SKIP_2) | instid1(VALU_DEP_3)
	v_cndmask_b32_e64 v23, -1, 0xffff8000, s3
	v_cmp_gt_u16_e64 s3, v8, v18
	v_mov_b32_e32 v8, v3
	v_xor_b32_e32 v29, v23, v19
	v_mov_b32_e32 v23, v31
	s_delay_alu instid0(VALU_DEP_4)
	v_cndmask_b32_e64 v20, v28, v26, s3
	v_cndmask_b32_e64 v19, v27, v25, s3
	;; [unrolled: 1-line block ×4, first 2 shown]
	v_cmpx_gt_u16_e64 v29, v9
; %bb.128:
	s_delay_alu instid0(VALU_DEP_2)
	v_dual_mov_b32 v48, v17 :: v_dual_mov_b32 v49, v18
	v_dual_mov_b32 v50, v19 :: v_dual_mov_b32 v51, v20
	;; [unrolled: 1-line block ×9, first 2 shown]
	v_mov_b32_e32 v24, v55
; %bb.129:
	s_or_b32 exec_lo, exec_lo, s8
	v_cndmask_b32_e64 v39, v6, v7, s3
	v_mov_b32_e32 v49, v8
	s_mov_b32 s8, exec_lo
	s_delay_alu instid0(VALU_DEP_2) | instskip(NEXT) | instid1(VALU_DEP_1)
	v_add_f16_e32 v3, 0, v39
	v_cmp_lt_i16_e64 s4, -1, v3
	s_delay_alu instid0(VALU_DEP_1) | instskip(NEXT) | instid1(VALU_DEP_1)
	v_cndmask_b32_e64 v25, -1, 0xffff8000, s4
	v_xor_b32_e32 v3, v25, v3
	s_delay_alu instid0(VALU_DEP_1)
	v_cmpx_gt_u16_e64 v9, v3
; %bb.130:
	v_dual_mov_b32 v25, v17 :: v_dual_mov_b32 v26, v18
	v_dual_mov_b32 v27, v21 :: v_dual_mov_b32 v28, v22
	v_dual_mov_b32 v29, v19 :: v_dual_mov_b32 v30, v20
	v_dual_mov_b32 v31, v23 :: v_dual_mov_b32 v32, v24
	s_delay_alu instid0(VALU_DEP_4) | instskip(NEXT) | instid1(VALU_DEP_4)
	v_dual_mov_b32 v17, v25 :: v_dual_mov_b32 v18, v26
	v_dual_mov_b32 v19, v27 :: v_dual_mov_b32 v20, v28
	s_delay_alu instid0(VALU_DEP_4) | instskip(NEXT) | instid1(VALU_DEP_4)
	v_dual_mov_b32 v21, v29 :: v_dual_mov_b32 v22, v30
	v_dual_mov_b32 v23, v31 :: v_dual_mov_b32 v24, v32
	v_mov_b32_e32 v49, v39
	v_mov_b32_e32 v39, v8
; %bb.131:
	s_or_b32 exec_lo, exec_lo, s8
	v_cndmask_b32_e64 v48, v7, v6, s3
.LBB1766_132:
	s_or_b32 exec_lo, exec_lo, s7
	v_dual_mov_b32 v28, 0 :: v_dual_and_b32 v27, 0xffffff80, v2
	v_or_b32_e32 v6, 4, v37
	v_lshlrev_b32_e32 v8, 1, v37
	v_and_b32_e32 v9, 4, v37
	s_delay_alu instid0(VALU_DEP_4)
	v_sub_nc_u32_e64 v31, 0x400, v27 clamp
	v_lshlrev_b64 v[2:3], 1, v[27:28]
	v_lshlrev_b32_e32 v25, 3, v37
	v_and_b32_e32 v29, 0x78, v37
	v_perm_b32 v54, v38, v49, 0x5040100
	v_min_u32_e32 v32, v31, v6
	v_min_u32_e32 v30, v31, v9
	v_add_co_u32 v6, s3, v15, v2
	s_delay_alu instid0(VALU_DEP_1) | instskip(NEXT) | instid1(VALU_DEP_4)
	v_add_co_ci_u32_e64 v7, s3, v16, v3, s3
	v_add_nc_u32_e32 v15, 4, v32
	s_delay_alu instid0(VALU_DEP_3) | instskip(NEXT) | instid1(VALU_DEP_3)
	v_add_co_u32 v8, s3, v6, v8
	v_mad_u64_u32 v[2:3], null, v27, 6, v[6:7]
	s_delay_alu instid0(VALU_DEP_3) | instskip(SKIP_3) | instid1(VALU_DEP_4)
	v_min_u32_e32 v50, v31, v15
	v_add_co_ci_u32_e64 v9, s3, 0, v7, s3
	v_sub_nc_u32_e32 v26, v32, v29
	v_perm_b32 v53, v39, v48, 0x5040100
	v_sub_nc_u32_e32 v27, v50, v32
	v_add_co_u32 v15, s3, v2, v25
	s_delay_alu instid0(VALU_DEP_1) | instskip(NEXT) | instid1(VALU_DEP_3)
	v_add_co_ci_u32_e64 v16, s3, 0, v3, s3
	v_sub_nc_u32_e64 v51, v30, v27 clamp
	s_delay_alu instid0(VALU_DEP_3) | instskip(SKIP_1) | instid1(VALU_DEP_4)
	v_add_co_u32 v25, s3, 0x800, v15
	v_min_u32_e32 v52, v30, v26
	v_add_co_ci_u32_e64 v26, s3, 0, v16, s3
	s_mov_b32 s4, 0
	s_mov_b32 s7, exec_lo
	s_clause 0x2
	flat_store_b128 v[15:16], v[17:20] offset:2048
	flat_store_b64 v[8:9], v[53:54]
	flat_store_b128 v[15:16], v[21:24] offset:2064
	; wave barrier
	v_cmpx_lt_u32_e64 v51, v52
	s_cbranch_execz .LBB1766_136
; %bb.133:
	v_lshlrev_b32_e32 v27, 1, v29
	v_lshlrev_b32_e32 v55, 1, v32
	s_delay_alu instid0(VALU_DEP_2) | instskip(NEXT) | instid1(VALU_DEP_1)
	v_add_co_u32 v53, s3, v6, v27
	v_add_co_ci_u32_e64 v54, s3, 0, v7, s3
	s_delay_alu instid0(VALU_DEP_3) | instskip(NEXT) | instid1(VALU_DEP_1)
	v_add_co_u32 v55, s3, v6, v55
	v_add_co_ci_u32_e64 v64, s3, 0, v7, s3
	s_set_inst_prefetch_distance 0x1
	.p2align	6
.LBB1766_134:                           ; =>This Inner Loop Header: Depth=1
	v_add_nc_u32_e32 v27, v52, v51
	s_delay_alu instid0(VALU_DEP_1) | instskip(SKIP_1) | instid1(VALU_DEP_2)
	v_lshrrev_b32_e32 v69, 1, v27
	v_and_b32_e32 v65, -2, v27
	v_xad_u32 v27, v69, -1, v30
	s_delay_alu instid0(VALU_DEP_2) | instskip(NEXT) | instid1(VALU_DEP_1)
	v_add_co_u32 v65, s3, v53, v65
	v_add_co_ci_u32_e64 v66, s3, 0, v54, s3
	s_delay_alu instid0(VALU_DEP_3) | instskip(NEXT) | instid1(VALU_DEP_1)
	v_lshlrev_b64 v[67:68], 1, v[27:28]
	v_add_co_u32 v67, s3, v55, v67
	s_delay_alu instid0(VALU_DEP_1)
	v_add_co_ci_u32_e64 v68, s3, v64, v68, s3
	s_clause 0x1
	flat_load_u16 v27, v[65:66]
	flat_load_u16 v65, v[67:68]
	s_waitcnt vmcnt(1) lgkmcnt(1)
	v_add_f16_e32 v27, 0, v27
	s_waitcnt vmcnt(0) lgkmcnt(0)
	v_add_f16_e32 v65, 0, v65
	s_delay_alu instid0(VALU_DEP_2) | instskip(NEXT) | instid1(VALU_DEP_1)
	v_cmp_lt_i16_e64 s3, -1, v27
	v_cndmask_b32_e64 v66, -1, 0xffff8000, s3
	s_delay_alu instid0(VALU_DEP_3) | instskip(NEXT) | instid1(VALU_DEP_2)
	v_cmp_lt_i16_e64 s3, -1, v65
	v_xor_b32_e32 v27, v66, v27
	s_delay_alu instid0(VALU_DEP_2) | instskip(SKIP_1) | instid1(VALU_DEP_2)
	v_cndmask_b32_e64 v67, -1, 0xffff8000, s3
	v_add_nc_u32_e32 v66, 1, v69
	v_xor_b32_e32 v65, v67, v65
	s_delay_alu instid0(VALU_DEP_1) | instskip(NEXT) | instid1(VALU_DEP_1)
	v_cmp_gt_u16_e64 s3, v65, v27
	v_cndmask_b32_e64 v52, v52, v69, s3
	s_delay_alu instid0(VALU_DEP_4) | instskip(NEXT) | instid1(VALU_DEP_1)
	v_cndmask_b32_e64 v51, v66, v51, s3
	v_cmp_ge_u32_e64 s3, v51, v52
	s_delay_alu instid0(VALU_DEP_1) | instskip(NEXT) | instid1(SALU_CYCLE_1)
	s_or_b32 s4, s3, s4
	s_and_not1_b32 exec_lo, exec_lo, s4
	s_cbranch_execnz .LBB1766_134
; %bb.135:
	s_set_inst_prefetch_distance 0x2
	s_or_b32 exec_lo, exec_lo, s4
.LBB1766_136:
	s_delay_alu instid0(SALU_CYCLE_1) | instskip(SKIP_2) | instid1(VALU_DEP_2)
	s_or_b32 exec_lo, exec_lo, s7
	v_add_nc_u32_e32 v28, v32, v30
	v_add_nc_u32_e32 v27, v51, v29
	v_sub_nc_u32_e32 v29, v28, v51
	s_delay_alu instid0(VALU_DEP_2) | instskip(NEXT) | instid1(VALU_DEP_2)
	v_cmp_le_u32_e64 s3, v27, v32
	v_cmp_le_u32_e64 s4, v29, v50
	s_delay_alu instid0(VALU_DEP_1) | instskip(NEXT) | instid1(SALU_CYCLE_1)
	s_or_b32 s3, s3, s4
	s_and_saveexec_b32 s7, s3
	s_cbranch_execz .LBB1766_156
; %bb.137:
	v_cmp_ge_u32_e64 s3, v27, v32
	s_mov_b32 s8, exec_lo
                                        ; implicit-def: $vgpr28
	v_cmpx_lt_u32_e64 v27, v32
	s_cbranch_execz .LBB1766_139
; %bb.138:
	v_mov_b32_e32 v28, 0
	s_delay_alu instid0(VALU_DEP_1) | instskip(NEXT) | instid1(VALU_DEP_1)
	v_lshlrev_b64 v[17:18], 1, v[27:28]
	v_add_co_u32 v17, s4, v6, v17
	s_delay_alu instid0(VALU_DEP_1)
	v_add_co_ci_u32_e64 v18, s4, v7, v18, s4
	flat_load_u16 v28, v[17:18]
.LBB1766_139:
	s_or_b32 exec_lo, exec_lo, s8
	v_cmp_ge_u32_e64 s8, v29, v50
	s_mov_b32 s9, exec_lo
                                        ; implicit-def: $vgpr30
	v_cmpx_lt_u32_e64 v29, v50
	s_cbranch_execz .LBB1766_141
; %bb.140:
	v_mov_b32_e32 v30, 0
	s_delay_alu instid0(VALU_DEP_1) | instskip(NEXT) | instid1(VALU_DEP_1)
	v_lshlrev_b64 v[17:18], 1, v[29:30]
	v_add_co_u32 v17, s4, v6, v17
	s_delay_alu instid0(VALU_DEP_1)
	v_add_co_ci_u32_e64 v18, s4, v7, v18, s4
	flat_load_u16 v30, v[17:18]
.LBB1766_141:
	s_or_b32 exec_lo, exec_lo, s9
	s_or_b32 s3, s3, s8
	s_mov_b32 s4, -1
	s_xor_b32 s3, s3, -1
	s_delay_alu instid0(SALU_CYCLE_1)
	s_and_saveexec_b32 s9, s3
	s_cbranch_execz .LBB1766_143
; %bb.142:
	s_waitcnt vmcnt(0) lgkmcnt(0)
	v_add_f16_e32 v17, 0, v30
	v_add_f16_e32 v18, 0, v28
	s_and_not1_b32 s8, s8, exec_lo
	s_delay_alu instid0(VALU_DEP_2) | instskip(NEXT) | instid1(VALU_DEP_1)
	v_cmp_lt_i16_e64 s3, -1, v17
	v_cndmask_b32_e64 v19, -1, 0xffff8000, s3
	s_delay_alu instid0(VALU_DEP_3) | instskip(NEXT) | instid1(VALU_DEP_2)
	v_cmp_lt_i16_e64 s3, -1, v18
	v_xor_b32_e32 v17, v19, v17
	s_delay_alu instid0(VALU_DEP_2) | instskip(NEXT) | instid1(VALU_DEP_1)
	v_cndmask_b32_e64 v20, -1, 0xffff8000, s3
	v_xor_b32_e32 v18, v20, v18
	s_delay_alu instid0(VALU_DEP_1) | instskip(NEXT) | instid1(VALU_DEP_1)
	v_cmp_le_u16_e64 s3, v17, v18
	s_and_b32 s3, s3, exec_lo
	s_delay_alu instid0(SALU_CYCLE_1)
	s_or_b32 s8, s8, s3
.LBB1766_143:
	s_or_b32 exec_lo, exec_lo, s9
	v_cndmask_b32_e64 v19, v29, v27, s8
	v_cndmask_b32_e64 v17, v50, v32, s8
	v_mov_b32_e32 v20, 0
	s_mov_b32 s10, 0
	s_mov_b32 s9, exec_lo
	v_add_nc_u32_e32 v23, 1, v19
	v_add_nc_u32_e32 v21, -1, v17
	v_lshlrev_b64 v[17:18], 3, v[19:20]
	s_delay_alu instid0(VALU_DEP_2) | instskip(NEXT) | instid1(VALU_DEP_1)
	v_min_u32_e32 v19, v23, v21
	v_lshlrev_b64 v[21:22], 1, v[19:20]
	s_delay_alu instid0(VALU_DEP_1) | instskip(NEXT) | instid1(VALU_DEP_1)
	v_add_co_u32 v21, s3, v6, v21
	v_add_co_ci_u32_e64 v22, s3, v7, v22, s3
	v_add_co_u32 v17, s3, v2, v17
	s_delay_alu instid0(VALU_DEP_1)
	v_add_co_ci_u32_e64 v18, s3, v3, v18, s3
	s_clause 0x1
	flat_load_u16 v19, v[21:22]
	flat_load_b64 v[17:18], v[17:18] offset:2048
	v_cndmask_b32_e64 v21, v23, v29, s8
	v_cndmask_b32_e64 v22, v27, v23, s8
	s_waitcnt vmcnt(1) lgkmcnt(1)
	v_cndmask_b32_e64 v27, v19, v30, s8
	v_cndmask_b32_e64 v29, v28, v19, s8
	v_cmpx_lt_u32_e64 v21, v50
	s_cbranch_execz .LBB1766_147
; %bb.144:
	s_mov_b32 s4, exec_lo
	v_cmpx_lt_u32_e64 v22, v32
; %bb.145:
	v_add_f16_e32 v19, 0, v27
	v_add_f16_e32 v23, 0, v29
	s_delay_alu instid0(VALU_DEP_2) | instskip(NEXT) | instid1(VALU_DEP_1)
	v_cmp_lt_i16_e64 s3, -1, v19
	v_cndmask_b32_e64 v24, -1, 0xffff8000, s3
	s_delay_alu instid0(VALU_DEP_3) | instskip(NEXT) | instid1(VALU_DEP_2)
	v_cmp_lt_i16_e64 s3, -1, v23
	v_xor_b32_e32 v19, v24, v19
	s_delay_alu instid0(VALU_DEP_2) | instskip(NEXT) | instid1(VALU_DEP_1)
	v_cndmask_b32_e64 v38, -1, 0xffff8000, s3
	v_xor_b32_e32 v23, v38, v23
	s_delay_alu instid0(VALU_DEP_1) | instskip(NEXT) | instid1(VALU_DEP_1)
	v_cmp_le_u16_e64 s3, v19, v23
	s_and_b32 s10, s3, exec_lo
; %bb.146:
	s_or_b32 exec_lo, exec_lo, s4
	s_delay_alu instid0(SALU_CYCLE_1)
	s_or_not1_b32 s4, s10, exec_lo
.LBB1766_147:
	s_or_b32 exec_lo, exec_lo, s9
	v_cndmask_b32_e64 v19, v21, v22, s4
	v_cndmask_b32_e64 v23, v50, v32, s4
	s_mov_b32 s12, 0
	s_mov_b32 s9, -1
	s_mov_b32 s10, -1
	v_add_nc_u32_e32 v38, 1, v19
	v_add_nc_u32_e32 v39, -1, v23
	v_lshlrev_b64 v[23:24], 3, v[19:20]
	s_mov_b32 s11, exec_lo
	s_delay_alu instid0(VALU_DEP_3) | instskip(NEXT) | instid1(VALU_DEP_3)
	v_cndmask_b32_e64 v48, v38, v21, s4
	v_min_u32_e32 v19, v38, v39
	v_cndmask_b32_e64 v49, v22, v38, s4
	s_delay_alu instid0(VALU_DEP_2) | instskip(NEXT) | instid1(VALU_DEP_1)
	v_lshlrev_b64 v[19:20], 1, v[19:20]
	v_add_co_u32 v19, s3, v6, v19
	s_delay_alu instid0(VALU_DEP_1) | instskip(SKIP_2) | instid1(VALU_DEP_1)
	v_add_co_ci_u32_e64 v20, s3, v7, v20, s3
	flat_load_u16 v39, v[19:20]
	v_add_co_u32 v19, s3, v2, v23
	v_add_co_ci_u32_e64 v20, s3, v3, v24, s3
	flat_load_b64 v[19:20], v[19:20] offset:2048
	s_waitcnt vmcnt(1) lgkmcnt(1)
	v_cndmask_b32_e64 v38, v39, v27, s4
	v_cndmask_b32_e64 v39, v29, v39, s4
	v_cmpx_lt_u32_e64 v48, v50
	s_cbranch_execz .LBB1766_151
; %bb.148:
	s_mov_b32 s10, exec_lo
	v_cmpx_lt_u32_e64 v49, v32
; %bb.149:
	v_add_f16_e32 v21, 0, v38
	v_add_f16_e32 v22, 0, v39
	s_delay_alu instid0(VALU_DEP_2) | instskip(NEXT) | instid1(VALU_DEP_1)
	v_cmp_lt_i16_e64 s3, -1, v21
	v_cndmask_b32_e64 v23, -1, 0xffff8000, s3
	s_delay_alu instid0(VALU_DEP_3) | instskip(NEXT) | instid1(VALU_DEP_2)
	v_cmp_lt_i16_e64 s3, -1, v22
	v_xor_b32_e32 v21, v23, v21
	s_delay_alu instid0(VALU_DEP_2) | instskip(NEXT) | instid1(VALU_DEP_1)
	v_cndmask_b32_e64 v24, -1, 0xffff8000, s3
	v_xor_b32_e32 v22, v24, v22
	s_delay_alu instid0(VALU_DEP_1) | instskip(NEXT) | instid1(VALU_DEP_1)
	v_cmp_le_u16_e64 s3, v21, v22
	s_and_b32 s12, s3, exec_lo
; %bb.150:
	s_or_b32 exec_lo, exec_lo, s10
	s_delay_alu instid0(SALU_CYCLE_1)
	s_or_not1_b32 s10, s12, exec_lo
.LBB1766_151:
	s_or_b32 exec_lo, exec_lo, s11
	v_cndmask_b32_e64 v23, v48, v49, s10
	v_cndmask_b32_e64 v21, v50, v32, s10
	v_mov_b32_e32 v24, 0
	s_mov_b32 s12, 0
	s_mov_b32 s11, exec_lo
	v_add_nc_u32_e32 v53, 1, v23
	v_add_nc_u32_e32 v51, -1, v21
	v_lshlrev_b64 v[21:22], 3, v[23:24]
	s_delay_alu instid0(VALU_DEP_2) | instskip(NEXT) | instid1(VALU_DEP_1)
	v_min_u32_e32 v23, v53, v51
	v_lshlrev_b64 v[51:52], 1, v[23:24]
	v_cndmask_b32_e64 v23, v53, v48, s10
	v_cndmask_b32_e64 v48, v49, v53, s10
	s_delay_alu instid0(VALU_DEP_3) | instskip(NEXT) | instid1(VALU_DEP_1)
	v_add_co_u32 v51, s3, v6, v51
	v_add_co_ci_u32_e64 v52, s3, v7, v52, s3
	v_add_co_u32 v21, s3, v2, v21
	s_delay_alu instid0(VALU_DEP_1)
	v_add_co_ci_u32_e64 v22, s3, v3, v22, s3
	s_clause 0x1
	flat_load_u16 v52, v[51:52]
	flat_load_b64 v[21:22], v[21:22] offset:2048
	s_waitcnt vmcnt(1) lgkmcnt(1)
	v_cndmask_b32_e64 v51, v52, v38, s10
	v_cndmask_b32_e64 v52, v39, v52, s10
	v_cmpx_lt_u32_e64 v23, v50
	s_cbranch_execz .LBB1766_155
; %bb.152:
	s_mov_b32 s9, exec_lo
	v_cmpx_lt_u32_e64 v48, v32
; %bb.153:
	v_add_f16_e32 v32, 0, v51
	v_add_f16_e32 v49, 0, v52
	s_delay_alu instid0(VALU_DEP_2) | instskip(NEXT) | instid1(VALU_DEP_1)
	v_cmp_lt_i16_e64 s3, -1, v32
	v_cndmask_b32_e64 v50, -1, 0xffff8000, s3
	s_delay_alu instid0(VALU_DEP_3) | instskip(NEXT) | instid1(VALU_DEP_2)
	v_cmp_lt_i16_e64 s3, -1, v49
	v_xor_b32_e32 v32, v50, v32
	s_delay_alu instid0(VALU_DEP_2) | instskip(NEXT) | instid1(VALU_DEP_1)
	v_cndmask_b32_e64 v53, -1, 0xffff8000, s3
	v_xor_b32_e32 v49, v53, v49
	s_delay_alu instid0(VALU_DEP_1) | instskip(NEXT) | instid1(VALU_DEP_1)
	v_cmp_le_u16_e64 s3, v32, v49
	s_and_b32 s12, s3, exec_lo
; %bb.154:
	s_or_b32 exec_lo, exec_lo, s9
	s_delay_alu instid0(SALU_CYCLE_1)
	s_or_not1_b32 s9, s12, exec_lo
.LBB1766_155:
	s_or_b32 exec_lo, exec_lo, s11
	v_cndmask_b32_e64 v23, v23, v48, s9
	v_cndmask_b32_e64 v49, v38, v39, s10
	;; [unrolled: 1-line block ×5, first 2 shown]
	v_lshlrev_b64 v[23:24], 3, v[23:24]
	s_delay_alu instid0(VALU_DEP_1) | instskip(NEXT) | instid1(VALU_DEP_1)
	v_add_co_u32 v23, s3, v2, v23
	v_add_co_ci_u32_e64 v24, s3, v3, v24, s3
	flat_load_b64 v[23:24], v[23:24] offset:2048
.LBB1766_156:
	s_or_b32 exec_lo, exec_lo, s7
	v_and_b32_e32 v29, 0x70, v37
	v_and_b32_e32 v28, 12, v37
	s_mov_b32 s4, exec_lo
	; wave barrier
	s_delay_alu instid0(VALU_DEP_2) | instskip(NEXT) | instid1(VALU_DEP_2)
	v_or_b32_e32 v27, 8, v29
	v_min_u32_e32 v30, v31, v28
	s_delay_alu instid0(VALU_DEP_2) | instskip(NEXT) | instid1(VALU_DEP_1)
	v_min_u32_e32 v32, v31, v27
	v_add_nc_u32_e32 v27, 8, v32
	s_delay_alu instid0(VALU_DEP_1) | instskip(SKIP_1) | instid1(VALU_DEP_2)
	v_min_u32_e32 v50, v31, v27
	v_sub_nc_u32_e32 v27, v32, v29
	v_sub_nc_u32_e32 v28, v50, v32
	s_delay_alu instid0(VALU_DEP_2) | instskip(SKIP_1) | instid1(VALU_DEP_3)
	v_min_u32_e32 v52, v30, v27
	v_perm_b32 v27, v39, v48, 0x5040100
	v_sub_nc_u32_e64 v51, v30, v28 clamp
	v_perm_b32 v28, v38, v49, 0x5040100
	s_clause 0x1
	flat_store_b128 v[15:16], v[17:20] offset:2048
	flat_store_b64 v[8:9], v[27:28]
	s_waitcnt vmcnt(0) lgkmcnt(2)
	flat_store_b128 v[25:26], v[21:24] offset:16
	; wave barrier
	v_cmpx_lt_u32_e64 v51, v52
	s_cbranch_execz .LBB1766_160
; %bb.157:
	v_lshlrev_b32_e32 v27, 1, v29
	v_lshlrev_b32_e32 v28, 1, v32
	s_mov_b32 s7, 0
	s_delay_alu instid0(VALU_DEP_2) | instskip(NEXT) | instid1(VALU_DEP_1)
	v_add_co_u32 v53, s3, v6, v27
	v_add_co_ci_u32_e64 v54, s3, 0, v7, s3
	s_delay_alu instid0(VALU_DEP_3)
	v_add_co_u32 v55, s3, v6, v28
	v_mov_b32_e32 v28, 0
	v_add_co_ci_u32_e64 v64, s3, 0, v7, s3
	s_set_inst_prefetch_distance 0x1
	.p2align	6
.LBB1766_158:                           ; =>This Inner Loop Header: Depth=1
	v_add_nc_u32_e32 v27, v52, v51
	s_delay_alu instid0(VALU_DEP_1) | instskip(SKIP_1) | instid1(VALU_DEP_2)
	v_lshrrev_b32_e32 v69, 1, v27
	v_and_b32_e32 v65, -2, v27
	v_xad_u32 v27, v69, -1, v30
	s_delay_alu instid0(VALU_DEP_2) | instskip(NEXT) | instid1(VALU_DEP_1)
	v_add_co_u32 v65, s3, v53, v65
	v_add_co_ci_u32_e64 v66, s3, 0, v54, s3
	s_delay_alu instid0(VALU_DEP_3) | instskip(NEXT) | instid1(VALU_DEP_1)
	v_lshlrev_b64 v[67:68], 1, v[27:28]
	v_add_co_u32 v67, s3, v55, v67
	s_delay_alu instid0(VALU_DEP_1)
	v_add_co_ci_u32_e64 v68, s3, v64, v68, s3
	s_clause 0x1
	flat_load_u16 v27, v[65:66]
	flat_load_u16 v65, v[67:68]
	s_waitcnt vmcnt(1) lgkmcnt(1)
	v_add_f16_e32 v27, 0, v27
	s_waitcnt vmcnt(0) lgkmcnt(0)
	v_add_f16_e32 v65, 0, v65
	s_delay_alu instid0(VALU_DEP_2) | instskip(NEXT) | instid1(VALU_DEP_1)
	v_cmp_lt_i16_e64 s3, -1, v27
	v_cndmask_b32_e64 v66, -1, 0xffff8000, s3
	s_delay_alu instid0(VALU_DEP_3) | instskip(NEXT) | instid1(VALU_DEP_2)
	v_cmp_lt_i16_e64 s3, -1, v65
	v_xor_b32_e32 v27, v66, v27
	s_delay_alu instid0(VALU_DEP_2) | instskip(SKIP_1) | instid1(VALU_DEP_2)
	v_cndmask_b32_e64 v67, -1, 0xffff8000, s3
	v_add_nc_u32_e32 v66, 1, v69
	v_xor_b32_e32 v65, v67, v65
	s_delay_alu instid0(VALU_DEP_1) | instskip(NEXT) | instid1(VALU_DEP_1)
	v_cmp_gt_u16_e64 s3, v65, v27
	v_cndmask_b32_e64 v52, v52, v69, s3
	s_delay_alu instid0(VALU_DEP_4) | instskip(NEXT) | instid1(VALU_DEP_1)
	v_cndmask_b32_e64 v51, v66, v51, s3
	v_cmp_ge_u32_e64 s3, v51, v52
	s_delay_alu instid0(VALU_DEP_1) | instskip(NEXT) | instid1(SALU_CYCLE_1)
	s_or_b32 s7, s3, s7
	s_and_not1_b32 exec_lo, exec_lo, s7
	s_cbranch_execnz .LBB1766_158
; %bb.159:
	s_set_inst_prefetch_distance 0x2
	s_or_b32 exec_lo, exec_lo, s7
.LBB1766_160:
	s_delay_alu instid0(SALU_CYCLE_1) | instskip(SKIP_2) | instid1(VALU_DEP_2)
	s_or_b32 exec_lo, exec_lo, s4
	v_add_nc_u32_e32 v28, v32, v30
	v_add_nc_u32_e32 v27, v51, v29
	v_sub_nc_u32_e32 v29, v28, v51
	s_delay_alu instid0(VALU_DEP_2) | instskip(NEXT) | instid1(VALU_DEP_2)
	v_cmp_le_u32_e64 s3, v27, v32
	v_cmp_le_u32_e64 s4, v29, v50
	s_delay_alu instid0(VALU_DEP_1) | instskip(NEXT) | instid1(SALU_CYCLE_1)
	s_or_b32 s3, s3, s4
	s_and_saveexec_b32 s7, s3
	s_cbranch_execz .LBB1766_180
; %bb.161:
	v_cmp_ge_u32_e64 s3, v27, v32
	s_mov_b32 s8, exec_lo
                                        ; implicit-def: $vgpr28
	v_cmpx_lt_u32_e64 v27, v32
	s_cbranch_execz .LBB1766_163
; %bb.162:
	v_mov_b32_e32 v28, 0
	s_delay_alu instid0(VALU_DEP_1) | instskip(NEXT) | instid1(VALU_DEP_1)
	v_lshlrev_b64 v[17:18], 1, v[27:28]
	v_add_co_u32 v17, s4, v6, v17
	s_delay_alu instid0(VALU_DEP_1)
	v_add_co_ci_u32_e64 v18, s4, v7, v18, s4
	flat_load_u16 v28, v[17:18]
.LBB1766_163:
	s_or_b32 exec_lo, exec_lo, s8
	v_cmp_ge_u32_e64 s8, v29, v50
	s_mov_b32 s9, exec_lo
                                        ; implicit-def: $vgpr30
	v_cmpx_lt_u32_e64 v29, v50
	s_cbranch_execz .LBB1766_165
; %bb.164:
	v_mov_b32_e32 v30, 0
	s_delay_alu instid0(VALU_DEP_1) | instskip(NEXT) | instid1(VALU_DEP_1)
	v_lshlrev_b64 v[17:18], 1, v[29:30]
	v_add_co_u32 v17, s4, v6, v17
	s_delay_alu instid0(VALU_DEP_1)
	v_add_co_ci_u32_e64 v18, s4, v7, v18, s4
	flat_load_u16 v30, v[17:18]
.LBB1766_165:
	s_or_b32 exec_lo, exec_lo, s9
	s_or_b32 s3, s3, s8
	s_mov_b32 s4, -1
	s_xor_b32 s3, s3, -1
	s_delay_alu instid0(SALU_CYCLE_1)
	s_and_saveexec_b32 s9, s3
	s_cbranch_execz .LBB1766_167
; %bb.166:
	s_waitcnt vmcnt(0) lgkmcnt(0)
	v_add_f16_e32 v17, 0, v30
	v_add_f16_e32 v18, 0, v28
	s_and_not1_b32 s8, s8, exec_lo
	s_delay_alu instid0(VALU_DEP_2) | instskip(NEXT) | instid1(VALU_DEP_1)
	v_cmp_lt_i16_e64 s3, -1, v17
	v_cndmask_b32_e64 v19, -1, 0xffff8000, s3
	s_delay_alu instid0(VALU_DEP_3) | instskip(NEXT) | instid1(VALU_DEP_2)
	v_cmp_lt_i16_e64 s3, -1, v18
	v_xor_b32_e32 v17, v19, v17
	s_delay_alu instid0(VALU_DEP_2) | instskip(NEXT) | instid1(VALU_DEP_1)
	v_cndmask_b32_e64 v20, -1, 0xffff8000, s3
	v_xor_b32_e32 v18, v20, v18
	s_delay_alu instid0(VALU_DEP_1) | instskip(NEXT) | instid1(VALU_DEP_1)
	v_cmp_le_u16_e64 s3, v17, v18
	s_and_b32 s3, s3, exec_lo
	s_delay_alu instid0(SALU_CYCLE_1)
	s_or_b32 s8, s8, s3
.LBB1766_167:
	s_or_b32 exec_lo, exec_lo, s9
	v_cndmask_b32_e64 v19, v29, v27, s8
	v_cndmask_b32_e64 v17, v50, v32, s8
	v_mov_b32_e32 v20, 0
	s_mov_b32 s10, 0
	s_mov_b32 s9, exec_lo
	v_add_nc_u32_e32 v23, 1, v19
	v_add_nc_u32_e32 v21, -1, v17
	v_lshlrev_b64 v[17:18], 3, v[19:20]
	s_delay_alu instid0(VALU_DEP_2) | instskip(NEXT) | instid1(VALU_DEP_1)
	v_min_u32_e32 v19, v23, v21
	v_lshlrev_b64 v[21:22], 1, v[19:20]
	s_delay_alu instid0(VALU_DEP_1) | instskip(NEXT) | instid1(VALU_DEP_1)
	v_add_co_u32 v21, s3, v6, v21
	v_add_co_ci_u32_e64 v22, s3, v7, v22, s3
	v_add_co_u32 v17, s3, v2, v17
	s_delay_alu instid0(VALU_DEP_1)
	v_add_co_ci_u32_e64 v18, s3, v3, v18, s3
	s_clause 0x1
	flat_load_u16 v19, v[21:22]
	flat_load_b64 v[17:18], v[17:18] offset:2048
	v_cndmask_b32_e64 v21, v23, v29, s8
	v_cndmask_b32_e64 v22, v27, v23, s8
	s_waitcnt vmcnt(1) lgkmcnt(1)
	v_cndmask_b32_e64 v27, v19, v30, s8
	v_cndmask_b32_e64 v29, v28, v19, s8
	v_cmpx_lt_u32_e64 v21, v50
	s_cbranch_execz .LBB1766_171
; %bb.168:
	s_mov_b32 s4, exec_lo
	v_cmpx_lt_u32_e64 v22, v32
; %bb.169:
	v_add_f16_e32 v19, 0, v27
	v_add_f16_e32 v23, 0, v29
	s_delay_alu instid0(VALU_DEP_2) | instskip(NEXT) | instid1(VALU_DEP_1)
	v_cmp_lt_i16_e64 s3, -1, v19
	v_cndmask_b32_e64 v24, -1, 0xffff8000, s3
	s_delay_alu instid0(VALU_DEP_3) | instskip(NEXT) | instid1(VALU_DEP_2)
	v_cmp_lt_i16_e64 s3, -1, v23
	v_xor_b32_e32 v19, v24, v19
	s_delay_alu instid0(VALU_DEP_2) | instskip(NEXT) | instid1(VALU_DEP_1)
	v_cndmask_b32_e64 v38, -1, 0xffff8000, s3
	v_xor_b32_e32 v23, v38, v23
	s_delay_alu instid0(VALU_DEP_1) | instskip(NEXT) | instid1(VALU_DEP_1)
	v_cmp_le_u16_e64 s3, v19, v23
	s_and_b32 s10, s3, exec_lo
; %bb.170:
	s_or_b32 exec_lo, exec_lo, s4
	s_delay_alu instid0(SALU_CYCLE_1)
	s_or_not1_b32 s4, s10, exec_lo
.LBB1766_171:
	s_or_b32 exec_lo, exec_lo, s9
	v_cndmask_b32_e64 v19, v21, v22, s4
	v_cndmask_b32_e64 v23, v50, v32, s4
	s_mov_b32 s12, 0
	s_mov_b32 s9, -1
	s_mov_b32 s10, -1
	v_add_nc_u32_e32 v38, 1, v19
	v_add_nc_u32_e32 v39, -1, v23
	v_lshlrev_b64 v[23:24], 3, v[19:20]
	s_mov_b32 s11, exec_lo
	s_delay_alu instid0(VALU_DEP_3) | instskip(NEXT) | instid1(VALU_DEP_3)
	v_cndmask_b32_e64 v48, v38, v21, s4
	v_min_u32_e32 v19, v38, v39
	v_cndmask_b32_e64 v49, v22, v38, s4
	s_delay_alu instid0(VALU_DEP_2) | instskip(NEXT) | instid1(VALU_DEP_1)
	v_lshlrev_b64 v[19:20], 1, v[19:20]
	v_add_co_u32 v19, s3, v6, v19
	s_delay_alu instid0(VALU_DEP_1) | instskip(SKIP_2) | instid1(VALU_DEP_1)
	v_add_co_ci_u32_e64 v20, s3, v7, v20, s3
	flat_load_u16 v39, v[19:20]
	v_add_co_u32 v19, s3, v2, v23
	v_add_co_ci_u32_e64 v20, s3, v3, v24, s3
	flat_load_b64 v[19:20], v[19:20] offset:2048
	s_waitcnt vmcnt(1) lgkmcnt(1)
	v_cndmask_b32_e64 v38, v39, v27, s4
	v_cndmask_b32_e64 v39, v29, v39, s4
	v_cmpx_lt_u32_e64 v48, v50
	s_cbranch_execz .LBB1766_175
; %bb.172:
	s_mov_b32 s10, exec_lo
	v_cmpx_lt_u32_e64 v49, v32
; %bb.173:
	v_add_f16_e32 v21, 0, v38
	v_add_f16_e32 v22, 0, v39
	s_delay_alu instid0(VALU_DEP_2) | instskip(NEXT) | instid1(VALU_DEP_1)
	v_cmp_lt_i16_e64 s3, -1, v21
	v_cndmask_b32_e64 v23, -1, 0xffff8000, s3
	s_delay_alu instid0(VALU_DEP_3) | instskip(NEXT) | instid1(VALU_DEP_2)
	v_cmp_lt_i16_e64 s3, -1, v22
	v_xor_b32_e32 v21, v23, v21
	s_delay_alu instid0(VALU_DEP_2) | instskip(NEXT) | instid1(VALU_DEP_1)
	v_cndmask_b32_e64 v24, -1, 0xffff8000, s3
	v_xor_b32_e32 v22, v24, v22
	s_delay_alu instid0(VALU_DEP_1) | instskip(NEXT) | instid1(VALU_DEP_1)
	v_cmp_le_u16_e64 s3, v21, v22
	s_and_b32 s12, s3, exec_lo
; %bb.174:
	s_or_b32 exec_lo, exec_lo, s10
	s_delay_alu instid0(SALU_CYCLE_1)
	s_or_not1_b32 s10, s12, exec_lo
.LBB1766_175:
	s_or_b32 exec_lo, exec_lo, s11
	v_cndmask_b32_e64 v23, v48, v49, s10
	v_cndmask_b32_e64 v21, v50, v32, s10
	v_mov_b32_e32 v24, 0
	s_mov_b32 s12, 0
	s_mov_b32 s11, exec_lo
	v_add_nc_u32_e32 v53, 1, v23
	v_add_nc_u32_e32 v51, -1, v21
	v_lshlrev_b64 v[21:22], 3, v[23:24]
	s_delay_alu instid0(VALU_DEP_2) | instskip(NEXT) | instid1(VALU_DEP_1)
	v_min_u32_e32 v23, v53, v51
	v_lshlrev_b64 v[51:52], 1, v[23:24]
	v_cndmask_b32_e64 v23, v53, v48, s10
	v_cndmask_b32_e64 v48, v49, v53, s10
	s_delay_alu instid0(VALU_DEP_3) | instskip(NEXT) | instid1(VALU_DEP_1)
	v_add_co_u32 v51, s3, v6, v51
	v_add_co_ci_u32_e64 v52, s3, v7, v52, s3
	v_add_co_u32 v21, s3, v2, v21
	s_delay_alu instid0(VALU_DEP_1)
	v_add_co_ci_u32_e64 v22, s3, v3, v22, s3
	s_clause 0x1
	flat_load_u16 v52, v[51:52]
	flat_load_b64 v[21:22], v[21:22] offset:2048
	s_waitcnt vmcnt(1) lgkmcnt(1)
	v_cndmask_b32_e64 v51, v52, v38, s10
	v_cndmask_b32_e64 v52, v39, v52, s10
	v_cmpx_lt_u32_e64 v23, v50
	s_cbranch_execz .LBB1766_179
; %bb.176:
	s_mov_b32 s9, exec_lo
	v_cmpx_lt_u32_e64 v48, v32
; %bb.177:
	v_add_f16_e32 v32, 0, v51
	v_add_f16_e32 v49, 0, v52
	s_delay_alu instid0(VALU_DEP_2) | instskip(NEXT) | instid1(VALU_DEP_1)
	v_cmp_lt_i16_e64 s3, -1, v32
	v_cndmask_b32_e64 v50, -1, 0xffff8000, s3
	s_delay_alu instid0(VALU_DEP_3) | instskip(NEXT) | instid1(VALU_DEP_2)
	v_cmp_lt_i16_e64 s3, -1, v49
	v_xor_b32_e32 v32, v50, v32
	s_delay_alu instid0(VALU_DEP_2) | instskip(NEXT) | instid1(VALU_DEP_1)
	v_cndmask_b32_e64 v53, -1, 0xffff8000, s3
	v_xor_b32_e32 v49, v53, v49
	s_delay_alu instid0(VALU_DEP_1) | instskip(NEXT) | instid1(VALU_DEP_1)
	v_cmp_le_u16_e64 s3, v32, v49
	s_and_b32 s12, s3, exec_lo
; %bb.178:
	s_or_b32 exec_lo, exec_lo, s9
	s_delay_alu instid0(SALU_CYCLE_1)
	s_or_not1_b32 s9, s12, exec_lo
.LBB1766_179:
	s_or_b32 exec_lo, exec_lo, s11
	v_cndmask_b32_e64 v23, v23, v48, s9
	v_cndmask_b32_e64 v49, v38, v39, s10
	;; [unrolled: 1-line block ×5, first 2 shown]
	v_lshlrev_b64 v[23:24], 3, v[23:24]
	s_delay_alu instid0(VALU_DEP_1) | instskip(NEXT) | instid1(VALU_DEP_1)
	v_add_co_u32 v23, s3, v2, v23
	v_add_co_ci_u32_e64 v24, s3, v3, v24, s3
	flat_load_b64 v[23:24], v[23:24] offset:2048
.LBB1766_180:
	s_or_b32 exec_lo, exec_lo, s7
	v_and_b32_e32 v29, 0x60, v37
	v_min_u32_e32 v30, v31, v35
	v_perm_b32 v51, v38, v49, 0x5040100
	v_perm_b32 v50, v39, v48, 0x5040100
	s_mov_b32 s4, exec_lo
	v_or_b32_e32 v27, 16, v29
	; wave barrier
	s_clause 0x1
	flat_store_b128 v[15:16], v[17:20] offset:2048
	flat_store_b64 v[8:9], v[50:51]
	s_waitcnt vmcnt(0) lgkmcnt(2)
	flat_store_b128 v[25:26], v[21:24] offset:16
	v_min_u32_e32 v27, v31, v27
	; wave barrier
	s_delay_alu instid0(VALU_DEP_1) | instskip(NEXT) | instid1(VALU_DEP_1)
	v_add_nc_u32_e32 v28, 16, v27
	v_min_u32_e32 v28, v31, v28
	v_sub_nc_u32_e32 v31, v27, v29
	s_delay_alu instid0(VALU_DEP_2) | instskip(NEXT) | instid1(VALU_DEP_2)
	v_sub_nc_u32_e32 v37, v28, v27
	v_min_u32_e32 v32, v30, v31
	s_delay_alu instid0(VALU_DEP_2) | instskip(NEXT) | instid1(VALU_DEP_1)
	v_sub_nc_u32_e64 v31, v30, v37 clamp
	v_cmpx_lt_u32_e64 v31, v32
	s_cbranch_execz .LBB1766_184
; %bb.181:
	v_lshlrev_b32_e32 v8, 1, v29
	v_lshlrev_b32_e32 v9, 1, v27
	s_mov_b32 s7, 0
	s_delay_alu instid0(VALU_DEP_2) | instskip(NEXT) | instid1(VALU_DEP_1)
	v_add_co_u32 v15, s3, v6, v8
	v_add_co_ci_u32_e64 v16, s3, 0, v7, s3
	s_delay_alu instid0(VALU_DEP_3)
	v_add_co_u32 v25, s3, v6, v9
	v_mov_b32_e32 v9, 0
	v_add_co_ci_u32_e64 v26, s3, 0, v7, s3
	s_set_inst_prefetch_distance 0x1
	.p2align	6
.LBB1766_182:                           ; =>This Inner Loop Header: Depth=1
	v_add_nc_u32_e32 v8, v32, v31
	s_delay_alu instid0(VALU_DEP_1) | instskip(SKIP_1) | instid1(VALU_DEP_2)
	v_lshrrev_b32_e32 v37, 1, v8
	v_and_b32_e32 v50, -2, v8
	v_xad_u32 v8, v37, -1, v30
	s_delay_alu instid0(VALU_DEP_2) | instskip(NEXT) | instid1(VALU_DEP_1)
	v_add_co_u32 v50, s3, v15, v50
	v_add_co_ci_u32_e64 v51, s3, 0, v16, s3
	s_delay_alu instid0(VALU_DEP_3) | instskip(NEXT) | instid1(VALU_DEP_1)
	v_lshlrev_b64 v[52:53], 1, v[8:9]
	v_add_co_u32 v52, s3, v25, v52
	s_delay_alu instid0(VALU_DEP_1)
	v_add_co_ci_u32_e64 v53, s3, v26, v53, s3
	s_clause 0x1
	flat_load_u16 v8, v[50:51]
	flat_load_u16 v50, v[52:53]
	s_waitcnt vmcnt(1) lgkmcnt(1)
	v_add_f16_e32 v8, 0, v8
	s_waitcnt vmcnt(0) lgkmcnt(0)
	v_add_f16_e32 v50, 0, v50
	s_delay_alu instid0(VALU_DEP_2) | instskip(NEXT) | instid1(VALU_DEP_1)
	v_cmp_lt_i16_e64 s3, -1, v8
	v_cndmask_b32_e64 v51, -1, 0xffff8000, s3
	s_delay_alu instid0(VALU_DEP_3) | instskip(NEXT) | instid1(VALU_DEP_2)
	v_cmp_lt_i16_e64 s3, -1, v50
	v_xor_b32_e32 v8, v51, v8
	s_delay_alu instid0(VALU_DEP_2) | instskip(SKIP_1) | instid1(VALU_DEP_2)
	v_cndmask_b32_e64 v52, -1, 0xffff8000, s3
	v_add_nc_u32_e32 v51, 1, v37
	v_xor_b32_e32 v50, v52, v50
	s_delay_alu instid0(VALU_DEP_1) | instskip(NEXT) | instid1(VALU_DEP_1)
	v_cmp_gt_u16_e64 s3, v50, v8
	v_cndmask_b32_e64 v32, v32, v37, s3
	s_delay_alu instid0(VALU_DEP_4) | instskip(NEXT) | instid1(VALU_DEP_1)
	v_cndmask_b32_e64 v31, v51, v31, s3
	v_cmp_ge_u32_e64 s3, v31, v32
	s_delay_alu instid0(VALU_DEP_1) | instskip(NEXT) | instid1(SALU_CYCLE_1)
	s_or_b32 s7, s3, s7
	s_and_not1_b32 exec_lo, exec_lo, s7
	s_cbranch_execnz .LBB1766_182
; %bb.183:
	s_set_inst_prefetch_distance 0x2
	s_or_b32 exec_lo, exec_lo, s7
.LBB1766_184:
	s_delay_alu instid0(SALU_CYCLE_1) | instskip(SKIP_2) | instid1(VALU_DEP_2)
	s_or_b32 exec_lo, exec_lo, s4
	v_add_nc_u32_e32 v9, v27, v30
	v_add_nc_u32_e32 v8, v31, v29
	v_sub_nc_u32_e32 v15, v9, v31
	s_delay_alu instid0(VALU_DEP_2) | instskip(NEXT) | instid1(VALU_DEP_2)
	v_cmp_le_u32_e64 s3, v8, v27
	v_cmp_le_u32_e64 s4, v15, v28
	s_delay_alu instid0(VALU_DEP_1) | instskip(NEXT) | instid1(SALU_CYCLE_1)
	s_or_b32 s3, s3, s4
	s_and_saveexec_b32 s7, s3
	s_cbranch_execz .LBB1766_204
; %bb.185:
	v_cmp_ge_u32_e64 s3, v8, v27
	s_mov_b32 s8, exec_lo
                                        ; implicit-def: $vgpr25
	v_cmpx_lt_u32_e64 v8, v27
	s_cbranch_execz .LBB1766_187
; %bb.186:
	v_mov_b32_e32 v9, 0
	s_delay_alu instid0(VALU_DEP_1) | instskip(NEXT) | instid1(VALU_DEP_1)
	v_lshlrev_b64 v[16:17], 1, v[8:9]
	v_add_co_u32 v16, s4, v6, v16
	s_delay_alu instid0(VALU_DEP_1)
	v_add_co_ci_u32_e64 v17, s4, v7, v17, s4
	flat_load_u16 v25, v[16:17]
.LBB1766_187:
	s_or_b32 exec_lo, exec_lo, s8
	v_cmp_ge_u32_e64 s8, v15, v28
	s_mov_b32 s9, exec_lo
                                        ; implicit-def: $vgpr16
	v_cmpx_lt_u32_e64 v15, v28
	s_cbranch_execz .LBB1766_189
; %bb.188:
	v_mov_b32_e32 v16, 0
	s_delay_alu instid0(VALU_DEP_1) | instskip(NEXT) | instid1(VALU_DEP_1)
	v_lshlrev_b64 v[16:17], 1, v[15:16]
	v_add_co_u32 v16, s4, v6, v16
	s_delay_alu instid0(VALU_DEP_1)
	v_add_co_ci_u32_e64 v17, s4, v7, v17, s4
	flat_load_u16 v16, v[16:17]
.LBB1766_189:
	s_or_b32 exec_lo, exec_lo, s9
	s_or_b32 s3, s3, s8
	s_mov_b32 s4, -1
	s_xor_b32 s3, s3, -1
	s_delay_alu instid0(SALU_CYCLE_1)
	s_and_saveexec_b32 s9, s3
	s_cbranch_execz .LBB1766_191
; %bb.190:
	s_waitcnt vmcnt(0) lgkmcnt(0)
	v_add_f16_e32 v9, 0, v16
	v_add_f16_e32 v17, 0, v25
	s_and_not1_b32 s8, s8, exec_lo
	s_delay_alu instid0(VALU_DEP_2) | instskip(NEXT) | instid1(VALU_DEP_1)
	v_cmp_lt_i16_e64 s3, -1, v9
	v_cndmask_b32_e64 v18, -1, 0xffff8000, s3
	s_delay_alu instid0(VALU_DEP_3) | instskip(NEXT) | instid1(VALU_DEP_2)
	v_cmp_lt_i16_e64 s3, -1, v17
	v_xor_b32_e32 v9, v18, v9
	s_delay_alu instid0(VALU_DEP_2) | instskip(NEXT) | instid1(VALU_DEP_1)
	v_cndmask_b32_e64 v19, -1, 0xffff8000, s3
	v_xor_b32_e32 v17, v19, v17
	s_delay_alu instid0(VALU_DEP_1) | instskip(NEXT) | instid1(VALU_DEP_1)
	v_cmp_le_u16_e64 s3, v9, v17
	s_and_b32 s3, s3, exec_lo
	s_delay_alu instid0(SALU_CYCLE_1)
	s_or_b32 s8, s8, s3
.LBB1766_191:
	s_or_b32 exec_lo, exec_lo, s9
	v_cndmask_b32_e64 v19, v15, v8, s8
	v_cndmask_b32_e64 v9, v28, v27, s8
	v_mov_b32_e32 v20, 0
	s_mov_b32 s10, 0
	s_mov_b32 s9, exec_lo
	v_add_nc_u32_e32 v23, 1, v19
	v_add_nc_u32_e32 v9, -1, v9
	v_lshlrev_b64 v[17:18], 3, v[19:20]
	s_delay_alu instid0(VALU_DEP_3) | instskip(NEXT) | instid1(VALU_DEP_3)
	v_cndmask_b32_e64 v8, v8, v23, s8
	v_min_u32_e32 v19, v23, v9
	v_cndmask_b32_e64 v9, v23, v15, s8
	s_delay_alu instid0(VALU_DEP_2) | instskip(NEXT) | instid1(VALU_DEP_1)
	v_lshlrev_b64 v[21:22], 1, v[19:20]
	v_add_co_u32 v21, s3, v6, v21
	s_delay_alu instid0(VALU_DEP_1) | instskip(SKIP_1) | instid1(VALU_DEP_1)
	v_add_co_ci_u32_e64 v22, s3, v7, v22, s3
	v_add_co_u32 v17, s3, v2, v17
	v_add_co_ci_u32_e64 v18, s3, v3, v18, s3
	s_clause 0x1
	flat_load_u16 v19, v[21:22]
	flat_load_b64 v[17:18], v[17:18] offset:2048
	s_waitcnt vmcnt(1) lgkmcnt(1)
	v_cndmask_b32_e64 v15, v19, v16, s8
	v_cndmask_b32_e64 v26, v25, v19, s8
	v_cmpx_lt_u32_e64 v9, v28
	s_cbranch_execz .LBB1766_195
; %bb.192:
	s_mov_b32 s4, exec_lo
	v_cmpx_lt_u32_e64 v8, v27
; %bb.193:
	v_add_f16_e32 v19, 0, v15
	v_add_f16_e32 v21, 0, v26
	s_delay_alu instid0(VALU_DEP_2) | instskip(NEXT) | instid1(VALU_DEP_1)
	v_cmp_lt_i16_e64 s3, -1, v19
	v_cndmask_b32_e64 v22, -1, 0xffff8000, s3
	s_delay_alu instid0(VALU_DEP_3) | instskip(NEXT) | instid1(VALU_DEP_2)
	v_cmp_lt_i16_e64 s3, -1, v21
	v_xor_b32_e32 v19, v22, v19
	s_delay_alu instid0(VALU_DEP_2) | instskip(NEXT) | instid1(VALU_DEP_1)
	v_cndmask_b32_e64 v23, -1, 0xffff8000, s3
	v_xor_b32_e32 v21, v23, v21
	s_delay_alu instid0(VALU_DEP_1) | instskip(NEXT) | instid1(VALU_DEP_1)
	v_cmp_le_u16_e64 s3, v19, v21
	s_and_b32 s10, s3, exec_lo
; %bb.194:
	s_or_b32 exec_lo, exec_lo, s4
	s_delay_alu instid0(SALU_CYCLE_1)
	s_or_not1_b32 s4, s10, exec_lo
.LBB1766_195:
	s_or_b32 exec_lo, exec_lo, s9
	v_cndmask_b32_e64 v19, v9, v8, s4
	v_cndmask_b32_e64 v21, v28, v27, s4
	s_mov_b32 s12, 0
	s_mov_b32 s9, -1
	s_mov_b32 s10, -1
	v_add_nc_u32_e32 v24, 1, v19
	v_add_nc_u32_e32 v23, -1, v21
	v_lshlrev_b64 v[21:22], 3, v[19:20]
	s_mov_b32 s11, exec_lo
	s_delay_alu instid0(VALU_DEP_2) | instskip(SKIP_2) | instid1(VALU_DEP_3)
	v_min_u32_e32 v19, v24, v23
	v_cndmask_b32_e64 v23, v24, v9, s4
	v_cndmask_b32_e64 v24, v8, v24, s4
	v_lshlrev_b64 v[19:20], 1, v[19:20]
	s_delay_alu instid0(VALU_DEP_1) | instskip(NEXT) | instid1(VALU_DEP_1)
	v_add_co_u32 v19, s3, v6, v19
	v_add_co_ci_u32_e64 v20, s3, v7, v20, s3
	flat_load_u16 v30, v[19:20]
	v_add_co_u32 v19, s3, v2, v21
	s_delay_alu instid0(VALU_DEP_1)
	v_add_co_ci_u32_e64 v20, s3, v3, v22, s3
	flat_load_b64 v[19:20], v[19:20] offset:2048
	s_waitcnt vmcnt(1) lgkmcnt(1)
	v_cndmask_b32_e64 v29, v30, v15, s4
	v_cndmask_b32_e64 v30, v26, v30, s4
	v_cmpx_lt_u32_e64 v23, v28
	s_cbranch_execz .LBB1766_199
; %bb.196:
	s_mov_b32 s10, exec_lo
	v_cmpx_lt_u32_e64 v24, v27
; %bb.197:
	v_add_f16_e32 v8, 0, v29
	v_add_f16_e32 v9, 0, v30
	s_delay_alu instid0(VALU_DEP_2) | instskip(NEXT) | instid1(VALU_DEP_1)
	v_cmp_lt_i16_e64 s3, -1, v8
	v_cndmask_b32_e64 v21, -1, 0xffff8000, s3
	s_delay_alu instid0(VALU_DEP_3) | instskip(NEXT) | instid1(VALU_DEP_2)
	v_cmp_lt_i16_e64 s3, -1, v9
	v_xor_b32_e32 v8, v21, v8
	s_delay_alu instid0(VALU_DEP_2) | instskip(NEXT) | instid1(VALU_DEP_1)
	v_cndmask_b32_e64 v22, -1, 0xffff8000, s3
	v_xor_b32_e32 v9, v22, v9
	s_delay_alu instid0(VALU_DEP_1) | instskip(NEXT) | instid1(VALU_DEP_1)
	v_cmp_le_u16_e64 s3, v8, v9
	s_and_b32 s12, s3, exec_lo
; %bb.198:
	s_or_b32 exec_lo, exec_lo, s10
	s_delay_alu instid0(SALU_CYCLE_1)
	s_or_not1_b32 s10, s12, exec_lo
.LBB1766_199:
	s_or_b32 exec_lo, exec_lo, s11
	v_cndmask_b32_e64 v8, v23, v24, s10
	v_cndmask_b32_e64 v21, v28, v27, s10
	v_mov_b32_e32 v9, 0
	s_mov_b32 s12, 0
	s_mov_b32 s11, exec_lo
	v_add_nc_u32_e32 v37, 1, v8
	v_add_nc_u32_e32 v31, -1, v21
	v_lshlrev_b64 v[21:22], 3, v[8:9]
	s_delay_alu instid0(VALU_DEP_2) | instskip(NEXT) | instid1(VALU_DEP_1)
	v_min_u32_e32 v8, v37, v31
	v_lshlrev_b64 v[31:32], 1, v[8:9]
	v_cndmask_b32_e64 v8, v37, v23, s10
	v_cndmask_b32_e64 v23, v24, v37, s10
	s_delay_alu instid0(VALU_DEP_3) | instskip(NEXT) | instid1(VALU_DEP_1)
	v_add_co_u32 v6, s3, v6, v31
	v_add_co_ci_u32_e64 v7, s3, v7, v32, s3
	flat_load_u16 v31, v[6:7]
	v_add_co_u32 v6, s3, v2, v21
	s_delay_alu instid0(VALU_DEP_1)
	v_add_co_ci_u32_e64 v7, s3, v3, v22, s3
	flat_load_b64 v[21:22], v[6:7] offset:2048
	s_waitcnt vmcnt(1) lgkmcnt(1)
	v_cndmask_b32_e64 v6, v31, v29, s10
	v_cndmask_b32_e64 v7, v30, v31, s10
	v_cmpx_lt_u32_e64 v8, v28
	s_cbranch_execz .LBB1766_203
; %bb.200:
	s_mov_b32 s9, exec_lo
	v_cmpx_lt_u32_e64 v23, v27
; %bb.201:
	v_add_f16_e32 v24, 0, v6
	v_add_f16_e32 v27, 0, v7
	s_delay_alu instid0(VALU_DEP_2) | instskip(NEXT) | instid1(VALU_DEP_1)
	v_cmp_lt_i16_e64 s3, -1, v24
	v_cndmask_b32_e64 v28, -1, 0xffff8000, s3
	s_delay_alu instid0(VALU_DEP_3) | instskip(NEXT) | instid1(VALU_DEP_2)
	v_cmp_lt_i16_e64 s3, -1, v27
	v_xor_b32_e32 v24, v28, v24
	s_delay_alu instid0(VALU_DEP_2) | instskip(NEXT) | instid1(VALU_DEP_1)
	v_cndmask_b32_e64 v31, -1, 0xffff8000, s3
	v_xor_b32_e32 v27, v31, v27
	s_delay_alu instid0(VALU_DEP_1) | instskip(NEXT) | instid1(VALU_DEP_1)
	v_cmp_le_u16_e64 s3, v24, v27
	s_and_b32 s12, s3, exec_lo
; %bb.202:
	s_or_b32 exec_lo, exec_lo, s9
	s_delay_alu instid0(SALU_CYCLE_1)
	s_or_not1_b32 s9, s12, exec_lo
.LBB1766_203:
	s_or_b32 exec_lo, exec_lo, s11
	v_cndmask_b32_e64 v8, v8, v23, s9
	v_cndmask_b32_e64 v49, v29, v30, s10
	;; [unrolled: 1-line block ×5, first 2 shown]
	v_lshlrev_b64 v[8:9], 3, v[8:9]
	s_delay_alu instid0(VALU_DEP_1) | instskip(NEXT) | instid1(VALU_DEP_1)
	v_add_co_u32 v2, s3, v2, v8
	v_add_co_ci_u32_e64 v3, s3, v3, v9, s3
	flat_load_b64 v[23:24], v[2:3] offset:2048
.LBB1766_204:
	s_or_b32 exec_lo, exec_lo, s7
	v_add_co_u32 v2, s3, v4, v33
	s_delay_alu instid0(VALU_DEP_1) | instskip(NEXT) | instid1(VALU_DEP_2)
	v_add_co_ci_u32_e64 v3, s3, v5, v34, s3
	v_add_co_u32 v2, s3, v2, v36
	s_delay_alu instid0(VALU_DEP_1)
	v_add_co_ci_u32_e64 v3, s3, 0, v3, s3
	; wave barrier
	s_waitcnt vmcnt(0) lgkmcnt(0)
	s_waitcnt_vscnt null, 0x0
	s_barrier
	buffer_gl0_inv
	; wave barrier
	s_and_saveexec_b32 s3, vcc_lo
	s_cbranch_execnz .LBB1766_226
; %bb.205:
	s_or_b32 exec_lo, exec_lo, s3
	s_and_saveexec_b32 s3, s1
	s_cbranch_execnz .LBB1766_227
.LBB1766_206:
	s_or_b32 exec_lo, exec_lo, s3
	s_and_saveexec_b32 s3, s2
	s_cbranch_execnz .LBB1766_228
.LBB1766_207:
	s_or_b32 exec_lo, exec_lo, s3
	s_and_saveexec_b32 s3, s0
	s_cbranch_execz .LBB1766_209
.LBB1766_208:
	flat_store_b16 v[2:3], v38 offset:6
.LBB1766_209:
	s_or_b32 exec_lo, exec_lo, s3
	v_add_co_u32 v0, s3, v10, v0
	s_delay_alu instid0(VALU_DEP_1) | instskip(NEXT) | instid1(VALU_DEP_2)
	v_add_co_ci_u32_e64 v1, s3, v11, v1, s3
	v_add_co_u32 v0, s3, v0, v12
	s_delay_alu instid0(VALU_DEP_1)
	v_add_co_ci_u32_e64 v1, s3, 0, v1, s3
	; wave barrier
	s_and_saveexec_b32 s3, vcc_lo
	s_cbranch_execnz .LBB1766_229
; %bb.210:
	s_or_b32 exec_lo, exec_lo, s3
	s_and_saveexec_b32 s3, s1
	s_cbranch_execnz .LBB1766_230
.LBB1766_211:
	s_or_b32 exec_lo, exec_lo, s3
	s_and_saveexec_b32 s1, s2
	s_cbranch_execz .LBB1766_213
.LBB1766_212:
	flat_store_b64 v[0:1], v[21:22] offset:16
.LBB1766_213:
	s_or_b32 exec_lo, exec_lo, s1
	v_dual_mov_b32 v8, v10 :: v_dual_mov_b32 v9, v11
	s_and_not1_b32 s1, s5, exec_lo
	s_and_b32 s0, s0, exec_lo
	s_delay_alu instid0(SALU_CYCLE_1)
	s_or_b32 s5, s1, s0
	s_or_b32 exec_lo, exec_lo, s6
	s_and_saveexec_b32 s0, s5
	s_cbranch_execz .LBB1766_3
.LBB1766_214:
	v_lshlrev_b64 v[0:1], 3, v[13:14]
	v_lshlrev_b32_e32 v2, 3, v35
	s_delay_alu instid0(VALU_DEP_2) | instskip(NEXT) | instid1(VALU_DEP_3)
	v_add_co_u32 v0, vcc_lo, v8, v0
	v_add_co_ci_u32_e32 v1, vcc_lo, v9, v1, vcc_lo
	s_delay_alu instid0(VALU_DEP_2) | instskip(NEXT) | instid1(VALU_DEP_2)
	v_add_co_u32 v0, vcc_lo, v0, v2
	v_add_co_ci_u32_e32 v1, vcc_lo, 0, v1, vcc_lo
	flat_store_b64 v[0:1], v[23:24] offset:24
	s_or_b32 exec_lo, exec_lo, s0
	s_waitcnt lgkmcnt(0)
	s_setpc_b64 s[30:31]
.LBB1766_215:
	flat_load_b64 v[17:18], v[4:5]
	s_or_b32 exec_lo, exec_lo, s3
	s_and_saveexec_b32 s3, s0
	s_cbranch_execz .LBB1766_14
.LBB1766_216:
	flat_load_b64 v[19:20], v[4:5] offset:8
	s_or_b32 exec_lo, exec_lo, s3
	s_and_saveexec_b32 s3, s1
	s_cbranch_execz .LBB1766_15
.LBB1766_217:
	flat_load_b64 v[21:22], v[4:5] offset:16
	s_or_b32 exec_lo, exec_lo, s3
	s_and_saveexec_b32 s3, s2
	s_cbranch_execnz .LBB1766_16
	s_branch .LBB1766_17
.LBB1766_218:
	flat_store_b16 v[2:3], v48
	s_or_b32 exec_lo, exec_lo, s3
	s_and_saveexec_b32 s3, s0
	s_cbranch_execz .LBB1766_101
.LBB1766_219:
	flat_store_b16 v[2:3], v39 offset:2
	s_or_b32 exec_lo, exec_lo, s3
	s_and_saveexec_b32 s3, s1
	s_cbranch_execz .LBB1766_102
.LBB1766_220:
	flat_store_b16 v[2:3], v49 offset:4
	s_or_b32 exec_lo, exec_lo, s3
	s_and_saveexec_b32 s3, s2
	s_cbranch_execnz .LBB1766_103
	s_branch .LBB1766_104
.LBB1766_221:
	flat_store_b64 v[0:1], v[17:18]
	s_or_b32 exec_lo, exec_lo, s3
	s_and_saveexec_b32 s3, s0
	s_cbranch_execz .LBB1766_106
.LBB1766_222:
	flat_store_b64 v[0:1], v[19:20] offset:8
	s_or_b32 exec_lo, exec_lo, s3
	s_and_saveexec_b32 s0, s1
	s_cbranch_execnz .LBB1766_107
	s_branch .LBB1766_108
.LBB1766_223:
	flat_load_b64 v[17:18], v[2:3]
	s_or_b32 exec_lo, exec_lo, s3
	s_and_saveexec_b32 s3, s1
	s_cbranch_execz .LBB1766_119
.LBB1766_224:
	flat_load_b64 v[19:20], v[2:3] offset:8
	s_or_b32 exec_lo, exec_lo, s3
	s_and_saveexec_b32 s3, s2
	s_cbranch_execz .LBB1766_120
.LBB1766_225:
	flat_load_b64 v[21:22], v[2:3] offset:16
	s_or_b32 exec_lo, exec_lo, s3
	s_and_saveexec_b32 s3, s0
	s_cbranch_execnz .LBB1766_121
	s_branch .LBB1766_122
.LBB1766_226:
	flat_store_b16 v[2:3], v48
	s_or_b32 exec_lo, exec_lo, s3
	s_and_saveexec_b32 s3, s1
	s_cbranch_execz .LBB1766_206
.LBB1766_227:
	flat_store_b16 v[2:3], v39 offset:2
	s_or_b32 exec_lo, exec_lo, s3
	s_and_saveexec_b32 s3, s2
	s_cbranch_execz .LBB1766_207
.LBB1766_228:
	flat_store_b16 v[2:3], v49 offset:4
	s_or_b32 exec_lo, exec_lo, s3
	s_and_saveexec_b32 s3, s0
	s_cbranch_execnz .LBB1766_208
	s_branch .LBB1766_209
.LBB1766_229:
	flat_store_b64 v[0:1], v[17:18]
	s_or_b32 exec_lo, exec_lo, s3
	s_and_saveexec_b32 s3, s1
	s_cbranch_execz .LBB1766_211
.LBB1766_230:
	flat_store_b64 v[0:1], v[19:20] offset:8
	s_or_b32 exec_lo, exec_lo, s3
	s_and_saveexec_b32 s1, s2
	s_cbranch_execnz .LBB1766_212
	s_branch .LBB1766_213
.Lfunc_end1766:
	.size	_ZN7rocprim17ROCPRIM_400000_NS6detail26segmented_warp_sort_helperINS1_20WarpSortHelperConfigILj8ELj4ELj256EEE6__halflLi256ELb1EvE4sortIPKS5_PS5_PKlPlEEvT_SA_T0_T1_SD_T2_bjjjjRNS6_12storage_typeE, .Lfunc_end1766-_ZN7rocprim17ROCPRIM_400000_NS6detail26segmented_warp_sort_helperINS1_20WarpSortHelperConfigILj8ELj4ELj256EEE6__halflLi256ELb1EvE4sortIPKS5_PS5_PKlPlEEvT_SA_T0_T1_SD_T2_bjjjjRNS6_12storage_typeE
                                        ; -- End function
	.section	.AMDGPU.csdata,"",@progbits
; Function info:
; codeLenInByte = 13948
; NumSgprs: 34
; NumVgprs: 70
; ScratchSize: 0
; MemoryBound: 1
	.section	.text._ZN7rocprim17ROCPRIM_400000_NS6detail17trampoline_kernelINS0_14default_configENS1_36segmented_radix_sort_config_selectorI6__halflEEZNS1_25segmented_radix_sort_implIS3_Lb1EPKS5_PS5_PKlPlN2at6native12_GLOBAL__N_18offset_tEEE10hipError_tPvRmT1_PNSt15iterator_traitsISL_E10value_typeET2_T3_PNSM_ISR_E10value_typeET4_jRbjT5_SX_jjP12ihipStream_tbEUlT_E1_NS1_11comp_targetILNS1_3genE9ELNS1_11target_archE1100ELNS1_3gpuE3ELNS1_3repE0EEENS1_59segmented_radix_sort_warp_sort_small_config_static_selectorELNS0_4arch9wavefront6targetE0EEEvSL_,"axG",@progbits,_ZN7rocprim17ROCPRIM_400000_NS6detail17trampoline_kernelINS0_14default_configENS1_36segmented_radix_sort_config_selectorI6__halflEEZNS1_25segmented_radix_sort_implIS3_Lb1EPKS5_PS5_PKlPlN2at6native12_GLOBAL__N_18offset_tEEE10hipError_tPvRmT1_PNSt15iterator_traitsISL_E10value_typeET2_T3_PNSM_ISR_E10value_typeET4_jRbjT5_SX_jjP12ihipStream_tbEUlT_E1_NS1_11comp_targetILNS1_3genE9ELNS1_11target_archE1100ELNS1_3gpuE3ELNS1_3repE0EEENS1_59segmented_radix_sort_warp_sort_small_config_static_selectorELNS0_4arch9wavefront6targetE0EEEvSL_,comdat
	.globl	_ZN7rocprim17ROCPRIM_400000_NS6detail17trampoline_kernelINS0_14default_configENS1_36segmented_radix_sort_config_selectorI6__halflEEZNS1_25segmented_radix_sort_implIS3_Lb1EPKS5_PS5_PKlPlN2at6native12_GLOBAL__N_18offset_tEEE10hipError_tPvRmT1_PNSt15iterator_traitsISL_E10value_typeET2_T3_PNSM_ISR_E10value_typeET4_jRbjT5_SX_jjP12ihipStream_tbEUlT_E1_NS1_11comp_targetILNS1_3genE9ELNS1_11target_archE1100ELNS1_3gpuE3ELNS1_3repE0EEENS1_59segmented_radix_sort_warp_sort_small_config_static_selectorELNS0_4arch9wavefront6targetE0EEEvSL_ ; -- Begin function _ZN7rocprim17ROCPRIM_400000_NS6detail17trampoline_kernelINS0_14default_configENS1_36segmented_radix_sort_config_selectorI6__halflEEZNS1_25segmented_radix_sort_implIS3_Lb1EPKS5_PS5_PKlPlN2at6native12_GLOBAL__N_18offset_tEEE10hipError_tPvRmT1_PNSt15iterator_traitsISL_E10value_typeET2_T3_PNSM_ISR_E10value_typeET4_jRbjT5_SX_jjP12ihipStream_tbEUlT_E1_NS1_11comp_targetILNS1_3genE9ELNS1_11target_archE1100ELNS1_3gpuE3ELNS1_3repE0EEENS1_59segmented_radix_sort_warp_sort_small_config_static_selectorELNS0_4arch9wavefront6targetE0EEEvSL_
	.p2align	8
	.type	_ZN7rocprim17ROCPRIM_400000_NS6detail17trampoline_kernelINS0_14default_configENS1_36segmented_radix_sort_config_selectorI6__halflEEZNS1_25segmented_radix_sort_implIS3_Lb1EPKS5_PS5_PKlPlN2at6native12_GLOBAL__N_18offset_tEEE10hipError_tPvRmT1_PNSt15iterator_traitsISL_E10value_typeET2_T3_PNSM_ISR_E10value_typeET4_jRbjT5_SX_jjP12ihipStream_tbEUlT_E1_NS1_11comp_targetILNS1_3genE9ELNS1_11target_archE1100ELNS1_3gpuE3ELNS1_3repE0EEENS1_59segmented_radix_sort_warp_sort_small_config_static_selectorELNS0_4arch9wavefront6targetE0EEEvSL_,@function
_ZN7rocprim17ROCPRIM_400000_NS6detail17trampoline_kernelINS0_14default_configENS1_36segmented_radix_sort_config_selectorI6__halflEEZNS1_25segmented_radix_sort_implIS3_Lb1EPKS5_PS5_PKlPlN2at6native12_GLOBAL__N_18offset_tEEE10hipError_tPvRmT1_PNSt15iterator_traitsISL_E10value_typeET2_T3_PNSM_ISR_E10value_typeET4_jRbjT5_SX_jjP12ihipStream_tbEUlT_E1_NS1_11comp_targetILNS1_3genE9ELNS1_11target_archE1100ELNS1_3gpuE3ELNS1_3repE0EEENS1_59segmented_radix_sort_warp_sort_small_config_static_selectorELNS0_4arch9wavefront6targetE0EEEvSL_: ; @_ZN7rocprim17ROCPRIM_400000_NS6detail17trampoline_kernelINS0_14default_configENS1_36segmented_radix_sort_config_selectorI6__halflEEZNS1_25segmented_radix_sort_implIS3_Lb1EPKS5_PS5_PKlPlN2at6native12_GLOBAL__N_18offset_tEEE10hipError_tPvRmT1_PNSt15iterator_traitsISL_E10value_typeET2_T3_PNSM_ISR_E10value_typeET4_jRbjT5_SX_jjP12ihipStream_tbEUlT_E1_NS1_11comp_targetILNS1_3genE9ELNS1_11target_archE1100ELNS1_3gpuE3ELNS1_3repE0EEENS1_59segmented_radix_sort_warp_sort_small_config_static_selectorELNS0_4arch9wavefront6targetE0EEEvSL_
; %bb.0:
	s_load_b32 s2, s[0:1], 0x64
	v_bfe_u32 v1, v0, 10, 10
	v_bfe_u32 v2, v0, 20, 10
	s_mov_b32 s32, 0
	s_waitcnt lgkmcnt(0)
	s_lshr_b32 s3, s2, 16
	s_and_b32 s2, s2, 0xffff
	v_mad_u32_u24 v4, v2, s3, v1
	v_and_b32_e32 v1, 0x3ff, v0
	s_load_b32 s3, s[0:1], 0x34
	s_delay_alu instid0(VALU_DEP_1) | instskip(SKIP_1) | instid1(VALU_DEP_1)
	v_mad_u64_u32 v[2:3], null, v4, s2, v[1:2]
	s_mov_b32 s2, exec_lo
	v_lshrrev_b32_e32 v1, 3, v2
	s_delay_alu instid0(VALU_DEP_1) | instskip(SKIP_1) | instid1(VALU_DEP_1)
	v_lshl_add_u32 v1, s14, 5, v1
	s_waitcnt lgkmcnt(0)
	v_cmpx_gt_u32_e64 s3, v1
	s_cbranch_execz .LBB1767_3
; %bb.1:
	s_clause 0x1
	s_load_b64 s[2:3], s[0:1], 0x38
	s_load_b128 s[4:7], s[0:1], 0x40
	v_mov_b32_e32 v2, 0
	s_delay_alu instid0(VALU_DEP_1) | instskip(SKIP_1) | instid1(VALU_DEP_1)
	v_lshlrev_b64 v[1:2], 2, v[1:2]
	s_waitcnt lgkmcnt(0)
	v_sub_co_u32 v1, vcc_lo, s2, v1
	s_delay_alu instid0(VALU_DEP_2) | instskip(SKIP_4) | instid1(VALU_DEP_2)
	v_sub_co_ci_u32_e32 v2, vcc_lo, s3, v2, vcc_lo
	global_load_b32 v1, v[1:2], off offset:-4
	s_waitcnt vmcnt(0)
	v_add_nc_u32_e32 v2, s5, v1
	v_add_nc_u32_e32 v1, s7, v1
	v_mul_lo_u32 v13, v2, s4
	s_delay_alu instid0(VALU_DEP_2) | instskip(NEXT) | instid1(VALU_DEP_1)
	v_mul_lo_u32 v14, v1, s6
	v_cmp_gt_u32_e32 vcc_lo, v14, v13
	s_and_b32 exec_lo, exec_lo, vcc_lo
	s_cbranch_execz .LBB1767_3
; %bb.2:
	s_clause 0x2
	s_load_b32 s10, s[0:1], 0x30
	s_load_b256 s[16:23], s[0:1], 0x0
	s_load_b128 s[4:7], s[0:1], 0x20
	s_add_u32 s8, s0, 0x58
	s_addc_u32 s9, s1, 0
	s_mov_b64 s[2:3], src_shared_base
	s_getpc_b64 s[0:1]
	s_add_u32 s0, s0, _ZN7rocprim17ROCPRIM_400000_NS6detail26segmented_warp_sort_helperINS1_20WarpSortHelperConfigILj8ELj4ELj256EEE6__halflLi256ELb1EvE4sortIPKS5_PS5_PKlPlEEvT_SA_T0_T1_SD_T2_bjjjjRNS6_12storage_typeE@rel32@lo+4
	s_addc_u32 s1, s1, _ZN7rocprim17ROCPRIM_400000_NS6detail26segmented_warp_sort_helperINS1_20WarpSortHelperConfigILj8ELj4ELj256EEE6__halflLi256ELb1EvE4sortIPKS5_PS5_PKlPlEEvT_SA_T0_T1_SD_T2_bjjjjRNS6_12storage_typeE@rel32@hi+12
	v_mov_b32_e32 v31, v0
	v_dual_mov_b32 v15, 0 :: v_dual_mov_b32 v16, s3
	s_mov_b32 s12, s14
	s_mov_b32 s13, s15
	s_waitcnt lgkmcnt(0)
	s_and_b32 s2, s10, 1
	v_dual_mov_b32 v0, s16 :: v_dual_mov_b32 v1, s17
	v_dual_mov_b32 v2, s18 :: v_dual_mov_b32 v3, s19
	;; [unrolled: 1-line block ×6, first 2 shown]
	v_mov_b32_e32 v12, s2
	s_swappc_b64 s[30:31], s[0:1]
.LBB1767_3:
	s_endpgm
	.section	.rodata,"a",@progbits
	.p2align	6, 0x0
	.amdhsa_kernel _ZN7rocprim17ROCPRIM_400000_NS6detail17trampoline_kernelINS0_14default_configENS1_36segmented_radix_sort_config_selectorI6__halflEEZNS1_25segmented_radix_sort_implIS3_Lb1EPKS5_PS5_PKlPlN2at6native12_GLOBAL__N_18offset_tEEE10hipError_tPvRmT1_PNSt15iterator_traitsISL_E10value_typeET2_T3_PNSM_ISR_E10value_typeET4_jRbjT5_SX_jjP12ihipStream_tbEUlT_E1_NS1_11comp_targetILNS1_3genE9ELNS1_11target_archE1100ELNS1_3gpuE3ELNS1_3repE0EEENS1_59segmented_radix_sort_warp_sort_small_config_static_selectorELNS0_4arch9wavefront6targetE0EEEvSL_
		.amdhsa_group_segment_fixed_size 10240
		.amdhsa_private_segment_fixed_size 0
		.amdhsa_kernarg_size 344
		.amdhsa_user_sgpr_count 14
		.amdhsa_user_sgpr_dispatch_ptr 0
		.amdhsa_user_sgpr_queue_ptr 0
		.amdhsa_user_sgpr_kernarg_segment_ptr 1
		.amdhsa_user_sgpr_dispatch_id 0
		.amdhsa_user_sgpr_private_segment_size 0
		.amdhsa_wavefront_size32 1
		.amdhsa_uses_dynamic_stack 0
		.amdhsa_enable_private_segment 0
		.amdhsa_system_sgpr_workgroup_id_x 1
		.amdhsa_system_sgpr_workgroup_id_y 1
		.amdhsa_system_sgpr_workgroup_id_z 0
		.amdhsa_system_sgpr_workgroup_info 0
		.amdhsa_system_vgpr_workitem_id 2
		.amdhsa_next_free_vgpr 70
		.amdhsa_next_free_sgpr 33
		.amdhsa_reserve_vcc 1
		.amdhsa_float_round_mode_32 0
		.amdhsa_float_round_mode_16_64 0
		.amdhsa_float_denorm_mode_32 3
		.amdhsa_float_denorm_mode_16_64 3
		.amdhsa_dx10_clamp 1
		.amdhsa_ieee_mode 1
		.amdhsa_fp16_overflow 0
		.amdhsa_workgroup_processor_mode 1
		.amdhsa_memory_ordered 1
		.amdhsa_forward_progress 0
		.amdhsa_shared_vgpr_count 0
		.amdhsa_exception_fp_ieee_invalid_op 0
		.amdhsa_exception_fp_denorm_src 0
		.amdhsa_exception_fp_ieee_div_zero 0
		.amdhsa_exception_fp_ieee_overflow 0
		.amdhsa_exception_fp_ieee_underflow 0
		.amdhsa_exception_fp_ieee_inexact 0
		.amdhsa_exception_int_div_zero 0
	.end_amdhsa_kernel
	.section	.text._ZN7rocprim17ROCPRIM_400000_NS6detail17trampoline_kernelINS0_14default_configENS1_36segmented_radix_sort_config_selectorI6__halflEEZNS1_25segmented_radix_sort_implIS3_Lb1EPKS5_PS5_PKlPlN2at6native12_GLOBAL__N_18offset_tEEE10hipError_tPvRmT1_PNSt15iterator_traitsISL_E10value_typeET2_T3_PNSM_ISR_E10value_typeET4_jRbjT5_SX_jjP12ihipStream_tbEUlT_E1_NS1_11comp_targetILNS1_3genE9ELNS1_11target_archE1100ELNS1_3gpuE3ELNS1_3repE0EEENS1_59segmented_radix_sort_warp_sort_small_config_static_selectorELNS0_4arch9wavefront6targetE0EEEvSL_,"axG",@progbits,_ZN7rocprim17ROCPRIM_400000_NS6detail17trampoline_kernelINS0_14default_configENS1_36segmented_radix_sort_config_selectorI6__halflEEZNS1_25segmented_radix_sort_implIS3_Lb1EPKS5_PS5_PKlPlN2at6native12_GLOBAL__N_18offset_tEEE10hipError_tPvRmT1_PNSt15iterator_traitsISL_E10value_typeET2_T3_PNSM_ISR_E10value_typeET4_jRbjT5_SX_jjP12ihipStream_tbEUlT_E1_NS1_11comp_targetILNS1_3genE9ELNS1_11target_archE1100ELNS1_3gpuE3ELNS1_3repE0EEENS1_59segmented_radix_sort_warp_sort_small_config_static_selectorELNS0_4arch9wavefront6targetE0EEEvSL_,comdat
.Lfunc_end1767:
	.size	_ZN7rocprim17ROCPRIM_400000_NS6detail17trampoline_kernelINS0_14default_configENS1_36segmented_radix_sort_config_selectorI6__halflEEZNS1_25segmented_radix_sort_implIS3_Lb1EPKS5_PS5_PKlPlN2at6native12_GLOBAL__N_18offset_tEEE10hipError_tPvRmT1_PNSt15iterator_traitsISL_E10value_typeET2_T3_PNSM_ISR_E10value_typeET4_jRbjT5_SX_jjP12ihipStream_tbEUlT_E1_NS1_11comp_targetILNS1_3genE9ELNS1_11target_archE1100ELNS1_3gpuE3ELNS1_3repE0EEENS1_59segmented_radix_sort_warp_sort_small_config_static_selectorELNS0_4arch9wavefront6targetE0EEEvSL_, .Lfunc_end1767-_ZN7rocprim17ROCPRIM_400000_NS6detail17trampoline_kernelINS0_14default_configENS1_36segmented_radix_sort_config_selectorI6__halflEEZNS1_25segmented_radix_sort_implIS3_Lb1EPKS5_PS5_PKlPlN2at6native12_GLOBAL__N_18offset_tEEE10hipError_tPvRmT1_PNSt15iterator_traitsISL_E10value_typeET2_T3_PNSM_ISR_E10value_typeET4_jRbjT5_SX_jjP12ihipStream_tbEUlT_E1_NS1_11comp_targetILNS1_3genE9ELNS1_11target_archE1100ELNS1_3gpuE3ELNS1_3repE0EEENS1_59segmented_radix_sort_warp_sort_small_config_static_selectorELNS0_4arch9wavefront6targetE0EEEvSL_
                                        ; -- End function
	.section	.AMDGPU.csdata,"",@progbits
; Kernel info:
; codeLenInByte = 376
; NumSgprs: 35
; NumVgprs: 70
; ScratchSize: 0
; MemoryBound: 0
; FloatMode: 240
; IeeeMode: 1
; LDSByteSize: 10240 bytes/workgroup (compile time only)
; SGPRBlocks: 4
; VGPRBlocks: 8
; NumSGPRsForWavesPerEU: 35
; NumVGPRsForWavesPerEU: 70
; Occupancy: 16
; WaveLimiterHint : 0
; COMPUTE_PGM_RSRC2:SCRATCH_EN: 0
; COMPUTE_PGM_RSRC2:USER_SGPR: 14
; COMPUTE_PGM_RSRC2:TRAP_HANDLER: 0
; COMPUTE_PGM_RSRC2:TGID_X_EN: 1
; COMPUTE_PGM_RSRC2:TGID_Y_EN: 1
; COMPUTE_PGM_RSRC2:TGID_Z_EN: 0
; COMPUTE_PGM_RSRC2:TIDIG_COMP_CNT: 2
	.section	.text._ZN7rocprim17ROCPRIM_400000_NS6detail17trampoline_kernelINS0_14default_configENS1_36segmented_radix_sort_config_selectorI6__halflEEZNS1_25segmented_radix_sort_implIS3_Lb1EPKS5_PS5_PKlPlN2at6native12_GLOBAL__N_18offset_tEEE10hipError_tPvRmT1_PNSt15iterator_traitsISL_E10value_typeET2_T3_PNSM_ISR_E10value_typeET4_jRbjT5_SX_jjP12ihipStream_tbEUlT_E1_NS1_11comp_targetILNS1_3genE8ELNS1_11target_archE1030ELNS1_3gpuE2ELNS1_3repE0EEENS1_59segmented_radix_sort_warp_sort_small_config_static_selectorELNS0_4arch9wavefront6targetE0EEEvSL_,"axG",@progbits,_ZN7rocprim17ROCPRIM_400000_NS6detail17trampoline_kernelINS0_14default_configENS1_36segmented_radix_sort_config_selectorI6__halflEEZNS1_25segmented_radix_sort_implIS3_Lb1EPKS5_PS5_PKlPlN2at6native12_GLOBAL__N_18offset_tEEE10hipError_tPvRmT1_PNSt15iterator_traitsISL_E10value_typeET2_T3_PNSM_ISR_E10value_typeET4_jRbjT5_SX_jjP12ihipStream_tbEUlT_E1_NS1_11comp_targetILNS1_3genE8ELNS1_11target_archE1030ELNS1_3gpuE2ELNS1_3repE0EEENS1_59segmented_radix_sort_warp_sort_small_config_static_selectorELNS0_4arch9wavefront6targetE0EEEvSL_,comdat
	.globl	_ZN7rocprim17ROCPRIM_400000_NS6detail17trampoline_kernelINS0_14default_configENS1_36segmented_radix_sort_config_selectorI6__halflEEZNS1_25segmented_radix_sort_implIS3_Lb1EPKS5_PS5_PKlPlN2at6native12_GLOBAL__N_18offset_tEEE10hipError_tPvRmT1_PNSt15iterator_traitsISL_E10value_typeET2_T3_PNSM_ISR_E10value_typeET4_jRbjT5_SX_jjP12ihipStream_tbEUlT_E1_NS1_11comp_targetILNS1_3genE8ELNS1_11target_archE1030ELNS1_3gpuE2ELNS1_3repE0EEENS1_59segmented_radix_sort_warp_sort_small_config_static_selectorELNS0_4arch9wavefront6targetE0EEEvSL_ ; -- Begin function _ZN7rocprim17ROCPRIM_400000_NS6detail17trampoline_kernelINS0_14default_configENS1_36segmented_radix_sort_config_selectorI6__halflEEZNS1_25segmented_radix_sort_implIS3_Lb1EPKS5_PS5_PKlPlN2at6native12_GLOBAL__N_18offset_tEEE10hipError_tPvRmT1_PNSt15iterator_traitsISL_E10value_typeET2_T3_PNSM_ISR_E10value_typeET4_jRbjT5_SX_jjP12ihipStream_tbEUlT_E1_NS1_11comp_targetILNS1_3genE8ELNS1_11target_archE1030ELNS1_3gpuE2ELNS1_3repE0EEENS1_59segmented_radix_sort_warp_sort_small_config_static_selectorELNS0_4arch9wavefront6targetE0EEEvSL_
	.p2align	8
	.type	_ZN7rocprim17ROCPRIM_400000_NS6detail17trampoline_kernelINS0_14default_configENS1_36segmented_radix_sort_config_selectorI6__halflEEZNS1_25segmented_radix_sort_implIS3_Lb1EPKS5_PS5_PKlPlN2at6native12_GLOBAL__N_18offset_tEEE10hipError_tPvRmT1_PNSt15iterator_traitsISL_E10value_typeET2_T3_PNSM_ISR_E10value_typeET4_jRbjT5_SX_jjP12ihipStream_tbEUlT_E1_NS1_11comp_targetILNS1_3genE8ELNS1_11target_archE1030ELNS1_3gpuE2ELNS1_3repE0EEENS1_59segmented_radix_sort_warp_sort_small_config_static_selectorELNS0_4arch9wavefront6targetE0EEEvSL_,@function
_ZN7rocprim17ROCPRIM_400000_NS6detail17trampoline_kernelINS0_14default_configENS1_36segmented_radix_sort_config_selectorI6__halflEEZNS1_25segmented_radix_sort_implIS3_Lb1EPKS5_PS5_PKlPlN2at6native12_GLOBAL__N_18offset_tEEE10hipError_tPvRmT1_PNSt15iterator_traitsISL_E10value_typeET2_T3_PNSM_ISR_E10value_typeET4_jRbjT5_SX_jjP12ihipStream_tbEUlT_E1_NS1_11comp_targetILNS1_3genE8ELNS1_11target_archE1030ELNS1_3gpuE2ELNS1_3repE0EEENS1_59segmented_radix_sort_warp_sort_small_config_static_selectorELNS0_4arch9wavefront6targetE0EEEvSL_: ; @_ZN7rocprim17ROCPRIM_400000_NS6detail17trampoline_kernelINS0_14default_configENS1_36segmented_radix_sort_config_selectorI6__halflEEZNS1_25segmented_radix_sort_implIS3_Lb1EPKS5_PS5_PKlPlN2at6native12_GLOBAL__N_18offset_tEEE10hipError_tPvRmT1_PNSt15iterator_traitsISL_E10value_typeET2_T3_PNSM_ISR_E10value_typeET4_jRbjT5_SX_jjP12ihipStream_tbEUlT_E1_NS1_11comp_targetILNS1_3genE8ELNS1_11target_archE1030ELNS1_3gpuE2ELNS1_3repE0EEENS1_59segmented_radix_sort_warp_sort_small_config_static_selectorELNS0_4arch9wavefront6targetE0EEEvSL_
; %bb.0:
	.section	.rodata,"a",@progbits
	.p2align	6, 0x0
	.amdhsa_kernel _ZN7rocprim17ROCPRIM_400000_NS6detail17trampoline_kernelINS0_14default_configENS1_36segmented_radix_sort_config_selectorI6__halflEEZNS1_25segmented_radix_sort_implIS3_Lb1EPKS5_PS5_PKlPlN2at6native12_GLOBAL__N_18offset_tEEE10hipError_tPvRmT1_PNSt15iterator_traitsISL_E10value_typeET2_T3_PNSM_ISR_E10value_typeET4_jRbjT5_SX_jjP12ihipStream_tbEUlT_E1_NS1_11comp_targetILNS1_3genE8ELNS1_11target_archE1030ELNS1_3gpuE2ELNS1_3repE0EEENS1_59segmented_radix_sort_warp_sort_small_config_static_selectorELNS0_4arch9wavefront6targetE0EEEvSL_
		.amdhsa_group_segment_fixed_size 0
		.amdhsa_private_segment_fixed_size 0
		.amdhsa_kernarg_size 88
		.amdhsa_user_sgpr_count 15
		.amdhsa_user_sgpr_dispatch_ptr 0
		.amdhsa_user_sgpr_queue_ptr 0
		.amdhsa_user_sgpr_kernarg_segment_ptr 1
		.amdhsa_user_sgpr_dispatch_id 0
		.amdhsa_user_sgpr_private_segment_size 0
		.amdhsa_wavefront_size32 1
		.amdhsa_uses_dynamic_stack 0
		.amdhsa_enable_private_segment 0
		.amdhsa_system_sgpr_workgroup_id_x 1
		.amdhsa_system_sgpr_workgroup_id_y 0
		.amdhsa_system_sgpr_workgroup_id_z 0
		.amdhsa_system_sgpr_workgroup_info 0
		.amdhsa_system_vgpr_workitem_id 0
		.amdhsa_next_free_vgpr 1
		.amdhsa_next_free_sgpr 1
		.amdhsa_reserve_vcc 0
		.amdhsa_float_round_mode_32 0
		.amdhsa_float_round_mode_16_64 0
		.amdhsa_float_denorm_mode_32 3
		.amdhsa_float_denorm_mode_16_64 3
		.amdhsa_dx10_clamp 1
		.amdhsa_ieee_mode 1
		.amdhsa_fp16_overflow 0
		.amdhsa_workgroup_processor_mode 1
		.amdhsa_memory_ordered 1
		.amdhsa_forward_progress 0
		.amdhsa_shared_vgpr_count 0
		.amdhsa_exception_fp_ieee_invalid_op 0
		.amdhsa_exception_fp_denorm_src 0
		.amdhsa_exception_fp_ieee_div_zero 0
		.amdhsa_exception_fp_ieee_overflow 0
		.amdhsa_exception_fp_ieee_underflow 0
		.amdhsa_exception_fp_ieee_inexact 0
		.amdhsa_exception_int_div_zero 0
	.end_amdhsa_kernel
	.section	.text._ZN7rocprim17ROCPRIM_400000_NS6detail17trampoline_kernelINS0_14default_configENS1_36segmented_radix_sort_config_selectorI6__halflEEZNS1_25segmented_radix_sort_implIS3_Lb1EPKS5_PS5_PKlPlN2at6native12_GLOBAL__N_18offset_tEEE10hipError_tPvRmT1_PNSt15iterator_traitsISL_E10value_typeET2_T3_PNSM_ISR_E10value_typeET4_jRbjT5_SX_jjP12ihipStream_tbEUlT_E1_NS1_11comp_targetILNS1_3genE8ELNS1_11target_archE1030ELNS1_3gpuE2ELNS1_3repE0EEENS1_59segmented_radix_sort_warp_sort_small_config_static_selectorELNS0_4arch9wavefront6targetE0EEEvSL_,"axG",@progbits,_ZN7rocprim17ROCPRIM_400000_NS6detail17trampoline_kernelINS0_14default_configENS1_36segmented_radix_sort_config_selectorI6__halflEEZNS1_25segmented_radix_sort_implIS3_Lb1EPKS5_PS5_PKlPlN2at6native12_GLOBAL__N_18offset_tEEE10hipError_tPvRmT1_PNSt15iterator_traitsISL_E10value_typeET2_T3_PNSM_ISR_E10value_typeET4_jRbjT5_SX_jjP12ihipStream_tbEUlT_E1_NS1_11comp_targetILNS1_3genE8ELNS1_11target_archE1030ELNS1_3gpuE2ELNS1_3repE0EEENS1_59segmented_radix_sort_warp_sort_small_config_static_selectorELNS0_4arch9wavefront6targetE0EEEvSL_,comdat
.Lfunc_end1768:
	.size	_ZN7rocprim17ROCPRIM_400000_NS6detail17trampoline_kernelINS0_14default_configENS1_36segmented_radix_sort_config_selectorI6__halflEEZNS1_25segmented_radix_sort_implIS3_Lb1EPKS5_PS5_PKlPlN2at6native12_GLOBAL__N_18offset_tEEE10hipError_tPvRmT1_PNSt15iterator_traitsISL_E10value_typeET2_T3_PNSM_ISR_E10value_typeET4_jRbjT5_SX_jjP12ihipStream_tbEUlT_E1_NS1_11comp_targetILNS1_3genE8ELNS1_11target_archE1030ELNS1_3gpuE2ELNS1_3repE0EEENS1_59segmented_radix_sort_warp_sort_small_config_static_selectorELNS0_4arch9wavefront6targetE0EEEvSL_, .Lfunc_end1768-_ZN7rocprim17ROCPRIM_400000_NS6detail17trampoline_kernelINS0_14default_configENS1_36segmented_radix_sort_config_selectorI6__halflEEZNS1_25segmented_radix_sort_implIS3_Lb1EPKS5_PS5_PKlPlN2at6native12_GLOBAL__N_18offset_tEEE10hipError_tPvRmT1_PNSt15iterator_traitsISL_E10value_typeET2_T3_PNSM_ISR_E10value_typeET4_jRbjT5_SX_jjP12ihipStream_tbEUlT_E1_NS1_11comp_targetILNS1_3genE8ELNS1_11target_archE1030ELNS1_3gpuE2ELNS1_3repE0EEENS1_59segmented_radix_sort_warp_sort_small_config_static_selectorELNS0_4arch9wavefront6targetE0EEEvSL_
                                        ; -- End function
	.section	.AMDGPU.csdata,"",@progbits
; Kernel info:
; codeLenInByte = 0
; NumSgprs: 0
; NumVgprs: 0
; ScratchSize: 0
; MemoryBound: 0
; FloatMode: 240
; IeeeMode: 1
; LDSByteSize: 0 bytes/workgroup (compile time only)
; SGPRBlocks: 0
; VGPRBlocks: 0
; NumSGPRsForWavesPerEU: 1
; NumVGPRsForWavesPerEU: 1
; Occupancy: 16
; WaveLimiterHint : 0
; COMPUTE_PGM_RSRC2:SCRATCH_EN: 0
; COMPUTE_PGM_RSRC2:USER_SGPR: 15
; COMPUTE_PGM_RSRC2:TRAP_HANDLER: 0
; COMPUTE_PGM_RSRC2:TGID_X_EN: 1
; COMPUTE_PGM_RSRC2:TGID_Y_EN: 0
; COMPUTE_PGM_RSRC2:TGID_Z_EN: 0
; COMPUTE_PGM_RSRC2:TIDIG_COMP_CNT: 0
	.section	.text._ZN7rocprim17ROCPRIM_400000_NS6detail17trampoline_kernelINS0_14default_configENS1_36segmented_radix_sort_config_selectorI6__halflEEZNS1_25segmented_radix_sort_implIS3_Lb1EPKS5_PS5_PKlPlN2at6native12_GLOBAL__N_18offset_tEEE10hipError_tPvRmT1_PNSt15iterator_traitsISL_E10value_typeET2_T3_PNSM_ISR_E10value_typeET4_jRbjT5_SX_jjP12ihipStream_tbEUlT_E2_NS1_11comp_targetILNS1_3genE0ELNS1_11target_archE4294967295ELNS1_3gpuE0ELNS1_3repE0EEENS1_30default_config_static_selectorELNS0_4arch9wavefront6targetE0EEEvSL_,"axG",@progbits,_ZN7rocprim17ROCPRIM_400000_NS6detail17trampoline_kernelINS0_14default_configENS1_36segmented_radix_sort_config_selectorI6__halflEEZNS1_25segmented_radix_sort_implIS3_Lb1EPKS5_PS5_PKlPlN2at6native12_GLOBAL__N_18offset_tEEE10hipError_tPvRmT1_PNSt15iterator_traitsISL_E10value_typeET2_T3_PNSM_ISR_E10value_typeET4_jRbjT5_SX_jjP12ihipStream_tbEUlT_E2_NS1_11comp_targetILNS1_3genE0ELNS1_11target_archE4294967295ELNS1_3gpuE0ELNS1_3repE0EEENS1_30default_config_static_selectorELNS0_4arch9wavefront6targetE0EEEvSL_,comdat
	.globl	_ZN7rocprim17ROCPRIM_400000_NS6detail17trampoline_kernelINS0_14default_configENS1_36segmented_radix_sort_config_selectorI6__halflEEZNS1_25segmented_radix_sort_implIS3_Lb1EPKS5_PS5_PKlPlN2at6native12_GLOBAL__N_18offset_tEEE10hipError_tPvRmT1_PNSt15iterator_traitsISL_E10value_typeET2_T3_PNSM_ISR_E10value_typeET4_jRbjT5_SX_jjP12ihipStream_tbEUlT_E2_NS1_11comp_targetILNS1_3genE0ELNS1_11target_archE4294967295ELNS1_3gpuE0ELNS1_3repE0EEENS1_30default_config_static_selectorELNS0_4arch9wavefront6targetE0EEEvSL_ ; -- Begin function _ZN7rocprim17ROCPRIM_400000_NS6detail17trampoline_kernelINS0_14default_configENS1_36segmented_radix_sort_config_selectorI6__halflEEZNS1_25segmented_radix_sort_implIS3_Lb1EPKS5_PS5_PKlPlN2at6native12_GLOBAL__N_18offset_tEEE10hipError_tPvRmT1_PNSt15iterator_traitsISL_E10value_typeET2_T3_PNSM_ISR_E10value_typeET4_jRbjT5_SX_jjP12ihipStream_tbEUlT_E2_NS1_11comp_targetILNS1_3genE0ELNS1_11target_archE4294967295ELNS1_3gpuE0ELNS1_3repE0EEENS1_30default_config_static_selectorELNS0_4arch9wavefront6targetE0EEEvSL_
	.p2align	8
	.type	_ZN7rocprim17ROCPRIM_400000_NS6detail17trampoline_kernelINS0_14default_configENS1_36segmented_radix_sort_config_selectorI6__halflEEZNS1_25segmented_radix_sort_implIS3_Lb1EPKS5_PS5_PKlPlN2at6native12_GLOBAL__N_18offset_tEEE10hipError_tPvRmT1_PNSt15iterator_traitsISL_E10value_typeET2_T3_PNSM_ISR_E10value_typeET4_jRbjT5_SX_jjP12ihipStream_tbEUlT_E2_NS1_11comp_targetILNS1_3genE0ELNS1_11target_archE4294967295ELNS1_3gpuE0ELNS1_3repE0EEENS1_30default_config_static_selectorELNS0_4arch9wavefront6targetE0EEEvSL_,@function
_ZN7rocprim17ROCPRIM_400000_NS6detail17trampoline_kernelINS0_14default_configENS1_36segmented_radix_sort_config_selectorI6__halflEEZNS1_25segmented_radix_sort_implIS3_Lb1EPKS5_PS5_PKlPlN2at6native12_GLOBAL__N_18offset_tEEE10hipError_tPvRmT1_PNSt15iterator_traitsISL_E10value_typeET2_T3_PNSM_ISR_E10value_typeET4_jRbjT5_SX_jjP12ihipStream_tbEUlT_E2_NS1_11comp_targetILNS1_3genE0ELNS1_11target_archE4294967295ELNS1_3gpuE0ELNS1_3repE0EEENS1_30default_config_static_selectorELNS0_4arch9wavefront6targetE0EEEvSL_: ; @_ZN7rocprim17ROCPRIM_400000_NS6detail17trampoline_kernelINS0_14default_configENS1_36segmented_radix_sort_config_selectorI6__halflEEZNS1_25segmented_radix_sort_implIS3_Lb1EPKS5_PS5_PKlPlN2at6native12_GLOBAL__N_18offset_tEEE10hipError_tPvRmT1_PNSt15iterator_traitsISL_E10value_typeET2_T3_PNSM_ISR_E10value_typeET4_jRbjT5_SX_jjP12ihipStream_tbEUlT_E2_NS1_11comp_targetILNS1_3genE0ELNS1_11target_archE4294967295ELNS1_3gpuE0ELNS1_3repE0EEENS1_30default_config_static_selectorELNS0_4arch9wavefront6targetE0EEEvSL_
; %bb.0:
	.section	.rodata,"a",@progbits
	.p2align	6, 0x0
	.amdhsa_kernel _ZN7rocprim17ROCPRIM_400000_NS6detail17trampoline_kernelINS0_14default_configENS1_36segmented_radix_sort_config_selectorI6__halflEEZNS1_25segmented_radix_sort_implIS3_Lb1EPKS5_PS5_PKlPlN2at6native12_GLOBAL__N_18offset_tEEE10hipError_tPvRmT1_PNSt15iterator_traitsISL_E10value_typeET2_T3_PNSM_ISR_E10value_typeET4_jRbjT5_SX_jjP12ihipStream_tbEUlT_E2_NS1_11comp_targetILNS1_3genE0ELNS1_11target_archE4294967295ELNS1_3gpuE0ELNS1_3repE0EEENS1_30default_config_static_selectorELNS0_4arch9wavefront6targetE0EEEvSL_
		.amdhsa_group_segment_fixed_size 0
		.amdhsa_private_segment_fixed_size 0
		.amdhsa_kernarg_size 80
		.amdhsa_user_sgpr_count 15
		.amdhsa_user_sgpr_dispatch_ptr 0
		.amdhsa_user_sgpr_queue_ptr 0
		.amdhsa_user_sgpr_kernarg_segment_ptr 1
		.amdhsa_user_sgpr_dispatch_id 0
		.amdhsa_user_sgpr_private_segment_size 0
		.amdhsa_wavefront_size32 1
		.amdhsa_uses_dynamic_stack 0
		.amdhsa_enable_private_segment 0
		.amdhsa_system_sgpr_workgroup_id_x 1
		.amdhsa_system_sgpr_workgroup_id_y 0
		.amdhsa_system_sgpr_workgroup_id_z 0
		.amdhsa_system_sgpr_workgroup_info 0
		.amdhsa_system_vgpr_workitem_id 0
		.amdhsa_next_free_vgpr 1
		.amdhsa_next_free_sgpr 1
		.amdhsa_reserve_vcc 0
		.amdhsa_float_round_mode_32 0
		.amdhsa_float_round_mode_16_64 0
		.amdhsa_float_denorm_mode_32 3
		.amdhsa_float_denorm_mode_16_64 3
		.amdhsa_dx10_clamp 1
		.amdhsa_ieee_mode 1
		.amdhsa_fp16_overflow 0
		.amdhsa_workgroup_processor_mode 1
		.amdhsa_memory_ordered 1
		.amdhsa_forward_progress 0
		.amdhsa_shared_vgpr_count 0
		.amdhsa_exception_fp_ieee_invalid_op 0
		.amdhsa_exception_fp_denorm_src 0
		.amdhsa_exception_fp_ieee_div_zero 0
		.amdhsa_exception_fp_ieee_overflow 0
		.amdhsa_exception_fp_ieee_underflow 0
		.amdhsa_exception_fp_ieee_inexact 0
		.amdhsa_exception_int_div_zero 0
	.end_amdhsa_kernel
	.section	.text._ZN7rocprim17ROCPRIM_400000_NS6detail17trampoline_kernelINS0_14default_configENS1_36segmented_radix_sort_config_selectorI6__halflEEZNS1_25segmented_radix_sort_implIS3_Lb1EPKS5_PS5_PKlPlN2at6native12_GLOBAL__N_18offset_tEEE10hipError_tPvRmT1_PNSt15iterator_traitsISL_E10value_typeET2_T3_PNSM_ISR_E10value_typeET4_jRbjT5_SX_jjP12ihipStream_tbEUlT_E2_NS1_11comp_targetILNS1_3genE0ELNS1_11target_archE4294967295ELNS1_3gpuE0ELNS1_3repE0EEENS1_30default_config_static_selectorELNS0_4arch9wavefront6targetE0EEEvSL_,"axG",@progbits,_ZN7rocprim17ROCPRIM_400000_NS6detail17trampoline_kernelINS0_14default_configENS1_36segmented_radix_sort_config_selectorI6__halflEEZNS1_25segmented_radix_sort_implIS3_Lb1EPKS5_PS5_PKlPlN2at6native12_GLOBAL__N_18offset_tEEE10hipError_tPvRmT1_PNSt15iterator_traitsISL_E10value_typeET2_T3_PNSM_ISR_E10value_typeET4_jRbjT5_SX_jjP12ihipStream_tbEUlT_E2_NS1_11comp_targetILNS1_3genE0ELNS1_11target_archE4294967295ELNS1_3gpuE0ELNS1_3repE0EEENS1_30default_config_static_selectorELNS0_4arch9wavefront6targetE0EEEvSL_,comdat
.Lfunc_end1769:
	.size	_ZN7rocprim17ROCPRIM_400000_NS6detail17trampoline_kernelINS0_14default_configENS1_36segmented_radix_sort_config_selectorI6__halflEEZNS1_25segmented_radix_sort_implIS3_Lb1EPKS5_PS5_PKlPlN2at6native12_GLOBAL__N_18offset_tEEE10hipError_tPvRmT1_PNSt15iterator_traitsISL_E10value_typeET2_T3_PNSM_ISR_E10value_typeET4_jRbjT5_SX_jjP12ihipStream_tbEUlT_E2_NS1_11comp_targetILNS1_3genE0ELNS1_11target_archE4294967295ELNS1_3gpuE0ELNS1_3repE0EEENS1_30default_config_static_selectorELNS0_4arch9wavefront6targetE0EEEvSL_, .Lfunc_end1769-_ZN7rocprim17ROCPRIM_400000_NS6detail17trampoline_kernelINS0_14default_configENS1_36segmented_radix_sort_config_selectorI6__halflEEZNS1_25segmented_radix_sort_implIS3_Lb1EPKS5_PS5_PKlPlN2at6native12_GLOBAL__N_18offset_tEEE10hipError_tPvRmT1_PNSt15iterator_traitsISL_E10value_typeET2_T3_PNSM_ISR_E10value_typeET4_jRbjT5_SX_jjP12ihipStream_tbEUlT_E2_NS1_11comp_targetILNS1_3genE0ELNS1_11target_archE4294967295ELNS1_3gpuE0ELNS1_3repE0EEENS1_30default_config_static_selectorELNS0_4arch9wavefront6targetE0EEEvSL_
                                        ; -- End function
	.section	.AMDGPU.csdata,"",@progbits
; Kernel info:
; codeLenInByte = 0
; NumSgprs: 0
; NumVgprs: 0
; ScratchSize: 0
; MemoryBound: 0
; FloatMode: 240
; IeeeMode: 1
; LDSByteSize: 0 bytes/workgroup (compile time only)
; SGPRBlocks: 0
; VGPRBlocks: 0
; NumSGPRsForWavesPerEU: 1
; NumVGPRsForWavesPerEU: 1
; Occupancy: 16
; WaveLimiterHint : 0
; COMPUTE_PGM_RSRC2:SCRATCH_EN: 0
; COMPUTE_PGM_RSRC2:USER_SGPR: 15
; COMPUTE_PGM_RSRC2:TRAP_HANDLER: 0
; COMPUTE_PGM_RSRC2:TGID_X_EN: 1
; COMPUTE_PGM_RSRC2:TGID_Y_EN: 0
; COMPUTE_PGM_RSRC2:TGID_Z_EN: 0
; COMPUTE_PGM_RSRC2:TIDIG_COMP_CNT: 0
	.section	.text._ZN7rocprim17ROCPRIM_400000_NS6detail17trampoline_kernelINS0_14default_configENS1_36segmented_radix_sort_config_selectorI6__halflEEZNS1_25segmented_radix_sort_implIS3_Lb1EPKS5_PS5_PKlPlN2at6native12_GLOBAL__N_18offset_tEEE10hipError_tPvRmT1_PNSt15iterator_traitsISL_E10value_typeET2_T3_PNSM_ISR_E10value_typeET4_jRbjT5_SX_jjP12ihipStream_tbEUlT_E2_NS1_11comp_targetILNS1_3genE5ELNS1_11target_archE942ELNS1_3gpuE9ELNS1_3repE0EEENS1_30default_config_static_selectorELNS0_4arch9wavefront6targetE0EEEvSL_,"axG",@progbits,_ZN7rocprim17ROCPRIM_400000_NS6detail17trampoline_kernelINS0_14default_configENS1_36segmented_radix_sort_config_selectorI6__halflEEZNS1_25segmented_radix_sort_implIS3_Lb1EPKS5_PS5_PKlPlN2at6native12_GLOBAL__N_18offset_tEEE10hipError_tPvRmT1_PNSt15iterator_traitsISL_E10value_typeET2_T3_PNSM_ISR_E10value_typeET4_jRbjT5_SX_jjP12ihipStream_tbEUlT_E2_NS1_11comp_targetILNS1_3genE5ELNS1_11target_archE942ELNS1_3gpuE9ELNS1_3repE0EEENS1_30default_config_static_selectorELNS0_4arch9wavefront6targetE0EEEvSL_,comdat
	.globl	_ZN7rocprim17ROCPRIM_400000_NS6detail17trampoline_kernelINS0_14default_configENS1_36segmented_radix_sort_config_selectorI6__halflEEZNS1_25segmented_radix_sort_implIS3_Lb1EPKS5_PS5_PKlPlN2at6native12_GLOBAL__N_18offset_tEEE10hipError_tPvRmT1_PNSt15iterator_traitsISL_E10value_typeET2_T3_PNSM_ISR_E10value_typeET4_jRbjT5_SX_jjP12ihipStream_tbEUlT_E2_NS1_11comp_targetILNS1_3genE5ELNS1_11target_archE942ELNS1_3gpuE9ELNS1_3repE0EEENS1_30default_config_static_selectorELNS0_4arch9wavefront6targetE0EEEvSL_ ; -- Begin function _ZN7rocprim17ROCPRIM_400000_NS6detail17trampoline_kernelINS0_14default_configENS1_36segmented_radix_sort_config_selectorI6__halflEEZNS1_25segmented_radix_sort_implIS3_Lb1EPKS5_PS5_PKlPlN2at6native12_GLOBAL__N_18offset_tEEE10hipError_tPvRmT1_PNSt15iterator_traitsISL_E10value_typeET2_T3_PNSM_ISR_E10value_typeET4_jRbjT5_SX_jjP12ihipStream_tbEUlT_E2_NS1_11comp_targetILNS1_3genE5ELNS1_11target_archE942ELNS1_3gpuE9ELNS1_3repE0EEENS1_30default_config_static_selectorELNS0_4arch9wavefront6targetE0EEEvSL_
	.p2align	8
	.type	_ZN7rocprim17ROCPRIM_400000_NS6detail17trampoline_kernelINS0_14default_configENS1_36segmented_radix_sort_config_selectorI6__halflEEZNS1_25segmented_radix_sort_implIS3_Lb1EPKS5_PS5_PKlPlN2at6native12_GLOBAL__N_18offset_tEEE10hipError_tPvRmT1_PNSt15iterator_traitsISL_E10value_typeET2_T3_PNSM_ISR_E10value_typeET4_jRbjT5_SX_jjP12ihipStream_tbEUlT_E2_NS1_11comp_targetILNS1_3genE5ELNS1_11target_archE942ELNS1_3gpuE9ELNS1_3repE0EEENS1_30default_config_static_selectorELNS0_4arch9wavefront6targetE0EEEvSL_,@function
_ZN7rocprim17ROCPRIM_400000_NS6detail17trampoline_kernelINS0_14default_configENS1_36segmented_radix_sort_config_selectorI6__halflEEZNS1_25segmented_radix_sort_implIS3_Lb1EPKS5_PS5_PKlPlN2at6native12_GLOBAL__N_18offset_tEEE10hipError_tPvRmT1_PNSt15iterator_traitsISL_E10value_typeET2_T3_PNSM_ISR_E10value_typeET4_jRbjT5_SX_jjP12ihipStream_tbEUlT_E2_NS1_11comp_targetILNS1_3genE5ELNS1_11target_archE942ELNS1_3gpuE9ELNS1_3repE0EEENS1_30default_config_static_selectorELNS0_4arch9wavefront6targetE0EEEvSL_: ; @_ZN7rocprim17ROCPRIM_400000_NS6detail17trampoline_kernelINS0_14default_configENS1_36segmented_radix_sort_config_selectorI6__halflEEZNS1_25segmented_radix_sort_implIS3_Lb1EPKS5_PS5_PKlPlN2at6native12_GLOBAL__N_18offset_tEEE10hipError_tPvRmT1_PNSt15iterator_traitsISL_E10value_typeET2_T3_PNSM_ISR_E10value_typeET4_jRbjT5_SX_jjP12ihipStream_tbEUlT_E2_NS1_11comp_targetILNS1_3genE5ELNS1_11target_archE942ELNS1_3gpuE9ELNS1_3repE0EEENS1_30default_config_static_selectorELNS0_4arch9wavefront6targetE0EEEvSL_
; %bb.0:
	.section	.rodata,"a",@progbits
	.p2align	6, 0x0
	.amdhsa_kernel _ZN7rocprim17ROCPRIM_400000_NS6detail17trampoline_kernelINS0_14default_configENS1_36segmented_radix_sort_config_selectorI6__halflEEZNS1_25segmented_radix_sort_implIS3_Lb1EPKS5_PS5_PKlPlN2at6native12_GLOBAL__N_18offset_tEEE10hipError_tPvRmT1_PNSt15iterator_traitsISL_E10value_typeET2_T3_PNSM_ISR_E10value_typeET4_jRbjT5_SX_jjP12ihipStream_tbEUlT_E2_NS1_11comp_targetILNS1_3genE5ELNS1_11target_archE942ELNS1_3gpuE9ELNS1_3repE0EEENS1_30default_config_static_selectorELNS0_4arch9wavefront6targetE0EEEvSL_
		.amdhsa_group_segment_fixed_size 0
		.amdhsa_private_segment_fixed_size 0
		.amdhsa_kernarg_size 80
		.amdhsa_user_sgpr_count 15
		.amdhsa_user_sgpr_dispatch_ptr 0
		.amdhsa_user_sgpr_queue_ptr 0
		.amdhsa_user_sgpr_kernarg_segment_ptr 1
		.amdhsa_user_sgpr_dispatch_id 0
		.amdhsa_user_sgpr_private_segment_size 0
		.amdhsa_wavefront_size32 1
		.amdhsa_uses_dynamic_stack 0
		.amdhsa_enable_private_segment 0
		.amdhsa_system_sgpr_workgroup_id_x 1
		.amdhsa_system_sgpr_workgroup_id_y 0
		.amdhsa_system_sgpr_workgroup_id_z 0
		.amdhsa_system_sgpr_workgroup_info 0
		.amdhsa_system_vgpr_workitem_id 0
		.amdhsa_next_free_vgpr 1
		.amdhsa_next_free_sgpr 1
		.amdhsa_reserve_vcc 0
		.amdhsa_float_round_mode_32 0
		.amdhsa_float_round_mode_16_64 0
		.amdhsa_float_denorm_mode_32 3
		.amdhsa_float_denorm_mode_16_64 3
		.amdhsa_dx10_clamp 1
		.amdhsa_ieee_mode 1
		.amdhsa_fp16_overflow 0
		.amdhsa_workgroup_processor_mode 1
		.amdhsa_memory_ordered 1
		.amdhsa_forward_progress 0
		.amdhsa_shared_vgpr_count 0
		.amdhsa_exception_fp_ieee_invalid_op 0
		.amdhsa_exception_fp_denorm_src 0
		.amdhsa_exception_fp_ieee_div_zero 0
		.amdhsa_exception_fp_ieee_overflow 0
		.amdhsa_exception_fp_ieee_underflow 0
		.amdhsa_exception_fp_ieee_inexact 0
		.amdhsa_exception_int_div_zero 0
	.end_amdhsa_kernel
	.section	.text._ZN7rocprim17ROCPRIM_400000_NS6detail17trampoline_kernelINS0_14default_configENS1_36segmented_radix_sort_config_selectorI6__halflEEZNS1_25segmented_radix_sort_implIS3_Lb1EPKS5_PS5_PKlPlN2at6native12_GLOBAL__N_18offset_tEEE10hipError_tPvRmT1_PNSt15iterator_traitsISL_E10value_typeET2_T3_PNSM_ISR_E10value_typeET4_jRbjT5_SX_jjP12ihipStream_tbEUlT_E2_NS1_11comp_targetILNS1_3genE5ELNS1_11target_archE942ELNS1_3gpuE9ELNS1_3repE0EEENS1_30default_config_static_selectorELNS0_4arch9wavefront6targetE0EEEvSL_,"axG",@progbits,_ZN7rocprim17ROCPRIM_400000_NS6detail17trampoline_kernelINS0_14default_configENS1_36segmented_radix_sort_config_selectorI6__halflEEZNS1_25segmented_radix_sort_implIS3_Lb1EPKS5_PS5_PKlPlN2at6native12_GLOBAL__N_18offset_tEEE10hipError_tPvRmT1_PNSt15iterator_traitsISL_E10value_typeET2_T3_PNSM_ISR_E10value_typeET4_jRbjT5_SX_jjP12ihipStream_tbEUlT_E2_NS1_11comp_targetILNS1_3genE5ELNS1_11target_archE942ELNS1_3gpuE9ELNS1_3repE0EEENS1_30default_config_static_selectorELNS0_4arch9wavefront6targetE0EEEvSL_,comdat
.Lfunc_end1770:
	.size	_ZN7rocprim17ROCPRIM_400000_NS6detail17trampoline_kernelINS0_14default_configENS1_36segmented_radix_sort_config_selectorI6__halflEEZNS1_25segmented_radix_sort_implIS3_Lb1EPKS5_PS5_PKlPlN2at6native12_GLOBAL__N_18offset_tEEE10hipError_tPvRmT1_PNSt15iterator_traitsISL_E10value_typeET2_T3_PNSM_ISR_E10value_typeET4_jRbjT5_SX_jjP12ihipStream_tbEUlT_E2_NS1_11comp_targetILNS1_3genE5ELNS1_11target_archE942ELNS1_3gpuE9ELNS1_3repE0EEENS1_30default_config_static_selectorELNS0_4arch9wavefront6targetE0EEEvSL_, .Lfunc_end1770-_ZN7rocprim17ROCPRIM_400000_NS6detail17trampoline_kernelINS0_14default_configENS1_36segmented_radix_sort_config_selectorI6__halflEEZNS1_25segmented_radix_sort_implIS3_Lb1EPKS5_PS5_PKlPlN2at6native12_GLOBAL__N_18offset_tEEE10hipError_tPvRmT1_PNSt15iterator_traitsISL_E10value_typeET2_T3_PNSM_ISR_E10value_typeET4_jRbjT5_SX_jjP12ihipStream_tbEUlT_E2_NS1_11comp_targetILNS1_3genE5ELNS1_11target_archE942ELNS1_3gpuE9ELNS1_3repE0EEENS1_30default_config_static_selectorELNS0_4arch9wavefront6targetE0EEEvSL_
                                        ; -- End function
	.section	.AMDGPU.csdata,"",@progbits
; Kernel info:
; codeLenInByte = 0
; NumSgprs: 0
; NumVgprs: 0
; ScratchSize: 0
; MemoryBound: 0
; FloatMode: 240
; IeeeMode: 1
; LDSByteSize: 0 bytes/workgroup (compile time only)
; SGPRBlocks: 0
; VGPRBlocks: 0
; NumSGPRsForWavesPerEU: 1
; NumVGPRsForWavesPerEU: 1
; Occupancy: 16
; WaveLimiterHint : 0
; COMPUTE_PGM_RSRC2:SCRATCH_EN: 0
; COMPUTE_PGM_RSRC2:USER_SGPR: 15
; COMPUTE_PGM_RSRC2:TRAP_HANDLER: 0
; COMPUTE_PGM_RSRC2:TGID_X_EN: 1
; COMPUTE_PGM_RSRC2:TGID_Y_EN: 0
; COMPUTE_PGM_RSRC2:TGID_Z_EN: 0
; COMPUTE_PGM_RSRC2:TIDIG_COMP_CNT: 0
	.section	.text._ZN7rocprim17ROCPRIM_400000_NS6detail17trampoline_kernelINS0_14default_configENS1_36segmented_radix_sort_config_selectorI6__halflEEZNS1_25segmented_radix_sort_implIS3_Lb1EPKS5_PS5_PKlPlN2at6native12_GLOBAL__N_18offset_tEEE10hipError_tPvRmT1_PNSt15iterator_traitsISL_E10value_typeET2_T3_PNSM_ISR_E10value_typeET4_jRbjT5_SX_jjP12ihipStream_tbEUlT_E2_NS1_11comp_targetILNS1_3genE4ELNS1_11target_archE910ELNS1_3gpuE8ELNS1_3repE0EEENS1_30default_config_static_selectorELNS0_4arch9wavefront6targetE0EEEvSL_,"axG",@progbits,_ZN7rocprim17ROCPRIM_400000_NS6detail17trampoline_kernelINS0_14default_configENS1_36segmented_radix_sort_config_selectorI6__halflEEZNS1_25segmented_radix_sort_implIS3_Lb1EPKS5_PS5_PKlPlN2at6native12_GLOBAL__N_18offset_tEEE10hipError_tPvRmT1_PNSt15iterator_traitsISL_E10value_typeET2_T3_PNSM_ISR_E10value_typeET4_jRbjT5_SX_jjP12ihipStream_tbEUlT_E2_NS1_11comp_targetILNS1_3genE4ELNS1_11target_archE910ELNS1_3gpuE8ELNS1_3repE0EEENS1_30default_config_static_selectorELNS0_4arch9wavefront6targetE0EEEvSL_,comdat
	.globl	_ZN7rocprim17ROCPRIM_400000_NS6detail17trampoline_kernelINS0_14default_configENS1_36segmented_radix_sort_config_selectorI6__halflEEZNS1_25segmented_radix_sort_implIS3_Lb1EPKS5_PS5_PKlPlN2at6native12_GLOBAL__N_18offset_tEEE10hipError_tPvRmT1_PNSt15iterator_traitsISL_E10value_typeET2_T3_PNSM_ISR_E10value_typeET4_jRbjT5_SX_jjP12ihipStream_tbEUlT_E2_NS1_11comp_targetILNS1_3genE4ELNS1_11target_archE910ELNS1_3gpuE8ELNS1_3repE0EEENS1_30default_config_static_selectorELNS0_4arch9wavefront6targetE0EEEvSL_ ; -- Begin function _ZN7rocprim17ROCPRIM_400000_NS6detail17trampoline_kernelINS0_14default_configENS1_36segmented_radix_sort_config_selectorI6__halflEEZNS1_25segmented_radix_sort_implIS3_Lb1EPKS5_PS5_PKlPlN2at6native12_GLOBAL__N_18offset_tEEE10hipError_tPvRmT1_PNSt15iterator_traitsISL_E10value_typeET2_T3_PNSM_ISR_E10value_typeET4_jRbjT5_SX_jjP12ihipStream_tbEUlT_E2_NS1_11comp_targetILNS1_3genE4ELNS1_11target_archE910ELNS1_3gpuE8ELNS1_3repE0EEENS1_30default_config_static_selectorELNS0_4arch9wavefront6targetE0EEEvSL_
	.p2align	8
	.type	_ZN7rocprim17ROCPRIM_400000_NS6detail17trampoline_kernelINS0_14default_configENS1_36segmented_radix_sort_config_selectorI6__halflEEZNS1_25segmented_radix_sort_implIS3_Lb1EPKS5_PS5_PKlPlN2at6native12_GLOBAL__N_18offset_tEEE10hipError_tPvRmT1_PNSt15iterator_traitsISL_E10value_typeET2_T3_PNSM_ISR_E10value_typeET4_jRbjT5_SX_jjP12ihipStream_tbEUlT_E2_NS1_11comp_targetILNS1_3genE4ELNS1_11target_archE910ELNS1_3gpuE8ELNS1_3repE0EEENS1_30default_config_static_selectorELNS0_4arch9wavefront6targetE0EEEvSL_,@function
_ZN7rocprim17ROCPRIM_400000_NS6detail17trampoline_kernelINS0_14default_configENS1_36segmented_radix_sort_config_selectorI6__halflEEZNS1_25segmented_radix_sort_implIS3_Lb1EPKS5_PS5_PKlPlN2at6native12_GLOBAL__N_18offset_tEEE10hipError_tPvRmT1_PNSt15iterator_traitsISL_E10value_typeET2_T3_PNSM_ISR_E10value_typeET4_jRbjT5_SX_jjP12ihipStream_tbEUlT_E2_NS1_11comp_targetILNS1_3genE4ELNS1_11target_archE910ELNS1_3gpuE8ELNS1_3repE0EEENS1_30default_config_static_selectorELNS0_4arch9wavefront6targetE0EEEvSL_: ; @_ZN7rocprim17ROCPRIM_400000_NS6detail17trampoline_kernelINS0_14default_configENS1_36segmented_radix_sort_config_selectorI6__halflEEZNS1_25segmented_radix_sort_implIS3_Lb1EPKS5_PS5_PKlPlN2at6native12_GLOBAL__N_18offset_tEEE10hipError_tPvRmT1_PNSt15iterator_traitsISL_E10value_typeET2_T3_PNSM_ISR_E10value_typeET4_jRbjT5_SX_jjP12ihipStream_tbEUlT_E2_NS1_11comp_targetILNS1_3genE4ELNS1_11target_archE910ELNS1_3gpuE8ELNS1_3repE0EEENS1_30default_config_static_selectorELNS0_4arch9wavefront6targetE0EEEvSL_
; %bb.0:
	.section	.rodata,"a",@progbits
	.p2align	6, 0x0
	.amdhsa_kernel _ZN7rocprim17ROCPRIM_400000_NS6detail17trampoline_kernelINS0_14default_configENS1_36segmented_radix_sort_config_selectorI6__halflEEZNS1_25segmented_radix_sort_implIS3_Lb1EPKS5_PS5_PKlPlN2at6native12_GLOBAL__N_18offset_tEEE10hipError_tPvRmT1_PNSt15iterator_traitsISL_E10value_typeET2_T3_PNSM_ISR_E10value_typeET4_jRbjT5_SX_jjP12ihipStream_tbEUlT_E2_NS1_11comp_targetILNS1_3genE4ELNS1_11target_archE910ELNS1_3gpuE8ELNS1_3repE0EEENS1_30default_config_static_selectorELNS0_4arch9wavefront6targetE0EEEvSL_
		.amdhsa_group_segment_fixed_size 0
		.amdhsa_private_segment_fixed_size 0
		.amdhsa_kernarg_size 80
		.amdhsa_user_sgpr_count 15
		.amdhsa_user_sgpr_dispatch_ptr 0
		.amdhsa_user_sgpr_queue_ptr 0
		.amdhsa_user_sgpr_kernarg_segment_ptr 1
		.amdhsa_user_sgpr_dispatch_id 0
		.amdhsa_user_sgpr_private_segment_size 0
		.amdhsa_wavefront_size32 1
		.amdhsa_uses_dynamic_stack 0
		.amdhsa_enable_private_segment 0
		.amdhsa_system_sgpr_workgroup_id_x 1
		.amdhsa_system_sgpr_workgroup_id_y 0
		.amdhsa_system_sgpr_workgroup_id_z 0
		.amdhsa_system_sgpr_workgroup_info 0
		.amdhsa_system_vgpr_workitem_id 0
		.amdhsa_next_free_vgpr 1
		.amdhsa_next_free_sgpr 1
		.amdhsa_reserve_vcc 0
		.amdhsa_float_round_mode_32 0
		.amdhsa_float_round_mode_16_64 0
		.amdhsa_float_denorm_mode_32 3
		.amdhsa_float_denorm_mode_16_64 3
		.amdhsa_dx10_clamp 1
		.amdhsa_ieee_mode 1
		.amdhsa_fp16_overflow 0
		.amdhsa_workgroup_processor_mode 1
		.amdhsa_memory_ordered 1
		.amdhsa_forward_progress 0
		.amdhsa_shared_vgpr_count 0
		.amdhsa_exception_fp_ieee_invalid_op 0
		.amdhsa_exception_fp_denorm_src 0
		.amdhsa_exception_fp_ieee_div_zero 0
		.amdhsa_exception_fp_ieee_overflow 0
		.amdhsa_exception_fp_ieee_underflow 0
		.amdhsa_exception_fp_ieee_inexact 0
		.amdhsa_exception_int_div_zero 0
	.end_amdhsa_kernel
	.section	.text._ZN7rocprim17ROCPRIM_400000_NS6detail17trampoline_kernelINS0_14default_configENS1_36segmented_radix_sort_config_selectorI6__halflEEZNS1_25segmented_radix_sort_implIS3_Lb1EPKS5_PS5_PKlPlN2at6native12_GLOBAL__N_18offset_tEEE10hipError_tPvRmT1_PNSt15iterator_traitsISL_E10value_typeET2_T3_PNSM_ISR_E10value_typeET4_jRbjT5_SX_jjP12ihipStream_tbEUlT_E2_NS1_11comp_targetILNS1_3genE4ELNS1_11target_archE910ELNS1_3gpuE8ELNS1_3repE0EEENS1_30default_config_static_selectorELNS0_4arch9wavefront6targetE0EEEvSL_,"axG",@progbits,_ZN7rocprim17ROCPRIM_400000_NS6detail17trampoline_kernelINS0_14default_configENS1_36segmented_radix_sort_config_selectorI6__halflEEZNS1_25segmented_radix_sort_implIS3_Lb1EPKS5_PS5_PKlPlN2at6native12_GLOBAL__N_18offset_tEEE10hipError_tPvRmT1_PNSt15iterator_traitsISL_E10value_typeET2_T3_PNSM_ISR_E10value_typeET4_jRbjT5_SX_jjP12ihipStream_tbEUlT_E2_NS1_11comp_targetILNS1_3genE4ELNS1_11target_archE910ELNS1_3gpuE8ELNS1_3repE0EEENS1_30default_config_static_selectorELNS0_4arch9wavefront6targetE0EEEvSL_,comdat
.Lfunc_end1771:
	.size	_ZN7rocprim17ROCPRIM_400000_NS6detail17trampoline_kernelINS0_14default_configENS1_36segmented_radix_sort_config_selectorI6__halflEEZNS1_25segmented_radix_sort_implIS3_Lb1EPKS5_PS5_PKlPlN2at6native12_GLOBAL__N_18offset_tEEE10hipError_tPvRmT1_PNSt15iterator_traitsISL_E10value_typeET2_T3_PNSM_ISR_E10value_typeET4_jRbjT5_SX_jjP12ihipStream_tbEUlT_E2_NS1_11comp_targetILNS1_3genE4ELNS1_11target_archE910ELNS1_3gpuE8ELNS1_3repE0EEENS1_30default_config_static_selectorELNS0_4arch9wavefront6targetE0EEEvSL_, .Lfunc_end1771-_ZN7rocprim17ROCPRIM_400000_NS6detail17trampoline_kernelINS0_14default_configENS1_36segmented_radix_sort_config_selectorI6__halflEEZNS1_25segmented_radix_sort_implIS3_Lb1EPKS5_PS5_PKlPlN2at6native12_GLOBAL__N_18offset_tEEE10hipError_tPvRmT1_PNSt15iterator_traitsISL_E10value_typeET2_T3_PNSM_ISR_E10value_typeET4_jRbjT5_SX_jjP12ihipStream_tbEUlT_E2_NS1_11comp_targetILNS1_3genE4ELNS1_11target_archE910ELNS1_3gpuE8ELNS1_3repE0EEENS1_30default_config_static_selectorELNS0_4arch9wavefront6targetE0EEEvSL_
                                        ; -- End function
	.section	.AMDGPU.csdata,"",@progbits
; Kernel info:
; codeLenInByte = 0
; NumSgprs: 0
; NumVgprs: 0
; ScratchSize: 0
; MemoryBound: 0
; FloatMode: 240
; IeeeMode: 1
; LDSByteSize: 0 bytes/workgroup (compile time only)
; SGPRBlocks: 0
; VGPRBlocks: 0
; NumSGPRsForWavesPerEU: 1
; NumVGPRsForWavesPerEU: 1
; Occupancy: 16
; WaveLimiterHint : 0
; COMPUTE_PGM_RSRC2:SCRATCH_EN: 0
; COMPUTE_PGM_RSRC2:USER_SGPR: 15
; COMPUTE_PGM_RSRC2:TRAP_HANDLER: 0
; COMPUTE_PGM_RSRC2:TGID_X_EN: 1
; COMPUTE_PGM_RSRC2:TGID_Y_EN: 0
; COMPUTE_PGM_RSRC2:TGID_Z_EN: 0
; COMPUTE_PGM_RSRC2:TIDIG_COMP_CNT: 0
	.section	.text._ZN7rocprim17ROCPRIM_400000_NS6detail17trampoline_kernelINS0_14default_configENS1_36segmented_radix_sort_config_selectorI6__halflEEZNS1_25segmented_radix_sort_implIS3_Lb1EPKS5_PS5_PKlPlN2at6native12_GLOBAL__N_18offset_tEEE10hipError_tPvRmT1_PNSt15iterator_traitsISL_E10value_typeET2_T3_PNSM_ISR_E10value_typeET4_jRbjT5_SX_jjP12ihipStream_tbEUlT_E2_NS1_11comp_targetILNS1_3genE3ELNS1_11target_archE908ELNS1_3gpuE7ELNS1_3repE0EEENS1_30default_config_static_selectorELNS0_4arch9wavefront6targetE0EEEvSL_,"axG",@progbits,_ZN7rocprim17ROCPRIM_400000_NS6detail17trampoline_kernelINS0_14default_configENS1_36segmented_radix_sort_config_selectorI6__halflEEZNS1_25segmented_radix_sort_implIS3_Lb1EPKS5_PS5_PKlPlN2at6native12_GLOBAL__N_18offset_tEEE10hipError_tPvRmT1_PNSt15iterator_traitsISL_E10value_typeET2_T3_PNSM_ISR_E10value_typeET4_jRbjT5_SX_jjP12ihipStream_tbEUlT_E2_NS1_11comp_targetILNS1_3genE3ELNS1_11target_archE908ELNS1_3gpuE7ELNS1_3repE0EEENS1_30default_config_static_selectorELNS0_4arch9wavefront6targetE0EEEvSL_,comdat
	.globl	_ZN7rocprim17ROCPRIM_400000_NS6detail17trampoline_kernelINS0_14default_configENS1_36segmented_radix_sort_config_selectorI6__halflEEZNS1_25segmented_radix_sort_implIS3_Lb1EPKS5_PS5_PKlPlN2at6native12_GLOBAL__N_18offset_tEEE10hipError_tPvRmT1_PNSt15iterator_traitsISL_E10value_typeET2_T3_PNSM_ISR_E10value_typeET4_jRbjT5_SX_jjP12ihipStream_tbEUlT_E2_NS1_11comp_targetILNS1_3genE3ELNS1_11target_archE908ELNS1_3gpuE7ELNS1_3repE0EEENS1_30default_config_static_selectorELNS0_4arch9wavefront6targetE0EEEvSL_ ; -- Begin function _ZN7rocprim17ROCPRIM_400000_NS6detail17trampoline_kernelINS0_14default_configENS1_36segmented_radix_sort_config_selectorI6__halflEEZNS1_25segmented_radix_sort_implIS3_Lb1EPKS5_PS5_PKlPlN2at6native12_GLOBAL__N_18offset_tEEE10hipError_tPvRmT1_PNSt15iterator_traitsISL_E10value_typeET2_T3_PNSM_ISR_E10value_typeET4_jRbjT5_SX_jjP12ihipStream_tbEUlT_E2_NS1_11comp_targetILNS1_3genE3ELNS1_11target_archE908ELNS1_3gpuE7ELNS1_3repE0EEENS1_30default_config_static_selectorELNS0_4arch9wavefront6targetE0EEEvSL_
	.p2align	8
	.type	_ZN7rocprim17ROCPRIM_400000_NS6detail17trampoline_kernelINS0_14default_configENS1_36segmented_radix_sort_config_selectorI6__halflEEZNS1_25segmented_radix_sort_implIS3_Lb1EPKS5_PS5_PKlPlN2at6native12_GLOBAL__N_18offset_tEEE10hipError_tPvRmT1_PNSt15iterator_traitsISL_E10value_typeET2_T3_PNSM_ISR_E10value_typeET4_jRbjT5_SX_jjP12ihipStream_tbEUlT_E2_NS1_11comp_targetILNS1_3genE3ELNS1_11target_archE908ELNS1_3gpuE7ELNS1_3repE0EEENS1_30default_config_static_selectorELNS0_4arch9wavefront6targetE0EEEvSL_,@function
_ZN7rocprim17ROCPRIM_400000_NS6detail17trampoline_kernelINS0_14default_configENS1_36segmented_radix_sort_config_selectorI6__halflEEZNS1_25segmented_radix_sort_implIS3_Lb1EPKS5_PS5_PKlPlN2at6native12_GLOBAL__N_18offset_tEEE10hipError_tPvRmT1_PNSt15iterator_traitsISL_E10value_typeET2_T3_PNSM_ISR_E10value_typeET4_jRbjT5_SX_jjP12ihipStream_tbEUlT_E2_NS1_11comp_targetILNS1_3genE3ELNS1_11target_archE908ELNS1_3gpuE7ELNS1_3repE0EEENS1_30default_config_static_selectorELNS0_4arch9wavefront6targetE0EEEvSL_: ; @_ZN7rocprim17ROCPRIM_400000_NS6detail17trampoline_kernelINS0_14default_configENS1_36segmented_radix_sort_config_selectorI6__halflEEZNS1_25segmented_radix_sort_implIS3_Lb1EPKS5_PS5_PKlPlN2at6native12_GLOBAL__N_18offset_tEEE10hipError_tPvRmT1_PNSt15iterator_traitsISL_E10value_typeET2_T3_PNSM_ISR_E10value_typeET4_jRbjT5_SX_jjP12ihipStream_tbEUlT_E2_NS1_11comp_targetILNS1_3genE3ELNS1_11target_archE908ELNS1_3gpuE7ELNS1_3repE0EEENS1_30default_config_static_selectorELNS0_4arch9wavefront6targetE0EEEvSL_
; %bb.0:
	.section	.rodata,"a",@progbits
	.p2align	6, 0x0
	.amdhsa_kernel _ZN7rocprim17ROCPRIM_400000_NS6detail17trampoline_kernelINS0_14default_configENS1_36segmented_radix_sort_config_selectorI6__halflEEZNS1_25segmented_radix_sort_implIS3_Lb1EPKS5_PS5_PKlPlN2at6native12_GLOBAL__N_18offset_tEEE10hipError_tPvRmT1_PNSt15iterator_traitsISL_E10value_typeET2_T3_PNSM_ISR_E10value_typeET4_jRbjT5_SX_jjP12ihipStream_tbEUlT_E2_NS1_11comp_targetILNS1_3genE3ELNS1_11target_archE908ELNS1_3gpuE7ELNS1_3repE0EEENS1_30default_config_static_selectorELNS0_4arch9wavefront6targetE0EEEvSL_
		.amdhsa_group_segment_fixed_size 0
		.amdhsa_private_segment_fixed_size 0
		.amdhsa_kernarg_size 80
		.amdhsa_user_sgpr_count 15
		.amdhsa_user_sgpr_dispatch_ptr 0
		.amdhsa_user_sgpr_queue_ptr 0
		.amdhsa_user_sgpr_kernarg_segment_ptr 1
		.amdhsa_user_sgpr_dispatch_id 0
		.amdhsa_user_sgpr_private_segment_size 0
		.amdhsa_wavefront_size32 1
		.amdhsa_uses_dynamic_stack 0
		.amdhsa_enable_private_segment 0
		.amdhsa_system_sgpr_workgroup_id_x 1
		.amdhsa_system_sgpr_workgroup_id_y 0
		.amdhsa_system_sgpr_workgroup_id_z 0
		.amdhsa_system_sgpr_workgroup_info 0
		.amdhsa_system_vgpr_workitem_id 0
		.amdhsa_next_free_vgpr 1
		.amdhsa_next_free_sgpr 1
		.amdhsa_reserve_vcc 0
		.amdhsa_float_round_mode_32 0
		.amdhsa_float_round_mode_16_64 0
		.amdhsa_float_denorm_mode_32 3
		.amdhsa_float_denorm_mode_16_64 3
		.amdhsa_dx10_clamp 1
		.amdhsa_ieee_mode 1
		.amdhsa_fp16_overflow 0
		.amdhsa_workgroup_processor_mode 1
		.amdhsa_memory_ordered 1
		.amdhsa_forward_progress 0
		.amdhsa_shared_vgpr_count 0
		.amdhsa_exception_fp_ieee_invalid_op 0
		.amdhsa_exception_fp_denorm_src 0
		.amdhsa_exception_fp_ieee_div_zero 0
		.amdhsa_exception_fp_ieee_overflow 0
		.amdhsa_exception_fp_ieee_underflow 0
		.amdhsa_exception_fp_ieee_inexact 0
		.amdhsa_exception_int_div_zero 0
	.end_amdhsa_kernel
	.section	.text._ZN7rocprim17ROCPRIM_400000_NS6detail17trampoline_kernelINS0_14default_configENS1_36segmented_radix_sort_config_selectorI6__halflEEZNS1_25segmented_radix_sort_implIS3_Lb1EPKS5_PS5_PKlPlN2at6native12_GLOBAL__N_18offset_tEEE10hipError_tPvRmT1_PNSt15iterator_traitsISL_E10value_typeET2_T3_PNSM_ISR_E10value_typeET4_jRbjT5_SX_jjP12ihipStream_tbEUlT_E2_NS1_11comp_targetILNS1_3genE3ELNS1_11target_archE908ELNS1_3gpuE7ELNS1_3repE0EEENS1_30default_config_static_selectorELNS0_4arch9wavefront6targetE0EEEvSL_,"axG",@progbits,_ZN7rocprim17ROCPRIM_400000_NS6detail17trampoline_kernelINS0_14default_configENS1_36segmented_radix_sort_config_selectorI6__halflEEZNS1_25segmented_radix_sort_implIS3_Lb1EPKS5_PS5_PKlPlN2at6native12_GLOBAL__N_18offset_tEEE10hipError_tPvRmT1_PNSt15iterator_traitsISL_E10value_typeET2_T3_PNSM_ISR_E10value_typeET4_jRbjT5_SX_jjP12ihipStream_tbEUlT_E2_NS1_11comp_targetILNS1_3genE3ELNS1_11target_archE908ELNS1_3gpuE7ELNS1_3repE0EEENS1_30default_config_static_selectorELNS0_4arch9wavefront6targetE0EEEvSL_,comdat
.Lfunc_end1772:
	.size	_ZN7rocprim17ROCPRIM_400000_NS6detail17trampoline_kernelINS0_14default_configENS1_36segmented_radix_sort_config_selectorI6__halflEEZNS1_25segmented_radix_sort_implIS3_Lb1EPKS5_PS5_PKlPlN2at6native12_GLOBAL__N_18offset_tEEE10hipError_tPvRmT1_PNSt15iterator_traitsISL_E10value_typeET2_T3_PNSM_ISR_E10value_typeET4_jRbjT5_SX_jjP12ihipStream_tbEUlT_E2_NS1_11comp_targetILNS1_3genE3ELNS1_11target_archE908ELNS1_3gpuE7ELNS1_3repE0EEENS1_30default_config_static_selectorELNS0_4arch9wavefront6targetE0EEEvSL_, .Lfunc_end1772-_ZN7rocprim17ROCPRIM_400000_NS6detail17trampoline_kernelINS0_14default_configENS1_36segmented_radix_sort_config_selectorI6__halflEEZNS1_25segmented_radix_sort_implIS3_Lb1EPKS5_PS5_PKlPlN2at6native12_GLOBAL__N_18offset_tEEE10hipError_tPvRmT1_PNSt15iterator_traitsISL_E10value_typeET2_T3_PNSM_ISR_E10value_typeET4_jRbjT5_SX_jjP12ihipStream_tbEUlT_E2_NS1_11comp_targetILNS1_3genE3ELNS1_11target_archE908ELNS1_3gpuE7ELNS1_3repE0EEENS1_30default_config_static_selectorELNS0_4arch9wavefront6targetE0EEEvSL_
                                        ; -- End function
	.section	.AMDGPU.csdata,"",@progbits
; Kernel info:
; codeLenInByte = 0
; NumSgprs: 0
; NumVgprs: 0
; ScratchSize: 0
; MemoryBound: 0
; FloatMode: 240
; IeeeMode: 1
; LDSByteSize: 0 bytes/workgroup (compile time only)
; SGPRBlocks: 0
; VGPRBlocks: 0
; NumSGPRsForWavesPerEU: 1
; NumVGPRsForWavesPerEU: 1
; Occupancy: 16
; WaveLimiterHint : 0
; COMPUTE_PGM_RSRC2:SCRATCH_EN: 0
; COMPUTE_PGM_RSRC2:USER_SGPR: 15
; COMPUTE_PGM_RSRC2:TRAP_HANDLER: 0
; COMPUTE_PGM_RSRC2:TGID_X_EN: 1
; COMPUTE_PGM_RSRC2:TGID_Y_EN: 0
; COMPUTE_PGM_RSRC2:TGID_Z_EN: 0
; COMPUTE_PGM_RSRC2:TIDIG_COMP_CNT: 0
	.section	.text._ZN7rocprim17ROCPRIM_400000_NS6detail17trampoline_kernelINS0_14default_configENS1_36segmented_radix_sort_config_selectorI6__halflEEZNS1_25segmented_radix_sort_implIS3_Lb1EPKS5_PS5_PKlPlN2at6native12_GLOBAL__N_18offset_tEEE10hipError_tPvRmT1_PNSt15iterator_traitsISL_E10value_typeET2_T3_PNSM_ISR_E10value_typeET4_jRbjT5_SX_jjP12ihipStream_tbEUlT_E2_NS1_11comp_targetILNS1_3genE2ELNS1_11target_archE906ELNS1_3gpuE6ELNS1_3repE0EEENS1_30default_config_static_selectorELNS0_4arch9wavefront6targetE0EEEvSL_,"axG",@progbits,_ZN7rocprim17ROCPRIM_400000_NS6detail17trampoline_kernelINS0_14default_configENS1_36segmented_radix_sort_config_selectorI6__halflEEZNS1_25segmented_radix_sort_implIS3_Lb1EPKS5_PS5_PKlPlN2at6native12_GLOBAL__N_18offset_tEEE10hipError_tPvRmT1_PNSt15iterator_traitsISL_E10value_typeET2_T3_PNSM_ISR_E10value_typeET4_jRbjT5_SX_jjP12ihipStream_tbEUlT_E2_NS1_11comp_targetILNS1_3genE2ELNS1_11target_archE906ELNS1_3gpuE6ELNS1_3repE0EEENS1_30default_config_static_selectorELNS0_4arch9wavefront6targetE0EEEvSL_,comdat
	.globl	_ZN7rocprim17ROCPRIM_400000_NS6detail17trampoline_kernelINS0_14default_configENS1_36segmented_radix_sort_config_selectorI6__halflEEZNS1_25segmented_radix_sort_implIS3_Lb1EPKS5_PS5_PKlPlN2at6native12_GLOBAL__N_18offset_tEEE10hipError_tPvRmT1_PNSt15iterator_traitsISL_E10value_typeET2_T3_PNSM_ISR_E10value_typeET4_jRbjT5_SX_jjP12ihipStream_tbEUlT_E2_NS1_11comp_targetILNS1_3genE2ELNS1_11target_archE906ELNS1_3gpuE6ELNS1_3repE0EEENS1_30default_config_static_selectorELNS0_4arch9wavefront6targetE0EEEvSL_ ; -- Begin function _ZN7rocprim17ROCPRIM_400000_NS6detail17trampoline_kernelINS0_14default_configENS1_36segmented_radix_sort_config_selectorI6__halflEEZNS1_25segmented_radix_sort_implIS3_Lb1EPKS5_PS5_PKlPlN2at6native12_GLOBAL__N_18offset_tEEE10hipError_tPvRmT1_PNSt15iterator_traitsISL_E10value_typeET2_T3_PNSM_ISR_E10value_typeET4_jRbjT5_SX_jjP12ihipStream_tbEUlT_E2_NS1_11comp_targetILNS1_3genE2ELNS1_11target_archE906ELNS1_3gpuE6ELNS1_3repE0EEENS1_30default_config_static_selectorELNS0_4arch9wavefront6targetE0EEEvSL_
	.p2align	8
	.type	_ZN7rocprim17ROCPRIM_400000_NS6detail17trampoline_kernelINS0_14default_configENS1_36segmented_radix_sort_config_selectorI6__halflEEZNS1_25segmented_radix_sort_implIS3_Lb1EPKS5_PS5_PKlPlN2at6native12_GLOBAL__N_18offset_tEEE10hipError_tPvRmT1_PNSt15iterator_traitsISL_E10value_typeET2_T3_PNSM_ISR_E10value_typeET4_jRbjT5_SX_jjP12ihipStream_tbEUlT_E2_NS1_11comp_targetILNS1_3genE2ELNS1_11target_archE906ELNS1_3gpuE6ELNS1_3repE0EEENS1_30default_config_static_selectorELNS0_4arch9wavefront6targetE0EEEvSL_,@function
_ZN7rocprim17ROCPRIM_400000_NS6detail17trampoline_kernelINS0_14default_configENS1_36segmented_radix_sort_config_selectorI6__halflEEZNS1_25segmented_radix_sort_implIS3_Lb1EPKS5_PS5_PKlPlN2at6native12_GLOBAL__N_18offset_tEEE10hipError_tPvRmT1_PNSt15iterator_traitsISL_E10value_typeET2_T3_PNSM_ISR_E10value_typeET4_jRbjT5_SX_jjP12ihipStream_tbEUlT_E2_NS1_11comp_targetILNS1_3genE2ELNS1_11target_archE906ELNS1_3gpuE6ELNS1_3repE0EEENS1_30default_config_static_selectorELNS0_4arch9wavefront6targetE0EEEvSL_: ; @_ZN7rocprim17ROCPRIM_400000_NS6detail17trampoline_kernelINS0_14default_configENS1_36segmented_radix_sort_config_selectorI6__halflEEZNS1_25segmented_radix_sort_implIS3_Lb1EPKS5_PS5_PKlPlN2at6native12_GLOBAL__N_18offset_tEEE10hipError_tPvRmT1_PNSt15iterator_traitsISL_E10value_typeET2_T3_PNSM_ISR_E10value_typeET4_jRbjT5_SX_jjP12ihipStream_tbEUlT_E2_NS1_11comp_targetILNS1_3genE2ELNS1_11target_archE906ELNS1_3gpuE6ELNS1_3repE0EEENS1_30default_config_static_selectorELNS0_4arch9wavefront6targetE0EEEvSL_
; %bb.0:
	.section	.rodata,"a",@progbits
	.p2align	6, 0x0
	.amdhsa_kernel _ZN7rocprim17ROCPRIM_400000_NS6detail17trampoline_kernelINS0_14default_configENS1_36segmented_radix_sort_config_selectorI6__halflEEZNS1_25segmented_radix_sort_implIS3_Lb1EPKS5_PS5_PKlPlN2at6native12_GLOBAL__N_18offset_tEEE10hipError_tPvRmT1_PNSt15iterator_traitsISL_E10value_typeET2_T3_PNSM_ISR_E10value_typeET4_jRbjT5_SX_jjP12ihipStream_tbEUlT_E2_NS1_11comp_targetILNS1_3genE2ELNS1_11target_archE906ELNS1_3gpuE6ELNS1_3repE0EEENS1_30default_config_static_selectorELNS0_4arch9wavefront6targetE0EEEvSL_
		.amdhsa_group_segment_fixed_size 0
		.amdhsa_private_segment_fixed_size 0
		.amdhsa_kernarg_size 80
		.amdhsa_user_sgpr_count 15
		.amdhsa_user_sgpr_dispatch_ptr 0
		.amdhsa_user_sgpr_queue_ptr 0
		.amdhsa_user_sgpr_kernarg_segment_ptr 1
		.amdhsa_user_sgpr_dispatch_id 0
		.amdhsa_user_sgpr_private_segment_size 0
		.amdhsa_wavefront_size32 1
		.amdhsa_uses_dynamic_stack 0
		.amdhsa_enable_private_segment 0
		.amdhsa_system_sgpr_workgroup_id_x 1
		.amdhsa_system_sgpr_workgroup_id_y 0
		.amdhsa_system_sgpr_workgroup_id_z 0
		.amdhsa_system_sgpr_workgroup_info 0
		.amdhsa_system_vgpr_workitem_id 0
		.amdhsa_next_free_vgpr 1
		.amdhsa_next_free_sgpr 1
		.amdhsa_reserve_vcc 0
		.amdhsa_float_round_mode_32 0
		.amdhsa_float_round_mode_16_64 0
		.amdhsa_float_denorm_mode_32 3
		.amdhsa_float_denorm_mode_16_64 3
		.amdhsa_dx10_clamp 1
		.amdhsa_ieee_mode 1
		.amdhsa_fp16_overflow 0
		.amdhsa_workgroup_processor_mode 1
		.amdhsa_memory_ordered 1
		.amdhsa_forward_progress 0
		.amdhsa_shared_vgpr_count 0
		.amdhsa_exception_fp_ieee_invalid_op 0
		.amdhsa_exception_fp_denorm_src 0
		.amdhsa_exception_fp_ieee_div_zero 0
		.amdhsa_exception_fp_ieee_overflow 0
		.amdhsa_exception_fp_ieee_underflow 0
		.amdhsa_exception_fp_ieee_inexact 0
		.amdhsa_exception_int_div_zero 0
	.end_amdhsa_kernel
	.section	.text._ZN7rocprim17ROCPRIM_400000_NS6detail17trampoline_kernelINS0_14default_configENS1_36segmented_radix_sort_config_selectorI6__halflEEZNS1_25segmented_radix_sort_implIS3_Lb1EPKS5_PS5_PKlPlN2at6native12_GLOBAL__N_18offset_tEEE10hipError_tPvRmT1_PNSt15iterator_traitsISL_E10value_typeET2_T3_PNSM_ISR_E10value_typeET4_jRbjT5_SX_jjP12ihipStream_tbEUlT_E2_NS1_11comp_targetILNS1_3genE2ELNS1_11target_archE906ELNS1_3gpuE6ELNS1_3repE0EEENS1_30default_config_static_selectorELNS0_4arch9wavefront6targetE0EEEvSL_,"axG",@progbits,_ZN7rocprim17ROCPRIM_400000_NS6detail17trampoline_kernelINS0_14default_configENS1_36segmented_radix_sort_config_selectorI6__halflEEZNS1_25segmented_radix_sort_implIS3_Lb1EPKS5_PS5_PKlPlN2at6native12_GLOBAL__N_18offset_tEEE10hipError_tPvRmT1_PNSt15iterator_traitsISL_E10value_typeET2_T3_PNSM_ISR_E10value_typeET4_jRbjT5_SX_jjP12ihipStream_tbEUlT_E2_NS1_11comp_targetILNS1_3genE2ELNS1_11target_archE906ELNS1_3gpuE6ELNS1_3repE0EEENS1_30default_config_static_selectorELNS0_4arch9wavefront6targetE0EEEvSL_,comdat
.Lfunc_end1773:
	.size	_ZN7rocprim17ROCPRIM_400000_NS6detail17trampoline_kernelINS0_14default_configENS1_36segmented_radix_sort_config_selectorI6__halflEEZNS1_25segmented_radix_sort_implIS3_Lb1EPKS5_PS5_PKlPlN2at6native12_GLOBAL__N_18offset_tEEE10hipError_tPvRmT1_PNSt15iterator_traitsISL_E10value_typeET2_T3_PNSM_ISR_E10value_typeET4_jRbjT5_SX_jjP12ihipStream_tbEUlT_E2_NS1_11comp_targetILNS1_3genE2ELNS1_11target_archE906ELNS1_3gpuE6ELNS1_3repE0EEENS1_30default_config_static_selectorELNS0_4arch9wavefront6targetE0EEEvSL_, .Lfunc_end1773-_ZN7rocprim17ROCPRIM_400000_NS6detail17trampoline_kernelINS0_14default_configENS1_36segmented_radix_sort_config_selectorI6__halflEEZNS1_25segmented_radix_sort_implIS3_Lb1EPKS5_PS5_PKlPlN2at6native12_GLOBAL__N_18offset_tEEE10hipError_tPvRmT1_PNSt15iterator_traitsISL_E10value_typeET2_T3_PNSM_ISR_E10value_typeET4_jRbjT5_SX_jjP12ihipStream_tbEUlT_E2_NS1_11comp_targetILNS1_3genE2ELNS1_11target_archE906ELNS1_3gpuE6ELNS1_3repE0EEENS1_30default_config_static_selectorELNS0_4arch9wavefront6targetE0EEEvSL_
                                        ; -- End function
	.section	.AMDGPU.csdata,"",@progbits
; Kernel info:
; codeLenInByte = 0
; NumSgprs: 0
; NumVgprs: 0
; ScratchSize: 0
; MemoryBound: 0
; FloatMode: 240
; IeeeMode: 1
; LDSByteSize: 0 bytes/workgroup (compile time only)
; SGPRBlocks: 0
; VGPRBlocks: 0
; NumSGPRsForWavesPerEU: 1
; NumVGPRsForWavesPerEU: 1
; Occupancy: 16
; WaveLimiterHint : 0
; COMPUTE_PGM_RSRC2:SCRATCH_EN: 0
; COMPUTE_PGM_RSRC2:USER_SGPR: 15
; COMPUTE_PGM_RSRC2:TRAP_HANDLER: 0
; COMPUTE_PGM_RSRC2:TGID_X_EN: 1
; COMPUTE_PGM_RSRC2:TGID_Y_EN: 0
; COMPUTE_PGM_RSRC2:TGID_Z_EN: 0
; COMPUTE_PGM_RSRC2:TIDIG_COMP_CNT: 0
	.section	.text._ZN7rocprim17ROCPRIM_400000_NS6detail17trampoline_kernelINS0_14default_configENS1_36segmented_radix_sort_config_selectorI6__halflEEZNS1_25segmented_radix_sort_implIS3_Lb1EPKS5_PS5_PKlPlN2at6native12_GLOBAL__N_18offset_tEEE10hipError_tPvRmT1_PNSt15iterator_traitsISL_E10value_typeET2_T3_PNSM_ISR_E10value_typeET4_jRbjT5_SX_jjP12ihipStream_tbEUlT_E2_NS1_11comp_targetILNS1_3genE10ELNS1_11target_archE1201ELNS1_3gpuE5ELNS1_3repE0EEENS1_30default_config_static_selectorELNS0_4arch9wavefront6targetE0EEEvSL_,"axG",@progbits,_ZN7rocprim17ROCPRIM_400000_NS6detail17trampoline_kernelINS0_14default_configENS1_36segmented_radix_sort_config_selectorI6__halflEEZNS1_25segmented_radix_sort_implIS3_Lb1EPKS5_PS5_PKlPlN2at6native12_GLOBAL__N_18offset_tEEE10hipError_tPvRmT1_PNSt15iterator_traitsISL_E10value_typeET2_T3_PNSM_ISR_E10value_typeET4_jRbjT5_SX_jjP12ihipStream_tbEUlT_E2_NS1_11comp_targetILNS1_3genE10ELNS1_11target_archE1201ELNS1_3gpuE5ELNS1_3repE0EEENS1_30default_config_static_selectorELNS0_4arch9wavefront6targetE0EEEvSL_,comdat
	.globl	_ZN7rocprim17ROCPRIM_400000_NS6detail17trampoline_kernelINS0_14default_configENS1_36segmented_radix_sort_config_selectorI6__halflEEZNS1_25segmented_radix_sort_implIS3_Lb1EPKS5_PS5_PKlPlN2at6native12_GLOBAL__N_18offset_tEEE10hipError_tPvRmT1_PNSt15iterator_traitsISL_E10value_typeET2_T3_PNSM_ISR_E10value_typeET4_jRbjT5_SX_jjP12ihipStream_tbEUlT_E2_NS1_11comp_targetILNS1_3genE10ELNS1_11target_archE1201ELNS1_3gpuE5ELNS1_3repE0EEENS1_30default_config_static_selectorELNS0_4arch9wavefront6targetE0EEEvSL_ ; -- Begin function _ZN7rocprim17ROCPRIM_400000_NS6detail17trampoline_kernelINS0_14default_configENS1_36segmented_radix_sort_config_selectorI6__halflEEZNS1_25segmented_radix_sort_implIS3_Lb1EPKS5_PS5_PKlPlN2at6native12_GLOBAL__N_18offset_tEEE10hipError_tPvRmT1_PNSt15iterator_traitsISL_E10value_typeET2_T3_PNSM_ISR_E10value_typeET4_jRbjT5_SX_jjP12ihipStream_tbEUlT_E2_NS1_11comp_targetILNS1_3genE10ELNS1_11target_archE1201ELNS1_3gpuE5ELNS1_3repE0EEENS1_30default_config_static_selectorELNS0_4arch9wavefront6targetE0EEEvSL_
	.p2align	8
	.type	_ZN7rocprim17ROCPRIM_400000_NS6detail17trampoline_kernelINS0_14default_configENS1_36segmented_radix_sort_config_selectorI6__halflEEZNS1_25segmented_radix_sort_implIS3_Lb1EPKS5_PS5_PKlPlN2at6native12_GLOBAL__N_18offset_tEEE10hipError_tPvRmT1_PNSt15iterator_traitsISL_E10value_typeET2_T3_PNSM_ISR_E10value_typeET4_jRbjT5_SX_jjP12ihipStream_tbEUlT_E2_NS1_11comp_targetILNS1_3genE10ELNS1_11target_archE1201ELNS1_3gpuE5ELNS1_3repE0EEENS1_30default_config_static_selectorELNS0_4arch9wavefront6targetE0EEEvSL_,@function
_ZN7rocprim17ROCPRIM_400000_NS6detail17trampoline_kernelINS0_14default_configENS1_36segmented_radix_sort_config_selectorI6__halflEEZNS1_25segmented_radix_sort_implIS3_Lb1EPKS5_PS5_PKlPlN2at6native12_GLOBAL__N_18offset_tEEE10hipError_tPvRmT1_PNSt15iterator_traitsISL_E10value_typeET2_T3_PNSM_ISR_E10value_typeET4_jRbjT5_SX_jjP12ihipStream_tbEUlT_E2_NS1_11comp_targetILNS1_3genE10ELNS1_11target_archE1201ELNS1_3gpuE5ELNS1_3repE0EEENS1_30default_config_static_selectorELNS0_4arch9wavefront6targetE0EEEvSL_: ; @_ZN7rocprim17ROCPRIM_400000_NS6detail17trampoline_kernelINS0_14default_configENS1_36segmented_radix_sort_config_selectorI6__halflEEZNS1_25segmented_radix_sort_implIS3_Lb1EPKS5_PS5_PKlPlN2at6native12_GLOBAL__N_18offset_tEEE10hipError_tPvRmT1_PNSt15iterator_traitsISL_E10value_typeET2_T3_PNSM_ISR_E10value_typeET4_jRbjT5_SX_jjP12ihipStream_tbEUlT_E2_NS1_11comp_targetILNS1_3genE10ELNS1_11target_archE1201ELNS1_3gpuE5ELNS1_3repE0EEENS1_30default_config_static_selectorELNS0_4arch9wavefront6targetE0EEEvSL_
; %bb.0:
	.section	.rodata,"a",@progbits
	.p2align	6, 0x0
	.amdhsa_kernel _ZN7rocprim17ROCPRIM_400000_NS6detail17trampoline_kernelINS0_14default_configENS1_36segmented_radix_sort_config_selectorI6__halflEEZNS1_25segmented_radix_sort_implIS3_Lb1EPKS5_PS5_PKlPlN2at6native12_GLOBAL__N_18offset_tEEE10hipError_tPvRmT1_PNSt15iterator_traitsISL_E10value_typeET2_T3_PNSM_ISR_E10value_typeET4_jRbjT5_SX_jjP12ihipStream_tbEUlT_E2_NS1_11comp_targetILNS1_3genE10ELNS1_11target_archE1201ELNS1_3gpuE5ELNS1_3repE0EEENS1_30default_config_static_selectorELNS0_4arch9wavefront6targetE0EEEvSL_
		.amdhsa_group_segment_fixed_size 0
		.amdhsa_private_segment_fixed_size 0
		.amdhsa_kernarg_size 80
		.amdhsa_user_sgpr_count 15
		.amdhsa_user_sgpr_dispatch_ptr 0
		.amdhsa_user_sgpr_queue_ptr 0
		.amdhsa_user_sgpr_kernarg_segment_ptr 1
		.amdhsa_user_sgpr_dispatch_id 0
		.amdhsa_user_sgpr_private_segment_size 0
		.amdhsa_wavefront_size32 1
		.amdhsa_uses_dynamic_stack 0
		.amdhsa_enable_private_segment 0
		.amdhsa_system_sgpr_workgroup_id_x 1
		.amdhsa_system_sgpr_workgroup_id_y 0
		.amdhsa_system_sgpr_workgroup_id_z 0
		.amdhsa_system_sgpr_workgroup_info 0
		.amdhsa_system_vgpr_workitem_id 0
		.amdhsa_next_free_vgpr 1
		.amdhsa_next_free_sgpr 1
		.amdhsa_reserve_vcc 0
		.amdhsa_float_round_mode_32 0
		.amdhsa_float_round_mode_16_64 0
		.amdhsa_float_denorm_mode_32 3
		.amdhsa_float_denorm_mode_16_64 3
		.amdhsa_dx10_clamp 1
		.amdhsa_ieee_mode 1
		.amdhsa_fp16_overflow 0
		.amdhsa_workgroup_processor_mode 1
		.amdhsa_memory_ordered 1
		.amdhsa_forward_progress 0
		.amdhsa_shared_vgpr_count 0
		.amdhsa_exception_fp_ieee_invalid_op 0
		.amdhsa_exception_fp_denorm_src 0
		.amdhsa_exception_fp_ieee_div_zero 0
		.amdhsa_exception_fp_ieee_overflow 0
		.amdhsa_exception_fp_ieee_underflow 0
		.amdhsa_exception_fp_ieee_inexact 0
		.amdhsa_exception_int_div_zero 0
	.end_amdhsa_kernel
	.section	.text._ZN7rocprim17ROCPRIM_400000_NS6detail17trampoline_kernelINS0_14default_configENS1_36segmented_radix_sort_config_selectorI6__halflEEZNS1_25segmented_radix_sort_implIS3_Lb1EPKS5_PS5_PKlPlN2at6native12_GLOBAL__N_18offset_tEEE10hipError_tPvRmT1_PNSt15iterator_traitsISL_E10value_typeET2_T3_PNSM_ISR_E10value_typeET4_jRbjT5_SX_jjP12ihipStream_tbEUlT_E2_NS1_11comp_targetILNS1_3genE10ELNS1_11target_archE1201ELNS1_3gpuE5ELNS1_3repE0EEENS1_30default_config_static_selectorELNS0_4arch9wavefront6targetE0EEEvSL_,"axG",@progbits,_ZN7rocprim17ROCPRIM_400000_NS6detail17trampoline_kernelINS0_14default_configENS1_36segmented_radix_sort_config_selectorI6__halflEEZNS1_25segmented_radix_sort_implIS3_Lb1EPKS5_PS5_PKlPlN2at6native12_GLOBAL__N_18offset_tEEE10hipError_tPvRmT1_PNSt15iterator_traitsISL_E10value_typeET2_T3_PNSM_ISR_E10value_typeET4_jRbjT5_SX_jjP12ihipStream_tbEUlT_E2_NS1_11comp_targetILNS1_3genE10ELNS1_11target_archE1201ELNS1_3gpuE5ELNS1_3repE0EEENS1_30default_config_static_selectorELNS0_4arch9wavefront6targetE0EEEvSL_,comdat
.Lfunc_end1774:
	.size	_ZN7rocprim17ROCPRIM_400000_NS6detail17trampoline_kernelINS0_14default_configENS1_36segmented_radix_sort_config_selectorI6__halflEEZNS1_25segmented_radix_sort_implIS3_Lb1EPKS5_PS5_PKlPlN2at6native12_GLOBAL__N_18offset_tEEE10hipError_tPvRmT1_PNSt15iterator_traitsISL_E10value_typeET2_T3_PNSM_ISR_E10value_typeET4_jRbjT5_SX_jjP12ihipStream_tbEUlT_E2_NS1_11comp_targetILNS1_3genE10ELNS1_11target_archE1201ELNS1_3gpuE5ELNS1_3repE0EEENS1_30default_config_static_selectorELNS0_4arch9wavefront6targetE0EEEvSL_, .Lfunc_end1774-_ZN7rocprim17ROCPRIM_400000_NS6detail17trampoline_kernelINS0_14default_configENS1_36segmented_radix_sort_config_selectorI6__halflEEZNS1_25segmented_radix_sort_implIS3_Lb1EPKS5_PS5_PKlPlN2at6native12_GLOBAL__N_18offset_tEEE10hipError_tPvRmT1_PNSt15iterator_traitsISL_E10value_typeET2_T3_PNSM_ISR_E10value_typeET4_jRbjT5_SX_jjP12ihipStream_tbEUlT_E2_NS1_11comp_targetILNS1_3genE10ELNS1_11target_archE1201ELNS1_3gpuE5ELNS1_3repE0EEENS1_30default_config_static_selectorELNS0_4arch9wavefront6targetE0EEEvSL_
                                        ; -- End function
	.section	.AMDGPU.csdata,"",@progbits
; Kernel info:
; codeLenInByte = 0
; NumSgprs: 0
; NumVgprs: 0
; ScratchSize: 0
; MemoryBound: 0
; FloatMode: 240
; IeeeMode: 1
; LDSByteSize: 0 bytes/workgroup (compile time only)
; SGPRBlocks: 0
; VGPRBlocks: 0
; NumSGPRsForWavesPerEU: 1
; NumVGPRsForWavesPerEU: 1
; Occupancy: 16
; WaveLimiterHint : 0
; COMPUTE_PGM_RSRC2:SCRATCH_EN: 0
; COMPUTE_PGM_RSRC2:USER_SGPR: 15
; COMPUTE_PGM_RSRC2:TRAP_HANDLER: 0
; COMPUTE_PGM_RSRC2:TGID_X_EN: 1
; COMPUTE_PGM_RSRC2:TGID_Y_EN: 0
; COMPUTE_PGM_RSRC2:TGID_Z_EN: 0
; COMPUTE_PGM_RSRC2:TIDIG_COMP_CNT: 0
	.section	.text._ZN7rocprim17ROCPRIM_400000_NS6detail17trampoline_kernelINS0_14default_configENS1_36segmented_radix_sort_config_selectorI6__halflEEZNS1_25segmented_radix_sort_implIS3_Lb1EPKS5_PS5_PKlPlN2at6native12_GLOBAL__N_18offset_tEEE10hipError_tPvRmT1_PNSt15iterator_traitsISL_E10value_typeET2_T3_PNSM_ISR_E10value_typeET4_jRbjT5_SX_jjP12ihipStream_tbEUlT_E2_NS1_11comp_targetILNS1_3genE10ELNS1_11target_archE1200ELNS1_3gpuE4ELNS1_3repE0EEENS1_30default_config_static_selectorELNS0_4arch9wavefront6targetE0EEEvSL_,"axG",@progbits,_ZN7rocprim17ROCPRIM_400000_NS6detail17trampoline_kernelINS0_14default_configENS1_36segmented_radix_sort_config_selectorI6__halflEEZNS1_25segmented_radix_sort_implIS3_Lb1EPKS5_PS5_PKlPlN2at6native12_GLOBAL__N_18offset_tEEE10hipError_tPvRmT1_PNSt15iterator_traitsISL_E10value_typeET2_T3_PNSM_ISR_E10value_typeET4_jRbjT5_SX_jjP12ihipStream_tbEUlT_E2_NS1_11comp_targetILNS1_3genE10ELNS1_11target_archE1200ELNS1_3gpuE4ELNS1_3repE0EEENS1_30default_config_static_selectorELNS0_4arch9wavefront6targetE0EEEvSL_,comdat
	.globl	_ZN7rocprim17ROCPRIM_400000_NS6detail17trampoline_kernelINS0_14default_configENS1_36segmented_radix_sort_config_selectorI6__halflEEZNS1_25segmented_radix_sort_implIS3_Lb1EPKS5_PS5_PKlPlN2at6native12_GLOBAL__N_18offset_tEEE10hipError_tPvRmT1_PNSt15iterator_traitsISL_E10value_typeET2_T3_PNSM_ISR_E10value_typeET4_jRbjT5_SX_jjP12ihipStream_tbEUlT_E2_NS1_11comp_targetILNS1_3genE10ELNS1_11target_archE1200ELNS1_3gpuE4ELNS1_3repE0EEENS1_30default_config_static_selectorELNS0_4arch9wavefront6targetE0EEEvSL_ ; -- Begin function _ZN7rocprim17ROCPRIM_400000_NS6detail17trampoline_kernelINS0_14default_configENS1_36segmented_radix_sort_config_selectorI6__halflEEZNS1_25segmented_radix_sort_implIS3_Lb1EPKS5_PS5_PKlPlN2at6native12_GLOBAL__N_18offset_tEEE10hipError_tPvRmT1_PNSt15iterator_traitsISL_E10value_typeET2_T3_PNSM_ISR_E10value_typeET4_jRbjT5_SX_jjP12ihipStream_tbEUlT_E2_NS1_11comp_targetILNS1_3genE10ELNS1_11target_archE1200ELNS1_3gpuE4ELNS1_3repE0EEENS1_30default_config_static_selectorELNS0_4arch9wavefront6targetE0EEEvSL_
	.p2align	8
	.type	_ZN7rocprim17ROCPRIM_400000_NS6detail17trampoline_kernelINS0_14default_configENS1_36segmented_radix_sort_config_selectorI6__halflEEZNS1_25segmented_radix_sort_implIS3_Lb1EPKS5_PS5_PKlPlN2at6native12_GLOBAL__N_18offset_tEEE10hipError_tPvRmT1_PNSt15iterator_traitsISL_E10value_typeET2_T3_PNSM_ISR_E10value_typeET4_jRbjT5_SX_jjP12ihipStream_tbEUlT_E2_NS1_11comp_targetILNS1_3genE10ELNS1_11target_archE1200ELNS1_3gpuE4ELNS1_3repE0EEENS1_30default_config_static_selectorELNS0_4arch9wavefront6targetE0EEEvSL_,@function
_ZN7rocprim17ROCPRIM_400000_NS6detail17trampoline_kernelINS0_14default_configENS1_36segmented_radix_sort_config_selectorI6__halflEEZNS1_25segmented_radix_sort_implIS3_Lb1EPKS5_PS5_PKlPlN2at6native12_GLOBAL__N_18offset_tEEE10hipError_tPvRmT1_PNSt15iterator_traitsISL_E10value_typeET2_T3_PNSM_ISR_E10value_typeET4_jRbjT5_SX_jjP12ihipStream_tbEUlT_E2_NS1_11comp_targetILNS1_3genE10ELNS1_11target_archE1200ELNS1_3gpuE4ELNS1_3repE0EEENS1_30default_config_static_selectorELNS0_4arch9wavefront6targetE0EEEvSL_: ; @_ZN7rocprim17ROCPRIM_400000_NS6detail17trampoline_kernelINS0_14default_configENS1_36segmented_radix_sort_config_selectorI6__halflEEZNS1_25segmented_radix_sort_implIS3_Lb1EPKS5_PS5_PKlPlN2at6native12_GLOBAL__N_18offset_tEEE10hipError_tPvRmT1_PNSt15iterator_traitsISL_E10value_typeET2_T3_PNSM_ISR_E10value_typeET4_jRbjT5_SX_jjP12ihipStream_tbEUlT_E2_NS1_11comp_targetILNS1_3genE10ELNS1_11target_archE1200ELNS1_3gpuE4ELNS1_3repE0EEENS1_30default_config_static_selectorELNS0_4arch9wavefront6targetE0EEEvSL_
; %bb.0:
	.section	.rodata,"a",@progbits
	.p2align	6, 0x0
	.amdhsa_kernel _ZN7rocprim17ROCPRIM_400000_NS6detail17trampoline_kernelINS0_14default_configENS1_36segmented_radix_sort_config_selectorI6__halflEEZNS1_25segmented_radix_sort_implIS3_Lb1EPKS5_PS5_PKlPlN2at6native12_GLOBAL__N_18offset_tEEE10hipError_tPvRmT1_PNSt15iterator_traitsISL_E10value_typeET2_T3_PNSM_ISR_E10value_typeET4_jRbjT5_SX_jjP12ihipStream_tbEUlT_E2_NS1_11comp_targetILNS1_3genE10ELNS1_11target_archE1200ELNS1_3gpuE4ELNS1_3repE0EEENS1_30default_config_static_selectorELNS0_4arch9wavefront6targetE0EEEvSL_
		.amdhsa_group_segment_fixed_size 0
		.amdhsa_private_segment_fixed_size 0
		.amdhsa_kernarg_size 80
		.amdhsa_user_sgpr_count 15
		.amdhsa_user_sgpr_dispatch_ptr 0
		.amdhsa_user_sgpr_queue_ptr 0
		.amdhsa_user_sgpr_kernarg_segment_ptr 1
		.amdhsa_user_sgpr_dispatch_id 0
		.amdhsa_user_sgpr_private_segment_size 0
		.amdhsa_wavefront_size32 1
		.amdhsa_uses_dynamic_stack 0
		.amdhsa_enable_private_segment 0
		.amdhsa_system_sgpr_workgroup_id_x 1
		.amdhsa_system_sgpr_workgroup_id_y 0
		.amdhsa_system_sgpr_workgroup_id_z 0
		.amdhsa_system_sgpr_workgroup_info 0
		.amdhsa_system_vgpr_workitem_id 0
		.amdhsa_next_free_vgpr 1
		.amdhsa_next_free_sgpr 1
		.amdhsa_reserve_vcc 0
		.amdhsa_float_round_mode_32 0
		.amdhsa_float_round_mode_16_64 0
		.amdhsa_float_denorm_mode_32 3
		.amdhsa_float_denorm_mode_16_64 3
		.amdhsa_dx10_clamp 1
		.amdhsa_ieee_mode 1
		.amdhsa_fp16_overflow 0
		.amdhsa_workgroup_processor_mode 1
		.amdhsa_memory_ordered 1
		.amdhsa_forward_progress 0
		.amdhsa_shared_vgpr_count 0
		.amdhsa_exception_fp_ieee_invalid_op 0
		.amdhsa_exception_fp_denorm_src 0
		.amdhsa_exception_fp_ieee_div_zero 0
		.amdhsa_exception_fp_ieee_overflow 0
		.amdhsa_exception_fp_ieee_underflow 0
		.amdhsa_exception_fp_ieee_inexact 0
		.amdhsa_exception_int_div_zero 0
	.end_amdhsa_kernel
	.section	.text._ZN7rocprim17ROCPRIM_400000_NS6detail17trampoline_kernelINS0_14default_configENS1_36segmented_radix_sort_config_selectorI6__halflEEZNS1_25segmented_radix_sort_implIS3_Lb1EPKS5_PS5_PKlPlN2at6native12_GLOBAL__N_18offset_tEEE10hipError_tPvRmT1_PNSt15iterator_traitsISL_E10value_typeET2_T3_PNSM_ISR_E10value_typeET4_jRbjT5_SX_jjP12ihipStream_tbEUlT_E2_NS1_11comp_targetILNS1_3genE10ELNS1_11target_archE1200ELNS1_3gpuE4ELNS1_3repE0EEENS1_30default_config_static_selectorELNS0_4arch9wavefront6targetE0EEEvSL_,"axG",@progbits,_ZN7rocprim17ROCPRIM_400000_NS6detail17trampoline_kernelINS0_14default_configENS1_36segmented_radix_sort_config_selectorI6__halflEEZNS1_25segmented_radix_sort_implIS3_Lb1EPKS5_PS5_PKlPlN2at6native12_GLOBAL__N_18offset_tEEE10hipError_tPvRmT1_PNSt15iterator_traitsISL_E10value_typeET2_T3_PNSM_ISR_E10value_typeET4_jRbjT5_SX_jjP12ihipStream_tbEUlT_E2_NS1_11comp_targetILNS1_3genE10ELNS1_11target_archE1200ELNS1_3gpuE4ELNS1_3repE0EEENS1_30default_config_static_selectorELNS0_4arch9wavefront6targetE0EEEvSL_,comdat
.Lfunc_end1775:
	.size	_ZN7rocprim17ROCPRIM_400000_NS6detail17trampoline_kernelINS0_14default_configENS1_36segmented_radix_sort_config_selectorI6__halflEEZNS1_25segmented_radix_sort_implIS3_Lb1EPKS5_PS5_PKlPlN2at6native12_GLOBAL__N_18offset_tEEE10hipError_tPvRmT1_PNSt15iterator_traitsISL_E10value_typeET2_T3_PNSM_ISR_E10value_typeET4_jRbjT5_SX_jjP12ihipStream_tbEUlT_E2_NS1_11comp_targetILNS1_3genE10ELNS1_11target_archE1200ELNS1_3gpuE4ELNS1_3repE0EEENS1_30default_config_static_selectorELNS0_4arch9wavefront6targetE0EEEvSL_, .Lfunc_end1775-_ZN7rocprim17ROCPRIM_400000_NS6detail17trampoline_kernelINS0_14default_configENS1_36segmented_radix_sort_config_selectorI6__halflEEZNS1_25segmented_radix_sort_implIS3_Lb1EPKS5_PS5_PKlPlN2at6native12_GLOBAL__N_18offset_tEEE10hipError_tPvRmT1_PNSt15iterator_traitsISL_E10value_typeET2_T3_PNSM_ISR_E10value_typeET4_jRbjT5_SX_jjP12ihipStream_tbEUlT_E2_NS1_11comp_targetILNS1_3genE10ELNS1_11target_archE1200ELNS1_3gpuE4ELNS1_3repE0EEENS1_30default_config_static_selectorELNS0_4arch9wavefront6targetE0EEEvSL_
                                        ; -- End function
	.section	.AMDGPU.csdata,"",@progbits
; Kernel info:
; codeLenInByte = 0
; NumSgprs: 0
; NumVgprs: 0
; ScratchSize: 0
; MemoryBound: 0
; FloatMode: 240
; IeeeMode: 1
; LDSByteSize: 0 bytes/workgroup (compile time only)
; SGPRBlocks: 0
; VGPRBlocks: 0
; NumSGPRsForWavesPerEU: 1
; NumVGPRsForWavesPerEU: 1
; Occupancy: 16
; WaveLimiterHint : 0
; COMPUTE_PGM_RSRC2:SCRATCH_EN: 0
; COMPUTE_PGM_RSRC2:USER_SGPR: 15
; COMPUTE_PGM_RSRC2:TRAP_HANDLER: 0
; COMPUTE_PGM_RSRC2:TGID_X_EN: 1
; COMPUTE_PGM_RSRC2:TGID_Y_EN: 0
; COMPUTE_PGM_RSRC2:TGID_Z_EN: 0
; COMPUTE_PGM_RSRC2:TIDIG_COMP_CNT: 0
	.section	.text._ZN7rocprim17ROCPRIM_400000_NS6detail17trampoline_kernelINS0_14default_configENS1_36segmented_radix_sort_config_selectorI6__halflEEZNS1_25segmented_radix_sort_implIS3_Lb1EPKS5_PS5_PKlPlN2at6native12_GLOBAL__N_18offset_tEEE10hipError_tPvRmT1_PNSt15iterator_traitsISL_E10value_typeET2_T3_PNSM_ISR_E10value_typeET4_jRbjT5_SX_jjP12ihipStream_tbEUlT_E2_NS1_11comp_targetILNS1_3genE9ELNS1_11target_archE1100ELNS1_3gpuE3ELNS1_3repE0EEENS1_30default_config_static_selectorELNS0_4arch9wavefront6targetE0EEEvSL_,"axG",@progbits,_ZN7rocprim17ROCPRIM_400000_NS6detail17trampoline_kernelINS0_14default_configENS1_36segmented_radix_sort_config_selectorI6__halflEEZNS1_25segmented_radix_sort_implIS3_Lb1EPKS5_PS5_PKlPlN2at6native12_GLOBAL__N_18offset_tEEE10hipError_tPvRmT1_PNSt15iterator_traitsISL_E10value_typeET2_T3_PNSM_ISR_E10value_typeET4_jRbjT5_SX_jjP12ihipStream_tbEUlT_E2_NS1_11comp_targetILNS1_3genE9ELNS1_11target_archE1100ELNS1_3gpuE3ELNS1_3repE0EEENS1_30default_config_static_selectorELNS0_4arch9wavefront6targetE0EEEvSL_,comdat
	.globl	_ZN7rocprim17ROCPRIM_400000_NS6detail17trampoline_kernelINS0_14default_configENS1_36segmented_radix_sort_config_selectorI6__halflEEZNS1_25segmented_radix_sort_implIS3_Lb1EPKS5_PS5_PKlPlN2at6native12_GLOBAL__N_18offset_tEEE10hipError_tPvRmT1_PNSt15iterator_traitsISL_E10value_typeET2_T3_PNSM_ISR_E10value_typeET4_jRbjT5_SX_jjP12ihipStream_tbEUlT_E2_NS1_11comp_targetILNS1_3genE9ELNS1_11target_archE1100ELNS1_3gpuE3ELNS1_3repE0EEENS1_30default_config_static_selectorELNS0_4arch9wavefront6targetE0EEEvSL_ ; -- Begin function _ZN7rocprim17ROCPRIM_400000_NS6detail17trampoline_kernelINS0_14default_configENS1_36segmented_radix_sort_config_selectorI6__halflEEZNS1_25segmented_radix_sort_implIS3_Lb1EPKS5_PS5_PKlPlN2at6native12_GLOBAL__N_18offset_tEEE10hipError_tPvRmT1_PNSt15iterator_traitsISL_E10value_typeET2_T3_PNSM_ISR_E10value_typeET4_jRbjT5_SX_jjP12ihipStream_tbEUlT_E2_NS1_11comp_targetILNS1_3genE9ELNS1_11target_archE1100ELNS1_3gpuE3ELNS1_3repE0EEENS1_30default_config_static_selectorELNS0_4arch9wavefront6targetE0EEEvSL_
	.p2align	8
	.type	_ZN7rocprim17ROCPRIM_400000_NS6detail17trampoline_kernelINS0_14default_configENS1_36segmented_radix_sort_config_selectorI6__halflEEZNS1_25segmented_radix_sort_implIS3_Lb1EPKS5_PS5_PKlPlN2at6native12_GLOBAL__N_18offset_tEEE10hipError_tPvRmT1_PNSt15iterator_traitsISL_E10value_typeET2_T3_PNSM_ISR_E10value_typeET4_jRbjT5_SX_jjP12ihipStream_tbEUlT_E2_NS1_11comp_targetILNS1_3genE9ELNS1_11target_archE1100ELNS1_3gpuE3ELNS1_3repE0EEENS1_30default_config_static_selectorELNS0_4arch9wavefront6targetE0EEEvSL_,@function
_ZN7rocprim17ROCPRIM_400000_NS6detail17trampoline_kernelINS0_14default_configENS1_36segmented_radix_sort_config_selectorI6__halflEEZNS1_25segmented_radix_sort_implIS3_Lb1EPKS5_PS5_PKlPlN2at6native12_GLOBAL__N_18offset_tEEE10hipError_tPvRmT1_PNSt15iterator_traitsISL_E10value_typeET2_T3_PNSM_ISR_E10value_typeET4_jRbjT5_SX_jjP12ihipStream_tbEUlT_E2_NS1_11comp_targetILNS1_3genE9ELNS1_11target_archE1100ELNS1_3gpuE3ELNS1_3repE0EEENS1_30default_config_static_selectorELNS0_4arch9wavefront6targetE0EEEvSL_: ; @_ZN7rocprim17ROCPRIM_400000_NS6detail17trampoline_kernelINS0_14default_configENS1_36segmented_radix_sort_config_selectorI6__halflEEZNS1_25segmented_radix_sort_implIS3_Lb1EPKS5_PS5_PKlPlN2at6native12_GLOBAL__N_18offset_tEEE10hipError_tPvRmT1_PNSt15iterator_traitsISL_E10value_typeET2_T3_PNSM_ISR_E10value_typeET4_jRbjT5_SX_jjP12ihipStream_tbEUlT_E2_NS1_11comp_targetILNS1_3genE9ELNS1_11target_archE1100ELNS1_3gpuE3ELNS1_3repE0EEENS1_30default_config_static_selectorELNS0_4arch9wavefront6targetE0EEEvSL_
; %bb.0:
	s_load_b128 s[4:7], s[0:1], 0x34
	s_mov_b32 s32, 0
	s_waitcnt lgkmcnt(0)
	s_add_i32 s52, s5, s14
	s_add_i32 s53, s7, s14
	s_mul_i32 s52, s52, s4
	s_mul_i32 s53, s53, s6
	s_delay_alu instid0(SALU_CYCLE_1)
	s_cmp_le_u32 s53, s52
	s_cbranch_scc1 .LBB1776_1195
; %bb.1:
	s_clause 0x3
	s_load_b32 s2, s[0:1], 0x30
	s_load_b128 s[44:47], s[0:1], 0x20
	s_load_b128 s[48:51], s[0:1], 0x44
	s_load_b256 s[36:43], s[0:1], 0x0
	s_waitcnt lgkmcnt(0)
	s_bitcmp1_b32 s2, 0
	s_mov_b32 s2, -1
	s_cselect_b32 s51, -1, 0
	s_sub_i32 s54, s53, s52
	s_delay_alu instid0(SALU_CYCLE_1)
	s_cmpk_lt_u32 s54, 0x1001
	s_cbranch_scc0 .LBB1776_12
; %bb.2:
	s_cmp_lt_u32 s54, 33
	s_cbranch_scc0 .LBB1776_6
; %bb.3:
	s_load_b32 s2, s[0:1], 0x5c
	v_bfe_u32 v1, v0, 10, 10
	v_bfe_u32 v2, v0, 20, 10
	s_mov_b32 s18, exec_lo
	s_waitcnt lgkmcnt(0)
	s_lshr_b32 s3, s2, 16
	s_and_b32 s2, s2, 0xffff
	v_mad_u32_u24 v4, v2, s3, v1
	v_and_b32_e32 v1, 0x3ff, v0
	s_delay_alu instid0(VALU_DEP_1) | instskip(NEXT) | instid1(VALU_DEP_1)
	v_mad_u64_u32 v[2:3], null, v4, s2, v[1:2]
	v_cmpx_gt_u32_e32 8, v2
	s_cbranch_execz .LBB1776_5
; %bb.4:
	s_bitcmp1_b32 s48, 0
	v_mov_b32_e32 v31, v0
	s_cselect_b32 s2, -1, 0
	v_dual_mov_b32 v40, v0 :: v_dual_mov_b32 v1, s37
	s_xor_b32 s4, s51, s2
	s_mov_b64 s[2:3], src_shared_base
	s_xor_b32 s2, s4, -1
	v_mov_b32_e32 v0, s36
	v_cndmask_b32_e64 v12, 0, 1, s2
	v_dual_mov_b32 v2, s38 :: v_dual_mov_b32 v3, s39
	v_dual_mov_b32 v4, s40 :: v_dual_mov_b32 v5, s41
	v_dual_mov_b32 v6, s42 :: v_dual_mov_b32 v7, s43
	v_dual_mov_b32 v8, s44 :: v_dual_mov_b32 v9, s45
	v_dual_mov_b32 v10, s46 :: v_dual_mov_b32 v11, s47
	v_dual_mov_b32 v13, s52 :: v_dual_mov_b32 v14, s53
	v_dual_mov_b32 v15, 0 :: v_dual_mov_b32 v16, s3
	s_add_u32 s8, s0, 0x50
	s_addc_u32 s9, s1, 0
	s_mov_b32 s12, s14
	s_mov_b32 s13, s15
	s_getpc_b64 s[4:5]
	s_add_u32 s4, s4, _ZN7rocprim17ROCPRIM_400000_NS6detail26segmented_warp_sort_helperINS1_20WarpSortHelperConfigILj8ELj4ELj256EEE6__halflLi256ELb1EvE4sortIPKS5_PS5_PKlPlEEvT_SA_T0_T1_SD_T2_bjjjjRNS6_12storage_typeE@rel32@lo+4
	s_addc_u32 s5, s5, _ZN7rocprim17ROCPRIM_400000_NS6detail26segmented_warp_sort_helperINS1_20WarpSortHelperConfigILj8ELj4ELj256EEE6__halflLi256ELb1EvE4sortIPKS5_PS5_PKlPlEEvT_SA_T0_T1_SD_T2_bjjjjRNS6_12storage_typeE@rel32@hi+12
	s_mov_b64 s[16:17], s[0:1]
	s_mov_b32 s20, s15
	s_mov_b32 s19, s14
	s_swappc_b64 s[30:31], s[4:5]
	v_mov_b32_e32 v0, v40
	s_mov_b32 s14, s19
	s_mov_b32 s15, s20
	s_mov_b64 s[0:1], s[16:17]
.LBB1776_5:
	s_or_b32 exec_lo, exec_lo, s18
	s_mov_b32 s2, 0
.LBB1776_6:
	s_delay_alu instid0(SALU_CYCLE_1)
	s_and_not1_b32 vcc_lo, exec_lo, s2
	s_cbranch_vccnz .LBB1776_11
; %bb.7:
	v_cndmask_b32_e64 v1, 0, 1, s51
	s_and_b32 s2, s48, 1
	s_delay_alu instid0(VALU_DEP_1) | instid1(SALU_CYCLE_1)
	v_cmp_ne_u32_e32 vcc_lo, s2, v1
	s_mov_b32 s2, -1
	s_cbranch_vccnz .LBB1776_9
; %bb.8:
	s_mov_b64 s[2:3], src_shared_base
	v_mov_b32_e32 v31, v0
	v_dual_mov_b32 v40, v0 :: v_dual_mov_b32 v1, s37
	v_mov_b32_e32 v0, s36
	v_dual_mov_b32 v2, s40 :: v_dual_mov_b32 v3, s41
	v_dual_mov_b32 v4, s42 :: v_dual_mov_b32 v5, s43
	;; [unrolled: 1-line block ×6, first 2 shown]
	s_add_u32 s8, s0, 0x50
	s_addc_u32 s9, s1, 0
	s_mov_b32 s12, s14
	s_mov_b32 s13, s15
	s_getpc_b64 s[4:5]
	s_add_u32 s4, s4, _ZN7rocprim17ROCPRIM_400000_NS6detail40segmented_radix_sort_single_block_helperI6__halflLj256ELj16ELb1EE4sortIPKS3_PS3_PKlPlEEbT_T0_T1_T2_jjjjRNS4_12storage_typeE@rel32@lo+4
	s_addc_u32 s5, s5, _ZN7rocprim17ROCPRIM_400000_NS6detail40segmented_radix_sort_single_block_helperI6__halflLj256ELj16ELb1EE4sortIPKS3_PS3_PKlPlEEbT_T0_T1_T2_jjjjRNS4_12storage_typeE@rel32@hi+12
	s_mov_b64 s[26:27], s[0:1]
	s_mov_b32 s28, s15
	s_mov_b32 s29, s14
	s_swappc_b64 s[30:31], s[4:5]
	v_mov_b32_e32 v0, v40
	s_mov_b32 s14, s29
	s_mov_b32 s15, s28
	s_mov_b64 s[0:1], s[26:27]
	s_mov_b32 s2, 0
.LBB1776_9:
	s_delay_alu instid0(SALU_CYCLE_1)
	s_and_not1_b32 vcc_lo, exec_lo, s2
	s_cbranch_vccnz .LBB1776_11
; %bb.10:
	s_mov_b64 s[2:3], src_shared_base
	v_mov_b32_e32 v31, v0
	v_dual_mov_b32 v40, v0 :: v_dual_mov_b32 v1, s37
	v_mov_b32_e32 v0, s36
	v_dual_mov_b32 v2, s38 :: v_dual_mov_b32 v3, s39
	v_dual_mov_b32 v4, s42 :: v_dual_mov_b32 v5, s43
	;; [unrolled: 1-line block ×6, first 2 shown]
	s_add_u32 s8, s0, 0x50
	s_addc_u32 s9, s1, 0
	s_mov_b32 s12, s14
	s_mov_b32 s13, s15
	s_getpc_b64 s[4:5]
	s_add_u32 s4, s4, _ZN7rocprim17ROCPRIM_400000_NS6detail40segmented_radix_sort_single_block_helperI6__halflLj256ELj16ELb1EE4sortIPKS3_PS3_PKlPlEEbT_T0_T1_T2_jjjjRNS4_12storage_typeE@rel32@lo+4
	s_addc_u32 s5, s5, _ZN7rocprim17ROCPRIM_400000_NS6detail40segmented_radix_sort_single_block_helperI6__halflLj256ELj16ELb1EE4sortIPKS3_PS3_PKlPlEEbT_T0_T1_T2_jjjjRNS4_12storage_typeE@rel32@hi+12
	s_mov_b64 s[26:27], s[0:1]
	s_mov_b32 s29, s15
	s_mov_b32 s28, s14
	s_swappc_b64 s[30:31], s[4:5]
	v_mov_b32_e32 v0, v40
	s_mov_b32 s14, s28
	s_mov_b32 s15, s29
	s_mov_b64 s[0:1], s[26:27]
.LBB1776_11:
	s_mov_b32 s2, 0
.LBB1776_12:
	s_delay_alu instid0(SALU_CYCLE_1)
	s_and_not1_b32 vcc_lo, exec_lo, s2
	s_cbranch_vccnz .LBB1776_1195
; %bb.13:
	s_cmp_ge_u32 s49, s50
	s_cbranch_scc1 .LBB1776_1195
; %bb.14:
	v_dual_mov_b32 v94, 1 :: v_dual_and_b32 v1, 0x3ff, v0
	v_mov_b32_e32 v3, 0
	v_bfe_u32 v70, v0, 20, 10
	v_bfe_u32 v0, v0, 10, 10
	s_delay_alu instid0(VALU_DEP_4)
	v_lshlrev_b32_e32 v44, 2, v1
	v_lshrrev_b32_e32 v4, 3, v1
	v_or_b32_e32 v5, 31, v1
	v_lshlrev_b32_e32 v6, 5, v1
	v_lshlrev_b32_e32 v2, 1, v1
	v_mad_u32_u24 v64, v1, 12, v44
	v_and_b32_e32 v62, 28, v4
	v_lshlrev_b32_e32 v4, 4, v1
	v_cmp_eq_u32_e64 s3, v5, v1
	v_add_nc_u32_e32 v5, 1, v1
	v_mad_u32_u24 v69, v1, 20, v64
	v_or_b32_e32 v55, 0x800, v1
	v_and_b32_e32 v68, 0xe00, v4
	v_mul_u32_u24_e32 v4, 9, v1
	v_or_b32_e32 v56, 0x900, v1
	v_sub_nc_u32_e32 v72, v69, v6
	v_or_b32_e32 v57, 0xa00, v1
	v_lshlrev_b32_e32 v6, 3, v68
	v_lshl_add_u32 v71, v4, 2, 0x420
	v_mul_u32_u24_e32 v4, 9, v5
	v_or_b32_e32 v58, 0xb00, v1
	v_or_b32_e32 v59, 0xc00, v1
	v_add_co_u32 v74, s8, s46, v6
	s_delay_alu instid0(VALU_DEP_4) | instskip(SKIP_4) | instid1(VALU_DEP_4)
	v_lshlrev_b32_e32 v73, 2, v4
	v_lshlrev_b32_e32 v4, 1, v68
	v_add_co_ci_u32_e64 v75, null, s47, 0, s8
	v_or_b32_e32 v60, 0xd00, v1
	v_or_b32_e32 v61, 0xe00, v1
	v_add_co_u32 v76, s8, s40, v4
	s_delay_alu instid0(VALU_DEP_1) | instskip(SKIP_1) | instid1(VALU_DEP_1)
	v_add_co_ci_u32_e64 v77, null, s41, 0, s8
	v_add_co_u32 v82, s8, s38, v2
	v_add_co_ci_u32_e64 v83, null, s39, 0, s8
	v_add_co_u32 v84, s8, s44, v6
	s_delay_alu instid0(VALU_DEP_1) | instskip(SKIP_1) | instid1(VALU_DEP_1)
	v_add_co_ci_u32_e64 v85, null, s45, 0, s8
	v_add_co_u32 v86, s8, s38, v4
	v_add_co_ci_u32_e64 v87, null, s39, 0, s8
	v_add_co_u32 v88, s8, s36, v2
	v_or_b32_e32 v63, 0xf00, v1
	v_add_co_ci_u32_e64 v89, null, s37, 0, s8
	v_add_co_u32 v90, s8, s42, v6
	v_add_co_u32 v49, s2, s40, v2
	v_add_co_ci_u32_e64 v91, null, s43, 0, s8
	v_add_co_u32 v92, s8, s36, v4
	v_or_b32_e32 v45, 0x100, v1
	v_or_b32_e32 v46, 0x200, v1
	;; [unrolled: 1-line block ×3, first 2 shown]
	v_and_b32_e32 v48, 3, v1
	v_add_co_ci_u32_e64 v50, null, s41, 0, s2
	v_or_b32_e32 v51, 0x400, v1
	v_or_b32_e32 v52, 0x500, v1
	;; [unrolled: 1-line block ×4, first 2 shown]
	v_cmp_gt_u32_e64 s2, 0x100, v1
	v_or_b32_e32 v65, 0x8400, v62
	v_cmp_gt_u32_e64 s4, 8, v1
	v_add_nc_u32_e32 v66, 0x8400, v44
	v_cmp_lt_u32_e64 s5, 31, v1
	v_add_nc_u32_e32 v67, 0x83fc, v62
	v_cmp_eq_u32_e64 s6, 0, v1
	v_cmp_ne_u32_e64 s7, 0x100, v5
	v_sub_nc_u32_e32 v78, 0, v2
	v_add_nc_u32_e32 v79, 0x400, v2
	v_lshlrev_b32_e32 v80, 3, v1
	v_mul_u32_u24_e32 v81, 6, v1
	v_add_co_ci_u32_e64 v93, null, s37, 0, s8
	v_lshlrev_b32_e32 v95, 1, v1
	v_lshlrev_b32_e32 v96, 1, v55
	;; [unrolled: 1-line block ×9, first 2 shown]
	v_mbcnt_lo_u32_b32 v104, -1, 0
	s_add_u32 s42, s0, 0x50
	s_mov_b32 s35, 0
	s_addc_u32 s43, s1, 0
	s_mov_b32 s48, s49
	s_branch .LBB1776_17
.LBB1776_15:                            ;   in Loop: Header=BB1776_17 Depth=1
	s_waitcnt lgkmcnt(0)
	s_barrier
.LBB1776_16:                            ;   in Loop: Header=BB1776_17 Depth=1
	s_add_i32 s48, s48, 8
	buffer_gl0_inv
	s_cmp_ge_u32 s48, s50
	s_cbranch_scc1 .LBB1776_1195
.LBB1776_17:                            ; =>This Loop Header: Depth=1
                                        ;     Child Loop BB1776_21 Depth 2
                                        ;     Child Loop BB1776_103 Depth 2
	;; [unrolled: 1-line block ×8, first 2 shown]
	s_sub_i32 s0, s50, s48
	s_xor_b32 s51, s51, -1
	s_min_u32 s0, s0, 8
	ds_store_2addr_stride64_b32 v44, v3, v3 offset1:4
	s_lshl_b32 s0, -1, s0
	ds_store_2addr_stride64_b32 v44, v3, v3 offset0:8 offset1:12
	s_not_b32 s55, s0
	s_cmp_lg_u32 s48, s49
	s_mov_b32 s0, -1
	s_waitcnt lgkmcnt(0)
	s_waitcnt_vscnt null, 0x0
	s_cbranch_scc0 .LBB1776_607
; %bb.18:                               ;   in Loop: Header=BB1776_17 Depth=1
	s_and_b32 vcc_lo, exec_lo, s51
	s_cbranch_vccz .LBB1776_312
; %bb.19:                               ;   in Loop: Header=BB1776_17 Depth=1
	s_mov_b32 s8, s54
	s_mov_b32 s34, s52
	s_barrier
	buffer_gl0_inv
                                        ; implicit-def: $vgpr20
                                        ; implicit-def: $vgpr2
                                        ; implicit-def: $vgpr6
                                        ; implicit-def: $vgpr7
                                        ; implicit-def: $vgpr8
                                        ; implicit-def: $vgpr9
                                        ; implicit-def: $vgpr10
                                        ; implicit-def: $vgpr11
                                        ; implicit-def: $vgpr12
                                        ; implicit-def: $vgpr13
                                        ; implicit-def: $vgpr14
                                        ; implicit-def: $vgpr15
                                        ; implicit-def: $vgpr16
                                        ; implicit-def: $vgpr17
                                        ; implicit-def: $vgpr18
                                        ; implicit-def: $vgpr19
	s_branch .LBB1776_21
.LBB1776_20:                            ;   in Loop: Header=BB1776_21 Depth=2
	s_or_b32 exec_lo, exec_lo, s0
	s_addk_i32 s8, 0xf000
	s_cmp_ge_u32 s9, s53
	s_mov_b32 s34, s9
	s_cbranch_scc1 .LBB1776_91
.LBB1776_21:                            ;   Parent Loop BB1776_17 Depth=1
                                        ; =>  This Inner Loop Header: Depth=2
	s_add_i32 s9, s34, 0x1000
	s_delay_alu instid0(SALU_CYCLE_1)
	s_cmp_gt_u32 s9, s53
	s_cbranch_scc1 .LBB1776_24
; %bb.22:                               ;   in Loop: Header=BB1776_21 Depth=2
	s_mov_b32 s1, 0
	s_mov_b32 s0, s34
	s_delay_alu instid0(SALU_CYCLE_1) | instskip(NEXT) | instid1(SALU_CYCLE_1)
	s_lshl_b64 s[10:11], s[0:1], 1
	v_add_co_u32 v4, vcc_lo, v49, s10
	v_add_co_ci_u32_e32 v5, vcc_lo, s11, v50, vcc_lo
	s_movk_i32 s11, 0x1000
	s_waitcnt vmcnt(0)
	s_delay_alu instid0(VALU_DEP_2) | instskip(NEXT) | instid1(VALU_DEP_2)
	v_add_co_u32 v36, vcc_lo, 0x1000, v4
	v_add_co_ci_u32_e32 v37, vcc_lo, 0, v5, vcc_lo
	s_clause 0xe
	global_load_u16 v22, v[4:5], off
	global_load_u16 v23, v[4:5], off offset:512
	global_load_u16 v24, v[4:5], off offset:1024
	;; [unrolled: 1-line block ×7, first 2 shown]
	global_load_u16 v30, v[36:37], off
	global_load_u16 v31, v[36:37], off offset:512
	global_load_u16 v32, v[36:37], off offset:1024
	;; [unrolled: 1-line block ×6, first 2 shown]
	v_add_co_u32 v4, vcc_lo, 0x1e00, v4
	v_add_co_ci_u32_e32 v5, vcc_lo, 0, v5, vcc_lo
	s_mov_b32 s10, -1
	s_cbranch_execz .LBB1776_25
; %bb.23:                               ;   in Loop: Header=BB1776_21 Depth=2
                                        ; implicit-def: $vgpr19
                                        ; implicit-def: $vgpr18
                                        ; implicit-def: $vgpr17
                                        ; implicit-def: $vgpr16
                                        ; implicit-def: $vgpr15
                                        ; implicit-def: $vgpr14
                                        ; implicit-def: $vgpr13
                                        ; implicit-def: $vgpr12
                                        ; implicit-def: $vgpr11
                                        ; implicit-def: $vgpr10
                                        ; implicit-def: $vgpr9
                                        ; implicit-def: $vgpr8
                                        ; implicit-def: $vgpr7
                                        ; implicit-def: $vgpr6
                                        ; implicit-def: $vgpr2
                                        ; implicit-def: $vgpr20
	v_mov_b32_e32 v21, s8
	s_and_saveexec_b32 s0, s10
	s_cbranch_execnz .LBB1776_44
	s_branch .LBB1776_45
.LBB1776_24:                            ;   in Loop: Header=BB1776_21 Depth=2
	s_mov_b32 s10, 0
                                        ; implicit-def: $sgpr11
                                        ; implicit-def: $vgpr22
                                        ; implicit-def: $vgpr23
                                        ; implicit-def: $vgpr24
                                        ; implicit-def: $vgpr25
                                        ; implicit-def: $vgpr26
                                        ; implicit-def: $vgpr27
                                        ; implicit-def: $vgpr28
                                        ; implicit-def: $vgpr29
                                        ; implicit-def: $vgpr30
                                        ; implicit-def: $vgpr31
                                        ; implicit-def: $vgpr32
                                        ; implicit-def: $vgpr33
                                        ; implicit-def: $vgpr34
                                        ; implicit-def: $vgpr35
                                        ; implicit-def: $vgpr36
                                        ; implicit-def: $vgpr4_vgpr5
.LBB1776_25:                            ;   in Loop: Header=BB1776_21 Depth=2
	s_lshl_b64 s[0:1], s[34:35], 1
	s_mov_b32 s11, exec_lo
	s_add_u32 s0, s40, s0
	s_addc_u32 s1, s41, s1
	v_cmpx_gt_u32_e64 s8, v1
	s_cbranch_execz .LBB1776_77
; %bb.26:                               ;   in Loop: Header=BB1776_21 Depth=2
	global_load_u16 v19, v95, s[0:1]
	s_or_b32 exec_lo, exec_lo, s11
	s_delay_alu instid0(SALU_CYCLE_1)
	s_mov_b32 s11, exec_lo
	v_cmpx_gt_u32_e64 s8, v45
	s_cbranch_execnz .LBB1776_78
.LBB1776_27:                            ;   in Loop: Header=BB1776_21 Depth=2
	s_or_b32 exec_lo, exec_lo, s11
	s_delay_alu instid0(SALU_CYCLE_1)
	s_mov_b32 s11, exec_lo
	v_cmpx_gt_u32_e64 s8, v46
	s_cbranch_execz .LBB1776_79
.LBB1776_28:                            ;   in Loop: Header=BB1776_21 Depth=2
	global_load_u16 v17, v95, s[0:1] offset:1024
	s_or_b32 exec_lo, exec_lo, s11
	s_delay_alu instid0(SALU_CYCLE_1)
	s_mov_b32 s11, exec_lo
	v_cmpx_gt_u32_e64 s8, v47
	s_cbranch_execnz .LBB1776_80
.LBB1776_29:                            ;   in Loop: Header=BB1776_21 Depth=2
	s_or_b32 exec_lo, exec_lo, s11
	s_delay_alu instid0(SALU_CYCLE_1)
	s_mov_b32 s11, exec_lo
	v_cmpx_gt_u32_e64 s8, v51
	s_cbranch_execz .LBB1776_81
.LBB1776_30:                            ;   in Loop: Header=BB1776_21 Depth=2
	global_load_u16 v15, v95, s[0:1] offset:2048
	s_or_b32 exec_lo, exec_lo, s11
	s_delay_alu instid0(SALU_CYCLE_1)
	s_mov_b32 s11, exec_lo
	v_cmpx_gt_u32_e64 s8, v52
	s_cbranch_execnz .LBB1776_82
.LBB1776_31:                            ;   in Loop: Header=BB1776_21 Depth=2
	s_or_b32 exec_lo, exec_lo, s11
	s_delay_alu instid0(SALU_CYCLE_1)
	s_mov_b32 s11, exec_lo
	v_cmpx_gt_u32_e64 s8, v53
	s_cbranch_execz .LBB1776_83
.LBB1776_32:                            ;   in Loop: Header=BB1776_21 Depth=2
	global_load_u16 v13, v95, s[0:1] offset:3072
	s_or_b32 exec_lo, exec_lo, s11
	s_delay_alu instid0(SALU_CYCLE_1)
	s_mov_b32 s11, exec_lo
	v_cmpx_gt_u32_e64 s8, v54
	s_cbranch_execnz .LBB1776_84
.LBB1776_33:                            ;   in Loop: Header=BB1776_21 Depth=2
	s_or_b32 exec_lo, exec_lo, s11
	s_delay_alu instid0(SALU_CYCLE_1)
	s_mov_b32 s11, exec_lo
	v_cmpx_gt_u32_e64 s8, v55
	s_cbranch_execz .LBB1776_85
.LBB1776_34:                            ;   in Loop: Header=BB1776_21 Depth=2
	global_load_u16 v11, v96, s[0:1]
	s_or_b32 exec_lo, exec_lo, s11
	s_delay_alu instid0(SALU_CYCLE_1)
	s_mov_b32 s11, exec_lo
	v_cmpx_gt_u32_e64 s8, v56
	s_cbranch_execnz .LBB1776_86
.LBB1776_35:                            ;   in Loop: Header=BB1776_21 Depth=2
	s_or_b32 exec_lo, exec_lo, s11
	s_delay_alu instid0(SALU_CYCLE_1)
	s_mov_b32 s11, exec_lo
	v_cmpx_gt_u32_e64 s8, v57
	s_cbranch_execz .LBB1776_87
.LBB1776_36:                            ;   in Loop: Header=BB1776_21 Depth=2
	global_load_u16 v9, v98, s[0:1]
	s_or_b32 exec_lo, exec_lo, s11
	s_delay_alu instid0(SALU_CYCLE_1)
	s_mov_b32 s11, exec_lo
	v_cmpx_gt_u32_e64 s8, v58
	s_cbranch_execnz .LBB1776_88
.LBB1776_37:                            ;   in Loop: Header=BB1776_21 Depth=2
	s_or_b32 exec_lo, exec_lo, s11
	s_delay_alu instid0(SALU_CYCLE_1)
	s_mov_b32 s11, exec_lo
	v_cmpx_gt_u32_e64 s8, v59
	s_cbranch_execz .LBB1776_89
.LBB1776_38:                            ;   in Loop: Header=BB1776_21 Depth=2
	global_load_u16 v7, v100, s[0:1]
	s_or_b32 exec_lo, exec_lo, s11
	s_delay_alu instid0(SALU_CYCLE_1)
	s_mov_b32 s11, exec_lo
	v_cmpx_gt_u32_e64 s8, v60
	s_cbranch_execnz .LBB1776_90
.LBB1776_39:                            ;   in Loop: Header=BB1776_21 Depth=2
	s_or_b32 exec_lo, exec_lo, s11
	s_delay_alu instid0(SALU_CYCLE_1)
	s_mov_b32 s11, exec_lo
	v_cmpx_gt_u32_e64 s8, v61
	s_cbranch_execz .LBB1776_41
.LBB1776_40:                            ;   in Loop: Header=BB1776_21 Depth=2
	global_load_u16 v2, v102, s[0:1]
.LBB1776_41:                            ;   in Loop: Header=BB1776_21 Depth=2
	s_or_b32 exec_lo, exec_lo, s11
	s_delay_alu instid0(SALU_CYCLE_1)
	s_mov_b32 s12, exec_lo
                                        ; implicit-def: $sgpr11
                                        ; implicit-def: $vgpr4_vgpr5
	v_cmpx_gt_u32_e64 s8, v63
; %bb.42:                               ;   in Loop: Header=BB1776_21 Depth=2
	v_add_co_u32 v4, s0, s0, v103
	s_delay_alu instid0(VALU_DEP_1)
	v_add_co_ci_u32_e64 v5, null, s1, 0, s0
	s_sub_i32 s11, s53, s34
	s_or_b32 s10, s10, exec_lo
                                        ; implicit-def: $vgpr20
; %bb.43:                               ;   in Loop: Header=BB1776_21 Depth=2
	s_or_b32 exec_lo, exec_lo, s12
	s_waitcnt vmcnt(0)
	v_dual_mov_b32 v22, v19 :: v_dual_mov_b32 v23, v18
	v_dual_mov_b32 v24, v17 :: v_dual_mov_b32 v25, v16
	;; [unrolled: 1-line block ×8, first 2 shown]
	s_and_saveexec_b32 s0, s10
	s_cbranch_execz .LBB1776_45
.LBB1776_44:                            ;   in Loop: Header=BB1776_21 Depth=2
	global_load_u16 v20, v[4:5], off
	s_waitcnt vmcnt(1)
	v_dual_mov_b32 v21, s11 :: v_dual_mov_b32 v2, v36
	v_dual_mov_b32 v6, v35 :: v_dual_mov_b32 v7, v34
	;; [unrolled: 1-line block ×8, first 2 shown]
.LBB1776_45:                            ;   in Loop: Header=BB1776_21 Depth=2
	s_or_b32 exec_lo, exec_lo, s0
	s_delay_alu instid0(SALU_CYCLE_1)
	s_mov_b32 s0, exec_lo
	v_cmpx_lt_u32_e64 v1, v21
	s_cbranch_execz .LBB1776_61
; %bb.46:                               ;   in Loop: Header=BB1776_21 Depth=2
	v_cmp_gt_i16_e32 vcc_lo, 0, v19
	v_lshlrev_b32_e32 v5, 2, v48
	v_cndmask_b32_e64 v4, 0x7fff, 0, vcc_lo
	s_delay_alu instid0(VALU_DEP_1) | instskip(NEXT) | instid1(VALU_DEP_1)
	v_xor_b32_e32 v4, v4, v19
	v_cmp_ne_u16_e32 vcc_lo, 0x8000, v4
	v_cndmask_b32_e32 v4, 0x7fff, v4, vcc_lo
	s_delay_alu instid0(VALU_DEP_1) | instskip(NEXT) | instid1(VALU_DEP_1)
	v_and_b32_e32 v4, 0xffff, v4
	v_lshrrev_b32_e32 v4, s48, v4
	s_delay_alu instid0(VALU_DEP_1) | instskip(NEXT) | instid1(VALU_DEP_1)
	v_and_b32_e32 v4, s55, v4
	v_lshl_or_b32 v4, v4, 4, v5
	ds_add_u32 v4, v94
	s_or_b32 exec_lo, exec_lo, s0
	s_delay_alu instid0(SALU_CYCLE_1)
	s_mov_b32 s0, exec_lo
	v_cmpx_lt_u32_e64 v45, v21
	s_cbranch_execnz .LBB1776_62
.LBB1776_47:                            ;   in Loop: Header=BB1776_21 Depth=2
	s_or_b32 exec_lo, exec_lo, s0
	s_delay_alu instid0(SALU_CYCLE_1)
	s_mov_b32 s0, exec_lo
	v_cmpx_lt_u32_e64 v46, v21
	s_cbranch_execz .LBB1776_63
.LBB1776_48:                            ;   in Loop: Header=BB1776_21 Depth=2
	v_cmp_gt_i16_e32 vcc_lo, 0, v17
	v_lshlrev_b32_e32 v5, 2, v48
	v_cndmask_b32_e64 v4, 0x7fff, 0, vcc_lo
	s_delay_alu instid0(VALU_DEP_1) | instskip(NEXT) | instid1(VALU_DEP_1)
	v_xor_b32_e32 v4, v4, v17
	v_cmp_ne_u16_e32 vcc_lo, 0x8000, v4
	v_cndmask_b32_e32 v4, 0x7fff, v4, vcc_lo
	s_delay_alu instid0(VALU_DEP_1) | instskip(NEXT) | instid1(VALU_DEP_1)
	v_and_b32_e32 v4, 0xffff, v4
	v_lshrrev_b32_e32 v4, s48, v4
	s_delay_alu instid0(VALU_DEP_1) | instskip(NEXT) | instid1(VALU_DEP_1)
	v_and_b32_e32 v4, s55, v4
	v_lshl_or_b32 v4, v4, 4, v5
	ds_add_u32 v4, v94
	s_or_b32 exec_lo, exec_lo, s0
	s_delay_alu instid0(SALU_CYCLE_1)
	s_mov_b32 s0, exec_lo
	v_cmpx_lt_u32_e64 v47, v21
	s_cbranch_execnz .LBB1776_64
.LBB1776_49:                            ;   in Loop: Header=BB1776_21 Depth=2
	s_or_b32 exec_lo, exec_lo, s0
	s_delay_alu instid0(SALU_CYCLE_1)
	s_mov_b32 s0, exec_lo
	v_cmpx_lt_u32_e64 v51, v21
	s_cbranch_execz .LBB1776_65
.LBB1776_50:                            ;   in Loop: Header=BB1776_21 Depth=2
	v_cmp_gt_i16_e32 vcc_lo, 0, v15
	v_lshlrev_b32_e32 v5, 2, v48
	v_cndmask_b32_e64 v4, 0x7fff, 0, vcc_lo
	s_delay_alu instid0(VALU_DEP_1) | instskip(NEXT) | instid1(VALU_DEP_1)
	v_xor_b32_e32 v4, v4, v15
	v_cmp_ne_u16_e32 vcc_lo, 0x8000, v4
	v_cndmask_b32_e32 v4, 0x7fff, v4, vcc_lo
	s_delay_alu instid0(VALU_DEP_1) | instskip(NEXT) | instid1(VALU_DEP_1)
	v_and_b32_e32 v4, 0xffff, v4
	v_lshrrev_b32_e32 v4, s48, v4
	s_delay_alu instid0(VALU_DEP_1) | instskip(NEXT) | instid1(VALU_DEP_1)
	v_and_b32_e32 v4, s55, v4
	v_lshl_or_b32 v4, v4, 4, v5
	ds_add_u32 v4, v94
	s_or_b32 exec_lo, exec_lo, s0
	s_delay_alu instid0(SALU_CYCLE_1)
	s_mov_b32 s0, exec_lo
	v_cmpx_lt_u32_e64 v52, v21
	s_cbranch_execnz .LBB1776_66
.LBB1776_51:                            ;   in Loop: Header=BB1776_21 Depth=2
	s_or_b32 exec_lo, exec_lo, s0
	s_delay_alu instid0(SALU_CYCLE_1)
	s_mov_b32 s0, exec_lo
	v_cmpx_lt_u32_e64 v53, v21
	s_cbranch_execz .LBB1776_67
.LBB1776_52:                            ;   in Loop: Header=BB1776_21 Depth=2
	v_cmp_gt_i16_e32 vcc_lo, 0, v13
	v_lshlrev_b32_e32 v5, 2, v48
	v_cndmask_b32_e64 v4, 0x7fff, 0, vcc_lo
	s_delay_alu instid0(VALU_DEP_1) | instskip(NEXT) | instid1(VALU_DEP_1)
	v_xor_b32_e32 v4, v4, v13
	v_cmp_ne_u16_e32 vcc_lo, 0x8000, v4
	v_cndmask_b32_e32 v4, 0x7fff, v4, vcc_lo
	s_delay_alu instid0(VALU_DEP_1) | instskip(NEXT) | instid1(VALU_DEP_1)
	v_and_b32_e32 v4, 0xffff, v4
	v_lshrrev_b32_e32 v4, s48, v4
	s_delay_alu instid0(VALU_DEP_1) | instskip(NEXT) | instid1(VALU_DEP_1)
	v_and_b32_e32 v4, s55, v4
	v_lshl_or_b32 v4, v4, 4, v5
	ds_add_u32 v4, v94
	s_or_b32 exec_lo, exec_lo, s0
	s_delay_alu instid0(SALU_CYCLE_1)
	s_mov_b32 s0, exec_lo
	v_cmpx_lt_u32_e64 v54, v21
	s_cbranch_execnz .LBB1776_68
.LBB1776_53:                            ;   in Loop: Header=BB1776_21 Depth=2
	s_or_b32 exec_lo, exec_lo, s0
	s_delay_alu instid0(SALU_CYCLE_1)
	s_mov_b32 s0, exec_lo
	v_cmpx_lt_u32_e64 v55, v21
	s_cbranch_execz .LBB1776_69
.LBB1776_54:                            ;   in Loop: Header=BB1776_21 Depth=2
	v_cmp_gt_i16_e32 vcc_lo, 0, v11
	v_lshlrev_b32_e32 v5, 2, v48
	v_cndmask_b32_e64 v4, 0x7fff, 0, vcc_lo
	s_delay_alu instid0(VALU_DEP_1) | instskip(NEXT) | instid1(VALU_DEP_1)
	v_xor_b32_e32 v4, v4, v11
	v_cmp_ne_u16_e32 vcc_lo, 0x8000, v4
	v_cndmask_b32_e32 v4, 0x7fff, v4, vcc_lo
	s_delay_alu instid0(VALU_DEP_1) | instskip(NEXT) | instid1(VALU_DEP_1)
	v_and_b32_e32 v4, 0xffff, v4
	v_lshrrev_b32_e32 v4, s48, v4
	s_delay_alu instid0(VALU_DEP_1) | instskip(NEXT) | instid1(VALU_DEP_1)
	v_and_b32_e32 v4, s55, v4
	v_lshl_or_b32 v4, v4, 4, v5
	ds_add_u32 v4, v94
	s_or_b32 exec_lo, exec_lo, s0
	s_delay_alu instid0(SALU_CYCLE_1)
	s_mov_b32 s0, exec_lo
	v_cmpx_lt_u32_e64 v56, v21
	s_cbranch_execnz .LBB1776_70
.LBB1776_55:                            ;   in Loop: Header=BB1776_21 Depth=2
	s_or_b32 exec_lo, exec_lo, s0
	s_delay_alu instid0(SALU_CYCLE_1)
	s_mov_b32 s0, exec_lo
	v_cmpx_lt_u32_e64 v57, v21
	s_cbranch_execz .LBB1776_71
.LBB1776_56:                            ;   in Loop: Header=BB1776_21 Depth=2
	v_cmp_gt_i16_e32 vcc_lo, 0, v9
	v_lshlrev_b32_e32 v5, 2, v48
	v_cndmask_b32_e64 v4, 0x7fff, 0, vcc_lo
	s_delay_alu instid0(VALU_DEP_1) | instskip(NEXT) | instid1(VALU_DEP_1)
	v_xor_b32_e32 v4, v4, v9
	v_cmp_ne_u16_e32 vcc_lo, 0x8000, v4
	v_cndmask_b32_e32 v4, 0x7fff, v4, vcc_lo
	s_delay_alu instid0(VALU_DEP_1) | instskip(NEXT) | instid1(VALU_DEP_1)
	v_and_b32_e32 v4, 0xffff, v4
	v_lshrrev_b32_e32 v4, s48, v4
	s_delay_alu instid0(VALU_DEP_1) | instskip(NEXT) | instid1(VALU_DEP_1)
	v_and_b32_e32 v4, s55, v4
	v_lshl_or_b32 v4, v4, 4, v5
	ds_add_u32 v4, v94
	s_or_b32 exec_lo, exec_lo, s0
	s_delay_alu instid0(SALU_CYCLE_1)
	s_mov_b32 s0, exec_lo
	v_cmpx_lt_u32_e64 v58, v21
	s_cbranch_execnz .LBB1776_72
.LBB1776_57:                            ;   in Loop: Header=BB1776_21 Depth=2
	s_or_b32 exec_lo, exec_lo, s0
	s_delay_alu instid0(SALU_CYCLE_1)
	s_mov_b32 s0, exec_lo
	v_cmpx_lt_u32_e64 v59, v21
	s_cbranch_execz .LBB1776_73
.LBB1776_58:                            ;   in Loop: Header=BB1776_21 Depth=2
	v_cmp_gt_i16_e32 vcc_lo, 0, v7
	v_lshlrev_b32_e32 v5, 2, v48
	v_cndmask_b32_e64 v4, 0x7fff, 0, vcc_lo
	s_delay_alu instid0(VALU_DEP_1) | instskip(NEXT) | instid1(VALU_DEP_1)
	v_xor_b32_e32 v4, v4, v7
	v_cmp_ne_u16_e32 vcc_lo, 0x8000, v4
	v_cndmask_b32_e32 v4, 0x7fff, v4, vcc_lo
	s_delay_alu instid0(VALU_DEP_1) | instskip(NEXT) | instid1(VALU_DEP_1)
	v_and_b32_e32 v4, 0xffff, v4
	v_lshrrev_b32_e32 v4, s48, v4
	s_delay_alu instid0(VALU_DEP_1) | instskip(NEXT) | instid1(VALU_DEP_1)
	v_and_b32_e32 v4, s55, v4
	v_lshl_or_b32 v4, v4, 4, v5
	ds_add_u32 v4, v94
	s_or_b32 exec_lo, exec_lo, s0
	s_delay_alu instid0(SALU_CYCLE_1)
	s_mov_b32 s0, exec_lo
	v_cmpx_lt_u32_e64 v60, v21
	s_cbranch_execnz .LBB1776_74
.LBB1776_59:                            ;   in Loop: Header=BB1776_21 Depth=2
	s_or_b32 exec_lo, exec_lo, s0
	s_delay_alu instid0(SALU_CYCLE_1)
	s_mov_b32 s0, exec_lo
	v_cmpx_lt_u32_e64 v61, v21
	s_cbranch_execz .LBB1776_75
.LBB1776_60:                            ;   in Loop: Header=BB1776_21 Depth=2
	v_cmp_gt_i16_e32 vcc_lo, 0, v2
	v_lshlrev_b32_e32 v5, 2, v48
	v_cndmask_b32_e64 v4, 0x7fff, 0, vcc_lo
	s_delay_alu instid0(VALU_DEP_1) | instskip(NEXT) | instid1(VALU_DEP_1)
	v_xor_b32_e32 v4, v4, v2
	v_cmp_ne_u16_e32 vcc_lo, 0x8000, v4
	v_cndmask_b32_e32 v4, 0x7fff, v4, vcc_lo
	s_delay_alu instid0(VALU_DEP_1) | instskip(NEXT) | instid1(VALU_DEP_1)
	v_and_b32_e32 v4, 0xffff, v4
	v_lshrrev_b32_e32 v4, s48, v4
	s_delay_alu instid0(VALU_DEP_1) | instskip(NEXT) | instid1(VALU_DEP_1)
	v_and_b32_e32 v4, s55, v4
	v_lshl_or_b32 v4, v4, 4, v5
	ds_add_u32 v4, v94
	s_or_b32 exec_lo, exec_lo, s0
	s_delay_alu instid0(SALU_CYCLE_1)
	s_mov_b32 s0, exec_lo
	v_cmpx_lt_u32_e64 v63, v21
	s_cbranch_execz .LBB1776_20
	s_branch .LBB1776_76
.LBB1776_61:                            ;   in Loop: Header=BB1776_21 Depth=2
	s_or_b32 exec_lo, exec_lo, s0
	s_delay_alu instid0(SALU_CYCLE_1)
	s_mov_b32 s0, exec_lo
	v_cmpx_lt_u32_e64 v45, v21
	s_cbranch_execz .LBB1776_47
.LBB1776_62:                            ;   in Loop: Header=BB1776_21 Depth=2
	v_cmp_gt_i16_e32 vcc_lo, 0, v18
	v_lshlrev_b32_e32 v5, 2, v48
	v_cndmask_b32_e64 v4, 0x7fff, 0, vcc_lo
	s_delay_alu instid0(VALU_DEP_1) | instskip(NEXT) | instid1(VALU_DEP_1)
	v_xor_b32_e32 v4, v4, v18
	v_cmp_ne_u16_e32 vcc_lo, 0x8000, v4
	v_cndmask_b32_e32 v4, 0x7fff, v4, vcc_lo
	s_delay_alu instid0(VALU_DEP_1) | instskip(NEXT) | instid1(VALU_DEP_1)
	v_and_b32_e32 v4, 0xffff, v4
	v_lshrrev_b32_e32 v4, s48, v4
	s_delay_alu instid0(VALU_DEP_1) | instskip(NEXT) | instid1(VALU_DEP_1)
	v_and_b32_e32 v4, s55, v4
	v_lshl_or_b32 v4, v4, 4, v5
	ds_add_u32 v4, v94
	s_or_b32 exec_lo, exec_lo, s0
	s_delay_alu instid0(SALU_CYCLE_1)
	s_mov_b32 s0, exec_lo
	v_cmpx_lt_u32_e64 v46, v21
	s_cbranch_execnz .LBB1776_48
.LBB1776_63:                            ;   in Loop: Header=BB1776_21 Depth=2
	s_or_b32 exec_lo, exec_lo, s0
	s_delay_alu instid0(SALU_CYCLE_1)
	s_mov_b32 s0, exec_lo
	v_cmpx_lt_u32_e64 v47, v21
	s_cbranch_execz .LBB1776_49
.LBB1776_64:                            ;   in Loop: Header=BB1776_21 Depth=2
	v_cmp_gt_i16_e32 vcc_lo, 0, v16
	v_lshlrev_b32_e32 v5, 2, v48
	v_cndmask_b32_e64 v4, 0x7fff, 0, vcc_lo
	s_delay_alu instid0(VALU_DEP_1) | instskip(NEXT) | instid1(VALU_DEP_1)
	v_xor_b32_e32 v4, v4, v16
	v_cmp_ne_u16_e32 vcc_lo, 0x8000, v4
	v_cndmask_b32_e32 v4, 0x7fff, v4, vcc_lo
	s_delay_alu instid0(VALU_DEP_1) | instskip(NEXT) | instid1(VALU_DEP_1)
	v_and_b32_e32 v4, 0xffff, v4
	v_lshrrev_b32_e32 v4, s48, v4
	s_delay_alu instid0(VALU_DEP_1) | instskip(NEXT) | instid1(VALU_DEP_1)
	v_and_b32_e32 v4, s55, v4
	v_lshl_or_b32 v4, v4, 4, v5
	ds_add_u32 v4, v94
	s_or_b32 exec_lo, exec_lo, s0
	s_delay_alu instid0(SALU_CYCLE_1)
	s_mov_b32 s0, exec_lo
	v_cmpx_lt_u32_e64 v51, v21
	s_cbranch_execnz .LBB1776_50
.LBB1776_65:                            ;   in Loop: Header=BB1776_21 Depth=2
	s_or_b32 exec_lo, exec_lo, s0
	s_delay_alu instid0(SALU_CYCLE_1)
	s_mov_b32 s0, exec_lo
	v_cmpx_lt_u32_e64 v52, v21
	s_cbranch_execz .LBB1776_51
.LBB1776_66:                            ;   in Loop: Header=BB1776_21 Depth=2
	v_cmp_gt_i16_e32 vcc_lo, 0, v14
	v_lshlrev_b32_e32 v5, 2, v48
	v_cndmask_b32_e64 v4, 0x7fff, 0, vcc_lo
	s_delay_alu instid0(VALU_DEP_1) | instskip(NEXT) | instid1(VALU_DEP_1)
	v_xor_b32_e32 v4, v4, v14
	v_cmp_ne_u16_e32 vcc_lo, 0x8000, v4
	v_cndmask_b32_e32 v4, 0x7fff, v4, vcc_lo
	s_delay_alu instid0(VALU_DEP_1) | instskip(NEXT) | instid1(VALU_DEP_1)
	v_and_b32_e32 v4, 0xffff, v4
	v_lshrrev_b32_e32 v4, s48, v4
	s_delay_alu instid0(VALU_DEP_1) | instskip(NEXT) | instid1(VALU_DEP_1)
	v_and_b32_e32 v4, s55, v4
	v_lshl_or_b32 v4, v4, 4, v5
	ds_add_u32 v4, v94
	s_or_b32 exec_lo, exec_lo, s0
	s_delay_alu instid0(SALU_CYCLE_1)
	s_mov_b32 s0, exec_lo
	v_cmpx_lt_u32_e64 v53, v21
	s_cbranch_execnz .LBB1776_52
.LBB1776_67:                            ;   in Loop: Header=BB1776_21 Depth=2
	s_or_b32 exec_lo, exec_lo, s0
	s_delay_alu instid0(SALU_CYCLE_1)
	s_mov_b32 s0, exec_lo
	v_cmpx_lt_u32_e64 v54, v21
	s_cbranch_execz .LBB1776_53
.LBB1776_68:                            ;   in Loop: Header=BB1776_21 Depth=2
	v_cmp_gt_i16_e32 vcc_lo, 0, v12
	v_lshlrev_b32_e32 v5, 2, v48
	v_cndmask_b32_e64 v4, 0x7fff, 0, vcc_lo
	s_delay_alu instid0(VALU_DEP_1) | instskip(NEXT) | instid1(VALU_DEP_1)
	v_xor_b32_e32 v4, v4, v12
	v_cmp_ne_u16_e32 vcc_lo, 0x8000, v4
	v_cndmask_b32_e32 v4, 0x7fff, v4, vcc_lo
	s_delay_alu instid0(VALU_DEP_1) | instskip(NEXT) | instid1(VALU_DEP_1)
	v_and_b32_e32 v4, 0xffff, v4
	v_lshrrev_b32_e32 v4, s48, v4
	s_delay_alu instid0(VALU_DEP_1) | instskip(NEXT) | instid1(VALU_DEP_1)
	v_and_b32_e32 v4, s55, v4
	v_lshl_or_b32 v4, v4, 4, v5
	ds_add_u32 v4, v94
	s_or_b32 exec_lo, exec_lo, s0
	s_delay_alu instid0(SALU_CYCLE_1)
	s_mov_b32 s0, exec_lo
	v_cmpx_lt_u32_e64 v55, v21
	s_cbranch_execnz .LBB1776_54
.LBB1776_69:                            ;   in Loop: Header=BB1776_21 Depth=2
	s_or_b32 exec_lo, exec_lo, s0
	s_delay_alu instid0(SALU_CYCLE_1)
	s_mov_b32 s0, exec_lo
	v_cmpx_lt_u32_e64 v56, v21
	s_cbranch_execz .LBB1776_55
.LBB1776_70:                            ;   in Loop: Header=BB1776_21 Depth=2
	v_cmp_gt_i16_e32 vcc_lo, 0, v10
	v_lshlrev_b32_e32 v5, 2, v48
	v_cndmask_b32_e64 v4, 0x7fff, 0, vcc_lo
	s_delay_alu instid0(VALU_DEP_1) | instskip(NEXT) | instid1(VALU_DEP_1)
	v_xor_b32_e32 v4, v4, v10
	v_cmp_ne_u16_e32 vcc_lo, 0x8000, v4
	v_cndmask_b32_e32 v4, 0x7fff, v4, vcc_lo
	s_delay_alu instid0(VALU_DEP_1) | instskip(NEXT) | instid1(VALU_DEP_1)
	v_and_b32_e32 v4, 0xffff, v4
	v_lshrrev_b32_e32 v4, s48, v4
	s_delay_alu instid0(VALU_DEP_1) | instskip(NEXT) | instid1(VALU_DEP_1)
	v_and_b32_e32 v4, s55, v4
	v_lshl_or_b32 v4, v4, 4, v5
	ds_add_u32 v4, v94
	s_or_b32 exec_lo, exec_lo, s0
	s_delay_alu instid0(SALU_CYCLE_1)
	s_mov_b32 s0, exec_lo
	v_cmpx_lt_u32_e64 v57, v21
	s_cbranch_execnz .LBB1776_56
.LBB1776_71:                            ;   in Loop: Header=BB1776_21 Depth=2
	s_or_b32 exec_lo, exec_lo, s0
	s_delay_alu instid0(SALU_CYCLE_1)
	s_mov_b32 s0, exec_lo
	v_cmpx_lt_u32_e64 v58, v21
	s_cbranch_execz .LBB1776_57
.LBB1776_72:                            ;   in Loop: Header=BB1776_21 Depth=2
	v_cmp_gt_i16_e32 vcc_lo, 0, v8
	v_lshlrev_b32_e32 v5, 2, v48
	v_cndmask_b32_e64 v4, 0x7fff, 0, vcc_lo
	s_delay_alu instid0(VALU_DEP_1) | instskip(NEXT) | instid1(VALU_DEP_1)
	v_xor_b32_e32 v4, v4, v8
	v_cmp_ne_u16_e32 vcc_lo, 0x8000, v4
	v_cndmask_b32_e32 v4, 0x7fff, v4, vcc_lo
	s_delay_alu instid0(VALU_DEP_1) | instskip(NEXT) | instid1(VALU_DEP_1)
	v_and_b32_e32 v4, 0xffff, v4
	v_lshrrev_b32_e32 v4, s48, v4
	s_delay_alu instid0(VALU_DEP_1) | instskip(NEXT) | instid1(VALU_DEP_1)
	v_and_b32_e32 v4, s55, v4
	v_lshl_or_b32 v4, v4, 4, v5
	ds_add_u32 v4, v94
	s_or_b32 exec_lo, exec_lo, s0
	s_delay_alu instid0(SALU_CYCLE_1)
	s_mov_b32 s0, exec_lo
	v_cmpx_lt_u32_e64 v59, v21
	s_cbranch_execnz .LBB1776_58
.LBB1776_73:                            ;   in Loop: Header=BB1776_21 Depth=2
	s_or_b32 exec_lo, exec_lo, s0
	s_delay_alu instid0(SALU_CYCLE_1)
	s_mov_b32 s0, exec_lo
	v_cmpx_lt_u32_e64 v60, v21
	s_cbranch_execz .LBB1776_59
.LBB1776_74:                            ;   in Loop: Header=BB1776_21 Depth=2
	v_cmp_gt_i16_e32 vcc_lo, 0, v6
	v_lshlrev_b32_e32 v5, 2, v48
	v_cndmask_b32_e64 v4, 0x7fff, 0, vcc_lo
	s_delay_alu instid0(VALU_DEP_1) | instskip(NEXT) | instid1(VALU_DEP_1)
	v_xor_b32_e32 v4, v4, v6
	v_cmp_ne_u16_e32 vcc_lo, 0x8000, v4
	v_cndmask_b32_e32 v4, 0x7fff, v4, vcc_lo
	s_delay_alu instid0(VALU_DEP_1) | instskip(NEXT) | instid1(VALU_DEP_1)
	v_and_b32_e32 v4, 0xffff, v4
	v_lshrrev_b32_e32 v4, s48, v4
	s_delay_alu instid0(VALU_DEP_1) | instskip(NEXT) | instid1(VALU_DEP_1)
	v_and_b32_e32 v4, s55, v4
	v_lshl_or_b32 v4, v4, 4, v5
	ds_add_u32 v4, v94
	s_or_b32 exec_lo, exec_lo, s0
	s_delay_alu instid0(SALU_CYCLE_1)
	s_mov_b32 s0, exec_lo
	v_cmpx_lt_u32_e64 v61, v21
	s_cbranch_execnz .LBB1776_60
.LBB1776_75:                            ;   in Loop: Header=BB1776_21 Depth=2
	s_or_b32 exec_lo, exec_lo, s0
	s_delay_alu instid0(SALU_CYCLE_1)
	s_mov_b32 s0, exec_lo
	v_cmpx_lt_u32_e64 v63, v21
	s_cbranch_execz .LBB1776_20
.LBB1776_76:                            ;   in Loop: Header=BB1776_21 Depth=2
	s_waitcnt vmcnt(0)
	v_cmp_gt_i16_e32 vcc_lo, 0, v20
	v_lshlrev_b32_e32 v5, 2, v48
	v_cndmask_b32_e64 v4, 0x7fff, 0, vcc_lo
	s_delay_alu instid0(VALU_DEP_1) | instskip(NEXT) | instid1(VALU_DEP_1)
	v_xor_b32_e32 v4, v4, v20
	v_cmp_ne_u16_e32 vcc_lo, 0x8000, v4
	v_cndmask_b32_e32 v4, 0x7fff, v4, vcc_lo
	s_delay_alu instid0(VALU_DEP_1) | instskip(NEXT) | instid1(VALU_DEP_1)
	v_and_b32_e32 v4, 0xffff, v4
	v_lshrrev_b32_e32 v4, s48, v4
	s_delay_alu instid0(VALU_DEP_1) | instskip(NEXT) | instid1(VALU_DEP_1)
	v_and_b32_e32 v4, s55, v4
	v_lshl_or_b32 v4, v4, 4, v5
	ds_add_u32 v4, v94
	s_branch .LBB1776_20
.LBB1776_77:                            ;   in Loop: Header=BB1776_21 Depth=2
	s_or_b32 exec_lo, exec_lo, s11
	s_delay_alu instid0(SALU_CYCLE_1)
	s_mov_b32 s11, exec_lo
	v_cmpx_gt_u32_e64 s8, v45
	s_cbranch_execz .LBB1776_27
.LBB1776_78:                            ;   in Loop: Header=BB1776_21 Depth=2
	global_load_u16 v18, v95, s[0:1] offset:512
	s_or_b32 exec_lo, exec_lo, s11
	s_delay_alu instid0(SALU_CYCLE_1)
	s_mov_b32 s11, exec_lo
	v_cmpx_gt_u32_e64 s8, v46
	s_cbranch_execnz .LBB1776_28
.LBB1776_79:                            ;   in Loop: Header=BB1776_21 Depth=2
	s_or_b32 exec_lo, exec_lo, s11
	s_delay_alu instid0(SALU_CYCLE_1)
	s_mov_b32 s11, exec_lo
	v_cmpx_gt_u32_e64 s8, v47
	s_cbranch_execz .LBB1776_29
.LBB1776_80:                            ;   in Loop: Header=BB1776_21 Depth=2
	global_load_u16 v16, v95, s[0:1] offset:1536
	s_or_b32 exec_lo, exec_lo, s11
	s_delay_alu instid0(SALU_CYCLE_1)
	s_mov_b32 s11, exec_lo
	v_cmpx_gt_u32_e64 s8, v51
	s_cbranch_execnz .LBB1776_30
.LBB1776_81:                            ;   in Loop: Header=BB1776_21 Depth=2
	s_or_b32 exec_lo, exec_lo, s11
	s_delay_alu instid0(SALU_CYCLE_1)
	s_mov_b32 s11, exec_lo
	v_cmpx_gt_u32_e64 s8, v52
	s_cbranch_execz .LBB1776_31
.LBB1776_82:                            ;   in Loop: Header=BB1776_21 Depth=2
	global_load_u16 v14, v95, s[0:1] offset:2560
	s_or_b32 exec_lo, exec_lo, s11
	s_delay_alu instid0(SALU_CYCLE_1)
	s_mov_b32 s11, exec_lo
	v_cmpx_gt_u32_e64 s8, v53
	s_cbranch_execnz .LBB1776_32
.LBB1776_83:                            ;   in Loop: Header=BB1776_21 Depth=2
	s_or_b32 exec_lo, exec_lo, s11
	s_delay_alu instid0(SALU_CYCLE_1)
	s_mov_b32 s11, exec_lo
	v_cmpx_gt_u32_e64 s8, v54
	s_cbranch_execz .LBB1776_33
.LBB1776_84:                            ;   in Loop: Header=BB1776_21 Depth=2
	global_load_u16 v12, v95, s[0:1] offset:3584
	s_or_b32 exec_lo, exec_lo, s11
	s_delay_alu instid0(SALU_CYCLE_1)
	s_mov_b32 s11, exec_lo
	v_cmpx_gt_u32_e64 s8, v55
	s_cbranch_execnz .LBB1776_34
.LBB1776_85:                            ;   in Loop: Header=BB1776_21 Depth=2
	s_or_b32 exec_lo, exec_lo, s11
	s_delay_alu instid0(SALU_CYCLE_1)
	s_mov_b32 s11, exec_lo
	v_cmpx_gt_u32_e64 s8, v56
	s_cbranch_execz .LBB1776_35
.LBB1776_86:                            ;   in Loop: Header=BB1776_21 Depth=2
	global_load_u16 v10, v97, s[0:1]
	s_or_b32 exec_lo, exec_lo, s11
	s_delay_alu instid0(SALU_CYCLE_1)
	s_mov_b32 s11, exec_lo
	v_cmpx_gt_u32_e64 s8, v57
	s_cbranch_execnz .LBB1776_36
.LBB1776_87:                            ;   in Loop: Header=BB1776_21 Depth=2
	s_or_b32 exec_lo, exec_lo, s11
	s_delay_alu instid0(SALU_CYCLE_1)
	s_mov_b32 s11, exec_lo
	v_cmpx_gt_u32_e64 s8, v58
	s_cbranch_execz .LBB1776_37
.LBB1776_88:                            ;   in Loop: Header=BB1776_21 Depth=2
	global_load_u16 v8, v99, s[0:1]
	s_or_b32 exec_lo, exec_lo, s11
	s_delay_alu instid0(SALU_CYCLE_1)
	s_mov_b32 s11, exec_lo
	v_cmpx_gt_u32_e64 s8, v59
	s_cbranch_execnz .LBB1776_38
.LBB1776_89:                            ;   in Loop: Header=BB1776_21 Depth=2
	s_or_b32 exec_lo, exec_lo, s11
	s_delay_alu instid0(SALU_CYCLE_1)
	s_mov_b32 s11, exec_lo
	v_cmpx_gt_u32_e64 s8, v60
	s_cbranch_execz .LBB1776_39
.LBB1776_90:                            ;   in Loop: Header=BB1776_21 Depth=2
	global_load_u16 v6, v101, s[0:1]
	s_or_b32 exec_lo, exec_lo, s11
	s_delay_alu instid0(SALU_CYCLE_1)
	s_mov_b32 s11, exec_lo
	v_cmpx_gt_u32_e64 s8, v61
	s_cbranch_execz .LBB1776_41
	s_branch .LBB1776_40
.LBB1776_91:                            ;   in Loop: Header=BB1776_17 Depth=1
	v_mov_b32_e32 v2, 0
	s_waitcnt vmcnt(0) lgkmcnt(0)
	s_barrier
	buffer_gl0_inv
	s_and_saveexec_b32 s0, s2
	s_cbranch_execz .LBB1776_93
; %bb.92:                               ;   in Loop: Header=BB1776_17 Depth=1
	ds_load_2addr_b64 v[4:7], v64 offset1:1
	s_waitcnt lgkmcnt(0)
	v_add_nc_u32_e32 v2, v5, v4
	s_delay_alu instid0(VALU_DEP_1)
	v_add3_u32 v2, v2, v6, v7
.LBB1776_93:                            ;   in Loop: Header=BB1776_17 Depth=1
	s_or_b32 exec_lo, exec_lo, s0
	v_and_b32_e32 v4, 15, v104
	s_delay_alu instid0(VALU_DEP_2) | instskip(SKIP_1) | instid1(VALU_DEP_3)
	v_mov_b32_dpp v5, v2 row_shr:1 row_mask:0xf bank_mask:0xf
	v_and_b32_e32 v6, 16, v104
	v_cmp_eq_u32_e64 s0, 0, v4
	v_cmp_lt_u32_e64 s1, 1, v4
	v_cmp_lt_u32_e64 s8, 3, v4
	;; [unrolled: 1-line block ×3, first 2 shown]
	v_cmp_eq_u32_e64 s10, 0, v6
	v_cndmask_b32_e64 v5, v5, 0, s0
	s_delay_alu instid0(VALU_DEP_1) | instskip(NEXT) | instid1(VALU_DEP_1)
	v_add_nc_u32_e32 v2, v5, v2
	v_mov_b32_dpp v5, v2 row_shr:2 row_mask:0xf bank_mask:0xf
	s_delay_alu instid0(VALU_DEP_1) | instskip(NEXT) | instid1(VALU_DEP_1)
	v_cndmask_b32_e64 v5, 0, v5, s1
	v_add_nc_u32_e32 v2, v2, v5
	s_delay_alu instid0(VALU_DEP_1) | instskip(NEXT) | instid1(VALU_DEP_1)
	v_mov_b32_dpp v5, v2 row_shr:4 row_mask:0xf bank_mask:0xf
	v_cndmask_b32_e64 v5, 0, v5, s8
	s_delay_alu instid0(VALU_DEP_1) | instskip(NEXT) | instid1(VALU_DEP_1)
	v_add_nc_u32_e32 v2, v2, v5
	v_mov_b32_dpp v5, v2 row_shr:8 row_mask:0xf bank_mask:0xf
	s_delay_alu instid0(VALU_DEP_1) | instskip(SKIP_1) | instid1(VALU_DEP_2)
	v_cndmask_b32_e64 v4, 0, v5, s9
	v_bfe_i32 v5, v104, 4, 1
	v_add_nc_u32_e32 v2, v2, v4
	ds_swizzle_b32 v4, v2 offset:swizzle(BROADCAST,32,15)
	s_waitcnt lgkmcnt(0)
	v_and_b32_e32 v4, v5, v4
	s_delay_alu instid0(VALU_DEP_1)
	v_add_nc_u32_e32 v4, v2, v4
	s_and_saveexec_b32 s11, s3
	s_cbranch_execz .LBB1776_95
; %bb.94:                               ;   in Loop: Header=BB1776_17 Depth=1
	ds_store_b32 v65, v4
.LBB1776_95:                            ;   in Loop: Header=BB1776_17 Depth=1
	s_or_b32 exec_lo, exec_lo, s11
	v_and_b32_e32 v2, 7, v104
	s_waitcnt lgkmcnt(0)
	s_barrier
	buffer_gl0_inv
	s_and_saveexec_b32 s11, s4
	s_cbranch_execz .LBB1776_97
; %bb.96:                               ;   in Loop: Header=BB1776_17 Depth=1
	ds_load_b32 v5, v66
	v_cmp_ne_u32_e32 vcc_lo, 0, v2
	s_waitcnt lgkmcnt(0)
	v_mov_b32_dpp v6, v5 row_shr:1 row_mask:0xf bank_mask:0xf
	s_delay_alu instid0(VALU_DEP_1) | instskip(SKIP_1) | instid1(VALU_DEP_2)
	v_cndmask_b32_e32 v6, 0, v6, vcc_lo
	v_cmp_lt_u32_e32 vcc_lo, 1, v2
	v_add_nc_u32_e32 v5, v6, v5
	s_delay_alu instid0(VALU_DEP_1) | instskip(NEXT) | instid1(VALU_DEP_1)
	v_mov_b32_dpp v6, v5 row_shr:2 row_mask:0xf bank_mask:0xf
	v_cndmask_b32_e32 v6, 0, v6, vcc_lo
	v_cmp_lt_u32_e32 vcc_lo, 3, v2
	s_delay_alu instid0(VALU_DEP_2) | instskip(NEXT) | instid1(VALU_DEP_1)
	v_add_nc_u32_e32 v5, v5, v6
	v_mov_b32_dpp v6, v5 row_shr:4 row_mask:0xf bank_mask:0xf
	s_delay_alu instid0(VALU_DEP_1) | instskip(NEXT) | instid1(VALU_DEP_1)
	v_cndmask_b32_e32 v6, 0, v6, vcc_lo
	v_add_nc_u32_e32 v5, v5, v6
	ds_store_b32 v66, v5
.LBB1776_97:                            ;   in Loop: Header=BB1776_17 Depth=1
	s_or_b32 exec_lo, exec_lo, s11
	v_mov_b32_e32 v5, 0
	s_waitcnt lgkmcnt(0)
	s_barrier
	buffer_gl0_inv
	s_and_saveexec_b32 s11, s5
	s_cbranch_execz .LBB1776_99
; %bb.98:                               ;   in Loop: Header=BB1776_17 Depth=1
	ds_load_b32 v5, v67
.LBB1776_99:                            ;   in Loop: Header=BB1776_17 Depth=1
	s_or_b32 exec_lo, exec_lo, s11
	v_add_nc_u32_e32 v6, -1, v104
	s_waitcnt lgkmcnt(0)
	v_add_nc_u32_e32 v4, v5, v4
	v_cmp_eq_u32_e64 s11, 0, v104
	s_barrier
	v_cmp_gt_i32_e32 vcc_lo, 0, v6
	buffer_gl0_inv
	v_cndmask_b32_e32 v6, v6, v104, vcc_lo
	s_delay_alu instid0(VALU_DEP_1)
	v_lshlrev_b32_e32 v105, 2, v6
	ds_bpermute_b32 v4, v105, v4
	s_and_saveexec_b32 s12, s2
	s_cbranch_execz .LBB1776_101
; %bb.100:                              ;   in Loop: Header=BB1776_17 Depth=1
	s_waitcnt lgkmcnt(0)
	v_cndmask_b32_e64 v4, v4, v5, s11
	s_delay_alu instid0(VALU_DEP_1)
	v_add_nc_u32_e32 v4, s52, v4
	ds_store_b32 v44, v4
.LBB1776_101:                           ;   in Loop: Header=BB1776_17 Depth=1
	s_or_b32 exec_lo, exec_lo, s12
	s_clause 0x1
	s_load_b32 s12, s[42:43], 0x4
	s_load_b32 s17, s[42:43], 0xc
	v_lshlrev_b32_e32 v5, 3, v104
	v_cmp_lt_u32_e64 s16, 3, v2
	v_or_b32_e32 v106, v104, v68
	s_mov_b32 s56, s54
	s_mov_b32 s34, s52
	v_add_co_u32 v107, vcc_lo, v74, v5
	v_add_co_ci_u32_e32 v108, vcc_lo, 0, v75, vcc_lo
	v_or_b32_e32 v109, 32, v106
	v_or_b32_e32 v110, 64, v106
	;; [unrolled: 1-line block ×9, first 2 shown]
	s_waitcnt lgkmcnt(0)
	s_cmp_lt_u32 s15, s12
	v_or_b32_e32 v118, 0x140, v106
	s_cselect_b32 s12, 14, 20
	v_or_b32_e32 v119, 0x160, v106
	s_add_u32 s12, s42, s12
	s_addc_u32 s13, s43, 0
	s_and_b32 s17, s17, 0xffff
	global_load_u16 v4, v3, s[12:13]
	v_cmp_eq_u32_e64 s12, 0, v2
	v_cmp_lt_u32_e64 s13, 1, v2
	v_lshlrev_b32_e32 v2, 1, v104
	v_or_b32_e32 v120, 0x180, v106
	v_or_b32_e32 v121, 0x1a0, v106
	;; [unrolled: 1-line block ×4, first 2 shown]
	v_add_co_u32 v124, vcc_lo, v76, v2
	v_add_co_ci_u32_e32 v125, vcc_lo, 0, v77, vcc_lo
                                        ; implicit-def: $vgpr8_vgpr9
                                        ; implicit-def: $vgpr10_vgpr11
                                        ; implicit-def: $vgpr12_vgpr13
                                        ; implicit-def: $vgpr14_vgpr15
                                        ; implicit-def: $vgpr16_vgpr17
                                        ; implicit-def: $vgpr18_vgpr19
                                        ; implicit-def: $vgpr20_vgpr21
                                        ; implicit-def: $vgpr22_vgpr23
                                        ; implicit-def: $vgpr24_vgpr25
                                        ; implicit-def: $vgpr26_vgpr27
                                        ; implicit-def: $vgpr28_vgpr29
                                        ; implicit-def: $vgpr30_vgpr31
                                        ; implicit-def: $vgpr32_vgpr33
                                        ; implicit-def: $vgpr34_vgpr35
                                        ; implicit-def: $vgpr129
                                        ; implicit-def: $vgpr130
                                        ; implicit-def: $vgpr131
                                        ; implicit-def: $vgpr132
                                        ; implicit-def: $vgpr133
                                        ; implicit-def: $vgpr134
                                        ; implicit-def: $vgpr135
                                        ; implicit-def: $vgpr136
                                        ; implicit-def: $vgpr137
                                        ; implicit-def: $vgpr138
                                        ; implicit-def: $vgpr139
                                        ; implicit-def: $vgpr140
                                        ; implicit-def: $vgpr141
                                        ; implicit-def: $vgpr142
                                        ; implicit-def: $vgpr143
                                        ; implicit-def: $vgpr144
	s_delay_alu instid0(VALU_DEP_2) | instskip(NEXT) | instid1(VALU_DEP_2)
	v_add_co_u32 v127, vcc_lo, 0x3c0, v124
	v_add_co_ci_u32_e32 v128, vcc_lo, 0, v125, vcc_lo
	s_waitcnt vmcnt(0)
	v_mad_u32_u24 v6, v70, v4, v0
	s_delay_alu instid0(VALU_DEP_1) | instskip(NEXT) | instid1(VALU_DEP_1)
	v_mad_u64_u32 v[4:5], null, v6, s17, v[1:2]
                                        ; implicit-def: $vgpr6_vgpr7
	v_lshrrev_b32_e32 v126, 5, v4
                                        ; implicit-def: $vgpr4_vgpr5
	s_branch .LBB1776_103
.LBB1776_102:                           ;   in Loop: Header=BB1776_103 Depth=2
	s_or_b32 exec_lo, exec_lo, s17
	s_addk_i32 s56, 0xf000
	s_cmp_lt_u32 s57, s53
	s_mov_b32 s34, s57
	s_cbranch_scc0 .LBB1776_311
.LBB1776_103:                           ;   Parent Loop BB1776_17 Depth=1
                                        ; =>  This Inner Loop Header: Depth=2
	s_add_i32 s57, s34, 0x1000
	s_delay_alu instid0(SALU_CYCLE_1)
	s_cmp_gt_u32 s57, s53
	s_cbranch_scc1 .LBB1776_106
; %bb.104:                              ;   in Loop: Header=BB1776_103 Depth=2
	s_mov_b32 s19, 0
	s_mov_b32 s18, s34
	s_movk_i32 s17, 0x1000
	s_lshl_b64 s[20:21], s[18:19], 1
	s_delay_alu instid0(SALU_CYCLE_1)
	v_add_co_u32 v36, vcc_lo, v124, s20
	v_add_co_ci_u32_e32 v37, vcc_lo, s21, v125, vcc_lo
	s_mov_b32 s20, -1
	s_clause 0xe
	global_load_u16 v2, v[36:37], off
	global_load_u16 v146, v[36:37], off offset:64
	global_load_u16 v149, v[36:37], off offset:128
	;; [unrolled: 1-line block ×14, first 2 shown]
	s_cbranch_execz .LBB1776_107
; %bb.105:                              ;   in Loop: Header=BB1776_103 Depth=2
                                        ; implicit-def: $sgpr21
	v_dual_mov_b32 v36, s21 :: v_dual_mov_b32 v145, s56
	s_and_saveexec_b32 s21, s20
	s_cbranch_execnz .LBB1776_138
	s_branch .LBB1776_139
.LBB1776_106:                           ;   in Loop: Header=BB1776_103 Depth=2
	s_mov_b32 s19, -1
	s_mov_b32 s20, 0
                                        ; implicit-def: $sgpr17
                                        ; implicit-def: $vgpr2
                                        ; implicit-def: $vgpr146
                                        ; implicit-def: $vgpr149
                                        ; implicit-def: $vgpr153
                                        ; implicit-def: $vgpr157
                                        ; implicit-def: $vgpr161
                                        ; implicit-def: $vgpr165
                                        ; implicit-def: $vgpr170
                                        ; implicit-def: $vgpr169
                                        ; implicit-def: $vgpr43
                                        ; implicit-def: $vgpr42
                                        ; implicit-def: $vgpr41
                                        ; implicit-def: $vgpr40
                                        ; implicit-def: $vgpr39
                                        ; implicit-def: $vgpr38
.LBB1776_107:                           ;   in Loop: Header=BB1776_103 Depth=2
	s_lshl_b64 s[18:19], s[34:35], 1
	s_waitcnt vmcnt(13)
	v_mov_b32_e32 v146, -1
	v_add_co_u32 v36, vcc_lo, v124, s18
	v_add_co_ci_u32_e32 v37, vcc_lo, s19, v125, vcc_lo
	v_mov_b32_e32 v2, -1
	s_mov_b32 s17, exec_lo
	v_cmpx_gt_u32_e64 s56, v106
	s_cbranch_execz .LBB1776_109
; %bb.108:                              ;   in Loop: Header=BB1776_103 Depth=2
	global_load_u16 v2, v[36:37], off
.LBB1776_109:                           ;   in Loop: Header=BB1776_103 Depth=2
	s_or_b32 exec_lo, exec_lo, s17
	s_delay_alu instid0(SALU_CYCLE_1)
	s_mov_b32 s17, exec_lo
	v_cmpx_gt_u32_e64 s56, v109
	s_cbranch_execz .LBB1776_111
; %bb.110:                              ;   in Loop: Header=BB1776_103 Depth=2
	global_load_u16 v146, v[36:37], off offset:64
.LBB1776_111:                           ;   in Loop: Header=BB1776_103 Depth=2
	s_or_b32 exec_lo, exec_lo, s17
	s_waitcnt vmcnt(11)
	v_mov_b32_e32 v153, -1
	v_mov_b32_e32 v149, -1
	s_mov_b32 s17, exec_lo
	v_cmpx_gt_u32_e64 s56, v110
	s_cbranch_execz .LBB1776_113
; %bb.112:                              ;   in Loop: Header=BB1776_103 Depth=2
	global_load_u16 v149, v[36:37], off offset:128
.LBB1776_113:                           ;   in Loop: Header=BB1776_103 Depth=2
	s_or_b32 exec_lo, exec_lo, s17
	s_delay_alu instid0(SALU_CYCLE_1)
	s_mov_b32 s17, exec_lo
	v_cmpx_gt_u32_e64 s56, v111
	s_cbranch_execz .LBB1776_115
; %bb.114:                              ;   in Loop: Header=BB1776_103 Depth=2
	global_load_u16 v153, v[36:37], off offset:192
.LBB1776_115:                           ;   in Loop: Header=BB1776_103 Depth=2
	s_or_b32 exec_lo, exec_lo, s17
	s_waitcnt vmcnt(9)
	v_mov_b32_e32 v161, -1
	v_mov_b32_e32 v157, -1
	s_mov_b32 s17, exec_lo
	v_cmpx_gt_u32_e64 s56, v112
	s_cbranch_execz .LBB1776_117
; %bb.116:                              ;   in Loop: Header=BB1776_103 Depth=2
	global_load_u16 v157, v[36:37], off offset:256
.LBB1776_117:                           ;   in Loop: Header=BB1776_103 Depth=2
	s_or_b32 exec_lo, exec_lo, s17
	s_delay_alu instid0(SALU_CYCLE_1)
	s_mov_b32 s17, exec_lo
	v_cmpx_gt_u32_e64 s56, v113
	s_cbranch_execz .LBB1776_119
; %bb.118:                              ;   in Loop: Header=BB1776_103 Depth=2
	global_load_u16 v161, v[36:37], off offset:320
.LBB1776_119:                           ;   in Loop: Header=BB1776_103 Depth=2
	s_or_b32 exec_lo, exec_lo, s17
	s_waitcnt vmcnt(7)
	v_dual_mov_b32 v170, -1 :: v_dual_mov_b32 v165, -1
	s_mov_b32 s17, exec_lo
	v_cmpx_gt_u32_e64 s56, v114
	s_cbranch_execz .LBB1776_121
; %bb.120:                              ;   in Loop: Header=BB1776_103 Depth=2
	global_load_u16 v165, v[36:37], off offset:384
.LBB1776_121:                           ;   in Loop: Header=BB1776_103 Depth=2
	s_or_b32 exec_lo, exec_lo, s17
	s_delay_alu instid0(SALU_CYCLE_1)
	s_mov_b32 s17, exec_lo
	v_cmpx_gt_u32_e64 s56, v115
	s_cbranch_execz .LBB1776_123
; %bb.122:                              ;   in Loop: Header=BB1776_103 Depth=2
	global_load_u16 v170, v[36:37], off offset:448
.LBB1776_123:                           ;   in Loop: Header=BB1776_103 Depth=2
	s_or_b32 exec_lo, exec_lo, s17
	s_waitcnt vmcnt(5)
	v_mov_b32_e32 v43, -1
	v_mov_b32_e32 v169, -1
	s_mov_b32 s17, exec_lo
	v_cmpx_gt_u32_e64 s56, v116
	s_cbranch_execz .LBB1776_125
; %bb.124:                              ;   in Loop: Header=BB1776_103 Depth=2
	global_load_u16 v169, v[36:37], off offset:512
.LBB1776_125:                           ;   in Loop: Header=BB1776_103 Depth=2
	s_or_b32 exec_lo, exec_lo, s17
	s_delay_alu instid0(SALU_CYCLE_1)
	s_mov_b32 s17, exec_lo
	v_cmpx_gt_u32_e64 s56, v117
	s_cbranch_execz .LBB1776_127
; %bb.126:                              ;   in Loop: Header=BB1776_103 Depth=2
	global_load_u16 v43, v[36:37], off offset:576
.LBB1776_127:                           ;   in Loop: Header=BB1776_103 Depth=2
	s_or_b32 exec_lo, exec_lo, s17
	s_waitcnt vmcnt(3)
	v_dual_mov_b32 v41, -1 :: v_dual_mov_b32 v42, -1
	s_mov_b32 s17, exec_lo
	v_cmpx_gt_u32_e64 s56, v118
	s_cbranch_execz .LBB1776_129
; %bb.128:                              ;   in Loop: Header=BB1776_103 Depth=2
	global_load_u16 v42, v[36:37], off offset:640
.LBB1776_129:                           ;   in Loop: Header=BB1776_103 Depth=2
	s_or_b32 exec_lo, exec_lo, s17
	s_delay_alu instid0(SALU_CYCLE_1)
	s_mov_b32 s17, exec_lo
	v_cmpx_gt_u32_e64 s56, v119
	s_cbranch_execz .LBB1776_131
; %bb.130:                              ;   in Loop: Header=BB1776_103 Depth=2
	global_load_u16 v41, v[36:37], off offset:704
.LBB1776_131:                           ;   in Loop: Header=BB1776_103 Depth=2
	s_or_b32 exec_lo, exec_lo, s17
	s_waitcnt vmcnt(1)
	v_dual_mov_b32 v39, -1 :: v_dual_mov_b32 v40, -1
	s_mov_b32 s17, exec_lo
	v_cmpx_gt_u32_e64 s56, v120
	s_cbranch_execz .LBB1776_133
; %bb.132:                              ;   in Loop: Header=BB1776_103 Depth=2
	global_load_u16 v40, v[36:37], off offset:768
.LBB1776_133:                           ;   in Loop: Header=BB1776_103 Depth=2
	s_or_b32 exec_lo, exec_lo, s17
	s_delay_alu instid0(SALU_CYCLE_1)
	s_mov_b32 s17, exec_lo
	v_cmpx_gt_u32_e64 s56, v121
	s_cbranch_execz .LBB1776_135
; %bb.134:                              ;   in Loop: Header=BB1776_103 Depth=2
	global_load_u16 v39, v[36:37], off offset:832
.LBB1776_135:                           ;   in Loop: Header=BB1776_103 Depth=2
	s_or_b32 exec_lo, exec_lo, s17
	s_waitcnt vmcnt(0)
	v_mov_b32_e32 v38, -1
	s_mov_b32 s17, exec_lo
	v_cmpx_gt_u32_e64 s56, v122
	s_cbranch_execz .LBB1776_137
; %bb.136:                              ;   in Loop: Header=BB1776_103 Depth=2
	global_load_u16 v38, v[36:37], off offset:896
.LBB1776_137:                           ;   in Loop: Header=BB1776_103 Depth=2
	s_or_b32 exec_lo, exec_lo, s17
	v_cmp_gt_u32_e64 s20, s56, v123
	s_sub_i32 s17, s53, s34
	s_mov_b32 s21, -1
	s_mov_b64 s[18:19], s[34:35]
	v_dual_mov_b32 v36, s21 :: v_dual_mov_b32 v145, s56
	s_and_saveexec_b32 s21, s20
	s_cbranch_execz .LBB1776_139
.LBB1776_138:                           ;   in Loop: Header=BB1776_103 Depth=2
	s_lshl_b64 s[18:19], s[18:19], 1
	v_mov_b32_e32 v145, s17
	v_add_co_u32 v36, vcc_lo, v127, s18
	v_add_co_ci_u32_e32 v37, vcc_lo, s19, v128, vcc_lo
	global_load_u16 v36, v[36:37], off
.LBB1776_139:                           ;   in Loop: Header=BB1776_103 Depth=2
	s_or_b32 exec_lo, exec_lo, s21
	s_waitcnt vmcnt(14)
	v_cmp_gt_i16_e32 vcc_lo, 0, v2
	ds_store_b32 v69, v3 offset:1056
	ds_store_2addr_b32 v71, v3, v3 offset0:1 offset1:2
	ds_store_2addr_b32 v71, v3, v3 offset0:3 offset1:4
	;; [unrolled: 1-line block ×4, first 2 shown]
	s_waitcnt vmcnt(0) lgkmcnt(0)
	s_barrier
	v_cndmask_b32_e64 v37, 0x7fff, 0, vcc_lo
	buffer_gl0_inv
	; wave barrier
	v_xor_b32_e32 v2, v37, v2
	s_delay_alu instid0(VALU_DEP_1) | instskip(SKIP_1) | instid1(VALU_DEP_1)
	v_cmp_ne_u16_e32 vcc_lo, 0x8000, v2
	v_cndmask_b32_e32 v37, 0x7fff, v2, vcc_lo
	v_and_b32_e32 v37, 0xffff, v37
	s_delay_alu instid0(VALU_DEP_1) | instskip(NEXT) | instid1(VALU_DEP_1)
	v_lshrrev_b32_e32 v37, s48, v37
	v_and_b32_e32 v148, s55, v37
	s_delay_alu instid0(VALU_DEP_1)
	v_lshlrev_b32_e32 v150, 29, v148
	v_and_b32_e32 v37, 1, v148
	v_lshlrev_b32_e32 v147, 30, v148
	v_lshlrev_b32_e32 v151, 28, v148
	v_lshlrev_b32_e32 v154, 27, v148
	v_lshlrev_b32_e32 v155, 26, v148
	v_add_co_u32 v37, s17, v37, -1
	s_delay_alu instid0(VALU_DEP_1)
	v_cndmask_b32_e64 v152, 0, 1, s17
	v_not_b32_e32 v158, v147
	v_cmp_gt_i32_e64 s17, 0, v147
	v_not_b32_e32 v147, v150
	v_lshlrev_b32_e32 v156, 25, v148
	v_cmp_ne_u32_e32 vcc_lo, 0, v152
	v_ashrrev_i32_e32 v158, 31, v158
	v_lshlrev_b32_e32 v152, 24, v148
	v_ashrrev_i32_e32 v147, 31, v147
	v_mad_u32_u24 v148, v148, 9, v126
	v_xor_b32_e32 v37, vcc_lo, v37
	v_cmp_gt_i32_e32 vcc_lo, 0, v150
	v_not_b32_e32 v150, v151
	v_xor_b32_e32 v158, s17, v158
	v_cmp_gt_i32_e64 s17, 0, v151
	v_and_b32_e32 v37, exec_lo, v37
	v_not_b32_e32 v151, v154
	v_ashrrev_i32_e32 v150, 31, v150
	v_xor_b32_e32 v147, vcc_lo, v147
	v_cmp_gt_i32_e32 vcc_lo, 0, v154
	v_and_b32_e32 v37, v37, v158
	v_not_b32_e32 v154, v155
	v_ashrrev_i32_e32 v151, 31, v151
	v_xor_b32_e32 v150, s17, v150
	v_cmp_gt_i32_e64 s17, 0, v155
	v_and_b32_e32 v37, v37, v147
	v_not_b32_e32 v147, v156
	v_ashrrev_i32_e32 v154, 31, v154
	v_xor_b32_e32 v151, vcc_lo, v151
	v_cmp_gt_i32_e32 vcc_lo, 0, v156
	v_and_b32_e32 v37, v37, v150
	v_not_b32_e32 v150, v152
	v_ashrrev_i32_e32 v147, 31, v147
	v_xor_b32_e32 v154, s17, v154
	v_cmp_gt_i32_e64 s17, 0, v152
	v_and_b32_e32 v37, v37, v151
	v_ashrrev_i32_e32 v150, 31, v150
	v_xor_b32_e32 v147, vcc_lo, v147
	v_lshl_add_u32 v148, v148, 2, 0x420
	s_delay_alu instid0(VALU_DEP_4) | instskip(NEXT) | instid1(VALU_DEP_4)
	v_and_b32_e32 v37, v37, v154
	v_xor_b32_e32 v150, s17, v150
	s_delay_alu instid0(VALU_DEP_2) | instskip(NEXT) | instid1(VALU_DEP_1)
	v_and_b32_e32 v37, v37, v147
	v_and_b32_e32 v37, v37, v150
	s_delay_alu instid0(VALU_DEP_1) | instskip(SKIP_1) | instid1(VALU_DEP_2)
	v_mbcnt_lo_u32_b32 v147, v37, 0
	v_cmp_ne_u32_e64 s17, 0, v37
	v_cmp_eq_u32_e32 vcc_lo, 0, v147
	s_delay_alu instid0(VALU_DEP_2) | instskip(NEXT) | instid1(SALU_CYCLE_1)
	s_and_b32 s18, s17, vcc_lo
	s_and_saveexec_b32 s17, s18
	s_cbranch_execz .LBB1776_141
; %bb.140:                              ;   in Loop: Header=BB1776_103 Depth=2
	v_bcnt_u32_b32 v37, v37, 0
	ds_store_b32 v148, v37
.LBB1776_141:                           ;   in Loop: Header=BB1776_103 Depth=2
	s_or_b32 exec_lo, exec_lo, s17
	v_cmp_gt_i16_e64 vcc_lo, 0, v146
	; wave barrier
	s_delay_alu instid0(VALU_DEP_1) | instskip(NEXT) | instid1(VALU_DEP_1)
	v_cndmask_b32_e64 v37, 0x7fff, 0, vcc_lo
	v_xor_b32_e32 v146, v37, v146
	s_delay_alu instid0(VALU_DEP_1) | instskip(SKIP_1) | instid1(VALU_DEP_1)
	v_cmp_ne_u16_e64 vcc_lo, 0x8000, v146
	v_cndmask_b32_e32 v37, 0x7fff, v146, vcc_lo
	v_and_b32_e32 v37, 0xffff, v37
	s_delay_alu instid0(VALU_DEP_1) | instskip(NEXT) | instid1(VALU_DEP_1)
	v_lshrrev_b32_e32 v37, s48, v37
	v_and_b32_e32 v37, s55, v37
	s_delay_alu instid0(VALU_DEP_1)
	v_and_b32_e32 v150, 1, v37
	v_lshlrev_b32_e32 v151, 30, v37
	v_lshlrev_b32_e32 v152, 29, v37
	;; [unrolled: 1-line block ×4, first 2 shown]
	v_add_co_u32 v150, s17, v150, -1
	s_delay_alu instid0(VALU_DEP_1)
	v_cndmask_b32_e64 v155, 0, 1, s17
	v_not_b32_e32 v160, v151
	v_cmp_gt_i32_e64 s17, 0, v151
	v_not_b32_e32 v151, v152
	v_lshlrev_b32_e32 v158, 26, v37
	v_cmp_ne_u32_e32 vcc_lo, 0, v155
	v_ashrrev_i32_e32 v160, 31, v160
	v_lshlrev_b32_e32 v159, 25, v37
	v_ashrrev_i32_e32 v151, 31, v151
	v_lshlrev_b32_e32 v155, 24, v37
	v_xor_b32_e32 v150, vcc_lo, v150
	v_cmp_gt_i32_e32 vcc_lo, 0, v152
	v_not_b32_e32 v152, v154
	v_xor_b32_e32 v160, s17, v160
	v_cmp_gt_i32_e64 s17, 0, v154
	v_and_b32_e32 v150, exec_lo, v150
	v_not_b32_e32 v154, v156
	v_ashrrev_i32_e32 v152, 31, v152
	v_xor_b32_e32 v151, vcc_lo, v151
	v_cmp_gt_i32_e32 vcc_lo, 0, v156
	v_and_b32_e32 v150, v150, v160
	v_not_b32_e32 v156, v158
	v_ashrrev_i32_e32 v154, 31, v154
	v_xor_b32_e32 v152, s17, v152
	v_cmp_gt_i32_e64 s17, 0, v158
	v_and_b32_e32 v150, v150, v151
	v_not_b32_e32 v151, v159
	v_ashrrev_i32_e32 v156, 31, v156
	v_xor_b32_e32 v154, vcc_lo, v154
	v_cmp_gt_i32_e32 vcc_lo, 0, v159
	v_and_b32_e32 v150, v150, v152
	v_not_b32_e32 v152, v155
	v_ashrrev_i32_e32 v151, 31, v151
	v_xor_b32_e32 v156, s17, v156
	v_mul_u32_u24_e32 v37, 9, v37
	v_and_b32_e32 v150, v150, v154
	v_cmp_gt_i32_e64 s17, 0, v155
	v_ashrrev_i32_e32 v152, 31, v152
	v_xor_b32_e32 v151, vcc_lo, v151
	v_add_lshl_u32 v154, v37, v126, 2
	v_and_b32_e32 v150, v150, v156
	s_delay_alu instid0(VALU_DEP_4) | instskip(NEXT) | instid1(VALU_DEP_3)
	v_xor_b32_e32 v37, s17, v152
	v_add_nc_u32_e32 v152, 0x420, v154
	s_delay_alu instid0(VALU_DEP_3) | instskip(SKIP_2) | instid1(VALU_DEP_1)
	v_and_b32_e32 v151, v150, v151
	ds_load_b32 v150, v154 offset:1056
	; wave barrier
	v_and_b32_e32 v37, v151, v37
	v_mbcnt_lo_u32_b32 v151, v37, 0
	v_cmp_ne_u32_e64 s17, 0, v37
	s_delay_alu instid0(VALU_DEP_2) | instskip(NEXT) | instid1(VALU_DEP_2)
	v_cmp_eq_u32_e32 vcc_lo, 0, v151
	s_and_b32 s18, s17, vcc_lo
	s_delay_alu instid0(SALU_CYCLE_1)
	s_and_saveexec_b32 s17, s18
	s_cbranch_execz .LBB1776_143
; %bb.142:                              ;   in Loop: Header=BB1776_103 Depth=2
	s_waitcnt lgkmcnt(0)
	v_bcnt_u32_b32 v37, v37, v150
	ds_store_b32 v152, v37
.LBB1776_143:                           ;   in Loop: Header=BB1776_103 Depth=2
	s_or_b32 exec_lo, exec_lo, s17
	v_cmp_gt_i16_e64 vcc_lo, 0, v149
	; wave barrier
	s_delay_alu instid0(VALU_DEP_1) | instskip(NEXT) | instid1(VALU_DEP_1)
	v_cndmask_b32_e64 v37, 0x7fff, 0, vcc_lo
	v_xor_b32_e32 v149, v37, v149
	s_delay_alu instid0(VALU_DEP_1) | instskip(SKIP_1) | instid1(VALU_DEP_1)
	v_cmp_ne_u16_e64 vcc_lo, 0x8000, v149
	v_cndmask_b32_e32 v37, 0x7fff, v149, vcc_lo
	v_and_b32_e32 v37, 0xffff, v37
	s_delay_alu instid0(VALU_DEP_1) | instskip(NEXT) | instid1(VALU_DEP_1)
	v_lshrrev_b32_e32 v37, s48, v37
	v_and_b32_e32 v37, s55, v37
	s_delay_alu instid0(VALU_DEP_1)
	v_and_b32_e32 v154, 1, v37
	v_lshlrev_b32_e32 v155, 30, v37
	v_lshlrev_b32_e32 v156, 29, v37
	;; [unrolled: 1-line block ×4, first 2 shown]
	v_add_co_u32 v154, s17, v154, -1
	s_delay_alu instid0(VALU_DEP_1)
	v_cndmask_b32_e64 v159, 0, 1, s17
	v_not_b32_e32 v164, v155
	v_cmp_gt_i32_e64 s17, 0, v155
	v_not_b32_e32 v155, v156
	v_lshlrev_b32_e32 v162, 26, v37
	v_cmp_ne_u32_e32 vcc_lo, 0, v159
	v_ashrrev_i32_e32 v164, 31, v164
	v_lshlrev_b32_e32 v163, 25, v37
	v_ashrrev_i32_e32 v155, 31, v155
	v_lshlrev_b32_e32 v159, 24, v37
	v_xor_b32_e32 v154, vcc_lo, v154
	v_cmp_gt_i32_e32 vcc_lo, 0, v156
	v_not_b32_e32 v156, v158
	v_xor_b32_e32 v164, s17, v164
	v_cmp_gt_i32_e64 s17, 0, v158
	v_and_b32_e32 v154, exec_lo, v154
	v_not_b32_e32 v158, v160
	v_ashrrev_i32_e32 v156, 31, v156
	v_xor_b32_e32 v155, vcc_lo, v155
	v_cmp_gt_i32_e32 vcc_lo, 0, v160
	v_and_b32_e32 v154, v154, v164
	v_not_b32_e32 v160, v162
	v_ashrrev_i32_e32 v158, 31, v158
	v_xor_b32_e32 v156, s17, v156
	v_cmp_gt_i32_e64 s17, 0, v162
	v_and_b32_e32 v154, v154, v155
	v_not_b32_e32 v155, v163
	v_ashrrev_i32_e32 v160, 31, v160
	v_xor_b32_e32 v158, vcc_lo, v158
	v_cmp_gt_i32_e32 vcc_lo, 0, v163
	v_and_b32_e32 v154, v154, v156
	v_not_b32_e32 v156, v159
	v_ashrrev_i32_e32 v155, 31, v155
	v_xor_b32_e32 v160, s17, v160
	v_mul_u32_u24_e32 v37, 9, v37
	v_and_b32_e32 v154, v154, v158
	v_cmp_gt_i32_e64 s17, 0, v159
	v_ashrrev_i32_e32 v156, 31, v156
	v_xor_b32_e32 v155, vcc_lo, v155
	v_add_lshl_u32 v158, v37, v126, 2
	v_and_b32_e32 v154, v154, v160
	s_delay_alu instid0(VALU_DEP_4) | instskip(NEXT) | instid1(VALU_DEP_3)
	v_xor_b32_e32 v37, s17, v156
	v_add_nc_u32_e32 v156, 0x420, v158
	s_delay_alu instid0(VALU_DEP_3) | instskip(SKIP_2) | instid1(VALU_DEP_1)
	v_and_b32_e32 v155, v154, v155
	ds_load_b32 v154, v158 offset:1056
	; wave barrier
	v_and_b32_e32 v37, v155, v37
	v_mbcnt_lo_u32_b32 v155, v37, 0
	v_cmp_ne_u32_e64 s17, 0, v37
	s_delay_alu instid0(VALU_DEP_2) | instskip(NEXT) | instid1(VALU_DEP_2)
	v_cmp_eq_u32_e32 vcc_lo, 0, v155
	s_and_b32 s18, s17, vcc_lo
	s_delay_alu instid0(SALU_CYCLE_1)
	s_and_saveexec_b32 s17, s18
	s_cbranch_execz .LBB1776_145
; %bb.144:                              ;   in Loop: Header=BB1776_103 Depth=2
	s_waitcnt lgkmcnt(0)
	v_bcnt_u32_b32 v37, v37, v154
	ds_store_b32 v156, v37
.LBB1776_145:                           ;   in Loop: Header=BB1776_103 Depth=2
	s_or_b32 exec_lo, exec_lo, s17
	v_cmp_gt_i16_e64 vcc_lo, 0, v153
	; wave barrier
	s_delay_alu instid0(VALU_DEP_1) | instskip(NEXT) | instid1(VALU_DEP_1)
	v_cndmask_b32_e64 v37, 0x7fff, 0, vcc_lo
	v_xor_b32_e32 v153, v37, v153
	s_delay_alu instid0(VALU_DEP_1) | instskip(SKIP_1) | instid1(VALU_DEP_1)
	v_cmp_ne_u16_e64 vcc_lo, 0x8000, v153
	v_cndmask_b32_e32 v37, 0x7fff, v153, vcc_lo
	v_and_b32_e32 v37, 0xffff, v37
	s_delay_alu instid0(VALU_DEP_1) | instskip(NEXT) | instid1(VALU_DEP_1)
	v_lshrrev_b32_e32 v37, s48, v37
	v_and_b32_e32 v37, s55, v37
	s_delay_alu instid0(VALU_DEP_1)
	v_and_b32_e32 v158, 1, v37
	v_lshlrev_b32_e32 v159, 30, v37
	v_lshlrev_b32_e32 v160, 29, v37
	;; [unrolled: 1-line block ×4, first 2 shown]
	v_add_co_u32 v158, s17, v158, -1
	s_delay_alu instid0(VALU_DEP_1)
	v_cndmask_b32_e64 v163, 0, 1, s17
	v_not_b32_e32 v168, v159
	v_cmp_gt_i32_e64 s17, 0, v159
	v_not_b32_e32 v159, v160
	v_lshlrev_b32_e32 v166, 26, v37
	v_cmp_ne_u32_e32 vcc_lo, 0, v163
	v_ashrrev_i32_e32 v168, 31, v168
	v_lshlrev_b32_e32 v167, 25, v37
	v_ashrrev_i32_e32 v159, 31, v159
	v_lshlrev_b32_e32 v163, 24, v37
	v_xor_b32_e32 v158, vcc_lo, v158
	v_cmp_gt_i32_e32 vcc_lo, 0, v160
	v_not_b32_e32 v160, v162
	v_xor_b32_e32 v168, s17, v168
	v_cmp_gt_i32_e64 s17, 0, v162
	v_and_b32_e32 v158, exec_lo, v158
	v_not_b32_e32 v162, v164
	v_ashrrev_i32_e32 v160, 31, v160
	v_xor_b32_e32 v159, vcc_lo, v159
	v_cmp_gt_i32_e32 vcc_lo, 0, v164
	v_and_b32_e32 v158, v158, v168
	v_not_b32_e32 v164, v166
	v_ashrrev_i32_e32 v162, 31, v162
	v_xor_b32_e32 v160, s17, v160
	v_cmp_gt_i32_e64 s17, 0, v166
	v_and_b32_e32 v158, v158, v159
	v_not_b32_e32 v159, v167
	v_ashrrev_i32_e32 v164, 31, v164
	v_xor_b32_e32 v162, vcc_lo, v162
	v_cmp_gt_i32_e32 vcc_lo, 0, v167
	v_and_b32_e32 v158, v158, v160
	v_not_b32_e32 v160, v163
	v_ashrrev_i32_e32 v159, 31, v159
	v_xor_b32_e32 v164, s17, v164
	v_mul_u32_u24_e32 v37, 9, v37
	v_and_b32_e32 v158, v158, v162
	v_cmp_gt_i32_e64 s17, 0, v163
	v_ashrrev_i32_e32 v160, 31, v160
	v_xor_b32_e32 v159, vcc_lo, v159
	v_add_lshl_u32 v162, v37, v126, 2
	v_and_b32_e32 v158, v158, v164
	s_delay_alu instid0(VALU_DEP_4) | instskip(NEXT) | instid1(VALU_DEP_3)
	v_xor_b32_e32 v37, s17, v160
	v_add_nc_u32_e32 v160, 0x420, v162
	s_delay_alu instid0(VALU_DEP_3) | instskip(SKIP_2) | instid1(VALU_DEP_1)
	v_and_b32_e32 v159, v158, v159
	ds_load_b32 v158, v162 offset:1056
	; wave barrier
	v_and_b32_e32 v37, v159, v37
	v_mbcnt_lo_u32_b32 v159, v37, 0
	v_cmp_ne_u32_e64 s17, 0, v37
	s_delay_alu instid0(VALU_DEP_2) | instskip(NEXT) | instid1(VALU_DEP_2)
	v_cmp_eq_u32_e32 vcc_lo, 0, v159
	s_and_b32 s18, s17, vcc_lo
	s_delay_alu instid0(SALU_CYCLE_1)
	s_and_saveexec_b32 s17, s18
	s_cbranch_execz .LBB1776_147
; %bb.146:                              ;   in Loop: Header=BB1776_103 Depth=2
	s_waitcnt lgkmcnt(0)
	v_bcnt_u32_b32 v37, v37, v158
	ds_store_b32 v160, v37
.LBB1776_147:                           ;   in Loop: Header=BB1776_103 Depth=2
	s_or_b32 exec_lo, exec_lo, s17
	v_cmp_gt_i16_e64 vcc_lo, 0, v157
	; wave barrier
	s_delay_alu instid0(VALU_DEP_1) | instskip(NEXT) | instid1(VALU_DEP_1)
	v_cndmask_b32_e64 v37, 0x7fff, 0, vcc_lo
	v_xor_b32_e32 v157, v37, v157
	s_delay_alu instid0(VALU_DEP_1) | instskip(SKIP_1) | instid1(VALU_DEP_1)
	v_cmp_ne_u16_e64 vcc_lo, 0x8000, v157
	v_cndmask_b32_e32 v37, 0x7fff, v157, vcc_lo
	v_and_b32_e32 v37, 0xffff, v37
	s_delay_alu instid0(VALU_DEP_1) | instskip(NEXT) | instid1(VALU_DEP_1)
	v_lshrrev_b32_e32 v37, s48, v37
	v_and_b32_e32 v37, s55, v37
	s_delay_alu instid0(VALU_DEP_1)
	v_and_b32_e32 v162, 1, v37
	v_lshlrev_b32_e32 v163, 30, v37
	v_lshlrev_b32_e32 v164, 29, v37
	v_lshlrev_b32_e32 v166, 28, v37
	v_lshlrev_b32_e32 v168, 27, v37
	v_add_co_u32 v162, s17, v162, -1
	s_delay_alu instid0(VALU_DEP_1)
	v_cndmask_b32_e64 v167, 0, 1, s17
	v_not_b32_e32 v173, v163
	v_cmp_gt_i32_e64 s17, 0, v163
	v_not_b32_e32 v163, v164
	v_lshlrev_b32_e32 v171, 26, v37
	v_cmp_ne_u32_e32 vcc_lo, 0, v167
	v_ashrrev_i32_e32 v173, 31, v173
	v_lshlrev_b32_e32 v172, 25, v37
	v_ashrrev_i32_e32 v163, 31, v163
	v_lshlrev_b32_e32 v167, 24, v37
	v_xor_b32_e32 v162, vcc_lo, v162
	v_cmp_gt_i32_e32 vcc_lo, 0, v164
	v_not_b32_e32 v164, v166
	v_xor_b32_e32 v173, s17, v173
	v_cmp_gt_i32_e64 s17, 0, v166
	v_and_b32_e32 v162, exec_lo, v162
	v_not_b32_e32 v166, v168
	v_ashrrev_i32_e32 v164, 31, v164
	v_xor_b32_e32 v163, vcc_lo, v163
	v_cmp_gt_i32_e32 vcc_lo, 0, v168
	v_and_b32_e32 v162, v162, v173
	v_not_b32_e32 v168, v171
	v_ashrrev_i32_e32 v166, 31, v166
	v_xor_b32_e32 v164, s17, v164
	v_cmp_gt_i32_e64 s17, 0, v171
	v_and_b32_e32 v162, v162, v163
	v_not_b32_e32 v163, v172
	v_ashrrev_i32_e32 v168, 31, v168
	v_xor_b32_e32 v166, vcc_lo, v166
	v_cmp_gt_i32_e32 vcc_lo, 0, v172
	v_and_b32_e32 v162, v162, v164
	v_not_b32_e32 v164, v167
	v_ashrrev_i32_e32 v163, 31, v163
	v_xor_b32_e32 v168, s17, v168
	v_mul_u32_u24_e32 v37, 9, v37
	v_and_b32_e32 v162, v162, v166
	v_cmp_gt_i32_e64 s17, 0, v167
	v_ashrrev_i32_e32 v164, 31, v164
	v_xor_b32_e32 v163, vcc_lo, v163
	v_add_lshl_u32 v166, v37, v126, 2
	v_and_b32_e32 v162, v162, v168
	s_delay_alu instid0(VALU_DEP_4) | instskip(NEXT) | instid1(VALU_DEP_3)
	v_xor_b32_e32 v37, s17, v164
	v_add_nc_u32_e32 v164, 0x420, v166
	s_delay_alu instid0(VALU_DEP_3) | instskip(SKIP_2) | instid1(VALU_DEP_1)
	v_and_b32_e32 v163, v162, v163
	ds_load_b32 v162, v166 offset:1056
	; wave barrier
	v_and_b32_e32 v37, v163, v37
	v_mbcnt_lo_u32_b32 v163, v37, 0
	v_cmp_ne_u32_e64 s17, 0, v37
	s_delay_alu instid0(VALU_DEP_2) | instskip(NEXT) | instid1(VALU_DEP_2)
	v_cmp_eq_u32_e32 vcc_lo, 0, v163
	s_and_b32 s18, s17, vcc_lo
	s_delay_alu instid0(SALU_CYCLE_1)
	s_and_saveexec_b32 s17, s18
	s_cbranch_execz .LBB1776_149
; %bb.148:                              ;   in Loop: Header=BB1776_103 Depth=2
	s_waitcnt lgkmcnt(0)
	v_bcnt_u32_b32 v37, v37, v162
	ds_store_b32 v164, v37
.LBB1776_149:                           ;   in Loop: Header=BB1776_103 Depth=2
	s_or_b32 exec_lo, exec_lo, s17
	v_cmp_gt_i16_e64 vcc_lo, 0, v161
	; wave barrier
	s_delay_alu instid0(VALU_DEP_1) | instskip(NEXT) | instid1(VALU_DEP_1)
	v_cndmask_b32_e64 v37, 0x7fff, 0, vcc_lo
	v_xor_b32_e32 v161, v37, v161
	s_delay_alu instid0(VALU_DEP_1) | instskip(SKIP_1) | instid1(VALU_DEP_1)
	v_cmp_ne_u16_e64 vcc_lo, 0x8000, v161
	v_cndmask_b32_e32 v37, 0x7fff, v161, vcc_lo
	v_and_b32_e32 v37, 0xffff, v37
	s_delay_alu instid0(VALU_DEP_1) | instskip(NEXT) | instid1(VALU_DEP_1)
	v_lshrrev_b32_e32 v37, s48, v37
	v_and_b32_e32 v37, s55, v37
	s_delay_alu instid0(VALU_DEP_1)
	v_and_b32_e32 v166, 1, v37
	v_lshlrev_b32_e32 v167, 30, v37
	v_lshlrev_b32_e32 v168, 29, v37
	;; [unrolled: 1-line block ×4, first 2 shown]
	v_add_co_u32 v166, s17, v166, -1
	s_delay_alu instid0(VALU_DEP_1)
	v_cndmask_b32_e64 v172, 0, 1, s17
	v_not_b32_e32 v176, v167
	v_cmp_gt_i32_e64 s17, 0, v167
	v_not_b32_e32 v167, v168
	v_lshlrev_b32_e32 v174, 26, v37
	v_cmp_ne_u32_e32 vcc_lo, 0, v172
	v_ashrrev_i32_e32 v176, 31, v176
	v_lshlrev_b32_e32 v175, 25, v37
	v_ashrrev_i32_e32 v167, 31, v167
	v_lshlrev_b32_e32 v172, 24, v37
	v_xor_b32_e32 v166, vcc_lo, v166
	v_cmp_gt_i32_e32 vcc_lo, 0, v168
	v_not_b32_e32 v168, v171
	v_xor_b32_e32 v176, s17, v176
	v_cmp_gt_i32_e64 s17, 0, v171
	v_and_b32_e32 v166, exec_lo, v166
	v_not_b32_e32 v171, v173
	v_ashrrev_i32_e32 v168, 31, v168
	v_xor_b32_e32 v167, vcc_lo, v167
	v_cmp_gt_i32_e32 vcc_lo, 0, v173
	v_and_b32_e32 v166, v166, v176
	v_not_b32_e32 v173, v174
	v_ashrrev_i32_e32 v171, 31, v171
	v_xor_b32_e32 v168, s17, v168
	v_cmp_gt_i32_e64 s17, 0, v174
	v_and_b32_e32 v166, v166, v167
	v_not_b32_e32 v167, v175
	v_ashrrev_i32_e32 v173, 31, v173
	v_xor_b32_e32 v171, vcc_lo, v171
	v_cmp_gt_i32_e32 vcc_lo, 0, v175
	v_and_b32_e32 v166, v166, v168
	v_not_b32_e32 v168, v172
	v_ashrrev_i32_e32 v167, 31, v167
	v_xor_b32_e32 v173, s17, v173
	v_mul_u32_u24_e32 v37, 9, v37
	v_and_b32_e32 v166, v166, v171
	v_cmp_gt_i32_e64 s17, 0, v172
	v_ashrrev_i32_e32 v168, 31, v168
	v_xor_b32_e32 v167, vcc_lo, v167
	v_add_lshl_u32 v171, v37, v126, 2
	v_and_b32_e32 v166, v166, v173
	s_delay_alu instid0(VALU_DEP_4) | instskip(NEXT) | instid1(VALU_DEP_3)
	v_xor_b32_e32 v37, s17, v168
	v_add_nc_u32_e32 v168, 0x420, v171
	s_delay_alu instid0(VALU_DEP_3) | instskip(SKIP_2) | instid1(VALU_DEP_1)
	v_and_b32_e32 v167, v166, v167
	ds_load_b32 v166, v171 offset:1056
	; wave barrier
	v_and_b32_e32 v37, v167, v37
	v_mbcnt_lo_u32_b32 v167, v37, 0
	v_cmp_ne_u32_e64 s17, 0, v37
	s_delay_alu instid0(VALU_DEP_2) | instskip(NEXT) | instid1(VALU_DEP_2)
	v_cmp_eq_u32_e32 vcc_lo, 0, v167
	s_and_b32 s18, s17, vcc_lo
	s_delay_alu instid0(SALU_CYCLE_1)
	s_and_saveexec_b32 s17, s18
	s_cbranch_execz .LBB1776_151
; %bb.150:                              ;   in Loop: Header=BB1776_103 Depth=2
	s_waitcnt lgkmcnt(0)
	v_bcnt_u32_b32 v37, v37, v166
	ds_store_b32 v168, v37
.LBB1776_151:                           ;   in Loop: Header=BB1776_103 Depth=2
	s_or_b32 exec_lo, exec_lo, s17
	v_cmp_gt_i16_e64 vcc_lo, 0, v165
	; wave barrier
	s_delay_alu instid0(VALU_DEP_1) | instskip(NEXT) | instid1(VALU_DEP_1)
	v_cndmask_b32_e64 v37, 0x7fff, 0, vcc_lo
	v_xor_b32_e32 v165, v37, v165
	s_delay_alu instid0(VALU_DEP_1) | instskip(SKIP_1) | instid1(VALU_DEP_1)
	v_cmp_ne_u16_e64 vcc_lo, 0x8000, v165
	v_cndmask_b32_e32 v37, 0x7fff, v165, vcc_lo
	v_and_b32_e32 v37, 0xffff, v37
	s_delay_alu instid0(VALU_DEP_1) | instskip(NEXT) | instid1(VALU_DEP_1)
	v_lshrrev_b32_e32 v37, s48, v37
	v_and_b32_e32 v37, s55, v37
	s_delay_alu instid0(VALU_DEP_1)
	v_and_b32_e32 v171, 1, v37
	v_lshlrev_b32_e32 v172, 30, v37
	v_lshlrev_b32_e32 v173, 29, v37
	;; [unrolled: 1-line block ×4, first 2 shown]
	v_add_co_u32 v171, s17, v171, -1
	s_delay_alu instid0(VALU_DEP_1)
	v_cndmask_b32_e64 v175, 0, 1, s17
	v_not_b32_e32 v179, v172
	v_cmp_gt_i32_e64 s17, 0, v172
	v_not_b32_e32 v172, v173
	v_lshlrev_b32_e32 v177, 26, v37
	v_cmp_ne_u32_e32 vcc_lo, 0, v175
	v_ashrrev_i32_e32 v179, 31, v179
	v_lshlrev_b32_e32 v178, 25, v37
	v_ashrrev_i32_e32 v172, 31, v172
	v_lshlrev_b32_e32 v175, 24, v37
	v_xor_b32_e32 v171, vcc_lo, v171
	v_cmp_gt_i32_e32 vcc_lo, 0, v173
	v_not_b32_e32 v173, v174
	v_xor_b32_e32 v179, s17, v179
	v_cmp_gt_i32_e64 s17, 0, v174
	v_and_b32_e32 v171, exec_lo, v171
	v_not_b32_e32 v174, v176
	v_ashrrev_i32_e32 v173, 31, v173
	v_xor_b32_e32 v172, vcc_lo, v172
	v_cmp_gt_i32_e32 vcc_lo, 0, v176
	v_and_b32_e32 v171, v171, v179
	v_not_b32_e32 v176, v177
	v_ashrrev_i32_e32 v174, 31, v174
	v_xor_b32_e32 v173, s17, v173
	v_cmp_gt_i32_e64 s17, 0, v177
	v_and_b32_e32 v171, v171, v172
	v_not_b32_e32 v172, v178
	v_ashrrev_i32_e32 v176, 31, v176
	v_xor_b32_e32 v174, vcc_lo, v174
	v_cmp_gt_i32_e32 vcc_lo, 0, v178
	v_and_b32_e32 v171, v171, v173
	v_not_b32_e32 v173, v175
	v_ashrrev_i32_e32 v172, 31, v172
	v_xor_b32_e32 v176, s17, v176
	v_mul_u32_u24_e32 v37, 9, v37
	v_and_b32_e32 v171, v171, v174
	v_cmp_gt_i32_e64 s17, 0, v175
	v_ashrrev_i32_e32 v173, 31, v173
	v_xor_b32_e32 v172, vcc_lo, v172
	v_add_lshl_u32 v174, v37, v126, 2
	v_and_b32_e32 v171, v171, v176
	s_delay_alu instid0(VALU_DEP_4) | instskip(NEXT) | instid1(VALU_DEP_3)
	v_xor_b32_e32 v37, s17, v173
	v_add_nc_u32_e32 v173, 0x420, v174
	s_delay_alu instid0(VALU_DEP_3) | instskip(SKIP_2) | instid1(VALU_DEP_1)
	v_and_b32_e32 v172, v171, v172
	ds_load_b32 v171, v174 offset:1056
	; wave barrier
	v_and_b32_e32 v37, v172, v37
	v_mbcnt_lo_u32_b32 v172, v37, 0
	v_cmp_ne_u32_e64 s17, 0, v37
	s_delay_alu instid0(VALU_DEP_2) | instskip(NEXT) | instid1(VALU_DEP_2)
	v_cmp_eq_u32_e32 vcc_lo, 0, v172
	s_and_b32 s18, s17, vcc_lo
	s_delay_alu instid0(SALU_CYCLE_1)
	s_and_saveexec_b32 s17, s18
	s_cbranch_execz .LBB1776_153
; %bb.152:                              ;   in Loop: Header=BB1776_103 Depth=2
	s_waitcnt lgkmcnt(0)
	v_bcnt_u32_b32 v37, v37, v171
	ds_store_b32 v173, v37
.LBB1776_153:                           ;   in Loop: Header=BB1776_103 Depth=2
	s_or_b32 exec_lo, exec_lo, s17
	v_cmp_gt_i16_e64 vcc_lo, 0, v170
	; wave barrier
	s_delay_alu instid0(VALU_DEP_1) | instskip(NEXT) | instid1(VALU_DEP_1)
	v_cndmask_b32_e64 v37, 0x7fff, 0, vcc_lo
	v_xor_b32_e32 v170, v37, v170
	s_delay_alu instid0(VALU_DEP_1) | instskip(SKIP_1) | instid1(VALU_DEP_1)
	v_cmp_ne_u16_e64 vcc_lo, 0x8000, v170
	v_cndmask_b32_e32 v37, 0x7fff, v170, vcc_lo
	v_and_b32_e32 v37, 0xffff, v37
	s_delay_alu instid0(VALU_DEP_1) | instskip(NEXT) | instid1(VALU_DEP_1)
	v_lshrrev_b32_e32 v37, s48, v37
	v_and_b32_e32 v37, s55, v37
	s_delay_alu instid0(VALU_DEP_1)
	v_and_b32_e32 v174, 1, v37
	v_lshlrev_b32_e32 v175, 30, v37
	v_lshlrev_b32_e32 v176, 29, v37
	;; [unrolled: 1-line block ×4, first 2 shown]
	v_add_co_u32 v174, s17, v174, -1
	s_delay_alu instid0(VALU_DEP_1)
	v_cndmask_b32_e64 v178, 0, 1, s17
	v_not_b32_e32 v182, v175
	v_cmp_gt_i32_e64 s17, 0, v175
	v_not_b32_e32 v175, v176
	v_lshlrev_b32_e32 v180, 26, v37
	v_cmp_ne_u32_e32 vcc_lo, 0, v178
	v_ashrrev_i32_e32 v182, 31, v182
	v_lshlrev_b32_e32 v181, 25, v37
	v_ashrrev_i32_e32 v175, 31, v175
	v_lshlrev_b32_e32 v178, 24, v37
	v_xor_b32_e32 v174, vcc_lo, v174
	v_cmp_gt_i32_e32 vcc_lo, 0, v176
	v_not_b32_e32 v176, v177
	v_xor_b32_e32 v182, s17, v182
	v_cmp_gt_i32_e64 s17, 0, v177
	v_and_b32_e32 v174, exec_lo, v174
	v_not_b32_e32 v177, v179
	v_ashrrev_i32_e32 v176, 31, v176
	v_xor_b32_e32 v175, vcc_lo, v175
	v_cmp_gt_i32_e32 vcc_lo, 0, v179
	v_and_b32_e32 v174, v174, v182
	v_not_b32_e32 v179, v180
	v_ashrrev_i32_e32 v177, 31, v177
	v_xor_b32_e32 v176, s17, v176
	v_cmp_gt_i32_e64 s17, 0, v180
	v_and_b32_e32 v174, v174, v175
	v_not_b32_e32 v175, v181
	v_ashrrev_i32_e32 v179, 31, v179
	v_xor_b32_e32 v177, vcc_lo, v177
	v_cmp_gt_i32_e32 vcc_lo, 0, v181
	v_and_b32_e32 v174, v174, v176
	v_not_b32_e32 v176, v178
	v_ashrrev_i32_e32 v175, 31, v175
	v_xor_b32_e32 v179, s17, v179
	v_mul_u32_u24_e32 v37, 9, v37
	v_and_b32_e32 v174, v174, v177
	v_cmp_gt_i32_e64 s17, 0, v178
	v_ashrrev_i32_e32 v176, 31, v176
	v_xor_b32_e32 v175, vcc_lo, v175
	v_add_lshl_u32 v177, v37, v126, 2
	v_and_b32_e32 v174, v174, v179
	s_delay_alu instid0(VALU_DEP_4) | instskip(NEXT) | instid1(VALU_DEP_3)
	v_xor_b32_e32 v37, s17, v176
	v_add_nc_u32_e32 v176, 0x420, v177
	s_delay_alu instid0(VALU_DEP_3) | instskip(SKIP_2) | instid1(VALU_DEP_1)
	v_and_b32_e32 v175, v174, v175
	ds_load_b32 v174, v177 offset:1056
	; wave barrier
	v_and_b32_e32 v37, v175, v37
	v_mbcnt_lo_u32_b32 v175, v37, 0
	v_cmp_ne_u32_e64 s17, 0, v37
	s_delay_alu instid0(VALU_DEP_2) | instskip(NEXT) | instid1(VALU_DEP_2)
	v_cmp_eq_u32_e32 vcc_lo, 0, v175
	s_and_b32 s18, s17, vcc_lo
	s_delay_alu instid0(SALU_CYCLE_1)
	s_and_saveexec_b32 s17, s18
	s_cbranch_execz .LBB1776_155
; %bb.154:                              ;   in Loop: Header=BB1776_103 Depth=2
	s_waitcnt lgkmcnt(0)
	v_bcnt_u32_b32 v37, v37, v174
	ds_store_b32 v176, v37
.LBB1776_155:                           ;   in Loop: Header=BB1776_103 Depth=2
	s_or_b32 exec_lo, exec_lo, s17
	v_cmp_gt_i16_e64 vcc_lo, 0, v169
	; wave barrier
	s_delay_alu instid0(VALU_DEP_1) | instskip(NEXT) | instid1(VALU_DEP_1)
	v_cndmask_b32_e64 v37, 0x7fff, 0, vcc_lo
	v_xor_b32_e32 v169, v37, v169
	s_delay_alu instid0(VALU_DEP_1) | instskip(SKIP_1) | instid1(VALU_DEP_1)
	v_cmp_ne_u16_e64 vcc_lo, 0x8000, v169
	v_cndmask_b32_e32 v37, 0x7fff, v169, vcc_lo
	v_and_b32_e32 v37, 0xffff, v37
	s_delay_alu instid0(VALU_DEP_1) | instskip(NEXT) | instid1(VALU_DEP_1)
	v_lshrrev_b32_e32 v37, s48, v37
	v_and_b32_e32 v37, s55, v37
	s_delay_alu instid0(VALU_DEP_1)
	v_and_b32_e32 v177, 1, v37
	v_lshlrev_b32_e32 v178, 30, v37
	v_lshlrev_b32_e32 v179, 29, v37
	;; [unrolled: 1-line block ×4, first 2 shown]
	v_add_co_u32 v177, s17, v177, -1
	s_delay_alu instid0(VALU_DEP_1)
	v_cndmask_b32_e64 v181, 0, 1, s17
	v_not_b32_e32 v185, v178
	v_cmp_gt_i32_e64 s17, 0, v178
	v_not_b32_e32 v178, v179
	v_lshlrev_b32_e32 v183, 26, v37
	v_cmp_ne_u32_e32 vcc_lo, 0, v181
	v_ashrrev_i32_e32 v185, 31, v185
	v_lshlrev_b32_e32 v184, 25, v37
	v_ashrrev_i32_e32 v178, 31, v178
	v_lshlrev_b32_e32 v181, 24, v37
	v_xor_b32_e32 v177, vcc_lo, v177
	v_cmp_gt_i32_e32 vcc_lo, 0, v179
	v_not_b32_e32 v179, v180
	v_xor_b32_e32 v185, s17, v185
	v_cmp_gt_i32_e64 s17, 0, v180
	v_and_b32_e32 v177, exec_lo, v177
	v_not_b32_e32 v180, v182
	v_ashrrev_i32_e32 v179, 31, v179
	v_xor_b32_e32 v178, vcc_lo, v178
	v_cmp_gt_i32_e32 vcc_lo, 0, v182
	v_and_b32_e32 v177, v177, v185
	v_not_b32_e32 v182, v183
	v_ashrrev_i32_e32 v180, 31, v180
	v_xor_b32_e32 v179, s17, v179
	v_cmp_gt_i32_e64 s17, 0, v183
	v_and_b32_e32 v177, v177, v178
	v_not_b32_e32 v178, v184
	v_ashrrev_i32_e32 v182, 31, v182
	v_xor_b32_e32 v180, vcc_lo, v180
	v_cmp_gt_i32_e32 vcc_lo, 0, v184
	v_and_b32_e32 v177, v177, v179
	v_not_b32_e32 v179, v181
	v_ashrrev_i32_e32 v178, 31, v178
	v_xor_b32_e32 v182, s17, v182
	v_mul_u32_u24_e32 v37, 9, v37
	v_and_b32_e32 v177, v177, v180
	v_cmp_gt_i32_e64 s17, 0, v181
	v_ashrrev_i32_e32 v179, 31, v179
	v_xor_b32_e32 v178, vcc_lo, v178
	v_add_lshl_u32 v180, v37, v126, 2
	v_and_b32_e32 v177, v177, v182
	s_delay_alu instid0(VALU_DEP_4) | instskip(NEXT) | instid1(VALU_DEP_2)
	v_xor_b32_e32 v37, s17, v179
	v_and_b32_e32 v177, v177, v178
	ds_load_b32 v178, v180 offset:1056
	v_add_nc_u32_e32 v180, 0x420, v180
	; wave barrier
	v_and_b32_e32 v37, v177, v37
	s_delay_alu instid0(VALU_DEP_1) | instskip(SKIP_1) | instid1(VALU_DEP_2)
	v_mbcnt_lo_u32_b32 v179, v37, 0
	v_cmp_ne_u32_e64 s17, 0, v37
	v_cmp_eq_u32_e32 vcc_lo, 0, v179
	s_delay_alu instid0(VALU_DEP_2) | instskip(NEXT) | instid1(SALU_CYCLE_1)
	s_and_b32 s18, s17, vcc_lo
	s_and_saveexec_b32 s17, s18
	s_cbranch_execz .LBB1776_157
; %bb.156:                              ;   in Loop: Header=BB1776_103 Depth=2
	s_waitcnt lgkmcnt(0)
	v_bcnt_u32_b32 v37, v37, v178
	ds_store_b32 v180, v37
.LBB1776_157:                           ;   in Loop: Header=BB1776_103 Depth=2
	s_or_b32 exec_lo, exec_lo, s17
	v_cmp_gt_i16_e32 vcc_lo, 0, v43
	; wave barrier
	v_cndmask_b32_e64 v37, 0x7fff, 0, vcc_lo
	s_delay_alu instid0(VALU_DEP_1) | instskip(NEXT) | instid1(VALU_DEP_1)
	v_xor_b32_e32 v177, v37, v43
	v_cmp_ne_u16_e64 vcc_lo, 0x8000, v177
	v_cndmask_b32_e32 v37, 0x7fff, v177, vcc_lo
	s_delay_alu instid0(VALU_DEP_1) | instskip(NEXT) | instid1(VALU_DEP_1)
	v_and_b32_e32 v37, 0xffff, v37
	v_lshrrev_b32_e32 v37, s48, v37
	s_delay_alu instid0(VALU_DEP_1) | instskip(NEXT) | instid1(VALU_DEP_1)
	v_and_b32_e32 v37, s55, v37
	v_and_b32_e32 v43, 1, v37
	v_lshlrev_b32_e32 v181, 30, v37
	v_lshlrev_b32_e32 v182, 29, v37
	;; [unrolled: 1-line block ×4, first 2 shown]
	v_add_co_u32 v43, s17, v43, -1
	s_delay_alu instid0(VALU_DEP_1)
	v_cndmask_b32_e64 v184, 0, 1, s17
	v_not_b32_e32 v188, v181
	v_cmp_gt_i32_e64 s17, 0, v181
	v_not_b32_e32 v181, v182
	v_lshlrev_b32_e32 v186, 26, v37
	v_cmp_ne_u32_e32 vcc_lo, 0, v184
	v_ashrrev_i32_e32 v188, 31, v188
	v_lshlrev_b32_e32 v187, 25, v37
	v_ashrrev_i32_e32 v181, 31, v181
	v_lshlrev_b32_e32 v184, 24, v37
	v_xor_b32_e32 v43, vcc_lo, v43
	v_cmp_gt_i32_e32 vcc_lo, 0, v182
	v_not_b32_e32 v182, v183
	v_xor_b32_e32 v188, s17, v188
	v_cmp_gt_i32_e64 s17, 0, v183
	v_and_b32_e32 v43, exec_lo, v43
	v_not_b32_e32 v183, v185
	v_ashrrev_i32_e32 v182, 31, v182
	v_xor_b32_e32 v181, vcc_lo, v181
	v_cmp_gt_i32_e32 vcc_lo, 0, v185
	v_and_b32_e32 v43, v43, v188
	v_not_b32_e32 v185, v186
	v_ashrrev_i32_e32 v183, 31, v183
	v_xor_b32_e32 v182, s17, v182
	v_cmp_gt_i32_e64 s17, 0, v186
	v_and_b32_e32 v43, v43, v181
	v_not_b32_e32 v181, v187
	v_ashrrev_i32_e32 v185, 31, v185
	v_xor_b32_e32 v183, vcc_lo, v183
	v_cmp_gt_i32_e32 vcc_lo, 0, v187
	v_and_b32_e32 v43, v43, v182
	v_not_b32_e32 v182, v184
	v_ashrrev_i32_e32 v181, 31, v181
	v_xor_b32_e32 v185, s17, v185
	v_mul_u32_u24_e32 v37, 9, v37
	v_and_b32_e32 v43, v43, v183
	v_cmp_gt_i32_e64 s17, 0, v184
	v_ashrrev_i32_e32 v182, 31, v182
	v_xor_b32_e32 v181, vcc_lo, v181
	v_add_lshl_u32 v184, v37, v126, 2
	v_and_b32_e32 v43, v43, v185
	s_delay_alu instid0(VALU_DEP_4) | instskip(SKIP_3) | instid1(VALU_DEP_2)
	v_xor_b32_e32 v37, s17, v182
	ds_load_b32 v182, v184 offset:1056
	v_and_b32_e32 v43, v43, v181
	v_add_nc_u32_e32 v184, 0x420, v184
	; wave barrier
	v_and_b32_e32 v37, v43, v37
	s_delay_alu instid0(VALU_DEP_1) | instskip(SKIP_1) | instid1(VALU_DEP_2)
	v_mbcnt_lo_u32_b32 v183, v37, 0
	v_cmp_ne_u32_e64 s17, 0, v37
	v_cmp_eq_u32_e32 vcc_lo, 0, v183
	s_delay_alu instid0(VALU_DEP_2) | instskip(NEXT) | instid1(SALU_CYCLE_1)
	s_and_b32 s18, s17, vcc_lo
	s_and_saveexec_b32 s17, s18
	s_cbranch_execz .LBB1776_159
; %bb.158:                              ;   in Loop: Header=BB1776_103 Depth=2
	s_waitcnt lgkmcnt(0)
	v_bcnt_u32_b32 v37, v37, v182
	ds_store_b32 v184, v37
.LBB1776_159:                           ;   in Loop: Header=BB1776_103 Depth=2
	s_or_b32 exec_lo, exec_lo, s17
	v_cmp_gt_i16_e32 vcc_lo, 0, v42
	; wave barrier
	v_cndmask_b32_e64 v37, 0x7fff, 0, vcc_lo
	s_delay_alu instid0(VALU_DEP_1) | instskip(NEXT) | instid1(VALU_DEP_1)
	v_xor_b32_e32 v181, v37, v42
	v_cmp_ne_u16_e64 vcc_lo, 0x8000, v181
	v_cndmask_b32_e32 v37, 0x7fff, v181, vcc_lo
	s_delay_alu instid0(VALU_DEP_1) | instskip(NEXT) | instid1(VALU_DEP_1)
	v_and_b32_e32 v37, 0xffff, v37
	v_lshrrev_b32_e32 v37, s48, v37
	s_delay_alu instid0(VALU_DEP_1) | instskip(NEXT) | instid1(VALU_DEP_1)
	v_and_b32_e32 v37, s55, v37
	v_and_b32_e32 v42, 1, v37
	v_lshlrev_b32_e32 v43, 30, v37
	v_lshlrev_b32_e32 v185, 29, v37
	;; [unrolled: 1-line block ×4, first 2 shown]
	v_add_co_u32 v42, s17, v42, -1
	s_delay_alu instid0(VALU_DEP_1)
	v_cndmask_b32_e64 v187, 0, 1, s17
	v_not_b32_e32 v191, v43
	v_cmp_gt_i32_e64 s17, 0, v43
	v_not_b32_e32 v43, v185
	v_lshlrev_b32_e32 v189, 26, v37
	v_cmp_ne_u32_e32 vcc_lo, 0, v187
	v_ashrrev_i32_e32 v191, 31, v191
	v_lshlrev_b32_e32 v190, 25, v37
	v_ashrrev_i32_e32 v43, 31, v43
	v_lshlrev_b32_e32 v187, 24, v37
	v_xor_b32_e32 v42, vcc_lo, v42
	v_cmp_gt_i32_e32 vcc_lo, 0, v185
	v_not_b32_e32 v185, v186
	v_xor_b32_e32 v191, s17, v191
	v_cmp_gt_i32_e64 s17, 0, v186
	v_and_b32_e32 v42, exec_lo, v42
	v_not_b32_e32 v186, v188
	v_ashrrev_i32_e32 v185, 31, v185
	v_xor_b32_e32 v43, vcc_lo, v43
	v_cmp_gt_i32_e32 vcc_lo, 0, v188
	v_and_b32_e32 v42, v42, v191
	v_not_b32_e32 v188, v189
	v_ashrrev_i32_e32 v186, 31, v186
	v_xor_b32_e32 v185, s17, v185
	v_cmp_gt_i32_e64 s17, 0, v189
	v_and_b32_e32 v42, v42, v43
	v_not_b32_e32 v43, v190
	v_ashrrev_i32_e32 v188, 31, v188
	v_xor_b32_e32 v186, vcc_lo, v186
	v_cmp_gt_i32_e32 vcc_lo, 0, v190
	v_and_b32_e32 v42, v42, v185
	v_not_b32_e32 v185, v187
	v_ashrrev_i32_e32 v43, 31, v43
	v_xor_b32_e32 v188, s17, v188
	v_mul_u32_u24_e32 v37, 9, v37
	v_and_b32_e32 v42, v42, v186
	v_cmp_gt_i32_e64 s17, 0, v187
	v_ashrrev_i32_e32 v185, 31, v185
	v_xor_b32_e32 v43, vcc_lo, v43
	s_delay_alu instid0(VALU_DEP_4) | instskip(SKIP_1) | instid1(VALU_DEP_4)
	v_and_b32_e32 v42, v42, v188
	v_add_lshl_u32 v188, v37, v126, 2
	v_xor_b32_e32 v37, s17, v185
	s_delay_alu instid0(VALU_DEP_3) | instskip(SKIP_3) | instid1(VALU_DEP_1)
	v_and_b32_e32 v42, v42, v43
	ds_load_b32 v186, v188 offset:1056
	v_add_nc_u32_e32 v188, 0x420, v188
	; wave barrier
	v_and_b32_e32 v37, v42, v37
	v_mbcnt_lo_u32_b32 v187, v37, 0
	v_cmp_ne_u32_e64 s17, 0, v37
	s_delay_alu instid0(VALU_DEP_2) | instskip(NEXT) | instid1(VALU_DEP_2)
	v_cmp_eq_u32_e32 vcc_lo, 0, v187
	s_and_b32 s18, s17, vcc_lo
	s_delay_alu instid0(SALU_CYCLE_1)
	s_and_saveexec_b32 s17, s18
	s_cbranch_execz .LBB1776_161
; %bb.160:                              ;   in Loop: Header=BB1776_103 Depth=2
	s_waitcnt lgkmcnt(0)
	v_bcnt_u32_b32 v37, v37, v186
	ds_store_b32 v188, v37
.LBB1776_161:                           ;   in Loop: Header=BB1776_103 Depth=2
	s_or_b32 exec_lo, exec_lo, s17
	v_cmp_gt_i16_e32 vcc_lo, 0, v41
	; wave barrier
	v_cndmask_b32_e64 v37, 0x7fff, 0, vcc_lo
	s_delay_alu instid0(VALU_DEP_1) | instskip(NEXT) | instid1(VALU_DEP_1)
	v_xor_b32_e32 v185, v37, v41
	v_cmp_ne_u16_e64 vcc_lo, 0x8000, v185
	v_cndmask_b32_e32 v37, 0x7fff, v185, vcc_lo
	s_delay_alu instid0(VALU_DEP_1) | instskip(NEXT) | instid1(VALU_DEP_1)
	v_and_b32_e32 v37, 0xffff, v37
	v_lshrrev_b32_e32 v37, s48, v37
	s_delay_alu instid0(VALU_DEP_1) | instskip(NEXT) | instid1(VALU_DEP_1)
	v_and_b32_e32 v37, s55, v37
	v_and_b32_e32 v41, 1, v37
	v_lshlrev_b32_e32 v42, 30, v37
	v_lshlrev_b32_e32 v43, 29, v37
	;; [unrolled: 1-line block ×4, first 2 shown]
	v_add_co_u32 v41, s17, v41, -1
	s_delay_alu instid0(VALU_DEP_1)
	v_cndmask_b32_e64 v190, 0, 1, s17
	v_not_b32_e32 v194, v42
	v_cmp_gt_i32_e64 s17, 0, v42
	v_not_b32_e32 v42, v43
	v_lshlrev_b32_e32 v192, 26, v37
	v_cmp_ne_u32_e32 vcc_lo, 0, v190
	v_ashrrev_i32_e32 v194, 31, v194
	v_lshlrev_b32_e32 v193, 25, v37
	v_ashrrev_i32_e32 v42, 31, v42
	v_lshlrev_b32_e32 v190, 24, v37
	v_xor_b32_e32 v41, vcc_lo, v41
	v_cmp_gt_i32_e32 vcc_lo, 0, v43
	v_not_b32_e32 v43, v189
	v_xor_b32_e32 v194, s17, v194
	v_cmp_gt_i32_e64 s17, 0, v189
	v_and_b32_e32 v41, exec_lo, v41
	v_not_b32_e32 v189, v191
	v_ashrrev_i32_e32 v43, 31, v43
	v_xor_b32_e32 v42, vcc_lo, v42
	v_cmp_gt_i32_e32 vcc_lo, 0, v191
	v_and_b32_e32 v41, v41, v194
	v_not_b32_e32 v191, v192
	v_ashrrev_i32_e32 v189, 31, v189
	v_xor_b32_e32 v43, s17, v43
	v_cmp_gt_i32_e64 s17, 0, v192
	v_and_b32_e32 v41, v41, v42
	v_not_b32_e32 v42, v193
	v_ashrrev_i32_e32 v191, 31, v191
	v_xor_b32_e32 v189, vcc_lo, v189
	v_cmp_gt_i32_e32 vcc_lo, 0, v193
	v_and_b32_e32 v41, v41, v43
	v_not_b32_e32 v43, v190
	v_ashrrev_i32_e32 v42, 31, v42
	v_xor_b32_e32 v191, s17, v191
	v_mul_u32_u24_e32 v37, 9, v37
	v_and_b32_e32 v41, v41, v189
	v_cmp_gt_i32_e64 s17, 0, v190
	v_ashrrev_i32_e32 v43, 31, v43
	v_xor_b32_e32 v42, vcc_lo, v42
	v_add_lshl_u32 v189, v37, v126, 2
	v_and_b32_e32 v41, v41, v191
	s_delay_alu instid0(VALU_DEP_4) | instskip(SKIP_3) | instid1(VALU_DEP_2)
	v_xor_b32_e32 v37, s17, v43
	ds_load_b32 v190, v189 offset:1056
	v_and_b32_e32 v41, v41, v42
	v_add_nc_u32_e32 v192, 0x420, v189
	; wave barrier
	v_and_b32_e32 v37, v41, v37
	s_delay_alu instid0(VALU_DEP_1) | instskip(SKIP_1) | instid1(VALU_DEP_2)
	v_mbcnt_lo_u32_b32 v191, v37, 0
	v_cmp_ne_u32_e64 s17, 0, v37
	v_cmp_eq_u32_e32 vcc_lo, 0, v191
	s_delay_alu instid0(VALU_DEP_2) | instskip(NEXT) | instid1(SALU_CYCLE_1)
	s_and_b32 s18, s17, vcc_lo
	s_and_saveexec_b32 s17, s18
	s_cbranch_execz .LBB1776_163
; %bb.162:                              ;   in Loop: Header=BB1776_103 Depth=2
	s_waitcnt lgkmcnt(0)
	v_bcnt_u32_b32 v37, v37, v190
	ds_store_b32 v192, v37
.LBB1776_163:                           ;   in Loop: Header=BB1776_103 Depth=2
	s_or_b32 exec_lo, exec_lo, s17
	v_cmp_gt_i16_e32 vcc_lo, 0, v40
	; wave barrier
	v_cndmask_b32_e64 v37, 0x7fff, 0, vcc_lo
	s_delay_alu instid0(VALU_DEP_1) | instskip(NEXT) | instid1(VALU_DEP_1)
	v_xor_b32_e32 v189, v37, v40
	v_cmp_ne_u16_e64 vcc_lo, 0x8000, v189
	v_cndmask_b32_e32 v37, 0x7fff, v189, vcc_lo
	s_delay_alu instid0(VALU_DEP_1) | instskip(NEXT) | instid1(VALU_DEP_1)
	v_and_b32_e32 v37, 0xffff, v37
	v_lshrrev_b32_e32 v37, s48, v37
	s_delay_alu instid0(VALU_DEP_1) | instskip(NEXT) | instid1(VALU_DEP_1)
	v_and_b32_e32 v37, s55, v37
	v_and_b32_e32 v40, 1, v37
	v_lshlrev_b32_e32 v41, 30, v37
	v_lshlrev_b32_e32 v42, 29, v37
	;; [unrolled: 1-line block ×4, first 2 shown]
	v_add_co_u32 v40, s17, v40, -1
	s_delay_alu instid0(VALU_DEP_1)
	v_cndmask_b32_e64 v193, 0, 1, s17
	v_not_b32_e32 v197, v41
	v_cmp_gt_i32_e64 s17, 0, v41
	v_not_b32_e32 v41, v42
	v_lshlrev_b32_e32 v195, 26, v37
	v_cmp_ne_u32_e32 vcc_lo, 0, v193
	v_ashrrev_i32_e32 v197, 31, v197
	v_lshlrev_b32_e32 v196, 25, v37
	v_ashrrev_i32_e32 v41, 31, v41
	v_lshlrev_b32_e32 v193, 24, v37
	v_xor_b32_e32 v40, vcc_lo, v40
	v_cmp_gt_i32_e32 vcc_lo, 0, v42
	v_not_b32_e32 v42, v43
	v_xor_b32_e32 v197, s17, v197
	v_cmp_gt_i32_e64 s17, 0, v43
	v_and_b32_e32 v40, exec_lo, v40
	v_not_b32_e32 v43, v194
	v_ashrrev_i32_e32 v42, 31, v42
	v_xor_b32_e32 v41, vcc_lo, v41
	v_cmp_gt_i32_e32 vcc_lo, 0, v194
	v_and_b32_e32 v40, v40, v197
	v_not_b32_e32 v194, v195
	v_ashrrev_i32_e32 v43, 31, v43
	v_xor_b32_e32 v42, s17, v42
	v_cmp_gt_i32_e64 s17, 0, v195
	v_and_b32_e32 v40, v40, v41
	v_not_b32_e32 v41, v196
	v_ashrrev_i32_e32 v194, 31, v194
	v_xor_b32_e32 v43, vcc_lo, v43
	v_cmp_gt_i32_e32 vcc_lo, 0, v196
	v_and_b32_e32 v40, v40, v42
	v_not_b32_e32 v42, v193
	v_ashrrev_i32_e32 v41, 31, v41
	v_xor_b32_e32 v194, s17, v194
	v_mul_u32_u24_e32 v37, 9, v37
	v_and_b32_e32 v40, v40, v43
	v_cmp_gt_i32_e64 s17, 0, v193
	v_ashrrev_i32_e32 v42, 31, v42
	v_xor_b32_e32 v41, vcc_lo, v41
	v_add_lshl_u32 v43, v37, v126, 2
	v_and_b32_e32 v40, v40, v194
	s_delay_alu instid0(VALU_DEP_4) | instskip(SKIP_3) | instid1(VALU_DEP_2)
	v_xor_b32_e32 v37, s17, v42
	ds_load_b32 v194, v43 offset:1056
	v_and_b32_e32 v40, v40, v41
	v_add_nc_u32_e32 v196, 0x420, v43
	; wave barrier
	v_and_b32_e32 v37, v40, v37
	s_delay_alu instid0(VALU_DEP_1) | instskip(SKIP_1) | instid1(VALU_DEP_2)
	v_mbcnt_lo_u32_b32 v195, v37, 0
	v_cmp_ne_u32_e64 s17, 0, v37
	v_cmp_eq_u32_e32 vcc_lo, 0, v195
	s_delay_alu instid0(VALU_DEP_2) | instskip(NEXT) | instid1(SALU_CYCLE_1)
	s_and_b32 s18, s17, vcc_lo
	s_and_saveexec_b32 s17, s18
	s_cbranch_execz .LBB1776_165
; %bb.164:                              ;   in Loop: Header=BB1776_103 Depth=2
	s_waitcnt lgkmcnt(0)
	v_bcnt_u32_b32 v37, v37, v194
	ds_store_b32 v196, v37
.LBB1776_165:                           ;   in Loop: Header=BB1776_103 Depth=2
	s_or_b32 exec_lo, exec_lo, s17
	v_cmp_gt_i16_e32 vcc_lo, 0, v39
	; wave barrier
	v_cndmask_b32_e64 v37, 0x7fff, 0, vcc_lo
	s_delay_alu instid0(VALU_DEP_1) | instskip(NEXT) | instid1(VALU_DEP_1)
	v_xor_b32_e32 v193, v37, v39
	v_cmp_ne_u16_e64 vcc_lo, 0x8000, v193
	v_cndmask_b32_e32 v37, 0x7fff, v193, vcc_lo
	s_delay_alu instid0(VALU_DEP_1) | instskip(NEXT) | instid1(VALU_DEP_1)
	v_and_b32_e32 v37, 0xffff, v37
	v_lshrrev_b32_e32 v37, s48, v37
	s_delay_alu instid0(VALU_DEP_1) | instskip(NEXT) | instid1(VALU_DEP_1)
	v_and_b32_e32 v37, s55, v37
	v_and_b32_e32 v39, 1, v37
	v_lshlrev_b32_e32 v40, 30, v37
	v_lshlrev_b32_e32 v41, 29, v37
	;; [unrolled: 1-line block ×4, first 2 shown]
	v_add_co_u32 v39, s17, v39, -1
	s_delay_alu instid0(VALU_DEP_1)
	v_cndmask_b32_e64 v43, 0, 1, s17
	v_not_b32_e32 v200, v40
	v_cmp_gt_i32_e64 s17, 0, v40
	v_not_b32_e32 v40, v41
	v_lshlrev_b32_e32 v198, 26, v37
	v_cmp_ne_u32_e32 vcc_lo, 0, v43
	v_ashrrev_i32_e32 v200, 31, v200
	v_lshlrev_b32_e32 v199, 25, v37
	v_ashrrev_i32_e32 v40, 31, v40
	v_lshlrev_b32_e32 v43, 24, v37
	v_xor_b32_e32 v39, vcc_lo, v39
	v_cmp_gt_i32_e32 vcc_lo, 0, v41
	v_not_b32_e32 v41, v42
	v_xor_b32_e32 v200, s17, v200
	v_cmp_gt_i32_e64 s17, 0, v42
	v_and_b32_e32 v39, exec_lo, v39
	v_not_b32_e32 v42, v197
	v_ashrrev_i32_e32 v41, 31, v41
	v_xor_b32_e32 v40, vcc_lo, v40
	v_cmp_gt_i32_e32 vcc_lo, 0, v197
	v_and_b32_e32 v39, v39, v200
	v_not_b32_e32 v197, v198
	v_ashrrev_i32_e32 v42, 31, v42
	v_xor_b32_e32 v41, s17, v41
	v_cmp_gt_i32_e64 s17, 0, v198
	v_and_b32_e32 v39, v39, v40
	v_not_b32_e32 v40, v199
	v_ashrrev_i32_e32 v197, 31, v197
	v_xor_b32_e32 v42, vcc_lo, v42
	v_cmp_gt_i32_e32 vcc_lo, 0, v199
	v_and_b32_e32 v39, v39, v41
	v_not_b32_e32 v41, v43
	v_ashrrev_i32_e32 v40, 31, v40
	v_xor_b32_e32 v197, s17, v197
	v_mul_u32_u24_e32 v37, 9, v37
	v_and_b32_e32 v39, v39, v42
	v_cmp_gt_i32_e64 s17, 0, v43
	v_ashrrev_i32_e32 v41, 31, v41
	v_xor_b32_e32 v40, vcc_lo, v40
	v_add_lshl_u32 v42, v37, v126, 2
	v_and_b32_e32 v39, v39, v197
	s_delay_alu instid0(VALU_DEP_4) | instskip(SKIP_3) | instid1(VALU_DEP_2)
	v_xor_b32_e32 v37, s17, v41
	ds_load_b32 v198, v42 offset:1056
	v_and_b32_e32 v39, v39, v40
	v_add_nc_u32_e32 v200, 0x420, v42
	; wave barrier
	v_and_b32_e32 v37, v39, v37
	s_delay_alu instid0(VALU_DEP_1) | instskip(SKIP_1) | instid1(VALU_DEP_2)
	v_mbcnt_lo_u32_b32 v199, v37, 0
	v_cmp_ne_u32_e64 s17, 0, v37
	v_cmp_eq_u32_e32 vcc_lo, 0, v199
	s_delay_alu instid0(VALU_DEP_2) | instskip(NEXT) | instid1(SALU_CYCLE_1)
	s_and_b32 s18, s17, vcc_lo
	s_and_saveexec_b32 s17, s18
	s_cbranch_execz .LBB1776_167
; %bb.166:                              ;   in Loop: Header=BB1776_103 Depth=2
	s_waitcnt lgkmcnt(0)
	v_bcnt_u32_b32 v37, v37, v198
	ds_store_b32 v200, v37
.LBB1776_167:                           ;   in Loop: Header=BB1776_103 Depth=2
	s_or_b32 exec_lo, exec_lo, s17
	v_cmp_gt_i16_e32 vcc_lo, 0, v38
	; wave barrier
	v_cndmask_b32_e64 v37, 0x7fff, 0, vcc_lo
	s_delay_alu instid0(VALU_DEP_1) | instskip(NEXT) | instid1(VALU_DEP_1)
	v_xor_b32_e32 v197, v37, v38
	v_cmp_ne_u16_e64 vcc_lo, 0x8000, v197
	v_cndmask_b32_e32 v37, 0x7fff, v197, vcc_lo
	s_delay_alu instid0(VALU_DEP_1) | instskip(NEXT) | instid1(VALU_DEP_1)
	v_and_b32_e32 v37, 0xffff, v37
	v_lshrrev_b32_e32 v37, s48, v37
	s_delay_alu instid0(VALU_DEP_1) | instskip(NEXT) | instid1(VALU_DEP_1)
	v_and_b32_e32 v37, s55, v37
	v_and_b32_e32 v38, 1, v37
	v_lshlrev_b32_e32 v39, 30, v37
	v_lshlrev_b32_e32 v40, 29, v37
	;; [unrolled: 1-line block ×4, first 2 shown]
	v_add_co_u32 v38, s17, v38, -1
	s_delay_alu instid0(VALU_DEP_1)
	v_cndmask_b32_e64 v42, 0, 1, s17
	v_not_b32_e32 v203, v39
	v_cmp_gt_i32_e64 s17, 0, v39
	v_not_b32_e32 v39, v40
	v_lshlrev_b32_e32 v201, 26, v37
	v_cmp_ne_u32_e32 vcc_lo, 0, v42
	v_ashrrev_i32_e32 v203, 31, v203
	v_lshlrev_b32_e32 v202, 25, v37
	v_ashrrev_i32_e32 v39, 31, v39
	v_lshlrev_b32_e32 v42, 24, v37
	v_xor_b32_e32 v38, vcc_lo, v38
	v_cmp_gt_i32_e32 vcc_lo, 0, v40
	v_not_b32_e32 v40, v41
	v_xor_b32_e32 v203, s17, v203
	v_cmp_gt_i32_e64 s17, 0, v41
	v_and_b32_e32 v38, exec_lo, v38
	v_not_b32_e32 v41, v43
	v_ashrrev_i32_e32 v40, 31, v40
	v_xor_b32_e32 v39, vcc_lo, v39
	v_cmp_gt_i32_e32 vcc_lo, 0, v43
	v_and_b32_e32 v38, v38, v203
	v_not_b32_e32 v43, v201
	v_ashrrev_i32_e32 v41, 31, v41
	v_xor_b32_e32 v40, s17, v40
	v_cmp_gt_i32_e64 s17, 0, v201
	v_and_b32_e32 v38, v38, v39
	v_not_b32_e32 v39, v202
	v_ashrrev_i32_e32 v43, 31, v43
	v_xor_b32_e32 v41, vcc_lo, v41
	v_cmp_gt_i32_e32 vcc_lo, 0, v202
	v_and_b32_e32 v38, v38, v40
	v_not_b32_e32 v40, v42
	v_ashrrev_i32_e32 v39, 31, v39
	v_xor_b32_e32 v43, s17, v43
	v_mul_u32_u24_e32 v37, 9, v37
	v_and_b32_e32 v38, v38, v41
	v_cmp_gt_i32_e64 s17, 0, v42
	v_ashrrev_i32_e32 v40, 31, v40
	v_xor_b32_e32 v39, vcc_lo, v39
	v_add_lshl_u32 v41, v37, v126, 2
	v_and_b32_e32 v38, v38, v43
	s_delay_alu instid0(VALU_DEP_4) | instskip(SKIP_3) | instid1(VALU_DEP_2)
	v_xor_b32_e32 v37, s17, v40
	ds_load_b32 v202, v41 offset:1056
	v_and_b32_e32 v38, v38, v39
	v_add_nc_u32_e32 v204, 0x420, v41
	; wave barrier
	v_and_b32_e32 v37, v38, v37
	s_delay_alu instid0(VALU_DEP_1) | instskip(SKIP_1) | instid1(VALU_DEP_2)
	v_mbcnt_lo_u32_b32 v203, v37, 0
	v_cmp_ne_u32_e64 s17, 0, v37
	v_cmp_eq_u32_e32 vcc_lo, 0, v203
	s_delay_alu instid0(VALU_DEP_2) | instskip(NEXT) | instid1(SALU_CYCLE_1)
	s_and_b32 s18, s17, vcc_lo
	s_and_saveexec_b32 s17, s18
	s_cbranch_execz .LBB1776_169
; %bb.168:                              ;   in Loop: Header=BB1776_103 Depth=2
	s_waitcnt lgkmcnt(0)
	v_bcnt_u32_b32 v37, v37, v202
	ds_store_b32 v204, v37
.LBB1776_169:                           ;   in Loop: Header=BB1776_103 Depth=2
	s_or_b32 exec_lo, exec_lo, s17
	v_cmp_gt_i16_e32 vcc_lo, 0, v36
	; wave barrier
	v_cndmask_b32_e64 v37, 0x7fff, 0, vcc_lo
	s_delay_alu instid0(VALU_DEP_1) | instskip(NEXT) | instid1(VALU_DEP_1)
	v_xor_b32_e32 v201, v37, v36
	v_cmp_ne_u16_e64 vcc_lo, 0x8000, v201
	v_cndmask_b32_e32 v36, 0x7fff, v201, vcc_lo
	s_delay_alu instid0(VALU_DEP_1) | instskip(NEXT) | instid1(VALU_DEP_1)
	v_and_b32_e32 v36, 0xffff, v36
	v_lshrrev_b32_e32 v36, s48, v36
	s_delay_alu instid0(VALU_DEP_1) | instskip(NEXT) | instid1(VALU_DEP_1)
	v_and_b32_e32 v36, s55, v36
	v_and_b32_e32 v37, 1, v36
	v_lshlrev_b32_e32 v38, 30, v36
	v_lshlrev_b32_e32 v39, 29, v36
	;; [unrolled: 1-line block ×4, first 2 shown]
	v_add_co_u32 v37, s17, v37, -1
	s_delay_alu instid0(VALU_DEP_1)
	v_cndmask_b32_e64 v41, 0, 1, s17
	v_not_b32_e32 v206, v38
	v_cmp_gt_i32_e64 s17, 0, v38
	v_not_b32_e32 v38, v39
	v_lshlrev_b32_e32 v43, 26, v36
	v_cmp_ne_u32_e32 vcc_lo, 0, v41
	v_ashrrev_i32_e32 v206, 31, v206
	v_lshlrev_b32_e32 v205, 25, v36
	v_ashrrev_i32_e32 v38, 31, v38
	v_lshlrev_b32_e32 v41, 24, v36
	v_xor_b32_e32 v37, vcc_lo, v37
	v_cmp_gt_i32_e32 vcc_lo, 0, v39
	v_not_b32_e32 v39, v40
	v_xor_b32_e32 v206, s17, v206
	v_cmp_gt_i32_e64 s17, 0, v40
	v_and_b32_e32 v37, exec_lo, v37
	v_not_b32_e32 v40, v42
	v_ashrrev_i32_e32 v39, 31, v39
	v_xor_b32_e32 v38, vcc_lo, v38
	v_cmp_gt_i32_e32 vcc_lo, 0, v42
	v_and_b32_e32 v37, v37, v206
	v_not_b32_e32 v42, v43
	v_ashrrev_i32_e32 v40, 31, v40
	v_xor_b32_e32 v39, s17, v39
	v_cmp_gt_i32_e64 s17, 0, v43
	v_and_b32_e32 v37, v37, v38
	v_not_b32_e32 v38, v205
	v_ashrrev_i32_e32 v42, 31, v42
	v_xor_b32_e32 v40, vcc_lo, v40
	v_cmp_gt_i32_e32 vcc_lo, 0, v205
	v_and_b32_e32 v37, v37, v39
	v_not_b32_e32 v39, v41
	v_ashrrev_i32_e32 v38, 31, v38
	v_xor_b32_e32 v42, s17, v42
	v_mul_u32_u24_e32 v36, 9, v36
	v_and_b32_e32 v37, v37, v40
	v_cmp_gt_i32_e64 s17, 0, v41
	v_ashrrev_i32_e32 v39, 31, v39
	v_xor_b32_e32 v38, vcc_lo, v38
	v_add_lshl_u32 v40, v36, v126, 2
	v_and_b32_e32 v37, v37, v42
	s_delay_alu instid0(VALU_DEP_4) | instskip(SKIP_3) | instid1(VALU_DEP_2)
	v_xor_b32_e32 v36, s17, v39
	ds_load_b32 v205, v40 offset:1056
	v_and_b32_e32 v37, v37, v38
	v_add_nc_u32_e32 v207, 0x420, v40
	; wave barrier
	v_and_b32_e32 v36, v37, v36
	s_delay_alu instid0(VALU_DEP_1) | instskip(SKIP_1) | instid1(VALU_DEP_2)
	v_mbcnt_lo_u32_b32 v206, v36, 0
	v_cmp_ne_u32_e64 s17, 0, v36
	v_cmp_eq_u32_e32 vcc_lo, 0, v206
	s_delay_alu instid0(VALU_DEP_2) | instskip(NEXT) | instid1(SALU_CYCLE_1)
	s_and_b32 s18, s17, vcc_lo
	s_and_saveexec_b32 s17, s18
	s_cbranch_execz .LBB1776_171
; %bb.170:                              ;   in Loop: Header=BB1776_103 Depth=2
	s_waitcnt lgkmcnt(0)
	v_bcnt_u32_b32 v36, v36, v205
	ds_store_b32 v207, v36
.LBB1776_171:                           ;   in Loop: Header=BB1776_103 Depth=2
	s_or_b32 exec_lo, exec_lo, s17
	; wave barrier
	s_waitcnt lgkmcnt(0)
	s_barrier
	buffer_gl0_inv
	ds_load_b32 v208, v69 offset:1056
	ds_load_2addr_b32 v[42:43], v71 offset0:1 offset1:2
	ds_load_2addr_b32 v[40:41], v71 offset0:3 offset1:4
	;; [unrolled: 1-line block ×4, first 2 shown]
	s_waitcnt lgkmcnt(3)
	v_add3_u32 v209, v42, v208, v43
	s_waitcnt lgkmcnt(2)
	s_delay_alu instid0(VALU_DEP_1) | instskip(SKIP_1) | instid1(VALU_DEP_1)
	v_add3_u32 v209, v209, v40, v41
	s_waitcnt lgkmcnt(1)
	v_add3_u32 v209, v209, v36, v37
	s_waitcnt lgkmcnt(0)
	s_delay_alu instid0(VALU_DEP_1) | instskip(NEXT) | instid1(VALU_DEP_1)
	v_add3_u32 v39, v209, v38, v39
	v_mov_b32_dpp v209, v39 row_shr:1 row_mask:0xf bank_mask:0xf
	s_delay_alu instid0(VALU_DEP_1) | instskip(NEXT) | instid1(VALU_DEP_1)
	v_cndmask_b32_e64 v209, v209, 0, s0
	v_add_nc_u32_e32 v39, v209, v39
	s_delay_alu instid0(VALU_DEP_1) | instskip(NEXT) | instid1(VALU_DEP_1)
	v_mov_b32_dpp v209, v39 row_shr:2 row_mask:0xf bank_mask:0xf
	v_cndmask_b32_e64 v209, 0, v209, s1
	s_delay_alu instid0(VALU_DEP_1) | instskip(NEXT) | instid1(VALU_DEP_1)
	v_add_nc_u32_e32 v39, v39, v209
	v_mov_b32_dpp v209, v39 row_shr:4 row_mask:0xf bank_mask:0xf
	s_delay_alu instid0(VALU_DEP_1) | instskip(NEXT) | instid1(VALU_DEP_1)
	v_cndmask_b32_e64 v209, 0, v209, s8
	v_add_nc_u32_e32 v39, v39, v209
	s_delay_alu instid0(VALU_DEP_1) | instskip(NEXT) | instid1(VALU_DEP_1)
	v_mov_b32_dpp v209, v39 row_shr:8 row_mask:0xf bank_mask:0xf
	v_cndmask_b32_e64 v209, 0, v209, s9
	s_delay_alu instid0(VALU_DEP_1) | instskip(SKIP_3) | instid1(VALU_DEP_1)
	v_add_nc_u32_e32 v39, v39, v209
	ds_swizzle_b32 v209, v39 offset:swizzle(BROADCAST,32,15)
	s_waitcnt lgkmcnt(0)
	v_cndmask_b32_e64 v209, v209, 0, s10
	v_add_nc_u32_e32 v39, v39, v209
	s_and_saveexec_b32 s17, s3
	s_cbranch_execz .LBB1776_173
; %bb.172:                              ;   in Loop: Header=BB1776_103 Depth=2
	ds_store_b32 v62, v39 offset:1024
.LBB1776_173:                           ;   in Loop: Header=BB1776_103 Depth=2
	s_or_b32 exec_lo, exec_lo, s17
	s_waitcnt lgkmcnt(0)
	s_barrier
	buffer_gl0_inv
	s_and_saveexec_b32 s17, s4
	s_cbranch_execz .LBB1776_175
; %bb.174:                              ;   in Loop: Header=BB1776_103 Depth=2
	ds_load_b32 v209, v72 offset:1024
	s_waitcnt lgkmcnt(0)
	v_mov_b32_dpp v210, v209 row_shr:1 row_mask:0xf bank_mask:0xf
	s_delay_alu instid0(VALU_DEP_1) | instskip(NEXT) | instid1(VALU_DEP_1)
	v_cndmask_b32_e64 v210, v210, 0, s12
	v_add_nc_u32_e32 v209, v210, v209
	s_delay_alu instid0(VALU_DEP_1) | instskip(NEXT) | instid1(VALU_DEP_1)
	v_mov_b32_dpp v210, v209 row_shr:2 row_mask:0xf bank_mask:0xf
	v_cndmask_b32_e64 v210, 0, v210, s13
	s_delay_alu instid0(VALU_DEP_1) | instskip(NEXT) | instid1(VALU_DEP_1)
	v_add_nc_u32_e32 v209, v209, v210
	v_mov_b32_dpp v210, v209 row_shr:4 row_mask:0xf bank_mask:0xf
	s_delay_alu instid0(VALU_DEP_1) | instskip(NEXT) | instid1(VALU_DEP_1)
	v_cndmask_b32_e64 v210, 0, v210, s16
	v_add_nc_u32_e32 v209, v209, v210
	ds_store_b32 v72, v209 offset:1024
.LBB1776_175:                           ;   in Loop: Header=BB1776_103 Depth=2
	s_or_b32 exec_lo, exec_lo, s17
	v_mov_b32_e32 v209, 0
	s_waitcnt lgkmcnt(0)
	s_barrier
	buffer_gl0_inv
	s_and_saveexec_b32 s17, s5
	s_cbranch_execz .LBB1776_177
; %bb.176:                              ;   in Loop: Header=BB1776_103 Depth=2
	ds_load_b32 v209, v62 offset:1020
.LBB1776_177:                           ;   in Loop: Header=BB1776_103 Depth=2
	s_or_b32 exec_lo, exec_lo, s17
	s_waitcnt lgkmcnt(0)
	v_add_nc_u32_e32 v39, v209, v39
	ds_bpermute_b32 v39, v105, v39
	s_waitcnt lgkmcnt(0)
	v_cndmask_b32_e64 v39, v39, v209, s11
	s_delay_alu instid0(VALU_DEP_1) | instskip(NEXT) | instid1(VALU_DEP_1)
	v_cndmask_b32_e64 v39, v39, 0, s6
	v_add_nc_u32_e32 v208, v39, v208
	s_delay_alu instid0(VALU_DEP_1) | instskip(NEXT) | instid1(VALU_DEP_1)
	v_add_nc_u32_e32 v42, v208, v42
	v_add_nc_u32_e32 v43, v42, v43
	s_delay_alu instid0(VALU_DEP_1) | instskip(NEXT) | instid1(VALU_DEP_1)
	v_add_nc_u32_e32 v40, v43, v40
	;; [unrolled: 3-line block ×3, first 2 shown]
	v_add_nc_u32_e32 v37, v36, v37
	s_delay_alu instid0(VALU_DEP_1)
	v_add_nc_u32_e32 v38, v37, v38
	ds_store_b32 v69, v39 offset:1056
	ds_store_2addr_b32 v71, v208, v42 offset0:1 offset1:2
	ds_store_2addr_b32 v71, v43, v40 offset0:3 offset1:4
	;; [unrolled: 1-line block ×4, first 2 shown]
	v_mov_b32_e32 v38, 0x1000
	s_waitcnt lgkmcnt(0)
	s_barrier
	buffer_gl0_inv
	ds_load_b32 v39, v152
	ds_load_b32 v40, v156
	ds_load_b32 v42, v160
	ds_load_b32 v43, v164
	ds_load_b32 v152, v168
	ds_load_b32 v173, v173
	ds_load_b32 v176, v176
	ds_load_b32 v180, v180
	ds_load_b32 v184, v184
	ds_load_b32 v188, v188
	ds_load_b32 v192, v192
	ds_load_b32 v196, v196
	ds_load_b32 v36, v200
	ds_load_b32 v37, v204
	ds_load_b32 v41, v207
	ds_load_b32 v148, v148
	ds_load_b32 v156, v69 offset:1056
	s_and_saveexec_b32 s17, s7
	s_cbranch_execz .LBB1776_179
; %bb.178:                              ;   in Loop: Header=BB1776_103 Depth=2
	ds_load_b32 v38, v73 offset:1056
.LBB1776_179:                           ;   in Loop: Header=BB1776_103 Depth=2
	s_or_b32 exec_lo, exec_lo, s17
	s_waitcnt lgkmcnt(0)
	s_barrier
	buffer_gl0_inv
	s_and_saveexec_b32 s17, s2
	s_cbranch_execz .LBB1776_181
; %bb.180:                              ;   in Loop: Header=BB1776_103 Depth=2
	ds_load_b32 v160, v44
	s_waitcnt lgkmcnt(0)
	v_sub_nc_u32_e32 v156, v160, v156
	ds_store_b32 v44, v156
.LBB1776_181:                           ;   in Loop: Header=BB1776_103 Depth=2
	s_or_b32 exec_lo, exec_lo, s17
	v_add_nc_u32_e32 v168, v148, v147
	v_add3_u32 v164, v151, v150, v39
	v_add3_u32 v160, v155, v154, v40
	;; [unrolled: 1-line block ×5, first 2 shown]
	v_lshlrev_b32_e32 v158, 1, v168
	v_add3_u32 v43, v199, v198, v36
	v_lshlrev_b32_e32 v36, 1, v164
	v_add3_u32 v152, v172, v171, v173
	v_add3_u32 v151, v175, v174, v176
	ds_store_b16 v158, v2 offset:1024
	v_lshlrev_b32_e32 v2, 1, v160
	ds_store_b16 v36, v146 offset:1024
	v_lshlrev_b32_e32 v36, 1, v154
	v_add3_u32 v150, v179, v178, v180
	v_add3_u32 v42, v203, v202, v37
	v_lshlrev_b32_e32 v37, 1, v156
	v_add3_u32 v148, v183, v182, v184
	v_lshlrev_b32_e32 v158, 1, v155
	v_add3_u32 v147, v187, v186, v188
	v_add3_u32 v40, v191, v190, v192
	ds_store_b16 v2, v149 offset:1024
	ds_store_b16 v37, v153 offset:1024
	;; [unrolled: 1-line block ×3, first 2 shown]
	v_lshlrev_b32_e32 v2, 1, v152
	ds_store_b16 v36, v161 offset:1024
	v_lshlrev_b32_e32 v36, 1, v151
	v_lshlrev_b32_e32 v37, 1, v150
	;; [unrolled: 1-line block ×3, first 2 shown]
	v_add3_u32 v39, v195, v194, v196
	v_add3_u32 v41, v206, v205, v41
	ds_store_b16 v2, v165 offset:1024
	v_lshlrev_b32_e32 v2, 1, v147
	ds_store_b16 v36, v170 offset:1024
	ds_store_b16 v37, v169 offset:1024
	;; [unrolled: 1-line block ×3, first 2 shown]
	v_lshlrev_b32_e32 v36, 1, v40
	v_cmp_lt_u32_e32 vcc_lo, v1, v145
	v_lshlrev_b32_e32 v37, 1, v43
	ds_store_b16 v2, v181 offset:1024
	v_lshlrev_b32_e32 v2, 1, v39
	ds_store_b16 v36, v185 offset:1024
	v_lshlrev_b32_e32 v36, 1, v41
	v_lshlrev_b32_e32 v146, 1, v42
	ds_store_b16 v2, v189 offset:1024
	ds_store_b16 v37, v193 offset:1024
	;; [unrolled: 1-line block ×4, first 2 shown]
	s_waitcnt lgkmcnt(0)
	s_barrier
	buffer_gl0_inv
	s_and_saveexec_b32 s18, vcc_lo
	s_cbranch_execz .LBB1776_197
; %bb.182:                              ;   in Loop: Header=BB1776_103 Depth=2
	v_add_nc_u32_e32 v2, v72, v78
	ds_load_u16 v146, v2 offset:1024
	s_waitcnt lgkmcnt(0)
	v_cmp_ne_u16_e64 s17, 0x8000, v146
	s_delay_alu instid0(VALU_DEP_1) | instskip(SKIP_1) | instid1(VALU_DEP_2)
	v_cndmask_b32_e64 v2, 0x7fff, v146, s17
	v_cmp_gt_i16_e64 s17, 0, v146
	v_and_b32_e32 v2, 0xffff, v2
	s_delay_alu instid0(VALU_DEP_2) | instskip(NEXT) | instid1(VALU_DEP_2)
	v_cndmask_b32_e64 v149, 0x7fff, 0, s17
	v_lshrrev_b32_e32 v2, s48, v2
	s_delay_alu instid0(VALU_DEP_1) | instskip(NEXT) | instid1(VALU_DEP_1)
	v_and_b32_e32 v2, s55, v2
	v_lshlrev_b32_e32 v2, 2, v2
	ds_load_b32 v2, v2
	s_waitcnt lgkmcnt(0)
	v_add_nc_u32_e32 v2, v2, v1
	s_delay_alu instid0(VALU_DEP_1) | instskip(SKIP_1) | instid1(VALU_DEP_2)
	v_lshlrev_b64 v[36:37], 1, v[2:3]
	v_xor_b32_e32 v2, v149, v146
	v_add_co_u32 v36, s17, s38, v36
	s_delay_alu instid0(VALU_DEP_1) | instskip(SKIP_3) | instid1(VALU_DEP_1)
	v_add_co_ci_u32_e64 v37, s17, s39, v37, s17
	global_store_b16 v[36:37], v2, off
	s_or_b32 exec_lo, exec_lo, s18
	v_cmp_lt_u32_e64 s17, v45, v145
	s_and_saveexec_b32 s19, s17
	s_cbranch_execnz .LBB1776_198
.LBB1776_183:                           ;   in Loop: Header=BB1776_103 Depth=2
	s_or_b32 exec_lo, exec_lo, s19
	v_cmp_lt_u32_e64 s18, v46, v145
	s_delay_alu instid0(VALU_DEP_1)
	s_and_saveexec_b32 s20, s18
	s_cbranch_execz .LBB1776_199
.LBB1776_184:                           ;   in Loop: Header=BB1776_103 Depth=2
	ds_load_u16 v146, v79 offset:1024
	s_waitcnt lgkmcnt(0)
	v_cmp_ne_u16_e64 s19, 0x8000, v146
	s_delay_alu instid0(VALU_DEP_1) | instskip(SKIP_1) | instid1(VALU_DEP_2)
	v_cndmask_b32_e64 v2, 0x7fff, v146, s19
	v_cmp_gt_i16_e64 s19, 0, v146
	v_and_b32_e32 v2, 0xffff, v2
	s_delay_alu instid0(VALU_DEP_2) | instskip(NEXT) | instid1(VALU_DEP_2)
	v_cndmask_b32_e64 v149, 0x7fff, 0, s19
	v_lshrrev_b32_e32 v2, s48, v2
	s_delay_alu instid0(VALU_DEP_1) | instskip(NEXT) | instid1(VALU_DEP_1)
	v_and_b32_e32 v2, s55, v2
	v_lshlrev_b32_e32 v2, 2, v2
	ds_load_b32 v2, v2
	s_waitcnt lgkmcnt(0)
	v_add_nc_u32_e32 v2, v2, v46
	s_delay_alu instid0(VALU_DEP_1) | instskip(SKIP_1) | instid1(VALU_DEP_2)
	v_lshlrev_b64 v[36:37], 1, v[2:3]
	v_xor_b32_e32 v2, v149, v146
	v_add_co_u32 v36, s19, s38, v36
	s_delay_alu instid0(VALU_DEP_1) | instskip(SKIP_3) | instid1(VALU_DEP_1)
	v_add_co_ci_u32_e64 v37, s19, s39, v37, s19
	global_store_b16 v[36:37], v2, off
	s_or_b32 exec_lo, exec_lo, s20
	v_cmp_lt_u32_e64 s19, v47, v145
	s_and_saveexec_b32 s21, s19
	s_cbranch_execnz .LBB1776_200
.LBB1776_185:                           ;   in Loop: Header=BB1776_103 Depth=2
	s_or_b32 exec_lo, exec_lo, s21
	v_cmp_lt_u32_e64 s20, v51, v145
	s_delay_alu instid0(VALU_DEP_1)
	s_and_saveexec_b32 s22, s20
	s_cbranch_execz .LBB1776_201
.LBB1776_186:                           ;   in Loop: Header=BB1776_103 Depth=2
	ds_load_u16 v146, v79 offset:2048
	s_waitcnt lgkmcnt(0)
	v_cmp_ne_u16_e64 s21, 0x8000, v146
	s_delay_alu instid0(VALU_DEP_1) | instskip(SKIP_1) | instid1(VALU_DEP_2)
	v_cndmask_b32_e64 v2, 0x7fff, v146, s21
	v_cmp_gt_i16_e64 s21, 0, v146
	v_and_b32_e32 v2, 0xffff, v2
	s_delay_alu instid0(VALU_DEP_2) | instskip(NEXT) | instid1(VALU_DEP_2)
	v_cndmask_b32_e64 v149, 0x7fff, 0, s21
	v_lshrrev_b32_e32 v2, s48, v2
	s_delay_alu instid0(VALU_DEP_1) | instskip(NEXT) | instid1(VALU_DEP_1)
	v_and_b32_e32 v2, s55, v2
	v_lshlrev_b32_e32 v2, 2, v2
	ds_load_b32 v2, v2
	s_waitcnt lgkmcnt(0)
	v_add_nc_u32_e32 v2, v2, v51
	s_delay_alu instid0(VALU_DEP_1) | instskip(SKIP_1) | instid1(VALU_DEP_2)
	v_lshlrev_b64 v[36:37], 1, v[2:3]
	v_xor_b32_e32 v2, v149, v146
	v_add_co_u32 v36, s21, s38, v36
	s_delay_alu instid0(VALU_DEP_1) | instskip(SKIP_3) | instid1(VALU_DEP_1)
	v_add_co_ci_u32_e64 v37, s21, s39, v37, s21
	global_store_b16 v[36:37], v2, off
	s_or_b32 exec_lo, exec_lo, s22
	v_cmp_lt_u32_e64 s21, v52, v145
	s_and_saveexec_b32 s23, s21
	s_cbranch_execnz .LBB1776_202
.LBB1776_187:                           ;   in Loop: Header=BB1776_103 Depth=2
	s_or_b32 exec_lo, exec_lo, s23
	v_cmp_lt_u32_e64 s22, v53, v145
	s_delay_alu instid0(VALU_DEP_1)
	s_and_saveexec_b32 s24, s22
	s_cbranch_execz .LBB1776_203
.LBB1776_188:                           ;   in Loop: Header=BB1776_103 Depth=2
	ds_load_u16 v146, v79 offset:3072
	s_waitcnt lgkmcnt(0)
	v_cmp_ne_u16_e64 s23, 0x8000, v146
	s_delay_alu instid0(VALU_DEP_1) | instskip(SKIP_1) | instid1(VALU_DEP_2)
	v_cndmask_b32_e64 v2, 0x7fff, v146, s23
	v_cmp_gt_i16_e64 s23, 0, v146
	v_and_b32_e32 v2, 0xffff, v2
	s_delay_alu instid0(VALU_DEP_2) | instskip(NEXT) | instid1(VALU_DEP_2)
	v_cndmask_b32_e64 v149, 0x7fff, 0, s23
	v_lshrrev_b32_e32 v2, s48, v2
	s_delay_alu instid0(VALU_DEP_1) | instskip(NEXT) | instid1(VALU_DEP_1)
	v_and_b32_e32 v2, s55, v2
	v_lshlrev_b32_e32 v2, 2, v2
	ds_load_b32 v2, v2
	s_waitcnt lgkmcnt(0)
	v_add_nc_u32_e32 v2, v2, v53
	s_delay_alu instid0(VALU_DEP_1) | instskip(SKIP_1) | instid1(VALU_DEP_2)
	v_lshlrev_b64 v[36:37], 1, v[2:3]
	v_xor_b32_e32 v2, v149, v146
	v_add_co_u32 v36, s23, s38, v36
	s_delay_alu instid0(VALU_DEP_1) | instskip(SKIP_3) | instid1(VALU_DEP_1)
	v_add_co_ci_u32_e64 v37, s23, s39, v37, s23
	global_store_b16 v[36:37], v2, off
	s_or_b32 exec_lo, exec_lo, s24
	v_cmp_lt_u32_e64 s23, v54, v145
	s_and_saveexec_b32 s25, s23
	s_cbranch_execnz .LBB1776_204
.LBB1776_189:                           ;   in Loop: Header=BB1776_103 Depth=2
	s_or_b32 exec_lo, exec_lo, s25
	v_cmp_lt_u32_e64 s24, v55, v145
	s_delay_alu instid0(VALU_DEP_1)
	s_and_saveexec_b32 s26, s24
	s_cbranch_execz .LBB1776_205
.LBB1776_190:                           ;   in Loop: Header=BB1776_103 Depth=2
	ds_load_u16 v146, v79 offset:4096
	s_waitcnt lgkmcnt(0)
	v_cmp_ne_u16_e64 s25, 0x8000, v146
	s_delay_alu instid0(VALU_DEP_1) | instskip(SKIP_1) | instid1(VALU_DEP_2)
	v_cndmask_b32_e64 v2, 0x7fff, v146, s25
	v_cmp_gt_i16_e64 s25, 0, v146
	v_and_b32_e32 v2, 0xffff, v2
	s_delay_alu instid0(VALU_DEP_2) | instskip(NEXT) | instid1(VALU_DEP_2)
	v_cndmask_b32_e64 v149, 0x7fff, 0, s25
	v_lshrrev_b32_e32 v2, s48, v2
	s_delay_alu instid0(VALU_DEP_1) | instskip(NEXT) | instid1(VALU_DEP_1)
	v_and_b32_e32 v2, s55, v2
	v_lshlrev_b32_e32 v2, 2, v2
	ds_load_b32 v2, v2
	s_waitcnt lgkmcnt(0)
	v_add_nc_u32_e32 v2, v2, v55
	s_delay_alu instid0(VALU_DEP_1) | instskip(SKIP_1) | instid1(VALU_DEP_2)
	v_lshlrev_b64 v[36:37], 1, v[2:3]
	v_xor_b32_e32 v2, v149, v146
	v_add_co_u32 v36, s25, s38, v36
	s_delay_alu instid0(VALU_DEP_1) | instskip(SKIP_3) | instid1(VALU_DEP_1)
	v_add_co_ci_u32_e64 v37, s25, s39, v37, s25
	global_store_b16 v[36:37], v2, off
	s_or_b32 exec_lo, exec_lo, s26
	v_cmp_lt_u32_e64 s25, v56, v145
	s_and_saveexec_b32 s27, s25
	s_cbranch_execnz .LBB1776_206
.LBB1776_191:                           ;   in Loop: Header=BB1776_103 Depth=2
	s_or_b32 exec_lo, exec_lo, s27
	v_cmp_lt_u32_e64 s26, v57, v145
	s_delay_alu instid0(VALU_DEP_1)
	s_and_saveexec_b32 s28, s26
	s_cbranch_execz .LBB1776_207
.LBB1776_192:                           ;   in Loop: Header=BB1776_103 Depth=2
	ds_load_u16 v146, v79 offset:5120
	s_waitcnt lgkmcnt(0)
	v_cmp_ne_u16_e64 s27, 0x8000, v146
	s_delay_alu instid0(VALU_DEP_1) | instskip(SKIP_1) | instid1(VALU_DEP_2)
	v_cndmask_b32_e64 v2, 0x7fff, v146, s27
	v_cmp_gt_i16_e64 s27, 0, v146
	v_and_b32_e32 v2, 0xffff, v2
	s_delay_alu instid0(VALU_DEP_2) | instskip(NEXT) | instid1(VALU_DEP_2)
	v_cndmask_b32_e64 v149, 0x7fff, 0, s27
	v_lshrrev_b32_e32 v2, s48, v2
	s_delay_alu instid0(VALU_DEP_1) | instskip(NEXT) | instid1(VALU_DEP_1)
	v_and_b32_e32 v2, s55, v2
	v_lshlrev_b32_e32 v2, 2, v2
	ds_load_b32 v2, v2
	s_waitcnt lgkmcnt(0)
	v_add_nc_u32_e32 v2, v2, v57
	s_delay_alu instid0(VALU_DEP_1) | instskip(SKIP_1) | instid1(VALU_DEP_2)
	v_lshlrev_b64 v[36:37], 1, v[2:3]
	v_xor_b32_e32 v2, v149, v146
	v_add_co_u32 v36, s27, s38, v36
	s_delay_alu instid0(VALU_DEP_1) | instskip(SKIP_3) | instid1(VALU_DEP_1)
	v_add_co_ci_u32_e64 v37, s27, s39, v37, s27
	global_store_b16 v[36:37], v2, off
	s_or_b32 exec_lo, exec_lo, s28
	v_cmp_lt_u32_e64 s27, v58, v145
	s_and_saveexec_b32 s29, s27
	s_cbranch_execnz .LBB1776_208
.LBB1776_193:                           ;   in Loop: Header=BB1776_103 Depth=2
	s_or_b32 exec_lo, exec_lo, s29
	v_cmp_lt_u32_e64 s28, v59, v145
	s_delay_alu instid0(VALU_DEP_1)
	s_and_saveexec_b32 s30, s28
	s_cbranch_execz .LBB1776_209
.LBB1776_194:                           ;   in Loop: Header=BB1776_103 Depth=2
	ds_load_u16 v146, v79 offset:6144
	s_waitcnt lgkmcnt(0)
	v_cmp_ne_u16_e64 s29, 0x8000, v146
	s_delay_alu instid0(VALU_DEP_1) | instskip(SKIP_1) | instid1(VALU_DEP_2)
	v_cndmask_b32_e64 v2, 0x7fff, v146, s29
	v_cmp_gt_i16_e64 s29, 0, v146
	v_and_b32_e32 v2, 0xffff, v2
	s_delay_alu instid0(VALU_DEP_2) | instskip(NEXT) | instid1(VALU_DEP_2)
	v_cndmask_b32_e64 v149, 0x7fff, 0, s29
	v_lshrrev_b32_e32 v2, s48, v2
	s_delay_alu instid0(VALU_DEP_1) | instskip(NEXT) | instid1(VALU_DEP_1)
	v_and_b32_e32 v2, s55, v2
	v_lshlrev_b32_e32 v2, 2, v2
	ds_load_b32 v2, v2
	s_waitcnt lgkmcnt(0)
	v_add_nc_u32_e32 v2, v2, v59
	s_delay_alu instid0(VALU_DEP_1) | instskip(SKIP_1) | instid1(VALU_DEP_2)
	v_lshlrev_b64 v[36:37], 1, v[2:3]
	v_xor_b32_e32 v2, v149, v146
	v_add_co_u32 v36, s29, s38, v36
	s_delay_alu instid0(VALU_DEP_1) | instskip(SKIP_3) | instid1(VALU_DEP_1)
	v_add_co_ci_u32_e64 v37, s29, s39, v37, s29
	global_store_b16 v[36:37], v2, off
	s_or_b32 exec_lo, exec_lo, s30
	v_cmp_lt_u32_e64 s29, v60, v145
	s_and_saveexec_b32 s31, s29
	s_cbranch_execnz .LBB1776_210
.LBB1776_195:                           ;   in Loop: Header=BB1776_103 Depth=2
	s_or_b32 exec_lo, exec_lo, s31
	v_cmp_lt_u32_e64 s30, v61, v145
	s_delay_alu instid0(VALU_DEP_1)
	s_and_saveexec_b32 s33, s30
	s_cbranch_execz .LBB1776_211
.LBB1776_196:                           ;   in Loop: Header=BB1776_103 Depth=2
	ds_load_u16 v146, v79 offset:7168
	s_waitcnt lgkmcnt(0)
	v_cmp_ne_u16_e64 s31, 0x8000, v146
	s_delay_alu instid0(VALU_DEP_1) | instskip(SKIP_1) | instid1(VALU_DEP_2)
	v_cndmask_b32_e64 v2, 0x7fff, v146, s31
	v_cmp_gt_i16_e64 s31, 0, v146
	v_and_b32_e32 v2, 0xffff, v2
	s_delay_alu instid0(VALU_DEP_2) | instskip(NEXT) | instid1(VALU_DEP_2)
	v_cndmask_b32_e64 v149, 0x7fff, 0, s31
	v_lshrrev_b32_e32 v2, s48, v2
	s_delay_alu instid0(VALU_DEP_1) | instskip(NEXT) | instid1(VALU_DEP_1)
	v_and_b32_e32 v2, s55, v2
	v_lshlrev_b32_e32 v2, 2, v2
	ds_load_b32 v2, v2
	s_waitcnt lgkmcnt(0)
	v_add_nc_u32_e32 v2, v2, v61
	s_delay_alu instid0(VALU_DEP_1) | instskip(SKIP_1) | instid1(VALU_DEP_2)
	v_lshlrev_b64 v[36:37], 1, v[2:3]
	v_xor_b32_e32 v2, v149, v146
	v_add_co_u32 v36, s31, s38, v36
	s_delay_alu instid0(VALU_DEP_1) | instskip(SKIP_3) | instid1(VALU_DEP_1)
	v_add_co_ci_u32_e64 v37, s31, s39, v37, s31
	global_store_b16 v[36:37], v2, off
	s_or_b32 exec_lo, exec_lo, s33
	v_cmp_lt_u32_e64 s31, v63, v145
	s_and_saveexec_b32 s58, s31
	s_cbranch_execnz .LBB1776_212
	s_branch .LBB1776_213
.LBB1776_197:                           ;   in Loop: Header=BB1776_103 Depth=2
	s_or_b32 exec_lo, exec_lo, s18
	v_cmp_lt_u32_e64 s17, v45, v145
	s_delay_alu instid0(VALU_DEP_1)
	s_and_saveexec_b32 s19, s17
	s_cbranch_execz .LBB1776_183
.LBB1776_198:                           ;   in Loop: Header=BB1776_103 Depth=2
	ds_load_u16 v146, v79 offset:512
	s_waitcnt lgkmcnt(0)
	v_cmp_ne_u16_e64 s18, 0x8000, v146
	s_delay_alu instid0(VALU_DEP_1) | instskip(SKIP_1) | instid1(VALU_DEP_2)
	v_cndmask_b32_e64 v2, 0x7fff, v146, s18
	v_cmp_gt_i16_e64 s18, 0, v146
	v_and_b32_e32 v2, 0xffff, v2
	s_delay_alu instid0(VALU_DEP_2) | instskip(NEXT) | instid1(VALU_DEP_2)
	v_cndmask_b32_e64 v149, 0x7fff, 0, s18
	v_lshrrev_b32_e32 v2, s48, v2
	s_delay_alu instid0(VALU_DEP_1) | instskip(NEXT) | instid1(VALU_DEP_1)
	v_and_b32_e32 v2, s55, v2
	v_lshlrev_b32_e32 v2, 2, v2
	ds_load_b32 v2, v2
	s_waitcnt lgkmcnt(0)
	v_add_nc_u32_e32 v2, v2, v45
	s_delay_alu instid0(VALU_DEP_1) | instskip(SKIP_1) | instid1(VALU_DEP_2)
	v_lshlrev_b64 v[36:37], 1, v[2:3]
	v_xor_b32_e32 v2, v149, v146
	v_add_co_u32 v36, s18, s38, v36
	s_delay_alu instid0(VALU_DEP_1) | instskip(SKIP_3) | instid1(VALU_DEP_1)
	v_add_co_ci_u32_e64 v37, s18, s39, v37, s18
	global_store_b16 v[36:37], v2, off
	s_or_b32 exec_lo, exec_lo, s19
	v_cmp_lt_u32_e64 s18, v46, v145
	s_and_saveexec_b32 s20, s18
	s_cbranch_execnz .LBB1776_184
.LBB1776_199:                           ;   in Loop: Header=BB1776_103 Depth=2
	s_or_b32 exec_lo, exec_lo, s20
	v_cmp_lt_u32_e64 s19, v47, v145
	s_delay_alu instid0(VALU_DEP_1)
	s_and_saveexec_b32 s21, s19
	s_cbranch_execz .LBB1776_185
.LBB1776_200:                           ;   in Loop: Header=BB1776_103 Depth=2
	ds_load_u16 v146, v79 offset:1536
	s_waitcnt lgkmcnt(0)
	v_cmp_ne_u16_e64 s20, 0x8000, v146
	s_delay_alu instid0(VALU_DEP_1) | instskip(SKIP_1) | instid1(VALU_DEP_2)
	v_cndmask_b32_e64 v2, 0x7fff, v146, s20
	v_cmp_gt_i16_e64 s20, 0, v146
	v_and_b32_e32 v2, 0xffff, v2
	s_delay_alu instid0(VALU_DEP_2) | instskip(NEXT) | instid1(VALU_DEP_2)
	v_cndmask_b32_e64 v149, 0x7fff, 0, s20
	v_lshrrev_b32_e32 v2, s48, v2
	s_delay_alu instid0(VALU_DEP_1) | instskip(NEXT) | instid1(VALU_DEP_1)
	v_and_b32_e32 v2, s55, v2
	v_lshlrev_b32_e32 v2, 2, v2
	ds_load_b32 v2, v2
	s_waitcnt lgkmcnt(0)
	v_add_nc_u32_e32 v2, v2, v47
	s_delay_alu instid0(VALU_DEP_1) | instskip(SKIP_1) | instid1(VALU_DEP_2)
	v_lshlrev_b64 v[36:37], 1, v[2:3]
	v_xor_b32_e32 v2, v149, v146
	v_add_co_u32 v36, s20, s38, v36
	s_delay_alu instid0(VALU_DEP_1) | instskip(SKIP_3) | instid1(VALU_DEP_1)
	v_add_co_ci_u32_e64 v37, s20, s39, v37, s20
	global_store_b16 v[36:37], v2, off
	s_or_b32 exec_lo, exec_lo, s21
	v_cmp_lt_u32_e64 s20, v51, v145
	s_and_saveexec_b32 s22, s20
	s_cbranch_execnz .LBB1776_186
.LBB1776_201:                           ;   in Loop: Header=BB1776_103 Depth=2
	s_or_b32 exec_lo, exec_lo, s22
	v_cmp_lt_u32_e64 s21, v52, v145
	s_delay_alu instid0(VALU_DEP_1)
	s_and_saveexec_b32 s23, s21
	s_cbranch_execz .LBB1776_187
.LBB1776_202:                           ;   in Loop: Header=BB1776_103 Depth=2
	ds_load_u16 v146, v79 offset:2560
	s_waitcnt lgkmcnt(0)
	v_cmp_ne_u16_e64 s22, 0x8000, v146
	s_delay_alu instid0(VALU_DEP_1) | instskip(SKIP_1) | instid1(VALU_DEP_2)
	v_cndmask_b32_e64 v2, 0x7fff, v146, s22
	v_cmp_gt_i16_e64 s22, 0, v146
	v_and_b32_e32 v2, 0xffff, v2
	s_delay_alu instid0(VALU_DEP_2) | instskip(NEXT) | instid1(VALU_DEP_2)
	v_cndmask_b32_e64 v149, 0x7fff, 0, s22
	v_lshrrev_b32_e32 v2, s48, v2
	s_delay_alu instid0(VALU_DEP_1) | instskip(NEXT) | instid1(VALU_DEP_1)
	v_and_b32_e32 v2, s55, v2
	v_lshlrev_b32_e32 v2, 2, v2
	ds_load_b32 v2, v2
	s_waitcnt lgkmcnt(0)
	v_add_nc_u32_e32 v2, v2, v52
	s_delay_alu instid0(VALU_DEP_1) | instskip(SKIP_1) | instid1(VALU_DEP_2)
	v_lshlrev_b64 v[36:37], 1, v[2:3]
	v_xor_b32_e32 v2, v149, v146
	v_add_co_u32 v36, s22, s38, v36
	s_delay_alu instid0(VALU_DEP_1) | instskip(SKIP_3) | instid1(VALU_DEP_1)
	v_add_co_ci_u32_e64 v37, s22, s39, v37, s22
	global_store_b16 v[36:37], v2, off
	s_or_b32 exec_lo, exec_lo, s23
	v_cmp_lt_u32_e64 s22, v53, v145
	s_and_saveexec_b32 s24, s22
	s_cbranch_execnz .LBB1776_188
.LBB1776_203:                           ;   in Loop: Header=BB1776_103 Depth=2
	s_or_b32 exec_lo, exec_lo, s24
	v_cmp_lt_u32_e64 s23, v54, v145
	s_delay_alu instid0(VALU_DEP_1)
	s_and_saveexec_b32 s25, s23
	s_cbranch_execz .LBB1776_189
.LBB1776_204:                           ;   in Loop: Header=BB1776_103 Depth=2
	ds_load_u16 v146, v79 offset:3584
	s_waitcnt lgkmcnt(0)
	v_cmp_ne_u16_e64 s24, 0x8000, v146
	s_delay_alu instid0(VALU_DEP_1) | instskip(SKIP_1) | instid1(VALU_DEP_2)
	v_cndmask_b32_e64 v2, 0x7fff, v146, s24
	v_cmp_gt_i16_e64 s24, 0, v146
	v_and_b32_e32 v2, 0xffff, v2
	s_delay_alu instid0(VALU_DEP_2) | instskip(NEXT) | instid1(VALU_DEP_2)
	v_cndmask_b32_e64 v149, 0x7fff, 0, s24
	v_lshrrev_b32_e32 v2, s48, v2
	s_delay_alu instid0(VALU_DEP_1) | instskip(NEXT) | instid1(VALU_DEP_1)
	v_and_b32_e32 v2, s55, v2
	v_lshlrev_b32_e32 v2, 2, v2
	ds_load_b32 v2, v2
	s_waitcnt lgkmcnt(0)
	v_add_nc_u32_e32 v2, v2, v54
	s_delay_alu instid0(VALU_DEP_1) | instskip(SKIP_1) | instid1(VALU_DEP_2)
	v_lshlrev_b64 v[36:37], 1, v[2:3]
	v_xor_b32_e32 v2, v149, v146
	v_add_co_u32 v36, s24, s38, v36
	s_delay_alu instid0(VALU_DEP_1) | instskip(SKIP_3) | instid1(VALU_DEP_1)
	v_add_co_ci_u32_e64 v37, s24, s39, v37, s24
	global_store_b16 v[36:37], v2, off
	s_or_b32 exec_lo, exec_lo, s25
	v_cmp_lt_u32_e64 s24, v55, v145
	s_and_saveexec_b32 s26, s24
	s_cbranch_execnz .LBB1776_190
.LBB1776_205:                           ;   in Loop: Header=BB1776_103 Depth=2
	s_or_b32 exec_lo, exec_lo, s26
	v_cmp_lt_u32_e64 s25, v56, v145
	s_delay_alu instid0(VALU_DEP_1)
	s_and_saveexec_b32 s27, s25
	s_cbranch_execz .LBB1776_191
.LBB1776_206:                           ;   in Loop: Header=BB1776_103 Depth=2
	ds_load_u16 v146, v79 offset:4608
	s_waitcnt lgkmcnt(0)
	v_cmp_ne_u16_e64 s26, 0x8000, v146
	s_delay_alu instid0(VALU_DEP_1) | instskip(SKIP_1) | instid1(VALU_DEP_2)
	v_cndmask_b32_e64 v2, 0x7fff, v146, s26
	v_cmp_gt_i16_e64 s26, 0, v146
	v_and_b32_e32 v2, 0xffff, v2
	s_delay_alu instid0(VALU_DEP_2) | instskip(NEXT) | instid1(VALU_DEP_2)
	v_cndmask_b32_e64 v149, 0x7fff, 0, s26
	v_lshrrev_b32_e32 v2, s48, v2
	s_delay_alu instid0(VALU_DEP_1) | instskip(NEXT) | instid1(VALU_DEP_1)
	v_and_b32_e32 v2, s55, v2
	v_lshlrev_b32_e32 v2, 2, v2
	ds_load_b32 v2, v2
	s_waitcnt lgkmcnt(0)
	v_add_nc_u32_e32 v2, v2, v56
	s_delay_alu instid0(VALU_DEP_1) | instskip(SKIP_1) | instid1(VALU_DEP_2)
	v_lshlrev_b64 v[36:37], 1, v[2:3]
	v_xor_b32_e32 v2, v149, v146
	v_add_co_u32 v36, s26, s38, v36
	s_delay_alu instid0(VALU_DEP_1) | instskip(SKIP_3) | instid1(VALU_DEP_1)
	v_add_co_ci_u32_e64 v37, s26, s39, v37, s26
	global_store_b16 v[36:37], v2, off
	s_or_b32 exec_lo, exec_lo, s27
	v_cmp_lt_u32_e64 s26, v57, v145
	s_and_saveexec_b32 s28, s26
	s_cbranch_execnz .LBB1776_192
.LBB1776_207:                           ;   in Loop: Header=BB1776_103 Depth=2
	s_or_b32 exec_lo, exec_lo, s28
	v_cmp_lt_u32_e64 s27, v58, v145
	s_delay_alu instid0(VALU_DEP_1)
	s_and_saveexec_b32 s29, s27
	s_cbranch_execz .LBB1776_193
.LBB1776_208:                           ;   in Loop: Header=BB1776_103 Depth=2
	ds_load_u16 v146, v79 offset:5632
	s_waitcnt lgkmcnt(0)
	v_cmp_ne_u16_e64 s28, 0x8000, v146
	s_delay_alu instid0(VALU_DEP_1) | instskip(SKIP_1) | instid1(VALU_DEP_2)
	v_cndmask_b32_e64 v2, 0x7fff, v146, s28
	v_cmp_gt_i16_e64 s28, 0, v146
	v_and_b32_e32 v2, 0xffff, v2
	s_delay_alu instid0(VALU_DEP_2) | instskip(NEXT) | instid1(VALU_DEP_2)
	v_cndmask_b32_e64 v149, 0x7fff, 0, s28
	v_lshrrev_b32_e32 v2, s48, v2
	s_delay_alu instid0(VALU_DEP_1) | instskip(NEXT) | instid1(VALU_DEP_1)
	v_and_b32_e32 v2, s55, v2
	v_lshlrev_b32_e32 v2, 2, v2
	ds_load_b32 v2, v2
	s_waitcnt lgkmcnt(0)
	v_add_nc_u32_e32 v2, v2, v58
	s_delay_alu instid0(VALU_DEP_1) | instskip(SKIP_1) | instid1(VALU_DEP_2)
	v_lshlrev_b64 v[36:37], 1, v[2:3]
	v_xor_b32_e32 v2, v149, v146
	v_add_co_u32 v36, s28, s38, v36
	s_delay_alu instid0(VALU_DEP_1) | instskip(SKIP_3) | instid1(VALU_DEP_1)
	v_add_co_ci_u32_e64 v37, s28, s39, v37, s28
	global_store_b16 v[36:37], v2, off
	s_or_b32 exec_lo, exec_lo, s29
	v_cmp_lt_u32_e64 s28, v59, v145
	s_and_saveexec_b32 s30, s28
	s_cbranch_execnz .LBB1776_194
.LBB1776_209:                           ;   in Loop: Header=BB1776_103 Depth=2
	s_or_b32 exec_lo, exec_lo, s30
	v_cmp_lt_u32_e64 s29, v60, v145
	s_delay_alu instid0(VALU_DEP_1)
	s_and_saveexec_b32 s31, s29
	s_cbranch_execz .LBB1776_195
.LBB1776_210:                           ;   in Loop: Header=BB1776_103 Depth=2
	ds_load_u16 v146, v79 offset:6656
	s_waitcnt lgkmcnt(0)
	v_cmp_ne_u16_e64 s30, 0x8000, v146
	s_delay_alu instid0(VALU_DEP_1) | instskip(SKIP_1) | instid1(VALU_DEP_2)
	v_cndmask_b32_e64 v2, 0x7fff, v146, s30
	v_cmp_gt_i16_e64 s30, 0, v146
	v_and_b32_e32 v2, 0xffff, v2
	s_delay_alu instid0(VALU_DEP_2) | instskip(NEXT) | instid1(VALU_DEP_2)
	v_cndmask_b32_e64 v149, 0x7fff, 0, s30
	v_lshrrev_b32_e32 v2, s48, v2
	s_delay_alu instid0(VALU_DEP_1) | instskip(NEXT) | instid1(VALU_DEP_1)
	v_and_b32_e32 v2, s55, v2
	v_lshlrev_b32_e32 v2, 2, v2
	ds_load_b32 v2, v2
	s_waitcnt lgkmcnt(0)
	v_add_nc_u32_e32 v2, v2, v60
	s_delay_alu instid0(VALU_DEP_1) | instskip(SKIP_1) | instid1(VALU_DEP_2)
	v_lshlrev_b64 v[36:37], 1, v[2:3]
	v_xor_b32_e32 v2, v149, v146
	v_add_co_u32 v36, s30, s38, v36
	s_delay_alu instid0(VALU_DEP_1) | instskip(SKIP_3) | instid1(VALU_DEP_1)
	v_add_co_ci_u32_e64 v37, s30, s39, v37, s30
	global_store_b16 v[36:37], v2, off
	s_or_b32 exec_lo, exec_lo, s31
	v_cmp_lt_u32_e64 s30, v61, v145
	s_and_saveexec_b32 s33, s30
	s_cbranch_execnz .LBB1776_196
.LBB1776_211:                           ;   in Loop: Header=BB1776_103 Depth=2
	s_or_b32 exec_lo, exec_lo, s33
	v_cmp_lt_u32_e64 s31, v63, v145
	s_delay_alu instid0(VALU_DEP_1)
	s_and_saveexec_b32 s58, s31
	s_cbranch_execz .LBB1776_213
.LBB1776_212:                           ;   in Loop: Header=BB1776_103 Depth=2
	ds_load_u16 v146, v79 offset:7680
	s_waitcnt lgkmcnt(0)
	v_cmp_ne_u16_e64 s33, 0x8000, v146
	s_delay_alu instid0(VALU_DEP_1) | instskip(SKIP_1) | instid1(VALU_DEP_2)
	v_cndmask_b32_e64 v2, 0x7fff, v146, s33
	v_cmp_gt_i16_e64 s33, 0, v146
	v_and_b32_e32 v2, 0xffff, v2
	s_delay_alu instid0(VALU_DEP_2) | instskip(NEXT) | instid1(VALU_DEP_2)
	v_cndmask_b32_e64 v149, 0x7fff, 0, s33
	v_lshrrev_b32_e32 v2, s48, v2
	s_delay_alu instid0(VALU_DEP_1) | instskip(NEXT) | instid1(VALU_DEP_1)
	v_and_b32_e32 v2, s55, v2
	v_lshlrev_b32_e32 v2, 2, v2
	ds_load_b32 v2, v2
	s_waitcnt lgkmcnt(0)
	v_add_nc_u32_e32 v2, v2, v63
	s_delay_alu instid0(VALU_DEP_1) | instskip(SKIP_1) | instid1(VALU_DEP_2)
	v_lshlrev_b64 v[36:37], 1, v[2:3]
	v_xor_b32_e32 v2, v149, v146
	v_add_co_u32 v36, s33, s38, v36
	s_delay_alu instid0(VALU_DEP_1)
	v_add_co_ci_u32_e64 v37, s33, s39, v37, s33
	global_store_b16 v[36:37], v2, off
.LBB1776_213:                           ;   in Loop: Header=BB1776_103 Depth=2
	s_or_b32 exec_lo, exec_lo, s58
	s_lshl_b64 s[58:59], s[34:35], 3
	s_delay_alu instid0(SALU_CYCLE_1) | instskip(NEXT) | instid1(VALU_DEP_1)
	v_add_co_u32 v36, s33, v107, s58
	v_add_co_ci_u32_e64 v37, s33, s59, v108, s33
	v_cmp_lt_u32_e64 s33, v106, v145
	s_delay_alu instid0(VALU_DEP_1) | instskip(NEXT) | instid1(SALU_CYCLE_1)
	s_and_saveexec_b32 s34, s33
	s_xor_b32 s33, exec_lo, s34
	s_cbranch_execz .LBB1776_245
; %bb.214:                              ;   in Loop: Header=BB1776_103 Depth=2
	global_load_b64 v[34:35], v[36:37], off
	s_or_b32 exec_lo, exec_lo, s33
	s_delay_alu instid0(SALU_CYCLE_1)
	s_mov_b32 s34, exec_lo
	v_cmpx_lt_u32_e64 v109, v145
	s_cbranch_execnz .LBB1776_246
.LBB1776_215:                           ;   in Loop: Header=BB1776_103 Depth=2
	s_or_b32 exec_lo, exec_lo, s34
	s_delay_alu instid0(SALU_CYCLE_1)
	s_mov_b32 s34, exec_lo
	v_cmpx_lt_u32_e64 v110, v145
	s_cbranch_execz .LBB1776_247
.LBB1776_216:                           ;   in Loop: Header=BB1776_103 Depth=2
	global_load_b64 v[30:31], v[36:37], off offset:512
	s_or_b32 exec_lo, exec_lo, s34
	s_delay_alu instid0(SALU_CYCLE_1)
	s_mov_b32 s34, exec_lo
	v_cmpx_lt_u32_e64 v111, v145
	s_cbranch_execnz .LBB1776_248
.LBB1776_217:                           ;   in Loop: Header=BB1776_103 Depth=2
	s_or_b32 exec_lo, exec_lo, s34
	s_delay_alu instid0(SALU_CYCLE_1)
	s_mov_b32 s34, exec_lo
	v_cmpx_lt_u32_e64 v112, v145
	s_cbranch_execz .LBB1776_249
.LBB1776_218:                           ;   in Loop: Header=BB1776_103 Depth=2
	global_load_b64 v[26:27], v[36:37], off offset:1024
	s_or_b32 exec_lo, exec_lo, s34
	s_delay_alu instid0(SALU_CYCLE_1)
	s_mov_b32 s34, exec_lo
	v_cmpx_lt_u32_e64 v113, v145
	s_cbranch_execnz .LBB1776_250
.LBB1776_219:                           ;   in Loop: Header=BB1776_103 Depth=2
	s_or_b32 exec_lo, exec_lo, s34
	s_delay_alu instid0(SALU_CYCLE_1)
	s_mov_b32 s34, exec_lo
	v_cmpx_lt_u32_e64 v114, v145
	s_cbranch_execz .LBB1776_251
.LBB1776_220:                           ;   in Loop: Header=BB1776_103 Depth=2
	global_load_b64 v[22:23], v[36:37], off offset:1536
	s_or_b32 exec_lo, exec_lo, s34
	s_delay_alu instid0(SALU_CYCLE_1)
	s_mov_b32 s34, exec_lo
	v_cmpx_lt_u32_e64 v115, v145
	s_cbranch_execnz .LBB1776_252
.LBB1776_221:                           ;   in Loop: Header=BB1776_103 Depth=2
	s_or_b32 exec_lo, exec_lo, s34
	s_delay_alu instid0(SALU_CYCLE_1)
	s_mov_b32 s34, exec_lo
	v_cmpx_lt_u32_e64 v116, v145
	s_cbranch_execz .LBB1776_253
.LBB1776_222:                           ;   in Loop: Header=BB1776_103 Depth=2
	global_load_b64 v[18:19], v[36:37], off offset:2048
	s_or_b32 exec_lo, exec_lo, s34
	s_delay_alu instid0(SALU_CYCLE_1)
	s_mov_b32 s34, exec_lo
	v_cmpx_lt_u32_e64 v117, v145
	s_cbranch_execnz .LBB1776_254
.LBB1776_223:                           ;   in Loop: Header=BB1776_103 Depth=2
	s_or_b32 exec_lo, exec_lo, s34
	s_delay_alu instid0(SALU_CYCLE_1)
	s_mov_b32 s34, exec_lo
	v_cmpx_lt_u32_e64 v118, v145
	s_cbranch_execz .LBB1776_255
.LBB1776_224:                           ;   in Loop: Header=BB1776_103 Depth=2
	global_load_b64 v[14:15], v[36:37], off offset:2560
	s_or_b32 exec_lo, exec_lo, s34
	s_delay_alu instid0(SALU_CYCLE_1)
	s_mov_b32 s34, exec_lo
	v_cmpx_lt_u32_e64 v119, v145
	s_cbranch_execnz .LBB1776_256
.LBB1776_225:                           ;   in Loop: Header=BB1776_103 Depth=2
	s_or_b32 exec_lo, exec_lo, s34
	s_delay_alu instid0(SALU_CYCLE_1)
	s_mov_b32 s34, exec_lo
	v_cmpx_lt_u32_e64 v120, v145
	s_cbranch_execz .LBB1776_257
.LBB1776_226:                           ;   in Loop: Header=BB1776_103 Depth=2
	global_load_b64 v[10:11], v[36:37], off offset:3072
	s_or_b32 exec_lo, exec_lo, s34
	s_delay_alu instid0(SALU_CYCLE_1)
	s_mov_b32 s34, exec_lo
	v_cmpx_lt_u32_e64 v121, v145
	s_cbranch_execnz .LBB1776_258
.LBB1776_227:                           ;   in Loop: Header=BB1776_103 Depth=2
	s_or_b32 exec_lo, exec_lo, s34
	s_delay_alu instid0(SALU_CYCLE_1)
	s_mov_b32 s34, exec_lo
	v_cmpx_lt_u32_e64 v122, v145
	s_cbranch_execz .LBB1776_259
.LBB1776_228:                           ;   in Loop: Header=BB1776_103 Depth=2
	global_load_b64 v[6:7], v[36:37], off offset:3584
	s_or_b32 exec_lo, exec_lo, s34
	s_delay_alu instid0(SALU_CYCLE_1)
	s_mov_b32 s34, exec_lo
	v_cmpx_lt_u32_e64 v123, v145
	s_cbranch_execnz .LBB1776_260
.LBB1776_229:                           ;   in Loop: Header=BB1776_103 Depth=2
	s_or_b32 exec_lo, exec_lo, s34
	s_and_saveexec_b32 s34, vcc_lo
	s_cbranch_execz .LBB1776_261
.LBB1776_230:                           ;   in Loop: Header=BB1776_103 Depth=2
	v_add_nc_u32_e32 v2, v72, v78
	ds_load_u16 v2, v2 offset:1024
	s_waitcnt lgkmcnt(0)
	v_cmp_ne_u16_e64 s33, 0x8000, v2
	s_delay_alu instid0(VALU_DEP_1) | instskip(NEXT) | instid1(VALU_DEP_1)
	v_cndmask_b32_e64 v2, 0x7fff, v2, s33
	v_and_b32_e32 v2, 0xffff, v2
	s_delay_alu instid0(VALU_DEP_1) | instskip(NEXT) | instid1(VALU_DEP_1)
	v_lshrrev_b32_e32 v2, s48, v2
	v_and_b32_e32 v144, s55, v2
	s_or_b32 exec_lo, exec_lo, s34
	s_and_saveexec_b32 s34, s17
	s_cbranch_execnz .LBB1776_262
.LBB1776_231:                           ;   in Loop: Header=BB1776_103 Depth=2
	s_or_b32 exec_lo, exec_lo, s34
	s_and_saveexec_b32 s34, s18
	s_cbranch_execz .LBB1776_263
.LBB1776_232:                           ;   in Loop: Header=BB1776_103 Depth=2
	ds_load_u16 v2, v79 offset:1024
	s_waitcnt lgkmcnt(0)
	v_cmp_ne_u16_e64 s33, 0x8000, v2
	s_delay_alu instid0(VALU_DEP_1) | instskip(NEXT) | instid1(VALU_DEP_1)
	v_cndmask_b32_e64 v2, 0x7fff, v2, s33
	v_and_b32_e32 v2, 0xffff, v2
	s_delay_alu instid0(VALU_DEP_1) | instskip(NEXT) | instid1(VALU_DEP_1)
	v_lshrrev_b32_e32 v2, s48, v2
	v_and_b32_e32 v142, s55, v2
	s_or_b32 exec_lo, exec_lo, s34
	s_and_saveexec_b32 s34, s19
	s_cbranch_execnz .LBB1776_264
.LBB1776_233:                           ;   in Loop: Header=BB1776_103 Depth=2
	s_or_b32 exec_lo, exec_lo, s34
	s_and_saveexec_b32 s34, s20
	s_cbranch_execz .LBB1776_265
.LBB1776_234:                           ;   in Loop: Header=BB1776_103 Depth=2
	ds_load_u16 v2, v79 offset:2048
	s_waitcnt lgkmcnt(0)
	v_cmp_ne_u16_e64 s33, 0x8000, v2
	s_delay_alu instid0(VALU_DEP_1) | instskip(NEXT) | instid1(VALU_DEP_1)
	v_cndmask_b32_e64 v2, 0x7fff, v2, s33
	v_and_b32_e32 v2, 0xffff, v2
	s_delay_alu instid0(VALU_DEP_1) | instskip(NEXT) | instid1(VALU_DEP_1)
	v_lshrrev_b32_e32 v2, s48, v2
	v_and_b32_e32 v140, s55, v2
	s_or_b32 exec_lo, exec_lo, s34
	s_and_saveexec_b32 s34, s21
	s_cbranch_execnz .LBB1776_266
.LBB1776_235:                           ;   in Loop: Header=BB1776_103 Depth=2
	s_or_b32 exec_lo, exec_lo, s34
	s_and_saveexec_b32 s34, s22
	s_cbranch_execz .LBB1776_267
.LBB1776_236:                           ;   in Loop: Header=BB1776_103 Depth=2
	ds_load_u16 v2, v79 offset:3072
	s_waitcnt lgkmcnt(0)
	v_cmp_ne_u16_e64 s33, 0x8000, v2
	s_delay_alu instid0(VALU_DEP_1) | instskip(NEXT) | instid1(VALU_DEP_1)
	v_cndmask_b32_e64 v2, 0x7fff, v2, s33
	v_and_b32_e32 v2, 0xffff, v2
	s_delay_alu instid0(VALU_DEP_1) | instskip(NEXT) | instid1(VALU_DEP_1)
	v_lshrrev_b32_e32 v2, s48, v2
	v_and_b32_e32 v138, s55, v2
	s_or_b32 exec_lo, exec_lo, s34
	s_and_saveexec_b32 s34, s23
	s_cbranch_execnz .LBB1776_268
.LBB1776_237:                           ;   in Loop: Header=BB1776_103 Depth=2
	s_or_b32 exec_lo, exec_lo, s34
	s_and_saveexec_b32 s34, s24
	s_cbranch_execz .LBB1776_269
.LBB1776_238:                           ;   in Loop: Header=BB1776_103 Depth=2
	ds_load_u16 v2, v79 offset:4096
	s_waitcnt lgkmcnt(0)
	v_cmp_ne_u16_e64 s33, 0x8000, v2
	s_delay_alu instid0(VALU_DEP_1) | instskip(NEXT) | instid1(VALU_DEP_1)
	v_cndmask_b32_e64 v2, 0x7fff, v2, s33
	v_and_b32_e32 v2, 0xffff, v2
	s_delay_alu instid0(VALU_DEP_1) | instskip(NEXT) | instid1(VALU_DEP_1)
	v_lshrrev_b32_e32 v2, s48, v2
	v_and_b32_e32 v136, s55, v2
	s_or_b32 exec_lo, exec_lo, s34
	s_and_saveexec_b32 s34, s25
	s_cbranch_execnz .LBB1776_270
.LBB1776_239:                           ;   in Loop: Header=BB1776_103 Depth=2
	s_or_b32 exec_lo, exec_lo, s34
	s_and_saveexec_b32 s34, s26
	s_cbranch_execz .LBB1776_271
.LBB1776_240:                           ;   in Loop: Header=BB1776_103 Depth=2
	ds_load_u16 v2, v79 offset:5120
	s_waitcnt lgkmcnt(0)
	v_cmp_ne_u16_e64 s33, 0x8000, v2
	s_delay_alu instid0(VALU_DEP_1) | instskip(NEXT) | instid1(VALU_DEP_1)
	v_cndmask_b32_e64 v2, 0x7fff, v2, s33
	v_and_b32_e32 v2, 0xffff, v2
	s_delay_alu instid0(VALU_DEP_1) | instskip(NEXT) | instid1(VALU_DEP_1)
	v_lshrrev_b32_e32 v2, s48, v2
	v_and_b32_e32 v134, s55, v2
	s_or_b32 exec_lo, exec_lo, s34
	s_and_saveexec_b32 s34, s27
	s_cbranch_execnz .LBB1776_272
.LBB1776_241:                           ;   in Loop: Header=BB1776_103 Depth=2
	s_or_b32 exec_lo, exec_lo, s34
	s_and_saveexec_b32 s34, s28
	s_cbranch_execz .LBB1776_273
.LBB1776_242:                           ;   in Loop: Header=BB1776_103 Depth=2
	ds_load_u16 v2, v79 offset:6144
	s_waitcnt lgkmcnt(0)
	v_cmp_ne_u16_e64 s33, 0x8000, v2
	s_delay_alu instid0(VALU_DEP_1) | instskip(NEXT) | instid1(VALU_DEP_1)
	v_cndmask_b32_e64 v2, 0x7fff, v2, s33
	v_and_b32_e32 v2, 0xffff, v2
	s_delay_alu instid0(VALU_DEP_1) | instskip(NEXT) | instid1(VALU_DEP_1)
	v_lshrrev_b32_e32 v2, s48, v2
	v_and_b32_e32 v132, s55, v2
	s_or_b32 exec_lo, exec_lo, s34
	s_and_saveexec_b32 s34, s29
	s_cbranch_execnz .LBB1776_274
.LBB1776_243:                           ;   in Loop: Header=BB1776_103 Depth=2
	s_or_b32 exec_lo, exec_lo, s34
	s_and_saveexec_b32 s34, s30
	s_cbranch_execz .LBB1776_275
.LBB1776_244:                           ;   in Loop: Header=BB1776_103 Depth=2
	ds_load_u16 v2, v79 offset:7168
	s_waitcnt lgkmcnt(0)
	v_cmp_ne_u16_e64 s33, 0x8000, v2
	s_delay_alu instid0(VALU_DEP_1) | instskip(NEXT) | instid1(VALU_DEP_1)
	v_cndmask_b32_e64 v2, 0x7fff, v2, s33
	v_and_b32_e32 v2, 0xffff, v2
	s_delay_alu instid0(VALU_DEP_1) | instskip(NEXT) | instid1(VALU_DEP_1)
	v_lshrrev_b32_e32 v2, s48, v2
	v_and_b32_e32 v130, s55, v2
	s_or_b32 exec_lo, exec_lo, s34
	s_and_saveexec_b32 s34, s31
	s_cbranch_execnz .LBB1776_276
	s_branch .LBB1776_277
.LBB1776_245:                           ;   in Loop: Header=BB1776_103 Depth=2
	s_or_b32 exec_lo, exec_lo, s33
	s_delay_alu instid0(SALU_CYCLE_1)
	s_mov_b32 s34, exec_lo
	v_cmpx_lt_u32_e64 v109, v145
	s_cbranch_execz .LBB1776_215
.LBB1776_246:                           ;   in Loop: Header=BB1776_103 Depth=2
	global_load_b64 v[32:33], v[36:37], off offset:256
	s_or_b32 exec_lo, exec_lo, s34
	s_delay_alu instid0(SALU_CYCLE_1)
	s_mov_b32 s34, exec_lo
	v_cmpx_lt_u32_e64 v110, v145
	s_cbranch_execnz .LBB1776_216
.LBB1776_247:                           ;   in Loop: Header=BB1776_103 Depth=2
	s_or_b32 exec_lo, exec_lo, s34
	s_delay_alu instid0(SALU_CYCLE_1)
	s_mov_b32 s34, exec_lo
	v_cmpx_lt_u32_e64 v111, v145
	s_cbranch_execz .LBB1776_217
.LBB1776_248:                           ;   in Loop: Header=BB1776_103 Depth=2
	global_load_b64 v[28:29], v[36:37], off offset:768
	s_or_b32 exec_lo, exec_lo, s34
	s_delay_alu instid0(SALU_CYCLE_1)
	s_mov_b32 s34, exec_lo
	v_cmpx_lt_u32_e64 v112, v145
	s_cbranch_execnz .LBB1776_218
.LBB1776_249:                           ;   in Loop: Header=BB1776_103 Depth=2
	s_or_b32 exec_lo, exec_lo, s34
	s_delay_alu instid0(SALU_CYCLE_1)
	s_mov_b32 s34, exec_lo
	v_cmpx_lt_u32_e64 v113, v145
	s_cbranch_execz .LBB1776_219
.LBB1776_250:                           ;   in Loop: Header=BB1776_103 Depth=2
	global_load_b64 v[24:25], v[36:37], off offset:1280
	s_or_b32 exec_lo, exec_lo, s34
	s_delay_alu instid0(SALU_CYCLE_1)
	s_mov_b32 s34, exec_lo
	v_cmpx_lt_u32_e64 v114, v145
	s_cbranch_execnz .LBB1776_220
.LBB1776_251:                           ;   in Loop: Header=BB1776_103 Depth=2
	s_or_b32 exec_lo, exec_lo, s34
	s_delay_alu instid0(SALU_CYCLE_1)
	s_mov_b32 s34, exec_lo
	v_cmpx_lt_u32_e64 v115, v145
	s_cbranch_execz .LBB1776_221
.LBB1776_252:                           ;   in Loop: Header=BB1776_103 Depth=2
	global_load_b64 v[20:21], v[36:37], off offset:1792
	s_or_b32 exec_lo, exec_lo, s34
	s_delay_alu instid0(SALU_CYCLE_1)
	s_mov_b32 s34, exec_lo
	v_cmpx_lt_u32_e64 v116, v145
	s_cbranch_execnz .LBB1776_222
.LBB1776_253:                           ;   in Loop: Header=BB1776_103 Depth=2
	s_or_b32 exec_lo, exec_lo, s34
	s_delay_alu instid0(SALU_CYCLE_1)
	s_mov_b32 s34, exec_lo
	v_cmpx_lt_u32_e64 v117, v145
	s_cbranch_execz .LBB1776_223
.LBB1776_254:                           ;   in Loop: Header=BB1776_103 Depth=2
	global_load_b64 v[16:17], v[36:37], off offset:2304
	s_or_b32 exec_lo, exec_lo, s34
	s_delay_alu instid0(SALU_CYCLE_1)
	s_mov_b32 s34, exec_lo
	v_cmpx_lt_u32_e64 v118, v145
	s_cbranch_execnz .LBB1776_224
.LBB1776_255:                           ;   in Loop: Header=BB1776_103 Depth=2
	s_or_b32 exec_lo, exec_lo, s34
	s_delay_alu instid0(SALU_CYCLE_1)
	s_mov_b32 s34, exec_lo
	v_cmpx_lt_u32_e64 v119, v145
	s_cbranch_execz .LBB1776_225
.LBB1776_256:                           ;   in Loop: Header=BB1776_103 Depth=2
	global_load_b64 v[12:13], v[36:37], off offset:2816
	s_or_b32 exec_lo, exec_lo, s34
	s_delay_alu instid0(SALU_CYCLE_1)
	s_mov_b32 s34, exec_lo
	v_cmpx_lt_u32_e64 v120, v145
	s_cbranch_execnz .LBB1776_226
.LBB1776_257:                           ;   in Loop: Header=BB1776_103 Depth=2
	s_or_b32 exec_lo, exec_lo, s34
	s_delay_alu instid0(SALU_CYCLE_1)
	s_mov_b32 s34, exec_lo
	v_cmpx_lt_u32_e64 v121, v145
	s_cbranch_execz .LBB1776_227
.LBB1776_258:                           ;   in Loop: Header=BB1776_103 Depth=2
	global_load_b64 v[8:9], v[36:37], off offset:3328
	s_or_b32 exec_lo, exec_lo, s34
	s_delay_alu instid0(SALU_CYCLE_1)
	s_mov_b32 s34, exec_lo
	v_cmpx_lt_u32_e64 v122, v145
	s_cbranch_execnz .LBB1776_228
.LBB1776_259:                           ;   in Loop: Header=BB1776_103 Depth=2
	s_or_b32 exec_lo, exec_lo, s34
	s_delay_alu instid0(SALU_CYCLE_1)
	s_mov_b32 s34, exec_lo
	v_cmpx_lt_u32_e64 v123, v145
	s_cbranch_execz .LBB1776_229
.LBB1776_260:                           ;   in Loop: Header=BB1776_103 Depth=2
	global_load_b64 v[4:5], v[36:37], off offset:3840
	s_or_b32 exec_lo, exec_lo, s34
	s_and_saveexec_b32 s34, vcc_lo
	s_cbranch_execnz .LBB1776_230
.LBB1776_261:                           ;   in Loop: Header=BB1776_103 Depth=2
	s_or_b32 exec_lo, exec_lo, s34
	s_and_saveexec_b32 s34, s17
	s_cbranch_execz .LBB1776_231
.LBB1776_262:                           ;   in Loop: Header=BB1776_103 Depth=2
	ds_load_u16 v2, v79 offset:512
	s_waitcnt lgkmcnt(0)
	v_cmp_ne_u16_e64 s33, 0x8000, v2
	s_delay_alu instid0(VALU_DEP_1) | instskip(NEXT) | instid1(VALU_DEP_1)
	v_cndmask_b32_e64 v2, 0x7fff, v2, s33
	v_and_b32_e32 v2, 0xffff, v2
	s_delay_alu instid0(VALU_DEP_1) | instskip(NEXT) | instid1(VALU_DEP_1)
	v_lshrrev_b32_e32 v2, s48, v2
	v_and_b32_e32 v143, s55, v2
	s_or_b32 exec_lo, exec_lo, s34
	s_and_saveexec_b32 s34, s18
	s_cbranch_execnz .LBB1776_232
.LBB1776_263:                           ;   in Loop: Header=BB1776_103 Depth=2
	s_or_b32 exec_lo, exec_lo, s34
	s_and_saveexec_b32 s34, s19
	s_cbranch_execz .LBB1776_233
.LBB1776_264:                           ;   in Loop: Header=BB1776_103 Depth=2
	ds_load_u16 v2, v79 offset:1536
	s_waitcnt lgkmcnt(0)
	v_cmp_ne_u16_e64 s33, 0x8000, v2
	s_delay_alu instid0(VALU_DEP_1) | instskip(NEXT) | instid1(VALU_DEP_1)
	v_cndmask_b32_e64 v2, 0x7fff, v2, s33
	v_and_b32_e32 v2, 0xffff, v2
	s_delay_alu instid0(VALU_DEP_1) | instskip(NEXT) | instid1(VALU_DEP_1)
	v_lshrrev_b32_e32 v2, s48, v2
	v_and_b32_e32 v141, s55, v2
	s_or_b32 exec_lo, exec_lo, s34
	s_and_saveexec_b32 s34, s20
	s_cbranch_execnz .LBB1776_234
.LBB1776_265:                           ;   in Loop: Header=BB1776_103 Depth=2
	s_or_b32 exec_lo, exec_lo, s34
	s_and_saveexec_b32 s34, s21
	s_cbranch_execz .LBB1776_235
.LBB1776_266:                           ;   in Loop: Header=BB1776_103 Depth=2
	ds_load_u16 v2, v79 offset:2560
	s_waitcnt lgkmcnt(0)
	v_cmp_ne_u16_e64 s33, 0x8000, v2
	s_delay_alu instid0(VALU_DEP_1) | instskip(NEXT) | instid1(VALU_DEP_1)
	v_cndmask_b32_e64 v2, 0x7fff, v2, s33
	v_and_b32_e32 v2, 0xffff, v2
	s_delay_alu instid0(VALU_DEP_1) | instskip(NEXT) | instid1(VALU_DEP_1)
	v_lshrrev_b32_e32 v2, s48, v2
	v_and_b32_e32 v139, s55, v2
	s_or_b32 exec_lo, exec_lo, s34
	s_and_saveexec_b32 s34, s22
	s_cbranch_execnz .LBB1776_236
.LBB1776_267:                           ;   in Loop: Header=BB1776_103 Depth=2
	s_or_b32 exec_lo, exec_lo, s34
	s_and_saveexec_b32 s34, s23
	s_cbranch_execz .LBB1776_237
.LBB1776_268:                           ;   in Loop: Header=BB1776_103 Depth=2
	ds_load_u16 v2, v79 offset:3584
	s_waitcnt lgkmcnt(0)
	v_cmp_ne_u16_e64 s33, 0x8000, v2
	s_delay_alu instid0(VALU_DEP_1) | instskip(NEXT) | instid1(VALU_DEP_1)
	v_cndmask_b32_e64 v2, 0x7fff, v2, s33
	v_and_b32_e32 v2, 0xffff, v2
	s_delay_alu instid0(VALU_DEP_1) | instskip(NEXT) | instid1(VALU_DEP_1)
	v_lshrrev_b32_e32 v2, s48, v2
	v_and_b32_e32 v137, s55, v2
	s_or_b32 exec_lo, exec_lo, s34
	s_and_saveexec_b32 s34, s24
	s_cbranch_execnz .LBB1776_238
.LBB1776_269:                           ;   in Loop: Header=BB1776_103 Depth=2
	s_or_b32 exec_lo, exec_lo, s34
	s_and_saveexec_b32 s34, s25
	s_cbranch_execz .LBB1776_239
.LBB1776_270:                           ;   in Loop: Header=BB1776_103 Depth=2
	ds_load_u16 v2, v79 offset:4608
	s_waitcnt lgkmcnt(0)
	v_cmp_ne_u16_e64 s33, 0x8000, v2
	s_delay_alu instid0(VALU_DEP_1) | instskip(NEXT) | instid1(VALU_DEP_1)
	v_cndmask_b32_e64 v2, 0x7fff, v2, s33
	v_and_b32_e32 v2, 0xffff, v2
	s_delay_alu instid0(VALU_DEP_1) | instskip(NEXT) | instid1(VALU_DEP_1)
	v_lshrrev_b32_e32 v2, s48, v2
	v_and_b32_e32 v135, s55, v2
	s_or_b32 exec_lo, exec_lo, s34
	s_and_saveexec_b32 s34, s26
	s_cbranch_execnz .LBB1776_240
.LBB1776_271:                           ;   in Loop: Header=BB1776_103 Depth=2
	s_or_b32 exec_lo, exec_lo, s34
	s_and_saveexec_b32 s34, s27
	s_cbranch_execz .LBB1776_241
.LBB1776_272:                           ;   in Loop: Header=BB1776_103 Depth=2
	ds_load_u16 v2, v79 offset:5632
	s_waitcnt lgkmcnt(0)
	v_cmp_ne_u16_e64 s33, 0x8000, v2
	s_delay_alu instid0(VALU_DEP_1) | instskip(NEXT) | instid1(VALU_DEP_1)
	v_cndmask_b32_e64 v2, 0x7fff, v2, s33
	v_and_b32_e32 v2, 0xffff, v2
	s_delay_alu instid0(VALU_DEP_1) | instskip(NEXT) | instid1(VALU_DEP_1)
	v_lshrrev_b32_e32 v2, s48, v2
	v_and_b32_e32 v133, s55, v2
	s_or_b32 exec_lo, exec_lo, s34
	s_and_saveexec_b32 s34, s28
	s_cbranch_execnz .LBB1776_242
.LBB1776_273:                           ;   in Loop: Header=BB1776_103 Depth=2
	s_or_b32 exec_lo, exec_lo, s34
	s_and_saveexec_b32 s34, s29
	s_cbranch_execz .LBB1776_243
.LBB1776_274:                           ;   in Loop: Header=BB1776_103 Depth=2
	ds_load_u16 v2, v79 offset:6656
	s_waitcnt lgkmcnt(0)
	v_cmp_ne_u16_e64 s33, 0x8000, v2
	s_delay_alu instid0(VALU_DEP_1) | instskip(NEXT) | instid1(VALU_DEP_1)
	v_cndmask_b32_e64 v2, 0x7fff, v2, s33
	v_and_b32_e32 v2, 0xffff, v2
	s_delay_alu instid0(VALU_DEP_1) | instskip(NEXT) | instid1(VALU_DEP_1)
	v_lshrrev_b32_e32 v2, s48, v2
	v_and_b32_e32 v131, s55, v2
	s_or_b32 exec_lo, exec_lo, s34
	s_and_saveexec_b32 s34, s30
	s_cbranch_execnz .LBB1776_244
.LBB1776_275:                           ;   in Loop: Header=BB1776_103 Depth=2
	s_or_b32 exec_lo, exec_lo, s34
	s_and_saveexec_b32 s34, s31
	s_cbranch_execz .LBB1776_277
.LBB1776_276:                           ;   in Loop: Header=BB1776_103 Depth=2
	ds_load_u16 v2, v79 offset:7680
	s_waitcnt lgkmcnt(0)
	v_cmp_ne_u16_e64 s33, 0x8000, v2
	s_delay_alu instid0(VALU_DEP_1) | instskip(NEXT) | instid1(VALU_DEP_1)
	v_cndmask_b32_e64 v2, 0x7fff, v2, s33
	v_and_b32_e32 v2, 0xffff, v2
	s_delay_alu instid0(VALU_DEP_1) | instskip(NEXT) | instid1(VALU_DEP_1)
	v_lshrrev_b32_e32 v2, s48, v2
	v_and_b32_e32 v129, s55, v2
.LBB1776_277:                           ;   in Loop: Header=BB1776_103 Depth=2
	s_or_b32 exec_lo, exec_lo, s34
	v_lshlrev_b32_e32 v2, 3, v168
	v_lshlrev_b32_e32 v36, 3, v164
	s_waitcnt vmcnt(0)
	s_waitcnt_vscnt null, 0x0
	s_barrier
	buffer_gl0_inv
	ds_store_b64 v2, v[34:35] offset:1024
	v_lshlrev_b32_e32 v2, 3, v160
	v_lshlrev_b32_e32 v37, 3, v156
	;; [unrolled: 1-line block ×4, first 2 shown]
	ds_store_b64 v36, v[32:33] offset:1024
	ds_store_b64 v2, v[30:31] offset:1024
	;; [unrolled: 1-line block ×5, first 2 shown]
	v_lshlrev_b32_e32 v2, 3, v152
	v_lshlrev_b32_e32 v36, 3, v151
	;; [unrolled: 1-line block ×5, first 2 shown]
	ds_store_b64 v2, v[22:23] offset:1024
	ds_store_b64 v36, v[20:21] offset:1024
	;; [unrolled: 1-line block ×5, first 2 shown]
	v_lshlrev_b32_e32 v2, 3, v40
	v_lshlrev_b32_e32 v36, 3, v39
	;; [unrolled: 1-line block ×5, first 2 shown]
	ds_store_b64 v2, v[12:13] offset:1024
	ds_store_b64 v36, v[10:11] offset:1024
	ds_store_b64 v37, v[8:9] offset:1024
	ds_store_b64 v39, v[6:7] offset:1024
	ds_store_b64 v40, v[4:5] offset:1024
	s_waitcnt lgkmcnt(0)
	s_barrier
	buffer_gl0_inv
	s_and_saveexec_b32 s33, vcc_lo
	s_cbranch_execz .LBB1776_293
; %bb.278:                              ;   in Loop: Header=BB1776_103 Depth=2
	v_lshlrev_b32_e32 v2, 2, v144
	ds_load_b32 v2, v2
	ds_load_b64 v[36:37], v80 offset:1024
	s_waitcnt lgkmcnt(1)
	v_add_nc_u32_e32 v2, v2, v1
	s_delay_alu instid0(VALU_DEP_1) | instskip(NEXT) | instid1(VALU_DEP_1)
	v_lshlrev_b64 v[39:40], 3, v[2:3]
	v_add_co_u32 v39, vcc_lo, s44, v39
	s_delay_alu instid0(VALU_DEP_2)
	v_add_co_ci_u32_e32 v40, vcc_lo, s45, v40, vcc_lo
	s_waitcnt lgkmcnt(0)
	global_store_b64 v[39:40], v[36:37], off
	s_or_b32 exec_lo, exec_lo, s33
	s_and_saveexec_b32 s33, s17
	s_cbranch_execnz .LBB1776_294
.LBB1776_279:                           ;   in Loop: Header=BB1776_103 Depth=2
	s_or_b32 exec_lo, exec_lo, s33
	s_and_saveexec_b32 s17, s18
	s_cbranch_execz .LBB1776_295
.LBB1776_280:                           ;   in Loop: Header=BB1776_103 Depth=2
	v_lshlrev_b32_e32 v2, 2, v142
	v_add_nc_u32_e32 v36, v79, v81
	ds_load_b32 v2, v2
	ds_load_b64 v[36:37], v36 offset:4096
	s_waitcnt lgkmcnt(1)
	v_add_nc_u32_e32 v2, v2, v46
	s_delay_alu instid0(VALU_DEP_1) | instskip(NEXT) | instid1(VALU_DEP_1)
	v_lshlrev_b64 v[39:40], 3, v[2:3]
	v_add_co_u32 v39, vcc_lo, s44, v39
	s_delay_alu instid0(VALU_DEP_2)
	v_add_co_ci_u32_e32 v40, vcc_lo, s45, v40, vcc_lo
	s_waitcnt lgkmcnt(0)
	global_store_b64 v[39:40], v[36:37], off
	s_or_b32 exec_lo, exec_lo, s17
	s_and_saveexec_b32 s17, s19
	s_cbranch_execnz .LBB1776_296
.LBB1776_281:                           ;   in Loop: Header=BB1776_103 Depth=2
	s_or_b32 exec_lo, exec_lo, s17
	s_and_saveexec_b32 s17, s20
	s_cbranch_execz .LBB1776_297
.LBB1776_282:                           ;   in Loop: Header=BB1776_103 Depth=2
	v_lshlrev_b32_e32 v2, 2, v140
	v_add_nc_u32_e32 v36, v79, v81
	ds_load_b32 v2, v2
	ds_load_b64 v[36:37], v36 offset:8192
	s_waitcnt lgkmcnt(1)
	v_add_nc_u32_e32 v2, v2, v51
	s_delay_alu instid0(VALU_DEP_1) | instskip(NEXT) | instid1(VALU_DEP_1)
	v_lshlrev_b64 v[39:40], 3, v[2:3]
	v_add_co_u32 v39, vcc_lo, s44, v39
	s_delay_alu instid0(VALU_DEP_2)
	v_add_co_ci_u32_e32 v40, vcc_lo, s45, v40, vcc_lo
	s_waitcnt lgkmcnt(0)
	global_store_b64 v[39:40], v[36:37], off
	s_or_b32 exec_lo, exec_lo, s17
	s_and_saveexec_b32 s17, s21
	s_cbranch_execnz .LBB1776_298
.LBB1776_283:                           ;   in Loop: Header=BB1776_103 Depth=2
	s_or_b32 exec_lo, exec_lo, s17
	s_and_saveexec_b32 s17, s22
	s_cbranch_execz .LBB1776_299
.LBB1776_284:                           ;   in Loop: Header=BB1776_103 Depth=2
	v_lshlrev_b32_e32 v2, 2, v138
	v_add_nc_u32_e32 v36, v79, v81
	ds_load_b32 v2, v2
	ds_load_b64 v[36:37], v36 offset:12288
	s_waitcnt lgkmcnt(1)
	v_add_nc_u32_e32 v2, v2, v53
	s_delay_alu instid0(VALU_DEP_1) | instskip(NEXT) | instid1(VALU_DEP_1)
	v_lshlrev_b64 v[39:40], 3, v[2:3]
	v_add_co_u32 v39, vcc_lo, s44, v39
	s_delay_alu instid0(VALU_DEP_2)
	v_add_co_ci_u32_e32 v40, vcc_lo, s45, v40, vcc_lo
	s_waitcnt lgkmcnt(0)
	global_store_b64 v[39:40], v[36:37], off
	s_or_b32 exec_lo, exec_lo, s17
	s_and_saveexec_b32 s17, s23
	s_cbranch_execnz .LBB1776_300
.LBB1776_285:                           ;   in Loop: Header=BB1776_103 Depth=2
	s_or_b32 exec_lo, exec_lo, s17
	s_and_saveexec_b32 s17, s24
	s_cbranch_execz .LBB1776_301
.LBB1776_286:                           ;   in Loop: Header=BB1776_103 Depth=2
	v_lshlrev_b32_e32 v2, 2, v136
	v_add_nc_u32_e32 v36, v79, v81
	ds_load_b32 v2, v2
	ds_load_b64 v[36:37], v36 offset:16384
	s_waitcnt lgkmcnt(1)
	v_add_nc_u32_e32 v2, v2, v55
	s_delay_alu instid0(VALU_DEP_1) | instskip(NEXT) | instid1(VALU_DEP_1)
	v_lshlrev_b64 v[39:40], 3, v[2:3]
	v_add_co_u32 v39, vcc_lo, s44, v39
	s_delay_alu instid0(VALU_DEP_2)
	v_add_co_ci_u32_e32 v40, vcc_lo, s45, v40, vcc_lo
	s_waitcnt lgkmcnt(0)
	global_store_b64 v[39:40], v[36:37], off
	s_or_b32 exec_lo, exec_lo, s17
	s_and_saveexec_b32 s17, s25
	s_cbranch_execnz .LBB1776_302
.LBB1776_287:                           ;   in Loop: Header=BB1776_103 Depth=2
	s_or_b32 exec_lo, exec_lo, s17
	s_and_saveexec_b32 s17, s26
	s_cbranch_execz .LBB1776_303
.LBB1776_288:                           ;   in Loop: Header=BB1776_103 Depth=2
	v_lshlrev_b32_e32 v2, 2, v134
	v_add_nc_u32_e32 v36, v79, v81
	ds_load_b32 v2, v2
	ds_load_b64 v[36:37], v36 offset:20480
	s_waitcnt lgkmcnt(1)
	v_add_nc_u32_e32 v2, v2, v57
	s_delay_alu instid0(VALU_DEP_1) | instskip(NEXT) | instid1(VALU_DEP_1)
	v_lshlrev_b64 v[39:40], 3, v[2:3]
	v_add_co_u32 v39, vcc_lo, s44, v39
	s_delay_alu instid0(VALU_DEP_2)
	v_add_co_ci_u32_e32 v40, vcc_lo, s45, v40, vcc_lo
	s_waitcnt lgkmcnt(0)
	global_store_b64 v[39:40], v[36:37], off
	s_or_b32 exec_lo, exec_lo, s17
	s_and_saveexec_b32 s17, s27
	s_cbranch_execnz .LBB1776_304
.LBB1776_289:                           ;   in Loop: Header=BB1776_103 Depth=2
	s_or_b32 exec_lo, exec_lo, s17
	s_and_saveexec_b32 s17, s28
	s_cbranch_execz .LBB1776_305
.LBB1776_290:                           ;   in Loop: Header=BB1776_103 Depth=2
	v_lshlrev_b32_e32 v2, 2, v132
	v_add_nc_u32_e32 v36, v79, v81
	ds_load_b32 v2, v2
	ds_load_b64 v[36:37], v36 offset:24576
	s_waitcnt lgkmcnt(1)
	v_add_nc_u32_e32 v2, v2, v59
	s_delay_alu instid0(VALU_DEP_1) | instskip(NEXT) | instid1(VALU_DEP_1)
	v_lshlrev_b64 v[39:40], 3, v[2:3]
	v_add_co_u32 v39, vcc_lo, s44, v39
	s_delay_alu instid0(VALU_DEP_2)
	v_add_co_ci_u32_e32 v40, vcc_lo, s45, v40, vcc_lo
	s_waitcnt lgkmcnt(0)
	global_store_b64 v[39:40], v[36:37], off
	s_or_b32 exec_lo, exec_lo, s17
	s_and_saveexec_b32 s17, s29
	s_cbranch_execnz .LBB1776_306
.LBB1776_291:                           ;   in Loop: Header=BB1776_103 Depth=2
	s_or_b32 exec_lo, exec_lo, s17
	s_and_saveexec_b32 s17, s30
	s_cbranch_execz .LBB1776_307
.LBB1776_292:                           ;   in Loop: Header=BB1776_103 Depth=2
	v_lshlrev_b32_e32 v2, 2, v130
	v_add_nc_u32_e32 v36, v79, v81
	ds_load_b32 v2, v2
	ds_load_b64 v[36:37], v36 offset:28672
	s_waitcnt lgkmcnt(1)
	v_add_nc_u32_e32 v2, v2, v61
	s_delay_alu instid0(VALU_DEP_1) | instskip(NEXT) | instid1(VALU_DEP_1)
	v_lshlrev_b64 v[39:40], 3, v[2:3]
	v_add_co_u32 v39, vcc_lo, s44, v39
	s_delay_alu instid0(VALU_DEP_2)
	v_add_co_ci_u32_e32 v40, vcc_lo, s45, v40, vcc_lo
	s_waitcnt lgkmcnt(0)
	global_store_b64 v[39:40], v[36:37], off
	s_or_b32 exec_lo, exec_lo, s17
	s_and_saveexec_b32 s17, s31
	s_cbranch_execnz .LBB1776_308
	s_branch .LBB1776_309
.LBB1776_293:                           ;   in Loop: Header=BB1776_103 Depth=2
	s_or_b32 exec_lo, exec_lo, s33
	s_and_saveexec_b32 s33, s17
	s_cbranch_execz .LBB1776_279
.LBB1776_294:                           ;   in Loop: Header=BB1776_103 Depth=2
	v_lshlrev_b32_e32 v2, 2, v143
	v_add_nc_u32_e32 v36, v79, v81
	ds_load_b32 v2, v2
	ds_load_b64 v[36:37], v36 offset:2048
	s_waitcnt lgkmcnt(1)
	v_add_nc_u32_e32 v2, v2, v45
	s_delay_alu instid0(VALU_DEP_1) | instskip(NEXT) | instid1(VALU_DEP_1)
	v_lshlrev_b64 v[39:40], 3, v[2:3]
	v_add_co_u32 v39, vcc_lo, s44, v39
	s_delay_alu instid0(VALU_DEP_2)
	v_add_co_ci_u32_e32 v40, vcc_lo, s45, v40, vcc_lo
	s_waitcnt lgkmcnt(0)
	global_store_b64 v[39:40], v[36:37], off
	s_or_b32 exec_lo, exec_lo, s33
	s_and_saveexec_b32 s17, s18
	s_cbranch_execnz .LBB1776_280
.LBB1776_295:                           ;   in Loop: Header=BB1776_103 Depth=2
	s_or_b32 exec_lo, exec_lo, s17
	s_and_saveexec_b32 s17, s19
	s_cbranch_execz .LBB1776_281
.LBB1776_296:                           ;   in Loop: Header=BB1776_103 Depth=2
	v_lshlrev_b32_e32 v2, 2, v141
	v_add_nc_u32_e32 v36, v79, v81
	ds_load_b32 v2, v2
	ds_load_b64 v[36:37], v36 offset:6144
	s_waitcnt lgkmcnt(1)
	v_add_nc_u32_e32 v2, v2, v47
	s_delay_alu instid0(VALU_DEP_1) | instskip(NEXT) | instid1(VALU_DEP_1)
	v_lshlrev_b64 v[39:40], 3, v[2:3]
	v_add_co_u32 v39, vcc_lo, s44, v39
	s_delay_alu instid0(VALU_DEP_2)
	v_add_co_ci_u32_e32 v40, vcc_lo, s45, v40, vcc_lo
	s_waitcnt lgkmcnt(0)
	global_store_b64 v[39:40], v[36:37], off
	s_or_b32 exec_lo, exec_lo, s17
	s_and_saveexec_b32 s17, s20
	s_cbranch_execnz .LBB1776_282
.LBB1776_297:                           ;   in Loop: Header=BB1776_103 Depth=2
	s_or_b32 exec_lo, exec_lo, s17
	s_and_saveexec_b32 s17, s21
	s_cbranch_execz .LBB1776_283
.LBB1776_298:                           ;   in Loop: Header=BB1776_103 Depth=2
	v_lshlrev_b32_e32 v2, 2, v139
	v_add_nc_u32_e32 v36, v79, v81
	ds_load_b32 v2, v2
	ds_load_b64 v[36:37], v36 offset:10240
	s_waitcnt lgkmcnt(1)
	v_add_nc_u32_e32 v2, v2, v52
	s_delay_alu instid0(VALU_DEP_1) | instskip(NEXT) | instid1(VALU_DEP_1)
	v_lshlrev_b64 v[39:40], 3, v[2:3]
	v_add_co_u32 v39, vcc_lo, s44, v39
	s_delay_alu instid0(VALU_DEP_2)
	v_add_co_ci_u32_e32 v40, vcc_lo, s45, v40, vcc_lo
	s_waitcnt lgkmcnt(0)
	global_store_b64 v[39:40], v[36:37], off
	s_or_b32 exec_lo, exec_lo, s17
	s_and_saveexec_b32 s17, s22
	s_cbranch_execnz .LBB1776_284
.LBB1776_299:                           ;   in Loop: Header=BB1776_103 Depth=2
	s_or_b32 exec_lo, exec_lo, s17
	s_and_saveexec_b32 s17, s23
	s_cbranch_execz .LBB1776_285
.LBB1776_300:                           ;   in Loop: Header=BB1776_103 Depth=2
	v_lshlrev_b32_e32 v2, 2, v137
	v_add_nc_u32_e32 v36, v79, v81
	ds_load_b32 v2, v2
	ds_load_b64 v[36:37], v36 offset:14336
	s_waitcnt lgkmcnt(1)
	v_add_nc_u32_e32 v2, v2, v54
	s_delay_alu instid0(VALU_DEP_1) | instskip(NEXT) | instid1(VALU_DEP_1)
	v_lshlrev_b64 v[39:40], 3, v[2:3]
	v_add_co_u32 v39, vcc_lo, s44, v39
	s_delay_alu instid0(VALU_DEP_2)
	v_add_co_ci_u32_e32 v40, vcc_lo, s45, v40, vcc_lo
	s_waitcnt lgkmcnt(0)
	global_store_b64 v[39:40], v[36:37], off
	s_or_b32 exec_lo, exec_lo, s17
	s_and_saveexec_b32 s17, s24
	s_cbranch_execnz .LBB1776_286
.LBB1776_301:                           ;   in Loop: Header=BB1776_103 Depth=2
	s_or_b32 exec_lo, exec_lo, s17
	s_and_saveexec_b32 s17, s25
	s_cbranch_execz .LBB1776_287
.LBB1776_302:                           ;   in Loop: Header=BB1776_103 Depth=2
	v_lshlrev_b32_e32 v2, 2, v135
	v_add_nc_u32_e32 v36, v79, v81
	ds_load_b32 v2, v2
	ds_load_b64 v[36:37], v36 offset:18432
	s_waitcnt lgkmcnt(1)
	v_add_nc_u32_e32 v2, v2, v56
	s_delay_alu instid0(VALU_DEP_1) | instskip(NEXT) | instid1(VALU_DEP_1)
	v_lshlrev_b64 v[39:40], 3, v[2:3]
	v_add_co_u32 v39, vcc_lo, s44, v39
	s_delay_alu instid0(VALU_DEP_2)
	v_add_co_ci_u32_e32 v40, vcc_lo, s45, v40, vcc_lo
	s_waitcnt lgkmcnt(0)
	global_store_b64 v[39:40], v[36:37], off
	s_or_b32 exec_lo, exec_lo, s17
	s_and_saveexec_b32 s17, s26
	s_cbranch_execnz .LBB1776_288
.LBB1776_303:                           ;   in Loop: Header=BB1776_103 Depth=2
	s_or_b32 exec_lo, exec_lo, s17
	s_and_saveexec_b32 s17, s27
	s_cbranch_execz .LBB1776_289
.LBB1776_304:                           ;   in Loop: Header=BB1776_103 Depth=2
	v_lshlrev_b32_e32 v2, 2, v133
	v_add_nc_u32_e32 v36, v79, v81
	ds_load_b32 v2, v2
	ds_load_b64 v[36:37], v36 offset:22528
	s_waitcnt lgkmcnt(1)
	v_add_nc_u32_e32 v2, v2, v58
	s_delay_alu instid0(VALU_DEP_1) | instskip(NEXT) | instid1(VALU_DEP_1)
	v_lshlrev_b64 v[39:40], 3, v[2:3]
	v_add_co_u32 v39, vcc_lo, s44, v39
	s_delay_alu instid0(VALU_DEP_2)
	v_add_co_ci_u32_e32 v40, vcc_lo, s45, v40, vcc_lo
	s_waitcnt lgkmcnt(0)
	global_store_b64 v[39:40], v[36:37], off
	s_or_b32 exec_lo, exec_lo, s17
	s_and_saveexec_b32 s17, s28
	s_cbranch_execnz .LBB1776_290
.LBB1776_305:                           ;   in Loop: Header=BB1776_103 Depth=2
	s_or_b32 exec_lo, exec_lo, s17
	s_and_saveexec_b32 s17, s29
	s_cbranch_execz .LBB1776_291
.LBB1776_306:                           ;   in Loop: Header=BB1776_103 Depth=2
	v_lshlrev_b32_e32 v2, 2, v131
	v_add_nc_u32_e32 v36, v79, v81
	ds_load_b32 v2, v2
	ds_load_b64 v[36:37], v36 offset:26624
	s_waitcnt lgkmcnt(1)
	v_add_nc_u32_e32 v2, v2, v60
	s_delay_alu instid0(VALU_DEP_1) | instskip(NEXT) | instid1(VALU_DEP_1)
	v_lshlrev_b64 v[39:40], 3, v[2:3]
	v_add_co_u32 v39, vcc_lo, s44, v39
	s_delay_alu instid0(VALU_DEP_2)
	v_add_co_ci_u32_e32 v40, vcc_lo, s45, v40, vcc_lo
	s_waitcnt lgkmcnt(0)
	global_store_b64 v[39:40], v[36:37], off
	s_or_b32 exec_lo, exec_lo, s17
	s_and_saveexec_b32 s17, s30
	s_cbranch_execnz .LBB1776_292
.LBB1776_307:                           ;   in Loop: Header=BB1776_103 Depth=2
	s_or_b32 exec_lo, exec_lo, s17
	s_and_saveexec_b32 s17, s31
	s_cbranch_execz .LBB1776_309
.LBB1776_308:                           ;   in Loop: Header=BB1776_103 Depth=2
	v_lshlrev_b32_e32 v2, 2, v129
	v_add_nc_u32_e32 v36, v79, v81
	ds_load_b32 v2, v2
	ds_load_b64 v[36:37], v36 offset:30720
	s_waitcnt lgkmcnt(1)
	v_add_nc_u32_e32 v2, v2, v63
	s_delay_alu instid0(VALU_DEP_1) | instskip(NEXT) | instid1(VALU_DEP_1)
	v_lshlrev_b64 v[39:40], 3, v[2:3]
	v_add_co_u32 v39, vcc_lo, s44, v39
	s_delay_alu instid0(VALU_DEP_2)
	v_add_co_ci_u32_e32 v40, vcc_lo, s45, v40, vcc_lo
	s_waitcnt lgkmcnt(0)
	global_store_b64 v[39:40], v[36:37], off
.LBB1776_309:                           ;   in Loop: Header=BB1776_103 Depth=2
	s_or_b32 exec_lo, exec_lo, s17
	s_waitcnt_vscnt null, 0x0
	s_barrier
	buffer_gl0_inv
	s_and_saveexec_b32 s17, s2
	s_cbranch_execz .LBB1776_102
; %bb.310:                              ;   in Loop: Header=BB1776_103 Depth=2
	ds_load_b32 v2, v44
	s_waitcnt lgkmcnt(0)
	v_add_nc_u32_e32 v2, v2, v38
	ds_store_b32 v44, v2
	s_branch .LBB1776_102
.LBB1776_311:                           ;   in Loop: Header=BB1776_17 Depth=1
	s_waitcnt lgkmcnt(0)
	s_mov_b32 s0, 0
	s_barrier
.LBB1776_312:                           ;   in Loop: Header=BB1776_17 Depth=1
	s_and_b32 vcc_lo, exec_lo, s0
	s_cbranch_vccz .LBB1776_606
; %bb.313:                              ;   in Loop: Header=BB1776_17 Depth=1
	s_mov_b32 s8, s54
	s_mov_b32 s34, s52
	s_barrier
	buffer_gl0_inv
                                        ; implicit-def: $vgpr20
                                        ; implicit-def: $vgpr2
                                        ; implicit-def: $vgpr6
                                        ; implicit-def: $vgpr7
                                        ; implicit-def: $vgpr8
                                        ; implicit-def: $vgpr9
                                        ; implicit-def: $vgpr10
                                        ; implicit-def: $vgpr11
                                        ; implicit-def: $vgpr12
                                        ; implicit-def: $vgpr13
                                        ; implicit-def: $vgpr14
                                        ; implicit-def: $vgpr15
                                        ; implicit-def: $vgpr16
                                        ; implicit-def: $vgpr17
                                        ; implicit-def: $vgpr18
                                        ; implicit-def: $vgpr19
	s_branch .LBB1776_315
.LBB1776_314:                           ;   in Loop: Header=BB1776_315 Depth=2
	s_or_b32 exec_lo, exec_lo, s0
	s_addk_i32 s8, 0xf000
	s_cmp_ge_u32 s9, s53
	s_mov_b32 s34, s9
	s_cbranch_scc1 .LBB1776_385
.LBB1776_315:                           ;   Parent Loop BB1776_17 Depth=1
                                        ; =>  This Inner Loop Header: Depth=2
	s_add_i32 s9, s34, 0x1000
	s_delay_alu instid0(SALU_CYCLE_1)
	s_cmp_gt_u32 s9, s53
	s_cbranch_scc1 .LBB1776_318
; %bb.316:                              ;   in Loop: Header=BB1776_315 Depth=2
	s_mov_b32 s1, 0
	s_mov_b32 s0, s34
	s_delay_alu instid0(SALU_CYCLE_1) | instskip(NEXT) | instid1(SALU_CYCLE_1)
	s_lshl_b64 s[10:11], s[0:1], 1
	v_add_co_u32 v4, vcc_lo, v82, s10
	v_add_co_ci_u32_e32 v5, vcc_lo, s11, v83, vcc_lo
	s_movk_i32 s11, 0x1000
	s_waitcnt vmcnt(0)
	s_delay_alu instid0(VALU_DEP_2) | instskip(NEXT) | instid1(VALU_DEP_2)
	v_add_co_u32 v36, vcc_lo, 0x1000, v4
	v_add_co_ci_u32_e32 v37, vcc_lo, 0, v5, vcc_lo
	s_clause 0xe
	global_load_u16 v22, v[4:5], off
	global_load_u16 v23, v[4:5], off offset:512
	global_load_u16 v24, v[4:5], off offset:1024
	;; [unrolled: 1-line block ×7, first 2 shown]
	global_load_u16 v30, v[36:37], off
	global_load_u16 v31, v[36:37], off offset:512
	global_load_u16 v32, v[36:37], off offset:1024
	;; [unrolled: 1-line block ×6, first 2 shown]
	v_add_co_u32 v4, vcc_lo, 0x1e00, v4
	v_add_co_ci_u32_e32 v5, vcc_lo, 0, v5, vcc_lo
	s_mov_b32 s10, -1
	s_cbranch_execz .LBB1776_319
; %bb.317:                              ;   in Loop: Header=BB1776_315 Depth=2
                                        ; implicit-def: $vgpr19
                                        ; implicit-def: $vgpr18
                                        ; implicit-def: $vgpr17
                                        ; implicit-def: $vgpr16
                                        ; implicit-def: $vgpr15
                                        ; implicit-def: $vgpr14
                                        ; implicit-def: $vgpr13
                                        ; implicit-def: $vgpr12
                                        ; implicit-def: $vgpr11
                                        ; implicit-def: $vgpr10
                                        ; implicit-def: $vgpr9
                                        ; implicit-def: $vgpr8
                                        ; implicit-def: $vgpr7
                                        ; implicit-def: $vgpr6
                                        ; implicit-def: $vgpr2
                                        ; implicit-def: $vgpr20
	v_mov_b32_e32 v21, s8
	s_and_saveexec_b32 s0, s10
	s_cbranch_execnz .LBB1776_338
	s_branch .LBB1776_339
.LBB1776_318:                           ;   in Loop: Header=BB1776_315 Depth=2
	s_mov_b32 s10, 0
                                        ; implicit-def: $sgpr11
                                        ; implicit-def: $vgpr22
                                        ; implicit-def: $vgpr23
                                        ; implicit-def: $vgpr24
                                        ; implicit-def: $vgpr25
                                        ; implicit-def: $vgpr26
                                        ; implicit-def: $vgpr27
                                        ; implicit-def: $vgpr28
                                        ; implicit-def: $vgpr29
                                        ; implicit-def: $vgpr30
                                        ; implicit-def: $vgpr31
                                        ; implicit-def: $vgpr32
                                        ; implicit-def: $vgpr33
                                        ; implicit-def: $vgpr34
                                        ; implicit-def: $vgpr35
                                        ; implicit-def: $vgpr36
                                        ; implicit-def: $vgpr4_vgpr5
.LBB1776_319:                           ;   in Loop: Header=BB1776_315 Depth=2
	s_lshl_b64 s[0:1], s[34:35], 1
	s_mov_b32 s11, exec_lo
	s_add_u32 s0, s38, s0
	s_addc_u32 s1, s39, s1
	v_cmpx_gt_u32_e64 s8, v1
	s_cbranch_execz .LBB1776_371
; %bb.320:                              ;   in Loop: Header=BB1776_315 Depth=2
	global_load_u16 v19, v95, s[0:1]
	s_or_b32 exec_lo, exec_lo, s11
	s_delay_alu instid0(SALU_CYCLE_1)
	s_mov_b32 s11, exec_lo
	v_cmpx_gt_u32_e64 s8, v45
	s_cbranch_execnz .LBB1776_372
.LBB1776_321:                           ;   in Loop: Header=BB1776_315 Depth=2
	s_or_b32 exec_lo, exec_lo, s11
	s_delay_alu instid0(SALU_CYCLE_1)
	s_mov_b32 s11, exec_lo
	v_cmpx_gt_u32_e64 s8, v46
	s_cbranch_execz .LBB1776_373
.LBB1776_322:                           ;   in Loop: Header=BB1776_315 Depth=2
	global_load_u16 v17, v95, s[0:1] offset:1024
	s_or_b32 exec_lo, exec_lo, s11
	s_delay_alu instid0(SALU_CYCLE_1)
	s_mov_b32 s11, exec_lo
	v_cmpx_gt_u32_e64 s8, v47
	s_cbranch_execnz .LBB1776_374
.LBB1776_323:                           ;   in Loop: Header=BB1776_315 Depth=2
	s_or_b32 exec_lo, exec_lo, s11
	s_delay_alu instid0(SALU_CYCLE_1)
	s_mov_b32 s11, exec_lo
	v_cmpx_gt_u32_e64 s8, v51
	s_cbranch_execz .LBB1776_375
.LBB1776_324:                           ;   in Loop: Header=BB1776_315 Depth=2
	global_load_u16 v15, v95, s[0:1] offset:2048
	s_or_b32 exec_lo, exec_lo, s11
	s_delay_alu instid0(SALU_CYCLE_1)
	s_mov_b32 s11, exec_lo
	v_cmpx_gt_u32_e64 s8, v52
	s_cbranch_execnz .LBB1776_376
.LBB1776_325:                           ;   in Loop: Header=BB1776_315 Depth=2
	s_or_b32 exec_lo, exec_lo, s11
	s_delay_alu instid0(SALU_CYCLE_1)
	s_mov_b32 s11, exec_lo
	v_cmpx_gt_u32_e64 s8, v53
	s_cbranch_execz .LBB1776_377
.LBB1776_326:                           ;   in Loop: Header=BB1776_315 Depth=2
	global_load_u16 v13, v95, s[0:1] offset:3072
	s_or_b32 exec_lo, exec_lo, s11
	s_delay_alu instid0(SALU_CYCLE_1)
	s_mov_b32 s11, exec_lo
	v_cmpx_gt_u32_e64 s8, v54
	s_cbranch_execnz .LBB1776_378
.LBB1776_327:                           ;   in Loop: Header=BB1776_315 Depth=2
	s_or_b32 exec_lo, exec_lo, s11
	s_delay_alu instid0(SALU_CYCLE_1)
	s_mov_b32 s11, exec_lo
	v_cmpx_gt_u32_e64 s8, v55
	s_cbranch_execz .LBB1776_379
.LBB1776_328:                           ;   in Loop: Header=BB1776_315 Depth=2
	global_load_u16 v11, v96, s[0:1]
	s_or_b32 exec_lo, exec_lo, s11
	s_delay_alu instid0(SALU_CYCLE_1)
	s_mov_b32 s11, exec_lo
	v_cmpx_gt_u32_e64 s8, v56
	s_cbranch_execnz .LBB1776_380
.LBB1776_329:                           ;   in Loop: Header=BB1776_315 Depth=2
	s_or_b32 exec_lo, exec_lo, s11
	s_delay_alu instid0(SALU_CYCLE_1)
	s_mov_b32 s11, exec_lo
	v_cmpx_gt_u32_e64 s8, v57
	s_cbranch_execz .LBB1776_381
.LBB1776_330:                           ;   in Loop: Header=BB1776_315 Depth=2
	global_load_u16 v9, v98, s[0:1]
	s_or_b32 exec_lo, exec_lo, s11
	s_delay_alu instid0(SALU_CYCLE_1)
	s_mov_b32 s11, exec_lo
	v_cmpx_gt_u32_e64 s8, v58
	s_cbranch_execnz .LBB1776_382
.LBB1776_331:                           ;   in Loop: Header=BB1776_315 Depth=2
	s_or_b32 exec_lo, exec_lo, s11
	s_delay_alu instid0(SALU_CYCLE_1)
	s_mov_b32 s11, exec_lo
	v_cmpx_gt_u32_e64 s8, v59
	s_cbranch_execz .LBB1776_383
.LBB1776_332:                           ;   in Loop: Header=BB1776_315 Depth=2
	global_load_u16 v7, v100, s[0:1]
	s_or_b32 exec_lo, exec_lo, s11
	s_delay_alu instid0(SALU_CYCLE_1)
	s_mov_b32 s11, exec_lo
	v_cmpx_gt_u32_e64 s8, v60
	s_cbranch_execnz .LBB1776_384
.LBB1776_333:                           ;   in Loop: Header=BB1776_315 Depth=2
	s_or_b32 exec_lo, exec_lo, s11
	s_delay_alu instid0(SALU_CYCLE_1)
	s_mov_b32 s11, exec_lo
	v_cmpx_gt_u32_e64 s8, v61
	s_cbranch_execz .LBB1776_335
.LBB1776_334:                           ;   in Loop: Header=BB1776_315 Depth=2
	global_load_u16 v2, v102, s[0:1]
.LBB1776_335:                           ;   in Loop: Header=BB1776_315 Depth=2
	s_or_b32 exec_lo, exec_lo, s11
	s_delay_alu instid0(SALU_CYCLE_1)
	s_mov_b32 s12, exec_lo
                                        ; implicit-def: $sgpr11
                                        ; implicit-def: $vgpr4_vgpr5
	v_cmpx_gt_u32_e64 s8, v63
; %bb.336:                              ;   in Loop: Header=BB1776_315 Depth=2
	v_add_co_u32 v4, s0, s0, v103
	s_delay_alu instid0(VALU_DEP_1)
	v_add_co_ci_u32_e64 v5, null, s1, 0, s0
	s_sub_i32 s11, s53, s34
	s_or_b32 s10, s10, exec_lo
                                        ; implicit-def: $vgpr20
; %bb.337:                              ;   in Loop: Header=BB1776_315 Depth=2
	s_or_b32 exec_lo, exec_lo, s12
	s_waitcnt vmcnt(0)
	v_dual_mov_b32 v22, v19 :: v_dual_mov_b32 v23, v18
	v_dual_mov_b32 v24, v17 :: v_dual_mov_b32 v25, v16
	;; [unrolled: 1-line block ×8, first 2 shown]
	s_and_saveexec_b32 s0, s10
	s_cbranch_execz .LBB1776_339
.LBB1776_338:                           ;   in Loop: Header=BB1776_315 Depth=2
	global_load_u16 v20, v[4:5], off
	s_waitcnt vmcnt(1)
	v_dual_mov_b32 v21, s11 :: v_dual_mov_b32 v2, v36
	v_dual_mov_b32 v6, v35 :: v_dual_mov_b32 v7, v34
	;; [unrolled: 1-line block ×8, first 2 shown]
.LBB1776_339:                           ;   in Loop: Header=BB1776_315 Depth=2
	s_or_b32 exec_lo, exec_lo, s0
	s_delay_alu instid0(SALU_CYCLE_1)
	s_mov_b32 s0, exec_lo
	v_cmpx_lt_u32_e64 v1, v21
	s_cbranch_execz .LBB1776_355
; %bb.340:                              ;   in Loop: Header=BB1776_315 Depth=2
	v_cmp_gt_i16_e32 vcc_lo, 0, v19
	v_lshlrev_b32_e32 v5, 2, v48
	v_cndmask_b32_e64 v4, 0x7fff, 0, vcc_lo
	s_delay_alu instid0(VALU_DEP_1) | instskip(NEXT) | instid1(VALU_DEP_1)
	v_xor_b32_e32 v4, v4, v19
	v_cmp_ne_u16_e32 vcc_lo, 0x8000, v4
	v_cndmask_b32_e32 v4, 0x7fff, v4, vcc_lo
	s_delay_alu instid0(VALU_DEP_1) | instskip(NEXT) | instid1(VALU_DEP_1)
	v_and_b32_e32 v4, 0xffff, v4
	v_lshrrev_b32_e32 v4, s48, v4
	s_delay_alu instid0(VALU_DEP_1) | instskip(NEXT) | instid1(VALU_DEP_1)
	v_and_b32_e32 v4, s55, v4
	v_lshl_or_b32 v4, v4, 4, v5
	ds_add_u32 v4, v94
	s_or_b32 exec_lo, exec_lo, s0
	s_delay_alu instid0(SALU_CYCLE_1)
	s_mov_b32 s0, exec_lo
	v_cmpx_lt_u32_e64 v45, v21
	s_cbranch_execnz .LBB1776_356
.LBB1776_341:                           ;   in Loop: Header=BB1776_315 Depth=2
	s_or_b32 exec_lo, exec_lo, s0
	s_delay_alu instid0(SALU_CYCLE_1)
	s_mov_b32 s0, exec_lo
	v_cmpx_lt_u32_e64 v46, v21
	s_cbranch_execz .LBB1776_357
.LBB1776_342:                           ;   in Loop: Header=BB1776_315 Depth=2
	v_cmp_gt_i16_e32 vcc_lo, 0, v17
	v_lshlrev_b32_e32 v5, 2, v48
	v_cndmask_b32_e64 v4, 0x7fff, 0, vcc_lo
	s_delay_alu instid0(VALU_DEP_1) | instskip(NEXT) | instid1(VALU_DEP_1)
	v_xor_b32_e32 v4, v4, v17
	v_cmp_ne_u16_e32 vcc_lo, 0x8000, v4
	v_cndmask_b32_e32 v4, 0x7fff, v4, vcc_lo
	s_delay_alu instid0(VALU_DEP_1) | instskip(NEXT) | instid1(VALU_DEP_1)
	v_and_b32_e32 v4, 0xffff, v4
	v_lshrrev_b32_e32 v4, s48, v4
	s_delay_alu instid0(VALU_DEP_1) | instskip(NEXT) | instid1(VALU_DEP_1)
	v_and_b32_e32 v4, s55, v4
	v_lshl_or_b32 v4, v4, 4, v5
	ds_add_u32 v4, v94
	s_or_b32 exec_lo, exec_lo, s0
	s_delay_alu instid0(SALU_CYCLE_1)
	s_mov_b32 s0, exec_lo
	v_cmpx_lt_u32_e64 v47, v21
	s_cbranch_execnz .LBB1776_358
.LBB1776_343:                           ;   in Loop: Header=BB1776_315 Depth=2
	s_or_b32 exec_lo, exec_lo, s0
	s_delay_alu instid0(SALU_CYCLE_1)
	s_mov_b32 s0, exec_lo
	v_cmpx_lt_u32_e64 v51, v21
	s_cbranch_execz .LBB1776_359
.LBB1776_344:                           ;   in Loop: Header=BB1776_315 Depth=2
	v_cmp_gt_i16_e32 vcc_lo, 0, v15
	v_lshlrev_b32_e32 v5, 2, v48
	v_cndmask_b32_e64 v4, 0x7fff, 0, vcc_lo
	s_delay_alu instid0(VALU_DEP_1) | instskip(NEXT) | instid1(VALU_DEP_1)
	v_xor_b32_e32 v4, v4, v15
	v_cmp_ne_u16_e32 vcc_lo, 0x8000, v4
	v_cndmask_b32_e32 v4, 0x7fff, v4, vcc_lo
	s_delay_alu instid0(VALU_DEP_1) | instskip(NEXT) | instid1(VALU_DEP_1)
	v_and_b32_e32 v4, 0xffff, v4
	v_lshrrev_b32_e32 v4, s48, v4
	s_delay_alu instid0(VALU_DEP_1) | instskip(NEXT) | instid1(VALU_DEP_1)
	v_and_b32_e32 v4, s55, v4
	v_lshl_or_b32 v4, v4, 4, v5
	ds_add_u32 v4, v94
	s_or_b32 exec_lo, exec_lo, s0
	s_delay_alu instid0(SALU_CYCLE_1)
	s_mov_b32 s0, exec_lo
	v_cmpx_lt_u32_e64 v52, v21
	s_cbranch_execnz .LBB1776_360
.LBB1776_345:                           ;   in Loop: Header=BB1776_315 Depth=2
	s_or_b32 exec_lo, exec_lo, s0
	s_delay_alu instid0(SALU_CYCLE_1)
	s_mov_b32 s0, exec_lo
	v_cmpx_lt_u32_e64 v53, v21
	s_cbranch_execz .LBB1776_361
.LBB1776_346:                           ;   in Loop: Header=BB1776_315 Depth=2
	v_cmp_gt_i16_e32 vcc_lo, 0, v13
	v_lshlrev_b32_e32 v5, 2, v48
	v_cndmask_b32_e64 v4, 0x7fff, 0, vcc_lo
	s_delay_alu instid0(VALU_DEP_1) | instskip(NEXT) | instid1(VALU_DEP_1)
	v_xor_b32_e32 v4, v4, v13
	v_cmp_ne_u16_e32 vcc_lo, 0x8000, v4
	v_cndmask_b32_e32 v4, 0x7fff, v4, vcc_lo
	s_delay_alu instid0(VALU_DEP_1) | instskip(NEXT) | instid1(VALU_DEP_1)
	v_and_b32_e32 v4, 0xffff, v4
	v_lshrrev_b32_e32 v4, s48, v4
	s_delay_alu instid0(VALU_DEP_1) | instskip(NEXT) | instid1(VALU_DEP_1)
	v_and_b32_e32 v4, s55, v4
	v_lshl_or_b32 v4, v4, 4, v5
	ds_add_u32 v4, v94
	s_or_b32 exec_lo, exec_lo, s0
	s_delay_alu instid0(SALU_CYCLE_1)
	s_mov_b32 s0, exec_lo
	v_cmpx_lt_u32_e64 v54, v21
	s_cbranch_execnz .LBB1776_362
.LBB1776_347:                           ;   in Loop: Header=BB1776_315 Depth=2
	s_or_b32 exec_lo, exec_lo, s0
	s_delay_alu instid0(SALU_CYCLE_1)
	s_mov_b32 s0, exec_lo
	v_cmpx_lt_u32_e64 v55, v21
	s_cbranch_execz .LBB1776_363
.LBB1776_348:                           ;   in Loop: Header=BB1776_315 Depth=2
	v_cmp_gt_i16_e32 vcc_lo, 0, v11
	v_lshlrev_b32_e32 v5, 2, v48
	v_cndmask_b32_e64 v4, 0x7fff, 0, vcc_lo
	s_delay_alu instid0(VALU_DEP_1) | instskip(NEXT) | instid1(VALU_DEP_1)
	v_xor_b32_e32 v4, v4, v11
	v_cmp_ne_u16_e32 vcc_lo, 0x8000, v4
	v_cndmask_b32_e32 v4, 0x7fff, v4, vcc_lo
	s_delay_alu instid0(VALU_DEP_1) | instskip(NEXT) | instid1(VALU_DEP_1)
	v_and_b32_e32 v4, 0xffff, v4
	v_lshrrev_b32_e32 v4, s48, v4
	s_delay_alu instid0(VALU_DEP_1) | instskip(NEXT) | instid1(VALU_DEP_1)
	v_and_b32_e32 v4, s55, v4
	v_lshl_or_b32 v4, v4, 4, v5
	ds_add_u32 v4, v94
	s_or_b32 exec_lo, exec_lo, s0
	s_delay_alu instid0(SALU_CYCLE_1)
	s_mov_b32 s0, exec_lo
	v_cmpx_lt_u32_e64 v56, v21
	s_cbranch_execnz .LBB1776_364
.LBB1776_349:                           ;   in Loop: Header=BB1776_315 Depth=2
	s_or_b32 exec_lo, exec_lo, s0
	s_delay_alu instid0(SALU_CYCLE_1)
	s_mov_b32 s0, exec_lo
	v_cmpx_lt_u32_e64 v57, v21
	s_cbranch_execz .LBB1776_365
.LBB1776_350:                           ;   in Loop: Header=BB1776_315 Depth=2
	v_cmp_gt_i16_e32 vcc_lo, 0, v9
	v_lshlrev_b32_e32 v5, 2, v48
	v_cndmask_b32_e64 v4, 0x7fff, 0, vcc_lo
	s_delay_alu instid0(VALU_DEP_1) | instskip(NEXT) | instid1(VALU_DEP_1)
	v_xor_b32_e32 v4, v4, v9
	v_cmp_ne_u16_e32 vcc_lo, 0x8000, v4
	v_cndmask_b32_e32 v4, 0x7fff, v4, vcc_lo
	s_delay_alu instid0(VALU_DEP_1) | instskip(NEXT) | instid1(VALU_DEP_1)
	v_and_b32_e32 v4, 0xffff, v4
	v_lshrrev_b32_e32 v4, s48, v4
	s_delay_alu instid0(VALU_DEP_1) | instskip(NEXT) | instid1(VALU_DEP_1)
	v_and_b32_e32 v4, s55, v4
	v_lshl_or_b32 v4, v4, 4, v5
	ds_add_u32 v4, v94
	s_or_b32 exec_lo, exec_lo, s0
	s_delay_alu instid0(SALU_CYCLE_1)
	s_mov_b32 s0, exec_lo
	v_cmpx_lt_u32_e64 v58, v21
	s_cbranch_execnz .LBB1776_366
.LBB1776_351:                           ;   in Loop: Header=BB1776_315 Depth=2
	s_or_b32 exec_lo, exec_lo, s0
	s_delay_alu instid0(SALU_CYCLE_1)
	s_mov_b32 s0, exec_lo
	v_cmpx_lt_u32_e64 v59, v21
	s_cbranch_execz .LBB1776_367
.LBB1776_352:                           ;   in Loop: Header=BB1776_315 Depth=2
	v_cmp_gt_i16_e32 vcc_lo, 0, v7
	v_lshlrev_b32_e32 v5, 2, v48
	v_cndmask_b32_e64 v4, 0x7fff, 0, vcc_lo
	s_delay_alu instid0(VALU_DEP_1) | instskip(NEXT) | instid1(VALU_DEP_1)
	v_xor_b32_e32 v4, v4, v7
	v_cmp_ne_u16_e32 vcc_lo, 0x8000, v4
	v_cndmask_b32_e32 v4, 0x7fff, v4, vcc_lo
	s_delay_alu instid0(VALU_DEP_1) | instskip(NEXT) | instid1(VALU_DEP_1)
	v_and_b32_e32 v4, 0xffff, v4
	v_lshrrev_b32_e32 v4, s48, v4
	s_delay_alu instid0(VALU_DEP_1) | instskip(NEXT) | instid1(VALU_DEP_1)
	v_and_b32_e32 v4, s55, v4
	v_lshl_or_b32 v4, v4, 4, v5
	ds_add_u32 v4, v94
	s_or_b32 exec_lo, exec_lo, s0
	s_delay_alu instid0(SALU_CYCLE_1)
	s_mov_b32 s0, exec_lo
	v_cmpx_lt_u32_e64 v60, v21
	s_cbranch_execnz .LBB1776_368
.LBB1776_353:                           ;   in Loop: Header=BB1776_315 Depth=2
	s_or_b32 exec_lo, exec_lo, s0
	s_delay_alu instid0(SALU_CYCLE_1)
	s_mov_b32 s0, exec_lo
	v_cmpx_lt_u32_e64 v61, v21
	s_cbranch_execz .LBB1776_369
.LBB1776_354:                           ;   in Loop: Header=BB1776_315 Depth=2
	v_cmp_gt_i16_e32 vcc_lo, 0, v2
	v_lshlrev_b32_e32 v5, 2, v48
	v_cndmask_b32_e64 v4, 0x7fff, 0, vcc_lo
	s_delay_alu instid0(VALU_DEP_1) | instskip(NEXT) | instid1(VALU_DEP_1)
	v_xor_b32_e32 v4, v4, v2
	v_cmp_ne_u16_e32 vcc_lo, 0x8000, v4
	v_cndmask_b32_e32 v4, 0x7fff, v4, vcc_lo
	s_delay_alu instid0(VALU_DEP_1) | instskip(NEXT) | instid1(VALU_DEP_1)
	v_and_b32_e32 v4, 0xffff, v4
	v_lshrrev_b32_e32 v4, s48, v4
	s_delay_alu instid0(VALU_DEP_1) | instskip(NEXT) | instid1(VALU_DEP_1)
	v_and_b32_e32 v4, s55, v4
	v_lshl_or_b32 v4, v4, 4, v5
	ds_add_u32 v4, v94
	s_or_b32 exec_lo, exec_lo, s0
	s_delay_alu instid0(SALU_CYCLE_1)
	s_mov_b32 s0, exec_lo
	v_cmpx_lt_u32_e64 v63, v21
	s_cbranch_execz .LBB1776_314
	s_branch .LBB1776_370
.LBB1776_355:                           ;   in Loop: Header=BB1776_315 Depth=2
	s_or_b32 exec_lo, exec_lo, s0
	s_delay_alu instid0(SALU_CYCLE_1)
	s_mov_b32 s0, exec_lo
	v_cmpx_lt_u32_e64 v45, v21
	s_cbranch_execz .LBB1776_341
.LBB1776_356:                           ;   in Loop: Header=BB1776_315 Depth=2
	v_cmp_gt_i16_e32 vcc_lo, 0, v18
	v_lshlrev_b32_e32 v5, 2, v48
	v_cndmask_b32_e64 v4, 0x7fff, 0, vcc_lo
	s_delay_alu instid0(VALU_DEP_1) | instskip(NEXT) | instid1(VALU_DEP_1)
	v_xor_b32_e32 v4, v4, v18
	v_cmp_ne_u16_e32 vcc_lo, 0x8000, v4
	v_cndmask_b32_e32 v4, 0x7fff, v4, vcc_lo
	s_delay_alu instid0(VALU_DEP_1) | instskip(NEXT) | instid1(VALU_DEP_1)
	v_and_b32_e32 v4, 0xffff, v4
	v_lshrrev_b32_e32 v4, s48, v4
	s_delay_alu instid0(VALU_DEP_1) | instskip(NEXT) | instid1(VALU_DEP_1)
	v_and_b32_e32 v4, s55, v4
	v_lshl_or_b32 v4, v4, 4, v5
	ds_add_u32 v4, v94
	s_or_b32 exec_lo, exec_lo, s0
	s_delay_alu instid0(SALU_CYCLE_1)
	s_mov_b32 s0, exec_lo
	v_cmpx_lt_u32_e64 v46, v21
	s_cbranch_execnz .LBB1776_342
.LBB1776_357:                           ;   in Loop: Header=BB1776_315 Depth=2
	s_or_b32 exec_lo, exec_lo, s0
	s_delay_alu instid0(SALU_CYCLE_1)
	s_mov_b32 s0, exec_lo
	v_cmpx_lt_u32_e64 v47, v21
	s_cbranch_execz .LBB1776_343
.LBB1776_358:                           ;   in Loop: Header=BB1776_315 Depth=2
	v_cmp_gt_i16_e32 vcc_lo, 0, v16
	v_lshlrev_b32_e32 v5, 2, v48
	v_cndmask_b32_e64 v4, 0x7fff, 0, vcc_lo
	s_delay_alu instid0(VALU_DEP_1) | instskip(NEXT) | instid1(VALU_DEP_1)
	v_xor_b32_e32 v4, v4, v16
	v_cmp_ne_u16_e32 vcc_lo, 0x8000, v4
	v_cndmask_b32_e32 v4, 0x7fff, v4, vcc_lo
	s_delay_alu instid0(VALU_DEP_1) | instskip(NEXT) | instid1(VALU_DEP_1)
	v_and_b32_e32 v4, 0xffff, v4
	v_lshrrev_b32_e32 v4, s48, v4
	s_delay_alu instid0(VALU_DEP_1) | instskip(NEXT) | instid1(VALU_DEP_1)
	v_and_b32_e32 v4, s55, v4
	v_lshl_or_b32 v4, v4, 4, v5
	ds_add_u32 v4, v94
	s_or_b32 exec_lo, exec_lo, s0
	s_delay_alu instid0(SALU_CYCLE_1)
	s_mov_b32 s0, exec_lo
	v_cmpx_lt_u32_e64 v51, v21
	s_cbranch_execnz .LBB1776_344
.LBB1776_359:                           ;   in Loop: Header=BB1776_315 Depth=2
	s_or_b32 exec_lo, exec_lo, s0
	s_delay_alu instid0(SALU_CYCLE_1)
	s_mov_b32 s0, exec_lo
	v_cmpx_lt_u32_e64 v52, v21
	s_cbranch_execz .LBB1776_345
.LBB1776_360:                           ;   in Loop: Header=BB1776_315 Depth=2
	v_cmp_gt_i16_e32 vcc_lo, 0, v14
	v_lshlrev_b32_e32 v5, 2, v48
	v_cndmask_b32_e64 v4, 0x7fff, 0, vcc_lo
	s_delay_alu instid0(VALU_DEP_1) | instskip(NEXT) | instid1(VALU_DEP_1)
	v_xor_b32_e32 v4, v4, v14
	v_cmp_ne_u16_e32 vcc_lo, 0x8000, v4
	v_cndmask_b32_e32 v4, 0x7fff, v4, vcc_lo
	s_delay_alu instid0(VALU_DEP_1) | instskip(NEXT) | instid1(VALU_DEP_1)
	v_and_b32_e32 v4, 0xffff, v4
	v_lshrrev_b32_e32 v4, s48, v4
	s_delay_alu instid0(VALU_DEP_1) | instskip(NEXT) | instid1(VALU_DEP_1)
	v_and_b32_e32 v4, s55, v4
	v_lshl_or_b32 v4, v4, 4, v5
	ds_add_u32 v4, v94
	s_or_b32 exec_lo, exec_lo, s0
	s_delay_alu instid0(SALU_CYCLE_1)
	s_mov_b32 s0, exec_lo
	v_cmpx_lt_u32_e64 v53, v21
	s_cbranch_execnz .LBB1776_346
.LBB1776_361:                           ;   in Loop: Header=BB1776_315 Depth=2
	s_or_b32 exec_lo, exec_lo, s0
	s_delay_alu instid0(SALU_CYCLE_1)
	s_mov_b32 s0, exec_lo
	v_cmpx_lt_u32_e64 v54, v21
	s_cbranch_execz .LBB1776_347
.LBB1776_362:                           ;   in Loop: Header=BB1776_315 Depth=2
	v_cmp_gt_i16_e32 vcc_lo, 0, v12
	v_lshlrev_b32_e32 v5, 2, v48
	v_cndmask_b32_e64 v4, 0x7fff, 0, vcc_lo
	s_delay_alu instid0(VALU_DEP_1) | instskip(NEXT) | instid1(VALU_DEP_1)
	v_xor_b32_e32 v4, v4, v12
	v_cmp_ne_u16_e32 vcc_lo, 0x8000, v4
	v_cndmask_b32_e32 v4, 0x7fff, v4, vcc_lo
	s_delay_alu instid0(VALU_DEP_1) | instskip(NEXT) | instid1(VALU_DEP_1)
	v_and_b32_e32 v4, 0xffff, v4
	v_lshrrev_b32_e32 v4, s48, v4
	s_delay_alu instid0(VALU_DEP_1) | instskip(NEXT) | instid1(VALU_DEP_1)
	v_and_b32_e32 v4, s55, v4
	v_lshl_or_b32 v4, v4, 4, v5
	ds_add_u32 v4, v94
	s_or_b32 exec_lo, exec_lo, s0
	s_delay_alu instid0(SALU_CYCLE_1)
	s_mov_b32 s0, exec_lo
	v_cmpx_lt_u32_e64 v55, v21
	s_cbranch_execnz .LBB1776_348
.LBB1776_363:                           ;   in Loop: Header=BB1776_315 Depth=2
	s_or_b32 exec_lo, exec_lo, s0
	s_delay_alu instid0(SALU_CYCLE_1)
	s_mov_b32 s0, exec_lo
	v_cmpx_lt_u32_e64 v56, v21
	s_cbranch_execz .LBB1776_349
.LBB1776_364:                           ;   in Loop: Header=BB1776_315 Depth=2
	v_cmp_gt_i16_e32 vcc_lo, 0, v10
	v_lshlrev_b32_e32 v5, 2, v48
	v_cndmask_b32_e64 v4, 0x7fff, 0, vcc_lo
	s_delay_alu instid0(VALU_DEP_1) | instskip(NEXT) | instid1(VALU_DEP_1)
	v_xor_b32_e32 v4, v4, v10
	v_cmp_ne_u16_e32 vcc_lo, 0x8000, v4
	v_cndmask_b32_e32 v4, 0x7fff, v4, vcc_lo
	s_delay_alu instid0(VALU_DEP_1) | instskip(NEXT) | instid1(VALU_DEP_1)
	v_and_b32_e32 v4, 0xffff, v4
	v_lshrrev_b32_e32 v4, s48, v4
	s_delay_alu instid0(VALU_DEP_1) | instskip(NEXT) | instid1(VALU_DEP_1)
	v_and_b32_e32 v4, s55, v4
	v_lshl_or_b32 v4, v4, 4, v5
	ds_add_u32 v4, v94
	s_or_b32 exec_lo, exec_lo, s0
	s_delay_alu instid0(SALU_CYCLE_1)
	s_mov_b32 s0, exec_lo
	v_cmpx_lt_u32_e64 v57, v21
	s_cbranch_execnz .LBB1776_350
.LBB1776_365:                           ;   in Loop: Header=BB1776_315 Depth=2
	s_or_b32 exec_lo, exec_lo, s0
	s_delay_alu instid0(SALU_CYCLE_1)
	s_mov_b32 s0, exec_lo
	v_cmpx_lt_u32_e64 v58, v21
	s_cbranch_execz .LBB1776_351
.LBB1776_366:                           ;   in Loop: Header=BB1776_315 Depth=2
	v_cmp_gt_i16_e32 vcc_lo, 0, v8
	v_lshlrev_b32_e32 v5, 2, v48
	v_cndmask_b32_e64 v4, 0x7fff, 0, vcc_lo
	s_delay_alu instid0(VALU_DEP_1) | instskip(NEXT) | instid1(VALU_DEP_1)
	v_xor_b32_e32 v4, v4, v8
	v_cmp_ne_u16_e32 vcc_lo, 0x8000, v4
	v_cndmask_b32_e32 v4, 0x7fff, v4, vcc_lo
	s_delay_alu instid0(VALU_DEP_1) | instskip(NEXT) | instid1(VALU_DEP_1)
	v_and_b32_e32 v4, 0xffff, v4
	v_lshrrev_b32_e32 v4, s48, v4
	s_delay_alu instid0(VALU_DEP_1) | instskip(NEXT) | instid1(VALU_DEP_1)
	v_and_b32_e32 v4, s55, v4
	v_lshl_or_b32 v4, v4, 4, v5
	ds_add_u32 v4, v94
	s_or_b32 exec_lo, exec_lo, s0
	s_delay_alu instid0(SALU_CYCLE_1)
	s_mov_b32 s0, exec_lo
	v_cmpx_lt_u32_e64 v59, v21
	s_cbranch_execnz .LBB1776_352
.LBB1776_367:                           ;   in Loop: Header=BB1776_315 Depth=2
	s_or_b32 exec_lo, exec_lo, s0
	s_delay_alu instid0(SALU_CYCLE_1)
	s_mov_b32 s0, exec_lo
	v_cmpx_lt_u32_e64 v60, v21
	s_cbranch_execz .LBB1776_353
.LBB1776_368:                           ;   in Loop: Header=BB1776_315 Depth=2
	v_cmp_gt_i16_e32 vcc_lo, 0, v6
	v_lshlrev_b32_e32 v5, 2, v48
	v_cndmask_b32_e64 v4, 0x7fff, 0, vcc_lo
	s_delay_alu instid0(VALU_DEP_1) | instskip(NEXT) | instid1(VALU_DEP_1)
	v_xor_b32_e32 v4, v4, v6
	v_cmp_ne_u16_e32 vcc_lo, 0x8000, v4
	v_cndmask_b32_e32 v4, 0x7fff, v4, vcc_lo
	s_delay_alu instid0(VALU_DEP_1) | instskip(NEXT) | instid1(VALU_DEP_1)
	v_and_b32_e32 v4, 0xffff, v4
	v_lshrrev_b32_e32 v4, s48, v4
	s_delay_alu instid0(VALU_DEP_1) | instskip(NEXT) | instid1(VALU_DEP_1)
	v_and_b32_e32 v4, s55, v4
	v_lshl_or_b32 v4, v4, 4, v5
	ds_add_u32 v4, v94
	s_or_b32 exec_lo, exec_lo, s0
	s_delay_alu instid0(SALU_CYCLE_1)
	s_mov_b32 s0, exec_lo
	v_cmpx_lt_u32_e64 v61, v21
	s_cbranch_execnz .LBB1776_354
.LBB1776_369:                           ;   in Loop: Header=BB1776_315 Depth=2
	s_or_b32 exec_lo, exec_lo, s0
	s_delay_alu instid0(SALU_CYCLE_1)
	s_mov_b32 s0, exec_lo
	v_cmpx_lt_u32_e64 v63, v21
	s_cbranch_execz .LBB1776_314
.LBB1776_370:                           ;   in Loop: Header=BB1776_315 Depth=2
	s_waitcnt vmcnt(0)
	v_cmp_gt_i16_e32 vcc_lo, 0, v20
	v_lshlrev_b32_e32 v5, 2, v48
	v_cndmask_b32_e64 v4, 0x7fff, 0, vcc_lo
	s_delay_alu instid0(VALU_DEP_1) | instskip(NEXT) | instid1(VALU_DEP_1)
	v_xor_b32_e32 v4, v4, v20
	v_cmp_ne_u16_e32 vcc_lo, 0x8000, v4
	v_cndmask_b32_e32 v4, 0x7fff, v4, vcc_lo
	s_delay_alu instid0(VALU_DEP_1) | instskip(NEXT) | instid1(VALU_DEP_1)
	v_and_b32_e32 v4, 0xffff, v4
	v_lshrrev_b32_e32 v4, s48, v4
	s_delay_alu instid0(VALU_DEP_1) | instskip(NEXT) | instid1(VALU_DEP_1)
	v_and_b32_e32 v4, s55, v4
	v_lshl_or_b32 v4, v4, 4, v5
	ds_add_u32 v4, v94
	s_branch .LBB1776_314
.LBB1776_371:                           ;   in Loop: Header=BB1776_315 Depth=2
	s_or_b32 exec_lo, exec_lo, s11
	s_delay_alu instid0(SALU_CYCLE_1)
	s_mov_b32 s11, exec_lo
	v_cmpx_gt_u32_e64 s8, v45
	s_cbranch_execz .LBB1776_321
.LBB1776_372:                           ;   in Loop: Header=BB1776_315 Depth=2
	global_load_u16 v18, v95, s[0:1] offset:512
	s_or_b32 exec_lo, exec_lo, s11
	s_delay_alu instid0(SALU_CYCLE_1)
	s_mov_b32 s11, exec_lo
	v_cmpx_gt_u32_e64 s8, v46
	s_cbranch_execnz .LBB1776_322
.LBB1776_373:                           ;   in Loop: Header=BB1776_315 Depth=2
	s_or_b32 exec_lo, exec_lo, s11
	s_delay_alu instid0(SALU_CYCLE_1)
	s_mov_b32 s11, exec_lo
	v_cmpx_gt_u32_e64 s8, v47
	s_cbranch_execz .LBB1776_323
.LBB1776_374:                           ;   in Loop: Header=BB1776_315 Depth=2
	global_load_u16 v16, v95, s[0:1] offset:1536
	s_or_b32 exec_lo, exec_lo, s11
	s_delay_alu instid0(SALU_CYCLE_1)
	s_mov_b32 s11, exec_lo
	v_cmpx_gt_u32_e64 s8, v51
	s_cbranch_execnz .LBB1776_324
.LBB1776_375:                           ;   in Loop: Header=BB1776_315 Depth=2
	s_or_b32 exec_lo, exec_lo, s11
	s_delay_alu instid0(SALU_CYCLE_1)
	s_mov_b32 s11, exec_lo
	v_cmpx_gt_u32_e64 s8, v52
	s_cbranch_execz .LBB1776_325
.LBB1776_376:                           ;   in Loop: Header=BB1776_315 Depth=2
	global_load_u16 v14, v95, s[0:1] offset:2560
	s_or_b32 exec_lo, exec_lo, s11
	s_delay_alu instid0(SALU_CYCLE_1)
	s_mov_b32 s11, exec_lo
	v_cmpx_gt_u32_e64 s8, v53
	s_cbranch_execnz .LBB1776_326
.LBB1776_377:                           ;   in Loop: Header=BB1776_315 Depth=2
	s_or_b32 exec_lo, exec_lo, s11
	s_delay_alu instid0(SALU_CYCLE_1)
	s_mov_b32 s11, exec_lo
	v_cmpx_gt_u32_e64 s8, v54
	s_cbranch_execz .LBB1776_327
.LBB1776_378:                           ;   in Loop: Header=BB1776_315 Depth=2
	global_load_u16 v12, v95, s[0:1] offset:3584
	s_or_b32 exec_lo, exec_lo, s11
	s_delay_alu instid0(SALU_CYCLE_1)
	s_mov_b32 s11, exec_lo
	v_cmpx_gt_u32_e64 s8, v55
	s_cbranch_execnz .LBB1776_328
.LBB1776_379:                           ;   in Loop: Header=BB1776_315 Depth=2
	s_or_b32 exec_lo, exec_lo, s11
	s_delay_alu instid0(SALU_CYCLE_1)
	s_mov_b32 s11, exec_lo
	v_cmpx_gt_u32_e64 s8, v56
	s_cbranch_execz .LBB1776_329
.LBB1776_380:                           ;   in Loop: Header=BB1776_315 Depth=2
	global_load_u16 v10, v97, s[0:1]
	s_or_b32 exec_lo, exec_lo, s11
	s_delay_alu instid0(SALU_CYCLE_1)
	s_mov_b32 s11, exec_lo
	v_cmpx_gt_u32_e64 s8, v57
	s_cbranch_execnz .LBB1776_330
.LBB1776_381:                           ;   in Loop: Header=BB1776_315 Depth=2
	s_or_b32 exec_lo, exec_lo, s11
	s_delay_alu instid0(SALU_CYCLE_1)
	s_mov_b32 s11, exec_lo
	v_cmpx_gt_u32_e64 s8, v58
	s_cbranch_execz .LBB1776_331
.LBB1776_382:                           ;   in Loop: Header=BB1776_315 Depth=2
	global_load_u16 v8, v99, s[0:1]
	s_or_b32 exec_lo, exec_lo, s11
	s_delay_alu instid0(SALU_CYCLE_1)
	s_mov_b32 s11, exec_lo
	v_cmpx_gt_u32_e64 s8, v59
	s_cbranch_execnz .LBB1776_332
.LBB1776_383:                           ;   in Loop: Header=BB1776_315 Depth=2
	s_or_b32 exec_lo, exec_lo, s11
	s_delay_alu instid0(SALU_CYCLE_1)
	s_mov_b32 s11, exec_lo
	v_cmpx_gt_u32_e64 s8, v60
	s_cbranch_execz .LBB1776_333
.LBB1776_384:                           ;   in Loop: Header=BB1776_315 Depth=2
	global_load_u16 v6, v101, s[0:1]
	s_or_b32 exec_lo, exec_lo, s11
	s_delay_alu instid0(SALU_CYCLE_1)
	s_mov_b32 s11, exec_lo
	v_cmpx_gt_u32_e64 s8, v61
	s_cbranch_execz .LBB1776_335
	s_branch .LBB1776_334
.LBB1776_385:                           ;   in Loop: Header=BB1776_17 Depth=1
	v_mov_b32_e32 v2, 0
	s_waitcnt vmcnt(0) lgkmcnt(0)
	s_barrier
	buffer_gl0_inv
	s_and_saveexec_b32 s0, s2
	s_cbranch_execz .LBB1776_387
; %bb.386:                              ;   in Loop: Header=BB1776_17 Depth=1
	ds_load_2addr_b64 v[4:7], v64 offset1:1
	s_waitcnt lgkmcnt(0)
	v_add_nc_u32_e32 v2, v5, v4
	s_delay_alu instid0(VALU_DEP_1)
	v_add3_u32 v2, v2, v6, v7
.LBB1776_387:                           ;   in Loop: Header=BB1776_17 Depth=1
	s_or_b32 exec_lo, exec_lo, s0
	v_and_b32_e32 v4, 15, v104
	s_delay_alu instid0(VALU_DEP_2) | instskip(SKIP_1) | instid1(VALU_DEP_3)
	v_mov_b32_dpp v5, v2 row_shr:1 row_mask:0xf bank_mask:0xf
	v_and_b32_e32 v6, 16, v104
	v_cmp_eq_u32_e64 s0, 0, v4
	v_cmp_lt_u32_e64 s1, 1, v4
	v_cmp_lt_u32_e64 s8, 3, v4
	;; [unrolled: 1-line block ×3, first 2 shown]
	v_cmp_eq_u32_e64 s10, 0, v6
	v_cndmask_b32_e64 v5, v5, 0, s0
	s_delay_alu instid0(VALU_DEP_1) | instskip(NEXT) | instid1(VALU_DEP_1)
	v_add_nc_u32_e32 v2, v5, v2
	v_mov_b32_dpp v5, v2 row_shr:2 row_mask:0xf bank_mask:0xf
	s_delay_alu instid0(VALU_DEP_1) | instskip(NEXT) | instid1(VALU_DEP_1)
	v_cndmask_b32_e64 v5, 0, v5, s1
	v_add_nc_u32_e32 v2, v2, v5
	s_delay_alu instid0(VALU_DEP_1) | instskip(NEXT) | instid1(VALU_DEP_1)
	v_mov_b32_dpp v5, v2 row_shr:4 row_mask:0xf bank_mask:0xf
	v_cndmask_b32_e64 v5, 0, v5, s8
	s_delay_alu instid0(VALU_DEP_1) | instskip(NEXT) | instid1(VALU_DEP_1)
	v_add_nc_u32_e32 v2, v2, v5
	v_mov_b32_dpp v5, v2 row_shr:8 row_mask:0xf bank_mask:0xf
	s_delay_alu instid0(VALU_DEP_1) | instskip(SKIP_1) | instid1(VALU_DEP_2)
	v_cndmask_b32_e64 v4, 0, v5, s9
	v_bfe_i32 v5, v104, 4, 1
	v_add_nc_u32_e32 v2, v2, v4
	ds_swizzle_b32 v4, v2 offset:swizzle(BROADCAST,32,15)
	s_waitcnt lgkmcnt(0)
	v_and_b32_e32 v4, v5, v4
	s_delay_alu instid0(VALU_DEP_1)
	v_add_nc_u32_e32 v4, v2, v4
	s_and_saveexec_b32 s11, s3
	s_cbranch_execz .LBB1776_389
; %bb.388:                              ;   in Loop: Header=BB1776_17 Depth=1
	ds_store_b32 v65, v4
.LBB1776_389:                           ;   in Loop: Header=BB1776_17 Depth=1
	s_or_b32 exec_lo, exec_lo, s11
	v_and_b32_e32 v2, 7, v104
	s_waitcnt lgkmcnt(0)
	s_barrier
	buffer_gl0_inv
	s_and_saveexec_b32 s11, s4
	s_cbranch_execz .LBB1776_391
; %bb.390:                              ;   in Loop: Header=BB1776_17 Depth=1
	ds_load_b32 v5, v66
	v_cmp_ne_u32_e32 vcc_lo, 0, v2
	s_waitcnt lgkmcnt(0)
	v_mov_b32_dpp v6, v5 row_shr:1 row_mask:0xf bank_mask:0xf
	s_delay_alu instid0(VALU_DEP_1) | instskip(SKIP_1) | instid1(VALU_DEP_2)
	v_cndmask_b32_e32 v6, 0, v6, vcc_lo
	v_cmp_lt_u32_e32 vcc_lo, 1, v2
	v_add_nc_u32_e32 v5, v6, v5
	s_delay_alu instid0(VALU_DEP_1) | instskip(NEXT) | instid1(VALU_DEP_1)
	v_mov_b32_dpp v6, v5 row_shr:2 row_mask:0xf bank_mask:0xf
	v_cndmask_b32_e32 v6, 0, v6, vcc_lo
	v_cmp_lt_u32_e32 vcc_lo, 3, v2
	s_delay_alu instid0(VALU_DEP_2) | instskip(NEXT) | instid1(VALU_DEP_1)
	v_add_nc_u32_e32 v5, v5, v6
	v_mov_b32_dpp v6, v5 row_shr:4 row_mask:0xf bank_mask:0xf
	s_delay_alu instid0(VALU_DEP_1) | instskip(NEXT) | instid1(VALU_DEP_1)
	v_cndmask_b32_e32 v6, 0, v6, vcc_lo
	v_add_nc_u32_e32 v5, v5, v6
	ds_store_b32 v66, v5
.LBB1776_391:                           ;   in Loop: Header=BB1776_17 Depth=1
	s_or_b32 exec_lo, exec_lo, s11
	v_mov_b32_e32 v5, 0
	s_waitcnt lgkmcnt(0)
	s_barrier
	buffer_gl0_inv
	s_and_saveexec_b32 s11, s5
	s_cbranch_execz .LBB1776_393
; %bb.392:                              ;   in Loop: Header=BB1776_17 Depth=1
	ds_load_b32 v5, v67
.LBB1776_393:                           ;   in Loop: Header=BB1776_17 Depth=1
	s_or_b32 exec_lo, exec_lo, s11
	v_add_nc_u32_e32 v6, -1, v104
	s_waitcnt lgkmcnt(0)
	v_add_nc_u32_e32 v4, v5, v4
	v_cmp_eq_u32_e64 s11, 0, v104
	s_barrier
	v_cmp_gt_i32_e32 vcc_lo, 0, v6
	buffer_gl0_inv
	v_cndmask_b32_e32 v6, v6, v104, vcc_lo
	s_delay_alu instid0(VALU_DEP_1)
	v_lshlrev_b32_e32 v105, 2, v6
	ds_bpermute_b32 v4, v105, v4
	s_and_saveexec_b32 s12, s2
	s_cbranch_execz .LBB1776_395
; %bb.394:                              ;   in Loop: Header=BB1776_17 Depth=1
	s_waitcnt lgkmcnt(0)
	v_cndmask_b32_e64 v4, v4, v5, s11
	s_delay_alu instid0(VALU_DEP_1)
	v_add_nc_u32_e32 v4, s52, v4
	ds_store_b32 v44, v4
.LBB1776_395:                           ;   in Loop: Header=BB1776_17 Depth=1
	s_or_b32 exec_lo, exec_lo, s12
	s_load_b64 s[12:13], s[42:43], 0x0
	v_lshlrev_b32_e32 v5, 3, v104
	v_or_b32_e32 v106, v104, v68
	s_mov_b32 s56, s54
	s_mov_b32 s34, s52
                                        ; implicit-def: $vgpr8_vgpr9
                                        ; implicit-def: $vgpr10_vgpr11
                                        ; implicit-def: $vgpr12_vgpr13
                                        ; implicit-def: $vgpr14_vgpr15
                                        ; implicit-def: $vgpr16_vgpr17
                                        ; implicit-def: $vgpr18_vgpr19
                                        ; implicit-def: $vgpr20_vgpr21
                                        ; implicit-def: $vgpr22_vgpr23
                                        ; implicit-def: $vgpr24_vgpr25
                                        ; implicit-def: $vgpr26_vgpr27
                                        ; implicit-def: $vgpr28_vgpr29
                                        ; implicit-def: $vgpr30_vgpr31
                                        ; implicit-def: $vgpr32_vgpr33
                                        ; implicit-def: $vgpr34_vgpr35
                                        ; implicit-def: $vgpr129
                                        ; implicit-def: $vgpr130
                                        ; implicit-def: $vgpr131
                                        ; implicit-def: $vgpr132
                                        ; implicit-def: $vgpr133
                                        ; implicit-def: $vgpr134
                                        ; implicit-def: $vgpr135
                                        ; implicit-def: $vgpr136
                                        ; implicit-def: $vgpr137
                                        ; implicit-def: $vgpr138
                                        ; implicit-def: $vgpr139
                                        ; implicit-def: $vgpr140
                                        ; implicit-def: $vgpr141
                                        ; implicit-def: $vgpr142
                                        ; implicit-def: $vgpr143
                                        ; implicit-def: $vgpr144
	s_delay_alu instid0(VALU_DEP_2)
	v_add_co_u32 v107, vcc_lo, v84, v5
	v_add_co_ci_u32_e32 v108, vcc_lo, 0, v85, vcc_lo
	v_or_b32_e32 v109, 32, v106
	v_or_b32_e32 v110, 64, v106
	;; [unrolled: 1-line block ×10, first 2 shown]
	s_waitcnt lgkmcnt(0)
	s_cmp_lt_u32 s15, s13
	v_or_b32_e32 v119, 0x160, v106
	s_cselect_b32 s13, 14, 20
	v_or_b32_e32 v120, 0x180, v106
	s_add_u32 s16, s42, s13
	s_addc_u32 s17, s43, 0
	s_cmp_lt_u32 s14, s12
	global_load_u16 v4, v3, s[16:17]
	s_cselect_b32 s12, 12, 18
	v_or_b32_e32 v121, 0x1a0, v106
	s_add_u32 s12, s42, s12
	s_addc_u32 s13, s43, 0
	v_or_b32_e32 v122, 0x1c0, v106
	global_load_u16 v6, v3, s[12:13]
	v_cmp_eq_u32_e64 s12, 0, v2
	v_cmp_lt_u32_e64 s13, 1, v2
	v_cmp_lt_u32_e64 s16, 3, v2
	v_lshlrev_b32_e32 v2, 1, v104
	v_or_b32_e32 v123, 0x1e0, v106
	s_delay_alu instid0(VALU_DEP_2) | instskip(SKIP_1) | instid1(VALU_DEP_2)
	v_add_co_u32 v124, vcc_lo, v86, v2
	v_add_co_ci_u32_e32 v125, vcc_lo, 0, v87, vcc_lo
	v_add_co_u32 v127, vcc_lo, 0x3c0, v124
	s_delay_alu instid0(VALU_DEP_2) | instskip(SKIP_3) | instid1(VALU_DEP_1)
	v_add_co_ci_u32_e32 v128, vcc_lo, 0, v125, vcc_lo
	s_waitcnt vmcnt(1)
	v_mad_u32_u24 v7, v70, v4, v0
	s_waitcnt vmcnt(0)
	v_mad_u64_u32 v[4:5], null, v7, v6, v[1:2]
                                        ; implicit-def: $vgpr6_vgpr7
	s_delay_alu instid0(VALU_DEP_1)
	v_lshrrev_b32_e32 v126, 5, v4
                                        ; implicit-def: $vgpr4_vgpr5
	s_branch .LBB1776_397
.LBB1776_396:                           ;   in Loop: Header=BB1776_397 Depth=2
	s_or_b32 exec_lo, exec_lo, s17
	s_addk_i32 s56, 0xf000
	s_cmp_lt_u32 s57, s53
	s_mov_b32 s34, s57
	s_cbranch_scc0 .LBB1776_605
.LBB1776_397:                           ;   Parent Loop BB1776_17 Depth=1
                                        ; =>  This Inner Loop Header: Depth=2
	s_add_i32 s57, s34, 0x1000
	s_delay_alu instid0(SALU_CYCLE_1)
	s_cmp_gt_u32 s57, s53
	s_cbranch_scc1 .LBB1776_400
; %bb.398:                              ;   in Loop: Header=BB1776_397 Depth=2
	s_mov_b32 s19, 0
	s_mov_b32 s18, s34
	s_movk_i32 s17, 0x1000
	s_lshl_b64 s[20:21], s[18:19], 1
	s_delay_alu instid0(SALU_CYCLE_1)
	v_add_co_u32 v36, vcc_lo, v124, s20
	v_add_co_ci_u32_e32 v37, vcc_lo, s21, v125, vcc_lo
	s_mov_b32 s20, -1
	s_clause 0xe
	global_load_u16 v2, v[36:37], off
	global_load_u16 v146, v[36:37], off offset:64
	global_load_u16 v149, v[36:37], off offset:128
	;; [unrolled: 1-line block ×14, first 2 shown]
	s_cbranch_execz .LBB1776_401
; %bb.399:                              ;   in Loop: Header=BB1776_397 Depth=2
                                        ; implicit-def: $sgpr21
	v_dual_mov_b32 v36, s21 :: v_dual_mov_b32 v145, s56
	s_and_saveexec_b32 s21, s20
	s_cbranch_execnz .LBB1776_432
	s_branch .LBB1776_433
.LBB1776_400:                           ;   in Loop: Header=BB1776_397 Depth=2
	s_mov_b32 s19, -1
	s_mov_b32 s20, 0
                                        ; implicit-def: $sgpr17
                                        ; implicit-def: $vgpr2
                                        ; implicit-def: $vgpr146
                                        ; implicit-def: $vgpr149
                                        ; implicit-def: $vgpr153
                                        ; implicit-def: $vgpr157
                                        ; implicit-def: $vgpr161
                                        ; implicit-def: $vgpr165
                                        ; implicit-def: $vgpr170
                                        ; implicit-def: $vgpr169
                                        ; implicit-def: $vgpr43
                                        ; implicit-def: $vgpr42
                                        ; implicit-def: $vgpr41
                                        ; implicit-def: $vgpr40
                                        ; implicit-def: $vgpr39
                                        ; implicit-def: $vgpr38
.LBB1776_401:                           ;   in Loop: Header=BB1776_397 Depth=2
	s_lshl_b64 s[18:19], s[34:35], 1
	s_waitcnt vmcnt(13)
	v_mov_b32_e32 v146, -1
	v_add_co_u32 v36, vcc_lo, v124, s18
	v_add_co_ci_u32_e32 v37, vcc_lo, s19, v125, vcc_lo
	v_mov_b32_e32 v2, -1
	s_mov_b32 s17, exec_lo
	v_cmpx_gt_u32_e64 s56, v106
	s_cbranch_execz .LBB1776_403
; %bb.402:                              ;   in Loop: Header=BB1776_397 Depth=2
	global_load_u16 v2, v[36:37], off
.LBB1776_403:                           ;   in Loop: Header=BB1776_397 Depth=2
	s_or_b32 exec_lo, exec_lo, s17
	s_delay_alu instid0(SALU_CYCLE_1)
	s_mov_b32 s17, exec_lo
	v_cmpx_gt_u32_e64 s56, v109
	s_cbranch_execz .LBB1776_405
; %bb.404:                              ;   in Loop: Header=BB1776_397 Depth=2
	global_load_u16 v146, v[36:37], off offset:64
.LBB1776_405:                           ;   in Loop: Header=BB1776_397 Depth=2
	s_or_b32 exec_lo, exec_lo, s17
	s_waitcnt vmcnt(11)
	v_mov_b32_e32 v153, -1
	v_mov_b32_e32 v149, -1
	s_mov_b32 s17, exec_lo
	v_cmpx_gt_u32_e64 s56, v110
	s_cbranch_execz .LBB1776_407
; %bb.406:                              ;   in Loop: Header=BB1776_397 Depth=2
	global_load_u16 v149, v[36:37], off offset:128
.LBB1776_407:                           ;   in Loop: Header=BB1776_397 Depth=2
	s_or_b32 exec_lo, exec_lo, s17
	s_delay_alu instid0(SALU_CYCLE_1)
	s_mov_b32 s17, exec_lo
	v_cmpx_gt_u32_e64 s56, v111
	s_cbranch_execz .LBB1776_409
; %bb.408:                              ;   in Loop: Header=BB1776_397 Depth=2
	global_load_u16 v153, v[36:37], off offset:192
.LBB1776_409:                           ;   in Loop: Header=BB1776_397 Depth=2
	s_or_b32 exec_lo, exec_lo, s17
	s_waitcnt vmcnt(9)
	v_mov_b32_e32 v161, -1
	v_mov_b32_e32 v157, -1
	s_mov_b32 s17, exec_lo
	v_cmpx_gt_u32_e64 s56, v112
	s_cbranch_execz .LBB1776_411
; %bb.410:                              ;   in Loop: Header=BB1776_397 Depth=2
	global_load_u16 v157, v[36:37], off offset:256
.LBB1776_411:                           ;   in Loop: Header=BB1776_397 Depth=2
	s_or_b32 exec_lo, exec_lo, s17
	s_delay_alu instid0(SALU_CYCLE_1)
	s_mov_b32 s17, exec_lo
	v_cmpx_gt_u32_e64 s56, v113
	s_cbranch_execz .LBB1776_413
; %bb.412:                              ;   in Loop: Header=BB1776_397 Depth=2
	global_load_u16 v161, v[36:37], off offset:320
.LBB1776_413:                           ;   in Loop: Header=BB1776_397 Depth=2
	s_or_b32 exec_lo, exec_lo, s17
	s_waitcnt vmcnt(7)
	v_dual_mov_b32 v170, -1 :: v_dual_mov_b32 v165, -1
	s_mov_b32 s17, exec_lo
	v_cmpx_gt_u32_e64 s56, v114
	s_cbranch_execz .LBB1776_415
; %bb.414:                              ;   in Loop: Header=BB1776_397 Depth=2
	global_load_u16 v165, v[36:37], off offset:384
.LBB1776_415:                           ;   in Loop: Header=BB1776_397 Depth=2
	s_or_b32 exec_lo, exec_lo, s17
	s_delay_alu instid0(SALU_CYCLE_1)
	s_mov_b32 s17, exec_lo
	v_cmpx_gt_u32_e64 s56, v115
	s_cbranch_execz .LBB1776_417
; %bb.416:                              ;   in Loop: Header=BB1776_397 Depth=2
	global_load_u16 v170, v[36:37], off offset:448
.LBB1776_417:                           ;   in Loop: Header=BB1776_397 Depth=2
	s_or_b32 exec_lo, exec_lo, s17
	s_waitcnt vmcnt(5)
	v_mov_b32_e32 v43, -1
	v_mov_b32_e32 v169, -1
	s_mov_b32 s17, exec_lo
	v_cmpx_gt_u32_e64 s56, v116
	s_cbranch_execz .LBB1776_419
; %bb.418:                              ;   in Loop: Header=BB1776_397 Depth=2
	global_load_u16 v169, v[36:37], off offset:512
.LBB1776_419:                           ;   in Loop: Header=BB1776_397 Depth=2
	s_or_b32 exec_lo, exec_lo, s17
	s_delay_alu instid0(SALU_CYCLE_1)
	s_mov_b32 s17, exec_lo
	v_cmpx_gt_u32_e64 s56, v117
	s_cbranch_execz .LBB1776_421
; %bb.420:                              ;   in Loop: Header=BB1776_397 Depth=2
	global_load_u16 v43, v[36:37], off offset:576
.LBB1776_421:                           ;   in Loop: Header=BB1776_397 Depth=2
	s_or_b32 exec_lo, exec_lo, s17
	s_waitcnt vmcnt(3)
	v_dual_mov_b32 v41, -1 :: v_dual_mov_b32 v42, -1
	s_mov_b32 s17, exec_lo
	v_cmpx_gt_u32_e64 s56, v118
	s_cbranch_execz .LBB1776_423
; %bb.422:                              ;   in Loop: Header=BB1776_397 Depth=2
	global_load_u16 v42, v[36:37], off offset:640
.LBB1776_423:                           ;   in Loop: Header=BB1776_397 Depth=2
	s_or_b32 exec_lo, exec_lo, s17
	s_delay_alu instid0(SALU_CYCLE_1)
	s_mov_b32 s17, exec_lo
	v_cmpx_gt_u32_e64 s56, v119
	s_cbranch_execz .LBB1776_425
; %bb.424:                              ;   in Loop: Header=BB1776_397 Depth=2
	global_load_u16 v41, v[36:37], off offset:704
.LBB1776_425:                           ;   in Loop: Header=BB1776_397 Depth=2
	s_or_b32 exec_lo, exec_lo, s17
	s_waitcnt vmcnt(1)
	v_dual_mov_b32 v39, -1 :: v_dual_mov_b32 v40, -1
	s_mov_b32 s17, exec_lo
	v_cmpx_gt_u32_e64 s56, v120
	s_cbranch_execz .LBB1776_427
; %bb.426:                              ;   in Loop: Header=BB1776_397 Depth=2
	global_load_u16 v40, v[36:37], off offset:768
.LBB1776_427:                           ;   in Loop: Header=BB1776_397 Depth=2
	s_or_b32 exec_lo, exec_lo, s17
	s_delay_alu instid0(SALU_CYCLE_1)
	s_mov_b32 s17, exec_lo
	v_cmpx_gt_u32_e64 s56, v121
	s_cbranch_execz .LBB1776_429
; %bb.428:                              ;   in Loop: Header=BB1776_397 Depth=2
	global_load_u16 v39, v[36:37], off offset:832
.LBB1776_429:                           ;   in Loop: Header=BB1776_397 Depth=2
	s_or_b32 exec_lo, exec_lo, s17
	s_waitcnt vmcnt(0)
	v_mov_b32_e32 v38, -1
	s_mov_b32 s17, exec_lo
	v_cmpx_gt_u32_e64 s56, v122
	s_cbranch_execz .LBB1776_431
; %bb.430:                              ;   in Loop: Header=BB1776_397 Depth=2
	global_load_u16 v38, v[36:37], off offset:896
.LBB1776_431:                           ;   in Loop: Header=BB1776_397 Depth=2
	s_or_b32 exec_lo, exec_lo, s17
	v_cmp_gt_u32_e64 s20, s56, v123
	s_sub_i32 s17, s53, s34
	s_mov_b32 s21, -1
	s_mov_b64 s[18:19], s[34:35]
	v_dual_mov_b32 v36, s21 :: v_dual_mov_b32 v145, s56
	s_and_saveexec_b32 s21, s20
	s_cbranch_execz .LBB1776_433
.LBB1776_432:                           ;   in Loop: Header=BB1776_397 Depth=2
	s_lshl_b64 s[18:19], s[18:19], 1
	v_mov_b32_e32 v145, s17
	v_add_co_u32 v36, vcc_lo, v127, s18
	v_add_co_ci_u32_e32 v37, vcc_lo, s19, v128, vcc_lo
	global_load_u16 v36, v[36:37], off
.LBB1776_433:                           ;   in Loop: Header=BB1776_397 Depth=2
	s_or_b32 exec_lo, exec_lo, s21
	s_waitcnt vmcnt(14)
	v_cmp_gt_i16_e32 vcc_lo, 0, v2
	ds_store_b32 v69, v3 offset:1056
	ds_store_2addr_b32 v71, v3, v3 offset0:1 offset1:2
	ds_store_2addr_b32 v71, v3, v3 offset0:3 offset1:4
	;; [unrolled: 1-line block ×4, first 2 shown]
	s_waitcnt vmcnt(0) lgkmcnt(0)
	s_barrier
	v_cndmask_b32_e64 v37, 0x7fff, 0, vcc_lo
	buffer_gl0_inv
	; wave barrier
	v_xor_b32_e32 v2, v37, v2
	s_delay_alu instid0(VALU_DEP_1) | instskip(SKIP_1) | instid1(VALU_DEP_1)
	v_cmp_ne_u16_e32 vcc_lo, 0x8000, v2
	v_cndmask_b32_e32 v37, 0x7fff, v2, vcc_lo
	v_and_b32_e32 v37, 0xffff, v37
	s_delay_alu instid0(VALU_DEP_1) | instskip(NEXT) | instid1(VALU_DEP_1)
	v_lshrrev_b32_e32 v37, s48, v37
	v_and_b32_e32 v148, s55, v37
	s_delay_alu instid0(VALU_DEP_1)
	v_lshlrev_b32_e32 v150, 29, v148
	v_and_b32_e32 v37, 1, v148
	v_lshlrev_b32_e32 v147, 30, v148
	v_lshlrev_b32_e32 v151, 28, v148
	;; [unrolled: 1-line block ×4, first 2 shown]
	v_add_co_u32 v37, s17, v37, -1
	s_delay_alu instid0(VALU_DEP_1)
	v_cndmask_b32_e64 v152, 0, 1, s17
	v_not_b32_e32 v158, v147
	v_cmp_gt_i32_e64 s17, 0, v147
	v_not_b32_e32 v147, v150
	v_lshlrev_b32_e32 v156, 25, v148
	v_cmp_ne_u32_e32 vcc_lo, 0, v152
	v_ashrrev_i32_e32 v158, 31, v158
	v_lshlrev_b32_e32 v152, 24, v148
	v_ashrrev_i32_e32 v147, 31, v147
	v_mad_u32_u24 v148, v148, 9, v126
	v_xor_b32_e32 v37, vcc_lo, v37
	v_cmp_gt_i32_e32 vcc_lo, 0, v150
	v_not_b32_e32 v150, v151
	v_xor_b32_e32 v158, s17, v158
	v_cmp_gt_i32_e64 s17, 0, v151
	v_and_b32_e32 v37, exec_lo, v37
	v_not_b32_e32 v151, v154
	v_ashrrev_i32_e32 v150, 31, v150
	v_xor_b32_e32 v147, vcc_lo, v147
	v_cmp_gt_i32_e32 vcc_lo, 0, v154
	v_and_b32_e32 v37, v37, v158
	v_not_b32_e32 v154, v155
	v_ashrrev_i32_e32 v151, 31, v151
	v_xor_b32_e32 v150, s17, v150
	v_cmp_gt_i32_e64 s17, 0, v155
	v_and_b32_e32 v37, v37, v147
	v_not_b32_e32 v147, v156
	v_ashrrev_i32_e32 v154, 31, v154
	v_xor_b32_e32 v151, vcc_lo, v151
	v_cmp_gt_i32_e32 vcc_lo, 0, v156
	v_and_b32_e32 v37, v37, v150
	v_not_b32_e32 v150, v152
	v_ashrrev_i32_e32 v147, 31, v147
	v_xor_b32_e32 v154, s17, v154
	v_cmp_gt_i32_e64 s17, 0, v152
	v_and_b32_e32 v37, v37, v151
	v_ashrrev_i32_e32 v150, 31, v150
	v_xor_b32_e32 v147, vcc_lo, v147
	v_lshl_add_u32 v148, v148, 2, 0x420
	s_delay_alu instid0(VALU_DEP_4) | instskip(NEXT) | instid1(VALU_DEP_4)
	v_and_b32_e32 v37, v37, v154
	v_xor_b32_e32 v150, s17, v150
	s_delay_alu instid0(VALU_DEP_2) | instskip(NEXT) | instid1(VALU_DEP_1)
	v_and_b32_e32 v37, v37, v147
	v_and_b32_e32 v37, v37, v150
	s_delay_alu instid0(VALU_DEP_1) | instskip(SKIP_1) | instid1(VALU_DEP_2)
	v_mbcnt_lo_u32_b32 v147, v37, 0
	v_cmp_ne_u32_e64 s17, 0, v37
	v_cmp_eq_u32_e32 vcc_lo, 0, v147
	s_delay_alu instid0(VALU_DEP_2) | instskip(NEXT) | instid1(SALU_CYCLE_1)
	s_and_b32 s18, s17, vcc_lo
	s_and_saveexec_b32 s17, s18
	s_cbranch_execz .LBB1776_435
; %bb.434:                              ;   in Loop: Header=BB1776_397 Depth=2
	v_bcnt_u32_b32 v37, v37, 0
	ds_store_b32 v148, v37
.LBB1776_435:                           ;   in Loop: Header=BB1776_397 Depth=2
	s_or_b32 exec_lo, exec_lo, s17
	v_cmp_gt_i16_e64 vcc_lo, 0, v146
	; wave barrier
	s_delay_alu instid0(VALU_DEP_1) | instskip(NEXT) | instid1(VALU_DEP_1)
	v_cndmask_b32_e64 v37, 0x7fff, 0, vcc_lo
	v_xor_b32_e32 v146, v37, v146
	s_delay_alu instid0(VALU_DEP_1) | instskip(SKIP_1) | instid1(VALU_DEP_1)
	v_cmp_ne_u16_e64 vcc_lo, 0x8000, v146
	v_cndmask_b32_e32 v37, 0x7fff, v146, vcc_lo
	v_and_b32_e32 v37, 0xffff, v37
	s_delay_alu instid0(VALU_DEP_1) | instskip(NEXT) | instid1(VALU_DEP_1)
	v_lshrrev_b32_e32 v37, s48, v37
	v_and_b32_e32 v37, s55, v37
	s_delay_alu instid0(VALU_DEP_1)
	v_and_b32_e32 v150, 1, v37
	v_lshlrev_b32_e32 v151, 30, v37
	v_lshlrev_b32_e32 v152, 29, v37
	;; [unrolled: 1-line block ×4, first 2 shown]
	v_add_co_u32 v150, s17, v150, -1
	s_delay_alu instid0(VALU_DEP_1)
	v_cndmask_b32_e64 v155, 0, 1, s17
	v_not_b32_e32 v160, v151
	v_cmp_gt_i32_e64 s17, 0, v151
	v_not_b32_e32 v151, v152
	v_lshlrev_b32_e32 v158, 26, v37
	v_cmp_ne_u32_e32 vcc_lo, 0, v155
	v_ashrrev_i32_e32 v160, 31, v160
	v_lshlrev_b32_e32 v159, 25, v37
	v_ashrrev_i32_e32 v151, 31, v151
	v_lshlrev_b32_e32 v155, 24, v37
	v_xor_b32_e32 v150, vcc_lo, v150
	v_cmp_gt_i32_e32 vcc_lo, 0, v152
	v_not_b32_e32 v152, v154
	v_xor_b32_e32 v160, s17, v160
	v_cmp_gt_i32_e64 s17, 0, v154
	v_and_b32_e32 v150, exec_lo, v150
	v_not_b32_e32 v154, v156
	v_ashrrev_i32_e32 v152, 31, v152
	v_xor_b32_e32 v151, vcc_lo, v151
	v_cmp_gt_i32_e32 vcc_lo, 0, v156
	v_and_b32_e32 v150, v150, v160
	v_not_b32_e32 v156, v158
	v_ashrrev_i32_e32 v154, 31, v154
	v_xor_b32_e32 v152, s17, v152
	v_cmp_gt_i32_e64 s17, 0, v158
	v_and_b32_e32 v150, v150, v151
	v_not_b32_e32 v151, v159
	v_ashrrev_i32_e32 v156, 31, v156
	v_xor_b32_e32 v154, vcc_lo, v154
	v_cmp_gt_i32_e32 vcc_lo, 0, v159
	v_and_b32_e32 v150, v150, v152
	v_not_b32_e32 v152, v155
	v_ashrrev_i32_e32 v151, 31, v151
	v_xor_b32_e32 v156, s17, v156
	v_mul_u32_u24_e32 v37, 9, v37
	v_and_b32_e32 v150, v150, v154
	v_cmp_gt_i32_e64 s17, 0, v155
	v_ashrrev_i32_e32 v152, 31, v152
	v_xor_b32_e32 v151, vcc_lo, v151
	v_add_lshl_u32 v154, v37, v126, 2
	v_and_b32_e32 v150, v150, v156
	s_delay_alu instid0(VALU_DEP_4) | instskip(NEXT) | instid1(VALU_DEP_3)
	v_xor_b32_e32 v37, s17, v152
	v_add_nc_u32_e32 v152, 0x420, v154
	s_delay_alu instid0(VALU_DEP_3) | instskip(SKIP_2) | instid1(VALU_DEP_1)
	v_and_b32_e32 v151, v150, v151
	ds_load_b32 v150, v154 offset:1056
	; wave barrier
	v_and_b32_e32 v37, v151, v37
	v_mbcnt_lo_u32_b32 v151, v37, 0
	v_cmp_ne_u32_e64 s17, 0, v37
	s_delay_alu instid0(VALU_DEP_2) | instskip(NEXT) | instid1(VALU_DEP_2)
	v_cmp_eq_u32_e32 vcc_lo, 0, v151
	s_and_b32 s18, s17, vcc_lo
	s_delay_alu instid0(SALU_CYCLE_1)
	s_and_saveexec_b32 s17, s18
	s_cbranch_execz .LBB1776_437
; %bb.436:                              ;   in Loop: Header=BB1776_397 Depth=2
	s_waitcnt lgkmcnt(0)
	v_bcnt_u32_b32 v37, v37, v150
	ds_store_b32 v152, v37
.LBB1776_437:                           ;   in Loop: Header=BB1776_397 Depth=2
	s_or_b32 exec_lo, exec_lo, s17
	v_cmp_gt_i16_e64 vcc_lo, 0, v149
	; wave barrier
	s_delay_alu instid0(VALU_DEP_1) | instskip(NEXT) | instid1(VALU_DEP_1)
	v_cndmask_b32_e64 v37, 0x7fff, 0, vcc_lo
	v_xor_b32_e32 v149, v37, v149
	s_delay_alu instid0(VALU_DEP_1) | instskip(SKIP_1) | instid1(VALU_DEP_1)
	v_cmp_ne_u16_e64 vcc_lo, 0x8000, v149
	v_cndmask_b32_e32 v37, 0x7fff, v149, vcc_lo
	v_and_b32_e32 v37, 0xffff, v37
	s_delay_alu instid0(VALU_DEP_1) | instskip(NEXT) | instid1(VALU_DEP_1)
	v_lshrrev_b32_e32 v37, s48, v37
	v_and_b32_e32 v37, s55, v37
	s_delay_alu instid0(VALU_DEP_1)
	v_and_b32_e32 v154, 1, v37
	v_lshlrev_b32_e32 v155, 30, v37
	v_lshlrev_b32_e32 v156, 29, v37
	;; [unrolled: 1-line block ×4, first 2 shown]
	v_add_co_u32 v154, s17, v154, -1
	s_delay_alu instid0(VALU_DEP_1)
	v_cndmask_b32_e64 v159, 0, 1, s17
	v_not_b32_e32 v164, v155
	v_cmp_gt_i32_e64 s17, 0, v155
	v_not_b32_e32 v155, v156
	v_lshlrev_b32_e32 v162, 26, v37
	v_cmp_ne_u32_e32 vcc_lo, 0, v159
	v_ashrrev_i32_e32 v164, 31, v164
	v_lshlrev_b32_e32 v163, 25, v37
	v_ashrrev_i32_e32 v155, 31, v155
	v_lshlrev_b32_e32 v159, 24, v37
	v_xor_b32_e32 v154, vcc_lo, v154
	v_cmp_gt_i32_e32 vcc_lo, 0, v156
	v_not_b32_e32 v156, v158
	v_xor_b32_e32 v164, s17, v164
	v_cmp_gt_i32_e64 s17, 0, v158
	v_and_b32_e32 v154, exec_lo, v154
	v_not_b32_e32 v158, v160
	v_ashrrev_i32_e32 v156, 31, v156
	v_xor_b32_e32 v155, vcc_lo, v155
	v_cmp_gt_i32_e32 vcc_lo, 0, v160
	v_and_b32_e32 v154, v154, v164
	v_not_b32_e32 v160, v162
	v_ashrrev_i32_e32 v158, 31, v158
	v_xor_b32_e32 v156, s17, v156
	v_cmp_gt_i32_e64 s17, 0, v162
	v_and_b32_e32 v154, v154, v155
	v_not_b32_e32 v155, v163
	v_ashrrev_i32_e32 v160, 31, v160
	v_xor_b32_e32 v158, vcc_lo, v158
	v_cmp_gt_i32_e32 vcc_lo, 0, v163
	v_and_b32_e32 v154, v154, v156
	v_not_b32_e32 v156, v159
	v_ashrrev_i32_e32 v155, 31, v155
	v_xor_b32_e32 v160, s17, v160
	v_mul_u32_u24_e32 v37, 9, v37
	v_and_b32_e32 v154, v154, v158
	v_cmp_gt_i32_e64 s17, 0, v159
	v_ashrrev_i32_e32 v156, 31, v156
	v_xor_b32_e32 v155, vcc_lo, v155
	v_add_lshl_u32 v158, v37, v126, 2
	v_and_b32_e32 v154, v154, v160
	s_delay_alu instid0(VALU_DEP_4) | instskip(NEXT) | instid1(VALU_DEP_3)
	v_xor_b32_e32 v37, s17, v156
	v_add_nc_u32_e32 v156, 0x420, v158
	s_delay_alu instid0(VALU_DEP_3) | instskip(SKIP_2) | instid1(VALU_DEP_1)
	v_and_b32_e32 v155, v154, v155
	ds_load_b32 v154, v158 offset:1056
	; wave barrier
	v_and_b32_e32 v37, v155, v37
	v_mbcnt_lo_u32_b32 v155, v37, 0
	v_cmp_ne_u32_e64 s17, 0, v37
	s_delay_alu instid0(VALU_DEP_2) | instskip(NEXT) | instid1(VALU_DEP_2)
	v_cmp_eq_u32_e32 vcc_lo, 0, v155
	s_and_b32 s18, s17, vcc_lo
	s_delay_alu instid0(SALU_CYCLE_1)
	s_and_saveexec_b32 s17, s18
	s_cbranch_execz .LBB1776_439
; %bb.438:                              ;   in Loop: Header=BB1776_397 Depth=2
	s_waitcnt lgkmcnt(0)
	v_bcnt_u32_b32 v37, v37, v154
	ds_store_b32 v156, v37
.LBB1776_439:                           ;   in Loop: Header=BB1776_397 Depth=2
	s_or_b32 exec_lo, exec_lo, s17
	v_cmp_gt_i16_e64 vcc_lo, 0, v153
	; wave barrier
	s_delay_alu instid0(VALU_DEP_1) | instskip(NEXT) | instid1(VALU_DEP_1)
	v_cndmask_b32_e64 v37, 0x7fff, 0, vcc_lo
	v_xor_b32_e32 v153, v37, v153
	s_delay_alu instid0(VALU_DEP_1) | instskip(SKIP_1) | instid1(VALU_DEP_1)
	v_cmp_ne_u16_e64 vcc_lo, 0x8000, v153
	v_cndmask_b32_e32 v37, 0x7fff, v153, vcc_lo
	v_and_b32_e32 v37, 0xffff, v37
	s_delay_alu instid0(VALU_DEP_1) | instskip(NEXT) | instid1(VALU_DEP_1)
	v_lshrrev_b32_e32 v37, s48, v37
	v_and_b32_e32 v37, s55, v37
	s_delay_alu instid0(VALU_DEP_1)
	v_and_b32_e32 v158, 1, v37
	v_lshlrev_b32_e32 v159, 30, v37
	v_lshlrev_b32_e32 v160, 29, v37
	;; [unrolled: 1-line block ×4, first 2 shown]
	v_add_co_u32 v158, s17, v158, -1
	s_delay_alu instid0(VALU_DEP_1)
	v_cndmask_b32_e64 v163, 0, 1, s17
	v_not_b32_e32 v168, v159
	v_cmp_gt_i32_e64 s17, 0, v159
	v_not_b32_e32 v159, v160
	v_lshlrev_b32_e32 v166, 26, v37
	v_cmp_ne_u32_e32 vcc_lo, 0, v163
	v_ashrrev_i32_e32 v168, 31, v168
	v_lshlrev_b32_e32 v167, 25, v37
	v_ashrrev_i32_e32 v159, 31, v159
	v_lshlrev_b32_e32 v163, 24, v37
	v_xor_b32_e32 v158, vcc_lo, v158
	v_cmp_gt_i32_e32 vcc_lo, 0, v160
	v_not_b32_e32 v160, v162
	v_xor_b32_e32 v168, s17, v168
	v_cmp_gt_i32_e64 s17, 0, v162
	v_and_b32_e32 v158, exec_lo, v158
	v_not_b32_e32 v162, v164
	v_ashrrev_i32_e32 v160, 31, v160
	v_xor_b32_e32 v159, vcc_lo, v159
	v_cmp_gt_i32_e32 vcc_lo, 0, v164
	v_and_b32_e32 v158, v158, v168
	v_not_b32_e32 v164, v166
	v_ashrrev_i32_e32 v162, 31, v162
	v_xor_b32_e32 v160, s17, v160
	v_cmp_gt_i32_e64 s17, 0, v166
	v_and_b32_e32 v158, v158, v159
	v_not_b32_e32 v159, v167
	v_ashrrev_i32_e32 v164, 31, v164
	v_xor_b32_e32 v162, vcc_lo, v162
	v_cmp_gt_i32_e32 vcc_lo, 0, v167
	v_and_b32_e32 v158, v158, v160
	v_not_b32_e32 v160, v163
	v_ashrrev_i32_e32 v159, 31, v159
	v_xor_b32_e32 v164, s17, v164
	v_mul_u32_u24_e32 v37, 9, v37
	v_and_b32_e32 v158, v158, v162
	v_cmp_gt_i32_e64 s17, 0, v163
	v_ashrrev_i32_e32 v160, 31, v160
	v_xor_b32_e32 v159, vcc_lo, v159
	v_add_lshl_u32 v162, v37, v126, 2
	v_and_b32_e32 v158, v158, v164
	s_delay_alu instid0(VALU_DEP_4) | instskip(NEXT) | instid1(VALU_DEP_3)
	v_xor_b32_e32 v37, s17, v160
	v_add_nc_u32_e32 v160, 0x420, v162
	s_delay_alu instid0(VALU_DEP_3) | instskip(SKIP_2) | instid1(VALU_DEP_1)
	v_and_b32_e32 v159, v158, v159
	ds_load_b32 v158, v162 offset:1056
	; wave barrier
	v_and_b32_e32 v37, v159, v37
	v_mbcnt_lo_u32_b32 v159, v37, 0
	v_cmp_ne_u32_e64 s17, 0, v37
	s_delay_alu instid0(VALU_DEP_2) | instskip(NEXT) | instid1(VALU_DEP_2)
	v_cmp_eq_u32_e32 vcc_lo, 0, v159
	s_and_b32 s18, s17, vcc_lo
	s_delay_alu instid0(SALU_CYCLE_1)
	s_and_saveexec_b32 s17, s18
	s_cbranch_execz .LBB1776_441
; %bb.440:                              ;   in Loop: Header=BB1776_397 Depth=2
	s_waitcnt lgkmcnt(0)
	v_bcnt_u32_b32 v37, v37, v158
	ds_store_b32 v160, v37
.LBB1776_441:                           ;   in Loop: Header=BB1776_397 Depth=2
	s_or_b32 exec_lo, exec_lo, s17
	v_cmp_gt_i16_e64 vcc_lo, 0, v157
	; wave barrier
	s_delay_alu instid0(VALU_DEP_1) | instskip(NEXT) | instid1(VALU_DEP_1)
	v_cndmask_b32_e64 v37, 0x7fff, 0, vcc_lo
	v_xor_b32_e32 v157, v37, v157
	s_delay_alu instid0(VALU_DEP_1) | instskip(SKIP_1) | instid1(VALU_DEP_1)
	v_cmp_ne_u16_e64 vcc_lo, 0x8000, v157
	v_cndmask_b32_e32 v37, 0x7fff, v157, vcc_lo
	v_and_b32_e32 v37, 0xffff, v37
	s_delay_alu instid0(VALU_DEP_1) | instskip(NEXT) | instid1(VALU_DEP_1)
	v_lshrrev_b32_e32 v37, s48, v37
	v_and_b32_e32 v37, s55, v37
	s_delay_alu instid0(VALU_DEP_1)
	v_and_b32_e32 v162, 1, v37
	v_lshlrev_b32_e32 v163, 30, v37
	v_lshlrev_b32_e32 v164, 29, v37
	;; [unrolled: 1-line block ×4, first 2 shown]
	v_add_co_u32 v162, s17, v162, -1
	s_delay_alu instid0(VALU_DEP_1)
	v_cndmask_b32_e64 v167, 0, 1, s17
	v_not_b32_e32 v173, v163
	v_cmp_gt_i32_e64 s17, 0, v163
	v_not_b32_e32 v163, v164
	v_lshlrev_b32_e32 v171, 26, v37
	v_cmp_ne_u32_e32 vcc_lo, 0, v167
	v_ashrrev_i32_e32 v173, 31, v173
	v_lshlrev_b32_e32 v172, 25, v37
	v_ashrrev_i32_e32 v163, 31, v163
	v_lshlrev_b32_e32 v167, 24, v37
	v_xor_b32_e32 v162, vcc_lo, v162
	v_cmp_gt_i32_e32 vcc_lo, 0, v164
	v_not_b32_e32 v164, v166
	v_xor_b32_e32 v173, s17, v173
	v_cmp_gt_i32_e64 s17, 0, v166
	v_and_b32_e32 v162, exec_lo, v162
	v_not_b32_e32 v166, v168
	v_ashrrev_i32_e32 v164, 31, v164
	v_xor_b32_e32 v163, vcc_lo, v163
	v_cmp_gt_i32_e32 vcc_lo, 0, v168
	v_and_b32_e32 v162, v162, v173
	v_not_b32_e32 v168, v171
	v_ashrrev_i32_e32 v166, 31, v166
	v_xor_b32_e32 v164, s17, v164
	v_cmp_gt_i32_e64 s17, 0, v171
	v_and_b32_e32 v162, v162, v163
	v_not_b32_e32 v163, v172
	v_ashrrev_i32_e32 v168, 31, v168
	v_xor_b32_e32 v166, vcc_lo, v166
	v_cmp_gt_i32_e32 vcc_lo, 0, v172
	v_and_b32_e32 v162, v162, v164
	v_not_b32_e32 v164, v167
	v_ashrrev_i32_e32 v163, 31, v163
	v_xor_b32_e32 v168, s17, v168
	v_mul_u32_u24_e32 v37, 9, v37
	v_and_b32_e32 v162, v162, v166
	v_cmp_gt_i32_e64 s17, 0, v167
	v_ashrrev_i32_e32 v164, 31, v164
	v_xor_b32_e32 v163, vcc_lo, v163
	v_add_lshl_u32 v166, v37, v126, 2
	v_and_b32_e32 v162, v162, v168
	s_delay_alu instid0(VALU_DEP_4) | instskip(NEXT) | instid1(VALU_DEP_3)
	v_xor_b32_e32 v37, s17, v164
	v_add_nc_u32_e32 v164, 0x420, v166
	s_delay_alu instid0(VALU_DEP_3) | instskip(SKIP_2) | instid1(VALU_DEP_1)
	v_and_b32_e32 v163, v162, v163
	ds_load_b32 v162, v166 offset:1056
	; wave barrier
	v_and_b32_e32 v37, v163, v37
	v_mbcnt_lo_u32_b32 v163, v37, 0
	v_cmp_ne_u32_e64 s17, 0, v37
	s_delay_alu instid0(VALU_DEP_2) | instskip(NEXT) | instid1(VALU_DEP_2)
	v_cmp_eq_u32_e32 vcc_lo, 0, v163
	s_and_b32 s18, s17, vcc_lo
	s_delay_alu instid0(SALU_CYCLE_1)
	s_and_saveexec_b32 s17, s18
	s_cbranch_execz .LBB1776_443
; %bb.442:                              ;   in Loop: Header=BB1776_397 Depth=2
	s_waitcnt lgkmcnt(0)
	v_bcnt_u32_b32 v37, v37, v162
	ds_store_b32 v164, v37
.LBB1776_443:                           ;   in Loop: Header=BB1776_397 Depth=2
	s_or_b32 exec_lo, exec_lo, s17
	v_cmp_gt_i16_e64 vcc_lo, 0, v161
	; wave barrier
	s_delay_alu instid0(VALU_DEP_1) | instskip(NEXT) | instid1(VALU_DEP_1)
	v_cndmask_b32_e64 v37, 0x7fff, 0, vcc_lo
	v_xor_b32_e32 v161, v37, v161
	s_delay_alu instid0(VALU_DEP_1) | instskip(SKIP_1) | instid1(VALU_DEP_1)
	v_cmp_ne_u16_e64 vcc_lo, 0x8000, v161
	v_cndmask_b32_e32 v37, 0x7fff, v161, vcc_lo
	v_and_b32_e32 v37, 0xffff, v37
	s_delay_alu instid0(VALU_DEP_1) | instskip(NEXT) | instid1(VALU_DEP_1)
	v_lshrrev_b32_e32 v37, s48, v37
	v_and_b32_e32 v37, s55, v37
	s_delay_alu instid0(VALU_DEP_1)
	v_and_b32_e32 v166, 1, v37
	v_lshlrev_b32_e32 v167, 30, v37
	v_lshlrev_b32_e32 v168, 29, v37
	;; [unrolled: 1-line block ×4, first 2 shown]
	v_add_co_u32 v166, s17, v166, -1
	s_delay_alu instid0(VALU_DEP_1)
	v_cndmask_b32_e64 v172, 0, 1, s17
	v_not_b32_e32 v176, v167
	v_cmp_gt_i32_e64 s17, 0, v167
	v_not_b32_e32 v167, v168
	v_lshlrev_b32_e32 v174, 26, v37
	v_cmp_ne_u32_e32 vcc_lo, 0, v172
	v_ashrrev_i32_e32 v176, 31, v176
	v_lshlrev_b32_e32 v175, 25, v37
	v_ashrrev_i32_e32 v167, 31, v167
	v_lshlrev_b32_e32 v172, 24, v37
	v_xor_b32_e32 v166, vcc_lo, v166
	v_cmp_gt_i32_e32 vcc_lo, 0, v168
	v_not_b32_e32 v168, v171
	v_xor_b32_e32 v176, s17, v176
	v_cmp_gt_i32_e64 s17, 0, v171
	v_and_b32_e32 v166, exec_lo, v166
	v_not_b32_e32 v171, v173
	v_ashrrev_i32_e32 v168, 31, v168
	v_xor_b32_e32 v167, vcc_lo, v167
	v_cmp_gt_i32_e32 vcc_lo, 0, v173
	v_and_b32_e32 v166, v166, v176
	v_not_b32_e32 v173, v174
	v_ashrrev_i32_e32 v171, 31, v171
	v_xor_b32_e32 v168, s17, v168
	v_cmp_gt_i32_e64 s17, 0, v174
	v_and_b32_e32 v166, v166, v167
	v_not_b32_e32 v167, v175
	v_ashrrev_i32_e32 v173, 31, v173
	v_xor_b32_e32 v171, vcc_lo, v171
	v_cmp_gt_i32_e32 vcc_lo, 0, v175
	v_and_b32_e32 v166, v166, v168
	v_not_b32_e32 v168, v172
	v_ashrrev_i32_e32 v167, 31, v167
	v_xor_b32_e32 v173, s17, v173
	v_mul_u32_u24_e32 v37, 9, v37
	v_and_b32_e32 v166, v166, v171
	v_cmp_gt_i32_e64 s17, 0, v172
	v_ashrrev_i32_e32 v168, 31, v168
	v_xor_b32_e32 v167, vcc_lo, v167
	v_add_lshl_u32 v171, v37, v126, 2
	v_and_b32_e32 v166, v166, v173
	s_delay_alu instid0(VALU_DEP_4) | instskip(NEXT) | instid1(VALU_DEP_3)
	v_xor_b32_e32 v37, s17, v168
	v_add_nc_u32_e32 v168, 0x420, v171
	s_delay_alu instid0(VALU_DEP_3) | instskip(SKIP_2) | instid1(VALU_DEP_1)
	v_and_b32_e32 v167, v166, v167
	ds_load_b32 v166, v171 offset:1056
	; wave barrier
	v_and_b32_e32 v37, v167, v37
	v_mbcnt_lo_u32_b32 v167, v37, 0
	v_cmp_ne_u32_e64 s17, 0, v37
	s_delay_alu instid0(VALU_DEP_2) | instskip(NEXT) | instid1(VALU_DEP_2)
	v_cmp_eq_u32_e32 vcc_lo, 0, v167
	s_and_b32 s18, s17, vcc_lo
	s_delay_alu instid0(SALU_CYCLE_1)
	s_and_saveexec_b32 s17, s18
	s_cbranch_execz .LBB1776_445
; %bb.444:                              ;   in Loop: Header=BB1776_397 Depth=2
	s_waitcnt lgkmcnt(0)
	v_bcnt_u32_b32 v37, v37, v166
	ds_store_b32 v168, v37
.LBB1776_445:                           ;   in Loop: Header=BB1776_397 Depth=2
	s_or_b32 exec_lo, exec_lo, s17
	v_cmp_gt_i16_e64 vcc_lo, 0, v165
	; wave barrier
	s_delay_alu instid0(VALU_DEP_1) | instskip(NEXT) | instid1(VALU_DEP_1)
	v_cndmask_b32_e64 v37, 0x7fff, 0, vcc_lo
	v_xor_b32_e32 v165, v37, v165
	s_delay_alu instid0(VALU_DEP_1) | instskip(SKIP_1) | instid1(VALU_DEP_1)
	v_cmp_ne_u16_e64 vcc_lo, 0x8000, v165
	v_cndmask_b32_e32 v37, 0x7fff, v165, vcc_lo
	v_and_b32_e32 v37, 0xffff, v37
	s_delay_alu instid0(VALU_DEP_1) | instskip(NEXT) | instid1(VALU_DEP_1)
	v_lshrrev_b32_e32 v37, s48, v37
	v_and_b32_e32 v37, s55, v37
	s_delay_alu instid0(VALU_DEP_1)
	v_and_b32_e32 v171, 1, v37
	v_lshlrev_b32_e32 v172, 30, v37
	v_lshlrev_b32_e32 v173, 29, v37
	;; [unrolled: 1-line block ×4, first 2 shown]
	v_add_co_u32 v171, s17, v171, -1
	s_delay_alu instid0(VALU_DEP_1)
	v_cndmask_b32_e64 v175, 0, 1, s17
	v_not_b32_e32 v179, v172
	v_cmp_gt_i32_e64 s17, 0, v172
	v_not_b32_e32 v172, v173
	v_lshlrev_b32_e32 v177, 26, v37
	v_cmp_ne_u32_e32 vcc_lo, 0, v175
	v_ashrrev_i32_e32 v179, 31, v179
	v_lshlrev_b32_e32 v178, 25, v37
	v_ashrrev_i32_e32 v172, 31, v172
	v_lshlrev_b32_e32 v175, 24, v37
	v_xor_b32_e32 v171, vcc_lo, v171
	v_cmp_gt_i32_e32 vcc_lo, 0, v173
	v_not_b32_e32 v173, v174
	v_xor_b32_e32 v179, s17, v179
	v_cmp_gt_i32_e64 s17, 0, v174
	v_and_b32_e32 v171, exec_lo, v171
	v_not_b32_e32 v174, v176
	v_ashrrev_i32_e32 v173, 31, v173
	v_xor_b32_e32 v172, vcc_lo, v172
	v_cmp_gt_i32_e32 vcc_lo, 0, v176
	v_and_b32_e32 v171, v171, v179
	v_not_b32_e32 v176, v177
	v_ashrrev_i32_e32 v174, 31, v174
	v_xor_b32_e32 v173, s17, v173
	v_cmp_gt_i32_e64 s17, 0, v177
	v_and_b32_e32 v171, v171, v172
	v_not_b32_e32 v172, v178
	v_ashrrev_i32_e32 v176, 31, v176
	v_xor_b32_e32 v174, vcc_lo, v174
	v_cmp_gt_i32_e32 vcc_lo, 0, v178
	v_and_b32_e32 v171, v171, v173
	v_not_b32_e32 v173, v175
	v_ashrrev_i32_e32 v172, 31, v172
	v_xor_b32_e32 v176, s17, v176
	v_mul_u32_u24_e32 v37, 9, v37
	v_and_b32_e32 v171, v171, v174
	v_cmp_gt_i32_e64 s17, 0, v175
	v_ashrrev_i32_e32 v173, 31, v173
	v_xor_b32_e32 v172, vcc_lo, v172
	v_add_lshl_u32 v174, v37, v126, 2
	v_and_b32_e32 v171, v171, v176
	s_delay_alu instid0(VALU_DEP_4) | instskip(NEXT) | instid1(VALU_DEP_3)
	v_xor_b32_e32 v37, s17, v173
	v_add_nc_u32_e32 v173, 0x420, v174
	s_delay_alu instid0(VALU_DEP_3) | instskip(SKIP_2) | instid1(VALU_DEP_1)
	v_and_b32_e32 v172, v171, v172
	ds_load_b32 v171, v174 offset:1056
	; wave barrier
	v_and_b32_e32 v37, v172, v37
	v_mbcnt_lo_u32_b32 v172, v37, 0
	v_cmp_ne_u32_e64 s17, 0, v37
	s_delay_alu instid0(VALU_DEP_2) | instskip(NEXT) | instid1(VALU_DEP_2)
	v_cmp_eq_u32_e32 vcc_lo, 0, v172
	s_and_b32 s18, s17, vcc_lo
	s_delay_alu instid0(SALU_CYCLE_1)
	s_and_saveexec_b32 s17, s18
	s_cbranch_execz .LBB1776_447
; %bb.446:                              ;   in Loop: Header=BB1776_397 Depth=2
	s_waitcnt lgkmcnt(0)
	v_bcnt_u32_b32 v37, v37, v171
	ds_store_b32 v173, v37
.LBB1776_447:                           ;   in Loop: Header=BB1776_397 Depth=2
	s_or_b32 exec_lo, exec_lo, s17
	v_cmp_gt_i16_e64 vcc_lo, 0, v170
	; wave barrier
	s_delay_alu instid0(VALU_DEP_1) | instskip(NEXT) | instid1(VALU_DEP_1)
	v_cndmask_b32_e64 v37, 0x7fff, 0, vcc_lo
	v_xor_b32_e32 v170, v37, v170
	s_delay_alu instid0(VALU_DEP_1) | instskip(SKIP_1) | instid1(VALU_DEP_1)
	v_cmp_ne_u16_e64 vcc_lo, 0x8000, v170
	v_cndmask_b32_e32 v37, 0x7fff, v170, vcc_lo
	v_and_b32_e32 v37, 0xffff, v37
	s_delay_alu instid0(VALU_DEP_1) | instskip(NEXT) | instid1(VALU_DEP_1)
	v_lshrrev_b32_e32 v37, s48, v37
	v_and_b32_e32 v37, s55, v37
	s_delay_alu instid0(VALU_DEP_1)
	v_and_b32_e32 v174, 1, v37
	v_lshlrev_b32_e32 v175, 30, v37
	v_lshlrev_b32_e32 v176, 29, v37
	v_lshlrev_b32_e32 v177, 28, v37
	v_lshlrev_b32_e32 v179, 27, v37
	v_add_co_u32 v174, s17, v174, -1
	s_delay_alu instid0(VALU_DEP_1)
	v_cndmask_b32_e64 v178, 0, 1, s17
	v_not_b32_e32 v182, v175
	v_cmp_gt_i32_e64 s17, 0, v175
	v_not_b32_e32 v175, v176
	v_lshlrev_b32_e32 v180, 26, v37
	v_cmp_ne_u32_e32 vcc_lo, 0, v178
	v_ashrrev_i32_e32 v182, 31, v182
	v_lshlrev_b32_e32 v181, 25, v37
	v_ashrrev_i32_e32 v175, 31, v175
	v_lshlrev_b32_e32 v178, 24, v37
	v_xor_b32_e32 v174, vcc_lo, v174
	v_cmp_gt_i32_e32 vcc_lo, 0, v176
	v_not_b32_e32 v176, v177
	v_xor_b32_e32 v182, s17, v182
	v_cmp_gt_i32_e64 s17, 0, v177
	v_and_b32_e32 v174, exec_lo, v174
	v_not_b32_e32 v177, v179
	v_ashrrev_i32_e32 v176, 31, v176
	v_xor_b32_e32 v175, vcc_lo, v175
	v_cmp_gt_i32_e32 vcc_lo, 0, v179
	v_and_b32_e32 v174, v174, v182
	v_not_b32_e32 v179, v180
	v_ashrrev_i32_e32 v177, 31, v177
	v_xor_b32_e32 v176, s17, v176
	v_cmp_gt_i32_e64 s17, 0, v180
	v_and_b32_e32 v174, v174, v175
	v_not_b32_e32 v175, v181
	v_ashrrev_i32_e32 v179, 31, v179
	v_xor_b32_e32 v177, vcc_lo, v177
	v_cmp_gt_i32_e32 vcc_lo, 0, v181
	v_and_b32_e32 v174, v174, v176
	v_not_b32_e32 v176, v178
	v_ashrrev_i32_e32 v175, 31, v175
	v_xor_b32_e32 v179, s17, v179
	v_mul_u32_u24_e32 v37, 9, v37
	v_and_b32_e32 v174, v174, v177
	v_cmp_gt_i32_e64 s17, 0, v178
	v_ashrrev_i32_e32 v176, 31, v176
	v_xor_b32_e32 v175, vcc_lo, v175
	v_add_lshl_u32 v177, v37, v126, 2
	v_and_b32_e32 v174, v174, v179
	s_delay_alu instid0(VALU_DEP_4) | instskip(NEXT) | instid1(VALU_DEP_3)
	v_xor_b32_e32 v37, s17, v176
	v_add_nc_u32_e32 v176, 0x420, v177
	s_delay_alu instid0(VALU_DEP_3) | instskip(SKIP_2) | instid1(VALU_DEP_1)
	v_and_b32_e32 v175, v174, v175
	ds_load_b32 v174, v177 offset:1056
	; wave barrier
	v_and_b32_e32 v37, v175, v37
	v_mbcnt_lo_u32_b32 v175, v37, 0
	v_cmp_ne_u32_e64 s17, 0, v37
	s_delay_alu instid0(VALU_DEP_2) | instskip(NEXT) | instid1(VALU_DEP_2)
	v_cmp_eq_u32_e32 vcc_lo, 0, v175
	s_and_b32 s18, s17, vcc_lo
	s_delay_alu instid0(SALU_CYCLE_1)
	s_and_saveexec_b32 s17, s18
	s_cbranch_execz .LBB1776_449
; %bb.448:                              ;   in Loop: Header=BB1776_397 Depth=2
	s_waitcnt lgkmcnt(0)
	v_bcnt_u32_b32 v37, v37, v174
	ds_store_b32 v176, v37
.LBB1776_449:                           ;   in Loop: Header=BB1776_397 Depth=2
	s_or_b32 exec_lo, exec_lo, s17
	v_cmp_gt_i16_e64 vcc_lo, 0, v169
	; wave barrier
	s_delay_alu instid0(VALU_DEP_1) | instskip(NEXT) | instid1(VALU_DEP_1)
	v_cndmask_b32_e64 v37, 0x7fff, 0, vcc_lo
	v_xor_b32_e32 v169, v37, v169
	s_delay_alu instid0(VALU_DEP_1) | instskip(SKIP_1) | instid1(VALU_DEP_1)
	v_cmp_ne_u16_e64 vcc_lo, 0x8000, v169
	v_cndmask_b32_e32 v37, 0x7fff, v169, vcc_lo
	v_and_b32_e32 v37, 0xffff, v37
	s_delay_alu instid0(VALU_DEP_1) | instskip(NEXT) | instid1(VALU_DEP_1)
	v_lshrrev_b32_e32 v37, s48, v37
	v_and_b32_e32 v37, s55, v37
	s_delay_alu instid0(VALU_DEP_1)
	v_and_b32_e32 v177, 1, v37
	v_lshlrev_b32_e32 v178, 30, v37
	v_lshlrev_b32_e32 v179, 29, v37
	;; [unrolled: 1-line block ×4, first 2 shown]
	v_add_co_u32 v177, s17, v177, -1
	s_delay_alu instid0(VALU_DEP_1)
	v_cndmask_b32_e64 v181, 0, 1, s17
	v_not_b32_e32 v185, v178
	v_cmp_gt_i32_e64 s17, 0, v178
	v_not_b32_e32 v178, v179
	v_lshlrev_b32_e32 v183, 26, v37
	v_cmp_ne_u32_e32 vcc_lo, 0, v181
	v_ashrrev_i32_e32 v185, 31, v185
	v_lshlrev_b32_e32 v184, 25, v37
	v_ashrrev_i32_e32 v178, 31, v178
	v_lshlrev_b32_e32 v181, 24, v37
	v_xor_b32_e32 v177, vcc_lo, v177
	v_cmp_gt_i32_e32 vcc_lo, 0, v179
	v_not_b32_e32 v179, v180
	v_xor_b32_e32 v185, s17, v185
	v_cmp_gt_i32_e64 s17, 0, v180
	v_and_b32_e32 v177, exec_lo, v177
	v_not_b32_e32 v180, v182
	v_ashrrev_i32_e32 v179, 31, v179
	v_xor_b32_e32 v178, vcc_lo, v178
	v_cmp_gt_i32_e32 vcc_lo, 0, v182
	v_and_b32_e32 v177, v177, v185
	v_not_b32_e32 v182, v183
	v_ashrrev_i32_e32 v180, 31, v180
	v_xor_b32_e32 v179, s17, v179
	v_cmp_gt_i32_e64 s17, 0, v183
	v_and_b32_e32 v177, v177, v178
	v_not_b32_e32 v178, v184
	v_ashrrev_i32_e32 v182, 31, v182
	v_xor_b32_e32 v180, vcc_lo, v180
	v_cmp_gt_i32_e32 vcc_lo, 0, v184
	v_and_b32_e32 v177, v177, v179
	v_not_b32_e32 v179, v181
	v_ashrrev_i32_e32 v178, 31, v178
	v_xor_b32_e32 v182, s17, v182
	v_mul_u32_u24_e32 v37, 9, v37
	v_and_b32_e32 v177, v177, v180
	v_cmp_gt_i32_e64 s17, 0, v181
	v_ashrrev_i32_e32 v179, 31, v179
	v_xor_b32_e32 v178, vcc_lo, v178
	v_add_lshl_u32 v180, v37, v126, 2
	v_and_b32_e32 v177, v177, v182
	s_delay_alu instid0(VALU_DEP_4) | instskip(NEXT) | instid1(VALU_DEP_2)
	v_xor_b32_e32 v37, s17, v179
	v_and_b32_e32 v177, v177, v178
	ds_load_b32 v178, v180 offset:1056
	v_add_nc_u32_e32 v180, 0x420, v180
	; wave barrier
	v_and_b32_e32 v37, v177, v37
	s_delay_alu instid0(VALU_DEP_1) | instskip(SKIP_1) | instid1(VALU_DEP_2)
	v_mbcnt_lo_u32_b32 v179, v37, 0
	v_cmp_ne_u32_e64 s17, 0, v37
	v_cmp_eq_u32_e32 vcc_lo, 0, v179
	s_delay_alu instid0(VALU_DEP_2) | instskip(NEXT) | instid1(SALU_CYCLE_1)
	s_and_b32 s18, s17, vcc_lo
	s_and_saveexec_b32 s17, s18
	s_cbranch_execz .LBB1776_451
; %bb.450:                              ;   in Loop: Header=BB1776_397 Depth=2
	s_waitcnt lgkmcnt(0)
	v_bcnt_u32_b32 v37, v37, v178
	ds_store_b32 v180, v37
.LBB1776_451:                           ;   in Loop: Header=BB1776_397 Depth=2
	s_or_b32 exec_lo, exec_lo, s17
	v_cmp_gt_i16_e32 vcc_lo, 0, v43
	; wave barrier
	v_cndmask_b32_e64 v37, 0x7fff, 0, vcc_lo
	s_delay_alu instid0(VALU_DEP_1) | instskip(NEXT) | instid1(VALU_DEP_1)
	v_xor_b32_e32 v177, v37, v43
	v_cmp_ne_u16_e64 vcc_lo, 0x8000, v177
	v_cndmask_b32_e32 v37, 0x7fff, v177, vcc_lo
	s_delay_alu instid0(VALU_DEP_1) | instskip(NEXT) | instid1(VALU_DEP_1)
	v_and_b32_e32 v37, 0xffff, v37
	v_lshrrev_b32_e32 v37, s48, v37
	s_delay_alu instid0(VALU_DEP_1) | instskip(NEXT) | instid1(VALU_DEP_1)
	v_and_b32_e32 v37, s55, v37
	v_and_b32_e32 v43, 1, v37
	v_lshlrev_b32_e32 v181, 30, v37
	v_lshlrev_b32_e32 v182, 29, v37
	;; [unrolled: 1-line block ×4, first 2 shown]
	v_add_co_u32 v43, s17, v43, -1
	s_delay_alu instid0(VALU_DEP_1)
	v_cndmask_b32_e64 v184, 0, 1, s17
	v_not_b32_e32 v188, v181
	v_cmp_gt_i32_e64 s17, 0, v181
	v_not_b32_e32 v181, v182
	v_lshlrev_b32_e32 v186, 26, v37
	v_cmp_ne_u32_e32 vcc_lo, 0, v184
	v_ashrrev_i32_e32 v188, 31, v188
	v_lshlrev_b32_e32 v187, 25, v37
	v_ashrrev_i32_e32 v181, 31, v181
	v_lshlrev_b32_e32 v184, 24, v37
	v_xor_b32_e32 v43, vcc_lo, v43
	v_cmp_gt_i32_e32 vcc_lo, 0, v182
	v_not_b32_e32 v182, v183
	v_xor_b32_e32 v188, s17, v188
	v_cmp_gt_i32_e64 s17, 0, v183
	v_and_b32_e32 v43, exec_lo, v43
	v_not_b32_e32 v183, v185
	v_ashrrev_i32_e32 v182, 31, v182
	v_xor_b32_e32 v181, vcc_lo, v181
	v_cmp_gt_i32_e32 vcc_lo, 0, v185
	v_and_b32_e32 v43, v43, v188
	v_not_b32_e32 v185, v186
	v_ashrrev_i32_e32 v183, 31, v183
	v_xor_b32_e32 v182, s17, v182
	v_cmp_gt_i32_e64 s17, 0, v186
	v_and_b32_e32 v43, v43, v181
	v_not_b32_e32 v181, v187
	v_ashrrev_i32_e32 v185, 31, v185
	v_xor_b32_e32 v183, vcc_lo, v183
	v_cmp_gt_i32_e32 vcc_lo, 0, v187
	v_and_b32_e32 v43, v43, v182
	v_not_b32_e32 v182, v184
	v_ashrrev_i32_e32 v181, 31, v181
	v_xor_b32_e32 v185, s17, v185
	v_mul_u32_u24_e32 v37, 9, v37
	v_and_b32_e32 v43, v43, v183
	v_cmp_gt_i32_e64 s17, 0, v184
	v_ashrrev_i32_e32 v182, 31, v182
	v_xor_b32_e32 v181, vcc_lo, v181
	v_add_lshl_u32 v184, v37, v126, 2
	v_and_b32_e32 v43, v43, v185
	s_delay_alu instid0(VALU_DEP_4) | instskip(SKIP_3) | instid1(VALU_DEP_2)
	v_xor_b32_e32 v37, s17, v182
	ds_load_b32 v182, v184 offset:1056
	v_and_b32_e32 v43, v43, v181
	v_add_nc_u32_e32 v184, 0x420, v184
	; wave barrier
	v_and_b32_e32 v37, v43, v37
	s_delay_alu instid0(VALU_DEP_1) | instskip(SKIP_1) | instid1(VALU_DEP_2)
	v_mbcnt_lo_u32_b32 v183, v37, 0
	v_cmp_ne_u32_e64 s17, 0, v37
	v_cmp_eq_u32_e32 vcc_lo, 0, v183
	s_delay_alu instid0(VALU_DEP_2) | instskip(NEXT) | instid1(SALU_CYCLE_1)
	s_and_b32 s18, s17, vcc_lo
	s_and_saveexec_b32 s17, s18
	s_cbranch_execz .LBB1776_453
; %bb.452:                              ;   in Loop: Header=BB1776_397 Depth=2
	s_waitcnt lgkmcnt(0)
	v_bcnt_u32_b32 v37, v37, v182
	ds_store_b32 v184, v37
.LBB1776_453:                           ;   in Loop: Header=BB1776_397 Depth=2
	s_or_b32 exec_lo, exec_lo, s17
	v_cmp_gt_i16_e32 vcc_lo, 0, v42
	; wave barrier
	v_cndmask_b32_e64 v37, 0x7fff, 0, vcc_lo
	s_delay_alu instid0(VALU_DEP_1) | instskip(NEXT) | instid1(VALU_DEP_1)
	v_xor_b32_e32 v181, v37, v42
	v_cmp_ne_u16_e64 vcc_lo, 0x8000, v181
	v_cndmask_b32_e32 v37, 0x7fff, v181, vcc_lo
	s_delay_alu instid0(VALU_DEP_1) | instskip(NEXT) | instid1(VALU_DEP_1)
	v_and_b32_e32 v37, 0xffff, v37
	v_lshrrev_b32_e32 v37, s48, v37
	s_delay_alu instid0(VALU_DEP_1) | instskip(NEXT) | instid1(VALU_DEP_1)
	v_and_b32_e32 v37, s55, v37
	v_and_b32_e32 v42, 1, v37
	v_lshlrev_b32_e32 v43, 30, v37
	v_lshlrev_b32_e32 v185, 29, v37
	v_lshlrev_b32_e32 v186, 28, v37
	v_lshlrev_b32_e32 v188, 27, v37
	v_add_co_u32 v42, s17, v42, -1
	s_delay_alu instid0(VALU_DEP_1)
	v_cndmask_b32_e64 v187, 0, 1, s17
	v_not_b32_e32 v191, v43
	v_cmp_gt_i32_e64 s17, 0, v43
	v_not_b32_e32 v43, v185
	v_lshlrev_b32_e32 v189, 26, v37
	v_cmp_ne_u32_e32 vcc_lo, 0, v187
	v_ashrrev_i32_e32 v191, 31, v191
	v_lshlrev_b32_e32 v190, 25, v37
	v_ashrrev_i32_e32 v43, 31, v43
	v_lshlrev_b32_e32 v187, 24, v37
	v_xor_b32_e32 v42, vcc_lo, v42
	v_cmp_gt_i32_e32 vcc_lo, 0, v185
	v_not_b32_e32 v185, v186
	v_xor_b32_e32 v191, s17, v191
	v_cmp_gt_i32_e64 s17, 0, v186
	v_and_b32_e32 v42, exec_lo, v42
	v_not_b32_e32 v186, v188
	v_ashrrev_i32_e32 v185, 31, v185
	v_xor_b32_e32 v43, vcc_lo, v43
	v_cmp_gt_i32_e32 vcc_lo, 0, v188
	v_and_b32_e32 v42, v42, v191
	v_not_b32_e32 v188, v189
	v_ashrrev_i32_e32 v186, 31, v186
	v_xor_b32_e32 v185, s17, v185
	v_cmp_gt_i32_e64 s17, 0, v189
	v_and_b32_e32 v42, v42, v43
	v_not_b32_e32 v43, v190
	v_ashrrev_i32_e32 v188, 31, v188
	v_xor_b32_e32 v186, vcc_lo, v186
	v_cmp_gt_i32_e32 vcc_lo, 0, v190
	v_and_b32_e32 v42, v42, v185
	v_not_b32_e32 v185, v187
	v_ashrrev_i32_e32 v43, 31, v43
	v_xor_b32_e32 v188, s17, v188
	v_mul_u32_u24_e32 v37, 9, v37
	v_and_b32_e32 v42, v42, v186
	v_cmp_gt_i32_e64 s17, 0, v187
	v_ashrrev_i32_e32 v185, 31, v185
	v_xor_b32_e32 v43, vcc_lo, v43
	s_delay_alu instid0(VALU_DEP_4) | instskip(SKIP_1) | instid1(VALU_DEP_4)
	v_and_b32_e32 v42, v42, v188
	v_add_lshl_u32 v188, v37, v126, 2
	v_xor_b32_e32 v37, s17, v185
	s_delay_alu instid0(VALU_DEP_3) | instskip(SKIP_3) | instid1(VALU_DEP_1)
	v_and_b32_e32 v42, v42, v43
	ds_load_b32 v186, v188 offset:1056
	v_add_nc_u32_e32 v188, 0x420, v188
	; wave barrier
	v_and_b32_e32 v37, v42, v37
	v_mbcnt_lo_u32_b32 v187, v37, 0
	v_cmp_ne_u32_e64 s17, 0, v37
	s_delay_alu instid0(VALU_DEP_2) | instskip(NEXT) | instid1(VALU_DEP_2)
	v_cmp_eq_u32_e32 vcc_lo, 0, v187
	s_and_b32 s18, s17, vcc_lo
	s_delay_alu instid0(SALU_CYCLE_1)
	s_and_saveexec_b32 s17, s18
	s_cbranch_execz .LBB1776_455
; %bb.454:                              ;   in Loop: Header=BB1776_397 Depth=2
	s_waitcnt lgkmcnt(0)
	v_bcnt_u32_b32 v37, v37, v186
	ds_store_b32 v188, v37
.LBB1776_455:                           ;   in Loop: Header=BB1776_397 Depth=2
	s_or_b32 exec_lo, exec_lo, s17
	v_cmp_gt_i16_e32 vcc_lo, 0, v41
	; wave barrier
	v_cndmask_b32_e64 v37, 0x7fff, 0, vcc_lo
	s_delay_alu instid0(VALU_DEP_1) | instskip(NEXT) | instid1(VALU_DEP_1)
	v_xor_b32_e32 v185, v37, v41
	v_cmp_ne_u16_e64 vcc_lo, 0x8000, v185
	v_cndmask_b32_e32 v37, 0x7fff, v185, vcc_lo
	s_delay_alu instid0(VALU_DEP_1) | instskip(NEXT) | instid1(VALU_DEP_1)
	v_and_b32_e32 v37, 0xffff, v37
	v_lshrrev_b32_e32 v37, s48, v37
	s_delay_alu instid0(VALU_DEP_1) | instskip(NEXT) | instid1(VALU_DEP_1)
	v_and_b32_e32 v37, s55, v37
	v_and_b32_e32 v41, 1, v37
	v_lshlrev_b32_e32 v42, 30, v37
	v_lshlrev_b32_e32 v43, 29, v37
	;; [unrolled: 1-line block ×4, first 2 shown]
	v_add_co_u32 v41, s17, v41, -1
	s_delay_alu instid0(VALU_DEP_1)
	v_cndmask_b32_e64 v190, 0, 1, s17
	v_not_b32_e32 v194, v42
	v_cmp_gt_i32_e64 s17, 0, v42
	v_not_b32_e32 v42, v43
	v_lshlrev_b32_e32 v192, 26, v37
	v_cmp_ne_u32_e32 vcc_lo, 0, v190
	v_ashrrev_i32_e32 v194, 31, v194
	v_lshlrev_b32_e32 v193, 25, v37
	v_ashrrev_i32_e32 v42, 31, v42
	v_lshlrev_b32_e32 v190, 24, v37
	v_xor_b32_e32 v41, vcc_lo, v41
	v_cmp_gt_i32_e32 vcc_lo, 0, v43
	v_not_b32_e32 v43, v189
	v_xor_b32_e32 v194, s17, v194
	v_cmp_gt_i32_e64 s17, 0, v189
	v_and_b32_e32 v41, exec_lo, v41
	v_not_b32_e32 v189, v191
	v_ashrrev_i32_e32 v43, 31, v43
	v_xor_b32_e32 v42, vcc_lo, v42
	v_cmp_gt_i32_e32 vcc_lo, 0, v191
	v_and_b32_e32 v41, v41, v194
	v_not_b32_e32 v191, v192
	v_ashrrev_i32_e32 v189, 31, v189
	v_xor_b32_e32 v43, s17, v43
	v_cmp_gt_i32_e64 s17, 0, v192
	v_and_b32_e32 v41, v41, v42
	v_not_b32_e32 v42, v193
	v_ashrrev_i32_e32 v191, 31, v191
	v_xor_b32_e32 v189, vcc_lo, v189
	v_cmp_gt_i32_e32 vcc_lo, 0, v193
	v_and_b32_e32 v41, v41, v43
	v_not_b32_e32 v43, v190
	v_ashrrev_i32_e32 v42, 31, v42
	v_xor_b32_e32 v191, s17, v191
	v_mul_u32_u24_e32 v37, 9, v37
	v_and_b32_e32 v41, v41, v189
	v_cmp_gt_i32_e64 s17, 0, v190
	v_ashrrev_i32_e32 v43, 31, v43
	v_xor_b32_e32 v42, vcc_lo, v42
	v_add_lshl_u32 v189, v37, v126, 2
	v_and_b32_e32 v41, v41, v191
	s_delay_alu instid0(VALU_DEP_4) | instskip(SKIP_3) | instid1(VALU_DEP_2)
	v_xor_b32_e32 v37, s17, v43
	ds_load_b32 v190, v189 offset:1056
	v_and_b32_e32 v41, v41, v42
	v_add_nc_u32_e32 v192, 0x420, v189
	; wave barrier
	v_and_b32_e32 v37, v41, v37
	s_delay_alu instid0(VALU_DEP_1) | instskip(SKIP_1) | instid1(VALU_DEP_2)
	v_mbcnt_lo_u32_b32 v191, v37, 0
	v_cmp_ne_u32_e64 s17, 0, v37
	v_cmp_eq_u32_e32 vcc_lo, 0, v191
	s_delay_alu instid0(VALU_DEP_2) | instskip(NEXT) | instid1(SALU_CYCLE_1)
	s_and_b32 s18, s17, vcc_lo
	s_and_saveexec_b32 s17, s18
	s_cbranch_execz .LBB1776_457
; %bb.456:                              ;   in Loop: Header=BB1776_397 Depth=2
	s_waitcnt lgkmcnt(0)
	v_bcnt_u32_b32 v37, v37, v190
	ds_store_b32 v192, v37
.LBB1776_457:                           ;   in Loop: Header=BB1776_397 Depth=2
	s_or_b32 exec_lo, exec_lo, s17
	v_cmp_gt_i16_e32 vcc_lo, 0, v40
	; wave barrier
	v_cndmask_b32_e64 v37, 0x7fff, 0, vcc_lo
	s_delay_alu instid0(VALU_DEP_1) | instskip(NEXT) | instid1(VALU_DEP_1)
	v_xor_b32_e32 v189, v37, v40
	v_cmp_ne_u16_e64 vcc_lo, 0x8000, v189
	v_cndmask_b32_e32 v37, 0x7fff, v189, vcc_lo
	s_delay_alu instid0(VALU_DEP_1) | instskip(NEXT) | instid1(VALU_DEP_1)
	v_and_b32_e32 v37, 0xffff, v37
	v_lshrrev_b32_e32 v37, s48, v37
	s_delay_alu instid0(VALU_DEP_1) | instskip(NEXT) | instid1(VALU_DEP_1)
	v_and_b32_e32 v37, s55, v37
	v_and_b32_e32 v40, 1, v37
	v_lshlrev_b32_e32 v41, 30, v37
	v_lshlrev_b32_e32 v42, 29, v37
	;; [unrolled: 1-line block ×4, first 2 shown]
	v_add_co_u32 v40, s17, v40, -1
	s_delay_alu instid0(VALU_DEP_1)
	v_cndmask_b32_e64 v193, 0, 1, s17
	v_not_b32_e32 v197, v41
	v_cmp_gt_i32_e64 s17, 0, v41
	v_not_b32_e32 v41, v42
	v_lshlrev_b32_e32 v195, 26, v37
	v_cmp_ne_u32_e32 vcc_lo, 0, v193
	v_ashrrev_i32_e32 v197, 31, v197
	v_lshlrev_b32_e32 v196, 25, v37
	v_ashrrev_i32_e32 v41, 31, v41
	v_lshlrev_b32_e32 v193, 24, v37
	v_xor_b32_e32 v40, vcc_lo, v40
	v_cmp_gt_i32_e32 vcc_lo, 0, v42
	v_not_b32_e32 v42, v43
	v_xor_b32_e32 v197, s17, v197
	v_cmp_gt_i32_e64 s17, 0, v43
	v_and_b32_e32 v40, exec_lo, v40
	v_not_b32_e32 v43, v194
	v_ashrrev_i32_e32 v42, 31, v42
	v_xor_b32_e32 v41, vcc_lo, v41
	v_cmp_gt_i32_e32 vcc_lo, 0, v194
	v_and_b32_e32 v40, v40, v197
	v_not_b32_e32 v194, v195
	v_ashrrev_i32_e32 v43, 31, v43
	v_xor_b32_e32 v42, s17, v42
	v_cmp_gt_i32_e64 s17, 0, v195
	v_and_b32_e32 v40, v40, v41
	v_not_b32_e32 v41, v196
	v_ashrrev_i32_e32 v194, 31, v194
	v_xor_b32_e32 v43, vcc_lo, v43
	v_cmp_gt_i32_e32 vcc_lo, 0, v196
	v_and_b32_e32 v40, v40, v42
	v_not_b32_e32 v42, v193
	v_ashrrev_i32_e32 v41, 31, v41
	v_xor_b32_e32 v194, s17, v194
	v_mul_u32_u24_e32 v37, 9, v37
	v_and_b32_e32 v40, v40, v43
	v_cmp_gt_i32_e64 s17, 0, v193
	v_ashrrev_i32_e32 v42, 31, v42
	v_xor_b32_e32 v41, vcc_lo, v41
	v_add_lshl_u32 v43, v37, v126, 2
	v_and_b32_e32 v40, v40, v194
	s_delay_alu instid0(VALU_DEP_4) | instskip(SKIP_3) | instid1(VALU_DEP_2)
	v_xor_b32_e32 v37, s17, v42
	ds_load_b32 v194, v43 offset:1056
	v_and_b32_e32 v40, v40, v41
	v_add_nc_u32_e32 v196, 0x420, v43
	; wave barrier
	v_and_b32_e32 v37, v40, v37
	s_delay_alu instid0(VALU_DEP_1) | instskip(SKIP_1) | instid1(VALU_DEP_2)
	v_mbcnt_lo_u32_b32 v195, v37, 0
	v_cmp_ne_u32_e64 s17, 0, v37
	v_cmp_eq_u32_e32 vcc_lo, 0, v195
	s_delay_alu instid0(VALU_DEP_2) | instskip(NEXT) | instid1(SALU_CYCLE_1)
	s_and_b32 s18, s17, vcc_lo
	s_and_saveexec_b32 s17, s18
	s_cbranch_execz .LBB1776_459
; %bb.458:                              ;   in Loop: Header=BB1776_397 Depth=2
	s_waitcnt lgkmcnt(0)
	v_bcnt_u32_b32 v37, v37, v194
	ds_store_b32 v196, v37
.LBB1776_459:                           ;   in Loop: Header=BB1776_397 Depth=2
	s_or_b32 exec_lo, exec_lo, s17
	v_cmp_gt_i16_e32 vcc_lo, 0, v39
	; wave barrier
	v_cndmask_b32_e64 v37, 0x7fff, 0, vcc_lo
	s_delay_alu instid0(VALU_DEP_1) | instskip(NEXT) | instid1(VALU_DEP_1)
	v_xor_b32_e32 v193, v37, v39
	v_cmp_ne_u16_e64 vcc_lo, 0x8000, v193
	v_cndmask_b32_e32 v37, 0x7fff, v193, vcc_lo
	s_delay_alu instid0(VALU_DEP_1) | instskip(NEXT) | instid1(VALU_DEP_1)
	v_and_b32_e32 v37, 0xffff, v37
	v_lshrrev_b32_e32 v37, s48, v37
	s_delay_alu instid0(VALU_DEP_1) | instskip(NEXT) | instid1(VALU_DEP_1)
	v_and_b32_e32 v37, s55, v37
	v_and_b32_e32 v39, 1, v37
	v_lshlrev_b32_e32 v40, 30, v37
	v_lshlrev_b32_e32 v41, 29, v37
	;; [unrolled: 1-line block ×4, first 2 shown]
	v_add_co_u32 v39, s17, v39, -1
	s_delay_alu instid0(VALU_DEP_1)
	v_cndmask_b32_e64 v43, 0, 1, s17
	v_not_b32_e32 v200, v40
	v_cmp_gt_i32_e64 s17, 0, v40
	v_not_b32_e32 v40, v41
	v_lshlrev_b32_e32 v198, 26, v37
	v_cmp_ne_u32_e32 vcc_lo, 0, v43
	v_ashrrev_i32_e32 v200, 31, v200
	v_lshlrev_b32_e32 v199, 25, v37
	v_ashrrev_i32_e32 v40, 31, v40
	v_lshlrev_b32_e32 v43, 24, v37
	v_xor_b32_e32 v39, vcc_lo, v39
	v_cmp_gt_i32_e32 vcc_lo, 0, v41
	v_not_b32_e32 v41, v42
	v_xor_b32_e32 v200, s17, v200
	v_cmp_gt_i32_e64 s17, 0, v42
	v_and_b32_e32 v39, exec_lo, v39
	v_not_b32_e32 v42, v197
	v_ashrrev_i32_e32 v41, 31, v41
	v_xor_b32_e32 v40, vcc_lo, v40
	v_cmp_gt_i32_e32 vcc_lo, 0, v197
	v_and_b32_e32 v39, v39, v200
	v_not_b32_e32 v197, v198
	v_ashrrev_i32_e32 v42, 31, v42
	v_xor_b32_e32 v41, s17, v41
	v_cmp_gt_i32_e64 s17, 0, v198
	v_and_b32_e32 v39, v39, v40
	v_not_b32_e32 v40, v199
	v_ashrrev_i32_e32 v197, 31, v197
	v_xor_b32_e32 v42, vcc_lo, v42
	v_cmp_gt_i32_e32 vcc_lo, 0, v199
	v_and_b32_e32 v39, v39, v41
	v_not_b32_e32 v41, v43
	v_ashrrev_i32_e32 v40, 31, v40
	v_xor_b32_e32 v197, s17, v197
	v_mul_u32_u24_e32 v37, 9, v37
	v_and_b32_e32 v39, v39, v42
	v_cmp_gt_i32_e64 s17, 0, v43
	v_ashrrev_i32_e32 v41, 31, v41
	v_xor_b32_e32 v40, vcc_lo, v40
	v_add_lshl_u32 v42, v37, v126, 2
	v_and_b32_e32 v39, v39, v197
	s_delay_alu instid0(VALU_DEP_4) | instskip(SKIP_3) | instid1(VALU_DEP_2)
	v_xor_b32_e32 v37, s17, v41
	ds_load_b32 v198, v42 offset:1056
	v_and_b32_e32 v39, v39, v40
	v_add_nc_u32_e32 v200, 0x420, v42
	; wave barrier
	v_and_b32_e32 v37, v39, v37
	s_delay_alu instid0(VALU_DEP_1) | instskip(SKIP_1) | instid1(VALU_DEP_2)
	v_mbcnt_lo_u32_b32 v199, v37, 0
	v_cmp_ne_u32_e64 s17, 0, v37
	v_cmp_eq_u32_e32 vcc_lo, 0, v199
	s_delay_alu instid0(VALU_DEP_2) | instskip(NEXT) | instid1(SALU_CYCLE_1)
	s_and_b32 s18, s17, vcc_lo
	s_and_saveexec_b32 s17, s18
	s_cbranch_execz .LBB1776_461
; %bb.460:                              ;   in Loop: Header=BB1776_397 Depth=2
	s_waitcnt lgkmcnt(0)
	v_bcnt_u32_b32 v37, v37, v198
	ds_store_b32 v200, v37
.LBB1776_461:                           ;   in Loop: Header=BB1776_397 Depth=2
	s_or_b32 exec_lo, exec_lo, s17
	v_cmp_gt_i16_e32 vcc_lo, 0, v38
	; wave barrier
	v_cndmask_b32_e64 v37, 0x7fff, 0, vcc_lo
	s_delay_alu instid0(VALU_DEP_1) | instskip(NEXT) | instid1(VALU_DEP_1)
	v_xor_b32_e32 v197, v37, v38
	v_cmp_ne_u16_e64 vcc_lo, 0x8000, v197
	v_cndmask_b32_e32 v37, 0x7fff, v197, vcc_lo
	s_delay_alu instid0(VALU_DEP_1) | instskip(NEXT) | instid1(VALU_DEP_1)
	v_and_b32_e32 v37, 0xffff, v37
	v_lshrrev_b32_e32 v37, s48, v37
	s_delay_alu instid0(VALU_DEP_1) | instskip(NEXT) | instid1(VALU_DEP_1)
	v_and_b32_e32 v37, s55, v37
	v_and_b32_e32 v38, 1, v37
	v_lshlrev_b32_e32 v39, 30, v37
	v_lshlrev_b32_e32 v40, 29, v37
	;; [unrolled: 1-line block ×4, first 2 shown]
	v_add_co_u32 v38, s17, v38, -1
	s_delay_alu instid0(VALU_DEP_1)
	v_cndmask_b32_e64 v42, 0, 1, s17
	v_not_b32_e32 v203, v39
	v_cmp_gt_i32_e64 s17, 0, v39
	v_not_b32_e32 v39, v40
	v_lshlrev_b32_e32 v201, 26, v37
	v_cmp_ne_u32_e32 vcc_lo, 0, v42
	v_ashrrev_i32_e32 v203, 31, v203
	v_lshlrev_b32_e32 v202, 25, v37
	v_ashrrev_i32_e32 v39, 31, v39
	v_lshlrev_b32_e32 v42, 24, v37
	v_xor_b32_e32 v38, vcc_lo, v38
	v_cmp_gt_i32_e32 vcc_lo, 0, v40
	v_not_b32_e32 v40, v41
	v_xor_b32_e32 v203, s17, v203
	v_cmp_gt_i32_e64 s17, 0, v41
	v_and_b32_e32 v38, exec_lo, v38
	v_not_b32_e32 v41, v43
	v_ashrrev_i32_e32 v40, 31, v40
	v_xor_b32_e32 v39, vcc_lo, v39
	v_cmp_gt_i32_e32 vcc_lo, 0, v43
	v_and_b32_e32 v38, v38, v203
	v_not_b32_e32 v43, v201
	v_ashrrev_i32_e32 v41, 31, v41
	v_xor_b32_e32 v40, s17, v40
	v_cmp_gt_i32_e64 s17, 0, v201
	v_and_b32_e32 v38, v38, v39
	v_not_b32_e32 v39, v202
	v_ashrrev_i32_e32 v43, 31, v43
	v_xor_b32_e32 v41, vcc_lo, v41
	v_cmp_gt_i32_e32 vcc_lo, 0, v202
	v_and_b32_e32 v38, v38, v40
	v_not_b32_e32 v40, v42
	v_ashrrev_i32_e32 v39, 31, v39
	v_xor_b32_e32 v43, s17, v43
	v_mul_u32_u24_e32 v37, 9, v37
	v_and_b32_e32 v38, v38, v41
	v_cmp_gt_i32_e64 s17, 0, v42
	v_ashrrev_i32_e32 v40, 31, v40
	v_xor_b32_e32 v39, vcc_lo, v39
	v_add_lshl_u32 v41, v37, v126, 2
	v_and_b32_e32 v38, v38, v43
	s_delay_alu instid0(VALU_DEP_4) | instskip(SKIP_3) | instid1(VALU_DEP_2)
	v_xor_b32_e32 v37, s17, v40
	ds_load_b32 v202, v41 offset:1056
	v_and_b32_e32 v38, v38, v39
	v_add_nc_u32_e32 v204, 0x420, v41
	; wave barrier
	v_and_b32_e32 v37, v38, v37
	s_delay_alu instid0(VALU_DEP_1) | instskip(SKIP_1) | instid1(VALU_DEP_2)
	v_mbcnt_lo_u32_b32 v203, v37, 0
	v_cmp_ne_u32_e64 s17, 0, v37
	v_cmp_eq_u32_e32 vcc_lo, 0, v203
	s_delay_alu instid0(VALU_DEP_2) | instskip(NEXT) | instid1(SALU_CYCLE_1)
	s_and_b32 s18, s17, vcc_lo
	s_and_saveexec_b32 s17, s18
	s_cbranch_execz .LBB1776_463
; %bb.462:                              ;   in Loop: Header=BB1776_397 Depth=2
	s_waitcnt lgkmcnt(0)
	v_bcnt_u32_b32 v37, v37, v202
	ds_store_b32 v204, v37
.LBB1776_463:                           ;   in Loop: Header=BB1776_397 Depth=2
	s_or_b32 exec_lo, exec_lo, s17
	v_cmp_gt_i16_e32 vcc_lo, 0, v36
	; wave barrier
	v_cndmask_b32_e64 v37, 0x7fff, 0, vcc_lo
	s_delay_alu instid0(VALU_DEP_1) | instskip(NEXT) | instid1(VALU_DEP_1)
	v_xor_b32_e32 v201, v37, v36
	v_cmp_ne_u16_e64 vcc_lo, 0x8000, v201
	v_cndmask_b32_e32 v36, 0x7fff, v201, vcc_lo
	s_delay_alu instid0(VALU_DEP_1) | instskip(NEXT) | instid1(VALU_DEP_1)
	v_and_b32_e32 v36, 0xffff, v36
	v_lshrrev_b32_e32 v36, s48, v36
	s_delay_alu instid0(VALU_DEP_1) | instskip(NEXT) | instid1(VALU_DEP_1)
	v_and_b32_e32 v36, s55, v36
	v_and_b32_e32 v37, 1, v36
	v_lshlrev_b32_e32 v38, 30, v36
	v_lshlrev_b32_e32 v39, 29, v36
	;; [unrolled: 1-line block ×4, first 2 shown]
	v_add_co_u32 v37, s17, v37, -1
	s_delay_alu instid0(VALU_DEP_1)
	v_cndmask_b32_e64 v41, 0, 1, s17
	v_not_b32_e32 v206, v38
	v_cmp_gt_i32_e64 s17, 0, v38
	v_not_b32_e32 v38, v39
	v_lshlrev_b32_e32 v43, 26, v36
	v_cmp_ne_u32_e32 vcc_lo, 0, v41
	v_ashrrev_i32_e32 v206, 31, v206
	v_lshlrev_b32_e32 v205, 25, v36
	v_ashrrev_i32_e32 v38, 31, v38
	v_lshlrev_b32_e32 v41, 24, v36
	v_xor_b32_e32 v37, vcc_lo, v37
	v_cmp_gt_i32_e32 vcc_lo, 0, v39
	v_not_b32_e32 v39, v40
	v_xor_b32_e32 v206, s17, v206
	v_cmp_gt_i32_e64 s17, 0, v40
	v_and_b32_e32 v37, exec_lo, v37
	v_not_b32_e32 v40, v42
	v_ashrrev_i32_e32 v39, 31, v39
	v_xor_b32_e32 v38, vcc_lo, v38
	v_cmp_gt_i32_e32 vcc_lo, 0, v42
	v_and_b32_e32 v37, v37, v206
	v_not_b32_e32 v42, v43
	v_ashrrev_i32_e32 v40, 31, v40
	v_xor_b32_e32 v39, s17, v39
	v_cmp_gt_i32_e64 s17, 0, v43
	v_and_b32_e32 v37, v37, v38
	v_not_b32_e32 v38, v205
	v_ashrrev_i32_e32 v42, 31, v42
	v_xor_b32_e32 v40, vcc_lo, v40
	v_cmp_gt_i32_e32 vcc_lo, 0, v205
	v_and_b32_e32 v37, v37, v39
	v_not_b32_e32 v39, v41
	v_ashrrev_i32_e32 v38, 31, v38
	v_xor_b32_e32 v42, s17, v42
	v_mul_u32_u24_e32 v36, 9, v36
	v_and_b32_e32 v37, v37, v40
	v_cmp_gt_i32_e64 s17, 0, v41
	v_ashrrev_i32_e32 v39, 31, v39
	v_xor_b32_e32 v38, vcc_lo, v38
	v_add_lshl_u32 v40, v36, v126, 2
	v_and_b32_e32 v37, v37, v42
	s_delay_alu instid0(VALU_DEP_4) | instskip(SKIP_3) | instid1(VALU_DEP_2)
	v_xor_b32_e32 v36, s17, v39
	ds_load_b32 v205, v40 offset:1056
	v_and_b32_e32 v37, v37, v38
	v_add_nc_u32_e32 v207, 0x420, v40
	; wave barrier
	v_and_b32_e32 v36, v37, v36
	s_delay_alu instid0(VALU_DEP_1) | instskip(SKIP_1) | instid1(VALU_DEP_2)
	v_mbcnt_lo_u32_b32 v206, v36, 0
	v_cmp_ne_u32_e64 s17, 0, v36
	v_cmp_eq_u32_e32 vcc_lo, 0, v206
	s_delay_alu instid0(VALU_DEP_2) | instskip(NEXT) | instid1(SALU_CYCLE_1)
	s_and_b32 s18, s17, vcc_lo
	s_and_saveexec_b32 s17, s18
	s_cbranch_execz .LBB1776_465
; %bb.464:                              ;   in Loop: Header=BB1776_397 Depth=2
	s_waitcnt lgkmcnt(0)
	v_bcnt_u32_b32 v36, v36, v205
	ds_store_b32 v207, v36
.LBB1776_465:                           ;   in Loop: Header=BB1776_397 Depth=2
	s_or_b32 exec_lo, exec_lo, s17
	; wave barrier
	s_waitcnt lgkmcnt(0)
	s_barrier
	buffer_gl0_inv
	ds_load_b32 v208, v69 offset:1056
	ds_load_2addr_b32 v[42:43], v71 offset0:1 offset1:2
	ds_load_2addr_b32 v[40:41], v71 offset0:3 offset1:4
	;; [unrolled: 1-line block ×4, first 2 shown]
	s_waitcnt lgkmcnt(3)
	v_add3_u32 v209, v42, v208, v43
	s_waitcnt lgkmcnt(2)
	s_delay_alu instid0(VALU_DEP_1) | instskip(SKIP_1) | instid1(VALU_DEP_1)
	v_add3_u32 v209, v209, v40, v41
	s_waitcnt lgkmcnt(1)
	v_add3_u32 v209, v209, v36, v37
	s_waitcnt lgkmcnt(0)
	s_delay_alu instid0(VALU_DEP_1) | instskip(NEXT) | instid1(VALU_DEP_1)
	v_add3_u32 v39, v209, v38, v39
	v_mov_b32_dpp v209, v39 row_shr:1 row_mask:0xf bank_mask:0xf
	s_delay_alu instid0(VALU_DEP_1) | instskip(NEXT) | instid1(VALU_DEP_1)
	v_cndmask_b32_e64 v209, v209, 0, s0
	v_add_nc_u32_e32 v39, v209, v39
	s_delay_alu instid0(VALU_DEP_1) | instskip(NEXT) | instid1(VALU_DEP_1)
	v_mov_b32_dpp v209, v39 row_shr:2 row_mask:0xf bank_mask:0xf
	v_cndmask_b32_e64 v209, 0, v209, s1
	s_delay_alu instid0(VALU_DEP_1) | instskip(NEXT) | instid1(VALU_DEP_1)
	v_add_nc_u32_e32 v39, v39, v209
	v_mov_b32_dpp v209, v39 row_shr:4 row_mask:0xf bank_mask:0xf
	s_delay_alu instid0(VALU_DEP_1) | instskip(NEXT) | instid1(VALU_DEP_1)
	v_cndmask_b32_e64 v209, 0, v209, s8
	v_add_nc_u32_e32 v39, v39, v209
	s_delay_alu instid0(VALU_DEP_1) | instskip(NEXT) | instid1(VALU_DEP_1)
	v_mov_b32_dpp v209, v39 row_shr:8 row_mask:0xf bank_mask:0xf
	v_cndmask_b32_e64 v209, 0, v209, s9
	s_delay_alu instid0(VALU_DEP_1) | instskip(SKIP_3) | instid1(VALU_DEP_1)
	v_add_nc_u32_e32 v39, v39, v209
	ds_swizzle_b32 v209, v39 offset:swizzle(BROADCAST,32,15)
	s_waitcnt lgkmcnt(0)
	v_cndmask_b32_e64 v209, v209, 0, s10
	v_add_nc_u32_e32 v39, v39, v209
	s_and_saveexec_b32 s17, s3
	s_cbranch_execz .LBB1776_467
; %bb.466:                              ;   in Loop: Header=BB1776_397 Depth=2
	ds_store_b32 v62, v39 offset:1024
.LBB1776_467:                           ;   in Loop: Header=BB1776_397 Depth=2
	s_or_b32 exec_lo, exec_lo, s17
	s_waitcnt lgkmcnt(0)
	s_barrier
	buffer_gl0_inv
	s_and_saveexec_b32 s17, s4
	s_cbranch_execz .LBB1776_469
; %bb.468:                              ;   in Loop: Header=BB1776_397 Depth=2
	ds_load_b32 v209, v72 offset:1024
	s_waitcnt lgkmcnt(0)
	v_mov_b32_dpp v210, v209 row_shr:1 row_mask:0xf bank_mask:0xf
	s_delay_alu instid0(VALU_DEP_1) | instskip(NEXT) | instid1(VALU_DEP_1)
	v_cndmask_b32_e64 v210, v210, 0, s12
	v_add_nc_u32_e32 v209, v210, v209
	s_delay_alu instid0(VALU_DEP_1) | instskip(NEXT) | instid1(VALU_DEP_1)
	v_mov_b32_dpp v210, v209 row_shr:2 row_mask:0xf bank_mask:0xf
	v_cndmask_b32_e64 v210, 0, v210, s13
	s_delay_alu instid0(VALU_DEP_1) | instskip(NEXT) | instid1(VALU_DEP_1)
	v_add_nc_u32_e32 v209, v209, v210
	v_mov_b32_dpp v210, v209 row_shr:4 row_mask:0xf bank_mask:0xf
	s_delay_alu instid0(VALU_DEP_1) | instskip(NEXT) | instid1(VALU_DEP_1)
	v_cndmask_b32_e64 v210, 0, v210, s16
	v_add_nc_u32_e32 v209, v209, v210
	ds_store_b32 v72, v209 offset:1024
.LBB1776_469:                           ;   in Loop: Header=BB1776_397 Depth=2
	s_or_b32 exec_lo, exec_lo, s17
	v_mov_b32_e32 v209, 0
	s_waitcnt lgkmcnt(0)
	s_barrier
	buffer_gl0_inv
	s_and_saveexec_b32 s17, s5
	s_cbranch_execz .LBB1776_471
; %bb.470:                              ;   in Loop: Header=BB1776_397 Depth=2
	ds_load_b32 v209, v62 offset:1020
.LBB1776_471:                           ;   in Loop: Header=BB1776_397 Depth=2
	s_or_b32 exec_lo, exec_lo, s17
	s_waitcnt lgkmcnt(0)
	v_add_nc_u32_e32 v39, v209, v39
	ds_bpermute_b32 v39, v105, v39
	s_waitcnt lgkmcnt(0)
	v_cndmask_b32_e64 v39, v39, v209, s11
	s_delay_alu instid0(VALU_DEP_1) | instskip(NEXT) | instid1(VALU_DEP_1)
	v_cndmask_b32_e64 v39, v39, 0, s6
	v_add_nc_u32_e32 v208, v39, v208
	s_delay_alu instid0(VALU_DEP_1) | instskip(NEXT) | instid1(VALU_DEP_1)
	v_add_nc_u32_e32 v42, v208, v42
	v_add_nc_u32_e32 v43, v42, v43
	s_delay_alu instid0(VALU_DEP_1) | instskip(NEXT) | instid1(VALU_DEP_1)
	v_add_nc_u32_e32 v40, v43, v40
	;; [unrolled: 3-line block ×3, first 2 shown]
	v_add_nc_u32_e32 v37, v36, v37
	s_delay_alu instid0(VALU_DEP_1)
	v_add_nc_u32_e32 v38, v37, v38
	ds_store_b32 v69, v39 offset:1056
	ds_store_2addr_b32 v71, v208, v42 offset0:1 offset1:2
	ds_store_2addr_b32 v71, v43, v40 offset0:3 offset1:4
	;; [unrolled: 1-line block ×4, first 2 shown]
	v_mov_b32_e32 v38, 0x1000
	s_waitcnt lgkmcnt(0)
	s_barrier
	buffer_gl0_inv
	ds_load_b32 v39, v152
	ds_load_b32 v40, v156
	;; [unrolled: 1-line block ×16, first 2 shown]
	ds_load_b32 v156, v69 offset:1056
	s_and_saveexec_b32 s17, s7
	s_cbranch_execz .LBB1776_473
; %bb.472:                              ;   in Loop: Header=BB1776_397 Depth=2
	ds_load_b32 v38, v73 offset:1056
.LBB1776_473:                           ;   in Loop: Header=BB1776_397 Depth=2
	s_or_b32 exec_lo, exec_lo, s17
	s_waitcnt lgkmcnt(0)
	s_barrier
	buffer_gl0_inv
	s_and_saveexec_b32 s17, s2
	s_cbranch_execz .LBB1776_475
; %bb.474:                              ;   in Loop: Header=BB1776_397 Depth=2
	ds_load_b32 v160, v44
	s_waitcnt lgkmcnt(0)
	v_sub_nc_u32_e32 v156, v160, v156
	ds_store_b32 v44, v156
.LBB1776_475:                           ;   in Loop: Header=BB1776_397 Depth=2
	s_or_b32 exec_lo, exec_lo, s17
	v_add_nc_u32_e32 v168, v148, v147
	v_add3_u32 v164, v151, v150, v39
	v_add3_u32 v160, v155, v154, v40
	;; [unrolled: 1-line block ×5, first 2 shown]
	v_lshlrev_b32_e32 v158, 1, v168
	v_add3_u32 v43, v199, v198, v36
	v_lshlrev_b32_e32 v36, 1, v164
	v_add3_u32 v152, v172, v171, v173
	v_add3_u32 v151, v175, v174, v176
	ds_store_b16 v158, v2 offset:1024
	v_lshlrev_b32_e32 v2, 1, v160
	ds_store_b16 v36, v146 offset:1024
	v_lshlrev_b32_e32 v36, 1, v154
	v_add3_u32 v150, v179, v178, v180
	v_add3_u32 v42, v203, v202, v37
	v_lshlrev_b32_e32 v37, 1, v156
	v_add3_u32 v148, v183, v182, v184
	v_lshlrev_b32_e32 v158, 1, v155
	v_add3_u32 v147, v187, v186, v188
	v_add3_u32 v40, v191, v190, v192
	ds_store_b16 v2, v149 offset:1024
	ds_store_b16 v37, v153 offset:1024
	;; [unrolled: 1-line block ×3, first 2 shown]
	v_lshlrev_b32_e32 v2, 1, v152
	ds_store_b16 v36, v161 offset:1024
	v_lshlrev_b32_e32 v36, 1, v151
	v_lshlrev_b32_e32 v37, 1, v150
	;; [unrolled: 1-line block ×3, first 2 shown]
	v_add3_u32 v39, v195, v194, v196
	v_add3_u32 v41, v206, v205, v41
	ds_store_b16 v2, v165 offset:1024
	v_lshlrev_b32_e32 v2, 1, v147
	ds_store_b16 v36, v170 offset:1024
	ds_store_b16 v37, v169 offset:1024
	;; [unrolled: 1-line block ×3, first 2 shown]
	v_lshlrev_b32_e32 v36, 1, v40
	v_cmp_lt_u32_e32 vcc_lo, v1, v145
	v_lshlrev_b32_e32 v37, 1, v43
	ds_store_b16 v2, v181 offset:1024
	v_lshlrev_b32_e32 v2, 1, v39
	ds_store_b16 v36, v185 offset:1024
	v_lshlrev_b32_e32 v36, 1, v41
	v_lshlrev_b32_e32 v146, 1, v42
	ds_store_b16 v2, v189 offset:1024
	ds_store_b16 v37, v193 offset:1024
	;; [unrolled: 1-line block ×4, first 2 shown]
	s_waitcnt lgkmcnt(0)
	s_barrier
	buffer_gl0_inv
	s_and_saveexec_b32 s18, vcc_lo
	s_cbranch_execz .LBB1776_491
; %bb.476:                              ;   in Loop: Header=BB1776_397 Depth=2
	v_add_nc_u32_e32 v2, v72, v78
	ds_load_u16 v146, v2 offset:1024
	s_waitcnt lgkmcnt(0)
	v_cmp_ne_u16_e64 s17, 0x8000, v146
	s_delay_alu instid0(VALU_DEP_1) | instskip(SKIP_1) | instid1(VALU_DEP_2)
	v_cndmask_b32_e64 v2, 0x7fff, v146, s17
	v_cmp_gt_i16_e64 s17, 0, v146
	v_and_b32_e32 v2, 0xffff, v2
	s_delay_alu instid0(VALU_DEP_2) | instskip(NEXT) | instid1(VALU_DEP_2)
	v_cndmask_b32_e64 v149, 0x7fff, 0, s17
	v_lshrrev_b32_e32 v2, s48, v2
	s_delay_alu instid0(VALU_DEP_1) | instskip(NEXT) | instid1(VALU_DEP_1)
	v_and_b32_e32 v2, s55, v2
	v_lshlrev_b32_e32 v2, 2, v2
	ds_load_b32 v2, v2
	s_waitcnt lgkmcnt(0)
	v_add_nc_u32_e32 v2, v2, v1
	s_delay_alu instid0(VALU_DEP_1) | instskip(SKIP_1) | instid1(VALU_DEP_2)
	v_lshlrev_b64 v[36:37], 1, v[2:3]
	v_xor_b32_e32 v2, v149, v146
	v_add_co_u32 v36, s17, s40, v36
	s_delay_alu instid0(VALU_DEP_1) | instskip(SKIP_3) | instid1(VALU_DEP_1)
	v_add_co_ci_u32_e64 v37, s17, s41, v37, s17
	global_store_b16 v[36:37], v2, off
	s_or_b32 exec_lo, exec_lo, s18
	v_cmp_lt_u32_e64 s17, v45, v145
	s_and_saveexec_b32 s19, s17
	s_cbranch_execnz .LBB1776_492
.LBB1776_477:                           ;   in Loop: Header=BB1776_397 Depth=2
	s_or_b32 exec_lo, exec_lo, s19
	v_cmp_lt_u32_e64 s18, v46, v145
	s_delay_alu instid0(VALU_DEP_1)
	s_and_saveexec_b32 s20, s18
	s_cbranch_execz .LBB1776_493
.LBB1776_478:                           ;   in Loop: Header=BB1776_397 Depth=2
	ds_load_u16 v146, v79 offset:1024
	s_waitcnt lgkmcnt(0)
	v_cmp_ne_u16_e64 s19, 0x8000, v146
	s_delay_alu instid0(VALU_DEP_1) | instskip(SKIP_1) | instid1(VALU_DEP_2)
	v_cndmask_b32_e64 v2, 0x7fff, v146, s19
	v_cmp_gt_i16_e64 s19, 0, v146
	v_and_b32_e32 v2, 0xffff, v2
	s_delay_alu instid0(VALU_DEP_2) | instskip(NEXT) | instid1(VALU_DEP_2)
	v_cndmask_b32_e64 v149, 0x7fff, 0, s19
	v_lshrrev_b32_e32 v2, s48, v2
	s_delay_alu instid0(VALU_DEP_1) | instskip(NEXT) | instid1(VALU_DEP_1)
	v_and_b32_e32 v2, s55, v2
	v_lshlrev_b32_e32 v2, 2, v2
	ds_load_b32 v2, v2
	s_waitcnt lgkmcnt(0)
	v_add_nc_u32_e32 v2, v2, v46
	s_delay_alu instid0(VALU_DEP_1) | instskip(SKIP_1) | instid1(VALU_DEP_2)
	v_lshlrev_b64 v[36:37], 1, v[2:3]
	v_xor_b32_e32 v2, v149, v146
	v_add_co_u32 v36, s19, s40, v36
	s_delay_alu instid0(VALU_DEP_1) | instskip(SKIP_3) | instid1(VALU_DEP_1)
	v_add_co_ci_u32_e64 v37, s19, s41, v37, s19
	global_store_b16 v[36:37], v2, off
	s_or_b32 exec_lo, exec_lo, s20
	v_cmp_lt_u32_e64 s19, v47, v145
	s_and_saveexec_b32 s21, s19
	s_cbranch_execnz .LBB1776_494
.LBB1776_479:                           ;   in Loop: Header=BB1776_397 Depth=2
	s_or_b32 exec_lo, exec_lo, s21
	v_cmp_lt_u32_e64 s20, v51, v145
	s_delay_alu instid0(VALU_DEP_1)
	s_and_saveexec_b32 s22, s20
	s_cbranch_execz .LBB1776_495
.LBB1776_480:                           ;   in Loop: Header=BB1776_397 Depth=2
	ds_load_u16 v146, v79 offset:2048
	s_waitcnt lgkmcnt(0)
	v_cmp_ne_u16_e64 s21, 0x8000, v146
	s_delay_alu instid0(VALU_DEP_1) | instskip(SKIP_1) | instid1(VALU_DEP_2)
	v_cndmask_b32_e64 v2, 0x7fff, v146, s21
	v_cmp_gt_i16_e64 s21, 0, v146
	v_and_b32_e32 v2, 0xffff, v2
	s_delay_alu instid0(VALU_DEP_2) | instskip(NEXT) | instid1(VALU_DEP_2)
	v_cndmask_b32_e64 v149, 0x7fff, 0, s21
	v_lshrrev_b32_e32 v2, s48, v2
	s_delay_alu instid0(VALU_DEP_1) | instskip(NEXT) | instid1(VALU_DEP_1)
	v_and_b32_e32 v2, s55, v2
	v_lshlrev_b32_e32 v2, 2, v2
	ds_load_b32 v2, v2
	s_waitcnt lgkmcnt(0)
	v_add_nc_u32_e32 v2, v2, v51
	s_delay_alu instid0(VALU_DEP_1) | instskip(SKIP_1) | instid1(VALU_DEP_2)
	v_lshlrev_b64 v[36:37], 1, v[2:3]
	v_xor_b32_e32 v2, v149, v146
	v_add_co_u32 v36, s21, s40, v36
	s_delay_alu instid0(VALU_DEP_1) | instskip(SKIP_3) | instid1(VALU_DEP_1)
	v_add_co_ci_u32_e64 v37, s21, s41, v37, s21
	global_store_b16 v[36:37], v2, off
	s_or_b32 exec_lo, exec_lo, s22
	v_cmp_lt_u32_e64 s21, v52, v145
	s_and_saveexec_b32 s23, s21
	s_cbranch_execnz .LBB1776_496
.LBB1776_481:                           ;   in Loop: Header=BB1776_397 Depth=2
	s_or_b32 exec_lo, exec_lo, s23
	v_cmp_lt_u32_e64 s22, v53, v145
	s_delay_alu instid0(VALU_DEP_1)
	s_and_saveexec_b32 s24, s22
	s_cbranch_execz .LBB1776_497
.LBB1776_482:                           ;   in Loop: Header=BB1776_397 Depth=2
	ds_load_u16 v146, v79 offset:3072
	s_waitcnt lgkmcnt(0)
	v_cmp_ne_u16_e64 s23, 0x8000, v146
	s_delay_alu instid0(VALU_DEP_1) | instskip(SKIP_1) | instid1(VALU_DEP_2)
	v_cndmask_b32_e64 v2, 0x7fff, v146, s23
	v_cmp_gt_i16_e64 s23, 0, v146
	v_and_b32_e32 v2, 0xffff, v2
	s_delay_alu instid0(VALU_DEP_2) | instskip(NEXT) | instid1(VALU_DEP_2)
	v_cndmask_b32_e64 v149, 0x7fff, 0, s23
	v_lshrrev_b32_e32 v2, s48, v2
	s_delay_alu instid0(VALU_DEP_1) | instskip(NEXT) | instid1(VALU_DEP_1)
	v_and_b32_e32 v2, s55, v2
	v_lshlrev_b32_e32 v2, 2, v2
	ds_load_b32 v2, v2
	s_waitcnt lgkmcnt(0)
	v_add_nc_u32_e32 v2, v2, v53
	s_delay_alu instid0(VALU_DEP_1) | instskip(SKIP_1) | instid1(VALU_DEP_2)
	v_lshlrev_b64 v[36:37], 1, v[2:3]
	v_xor_b32_e32 v2, v149, v146
	v_add_co_u32 v36, s23, s40, v36
	s_delay_alu instid0(VALU_DEP_1) | instskip(SKIP_3) | instid1(VALU_DEP_1)
	v_add_co_ci_u32_e64 v37, s23, s41, v37, s23
	global_store_b16 v[36:37], v2, off
	s_or_b32 exec_lo, exec_lo, s24
	v_cmp_lt_u32_e64 s23, v54, v145
	s_and_saveexec_b32 s25, s23
	s_cbranch_execnz .LBB1776_498
.LBB1776_483:                           ;   in Loop: Header=BB1776_397 Depth=2
	s_or_b32 exec_lo, exec_lo, s25
	v_cmp_lt_u32_e64 s24, v55, v145
	s_delay_alu instid0(VALU_DEP_1)
	s_and_saveexec_b32 s26, s24
	s_cbranch_execz .LBB1776_499
.LBB1776_484:                           ;   in Loop: Header=BB1776_397 Depth=2
	ds_load_u16 v146, v79 offset:4096
	s_waitcnt lgkmcnt(0)
	v_cmp_ne_u16_e64 s25, 0x8000, v146
	s_delay_alu instid0(VALU_DEP_1) | instskip(SKIP_1) | instid1(VALU_DEP_2)
	v_cndmask_b32_e64 v2, 0x7fff, v146, s25
	v_cmp_gt_i16_e64 s25, 0, v146
	v_and_b32_e32 v2, 0xffff, v2
	s_delay_alu instid0(VALU_DEP_2) | instskip(NEXT) | instid1(VALU_DEP_2)
	v_cndmask_b32_e64 v149, 0x7fff, 0, s25
	v_lshrrev_b32_e32 v2, s48, v2
	s_delay_alu instid0(VALU_DEP_1) | instskip(NEXT) | instid1(VALU_DEP_1)
	v_and_b32_e32 v2, s55, v2
	v_lshlrev_b32_e32 v2, 2, v2
	ds_load_b32 v2, v2
	s_waitcnt lgkmcnt(0)
	v_add_nc_u32_e32 v2, v2, v55
	s_delay_alu instid0(VALU_DEP_1) | instskip(SKIP_1) | instid1(VALU_DEP_2)
	v_lshlrev_b64 v[36:37], 1, v[2:3]
	v_xor_b32_e32 v2, v149, v146
	v_add_co_u32 v36, s25, s40, v36
	s_delay_alu instid0(VALU_DEP_1) | instskip(SKIP_3) | instid1(VALU_DEP_1)
	v_add_co_ci_u32_e64 v37, s25, s41, v37, s25
	global_store_b16 v[36:37], v2, off
	s_or_b32 exec_lo, exec_lo, s26
	v_cmp_lt_u32_e64 s25, v56, v145
	s_and_saveexec_b32 s27, s25
	s_cbranch_execnz .LBB1776_500
.LBB1776_485:                           ;   in Loop: Header=BB1776_397 Depth=2
	s_or_b32 exec_lo, exec_lo, s27
	v_cmp_lt_u32_e64 s26, v57, v145
	s_delay_alu instid0(VALU_DEP_1)
	s_and_saveexec_b32 s28, s26
	s_cbranch_execz .LBB1776_501
.LBB1776_486:                           ;   in Loop: Header=BB1776_397 Depth=2
	ds_load_u16 v146, v79 offset:5120
	s_waitcnt lgkmcnt(0)
	v_cmp_ne_u16_e64 s27, 0x8000, v146
	s_delay_alu instid0(VALU_DEP_1) | instskip(SKIP_1) | instid1(VALU_DEP_2)
	v_cndmask_b32_e64 v2, 0x7fff, v146, s27
	v_cmp_gt_i16_e64 s27, 0, v146
	v_and_b32_e32 v2, 0xffff, v2
	s_delay_alu instid0(VALU_DEP_2) | instskip(NEXT) | instid1(VALU_DEP_2)
	v_cndmask_b32_e64 v149, 0x7fff, 0, s27
	v_lshrrev_b32_e32 v2, s48, v2
	s_delay_alu instid0(VALU_DEP_1) | instskip(NEXT) | instid1(VALU_DEP_1)
	v_and_b32_e32 v2, s55, v2
	v_lshlrev_b32_e32 v2, 2, v2
	ds_load_b32 v2, v2
	s_waitcnt lgkmcnt(0)
	v_add_nc_u32_e32 v2, v2, v57
	s_delay_alu instid0(VALU_DEP_1) | instskip(SKIP_1) | instid1(VALU_DEP_2)
	v_lshlrev_b64 v[36:37], 1, v[2:3]
	v_xor_b32_e32 v2, v149, v146
	v_add_co_u32 v36, s27, s40, v36
	s_delay_alu instid0(VALU_DEP_1) | instskip(SKIP_3) | instid1(VALU_DEP_1)
	v_add_co_ci_u32_e64 v37, s27, s41, v37, s27
	global_store_b16 v[36:37], v2, off
	s_or_b32 exec_lo, exec_lo, s28
	v_cmp_lt_u32_e64 s27, v58, v145
	s_and_saveexec_b32 s29, s27
	s_cbranch_execnz .LBB1776_502
.LBB1776_487:                           ;   in Loop: Header=BB1776_397 Depth=2
	s_or_b32 exec_lo, exec_lo, s29
	v_cmp_lt_u32_e64 s28, v59, v145
	s_delay_alu instid0(VALU_DEP_1)
	s_and_saveexec_b32 s30, s28
	s_cbranch_execz .LBB1776_503
.LBB1776_488:                           ;   in Loop: Header=BB1776_397 Depth=2
	ds_load_u16 v146, v79 offset:6144
	s_waitcnt lgkmcnt(0)
	v_cmp_ne_u16_e64 s29, 0x8000, v146
	s_delay_alu instid0(VALU_DEP_1) | instskip(SKIP_1) | instid1(VALU_DEP_2)
	v_cndmask_b32_e64 v2, 0x7fff, v146, s29
	v_cmp_gt_i16_e64 s29, 0, v146
	v_and_b32_e32 v2, 0xffff, v2
	s_delay_alu instid0(VALU_DEP_2) | instskip(NEXT) | instid1(VALU_DEP_2)
	v_cndmask_b32_e64 v149, 0x7fff, 0, s29
	v_lshrrev_b32_e32 v2, s48, v2
	s_delay_alu instid0(VALU_DEP_1) | instskip(NEXT) | instid1(VALU_DEP_1)
	v_and_b32_e32 v2, s55, v2
	v_lshlrev_b32_e32 v2, 2, v2
	ds_load_b32 v2, v2
	s_waitcnt lgkmcnt(0)
	v_add_nc_u32_e32 v2, v2, v59
	s_delay_alu instid0(VALU_DEP_1) | instskip(SKIP_1) | instid1(VALU_DEP_2)
	v_lshlrev_b64 v[36:37], 1, v[2:3]
	v_xor_b32_e32 v2, v149, v146
	v_add_co_u32 v36, s29, s40, v36
	s_delay_alu instid0(VALU_DEP_1) | instskip(SKIP_3) | instid1(VALU_DEP_1)
	v_add_co_ci_u32_e64 v37, s29, s41, v37, s29
	global_store_b16 v[36:37], v2, off
	s_or_b32 exec_lo, exec_lo, s30
	v_cmp_lt_u32_e64 s29, v60, v145
	s_and_saveexec_b32 s31, s29
	s_cbranch_execnz .LBB1776_504
.LBB1776_489:                           ;   in Loop: Header=BB1776_397 Depth=2
	s_or_b32 exec_lo, exec_lo, s31
	v_cmp_lt_u32_e64 s30, v61, v145
	s_delay_alu instid0(VALU_DEP_1)
	s_and_saveexec_b32 s33, s30
	s_cbranch_execz .LBB1776_505
.LBB1776_490:                           ;   in Loop: Header=BB1776_397 Depth=2
	ds_load_u16 v146, v79 offset:7168
	s_waitcnt lgkmcnt(0)
	v_cmp_ne_u16_e64 s31, 0x8000, v146
	s_delay_alu instid0(VALU_DEP_1) | instskip(SKIP_1) | instid1(VALU_DEP_2)
	v_cndmask_b32_e64 v2, 0x7fff, v146, s31
	v_cmp_gt_i16_e64 s31, 0, v146
	v_and_b32_e32 v2, 0xffff, v2
	s_delay_alu instid0(VALU_DEP_2) | instskip(NEXT) | instid1(VALU_DEP_2)
	v_cndmask_b32_e64 v149, 0x7fff, 0, s31
	v_lshrrev_b32_e32 v2, s48, v2
	s_delay_alu instid0(VALU_DEP_1) | instskip(NEXT) | instid1(VALU_DEP_1)
	v_and_b32_e32 v2, s55, v2
	v_lshlrev_b32_e32 v2, 2, v2
	ds_load_b32 v2, v2
	s_waitcnt lgkmcnt(0)
	v_add_nc_u32_e32 v2, v2, v61
	s_delay_alu instid0(VALU_DEP_1) | instskip(SKIP_1) | instid1(VALU_DEP_2)
	v_lshlrev_b64 v[36:37], 1, v[2:3]
	v_xor_b32_e32 v2, v149, v146
	v_add_co_u32 v36, s31, s40, v36
	s_delay_alu instid0(VALU_DEP_1) | instskip(SKIP_3) | instid1(VALU_DEP_1)
	v_add_co_ci_u32_e64 v37, s31, s41, v37, s31
	global_store_b16 v[36:37], v2, off
	s_or_b32 exec_lo, exec_lo, s33
	v_cmp_lt_u32_e64 s31, v63, v145
	s_and_saveexec_b32 s58, s31
	s_cbranch_execnz .LBB1776_506
	s_branch .LBB1776_507
.LBB1776_491:                           ;   in Loop: Header=BB1776_397 Depth=2
	s_or_b32 exec_lo, exec_lo, s18
	v_cmp_lt_u32_e64 s17, v45, v145
	s_delay_alu instid0(VALU_DEP_1)
	s_and_saveexec_b32 s19, s17
	s_cbranch_execz .LBB1776_477
.LBB1776_492:                           ;   in Loop: Header=BB1776_397 Depth=2
	ds_load_u16 v146, v79 offset:512
	s_waitcnt lgkmcnt(0)
	v_cmp_ne_u16_e64 s18, 0x8000, v146
	s_delay_alu instid0(VALU_DEP_1) | instskip(SKIP_1) | instid1(VALU_DEP_2)
	v_cndmask_b32_e64 v2, 0x7fff, v146, s18
	v_cmp_gt_i16_e64 s18, 0, v146
	v_and_b32_e32 v2, 0xffff, v2
	s_delay_alu instid0(VALU_DEP_2) | instskip(NEXT) | instid1(VALU_DEP_2)
	v_cndmask_b32_e64 v149, 0x7fff, 0, s18
	v_lshrrev_b32_e32 v2, s48, v2
	s_delay_alu instid0(VALU_DEP_1) | instskip(NEXT) | instid1(VALU_DEP_1)
	v_and_b32_e32 v2, s55, v2
	v_lshlrev_b32_e32 v2, 2, v2
	ds_load_b32 v2, v2
	s_waitcnt lgkmcnt(0)
	v_add_nc_u32_e32 v2, v2, v45
	s_delay_alu instid0(VALU_DEP_1) | instskip(SKIP_1) | instid1(VALU_DEP_2)
	v_lshlrev_b64 v[36:37], 1, v[2:3]
	v_xor_b32_e32 v2, v149, v146
	v_add_co_u32 v36, s18, s40, v36
	s_delay_alu instid0(VALU_DEP_1) | instskip(SKIP_3) | instid1(VALU_DEP_1)
	v_add_co_ci_u32_e64 v37, s18, s41, v37, s18
	global_store_b16 v[36:37], v2, off
	s_or_b32 exec_lo, exec_lo, s19
	v_cmp_lt_u32_e64 s18, v46, v145
	s_and_saveexec_b32 s20, s18
	s_cbranch_execnz .LBB1776_478
.LBB1776_493:                           ;   in Loop: Header=BB1776_397 Depth=2
	s_or_b32 exec_lo, exec_lo, s20
	v_cmp_lt_u32_e64 s19, v47, v145
	s_delay_alu instid0(VALU_DEP_1)
	s_and_saveexec_b32 s21, s19
	s_cbranch_execz .LBB1776_479
.LBB1776_494:                           ;   in Loop: Header=BB1776_397 Depth=2
	ds_load_u16 v146, v79 offset:1536
	s_waitcnt lgkmcnt(0)
	v_cmp_ne_u16_e64 s20, 0x8000, v146
	s_delay_alu instid0(VALU_DEP_1) | instskip(SKIP_1) | instid1(VALU_DEP_2)
	v_cndmask_b32_e64 v2, 0x7fff, v146, s20
	v_cmp_gt_i16_e64 s20, 0, v146
	v_and_b32_e32 v2, 0xffff, v2
	s_delay_alu instid0(VALU_DEP_2) | instskip(NEXT) | instid1(VALU_DEP_2)
	v_cndmask_b32_e64 v149, 0x7fff, 0, s20
	v_lshrrev_b32_e32 v2, s48, v2
	s_delay_alu instid0(VALU_DEP_1) | instskip(NEXT) | instid1(VALU_DEP_1)
	v_and_b32_e32 v2, s55, v2
	v_lshlrev_b32_e32 v2, 2, v2
	ds_load_b32 v2, v2
	s_waitcnt lgkmcnt(0)
	v_add_nc_u32_e32 v2, v2, v47
	s_delay_alu instid0(VALU_DEP_1) | instskip(SKIP_1) | instid1(VALU_DEP_2)
	v_lshlrev_b64 v[36:37], 1, v[2:3]
	v_xor_b32_e32 v2, v149, v146
	v_add_co_u32 v36, s20, s40, v36
	s_delay_alu instid0(VALU_DEP_1) | instskip(SKIP_3) | instid1(VALU_DEP_1)
	v_add_co_ci_u32_e64 v37, s20, s41, v37, s20
	global_store_b16 v[36:37], v2, off
	s_or_b32 exec_lo, exec_lo, s21
	v_cmp_lt_u32_e64 s20, v51, v145
	s_and_saveexec_b32 s22, s20
	s_cbranch_execnz .LBB1776_480
.LBB1776_495:                           ;   in Loop: Header=BB1776_397 Depth=2
	s_or_b32 exec_lo, exec_lo, s22
	v_cmp_lt_u32_e64 s21, v52, v145
	s_delay_alu instid0(VALU_DEP_1)
	s_and_saveexec_b32 s23, s21
	s_cbranch_execz .LBB1776_481
.LBB1776_496:                           ;   in Loop: Header=BB1776_397 Depth=2
	ds_load_u16 v146, v79 offset:2560
	s_waitcnt lgkmcnt(0)
	v_cmp_ne_u16_e64 s22, 0x8000, v146
	s_delay_alu instid0(VALU_DEP_1) | instskip(SKIP_1) | instid1(VALU_DEP_2)
	v_cndmask_b32_e64 v2, 0x7fff, v146, s22
	v_cmp_gt_i16_e64 s22, 0, v146
	v_and_b32_e32 v2, 0xffff, v2
	s_delay_alu instid0(VALU_DEP_2) | instskip(NEXT) | instid1(VALU_DEP_2)
	v_cndmask_b32_e64 v149, 0x7fff, 0, s22
	v_lshrrev_b32_e32 v2, s48, v2
	s_delay_alu instid0(VALU_DEP_1) | instskip(NEXT) | instid1(VALU_DEP_1)
	v_and_b32_e32 v2, s55, v2
	v_lshlrev_b32_e32 v2, 2, v2
	ds_load_b32 v2, v2
	s_waitcnt lgkmcnt(0)
	v_add_nc_u32_e32 v2, v2, v52
	s_delay_alu instid0(VALU_DEP_1) | instskip(SKIP_1) | instid1(VALU_DEP_2)
	v_lshlrev_b64 v[36:37], 1, v[2:3]
	v_xor_b32_e32 v2, v149, v146
	v_add_co_u32 v36, s22, s40, v36
	s_delay_alu instid0(VALU_DEP_1) | instskip(SKIP_3) | instid1(VALU_DEP_1)
	v_add_co_ci_u32_e64 v37, s22, s41, v37, s22
	global_store_b16 v[36:37], v2, off
	s_or_b32 exec_lo, exec_lo, s23
	v_cmp_lt_u32_e64 s22, v53, v145
	s_and_saveexec_b32 s24, s22
	s_cbranch_execnz .LBB1776_482
.LBB1776_497:                           ;   in Loop: Header=BB1776_397 Depth=2
	s_or_b32 exec_lo, exec_lo, s24
	v_cmp_lt_u32_e64 s23, v54, v145
	s_delay_alu instid0(VALU_DEP_1)
	s_and_saveexec_b32 s25, s23
	s_cbranch_execz .LBB1776_483
.LBB1776_498:                           ;   in Loop: Header=BB1776_397 Depth=2
	ds_load_u16 v146, v79 offset:3584
	s_waitcnt lgkmcnt(0)
	v_cmp_ne_u16_e64 s24, 0x8000, v146
	s_delay_alu instid0(VALU_DEP_1) | instskip(SKIP_1) | instid1(VALU_DEP_2)
	v_cndmask_b32_e64 v2, 0x7fff, v146, s24
	v_cmp_gt_i16_e64 s24, 0, v146
	v_and_b32_e32 v2, 0xffff, v2
	s_delay_alu instid0(VALU_DEP_2) | instskip(NEXT) | instid1(VALU_DEP_2)
	v_cndmask_b32_e64 v149, 0x7fff, 0, s24
	v_lshrrev_b32_e32 v2, s48, v2
	s_delay_alu instid0(VALU_DEP_1) | instskip(NEXT) | instid1(VALU_DEP_1)
	v_and_b32_e32 v2, s55, v2
	v_lshlrev_b32_e32 v2, 2, v2
	ds_load_b32 v2, v2
	s_waitcnt lgkmcnt(0)
	v_add_nc_u32_e32 v2, v2, v54
	s_delay_alu instid0(VALU_DEP_1) | instskip(SKIP_1) | instid1(VALU_DEP_2)
	v_lshlrev_b64 v[36:37], 1, v[2:3]
	v_xor_b32_e32 v2, v149, v146
	v_add_co_u32 v36, s24, s40, v36
	s_delay_alu instid0(VALU_DEP_1) | instskip(SKIP_3) | instid1(VALU_DEP_1)
	v_add_co_ci_u32_e64 v37, s24, s41, v37, s24
	global_store_b16 v[36:37], v2, off
	s_or_b32 exec_lo, exec_lo, s25
	v_cmp_lt_u32_e64 s24, v55, v145
	s_and_saveexec_b32 s26, s24
	s_cbranch_execnz .LBB1776_484
.LBB1776_499:                           ;   in Loop: Header=BB1776_397 Depth=2
	s_or_b32 exec_lo, exec_lo, s26
	v_cmp_lt_u32_e64 s25, v56, v145
	s_delay_alu instid0(VALU_DEP_1)
	s_and_saveexec_b32 s27, s25
	s_cbranch_execz .LBB1776_485
.LBB1776_500:                           ;   in Loop: Header=BB1776_397 Depth=2
	ds_load_u16 v146, v79 offset:4608
	s_waitcnt lgkmcnt(0)
	v_cmp_ne_u16_e64 s26, 0x8000, v146
	s_delay_alu instid0(VALU_DEP_1) | instskip(SKIP_1) | instid1(VALU_DEP_2)
	v_cndmask_b32_e64 v2, 0x7fff, v146, s26
	v_cmp_gt_i16_e64 s26, 0, v146
	v_and_b32_e32 v2, 0xffff, v2
	s_delay_alu instid0(VALU_DEP_2) | instskip(NEXT) | instid1(VALU_DEP_2)
	v_cndmask_b32_e64 v149, 0x7fff, 0, s26
	v_lshrrev_b32_e32 v2, s48, v2
	s_delay_alu instid0(VALU_DEP_1) | instskip(NEXT) | instid1(VALU_DEP_1)
	v_and_b32_e32 v2, s55, v2
	v_lshlrev_b32_e32 v2, 2, v2
	ds_load_b32 v2, v2
	s_waitcnt lgkmcnt(0)
	v_add_nc_u32_e32 v2, v2, v56
	s_delay_alu instid0(VALU_DEP_1) | instskip(SKIP_1) | instid1(VALU_DEP_2)
	v_lshlrev_b64 v[36:37], 1, v[2:3]
	v_xor_b32_e32 v2, v149, v146
	v_add_co_u32 v36, s26, s40, v36
	s_delay_alu instid0(VALU_DEP_1) | instskip(SKIP_3) | instid1(VALU_DEP_1)
	v_add_co_ci_u32_e64 v37, s26, s41, v37, s26
	global_store_b16 v[36:37], v2, off
	s_or_b32 exec_lo, exec_lo, s27
	v_cmp_lt_u32_e64 s26, v57, v145
	s_and_saveexec_b32 s28, s26
	s_cbranch_execnz .LBB1776_486
.LBB1776_501:                           ;   in Loop: Header=BB1776_397 Depth=2
	s_or_b32 exec_lo, exec_lo, s28
	v_cmp_lt_u32_e64 s27, v58, v145
	s_delay_alu instid0(VALU_DEP_1)
	s_and_saveexec_b32 s29, s27
	s_cbranch_execz .LBB1776_487
.LBB1776_502:                           ;   in Loop: Header=BB1776_397 Depth=2
	ds_load_u16 v146, v79 offset:5632
	s_waitcnt lgkmcnt(0)
	v_cmp_ne_u16_e64 s28, 0x8000, v146
	s_delay_alu instid0(VALU_DEP_1) | instskip(SKIP_1) | instid1(VALU_DEP_2)
	v_cndmask_b32_e64 v2, 0x7fff, v146, s28
	v_cmp_gt_i16_e64 s28, 0, v146
	v_and_b32_e32 v2, 0xffff, v2
	s_delay_alu instid0(VALU_DEP_2) | instskip(NEXT) | instid1(VALU_DEP_2)
	v_cndmask_b32_e64 v149, 0x7fff, 0, s28
	v_lshrrev_b32_e32 v2, s48, v2
	s_delay_alu instid0(VALU_DEP_1) | instskip(NEXT) | instid1(VALU_DEP_1)
	v_and_b32_e32 v2, s55, v2
	v_lshlrev_b32_e32 v2, 2, v2
	ds_load_b32 v2, v2
	s_waitcnt lgkmcnt(0)
	v_add_nc_u32_e32 v2, v2, v58
	s_delay_alu instid0(VALU_DEP_1) | instskip(SKIP_1) | instid1(VALU_DEP_2)
	v_lshlrev_b64 v[36:37], 1, v[2:3]
	v_xor_b32_e32 v2, v149, v146
	v_add_co_u32 v36, s28, s40, v36
	s_delay_alu instid0(VALU_DEP_1) | instskip(SKIP_3) | instid1(VALU_DEP_1)
	v_add_co_ci_u32_e64 v37, s28, s41, v37, s28
	global_store_b16 v[36:37], v2, off
	s_or_b32 exec_lo, exec_lo, s29
	v_cmp_lt_u32_e64 s28, v59, v145
	s_and_saveexec_b32 s30, s28
	s_cbranch_execnz .LBB1776_488
.LBB1776_503:                           ;   in Loop: Header=BB1776_397 Depth=2
	s_or_b32 exec_lo, exec_lo, s30
	v_cmp_lt_u32_e64 s29, v60, v145
	s_delay_alu instid0(VALU_DEP_1)
	s_and_saveexec_b32 s31, s29
	s_cbranch_execz .LBB1776_489
.LBB1776_504:                           ;   in Loop: Header=BB1776_397 Depth=2
	ds_load_u16 v146, v79 offset:6656
	s_waitcnt lgkmcnt(0)
	v_cmp_ne_u16_e64 s30, 0x8000, v146
	s_delay_alu instid0(VALU_DEP_1) | instskip(SKIP_1) | instid1(VALU_DEP_2)
	v_cndmask_b32_e64 v2, 0x7fff, v146, s30
	v_cmp_gt_i16_e64 s30, 0, v146
	v_and_b32_e32 v2, 0xffff, v2
	s_delay_alu instid0(VALU_DEP_2) | instskip(NEXT) | instid1(VALU_DEP_2)
	v_cndmask_b32_e64 v149, 0x7fff, 0, s30
	v_lshrrev_b32_e32 v2, s48, v2
	s_delay_alu instid0(VALU_DEP_1) | instskip(NEXT) | instid1(VALU_DEP_1)
	v_and_b32_e32 v2, s55, v2
	v_lshlrev_b32_e32 v2, 2, v2
	ds_load_b32 v2, v2
	s_waitcnt lgkmcnt(0)
	v_add_nc_u32_e32 v2, v2, v60
	s_delay_alu instid0(VALU_DEP_1) | instskip(SKIP_1) | instid1(VALU_DEP_2)
	v_lshlrev_b64 v[36:37], 1, v[2:3]
	v_xor_b32_e32 v2, v149, v146
	v_add_co_u32 v36, s30, s40, v36
	s_delay_alu instid0(VALU_DEP_1) | instskip(SKIP_3) | instid1(VALU_DEP_1)
	v_add_co_ci_u32_e64 v37, s30, s41, v37, s30
	global_store_b16 v[36:37], v2, off
	s_or_b32 exec_lo, exec_lo, s31
	v_cmp_lt_u32_e64 s30, v61, v145
	s_and_saveexec_b32 s33, s30
	s_cbranch_execnz .LBB1776_490
.LBB1776_505:                           ;   in Loop: Header=BB1776_397 Depth=2
	s_or_b32 exec_lo, exec_lo, s33
	v_cmp_lt_u32_e64 s31, v63, v145
	s_delay_alu instid0(VALU_DEP_1)
	s_and_saveexec_b32 s58, s31
	s_cbranch_execz .LBB1776_507
.LBB1776_506:                           ;   in Loop: Header=BB1776_397 Depth=2
	ds_load_u16 v146, v79 offset:7680
	s_waitcnt lgkmcnt(0)
	v_cmp_ne_u16_e64 s33, 0x8000, v146
	s_delay_alu instid0(VALU_DEP_1) | instskip(SKIP_1) | instid1(VALU_DEP_2)
	v_cndmask_b32_e64 v2, 0x7fff, v146, s33
	v_cmp_gt_i16_e64 s33, 0, v146
	v_and_b32_e32 v2, 0xffff, v2
	s_delay_alu instid0(VALU_DEP_2) | instskip(NEXT) | instid1(VALU_DEP_2)
	v_cndmask_b32_e64 v149, 0x7fff, 0, s33
	v_lshrrev_b32_e32 v2, s48, v2
	s_delay_alu instid0(VALU_DEP_1) | instskip(NEXT) | instid1(VALU_DEP_1)
	v_and_b32_e32 v2, s55, v2
	v_lshlrev_b32_e32 v2, 2, v2
	ds_load_b32 v2, v2
	s_waitcnt lgkmcnt(0)
	v_add_nc_u32_e32 v2, v2, v63
	s_delay_alu instid0(VALU_DEP_1) | instskip(SKIP_1) | instid1(VALU_DEP_2)
	v_lshlrev_b64 v[36:37], 1, v[2:3]
	v_xor_b32_e32 v2, v149, v146
	v_add_co_u32 v36, s33, s40, v36
	s_delay_alu instid0(VALU_DEP_1)
	v_add_co_ci_u32_e64 v37, s33, s41, v37, s33
	global_store_b16 v[36:37], v2, off
.LBB1776_507:                           ;   in Loop: Header=BB1776_397 Depth=2
	s_or_b32 exec_lo, exec_lo, s58
	s_lshl_b64 s[58:59], s[34:35], 3
	s_delay_alu instid0(SALU_CYCLE_1) | instskip(NEXT) | instid1(VALU_DEP_1)
	v_add_co_u32 v36, s33, v107, s58
	v_add_co_ci_u32_e64 v37, s33, s59, v108, s33
	v_cmp_lt_u32_e64 s33, v106, v145
	s_delay_alu instid0(VALU_DEP_1) | instskip(NEXT) | instid1(SALU_CYCLE_1)
	s_and_saveexec_b32 s34, s33
	s_xor_b32 s33, exec_lo, s34
	s_cbranch_execz .LBB1776_539
; %bb.508:                              ;   in Loop: Header=BB1776_397 Depth=2
	global_load_b64 v[34:35], v[36:37], off
	s_or_b32 exec_lo, exec_lo, s33
	s_delay_alu instid0(SALU_CYCLE_1)
	s_mov_b32 s34, exec_lo
	v_cmpx_lt_u32_e64 v109, v145
	s_cbranch_execnz .LBB1776_540
.LBB1776_509:                           ;   in Loop: Header=BB1776_397 Depth=2
	s_or_b32 exec_lo, exec_lo, s34
	s_delay_alu instid0(SALU_CYCLE_1)
	s_mov_b32 s34, exec_lo
	v_cmpx_lt_u32_e64 v110, v145
	s_cbranch_execz .LBB1776_541
.LBB1776_510:                           ;   in Loop: Header=BB1776_397 Depth=2
	global_load_b64 v[30:31], v[36:37], off offset:512
	s_or_b32 exec_lo, exec_lo, s34
	s_delay_alu instid0(SALU_CYCLE_1)
	s_mov_b32 s34, exec_lo
	v_cmpx_lt_u32_e64 v111, v145
	s_cbranch_execnz .LBB1776_542
.LBB1776_511:                           ;   in Loop: Header=BB1776_397 Depth=2
	s_or_b32 exec_lo, exec_lo, s34
	s_delay_alu instid0(SALU_CYCLE_1)
	s_mov_b32 s34, exec_lo
	v_cmpx_lt_u32_e64 v112, v145
	s_cbranch_execz .LBB1776_543
.LBB1776_512:                           ;   in Loop: Header=BB1776_397 Depth=2
	global_load_b64 v[26:27], v[36:37], off offset:1024
	s_or_b32 exec_lo, exec_lo, s34
	s_delay_alu instid0(SALU_CYCLE_1)
	s_mov_b32 s34, exec_lo
	v_cmpx_lt_u32_e64 v113, v145
	s_cbranch_execnz .LBB1776_544
.LBB1776_513:                           ;   in Loop: Header=BB1776_397 Depth=2
	s_or_b32 exec_lo, exec_lo, s34
	s_delay_alu instid0(SALU_CYCLE_1)
	s_mov_b32 s34, exec_lo
	v_cmpx_lt_u32_e64 v114, v145
	s_cbranch_execz .LBB1776_545
.LBB1776_514:                           ;   in Loop: Header=BB1776_397 Depth=2
	global_load_b64 v[22:23], v[36:37], off offset:1536
	s_or_b32 exec_lo, exec_lo, s34
	s_delay_alu instid0(SALU_CYCLE_1)
	s_mov_b32 s34, exec_lo
	v_cmpx_lt_u32_e64 v115, v145
	s_cbranch_execnz .LBB1776_546
.LBB1776_515:                           ;   in Loop: Header=BB1776_397 Depth=2
	s_or_b32 exec_lo, exec_lo, s34
	s_delay_alu instid0(SALU_CYCLE_1)
	s_mov_b32 s34, exec_lo
	v_cmpx_lt_u32_e64 v116, v145
	s_cbranch_execz .LBB1776_547
.LBB1776_516:                           ;   in Loop: Header=BB1776_397 Depth=2
	global_load_b64 v[18:19], v[36:37], off offset:2048
	s_or_b32 exec_lo, exec_lo, s34
	s_delay_alu instid0(SALU_CYCLE_1)
	s_mov_b32 s34, exec_lo
	v_cmpx_lt_u32_e64 v117, v145
	s_cbranch_execnz .LBB1776_548
.LBB1776_517:                           ;   in Loop: Header=BB1776_397 Depth=2
	s_or_b32 exec_lo, exec_lo, s34
	s_delay_alu instid0(SALU_CYCLE_1)
	s_mov_b32 s34, exec_lo
	v_cmpx_lt_u32_e64 v118, v145
	s_cbranch_execz .LBB1776_549
.LBB1776_518:                           ;   in Loop: Header=BB1776_397 Depth=2
	global_load_b64 v[14:15], v[36:37], off offset:2560
	s_or_b32 exec_lo, exec_lo, s34
	s_delay_alu instid0(SALU_CYCLE_1)
	s_mov_b32 s34, exec_lo
	v_cmpx_lt_u32_e64 v119, v145
	s_cbranch_execnz .LBB1776_550
.LBB1776_519:                           ;   in Loop: Header=BB1776_397 Depth=2
	s_or_b32 exec_lo, exec_lo, s34
	s_delay_alu instid0(SALU_CYCLE_1)
	s_mov_b32 s34, exec_lo
	v_cmpx_lt_u32_e64 v120, v145
	s_cbranch_execz .LBB1776_551
.LBB1776_520:                           ;   in Loop: Header=BB1776_397 Depth=2
	global_load_b64 v[10:11], v[36:37], off offset:3072
	s_or_b32 exec_lo, exec_lo, s34
	s_delay_alu instid0(SALU_CYCLE_1)
	s_mov_b32 s34, exec_lo
	v_cmpx_lt_u32_e64 v121, v145
	s_cbranch_execnz .LBB1776_552
.LBB1776_521:                           ;   in Loop: Header=BB1776_397 Depth=2
	s_or_b32 exec_lo, exec_lo, s34
	s_delay_alu instid0(SALU_CYCLE_1)
	s_mov_b32 s34, exec_lo
	v_cmpx_lt_u32_e64 v122, v145
	s_cbranch_execz .LBB1776_553
.LBB1776_522:                           ;   in Loop: Header=BB1776_397 Depth=2
	global_load_b64 v[6:7], v[36:37], off offset:3584
	s_or_b32 exec_lo, exec_lo, s34
	s_delay_alu instid0(SALU_CYCLE_1)
	s_mov_b32 s34, exec_lo
	v_cmpx_lt_u32_e64 v123, v145
	s_cbranch_execnz .LBB1776_554
.LBB1776_523:                           ;   in Loop: Header=BB1776_397 Depth=2
	s_or_b32 exec_lo, exec_lo, s34
	s_and_saveexec_b32 s34, vcc_lo
	s_cbranch_execz .LBB1776_555
.LBB1776_524:                           ;   in Loop: Header=BB1776_397 Depth=2
	v_add_nc_u32_e32 v2, v72, v78
	ds_load_u16 v2, v2 offset:1024
	s_waitcnt lgkmcnt(0)
	v_cmp_ne_u16_e64 s33, 0x8000, v2
	s_delay_alu instid0(VALU_DEP_1) | instskip(NEXT) | instid1(VALU_DEP_1)
	v_cndmask_b32_e64 v2, 0x7fff, v2, s33
	v_and_b32_e32 v2, 0xffff, v2
	s_delay_alu instid0(VALU_DEP_1) | instskip(NEXT) | instid1(VALU_DEP_1)
	v_lshrrev_b32_e32 v2, s48, v2
	v_and_b32_e32 v144, s55, v2
	s_or_b32 exec_lo, exec_lo, s34
	s_and_saveexec_b32 s34, s17
	s_cbranch_execnz .LBB1776_556
.LBB1776_525:                           ;   in Loop: Header=BB1776_397 Depth=2
	s_or_b32 exec_lo, exec_lo, s34
	s_and_saveexec_b32 s34, s18
	s_cbranch_execz .LBB1776_557
.LBB1776_526:                           ;   in Loop: Header=BB1776_397 Depth=2
	ds_load_u16 v2, v79 offset:1024
	s_waitcnt lgkmcnt(0)
	v_cmp_ne_u16_e64 s33, 0x8000, v2
	s_delay_alu instid0(VALU_DEP_1) | instskip(NEXT) | instid1(VALU_DEP_1)
	v_cndmask_b32_e64 v2, 0x7fff, v2, s33
	v_and_b32_e32 v2, 0xffff, v2
	s_delay_alu instid0(VALU_DEP_1) | instskip(NEXT) | instid1(VALU_DEP_1)
	v_lshrrev_b32_e32 v2, s48, v2
	v_and_b32_e32 v142, s55, v2
	s_or_b32 exec_lo, exec_lo, s34
	s_and_saveexec_b32 s34, s19
	s_cbranch_execnz .LBB1776_558
.LBB1776_527:                           ;   in Loop: Header=BB1776_397 Depth=2
	s_or_b32 exec_lo, exec_lo, s34
	s_and_saveexec_b32 s34, s20
	s_cbranch_execz .LBB1776_559
.LBB1776_528:                           ;   in Loop: Header=BB1776_397 Depth=2
	ds_load_u16 v2, v79 offset:2048
	s_waitcnt lgkmcnt(0)
	v_cmp_ne_u16_e64 s33, 0x8000, v2
	s_delay_alu instid0(VALU_DEP_1) | instskip(NEXT) | instid1(VALU_DEP_1)
	v_cndmask_b32_e64 v2, 0x7fff, v2, s33
	v_and_b32_e32 v2, 0xffff, v2
	s_delay_alu instid0(VALU_DEP_1) | instskip(NEXT) | instid1(VALU_DEP_1)
	v_lshrrev_b32_e32 v2, s48, v2
	v_and_b32_e32 v140, s55, v2
	s_or_b32 exec_lo, exec_lo, s34
	s_and_saveexec_b32 s34, s21
	s_cbranch_execnz .LBB1776_560
.LBB1776_529:                           ;   in Loop: Header=BB1776_397 Depth=2
	s_or_b32 exec_lo, exec_lo, s34
	s_and_saveexec_b32 s34, s22
	s_cbranch_execz .LBB1776_561
.LBB1776_530:                           ;   in Loop: Header=BB1776_397 Depth=2
	ds_load_u16 v2, v79 offset:3072
	s_waitcnt lgkmcnt(0)
	v_cmp_ne_u16_e64 s33, 0x8000, v2
	s_delay_alu instid0(VALU_DEP_1) | instskip(NEXT) | instid1(VALU_DEP_1)
	v_cndmask_b32_e64 v2, 0x7fff, v2, s33
	v_and_b32_e32 v2, 0xffff, v2
	s_delay_alu instid0(VALU_DEP_1) | instskip(NEXT) | instid1(VALU_DEP_1)
	v_lshrrev_b32_e32 v2, s48, v2
	v_and_b32_e32 v138, s55, v2
	s_or_b32 exec_lo, exec_lo, s34
	s_and_saveexec_b32 s34, s23
	s_cbranch_execnz .LBB1776_562
.LBB1776_531:                           ;   in Loop: Header=BB1776_397 Depth=2
	s_or_b32 exec_lo, exec_lo, s34
	s_and_saveexec_b32 s34, s24
	s_cbranch_execz .LBB1776_563
.LBB1776_532:                           ;   in Loop: Header=BB1776_397 Depth=2
	ds_load_u16 v2, v79 offset:4096
	s_waitcnt lgkmcnt(0)
	v_cmp_ne_u16_e64 s33, 0x8000, v2
	s_delay_alu instid0(VALU_DEP_1) | instskip(NEXT) | instid1(VALU_DEP_1)
	v_cndmask_b32_e64 v2, 0x7fff, v2, s33
	v_and_b32_e32 v2, 0xffff, v2
	s_delay_alu instid0(VALU_DEP_1) | instskip(NEXT) | instid1(VALU_DEP_1)
	v_lshrrev_b32_e32 v2, s48, v2
	v_and_b32_e32 v136, s55, v2
	s_or_b32 exec_lo, exec_lo, s34
	s_and_saveexec_b32 s34, s25
	s_cbranch_execnz .LBB1776_564
.LBB1776_533:                           ;   in Loop: Header=BB1776_397 Depth=2
	s_or_b32 exec_lo, exec_lo, s34
	s_and_saveexec_b32 s34, s26
	s_cbranch_execz .LBB1776_565
.LBB1776_534:                           ;   in Loop: Header=BB1776_397 Depth=2
	ds_load_u16 v2, v79 offset:5120
	s_waitcnt lgkmcnt(0)
	v_cmp_ne_u16_e64 s33, 0x8000, v2
	s_delay_alu instid0(VALU_DEP_1) | instskip(NEXT) | instid1(VALU_DEP_1)
	v_cndmask_b32_e64 v2, 0x7fff, v2, s33
	v_and_b32_e32 v2, 0xffff, v2
	s_delay_alu instid0(VALU_DEP_1) | instskip(NEXT) | instid1(VALU_DEP_1)
	v_lshrrev_b32_e32 v2, s48, v2
	v_and_b32_e32 v134, s55, v2
	s_or_b32 exec_lo, exec_lo, s34
	s_and_saveexec_b32 s34, s27
	s_cbranch_execnz .LBB1776_566
.LBB1776_535:                           ;   in Loop: Header=BB1776_397 Depth=2
	s_or_b32 exec_lo, exec_lo, s34
	s_and_saveexec_b32 s34, s28
	s_cbranch_execz .LBB1776_567
.LBB1776_536:                           ;   in Loop: Header=BB1776_397 Depth=2
	ds_load_u16 v2, v79 offset:6144
	s_waitcnt lgkmcnt(0)
	v_cmp_ne_u16_e64 s33, 0x8000, v2
	s_delay_alu instid0(VALU_DEP_1) | instskip(NEXT) | instid1(VALU_DEP_1)
	v_cndmask_b32_e64 v2, 0x7fff, v2, s33
	v_and_b32_e32 v2, 0xffff, v2
	s_delay_alu instid0(VALU_DEP_1) | instskip(NEXT) | instid1(VALU_DEP_1)
	v_lshrrev_b32_e32 v2, s48, v2
	v_and_b32_e32 v132, s55, v2
	s_or_b32 exec_lo, exec_lo, s34
	s_and_saveexec_b32 s34, s29
	s_cbranch_execnz .LBB1776_568
.LBB1776_537:                           ;   in Loop: Header=BB1776_397 Depth=2
	s_or_b32 exec_lo, exec_lo, s34
	s_and_saveexec_b32 s34, s30
	s_cbranch_execz .LBB1776_569
.LBB1776_538:                           ;   in Loop: Header=BB1776_397 Depth=2
	ds_load_u16 v2, v79 offset:7168
	s_waitcnt lgkmcnt(0)
	v_cmp_ne_u16_e64 s33, 0x8000, v2
	s_delay_alu instid0(VALU_DEP_1) | instskip(NEXT) | instid1(VALU_DEP_1)
	v_cndmask_b32_e64 v2, 0x7fff, v2, s33
	v_and_b32_e32 v2, 0xffff, v2
	s_delay_alu instid0(VALU_DEP_1) | instskip(NEXT) | instid1(VALU_DEP_1)
	v_lshrrev_b32_e32 v2, s48, v2
	v_and_b32_e32 v130, s55, v2
	s_or_b32 exec_lo, exec_lo, s34
	s_and_saveexec_b32 s34, s31
	s_cbranch_execnz .LBB1776_570
	s_branch .LBB1776_571
.LBB1776_539:                           ;   in Loop: Header=BB1776_397 Depth=2
	s_or_b32 exec_lo, exec_lo, s33
	s_delay_alu instid0(SALU_CYCLE_1)
	s_mov_b32 s34, exec_lo
	v_cmpx_lt_u32_e64 v109, v145
	s_cbranch_execz .LBB1776_509
.LBB1776_540:                           ;   in Loop: Header=BB1776_397 Depth=2
	global_load_b64 v[32:33], v[36:37], off offset:256
	s_or_b32 exec_lo, exec_lo, s34
	s_delay_alu instid0(SALU_CYCLE_1)
	s_mov_b32 s34, exec_lo
	v_cmpx_lt_u32_e64 v110, v145
	s_cbranch_execnz .LBB1776_510
.LBB1776_541:                           ;   in Loop: Header=BB1776_397 Depth=2
	s_or_b32 exec_lo, exec_lo, s34
	s_delay_alu instid0(SALU_CYCLE_1)
	s_mov_b32 s34, exec_lo
	v_cmpx_lt_u32_e64 v111, v145
	s_cbranch_execz .LBB1776_511
.LBB1776_542:                           ;   in Loop: Header=BB1776_397 Depth=2
	global_load_b64 v[28:29], v[36:37], off offset:768
	s_or_b32 exec_lo, exec_lo, s34
	s_delay_alu instid0(SALU_CYCLE_1)
	s_mov_b32 s34, exec_lo
	v_cmpx_lt_u32_e64 v112, v145
	s_cbranch_execnz .LBB1776_512
.LBB1776_543:                           ;   in Loop: Header=BB1776_397 Depth=2
	s_or_b32 exec_lo, exec_lo, s34
	s_delay_alu instid0(SALU_CYCLE_1)
	s_mov_b32 s34, exec_lo
	v_cmpx_lt_u32_e64 v113, v145
	s_cbranch_execz .LBB1776_513
.LBB1776_544:                           ;   in Loop: Header=BB1776_397 Depth=2
	global_load_b64 v[24:25], v[36:37], off offset:1280
	s_or_b32 exec_lo, exec_lo, s34
	s_delay_alu instid0(SALU_CYCLE_1)
	s_mov_b32 s34, exec_lo
	v_cmpx_lt_u32_e64 v114, v145
	s_cbranch_execnz .LBB1776_514
.LBB1776_545:                           ;   in Loop: Header=BB1776_397 Depth=2
	s_or_b32 exec_lo, exec_lo, s34
	s_delay_alu instid0(SALU_CYCLE_1)
	s_mov_b32 s34, exec_lo
	v_cmpx_lt_u32_e64 v115, v145
	s_cbranch_execz .LBB1776_515
.LBB1776_546:                           ;   in Loop: Header=BB1776_397 Depth=2
	global_load_b64 v[20:21], v[36:37], off offset:1792
	s_or_b32 exec_lo, exec_lo, s34
	s_delay_alu instid0(SALU_CYCLE_1)
	s_mov_b32 s34, exec_lo
	v_cmpx_lt_u32_e64 v116, v145
	s_cbranch_execnz .LBB1776_516
.LBB1776_547:                           ;   in Loop: Header=BB1776_397 Depth=2
	s_or_b32 exec_lo, exec_lo, s34
	s_delay_alu instid0(SALU_CYCLE_1)
	s_mov_b32 s34, exec_lo
	v_cmpx_lt_u32_e64 v117, v145
	s_cbranch_execz .LBB1776_517
.LBB1776_548:                           ;   in Loop: Header=BB1776_397 Depth=2
	global_load_b64 v[16:17], v[36:37], off offset:2304
	s_or_b32 exec_lo, exec_lo, s34
	s_delay_alu instid0(SALU_CYCLE_1)
	s_mov_b32 s34, exec_lo
	v_cmpx_lt_u32_e64 v118, v145
	s_cbranch_execnz .LBB1776_518
.LBB1776_549:                           ;   in Loop: Header=BB1776_397 Depth=2
	s_or_b32 exec_lo, exec_lo, s34
	s_delay_alu instid0(SALU_CYCLE_1)
	s_mov_b32 s34, exec_lo
	v_cmpx_lt_u32_e64 v119, v145
	s_cbranch_execz .LBB1776_519
.LBB1776_550:                           ;   in Loop: Header=BB1776_397 Depth=2
	global_load_b64 v[12:13], v[36:37], off offset:2816
	s_or_b32 exec_lo, exec_lo, s34
	s_delay_alu instid0(SALU_CYCLE_1)
	s_mov_b32 s34, exec_lo
	v_cmpx_lt_u32_e64 v120, v145
	s_cbranch_execnz .LBB1776_520
.LBB1776_551:                           ;   in Loop: Header=BB1776_397 Depth=2
	s_or_b32 exec_lo, exec_lo, s34
	s_delay_alu instid0(SALU_CYCLE_1)
	s_mov_b32 s34, exec_lo
	v_cmpx_lt_u32_e64 v121, v145
	s_cbranch_execz .LBB1776_521
.LBB1776_552:                           ;   in Loop: Header=BB1776_397 Depth=2
	global_load_b64 v[8:9], v[36:37], off offset:3328
	s_or_b32 exec_lo, exec_lo, s34
	s_delay_alu instid0(SALU_CYCLE_1)
	s_mov_b32 s34, exec_lo
	v_cmpx_lt_u32_e64 v122, v145
	s_cbranch_execnz .LBB1776_522
.LBB1776_553:                           ;   in Loop: Header=BB1776_397 Depth=2
	s_or_b32 exec_lo, exec_lo, s34
	s_delay_alu instid0(SALU_CYCLE_1)
	s_mov_b32 s34, exec_lo
	v_cmpx_lt_u32_e64 v123, v145
	s_cbranch_execz .LBB1776_523
.LBB1776_554:                           ;   in Loop: Header=BB1776_397 Depth=2
	global_load_b64 v[4:5], v[36:37], off offset:3840
	s_or_b32 exec_lo, exec_lo, s34
	s_and_saveexec_b32 s34, vcc_lo
	s_cbranch_execnz .LBB1776_524
.LBB1776_555:                           ;   in Loop: Header=BB1776_397 Depth=2
	s_or_b32 exec_lo, exec_lo, s34
	s_and_saveexec_b32 s34, s17
	s_cbranch_execz .LBB1776_525
.LBB1776_556:                           ;   in Loop: Header=BB1776_397 Depth=2
	ds_load_u16 v2, v79 offset:512
	s_waitcnt lgkmcnt(0)
	v_cmp_ne_u16_e64 s33, 0x8000, v2
	s_delay_alu instid0(VALU_DEP_1) | instskip(NEXT) | instid1(VALU_DEP_1)
	v_cndmask_b32_e64 v2, 0x7fff, v2, s33
	v_and_b32_e32 v2, 0xffff, v2
	s_delay_alu instid0(VALU_DEP_1) | instskip(NEXT) | instid1(VALU_DEP_1)
	v_lshrrev_b32_e32 v2, s48, v2
	v_and_b32_e32 v143, s55, v2
	s_or_b32 exec_lo, exec_lo, s34
	s_and_saveexec_b32 s34, s18
	s_cbranch_execnz .LBB1776_526
.LBB1776_557:                           ;   in Loop: Header=BB1776_397 Depth=2
	s_or_b32 exec_lo, exec_lo, s34
	s_and_saveexec_b32 s34, s19
	s_cbranch_execz .LBB1776_527
.LBB1776_558:                           ;   in Loop: Header=BB1776_397 Depth=2
	ds_load_u16 v2, v79 offset:1536
	s_waitcnt lgkmcnt(0)
	v_cmp_ne_u16_e64 s33, 0x8000, v2
	s_delay_alu instid0(VALU_DEP_1) | instskip(NEXT) | instid1(VALU_DEP_1)
	v_cndmask_b32_e64 v2, 0x7fff, v2, s33
	v_and_b32_e32 v2, 0xffff, v2
	s_delay_alu instid0(VALU_DEP_1) | instskip(NEXT) | instid1(VALU_DEP_1)
	v_lshrrev_b32_e32 v2, s48, v2
	v_and_b32_e32 v141, s55, v2
	s_or_b32 exec_lo, exec_lo, s34
	s_and_saveexec_b32 s34, s20
	s_cbranch_execnz .LBB1776_528
.LBB1776_559:                           ;   in Loop: Header=BB1776_397 Depth=2
	s_or_b32 exec_lo, exec_lo, s34
	s_and_saveexec_b32 s34, s21
	s_cbranch_execz .LBB1776_529
.LBB1776_560:                           ;   in Loop: Header=BB1776_397 Depth=2
	ds_load_u16 v2, v79 offset:2560
	s_waitcnt lgkmcnt(0)
	v_cmp_ne_u16_e64 s33, 0x8000, v2
	s_delay_alu instid0(VALU_DEP_1) | instskip(NEXT) | instid1(VALU_DEP_1)
	v_cndmask_b32_e64 v2, 0x7fff, v2, s33
	v_and_b32_e32 v2, 0xffff, v2
	s_delay_alu instid0(VALU_DEP_1) | instskip(NEXT) | instid1(VALU_DEP_1)
	v_lshrrev_b32_e32 v2, s48, v2
	v_and_b32_e32 v139, s55, v2
	s_or_b32 exec_lo, exec_lo, s34
	s_and_saveexec_b32 s34, s22
	s_cbranch_execnz .LBB1776_530
.LBB1776_561:                           ;   in Loop: Header=BB1776_397 Depth=2
	s_or_b32 exec_lo, exec_lo, s34
	s_and_saveexec_b32 s34, s23
	s_cbranch_execz .LBB1776_531
.LBB1776_562:                           ;   in Loop: Header=BB1776_397 Depth=2
	ds_load_u16 v2, v79 offset:3584
	s_waitcnt lgkmcnt(0)
	v_cmp_ne_u16_e64 s33, 0x8000, v2
	s_delay_alu instid0(VALU_DEP_1) | instskip(NEXT) | instid1(VALU_DEP_1)
	v_cndmask_b32_e64 v2, 0x7fff, v2, s33
	v_and_b32_e32 v2, 0xffff, v2
	s_delay_alu instid0(VALU_DEP_1) | instskip(NEXT) | instid1(VALU_DEP_1)
	v_lshrrev_b32_e32 v2, s48, v2
	v_and_b32_e32 v137, s55, v2
	s_or_b32 exec_lo, exec_lo, s34
	s_and_saveexec_b32 s34, s24
	s_cbranch_execnz .LBB1776_532
.LBB1776_563:                           ;   in Loop: Header=BB1776_397 Depth=2
	s_or_b32 exec_lo, exec_lo, s34
	s_and_saveexec_b32 s34, s25
	s_cbranch_execz .LBB1776_533
.LBB1776_564:                           ;   in Loop: Header=BB1776_397 Depth=2
	ds_load_u16 v2, v79 offset:4608
	s_waitcnt lgkmcnt(0)
	v_cmp_ne_u16_e64 s33, 0x8000, v2
	s_delay_alu instid0(VALU_DEP_1) | instskip(NEXT) | instid1(VALU_DEP_1)
	v_cndmask_b32_e64 v2, 0x7fff, v2, s33
	v_and_b32_e32 v2, 0xffff, v2
	s_delay_alu instid0(VALU_DEP_1) | instskip(NEXT) | instid1(VALU_DEP_1)
	v_lshrrev_b32_e32 v2, s48, v2
	v_and_b32_e32 v135, s55, v2
	s_or_b32 exec_lo, exec_lo, s34
	s_and_saveexec_b32 s34, s26
	s_cbranch_execnz .LBB1776_534
.LBB1776_565:                           ;   in Loop: Header=BB1776_397 Depth=2
	s_or_b32 exec_lo, exec_lo, s34
	s_and_saveexec_b32 s34, s27
	s_cbranch_execz .LBB1776_535
.LBB1776_566:                           ;   in Loop: Header=BB1776_397 Depth=2
	ds_load_u16 v2, v79 offset:5632
	s_waitcnt lgkmcnt(0)
	v_cmp_ne_u16_e64 s33, 0x8000, v2
	s_delay_alu instid0(VALU_DEP_1) | instskip(NEXT) | instid1(VALU_DEP_1)
	v_cndmask_b32_e64 v2, 0x7fff, v2, s33
	v_and_b32_e32 v2, 0xffff, v2
	s_delay_alu instid0(VALU_DEP_1) | instskip(NEXT) | instid1(VALU_DEP_1)
	v_lshrrev_b32_e32 v2, s48, v2
	v_and_b32_e32 v133, s55, v2
	s_or_b32 exec_lo, exec_lo, s34
	s_and_saveexec_b32 s34, s28
	s_cbranch_execnz .LBB1776_536
.LBB1776_567:                           ;   in Loop: Header=BB1776_397 Depth=2
	s_or_b32 exec_lo, exec_lo, s34
	s_and_saveexec_b32 s34, s29
	s_cbranch_execz .LBB1776_537
.LBB1776_568:                           ;   in Loop: Header=BB1776_397 Depth=2
	ds_load_u16 v2, v79 offset:6656
	s_waitcnt lgkmcnt(0)
	v_cmp_ne_u16_e64 s33, 0x8000, v2
	s_delay_alu instid0(VALU_DEP_1) | instskip(NEXT) | instid1(VALU_DEP_1)
	v_cndmask_b32_e64 v2, 0x7fff, v2, s33
	v_and_b32_e32 v2, 0xffff, v2
	s_delay_alu instid0(VALU_DEP_1) | instskip(NEXT) | instid1(VALU_DEP_1)
	v_lshrrev_b32_e32 v2, s48, v2
	v_and_b32_e32 v131, s55, v2
	s_or_b32 exec_lo, exec_lo, s34
	s_and_saveexec_b32 s34, s30
	s_cbranch_execnz .LBB1776_538
.LBB1776_569:                           ;   in Loop: Header=BB1776_397 Depth=2
	s_or_b32 exec_lo, exec_lo, s34
	s_and_saveexec_b32 s34, s31
	s_cbranch_execz .LBB1776_571
.LBB1776_570:                           ;   in Loop: Header=BB1776_397 Depth=2
	ds_load_u16 v2, v79 offset:7680
	s_waitcnt lgkmcnt(0)
	v_cmp_ne_u16_e64 s33, 0x8000, v2
	s_delay_alu instid0(VALU_DEP_1) | instskip(NEXT) | instid1(VALU_DEP_1)
	v_cndmask_b32_e64 v2, 0x7fff, v2, s33
	v_and_b32_e32 v2, 0xffff, v2
	s_delay_alu instid0(VALU_DEP_1) | instskip(NEXT) | instid1(VALU_DEP_1)
	v_lshrrev_b32_e32 v2, s48, v2
	v_and_b32_e32 v129, s55, v2
.LBB1776_571:                           ;   in Loop: Header=BB1776_397 Depth=2
	s_or_b32 exec_lo, exec_lo, s34
	v_lshlrev_b32_e32 v2, 3, v168
	v_lshlrev_b32_e32 v36, 3, v164
	s_waitcnt vmcnt(0)
	s_waitcnt_vscnt null, 0x0
	s_barrier
	buffer_gl0_inv
	ds_store_b64 v2, v[34:35] offset:1024
	v_lshlrev_b32_e32 v2, 3, v160
	v_lshlrev_b32_e32 v37, 3, v156
	;; [unrolled: 1-line block ×4, first 2 shown]
	ds_store_b64 v36, v[32:33] offset:1024
	ds_store_b64 v2, v[30:31] offset:1024
	;; [unrolled: 1-line block ×5, first 2 shown]
	v_lshlrev_b32_e32 v2, 3, v152
	v_lshlrev_b32_e32 v36, 3, v151
	;; [unrolled: 1-line block ×5, first 2 shown]
	ds_store_b64 v2, v[22:23] offset:1024
	ds_store_b64 v36, v[20:21] offset:1024
	;; [unrolled: 1-line block ×5, first 2 shown]
	v_lshlrev_b32_e32 v2, 3, v40
	v_lshlrev_b32_e32 v36, 3, v39
	;; [unrolled: 1-line block ×5, first 2 shown]
	ds_store_b64 v2, v[12:13] offset:1024
	ds_store_b64 v36, v[10:11] offset:1024
	;; [unrolled: 1-line block ×5, first 2 shown]
	s_waitcnt lgkmcnt(0)
	s_barrier
	buffer_gl0_inv
	s_and_saveexec_b32 s33, vcc_lo
	s_cbranch_execz .LBB1776_587
; %bb.572:                              ;   in Loop: Header=BB1776_397 Depth=2
	v_lshlrev_b32_e32 v2, 2, v144
	ds_load_b32 v2, v2
	ds_load_b64 v[36:37], v80 offset:1024
	s_waitcnt lgkmcnt(1)
	v_add_nc_u32_e32 v2, v2, v1
	s_delay_alu instid0(VALU_DEP_1) | instskip(NEXT) | instid1(VALU_DEP_1)
	v_lshlrev_b64 v[39:40], 3, v[2:3]
	v_add_co_u32 v39, vcc_lo, s46, v39
	s_delay_alu instid0(VALU_DEP_2)
	v_add_co_ci_u32_e32 v40, vcc_lo, s47, v40, vcc_lo
	s_waitcnt lgkmcnt(0)
	global_store_b64 v[39:40], v[36:37], off
	s_or_b32 exec_lo, exec_lo, s33
	s_and_saveexec_b32 s33, s17
	s_cbranch_execnz .LBB1776_588
.LBB1776_573:                           ;   in Loop: Header=BB1776_397 Depth=2
	s_or_b32 exec_lo, exec_lo, s33
	s_and_saveexec_b32 s17, s18
	s_cbranch_execz .LBB1776_589
.LBB1776_574:                           ;   in Loop: Header=BB1776_397 Depth=2
	v_lshlrev_b32_e32 v2, 2, v142
	v_add_nc_u32_e32 v36, v79, v81
	ds_load_b32 v2, v2
	ds_load_b64 v[36:37], v36 offset:4096
	s_waitcnt lgkmcnt(1)
	v_add_nc_u32_e32 v2, v2, v46
	s_delay_alu instid0(VALU_DEP_1) | instskip(NEXT) | instid1(VALU_DEP_1)
	v_lshlrev_b64 v[39:40], 3, v[2:3]
	v_add_co_u32 v39, vcc_lo, s46, v39
	s_delay_alu instid0(VALU_DEP_2)
	v_add_co_ci_u32_e32 v40, vcc_lo, s47, v40, vcc_lo
	s_waitcnt lgkmcnt(0)
	global_store_b64 v[39:40], v[36:37], off
	s_or_b32 exec_lo, exec_lo, s17
	s_and_saveexec_b32 s17, s19
	s_cbranch_execnz .LBB1776_590
.LBB1776_575:                           ;   in Loop: Header=BB1776_397 Depth=2
	s_or_b32 exec_lo, exec_lo, s17
	s_and_saveexec_b32 s17, s20
	s_cbranch_execz .LBB1776_591
.LBB1776_576:                           ;   in Loop: Header=BB1776_397 Depth=2
	v_lshlrev_b32_e32 v2, 2, v140
	v_add_nc_u32_e32 v36, v79, v81
	ds_load_b32 v2, v2
	ds_load_b64 v[36:37], v36 offset:8192
	s_waitcnt lgkmcnt(1)
	v_add_nc_u32_e32 v2, v2, v51
	s_delay_alu instid0(VALU_DEP_1) | instskip(NEXT) | instid1(VALU_DEP_1)
	v_lshlrev_b64 v[39:40], 3, v[2:3]
	v_add_co_u32 v39, vcc_lo, s46, v39
	s_delay_alu instid0(VALU_DEP_2)
	v_add_co_ci_u32_e32 v40, vcc_lo, s47, v40, vcc_lo
	s_waitcnt lgkmcnt(0)
	global_store_b64 v[39:40], v[36:37], off
	s_or_b32 exec_lo, exec_lo, s17
	s_and_saveexec_b32 s17, s21
	s_cbranch_execnz .LBB1776_592
.LBB1776_577:                           ;   in Loop: Header=BB1776_397 Depth=2
	s_or_b32 exec_lo, exec_lo, s17
	s_and_saveexec_b32 s17, s22
	s_cbranch_execz .LBB1776_593
.LBB1776_578:                           ;   in Loop: Header=BB1776_397 Depth=2
	v_lshlrev_b32_e32 v2, 2, v138
	v_add_nc_u32_e32 v36, v79, v81
	ds_load_b32 v2, v2
	ds_load_b64 v[36:37], v36 offset:12288
	s_waitcnt lgkmcnt(1)
	v_add_nc_u32_e32 v2, v2, v53
	s_delay_alu instid0(VALU_DEP_1) | instskip(NEXT) | instid1(VALU_DEP_1)
	v_lshlrev_b64 v[39:40], 3, v[2:3]
	v_add_co_u32 v39, vcc_lo, s46, v39
	s_delay_alu instid0(VALU_DEP_2)
	v_add_co_ci_u32_e32 v40, vcc_lo, s47, v40, vcc_lo
	s_waitcnt lgkmcnt(0)
	global_store_b64 v[39:40], v[36:37], off
	s_or_b32 exec_lo, exec_lo, s17
	s_and_saveexec_b32 s17, s23
	s_cbranch_execnz .LBB1776_594
.LBB1776_579:                           ;   in Loop: Header=BB1776_397 Depth=2
	s_or_b32 exec_lo, exec_lo, s17
	s_and_saveexec_b32 s17, s24
	s_cbranch_execz .LBB1776_595
.LBB1776_580:                           ;   in Loop: Header=BB1776_397 Depth=2
	v_lshlrev_b32_e32 v2, 2, v136
	v_add_nc_u32_e32 v36, v79, v81
	ds_load_b32 v2, v2
	ds_load_b64 v[36:37], v36 offset:16384
	s_waitcnt lgkmcnt(1)
	v_add_nc_u32_e32 v2, v2, v55
	s_delay_alu instid0(VALU_DEP_1) | instskip(NEXT) | instid1(VALU_DEP_1)
	v_lshlrev_b64 v[39:40], 3, v[2:3]
	v_add_co_u32 v39, vcc_lo, s46, v39
	s_delay_alu instid0(VALU_DEP_2)
	v_add_co_ci_u32_e32 v40, vcc_lo, s47, v40, vcc_lo
	s_waitcnt lgkmcnt(0)
	global_store_b64 v[39:40], v[36:37], off
	s_or_b32 exec_lo, exec_lo, s17
	s_and_saveexec_b32 s17, s25
	s_cbranch_execnz .LBB1776_596
.LBB1776_581:                           ;   in Loop: Header=BB1776_397 Depth=2
	s_or_b32 exec_lo, exec_lo, s17
	s_and_saveexec_b32 s17, s26
	s_cbranch_execz .LBB1776_597
.LBB1776_582:                           ;   in Loop: Header=BB1776_397 Depth=2
	v_lshlrev_b32_e32 v2, 2, v134
	v_add_nc_u32_e32 v36, v79, v81
	ds_load_b32 v2, v2
	ds_load_b64 v[36:37], v36 offset:20480
	s_waitcnt lgkmcnt(1)
	v_add_nc_u32_e32 v2, v2, v57
	s_delay_alu instid0(VALU_DEP_1) | instskip(NEXT) | instid1(VALU_DEP_1)
	v_lshlrev_b64 v[39:40], 3, v[2:3]
	v_add_co_u32 v39, vcc_lo, s46, v39
	s_delay_alu instid0(VALU_DEP_2)
	v_add_co_ci_u32_e32 v40, vcc_lo, s47, v40, vcc_lo
	s_waitcnt lgkmcnt(0)
	global_store_b64 v[39:40], v[36:37], off
	s_or_b32 exec_lo, exec_lo, s17
	s_and_saveexec_b32 s17, s27
	s_cbranch_execnz .LBB1776_598
.LBB1776_583:                           ;   in Loop: Header=BB1776_397 Depth=2
	s_or_b32 exec_lo, exec_lo, s17
	s_and_saveexec_b32 s17, s28
	s_cbranch_execz .LBB1776_599
.LBB1776_584:                           ;   in Loop: Header=BB1776_397 Depth=2
	v_lshlrev_b32_e32 v2, 2, v132
	v_add_nc_u32_e32 v36, v79, v81
	ds_load_b32 v2, v2
	ds_load_b64 v[36:37], v36 offset:24576
	s_waitcnt lgkmcnt(1)
	v_add_nc_u32_e32 v2, v2, v59
	s_delay_alu instid0(VALU_DEP_1) | instskip(NEXT) | instid1(VALU_DEP_1)
	v_lshlrev_b64 v[39:40], 3, v[2:3]
	v_add_co_u32 v39, vcc_lo, s46, v39
	s_delay_alu instid0(VALU_DEP_2)
	v_add_co_ci_u32_e32 v40, vcc_lo, s47, v40, vcc_lo
	s_waitcnt lgkmcnt(0)
	global_store_b64 v[39:40], v[36:37], off
	s_or_b32 exec_lo, exec_lo, s17
	s_and_saveexec_b32 s17, s29
	s_cbranch_execnz .LBB1776_600
.LBB1776_585:                           ;   in Loop: Header=BB1776_397 Depth=2
	s_or_b32 exec_lo, exec_lo, s17
	s_and_saveexec_b32 s17, s30
	s_cbranch_execz .LBB1776_601
.LBB1776_586:                           ;   in Loop: Header=BB1776_397 Depth=2
	v_lshlrev_b32_e32 v2, 2, v130
	v_add_nc_u32_e32 v36, v79, v81
	ds_load_b32 v2, v2
	ds_load_b64 v[36:37], v36 offset:28672
	s_waitcnt lgkmcnt(1)
	v_add_nc_u32_e32 v2, v2, v61
	s_delay_alu instid0(VALU_DEP_1) | instskip(NEXT) | instid1(VALU_DEP_1)
	v_lshlrev_b64 v[39:40], 3, v[2:3]
	v_add_co_u32 v39, vcc_lo, s46, v39
	s_delay_alu instid0(VALU_DEP_2)
	v_add_co_ci_u32_e32 v40, vcc_lo, s47, v40, vcc_lo
	s_waitcnt lgkmcnt(0)
	global_store_b64 v[39:40], v[36:37], off
	s_or_b32 exec_lo, exec_lo, s17
	s_and_saveexec_b32 s17, s31
	s_cbranch_execnz .LBB1776_602
	s_branch .LBB1776_603
.LBB1776_587:                           ;   in Loop: Header=BB1776_397 Depth=2
	s_or_b32 exec_lo, exec_lo, s33
	s_and_saveexec_b32 s33, s17
	s_cbranch_execz .LBB1776_573
.LBB1776_588:                           ;   in Loop: Header=BB1776_397 Depth=2
	v_lshlrev_b32_e32 v2, 2, v143
	v_add_nc_u32_e32 v36, v79, v81
	ds_load_b32 v2, v2
	ds_load_b64 v[36:37], v36 offset:2048
	s_waitcnt lgkmcnt(1)
	v_add_nc_u32_e32 v2, v2, v45
	s_delay_alu instid0(VALU_DEP_1) | instskip(NEXT) | instid1(VALU_DEP_1)
	v_lshlrev_b64 v[39:40], 3, v[2:3]
	v_add_co_u32 v39, vcc_lo, s46, v39
	s_delay_alu instid0(VALU_DEP_2)
	v_add_co_ci_u32_e32 v40, vcc_lo, s47, v40, vcc_lo
	s_waitcnt lgkmcnt(0)
	global_store_b64 v[39:40], v[36:37], off
	s_or_b32 exec_lo, exec_lo, s33
	s_and_saveexec_b32 s17, s18
	s_cbranch_execnz .LBB1776_574
.LBB1776_589:                           ;   in Loop: Header=BB1776_397 Depth=2
	s_or_b32 exec_lo, exec_lo, s17
	s_and_saveexec_b32 s17, s19
	s_cbranch_execz .LBB1776_575
.LBB1776_590:                           ;   in Loop: Header=BB1776_397 Depth=2
	v_lshlrev_b32_e32 v2, 2, v141
	v_add_nc_u32_e32 v36, v79, v81
	ds_load_b32 v2, v2
	ds_load_b64 v[36:37], v36 offset:6144
	s_waitcnt lgkmcnt(1)
	v_add_nc_u32_e32 v2, v2, v47
	s_delay_alu instid0(VALU_DEP_1) | instskip(NEXT) | instid1(VALU_DEP_1)
	v_lshlrev_b64 v[39:40], 3, v[2:3]
	v_add_co_u32 v39, vcc_lo, s46, v39
	s_delay_alu instid0(VALU_DEP_2)
	v_add_co_ci_u32_e32 v40, vcc_lo, s47, v40, vcc_lo
	s_waitcnt lgkmcnt(0)
	global_store_b64 v[39:40], v[36:37], off
	s_or_b32 exec_lo, exec_lo, s17
	s_and_saveexec_b32 s17, s20
	s_cbranch_execnz .LBB1776_576
.LBB1776_591:                           ;   in Loop: Header=BB1776_397 Depth=2
	s_or_b32 exec_lo, exec_lo, s17
	s_and_saveexec_b32 s17, s21
	s_cbranch_execz .LBB1776_577
.LBB1776_592:                           ;   in Loop: Header=BB1776_397 Depth=2
	v_lshlrev_b32_e32 v2, 2, v139
	v_add_nc_u32_e32 v36, v79, v81
	ds_load_b32 v2, v2
	ds_load_b64 v[36:37], v36 offset:10240
	s_waitcnt lgkmcnt(1)
	v_add_nc_u32_e32 v2, v2, v52
	s_delay_alu instid0(VALU_DEP_1) | instskip(NEXT) | instid1(VALU_DEP_1)
	v_lshlrev_b64 v[39:40], 3, v[2:3]
	v_add_co_u32 v39, vcc_lo, s46, v39
	s_delay_alu instid0(VALU_DEP_2)
	v_add_co_ci_u32_e32 v40, vcc_lo, s47, v40, vcc_lo
	s_waitcnt lgkmcnt(0)
	global_store_b64 v[39:40], v[36:37], off
	s_or_b32 exec_lo, exec_lo, s17
	s_and_saveexec_b32 s17, s22
	s_cbranch_execnz .LBB1776_578
.LBB1776_593:                           ;   in Loop: Header=BB1776_397 Depth=2
	s_or_b32 exec_lo, exec_lo, s17
	s_and_saveexec_b32 s17, s23
	s_cbranch_execz .LBB1776_579
.LBB1776_594:                           ;   in Loop: Header=BB1776_397 Depth=2
	v_lshlrev_b32_e32 v2, 2, v137
	v_add_nc_u32_e32 v36, v79, v81
	ds_load_b32 v2, v2
	ds_load_b64 v[36:37], v36 offset:14336
	s_waitcnt lgkmcnt(1)
	v_add_nc_u32_e32 v2, v2, v54
	s_delay_alu instid0(VALU_DEP_1) | instskip(NEXT) | instid1(VALU_DEP_1)
	v_lshlrev_b64 v[39:40], 3, v[2:3]
	v_add_co_u32 v39, vcc_lo, s46, v39
	s_delay_alu instid0(VALU_DEP_2)
	v_add_co_ci_u32_e32 v40, vcc_lo, s47, v40, vcc_lo
	s_waitcnt lgkmcnt(0)
	global_store_b64 v[39:40], v[36:37], off
	s_or_b32 exec_lo, exec_lo, s17
	s_and_saveexec_b32 s17, s24
	s_cbranch_execnz .LBB1776_580
.LBB1776_595:                           ;   in Loop: Header=BB1776_397 Depth=2
	s_or_b32 exec_lo, exec_lo, s17
	s_and_saveexec_b32 s17, s25
	s_cbranch_execz .LBB1776_581
.LBB1776_596:                           ;   in Loop: Header=BB1776_397 Depth=2
	v_lshlrev_b32_e32 v2, 2, v135
	v_add_nc_u32_e32 v36, v79, v81
	ds_load_b32 v2, v2
	ds_load_b64 v[36:37], v36 offset:18432
	s_waitcnt lgkmcnt(1)
	v_add_nc_u32_e32 v2, v2, v56
	s_delay_alu instid0(VALU_DEP_1) | instskip(NEXT) | instid1(VALU_DEP_1)
	v_lshlrev_b64 v[39:40], 3, v[2:3]
	v_add_co_u32 v39, vcc_lo, s46, v39
	s_delay_alu instid0(VALU_DEP_2)
	v_add_co_ci_u32_e32 v40, vcc_lo, s47, v40, vcc_lo
	s_waitcnt lgkmcnt(0)
	global_store_b64 v[39:40], v[36:37], off
	s_or_b32 exec_lo, exec_lo, s17
	s_and_saveexec_b32 s17, s26
	s_cbranch_execnz .LBB1776_582
.LBB1776_597:                           ;   in Loop: Header=BB1776_397 Depth=2
	s_or_b32 exec_lo, exec_lo, s17
	s_and_saveexec_b32 s17, s27
	s_cbranch_execz .LBB1776_583
.LBB1776_598:                           ;   in Loop: Header=BB1776_397 Depth=2
	v_lshlrev_b32_e32 v2, 2, v133
	v_add_nc_u32_e32 v36, v79, v81
	ds_load_b32 v2, v2
	ds_load_b64 v[36:37], v36 offset:22528
	s_waitcnt lgkmcnt(1)
	v_add_nc_u32_e32 v2, v2, v58
	s_delay_alu instid0(VALU_DEP_1) | instskip(NEXT) | instid1(VALU_DEP_1)
	v_lshlrev_b64 v[39:40], 3, v[2:3]
	v_add_co_u32 v39, vcc_lo, s46, v39
	s_delay_alu instid0(VALU_DEP_2)
	v_add_co_ci_u32_e32 v40, vcc_lo, s47, v40, vcc_lo
	s_waitcnt lgkmcnt(0)
	global_store_b64 v[39:40], v[36:37], off
	s_or_b32 exec_lo, exec_lo, s17
	s_and_saveexec_b32 s17, s28
	s_cbranch_execnz .LBB1776_584
.LBB1776_599:                           ;   in Loop: Header=BB1776_397 Depth=2
	s_or_b32 exec_lo, exec_lo, s17
	s_and_saveexec_b32 s17, s29
	s_cbranch_execz .LBB1776_585
.LBB1776_600:                           ;   in Loop: Header=BB1776_397 Depth=2
	v_lshlrev_b32_e32 v2, 2, v131
	v_add_nc_u32_e32 v36, v79, v81
	ds_load_b32 v2, v2
	ds_load_b64 v[36:37], v36 offset:26624
	s_waitcnt lgkmcnt(1)
	v_add_nc_u32_e32 v2, v2, v60
	s_delay_alu instid0(VALU_DEP_1) | instskip(NEXT) | instid1(VALU_DEP_1)
	v_lshlrev_b64 v[39:40], 3, v[2:3]
	v_add_co_u32 v39, vcc_lo, s46, v39
	s_delay_alu instid0(VALU_DEP_2)
	v_add_co_ci_u32_e32 v40, vcc_lo, s47, v40, vcc_lo
	s_waitcnt lgkmcnt(0)
	global_store_b64 v[39:40], v[36:37], off
	s_or_b32 exec_lo, exec_lo, s17
	s_and_saveexec_b32 s17, s30
	s_cbranch_execnz .LBB1776_586
.LBB1776_601:                           ;   in Loop: Header=BB1776_397 Depth=2
	s_or_b32 exec_lo, exec_lo, s17
	s_and_saveexec_b32 s17, s31
	s_cbranch_execz .LBB1776_603
.LBB1776_602:                           ;   in Loop: Header=BB1776_397 Depth=2
	v_lshlrev_b32_e32 v2, 2, v129
	v_add_nc_u32_e32 v36, v79, v81
	ds_load_b32 v2, v2
	ds_load_b64 v[36:37], v36 offset:30720
	s_waitcnt lgkmcnt(1)
	v_add_nc_u32_e32 v2, v2, v63
	s_delay_alu instid0(VALU_DEP_1) | instskip(NEXT) | instid1(VALU_DEP_1)
	v_lshlrev_b64 v[39:40], 3, v[2:3]
	v_add_co_u32 v39, vcc_lo, s46, v39
	s_delay_alu instid0(VALU_DEP_2)
	v_add_co_ci_u32_e32 v40, vcc_lo, s47, v40, vcc_lo
	s_waitcnt lgkmcnt(0)
	global_store_b64 v[39:40], v[36:37], off
.LBB1776_603:                           ;   in Loop: Header=BB1776_397 Depth=2
	s_or_b32 exec_lo, exec_lo, s17
	s_waitcnt_vscnt null, 0x0
	s_barrier
	buffer_gl0_inv
	s_and_saveexec_b32 s17, s2
	s_cbranch_execz .LBB1776_396
; %bb.604:                              ;   in Loop: Header=BB1776_397 Depth=2
	ds_load_b32 v2, v44
	s_waitcnt lgkmcnt(0)
	v_add_nc_u32_e32 v2, v2, v38
	ds_store_b32 v44, v2
	s_branch .LBB1776_396
.LBB1776_605:                           ;   in Loop: Header=BB1776_17 Depth=1
	s_waitcnt lgkmcnt(0)
	s_barrier
.LBB1776_606:                           ;   in Loop: Header=BB1776_17 Depth=1
	s_mov_b32 s0, 0
.LBB1776_607:                           ;   in Loop: Header=BB1776_17 Depth=1
	s_delay_alu instid0(SALU_CYCLE_1)
	s_and_not1_b32 vcc_lo, exec_lo, s0
	s_cbranch_vccnz .LBB1776_16
; %bb.608:                              ;   in Loop: Header=BB1776_17 Depth=1
	s_and_b32 vcc_lo, exec_lo, s51
	s_mov_b32 s0, -1
	s_cbranch_vccz .LBB1776_902
; %bb.609:                              ;   in Loop: Header=BB1776_17 Depth=1
	s_mov_b32 s8, s54
	s_mov_b32 s34, s52
	s_barrier
	buffer_gl0_inv
                                        ; implicit-def: $vgpr20
                                        ; implicit-def: $vgpr2
                                        ; implicit-def: $vgpr6
                                        ; implicit-def: $vgpr7
                                        ; implicit-def: $vgpr8
                                        ; implicit-def: $vgpr9
                                        ; implicit-def: $vgpr10
                                        ; implicit-def: $vgpr11
                                        ; implicit-def: $vgpr12
                                        ; implicit-def: $vgpr13
                                        ; implicit-def: $vgpr14
                                        ; implicit-def: $vgpr15
                                        ; implicit-def: $vgpr16
                                        ; implicit-def: $vgpr17
                                        ; implicit-def: $vgpr18
                                        ; implicit-def: $vgpr19
	s_branch .LBB1776_611
.LBB1776_610:                           ;   in Loop: Header=BB1776_611 Depth=2
	s_or_b32 exec_lo, exec_lo, s0
	s_addk_i32 s8, 0xf000
	s_cmp_ge_u32 s9, s53
	s_mov_b32 s34, s9
	s_cbranch_scc1 .LBB1776_681
.LBB1776_611:                           ;   Parent Loop BB1776_17 Depth=1
                                        ; =>  This Inner Loop Header: Depth=2
	s_add_i32 s9, s34, 0x1000
	s_delay_alu instid0(SALU_CYCLE_1)
	s_cmp_gt_u32 s9, s53
	s_cbranch_scc1 .LBB1776_614
; %bb.612:                              ;   in Loop: Header=BB1776_611 Depth=2
	s_mov_b32 s1, 0
	s_mov_b32 s0, s34
	s_delay_alu instid0(SALU_CYCLE_1) | instskip(NEXT) | instid1(SALU_CYCLE_1)
	s_lshl_b64 s[10:11], s[0:1], 1
	v_add_co_u32 v4, vcc_lo, v88, s10
	v_add_co_ci_u32_e32 v5, vcc_lo, s11, v89, vcc_lo
	s_movk_i32 s11, 0x1000
	s_waitcnt vmcnt(0)
	s_delay_alu instid0(VALU_DEP_2) | instskip(NEXT) | instid1(VALU_DEP_2)
	v_add_co_u32 v36, vcc_lo, 0x1000, v4
	v_add_co_ci_u32_e32 v37, vcc_lo, 0, v5, vcc_lo
	s_clause 0xe
	global_load_u16 v22, v[4:5], off
	global_load_u16 v23, v[4:5], off offset:512
	global_load_u16 v24, v[4:5], off offset:1024
	;; [unrolled: 1-line block ×7, first 2 shown]
	global_load_u16 v30, v[36:37], off
	global_load_u16 v31, v[36:37], off offset:512
	global_load_u16 v32, v[36:37], off offset:1024
	;; [unrolled: 1-line block ×6, first 2 shown]
	v_add_co_u32 v4, vcc_lo, 0x1e00, v4
	v_add_co_ci_u32_e32 v5, vcc_lo, 0, v5, vcc_lo
	s_mov_b32 s10, -1
	s_cbranch_execz .LBB1776_615
; %bb.613:                              ;   in Loop: Header=BB1776_611 Depth=2
                                        ; implicit-def: $vgpr19
                                        ; implicit-def: $vgpr18
                                        ; implicit-def: $vgpr17
                                        ; implicit-def: $vgpr16
                                        ; implicit-def: $vgpr15
                                        ; implicit-def: $vgpr14
                                        ; implicit-def: $vgpr13
                                        ; implicit-def: $vgpr12
                                        ; implicit-def: $vgpr11
                                        ; implicit-def: $vgpr10
                                        ; implicit-def: $vgpr9
                                        ; implicit-def: $vgpr8
                                        ; implicit-def: $vgpr7
                                        ; implicit-def: $vgpr6
                                        ; implicit-def: $vgpr2
                                        ; implicit-def: $vgpr20
	v_mov_b32_e32 v21, s8
	s_and_saveexec_b32 s0, s10
	s_cbranch_execnz .LBB1776_634
	s_branch .LBB1776_635
.LBB1776_614:                           ;   in Loop: Header=BB1776_611 Depth=2
	s_mov_b32 s10, 0
                                        ; implicit-def: $sgpr11
                                        ; implicit-def: $vgpr22
                                        ; implicit-def: $vgpr23
                                        ; implicit-def: $vgpr24
                                        ; implicit-def: $vgpr25
                                        ; implicit-def: $vgpr26
                                        ; implicit-def: $vgpr27
                                        ; implicit-def: $vgpr28
                                        ; implicit-def: $vgpr29
                                        ; implicit-def: $vgpr30
                                        ; implicit-def: $vgpr31
                                        ; implicit-def: $vgpr32
                                        ; implicit-def: $vgpr33
                                        ; implicit-def: $vgpr34
                                        ; implicit-def: $vgpr35
                                        ; implicit-def: $vgpr36
                                        ; implicit-def: $vgpr4_vgpr5
.LBB1776_615:                           ;   in Loop: Header=BB1776_611 Depth=2
	s_lshl_b64 s[0:1], s[34:35], 1
	s_mov_b32 s11, exec_lo
	s_add_u32 s0, s36, s0
	s_addc_u32 s1, s37, s1
	v_cmpx_gt_u32_e64 s8, v1
	s_cbranch_execz .LBB1776_667
; %bb.616:                              ;   in Loop: Header=BB1776_611 Depth=2
	global_load_u16 v19, v95, s[0:1]
	s_or_b32 exec_lo, exec_lo, s11
	s_delay_alu instid0(SALU_CYCLE_1)
	s_mov_b32 s11, exec_lo
	v_cmpx_gt_u32_e64 s8, v45
	s_cbranch_execnz .LBB1776_668
.LBB1776_617:                           ;   in Loop: Header=BB1776_611 Depth=2
	s_or_b32 exec_lo, exec_lo, s11
	s_delay_alu instid0(SALU_CYCLE_1)
	s_mov_b32 s11, exec_lo
	v_cmpx_gt_u32_e64 s8, v46
	s_cbranch_execz .LBB1776_669
.LBB1776_618:                           ;   in Loop: Header=BB1776_611 Depth=2
	global_load_u16 v17, v95, s[0:1] offset:1024
	s_or_b32 exec_lo, exec_lo, s11
	s_delay_alu instid0(SALU_CYCLE_1)
	s_mov_b32 s11, exec_lo
	v_cmpx_gt_u32_e64 s8, v47
	s_cbranch_execnz .LBB1776_670
.LBB1776_619:                           ;   in Loop: Header=BB1776_611 Depth=2
	s_or_b32 exec_lo, exec_lo, s11
	s_delay_alu instid0(SALU_CYCLE_1)
	s_mov_b32 s11, exec_lo
	v_cmpx_gt_u32_e64 s8, v51
	s_cbranch_execz .LBB1776_671
.LBB1776_620:                           ;   in Loop: Header=BB1776_611 Depth=2
	global_load_u16 v15, v95, s[0:1] offset:2048
	s_or_b32 exec_lo, exec_lo, s11
	s_delay_alu instid0(SALU_CYCLE_1)
	s_mov_b32 s11, exec_lo
	v_cmpx_gt_u32_e64 s8, v52
	s_cbranch_execnz .LBB1776_672
.LBB1776_621:                           ;   in Loop: Header=BB1776_611 Depth=2
	s_or_b32 exec_lo, exec_lo, s11
	s_delay_alu instid0(SALU_CYCLE_1)
	s_mov_b32 s11, exec_lo
	v_cmpx_gt_u32_e64 s8, v53
	s_cbranch_execz .LBB1776_673
.LBB1776_622:                           ;   in Loop: Header=BB1776_611 Depth=2
	global_load_u16 v13, v95, s[0:1] offset:3072
	s_or_b32 exec_lo, exec_lo, s11
	s_delay_alu instid0(SALU_CYCLE_1)
	s_mov_b32 s11, exec_lo
	v_cmpx_gt_u32_e64 s8, v54
	s_cbranch_execnz .LBB1776_674
.LBB1776_623:                           ;   in Loop: Header=BB1776_611 Depth=2
	s_or_b32 exec_lo, exec_lo, s11
	s_delay_alu instid0(SALU_CYCLE_1)
	s_mov_b32 s11, exec_lo
	v_cmpx_gt_u32_e64 s8, v55
	s_cbranch_execz .LBB1776_675
.LBB1776_624:                           ;   in Loop: Header=BB1776_611 Depth=2
	global_load_u16 v11, v96, s[0:1]
	s_or_b32 exec_lo, exec_lo, s11
	s_delay_alu instid0(SALU_CYCLE_1)
	s_mov_b32 s11, exec_lo
	v_cmpx_gt_u32_e64 s8, v56
	s_cbranch_execnz .LBB1776_676
.LBB1776_625:                           ;   in Loop: Header=BB1776_611 Depth=2
	s_or_b32 exec_lo, exec_lo, s11
	s_delay_alu instid0(SALU_CYCLE_1)
	s_mov_b32 s11, exec_lo
	v_cmpx_gt_u32_e64 s8, v57
	s_cbranch_execz .LBB1776_677
.LBB1776_626:                           ;   in Loop: Header=BB1776_611 Depth=2
	global_load_u16 v9, v98, s[0:1]
	s_or_b32 exec_lo, exec_lo, s11
	s_delay_alu instid0(SALU_CYCLE_1)
	s_mov_b32 s11, exec_lo
	v_cmpx_gt_u32_e64 s8, v58
	s_cbranch_execnz .LBB1776_678
.LBB1776_627:                           ;   in Loop: Header=BB1776_611 Depth=2
	s_or_b32 exec_lo, exec_lo, s11
	s_delay_alu instid0(SALU_CYCLE_1)
	s_mov_b32 s11, exec_lo
	v_cmpx_gt_u32_e64 s8, v59
	s_cbranch_execz .LBB1776_679
.LBB1776_628:                           ;   in Loop: Header=BB1776_611 Depth=2
	global_load_u16 v7, v100, s[0:1]
	s_or_b32 exec_lo, exec_lo, s11
	s_delay_alu instid0(SALU_CYCLE_1)
	s_mov_b32 s11, exec_lo
	v_cmpx_gt_u32_e64 s8, v60
	s_cbranch_execnz .LBB1776_680
.LBB1776_629:                           ;   in Loop: Header=BB1776_611 Depth=2
	s_or_b32 exec_lo, exec_lo, s11
	s_delay_alu instid0(SALU_CYCLE_1)
	s_mov_b32 s11, exec_lo
	v_cmpx_gt_u32_e64 s8, v61
	s_cbranch_execz .LBB1776_631
.LBB1776_630:                           ;   in Loop: Header=BB1776_611 Depth=2
	global_load_u16 v2, v102, s[0:1]
.LBB1776_631:                           ;   in Loop: Header=BB1776_611 Depth=2
	s_or_b32 exec_lo, exec_lo, s11
	s_delay_alu instid0(SALU_CYCLE_1)
	s_mov_b32 s12, exec_lo
                                        ; implicit-def: $sgpr11
                                        ; implicit-def: $vgpr4_vgpr5
	v_cmpx_gt_u32_e64 s8, v63
; %bb.632:                              ;   in Loop: Header=BB1776_611 Depth=2
	v_add_co_u32 v4, s0, s0, v103
	s_delay_alu instid0(VALU_DEP_1)
	v_add_co_ci_u32_e64 v5, null, s1, 0, s0
	s_sub_i32 s11, s53, s34
	s_or_b32 s10, s10, exec_lo
                                        ; implicit-def: $vgpr20
; %bb.633:                              ;   in Loop: Header=BB1776_611 Depth=2
	s_or_b32 exec_lo, exec_lo, s12
	s_waitcnt vmcnt(0)
	v_dual_mov_b32 v22, v19 :: v_dual_mov_b32 v23, v18
	v_dual_mov_b32 v24, v17 :: v_dual_mov_b32 v25, v16
	;; [unrolled: 1-line block ×8, first 2 shown]
	s_and_saveexec_b32 s0, s10
	s_cbranch_execz .LBB1776_635
.LBB1776_634:                           ;   in Loop: Header=BB1776_611 Depth=2
	global_load_u16 v20, v[4:5], off
	s_waitcnt vmcnt(1)
	v_dual_mov_b32 v21, s11 :: v_dual_mov_b32 v2, v36
	v_dual_mov_b32 v6, v35 :: v_dual_mov_b32 v7, v34
	;; [unrolled: 1-line block ×8, first 2 shown]
.LBB1776_635:                           ;   in Loop: Header=BB1776_611 Depth=2
	s_or_b32 exec_lo, exec_lo, s0
	s_delay_alu instid0(SALU_CYCLE_1)
	s_mov_b32 s0, exec_lo
	v_cmpx_lt_u32_e64 v1, v21
	s_cbranch_execz .LBB1776_651
; %bb.636:                              ;   in Loop: Header=BB1776_611 Depth=2
	v_cmp_gt_i16_e32 vcc_lo, 0, v19
	v_lshlrev_b32_e32 v5, 2, v48
	v_cndmask_b32_e64 v4, 0x7fff, 0, vcc_lo
	s_delay_alu instid0(VALU_DEP_1) | instskip(NEXT) | instid1(VALU_DEP_1)
	v_xor_b32_e32 v4, v4, v19
	v_cmp_ne_u16_e32 vcc_lo, 0x8000, v4
	v_cndmask_b32_e32 v4, 0x7fff, v4, vcc_lo
	s_delay_alu instid0(VALU_DEP_1) | instskip(NEXT) | instid1(VALU_DEP_1)
	v_and_b32_e32 v4, 0xffff, v4
	v_lshrrev_b32_e32 v4, s49, v4
	s_delay_alu instid0(VALU_DEP_1) | instskip(NEXT) | instid1(VALU_DEP_1)
	v_and_b32_e32 v4, s55, v4
	v_lshl_or_b32 v4, v4, 4, v5
	ds_add_u32 v4, v94
	s_or_b32 exec_lo, exec_lo, s0
	s_delay_alu instid0(SALU_CYCLE_1)
	s_mov_b32 s0, exec_lo
	v_cmpx_lt_u32_e64 v45, v21
	s_cbranch_execnz .LBB1776_652
.LBB1776_637:                           ;   in Loop: Header=BB1776_611 Depth=2
	s_or_b32 exec_lo, exec_lo, s0
	s_delay_alu instid0(SALU_CYCLE_1)
	s_mov_b32 s0, exec_lo
	v_cmpx_lt_u32_e64 v46, v21
	s_cbranch_execz .LBB1776_653
.LBB1776_638:                           ;   in Loop: Header=BB1776_611 Depth=2
	v_cmp_gt_i16_e32 vcc_lo, 0, v17
	v_lshlrev_b32_e32 v5, 2, v48
	v_cndmask_b32_e64 v4, 0x7fff, 0, vcc_lo
	s_delay_alu instid0(VALU_DEP_1) | instskip(NEXT) | instid1(VALU_DEP_1)
	v_xor_b32_e32 v4, v4, v17
	v_cmp_ne_u16_e32 vcc_lo, 0x8000, v4
	v_cndmask_b32_e32 v4, 0x7fff, v4, vcc_lo
	s_delay_alu instid0(VALU_DEP_1) | instskip(NEXT) | instid1(VALU_DEP_1)
	v_and_b32_e32 v4, 0xffff, v4
	v_lshrrev_b32_e32 v4, s49, v4
	s_delay_alu instid0(VALU_DEP_1) | instskip(NEXT) | instid1(VALU_DEP_1)
	v_and_b32_e32 v4, s55, v4
	v_lshl_or_b32 v4, v4, 4, v5
	ds_add_u32 v4, v94
	s_or_b32 exec_lo, exec_lo, s0
	s_delay_alu instid0(SALU_CYCLE_1)
	s_mov_b32 s0, exec_lo
	v_cmpx_lt_u32_e64 v47, v21
	s_cbranch_execnz .LBB1776_654
.LBB1776_639:                           ;   in Loop: Header=BB1776_611 Depth=2
	s_or_b32 exec_lo, exec_lo, s0
	s_delay_alu instid0(SALU_CYCLE_1)
	s_mov_b32 s0, exec_lo
	v_cmpx_lt_u32_e64 v51, v21
	s_cbranch_execz .LBB1776_655
.LBB1776_640:                           ;   in Loop: Header=BB1776_611 Depth=2
	v_cmp_gt_i16_e32 vcc_lo, 0, v15
	v_lshlrev_b32_e32 v5, 2, v48
	v_cndmask_b32_e64 v4, 0x7fff, 0, vcc_lo
	s_delay_alu instid0(VALU_DEP_1) | instskip(NEXT) | instid1(VALU_DEP_1)
	v_xor_b32_e32 v4, v4, v15
	v_cmp_ne_u16_e32 vcc_lo, 0x8000, v4
	v_cndmask_b32_e32 v4, 0x7fff, v4, vcc_lo
	s_delay_alu instid0(VALU_DEP_1) | instskip(NEXT) | instid1(VALU_DEP_1)
	v_and_b32_e32 v4, 0xffff, v4
	v_lshrrev_b32_e32 v4, s49, v4
	s_delay_alu instid0(VALU_DEP_1) | instskip(NEXT) | instid1(VALU_DEP_1)
	v_and_b32_e32 v4, s55, v4
	v_lshl_or_b32 v4, v4, 4, v5
	ds_add_u32 v4, v94
	s_or_b32 exec_lo, exec_lo, s0
	s_delay_alu instid0(SALU_CYCLE_1)
	s_mov_b32 s0, exec_lo
	v_cmpx_lt_u32_e64 v52, v21
	s_cbranch_execnz .LBB1776_656
.LBB1776_641:                           ;   in Loop: Header=BB1776_611 Depth=2
	s_or_b32 exec_lo, exec_lo, s0
	s_delay_alu instid0(SALU_CYCLE_1)
	s_mov_b32 s0, exec_lo
	v_cmpx_lt_u32_e64 v53, v21
	s_cbranch_execz .LBB1776_657
.LBB1776_642:                           ;   in Loop: Header=BB1776_611 Depth=2
	v_cmp_gt_i16_e32 vcc_lo, 0, v13
	v_lshlrev_b32_e32 v5, 2, v48
	v_cndmask_b32_e64 v4, 0x7fff, 0, vcc_lo
	s_delay_alu instid0(VALU_DEP_1) | instskip(NEXT) | instid1(VALU_DEP_1)
	v_xor_b32_e32 v4, v4, v13
	v_cmp_ne_u16_e32 vcc_lo, 0x8000, v4
	v_cndmask_b32_e32 v4, 0x7fff, v4, vcc_lo
	s_delay_alu instid0(VALU_DEP_1) | instskip(NEXT) | instid1(VALU_DEP_1)
	v_and_b32_e32 v4, 0xffff, v4
	v_lshrrev_b32_e32 v4, s49, v4
	s_delay_alu instid0(VALU_DEP_1) | instskip(NEXT) | instid1(VALU_DEP_1)
	v_and_b32_e32 v4, s55, v4
	v_lshl_or_b32 v4, v4, 4, v5
	ds_add_u32 v4, v94
	s_or_b32 exec_lo, exec_lo, s0
	s_delay_alu instid0(SALU_CYCLE_1)
	s_mov_b32 s0, exec_lo
	v_cmpx_lt_u32_e64 v54, v21
	s_cbranch_execnz .LBB1776_658
.LBB1776_643:                           ;   in Loop: Header=BB1776_611 Depth=2
	s_or_b32 exec_lo, exec_lo, s0
	s_delay_alu instid0(SALU_CYCLE_1)
	s_mov_b32 s0, exec_lo
	v_cmpx_lt_u32_e64 v55, v21
	s_cbranch_execz .LBB1776_659
.LBB1776_644:                           ;   in Loop: Header=BB1776_611 Depth=2
	v_cmp_gt_i16_e32 vcc_lo, 0, v11
	v_lshlrev_b32_e32 v5, 2, v48
	v_cndmask_b32_e64 v4, 0x7fff, 0, vcc_lo
	s_delay_alu instid0(VALU_DEP_1) | instskip(NEXT) | instid1(VALU_DEP_1)
	v_xor_b32_e32 v4, v4, v11
	v_cmp_ne_u16_e32 vcc_lo, 0x8000, v4
	v_cndmask_b32_e32 v4, 0x7fff, v4, vcc_lo
	s_delay_alu instid0(VALU_DEP_1) | instskip(NEXT) | instid1(VALU_DEP_1)
	v_and_b32_e32 v4, 0xffff, v4
	v_lshrrev_b32_e32 v4, s49, v4
	s_delay_alu instid0(VALU_DEP_1) | instskip(NEXT) | instid1(VALU_DEP_1)
	v_and_b32_e32 v4, s55, v4
	v_lshl_or_b32 v4, v4, 4, v5
	ds_add_u32 v4, v94
	s_or_b32 exec_lo, exec_lo, s0
	s_delay_alu instid0(SALU_CYCLE_1)
	s_mov_b32 s0, exec_lo
	v_cmpx_lt_u32_e64 v56, v21
	s_cbranch_execnz .LBB1776_660
.LBB1776_645:                           ;   in Loop: Header=BB1776_611 Depth=2
	s_or_b32 exec_lo, exec_lo, s0
	s_delay_alu instid0(SALU_CYCLE_1)
	s_mov_b32 s0, exec_lo
	v_cmpx_lt_u32_e64 v57, v21
	s_cbranch_execz .LBB1776_661
.LBB1776_646:                           ;   in Loop: Header=BB1776_611 Depth=2
	v_cmp_gt_i16_e32 vcc_lo, 0, v9
	v_lshlrev_b32_e32 v5, 2, v48
	v_cndmask_b32_e64 v4, 0x7fff, 0, vcc_lo
	s_delay_alu instid0(VALU_DEP_1) | instskip(NEXT) | instid1(VALU_DEP_1)
	v_xor_b32_e32 v4, v4, v9
	v_cmp_ne_u16_e32 vcc_lo, 0x8000, v4
	v_cndmask_b32_e32 v4, 0x7fff, v4, vcc_lo
	s_delay_alu instid0(VALU_DEP_1) | instskip(NEXT) | instid1(VALU_DEP_1)
	v_and_b32_e32 v4, 0xffff, v4
	v_lshrrev_b32_e32 v4, s49, v4
	s_delay_alu instid0(VALU_DEP_1) | instskip(NEXT) | instid1(VALU_DEP_1)
	v_and_b32_e32 v4, s55, v4
	v_lshl_or_b32 v4, v4, 4, v5
	ds_add_u32 v4, v94
	s_or_b32 exec_lo, exec_lo, s0
	s_delay_alu instid0(SALU_CYCLE_1)
	s_mov_b32 s0, exec_lo
	v_cmpx_lt_u32_e64 v58, v21
	s_cbranch_execnz .LBB1776_662
.LBB1776_647:                           ;   in Loop: Header=BB1776_611 Depth=2
	s_or_b32 exec_lo, exec_lo, s0
	s_delay_alu instid0(SALU_CYCLE_1)
	s_mov_b32 s0, exec_lo
	v_cmpx_lt_u32_e64 v59, v21
	s_cbranch_execz .LBB1776_663
.LBB1776_648:                           ;   in Loop: Header=BB1776_611 Depth=2
	v_cmp_gt_i16_e32 vcc_lo, 0, v7
	v_lshlrev_b32_e32 v5, 2, v48
	v_cndmask_b32_e64 v4, 0x7fff, 0, vcc_lo
	s_delay_alu instid0(VALU_DEP_1) | instskip(NEXT) | instid1(VALU_DEP_1)
	v_xor_b32_e32 v4, v4, v7
	v_cmp_ne_u16_e32 vcc_lo, 0x8000, v4
	v_cndmask_b32_e32 v4, 0x7fff, v4, vcc_lo
	s_delay_alu instid0(VALU_DEP_1) | instskip(NEXT) | instid1(VALU_DEP_1)
	v_and_b32_e32 v4, 0xffff, v4
	v_lshrrev_b32_e32 v4, s49, v4
	s_delay_alu instid0(VALU_DEP_1) | instskip(NEXT) | instid1(VALU_DEP_1)
	v_and_b32_e32 v4, s55, v4
	v_lshl_or_b32 v4, v4, 4, v5
	ds_add_u32 v4, v94
	s_or_b32 exec_lo, exec_lo, s0
	s_delay_alu instid0(SALU_CYCLE_1)
	s_mov_b32 s0, exec_lo
	v_cmpx_lt_u32_e64 v60, v21
	s_cbranch_execnz .LBB1776_664
.LBB1776_649:                           ;   in Loop: Header=BB1776_611 Depth=2
	s_or_b32 exec_lo, exec_lo, s0
	s_delay_alu instid0(SALU_CYCLE_1)
	s_mov_b32 s0, exec_lo
	v_cmpx_lt_u32_e64 v61, v21
	s_cbranch_execz .LBB1776_665
.LBB1776_650:                           ;   in Loop: Header=BB1776_611 Depth=2
	v_cmp_gt_i16_e32 vcc_lo, 0, v2
	v_lshlrev_b32_e32 v5, 2, v48
	v_cndmask_b32_e64 v4, 0x7fff, 0, vcc_lo
	s_delay_alu instid0(VALU_DEP_1) | instskip(NEXT) | instid1(VALU_DEP_1)
	v_xor_b32_e32 v4, v4, v2
	v_cmp_ne_u16_e32 vcc_lo, 0x8000, v4
	v_cndmask_b32_e32 v4, 0x7fff, v4, vcc_lo
	s_delay_alu instid0(VALU_DEP_1) | instskip(NEXT) | instid1(VALU_DEP_1)
	v_and_b32_e32 v4, 0xffff, v4
	v_lshrrev_b32_e32 v4, s49, v4
	s_delay_alu instid0(VALU_DEP_1) | instskip(NEXT) | instid1(VALU_DEP_1)
	v_and_b32_e32 v4, s55, v4
	v_lshl_or_b32 v4, v4, 4, v5
	ds_add_u32 v4, v94
	s_or_b32 exec_lo, exec_lo, s0
	s_delay_alu instid0(SALU_CYCLE_1)
	s_mov_b32 s0, exec_lo
	v_cmpx_lt_u32_e64 v63, v21
	s_cbranch_execz .LBB1776_610
	s_branch .LBB1776_666
.LBB1776_651:                           ;   in Loop: Header=BB1776_611 Depth=2
	s_or_b32 exec_lo, exec_lo, s0
	s_delay_alu instid0(SALU_CYCLE_1)
	s_mov_b32 s0, exec_lo
	v_cmpx_lt_u32_e64 v45, v21
	s_cbranch_execz .LBB1776_637
.LBB1776_652:                           ;   in Loop: Header=BB1776_611 Depth=2
	v_cmp_gt_i16_e32 vcc_lo, 0, v18
	v_lshlrev_b32_e32 v5, 2, v48
	v_cndmask_b32_e64 v4, 0x7fff, 0, vcc_lo
	s_delay_alu instid0(VALU_DEP_1) | instskip(NEXT) | instid1(VALU_DEP_1)
	v_xor_b32_e32 v4, v4, v18
	v_cmp_ne_u16_e32 vcc_lo, 0x8000, v4
	v_cndmask_b32_e32 v4, 0x7fff, v4, vcc_lo
	s_delay_alu instid0(VALU_DEP_1) | instskip(NEXT) | instid1(VALU_DEP_1)
	v_and_b32_e32 v4, 0xffff, v4
	v_lshrrev_b32_e32 v4, s49, v4
	s_delay_alu instid0(VALU_DEP_1) | instskip(NEXT) | instid1(VALU_DEP_1)
	v_and_b32_e32 v4, s55, v4
	v_lshl_or_b32 v4, v4, 4, v5
	ds_add_u32 v4, v94
	s_or_b32 exec_lo, exec_lo, s0
	s_delay_alu instid0(SALU_CYCLE_1)
	s_mov_b32 s0, exec_lo
	v_cmpx_lt_u32_e64 v46, v21
	s_cbranch_execnz .LBB1776_638
.LBB1776_653:                           ;   in Loop: Header=BB1776_611 Depth=2
	s_or_b32 exec_lo, exec_lo, s0
	s_delay_alu instid0(SALU_CYCLE_1)
	s_mov_b32 s0, exec_lo
	v_cmpx_lt_u32_e64 v47, v21
	s_cbranch_execz .LBB1776_639
.LBB1776_654:                           ;   in Loop: Header=BB1776_611 Depth=2
	v_cmp_gt_i16_e32 vcc_lo, 0, v16
	v_lshlrev_b32_e32 v5, 2, v48
	v_cndmask_b32_e64 v4, 0x7fff, 0, vcc_lo
	s_delay_alu instid0(VALU_DEP_1) | instskip(NEXT) | instid1(VALU_DEP_1)
	v_xor_b32_e32 v4, v4, v16
	v_cmp_ne_u16_e32 vcc_lo, 0x8000, v4
	v_cndmask_b32_e32 v4, 0x7fff, v4, vcc_lo
	s_delay_alu instid0(VALU_DEP_1) | instskip(NEXT) | instid1(VALU_DEP_1)
	v_and_b32_e32 v4, 0xffff, v4
	v_lshrrev_b32_e32 v4, s49, v4
	s_delay_alu instid0(VALU_DEP_1) | instskip(NEXT) | instid1(VALU_DEP_1)
	v_and_b32_e32 v4, s55, v4
	v_lshl_or_b32 v4, v4, 4, v5
	ds_add_u32 v4, v94
	s_or_b32 exec_lo, exec_lo, s0
	s_delay_alu instid0(SALU_CYCLE_1)
	s_mov_b32 s0, exec_lo
	v_cmpx_lt_u32_e64 v51, v21
	s_cbranch_execnz .LBB1776_640
.LBB1776_655:                           ;   in Loop: Header=BB1776_611 Depth=2
	s_or_b32 exec_lo, exec_lo, s0
	s_delay_alu instid0(SALU_CYCLE_1)
	s_mov_b32 s0, exec_lo
	v_cmpx_lt_u32_e64 v52, v21
	s_cbranch_execz .LBB1776_641
.LBB1776_656:                           ;   in Loop: Header=BB1776_611 Depth=2
	v_cmp_gt_i16_e32 vcc_lo, 0, v14
	v_lshlrev_b32_e32 v5, 2, v48
	v_cndmask_b32_e64 v4, 0x7fff, 0, vcc_lo
	s_delay_alu instid0(VALU_DEP_1) | instskip(NEXT) | instid1(VALU_DEP_1)
	v_xor_b32_e32 v4, v4, v14
	v_cmp_ne_u16_e32 vcc_lo, 0x8000, v4
	v_cndmask_b32_e32 v4, 0x7fff, v4, vcc_lo
	s_delay_alu instid0(VALU_DEP_1) | instskip(NEXT) | instid1(VALU_DEP_1)
	v_and_b32_e32 v4, 0xffff, v4
	v_lshrrev_b32_e32 v4, s49, v4
	s_delay_alu instid0(VALU_DEP_1) | instskip(NEXT) | instid1(VALU_DEP_1)
	v_and_b32_e32 v4, s55, v4
	v_lshl_or_b32 v4, v4, 4, v5
	ds_add_u32 v4, v94
	s_or_b32 exec_lo, exec_lo, s0
	s_delay_alu instid0(SALU_CYCLE_1)
	s_mov_b32 s0, exec_lo
	v_cmpx_lt_u32_e64 v53, v21
	s_cbranch_execnz .LBB1776_642
.LBB1776_657:                           ;   in Loop: Header=BB1776_611 Depth=2
	s_or_b32 exec_lo, exec_lo, s0
	s_delay_alu instid0(SALU_CYCLE_1)
	s_mov_b32 s0, exec_lo
	v_cmpx_lt_u32_e64 v54, v21
	s_cbranch_execz .LBB1776_643
.LBB1776_658:                           ;   in Loop: Header=BB1776_611 Depth=2
	v_cmp_gt_i16_e32 vcc_lo, 0, v12
	v_lshlrev_b32_e32 v5, 2, v48
	v_cndmask_b32_e64 v4, 0x7fff, 0, vcc_lo
	s_delay_alu instid0(VALU_DEP_1) | instskip(NEXT) | instid1(VALU_DEP_1)
	v_xor_b32_e32 v4, v4, v12
	v_cmp_ne_u16_e32 vcc_lo, 0x8000, v4
	v_cndmask_b32_e32 v4, 0x7fff, v4, vcc_lo
	s_delay_alu instid0(VALU_DEP_1) | instskip(NEXT) | instid1(VALU_DEP_1)
	v_and_b32_e32 v4, 0xffff, v4
	v_lshrrev_b32_e32 v4, s49, v4
	s_delay_alu instid0(VALU_DEP_1) | instskip(NEXT) | instid1(VALU_DEP_1)
	v_and_b32_e32 v4, s55, v4
	v_lshl_or_b32 v4, v4, 4, v5
	ds_add_u32 v4, v94
	s_or_b32 exec_lo, exec_lo, s0
	s_delay_alu instid0(SALU_CYCLE_1)
	s_mov_b32 s0, exec_lo
	v_cmpx_lt_u32_e64 v55, v21
	s_cbranch_execnz .LBB1776_644
.LBB1776_659:                           ;   in Loop: Header=BB1776_611 Depth=2
	s_or_b32 exec_lo, exec_lo, s0
	s_delay_alu instid0(SALU_CYCLE_1)
	s_mov_b32 s0, exec_lo
	v_cmpx_lt_u32_e64 v56, v21
	s_cbranch_execz .LBB1776_645
.LBB1776_660:                           ;   in Loop: Header=BB1776_611 Depth=2
	v_cmp_gt_i16_e32 vcc_lo, 0, v10
	v_lshlrev_b32_e32 v5, 2, v48
	v_cndmask_b32_e64 v4, 0x7fff, 0, vcc_lo
	s_delay_alu instid0(VALU_DEP_1) | instskip(NEXT) | instid1(VALU_DEP_1)
	v_xor_b32_e32 v4, v4, v10
	v_cmp_ne_u16_e32 vcc_lo, 0x8000, v4
	v_cndmask_b32_e32 v4, 0x7fff, v4, vcc_lo
	s_delay_alu instid0(VALU_DEP_1) | instskip(NEXT) | instid1(VALU_DEP_1)
	v_and_b32_e32 v4, 0xffff, v4
	v_lshrrev_b32_e32 v4, s49, v4
	s_delay_alu instid0(VALU_DEP_1) | instskip(NEXT) | instid1(VALU_DEP_1)
	v_and_b32_e32 v4, s55, v4
	v_lshl_or_b32 v4, v4, 4, v5
	ds_add_u32 v4, v94
	s_or_b32 exec_lo, exec_lo, s0
	s_delay_alu instid0(SALU_CYCLE_1)
	s_mov_b32 s0, exec_lo
	v_cmpx_lt_u32_e64 v57, v21
	s_cbranch_execnz .LBB1776_646
.LBB1776_661:                           ;   in Loop: Header=BB1776_611 Depth=2
	s_or_b32 exec_lo, exec_lo, s0
	s_delay_alu instid0(SALU_CYCLE_1)
	s_mov_b32 s0, exec_lo
	v_cmpx_lt_u32_e64 v58, v21
	s_cbranch_execz .LBB1776_647
.LBB1776_662:                           ;   in Loop: Header=BB1776_611 Depth=2
	v_cmp_gt_i16_e32 vcc_lo, 0, v8
	v_lshlrev_b32_e32 v5, 2, v48
	v_cndmask_b32_e64 v4, 0x7fff, 0, vcc_lo
	s_delay_alu instid0(VALU_DEP_1) | instskip(NEXT) | instid1(VALU_DEP_1)
	v_xor_b32_e32 v4, v4, v8
	v_cmp_ne_u16_e32 vcc_lo, 0x8000, v4
	v_cndmask_b32_e32 v4, 0x7fff, v4, vcc_lo
	s_delay_alu instid0(VALU_DEP_1) | instskip(NEXT) | instid1(VALU_DEP_1)
	v_and_b32_e32 v4, 0xffff, v4
	v_lshrrev_b32_e32 v4, s49, v4
	s_delay_alu instid0(VALU_DEP_1) | instskip(NEXT) | instid1(VALU_DEP_1)
	v_and_b32_e32 v4, s55, v4
	v_lshl_or_b32 v4, v4, 4, v5
	ds_add_u32 v4, v94
	s_or_b32 exec_lo, exec_lo, s0
	s_delay_alu instid0(SALU_CYCLE_1)
	s_mov_b32 s0, exec_lo
	v_cmpx_lt_u32_e64 v59, v21
	s_cbranch_execnz .LBB1776_648
.LBB1776_663:                           ;   in Loop: Header=BB1776_611 Depth=2
	s_or_b32 exec_lo, exec_lo, s0
	s_delay_alu instid0(SALU_CYCLE_1)
	s_mov_b32 s0, exec_lo
	v_cmpx_lt_u32_e64 v60, v21
	s_cbranch_execz .LBB1776_649
.LBB1776_664:                           ;   in Loop: Header=BB1776_611 Depth=2
	v_cmp_gt_i16_e32 vcc_lo, 0, v6
	v_lshlrev_b32_e32 v5, 2, v48
	v_cndmask_b32_e64 v4, 0x7fff, 0, vcc_lo
	s_delay_alu instid0(VALU_DEP_1) | instskip(NEXT) | instid1(VALU_DEP_1)
	v_xor_b32_e32 v4, v4, v6
	v_cmp_ne_u16_e32 vcc_lo, 0x8000, v4
	v_cndmask_b32_e32 v4, 0x7fff, v4, vcc_lo
	s_delay_alu instid0(VALU_DEP_1) | instskip(NEXT) | instid1(VALU_DEP_1)
	v_and_b32_e32 v4, 0xffff, v4
	v_lshrrev_b32_e32 v4, s49, v4
	s_delay_alu instid0(VALU_DEP_1) | instskip(NEXT) | instid1(VALU_DEP_1)
	v_and_b32_e32 v4, s55, v4
	v_lshl_or_b32 v4, v4, 4, v5
	ds_add_u32 v4, v94
	s_or_b32 exec_lo, exec_lo, s0
	s_delay_alu instid0(SALU_CYCLE_1)
	s_mov_b32 s0, exec_lo
	v_cmpx_lt_u32_e64 v61, v21
	s_cbranch_execnz .LBB1776_650
.LBB1776_665:                           ;   in Loop: Header=BB1776_611 Depth=2
	s_or_b32 exec_lo, exec_lo, s0
	s_delay_alu instid0(SALU_CYCLE_1)
	s_mov_b32 s0, exec_lo
	v_cmpx_lt_u32_e64 v63, v21
	s_cbranch_execz .LBB1776_610
.LBB1776_666:                           ;   in Loop: Header=BB1776_611 Depth=2
	s_waitcnt vmcnt(0)
	v_cmp_gt_i16_e32 vcc_lo, 0, v20
	v_lshlrev_b32_e32 v5, 2, v48
	v_cndmask_b32_e64 v4, 0x7fff, 0, vcc_lo
	s_delay_alu instid0(VALU_DEP_1) | instskip(NEXT) | instid1(VALU_DEP_1)
	v_xor_b32_e32 v4, v4, v20
	v_cmp_ne_u16_e32 vcc_lo, 0x8000, v4
	v_cndmask_b32_e32 v4, 0x7fff, v4, vcc_lo
	s_delay_alu instid0(VALU_DEP_1) | instskip(NEXT) | instid1(VALU_DEP_1)
	v_and_b32_e32 v4, 0xffff, v4
	v_lshrrev_b32_e32 v4, s49, v4
	s_delay_alu instid0(VALU_DEP_1) | instskip(NEXT) | instid1(VALU_DEP_1)
	v_and_b32_e32 v4, s55, v4
	v_lshl_or_b32 v4, v4, 4, v5
	ds_add_u32 v4, v94
	s_branch .LBB1776_610
.LBB1776_667:                           ;   in Loop: Header=BB1776_611 Depth=2
	s_or_b32 exec_lo, exec_lo, s11
	s_delay_alu instid0(SALU_CYCLE_1)
	s_mov_b32 s11, exec_lo
	v_cmpx_gt_u32_e64 s8, v45
	s_cbranch_execz .LBB1776_617
.LBB1776_668:                           ;   in Loop: Header=BB1776_611 Depth=2
	global_load_u16 v18, v95, s[0:1] offset:512
	s_or_b32 exec_lo, exec_lo, s11
	s_delay_alu instid0(SALU_CYCLE_1)
	s_mov_b32 s11, exec_lo
	v_cmpx_gt_u32_e64 s8, v46
	s_cbranch_execnz .LBB1776_618
.LBB1776_669:                           ;   in Loop: Header=BB1776_611 Depth=2
	s_or_b32 exec_lo, exec_lo, s11
	s_delay_alu instid0(SALU_CYCLE_1)
	s_mov_b32 s11, exec_lo
	v_cmpx_gt_u32_e64 s8, v47
	s_cbranch_execz .LBB1776_619
.LBB1776_670:                           ;   in Loop: Header=BB1776_611 Depth=2
	global_load_u16 v16, v95, s[0:1] offset:1536
	s_or_b32 exec_lo, exec_lo, s11
	s_delay_alu instid0(SALU_CYCLE_1)
	s_mov_b32 s11, exec_lo
	v_cmpx_gt_u32_e64 s8, v51
	s_cbranch_execnz .LBB1776_620
.LBB1776_671:                           ;   in Loop: Header=BB1776_611 Depth=2
	s_or_b32 exec_lo, exec_lo, s11
	s_delay_alu instid0(SALU_CYCLE_1)
	s_mov_b32 s11, exec_lo
	v_cmpx_gt_u32_e64 s8, v52
	s_cbranch_execz .LBB1776_621
.LBB1776_672:                           ;   in Loop: Header=BB1776_611 Depth=2
	global_load_u16 v14, v95, s[0:1] offset:2560
	s_or_b32 exec_lo, exec_lo, s11
	s_delay_alu instid0(SALU_CYCLE_1)
	s_mov_b32 s11, exec_lo
	v_cmpx_gt_u32_e64 s8, v53
	s_cbranch_execnz .LBB1776_622
.LBB1776_673:                           ;   in Loop: Header=BB1776_611 Depth=2
	s_or_b32 exec_lo, exec_lo, s11
	s_delay_alu instid0(SALU_CYCLE_1)
	s_mov_b32 s11, exec_lo
	v_cmpx_gt_u32_e64 s8, v54
	s_cbranch_execz .LBB1776_623
.LBB1776_674:                           ;   in Loop: Header=BB1776_611 Depth=2
	global_load_u16 v12, v95, s[0:1] offset:3584
	s_or_b32 exec_lo, exec_lo, s11
	s_delay_alu instid0(SALU_CYCLE_1)
	s_mov_b32 s11, exec_lo
	v_cmpx_gt_u32_e64 s8, v55
	s_cbranch_execnz .LBB1776_624
.LBB1776_675:                           ;   in Loop: Header=BB1776_611 Depth=2
	s_or_b32 exec_lo, exec_lo, s11
	s_delay_alu instid0(SALU_CYCLE_1)
	s_mov_b32 s11, exec_lo
	v_cmpx_gt_u32_e64 s8, v56
	s_cbranch_execz .LBB1776_625
.LBB1776_676:                           ;   in Loop: Header=BB1776_611 Depth=2
	global_load_u16 v10, v97, s[0:1]
	s_or_b32 exec_lo, exec_lo, s11
	s_delay_alu instid0(SALU_CYCLE_1)
	s_mov_b32 s11, exec_lo
	v_cmpx_gt_u32_e64 s8, v57
	s_cbranch_execnz .LBB1776_626
.LBB1776_677:                           ;   in Loop: Header=BB1776_611 Depth=2
	s_or_b32 exec_lo, exec_lo, s11
	s_delay_alu instid0(SALU_CYCLE_1)
	s_mov_b32 s11, exec_lo
	v_cmpx_gt_u32_e64 s8, v58
	s_cbranch_execz .LBB1776_627
.LBB1776_678:                           ;   in Loop: Header=BB1776_611 Depth=2
	global_load_u16 v8, v99, s[0:1]
	s_or_b32 exec_lo, exec_lo, s11
	s_delay_alu instid0(SALU_CYCLE_1)
	s_mov_b32 s11, exec_lo
	v_cmpx_gt_u32_e64 s8, v59
	s_cbranch_execnz .LBB1776_628
.LBB1776_679:                           ;   in Loop: Header=BB1776_611 Depth=2
	s_or_b32 exec_lo, exec_lo, s11
	s_delay_alu instid0(SALU_CYCLE_1)
	s_mov_b32 s11, exec_lo
	v_cmpx_gt_u32_e64 s8, v60
	s_cbranch_execz .LBB1776_629
.LBB1776_680:                           ;   in Loop: Header=BB1776_611 Depth=2
	global_load_u16 v6, v101, s[0:1]
	s_or_b32 exec_lo, exec_lo, s11
	s_delay_alu instid0(SALU_CYCLE_1)
	s_mov_b32 s11, exec_lo
	v_cmpx_gt_u32_e64 s8, v61
	s_cbranch_execz .LBB1776_631
	s_branch .LBB1776_630
.LBB1776_681:                           ;   in Loop: Header=BB1776_17 Depth=1
	v_mov_b32_e32 v2, 0
	s_waitcnt vmcnt(0) lgkmcnt(0)
	s_barrier
	buffer_gl0_inv
	s_and_saveexec_b32 s0, s2
	s_cbranch_execz .LBB1776_683
; %bb.682:                              ;   in Loop: Header=BB1776_17 Depth=1
	ds_load_2addr_b64 v[4:7], v64 offset1:1
	s_waitcnt lgkmcnt(0)
	v_add_nc_u32_e32 v2, v5, v4
	s_delay_alu instid0(VALU_DEP_1)
	v_add3_u32 v2, v2, v6, v7
.LBB1776_683:                           ;   in Loop: Header=BB1776_17 Depth=1
	s_or_b32 exec_lo, exec_lo, s0
	v_and_b32_e32 v4, 15, v104
	s_delay_alu instid0(VALU_DEP_2) | instskip(SKIP_1) | instid1(VALU_DEP_3)
	v_mov_b32_dpp v5, v2 row_shr:1 row_mask:0xf bank_mask:0xf
	v_and_b32_e32 v6, 16, v104
	v_cmp_eq_u32_e64 s0, 0, v4
	v_cmp_lt_u32_e64 s1, 1, v4
	v_cmp_lt_u32_e64 s8, 3, v4
	;; [unrolled: 1-line block ×3, first 2 shown]
	v_cmp_eq_u32_e64 s10, 0, v6
	v_cndmask_b32_e64 v5, v5, 0, s0
	s_delay_alu instid0(VALU_DEP_1) | instskip(NEXT) | instid1(VALU_DEP_1)
	v_add_nc_u32_e32 v2, v5, v2
	v_mov_b32_dpp v5, v2 row_shr:2 row_mask:0xf bank_mask:0xf
	s_delay_alu instid0(VALU_DEP_1) | instskip(NEXT) | instid1(VALU_DEP_1)
	v_cndmask_b32_e64 v5, 0, v5, s1
	v_add_nc_u32_e32 v2, v2, v5
	s_delay_alu instid0(VALU_DEP_1) | instskip(NEXT) | instid1(VALU_DEP_1)
	v_mov_b32_dpp v5, v2 row_shr:4 row_mask:0xf bank_mask:0xf
	v_cndmask_b32_e64 v5, 0, v5, s8
	s_delay_alu instid0(VALU_DEP_1) | instskip(NEXT) | instid1(VALU_DEP_1)
	v_add_nc_u32_e32 v2, v2, v5
	v_mov_b32_dpp v5, v2 row_shr:8 row_mask:0xf bank_mask:0xf
	s_delay_alu instid0(VALU_DEP_1) | instskip(SKIP_1) | instid1(VALU_DEP_2)
	v_cndmask_b32_e64 v4, 0, v5, s9
	v_bfe_i32 v5, v104, 4, 1
	v_add_nc_u32_e32 v2, v2, v4
	ds_swizzle_b32 v4, v2 offset:swizzle(BROADCAST,32,15)
	s_waitcnt lgkmcnt(0)
	v_and_b32_e32 v4, v5, v4
	s_delay_alu instid0(VALU_DEP_1)
	v_add_nc_u32_e32 v4, v2, v4
	s_and_saveexec_b32 s11, s3
	s_cbranch_execz .LBB1776_685
; %bb.684:                              ;   in Loop: Header=BB1776_17 Depth=1
	ds_store_b32 v65, v4
.LBB1776_685:                           ;   in Loop: Header=BB1776_17 Depth=1
	s_or_b32 exec_lo, exec_lo, s11
	v_and_b32_e32 v2, 7, v104
	s_waitcnt lgkmcnt(0)
	s_barrier
	buffer_gl0_inv
	s_and_saveexec_b32 s11, s4
	s_cbranch_execz .LBB1776_687
; %bb.686:                              ;   in Loop: Header=BB1776_17 Depth=1
	ds_load_b32 v5, v66
	v_cmp_ne_u32_e32 vcc_lo, 0, v2
	s_waitcnt lgkmcnt(0)
	v_mov_b32_dpp v6, v5 row_shr:1 row_mask:0xf bank_mask:0xf
	s_delay_alu instid0(VALU_DEP_1) | instskip(SKIP_1) | instid1(VALU_DEP_2)
	v_cndmask_b32_e32 v6, 0, v6, vcc_lo
	v_cmp_lt_u32_e32 vcc_lo, 1, v2
	v_add_nc_u32_e32 v5, v6, v5
	s_delay_alu instid0(VALU_DEP_1) | instskip(NEXT) | instid1(VALU_DEP_1)
	v_mov_b32_dpp v6, v5 row_shr:2 row_mask:0xf bank_mask:0xf
	v_cndmask_b32_e32 v6, 0, v6, vcc_lo
	v_cmp_lt_u32_e32 vcc_lo, 3, v2
	s_delay_alu instid0(VALU_DEP_2) | instskip(NEXT) | instid1(VALU_DEP_1)
	v_add_nc_u32_e32 v5, v5, v6
	v_mov_b32_dpp v6, v5 row_shr:4 row_mask:0xf bank_mask:0xf
	s_delay_alu instid0(VALU_DEP_1) | instskip(NEXT) | instid1(VALU_DEP_1)
	v_cndmask_b32_e32 v6, 0, v6, vcc_lo
	v_add_nc_u32_e32 v5, v5, v6
	ds_store_b32 v66, v5
.LBB1776_687:                           ;   in Loop: Header=BB1776_17 Depth=1
	s_or_b32 exec_lo, exec_lo, s11
	v_mov_b32_e32 v5, 0
	s_waitcnt lgkmcnt(0)
	s_barrier
	buffer_gl0_inv
	s_and_saveexec_b32 s11, s5
	s_cbranch_execz .LBB1776_689
; %bb.688:                              ;   in Loop: Header=BB1776_17 Depth=1
	ds_load_b32 v5, v67
.LBB1776_689:                           ;   in Loop: Header=BB1776_17 Depth=1
	s_or_b32 exec_lo, exec_lo, s11
	v_add_nc_u32_e32 v6, -1, v104
	s_waitcnt lgkmcnt(0)
	v_add_nc_u32_e32 v4, v5, v4
	v_cmp_eq_u32_e64 s11, 0, v104
	s_barrier
	v_cmp_gt_i32_e32 vcc_lo, 0, v6
	buffer_gl0_inv
	v_cndmask_b32_e32 v6, v6, v104, vcc_lo
	s_delay_alu instid0(VALU_DEP_1)
	v_lshlrev_b32_e32 v105, 2, v6
	ds_bpermute_b32 v4, v105, v4
	s_and_saveexec_b32 s12, s2
	s_cbranch_execz .LBB1776_691
; %bb.690:                              ;   in Loop: Header=BB1776_17 Depth=1
	s_waitcnt lgkmcnt(0)
	v_cndmask_b32_e64 v4, v4, v5, s11
	s_delay_alu instid0(VALU_DEP_1)
	v_add_nc_u32_e32 v4, s52, v4
	ds_store_b32 v44, v4
.LBB1776_691:                           ;   in Loop: Header=BB1776_17 Depth=1
	s_or_b32 exec_lo, exec_lo, s12
	s_load_b64 s[12:13], s[42:43], 0x0
	v_lshlrev_b32_e32 v5, 3, v104
	v_or_b32_e32 v106, v104, v68
	s_mov_b32 s56, s54
	s_mov_b32 s34, s52
                                        ; implicit-def: $vgpr8_vgpr9
                                        ; implicit-def: $vgpr10_vgpr11
                                        ; implicit-def: $vgpr12_vgpr13
                                        ; implicit-def: $vgpr14_vgpr15
                                        ; implicit-def: $vgpr16_vgpr17
                                        ; implicit-def: $vgpr18_vgpr19
                                        ; implicit-def: $vgpr20_vgpr21
                                        ; implicit-def: $vgpr22_vgpr23
                                        ; implicit-def: $vgpr24_vgpr25
                                        ; implicit-def: $vgpr26_vgpr27
                                        ; implicit-def: $vgpr28_vgpr29
                                        ; implicit-def: $vgpr30_vgpr31
                                        ; implicit-def: $vgpr32_vgpr33
                                        ; implicit-def: $vgpr34_vgpr35
                                        ; implicit-def: $vgpr129
                                        ; implicit-def: $vgpr130
                                        ; implicit-def: $vgpr131
                                        ; implicit-def: $vgpr132
                                        ; implicit-def: $vgpr133
                                        ; implicit-def: $vgpr134
                                        ; implicit-def: $vgpr135
                                        ; implicit-def: $vgpr136
                                        ; implicit-def: $vgpr137
                                        ; implicit-def: $vgpr138
                                        ; implicit-def: $vgpr139
                                        ; implicit-def: $vgpr140
                                        ; implicit-def: $vgpr141
                                        ; implicit-def: $vgpr142
                                        ; implicit-def: $vgpr143
                                        ; implicit-def: $vgpr144
	s_delay_alu instid0(VALU_DEP_2)
	v_add_co_u32 v107, vcc_lo, v90, v5
	v_add_co_ci_u32_e32 v108, vcc_lo, 0, v91, vcc_lo
	v_or_b32_e32 v109, 32, v106
	v_or_b32_e32 v110, 64, v106
	;; [unrolled: 1-line block ×10, first 2 shown]
	s_waitcnt lgkmcnt(0)
	s_cmp_lt_u32 s15, s13
	v_or_b32_e32 v119, 0x160, v106
	s_cselect_b32 s13, 14, 20
	v_or_b32_e32 v120, 0x180, v106
	s_add_u32 s16, s42, s13
	s_addc_u32 s17, s43, 0
	s_cmp_lt_u32 s14, s12
	global_load_u16 v4, v3, s[16:17]
	s_cselect_b32 s12, 12, 18
	v_or_b32_e32 v121, 0x1a0, v106
	s_add_u32 s12, s42, s12
	s_addc_u32 s13, s43, 0
	v_or_b32_e32 v122, 0x1c0, v106
	global_load_u16 v6, v3, s[12:13]
	v_cmp_eq_u32_e64 s12, 0, v2
	v_cmp_lt_u32_e64 s13, 1, v2
	v_cmp_lt_u32_e64 s16, 3, v2
	v_lshlrev_b32_e32 v2, 1, v104
	v_or_b32_e32 v123, 0x1e0, v106
	s_delay_alu instid0(VALU_DEP_2) | instskip(SKIP_1) | instid1(VALU_DEP_2)
	v_add_co_u32 v124, vcc_lo, v92, v2
	v_add_co_ci_u32_e32 v125, vcc_lo, 0, v93, vcc_lo
	v_add_co_u32 v127, vcc_lo, 0x3c0, v124
	s_delay_alu instid0(VALU_DEP_2) | instskip(SKIP_3) | instid1(VALU_DEP_1)
	v_add_co_ci_u32_e32 v128, vcc_lo, 0, v125, vcc_lo
	s_waitcnt vmcnt(1)
	v_mad_u32_u24 v7, v70, v4, v0
	s_waitcnt vmcnt(0)
	v_mad_u64_u32 v[4:5], null, v7, v6, v[1:2]
                                        ; implicit-def: $vgpr6_vgpr7
	s_delay_alu instid0(VALU_DEP_1)
	v_lshrrev_b32_e32 v126, 5, v4
                                        ; implicit-def: $vgpr4_vgpr5
	s_branch .LBB1776_693
.LBB1776_692:                           ;   in Loop: Header=BB1776_693 Depth=2
	s_or_b32 exec_lo, exec_lo, s17
	s_addk_i32 s56, 0xf000
	s_cmp_lt_u32 s57, s53
	s_mov_b32 s34, s57
	s_cbranch_scc0 .LBB1776_901
.LBB1776_693:                           ;   Parent Loop BB1776_17 Depth=1
                                        ; =>  This Inner Loop Header: Depth=2
	s_add_i32 s57, s34, 0x1000
	s_delay_alu instid0(SALU_CYCLE_1)
	s_cmp_gt_u32 s57, s53
	s_cbranch_scc1 .LBB1776_696
; %bb.694:                              ;   in Loop: Header=BB1776_693 Depth=2
	s_mov_b32 s19, 0
	s_mov_b32 s18, s34
	s_movk_i32 s17, 0x1000
	s_lshl_b64 s[20:21], s[18:19], 1
	s_delay_alu instid0(SALU_CYCLE_1)
	v_add_co_u32 v36, vcc_lo, v124, s20
	v_add_co_ci_u32_e32 v37, vcc_lo, s21, v125, vcc_lo
	s_mov_b32 s20, -1
	s_clause 0xe
	global_load_u16 v2, v[36:37], off
	global_load_u16 v146, v[36:37], off offset:64
	global_load_u16 v149, v[36:37], off offset:128
	;; [unrolled: 1-line block ×14, first 2 shown]
	s_cbranch_execz .LBB1776_697
; %bb.695:                              ;   in Loop: Header=BB1776_693 Depth=2
                                        ; implicit-def: $sgpr21
	v_dual_mov_b32 v36, s21 :: v_dual_mov_b32 v145, s56
	s_and_saveexec_b32 s21, s20
	s_cbranch_execnz .LBB1776_728
	s_branch .LBB1776_729
.LBB1776_696:                           ;   in Loop: Header=BB1776_693 Depth=2
	s_mov_b32 s19, -1
	s_mov_b32 s20, 0
                                        ; implicit-def: $sgpr17
                                        ; implicit-def: $vgpr2
                                        ; implicit-def: $vgpr146
                                        ; implicit-def: $vgpr149
                                        ; implicit-def: $vgpr153
                                        ; implicit-def: $vgpr157
                                        ; implicit-def: $vgpr161
                                        ; implicit-def: $vgpr165
                                        ; implicit-def: $vgpr170
                                        ; implicit-def: $vgpr169
                                        ; implicit-def: $vgpr43
                                        ; implicit-def: $vgpr42
                                        ; implicit-def: $vgpr41
                                        ; implicit-def: $vgpr40
                                        ; implicit-def: $vgpr39
                                        ; implicit-def: $vgpr38
.LBB1776_697:                           ;   in Loop: Header=BB1776_693 Depth=2
	s_lshl_b64 s[18:19], s[34:35], 1
	s_waitcnt vmcnt(13)
	v_mov_b32_e32 v146, -1
	v_add_co_u32 v36, vcc_lo, v124, s18
	v_add_co_ci_u32_e32 v37, vcc_lo, s19, v125, vcc_lo
	v_mov_b32_e32 v2, -1
	s_mov_b32 s17, exec_lo
	v_cmpx_gt_u32_e64 s56, v106
	s_cbranch_execz .LBB1776_699
; %bb.698:                              ;   in Loop: Header=BB1776_693 Depth=2
	global_load_u16 v2, v[36:37], off
.LBB1776_699:                           ;   in Loop: Header=BB1776_693 Depth=2
	s_or_b32 exec_lo, exec_lo, s17
	s_delay_alu instid0(SALU_CYCLE_1)
	s_mov_b32 s17, exec_lo
	v_cmpx_gt_u32_e64 s56, v109
	s_cbranch_execz .LBB1776_701
; %bb.700:                              ;   in Loop: Header=BB1776_693 Depth=2
	global_load_u16 v146, v[36:37], off offset:64
.LBB1776_701:                           ;   in Loop: Header=BB1776_693 Depth=2
	s_or_b32 exec_lo, exec_lo, s17
	s_waitcnt vmcnt(11)
	v_mov_b32_e32 v153, -1
	v_mov_b32_e32 v149, -1
	s_mov_b32 s17, exec_lo
	v_cmpx_gt_u32_e64 s56, v110
	s_cbranch_execz .LBB1776_703
; %bb.702:                              ;   in Loop: Header=BB1776_693 Depth=2
	global_load_u16 v149, v[36:37], off offset:128
.LBB1776_703:                           ;   in Loop: Header=BB1776_693 Depth=2
	s_or_b32 exec_lo, exec_lo, s17
	s_delay_alu instid0(SALU_CYCLE_1)
	s_mov_b32 s17, exec_lo
	v_cmpx_gt_u32_e64 s56, v111
	s_cbranch_execz .LBB1776_705
; %bb.704:                              ;   in Loop: Header=BB1776_693 Depth=2
	global_load_u16 v153, v[36:37], off offset:192
.LBB1776_705:                           ;   in Loop: Header=BB1776_693 Depth=2
	s_or_b32 exec_lo, exec_lo, s17
	s_waitcnt vmcnt(9)
	v_mov_b32_e32 v161, -1
	v_mov_b32_e32 v157, -1
	s_mov_b32 s17, exec_lo
	v_cmpx_gt_u32_e64 s56, v112
	s_cbranch_execz .LBB1776_707
; %bb.706:                              ;   in Loop: Header=BB1776_693 Depth=2
	global_load_u16 v157, v[36:37], off offset:256
.LBB1776_707:                           ;   in Loop: Header=BB1776_693 Depth=2
	s_or_b32 exec_lo, exec_lo, s17
	s_delay_alu instid0(SALU_CYCLE_1)
	s_mov_b32 s17, exec_lo
	v_cmpx_gt_u32_e64 s56, v113
	s_cbranch_execz .LBB1776_709
; %bb.708:                              ;   in Loop: Header=BB1776_693 Depth=2
	global_load_u16 v161, v[36:37], off offset:320
.LBB1776_709:                           ;   in Loop: Header=BB1776_693 Depth=2
	s_or_b32 exec_lo, exec_lo, s17
	s_waitcnt vmcnt(7)
	v_dual_mov_b32 v170, -1 :: v_dual_mov_b32 v165, -1
	s_mov_b32 s17, exec_lo
	v_cmpx_gt_u32_e64 s56, v114
	s_cbranch_execz .LBB1776_711
; %bb.710:                              ;   in Loop: Header=BB1776_693 Depth=2
	global_load_u16 v165, v[36:37], off offset:384
.LBB1776_711:                           ;   in Loop: Header=BB1776_693 Depth=2
	s_or_b32 exec_lo, exec_lo, s17
	s_delay_alu instid0(SALU_CYCLE_1)
	s_mov_b32 s17, exec_lo
	v_cmpx_gt_u32_e64 s56, v115
	s_cbranch_execz .LBB1776_713
; %bb.712:                              ;   in Loop: Header=BB1776_693 Depth=2
	global_load_u16 v170, v[36:37], off offset:448
.LBB1776_713:                           ;   in Loop: Header=BB1776_693 Depth=2
	s_or_b32 exec_lo, exec_lo, s17
	s_waitcnt vmcnt(5)
	v_mov_b32_e32 v43, -1
	v_mov_b32_e32 v169, -1
	s_mov_b32 s17, exec_lo
	v_cmpx_gt_u32_e64 s56, v116
	s_cbranch_execz .LBB1776_715
; %bb.714:                              ;   in Loop: Header=BB1776_693 Depth=2
	global_load_u16 v169, v[36:37], off offset:512
.LBB1776_715:                           ;   in Loop: Header=BB1776_693 Depth=2
	s_or_b32 exec_lo, exec_lo, s17
	s_delay_alu instid0(SALU_CYCLE_1)
	s_mov_b32 s17, exec_lo
	v_cmpx_gt_u32_e64 s56, v117
	s_cbranch_execz .LBB1776_717
; %bb.716:                              ;   in Loop: Header=BB1776_693 Depth=2
	global_load_u16 v43, v[36:37], off offset:576
.LBB1776_717:                           ;   in Loop: Header=BB1776_693 Depth=2
	s_or_b32 exec_lo, exec_lo, s17
	s_waitcnt vmcnt(3)
	v_dual_mov_b32 v41, -1 :: v_dual_mov_b32 v42, -1
	s_mov_b32 s17, exec_lo
	v_cmpx_gt_u32_e64 s56, v118
	s_cbranch_execz .LBB1776_719
; %bb.718:                              ;   in Loop: Header=BB1776_693 Depth=2
	global_load_u16 v42, v[36:37], off offset:640
.LBB1776_719:                           ;   in Loop: Header=BB1776_693 Depth=2
	s_or_b32 exec_lo, exec_lo, s17
	s_delay_alu instid0(SALU_CYCLE_1)
	s_mov_b32 s17, exec_lo
	v_cmpx_gt_u32_e64 s56, v119
	s_cbranch_execz .LBB1776_721
; %bb.720:                              ;   in Loop: Header=BB1776_693 Depth=2
	global_load_u16 v41, v[36:37], off offset:704
.LBB1776_721:                           ;   in Loop: Header=BB1776_693 Depth=2
	s_or_b32 exec_lo, exec_lo, s17
	s_waitcnt vmcnt(1)
	v_dual_mov_b32 v39, -1 :: v_dual_mov_b32 v40, -1
	s_mov_b32 s17, exec_lo
	v_cmpx_gt_u32_e64 s56, v120
	s_cbranch_execz .LBB1776_723
; %bb.722:                              ;   in Loop: Header=BB1776_693 Depth=2
	global_load_u16 v40, v[36:37], off offset:768
.LBB1776_723:                           ;   in Loop: Header=BB1776_693 Depth=2
	s_or_b32 exec_lo, exec_lo, s17
	s_delay_alu instid0(SALU_CYCLE_1)
	s_mov_b32 s17, exec_lo
	v_cmpx_gt_u32_e64 s56, v121
	s_cbranch_execz .LBB1776_725
; %bb.724:                              ;   in Loop: Header=BB1776_693 Depth=2
	global_load_u16 v39, v[36:37], off offset:832
.LBB1776_725:                           ;   in Loop: Header=BB1776_693 Depth=2
	s_or_b32 exec_lo, exec_lo, s17
	s_waitcnt vmcnt(0)
	v_mov_b32_e32 v38, -1
	s_mov_b32 s17, exec_lo
	v_cmpx_gt_u32_e64 s56, v122
	s_cbranch_execz .LBB1776_727
; %bb.726:                              ;   in Loop: Header=BB1776_693 Depth=2
	global_load_u16 v38, v[36:37], off offset:896
.LBB1776_727:                           ;   in Loop: Header=BB1776_693 Depth=2
	s_or_b32 exec_lo, exec_lo, s17
	v_cmp_gt_u32_e64 s20, s56, v123
	s_sub_i32 s17, s53, s34
	s_mov_b32 s21, -1
	s_mov_b64 s[18:19], s[34:35]
	v_dual_mov_b32 v36, s21 :: v_dual_mov_b32 v145, s56
	s_and_saveexec_b32 s21, s20
	s_cbranch_execz .LBB1776_729
.LBB1776_728:                           ;   in Loop: Header=BB1776_693 Depth=2
	s_lshl_b64 s[18:19], s[18:19], 1
	v_mov_b32_e32 v145, s17
	v_add_co_u32 v36, vcc_lo, v127, s18
	v_add_co_ci_u32_e32 v37, vcc_lo, s19, v128, vcc_lo
	global_load_u16 v36, v[36:37], off
.LBB1776_729:                           ;   in Loop: Header=BB1776_693 Depth=2
	s_or_b32 exec_lo, exec_lo, s21
	s_waitcnt vmcnt(14)
	v_cmp_gt_i16_e32 vcc_lo, 0, v2
	ds_store_b32 v69, v3 offset:1056
	ds_store_2addr_b32 v71, v3, v3 offset0:1 offset1:2
	ds_store_2addr_b32 v71, v3, v3 offset0:3 offset1:4
	;; [unrolled: 1-line block ×4, first 2 shown]
	s_waitcnt vmcnt(0) lgkmcnt(0)
	s_barrier
	v_cndmask_b32_e64 v37, 0x7fff, 0, vcc_lo
	buffer_gl0_inv
	; wave barrier
	v_xor_b32_e32 v2, v37, v2
	s_delay_alu instid0(VALU_DEP_1) | instskip(SKIP_1) | instid1(VALU_DEP_1)
	v_cmp_ne_u16_e32 vcc_lo, 0x8000, v2
	v_cndmask_b32_e32 v37, 0x7fff, v2, vcc_lo
	v_and_b32_e32 v37, 0xffff, v37
	s_delay_alu instid0(VALU_DEP_1) | instskip(NEXT) | instid1(VALU_DEP_1)
	v_lshrrev_b32_e32 v37, s49, v37
	v_and_b32_e32 v148, s55, v37
	s_delay_alu instid0(VALU_DEP_1)
	v_lshlrev_b32_e32 v150, 29, v148
	v_and_b32_e32 v37, 1, v148
	v_lshlrev_b32_e32 v147, 30, v148
	v_lshlrev_b32_e32 v151, 28, v148
	v_lshlrev_b32_e32 v154, 27, v148
	v_lshlrev_b32_e32 v155, 26, v148
	v_add_co_u32 v37, s17, v37, -1
	s_delay_alu instid0(VALU_DEP_1)
	v_cndmask_b32_e64 v152, 0, 1, s17
	v_not_b32_e32 v158, v147
	v_cmp_gt_i32_e64 s17, 0, v147
	v_not_b32_e32 v147, v150
	v_lshlrev_b32_e32 v156, 25, v148
	v_cmp_ne_u32_e32 vcc_lo, 0, v152
	v_ashrrev_i32_e32 v158, 31, v158
	v_lshlrev_b32_e32 v152, 24, v148
	v_ashrrev_i32_e32 v147, 31, v147
	v_mad_u32_u24 v148, v148, 9, v126
	v_xor_b32_e32 v37, vcc_lo, v37
	v_cmp_gt_i32_e32 vcc_lo, 0, v150
	v_not_b32_e32 v150, v151
	v_xor_b32_e32 v158, s17, v158
	v_cmp_gt_i32_e64 s17, 0, v151
	v_and_b32_e32 v37, exec_lo, v37
	v_not_b32_e32 v151, v154
	v_ashrrev_i32_e32 v150, 31, v150
	v_xor_b32_e32 v147, vcc_lo, v147
	v_cmp_gt_i32_e32 vcc_lo, 0, v154
	v_and_b32_e32 v37, v37, v158
	v_not_b32_e32 v154, v155
	v_ashrrev_i32_e32 v151, 31, v151
	v_xor_b32_e32 v150, s17, v150
	v_cmp_gt_i32_e64 s17, 0, v155
	v_and_b32_e32 v37, v37, v147
	v_not_b32_e32 v147, v156
	v_ashrrev_i32_e32 v154, 31, v154
	v_xor_b32_e32 v151, vcc_lo, v151
	v_cmp_gt_i32_e32 vcc_lo, 0, v156
	v_and_b32_e32 v37, v37, v150
	v_not_b32_e32 v150, v152
	v_ashrrev_i32_e32 v147, 31, v147
	v_xor_b32_e32 v154, s17, v154
	v_cmp_gt_i32_e64 s17, 0, v152
	v_and_b32_e32 v37, v37, v151
	v_ashrrev_i32_e32 v150, 31, v150
	v_xor_b32_e32 v147, vcc_lo, v147
	v_lshl_add_u32 v148, v148, 2, 0x420
	s_delay_alu instid0(VALU_DEP_4) | instskip(NEXT) | instid1(VALU_DEP_4)
	v_and_b32_e32 v37, v37, v154
	v_xor_b32_e32 v150, s17, v150
	s_delay_alu instid0(VALU_DEP_2) | instskip(NEXT) | instid1(VALU_DEP_1)
	v_and_b32_e32 v37, v37, v147
	v_and_b32_e32 v37, v37, v150
	s_delay_alu instid0(VALU_DEP_1) | instskip(SKIP_1) | instid1(VALU_DEP_2)
	v_mbcnt_lo_u32_b32 v147, v37, 0
	v_cmp_ne_u32_e64 s17, 0, v37
	v_cmp_eq_u32_e32 vcc_lo, 0, v147
	s_delay_alu instid0(VALU_DEP_2) | instskip(NEXT) | instid1(SALU_CYCLE_1)
	s_and_b32 s18, s17, vcc_lo
	s_and_saveexec_b32 s17, s18
	s_cbranch_execz .LBB1776_731
; %bb.730:                              ;   in Loop: Header=BB1776_693 Depth=2
	v_bcnt_u32_b32 v37, v37, 0
	ds_store_b32 v148, v37
.LBB1776_731:                           ;   in Loop: Header=BB1776_693 Depth=2
	s_or_b32 exec_lo, exec_lo, s17
	v_cmp_gt_i16_e64 vcc_lo, 0, v146
	; wave barrier
	s_delay_alu instid0(VALU_DEP_1) | instskip(NEXT) | instid1(VALU_DEP_1)
	v_cndmask_b32_e64 v37, 0x7fff, 0, vcc_lo
	v_xor_b32_e32 v146, v37, v146
	s_delay_alu instid0(VALU_DEP_1) | instskip(SKIP_1) | instid1(VALU_DEP_1)
	v_cmp_ne_u16_e64 vcc_lo, 0x8000, v146
	v_cndmask_b32_e32 v37, 0x7fff, v146, vcc_lo
	v_and_b32_e32 v37, 0xffff, v37
	s_delay_alu instid0(VALU_DEP_1) | instskip(NEXT) | instid1(VALU_DEP_1)
	v_lshrrev_b32_e32 v37, s49, v37
	v_and_b32_e32 v37, s55, v37
	s_delay_alu instid0(VALU_DEP_1)
	v_and_b32_e32 v150, 1, v37
	v_lshlrev_b32_e32 v151, 30, v37
	v_lshlrev_b32_e32 v152, 29, v37
	;; [unrolled: 1-line block ×4, first 2 shown]
	v_add_co_u32 v150, s17, v150, -1
	s_delay_alu instid0(VALU_DEP_1)
	v_cndmask_b32_e64 v155, 0, 1, s17
	v_not_b32_e32 v160, v151
	v_cmp_gt_i32_e64 s17, 0, v151
	v_not_b32_e32 v151, v152
	v_lshlrev_b32_e32 v158, 26, v37
	v_cmp_ne_u32_e32 vcc_lo, 0, v155
	v_ashrrev_i32_e32 v160, 31, v160
	v_lshlrev_b32_e32 v159, 25, v37
	v_ashrrev_i32_e32 v151, 31, v151
	v_lshlrev_b32_e32 v155, 24, v37
	v_xor_b32_e32 v150, vcc_lo, v150
	v_cmp_gt_i32_e32 vcc_lo, 0, v152
	v_not_b32_e32 v152, v154
	v_xor_b32_e32 v160, s17, v160
	v_cmp_gt_i32_e64 s17, 0, v154
	v_and_b32_e32 v150, exec_lo, v150
	v_not_b32_e32 v154, v156
	v_ashrrev_i32_e32 v152, 31, v152
	v_xor_b32_e32 v151, vcc_lo, v151
	v_cmp_gt_i32_e32 vcc_lo, 0, v156
	v_and_b32_e32 v150, v150, v160
	v_not_b32_e32 v156, v158
	v_ashrrev_i32_e32 v154, 31, v154
	v_xor_b32_e32 v152, s17, v152
	v_cmp_gt_i32_e64 s17, 0, v158
	v_and_b32_e32 v150, v150, v151
	v_not_b32_e32 v151, v159
	v_ashrrev_i32_e32 v156, 31, v156
	v_xor_b32_e32 v154, vcc_lo, v154
	v_cmp_gt_i32_e32 vcc_lo, 0, v159
	v_and_b32_e32 v150, v150, v152
	v_not_b32_e32 v152, v155
	v_ashrrev_i32_e32 v151, 31, v151
	v_xor_b32_e32 v156, s17, v156
	v_mul_u32_u24_e32 v37, 9, v37
	v_and_b32_e32 v150, v150, v154
	v_cmp_gt_i32_e64 s17, 0, v155
	v_ashrrev_i32_e32 v152, 31, v152
	v_xor_b32_e32 v151, vcc_lo, v151
	v_add_lshl_u32 v154, v37, v126, 2
	v_and_b32_e32 v150, v150, v156
	s_delay_alu instid0(VALU_DEP_4) | instskip(NEXT) | instid1(VALU_DEP_3)
	v_xor_b32_e32 v37, s17, v152
	v_add_nc_u32_e32 v152, 0x420, v154
	s_delay_alu instid0(VALU_DEP_3) | instskip(SKIP_2) | instid1(VALU_DEP_1)
	v_and_b32_e32 v151, v150, v151
	ds_load_b32 v150, v154 offset:1056
	; wave barrier
	v_and_b32_e32 v37, v151, v37
	v_mbcnt_lo_u32_b32 v151, v37, 0
	v_cmp_ne_u32_e64 s17, 0, v37
	s_delay_alu instid0(VALU_DEP_2) | instskip(NEXT) | instid1(VALU_DEP_2)
	v_cmp_eq_u32_e32 vcc_lo, 0, v151
	s_and_b32 s18, s17, vcc_lo
	s_delay_alu instid0(SALU_CYCLE_1)
	s_and_saveexec_b32 s17, s18
	s_cbranch_execz .LBB1776_733
; %bb.732:                              ;   in Loop: Header=BB1776_693 Depth=2
	s_waitcnt lgkmcnt(0)
	v_bcnt_u32_b32 v37, v37, v150
	ds_store_b32 v152, v37
.LBB1776_733:                           ;   in Loop: Header=BB1776_693 Depth=2
	s_or_b32 exec_lo, exec_lo, s17
	v_cmp_gt_i16_e64 vcc_lo, 0, v149
	; wave barrier
	s_delay_alu instid0(VALU_DEP_1) | instskip(NEXT) | instid1(VALU_DEP_1)
	v_cndmask_b32_e64 v37, 0x7fff, 0, vcc_lo
	v_xor_b32_e32 v149, v37, v149
	s_delay_alu instid0(VALU_DEP_1) | instskip(SKIP_1) | instid1(VALU_DEP_1)
	v_cmp_ne_u16_e64 vcc_lo, 0x8000, v149
	v_cndmask_b32_e32 v37, 0x7fff, v149, vcc_lo
	v_and_b32_e32 v37, 0xffff, v37
	s_delay_alu instid0(VALU_DEP_1) | instskip(NEXT) | instid1(VALU_DEP_1)
	v_lshrrev_b32_e32 v37, s49, v37
	v_and_b32_e32 v37, s55, v37
	s_delay_alu instid0(VALU_DEP_1)
	v_and_b32_e32 v154, 1, v37
	v_lshlrev_b32_e32 v155, 30, v37
	v_lshlrev_b32_e32 v156, 29, v37
	;; [unrolled: 1-line block ×4, first 2 shown]
	v_add_co_u32 v154, s17, v154, -1
	s_delay_alu instid0(VALU_DEP_1)
	v_cndmask_b32_e64 v159, 0, 1, s17
	v_not_b32_e32 v164, v155
	v_cmp_gt_i32_e64 s17, 0, v155
	v_not_b32_e32 v155, v156
	v_lshlrev_b32_e32 v162, 26, v37
	v_cmp_ne_u32_e32 vcc_lo, 0, v159
	v_ashrrev_i32_e32 v164, 31, v164
	v_lshlrev_b32_e32 v163, 25, v37
	v_ashrrev_i32_e32 v155, 31, v155
	v_lshlrev_b32_e32 v159, 24, v37
	v_xor_b32_e32 v154, vcc_lo, v154
	v_cmp_gt_i32_e32 vcc_lo, 0, v156
	v_not_b32_e32 v156, v158
	v_xor_b32_e32 v164, s17, v164
	v_cmp_gt_i32_e64 s17, 0, v158
	v_and_b32_e32 v154, exec_lo, v154
	v_not_b32_e32 v158, v160
	v_ashrrev_i32_e32 v156, 31, v156
	v_xor_b32_e32 v155, vcc_lo, v155
	v_cmp_gt_i32_e32 vcc_lo, 0, v160
	v_and_b32_e32 v154, v154, v164
	v_not_b32_e32 v160, v162
	v_ashrrev_i32_e32 v158, 31, v158
	v_xor_b32_e32 v156, s17, v156
	v_cmp_gt_i32_e64 s17, 0, v162
	v_and_b32_e32 v154, v154, v155
	v_not_b32_e32 v155, v163
	v_ashrrev_i32_e32 v160, 31, v160
	v_xor_b32_e32 v158, vcc_lo, v158
	v_cmp_gt_i32_e32 vcc_lo, 0, v163
	v_and_b32_e32 v154, v154, v156
	v_not_b32_e32 v156, v159
	v_ashrrev_i32_e32 v155, 31, v155
	v_xor_b32_e32 v160, s17, v160
	v_mul_u32_u24_e32 v37, 9, v37
	v_and_b32_e32 v154, v154, v158
	v_cmp_gt_i32_e64 s17, 0, v159
	v_ashrrev_i32_e32 v156, 31, v156
	v_xor_b32_e32 v155, vcc_lo, v155
	v_add_lshl_u32 v158, v37, v126, 2
	v_and_b32_e32 v154, v154, v160
	s_delay_alu instid0(VALU_DEP_4) | instskip(NEXT) | instid1(VALU_DEP_3)
	v_xor_b32_e32 v37, s17, v156
	v_add_nc_u32_e32 v156, 0x420, v158
	s_delay_alu instid0(VALU_DEP_3) | instskip(SKIP_2) | instid1(VALU_DEP_1)
	v_and_b32_e32 v155, v154, v155
	ds_load_b32 v154, v158 offset:1056
	; wave barrier
	v_and_b32_e32 v37, v155, v37
	v_mbcnt_lo_u32_b32 v155, v37, 0
	v_cmp_ne_u32_e64 s17, 0, v37
	s_delay_alu instid0(VALU_DEP_2) | instskip(NEXT) | instid1(VALU_DEP_2)
	v_cmp_eq_u32_e32 vcc_lo, 0, v155
	s_and_b32 s18, s17, vcc_lo
	s_delay_alu instid0(SALU_CYCLE_1)
	s_and_saveexec_b32 s17, s18
	s_cbranch_execz .LBB1776_735
; %bb.734:                              ;   in Loop: Header=BB1776_693 Depth=2
	s_waitcnt lgkmcnt(0)
	v_bcnt_u32_b32 v37, v37, v154
	ds_store_b32 v156, v37
.LBB1776_735:                           ;   in Loop: Header=BB1776_693 Depth=2
	s_or_b32 exec_lo, exec_lo, s17
	v_cmp_gt_i16_e64 vcc_lo, 0, v153
	; wave barrier
	s_delay_alu instid0(VALU_DEP_1) | instskip(NEXT) | instid1(VALU_DEP_1)
	v_cndmask_b32_e64 v37, 0x7fff, 0, vcc_lo
	v_xor_b32_e32 v153, v37, v153
	s_delay_alu instid0(VALU_DEP_1) | instskip(SKIP_1) | instid1(VALU_DEP_1)
	v_cmp_ne_u16_e64 vcc_lo, 0x8000, v153
	v_cndmask_b32_e32 v37, 0x7fff, v153, vcc_lo
	v_and_b32_e32 v37, 0xffff, v37
	s_delay_alu instid0(VALU_DEP_1) | instskip(NEXT) | instid1(VALU_DEP_1)
	v_lshrrev_b32_e32 v37, s49, v37
	v_and_b32_e32 v37, s55, v37
	s_delay_alu instid0(VALU_DEP_1)
	v_and_b32_e32 v158, 1, v37
	v_lshlrev_b32_e32 v159, 30, v37
	v_lshlrev_b32_e32 v160, 29, v37
	v_lshlrev_b32_e32 v162, 28, v37
	v_lshlrev_b32_e32 v164, 27, v37
	v_add_co_u32 v158, s17, v158, -1
	s_delay_alu instid0(VALU_DEP_1)
	v_cndmask_b32_e64 v163, 0, 1, s17
	v_not_b32_e32 v168, v159
	v_cmp_gt_i32_e64 s17, 0, v159
	v_not_b32_e32 v159, v160
	v_lshlrev_b32_e32 v166, 26, v37
	v_cmp_ne_u32_e32 vcc_lo, 0, v163
	v_ashrrev_i32_e32 v168, 31, v168
	v_lshlrev_b32_e32 v167, 25, v37
	v_ashrrev_i32_e32 v159, 31, v159
	v_lshlrev_b32_e32 v163, 24, v37
	v_xor_b32_e32 v158, vcc_lo, v158
	v_cmp_gt_i32_e32 vcc_lo, 0, v160
	v_not_b32_e32 v160, v162
	v_xor_b32_e32 v168, s17, v168
	v_cmp_gt_i32_e64 s17, 0, v162
	v_and_b32_e32 v158, exec_lo, v158
	v_not_b32_e32 v162, v164
	v_ashrrev_i32_e32 v160, 31, v160
	v_xor_b32_e32 v159, vcc_lo, v159
	v_cmp_gt_i32_e32 vcc_lo, 0, v164
	v_and_b32_e32 v158, v158, v168
	v_not_b32_e32 v164, v166
	v_ashrrev_i32_e32 v162, 31, v162
	v_xor_b32_e32 v160, s17, v160
	v_cmp_gt_i32_e64 s17, 0, v166
	v_and_b32_e32 v158, v158, v159
	v_not_b32_e32 v159, v167
	v_ashrrev_i32_e32 v164, 31, v164
	v_xor_b32_e32 v162, vcc_lo, v162
	v_cmp_gt_i32_e32 vcc_lo, 0, v167
	v_and_b32_e32 v158, v158, v160
	v_not_b32_e32 v160, v163
	v_ashrrev_i32_e32 v159, 31, v159
	v_xor_b32_e32 v164, s17, v164
	v_mul_u32_u24_e32 v37, 9, v37
	v_and_b32_e32 v158, v158, v162
	v_cmp_gt_i32_e64 s17, 0, v163
	v_ashrrev_i32_e32 v160, 31, v160
	v_xor_b32_e32 v159, vcc_lo, v159
	v_add_lshl_u32 v162, v37, v126, 2
	v_and_b32_e32 v158, v158, v164
	s_delay_alu instid0(VALU_DEP_4) | instskip(NEXT) | instid1(VALU_DEP_3)
	v_xor_b32_e32 v37, s17, v160
	v_add_nc_u32_e32 v160, 0x420, v162
	s_delay_alu instid0(VALU_DEP_3) | instskip(SKIP_2) | instid1(VALU_DEP_1)
	v_and_b32_e32 v159, v158, v159
	ds_load_b32 v158, v162 offset:1056
	; wave barrier
	v_and_b32_e32 v37, v159, v37
	v_mbcnt_lo_u32_b32 v159, v37, 0
	v_cmp_ne_u32_e64 s17, 0, v37
	s_delay_alu instid0(VALU_DEP_2) | instskip(NEXT) | instid1(VALU_DEP_2)
	v_cmp_eq_u32_e32 vcc_lo, 0, v159
	s_and_b32 s18, s17, vcc_lo
	s_delay_alu instid0(SALU_CYCLE_1)
	s_and_saveexec_b32 s17, s18
	s_cbranch_execz .LBB1776_737
; %bb.736:                              ;   in Loop: Header=BB1776_693 Depth=2
	s_waitcnt lgkmcnt(0)
	v_bcnt_u32_b32 v37, v37, v158
	ds_store_b32 v160, v37
.LBB1776_737:                           ;   in Loop: Header=BB1776_693 Depth=2
	s_or_b32 exec_lo, exec_lo, s17
	v_cmp_gt_i16_e64 vcc_lo, 0, v157
	; wave barrier
	s_delay_alu instid0(VALU_DEP_1) | instskip(NEXT) | instid1(VALU_DEP_1)
	v_cndmask_b32_e64 v37, 0x7fff, 0, vcc_lo
	v_xor_b32_e32 v157, v37, v157
	s_delay_alu instid0(VALU_DEP_1) | instskip(SKIP_1) | instid1(VALU_DEP_1)
	v_cmp_ne_u16_e64 vcc_lo, 0x8000, v157
	v_cndmask_b32_e32 v37, 0x7fff, v157, vcc_lo
	v_and_b32_e32 v37, 0xffff, v37
	s_delay_alu instid0(VALU_DEP_1) | instskip(NEXT) | instid1(VALU_DEP_1)
	v_lshrrev_b32_e32 v37, s49, v37
	v_and_b32_e32 v37, s55, v37
	s_delay_alu instid0(VALU_DEP_1)
	v_and_b32_e32 v162, 1, v37
	v_lshlrev_b32_e32 v163, 30, v37
	v_lshlrev_b32_e32 v164, 29, v37
	;; [unrolled: 1-line block ×4, first 2 shown]
	v_add_co_u32 v162, s17, v162, -1
	s_delay_alu instid0(VALU_DEP_1)
	v_cndmask_b32_e64 v167, 0, 1, s17
	v_not_b32_e32 v173, v163
	v_cmp_gt_i32_e64 s17, 0, v163
	v_not_b32_e32 v163, v164
	v_lshlrev_b32_e32 v171, 26, v37
	v_cmp_ne_u32_e32 vcc_lo, 0, v167
	v_ashrrev_i32_e32 v173, 31, v173
	v_lshlrev_b32_e32 v172, 25, v37
	v_ashrrev_i32_e32 v163, 31, v163
	v_lshlrev_b32_e32 v167, 24, v37
	v_xor_b32_e32 v162, vcc_lo, v162
	v_cmp_gt_i32_e32 vcc_lo, 0, v164
	v_not_b32_e32 v164, v166
	v_xor_b32_e32 v173, s17, v173
	v_cmp_gt_i32_e64 s17, 0, v166
	v_and_b32_e32 v162, exec_lo, v162
	v_not_b32_e32 v166, v168
	v_ashrrev_i32_e32 v164, 31, v164
	v_xor_b32_e32 v163, vcc_lo, v163
	v_cmp_gt_i32_e32 vcc_lo, 0, v168
	v_and_b32_e32 v162, v162, v173
	v_not_b32_e32 v168, v171
	v_ashrrev_i32_e32 v166, 31, v166
	v_xor_b32_e32 v164, s17, v164
	v_cmp_gt_i32_e64 s17, 0, v171
	v_and_b32_e32 v162, v162, v163
	v_not_b32_e32 v163, v172
	v_ashrrev_i32_e32 v168, 31, v168
	v_xor_b32_e32 v166, vcc_lo, v166
	v_cmp_gt_i32_e32 vcc_lo, 0, v172
	v_and_b32_e32 v162, v162, v164
	v_not_b32_e32 v164, v167
	v_ashrrev_i32_e32 v163, 31, v163
	v_xor_b32_e32 v168, s17, v168
	v_mul_u32_u24_e32 v37, 9, v37
	v_and_b32_e32 v162, v162, v166
	v_cmp_gt_i32_e64 s17, 0, v167
	v_ashrrev_i32_e32 v164, 31, v164
	v_xor_b32_e32 v163, vcc_lo, v163
	v_add_lshl_u32 v166, v37, v126, 2
	v_and_b32_e32 v162, v162, v168
	s_delay_alu instid0(VALU_DEP_4) | instskip(NEXT) | instid1(VALU_DEP_3)
	v_xor_b32_e32 v37, s17, v164
	v_add_nc_u32_e32 v164, 0x420, v166
	s_delay_alu instid0(VALU_DEP_3) | instskip(SKIP_2) | instid1(VALU_DEP_1)
	v_and_b32_e32 v163, v162, v163
	ds_load_b32 v162, v166 offset:1056
	; wave barrier
	v_and_b32_e32 v37, v163, v37
	v_mbcnt_lo_u32_b32 v163, v37, 0
	v_cmp_ne_u32_e64 s17, 0, v37
	s_delay_alu instid0(VALU_DEP_2) | instskip(NEXT) | instid1(VALU_DEP_2)
	v_cmp_eq_u32_e32 vcc_lo, 0, v163
	s_and_b32 s18, s17, vcc_lo
	s_delay_alu instid0(SALU_CYCLE_1)
	s_and_saveexec_b32 s17, s18
	s_cbranch_execz .LBB1776_739
; %bb.738:                              ;   in Loop: Header=BB1776_693 Depth=2
	s_waitcnt lgkmcnt(0)
	v_bcnt_u32_b32 v37, v37, v162
	ds_store_b32 v164, v37
.LBB1776_739:                           ;   in Loop: Header=BB1776_693 Depth=2
	s_or_b32 exec_lo, exec_lo, s17
	v_cmp_gt_i16_e64 vcc_lo, 0, v161
	; wave barrier
	s_delay_alu instid0(VALU_DEP_1) | instskip(NEXT) | instid1(VALU_DEP_1)
	v_cndmask_b32_e64 v37, 0x7fff, 0, vcc_lo
	v_xor_b32_e32 v161, v37, v161
	s_delay_alu instid0(VALU_DEP_1) | instskip(SKIP_1) | instid1(VALU_DEP_1)
	v_cmp_ne_u16_e64 vcc_lo, 0x8000, v161
	v_cndmask_b32_e32 v37, 0x7fff, v161, vcc_lo
	v_and_b32_e32 v37, 0xffff, v37
	s_delay_alu instid0(VALU_DEP_1) | instskip(NEXT) | instid1(VALU_DEP_1)
	v_lshrrev_b32_e32 v37, s49, v37
	v_and_b32_e32 v37, s55, v37
	s_delay_alu instid0(VALU_DEP_1)
	v_and_b32_e32 v166, 1, v37
	v_lshlrev_b32_e32 v167, 30, v37
	v_lshlrev_b32_e32 v168, 29, v37
	;; [unrolled: 1-line block ×4, first 2 shown]
	v_add_co_u32 v166, s17, v166, -1
	s_delay_alu instid0(VALU_DEP_1)
	v_cndmask_b32_e64 v172, 0, 1, s17
	v_not_b32_e32 v176, v167
	v_cmp_gt_i32_e64 s17, 0, v167
	v_not_b32_e32 v167, v168
	v_lshlrev_b32_e32 v174, 26, v37
	v_cmp_ne_u32_e32 vcc_lo, 0, v172
	v_ashrrev_i32_e32 v176, 31, v176
	v_lshlrev_b32_e32 v175, 25, v37
	v_ashrrev_i32_e32 v167, 31, v167
	v_lshlrev_b32_e32 v172, 24, v37
	v_xor_b32_e32 v166, vcc_lo, v166
	v_cmp_gt_i32_e32 vcc_lo, 0, v168
	v_not_b32_e32 v168, v171
	v_xor_b32_e32 v176, s17, v176
	v_cmp_gt_i32_e64 s17, 0, v171
	v_and_b32_e32 v166, exec_lo, v166
	v_not_b32_e32 v171, v173
	v_ashrrev_i32_e32 v168, 31, v168
	v_xor_b32_e32 v167, vcc_lo, v167
	v_cmp_gt_i32_e32 vcc_lo, 0, v173
	v_and_b32_e32 v166, v166, v176
	v_not_b32_e32 v173, v174
	v_ashrrev_i32_e32 v171, 31, v171
	v_xor_b32_e32 v168, s17, v168
	v_cmp_gt_i32_e64 s17, 0, v174
	v_and_b32_e32 v166, v166, v167
	v_not_b32_e32 v167, v175
	v_ashrrev_i32_e32 v173, 31, v173
	v_xor_b32_e32 v171, vcc_lo, v171
	v_cmp_gt_i32_e32 vcc_lo, 0, v175
	v_and_b32_e32 v166, v166, v168
	v_not_b32_e32 v168, v172
	v_ashrrev_i32_e32 v167, 31, v167
	v_xor_b32_e32 v173, s17, v173
	v_mul_u32_u24_e32 v37, 9, v37
	v_and_b32_e32 v166, v166, v171
	v_cmp_gt_i32_e64 s17, 0, v172
	v_ashrrev_i32_e32 v168, 31, v168
	v_xor_b32_e32 v167, vcc_lo, v167
	v_add_lshl_u32 v171, v37, v126, 2
	v_and_b32_e32 v166, v166, v173
	s_delay_alu instid0(VALU_DEP_4) | instskip(NEXT) | instid1(VALU_DEP_3)
	v_xor_b32_e32 v37, s17, v168
	v_add_nc_u32_e32 v168, 0x420, v171
	s_delay_alu instid0(VALU_DEP_3) | instskip(SKIP_2) | instid1(VALU_DEP_1)
	v_and_b32_e32 v167, v166, v167
	ds_load_b32 v166, v171 offset:1056
	; wave barrier
	v_and_b32_e32 v37, v167, v37
	v_mbcnt_lo_u32_b32 v167, v37, 0
	v_cmp_ne_u32_e64 s17, 0, v37
	s_delay_alu instid0(VALU_DEP_2) | instskip(NEXT) | instid1(VALU_DEP_2)
	v_cmp_eq_u32_e32 vcc_lo, 0, v167
	s_and_b32 s18, s17, vcc_lo
	s_delay_alu instid0(SALU_CYCLE_1)
	s_and_saveexec_b32 s17, s18
	s_cbranch_execz .LBB1776_741
; %bb.740:                              ;   in Loop: Header=BB1776_693 Depth=2
	s_waitcnt lgkmcnt(0)
	v_bcnt_u32_b32 v37, v37, v166
	ds_store_b32 v168, v37
.LBB1776_741:                           ;   in Loop: Header=BB1776_693 Depth=2
	s_or_b32 exec_lo, exec_lo, s17
	v_cmp_gt_i16_e64 vcc_lo, 0, v165
	; wave barrier
	s_delay_alu instid0(VALU_DEP_1) | instskip(NEXT) | instid1(VALU_DEP_1)
	v_cndmask_b32_e64 v37, 0x7fff, 0, vcc_lo
	v_xor_b32_e32 v165, v37, v165
	s_delay_alu instid0(VALU_DEP_1) | instskip(SKIP_1) | instid1(VALU_DEP_1)
	v_cmp_ne_u16_e64 vcc_lo, 0x8000, v165
	v_cndmask_b32_e32 v37, 0x7fff, v165, vcc_lo
	v_and_b32_e32 v37, 0xffff, v37
	s_delay_alu instid0(VALU_DEP_1) | instskip(NEXT) | instid1(VALU_DEP_1)
	v_lshrrev_b32_e32 v37, s49, v37
	v_and_b32_e32 v37, s55, v37
	s_delay_alu instid0(VALU_DEP_1)
	v_and_b32_e32 v171, 1, v37
	v_lshlrev_b32_e32 v172, 30, v37
	v_lshlrev_b32_e32 v173, 29, v37
	;; [unrolled: 1-line block ×4, first 2 shown]
	v_add_co_u32 v171, s17, v171, -1
	s_delay_alu instid0(VALU_DEP_1)
	v_cndmask_b32_e64 v175, 0, 1, s17
	v_not_b32_e32 v179, v172
	v_cmp_gt_i32_e64 s17, 0, v172
	v_not_b32_e32 v172, v173
	v_lshlrev_b32_e32 v177, 26, v37
	v_cmp_ne_u32_e32 vcc_lo, 0, v175
	v_ashrrev_i32_e32 v179, 31, v179
	v_lshlrev_b32_e32 v178, 25, v37
	v_ashrrev_i32_e32 v172, 31, v172
	v_lshlrev_b32_e32 v175, 24, v37
	v_xor_b32_e32 v171, vcc_lo, v171
	v_cmp_gt_i32_e32 vcc_lo, 0, v173
	v_not_b32_e32 v173, v174
	v_xor_b32_e32 v179, s17, v179
	v_cmp_gt_i32_e64 s17, 0, v174
	v_and_b32_e32 v171, exec_lo, v171
	v_not_b32_e32 v174, v176
	v_ashrrev_i32_e32 v173, 31, v173
	v_xor_b32_e32 v172, vcc_lo, v172
	v_cmp_gt_i32_e32 vcc_lo, 0, v176
	v_and_b32_e32 v171, v171, v179
	v_not_b32_e32 v176, v177
	v_ashrrev_i32_e32 v174, 31, v174
	v_xor_b32_e32 v173, s17, v173
	v_cmp_gt_i32_e64 s17, 0, v177
	v_and_b32_e32 v171, v171, v172
	v_not_b32_e32 v172, v178
	v_ashrrev_i32_e32 v176, 31, v176
	v_xor_b32_e32 v174, vcc_lo, v174
	v_cmp_gt_i32_e32 vcc_lo, 0, v178
	v_and_b32_e32 v171, v171, v173
	v_not_b32_e32 v173, v175
	v_ashrrev_i32_e32 v172, 31, v172
	v_xor_b32_e32 v176, s17, v176
	v_mul_u32_u24_e32 v37, 9, v37
	v_and_b32_e32 v171, v171, v174
	v_cmp_gt_i32_e64 s17, 0, v175
	v_ashrrev_i32_e32 v173, 31, v173
	v_xor_b32_e32 v172, vcc_lo, v172
	v_add_lshl_u32 v174, v37, v126, 2
	v_and_b32_e32 v171, v171, v176
	s_delay_alu instid0(VALU_DEP_4) | instskip(NEXT) | instid1(VALU_DEP_3)
	v_xor_b32_e32 v37, s17, v173
	v_add_nc_u32_e32 v173, 0x420, v174
	s_delay_alu instid0(VALU_DEP_3) | instskip(SKIP_2) | instid1(VALU_DEP_1)
	v_and_b32_e32 v172, v171, v172
	ds_load_b32 v171, v174 offset:1056
	; wave barrier
	v_and_b32_e32 v37, v172, v37
	v_mbcnt_lo_u32_b32 v172, v37, 0
	v_cmp_ne_u32_e64 s17, 0, v37
	s_delay_alu instid0(VALU_DEP_2) | instskip(NEXT) | instid1(VALU_DEP_2)
	v_cmp_eq_u32_e32 vcc_lo, 0, v172
	s_and_b32 s18, s17, vcc_lo
	s_delay_alu instid0(SALU_CYCLE_1)
	s_and_saveexec_b32 s17, s18
	s_cbranch_execz .LBB1776_743
; %bb.742:                              ;   in Loop: Header=BB1776_693 Depth=2
	s_waitcnt lgkmcnt(0)
	v_bcnt_u32_b32 v37, v37, v171
	ds_store_b32 v173, v37
.LBB1776_743:                           ;   in Loop: Header=BB1776_693 Depth=2
	s_or_b32 exec_lo, exec_lo, s17
	v_cmp_gt_i16_e64 vcc_lo, 0, v170
	; wave barrier
	s_delay_alu instid0(VALU_DEP_1) | instskip(NEXT) | instid1(VALU_DEP_1)
	v_cndmask_b32_e64 v37, 0x7fff, 0, vcc_lo
	v_xor_b32_e32 v170, v37, v170
	s_delay_alu instid0(VALU_DEP_1) | instskip(SKIP_1) | instid1(VALU_DEP_1)
	v_cmp_ne_u16_e64 vcc_lo, 0x8000, v170
	v_cndmask_b32_e32 v37, 0x7fff, v170, vcc_lo
	v_and_b32_e32 v37, 0xffff, v37
	s_delay_alu instid0(VALU_DEP_1) | instskip(NEXT) | instid1(VALU_DEP_1)
	v_lshrrev_b32_e32 v37, s49, v37
	v_and_b32_e32 v37, s55, v37
	s_delay_alu instid0(VALU_DEP_1)
	v_and_b32_e32 v174, 1, v37
	v_lshlrev_b32_e32 v175, 30, v37
	v_lshlrev_b32_e32 v176, 29, v37
	;; [unrolled: 1-line block ×4, first 2 shown]
	v_add_co_u32 v174, s17, v174, -1
	s_delay_alu instid0(VALU_DEP_1)
	v_cndmask_b32_e64 v178, 0, 1, s17
	v_not_b32_e32 v182, v175
	v_cmp_gt_i32_e64 s17, 0, v175
	v_not_b32_e32 v175, v176
	v_lshlrev_b32_e32 v180, 26, v37
	v_cmp_ne_u32_e32 vcc_lo, 0, v178
	v_ashrrev_i32_e32 v182, 31, v182
	v_lshlrev_b32_e32 v181, 25, v37
	v_ashrrev_i32_e32 v175, 31, v175
	v_lshlrev_b32_e32 v178, 24, v37
	v_xor_b32_e32 v174, vcc_lo, v174
	v_cmp_gt_i32_e32 vcc_lo, 0, v176
	v_not_b32_e32 v176, v177
	v_xor_b32_e32 v182, s17, v182
	v_cmp_gt_i32_e64 s17, 0, v177
	v_and_b32_e32 v174, exec_lo, v174
	v_not_b32_e32 v177, v179
	v_ashrrev_i32_e32 v176, 31, v176
	v_xor_b32_e32 v175, vcc_lo, v175
	v_cmp_gt_i32_e32 vcc_lo, 0, v179
	v_and_b32_e32 v174, v174, v182
	v_not_b32_e32 v179, v180
	v_ashrrev_i32_e32 v177, 31, v177
	v_xor_b32_e32 v176, s17, v176
	v_cmp_gt_i32_e64 s17, 0, v180
	v_and_b32_e32 v174, v174, v175
	v_not_b32_e32 v175, v181
	v_ashrrev_i32_e32 v179, 31, v179
	v_xor_b32_e32 v177, vcc_lo, v177
	v_cmp_gt_i32_e32 vcc_lo, 0, v181
	v_and_b32_e32 v174, v174, v176
	v_not_b32_e32 v176, v178
	v_ashrrev_i32_e32 v175, 31, v175
	v_xor_b32_e32 v179, s17, v179
	v_mul_u32_u24_e32 v37, 9, v37
	v_and_b32_e32 v174, v174, v177
	v_cmp_gt_i32_e64 s17, 0, v178
	v_ashrrev_i32_e32 v176, 31, v176
	v_xor_b32_e32 v175, vcc_lo, v175
	v_add_lshl_u32 v177, v37, v126, 2
	v_and_b32_e32 v174, v174, v179
	s_delay_alu instid0(VALU_DEP_4) | instskip(NEXT) | instid1(VALU_DEP_3)
	v_xor_b32_e32 v37, s17, v176
	v_add_nc_u32_e32 v176, 0x420, v177
	s_delay_alu instid0(VALU_DEP_3) | instskip(SKIP_2) | instid1(VALU_DEP_1)
	v_and_b32_e32 v175, v174, v175
	ds_load_b32 v174, v177 offset:1056
	; wave barrier
	v_and_b32_e32 v37, v175, v37
	v_mbcnt_lo_u32_b32 v175, v37, 0
	v_cmp_ne_u32_e64 s17, 0, v37
	s_delay_alu instid0(VALU_DEP_2) | instskip(NEXT) | instid1(VALU_DEP_2)
	v_cmp_eq_u32_e32 vcc_lo, 0, v175
	s_and_b32 s18, s17, vcc_lo
	s_delay_alu instid0(SALU_CYCLE_1)
	s_and_saveexec_b32 s17, s18
	s_cbranch_execz .LBB1776_745
; %bb.744:                              ;   in Loop: Header=BB1776_693 Depth=2
	s_waitcnt lgkmcnt(0)
	v_bcnt_u32_b32 v37, v37, v174
	ds_store_b32 v176, v37
.LBB1776_745:                           ;   in Loop: Header=BB1776_693 Depth=2
	s_or_b32 exec_lo, exec_lo, s17
	v_cmp_gt_i16_e64 vcc_lo, 0, v169
	; wave barrier
	s_delay_alu instid0(VALU_DEP_1) | instskip(NEXT) | instid1(VALU_DEP_1)
	v_cndmask_b32_e64 v37, 0x7fff, 0, vcc_lo
	v_xor_b32_e32 v169, v37, v169
	s_delay_alu instid0(VALU_DEP_1) | instskip(SKIP_1) | instid1(VALU_DEP_1)
	v_cmp_ne_u16_e64 vcc_lo, 0x8000, v169
	v_cndmask_b32_e32 v37, 0x7fff, v169, vcc_lo
	v_and_b32_e32 v37, 0xffff, v37
	s_delay_alu instid0(VALU_DEP_1) | instskip(NEXT) | instid1(VALU_DEP_1)
	v_lshrrev_b32_e32 v37, s49, v37
	v_and_b32_e32 v37, s55, v37
	s_delay_alu instid0(VALU_DEP_1)
	v_and_b32_e32 v177, 1, v37
	v_lshlrev_b32_e32 v178, 30, v37
	v_lshlrev_b32_e32 v179, 29, v37
	;; [unrolled: 1-line block ×4, first 2 shown]
	v_add_co_u32 v177, s17, v177, -1
	s_delay_alu instid0(VALU_DEP_1)
	v_cndmask_b32_e64 v181, 0, 1, s17
	v_not_b32_e32 v185, v178
	v_cmp_gt_i32_e64 s17, 0, v178
	v_not_b32_e32 v178, v179
	v_lshlrev_b32_e32 v183, 26, v37
	v_cmp_ne_u32_e32 vcc_lo, 0, v181
	v_ashrrev_i32_e32 v185, 31, v185
	v_lshlrev_b32_e32 v184, 25, v37
	v_ashrrev_i32_e32 v178, 31, v178
	v_lshlrev_b32_e32 v181, 24, v37
	v_xor_b32_e32 v177, vcc_lo, v177
	v_cmp_gt_i32_e32 vcc_lo, 0, v179
	v_not_b32_e32 v179, v180
	v_xor_b32_e32 v185, s17, v185
	v_cmp_gt_i32_e64 s17, 0, v180
	v_and_b32_e32 v177, exec_lo, v177
	v_not_b32_e32 v180, v182
	v_ashrrev_i32_e32 v179, 31, v179
	v_xor_b32_e32 v178, vcc_lo, v178
	v_cmp_gt_i32_e32 vcc_lo, 0, v182
	v_and_b32_e32 v177, v177, v185
	v_not_b32_e32 v182, v183
	v_ashrrev_i32_e32 v180, 31, v180
	v_xor_b32_e32 v179, s17, v179
	v_cmp_gt_i32_e64 s17, 0, v183
	v_and_b32_e32 v177, v177, v178
	v_not_b32_e32 v178, v184
	v_ashrrev_i32_e32 v182, 31, v182
	v_xor_b32_e32 v180, vcc_lo, v180
	v_cmp_gt_i32_e32 vcc_lo, 0, v184
	v_and_b32_e32 v177, v177, v179
	v_not_b32_e32 v179, v181
	v_ashrrev_i32_e32 v178, 31, v178
	v_xor_b32_e32 v182, s17, v182
	v_mul_u32_u24_e32 v37, 9, v37
	v_and_b32_e32 v177, v177, v180
	v_cmp_gt_i32_e64 s17, 0, v181
	v_ashrrev_i32_e32 v179, 31, v179
	v_xor_b32_e32 v178, vcc_lo, v178
	v_add_lshl_u32 v180, v37, v126, 2
	v_and_b32_e32 v177, v177, v182
	s_delay_alu instid0(VALU_DEP_4) | instskip(NEXT) | instid1(VALU_DEP_2)
	v_xor_b32_e32 v37, s17, v179
	v_and_b32_e32 v177, v177, v178
	ds_load_b32 v178, v180 offset:1056
	v_add_nc_u32_e32 v180, 0x420, v180
	; wave barrier
	v_and_b32_e32 v37, v177, v37
	s_delay_alu instid0(VALU_DEP_1) | instskip(SKIP_1) | instid1(VALU_DEP_2)
	v_mbcnt_lo_u32_b32 v179, v37, 0
	v_cmp_ne_u32_e64 s17, 0, v37
	v_cmp_eq_u32_e32 vcc_lo, 0, v179
	s_delay_alu instid0(VALU_DEP_2) | instskip(NEXT) | instid1(SALU_CYCLE_1)
	s_and_b32 s18, s17, vcc_lo
	s_and_saveexec_b32 s17, s18
	s_cbranch_execz .LBB1776_747
; %bb.746:                              ;   in Loop: Header=BB1776_693 Depth=2
	s_waitcnt lgkmcnt(0)
	v_bcnt_u32_b32 v37, v37, v178
	ds_store_b32 v180, v37
.LBB1776_747:                           ;   in Loop: Header=BB1776_693 Depth=2
	s_or_b32 exec_lo, exec_lo, s17
	v_cmp_gt_i16_e32 vcc_lo, 0, v43
	; wave barrier
	v_cndmask_b32_e64 v37, 0x7fff, 0, vcc_lo
	s_delay_alu instid0(VALU_DEP_1) | instskip(NEXT) | instid1(VALU_DEP_1)
	v_xor_b32_e32 v177, v37, v43
	v_cmp_ne_u16_e64 vcc_lo, 0x8000, v177
	v_cndmask_b32_e32 v37, 0x7fff, v177, vcc_lo
	s_delay_alu instid0(VALU_DEP_1) | instskip(NEXT) | instid1(VALU_DEP_1)
	v_and_b32_e32 v37, 0xffff, v37
	v_lshrrev_b32_e32 v37, s49, v37
	s_delay_alu instid0(VALU_DEP_1) | instskip(NEXT) | instid1(VALU_DEP_1)
	v_and_b32_e32 v37, s55, v37
	v_and_b32_e32 v43, 1, v37
	v_lshlrev_b32_e32 v181, 30, v37
	v_lshlrev_b32_e32 v182, 29, v37
	;; [unrolled: 1-line block ×4, first 2 shown]
	v_add_co_u32 v43, s17, v43, -1
	s_delay_alu instid0(VALU_DEP_1)
	v_cndmask_b32_e64 v184, 0, 1, s17
	v_not_b32_e32 v188, v181
	v_cmp_gt_i32_e64 s17, 0, v181
	v_not_b32_e32 v181, v182
	v_lshlrev_b32_e32 v186, 26, v37
	v_cmp_ne_u32_e32 vcc_lo, 0, v184
	v_ashrrev_i32_e32 v188, 31, v188
	v_lshlrev_b32_e32 v187, 25, v37
	v_ashrrev_i32_e32 v181, 31, v181
	v_lshlrev_b32_e32 v184, 24, v37
	v_xor_b32_e32 v43, vcc_lo, v43
	v_cmp_gt_i32_e32 vcc_lo, 0, v182
	v_not_b32_e32 v182, v183
	v_xor_b32_e32 v188, s17, v188
	v_cmp_gt_i32_e64 s17, 0, v183
	v_and_b32_e32 v43, exec_lo, v43
	v_not_b32_e32 v183, v185
	v_ashrrev_i32_e32 v182, 31, v182
	v_xor_b32_e32 v181, vcc_lo, v181
	v_cmp_gt_i32_e32 vcc_lo, 0, v185
	v_and_b32_e32 v43, v43, v188
	v_not_b32_e32 v185, v186
	v_ashrrev_i32_e32 v183, 31, v183
	v_xor_b32_e32 v182, s17, v182
	v_cmp_gt_i32_e64 s17, 0, v186
	v_and_b32_e32 v43, v43, v181
	v_not_b32_e32 v181, v187
	v_ashrrev_i32_e32 v185, 31, v185
	v_xor_b32_e32 v183, vcc_lo, v183
	v_cmp_gt_i32_e32 vcc_lo, 0, v187
	v_and_b32_e32 v43, v43, v182
	v_not_b32_e32 v182, v184
	v_ashrrev_i32_e32 v181, 31, v181
	v_xor_b32_e32 v185, s17, v185
	v_mul_u32_u24_e32 v37, 9, v37
	v_and_b32_e32 v43, v43, v183
	v_cmp_gt_i32_e64 s17, 0, v184
	v_ashrrev_i32_e32 v182, 31, v182
	v_xor_b32_e32 v181, vcc_lo, v181
	v_add_lshl_u32 v184, v37, v126, 2
	v_and_b32_e32 v43, v43, v185
	s_delay_alu instid0(VALU_DEP_4) | instskip(SKIP_3) | instid1(VALU_DEP_2)
	v_xor_b32_e32 v37, s17, v182
	ds_load_b32 v182, v184 offset:1056
	v_and_b32_e32 v43, v43, v181
	v_add_nc_u32_e32 v184, 0x420, v184
	; wave barrier
	v_and_b32_e32 v37, v43, v37
	s_delay_alu instid0(VALU_DEP_1) | instskip(SKIP_1) | instid1(VALU_DEP_2)
	v_mbcnt_lo_u32_b32 v183, v37, 0
	v_cmp_ne_u32_e64 s17, 0, v37
	v_cmp_eq_u32_e32 vcc_lo, 0, v183
	s_delay_alu instid0(VALU_DEP_2) | instskip(NEXT) | instid1(SALU_CYCLE_1)
	s_and_b32 s18, s17, vcc_lo
	s_and_saveexec_b32 s17, s18
	s_cbranch_execz .LBB1776_749
; %bb.748:                              ;   in Loop: Header=BB1776_693 Depth=2
	s_waitcnt lgkmcnt(0)
	v_bcnt_u32_b32 v37, v37, v182
	ds_store_b32 v184, v37
.LBB1776_749:                           ;   in Loop: Header=BB1776_693 Depth=2
	s_or_b32 exec_lo, exec_lo, s17
	v_cmp_gt_i16_e32 vcc_lo, 0, v42
	; wave barrier
	v_cndmask_b32_e64 v37, 0x7fff, 0, vcc_lo
	s_delay_alu instid0(VALU_DEP_1) | instskip(NEXT) | instid1(VALU_DEP_1)
	v_xor_b32_e32 v181, v37, v42
	v_cmp_ne_u16_e64 vcc_lo, 0x8000, v181
	v_cndmask_b32_e32 v37, 0x7fff, v181, vcc_lo
	s_delay_alu instid0(VALU_DEP_1) | instskip(NEXT) | instid1(VALU_DEP_1)
	v_and_b32_e32 v37, 0xffff, v37
	v_lshrrev_b32_e32 v37, s49, v37
	s_delay_alu instid0(VALU_DEP_1) | instskip(NEXT) | instid1(VALU_DEP_1)
	v_and_b32_e32 v37, s55, v37
	v_and_b32_e32 v42, 1, v37
	v_lshlrev_b32_e32 v43, 30, v37
	v_lshlrev_b32_e32 v185, 29, v37
	v_lshlrev_b32_e32 v186, 28, v37
	v_lshlrev_b32_e32 v188, 27, v37
	v_add_co_u32 v42, s17, v42, -1
	s_delay_alu instid0(VALU_DEP_1)
	v_cndmask_b32_e64 v187, 0, 1, s17
	v_not_b32_e32 v191, v43
	v_cmp_gt_i32_e64 s17, 0, v43
	v_not_b32_e32 v43, v185
	v_lshlrev_b32_e32 v189, 26, v37
	v_cmp_ne_u32_e32 vcc_lo, 0, v187
	v_ashrrev_i32_e32 v191, 31, v191
	v_lshlrev_b32_e32 v190, 25, v37
	v_ashrrev_i32_e32 v43, 31, v43
	v_lshlrev_b32_e32 v187, 24, v37
	v_xor_b32_e32 v42, vcc_lo, v42
	v_cmp_gt_i32_e32 vcc_lo, 0, v185
	v_not_b32_e32 v185, v186
	v_xor_b32_e32 v191, s17, v191
	v_cmp_gt_i32_e64 s17, 0, v186
	v_and_b32_e32 v42, exec_lo, v42
	v_not_b32_e32 v186, v188
	v_ashrrev_i32_e32 v185, 31, v185
	v_xor_b32_e32 v43, vcc_lo, v43
	v_cmp_gt_i32_e32 vcc_lo, 0, v188
	v_and_b32_e32 v42, v42, v191
	v_not_b32_e32 v188, v189
	v_ashrrev_i32_e32 v186, 31, v186
	v_xor_b32_e32 v185, s17, v185
	v_cmp_gt_i32_e64 s17, 0, v189
	v_and_b32_e32 v42, v42, v43
	v_not_b32_e32 v43, v190
	v_ashrrev_i32_e32 v188, 31, v188
	v_xor_b32_e32 v186, vcc_lo, v186
	v_cmp_gt_i32_e32 vcc_lo, 0, v190
	v_and_b32_e32 v42, v42, v185
	v_not_b32_e32 v185, v187
	v_ashrrev_i32_e32 v43, 31, v43
	v_xor_b32_e32 v188, s17, v188
	v_mul_u32_u24_e32 v37, 9, v37
	v_and_b32_e32 v42, v42, v186
	v_cmp_gt_i32_e64 s17, 0, v187
	v_ashrrev_i32_e32 v185, 31, v185
	v_xor_b32_e32 v43, vcc_lo, v43
	s_delay_alu instid0(VALU_DEP_4) | instskip(SKIP_1) | instid1(VALU_DEP_4)
	v_and_b32_e32 v42, v42, v188
	v_add_lshl_u32 v188, v37, v126, 2
	v_xor_b32_e32 v37, s17, v185
	s_delay_alu instid0(VALU_DEP_3) | instskip(SKIP_3) | instid1(VALU_DEP_1)
	v_and_b32_e32 v42, v42, v43
	ds_load_b32 v186, v188 offset:1056
	v_add_nc_u32_e32 v188, 0x420, v188
	; wave barrier
	v_and_b32_e32 v37, v42, v37
	v_mbcnt_lo_u32_b32 v187, v37, 0
	v_cmp_ne_u32_e64 s17, 0, v37
	s_delay_alu instid0(VALU_DEP_2) | instskip(NEXT) | instid1(VALU_DEP_2)
	v_cmp_eq_u32_e32 vcc_lo, 0, v187
	s_and_b32 s18, s17, vcc_lo
	s_delay_alu instid0(SALU_CYCLE_1)
	s_and_saveexec_b32 s17, s18
	s_cbranch_execz .LBB1776_751
; %bb.750:                              ;   in Loop: Header=BB1776_693 Depth=2
	s_waitcnt lgkmcnt(0)
	v_bcnt_u32_b32 v37, v37, v186
	ds_store_b32 v188, v37
.LBB1776_751:                           ;   in Loop: Header=BB1776_693 Depth=2
	s_or_b32 exec_lo, exec_lo, s17
	v_cmp_gt_i16_e32 vcc_lo, 0, v41
	; wave barrier
	v_cndmask_b32_e64 v37, 0x7fff, 0, vcc_lo
	s_delay_alu instid0(VALU_DEP_1) | instskip(NEXT) | instid1(VALU_DEP_1)
	v_xor_b32_e32 v185, v37, v41
	v_cmp_ne_u16_e64 vcc_lo, 0x8000, v185
	v_cndmask_b32_e32 v37, 0x7fff, v185, vcc_lo
	s_delay_alu instid0(VALU_DEP_1) | instskip(NEXT) | instid1(VALU_DEP_1)
	v_and_b32_e32 v37, 0xffff, v37
	v_lshrrev_b32_e32 v37, s49, v37
	s_delay_alu instid0(VALU_DEP_1) | instskip(NEXT) | instid1(VALU_DEP_1)
	v_and_b32_e32 v37, s55, v37
	v_and_b32_e32 v41, 1, v37
	v_lshlrev_b32_e32 v42, 30, v37
	v_lshlrev_b32_e32 v43, 29, v37
	;; [unrolled: 1-line block ×4, first 2 shown]
	v_add_co_u32 v41, s17, v41, -1
	s_delay_alu instid0(VALU_DEP_1)
	v_cndmask_b32_e64 v190, 0, 1, s17
	v_not_b32_e32 v194, v42
	v_cmp_gt_i32_e64 s17, 0, v42
	v_not_b32_e32 v42, v43
	v_lshlrev_b32_e32 v192, 26, v37
	v_cmp_ne_u32_e32 vcc_lo, 0, v190
	v_ashrrev_i32_e32 v194, 31, v194
	v_lshlrev_b32_e32 v193, 25, v37
	v_ashrrev_i32_e32 v42, 31, v42
	v_lshlrev_b32_e32 v190, 24, v37
	v_xor_b32_e32 v41, vcc_lo, v41
	v_cmp_gt_i32_e32 vcc_lo, 0, v43
	v_not_b32_e32 v43, v189
	v_xor_b32_e32 v194, s17, v194
	v_cmp_gt_i32_e64 s17, 0, v189
	v_and_b32_e32 v41, exec_lo, v41
	v_not_b32_e32 v189, v191
	v_ashrrev_i32_e32 v43, 31, v43
	v_xor_b32_e32 v42, vcc_lo, v42
	v_cmp_gt_i32_e32 vcc_lo, 0, v191
	v_and_b32_e32 v41, v41, v194
	v_not_b32_e32 v191, v192
	v_ashrrev_i32_e32 v189, 31, v189
	v_xor_b32_e32 v43, s17, v43
	v_cmp_gt_i32_e64 s17, 0, v192
	v_and_b32_e32 v41, v41, v42
	v_not_b32_e32 v42, v193
	v_ashrrev_i32_e32 v191, 31, v191
	v_xor_b32_e32 v189, vcc_lo, v189
	v_cmp_gt_i32_e32 vcc_lo, 0, v193
	v_and_b32_e32 v41, v41, v43
	v_not_b32_e32 v43, v190
	v_ashrrev_i32_e32 v42, 31, v42
	v_xor_b32_e32 v191, s17, v191
	v_mul_u32_u24_e32 v37, 9, v37
	v_and_b32_e32 v41, v41, v189
	v_cmp_gt_i32_e64 s17, 0, v190
	v_ashrrev_i32_e32 v43, 31, v43
	v_xor_b32_e32 v42, vcc_lo, v42
	v_add_lshl_u32 v189, v37, v126, 2
	v_and_b32_e32 v41, v41, v191
	s_delay_alu instid0(VALU_DEP_4) | instskip(SKIP_3) | instid1(VALU_DEP_2)
	v_xor_b32_e32 v37, s17, v43
	ds_load_b32 v190, v189 offset:1056
	v_and_b32_e32 v41, v41, v42
	v_add_nc_u32_e32 v192, 0x420, v189
	; wave barrier
	v_and_b32_e32 v37, v41, v37
	s_delay_alu instid0(VALU_DEP_1) | instskip(SKIP_1) | instid1(VALU_DEP_2)
	v_mbcnt_lo_u32_b32 v191, v37, 0
	v_cmp_ne_u32_e64 s17, 0, v37
	v_cmp_eq_u32_e32 vcc_lo, 0, v191
	s_delay_alu instid0(VALU_DEP_2) | instskip(NEXT) | instid1(SALU_CYCLE_1)
	s_and_b32 s18, s17, vcc_lo
	s_and_saveexec_b32 s17, s18
	s_cbranch_execz .LBB1776_753
; %bb.752:                              ;   in Loop: Header=BB1776_693 Depth=2
	s_waitcnt lgkmcnt(0)
	v_bcnt_u32_b32 v37, v37, v190
	ds_store_b32 v192, v37
.LBB1776_753:                           ;   in Loop: Header=BB1776_693 Depth=2
	s_or_b32 exec_lo, exec_lo, s17
	v_cmp_gt_i16_e32 vcc_lo, 0, v40
	; wave barrier
	v_cndmask_b32_e64 v37, 0x7fff, 0, vcc_lo
	s_delay_alu instid0(VALU_DEP_1) | instskip(NEXT) | instid1(VALU_DEP_1)
	v_xor_b32_e32 v189, v37, v40
	v_cmp_ne_u16_e64 vcc_lo, 0x8000, v189
	v_cndmask_b32_e32 v37, 0x7fff, v189, vcc_lo
	s_delay_alu instid0(VALU_DEP_1) | instskip(NEXT) | instid1(VALU_DEP_1)
	v_and_b32_e32 v37, 0xffff, v37
	v_lshrrev_b32_e32 v37, s49, v37
	s_delay_alu instid0(VALU_DEP_1) | instskip(NEXT) | instid1(VALU_DEP_1)
	v_and_b32_e32 v37, s55, v37
	v_and_b32_e32 v40, 1, v37
	v_lshlrev_b32_e32 v41, 30, v37
	v_lshlrev_b32_e32 v42, 29, v37
	;; [unrolled: 1-line block ×4, first 2 shown]
	v_add_co_u32 v40, s17, v40, -1
	s_delay_alu instid0(VALU_DEP_1)
	v_cndmask_b32_e64 v193, 0, 1, s17
	v_not_b32_e32 v197, v41
	v_cmp_gt_i32_e64 s17, 0, v41
	v_not_b32_e32 v41, v42
	v_lshlrev_b32_e32 v195, 26, v37
	v_cmp_ne_u32_e32 vcc_lo, 0, v193
	v_ashrrev_i32_e32 v197, 31, v197
	v_lshlrev_b32_e32 v196, 25, v37
	v_ashrrev_i32_e32 v41, 31, v41
	v_lshlrev_b32_e32 v193, 24, v37
	v_xor_b32_e32 v40, vcc_lo, v40
	v_cmp_gt_i32_e32 vcc_lo, 0, v42
	v_not_b32_e32 v42, v43
	v_xor_b32_e32 v197, s17, v197
	v_cmp_gt_i32_e64 s17, 0, v43
	v_and_b32_e32 v40, exec_lo, v40
	v_not_b32_e32 v43, v194
	v_ashrrev_i32_e32 v42, 31, v42
	v_xor_b32_e32 v41, vcc_lo, v41
	v_cmp_gt_i32_e32 vcc_lo, 0, v194
	v_and_b32_e32 v40, v40, v197
	v_not_b32_e32 v194, v195
	v_ashrrev_i32_e32 v43, 31, v43
	v_xor_b32_e32 v42, s17, v42
	v_cmp_gt_i32_e64 s17, 0, v195
	v_and_b32_e32 v40, v40, v41
	v_not_b32_e32 v41, v196
	v_ashrrev_i32_e32 v194, 31, v194
	v_xor_b32_e32 v43, vcc_lo, v43
	v_cmp_gt_i32_e32 vcc_lo, 0, v196
	v_and_b32_e32 v40, v40, v42
	v_not_b32_e32 v42, v193
	v_ashrrev_i32_e32 v41, 31, v41
	v_xor_b32_e32 v194, s17, v194
	v_mul_u32_u24_e32 v37, 9, v37
	v_and_b32_e32 v40, v40, v43
	v_cmp_gt_i32_e64 s17, 0, v193
	v_ashrrev_i32_e32 v42, 31, v42
	v_xor_b32_e32 v41, vcc_lo, v41
	v_add_lshl_u32 v43, v37, v126, 2
	v_and_b32_e32 v40, v40, v194
	s_delay_alu instid0(VALU_DEP_4) | instskip(SKIP_3) | instid1(VALU_DEP_2)
	v_xor_b32_e32 v37, s17, v42
	ds_load_b32 v194, v43 offset:1056
	v_and_b32_e32 v40, v40, v41
	v_add_nc_u32_e32 v196, 0x420, v43
	; wave barrier
	v_and_b32_e32 v37, v40, v37
	s_delay_alu instid0(VALU_DEP_1) | instskip(SKIP_1) | instid1(VALU_DEP_2)
	v_mbcnt_lo_u32_b32 v195, v37, 0
	v_cmp_ne_u32_e64 s17, 0, v37
	v_cmp_eq_u32_e32 vcc_lo, 0, v195
	s_delay_alu instid0(VALU_DEP_2) | instskip(NEXT) | instid1(SALU_CYCLE_1)
	s_and_b32 s18, s17, vcc_lo
	s_and_saveexec_b32 s17, s18
	s_cbranch_execz .LBB1776_755
; %bb.754:                              ;   in Loop: Header=BB1776_693 Depth=2
	s_waitcnt lgkmcnt(0)
	v_bcnt_u32_b32 v37, v37, v194
	ds_store_b32 v196, v37
.LBB1776_755:                           ;   in Loop: Header=BB1776_693 Depth=2
	s_or_b32 exec_lo, exec_lo, s17
	v_cmp_gt_i16_e32 vcc_lo, 0, v39
	; wave barrier
	v_cndmask_b32_e64 v37, 0x7fff, 0, vcc_lo
	s_delay_alu instid0(VALU_DEP_1) | instskip(NEXT) | instid1(VALU_DEP_1)
	v_xor_b32_e32 v193, v37, v39
	v_cmp_ne_u16_e64 vcc_lo, 0x8000, v193
	v_cndmask_b32_e32 v37, 0x7fff, v193, vcc_lo
	s_delay_alu instid0(VALU_DEP_1) | instskip(NEXT) | instid1(VALU_DEP_1)
	v_and_b32_e32 v37, 0xffff, v37
	v_lshrrev_b32_e32 v37, s49, v37
	s_delay_alu instid0(VALU_DEP_1) | instskip(NEXT) | instid1(VALU_DEP_1)
	v_and_b32_e32 v37, s55, v37
	v_and_b32_e32 v39, 1, v37
	v_lshlrev_b32_e32 v40, 30, v37
	v_lshlrev_b32_e32 v41, 29, v37
	;; [unrolled: 1-line block ×4, first 2 shown]
	v_add_co_u32 v39, s17, v39, -1
	s_delay_alu instid0(VALU_DEP_1)
	v_cndmask_b32_e64 v43, 0, 1, s17
	v_not_b32_e32 v200, v40
	v_cmp_gt_i32_e64 s17, 0, v40
	v_not_b32_e32 v40, v41
	v_lshlrev_b32_e32 v198, 26, v37
	v_cmp_ne_u32_e32 vcc_lo, 0, v43
	v_ashrrev_i32_e32 v200, 31, v200
	v_lshlrev_b32_e32 v199, 25, v37
	v_ashrrev_i32_e32 v40, 31, v40
	v_lshlrev_b32_e32 v43, 24, v37
	v_xor_b32_e32 v39, vcc_lo, v39
	v_cmp_gt_i32_e32 vcc_lo, 0, v41
	v_not_b32_e32 v41, v42
	v_xor_b32_e32 v200, s17, v200
	v_cmp_gt_i32_e64 s17, 0, v42
	v_and_b32_e32 v39, exec_lo, v39
	v_not_b32_e32 v42, v197
	v_ashrrev_i32_e32 v41, 31, v41
	v_xor_b32_e32 v40, vcc_lo, v40
	v_cmp_gt_i32_e32 vcc_lo, 0, v197
	v_and_b32_e32 v39, v39, v200
	v_not_b32_e32 v197, v198
	v_ashrrev_i32_e32 v42, 31, v42
	v_xor_b32_e32 v41, s17, v41
	v_cmp_gt_i32_e64 s17, 0, v198
	v_and_b32_e32 v39, v39, v40
	v_not_b32_e32 v40, v199
	v_ashrrev_i32_e32 v197, 31, v197
	v_xor_b32_e32 v42, vcc_lo, v42
	v_cmp_gt_i32_e32 vcc_lo, 0, v199
	v_and_b32_e32 v39, v39, v41
	v_not_b32_e32 v41, v43
	v_ashrrev_i32_e32 v40, 31, v40
	v_xor_b32_e32 v197, s17, v197
	v_mul_u32_u24_e32 v37, 9, v37
	v_and_b32_e32 v39, v39, v42
	v_cmp_gt_i32_e64 s17, 0, v43
	v_ashrrev_i32_e32 v41, 31, v41
	v_xor_b32_e32 v40, vcc_lo, v40
	v_add_lshl_u32 v42, v37, v126, 2
	v_and_b32_e32 v39, v39, v197
	s_delay_alu instid0(VALU_DEP_4) | instskip(SKIP_3) | instid1(VALU_DEP_2)
	v_xor_b32_e32 v37, s17, v41
	ds_load_b32 v198, v42 offset:1056
	v_and_b32_e32 v39, v39, v40
	v_add_nc_u32_e32 v200, 0x420, v42
	; wave barrier
	v_and_b32_e32 v37, v39, v37
	s_delay_alu instid0(VALU_DEP_1) | instskip(SKIP_1) | instid1(VALU_DEP_2)
	v_mbcnt_lo_u32_b32 v199, v37, 0
	v_cmp_ne_u32_e64 s17, 0, v37
	v_cmp_eq_u32_e32 vcc_lo, 0, v199
	s_delay_alu instid0(VALU_DEP_2) | instskip(NEXT) | instid1(SALU_CYCLE_1)
	s_and_b32 s18, s17, vcc_lo
	s_and_saveexec_b32 s17, s18
	s_cbranch_execz .LBB1776_757
; %bb.756:                              ;   in Loop: Header=BB1776_693 Depth=2
	s_waitcnt lgkmcnt(0)
	v_bcnt_u32_b32 v37, v37, v198
	ds_store_b32 v200, v37
.LBB1776_757:                           ;   in Loop: Header=BB1776_693 Depth=2
	s_or_b32 exec_lo, exec_lo, s17
	v_cmp_gt_i16_e32 vcc_lo, 0, v38
	; wave barrier
	v_cndmask_b32_e64 v37, 0x7fff, 0, vcc_lo
	s_delay_alu instid0(VALU_DEP_1) | instskip(NEXT) | instid1(VALU_DEP_1)
	v_xor_b32_e32 v197, v37, v38
	v_cmp_ne_u16_e64 vcc_lo, 0x8000, v197
	v_cndmask_b32_e32 v37, 0x7fff, v197, vcc_lo
	s_delay_alu instid0(VALU_DEP_1) | instskip(NEXT) | instid1(VALU_DEP_1)
	v_and_b32_e32 v37, 0xffff, v37
	v_lshrrev_b32_e32 v37, s49, v37
	s_delay_alu instid0(VALU_DEP_1) | instskip(NEXT) | instid1(VALU_DEP_1)
	v_and_b32_e32 v37, s55, v37
	v_and_b32_e32 v38, 1, v37
	v_lshlrev_b32_e32 v39, 30, v37
	v_lshlrev_b32_e32 v40, 29, v37
	;; [unrolled: 1-line block ×4, first 2 shown]
	v_add_co_u32 v38, s17, v38, -1
	s_delay_alu instid0(VALU_DEP_1)
	v_cndmask_b32_e64 v42, 0, 1, s17
	v_not_b32_e32 v203, v39
	v_cmp_gt_i32_e64 s17, 0, v39
	v_not_b32_e32 v39, v40
	v_lshlrev_b32_e32 v201, 26, v37
	v_cmp_ne_u32_e32 vcc_lo, 0, v42
	v_ashrrev_i32_e32 v203, 31, v203
	v_lshlrev_b32_e32 v202, 25, v37
	v_ashrrev_i32_e32 v39, 31, v39
	v_lshlrev_b32_e32 v42, 24, v37
	v_xor_b32_e32 v38, vcc_lo, v38
	v_cmp_gt_i32_e32 vcc_lo, 0, v40
	v_not_b32_e32 v40, v41
	v_xor_b32_e32 v203, s17, v203
	v_cmp_gt_i32_e64 s17, 0, v41
	v_and_b32_e32 v38, exec_lo, v38
	v_not_b32_e32 v41, v43
	v_ashrrev_i32_e32 v40, 31, v40
	v_xor_b32_e32 v39, vcc_lo, v39
	v_cmp_gt_i32_e32 vcc_lo, 0, v43
	v_and_b32_e32 v38, v38, v203
	v_not_b32_e32 v43, v201
	v_ashrrev_i32_e32 v41, 31, v41
	v_xor_b32_e32 v40, s17, v40
	v_cmp_gt_i32_e64 s17, 0, v201
	v_and_b32_e32 v38, v38, v39
	v_not_b32_e32 v39, v202
	v_ashrrev_i32_e32 v43, 31, v43
	v_xor_b32_e32 v41, vcc_lo, v41
	v_cmp_gt_i32_e32 vcc_lo, 0, v202
	v_and_b32_e32 v38, v38, v40
	v_not_b32_e32 v40, v42
	v_ashrrev_i32_e32 v39, 31, v39
	v_xor_b32_e32 v43, s17, v43
	v_mul_u32_u24_e32 v37, 9, v37
	v_and_b32_e32 v38, v38, v41
	v_cmp_gt_i32_e64 s17, 0, v42
	v_ashrrev_i32_e32 v40, 31, v40
	v_xor_b32_e32 v39, vcc_lo, v39
	v_add_lshl_u32 v41, v37, v126, 2
	v_and_b32_e32 v38, v38, v43
	s_delay_alu instid0(VALU_DEP_4) | instskip(SKIP_3) | instid1(VALU_DEP_2)
	v_xor_b32_e32 v37, s17, v40
	ds_load_b32 v202, v41 offset:1056
	v_and_b32_e32 v38, v38, v39
	v_add_nc_u32_e32 v204, 0x420, v41
	; wave barrier
	v_and_b32_e32 v37, v38, v37
	s_delay_alu instid0(VALU_DEP_1) | instskip(SKIP_1) | instid1(VALU_DEP_2)
	v_mbcnt_lo_u32_b32 v203, v37, 0
	v_cmp_ne_u32_e64 s17, 0, v37
	v_cmp_eq_u32_e32 vcc_lo, 0, v203
	s_delay_alu instid0(VALU_DEP_2) | instskip(NEXT) | instid1(SALU_CYCLE_1)
	s_and_b32 s18, s17, vcc_lo
	s_and_saveexec_b32 s17, s18
	s_cbranch_execz .LBB1776_759
; %bb.758:                              ;   in Loop: Header=BB1776_693 Depth=2
	s_waitcnt lgkmcnt(0)
	v_bcnt_u32_b32 v37, v37, v202
	ds_store_b32 v204, v37
.LBB1776_759:                           ;   in Loop: Header=BB1776_693 Depth=2
	s_or_b32 exec_lo, exec_lo, s17
	v_cmp_gt_i16_e32 vcc_lo, 0, v36
	; wave barrier
	v_cndmask_b32_e64 v37, 0x7fff, 0, vcc_lo
	s_delay_alu instid0(VALU_DEP_1) | instskip(NEXT) | instid1(VALU_DEP_1)
	v_xor_b32_e32 v201, v37, v36
	v_cmp_ne_u16_e64 vcc_lo, 0x8000, v201
	v_cndmask_b32_e32 v36, 0x7fff, v201, vcc_lo
	s_delay_alu instid0(VALU_DEP_1) | instskip(NEXT) | instid1(VALU_DEP_1)
	v_and_b32_e32 v36, 0xffff, v36
	v_lshrrev_b32_e32 v36, s49, v36
	s_delay_alu instid0(VALU_DEP_1) | instskip(NEXT) | instid1(VALU_DEP_1)
	v_and_b32_e32 v36, s55, v36
	v_and_b32_e32 v37, 1, v36
	v_lshlrev_b32_e32 v38, 30, v36
	v_lshlrev_b32_e32 v39, 29, v36
	;; [unrolled: 1-line block ×4, first 2 shown]
	v_add_co_u32 v37, s17, v37, -1
	s_delay_alu instid0(VALU_DEP_1)
	v_cndmask_b32_e64 v41, 0, 1, s17
	v_not_b32_e32 v206, v38
	v_cmp_gt_i32_e64 s17, 0, v38
	v_not_b32_e32 v38, v39
	v_lshlrev_b32_e32 v43, 26, v36
	v_cmp_ne_u32_e32 vcc_lo, 0, v41
	v_ashrrev_i32_e32 v206, 31, v206
	v_lshlrev_b32_e32 v205, 25, v36
	v_ashrrev_i32_e32 v38, 31, v38
	v_lshlrev_b32_e32 v41, 24, v36
	v_xor_b32_e32 v37, vcc_lo, v37
	v_cmp_gt_i32_e32 vcc_lo, 0, v39
	v_not_b32_e32 v39, v40
	v_xor_b32_e32 v206, s17, v206
	v_cmp_gt_i32_e64 s17, 0, v40
	v_and_b32_e32 v37, exec_lo, v37
	v_not_b32_e32 v40, v42
	v_ashrrev_i32_e32 v39, 31, v39
	v_xor_b32_e32 v38, vcc_lo, v38
	v_cmp_gt_i32_e32 vcc_lo, 0, v42
	v_and_b32_e32 v37, v37, v206
	v_not_b32_e32 v42, v43
	v_ashrrev_i32_e32 v40, 31, v40
	v_xor_b32_e32 v39, s17, v39
	v_cmp_gt_i32_e64 s17, 0, v43
	v_and_b32_e32 v37, v37, v38
	v_not_b32_e32 v38, v205
	v_ashrrev_i32_e32 v42, 31, v42
	v_xor_b32_e32 v40, vcc_lo, v40
	v_cmp_gt_i32_e32 vcc_lo, 0, v205
	v_and_b32_e32 v37, v37, v39
	v_not_b32_e32 v39, v41
	v_ashrrev_i32_e32 v38, 31, v38
	v_xor_b32_e32 v42, s17, v42
	v_mul_u32_u24_e32 v36, 9, v36
	v_and_b32_e32 v37, v37, v40
	v_cmp_gt_i32_e64 s17, 0, v41
	v_ashrrev_i32_e32 v39, 31, v39
	v_xor_b32_e32 v38, vcc_lo, v38
	v_add_lshl_u32 v40, v36, v126, 2
	v_and_b32_e32 v37, v37, v42
	s_delay_alu instid0(VALU_DEP_4) | instskip(SKIP_3) | instid1(VALU_DEP_2)
	v_xor_b32_e32 v36, s17, v39
	ds_load_b32 v205, v40 offset:1056
	v_and_b32_e32 v37, v37, v38
	v_add_nc_u32_e32 v207, 0x420, v40
	; wave barrier
	v_and_b32_e32 v36, v37, v36
	s_delay_alu instid0(VALU_DEP_1) | instskip(SKIP_1) | instid1(VALU_DEP_2)
	v_mbcnt_lo_u32_b32 v206, v36, 0
	v_cmp_ne_u32_e64 s17, 0, v36
	v_cmp_eq_u32_e32 vcc_lo, 0, v206
	s_delay_alu instid0(VALU_DEP_2) | instskip(NEXT) | instid1(SALU_CYCLE_1)
	s_and_b32 s18, s17, vcc_lo
	s_and_saveexec_b32 s17, s18
	s_cbranch_execz .LBB1776_761
; %bb.760:                              ;   in Loop: Header=BB1776_693 Depth=2
	s_waitcnt lgkmcnt(0)
	v_bcnt_u32_b32 v36, v36, v205
	ds_store_b32 v207, v36
.LBB1776_761:                           ;   in Loop: Header=BB1776_693 Depth=2
	s_or_b32 exec_lo, exec_lo, s17
	; wave barrier
	s_waitcnt lgkmcnt(0)
	s_barrier
	buffer_gl0_inv
	ds_load_b32 v208, v69 offset:1056
	ds_load_2addr_b32 v[42:43], v71 offset0:1 offset1:2
	ds_load_2addr_b32 v[40:41], v71 offset0:3 offset1:4
	;; [unrolled: 1-line block ×4, first 2 shown]
	s_waitcnt lgkmcnt(3)
	v_add3_u32 v209, v42, v208, v43
	s_waitcnt lgkmcnt(2)
	s_delay_alu instid0(VALU_DEP_1) | instskip(SKIP_1) | instid1(VALU_DEP_1)
	v_add3_u32 v209, v209, v40, v41
	s_waitcnt lgkmcnt(1)
	v_add3_u32 v209, v209, v36, v37
	s_waitcnt lgkmcnt(0)
	s_delay_alu instid0(VALU_DEP_1) | instskip(NEXT) | instid1(VALU_DEP_1)
	v_add3_u32 v39, v209, v38, v39
	v_mov_b32_dpp v209, v39 row_shr:1 row_mask:0xf bank_mask:0xf
	s_delay_alu instid0(VALU_DEP_1) | instskip(NEXT) | instid1(VALU_DEP_1)
	v_cndmask_b32_e64 v209, v209, 0, s0
	v_add_nc_u32_e32 v39, v209, v39
	s_delay_alu instid0(VALU_DEP_1) | instskip(NEXT) | instid1(VALU_DEP_1)
	v_mov_b32_dpp v209, v39 row_shr:2 row_mask:0xf bank_mask:0xf
	v_cndmask_b32_e64 v209, 0, v209, s1
	s_delay_alu instid0(VALU_DEP_1) | instskip(NEXT) | instid1(VALU_DEP_1)
	v_add_nc_u32_e32 v39, v39, v209
	v_mov_b32_dpp v209, v39 row_shr:4 row_mask:0xf bank_mask:0xf
	s_delay_alu instid0(VALU_DEP_1) | instskip(NEXT) | instid1(VALU_DEP_1)
	v_cndmask_b32_e64 v209, 0, v209, s8
	v_add_nc_u32_e32 v39, v39, v209
	s_delay_alu instid0(VALU_DEP_1) | instskip(NEXT) | instid1(VALU_DEP_1)
	v_mov_b32_dpp v209, v39 row_shr:8 row_mask:0xf bank_mask:0xf
	v_cndmask_b32_e64 v209, 0, v209, s9
	s_delay_alu instid0(VALU_DEP_1) | instskip(SKIP_3) | instid1(VALU_DEP_1)
	v_add_nc_u32_e32 v39, v39, v209
	ds_swizzle_b32 v209, v39 offset:swizzle(BROADCAST,32,15)
	s_waitcnt lgkmcnt(0)
	v_cndmask_b32_e64 v209, v209, 0, s10
	v_add_nc_u32_e32 v39, v39, v209
	s_and_saveexec_b32 s17, s3
	s_cbranch_execz .LBB1776_763
; %bb.762:                              ;   in Loop: Header=BB1776_693 Depth=2
	ds_store_b32 v62, v39 offset:1024
.LBB1776_763:                           ;   in Loop: Header=BB1776_693 Depth=2
	s_or_b32 exec_lo, exec_lo, s17
	s_waitcnt lgkmcnt(0)
	s_barrier
	buffer_gl0_inv
	s_and_saveexec_b32 s17, s4
	s_cbranch_execz .LBB1776_765
; %bb.764:                              ;   in Loop: Header=BB1776_693 Depth=2
	ds_load_b32 v209, v72 offset:1024
	s_waitcnt lgkmcnt(0)
	v_mov_b32_dpp v210, v209 row_shr:1 row_mask:0xf bank_mask:0xf
	s_delay_alu instid0(VALU_DEP_1) | instskip(NEXT) | instid1(VALU_DEP_1)
	v_cndmask_b32_e64 v210, v210, 0, s12
	v_add_nc_u32_e32 v209, v210, v209
	s_delay_alu instid0(VALU_DEP_1) | instskip(NEXT) | instid1(VALU_DEP_1)
	v_mov_b32_dpp v210, v209 row_shr:2 row_mask:0xf bank_mask:0xf
	v_cndmask_b32_e64 v210, 0, v210, s13
	s_delay_alu instid0(VALU_DEP_1) | instskip(NEXT) | instid1(VALU_DEP_1)
	v_add_nc_u32_e32 v209, v209, v210
	v_mov_b32_dpp v210, v209 row_shr:4 row_mask:0xf bank_mask:0xf
	s_delay_alu instid0(VALU_DEP_1) | instskip(NEXT) | instid1(VALU_DEP_1)
	v_cndmask_b32_e64 v210, 0, v210, s16
	v_add_nc_u32_e32 v209, v209, v210
	ds_store_b32 v72, v209 offset:1024
.LBB1776_765:                           ;   in Loop: Header=BB1776_693 Depth=2
	s_or_b32 exec_lo, exec_lo, s17
	v_mov_b32_e32 v209, 0
	s_waitcnt lgkmcnt(0)
	s_barrier
	buffer_gl0_inv
	s_and_saveexec_b32 s17, s5
	s_cbranch_execz .LBB1776_767
; %bb.766:                              ;   in Loop: Header=BB1776_693 Depth=2
	ds_load_b32 v209, v62 offset:1020
.LBB1776_767:                           ;   in Loop: Header=BB1776_693 Depth=2
	s_or_b32 exec_lo, exec_lo, s17
	s_waitcnt lgkmcnt(0)
	v_add_nc_u32_e32 v39, v209, v39
	ds_bpermute_b32 v39, v105, v39
	s_waitcnt lgkmcnt(0)
	v_cndmask_b32_e64 v39, v39, v209, s11
	s_delay_alu instid0(VALU_DEP_1) | instskip(NEXT) | instid1(VALU_DEP_1)
	v_cndmask_b32_e64 v39, v39, 0, s6
	v_add_nc_u32_e32 v208, v39, v208
	s_delay_alu instid0(VALU_DEP_1) | instskip(NEXT) | instid1(VALU_DEP_1)
	v_add_nc_u32_e32 v42, v208, v42
	v_add_nc_u32_e32 v43, v42, v43
	s_delay_alu instid0(VALU_DEP_1) | instskip(NEXT) | instid1(VALU_DEP_1)
	v_add_nc_u32_e32 v40, v43, v40
	;; [unrolled: 3-line block ×3, first 2 shown]
	v_add_nc_u32_e32 v37, v36, v37
	s_delay_alu instid0(VALU_DEP_1)
	v_add_nc_u32_e32 v38, v37, v38
	ds_store_b32 v69, v39 offset:1056
	ds_store_2addr_b32 v71, v208, v42 offset0:1 offset1:2
	ds_store_2addr_b32 v71, v43, v40 offset0:3 offset1:4
	;; [unrolled: 1-line block ×4, first 2 shown]
	v_mov_b32_e32 v38, 0x1000
	s_waitcnt lgkmcnt(0)
	s_barrier
	buffer_gl0_inv
	ds_load_b32 v39, v152
	ds_load_b32 v40, v156
	;; [unrolled: 1-line block ×16, first 2 shown]
	ds_load_b32 v156, v69 offset:1056
	s_and_saveexec_b32 s17, s7
	s_cbranch_execz .LBB1776_769
; %bb.768:                              ;   in Loop: Header=BB1776_693 Depth=2
	ds_load_b32 v38, v73 offset:1056
.LBB1776_769:                           ;   in Loop: Header=BB1776_693 Depth=2
	s_or_b32 exec_lo, exec_lo, s17
	s_waitcnt lgkmcnt(0)
	s_barrier
	buffer_gl0_inv
	s_and_saveexec_b32 s17, s2
	s_cbranch_execz .LBB1776_771
; %bb.770:                              ;   in Loop: Header=BB1776_693 Depth=2
	ds_load_b32 v160, v44
	s_waitcnt lgkmcnt(0)
	v_sub_nc_u32_e32 v156, v160, v156
	ds_store_b32 v44, v156
.LBB1776_771:                           ;   in Loop: Header=BB1776_693 Depth=2
	s_or_b32 exec_lo, exec_lo, s17
	v_add_nc_u32_e32 v168, v148, v147
	v_add3_u32 v164, v151, v150, v39
	v_add3_u32 v160, v155, v154, v40
	;; [unrolled: 1-line block ×5, first 2 shown]
	v_lshlrev_b32_e32 v158, 1, v168
	v_add3_u32 v43, v199, v198, v36
	v_lshlrev_b32_e32 v36, 1, v164
	v_add3_u32 v152, v172, v171, v173
	v_add3_u32 v151, v175, v174, v176
	ds_store_b16 v158, v2 offset:1024
	v_lshlrev_b32_e32 v2, 1, v160
	ds_store_b16 v36, v146 offset:1024
	v_lshlrev_b32_e32 v36, 1, v154
	v_add3_u32 v150, v179, v178, v180
	v_add3_u32 v42, v203, v202, v37
	v_lshlrev_b32_e32 v37, 1, v156
	v_add3_u32 v148, v183, v182, v184
	v_lshlrev_b32_e32 v158, 1, v155
	v_add3_u32 v147, v187, v186, v188
	v_add3_u32 v40, v191, v190, v192
	ds_store_b16 v2, v149 offset:1024
	ds_store_b16 v37, v153 offset:1024
	;; [unrolled: 1-line block ×3, first 2 shown]
	v_lshlrev_b32_e32 v2, 1, v152
	ds_store_b16 v36, v161 offset:1024
	v_lshlrev_b32_e32 v36, 1, v151
	v_lshlrev_b32_e32 v37, 1, v150
	;; [unrolled: 1-line block ×3, first 2 shown]
	v_add3_u32 v39, v195, v194, v196
	v_add3_u32 v41, v206, v205, v41
	ds_store_b16 v2, v165 offset:1024
	v_lshlrev_b32_e32 v2, 1, v147
	ds_store_b16 v36, v170 offset:1024
	ds_store_b16 v37, v169 offset:1024
	ds_store_b16 v146, v177 offset:1024
	v_lshlrev_b32_e32 v36, 1, v40
	v_cmp_lt_u32_e32 vcc_lo, v1, v145
	v_lshlrev_b32_e32 v37, 1, v43
	ds_store_b16 v2, v181 offset:1024
	v_lshlrev_b32_e32 v2, 1, v39
	ds_store_b16 v36, v185 offset:1024
	v_lshlrev_b32_e32 v36, 1, v41
	v_lshlrev_b32_e32 v146, 1, v42
	ds_store_b16 v2, v189 offset:1024
	ds_store_b16 v37, v193 offset:1024
	;; [unrolled: 1-line block ×4, first 2 shown]
	s_waitcnt lgkmcnt(0)
	s_barrier
	buffer_gl0_inv
	s_and_saveexec_b32 s18, vcc_lo
	s_cbranch_execz .LBB1776_787
; %bb.772:                              ;   in Loop: Header=BB1776_693 Depth=2
	v_add_nc_u32_e32 v2, v72, v78
	ds_load_u16 v146, v2 offset:1024
	s_waitcnt lgkmcnt(0)
	v_cmp_ne_u16_e64 s17, 0x8000, v146
	s_delay_alu instid0(VALU_DEP_1) | instskip(SKIP_1) | instid1(VALU_DEP_2)
	v_cndmask_b32_e64 v2, 0x7fff, v146, s17
	v_cmp_gt_i16_e64 s17, 0, v146
	v_and_b32_e32 v2, 0xffff, v2
	s_delay_alu instid0(VALU_DEP_2) | instskip(NEXT) | instid1(VALU_DEP_2)
	v_cndmask_b32_e64 v149, 0x7fff, 0, s17
	v_lshrrev_b32_e32 v2, s49, v2
	s_delay_alu instid0(VALU_DEP_1) | instskip(NEXT) | instid1(VALU_DEP_1)
	v_and_b32_e32 v2, s55, v2
	v_lshlrev_b32_e32 v2, 2, v2
	ds_load_b32 v2, v2
	s_waitcnt lgkmcnt(0)
	v_add_nc_u32_e32 v2, v2, v1
	s_delay_alu instid0(VALU_DEP_1) | instskip(SKIP_1) | instid1(VALU_DEP_2)
	v_lshlrev_b64 v[36:37], 1, v[2:3]
	v_xor_b32_e32 v2, v149, v146
	v_add_co_u32 v36, s17, s38, v36
	s_delay_alu instid0(VALU_DEP_1) | instskip(SKIP_3) | instid1(VALU_DEP_1)
	v_add_co_ci_u32_e64 v37, s17, s39, v37, s17
	global_store_b16 v[36:37], v2, off
	s_or_b32 exec_lo, exec_lo, s18
	v_cmp_lt_u32_e64 s17, v45, v145
	s_and_saveexec_b32 s19, s17
	s_cbranch_execnz .LBB1776_788
.LBB1776_773:                           ;   in Loop: Header=BB1776_693 Depth=2
	s_or_b32 exec_lo, exec_lo, s19
	v_cmp_lt_u32_e64 s18, v46, v145
	s_delay_alu instid0(VALU_DEP_1)
	s_and_saveexec_b32 s20, s18
	s_cbranch_execz .LBB1776_789
.LBB1776_774:                           ;   in Loop: Header=BB1776_693 Depth=2
	ds_load_u16 v146, v79 offset:1024
	s_waitcnt lgkmcnt(0)
	v_cmp_ne_u16_e64 s19, 0x8000, v146
	s_delay_alu instid0(VALU_DEP_1) | instskip(SKIP_1) | instid1(VALU_DEP_2)
	v_cndmask_b32_e64 v2, 0x7fff, v146, s19
	v_cmp_gt_i16_e64 s19, 0, v146
	v_and_b32_e32 v2, 0xffff, v2
	s_delay_alu instid0(VALU_DEP_2) | instskip(NEXT) | instid1(VALU_DEP_2)
	v_cndmask_b32_e64 v149, 0x7fff, 0, s19
	v_lshrrev_b32_e32 v2, s49, v2
	s_delay_alu instid0(VALU_DEP_1) | instskip(NEXT) | instid1(VALU_DEP_1)
	v_and_b32_e32 v2, s55, v2
	v_lshlrev_b32_e32 v2, 2, v2
	ds_load_b32 v2, v2
	s_waitcnt lgkmcnt(0)
	v_add_nc_u32_e32 v2, v2, v46
	s_delay_alu instid0(VALU_DEP_1) | instskip(SKIP_1) | instid1(VALU_DEP_2)
	v_lshlrev_b64 v[36:37], 1, v[2:3]
	v_xor_b32_e32 v2, v149, v146
	v_add_co_u32 v36, s19, s38, v36
	s_delay_alu instid0(VALU_DEP_1) | instskip(SKIP_3) | instid1(VALU_DEP_1)
	v_add_co_ci_u32_e64 v37, s19, s39, v37, s19
	global_store_b16 v[36:37], v2, off
	s_or_b32 exec_lo, exec_lo, s20
	v_cmp_lt_u32_e64 s19, v47, v145
	s_and_saveexec_b32 s21, s19
	s_cbranch_execnz .LBB1776_790
.LBB1776_775:                           ;   in Loop: Header=BB1776_693 Depth=2
	s_or_b32 exec_lo, exec_lo, s21
	v_cmp_lt_u32_e64 s20, v51, v145
	s_delay_alu instid0(VALU_DEP_1)
	s_and_saveexec_b32 s22, s20
	s_cbranch_execz .LBB1776_791
.LBB1776_776:                           ;   in Loop: Header=BB1776_693 Depth=2
	ds_load_u16 v146, v79 offset:2048
	s_waitcnt lgkmcnt(0)
	v_cmp_ne_u16_e64 s21, 0x8000, v146
	s_delay_alu instid0(VALU_DEP_1) | instskip(SKIP_1) | instid1(VALU_DEP_2)
	v_cndmask_b32_e64 v2, 0x7fff, v146, s21
	v_cmp_gt_i16_e64 s21, 0, v146
	v_and_b32_e32 v2, 0xffff, v2
	s_delay_alu instid0(VALU_DEP_2) | instskip(NEXT) | instid1(VALU_DEP_2)
	v_cndmask_b32_e64 v149, 0x7fff, 0, s21
	v_lshrrev_b32_e32 v2, s49, v2
	s_delay_alu instid0(VALU_DEP_1) | instskip(NEXT) | instid1(VALU_DEP_1)
	v_and_b32_e32 v2, s55, v2
	v_lshlrev_b32_e32 v2, 2, v2
	ds_load_b32 v2, v2
	s_waitcnt lgkmcnt(0)
	v_add_nc_u32_e32 v2, v2, v51
	s_delay_alu instid0(VALU_DEP_1) | instskip(SKIP_1) | instid1(VALU_DEP_2)
	v_lshlrev_b64 v[36:37], 1, v[2:3]
	v_xor_b32_e32 v2, v149, v146
	v_add_co_u32 v36, s21, s38, v36
	s_delay_alu instid0(VALU_DEP_1) | instskip(SKIP_3) | instid1(VALU_DEP_1)
	v_add_co_ci_u32_e64 v37, s21, s39, v37, s21
	global_store_b16 v[36:37], v2, off
	s_or_b32 exec_lo, exec_lo, s22
	v_cmp_lt_u32_e64 s21, v52, v145
	s_and_saveexec_b32 s23, s21
	s_cbranch_execnz .LBB1776_792
.LBB1776_777:                           ;   in Loop: Header=BB1776_693 Depth=2
	s_or_b32 exec_lo, exec_lo, s23
	v_cmp_lt_u32_e64 s22, v53, v145
	s_delay_alu instid0(VALU_DEP_1)
	s_and_saveexec_b32 s24, s22
	s_cbranch_execz .LBB1776_793
.LBB1776_778:                           ;   in Loop: Header=BB1776_693 Depth=2
	ds_load_u16 v146, v79 offset:3072
	s_waitcnt lgkmcnt(0)
	v_cmp_ne_u16_e64 s23, 0x8000, v146
	s_delay_alu instid0(VALU_DEP_1) | instskip(SKIP_1) | instid1(VALU_DEP_2)
	v_cndmask_b32_e64 v2, 0x7fff, v146, s23
	v_cmp_gt_i16_e64 s23, 0, v146
	v_and_b32_e32 v2, 0xffff, v2
	s_delay_alu instid0(VALU_DEP_2) | instskip(NEXT) | instid1(VALU_DEP_2)
	v_cndmask_b32_e64 v149, 0x7fff, 0, s23
	v_lshrrev_b32_e32 v2, s49, v2
	s_delay_alu instid0(VALU_DEP_1) | instskip(NEXT) | instid1(VALU_DEP_1)
	v_and_b32_e32 v2, s55, v2
	v_lshlrev_b32_e32 v2, 2, v2
	ds_load_b32 v2, v2
	s_waitcnt lgkmcnt(0)
	v_add_nc_u32_e32 v2, v2, v53
	s_delay_alu instid0(VALU_DEP_1) | instskip(SKIP_1) | instid1(VALU_DEP_2)
	v_lshlrev_b64 v[36:37], 1, v[2:3]
	v_xor_b32_e32 v2, v149, v146
	v_add_co_u32 v36, s23, s38, v36
	s_delay_alu instid0(VALU_DEP_1) | instskip(SKIP_3) | instid1(VALU_DEP_1)
	v_add_co_ci_u32_e64 v37, s23, s39, v37, s23
	global_store_b16 v[36:37], v2, off
	s_or_b32 exec_lo, exec_lo, s24
	v_cmp_lt_u32_e64 s23, v54, v145
	s_and_saveexec_b32 s25, s23
	s_cbranch_execnz .LBB1776_794
.LBB1776_779:                           ;   in Loop: Header=BB1776_693 Depth=2
	s_or_b32 exec_lo, exec_lo, s25
	v_cmp_lt_u32_e64 s24, v55, v145
	s_delay_alu instid0(VALU_DEP_1)
	s_and_saveexec_b32 s26, s24
	s_cbranch_execz .LBB1776_795
.LBB1776_780:                           ;   in Loop: Header=BB1776_693 Depth=2
	ds_load_u16 v146, v79 offset:4096
	s_waitcnt lgkmcnt(0)
	v_cmp_ne_u16_e64 s25, 0x8000, v146
	s_delay_alu instid0(VALU_DEP_1) | instskip(SKIP_1) | instid1(VALU_DEP_2)
	v_cndmask_b32_e64 v2, 0x7fff, v146, s25
	v_cmp_gt_i16_e64 s25, 0, v146
	v_and_b32_e32 v2, 0xffff, v2
	s_delay_alu instid0(VALU_DEP_2) | instskip(NEXT) | instid1(VALU_DEP_2)
	v_cndmask_b32_e64 v149, 0x7fff, 0, s25
	v_lshrrev_b32_e32 v2, s49, v2
	s_delay_alu instid0(VALU_DEP_1) | instskip(NEXT) | instid1(VALU_DEP_1)
	v_and_b32_e32 v2, s55, v2
	v_lshlrev_b32_e32 v2, 2, v2
	ds_load_b32 v2, v2
	s_waitcnt lgkmcnt(0)
	v_add_nc_u32_e32 v2, v2, v55
	s_delay_alu instid0(VALU_DEP_1) | instskip(SKIP_1) | instid1(VALU_DEP_2)
	v_lshlrev_b64 v[36:37], 1, v[2:3]
	v_xor_b32_e32 v2, v149, v146
	v_add_co_u32 v36, s25, s38, v36
	s_delay_alu instid0(VALU_DEP_1) | instskip(SKIP_3) | instid1(VALU_DEP_1)
	v_add_co_ci_u32_e64 v37, s25, s39, v37, s25
	global_store_b16 v[36:37], v2, off
	s_or_b32 exec_lo, exec_lo, s26
	v_cmp_lt_u32_e64 s25, v56, v145
	s_and_saveexec_b32 s27, s25
	s_cbranch_execnz .LBB1776_796
.LBB1776_781:                           ;   in Loop: Header=BB1776_693 Depth=2
	s_or_b32 exec_lo, exec_lo, s27
	v_cmp_lt_u32_e64 s26, v57, v145
	s_delay_alu instid0(VALU_DEP_1)
	s_and_saveexec_b32 s28, s26
	s_cbranch_execz .LBB1776_797
.LBB1776_782:                           ;   in Loop: Header=BB1776_693 Depth=2
	ds_load_u16 v146, v79 offset:5120
	s_waitcnt lgkmcnt(0)
	v_cmp_ne_u16_e64 s27, 0x8000, v146
	s_delay_alu instid0(VALU_DEP_1) | instskip(SKIP_1) | instid1(VALU_DEP_2)
	v_cndmask_b32_e64 v2, 0x7fff, v146, s27
	v_cmp_gt_i16_e64 s27, 0, v146
	v_and_b32_e32 v2, 0xffff, v2
	s_delay_alu instid0(VALU_DEP_2) | instskip(NEXT) | instid1(VALU_DEP_2)
	v_cndmask_b32_e64 v149, 0x7fff, 0, s27
	v_lshrrev_b32_e32 v2, s49, v2
	s_delay_alu instid0(VALU_DEP_1) | instskip(NEXT) | instid1(VALU_DEP_1)
	v_and_b32_e32 v2, s55, v2
	v_lshlrev_b32_e32 v2, 2, v2
	ds_load_b32 v2, v2
	s_waitcnt lgkmcnt(0)
	v_add_nc_u32_e32 v2, v2, v57
	s_delay_alu instid0(VALU_DEP_1) | instskip(SKIP_1) | instid1(VALU_DEP_2)
	v_lshlrev_b64 v[36:37], 1, v[2:3]
	v_xor_b32_e32 v2, v149, v146
	v_add_co_u32 v36, s27, s38, v36
	s_delay_alu instid0(VALU_DEP_1) | instskip(SKIP_3) | instid1(VALU_DEP_1)
	v_add_co_ci_u32_e64 v37, s27, s39, v37, s27
	global_store_b16 v[36:37], v2, off
	s_or_b32 exec_lo, exec_lo, s28
	v_cmp_lt_u32_e64 s27, v58, v145
	s_and_saveexec_b32 s29, s27
	s_cbranch_execnz .LBB1776_798
.LBB1776_783:                           ;   in Loop: Header=BB1776_693 Depth=2
	s_or_b32 exec_lo, exec_lo, s29
	v_cmp_lt_u32_e64 s28, v59, v145
	s_delay_alu instid0(VALU_DEP_1)
	s_and_saveexec_b32 s30, s28
	s_cbranch_execz .LBB1776_799
.LBB1776_784:                           ;   in Loop: Header=BB1776_693 Depth=2
	ds_load_u16 v146, v79 offset:6144
	s_waitcnt lgkmcnt(0)
	v_cmp_ne_u16_e64 s29, 0x8000, v146
	s_delay_alu instid0(VALU_DEP_1) | instskip(SKIP_1) | instid1(VALU_DEP_2)
	v_cndmask_b32_e64 v2, 0x7fff, v146, s29
	v_cmp_gt_i16_e64 s29, 0, v146
	v_and_b32_e32 v2, 0xffff, v2
	s_delay_alu instid0(VALU_DEP_2) | instskip(NEXT) | instid1(VALU_DEP_2)
	v_cndmask_b32_e64 v149, 0x7fff, 0, s29
	v_lshrrev_b32_e32 v2, s49, v2
	s_delay_alu instid0(VALU_DEP_1) | instskip(NEXT) | instid1(VALU_DEP_1)
	v_and_b32_e32 v2, s55, v2
	v_lshlrev_b32_e32 v2, 2, v2
	ds_load_b32 v2, v2
	s_waitcnt lgkmcnt(0)
	v_add_nc_u32_e32 v2, v2, v59
	s_delay_alu instid0(VALU_DEP_1) | instskip(SKIP_1) | instid1(VALU_DEP_2)
	v_lshlrev_b64 v[36:37], 1, v[2:3]
	v_xor_b32_e32 v2, v149, v146
	v_add_co_u32 v36, s29, s38, v36
	s_delay_alu instid0(VALU_DEP_1) | instskip(SKIP_3) | instid1(VALU_DEP_1)
	v_add_co_ci_u32_e64 v37, s29, s39, v37, s29
	global_store_b16 v[36:37], v2, off
	s_or_b32 exec_lo, exec_lo, s30
	v_cmp_lt_u32_e64 s29, v60, v145
	s_and_saveexec_b32 s31, s29
	s_cbranch_execnz .LBB1776_800
.LBB1776_785:                           ;   in Loop: Header=BB1776_693 Depth=2
	s_or_b32 exec_lo, exec_lo, s31
	v_cmp_lt_u32_e64 s30, v61, v145
	s_delay_alu instid0(VALU_DEP_1)
	s_and_saveexec_b32 s33, s30
	s_cbranch_execz .LBB1776_801
.LBB1776_786:                           ;   in Loop: Header=BB1776_693 Depth=2
	ds_load_u16 v146, v79 offset:7168
	s_waitcnt lgkmcnt(0)
	v_cmp_ne_u16_e64 s31, 0x8000, v146
	s_delay_alu instid0(VALU_DEP_1) | instskip(SKIP_1) | instid1(VALU_DEP_2)
	v_cndmask_b32_e64 v2, 0x7fff, v146, s31
	v_cmp_gt_i16_e64 s31, 0, v146
	v_and_b32_e32 v2, 0xffff, v2
	s_delay_alu instid0(VALU_DEP_2) | instskip(NEXT) | instid1(VALU_DEP_2)
	v_cndmask_b32_e64 v149, 0x7fff, 0, s31
	v_lshrrev_b32_e32 v2, s49, v2
	s_delay_alu instid0(VALU_DEP_1) | instskip(NEXT) | instid1(VALU_DEP_1)
	v_and_b32_e32 v2, s55, v2
	v_lshlrev_b32_e32 v2, 2, v2
	ds_load_b32 v2, v2
	s_waitcnt lgkmcnt(0)
	v_add_nc_u32_e32 v2, v2, v61
	s_delay_alu instid0(VALU_DEP_1) | instskip(SKIP_1) | instid1(VALU_DEP_2)
	v_lshlrev_b64 v[36:37], 1, v[2:3]
	v_xor_b32_e32 v2, v149, v146
	v_add_co_u32 v36, s31, s38, v36
	s_delay_alu instid0(VALU_DEP_1) | instskip(SKIP_3) | instid1(VALU_DEP_1)
	v_add_co_ci_u32_e64 v37, s31, s39, v37, s31
	global_store_b16 v[36:37], v2, off
	s_or_b32 exec_lo, exec_lo, s33
	v_cmp_lt_u32_e64 s31, v63, v145
	s_and_saveexec_b32 s58, s31
	s_cbranch_execnz .LBB1776_802
	s_branch .LBB1776_803
.LBB1776_787:                           ;   in Loop: Header=BB1776_693 Depth=2
	s_or_b32 exec_lo, exec_lo, s18
	v_cmp_lt_u32_e64 s17, v45, v145
	s_delay_alu instid0(VALU_DEP_1)
	s_and_saveexec_b32 s19, s17
	s_cbranch_execz .LBB1776_773
.LBB1776_788:                           ;   in Loop: Header=BB1776_693 Depth=2
	ds_load_u16 v146, v79 offset:512
	s_waitcnt lgkmcnt(0)
	v_cmp_ne_u16_e64 s18, 0x8000, v146
	s_delay_alu instid0(VALU_DEP_1) | instskip(SKIP_1) | instid1(VALU_DEP_2)
	v_cndmask_b32_e64 v2, 0x7fff, v146, s18
	v_cmp_gt_i16_e64 s18, 0, v146
	v_and_b32_e32 v2, 0xffff, v2
	s_delay_alu instid0(VALU_DEP_2) | instskip(NEXT) | instid1(VALU_DEP_2)
	v_cndmask_b32_e64 v149, 0x7fff, 0, s18
	v_lshrrev_b32_e32 v2, s49, v2
	s_delay_alu instid0(VALU_DEP_1) | instskip(NEXT) | instid1(VALU_DEP_1)
	v_and_b32_e32 v2, s55, v2
	v_lshlrev_b32_e32 v2, 2, v2
	ds_load_b32 v2, v2
	s_waitcnt lgkmcnt(0)
	v_add_nc_u32_e32 v2, v2, v45
	s_delay_alu instid0(VALU_DEP_1) | instskip(SKIP_1) | instid1(VALU_DEP_2)
	v_lshlrev_b64 v[36:37], 1, v[2:3]
	v_xor_b32_e32 v2, v149, v146
	v_add_co_u32 v36, s18, s38, v36
	s_delay_alu instid0(VALU_DEP_1) | instskip(SKIP_3) | instid1(VALU_DEP_1)
	v_add_co_ci_u32_e64 v37, s18, s39, v37, s18
	global_store_b16 v[36:37], v2, off
	s_or_b32 exec_lo, exec_lo, s19
	v_cmp_lt_u32_e64 s18, v46, v145
	s_and_saveexec_b32 s20, s18
	s_cbranch_execnz .LBB1776_774
.LBB1776_789:                           ;   in Loop: Header=BB1776_693 Depth=2
	s_or_b32 exec_lo, exec_lo, s20
	v_cmp_lt_u32_e64 s19, v47, v145
	s_delay_alu instid0(VALU_DEP_1)
	s_and_saveexec_b32 s21, s19
	s_cbranch_execz .LBB1776_775
.LBB1776_790:                           ;   in Loop: Header=BB1776_693 Depth=2
	ds_load_u16 v146, v79 offset:1536
	s_waitcnt lgkmcnt(0)
	v_cmp_ne_u16_e64 s20, 0x8000, v146
	s_delay_alu instid0(VALU_DEP_1) | instskip(SKIP_1) | instid1(VALU_DEP_2)
	v_cndmask_b32_e64 v2, 0x7fff, v146, s20
	v_cmp_gt_i16_e64 s20, 0, v146
	v_and_b32_e32 v2, 0xffff, v2
	s_delay_alu instid0(VALU_DEP_2) | instskip(NEXT) | instid1(VALU_DEP_2)
	v_cndmask_b32_e64 v149, 0x7fff, 0, s20
	v_lshrrev_b32_e32 v2, s49, v2
	s_delay_alu instid0(VALU_DEP_1) | instskip(NEXT) | instid1(VALU_DEP_1)
	v_and_b32_e32 v2, s55, v2
	v_lshlrev_b32_e32 v2, 2, v2
	ds_load_b32 v2, v2
	s_waitcnt lgkmcnt(0)
	v_add_nc_u32_e32 v2, v2, v47
	s_delay_alu instid0(VALU_DEP_1) | instskip(SKIP_1) | instid1(VALU_DEP_2)
	v_lshlrev_b64 v[36:37], 1, v[2:3]
	v_xor_b32_e32 v2, v149, v146
	v_add_co_u32 v36, s20, s38, v36
	s_delay_alu instid0(VALU_DEP_1) | instskip(SKIP_3) | instid1(VALU_DEP_1)
	v_add_co_ci_u32_e64 v37, s20, s39, v37, s20
	global_store_b16 v[36:37], v2, off
	s_or_b32 exec_lo, exec_lo, s21
	v_cmp_lt_u32_e64 s20, v51, v145
	s_and_saveexec_b32 s22, s20
	s_cbranch_execnz .LBB1776_776
.LBB1776_791:                           ;   in Loop: Header=BB1776_693 Depth=2
	s_or_b32 exec_lo, exec_lo, s22
	v_cmp_lt_u32_e64 s21, v52, v145
	s_delay_alu instid0(VALU_DEP_1)
	s_and_saveexec_b32 s23, s21
	s_cbranch_execz .LBB1776_777
.LBB1776_792:                           ;   in Loop: Header=BB1776_693 Depth=2
	ds_load_u16 v146, v79 offset:2560
	s_waitcnt lgkmcnt(0)
	v_cmp_ne_u16_e64 s22, 0x8000, v146
	s_delay_alu instid0(VALU_DEP_1) | instskip(SKIP_1) | instid1(VALU_DEP_2)
	v_cndmask_b32_e64 v2, 0x7fff, v146, s22
	v_cmp_gt_i16_e64 s22, 0, v146
	v_and_b32_e32 v2, 0xffff, v2
	s_delay_alu instid0(VALU_DEP_2) | instskip(NEXT) | instid1(VALU_DEP_2)
	v_cndmask_b32_e64 v149, 0x7fff, 0, s22
	v_lshrrev_b32_e32 v2, s49, v2
	s_delay_alu instid0(VALU_DEP_1) | instskip(NEXT) | instid1(VALU_DEP_1)
	v_and_b32_e32 v2, s55, v2
	v_lshlrev_b32_e32 v2, 2, v2
	ds_load_b32 v2, v2
	s_waitcnt lgkmcnt(0)
	v_add_nc_u32_e32 v2, v2, v52
	s_delay_alu instid0(VALU_DEP_1) | instskip(SKIP_1) | instid1(VALU_DEP_2)
	v_lshlrev_b64 v[36:37], 1, v[2:3]
	v_xor_b32_e32 v2, v149, v146
	v_add_co_u32 v36, s22, s38, v36
	s_delay_alu instid0(VALU_DEP_1) | instskip(SKIP_3) | instid1(VALU_DEP_1)
	v_add_co_ci_u32_e64 v37, s22, s39, v37, s22
	global_store_b16 v[36:37], v2, off
	s_or_b32 exec_lo, exec_lo, s23
	v_cmp_lt_u32_e64 s22, v53, v145
	s_and_saveexec_b32 s24, s22
	s_cbranch_execnz .LBB1776_778
.LBB1776_793:                           ;   in Loop: Header=BB1776_693 Depth=2
	s_or_b32 exec_lo, exec_lo, s24
	v_cmp_lt_u32_e64 s23, v54, v145
	s_delay_alu instid0(VALU_DEP_1)
	s_and_saveexec_b32 s25, s23
	s_cbranch_execz .LBB1776_779
.LBB1776_794:                           ;   in Loop: Header=BB1776_693 Depth=2
	ds_load_u16 v146, v79 offset:3584
	s_waitcnt lgkmcnt(0)
	v_cmp_ne_u16_e64 s24, 0x8000, v146
	s_delay_alu instid0(VALU_DEP_1) | instskip(SKIP_1) | instid1(VALU_DEP_2)
	v_cndmask_b32_e64 v2, 0x7fff, v146, s24
	v_cmp_gt_i16_e64 s24, 0, v146
	v_and_b32_e32 v2, 0xffff, v2
	s_delay_alu instid0(VALU_DEP_2) | instskip(NEXT) | instid1(VALU_DEP_2)
	v_cndmask_b32_e64 v149, 0x7fff, 0, s24
	v_lshrrev_b32_e32 v2, s49, v2
	s_delay_alu instid0(VALU_DEP_1) | instskip(NEXT) | instid1(VALU_DEP_1)
	v_and_b32_e32 v2, s55, v2
	v_lshlrev_b32_e32 v2, 2, v2
	ds_load_b32 v2, v2
	s_waitcnt lgkmcnt(0)
	v_add_nc_u32_e32 v2, v2, v54
	s_delay_alu instid0(VALU_DEP_1) | instskip(SKIP_1) | instid1(VALU_DEP_2)
	v_lshlrev_b64 v[36:37], 1, v[2:3]
	v_xor_b32_e32 v2, v149, v146
	v_add_co_u32 v36, s24, s38, v36
	s_delay_alu instid0(VALU_DEP_1) | instskip(SKIP_3) | instid1(VALU_DEP_1)
	v_add_co_ci_u32_e64 v37, s24, s39, v37, s24
	global_store_b16 v[36:37], v2, off
	s_or_b32 exec_lo, exec_lo, s25
	v_cmp_lt_u32_e64 s24, v55, v145
	s_and_saveexec_b32 s26, s24
	s_cbranch_execnz .LBB1776_780
.LBB1776_795:                           ;   in Loop: Header=BB1776_693 Depth=2
	s_or_b32 exec_lo, exec_lo, s26
	v_cmp_lt_u32_e64 s25, v56, v145
	s_delay_alu instid0(VALU_DEP_1)
	s_and_saveexec_b32 s27, s25
	s_cbranch_execz .LBB1776_781
.LBB1776_796:                           ;   in Loop: Header=BB1776_693 Depth=2
	ds_load_u16 v146, v79 offset:4608
	s_waitcnt lgkmcnt(0)
	v_cmp_ne_u16_e64 s26, 0x8000, v146
	s_delay_alu instid0(VALU_DEP_1) | instskip(SKIP_1) | instid1(VALU_DEP_2)
	v_cndmask_b32_e64 v2, 0x7fff, v146, s26
	v_cmp_gt_i16_e64 s26, 0, v146
	v_and_b32_e32 v2, 0xffff, v2
	s_delay_alu instid0(VALU_DEP_2) | instskip(NEXT) | instid1(VALU_DEP_2)
	v_cndmask_b32_e64 v149, 0x7fff, 0, s26
	v_lshrrev_b32_e32 v2, s49, v2
	s_delay_alu instid0(VALU_DEP_1) | instskip(NEXT) | instid1(VALU_DEP_1)
	v_and_b32_e32 v2, s55, v2
	v_lshlrev_b32_e32 v2, 2, v2
	ds_load_b32 v2, v2
	s_waitcnt lgkmcnt(0)
	v_add_nc_u32_e32 v2, v2, v56
	s_delay_alu instid0(VALU_DEP_1) | instskip(SKIP_1) | instid1(VALU_DEP_2)
	v_lshlrev_b64 v[36:37], 1, v[2:3]
	v_xor_b32_e32 v2, v149, v146
	v_add_co_u32 v36, s26, s38, v36
	s_delay_alu instid0(VALU_DEP_1) | instskip(SKIP_3) | instid1(VALU_DEP_1)
	v_add_co_ci_u32_e64 v37, s26, s39, v37, s26
	global_store_b16 v[36:37], v2, off
	s_or_b32 exec_lo, exec_lo, s27
	v_cmp_lt_u32_e64 s26, v57, v145
	s_and_saveexec_b32 s28, s26
	s_cbranch_execnz .LBB1776_782
.LBB1776_797:                           ;   in Loop: Header=BB1776_693 Depth=2
	s_or_b32 exec_lo, exec_lo, s28
	v_cmp_lt_u32_e64 s27, v58, v145
	s_delay_alu instid0(VALU_DEP_1)
	s_and_saveexec_b32 s29, s27
	s_cbranch_execz .LBB1776_783
.LBB1776_798:                           ;   in Loop: Header=BB1776_693 Depth=2
	ds_load_u16 v146, v79 offset:5632
	s_waitcnt lgkmcnt(0)
	v_cmp_ne_u16_e64 s28, 0x8000, v146
	s_delay_alu instid0(VALU_DEP_1) | instskip(SKIP_1) | instid1(VALU_DEP_2)
	v_cndmask_b32_e64 v2, 0x7fff, v146, s28
	v_cmp_gt_i16_e64 s28, 0, v146
	v_and_b32_e32 v2, 0xffff, v2
	s_delay_alu instid0(VALU_DEP_2) | instskip(NEXT) | instid1(VALU_DEP_2)
	v_cndmask_b32_e64 v149, 0x7fff, 0, s28
	v_lshrrev_b32_e32 v2, s49, v2
	s_delay_alu instid0(VALU_DEP_1) | instskip(NEXT) | instid1(VALU_DEP_1)
	v_and_b32_e32 v2, s55, v2
	v_lshlrev_b32_e32 v2, 2, v2
	ds_load_b32 v2, v2
	s_waitcnt lgkmcnt(0)
	v_add_nc_u32_e32 v2, v2, v58
	s_delay_alu instid0(VALU_DEP_1) | instskip(SKIP_1) | instid1(VALU_DEP_2)
	v_lshlrev_b64 v[36:37], 1, v[2:3]
	v_xor_b32_e32 v2, v149, v146
	v_add_co_u32 v36, s28, s38, v36
	s_delay_alu instid0(VALU_DEP_1) | instskip(SKIP_3) | instid1(VALU_DEP_1)
	v_add_co_ci_u32_e64 v37, s28, s39, v37, s28
	global_store_b16 v[36:37], v2, off
	s_or_b32 exec_lo, exec_lo, s29
	v_cmp_lt_u32_e64 s28, v59, v145
	s_and_saveexec_b32 s30, s28
	s_cbranch_execnz .LBB1776_784
.LBB1776_799:                           ;   in Loop: Header=BB1776_693 Depth=2
	s_or_b32 exec_lo, exec_lo, s30
	v_cmp_lt_u32_e64 s29, v60, v145
	s_delay_alu instid0(VALU_DEP_1)
	s_and_saveexec_b32 s31, s29
	s_cbranch_execz .LBB1776_785
.LBB1776_800:                           ;   in Loop: Header=BB1776_693 Depth=2
	ds_load_u16 v146, v79 offset:6656
	s_waitcnt lgkmcnt(0)
	v_cmp_ne_u16_e64 s30, 0x8000, v146
	s_delay_alu instid0(VALU_DEP_1) | instskip(SKIP_1) | instid1(VALU_DEP_2)
	v_cndmask_b32_e64 v2, 0x7fff, v146, s30
	v_cmp_gt_i16_e64 s30, 0, v146
	v_and_b32_e32 v2, 0xffff, v2
	s_delay_alu instid0(VALU_DEP_2) | instskip(NEXT) | instid1(VALU_DEP_2)
	v_cndmask_b32_e64 v149, 0x7fff, 0, s30
	v_lshrrev_b32_e32 v2, s49, v2
	s_delay_alu instid0(VALU_DEP_1) | instskip(NEXT) | instid1(VALU_DEP_1)
	v_and_b32_e32 v2, s55, v2
	v_lshlrev_b32_e32 v2, 2, v2
	ds_load_b32 v2, v2
	s_waitcnt lgkmcnt(0)
	v_add_nc_u32_e32 v2, v2, v60
	s_delay_alu instid0(VALU_DEP_1) | instskip(SKIP_1) | instid1(VALU_DEP_2)
	v_lshlrev_b64 v[36:37], 1, v[2:3]
	v_xor_b32_e32 v2, v149, v146
	v_add_co_u32 v36, s30, s38, v36
	s_delay_alu instid0(VALU_DEP_1) | instskip(SKIP_3) | instid1(VALU_DEP_1)
	v_add_co_ci_u32_e64 v37, s30, s39, v37, s30
	global_store_b16 v[36:37], v2, off
	s_or_b32 exec_lo, exec_lo, s31
	v_cmp_lt_u32_e64 s30, v61, v145
	s_and_saveexec_b32 s33, s30
	s_cbranch_execnz .LBB1776_786
.LBB1776_801:                           ;   in Loop: Header=BB1776_693 Depth=2
	s_or_b32 exec_lo, exec_lo, s33
	v_cmp_lt_u32_e64 s31, v63, v145
	s_delay_alu instid0(VALU_DEP_1)
	s_and_saveexec_b32 s58, s31
	s_cbranch_execz .LBB1776_803
.LBB1776_802:                           ;   in Loop: Header=BB1776_693 Depth=2
	ds_load_u16 v146, v79 offset:7680
	s_waitcnt lgkmcnt(0)
	v_cmp_ne_u16_e64 s33, 0x8000, v146
	s_delay_alu instid0(VALU_DEP_1) | instskip(SKIP_1) | instid1(VALU_DEP_2)
	v_cndmask_b32_e64 v2, 0x7fff, v146, s33
	v_cmp_gt_i16_e64 s33, 0, v146
	v_and_b32_e32 v2, 0xffff, v2
	s_delay_alu instid0(VALU_DEP_2) | instskip(NEXT) | instid1(VALU_DEP_2)
	v_cndmask_b32_e64 v149, 0x7fff, 0, s33
	v_lshrrev_b32_e32 v2, s49, v2
	s_delay_alu instid0(VALU_DEP_1) | instskip(NEXT) | instid1(VALU_DEP_1)
	v_and_b32_e32 v2, s55, v2
	v_lshlrev_b32_e32 v2, 2, v2
	ds_load_b32 v2, v2
	s_waitcnt lgkmcnt(0)
	v_add_nc_u32_e32 v2, v2, v63
	s_delay_alu instid0(VALU_DEP_1) | instskip(SKIP_1) | instid1(VALU_DEP_2)
	v_lshlrev_b64 v[36:37], 1, v[2:3]
	v_xor_b32_e32 v2, v149, v146
	v_add_co_u32 v36, s33, s38, v36
	s_delay_alu instid0(VALU_DEP_1)
	v_add_co_ci_u32_e64 v37, s33, s39, v37, s33
	global_store_b16 v[36:37], v2, off
.LBB1776_803:                           ;   in Loop: Header=BB1776_693 Depth=2
	s_or_b32 exec_lo, exec_lo, s58
	s_lshl_b64 s[58:59], s[34:35], 3
	s_delay_alu instid0(SALU_CYCLE_1) | instskip(NEXT) | instid1(VALU_DEP_1)
	v_add_co_u32 v36, s33, v107, s58
	v_add_co_ci_u32_e64 v37, s33, s59, v108, s33
	v_cmp_lt_u32_e64 s33, v106, v145
	s_delay_alu instid0(VALU_DEP_1) | instskip(NEXT) | instid1(SALU_CYCLE_1)
	s_and_saveexec_b32 s34, s33
	s_xor_b32 s33, exec_lo, s34
	s_cbranch_execz .LBB1776_835
; %bb.804:                              ;   in Loop: Header=BB1776_693 Depth=2
	global_load_b64 v[34:35], v[36:37], off
	s_or_b32 exec_lo, exec_lo, s33
	s_delay_alu instid0(SALU_CYCLE_1)
	s_mov_b32 s34, exec_lo
	v_cmpx_lt_u32_e64 v109, v145
	s_cbranch_execnz .LBB1776_836
.LBB1776_805:                           ;   in Loop: Header=BB1776_693 Depth=2
	s_or_b32 exec_lo, exec_lo, s34
	s_delay_alu instid0(SALU_CYCLE_1)
	s_mov_b32 s34, exec_lo
	v_cmpx_lt_u32_e64 v110, v145
	s_cbranch_execz .LBB1776_837
.LBB1776_806:                           ;   in Loop: Header=BB1776_693 Depth=2
	global_load_b64 v[30:31], v[36:37], off offset:512
	s_or_b32 exec_lo, exec_lo, s34
	s_delay_alu instid0(SALU_CYCLE_1)
	s_mov_b32 s34, exec_lo
	v_cmpx_lt_u32_e64 v111, v145
	s_cbranch_execnz .LBB1776_838
.LBB1776_807:                           ;   in Loop: Header=BB1776_693 Depth=2
	s_or_b32 exec_lo, exec_lo, s34
	s_delay_alu instid0(SALU_CYCLE_1)
	s_mov_b32 s34, exec_lo
	v_cmpx_lt_u32_e64 v112, v145
	s_cbranch_execz .LBB1776_839
.LBB1776_808:                           ;   in Loop: Header=BB1776_693 Depth=2
	global_load_b64 v[26:27], v[36:37], off offset:1024
	s_or_b32 exec_lo, exec_lo, s34
	s_delay_alu instid0(SALU_CYCLE_1)
	s_mov_b32 s34, exec_lo
	v_cmpx_lt_u32_e64 v113, v145
	s_cbranch_execnz .LBB1776_840
.LBB1776_809:                           ;   in Loop: Header=BB1776_693 Depth=2
	s_or_b32 exec_lo, exec_lo, s34
	s_delay_alu instid0(SALU_CYCLE_1)
	s_mov_b32 s34, exec_lo
	v_cmpx_lt_u32_e64 v114, v145
	s_cbranch_execz .LBB1776_841
.LBB1776_810:                           ;   in Loop: Header=BB1776_693 Depth=2
	global_load_b64 v[22:23], v[36:37], off offset:1536
	s_or_b32 exec_lo, exec_lo, s34
	s_delay_alu instid0(SALU_CYCLE_1)
	s_mov_b32 s34, exec_lo
	v_cmpx_lt_u32_e64 v115, v145
	s_cbranch_execnz .LBB1776_842
.LBB1776_811:                           ;   in Loop: Header=BB1776_693 Depth=2
	s_or_b32 exec_lo, exec_lo, s34
	s_delay_alu instid0(SALU_CYCLE_1)
	s_mov_b32 s34, exec_lo
	v_cmpx_lt_u32_e64 v116, v145
	s_cbranch_execz .LBB1776_843
.LBB1776_812:                           ;   in Loop: Header=BB1776_693 Depth=2
	global_load_b64 v[18:19], v[36:37], off offset:2048
	s_or_b32 exec_lo, exec_lo, s34
	s_delay_alu instid0(SALU_CYCLE_1)
	s_mov_b32 s34, exec_lo
	v_cmpx_lt_u32_e64 v117, v145
	s_cbranch_execnz .LBB1776_844
.LBB1776_813:                           ;   in Loop: Header=BB1776_693 Depth=2
	s_or_b32 exec_lo, exec_lo, s34
	s_delay_alu instid0(SALU_CYCLE_1)
	s_mov_b32 s34, exec_lo
	v_cmpx_lt_u32_e64 v118, v145
	s_cbranch_execz .LBB1776_845
.LBB1776_814:                           ;   in Loop: Header=BB1776_693 Depth=2
	global_load_b64 v[14:15], v[36:37], off offset:2560
	s_or_b32 exec_lo, exec_lo, s34
	s_delay_alu instid0(SALU_CYCLE_1)
	s_mov_b32 s34, exec_lo
	v_cmpx_lt_u32_e64 v119, v145
	s_cbranch_execnz .LBB1776_846
.LBB1776_815:                           ;   in Loop: Header=BB1776_693 Depth=2
	s_or_b32 exec_lo, exec_lo, s34
	s_delay_alu instid0(SALU_CYCLE_1)
	s_mov_b32 s34, exec_lo
	v_cmpx_lt_u32_e64 v120, v145
	s_cbranch_execz .LBB1776_847
.LBB1776_816:                           ;   in Loop: Header=BB1776_693 Depth=2
	global_load_b64 v[10:11], v[36:37], off offset:3072
	s_or_b32 exec_lo, exec_lo, s34
	s_delay_alu instid0(SALU_CYCLE_1)
	s_mov_b32 s34, exec_lo
	v_cmpx_lt_u32_e64 v121, v145
	s_cbranch_execnz .LBB1776_848
.LBB1776_817:                           ;   in Loop: Header=BB1776_693 Depth=2
	s_or_b32 exec_lo, exec_lo, s34
	s_delay_alu instid0(SALU_CYCLE_1)
	s_mov_b32 s34, exec_lo
	v_cmpx_lt_u32_e64 v122, v145
	s_cbranch_execz .LBB1776_849
.LBB1776_818:                           ;   in Loop: Header=BB1776_693 Depth=2
	global_load_b64 v[6:7], v[36:37], off offset:3584
	s_or_b32 exec_lo, exec_lo, s34
	s_delay_alu instid0(SALU_CYCLE_1)
	s_mov_b32 s34, exec_lo
	v_cmpx_lt_u32_e64 v123, v145
	s_cbranch_execnz .LBB1776_850
.LBB1776_819:                           ;   in Loop: Header=BB1776_693 Depth=2
	s_or_b32 exec_lo, exec_lo, s34
	s_and_saveexec_b32 s34, vcc_lo
	s_cbranch_execz .LBB1776_851
.LBB1776_820:                           ;   in Loop: Header=BB1776_693 Depth=2
	v_add_nc_u32_e32 v2, v72, v78
	ds_load_u16 v2, v2 offset:1024
	s_waitcnt lgkmcnt(0)
	v_cmp_ne_u16_e64 s33, 0x8000, v2
	s_delay_alu instid0(VALU_DEP_1) | instskip(NEXT) | instid1(VALU_DEP_1)
	v_cndmask_b32_e64 v2, 0x7fff, v2, s33
	v_and_b32_e32 v2, 0xffff, v2
	s_delay_alu instid0(VALU_DEP_1) | instskip(NEXT) | instid1(VALU_DEP_1)
	v_lshrrev_b32_e32 v2, s49, v2
	v_and_b32_e32 v144, s55, v2
	s_or_b32 exec_lo, exec_lo, s34
	s_and_saveexec_b32 s34, s17
	s_cbranch_execnz .LBB1776_852
.LBB1776_821:                           ;   in Loop: Header=BB1776_693 Depth=2
	s_or_b32 exec_lo, exec_lo, s34
	s_and_saveexec_b32 s34, s18
	s_cbranch_execz .LBB1776_853
.LBB1776_822:                           ;   in Loop: Header=BB1776_693 Depth=2
	ds_load_u16 v2, v79 offset:1024
	s_waitcnt lgkmcnt(0)
	v_cmp_ne_u16_e64 s33, 0x8000, v2
	s_delay_alu instid0(VALU_DEP_1) | instskip(NEXT) | instid1(VALU_DEP_1)
	v_cndmask_b32_e64 v2, 0x7fff, v2, s33
	v_and_b32_e32 v2, 0xffff, v2
	s_delay_alu instid0(VALU_DEP_1) | instskip(NEXT) | instid1(VALU_DEP_1)
	v_lshrrev_b32_e32 v2, s49, v2
	v_and_b32_e32 v142, s55, v2
	s_or_b32 exec_lo, exec_lo, s34
	s_and_saveexec_b32 s34, s19
	s_cbranch_execnz .LBB1776_854
.LBB1776_823:                           ;   in Loop: Header=BB1776_693 Depth=2
	s_or_b32 exec_lo, exec_lo, s34
	s_and_saveexec_b32 s34, s20
	s_cbranch_execz .LBB1776_855
.LBB1776_824:                           ;   in Loop: Header=BB1776_693 Depth=2
	ds_load_u16 v2, v79 offset:2048
	s_waitcnt lgkmcnt(0)
	v_cmp_ne_u16_e64 s33, 0x8000, v2
	s_delay_alu instid0(VALU_DEP_1) | instskip(NEXT) | instid1(VALU_DEP_1)
	v_cndmask_b32_e64 v2, 0x7fff, v2, s33
	v_and_b32_e32 v2, 0xffff, v2
	s_delay_alu instid0(VALU_DEP_1) | instskip(NEXT) | instid1(VALU_DEP_1)
	v_lshrrev_b32_e32 v2, s49, v2
	v_and_b32_e32 v140, s55, v2
	s_or_b32 exec_lo, exec_lo, s34
	s_and_saveexec_b32 s34, s21
	s_cbranch_execnz .LBB1776_856
.LBB1776_825:                           ;   in Loop: Header=BB1776_693 Depth=2
	s_or_b32 exec_lo, exec_lo, s34
	s_and_saveexec_b32 s34, s22
	s_cbranch_execz .LBB1776_857
.LBB1776_826:                           ;   in Loop: Header=BB1776_693 Depth=2
	ds_load_u16 v2, v79 offset:3072
	s_waitcnt lgkmcnt(0)
	v_cmp_ne_u16_e64 s33, 0x8000, v2
	s_delay_alu instid0(VALU_DEP_1) | instskip(NEXT) | instid1(VALU_DEP_1)
	v_cndmask_b32_e64 v2, 0x7fff, v2, s33
	v_and_b32_e32 v2, 0xffff, v2
	s_delay_alu instid0(VALU_DEP_1) | instskip(NEXT) | instid1(VALU_DEP_1)
	v_lshrrev_b32_e32 v2, s49, v2
	v_and_b32_e32 v138, s55, v2
	s_or_b32 exec_lo, exec_lo, s34
	s_and_saveexec_b32 s34, s23
	s_cbranch_execnz .LBB1776_858
.LBB1776_827:                           ;   in Loop: Header=BB1776_693 Depth=2
	s_or_b32 exec_lo, exec_lo, s34
	s_and_saveexec_b32 s34, s24
	s_cbranch_execz .LBB1776_859
.LBB1776_828:                           ;   in Loop: Header=BB1776_693 Depth=2
	ds_load_u16 v2, v79 offset:4096
	s_waitcnt lgkmcnt(0)
	v_cmp_ne_u16_e64 s33, 0x8000, v2
	s_delay_alu instid0(VALU_DEP_1) | instskip(NEXT) | instid1(VALU_DEP_1)
	v_cndmask_b32_e64 v2, 0x7fff, v2, s33
	v_and_b32_e32 v2, 0xffff, v2
	s_delay_alu instid0(VALU_DEP_1) | instskip(NEXT) | instid1(VALU_DEP_1)
	v_lshrrev_b32_e32 v2, s49, v2
	v_and_b32_e32 v136, s55, v2
	s_or_b32 exec_lo, exec_lo, s34
	s_and_saveexec_b32 s34, s25
	s_cbranch_execnz .LBB1776_860
.LBB1776_829:                           ;   in Loop: Header=BB1776_693 Depth=2
	s_or_b32 exec_lo, exec_lo, s34
	s_and_saveexec_b32 s34, s26
	s_cbranch_execz .LBB1776_861
.LBB1776_830:                           ;   in Loop: Header=BB1776_693 Depth=2
	ds_load_u16 v2, v79 offset:5120
	s_waitcnt lgkmcnt(0)
	v_cmp_ne_u16_e64 s33, 0x8000, v2
	s_delay_alu instid0(VALU_DEP_1) | instskip(NEXT) | instid1(VALU_DEP_1)
	v_cndmask_b32_e64 v2, 0x7fff, v2, s33
	v_and_b32_e32 v2, 0xffff, v2
	s_delay_alu instid0(VALU_DEP_1) | instskip(NEXT) | instid1(VALU_DEP_1)
	v_lshrrev_b32_e32 v2, s49, v2
	v_and_b32_e32 v134, s55, v2
	s_or_b32 exec_lo, exec_lo, s34
	s_and_saveexec_b32 s34, s27
	s_cbranch_execnz .LBB1776_862
.LBB1776_831:                           ;   in Loop: Header=BB1776_693 Depth=2
	s_or_b32 exec_lo, exec_lo, s34
	s_and_saveexec_b32 s34, s28
	s_cbranch_execz .LBB1776_863
.LBB1776_832:                           ;   in Loop: Header=BB1776_693 Depth=2
	ds_load_u16 v2, v79 offset:6144
	s_waitcnt lgkmcnt(0)
	v_cmp_ne_u16_e64 s33, 0x8000, v2
	s_delay_alu instid0(VALU_DEP_1) | instskip(NEXT) | instid1(VALU_DEP_1)
	v_cndmask_b32_e64 v2, 0x7fff, v2, s33
	v_and_b32_e32 v2, 0xffff, v2
	s_delay_alu instid0(VALU_DEP_1) | instskip(NEXT) | instid1(VALU_DEP_1)
	v_lshrrev_b32_e32 v2, s49, v2
	v_and_b32_e32 v132, s55, v2
	s_or_b32 exec_lo, exec_lo, s34
	s_and_saveexec_b32 s34, s29
	s_cbranch_execnz .LBB1776_864
.LBB1776_833:                           ;   in Loop: Header=BB1776_693 Depth=2
	s_or_b32 exec_lo, exec_lo, s34
	s_and_saveexec_b32 s34, s30
	s_cbranch_execz .LBB1776_865
.LBB1776_834:                           ;   in Loop: Header=BB1776_693 Depth=2
	ds_load_u16 v2, v79 offset:7168
	s_waitcnt lgkmcnt(0)
	v_cmp_ne_u16_e64 s33, 0x8000, v2
	s_delay_alu instid0(VALU_DEP_1) | instskip(NEXT) | instid1(VALU_DEP_1)
	v_cndmask_b32_e64 v2, 0x7fff, v2, s33
	v_and_b32_e32 v2, 0xffff, v2
	s_delay_alu instid0(VALU_DEP_1) | instskip(NEXT) | instid1(VALU_DEP_1)
	v_lshrrev_b32_e32 v2, s49, v2
	v_and_b32_e32 v130, s55, v2
	s_or_b32 exec_lo, exec_lo, s34
	s_and_saveexec_b32 s34, s31
	s_cbranch_execnz .LBB1776_866
	s_branch .LBB1776_867
.LBB1776_835:                           ;   in Loop: Header=BB1776_693 Depth=2
	s_or_b32 exec_lo, exec_lo, s33
	s_delay_alu instid0(SALU_CYCLE_1)
	s_mov_b32 s34, exec_lo
	v_cmpx_lt_u32_e64 v109, v145
	s_cbranch_execz .LBB1776_805
.LBB1776_836:                           ;   in Loop: Header=BB1776_693 Depth=2
	global_load_b64 v[32:33], v[36:37], off offset:256
	s_or_b32 exec_lo, exec_lo, s34
	s_delay_alu instid0(SALU_CYCLE_1)
	s_mov_b32 s34, exec_lo
	v_cmpx_lt_u32_e64 v110, v145
	s_cbranch_execnz .LBB1776_806
.LBB1776_837:                           ;   in Loop: Header=BB1776_693 Depth=2
	s_or_b32 exec_lo, exec_lo, s34
	s_delay_alu instid0(SALU_CYCLE_1)
	s_mov_b32 s34, exec_lo
	v_cmpx_lt_u32_e64 v111, v145
	s_cbranch_execz .LBB1776_807
.LBB1776_838:                           ;   in Loop: Header=BB1776_693 Depth=2
	global_load_b64 v[28:29], v[36:37], off offset:768
	s_or_b32 exec_lo, exec_lo, s34
	s_delay_alu instid0(SALU_CYCLE_1)
	s_mov_b32 s34, exec_lo
	v_cmpx_lt_u32_e64 v112, v145
	s_cbranch_execnz .LBB1776_808
.LBB1776_839:                           ;   in Loop: Header=BB1776_693 Depth=2
	s_or_b32 exec_lo, exec_lo, s34
	s_delay_alu instid0(SALU_CYCLE_1)
	s_mov_b32 s34, exec_lo
	v_cmpx_lt_u32_e64 v113, v145
	s_cbranch_execz .LBB1776_809
.LBB1776_840:                           ;   in Loop: Header=BB1776_693 Depth=2
	global_load_b64 v[24:25], v[36:37], off offset:1280
	s_or_b32 exec_lo, exec_lo, s34
	s_delay_alu instid0(SALU_CYCLE_1)
	s_mov_b32 s34, exec_lo
	v_cmpx_lt_u32_e64 v114, v145
	s_cbranch_execnz .LBB1776_810
.LBB1776_841:                           ;   in Loop: Header=BB1776_693 Depth=2
	s_or_b32 exec_lo, exec_lo, s34
	s_delay_alu instid0(SALU_CYCLE_1)
	s_mov_b32 s34, exec_lo
	v_cmpx_lt_u32_e64 v115, v145
	s_cbranch_execz .LBB1776_811
.LBB1776_842:                           ;   in Loop: Header=BB1776_693 Depth=2
	global_load_b64 v[20:21], v[36:37], off offset:1792
	s_or_b32 exec_lo, exec_lo, s34
	s_delay_alu instid0(SALU_CYCLE_1)
	s_mov_b32 s34, exec_lo
	v_cmpx_lt_u32_e64 v116, v145
	s_cbranch_execnz .LBB1776_812
.LBB1776_843:                           ;   in Loop: Header=BB1776_693 Depth=2
	s_or_b32 exec_lo, exec_lo, s34
	s_delay_alu instid0(SALU_CYCLE_1)
	s_mov_b32 s34, exec_lo
	v_cmpx_lt_u32_e64 v117, v145
	s_cbranch_execz .LBB1776_813
.LBB1776_844:                           ;   in Loop: Header=BB1776_693 Depth=2
	global_load_b64 v[16:17], v[36:37], off offset:2304
	s_or_b32 exec_lo, exec_lo, s34
	s_delay_alu instid0(SALU_CYCLE_1)
	s_mov_b32 s34, exec_lo
	v_cmpx_lt_u32_e64 v118, v145
	s_cbranch_execnz .LBB1776_814
.LBB1776_845:                           ;   in Loop: Header=BB1776_693 Depth=2
	s_or_b32 exec_lo, exec_lo, s34
	s_delay_alu instid0(SALU_CYCLE_1)
	s_mov_b32 s34, exec_lo
	v_cmpx_lt_u32_e64 v119, v145
	s_cbranch_execz .LBB1776_815
.LBB1776_846:                           ;   in Loop: Header=BB1776_693 Depth=2
	global_load_b64 v[12:13], v[36:37], off offset:2816
	s_or_b32 exec_lo, exec_lo, s34
	s_delay_alu instid0(SALU_CYCLE_1)
	s_mov_b32 s34, exec_lo
	v_cmpx_lt_u32_e64 v120, v145
	s_cbranch_execnz .LBB1776_816
.LBB1776_847:                           ;   in Loop: Header=BB1776_693 Depth=2
	s_or_b32 exec_lo, exec_lo, s34
	s_delay_alu instid0(SALU_CYCLE_1)
	s_mov_b32 s34, exec_lo
	v_cmpx_lt_u32_e64 v121, v145
	s_cbranch_execz .LBB1776_817
.LBB1776_848:                           ;   in Loop: Header=BB1776_693 Depth=2
	global_load_b64 v[8:9], v[36:37], off offset:3328
	s_or_b32 exec_lo, exec_lo, s34
	s_delay_alu instid0(SALU_CYCLE_1)
	s_mov_b32 s34, exec_lo
	v_cmpx_lt_u32_e64 v122, v145
	s_cbranch_execnz .LBB1776_818
.LBB1776_849:                           ;   in Loop: Header=BB1776_693 Depth=2
	s_or_b32 exec_lo, exec_lo, s34
	s_delay_alu instid0(SALU_CYCLE_1)
	s_mov_b32 s34, exec_lo
	v_cmpx_lt_u32_e64 v123, v145
	s_cbranch_execz .LBB1776_819
.LBB1776_850:                           ;   in Loop: Header=BB1776_693 Depth=2
	global_load_b64 v[4:5], v[36:37], off offset:3840
	s_or_b32 exec_lo, exec_lo, s34
	s_and_saveexec_b32 s34, vcc_lo
	s_cbranch_execnz .LBB1776_820
.LBB1776_851:                           ;   in Loop: Header=BB1776_693 Depth=2
	s_or_b32 exec_lo, exec_lo, s34
	s_and_saveexec_b32 s34, s17
	s_cbranch_execz .LBB1776_821
.LBB1776_852:                           ;   in Loop: Header=BB1776_693 Depth=2
	ds_load_u16 v2, v79 offset:512
	s_waitcnt lgkmcnt(0)
	v_cmp_ne_u16_e64 s33, 0x8000, v2
	s_delay_alu instid0(VALU_DEP_1) | instskip(NEXT) | instid1(VALU_DEP_1)
	v_cndmask_b32_e64 v2, 0x7fff, v2, s33
	v_and_b32_e32 v2, 0xffff, v2
	s_delay_alu instid0(VALU_DEP_1) | instskip(NEXT) | instid1(VALU_DEP_1)
	v_lshrrev_b32_e32 v2, s49, v2
	v_and_b32_e32 v143, s55, v2
	s_or_b32 exec_lo, exec_lo, s34
	s_and_saveexec_b32 s34, s18
	s_cbranch_execnz .LBB1776_822
.LBB1776_853:                           ;   in Loop: Header=BB1776_693 Depth=2
	s_or_b32 exec_lo, exec_lo, s34
	s_and_saveexec_b32 s34, s19
	s_cbranch_execz .LBB1776_823
.LBB1776_854:                           ;   in Loop: Header=BB1776_693 Depth=2
	ds_load_u16 v2, v79 offset:1536
	s_waitcnt lgkmcnt(0)
	v_cmp_ne_u16_e64 s33, 0x8000, v2
	s_delay_alu instid0(VALU_DEP_1) | instskip(NEXT) | instid1(VALU_DEP_1)
	v_cndmask_b32_e64 v2, 0x7fff, v2, s33
	v_and_b32_e32 v2, 0xffff, v2
	s_delay_alu instid0(VALU_DEP_1) | instskip(NEXT) | instid1(VALU_DEP_1)
	v_lshrrev_b32_e32 v2, s49, v2
	v_and_b32_e32 v141, s55, v2
	s_or_b32 exec_lo, exec_lo, s34
	s_and_saveexec_b32 s34, s20
	s_cbranch_execnz .LBB1776_824
.LBB1776_855:                           ;   in Loop: Header=BB1776_693 Depth=2
	s_or_b32 exec_lo, exec_lo, s34
	s_and_saveexec_b32 s34, s21
	s_cbranch_execz .LBB1776_825
.LBB1776_856:                           ;   in Loop: Header=BB1776_693 Depth=2
	ds_load_u16 v2, v79 offset:2560
	s_waitcnt lgkmcnt(0)
	v_cmp_ne_u16_e64 s33, 0x8000, v2
	s_delay_alu instid0(VALU_DEP_1) | instskip(NEXT) | instid1(VALU_DEP_1)
	v_cndmask_b32_e64 v2, 0x7fff, v2, s33
	v_and_b32_e32 v2, 0xffff, v2
	s_delay_alu instid0(VALU_DEP_1) | instskip(NEXT) | instid1(VALU_DEP_1)
	v_lshrrev_b32_e32 v2, s49, v2
	v_and_b32_e32 v139, s55, v2
	s_or_b32 exec_lo, exec_lo, s34
	s_and_saveexec_b32 s34, s22
	s_cbranch_execnz .LBB1776_826
.LBB1776_857:                           ;   in Loop: Header=BB1776_693 Depth=2
	s_or_b32 exec_lo, exec_lo, s34
	s_and_saveexec_b32 s34, s23
	s_cbranch_execz .LBB1776_827
.LBB1776_858:                           ;   in Loop: Header=BB1776_693 Depth=2
	ds_load_u16 v2, v79 offset:3584
	s_waitcnt lgkmcnt(0)
	v_cmp_ne_u16_e64 s33, 0x8000, v2
	s_delay_alu instid0(VALU_DEP_1) | instskip(NEXT) | instid1(VALU_DEP_1)
	v_cndmask_b32_e64 v2, 0x7fff, v2, s33
	v_and_b32_e32 v2, 0xffff, v2
	s_delay_alu instid0(VALU_DEP_1) | instskip(NEXT) | instid1(VALU_DEP_1)
	v_lshrrev_b32_e32 v2, s49, v2
	v_and_b32_e32 v137, s55, v2
	s_or_b32 exec_lo, exec_lo, s34
	s_and_saveexec_b32 s34, s24
	s_cbranch_execnz .LBB1776_828
.LBB1776_859:                           ;   in Loop: Header=BB1776_693 Depth=2
	s_or_b32 exec_lo, exec_lo, s34
	s_and_saveexec_b32 s34, s25
	s_cbranch_execz .LBB1776_829
.LBB1776_860:                           ;   in Loop: Header=BB1776_693 Depth=2
	ds_load_u16 v2, v79 offset:4608
	s_waitcnt lgkmcnt(0)
	v_cmp_ne_u16_e64 s33, 0x8000, v2
	s_delay_alu instid0(VALU_DEP_1) | instskip(NEXT) | instid1(VALU_DEP_1)
	v_cndmask_b32_e64 v2, 0x7fff, v2, s33
	v_and_b32_e32 v2, 0xffff, v2
	s_delay_alu instid0(VALU_DEP_1) | instskip(NEXT) | instid1(VALU_DEP_1)
	v_lshrrev_b32_e32 v2, s49, v2
	v_and_b32_e32 v135, s55, v2
	s_or_b32 exec_lo, exec_lo, s34
	s_and_saveexec_b32 s34, s26
	s_cbranch_execnz .LBB1776_830
.LBB1776_861:                           ;   in Loop: Header=BB1776_693 Depth=2
	s_or_b32 exec_lo, exec_lo, s34
	s_and_saveexec_b32 s34, s27
	s_cbranch_execz .LBB1776_831
.LBB1776_862:                           ;   in Loop: Header=BB1776_693 Depth=2
	ds_load_u16 v2, v79 offset:5632
	s_waitcnt lgkmcnt(0)
	v_cmp_ne_u16_e64 s33, 0x8000, v2
	s_delay_alu instid0(VALU_DEP_1) | instskip(NEXT) | instid1(VALU_DEP_1)
	v_cndmask_b32_e64 v2, 0x7fff, v2, s33
	v_and_b32_e32 v2, 0xffff, v2
	s_delay_alu instid0(VALU_DEP_1) | instskip(NEXT) | instid1(VALU_DEP_1)
	v_lshrrev_b32_e32 v2, s49, v2
	v_and_b32_e32 v133, s55, v2
	s_or_b32 exec_lo, exec_lo, s34
	s_and_saveexec_b32 s34, s28
	s_cbranch_execnz .LBB1776_832
.LBB1776_863:                           ;   in Loop: Header=BB1776_693 Depth=2
	s_or_b32 exec_lo, exec_lo, s34
	s_and_saveexec_b32 s34, s29
	s_cbranch_execz .LBB1776_833
.LBB1776_864:                           ;   in Loop: Header=BB1776_693 Depth=2
	ds_load_u16 v2, v79 offset:6656
	s_waitcnt lgkmcnt(0)
	v_cmp_ne_u16_e64 s33, 0x8000, v2
	s_delay_alu instid0(VALU_DEP_1) | instskip(NEXT) | instid1(VALU_DEP_1)
	v_cndmask_b32_e64 v2, 0x7fff, v2, s33
	v_and_b32_e32 v2, 0xffff, v2
	s_delay_alu instid0(VALU_DEP_1) | instskip(NEXT) | instid1(VALU_DEP_1)
	v_lshrrev_b32_e32 v2, s49, v2
	v_and_b32_e32 v131, s55, v2
	s_or_b32 exec_lo, exec_lo, s34
	s_and_saveexec_b32 s34, s30
	s_cbranch_execnz .LBB1776_834
.LBB1776_865:                           ;   in Loop: Header=BB1776_693 Depth=2
	s_or_b32 exec_lo, exec_lo, s34
	s_and_saveexec_b32 s34, s31
	s_cbranch_execz .LBB1776_867
.LBB1776_866:                           ;   in Loop: Header=BB1776_693 Depth=2
	ds_load_u16 v2, v79 offset:7680
	s_waitcnt lgkmcnt(0)
	v_cmp_ne_u16_e64 s33, 0x8000, v2
	s_delay_alu instid0(VALU_DEP_1) | instskip(NEXT) | instid1(VALU_DEP_1)
	v_cndmask_b32_e64 v2, 0x7fff, v2, s33
	v_and_b32_e32 v2, 0xffff, v2
	s_delay_alu instid0(VALU_DEP_1) | instskip(NEXT) | instid1(VALU_DEP_1)
	v_lshrrev_b32_e32 v2, s49, v2
	v_and_b32_e32 v129, s55, v2
.LBB1776_867:                           ;   in Loop: Header=BB1776_693 Depth=2
	s_or_b32 exec_lo, exec_lo, s34
	v_lshlrev_b32_e32 v2, 3, v168
	v_lshlrev_b32_e32 v36, 3, v164
	s_waitcnt vmcnt(0)
	s_waitcnt_vscnt null, 0x0
	s_barrier
	buffer_gl0_inv
	ds_store_b64 v2, v[34:35] offset:1024
	v_lshlrev_b32_e32 v2, 3, v160
	v_lshlrev_b32_e32 v37, 3, v156
	;; [unrolled: 1-line block ×4, first 2 shown]
	ds_store_b64 v36, v[32:33] offset:1024
	ds_store_b64 v2, v[30:31] offset:1024
	;; [unrolled: 1-line block ×5, first 2 shown]
	v_lshlrev_b32_e32 v2, 3, v152
	v_lshlrev_b32_e32 v36, 3, v151
	;; [unrolled: 1-line block ×5, first 2 shown]
	ds_store_b64 v2, v[22:23] offset:1024
	ds_store_b64 v36, v[20:21] offset:1024
	;; [unrolled: 1-line block ×5, first 2 shown]
	v_lshlrev_b32_e32 v2, 3, v40
	v_lshlrev_b32_e32 v36, 3, v39
	;; [unrolled: 1-line block ×5, first 2 shown]
	ds_store_b64 v2, v[12:13] offset:1024
	ds_store_b64 v36, v[10:11] offset:1024
	ds_store_b64 v37, v[8:9] offset:1024
	ds_store_b64 v39, v[6:7] offset:1024
	ds_store_b64 v40, v[4:5] offset:1024
	s_waitcnt lgkmcnt(0)
	s_barrier
	buffer_gl0_inv
	s_and_saveexec_b32 s33, vcc_lo
	s_cbranch_execz .LBB1776_883
; %bb.868:                              ;   in Loop: Header=BB1776_693 Depth=2
	v_lshlrev_b32_e32 v2, 2, v144
	ds_load_b32 v2, v2
	ds_load_b64 v[36:37], v80 offset:1024
	s_waitcnt lgkmcnt(1)
	v_add_nc_u32_e32 v2, v2, v1
	s_delay_alu instid0(VALU_DEP_1) | instskip(NEXT) | instid1(VALU_DEP_1)
	v_lshlrev_b64 v[39:40], 3, v[2:3]
	v_add_co_u32 v39, vcc_lo, s44, v39
	s_delay_alu instid0(VALU_DEP_2)
	v_add_co_ci_u32_e32 v40, vcc_lo, s45, v40, vcc_lo
	s_waitcnt lgkmcnt(0)
	global_store_b64 v[39:40], v[36:37], off
	s_or_b32 exec_lo, exec_lo, s33
	s_and_saveexec_b32 s33, s17
	s_cbranch_execnz .LBB1776_884
.LBB1776_869:                           ;   in Loop: Header=BB1776_693 Depth=2
	s_or_b32 exec_lo, exec_lo, s33
	s_and_saveexec_b32 s17, s18
	s_cbranch_execz .LBB1776_885
.LBB1776_870:                           ;   in Loop: Header=BB1776_693 Depth=2
	v_lshlrev_b32_e32 v2, 2, v142
	v_add_nc_u32_e32 v36, v79, v81
	ds_load_b32 v2, v2
	ds_load_b64 v[36:37], v36 offset:4096
	s_waitcnt lgkmcnt(1)
	v_add_nc_u32_e32 v2, v2, v46
	s_delay_alu instid0(VALU_DEP_1) | instskip(NEXT) | instid1(VALU_DEP_1)
	v_lshlrev_b64 v[39:40], 3, v[2:3]
	v_add_co_u32 v39, vcc_lo, s44, v39
	s_delay_alu instid0(VALU_DEP_2)
	v_add_co_ci_u32_e32 v40, vcc_lo, s45, v40, vcc_lo
	s_waitcnt lgkmcnt(0)
	global_store_b64 v[39:40], v[36:37], off
	s_or_b32 exec_lo, exec_lo, s17
	s_and_saveexec_b32 s17, s19
	s_cbranch_execnz .LBB1776_886
.LBB1776_871:                           ;   in Loop: Header=BB1776_693 Depth=2
	s_or_b32 exec_lo, exec_lo, s17
	s_and_saveexec_b32 s17, s20
	s_cbranch_execz .LBB1776_887
.LBB1776_872:                           ;   in Loop: Header=BB1776_693 Depth=2
	v_lshlrev_b32_e32 v2, 2, v140
	v_add_nc_u32_e32 v36, v79, v81
	ds_load_b32 v2, v2
	ds_load_b64 v[36:37], v36 offset:8192
	s_waitcnt lgkmcnt(1)
	v_add_nc_u32_e32 v2, v2, v51
	s_delay_alu instid0(VALU_DEP_1) | instskip(NEXT) | instid1(VALU_DEP_1)
	v_lshlrev_b64 v[39:40], 3, v[2:3]
	v_add_co_u32 v39, vcc_lo, s44, v39
	s_delay_alu instid0(VALU_DEP_2)
	v_add_co_ci_u32_e32 v40, vcc_lo, s45, v40, vcc_lo
	s_waitcnt lgkmcnt(0)
	global_store_b64 v[39:40], v[36:37], off
	s_or_b32 exec_lo, exec_lo, s17
	s_and_saveexec_b32 s17, s21
	s_cbranch_execnz .LBB1776_888
.LBB1776_873:                           ;   in Loop: Header=BB1776_693 Depth=2
	s_or_b32 exec_lo, exec_lo, s17
	s_and_saveexec_b32 s17, s22
	s_cbranch_execz .LBB1776_889
.LBB1776_874:                           ;   in Loop: Header=BB1776_693 Depth=2
	v_lshlrev_b32_e32 v2, 2, v138
	v_add_nc_u32_e32 v36, v79, v81
	ds_load_b32 v2, v2
	ds_load_b64 v[36:37], v36 offset:12288
	s_waitcnt lgkmcnt(1)
	v_add_nc_u32_e32 v2, v2, v53
	s_delay_alu instid0(VALU_DEP_1) | instskip(NEXT) | instid1(VALU_DEP_1)
	v_lshlrev_b64 v[39:40], 3, v[2:3]
	v_add_co_u32 v39, vcc_lo, s44, v39
	s_delay_alu instid0(VALU_DEP_2)
	v_add_co_ci_u32_e32 v40, vcc_lo, s45, v40, vcc_lo
	s_waitcnt lgkmcnt(0)
	global_store_b64 v[39:40], v[36:37], off
	s_or_b32 exec_lo, exec_lo, s17
	s_and_saveexec_b32 s17, s23
	s_cbranch_execnz .LBB1776_890
.LBB1776_875:                           ;   in Loop: Header=BB1776_693 Depth=2
	s_or_b32 exec_lo, exec_lo, s17
	s_and_saveexec_b32 s17, s24
	s_cbranch_execz .LBB1776_891
.LBB1776_876:                           ;   in Loop: Header=BB1776_693 Depth=2
	v_lshlrev_b32_e32 v2, 2, v136
	v_add_nc_u32_e32 v36, v79, v81
	ds_load_b32 v2, v2
	ds_load_b64 v[36:37], v36 offset:16384
	s_waitcnt lgkmcnt(1)
	v_add_nc_u32_e32 v2, v2, v55
	s_delay_alu instid0(VALU_DEP_1) | instskip(NEXT) | instid1(VALU_DEP_1)
	v_lshlrev_b64 v[39:40], 3, v[2:3]
	v_add_co_u32 v39, vcc_lo, s44, v39
	s_delay_alu instid0(VALU_DEP_2)
	v_add_co_ci_u32_e32 v40, vcc_lo, s45, v40, vcc_lo
	s_waitcnt lgkmcnt(0)
	global_store_b64 v[39:40], v[36:37], off
	s_or_b32 exec_lo, exec_lo, s17
	s_and_saveexec_b32 s17, s25
	s_cbranch_execnz .LBB1776_892
.LBB1776_877:                           ;   in Loop: Header=BB1776_693 Depth=2
	s_or_b32 exec_lo, exec_lo, s17
	s_and_saveexec_b32 s17, s26
	s_cbranch_execz .LBB1776_893
.LBB1776_878:                           ;   in Loop: Header=BB1776_693 Depth=2
	v_lshlrev_b32_e32 v2, 2, v134
	v_add_nc_u32_e32 v36, v79, v81
	ds_load_b32 v2, v2
	ds_load_b64 v[36:37], v36 offset:20480
	s_waitcnt lgkmcnt(1)
	v_add_nc_u32_e32 v2, v2, v57
	s_delay_alu instid0(VALU_DEP_1) | instskip(NEXT) | instid1(VALU_DEP_1)
	v_lshlrev_b64 v[39:40], 3, v[2:3]
	v_add_co_u32 v39, vcc_lo, s44, v39
	s_delay_alu instid0(VALU_DEP_2)
	v_add_co_ci_u32_e32 v40, vcc_lo, s45, v40, vcc_lo
	s_waitcnt lgkmcnt(0)
	global_store_b64 v[39:40], v[36:37], off
	s_or_b32 exec_lo, exec_lo, s17
	s_and_saveexec_b32 s17, s27
	s_cbranch_execnz .LBB1776_894
.LBB1776_879:                           ;   in Loop: Header=BB1776_693 Depth=2
	s_or_b32 exec_lo, exec_lo, s17
	s_and_saveexec_b32 s17, s28
	s_cbranch_execz .LBB1776_895
.LBB1776_880:                           ;   in Loop: Header=BB1776_693 Depth=2
	v_lshlrev_b32_e32 v2, 2, v132
	v_add_nc_u32_e32 v36, v79, v81
	ds_load_b32 v2, v2
	ds_load_b64 v[36:37], v36 offset:24576
	s_waitcnt lgkmcnt(1)
	v_add_nc_u32_e32 v2, v2, v59
	s_delay_alu instid0(VALU_DEP_1) | instskip(NEXT) | instid1(VALU_DEP_1)
	v_lshlrev_b64 v[39:40], 3, v[2:3]
	v_add_co_u32 v39, vcc_lo, s44, v39
	s_delay_alu instid0(VALU_DEP_2)
	v_add_co_ci_u32_e32 v40, vcc_lo, s45, v40, vcc_lo
	s_waitcnt lgkmcnt(0)
	global_store_b64 v[39:40], v[36:37], off
	s_or_b32 exec_lo, exec_lo, s17
	s_and_saveexec_b32 s17, s29
	s_cbranch_execnz .LBB1776_896
.LBB1776_881:                           ;   in Loop: Header=BB1776_693 Depth=2
	s_or_b32 exec_lo, exec_lo, s17
	s_and_saveexec_b32 s17, s30
	s_cbranch_execz .LBB1776_897
.LBB1776_882:                           ;   in Loop: Header=BB1776_693 Depth=2
	v_lshlrev_b32_e32 v2, 2, v130
	v_add_nc_u32_e32 v36, v79, v81
	ds_load_b32 v2, v2
	ds_load_b64 v[36:37], v36 offset:28672
	s_waitcnt lgkmcnt(1)
	v_add_nc_u32_e32 v2, v2, v61
	s_delay_alu instid0(VALU_DEP_1) | instskip(NEXT) | instid1(VALU_DEP_1)
	v_lshlrev_b64 v[39:40], 3, v[2:3]
	v_add_co_u32 v39, vcc_lo, s44, v39
	s_delay_alu instid0(VALU_DEP_2)
	v_add_co_ci_u32_e32 v40, vcc_lo, s45, v40, vcc_lo
	s_waitcnt lgkmcnt(0)
	global_store_b64 v[39:40], v[36:37], off
	s_or_b32 exec_lo, exec_lo, s17
	s_and_saveexec_b32 s17, s31
	s_cbranch_execnz .LBB1776_898
	s_branch .LBB1776_899
.LBB1776_883:                           ;   in Loop: Header=BB1776_693 Depth=2
	s_or_b32 exec_lo, exec_lo, s33
	s_and_saveexec_b32 s33, s17
	s_cbranch_execz .LBB1776_869
.LBB1776_884:                           ;   in Loop: Header=BB1776_693 Depth=2
	v_lshlrev_b32_e32 v2, 2, v143
	v_add_nc_u32_e32 v36, v79, v81
	ds_load_b32 v2, v2
	ds_load_b64 v[36:37], v36 offset:2048
	s_waitcnt lgkmcnt(1)
	v_add_nc_u32_e32 v2, v2, v45
	s_delay_alu instid0(VALU_DEP_1) | instskip(NEXT) | instid1(VALU_DEP_1)
	v_lshlrev_b64 v[39:40], 3, v[2:3]
	v_add_co_u32 v39, vcc_lo, s44, v39
	s_delay_alu instid0(VALU_DEP_2)
	v_add_co_ci_u32_e32 v40, vcc_lo, s45, v40, vcc_lo
	s_waitcnt lgkmcnt(0)
	global_store_b64 v[39:40], v[36:37], off
	s_or_b32 exec_lo, exec_lo, s33
	s_and_saveexec_b32 s17, s18
	s_cbranch_execnz .LBB1776_870
.LBB1776_885:                           ;   in Loop: Header=BB1776_693 Depth=2
	s_or_b32 exec_lo, exec_lo, s17
	s_and_saveexec_b32 s17, s19
	s_cbranch_execz .LBB1776_871
.LBB1776_886:                           ;   in Loop: Header=BB1776_693 Depth=2
	v_lshlrev_b32_e32 v2, 2, v141
	v_add_nc_u32_e32 v36, v79, v81
	ds_load_b32 v2, v2
	ds_load_b64 v[36:37], v36 offset:6144
	s_waitcnt lgkmcnt(1)
	v_add_nc_u32_e32 v2, v2, v47
	s_delay_alu instid0(VALU_DEP_1) | instskip(NEXT) | instid1(VALU_DEP_1)
	v_lshlrev_b64 v[39:40], 3, v[2:3]
	v_add_co_u32 v39, vcc_lo, s44, v39
	s_delay_alu instid0(VALU_DEP_2)
	v_add_co_ci_u32_e32 v40, vcc_lo, s45, v40, vcc_lo
	s_waitcnt lgkmcnt(0)
	global_store_b64 v[39:40], v[36:37], off
	s_or_b32 exec_lo, exec_lo, s17
	s_and_saveexec_b32 s17, s20
	s_cbranch_execnz .LBB1776_872
.LBB1776_887:                           ;   in Loop: Header=BB1776_693 Depth=2
	s_or_b32 exec_lo, exec_lo, s17
	s_and_saveexec_b32 s17, s21
	s_cbranch_execz .LBB1776_873
.LBB1776_888:                           ;   in Loop: Header=BB1776_693 Depth=2
	v_lshlrev_b32_e32 v2, 2, v139
	v_add_nc_u32_e32 v36, v79, v81
	ds_load_b32 v2, v2
	ds_load_b64 v[36:37], v36 offset:10240
	s_waitcnt lgkmcnt(1)
	v_add_nc_u32_e32 v2, v2, v52
	s_delay_alu instid0(VALU_DEP_1) | instskip(NEXT) | instid1(VALU_DEP_1)
	v_lshlrev_b64 v[39:40], 3, v[2:3]
	v_add_co_u32 v39, vcc_lo, s44, v39
	s_delay_alu instid0(VALU_DEP_2)
	v_add_co_ci_u32_e32 v40, vcc_lo, s45, v40, vcc_lo
	s_waitcnt lgkmcnt(0)
	global_store_b64 v[39:40], v[36:37], off
	s_or_b32 exec_lo, exec_lo, s17
	s_and_saveexec_b32 s17, s22
	s_cbranch_execnz .LBB1776_874
.LBB1776_889:                           ;   in Loop: Header=BB1776_693 Depth=2
	s_or_b32 exec_lo, exec_lo, s17
	s_and_saveexec_b32 s17, s23
	s_cbranch_execz .LBB1776_875
.LBB1776_890:                           ;   in Loop: Header=BB1776_693 Depth=2
	v_lshlrev_b32_e32 v2, 2, v137
	v_add_nc_u32_e32 v36, v79, v81
	ds_load_b32 v2, v2
	ds_load_b64 v[36:37], v36 offset:14336
	s_waitcnt lgkmcnt(1)
	v_add_nc_u32_e32 v2, v2, v54
	s_delay_alu instid0(VALU_DEP_1) | instskip(NEXT) | instid1(VALU_DEP_1)
	v_lshlrev_b64 v[39:40], 3, v[2:3]
	v_add_co_u32 v39, vcc_lo, s44, v39
	s_delay_alu instid0(VALU_DEP_2)
	v_add_co_ci_u32_e32 v40, vcc_lo, s45, v40, vcc_lo
	s_waitcnt lgkmcnt(0)
	global_store_b64 v[39:40], v[36:37], off
	s_or_b32 exec_lo, exec_lo, s17
	s_and_saveexec_b32 s17, s24
	s_cbranch_execnz .LBB1776_876
.LBB1776_891:                           ;   in Loop: Header=BB1776_693 Depth=2
	s_or_b32 exec_lo, exec_lo, s17
	s_and_saveexec_b32 s17, s25
	s_cbranch_execz .LBB1776_877
.LBB1776_892:                           ;   in Loop: Header=BB1776_693 Depth=2
	v_lshlrev_b32_e32 v2, 2, v135
	v_add_nc_u32_e32 v36, v79, v81
	ds_load_b32 v2, v2
	ds_load_b64 v[36:37], v36 offset:18432
	s_waitcnt lgkmcnt(1)
	v_add_nc_u32_e32 v2, v2, v56
	s_delay_alu instid0(VALU_DEP_1) | instskip(NEXT) | instid1(VALU_DEP_1)
	v_lshlrev_b64 v[39:40], 3, v[2:3]
	v_add_co_u32 v39, vcc_lo, s44, v39
	s_delay_alu instid0(VALU_DEP_2)
	v_add_co_ci_u32_e32 v40, vcc_lo, s45, v40, vcc_lo
	s_waitcnt lgkmcnt(0)
	global_store_b64 v[39:40], v[36:37], off
	s_or_b32 exec_lo, exec_lo, s17
	s_and_saveexec_b32 s17, s26
	s_cbranch_execnz .LBB1776_878
.LBB1776_893:                           ;   in Loop: Header=BB1776_693 Depth=2
	s_or_b32 exec_lo, exec_lo, s17
	s_and_saveexec_b32 s17, s27
	s_cbranch_execz .LBB1776_879
.LBB1776_894:                           ;   in Loop: Header=BB1776_693 Depth=2
	v_lshlrev_b32_e32 v2, 2, v133
	v_add_nc_u32_e32 v36, v79, v81
	ds_load_b32 v2, v2
	ds_load_b64 v[36:37], v36 offset:22528
	s_waitcnt lgkmcnt(1)
	v_add_nc_u32_e32 v2, v2, v58
	s_delay_alu instid0(VALU_DEP_1) | instskip(NEXT) | instid1(VALU_DEP_1)
	v_lshlrev_b64 v[39:40], 3, v[2:3]
	v_add_co_u32 v39, vcc_lo, s44, v39
	s_delay_alu instid0(VALU_DEP_2)
	v_add_co_ci_u32_e32 v40, vcc_lo, s45, v40, vcc_lo
	s_waitcnt lgkmcnt(0)
	global_store_b64 v[39:40], v[36:37], off
	s_or_b32 exec_lo, exec_lo, s17
	s_and_saveexec_b32 s17, s28
	s_cbranch_execnz .LBB1776_880
.LBB1776_895:                           ;   in Loop: Header=BB1776_693 Depth=2
	s_or_b32 exec_lo, exec_lo, s17
	s_and_saveexec_b32 s17, s29
	s_cbranch_execz .LBB1776_881
.LBB1776_896:                           ;   in Loop: Header=BB1776_693 Depth=2
	v_lshlrev_b32_e32 v2, 2, v131
	v_add_nc_u32_e32 v36, v79, v81
	ds_load_b32 v2, v2
	ds_load_b64 v[36:37], v36 offset:26624
	s_waitcnt lgkmcnt(1)
	v_add_nc_u32_e32 v2, v2, v60
	s_delay_alu instid0(VALU_DEP_1) | instskip(NEXT) | instid1(VALU_DEP_1)
	v_lshlrev_b64 v[39:40], 3, v[2:3]
	v_add_co_u32 v39, vcc_lo, s44, v39
	s_delay_alu instid0(VALU_DEP_2)
	v_add_co_ci_u32_e32 v40, vcc_lo, s45, v40, vcc_lo
	s_waitcnt lgkmcnt(0)
	global_store_b64 v[39:40], v[36:37], off
	s_or_b32 exec_lo, exec_lo, s17
	s_and_saveexec_b32 s17, s30
	s_cbranch_execnz .LBB1776_882
.LBB1776_897:                           ;   in Loop: Header=BB1776_693 Depth=2
	s_or_b32 exec_lo, exec_lo, s17
	s_and_saveexec_b32 s17, s31
	s_cbranch_execz .LBB1776_899
.LBB1776_898:                           ;   in Loop: Header=BB1776_693 Depth=2
	v_lshlrev_b32_e32 v2, 2, v129
	v_add_nc_u32_e32 v36, v79, v81
	ds_load_b32 v2, v2
	ds_load_b64 v[36:37], v36 offset:30720
	s_waitcnt lgkmcnt(1)
	v_add_nc_u32_e32 v2, v2, v63
	s_delay_alu instid0(VALU_DEP_1) | instskip(NEXT) | instid1(VALU_DEP_1)
	v_lshlrev_b64 v[39:40], 3, v[2:3]
	v_add_co_u32 v39, vcc_lo, s44, v39
	s_delay_alu instid0(VALU_DEP_2)
	v_add_co_ci_u32_e32 v40, vcc_lo, s45, v40, vcc_lo
	s_waitcnt lgkmcnt(0)
	global_store_b64 v[39:40], v[36:37], off
.LBB1776_899:                           ;   in Loop: Header=BB1776_693 Depth=2
	s_or_b32 exec_lo, exec_lo, s17
	s_waitcnt_vscnt null, 0x0
	s_barrier
	buffer_gl0_inv
	s_and_saveexec_b32 s17, s2
	s_cbranch_execz .LBB1776_692
; %bb.900:                              ;   in Loop: Header=BB1776_693 Depth=2
	ds_load_b32 v2, v44
	s_waitcnt lgkmcnt(0)
	v_add_nc_u32_e32 v2, v2, v38
	ds_store_b32 v44, v2
	s_branch .LBB1776_692
.LBB1776_901:                           ;   in Loop: Header=BB1776_17 Depth=1
	s_waitcnt lgkmcnt(0)
	s_mov_b32 s0, 0
	s_barrier
.LBB1776_902:                           ;   in Loop: Header=BB1776_17 Depth=1
	s_and_b32 vcc_lo, exec_lo, s0
	s_cbranch_vccz .LBB1776_16
; %bb.903:                              ;   in Loop: Header=BB1776_17 Depth=1
	s_mov_b32 s8, s54
	s_mov_b32 s34, s52
	s_barrier
	buffer_gl0_inv
                                        ; implicit-def: $vgpr20
                                        ; implicit-def: $vgpr2
                                        ; implicit-def: $vgpr6
                                        ; implicit-def: $vgpr7
                                        ; implicit-def: $vgpr8
                                        ; implicit-def: $vgpr9
                                        ; implicit-def: $vgpr10
                                        ; implicit-def: $vgpr11
                                        ; implicit-def: $vgpr12
                                        ; implicit-def: $vgpr13
                                        ; implicit-def: $vgpr14
                                        ; implicit-def: $vgpr15
                                        ; implicit-def: $vgpr16
                                        ; implicit-def: $vgpr17
                                        ; implicit-def: $vgpr18
                                        ; implicit-def: $vgpr19
	s_branch .LBB1776_905
.LBB1776_904:                           ;   in Loop: Header=BB1776_905 Depth=2
	s_or_b32 exec_lo, exec_lo, s0
	s_addk_i32 s8, 0xf000
	s_cmp_ge_u32 s9, s53
	s_mov_b32 s34, s9
	s_cbranch_scc1 .LBB1776_975
.LBB1776_905:                           ;   Parent Loop BB1776_17 Depth=1
                                        ; =>  This Inner Loop Header: Depth=2
	s_add_i32 s9, s34, 0x1000
	s_delay_alu instid0(SALU_CYCLE_1)
	s_cmp_gt_u32 s9, s53
	s_cbranch_scc1 .LBB1776_908
; %bb.906:                              ;   in Loop: Header=BB1776_905 Depth=2
	s_mov_b32 s1, 0
	s_mov_b32 s0, s34
	s_delay_alu instid0(SALU_CYCLE_1) | instskip(NEXT) | instid1(SALU_CYCLE_1)
	s_lshl_b64 s[10:11], s[0:1], 1
	v_add_co_u32 v4, vcc_lo, v88, s10
	v_add_co_ci_u32_e32 v5, vcc_lo, s11, v89, vcc_lo
	s_movk_i32 s11, 0x1000
	s_waitcnt vmcnt(0)
	s_delay_alu instid0(VALU_DEP_2) | instskip(NEXT) | instid1(VALU_DEP_2)
	v_add_co_u32 v36, vcc_lo, 0x1000, v4
	v_add_co_ci_u32_e32 v37, vcc_lo, 0, v5, vcc_lo
	s_clause 0xe
	global_load_u16 v22, v[4:5], off
	global_load_u16 v23, v[4:5], off offset:512
	global_load_u16 v24, v[4:5], off offset:1024
	;; [unrolled: 1-line block ×7, first 2 shown]
	global_load_u16 v30, v[36:37], off
	global_load_u16 v31, v[36:37], off offset:512
	global_load_u16 v32, v[36:37], off offset:1024
	;; [unrolled: 1-line block ×6, first 2 shown]
	v_add_co_u32 v4, vcc_lo, 0x1e00, v4
	v_add_co_ci_u32_e32 v5, vcc_lo, 0, v5, vcc_lo
	s_mov_b32 s10, -1
	s_cbranch_execz .LBB1776_909
; %bb.907:                              ;   in Loop: Header=BB1776_905 Depth=2
                                        ; implicit-def: $vgpr19
                                        ; implicit-def: $vgpr18
                                        ; implicit-def: $vgpr17
                                        ; implicit-def: $vgpr16
                                        ; implicit-def: $vgpr15
                                        ; implicit-def: $vgpr14
                                        ; implicit-def: $vgpr13
                                        ; implicit-def: $vgpr12
                                        ; implicit-def: $vgpr11
                                        ; implicit-def: $vgpr10
                                        ; implicit-def: $vgpr9
                                        ; implicit-def: $vgpr8
                                        ; implicit-def: $vgpr7
                                        ; implicit-def: $vgpr6
                                        ; implicit-def: $vgpr2
                                        ; implicit-def: $vgpr20
	v_mov_b32_e32 v21, s8
	s_and_saveexec_b32 s0, s10
	s_cbranch_execnz .LBB1776_928
	s_branch .LBB1776_929
.LBB1776_908:                           ;   in Loop: Header=BB1776_905 Depth=2
	s_mov_b32 s10, 0
                                        ; implicit-def: $sgpr11
                                        ; implicit-def: $vgpr22
                                        ; implicit-def: $vgpr23
                                        ; implicit-def: $vgpr24
                                        ; implicit-def: $vgpr25
                                        ; implicit-def: $vgpr26
                                        ; implicit-def: $vgpr27
                                        ; implicit-def: $vgpr28
                                        ; implicit-def: $vgpr29
                                        ; implicit-def: $vgpr30
                                        ; implicit-def: $vgpr31
                                        ; implicit-def: $vgpr32
                                        ; implicit-def: $vgpr33
                                        ; implicit-def: $vgpr34
                                        ; implicit-def: $vgpr35
                                        ; implicit-def: $vgpr36
                                        ; implicit-def: $vgpr4_vgpr5
.LBB1776_909:                           ;   in Loop: Header=BB1776_905 Depth=2
	s_lshl_b64 s[0:1], s[34:35], 1
	s_mov_b32 s11, exec_lo
	s_add_u32 s0, s36, s0
	s_addc_u32 s1, s37, s1
	v_cmpx_gt_u32_e64 s8, v1
	s_cbranch_execz .LBB1776_961
; %bb.910:                              ;   in Loop: Header=BB1776_905 Depth=2
	global_load_u16 v19, v95, s[0:1]
	s_or_b32 exec_lo, exec_lo, s11
	s_delay_alu instid0(SALU_CYCLE_1)
	s_mov_b32 s11, exec_lo
	v_cmpx_gt_u32_e64 s8, v45
	s_cbranch_execnz .LBB1776_962
.LBB1776_911:                           ;   in Loop: Header=BB1776_905 Depth=2
	s_or_b32 exec_lo, exec_lo, s11
	s_delay_alu instid0(SALU_CYCLE_1)
	s_mov_b32 s11, exec_lo
	v_cmpx_gt_u32_e64 s8, v46
	s_cbranch_execz .LBB1776_963
.LBB1776_912:                           ;   in Loop: Header=BB1776_905 Depth=2
	global_load_u16 v17, v95, s[0:1] offset:1024
	s_or_b32 exec_lo, exec_lo, s11
	s_delay_alu instid0(SALU_CYCLE_1)
	s_mov_b32 s11, exec_lo
	v_cmpx_gt_u32_e64 s8, v47
	s_cbranch_execnz .LBB1776_964
.LBB1776_913:                           ;   in Loop: Header=BB1776_905 Depth=2
	s_or_b32 exec_lo, exec_lo, s11
	s_delay_alu instid0(SALU_CYCLE_1)
	s_mov_b32 s11, exec_lo
	v_cmpx_gt_u32_e64 s8, v51
	s_cbranch_execz .LBB1776_965
.LBB1776_914:                           ;   in Loop: Header=BB1776_905 Depth=2
	global_load_u16 v15, v95, s[0:1] offset:2048
	s_or_b32 exec_lo, exec_lo, s11
	s_delay_alu instid0(SALU_CYCLE_1)
	s_mov_b32 s11, exec_lo
	v_cmpx_gt_u32_e64 s8, v52
	s_cbranch_execnz .LBB1776_966
.LBB1776_915:                           ;   in Loop: Header=BB1776_905 Depth=2
	s_or_b32 exec_lo, exec_lo, s11
	s_delay_alu instid0(SALU_CYCLE_1)
	s_mov_b32 s11, exec_lo
	v_cmpx_gt_u32_e64 s8, v53
	s_cbranch_execz .LBB1776_967
.LBB1776_916:                           ;   in Loop: Header=BB1776_905 Depth=2
	global_load_u16 v13, v95, s[0:1] offset:3072
	s_or_b32 exec_lo, exec_lo, s11
	s_delay_alu instid0(SALU_CYCLE_1)
	s_mov_b32 s11, exec_lo
	v_cmpx_gt_u32_e64 s8, v54
	s_cbranch_execnz .LBB1776_968
.LBB1776_917:                           ;   in Loop: Header=BB1776_905 Depth=2
	s_or_b32 exec_lo, exec_lo, s11
	s_delay_alu instid0(SALU_CYCLE_1)
	s_mov_b32 s11, exec_lo
	v_cmpx_gt_u32_e64 s8, v55
	s_cbranch_execz .LBB1776_969
.LBB1776_918:                           ;   in Loop: Header=BB1776_905 Depth=2
	global_load_u16 v11, v96, s[0:1]
	s_or_b32 exec_lo, exec_lo, s11
	s_delay_alu instid0(SALU_CYCLE_1)
	s_mov_b32 s11, exec_lo
	v_cmpx_gt_u32_e64 s8, v56
	s_cbranch_execnz .LBB1776_970
.LBB1776_919:                           ;   in Loop: Header=BB1776_905 Depth=2
	s_or_b32 exec_lo, exec_lo, s11
	s_delay_alu instid0(SALU_CYCLE_1)
	s_mov_b32 s11, exec_lo
	v_cmpx_gt_u32_e64 s8, v57
	s_cbranch_execz .LBB1776_971
.LBB1776_920:                           ;   in Loop: Header=BB1776_905 Depth=2
	global_load_u16 v9, v98, s[0:1]
	s_or_b32 exec_lo, exec_lo, s11
	s_delay_alu instid0(SALU_CYCLE_1)
	s_mov_b32 s11, exec_lo
	v_cmpx_gt_u32_e64 s8, v58
	s_cbranch_execnz .LBB1776_972
.LBB1776_921:                           ;   in Loop: Header=BB1776_905 Depth=2
	s_or_b32 exec_lo, exec_lo, s11
	s_delay_alu instid0(SALU_CYCLE_1)
	s_mov_b32 s11, exec_lo
	v_cmpx_gt_u32_e64 s8, v59
	s_cbranch_execz .LBB1776_973
.LBB1776_922:                           ;   in Loop: Header=BB1776_905 Depth=2
	global_load_u16 v7, v100, s[0:1]
	s_or_b32 exec_lo, exec_lo, s11
	s_delay_alu instid0(SALU_CYCLE_1)
	s_mov_b32 s11, exec_lo
	v_cmpx_gt_u32_e64 s8, v60
	s_cbranch_execnz .LBB1776_974
.LBB1776_923:                           ;   in Loop: Header=BB1776_905 Depth=2
	s_or_b32 exec_lo, exec_lo, s11
	s_delay_alu instid0(SALU_CYCLE_1)
	s_mov_b32 s11, exec_lo
	v_cmpx_gt_u32_e64 s8, v61
	s_cbranch_execz .LBB1776_925
.LBB1776_924:                           ;   in Loop: Header=BB1776_905 Depth=2
	global_load_u16 v2, v102, s[0:1]
.LBB1776_925:                           ;   in Loop: Header=BB1776_905 Depth=2
	s_or_b32 exec_lo, exec_lo, s11
	s_delay_alu instid0(SALU_CYCLE_1)
	s_mov_b32 s12, exec_lo
                                        ; implicit-def: $sgpr11
                                        ; implicit-def: $vgpr4_vgpr5
	v_cmpx_gt_u32_e64 s8, v63
; %bb.926:                              ;   in Loop: Header=BB1776_905 Depth=2
	v_add_co_u32 v4, s0, s0, v103
	s_delay_alu instid0(VALU_DEP_1)
	v_add_co_ci_u32_e64 v5, null, s1, 0, s0
	s_sub_i32 s11, s53, s34
	s_or_b32 s10, s10, exec_lo
                                        ; implicit-def: $vgpr20
; %bb.927:                              ;   in Loop: Header=BB1776_905 Depth=2
	s_or_b32 exec_lo, exec_lo, s12
	s_waitcnt vmcnt(0)
	v_dual_mov_b32 v22, v19 :: v_dual_mov_b32 v23, v18
	v_dual_mov_b32 v24, v17 :: v_dual_mov_b32 v25, v16
	;; [unrolled: 1-line block ×8, first 2 shown]
	s_and_saveexec_b32 s0, s10
	s_cbranch_execz .LBB1776_929
.LBB1776_928:                           ;   in Loop: Header=BB1776_905 Depth=2
	global_load_u16 v20, v[4:5], off
	s_waitcnt vmcnt(1)
	v_dual_mov_b32 v21, s11 :: v_dual_mov_b32 v2, v36
	v_dual_mov_b32 v6, v35 :: v_dual_mov_b32 v7, v34
	;; [unrolled: 1-line block ×8, first 2 shown]
.LBB1776_929:                           ;   in Loop: Header=BB1776_905 Depth=2
	s_or_b32 exec_lo, exec_lo, s0
	v_lshlrev_b32_e32 v4, 2, v48
	s_mov_b32 s0, exec_lo
	v_cmpx_lt_u32_e64 v1, v21
	s_cbranch_execz .LBB1776_945
; %bb.930:                              ;   in Loop: Header=BB1776_905 Depth=2
	v_cmp_gt_i16_e32 vcc_lo, 0, v19
	v_cndmask_b32_e64 v5, 0x7fff, 0, vcc_lo
	s_delay_alu instid0(VALU_DEP_1) | instskip(NEXT) | instid1(VALU_DEP_1)
	v_xor_b32_e32 v5, v5, v19
	v_cmp_ne_u16_e32 vcc_lo, 0x8000, v5
	v_cndmask_b32_e32 v5, 0x7fff, v5, vcc_lo
	s_delay_alu instid0(VALU_DEP_1) | instskip(NEXT) | instid1(VALU_DEP_1)
	v_and_b32_e32 v5, 0xffff, v5
	v_lshrrev_b32_e32 v5, s49, v5
	s_delay_alu instid0(VALU_DEP_1) | instskip(NEXT) | instid1(VALU_DEP_1)
	v_and_b32_e32 v5, s55, v5
	v_lshl_or_b32 v5, v5, 4, v4
	ds_add_u32 v5, v94
	s_or_b32 exec_lo, exec_lo, s0
	s_delay_alu instid0(SALU_CYCLE_1)
	s_mov_b32 s0, exec_lo
	v_cmpx_lt_u32_e64 v45, v21
	s_cbranch_execnz .LBB1776_946
.LBB1776_931:                           ;   in Loop: Header=BB1776_905 Depth=2
	s_or_b32 exec_lo, exec_lo, s0
	s_delay_alu instid0(SALU_CYCLE_1)
	s_mov_b32 s0, exec_lo
	v_cmpx_lt_u32_e64 v46, v21
	s_cbranch_execz .LBB1776_947
.LBB1776_932:                           ;   in Loop: Header=BB1776_905 Depth=2
	v_cmp_gt_i16_e32 vcc_lo, 0, v17
	v_cndmask_b32_e64 v5, 0x7fff, 0, vcc_lo
	s_delay_alu instid0(VALU_DEP_1) | instskip(NEXT) | instid1(VALU_DEP_1)
	v_xor_b32_e32 v5, v5, v17
	v_cmp_ne_u16_e32 vcc_lo, 0x8000, v5
	v_cndmask_b32_e32 v5, 0x7fff, v5, vcc_lo
	s_delay_alu instid0(VALU_DEP_1) | instskip(NEXT) | instid1(VALU_DEP_1)
	v_and_b32_e32 v5, 0xffff, v5
	v_lshrrev_b32_e32 v5, s49, v5
	s_delay_alu instid0(VALU_DEP_1) | instskip(NEXT) | instid1(VALU_DEP_1)
	v_and_b32_e32 v5, s55, v5
	v_lshl_or_b32 v5, v5, 4, v4
	ds_add_u32 v5, v94
	s_or_b32 exec_lo, exec_lo, s0
	s_delay_alu instid0(SALU_CYCLE_1)
	s_mov_b32 s0, exec_lo
	v_cmpx_lt_u32_e64 v47, v21
	s_cbranch_execnz .LBB1776_948
.LBB1776_933:                           ;   in Loop: Header=BB1776_905 Depth=2
	s_or_b32 exec_lo, exec_lo, s0
	s_delay_alu instid0(SALU_CYCLE_1)
	s_mov_b32 s0, exec_lo
	v_cmpx_lt_u32_e64 v51, v21
	s_cbranch_execz .LBB1776_949
.LBB1776_934:                           ;   in Loop: Header=BB1776_905 Depth=2
	v_cmp_gt_i16_e32 vcc_lo, 0, v15
	v_cndmask_b32_e64 v5, 0x7fff, 0, vcc_lo
	s_delay_alu instid0(VALU_DEP_1) | instskip(NEXT) | instid1(VALU_DEP_1)
	v_xor_b32_e32 v5, v5, v15
	v_cmp_ne_u16_e32 vcc_lo, 0x8000, v5
	v_cndmask_b32_e32 v5, 0x7fff, v5, vcc_lo
	s_delay_alu instid0(VALU_DEP_1) | instskip(NEXT) | instid1(VALU_DEP_1)
	v_and_b32_e32 v5, 0xffff, v5
	v_lshrrev_b32_e32 v5, s49, v5
	s_delay_alu instid0(VALU_DEP_1) | instskip(NEXT) | instid1(VALU_DEP_1)
	v_and_b32_e32 v5, s55, v5
	v_lshl_or_b32 v5, v5, 4, v4
	ds_add_u32 v5, v94
	s_or_b32 exec_lo, exec_lo, s0
	s_delay_alu instid0(SALU_CYCLE_1)
	s_mov_b32 s0, exec_lo
	v_cmpx_lt_u32_e64 v52, v21
	s_cbranch_execnz .LBB1776_950
.LBB1776_935:                           ;   in Loop: Header=BB1776_905 Depth=2
	s_or_b32 exec_lo, exec_lo, s0
	s_delay_alu instid0(SALU_CYCLE_1)
	s_mov_b32 s0, exec_lo
	v_cmpx_lt_u32_e64 v53, v21
	s_cbranch_execz .LBB1776_951
.LBB1776_936:                           ;   in Loop: Header=BB1776_905 Depth=2
	v_cmp_gt_i16_e32 vcc_lo, 0, v13
	v_cndmask_b32_e64 v5, 0x7fff, 0, vcc_lo
	s_delay_alu instid0(VALU_DEP_1) | instskip(NEXT) | instid1(VALU_DEP_1)
	v_xor_b32_e32 v5, v5, v13
	v_cmp_ne_u16_e32 vcc_lo, 0x8000, v5
	v_cndmask_b32_e32 v5, 0x7fff, v5, vcc_lo
	s_delay_alu instid0(VALU_DEP_1) | instskip(NEXT) | instid1(VALU_DEP_1)
	v_and_b32_e32 v5, 0xffff, v5
	v_lshrrev_b32_e32 v5, s49, v5
	s_delay_alu instid0(VALU_DEP_1) | instskip(NEXT) | instid1(VALU_DEP_1)
	v_and_b32_e32 v5, s55, v5
	v_lshl_or_b32 v5, v5, 4, v4
	ds_add_u32 v5, v94
	s_or_b32 exec_lo, exec_lo, s0
	s_delay_alu instid0(SALU_CYCLE_1)
	s_mov_b32 s0, exec_lo
	v_cmpx_lt_u32_e64 v54, v21
	s_cbranch_execnz .LBB1776_952
.LBB1776_937:                           ;   in Loop: Header=BB1776_905 Depth=2
	s_or_b32 exec_lo, exec_lo, s0
	s_delay_alu instid0(SALU_CYCLE_1)
	s_mov_b32 s0, exec_lo
	v_cmpx_lt_u32_e64 v55, v21
	s_cbranch_execz .LBB1776_953
.LBB1776_938:                           ;   in Loop: Header=BB1776_905 Depth=2
	v_cmp_gt_i16_e32 vcc_lo, 0, v11
	v_cndmask_b32_e64 v5, 0x7fff, 0, vcc_lo
	s_delay_alu instid0(VALU_DEP_1) | instskip(NEXT) | instid1(VALU_DEP_1)
	v_xor_b32_e32 v5, v5, v11
	v_cmp_ne_u16_e32 vcc_lo, 0x8000, v5
	v_cndmask_b32_e32 v5, 0x7fff, v5, vcc_lo
	s_delay_alu instid0(VALU_DEP_1) | instskip(NEXT) | instid1(VALU_DEP_1)
	v_and_b32_e32 v5, 0xffff, v5
	v_lshrrev_b32_e32 v5, s49, v5
	s_delay_alu instid0(VALU_DEP_1) | instskip(NEXT) | instid1(VALU_DEP_1)
	v_and_b32_e32 v5, s55, v5
	v_lshl_or_b32 v5, v5, 4, v4
	ds_add_u32 v5, v94
	s_or_b32 exec_lo, exec_lo, s0
	s_delay_alu instid0(SALU_CYCLE_1)
	s_mov_b32 s0, exec_lo
	v_cmpx_lt_u32_e64 v56, v21
	s_cbranch_execnz .LBB1776_954
.LBB1776_939:                           ;   in Loop: Header=BB1776_905 Depth=2
	s_or_b32 exec_lo, exec_lo, s0
	s_delay_alu instid0(SALU_CYCLE_1)
	s_mov_b32 s0, exec_lo
	v_cmpx_lt_u32_e64 v57, v21
	s_cbranch_execz .LBB1776_955
.LBB1776_940:                           ;   in Loop: Header=BB1776_905 Depth=2
	v_cmp_gt_i16_e32 vcc_lo, 0, v9
	v_cndmask_b32_e64 v5, 0x7fff, 0, vcc_lo
	s_delay_alu instid0(VALU_DEP_1) | instskip(NEXT) | instid1(VALU_DEP_1)
	v_xor_b32_e32 v5, v5, v9
	v_cmp_ne_u16_e32 vcc_lo, 0x8000, v5
	v_cndmask_b32_e32 v5, 0x7fff, v5, vcc_lo
	s_delay_alu instid0(VALU_DEP_1) | instskip(NEXT) | instid1(VALU_DEP_1)
	v_and_b32_e32 v5, 0xffff, v5
	v_lshrrev_b32_e32 v5, s49, v5
	s_delay_alu instid0(VALU_DEP_1) | instskip(NEXT) | instid1(VALU_DEP_1)
	v_and_b32_e32 v5, s55, v5
	v_lshl_or_b32 v5, v5, 4, v4
	ds_add_u32 v5, v94
	s_or_b32 exec_lo, exec_lo, s0
	s_delay_alu instid0(SALU_CYCLE_1)
	s_mov_b32 s0, exec_lo
	v_cmpx_lt_u32_e64 v58, v21
	s_cbranch_execnz .LBB1776_956
.LBB1776_941:                           ;   in Loop: Header=BB1776_905 Depth=2
	s_or_b32 exec_lo, exec_lo, s0
	s_delay_alu instid0(SALU_CYCLE_1)
	s_mov_b32 s0, exec_lo
	v_cmpx_lt_u32_e64 v59, v21
	s_cbranch_execz .LBB1776_957
.LBB1776_942:                           ;   in Loop: Header=BB1776_905 Depth=2
	v_cmp_gt_i16_e32 vcc_lo, 0, v7
	v_cndmask_b32_e64 v5, 0x7fff, 0, vcc_lo
	s_delay_alu instid0(VALU_DEP_1) | instskip(NEXT) | instid1(VALU_DEP_1)
	v_xor_b32_e32 v5, v5, v7
	v_cmp_ne_u16_e32 vcc_lo, 0x8000, v5
	v_cndmask_b32_e32 v5, 0x7fff, v5, vcc_lo
	s_delay_alu instid0(VALU_DEP_1) | instskip(NEXT) | instid1(VALU_DEP_1)
	v_and_b32_e32 v5, 0xffff, v5
	v_lshrrev_b32_e32 v5, s49, v5
	s_delay_alu instid0(VALU_DEP_1) | instskip(NEXT) | instid1(VALU_DEP_1)
	v_and_b32_e32 v5, s55, v5
	v_lshl_or_b32 v5, v5, 4, v4
	ds_add_u32 v5, v94
	s_or_b32 exec_lo, exec_lo, s0
	s_delay_alu instid0(SALU_CYCLE_1)
	s_mov_b32 s0, exec_lo
	v_cmpx_lt_u32_e64 v60, v21
	s_cbranch_execnz .LBB1776_958
.LBB1776_943:                           ;   in Loop: Header=BB1776_905 Depth=2
	s_or_b32 exec_lo, exec_lo, s0
	s_delay_alu instid0(SALU_CYCLE_1)
	s_mov_b32 s0, exec_lo
	v_cmpx_lt_u32_e64 v61, v21
	s_cbranch_execz .LBB1776_959
.LBB1776_944:                           ;   in Loop: Header=BB1776_905 Depth=2
	v_cmp_gt_i16_e32 vcc_lo, 0, v2
	v_cndmask_b32_e64 v5, 0x7fff, 0, vcc_lo
	s_delay_alu instid0(VALU_DEP_1) | instskip(NEXT) | instid1(VALU_DEP_1)
	v_xor_b32_e32 v5, v5, v2
	v_cmp_ne_u16_e32 vcc_lo, 0x8000, v5
	v_cndmask_b32_e32 v5, 0x7fff, v5, vcc_lo
	s_delay_alu instid0(VALU_DEP_1) | instskip(NEXT) | instid1(VALU_DEP_1)
	v_and_b32_e32 v5, 0xffff, v5
	v_lshrrev_b32_e32 v5, s49, v5
	s_delay_alu instid0(VALU_DEP_1) | instskip(NEXT) | instid1(VALU_DEP_1)
	v_and_b32_e32 v5, s55, v5
	v_lshl_or_b32 v5, v5, 4, v4
	ds_add_u32 v5, v94
	s_or_b32 exec_lo, exec_lo, s0
	s_delay_alu instid0(SALU_CYCLE_1)
	s_mov_b32 s0, exec_lo
	v_cmpx_lt_u32_e64 v63, v21
	s_cbranch_execz .LBB1776_904
	s_branch .LBB1776_960
.LBB1776_945:                           ;   in Loop: Header=BB1776_905 Depth=2
	s_or_b32 exec_lo, exec_lo, s0
	s_delay_alu instid0(SALU_CYCLE_1)
	s_mov_b32 s0, exec_lo
	v_cmpx_lt_u32_e64 v45, v21
	s_cbranch_execz .LBB1776_931
.LBB1776_946:                           ;   in Loop: Header=BB1776_905 Depth=2
	v_cmp_gt_i16_e32 vcc_lo, 0, v18
	v_cndmask_b32_e64 v5, 0x7fff, 0, vcc_lo
	s_delay_alu instid0(VALU_DEP_1) | instskip(NEXT) | instid1(VALU_DEP_1)
	v_xor_b32_e32 v5, v5, v18
	v_cmp_ne_u16_e32 vcc_lo, 0x8000, v5
	v_cndmask_b32_e32 v5, 0x7fff, v5, vcc_lo
	s_delay_alu instid0(VALU_DEP_1) | instskip(NEXT) | instid1(VALU_DEP_1)
	v_and_b32_e32 v5, 0xffff, v5
	v_lshrrev_b32_e32 v5, s49, v5
	s_delay_alu instid0(VALU_DEP_1) | instskip(NEXT) | instid1(VALU_DEP_1)
	v_and_b32_e32 v5, s55, v5
	v_lshl_or_b32 v5, v5, 4, v4
	ds_add_u32 v5, v94
	s_or_b32 exec_lo, exec_lo, s0
	s_delay_alu instid0(SALU_CYCLE_1)
	s_mov_b32 s0, exec_lo
	v_cmpx_lt_u32_e64 v46, v21
	s_cbranch_execnz .LBB1776_932
.LBB1776_947:                           ;   in Loop: Header=BB1776_905 Depth=2
	s_or_b32 exec_lo, exec_lo, s0
	s_delay_alu instid0(SALU_CYCLE_1)
	s_mov_b32 s0, exec_lo
	v_cmpx_lt_u32_e64 v47, v21
	s_cbranch_execz .LBB1776_933
.LBB1776_948:                           ;   in Loop: Header=BB1776_905 Depth=2
	v_cmp_gt_i16_e32 vcc_lo, 0, v16
	v_cndmask_b32_e64 v5, 0x7fff, 0, vcc_lo
	s_delay_alu instid0(VALU_DEP_1) | instskip(NEXT) | instid1(VALU_DEP_1)
	v_xor_b32_e32 v5, v5, v16
	v_cmp_ne_u16_e32 vcc_lo, 0x8000, v5
	v_cndmask_b32_e32 v5, 0x7fff, v5, vcc_lo
	s_delay_alu instid0(VALU_DEP_1) | instskip(NEXT) | instid1(VALU_DEP_1)
	v_and_b32_e32 v5, 0xffff, v5
	v_lshrrev_b32_e32 v5, s49, v5
	s_delay_alu instid0(VALU_DEP_1) | instskip(NEXT) | instid1(VALU_DEP_1)
	v_and_b32_e32 v5, s55, v5
	v_lshl_or_b32 v5, v5, 4, v4
	ds_add_u32 v5, v94
	s_or_b32 exec_lo, exec_lo, s0
	s_delay_alu instid0(SALU_CYCLE_1)
	s_mov_b32 s0, exec_lo
	v_cmpx_lt_u32_e64 v51, v21
	s_cbranch_execnz .LBB1776_934
.LBB1776_949:                           ;   in Loop: Header=BB1776_905 Depth=2
	s_or_b32 exec_lo, exec_lo, s0
	s_delay_alu instid0(SALU_CYCLE_1)
	s_mov_b32 s0, exec_lo
	v_cmpx_lt_u32_e64 v52, v21
	s_cbranch_execz .LBB1776_935
.LBB1776_950:                           ;   in Loop: Header=BB1776_905 Depth=2
	v_cmp_gt_i16_e32 vcc_lo, 0, v14
	v_cndmask_b32_e64 v5, 0x7fff, 0, vcc_lo
	s_delay_alu instid0(VALU_DEP_1) | instskip(NEXT) | instid1(VALU_DEP_1)
	v_xor_b32_e32 v5, v5, v14
	v_cmp_ne_u16_e32 vcc_lo, 0x8000, v5
	v_cndmask_b32_e32 v5, 0x7fff, v5, vcc_lo
	s_delay_alu instid0(VALU_DEP_1) | instskip(NEXT) | instid1(VALU_DEP_1)
	v_and_b32_e32 v5, 0xffff, v5
	v_lshrrev_b32_e32 v5, s49, v5
	s_delay_alu instid0(VALU_DEP_1) | instskip(NEXT) | instid1(VALU_DEP_1)
	v_and_b32_e32 v5, s55, v5
	v_lshl_or_b32 v5, v5, 4, v4
	ds_add_u32 v5, v94
	s_or_b32 exec_lo, exec_lo, s0
	s_delay_alu instid0(SALU_CYCLE_1)
	s_mov_b32 s0, exec_lo
	v_cmpx_lt_u32_e64 v53, v21
	s_cbranch_execnz .LBB1776_936
.LBB1776_951:                           ;   in Loop: Header=BB1776_905 Depth=2
	s_or_b32 exec_lo, exec_lo, s0
	s_delay_alu instid0(SALU_CYCLE_1)
	s_mov_b32 s0, exec_lo
	v_cmpx_lt_u32_e64 v54, v21
	s_cbranch_execz .LBB1776_937
.LBB1776_952:                           ;   in Loop: Header=BB1776_905 Depth=2
	v_cmp_gt_i16_e32 vcc_lo, 0, v12
	v_cndmask_b32_e64 v5, 0x7fff, 0, vcc_lo
	s_delay_alu instid0(VALU_DEP_1) | instskip(NEXT) | instid1(VALU_DEP_1)
	v_xor_b32_e32 v5, v5, v12
	v_cmp_ne_u16_e32 vcc_lo, 0x8000, v5
	v_cndmask_b32_e32 v5, 0x7fff, v5, vcc_lo
	s_delay_alu instid0(VALU_DEP_1) | instskip(NEXT) | instid1(VALU_DEP_1)
	v_and_b32_e32 v5, 0xffff, v5
	v_lshrrev_b32_e32 v5, s49, v5
	s_delay_alu instid0(VALU_DEP_1) | instskip(NEXT) | instid1(VALU_DEP_1)
	v_and_b32_e32 v5, s55, v5
	v_lshl_or_b32 v5, v5, 4, v4
	ds_add_u32 v5, v94
	s_or_b32 exec_lo, exec_lo, s0
	s_delay_alu instid0(SALU_CYCLE_1)
	s_mov_b32 s0, exec_lo
	v_cmpx_lt_u32_e64 v55, v21
	s_cbranch_execnz .LBB1776_938
.LBB1776_953:                           ;   in Loop: Header=BB1776_905 Depth=2
	s_or_b32 exec_lo, exec_lo, s0
	s_delay_alu instid0(SALU_CYCLE_1)
	s_mov_b32 s0, exec_lo
	v_cmpx_lt_u32_e64 v56, v21
	s_cbranch_execz .LBB1776_939
.LBB1776_954:                           ;   in Loop: Header=BB1776_905 Depth=2
	v_cmp_gt_i16_e32 vcc_lo, 0, v10
	v_cndmask_b32_e64 v5, 0x7fff, 0, vcc_lo
	s_delay_alu instid0(VALU_DEP_1) | instskip(NEXT) | instid1(VALU_DEP_1)
	v_xor_b32_e32 v5, v5, v10
	v_cmp_ne_u16_e32 vcc_lo, 0x8000, v5
	v_cndmask_b32_e32 v5, 0x7fff, v5, vcc_lo
	s_delay_alu instid0(VALU_DEP_1) | instskip(NEXT) | instid1(VALU_DEP_1)
	v_and_b32_e32 v5, 0xffff, v5
	v_lshrrev_b32_e32 v5, s49, v5
	s_delay_alu instid0(VALU_DEP_1) | instskip(NEXT) | instid1(VALU_DEP_1)
	v_and_b32_e32 v5, s55, v5
	v_lshl_or_b32 v5, v5, 4, v4
	ds_add_u32 v5, v94
	s_or_b32 exec_lo, exec_lo, s0
	s_delay_alu instid0(SALU_CYCLE_1)
	s_mov_b32 s0, exec_lo
	v_cmpx_lt_u32_e64 v57, v21
	s_cbranch_execnz .LBB1776_940
.LBB1776_955:                           ;   in Loop: Header=BB1776_905 Depth=2
	s_or_b32 exec_lo, exec_lo, s0
	s_delay_alu instid0(SALU_CYCLE_1)
	s_mov_b32 s0, exec_lo
	v_cmpx_lt_u32_e64 v58, v21
	s_cbranch_execz .LBB1776_941
.LBB1776_956:                           ;   in Loop: Header=BB1776_905 Depth=2
	v_cmp_gt_i16_e32 vcc_lo, 0, v8
	v_cndmask_b32_e64 v5, 0x7fff, 0, vcc_lo
	s_delay_alu instid0(VALU_DEP_1) | instskip(NEXT) | instid1(VALU_DEP_1)
	v_xor_b32_e32 v5, v5, v8
	v_cmp_ne_u16_e32 vcc_lo, 0x8000, v5
	v_cndmask_b32_e32 v5, 0x7fff, v5, vcc_lo
	s_delay_alu instid0(VALU_DEP_1) | instskip(NEXT) | instid1(VALU_DEP_1)
	v_and_b32_e32 v5, 0xffff, v5
	v_lshrrev_b32_e32 v5, s49, v5
	s_delay_alu instid0(VALU_DEP_1) | instskip(NEXT) | instid1(VALU_DEP_1)
	v_and_b32_e32 v5, s55, v5
	v_lshl_or_b32 v5, v5, 4, v4
	ds_add_u32 v5, v94
	s_or_b32 exec_lo, exec_lo, s0
	s_delay_alu instid0(SALU_CYCLE_1)
	s_mov_b32 s0, exec_lo
	v_cmpx_lt_u32_e64 v59, v21
	s_cbranch_execnz .LBB1776_942
.LBB1776_957:                           ;   in Loop: Header=BB1776_905 Depth=2
	s_or_b32 exec_lo, exec_lo, s0
	s_delay_alu instid0(SALU_CYCLE_1)
	s_mov_b32 s0, exec_lo
	v_cmpx_lt_u32_e64 v60, v21
	s_cbranch_execz .LBB1776_943
.LBB1776_958:                           ;   in Loop: Header=BB1776_905 Depth=2
	v_cmp_gt_i16_e32 vcc_lo, 0, v6
	v_cndmask_b32_e64 v5, 0x7fff, 0, vcc_lo
	s_delay_alu instid0(VALU_DEP_1) | instskip(NEXT) | instid1(VALU_DEP_1)
	v_xor_b32_e32 v5, v5, v6
	v_cmp_ne_u16_e32 vcc_lo, 0x8000, v5
	v_cndmask_b32_e32 v5, 0x7fff, v5, vcc_lo
	s_delay_alu instid0(VALU_DEP_1) | instskip(NEXT) | instid1(VALU_DEP_1)
	v_and_b32_e32 v5, 0xffff, v5
	v_lshrrev_b32_e32 v5, s49, v5
	s_delay_alu instid0(VALU_DEP_1) | instskip(NEXT) | instid1(VALU_DEP_1)
	v_and_b32_e32 v5, s55, v5
	v_lshl_or_b32 v5, v5, 4, v4
	ds_add_u32 v5, v94
	s_or_b32 exec_lo, exec_lo, s0
	s_delay_alu instid0(SALU_CYCLE_1)
	s_mov_b32 s0, exec_lo
	v_cmpx_lt_u32_e64 v61, v21
	s_cbranch_execnz .LBB1776_944
.LBB1776_959:                           ;   in Loop: Header=BB1776_905 Depth=2
	s_or_b32 exec_lo, exec_lo, s0
	s_delay_alu instid0(SALU_CYCLE_1)
	s_mov_b32 s0, exec_lo
	v_cmpx_lt_u32_e64 v63, v21
	s_cbranch_execz .LBB1776_904
.LBB1776_960:                           ;   in Loop: Header=BB1776_905 Depth=2
	s_waitcnt vmcnt(0)
	v_cmp_gt_i16_e32 vcc_lo, 0, v20
	v_cndmask_b32_e64 v5, 0x7fff, 0, vcc_lo
	s_delay_alu instid0(VALU_DEP_1) | instskip(NEXT) | instid1(VALU_DEP_1)
	v_xor_b32_e32 v5, v5, v20
	v_cmp_ne_u16_e32 vcc_lo, 0x8000, v5
	v_cndmask_b32_e32 v5, 0x7fff, v5, vcc_lo
	s_delay_alu instid0(VALU_DEP_1) | instskip(NEXT) | instid1(VALU_DEP_1)
	v_and_b32_e32 v5, 0xffff, v5
	v_lshrrev_b32_e32 v5, s49, v5
	s_delay_alu instid0(VALU_DEP_1) | instskip(NEXT) | instid1(VALU_DEP_1)
	v_and_b32_e32 v5, s55, v5
	v_lshl_or_b32 v4, v5, 4, v4
	ds_add_u32 v4, v94
	s_branch .LBB1776_904
.LBB1776_961:                           ;   in Loop: Header=BB1776_905 Depth=2
	s_or_b32 exec_lo, exec_lo, s11
	s_delay_alu instid0(SALU_CYCLE_1)
	s_mov_b32 s11, exec_lo
	v_cmpx_gt_u32_e64 s8, v45
	s_cbranch_execz .LBB1776_911
.LBB1776_962:                           ;   in Loop: Header=BB1776_905 Depth=2
	global_load_u16 v18, v95, s[0:1] offset:512
	s_or_b32 exec_lo, exec_lo, s11
	s_delay_alu instid0(SALU_CYCLE_1)
	s_mov_b32 s11, exec_lo
	v_cmpx_gt_u32_e64 s8, v46
	s_cbranch_execnz .LBB1776_912
.LBB1776_963:                           ;   in Loop: Header=BB1776_905 Depth=2
	s_or_b32 exec_lo, exec_lo, s11
	s_delay_alu instid0(SALU_CYCLE_1)
	s_mov_b32 s11, exec_lo
	v_cmpx_gt_u32_e64 s8, v47
	s_cbranch_execz .LBB1776_913
.LBB1776_964:                           ;   in Loop: Header=BB1776_905 Depth=2
	global_load_u16 v16, v95, s[0:1] offset:1536
	s_or_b32 exec_lo, exec_lo, s11
	s_delay_alu instid0(SALU_CYCLE_1)
	s_mov_b32 s11, exec_lo
	v_cmpx_gt_u32_e64 s8, v51
	s_cbranch_execnz .LBB1776_914
.LBB1776_965:                           ;   in Loop: Header=BB1776_905 Depth=2
	s_or_b32 exec_lo, exec_lo, s11
	s_delay_alu instid0(SALU_CYCLE_1)
	s_mov_b32 s11, exec_lo
	v_cmpx_gt_u32_e64 s8, v52
	s_cbranch_execz .LBB1776_915
.LBB1776_966:                           ;   in Loop: Header=BB1776_905 Depth=2
	global_load_u16 v14, v95, s[0:1] offset:2560
	s_or_b32 exec_lo, exec_lo, s11
	s_delay_alu instid0(SALU_CYCLE_1)
	s_mov_b32 s11, exec_lo
	v_cmpx_gt_u32_e64 s8, v53
	s_cbranch_execnz .LBB1776_916
.LBB1776_967:                           ;   in Loop: Header=BB1776_905 Depth=2
	s_or_b32 exec_lo, exec_lo, s11
	s_delay_alu instid0(SALU_CYCLE_1)
	s_mov_b32 s11, exec_lo
	v_cmpx_gt_u32_e64 s8, v54
	s_cbranch_execz .LBB1776_917
.LBB1776_968:                           ;   in Loop: Header=BB1776_905 Depth=2
	global_load_u16 v12, v95, s[0:1] offset:3584
	s_or_b32 exec_lo, exec_lo, s11
	s_delay_alu instid0(SALU_CYCLE_1)
	s_mov_b32 s11, exec_lo
	v_cmpx_gt_u32_e64 s8, v55
	s_cbranch_execnz .LBB1776_918
.LBB1776_969:                           ;   in Loop: Header=BB1776_905 Depth=2
	s_or_b32 exec_lo, exec_lo, s11
	s_delay_alu instid0(SALU_CYCLE_1)
	s_mov_b32 s11, exec_lo
	v_cmpx_gt_u32_e64 s8, v56
	s_cbranch_execz .LBB1776_919
.LBB1776_970:                           ;   in Loop: Header=BB1776_905 Depth=2
	global_load_u16 v10, v97, s[0:1]
	s_or_b32 exec_lo, exec_lo, s11
	s_delay_alu instid0(SALU_CYCLE_1)
	s_mov_b32 s11, exec_lo
	v_cmpx_gt_u32_e64 s8, v57
	s_cbranch_execnz .LBB1776_920
.LBB1776_971:                           ;   in Loop: Header=BB1776_905 Depth=2
	s_or_b32 exec_lo, exec_lo, s11
	s_delay_alu instid0(SALU_CYCLE_1)
	s_mov_b32 s11, exec_lo
	v_cmpx_gt_u32_e64 s8, v58
	s_cbranch_execz .LBB1776_921
.LBB1776_972:                           ;   in Loop: Header=BB1776_905 Depth=2
	global_load_u16 v8, v99, s[0:1]
	s_or_b32 exec_lo, exec_lo, s11
	s_delay_alu instid0(SALU_CYCLE_1)
	s_mov_b32 s11, exec_lo
	v_cmpx_gt_u32_e64 s8, v59
	s_cbranch_execnz .LBB1776_922
.LBB1776_973:                           ;   in Loop: Header=BB1776_905 Depth=2
	s_or_b32 exec_lo, exec_lo, s11
	s_delay_alu instid0(SALU_CYCLE_1)
	s_mov_b32 s11, exec_lo
	v_cmpx_gt_u32_e64 s8, v60
	s_cbranch_execz .LBB1776_923
.LBB1776_974:                           ;   in Loop: Header=BB1776_905 Depth=2
	global_load_u16 v6, v101, s[0:1]
	s_or_b32 exec_lo, exec_lo, s11
	s_delay_alu instid0(SALU_CYCLE_1)
	s_mov_b32 s11, exec_lo
	v_cmpx_gt_u32_e64 s8, v61
	s_cbranch_execz .LBB1776_925
	s_branch .LBB1776_924
.LBB1776_975:                           ;   in Loop: Header=BB1776_17 Depth=1
	v_mov_b32_e32 v2, 0
	s_waitcnt vmcnt(0) lgkmcnt(0)
	s_barrier
	buffer_gl0_inv
	s_and_saveexec_b32 s0, s2
	s_cbranch_execz .LBB1776_977
; %bb.976:                              ;   in Loop: Header=BB1776_17 Depth=1
	ds_load_2addr_b64 v[4:7], v64 offset1:1
	s_waitcnt lgkmcnt(0)
	v_add_nc_u32_e32 v2, v5, v4
	s_delay_alu instid0(VALU_DEP_1)
	v_add3_u32 v2, v2, v6, v7
.LBB1776_977:                           ;   in Loop: Header=BB1776_17 Depth=1
	s_or_b32 exec_lo, exec_lo, s0
	v_and_b32_e32 v4, 15, v104
	s_delay_alu instid0(VALU_DEP_2) | instskip(SKIP_1) | instid1(VALU_DEP_3)
	v_mov_b32_dpp v5, v2 row_shr:1 row_mask:0xf bank_mask:0xf
	v_and_b32_e32 v6, 16, v104
	v_cmp_eq_u32_e64 s0, 0, v4
	v_cmp_lt_u32_e64 s1, 1, v4
	v_cmp_lt_u32_e64 s8, 3, v4
	;; [unrolled: 1-line block ×3, first 2 shown]
	v_cmp_eq_u32_e64 s10, 0, v6
	v_cndmask_b32_e64 v5, v5, 0, s0
	s_delay_alu instid0(VALU_DEP_1) | instskip(NEXT) | instid1(VALU_DEP_1)
	v_add_nc_u32_e32 v2, v5, v2
	v_mov_b32_dpp v5, v2 row_shr:2 row_mask:0xf bank_mask:0xf
	s_delay_alu instid0(VALU_DEP_1) | instskip(NEXT) | instid1(VALU_DEP_1)
	v_cndmask_b32_e64 v5, 0, v5, s1
	v_add_nc_u32_e32 v2, v2, v5
	s_delay_alu instid0(VALU_DEP_1) | instskip(NEXT) | instid1(VALU_DEP_1)
	v_mov_b32_dpp v5, v2 row_shr:4 row_mask:0xf bank_mask:0xf
	v_cndmask_b32_e64 v5, 0, v5, s8
	s_delay_alu instid0(VALU_DEP_1) | instskip(NEXT) | instid1(VALU_DEP_1)
	v_add_nc_u32_e32 v2, v2, v5
	v_mov_b32_dpp v5, v2 row_shr:8 row_mask:0xf bank_mask:0xf
	s_delay_alu instid0(VALU_DEP_1) | instskip(SKIP_1) | instid1(VALU_DEP_2)
	v_cndmask_b32_e64 v4, 0, v5, s9
	v_bfe_i32 v5, v104, 4, 1
	v_add_nc_u32_e32 v2, v2, v4
	ds_swizzle_b32 v4, v2 offset:swizzle(BROADCAST,32,15)
	s_waitcnt lgkmcnt(0)
	v_and_b32_e32 v4, v5, v4
	s_delay_alu instid0(VALU_DEP_1)
	v_add_nc_u32_e32 v4, v2, v4
	s_and_saveexec_b32 s11, s3
	s_cbranch_execz .LBB1776_979
; %bb.978:                              ;   in Loop: Header=BB1776_17 Depth=1
	ds_store_b32 v65, v4
.LBB1776_979:                           ;   in Loop: Header=BB1776_17 Depth=1
	s_or_b32 exec_lo, exec_lo, s11
	v_and_b32_e32 v2, 7, v104
	s_waitcnt lgkmcnt(0)
	s_barrier
	buffer_gl0_inv
	s_and_saveexec_b32 s11, s4
	s_cbranch_execz .LBB1776_981
; %bb.980:                              ;   in Loop: Header=BB1776_17 Depth=1
	ds_load_b32 v5, v66
	v_cmp_ne_u32_e32 vcc_lo, 0, v2
	s_waitcnt lgkmcnt(0)
	v_mov_b32_dpp v6, v5 row_shr:1 row_mask:0xf bank_mask:0xf
	s_delay_alu instid0(VALU_DEP_1) | instskip(SKIP_1) | instid1(VALU_DEP_2)
	v_cndmask_b32_e32 v6, 0, v6, vcc_lo
	v_cmp_lt_u32_e32 vcc_lo, 1, v2
	v_add_nc_u32_e32 v5, v6, v5
	s_delay_alu instid0(VALU_DEP_1) | instskip(NEXT) | instid1(VALU_DEP_1)
	v_mov_b32_dpp v6, v5 row_shr:2 row_mask:0xf bank_mask:0xf
	v_cndmask_b32_e32 v6, 0, v6, vcc_lo
	v_cmp_lt_u32_e32 vcc_lo, 3, v2
	s_delay_alu instid0(VALU_DEP_2) | instskip(NEXT) | instid1(VALU_DEP_1)
	v_add_nc_u32_e32 v5, v5, v6
	v_mov_b32_dpp v6, v5 row_shr:4 row_mask:0xf bank_mask:0xf
	s_delay_alu instid0(VALU_DEP_1) | instskip(NEXT) | instid1(VALU_DEP_1)
	v_cndmask_b32_e32 v6, 0, v6, vcc_lo
	v_add_nc_u32_e32 v5, v5, v6
	ds_store_b32 v66, v5
.LBB1776_981:                           ;   in Loop: Header=BB1776_17 Depth=1
	s_or_b32 exec_lo, exec_lo, s11
	v_mov_b32_e32 v5, 0
	s_waitcnt lgkmcnt(0)
	s_barrier
	buffer_gl0_inv
	s_and_saveexec_b32 s11, s5
	s_cbranch_execz .LBB1776_983
; %bb.982:                              ;   in Loop: Header=BB1776_17 Depth=1
	ds_load_b32 v5, v67
.LBB1776_983:                           ;   in Loop: Header=BB1776_17 Depth=1
	s_or_b32 exec_lo, exec_lo, s11
	v_add_nc_u32_e32 v6, -1, v104
	s_waitcnt lgkmcnt(0)
	v_add_nc_u32_e32 v4, v5, v4
	v_cmp_eq_u32_e64 s11, 0, v104
	s_barrier
	v_cmp_gt_i32_e32 vcc_lo, 0, v6
	buffer_gl0_inv
	v_cndmask_b32_e32 v6, v6, v104, vcc_lo
	s_delay_alu instid0(VALU_DEP_1)
	v_lshlrev_b32_e32 v105, 2, v6
	ds_bpermute_b32 v4, v105, v4
	s_and_saveexec_b32 s12, s2
	s_cbranch_execz .LBB1776_985
; %bb.984:                              ;   in Loop: Header=BB1776_17 Depth=1
	s_waitcnt lgkmcnt(0)
	v_cndmask_b32_e64 v4, v4, v5, s11
	s_delay_alu instid0(VALU_DEP_1)
	v_add_nc_u32_e32 v4, s52, v4
	ds_store_b32 v44, v4
.LBB1776_985:                           ;   in Loop: Header=BB1776_17 Depth=1
	s_or_b32 exec_lo, exec_lo, s12
	s_load_b64 s[12:13], s[42:43], 0x0
	v_lshlrev_b32_e32 v5, 3, v104
	v_or_b32_e32 v106, v104, v68
	s_mov_b32 s56, s54
	s_mov_b32 s34, s52
                                        ; implicit-def: $vgpr8_vgpr9
                                        ; implicit-def: $vgpr10_vgpr11
                                        ; implicit-def: $vgpr12_vgpr13
                                        ; implicit-def: $vgpr14_vgpr15
                                        ; implicit-def: $vgpr16_vgpr17
                                        ; implicit-def: $vgpr18_vgpr19
                                        ; implicit-def: $vgpr20_vgpr21
                                        ; implicit-def: $vgpr22_vgpr23
                                        ; implicit-def: $vgpr24_vgpr25
                                        ; implicit-def: $vgpr26_vgpr27
                                        ; implicit-def: $vgpr28_vgpr29
                                        ; implicit-def: $vgpr30_vgpr31
                                        ; implicit-def: $vgpr32_vgpr33
                                        ; implicit-def: $vgpr34_vgpr35
                                        ; implicit-def: $vgpr129
                                        ; implicit-def: $vgpr130
                                        ; implicit-def: $vgpr131
                                        ; implicit-def: $vgpr132
                                        ; implicit-def: $vgpr133
                                        ; implicit-def: $vgpr134
                                        ; implicit-def: $vgpr135
                                        ; implicit-def: $vgpr136
                                        ; implicit-def: $vgpr137
                                        ; implicit-def: $vgpr138
                                        ; implicit-def: $vgpr139
                                        ; implicit-def: $vgpr140
                                        ; implicit-def: $vgpr141
                                        ; implicit-def: $vgpr142
                                        ; implicit-def: $vgpr143
                                        ; implicit-def: $vgpr144
	s_delay_alu instid0(VALU_DEP_2)
	v_add_co_u32 v107, vcc_lo, v90, v5
	v_add_co_ci_u32_e32 v108, vcc_lo, 0, v91, vcc_lo
	v_or_b32_e32 v109, 32, v106
	v_or_b32_e32 v110, 64, v106
	;; [unrolled: 1-line block ×10, first 2 shown]
	s_waitcnt lgkmcnt(0)
	s_cmp_lt_u32 s15, s13
	v_or_b32_e32 v119, 0x160, v106
	s_cselect_b32 s13, 14, 20
	v_or_b32_e32 v120, 0x180, v106
	s_add_u32 s16, s42, s13
	s_addc_u32 s17, s43, 0
	s_cmp_lt_u32 s14, s12
	global_load_u16 v4, v3, s[16:17]
	s_cselect_b32 s12, 12, 18
	v_or_b32_e32 v121, 0x1a0, v106
	s_add_u32 s12, s42, s12
	s_addc_u32 s13, s43, 0
	v_or_b32_e32 v122, 0x1c0, v106
	global_load_u16 v6, v3, s[12:13]
	v_cmp_eq_u32_e64 s12, 0, v2
	v_cmp_lt_u32_e64 s13, 1, v2
	v_cmp_lt_u32_e64 s16, 3, v2
	v_lshlrev_b32_e32 v2, 1, v104
	v_or_b32_e32 v123, 0x1e0, v106
	s_delay_alu instid0(VALU_DEP_2) | instskip(SKIP_1) | instid1(VALU_DEP_2)
	v_add_co_u32 v124, vcc_lo, v92, v2
	v_add_co_ci_u32_e32 v125, vcc_lo, 0, v93, vcc_lo
	v_add_co_u32 v127, vcc_lo, 0x3c0, v124
	s_delay_alu instid0(VALU_DEP_2) | instskip(SKIP_3) | instid1(VALU_DEP_1)
	v_add_co_ci_u32_e32 v128, vcc_lo, 0, v125, vcc_lo
	s_waitcnt vmcnt(1)
	v_mad_u32_u24 v7, v70, v4, v0
	s_waitcnt vmcnt(0)
	v_mad_u64_u32 v[4:5], null, v7, v6, v[1:2]
                                        ; implicit-def: $vgpr6_vgpr7
	s_delay_alu instid0(VALU_DEP_1)
	v_lshrrev_b32_e32 v126, 5, v4
                                        ; implicit-def: $vgpr4_vgpr5
	s_branch .LBB1776_987
.LBB1776_986:                           ;   in Loop: Header=BB1776_987 Depth=2
	s_or_b32 exec_lo, exec_lo, s17
	s_addk_i32 s56, 0xf000
	s_cmp_lt_u32 s57, s53
	s_mov_b32 s34, s57
	s_cbranch_scc0 .LBB1776_15
.LBB1776_987:                           ;   Parent Loop BB1776_17 Depth=1
                                        ; =>  This Inner Loop Header: Depth=2
	s_add_i32 s57, s34, 0x1000
	s_delay_alu instid0(SALU_CYCLE_1)
	s_cmp_gt_u32 s57, s53
	s_cbranch_scc1 .LBB1776_990
; %bb.988:                              ;   in Loop: Header=BB1776_987 Depth=2
	s_mov_b32 s19, 0
	s_mov_b32 s18, s34
	s_movk_i32 s17, 0x1000
	s_lshl_b64 s[20:21], s[18:19], 1
	s_delay_alu instid0(SALU_CYCLE_1)
	v_add_co_u32 v36, vcc_lo, v124, s20
	v_add_co_ci_u32_e32 v37, vcc_lo, s21, v125, vcc_lo
	s_mov_b32 s20, -1
	s_clause 0xe
	global_load_u16 v2, v[36:37], off
	global_load_u16 v147, v[36:37], off offset:64
	global_load_u16 v149, v[36:37], off offset:128
	;; [unrolled: 1-line block ×14, first 2 shown]
	s_cbranch_execz .LBB1776_991
; %bb.989:                              ;   in Loop: Header=BB1776_987 Depth=2
                                        ; implicit-def: $sgpr21
	v_dual_mov_b32 v36, s21 :: v_dual_mov_b32 v145, s56
	s_and_saveexec_b32 s21, s20
	s_cbranch_execnz .LBB1776_1022
	s_branch .LBB1776_1023
.LBB1776_990:                           ;   in Loop: Header=BB1776_987 Depth=2
	s_mov_b32 s19, -1
	s_mov_b32 s20, 0
                                        ; implicit-def: $sgpr17
                                        ; implicit-def: $vgpr2
                                        ; implicit-def: $vgpr147
                                        ; implicit-def: $vgpr149
                                        ; implicit-def: $vgpr153
                                        ; implicit-def: $vgpr157
                                        ; implicit-def: $vgpr161
                                        ; implicit-def: $vgpr165
                                        ; implicit-def: $vgpr170
                                        ; implicit-def: $vgpr169
                                        ; implicit-def: $vgpr43
                                        ; implicit-def: $vgpr42
                                        ; implicit-def: $vgpr41
                                        ; implicit-def: $vgpr40
                                        ; implicit-def: $vgpr39
                                        ; implicit-def: $vgpr38
.LBB1776_991:                           ;   in Loop: Header=BB1776_987 Depth=2
	s_lshl_b64 s[18:19], s[34:35], 1
	s_waitcnt vmcnt(13)
	v_dual_mov_b32 v147, -1 :: v_dual_mov_b32 v2, -1
	v_add_co_u32 v36, vcc_lo, v124, s18
	v_add_co_ci_u32_e32 v37, vcc_lo, s19, v125, vcc_lo
	s_mov_b32 s17, exec_lo
	v_cmpx_gt_u32_e64 s56, v106
	s_cbranch_execz .LBB1776_993
; %bb.992:                              ;   in Loop: Header=BB1776_987 Depth=2
	global_load_u16 v2, v[36:37], off
.LBB1776_993:                           ;   in Loop: Header=BB1776_987 Depth=2
	s_or_b32 exec_lo, exec_lo, s17
	s_delay_alu instid0(SALU_CYCLE_1)
	s_mov_b32 s17, exec_lo
	v_cmpx_gt_u32_e64 s56, v109
	s_cbranch_execz .LBB1776_995
; %bb.994:                              ;   in Loop: Header=BB1776_987 Depth=2
	global_load_u16 v147, v[36:37], off offset:64
.LBB1776_995:                           ;   in Loop: Header=BB1776_987 Depth=2
	s_or_b32 exec_lo, exec_lo, s17
	s_waitcnt vmcnt(11)
	v_mov_b32_e32 v153, -1
	v_mov_b32_e32 v149, -1
	s_mov_b32 s17, exec_lo
	v_cmpx_gt_u32_e64 s56, v110
	s_cbranch_execz .LBB1776_997
; %bb.996:                              ;   in Loop: Header=BB1776_987 Depth=2
	global_load_u16 v149, v[36:37], off offset:128
.LBB1776_997:                           ;   in Loop: Header=BB1776_987 Depth=2
	s_or_b32 exec_lo, exec_lo, s17
	s_delay_alu instid0(SALU_CYCLE_1)
	s_mov_b32 s17, exec_lo
	v_cmpx_gt_u32_e64 s56, v111
	s_cbranch_execz .LBB1776_999
; %bb.998:                              ;   in Loop: Header=BB1776_987 Depth=2
	global_load_u16 v153, v[36:37], off offset:192
.LBB1776_999:                           ;   in Loop: Header=BB1776_987 Depth=2
	s_or_b32 exec_lo, exec_lo, s17
	s_waitcnt vmcnt(9)
	v_mov_b32_e32 v161, -1
	v_mov_b32_e32 v157, -1
	s_mov_b32 s17, exec_lo
	v_cmpx_gt_u32_e64 s56, v112
	s_cbranch_execz .LBB1776_1001
; %bb.1000:                             ;   in Loop: Header=BB1776_987 Depth=2
	global_load_u16 v157, v[36:37], off offset:256
.LBB1776_1001:                          ;   in Loop: Header=BB1776_987 Depth=2
	s_or_b32 exec_lo, exec_lo, s17
	s_delay_alu instid0(SALU_CYCLE_1)
	s_mov_b32 s17, exec_lo
	v_cmpx_gt_u32_e64 s56, v113
	s_cbranch_execz .LBB1776_1003
; %bb.1002:                             ;   in Loop: Header=BB1776_987 Depth=2
	global_load_u16 v161, v[36:37], off offset:320
.LBB1776_1003:                          ;   in Loop: Header=BB1776_987 Depth=2
	s_or_b32 exec_lo, exec_lo, s17
	s_waitcnt vmcnt(7)
	v_dual_mov_b32 v170, -1 :: v_dual_mov_b32 v165, -1
	s_mov_b32 s17, exec_lo
	v_cmpx_gt_u32_e64 s56, v114
	s_cbranch_execz .LBB1776_1005
; %bb.1004:                             ;   in Loop: Header=BB1776_987 Depth=2
	global_load_u16 v165, v[36:37], off offset:384
.LBB1776_1005:                          ;   in Loop: Header=BB1776_987 Depth=2
	s_or_b32 exec_lo, exec_lo, s17
	s_delay_alu instid0(SALU_CYCLE_1)
	s_mov_b32 s17, exec_lo
	v_cmpx_gt_u32_e64 s56, v115
	s_cbranch_execz .LBB1776_1007
; %bb.1006:                             ;   in Loop: Header=BB1776_987 Depth=2
	global_load_u16 v170, v[36:37], off offset:448
.LBB1776_1007:                          ;   in Loop: Header=BB1776_987 Depth=2
	s_or_b32 exec_lo, exec_lo, s17
	s_waitcnt vmcnt(5)
	v_mov_b32_e32 v43, -1
	v_mov_b32_e32 v169, -1
	s_mov_b32 s17, exec_lo
	v_cmpx_gt_u32_e64 s56, v116
	s_cbranch_execz .LBB1776_1009
; %bb.1008:                             ;   in Loop: Header=BB1776_987 Depth=2
	global_load_u16 v169, v[36:37], off offset:512
.LBB1776_1009:                          ;   in Loop: Header=BB1776_987 Depth=2
	s_or_b32 exec_lo, exec_lo, s17
	s_delay_alu instid0(SALU_CYCLE_1)
	s_mov_b32 s17, exec_lo
	v_cmpx_gt_u32_e64 s56, v117
	s_cbranch_execz .LBB1776_1011
; %bb.1010:                             ;   in Loop: Header=BB1776_987 Depth=2
	global_load_u16 v43, v[36:37], off offset:576
.LBB1776_1011:                          ;   in Loop: Header=BB1776_987 Depth=2
	s_or_b32 exec_lo, exec_lo, s17
	s_waitcnt vmcnt(3)
	v_dual_mov_b32 v41, -1 :: v_dual_mov_b32 v42, -1
	s_mov_b32 s17, exec_lo
	v_cmpx_gt_u32_e64 s56, v118
	s_cbranch_execz .LBB1776_1013
; %bb.1012:                             ;   in Loop: Header=BB1776_987 Depth=2
	global_load_u16 v42, v[36:37], off offset:640
.LBB1776_1013:                          ;   in Loop: Header=BB1776_987 Depth=2
	s_or_b32 exec_lo, exec_lo, s17
	s_delay_alu instid0(SALU_CYCLE_1)
	s_mov_b32 s17, exec_lo
	v_cmpx_gt_u32_e64 s56, v119
	s_cbranch_execz .LBB1776_1015
; %bb.1014:                             ;   in Loop: Header=BB1776_987 Depth=2
	global_load_u16 v41, v[36:37], off offset:704
.LBB1776_1015:                          ;   in Loop: Header=BB1776_987 Depth=2
	s_or_b32 exec_lo, exec_lo, s17
	s_waitcnt vmcnt(1)
	v_dual_mov_b32 v39, -1 :: v_dual_mov_b32 v40, -1
	s_mov_b32 s17, exec_lo
	v_cmpx_gt_u32_e64 s56, v120
	s_cbranch_execz .LBB1776_1017
; %bb.1016:                             ;   in Loop: Header=BB1776_987 Depth=2
	global_load_u16 v40, v[36:37], off offset:768
.LBB1776_1017:                          ;   in Loop: Header=BB1776_987 Depth=2
	s_or_b32 exec_lo, exec_lo, s17
	s_delay_alu instid0(SALU_CYCLE_1)
	s_mov_b32 s17, exec_lo
	v_cmpx_gt_u32_e64 s56, v121
	s_cbranch_execz .LBB1776_1019
; %bb.1018:                             ;   in Loop: Header=BB1776_987 Depth=2
	global_load_u16 v39, v[36:37], off offset:832
.LBB1776_1019:                          ;   in Loop: Header=BB1776_987 Depth=2
	s_or_b32 exec_lo, exec_lo, s17
	s_waitcnt vmcnt(0)
	v_mov_b32_e32 v38, -1
	s_mov_b32 s17, exec_lo
	v_cmpx_gt_u32_e64 s56, v122
	s_cbranch_execz .LBB1776_1021
; %bb.1020:                             ;   in Loop: Header=BB1776_987 Depth=2
	global_load_u16 v38, v[36:37], off offset:896
.LBB1776_1021:                          ;   in Loop: Header=BB1776_987 Depth=2
	s_or_b32 exec_lo, exec_lo, s17
	v_cmp_gt_u32_e64 s20, s56, v123
	s_sub_i32 s17, s53, s34
	s_mov_b32 s21, -1
	s_mov_b64 s[18:19], s[34:35]
	v_dual_mov_b32 v36, s21 :: v_dual_mov_b32 v145, s56
	s_and_saveexec_b32 s21, s20
	s_cbranch_execz .LBB1776_1023
.LBB1776_1022:                          ;   in Loop: Header=BB1776_987 Depth=2
	s_lshl_b64 s[18:19], s[18:19], 1
	v_mov_b32_e32 v145, s17
	v_add_co_u32 v36, vcc_lo, v127, s18
	v_add_co_ci_u32_e32 v37, vcc_lo, s19, v128, vcc_lo
	global_load_u16 v36, v[36:37], off
.LBB1776_1023:                          ;   in Loop: Header=BB1776_987 Depth=2
	s_or_b32 exec_lo, exec_lo, s21
	s_waitcnt vmcnt(14)
	v_cmp_gt_i16_e32 vcc_lo, 0, v2
	ds_store_b32 v69, v3 offset:1056
	ds_store_2addr_b32 v71, v3, v3 offset0:1 offset1:2
	ds_store_2addr_b32 v71, v3, v3 offset0:3 offset1:4
	;; [unrolled: 1-line block ×4, first 2 shown]
	s_waitcnt vmcnt(0) lgkmcnt(0)
	s_barrier
	v_cndmask_b32_e64 v37, 0x7fff, 0, vcc_lo
	buffer_gl0_inv
	; wave barrier
	v_xor_b32_e32 v2, v37, v2
	s_delay_alu instid0(VALU_DEP_1) | instskip(SKIP_1) | instid1(VALU_DEP_1)
	v_cmp_ne_u16_e32 vcc_lo, 0x8000, v2
	v_cndmask_b32_e32 v37, 0x7fff, v2, vcc_lo
	v_and_b32_e32 v37, 0xffff, v37
	s_delay_alu instid0(VALU_DEP_1) | instskip(NEXT) | instid1(VALU_DEP_1)
	v_lshrrev_b32_e32 v37, s49, v37
	v_and_b32_e32 v148, s55, v37
	s_delay_alu instid0(VALU_DEP_1)
	v_lshlrev_b32_e32 v146, 30, v148
	v_and_b32_e32 v37, 1, v148
	v_lshlrev_b32_e32 v150, 29, v148
	v_lshlrev_b32_e32 v151, 28, v148
	;; [unrolled: 1-line block ×3, first 2 shown]
	v_not_b32_e32 v158, v146
	v_add_co_u32 v37, s17, v37, -1
	s_delay_alu instid0(VALU_DEP_1)
	v_cndmask_b32_e64 v152, 0, 1, s17
	v_cmp_gt_i32_e64 s17, 0, v146
	v_not_b32_e32 v146, v150
	v_ashrrev_i32_e32 v158, 31, v158
	v_lshlrev_b32_e32 v155, 26, v148
	v_cmp_ne_u32_e32 vcc_lo, 0, v152
	v_lshlrev_b32_e32 v156, 25, v148
	v_ashrrev_i32_e32 v146, 31, v146
	v_xor_b32_e32 v158, s17, v158
	v_cmp_gt_i32_e64 s17, 0, v151
	v_xor_b32_e32 v37, vcc_lo, v37
	v_cmp_gt_i32_e32 vcc_lo, 0, v150
	v_not_b32_e32 v150, v151
	v_not_b32_e32 v151, v154
	v_lshlrev_b32_e32 v152, 24, v148
	v_and_b32_e32 v37, exec_lo, v37
	v_xor_b32_e32 v146, vcc_lo, v146
	v_ashrrev_i32_e32 v150, 31, v150
	v_cmp_gt_i32_e32 vcc_lo, 0, v154
	v_not_b32_e32 v154, v155
	v_and_b32_e32 v37, v37, v158
	v_ashrrev_i32_e32 v151, 31, v151
	v_xor_b32_e32 v150, s17, v150
	v_cmp_gt_i32_e64 s17, 0, v155
	v_ashrrev_i32_e32 v154, 31, v154
	v_and_b32_e32 v37, v37, v146
	v_not_b32_e32 v146, v156
	v_xor_b32_e32 v151, vcc_lo, v151
	v_cmp_gt_i32_e32 vcc_lo, 0, v156
	v_xor_b32_e32 v154, s17, v154
	v_and_b32_e32 v37, v37, v150
	v_not_b32_e32 v150, v152
	v_ashrrev_i32_e32 v146, 31, v146
	v_cmp_gt_i32_e64 s17, 0, v152
	v_mad_u32_u24 v148, v148, 9, v126
	v_and_b32_e32 v37, v37, v151
	v_ashrrev_i32_e32 v150, 31, v150
	v_xor_b32_e32 v146, vcc_lo, v146
	s_delay_alu instid0(VALU_DEP_4) | instskip(NEXT) | instid1(VALU_DEP_4)
	v_lshl_add_u32 v148, v148, 2, 0x420
	v_and_b32_e32 v37, v37, v154
	s_delay_alu instid0(VALU_DEP_4) | instskip(NEXT) | instid1(VALU_DEP_2)
	v_xor_b32_e32 v150, s17, v150
	v_and_b32_e32 v37, v37, v146
	s_delay_alu instid0(VALU_DEP_1) | instskip(NEXT) | instid1(VALU_DEP_1)
	v_and_b32_e32 v37, v37, v150
	v_mbcnt_lo_u32_b32 v146, v37, 0
	v_cmp_ne_u32_e64 s17, 0, v37
	s_delay_alu instid0(VALU_DEP_2) | instskip(NEXT) | instid1(VALU_DEP_2)
	v_cmp_eq_u32_e32 vcc_lo, 0, v146
	s_and_b32 s18, s17, vcc_lo
	s_delay_alu instid0(SALU_CYCLE_1)
	s_and_saveexec_b32 s17, s18
	s_cbranch_execz .LBB1776_1025
; %bb.1024:                             ;   in Loop: Header=BB1776_987 Depth=2
	v_bcnt_u32_b32 v37, v37, 0
	ds_store_b32 v148, v37
.LBB1776_1025:                          ;   in Loop: Header=BB1776_987 Depth=2
	s_or_b32 exec_lo, exec_lo, s17
	v_cmp_gt_i16_e64 vcc_lo, 0, v147
	; wave barrier
	s_delay_alu instid0(VALU_DEP_1) | instskip(NEXT) | instid1(VALU_DEP_1)
	v_cndmask_b32_e64 v37, 0x7fff, 0, vcc_lo
	v_xor_b32_e32 v147, v37, v147
	s_delay_alu instid0(VALU_DEP_1) | instskip(SKIP_1) | instid1(VALU_DEP_1)
	v_cmp_ne_u16_e64 vcc_lo, 0x8000, v147
	v_cndmask_b32_e32 v37, 0x7fff, v147, vcc_lo
	v_and_b32_e32 v37, 0xffff, v37
	s_delay_alu instid0(VALU_DEP_1) | instskip(NEXT) | instid1(VALU_DEP_1)
	v_lshrrev_b32_e32 v37, s49, v37
	v_and_b32_e32 v37, s55, v37
	s_delay_alu instid0(VALU_DEP_1)
	v_and_b32_e32 v150, 1, v37
	v_lshlrev_b32_e32 v151, 30, v37
	v_lshlrev_b32_e32 v152, 29, v37
	;; [unrolled: 1-line block ×4, first 2 shown]
	v_add_co_u32 v150, s17, v150, -1
	s_delay_alu instid0(VALU_DEP_1)
	v_cndmask_b32_e64 v155, 0, 1, s17
	v_not_b32_e32 v160, v151
	v_cmp_gt_i32_e64 s17, 0, v151
	v_not_b32_e32 v151, v152
	v_lshlrev_b32_e32 v158, 26, v37
	v_cmp_ne_u32_e32 vcc_lo, 0, v155
	v_ashrrev_i32_e32 v160, 31, v160
	v_lshlrev_b32_e32 v159, 25, v37
	v_ashrrev_i32_e32 v151, 31, v151
	v_lshlrev_b32_e32 v155, 24, v37
	v_xor_b32_e32 v150, vcc_lo, v150
	v_cmp_gt_i32_e32 vcc_lo, 0, v152
	v_not_b32_e32 v152, v154
	v_xor_b32_e32 v160, s17, v160
	v_cmp_gt_i32_e64 s17, 0, v154
	v_and_b32_e32 v150, exec_lo, v150
	v_not_b32_e32 v154, v156
	v_ashrrev_i32_e32 v152, 31, v152
	v_xor_b32_e32 v151, vcc_lo, v151
	v_cmp_gt_i32_e32 vcc_lo, 0, v156
	v_and_b32_e32 v150, v150, v160
	v_not_b32_e32 v156, v158
	v_ashrrev_i32_e32 v154, 31, v154
	v_xor_b32_e32 v152, s17, v152
	v_cmp_gt_i32_e64 s17, 0, v158
	v_and_b32_e32 v150, v150, v151
	v_not_b32_e32 v151, v159
	v_ashrrev_i32_e32 v156, 31, v156
	v_xor_b32_e32 v154, vcc_lo, v154
	v_cmp_gt_i32_e32 vcc_lo, 0, v159
	v_and_b32_e32 v150, v150, v152
	v_not_b32_e32 v152, v155
	v_ashrrev_i32_e32 v151, 31, v151
	v_xor_b32_e32 v156, s17, v156
	v_mul_u32_u24_e32 v37, 9, v37
	v_and_b32_e32 v150, v150, v154
	v_cmp_gt_i32_e64 s17, 0, v155
	v_ashrrev_i32_e32 v152, 31, v152
	v_xor_b32_e32 v151, vcc_lo, v151
	v_add_lshl_u32 v154, v37, v126, 2
	v_and_b32_e32 v150, v150, v156
	s_delay_alu instid0(VALU_DEP_4) | instskip(NEXT) | instid1(VALU_DEP_3)
	v_xor_b32_e32 v37, s17, v152
	v_add_nc_u32_e32 v152, 0x420, v154
	s_delay_alu instid0(VALU_DEP_3) | instskip(SKIP_2) | instid1(VALU_DEP_1)
	v_and_b32_e32 v151, v150, v151
	ds_load_b32 v150, v154 offset:1056
	; wave barrier
	v_and_b32_e32 v37, v151, v37
	v_mbcnt_lo_u32_b32 v151, v37, 0
	v_cmp_ne_u32_e64 s17, 0, v37
	s_delay_alu instid0(VALU_DEP_2) | instskip(NEXT) | instid1(VALU_DEP_2)
	v_cmp_eq_u32_e32 vcc_lo, 0, v151
	s_and_b32 s18, s17, vcc_lo
	s_delay_alu instid0(SALU_CYCLE_1)
	s_and_saveexec_b32 s17, s18
	s_cbranch_execz .LBB1776_1027
; %bb.1026:                             ;   in Loop: Header=BB1776_987 Depth=2
	s_waitcnt lgkmcnt(0)
	v_bcnt_u32_b32 v37, v37, v150
	ds_store_b32 v152, v37
.LBB1776_1027:                          ;   in Loop: Header=BB1776_987 Depth=2
	s_or_b32 exec_lo, exec_lo, s17
	v_cmp_gt_i16_e64 vcc_lo, 0, v149
	; wave barrier
	s_delay_alu instid0(VALU_DEP_1) | instskip(NEXT) | instid1(VALU_DEP_1)
	v_cndmask_b32_e64 v37, 0x7fff, 0, vcc_lo
	v_xor_b32_e32 v149, v37, v149
	s_delay_alu instid0(VALU_DEP_1) | instskip(SKIP_1) | instid1(VALU_DEP_1)
	v_cmp_ne_u16_e64 vcc_lo, 0x8000, v149
	v_cndmask_b32_e32 v37, 0x7fff, v149, vcc_lo
	v_and_b32_e32 v37, 0xffff, v37
	s_delay_alu instid0(VALU_DEP_1) | instskip(NEXT) | instid1(VALU_DEP_1)
	v_lshrrev_b32_e32 v37, s49, v37
	v_and_b32_e32 v37, s55, v37
	s_delay_alu instid0(VALU_DEP_1)
	v_and_b32_e32 v154, 1, v37
	v_lshlrev_b32_e32 v155, 30, v37
	v_lshlrev_b32_e32 v156, 29, v37
	;; [unrolled: 1-line block ×4, first 2 shown]
	v_add_co_u32 v154, s17, v154, -1
	s_delay_alu instid0(VALU_DEP_1)
	v_cndmask_b32_e64 v159, 0, 1, s17
	v_not_b32_e32 v164, v155
	v_cmp_gt_i32_e64 s17, 0, v155
	v_not_b32_e32 v155, v156
	v_lshlrev_b32_e32 v162, 26, v37
	v_cmp_ne_u32_e32 vcc_lo, 0, v159
	v_ashrrev_i32_e32 v164, 31, v164
	v_lshlrev_b32_e32 v163, 25, v37
	v_ashrrev_i32_e32 v155, 31, v155
	v_lshlrev_b32_e32 v159, 24, v37
	v_xor_b32_e32 v154, vcc_lo, v154
	v_cmp_gt_i32_e32 vcc_lo, 0, v156
	v_not_b32_e32 v156, v158
	v_xor_b32_e32 v164, s17, v164
	v_cmp_gt_i32_e64 s17, 0, v158
	v_and_b32_e32 v154, exec_lo, v154
	v_not_b32_e32 v158, v160
	v_ashrrev_i32_e32 v156, 31, v156
	v_xor_b32_e32 v155, vcc_lo, v155
	v_cmp_gt_i32_e32 vcc_lo, 0, v160
	v_and_b32_e32 v154, v154, v164
	v_not_b32_e32 v160, v162
	v_ashrrev_i32_e32 v158, 31, v158
	v_xor_b32_e32 v156, s17, v156
	v_cmp_gt_i32_e64 s17, 0, v162
	v_and_b32_e32 v154, v154, v155
	v_not_b32_e32 v155, v163
	v_ashrrev_i32_e32 v160, 31, v160
	v_xor_b32_e32 v158, vcc_lo, v158
	v_cmp_gt_i32_e32 vcc_lo, 0, v163
	v_and_b32_e32 v154, v154, v156
	v_not_b32_e32 v156, v159
	v_ashrrev_i32_e32 v155, 31, v155
	v_xor_b32_e32 v160, s17, v160
	v_mul_u32_u24_e32 v37, 9, v37
	v_and_b32_e32 v154, v154, v158
	v_cmp_gt_i32_e64 s17, 0, v159
	v_ashrrev_i32_e32 v156, 31, v156
	v_xor_b32_e32 v155, vcc_lo, v155
	v_add_lshl_u32 v158, v37, v126, 2
	v_and_b32_e32 v154, v154, v160
	s_delay_alu instid0(VALU_DEP_4) | instskip(NEXT) | instid1(VALU_DEP_3)
	v_xor_b32_e32 v37, s17, v156
	v_add_nc_u32_e32 v156, 0x420, v158
	s_delay_alu instid0(VALU_DEP_3) | instskip(SKIP_2) | instid1(VALU_DEP_1)
	v_and_b32_e32 v155, v154, v155
	ds_load_b32 v154, v158 offset:1056
	; wave barrier
	v_and_b32_e32 v37, v155, v37
	v_mbcnt_lo_u32_b32 v155, v37, 0
	v_cmp_ne_u32_e64 s17, 0, v37
	s_delay_alu instid0(VALU_DEP_2) | instskip(NEXT) | instid1(VALU_DEP_2)
	v_cmp_eq_u32_e32 vcc_lo, 0, v155
	s_and_b32 s18, s17, vcc_lo
	s_delay_alu instid0(SALU_CYCLE_1)
	s_and_saveexec_b32 s17, s18
	s_cbranch_execz .LBB1776_1029
; %bb.1028:                             ;   in Loop: Header=BB1776_987 Depth=2
	s_waitcnt lgkmcnt(0)
	v_bcnt_u32_b32 v37, v37, v154
	ds_store_b32 v156, v37
.LBB1776_1029:                          ;   in Loop: Header=BB1776_987 Depth=2
	s_or_b32 exec_lo, exec_lo, s17
	v_cmp_gt_i16_e64 vcc_lo, 0, v153
	; wave barrier
	s_delay_alu instid0(VALU_DEP_1) | instskip(NEXT) | instid1(VALU_DEP_1)
	v_cndmask_b32_e64 v37, 0x7fff, 0, vcc_lo
	v_xor_b32_e32 v153, v37, v153
	s_delay_alu instid0(VALU_DEP_1) | instskip(SKIP_1) | instid1(VALU_DEP_1)
	v_cmp_ne_u16_e64 vcc_lo, 0x8000, v153
	v_cndmask_b32_e32 v37, 0x7fff, v153, vcc_lo
	v_and_b32_e32 v37, 0xffff, v37
	s_delay_alu instid0(VALU_DEP_1) | instskip(NEXT) | instid1(VALU_DEP_1)
	v_lshrrev_b32_e32 v37, s49, v37
	v_and_b32_e32 v37, s55, v37
	s_delay_alu instid0(VALU_DEP_1)
	v_and_b32_e32 v158, 1, v37
	v_lshlrev_b32_e32 v159, 30, v37
	v_lshlrev_b32_e32 v160, 29, v37
	v_lshlrev_b32_e32 v162, 28, v37
	v_lshlrev_b32_e32 v164, 27, v37
	v_add_co_u32 v158, s17, v158, -1
	s_delay_alu instid0(VALU_DEP_1)
	v_cndmask_b32_e64 v163, 0, 1, s17
	v_not_b32_e32 v168, v159
	v_cmp_gt_i32_e64 s17, 0, v159
	v_not_b32_e32 v159, v160
	v_lshlrev_b32_e32 v166, 26, v37
	v_cmp_ne_u32_e32 vcc_lo, 0, v163
	v_ashrrev_i32_e32 v168, 31, v168
	v_lshlrev_b32_e32 v167, 25, v37
	v_ashrrev_i32_e32 v159, 31, v159
	v_lshlrev_b32_e32 v163, 24, v37
	v_xor_b32_e32 v158, vcc_lo, v158
	v_cmp_gt_i32_e32 vcc_lo, 0, v160
	v_not_b32_e32 v160, v162
	v_xor_b32_e32 v168, s17, v168
	v_cmp_gt_i32_e64 s17, 0, v162
	v_and_b32_e32 v158, exec_lo, v158
	v_not_b32_e32 v162, v164
	v_ashrrev_i32_e32 v160, 31, v160
	v_xor_b32_e32 v159, vcc_lo, v159
	v_cmp_gt_i32_e32 vcc_lo, 0, v164
	v_and_b32_e32 v158, v158, v168
	v_not_b32_e32 v164, v166
	v_ashrrev_i32_e32 v162, 31, v162
	v_xor_b32_e32 v160, s17, v160
	v_cmp_gt_i32_e64 s17, 0, v166
	v_and_b32_e32 v158, v158, v159
	v_not_b32_e32 v159, v167
	v_ashrrev_i32_e32 v164, 31, v164
	v_xor_b32_e32 v162, vcc_lo, v162
	v_cmp_gt_i32_e32 vcc_lo, 0, v167
	v_and_b32_e32 v158, v158, v160
	v_not_b32_e32 v160, v163
	v_ashrrev_i32_e32 v159, 31, v159
	v_xor_b32_e32 v164, s17, v164
	v_mul_u32_u24_e32 v37, 9, v37
	v_and_b32_e32 v158, v158, v162
	v_cmp_gt_i32_e64 s17, 0, v163
	v_ashrrev_i32_e32 v160, 31, v160
	v_xor_b32_e32 v159, vcc_lo, v159
	v_add_lshl_u32 v162, v37, v126, 2
	v_and_b32_e32 v158, v158, v164
	s_delay_alu instid0(VALU_DEP_4) | instskip(NEXT) | instid1(VALU_DEP_3)
	v_xor_b32_e32 v37, s17, v160
	v_add_nc_u32_e32 v160, 0x420, v162
	s_delay_alu instid0(VALU_DEP_3) | instskip(SKIP_2) | instid1(VALU_DEP_1)
	v_and_b32_e32 v159, v158, v159
	ds_load_b32 v158, v162 offset:1056
	; wave barrier
	v_and_b32_e32 v37, v159, v37
	v_mbcnt_lo_u32_b32 v159, v37, 0
	v_cmp_ne_u32_e64 s17, 0, v37
	s_delay_alu instid0(VALU_DEP_2) | instskip(NEXT) | instid1(VALU_DEP_2)
	v_cmp_eq_u32_e32 vcc_lo, 0, v159
	s_and_b32 s18, s17, vcc_lo
	s_delay_alu instid0(SALU_CYCLE_1)
	s_and_saveexec_b32 s17, s18
	s_cbranch_execz .LBB1776_1031
; %bb.1030:                             ;   in Loop: Header=BB1776_987 Depth=2
	s_waitcnt lgkmcnt(0)
	v_bcnt_u32_b32 v37, v37, v158
	ds_store_b32 v160, v37
.LBB1776_1031:                          ;   in Loop: Header=BB1776_987 Depth=2
	s_or_b32 exec_lo, exec_lo, s17
	v_cmp_gt_i16_e64 vcc_lo, 0, v157
	; wave barrier
	s_delay_alu instid0(VALU_DEP_1) | instskip(NEXT) | instid1(VALU_DEP_1)
	v_cndmask_b32_e64 v37, 0x7fff, 0, vcc_lo
	v_xor_b32_e32 v157, v37, v157
	s_delay_alu instid0(VALU_DEP_1) | instskip(SKIP_1) | instid1(VALU_DEP_1)
	v_cmp_ne_u16_e64 vcc_lo, 0x8000, v157
	v_cndmask_b32_e32 v37, 0x7fff, v157, vcc_lo
	v_and_b32_e32 v37, 0xffff, v37
	s_delay_alu instid0(VALU_DEP_1) | instskip(NEXT) | instid1(VALU_DEP_1)
	v_lshrrev_b32_e32 v37, s49, v37
	v_and_b32_e32 v37, s55, v37
	s_delay_alu instid0(VALU_DEP_1)
	v_and_b32_e32 v162, 1, v37
	v_lshlrev_b32_e32 v163, 30, v37
	v_lshlrev_b32_e32 v164, 29, v37
	;; [unrolled: 1-line block ×4, first 2 shown]
	v_add_co_u32 v162, s17, v162, -1
	s_delay_alu instid0(VALU_DEP_1)
	v_cndmask_b32_e64 v167, 0, 1, s17
	v_not_b32_e32 v173, v163
	v_cmp_gt_i32_e64 s17, 0, v163
	v_not_b32_e32 v163, v164
	v_lshlrev_b32_e32 v171, 26, v37
	v_cmp_ne_u32_e32 vcc_lo, 0, v167
	v_ashrrev_i32_e32 v173, 31, v173
	v_lshlrev_b32_e32 v172, 25, v37
	v_ashrrev_i32_e32 v163, 31, v163
	v_lshlrev_b32_e32 v167, 24, v37
	v_xor_b32_e32 v162, vcc_lo, v162
	v_cmp_gt_i32_e32 vcc_lo, 0, v164
	v_not_b32_e32 v164, v166
	v_xor_b32_e32 v173, s17, v173
	v_cmp_gt_i32_e64 s17, 0, v166
	v_and_b32_e32 v162, exec_lo, v162
	v_not_b32_e32 v166, v168
	v_ashrrev_i32_e32 v164, 31, v164
	v_xor_b32_e32 v163, vcc_lo, v163
	v_cmp_gt_i32_e32 vcc_lo, 0, v168
	v_and_b32_e32 v162, v162, v173
	v_not_b32_e32 v168, v171
	v_ashrrev_i32_e32 v166, 31, v166
	v_xor_b32_e32 v164, s17, v164
	v_cmp_gt_i32_e64 s17, 0, v171
	v_and_b32_e32 v162, v162, v163
	v_not_b32_e32 v163, v172
	v_ashrrev_i32_e32 v168, 31, v168
	v_xor_b32_e32 v166, vcc_lo, v166
	v_cmp_gt_i32_e32 vcc_lo, 0, v172
	v_and_b32_e32 v162, v162, v164
	v_not_b32_e32 v164, v167
	v_ashrrev_i32_e32 v163, 31, v163
	v_xor_b32_e32 v168, s17, v168
	v_mul_u32_u24_e32 v37, 9, v37
	v_and_b32_e32 v162, v162, v166
	v_cmp_gt_i32_e64 s17, 0, v167
	v_ashrrev_i32_e32 v164, 31, v164
	v_xor_b32_e32 v163, vcc_lo, v163
	v_add_lshl_u32 v166, v37, v126, 2
	v_and_b32_e32 v162, v162, v168
	s_delay_alu instid0(VALU_DEP_4) | instskip(NEXT) | instid1(VALU_DEP_3)
	v_xor_b32_e32 v37, s17, v164
	v_add_nc_u32_e32 v164, 0x420, v166
	s_delay_alu instid0(VALU_DEP_3) | instskip(SKIP_2) | instid1(VALU_DEP_1)
	v_and_b32_e32 v163, v162, v163
	ds_load_b32 v162, v166 offset:1056
	; wave barrier
	v_and_b32_e32 v37, v163, v37
	v_mbcnt_lo_u32_b32 v163, v37, 0
	v_cmp_ne_u32_e64 s17, 0, v37
	s_delay_alu instid0(VALU_DEP_2) | instskip(NEXT) | instid1(VALU_DEP_2)
	v_cmp_eq_u32_e32 vcc_lo, 0, v163
	s_and_b32 s18, s17, vcc_lo
	s_delay_alu instid0(SALU_CYCLE_1)
	s_and_saveexec_b32 s17, s18
	s_cbranch_execz .LBB1776_1033
; %bb.1032:                             ;   in Loop: Header=BB1776_987 Depth=2
	s_waitcnt lgkmcnt(0)
	v_bcnt_u32_b32 v37, v37, v162
	ds_store_b32 v164, v37
.LBB1776_1033:                          ;   in Loop: Header=BB1776_987 Depth=2
	s_or_b32 exec_lo, exec_lo, s17
	v_cmp_gt_i16_e64 vcc_lo, 0, v161
	; wave barrier
	s_delay_alu instid0(VALU_DEP_1) | instskip(NEXT) | instid1(VALU_DEP_1)
	v_cndmask_b32_e64 v37, 0x7fff, 0, vcc_lo
	v_xor_b32_e32 v161, v37, v161
	s_delay_alu instid0(VALU_DEP_1) | instskip(SKIP_1) | instid1(VALU_DEP_1)
	v_cmp_ne_u16_e64 vcc_lo, 0x8000, v161
	v_cndmask_b32_e32 v37, 0x7fff, v161, vcc_lo
	v_and_b32_e32 v37, 0xffff, v37
	s_delay_alu instid0(VALU_DEP_1) | instskip(NEXT) | instid1(VALU_DEP_1)
	v_lshrrev_b32_e32 v37, s49, v37
	v_and_b32_e32 v37, s55, v37
	s_delay_alu instid0(VALU_DEP_1)
	v_and_b32_e32 v166, 1, v37
	v_lshlrev_b32_e32 v167, 30, v37
	v_lshlrev_b32_e32 v168, 29, v37
	;; [unrolled: 1-line block ×4, first 2 shown]
	v_add_co_u32 v166, s17, v166, -1
	s_delay_alu instid0(VALU_DEP_1)
	v_cndmask_b32_e64 v172, 0, 1, s17
	v_not_b32_e32 v176, v167
	v_cmp_gt_i32_e64 s17, 0, v167
	v_not_b32_e32 v167, v168
	v_lshlrev_b32_e32 v174, 26, v37
	v_cmp_ne_u32_e32 vcc_lo, 0, v172
	v_ashrrev_i32_e32 v176, 31, v176
	v_lshlrev_b32_e32 v175, 25, v37
	v_ashrrev_i32_e32 v167, 31, v167
	v_lshlrev_b32_e32 v172, 24, v37
	v_xor_b32_e32 v166, vcc_lo, v166
	v_cmp_gt_i32_e32 vcc_lo, 0, v168
	v_not_b32_e32 v168, v171
	v_xor_b32_e32 v176, s17, v176
	v_cmp_gt_i32_e64 s17, 0, v171
	v_and_b32_e32 v166, exec_lo, v166
	v_not_b32_e32 v171, v173
	v_ashrrev_i32_e32 v168, 31, v168
	v_xor_b32_e32 v167, vcc_lo, v167
	v_cmp_gt_i32_e32 vcc_lo, 0, v173
	v_and_b32_e32 v166, v166, v176
	v_not_b32_e32 v173, v174
	v_ashrrev_i32_e32 v171, 31, v171
	v_xor_b32_e32 v168, s17, v168
	v_cmp_gt_i32_e64 s17, 0, v174
	v_and_b32_e32 v166, v166, v167
	v_not_b32_e32 v167, v175
	v_ashrrev_i32_e32 v173, 31, v173
	v_xor_b32_e32 v171, vcc_lo, v171
	v_cmp_gt_i32_e32 vcc_lo, 0, v175
	v_and_b32_e32 v166, v166, v168
	v_not_b32_e32 v168, v172
	v_ashrrev_i32_e32 v167, 31, v167
	v_xor_b32_e32 v173, s17, v173
	v_mul_u32_u24_e32 v37, 9, v37
	v_and_b32_e32 v166, v166, v171
	v_cmp_gt_i32_e64 s17, 0, v172
	v_ashrrev_i32_e32 v168, 31, v168
	v_xor_b32_e32 v167, vcc_lo, v167
	v_add_lshl_u32 v171, v37, v126, 2
	v_and_b32_e32 v166, v166, v173
	s_delay_alu instid0(VALU_DEP_4) | instskip(NEXT) | instid1(VALU_DEP_3)
	v_xor_b32_e32 v37, s17, v168
	v_add_nc_u32_e32 v168, 0x420, v171
	s_delay_alu instid0(VALU_DEP_3) | instskip(SKIP_2) | instid1(VALU_DEP_1)
	v_and_b32_e32 v167, v166, v167
	ds_load_b32 v166, v171 offset:1056
	; wave barrier
	v_and_b32_e32 v37, v167, v37
	v_mbcnt_lo_u32_b32 v167, v37, 0
	v_cmp_ne_u32_e64 s17, 0, v37
	s_delay_alu instid0(VALU_DEP_2) | instskip(NEXT) | instid1(VALU_DEP_2)
	v_cmp_eq_u32_e32 vcc_lo, 0, v167
	s_and_b32 s18, s17, vcc_lo
	s_delay_alu instid0(SALU_CYCLE_1)
	s_and_saveexec_b32 s17, s18
	s_cbranch_execz .LBB1776_1035
; %bb.1034:                             ;   in Loop: Header=BB1776_987 Depth=2
	s_waitcnt lgkmcnt(0)
	v_bcnt_u32_b32 v37, v37, v166
	ds_store_b32 v168, v37
.LBB1776_1035:                          ;   in Loop: Header=BB1776_987 Depth=2
	s_or_b32 exec_lo, exec_lo, s17
	v_cmp_gt_i16_e64 vcc_lo, 0, v165
	; wave barrier
	s_delay_alu instid0(VALU_DEP_1) | instskip(NEXT) | instid1(VALU_DEP_1)
	v_cndmask_b32_e64 v37, 0x7fff, 0, vcc_lo
	v_xor_b32_e32 v165, v37, v165
	s_delay_alu instid0(VALU_DEP_1) | instskip(SKIP_1) | instid1(VALU_DEP_1)
	v_cmp_ne_u16_e64 vcc_lo, 0x8000, v165
	v_cndmask_b32_e32 v37, 0x7fff, v165, vcc_lo
	v_and_b32_e32 v37, 0xffff, v37
	s_delay_alu instid0(VALU_DEP_1) | instskip(NEXT) | instid1(VALU_DEP_1)
	v_lshrrev_b32_e32 v37, s49, v37
	v_and_b32_e32 v37, s55, v37
	s_delay_alu instid0(VALU_DEP_1)
	v_and_b32_e32 v171, 1, v37
	v_lshlrev_b32_e32 v172, 30, v37
	v_lshlrev_b32_e32 v173, 29, v37
	;; [unrolled: 1-line block ×4, first 2 shown]
	v_add_co_u32 v171, s17, v171, -1
	s_delay_alu instid0(VALU_DEP_1)
	v_cndmask_b32_e64 v175, 0, 1, s17
	v_not_b32_e32 v179, v172
	v_cmp_gt_i32_e64 s17, 0, v172
	v_not_b32_e32 v172, v173
	v_lshlrev_b32_e32 v177, 26, v37
	v_cmp_ne_u32_e32 vcc_lo, 0, v175
	v_ashrrev_i32_e32 v179, 31, v179
	v_lshlrev_b32_e32 v178, 25, v37
	v_ashrrev_i32_e32 v172, 31, v172
	v_lshlrev_b32_e32 v175, 24, v37
	v_xor_b32_e32 v171, vcc_lo, v171
	v_cmp_gt_i32_e32 vcc_lo, 0, v173
	v_not_b32_e32 v173, v174
	v_xor_b32_e32 v179, s17, v179
	v_cmp_gt_i32_e64 s17, 0, v174
	v_and_b32_e32 v171, exec_lo, v171
	v_not_b32_e32 v174, v176
	v_ashrrev_i32_e32 v173, 31, v173
	v_xor_b32_e32 v172, vcc_lo, v172
	v_cmp_gt_i32_e32 vcc_lo, 0, v176
	v_and_b32_e32 v171, v171, v179
	v_not_b32_e32 v176, v177
	v_ashrrev_i32_e32 v174, 31, v174
	v_xor_b32_e32 v173, s17, v173
	v_cmp_gt_i32_e64 s17, 0, v177
	v_and_b32_e32 v171, v171, v172
	v_not_b32_e32 v172, v178
	v_ashrrev_i32_e32 v176, 31, v176
	v_xor_b32_e32 v174, vcc_lo, v174
	v_cmp_gt_i32_e32 vcc_lo, 0, v178
	v_and_b32_e32 v171, v171, v173
	v_not_b32_e32 v173, v175
	v_ashrrev_i32_e32 v172, 31, v172
	v_xor_b32_e32 v176, s17, v176
	v_mul_u32_u24_e32 v37, 9, v37
	v_and_b32_e32 v171, v171, v174
	v_cmp_gt_i32_e64 s17, 0, v175
	v_ashrrev_i32_e32 v173, 31, v173
	v_xor_b32_e32 v172, vcc_lo, v172
	v_add_lshl_u32 v174, v37, v126, 2
	v_and_b32_e32 v171, v171, v176
	s_delay_alu instid0(VALU_DEP_4) | instskip(NEXT) | instid1(VALU_DEP_3)
	v_xor_b32_e32 v37, s17, v173
	v_add_nc_u32_e32 v173, 0x420, v174
	s_delay_alu instid0(VALU_DEP_3) | instskip(SKIP_2) | instid1(VALU_DEP_1)
	v_and_b32_e32 v172, v171, v172
	ds_load_b32 v171, v174 offset:1056
	; wave barrier
	v_and_b32_e32 v37, v172, v37
	v_mbcnt_lo_u32_b32 v172, v37, 0
	v_cmp_ne_u32_e64 s17, 0, v37
	s_delay_alu instid0(VALU_DEP_2) | instskip(NEXT) | instid1(VALU_DEP_2)
	v_cmp_eq_u32_e32 vcc_lo, 0, v172
	s_and_b32 s18, s17, vcc_lo
	s_delay_alu instid0(SALU_CYCLE_1)
	s_and_saveexec_b32 s17, s18
	s_cbranch_execz .LBB1776_1037
; %bb.1036:                             ;   in Loop: Header=BB1776_987 Depth=2
	s_waitcnt lgkmcnt(0)
	v_bcnt_u32_b32 v37, v37, v171
	ds_store_b32 v173, v37
.LBB1776_1037:                          ;   in Loop: Header=BB1776_987 Depth=2
	s_or_b32 exec_lo, exec_lo, s17
	v_cmp_gt_i16_e64 vcc_lo, 0, v170
	; wave barrier
	s_delay_alu instid0(VALU_DEP_1) | instskip(NEXT) | instid1(VALU_DEP_1)
	v_cndmask_b32_e64 v37, 0x7fff, 0, vcc_lo
	v_xor_b32_e32 v170, v37, v170
	s_delay_alu instid0(VALU_DEP_1) | instskip(SKIP_1) | instid1(VALU_DEP_1)
	v_cmp_ne_u16_e64 vcc_lo, 0x8000, v170
	v_cndmask_b32_e32 v37, 0x7fff, v170, vcc_lo
	v_and_b32_e32 v37, 0xffff, v37
	s_delay_alu instid0(VALU_DEP_1) | instskip(NEXT) | instid1(VALU_DEP_1)
	v_lshrrev_b32_e32 v37, s49, v37
	v_and_b32_e32 v37, s55, v37
	s_delay_alu instid0(VALU_DEP_1)
	v_and_b32_e32 v174, 1, v37
	v_lshlrev_b32_e32 v175, 30, v37
	v_lshlrev_b32_e32 v176, 29, v37
	;; [unrolled: 1-line block ×4, first 2 shown]
	v_add_co_u32 v174, s17, v174, -1
	s_delay_alu instid0(VALU_DEP_1)
	v_cndmask_b32_e64 v178, 0, 1, s17
	v_not_b32_e32 v182, v175
	v_cmp_gt_i32_e64 s17, 0, v175
	v_not_b32_e32 v175, v176
	v_lshlrev_b32_e32 v180, 26, v37
	v_cmp_ne_u32_e32 vcc_lo, 0, v178
	v_ashrrev_i32_e32 v182, 31, v182
	v_lshlrev_b32_e32 v181, 25, v37
	v_ashrrev_i32_e32 v175, 31, v175
	v_lshlrev_b32_e32 v178, 24, v37
	v_xor_b32_e32 v174, vcc_lo, v174
	v_cmp_gt_i32_e32 vcc_lo, 0, v176
	v_not_b32_e32 v176, v177
	v_xor_b32_e32 v182, s17, v182
	v_cmp_gt_i32_e64 s17, 0, v177
	v_and_b32_e32 v174, exec_lo, v174
	v_not_b32_e32 v177, v179
	v_ashrrev_i32_e32 v176, 31, v176
	v_xor_b32_e32 v175, vcc_lo, v175
	v_cmp_gt_i32_e32 vcc_lo, 0, v179
	v_and_b32_e32 v174, v174, v182
	v_not_b32_e32 v179, v180
	v_ashrrev_i32_e32 v177, 31, v177
	v_xor_b32_e32 v176, s17, v176
	v_cmp_gt_i32_e64 s17, 0, v180
	v_and_b32_e32 v174, v174, v175
	v_not_b32_e32 v175, v181
	v_ashrrev_i32_e32 v179, 31, v179
	v_xor_b32_e32 v177, vcc_lo, v177
	v_cmp_gt_i32_e32 vcc_lo, 0, v181
	v_and_b32_e32 v174, v174, v176
	v_not_b32_e32 v176, v178
	v_ashrrev_i32_e32 v175, 31, v175
	v_xor_b32_e32 v179, s17, v179
	v_mul_u32_u24_e32 v37, 9, v37
	v_and_b32_e32 v174, v174, v177
	v_cmp_gt_i32_e64 s17, 0, v178
	v_ashrrev_i32_e32 v176, 31, v176
	v_xor_b32_e32 v175, vcc_lo, v175
	v_add_lshl_u32 v177, v37, v126, 2
	v_and_b32_e32 v174, v174, v179
	s_delay_alu instid0(VALU_DEP_4) | instskip(NEXT) | instid1(VALU_DEP_3)
	v_xor_b32_e32 v37, s17, v176
	v_add_nc_u32_e32 v176, 0x420, v177
	s_delay_alu instid0(VALU_DEP_3) | instskip(SKIP_2) | instid1(VALU_DEP_1)
	v_and_b32_e32 v175, v174, v175
	ds_load_b32 v174, v177 offset:1056
	; wave barrier
	v_and_b32_e32 v37, v175, v37
	v_mbcnt_lo_u32_b32 v175, v37, 0
	v_cmp_ne_u32_e64 s17, 0, v37
	s_delay_alu instid0(VALU_DEP_2) | instskip(NEXT) | instid1(VALU_DEP_2)
	v_cmp_eq_u32_e32 vcc_lo, 0, v175
	s_and_b32 s18, s17, vcc_lo
	s_delay_alu instid0(SALU_CYCLE_1)
	s_and_saveexec_b32 s17, s18
	s_cbranch_execz .LBB1776_1039
; %bb.1038:                             ;   in Loop: Header=BB1776_987 Depth=2
	s_waitcnt lgkmcnt(0)
	v_bcnt_u32_b32 v37, v37, v174
	ds_store_b32 v176, v37
.LBB1776_1039:                          ;   in Loop: Header=BB1776_987 Depth=2
	s_or_b32 exec_lo, exec_lo, s17
	v_cmp_gt_i16_e64 vcc_lo, 0, v169
	; wave barrier
	s_delay_alu instid0(VALU_DEP_1) | instskip(NEXT) | instid1(VALU_DEP_1)
	v_cndmask_b32_e64 v37, 0x7fff, 0, vcc_lo
	v_xor_b32_e32 v169, v37, v169
	s_delay_alu instid0(VALU_DEP_1) | instskip(SKIP_1) | instid1(VALU_DEP_1)
	v_cmp_ne_u16_e64 vcc_lo, 0x8000, v169
	v_cndmask_b32_e32 v37, 0x7fff, v169, vcc_lo
	v_and_b32_e32 v37, 0xffff, v37
	s_delay_alu instid0(VALU_DEP_1) | instskip(NEXT) | instid1(VALU_DEP_1)
	v_lshrrev_b32_e32 v37, s49, v37
	v_and_b32_e32 v37, s55, v37
	s_delay_alu instid0(VALU_DEP_1)
	v_and_b32_e32 v177, 1, v37
	v_lshlrev_b32_e32 v178, 30, v37
	v_lshlrev_b32_e32 v179, 29, v37
	;; [unrolled: 1-line block ×4, first 2 shown]
	v_add_co_u32 v177, s17, v177, -1
	s_delay_alu instid0(VALU_DEP_1)
	v_cndmask_b32_e64 v181, 0, 1, s17
	v_not_b32_e32 v185, v178
	v_cmp_gt_i32_e64 s17, 0, v178
	v_not_b32_e32 v178, v179
	v_lshlrev_b32_e32 v183, 26, v37
	v_cmp_ne_u32_e32 vcc_lo, 0, v181
	v_ashrrev_i32_e32 v185, 31, v185
	v_lshlrev_b32_e32 v184, 25, v37
	v_ashrrev_i32_e32 v178, 31, v178
	v_lshlrev_b32_e32 v181, 24, v37
	v_xor_b32_e32 v177, vcc_lo, v177
	v_cmp_gt_i32_e32 vcc_lo, 0, v179
	v_not_b32_e32 v179, v180
	v_xor_b32_e32 v185, s17, v185
	v_cmp_gt_i32_e64 s17, 0, v180
	v_and_b32_e32 v177, exec_lo, v177
	v_not_b32_e32 v180, v182
	v_ashrrev_i32_e32 v179, 31, v179
	v_xor_b32_e32 v178, vcc_lo, v178
	v_cmp_gt_i32_e32 vcc_lo, 0, v182
	v_and_b32_e32 v177, v177, v185
	v_not_b32_e32 v182, v183
	v_ashrrev_i32_e32 v180, 31, v180
	v_xor_b32_e32 v179, s17, v179
	v_cmp_gt_i32_e64 s17, 0, v183
	v_and_b32_e32 v177, v177, v178
	v_not_b32_e32 v178, v184
	v_ashrrev_i32_e32 v182, 31, v182
	v_xor_b32_e32 v180, vcc_lo, v180
	v_cmp_gt_i32_e32 vcc_lo, 0, v184
	v_and_b32_e32 v177, v177, v179
	v_not_b32_e32 v179, v181
	v_ashrrev_i32_e32 v178, 31, v178
	v_xor_b32_e32 v182, s17, v182
	v_mul_u32_u24_e32 v37, 9, v37
	v_and_b32_e32 v177, v177, v180
	v_cmp_gt_i32_e64 s17, 0, v181
	v_ashrrev_i32_e32 v179, 31, v179
	v_xor_b32_e32 v178, vcc_lo, v178
	v_add_lshl_u32 v180, v37, v126, 2
	v_and_b32_e32 v177, v177, v182
	s_delay_alu instid0(VALU_DEP_4) | instskip(NEXT) | instid1(VALU_DEP_2)
	v_xor_b32_e32 v37, s17, v179
	v_and_b32_e32 v177, v177, v178
	ds_load_b32 v178, v180 offset:1056
	v_add_nc_u32_e32 v180, 0x420, v180
	; wave barrier
	v_and_b32_e32 v37, v177, v37
	s_delay_alu instid0(VALU_DEP_1) | instskip(SKIP_1) | instid1(VALU_DEP_2)
	v_mbcnt_lo_u32_b32 v179, v37, 0
	v_cmp_ne_u32_e64 s17, 0, v37
	v_cmp_eq_u32_e32 vcc_lo, 0, v179
	s_delay_alu instid0(VALU_DEP_2) | instskip(NEXT) | instid1(SALU_CYCLE_1)
	s_and_b32 s18, s17, vcc_lo
	s_and_saveexec_b32 s17, s18
	s_cbranch_execz .LBB1776_1041
; %bb.1040:                             ;   in Loop: Header=BB1776_987 Depth=2
	s_waitcnt lgkmcnt(0)
	v_bcnt_u32_b32 v37, v37, v178
	ds_store_b32 v180, v37
.LBB1776_1041:                          ;   in Loop: Header=BB1776_987 Depth=2
	s_or_b32 exec_lo, exec_lo, s17
	v_cmp_gt_i16_e32 vcc_lo, 0, v43
	; wave barrier
	v_cndmask_b32_e64 v37, 0x7fff, 0, vcc_lo
	s_delay_alu instid0(VALU_DEP_1) | instskip(NEXT) | instid1(VALU_DEP_1)
	v_xor_b32_e32 v177, v37, v43
	v_cmp_ne_u16_e64 vcc_lo, 0x8000, v177
	v_cndmask_b32_e32 v37, 0x7fff, v177, vcc_lo
	s_delay_alu instid0(VALU_DEP_1) | instskip(NEXT) | instid1(VALU_DEP_1)
	v_and_b32_e32 v37, 0xffff, v37
	v_lshrrev_b32_e32 v37, s49, v37
	s_delay_alu instid0(VALU_DEP_1) | instskip(NEXT) | instid1(VALU_DEP_1)
	v_and_b32_e32 v37, s55, v37
	v_and_b32_e32 v43, 1, v37
	v_lshlrev_b32_e32 v181, 30, v37
	v_lshlrev_b32_e32 v182, 29, v37
	v_lshlrev_b32_e32 v183, 28, v37
	v_lshlrev_b32_e32 v185, 27, v37
	v_add_co_u32 v43, s17, v43, -1
	s_delay_alu instid0(VALU_DEP_1)
	v_cndmask_b32_e64 v184, 0, 1, s17
	v_not_b32_e32 v188, v181
	v_cmp_gt_i32_e64 s17, 0, v181
	v_not_b32_e32 v181, v182
	v_lshlrev_b32_e32 v186, 26, v37
	v_cmp_ne_u32_e32 vcc_lo, 0, v184
	v_ashrrev_i32_e32 v188, 31, v188
	v_lshlrev_b32_e32 v187, 25, v37
	v_ashrrev_i32_e32 v181, 31, v181
	v_lshlrev_b32_e32 v184, 24, v37
	v_xor_b32_e32 v43, vcc_lo, v43
	v_cmp_gt_i32_e32 vcc_lo, 0, v182
	v_not_b32_e32 v182, v183
	v_xor_b32_e32 v188, s17, v188
	v_cmp_gt_i32_e64 s17, 0, v183
	v_and_b32_e32 v43, exec_lo, v43
	v_not_b32_e32 v183, v185
	v_ashrrev_i32_e32 v182, 31, v182
	v_xor_b32_e32 v181, vcc_lo, v181
	v_cmp_gt_i32_e32 vcc_lo, 0, v185
	v_and_b32_e32 v43, v43, v188
	v_not_b32_e32 v185, v186
	v_ashrrev_i32_e32 v183, 31, v183
	v_xor_b32_e32 v182, s17, v182
	v_cmp_gt_i32_e64 s17, 0, v186
	v_and_b32_e32 v43, v43, v181
	v_not_b32_e32 v181, v187
	v_ashrrev_i32_e32 v185, 31, v185
	v_xor_b32_e32 v183, vcc_lo, v183
	v_cmp_gt_i32_e32 vcc_lo, 0, v187
	v_and_b32_e32 v43, v43, v182
	v_not_b32_e32 v182, v184
	v_ashrrev_i32_e32 v181, 31, v181
	v_xor_b32_e32 v185, s17, v185
	v_mul_u32_u24_e32 v37, 9, v37
	v_and_b32_e32 v43, v43, v183
	v_cmp_gt_i32_e64 s17, 0, v184
	v_ashrrev_i32_e32 v182, 31, v182
	v_xor_b32_e32 v181, vcc_lo, v181
	v_add_lshl_u32 v184, v37, v126, 2
	v_and_b32_e32 v43, v43, v185
	s_delay_alu instid0(VALU_DEP_4) | instskip(SKIP_3) | instid1(VALU_DEP_2)
	v_xor_b32_e32 v37, s17, v182
	ds_load_b32 v182, v184 offset:1056
	v_and_b32_e32 v43, v43, v181
	v_add_nc_u32_e32 v184, 0x420, v184
	; wave barrier
	v_and_b32_e32 v37, v43, v37
	s_delay_alu instid0(VALU_DEP_1) | instskip(SKIP_1) | instid1(VALU_DEP_2)
	v_mbcnt_lo_u32_b32 v183, v37, 0
	v_cmp_ne_u32_e64 s17, 0, v37
	v_cmp_eq_u32_e32 vcc_lo, 0, v183
	s_delay_alu instid0(VALU_DEP_2) | instskip(NEXT) | instid1(SALU_CYCLE_1)
	s_and_b32 s18, s17, vcc_lo
	s_and_saveexec_b32 s17, s18
	s_cbranch_execz .LBB1776_1043
; %bb.1042:                             ;   in Loop: Header=BB1776_987 Depth=2
	s_waitcnt lgkmcnt(0)
	v_bcnt_u32_b32 v37, v37, v182
	ds_store_b32 v184, v37
.LBB1776_1043:                          ;   in Loop: Header=BB1776_987 Depth=2
	s_or_b32 exec_lo, exec_lo, s17
	v_cmp_gt_i16_e32 vcc_lo, 0, v42
	; wave barrier
	v_cndmask_b32_e64 v37, 0x7fff, 0, vcc_lo
	s_delay_alu instid0(VALU_DEP_1) | instskip(NEXT) | instid1(VALU_DEP_1)
	v_xor_b32_e32 v181, v37, v42
	v_cmp_ne_u16_e64 vcc_lo, 0x8000, v181
	v_cndmask_b32_e32 v37, 0x7fff, v181, vcc_lo
	s_delay_alu instid0(VALU_DEP_1) | instskip(NEXT) | instid1(VALU_DEP_1)
	v_and_b32_e32 v37, 0xffff, v37
	v_lshrrev_b32_e32 v37, s49, v37
	s_delay_alu instid0(VALU_DEP_1) | instskip(NEXT) | instid1(VALU_DEP_1)
	v_and_b32_e32 v37, s55, v37
	v_and_b32_e32 v42, 1, v37
	v_lshlrev_b32_e32 v43, 30, v37
	v_lshlrev_b32_e32 v185, 29, v37
	;; [unrolled: 1-line block ×4, first 2 shown]
	v_add_co_u32 v42, s17, v42, -1
	s_delay_alu instid0(VALU_DEP_1)
	v_cndmask_b32_e64 v187, 0, 1, s17
	v_not_b32_e32 v191, v43
	v_cmp_gt_i32_e64 s17, 0, v43
	v_not_b32_e32 v43, v185
	v_lshlrev_b32_e32 v189, 26, v37
	v_cmp_ne_u32_e32 vcc_lo, 0, v187
	v_ashrrev_i32_e32 v191, 31, v191
	v_lshlrev_b32_e32 v190, 25, v37
	v_ashrrev_i32_e32 v43, 31, v43
	v_lshlrev_b32_e32 v187, 24, v37
	v_xor_b32_e32 v42, vcc_lo, v42
	v_cmp_gt_i32_e32 vcc_lo, 0, v185
	v_not_b32_e32 v185, v186
	v_xor_b32_e32 v191, s17, v191
	v_cmp_gt_i32_e64 s17, 0, v186
	v_and_b32_e32 v42, exec_lo, v42
	v_not_b32_e32 v186, v188
	v_ashrrev_i32_e32 v185, 31, v185
	v_xor_b32_e32 v43, vcc_lo, v43
	v_cmp_gt_i32_e32 vcc_lo, 0, v188
	v_and_b32_e32 v42, v42, v191
	v_not_b32_e32 v188, v189
	v_ashrrev_i32_e32 v186, 31, v186
	v_xor_b32_e32 v185, s17, v185
	v_cmp_gt_i32_e64 s17, 0, v189
	v_and_b32_e32 v42, v42, v43
	v_not_b32_e32 v43, v190
	v_ashrrev_i32_e32 v188, 31, v188
	v_xor_b32_e32 v186, vcc_lo, v186
	v_cmp_gt_i32_e32 vcc_lo, 0, v190
	v_and_b32_e32 v42, v42, v185
	v_not_b32_e32 v185, v187
	v_ashrrev_i32_e32 v43, 31, v43
	v_xor_b32_e32 v188, s17, v188
	v_mul_u32_u24_e32 v37, 9, v37
	v_and_b32_e32 v42, v42, v186
	v_cmp_gt_i32_e64 s17, 0, v187
	v_ashrrev_i32_e32 v185, 31, v185
	v_xor_b32_e32 v43, vcc_lo, v43
	s_delay_alu instid0(VALU_DEP_4) | instskip(SKIP_1) | instid1(VALU_DEP_4)
	v_and_b32_e32 v42, v42, v188
	v_add_lshl_u32 v188, v37, v126, 2
	v_xor_b32_e32 v37, s17, v185
	s_delay_alu instid0(VALU_DEP_3) | instskip(SKIP_3) | instid1(VALU_DEP_1)
	v_and_b32_e32 v42, v42, v43
	ds_load_b32 v186, v188 offset:1056
	v_add_nc_u32_e32 v188, 0x420, v188
	; wave barrier
	v_and_b32_e32 v37, v42, v37
	v_mbcnt_lo_u32_b32 v187, v37, 0
	v_cmp_ne_u32_e64 s17, 0, v37
	s_delay_alu instid0(VALU_DEP_2) | instskip(NEXT) | instid1(VALU_DEP_2)
	v_cmp_eq_u32_e32 vcc_lo, 0, v187
	s_and_b32 s18, s17, vcc_lo
	s_delay_alu instid0(SALU_CYCLE_1)
	s_and_saveexec_b32 s17, s18
	s_cbranch_execz .LBB1776_1045
; %bb.1044:                             ;   in Loop: Header=BB1776_987 Depth=2
	s_waitcnt lgkmcnt(0)
	v_bcnt_u32_b32 v37, v37, v186
	ds_store_b32 v188, v37
.LBB1776_1045:                          ;   in Loop: Header=BB1776_987 Depth=2
	s_or_b32 exec_lo, exec_lo, s17
	v_cmp_gt_i16_e32 vcc_lo, 0, v41
	; wave barrier
	v_cndmask_b32_e64 v37, 0x7fff, 0, vcc_lo
	s_delay_alu instid0(VALU_DEP_1) | instskip(NEXT) | instid1(VALU_DEP_1)
	v_xor_b32_e32 v185, v37, v41
	v_cmp_ne_u16_e64 vcc_lo, 0x8000, v185
	v_cndmask_b32_e32 v37, 0x7fff, v185, vcc_lo
	s_delay_alu instid0(VALU_DEP_1) | instskip(NEXT) | instid1(VALU_DEP_1)
	v_and_b32_e32 v37, 0xffff, v37
	v_lshrrev_b32_e32 v37, s49, v37
	s_delay_alu instid0(VALU_DEP_1) | instskip(NEXT) | instid1(VALU_DEP_1)
	v_and_b32_e32 v37, s55, v37
	v_and_b32_e32 v41, 1, v37
	v_lshlrev_b32_e32 v42, 30, v37
	v_lshlrev_b32_e32 v43, 29, v37
	;; [unrolled: 1-line block ×4, first 2 shown]
	v_add_co_u32 v41, s17, v41, -1
	s_delay_alu instid0(VALU_DEP_1)
	v_cndmask_b32_e64 v190, 0, 1, s17
	v_not_b32_e32 v194, v42
	v_cmp_gt_i32_e64 s17, 0, v42
	v_not_b32_e32 v42, v43
	v_lshlrev_b32_e32 v192, 26, v37
	v_cmp_ne_u32_e32 vcc_lo, 0, v190
	v_ashrrev_i32_e32 v194, 31, v194
	v_lshlrev_b32_e32 v193, 25, v37
	v_ashrrev_i32_e32 v42, 31, v42
	v_lshlrev_b32_e32 v190, 24, v37
	v_xor_b32_e32 v41, vcc_lo, v41
	v_cmp_gt_i32_e32 vcc_lo, 0, v43
	v_not_b32_e32 v43, v189
	v_xor_b32_e32 v194, s17, v194
	v_cmp_gt_i32_e64 s17, 0, v189
	v_and_b32_e32 v41, exec_lo, v41
	v_not_b32_e32 v189, v191
	v_ashrrev_i32_e32 v43, 31, v43
	v_xor_b32_e32 v42, vcc_lo, v42
	v_cmp_gt_i32_e32 vcc_lo, 0, v191
	v_and_b32_e32 v41, v41, v194
	v_not_b32_e32 v191, v192
	v_ashrrev_i32_e32 v189, 31, v189
	v_xor_b32_e32 v43, s17, v43
	v_cmp_gt_i32_e64 s17, 0, v192
	v_and_b32_e32 v41, v41, v42
	v_not_b32_e32 v42, v193
	v_ashrrev_i32_e32 v191, 31, v191
	v_xor_b32_e32 v189, vcc_lo, v189
	v_cmp_gt_i32_e32 vcc_lo, 0, v193
	v_and_b32_e32 v41, v41, v43
	v_not_b32_e32 v43, v190
	v_ashrrev_i32_e32 v42, 31, v42
	v_xor_b32_e32 v191, s17, v191
	v_mul_u32_u24_e32 v37, 9, v37
	v_and_b32_e32 v41, v41, v189
	v_cmp_gt_i32_e64 s17, 0, v190
	v_ashrrev_i32_e32 v43, 31, v43
	v_xor_b32_e32 v42, vcc_lo, v42
	v_add_lshl_u32 v189, v37, v126, 2
	v_and_b32_e32 v41, v41, v191
	s_delay_alu instid0(VALU_DEP_4) | instskip(SKIP_3) | instid1(VALU_DEP_2)
	v_xor_b32_e32 v37, s17, v43
	ds_load_b32 v190, v189 offset:1056
	v_and_b32_e32 v41, v41, v42
	v_add_nc_u32_e32 v192, 0x420, v189
	; wave barrier
	v_and_b32_e32 v37, v41, v37
	s_delay_alu instid0(VALU_DEP_1) | instskip(SKIP_1) | instid1(VALU_DEP_2)
	v_mbcnt_lo_u32_b32 v191, v37, 0
	v_cmp_ne_u32_e64 s17, 0, v37
	v_cmp_eq_u32_e32 vcc_lo, 0, v191
	s_delay_alu instid0(VALU_DEP_2) | instskip(NEXT) | instid1(SALU_CYCLE_1)
	s_and_b32 s18, s17, vcc_lo
	s_and_saveexec_b32 s17, s18
	s_cbranch_execz .LBB1776_1047
; %bb.1046:                             ;   in Loop: Header=BB1776_987 Depth=2
	s_waitcnt lgkmcnt(0)
	v_bcnt_u32_b32 v37, v37, v190
	ds_store_b32 v192, v37
.LBB1776_1047:                          ;   in Loop: Header=BB1776_987 Depth=2
	s_or_b32 exec_lo, exec_lo, s17
	v_cmp_gt_i16_e32 vcc_lo, 0, v40
	; wave barrier
	v_cndmask_b32_e64 v37, 0x7fff, 0, vcc_lo
	s_delay_alu instid0(VALU_DEP_1) | instskip(NEXT) | instid1(VALU_DEP_1)
	v_xor_b32_e32 v189, v37, v40
	v_cmp_ne_u16_e64 vcc_lo, 0x8000, v189
	v_cndmask_b32_e32 v37, 0x7fff, v189, vcc_lo
	s_delay_alu instid0(VALU_DEP_1) | instskip(NEXT) | instid1(VALU_DEP_1)
	v_and_b32_e32 v37, 0xffff, v37
	v_lshrrev_b32_e32 v37, s49, v37
	s_delay_alu instid0(VALU_DEP_1) | instskip(NEXT) | instid1(VALU_DEP_1)
	v_and_b32_e32 v37, s55, v37
	v_and_b32_e32 v40, 1, v37
	v_lshlrev_b32_e32 v41, 30, v37
	v_lshlrev_b32_e32 v42, 29, v37
	;; [unrolled: 1-line block ×4, first 2 shown]
	v_add_co_u32 v40, s17, v40, -1
	s_delay_alu instid0(VALU_DEP_1)
	v_cndmask_b32_e64 v193, 0, 1, s17
	v_not_b32_e32 v197, v41
	v_cmp_gt_i32_e64 s17, 0, v41
	v_not_b32_e32 v41, v42
	v_lshlrev_b32_e32 v195, 26, v37
	v_cmp_ne_u32_e32 vcc_lo, 0, v193
	v_ashrrev_i32_e32 v197, 31, v197
	v_lshlrev_b32_e32 v196, 25, v37
	v_ashrrev_i32_e32 v41, 31, v41
	v_lshlrev_b32_e32 v193, 24, v37
	v_xor_b32_e32 v40, vcc_lo, v40
	v_cmp_gt_i32_e32 vcc_lo, 0, v42
	v_not_b32_e32 v42, v43
	v_xor_b32_e32 v197, s17, v197
	v_cmp_gt_i32_e64 s17, 0, v43
	v_and_b32_e32 v40, exec_lo, v40
	v_not_b32_e32 v43, v194
	v_ashrrev_i32_e32 v42, 31, v42
	v_xor_b32_e32 v41, vcc_lo, v41
	v_cmp_gt_i32_e32 vcc_lo, 0, v194
	v_and_b32_e32 v40, v40, v197
	v_not_b32_e32 v194, v195
	v_ashrrev_i32_e32 v43, 31, v43
	v_xor_b32_e32 v42, s17, v42
	v_cmp_gt_i32_e64 s17, 0, v195
	v_and_b32_e32 v40, v40, v41
	v_not_b32_e32 v41, v196
	v_ashrrev_i32_e32 v194, 31, v194
	v_xor_b32_e32 v43, vcc_lo, v43
	v_cmp_gt_i32_e32 vcc_lo, 0, v196
	v_and_b32_e32 v40, v40, v42
	v_not_b32_e32 v42, v193
	v_ashrrev_i32_e32 v41, 31, v41
	v_xor_b32_e32 v194, s17, v194
	v_mul_u32_u24_e32 v37, 9, v37
	v_and_b32_e32 v40, v40, v43
	v_cmp_gt_i32_e64 s17, 0, v193
	v_ashrrev_i32_e32 v42, 31, v42
	v_xor_b32_e32 v41, vcc_lo, v41
	v_add_lshl_u32 v43, v37, v126, 2
	v_and_b32_e32 v40, v40, v194
	s_delay_alu instid0(VALU_DEP_4) | instskip(SKIP_3) | instid1(VALU_DEP_2)
	v_xor_b32_e32 v37, s17, v42
	ds_load_b32 v194, v43 offset:1056
	v_and_b32_e32 v40, v40, v41
	v_add_nc_u32_e32 v196, 0x420, v43
	; wave barrier
	v_and_b32_e32 v37, v40, v37
	s_delay_alu instid0(VALU_DEP_1) | instskip(SKIP_1) | instid1(VALU_DEP_2)
	v_mbcnt_lo_u32_b32 v195, v37, 0
	v_cmp_ne_u32_e64 s17, 0, v37
	v_cmp_eq_u32_e32 vcc_lo, 0, v195
	s_delay_alu instid0(VALU_DEP_2) | instskip(NEXT) | instid1(SALU_CYCLE_1)
	s_and_b32 s18, s17, vcc_lo
	s_and_saveexec_b32 s17, s18
	s_cbranch_execz .LBB1776_1049
; %bb.1048:                             ;   in Loop: Header=BB1776_987 Depth=2
	s_waitcnt lgkmcnt(0)
	v_bcnt_u32_b32 v37, v37, v194
	ds_store_b32 v196, v37
.LBB1776_1049:                          ;   in Loop: Header=BB1776_987 Depth=2
	s_or_b32 exec_lo, exec_lo, s17
	v_cmp_gt_i16_e32 vcc_lo, 0, v39
	; wave barrier
	v_cndmask_b32_e64 v37, 0x7fff, 0, vcc_lo
	s_delay_alu instid0(VALU_DEP_1) | instskip(NEXT) | instid1(VALU_DEP_1)
	v_xor_b32_e32 v193, v37, v39
	v_cmp_ne_u16_e64 vcc_lo, 0x8000, v193
	v_cndmask_b32_e32 v37, 0x7fff, v193, vcc_lo
	s_delay_alu instid0(VALU_DEP_1) | instskip(NEXT) | instid1(VALU_DEP_1)
	v_and_b32_e32 v37, 0xffff, v37
	v_lshrrev_b32_e32 v37, s49, v37
	s_delay_alu instid0(VALU_DEP_1) | instskip(NEXT) | instid1(VALU_DEP_1)
	v_and_b32_e32 v37, s55, v37
	v_and_b32_e32 v39, 1, v37
	v_lshlrev_b32_e32 v40, 30, v37
	v_lshlrev_b32_e32 v41, 29, v37
	v_lshlrev_b32_e32 v42, 28, v37
	v_lshlrev_b32_e32 v197, 27, v37
	v_add_co_u32 v39, s17, v39, -1
	s_delay_alu instid0(VALU_DEP_1)
	v_cndmask_b32_e64 v43, 0, 1, s17
	v_not_b32_e32 v200, v40
	v_cmp_gt_i32_e64 s17, 0, v40
	v_not_b32_e32 v40, v41
	v_lshlrev_b32_e32 v198, 26, v37
	v_cmp_ne_u32_e32 vcc_lo, 0, v43
	v_ashrrev_i32_e32 v200, 31, v200
	v_lshlrev_b32_e32 v199, 25, v37
	v_ashrrev_i32_e32 v40, 31, v40
	v_lshlrev_b32_e32 v43, 24, v37
	v_xor_b32_e32 v39, vcc_lo, v39
	v_cmp_gt_i32_e32 vcc_lo, 0, v41
	v_not_b32_e32 v41, v42
	v_xor_b32_e32 v200, s17, v200
	v_cmp_gt_i32_e64 s17, 0, v42
	v_and_b32_e32 v39, exec_lo, v39
	v_not_b32_e32 v42, v197
	v_ashrrev_i32_e32 v41, 31, v41
	v_xor_b32_e32 v40, vcc_lo, v40
	v_cmp_gt_i32_e32 vcc_lo, 0, v197
	v_and_b32_e32 v39, v39, v200
	v_not_b32_e32 v197, v198
	v_ashrrev_i32_e32 v42, 31, v42
	v_xor_b32_e32 v41, s17, v41
	v_cmp_gt_i32_e64 s17, 0, v198
	v_and_b32_e32 v39, v39, v40
	v_not_b32_e32 v40, v199
	v_ashrrev_i32_e32 v197, 31, v197
	v_xor_b32_e32 v42, vcc_lo, v42
	v_cmp_gt_i32_e32 vcc_lo, 0, v199
	v_and_b32_e32 v39, v39, v41
	v_not_b32_e32 v41, v43
	v_ashrrev_i32_e32 v40, 31, v40
	v_xor_b32_e32 v197, s17, v197
	v_mul_u32_u24_e32 v37, 9, v37
	v_and_b32_e32 v39, v39, v42
	v_cmp_gt_i32_e64 s17, 0, v43
	v_ashrrev_i32_e32 v41, 31, v41
	v_xor_b32_e32 v40, vcc_lo, v40
	v_add_lshl_u32 v42, v37, v126, 2
	v_and_b32_e32 v39, v39, v197
	s_delay_alu instid0(VALU_DEP_4) | instskip(SKIP_3) | instid1(VALU_DEP_2)
	v_xor_b32_e32 v37, s17, v41
	ds_load_b32 v198, v42 offset:1056
	v_and_b32_e32 v39, v39, v40
	v_add_nc_u32_e32 v200, 0x420, v42
	; wave barrier
	v_and_b32_e32 v37, v39, v37
	s_delay_alu instid0(VALU_DEP_1) | instskip(SKIP_1) | instid1(VALU_DEP_2)
	v_mbcnt_lo_u32_b32 v199, v37, 0
	v_cmp_ne_u32_e64 s17, 0, v37
	v_cmp_eq_u32_e32 vcc_lo, 0, v199
	s_delay_alu instid0(VALU_DEP_2) | instskip(NEXT) | instid1(SALU_CYCLE_1)
	s_and_b32 s18, s17, vcc_lo
	s_and_saveexec_b32 s17, s18
	s_cbranch_execz .LBB1776_1051
; %bb.1050:                             ;   in Loop: Header=BB1776_987 Depth=2
	s_waitcnt lgkmcnt(0)
	v_bcnt_u32_b32 v37, v37, v198
	ds_store_b32 v200, v37
.LBB1776_1051:                          ;   in Loop: Header=BB1776_987 Depth=2
	s_or_b32 exec_lo, exec_lo, s17
	v_cmp_gt_i16_e32 vcc_lo, 0, v38
	; wave barrier
	v_cndmask_b32_e64 v37, 0x7fff, 0, vcc_lo
	s_delay_alu instid0(VALU_DEP_1) | instskip(NEXT) | instid1(VALU_DEP_1)
	v_xor_b32_e32 v197, v37, v38
	v_cmp_ne_u16_e64 vcc_lo, 0x8000, v197
	v_cndmask_b32_e32 v37, 0x7fff, v197, vcc_lo
	s_delay_alu instid0(VALU_DEP_1) | instskip(NEXT) | instid1(VALU_DEP_1)
	v_and_b32_e32 v37, 0xffff, v37
	v_lshrrev_b32_e32 v37, s49, v37
	s_delay_alu instid0(VALU_DEP_1) | instskip(NEXT) | instid1(VALU_DEP_1)
	v_and_b32_e32 v37, s55, v37
	v_and_b32_e32 v38, 1, v37
	v_lshlrev_b32_e32 v39, 30, v37
	v_lshlrev_b32_e32 v40, 29, v37
	;; [unrolled: 1-line block ×4, first 2 shown]
	v_add_co_u32 v38, s17, v38, -1
	s_delay_alu instid0(VALU_DEP_1)
	v_cndmask_b32_e64 v42, 0, 1, s17
	v_not_b32_e32 v203, v39
	v_cmp_gt_i32_e64 s17, 0, v39
	v_not_b32_e32 v39, v40
	v_lshlrev_b32_e32 v201, 26, v37
	v_cmp_ne_u32_e32 vcc_lo, 0, v42
	v_ashrrev_i32_e32 v203, 31, v203
	v_lshlrev_b32_e32 v202, 25, v37
	v_ashrrev_i32_e32 v39, 31, v39
	v_lshlrev_b32_e32 v42, 24, v37
	v_xor_b32_e32 v38, vcc_lo, v38
	v_cmp_gt_i32_e32 vcc_lo, 0, v40
	v_not_b32_e32 v40, v41
	v_xor_b32_e32 v203, s17, v203
	v_cmp_gt_i32_e64 s17, 0, v41
	v_and_b32_e32 v38, exec_lo, v38
	v_not_b32_e32 v41, v43
	v_ashrrev_i32_e32 v40, 31, v40
	v_xor_b32_e32 v39, vcc_lo, v39
	v_cmp_gt_i32_e32 vcc_lo, 0, v43
	v_and_b32_e32 v38, v38, v203
	v_not_b32_e32 v43, v201
	v_ashrrev_i32_e32 v41, 31, v41
	v_xor_b32_e32 v40, s17, v40
	v_cmp_gt_i32_e64 s17, 0, v201
	v_and_b32_e32 v38, v38, v39
	v_not_b32_e32 v39, v202
	v_ashrrev_i32_e32 v43, 31, v43
	v_xor_b32_e32 v41, vcc_lo, v41
	v_cmp_gt_i32_e32 vcc_lo, 0, v202
	v_and_b32_e32 v38, v38, v40
	v_not_b32_e32 v40, v42
	v_ashrrev_i32_e32 v39, 31, v39
	v_xor_b32_e32 v43, s17, v43
	v_mul_u32_u24_e32 v37, 9, v37
	v_and_b32_e32 v38, v38, v41
	v_cmp_gt_i32_e64 s17, 0, v42
	v_ashrrev_i32_e32 v40, 31, v40
	v_xor_b32_e32 v39, vcc_lo, v39
	v_add_lshl_u32 v41, v37, v126, 2
	v_and_b32_e32 v38, v38, v43
	s_delay_alu instid0(VALU_DEP_4) | instskip(SKIP_3) | instid1(VALU_DEP_2)
	v_xor_b32_e32 v37, s17, v40
	ds_load_b32 v202, v41 offset:1056
	v_and_b32_e32 v38, v38, v39
	v_add_nc_u32_e32 v204, 0x420, v41
	; wave barrier
	v_and_b32_e32 v37, v38, v37
	s_delay_alu instid0(VALU_DEP_1) | instskip(SKIP_1) | instid1(VALU_DEP_2)
	v_mbcnt_lo_u32_b32 v203, v37, 0
	v_cmp_ne_u32_e64 s17, 0, v37
	v_cmp_eq_u32_e32 vcc_lo, 0, v203
	s_delay_alu instid0(VALU_DEP_2) | instskip(NEXT) | instid1(SALU_CYCLE_1)
	s_and_b32 s18, s17, vcc_lo
	s_and_saveexec_b32 s17, s18
	s_cbranch_execz .LBB1776_1053
; %bb.1052:                             ;   in Loop: Header=BB1776_987 Depth=2
	s_waitcnt lgkmcnt(0)
	v_bcnt_u32_b32 v37, v37, v202
	ds_store_b32 v204, v37
.LBB1776_1053:                          ;   in Loop: Header=BB1776_987 Depth=2
	s_or_b32 exec_lo, exec_lo, s17
	v_cmp_gt_i16_e32 vcc_lo, 0, v36
	; wave barrier
	v_cndmask_b32_e64 v37, 0x7fff, 0, vcc_lo
	s_delay_alu instid0(VALU_DEP_1) | instskip(NEXT) | instid1(VALU_DEP_1)
	v_xor_b32_e32 v201, v37, v36
	v_cmp_ne_u16_e64 vcc_lo, 0x8000, v201
	v_cndmask_b32_e32 v36, 0x7fff, v201, vcc_lo
	s_delay_alu instid0(VALU_DEP_1) | instskip(NEXT) | instid1(VALU_DEP_1)
	v_and_b32_e32 v36, 0xffff, v36
	v_lshrrev_b32_e32 v36, s49, v36
	s_delay_alu instid0(VALU_DEP_1) | instskip(NEXT) | instid1(VALU_DEP_1)
	v_and_b32_e32 v36, s55, v36
	v_and_b32_e32 v37, 1, v36
	v_lshlrev_b32_e32 v38, 30, v36
	v_lshlrev_b32_e32 v39, 29, v36
	;; [unrolled: 1-line block ×4, first 2 shown]
	v_add_co_u32 v37, s17, v37, -1
	s_delay_alu instid0(VALU_DEP_1)
	v_cndmask_b32_e64 v41, 0, 1, s17
	v_not_b32_e32 v206, v38
	v_cmp_gt_i32_e64 s17, 0, v38
	v_not_b32_e32 v38, v39
	v_lshlrev_b32_e32 v43, 26, v36
	v_cmp_ne_u32_e32 vcc_lo, 0, v41
	v_ashrrev_i32_e32 v206, 31, v206
	v_lshlrev_b32_e32 v205, 25, v36
	v_ashrrev_i32_e32 v38, 31, v38
	v_lshlrev_b32_e32 v41, 24, v36
	v_xor_b32_e32 v37, vcc_lo, v37
	v_cmp_gt_i32_e32 vcc_lo, 0, v39
	v_not_b32_e32 v39, v40
	v_xor_b32_e32 v206, s17, v206
	v_cmp_gt_i32_e64 s17, 0, v40
	v_and_b32_e32 v37, exec_lo, v37
	v_not_b32_e32 v40, v42
	v_ashrrev_i32_e32 v39, 31, v39
	v_xor_b32_e32 v38, vcc_lo, v38
	v_cmp_gt_i32_e32 vcc_lo, 0, v42
	v_and_b32_e32 v37, v37, v206
	v_not_b32_e32 v42, v43
	v_ashrrev_i32_e32 v40, 31, v40
	v_xor_b32_e32 v39, s17, v39
	v_cmp_gt_i32_e64 s17, 0, v43
	v_and_b32_e32 v37, v37, v38
	v_not_b32_e32 v38, v205
	v_ashrrev_i32_e32 v42, 31, v42
	v_xor_b32_e32 v40, vcc_lo, v40
	v_cmp_gt_i32_e32 vcc_lo, 0, v205
	v_and_b32_e32 v37, v37, v39
	v_not_b32_e32 v39, v41
	v_ashrrev_i32_e32 v38, 31, v38
	v_xor_b32_e32 v42, s17, v42
	v_mul_u32_u24_e32 v36, 9, v36
	v_and_b32_e32 v37, v37, v40
	v_cmp_gt_i32_e64 s17, 0, v41
	v_ashrrev_i32_e32 v39, 31, v39
	v_xor_b32_e32 v38, vcc_lo, v38
	v_add_lshl_u32 v40, v36, v126, 2
	v_and_b32_e32 v37, v37, v42
	s_delay_alu instid0(VALU_DEP_4) | instskip(SKIP_3) | instid1(VALU_DEP_2)
	v_xor_b32_e32 v36, s17, v39
	ds_load_b32 v205, v40 offset:1056
	v_and_b32_e32 v37, v37, v38
	v_add_nc_u32_e32 v207, 0x420, v40
	; wave barrier
	v_and_b32_e32 v36, v37, v36
	s_delay_alu instid0(VALU_DEP_1) | instskip(SKIP_1) | instid1(VALU_DEP_2)
	v_mbcnt_lo_u32_b32 v206, v36, 0
	v_cmp_ne_u32_e64 s17, 0, v36
	v_cmp_eq_u32_e32 vcc_lo, 0, v206
	s_delay_alu instid0(VALU_DEP_2) | instskip(NEXT) | instid1(SALU_CYCLE_1)
	s_and_b32 s18, s17, vcc_lo
	s_and_saveexec_b32 s17, s18
	s_cbranch_execz .LBB1776_1055
; %bb.1054:                             ;   in Loop: Header=BB1776_987 Depth=2
	s_waitcnt lgkmcnt(0)
	v_bcnt_u32_b32 v36, v36, v205
	ds_store_b32 v207, v36
.LBB1776_1055:                          ;   in Loop: Header=BB1776_987 Depth=2
	s_or_b32 exec_lo, exec_lo, s17
	; wave barrier
	s_waitcnt lgkmcnt(0)
	s_barrier
	buffer_gl0_inv
	ds_load_b32 v208, v69 offset:1056
	ds_load_2addr_b32 v[42:43], v71 offset0:1 offset1:2
	ds_load_2addr_b32 v[40:41], v71 offset0:3 offset1:4
	;; [unrolled: 1-line block ×4, first 2 shown]
	s_waitcnt lgkmcnt(3)
	v_add3_u32 v209, v42, v208, v43
	s_waitcnt lgkmcnt(2)
	s_delay_alu instid0(VALU_DEP_1) | instskip(SKIP_1) | instid1(VALU_DEP_1)
	v_add3_u32 v209, v209, v40, v41
	s_waitcnt lgkmcnt(1)
	v_add3_u32 v209, v209, v36, v37
	s_waitcnt lgkmcnt(0)
	s_delay_alu instid0(VALU_DEP_1) | instskip(NEXT) | instid1(VALU_DEP_1)
	v_add3_u32 v39, v209, v38, v39
	v_mov_b32_dpp v209, v39 row_shr:1 row_mask:0xf bank_mask:0xf
	s_delay_alu instid0(VALU_DEP_1) | instskip(NEXT) | instid1(VALU_DEP_1)
	v_cndmask_b32_e64 v209, v209, 0, s0
	v_add_nc_u32_e32 v39, v209, v39
	s_delay_alu instid0(VALU_DEP_1) | instskip(NEXT) | instid1(VALU_DEP_1)
	v_mov_b32_dpp v209, v39 row_shr:2 row_mask:0xf bank_mask:0xf
	v_cndmask_b32_e64 v209, 0, v209, s1
	s_delay_alu instid0(VALU_DEP_1) | instskip(NEXT) | instid1(VALU_DEP_1)
	v_add_nc_u32_e32 v39, v39, v209
	v_mov_b32_dpp v209, v39 row_shr:4 row_mask:0xf bank_mask:0xf
	s_delay_alu instid0(VALU_DEP_1) | instskip(NEXT) | instid1(VALU_DEP_1)
	v_cndmask_b32_e64 v209, 0, v209, s8
	v_add_nc_u32_e32 v39, v39, v209
	s_delay_alu instid0(VALU_DEP_1) | instskip(NEXT) | instid1(VALU_DEP_1)
	v_mov_b32_dpp v209, v39 row_shr:8 row_mask:0xf bank_mask:0xf
	v_cndmask_b32_e64 v209, 0, v209, s9
	s_delay_alu instid0(VALU_DEP_1) | instskip(SKIP_3) | instid1(VALU_DEP_1)
	v_add_nc_u32_e32 v39, v39, v209
	ds_swizzle_b32 v209, v39 offset:swizzle(BROADCAST,32,15)
	s_waitcnt lgkmcnt(0)
	v_cndmask_b32_e64 v209, v209, 0, s10
	v_add_nc_u32_e32 v39, v39, v209
	s_and_saveexec_b32 s17, s3
	s_cbranch_execz .LBB1776_1057
; %bb.1056:                             ;   in Loop: Header=BB1776_987 Depth=2
	ds_store_b32 v62, v39 offset:1024
.LBB1776_1057:                          ;   in Loop: Header=BB1776_987 Depth=2
	s_or_b32 exec_lo, exec_lo, s17
	s_waitcnt lgkmcnt(0)
	s_barrier
	buffer_gl0_inv
	s_and_saveexec_b32 s17, s4
	s_cbranch_execz .LBB1776_1059
; %bb.1058:                             ;   in Loop: Header=BB1776_987 Depth=2
	ds_load_b32 v209, v72 offset:1024
	s_waitcnt lgkmcnt(0)
	v_mov_b32_dpp v210, v209 row_shr:1 row_mask:0xf bank_mask:0xf
	s_delay_alu instid0(VALU_DEP_1) | instskip(NEXT) | instid1(VALU_DEP_1)
	v_cndmask_b32_e64 v210, v210, 0, s12
	v_add_nc_u32_e32 v209, v210, v209
	s_delay_alu instid0(VALU_DEP_1) | instskip(NEXT) | instid1(VALU_DEP_1)
	v_mov_b32_dpp v210, v209 row_shr:2 row_mask:0xf bank_mask:0xf
	v_cndmask_b32_e64 v210, 0, v210, s13
	s_delay_alu instid0(VALU_DEP_1) | instskip(NEXT) | instid1(VALU_DEP_1)
	v_add_nc_u32_e32 v209, v209, v210
	v_mov_b32_dpp v210, v209 row_shr:4 row_mask:0xf bank_mask:0xf
	s_delay_alu instid0(VALU_DEP_1) | instskip(NEXT) | instid1(VALU_DEP_1)
	v_cndmask_b32_e64 v210, 0, v210, s16
	v_add_nc_u32_e32 v209, v209, v210
	ds_store_b32 v72, v209 offset:1024
.LBB1776_1059:                          ;   in Loop: Header=BB1776_987 Depth=2
	s_or_b32 exec_lo, exec_lo, s17
	v_mov_b32_e32 v209, 0
	s_waitcnt lgkmcnt(0)
	s_barrier
	buffer_gl0_inv
	s_and_saveexec_b32 s17, s5
	s_cbranch_execz .LBB1776_1061
; %bb.1060:                             ;   in Loop: Header=BB1776_987 Depth=2
	ds_load_b32 v209, v62 offset:1020
.LBB1776_1061:                          ;   in Loop: Header=BB1776_987 Depth=2
	s_or_b32 exec_lo, exec_lo, s17
	s_waitcnt lgkmcnt(0)
	v_add_nc_u32_e32 v39, v209, v39
	ds_bpermute_b32 v39, v105, v39
	s_waitcnt lgkmcnt(0)
	v_cndmask_b32_e64 v39, v39, v209, s11
	s_delay_alu instid0(VALU_DEP_1) | instskip(NEXT) | instid1(VALU_DEP_1)
	v_cndmask_b32_e64 v39, v39, 0, s6
	v_add_nc_u32_e32 v208, v39, v208
	s_delay_alu instid0(VALU_DEP_1) | instskip(NEXT) | instid1(VALU_DEP_1)
	v_add_nc_u32_e32 v42, v208, v42
	v_add_nc_u32_e32 v43, v42, v43
	s_delay_alu instid0(VALU_DEP_1) | instskip(NEXT) | instid1(VALU_DEP_1)
	v_add_nc_u32_e32 v40, v43, v40
	v_add_nc_u32_e32 v41, v40, v41
	s_delay_alu instid0(VALU_DEP_1) | instskip(NEXT) | instid1(VALU_DEP_1)
	v_add_nc_u32_e32 v36, v41, v36
	v_add_nc_u32_e32 v37, v36, v37
	s_delay_alu instid0(VALU_DEP_1)
	v_add_nc_u32_e32 v38, v37, v38
	ds_store_b32 v69, v39 offset:1056
	ds_store_2addr_b32 v71, v208, v42 offset0:1 offset1:2
	ds_store_2addr_b32 v71, v43, v40 offset0:3 offset1:4
	;; [unrolled: 1-line block ×4, first 2 shown]
	v_mov_b32_e32 v38, 0x1000
	s_waitcnt lgkmcnt(0)
	s_barrier
	buffer_gl0_inv
	ds_load_b32 v39, v152
	ds_load_b32 v40, v156
	;; [unrolled: 1-line block ×16, first 2 shown]
	ds_load_b32 v156, v69 offset:1056
	s_and_saveexec_b32 s17, s7
	s_cbranch_execz .LBB1776_1063
; %bb.1062:                             ;   in Loop: Header=BB1776_987 Depth=2
	ds_load_b32 v38, v73 offset:1056
.LBB1776_1063:                          ;   in Loop: Header=BB1776_987 Depth=2
	s_or_b32 exec_lo, exec_lo, s17
	s_waitcnt lgkmcnt(0)
	s_barrier
	buffer_gl0_inv
	s_and_saveexec_b32 s17, s2
	s_cbranch_execz .LBB1776_1065
; %bb.1064:                             ;   in Loop: Header=BB1776_987 Depth=2
	ds_load_b32 v160, v44
	s_waitcnt lgkmcnt(0)
	v_sub_nc_u32_e32 v156, v160, v156
	ds_store_b32 v44, v156
.LBB1776_1065:                          ;   in Loop: Header=BB1776_987 Depth=2
	s_or_b32 exec_lo, exec_lo, s17
	v_add_nc_u32_e32 v168, v148, v146
	v_add3_u32 v164, v151, v150, v39
	v_add3_u32 v156, v159, v158, v41
	;; [unrolled: 1-line block ×4, first 2 shown]
	v_lshlrev_b32_e32 v158, 1, v168
	v_add3_u32 v154, v167, v166, v43
	v_add3_u32 v152, v172, v171, v152
	v_add3_u32 v43, v203, v202, v36
	v_lshlrev_b32_e32 v36, 1, v164
	ds_store_b16 v158, v2 offset:1024
	v_lshlrev_b32_e32 v2, 1, v156
	v_add3_u32 v151, v175, v174, v173
	v_add3_u32 v41, v206, v205, v37
	v_lshlrev_b32_e32 v37, 1, v160
	v_lshlrev_b32_e32 v158, 1, v155
	v_add3_u32 v150, v179, v178, v176
	v_add3_u32 v146, v187, v186, v184
	ds_store_b16 v36, v147 offset:1024
	ds_store_b16 v37, v149 offset:1024
	v_lshlrev_b32_e32 v36, 1, v154
	ds_store_b16 v2, v153 offset:1024
	ds_store_b16 v158, v157 offset:1024
	v_lshlrev_b32_e32 v2, 1, v152
	v_add3_u32 v148, v183, v182, v180
	v_lshlrev_b32_e32 v37, 1, v151
	v_add3_u32 v42, v191, v190, v188
	v_add3_u32 v39, v199, v198, v196
	ds_store_b16 v36, v161 offset:1024
	v_lshlrev_b32_e32 v36, 1, v150
	ds_store_b16 v2, v165 offset:1024
	ds_store_b16 v37, v170 offset:1024
	v_lshlrev_b32_e32 v2, 1, v146
	v_add3_u32 v40, v195, v194, v192
	v_lshlrev_b32_e32 v147, 1, v148
	ds_store_b16 v36, v169 offset:1024
	ds_store_b16 v147, v177 offset:1024
	v_lshlrev_b32_e32 v36, 1, v42
	ds_store_b16 v2, v181 offset:1024
	v_lshlrev_b32_e32 v2, 1, v39
	v_lshlrev_b32_e32 v37, 1, v40
	;; [unrolled: 1-line block ×3, first 2 shown]
	ds_store_b16 v36, v185 offset:1024
	ds_store_b16 v37, v189 offset:1024
	v_lshlrev_b32_e32 v36, 1, v41
	ds_store_b16 v2, v193 offset:1024
	ds_store_b16 v147, v197 offset:1024
	v_cmp_lt_u32_e32 vcc_lo, v1, v145
	v_add_nc_u32_e32 v147, v72, v78
	ds_store_b16 v36, v201 offset:1024
	s_waitcnt lgkmcnt(0)
	s_barrier
	buffer_gl0_inv
	s_and_saveexec_b32 s18, vcc_lo
	s_cbranch_execz .LBB1776_1081
; %bb.1066:                             ;   in Loop: Header=BB1776_987 Depth=2
	ds_load_u16 v149, v147 offset:1024
	s_waitcnt lgkmcnt(0)
	v_cmp_ne_u16_e64 s17, 0x8000, v149
	s_delay_alu instid0(VALU_DEP_1) | instskip(SKIP_1) | instid1(VALU_DEP_2)
	v_cndmask_b32_e64 v2, 0x7fff, v149, s17
	v_cmp_gt_i16_e64 s17, 0, v149
	v_and_b32_e32 v2, 0xffff, v2
	s_delay_alu instid0(VALU_DEP_2) | instskip(NEXT) | instid1(VALU_DEP_2)
	v_cndmask_b32_e64 v153, 0x7fff, 0, s17
	v_lshrrev_b32_e32 v2, s49, v2
	s_delay_alu instid0(VALU_DEP_1) | instskip(NEXT) | instid1(VALU_DEP_1)
	v_and_b32_e32 v2, s55, v2
	v_lshlrev_b32_e32 v2, 2, v2
	ds_load_b32 v2, v2
	s_waitcnt lgkmcnt(0)
	v_add_nc_u32_e32 v2, v2, v1
	s_delay_alu instid0(VALU_DEP_1) | instskip(SKIP_1) | instid1(VALU_DEP_2)
	v_lshlrev_b64 v[36:37], 1, v[2:3]
	v_xor_b32_e32 v2, v153, v149
	v_add_co_u32 v36, s17, s40, v36
	s_delay_alu instid0(VALU_DEP_1) | instskip(SKIP_3) | instid1(VALU_DEP_1)
	v_add_co_ci_u32_e64 v37, s17, s41, v37, s17
	global_store_b16 v[36:37], v2, off
	s_or_b32 exec_lo, exec_lo, s18
	v_cmp_lt_u32_e64 s17, v45, v145
	s_and_saveexec_b32 s19, s17
	s_cbranch_execnz .LBB1776_1082
.LBB1776_1067:                          ;   in Loop: Header=BB1776_987 Depth=2
	s_or_b32 exec_lo, exec_lo, s19
	v_cmp_lt_u32_e64 s18, v46, v145
	s_delay_alu instid0(VALU_DEP_1)
	s_and_saveexec_b32 s20, s18
	s_cbranch_execz .LBB1776_1083
.LBB1776_1068:                          ;   in Loop: Header=BB1776_987 Depth=2
	ds_load_u16 v149, v79 offset:1024
	s_waitcnt lgkmcnt(0)
	v_cmp_ne_u16_e64 s19, 0x8000, v149
	s_delay_alu instid0(VALU_DEP_1) | instskip(SKIP_1) | instid1(VALU_DEP_2)
	v_cndmask_b32_e64 v2, 0x7fff, v149, s19
	v_cmp_gt_i16_e64 s19, 0, v149
	v_and_b32_e32 v2, 0xffff, v2
	s_delay_alu instid0(VALU_DEP_2) | instskip(NEXT) | instid1(VALU_DEP_2)
	v_cndmask_b32_e64 v153, 0x7fff, 0, s19
	v_lshrrev_b32_e32 v2, s49, v2
	s_delay_alu instid0(VALU_DEP_1) | instskip(NEXT) | instid1(VALU_DEP_1)
	v_and_b32_e32 v2, s55, v2
	v_lshlrev_b32_e32 v2, 2, v2
	ds_load_b32 v2, v2
	s_waitcnt lgkmcnt(0)
	v_add_nc_u32_e32 v2, v2, v46
	s_delay_alu instid0(VALU_DEP_1) | instskip(SKIP_1) | instid1(VALU_DEP_2)
	v_lshlrev_b64 v[36:37], 1, v[2:3]
	v_xor_b32_e32 v2, v153, v149
	v_add_co_u32 v36, s19, s40, v36
	s_delay_alu instid0(VALU_DEP_1) | instskip(SKIP_3) | instid1(VALU_DEP_1)
	v_add_co_ci_u32_e64 v37, s19, s41, v37, s19
	global_store_b16 v[36:37], v2, off
	s_or_b32 exec_lo, exec_lo, s20
	v_cmp_lt_u32_e64 s19, v47, v145
	s_and_saveexec_b32 s21, s19
	s_cbranch_execnz .LBB1776_1084
.LBB1776_1069:                          ;   in Loop: Header=BB1776_987 Depth=2
	s_or_b32 exec_lo, exec_lo, s21
	v_cmp_lt_u32_e64 s20, v51, v145
	s_delay_alu instid0(VALU_DEP_1)
	s_and_saveexec_b32 s22, s20
	s_cbranch_execz .LBB1776_1085
.LBB1776_1070:                          ;   in Loop: Header=BB1776_987 Depth=2
	ds_load_u16 v149, v79 offset:2048
	s_waitcnt lgkmcnt(0)
	v_cmp_ne_u16_e64 s21, 0x8000, v149
	s_delay_alu instid0(VALU_DEP_1) | instskip(SKIP_1) | instid1(VALU_DEP_2)
	v_cndmask_b32_e64 v2, 0x7fff, v149, s21
	v_cmp_gt_i16_e64 s21, 0, v149
	v_and_b32_e32 v2, 0xffff, v2
	s_delay_alu instid0(VALU_DEP_2) | instskip(NEXT) | instid1(VALU_DEP_2)
	v_cndmask_b32_e64 v153, 0x7fff, 0, s21
	v_lshrrev_b32_e32 v2, s49, v2
	s_delay_alu instid0(VALU_DEP_1) | instskip(NEXT) | instid1(VALU_DEP_1)
	v_and_b32_e32 v2, s55, v2
	v_lshlrev_b32_e32 v2, 2, v2
	ds_load_b32 v2, v2
	s_waitcnt lgkmcnt(0)
	v_add_nc_u32_e32 v2, v2, v51
	s_delay_alu instid0(VALU_DEP_1) | instskip(SKIP_1) | instid1(VALU_DEP_2)
	v_lshlrev_b64 v[36:37], 1, v[2:3]
	v_xor_b32_e32 v2, v153, v149
	v_add_co_u32 v36, s21, s40, v36
	s_delay_alu instid0(VALU_DEP_1) | instskip(SKIP_3) | instid1(VALU_DEP_1)
	v_add_co_ci_u32_e64 v37, s21, s41, v37, s21
	global_store_b16 v[36:37], v2, off
	s_or_b32 exec_lo, exec_lo, s22
	v_cmp_lt_u32_e64 s21, v52, v145
	s_and_saveexec_b32 s23, s21
	s_cbranch_execnz .LBB1776_1086
.LBB1776_1071:                          ;   in Loop: Header=BB1776_987 Depth=2
	s_or_b32 exec_lo, exec_lo, s23
	v_cmp_lt_u32_e64 s22, v53, v145
	s_delay_alu instid0(VALU_DEP_1)
	s_and_saveexec_b32 s24, s22
	s_cbranch_execz .LBB1776_1087
.LBB1776_1072:                          ;   in Loop: Header=BB1776_987 Depth=2
	ds_load_u16 v149, v79 offset:3072
	s_waitcnt lgkmcnt(0)
	v_cmp_ne_u16_e64 s23, 0x8000, v149
	s_delay_alu instid0(VALU_DEP_1) | instskip(SKIP_1) | instid1(VALU_DEP_2)
	v_cndmask_b32_e64 v2, 0x7fff, v149, s23
	v_cmp_gt_i16_e64 s23, 0, v149
	v_and_b32_e32 v2, 0xffff, v2
	s_delay_alu instid0(VALU_DEP_2) | instskip(NEXT) | instid1(VALU_DEP_2)
	v_cndmask_b32_e64 v153, 0x7fff, 0, s23
	v_lshrrev_b32_e32 v2, s49, v2
	s_delay_alu instid0(VALU_DEP_1) | instskip(NEXT) | instid1(VALU_DEP_1)
	v_and_b32_e32 v2, s55, v2
	v_lshlrev_b32_e32 v2, 2, v2
	ds_load_b32 v2, v2
	s_waitcnt lgkmcnt(0)
	v_add_nc_u32_e32 v2, v2, v53
	s_delay_alu instid0(VALU_DEP_1) | instskip(SKIP_1) | instid1(VALU_DEP_2)
	v_lshlrev_b64 v[36:37], 1, v[2:3]
	v_xor_b32_e32 v2, v153, v149
	v_add_co_u32 v36, s23, s40, v36
	s_delay_alu instid0(VALU_DEP_1) | instskip(SKIP_3) | instid1(VALU_DEP_1)
	v_add_co_ci_u32_e64 v37, s23, s41, v37, s23
	global_store_b16 v[36:37], v2, off
	s_or_b32 exec_lo, exec_lo, s24
	v_cmp_lt_u32_e64 s23, v54, v145
	s_and_saveexec_b32 s25, s23
	s_cbranch_execnz .LBB1776_1088
.LBB1776_1073:                          ;   in Loop: Header=BB1776_987 Depth=2
	s_or_b32 exec_lo, exec_lo, s25
	v_cmp_lt_u32_e64 s24, v55, v145
	s_delay_alu instid0(VALU_DEP_1)
	s_and_saveexec_b32 s26, s24
	s_cbranch_execz .LBB1776_1089
.LBB1776_1074:                          ;   in Loop: Header=BB1776_987 Depth=2
	ds_load_u16 v149, v79 offset:4096
	s_waitcnt lgkmcnt(0)
	v_cmp_ne_u16_e64 s25, 0x8000, v149
	s_delay_alu instid0(VALU_DEP_1) | instskip(SKIP_1) | instid1(VALU_DEP_2)
	v_cndmask_b32_e64 v2, 0x7fff, v149, s25
	v_cmp_gt_i16_e64 s25, 0, v149
	v_and_b32_e32 v2, 0xffff, v2
	s_delay_alu instid0(VALU_DEP_2) | instskip(NEXT) | instid1(VALU_DEP_2)
	v_cndmask_b32_e64 v153, 0x7fff, 0, s25
	v_lshrrev_b32_e32 v2, s49, v2
	s_delay_alu instid0(VALU_DEP_1) | instskip(NEXT) | instid1(VALU_DEP_1)
	v_and_b32_e32 v2, s55, v2
	v_lshlrev_b32_e32 v2, 2, v2
	ds_load_b32 v2, v2
	s_waitcnt lgkmcnt(0)
	v_add_nc_u32_e32 v2, v2, v55
	s_delay_alu instid0(VALU_DEP_1) | instskip(SKIP_1) | instid1(VALU_DEP_2)
	v_lshlrev_b64 v[36:37], 1, v[2:3]
	v_xor_b32_e32 v2, v153, v149
	v_add_co_u32 v36, s25, s40, v36
	s_delay_alu instid0(VALU_DEP_1) | instskip(SKIP_3) | instid1(VALU_DEP_1)
	v_add_co_ci_u32_e64 v37, s25, s41, v37, s25
	global_store_b16 v[36:37], v2, off
	s_or_b32 exec_lo, exec_lo, s26
	v_cmp_lt_u32_e64 s25, v56, v145
	s_and_saveexec_b32 s27, s25
	s_cbranch_execnz .LBB1776_1090
.LBB1776_1075:                          ;   in Loop: Header=BB1776_987 Depth=2
	s_or_b32 exec_lo, exec_lo, s27
	v_cmp_lt_u32_e64 s26, v57, v145
	s_delay_alu instid0(VALU_DEP_1)
	s_and_saveexec_b32 s28, s26
	s_cbranch_execz .LBB1776_1091
.LBB1776_1076:                          ;   in Loop: Header=BB1776_987 Depth=2
	ds_load_u16 v149, v79 offset:5120
	s_waitcnt lgkmcnt(0)
	v_cmp_ne_u16_e64 s27, 0x8000, v149
	s_delay_alu instid0(VALU_DEP_1) | instskip(SKIP_1) | instid1(VALU_DEP_2)
	v_cndmask_b32_e64 v2, 0x7fff, v149, s27
	v_cmp_gt_i16_e64 s27, 0, v149
	v_and_b32_e32 v2, 0xffff, v2
	s_delay_alu instid0(VALU_DEP_2) | instskip(NEXT) | instid1(VALU_DEP_2)
	v_cndmask_b32_e64 v153, 0x7fff, 0, s27
	v_lshrrev_b32_e32 v2, s49, v2
	s_delay_alu instid0(VALU_DEP_1) | instskip(NEXT) | instid1(VALU_DEP_1)
	v_and_b32_e32 v2, s55, v2
	v_lshlrev_b32_e32 v2, 2, v2
	ds_load_b32 v2, v2
	s_waitcnt lgkmcnt(0)
	v_add_nc_u32_e32 v2, v2, v57
	s_delay_alu instid0(VALU_DEP_1) | instskip(SKIP_1) | instid1(VALU_DEP_2)
	v_lshlrev_b64 v[36:37], 1, v[2:3]
	v_xor_b32_e32 v2, v153, v149
	v_add_co_u32 v36, s27, s40, v36
	s_delay_alu instid0(VALU_DEP_1) | instskip(SKIP_3) | instid1(VALU_DEP_1)
	v_add_co_ci_u32_e64 v37, s27, s41, v37, s27
	global_store_b16 v[36:37], v2, off
	s_or_b32 exec_lo, exec_lo, s28
	v_cmp_lt_u32_e64 s27, v58, v145
	s_and_saveexec_b32 s29, s27
	s_cbranch_execnz .LBB1776_1092
.LBB1776_1077:                          ;   in Loop: Header=BB1776_987 Depth=2
	s_or_b32 exec_lo, exec_lo, s29
	v_cmp_lt_u32_e64 s28, v59, v145
	s_delay_alu instid0(VALU_DEP_1)
	s_and_saveexec_b32 s30, s28
	s_cbranch_execz .LBB1776_1093
.LBB1776_1078:                          ;   in Loop: Header=BB1776_987 Depth=2
	ds_load_u16 v149, v79 offset:6144
	s_waitcnt lgkmcnt(0)
	v_cmp_ne_u16_e64 s29, 0x8000, v149
	s_delay_alu instid0(VALU_DEP_1) | instskip(SKIP_1) | instid1(VALU_DEP_2)
	v_cndmask_b32_e64 v2, 0x7fff, v149, s29
	v_cmp_gt_i16_e64 s29, 0, v149
	v_and_b32_e32 v2, 0xffff, v2
	s_delay_alu instid0(VALU_DEP_2) | instskip(NEXT) | instid1(VALU_DEP_2)
	v_cndmask_b32_e64 v153, 0x7fff, 0, s29
	v_lshrrev_b32_e32 v2, s49, v2
	s_delay_alu instid0(VALU_DEP_1) | instskip(NEXT) | instid1(VALU_DEP_1)
	v_and_b32_e32 v2, s55, v2
	v_lshlrev_b32_e32 v2, 2, v2
	ds_load_b32 v2, v2
	s_waitcnt lgkmcnt(0)
	v_add_nc_u32_e32 v2, v2, v59
	s_delay_alu instid0(VALU_DEP_1) | instskip(SKIP_1) | instid1(VALU_DEP_2)
	v_lshlrev_b64 v[36:37], 1, v[2:3]
	v_xor_b32_e32 v2, v153, v149
	v_add_co_u32 v36, s29, s40, v36
	s_delay_alu instid0(VALU_DEP_1) | instskip(SKIP_3) | instid1(VALU_DEP_1)
	v_add_co_ci_u32_e64 v37, s29, s41, v37, s29
	global_store_b16 v[36:37], v2, off
	s_or_b32 exec_lo, exec_lo, s30
	v_cmp_lt_u32_e64 s29, v60, v145
	s_and_saveexec_b32 s31, s29
	s_cbranch_execnz .LBB1776_1094
.LBB1776_1079:                          ;   in Loop: Header=BB1776_987 Depth=2
	s_or_b32 exec_lo, exec_lo, s31
	v_cmp_lt_u32_e64 s30, v61, v145
	s_delay_alu instid0(VALU_DEP_1)
	s_and_saveexec_b32 s33, s30
	s_cbranch_execz .LBB1776_1095
.LBB1776_1080:                          ;   in Loop: Header=BB1776_987 Depth=2
	ds_load_u16 v149, v79 offset:7168
	s_waitcnt lgkmcnt(0)
	v_cmp_ne_u16_e64 s31, 0x8000, v149
	s_delay_alu instid0(VALU_DEP_1) | instskip(SKIP_1) | instid1(VALU_DEP_2)
	v_cndmask_b32_e64 v2, 0x7fff, v149, s31
	v_cmp_gt_i16_e64 s31, 0, v149
	v_and_b32_e32 v2, 0xffff, v2
	s_delay_alu instid0(VALU_DEP_2) | instskip(NEXT) | instid1(VALU_DEP_2)
	v_cndmask_b32_e64 v153, 0x7fff, 0, s31
	v_lshrrev_b32_e32 v2, s49, v2
	s_delay_alu instid0(VALU_DEP_1) | instskip(NEXT) | instid1(VALU_DEP_1)
	v_and_b32_e32 v2, s55, v2
	v_lshlrev_b32_e32 v2, 2, v2
	ds_load_b32 v2, v2
	s_waitcnt lgkmcnt(0)
	v_add_nc_u32_e32 v2, v2, v61
	s_delay_alu instid0(VALU_DEP_1) | instskip(SKIP_1) | instid1(VALU_DEP_2)
	v_lshlrev_b64 v[36:37], 1, v[2:3]
	v_xor_b32_e32 v2, v153, v149
	v_add_co_u32 v36, s31, s40, v36
	s_delay_alu instid0(VALU_DEP_1) | instskip(SKIP_3) | instid1(VALU_DEP_1)
	v_add_co_ci_u32_e64 v37, s31, s41, v37, s31
	global_store_b16 v[36:37], v2, off
	s_or_b32 exec_lo, exec_lo, s33
	v_cmp_lt_u32_e64 s31, v63, v145
	s_and_saveexec_b32 s58, s31
	s_cbranch_execnz .LBB1776_1096
	s_branch .LBB1776_1097
.LBB1776_1081:                          ;   in Loop: Header=BB1776_987 Depth=2
	s_or_b32 exec_lo, exec_lo, s18
	v_cmp_lt_u32_e64 s17, v45, v145
	s_delay_alu instid0(VALU_DEP_1)
	s_and_saveexec_b32 s19, s17
	s_cbranch_execz .LBB1776_1067
.LBB1776_1082:                          ;   in Loop: Header=BB1776_987 Depth=2
	ds_load_u16 v149, v79 offset:512
	s_waitcnt lgkmcnt(0)
	v_cmp_ne_u16_e64 s18, 0x8000, v149
	s_delay_alu instid0(VALU_DEP_1) | instskip(SKIP_1) | instid1(VALU_DEP_2)
	v_cndmask_b32_e64 v2, 0x7fff, v149, s18
	v_cmp_gt_i16_e64 s18, 0, v149
	v_and_b32_e32 v2, 0xffff, v2
	s_delay_alu instid0(VALU_DEP_2) | instskip(NEXT) | instid1(VALU_DEP_2)
	v_cndmask_b32_e64 v153, 0x7fff, 0, s18
	v_lshrrev_b32_e32 v2, s49, v2
	s_delay_alu instid0(VALU_DEP_1) | instskip(NEXT) | instid1(VALU_DEP_1)
	v_and_b32_e32 v2, s55, v2
	v_lshlrev_b32_e32 v2, 2, v2
	ds_load_b32 v2, v2
	s_waitcnt lgkmcnt(0)
	v_add_nc_u32_e32 v2, v2, v45
	s_delay_alu instid0(VALU_DEP_1) | instskip(SKIP_1) | instid1(VALU_DEP_2)
	v_lshlrev_b64 v[36:37], 1, v[2:3]
	v_xor_b32_e32 v2, v153, v149
	v_add_co_u32 v36, s18, s40, v36
	s_delay_alu instid0(VALU_DEP_1) | instskip(SKIP_3) | instid1(VALU_DEP_1)
	v_add_co_ci_u32_e64 v37, s18, s41, v37, s18
	global_store_b16 v[36:37], v2, off
	s_or_b32 exec_lo, exec_lo, s19
	v_cmp_lt_u32_e64 s18, v46, v145
	s_and_saveexec_b32 s20, s18
	s_cbranch_execnz .LBB1776_1068
.LBB1776_1083:                          ;   in Loop: Header=BB1776_987 Depth=2
	s_or_b32 exec_lo, exec_lo, s20
	v_cmp_lt_u32_e64 s19, v47, v145
	s_delay_alu instid0(VALU_DEP_1)
	s_and_saveexec_b32 s21, s19
	s_cbranch_execz .LBB1776_1069
.LBB1776_1084:                          ;   in Loop: Header=BB1776_987 Depth=2
	ds_load_u16 v149, v79 offset:1536
	s_waitcnt lgkmcnt(0)
	v_cmp_ne_u16_e64 s20, 0x8000, v149
	s_delay_alu instid0(VALU_DEP_1) | instskip(SKIP_1) | instid1(VALU_DEP_2)
	v_cndmask_b32_e64 v2, 0x7fff, v149, s20
	v_cmp_gt_i16_e64 s20, 0, v149
	v_and_b32_e32 v2, 0xffff, v2
	s_delay_alu instid0(VALU_DEP_2) | instskip(NEXT) | instid1(VALU_DEP_2)
	v_cndmask_b32_e64 v153, 0x7fff, 0, s20
	v_lshrrev_b32_e32 v2, s49, v2
	s_delay_alu instid0(VALU_DEP_1) | instskip(NEXT) | instid1(VALU_DEP_1)
	v_and_b32_e32 v2, s55, v2
	v_lshlrev_b32_e32 v2, 2, v2
	ds_load_b32 v2, v2
	s_waitcnt lgkmcnt(0)
	v_add_nc_u32_e32 v2, v2, v47
	s_delay_alu instid0(VALU_DEP_1) | instskip(SKIP_1) | instid1(VALU_DEP_2)
	v_lshlrev_b64 v[36:37], 1, v[2:3]
	v_xor_b32_e32 v2, v153, v149
	v_add_co_u32 v36, s20, s40, v36
	s_delay_alu instid0(VALU_DEP_1) | instskip(SKIP_3) | instid1(VALU_DEP_1)
	v_add_co_ci_u32_e64 v37, s20, s41, v37, s20
	global_store_b16 v[36:37], v2, off
	s_or_b32 exec_lo, exec_lo, s21
	v_cmp_lt_u32_e64 s20, v51, v145
	s_and_saveexec_b32 s22, s20
	s_cbranch_execnz .LBB1776_1070
.LBB1776_1085:                          ;   in Loop: Header=BB1776_987 Depth=2
	s_or_b32 exec_lo, exec_lo, s22
	v_cmp_lt_u32_e64 s21, v52, v145
	s_delay_alu instid0(VALU_DEP_1)
	s_and_saveexec_b32 s23, s21
	s_cbranch_execz .LBB1776_1071
.LBB1776_1086:                          ;   in Loop: Header=BB1776_987 Depth=2
	ds_load_u16 v149, v79 offset:2560
	s_waitcnt lgkmcnt(0)
	v_cmp_ne_u16_e64 s22, 0x8000, v149
	s_delay_alu instid0(VALU_DEP_1) | instskip(SKIP_1) | instid1(VALU_DEP_2)
	v_cndmask_b32_e64 v2, 0x7fff, v149, s22
	v_cmp_gt_i16_e64 s22, 0, v149
	v_and_b32_e32 v2, 0xffff, v2
	s_delay_alu instid0(VALU_DEP_2) | instskip(NEXT) | instid1(VALU_DEP_2)
	v_cndmask_b32_e64 v153, 0x7fff, 0, s22
	v_lshrrev_b32_e32 v2, s49, v2
	s_delay_alu instid0(VALU_DEP_1) | instskip(NEXT) | instid1(VALU_DEP_1)
	v_and_b32_e32 v2, s55, v2
	v_lshlrev_b32_e32 v2, 2, v2
	ds_load_b32 v2, v2
	s_waitcnt lgkmcnt(0)
	v_add_nc_u32_e32 v2, v2, v52
	s_delay_alu instid0(VALU_DEP_1) | instskip(SKIP_1) | instid1(VALU_DEP_2)
	v_lshlrev_b64 v[36:37], 1, v[2:3]
	v_xor_b32_e32 v2, v153, v149
	v_add_co_u32 v36, s22, s40, v36
	s_delay_alu instid0(VALU_DEP_1) | instskip(SKIP_3) | instid1(VALU_DEP_1)
	v_add_co_ci_u32_e64 v37, s22, s41, v37, s22
	global_store_b16 v[36:37], v2, off
	s_or_b32 exec_lo, exec_lo, s23
	v_cmp_lt_u32_e64 s22, v53, v145
	s_and_saveexec_b32 s24, s22
	s_cbranch_execnz .LBB1776_1072
.LBB1776_1087:                          ;   in Loop: Header=BB1776_987 Depth=2
	s_or_b32 exec_lo, exec_lo, s24
	v_cmp_lt_u32_e64 s23, v54, v145
	s_delay_alu instid0(VALU_DEP_1)
	s_and_saveexec_b32 s25, s23
	s_cbranch_execz .LBB1776_1073
.LBB1776_1088:                          ;   in Loop: Header=BB1776_987 Depth=2
	ds_load_u16 v149, v79 offset:3584
	s_waitcnt lgkmcnt(0)
	v_cmp_ne_u16_e64 s24, 0x8000, v149
	s_delay_alu instid0(VALU_DEP_1) | instskip(SKIP_1) | instid1(VALU_DEP_2)
	v_cndmask_b32_e64 v2, 0x7fff, v149, s24
	v_cmp_gt_i16_e64 s24, 0, v149
	v_and_b32_e32 v2, 0xffff, v2
	s_delay_alu instid0(VALU_DEP_2) | instskip(NEXT) | instid1(VALU_DEP_2)
	v_cndmask_b32_e64 v153, 0x7fff, 0, s24
	v_lshrrev_b32_e32 v2, s49, v2
	s_delay_alu instid0(VALU_DEP_1) | instskip(NEXT) | instid1(VALU_DEP_1)
	v_and_b32_e32 v2, s55, v2
	v_lshlrev_b32_e32 v2, 2, v2
	ds_load_b32 v2, v2
	s_waitcnt lgkmcnt(0)
	v_add_nc_u32_e32 v2, v2, v54
	s_delay_alu instid0(VALU_DEP_1) | instskip(SKIP_1) | instid1(VALU_DEP_2)
	v_lshlrev_b64 v[36:37], 1, v[2:3]
	v_xor_b32_e32 v2, v153, v149
	v_add_co_u32 v36, s24, s40, v36
	s_delay_alu instid0(VALU_DEP_1) | instskip(SKIP_3) | instid1(VALU_DEP_1)
	v_add_co_ci_u32_e64 v37, s24, s41, v37, s24
	global_store_b16 v[36:37], v2, off
	s_or_b32 exec_lo, exec_lo, s25
	v_cmp_lt_u32_e64 s24, v55, v145
	s_and_saveexec_b32 s26, s24
	s_cbranch_execnz .LBB1776_1074
.LBB1776_1089:                          ;   in Loop: Header=BB1776_987 Depth=2
	s_or_b32 exec_lo, exec_lo, s26
	v_cmp_lt_u32_e64 s25, v56, v145
	s_delay_alu instid0(VALU_DEP_1)
	s_and_saveexec_b32 s27, s25
	s_cbranch_execz .LBB1776_1075
.LBB1776_1090:                          ;   in Loop: Header=BB1776_987 Depth=2
	ds_load_u16 v149, v79 offset:4608
	s_waitcnt lgkmcnt(0)
	v_cmp_ne_u16_e64 s26, 0x8000, v149
	s_delay_alu instid0(VALU_DEP_1) | instskip(SKIP_1) | instid1(VALU_DEP_2)
	v_cndmask_b32_e64 v2, 0x7fff, v149, s26
	v_cmp_gt_i16_e64 s26, 0, v149
	v_and_b32_e32 v2, 0xffff, v2
	s_delay_alu instid0(VALU_DEP_2) | instskip(NEXT) | instid1(VALU_DEP_2)
	v_cndmask_b32_e64 v153, 0x7fff, 0, s26
	v_lshrrev_b32_e32 v2, s49, v2
	s_delay_alu instid0(VALU_DEP_1) | instskip(NEXT) | instid1(VALU_DEP_1)
	v_and_b32_e32 v2, s55, v2
	v_lshlrev_b32_e32 v2, 2, v2
	ds_load_b32 v2, v2
	s_waitcnt lgkmcnt(0)
	v_add_nc_u32_e32 v2, v2, v56
	s_delay_alu instid0(VALU_DEP_1) | instskip(SKIP_1) | instid1(VALU_DEP_2)
	v_lshlrev_b64 v[36:37], 1, v[2:3]
	v_xor_b32_e32 v2, v153, v149
	v_add_co_u32 v36, s26, s40, v36
	s_delay_alu instid0(VALU_DEP_1) | instskip(SKIP_3) | instid1(VALU_DEP_1)
	v_add_co_ci_u32_e64 v37, s26, s41, v37, s26
	global_store_b16 v[36:37], v2, off
	s_or_b32 exec_lo, exec_lo, s27
	v_cmp_lt_u32_e64 s26, v57, v145
	s_and_saveexec_b32 s28, s26
	s_cbranch_execnz .LBB1776_1076
.LBB1776_1091:                          ;   in Loop: Header=BB1776_987 Depth=2
	s_or_b32 exec_lo, exec_lo, s28
	v_cmp_lt_u32_e64 s27, v58, v145
	s_delay_alu instid0(VALU_DEP_1)
	s_and_saveexec_b32 s29, s27
	s_cbranch_execz .LBB1776_1077
.LBB1776_1092:                          ;   in Loop: Header=BB1776_987 Depth=2
	ds_load_u16 v149, v79 offset:5632
	s_waitcnt lgkmcnt(0)
	v_cmp_ne_u16_e64 s28, 0x8000, v149
	s_delay_alu instid0(VALU_DEP_1) | instskip(SKIP_1) | instid1(VALU_DEP_2)
	v_cndmask_b32_e64 v2, 0x7fff, v149, s28
	v_cmp_gt_i16_e64 s28, 0, v149
	v_and_b32_e32 v2, 0xffff, v2
	s_delay_alu instid0(VALU_DEP_2) | instskip(NEXT) | instid1(VALU_DEP_2)
	v_cndmask_b32_e64 v153, 0x7fff, 0, s28
	v_lshrrev_b32_e32 v2, s49, v2
	s_delay_alu instid0(VALU_DEP_1) | instskip(NEXT) | instid1(VALU_DEP_1)
	v_and_b32_e32 v2, s55, v2
	v_lshlrev_b32_e32 v2, 2, v2
	ds_load_b32 v2, v2
	s_waitcnt lgkmcnt(0)
	v_add_nc_u32_e32 v2, v2, v58
	s_delay_alu instid0(VALU_DEP_1) | instskip(SKIP_1) | instid1(VALU_DEP_2)
	v_lshlrev_b64 v[36:37], 1, v[2:3]
	v_xor_b32_e32 v2, v153, v149
	v_add_co_u32 v36, s28, s40, v36
	s_delay_alu instid0(VALU_DEP_1) | instskip(SKIP_3) | instid1(VALU_DEP_1)
	v_add_co_ci_u32_e64 v37, s28, s41, v37, s28
	global_store_b16 v[36:37], v2, off
	s_or_b32 exec_lo, exec_lo, s29
	v_cmp_lt_u32_e64 s28, v59, v145
	s_and_saveexec_b32 s30, s28
	s_cbranch_execnz .LBB1776_1078
.LBB1776_1093:                          ;   in Loop: Header=BB1776_987 Depth=2
	s_or_b32 exec_lo, exec_lo, s30
	v_cmp_lt_u32_e64 s29, v60, v145
	s_delay_alu instid0(VALU_DEP_1)
	s_and_saveexec_b32 s31, s29
	s_cbranch_execz .LBB1776_1079
.LBB1776_1094:                          ;   in Loop: Header=BB1776_987 Depth=2
	ds_load_u16 v149, v79 offset:6656
	s_waitcnt lgkmcnt(0)
	v_cmp_ne_u16_e64 s30, 0x8000, v149
	s_delay_alu instid0(VALU_DEP_1) | instskip(SKIP_1) | instid1(VALU_DEP_2)
	v_cndmask_b32_e64 v2, 0x7fff, v149, s30
	v_cmp_gt_i16_e64 s30, 0, v149
	v_and_b32_e32 v2, 0xffff, v2
	s_delay_alu instid0(VALU_DEP_2) | instskip(NEXT) | instid1(VALU_DEP_2)
	v_cndmask_b32_e64 v153, 0x7fff, 0, s30
	v_lshrrev_b32_e32 v2, s49, v2
	s_delay_alu instid0(VALU_DEP_1) | instskip(NEXT) | instid1(VALU_DEP_1)
	v_and_b32_e32 v2, s55, v2
	v_lshlrev_b32_e32 v2, 2, v2
	ds_load_b32 v2, v2
	s_waitcnt lgkmcnt(0)
	v_add_nc_u32_e32 v2, v2, v60
	s_delay_alu instid0(VALU_DEP_1) | instskip(SKIP_1) | instid1(VALU_DEP_2)
	v_lshlrev_b64 v[36:37], 1, v[2:3]
	v_xor_b32_e32 v2, v153, v149
	v_add_co_u32 v36, s30, s40, v36
	s_delay_alu instid0(VALU_DEP_1) | instskip(SKIP_3) | instid1(VALU_DEP_1)
	v_add_co_ci_u32_e64 v37, s30, s41, v37, s30
	global_store_b16 v[36:37], v2, off
	s_or_b32 exec_lo, exec_lo, s31
	v_cmp_lt_u32_e64 s30, v61, v145
	s_and_saveexec_b32 s33, s30
	s_cbranch_execnz .LBB1776_1080
.LBB1776_1095:                          ;   in Loop: Header=BB1776_987 Depth=2
	s_or_b32 exec_lo, exec_lo, s33
	v_cmp_lt_u32_e64 s31, v63, v145
	s_delay_alu instid0(VALU_DEP_1)
	s_and_saveexec_b32 s58, s31
	s_cbranch_execz .LBB1776_1097
.LBB1776_1096:                          ;   in Loop: Header=BB1776_987 Depth=2
	ds_load_u16 v149, v79 offset:7680
	s_waitcnt lgkmcnt(0)
	v_cmp_ne_u16_e64 s33, 0x8000, v149
	s_delay_alu instid0(VALU_DEP_1) | instskip(SKIP_1) | instid1(VALU_DEP_2)
	v_cndmask_b32_e64 v2, 0x7fff, v149, s33
	v_cmp_gt_i16_e64 s33, 0, v149
	v_and_b32_e32 v2, 0xffff, v2
	s_delay_alu instid0(VALU_DEP_2) | instskip(NEXT) | instid1(VALU_DEP_2)
	v_cndmask_b32_e64 v153, 0x7fff, 0, s33
	v_lshrrev_b32_e32 v2, s49, v2
	s_delay_alu instid0(VALU_DEP_1) | instskip(NEXT) | instid1(VALU_DEP_1)
	v_and_b32_e32 v2, s55, v2
	v_lshlrev_b32_e32 v2, 2, v2
	ds_load_b32 v2, v2
	s_waitcnt lgkmcnt(0)
	v_add_nc_u32_e32 v2, v2, v63
	s_delay_alu instid0(VALU_DEP_1) | instskip(SKIP_1) | instid1(VALU_DEP_2)
	v_lshlrev_b64 v[36:37], 1, v[2:3]
	v_xor_b32_e32 v2, v153, v149
	v_add_co_u32 v36, s33, s40, v36
	s_delay_alu instid0(VALU_DEP_1)
	v_add_co_ci_u32_e64 v37, s33, s41, v37, s33
	global_store_b16 v[36:37], v2, off
.LBB1776_1097:                          ;   in Loop: Header=BB1776_987 Depth=2
	s_or_b32 exec_lo, exec_lo, s58
	s_lshl_b64 s[58:59], s[34:35], 3
	s_delay_alu instid0(SALU_CYCLE_1) | instskip(NEXT) | instid1(VALU_DEP_1)
	v_add_co_u32 v36, s33, v107, s58
	v_add_co_ci_u32_e64 v37, s33, s59, v108, s33
	v_cmp_lt_u32_e64 s33, v106, v145
	s_delay_alu instid0(VALU_DEP_1) | instskip(NEXT) | instid1(SALU_CYCLE_1)
	s_and_saveexec_b32 s34, s33
	s_xor_b32 s33, exec_lo, s34
	s_cbranch_execz .LBB1776_1129
; %bb.1098:                             ;   in Loop: Header=BB1776_987 Depth=2
	global_load_b64 v[34:35], v[36:37], off
	s_or_b32 exec_lo, exec_lo, s33
	s_delay_alu instid0(SALU_CYCLE_1)
	s_mov_b32 s34, exec_lo
	v_cmpx_lt_u32_e64 v109, v145
	s_cbranch_execnz .LBB1776_1130
.LBB1776_1099:                          ;   in Loop: Header=BB1776_987 Depth=2
	s_or_b32 exec_lo, exec_lo, s34
	s_delay_alu instid0(SALU_CYCLE_1)
	s_mov_b32 s34, exec_lo
	v_cmpx_lt_u32_e64 v110, v145
	s_cbranch_execz .LBB1776_1131
.LBB1776_1100:                          ;   in Loop: Header=BB1776_987 Depth=2
	global_load_b64 v[30:31], v[36:37], off offset:512
	s_or_b32 exec_lo, exec_lo, s34
	s_delay_alu instid0(SALU_CYCLE_1)
	s_mov_b32 s34, exec_lo
	v_cmpx_lt_u32_e64 v111, v145
	s_cbranch_execnz .LBB1776_1132
.LBB1776_1101:                          ;   in Loop: Header=BB1776_987 Depth=2
	s_or_b32 exec_lo, exec_lo, s34
	s_delay_alu instid0(SALU_CYCLE_1)
	s_mov_b32 s34, exec_lo
	v_cmpx_lt_u32_e64 v112, v145
	s_cbranch_execz .LBB1776_1133
.LBB1776_1102:                          ;   in Loop: Header=BB1776_987 Depth=2
	global_load_b64 v[26:27], v[36:37], off offset:1024
	s_or_b32 exec_lo, exec_lo, s34
	s_delay_alu instid0(SALU_CYCLE_1)
	s_mov_b32 s34, exec_lo
	v_cmpx_lt_u32_e64 v113, v145
	s_cbranch_execnz .LBB1776_1134
.LBB1776_1103:                          ;   in Loop: Header=BB1776_987 Depth=2
	s_or_b32 exec_lo, exec_lo, s34
	s_delay_alu instid0(SALU_CYCLE_1)
	s_mov_b32 s34, exec_lo
	v_cmpx_lt_u32_e64 v114, v145
	s_cbranch_execz .LBB1776_1135
.LBB1776_1104:                          ;   in Loop: Header=BB1776_987 Depth=2
	global_load_b64 v[22:23], v[36:37], off offset:1536
	s_or_b32 exec_lo, exec_lo, s34
	s_delay_alu instid0(SALU_CYCLE_1)
	s_mov_b32 s34, exec_lo
	v_cmpx_lt_u32_e64 v115, v145
	s_cbranch_execnz .LBB1776_1136
.LBB1776_1105:                          ;   in Loop: Header=BB1776_987 Depth=2
	s_or_b32 exec_lo, exec_lo, s34
	s_delay_alu instid0(SALU_CYCLE_1)
	s_mov_b32 s34, exec_lo
	v_cmpx_lt_u32_e64 v116, v145
	s_cbranch_execz .LBB1776_1137
.LBB1776_1106:                          ;   in Loop: Header=BB1776_987 Depth=2
	global_load_b64 v[18:19], v[36:37], off offset:2048
	s_or_b32 exec_lo, exec_lo, s34
	s_delay_alu instid0(SALU_CYCLE_1)
	s_mov_b32 s34, exec_lo
	v_cmpx_lt_u32_e64 v117, v145
	s_cbranch_execnz .LBB1776_1138
.LBB1776_1107:                          ;   in Loop: Header=BB1776_987 Depth=2
	s_or_b32 exec_lo, exec_lo, s34
	s_delay_alu instid0(SALU_CYCLE_1)
	s_mov_b32 s34, exec_lo
	v_cmpx_lt_u32_e64 v118, v145
	s_cbranch_execz .LBB1776_1139
.LBB1776_1108:                          ;   in Loop: Header=BB1776_987 Depth=2
	global_load_b64 v[14:15], v[36:37], off offset:2560
	s_or_b32 exec_lo, exec_lo, s34
	s_delay_alu instid0(SALU_CYCLE_1)
	s_mov_b32 s34, exec_lo
	v_cmpx_lt_u32_e64 v119, v145
	s_cbranch_execnz .LBB1776_1140
.LBB1776_1109:                          ;   in Loop: Header=BB1776_987 Depth=2
	s_or_b32 exec_lo, exec_lo, s34
	s_delay_alu instid0(SALU_CYCLE_1)
	s_mov_b32 s34, exec_lo
	v_cmpx_lt_u32_e64 v120, v145
	s_cbranch_execz .LBB1776_1141
.LBB1776_1110:                          ;   in Loop: Header=BB1776_987 Depth=2
	global_load_b64 v[10:11], v[36:37], off offset:3072
	s_or_b32 exec_lo, exec_lo, s34
	s_delay_alu instid0(SALU_CYCLE_1)
	s_mov_b32 s34, exec_lo
	v_cmpx_lt_u32_e64 v121, v145
	s_cbranch_execnz .LBB1776_1142
.LBB1776_1111:                          ;   in Loop: Header=BB1776_987 Depth=2
	s_or_b32 exec_lo, exec_lo, s34
	s_delay_alu instid0(SALU_CYCLE_1)
	s_mov_b32 s34, exec_lo
	v_cmpx_lt_u32_e64 v122, v145
	s_cbranch_execz .LBB1776_1143
.LBB1776_1112:                          ;   in Loop: Header=BB1776_987 Depth=2
	global_load_b64 v[6:7], v[36:37], off offset:3584
	s_or_b32 exec_lo, exec_lo, s34
	s_delay_alu instid0(SALU_CYCLE_1)
	s_mov_b32 s34, exec_lo
	v_cmpx_lt_u32_e64 v123, v145
	s_cbranch_execnz .LBB1776_1144
.LBB1776_1113:                          ;   in Loop: Header=BB1776_987 Depth=2
	s_or_b32 exec_lo, exec_lo, s34
	s_and_saveexec_b32 s34, vcc_lo
	s_cbranch_execz .LBB1776_1145
.LBB1776_1114:                          ;   in Loop: Header=BB1776_987 Depth=2
	ds_load_u16 v2, v147 offset:1024
	s_waitcnt lgkmcnt(0)
	v_cmp_ne_u16_e64 s33, 0x8000, v2
	s_delay_alu instid0(VALU_DEP_1) | instskip(NEXT) | instid1(VALU_DEP_1)
	v_cndmask_b32_e64 v2, 0x7fff, v2, s33
	v_and_b32_e32 v2, 0xffff, v2
	s_delay_alu instid0(VALU_DEP_1) | instskip(NEXT) | instid1(VALU_DEP_1)
	v_lshrrev_b32_e32 v2, s49, v2
	v_and_b32_e32 v144, s55, v2
	s_or_b32 exec_lo, exec_lo, s34
	s_and_saveexec_b32 s34, s17
	s_cbranch_execnz .LBB1776_1146
.LBB1776_1115:                          ;   in Loop: Header=BB1776_987 Depth=2
	s_or_b32 exec_lo, exec_lo, s34
	s_and_saveexec_b32 s34, s18
	s_cbranch_execz .LBB1776_1147
.LBB1776_1116:                          ;   in Loop: Header=BB1776_987 Depth=2
	ds_load_u16 v2, v79 offset:1024
	s_waitcnt lgkmcnt(0)
	v_cmp_ne_u16_e64 s33, 0x8000, v2
	s_delay_alu instid0(VALU_DEP_1) | instskip(NEXT) | instid1(VALU_DEP_1)
	v_cndmask_b32_e64 v2, 0x7fff, v2, s33
	v_and_b32_e32 v2, 0xffff, v2
	s_delay_alu instid0(VALU_DEP_1) | instskip(NEXT) | instid1(VALU_DEP_1)
	v_lshrrev_b32_e32 v2, s49, v2
	v_and_b32_e32 v142, s55, v2
	s_or_b32 exec_lo, exec_lo, s34
	s_and_saveexec_b32 s34, s19
	s_cbranch_execnz .LBB1776_1148
.LBB1776_1117:                          ;   in Loop: Header=BB1776_987 Depth=2
	s_or_b32 exec_lo, exec_lo, s34
	s_and_saveexec_b32 s34, s20
	s_cbranch_execz .LBB1776_1149
.LBB1776_1118:                          ;   in Loop: Header=BB1776_987 Depth=2
	ds_load_u16 v2, v79 offset:2048
	s_waitcnt lgkmcnt(0)
	v_cmp_ne_u16_e64 s33, 0x8000, v2
	s_delay_alu instid0(VALU_DEP_1) | instskip(NEXT) | instid1(VALU_DEP_1)
	v_cndmask_b32_e64 v2, 0x7fff, v2, s33
	v_and_b32_e32 v2, 0xffff, v2
	s_delay_alu instid0(VALU_DEP_1) | instskip(NEXT) | instid1(VALU_DEP_1)
	v_lshrrev_b32_e32 v2, s49, v2
	v_and_b32_e32 v140, s55, v2
	s_or_b32 exec_lo, exec_lo, s34
	s_and_saveexec_b32 s34, s21
	s_cbranch_execnz .LBB1776_1150
.LBB1776_1119:                          ;   in Loop: Header=BB1776_987 Depth=2
	s_or_b32 exec_lo, exec_lo, s34
	s_and_saveexec_b32 s34, s22
	s_cbranch_execz .LBB1776_1151
.LBB1776_1120:                          ;   in Loop: Header=BB1776_987 Depth=2
	ds_load_u16 v2, v79 offset:3072
	s_waitcnt lgkmcnt(0)
	v_cmp_ne_u16_e64 s33, 0x8000, v2
	s_delay_alu instid0(VALU_DEP_1) | instskip(NEXT) | instid1(VALU_DEP_1)
	v_cndmask_b32_e64 v2, 0x7fff, v2, s33
	v_and_b32_e32 v2, 0xffff, v2
	s_delay_alu instid0(VALU_DEP_1) | instskip(NEXT) | instid1(VALU_DEP_1)
	v_lshrrev_b32_e32 v2, s49, v2
	v_and_b32_e32 v138, s55, v2
	s_or_b32 exec_lo, exec_lo, s34
	s_and_saveexec_b32 s34, s23
	s_cbranch_execnz .LBB1776_1152
.LBB1776_1121:                          ;   in Loop: Header=BB1776_987 Depth=2
	s_or_b32 exec_lo, exec_lo, s34
	s_and_saveexec_b32 s34, s24
	s_cbranch_execz .LBB1776_1153
.LBB1776_1122:                          ;   in Loop: Header=BB1776_987 Depth=2
	ds_load_u16 v2, v79 offset:4096
	s_waitcnt lgkmcnt(0)
	v_cmp_ne_u16_e64 s33, 0x8000, v2
	s_delay_alu instid0(VALU_DEP_1) | instskip(NEXT) | instid1(VALU_DEP_1)
	v_cndmask_b32_e64 v2, 0x7fff, v2, s33
	v_and_b32_e32 v2, 0xffff, v2
	s_delay_alu instid0(VALU_DEP_1) | instskip(NEXT) | instid1(VALU_DEP_1)
	v_lshrrev_b32_e32 v2, s49, v2
	v_and_b32_e32 v136, s55, v2
	s_or_b32 exec_lo, exec_lo, s34
	s_and_saveexec_b32 s34, s25
	s_cbranch_execnz .LBB1776_1154
.LBB1776_1123:                          ;   in Loop: Header=BB1776_987 Depth=2
	s_or_b32 exec_lo, exec_lo, s34
	s_and_saveexec_b32 s34, s26
	s_cbranch_execz .LBB1776_1155
.LBB1776_1124:                          ;   in Loop: Header=BB1776_987 Depth=2
	ds_load_u16 v2, v79 offset:5120
	s_waitcnt lgkmcnt(0)
	v_cmp_ne_u16_e64 s33, 0x8000, v2
	s_delay_alu instid0(VALU_DEP_1) | instskip(NEXT) | instid1(VALU_DEP_1)
	v_cndmask_b32_e64 v2, 0x7fff, v2, s33
	v_and_b32_e32 v2, 0xffff, v2
	s_delay_alu instid0(VALU_DEP_1) | instskip(NEXT) | instid1(VALU_DEP_1)
	v_lshrrev_b32_e32 v2, s49, v2
	v_and_b32_e32 v134, s55, v2
	s_or_b32 exec_lo, exec_lo, s34
	s_and_saveexec_b32 s34, s27
	s_cbranch_execnz .LBB1776_1156
.LBB1776_1125:                          ;   in Loop: Header=BB1776_987 Depth=2
	s_or_b32 exec_lo, exec_lo, s34
	s_and_saveexec_b32 s34, s28
	s_cbranch_execz .LBB1776_1157
.LBB1776_1126:                          ;   in Loop: Header=BB1776_987 Depth=2
	ds_load_u16 v2, v79 offset:6144
	s_waitcnt lgkmcnt(0)
	v_cmp_ne_u16_e64 s33, 0x8000, v2
	s_delay_alu instid0(VALU_DEP_1) | instskip(NEXT) | instid1(VALU_DEP_1)
	v_cndmask_b32_e64 v2, 0x7fff, v2, s33
	v_and_b32_e32 v2, 0xffff, v2
	s_delay_alu instid0(VALU_DEP_1) | instskip(NEXT) | instid1(VALU_DEP_1)
	v_lshrrev_b32_e32 v2, s49, v2
	v_and_b32_e32 v132, s55, v2
	s_or_b32 exec_lo, exec_lo, s34
	s_and_saveexec_b32 s34, s29
	s_cbranch_execnz .LBB1776_1158
.LBB1776_1127:                          ;   in Loop: Header=BB1776_987 Depth=2
	s_or_b32 exec_lo, exec_lo, s34
	s_and_saveexec_b32 s34, s30
	s_cbranch_execz .LBB1776_1159
.LBB1776_1128:                          ;   in Loop: Header=BB1776_987 Depth=2
	ds_load_u16 v2, v79 offset:7168
	s_waitcnt lgkmcnt(0)
	v_cmp_ne_u16_e64 s33, 0x8000, v2
	s_delay_alu instid0(VALU_DEP_1) | instskip(NEXT) | instid1(VALU_DEP_1)
	v_cndmask_b32_e64 v2, 0x7fff, v2, s33
	v_and_b32_e32 v2, 0xffff, v2
	s_delay_alu instid0(VALU_DEP_1) | instskip(NEXT) | instid1(VALU_DEP_1)
	v_lshrrev_b32_e32 v2, s49, v2
	v_and_b32_e32 v130, s55, v2
	s_or_b32 exec_lo, exec_lo, s34
	s_and_saveexec_b32 s34, s31
	s_cbranch_execnz .LBB1776_1160
	s_branch .LBB1776_1161
.LBB1776_1129:                          ;   in Loop: Header=BB1776_987 Depth=2
	s_or_b32 exec_lo, exec_lo, s33
	s_delay_alu instid0(SALU_CYCLE_1)
	s_mov_b32 s34, exec_lo
	v_cmpx_lt_u32_e64 v109, v145
	s_cbranch_execz .LBB1776_1099
.LBB1776_1130:                          ;   in Loop: Header=BB1776_987 Depth=2
	global_load_b64 v[32:33], v[36:37], off offset:256
	s_or_b32 exec_lo, exec_lo, s34
	s_delay_alu instid0(SALU_CYCLE_1)
	s_mov_b32 s34, exec_lo
	v_cmpx_lt_u32_e64 v110, v145
	s_cbranch_execnz .LBB1776_1100
.LBB1776_1131:                          ;   in Loop: Header=BB1776_987 Depth=2
	s_or_b32 exec_lo, exec_lo, s34
	s_delay_alu instid0(SALU_CYCLE_1)
	s_mov_b32 s34, exec_lo
	v_cmpx_lt_u32_e64 v111, v145
	s_cbranch_execz .LBB1776_1101
.LBB1776_1132:                          ;   in Loop: Header=BB1776_987 Depth=2
	global_load_b64 v[28:29], v[36:37], off offset:768
	s_or_b32 exec_lo, exec_lo, s34
	s_delay_alu instid0(SALU_CYCLE_1)
	s_mov_b32 s34, exec_lo
	v_cmpx_lt_u32_e64 v112, v145
	s_cbranch_execnz .LBB1776_1102
.LBB1776_1133:                          ;   in Loop: Header=BB1776_987 Depth=2
	s_or_b32 exec_lo, exec_lo, s34
	s_delay_alu instid0(SALU_CYCLE_1)
	s_mov_b32 s34, exec_lo
	v_cmpx_lt_u32_e64 v113, v145
	s_cbranch_execz .LBB1776_1103
.LBB1776_1134:                          ;   in Loop: Header=BB1776_987 Depth=2
	global_load_b64 v[24:25], v[36:37], off offset:1280
	s_or_b32 exec_lo, exec_lo, s34
	s_delay_alu instid0(SALU_CYCLE_1)
	s_mov_b32 s34, exec_lo
	v_cmpx_lt_u32_e64 v114, v145
	s_cbranch_execnz .LBB1776_1104
.LBB1776_1135:                          ;   in Loop: Header=BB1776_987 Depth=2
	s_or_b32 exec_lo, exec_lo, s34
	s_delay_alu instid0(SALU_CYCLE_1)
	s_mov_b32 s34, exec_lo
	v_cmpx_lt_u32_e64 v115, v145
	s_cbranch_execz .LBB1776_1105
.LBB1776_1136:                          ;   in Loop: Header=BB1776_987 Depth=2
	global_load_b64 v[20:21], v[36:37], off offset:1792
	s_or_b32 exec_lo, exec_lo, s34
	s_delay_alu instid0(SALU_CYCLE_1)
	s_mov_b32 s34, exec_lo
	v_cmpx_lt_u32_e64 v116, v145
	s_cbranch_execnz .LBB1776_1106
.LBB1776_1137:                          ;   in Loop: Header=BB1776_987 Depth=2
	s_or_b32 exec_lo, exec_lo, s34
	s_delay_alu instid0(SALU_CYCLE_1)
	s_mov_b32 s34, exec_lo
	v_cmpx_lt_u32_e64 v117, v145
	s_cbranch_execz .LBB1776_1107
.LBB1776_1138:                          ;   in Loop: Header=BB1776_987 Depth=2
	global_load_b64 v[16:17], v[36:37], off offset:2304
	s_or_b32 exec_lo, exec_lo, s34
	s_delay_alu instid0(SALU_CYCLE_1)
	s_mov_b32 s34, exec_lo
	v_cmpx_lt_u32_e64 v118, v145
	s_cbranch_execnz .LBB1776_1108
.LBB1776_1139:                          ;   in Loop: Header=BB1776_987 Depth=2
	s_or_b32 exec_lo, exec_lo, s34
	s_delay_alu instid0(SALU_CYCLE_1)
	s_mov_b32 s34, exec_lo
	v_cmpx_lt_u32_e64 v119, v145
	s_cbranch_execz .LBB1776_1109
.LBB1776_1140:                          ;   in Loop: Header=BB1776_987 Depth=2
	global_load_b64 v[12:13], v[36:37], off offset:2816
	s_or_b32 exec_lo, exec_lo, s34
	s_delay_alu instid0(SALU_CYCLE_1)
	s_mov_b32 s34, exec_lo
	v_cmpx_lt_u32_e64 v120, v145
	s_cbranch_execnz .LBB1776_1110
.LBB1776_1141:                          ;   in Loop: Header=BB1776_987 Depth=2
	s_or_b32 exec_lo, exec_lo, s34
	s_delay_alu instid0(SALU_CYCLE_1)
	s_mov_b32 s34, exec_lo
	v_cmpx_lt_u32_e64 v121, v145
	s_cbranch_execz .LBB1776_1111
.LBB1776_1142:                          ;   in Loop: Header=BB1776_987 Depth=2
	global_load_b64 v[8:9], v[36:37], off offset:3328
	s_or_b32 exec_lo, exec_lo, s34
	s_delay_alu instid0(SALU_CYCLE_1)
	s_mov_b32 s34, exec_lo
	v_cmpx_lt_u32_e64 v122, v145
	s_cbranch_execnz .LBB1776_1112
.LBB1776_1143:                          ;   in Loop: Header=BB1776_987 Depth=2
	s_or_b32 exec_lo, exec_lo, s34
	s_delay_alu instid0(SALU_CYCLE_1)
	s_mov_b32 s34, exec_lo
	v_cmpx_lt_u32_e64 v123, v145
	s_cbranch_execz .LBB1776_1113
.LBB1776_1144:                          ;   in Loop: Header=BB1776_987 Depth=2
	global_load_b64 v[4:5], v[36:37], off offset:3840
	s_or_b32 exec_lo, exec_lo, s34
	s_and_saveexec_b32 s34, vcc_lo
	s_cbranch_execnz .LBB1776_1114
.LBB1776_1145:                          ;   in Loop: Header=BB1776_987 Depth=2
	s_or_b32 exec_lo, exec_lo, s34
	s_and_saveexec_b32 s34, s17
	s_cbranch_execz .LBB1776_1115
.LBB1776_1146:                          ;   in Loop: Header=BB1776_987 Depth=2
	ds_load_u16 v2, v79 offset:512
	s_waitcnt lgkmcnt(0)
	v_cmp_ne_u16_e64 s33, 0x8000, v2
	s_delay_alu instid0(VALU_DEP_1) | instskip(NEXT) | instid1(VALU_DEP_1)
	v_cndmask_b32_e64 v2, 0x7fff, v2, s33
	v_and_b32_e32 v2, 0xffff, v2
	s_delay_alu instid0(VALU_DEP_1) | instskip(NEXT) | instid1(VALU_DEP_1)
	v_lshrrev_b32_e32 v2, s49, v2
	v_and_b32_e32 v143, s55, v2
	s_or_b32 exec_lo, exec_lo, s34
	s_and_saveexec_b32 s34, s18
	s_cbranch_execnz .LBB1776_1116
.LBB1776_1147:                          ;   in Loop: Header=BB1776_987 Depth=2
	s_or_b32 exec_lo, exec_lo, s34
	s_and_saveexec_b32 s34, s19
	s_cbranch_execz .LBB1776_1117
.LBB1776_1148:                          ;   in Loop: Header=BB1776_987 Depth=2
	ds_load_u16 v2, v79 offset:1536
	s_waitcnt lgkmcnt(0)
	v_cmp_ne_u16_e64 s33, 0x8000, v2
	s_delay_alu instid0(VALU_DEP_1) | instskip(NEXT) | instid1(VALU_DEP_1)
	v_cndmask_b32_e64 v2, 0x7fff, v2, s33
	v_and_b32_e32 v2, 0xffff, v2
	s_delay_alu instid0(VALU_DEP_1) | instskip(NEXT) | instid1(VALU_DEP_1)
	v_lshrrev_b32_e32 v2, s49, v2
	v_and_b32_e32 v141, s55, v2
	s_or_b32 exec_lo, exec_lo, s34
	s_and_saveexec_b32 s34, s20
	s_cbranch_execnz .LBB1776_1118
.LBB1776_1149:                          ;   in Loop: Header=BB1776_987 Depth=2
	s_or_b32 exec_lo, exec_lo, s34
	s_and_saveexec_b32 s34, s21
	s_cbranch_execz .LBB1776_1119
.LBB1776_1150:                          ;   in Loop: Header=BB1776_987 Depth=2
	ds_load_u16 v2, v79 offset:2560
	s_waitcnt lgkmcnt(0)
	v_cmp_ne_u16_e64 s33, 0x8000, v2
	s_delay_alu instid0(VALU_DEP_1) | instskip(NEXT) | instid1(VALU_DEP_1)
	v_cndmask_b32_e64 v2, 0x7fff, v2, s33
	v_and_b32_e32 v2, 0xffff, v2
	s_delay_alu instid0(VALU_DEP_1) | instskip(NEXT) | instid1(VALU_DEP_1)
	v_lshrrev_b32_e32 v2, s49, v2
	v_and_b32_e32 v139, s55, v2
	s_or_b32 exec_lo, exec_lo, s34
	s_and_saveexec_b32 s34, s22
	s_cbranch_execnz .LBB1776_1120
.LBB1776_1151:                          ;   in Loop: Header=BB1776_987 Depth=2
	s_or_b32 exec_lo, exec_lo, s34
	s_and_saveexec_b32 s34, s23
	s_cbranch_execz .LBB1776_1121
.LBB1776_1152:                          ;   in Loop: Header=BB1776_987 Depth=2
	ds_load_u16 v2, v79 offset:3584
	s_waitcnt lgkmcnt(0)
	v_cmp_ne_u16_e64 s33, 0x8000, v2
	s_delay_alu instid0(VALU_DEP_1) | instskip(NEXT) | instid1(VALU_DEP_1)
	v_cndmask_b32_e64 v2, 0x7fff, v2, s33
	v_and_b32_e32 v2, 0xffff, v2
	s_delay_alu instid0(VALU_DEP_1) | instskip(NEXT) | instid1(VALU_DEP_1)
	v_lshrrev_b32_e32 v2, s49, v2
	v_and_b32_e32 v137, s55, v2
	s_or_b32 exec_lo, exec_lo, s34
	s_and_saveexec_b32 s34, s24
	s_cbranch_execnz .LBB1776_1122
.LBB1776_1153:                          ;   in Loop: Header=BB1776_987 Depth=2
	s_or_b32 exec_lo, exec_lo, s34
	s_and_saveexec_b32 s34, s25
	s_cbranch_execz .LBB1776_1123
.LBB1776_1154:                          ;   in Loop: Header=BB1776_987 Depth=2
	ds_load_u16 v2, v79 offset:4608
	s_waitcnt lgkmcnt(0)
	v_cmp_ne_u16_e64 s33, 0x8000, v2
	s_delay_alu instid0(VALU_DEP_1) | instskip(NEXT) | instid1(VALU_DEP_1)
	v_cndmask_b32_e64 v2, 0x7fff, v2, s33
	v_and_b32_e32 v2, 0xffff, v2
	s_delay_alu instid0(VALU_DEP_1) | instskip(NEXT) | instid1(VALU_DEP_1)
	v_lshrrev_b32_e32 v2, s49, v2
	v_and_b32_e32 v135, s55, v2
	s_or_b32 exec_lo, exec_lo, s34
	s_and_saveexec_b32 s34, s26
	s_cbranch_execnz .LBB1776_1124
.LBB1776_1155:                          ;   in Loop: Header=BB1776_987 Depth=2
	s_or_b32 exec_lo, exec_lo, s34
	s_and_saveexec_b32 s34, s27
	s_cbranch_execz .LBB1776_1125
.LBB1776_1156:                          ;   in Loop: Header=BB1776_987 Depth=2
	ds_load_u16 v2, v79 offset:5632
	s_waitcnt lgkmcnt(0)
	v_cmp_ne_u16_e64 s33, 0x8000, v2
	s_delay_alu instid0(VALU_DEP_1) | instskip(NEXT) | instid1(VALU_DEP_1)
	v_cndmask_b32_e64 v2, 0x7fff, v2, s33
	v_and_b32_e32 v2, 0xffff, v2
	s_delay_alu instid0(VALU_DEP_1) | instskip(NEXT) | instid1(VALU_DEP_1)
	v_lshrrev_b32_e32 v2, s49, v2
	v_and_b32_e32 v133, s55, v2
	s_or_b32 exec_lo, exec_lo, s34
	s_and_saveexec_b32 s34, s28
	s_cbranch_execnz .LBB1776_1126
.LBB1776_1157:                          ;   in Loop: Header=BB1776_987 Depth=2
	s_or_b32 exec_lo, exec_lo, s34
	s_and_saveexec_b32 s34, s29
	s_cbranch_execz .LBB1776_1127
.LBB1776_1158:                          ;   in Loop: Header=BB1776_987 Depth=2
	ds_load_u16 v2, v79 offset:6656
	s_waitcnt lgkmcnt(0)
	v_cmp_ne_u16_e64 s33, 0x8000, v2
	s_delay_alu instid0(VALU_DEP_1) | instskip(NEXT) | instid1(VALU_DEP_1)
	v_cndmask_b32_e64 v2, 0x7fff, v2, s33
	v_and_b32_e32 v2, 0xffff, v2
	s_delay_alu instid0(VALU_DEP_1) | instskip(NEXT) | instid1(VALU_DEP_1)
	v_lshrrev_b32_e32 v2, s49, v2
	v_and_b32_e32 v131, s55, v2
	s_or_b32 exec_lo, exec_lo, s34
	s_and_saveexec_b32 s34, s30
	s_cbranch_execnz .LBB1776_1128
.LBB1776_1159:                          ;   in Loop: Header=BB1776_987 Depth=2
	s_or_b32 exec_lo, exec_lo, s34
	s_and_saveexec_b32 s34, s31
	s_cbranch_execz .LBB1776_1161
.LBB1776_1160:                          ;   in Loop: Header=BB1776_987 Depth=2
	ds_load_u16 v2, v79 offset:7680
	s_waitcnt lgkmcnt(0)
	v_cmp_ne_u16_e64 s33, 0x8000, v2
	s_delay_alu instid0(VALU_DEP_1) | instskip(NEXT) | instid1(VALU_DEP_1)
	v_cndmask_b32_e64 v2, 0x7fff, v2, s33
	v_and_b32_e32 v2, 0xffff, v2
	s_delay_alu instid0(VALU_DEP_1) | instskip(NEXT) | instid1(VALU_DEP_1)
	v_lshrrev_b32_e32 v2, s49, v2
	v_and_b32_e32 v129, s55, v2
.LBB1776_1161:                          ;   in Loop: Header=BB1776_987 Depth=2
	s_or_b32 exec_lo, exec_lo, s34
	v_lshlrev_b32_e32 v2, 3, v168
	v_lshlrev_b32_e32 v36, 3, v164
	s_waitcnt vmcnt(0)
	s_waitcnt_vscnt null, 0x0
	s_barrier
	buffer_gl0_inv
	ds_store_b64 v2, v[34:35] offset:1024
	v_lshlrev_b32_e32 v2, 3, v160
	v_lshlrev_b32_e32 v37, 3, v156
	;; [unrolled: 1-line block ×4, first 2 shown]
	ds_store_b64 v36, v[32:33] offset:1024
	ds_store_b64 v2, v[30:31] offset:1024
	;; [unrolled: 1-line block ×5, first 2 shown]
	v_lshlrev_b32_e32 v2, 3, v152
	v_lshlrev_b32_e32 v36, 3, v151
	;; [unrolled: 1-line block ×5, first 2 shown]
	ds_store_b64 v2, v[22:23] offset:1024
	ds_store_b64 v36, v[20:21] offset:1024
	;; [unrolled: 1-line block ×5, first 2 shown]
	v_lshlrev_b32_e32 v2, 3, v42
	v_lshlrev_b32_e32 v36, 3, v40
	;; [unrolled: 1-line block ×5, first 2 shown]
	ds_store_b64 v2, v[12:13] offset:1024
	ds_store_b64 v36, v[10:11] offset:1024
	;; [unrolled: 1-line block ×5, first 2 shown]
	s_waitcnt lgkmcnt(0)
	s_barrier
	buffer_gl0_inv
	s_and_saveexec_b32 s33, vcc_lo
	s_cbranch_execz .LBB1776_1177
; %bb.1162:                             ;   in Loop: Header=BB1776_987 Depth=2
	v_lshlrev_b32_e32 v2, 2, v144
	ds_load_b32 v2, v2
	ds_load_b64 v[36:37], v80 offset:1024
	s_waitcnt lgkmcnt(1)
	v_add_nc_u32_e32 v2, v2, v1
	s_delay_alu instid0(VALU_DEP_1) | instskip(NEXT) | instid1(VALU_DEP_1)
	v_lshlrev_b64 v[39:40], 3, v[2:3]
	v_add_co_u32 v39, vcc_lo, s46, v39
	s_delay_alu instid0(VALU_DEP_2)
	v_add_co_ci_u32_e32 v40, vcc_lo, s47, v40, vcc_lo
	s_waitcnt lgkmcnt(0)
	global_store_b64 v[39:40], v[36:37], off
	s_or_b32 exec_lo, exec_lo, s33
	v_add_nc_u32_e32 v36, v79, v81
	s_and_saveexec_b32 s33, s17
	s_cbranch_execnz .LBB1776_1178
.LBB1776_1163:                          ;   in Loop: Header=BB1776_987 Depth=2
	s_or_b32 exec_lo, exec_lo, s33
	s_and_saveexec_b32 s17, s18
	s_cbranch_execz .LBB1776_1179
.LBB1776_1164:                          ;   in Loop: Header=BB1776_987 Depth=2
	v_lshlrev_b32_e32 v2, 2, v142
	ds_load_b32 v2, v2
	ds_load_b64 v[39:40], v36 offset:4096
	s_waitcnt lgkmcnt(1)
	v_add_nc_u32_e32 v2, v2, v46
	s_delay_alu instid0(VALU_DEP_1) | instskip(NEXT) | instid1(VALU_DEP_1)
	v_lshlrev_b64 v[41:42], 3, v[2:3]
	v_add_co_u32 v41, vcc_lo, s46, v41
	s_delay_alu instid0(VALU_DEP_2)
	v_add_co_ci_u32_e32 v42, vcc_lo, s47, v42, vcc_lo
	s_waitcnt lgkmcnt(0)
	global_store_b64 v[41:42], v[39:40], off
	s_or_b32 exec_lo, exec_lo, s17
	s_and_saveexec_b32 s17, s19
	s_cbranch_execnz .LBB1776_1180
.LBB1776_1165:                          ;   in Loop: Header=BB1776_987 Depth=2
	s_or_b32 exec_lo, exec_lo, s17
	s_and_saveexec_b32 s17, s20
	s_cbranch_execz .LBB1776_1181
.LBB1776_1166:                          ;   in Loop: Header=BB1776_987 Depth=2
	v_lshlrev_b32_e32 v2, 2, v140
	ds_load_b32 v2, v2
	ds_load_b64 v[39:40], v36 offset:8192
	s_waitcnt lgkmcnt(1)
	v_add_nc_u32_e32 v2, v2, v51
	s_delay_alu instid0(VALU_DEP_1) | instskip(NEXT) | instid1(VALU_DEP_1)
	v_lshlrev_b64 v[41:42], 3, v[2:3]
	v_add_co_u32 v41, vcc_lo, s46, v41
	s_delay_alu instid0(VALU_DEP_2)
	v_add_co_ci_u32_e32 v42, vcc_lo, s47, v42, vcc_lo
	s_waitcnt lgkmcnt(0)
	global_store_b64 v[41:42], v[39:40], off
	s_or_b32 exec_lo, exec_lo, s17
	s_and_saveexec_b32 s17, s21
	s_cbranch_execnz .LBB1776_1182
.LBB1776_1167:                          ;   in Loop: Header=BB1776_987 Depth=2
	s_or_b32 exec_lo, exec_lo, s17
	s_and_saveexec_b32 s17, s22
	s_cbranch_execz .LBB1776_1183
.LBB1776_1168:                          ;   in Loop: Header=BB1776_987 Depth=2
	v_lshlrev_b32_e32 v2, 2, v138
	ds_load_b32 v2, v2
	ds_load_b64 v[39:40], v36 offset:12288
	s_waitcnt lgkmcnt(1)
	v_add_nc_u32_e32 v2, v2, v53
	s_delay_alu instid0(VALU_DEP_1) | instskip(NEXT) | instid1(VALU_DEP_1)
	v_lshlrev_b64 v[41:42], 3, v[2:3]
	v_add_co_u32 v41, vcc_lo, s46, v41
	s_delay_alu instid0(VALU_DEP_2)
	v_add_co_ci_u32_e32 v42, vcc_lo, s47, v42, vcc_lo
	s_waitcnt lgkmcnt(0)
	global_store_b64 v[41:42], v[39:40], off
	s_or_b32 exec_lo, exec_lo, s17
	s_and_saveexec_b32 s17, s23
	s_cbranch_execnz .LBB1776_1184
.LBB1776_1169:                          ;   in Loop: Header=BB1776_987 Depth=2
	s_or_b32 exec_lo, exec_lo, s17
	s_and_saveexec_b32 s17, s24
	s_cbranch_execz .LBB1776_1185
.LBB1776_1170:                          ;   in Loop: Header=BB1776_987 Depth=2
	v_lshlrev_b32_e32 v2, 2, v136
	ds_load_b32 v2, v2
	ds_load_b64 v[39:40], v36 offset:16384
	s_waitcnt lgkmcnt(1)
	v_add_nc_u32_e32 v2, v2, v55
	s_delay_alu instid0(VALU_DEP_1) | instskip(NEXT) | instid1(VALU_DEP_1)
	v_lshlrev_b64 v[41:42], 3, v[2:3]
	v_add_co_u32 v41, vcc_lo, s46, v41
	s_delay_alu instid0(VALU_DEP_2)
	v_add_co_ci_u32_e32 v42, vcc_lo, s47, v42, vcc_lo
	s_waitcnt lgkmcnt(0)
	global_store_b64 v[41:42], v[39:40], off
	s_or_b32 exec_lo, exec_lo, s17
	s_and_saveexec_b32 s17, s25
	s_cbranch_execnz .LBB1776_1186
.LBB1776_1171:                          ;   in Loop: Header=BB1776_987 Depth=2
	s_or_b32 exec_lo, exec_lo, s17
	s_and_saveexec_b32 s17, s26
	s_cbranch_execz .LBB1776_1187
.LBB1776_1172:                          ;   in Loop: Header=BB1776_987 Depth=2
	v_lshlrev_b32_e32 v2, 2, v134
	ds_load_b32 v2, v2
	ds_load_b64 v[39:40], v36 offset:20480
	s_waitcnt lgkmcnt(1)
	v_add_nc_u32_e32 v2, v2, v57
	s_delay_alu instid0(VALU_DEP_1) | instskip(NEXT) | instid1(VALU_DEP_1)
	v_lshlrev_b64 v[41:42], 3, v[2:3]
	v_add_co_u32 v41, vcc_lo, s46, v41
	s_delay_alu instid0(VALU_DEP_2)
	v_add_co_ci_u32_e32 v42, vcc_lo, s47, v42, vcc_lo
	s_waitcnt lgkmcnt(0)
	global_store_b64 v[41:42], v[39:40], off
	s_or_b32 exec_lo, exec_lo, s17
	s_and_saveexec_b32 s17, s27
	s_cbranch_execnz .LBB1776_1188
.LBB1776_1173:                          ;   in Loop: Header=BB1776_987 Depth=2
	s_or_b32 exec_lo, exec_lo, s17
	s_and_saveexec_b32 s17, s28
	s_cbranch_execz .LBB1776_1189
.LBB1776_1174:                          ;   in Loop: Header=BB1776_987 Depth=2
	v_lshlrev_b32_e32 v2, 2, v132
	ds_load_b32 v2, v2
	ds_load_b64 v[39:40], v36 offset:24576
	s_waitcnt lgkmcnt(1)
	v_add_nc_u32_e32 v2, v2, v59
	s_delay_alu instid0(VALU_DEP_1) | instskip(NEXT) | instid1(VALU_DEP_1)
	v_lshlrev_b64 v[41:42], 3, v[2:3]
	v_add_co_u32 v41, vcc_lo, s46, v41
	s_delay_alu instid0(VALU_DEP_2)
	v_add_co_ci_u32_e32 v42, vcc_lo, s47, v42, vcc_lo
	s_waitcnt lgkmcnt(0)
	global_store_b64 v[41:42], v[39:40], off
	s_or_b32 exec_lo, exec_lo, s17
	s_and_saveexec_b32 s17, s29
	s_cbranch_execnz .LBB1776_1190
.LBB1776_1175:                          ;   in Loop: Header=BB1776_987 Depth=2
	s_or_b32 exec_lo, exec_lo, s17
	s_and_saveexec_b32 s17, s30
	s_cbranch_execz .LBB1776_1191
.LBB1776_1176:                          ;   in Loop: Header=BB1776_987 Depth=2
	v_lshlrev_b32_e32 v2, 2, v130
	ds_load_b32 v2, v2
	ds_load_b64 v[39:40], v36 offset:28672
	s_waitcnt lgkmcnt(1)
	v_add_nc_u32_e32 v2, v2, v61
	s_delay_alu instid0(VALU_DEP_1) | instskip(NEXT) | instid1(VALU_DEP_1)
	v_lshlrev_b64 v[41:42], 3, v[2:3]
	v_add_co_u32 v41, vcc_lo, s46, v41
	s_delay_alu instid0(VALU_DEP_2)
	v_add_co_ci_u32_e32 v42, vcc_lo, s47, v42, vcc_lo
	s_waitcnt lgkmcnt(0)
	global_store_b64 v[41:42], v[39:40], off
	s_or_b32 exec_lo, exec_lo, s17
	s_and_saveexec_b32 s17, s31
	s_cbranch_execnz .LBB1776_1192
	s_branch .LBB1776_1193
.LBB1776_1177:                          ;   in Loop: Header=BB1776_987 Depth=2
	s_or_b32 exec_lo, exec_lo, s33
	v_add_nc_u32_e32 v36, v79, v81
	s_and_saveexec_b32 s33, s17
	s_cbranch_execz .LBB1776_1163
.LBB1776_1178:                          ;   in Loop: Header=BB1776_987 Depth=2
	v_lshlrev_b32_e32 v2, 2, v143
	ds_load_b32 v2, v2
	ds_load_b64 v[39:40], v36 offset:2048
	s_waitcnt lgkmcnt(1)
	v_add_nc_u32_e32 v2, v2, v45
	s_delay_alu instid0(VALU_DEP_1) | instskip(NEXT) | instid1(VALU_DEP_1)
	v_lshlrev_b64 v[41:42], 3, v[2:3]
	v_add_co_u32 v41, vcc_lo, s46, v41
	s_delay_alu instid0(VALU_DEP_2)
	v_add_co_ci_u32_e32 v42, vcc_lo, s47, v42, vcc_lo
	s_waitcnt lgkmcnt(0)
	global_store_b64 v[41:42], v[39:40], off
	s_or_b32 exec_lo, exec_lo, s33
	s_and_saveexec_b32 s17, s18
	s_cbranch_execnz .LBB1776_1164
.LBB1776_1179:                          ;   in Loop: Header=BB1776_987 Depth=2
	s_or_b32 exec_lo, exec_lo, s17
	s_and_saveexec_b32 s17, s19
	s_cbranch_execz .LBB1776_1165
.LBB1776_1180:                          ;   in Loop: Header=BB1776_987 Depth=2
	v_lshlrev_b32_e32 v2, 2, v141
	ds_load_b32 v2, v2
	ds_load_b64 v[39:40], v36 offset:6144
	s_waitcnt lgkmcnt(1)
	v_add_nc_u32_e32 v2, v2, v47
	s_delay_alu instid0(VALU_DEP_1) | instskip(NEXT) | instid1(VALU_DEP_1)
	v_lshlrev_b64 v[41:42], 3, v[2:3]
	v_add_co_u32 v41, vcc_lo, s46, v41
	s_delay_alu instid0(VALU_DEP_2)
	v_add_co_ci_u32_e32 v42, vcc_lo, s47, v42, vcc_lo
	s_waitcnt lgkmcnt(0)
	global_store_b64 v[41:42], v[39:40], off
	s_or_b32 exec_lo, exec_lo, s17
	s_and_saveexec_b32 s17, s20
	s_cbranch_execnz .LBB1776_1166
.LBB1776_1181:                          ;   in Loop: Header=BB1776_987 Depth=2
	s_or_b32 exec_lo, exec_lo, s17
	s_and_saveexec_b32 s17, s21
	s_cbranch_execz .LBB1776_1167
.LBB1776_1182:                          ;   in Loop: Header=BB1776_987 Depth=2
	v_lshlrev_b32_e32 v2, 2, v139
	ds_load_b32 v2, v2
	ds_load_b64 v[39:40], v36 offset:10240
	s_waitcnt lgkmcnt(1)
	v_add_nc_u32_e32 v2, v2, v52
	s_delay_alu instid0(VALU_DEP_1) | instskip(NEXT) | instid1(VALU_DEP_1)
	v_lshlrev_b64 v[41:42], 3, v[2:3]
	v_add_co_u32 v41, vcc_lo, s46, v41
	s_delay_alu instid0(VALU_DEP_2)
	v_add_co_ci_u32_e32 v42, vcc_lo, s47, v42, vcc_lo
	s_waitcnt lgkmcnt(0)
	global_store_b64 v[41:42], v[39:40], off
	s_or_b32 exec_lo, exec_lo, s17
	s_and_saveexec_b32 s17, s22
	s_cbranch_execnz .LBB1776_1168
.LBB1776_1183:                          ;   in Loop: Header=BB1776_987 Depth=2
	s_or_b32 exec_lo, exec_lo, s17
	s_and_saveexec_b32 s17, s23
	s_cbranch_execz .LBB1776_1169
.LBB1776_1184:                          ;   in Loop: Header=BB1776_987 Depth=2
	v_lshlrev_b32_e32 v2, 2, v137
	ds_load_b32 v2, v2
	ds_load_b64 v[39:40], v36 offset:14336
	s_waitcnt lgkmcnt(1)
	v_add_nc_u32_e32 v2, v2, v54
	s_delay_alu instid0(VALU_DEP_1) | instskip(NEXT) | instid1(VALU_DEP_1)
	v_lshlrev_b64 v[41:42], 3, v[2:3]
	v_add_co_u32 v41, vcc_lo, s46, v41
	s_delay_alu instid0(VALU_DEP_2)
	v_add_co_ci_u32_e32 v42, vcc_lo, s47, v42, vcc_lo
	s_waitcnt lgkmcnt(0)
	global_store_b64 v[41:42], v[39:40], off
	s_or_b32 exec_lo, exec_lo, s17
	s_and_saveexec_b32 s17, s24
	s_cbranch_execnz .LBB1776_1170
.LBB1776_1185:                          ;   in Loop: Header=BB1776_987 Depth=2
	s_or_b32 exec_lo, exec_lo, s17
	s_and_saveexec_b32 s17, s25
	s_cbranch_execz .LBB1776_1171
.LBB1776_1186:                          ;   in Loop: Header=BB1776_987 Depth=2
	v_lshlrev_b32_e32 v2, 2, v135
	ds_load_b32 v2, v2
	ds_load_b64 v[39:40], v36 offset:18432
	s_waitcnt lgkmcnt(1)
	v_add_nc_u32_e32 v2, v2, v56
	s_delay_alu instid0(VALU_DEP_1) | instskip(NEXT) | instid1(VALU_DEP_1)
	v_lshlrev_b64 v[41:42], 3, v[2:3]
	v_add_co_u32 v41, vcc_lo, s46, v41
	s_delay_alu instid0(VALU_DEP_2)
	v_add_co_ci_u32_e32 v42, vcc_lo, s47, v42, vcc_lo
	s_waitcnt lgkmcnt(0)
	global_store_b64 v[41:42], v[39:40], off
	s_or_b32 exec_lo, exec_lo, s17
	s_and_saveexec_b32 s17, s26
	s_cbranch_execnz .LBB1776_1172
.LBB1776_1187:                          ;   in Loop: Header=BB1776_987 Depth=2
	s_or_b32 exec_lo, exec_lo, s17
	s_and_saveexec_b32 s17, s27
	s_cbranch_execz .LBB1776_1173
.LBB1776_1188:                          ;   in Loop: Header=BB1776_987 Depth=2
	v_lshlrev_b32_e32 v2, 2, v133
	ds_load_b32 v2, v2
	ds_load_b64 v[39:40], v36 offset:22528
	s_waitcnt lgkmcnt(1)
	v_add_nc_u32_e32 v2, v2, v58
	s_delay_alu instid0(VALU_DEP_1) | instskip(NEXT) | instid1(VALU_DEP_1)
	v_lshlrev_b64 v[41:42], 3, v[2:3]
	v_add_co_u32 v41, vcc_lo, s46, v41
	s_delay_alu instid0(VALU_DEP_2)
	v_add_co_ci_u32_e32 v42, vcc_lo, s47, v42, vcc_lo
	s_waitcnt lgkmcnt(0)
	global_store_b64 v[41:42], v[39:40], off
	s_or_b32 exec_lo, exec_lo, s17
	s_and_saveexec_b32 s17, s28
	s_cbranch_execnz .LBB1776_1174
.LBB1776_1189:                          ;   in Loop: Header=BB1776_987 Depth=2
	s_or_b32 exec_lo, exec_lo, s17
	s_and_saveexec_b32 s17, s29
	s_cbranch_execz .LBB1776_1175
.LBB1776_1190:                          ;   in Loop: Header=BB1776_987 Depth=2
	v_lshlrev_b32_e32 v2, 2, v131
	ds_load_b32 v2, v2
	ds_load_b64 v[39:40], v36 offset:26624
	s_waitcnt lgkmcnt(1)
	v_add_nc_u32_e32 v2, v2, v60
	s_delay_alu instid0(VALU_DEP_1) | instskip(NEXT) | instid1(VALU_DEP_1)
	v_lshlrev_b64 v[41:42], 3, v[2:3]
	v_add_co_u32 v41, vcc_lo, s46, v41
	s_delay_alu instid0(VALU_DEP_2)
	v_add_co_ci_u32_e32 v42, vcc_lo, s47, v42, vcc_lo
	s_waitcnt lgkmcnt(0)
	global_store_b64 v[41:42], v[39:40], off
	s_or_b32 exec_lo, exec_lo, s17
	s_and_saveexec_b32 s17, s30
	s_cbranch_execnz .LBB1776_1176
.LBB1776_1191:                          ;   in Loop: Header=BB1776_987 Depth=2
	s_or_b32 exec_lo, exec_lo, s17
	s_and_saveexec_b32 s17, s31
	s_cbranch_execz .LBB1776_1193
.LBB1776_1192:                          ;   in Loop: Header=BB1776_987 Depth=2
	v_lshlrev_b32_e32 v2, 2, v129
	ds_load_b32 v2, v2
	ds_load_b64 v[36:37], v36 offset:30720
	s_waitcnt lgkmcnt(1)
	v_add_nc_u32_e32 v2, v2, v63
	s_delay_alu instid0(VALU_DEP_1) | instskip(NEXT) | instid1(VALU_DEP_1)
	v_lshlrev_b64 v[39:40], 3, v[2:3]
	v_add_co_u32 v39, vcc_lo, s46, v39
	s_delay_alu instid0(VALU_DEP_2)
	v_add_co_ci_u32_e32 v40, vcc_lo, s47, v40, vcc_lo
	s_waitcnt lgkmcnt(0)
	global_store_b64 v[39:40], v[36:37], off
.LBB1776_1193:                          ;   in Loop: Header=BB1776_987 Depth=2
	s_or_b32 exec_lo, exec_lo, s17
	s_waitcnt_vscnt null, 0x0
	s_barrier
	buffer_gl0_inv
	s_and_saveexec_b32 s17, s2
	s_cbranch_execz .LBB1776_986
; %bb.1194:                             ;   in Loop: Header=BB1776_987 Depth=2
	ds_load_b32 v2, v44
	s_waitcnt lgkmcnt(0)
	v_add_nc_u32_e32 v2, v2, v38
	ds_store_b32 v44, v2
	s_branch .LBB1776_986
.LBB1776_1195:
	s_endpgm
	.section	.rodata,"a",@progbits
	.p2align	6, 0x0
	.amdhsa_kernel _ZN7rocprim17ROCPRIM_400000_NS6detail17trampoline_kernelINS0_14default_configENS1_36segmented_radix_sort_config_selectorI6__halflEEZNS1_25segmented_radix_sort_implIS3_Lb1EPKS5_PS5_PKlPlN2at6native12_GLOBAL__N_18offset_tEEE10hipError_tPvRmT1_PNSt15iterator_traitsISL_E10value_typeET2_T3_PNSM_ISR_E10value_typeET4_jRbjT5_SX_jjP12ihipStream_tbEUlT_E2_NS1_11comp_targetILNS1_3genE9ELNS1_11target_archE1100ELNS1_3gpuE3ELNS1_3repE0EEENS1_30default_config_static_selectorELNS0_4arch9wavefront6targetE0EEEvSL_
		.amdhsa_group_segment_fixed_size 33824
		.amdhsa_private_segment_fixed_size 220
		.amdhsa_kernarg_size 336
		.amdhsa_user_sgpr_count 14
		.amdhsa_user_sgpr_dispatch_ptr 0
		.amdhsa_user_sgpr_queue_ptr 0
		.amdhsa_user_sgpr_kernarg_segment_ptr 1
		.amdhsa_user_sgpr_dispatch_id 0
		.amdhsa_user_sgpr_private_segment_size 0
		.amdhsa_wavefront_size32 1
		.amdhsa_uses_dynamic_stack 0
		.amdhsa_enable_private_segment 1
		.amdhsa_system_sgpr_workgroup_id_x 1
		.amdhsa_system_sgpr_workgroup_id_y 1
		.amdhsa_system_sgpr_workgroup_id_z 0
		.amdhsa_system_sgpr_workgroup_info 0
		.amdhsa_system_vgpr_workitem_id 2
		.amdhsa_next_free_vgpr 248
		.amdhsa_next_free_sgpr 60
		.amdhsa_reserve_vcc 1
		.amdhsa_float_round_mode_32 0
		.amdhsa_float_round_mode_16_64 0
		.amdhsa_float_denorm_mode_32 3
		.amdhsa_float_denorm_mode_16_64 3
		.amdhsa_dx10_clamp 1
		.amdhsa_ieee_mode 1
		.amdhsa_fp16_overflow 0
		.amdhsa_workgroup_processor_mode 1
		.amdhsa_memory_ordered 1
		.amdhsa_forward_progress 0
		.amdhsa_shared_vgpr_count 0
		.amdhsa_exception_fp_ieee_invalid_op 0
		.amdhsa_exception_fp_denorm_src 0
		.amdhsa_exception_fp_ieee_div_zero 0
		.amdhsa_exception_fp_ieee_overflow 0
		.amdhsa_exception_fp_ieee_underflow 0
		.amdhsa_exception_fp_ieee_inexact 0
		.amdhsa_exception_int_div_zero 0
	.end_amdhsa_kernel
	.section	.text._ZN7rocprim17ROCPRIM_400000_NS6detail17trampoline_kernelINS0_14default_configENS1_36segmented_radix_sort_config_selectorI6__halflEEZNS1_25segmented_radix_sort_implIS3_Lb1EPKS5_PS5_PKlPlN2at6native12_GLOBAL__N_18offset_tEEE10hipError_tPvRmT1_PNSt15iterator_traitsISL_E10value_typeET2_T3_PNSM_ISR_E10value_typeET4_jRbjT5_SX_jjP12ihipStream_tbEUlT_E2_NS1_11comp_targetILNS1_3genE9ELNS1_11target_archE1100ELNS1_3gpuE3ELNS1_3repE0EEENS1_30default_config_static_selectorELNS0_4arch9wavefront6targetE0EEEvSL_,"axG",@progbits,_ZN7rocprim17ROCPRIM_400000_NS6detail17trampoline_kernelINS0_14default_configENS1_36segmented_radix_sort_config_selectorI6__halflEEZNS1_25segmented_radix_sort_implIS3_Lb1EPKS5_PS5_PKlPlN2at6native12_GLOBAL__N_18offset_tEEE10hipError_tPvRmT1_PNSt15iterator_traitsISL_E10value_typeET2_T3_PNSM_ISR_E10value_typeET4_jRbjT5_SX_jjP12ihipStream_tbEUlT_E2_NS1_11comp_targetILNS1_3genE9ELNS1_11target_archE1100ELNS1_3gpuE3ELNS1_3repE0EEENS1_30default_config_static_selectorELNS0_4arch9wavefront6targetE0EEEvSL_,comdat
.Lfunc_end1776:
	.size	_ZN7rocprim17ROCPRIM_400000_NS6detail17trampoline_kernelINS0_14default_configENS1_36segmented_radix_sort_config_selectorI6__halflEEZNS1_25segmented_radix_sort_implIS3_Lb1EPKS5_PS5_PKlPlN2at6native12_GLOBAL__N_18offset_tEEE10hipError_tPvRmT1_PNSt15iterator_traitsISL_E10value_typeET2_T3_PNSM_ISR_E10value_typeET4_jRbjT5_SX_jjP12ihipStream_tbEUlT_E2_NS1_11comp_targetILNS1_3genE9ELNS1_11target_archE1100ELNS1_3gpuE3ELNS1_3repE0EEENS1_30default_config_static_selectorELNS0_4arch9wavefront6targetE0EEEvSL_, .Lfunc_end1776-_ZN7rocprim17ROCPRIM_400000_NS6detail17trampoline_kernelINS0_14default_configENS1_36segmented_radix_sort_config_selectorI6__halflEEZNS1_25segmented_radix_sort_implIS3_Lb1EPKS5_PS5_PKlPlN2at6native12_GLOBAL__N_18offset_tEEE10hipError_tPvRmT1_PNSt15iterator_traitsISL_E10value_typeET2_T3_PNSM_ISR_E10value_typeET4_jRbjT5_SX_jjP12ihipStream_tbEUlT_E2_NS1_11comp_targetILNS1_3genE9ELNS1_11target_archE1100ELNS1_3gpuE3ELNS1_3repE0EEENS1_30default_config_static_selectorELNS0_4arch9wavefront6targetE0EEEvSL_
                                        ; -- End function
	.section	.AMDGPU.csdata,"",@progbits
; Kernel info:
; codeLenInByte = 79820
; NumSgprs: 62
; NumVgprs: 248
; ScratchSize: 220
; MemoryBound: 0
; FloatMode: 240
; IeeeMode: 1
; LDSByteSize: 33824 bytes/workgroup (compile time only)
; SGPRBlocks: 7
; VGPRBlocks: 30
; NumSGPRsForWavesPerEU: 62
; NumVGPRsForWavesPerEU: 248
; Occupancy: 5
; WaveLimiterHint : 1
; COMPUTE_PGM_RSRC2:SCRATCH_EN: 1
; COMPUTE_PGM_RSRC2:USER_SGPR: 14
; COMPUTE_PGM_RSRC2:TRAP_HANDLER: 0
; COMPUTE_PGM_RSRC2:TGID_X_EN: 1
; COMPUTE_PGM_RSRC2:TGID_Y_EN: 1
; COMPUTE_PGM_RSRC2:TGID_Z_EN: 0
; COMPUTE_PGM_RSRC2:TIDIG_COMP_CNT: 2
	.section	.text._ZN7rocprim17ROCPRIM_400000_NS6detail17trampoline_kernelINS0_14default_configENS1_36segmented_radix_sort_config_selectorI6__halflEEZNS1_25segmented_radix_sort_implIS3_Lb1EPKS5_PS5_PKlPlN2at6native12_GLOBAL__N_18offset_tEEE10hipError_tPvRmT1_PNSt15iterator_traitsISL_E10value_typeET2_T3_PNSM_ISR_E10value_typeET4_jRbjT5_SX_jjP12ihipStream_tbEUlT_E2_NS1_11comp_targetILNS1_3genE8ELNS1_11target_archE1030ELNS1_3gpuE2ELNS1_3repE0EEENS1_30default_config_static_selectorELNS0_4arch9wavefront6targetE0EEEvSL_,"axG",@progbits,_ZN7rocprim17ROCPRIM_400000_NS6detail17trampoline_kernelINS0_14default_configENS1_36segmented_radix_sort_config_selectorI6__halflEEZNS1_25segmented_radix_sort_implIS3_Lb1EPKS5_PS5_PKlPlN2at6native12_GLOBAL__N_18offset_tEEE10hipError_tPvRmT1_PNSt15iterator_traitsISL_E10value_typeET2_T3_PNSM_ISR_E10value_typeET4_jRbjT5_SX_jjP12ihipStream_tbEUlT_E2_NS1_11comp_targetILNS1_3genE8ELNS1_11target_archE1030ELNS1_3gpuE2ELNS1_3repE0EEENS1_30default_config_static_selectorELNS0_4arch9wavefront6targetE0EEEvSL_,comdat
	.globl	_ZN7rocprim17ROCPRIM_400000_NS6detail17trampoline_kernelINS0_14default_configENS1_36segmented_radix_sort_config_selectorI6__halflEEZNS1_25segmented_radix_sort_implIS3_Lb1EPKS5_PS5_PKlPlN2at6native12_GLOBAL__N_18offset_tEEE10hipError_tPvRmT1_PNSt15iterator_traitsISL_E10value_typeET2_T3_PNSM_ISR_E10value_typeET4_jRbjT5_SX_jjP12ihipStream_tbEUlT_E2_NS1_11comp_targetILNS1_3genE8ELNS1_11target_archE1030ELNS1_3gpuE2ELNS1_3repE0EEENS1_30default_config_static_selectorELNS0_4arch9wavefront6targetE0EEEvSL_ ; -- Begin function _ZN7rocprim17ROCPRIM_400000_NS6detail17trampoline_kernelINS0_14default_configENS1_36segmented_radix_sort_config_selectorI6__halflEEZNS1_25segmented_radix_sort_implIS3_Lb1EPKS5_PS5_PKlPlN2at6native12_GLOBAL__N_18offset_tEEE10hipError_tPvRmT1_PNSt15iterator_traitsISL_E10value_typeET2_T3_PNSM_ISR_E10value_typeET4_jRbjT5_SX_jjP12ihipStream_tbEUlT_E2_NS1_11comp_targetILNS1_3genE8ELNS1_11target_archE1030ELNS1_3gpuE2ELNS1_3repE0EEENS1_30default_config_static_selectorELNS0_4arch9wavefront6targetE0EEEvSL_
	.p2align	8
	.type	_ZN7rocprim17ROCPRIM_400000_NS6detail17trampoline_kernelINS0_14default_configENS1_36segmented_radix_sort_config_selectorI6__halflEEZNS1_25segmented_radix_sort_implIS3_Lb1EPKS5_PS5_PKlPlN2at6native12_GLOBAL__N_18offset_tEEE10hipError_tPvRmT1_PNSt15iterator_traitsISL_E10value_typeET2_T3_PNSM_ISR_E10value_typeET4_jRbjT5_SX_jjP12ihipStream_tbEUlT_E2_NS1_11comp_targetILNS1_3genE8ELNS1_11target_archE1030ELNS1_3gpuE2ELNS1_3repE0EEENS1_30default_config_static_selectorELNS0_4arch9wavefront6targetE0EEEvSL_,@function
_ZN7rocprim17ROCPRIM_400000_NS6detail17trampoline_kernelINS0_14default_configENS1_36segmented_radix_sort_config_selectorI6__halflEEZNS1_25segmented_radix_sort_implIS3_Lb1EPKS5_PS5_PKlPlN2at6native12_GLOBAL__N_18offset_tEEE10hipError_tPvRmT1_PNSt15iterator_traitsISL_E10value_typeET2_T3_PNSM_ISR_E10value_typeET4_jRbjT5_SX_jjP12ihipStream_tbEUlT_E2_NS1_11comp_targetILNS1_3genE8ELNS1_11target_archE1030ELNS1_3gpuE2ELNS1_3repE0EEENS1_30default_config_static_selectorELNS0_4arch9wavefront6targetE0EEEvSL_: ; @_ZN7rocprim17ROCPRIM_400000_NS6detail17trampoline_kernelINS0_14default_configENS1_36segmented_radix_sort_config_selectorI6__halflEEZNS1_25segmented_radix_sort_implIS3_Lb1EPKS5_PS5_PKlPlN2at6native12_GLOBAL__N_18offset_tEEE10hipError_tPvRmT1_PNSt15iterator_traitsISL_E10value_typeET2_T3_PNSM_ISR_E10value_typeET4_jRbjT5_SX_jjP12ihipStream_tbEUlT_E2_NS1_11comp_targetILNS1_3genE8ELNS1_11target_archE1030ELNS1_3gpuE2ELNS1_3repE0EEENS1_30default_config_static_selectorELNS0_4arch9wavefront6targetE0EEEvSL_
; %bb.0:
	.section	.rodata,"a",@progbits
	.p2align	6, 0x0
	.amdhsa_kernel _ZN7rocprim17ROCPRIM_400000_NS6detail17trampoline_kernelINS0_14default_configENS1_36segmented_radix_sort_config_selectorI6__halflEEZNS1_25segmented_radix_sort_implIS3_Lb1EPKS5_PS5_PKlPlN2at6native12_GLOBAL__N_18offset_tEEE10hipError_tPvRmT1_PNSt15iterator_traitsISL_E10value_typeET2_T3_PNSM_ISR_E10value_typeET4_jRbjT5_SX_jjP12ihipStream_tbEUlT_E2_NS1_11comp_targetILNS1_3genE8ELNS1_11target_archE1030ELNS1_3gpuE2ELNS1_3repE0EEENS1_30default_config_static_selectorELNS0_4arch9wavefront6targetE0EEEvSL_
		.amdhsa_group_segment_fixed_size 0
		.amdhsa_private_segment_fixed_size 0
		.amdhsa_kernarg_size 80
		.amdhsa_user_sgpr_count 15
		.amdhsa_user_sgpr_dispatch_ptr 0
		.amdhsa_user_sgpr_queue_ptr 0
		.amdhsa_user_sgpr_kernarg_segment_ptr 1
		.amdhsa_user_sgpr_dispatch_id 0
		.amdhsa_user_sgpr_private_segment_size 0
		.amdhsa_wavefront_size32 1
		.amdhsa_uses_dynamic_stack 0
		.amdhsa_enable_private_segment 0
		.amdhsa_system_sgpr_workgroup_id_x 1
		.amdhsa_system_sgpr_workgroup_id_y 0
		.amdhsa_system_sgpr_workgroup_id_z 0
		.amdhsa_system_sgpr_workgroup_info 0
		.amdhsa_system_vgpr_workitem_id 0
		.amdhsa_next_free_vgpr 1
		.amdhsa_next_free_sgpr 1
		.amdhsa_reserve_vcc 0
		.amdhsa_float_round_mode_32 0
		.amdhsa_float_round_mode_16_64 0
		.amdhsa_float_denorm_mode_32 3
		.amdhsa_float_denorm_mode_16_64 3
		.amdhsa_dx10_clamp 1
		.amdhsa_ieee_mode 1
		.amdhsa_fp16_overflow 0
		.amdhsa_workgroup_processor_mode 1
		.amdhsa_memory_ordered 1
		.amdhsa_forward_progress 0
		.amdhsa_shared_vgpr_count 0
		.amdhsa_exception_fp_ieee_invalid_op 0
		.amdhsa_exception_fp_denorm_src 0
		.amdhsa_exception_fp_ieee_div_zero 0
		.amdhsa_exception_fp_ieee_overflow 0
		.amdhsa_exception_fp_ieee_underflow 0
		.amdhsa_exception_fp_ieee_inexact 0
		.amdhsa_exception_int_div_zero 0
	.end_amdhsa_kernel
	.section	.text._ZN7rocprim17ROCPRIM_400000_NS6detail17trampoline_kernelINS0_14default_configENS1_36segmented_radix_sort_config_selectorI6__halflEEZNS1_25segmented_radix_sort_implIS3_Lb1EPKS5_PS5_PKlPlN2at6native12_GLOBAL__N_18offset_tEEE10hipError_tPvRmT1_PNSt15iterator_traitsISL_E10value_typeET2_T3_PNSM_ISR_E10value_typeET4_jRbjT5_SX_jjP12ihipStream_tbEUlT_E2_NS1_11comp_targetILNS1_3genE8ELNS1_11target_archE1030ELNS1_3gpuE2ELNS1_3repE0EEENS1_30default_config_static_selectorELNS0_4arch9wavefront6targetE0EEEvSL_,"axG",@progbits,_ZN7rocprim17ROCPRIM_400000_NS6detail17trampoline_kernelINS0_14default_configENS1_36segmented_radix_sort_config_selectorI6__halflEEZNS1_25segmented_radix_sort_implIS3_Lb1EPKS5_PS5_PKlPlN2at6native12_GLOBAL__N_18offset_tEEE10hipError_tPvRmT1_PNSt15iterator_traitsISL_E10value_typeET2_T3_PNSM_ISR_E10value_typeET4_jRbjT5_SX_jjP12ihipStream_tbEUlT_E2_NS1_11comp_targetILNS1_3genE8ELNS1_11target_archE1030ELNS1_3gpuE2ELNS1_3repE0EEENS1_30default_config_static_selectorELNS0_4arch9wavefront6targetE0EEEvSL_,comdat
.Lfunc_end1777:
	.size	_ZN7rocprim17ROCPRIM_400000_NS6detail17trampoline_kernelINS0_14default_configENS1_36segmented_radix_sort_config_selectorI6__halflEEZNS1_25segmented_radix_sort_implIS3_Lb1EPKS5_PS5_PKlPlN2at6native12_GLOBAL__N_18offset_tEEE10hipError_tPvRmT1_PNSt15iterator_traitsISL_E10value_typeET2_T3_PNSM_ISR_E10value_typeET4_jRbjT5_SX_jjP12ihipStream_tbEUlT_E2_NS1_11comp_targetILNS1_3genE8ELNS1_11target_archE1030ELNS1_3gpuE2ELNS1_3repE0EEENS1_30default_config_static_selectorELNS0_4arch9wavefront6targetE0EEEvSL_, .Lfunc_end1777-_ZN7rocprim17ROCPRIM_400000_NS6detail17trampoline_kernelINS0_14default_configENS1_36segmented_radix_sort_config_selectorI6__halflEEZNS1_25segmented_radix_sort_implIS3_Lb1EPKS5_PS5_PKlPlN2at6native12_GLOBAL__N_18offset_tEEE10hipError_tPvRmT1_PNSt15iterator_traitsISL_E10value_typeET2_T3_PNSM_ISR_E10value_typeET4_jRbjT5_SX_jjP12ihipStream_tbEUlT_E2_NS1_11comp_targetILNS1_3genE8ELNS1_11target_archE1030ELNS1_3gpuE2ELNS1_3repE0EEENS1_30default_config_static_selectorELNS0_4arch9wavefront6targetE0EEEvSL_
                                        ; -- End function
	.section	.AMDGPU.csdata,"",@progbits
; Kernel info:
; codeLenInByte = 0
; NumSgprs: 0
; NumVgprs: 0
; ScratchSize: 0
; MemoryBound: 0
; FloatMode: 240
; IeeeMode: 1
; LDSByteSize: 0 bytes/workgroup (compile time only)
; SGPRBlocks: 0
; VGPRBlocks: 0
; NumSGPRsForWavesPerEU: 1
; NumVGPRsForWavesPerEU: 1
; Occupancy: 16
; WaveLimiterHint : 0
; COMPUTE_PGM_RSRC2:SCRATCH_EN: 0
; COMPUTE_PGM_RSRC2:USER_SGPR: 15
; COMPUTE_PGM_RSRC2:TRAP_HANDLER: 0
; COMPUTE_PGM_RSRC2:TGID_X_EN: 1
; COMPUTE_PGM_RSRC2:TGID_Y_EN: 0
; COMPUTE_PGM_RSRC2:TGID_Z_EN: 0
; COMPUTE_PGM_RSRC2:TIDIG_COMP_CNT: 0
	.section	.text._ZN7rocprim17ROCPRIM_400000_NS6detail17trampoline_kernelINS0_13select_configILj256ELj13ELNS0_17block_load_methodE3ELS4_3ELS4_3ELNS0_20block_scan_algorithmE0ELj4294967295EEENS1_25partition_config_selectorILNS1_17partition_subalgoE4EjNS0_10empty_typeEbEEZZNS1_14partition_implILS8_4ELb0ES6_15HIP_vector_typeIjLj2EENS0_17counting_iteratorIjlEEPS9_SG_NS0_5tupleIJPjSI_NS0_16reverse_iteratorISI_EEEEENSH_IJSG_SG_SG_EEES9_SI_JZNS1_25segmented_radix_sort_implINS0_14default_configELb0EPK6__halfPSP_PKlPlN2at6native12_GLOBAL__N_18offset_tEEE10hipError_tPvRmT1_PNSt15iterator_traitsIS13_E10value_typeET2_T3_PNS14_IS19_E10value_typeET4_jRbjT5_S1F_jjP12ihipStream_tbEUljE_ZNSN_ISO_Lb0ESR_SS_SU_SV_SZ_EES10_S11_S12_S13_S17_S18_S19_S1C_S1D_jS1E_jS1F_S1F_jjS1H_bEUljE0_EEES10_S11_S12_S19_S1D_S1F_T6_T7_T9_mT8_S1H_bDpT10_ENKUlT_T0_E_clISt17integral_constantIbLb0EES1V_EEDaS1Q_S1R_EUlS1Q_E_NS1_11comp_targetILNS1_3genE0ELNS1_11target_archE4294967295ELNS1_3gpuE0ELNS1_3repE0EEENS1_30default_config_static_selectorELNS0_4arch9wavefront6targetE0EEEvS13_,"axG",@progbits,_ZN7rocprim17ROCPRIM_400000_NS6detail17trampoline_kernelINS0_13select_configILj256ELj13ELNS0_17block_load_methodE3ELS4_3ELS4_3ELNS0_20block_scan_algorithmE0ELj4294967295EEENS1_25partition_config_selectorILNS1_17partition_subalgoE4EjNS0_10empty_typeEbEEZZNS1_14partition_implILS8_4ELb0ES6_15HIP_vector_typeIjLj2EENS0_17counting_iteratorIjlEEPS9_SG_NS0_5tupleIJPjSI_NS0_16reverse_iteratorISI_EEEEENSH_IJSG_SG_SG_EEES9_SI_JZNS1_25segmented_radix_sort_implINS0_14default_configELb0EPK6__halfPSP_PKlPlN2at6native12_GLOBAL__N_18offset_tEEE10hipError_tPvRmT1_PNSt15iterator_traitsIS13_E10value_typeET2_T3_PNS14_IS19_E10value_typeET4_jRbjT5_S1F_jjP12ihipStream_tbEUljE_ZNSN_ISO_Lb0ESR_SS_SU_SV_SZ_EES10_S11_S12_S13_S17_S18_S19_S1C_S1D_jS1E_jS1F_S1F_jjS1H_bEUljE0_EEES10_S11_S12_S19_S1D_S1F_T6_T7_T9_mT8_S1H_bDpT10_ENKUlT_T0_E_clISt17integral_constantIbLb0EES1V_EEDaS1Q_S1R_EUlS1Q_E_NS1_11comp_targetILNS1_3genE0ELNS1_11target_archE4294967295ELNS1_3gpuE0ELNS1_3repE0EEENS1_30default_config_static_selectorELNS0_4arch9wavefront6targetE0EEEvS13_,comdat
	.globl	_ZN7rocprim17ROCPRIM_400000_NS6detail17trampoline_kernelINS0_13select_configILj256ELj13ELNS0_17block_load_methodE3ELS4_3ELS4_3ELNS0_20block_scan_algorithmE0ELj4294967295EEENS1_25partition_config_selectorILNS1_17partition_subalgoE4EjNS0_10empty_typeEbEEZZNS1_14partition_implILS8_4ELb0ES6_15HIP_vector_typeIjLj2EENS0_17counting_iteratorIjlEEPS9_SG_NS0_5tupleIJPjSI_NS0_16reverse_iteratorISI_EEEEENSH_IJSG_SG_SG_EEES9_SI_JZNS1_25segmented_radix_sort_implINS0_14default_configELb0EPK6__halfPSP_PKlPlN2at6native12_GLOBAL__N_18offset_tEEE10hipError_tPvRmT1_PNSt15iterator_traitsIS13_E10value_typeET2_T3_PNS14_IS19_E10value_typeET4_jRbjT5_S1F_jjP12ihipStream_tbEUljE_ZNSN_ISO_Lb0ESR_SS_SU_SV_SZ_EES10_S11_S12_S13_S17_S18_S19_S1C_S1D_jS1E_jS1F_S1F_jjS1H_bEUljE0_EEES10_S11_S12_S19_S1D_S1F_T6_T7_T9_mT8_S1H_bDpT10_ENKUlT_T0_E_clISt17integral_constantIbLb0EES1V_EEDaS1Q_S1R_EUlS1Q_E_NS1_11comp_targetILNS1_3genE0ELNS1_11target_archE4294967295ELNS1_3gpuE0ELNS1_3repE0EEENS1_30default_config_static_selectorELNS0_4arch9wavefront6targetE0EEEvS13_ ; -- Begin function _ZN7rocprim17ROCPRIM_400000_NS6detail17trampoline_kernelINS0_13select_configILj256ELj13ELNS0_17block_load_methodE3ELS4_3ELS4_3ELNS0_20block_scan_algorithmE0ELj4294967295EEENS1_25partition_config_selectorILNS1_17partition_subalgoE4EjNS0_10empty_typeEbEEZZNS1_14partition_implILS8_4ELb0ES6_15HIP_vector_typeIjLj2EENS0_17counting_iteratorIjlEEPS9_SG_NS0_5tupleIJPjSI_NS0_16reverse_iteratorISI_EEEEENSH_IJSG_SG_SG_EEES9_SI_JZNS1_25segmented_radix_sort_implINS0_14default_configELb0EPK6__halfPSP_PKlPlN2at6native12_GLOBAL__N_18offset_tEEE10hipError_tPvRmT1_PNSt15iterator_traitsIS13_E10value_typeET2_T3_PNS14_IS19_E10value_typeET4_jRbjT5_S1F_jjP12ihipStream_tbEUljE_ZNSN_ISO_Lb0ESR_SS_SU_SV_SZ_EES10_S11_S12_S13_S17_S18_S19_S1C_S1D_jS1E_jS1F_S1F_jjS1H_bEUljE0_EEES10_S11_S12_S19_S1D_S1F_T6_T7_T9_mT8_S1H_bDpT10_ENKUlT_T0_E_clISt17integral_constantIbLb0EES1V_EEDaS1Q_S1R_EUlS1Q_E_NS1_11comp_targetILNS1_3genE0ELNS1_11target_archE4294967295ELNS1_3gpuE0ELNS1_3repE0EEENS1_30default_config_static_selectorELNS0_4arch9wavefront6targetE0EEEvS13_
	.p2align	8
	.type	_ZN7rocprim17ROCPRIM_400000_NS6detail17trampoline_kernelINS0_13select_configILj256ELj13ELNS0_17block_load_methodE3ELS4_3ELS4_3ELNS0_20block_scan_algorithmE0ELj4294967295EEENS1_25partition_config_selectorILNS1_17partition_subalgoE4EjNS0_10empty_typeEbEEZZNS1_14partition_implILS8_4ELb0ES6_15HIP_vector_typeIjLj2EENS0_17counting_iteratorIjlEEPS9_SG_NS0_5tupleIJPjSI_NS0_16reverse_iteratorISI_EEEEENSH_IJSG_SG_SG_EEES9_SI_JZNS1_25segmented_radix_sort_implINS0_14default_configELb0EPK6__halfPSP_PKlPlN2at6native12_GLOBAL__N_18offset_tEEE10hipError_tPvRmT1_PNSt15iterator_traitsIS13_E10value_typeET2_T3_PNS14_IS19_E10value_typeET4_jRbjT5_S1F_jjP12ihipStream_tbEUljE_ZNSN_ISO_Lb0ESR_SS_SU_SV_SZ_EES10_S11_S12_S13_S17_S18_S19_S1C_S1D_jS1E_jS1F_S1F_jjS1H_bEUljE0_EEES10_S11_S12_S19_S1D_S1F_T6_T7_T9_mT8_S1H_bDpT10_ENKUlT_T0_E_clISt17integral_constantIbLb0EES1V_EEDaS1Q_S1R_EUlS1Q_E_NS1_11comp_targetILNS1_3genE0ELNS1_11target_archE4294967295ELNS1_3gpuE0ELNS1_3repE0EEENS1_30default_config_static_selectorELNS0_4arch9wavefront6targetE0EEEvS13_,@function
_ZN7rocprim17ROCPRIM_400000_NS6detail17trampoline_kernelINS0_13select_configILj256ELj13ELNS0_17block_load_methodE3ELS4_3ELS4_3ELNS0_20block_scan_algorithmE0ELj4294967295EEENS1_25partition_config_selectorILNS1_17partition_subalgoE4EjNS0_10empty_typeEbEEZZNS1_14partition_implILS8_4ELb0ES6_15HIP_vector_typeIjLj2EENS0_17counting_iteratorIjlEEPS9_SG_NS0_5tupleIJPjSI_NS0_16reverse_iteratorISI_EEEEENSH_IJSG_SG_SG_EEES9_SI_JZNS1_25segmented_radix_sort_implINS0_14default_configELb0EPK6__halfPSP_PKlPlN2at6native12_GLOBAL__N_18offset_tEEE10hipError_tPvRmT1_PNSt15iterator_traitsIS13_E10value_typeET2_T3_PNS14_IS19_E10value_typeET4_jRbjT5_S1F_jjP12ihipStream_tbEUljE_ZNSN_ISO_Lb0ESR_SS_SU_SV_SZ_EES10_S11_S12_S13_S17_S18_S19_S1C_S1D_jS1E_jS1F_S1F_jjS1H_bEUljE0_EEES10_S11_S12_S19_S1D_S1F_T6_T7_T9_mT8_S1H_bDpT10_ENKUlT_T0_E_clISt17integral_constantIbLb0EES1V_EEDaS1Q_S1R_EUlS1Q_E_NS1_11comp_targetILNS1_3genE0ELNS1_11target_archE4294967295ELNS1_3gpuE0ELNS1_3repE0EEENS1_30default_config_static_selectorELNS0_4arch9wavefront6targetE0EEEvS13_: ; @_ZN7rocprim17ROCPRIM_400000_NS6detail17trampoline_kernelINS0_13select_configILj256ELj13ELNS0_17block_load_methodE3ELS4_3ELS4_3ELNS0_20block_scan_algorithmE0ELj4294967295EEENS1_25partition_config_selectorILNS1_17partition_subalgoE4EjNS0_10empty_typeEbEEZZNS1_14partition_implILS8_4ELb0ES6_15HIP_vector_typeIjLj2EENS0_17counting_iteratorIjlEEPS9_SG_NS0_5tupleIJPjSI_NS0_16reverse_iteratorISI_EEEEENSH_IJSG_SG_SG_EEES9_SI_JZNS1_25segmented_radix_sort_implINS0_14default_configELb0EPK6__halfPSP_PKlPlN2at6native12_GLOBAL__N_18offset_tEEE10hipError_tPvRmT1_PNSt15iterator_traitsIS13_E10value_typeET2_T3_PNS14_IS19_E10value_typeET4_jRbjT5_S1F_jjP12ihipStream_tbEUljE_ZNSN_ISO_Lb0ESR_SS_SU_SV_SZ_EES10_S11_S12_S13_S17_S18_S19_S1C_S1D_jS1E_jS1F_S1F_jjS1H_bEUljE0_EEES10_S11_S12_S19_S1D_S1F_T6_T7_T9_mT8_S1H_bDpT10_ENKUlT_T0_E_clISt17integral_constantIbLb0EES1V_EEDaS1Q_S1R_EUlS1Q_E_NS1_11comp_targetILNS1_3genE0ELNS1_11target_archE4294967295ELNS1_3gpuE0ELNS1_3repE0EEENS1_30default_config_static_selectorELNS0_4arch9wavefront6targetE0EEEvS13_
; %bb.0:
	.section	.rodata,"a",@progbits
	.p2align	6, 0x0
	.amdhsa_kernel _ZN7rocprim17ROCPRIM_400000_NS6detail17trampoline_kernelINS0_13select_configILj256ELj13ELNS0_17block_load_methodE3ELS4_3ELS4_3ELNS0_20block_scan_algorithmE0ELj4294967295EEENS1_25partition_config_selectorILNS1_17partition_subalgoE4EjNS0_10empty_typeEbEEZZNS1_14partition_implILS8_4ELb0ES6_15HIP_vector_typeIjLj2EENS0_17counting_iteratorIjlEEPS9_SG_NS0_5tupleIJPjSI_NS0_16reverse_iteratorISI_EEEEENSH_IJSG_SG_SG_EEES9_SI_JZNS1_25segmented_radix_sort_implINS0_14default_configELb0EPK6__halfPSP_PKlPlN2at6native12_GLOBAL__N_18offset_tEEE10hipError_tPvRmT1_PNSt15iterator_traitsIS13_E10value_typeET2_T3_PNS14_IS19_E10value_typeET4_jRbjT5_S1F_jjP12ihipStream_tbEUljE_ZNSN_ISO_Lb0ESR_SS_SU_SV_SZ_EES10_S11_S12_S13_S17_S18_S19_S1C_S1D_jS1E_jS1F_S1F_jjS1H_bEUljE0_EEES10_S11_S12_S19_S1D_S1F_T6_T7_T9_mT8_S1H_bDpT10_ENKUlT_T0_E_clISt17integral_constantIbLb0EES1V_EEDaS1Q_S1R_EUlS1Q_E_NS1_11comp_targetILNS1_3genE0ELNS1_11target_archE4294967295ELNS1_3gpuE0ELNS1_3repE0EEENS1_30default_config_static_selectorELNS0_4arch9wavefront6targetE0EEEvS13_
		.amdhsa_group_segment_fixed_size 0
		.amdhsa_private_segment_fixed_size 0
		.amdhsa_kernarg_size 176
		.amdhsa_user_sgpr_count 15
		.amdhsa_user_sgpr_dispatch_ptr 0
		.amdhsa_user_sgpr_queue_ptr 0
		.amdhsa_user_sgpr_kernarg_segment_ptr 1
		.amdhsa_user_sgpr_dispatch_id 0
		.amdhsa_user_sgpr_private_segment_size 0
		.amdhsa_wavefront_size32 1
		.amdhsa_uses_dynamic_stack 0
		.amdhsa_enable_private_segment 0
		.amdhsa_system_sgpr_workgroup_id_x 1
		.amdhsa_system_sgpr_workgroup_id_y 0
		.amdhsa_system_sgpr_workgroup_id_z 0
		.amdhsa_system_sgpr_workgroup_info 0
		.amdhsa_system_vgpr_workitem_id 0
		.amdhsa_next_free_vgpr 1
		.amdhsa_next_free_sgpr 1
		.amdhsa_reserve_vcc 0
		.amdhsa_float_round_mode_32 0
		.amdhsa_float_round_mode_16_64 0
		.amdhsa_float_denorm_mode_32 3
		.amdhsa_float_denorm_mode_16_64 3
		.amdhsa_dx10_clamp 1
		.amdhsa_ieee_mode 1
		.amdhsa_fp16_overflow 0
		.amdhsa_workgroup_processor_mode 1
		.amdhsa_memory_ordered 1
		.amdhsa_forward_progress 0
		.amdhsa_shared_vgpr_count 0
		.amdhsa_exception_fp_ieee_invalid_op 0
		.amdhsa_exception_fp_denorm_src 0
		.amdhsa_exception_fp_ieee_div_zero 0
		.amdhsa_exception_fp_ieee_overflow 0
		.amdhsa_exception_fp_ieee_underflow 0
		.amdhsa_exception_fp_ieee_inexact 0
		.amdhsa_exception_int_div_zero 0
	.end_amdhsa_kernel
	.section	.text._ZN7rocprim17ROCPRIM_400000_NS6detail17trampoline_kernelINS0_13select_configILj256ELj13ELNS0_17block_load_methodE3ELS4_3ELS4_3ELNS0_20block_scan_algorithmE0ELj4294967295EEENS1_25partition_config_selectorILNS1_17partition_subalgoE4EjNS0_10empty_typeEbEEZZNS1_14partition_implILS8_4ELb0ES6_15HIP_vector_typeIjLj2EENS0_17counting_iteratorIjlEEPS9_SG_NS0_5tupleIJPjSI_NS0_16reverse_iteratorISI_EEEEENSH_IJSG_SG_SG_EEES9_SI_JZNS1_25segmented_radix_sort_implINS0_14default_configELb0EPK6__halfPSP_PKlPlN2at6native12_GLOBAL__N_18offset_tEEE10hipError_tPvRmT1_PNSt15iterator_traitsIS13_E10value_typeET2_T3_PNS14_IS19_E10value_typeET4_jRbjT5_S1F_jjP12ihipStream_tbEUljE_ZNSN_ISO_Lb0ESR_SS_SU_SV_SZ_EES10_S11_S12_S13_S17_S18_S19_S1C_S1D_jS1E_jS1F_S1F_jjS1H_bEUljE0_EEES10_S11_S12_S19_S1D_S1F_T6_T7_T9_mT8_S1H_bDpT10_ENKUlT_T0_E_clISt17integral_constantIbLb0EES1V_EEDaS1Q_S1R_EUlS1Q_E_NS1_11comp_targetILNS1_3genE0ELNS1_11target_archE4294967295ELNS1_3gpuE0ELNS1_3repE0EEENS1_30default_config_static_selectorELNS0_4arch9wavefront6targetE0EEEvS13_,"axG",@progbits,_ZN7rocprim17ROCPRIM_400000_NS6detail17trampoline_kernelINS0_13select_configILj256ELj13ELNS0_17block_load_methodE3ELS4_3ELS4_3ELNS0_20block_scan_algorithmE0ELj4294967295EEENS1_25partition_config_selectorILNS1_17partition_subalgoE4EjNS0_10empty_typeEbEEZZNS1_14partition_implILS8_4ELb0ES6_15HIP_vector_typeIjLj2EENS0_17counting_iteratorIjlEEPS9_SG_NS0_5tupleIJPjSI_NS0_16reverse_iteratorISI_EEEEENSH_IJSG_SG_SG_EEES9_SI_JZNS1_25segmented_radix_sort_implINS0_14default_configELb0EPK6__halfPSP_PKlPlN2at6native12_GLOBAL__N_18offset_tEEE10hipError_tPvRmT1_PNSt15iterator_traitsIS13_E10value_typeET2_T3_PNS14_IS19_E10value_typeET4_jRbjT5_S1F_jjP12ihipStream_tbEUljE_ZNSN_ISO_Lb0ESR_SS_SU_SV_SZ_EES10_S11_S12_S13_S17_S18_S19_S1C_S1D_jS1E_jS1F_S1F_jjS1H_bEUljE0_EEES10_S11_S12_S19_S1D_S1F_T6_T7_T9_mT8_S1H_bDpT10_ENKUlT_T0_E_clISt17integral_constantIbLb0EES1V_EEDaS1Q_S1R_EUlS1Q_E_NS1_11comp_targetILNS1_3genE0ELNS1_11target_archE4294967295ELNS1_3gpuE0ELNS1_3repE0EEENS1_30default_config_static_selectorELNS0_4arch9wavefront6targetE0EEEvS13_,comdat
.Lfunc_end1778:
	.size	_ZN7rocprim17ROCPRIM_400000_NS6detail17trampoline_kernelINS0_13select_configILj256ELj13ELNS0_17block_load_methodE3ELS4_3ELS4_3ELNS0_20block_scan_algorithmE0ELj4294967295EEENS1_25partition_config_selectorILNS1_17partition_subalgoE4EjNS0_10empty_typeEbEEZZNS1_14partition_implILS8_4ELb0ES6_15HIP_vector_typeIjLj2EENS0_17counting_iteratorIjlEEPS9_SG_NS0_5tupleIJPjSI_NS0_16reverse_iteratorISI_EEEEENSH_IJSG_SG_SG_EEES9_SI_JZNS1_25segmented_radix_sort_implINS0_14default_configELb0EPK6__halfPSP_PKlPlN2at6native12_GLOBAL__N_18offset_tEEE10hipError_tPvRmT1_PNSt15iterator_traitsIS13_E10value_typeET2_T3_PNS14_IS19_E10value_typeET4_jRbjT5_S1F_jjP12ihipStream_tbEUljE_ZNSN_ISO_Lb0ESR_SS_SU_SV_SZ_EES10_S11_S12_S13_S17_S18_S19_S1C_S1D_jS1E_jS1F_S1F_jjS1H_bEUljE0_EEES10_S11_S12_S19_S1D_S1F_T6_T7_T9_mT8_S1H_bDpT10_ENKUlT_T0_E_clISt17integral_constantIbLb0EES1V_EEDaS1Q_S1R_EUlS1Q_E_NS1_11comp_targetILNS1_3genE0ELNS1_11target_archE4294967295ELNS1_3gpuE0ELNS1_3repE0EEENS1_30default_config_static_selectorELNS0_4arch9wavefront6targetE0EEEvS13_, .Lfunc_end1778-_ZN7rocprim17ROCPRIM_400000_NS6detail17trampoline_kernelINS0_13select_configILj256ELj13ELNS0_17block_load_methodE3ELS4_3ELS4_3ELNS0_20block_scan_algorithmE0ELj4294967295EEENS1_25partition_config_selectorILNS1_17partition_subalgoE4EjNS0_10empty_typeEbEEZZNS1_14partition_implILS8_4ELb0ES6_15HIP_vector_typeIjLj2EENS0_17counting_iteratorIjlEEPS9_SG_NS0_5tupleIJPjSI_NS0_16reverse_iteratorISI_EEEEENSH_IJSG_SG_SG_EEES9_SI_JZNS1_25segmented_radix_sort_implINS0_14default_configELb0EPK6__halfPSP_PKlPlN2at6native12_GLOBAL__N_18offset_tEEE10hipError_tPvRmT1_PNSt15iterator_traitsIS13_E10value_typeET2_T3_PNS14_IS19_E10value_typeET4_jRbjT5_S1F_jjP12ihipStream_tbEUljE_ZNSN_ISO_Lb0ESR_SS_SU_SV_SZ_EES10_S11_S12_S13_S17_S18_S19_S1C_S1D_jS1E_jS1F_S1F_jjS1H_bEUljE0_EEES10_S11_S12_S19_S1D_S1F_T6_T7_T9_mT8_S1H_bDpT10_ENKUlT_T0_E_clISt17integral_constantIbLb0EES1V_EEDaS1Q_S1R_EUlS1Q_E_NS1_11comp_targetILNS1_3genE0ELNS1_11target_archE4294967295ELNS1_3gpuE0ELNS1_3repE0EEENS1_30default_config_static_selectorELNS0_4arch9wavefront6targetE0EEEvS13_
                                        ; -- End function
	.section	.AMDGPU.csdata,"",@progbits
; Kernel info:
; codeLenInByte = 0
; NumSgprs: 0
; NumVgprs: 0
; ScratchSize: 0
; MemoryBound: 0
; FloatMode: 240
; IeeeMode: 1
; LDSByteSize: 0 bytes/workgroup (compile time only)
; SGPRBlocks: 0
; VGPRBlocks: 0
; NumSGPRsForWavesPerEU: 1
; NumVGPRsForWavesPerEU: 1
; Occupancy: 16
; WaveLimiterHint : 0
; COMPUTE_PGM_RSRC2:SCRATCH_EN: 0
; COMPUTE_PGM_RSRC2:USER_SGPR: 15
; COMPUTE_PGM_RSRC2:TRAP_HANDLER: 0
; COMPUTE_PGM_RSRC2:TGID_X_EN: 1
; COMPUTE_PGM_RSRC2:TGID_Y_EN: 0
; COMPUTE_PGM_RSRC2:TGID_Z_EN: 0
; COMPUTE_PGM_RSRC2:TIDIG_COMP_CNT: 0
	.section	.text._ZN7rocprim17ROCPRIM_400000_NS6detail17trampoline_kernelINS0_13select_configILj256ELj13ELNS0_17block_load_methodE3ELS4_3ELS4_3ELNS0_20block_scan_algorithmE0ELj4294967295EEENS1_25partition_config_selectorILNS1_17partition_subalgoE4EjNS0_10empty_typeEbEEZZNS1_14partition_implILS8_4ELb0ES6_15HIP_vector_typeIjLj2EENS0_17counting_iteratorIjlEEPS9_SG_NS0_5tupleIJPjSI_NS0_16reverse_iteratorISI_EEEEENSH_IJSG_SG_SG_EEES9_SI_JZNS1_25segmented_radix_sort_implINS0_14default_configELb0EPK6__halfPSP_PKlPlN2at6native12_GLOBAL__N_18offset_tEEE10hipError_tPvRmT1_PNSt15iterator_traitsIS13_E10value_typeET2_T3_PNS14_IS19_E10value_typeET4_jRbjT5_S1F_jjP12ihipStream_tbEUljE_ZNSN_ISO_Lb0ESR_SS_SU_SV_SZ_EES10_S11_S12_S13_S17_S18_S19_S1C_S1D_jS1E_jS1F_S1F_jjS1H_bEUljE0_EEES10_S11_S12_S19_S1D_S1F_T6_T7_T9_mT8_S1H_bDpT10_ENKUlT_T0_E_clISt17integral_constantIbLb0EES1V_EEDaS1Q_S1R_EUlS1Q_E_NS1_11comp_targetILNS1_3genE5ELNS1_11target_archE942ELNS1_3gpuE9ELNS1_3repE0EEENS1_30default_config_static_selectorELNS0_4arch9wavefront6targetE0EEEvS13_,"axG",@progbits,_ZN7rocprim17ROCPRIM_400000_NS6detail17trampoline_kernelINS0_13select_configILj256ELj13ELNS0_17block_load_methodE3ELS4_3ELS4_3ELNS0_20block_scan_algorithmE0ELj4294967295EEENS1_25partition_config_selectorILNS1_17partition_subalgoE4EjNS0_10empty_typeEbEEZZNS1_14partition_implILS8_4ELb0ES6_15HIP_vector_typeIjLj2EENS0_17counting_iteratorIjlEEPS9_SG_NS0_5tupleIJPjSI_NS0_16reverse_iteratorISI_EEEEENSH_IJSG_SG_SG_EEES9_SI_JZNS1_25segmented_radix_sort_implINS0_14default_configELb0EPK6__halfPSP_PKlPlN2at6native12_GLOBAL__N_18offset_tEEE10hipError_tPvRmT1_PNSt15iterator_traitsIS13_E10value_typeET2_T3_PNS14_IS19_E10value_typeET4_jRbjT5_S1F_jjP12ihipStream_tbEUljE_ZNSN_ISO_Lb0ESR_SS_SU_SV_SZ_EES10_S11_S12_S13_S17_S18_S19_S1C_S1D_jS1E_jS1F_S1F_jjS1H_bEUljE0_EEES10_S11_S12_S19_S1D_S1F_T6_T7_T9_mT8_S1H_bDpT10_ENKUlT_T0_E_clISt17integral_constantIbLb0EES1V_EEDaS1Q_S1R_EUlS1Q_E_NS1_11comp_targetILNS1_3genE5ELNS1_11target_archE942ELNS1_3gpuE9ELNS1_3repE0EEENS1_30default_config_static_selectorELNS0_4arch9wavefront6targetE0EEEvS13_,comdat
	.globl	_ZN7rocprim17ROCPRIM_400000_NS6detail17trampoline_kernelINS0_13select_configILj256ELj13ELNS0_17block_load_methodE3ELS4_3ELS4_3ELNS0_20block_scan_algorithmE0ELj4294967295EEENS1_25partition_config_selectorILNS1_17partition_subalgoE4EjNS0_10empty_typeEbEEZZNS1_14partition_implILS8_4ELb0ES6_15HIP_vector_typeIjLj2EENS0_17counting_iteratorIjlEEPS9_SG_NS0_5tupleIJPjSI_NS0_16reverse_iteratorISI_EEEEENSH_IJSG_SG_SG_EEES9_SI_JZNS1_25segmented_radix_sort_implINS0_14default_configELb0EPK6__halfPSP_PKlPlN2at6native12_GLOBAL__N_18offset_tEEE10hipError_tPvRmT1_PNSt15iterator_traitsIS13_E10value_typeET2_T3_PNS14_IS19_E10value_typeET4_jRbjT5_S1F_jjP12ihipStream_tbEUljE_ZNSN_ISO_Lb0ESR_SS_SU_SV_SZ_EES10_S11_S12_S13_S17_S18_S19_S1C_S1D_jS1E_jS1F_S1F_jjS1H_bEUljE0_EEES10_S11_S12_S19_S1D_S1F_T6_T7_T9_mT8_S1H_bDpT10_ENKUlT_T0_E_clISt17integral_constantIbLb0EES1V_EEDaS1Q_S1R_EUlS1Q_E_NS1_11comp_targetILNS1_3genE5ELNS1_11target_archE942ELNS1_3gpuE9ELNS1_3repE0EEENS1_30default_config_static_selectorELNS0_4arch9wavefront6targetE0EEEvS13_ ; -- Begin function _ZN7rocprim17ROCPRIM_400000_NS6detail17trampoline_kernelINS0_13select_configILj256ELj13ELNS0_17block_load_methodE3ELS4_3ELS4_3ELNS0_20block_scan_algorithmE0ELj4294967295EEENS1_25partition_config_selectorILNS1_17partition_subalgoE4EjNS0_10empty_typeEbEEZZNS1_14partition_implILS8_4ELb0ES6_15HIP_vector_typeIjLj2EENS0_17counting_iteratorIjlEEPS9_SG_NS0_5tupleIJPjSI_NS0_16reverse_iteratorISI_EEEEENSH_IJSG_SG_SG_EEES9_SI_JZNS1_25segmented_radix_sort_implINS0_14default_configELb0EPK6__halfPSP_PKlPlN2at6native12_GLOBAL__N_18offset_tEEE10hipError_tPvRmT1_PNSt15iterator_traitsIS13_E10value_typeET2_T3_PNS14_IS19_E10value_typeET4_jRbjT5_S1F_jjP12ihipStream_tbEUljE_ZNSN_ISO_Lb0ESR_SS_SU_SV_SZ_EES10_S11_S12_S13_S17_S18_S19_S1C_S1D_jS1E_jS1F_S1F_jjS1H_bEUljE0_EEES10_S11_S12_S19_S1D_S1F_T6_T7_T9_mT8_S1H_bDpT10_ENKUlT_T0_E_clISt17integral_constantIbLb0EES1V_EEDaS1Q_S1R_EUlS1Q_E_NS1_11comp_targetILNS1_3genE5ELNS1_11target_archE942ELNS1_3gpuE9ELNS1_3repE0EEENS1_30default_config_static_selectorELNS0_4arch9wavefront6targetE0EEEvS13_
	.p2align	8
	.type	_ZN7rocprim17ROCPRIM_400000_NS6detail17trampoline_kernelINS0_13select_configILj256ELj13ELNS0_17block_load_methodE3ELS4_3ELS4_3ELNS0_20block_scan_algorithmE0ELj4294967295EEENS1_25partition_config_selectorILNS1_17partition_subalgoE4EjNS0_10empty_typeEbEEZZNS1_14partition_implILS8_4ELb0ES6_15HIP_vector_typeIjLj2EENS0_17counting_iteratorIjlEEPS9_SG_NS0_5tupleIJPjSI_NS0_16reverse_iteratorISI_EEEEENSH_IJSG_SG_SG_EEES9_SI_JZNS1_25segmented_radix_sort_implINS0_14default_configELb0EPK6__halfPSP_PKlPlN2at6native12_GLOBAL__N_18offset_tEEE10hipError_tPvRmT1_PNSt15iterator_traitsIS13_E10value_typeET2_T3_PNS14_IS19_E10value_typeET4_jRbjT5_S1F_jjP12ihipStream_tbEUljE_ZNSN_ISO_Lb0ESR_SS_SU_SV_SZ_EES10_S11_S12_S13_S17_S18_S19_S1C_S1D_jS1E_jS1F_S1F_jjS1H_bEUljE0_EEES10_S11_S12_S19_S1D_S1F_T6_T7_T9_mT8_S1H_bDpT10_ENKUlT_T0_E_clISt17integral_constantIbLb0EES1V_EEDaS1Q_S1R_EUlS1Q_E_NS1_11comp_targetILNS1_3genE5ELNS1_11target_archE942ELNS1_3gpuE9ELNS1_3repE0EEENS1_30default_config_static_selectorELNS0_4arch9wavefront6targetE0EEEvS13_,@function
_ZN7rocprim17ROCPRIM_400000_NS6detail17trampoline_kernelINS0_13select_configILj256ELj13ELNS0_17block_load_methodE3ELS4_3ELS4_3ELNS0_20block_scan_algorithmE0ELj4294967295EEENS1_25partition_config_selectorILNS1_17partition_subalgoE4EjNS0_10empty_typeEbEEZZNS1_14partition_implILS8_4ELb0ES6_15HIP_vector_typeIjLj2EENS0_17counting_iteratorIjlEEPS9_SG_NS0_5tupleIJPjSI_NS0_16reverse_iteratorISI_EEEEENSH_IJSG_SG_SG_EEES9_SI_JZNS1_25segmented_radix_sort_implINS0_14default_configELb0EPK6__halfPSP_PKlPlN2at6native12_GLOBAL__N_18offset_tEEE10hipError_tPvRmT1_PNSt15iterator_traitsIS13_E10value_typeET2_T3_PNS14_IS19_E10value_typeET4_jRbjT5_S1F_jjP12ihipStream_tbEUljE_ZNSN_ISO_Lb0ESR_SS_SU_SV_SZ_EES10_S11_S12_S13_S17_S18_S19_S1C_S1D_jS1E_jS1F_S1F_jjS1H_bEUljE0_EEES10_S11_S12_S19_S1D_S1F_T6_T7_T9_mT8_S1H_bDpT10_ENKUlT_T0_E_clISt17integral_constantIbLb0EES1V_EEDaS1Q_S1R_EUlS1Q_E_NS1_11comp_targetILNS1_3genE5ELNS1_11target_archE942ELNS1_3gpuE9ELNS1_3repE0EEENS1_30default_config_static_selectorELNS0_4arch9wavefront6targetE0EEEvS13_: ; @_ZN7rocprim17ROCPRIM_400000_NS6detail17trampoline_kernelINS0_13select_configILj256ELj13ELNS0_17block_load_methodE3ELS4_3ELS4_3ELNS0_20block_scan_algorithmE0ELj4294967295EEENS1_25partition_config_selectorILNS1_17partition_subalgoE4EjNS0_10empty_typeEbEEZZNS1_14partition_implILS8_4ELb0ES6_15HIP_vector_typeIjLj2EENS0_17counting_iteratorIjlEEPS9_SG_NS0_5tupleIJPjSI_NS0_16reverse_iteratorISI_EEEEENSH_IJSG_SG_SG_EEES9_SI_JZNS1_25segmented_radix_sort_implINS0_14default_configELb0EPK6__halfPSP_PKlPlN2at6native12_GLOBAL__N_18offset_tEEE10hipError_tPvRmT1_PNSt15iterator_traitsIS13_E10value_typeET2_T3_PNS14_IS19_E10value_typeET4_jRbjT5_S1F_jjP12ihipStream_tbEUljE_ZNSN_ISO_Lb0ESR_SS_SU_SV_SZ_EES10_S11_S12_S13_S17_S18_S19_S1C_S1D_jS1E_jS1F_S1F_jjS1H_bEUljE0_EEES10_S11_S12_S19_S1D_S1F_T6_T7_T9_mT8_S1H_bDpT10_ENKUlT_T0_E_clISt17integral_constantIbLb0EES1V_EEDaS1Q_S1R_EUlS1Q_E_NS1_11comp_targetILNS1_3genE5ELNS1_11target_archE942ELNS1_3gpuE9ELNS1_3repE0EEENS1_30default_config_static_selectorELNS0_4arch9wavefront6targetE0EEEvS13_
; %bb.0:
	.section	.rodata,"a",@progbits
	.p2align	6, 0x0
	.amdhsa_kernel _ZN7rocprim17ROCPRIM_400000_NS6detail17trampoline_kernelINS0_13select_configILj256ELj13ELNS0_17block_load_methodE3ELS4_3ELS4_3ELNS0_20block_scan_algorithmE0ELj4294967295EEENS1_25partition_config_selectorILNS1_17partition_subalgoE4EjNS0_10empty_typeEbEEZZNS1_14partition_implILS8_4ELb0ES6_15HIP_vector_typeIjLj2EENS0_17counting_iteratorIjlEEPS9_SG_NS0_5tupleIJPjSI_NS0_16reverse_iteratorISI_EEEEENSH_IJSG_SG_SG_EEES9_SI_JZNS1_25segmented_radix_sort_implINS0_14default_configELb0EPK6__halfPSP_PKlPlN2at6native12_GLOBAL__N_18offset_tEEE10hipError_tPvRmT1_PNSt15iterator_traitsIS13_E10value_typeET2_T3_PNS14_IS19_E10value_typeET4_jRbjT5_S1F_jjP12ihipStream_tbEUljE_ZNSN_ISO_Lb0ESR_SS_SU_SV_SZ_EES10_S11_S12_S13_S17_S18_S19_S1C_S1D_jS1E_jS1F_S1F_jjS1H_bEUljE0_EEES10_S11_S12_S19_S1D_S1F_T6_T7_T9_mT8_S1H_bDpT10_ENKUlT_T0_E_clISt17integral_constantIbLb0EES1V_EEDaS1Q_S1R_EUlS1Q_E_NS1_11comp_targetILNS1_3genE5ELNS1_11target_archE942ELNS1_3gpuE9ELNS1_3repE0EEENS1_30default_config_static_selectorELNS0_4arch9wavefront6targetE0EEEvS13_
		.amdhsa_group_segment_fixed_size 0
		.amdhsa_private_segment_fixed_size 0
		.amdhsa_kernarg_size 176
		.amdhsa_user_sgpr_count 15
		.amdhsa_user_sgpr_dispatch_ptr 0
		.amdhsa_user_sgpr_queue_ptr 0
		.amdhsa_user_sgpr_kernarg_segment_ptr 1
		.amdhsa_user_sgpr_dispatch_id 0
		.amdhsa_user_sgpr_private_segment_size 0
		.amdhsa_wavefront_size32 1
		.amdhsa_uses_dynamic_stack 0
		.amdhsa_enable_private_segment 0
		.amdhsa_system_sgpr_workgroup_id_x 1
		.amdhsa_system_sgpr_workgroup_id_y 0
		.amdhsa_system_sgpr_workgroup_id_z 0
		.amdhsa_system_sgpr_workgroup_info 0
		.amdhsa_system_vgpr_workitem_id 0
		.amdhsa_next_free_vgpr 1
		.amdhsa_next_free_sgpr 1
		.amdhsa_reserve_vcc 0
		.amdhsa_float_round_mode_32 0
		.amdhsa_float_round_mode_16_64 0
		.amdhsa_float_denorm_mode_32 3
		.amdhsa_float_denorm_mode_16_64 3
		.amdhsa_dx10_clamp 1
		.amdhsa_ieee_mode 1
		.amdhsa_fp16_overflow 0
		.amdhsa_workgroup_processor_mode 1
		.amdhsa_memory_ordered 1
		.amdhsa_forward_progress 0
		.amdhsa_shared_vgpr_count 0
		.amdhsa_exception_fp_ieee_invalid_op 0
		.amdhsa_exception_fp_denorm_src 0
		.amdhsa_exception_fp_ieee_div_zero 0
		.amdhsa_exception_fp_ieee_overflow 0
		.amdhsa_exception_fp_ieee_underflow 0
		.amdhsa_exception_fp_ieee_inexact 0
		.amdhsa_exception_int_div_zero 0
	.end_amdhsa_kernel
	.section	.text._ZN7rocprim17ROCPRIM_400000_NS6detail17trampoline_kernelINS0_13select_configILj256ELj13ELNS0_17block_load_methodE3ELS4_3ELS4_3ELNS0_20block_scan_algorithmE0ELj4294967295EEENS1_25partition_config_selectorILNS1_17partition_subalgoE4EjNS0_10empty_typeEbEEZZNS1_14partition_implILS8_4ELb0ES6_15HIP_vector_typeIjLj2EENS0_17counting_iteratorIjlEEPS9_SG_NS0_5tupleIJPjSI_NS0_16reverse_iteratorISI_EEEEENSH_IJSG_SG_SG_EEES9_SI_JZNS1_25segmented_radix_sort_implINS0_14default_configELb0EPK6__halfPSP_PKlPlN2at6native12_GLOBAL__N_18offset_tEEE10hipError_tPvRmT1_PNSt15iterator_traitsIS13_E10value_typeET2_T3_PNS14_IS19_E10value_typeET4_jRbjT5_S1F_jjP12ihipStream_tbEUljE_ZNSN_ISO_Lb0ESR_SS_SU_SV_SZ_EES10_S11_S12_S13_S17_S18_S19_S1C_S1D_jS1E_jS1F_S1F_jjS1H_bEUljE0_EEES10_S11_S12_S19_S1D_S1F_T6_T7_T9_mT8_S1H_bDpT10_ENKUlT_T0_E_clISt17integral_constantIbLb0EES1V_EEDaS1Q_S1R_EUlS1Q_E_NS1_11comp_targetILNS1_3genE5ELNS1_11target_archE942ELNS1_3gpuE9ELNS1_3repE0EEENS1_30default_config_static_selectorELNS0_4arch9wavefront6targetE0EEEvS13_,"axG",@progbits,_ZN7rocprim17ROCPRIM_400000_NS6detail17trampoline_kernelINS0_13select_configILj256ELj13ELNS0_17block_load_methodE3ELS4_3ELS4_3ELNS0_20block_scan_algorithmE0ELj4294967295EEENS1_25partition_config_selectorILNS1_17partition_subalgoE4EjNS0_10empty_typeEbEEZZNS1_14partition_implILS8_4ELb0ES6_15HIP_vector_typeIjLj2EENS0_17counting_iteratorIjlEEPS9_SG_NS0_5tupleIJPjSI_NS0_16reverse_iteratorISI_EEEEENSH_IJSG_SG_SG_EEES9_SI_JZNS1_25segmented_radix_sort_implINS0_14default_configELb0EPK6__halfPSP_PKlPlN2at6native12_GLOBAL__N_18offset_tEEE10hipError_tPvRmT1_PNSt15iterator_traitsIS13_E10value_typeET2_T3_PNS14_IS19_E10value_typeET4_jRbjT5_S1F_jjP12ihipStream_tbEUljE_ZNSN_ISO_Lb0ESR_SS_SU_SV_SZ_EES10_S11_S12_S13_S17_S18_S19_S1C_S1D_jS1E_jS1F_S1F_jjS1H_bEUljE0_EEES10_S11_S12_S19_S1D_S1F_T6_T7_T9_mT8_S1H_bDpT10_ENKUlT_T0_E_clISt17integral_constantIbLb0EES1V_EEDaS1Q_S1R_EUlS1Q_E_NS1_11comp_targetILNS1_3genE5ELNS1_11target_archE942ELNS1_3gpuE9ELNS1_3repE0EEENS1_30default_config_static_selectorELNS0_4arch9wavefront6targetE0EEEvS13_,comdat
.Lfunc_end1779:
	.size	_ZN7rocprim17ROCPRIM_400000_NS6detail17trampoline_kernelINS0_13select_configILj256ELj13ELNS0_17block_load_methodE3ELS4_3ELS4_3ELNS0_20block_scan_algorithmE0ELj4294967295EEENS1_25partition_config_selectorILNS1_17partition_subalgoE4EjNS0_10empty_typeEbEEZZNS1_14partition_implILS8_4ELb0ES6_15HIP_vector_typeIjLj2EENS0_17counting_iteratorIjlEEPS9_SG_NS0_5tupleIJPjSI_NS0_16reverse_iteratorISI_EEEEENSH_IJSG_SG_SG_EEES9_SI_JZNS1_25segmented_radix_sort_implINS0_14default_configELb0EPK6__halfPSP_PKlPlN2at6native12_GLOBAL__N_18offset_tEEE10hipError_tPvRmT1_PNSt15iterator_traitsIS13_E10value_typeET2_T3_PNS14_IS19_E10value_typeET4_jRbjT5_S1F_jjP12ihipStream_tbEUljE_ZNSN_ISO_Lb0ESR_SS_SU_SV_SZ_EES10_S11_S12_S13_S17_S18_S19_S1C_S1D_jS1E_jS1F_S1F_jjS1H_bEUljE0_EEES10_S11_S12_S19_S1D_S1F_T6_T7_T9_mT8_S1H_bDpT10_ENKUlT_T0_E_clISt17integral_constantIbLb0EES1V_EEDaS1Q_S1R_EUlS1Q_E_NS1_11comp_targetILNS1_3genE5ELNS1_11target_archE942ELNS1_3gpuE9ELNS1_3repE0EEENS1_30default_config_static_selectorELNS0_4arch9wavefront6targetE0EEEvS13_, .Lfunc_end1779-_ZN7rocprim17ROCPRIM_400000_NS6detail17trampoline_kernelINS0_13select_configILj256ELj13ELNS0_17block_load_methodE3ELS4_3ELS4_3ELNS0_20block_scan_algorithmE0ELj4294967295EEENS1_25partition_config_selectorILNS1_17partition_subalgoE4EjNS0_10empty_typeEbEEZZNS1_14partition_implILS8_4ELb0ES6_15HIP_vector_typeIjLj2EENS0_17counting_iteratorIjlEEPS9_SG_NS0_5tupleIJPjSI_NS0_16reverse_iteratorISI_EEEEENSH_IJSG_SG_SG_EEES9_SI_JZNS1_25segmented_radix_sort_implINS0_14default_configELb0EPK6__halfPSP_PKlPlN2at6native12_GLOBAL__N_18offset_tEEE10hipError_tPvRmT1_PNSt15iterator_traitsIS13_E10value_typeET2_T3_PNS14_IS19_E10value_typeET4_jRbjT5_S1F_jjP12ihipStream_tbEUljE_ZNSN_ISO_Lb0ESR_SS_SU_SV_SZ_EES10_S11_S12_S13_S17_S18_S19_S1C_S1D_jS1E_jS1F_S1F_jjS1H_bEUljE0_EEES10_S11_S12_S19_S1D_S1F_T6_T7_T9_mT8_S1H_bDpT10_ENKUlT_T0_E_clISt17integral_constantIbLb0EES1V_EEDaS1Q_S1R_EUlS1Q_E_NS1_11comp_targetILNS1_3genE5ELNS1_11target_archE942ELNS1_3gpuE9ELNS1_3repE0EEENS1_30default_config_static_selectorELNS0_4arch9wavefront6targetE0EEEvS13_
                                        ; -- End function
	.section	.AMDGPU.csdata,"",@progbits
; Kernel info:
; codeLenInByte = 0
; NumSgprs: 0
; NumVgprs: 0
; ScratchSize: 0
; MemoryBound: 0
; FloatMode: 240
; IeeeMode: 1
; LDSByteSize: 0 bytes/workgroup (compile time only)
; SGPRBlocks: 0
; VGPRBlocks: 0
; NumSGPRsForWavesPerEU: 1
; NumVGPRsForWavesPerEU: 1
; Occupancy: 16
; WaveLimiterHint : 0
; COMPUTE_PGM_RSRC2:SCRATCH_EN: 0
; COMPUTE_PGM_RSRC2:USER_SGPR: 15
; COMPUTE_PGM_RSRC2:TRAP_HANDLER: 0
; COMPUTE_PGM_RSRC2:TGID_X_EN: 1
; COMPUTE_PGM_RSRC2:TGID_Y_EN: 0
; COMPUTE_PGM_RSRC2:TGID_Z_EN: 0
; COMPUTE_PGM_RSRC2:TIDIG_COMP_CNT: 0
	.section	.text._ZN7rocprim17ROCPRIM_400000_NS6detail17trampoline_kernelINS0_13select_configILj256ELj13ELNS0_17block_load_methodE3ELS4_3ELS4_3ELNS0_20block_scan_algorithmE0ELj4294967295EEENS1_25partition_config_selectorILNS1_17partition_subalgoE4EjNS0_10empty_typeEbEEZZNS1_14partition_implILS8_4ELb0ES6_15HIP_vector_typeIjLj2EENS0_17counting_iteratorIjlEEPS9_SG_NS0_5tupleIJPjSI_NS0_16reverse_iteratorISI_EEEEENSH_IJSG_SG_SG_EEES9_SI_JZNS1_25segmented_radix_sort_implINS0_14default_configELb0EPK6__halfPSP_PKlPlN2at6native12_GLOBAL__N_18offset_tEEE10hipError_tPvRmT1_PNSt15iterator_traitsIS13_E10value_typeET2_T3_PNS14_IS19_E10value_typeET4_jRbjT5_S1F_jjP12ihipStream_tbEUljE_ZNSN_ISO_Lb0ESR_SS_SU_SV_SZ_EES10_S11_S12_S13_S17_S18_S19_S1C_S1D_jS1E_jS1F_S1F_jjS1H_bEUljE0_EEES10_S11_S12_S19_S1D_S1F_T6_T7_T9_mT8_S1H_bDpT10_ENKUlT_T0_E_clISt17integral_constantIbLb0EES1V_EEDaS1Q_S1R_EUlS1Q_E_NS1_11comp_targetILNS1_3genE4ELNS1_11target_archE910ELNS1_3gpuE8ELNS1_3repE0EEENS1_30default_config_static_selectorELNS0_4arch9wavefront6targetE0EEEvS13_,"axG",@progbits,_ZN7rocprim17ROCPRIM_400000_NS6detail17trampoline_kernelINS0_13select_configILj256ELj13ELNS0_17block_load_methodE3ELS4_3ELS4_3ELNS0_20block_scan_algorithmE0ELj4294967295EEENS1_25partition_config_selectorILNS1_17partition_subalgoE4EjNS0_10empty_typeEbEEZZNS1_14partition_implILS8_4ELb0ES6_15HIP_vector_typeIjLj2EENS0_17counting_iteratorIjlEEPS9_SG_NS0_5tupleIJPjSI_NS0_16reverse_iteratorISI_EEEEENSH_IJSG_SG_SG_EEES9_SI_JZNS1_25segmented_radix_sort_implINS0_14default_configELb0EPK6__halfPSP_PKlPlN2at6native12_GLOBAL__N_18offset_tEEE10hipError_tPvRmT1_PNSt15iterator_traitsIS13_E10value_typeET2_T3_PNS14_IS19_E10value_typeET4_jRbjT5_S1F_jjP12ihipStream_tbEUljE_ZNSN_ISO_Lb0ESR_SS_SU_SV_SZ_EES10_S11_S12_S13_S17_S18_S19_S1C_S1D_jS1E_jS1F_S1F_jjS1H_bEUljE0_EEES10_S11_S12_S19_S1D_S1F_T6_T7_T9_mT8_S1H_bDpT10_ENKUlT_T0_E_clISt17integral_constantIbLb0EES1V_EEDaS1Q_S1R_EUlS1Q_E_NS1_11comp_targetILNS1_3genE4ELNS1_11target_archE910ELNS1_3gpuE8ELNS1_3repE0EEENS1_30default_config_static_selectorELNS0_4arch9wavefront6targetE0EEEvS13_,comdat
	.globl	_ZN7rocprim17ROCPRIM_400000_NS6detail17trampoline_kernelINS0_13select_configILj256ELj13ELNS0_17block_load_methodE3ELS4_3ELS4_3ELNS0_20block_scan_algorithmE0ELj4294967295EEENS1_25partition_config_selectorILNS1_17partition_subalgoE4EjNS0_10empty_typeEbEEZZNS1_14partition_implILS8_4ELb0ES6_15HIP_vector_typeIjLj2EENS0_17counting_iteratorIjlEEPS9_SG_NS0_5tupleIJPjSI_NS0_16reverse_iteratorISI_EEEEENSH_IJSG_SG_SG_EEES9_SI_JZNS1_25segmented_radix_sort_implINS0_14default_configELb0EPK6__halfPSP_PKlPlN2at6native12_GLOBAL__N_18offset_tEEE10hipError_tPvRmT1_PNSt15iterator_traitsIS13_E10value_typeET2_T3_PNS14_IS19_E10value_typeET4_jRbjT5_S1F_jjP12ihipStream_tbEUljE_ZNSN_ISO_Lb0ESR_SS_SU_SV_SZ_EES10_S11_S12_S13_S17_S18_S19_S1C_S1D_jS1E_jS1F_S1F_jjS1H_bEUljE0_EEES10_S11_S12_S19_S1D_S1F_T6_T7_T9_mT8_S1H_bDpT10_ENKUlT_T0_E_clISt17integral_constantIbLb0EES1V_EEDaS1Q_S1R_EUlS1Q_E_NS1_11comp_targetILNS1_3genE4ELNS1_11target_archE910ELNS1_3gpuE8ELNS1_3repE0EEENS1_30default_config_static_selectorELNS0_4arch9wavefront6targetE0EEEvS13_ ; -- Begin function _ZN7rocprim17ROCPRIM_400000_NS6detail17trampoline_kernelINS0_13select_configILj256ELj13ELNS0_17block_load_methodE3ELS4_3ELS4_3ELNS0_20block_scan_algorithmE0ELj4294967295EEENS1_25partition_config_selectorILNS1_17partition_subalgoE4EjNS0_10empty_typeEbEEZZNS1_14partition_implILS8_4ELb0ES6_15HIP_vector_typeIjLj2EENS0_17counting_iteratorIjlEEPS9_SG_NS0_5tupleIJPjSI_NS0_16reverse_iteratorISI_EEEEENSH_IJSG_SG_SG_EEES9_SI_JZNS1_25segmented_radix_sort_implINS0_14default_configELb0EPK6__halfPSP_PKlPlN2at6native12_GLOBAL__N_18offset_tEEE10hipError_tPvRmT1_PNSt15iterator_traitsIS13_E10value_typeET2_T3_PNS14_IS19_E10value_typeET4_jRbjT5_S1F_jjP12ihipStream_tbEUljE_ZNSN_ISO_Lb0ESR_SS_SU_SV_SZ_EES10_S11_S12_S13_S17_S18_S19_S1C_S1D_jS1E_jS1F_S1F_jjS1H_bEUljE0_EEES10_S11_S12_S19_S1D_S1F_T6_T7_T9_mT8_S1H_bDpT10_ENKUlT_T0_E_clISt17integral_constantIbLb0EES1V_EEDaS1Q_S1R_EUlS1Q_E_NS1_11comp_targetILNS1_3genE4ELNS1_11target_archE910ELNS1_3gpuE8ELNS1_3repE0EEENS1_30default_config_static_selectorELNS0_4arch9wavefront6targetE0EEEvS13_
	.p2align	8
	.type	_ZN7rocprim17ROCPRIM_400000_NS6detail17trampoline_kernelINS0_13select_configILj256ELj13ELNS0_17block_load_methodE3ELS4_3ELS4_3ELNS0_20block_scan_algorithmE0ELj4294967295EEENS1_25partition_config_selectorILNS1_17partition_subalgoE4EjNS0_10empty_typeEbEEZZNS1_14partition_implILS8_4ELb0ES6_15HIP_vector_typeIjLj2EENS0_17counting_iteratorIjlEEPS9_SG_NS0_5tupleIJPjSI_NS0_16reverse_iteratorISI_EEEEENSH_IJSG_SG_SG_EEES9_SI_JZNS1_25segmented_radix_sort_implINS0_14default_configELb0EPK6__halfPSP_PKlPlN2at6native12_GLOBAL__N_18offset_tEEE10hipError_tPvRmT1_PNSt15iterator_traitsIS13_E10value_typeET2_T3_PNS14_IS19_E10value_typeET4_jRbjT5_S1F_jjP12ihipStream_tbEUljE_ZNSN_ISO_Lb0ESR_SS_SU_SV_SZ_EES10_S11_S12_S13_S17_S18_S19_S1C_S1D_jS1E_jS1F_S1F_jjS1H_bEUljE0_EEES10_S11_S12_S19_S1D_S1F_T6_T7_T9_mT8_S1H_bDpT10_ENKUlT_T0_E_clISt17integral_constantIbLb0EES1V_EEDaS1Q_S1R_EUlS1Q_E_NS1_11comp_targetILNS1_3genE4ELNS1_11target_archE910ELNS1_3gpuE8ELNS1_3repE0EEENS1_30default_config_static_selectorELNS0_4arch9wavefront6targetE0EEEvS13_,@function
_ZN7rocprim17ROCPRIM_400000_NS6detail17trampoline_kernelINS0_13select_configILj256ELj13ELNS0_17block_load_methodE3ELS4_3ELS4_3ELNS0_20block_scan_algorithmE0ELj4294967295EEENS1_25partition_config_selectorILNS1_17partition_subalgoE4EjNS0_10empty_typeEbEEZZNS1_14partition_implILS8_4ELb0ES6_15HIP_vector_typeIjLj2EENS0_17counting_iteratorIjlEEPS9_SG_NS0_5tupleIJPjSI_NS0_16reverse_iteratorISI_EEEEENSH_IJSG_SG_SG_EEES9_SI_JZNS1_25segmented_radix_sort_implINS0_14default_configELb0EPK6__halfPSP_PKlPlN2at6native12_GLOBAL__N_18offset_tEEE10hipError_tPvRmT1_PNSt15iterator_traitsIS13_E10value_typeET2_T3_PNS14_IS19_E10value_typeET4_jRbjT5_S1F_jjP12ihipStream_tbEUljE_ZNSN_ISO_Lb0ESR_SS_SU_SV_SZ_EES10_S11_S12_S13_S17_S18_S19_S1C_S1D_jS1E_jS1F_S1F_jjS1H_bEUljE0_EEES10_S11_S12_S19_S1D_S1F_T6_T7_T9_mT8_S1H_bDpT10_ENKUlT_T0_E_clISt17integral_constantIbLb0EES1V_EEDaS1Q_S1R_EUlS1Q_E_NS1_11comp_targetILNS1_3genE4ELNS1_11target_archE910ELNS1_3gpuE8ELNS1_3repE0EEENS1_30default_config_static_selectorELNS0_4arch9wavefront6targetE0EEEvS13_: ; @_ZN7rocprim17ROCPRIM_400000_NS6detail17trampoline_kernelINS0_13select_configILj256ELj13ELNS0_17block_load_methodE3ELS4_3ELS4_3ELNS0_20block_scan_algorithmE0ELj4294967295EEENS1_25partition_config_selectorILNS1_17partition_subalgoE4EjNS0_10empty_typeEbEEZZNS1_14partition_implILS8_4ELb0ES6_15HIP_vector_typeIjLj2EENS0_17counting_iteratorIjlEEPS9_SG_NS0_5tupleIJPjSI_NS0_16reverse_iteratorISI_EEEEENSH_IJSG_SG_SG_EEES9_SI_JZNS1_25segmented_radix_sort_implINS0_14default_configELb0EPK6__halfPSP_PKlPlN2at6native12_GLOBAL__N_18offset_tEEE10hipError_tPvRmT1_PNSt15iterator_traitsIS13_E10value_typeET2_T3_PNS14_IS19_E10value_typeET4_jRbjT5_S1F_jjP12ihipStream_tbEUljE_ZNSN_ISO_Lb0ESR_SS_SU_SV_SZ_EES10_S11_S12_S13_S17_S18_S19_S1C_S1D_jS1E_jS1F_S1F_jjS1H_bEUljE0_EEES10_S11_S12_S19_S1D_S1F_T6_T7_T9_mT8_S1H_bDpT10_ENKUlT_T0_E_clISt17integral_constantIbLb0EES1V_EEDaS1Q_S1R_EUlS1Q_E_NS1_11comp_targetILNS1_3genE4ELNS1_11target_archE910ELNS1_3gpuE8ELNS1_3repE0EEENS1_30default_config_static_selectorELNS0_4arch9wavefront6targetE0EEEvS13_
; %bb.0:
	.section	.rodata,"a",@progbits
	.p2align	6, 0x0
	.amdhsa_kernel _ZN7rocprim17ROCPRIM_400000_NS6detail17trampoline_kernelINS0_13select_configILj256ELj13ELNS0_17block_load_methodE3ELS4_3ELS4_3ELNS0_20block_scan_algorithmE0ELj4294967295EEENS1_25partition_config_selectorILNS1_17partition_subalgoE4EjNS0_10empty_typeEbEEZZNS1_14partition_implILS8_4ELb0ES6_15HIP_vector_typeIjLj2EENS0_17counting_iteratorIjlEEPS9_SG_NS0_5tupleIJPjSI_NS0_16reverse_iteratorISI_EEEEENSH_IJSG_SG_SG_EEES9_SI_JZNS1_25segmented_radix_sort_implINS0_14default_configELb0EPK6__halfPSP_PKlPlN2at6native12_GLOBAL__N_18offset_tEEE10hipError_tPvRmT1_PNSt15iterator_traitsIS13_E10value_typeET2_T3_PNS14_IS19_E10value_typeET4_jRbjT5_S1F_jjP12ihipStream_tbEUljE_ZNSN_ISO_Lb0ESR_SS_SU_SV_SZ_EES10_S11_S12_S13_S17_S18_S19_S1C_S1D_jS1E_jS1F_S1F_jjS1H_bEUljE0_EEES10_S11_S12_S19_S1D_S1F_T6_T7_T9_mT8_S1H_bDpT10_ENKUlT_T0_E_clISt17integral_constantIbLb0EES1V_EEDaS1Q_S1R_EUlS1Q_E_NS1_11comp_targetILNS1_3genE4ELNS1_11target_archE910ELNS1_3gpuE8ELNS1_3repE0EEENS1_30default_config_static_selectorELNS0_4arch9wavefront6targetE0EEEvS13_
		.amdhsa_group_segment_fixed_size 0
		.amdhsa_private_segment_fixed_size 0
		.amdhsa_kernarg_size 176
		.amdhsa_user_sgpr_count 15
		.amdhsa_user_sgpr_dispatch_ptr 0
		.amdhsa_user_sgpr_queue_ptr 0
		.amdhsa_user_sgpr_kernarg_segment_ptr 1
		.amdhsa_user_sgpr_dispatch_id 0
		.amdhsa_user_sgpr_private_segment_size 0
		.amdhsa_wavefront_size32 1
		.amdhsa_uses_dynamic_stack 0
		.amdhsa_enable_private_segment 0
		.amdhsa_system_sgpr_workgroup_id_x 1
		.amdhsa_system_sgpr_workgroup_id_y 0
		.amdhsa_system_sgpr_workgroup_id_z 0
		.amdhsa_system_sgpr_workgroup_info 0
		.amdhsa_system_vgpr_workitem_id 0
		.amdhsa_next_free_vgpr 1
		.amdhsa_next_free_sgpr 1
		.amdhsa_reserve_vcc 0
		.amdhsa_float_round_mode_32 0
		.amdhsa_float_round_mode_16_64 0
		.amdhsa_float_denorm_mode_32 3
		.amdhsa_float_denorm_mode_16_64 3
		.amdhsa_dx10_clamp 1
		.amdhsa_ieee_mode 1
		.amdhsa_fp16_overflow 0
		.amdhsa_workgroup_processor_mode 1
		.amdhsa_memory_ordered 1
		.amdhsa_forward_progress 0
		.amdhsa_shared_vgpr_count 0
		.amdhsa_exception_fp_ieee_invalid_op 0
		.amdhsa_exception_fp_denorm_src 0
		.amdhsa_exception_fp_ieee_div_zero 0
		.amdhsa_exception_fp_ieee_overflow 0
		.amdhsa_exception_fp_ieee_underflow 0
		.amdhsa_exception_fp_ieee_inexact 0
		.amdhsa_exception_int_div_zero 0
	.end_amdhsa_kernel
	.section	.text._ZN7rocprim17ROCPRIM_400000_NS6detail17trampoline_kernelINS0_13select_configILj256ELj13ELNS0_17block_load_methodE3ELS4_3ELS4_3ELNS0_20block_scan_algorithmE0ELj4294967295EEENS1_25partition_config_selectorILNS1_17partition_subalgoE4EjNS0_10empty_typeEbEEZZNS1_14partition_implILS8_4ELb0ES6_15HIP_vector_typeIjLj2EENS0_17counting_iteratorIjlEEPS9_SG_NS0_5tupleIJPjSI_NS0_16reverse_iteratorISI_EEEEENSH_IJSG_SG_SG_EEES9_SI_JZNS1_25segmented_radix_sort_implINS0_14default_configELb0EPK6__halfPSP_PKlPlN2at6native12_GLOBAL__N_18offset_tEEE10hipError_tPvRmT1_PNSt15iterator_traitsIS13_E10value_typeET2_T3_PNS14_IS19_E10value_typeET4_jRbjT5_S1F_jjP12ihipStream_tbEUljE_ZNSN_ISO_Lb0ESR_SS_SU_SV_SZ_EES10_S11_S12_S13_S17_S18_S19_S1C_S1D_jS1E_jS1F_S1F_jjS1H_bEUljE0_EEES10_S11_S12_S19_S1D_S1F_T6_T7_T9_mT8_S1H_bDpT10_ENKUlT_T0_E_clISt17integral_constantIbLb0EES1V_EEDaS1Q_S1R_EUlS1Q_E_NS1_11comp_targetILNS1_3genE4ELNS1_11target_archE910ELNS1_3gpuE8ELNS1_3repE0EEENS1_30default_config_static_selectorELNS0_4arch9wavefront6targetE0EEEvS13_,"axG",@progbits,_ZN7rocprim17ROCPRIM_400000_NS6detail17trampoline_kernelINS0_13select_configILj256ELj13ELNS0_17block_load_methodE3ELS4_3ELS4_3ELNS0_20block_scan_algorithmE0ELj4294967295EEENS1_25partition_config_selectorILNS1_17partition_subalgoE4EjNS0_10empty_typeEbEEZZNS1_14partition_implILS8_4ELb0ES6_15HIP_vector_typeIjLj2EENS0_17counting_iteratorIjlEEPS9_SG_NS0_5tupleIJPjSI_NS0_16reverse_iteratorISI_EEEEENSH_IJSG_SG_SG_EEES9_SI_JZNS1_25segmented_radix_sort_implINS0_14default_configELb0EPK6__halfPSP_PKlPlN2at6native12_GLOBAL__N_18offset_tEEE10hipError_tPvRmT1_PNSt15iterator_traitsIS13_E10value_typeET2_T3_PNS14_IS19_E10value_typeET4_jRbjT5_S1F_jjP12ihipStream_tbEUljE_ZNSN_ISO_Lb0ESR_SS_SU_SV_SZ_EES10_S11_S12_S13_S17_S18_S19_S1C_S1D_jS1E_jS1F_S1F_jjS1H_bEUljE0_EEES10_S11_S12_S19_S1D_S1F_T6_T7_T9_mT8_S1H_bDpT10_ENKUlT_T0_E_clISt17integral_constantIbLb0EES1V_EEDaS1Q_S1R_EUlS1Q_E_NS1_11comp_targetILNS1_3genE4ELNS1_11target_archE910ELNS1_3gpuE8ELNS1_3repE0EEENS1_30default_config_static_selectorELNS0_4arch9wavefront6targetE0EEEvS13_,comdat
.Lfunc_end1780:
	.size	_ZN7rocprim17ROCPRIM_400000_NS6detail17trampoline_kernelINS0_13select_configILj256ELj13ELNS0_17block_load_methodE3ELS4_3ELS4_3ELNS0_20block_scan_algorithmE0ELj4294967295EEENS1_25partition_config_selectorILNS1_17partition_subalgoE4EjNS0_10empty_typeEbEEZZNS1_14partition_implILS8_4ELb0ES6_15HIP_vector_typeIjLj2EENS0_17counting_iteratorIjlEEPS9_SG_NS0_5tupleIJPjSI_NS0_16reverse_iteratorISI_EEEEENSH_IJSG_SG_SG_EEES9_SI_JZNS1_25segmented_radix_sort_implINS0_14default_configELb0EPK6__halfPSP_PKlPlN2at6native12_GLOBAL__N_18offset_tEEE10hipError_tPvRmT1_PNSt15iterator_traitsIS13_E10value_typeET2_T3_PNS14_IS19_E10value_typeET4_jRbjT5_S1F_jjP12ihipStream_tbEUljE_ZNSN_ISO_Lb0ESR_SS_SU_SV_SZ_EES10_S11_S12_S13_S17_S18_S19_S1C_S1D_jS1E_jS1F_S1F_jjS1H_bEUljE0_EEES10_S11_S12_S19_S1D_S1F_T6_T7_T9_mT8_S1H_bDpT10_ENKUlT_T0_E_clISt17integral_constantIbLb0EES1V_EEDaS1Q_S1R_EUlS1Q_E_NS1_11comp_targetILNS1_3genE4ELNS1_11target_archE910ELNS1_3gpuE8ELNS1_3repE0EEENS1_30default_config_static_selectorELNS0_4arch9wavefront6targetE0EEEvS13_, .Lfunc_end1780-_ZN7rocprim17ROCPRIM_400000_NS6detail17trampoline_kernelINS0_13select_configILj256ELj13ELNS0_17block_load_methodE3ELS4_3ELS4_3ELNS0_20block_scan_algorithmE0ELj4294967295EEENS1_25partition_config_selectorILNS1_17partition_subalgoE4EjNS0_10empty_typeEbEEZZNS1_14partition_implILS8_4ELb0ES6_15HIP_vector_typeIjLj2EENS0_17counting_iteratorIjlEEPS9_SG_NS0_5tupleIJPjSI_NS0_16reverse_iteratorISI_EEEEENSH_IJSG_SG_SG_EEES9_SI_JZNS1_25segmented_radix_sort_implINS0_14default_configELb0EPK6__halfPSP_PKlPlN2at6native12_GLOBAL__N_18offset_tEEE10hipError_tPvRmT1_PNSt15iterator_traitsIS13_E10value_typeET2_T3_PNS14_IS19_E10value_typeET4_jRbjT5_S1F_jjP12ihipStream_tbEUljE_ZNSN_ISO_Lb0ESR_SS_SU_SV_SZ_EES10_S11_S12_S13_S17_S18_S19_S1C_S1D_jS1E_jS1F_S1F_jjS1H_bEUljE0_EEES10_S11_S12_S19_S1D_S1F_T6_T7_T9_mT8_S1H_bDpT10_ENKUlT_T0_E_clISt17integral_constantIbLb0EES1V_EEDaS1Q_S1R_EUlS1Q_E_NS1_11comp_targetILNS1_3genE4ELNS1_11target_archE910ELNS1_3gpuE8ELNS1_3repE0EEENS1_30default_config_static_selectorELNS0_4arch9wavefront6targetE0EEEvS13_
                                        ; -- End function
	.section	.AMDGPU.csdata,"",@progbits
; Kernel info:
; codeLenInByte = 0
; NumSgprs: 0
; NumVgprs: 0
; ScratchSize: 0
; MemoryBound: 0
; FloatMode: 240
; IeeeMode: 1
; LDSByteSize: 0 bytes/workgroup (compile time only)
; SGPRBlocks: 0
; VGPRBlocks: 0
; NumSGPRsForWavesPerEU: 1
; NumVGPRsForWavesPerEU: 1
; Occupancy: 16
; WaveLimiterHint : 0
; COMPUTE_PGM_RSRC2:SCRATCH_EN: 0
; COMPUTE_PGM_RSRC2:USER_SGPR: 15
; COMPUTE_PGM_RSRC2:TRAP_HANDLER: 0
; COMPUTE_PGM_RSRC2:TGID_X_EN: 1
; COMPUTE_PGM_RSRC2:TGID_Y_EN: 0
; COMPUTE_PGM_RSRC2:TGID_Z_EN: 0
; COMPUTE_PGM_RSRC2:TIDIG_COMP_CNT: 0
	.section	.text._ZN7rocprim17ROCPRIM_400000_NS6detail17trampoline_kernelINS0_13select_configILj256ELj13ELNS0_17block_load_methodE3ELS4_3ELS4_3ELNS0_20block_scan_algorithmE0ELj4294967295EEENS1_25partition_config_selectorILNS1_17partition_subalgoE4EjNS0_10empty_typeEbEEZZNS1_14partition_implILS8_4ELb0ES6_15HIP_vector_typeIjLj2EENS0_17counting_iteratorIjlEEPS9_SG_NS0_5tupleIJPjSI_NS0_16reverse_iteratorISI_EEEEENSH_IJSG_SG_SG_EEES9_SI_JZNS1_25segmented_radix_sort_implINS0_14default_configELb0EPK6__halfPSP_PKlPlN2at6native12_GLOBAL__N_18offset_tEEE10hipError_tPvRmT1_PNSt15iterator_traitsIS13_E10value_typeET2_T3_PNS14_IS19_E10value_typeET4_jRbjT5_S1F_jjP12ihipStream_tbEUljE_ZNSN_ISO_Lb0ESR_SS_SU_SV_SZ_EES10_S11_S12_S13_S17_S18_S19_S1C_S1D_jS1E_jS1F_S1F_jjS1H_bEUljE0_EEES10_S11_S12_S19_S1D_S1F_T6_T7_T9_mT8_S1H_bDpT10_ENKUlT_T0_E_clISt17integral_constantIbLb0EES1V_EEDaS1Q_S1R_EUlS1Q_E_NS1_11comp_targetILNS1_3genE3ELNS1_11target_archE908ELNS1_3gpuE7ELNS1_3repE0EEENS1_30default_config_static_selectorELNS0_4arch9wavefront6targetE0EEEvS13_,"axG",@progbits,_ZN7rocprim17ROCPRIM_400000_NS6detail17trampoline_kernelINS0_13select_configILj256ELj13ELNS0_17block_load_methodE3ELS4_3ELS4_3ELNS0_20block_scan_algorithmE0ELj4294967295EEENS1_25partition_config_selectorILNS1_17partition_subalgoE4EjNS0_10empty_typeEbEEZZNS1_14partition_implILS8_4ELb0ES6_15HIP_vector_typeIjLj2EENS0_17counting_iteratorIjlEEPS9_SG_NS0_5tupleIJPjSI_NS0_16reverse_iteratorISI_EEEEENSH_IJSG_SG_SG_EEES9_SI_JZNS1_25segmented_radix_sort_implINS0_14default_configELb0EPK6__halfPSP_PKlPlN2at6native12_GLOBAL__N_18offset_tEEE10hipError_tPvRmT1_PNSt15iterator_traitsIS13_E10value_typeET2_T3_PNS14_IS19_E10value_typeET4_jRbjT5_S1F_jjP12ihipStream_tbEUljE_ZNSN_ISO_Lb0ESR_SS_SU_SV_SZ_EES10_S11_S12_S13_S17_S18_S19_S1C_S1D_jS1E_jS1F_S1F_jjS1H_bEUljE0_EEES10_S11_S12_S19_S1D_S1F_T6_T7_T9_mT8_S1H_bDpT10_ENKUlT_T0_E_clISt17integral_constantIbLb0EES1V_EEDaS1Q_S1R_EUlS1Q_E_NS1_11comp_targetILNS1_3genE3ELNS1_11target_archE908ELNS1_3gpuE7ELNS1_3repE0EEENS1_30default_config_static_selectorELNS0_4arch9wavefront6targetE0EEEvS13_,comdat
	.globl	_ZN7rocprim17ROCPRIM_400000_NS6detail17trampoline_kernelINS0_13select_configILj256ELj13ELNS0_17block_load_methodE3ELS4_3ELS4_3ELNS0_20block_scan_algorithmE0ELj4294967295EEENS1_25partition_config_selectorILNS1_17partition_subalgoE4EjNS0_10empty_typeEbEEZZNS1_14partition_implILS8_4ELb0ES6_15HIP_vector_typeIjLj2EENS0_17counting_iteratorIjlEEPS9_SG_NS0_5tupleIJPjSI_NS0_16reverse_iteratorISI_EEEEENSH_IJSG_SG_SG_EEES9_SI_JZNS1_25segmented_radix_sort_implINS0_14default_configELb0EPK6__halfPSP_PKlPlN2at6native12_GLOBAL__N_18offset_tEEE10hipError_tPvRmT1_PNSt15iterator_traitsIS13_E10value_typeET2_T3_PNS14_IS19_E10value_typeET4_jRbjT5_S1F_jjP12ihipStream_tbEUljE_ZNSN_ISO_Lb0ESR_SS_SU_SV_SZ_EES10_S11_S12_S13_S17_S18_S19_S1C_S1D_jS1E_jS1F_S1F_jjS1H_bEUljE0_EEES10_S11_S12_S19_S1D_S1F_T6_T7_T9_mT8_S1H_bDpT10_ENKUlT_T0_E_clISt17integral_constantIbLb0EES1V_EEDaS1Q_S1R_EUlS1Q_E_NS1_11comp_targetILNS1_3genE3ELNS1_11target_archE908ELNS1_3gpuE7ELNS1_3repE0EEENS1_30default_config_static_selectorELNS0_4arch9wavefront6targetE0EEEvS13_ ; -- Begin function _ZN7rocprim17ROCPRIM_400000_NS6detail17trampoline_kernelINS0_13select_configILj256ELj13ELNS0_17block_load_methodE3ELS4_3ELS4_3ELNS0_20block_scan_algorithmE0ELj4294967295EEENS1_25partition_config_selectorILNS1_17partition_subalgoE4EjNS0_10empty_typeEbEEZZNS1_14partition_implILS8_4ELb0ES6_15HIP_vector_typeIjLj2EENS0_17counting_iteratorIjlEEPS9_SG_NS0_5tupleIJPjSI_NS0_16reverse_iteratorISI_EEEEENSH_IJSG_SG_SG_EEES9_SI_JZNS1_25segmented_radix_sort_implINS0_14default_configELb0EPK6__halfPSP_PKlPlN2at6native12_GLOBAL__N_18offset_tEEE10hipError_tPvRmT1_PNSt15iterator_traitsIS13_E10value_typeET2_T3_PNS14_IS19_E10value_typeET4_jRbjT5_S1F_jjP12ihipStream_tbEUljE_ZNSN_ISO_Lb0ESR_SS_SU_SV_SZ_EES10_S11_S12_S13_S17_S18_S19_S1C_S1D_jS1E_jS1F_S1F_jjS1H_bEUljE0_EEES10_S11_S12_S19_S1D_S1F_T6_T7_T9_mT8_S1H_bDpT10_ENKUlT_T0_E_clISt17integral_constantIbLb0EES1V_EEDaS1Q_S1R_EUlS1Q_E_NS1_11comp_targetILNS1_3genE3ELNS1_11target_archE908ELNS1_3gpuE7ELNS1_3repE0EEENS1_30default_config_static_selectorELNS0_4arch9wavefront6targetE0EEEvS13_
	.p2align	8
	.type	_ZN7rocprim17ROCPRIM_400000_NS6detail17trampoline_kernelINS0_13select_configILj256ELj13ELNS0_17block_load_methodE3ELS4_3ELS4_3ELNS0_20block_scan_algorithmE0ELj4294967295EEENS1_25partition_config_selectorILNS1_17partition_subalgoE4EjNS0_10empty_typeEbEEZZNS1_14partition_implILS8_4ELb0ES6_15HIP_vector_typeIjLj2EENS0_17counting_iteratorIjlEEPS9_SG_NS0_5tupleIJPjSI_NS0_16reverse_iteratorISI_EEEEENSH_IJSG_SG_SG_EEES9_SI_JZNS1_25segmented_radix_sort_implINS0_14default_configELb0EPK6__halfPSP_PKlPlN2at6native12_GLOBAL__N_18offset_tEEE10hipError_tPvRmT1_PNSt15iterator_traitsIS13_E10value_typeET2_T3_PNS14_IS19_E10value_typeET4_jRbjT5_S1F_jjP12ihipStream_tbEUljE_ZNSN_ISO_Lb0ESR_SS_SU_SV_SZ_EES10_S11_S12_S13_S17_S18_S19_S1C_S1D_jS1E_jS1F_S1F_jjS1H_bEUljE0_EEES10_S11_S12_S19_S1D_S1F_T6_T7_T9_mT8_S1H_bDpT10_ENKUlT_T0_E_clISt17integral_constantIbLb0EES1V_EEDaS1Q_S1R_EUlS1Q_E_NS1_11comp_targetILNS1_3genE3ELNS1_11target_archE908ELNS1_3gpuE7ELNS1_3repE0EEENS1_30default_config_static_selectorELNS0_4arch9wavefront6targetE0EEEvS13_,@function
_ZN7rocprim17ROCPRIM_400000_NS6detail17trampoline_kernelINS0_13select_configILj256ELj13ELNS0_17block_load_methodE3ELS4_3ELS4_3ELNS0_20block_scan_algorithmE0ELj4294967295EEENS1_25partition_config_selectorILNS1_17partition_subalgoE4EjNS0_10empty_typeEbEEZZNS1_14partition_implILS8_4ELb0ES6_15HIP_vector_typeIjLj2EENS0_17counting_iteratorIjlEEPS9_SG_NS0_5tupleIJPjSI_NS0_16reverse_iteratorISI_EEEEENSH_IJSG_SG_SG_EEES9_SI_JZNS1_25segmented_radix_sort_implINS0_14default_configELb0EPK6__halfPSP_PKlPlN2at6native12_GLOBAL__N_18offset_tEEE10hipError_tPvRmT1_PNSt15iterator_traitsIS13_E10value_typeET2_T3_PNS14_IS19_E10value_typeET4_jRbjT5_S1F_jjP12ihipStream_tbEUljE_ZNSN_ISO_Lb0ESR_SS_SU_SV_SZ_EES10_S11_S12_S13_S17_S18_S19_S1C_S1D_jS1E_jS1F_S1F_jjS1H_bEUljE0_EEES10_S11_S12_S19_S1D_S1F_T6_T7_T9_mT8_S1H_bDpT10_ENKUlT_T0_E_clISt17integral_constantIbLb0EES1V_EEDaS1Q_S1R_EUlS1Q_E_NS1_11comp_targetILNS1_3genE3ELNS1_11target_archE908ELNS1_3gpuE7ELNS1_3repE0EEENS1_30default_config_static_selectorELNS0_4arch9wavefront6targetE0EEEvS13_: ; @_ZN7rocprim17ROCPRIM_400000_NS6detail17trampoline_kernelINS0_13select_configILj256ELj13ELNS0_17block_load_methodE3ELS4_3ELS4_3ELNS0_20block_scan_algorithmE0ELj4294967295EEENS1_25partition_config_selectorILNS1_17partition_subalgoE4EjNS0_10empty_typeEbEEZZNS1_14partition_implILS8_4ELb0ES6_15HIP_vector_typeIjLj2EENS0_17counting_iteratorIjlEEPS9_SG_NS0_5tupleIJPjSI_NS0_16reverse_iteratorISI_EEEEENSH_IJSG_SG_SG_EEES9_SI_JZNS1_25segmented_radix_sort_implINS0_14default_configELb0EPK6__halfPSP_PKlPlN2at6native12_GLOBAL__N_18offset_tEEE10hipError_tPvRmT1_PNSt15iterator_traitsIS13_E10value_typeET2_T3_PNS14_IS19_E10value_typeET4_jRbjT5_S1F_jjP12ihipStream_tbEUljE_ZNSN_ISO_Lb0ESR_SS_SU_SV_SZ_EES10_S11_S12_S13_S17_S18_S19_S1C_S1D_jS1E_jS1F_S1F_jjS1H_bEUljE0_EEES10_S11_S12_S19_S1D_S1F_T6_T7_T9_mT8_S1H_bDpT10_ENKUlT_T0_E_clISt17integral_constantIbLb0EES1V_EEDaS1Q_S1R_EUlS1Q_E_NS1_11comp_targetILNS1_3genE3ELNS1_11target_archE908ELNS1_3gpuE7ELNS1_3repE0EEENS1_30default_config_static_selectorELNS0_4arch9wavefront6targetE0EEEvS13_
; %bb.0:
	.section	.rodata,"a",@progbits
	.p2align	6, 0x0
	.amdhsa_kernel _ZN7rocprim17ROCPRIM_400000_NS6detail17trampoline_kernelINS0_13select_configILj256ELj13ELNS0_17block_load_methodE3ELS4_3ELS4_3ELNS0_20block_scan_algorithmE0ELj4294967295EEENS1_25partition_config_selectorILNS1_17partition_subalgoE4EjNS0_10empty_typeEbEEZZNS1_14partition_implILS8_4ELb0ES6_15HIP_vector_typeIjLj2EENS0_17counting_iteratorIjlEEPS9_SG_NS0_5tupleIJPjSI_NS0_16reverse_iteratorISI_EEEEENSH_IJSG_SG_SG_EEES9_SI_JZNS1_25segmented_radix_sort_implINS0_14default_configELb0EPK6__halfPSP_PKlPlN2at6native12_GLOBAL__N_18offset_tEEE10hipError_tPvRmT1_PNSt15iterator_traitsIS13_E10value_typeET2_T3_PNS14_IS19_E10value_typeET4_jRbjT5_S1F_jjP12ihipStream_tbEUljE_ZNSN_ISO_Lb0ESR_SS_SU_SV_SZ_EES10_S11_S12_S13_S17_S18_S19_S1C_S1D_jS1E_jS1F_S1F_jjS1H_bEUljE0_EEES10_S11_S12_S19_S1D_S1F_T6_T7_T9_mT8_S1H_bDpT10_ENKUlT_T0_E_clISt17integral_constantIbLb0EES1V_EEDaS1Q_S1R_EUlS1Q_E_NS1_11comp_targetILNS1_3genE3ELNS1_11target_archE908ELNS1_3gpuE7ELNS1_3repE0EEENS1_30default_config_static_selectorELNS0_4arch9wavefront6targetE0EEEvS13_
		.amdhsa_group_segment_fixed_size 0
		.amdhsa_private_segment_fixed_size 0
		.amdhsa_kernarg_size 176
		.amdhsa_user_sgpr_count 15
		.amdhsa_user_sgpr_dispatch_ptr 0
		.amdhsa_user_sgpr_queue_ptr 0
		.amdhsa_user_sgpr_kernarg_segment_ptr 1
		.amdhsa_user_sgpr_dispatch_id 0
		.amdhsa_user_sgpr_private_segment_size 0
		.amdhsa_wavefront_size32 1
		.amdhsa_uses_dynamic_stack 0
		.amdhsa_enable_private_segment 0
		.amdhsa_system_sgpr_workgroup_id_x 1
		.amdhsa_system_sgpr_workgroup_id_y 0
		.amdhsa_system_sgpr_workgroup_id_z 0
		.amdhsa_system_sgpr_workgroup_info 0
		.amdhsa_system_vgpr_workitem_id 0
		.amdhsa_next_free_vgpr 1
		.amdhsa_next_free_sgpr 1
		.amdhsa_reserve_vcc 0
		.amdhsa_float_round_mode_32 0
		.amdhsa_float_round_mode_16_64 0
		.amdhsa_float_denorm_mode_32 3
		.amdhsa_float_denorm_mode_16_64 3
		.amdhsa_dx10_clamp 1
		.amdhsa_ieee_mode 1
		.amdhsa_fp16_overflow 0
		.amdhsa_workgroup_processor_mode 1
		.amdhsa_memory_ordered 1
		.amdhsa_forward_progress 0
		.amdhsa_shared_vgpr_count 0
		.amdhsa_exception_fp_ieee_invalid_op 0
		.amdhsa_exception_fp_denorm_src 0
		.amdhsa_exception_fp_ieee_div_zero 0
		.amdhsa_exception_fp_ieee_overflow 0
		.amdhsa_exception_fp_ieee_underflow 0
		.amdhsa_exception_fp_ieee_inexact 0
		.amdhsa_exception_int_div_zero 0
	.end_amdhsa_kernel
	.section	.text._ZN7rocprim17ROCPRIM_400000_NS6detail17trampoline_kernelINS0_13select_configILj256ELj13ELNS0_17block_load_methodE3ELS4_3ELS4_3ELNS0_20block_scan_algorithmE0ELj4294967295EEENS1_25partition_config_selectorILNS1_17partition_subalgoE4EjNS0_10empty_typeEbEEZZNS1_14partition_implILS8_4ELb0ES6_15HIP_vector_typeIjLj2EENS0_17counting_iteratorIjlEEPS9_SG_NS0_5tupleIJPjSI_NS0_16reverse_iteratorISI_EEEEENSH_IJSG_SG_SG_EEES9_SI_JZNS1_25segmented_radix_sort_implINS0_14default_configELb0EPK6__halfPSP_PKlPlN2at6native12_GLOBAL__N_18offset_tEEE10hipError_tPvRmT1_PNSt15iterator_traitsIS13_E10value_typeET2_T3_PNS14_IS19_E10value_typeET4_jRbjT5_S1F_jjP12ihipStream_tbEUljE_ZNSN_ISO_Lb0ESR_SS_SU_SV_SZ_EES10_S11_S12_S13_S17_S18_S19_S1C_S1D_jS1E_jS1F_S1F_jjS1H_bEUljE0_EEES10_S11_S12_S19_S1D_S1F_T6_T7_T9_mT8_S1H_bDpT10_ENKUlT_T0_E_clISt17integral_constantIbLb0EES1V_EEDaS1Q_S1R_EUlS1Q_E_NS1_11comp_targetILNS1_3genE3ELNS1_11target_archE908ELNS1_3gpuE7ELNS1_3repE0EEENS1_30default_config_static_selectorELNS0_4arch9wavefront6targetE0EEEvS13_,"axG",@progbits,_ZN7rocprim17ROCPRIM_400000_NS6detail17trampoline_kernelINS0_13select_configILj256ELj13ELNS0_17block_load_methodE3ELS4_3ELS4_3ELNS0_20block_scan_algorithmE0ELj4294967295EEENS1_25partition_config_selectorILNS1_17partition_subalgoE4EjNS0_10empty_typeEbEEZZNS1_14partition_implILS8_4ELb0ES6_15HIP_vector_typeIjLj2EENS0_17counting_iteratorIjlEEPS9_SG_NS0_5tupleIJPjSI_NS0_16reverse_iteratorISI_EEEEENSH_IJSG_SG_SG_EEES9_SI_JZNS1_25segmented_radix_sort_implINS0_14default_configELb0EPK6__halfPSP_PKlPlN2at6native12_GLOBAL__N_18offset_tEEE10hipError_tPvRmT1_PNSt15iterator_traitsIS13_E10value_typeET2_T3_PNS14_IS19_E10value_typeET4_jRbjT5_S1F_jjP12ihipStream_tbEUljE_ZNSN_ISO_Lb0ESR_SS_SU_SV_SZ_EES10_S11_S12_S13_S17_S18_S19_S1C_S1D_jS1E_jS1F_S1F_jjS1H_bEUljE0_EEES10_S11_S12_S19_S1D_S1F_T6_T7_T9_mT8_S1H_bDpT10_ENKUlT_T0_E_clISt17integral_constantIbLb0EES1V_EEDaS1Q_S1R_EUlS1Q_E_NS1_11comp_targetILNS1_3genE3ELNS1_11target_archE908ELNS1_3gpuE7ELNS1_3repE0EEENS1_30default_config_static_selectorELNS0_4arch9wavefront6targetE0EEEvS13_,comdat
.Lfunc_end1781:
	.size	_ZN7rocprim17ROCPRIM_400000_NS6detail17trampoline_kernelINS0_13select_configILj256ELj13ELNS0_17block_load_methodE3ELS4_3ELS4_3ELNS0_20block_scan_algorithmE0ELj4294967295EEENS1_25partition_config_selectorILNS1_17partition_subalgoE4EjNS0_10empty_typeEbEEZZNS1_14partition_implILS8_4ELb0ES6_15HIP_vector_typeIjLj2EENS0_17counting_iteratorIjlEEPS9_SG_NS0_5tupleIJPjSI_NS0_16reverse_iteratorISI_EEEEENSH_IJSG_SG_SG_EEES9_SI_JZNS1_25segmented_radix_sort_implINS0_14default_configELb0EPK6__halfPSP_PKlPlN2at6native12_GLOBAL__N_18offset_tEEE10hipError_tPvRmT1_PNSt15iterator_traitsIS13_E10value_typeET2_T3_PNS14_IS19_E10value_typeET4_jRbjT5_S1F_jjP12ihipStream_tbEUljE_ZNSN_ISO_Lb0ESR_SS_SU_SV_SZ_EES10_S11_S12_S13_S17_S18_S19_S1C_S1D_jS1E_jS1F_S1F_jjS1H_bEUljE0_EEES10_S11_S12_S19_S1D_S1F_T6_T7_T9_mT8_S1H_bDpT10_ENKUlT_T0_E_clISt17integral_constantIbLb0EES1V_EEDaS1Q_S1R_EUlS1Q_E_NS1_11comp_targetILNS1_3genE3ELNS1_11target_archE908ELNS1_3gpuE7ELNS1_3repE0EEENS1_30default_config_static_selectorELNS0_4arch9wavefront6targetE0EEEvS13_, .Lfunc_end1781-_ZN7rocprim17ROCPRIM_400000_NS6detail17trampoline_kernelINS0_13select_configILj256ELj13ELNS0_17block_load_methodE3ELS4_3ELS4_3ELNS0_20block_scan_algorithmE0ELj4294967295EEENS1_25partition_config_selectorILNS1_17partition_subalgoE4EjNS0_10empty_typeEbEEZZNS1_14partition_implILS8_4ELb0ES6_15HIP_vector_typeIjLj2EENS0_17counting_iteratorIjlEEPS9_SG_NS0_5tupleIJPjSI_NS0_16reverse_iteratorISI_EEEEENSH_IJSG_SG_SG_EEES9_SI_JZNS1_25segmented_radix_sort_implINS0_14default_configELb0EPK6__halfPSP_PKlPlN2at6native12_GLOBAL__N_18offset_tEEE10hipError_tPvRmT1_PNSt15iterator_traitsIS13_E10value_typeET2_T3_PNS14_IS19_E10value_typeET4_jRbjT5_S1F_jjP12ihipStream_tbEUljE_ZNSN_ISO_Lb0ESR_SS_SU_SV_SZ_EES10_S11_S12_S13_S17_S18_S19_S1C_S1D_jS1E_jS1F_S1F_jjS1H_bEUljE0_EEES10_S11_S12_S19_S1D_S1F_T6_T7_T9_mT8_S1H_bDpT10_ENKUlT_T0_E_clISt17integral_constantIbLb0EES1V_EEDaS1Q_S1R_EUlS1Q_E_NS1_11comp_targetILNS1_3genE3ELNS1_11target_archE908ELNS1_3gpuE7ELNS1_3repE0EEENS1_30default_config_static_selectorELNS0_4arch9wavefront6targetE0EEEvS13_
                                        ; -- End function
	.section	.AMDGPU.csdata,"",@progbits
; Kernel info:
; codeLenInByte = 0
; NumSgprs: 0
; NumVgprs: 0
; ScratchSize: 0
; MemoryBound: 0
; FloatMode: 240
; IeeeMode: 1
; LDSByteSize: 0 bytes/workgroup (compile time only)
; SGPRBlocks: 0
; VGPRBlocks: 0
; NumSGPRsForWavesPerEU: 1
; NumVGPRsForWavesPerEU: 1
; Occupancy: 16
; WaveLimiterHint : 0
; COMPUTE_PGM_RSRC2:SCRATCH_EN: 0
; COMPUTE_PGM_RSRC2:USER_SGPR: 15
; COMPUTE_PGM_RSRC2:TRAP_HANDLER: 0
; COMPUTE_PGM_RSRC2:TGID_X_EN: 1
; COMPUTE_PGM_RSRC2:TGID_Y_EN: 0
; COMPUTE_PGM_RSRC2:TGID_Z_EN: 0
; COMPUTE_PGM_RSRC2:TIDIG_COMP_CNT: 0
	.section	.text._ZN7rocprim17ROCPRIM_400000_NS6detail17trampoline_kernelINS0_13select_configILj256ELj13ELNS0_17block_load_methodE3ELS4_3ELS4_3ELNS0_20block_scan_algorithmE0ELj4294967295EEENS1_25partition_config_selectorILNS1_17partition_subalgoE4EjNS0_10empty_typeEbEEZZNS1_14partition_implILS8_4ELb0ES6_15HIP_vector_typeIjLj2EENS0_17counting_iteratorIjlEEPS9_SG_NS0_5tupleIJPjSI_NS0_16reverse_iteratorISI_EEEEENSH_IJSG_SG_SG_EEES9_SI_JZNS1_25segmented_radix_sort_implINS0_14default_configELb0EPK6__halfPSP_PKlPlN2at6native12_GLOBAL__N_18offset_tEEE10hipError_tPvRmT1_PNSt15iterator_traitsIS13_E10value_typeET2_T3_PNS14_IS19_E10value_typeET4_jRbjT5_S1F_jjP12ihipStream_tbEUljE_ZNSN_ISO_Lb0ESR_SS_SU_SV_SZ_EES10_S11_S12_S13_S17_S18_S19_S1C_S1D_jS1E_jS1F_S1F_jjS1H_bEUljE0_EEES10_S11_S12_S19_S1D_S1F_T6_T7_T9_mT8_S1H_bDpT10_ENKUlT_T0_E_clISt17integral_constantIbLb0EES1V_EEDaS1Q_S1R_EUlS1Q_E_NS1_11comp_targetILNS1_3genE2ELNS1_11target_archE906ELNS1_3gpuE6ELNS1_3repE0EEENS1_30default_config_static_selectorELNS0_4arch9wavefront6targetE0EEEvS13_,"axG",@progbits,_ZN7rocprim17ROCPRIM_400000_NS6detail17trampoline_kernelINS0_13select_configILj256ELj13ELNS0_17block_load_methodE3ELS4_3ELS4_3ELNS0_20block_scan_algorithmE0ELj4294967295EEENS1_25partition_config_selectorILNS1_17partition_subalgoE4EjNS0_10empty_typeEbEEZZNS1_14partition_implILS8_4ELb0ES6_15HIP_vector_typeIjLj2EENS0_17counting_iteratorIjlEEPS9_SG_NS0_5tupleIJPjSI_NS0_16reverse_iteratorISI_EEEEENSH_IJSG_SG_SG_EEES9_SI_JZNS1_25segmented_radix_sort_implINS0_14default_configELb0EPK6__halfPSP_PKlPlN2at6native12_GLOBAL__N_18offset_tEEE10hipError_tPvRmT1_PNSt15iterator_traitsIS13_E10value_typeET2_T3_PNS14_IS19_E10value_typeET4_jRbjT5_S1F_jjP12ihipStream_tbEUljE_ZNSN_ISO_Lb0ESR_SS_SU_SV_SZ_EES10_S11_S12_S13_S17_S18_S19_S1C_S1D_jS1E_jS1F_S1F_jjS1H_bEUljE0_EEES10_S11_S12_S19_S1D_S1F_T6_T7_T9_mT8_S1H_bDpT10_ENKUlT_T0_E_clISt17integral_constantIbLb0EES1V_EEDaS1Q_S1R_EUlS1Q_E_NS1_11comp_targetILNS1_3genE2ELNS1_11target_archE906ELNS1_3gpuE6ELNS1_3repE0EEENS1_30default_config_static_selectorELNS0_4arch9wavefront6targetE0EEEvS13_,comdat
	.globl	_ZN7rocprim17ROCPRIM_400000_NS6detail17trampoline_kernelINS0_13select_configILj256ELj13ELNS0_17block_load_methodE3ELS4_3ELS4_3ELNS0_20block_scan_algorithmE0ELj4294967295EEENS1_25partition_config_selectorILNS1_17partition_subalgoE4EjNS0_10empty_typeEbEEZZNS1_14partition_implILS8_4ELb0ES6_15HIP_vector_typeIjLj2EENS0_17counting_iteratorIjlEEPS9_SG_NS0_5tupleIJPjSI_NS0_16reverse_iteratorISI_EEEEENSH_IJSG_SG_SG_EEES9_SI_JZNS1_25segmented_radix_sort_implINS0_14default_configELb0EPK6__halfPSP_PKlPlN2at6native12_GLOBAL__N_18offset_tEEE10hipError_tPvRmT1_PNSt15iterator_traitsIS13_E10value_typeET2_T3_PNS14_IS19_E10value_typeET4_jRbjT5_S1F_jjP12ihipStream_tbEUljE_ZNSN_ISO_Lb0ESR_SS_SU_SV_SZ_EES10_S11_S12_S13_S17_S18_S19_S1C_S1D_jS1E_jS1F_S1F_jjS1H_bEUljE0_EEES10_S11_S12_S19_S1D_S1F_T6_T7_T9_mT8_S1H_bDpT10_ENKUlT_T0_E_clISt17integral_constantIbLb0EES1V_EEDaS1Q_S1R_EUlS1Q_E_NS1_11comp_targetILNS1_3genE2ELNS1_11target_archE906ELNS1_3gpuE6ELNS1_3repE0EEENS1_30default_config_static_selectorELNS0_4arch9wavefront6targetE0EEEvS13_ ; -- Begin function _ZN7rocprim17ROCPRIM_400000_NS6detail17trampoline_kernelINS0_13select_configILj256ELj13ELNS0_17block_load_methodE3ELS4_3ELS4_3ELNS0_20block_scan_algorithmE0ELj4294967295EEENS1_25partition_config_selectorILNS1_17partition_subalgoE4EjNS0_10empty_typeEbEEZZNS1_14partition_implILS8_4ELb0ES6_15HIP_vector_typeIjLj2EENS0_17counting_iteratorIjlEEPS9_SG_NS0_5tupleIJPjSI_NS0_16reverse_iteratorISI_EEEEENSH_IJSG_SG_SG_EEES9_SI_JZNS1_25segmented_radix_sort_implINS0_14default_configELb0EPK6__halfPSP_PKlPlN2at6native12_GLOBAL__N_18offset_tEEE10hipError_tPvRmT1_PNSt15iterator_traitsIS13_E10value_typeET2_T3_PNS14_IS19_E10value_typeET4_jRbjT5_S1F_jjP12ihipStream_tbEUljE_ZNSN_ISO_Lb0ESR_SS_SU_SV_SZ_EES10_S11_S12_S13_S17_S18_S19_S1C_S1D_jS1E_jS1F_S1F_jjS1H_bEUljE0_EEES10_S11_S12_S19_S1D_S1F_T6_T7_T9_mT8_S1H_bDpT10_ENKUlT_T0_E_clISt17integral_constantIbLb0EES1V_EEDaS1Q_S1R_EUlS1Q_E_NS1_11comp_targetILNS1_3genE2ELNS1_11target_archE906ELNS1_3gpuE6ELNS1_3repE0EEENS1_30default_config_static_selectorELNS0_4arch9wavefront6targetE0EEEvS13_
	.p2align	8
	.type	_ZN7rocprim17ROCPRIM_400000_NS6detail17trampoline_kernelINS0_13select_configILj256ELj13ELNS0_17block_load_methodE3ELS4_3ELS4_3ELNS0_20block_scan_algorithmE0ELj4294967295EEENS1_25partition_config_selectorILNS1_17partition_subalgoE4EjNS0_10empty_typeEbEEZZNS1_14partition_implILS8_4ELb0ES6_15HIP_vector_typeIjLj2EENS0_17counting_iteratorIjlEEPS9_SG_NS0_5tupleIJPjSI_NS0_16reverse_iteratorISI_EEEEENSH_IJSG_SG_SG_EEES9_SI_JZNS1_25segmented_radix_sort_implINS0_14default_configELb0EPK6__halfPSP_PKlPlN2at6native12_GLOBAL__N_18offset_tEEE10hipError_tPvRmT1_PNSt15iterator_traitsIS13_E10value_typeET2_T3_PNS14_IS19_E10value_typeET4_jRbjT5_S1F_jjP12ihipStream_tbEUljE_ZNSN_ISO_Lb0ESR_SS_SU_SV_SZ_EES10_S11_S12_S13_S17_S18_S19_S1C_S1D_jS1E_jS1F_S1F_jjS1H_bEUljE0_EEES10_S11_S12_S19_S1D_S1F_T6_T7_T9_mT8_S1H_bDpT10_ENKUlT_T0_E_clISt17integral_constantIbLb0EES1V_EEDaS1Q_S1R_EUlS1Q_E_NS1_11comp_targetILNS1_3genE2ELNS1_11target_archE906ELNS1_3gpuE6ELNS1_3repE0EEENS1_30default_config_static_selectorELNS0_4arch9wavefront6targetE0EEEvS13_,@function
_ZN7rocprim17ROCPRIM_400000_NS6detail17trampoline_kernelINS0_13select_configILj256ELj13ELNS0_17block_load_methodE3ELS4_3ELS4_3ELNS0_20block_scan_algorithmE0ELj4294967295EEENS1_25partition_config_selectorILNS1_17partition_subalgoE4EjNS0_10empty_typeEbEEZZNS1_14partition_implILS8_4ELb0ES6_15HIP_vector_typeIjLj2EENS0_17counting_iteratorIjlEEPS9_SG_NS0_5tupleIJPjSI_NS0_16reverse_iteratorISI_EEEEENSH_IJSG_SG_SG_EEES9_SI_JZNS1_25segmented_radix_sort_implINS0_14default_configELb0EPK6__halfPSP_PKlPlN2at6native12_GLOBAL__N_18offset_tEEE10hipError_tPvRmT1_PNSt15iterator_traitsIS13_E10value_typeET2_T3_PNS14_IS19_E10value_typeET4_jRbjT5_S1F_jjP12ihipStream_tbEUljE_ZNSN_ISO_Lb0ESR_SS_SU_SV_SZ_EES10_S11_S12_S13_S17_S18_S19_S1C_S1D_jS1E_jS1F_S1F_jjS1H_bEUljE0_EEES10_S11_S12_S19_S1D_S1F_T6_T7_T9_mT8_S1H_bDpT10_ENKUlT_T0_E_clISt17integral_constantIbLb0EES1V_EEDaS1Q_S1R_EUlS1Q_E_NS1_11comp_targetILNS1_3genE2ELNS1_11target_archE906ELNS1_3gpuE6ELNS1_3repE0EEENS1_30default_config_static_selectorELNS0_4arch9wavefront6targetE0EEEvS13_: ; @_ZN7rocprim17ROCPRIM_400000_NS6detail17trampoline_kernelINS0_13select_configILj256ELj13ELNS0_17block_load_methodE3ELS4_3ELS4_3ELNS0_20block_scan_algorithmE0ELj4294967295EEENS1_25partition_config_selectorILNS1_17partition_subalgoE4EjNS0_10empty_typeEbEEZZNS1_14partition_implILS8_4ELb0ES6_15HIP_vector_typeIjLj2EENS0_17counting_iteratorIjlEEPS9_SG_NS0_5tupleIJPjSI_NS0_16reverse_iteratorISI_EEEEENSH_IJSG_SG_SG_EEES9_SI_JZNS1_25segmented_radix_sort_implINS0_14default_configELb0EPK6__halfPSP_PKlPlN2at6native12_GLOBAL__N_18offset_tEEE10hipError_tPvRmT1_PNSt15iterator_traitsIS13_E10value_typeET2_T3_PNS14_IS19_E10value_typeET4_jRbjT5_S1F_jjP12ihipStream_tbEUljE_ZNSN_ISO_Lb0ESR_SS_SU_SV_SZ_EES10_S11_S12_S13_S17_S18_S19_S1C_S1D_jS1E_jS1F_S1F_jjS1H_bEUljE0_EEES10_S11_S12_S19_S1D_S1F_T6_T7_T9_mT8_S1H_bDpT10_ENKUlT_T0_E_clISt17integral_constantIbLb0EES1V_EEDaS1Q_S1R_EUlS1Q_E_NS1_11comp_targetILNS1_3genE2ELNS1_11target_archE906ELNS1_3gpuE6ELNS1_3repE0EEENS1_30default_config_static_selectorELNS0_4arch9wavefront6targetE0EEEvS13_
; %bb.0:
	.section	.rodata,"a",@progbits
	.p2align	6, 0x0
	.amdhsa_kernel _ZN7rocprim17ROCPRIM_400000_NS6detail17trampoline_kernelINS0_13select_configILj256ELj13ELNS0_17block_load_methodE3ELS4_3ELS4_3ELNS0_20block_scan_algorithmE0ELj4294967295EEENS1_25partition_config_selectorILNS1_17partition_subalgoE4EjNS0_10empty_typeEbEEZZNS1_14partition_implILS8_4ELb0ES6_15HIP_vector_typeIjLj2EENS0_17counting_iteratorIjlEEPS9_SG_NS0_5tupleIJPjSI_NS0_16reverse_iteratorISI_EEEEENSH_IJSG_SG_SG_EEES9_SI_JZNS1_25segmented_radix_sort_implINS0_14default_configELb0EPK6__halfPSP_PKlPlN2at6native12_GLOBAL__N_18offset_tEEE10hipError_tPvRmT1_PNSt15iterator_traitsIS13_E10value_typeET2_T3_PNS14_IS19_E10value_typeET4_jRbjT5_S1F_jjP12ihipStream_tbEUljE_ZNSN_ISO_Lb0ESR_SS_SU_SV_SZ_EES10_S11_S12_S13_S17_S18_S19_S1C_S1D_jS1E_jS1F_S1F_jjS1H_bEUljE0_EEES10_S11_S12_S19_S1D_S1F_T6_T7_T9_mT8_S1H_bDpT10_ENKUlT_T0_E_clISt17integral_constantIbLb0EES1V_EEDaS1Q_S1R_EUlS1Q_E_NS1_11comp_targetILNS1_3genE2ELNS1_11target_archE906ELNS1_3gpuE6ELNS1_3repE0EEENS1_30default_config_static_selectorELNS0_4arch9wavefront6targetE0EEEvS13_
		.amdhsa_group_segment_fixed_size 0
		.amdhsa_private_segment_fixed_size 0
		.amdhsa_kernarg_size 176
		.amdhsa_user_sgpr_count 15
		.amdhsa_user_sgpr_dispatch_ptr 0
		.amdhsa_user_sgpr_queue_ptr 0
		.amdhsa_user_sgpr_kernarg_segment_ptr 1
		.amdhsa_user_sgpr_dispatch_id 0
		.amdhsa_user_sgpr_private_segment_size 0
		.amdhsa_wavefront_size32 1
		.amdhsa_uses_dynamic_stack 0
		.amdhsa_enable_private_segment 0
		.amdhsa_system_sgpr_workgroup_id_x 1
		.amdhsa_system_sgpr_workgroup_id_y 0
		.amdhsa_system_sgpr_workgroup_id_z 0
		.amdhsa_system_sgpr_workgroup_info 0
		.amdhsa_system_vgpr_workitem_id 0
		.amdhsa_next_free_vgpr 1
		.amdhsa_next_free_sgpr 1
		.amdhsa_reserve_vcc 0
		.amdhsa_float_round_mode_32 0
		.amdhsa_float_round_mode_16_64 0
		.amdhsa_float_denorm_mode_32 3
		.amdhsa_float_denorm_mode_16_64 3
		.amdhsa_dx10_clamp 1
		.amdhsa_ieee_mode 1
		.amdhsa_fp16_overflow 0
		.amdhsa_workgroup_processor_mode 1
		.amdhsa_memory_ordered 1
		.amdhsa_forward_progress 0
		.amdhsa_shared_vgpr_count 0
		.amdhsa_exception_fp_ieee_invalid_op 0
		.amdhsa_exception_fp_denorm_src 0
		.amdhsa_exception_fp_ieee_div_zero 0
		.amdhsa_exception_fp_ieee_overflow 0
		.amdhsa_exception_fp_ieee_underflow 0
		.amdhsa_exception_fp_ieee_inexact 0
		.amdhsa_exception_int_div_zero 0
	.end_amdhsa_kernel
	.section	.text._ZN7rocprim17ROCPRIM_400000_NS6detail17trampoline_kernelINS0_13select_configILj256ELj13ELNS0_17block_load_methodE3ELS4_3ELS4_3ELNS0_20block_scan_algorithmE0ELj4294967295EEENS1_25partition_config_selectorILNS1_17partition_subalgoE4EjNS0_10empty_typeEbEEZZNS1_14partition_implILS8_4ELb0ES6_15HIP_vector_typeIjLj2EENS0_17counting_iteratorIjlEEPS9_SG_NS0_5tupleIJPjSI_NS0_16reverse_iteratorISI_EEEEENSH_IJSG_SG_SG_EEES9_SI_JZNS1_25segmented_radix_sort_implINS0_14default_configELb0EPK6__halfPSP_PKlPlN2at6native12_GLOBAL__N_18offset_tEEE10hipError_tPvRmT1_PNSt15iterator_traitsIS13_E10value_typeET2_T3_PNS14_IS19_E10value_typeET4_jRbjT5_S1F_jjP12ihipStream_tbEUljE_ZNSN_ISO_Lb0ESR_SS_SU_SV_SZ_EES10_S11_S12_S13_S17_S18_S19_S1C_S1D_jS1E_jS1F_S1F_jjS1H_bEUljE0_EEES10_S11_S12_S19_S1D_S1F_T6_T7_T9_mT8_S1H_bDpT10_ENKUlT_T0_E_clISt17integral_constantIbLb0EES1V_EEDaS1Q_S1R_EUlS1Q_E_NS1_11comp_targetILNS1_3genE2ELNS1_11target_archE906ELNS1_3gpuE6ELNS1_3repE0EEENS1_30default_config_static_selectorELNS0_4arch9wavefront6targetE0EEEvS13_,"axG",@progbits,_ZN7rocprim17ROCPRIM_400000_NS6detail17trampoline_kernelINS0_13select_configILj256ELj13ELNS0_17block_load_methodE3ELS4_3ELS4_3ELNS0_20block_scan_algorithmE0ELj4294967295EEENS1_25partition_config_selectorILNS1_17partition_subalgoE4EjNS0_10empty_typeEbEEZZNS1_14partition_implILS8_4ELb0ES6_15HIP_vector_typeIjLj2EENS0_17counting_iteratorIjlEEPS9_SG_NS0_5tupleIJPjSI_NS0_16reverse_iteratorISI_EEEEENSH_IJSG_SG_SG_EEES9_SI_JZNS1_25segmented_radix_sort_implINS0_14default_configELb0EPK6__halfPSP_PKlPlN2at6native12_GLOBAL__N_18offset_tEEE10hipError_tPvRmT1_PNSt15iterator_traitsIS13_E10value_typeET2_T3_PNS14_IS19_E10value_typeET4_jRbjT5_S1F_jjP12ihipStream_tbEUljE_ZNSN_ISO_Lb0ESR_SS_SU_SV_SZ_EES10_S11_S12_S13_S17_S18_S19_S1C_S1D_jS1E_jS1F_S1F_jjS1H_bEUljE0_EEES10_S11_S12_S19_S1D_S1F_T6_T7_T9_mT8_S1H_bDpT10_ENKUlT_T0_E_clISt17integral_constantIbLb0EES1V_EEDaS1Q_S1R_EUlS1Q_E_NS1_11comp_targetILNS1_3genE2ELNS1_11target_archE906ELNS1_3gpuE6ELNS1_3repE0EEENS1_30default_config_static_selectorELNS0_4arch9wavefront6targetE0EEEvS13_,comdat
.Lfunc_end1782:
	.size	_ZN7rocprim17ROCPRIM_400000_NS6detail17trampoline_kernelINS0_13select_configILj256ELj13ELNS0_17block_load_methodE3ELS4_3ELS4_3ELNS0_20block_scan_algorithmE0ELj4294967295EEENS1_25partition_config_selectorILNS1_17partition_subalgoE4EjNS0_10empty_typeEbEEZZNS1_14partition_implILS8_4ELb0ES6_15HIP_vector_typeIjLj2EENS0_17counting_iteratorIjlEEPS9_SG_NS0_5tupleIJPjSI_NS0_16reverse_iteratorISI_EEEEENSH_IJSG_SG_SG_EEES9_SI_JZNS1_25segmented_radix_sort_implINS0_14default_configELb0EPK6__halfPSP_PKlPlN2at6native12_GLOBAL__N_18offset_tEEE10hipError_tPvRmT1_PNSt15iterator_traitsIS13_E10value_typeET2_T3_PNS14_IS19_E10value_typeET4_jRbjT5_S1F_jjP12ihipStream_tbEUljE_ZNSN_ISO_Lb0ESR_SS_SU_SV_SZ_EES10_S11_S12_S13_S17_S18_S19_S1C_S1D_jS1E_jS1F_S1F_jjS1H_bEUljE0_EEES10_S11_S12_S19_S1D_S1F_T6_T7_T9_mT8_S1H_bDpT10_ENKUlT_T0_E_clISt17integral_constantIbLb0EES1V_EEDaS1Q_S1R_EUlS1Q_E_NS1_11comp_targetILNS1_3genE2ELNS1_11target_archE906ELNS1_3gpuE6ELNS1_3repE0EEENS1_30default_config_static_selectorELNS0_4arch9wavefront6targetE0EEEvS13_, .Lfunc_end1782-_ZN7rocprim17ROCPRIM_400000_NS6detail17trampoline_kernelINS0_13select_configILj256ELj13ELNS0_17block_load_methodE3ELS4_3ELS4_3ELNS0_20block_scan_algorithmE0ELj4294967295EEENS1_25partition_config_selectorILNS1_17partition_subalgoE4EjNS0_10empty_typeEbEEZZNS1_14partition_implILS8_4ELb0ES6_15HIP_vector_typeIjLj2EENS0_17counting_iteratorIjlEEPS9_SG_NS0_5tupleIJPjSI_NS0_16reverse_iteratorISI_EEEEENSH_IJSG_SG_SG_EEES9_SI_JZNS1_25segmented_radix_sort_implINS0_14default_configELb0EPK6__halfPSP_PKlPlN2at6native12_GLOBAL__N_18offset_tEEE10hipError_tPvRmT1_PNSt15iterator_traitsIS13_E10value_typeET2_T3_PNS14_IS19_E10value_typeET4_jRbjT5_S1F_jjP12ihipStream_tbEUljE_ZNSN_ISO_Lb0ESR_SS_SU_SV_SZ_EES10_S11_S12_S13_S17_S18_S19_S1C_S1D_jS1E_jS1F_S1F_jjS1H_bEUljE0_EEES10_S11_S12_S19_S1D_S1F_T6_T7_T9_mT8_S1H_bDpT10_ENKUlT_T0_E_clISt17integral_constantIbLb0EES1V_EEDaS1Q_S1R_EUlS1Q_E_NS1_11comp_targetILNS1_3genE2ELNS1_11target_archE906ELNS1_3gpuE6ELNS1_3repE0EEENS1_30default_config_static_selectorELNS0_4arch9wavefront6targetE0EEEvS13_
                                        ; -- End function
	.section	.AMDGPU.csdata,"",@progbits
; Kernel info:
; codeLenInByte = 0
; NumSgprs: 0
; NumVgprs: 0
; ScratchSize: 0
; MemoryBound: 0
; FloatMode: 240
; IeeeMode: 1
; LDSByteSize: 0 bytes/workgroup (compile time only)
; SGPRBlocks: 0
; VGPRBlocks: 0
; NumSGPRsForWavesPerEU: 1
; NumVGPRsForWavesPerEU: 1
; Occupancy: 16
; WaveLimiterHint : 0
; COMPUTE_PGM_RSRC2:SCRATCH_EN: 0
; COMPUTE_PGM_RSRC2:USER_SGPR: 15
; COMPUTE_PGM_RSRC2:TRAP_HANDLER: 0
; COMPUTE_PGM_RSRC2:TGID_X_EN: 1
; COMPUTE_PGM_RSRC2:TGID_Y_EN: 0
; COMPUTE_PGM_RSRC2:TGID_Z_EN: 0
; COMPUTE_PGM_RSRC2:TIDIG_COMP_CNT: 0
	.section	.text._ZN7rocprim17ROCPRIM_400000_NS6detail17trampoline_kernelINS0_13select_configILj256ELj13ELNS0_17block_load_methodE3ELS4_3ELS4_3ELNS0_20block_scan_algorithmE0ELj4294967295EEENS1_25partition_config_selectorILNS1_17partition_subalgoE4EjNS0_10empty_typeEbEEZZNS1_14partition_implILS8_4ELb0ES6_15HIP_vector_typeIjLj2EENS0_17counting_iteratorIjlEEPS9_SG_NS0_5tupleIJPjSI_NS0_16reverse_iteratorISI_EEEEENSH_IJSG_SG_SG_EEES9_SI_JZNS1_25segmented_radix_sort_implINS0_14default_configELb0EPK6__halfPSP_PKlPlN2at6native12_GLOBAL__N_18offset_tEEE10hipError_tPvRmT1_PNSt15iterator_traitsIS13_E10value_typeET2_T3_PNS14_IS19_E10value_typeET4_jRbjT5_S1F_jjP12ihipStream_tbEUljE_ZNSN_ISO_Lb0ESR_SS_SU_SV_SZ_EES10_S11_S12_S13_S17_S18_S19_S1C_S1D_jS1E_jS1F_S1F_jjS1H_bEUljE0_EEES10_S11_S12_S19_S1D_S1F_T6_T7_T9_mT8_S1H_bDpT10_ENKUlT_T0_E_clISt17integral_constantIbLb0EES1V_EEDaS1Q_S1R_EUlS1Q_E_NS1_11comp_targetILNS1_3genE10ELNS1_11target_archE1200ELNS1_3gpuE4ELNS1_3repE0EEENS1_30default_config_static_selectorELNS0_4arch9wavefront6targetE0EEEvS13_,"axG",@progbits,_ZN7rocprim17ROCPRIM_400000_NS6detail17trampoline_kernelINS0_13select_configILj256ELj13ELNS0_17block_load_methodE3ELS4_3ELS4_3ELNS0_20block_scan_algorithmE0ELj4294967295EEENS1_25partition_config_selectorILNS1_17partition_subalgoE4EjNS0_10empty_typeEbEEZZNS1_14partition_implILS8_4ELb0ES6_15HIP_vector_typeIjLj2EENS0_17counting_iteratorIjlEEPS9_SG_NS0_5tupleIJPjSI_NS0_16reverse_iteratorISI_EEEEENSH_IJSG_SG_SG_EEES9_SI_JZNS1_25segmented_radix_sort_implINS0_14default_configELb0EPK6__halfPSP_PKlPlN2at6native12_GLOBAL__N_18offset_tEEE10hipError_tPvRmT1_PNSt15iterator_traitsIS13_E10value_typeET2_T3_PNS14_IS19_E10value_typeET4_jRbjT5_S1F_jjP12ihipStream_tbEUljE_ZNSN_ISO_Lb0ESR_SS_SU_SV_SZ_EES10_S11_S12_S13_S17_S18_S19_S1C_S1D_jS1E_jS1F_S1F_jjS1H_bEUljE0_EEES10_S11_S12_S19_S1D_S1F_T6_T7_T9_mT8_S1H_bDpT10_ENKUlT_T0_E_clISt17integral_constantIbLb0EES1V_EEDaS1Q_S1R_EUlS1Q_E_NS1_11comp_targetILNS1_3genE10ELNS1_11target_archE1200ELNS1_3gpuE4ELNS1_3repE0EEENS1_30default_config_static_selectorELNS0_4arch9wavefront6targetE0EEEvS13_,comdat
	.globl	_ZN7rocprim17ROCPRIM_400000_NS6detail17trampoline_kernelINS0_13select_configILj256ELj13ELNS0_17block_load_methodE3ELS4_3ELS4_3ELNS0_20block_scan_algorithmE0ELj4294967295EEENS1_25partition_config_selectorILNS1_17partition_subalgoE4EjNS0_10empty_typeEbEEZZNS1_14partition_implILS8_4ELb0ES6_15HIP_vector_typeIjLj2EENS0_17counting_iteratorIjlEEPS9_SG_NS0_5tupleIJPjSI_NS0_16reverse_iteratorISI_EEEEENSH_IJSG_SG_SG_EEES9_SI_JZNS1_25segmented_radix_sort_implINS0_14default_configELb0EPK6__halfPSP_PKlPlN2at6native12_GLOBAL__N_18offset_tEEE10hipError_tPvRmT1_PNSt15iterator_traitsIS13_E10value_typeET2_T3_PNS14_IS19_E10value_typeET4_jRbjT5_S1F_jjP12ihipStream_tbEUljE_ZNSN_ISO_Lb0ESR_SS_SU_SV_SZ_EES10_S11_S12_S13_S17_S18_S19_S1C_S1D_jS1E_jS1F_S1F_jjS1H_bEUljE0_EEES10_S11_S12_S19_S1D_S1F_T6_T7_T9_mT8_S1H_bDpT10_ENKUlT_T0_E_clISt17integral_constantIbLb0EES1V_EEDaS1Q_S1R_EUlS1Q_E_NS1_11comp_targetILNS1_3genE10ELNS1_11target_archE1200ELNS1_3gpuE4ELNS1_3repE0EEENS1_30default_config_static_selectorELNS0_4arch9wavefront6targetE0EEEvS13_ ; -- Begin function _ZN7rocprim17ROCPRIM_400000_NS6detail17trampoline_kernelINS0_13select_configILj256ELj13ELNS0_17block_load_methodE3ELS4_3ELS4_3ELNS0_20block_scan_algorithmE0ELj4294967295EEENS1_25partition_config_selectorILNS1_17partition_subalgoE4EjNS0_10empty_typeEbEEZZNS1_14partition_implILS8_4ELb0ES6_15HIP_vector_typeIjLj2EENS0_17counting_iteratorIjlEEPS9_SG_NS0_5tupleIJPjSI_NS0_16reverse_iteratorISI_EEEEENSH_IJSG_SG_SG_EEES9_SI_JZNS1_25segmented_radix_sort_implINS0_14default_configELb0EPK6__halfPSP_PKlPlN2at6native12_GLOBAL__N_18offset_tEEE10hipError_tPvRmT1_PNSt15iterator_traitsIS13_E10value_typeET2_T3_PNS14_IS19_E10value_typeET4_jRbjT5_S1F_jjP12ihipStream_tbEUljE_ZNSN_ISO_Lb0ESR_SS_SU_SV_SZ_EES10_S11_S12_S13_S17_S18_S19_S1C_S1D_jS1E_jS1F_S1F_jjS1H_bEUljE0_EEES10_S11_S12_S19_S1D_S1F_T6_T7_T9_mT8_S1H_bDpT10_ENKUlT_T0_E_clISt17integral_constantIbLb0EES1V_EEDaS1Q_S1R_EUlS1Q_E_NS1_11comp_targetILNS1_3genE10ELNS1_11target_archE1200ELNS1_3gpuE4ELNS1_3repE0EEENS1_30default_config_static_selectorELNS0_4arch9wavefront6targetE0EEEvS13_
	.p2align	8
	.type	_ZN7rocprim17ROCPRIM_400000_NS6detail17trampoline_kernelINS0_13select_configILj256ELj13ELNS0_17block_load_methodE3ELS4_3ELS4_3ELNS0_20block_scan_algorithmE0ELj4294967295EEENS1_25partition_config_selectorILNS1_17partition_subalgoE4EjNS0_10empty_typeEbEEZZNS1_14partition_implILS8_4ELb0ES6_15HIP_vector_typeIjLj2EENS0_17counting_iteratorIjlEEPS9_SG_NS0_5tupleIJPjSI_NS0_16reverse_iteratorISI_EEEEENSH_IJSG_SG_SG_EEES9_SI_JZNS1_25segmented_radix_sort_implINS0_14default_configELb0EPK6__halfPSP_PKlPlN2at6native12_GLOBAL__N_18offset_tEEE10hipError_tPvRmT1_PNSt15iterator_traitsIS13_E10value_typeET2_T3_PNS14_IS19_E10value_typeET4_jRbjT5_S1F_jjP12ihipStream_tbEUljE_ZNSN_ISO_Lb0ESR_SS_SU_SV_SZ_EES10_S11_S12_S13_S17_S18_S19_S1C_S1D_jS1E_jS1F_S1F_jjS1H_bEUljE0_EEES10_S11_S12_S19_S1D_S1F_T6_T7_T9_mT8_S1H_bDpT10_ENKUlT_T0_E_clISt17integral_constantIbLb0EES1V_EEDaS1Q_S1R_EUlS1Q_E_NS1_11comp_targetILNS1_3genE10ELNS1_11target_archE1200ELNS1_3gpuE4ELNS1_3repE0EEENS1_30default_config_static_selectorELNS0_4arch9wavefront6targetE0EEEvS13_,@function
_ZN7rocprim17ROCPRIM_400000_NS6detail17trampoline_kernelINS0_13select_configILj256ELj13ELNS0_17block_load_methodE3ELS4_3ELS4_3ELNS0_20block_scan_algorithmE0ELj4294967295EEENS1_25partition_config_selectorILNS1_17partition_subalgoE4EjNS0_10empty_typeEbEEZZNS1_14partition_implILS8_4ELb0ES6_15HIP_vector_typeIjLj2EENS0_17counting_iteratorIjlEEPS9_SG_NS0_5tupleIJPjSI_NS0_16reverse_iteratorISI_EEEEENSH_IJSG_SG_SG_EEES9_SI_JZNS1_25segmented_radix_sort_implINS0_14default_configELb0EPK6__halfPSP_PKlPlN2at6native12_GLOBAL__N_18offset_tEEE10hipError_tPvRmT1_PNSt15iterator_traitsIS13_E10value_typeET2_T3_PNS14_IS19_E10value_typeET4_jRbjT5_S1F_jjP12ihipStream_tbEUljE_ZNSN_ISO_Lb0ESR_SS_SU_SV_SZ_EES10_S11_S12_S13_S17_S18_S19_S1C_S1D_jS1E_jS1F_S1F_jjS1H_bEUljE0_EEES10_S11_S12_S19_S1D_S1F_T6_T7_T9_mT8_S1H_bDpT10_ENKUlT_T0_E_clISt17integral_constantIbLb0EES1V_EEDaS1Q_S1R_EUlS1Q_E_NS1_11comp_targetILNS1_3genE10ELNS1_11target_archE1200ELNS1_3gpuE4ELNS1_3repE0EEENS1_30default_config_static_selectorELNS0_4arch9wavefront6targetE0EEEvS13_: ; @_ZN7rocprim17ROCPRIM_400000_NS6detail17trampoline_kernelINS0_13select_configILj256ELj13ELNS0_17block_load_methodE3ELS4_3ELS4_3ELNS0_20block_scan_algorithmE0ELj4294967295EEENS1_25partition_config_selectorILNS1_17partition_subalgoE4EjNS0_10empty_typeEbEEZZNS1_14partition_implILS8_4ELb0ES6_15HIP_vector_typeIjLj2EENS0_17counting_iteratorIjlEEPS9_SG_NS0_5tupleIJPjSI_NS0_16reverse_iteratorISI_EEEEENSH_IJSG_SG_SG_EEES9_SI_JZNS1_25segmented_radix_sort_implINS0_14default_configELb0EPK6__halfPSP_PKlPlN2at6native12_GLOBAL__N_18offset_tEEE10hipError_tPvRmT1_PNSt15iterator_traitsIS13_E10value_typeET2_T3_PNS14_IS19_E10value_typeET4_jRbjT5_S1F_jjP12ihipStream_tbEUljE_ZNSN_ISO_Lb0ESR_SS_SU_SV_SZ_EES10_S11_S12_S13_S17_S18_S19_S1C_S1D_jS1E_jS1F_S1F_jjS1H_bEUljE0_EEES10_S11_S12_S19_S1D_S1F_T6_T7_T9_mT8_S1H_bDpT10_ENKUlT_T0_E_clISt17integral_constantIbLb0EES1V_EEDaS1Q_S1R_EUlS1Q_E_NS1_11comp_targetILNS1_3genE10ELNS1_11target_archE1200ELNS1_3gpuE4ELNS1_3repE0EEENS1_30default_config_static_selectorELNS0_4arch9wavefront6targetE0EEEvS13_
; %bb.0:
	.section	.rodata,"a",@progbits
	.p2align	6, 0x0
	.amdhsa_kernel _ZN7rocprim17ROCPRIM_400000_NS6detail17trampoline_kernelINS0_13select_configILj256ELj13ELNS0_17block_load_methodE3ELS4_3ELS4_3ELNS0_20block_scan_algorithmE0ELj4294967295EEENS1_25partition_config_selectorILNS1_17partition_subalgoE4EjNS0_10empty_typeEbEEZZNS1_14partition_implILS8_4ELb0ES6_15HIP_vector_typeIjLj2EENS0_17counting_iteratorIjlEEPS9_SG_NS0_5tupleIJPjSI_NS0_16reverse_iteratorISI_EEEEENSH_IJSG_SG_SG_EEES9_SI_JZNS1_25segmented_radix_sort_implINS0_14default_configELb0EPK6__halfPSP_PKlPlN2at6native12_GLOBAL__N_18offset_tEEE10hipError_tPvRmT1_PNSt15iterator_traitsIS13_E10value_typeET2_T3_PNS14_IS19_E10value_typeET4_jRbjT5_S1F_jjP12ihipStream_tbEUljE_ZNSN_ISO_Lb0ESR_SS_SU_SV_SZ_EES10_S11_S12_S13_S17_S18_S19_S1C_S1D_jS1E_jS1F_S1F_jjS1H_bEUljE0_EEES10_S11_S12_S19_S1D_S1F_T6_T7_T9_mT8_S1H_bDpT10_ENKUlT_T0_E_clISt17integral_constantIbLb0EES1V_EEDaS1Q_S1R_EUlS1Q_E_NS1_11comp_targetILNS1_3genE10ELNS1_11target_archE1200ELNS1_3gpuE4ELNS1_3repE0EEENS1_30default_config_static_selectorELNS0_4arch9wavefront6targetE0EEEvS13_
		.amdhsa_group_segment_fixed_size 0
		.amdhsa_private_segment_fixed_size 0
		.amdhsa_kernarg_size 176
		.amdhsa_user_sgpr_count 15
		.amdhsa_user_sgpr_dispatch_ptr 0
		.amdhsa_user_sgpr_queue_ptr 0
		.amdhsa_user_sgpr_kernarg_segment_ptr 1
		.amdhsa_user_sgpr_dispatch_id 0
		.amdhsa_user_sgpr_private_segment_size 0
		.amdhsa_wavefront_size32 1
		.amdhsa_uses_dynamic_stack 0
		.amdhsa_enable_private_segment 0
		.amdhsa_system_sgpr_workgroup_id_x 1
		.amdhsa_system_sgpr_workgroup_id_y 0
		.amdhsa_system_sgpr_workgroup_id_z 0
		.amdhsa_system_sgpr_workgroup_info 0
		.amdhsa_system_vgpr_workitem_id 0
		.amdhsa_next_free_vgpr 1
		.amdhsa_next_free_sgpr 1
		.amdhsa_reserve_vcc 0
		.amdhsa_float_round_mode_32 0
		.amdhsa_float_round_mode_16_64 0
		.amdhsa_float_denorm_mode_32 3
		.amdhsa_float_denorm_mode_16_64 3
		.amdhsa_dx10_clamp 1
		.amdhsa_ieee_mode 1
		.amdhsa_fp16_overflow 0
		.amdhsa_workgroup_processor_mode 1
		.amdhsa_memory_ordered 1
		.amdhsa_forward_progress 0
		.amdhsa_shared_vgpr_count 0
		.amdhsa_exception_fp_ieee_invalid_op 0
		.amdhsa_exception_fp_denorm_src 0
		.amdhsa_exception_fp_ieee_div_zero 0
		.amdhsa_exception_fp_ieee_overflow 0
		.amdhsa_exception_fp_ieee_underflow 0
		.amdhsa_exception_fp_ieee_inexact 0
		.amdhsa_exception_int_div_zero 0
	.end_amdhsa_kernel
	.section	.text._ZN7rocprim17ROCPRIM_400000_NS6detail17trampoline_kernelINS0_13select_configILj256ELj13ELNS0_17block_load_methodE3ELS4_3ELS4_3ELNS0_20block_scan_algorithmE0ELj4294967295EEENS1_25partition_config_selectorILNS1_17partition_subalgoE4EjNS0_10empty_typeEbEEZZNS1_14partition_implILS8_4ELb0ES6_15HIP_vector_typeIjLj2EENS0_17counting_iteratorIjlEEPS9_SG_NS0_5tupleIJPjSI_NS0_16reverse_iteratorISI_EEEEENSH_IJSG_SG_SG_EEES9_SI_JZNS1_25segmented_radix_sort_implINS0_14default_configELb0EPK6__halfPSP_PKlPlN2at6native12_GLOBAL__N_18offset_tEEE10hipError_tPvRmT1_PNSt15iterator_traitsIS13_E10value_typeET2_T3_PNS14_IS19_E10value_typeET4_jRbjT5_S1F_jjP12ihipStream_tbEUljE_ZNSN_ISO_Lb0ESR_SS_SU_SV_SZ_EES10_S11_S12_S13_S17_S18_S19_S1C_S1D_jS1E_jS1F_S1F_jjS1H_bEUljE0_EEES10_S11_S12_S19_S1D_S1F_T6_T7_T9_mT8_S1H_bDpT10_ENKUlT_T0_E_clISt17integral_constantIbLb0EES1V_EEDaS1Q_S1R_EUlS1Q_E_NS1_11comp_targetILNS1_3genE10ELNS1_11target_archE1200ELNS1_3gpuE4ELNS1_3repE0EEENS1_30default_config_static_selectorELNS0_4arch9wavefront6targetE0EEEvS13_,"axG",@progbits,_ZN7rocprim17ROCPRIM_400000_NS6detail17trampoline_kernelINS0_13select_configILj256ELj13ELNS0_17block_load_methodE3ELS4_3ELS4_3ELNS0_20block_scan_algorithmE0ELj4294967295EEENS1_25partition_config_selectorILNS1_17partition_subalgoE4EjNS0_10empty_typeEbEEZZNS1_14partition_implILS8_4ELb0ES6_15HIP_vector_typeIjLj2EENS0_17counting_iteratorIjlEEPS9_SG_NS0_5tupleIJPjSI_NS0_16reverse_iteratorISI_EEEEENSH_IJSG_SG_SG_EEES9_SI_JZNS1_25segmented_radix_sort_implINS0_14default_configELb0EPK6__halfPSP_PKlPlN2at6native12_GLOBAL__N_18offset_tEEE10hipError_tPvRmT1_PNSt15iterator_traitsIS13_E10value_typeET2_T3_PNS14_IS19_E10value_typeET4_jRbjT5_S1F_jjP12ihipStream_tbEUljE_ZNSN_ISO_Lb0ESR_SS_SU_SV_SZ_EES10_S11_S12_S13_S17_S18_S19_S1C_S1D_jS1E_jS1F_S1F_jjS1H_bEUljE0_EEES10_S11_S12_S19_S1D_S1F_T6_T7_T9_mT8_S1H_bDpT10_ENKUlT_T0_E_clISt17integral_constantIbLb0EES1V_EEDaS1Q_S1R_EUlS1Q_E_NS1_11comp_targetILNS1_3genE10ELNS1_11target_archE1200ELNS1_3gpuE4ELNS1_3repE0EEENS1_30default_config_static_selectorELNS0_4arch9wavefront6targetE0EEEvS13_,comdat
.Lfunc_end1783:
	.size	_ZN7rocprim17ROCPRIM_400000_NS6detail17trampoline_kernelINS0_13select_configILj256ELj13ELNS0_17block_load_methodE3ELS4_3ELS4_3ELNS0_20block_scan_algorithmE0ELj4294967295EEENS1_25partition_config_selectorILNS1_17partition_subalgoE4EjNS0_10empty_typeEbEEZZNS1_14partition_implILS8_4ELb0ES6_15HIP_vector_typeIjLj2EENS0_17counting_iteratorIjlEEPS9_SG_NS0_5tupleIJPjSI_NS0_16reverse_iteratorISI_EEEEENSH_IJSG_SG_SG_EEES9_SI_JZNS1_25segmented_radix_sort_implINS0_14default_configELb0EPK6__halfPSP_PKlPlN2at6native12_GLOBAL__N_18offset_tEEE10hipError_tPvRmT1_PNSt15iterator_traitsIS13_E10value_typeET2_T3_PNS14_IS19_E10value_typeET4_jRbjT5_S1F_jjP12ihipStream_tbEUljE_ZNSN_ISO_Lb0ESR_SS_SU_SV_SZ_EES10_S11_S12_S13_S17_S18_S19_S1C_S1D_jS1E_jS1F_S1F_jjS1H_bEUljE0_EEES10_S11_S12_S19_S1D_S1F_T6_T7_T9_mT8_S1H_bDpT10_ENKUlT_T0_E_clISt17integral_constantIbLb0EES1V_EEDaS1Q_S1R_EUlS1Q_E_NS1_11comp_targetILNS1_3genE10ELNS1_11target_archE1200ELNS1_3gpuE4ELNS1_3repE0EEENS1_30default_config_static_selectorELNS0_4arch9wavefront6targetE0EEEvS13_, .Lfunc_end1783-_ZN7rocprim17ROCPRIM_400000_NS6detail17trampoline_kernelINS0_13select_configILj256ELj13ELNS0_17block_load_methodE3ELS4_3ELS4_3ELNS0_20block_scan_algorithmE0ELj4294967295EEENS1_25partition_config_selectorILNS1_17partition_subalgoE4EjNS0_10empty_typeEbEEZZNS1_14partition_implILS8_4ELb0ES6_15HIP_vector_typeIjLj2EENS0_17counting_iteratorIjlEEPS9_SG_NS0_5tupleIJPjSI_NS0_16reverse_iteratorISI_EEEEENSH_IJSG_SG_SG_EEES9_SI_JZNS1_25segmented_radix_sort_implINS0_14default_configELb0EPK6__halfPSP_PKlPlN2at6native12_GLOBAL__N_18offset_tEEE10hipError_tPvRmT1_PNSt15iterator_traitsIS13_E10value_typeET2_T3_PNS14_IS19_E10value_typeET4_jRbjT5_S1F_jjP12ihipStream_tbEUljE_ZNSN_ISO_Lb0ESR_SS_SU_SV_SZ_EES10_S11_S12_S13_S17_S18_S19_S1C_S1D_jS1E_jS1F_S1F_jjS1H_bEUljE0_EEES10_S11_S12_S19_S1D_S1F_T6_T7_T9_mT8_S1H_bDpT10_ENKUlT_T0_E_clISt17integral_constantIbLb0EES1V_EEDaS1Q_S1R_EUlS1Q_E_NS1_11comp_targetILNS1_3genE10ELNS1_11target_archE1200ELNS1_3gpuE4ELNS1_3repE0EEENS1_30default_config_static_selectorELNS0_4arch9wavefront6targetE0EEEvS13_
                                        ; -- End function
	.section	.AMDGPU.csdata,"",@progbits
; Kernel info:
; codeLenInByte = 0
; NumSgprs: 0
; NumVgprs: 0
; ScratchSize: 0
; MemoryBound: 0
; FloatMode: 240
; IeeeMode: 1
; LDSByteSize: 0 bytes/workgroup (compile time only)
; SGPRBlocks: 0
; VGPRBlocks: 0
; NumSGPRsForWavesPerEU: 1
; NumVGPRsForWavesPerEU: 1
; Occupancy: 16
; WaveLimiterHint : 0
; COMPUTE_PGM_RSRC2:SCRATCH_EN: 0
; COMPUTE_PGM_RSRC2:USER_SGPR: 15
; COMPUTE_PGM_RSRC2:TRAP_HANDLER: 0
; COMPUTE_PGM_RSRC2:TGID_X_EN: 1
; COMPUTE_PGM_RSRC2:TGID_Y_EN: 0
; COMPUTE_PGM_RSRC2:TGID_Z_EN: 0
; COMPUTE_PGM_RSRC2:TIDIG_COMP_CNT: 0
	.section	.text._ZN7rocprim17ROCPRIM_400000_NS6detail17trampoline_kernelINS0_13select_configILj256ELj13ELNS0_17block_load_methodE3ELS4_3ELS4_3ELNS0_20block_scan_algorithmE0ELj4294967295EEENS1_25partition_config_selectorILNS1_17partition_subalgoE4EjNS0_10empty_typeEbEEZZNS1_14partition_implILS8_4ELb0ES6_15HIP_vector_typeIjLj2EENS0_17counting_iteratorIjlEEPS9_SG_NS0_5tupleIJPjSI_NS0_16reverse_iteratorISI_EEEEENSH_IJSG_SG_SG_EEES9_SI_JZNS1_25segmented_radix_sort_implINS0_14default_configELb0EPK6__halfPSP_PKlPlN2at6native12_GLOBAL__N_18offset_tEEE10hipError_tPvRmT1_PNSt15iterator_traitsIS13_E10value_typeET2_T3_PNS14_IS19_E10value_typeET4_jRbjT5_S1F_jjP12ihipStream_tbEUljE_ZNSN_ISO_Lb0ESR_SS_SU_SV_SZ_EES10_S11_S12_S13_S17_S18_S19_S1C_S1D_jS1E_jS1F_S1F_jjS1H_bEUljE0_EEES10_S11_S12_S19_S1D_S1F_T6_T7_T9_mT8_S1H_bDpT10_ENKUlT_T0_E_clISt17integral_constantIbLb0EES1V_EEDaS1Q_S1R_EUlS1Q_E_NS1_11comp_targetILNS1_3genE9ELNS1_11target_archE1100ELNS1_3gpuE3ELNS1_3repE0EEENS1_30default_config_static_selectorELNS0_4arch9wavefront6targetE0EEEvS13_,"axG",@progbits,_ZN7rocprim17ROCPRIM_400000_NS6detail17trampoline_kernelINS0_13select_configILj256ELj13ELNS0_17block_load_methodE3ELS4_3ELS4_3ELNS0_20block_scan_algorithmE0ELj4294967295EEENS1_25partition_config_selectorILNS1_17partition_subalgoE4EjNS0_10empty_typeEbEEZZNS1_14partition_implILS8_4ELb0ES6_15HIP_vector_typeIjLj2EENS0_17counting_iteratorIjlEEPS9_SG_NS0_5tupleIJPjSI_NS0_16reverse_iteratorISI_EEEEENSH_IJSG_SG_SG_EEES9_SI_JZNS1_25segmented_radix_sort_implINS0_14default_configELb0EPK6__halfPSP_PKlPlN2at6native12_GLOBAL__N_18offset_tEEE10hipError_tPvRmT1_PNSt15iterator_traitsIS13_E10value_typeET2_T3_PNS14_IS19_E10value_typeET4_jRbjT5_S1F_jjP12ihipStream_tbEUljE_ZNSN_ISO_Lb0ESR_SS_SU_SV_SZ_EES10_S11_S12_S13_S17_S18_S19_S1C_S1D_jS1E_jS1F_S1F_jjS1H_bEUljE0_EEES10_S11_S12_S19_S1D_S1F_T6_T7_T9_mT8_S1H_bDpT10_ENKUlT_T0_E_clISt17integral_constantIbLb0EES1V_EEDaS1Q_S1R_EUlS1Q_E_NS1_11comp_targetILNS1_3genE9ELNS1_11target_archE1100ELNS1_3gpuE3ELNS1_3repE0EEENS1_30default_config_static_selectorELNS0_4arch9wavefront6targetE0EEEvS13_,comdat
	.globl	_ZN7rocprim17ROCPRIM_400000_NS6detail17trampoline_kernelINS0_13select_configILj256ELj13ELNS0_17block_load_methodE3ELS4_3ELS4_3ELNS0_20block_scan_algorithmE0ELj4294967295EEENS1_25partition_config_selectorILNS1_17partition_subalgoE4EjNS0_10empty_typeEbEEZZNS1_14partition_implILS8_4ELb0ES6_15HIP_vector_typeIjLj2EENS0_17counting_iteratorIjlEEPS9_SG_NS0_5tupleIJPjSI_NS0_16reverse_iteratorISI_EEEEENSH_IJSG_SG_SG_EEES9_SI_JZNS1_25segmented_radix_sort_implINS0_14default_configELb0EPK6__halfPSP_PKlPlN2at6native12_GLOBAL__N_18offset_tEEE10hipError_tPvRmT1_PNSt15iterator_traitsIS13_E10value_typeET2_T3_PNS14_IS19_E10value_typeET4_jRbjT5_S1F_jjP12ihipStream_tbEUljE_ZNSN_ISO_Lb0ESR_SS_SU_SV_SZ_EES10_S11_S12_S13_S17_S18_S19_S1C_S1D_jS1E_jS1F_S1F_jjS1H_bEUljE0_EEES10_S11_S12_S19_S1D_S1F_T6_T7_T9_mT8_S1H_bDpT10_ENKUlT_T0_E_clISt17integral_constantIbLb0EES1V_EEDaS1Q_S1R_EUlS1Q_E_NS1_11comp_targetILNS1_3genE9ELNS1_11target_archE1100ELNS1_3gpuE3ELNS1_3repE0EEENS1_30default_config_static_selectorELNS0_4arch9wavefront6targetE0EEEvS13_ ; -- Begin function _ZN7rocprim17ROCPRIM_400000_NS6detail17trampoline_kernelINS0_13select_configILj256ELj13ELNS0_17block_load_methodE3ELS4_3ELS4_3ELNS0_20block_scan_algorithmE0ELj4294967295EEENS1_25partition_config_selectorILNS1_17partition_subalgoE4EjNS0_10empty_typeEbEEZZNS1_14partition_implILS8_4ELb0ES6_15HIP_vector_typeIjLj2EENS0_17counting_iteratorIjlEEPS9_SG_NS0_5tupleIJPjSI_NS0_16reverse_iteratorISI_EEEEENSH_IJSG_SG_SG_EEES9_SI_JZNS1_25segmented_radix_sort_implINS0_14default_configELb0EPK6__halfPSP_PKlPlN2at6native12_GLOBAL__N_18offset_tEEE10hipError_tPvRmT1_PNSt15iterator_traitsIS13_E10value_typeET2_T3_PNS14_IS19_E10value_typeET4_jRbjT5_S1F_jjP12ihipStream_tbEUljE_ZNSN_ISO_Lb0ESR_SS_SU_SV_SZ_EES10_S11_S12_S13_S17_S18_S19_S1C_S1D_jS1E_jS1F_S1F_jjS1H_bEUljE0_EEES10_S11_S12_S19_S1D_S1F_T6_T7_T9_mT8_S1H_bDpT10_ENKUlT_T0_E_clISt17integral_constantIbLb0EES1V_EEDaS1Q_S1R_EUlS1Q_E_NS1_11comp_targetILNS1_3genE9ELNS1_11target_archE1100ELNS1_3gpuE3ELNS1_3repE0EEENS1_30default_config_static_selectorELNS0_4arch9wavefront6targetE0EEEvS13_
	.p2align	8
	.type	_ZN7rocprim17ROCPRIM_400000_NS6detail17trampoline_kernelINS0_13select_configILj256ELj13ELNS0_17block_load_methodE3ELS4_3ELS4_3ELNS0_20block_scan_algorithmE0ELj4294967295EEENS1_25partition_config_selectorILNS1_17partition_subalgoE4EjNS0_10empty_typeEbEEZZNS1_14partition_implILS8_4ELb0ES6_15HIP_vector_typeIjLj2EENS0_17counting_iteratorIjlEEPS9_SG_NS0_5tupleIJPjSI_NS0_16reverse_iteratorISI_EEEEENSH_IJSG_SG_SG_EEES9_SI_JZNS1_25segmented_radix_sort_implINS0_14default_configELb0EPK6__halfPSP_PKlPlN2at6native12_GLOBAL__N_18offset_tEEE10hipError_tPvRmT1_PNSt15iterator_traitsIS13_E10value_typeET2_T3_PNS14_IS19_E10value_typeET4_jRbjT5_S1F_jjP12ihipStream_tbEUljE_ZNSN_ISO_Lb0ESR_SS_SU_SV_SZ_EES10_S11_S12_S13_S17_S18_S19_S1C_S1D_jS1E_jS1F_S1F_jjS1H_bEUljE0_EEES10_S11_S12_S19_S1D_S1F_T6_T7_T9_mT8_S1H_bDpT10_ENKUlT_T0_E_clISt17integral_constantIbLb0EES1V_EEDaS1Q_S1R_EUlS1Q_E_NS1_11comp_targetILNS1_3genE9ELNS1_11target_archE1100ELNS1_3gpuE3ELNS1_3repE0EEENS1_30default_config_static_selectorELNS0_4arch9wavefront6targetE0EEEvS13_,@function
_ZN7rocprim17ROCPRIM_400000_NS6detail17trampoline_kernelINS0_13select_configILj256ELj13ELNS0_17block_load_methodE3ELS4_3ELS4_3ELNS0_20block_scan_algorithmE0ELj4294967295EEENS1_25partition_config_selectorILNS1_17partition_subalgoE4EjNS0_10empty_typeEbEEZZNS1_14partition_implILS8_4ELb0ES6_15HIP_vector_typeIjLj2EENS0_17counting_iteratorIjlEEPS9_SG_NS0_5tupleIJPjSI_NS0_16reverse_iteratorISI_EEEEENSH_IJSG_SG_SG_EEES9_SI_JZNS1_25segmented_radix_sort_implINS0_14default_configELb0EPK6__halfPSP_PKlPlN2at6native12_GLOBAL__N_18offset_tEEE10hipError_tPvRmT1_PNSt15iterator_traitsIS13_E10value_typeET2_T3_PNS14_IS19_E10value_typeET4_jRbjT5_S1F_jjP12ihipStream_tbEUljE_ZNSN_ISO_Lb0ESR_SS_SU_SV_SZ_EES10_S11_S12_S13_S17_S18_S19_S1C_S1D_jS1E_jS1F_S1F_jjS1H_bEUljE0_EEES10_S11_S12_S19_S1D_S1F_T6_T7_T9_mT8_S1H_bDpT10_ENKUlT_T0_E_clISt17integral_constantIbLb0EES1V_EEDaS1Q_S1R_EUlS1Q_E_NS1_11comp_targetILNS1_3genE9ELNS1_11target_archE1100ELNS1_3gpuE3ELNS1_3repE0EEENS1_30default_config_static_selectorELNS0_4arch9wavefront6targetE0EEEvS13_: ; @_ZN7rocprim17ROCPRIM_400000_NS6detail17trampoline_kernelINS0_13select_configILj256ELj13ELNS0_17block_load_methodE3ELS4_3ELS4_3ELNS0_20block_scan_algorithmE0ELj4294967295EEENS1_25partition_config_selectorILNS1_17partition_subalgoE4EjNS0_10empty_typeEbEEZZNS1_14partition_implILS8_4ELb0ES6_15HIP_vector_typeIjLj2EENS0_17counting_iteratorIjlEEPS9_SG_NS0_5tupleIJPjSI_NS0_16reverse_iteratorISI_EEEEENSH_IJSG_SG_SG_EEES9_SI_JZNS1_25segmented_radix_sort_implINS0_14default_configELb0EPK6__halfPSP_PKlPlN2at6native12_GLOBAL__N_18offset_tEEE10hipError_tPvRmT1_PNSt15iterator_traitsIS13_E10value_typeET2_T3_PNS14_IS19_E10value_typeET4_jRbjT5_S1F_jjP12ihipStream_tbEUljE_ZNSN_ISO_Lb0ESR_SS_SU_SV_SZ_EES10_S11_S12_S13_S17_S18_S19_S1C_S1D_jS1E_jS1F_S1F_jjS1H_bEUljE0_EEES10_S11_S12_S19_S1D_S1F_T6_T7_T9_mT8_S1H_bDpT10_ENKUlT_T0_E_clISt17integral_constantIbLb0EES1V_EEDaS1Q_S1R_EUlS1Q_E_NS1_11comp_targetILNS1_3genE9ELNS1_11target_archE1100ELNS1_3gpuE3ELNS1_3repE0EEENS1_30default_config_static_selectorELNS0_4arch9wavefront6targetE0EEEvS13_
; %bb.0:
	s_clause 0x6
	s_load_b32 s5, s[0:1], 0x80
	s_load_b64 s[34:35], s[0:1], 0x10
	s_load_b64 s[2:3], s[0:1], 0x68
	s_load_b32 s8, s[0:1], 0x8
	s_load_b128 s[24:27], s[0:1], 0x58
	s_load_b64 s[40:41], s[0:1], 0xa8
	s_load_b256 s[16:23], s[0:1], 0x88
	s_mul_i32 s33, s15, 0xd00
	s_waitcnt lgkmcnt(0)
	s_mul_i32 s4, s5, 0xd00
	s_add_i32 s5, s5, -1
	s_add_u32 s6, s34, s4
	s_addc_u32 s7, s35, 0
	s_load_b128 s[28:31], s[26:27], 0x0
	s_cmp_eq_u32 s15, s5
	v_cmp_lt_u64_e64 s3, s[6:7], s[2:3]
	s_cselect_b32 s14, -1, 0
	s_cmp_lg_u32 s15, s5
	s_cselect_b32 s5, -1, 0
	s_add_i32 s6, s8, s33
	s_delay_alu instid0(VALU_DEP_1) | instskip(SKIP_4) | instid1(VALU_DEP_1)
	s_or_b32 s3, s5, s3
	s_add_i32 s6, s6, s34
	s_and_b32 vcc_lo, exec_lo, s3
	v_add_nc_u32_e32 v1, s6, v0
	s_mov_b32 s5, -1
	v_add_nc_u32_e32 v2, 0x100, v1
	v_add_nc_u32_e32 v3, 0x200, v1
	v_add_nc_u32_e32 v4, 0x300, v1
	v_add_nc_u32_e32 v5, 0x400, v1
	v_add_nc_u32_e32 v6, 0x500, v1
	v_add_nc_u32_e32 v7, 0x600, v1
	v_add_nc_u32_e32 v8, 0x700, v1
	v_add_nc_u32_e32 v9, 0x800, v1
	v_add_nc_u32_e32 v10, 0x900, v1
	v_add_nc_u32_e32 v11, 0xa00, v1
	v_add_nc_u32_e32 v12, 0xb00, v1
	v_add_nc_u32_e32 v13, 0xc00, v1
	s_cbranch_vccz .LBB1784_2
; %bb.1:
	v_lshlrev_b32_e32 v14, 2, v0
	s_mov_b32 s5, 0
	ds_store_2addr_stride64_b32 v14, v1, v2 offset1:4
	ds_store_2addr_stride64_b32 v14, v3, v4 offset0:8 offset1:12
	ds_store_2addr_stride64_b32 v14, v5, v6 offset0:16 offset1:20
	;; [unrolled: 1-line block ×5, first 2 shown]
	ds_store_b32 v14, v13 offset:12288
	s_waitcnt lgkmcnt(0)
	s_barrier
.LBB1784_2:
	s_and_not1_b32 vcc_lo, exec_lo, s5
	s_add_i32 s4, s4, s34
	s_cbranch_vccnz .LBB1784_4
; %bb.3:
	v_lshlrev_b32_e32 v14, 2, v0
	ds_store_2addr_stride64_b32 v14, v1, v2 offset1:4
	ds_store_2addr_stride64_b32 v14, v3, v4 offset0:8 offset1:12
	ds_store_2addr_stride64_b32 v14, v5, v6 offset0:16 offset1:20
	;; [unrolled: 1-line block ×5, first 2 shown]
	ds_store_b32 v14, v13 offset:12288
	s_waitcnt lgkmcnt(0)
	s_barrier
.LBB1784_4:
	v_mul_u32_u24_e32 v28, 13, v0
	s_clause 0x1
	s_load_b128 s[36:39], s[0:1], 0x28
	s_load_b64 s[26:27], s[0:1], 0x38
	s_waitcnt lgkmcnt(0)
	buffer_gl0_inv
	v_cndmask_b32_e64 v26, 0, 1, s3
	s_sub_i32 s44, s2, s4
	v_lshlrev_b32_e32 v1, 2, v28
	s_and_not1_b32 vcc_lo, exec_lo, s3
	ds_load_2addr_b32 v[16:17], v1 offset1:1
	ds_load_2addr_b32 v[14:15], v1 offset0:2 offset1:3
	ds_load_2addr_b32 v[12:13], v1 offset0:4 offset1:5
	;; [unrolled: 1-line block ×5, first 2 shown]
	ds_load_b32 v27, v1 offset:48
	s_waitcnt lgkmcnt(0)
	s_barrier
	buffer_gl0_inv
	s_cbranch_vccnz .LBB1784_32
; %bb.5:
	v_add_nc_u32_e32 v1, s17, v16
	v_add_nc_u32_e32 v2, s19, v16
	s_mov_b32 s46, 0
	s_mov_b32 s45, 0
	s_mov_b32 s3, exec_lo
	v_mul_lo_u32 v1, v1, s16
	v_mul_lo_u32 v2, v2, s18
	s_delay_alu instid0(VALU_DEP_1) | instskip(NEXT) | instid1(VALU_DEP_1)
	v_sub_nc_u32_e32 v1, v1, v2
	v_cmp_lt_u32_e32 vcc_lo, s20, v1
	v_cmpx_ge_u32_e64 s20, v1
; %bb.6:
	v_add_nc_u32_e32 v1, s22, v16
	v_add_nc_u32_e32 v2, s40, v16
	s_delay_alu instid0(VALU_DEP_2) | instskip(NEXT) | instid1(VALU_DEP_2)
	v_mul_lo_u32 v1, v1, s21
	v_mul_lo_u32 v2, v2, s23
	s_delay_alu instid0(VALU_DEP_1) | instskip(NEXT) | instid1(VALU_DEP_1)
	v_sub_nc_u32_e32 v1, v1, v2
	v_cmp_lt_u32_e64 s2, s41, v1
	s_delay_alu instid0(VALU_DEP_1)
	s_and_b32 s45, s2, exec_lo
; %bb.7:
	s_or_b32 exec_lo, exec_lo, s3
	v_add_nc_u32_e32 v1, s17, v17
	v_add_nc_u32_e32 v2, s19, v17
	s_mov_b32 s4, exec_lo
	s_delay_alu instid0(VALU_DEP_2) | instskip(NEXT) | instid1(VALU_DEP_2)
	v_mul_lo_u32 v1, v1, s16
	v_mul_lo_u32 v2, v2, s18
	s_delay_alu instid0(VALU_DEP_1) | instskip(NEXT) | instid1(VALU_DEP_1)
	v_sub_nc_u32_e32 v1, v1, v2
	v_cmp_lt_u32_e64 s2, s20, v1
	v_cmpx_ge_u32_e64 s20, v1
; %bb.8:
	v_add_nc_u32_e32 v1, s22, v17
	v_add_nc_u32_e32 v2, s40, v17
	s_delay_alu instid0(VALU_DEP_2) | instskip(NEXT) | instid1(VALU_DEP_2)
	v_mul_lo_u32 v1, v1, s21
	v_mul_lo_u32 v2, v2, s23
	s_delay_alu instid0(VALU_DEP_1) | instskip(NEXT) | instid1(VALU_DEP_1)
	v_sub_nc_u32_e32 v1, v1, v2
	v_cmp_lt_u32_e64 s3, s41, v1
	s_delay_alu instid0(VALU_DEP_1)
	s_and_b32 s46, s3, exec_lo
; %bb.9:
	s_or_b32 exec_lo, exec_lo, s4
	v_add_nc_u32_e32 v1, s17, v14
	v_add_nc_u32_e32 v2, s19, v14
	s_mov_b32 s48, 0
	s_mov_b32 s47, 0
	s_mov_b32 s5, exec_lo
	v_mul_lo_u32 v1, v1, s16
	v_mul_lo_u32 v2, v2, s18
	s_delay_alu instid0(VALU_DEP_1) | instskip(NEXT) | instid1(VALU_DEP_1)
	v_sub_nc_u32_e32 v1, v1, v2
	v_cmp_lt_u32_e64 s3, s20, v1
	v_cmpx_ge_u32_e64 s20, v1
; %bb.10:
	v_add_nc_u32_e32 v1, s22, v14
	v_add_nc_u32_e32 v2, s40, v14
	s_delay_alu instid0(VALU_DEP_2) | instskip(NEXT) | instid1(VALU_DEP_2)
	v_mul_lo_u32 v1, v1, s21
	v_mul_lo_u32 v2, v2, s23
	s_delay_alu instid0(VALU_DEP_1) | instskip(NEXT) | instid1(VALU_DEP_1)
	v_sub_nc_u32_e32 v1, v1, v2
	v_cmp_lt_u32_e64 s4, s41, v1
	s_delay_alu instid0(VALU_DEP_1)
	s_and_b32 s47, s4, exec_lo
; %bb.11:
	s_or_b32 exec_lo, exec_lo, s5
	v_add_nc_u32_e32 v1, s17, v15
	v_add_nc_u32_e32 v2, s19, v15
	s_mov_b32 s6, exec_lo
	s_delay_alu instid0(VALU_DEP_2) | instskip(NEXT) | instid1(VALU_DEP_2)
	v_mul_lo_u32 v1, v1, s16
	v_mul_lo_u32 v2, v2, s18
	s_delay_alu instid0(VALU_DEP_1) | instskip(NEXT) | instid1(VALU_DEP_1)
	v_sub_nc_u32_e32 v1, v1, v2
	v_cmp_lt_u32_e64 s4, s20, v1
	v_cmpx_ge_u32_e64 s20, v1
; %bb.12:
	v_add_nc_u32_e32 v1, s22, v15
	v_add_nc_u32_e32 v2, s40, v15
	s_delay_alu instid0(VALU_DEP_2) | instskip(NEXT) | instid1(VALU_DEP_2)
	v_mul_lo_u32 v1, v1, s21
	v_mul_lo_u32 v2, v2, s23
	s_delay_alu instid0(VALU_DEP_1) | instskip(NEXT) | instid1(VALU_DEP_1)
	v_sub_nc_u32_e32 v1, v1, v2
	v_cmp_lt_u32_e64 s5, s41, v1
	s_delay_alu instid0(VALU_DEP_1)
	s_and_b32 s48, s5, exec_lo
; %bb.13:
	s_or_b32 exec_lo, exec_lo, s6
	v_add_nc_u32_e32 v1, s17, v12
	v_add_nc_u32_e32 v2, s19, v12
	s_mov_b32 s50, 0
	s_mov_b32 s49, 0
	s_mov_b32 s7, exec_lo
	v_mul_lo_u32 v1, v1, s16
	v_mul_lo_u32 v2, v2, s18
	s_delay_alu instid0(VALU_DEP_1) | instskip(NEXT) | instid1(VALU_DEP_1)
	v_sub_nc_u32_e32 v1, v1, v2
	v_cmp_lt_u32_e64 s5, s20, v1
	v_cmpx_ge_u32_e64 s20, v1
; %bb.14:
	v_add_nc_u32_e32 v1, s22, v12
	v_add_nc_u32_e32 v2, s40, v12
	s_delay_alu instid0(VALU_DEP_2) | instskip(NEXT) | instid1(VALU_DEP_2)
	v_mul_lo_u32 v1, v1, s21
	v_mul_lo_u32 v2, v2, s23
	s_delay_alu instid0(VALU_DEP_1) | instskip(NEXT) | instid1(VALU_DEP_1)
	v_sub_nc_u32_e32 v1, v1, v2
	v_cmp_lt_u32_e64 s6, s41, v1
	s_delay_alu instid0(VALU_DEP_1)
	s_and_b32 s49, s6, exec_lo
; %bb.15:
	s_or_b32 exec_lo, exec_lo, s7
	v_add_nc_u32_e32 v1, s17, v13
	v_add_nc_u32_e32 v2, s19, v13
	s_mov_b32 s8, exec_lo
	s_delay_alu instid0(VALU_DEP_2) | instskip(NEXT) | instid1(VALU_DEP_2)
	v_mul_lo_u32 v1, v1, s16
	v_mul_lo_u32 v2, v2, s18
	s_delay_alu instid0(VALU_DEP_1) | instskip(NEXT) | instid1(VALU_DEP_1)
	v_sub_nc_u32_e32 v1, v1, v2
	v_cmp_lt_u32_e64 s6, s20, v1
	v_cmpx_ge_u32_e64 s20, v1
; %bb.16:
	v_add_nc_u32_e32 v1, s22, v13
	v_add_nc_u32_e32 v2, s40, v13
	s_delay_alu instid0(VALU_DEP_2) | instskip(NEXT) | instid1(VALU_DEP_2)
	v_mul_lo_u32 v1, v1, s21
	v_mul_lo_u32 v2, v2, s23
	s_delay_alu instid0(VALU_DEP_1) | instskip(NEXT) | instid1(VALU_DEP_1)
	v_sub_nc_u32_e32 v1, v1, v2
	v_cmp_lt_u32_e64 s7, s41, v1
	s_delay_alu instid0(VALU_DEP_1)
	s_and_b32 s50, s7, exec_lo
; %bb.17:
	s_or_b32 exec_lo, exec_lo, s8
	v_add_nc_u32_e32 v1, s17, v10
	v_add_nc_u32_e32 v2, s19, v10
	s_mov_b32 s52, 0
	s_mov_b32 s51, 0
	s_mov_b32 s9, exec_lo
	v_mul_lo_u32 v1, v1, s16
	v_mul_lo_u32 v2, v2, s18
	s_delay_alu instid0(VALU_DEP_1) | instskip(NEXT) | instid1(VALU_DEP_1)
	v_sub_nc_u32_e32 v1, v1, v2
	v_cmp_lt_u32_e64 s7, s20, v1
	v_cmpx_ge_u32_e64 s20, v1
; %bb.18:
	v_add_nc_u32_e32 v1, s22, v10
	v_add_nc_u32_e32 v2, s40, v10
	s_delay_alu instid0(VALU_DEP_2) | instskip(NEXT) | instid1(VALU_DEP_2)
	v_mul_lo_u32 v1, v1, s21
	v_mul_lo_u32 v2, v2, s23
	s_delay_alu instid0(VALU_DEP_1) | instskip(NEXT) | instid1(VALU_DEP_1)
	v_sub_nc_u32_e32 v1, v1, v2
	v_cmp_lt_u32_e64 s8, s41, v1
	s_delay_alu instid0(VALU_DEP_1)
	s_and_b32 s51, s8, exec_lo
; %bb.19:
	s_or_b32 exec_lo, exec_lo, s9
	v_add_nc_u32_e32 v1, s17, v11
	v_add_nc_u32_e32 v2, s19, v11
	s_mov_b32 s10, exec_lo
	s_delay_alu instid0(VALU_DEP_2) | instskip(NEXT) | instid1(VALU_DEP_2)
	v_mul_lo_u32 v1, v1, s16
	v_mul_lo_u32 v2, v2, s18
	s_delay_alu instid0(VALU_DEP_1) | instskip(NEXT) | instid1(VALU_DEP_1)
	v_sub_nc_u32_e32 v1, v1, v2
	v_cmp_lt_u32_e64 s8, s20, v1
	v_cmpx_ge_u32_e64 s20, v1
; %bb.20:
	v_add_nc_u32_e32 v1, s22, v11
	v_add_nc_u32_e32 v2, s40, v11
	s_delay_alu instid0(VALU_DEP_2) | instskip(NEXT) | instid1(VALU_DEP_2)
	v_mul_lo_u32 v1, v1, s21
	v_mul_lo_u32 v2, v2, s23
	s_delay_alu instid0(VALU_DEP_1) | instskip(NEXT) | instid1(VALU_DEP_1)
	v_sub_nc_u32_e32 v1, v1, v2
	v_cmp_lt_u32_e64 s9, s41, v1
	s_delay_alu instid0(VALU_DEP_1)
	s_and_b32 s52, s9, exec_lo
; %bb.21:
	s_or_b32 exec_lo, exec_lo, s10
	v_add_nc_u32_e32 v1, s17, v8
	v_add_nc_u32_e32 v2, s19, v8
	s_mov_b32 s55, 0
	s_mov_b32 s54, 0
	s_mov_b32 s11, exec_lo
	v_mul_lo_u32 v1, v1, s16
	v_mul_lo_u32 v2, v2, s18
	s_delay_alu instid0(VALU_DEP_1) | instskip(NEXT) | instid1(VALU_DEP_1)
	v_sub_nc_u32_e32 v1, v1, v2
	v_cmp_lt_u32_e64 s9, s20, v1
	v_cmpx_ge_u32_e64 s20, v1
; %bb.22:
	v_add_nc_u32_e32 v1, s22, v8
	v_add_nc_u32_e32 v2, s40, v8
	s_delay_alu instid0(VALU_DEP_2) | instskip(NEXT) | instid1(VALU_DEP_2)
	v_mul_lo_u32 v1, v1, s21
	v_mul_lo_u32 v2, v2, s23
	s_delay_alu instid0(VALU_DEP_1) | instskip(NEXT) | instid1(VALU_DEP_1)
	v_sub_nc_u32_e32 v1, v1, v2
	v_cmp_lt_u32_e64 s10, s41, v1
	s_delay_alu instid0(VALU_DEP_1)
	s_and_b32 s54, s10, exec_lo
; %bb.23:
	s_or_b32 exec_lo, exec_lo, s11
	v_add_nc_u32_e32 v1, s17, v9
	v_add_nc_u32_e32 v2, s19, v9
	s_mov_b32 s12, exec_lo
	s_delay_alu instid0(VALU_DEP_2) | instskip(NEXT) | instid1(VALU_DEP_2)
	v_mul_lo_u32 v1, v1, s16
	v_mul_lo_u32 v2, v2, s18
	s_delay_alu instid0(VALU_DEP_1) | instskip(NEXT) | instid1(VALU_DEP_1)
	v_sub_nc_u32_e32 v1, v1, v2
	v_cmp_lt_u32_e64 s10, s20, v1
	v_cmpx_ge_u32_e64 s20, v1
; %bb.24:
	v_add_nc_u32_e32 v1, s22, v9
	v_add_nc_u32_e32 v2, s40, v9
	s_delay_alu instid0(VALU_DEP_2) | instskip(NEXT) | instid1(VALU_DEP_2)
	v_mul_lo_u32 v1, v1, s21
	v_mul_lo_u32 v2, v2, s23
	s_delay_alu instid0(VALU_DEP_1) | instskip(NEXT) | instid1(VALU_DEP_1)
	v_sub_nc_u32_e32 v1, v1, v2
	v_cmp_lt_u32_e64 s11, s41, v1
	s_delay_alu instid0(VALU_DEP_1)
	s_and_b32 s55, s11, exec_lo
; %bb.25:
	s_or_b32 exec_lo, exec_lo, s12
	v_add_nc_u32_e32 v1, s17, v6
	v_add_nc_u32_e32 v2, s19, v6
	s_mov_b32 s56, 0
	s_mov_b32 s57, 0
	s_mov_b32 s13, exec_lo
	v_mul_lo_u32 v1, v1, s16
	v_mul_lo_u32 v2, v2, s18
	s_delay_alu instid0(VALU_DEP_1) | instskip(NEXT) | instid1(VALU_DEP_1)
	v_sub_nc_u32_e32 v1, v1, v2
	v_cmp_lt_u32_e64 s11, s20, v1
	v_cmpx_ge_u32_e64 s20, v1
; %bb.26:
	v_add_nc_u32_e32 v1, s22, v6
	v_add_nc_u32_e32 v2, s40, v6
	s_delay_alu instid0(VALU_DEP_2) | instskip(NEXT) | instid1(VALU_DEP_2)
	v_mul_lo_u32 v1, v1, s21
	v_mul_lo_u32 v2, v2, s23
	s_delay_alu instid0(VALU_DEP_1) | instskip(NEXT) | instid1(VALU_DEP_1)
	v_sub_nc_u32_e32 v1, v1, v2
	v_cmp_lt_u32_e64 s12, s41, v1
	s_delay_alu instid0(VALU_DEP_1)
	s_and_b32 s57, s12, exec_lo
; %bb.27:
	s_or_b32 exec_lo, exec_lo, s13
	v_add_nc_u32_e32 v1, s17, v7
	v_add_nc_u32_e32 v2, s19, v7
	s_mov_b32 s42, exec_lo
	s_delay_alu instid0(VALU_DEP_2) | instskip(NEXT) | instid1(VALU_DEP_2)
	v_mul_lo_u32 v1, v1, s16
	v_mul_lo_u32 v2, v2, s18
	s_delay_alu instid0(VALU_DEP_1) | instskip(NEXT) | instid1(VALU_DEP_1)
	v_sub_nc_u32_e32 v1, v1, v2
	v_cmp_lt_u32_e64 s12, s20, v1
	v_cmpx_ge_u32_e64 s20, v1
; %bb.28:
	v_add_nc_u32_e32 v1, s22, v7
	v_add_nc_u32_e32 v2, s40, v7
	s_delay_alu instid0(VALU_DEP_2) | instskip(NEXT) | instid1(VALU_DEP_2)
	v_mul_lo_u32 v1, v1, s21
	v_mul_lo_u32 v2, v2, s23
	s_delay_alu instid0(VALU_DEP_1) | instskip(NEXT) | instid1(VALU_DEP_1)
	v_sub_nc_u32_e32 v1, v1, v2
	v_cmp_lt_u32_e64 s13, s41, v1
	s_delay_alu instid0(VALU_DEP_1)
	s_and_b32 s56, s13, exec_lo
; %bb.29:
	s_or_b32 exec_lo, exec_lo, s42
	v_add_nc_u32_e32 v1, s17, v27
	v_add_nc_u32_e32 v2, s19, v27
	s_mov_b32 s42, -1
	s_mov_b32 s53, 0
	s_mov_b32 s43, 0
	v_mul_lo_u32 v1, v1, s16
	v_mul_lo_u32 v2, v2, s18
	s_mov_b32 s58, exec_lo
	s_delay_alu instid0(VALU_DEP_1) | instskip(NEXT) | instid1(VALU_DEP_1)
	v_sub_nc_u32_e32 v1, v1, v2
	v_cmpx_ge_u32_e64 s20, v1
; %bb.30:
	v_add_nc_u32_e32 v1, s22, v27
	v_add_nc_u32_e32 v2, s40, v27
	s_xor_b32 s42, exec_lo, -1
	s_delay_alu instid0(VALU_DEP_2) | instskip(NEXT) | instid1(VALU_DEP_2)
	v_mul_lo_u32 v1, v1, s21
	v_mul_lo_u32 v2, v2, s23
	s_delay_alu instid0(VALU_DEP_1) | instskip(NEXT) | instid1(VALU_DEP_1)
	v_sub_nc_u32_e32 v1, v1, v2
	v_cmp_lt_u32_e64 s13, s41, v1
	s_delay_alu instid0(VALU_DEP_1)
	s_and_b32 s43, s13, exec_lo
; %bb.31:
	s_or_b32 exec_lo, exec_lo, s58
	v_cndmask_b32_e64 v48, 0, 1, s57
	v_cndmask_b32_e64 v51, 0, 1, s12
	;; [unrolled: 1-line block ×22, first 2 shown]
	v_cndmask_b32_e64 v29, 0, 1, vcc_lo
	v_cndmask_b32_e64 v52, 0, 1, s56
	s_load_b64 s[4:5], s[0:1], 0x78
	s_and_b32 vcc_lo, exec_lo, s53
	s_add_i32 s3, s44, 0xd00
	s_cbranch_vccnz .LBB1784_33
	s_branch .LBB1784_86
.LBB1784_32:
                                        ; implicit-def: $sgpr42
                                        ; implicit-def: $sgpr43
                                        ; implicit-def: $vgpr52
                                        ; implicit-def: $vgpr48
                                        ; implicit-def: $vgpr47
                                        ; implicit-def: $vgpr45
                                        ; implicit-def: $vgpr43
                                        ; implicit-def: $vgpr40
                                        ; implicit-def: $vgpr39
                                        ; implicit-def: $vgpr37
                                        ; implicit-def: $vgpr35
                                        ; implicit-def: $vgpr29
                                        ; implicit-def: $vgpr33
                                        ; implicit-def: $vgpr31
                                        ; implicit-def: $vgpr32
                                        ; implicit-def: $vgpr38
                                        ; implicit-def: $vgpr41
                                        ; implicit-def: $vgpr42
                                        ; implicit-def: $vgpr44
                                        ; implicit-def: $vgpr46
                                        ; implicit-def: $vgpr49
                                        ; implicit-def: $vgpr50
                                        ; implicit-def: $vgpr51
                                        ; implicit-def: $vgpr30
                                        ; implicit-def: $vgpr34
                                        ; implicit-def: $vgpr36
	s_load_b64 s[4:5], s[0:1], 0x78
	s_add_i32 s3, s44, 0xd00
	s_cbranch_execz .LBB1784_86
.LBB1784_33:
	v_dual_mov_b32 v30, 0 :: v_dual_mov_b32 v29, 0
	s_mov_b32 s2, 0
	s_mov_b32 s1, exec_lo
	v_cmpx_gt_u32_e64 s3, v28
	s_cbranch_execz .LBB1784_37
; %bb.34:
	v_add_nc_u32_e32 v1, s17, v16
	v_add_nc_u32_e32 v2, s19, v16
	s_mov_b32 s6, exec_lo
	s_delay_alu instid0(VALU_DEP_2) | instskip(NEXT) | instid1(VALU_DEP_2)
	v_mul_lo_u32 v1, v1, s16
	v_mul_lo_u32 v2, v2, s18
	s_delay_alu instid0(VALU_DEP_1) | instskip(NEXT) | instid1(VALU_DEP_1)
	v_sub_nc_u32_e32 v1, v1, v2
	v_cmp_lt_u32_e32 vcc_lo, s20, v1
	v_cmpx_ge_u32_e64 s20, v1
; %bb.35:
	v_add_nc_u32_e32 v1, s22, v16
	v_add_nc_u32_e32 v2, s40, v16
	s_delay_alu instid0(VALU_DEP_2) | instskip(NEXT) | instid1(VALU_DEP_2)
	v_mul_lo_u32 v1, v1, s21
	v_mul_lo_u32 v2, v2, s23
	s_delay_alu instid0(VALU_DEP_1) | instskip(NEXT) | instid1(VALU_DEP_1)
	v_sub_nc_u32_e32 v1, v1, v2
	v_cmp_lt_u32_e64 s0, s41, v1
	s_delay_alu instid0(VALU_DEP_1)
	s_and_b32 s2, s0, exec_lo
; %bb.36:
	s_or_b32 exec_lo, exec_lo, s6
	v_cndmask_b32_e64 v29, 0, 1, vcc_lo
	v_cndmask_b32_e64 v30, 0, 1, s2
.LBB1784_37:
	s_or_b32 exec_lo, exec_lo, s1
	v_dual_mov_b32 v34, 0 :: v_dual_add_nc_u32 v1, 1, v28
	v_mov_b32_e32 v33, 0
	s_mov_b32 s2, 0
	s_mov_b32 s1, exec_lo
	s_delay_alu instid0(VALU_DEP_2)
	v_cmpx_gt_u32_e64 s3, v1
	s_cbranch_execz .LBB1784_41
; %bb.38:
	v_add_nc_u32_e32 v1, s17, v17
	v_add_nc_u32_e32 v2, s19, v17
	s_mov_b32 s6, exec_lo
	s_delay_alu instid0(VALU_DEP_2) | instskip(NEXT) | instid1(VALU_DEP_2)
	v_mul_lo_u32 v1, v1, s16
	v_mul_lo_u32 v2, v2, s18
	s_delay_alu instid0(VALU_DEP_1) | instskip(NEXT) | instid1(VALU_DEP_1)
	v_sub_nc_u32_e32 v1, v1, v2
	v_cmp_lt_u32_e32 vcc_lo, s20, v1
	v_cmpx_ge_u32_e64 s20, v1
; %bb.39:
	v_add_nc_u32_e32 v1, s22, v17
	v_add_nc_u32_e32 v2, s40, v17
	s_delay_alu instid0(VALU_DEP_2) | instskip(NEXT) | instid1(VALU_DEP_2)
	v_mul_lo_u32 v1, v1, s21
	v_mul_lo_u32 v2, v2, s23
	s_delay_alu instid0(VALU_DEP_1) | instskip(NEXT) | instid1(VALU_DEP_1)
	v_sub_nc_u32_e32 v1, v1, v2
	v_cmp_lt_u32_e64 s0, s41, v1
	s_delay_alu instid0(VALU_DEP_1)
	s_and_b32 s2, s0, exec_lo
; %bb.40:
	s_or_b32 exec_lo, exec_lo, s6
	v_cndmask_b32_e64 v33, 0, 1, vcc_lo
	v_cndmask_b32_e64 v34, 0, 1, s2
.LBB1784_41:
	s_or_b32 exec_lo, exec_lo, s1
	v_dual_mov_b32 v36, 0 :: v_dual_add_nc_u32 v1, 2, v28
	v_mov_b32_e32 v31, 0
	s_mov_b32 s2, 0
	s_mov_b32 s1, exec_lo
	s_delay_alu instid0(VALU_DEP_2)
	;; [unrolled: 35-line block ×4, first 2 shown]
	v_cmpx_gt_u32_e64 s3, v1
	s_cbranch_execz .LBB1784_53
; %bb.50:
	v_add_nc_u32_e32 v1, s17, v12
	v_add_nc_u32_e32 v2, s19, v12
	s_mov_b32 s6, exec_lo
	s_delay_alu instid0(VALU_DEP_2) | instskip(NEXT) | instid1(VALU_DEP_2)
	v_mul_lo_u32 v1, v1, s16
	v_mul_lo_u32 v2, v2, s18
	s_delay_alu instid0(VALU_DEP_1) | instskip(NEXT) | instid1(VALU_DEP_1)
	v_sub_nc_u32_e32 v1, v1, v2
	v_cmp_lt_u32_e32 vcc_lo, s20, v1
	v_cmpx_ge_u32_e64 s20, v1
; %bb.51:
	v_add_nc_u32_e32 v1, s22, v12
	v_add_nc_u32_e32 v2, s40, v12
	s_delay_alu instid0(VALU_DEP_2) | instskip(NEXT) | instid1(VALU_DEP_2)
	v_mul_lo_u32 v1, v1, s21
	v_mul_lo_u32 v2, v2, s23
	s_delay_alu instid0(VALU_DEP_1) | instskip(NEXT) | instid1(VALU_DEP_1)
	v_sub_nc_u32_e32 v1, v1, v2
	v_cmp_lt_u32_e64 s0, s41, v1
	s_delay_alu instid0(VALU_DEP_1)
	s_and_b32 s2, s0, exec_lo
; %bb.52:
	s_or_b32 exec_lo, exec_lo, s6
	v_cndmask_b32_e64 v38, 0, 1, vcc_lo
	v_cndmask_b32_e64 v37, 0, 1, s2
.LBB1784_53:
	s_or_b32 exec_lo, exec_lo, s1
	v_add_nc_u32_e32 v1, 5, v28
	v_mov_b32_e32 v39, 0
	v_mov_b32_e32 v41, 0
	s_mov_b32 s2, 0
	s_mov_b32 s1, exec_lo
	v_cmpx_gt_u32_e64 s3, v1
	s_cbranch_execz .LBB1784_57
; %bb.54:
	v_add_nc_u32_e32 v1, s17, v13
	v_add_nc_u32_e32 v2, s19, v13
	s_mov_b32 s6, exec_lo
	s_delay_alu instid0(VALU_DEP_2) | instskip(NEXT) | instid1(VALU_DEP_2)
	v_mul_lo_u32 v1, v1, s16
	v_mul_lo_u32 v2, v2, s18
	s_delay_alu instid0(VALU_DEP_1) | instskip(NEXT) | instid1(VALU_DEP_1)
	v_sub_nc_u32_e32 v1, v1, v2
	v_cmp_lt_u32_e32 vcc_lo, s20, v1
	v_cmpx_ge_u32_e64 s20, v1
; %bb.55:
	v_add_nc_u32_e32 v1, s22, v13
	v_add_nc_u32_e32 v2, s40, v13
	s_delay_alu instid0(VALU_DEP_2) | instskip(NEXT) | instid1(VALU_DEP_2)
	v_mul_lo_u32 v1, v1, s21
	v_mul_lo_u32 v2, v2, s23
	s_delay_alu instid0(VALU_DEP_1) | instskip(NEXT) | instid1(VALU_DEP_1)
	v_sub_nc_u32_e32 v1, v1, v2
	v_cmp_lt_u32_e64 s0, s41, v1
	s_delay_alu instid0(VALU_DEP_1)
	s_and_b32 s2, s0, exec_lo
; %bb.56:
	s_or_b32 exec_lo, exec_lo, s6
	v_cndmask_b32_e64 v41, 0, 1, vcc_lo
	v_cndmask_b32_e64 v39, 0, 1, s2
.LBB1784_57:
	s_or_b32 exec_lo, exec_lo, s1
	v_dual_mov_b32 v40, 0 :: v_dual_add_nc_u32 v1, 6, v28
	v_mov_b32_e32 v42, 0
	s_mov_b32 s2, 0
	s_mov_b32 s1, exec_lo
	s_delay_alu instid0(VALU_DEP_2)
	v_cmpx_gt_u32_e64 s3, v1
	s_cbranch_execz .LBB1784_61
; %bb.58:
	v_add_nc_u32_e32 v1, s17, v10
	v_add_nc_u32_e32 v2, s19, v10
	s_mov_b32 s6, exec_lo
	s_delay_alu instid0(VALU_DEP_2) | instskip(NEXT) | instid1(VALU_DEP_2)
	v_mul_lo_u32 v1, v1, s16
	v_mul_lo_u32 v2, v2, s18
	s_delay_alu instid0(VALU_DEP_1) | instskip(NEXT) | instid1(VALU_DEP_1)
	v_sub_nc_u32_e32 v1, v1, v2
	v_cmp_lt_u32_e32 vcc_lo, s20, v1
	v_cmpx_ge_u32_e64 s20, v1
; %bb.59:
	v_add_nc_u32_e32 v1, s22, v10
	v_add_nc_u32_e32 v2, s40, v10
	s_delay_alu instid0(VALU_DEP_2) | instskip(NEXT) | instid1(VALU_DEP_2)
	v_mul_lo_u32 v1, v1, s21
	v_mul_lo_u32 v2, v2, s23
	s_delay_alu instid0(VALU_DEP_1) | instskip(NEXT) | instid1(VALU_DEP_1)
	v_sub_nc_u32_e32 v1, v1, v2
	v_cmp_lt_u32_e64 s0, s41, v1
	s_delay_alu instid0(VALU_DEP_1)
	s_and_b32 s2, s0, exec_lo
; %bb.60:
	s_or_b32 exec_lo, exec_lo, s6
	v_cndmask_b32_e64 v42, 0, 1, vcc_lo
	v_cndmask_b32_e64 v40, 0, 1, s2
.LBB1784_61:
	s_or_b32 exec_lo, exec_lo, s1
	v_dual_mov_b32 v44, 0 :: v_dual_add_nc_u32 v1, 7, v28
	v_mov_b32_e32 v43, 0
	s_mov_b32 s2, 0
	s_mov_b32 s1, exec_lo
	s_delay_alu instid0(VALU_DEP_2)
	;; [unrolled: 35-line block ×3, first 2 shown]
	v_cmpx_gt_u32_e64 s3, v1
	s_cbranch_execz .LBB1784_69
; %bb.66:
	v_add_nc_u32_e32 v1, s17, v8
	v_add_nc_u32_e32 v2, s19, v8
	s_mov_b32 s6, exec_lo
	s_delay_alu instid0(VALU_DEP_2) | instskip(NEXT) | instid1(VALU_DEP_2)
	v_mul_lo_u32 v1, v1, s16
	v_mul_lo_u32 v2, v2, s18
	s_delay_alu instid0(VALU_DEP_1) | instskip(NEXT) | instid1(VALU_DEP_1)
	v_sub_nc_u32_e32 v1, v1, v2
	v_cmp_lt_u32_e32 vcc_lo, s20, v1
	v_cmpx_ge_u32_e64 s20, v1
; %bb.67:
	v_add_nc_u32_e32 v1, s22, v8
	v_add_nc_u32_e32 v2, s40, v8
	s_delay_alu instid0(VALU_DEP_2) | instskip(NEXT) | instid1(VALU_DEP_2)
	v_mul_lo_u32 v1, v1, s21
	v_mul_lo_u32 v2, v2, s23
	s_delay_alu instid0(VALU_DEP_1) | instskip(NEXT) | instid1(VALU_DEP_1)
	v_sub_nc_u32_e32 v1, v1, v2
	v_cmp_lt_u32_e64 s0, s41, v1
	s_delay_alu instid0(VALU_DEP_1)
	s_and_b32 s2, s0, exec_lo
; %bb.68:
	s_or_b32 exec_lo, exec_lo, s6
	v_cndmask_b32_e64 v46, 0, 1, vcc_lo
	v_cndmask_b32_e64 v45, 0, 1, s2
.LBB1784_69:
	s_or_b32 exec_lo, exec_lo, s1
	v_add_nc_u32_e32 v1, 9, v28
	v_mov_b32_e32 v47, 0
	v_mov_b32_e32 v49, 0
	s_mov_b32 s2, 0
	s_mov_b32 s1, exec_lo
	v_cmpx_gt_u32_e64 s3, v1
	s_cbranch_execz .LBB1784_73
; %bb.70:
	v_add_nc_u32_e32 v1, s17, v9
	v_add_nc_u32_e32 v2, s19, v9
	s_mov_b32 s6, exec_lo
	s_delay_alu instid0(VALU_DEP_2) | instskip(NEXT) | instid1(VALU_DEP_2)
	v_mul_lo_u32 v1, v1, s16
	v_mul_lo_u32 v2, v2, s18
	s_delay_alu instid0(VALU_DEP_1) | instskip(NEXT) | instid1(VALU_DEP_1)
	v_sub_nc_u32_e32 v1, v1, v2
	v_cmp_lt_u32_e32 vcc_lo, s20, v1
	v_cmpx_ge_u32_e64 s20, v1
; %bb.71:
	v_add_nc_u32_e32 v1, s22, v9
	v_add_nc_u32_e32 v2, s40, v9
	s_delay_alu instid0(VALU_DEP_2) | instskip(NEXT) | instid1(VALU_DEP_2)
	v_mul_lo_u32 v1, v1, s21
	v_mul_lo_u32 v2, v2, s23
	s_delay_alu instid0(VALU_DEP_1) | instskip(NEXT) | instid1(VALU_DEP_1)
	v_sub_nc_u32_e32 v1, v1, v2
	v_cmp_lt_u32_e64 s0, s41, v1
	s_delay_alu instid0(VALU_DEP_1)
	s_and_b32 s2, s0, exec_lo
; %bb.72:
	s_or_b32 exec_lo, exec_lo, s6
	v_cndmask_b32_e64 v49, 0, 1, vcc_lo
	v_cndmask_b32_e64 v47, 0, 1, s2
.LBB1784_73:
	s_or_b32 exec_lo, exec_lo, s1
	v_dual_mov_b32 v48, 0 :: v_dual_add_nc_u32 v1, 10, v28
	v_mov_b32_e32 v50, 0
	s_mov_b32 s2, 0
	s_mov_b32 s1, exec_lo
	s_delay_alu instid0(VALU_DEP_2)
	v_cmpx_gt_u32_e64 s3, v1
	s_cbranch_execz .LBB1784_77
; %bb.74:
	v_add_nc_u32_e32 v1, s17, v6
	v_add_nc_u32_e32 v2, s19, v6
	s_mov_b32 s6, exec_lo
	s_delay_alu instid0(VALU_DEP_2) | instskip(NEXT) | instid1(VALU_DEP_2)
	v_mul_lo_u32 v1, v1, s16
	v_mul_lo_u32 v2, v2, s18
	s_delay_alu instid0(VALU_DEP_1) | instskip(NEXT) | instid1(VALU_DEP_1)
	v_sub_nc_u32_e32 v1, v1, v2
	v_cmp_lt_u32_e32 vcc_lo, s20, v1
	v_cmpx_ge_u32_e64 s20, v1
; %bb.75:
	v_add_nc_u32_e32 v1, s22, v6
	v_add_nc_u32_e32 v2, s40, v6
	s_delay_alu instid0(VALU_DEP_2) | instskip(NEXT) | instid1(VALU_DEP_2)
	v_mul_lo_u32 v1, v1, s21
	v_mul_lo_u32 v2, v2, s23
	s_delay_alu instid0(VALU_DEP_1) | instskip(NEXT) | instid1(VALU_DEP_1)
	v_sub_nc_u32_e32 v1, v1, v2
	v_cmp_lt_u32_e64 s0, s41, v1
	s_delay_alu instid0(VALU_DEP_1)
	s_and_b32 s2, s0, exec_lo
; %bb.76:
	s_or_b32 exec_lo, exec_lo, s6
	v_cndmask_b32_e64 v50, 0, 1, vcc_lo
	v_cndmask_b32_e64 v48, 0, 1, s2
.LBB1784_77:
	s_or_b32 exec_lo, exec_lo, s1
	v_dual_mov_b32 v52, 0 :: v_dual_add_nc_u32 v1, 11, v28
	v_mov_b32_e32 v51, 0
	s_mov_b32 s2, 0
	s_mov_b32 s1, exec_lo
	s_delay_alu instid0(VALU_DEP_2)
	v_cmpx_gt_u32_e64 s3, v1
	s_cbranch_execz .LBB1784_81
; %bb.78:
	v_add_nc_u32_e32 v1, s17, v7
	v_add_nc_u32_e32 v2, s19, v7
	s_mov_b32 s6, exec_lo
	s_delay_alu instid0(VALU_DEP_2) | instskip(NEXT) | instid1(VALU_DEP_2)
	v_mul_lo_u32 v1, v1, s16
	v_mul_lo_u32 v2, v2, s18
	s_delay_alu instid0(VALU_DEP_1) | instskip(NEXT) | instid1(VALU_DEP_1)
	v_sub_nc_u32_e32 v1, v1, v2
	v_cmp_lt_u32_e32 vcc_lo, s20, v1
	v_cmpx_ge_u32_e64 s20, v1
; %bb.79:
	v_add_nc_u32_e32 v1, s22, v7
	v_add_nc_u32_e32 v2, s40, v7
	s_delay_alu instid0(VALU_DEP_2) | instskip(NEXT) | instid1(VALU_DEP_2)
	v_mul_lo_u32 v1, v1, s21
	v_mul_lo_u32 v2, v2, s23
	s_delay_alu instid0(VALU_DEP_1) | instskip(NEXT) | instid1(VALU_DEP_1)
	v_sub_nc_u32_e32 v1, v1, v2
	v_cmp_lt_u32_e64 s0, s41, v1
	s_delay_alu instid0(VALU_DEP_1)
	s_and_b32 s2, s0, exec_lo
; %bb.80:
	s_or_b32 exec_lo, exec_lo, s6
	v_cndmask_b32_e64 v51, 0, 1, vcc_lo
	v_cndmask_b32_e64 v52, 0, 1, s2
.LBB1784_81:
	s_or_b32 exec_lo, exec_lo, s1
	v_add_nc_u32_e32 v1, 12, v28
	s_mov_b32 s42, 0
	s_mov_b32 s43, 0
	s_mov_b32 s0, exec_lo
	s_delay_alu instid0(VALU_DEP_1)
	v_cmpx_gt_u32_e64 s3, v1
	s_cbranch_execz .LBB1784_85
; %bb.82:
	v_add_nc_u32_e32 v1, s17, v27
	v_add_nc_u32_e32 v2, s19, v27
	s_mov_b32 s2, -1
	s_mov_b32 s6, 0
	s_mov_b32 s1, exec_lo
	v_mul_lo_u32 v1, v1, s16
	v_mul_lo_u32 v2, v2, s18
	s_delay_alu instid0(VALU_DEP_1) | instskip(NEXT) | instid1(VALU_DEP_1)
	v_sub_nc_u32_e32 v1, v1, v2
	v_cmpx_ge_u32_e64 s20, v1
; %bb.83:
	v_add_nc_u32_e32 v1, s22, v27
	v_add_nc_u32_e32 v2, s40, v27
	s_xor_b32 s2, exec_lo, -1
	s_delay_alu instid0(VALU_DEP_2) | instskip(NEXT) | instid1(VALU_DEP_2)
	v_mul_lo_u32 v1, v1, s21
	v_mul_lo_u32 v2, v2, s23
	s_delay_alu instid0(VALU_DEP_1) | instskip(NEXT) | instid1(VALU_DEP_1)
	v_sub_nc_u32_e32 v1, v1, v2
	v_cmp_lt_u32_e32 vcc_lo, s41, v1
	s_and_b32 s6, vcc_lo, exec_lo
; %bb.84:
	s_or_b32 exec_lo, exec_lo, s1
	s_delay_alu instid0(SALU_CYCLE_1)
	s_and_b32 s43, s6, exec_lo
	s_and_b32 s42, s2, exec_lo
.LBB1784_85:
	s_or_b32 exec_lo, exec_lo, s0
.LBB1784_86:
	v_and_b32_e32 v75, 0xff, v29
	v_and_b32_e32 v76, 0xff, v30
	;; [unrolled: 1-line block ×10, first 2 shown]
	v_add3_u32 v1, v71, v73, v75
	v_add3_u32 v2, v72, v74, v76
	v_and_b32_e32 v65, 0xff, v41
	v_and_b32_e32 v66, 0xff, v39
	v_and_b32_e32 v61, 0xff, v42
	v_and_b32_e32 v62, 0xff, v40
	v_add3_u32 v1, v1, v69, v67
	v_add3_u32 v2, v2, v70, v68
	v_and_b32_e32 v63, 0xff, v44
	v_and_b32_e32 v64, 0xff, v43
	v_and_b32_e32 v59, 0xff, v46
	v_and_b32_e32 v60, 0xff, v45
	;; [unrolled: 6-line block ×3, first 2 shown]
	v_add3_u32 v1, v1, v63, v59
	v_add3_u32 v2, v2, v64, v60
	v_mbcnt_lo_u32_b32 v77, -1, 0
	v_and_b32_e32 v53, 0xff, v51
	v_and_b32_e32 v54, 0xff, v52
	v_cndmask_b32_e64 v3, 0, 1, s43
	v_add3_u32 v1, v1, v57, v55
	v_cndmask_b32_e64 v4, 0, 1, s42
	v_add3_u32 v2, v2, v58, v56
	v_and_b32_e32 v81, 15, v77
	v_and_b32_e32 v80, 16, v77
	v_lshrrev_b32_e32 v78, 5, v0
	v_add3_u32 v82, v1, v53, v4
	v_add3_u32 v83, v2, v54, v3
	v_cmp_eq_u32_e64 s1, 0, v81
	v_cmp_lt_u32_e64 s0, 1, v81
	v_cmp_lt_u32_e64 s2, 3, v81
	v_cmp_lt_u32_e32 vcc_lo, 7, v81
	v_or_b32_e32 v79, 31, v0
	s_cmp_lg_u32 s15, 0
	s_mov_b32 s6, -1
	s_cbranch_scc0 .LBB1784_114
; %bb.87:
	v_mov_b32_dpp v1, v83 row_shr:1 row_mask:0xf bank_mask:0xf
	v_mov_b32_dpp v2, v82 row_shr:1 row_mask:0xf bank_mask:0xf
	s_delay_alu instid0(VALU_DEP_2) | instskip(NEXT) | instid1(VALU_DEP_1)
	v_add_nc_u32_e32 v1, v1, v83
	v_cndmask_b32_e64 v1, v1, v83, s1
	s_delay_alu instid0(VALU_DEP_1) | instskip(NEXT) | instid1(VALU_DEP_1)
	v_mov_b32_dpp v3, v1 row_shr:2 row_mask:0xf bank_mask:0xf
	v_add_nc_u32_e32 v3, v1, v3
	s_delay_alu instid0(VALU_DEP_1) | instskip(NEXT) | instid1(VALU_DEP_1)
	v_cndmask_b32_e64 v1, v1, v3, s0
	v_mov_b32_dpp v3, v1 row_shr:4 row_mask:0xf bank_mask:0xf
	s_delay_alu instid0(VALU_DEP_1) | instskip(NEXT) | instid1(VALU_DEP_1)
	v_add_nc_u32_e32 v3, v1, v3
	v_cndmask_b32_e64 v1, v1, v3, s2
	s_delay_alu instid0(VALU_DEP_1) | instskip(NEXT) | instid1(VALU_DEP_1)
	v_mov_b32_dpp v3, v1 row_shr:8 row_mask:0xf bank_mask:0xf
	v_add_nc_u32_e32 v3, v1, v3
	s_delay_alu instid0(VALU_DEP_1) | instskip(NEXT) | instid1(VALU_DEP_1)
	v_dual_cndmask_b32 v1, v1, v3 :: v_dual_add_nc_u32 v2, v2, v82
	v_cndmask_b32_e64 v2, v2, v82, s1
	s_delay_alu instid0(VALU_DEP_1) | instskip(NEXT) | instid1(VALU_DEP_1)
	v_mov_b32_dpp v4, v2 row_shr:2 row_mask:0xf bank_mask:0xf
	v_add_nc_u32_e32 v4, v2, v4
	s_delay_alu instid0(VALU_DEP_1) | instskip(NEXT) | instid1(VALU_DEP_1)
	v_cndmask_b32_e64 v2, v2, v4, s0
	v_mov_b32_dpp v4, v2 row_shr:4 row_mask:0xf bank_mask:0xf
	s_delay_alu instid0(VALU_DEP_1) | instskip(NEXT) | instid1(VALU_DEP_1)
	v_add_nc_u32_e32 v4, v2, v4
	v_cndmask_b32_e64 v2, v2, v4, s2
	s_mov_b32 s2, exec_lo
	s_delay_alu instid0(VALU_DEP_1) | instskip(NEXT) | instid1(VALU_DEP_1)
	v_mov_b32_dpp v4, v2 row_shr:8 row_mask:0xf bank_mask:0xf
	v_add_nc_u32_e32 v4, v2, v4
	s_delay_alu instid0(VALU_DEP_1)
	v_cndmask_b32_e32 v3, v2, v4, vcc_lo
	ds_swizzle_b32 v2, v1 offset:swizzle(BROADCAST,32,15)
	v_cmp_eq_u32_e32 vcc_lo, 0, v80
	s_waitcnt lgkmcnt(0)
	v_add_nc_u32_e32 v2, v1, v2
	ds_swizzle_b32 v4, v3 offset:swizzle(BROADCAST,32,15)
	v_cndmask_b32_e32 v2, v2, v1, vcc_lo
	s_waitcnt lgkmcnt(0)
	v_add_nc_u32_e32 v4, v3, v4
	s_delay_alu instid0(VALU_DEP_1)
	v_cndmask_b32_e32 v1, v4, v3, vcc_lo
	v_cmpx_eq_u32_e64 v79, v0
	s_cbranch_execz .LBB1784_89
; %bb.88:
	v_lshlrev_b32_e32 v3, 3, v78
	ds_store_b64 v3, v[1:2]
.LBB1784_89:
	s_or_b32 exec_lo, exec_lo, s2
	s_delay_alu instid0(SALU_CYCLE_1)
	s_mov_b32 s2, exec_lo
	s_waitcnt lgkmcnt(0)
	s_barrier
	buffer_gl0_inv
	v_cmpx_gt_u32_e32 8, v0
	s_cbranch_execz .LBB1784_91
; %bb.90:
	v_lshlrev_b32_e32 v5, 3, v0
	ds_load_b64 v[3:4], v5
	s_waitcnt lgkmcnt(0)
	v_mov_b32_dpp v18, v3 row_shr:1 row_mask:0xf bank_mask:0xf
	v_mov_b32_dpp v19, v4 row_shr:1 row_mask:0xf bank_mask:0xf
	s_delay_alu instid0(VALU_DEP_2) | instskip(SKIP_1) | instid1(VALU_DEP_3)
	v_add_nc_u32_e32 v18, v18, v3
	v_and_b32_e32 v20, 7, v77
	v_add_nc_u32_e32 v19, v19, v4
	s_delay_alu instid0(VALU_DEP_2) | instskip(NEXT) | instid1(VALU_DEP_2)
	v_cmp_eq_u32_e32 vcc_lo, 0, v20
	v_dual_cndmask_b32 v4, v19, v4 :: v_dual_cndmask_b32 v3, v18, v3
	v_cmp_lt_u32_e32 vcc_lo, 1, v20
	s_delay_alu instid0(VALU_DEP_2) | instskip(NEXT) | instid1(VALU_DEP_3)
	v_mov_b32_dpp v19, v4 row_shr:2 row_mask:0xf bank_mask:0xf
	v_mov_b32_dpp v18, v3 row_shr:2 row_mask:0xf bank_mask:0xf
	s_delay_alu instid0(VALU_DEP_2) | instskip(NEXT) | instid1(VALU_DEP_2)
	v_add_nc_u32_e32 v19, v4, v19
	v_add_nc_u32_e32 v18, v3, v18
	s_delay_alu instid0(VALU_DEP_1) | instskip(SKIP_1) | instid1(VALU_DEP_2)
	v_dual_cndmask_b32 v4, v4, v19 :: v_dual_cndmask_b32 v3, v3, v18
	v_cmp_lt_u32_e32 vcc_lo, 3, v20
	v_mov_b32_dpp v19, v4 row_shr:4 row_mask:0xf bank_mask:0xf
	s_delay_alu instid0(VALU_DEP_3) | instskip(NEXT) | instid1(VALU_DEP_1)
	v_mov_b32_dpp v18, v3 row_shr:4 row_mask:0xf bank_mask:0xf
	v_dual_cndmask_b32 v19, 0, v19 :: v_dual_cndmask_b32 v18, 0, v18
	s_delay_alu instid0(VALU_DEP_1) | instskip(NEXT) | instid1(VALU_DEP_2)
	v_add_nc_u32_e32 v4, v19, v4
	v_add_nc_u32_e32 v3, v18, v3
	ds_store_b64 v5, v[3:4]
.LBB1784_91:
	s_or_b32 exec_lo, exec_lo, s2
	v_cmp_gt_u32_e32 vcc_lo, 32, v0
	v_cmp_lt_u32_e64 s2, 31, v0
	s_waitcnt lgkmcnt(0)
	s_barrier
	buffer_gl0_inv
                                        ; implicit-def: $vgpr19
	s_and_saveexec_b32 s6, s2
	s_delay_alu instid0(SALU_CYCLE_1)
	s_xor_b32 s2, exec_lo, s6
	s_cbranch_execz .LBB1784_93
; %bb.92:
	v_lshl_add_u32 v3, v78, 3, -8
	ds_load_b64 v[18:19], v3
	s_waitcnt lgkmcnt(0)
	v_add_nc_u32_e32 v2, v19, v2
	v_add_nc_u32_e32 v1, v18, v1
.LBB1784_93:
	s_and_not1_saveexec_b32 s2, s2
; %bb.94:
                                        ; implicit-def: $vgpr18
; %bb.95:
	s_delay_alu instid0(SALU_CYCLE_1) | instskip(SKIP_1) | instid1(VALU_DEP_1)
	s_or_b32 exec_lo, exec_lo, s2
	v_add_nc_u32_e32 v3, -1, v77
	v_cmp_gt_i32_e64 s2, 0, v3
	s_delay_alu instid0(VALU_DEP_1) | instskip(SKIP_1) | instid1(VALU_DEP_2)
	v_cndmask_b32_e64 v3, v3, v77, s2
	v_cmp_eq_u32_e64 s2, 0, v77
	v_lshlrev_b32_e32 v3, 2, v3
	ds_bpermute_b32 v84, v3, v1
	ds_bpermute_b32 v85, v3, v2
	s_and_saveexec_b32 s6, vcc_lo
	s_cbranch_execz .LBB1784_113
; %bb.96:
	v_mov_b32_e32 v4, 0
	ds_load_b64 v[1:2], v4 offset:56
	s_waitcnt lgkmcnt(0)
	v_readfirstlane_b32 s7, v2
	s_and_saveexec_b32 s8, s2
	s_cbranch_execz .LBB1784_98
; %bb.97:
	s_add_i32 s10, s15, 32
	s_mov_b32 s11, 0
	v_mov_b32_e32 v3, 1
	s_lshl_b64 s[12:13], s[10:11], 4
	s_mov_b32 s16, s11
	s_add_u32 s12, s4, s12
	s_addc_u32 s13, s5, s13
	s_and_b32 s17, s7, 0xff000000
	s_and_b32 s19, s7, 0xff0000
	s_mov_b32 s18, s11
	v_dual_mov_b32 v21, s13 :: v_dual_mov_b32 v20, s12
	s_or_b64 s[16:17], s[18:19], s[16:17]
	s_and_b32 s19, s7, 0xff00
	s_delay_alu instid0(SALU_CYCLE_1) | instskip(SKIP_1) | instid1(SALU_CYCLE_1)
	s_or_b64 s[16:17], s[16:17], s[18:19]
	s_and_b32 s19, s7, 0xff
	s_or_b64 s[10:11], s[16:17], s[18:19]
	s_delay_alu instid0(SALU_CYCLE_1)
	v_mov_b32_e32 v2, s11
	;;#ASMSTART
	global_store_dwordx4 v[20:21], v[1:4] off	
s_waitcnt vmcnt(0)
	;;#ASMEND
.LBB1784_98:
	s_or_b32 exec_lo, exec_lo, s8
	v_xad_u32 v20, v77, -1, s15
	s_mov_b32 s9, 0
	s_mov_b32 s8, exec_lo
	s_delay_alu instid0(VALU_DEP_1) | instskip(NEXT) | instid1(VALU_DEP_1)
	v_add_nc_u32_e32 v3, 32, v20
	v_lshlrev_b64 v[2:3], 4, v[3:4]
	s_delay_alu instid0(VALU_DEP_1) | instskip(NEXT) | instid1(VALU_DEP_2)
	v_add_co_u32 v21, vcc_lo, s4, v2
	v_add_co_ci_u32_e32 v22, vcc_lo, s5, v3, vcc_lo
	;;#ASMSTART
	global_load_dwordx4 v[2:5], v[21:22] off glc	
s_waitcnt vmcnt(0)
	;;#ASMEND
	v_and_b32_e32 v5, 0xff, v3
	v_and_b32_e32 v23, 0xff00, v3
	v_or3_b32 v2, v2, 0, 0
	v_and_b32_e32 v24, 0xff000000, v3
	v_and_b32_e32 v3, 0xff0000, v3
	s_delay_alu instid0(VALU_DEP_4) | instskip(SKIP_2) | instid1(VALU_DEP_3)
	v_or3_b32 v5, 0, v5, v23
	v_and_b32_e32 v23, 0xff, v4
	v_or3_b32 v2, v2, 0, 0
	v_or3_b32 v3, v5, v3, v24
	s_delay_alu instid0(VALU_DEP_3)
	v_cmpx_eq_u16_e32 0, v23
	s_cbranch_execz .LBB1784_101
.LBB1784_99:                            ; =>This Inner Loop Header: Depth=1
	;;#ASMSTART
	global_load_dwordx4 v[2:5], v[21:22] off glc	
s_waitcnt vmcnt(0)
	;;#ASMEND
	v_and_b32_e32 v5, 0xff, v4
	s_delay_alu instid0(VALU_DEP_1) | instskip(SKIP_1) | instid1(SALU_CYCLE_1)
	v_cmp_ne_u16_e32 vcc_lo, 0, v5
	s_or_b32 s9, vcc_lo, s9
	s_and_not1_b32 exec_lo, exec_lo, s9
	s_cbranch_execnz .LBB1784_99
; %bb.100:
	s_or_b32 exec_lo, exec_lo, s9
.LBB1784_101:
	s_delay_alu instid0(SALU_CYCLE_1)
	s_or_b32 exec_lo, exec_lo, s8
	v_cmp_ne_u32_e32 vcc_lo, 31, v77
	v_lshlrev_b32_e64 v87, v77, -1
	v_add_nc_u32_e32 v91, 4, v77
	v_add_nc_u32_e32 v93, 8, v77
	;; [unrolled: 1-line block ×3, first 2 shown]
	v_add_co_ci_u32_e32 v5, vcc_lo, 0, v77, vcc_lo
	s_delay_alu instid0(VALU_DEP_1)
	v_lshlrev_b32_e32 v86, 2, v5
	ds_bpermute_b32 v21, v86, v3
	ds_bpermute_b32 v5, v86, v2
	s_waitcnt lgkmcnt(1)
	v_add_nc_u32_e32 v21, v21, v3
	v_and_b32_e32 v22, 0xff, v4
	s_waitcnt lgkmcnt(0)
	v_add_nc_u32_e32 v5, v5, v2
	s_delay_alu instid0(VALU_DEP_2) | instskip(SKIP_2) | instid1(VALU_DEP_2)
	v_cmp_eq_u16_e32 vcc_lo, 2, v22
	v_and_or_b32 v22, vcc_lo, v87, 0x80000000
	v_cmp_gt_u32_e32 vcc_lo, 30, v77
	v_ctz_i32_b32_e32 v22, v22
	v_cndmask_b32_e64 v23, 0, 1, vcc_lo
	s_delay_alu instid0(VALU_DEP_2) | instskip(NEXT) | instid1(VALU_DEP_2)
	v_cmp_lt_u32_e32 vcc_lo, v77, v22
	v_dual_cndmask_b32 v2, v2, v5 :: v_dual_lshlrev_b32 v23, 1, v23
	s_delay_alu instid0(VALU_DEP_1)
	v_add_lshl_u32 v88, v23, v77, 2
	v_cndmask_b32_e32 v3, v3, v21, vcc_lo
	v_cmp_gt_u32_e32 vcc_lo, 28, v77
	ds_bpermute_b32 v5, v88, v2
	ds_bpermute_b32 v21, v88, v3
	v_cndmask_b32_e64 v23, 0, 1, vcc_lo
	s_waitcnt lgkmcnt(1)
	v_add_nc_u32_e32 v5, v2, v5
	v_add_nc_u32_e32 v89, 2, v77
	s_waitcnt lgkmcnt(0)
	v_add_nc_u32_e32 v21, v3, v21
	s_delay_alu instid0(VALU_DEP_2) | instskip(SKIP_1) | instid1(VALU_DEP_3)
	v_cmp_gt_u32_e32 vcc_lo, v89, v22
	v_dual_cndmask_b32 v2, v5, v2 :: v_dual_lshlrev_b32 v23, 2, v23
	v_cndmask_b32_e32 v3, v21, v3, vcc_lo
	v_cmp_gt_u32_e32 vcc_lo, 24, v77
	s_delay_alu instid0(VALU_DEP_3)
	v_add_lshl_u32 v90, v23, v77, 2
	v_cndmask_b32_e64 v23, 0, 1, vcc_lo
	v_cmp_gt_u32_e32 vcc_lo, v91, v22
	ds_bpermute_b32 v5, v90, v2
	ds_bpermute_b32 v21, v90, v3
	v_lshlrev_b32_e32 v23, 3, v23
	s_delay_alu instid0(VALU_DEP_1) | instskip(SKIP_3) | instid1(VALU_DEP_1)
	v_add_lshl_u32 v92, v23, v77, 2
	s_waitcnt lgkmcnt(1)
	v_add_nc_u32_e32 v5, v2, v5
	s_waitcnt lgkmcnt(0)
	v_dual_cndmask_b32 v2, v5, v2 :: v_dual_add_nc_u32 v21, v3, v21
	s_delay_alu instid0(VALU_DEP_1)
	v_cndmask_b32_e32 v3, v21, v3, vcc_lo
	v_cmp_gt_u32_e32 vcc_lo, 16, v77
	ds_bpermute_b32 v5, v92, v2
	ds_bpermute_b32 v21, v92, v3
	v_cndmask_b32_e64 v23, 0, 1, vcc_lo
	v_cmp_gt_u32_e32 vcc_lo, v93, v22
	s_delay_alu instid0(VALU_DEP_2) | instskip(NEXT) | instid1(VALU_DEP_1)
	v_lshlrev_b32_e32 v23, 4, v23
	v_add_lshl_u32 v94, v23, v77, 2
	s_waitcnt lgkmcnt(1)
	v_add_nc_u32_e32 v5, v2, v5
	s_waitcnt lgkmcnt(0)
	s_delay_alu instid0(VALU_DEP_1) | instskip(NEXT) | instid1(VALU_DEP_1)
	v_dual_cndmask_b32 v2, v5, v2 :: v_dual_add_nc_u32 v21, v3, v21
	v_cndmask_b32_e32 v3, v21, v3, vcc_lo
	v_cmp_le_u32_e32 vcc_lo, v95, v22
	ds_bpermute_b32 v5, v94, v2
	ds_bpermute_b32 v21, v94, v3
	s_waitcnt lgkmcnt(1)
	v_cndmask_b32_e32 v5, 0, v5, vcc_lo
	s_waitcnt lgkmcnt(0)
	s_delay_alu instid0(VALU_DEP_1) | instskip(NEXT) | instid1(VALU_DEP_1)
	v_dual_cndmask_b32 v21, 0, v21 :: v_dual_add_nc_u32 v2, v5, v2
	v_add_nc_u32_e32 v3, v21, v3
	v_mov_b32_e32 v21, 0
	s_branch .LBB1784_103
.LBB1784_102:                           ;   in Loop: Header=BB1784_103 Depth=1
	s_or_b32 exec_lo, exec_lo, s8
	ds_bpermute_b32 v5, v86, v2
	ds_bpermute_b32 v24, v86, v3
	v_subrev_nc_u32_e32 v20, 32, v20
	s_waitcnt lgkmcnt(1)
	v_add_nc_u32_e32 v5, v5, v2
	v_and_b32_e32 v25, 0xff, v4
	s_waitcnt lgkmcnt(0)
	v_add_nc_u32_e32 v24, v24, v3
	s_delay_alu instid0(VALU_DEP_2) | instskip(SKIP_1) | instid1(VALU_DEP_1)
	v_cmp_eq_u16_e32 vcc_lo, 2, v25
	v_and_or_b32 v25, vcc_lo, v87, 0x80000000
	v_ctz_i32_b32_e32 v25, v25
	s_delay_alu instid0(VALU_DEP_1)
	v_cmp_lt_u32_e32 vcc_lo, v77, v25
	v_cndmask_b32_e32 v2, v2, v5, vcc_lo
	ds_bpermute_b32 v5, v88, v2
	s_waitcnt lgkmcnt(0)
	v_add_nc_u32_e32 v5, v2, v5
	v_cndmask_b32_e32 v3, v3, v24, vcc_lo
	v_cmp_gt_u32_e32 vcc_lo, v89, v25
	s_delay_alu instid0(VALU_DEP_3)
	v_cndmask_b32_e32 v2, v5, v2, vcc_lo
	ds_bpermute_b32 v24, v88, v3
	ds_bpermute_b32 v5, v90, v2
	s_waitcnt lgkmcnt(1)
	v_add_nc_u32_e32 v24, v3, v24
	s_waitcnt lgkmcnt(0)
	v_add_nc_u32_e32 v5, v2, v5
	s_delay_alu instid0(VALU_DEP_2) | instskip(SKIP_1) | instid1(VALU_DEP_3)
	v_cndmask_b32_e32 v3, v24, v3, vcc_lo
	v_cmp_gt_u32_e32 vcc_lo, v91, v25
	v_cndmask_b32_e32 v2, v5, v2, vcc_lo
	ds_bpermute_b32 v24, v90, v3
	ds_bpermute_b32 v5, v92, v2
	s_waitcnt lgkmcnt(1)
	v_add_nc_u32_e32 v24, v3, v24
	s_waitcnt lgkmcnt(0)
	v_add_nc_u32_e32 v5, v2, v5
	s_delay_alu instid0(VALU_DEP_2) | instskip(SKIP_1) | instid1(VALU_DEP_3)
	v_cndmask_b32_e32 v3, v24, v3, vcc_lo
	v_cmp_gt_u32_e32 vcc_lo, v93, v25
	v_cndmask_b32_e32 v2, v5, v2, vcc_lo
	ds_bpermute_b32 v24, v92, v3
	ds_bpermute_b32 v5, v94, v2
	s_waitcnt lgkmcnt(1)
	v_add_nc_u32_e32 v24, v3, v24
	s_delay_alu instid0(VALU_DEP_1) | instskip(SKIP_4) | instid1(VALU_DEP_1)
	v_cndmask_b32_e32 v3, v24, v3, vcc_lo
	v_cmp_le_u32_e32 vcc_lo, v95, v25
	ds_bpermute_b32 v24, v94, v3
	s_waitcnt lgkmcnt(1)
	v_cndmask_b32_e32 v5, 0, v5, vcc_lo
	v_add3_u32 v2, v2, v22, v5
	s_waitcnt lgkmcnt(0)
	v_cndmask_b32_e32 v24, 0, v24, vcc_lo
	s_delay_alu instid0(VALU_DEP_1)
	v_add3_u32 v3, v3, v23, v24
.LBB1784_103:                           ; =>This Loop Header: Depth=1
                                        ;     Child Loop BB1784_106 Depth 2
	s_delay_alu instid0(VALU_DEP_1) | instskip(SKIP_1) | instid1(VALU_DEP_2)
	v_dual_mov_b32 v23, v3 :: v_dual_and_b32 v4, 0xff, v4
	v_mov_b32_e32 v22, v2
	v_cmp_ne_u16_e32 vcc_lo, 2, v4
	v_cndmask_b32_e64 v4, 0, 1, vcc_lo
	;;#ASMSTART
	;;#ASMEND
	s_delay_alu instid0(VALU_DEP_1)
	v_cmp_ne_u32_e32 vcc_lo, 0, v4
	s_cmp_lg_u32 vcc_lo, exec_lo
	s_cbranch_scc1 .LBB1784_108
; %bb.104:                              ;   in Loop: Header=BB1784_103 Depth=1
	v_lshlrev_b64 v[2:3], 4, v[20:21]
	s_mov_b32 s8, exec_lo
	s_delay_alu instid0(VALU_DEP_1) | instskip(NEXT) | instid1(VALU_DEP_2)
	v_add_co_u32 v24, vcc_lo, s4, v2
	v_add_co_ci_u32_e32 v25, vcc_lo, s5, v3, vcc_lo
	;;#ASMSTART
	global_load_dwordx4 v[2:5], v[24:25] off glc	
s_waitcnt vmcnt(0)
	;;#ASMEND
	v_and_b32_e32 v5, 0xff, v3
	v_and_b32_e32 v96, 0xff00, v3
	v_or3_b32 v2, v2, 0, 0
	v_and_b32_e32 v97, 0xff000000, v3
	v_and_b32_e32 v3, 0xff0000, v3
	s_delay_alu instid0(VALU_DEP_4) | instskip(SKIP_2) | instid1(VALU_DEP_3)
	v_or3_b32 v5, 0, v5, v96
	v_and_b32_e32 v96, 0xff, v4
	v_or3_b32 v2, v2, 0, 0
	v_or3_b32 v3, v5, v3, v97
	s_delay_alu instid0(VALU_DEP_3)
	v_cmpx_eq_u16_e32 0, v96
	s_cbranch_execz .LBB1784_102
; %bb.105:                              ;   in Loop: Header=BB1784_103 Depth=1
	s_mov_b32 s9, 0
.LBB1784_106:                           ;   Parent Loop BB1784_103 Depth=1
                                        ; =>  This Inner Loop Header: Depth=2
	;;#ASMSTART
	global_load_dwordx4 v[2:5], v[24:25] off glc	
s_waitcnt vmcnt(0)
	;;#ASMEND
	v_and_b32_e32 v5, 0xff, v4
	s_delay_alu instid0(VALU_DEP_1) | instskip(SKIP_1) | instid1(SALU_CYCLE_1)
	v_cmp_ne_u16_e32 vcc_lo, 0, v5
	s_or_b32 s9, vcc_lo, s9
	s_and_not1_b32 exec_lo, exec_lo, s9
	s_cbranch_execnz .LBB1784_106
; %bb.107:                              ;   in Loop: Header=BB1784_103 Depth=1
	s_or_b32 exec_lo, exec_lo, s9
	s_branch .LBB1784_102
.LBB1784_108:                           ;   in Loop: Header=BB1784_103 Depth=1
                                        ; implicit-def: $vgpr4
                                        ; implicit-def: $vgpr2_vgpr3
	s_cbranch_execz .LBB1784_103
; %bb.109:
	s_and_saveexec_b32 s8, s2
	s_cbranch_execnz .LBB1784_352
; %bb.110:
	s_or_b32 exec_lo, exec_lo, s8
	s_and_saveexec_b32 s8, s2
	s_cbranch_execnz .LBB1784_353
.LBB1784_111:
	s_or_b32 exec_lo, exec_lo, s8
	v_cmp_eq_u32_e32 vcc_lo, 0, v0
	s_and_b32 exec_lo, exec_lo, vcc_lo
	s_cbranch_execz .LBB1784_113
.LBB1784_112:
	v_mov_b32_e32 v1, 0
	ds_store_b64 v1, v[22:23] offset:56
.LBB1784_113:
	s_or_b32 exec_lo, exec_lo, s6
	v_cmp_eq_u32_e32 vcc_lo, 0, v0
	v_mov_b32_e32 v1, 0
	s_waitcnt lgkmcnt(0)
	s_barrier
	buffer_gl0_inv
	v_add_nc_u32_e64 v3, 0x3400, 0
	ds_load_b64 v[20:21], v1 offset:56
	s_waitcnt lgkmcnt(0)
	s_barrier
	buffer_gl0_inv
	ds_load_2addr_b32 v[1:2], v3 offset1:2
	ds_load_2addr_b32 v[3:4], v3 offset0:4 offset1:6
	v_cndmask_b32_e64 v5, v84, v18, s2
	v_cndmask_b32_e64 v18, v85, v19, s2
	s_delay_alu instid0(VALU_DEP_2) | instskip(NEXT) | instid1(VALU_DEP_1)
	v_add_nc_u32_e32 v19, v20, v5
	v_dual_cndmask_b32 v20, v19, v20 :: v_dual_add_nc_u32 v5, v21, v18
	s_delay_alu instid0(VALU_DEP_1)
	v_cndmask_b32_e32 v5, v5, v21, vcc_lo
	s_branch .LBB1784_124
.LBB1784_114:
                                        ; implicit-def: $vgpr5
                                        ; implicit-def: $vgpr3
                                        ; implicit-def: $vgpr1
                                        ; implicit-def: $vgpr20_vgpr21
	s_and_b32 vcc_lo, exec_lo, s6
	s_cbranch_vccz .LBB1784_124
; %bb.115:
	s_waitcnt lgkmcnt(0)
	v_mov_b32_dpp v2, v83 row_shr:1 row_mask:0xf bank_mask:0xf
	v_cmp_lt_u32_e32 vcc_lo, 3, v81
	v_mov_b32_dpp v1, v82 row_shr:1 row_mask:0xf bank_mask:0xf
	s_delay_alu instid0(VALU_DEP_3) | instskip(NEXT) | instid1(VALU_DEP_1)
	v_add_nc_u32_e32 v2, v2, v83
	v_cndmask_b32_e64 v2, v2, v83, s1
	s_delay_alu instid0(VALU_DEP_1) | instskip(NEXT) | instid1(VALU_DEP_1)
	v_mov_b32_dpp v4, v2 row_shr:2 row_mask:0xf bank_mask:0xf
	v_add_nc_u32_e32 v4, v2, v4
	s_delay_alu instid0(VALU_DEP_1) | instskip(NEXT) | instid1(VALU_DEP_1)
	v_cndmask_b32_e64 v2, v2, v4, s0
	v_mov_b32_dpp v4, v2 row_shr:4 row_mask:0xf bank_mask:0xf
	s_delay_alu instid0(VALU_DEP_1) | instskip(NEXT) | instid1(VALU_DEP_1)
	v_add_nc_u32_e32 v4, v2, v4
	v_dual_cndmask_b32 v2, v2, v4 :: v_dual_add_nc_u32 v1, v1, v82
	s_delay_alu instid0(VALU_DEP_1) | instskip(NEXT) | instid1(VALU_DEP_2)
	v_cndmask_b32_e64 v1, v1, v82, s1
	v_mov_b32_dpp v4, v2 row_shr:8 row_mask:0xf bank_mask:0xf
	s_delay_alu instid0(VALU_DEP_2) | instskip(NEXT) | instid1(VALU_DEP_2)
	v_mov_b32_dpp v3, v1 row_shr:2 row_mask:0xf bank_mask:0xf
	v_add_nc_u32_e32 v4, v2, v4
	s_delay_alu instid0(VALU_DEP_2) | instskip(NEXT) | instid1(VALU_DEP_1)
	v_add_nc_u32_e32 v3, v1, v3
	v_cndmask_b32_e64 v1, v1, v3, s0
	s_mov_b32 s0, exec_lo
	s_delay_alu instid0(VALU_DEP_1) | instskip(NEXT) | instid1(VALU_DEP_1)
	v_mov_b32_dpp v3, v1 row_shr:4 row_mask:0xf bank_mask:0xf
	v_add_nc_u32_e32 v3, v1, v3
	s_delay_alu instid0(VALU_DEP_1) | instskip(SKIP_1) | instid1(VALU_DEP_2)
	v_cndmask_b32_e32 v1, v1, v3, vcc_lo
	v_cmp_lt_u32_e32 vcc_lo, 7, v81
	v_mov_b32_dpp v3, v1 row_shr:8 row_mask:0xf bank_mask:0xf
	s_delay_alu instid0(VALU_DEP_1) | instskip(NEXT) | instid1(VALU_DEP_1)
	v_dual_cndmask_b32 v2, v2, v4 :: v_dual_add_nc_u32 v3, v1, v3
	v_cndmask_b32_e32 v1, v1, v3, vcc_lo
	ds_swizzle_b32 v3, v2 offset:swizzle(BROADCAST,32,15)
	v_cmp_eq_u32_e32 vcc_lo, 0, v80
	ds_swizzle_b32 v4, v1 offset:swizzle(BROADCAST,32,15)
	s_waitcnt lgkmcnt(1)
	v_add_nc_u32_e32 v3, v2, v3
	s_waitcnt lgkmcnt(0)
	v_add_nc_u32_e32 v4, v1, v4
	s_delay_alu instid0(VALU_DEP_1)
	v_dual_cndmask_b32 v2, v3, v2 :: v_dual_cndmask_b32 v1, v4, v1
	v_cmpx_eq_u32_e64 v79, v0
	s_cbranch_execz .LBB1784_117
; %bb.116:
	v_lshlrev_b32_e32 v3, 3, v78
	ds_store_b64 v3, v[1:2]
.LBB1784_117:
	s_or_b32 exec_lo, exec_lo, s0
	s_delay_alu instid0(SALU_CYCLE_1)
	s_mov_b32 s0, exec_lo
	s_waitcnt lgkmcnt(0)
	s_barrier
	buffer_gl0_inv
	v_cmpx_gt_u32_e32 8, v0
	s_cbranch_execz .LBB1784_119
; %bb.118:
	v_lshlrev_b32_e32 v5, 3, v0
	ds_load_b64 v[3:4], v5
	s_waitcnt lgkmcnt(0)
	v_mov_b32_dpp v18, v3 row_shr:1 row_mask:0xf bank_mask:0xf
	v_mov_b32_dpp v19, v4 row_shr:1 row_mask:0xf bank_mask:0xf
	s_delay_alu instid0(VALU_DEP_2) | instskip(SKIP_1) | instid1(VALU_DEP_3)
	v_add_nc_u32_e32 v18, v18, v3
	v_and_b32_e32 v20, 7, v77
	v_add_nc_u32_e32 v19, v19, v4
	s_delay_alu instid0(VALU_DEP_2) | instskip(NEXT) | instid1(VALU_DEP_2)
	v_cmp_eq_u32_e32 vcc_lo, 0, v20
	v_dual_cndmask_b32 v4, v19, v4 :: v_dual_cndmask_b32 v3, v18, v3
	v_cmp_lt_u32_e32 vcc_lo, 1, v20
	s_delay_alu instid0(VALU_DEP_2) | instskip(NEXT) | instid1(VALU_DEP_3)
	v_mov_b32_dpp v19, v4 row_shr:2 row_mask:0xf bank_mask:0xf
	v_mov_b32_dpp v18, v3 row_shr:2 row_mask:0xf bank_mask:0xf
	s_delay_alu instid0(VALU_DEP_2) | instskip(NEXT) | instid1(VALU_DEP_2)
	v_add_nc_u32_e32 v19, v4, v19
	v_add_nc_u32_e32 v18, v3, v18
	s_delay_alu instid0(VALU_DEP_1) | instskip(SKIP_1) | instid1(VALU_DEP_2)
	v_dual_cndmask_b32 v4, v4, v19 :: v_dual_cndmask_b32 v3, v3, v18
	v_cmp_lt_u32_e32 vcc_lo, 3, v20
	v_mov_b32_dpp v19, v4 row_shr:4 row_mask:0xf bank_mask:0xf
	s_delay_alu instid0(VALU_DEP_3) | instskip(NEXT) | instid1(VALU_DEP_1)
	v_mov_b32_dpp v18, v3 row_shr:4 row_mask:0xf bank_mask:0xf
	v_dual_cndmask_b32 v19, 0, v19 :: v_dual_cndmask_b32 v18, 0, v18
	s_delay_alu instid0(VALU_DEP_1) | instskip(NEXT) | instid1(VALU_DEP_2)
	v_add_nc_u32_e32 v4, v19, v4
	v_add_nc_u32_e32 v3, v18, v3
	ds_store_b64 v5, v[3:4]
.LBB1784_119:
	s_or_b32 exec_lo, exec_lo, s0
	v_dual_mov_b32 v3, 0 :: v_dual_mov_b32 v18, 0
	v_mov_b32_e32 v19, 0
	s_mov_b32 s0, exec_lo
	s_waitcnt lgkmcnt(0)
	s_barrier
	buffer_gl0_inv
	v_cmpx_lt_u32_e32 31, v0
	s_cbranch_execz .LBB1784_121
; %bb.120:
	v_lshl_add_u32 v4, v78, 3, -8
	ds_load_b64 v[18:19], v4
.LBB1784_121:
	s_or_b32 exec_lo, exec_lo, s0
	v_add_nc_u32_e32 v4, -1, v77
	s_waitcnt lgkmcnt(0)
	v_add_nc_u32_e32 v20, v19, v2
	v_add_nc_u32_e32 v5, v18, v1
	ds_load_b64 v[1:2], v3 offset:56
	v_cmp_gt_i32_e32 vcc_lo, 0, v4
	v_cndmask_b32_e32 v4, v4, v77, vcc_lo
	v_cmp_eq_u32_e32 vcc_lo, 0, v0
	s_delay_alu instid0(VALU_DEP_2)
	v_lshlrev_b32_e32 v4, 2, v4
	ds_bpermute_b32 v5, v4, v5
	ds_bpermute_b32 v20, v4, v20
	s_waitcnt lgkmcnt(2)
	v_readfirstlane_b32 s1, v2
	s_and_saveexec_b32 s0, vcc_lo
	s_cbranch_execz .LBB1784_123
; %bb.122:
	s_mov_b32 s6, 0
	s_add_u32 s4, s4, 0x200
	s_addc_u32 s5, s5, 0
	s_and_b32 s7, s1, 0xff000000
	s_and_b32 s9, s1, 0xff0000
	s_mov_b32 s8, s6
	v_mov_b32_e32 v22, s5
	s_or_b64 s[8:9], s[8:9], s[6:7]
	s_and_b32 s7, s1, 0xff00
	v_dual_mov_b32 v4, 0 :: v_dual_mov_b32 v21, s4
	s_or_b64 s[8:9], s[8:9], s[6:7]
	s_and_b32 s7, s1, 0xff
	v_mov_b32_e32 v3, 2
	s_or_b64 s[6:7], s[8:9], s[6:7]
	s_delay_alu instid0(SALU_CYCLE_1)
	v_mov_b32_e32 v2, s7
	;;#ASMSTART
	global_store_dwordx4 v[21:22], v[1:4] off	
s_waitcnt vmcnt(0)
	;;#ASMEND
.LBB1784_123:
	s_or_b32 exec_lo, exec_lo, s0
	v_cmp_eq_u32_e64 s0, 0, v77
	v_dual_mov_b32 v3, 0 :: v_dual_mov_b32 v2, s1
	s_waitcnt lgkmcnt(0)
	s_barrier
	s_delay_alu instid0(VALU_DEP_2)
	v_cndmask_b32_e64 v4, v5, v18, s0
	v_cndmask_b32_e64 v5, v20, v19, s0
	buffer_gl0_inv
	v_cndmask_b32_e64 v20, v4, 0, vcc_lo
	v_cndmask_b32_e64 v5, v5, 0, vcc_lo
	v_mov_b32_e32 v4, 0
.LBB1784_124:
	v_and_b32_e32 v30, 1, v30
	v_and_b32_e32 v34, 1, v34
	;; [unrolled: 1-line block ×4, first 2 shown]
	s_waitcnt lgkmcnt(0)
	v_add_co_u32 v18, s0, s28, v3
	v_cmp_eq_u32_e32 vcc_lo, 1, v30
	v_add_nc_u32_e32 v22, v5, v76
	v_sub_nc_u32_e32 v5, v5, v4
	v_add_co_ci_u32_e64 v19, null, s29, 0, s0
	s_mov_b32 s2, -1
	s_delay_alu instid0(VALU_DEP_3) | instskip(SKIP_3) | instid1(VALU_DEP_3)
	v_add_nc_u32_e32 v24, v22, v72
	v_sub_nc_u32_e32 v22, v22, v4
	v_add_nc_u32_e32 v5, v5, v1
	v_sub_co_u32 v72, s0, s30, v1
	v_add_nc_u32_e32 v22, v22, v1
	v_add_nc_u32_e32 v21, v20, v75
	v_sub_nc_u32_e32 v20, v20, v3
	s_delay_alu instid0(VALU_DEP_2)
	v_add_nc_u32_e32 v23, v21, v71
	v_add_nc_u32_e32 v71, v24, v74
	v_lshlrev_b32_e32 v74, 1, v1
	v_sub_nc_u32_e32 v21, v21, v3
	v_add_nc_u32_e32 v75, v20, v5
	v_sub_nc_u32_e32 v24, v24, v4
	s_delay_alu instid0(VALU_DEP_4) | instskip(NEXT) | instid1(VALU_DEP_4)
	v_add3_u32 v28, v74, v2, v28
	v_add_nc_u32_e32 v76, v22, v21
	s_delay_alu instid0(VALU_DEP_3) | instskip(NEXT) | instid1(VALU_DEP_3)
	v_add_nc_u32_e32 v24, v24, v1
	v_sub_nc_u32_e32 v75, v28, v75
	s_delay_alu instid0(VALU_DEP_3) | instskip(NEXT) | instid1(VALU_DEP_1)
	v_sub_nc_u32_e32 v76, v28, v76
	v_dual_cndmask_b32 v5, v75, v5 :: v_dual_add_nc_u32 v30, 1, v76
	v_cmp_eq_u32_e32 vcc_lo, 1, v34
	s_delay_alu instid0(VALU_DEP_2) | instskip(SKIP_1) | instid1(VALU_DEP_4)
	v_cndmask_b32_e32 v22, v30, v22, vcc_lo
	v_cmp_eq_u32_e32 vcc_lo, 1, v29
	v_cndmask_b32_e32 v5, v5, v20, vcc_lo
	v_and_b32_e32 v20, 1, v36
	v_cmp_eq_u32_e32 vcc_lo, 1, v33
	s_delay_alu instid0(VALU_DEP_3) | instskip(SKIP_1) | instid1(VALU_DEP_4)
	v_lshlrev_b32_e32 v5, 2, v5
	v_cndmask_b32_e32 v21, v22, v21, vcc_lo
	v_cmp_eq_u32_e32 vcc_lo, 1, v20
	v_add_nc_u32_e32 v25, v23, v73
	v_sub_nc_u32_e32 v23, v23, v3
	v_and_b32_e32 v22, 1, v31
	v_sub_co_ci_u32_e64 v73, null, s31, 0, s0
	v_and_b32_e32 v31, 1, v32
	s_delay_alu instid0(VALU_DEP_4) | instskip(NEXT) | instid1(VALU_DEP_1)
	v_add_nc_u32_e32 v77, v24, v23
	v_sub_nc_u32_e32 v75, v28, v77
	s_delay_alu instid0(VALU_DEP_1) | instskip(NEXT) | instid1(VALU_DEP_1)
	v_add_nc_u32_e32 v29, 2, v75
	v_cndmask_b32_e32 v20, v29, v24, vcc_lo
	v_sub_nc_u32_e32 v24, v71, v4
	v_cmp_eq_u32_e32 vcc_lo, 1, v22
	v_add_nc_u32_e32 v69, v25, v69
	v_lshlrev_b32_e32 v29, 2, v21
	ds_store_b32 v5, v16
	ds_store_b32 v29, v17
	v_cndmask_b32_e32 v22, v20, v23, vcc_lo
	v_sub_nc_u32_e32 v23, v25, v3
	v_add_nc_u32_e32 v24, v24, v1
	v_add_co_u32 v20, vcc_lo, v72, v4
	s_delay_alu instid0(VALU_DEP_4) | instskip(SKIP_1) | instid1(VALU_DEP_4)
	v_lshlrev_b32_e32 v5, 2, v22
	v_and_b32_e32 v22, 1, v35
	v_add_nc_u32_e32 v25, v23, v24
	v_add_co_ci_u32_e32 v21, vcc_lo, 0, v73, vcc_lo
	ds_store_b32 v5, v14
	v_cmp_eq_u32_e32 vcc_lo, 1, v22
	v_sub_nc_u32_e32 v17, v28, v25
	v_sub_nc_u32_e32 v29, v69, v3
	v_add_nc_u32_e32 v67, v69, v67
	s_delay_alu instid0(VALU_DEP_3) | instskip(NEXT) | instid1(VALU_DEP_2)
	v_add_nc_u32_e32 v17, 3, v17
	v_sub_nc_u32_e32 v30, v67, v3
	s_delay_alu instid0(VALU_DEP_2) | instskip(SKIP_2) | instid1(VALU_DEP_3)
	v_cndmask_b32_e32 v17, v17, v24, vcc_lo
	v_cmp_eq_u32_e32 vcc_lo, 1, v31
	v_and_b32_e32 v24, 1, v39
	v_cndmask_b32_e32 v14, v17, v23, vcc_lo
	v_add_nc_u32_e32 v70, v71, v70
	v_and_b32_e32 v23, 1, v38
	s_delay_alu instid0(VALU_DEP_3) | instskip(NEXT) | instid1(VALU_DEP_3)
	v_lshlrev_b32_e32 v14, 2, v14
	v_add_nc_u32_e32 v68, v70, v68
	v_sub_nc_u32_e32 v16, v70, v4
	ds_store_b32 v14, v15
	v_sub_nc_u32_e32 v25, v68, v4
	v_add_nc_u32_e32 v16, v16, v1
	s_delay_alu instid0(VALU_DEP_2) | instskip(NEXT) | instid1(VALU_DEP_2)
	v_add_nc_u32_e32 v25, v25, v1
	v_add_nc_u32_e32 v32, v29, v16
	s_delay_alu instid0(VALU_DEP_2) | instskip(NEXT) | instid1(VALU_DEP_2)
	v_add_nc_u32_e32 v22, v30, v25
	v_sub_nc_u32_e32 v5, v28, v32
	s_delay_alu instid0(VALU_DEP_2) | instskip(SKIP_1) | instid1(VALU_DEP_3)
	v_sub_nc_u32_e32 v17, v28, v22
	v_and_b32_e32 v22, 1, v37
	v_add_nc_u32_e32 v5, 4, v5
	s_delay_alu instid0(VALU_DEP_3) | instskip(NEXT) | instid1(VALU_DEP_3)
	v_add_nc_u32_e32 v17, 5, v17
	v_cmp_eq_u32_e32 vcc_lo, 1, v22
	s_delay_alu instid0(VALU_DEP_3)
	v_cndmask_b32_e32 v5, v5, v16, vcc_lo
	v_cmp_eq_u32_e32 vcc_lo, 1, v24
	v_and_b32_e32 v16, 1, v41
	v_cndmask_b32_e32 v17, v17, v25, vcc_lo
	v_cmp_eq_u32_e32 vcc_lo, 1, v23
	v_cndmask_b32_e32 v5, v5, v29, vcc_lo
	s_delay_alu instid0(VALU_DEP_4) | instskip(SKIP_1) | instid1(VALU_DEP_3)
	v_cmp_eq_u32_e32 vcc_lo, 1, v16
	v_add_nc_u32_e32 v66, v68, v66
	v_dual_cndmask_b32 v16, v17, v30 :: v_dual_lshlrev_b32 v5, 2, v5
	s_delay_alu instid0(VALU_DEP_2) | instskip(SKIP_1) | instid1(VALU_DEP_3)
	v_sub_nc_u32_e32 v22, v66, v4
	v_add_nc_u32_e32 v62, v66, v62
	v_lshlrev_b32_e32 v16, 2, v16
	ds_store_b32 v5, v12
	ds_store_b32 v16, v13
	v_and_b32_e32 v12, 1, v40
	v_add_nc_u32_e32 v22, v22, v1
	v_add_nc_u32_e32 v64, v62, v64
	v_sub_nc_u32_e32 v17, v62, v4
	v_and_b32_e32 v16, 1, v43
	v_cmp_eq_u32_e32 vcc_lo, 1, v12
	v_add_nc_u32_e32 v65, v67, v65
	v_sub_nc_u32_e32 v15, v64, v4
	v_add_nc_u32_e32 v17, v17, v1
	s_delay_alu instid0(VALU_DEP_3) | instskip(NEXT) | instid1(VALU_DEP_3)
	v_sub_nc_u32_e32 v23, v65, v3
	v_add_nc_u32_e32 v15, v15, v1
	s_delay_alu instid0(VALU_DEP_2) | instskip(NEXT) | instid1(VALU_DEP_1)
	v_add_nc_u32_e32 v24, v23, v22
	v_sub_nc_u32_e32 v14, v28, v24
	v_and_b32_e32 v24, 1, v48
	s_delay_alu instid0(VALU_DEP_2) | instskip(SKIP_1) | instid1(VALU_DEP_2)
	v_add_nc_u32_e32 v13, 6, v14
	v_and_b32_e32 v14, 1, v42
	v_cndmask_b32_e32 v12, v13, v22, vcc_lo
	v_add_nc_u32_e32 v61, v65, v61
	s_delay_alu instid0(VALU_DEP_3) | instskip(SKIP_1) | instid1(VALU_DEP_3)
	v_cmp_eq_u32_e32 vcc_lo, 1, v14
	v_and_b32_e32 v22, 1, v44
	v_sub_nc_u32_e32 v25, v61, v3
	v_add_nc_u32_e32 v63, v61, v63
	v_cndmask_b32_e32 v12, v12, v23, vcc_lo
	v_cmp_eq_u32_e32 vcc_lo, 1, v16
	v_and_b32_e32 v23, 1, v46
	v_add_nc_u32_e32 v5, v25, v17
	v_sub_nc_u32_e32 v13, v63, v3
	v_lshlrev_b32_e32 v12, 2, v12
	v_add_nc_u32_e32 v59, v63, v59
	s_delay_alu instid0(VALU_DEP_4) | instskip(NEXT) | instid1(VALU_DEP_4)
	v_sub_nc_u32_e32 v5, v28, v5
	v_add_nc_u32_e32 v14, v13, v15
	s_delay_alu instid0(VALU_DEP_3) | instskip(NEXT) | instid1(VALU_DEP_3)
	v_add_nc_u32_e32 v57, v59, v57
	v_add_nc_u32_e32 v5, 7, v5
	s_delay_alu instid0(VALU_DEP_3) | instskip(NEXT) | instid1(VALU_DEP_3)
	v_sub_nc_u32_e32 v14, v28, v14
	v_add_nc_u32_e32 v55, v57, v55
	s_delay_alu instid0(VALU_DEP_3)
	v_cndmask_b32_e32 v5, v5, v17, vcc_lo
	v_cmp_eq_u32_e32 vcc_lo, 1, v22
	v_and_b32_e32 v17, 1, v45
	v_add_nc_u32_e32 v14, 8, v14
	v_sub_nc_u32_e32 v22, v59, v3
	v_add_nc_u32_e32 v53, v55, v53
	v_cndmask_b32_e32 v5, v5, v25, vcc_lo
	v_cmp_eq_u32_e32 vcc_lo, 1, v17
	v_sub_nc_u32_e32 v17, v55, v3
	v_and_b32_e32 v25, 1, v52
	s_delay_alu instid0(VALU_DEP_4)
	v_dual_cndmask_b32 v14, v14, v15 :: v_dual_lshlrev_b32 v5, 2, v5
	v_cmp_eq_u32_e32 vcc_lo, 1, v23
	v_add_nc_u32_e32 v60, v64, v60
	ds_store_b32 v12, v10
	ds_store_b32 v5, v11
	v_and_b32_e32 v11, 1, v49
	v_cndmask_b32_e32 v5, v14, v13, vcc_lo
	v_sub_nc_u32_e32 v16, v60, v4
	v_add_nc_u32_e32 v58, v60, v58
	v_and_b32_e32 v13, 1, v47
	s_delay_alu instid0(VALU_DEP_4) | instskip(NEXT) | instid1(VALU_DEP_4)
	v_lshlrev_b32_e32 v5, 2, v5
	v_add_nc_u32_e32 v16, v16, v1
	s_delay_alu instid0(VALU_DEP_4) | instskip(SKIP_2) | instid1(VALU_DEP_4)
	v_add_nc_u32_e32 v56, v58, v56
	v_sub_nc_u32_e32 v12, v58, v4
	v_cmp_eq_u32_e32 vcc_lo, 1, v13
	v_add_nc_u32_e32 v15, v22, v16
	s_delay_alu instid0(VALU_DEP_4) | instskip(NEXT) | instid1(VALU_DEP_4)
	v_sub_nc_u32_e32 v14, v56, v4
	v_add_nc_u32_e32 v12, v12, v1
	v_add_nc_u32_e32 v54, v56, v54
	s_delay_alu instid0(VALU_DEP_4) | instskip(SKIP_2) | instid1(VALU_DEP_4)
	v_sub_nc_u32_e32 v10, v28, v15
	v_sub_nc_u32_e32 v15, v57, v3
	v_add_nc_u32_e32 v14, v14, v1
	v_sub_nc_u32_e32 v23, v54, v4
	v_sub_nc_u32_e32 v3, v53, v3
	v_add_nc_u32_e32 v10, 9, v10
	v_add_nc_u32_e32 v13, v15, v12
	s_delay_alu instid0(VALU_DEP_2) | instskip(SKIP_2) | instid1(VALU_DEP_4)
	v_dual_cndmask_b32 v10, v10, v16 :: v_dual_add_nc_u32 v23, v23, v1
	v_add_nc_u32_e32 v16, v17, v14
	v_cmp_eq_u32_e32 vcc_lo, 1, v11
	v_sub_nc_u32_e32 v11, v28, v13
	v_and_b32_e32 v13, 1, v50
	s_delay_alu instid0(VALU_DEP_4) | instskip(NEXT) | instid1(VALU_DEP_3)
	v_sub_nc_u32_e32 v16, v28, v16
	v_dual_cndmask_b32 v10, v10, v22 :: v_dual_add_nc_u32 v11, 10, v11
	v_cmp_eq_u32_e32 vcc_lo, 1, v24
	v_add_nc_u32_e32 v22, v3, v23
	s_delay_alu instid0(VALU_DEP_4) | instskip(NEXT) | instid1(VALU_DEP_4)
	v_add_nc_u32_e32 v16, 11, v16
	v_dual_cndmask_b32 v11, v11, v12 :: v_dual_lshlrev_b32 v10, 2, v10
	v_cmp_eq_u32_e32 vcc_lo, 1, v25
	s_delay_alu instid0(VALU_DEP_4) | instskip(SKIP_3) | instid1(VALU_DEP_4)
	v_sub_nc_u32_e32 v22, v28, v22
	v_and_b32_e32 v12, 1, v51
	v_cndmask_b32_e32 v14, v16, v14, vcc_lo
	v_cmp_eq_u32_e32 vcc_lo, 1, v13
	v_dual_cndmask_b32 v11, v11, v15 :: v_dual_add_nc_u32 v16, 12, v22
	s_delay_alu instid0(VALU_DEP_4) | instskip(NEXT) | instid1(VALU_DEP_2)
	v_cmp_eq_u32_e32 vcc_lo, 1, v12
	v_cndmask_b32_e64 v13, v16, v23, s43
	s_delay_alu instid0(VALU_DEP_3) | instskip(NEXT) | instid1(VALU_DEP_2)
	v_dual_cndmask_b32 v12, v14, v17 :: v_dual_lshlrev_b32 v11, 2, v11
	v_cndmask_b32_e64 v3, v13, v3, s42
	s_delay_alu instid0(VALU_DEP_2)
	v_lshlrev_b32_e32 v12, 2, v12
	ds_store_b32 v5, v8
	ds_store_b32 v10, v9
	;; [unrolled: 1-line block ×4, first 2 shown]
	v_lshlrev_b32_e32 v3, 2, v3
	v_add_co_u32 v5, s0, v2, v74
	s_delay_alu instid0(VALU_DEP_1) | instskip(SKIP_4) | instid1(VALU_DEP_2)
	v_add_co_ci_u32_e64 v6, null, 0, 0, s0
	ds_store_b32 v3, v27
	v_add_co_u32 v3, vcc_lo, v5, v20
	v_add_co_ci_u32_e32 v5, vcc_lo, v6, v21, vcc_lo
	s_add_u32 s0, s34, s33
	v_add_co_u32 v3, vcc_lo, v3, v18
	s_delay_alu instid0(VALU_DEP_2) | instskip(SKIP_1) | instid1(VALU_DEP_2)
	v_add_co_ci_u32_e32 v5, vcc_lo, v5, v19, vcc_lo
	s_addc_u32 s1, s35, 0
	v_sub_co_u32 v3, vcc_lo, s0, v3
	s_delay_alu instid0(VALU_DEP_2)
	v_sub_co_ci_u32_e32 v9, vcc_lo, s1, v5, vcc_lo
	v_lshlrev_b64 v[5:6], 2, v[20:21]
	v_lshlrev_b64 v[7:8], 2, v[18:19]
	v_add_nc_u32_e32 v10, v1, v2
	s_add_u32 s1, s26, -4
	s_waitcnt lgkmcnt(0)
	s_barrier
	v_add_co_u32 v5, vcc_lo, s38, v5
	v_add_co_ci_u32_e32 v6, vcc_lo, s39, v6, vcc_lo
	v_cmp_ne_u32_e32 vcc_lo, 1, v26
	v_add_co_u32 v7, s0, s36, v7
	s_delay_alu instid0(VALU_DEP_1)
	v_add_co_ci_u32_e64 v8, s0, s37, v8, s0
	s_addc_u32 s0, s27, -1
	buffer_gl0_inv
	s_cbranch_vccz .LBB1784_128
; %bb.125:
	s_and_b32 vcc_lo, exec_lo, s2
	s_cbranch_vccnz .LBB1784_233
.LBB1784_126:
	v_cmp_eq_u32_e32 vcc_lo, 0, v0
	s_and_b32 s0, vcc_lo, s14
	s_delay_alu instid0(SALU_CYCLE_1)
	s_and_saveexec_b32 s1, s0
	s_cbranch_execnz .LBB1784_351
.LBB1784_127:
	s_nop 0
	s_sendmsg sendmsg(MSG_DEALLOC_VGPRS)
	s_endpgm
.LBB1784_128:
	s_mov_b32 s2, exec_lo
	v_cmpx_le_u32_e64 v1, v0
	s_xor_b32 s2, exec_lo, s2
	s_cbranch_execz .LBB1784_134
; %bb.129:
	s_mov_b32 s4, exec_lo
	v_cmpx_le_u32_e64 v10, v0
	s_xor_b32 s4, exec_lo, s4
	s_cbranch_execz .LBB1784_131
; %bb.130:
	v_lshlrev_b32_e32 v11, 2, v0
	ds_load_b32 v13, v11
	v_add_co_u32 v11, vcc_lo, v3, v0
	v_add_co_ci_u32_e32 v12, vcc_lo, 0, v9, vcc_lo
	s_delay_alu instid0(VALU_DEP_1) | instskip(NEXT) | instid1(VALU_DEP_1)
	v_lshlrev_b64 v[11:12], 2, v[11:12]
	v_sub_co_u32 v11, vcc_lo, s26, v11
	s_delay_alu instid0(VALU_DEP_2)
	v_sub_co_ci_u32_e32 v12, vcc_lo, s27, v12, vcc_lo
	s_waitcnt lgkmcnt(0)
	global_store_b32 v[11:12], v13, off offset:-4
.LBB1784_131:
	s_and_not1_saveexec_b32 s4, s4
	s_cbranch_execz .LBB1784_133
; %bb.132:
	v_lshlrev_b32_e32 v11, 2, v0
	v_readfirstlane_b32 s6, v5
	v_readfirstlane_b32 s7, v6
	ds_load_b32 v12, v11
	s_waitcnt lgkmcnt(0)
	global_store_b32 v11, v12, s[6:7]
.LBB1784_133:
	s_or_b32 exec_lo, exec_lo, s4
.LBB1784_134:
	s_and_not1_saveexec_b32 s2, s2
	s_cbranch_execz .LBB1784_136
; %bb.135:
	v_lshlrev_b32_e32 v11, 2, v0
	v_readfirstlane_b32 s4, v7
	v_readfirstlane_b32 s5, v8
	ds_load_b32 v12, v11
	s_waitcnt lgkmcnt(0)
	global_store_b32 v11, v12, s[4:5]
.LBB1784_136:
	s_or_b32 exec_lo, exec_lo, s2
	v_or_b32_e32 v11, 0x100, v0
	s_mov_b32 s2, exec_lo
	s_delay_alu instid0(VALU_DEP_1)
	v_cmpx_le_u32_e64 v1, v11
	s_xor_b32 s2, exec_lo, s2
	s_cbranch_execz .LBB1784_142
; %bb.137:
	s_mov_b32 s4, exec_lo
	v_cmpx_le_u32_e64 v10, v11
	s_xor_b32 s4, exec_lo, s4
	s_cbranch_execz .LBB1784_139
; %bb.138:
	v_lshlrev_b32_e32 v11, 2, v0
	ds_load_b32 v13, v11 offset:1024
	v_add_co_u32 v11, vcc_lo, v3, v0
	v_add_co_ci_u32_e32 v12, vcc_lo, 0, v9, vcc_lo
	s_delay_alu instid0(VALU_DEP_1) | instskip(NEXT) | instid1(VALU_DEP_1)
	v_lshlrev_b64 v[11:12], 2, v[11:12]
	v_sub_co_u32 v11, vcc_lo, s1, v11
	s_delay_alu instid0(VALU_DEP_2)
	v_sub_co_ci_u32_e32 v12, vcc_lo, s0, v12, vcc_lo
	s_waitcnt lgkmcnt(0)
	global_store_b32 v[11:12], v13, off offset:-1024
.LBB1784_139:
	s_and_not1_saveexec_b32 s4, s4
	s_cbranch_execz .LBB1784_141
; %bb.140:
	v_lshlrev_b32_e32 v11, 2, v0
	v_readfirstlane_b32 s6, v5
	v_readfirstlane_b32 s7, v6
	ds_load_b32 v12, v11 offset:1024
	s_waitcnt lgkmcnt(0)
	global_store_b32 v11, v12, s[6:7] offset:1024
.LBB1784_141:
	s_or_b32 exec_lo, exec_lo, s4
.LBB1784_142:
	s_and_not1_saveexec_b32 s2, s2
	s_cbranch_execz .LBB1784_144
; %bb.143:
	v_lshlrev_b32_e32 v11, 2, v0
	v_readfirstlane_b32 s4, v7
	v_readfirstlane_b32 s5, v8
	ds_load_b32 v12, v11 offset:1024
	s_waitcnt lgkmcnt(0)
	global_store_b32 v11, v12, s[4:5] offset:1024
.LBB1784_144:
	s_or_b32 exec_lo, exec_lo, s2
	v_or_b32_e32 v11, 0x200, v0
	s_mov_b32 s2, exec_lo
	s_delay_alu instid0(VALU_DEP_1)
	v_cmpx_le_u32_e64 v1, v11
	s_xor_b32 s2, exec_lo, s2
	s_cbranch_execz .LBB1784_150
; %bb.145:
	s_mov_b32 s4, exec_lo
	v_cmpx_le_u32_e64 v10, v11
	s_xor_b32 s4, exec_lo, s4
	s_cbranch_execz .LBB1784_147
; %bb.146:
	v_lshlrev_b32_e32 v11, 2, v0
	ds_load_b32 v13, v11 offset:2048
	v_add_co_u32 v11, vcc_lo, v3, v0
	v_add_co_ci_u32_e32 v12, vcc_lo, 0, v9, vcc_lo
	s_delay_alu instid0(VALU_DEP_1) | instskip(NEXT) | instid1(VALU_DEP_1)
	v_lshlrev_b64 v[11:12], 2, v[11:12]
	v_sub_co_u32 v11, vcc_lo, s1, v11
	s_delay_alu instid0(VALU_DEP_2)
	v_sub_co_ci_u32_e32 v12, vcc_lo, s0, v12, vcc_lo
	s_waitcnt lgkmcnt(0)
	global_store_b32 v[11:12], v13, off offset:-2048
.LBB1784_147:
	s_and_not1_saveexec_b32 s4, s4
	s_cbranch_execz .LBB1784_149
; %bb.148:
	v_lshlrev_b32_e32 v11, 2, v0
	v_readfirstlane_b32 s6, v5
	v_readfirstlane_b32 s7, v6
	ds_load_b32 v12, v11 offset:2048
	s_waitcnt lgkmcnt(0)
	global_store_b32 v11, v12, s[6:7] offset:2048
.LBB1784_149:
	s_or_b32 exec_lo, exec_lo, s4
.LBB1784_150:
	s_and_not1_saveexec_b32 s2, s2
	s_cbranch_execz .LBB1784_152
; %bb.151:
	v_lshlrev_b32_e32 v11, 2, v0
	v_readfirstlane_b32 s4, v7
	v_readfirstlane_b32 s5, v8
	ds_load_b32 v12, v11 offset:2048
	s_waitcnt lgkmcnt(0)
	global_store_b32 v11, v12, s[4:5] offset:2048
.LBB1784_152:
	;; [unrolled: 47-line block ×3, first 2 shown]
	s_or_b32 exec_lo, exec_lo, s2
	v_or_b32_e32 v11, 0x400, v0
	s_mov_b32 s2, exec_lo
	s_delay_alu instid0(VALU_DEP_1)
	v_cmpx_le_u32_e64 v1, v11
	s_xor_b32 s2, exec_lo, s2
	s_cbranch_execz .LBB1784_166
; %bb.161:
	s_mov_b32 s4, exec_lo
	v_cmpx_le_u32_e64 v10, v11
	s_xor_b32 s4, exec_lo, s4
	s_cbranch_execz .LBB1784_163
; %bb.162:
	v_lshlrev_b32_e32 v11, 2, v0
	ds_load_b32 v13, v11 offset:4096
	v_add_co_u32 v11, vcc_lo, v3, v0
	v_add_co_ci_u32_e32 v12, vcc_lo, 0, v9, vcc_lo
	s_delay_alu instid0(VALU_DEP_1) | instskip(NEXT) | instid1(VALU_DEP_1)
	v_lshlrev_b64 v[11:12], 2, v[11:12]
	v_sub_co_u32 v11, vcc_lo, s1, v11
	s_delay_alu instid0(VALU_DEP_2)
	v_sub_co_ci_u32_e32 v12, vcc_lo, s0, v12, vcc_lo
	s_waitcnt lgkmcnt(0)
	global_store_b32 v[11:12], v13, off offset:-4096
                                        ; implicit-def: $vgpr11
.LBB1784_163:
	s_and_not1_saveexec_b32 s4, s4
	s_cbranch_execz .LBB1784_165
; %bb.164:
	v_lshlrev_b32_e32 v12, 2, v0
	v_lshlrev_b32_e32 v11, 2, v11
	v_readfirstlane_b32 s6, v5
	v_readfirstlane_b32 s7, v6
	ds_load_b32 v12, v12 offset:4096
	s_waitcnt lgkmcnt(0)
	global_store_b32 v11, v12, s[6:7]
.LBB1784_165:
	s_or_b32 exec_lo, exec_lo, s4
                                        ; implicit-def: $vgpr11
.LBB1784_166:
	s_and_not1_saveexec_b32 s2, s2
	s_cbranch_execz .LBB1784_168
; %bb.167:
	v_lshlrev_b32_e32 v12, 2, v0
	v_lshlrev_b32_e32 v11, 2, v11
	v_readfirstlane_b32 s4, v7
	v_readfirstlane_b32 s5, v8
	ds_load_b32 v12, v12 offset:4096
	s_waitcnt lgkmcnt(0)
	global_store_b32 v11, v12, s[4:5]
.LBB1784_168:
	s_or_b32 exec_lo, exec_lo, s2
	v_or_b32_e32 v11, 0x500, v0
	s_mov_b32 s2, exec_lo
	s_delay_alu instid0(VALU_DEP_1)
	v_cmpx_le_u32_e64 v1, v11
	s_xor_b32 s2, exec_lo, s2
	s_cbranch_execz .LBB1784_174
; %bb.169:
	s_mov_b32 s4, exec_lo
	v_cmpx_le_u32_e64 v10, v11
	s_xor_b32 s4, exec_lo, s4
	s_cbranch_execz .LBB1784_171
; %bb.170:
	v_lshlrev_b32_e32 v12, 2, v0
	v_add_co_u32 v11, vcc_lo, v3, v11
	ds_load_b32 v13, v12 offset:5120
	v_add_co_ci_u32_e32 v12, vcc_lo, 0, v9, vcc_lo
	s_delay_alu instid0(VALU_DEP_1) | instskip(NEXT) | instid1(VALU_DEP_1)
	v_lshlrev_b64 v[11:12], 2, v[11:12]
	v_sub_co_u32 v11, vcc_lo, s1, v11
	s_delay_alu instid0(VALU_DEP_2)
	v_sub_co_ci_u32_e32 v12, vcc_lo, s0, v12, vcc_lo
	s_waitcnt lgkmcnt(0)
	global_store_b32 v[11:12], v13, off
                                        ; implicit-def: $vgpr11
.LBB1784_171:
	s_and_not1_saveexec_b32 s4, s4
	s_cbranch_execz .LBB1784_173
; %bb.172:
	v_lshlrev_b32_e32 v12, 2, v0
	v_lshlrev_b32_e32 v11, 2, v11
	v_readfirstlane_b32 s6, v5
	v_readfirstlane_b32 s7, v6
	ds_load_b32 v12, v12 offset:5120
	s_waitcnt lgkmcnt(0)
	global_store_b32 v11, v12, s[6:7]
.LBB1784_173:
	s_or_b32 exec_lo, exec_lo, s4
                                        ; implicit-def: $vgpr11
.LBB1784_174:
	s_and_not1_saveexec_b32 s2, s2
	s_cbranch_execz .LBB1784_176
; %bb.175:
	v_lshlrev_b32_e32 v12, 2, v0
	v_lshlrev_b32_e32 v11, 2, v11
	v_readfirstlane_b32 s4, v7
	v_readfirstlane_b32 s5, v8
	ds_load_b32 v12, v12 offset:5120
	s_waitcnt lgkmcnt(0)
	global_store_b32 v11, v12, s[4:5]
.LBB1784_176:
	s_or_b32 exec_lo, exec_lo, s2
	v_or_b32_e32 v11, 0x600, v0
	s_mov_b32 s2, exec_lo
	s_delay_alu instid0(VALU_DEP_1)
	v_cmpx_le_u32_e64 v1, v11
	s_xor_b32 s2, exec_lo, s2
	s_cbranch_execz .LBB1784_182
; %bb.177:
	s_mov_b32 s4, exec_lo
	v_cmpx_le_u32_e64 v10, v11
	s_xor_b32 s4, exec_lo, s4
	s_cbranch_execz .LBB1784_179
; %bb.178:
	v_lshlrev_b32_e32 v12, 2, v0
	v_add_co_u32 v11, vcc_lo, v3, v11
	ds_load_b32 v13, v12 offset:6144
	v_add_co_ci_u32_e32 v12, vcc_lo, 0, v9, vcc_lo
	s_delay_alu instid0(VALU_DEP_1) | instskip(NEXT) | instid1(VALU_DEP_1)
	v_lshlrev_b64 v[11:12], 2, v[11:12]
	v_sub_co_u32 v11, vcc_lo, s1, v11
	s_delay_alu instid0(VALU_DEP_2)
	v_sub_co_ci_u32_e32 v12, vcc_lo, s0, v12, vcc_lo
	s_waitcnt lgkmcnt(0)
	global_store_b32 v[11:12], v13, off
                                        ; implicit-def: $vgpr11
.LBB1784_179:
	s_and_not1_saveexec_b32 s4, s4
	s_cbranch_execz .LBB1784_181
; %bb.180:
	v_lshlrev_b32_e32 v12, 2, v0
	v_lshlrev_b32_e32 v11, 2, v11
	v_readfirstlane_b32 s6, v5
	v_readfirstlane_b32 s7, v6
	ds_load_b32 v12, v12 offset:6144
	s_waitcnt lgkmcnt(0)
	global_store_b32 v11, v12, s[6:7]
.LBB1784_181:
	s_or_b32 exec_lo, exec_lo, s4
                                        ; implicit-def: $vgpr11
.LBB1784_182:
	s_and_not1_saveexec_b32 s2, s2
	s_cbranch_execz .LBB1784_184
; %bb.183:
	v_lshlrev_b32_e32 v12, 2, v0
	v_lshlrev_b32_e32 v11, 2, v11
	v_readfirstlane_b32 s4, v7
	v_readfirstlane_b32 s5, v8
	ds_load_b32 v12, v12 offset:6144
	s_waitcnt lgkmcnt(0)
	global_store_b32 v11, v12, s[4:5]
.LBB1784_184:
	s_or_b32 exec_lo, exec_lo, s2
	v_or_b32_e32 v11, 0x700, v0
	s_mov_b32 s2, exec_lo
	s_delay_alu instid0(VALU_DEP_1)
	v_cmpx_le_u32_e64 v1, v11
	s_xor_b32 s2, exec_lo, s2
	s_cbranch_execz .LBB1784_190
; %bb.185:
	s_mov_b32 s4, exec_lo
	v_cmpx_le_u32_e64 v10, v11
	s_xor_b32 s4, exec_lo, s4
	s_cbranch_execz .LBB1784_187
; %bb.186:
	v_lshlrev_b32_e32 v12, 2, v0
	v_add_co_u32 v11, vcc_lo, v3, v11
	ds_load_b32 v13, v12 offset:7168
	v_add_co_ci_u32_e32 v12, vcc_lo, 0, v9, vcc_lo
	s_delay_alu instid0(VALU_DEP_1) | instskip(NEXT) | instid1(VALU_DEP_1)
	v_lshlrev_b64 v[11:12], 2, v[11:12]
	v_sub_co_u32 v11, vcc_lo, s1, v11
	s_delay_alu instid0(VALU_DEP_2)
	v_sub_co_ci_u32_e32 v12, vcc_lo, s0, v12, vcc_lo
	s_waitcnt lgkmcnt(0)
	global_store_b32 v[11:12], v13, off
                                        ; implicit-def: $vgpr11
.LBB1784_187:
	s_and_not1_saveexec_b32 s4, s4
	s_cbranch_execz .LBB1784_189
; %bb.188:
	v_lshlrev_b32_e32 v12, 2, v0
	v_lshlrev_b32_e32 v11, 2, v11
	v_readfirstlane_b32 s6, v5
	v_readfirstlane_b32 s7, v6
	ds_load_b32 v12, v12 offset:7168
	s_waitcnt lgkmcnt(0)
	global_store_b32 v11, v12, s[6:7]
.LBB1784_189:
	s_or_b32 exec_lo, exec_lo, s4
                                        ; implicit-def: $vgpr11
.LBB1784_190:
	s_and_not1_saveexec_b32 s2, s2
	s_cbranch_execz .LBB1784_192
; %bb.191:
	v_lshlrev_b32_e32 v12, 2, v0
	v_lshlrev_b32_e32 v11, 2, v11
	v_readfirstlane_b32 s4, v7
	v_readfirstlane_b32 s5, v8
	ds_load_b32 v12, v12 offset:7168
	s_waitcnt lgkmcnt(0)
	global_store_b32 v11, v12, s[4:5]
.LBB1784_192:
	s_or_b32 exec_lo, exec_lo, s2
	v_or_b32_e32 v11, 0x800, v0
	s_mov_b32 s2, exec_lo
	s_delay_alu instid0(VALU_DEP_1)
	v_cmpx_le_u32_e64 v1, v11
	s_xor_b32 s2, exec_lo, s2
	s_cbranch_execz .LBB1784_198
; %bb.193:
	s_mov_b32 s4, exec_lo
	v_cmpx_le_u32_e64 v10, v11
	s_xor_b32 s4, exec_lo, s4
	s_cbranch_execz .LBB1784_195
; %bb.194:
	v_lshlrev_b32_e32 v12, 2, v0
	v_add_co_u32 v11, vcc_lo, v3, v11
	ds_load_b32 v13, v12 offset:8192
	v_add_co_ci_u32_e32 v12, vcc_lo, 0, v9, vcc_lo
	s_delay_alu instid0(VALU_DEP_1) | instskip(NEXT) | instid1(VALU_DEP_1)
	v_lshlrev_b64 v[11:12], 2, v[11:12]
	v_sub_co_u32 v11, vcc_lo, s1, v11
	s_delay_alu instid0(VALU_DEP_2)
	v_sub_co_ci_u32_e32 v12, vcc_lo, s0, v12, vcc_lo
	s_waitcnt lgkmcnt(0)
	global_store_b32 v[11:12], v13, off
                                        ; implicit-def: $vgpr11
.LBB1784_195:
	s_and_not1_saveexec_b32 s4, s4
	s_cbranch_execz .LBB1784_197
; %bb.196:
	v_lshlrev_b32_e32 v12, 2, v0
	v_lshlrev_b32_e32 v11, 2, v11
	v_readfirstlane_b32 s6, v5
	v_readfirstlane_b32 s7, v6
	ds_load_b32 v12, v12 offset:8192
	s_waitcnt lgkmcnt(0)
	global_store_b32 v11, v12, s[6:7]
.LBB1784_197:
	s_or_b32 exec_lo, exec_lo, s4
                                        ; implicit-def: $vgpr11
.LBB1784_198:
	s_and_not1_saveexec_b32 s2, s2
	s_cbranch_execz .LBB1784_200
; %bb.199:
	v_lshlrev_b32_e32 v12, 2, v0
	v_lshlrev_b32_e32 v11, 2, v11
	v_readfirstlane_b32 s4, v7
	v_readfirstlane_b32 s5, v8
	ds_load_b32 v12, v12 offset:8192
	s_waitcnt lgkmcnt(0)
	global_store_b32 v11, v12, s[4:5]
.LBB1784_200:
	s_or_b32 exec_lo, exec_lo, s2
	v_or_b32_e32 v11, 0x900, v0
	s_mov_b32 s2, exec_lo
	s_delay_alu instid0(VALU_DEP_1)
	v_cmpx_le_u32_e64 v1, v11
	s_xor_b32 s2, exec_lo, s2
	s_cbranch_execz .LBB1784_206
; %bb.201:
	s_mov_b32 s4, exec_lo
	v_cmpx_le_u32_e64 v10, v11
	s_xor_b32 s4, exec_lo, s4
	s_cbranch_execz .LBB1784_203
; %bb.202:
	v_lshlrev_b32_e32 v12, 2, v0
	v_add_co_u32 v11, vcc_lo, v3, v11
	ds_load_b32 v13, v12 offset:9216
	v_add_co_ci_u32_e32 v12, vcc_lo, 0, v9, vcc_lo
	s_delay_alu instid0(VALU_DEP_1) | instskip(NEXT) | instid1(VALU_DEP_1)
	v_lshlrev_b64 v[11:12], 2, v[11:12]
	v_sub_co_u32 v11, vcc_lo, s1, v11
	s_delay_alu instid0(VALU_DEP_2)
	v_sub_co_ci_u32_e32 v12, vcc_lo, s0, v12, vcc_lo
	s_waitcnt lgkmcnt(0)
	global_store_b32 v[11:12], v13, off
                                        ; implicit-def: $vgpr11
.LBB1784_203:
	s_and_not1_saveexec_b32 s4, s4
	s_cbranch_execz .LBB1784_205
; %bb.204:
	v_lshlrev_b32_e32 v12, 2, v0
	v_lshlrev_b32_e32 v11, 2, v11
	v_readfirstlane_b32 s6, v5
	v_readfirstlane_b32 s7, v6
	ds_load_b32 v12, v12 offset:9216
	s_waitcnt lgkmcnt(0)
	global_store_b32 v11, v12, s[6:7]
.LBB1784_205:
	s_or_b32 exec_lo, exec_lo, s4
                                        ; implicit-def: $vgpr11
.LBB1784_206:
	s_and_not1_saveexec_b32 s2, s2
	s_cbranch_execz .LBB1784_208
; %bb.207:
	v_lshlrev_b32_e32 v12, 2, v0
	v_lshlrev_b32_e32 v11, 2, v11
	v_readfirstlane_b32 s4, v7
	v_readfirstlane_b32 s5, v8
	ds_load_b32 v12, v12 offset:9216
	s_waitcnt lgkmcnt(0)
	global_store_b32 v11, v12, s[4:5]
.LBB1784_208:
	s_or_b32 exec_lo, exec_lo, s2
	v_or_b32_e32 v11, 0xa00, v0
	s_mov_b32 s2, exec_lo
	s_delay_alu instid0(VALU_DEP_1)
	v_cmpx_le_u32_e64 v1, v11
	s_xor_b32 s2, exec_lo, s2
	s_cbranch_execz .LBB1784_214
; %bb.209:
	s_mov_b32 s4, exec_lo
	v_cmpx_le_u32_e64 v10, v11
	s_xor_b32 s4, exec_lo, s4
	s_cbranch_execz .LBB1784_211
; %bb.210:
	v_lshlrev_b32_e32 v12, 2, v0
	v_add_co_u32 v11, vcc_lo, v3, v11
	ds_load_b32 v13, v12 offset:10240
	v_add_co_ci_u32_e32 v12, vcc_lo, 0, v9, vcc_lo
	s_delay_alu instid0(VALU_DEP_1) | instskip(NEXT) | instid1(VALU_DEP_1)
	v_lshlrev_b64 v[11:12], 2, v[11:12]
	v_sub_co_u32 v11, vcc_lo, s1, v11
	s_delay_alu instid0(VALU_DEP_2)
	v_sub_co_ci_u32_e32 v12, vcc_lo, s0, v12, vcc_lo
	s_waitcnt lgkmcnt(0)
	global_store_b32 v[11:12], v13, off
                                        ; implicit-def: $vgpr11
.LBB1784_211:
	s_and_not1_saveexec_b32 s4, s4
	s_cbranch_execz .LBB1784_213
; %bb.212:
	v_lshlrev_b32_e32 v12, 2, v0
	v_lshlrev_b32_e32 v11, 2, v11
	v_readfirstlane_b32 s6, v5
	v_readfirstlane_b32 s7, v6
	ds_load_b32 v12, v12 offset:10240
	s_waitcnt lgkmcnt(0)
	global_store_b32 v11, v12, s[6:7]
.LBB1784_213:
	s_or_b32 exec_lo, exec_lo, s4
                                        ; implicit-def: $vgpr11
.LBB1784_214:
	s_and_not1_saveexec_b32 s2, s2
	s_cbranch_execz .LBB1784_216
; %bb.215:
	v_lshlrev_b32_e32 v12, 2, v0
	v_lshlrev_b32_e32 v11, 2, v11
	v_readfirstlane_b32 s4, v7
	v_readfirstlane_b32 s5, v8
	ds_load_b32 v12, v12 offset:10240
	s_waitcnt lgkmcnt(0)
	global_store_b32 v11, v12, s[4:5]
.LBB1784_216:
	s_or_b32 exec_lo, exec_lo, s2
	v_or_b32_e32 v11, 0xb00, v0
	s_mov_b32 s2, exec_lo
	s_delay_alu instid0(VALU_DEP_1)
	v_cmpx_le_u32_e64 v1, v11
	s_xor_b32 s2, exec_lo, s2
	s_cbranch_execz .LBB1784_222
; %bb.217:
	s_mov_b32 s4, exec_lo
	v_cmpx_le_u32_e64 v10, v11
	s_xor_b32 s4, exec_lo, s4
	s_cbranch_execz .LBB1784_219
; %bb.218:
	v_lshlrev_b32_e32 v12, 2, v0
	v_add_co_u32 v11, vcc_lo, v3, v11
	ds_load_b32 v13, v12 offset:11264
	v_add_co_ci_u32_e32 v12, vcc_lo, 0, v9, vcc_lo
	s_delay_alu instid0(VALU_DEP_1) | instskip(NEXT) | instid1(VALU_DEP_1)
	v_lshlrev_b64 v[11:12], 2, v[11:12]
	v_sub_co_u32 v11, vcc_lo, s1, v11
	s_delay_alu instid0(VALU_DEP_2)
	v_sub_co_ci_u32_e32 v12, vcc_lo, s0, v12, vcc_lo
	s_waitcnt lgkmcnt(0)
	global_store_b32 v[11:12], v13, off
                                        ; implicit-def: $vgpr11
.LBB1784_219:
	s_and_not1_saveexec_b32 s4, s4
	s_cbranch_execz .LBB1784_221
; %bb.220:
	v_lshlrev_b32_e32 v12, 2, v0
	v_lshlrev_b32_e32 v11, 2, v11
	v_readfirstlane_b32 s6, v5
	v_readfirstlane_b32 s7, v6
	ds_load_b32 v12, v12 offset:11264
	s_waitcnt lgkmcnt(0)
	global_store_b32 v11, v12, s[6:7]
.LBB1784_221:
	s_or_b32 exec_lo, exec_lo, s4
                                        ; implicit-def: $vgpr11
.LBB1784_222:
	s_and_not1_saveexec_b32 s2, s2
	s_cbranch_execz .LBB1784_224
; %bb.223:
	v_lshlrev_b32_e32 v12, 2, v0
	v_lshlrev_b32_e32 v11, 2, v11
	v_readfirstlane_b32 s4, v7
	v_readfirstlane_b32 s5, v8
	ds_load_b32 v12, v12 offset:11264
	s_waitcnt lgkmcnt(0)
	global_store_b32 v11, v12, s[4:5]
.LBB1784_224:
	s_or_b32 exec_lo, exec_lo, s2
	v_or_b32_e32 v11, 0xc00, v0
	s_mov_b32 s2, exec_lo
	s_delay_alu instid0(VALU_DEP_1)
	v_cmpx_le_u32_e64 v1, v11
	s_xor_b32 s2, exec_lo, s2
	s_cbranch_execz .LBB1784_230
; %bb.225:
	s_mov_b32 s4, exec_lo
	v_cmpx_le_u32_e64 v10, v11
	s_xor_b32 s4, exec_lo, s4
	s_cbranch_execz .LBB1784_227
; %bb.226:
	v_lshlrev_b32_e32 v12, 2, v0
	v_add_co_u32 v11, vcc_lo, v3, v11
	ds_load_b32 v13, v12 offset:12288
	v_add_co_ci_u32_e32 v12, vcc_lo, 0, v9, vcc_lo
	s_delay_alu instid0(VALU_DEP_1) | instskip(NEXT) | instid1(VALU_DEP_1)
	v_lshlrev_b64 v[11:12], 2, v[11:12]
	v_sub_co_u32 v11, vcc_lo, s1, v11
	s_delay_alu instid0(VALU_DEP_2)
	v_sub_co_ci_u32_e32 v12, vcc_lo, s0, v12, vcc_lo
	s_waitcnt lgkmcnt(0)
	global_store_b32 v[11:12], v13, off
                                        ; implicit-def: $vgpr11
.LBB1784_227:
	s_and_not1_saveexec_b32 s4, s4
	s_cbranch_execz .LBB1784_229
; %bb.228:
	v_lshlrev_b32_e32 v12, 2, v0
	v_lshlrev_b32_e32 v11, 2, v11
	v_readfirstlane_b32 s6, v5
	v_readfirstlane_b32 s7, v6
	ds_load_b32 v12, v12 offset:12288
	s_waitcnt lgkmcnt(0)
	global_store_b32 v11, v12, s[6:7]
.LBB1784_229:
	s_or_b32 exec_lo, exec_lo, s4
                                        ; implicit-def: $vgpr11
.LBB1784_230:
	s_and_not1_saveexec_b32 s2, s2
	s_cbranch_execz .LBB1784_232
; %bb.231:
	v_lshlrev_b32_e32 v12, 2, v0
	v_lshlrev_b32_e32 v11, 2, v11
	v_readfirstlane_b32 s4, v7
	v_readfirstlane_b32 s5, v8
	ds_load_b32 v12, v12 offset:12288
	s_waitcnt lgkmcnt(0)
	global_store_b32 v11, v12, s[4:5]
.LBB1784_232:
	s_or_b32 exec_lo, exec_lo, s2
	s_branch .LBB1784_126
.LBB1784_233:
	s_mov_b32 s2, exec_lo
	v_cmpx_gt_u32_e64 s3, v0
	s_cbranch_execz .LBB1784_242
; %bb.234:
	s_mov_b32 s4, exec_lo
	v_cmpx_le_u32_e64 v1, v0
	s_xor_b32 s4, exec_lo, s4
	s_cbranch_execz .LBB1784_240
; %bb.235:
	s_mov_b32 s5, exec_lo
	v_cmpx_le_u32_e64 v10, v0
	s_xor_b32 s5, exec_lo, s5
	s_cbranch_execz .LBB1784_237
; %bb.236:
	v_lshlrev_b32_e32 v11, 2, v0
	ds_load_b32 v13, v11
	v_add_co_u32 v11, vcc_lo, v3, v0
	v_add_co_ci_u32_e32 v12, vcc_lo, 0, v9, vcc_lo
	s_delay_alu instid0(VALU_DEP_1) | instskip(NEXT) | instid1(VALU_DEP_1)
	v_lshlrev_b64 v[11:12], 2, v[11:12]
	v_sub_co_u32 v11, vcc_lo, s26, v11
	s_delay_alu instid0(VALU_DEP_2)
	v_sub_co_ci_u32_e32 v12, vcc_lo, s27, v12, vcc_lo
	s_waitcnt lgkmcnt(0)
	global_store_b32 v[11:12], v13, off offset:-4
.LBB1784_237:
	s_and_not1_saveexec_b32 s5, s5
	s_cbranch_execz .LBB1784_239
; %bb.238:
	v_lshlrev_b32_e32 v11, 2, v0
	v_readfirstlane_b32 s6, v5
	v_readfirstlane_b32 s7, v6
	ds_load_b32 v12, v11
	s_waitcnt lgkmcnt(0)
	global_store_b32 v11, v12, s[6:7]
.LBB1784_239:
	s_or_b32 exec_lo, exec_lo, s5
.LBB1784_240:
	s_and_not1_saveexec_b32 s4, s4
	s_cbranch_execz .LBB1784_242
; %bb.241:
	v_lshlrev_b32_e32 v11, 2, v0
	v_readfirstlane_b32 s4, v7
	v_readfirstlane_b32 s5, v8
	ds_load_b32 v12, v11
	s_waitcnt lgkmcnt(0)
	global_store_b32 v11, v12, s[4:5]
.LBB1784_242:
	s_or_b32 exec_lo, exec_lo, s2
	v_or_b32_e32 v11, 0x100, v0
	s_mov_b32 s2, exec_lo
	s_delay_alu instid0(VALU_DEP_1)
	v_cmpx_gt_u32_e64 s3, v11
	s_cbranch_execz .LBB1784_251
; %bb.243:
	s_mov_b32 s4, exec_lo
	v_cmpx_le_u32_e64 v1, v11
	s_xor_b32 s4, exec_lo, s4
	s_cbranch_execz .LBB1784_249
; %bb.244:
	s_mov_b32 s5, exec_lo
	v_cmpx_le_u32_e64 v10, v11
	s_xor_b32 s5, exec_lo, s5
	s_cbranch_execz .LBB1784_246
; %bb.245:
	v_lshlrev_b32_e32 v11, 2, v0
	ds_load_b32 v13, v11 offset:1024
	v_add_co_u32 v11, vcc_lo, v3, v0
	v_add_co_ci_u32_e32 v12, vcc_lo, 0, v9, vcc_lo
	s_delay_alu instid0(VALU_DEP_1) | instskip(NEXT) | instid1(VALU_DEP_1)
	v_lshlrev_b64 v[11:12], 2, v[11:12]
	v_sub_co_u32 v11, vcc_lo, s1, v11
	s_delay_alu instid0(VALU_DEP_2)
	v_sub_co_ci_u32_e32 v12, vcc_lo, s0, v12, vcc_lo
	s_waitcnt lgkmcnt(0)
	global_store_b32 v[11:12], v13, off offset:-1024
.LBB1784_246:
	s_and_not1_saveexec_b32 s5, s5
	s_cbranch_execz .LBB1784_248
; %bb.247:
	v_lshlrev_b32_e32 v11, 2, v0
	v_readfirstlane_b32 s6, v5
	v_readfirstlane_b32 s7, v6
	ds_load_b32 v12, v11 offset:1024
	s_waitcnt lgkmcnt(0)
	global_store_b32 v11, v12, s[6:7] offset:1024
.LBB1784_248:
	s_or_b32 exec_lo, exec_lo, s5
.LBB1784_249:
	s_and_not1_saveexec_b32 s4, s4
	s_cbranch_execz .LBB1784_251
; %bb.250:
	v_lshlrev_b32_e32 v11, 2, v0
	v_readfirstlane_b32 s4, v7
	v_readfirstlane_b32 s5, v8
	ds_load_b32 v12, v11 offset:1024
	s_waitcnt lgkmcnt(0)
	global_store_b32 v11, v12, s[4:5] offset:1024
.LBB1784_251:
	s_or_b32 exec_lo, exec_lo, s2
	v_or_b32_e32 v11, 0x200, v0
	s_mov_b32 s2, exec_lo
	s_delay_alu instid0(VALU_DEP_1)
	v_cmpx_gt_u32_e64 s3, v11
	s_cbranch_execz .LBB1784_260
; %bb.252:
	s_mov_b32 s4, exec_lo
	v_cmpx_le_u32_e64 v1, v11
	s_xor_b32 s4, exec_lo, s4
	s_cbranch_execz .LBB1784_258
; %bb.253:
	s_mov_b32 s5, exec_lo
	v_cmpx_le_u32_e64 v10, v11
	s_xor_b32 s5, exec_lo, s5
	s_cbranch_execz .LBB1784_255
; %bb.254:
	v_lshlrev_b32_e32 v11, 2, v0
	ds_load_b32 v13, v11 offset:2048
	v_add_co_u32 v11, vcc_lo, v3, v0
	v_add_co_ci_u32_e32 v12, vcc_lo, 0, v9, vcc_lo
	s_delay_alu instid0(VALU_DEP_1) | instskip(NEXT) | instid1(VALU_DEP_1)
	v_lshlrev_b64 v[11:12], 2, v[11:12]
	v_sub_co_u32 v11, vcc_lo, s1, v11
	s_delay_alu instid0(VALU_DEP_2)
	v_sub_co_ci_u32_e32 v12, vcc_lo, s0, v12, vcc_lo
	s_waitcnt lgkmcnt(0)
	global_store_b32 v[11:12], v13, off offset:-2048
.LBB1784_255:
	s_and_not1_saveexec_b32 s5, s5
	s_cbranch_execz .LBB1784_257
; %bb.256:
	v_lshlrev_b32_e32 v11, 2, v0
	v_readfirstlane_b32 s6, v5
	v_readfirstlane_b32 s7, v6
	ds_load_b32 v12, v11 offset:2048
	s_waitcnt lgkmcnt(0)
	global_store_b32 v11, v12, s[6:7] offset:2048
.LBB1784_257:
	s_or_b32 exec_lo, exec_lo, s5
.LBB1784_258:
	s_and_not1_saveexec_b32 s4, s4
	s_cbranch_execz .LBB1784_260
; %bb.259:
	v_lshlrev_b32_e32 v11, 2, v0
	v_readfirstlane_b32 s4, v7
	v_readfirstlane_b32 s5, v8
	ds_load_b32 v12, v11 offset:2048
	s_waitcnt lgkmcnt(0)
	global_store_b32 v11, v12, s[4:5] offset:2048
.LBB1784_260:
	;; [unrolled: 51-line block ×3, first 2 shown]
	s_or_b32 exec_lo, exec_lo, s2
	v_or_b32_e32 v11, 0x400, v0
	s_mov_b32 s2, exec_lo
	s_delay_alu instid0(VALU_DEP_1)
	v_cmpx_gt_u32_e64 s3, v11
	s_cbranch_execz .LBB1784_278
; %bb.270:
	s_mov_b32 s4, exec_lo
	v_cmpx_le_u32_e64 v1, v11
	s_xor_b32 s4, exec_lo, s4
	s_cbranch_execz .LBB1784_276
; %bb.271:
	s_mov_b32 s5, exec_lo
	v_cmpx_le_u32_e64 v10, v11
	s_xor_b32 s5, exec_lo, s5
	s_cbranch_execz .LBB1784_273
; %bb.272:
	v_lshlrev_b32_e32 v11, 2, v0
	ds_load_b32 v13, v11 offset:4096
	v_add_co_u32 v11, vcc_lo, v3, v0
	v_add_co_ci_u32_e32 v12, vcc_lo, 0, v9, vcc_lo
	s_delay_alu instid0(VALU_DEP_1) | instskip(NEXT) | instid1(VALU_DEP_1)
	v_lshlrev_b64 v[11:12], 2, v[11:12]
	v_sub_co_u32 v11, vcc_lo, s1, v11
	s_delay_alu instid0(VALU_DEP_2)
	v_sub_co_ci_u32_e32 v12, vcc_lo, s0, v12, vcc_lo
	s_waitcnt lgkmcnt(0)
	global_store_b32 v[11:12], v13, off offset:-4096
                                        ; implicit-def: $vgpr11
.LBB1784_273:
	s_and_not1_saveexec_b32 s5, s5
	s_cbranch_execz .LBB1784_275
; %bb.274:
	v_lshlrev_b32_e32 v12, 2, v0
	v_lshlrev_b32_e32 v11, 2, v11
	v_readfirstlane_b32 s6, v5
	v_readfirstlane_b32 s7, v6
	ds_load_b32 v12, v12 offset:4096
	s_waitcnt lgkmcnt(0)
	global_store_b32 v11, v12, s[6:7]
.LBB1784_275:
	s_or_b32 exec_lo, exec_lo, s5
                                        ; implicit-def: $vgpr11
.LBB1784_276:
	s_and_not1_saveexec_b32 s4, s4
	s_cbranch_execz .LBB1784_278
; %bb.277:
	v_lshlrev_b32_e32 v12, 2, v0
	v_lshlrev_b32_e32 v11, 2, v11
	v_readfirstlane_b32 s4, v7
	v_readfirstlane_b32 s5, v8
	ds_load_b32 v12, v12 offset:4096
	s_waitcnt lgkmcnt(0)
	global_store_b32 v11, v12, s[4:5]
.LBB1784_278:
	s_or_b32 exec_lo, exec_lo, s2
	v_or_b32_e32 v11, 0x500, v0
	s_mov_b32 s2, exec_lo
	s_delay_alu instid0(VALU_DEP_1)
	v_cmpx_gt_u32_e64 s3, v11
	s_cbranch_execz .LBB1784_287
; %bb.279:
	s_mov_b32 s4, exec_lo
	v_cmpx_le_u32_e64 v1, v11
	s_xor_b32 s4, exec_lo, s4
	s_cbranch_execz .LBB1784_285
; %bb.280:
	s_mov_b32 s5, exec_lo
	v_cmpx_le_u32_e64 v10, v11
	s_xor_b32 s5, exec_lo, s5
	s_cbranch_execz .LBB1784_282
; %bb.281:
	v_lshlrev_b32_e32 v12, 2, v0
	v_add_co_u32 v11, vcc_lo, v3, v11
	ds_load_b32 v13, v12 offset:5120
	v_add_co_ci_u32_e32 v12, vcc_lo, 0, v9, vcc_lo
	s_delay_alu instid0(VALU_DEP_1) | instskip(NEXT) | instid1(VALU_DEP_1)
	v_lshlrev_b64 v[11:12], 2, v[11:12]
	v_sub_co_u32 v11, vcc_lo, s1, v11
	s_delay_alu instid0(VALU_DEP_2)
	v_sub_co_ci_u32_e32 v12, vcc_lo, s0, v12, vcc_lo
	s_waitcnt lgkmcnt(0)
	global_store_b32 v[11:12], v13, off
                                        ; implicit-def: $vgpr11
.LBB1784_282:
	s_and_not1_saveexec_b32 s5, s5
	s_cbranch_execz .LBB1784_284
; %bb.283:
	v_lshlrev_b32_e32 v12, 2, v0
	v_lshlrev_b32_e32 v11, 2, v11
	v_readfirstlane_b32 s6, v5
	v_readfirstlane_b32 s7, v6
	ds_load_b32 v12, v12 offset:5120
	s_waitcnt lgkmcnt(0)
	global_store_b32 v11, v12, s[6:7]
.LBB1784_284:
	s_or_b32 exec_lo, exec_lo, s5
                                        ; implicit-def: $vgpr11
.LBB1784_285:
	s_and_not1_saveexec_b32 s4, s4
	s_cbranch_execz .LBB1784_287
; %bb.286:
	v_lshlrev_b32_e32 v12, 2, v0
	v_lshlrev_b32_e32 v11, 2, v11
	v_readfirstlane_b32 s4, v7
	v_readfirstlane_b32 s5, v8
	ds_load_b32 v12, v12 offset:5120
	s_waitcnt lgkmcnt(0)
	global_store_b32 v11, v12, s[4:5]
.LBB1784_287:
	s_or_b32 exec_lo, exec_lo, s2
	v_or_b32_e32 v11, 0x600, v0
	s_mov_b32 s2, exec_lo
	s_delay_alu instid0(VALU_DEP_1)
	v_cmpx_gt_u32_e64 s3, v11
	s_cbranch_execz .LBB1784_296
; %bb.288:
	s_mov_b32 s4, exec_lo
	v_cmpx_le_u32_e64 v1, v11
	s_xor_b32 s4, exec_lo, s4
	s_cbranch_execz .LBB1784_294
; %bb.289:
	s_mov_b32 s5, exec_lo
	v_cmpx_le_u32_e64 v10, v11
	s_xor_b32 s5, exec_lo, s5
	s_cbranch_execz .LBB1784_291
; %bb.290:
	v_lshlrev_b32_e32 v12, 2, v0
	v_add_co_u32 v11, vcc_lo, v3, v11
	ds_load_b32 v13, v12 offset:6144
	v_add_co_ci_u32_e32 v12, vcc_lo, 0, v9, vcc_lo
	s_delay_alu instid0(VALU_DEP_1) | instskip(NEXT) | instid1(VALU_DEP_1)
	v_lshlrev_b64 v[11:12], 2, v[11:12]
	v_sub_co_u32 v11, vcc_lo, s1, v11
	s_delay_alu instid0(VALU_DEP_2)
	v_sub_co_ci_u32_e32 v12, vcc_lo, s0, v12, vcc_lo
	s_waitcnt lgkmcnt(0)
	global_store_b32 v[11:12], v13, off
                                        ; implicit-def: $vgpr11
.LBB1784_291:
	s_and_not1_saveexec_b32 s5, s5
	s_cbranch_execz .LBB1784_293
; %bb.292:
	v_lshlrev_b32_e32 v12, 2, v0
	v_lshlrev_b32_e32 v11, 2, v11
	v_readfirstlane_b32 s6, v5
	v_readfirstlane_b32 s7, v6
	ds_load_b32 v12, v12 offset:6144
	s_waitcnt lgkmcnt(0)
	global_store_b32 v11, v12, s[6:7]
.LBB1784_293:
	s_or_b32 exec_lo, exec_lo, s5
                                        ; implicit-def: $vgpr11
.LBB1784_294:
	s_and_not1_saveexec_b32 s4, s4
	s_cbranch_execz .LBB1784_296
; %bb.295:
	v_lshlrev_b32_e32 v12, 2, v0
	v_lshlrev_b32_e32 v11, 2, v11
	v_readfirstlane_b32 s4, v7
	v_readfirstlane_b32 s5, v8
	ds_load_b32 v12, v12 offset:6144
	s_waitcnt lgkmcnt(0)
	global_store_b32 v11, v12, s[4:5]
.LBB1784_296:
	;; [unrolled: 55-line block ×7, first 2 shown]
	s_or_b32 exec_lo, exec_lo, s2
	v_or_b32_e32 v11, 0xc00, v0
	s_mov_b32 s2, exec_lo
	s_delay_alu instid0(VALU_DEP_1)
	v_cmpx_gt_u32_e64 s3, v11
	s_cbranch_execz .LBB1784_350
; %bb.342:
	s_mov_b32 s3, exec_lo
	v_cmpx_le_u32_e64 v1, v11
	s_xor_b32 s3, exec_lo, s3
	s_cbranch_execz .LBB1784_348
; %bb.343:
	s_mov_b32 s4, exec_lo
	v_cmpx_le_u32_e64 v10, v11
	s_xor_b32 s4, exec_lo, s4
	s_cbranch_execz .LBB1784_345
; %bb.344:
	v_lshlrev_b32_e32 v5, 2, v0
	ds_load_b32 v7, v5 offset:12288
	v_add_co_u32 v5, vcc_lo, v3, v11
	v_add_co_ci_u32_e32 v6, vcc_lo, 0, v9, vcc_lo
                                        ; implicit-def: $vgpr11
	s_delay_alu instid0(VALU_DEP_1) | instskip(NEXT) | instid1(VALU_DEP_1)
	v_lshlrev_b64 v[5:6], 2, v[5:6]
	v_sub_co_u32 v5, vcc_lo, s1, v5
	s_delay_alu instid0(VALU_DEP_2)
	v_sub_co_ci_u32_e32 v6, vcc_lo, s0, v6, vcc_lo
	s_waitcnt lgkmcnt(0)
	global_store_b32 v[5:6], v7, off
                                        ; implicit-def: $vgpr5_vgpr6
.LBB1784_345:
	s_and_not1_saveexec_b32 s0, s4
	s_cbranch_execz .LBB1784_347
; %bb.346:
	v_lshlrev_b32_e32 v3, 2, v0
	v_lshlrev_b32_e32 v7, 2, v11
	v_readfirstlane_b32 s4, v5
	v_readfirstlane_b32 s5, v6
	ds_load_b32 v3, v3 offset:12288
	s_waitcnt lgkmcnt(0)
	global_store_b32 v7, v3, s[4:5]
.LBB1784_347:
	s_or_b32 exec_lo, exec_lo, s0
                                        ; implicit-def: $vgpr11
                                        ; implicit-def: $vgpr7_vgpr8
.LBB1784_348:
	s_and_not1_saveexec_b32 s0, s3
	s_cbranch_execz .LBB1784_350
; %bb.349:
	v_lshlrev_b32_e32 v3, 2, v0
	v_lshlrev_b32_e32 v5, 2, v11
	v_readfirstlane_b32 s0, v7
	v_readfirstlane_b32 s1, v8
	ds_load_b32 v3, v3 offset:12288
	s_waitcnt lgkmcnt(0)
	global_store_b32 v5, v3, s[0:1]
.LBB1784_350:
	s_or_b32 exec_lo, exec_lo, s2
	v_cmp_eq_u32_e32 vcc_lo, 0, v0
	s_and_b32 s0, vcc_lo, s14
	s_delay_alu instid0(SALU_CYCLE_1)
	s_and_saveexec_b32 s1, s0
	s_cbranch_execz .LBB1784_127
.LBB1784_351:
	v_add_co_u32 v2, s0, s30, v2
	s_delay_alu instid0(VALU_DEP_1) | instskip(SKIP_2) | instid1(VALU_DEP_4)
	v_add_co_ci_u32_e64 v3, null, s31, 0, s0
	v_add_co_u32 v0, vcc_lo, v18, v1
	v_add_co_ci_u32_e32 v1, vcc_lo, 0, v19, vcc_lo
	v_add_co_u32 v2, vcc_lo, v2, v4
	v_mov_b32_e32 v5, 0
	v_add_co_ci_u32_e32 v3, vcc_lo, 0, v3, vcc_lo
	global_store_b128 v5, v[0:3], s[24:25]
	s_nop 0
	s_sendmsg sendmsg(MSG_DEALLOC_VGPRS)
	s_endpgm
.LBB1784_352:
	v_add_nc_u32_e32 v3, s7, v23
	s_add_i32 s10, s15, 32
	s_mov_b32 s11, 0
	v_dual_mov_b32 v5, 0 :: v_dual_add_nc_u32 v2, v22, v1
	s_lshl_b64 s[10:11], s[10:11], 4
	v_and_b32_e32 v20, 0xff0000, v3
	s_add_u32 s10, s4, s10
	s_addc_u32 s11, s5, s11
	v_and_b32_e32 v4, 0xff000000, v3
	s_delay_alu instid0(VALU_DEP_1) | instskip(SKIP_2) | instid1(VALU_DEP_1)
	v_or_b32_e32 v20, v20, v4
	v_dual_mov_b32 v4, 2 :: v_dual_and_b32 v21, 0xff00, v3
	v_and_b32_e32 v3, 0xff, v3
	v_or3_b32 v3, v20, v21, v3
	v_dual_mov_b32 v21, s11 :: v_dual_mov_b32 v20, s10
	;;#ASMSTART
	global_store_dwordx4 v[20:21], v[2:5] off	
s_waitcnt vmcnt(0)
	;;#ASMEND
	s_or_b32 exec_lo, exec_lo, s8
	s_and_saveexec_b32 s8, s2
	s_cbranch_execz .LBB1784_111
.LBB1784_353:
	v_mov_b32_e32 v2, s7
	v_add_nc_u32_e64 v3, 0x3400, 0
	ds_store_2addr_b32 v3, v1, v2 offset1:2
	ds_store_2addr_b32 v3, v22, v23 offset0:4 offset1:6
	s_or_b32 exec_lo, exec_lo, s8
	v_cmp_eq_u32_e32 vcc_lo, 0, v0
	s_and_b32 exec_lo, exec_lo, vcc_lo
	s_cbranch_execnz .LBB1784_112
	s_branch .LBB1784_113
	.section	.rodata,"a",@progbits
	.p2align	6, 0x0
	.amdhsa_kernel _ZN7rocprim17ROCPRIM_400000_NS6detail17trampoline_kernelINS0_13select_configILj256ELj13ELNS0_17block_load_methodE3ELS4_3ELS4_3ELNS0_20block_scan_algorithmE0ELj4294967295EEENS1_25partition_config_selectorILNS1_17partition_subalgoE4EjNS0_10empty_typeEbEEZZNS1_14partition_implILS8_4ELb0ES6_15HIP_vector_typeIjLj2EENS0_17counting_iteratorIjlEEPS9_SG_NS0_5tupleIJPjSI_NS0_16reverse_iteratorISI_EEEEENSH_IJSG_SG_SG_EEES9_SI_JZNS1_25segmented_radix_sort_implINS0_14default_configELb0EPK6__halfPSP_PKlPlN2at6native12_GLOBAL__N_18offset_tEEE10hipError_tPvRmT1_PNSt15iterator_traitsIS13_E10value_typeET2_T3_PNS14_IS19_E10value_typeET4_jRbjT5_S1F_jjP12ihipStream_tbEUljE_ZNSN_ISO_Lb0ESR_SS_SU_SV_SZ_EES10_S11_S12_S13_S17_S18_S19_S1C_S1D_jS1E_jS1F_S1F_jjS1H_bEUljE0_EEES10_S11_S12_S19_S1D_S1F_T6_T7_T9_mT8_S1H_bDpT10_ENKUlT_T0_E_clISt17integral_constantIbLb0EES1V_EEDaS1Q_S1R_EUlS1Q_E_NS1_11comp_targetILNS1_3genE9ELNS1_11target_archE1100ELNS1_3gpuE3ELNS1_3repE0EEENS1_30default_config_static_selectorELNS0_4arch9wavefront6targetE0EEEvS13_
		.amdhsa_group_segment_fixed_size 13340
		.amdhsa_private_segment_fixed_size 0
		.amdhsa_kernarg_size 176
		.amdhsa_user_sgpr_count 15
		.amdhsa_user_sgpr_dispatch_ptr 0
		.amdhsa_user_sgpr_queue_ptr 0
		.amdhsa_user_sgpr_kernarg_segment_ptr 1
		.amdhsa_user_sgpr_dispatch_id 0
		.amdhsa_user_sgpr_private_segment_size 0
		.amdhsa_wavefront_size32 1
		.amdhsa_uses_dynamic_stack 0
		.amdhsa_enable_private_segment 0
		.amdhsa_system_sgpr_workgroup_id_x 1
		.amdhsa_system_sgpr_workgroup_id_y 0
		.amdhsa_system_sgpr_workgroup_id_z 0
		.amdhsa_system_sgpr_workgroup_info 0
		.amdhsa_system_vgpr_workitem_id 0
		.amdhsa_next_free_vgpr 98
		.amdhsa_next_free_sgpr 59
		.amdhsa_reserve_vcc 1
		.amdhsa_float_round_mode_32 0
		.amdhsa_float_round_mode_16_64 0
		.amdhsa_float_denorm_mode_32 3
		.amdhsa_float_denorm_mode_16_64 3
		.amdhsa_dx10_clamp 1
		.amdhsa_ieee_mode 1
		.amdhsa_fp16_overflow 0
		.amdhsa_workgroup_processor_mode 1
		.amdhsa_memory_ordered 1
		.amdhsa_forward_progress 0
		.amdhsa_shared_vgpr_count 0
		.amdhsa_exception_fp_ieee_invalid_op 0
		.amdhsa_exception_fp_denorm_src 0
		.amdhsa_exception_fp_ieee_div_zero 0
		.amdhsa_exception_fp_ieee_overflow 0
		.amdhsa_exception_fp_ieee_underflow 0
		.amdhsa_exception_fp_ieee_inexact 0
		.amdhsa_exception_int_div_zero 0
	.end_amdhsa_kernel
	.section	.text._ZN7rocprim17ROCPRIM_400000_NS6detail17trampoline_kernelINS0_13select_configILj256ELj13ELNS0_17block_load_methodE3ELS4_3ELS4_3ELNS0_20block_scan_algorithmE0ELj4294967295EEENS1_25partition_config_selectorILNS1_17partition_subalgoE4EjNS0_10empty_typeEbEEZZNS1_14partition_implILS8_4ELb0ES6_15HIP_vector_typeIjLj2EENS0_17counting_iteratorIjlEEPS9_SG_NS0_5tupleIJPjSI_NS0_16reverse_iteratorISI_EEEEENSH_IJSG_SG_SG_EEES9_SI_JZNS1_25segmented_radix_sort_implINS0_14default_configELb0EPK6__halfPSP_PKlPlN2at6native12_GLOBAL__N_18offset_tEEE10hipError_tPvRmT1_PNSt15iterator_traitsIS13_E10value_typeET2_T3_PNS14_IS19_E10value_typeET4_jRbjT5_S1F_jjP12ihipStream_tbEUljE_ZNSN_ISO_Lb0ESR_SS_SU_SV_SZ_EES10_S11_S12_S13_S17_S18_S19_S1C_S1D_jS1E_jS1F_S1F_jjS1H_bEUljE0_EEES10_S11_S12_S19_S1D_S1F_T6_T7_T9_mT8_S1H_bDpT10_ENKUlT_T0_E_clISt17integral_constantIbLb0EES1V_EEDaS1Q_S1R_EUlS1Q_E_NS1_11comp_targetILNS1_3genE9ELNS1_11target_archE1100ELNS1_3gpuE3ELNS1_3repE0EEENS1_30default_config_static_selectorELNS0_4arch9wavefront6targetE0EEEvS13_,"axG",@progbits,_ZN7rocprim17ROCPRIM_400000_NS6detail17trampoline_kernelINS0_13select_configILj256ELj13ELNS0_17block_load_methodE3ELS4_3ELS4_3ELNS0_20block_scan_algorithmE0ELj4294967295EEENS1_25partition_config_selectorILNS1_17partition_subalgoE4EjNS0_10empty_typeEbEEZZNS1_14partition_implILS8_4ELb0ES6_15HIP_vector_typeIjLj2EENS0_17counting_iteratorIjlEEPS9_SG_NS0_5tupleIJPjSI_NS0_16reverse_iteratorISI_EEEEENSH_IJSG_SG_SG_EEES9_SI_JZNS1_25segmented_radix_sort_implINS0_14default_configELb0EPK6__halfPSP_PKlPlN2at6native12_GLOBAL__N_18offset_tEEE10hipError_tPvRmT1_PNSt15iterator_traitsIS13_E10value_typeET2_T3_PNS14_IS19_E10value_typeET4_jRbjT5_S1F_jjP12ihipStream_tbEUljE_ZNSN_ISO_Lb0ESR_SS_SU_SV_SZ_EES10_S11_S12_S13_S17_S18_S19_S1C_S1D_jS1E_jS1F_S1F_jjS1H_bEUljE0_EEES10_S11_S12_S19_S1D_S1F_T6_T7_T9_mT8_S1H_bDpT10_ENKUlT_T0_E_clISt17integral_constantIbLb0EES1V_EEDaS1Q_S1R_EUlS1Q_E_NS1_11comp_targetILNS1_3genE9ELNS1_11target_archE1100ELNS1_3gpuE3ELNS1_3repE0EEENS1_30default_config_static_selectorELNS0_4arch9wavefront6targetE0EEEvS13_,comdat
.Lfunc_end1784:
	.size	_ZN7rocprim17ROCPRIM_400000_NS6detail17trampoline_kernelINS0_13select_configILj256ELj13ELNS0_17block_load_methodE3ELS4_3ELS4_3ELNS0_20block_scan_algorithmE0ELj4294967295EEENS1_25partition_config_selectorILNS1_17partition_subalgoE4EjNS0_10empty_typeEbEEZZNS1_14partition_implILS8_4ELb0ES6_15HIP_vector_typeIjLj2EENS0_17counting_iteratorIjlEEPS9_SG_NS0_5tupleIJPjSI_NS0_16reverse_iteratorISI_EEEEENSH_IJSG_SG_SG_EEES9_SI_JZNS1_25segmented_radix_sort_implINS0_14default_configELb0EPK6__halfPSP_PKlPlN2at6native12_GLOBAL__N_18offset_tEEE10hipError_tPvRmT1_PNSt15iterator_traitsIS13_E10value_typeET2_T3_PNS14_IS19_E10value_typeET4_jRbjT5_S1F_jjP12ihipStream_tbEUljE_ZNSN_ISO_Lb0ESR_SS_SU_SV_SZ_EES10_S11_S12_S13_S17_S18_S19_S1C_S1D_jS1E_jS1F_S1F_jjS1H_bEUljE0_EEES10_S11_S12_S19_S1D_S1F_T6_T7_T9_mT8_S1H_bDpT10_ENKUlT_T0_E_clISt17integral_constantIbLb0EES1V_EEDaS1Q_S1R_EUlS1Q_E_NS1_11comp_targetILNS1_3genE9ELNS1_11target_archE1100ELNS1_3gpuE3ELNS1_3repE0EEENS1_30default_config_static_selectorELNS0_4arch9wavefront6targetE0EEEvS13_, .Lfunc_end1784-_ZN7rocprim17ROCPRIM_400000_NS6detail17trampoline_kernelINS0_13select_configILj256ELj13ELNS0_17block_load_methodE3ELS4_3ELS4_3ELNS0_20block_scan_algorithmE0ELj4294967295EEENS1_25partition_config_selectorILNS1_17partition_subalgoE4EjNS0_10empty_typeEbEEZZNS1_14partition_implILS8_4ELb0ES6_15HIP_vector_typeIjLj2EENS0_17counting_iteratorIjlEEPS9_SG_NS0_5tupleIJPjSI_NS0_16reverse_iteratorISI_EEEEENSH_IJSG_SG_SG_EEES9_SI_JZNS1_25segmented_radix_sort_implINS0_14default_configELb0EPK6__halfPSP_PKlPlN2at6native12_GLOBAL__N_18offset_tEEE10hipError_tPvRmT1_PNSt15iterator_traitsIS13_E10value_typeET2_T3_PNS14_IS19_E10value_typeET4_jRbjT5_S1F_jjP12ihipStream_tbEUljE_ZNSN_ISO_Lb0ESR_SS_SU_SV_SZ_EES10_S11_S12_S13_S17_S18_S19_S1C_S1D_jS1E_jS1F_S1F_jjS1H_bEUljE0_EEES10_S11_S12_S19_S1D_S1F_T6_T7_T9_mT8_S1H_bDpT10_ENKUlT_T0_E_clISt17integral_constantIbLb0EES1V_EEDaS1Q_S1R_EUlS1Q_E_NS1_11comp_targetILNS1_3genE9ELNS1_11target_archE1100ELNS1_3gpuE3ELNS1_3repE0EEENS1_30default_config_static_selectorELNS0_4arch9wavefront6targetE0EEEvS13_
                                        ; -- End function
	.section	.AMDGPU.csdata,"",@progbits
; Kernel info:
; codeLenInByte = 14984
; NumSgprs: 61
; NumVgprs: 98
; ScratchSize: 0
; MemoryBound: 0
; FloatMode: 240
; IeeeMode: 1
; LDSByteSize: 13340 bytes/workgroup (compile time only)
; SGPRBlocks: 7
; VGPRBlocks: 12
; NumSGPRsForWavesPerEU: 61
; NumVGPRsForWavesPerEU: 98
; Occupancy: 12
; WaveLimiterHint : 1
; COMPUTE_PGM_RSRC2:SCRATCH_EN: 0
; COMPUTE_PGM_RSRC2:USER_SGPR: 15
; COMPUTE_PGM_RSRC2:TRAP_HANDLER: 0
; COMPUTE_PGM_RSRC2:TGID_X_EN: 1
; COMPUTE_PGM_RSRC2:TGID_Y_EN: 0
; COMPUTE_PGM_RSRC2:TGID_Z_EN: 0
; COMPUTE_PGM_RSRC2:TIDIG_COMP_CNT: 0
	.section	.text._ZN7rocprim17ROCPRIM_400000_NS6detail17trampoline_kernelINS0_13select_configILj256ELj13ELNS0_17block_load_methodE3ELS4_3ELS4_3ELNS0_20block_scan_algorithmE0ELj4294967295EEENS1_25partition_config_selectorILNS1_17partition_subalgoE4EjNS0_10empty_typeEbEEZZNS1_14partition_implILS8_4ELb0ES6_15HIP_vector_typeIjLj2EENS0_17counting_iteratorIjlEEPS9_SG_NS0_5tupleIJPjSI_NS0_16reverse_iteratorISI_EEEEENSH_IJSG_SG_SG_EEES9_SI_JZNS1_25segmented_radix_sort_implINS0_14default_configELb0EPK6__halfPSP_PKlPlN2at6native12_GLOBAL__N_18offset_tEEE10hipError_tPvRmT1_PNSt15iterator_traitsIS13_E10value_typeET2_T3_PNS14_IS19_E10value_typeET4_jRbjT5_S1F_jjP12ihipStream_tbEUljE_ZNSN_ISO_Lb0ESR_SS_SU_SV_SZ_EES10_S11_S12_S13_S17_S18_S19_S1C_S1D_jS1E_jS1F_S1F_jjS1H_bEUljE0_EEES10_S11_S12_S19_S1D_S1F_T6_T7_T9_mT8_S1H_bDpT10_ENKUlT_T0_E_clISt17integral_constantIbLb0EES1V_EEDaS1Q_S1R_EUlS1Q_E_NS1_11comp_targetILNS1_3genE8ELNS1_11target_archE1030ELNS1_3gpuE2ELNS1_3repE0EEENS1_30default_config_static_selectorELNS0_4arch9wavefront6targetE0EEEvS13_,"axG",@progbits,_ZN7rocprim17ROCPRIM_400000_NS6detail17trampoline_kernelINS0_13select_configILj256ELj13ELNS0_17block_load_methodE3ELS4_3ELS4_3ELNS0_20block_scan_algorithmE0ELj4294967295EEENS1_25partition_config_selectorILNS1_17partition_subalgoE4EjNS0_10empty_typeEbEEZZNS1_14partition_implILS8_4ELb0ES6_15HIP_vector_typeIjLj2EENS0_17counting_iteratorIjlEEPS9_SG_NS0_5tupleIJPjSI_NS0_16reverse_iteratorISI_EEEEENSH_IJSG_SG_SG_EEES9_SI_JZNS1_25segmented_radix_sort_implINS0_14default_configELb0EPK6__halfPSP_PKlPlN2at6native12_GLOBAL__N_18offset_tEEE10hipError_tPvRmT1_PNSt15iterator_traitsIS13_E10value_typeET2_T3_PNS14_IS19_E10value_typeET4_jRbjT5_S1F_jjP12ihipStream_tbEUljE_ZNSN_ISO_Lb0ESR_SS_SU_SV_SZ_EES10_S11_S12_S13_S17_S18_S19_S1C_S1D_jS1E_jS1F_S1F_jjS1H_bEUljE0_EEES10_S11_S12_S19_S1D_S1F_T6_T7_T9_mT8_S1H_bDpT10_ENKUlT_T0_E_clISt17integral_constantIbLb0EES1V_EEDaS1Q_S1R_EUlS1Q_E_NS1_11comp_targetILNS1_3genE8ELNS1_11target_archE1030ELNS1_3gpuE2ELNS1_3repE0EEENS1_30default_config_static_selectorELNS0_4arch9wavefront6targetE0EEEvS13_,comdat
	.globl	_ZN7rocprim17ROCPRIM_400000_NS6detail17trampoline_kernelINS0_13select_configILj256ELj13ELNS0_17block_load_methodE3ELS4_3ELS4_3ELNS0_20block_scan_algorithmE0ELj4294967295EEENS1_25partition_config_selectorILNS1_17partition_subalgoE4EjNS0_10empty_typeEbEEZZNS1_14partition_implILS8_4ELb0ES6_15HIP_vector_typeIjLj2EENS0_17counting_iteratorIjlEEPS9_SG_NS0_5tupleIJPjSI_NS0_16reverse_iteratorISI_EEEEENSH_IJSG_SG_SG_EEES9_SI_JZNS1_25segmented_radix_sort_implINS0_14default_configELb0EPK6__halfPSP_PKlPlN2at6native12_GLOBAL__N_18offset_tEEE10hipError_tPvRmT1_PNSt15iterator_traitsIS13_E10value_typeET2_T3_PNS14_IS19_E10value_typeET4_jRbjT5_S1F_jjP12ihipStream_tbEUljE_ZNSN_ISO_Lb0ESR_SS_SU_SV_SZ_EES10_S11_S12_S13_S17_S18_S19_S1C_S1D_jS1E_jS1F_S1F_jjS1H_bEUljE0_EEES10_S11_S12_S19_S1D_S1F_T6_T7_T9_mT8_S1H_bDpT10_ENKUlT_T0_E_clISt17integral_constantIbLb0EES1V_EEDaS1Q_S1R_EUlS1Q_E_NS1_11comp_targetILNS1_3genE8ELNS1_11target_archE1030ELNS1_3gpuE2ELNS1_3repE0EEENS1_30default_config_static_selectorELNS0_4arch9wavefront6targetE0EEEvS13_ ; -- Begin function _ZN7rocprim17ROCPRIM_400000_NS6detail17trampoline_kernelINS0_13select_configILj256ELj13ELNS0_17block_load_methodE3ELS4_3ELS4_3ELNS0_20block_scan_algorithmE0ELj4294967295EEENS1_25partition_config_selectorILNS1_17partition_subalgoE4EjNS0_10empty_typeEbEEZZNS1_14partition_implILS8_4ELb0ES6_15HIP_vector_typeIjLj2EENS0_17counting_iteratorIjlEEPS9_SG_NS0_5tupleIJPjSI_NS0_16reverse_iteratorISI_EEEEENSH_IJSG_SG_SG_EEES9_SI_JZNS1_25segmented_radix_sort_implINS0_14default_configELb0EPK6__halfPSP_PKlPlN2at6native12_GLOBAL__N_18offset_tEEE10hipError_tPvRmT1_PNSt15iterator_traitsIS13_E10value_typeET2_T3_PNS14_IS19_E10value_typeET4_jRbjT5_S1F_jjP12ihipStream_tbEUljE_ZNSN_ISO_Lb0ESR_SS_SU_SV_SZ_EES10_S11_S12_S13_S17_S18_S19_S1C_S1D_jS1E_jS1F_S1F_jjS1H_bEUljE0_EEES10_S11_S12_S19_S1D_S1F_T6_T7_T9_mT8_S1H_bDpT10_ENKUlT_T0_E_clISt17integral_constantIbLb0EES1V_EEDaS1Q_S1R_EUlS1Q_E_NS1_11comp_targetILNS1_3genE8ELNS1_11target_archE1030ELNS1_3gpuE2ELNS1_3repE0EEENS1_30default_config_static_selectorELNS0_4arch9wavefront6targetE0EEEvS13_
	.p2align	8
	.type	_ZN7rocprim17ROCPRIM_400000_NS6detail17trampoline_kernelINS0_13select_configILj256ELj13ELNS0_17block_load_methodE3ELS4_3ELS4_3ELNS0_20block_scan_algorithmE0ELj4294967295EEENS1_25partition_config_selectorILNS1_17partition_subalgoE4EjNS0_10empty_typeEbEEZZNS1_14partition_implILS8_4ELb0ES6_15HIP_vector_typeIjLj2EENS0_17counting_iteratorIjlEEPS9_SG_NS0_5tupleIJPjSI_NS0_16reverse_iteratorISI_EEEEENSH_IJSG_SG_SG_EEES9_SI_JZNS1_25segmented_radix_sort_implINS0_14default_configELb0EPK6__halfPSP_PKlPlN2at6native12_GLOBAL__N_18offset_tEEE10hipError_tPvRmT1_PNSt15iterator_traitsIS13_E10value_typeET2_T3_PNS14_IS19_E10value_typeET4_jRbjT5_S1F_jjP12ihipStream_tbEUljE_ZNSN_ISO_Lb0ESR_SS_SU_SV_SZ_EES10_S11_S12_S13_S17_S18_S19_S1C_S1D_jS1E_jS1F_S1F_jjS1H_bEUljE0_EEES10_S11_S12_S19_S1D_S1F_T6_T7_T9_mT8_S1H_bDpT10_ENKUlT_T0_E_clISt17integral_constantIbLb0EES1V_EEDaS1Q_S1R_EUlS1Q_E_NS1_11comp_targetILNS1_3genE8ELNS1_11target_archE1030ELNS1_3gpuE2ELNS1_3repE0EEENS1_30default_config_static_selectorELNS0_4arch9wavefront6targetE0EEEvS13_,@function
_ZN7rocprim17ROCPRIM_400000_NS6detail17trampoline_kernelINS0_13select_configILj256ELj13ELNS0_17block_load_methodE3ELS4_3ELS4_3ELNS0_20block_scan_algorithmE0ELj4294967295EEENS1_25partition_config_selectorILNS1_17partition_subalgoE4EjNS0_10empty_typeEbEEZZNS1_14partition_implILS8_4ELb0ES6_15HIP_vector_typeIjLj2EENS0_17counting_iteratorIjlEEPS9_SG_NS0_5tupleIJPjSI_NS0_16reverse_iteratorISI_EEEEENSH_IJSG_SG_SG_EEES9_SI_JZNS1_25segmented_radix_sort_implINS0_14default_configELb0EPK6__halfPSP_PKlPlN2at6native12_GLOBAL__N_18offset_tEEE10hipError_tPvRmT1_PNSt15iterator_traitsIS13_E10value_typeET2_T3_PNS14_IS19_E10value_typeET4_jRbjT5_S1F_jjP12ihipStream_tbEUljE_ZNSN_ISO_Lb0ESR_SS_SU_SV_SZ_EES10_S11_S12_S13_S17_S18_S19_S1C_S1D_jS1E_jS1F_S1F_jjS1H_bEUljE0_EEES10_S11_S12_S19_S1D_S1F_T6_T7_T9_mT8_S1H_bDpT10_ENKUlT_T0_E_clISt17integral_constantIbLb0EES1V_EEDaS1Q_S1R_EUlS1Q_E_NS1_11comp_targetILNS1_3genE8ELNS1_11target_archE1030ELNS1_3gpuE2ELNS1_3repE0EEENS1_30default_config_static_selectorELNS0_4arch9wavefront6targetE0EEEvS13_: ; @_ZN7rocprim17ROCPRIM_400000_NS6detail17trampoline_kernelINS0_13select_configILj256ELj13ELNS0_17block_load_methodE3ELS4_3ELS4_3ELNS0_20block_scan_algorithmE0ELj4294967295EEENS1_25partition_config_selectorILNS1_17partition_subalgoE4EjNS0_10empty_typeEbEEZZNS1_14partition_implILS8_4ELb0ES6_15HIP_vector_typeIjLj2EENS0_17counting_iteratorIjlEEPS9_SG_NS0_5tupleIJPjSI_NS0_16reverse_iteratorISI_EEEEENSH_IJSG_SG_SG_EEES9_SI_JZNS1_25segmented_radix_sort_implINS0_14default_configELb0EPK6__halfPSP_PKlPlN2at6native12_GLOBAL__N_18offset_tEEE10hipError_tPvRmT1_PNSt15iterator_traitsIS13_E10value_typeET2_T3_PNS14_IS19_E10value_typeET4_jRbjT5_S1F_jjP12ihipStream_tbEUljE_ZNSN_ISO_Lb0ESR_SS_SU_SV_SZ_EES10_S11_S12_S13_S17_S18_S19_S1C_S1D_jS1E_jS1F_S1F_jjS1H_bEUljE0_EEES10_S11_S12_S19_S1D_S1F_T6_T7_T9_mT8_S1H_bDpT10_ENKUlT_T0_E_clISt17integral_constantIbLb0EES1V_EEDaS1Q_S1R_EUlS1Q_E_NS1_11comp_targetILNS1_3genE8ELNS1_11target_archE1030ELNS1_3gpuE2ELNS1_3repE0EEENS1_30default_config_static_selectorELNS0_4arch9wavefront6targetE0EEEvS13_
; %bb.0:
	.section	.rodata,"a",@progbits
	.p2align	6, 0x0
	.amdhsa_kernel _ZN7rocprim17ROCPRIM_400000_NS6detail17trampoline_kernelINS0_13select_configILj256ELj13ELNS0_17block_load_methodE3ELS4_3ELS4_3ELNS0_20block_scan_algorithmE0ELj4294967295EEENS1_25partition_config_selectorILNS1_17partition_subalgoE4EjNS0_10empty_typeEbEEZZNS1_14partition_implILS8_4ELb0ES6_15HIP_vector_typeIjLj2EENS0_17counting_iteratorIjlEEPS9_SG_NS0_5tupleIJPjSI_NS0_16reverse_iteratorISI_EEEEENSH_IJSG_SG_SG_EEES9_SI_JZNS1_25segmented_radix_sort_implINS0_14default_configELb0EPK6__halfPSP_PKlPlN2at6native12_GLOBAL__N_18offset_tEEE10hipError_tPvRmT1_PNSt15iterator_traitsIS13_E10value_typeET2_T3_PNS14_IS19_E10value_typeET4_jRbjT5_S1F_jjP12ihipStream_tbEUljE_ZNSN_ISO_Lb0ESR_SS_SU_SV_SZ_EES10_S11_S12_S13_S17_S18_S19_S1C_S1D_jS1E_jS1F_S1F_jjS1H_bEUljE0_EEES10_S11_S12_S19_S1D_S1F_T6_T7_T9_mT8_S1H_bDpT10_ENKUlT_T0_E_clISt17integral_constantIbLb0EES1V_EEDaS1Q_S1R_EUlS1Q_E_NS1_11comp_targetILNS1_3genE8ELNS1_11target_archE1030ELNS1_3gpuE2ELNS1_3repE0EEENS1_30default_config_static_selectorELNS0_4arch9wavefront6targetE0EEEvS13_
		.amdhsa_group_segment_fixed_size 0
		.amdhsa_private_segment_fixed_size 0
		.amdhsa_kernarg_size 176
		.amdhsa_user_sgpr_count 15
		.amdhsa_user_sgpr_dispatch_ptr 0
		.amdhsa_user_sgpr_queue_ptr 0
		.amdhsa_user_sgpr_kernarg_segment_ptr 1
		.amdhsa_user_sgpr_dispatch_id 0
		.amdhsa_user_sgpr_private_segment_size 0
		.amdhsa_wavefront_size32 1
		.amdhsa_uses_dynamic_stack 0
		.amdhsa_enable_private_segment 0
		.amdhsa_system_sgpr_workgroup_id_x 1
		.amdhsa_system_sgpr_workgroup_id_y 0
		.amdhsa_system_sgpr_workgroup_id_z 0
		.amdhsa_system_sgpr_workgroup_info 0
		.amdhsa_system_vgpr_workitem_id 0
		.amdhsa_next_free_vgpr 1
		.amdhsa_next_free_sgpr 1
		.amdhsa_reserve_vcc 0
		.amdhsa_float_round_mode_32 0
		.amdhsa_float_round_mode_16_64 0
		.amdhsa_float_denorm_mode_32 3
		.amdhsa_float_denorm_mode_16_64 3
		.amdhsa_dx10_clamp 1
		.amdhsa_ieee_mode 1
		.amdhsa_fp16_overflow 0
		.amdhsa_workgroup_processor_mode 1
		.amdhsa_memory_ordered 1
		.amdhsa_forward_progress 0
		.amdhsa_shared_vgpr_count 0
		.amdhsa_exception_fp_ieee_invalid_op 0
		.amdhsa_exception_fp_denorm_src 0
		.amdhsa_exception_fp_ieee_div_zero 0
		.amdhsa_exception_fp_ieee_overflow 0
		.amdhsa_exception_fp_ieee_underflow 0
		.amdhsa_exception_fp_ieee_inexact 0
		.amdhsa_exception_int_div_zero 0
	.end_amdhsa_kernel
	.section	.text._ZN7rocprim17ROCPRIM_400000_NS6detail17trampoline_kernelINS0_13select_configILj256ELj13ELNS0_17block_load_methodE3ELS4_3ELS4_3ELNS0_20block_scan_algorithmE0ELj4294967295EEENS1_25partition_config_selectorILNS1_17partition_subalgoE4EjNS0_10empty_typeEbEEZZNS1_14partition_implILS8_4ELb0ES6_15HIP_vector_typeIjLj2EENS0_17counting_iteratorIjlEEPS9_SG_NS0_5tupleIJPjSI_NS0_16reverse_iteratorISI_EEEEENSH_IJSG_SG_SG_EEES9_SI_JZNS1_25segmented_radix_sort_implINS0_14default_configELb0EPK6__halfPSP_PKlPlN2at6native12_GLOBAL__N_18offset_tEEE10hipError_tPvRmT1_PNSt15iterator_traitsIS13_E10value_typeET2_T3_PNS14_IS19_E10value_typeET4_jRbjT5_S1F_jjP12ihipStream_tbEUljE_ZNSN_ISO_Lb0ESR_SS_SU_SV_SZ_EES10_S11_S12_S13_S17_S18_S19_S1C_S1D_jS1E_jS1F_S1F_jjS1H_bEUljE0_EEES10_S11_S12_S19_S1D_S1F_T6_T7_T9_mT8_S1H_bDpT10_ENKUlT_T0_E_clISt17integral_constantIbLb0EES1V_EEDaS1Q_S1R_EUlS1Q_E_NS1_11comp_targetILNS1_3genE8ELNS1_11target_archE1030ELNS1_3gpuE2ELNS1_3repE0EEENS1_30default_config_static_selectorELNS0_4arch9wavefront6targetE0EEEvS13_,"axG",@progbits,_ZN7rocprim17ROCPRIM_400000_NS6detail17trampoline_kernelINS0_13select_configILj256ELj13ELNS0_17block_load_methodE3ELS4_3ELS4_3ELNS0_20block_scan_algorithmE0ELj4294967295EEENS1_25partition_config_selectorILNS1_17partition_subalgoE4EjNS0_10empty_typeEbEEZZNS1_14partition_implILS8_4ELb0ES6_15HIP_vector_typeIjLj2EENS0_17counting_iteratorIjlEEPS9_SG_NS0_5tupleIJPjSI_NS0_16reverse_iteratorISI_EEEEENSH_IJSG_SG_SG_EEES9_SI_JZNS1_25segmented_radix_sort_implINS0_14default_configELb0EPK6__halfPSP_PKlPlN2at6native12_GLOBAL__N_18offset_tEEE10hipError_tPvRmT1_PNSt15iterator_traitsIS13_E10value_typeET2_T3_PNS14_IS19_E10value_typeET4_jRbjT5_S1F_jjP12ihipStream_tbEUljE_ZNSN_ISO_Lb0ESR_SS_SU_SV_SZ_EES10_S11_S12_S13_S17_S18_S19_S1C_S1D_jS1E_jS1F_S1F_jjS1H_bEUljE0_EEES10_S11_S12_S19_S1D_S1F_T6_T7_T9_mT8_S1H_bDpT10_ENKUlT_T0_E_clISt17integral_constantIbLb0EES1V_EEDaS1Q_S1R_EUlS1Q_E_NS1_11comp_targetILNS1_3genE8ELNS1_11target_archE1030ELNS1_3gpuE2ELNS1_3repE0EEENS1_30default_config_static_selectorELNS0_4arch9wavefront6targetE0EEEvS13_,comdat
.Lfunc_end1785:
	.size	_ZN7rocprim17ROCPRIM_400000_NS6detail17trampoline_kernelINS0_13select_configILj256ELj13ELNS0_17block_load_methodE3ELS4_3ELS4_3ELNS0_20block_scan_algorithmE0ELj4294967295EEENS1_25partition_config_selectorILNS1_17partition_subalgoE4EjNS0_10empty_typeEbEEZZNS1_14partition_implILS8_4ELb0ES6_15HIP_vector_typeIjLj2EENS0_17counting_iteratorIjlEEPS9_SG_NS0_5tupleIJPjSI_NS0_16reverse_iteratorISI_EEEEENSH_IJSG_SG_SG_EEES9_SI_JZNS1_25segmented_radix_sort_implINS0_14default_configELb0EPK6__halfPSP_PKlPlN2at6native12_GLOBAL__N_18offset_tEEE10hipError_tPvRmT1_PNSt15iterator_traitsIS13_E10value_typeET2_T3_PNS14_IS19_E10value_typeET4_jRbjT5_S1F_jjP12ihipStream_tbEUljE_ZNSN_ISO_Lb0ESR_SS_SU_SV_SZ_EES10_S11_S12_S13_S17_S18_S19_S1C_S1D_jS1E_jS1F_S1F_jjS1H_bEUljE0_EEES10_S11_S12_S19_S1D_S1F_T6_T7_T9_mT8_S1H_bDpT10_ENKUlT_T0_E_clISt17integral_constantIbLb0EES1V_EEDaS1Q_S1R_EUlS1Q_E_NS1_11comp_targetILNS1_3genE8ELNS1_11target_archE1030ELNS1_3gpuE2ELNS1_3repE0EEENS1_30default_config_static_selectorELNS0_4arch9wavefront6targetE0EEEvS13_, .Lfunc_end1785-_ZN7rocprim17ROCPRIM_400000_NS6detail17trampoline_kernelINS0_13select_configILj256ELj13ELNS0_17block_load_methodE3ELS4_3ELS4_3ELNS0_20block_scan_algorithmE0ELj4294967295EEENS1_25partition_config_selectorILNS1_17partition_subalgoE4EjNS0_10empty_typeEbEEZZNS1_14partition_implILS8_4ELb0ES6_15HIP_vector_typeIjLj2EENS0_17counting_iteratorIjlEEPS9_SG_NS0_5tupleIJPjSI_NS0_16reverse_iteratorISI_EEEEENSH_IJSG_SG_SG_EEES9_SI_JZNS1_25segmented_radix_sort_implINS0_14default_configELb0EPK6__halfPSP_PKlPlN2at6native12_GLOBAL__N_18offset_tEEE10hipError_tPvRmT1_PNSt15iterator_traitsIS13_E10value_typeET2_T3_PNS14_IS19_E10value_typeET4_jRbjT5_S1F_jjP12ihipStream_tbEUljE_ZNSN_ISO_Lb0ESR_SS_SU_SV_SZ_EES10_S11_S12_S13_S17_S18_S19_S1C_S1D_jS1E_jS1F_S1F_jjS1H_bEUljE0_EEES10_S11_S12_S19_S1D_S1F_T6_T7_T9_mT8_S1H_bDpT10_ENKUlT_T0_E_clISt17integral_constantIbLb0EES1V_EEDaS1Q_S1R_EUlS1Q_E_NS1_11comp_targetILNS1_3genE8ELNS1_11target_archE1030ELNS1_3gpuE2ELNS1_3repE0EEENS1_30default_config_static_selectorELNS0_4arch9wavefront6targetE0EEEvS13_
                                        ; -- End function
	.section	.AMDGPU.csdata,"",@progbits
; Kernel info:
; codeLenInByte = 0
; NumSgprs: 0
; NumVgprs: 0
; ScratchSize: 0
; MemoryBound: 0
; FloatMode: 240
; IeeeMode: 1
; LDSByteSize: 0 bytes/workgroup (compile time only)
; SGPRBlocks: 0
; VGPRBlocks: 0
; NumSGPRsForWavesPerEU: 1
; NumVGPRsForWavesPerEU: 1
; Occupancy: 16
; WaveLimiterHint : 0
; COMPUTE_PGM_RSRC2:SCRATCH_EN: 0
; COMPUTE_PGM_RSRC2:USER_SGPR: 15
; COMPUTE_PGM_RSRC2:TRAP_HANDLER: 0
; COMPUTE_PGM_RSRC2:TGID_X_EN: 1
; COMPUTE_PGM_RSRC2:TGID_Y_EN: 0
; COMPUTE_PGM_RSRC2:TGID_Z_EN: 0
; COMPUTE_PGM_RSRC2:TIDIG_COMP_CNT: 0
	.section	.text._ZN7rocprim17ROCPRIM_400000_NS6detail17trampoline_kernelINS0_13select_configILj256ELj13ELNS0_17block_load_methodE3ELS4_3ELS4_3ELNS0_20block_scan_algorithmE0ELj4294967295EEENS1_25partition_config_selectorILNS1_17partition_subalgoE4EjNS0_10empty_typeEbEEZZNS1_14partition_implILS8_4ELb0ES6_15HIP_vector_typeIjLj2EENS0_17counting_iteratorIjlEEPS9_SG_NS0_5tupleIJPjSI_NS0_16reverse_iteratorISI_EEEEENSH_IJSG_SG_SG_EEES9_SI_JZNS1_25segmented_radix_sort_implINS0_14default_configELb0EPK6__halfPSP_PKlPlN2at6native12_GLOBAL__N_18offset_tEEE10hipError_tPvRmT1_PNSt15iterator_traitsIS13_E10value_typeET2_T3_PNS14_IS19_E10value_typeET4_jRbjT5_S1F_jjP12ihipStream_tbEUljE_ZNSN_ISO_Lb0ESR_SS_SU_SV_SZ_EES10_S11_S12_S13_S17_S18_S19_S1C_S1D_jS1E_jS1F_S1F_jjS1H_bEUljE0_EEES10_S11_S12_S19_S1D_S1F_T6_T7_T9_mT8_S1H_bDpT10_ENKUlT_T0_E_clISt17integral_constantIbLb1EES1V_EEDaS1Q_S1R_EUlS1Q_E_NS1_11comp_targetILNS1_3genE0ELNS1_11target_archE4294967295ELNS1_3gpuE0ELNS1_3repE0EEENS1_30default_config_static_selectorELNS0_4arch9wavefront6targetE0EEEvS13_,"axG",@progbits,_ZN7rocprim17ROCPRIM_400000_NS6detail17trampoline_kernelINS0_13select_configILj256ELj13ELNS0_17block_load_methodE3ELS4_3ELS4_3ELNS0_20block_scan_algorithmE0ELj4294967295EEENS1_25partition_config_selectorILNS1_17partition_subalgoE4EjNS0_10empty_typeEbEEZZNS1_14partition_implILS8_4ELb0ES6_15HIP_vector_typeIjLj2EENS0_17counting_iteratorIjlEEPS9_SG_NS0_5tupleIJPjSI_NS0_16reverse_iteratorISI_EEEEENSH_IJSG_SG_SG_EEES9_SI_JZNS1_25segmented_radix_sort_implINS0_14default_configELb0EPK6__halfPSP_PKlPlN2at6native12_GLOBAL__N_18offset_tEEE10hipError_tPvRmT1_PNSt15iterator_traitsIS13_E10value_typeET2_T3_PNS14_IS19_E10value_typeET4_jRbjT5_S1F_jjP12ihipStream_tbEUljE_ZNSN_ISO_Lb0ESR_SS_SU_SV_SZ_EES10_S11_S12_S13_S17_S18_S19_S1C_S1D_jS1E_jS1F_S1F_jjS1H_bEUljE0_EEES10_S11_S12_S19_S1D_S1F_T6_T7_T9_mT8_S1H_bDpT10_ENKUlT_T0_E_clISt17integral_constantIbLb1EES1V_EEDaS1Q_S1R_EUlS1Q_E_NS1_11comp_targetILNS1_3genE0ELNS1_11target_archE4294967295ELNS1_3gpuE0ELNS1_3repE0EEENS1_30default_config_static_selectorELNS0_4arch9wavefront6targetE0EEEvS13_,comdat
	.globl	_ZN7rocprim17ROCPRIM_400000_NS6detail17trampoline_kernelINS0_13select_configILj256ELj13ELNS0_17block_load_methodE3ELS4_3ELS4_3ELNS0_20block_scan_algorithmE0ELj4294967295EEENS1_25partition_config_selectorILNS1_17partition_subalgoE4EjNS0_10empty_typeEbEEZZNS1_14partition_implILS8_4ELb0ES6_15HIP_vector_typeIjLj2EENS0_17counting_iteratorIjlEEPS9_SG_NS0_5tupleIJPjSI_NS0_16reverse_iteratorISI_EEEEENSH_IJSG_SG_SG_EEES9_SI_JZNS1_25segmented_radix_sort_implINS0_14default_configELb0EPK6__halfPSP_PKlPlN2at6native12_GLOBAL__N_18offset_tEEE10hipError_tPvRmT1_PNSt15iterator_traitsIS13_E10value_typeET2_T3_PNS14_IS19_E10value_typeET4_jRbjT5_S1F_jjP12ihipStream_tbEUljE_ZNSN_ISO_Lb0ESR_SS_SU_SV_SZ_EES10_S11_S12_S13_S17_S18_S19_S1C_S1D_jS1E_jS1F_S1F_jjS1H_bEUljE0_EEES10_S11_S12_S19_S1D_S1F_T6_T7_T9_mT8_S1H_bDpT10_ENKUlT_T0_E_clISt17integral_constantIbLb1EES1V_EEDaS1Q_S1R_EUlS1Q_E_NS1_11comp_targetILNS1_3genE0ELNS1_11target_archE4294967295ELNS1_3gpuE0ELNS1_3repE0EEENS1_30default_config_static_selectorELNS0_4arch9wavefront6targetE0EEEvS13_ ; -- Begin function _ZN7rocprim17ROCPRIM_400000_NS6detail17trampoline_kernelINS0_13select_configILj256ELj13ELNS0_17block_load_methodE3ELS4_3ELS4_3ELNS0_20block_scan_algorithmE0ELj4294967295EEENS1_25partition_config_selectorILNS1_17partition_subalgoE4EjNS0_10empty_typeEbEEZZNS1_14partition_implILS8_4ELb0ES6_15HIP_vector_typeIjLj2EENS0_17counting_iteratorIjlEEPS9_SG_NS0_5tupleIJPjSI_NS0_16reverse_iteratorISI_EEEEENSH_IJSG_SG_SG_EEES9_SI_JZNS1_25segmented_radix_sort_implINS0_14default_configELb0EPK6__halfPSP_PKlPlN2at6native12_GLOBAL__N_18offset_tEEE10hipError_tPvRmT1_PNSt15iterator_traitsIS13_E10value_typeET2_T3_PNS14_IS19_E10value_typeET4_jRbjT5_S1F_jjP12ihipStream_tbEUljE_ZNSN_ISO_Lb0ESR_SS_SU_SV_SZ_EES10_S11_S12_S13_S17_S18_S19_S1C_S1D_jS1E_jS1F_S1F_jjS1H_bEUljE0_EEES10_S11_S12_S19_S1D_S1F_T6_T7_T9_mT8_S1H_bDpT10_ENKUlT_T0_E_clISt17integral_constantIbLb1EES1V_EEDaS1Q_S1R_EUlS1Q_E_NS1_11comp_targetILNS1_3genE0ELNS1_11target_archE4294967295ELNS1_3gpuE0ELNS1_3repE0EEENS1_30default_config_static_selectorELNS0_4arch9wavefront6targetE0EEEvS13_
	.p2align	8
	.type	_ZN7rocprim17ROCPRIM_400000_NS6detail17trampoline_kernelINS0_13select_configILj256ELj13ELNS0_17block_load_methodE3ELS4_3ELS4_3ELNS0_20block_scan_algorithmE0ELj4294967295EEENS1_25partition_config_selectorILNS1_17partition_subalgoE4EjNS0_10empty_typeEbEEZZNS1_14partition_implILS8_4ELb0ES6_15HIP_vector_typeIjLj2EENS0_17counting_iteratorIjlEEPS9_SG_NS0_5tupleIJPjSI_NS0_16reverse_iteratorISI_EEEEENSH_IJSG_SG_SG_EEES9_SI_JZNS1_25segmented_radix_sort_implINS0_14default_configELb0EPK6__halfPSP_PKlPlN2at6native12_GLOBAL__N_18offset_tEEE10hipError_tPvRmT1_PNSt15iterator_traitsIS13_E10value_typeET2_T3_PNS14_IS19_E10value_typeET4_jRbjT5_S1F_jjP12ihipStream_tbEUljE_ZNSN_ISO_Lb0ESR_SS_SU_SV_SZ_EES10_S11_S12_S13_S17_S18_S19_S1C_S1D_jS1E_jS1F_S1F_jjS1H_bEUljE0_EEES10_S11_S12_S19_S1D_S1F_T6_T7_T9_mT8_S1H_bDpT10_ENKUlT_T0_E_clISt17integral_constantIbLb1EES1V_EEDaS1Q_S1R_EUlS1Q_E_NS1_11comp_targetILNS1_3genE0ELNS1_11target_archE4294967295ELNS1_3gpuE0ELNS1_3repE0EEENS1_30default_config_static_selectorELNS0_4arch9wavefront6targetE0EEEvS13_,@function
_ZN7rocprim17ROCPRIM_400000_NS6detail17trampoline_kernelINS0_13select_configILj256ELj13ELNS0_17block_load_methodE3ELS4_3ELS4_3ELNS0_20block_scan_algorithmE0ELj4294967295EEENS1_25partition_config_selectorILNS1_17partition_subalgoE4EjNS0_10empty_typeEbEEZZNS1_14partition_implILS8_4ELb0ES6_15HIP_vector_typeIjLj2EENS0_17counting_iteratorIjlEEPS9_SG_NS0_5tupleIJPjSI_NS0_16reverse_iteratorISI_EEEEENSH_IJSG_SG_SG_EEES9_SI_JZNS1_25segmented_radix_sort_implINS0_14default_configELb0EPK6__halfPSP_PKlPlN2at6native12_GLOBAL__N_18offset_tEEE10hipError_tPvRmT1_PNSt15iterator_traitsIS13_E10value_typeET2_T3_PNS14_IS19_E10value_typeET4_jRbjT5_S1F_jjP12ihipStream_tbEUljE_ZNSN_ISO_Lb0ESR_SS_SU_SV_SZ_EES10_S11_S12_S13_S17_S18_S19_S1C_S1D_jS1E_jS1F_S1F_jjS1H_bEUljE0_EEES10_S11_S12_S19_S1D_S1F_T6_T7_T9_mT8_S1H_bDpT10_ENKUlT_T0_E_clISt17integral_constantIbLb1EES1V_EEDaS1Q_S1R_EUlS1Q_E_NS1_11comp_targetILNS1_3genE0ELNS1_11target_archE4294967295ELNS1_3gpuE0ELNS1_3repE0EEENS1_30default_config_static_selectorELNS0_4arch9wavefront6targetE0EEEvS13_: ; @_ZN7rocprim17ROCPRIM_400000_NS6detail17trampoline_kernelINS0_13select_configILj256ELj13ELNS0_17block_load_methodE3ELS4_3ELS4_3ELNS0_20block_scan_algorithmE0ELj4294967295EEENS1_25partition_config_selectorILNS1_17partition_subalgoE4EjNS0_10empty_typeEbEEZZNS1_14partition_implILS8_4ELb0ES6_15HIP_vector_typeIjLj2EENS0_17counting_iteratorIjlEEPS9_SG_NS0_5tupleIJPjSI_NS0_16reverse_iteratorISI_EEEEENSH_IJSG_SG_SG_EEES9_SI_JZNS1_25segmented_radix_sort_implINS0_14default_configELb0EPK6__halfPSP_PKlPlN2at6native12_GLOBAL__N_18offset_tEEE10hipError_tPvRmT1_PNSt15iterator_traitsIS13_E10value_typeET2_T3_PNS14_IS19_E10value_typeET4_jRbjT5_S1F_jjP12ihipStream_tbEUljE_ZNSN_ISO_Lb0ESR_SS_SU_SV_SZ_EES10_S11_S12_S13_S17_S18_S19_S1C_S1D_jS1E_jS1F_S1F_jjS1H_bEUljE0_EEES10_S11_S12_S19_S1D_S1F_T6_T7_T9_mT8_S1H_bDpT10_ENKUlT_T0_E_clISt17integral_constantIbLb1EES1V_EEDaS1Q_S1R_EUlS1Q_E_NS1_11comp_targetILNS1_3genE0ELNS1_11target_archE4294967295ELNS1_3gpuE0ELNS1_3repE0EEENS1_30default_config_static_selectorELNS0_4arch9wavefront6targetE0EEEvS13_
; %bb.0:
	.section	.rodata,"a",@progbits
	.p2align	6, 0x0
	.amdhsa_kernel _ZN7rocprim17ROCPRIM_400000_NS6detail17trampoline_kernelINS0_13select_configILj256ELj13ELNS0_17block_load_methodE3ELS4_3ELS4_3ELNS0_20block_scan_algorithmE0ELj4294967295EEENS1_25partition_config_selectorILNS1_17partition_subalgoE4EjNS0_10empty_typeEbEEZZNS1_14partition_implILS8_4ELb0ES6_15HIP_vector_typeIjLj2EENS0_17counting_iteratorIjlEEPS9_SG_NS0_5tupleIJPjSI_NS0_16reverse_iteratorISI_EEEEENSH_IJSG_SG_SG_EEES9_SI_JZNS1_25segmented_radix_sort_implINS0_14default_configELb0EPK6__halfPSP_PKlPlN2at6native12_GLOBAL__N_18offset_tEEE10hipError_tPvRmT1_PNSt15iterator_traitsIS13_E10value_typeET2_T3_PNS14_IS19_E10value_typeET4_jRbjT5_S1F_jjP12ihipStream_tbEUljE_ZNSN_ISO_Lb0ESR_SS_SU_SV_SZ_EES10_S11_S12_S13_S17_S18_S19_S1C_S1D_jS1E_jS1F_S1F_jjS1H_bEUljE0_EEES10_S11_S12_S19_S1D_S1F_T6_T7_T9_mT8_S1H_bDpT10_ENKUlT_T0_E_clISt17integral_constantIbLb1EES1V_EEDaS1Q_S1R_EUlS1Q_E_NS1_11comp_targetILNS1_3genE0ELNS1_11target_archE4294967295ELNS1_3gpuE0ELNS1_3repE0EEENS1_30default_config_static_selectorELNS0_4arch9wavefront6targetE0EEEvS13_
		.amdhsa_group_segment_fixed_size 0
		.amdhsa_private_segment_fixed_size 0
		.amdhsa_kernarg_size 184
		.amdhsa_user_sgpr_count 15
		.amdhsa_user_sgpr_dispatch_ptr 0
		.amdhsa_user_sgpr_queue_ptr 0
		.amdhsa_user_sgpr_kernarg_segment_ptr 1
		.amdhsa_user_sgpr_dispatch_id 0
		.amdhsa_user_sgpr_private_segment_size 0
		.amdhsa_wavefront_size32 1
		.amdhsa_uses_dynamic_stack 0
		.amdhsa_enable_private_segment 0
		.amdhsa_system_sgpr_workgroup_id_x 1
		.amdhsa_system_sgpr_workgroup_id_y 0
		.amdhsa_system_sgpr_workgroup_id_z 0
		.amdhsa_system_sgpr_workgroup_info 0
		.amdhsa_system_vgpr_workitem_id 0
		.amdhsa_next_free_vgpr 1
		.amdhsa_next_free_sgpr 1
		.amdhsa_reserve_vcc 0
		.amdhsa_float_round_mode_32 0
		.amdhsa_float_round_mode_16_64 0
		.amdhsa_float_denorm_mode_32 3
		.amdhsa_float_denorm_mode_16_64 3
		.amdhsa_dx10_clamp 1
		.amdhsa_ieee_mode 1
		.amdhsa_fp16_overflow 0
		.amdhsa_workgroup_processor_mode 1
		.amdhsa_memory_ordered 1
		.amdhsa_forward_progress 0
		.amdhsa_shared_vgpr_count 0
		.amdhsa_exception_fp_ieee_invalid_op 0
		.amdhsa_exception_fp_denorm_src 0
		.amdhsa_exception_fp_ieee_div_zero 0
		.amdhsa_exception_fp_ieee_overflow 0
		.amdhsa_exception_fp_ieee_underflow 0
		.amdhsa_exception_fp_ieee_inexact 0
		.amdhsa_exception_int_div_zero 0
	.end_amdhsa_kernel
	.section	.text._ZN7rocprim17ROCPRIM_400000_NS6detail17trampoline_kernelINS0_13select_configILj256ELj13ELNS0_17block_load_methodE3ELS4_3ELS4_3ELNS0_20block_scan_algorithmE0ELj4294967295EEENS1_25partition_config_selectorILNS1_17partition_subalgoE4EjNS0_10empty_typeEbEEZZNS1_14partition_implILS8_4ELb0ES6_15HIP_vector_typeIjLj2EENS0_17counting_iteratorIjlEEPS9_SG_NS0_5tupleIJPjSI_NS0_16reverse_iteratorISI_EEEEENSH_IJSG_SG_SG_EEES9_SI_JZNS1_25segmented_radix_sort_implINS0_14default_configELb0EPK6__halfPSP_PKlPlN2at6native12_GLOBAL__N_18offset_tEEE10hipError_tPvRmT1_PNSt15iterator_traitsIS13_E10value_typeET2_T3_PNS14_IS19_E10value_typeET4_jRbjT5_S1F_jjP12ihipStream_tbEUljE_ZNSN_ISO_Lb0ESR_SS_SU_SV_SZ_EES10_S11_S12_S13_S17_S18_S19_S1C_S1D_jS1E_jS1F_S1F_jjS1H_bEUljE0_EEES10_S11_S12_S19_S1D_S1F_T6_T7_T9_mT8_S1H_bDpT10_ENKUlT_T0_E_clISt17integral_constantIbLb1EES1V_EEDaS1Q_S1R_EUlS1Q_E_NS1_11comp_targetILNS1_3genE0ELNS1_11target_archE4294967295ELNS1_3gpuE0ELNS1_3repE0EEENS1_30default_config_static_selectorELNS0_4arch9wavefront6targetE0EEEvS13_,"axG",@progbits,_ZN7rocprim17ROCPRIM_400000_NS6detail17trampoline_kernelINS0_13select_configILj256ELj13ELNS0_17block_load_methodE3ELS4_3ELS4_3ELNS0_20block_scan_algorithmE0ELj4294967295EEENS1_25partition_config_selectorILNS1_17partition_subalgoE4EjNS0_10empty_typeEbEEZZNS1_14partition_implILS8_4ELb0ES6_15HIP_vector_typeIjLj2EENS0_17counting_iteratorIjlEEPS9_SG_NS0_5tupleIJPjSI_NS0_16reverse_iteratorISI_EEEEENSH_IJSG_SG_SG_EEES9_SI_JZNS1_25segmented_radix_sort_implINS0_14default_configELb0EPK6__halfPSP_PKlPlN2at6native12_GLOBAL__N_18offset_tEEE10hipError_tPvRmT1_PNSt15iterator_traitsIS13_E10value_typeET2_T3_PNS14_IS19_E10value_typeET4_jRbjT5_S1F_jjP12ihipStream_tbEUljE_ZNSN_ISO_Lb0ESR_SS_SU_SV_SZ_EES10_S11_S12_S13_S17_S18_S19_S1C_S1D_jS1E_jS1F_S1F_jjS1H_bEUljE0_EEES10_S11_S12_S19_S1D_S1F_T6_T7_T9_mT8_S1H_bDpT10_ENKUlT_T0_E_clISt17integral_constantIbLb1EES1V_EEDaS1Q_S1R_EUlS1Q_E_NS1_11comp_targetILNS1_3genE0ELNS1_11target_archE4294967295ELNS1_3gpuE0ELNS1_3repE0EEENS1_30default_config_static_selectorELNS0_4arch9wavefront6targetE0EEEvS13_,comdat
.Lfunc_end1786:
	.size	_ZN7rocprim17ROCPRIM_400000_NS6detail17trampoline_kernelINS0_13select_configILj256ELj13ELNS0_17block_load_methodE3ELS4_3ELS4_3ELNS0_20block_scan_algorithmE0ELj4294967295EEENS1_25partition_config_selectorILNS1_17partition_subalgoE4EjNS0_10empty_typeEbEEZZNS1_14partition_implILS8_4ELb0ES6_15HIP_vector_typeIjLj2EENS0_17counting_iteratorIjlEEPS9_SG_NS0_5tupleIJPjSI_NS0_16reverse_iteratorISI_EEEEENSH_IJSG_SG_SG_EEES9_SI_JZNS1_25segmented_radix_sort_implINS0_14default_configELb0EPK6__halfPSP_PKlPlN2at6native12_GLOBAL__N_18offset_tEEE10hipError_tPvRmT1_PNSt15iterator_traitsIS13_E10value_typeET2_T3_PNS14_IS19_E10value_typeET4_jRbjT5_S1F_jjP12ihipStream_tbEUljE_ZNSN_ISO_Lb0ESR_SS_SU_SV_SZ_EES10_S11_S12_S13_S17_S18_S19_S1C_S1D_jS1E_jS1F_S1F_jjS1H_bEUljE0_EEES10_S11_S12_S19_S1D_S1F_T6_T7_T9_mT8_S1H_bDpT10_ENKUlT_T0_E_clISt17integral_constantIbLb1EES1V_EEDaS1Q_S1R_EUlS1Q_E_NS1_11comp_targetILNS1_3genE0ELNS1_11target_archE4294967295ELNS1_3gpuE0ELNS1_3repE0EEENS1_30default_config_static_selectorELNS0_4arch9wavefront6targetE0EEEvS13_, .Lfunc_end1786-_ZN7rocprim17ROCPRIM_400000_NS6detail17trampoline_kernelINS0_13select_configILj256ELj13ELNS0_17block_load_methodE3ELS4_3ELS4_3ELNS0_20block_scan_algorithmE0ELj4294967295EEENS1_25partition_config_selectorILNS1_17partition_subalgoE4EjNS0_10empty_typeEbEEZZNS1_14partition_implILS8_4ELb0ES6_15HIP_vector_typeIjLj2EENS0_17counting_iteratorIjlEEPS9_SG_NS0_5tupleIJPjSI_NS0_16reverse_iteratorISI_EEEEENSH_IJSG_SG_SG_EEES9_SI_JZNS1_25segmented_radix_sort_implINS0_14default_configELb0EPK6__halfPSP_PKlPlN2at6native12_GLOBAL__N_18offset_tEEE10hipError_tPvRmT1_PNSt15iterator_traitsIS13_E10value_typeET2_T3_PNS14_IS19_E10value_typeET4_jRbjT5_S1F_jjP12ihipStream_tbEUljE_ZNSN_ISO_Lb0ESR_SS_SU_SV_SZ_EES10_S11_S12_S13_S17_S18_S19_S1C_S1D_jS1E_jS1F_S1F_jjS1H_bEUljE0_EEES10_S11_S12_S19_S1D_S1F_T6_T7_T9_mT8_S1H_bDpT10_ENKUlT_T0_E_clISt17integral_constantIbLb1EES1V_EEDaS1Q_S1R_EUlS1Q_E_NS1_11comp_targetILNS1_3genE0ELNS1_11target_archE4294967295ELNS1_3gpuE0ELNS1_3repE0EEENS1_30default_config_static_selectorELNS0_4arch9wavefront6targetE0EEEvS13_
                                        ; -- End function
	.section	.AMDGPU.csdata,"",@progbits
; Kernel info:
; codeLenInByte = 0
; NumSgprs: 0
; NumVgprs: 0
; ScratchSize: 0
; MemoryBound: 0
; FloatMode: 240
; IeeeMode: 1
; LDSByteSize: 0 bytes/workgroup (compile time only)
; SGPRBlocks: 0
; VGPRBlocks: 0
; NumSGPRsForWavesPerEU: 1
; NumVGPRsForWavesPerEU: 1
; Occupancy: 16
; WaveLimiterHint : 0
; COMPUTE_PGM_RSRC2:SCRATCH_EN: 0
; COMPUTE_PGM_RSRC2:USER_SGPR: 15
; COMPUTE_PGM_RSRC2:TRAP_HANDLER: 0
; COMPUTE_PGM_RSRC2:TGID_X_EN: 1
; COMPUTE_PGM_RSRC2:TGID_Y_EN: 0
; COMPUTE_PGM_RSRC2:TGID_Z_EN: 0
; COMPUTE_PGM_RSRC2:TIDIG_COMP_CNT: 0
	.section	.text._ZN7rocprim17ROCPRIM_400000_NS6detail17trampoline_kernelINS0_13select_configILj256ELj13ELNS0_17block_load_methodE3ELS4_3ELS4_3ELNS0_20block_scan_algorithmE0ELj4294967295EEENS1_25partition_config_selectorILNS1_17partition_subalgoE4EjNS0_10empty_typeEbEEZZNS1_14partition_implILS8_4ELb0ES6_15HIP_vector_typeIjLj2EENS0_17counting_iteratorIjlEEPS9_SG_NS0_5tupleIJPjSI_NS0_16reverse_iteratorISI_EEEEENSH_IJSG_SG_SG_EEES9_SI_JZNS1_25segmented_radix_sort_implINS0_14default_configELb0EPK6__halfPSP_PKlPlN2at6native12_GLOBAL__N_18offset_tEEE10hipError_tPvRmT1_PNSt15iterator_traitsIS13_E10value_typeET2_T3_PNS14_IS19_E10value_typeET4_jRbjT5_S1F_jjP12ihipStream_tbEUljE_ZNSN_ISO_Lb0ESR_SS_SU_SV_SZ_EES10_S11_S12_S13_S17_S18_S19_S1C_S1D_jS1E_jS1F_S1F_jjS1H_bEUljE0_EEES10_S11_S12_S19_S1D_S1F_T6_T7_T9_mT8_S1H_bDpT10_ENKUlT_T0_E_clISt17integral_constantIbLb1EES1V_EEDaS1Q_S1R_EUlS1Q_E_NS1_11comp_targetILNS1_3genE5ELNS1_11target_archE942ELNS1_3gpuE9ELNS1_3repE0EEENS1_30default_config_static_selectorELNS0_4arch9wavefront6targetE0EEEvS13_,"axG",@progbits,_ZN7rocprim17ROCPRIM_400000_NS6detail17trampoline_kernelINS0_13select_configILj256ELj13ELNS0_17block_load_methodE3ELS4_3ELS4_3ELNS0_20block_scan_algorithmE0ELj4294967295EEENS1_25partition_config_selectorILNS1_17partition_subalgoE4EjNS0_10empty_typeEbEEZZNS1_14partition_implILS8_4ELb0ES6_15HIP_vector_typeIjLj2EENS0_17counting_iteratorIjlEEPS9_SG_NS0_5tupleIJPjSI_NS0_16reverse_iteratorISI_EEEEENSH_IJSG_SG_SG_EEES9_SI_JZNS1_25segmented_radix_sort_implINS0_14default_configELb0EPK6__halfPSP_PKlPlN2at6native12_GLOBAL__N_18offset_tEEE10hipError_tPvRmT1_PNSt15iterator_traitsIS13_E10value_typeET2_T3_PNS14_IS19_E10value_typeET4_jRbjT5_S1F_jjP12ihipStream_tbEUljE_ZNSN_ISO_Lb0ESR_SS_SU_SV_SZ_EES10_S11_S12_S13_S17_S18_S19_S1C_S1D_jS1E_jS1F_S1F_jjS1H_bEUljE0_EEES10_S11_S12_S19_S1D_S1F_T6_T7_T9_mT8_S1H_bDpT10_ENKUlT_T0_E_clISt17integral_constantIbLb1EES1V_EEDaS1Q_S1R_EUlS1Q_E_NS1_11comp_targetILNS1_3genE5ELNS1_11target_archE942ELNS1_3gpuE9ELNS1_3repE0EEENS1_30default_config_static_selectorELNS0_4arch9wavefront6targetE0EEEvS13_,comdat
	.globl	_ZN7rocprim17ROCPRIM_400000_NS6detail17trampoline_kernelINS0_13select_configILj256ELj13ELNS0_17block_load_methodE3ELS4_3ELS4_3ELNS0_20block_scan_algorithmE0ELj4294967295EEENS1_25partition_config_selectorILNS1_17partition_subalgoE4EjNS0_10empty_typeEbEEZZNS1_14partition_implILS8_4ELb0ES6_15HIP_vector_typeIjLj2EENS0_17counting_iteratorIjlEEPS9_SG_NS0_5tupleIJPjSI_NS0_16reverse_iteratorISI_EEEEENSH_IJSG_SG_SG_EEES9_SI_JZNS1_25segmented_radix_sort_implINS0_14default_configELb0EPK6__halfPSP_PKlPlN2at6native12_GLOBAL__N_18offset_tEEE10hipError_tPvRmT1_PNSt15iterator_traitsIS13_E10value_typeET2_T3_PNS14_IS19_E10value_typeET4_jRbjT5_S1F_jjP12ihipStream_tbEUljE_ZNSN_ISO_Lb0ESR_SS_SU_SV_SZ_EES10_S11_S12_S13_S17_S18_S19_S1C_S1D_jS1E_jS1F_S1F_jjS1H_bEUljE0_EEES10_S11_S12_S19_S1D_S1F_T6_T7_T9_mT8_S1H_bDpT10_ENKUlT_T0_E_clISt17integral_constantIbLb1EES1V_EEDaS1Q_S1R_EUlS1Q_E_NS1_11comp_targetILNS1_3genE5ELNS1_11target_archE942ELNS1_3gpuE9ELNS1_3repE0EEENS1_30default_config_static_selectorELNS0_4arch9wavefront6targetE0EEEvS13_ ; -- Begin function _ZN7rocprim17ROCPRIM_400000_NS6detail17trampoline_kernelINS0_13select_configILj256ELj13ELNS0_17block_load_methodE3ELS4_3ELS4_3ELNS0_20block_scan_algorithmE0ELj4294967295EEENS1_25partition_config_selectorILNS1_17partition_subalgoE4EjNS0_10empty_typeEbEEZZNS1_14partition_implILS8_4ELb0ES6_15HIP_vector_typeIjLj2EENS0_17counting_iteratorIjlEEPS9_SG_NS0_5tupleIJPjSI_NS0_16reverse_iteratorISI_EEEEENSH_IJSG_SG_SG_EEES9_SI_JZNS1_25segmented_radix_sort_implINS0_14default_configELb0EPK6__halfPSP_PKlPlN2at6native12_GLOBAL__N_18offset_tEEE10hipError_tPvRmT1_PNSt15iterator_traitsIS13_E10value_typeET2_T3_PNS14_IS19_E10value_typeET4_jRbjT5_S1F_jjP12ihipStream_tbEUljE_ZNSN_ISO_Lb0ESR_SS_SU_SV_SZ_EES10_S11_S12_S13_S17_S18_S19_S1C_S1D_jS1E_jS1F_S1F_jjS1H_bEUljE0_EEES10_S11_S12_S19_S1D_S1F_T6_T7_T9_mT8_S1H_bDpT10_ENKUlT_T0_E_clISt17integral_constantIbLb1EES1V_EEDaS1Q_S1R_EUlS1Q_E_NS1_11comp_targetILNS1_3genE5ELNS1_11target_archE942ELNS1_3gpuE9ELNS1_3repE0EEENS1_30default_config_static_selectorELNS0_4arch9wavefront6targetE0EEEvS13_
	.p2align	8
	.type	_ZN7rocprim17ROCPRIM_400000_NS6detail17trampoline_kernelINS0_13select_configILj256ELj13ELNS0_17block_load_methodE3ELS4_3ELS4_3ELNS0_20block_scan_algorithmE0ELj4294967295EEENS1_25partition_config_selectorILNS1_17partition_subalgoE4EjNS0_10empty_typeEbEEZZNS1_14partition_implILS8_4ELb0ES6_15HIP_vector_typeIjLj2EENS0_17counting_iteratorIjlEEPS9_SG_NS0_5tupleIJPjSI_NS0_16reverse_iteratorISI_EEEEENSH_IJSG_SG_SG_EEES9_SI_JZNS1_25segmented_radix_sort_implINS0_14default_configELb0EPK6__halfPSP_PKlPlN2at6native12_GLOBAL__N_18offset_tEEE10hipError_tPvRmT1_PNSt15iterator_traitsIS13_E10value_typeET2_T3_PNS14_IS19_E10value_typeET4_jRbjT5_S1F_jjP12ihipStream_tbEUljE_ZNSN_ISO_Lb0ESR_SS_SU_SV_SZ_EES10_S11_S12_S13_S17_S18_S19_S1C_S1D_jS1E_jS1F_S1F_jjS1H_bEUljE0_EEES10_S11_S12_S19_S1D_S1F_T6_T7_T9_mT8_S1H_bDpT10_ENKUlT_T0_E_clISt17integral_constantIbLb1EES1V_EEDaS1Q_S1R_EUlS1Q_E_NS1_11comp_targetILNS1_3genE5ELNS1_11target_archE942ELNS1_3gpuE9ELNS1_3repE0EEENS1_30default_config_static_selectorELNS0_4arch9wavefront6targetE0EEEvS13_,@function
_ZN7rocprim17ROCPRIM_400000_NS6detail17trampoline_kernelINS0_13select_configILj256ELj13ELNS0_17block_load_methodE3ELS4_3ELS4_3ELNS0_20block_scan_algorithmE0ELj4294967295EEENS1_25partition_config_selectorILNS1_17partition_subalgoE4EjNS0_10empty_typeEbEEZZNS1_14partition_implILS8_4ELb0ES6_15HIP_vector_typeIjLj2EENS0_17counting_iteratorIjlEEPS9_SG_NS0_5tupleIJPjSI_NS0_16reverse_iteratorISI_EEEEENSH_IJSG_SG_SG_EEES9_SI_JZNS1_25segmented_radix_sort_implINS0_14default_configELb0EPK6__halfPSP_PKlPlN2at6native12_GLOBAL__N_18offset_tEEE10hipError_tPvRmT1_PNSt15iterator_traitsIS13_E10value_typeET2_T3_PNS14_IS19_E10value_typeET4_jRbjT5_S1F_jjP12ihipStream_tbEUljE_ZNSN_ISO_Lb0ESR_SS_SU_SV_SZ_EES10_S11_S12_S13_S17_S18_S19_S1C_S1D_jS1E_jS1F_S1F_jjS1H_bEUljE0_EEES10_S11_S12_S19_S1D_S1F_T6_T7_T9_mT8_S1H_bDpT10_ENKUlT_T0_E_clISt17integral_constantIbLb1EES1V_EEDaS1Q_S1R_EUlS1Q_E_NS1_11comp_targetILNS1_3genE5ELNS1_11target_archE942ELNS1_3gpuE9ELNS1_3repE0EEENS1_30default_config_static_selectorELNS0_4arch9wavefront6targetE0EEEvS13_: ; @_ZN7rocprim17ROCPRIM_400000_NS6detail17trampoline_kernelINS0_13select_configILj256ELj13ELNS0_17block_load_methodE3ELS4_3ELS4_3ELNS0_20block_scan_algorithmE0ELj4294967295EEENS1_25partition_config_selectorILNS1_17partition_subalgoE4EjNS0_10empty_typeEbEEZZNS1_14partition_implILS8_4ELb0ES6_15HIP_vector_typeIjLj2EENS0_17counting_iteratorIjlEEPS9_SG_NS0_5tupleIJPjSI_NS0_16reverse_iteratorISI_EEEEENSH_IJSG_SG_SG_EEES9_SI_JZNS1_25segmented_radix_sort_implINS0_14default_configELb0EPK6__halfPSP_PKlPlN2at6native12_GLOBAL__N_18offset_tEEE10hipError_tPvRmT1_PNSt15iterator_traitsIS13_E10value_typeET2_T3_PNS14_IS19_E10value_typeET4_jRbjT5_S1F_jjP12ihipStream_tbEUljE_ZNSN_ISO_Lb0ESR_SS_SU_SV_SZ_EES10_S11_S12_S13_S17_S18_S19_S1C_S1D_jS1E_jS1F_S1F_jjS1H_bEUljE0_EEES10_S11_S12_S19_S1D_S1F_T6_T7_T9_mT8_S1H_bDpT10_ENKUlT_T0_E_clISt17integral_constantIbLb1EES1V_EEDaS1Q_S1R_EUlS1Q_E_NS1_11comp_targetILNS1_3genE5ELNS1_11target_archE942ELNS1_3gpuE9ELNS1_3repE0EEENS1_30default_config_static_selectorELNS0_4arch9wavefront6targetE0EEEvS13_
; %bb.0:
	.section	.rodata,"a",@progbits
	.p2align	6, 0x0
	.amdhsa_kernel _ZN7rocprim17ROCPRIM_400000_NS6detail17trampoline_kernelINS0_13select_configILj256ELj13ELNS0_17block_load_methodE3ELS4_3ELS4_3ELNS0_20block_scan_algorithmE0ELj4294967295EEENS1_25partition_config_selectorILNS1_17partition_subalgoE4EjNS0_10empty_typeEbEEZZNS1_14partition_implILS8_4ELb0ES6_15HIP_vector_typeIjLj2EENS0_17counting_iteratorIjlEEPS9_SG_NS0_5tupleIJPjSI_NS0_16reverse_iteratorISI_EEEEENSH_IJSG_SG_SG_EEES9_SI_JZNS1_25segmented_radix_sort_implINS0_14default_configELb0EPK6__halfPSP_PKlPlN2at6native12_GLOBAL__N_18offset_tEEE10hipError_tPvRmT1_PNSt15iterator_traitsIS13_E10value_typeET2_T3_PNS14_IS19_E10value_typeET4_jRbjT5_S1F_jjP12ihipStream_tbEUljE_ZNSN_ISO_Lb0ESR_SS_SU_SV_SZ_EES10_S11_S12_S13_S17_S18_S19_S1C_S1D_jS1E_jS1F_S1F_jjS1H_bEUljE0_EEES10_S11_S12_S19_S1D_S1F_T6_T7_T9_mT8_S1H_bDpT10_ENKUlT_T0_E_clISt17integral_constantIbLb1EES1V_EEDaS1Q_S1R_EUlS1Q_E_NS1_11comp_targetILNS1_3genE5ELNS1_11target_archE942ELNS1_3gpuE9ELNS1_3repE0EEENS1_30default_config_static_selectorELNS0_4arch9wavefront6targetE0EEEvS13_
		.amdhsa_group_segment_fixed_size 0
		.amdhsa_private_segment_fixed_size 0
		.amdhsa_kernarg_size 184
		.amdhsa_user_sgpr_count 15
		.amdhsa_user_sgpr_dispatch_ptr 0
		.amdhsa_user_sgpr_queue_ptr 0
		.amdhsa_user_sgpr_kernarg_segment_ptr 1
		.amdhsa_user_sgpr_dispatch_id 0
		.amdhsa_user_sgpr_private_segment_size 0
		.amdhsa_wavefront_size32 1
		.amdhsa_uses_dynamic_stack 0
		.amdhsa_enable_private_segment 0
		.amdhsa_system_sgpr_workgroup_id_x 1
		.amdhsa_system_sgpr_workgroup_id_y 0
		.amdhsa_system_sgpr_workgroup_id_z 0
		.amdhsa_system_sgpr_workgroup_info 0
		.amdhsa_system_vgpr_workitem_id 0
		.amdhsa_next_free_vgpr 1
		.amdhsa_next_free_sgpr 1
		.amdhsa_reserve_vcc 0
		.amdhsa_float_round_mode_32 0
		.amdhsa_float_round_mode_16_64 0
		.amdhsa_float_denorm_mode_32 3
		.amdhsa_float_denorm_mode_16_64 3
		.amdhsa_dx10_clamp 1
		.amdhsa_ieee_mode 1
		.amdhsa_fp16_overflow 0
		.amdhsa_workgroup_processor_mode 1
		.amdhsa_memory_ordered 1
		.amdhsa_forward_progress 0
		.amdhsa_shared_vgpr_count 0
		.amdhsa_exception_fp_ieee_invalid_op 0
		.amdhsa_exception_fp_denorm_src 0
		.amdhsa_exception_fp_ieee_div_zero 0
		.amdhsa_exception_fp_ieee_overflow 0
		.amdhsa_exception_fp_ieee_underflow 0
		.amdhsa_exception_fp_ieee_inexact 0
		.amdhsa_exception_int_div_zero 0
	.end_amdhsa_kernel
	.section	.text._ZN7rocprim17ROCPRIM_400000_NS6detail17trampoline_kernelINS0_13select_configILj256ELj13ELNS0_17block_load_methodE3ELS4_3ELS4_3ELNS0_20block_scan_algorithmE0ELj4294967295EEENS1_25partition_config_selectorILNS1_17partition_subalgoE4EjNS0_10empty_typeEbEEZZNS1_14partition_implILS8_4ELb0ES6_15HIP_vector_typeIjLj2EENS0_17counting_iteratorIjlEEPS9_SG_NS0_5tupleIJPjSI_NS0_16reverse_iteratorISI_EEEEENSH_IJSG_SG_SG_EEES9_SI_JZNS1_25segmented_radix_sort_implINS0_14default_configELb0EPK6__halfPSP_PKlPlN2at6native12_GLOBAL__N_18offset_tEEE10hipError_tPvRmT1_PNSt15iterator_traitsIS13_E10value_typeET2_T3_PNS14_IS19_E10value_typeET4_jRbjT5_S1F_jjP12ihipStream_tbEUljE_ZNSN_ISO_Lb0ESR_SS_SU_SV_SZ_EES10_S11_S12_S13_S17_S18_S19_S1C_S1D_jS1E_jS1F_S1F_jjS1H_bEUljE0_EEES10_S11_S12_S19_S1D_S1F_T6_T7_T9_mT8_S1H_bDpT10_ENKUlT_T0_E_clISt17integral_constantIbLb1EES1V_EEDaS1Q_S1R_EUlS1Q_E_NS1_11comp_targetILNS1_3genE5ELNS1_11target_archE942ELNS1_3gpuE9ELNS1_3repE0EEENS1_30default_config_static_selectorELNS0_4arch9wavefront6targetE0EEEvS13_,"axG",@progbits,_ZN7rocprim17ROCPRIM_400000_NS6detail17trampoline_kernelINS0_13select_configILj256ELj13ELNS0_17block_load_methodE3ELS4_3ELS4_3ELNS0_20block_scan_algorithmE0ELj4294967295EEENS1_25partition_config_selectorILNS1_17partition_subalgoE4EjNS0_10empty_typeEbEEZZNS1_14partition_implILS8_4ELb0ES6_15HIP_vector_typeIjLj2EENS0_17counting_iteratorIjlEEPS9_SG_NS0_5tupleIJPjSI_NS0_16reverse_iteratorISI_EEEEENSH_IJSG_SG_SG_EEES9_SI_JZNS1_25segmented_radix_sort_implINS0_14default_configELb0EPK6__halfPSP_PKlPlN2at6native12_GLOBAL__N_18offset_tEEE10hipError_tPvRmT1_PNSt15iterator_traitsIS13_E10value_typeET2_T3_PNS14_IS19_E10value_typeET4_jRbjT5_S1F_jjP12ihipStream_tbEUljE_ZNSN_ISO_Lb0ESR_SS_SU_SV_SZ_EES10_S11_S12_S13_S17_S18_S19_S1C_S1D_jS1E_jS1F_S1F_jjS1H_bEUljE0_EEES10_S11_S12_S19_S1D_S1F_T6_T7_T9_mT8_S1H_bDpT10_ENKUlT_T0_E_clISt17integral_constantIbLb1EES1V_EEDaS1Q_S1R_EUlS1Q_E_NS1_11comp_targetILNS1_3genE5ELNS1_11target_archE942ELNS1_3gpuE9ELNS1_3repE0EEENS1_30default_config_static_selectorELNS0_4arch9wavefront6targetE0EEEvS13_,comdat
.Lfunc_end1787:
	.size	_ZN7rocprim17ROCPRIM_400000_NS6detail17trampoline_kernelINS0_13select_configILj256ELj13ELNS0_17block_load_methodE3ELS4_3ELS4_3ELNS0_20block_scan_algorithmE0ELj4294967295EEENS1_25partition_config_selectorILNS1_17partition_subalgoE4EjNS0_10empty_typeEbEEZZNS1_14partition_implILS8_4ELb0ES6_15HIP_vector_typeIjLj2EENS0_17counting_iteratorIjlEEPS9_SG_NS0_5tupleIJPjSI_NS0_16reverse_iteratorISI_EEEEENSH_IJSG_SG_SG_EEES9_SI_JZNS1_25segmented_radix_sort_implINS0_14default_configELb0EPK6__halfPSP_PKlPlN2at6native12_GLOBAL__N_18offset_tEEE10hipError_tPvRmT1_PNSt15iterator_traitsIS13_E10value_typeET2_T3_PNS14_IS19_E10value_typeET4_jRbjT5_S1F_jjP12ihipStream_tbEUljE_ZNSN_ISO_Lb0ESR_SS_SU_SV_SZ_EES10_S11_S12_S13_S17_S18_S19_S1C_S1D_jS1E_jS1F_S1F_jjS1H_bEUljE0_EEES10_S11_S12_S19_S1D_S1F_T6_T7_T9_mT8_S1H_bDpT10_ENKUlT_T0_E_clISt17integral_constantIbLb1EES1V_EEDaS1Q_S1R_EUlS1Q_E_NS1_11comp_targetILNS1_3genE5ELNS1_11target_archE942ELNS1_3gpuE9ELNS1_3repE0EEENS1_30default_config_static_selectorELNS0_4arch9wavefront6targetE0EEEvS13_, .Lfunc_end1787-_ZN7rocprim17ROCPRIM_400000_NS6detail17trampoline_kernelINS0_13select_configILj256ELj13ELNS0_17block_load_methodE3ELS4_3ELS4_3ELNS0_20block_scan_algorithmE0ELj4294967295EEENS1_25partition_config_selectorILNS1_17partition_subalgoE4EjNS0_10empty_typeEbEEZZNS1_14partition_implILS8_4ELb0ES6_15HIP_vector_typeIjLj2EENS0_17counting_iteratorIjlEEPS9_SG_NS0_5tupleIJPjSI_NS0_16reverse_iteratorISI_EEEEENSH_IJSG_SG_SG_EEES9_SI_JZNS1_25segmented_radix_sort_implINS0_14default_configELb0EPK6__halfPSP_PKlPlN2at6native12_GLOBAL__N_18offset_tEEE10hipError_tPvRmT1_PNSt15iterator_traitsIS13_E10value_typeET2_T3_PNS14_IS19_E10value_typeET4_jRbjT5_S1F_jjP12ihipStream_tbEUljE_ZNSN_ISO_Lb0ESR_SS_SU_SV_SZ_EES10_S11_S12_S13_S17_S18_S19_S1C_S1D_jS1E_jS1F_S1F_jjS1H_bEUljE0_EEES10_S11_S12_S19_S1D_S1F_T6_T7_T9_mT8_S1H_bDpT10_ENKUlT_T0_E_clISt17integral_constantIbLb1EES1V_EEDaS1Q_S1R_EUlS1Q_E_NS1_11comp_targetILNS1_3genE5ELNS1_11target_archE942ELNS1_3gpuE9ELNS1_3repE0EEENS1_30default_config_static_selectorELNS0_4arch9wavefront6targetE0EEEvS13_
                                        ; -- End function
	.section	.AMDGPU.csdata,"",@progbits
; Kernel info:
; codeLenInByte = 0
; NumSgprs: 0
; NumVgprs: 0
; ScratchSize: 0
; MemoryBound: 0
; FloatMode: 240
; IeeeMode: 1
; LDSByteSize: 0 bytes/workgroup (compile time only)
; SGPRBlocks: 0
; VGPRBlocks: 0
; NumSGPRsForWavesPerEU: 1
; NumVGPRsForWavesPerEU: 1
; Occupancy: 16
; WaveLimiterHint : 0
; COMPUTE_PGM_RSRC2:SCRATCH_EN: 0
; COMPUTE_PGM_RSRC2:USER_SGPR: 15
; COMPUTE_PGM_RSRC2:TRAP_HANDLER: 0
; COMPUTE_PGM_RSRC2:TGID_X_EN: 1
; COMPUTE_PGM_RSRC2:TGID_Y_EN: 0
; COMPUTE_PGM_RSRC2:TGID_Z_EN: 0
; COMPUTE_PGM_RSRC2:TIDIG_COMP_CNT: 0
	.section	.text._ZN7rocprim17ROCPRIM_400000_NS6detail17trampoline_kernelINS0_13select_configILj256ELj13ELNS0_17block_load_methodE3ELS4_3ELS4_3ELNS0_20block_scan_algorithmE0ELj4294967295EEENS1_25partition_config_selectorILNS1_17partition_subalgoE4EjNS0_10empty_typeEbEEZZNS1_14partition_implILS8_4ELb0ES6_15HIP_vector_typeIjLj2EENS0_17counting_iteratorIjlEEPS9_SG_NS0_5tupleIJPjSI_NS0_16reverse_iteratorISI_EEEEENSH_IJSG_SG_SG_EEES9_SI_JZNS1_25segmented_radix_sort_implINS0_14default_configELb0EPK6__halfPSP_PKlPlN2at6native12_GLOBAL__N_18offset_tEEE10hipError_tPvRmT1_PNSt15iterator_traitsIS13_E10value_typeET2_T3_PNS14_IS19_E10value_typeET4_jRbjT5_S1F_jjP12ihipStream_tbEUljE_ZNSN_ISO_Lb0ESR_SS_SU_SV_SZ_EES10_S11_S12_S13_S17_S18_S19_S1C_S1D_jS1E_jS1F_S1F_jjS1H_bEUljE0_EEES10_S11_S12_S19_S1D_S1F_T6_T7_T9_mT8_S1H_bDpT10_ENKUlT_T0_E_clISt17integral_constantIbLb1EES1V_EEDaS1Q_S1R_EUlS1Q_E_NS1_11comp_targetILNS1_3genE4ELNS1_11target_archE910ELNS1_3gpuE8ELNS1_3repE0EEENS1_30default_config_static_selectorELNS0_4arch9wavefront6targetE0EEEvS13_,"axG",@progbits,_ZN7rocprim17ROCPRIM_400000_NS6detail17trampoline_kernelINS0_13select_configILj256ELj13ELNS0_17block_load_methodE3ELS4_3ELS4_3ELNS0_20block_scan_algorithmE0ELj4294967295EEENS1_25partition_config_selectorILNS1_17partition_subalgoE4EjNS0_10empty_typeEbEEZZNS1_14partition_implILS8_4ELb0ES6_15HIP_vector_typeIjLj2EENS0_17counting_iteratorIjlEEPS9_SG_NS0_5tupleIJPjSI_NS0_16reverse_iteratorISI_EEEEENSH_IJSG_SG_SG_EEES9_SI_JZNS1_25segmented_radix_sort_implINS0_14default_configELb0EPK6__halfPSP_PKlPlN2at6native12_GLOBAL__N_18offset_tEEE10hipError_tPvRmT1_PNSt15iterator_traitsIS13_E10value_typeET2_T3_PNS14_IS19_E10value_typeET4_jRbjT5_S1F_jjP12ihipStream_tbEUljE_ZNSN_ISO_Lb0ESR_SS_SU_SV_SZ_EES10_S11_S12_S13_S17_S18_S19_S1C_S1D_jS1E_jS1F_S1F_jjS1H_bEUljE0_EEES10_S11_S12_S19_S1D_S1F_T6_T7_T9_mT8_S1H_bDpT10_ENKUlT_T0_E_clISt17integral_constantIbLb1EES1V_EEDaS1Q_S1R_EUlS1Q_E_NS1_11comp_targetILNS1_3genE4ELNS1_11target_archE910ELNS1_3gpuE8ELNS1_3repE0EEENS1_30default_config_static_selectorELNS0_4arch9wavefront6targetE0EEEvS13_,comdat
	.globl	_ZN7rocprim17ROCPRIM_400000_NS6detail17trampoline_kernelINS0_13select_configILj256ELj13ELNS0_17block_load_methodE3ELS4_3ELS4_3ELNS0_20block_scan_algorithmE0ELj4294967295EEENS1_25partition_config_selectorILNS1_17partition_subalgoE4EjNS0_10empty_typeEbEEZZNS1_14partition_implILS8_4ELb0ES6_15HIP_vector_typeIjLj2EENS0_17counting_iteratorIjlEEPS9_SG_NS0_5tupleIJPjSI_NS0_16reverse_iteratorISI_EEEEENSH_IJSG_SG_SG_EEES9_SI_JZNS1_25segmented_radix_sort_implINS0_14default_configELb0EPK6__halfPSP_PKlPlN2at6native12_GLOBAL__N_18offset_tEEE10hipError_tPvRmT1_PNSt15iterator_traitsIS13_E10value_typeET2_T3_PNS14_IS19_E10value_typeET4_jRbjT5_S1F_jjP12ihipStream_tbEUljE_ZNSN_ISO_Lb0ESR_SS_SU_SV_SZ_EES10_S11_S12_S13_S17_S18_S19_S1C_S1D_jS1E_jS1F_S1F_jjS1H_bEUljE0_EEES10_S11_S12_S19_S1D_S1F_T6_T7_T9_mT8_S1H_bDpT10_ENKUlT_T0_E_clISt17integral_constantIbLb1EES1V_EEDaS1Q_S1R_EUlS1Q_E_NS1_11comp_targetILNS1_3genE4ELNS1_11target_archE910ELNS1_3gpuE8ELNS1_3repE0EEENS1_30default_config_static_selectorELNS0_4arch9wavefront6targetE0EEEvS13_ ; -- Begin function _ZN7rocprim17ROCPRIM_400000_NS6detail17trampoline_kernelINS0_13select_configILj256ELj13ELNS0_17block_load_methodE3ELS4_3ELS4_3ELNS0_20block_scan_algorithmE0ELj4294967295EEENS1_25partition_config_selectorILNS1_17partition_subalgoE4EjNS0_10empty_typeEbEEZZNS1_14partition_implILS8_4ELb0ES6_15HIP_vector_typeIjLj2EENS0_17counting_iteratorIjlEEPS9_SG_NS0_5tupleIJPjSI_NS0_16reverse_iteratorISI_EEEEENSH_IJSG_SG_SG_EEES9_SI_JZNS1_25segmented_radix_sort_implINS0_14default_configELb0EPK6__halfPSP_PKlPlN2at6native12_GLOBAL__N_18offset_tEEE10hipError_tPvRmT1_PNSt15iterator_traitsIS13_E10value_typeET2_T3_PNS14_IS19_E10value_typeET4_jRbjT5_S1F_jjP12ihipStream_tbEUljE_ZNSN_ISO_Lb0ESR_SS_SU_SV_SZ_EES10_S11_S12_S13_S17_S18_S19_S1C_S1D_jS1E_jS1F_S1F_jjS1H_bEUljE0_EEES10_S11_S12_S19_S1D_S1F_T6_T7_T9_mT8_S1H_bDpT10_ENKUlT_T0_E_clISt17integral_constantIbLb1EES1V_EEDaS1Q_S1R_EUlS1Q_E_NS1_11comp_targetILNS1_3genE4ELNS1_11target_archE910ELNS1_3gpuE8ELNS1_3repE0EEENS1_30default_config_static_selectorELNS0_4arch9wavefront6targetE0EEEvS13_
	.p2align	8
	.type	_ZN7rocprim17ROCPRIM_400000_NS6detail17trampoline_kernelINS0_13select_configILj256ELj13ELNS0_17block_load_methodE3ELS4_3ELS4_3ELNS0_20block_scan_algorithmE0ELj4294967295EEENS1_25partition_config_selectorILNS1_17partition_subalgoE4EjNS0_10empty_typeEbEEZZNS1_14partition_implILS8_4ELb0ES6_15HIP_vector_typeIjLj2EENS0_17counting_iteratorIjlEEPS9_SG_NS0_5tupleIJPjSI_NS0_16reverse_iteratorISI_EEEEENSH_IJSG_SG_SG_EEES9_SI_JZNS1_25segmented_radix_sort_implINS0_14default_configELb0EPK6__halfPSP_PKlPlN2at6native12_GLOBAL__N_18offset_tEEE10hipError_tPvRmT1_PNSt15iterator_traitsIS13_E10value_typeET2_T3_PNS14_IS19_E10value_typeET4_jRbjT5_S1F_jjP12ihipStream_tbEUljE_ZNSN_ISO_Lb0ESR_SS_SU_SV_SZ_EES10_S11_S12_S13_S17_S18_S19_S1C_S1D_jS1E_jS1F_S1F_jjS1H_bEUljE0_EEES10_S11_S12_S19_S1D_S1F_T6_T7_T9_mT8_S1H_bDpT10_ENKUlT_T0_E_clISt17integral_constantIbLb1EES1V_EEDaS1Q_S1R_EUlS1Q_E_NS1_11comp_targetILNS1_3genE4ELNS1_11target_archE910ELNS1_3gpuE8ELNS1_3repE0EEENS1_30default_config_static_selectorELNS0_4arch9wavefront6targetE0EEEvS13_,@function
_ZN7rocprim17ROCPRIM_400000_NS6detail17trampoline_kernelINS0_13select_configILj256ELj13ELNS0_17block_load_methodE3ELS4_3ELS4_3ELNS0_20block_scan_algorithmE0ELj4294967295EEENS1_25partition_config_selectorILNS1_17partition_subalgoE4EjNS0_10empty_typeEbEEZZNS1_14partition_implILS8_4ELb0ES6_15HIP_vector_typeIjLj2EENS0_17counting_iteratorIjlEEPS9_SG_NS0_5tupleIJPjSI_NS0_16reverse_iteratorISI_EEEEENSH_IJSG_SG_SG_EEES9_SI_JZNS1_25segmented_radix_sort_implINS0_14default_configELb0EPK6__halfPSP_PKlPlN2at6native12_GLOBAL__N_18offset_tEEE10hipError_tPvRmT1_PNSt15iterator_traitsIS13_E10value_typeET2_T3_PNS14_IS19_E10value_typeET4_jRbjT5_S1F_jjP12ihipStream_tbEUljE_ZNSN_ISO_Lb0ESR_SS_SU_SV_SZ_EES10_S11_S12_S13_S17_S18_S19_S1C_S1D_jS1E_jS1F_S1F_jjS1H_bEUljE0_EEES10_S11_S12_S19_S1D_S1F_T6_T7_T9_mT8_S1H_bDpT10_ENKUlT_T0_E_clISt17integral_constantIbLb1EES1V_EEDaS1Q_S1R_EUlS1Q_E_NS1_11comp_targetILNS1_3genE4ELNS1_11target_archE910ELNS1_3gpuE8ELNS1_3repE0EEENS1_30default_config_static_selectorELNS0_4arch9wavefront6targetE0EEEvS13_: ; @_ZN7rocprim17ROCPRIM_400000_NS6detail17trampoline_kernelINS0_13select_configILj256ELj13ELNS0_17block_load_methodE3ELS4_3ELS4_3ELNS0_20block_scan_algorithmE0ELj4294967295EEENS1_25partition_config_selectorILNS1_17partition_subalgoE4EjNS0_10empty_typeEbEEZZNS1_14partition_implILS8_4ELb0ES6_15HIP_vector_typeIjLj2EENS0_17counting_iteratorIjlEEPS9_SG_NS0_5tupleIJPjSI_NS0_16reverse_iteratorISI_EEEEENSH_IJSG_SG_SG_EEES9_SI_JZNS1_25segmented_radix_sort_implINS0_14default_configELb0EPK6__halfPSP_PKlPlN2at6native12_GLOBAL__N_18offset_tEEE10hipError_tPvRmT1_PNSt15iterator_traitsIS13_E10value_typeET2_T3_PNS14_IS19_E10value_typeET4_jRbjT5_S1F_jjP12ihipStream_tbEUljE_ZNSN_ISO_Lb0ESR_SS_SU_SV_SZ_EES10_S11_S12_S13_S17_S18_S19_S1C_S1D_jS1E_jS1F_S1F_jjS1H_bEUljE0_EEES10_S11_S12_S19_S1D_S1F_T6_T7_T9_mT8_S1H_bDpT10_ENKUlT_T0_E_clISt17integral_constantIbLb1EES1V_EEDaS1Q_S1R_EUlS1Q_E_NS1_11comp_targetILNS1_3genE4ELNS1_11target_archE910ELNS1_3gpuE8ELNS1_3repE0EEENS1_30default_config_static_selectorELNS0_4arch9wavefront6targetE0EEEvS13_
; %bb.0:
	.section	.rodata,"a",@progbits
	.p2align	6, 0x0
	.amdhsa_kernel _ZN7rocprim17ROCPRIM_400000_NS6detail17trampoline_kernelINS0_13select_configILj256ELj13ELNS0_17block_load_methodE3ELS4_3ELS4_3ELNS0_20block_scan_algorithmE0ELj4294967295EEENS1_25partition_config_selectorILNS1_17partition_subalgoE4EjNS0_10empty_typeEbEEZZNS1_14partition_implILS8_4ELb0ES6_15HIP_vector_typeIjLj2EENS0_17counting_iteratorIjlEEPS9_SG_NS0_5tupleIJPjSI_NS0_16reverse_iteratorISI_EEEEENSH_IJSG_SG_SG_EEES9_SI_JZNS1_25segmented_radix_sort_implINS0_14default_configELb0EPK6__halfPSP_PKlPlN2at6native12_GLOBAL__N_18offset_tEEE10hipError_tPvRmT1_PNSt15iterator_traitsIS13_E10value_typeET2_T3_PNS14_IS19_E10value_typeET4_jRbjT5_S1F_jjP12ihipStream_tbEUljE_ZNSN_ISO_Lb0ESR_SS_SU_SV_SZ_EES10_S11_S12_S13_S17_S18_S19_S1C_S1D_jS1E_jS1F_S1F_jjS1H_bEUljE0_EEES10_S11_S12_S19_S1D_S1F_T6_T7_T9_mT8_S1H_bDpT10_ENKUlT_T0_E_clISt17integral_constantIbLb1EES1V_EEDaS1Q_S1R_EUlS1Q_E_NS1_11comp_targetILNS1_3genE4ELNS1_11target_archE910ELNS1_3gpuE8ELNS1_3repE0EEENS1_30default_config_static_selectorELNS0_4arch9wavefront6targetE0EEEvS13_
		.amdhsa_group_segment_fixed_size 0
		.amdhsa_private_segment_fixed_size 0
		.amdhsa_kernarg_size 184
		.amdhsa_user_sgpr_count 15
		.amdhsa_user_sgpr_dispatch_ptr 0
		.amdhsa_user_sgpr_queue_ptr 0
		.amdhsa_user_sgpr_kernarg_segment_ptr 1
		.amdhsa_user_sgpr_dispatch_id 0
		.amdhsa_user_sgpr_private_segment_size 0
		.amdhsa_wavefront_size32 1
		.amdhsa_uses_dynamic_stack 0
		.amdhsa_enable_private_segment 0
		.amdhsa_system_sgpr_workgroup_id_x 1
		.amdhsa_system_sgpr_workgroup_id_y 0
		.amdhsa_system_sgpr_workgroup_id_z 0
		.amdhsa_system_sgpr_workgroup_info 0
		.amdhsa_system_vgpr_workitem_id 0
		.amdhsa_next_free_vgpr 1
		.amdhsa_next_free_sgpr 1
		.amdhsa_reserve_vcc 0
		.amdhsa_float_round_mode_32 0
		.amdhsa_float_round_mode_16_64 0
		.amdhsa_float_denorm_mode_32 3
		.amdhsa_float_denorm_mode_16_64 3
		.amdhsa_dx10_clamp 1
		.amdhsa_ieee_mode 1
		.amdhsa_fp16_overflow 0
		.amdhsa_workgroup_processor_mode 1
		.amdhsa_memory_ordered 1
		.amdhsa_forward_progress 0
		.amdhsa_shared_vgpr_count 0
		.amdhsa_exception_fp_ieee_invalid_op 0
		.amdhsa_exception_fp_denorm_src 0
		.amdhsa_exception_fp_ieee_div_zero 0
		.amdhsa_exception_fp_ieee_overflow 0
		.amdhsa_exception_fp_ieee_underflow 0
		.amdhsa_exception_fp_ieee_inexact 0
		.amdhsa_exception_int_div_zero 0
	.end_amdhsa_kernel
	.section	.text._ZN7rocprim17ROCPRIM_400000_NS6detail17trampoline_kernelINS0_13select_configILj256ELj13ELNS0_17block_load_methodE3ELS4_3ELS4_3ELNS0_20block_scan_algorithmE0ELj4294967295EEENS1_25partition_config_selectorILNS1_17partition_subalgoE4EjNS0_10empty_typeEbEEZZNS1_14partition_implILS8_4ELb0ES6_15HIP_vector_typeIjLj2EENS0_17counting_iteratorIjlEEPS9_SG_NS0_5tupleIJPjSI_NS0_16reverse_iteratorISI_EEEEENSH_IJSG_SG_SG_EEES9_SI_JZNS1_25segmented_radix_sort_implINS0_14default_configELb0EPK6__halfPSP_PKlPlN2at6native12_GLOBAL__N_18offset_tEEE10hipError_tPvRmT1_PNSt15iterator_traitsIS13_E10value_typeET2_T3_PNS14_IS19_E10value_typeET4_jRbjT5_S1F_jjP12ihipStream_tbEUljE_ZNSN_ISO_Lb0ESR_SS_SU_SV_SZ_EES10_S11_S12_S13_S17_S18_S19_S1C_S1D_jS1E_jS1F_S1F_jjS1H_bEUljE0_EEES10_S11_S12_S19_S1D_S1F_T6_T7_T9_mT8_S1H_bDpT10_ENKUlT_T0_E_clISt17integral_constantIbLb1EES1V_EEDaS1Q_S1R_EUlS1Q_E_NS1_11comp_targetILNS1_3genE4ELNS1_11target_archE910ELNS1_3gpuE8ELNS1_3repE0EEENS1_30default_config_static_selectorELNS0_4arch9wavefront6targetE0EEEvS13_,"axG",@progbits,_ZN7rocprim17ROCPRIM_400000_NS6detail17trampoline_kernelINS0_13select_configILj256ELj13ELNS0_17block_load_methodE3ELS4_3ELS4_3ELNS0_20block_scan_algorithmE0ELj4294967295EEENS1_25partition_config_selectorILNS1_17partition_subalgoE4EjNS0_10empty_typeEbEEZZNS1_14partition_implILS8_4ELb0ES6_15HIP_vector_typeIjLj2EENS0_17counting_iteratorIjlEEPS9_SG_NS0_5tupleIJPjSI_NS0_16reverse_iteratorISI_EEEEENSH_IJSG_SG_SG_EEES9_SI_JZNS1_25segmented_radix_sort_implINS0_14default_configELb0EPK6__halfPSP_PKlPlN2at6native12_GLOBAL__N_18offset_tEEE10hipError_tPvRmT1_PNSt15iterator_traitsIS13_E10value_typeET2_T3_PNS14_IS19_E10value_typeET4_jRbjT5_S1F_jjP12ihipStream_tbEUljE_ZNSN_ISO_Lb0ESR_SS_SU_SV_SZ_EES10_S11_S12_S13_S17_S18_S19_S1C_S1D_jS1E_jS1F_S1F_jjS1H_bEUljE0_EEES10_S11_S12_S19_S1D_S1F_T6_T7_T9_mT8_S1H_bDpT10_ENKUlT_T0_E_clISt17integral_constantIbLb1EES1V_EEDaS1Q_S1R_EUlS1Q_E_NS1_11comp_targetILNS1_3genE4ELNS1_11target_archE910ELNS1_3gpuE8ELNS1_3repE0EEENS1_30default_config_static_selectorELNS0_4arch9wavefront6targetE0EEEvS13_,comdat
.Lfunc_end1788:
	.size	_ZN7rocprim17ROCPRIM_400000_NS6detail17trampoline_kernelINS0_13select_configILj256ELj13ELNS0_17block_load_methodE3ELS4_3ELS4_3ELNS0_20block_scan_algorithmE0ELj4294967295EEENS1_25partition_config_selectorILNS1_17partition_subalgoE4EjNS0_10empty_typeEbEEZZNS1_14partition_implILS8_4ELb0ES6_15HIP_vector_typeIjLj2EENS0_17counting_iteratorIjlEEPS9_SG_NS0_5tupleIJPjSI_NS0_16reverse_iteratorISI_EEEEENSH_IJSG_SG_SG_EEES9_SI_JZNS1_25segmented_radix_sort_implINS0_14default_configELb0EPK6__halfPSP_PKlPlN2at6native12_GLOBAL__N_18offset_tEEE10hipError_tPvRmT1_PNSt15iterator_traitsIS13_E10value_typeET2_T3_PNS14_IS19_E10value_typeET4_jRbjT5_S1F_jjP12ihipStream_tbEUljE_ZNSN_ISO_Lb0ESR_SS_SU_SV_SZ_EES10_S11_S12_S13_S17_S18_S19_S1C_S1D_jS1E_jS1F_S1F_jjS1H_bEUljE0_EEES10_S11_S12_S19_S1D_S1F_T6_T7_T9_mT8_S1H_bDpT10_ENKUlT_T0_E_clISt17integral_constantIbLb1EES1V_EEDaS1Q_S1R_EUlS1Q_E_NS1_11comp_targetILNS1_3genE4ELNS1_11target_archE910ELNS1_3gpuE8ELNS1_3repE0EEENS1_30default_config_static_selectorELNS0_4arch9wavefront6targetE0EEEvS13_, .Lfunc_end1788-_ZN7rocprim17ROCPRIM_400000_NS6detail17trampoline_kernelINS0_13select_configILj256ELj13ELNS0_17block_load_methodE3ELS4_3ELS4_3ELNS0_20block_scan_algorithmE0ELj4294967295EEENS1_25partition_config_selectorILNS1_17partition_subalgoE4EjNS0_10empty_typeEbEEZZNS1_14partition_implILS8_4ELb0ES6_15HIP_vector_typeIjLj2EENS0_17counting_iteratorIjlEEPS9_SG_NS0_5tupleIJPjSI_NS0_16reverse_iteratorISI_EEEEENSH_IJSG_SG_SG_EEES9_SI_JZNS1_25segmented_radix_sort_implINS0_14default_configELb0EPK6__halfPSP_PKlPlN2at6native12_GLOBAL__N_18offset_tEEE10hipError_tPvRmT1_PNSt15iterator_traitsIS13_E10value_typeET2_T3_PNS14_IS19_E10value_typeET4_jRbjT5_S1F_jjP12ihipStream_tbEUljE_ZNSN_ISO_Lb0ESR_SS_SU_SV_SZ_EES10_S11_S12_S13_S17_S18_S19_S1C_S1D_jS1E_jS1F_S1F_jjS1H_bEUljE0_EEES10_S11_S12_S19_S1D_S1F_T6_T7_T9_mT8_S1H_bDpT10_ENKUlT_T0_E_clISt17integral_constantIbLb1EES1V_EEDaS1Q_S1R_EUlS1Q_E_NS1_11comp_targetILNS1_3genE4ELNS1_11target_archE910ELNS1_3gpuE8ELNS1_3repE0EEENS1_30default_config_static_selectorELNS0_4arch9wavefront6targetE0EEEvS13_
                                        ; -- End function
	.section	.AMDGPU.csdata,"",@progbits
; Kernel info:
; codeLenInByte = 0
; NumSgprs: 0
; NumVgprs: 0
; ScratchSize: 0
; MemoryBound: 0
; FloatMode: 240
; IeeeMode: 1
; LDSByteSize: 0 bytes/workgroup (compile time only)
; SGPRBlocks: 0
; VGPRBlocks: 0
; NumSGPRsForWavesPerEU: 1
; NumVGPRsForWavesPerEU: 1
; Occupancy: 16
; WaveLimiterHint : 0
; COMPUTE_PGM_RSRC2:SCRATCH_EN: 0
; COMPUTE_PGM_RSRC2:USER_SGPR: 15
; COMPUTE_PGM_RSRC2:TRAP_HANDLER: 0
; COMPUTE_PGM_RSRC2:TGID_X_EN: 1
; COMPUTE_PGM_RSRC2:TGID_Y_EN: 0
; COMPUTE_PGM_RSRC2:TGID_Z_EN: 0
; COMPUTE_PGM_RSRC2:TIDIG_COMP_CNT: 0
	.section	.text._ZN7rocprim17ROCPRIM_400000_NS6detail17trampoline_kernelINS0_13select_configILj256ELj13ELNS0_17block_load_methodE3ELS4_3ELS4_3ELNS0_20block_scan_algorithmE0ELj4294967295EEENS1_25partition_config_selectorILNS1_17partition_subalgoE4EjNS0_10empty_typeEbEEZZNS1_14partition_implILS8_4ELb0ES6_15HIP_vector_typeIjLj2EENS0_17counting_iteratorIjlEEPS9_SG_NS0_5tupleIJPjSI_NS0_16reverse_iteratorISI_EEEEENSH_IJSG_SG_SG_EEES9_SI_JZNS1_25segmented_radix_sort_implINS0_14default_configELb0EPK6__halfPSP_PKlPlN2at6native12_GLOBAL__N_18offset_tEEE10hipError_tPvRmT1_PNSt15iterator_traitsIS13_E10value_typeET2_T3_PNS14_IS19_E10value_typeET4_jRbjT5_S1F_jjP12ihipStream_tbEUljE_ZNSN_ISO_Lb0ESR_SS_SU_SV_SZ_EES10_S11_S12_S13_S17_S18_S19_S1C_S1D_jS1E_jS1F_S1F_jjS1H_bEUljE0_EEES10_S11_S12_S19_S1D_S1F_T6_T7_T9_mT8_S1H_bDpT10_ENKUlT_T0_E_clISt17integral_constantIbLb1EES1V_EEDaS1Q_S1R_EUlS1Q_E_NS1_11comp_targetILNS1_3genE3ELNS1_11target_archE908ELNS1_3gpuE7ELNS1_3repE0EEENS1_30default_config_static_selectorELNS0_4arch9wavefront6targetE0EEEvS13_,"axG",@progbits,_ZN7rocprim17ROCPRIM_400000_NS6detail17trampoline_kernelINS0_13select_configILj256ELj13ELNS0_17block_load_methodE3ELS4_3ELS4_3ELNS0_20block_scan_algorithmE0ELj4294967295EEENS1_25partition_config_selectorILNS1_17partition_subalgoE4EjNS0_10empty_typeEbEEZZNS1_14partition_implILS8_4ELb0ES6_15HIP_vector_typeIjLj2EENS0_17counting_iteratorIjlEEPS9_SG_NS0_5tupleIJPjSI_NS0_16reverse_iteratorISI_EEEEENSH_IJSG_SG_SG_EEES9_SI_JZNS1_25segmented_radix_sort_implINS0_14default_configELb0EPK6__halfPSP_PKlPlN2at6native12_GLOBAL__N_18offset_tEEE10hipError_tPvRmT1_PNSt15iterator_traitsIS13_E10value_typeET2_T3_PNS14_IS19_E10value_typeET4_jRbjT5_S1F_jjP12ihipStream_tbEUljE_ZNSN_ISO_Lb0ESR_SS_SU_SV_SZ_EES10_S11_S12_S13_S17_S18_S19_S1C_S1D_jS1E_jS1F_S1F_jjS1H_bEUljE0_EEES10_S11_S12_S19_S1D_S1F_T6_T7_T9_mT8_S1H_bDpT10_ENKUlT_T0_E_clISt17integral_constantIbLb1EES1V_EEDaS1Q_S1R_EUlS1Q_E_NS1_11comp_targetILNS1_3genE3ELNS1_11target_archE908ELNS1_3gpuE7ELNS1_3repE0EEENS1_30default_config_static_selectorELNS0_4arch9wavefront6targetE0EEEvS13_,comdat
	.globl	_ZN7rocprim17ROCPRIM_400000_NS6detail17trampoline_kernelINS0_13select_configILj256ELj13ELNS0_17block_load_methodE3ELS4_3ELS4_3ELNS0_20block_scan_algorithmE0ELj4294967295EEENS1_25partition_config_selectorILNS1_17partition_subalgoE4EjNS0_10empty_typeEbEEZZNS1_14partition_implILS8_4ELb0ES6_15HIP_vector_typeIjLj2EENS0_17counting_iteratorIjlEEPS9_SG_NS0_5tupleIJPjSI_NS0_16reverse_iteratorISI_EEEEENSH_IJSG_SG_SG_EEES9_SI_JZNS1_25segmented_radix_sort_implINS0_14default_configELb0EPK6__halfPSP_PKlPlN2at6native12_GLOBAL__N_18offset_tEEE10hipError_tPvRmT1_PNSt15iterator_traitsIS13_E10value_typeET2_T3_PNS14_IS19_E10value_typeET4_jRbjT5_S1F_jjP12ihipStream_tbEUljE_ZNSN_ISO_Lb0ESR_SS_SU_SV_SZ_EES10_S11_S12_S13_S17_S18_S19_S1C_S1D_jS1E_jS1F_S1F_jjS1H_bEUljE0_EEES10_S11_S12_S19_S1D_S1F_T6_T7_T9_mT8_S1H_bDpT10_ENKUlT_T0_E_clISt17integral_constantIbLb1EES1V_EEDaS1Q_S1R_EUlS1Q_E_NS1_11comp_targetILNS1_3genE3ELNS1_11target_archE908ELNS1_3gpuE7ELNS1_3repE0EEENS1_30default_config_static_selectorELNS0_4arch9wavefront6targetE0EEEvS13_ ; -- Begin function _ZN7rocprim17ROCPRIM_400000_NS6detail17trampoline_kernelINS0_13select_configILj256ELj13ELNS0_17block_load_methodE3ELS4_3ELS4_3ELNS0_20block_scan_algorithmE0ELj4294967295EEENS1_25partition_config_selectorILNS1_17partition_subalgoE4EjNS0_10empty_typeEbEEZZNS1_14partition_implILS8_4ELb0ES6_15HIP_vector_typeIjLj2EENS0_17counting_iteratorIjlEEPS9_SG_NS0_5tupleIJPjSI_NS0_16reverse_iteratorISI_EEEEENSH_IJSG_SG_SG_EEES9_SI_JZNS1_25segmented_radix_sort_implINS0_14default_configELb0EPK6__halfPSP_PKlPlN2at6native12_GLOBAL__N_18offset_tEEE10hipError_tPvRmT1_PNSt15iterator_traitsIS13_E10value_typeET2_T3_PNS14_IS19_E10value_typeET4_jRbjT5_S1F_jjP12ihipStream_tbEUljE_ZNSN_ISO_Lb0ESR_SS_SU_SV_SZ_EES10_S11_S12_S13_S17_S18_S19_S1C_S1D_jS1E_jS1F_S1F_jjS1H_bEUljE0_EEES10_S11_S12_S19_S1D_S1F_T6_T7_T9_mT8_S1H_bDpT10_ENKUlT_T0_E_clISt17integral_constantIbLb1EES1V_EEDaS1Q_S1R_EUlS1Q_E_NS1_11comp_targetILNS1_3genE3ELNS1_11target_archE908ELNS1_3gpuE7ELNS1_3repE0EEENS1_30default_config_static_selectorELNS0_4arch9wavefront6targetE0EEEvS13_
	.p2align	8
	.type	_ZN7rocprim17ROCPRIM_400000_NS6detail17trampoline_kernelINS0_13select_configILj256ELj13ELNS0_17block_load_methodE3ELS4_3ELS4_3ELNS0_20block_scan_algorithmE0ELj4294967295EEENS1_25partition_config_selectorILNS1_17partition_subalgoE4EjNS0_10empty_typeEbEEZZNS1_14partition_implILS8_4ELb0ES6_15HIP_vector_typeIjLj2EENS0_17counting_iteratorIjlEEPS9_SG_NS0_5tupleIJPjSI_NS0_16reverse_iteratorISI_EEEEENSH_IJSG_SG_SG_EEES9_SI_JZNS1_25segmented_radix_sort_implINS0_14default_configELb0EPK6__halfPSP_PKlPlN2at6native12_GLOBAL__N_18offset_tEEE10hipError_tPvRmT1_PNSt15iterator_traitsIS13_E10value_typeET2_T3_PNS14_IS19_E10value_typeET4_jRbjT5_S1F_jjP12ihipStream_tbEUljE_ZNSN_ISO_Lb0ESR_SS_SU_SV_SZ_EES10_S11_S12_S13_S17_S18_S19_S1C_S1D_jS1E_jS1F_S1F_jjS1H_bEUljE0_EEES10_S11_S12_S19_S1D_S1F_T6_T7_T9_mT8_S1H_bDpT10_ENKUlT_T0_E_clISt17integral_constantIbLb1EES1V_EEDaS1Q_S1R_EUlS1Q_E_NS1_11comp_targetILNS1_3genE3ELNS1_11target_archE908ELNS1_3gpuE7ELNS1_3repE0EEENS1_30default_config_static_selectorELNS0_4arch9wavefront6targetE0EEEvS13_,@function
_ZN7rocprim17ROCPRIM_400000_NS6detail17trampoline_kernelINS0_13select_configILj256ELj13ELNS0_17block_load_methodE3ELS4_3ELS4_3ELNS0_20block_scan_algorithmE0ELj4294967295EEENS1_25partition_config_selectorILNS1_17partition_subalgoE4EjNS0_10empty_typeEbEEZZNS1_14partition_implILS8_4ELb0ES6_15HIP_vector_typeIjLj2EENS0_17counting_iteratorIjlEEPS9_SG_NS0_5tupleIJPjSI_NS0_16reverse_iteratorISI_EEEEENSH_IJSG_SG_SG_EEES9_SI_JZNS1_25segmented_radix_sort_implINS0_14default_configELb0EPK6__halfPSP_PKlPlN2at6native12_GLOBAL__N_18offset_tEEE10hipError_tPvRmT1_PNSt15iterator_traitsIS13_E10value_typeET2_T3_PNS14_IS19_E10value_typeET4_jRbjT5_S1F_jjP12ihipStream_tbEUljE_ZNSN_ISO_Lb0ESR_SS_SU_SV_SZ_EES10_S11_S12_S13_S17_S18_S19_S1C_S1D_jS1E_jS1F_S1F_jjS1H_bEUljE0_EEES10_S11_S12_S19_S1D_S1F_T6_T7_T9_mT8_S1H_bDpT10_ENKUlT_T0_E_clISt17integral_constantIbLb1EES1V_EEDaS1Q_S1R_EUlS1Q_E_NS1_11comp_targetILNS1_3genE3ELNS1_11target_archE908ELNS1_3gpuE7ELNS1_3repE0EEENS1_30default_config_static_selectorELNS0_4arch9wavefront6targetE0EEEvS13_: ; @_ZN7rocprim17ROCPRIM_400000_NS6detail17trampoline_kernelINS0_13select_configILj256ELj13ELNS0_17block_load_methodE3ELS4_3ELS4_3ELNS0_20block_scan_algorithmE0ELj4294967295EEENS1_25partition_config_selectorILNS1_17partition_subalgoE4EjNS0_10empty_typeEbEEZZNS1_14partition_implILS8_4ELb0ES6_15HIP_vector_typeIjLj2EENS0_17counting_iteratorIjlEEPS9_SG_NS0_5tupleIJPjSI_NS0_16reverse_iteratorISI_EEEEENSH_IJSG_SG_SG_EEES9_SI_JZNS1_25segmented_radix_sort_implINS0_14default_configELb0EPK6__halfPSP_PKlPlN2at6native12_GLOBAL__N_18offset_tEEE10hipError_tPvRmT1_PNSt15iterator_traitsIS13_E10value_typeET2_T3_PNS14_IS19_E10value_typeET4_jRbjT5_S1F_jjP12ihipStream_tbEUljE_ZNSN_ISO_Lb0ESR_SS_SU_SV_SZ_EES10_S11_S12_S13_S17_S18_S19_S1C_S1D_jS1E_jS1F_S1F_jjS1H_bEUljE0_EEES10_S11_S12_S19_S1D_S1F_T6_T7_T9_mT8_S1H_bDpT10_ENKUlT_T0_E_clISt17integral_constantIbLb1EES1V_EEDaS1Q_S1R_EUlS1Q_E_NS1_11comp_targetILNS1_3genE3ELNS1_11target_archE908ELNS1_3gpuE7ELNS1_3repE0EEENS1_30default_config_static_selectorELNS0_4arch9wavefront6targetE0EEEvS13_
; %bb.0:
	.section	.rodata,"a",@progbits
	.p2align	6, 0x0
	.amdhsa_kernel _ZN7rocprim17ROCPRIM_400000_NS6detail17trampoline_kernelINS0_13select_configILj256ELj13ELNS0_17block_load_methodE3ELS4_3ELS4_3ELNS0_20block_scan_algorithmE0ELj4294967295EEENS1_25partition_config_selectorILNS1_17partition_subalgoE4EjNS0_10empty_typeEbEEZZNS1_14partition_implILS8_4ELb0ES6_15HIP_vector_typeIjLj2EENS0_17counting_iteratorIjlEEPS9_SG_NS0_5tupleIJPjSI_NS0_16reverse_iteratorISI_EEEEENSH_IJSG_SG_SG_EEES9_SI_JZNS1_25segmented_radix_sort_implINS0_14default_configELb0EPK6__halfPSP_PKlPlN2at6native12_GLOBAL__N_18offset_tEEE10hipError_tPvRmT1_PNSt15iterator_traitsIS13_E10value_typeET2_T3_PNS14_IS19_E10value_typeET4_jRbjT5_S1F_jjP12ihipStream_tbEUljE_ZNSN_ISO_Lb0ESR_SS_SU_SV_SZ_EES10_S11_S12_S13_S17_S18_S19_S1C_S1D_jS1E_jS1F_S1F_jjS1H_bEUljE0_EEES10_S11_S12_S19_S1D_S1F_T6_T7_T9_mT8_S1H_bDpT10_ENKUlT_T0_E_clISt17integral_constantIbLb1EES1V_EEDaS1Q_S1R_EUlS1Q_E_NS1_11comp_targetILNS1_3genE3ELNS1_11target_archE908ELNS1_3gpuE7ELNS1_3repE0EEENS1_30default_config_static_selectorELNS0_4arch9wavefront6targetE0EEEvS13_
		.amdhsa_group_segment_fixed_size 0
		.amdhsa_private_segment_fixed_size 0
		.amdhsa_kernarg_size 184
		.amdhsa_user_sgpr_count 15
		.amdhsa_user_sgpr_dispatch_ptr 0
		.amdhsa_user_sgpr_queue_ptr 0
		.amdhsa_user_sgpr_kernarg_segment_ptr 1
		.amdhsa_user_sgpr_dispatch_id 0
		.amdhsa_user_sgpr_private_segment_size 0
		.amdhsa_wavefront_size32 1
		.amdhsa_uses_dynamic_stack 0
		.amdhsa_enable_private_segment 0
		.amdhsa_system_sgpr_workgroup_id_x 1
		.amdhsa_system_sgpr_workgroup_id_y 0
		.amdhsa_system_sgpr_workgroup_id_z 0
		.amdhsa_system_sgpr_workgroup_info 0
		.amdhsa_system_vgpr_workitem_id 0
		.amdhsa_next_free_vgpr 1
		.amdhsa_next_free_sgpr 1
		.amdhsa_reserve_vcc 0
		.amdhsa_float_round_mode_32 0
		.amdhsa_float_round_mode_16_64 0
		.amdhsa_float_denorm_mode_32 3
		.amdhsa_float_denorm_mode_16_64 3
		.amdhsa_dx10_clamp 1
		.amdhsa_ieee_mode 1
		.amdhsa_fp16_overflow 0
		.amdhsa_workgroup_processor_mode 1
		.amdhsa_memory_ordered 1
		.amdhsa_forward_progress 0
		.amdhsa_shared_vgpr_count 0
		.amdhsa_exception_fp_ieee_invalid_op 0
		.amdhsa_exception_fp_denorm_src 0
		.amdhsa_exception_fp_ieee_div_zero 0
		.amdhsa_exception_fp_ieee_overflow 0
		.amdhsa_exception_fp_ieee_underflow 0
		.amdhsa_exception_fp_ieee_inexact 0
		.amdhsa_exception_int_div_zero 0
	.end_amdhsa_kernel
	.section	.text._ZN7rocprim17ROCPRIM_400000_NS6detail17trampoline_kernelINS0_13select_configILj256ELj13ELNS0_17block_load_methodE3ELS4_3ELS4_3ELNS0_20block_scan_algorithmE0ELj4294967295EEENS1_25partition_config_selectorILNS1_17partition_subalgoE4EjNS0_10empty_typeEbEEZZNS1_14partition_implILS8_4ELb0ES6_15HIP_vector_typeIjLj2EENS0_17counting_iteratorIjlEEPS9_SG_NS0_5tupleIJPjSI_NS0_16reverse_iteratorISI_EEEEENSH_IJSG_SG_SG_EEES9_SI_JZNS1_25segmented_radix_sort_implINS0_14default_configELb0EPK6__halfPSP_PKlPlN2at6native12_GLOBAL__N_18offset_tEEE10hipError_tPvRmT1_PNSt15iterator_traitsIS13_E10value_typeET2_T3_PNS14_IS19_E10value_typeET4_jRbjT5_S1F_jjP12ihipStream_tbEUljE_ZNSN_ISO_Lb0ESR_SS_SU_SV_SZ_EES10_S11_S12_S13_S17_S18_S19_S1C_S1D_jS1E_jS1F_S1F_jjS1H_bEUljE0_EEES10_S11_S12_S19_S1D_S1F_T6_T7_T9_mT8_S1H_bDpT10_ENKUlT_T0_E_clISt17integral_constantIbLb1EES1V_EEDaS1Q_S1R_EUlS1Q_E_NS1_11comp_targetILNS1_3genE3ELNS1_11target_archE908ELNS1_3gpuE7ELNS1_3repE0EEENS1_30default_config_static_selectorELNS0_4arch9wavefront6targetE0EEEvS13_,"axG",@progbits,_ZN7rocprim17ROCPRIM_400000_NS6detail17trampoline_kernelINS0_13select_configILj256ELj13ELNS0_17block_load_methodE3ELS4_3ELS4_3ELNS0_20block_scan_algorithmE0ELj4294967295EEENS1_25partition_config_selectorILNS1_17partition_subalgoE4EjNS0_10empty_typeEbEEZZNS1_14partition_implILS8_4ELb0ES6_15HIP_vector_typeIjLj2EENS0_17counting_iteratorIjlEEPS9_SG_NS0_5tupleIJPjSI_NS0_16reverse_iteratorISI_EEEEENSH_IJSG_SG_SG_EEES9_SI_JZNS1_25segmented_radix_sort_implINS0_14default_configELb0EPK6__halfPSP_PKlPlN2at6native12_GLOBAL__N_18offset_tEEE10hipError_tPvRmT1_PNSt15iterator_traitsIS13_E10value_typeET2_T3_PNS14_IS19_E10value_typeET4_jRbjT5_S1F_jjP12ihipStream_tbEUljE_ZNSN_ISO_Lb0ESR_SS_SU_SV_SZ_EES10_S11_S12_S13_S17_S18_S19_S1C_S1D_jS1E_jS1F_S1F_jjS1H_bEUljE0_EEES10_S11_S12_S19_S1D_S1F_T6_T7_T9_mT8_S1H_bDpT10_ENKUlT_T0_E_clISt17integral_constantIbLb1EES1V_EEDaS1Q_S1R_EUlS1Q_E_NS1_11comp_targetILNS1_3genE3ELNS1_11target_archE908ELNS1_3gpuE7ELNS1_3repE0EEENS1_30default_config_static_selectorELNS0_4arch9wavefront6targetE0EEEvS13_,comdat
.Lfunc_end1789:
	.size	_ZN7rocprim17ROCPRIM_400000_NS6detail17trampoline_kernelINS0_13select_configILj256ELj13ELNS0_17block_load_methodE3ELS4_3ELS4_3ELNS0_20block_scan_algorithmE0ELj4294967295EEENS1_25partition_config_selectorILNS1_17partition_subalgoE4EjNS0_10empty_typeEbEEZZNS1_14partition_implILS8_4ELb0ES6_15HIP_vector_typeIjLj2EENS0_17counting_iteratorIjlEEPS9_SG_NS0_5tupleIJPjSI_NS0_16reverse_iteratorISI_EEEEENSH_IJSG_SG_SG_EEES9_SI_JZNS1_25segmented_radix_sort_implINS0_14default_configELb0EPK6__halfPSP_PKlPlN2at6native12_GLOBAL__N_18offset_tEEE10hipError_tPvRmT1_PNSt15iterator_traitsIS13_E10value_typeET2_T3_PNS14_IS19_E10value_typeET4_jRbjT5_S1F_jjP12ihipStream_tbEUljE_ZNSN_ISO_Lb0ESR_SS_SU_SV_SZ_EES10_S11_S12_S13_S17_S18_S19_S1C_S1D_jS1E_jS1F_S1F_jjS1H_bEUljE0_EEES10_S11_S12_S19_S1D_S1F_T6_T7_T9_mT8_S1H_bDpT10_ENKUlT_T0_E_clISt17integral_constantIbLb1EES1V_EEDaS1Q_S1R_EUlS1Q_E_NS1_11comp_targetILNS1_3genE3ELNS1_11target_archE908ELNS1_3gpuE7ELNS1_3repE0EEENS1_30default_config_static_selectorELNS0_4arch9wavefront6targetE0EEEvS13_, .Lfunc_end1789-_ZN7rocprim17ROCPRIM_400000_NS6detail17trampoline_kernelINS0_13select_configILj256ELj13ELNS0_17block_load_methodE3ELS4_3ELS4_3ELNS0_20block_scan_algorithmE0ELj4294967295EEENS1_25partition_config_selectorILNS1_17partition_subalgoE4EjNS0_10empty_typeEbEEZZNS1_14partition_implILS8_4ELb0ES6_15HIP_vector_typeIjLj2EENS0_17counting_iteratorIjlEEPS9_SG_NS0_5tupleIJPjSI_NS0_16reverse_iteratorISI_EEEEENSH_IJSG_SG_SG_EEES9_SI_JZNS1_25segmented_radix_sort_implINS0_14default_configELb0EPK6__halfPSP_PKlPlN2at6native12_GLOBAL__N_18offset_tEEE10hipError_tPvRmT1_PNSt15iterator_traitsIS13_E10value_typeET2_T3_PNS14_IS19_E10value_typeET4_jRbjT5_S1F_jjP12ihipStream_tbEUljE_ZNSN_ISO_Lb0ESR_SS_SU_SV_SZ_EES10_S11_S12_S13_S17_S18_S19_S1C_S1D_jS1E_jS1F_S1F_jjS1H_bEUljE0_EEES10_S11_S12_S19_S1D_S1F_T6_T7_T9_mT8_S1H_bDpT10_ENKUlT_T0_E_clISt17integral_constantIbLb1EES1V_EEDaS1Q_S1R_EUlS1Q_E_NS1_11comp_targetILNS1_3genE3ELNS1_11target_archE908ELNS1_3gpuE7ELNS1_3repE0EEENS1_30default_config_static_selectorELNS0_4arch9wavefront6targetE0EEEvS13_
                                        ; -- End function
	.section	.AMDGPU.csdata,"",@progbits
; Kernel info:
; codeLenInByte = 0
; NumSgprs: 0
; NumVgprs: 0
; ScratchSize: 0
; MemoryBound: 0
; FloatMode: 240
; IeeeMode: 1
; LDSByteSize: 0 bytes/workgroup (compile time only)
; SGPRBlocks: 0
; VGPRBlocks: 0
; NumSGPRsForWavesPerEU: 1
; NumVGPRsForWavesPerEU: 1
; Occupancy: 16
; WaveLimiterHint : 0
; COMPUTE_PGM_RSRC2:SCRATCH_EN: 0
; COMPUTE_PGM_RSRC2:USER_SGPR: 15
; COMPUTE_PGM_RSRC2:TRAP_HANDLER: 0
; COMPUTE_PGM_RSRC2:TGID_X_EN: 1
; COMPUTE_PGM_RSRC2:TGID_Y_EN: 0
; COMPUTE_PGM_RSRC2:TGID_Z_EN: 0
; COMPUTE_PGM_RSRC2:TIDIG_COMP_CNT: 0
	.section	.text._ZN7rocprim17ROCPRIM_400000_NS6detail17trampoline_kernelINS0_13select_configILj256ELj13ELNS0_17block_load_methodE3ELS4_3ELS4_3ELNS0_20block_scan_algorithmE0ELj4294967295EEENS1_25partition_config_selectorILNS1_17partition_subalgoE4EjNS0_10empty_typeEbEEZZNS1_14partition_implILS8_4ELb0ES6_15HIP_vector_typeIjLj2EENS0_17counting_iteratorIjlEEPS9_SG_NS0_5tupleIJPjSI_NS0_16reverse_iteratorISI_EEEEENSH_IJSG_SG_SG_EEES9_SI_JZNS1_25segmented_radix_sort_implINS0_14default_configELb0EPK6__halfPSP_PKlPlN2at6native12_GLOBAL__N_18offset_tEEE10hipError_tPvRmT1_PNSt15iterator_traitsIS13_E10value_typeET2_T3_PNS14_IS19_E10value_typeET4_jRbjT5_S1F_jjP12ihipStream_tbEUljE_ZNSN_ISO_Lb0ESR_SS_SU_SV_SZ_EES10_S11_S12_S13_S17_S18_S19_S1C_S1D_jS1E_jS1F_S1F_jjS1H_bEUljE0_EEES10_S11_S12_S19_S1D_S1F_T6_T7_T9_mT8_S1H_bDpT10_ENKUlT_T0_E_clISt17integral_constantIbLb1EES1V_EEDaS1Q_S1R_EUlS1Q_E_NS1_11comp_targetILNS1_3genE2ELNS1_11target_archE906ELNS1_3gpuE6ELNS1_3repE0EEENS1_30default_config_static_selectorELNS0_4arch9wavefront6targetE0EEEvS13_,"axG",@progbits,_ZN7rocprim17ROCPRIM_400000_NS6detail17trampoline_kernelINS0_13select_configILj256ELj13ELNS0_17block_load_methodE3ELS4_3ELS4_3ELNS0_20block_scan_algorithmE0ELj4294967295EEENS1_25partition_config_selectorILNS1_17partition_subalgoE4EjNS0_10empty_typeEbEEZZNS1_14partition_implILS8_4ELb0ES6_15HIP_vector_typeIjLj2EENS0_17counting_iteratorIjlEEPS9_SG_NS0_5tupleIJPjSI_NS0_16reverse_iteratorISI_EEEEENSH_IJSG_SG_SG_EEES9_SI_JZNS1_25segmented_radix_sort_implINS0_14default_configELb0EPK6__halfPSP_PKlPlN2at6native12_GLOBAL__N_18offset_tEEE10hipError_tPvRmT1_PNSt15iterator_traitsIS13_E10value_typeET2_T3_PNS14_IS19_E10value_typeET4_jRbjT5_S1F_jjP12ihipStream_tbEUljE_ZNSN_ISO_Lb0ESR_SS_SU_SV_SZ_EES10_S11_S12_S13_S17_S18_S19_S1C_S1D_jS1E_jS1F_S1F_jjS1H_bEUljE0_EEES10_S11_S12_S19_S1D_S1F_T6_T7_T9_mT8_S1H_bDpT10_ENKUlT_T0_E_clISt17integral_constantIbLb1EES1V_EEDaS1Q_S1R_EUlS1Q_E_NS1_11comp_targetILNS1_3genE2ELNS1_11target_archE906ELNS1_3gpuE6ELNS1_3repE0EEENS1_30default_config_static_selectorELNS0_4arch9wavefront6targetE0EEEvS13_,comdat
	.globl	_ZN7rocprim17ROCPRIM_400000_NS6detail17trampoline_kernelINS0_13select_configILj256ELj13ELNS0_17block_load_methodE3ELS4_3ELS4_3ELNS0_20block_scan_algorithmE0ELj4294967295EEENS1_25partition_config_selectorILNS1_17partition_subalgoE4EjNS0_10empty_typeEbEEZZNS1_14partition_implILS8_4ELb0ES6_15HIP_vector_typeIjLj2EENS0_17counting_iteratorIjlEEPS9_SG_NS0_5tupleIJPjSI_NS0_16reverse_iteratorISI_EEEEENSH_IJSG_SG_SG_EEES9_SI_JZNS1_25segmented_radix_sort_implINS0_14default_configELb0EPK6__halfPSP_PKlPlN2at6native12_GLOBAL__N_18offset_tEEE10hipError_tPvRmT1_PNSt15iterator_traitsIS13_E10value_typeET2_T3_PNS14_IS19_E10value_typeET4_jRbjT5_S1F_jjP12ihipStream_tbEUljE_ZNSN_ISO_Lb0ESR_SS_SU_SV_SZ_EES10_S11_S12_S13_S17_S18_S19_S1C_S1D_jS1E_jS1F_S1F_jjS1H_bEUljE0_EEES10_S11_S12_S19_S1D_S1F_T6_T7_T9_mT8_S1H_bDpT10_ENKUlT_T0_E_clISt17integral_constantIbLb1EES1V_EEDaS1Q_S1R_EUlS1Q_E_NS1_11comp_targetILNS1_3genE2ELNS1_11target_archE906ELNS1_3gpuE6ELNS1_3repE0EEENS1_30default_config_static_selectorELNS0_4arch9wavefront6targetE0EEEvS13_ ; -- Begin function _ZN7rocprim17ROCPRIM_400000_NS6detail17trampoline_kernelINS0_13select_configILj256ELj13ELNS0_17block_load_methodE3ELS4_3ELS4_3ELNS0_20block_scan_algorithmE0ELj4294967295EEENS1_25partition_config_selectorILNS1_17partition_subalgoE4EjNS0_10empty_typeEbEEZZNS1_14partition_implILS8_4ELb0ES6_15HIP_vector_typeIjLj2EENS0_17counting_iteratorIjlEEPS9_SG_NS0_5tupleIJPjSI_NS0_16reverse_iteratorISI_EEEEENSH_IJSG_SG_SG_EEES9_SI_JZNS1_25segmented_radix_sort_implINS0_14default_configELb0EPK6__halfPSP_PKlPlN2at6native12_GLOBAL__N_18offset_tEEE10hipError_tPvRmT1_PNSt15iterator_traitsIS13_E10value_typeET2_T3_PNS14_IS19_E10value_typeET4_jRbjT5_S1F_jjP12ihipStream_tbEUljE_ZNSN_ISO_Lb0ESR_SS_SU_SV_SZ_EES10_S11_S12_S13_S17_S18_S19_S1C_S1D_jS1E_jS1F_S1F_jjS1H_bEUljE0_EEES10_S11_S12_S19_S1D_S1F_T6_T7_T9_mT8_S1H_bDpT10_ENKUlT_T0_E_clISt17integral_constantIbLb1EES1V_EEDaS1Q_S1R_EUlS1Q_E_NS1_11comp_targetILNS1_3genE2ELNS1_11target_archE906ELNS1_3gpuE6ELNS1_3repE0EEENS1_30default_config_static_selectorELNS0_4arch9wavefront6targetE0EEEvS13_
	.p2align	8
	.type	_ZN7rocprim17ROCPRIM_400000_NS6detail17trampoline_kernelINS0_13select_configILj256ELj13ELNS0_17block_load_methodE3ELS4_3ELS4_3ELNS0_20block_scan_algorithmE0ELj4294967295EEENS1_25partition_config_selectorILNS1_17partition_subalgoE4EjNS0_10empty_typeEbEEZZNS1_14partition_implILS8_4ELb0ES6_15HIP_vector_typeIjLj2EENS0_17counting_iteratorIjlEEPS9_SG_NS0_5tupleIJPjSI_NS0_16reverse_iteratorISI_EEEEENSH_IJSG_SG_SG_EEES9_SI_JZNS1_25segmented_radix_sort_implINS0_14default_configELb0EPK6__halfPSP_PKlPlN2at6native12_GLOBAL__N_18offset_tEEE10hipError_tPvRmT1_PNSt15iterator_traitsIS13_E10value_typeET2_T3_PNS14_IS19_E10value_typeET4_jRbjT5_S1F_jjP12ihipStream_tbEUljE_ZNSN_ISO_Lb0ESR_SS_SU_SV_SZ_EES10_S11_S12_S13_S17_S18_S19_S1C_S1D_jS1E_jS1F_S1F_jjS1H_bEUljE0_EEES10_S11_S12_S19_S1D_S1F_T6_T7_T9_mT8_S1H_bDpT10_ENKUlT_T0_E_clISt17integral_constantIbLb1EES1V_EEDaS1Q_S1R_EUlS1Q_E_NS1_11comp_targetILNS1_3genE2ELNS1_11target_archE906ELNS1_3gpuE6ELNS1_3repE0EEENS1_30default_config_static_selectorELNS0_4arch9wavefront6targetE0EEEvS13_,@function
_ZN7rocprim17ROCPRIM_400000_NS6detail17trampoline_kernelINS0_13select_configILj256ELj13ELNS0_17block_load_methodE3ELS4_3ELS4_3ELNS0_20block_scan_algorithmE0ELj4294967295EEENS1_25partition_config_selectorILNS1_17partition_subalgoE4EjNS0_10empty_typeEbEEZZNS1_14partition_implILS8_4ELb0ES6_15HIP_vector_typeIjLj2EENS0_17counting_iteratorIjlEEPS9_SG_NS0_5tupleIJPjSI_NS0_16reverse_iteratorISI_EEEEENSH_IJSG_SG_SG_EEES9_SI_JZNS1_25segmented_radix_sort_implINS0_14default_configELb0EPK6__halfPSP_PKlPlN2at6native12_GLOBAL__N_18offset_tEEE10hipError_tPvRmT1_PNSt15iterator_traitsIS13_E10value_typeET2_T3_PNS14_IS19_E10value_typeET4_jRbjT5_S1F_jjP12ihipStream_tbEUljE_ZNSN_ISO_Lb0ESR_SS_SU_SV_SZ_EES10_S11_S12_S13_S17_S18_S19_S1C_S1D_jS1E_jS1F_S1F_jjS1H_bEUljE0_EEES10_S11_S12_S19_S1D_S1F_T6_T7_T9_mT8_S1H_bDpT10_ENKUlT_T0_E_clISt17integral_constantIbLb1EES1V_EEDaS1Q_S1R_EUlS1Q_E_NS1_11comp_targetILNS1_3genE2ELNS1_11target_archE906ELNS1_3gpuE6ELNS1_3repE0EEENS1_30default_config_static_selectorELNS0_4arch9wavefront6targetE0EEEvS13_: ; @_ZN7rocprim17ROCPRIM_400000_NS6detail17trampoline_kernelINS0_13select_configILj256ELj13ELNS0_17block_load_methodE3ELS4_3ELS4_3ELNS0_20block_scan_algorithmE0ELj4294967295EEENS1_25partition_config_selectorILNS1_17partition_subalgoE4EjNS0_10empty_typeEbEEZZNS1_14partition_implILS8_4ELb0ES6_15HIP_vector_typeIjLj2EENS0_17counting_iteratorIjlEEPS9_SG_NS0_5tupleIJPjSI_NS0_16reverse_iteratorISI_EEEEENSH_IJSG_SG_SG_EEES9_SI_JZNS1_25segmented_radix_sort_implINS0_14default_configELb0EPK6__halfPSP_PKlPlN2at6native12_GLOBAL__N_18offset_tEEE10hipError_tPvRmT1_PNSt15iterator_traitsIS13_E10value_typeET2_T3_PNS14_IS19_E10value_typeET4_jRbjT5_S1F_jjP12ihipStream_tbEUljE_ZNSN_ISO_Lb0ESR_SS_SU_SV_SZ_EES10_S11_S12_S13_S17_S18_S19_S1C_S1D_jS1E_jS1F_S1F_jjS1H_bEUljE0_EEES10_S11_S12_S19_S1D_S1F_T6_T7_T9_mT8_S1H_bDpT10_ENKUlT_T0_E_clISt17integral_constantIbLb1EES1V_EEDaS1Q_S1R_EUlS1Q_E_NS1_11comp_targetILNS1_3genE2ELNS1_11target_archE906ELNS1_3gpuE6ELNS1_3repE0EEENS1_30default_config_static_selectorELNS0_4arch9wavefront6targetE0EEEvS13_
; %bb.0:
	.section	.rodata,"a",@progbits
	.p2align	6, 0x0
	.amdhsa_kernel _ZN7rocprim17ROCPRIM_400000_NS6detail17trampoline_kernelINS0_13select_configILj256ELj13ELNS0_17block_load_methodE3ELS4_3ELS4_3ELNS0_20block_scan_algorithmE0ELj4294967295EEENS1_25partition_config_selectorILNS1_17partition_subalgoE4EjNS0_10empty_typeEbEEZZNS1_14partition_implILS8_4ELb0ES6_15HIP_vector_typeIjLj2EENS0_17counting_iteratorIjlEEPS9_SG_NS0_5tupleIJPjSI_NS0_16reverse_iteratorISI_EEEEENSH_IJSG_SG_SG_EEES9_SI_JZNS1_25segmented_radix_sort_implINS0_14default_configELb0EPK6__halfPSP_PKlPlN2at6native12_GLOBAL__N_18offset_tEEE10hipError_tPvRmT1_PNSt15iterator_traitsIS13_E10value_typeET2_T3_PNS14_IS19_E10value_typeET4_jRbjT5_S1F_jjP12ihipStream_tbEUljE_ZNSN_ISO_Lb0ESR_SS_SU_SV_SZ_EES10_S11_S12_S13_S17_S18_S19_S1C_S1D_jS1E_jS1F_S1F_jjS1H_bEUljE0_EEES10_S11_S12_S19_S1D_S1F_T6_T7_T9_mT8_S1H_bDpT10_ENKUlT_T0_E_clISt17integral_constantIbLb1EES1V_EEDaS1Q_S1R_EUlS1Q_E_NS1_11comp_targetILNS1_3genE2ELNS1_11target_archE906ELNS1_3gpuE6ELNS1_3repE0EEENS1_30default_config_static_selectorELNS0_4arch9wavefront6targetE0EEEvS13_
		.amdhsa_group_segment_fixed_size 0
		.amdhsa_private_segment_fixed_size 0
		.amdhsa_kernarg_size 184
		.amdhsa_user_sgpr_count 15
		.amdhsa_user_sgpr_dispatch_ptr 0
		.amdhsa_user_sgpr_queue_ptr 0
		.amdhsa_user_sgpr_kernarg_segment_ptr 1
		.amdhsa_user_sgpr_dispatch_id 0
		.amdhsa_user_sgpr_private_segment_size 0
		.amdhsa_wavefront_size32 1
		.amdhsa_uses_dynamic_stack 0
		.amdhsa_enable_private_segment 0
		.amdhsa_system_sgpr_workgroup_id_x 1
		.amdhsa_system_sgpr_workgroup_id_y 0
		.amdhsa_system_sgpr_workgroup_id_z 0
		.amdhsa_system_sgpr_workgroup_info 0
		.amdhsa_system_vgpr_workitem_id 0
		.amdhsa_next_free_vgpr 1
		.amdhsa_next_free_sgpr 1
		.amdhsa_reserve_vcc 0
		.amdhsa_float_round_mode_32 0
		.amdhsa_float_round_mode_16_64 0
		.amdhsa_float_denorm_mode_32 3
		.amdhsa_float_denorm_mode_16_64 3
		.amdhsa_dx10_clamp 1
		.amdhsa_ieee_mode 1
		.amdhsa_fp16_overflow 0
		.amdhsa_workgroup_processor_mode 1
		.amdhsa_memory_ordered 1
		.amdhsa_forward_progress 0
		.amdhsa_shared_vgpr_count 0
		.amdhsa_exception_fp_ieee_invalid_op 0
		.amdhsa_exception_fp_denorm_src 0
		.amdhsa_exception_fp_ieee_div_zero 0
		.amdhsa_exception_fp_ieee_overflow 0
		.amdhsa_exception_fp_ieee_underflow 0
		.amdhsa_exception_fp_ieee_inexact 0
		.amdhsa_exception_int_div_zero 0
	.end_amdhsa_kernel
	.section	.text._ZN7rocprim17ROCPRIM_400000_NS6detail17trampoline_kernelINS0_13select_configILj256ELj13ELNS0_17block_load_methodE3ELS4_3ELS4_3ELNS0_20block_scan_algorithmE0ELj4294967295EEENS1_25partition_config_selectorILNS1_17partition_subalgoE4EjNS0_10empty_typeEbEEZZNS1_14partition_implILS8_4ELb0ES6_15HIP_vector_typeIjLj2EENS0_17counting_iteratorIjlEEPS9_SG_NS0_5tupleIJPjSI_NS0_16reverse_iteratorISI_EEEEENSH_IJSG_SG_SG_EEES9_SI_JZNS1_25segmented_radix_sort_implINS0_14default_configELb0EPK6__halfPSP_PKlPlN2at6native12_GLOBAL__N_18offset_tEEE10hipError_tPvRmT1_PNSt15iterator_traitsIS13_E10value_typeET2_T3_PNS14_IS19_E10value_typeET4_jRbjT5_S1F_jjP12ihipStream_tbEUljE_ZNSN_ISO_Lb0ESR_SS_SU_SV_SZ_EES10_S11_S12_S13_S17_S18_S19_S1C_S1D_jS1E_jS1F_S1F_jjS1H_bEUljE0_EEES10_S11_S12_S19_S1D_S1F_T6_T7_T9_mT8_S1H_bDpT10_ENKUlT_T0_E_clISt17integral_constantIbLb1EES1V_EEDaS1Q_S1R_EUlS1Q_E_NS1_11comp_targetILNS1_3genE2ELNS1_11target_archE906ELNS1_3gpuE6ELNS1_3repE0EEENS1_30default_config_static_selectorELNS0_4arch9wavefront6targetE0EEEvS13_,"axG",@progbits,_ZN7rocprim17ROCPRIM_400000_NS6detail17trampoline_kernelINS0_13select_configILj256ELj13ELNS0_17block_load_methodE3ELS4_3ELS4_3ELNS0_20block_scan_algorithmE0ELj4294967295EEENS1_25partition_config_selectorILNS1_17partition_subalgoE4EjNS0_10empty_typeEbEEZZNS1_14partition_implILS8_4ELb0ES6_15HIP_vector_typeIjLj2EENS0_17counting_iteratorIjlEEPS9_SG_NS0_5tupleIJPjSI_NS0_16reverse_iteratorISI_EEEEENSH_IJSG_SG_SG_EEES9_SI_JZNS1_25segmented_radix_sort_implINS0_14default_configELb0EPK6__halfPSP_PKlPlN2at6native12_GLOBAL__N_18offset_tEEE10hipError_tPvRmT1_PNSt15iterator_traitsIS13_E10value_typeET2_T3_PNS14_IS19_E10value_typeET4_jRbjT5_S1F_jjP12ihipStream_tbEUljE_ZNSN_ISO_Lb0ESR_SS_SU_SV_SZ_EES10_S11_S12_S13_S17_S18_S19_S1C_S1D_jS1E_jS1F_S1F_jjS1H_bEUljE0_EEES10_S11_S12_S19_S1D_S1F_T6_T7_T9_mT8_S1H_bDpT10_ENKUlT_T0_E_clISt17integral_constantIbLb1EES1V_EEDaS1Q_S1R_EUlS1Q_E_NS1_11comp_targetILNS1_3genE2ELNS1_11target_archE906ELNS1_3gpuE6ELNS1_3repE0EEENS1_30default_config_static_selectorELNS0_4arch9wavefront6targetE0EEEvS13_,comdat
.Lfunc_end1790:
	.size	_ZN7rocprim17ROCPRIM_400000_NS6detail17trampoline_kernelINS0_13select_configILj256ELj13ELNS0_17block_load_methodE3ELS4_3ELS4_3ELNS0_20block_scan_algorithmE0ELj4294967295EEENS1_25partition_config_selectorILNS1_17partition_subalgoE4EjNS0_10empty_typeEbEEZZNS1_14partition_implILS8_4ELb0ES6_15HIP_vector_typeIjLj2EENS0_17counting_iteratorIjlEEPS9_SG_NS0_5tupleIJPjSI_NS0_16reverse_iteratorISI_EEEEENSH_IJSG_SG_SG_EEES9_SI_JZNS1_25segmented_radix_sort_implINS0_14default_configELb0EPK6__halfPSP_PKlPlN2at6native12_GLOBAL__N_18offset_tEEE10hipError_tPvRmT1_PNSt15iterator_traitsIS13_E10value_typeET2_T3_PNS14_IS19_E10value_typeET4_jRbjT5_S1F_jjP12ihipStream_tbEUljE_ZNSN_ISO_Lb0ESR_SS_SU_SV_SZ_EES10_S11_S12_S13_S17_S18_S19_S1C_S1D_jS1E_jS1F_S1F_jjS1H_bEUljE0_EEES10_S11_S12_S19_S1D_S1F_T6_T7_T9_mT8_S1H_bDpT10_ENKUlT_T0_E_clISt17integral_constantIbLb1EES1V_EEDaS1Q_S1R_EUlS1Q_E_NS1_11comp_targetILNS1_3genE2ELNS1_11target_archE906ELNS1_3gpuE6ELNS1_3repE0EEENS1_30default_config_static_selectorELNS0_4arch9wavefront6targetE0EEEvS13_, .Lfunc_end1790-_ZN7rocprim17ROCPRIM_400000_NS6detail17trampoline_kernelINS0_13select_configILj256ELj13ELNS0_17block_load_methodE3ELS4_3ELS4_3ELNS0_20block_scan_algorithmE0ELj4294967295EEENS1_25partition_config_selectorILNS1_17partition_subalgoE4EjNS0_10empty_typeEbEEZZNS1_14partition_implILS8_4ELb0ES6_15HIP_vector_typeIjLj2EENS0_17counting_iteratorIjlEEPS9_SG_NS0_5tupleIJPjSI_NS0_16reverse_iteratorISI_EEEEENSH_IJSG_SG_SG_EEES9_SI_JZNS1_25segmented_radix_sort_implINS0_14default_configELb0EPK6__halfPSP_PKlPlN2at6native12_GLOBAL__N_18offset_tEEE10hipError_tPvRmT1_PNSt15iterator_traitsIS13_E10value_typeET2_T3_PNS14_IS19_E10value_typeET4_jRbjT5_S1F_jjP12ihipStream_tbEUljE_ZNSN_ISO_Lb0ESR_SS_SU_SV_SZ_EES10_S11_S12_S13_S17_S18_S19_S1C_S1D_jS1E_jS1F_S1F_jjS1H_bEUljE0_EEES10_S11_S12_S19_S1D_S1F_T6_T7_T9_mT8_S1H_bDpT10_ENKUlT_T0_E_clISt17integral_constantIbLb1EES1V_EEDaS1Q_S1R_EUlS1Q_E_NS1_11comp_targetILNS1_3genE2ELNS1_11target_archE906ELNS1_3gpuE6ELNS1_3repE0EEENS1_30default_config_static_selectorELNS0_4arch9wavefront6targetE0EEEvS13_
                                        ; -- End function
	.section	.AMDGPU.csdata,"",@progbits
; Kernel info:
; codeLenInByte = 0
; NumSgprs: 0
; NumVgprs: 0
; ScratchSize: 0
; MemoryBound: 0
; FloatMode: 240
; IeeeMode: 1
; LDSByteSize: 0 bytes/workgroup (compile time only)
; SGPRBlocks: 0
; VGPRBlocks: 0
; NumSGPRsForWavesPerEU: 1
; NumVGPRsForWavesPerEU: 1
; Occupancy: 16
; WaveLimiterHint : 0
; COMPUTE_PGM_RSRC2:SCRATCH_EN: 0
; COMPUTE_PGM_RSRC2:USER_SGPR: 15
; COMPUTE_PGM_RSRC2:TRAP_HANDLER: 0
; COMPUTE_PGM_RSRC2:TGID_X_EN: 1
; COMPUTE_PGM_RSRC2:TGID_Y_EN: 0
; COMPUTE_PGM_RSRC2:TGID_Z_EN: 0
; COMPUTE_PGM_RSRC2:TIDIG_COMP_CNT: 0
	.section	.text._ZN7rocprim17ROCPRIM_400000_NS6detail17trampoline_kernelINS0_13select_configILj256ELj13ELNS0_17block_load_methodE3ELS4_3ELS4_3ELNS0_20block_scan_algorithmE0ELj4294967295EEENS1_25partition_config_selectorILNS1_17partition_subalgoE4EjNS0_10empty_typeEbEEZZNS1_14partition_implILS8_4ELb0ES6_15HIP_vector_typeIjLj2EENS0_17counting_iteratorIjlEEPS9_SG_NS0_5tupleIJPjSI_NS0_16reverse_iteratorISI_EEEEENSH_IJSG_SG_SG_EEES9_SI_JZNS1_25segmented_radix_sort_implINS0_14default_configELb0EPK6__halfPSP_PKlPlN2at6native12_GLOBAL__N_18offset_tEEE10hipError_tPvRmT1_PNSt15iterator_traitsIS13_E10value_typeET2_T3_PNS14_IS19_E10value_typeET4_jRbjT5_S1F_jjP12ihipStream_tbEUljE_ZNSN_ISO_Lb0ESR_SS_SU_SV_SZ_EES10_S11_S12_S13_S17_S18_S19_S1C_S1D_jS1E_jS1F_S1F_jjS1H_bEUljE0_EEES10_S11_S12_S19_S1D_S1F_T6_T7_T9_mT8_S1H_bDpT10_ENKUlT_T0_E_clISt17integral_constantIbLb1EES1V_EEDaS1Q_S1R_EUlS1Q_E_NS1_11comp_targetILNS1_3genE10ELNS1_11target_archE1200ELNS1_3gpuE4ELNS1_3repE0EEENS1_30default_config_static_selectorELNS0_4arch9wavefront6targetE0EEEvS13_,"axG",@progbits,_ZN7rocprim17ROCPRIM_400000_NS6detail17trampoline_kernelINS0_13select_configILj256ELj13ELNS0_17block_load_methodE3ELS4_3ELS4_3ELNS0_20block_scan_algorithmE0ELj4294967295EEENS1_25partition_config_selectorILNS1_17partition_subalgoE4EjNS0_10empty_typeEbEEZZNS1_14partition_implILS8_4ELb0ES6_15HIP_vector_typeIjLj2EENS0_17counting_iteratorIjlEEPS9_SG_NS0_5tupleIJPjSI_NS0_16reverse_iteratorISI_EEEEENSH_IJSG_SG_SG_EEES9_SI_JZNS1_25segmented_radix_sort_implINS0_14default_configELb0EPK6__halfPSP_PKlPlN2at6native12_GLOBAL__N_18offset_tEEE10hipError_tPvRmT1_PNSt15iterator_traitsIS13_E10value_typeET2_T3_PNS14_IS19_E10value_typeET4_jRbjT5_S1F_jjP12ihipStream_tbEUljE_ZNSN_ISO_Lb0ESR_SS_SU_SV_SZ_EES10_S11_S12_S13_S17_S18_S19_S1C_S1D_jS1E_jS1F_S1F_jjS1H_bEUljE0_EEES10_S11_S12_S19_S1D_S1F_T6_T7_T9_mT8_S1H_bDpT10_ENKUlT_T0_E_clISt17integral_constantIbLb1EES1V_EEDaS1Q_S1R_EUlS1Q_E_NS1_11comp_targetILNS1_3genE10ELNS1_11target_archE1200ELNS1_3gpuE4ELNS1_3repE0EEENS1_30default_config_static_selectorELNS0_4arch9wavefront6targetE0EEEvS13_,comdat
	.globl	_ZN7rocprim17ROCPRIM_400000_NS6detail17trampoline_kernelINS0_13select_configILj256ELj13ELNS0_17block_load_methodE3ELS4_3ELS4_3ELNS0_20block_scan_algorithmE0ELj4294967295EEENS1_25partition_config_selectorILNS1_17partition_subalgoE4EjNS0_10empty_typeEbEEZZNS1_14partition_implILS8_4ELb0ES6_15HIP_vector_typeIjLj2EENS0_17counting_iteratorIjlEEPS9_SG_NS0_5tupleIJPjSI_NS0_16reverse_iteratorISI_EEEEENSH_IJSG_SG_SG_EEES9_SI_JZNS1_25segmented_radix_sort_implINS0_14default_configELb0EPK6__halfPSP_PKlPlN2at6native12_GLOBAL__N_18offset_tEEE10hipError_tPvRmT1_PNSt15iterator_traitsIS13_E10value_typeET2_T3_PNS14_IS19_E10value_typeET4_jRbjT5_S1F_jjP12ihipStream_tbEUljE_ZNSN_ISO_Lb0ESR_SS_SU_SV_SZ_EES10_S11_S12_S13_S17_S18_S19_S1C_S1D_jS1E_jS1F_S1F_jjS1H_bEUljE0_EEES10_S11_S12_S19_S1D_S1F_T6_T7_T9_mT8_S1H_bDpT10_ENKUlT_T0_E_clISt17integral_constantIbLb1EES1V_EEDaS1Q_S1R_EUlS1Q_E_NS1_11comp_targetILNS1_3genE10ELNS1_11target_archE1200ELNS1_3gpuE4ELNS1_3repE0EEENS1_30default_config_static_selectorELNS0_4arch9wavefront6targetE0EEEvS13_ ; -- Begin function _ZN7rocprim17ROCPRIM_400000_NS6detail17trampoline_kernelINS0_13select_configILj256ELj13ELNS0_17block_load_methodE3ELS4_3ELS4_3ELNS0_20block_scan_algorithmE0ELj4294967295EEENS1_25partition_config_selectorILNS1_17partition_subalgoE4EjNS0_10empty_typeEbEEZZNS1_14partition_implILS8_4ELb0ES6_15HIP_vector_typeIjLj2EENS0_17counting_iteratorIjlEEPS9_SG_NS0_5tupleIJPjSI_NS0_16reverse_iteratorISI_EEEEENSH_IJSG_SG_SG_EEES9_SI_JZNS1_25segmented_radix_sort_implINS0_14default_configELb0EPK6__halfPSP_PKlPlN2at6native12_GLOBAL__N_18offset_tEEE10hipError_tPvRmT1_PNSt15iterator_traitsIS13_E10value_typeET2_T3_PNS14_IS19_E10value_typeET4_jRbjT5_S1F_jjP12ihipStream_tbEUljE_ZNSN_ISO_Lb0ESR_SS_SU_SV_SZ_EES10_S11_S12_S13_S17_S18_S19_S1C_S1D_jS1E_jS1F_S1F_jjS1H_bEUljE0_EEES10_S11_S12_S19_S1D_S1F_T6_T7_T9_mT8_S1H_bDpT10_ENKUlT_T0_E_clISt17integral_constantIbLb1EES1V_EEDaS1Q_S1R_EUlS1Q_E_NS1_11comp_targetILNS1_3genE10ELNS1_11target_archE1200ELNS1_3gpuE4ELNS1_3repE0EEENS1_30default_config_static_selectorELNS0_4arch9wavefront6targetE0EEEvS13_
	.p2align	8
	.type	_ZN7rocprim17ROCPRIM_400000_NS6detail17trampoline_kernelINS0_13select_configILj256ELj13ELNS0_17block_load_methodE3ELS4_3ELS4_3ELNS0_20block_scan_algorithmE0ELj4294967295EEENS1_25partition_config_selectorILNS1_17partition_subalgoE4EjNS0_10empty_typeEbEEZZNS1_14partition_implILS8_4ELb0ES6_15HIP_vector_typeIjLj2EENS0_17counting_iteratorIjlEEPS9_SG_NS0_5tupleIJPjSI_NS0_16reverse_iteratorISI_EEEEENSH_IJSG_SG_SG_EEES9_SI_JZNS1_25segmented_radix_sort_implINS0_14default_configELb0EPK6__halfPSP_PKlPlN2at6native12_GLOBAL__N_18offset_tEEE10hipError_tPvRmT1_PNSt15iterator_traitsIS13_E10value_typeET2_T3_PNS14_IS19_E10value_typeET4_jRbjT5_S1F_jjP12ihipStream_tbEUljE_ZNSN_ISO_Lb0ESR_SS_SU_SV_SZ_EES10_S11_S12_S13_S17_S18_S19_S1C_S1D_jS1E_jS1F_S1F_jjS1H_bEUljE0_EEES10_S11_S12_S19_S1D_S1F_T6_T7_T9_mT8_S1H_bDpT10_ENKUlT_T0_E_clISt17integral_constantIbLb1EES1V_EEDaS1Q_S1R_EUlS1Q_E_NS1_11comp_targetILNS1_3genE10ELNS1_11target_archE1200ELNS1_3gpuE4ELNS1_3repE0EEENS1_30default_config_static_selectorELNS0_4arch9wavefront6targetE0EEEvS13_,@function
_ZN7rocprim17ROCPRIM_400000_NS6detail17trampoline_kernelINS0_13select_configILj256ELj13ELNS0_17block_load_methodE3ELS4_3ELS4_3ELNS0_20block_scan_algorithmE0ELj4294967295EEENS1_25partition_config_selectorILNS1_17partition_subalgoE4EjNS0_10empty_typeEbEEZZNS1_14partition_implILS8_4ELb0ES6_15HIP_vector_typeIjLj2EENS0_17counting_iteratorIjlEEPS9_SG_NS0_5tupleIJPjSI_NS0_16reverse_iteratorISI_EEEEENSH_IJSG_SG_SG_EEES9_SI_JZNS1_25segmented_radix_sort_implINS0_14default_configELb0EPK6__halfPSP_PKlPlN2at6native12_GLOBAL__N_18offset_tEEE10hipError_tPvRmT1_PNSt15iterator_traitsIS13_E10value_typeET2_T3_PNS14_IS19_E10value_typeET4_jRbjT5_S1F_jjP12ihipStream_tbEUljE_ZNSN_ISO_Lb0ESR_SS_SU_SV_SZ_EES10_S11_S12_S13_S17_S18_S19_S1C_S1D_jS1E_jS1F_S1F_jjS1H_bEUljE0_EEES10_S11_S12_S19_S1D_S1F_T6_T7_T9_mT8_S1H_bDpT10_ENKUlT_T0_E_clISt17integral_constantIbLb1EES1V_EEDaS1Q_S1R_EUlS1Q_E_NS1_11comp_targetILNS1_3genE10ELNS1_11target_archE1200ELNS1_3gpuE4ELNS1_3repE0EEENS1_30default_config_static_selectorELNS0_4arch9wavefront6targetE0EEEvS13_: ; @_ZN7rocprim17ROCPRIM_400000_NS6detail17trampoline_kernelINS0_13select_configILj256ELj13ELNS0_17block_load_methodE3ELS4_3ELS4_3ELNS0_20block_scan_algorithmE0ELj4294967295EEENS1_25partition_config_selectorILNS1_17partition_subalgoE4EjNS0_10empty_typeEbEEZZNS1_14partition_implILS8_4ELb0ES6_15HIP_vector_typeIjLj2EENS0_17counting_iteratorIjlEEPS9_SG_NS0_5tupleIJPjSI_NS0_16reverse_iteratorISI_EEEEENSH_IJSG_SG_SG_EEES9_SI_JZNS1_25segmented_radix_sort_implINS0_14default_configELb0EPK6__halfPSP_PKlPlN2at6native12_GLOBAL__N_18offset_tEEE10hipError_tPvRmT1_PNSt15iterator_traitsIS13_E10value_typeET2_T3_PNS14_IS19_E10value_typeET4_jRbjT5_S1F_jjP12ihipStream_tbEUljE_ZNSN_ISO_Lb0ESR_SS_SU_SV_SZ_EES10_S11_S12_S13_S17_S18_S19_S1C_S1D_jS1E_jS1F_S1F_jjS1H_bEUljE0_EEES10_S11_S12_S19_S1D_S1F_T6_T7_T9_mT8_S1H_bDpT10_ENKUlT_T0_E_clISt17integral_constantIbLb1EES1V_EEDaS1Q_S1R_EUlS1Q_E_NS1_11comp_targetILNS1_3genE10ELNS1_11target_archE1200ELNS1_3gpuE4ELNS1_3repE0EEENS1_30default_config_static_selectorELNS0_4arch9wavefront6targetE0EEEvS13_
; %bb.0:
	.section	.rodata,"a",@progbits
	.p2align	6, 0x0
	.amdhsa_kernel _ZN7rocprim17ROCPRIM_400000_NS6detail17trampoline_kernelINS0_13select_configILj256ELj13ELNS0_17block_load_methodE3ELS4_3ELS4_3ELNS0_20block_scan_algorithmE0ELj4294967295EEENS1_25partition_config_selectorILNS1_17partition_subalgoE4EjNS0_10empty_typeEbEEZZNS1_14partition_implILS8_4ELb0ES6_15HIP_vector_typeIjLj2EENS0_17counting_iteratorIjlEEPS9_SG_NS0_5tupleIJPjSI_NS0_16reverse_iteratorISI_EEEEENSH_IJSG_SG_SG_EEES9_SI_JZNS1_25segmented_radix_sort_implINS0_14default_configELb0EPK6__halfPSP_PKlPlN2at6native12_GLOBAL__N_18offset_tEEE10hipError_tPvRmT1_PNSt15iterator_traitsIS13_E10value_typeET2_T3_PNS14_IS19_E10value_typeET4_jRbjT5_S1F_jjP12ihipStream_tbEUljE_ZNSN_ISO_Lb0ESR_SS_SU_SV_SZ_EES10_S11_S12_S13_S17_S18_S19_S1C_S1D_jS1E_jS1F_S1F_jjS1H_bEUljE0_EEES10_S11_S12_S19_S1D_S1F_T6_T7_T9_mT8_S1H_bDpT10_ENKUlT_T0_E_clISt17integral_constantIbLb1EES1V_EEDaS1Q_S1R_EUlS1Q_E_NS1_11comp_targetILNS1_3genE10ELNS1_11target_archE1200ELNS1_3gpuE4ELNS1_3repE0EEENS1_30default_config_static_selectorELNS0_4arch9wavefront6targetE0EEEvS13_
		.amdhsa_group_segment_fixed_size 0
		.amdhsa_private_segment_fixed_size 0
		.amdhsa_kernarg_size 184
		.amdhsa_user_sgpr_count 15
		.amdhsa_user_sgpr_dispatch_ptr 0
		.amdhsa_user_sgpr_queue_ptr 0
		.amdhsa_user_sgpr_kernarg_segment_ptr 1
		.amdhsa_user_sgpr_dispatch_id 0
		.amdhsa_user_sgpr_private_segment_size 0
		.amdhsa_wavefront_size32 1
		.amdhsa_uses_dynamic_stack 0
		.amdhsa_enable_private_segment 0
		.amdhsa_system_sgpr_workgroup_id_x 1
		.amdhsa_system_sgpr_workgroup_id_y 0
		.amdhsa_system_sgpr_workgroup_id_z 0
		.amdhsa_system_sgpr_workgroup_info 0
		.amdhsa_system_vgpr_workitem_id 0
		.amdhsa_next_free_vgpr 1
		.amdhsa_next_free_sgpr 1
		.amdhsa_reserve_vcc 0
		.amdhsa_float_round_mode_32 0
		.amdhsa_float_round_mode_16_64 0
		.amdhsa_float_denorm_mode_32 3
		.amdhsa_float_denorm_mode_16_64 3
		.amdhsa_dx10_clamp 1
		.amdhsa_ieee_mode 1
		.amdhsa_fp16_overflow 0
		.amdhsa_workgroup_processor_mode 1
		.amdhsa_memory_ordered 1
		.amdhsa_forward_progress 0
		.amdhsa_shared_vgpr_count 0
		.amdhsa_exception_fp_ieee_invalid_op 0
		.amdhsa_exception_fp_denorm_src 0
		.amdhsa_exception_fp_ieee_div_zero 0
		.amdhsa_exception_fp_ieee_overflow 0
		.amdhsa_exception_fp_ieee_underflow 0
		.amdhsa_exception_fp_ieee_inexact 0
		.amdhsa_exception_int_div_zero 0
	.end_amdhsa_kernel
	.section	.text._ZN7rocprim17ROCPRIM_400000_NS6detail17trampoline_kernelINS0_13select_configILj256ELj13ELNS0_17block_load_methodE3ELS4_3ELS4_3ELNS0_20block_scan_algorithmE0ELj4294967295EEENS1_25partition_config_selectorILNS1_17partition_subalgoE4EjNS0_10empty_typeEbEEZZNS1_14partition_implILS8_4ELb0ES6_15HIP_vector_typeIjLj2EENS0_17counting_iteratorIjlEEPS9_SG_NS0_5tupleIJPjSI_NS0_16reverse_iteratorISI_EEEEENSH_IJSG_SG_SG_EEES9_SI_JZNS1_25segmented_radix_sort_implINS0_14default_configELb0EPK6__halfPSP_PKlPlN2at6native12_GLOBAL__N_18offset_tEEE10hipError_tPvRmT1_PNSt15iterator_traitsIS13_E10value_typeET2_T3_PNS14_IS19_E10value_typeET4_jRbjT5_S1F_jjP12ihipStream_tbEUljE_ZNSN_ISO_Lb0ESR_SS_SU_SV_SZ_EES10_S11_S12_S13_S17_S18_S19_S1C_S1D_jS1E_jS1F_S1F_jjS1H_bEUljE0_EEES10_S11_S12_S19_S1D_S1F_T6_T7_T9_mT8_S1H_bDpT10_ENKUlT_T0_E_clISt17integral_constantIbLb1EES1V_EEDaS1Q_S1R_EUlS1Q_E_NS1_11comp_targetILNS1_3genE10ELNS1_11target_archE1200ELNS1_3gpuE4ELNS1_3repE0EEENS1_30default_config_static_selectorELNS0_4arch9wavefront6targetE0EEEvS13_,"axG",@progbits,_ZN7rocprim17ROCPRIM_400000_NS6detail17trampoline_kernelINS0_13select_configILj256ELj13ELNS0_17block_load_methodE3ELS4_3ELS4_3ELNS0_20block_scan_algorithmE0ELj4294967295EEENS1_25partition_config_selectorILNS1_17partition_subalgoE4EjNS0_10empty_typeEbEEZZNS1_14partition_implILS8_4ELb0ES6_15HIP_vector_typeIjLj2EENS0_17counting_iteratorIjlEEPS9_SG_NS0_5tupleIJPjSI_NS0_16reverse_iteratorISI_EEEEENSH_IJSG_SG_SG_EEES9_SI_JZNS1_25segmented_radix_sort_implINS0_14default_configELb0EPK6__halfPSP_PKlPlN2at6native12_GLOBAL__N_18offset_tEEE10hipError_tPvRmT1_PNSt15iterator_traitsIS13_E10value_typeET2_T3_PNS14_IS19_E10value_typeET4_jRbjT5_S1F_jjP12ihipStream_tbEUljE_ZNSN_ISO_Lb0ESR_SS_SU_SV_SZ_EES10_S11_S12_S13_S17_S18_S19_S1C_S1D_jS1E_jS1F_S1F_jjS1H_bEUljE0_EEES10_S11_S12_S19_S1D_S1F_T6_T7_T9_mT8_S1H_bDpT10_ENKUlT_T0_E_clISt17integral_constantIbLb1EES1V_EEDaS1Q_S1R_EUlS1Q_E_NS1_11comp_targetILNS1_3genE10ELNS1_11target_archE1200ELNS1_3gpuE4ELNS1_3repE0EEENS1_30default_config_static_selectorELNS0_4arch9wavefront6targetE0EEEvS13_,comdat
.Lfunc_end1791:
	.size	_ZN7rocprim17ROCPRIM_400000_NS6detail17trampoline_kernelINS0_13select_configILj256ELj13ELNS0_17block_load_methodE3ELS4_3ELS4_3ELNS0_20block_scan_algorithmE0ELj4294967295EEENS1_25partition_config_selectorILNS1_17partition_subalgoE4EjNS0_10empty_typeEbEEZZNS1_14partition_implILS8_4ELb0ES6_15HIP_vector_typeIjLj2EENS0_17counting_iteratorIjlEEPS9_SG_NS0_5tupleIJPjSI_NS0_16reverse_iteratorISI_EEEEENSH_IJSG_SG_SG_EEES9_SI_JZNS1_25segmented_radix_sort_implINS0_14default_configELb0EPK6__halfPSP_PKlPlN2at6native12_GLOBAL__N_18offset_tEEE10hipError_tPvRmT1_PNSt15iterator_traitsIS13_E10value_typeET2_T3_PNS14_IS19_E10value_typeET4_jRbjT5_S1F_jjP12ihipStream_tbEUljE_ZNSN_ISO_Lb0ESR_SS_SU_SV_SZ_EES10_S11_S12_S13_S17_S18_S19_S1C_S1D_jS1E_jS1F_S1F_jjS1H_bEUljE0_EEES10_S11_S12_S19_S1D_S1F_T6_T7_T9_mT8_S1H_bDpT10_ENKUlT_T0_E_clISt17integral_constantIbLb1EES1V_EEDaS1Q_S1R_EUlS1Q_E_NS1_11comp_targetILNS1_3genE10ELNS1_11target_archE1200ELNS1_3gpuE4ELNS1_3repE0EEENS1_30default_config_static_selectorELNS0_4arch9wavefront6targetE0EEEvS13_, .Lfunc_end1791-_ZN7rocprim17ROCPRIM_400000_NS6detail17trampoline_kernelINS0_13select_configILj256ELj13ELNS0_17block_load_methodE3ELS4_3ELS4_3ELNS0_20block_scan_algorithmE0ELj4294967295EEENS1_25partition_config_selectorILNS1_17partition_subalgoE4EjNS0_10empty_typeEbEEZZNS1_14partition_implILS8_4ELb0ES6_15HIP_vector_typeIjLj2EENS0_17counting_iteratorIjlEEPS9_SG_NS0_5tupleIJPjSI_NS0_16reverse_iteratorISI_EEEEENSH_IJSG_SG_SG_EEES9_SI_JZNS1_25segmented_radix_sort_implINS0_14default_configELb0EPK6__halfPSP_PKlPlN2at6native12_GLOBAL__N_18offset_tEEE10hipError_tPvRmT1_PNSt15iterator_traitsIS13_E10value_typeET2_T3_PNS14_IS19_E10value_typeET4_jRbjT5_S1F_jjP12ihipStream_tbEUljE_ZNSN_ISO_Lb0ESR_SS_SU_SV_SZ_EES10_S11_S12_S13_S17_S18_S19_S1C_S1D_jS1E_jS1F_S1F_jjS1H_bEUljE0_EEES10_S11_S12_S19_S1D_S1F_T6_T7_T9_mT8_S1H_bDpT10_ENKUlT_T0_E_clISt17integral_constantIbLb1EES1V_EEDaS1Q_S1R_EUlS1Q_E_NS1_11comp_targetILNS1_3genE10ELNS1_11target_archE1200ELNS1_3gpuE4ELNS1_3repE0EEENS1_30default_config_static_selectorELNS0_4arch9wavefront6targetE0EEEvS13_
                                        ; -- End function
	.section	.AMDGPU.csdata,"",@progbits
; Kernel info:
; codeLenInByte = 0
; NumSgprs: 0
; NumVgprs: 0
; ScratchSize: 0
; MemoryBound: 0
; FloatMode: 240
; IeeeMode: 1
; LDSByteSize: 0 bytes/workgroup (compile time only)
; SGPRBlocks: 0
; VGPRBlocks: 0
; NumSGPRsForWavesPerEU: 1
; NumVGPRsForWavesPerEU: 1
; Occupancy: 16
; WaveLimiterHint : 0
; COMPUTE_PGM_RSRC2:SCRATCH_EN: 0
; COMPUTE_PGM_RSRC2:USER_SGPR: 15
; COMPUTE_PGM_RSRC2:TRAP_HANDLER: 0
; COMPUTE_PGM_RSRC2:TGID_X_EN: 1
; COMPUTE_PGM_RSRC2:TGID_Y_EN: 0
; COMPUTE_PGM_RSRC2:TGID_Z_EN: 0
; COMPUTE_PGM_RSRC2:TIDIG_COMP_CNT: 0
	.section	.text._ZN7rocprim17ROCPRIM_400000_NS6detail17trampoline_kernelINS0_13select_configILj256ELj13ELNS0_17block_load_methodE3ELS4_3ELS4_3ELNS0_20block_scan_algorithmE0ELj4294967295EEENS1_25partition_config_selectorILNS1_17partition_subalgoE4EjNS0_10empty_typeEbEEZZNS1_14partition_implILS8_4ELb0ES6_15HIP_vector_typeIjLj2EENS0_17counting_iteratorIjlEEPS9_SG_NS0_5tupleIJPjSI_NS0_16reverse_iteratorISI_EEEEENSH_IJSG_SG_SG_EEES9_SI_JZNS1_25segmented_radix_sort_implINS0_14default_configELb0EPK6__halfPSP_PKlPlN2at6native12_GLOBAL__N_18offset_tEEE10hipError_tPvRmT1_PNSt15iterator_traitsIS13_E10value_typeET2_T3_PNS14_IS19_E10value_typeET4_jRbjT5_S1F_jjP12ihipStream_tbEUljE_ZNSN_ISO_Lb0ESR_SS_SU_SV_SZ_EES10_S11_S12_S13_S17_S18_S19_S1C_S1D_jS1E_jS1F_S1F_jjS1H_bEUljE0_EEES10_S11_S12_S19_S1D_S1F_T6_T7_T9_mT8_S1H_bDpT10_ENKUlT_T0_E_clISt17integral_constantIbLb1EES1V_EEDaS1Q_S1R_EUlS1Q_E_NS1_11comp_targetILNS1_3genE9ELNS1_11target_archE1100ELNS1_3gpuE3ELNS1_3repE0EEENS1_30default_config_static_selectorELNS0_4arch9wavefront6targetE0EEEvS13_,"axG",@progbits,_ZN7rocprim17ROCPRIM_400000_NS6detail17trampoline_kernelINS0_13select_configILj256ELj13ELNS0_17block_load_methodE3ELS4_3ELS4_3ELNS0_20block_scan_algorithmE0ELj4294967295EEENS1_25partition_config_selectorILNS1_17partition_subalgoE4EjNS0_10empty_typeEbEEZZNS1_14partition_implILS8_4ELb0ES6_15HIP_vector_typeIjLj2EENS0_17counting_iteratorIjlEEPS9_SG_NS0_5tupleIJPjSI_NS0_16reverse_iteratorISI_EEEEENSH_IJSG_SG_SG_EEES9_SI_JZNS1_25segmented_radix_sort_implINS0_14default_configELb0EPK6__halfPSP_PKlPlN2at6native12_GLOBAL__N_18offset_tEEE10hipError_tPvRmT1_PNSt15iterator_traitsIS13_E10value_typeET2_T3_PNS14_IS19_E10value_typeET4_jRbjT5_S1F_jjP12ihipStream_tbEUljE_ZNSN_ISO_Lb0ESR_SS_SU_SV_SZ_EES10_S11_S12_S13_S17_S18_S19_S1C_S1D_jS1E_jS1F_S1F_jjS1H_bEUljE0_EEES10_S11_S12_S19_S1D_S1F_T6_T7_T9_mT8_S1H_bDpT10_ENKUlT_T0_E_clISt17integral_constantIbLb1EES1V_EEDaS1Q_S1R_EUlS1Q_E_NS1_11comp_targetILNS1_3genE9ELNS1_11target_archE1100ELNS1_3gpuE3ELNS1_3repE0EEENS1_30default_config_static_selectorELNS0_4arch9wavefront6targetE0EEEvS13_,comdat
	.globl	_ZN7rocprim17ROCPRIM_400000_NS6detail17trampoline_kernelINS0_13select_configILj256ELj13ELNS0_17block_load_methodE3ELS4_3ELS4_3ELNS0_20block_scan_algorithmE0ELj4294967295EEENS1_25partition_config_selectorILNS1_17partition_subalgoE4EjNS0_10empty_typeEbEEZZNS1_14partition_implILS8_4ELb0ES6_15HIP_vector_typeIjLj2EENS0_17counting_iteratorIjlEEPS9_SG_NS0_5tupleIJPjSI_NS0_16reverse_iteratorISI_EEEEENSH_IJSG_SG_SG_EEES9_SI_JZNS1_25segmented_radix_sort_implINS0_14default_configELb0EPK6__halfPSP_PKlPlN2at6native12_GLOBAL__N_18offset_tEEE10hipError_tPvRmT1_PNSt15iterator_traitsIS13_E10value_typeET2_T3_PNS14_IS19_E10value_typeET4_jRbjT5_S1F_jjP12ihipStream_tbEUljE_ZNSN_ISO_Lb0ESR_SS_SU_SV_SZ_EES10_S11_S12_S13_S17_S18_S19_S1C_S1D_jS1E_jS1F_S1F_jjS1H_bEUljE0_EEES10_S11_S12_S19_S1D_S1F_T6_T7_T9_mT8_S1H_bDpT10_ENKUlT_T0_E_clISt17integral_constantIbLb1EES1V_EEDaS1Q_S1R_EUlS1Q_E_NS1_11comp_targetILNS1_3genE9ELNS1_11target_archE1100ELNS1_3gpuE3ELNS1_3repE0EEENS1_30default_config_static_selectorELNS0_4arch9wavefront6targetE0EEEvS13_ ; -- Begin function _ZN7rocprim17ROCPRIM_400000_NS6detail17trampoline_kernelINS0_13select_configILj256ELj13ELNS0_17block_load_methodE3ELS4_3ELS4_3ELNS0_20block_scan_algorithmE0ELj4294967295EEENS1_25partition_config_selectorILNS1_17partition_subalgoE4EjNS0_10empty_typeEbEEZZNS1_14partition_implILS8_4ELb0ES6_15HIP_vector_typeIjLj2EENS0_17counting_iteratorIjlEEPS9_SG_NS0_5tupleIJPjSI_NS0_16reverse_iteratorISI_EEEEENSH_IJSG_SG_SG_EEES9_SI_JZNS1_25segmented_radix_sort_implINS0_14default_configELb0EPK6__halfPSP_PKlPlN2at6native12_GLOBAL__N_18offset_tEEE10hipError_tPvRmT1_PNSt15iterator_traitsIS13_E10value_typeET2_T3_PNS14_IS19_E10value_typeET4_jRbjT5_S1F_jjP12ihipStream_tbEUljE_ZNSN_ISO_Lb0ESR_SS_SU_SV_SZ_EES10_S11_S12_S13_S17_S18_S19_S1C_S1D_jS1E_jS1F_S1F_jjS1H_bEUljE0_EEES10_S11_S12_S19_S1D_S1F_T6_T7_T9_mT8_S1H_bDpT10_ENKUlT_T0_E_clISt17integral_constantIbLb1EES1V_EEDaS1Q_S1R_EUlS1Q_E_NS1_11comp_targetILNS1_3genE9ELNS1_11target_archE1100ELNS1_3gpuE3ELNS1_3repE0EEENS1_30default_config_static_selectorELNS0_4arch9wavefront6targetE0EEEvS13_
	.p2align	8
	.type	_ZN7rocprim17ROCPRIM_400000_NS6detail17trampoline_kernelINS0_13select_configILj256ELj13ELNS0_17block_load_methodE3ELS4_3ELS4_3ELNS0_20block_scan_algorithmE0ELj4294967295EEENS1_25partition_config_selectorILNS1_17partition_subalgoE4EjNS0_10empty_typeEbEEZZNS1_14partition_implILS8_4ELb0ES6_15HIP_vector_typeIjLj2EENS0_17counting_iteratorIjlEEPS9_SG_NS0_5tupleIJPjSI_NS0_16reverse_iteratorISI_EEEEENSH_IJSG_SG_SG_EEES9_SI_JZNS1_25segmented_radix_sort_implINS0_14default_configELb0EPK6__halfPSP_PKlPlN2at6native12_GLOBAL__N_18offset_tEEE10hipError_tPvRmT1_PNSt15iterator_traitsIS13_E10value_typeET2_T3_PNS14_IS19_E10value_typeET4_jRbjT5_S1F_jjP12ihipStream_tbEUljE_ZNSN_ISO_Lb0ESR_SS_SU_SV_SZ_EES10_S11_S12_S13_S17_S18_S19_S1C_S1D_jS1E_jS1F_S1F_jjS1H_bEUljE0_EEES10_S11_S12_S19_S1D_S1F_T6_T7_T9_mT8_S1H_bDpT10_ENKUlT_T0_E_clISt17integral_constantIbLb1EES1V_EEDaS1Q_S1R_EUlS1Q_E_NS1_11comp_targetILNS1_3genE9ELNS1_11target_archE1100ELNS1_3gpuE3ELNS1_3repE0EEENS1_30default_config_static_selectorELNS0_4arch9wavefront6targetE0EEEvS13_,@function
_ZN7rocprim17ROCPRIM_400000_NS6detail17trampoline_kernelINS0_13select_configILj256ELj13ELNS0_17block_load_methodE3ELS4_3ELS4_3ELNS0_20block_scan_algorithmE0ELj4294967295EEENS1_25partition_config_selectorILNS1_17partition_subalgoE4EjNS0_10empty_typeEbEEZZNS1_14partition_implILS8_4ELb0ES6_15HIP_vector_typeIjLj2EENS0_17counting_iteratorIjlEEPS9_SG_NS0_5tupleIJPjSI_NS0_16reverse_iteratorISI_EEEEENSH_IJSG_SG_SG_EEES9_SI_JZNS1_25segmented_radix_sort_implINS0_14default_configELb0EPK6__halfPSP_PKlPlN2at6native12_GLOBAL__N_18offset_tEEE10hipError_tPvRmT1_PNSt15iterator_traitsIS13_E10value_typeET2_T3_PNS14_IS19_E10value_typeET4_jRbjT5_S1F_jjP12ihipStream_tbEUljE_ZNSN_ISO_Lb0ESR_SS_SU_SV_SZ_EES10_S11_S12_S13_S17_S18_S19_S1C_S1D_jS1E_jS1F_S1F_jjS1H_bEUljE0_EEES10_S11_S12_S19_S1D_S1F_T6_T7_T9_mT8_S1H_bDpT10_ENKUlT_T0_E_clISt17integral_constantIbLb1EES1V_EEDaS1Q_S1R_EUlS1Q_E_NS1_11comp_targetILNS1_3genE9ELNS1_11target_archE1100ELNS1_3gpuE3ELNS1_3repE0EEENS1_30default_config_static_selectorELNS0_4arch9wavefront6targetE0EEEvS13_: ; @_ZN7rocprim17ROCPRIM_400000_NS6detail17trampoline_kernelINS0_13select_configILj256ELj13ELNS0_17block_load_methodE3ELS4_3ELS4_3ELNS0_20block_scan_algorithmE0ELj4294967295EEENS1_25partition_config_selectorILNS1_17partition_subalgoE4EjNS0_10empty_typeEbEEZZNS1_14partition_implILS8_4ELb0ES6_15HIP_vector_typeIjLj2EENS0_17counting_iteratorIjlEEPS9_SG_NS0_5tupleIJPjSI_NS0_16reverse_iteratorISI_EEEEENSH_IJSG_SG_SG_EEES9_SI_JZNS1_25segmented_radix_sort_implINS0_14default_configELb0EPK6__halfPSP_PKlPlN2at6native12_GLOBAL__N_18offset_tEEE10hipError_tPvRmT1_PNSt15iterator_traitsIS13_E10value_typeET2_T3_PNS14_IS19_E10value_typeET4_jRbjT5_S1F_jjP12ihipStream_tbEUljE_ZNSN_ISO_Lb0ESR_SS_SU_SV_SZ_EES10_S11_S12_S13_S17_S18_S19_S1C_S1D_jS1E_jS1F_S1F_jjS1H_bEUljE0_EEES10_S11_S12_S19_S1D_S1F_T6_T7_T9_mT8_S1H_bDpT10_ENKUlT_T0_E_clISt17integral_constantIbLb1EES1V_EEDaS1Q_S1R_EUlS1Q_E_NS1_11comp_targetILNS1_3genE9ELNS1_11target_archE1100ELNS1_3gpuE3ELNS1_3repE0EEENS1_30default_config_static_selectorELNS0_4arch9wavefront6targetE0EEEvS13_
; %bb.0:
	s_clause 0x7
	s_load_b64 s[34:35], s[0:1], 0x10
	s_load_b128 s[28:31], s[0:1], 0x28
	s_load_b64 s[14:15], s[0:1], 0x38
	s_load_b128 s[24:27], s[0:1], 0x58
	s_load_b64 s[4:5], s[0:1], 0x68
	s_load_b64 s[36:37], s[0:1], 0x78
	;; [unrolled: 1-line block ×3, first 2 shown]
	s_load_b256 s[16:23], s[0:1], 0x90
	v_cmp_eq_u32_e64 s2, 0, v0
	s_delay_alu instid0(VALU_DEP_1)
	s_and_saveexec_b32 s3, s2
	s_cbranch_execz .LBB1792_4
; %bb.1:
	s_mov_b32 s7, exec_lo
	s_mov_b32 s6, exec_lo
	v_mbcnt_lo_u32_b32 v1, s7, 0
                                        ; implicit-def: $vgpr2
	s_delay_alu instid0(VALU_DEP_1)
	v_cmpx_eq_u32_e32 0, v1
	s_cbranch_execz .LBB1792_3
; %bb.2:
	s_load_b64 s[8:9], s[0:1], 0x88
	s_bcnt1_i32_b32 s7, s7
	s_delay_alu instid0(SALU_CYCLE_1)
	v_dual_mov_b32 v2, 0 :: v_dual_mov_b32 v3, s7
	s_waitcnt lgkmcnt(0)
	global_atomic_add_u32 v2, v2, v3, s[8:9] glc
.LBB1792_3:
	s_or_b32 exec_lo, exec_lo, s6
	s_waitcnt vmcnt(0)
	v_readfirstlane_b32 s6, v2
	s_delay_alu instid0(VALU_DEP_1)
	v_dual_mov_b32 v2, 0 :: v_dual_add_nc_u32 v1, s6, v1
	ds_store_b32 v2, v1
.LBB1792_4:
	s_or_b32 exec_lo, exec_lo, s3
	v_mov_b32_e32 v1, 0
	s_clause 0x1
	s_load_b32 s3, s[0:1], 0x8
	s_load_b32 s0, s[0:1], 0x80
	s_waitcnt lgkmcnt(0)
	s_barrier
	buffer_gl0_inv
	ds_load_b32 v5, v1
	s_waitcnt lgkmcnt(0)
	s_barrier
	buffer_gl0_inv
	global_load_b128 v[1:4], v1, s[26:27]
	s_add_i32 s3, s3, s34
	s_mul_i32 s1, s0, 0xd00
	s_add_i32 s0, s0, -1
	s_add_u32 s6, s34, s1
	s_addc_u32 s7, s35, 0
	v_mul_lo_u32 v30, 0xd00, v5
	v_readfirstlane_b32 s26, v5
	v_cmp_lt_u64_e64 s5, s[6:7], s[4:5]
	v_cmp_ne_u32_e32 vcc_lo, s0, v5
	s_delay_alu instid0(VALU_DEP_3) | instskip(SKIP_1) | instid1(VALU_DEP_4)
	s_cmp_eq_u32 s26, s0
	s_cselect_b32 s13, -1, 0
	v_add3_u32 v5, v30, s3, v0
	s_delay_alu instid0(VALU_DEP_3) | instskip(SKIP_2) | instid1(VALU_DEP_1)
	s_or_b32 s0, s5, vcc_lo
	s_mov_b32 s3, -1
	s_and_b32 vcc_lo, exec_lo, s0
	v_add_nc_u32_e32 v6, 0x100, v5
	v_add_nc_u32_e32 v7, 0x200, v5
	;; [unrolled: 1-line block ×12, first 2 shown]
	s_cbranch_vccz .LBB1792_6
; %bb.5:
	v_lshlrev_b32_e32 v18, 2, v0
	s_mov_b32 s3, 0
	ds_store_2addr_stride64_b32 v18, v5, v6 offset1:4
	ds_store_2addr_stride64_b32 v18, v7, v8 offset0:8 offset1:12
	ds_store_2addr_stride64_b32 v18, v9, v10 offset0:16 offset1:20
	;; [unrolled: 1-line block ×5, first 2 shown]
	ds_store_b32 v18, v17 offset:12288
	s_waitcnt vmcnt(0) lgkmcnt(0)
	s_barrier
.LBB1792_6:
	s_and_not1_b32 vcc_lo, exec_lo, s3
	s_add_i32 s1, s1, s34
	s_cbranch_vccnz .LBB1792_8
; %bb.7:
	v_lshlrev_b32_e32 v18, 2, v0
	ds_store_2addr_stride64_b32 v18, v5, v6 offset1:4
	ds_store_2addr_stride64_b32 v18, v7, v8 offset0:8 offset1:12
	ds_store_2addr_stride64_b32 v18, v9, v10 offset0:16 offset1:20
	;; [unrolled: 1-line block ×5, first 2 shown]
	ds_store_b32 v18, v17 offset:12288
	s_waitcnt vmcnt(0) lgkmcnt(0)
	s_barrier
.LBB1792_8:
	v_mul_u32_u24_e32 v33, 13, v0
	s_waitcnt vmcnt(0)
	buffer_gl0_inv
	v_cndmask_b32_e64 v31, 0, 1, s0
	s_sub_i32 s40, s4, s1
	s_and_not1_b32 vcc_lo, exec_lo, s0
	v_lshlrev_b32_e32 v5, 2, v33
	ds_load_2addr_b32 v[20:21], v5 offset1:1
	ds_load_2addr_b32 v[18:19], v5 offset0:2 offset1:3
	ds_load_2addr_b32 v[16:17], v5 offset0:4 offset1:5
	;; [unrolled: 1-line block ×5, first 2 shown]
	ds_load_b32 v32, v5 offset:48
	s_waitcnt lgkmcnt(0)
	s_barrier
	buffer_gl0_inv
	s_cbranch_vccnz .LBB1792_36
; %bb.9:
	v_add_nc_u32_e32 v5, s17, v20
	v_add_nc_u32_e32 v6, s19, v20
	s_mov_b32 s42, 0
	s_mov_b32 s41, 0
	s_mov_b32 s1, exec_lo
	v_mul_lo_u32 v5, v5, s16
	v_mul_lo_u32 v6, v6, s18
	s_delay_alu instid0(VALU_DEP_1) | instskip(NEXT) | instid1(VALU_DEP_1)
	v_sub_nc_u32_e32 v5, v5, v6
	v_cmp_lt_u32_e32 vcc_lo, s20, v5
	v_cmpx_ge_u32_e64 s20, v5
; %bb.10:
	v_add_nc_u32_e32 v5, s22, v20
	v_add_nc_u32_e32 v6, s38, v20
	s_delay_alu instid0(VALU_DEP_2) | instskip(NEXT) | instid1(VALU_DEP_2)
	v_mul_lo_u32 v5, v5, s21
	v_mul_lo_u32 v6, v6, s23
	s_delay_alu instid0(VALU_DEP_1) | instskip(NEXT) | instid1(VALU_DEP_1)
	v_sub_nc_u32_e32 v5, v5, v6
	v_cmp_lt_u32_e64 s0, s39, v5
	s_delay_alu instid0(VALU_DEP_1)
	s_and_b32 s41, s0, exec_lo
; %bb.11:
	s_or_b32 exec_lo, exec_lo, s1
	v_add_nc_u32_e32 v5, s17, v21
	v_add_nc_u32_e32 v6, s19, v21
	s_mov_b32 s3, exec_lo
	s_delay_alu instid0(VALU_DEP_2) | instskip(NEXT) | instid1(VALU_DEP_2)
	v_mul_lo_u32 v5, v5, s16
	v_mul_lo_u32 v6, v6, s18
	s_delay_alu instid0(VALU_DEP_1) | instskip(NEXT) | instid1(VALU_DEP_1)
	v_sub_nc_u32_e32 v5, v5, v6
	v_cmp_lt_u32_e64 s0, s20, v5
	v_cmpx_ge_u32_e64 s20, v5
; %bb.12:
	v_add_nc_u32_e32 v5, s22, v21
	v_add_nc_u32_e32 v6, s38, v21
	s_delay_alu instid0(VALU_DEP_2) | instskip(NEXT) | instid1(VALU_DEP_2)
	v_mul_lo_u32 v5, v5, s21
	v_mul_lo_u32 v6, v6, s23
	s_delay_alu instid0(VALU_DEP_1) | instskip(NEXT) | instid1(VALU_DEP_1)
	v_sub_nc_u32_e32 v5, v5, v6
	v_cmp_lt_u32_e64 s1, s39, v5
	s_delay_alu instid0(VALU_DEP_1)
	s_and_b32 s42, s1, exec_lo
; %bb.13:
	s_or_b32 exec_lo, exec_lo, s3
	v_add_nc_u32_e32 v5, s17, v18
	v_add_nc_u32_e32 v6, s19, v18
	s_mov_b32 s44, 0
	s_mov_b32 s43, 0
	s_mov_b32 s4, exec_lo
	v_mul_lo_u32 v5, v5, s16
	v_mul_lo_u32 v6, v6, s18
	s_delay_alu instid0(VALU_DEP_1) | instskip(NEXT) | instid1(VALU_DEP_1)
	v_sub_nc_u32_e32 v5, v5, v6
	v_cmp_lt_u32_e64 s1, s20, v5
	v_cmpx_ge_u32_e64 s20, v5
; %bb.14:
	v_add_nc_u32_e32 v5, s22, v18
	v_add_nc_u32_e32 v6, s38, v18
	s_delay_alu instid0(VALU_DEP_2) | instskip(NEXT) | instid1(VALU_DEP_2)
	v_mul_lo_u32 v5, v5, s21
	v_mul_lo_u32 v6, v6, s23
	s_delay_alu instid0(VALU_DEP_1) | instskip(NEXT) | instid1(VALU_DEP_1)
	v_sub_nc_u32_e32 v5, v5, v6
	v_cmp_lt_u32_e64 s3, s39, v5
	s_delay_alu instid0(VALU_DEP_1)
	s_and_b32 s43, s3, exec_lo
; %bb.15:
	s_or_b32 exec_lo, exec_lo, s4
	v_add_nc_u32_e32 v5, s17, v19
	v_add_nc_u32_e32 v6, s19, v19
	s_mov_b32 s5, exec_lo
	s_delay_alu instid0(VALU_DEP_2) | instskip(NEXT) | instid1(VALU_DEP_2)
	v_mul_lo_u32 v5, v5, s16
	v_mul_lo_u32 v6, v6, s18
	s_delay_alu instid0(VALU_DEP_1) | instskip(NEXT) | instid1(VALU_DEP_1)
	v_sub_nc_u32_e32 v5, v5, v6
	v_cmp_lt_u32_e64 s3, s20, v5
	v_cmpx_ge_u32_e64 s20, v5
; %bb.16:
	v_add_nc_u32_e32 v5, s22, v19
	v_add_nc_u32_e32 v6, s38, v19
	s_delay_alu instid0(VALU_DEP_2) | instskip(NEXT) | instid1(VALU_DEP_2)
	v_mul_lo_u32 v5, v5, s21
	v_mul_lo_u32 v6, v6, s23
	s_delay_alu instid0(VALU_DEP_1) | instskip(NEXT) | instid1(VALU_DEP_1)
	v_sub_nc_u32_e32 v5, v5, v6
	v_cmp_lt_u32_e64 s4, s39, v5
	s_delay_alu instid0(VALU_DEP_1)
	s_and_b32 s44, s4, exec_lo
; %bb.17:
	s_or_b32 exec_lo, exec_lo, s5
	v_add_nc_u32_e32 v5, s17, v16
	v_add_nc_u32_e32 v6, s19, v16
	s_mov_b32 s46, 0
	s_mov_b32 s45, 0
	s_mov_b32 s6, exec_lo
	v_mul_lo_u32 v5, v5, s16
	v_mul_lo_u32 v6, v6, s18
	s_delay_alu instid0(VALU_DEP_1) | instskip(NEXT) | instid1(VALU_DEP_1)
	v_sub_nc_u32_e32 v5, v5, v6
	v_cmp_lt_u32_e64 s4, s20, v5
	v_cmpx_ge_u32_e64 s20, v5
; %bb.18:
	v_add_nc_u32_e32 v5, s22, v16
	v_add_nc_u32_e32 v6, s38, v16
	s_delay_alu instid0(VALU_DEP_2) | instskip(NEXT) | instid1(VALU_DEP_2)
	v_mul_lo_u32 v5, v5, s21
	v_mul_lo_u32 v6, v6, s23
	s_delay_alu instid0(VALU_DEP_1) | instskip(NEXT) | instid1(VALU_DEP_1)
	v_sub_nc_u32_e32 v5, v5, v6
	v_cmp_lt_u32_e64 s5, s39, v5
	s_delay_alu instid0(VALU_DEP_1)
	s_and_b32 s45, s5, exec_lo
; %bb.19:
	s_or_b32 exec_lo, exec_lo, s6
	v_add_nc_u32_e32 v5, s17, v17
	v_add_nc_u32_e32 v6, s19, v17
	s_mov_b32 s7, exec_lo
	s_delay_alu instid0(VALU_DEP_2) | instskip(NEXT) | instid1(VALU_DEP_2)
	v_mul_lo_u32 v5, v5, s16
	v_mul_lo_u32 v6, v6, s18
	s_delay_alu instid0(VALU_DEP_1) | instskip(NEXT) | instid1(VALU_DEP_1)
	v_sub_nc_u32_e32 v5, v5, v6
	v_cmp_lt_u32_e64 s5, s20, v5
	v_cmpx_ge_u32_e64 s20, v5
; %bb.20:
	v_add_nc_u32_e32 v5, s22, v17
	v_add_nc_u32_e32 v6, s38, v17
	s_delay_alu instid0(VALU_DEP_2) | instskip(NEXT) | instid1(VALU_DEP_2)
	v_mul_lo_u32 v5, v5, s21
	v_mul_lo_u32 v6, v6, s23
	s_delay_alu instid0(VALU_DEP_1) | instskip(NEXT) | instid1(VALU_DEP_1)
	v_sub_nc_u32_e32 v5, v5, v6
	v_cmp_lt_u32_e64 s6, s39, v5
	s_delay_alu instid0(VALU_DEP_1)
	s_and_b32 s46, s6, exec_lo
; %bb.21:
	s_or_b32 exec_lo, exec_lo, s7
	v_add_nc_u32_e32 v5, s17, v14
	v_add_nc_u32_e32 v6, s19, v14
	s_mov_b32 s48, 0
	s_mov_b32 s47, 0
	s_mov_b32 s8, exec_lo
	v_mul_lo_u32 v5, v5, s16
	v_mul_lo_u32 v6, v6, s18
	s_delay_alu instid0(VALU_DEP_1) | instskip(NEXT) | instid1(VALU_DEP_1)
	v_sub_nc_u32_e32 v5, v5, v6
	v_cmp_lt_u32_e64 s6, s20, v5
	v_cmpx_ge_u32_e64 s20, v5
; %bb.22:
	v_add_nc_u32_e32 v5, s22, v14
	v_add_nc_u32_e32 v6, s38, v14
	s_delay_alu instid0(VALU_DEP_2) | instskip(NEXT) | instid1(VALU_DEP_2)
	v_mul_lo_u32 v5, v5, s21
	v_mul_lo_u32 v6, v6, s23
	s_delay_alu instid0(VALU_DEP_1) | instskip(NEXT) | instid1(VALU_DEP_1)
	v_sub_nc_u32_e32 v5, v5, v6
	v_cmp_lt_u32_e64 s7, s39, v5
	s_delay_alu instid0(VALU_DEP_1)
	s_and_b32 s47, s7, exec_lo
; %bb.23:
	s_or_b32 exec_lo, exec_lo, s8
	v_add_nc_u32_e32 v5, s17, v15
	v_add_nc_u32_e32 v6, s19, v15
	s_mov_b32 s9, exec_lo
	s_delay_alu instid0(VALU_DEP_2) | instskip(NEXT) | instid1(VALU_DEP_2)
	v_mul_lo_u32 v5, v5, s16
	v_mul_lo_u32 v6, v6, s18
	s_delay_alu instid0(VALU_DEP_1) | instskip(NEXT) | instid1(VALU_DEP_1)
	v_sub_nc_u32_e32 v5, v5, v6
	v_cmp_lt_u32_e64 s7, s20, v5
	v_cmpx_ge_u32_e64 s20, v5
; %bb.24:
	v_add_nc_u32_e32 v5, s22, v15
	v_add_nc_u32_e32 v6, s38, v15
	s_delay_alu instid0(VALU_DEP_2) | instskip(NEXT) | instid1(VALU_DEP_2)
	v_mul_lo_u32 v5, v5, s21
	v_mul_lo_u32 v6, v6, s23
	s_delay_alu instid0(VALU_DEP_1) | instskip(NEXT) | instid1(VALU_DEP_1)
	v_sub_nc_u32_e32 v5, v5, v6
	v_cmp_lt_u32_e64 s8, s39, v5
	s_delay_alu instid0(VALU_DEP_1)
	s_and_b32 s48, s8, exec_lo
; %bb.25:
	s_or_b32 exec_lo, exec_lo, s9
	v_add_nc_u32_e32 v5, s17, v12
	v_add_nc_u32_e32 v6, s19, v12
	s_mov_b32 s51, 0
	s_mov_b32 s50, 0
	s_mov_b32 s10, exec_lo
	v_mul_lo_u32 v5, v5, s16
	v_mul_lo_u32 v6, v6, s18
	s_delay_alu instid0(VALU_DEP_1) | instskip(NEXT) | instid1(VALU_DEP_1)
	v_sub_nc_u32_e32 v5, v5, v6
	v_cmp_lt_u32_e64 s8, s20, v5
	v_cmpx_ge_u32_e64 s20, v5
; %bb.26:
	v_add_nc_u32_e32 v5, s22, v12
	v_add_nc_u32_e32 v6, s38, v12
	s_delay_alu instid0(VALU_DEP_2) | instskip(NEXT) | instid1(VALU_DEP_2)
	v_mul_lo_u32 v5, v5, s21
	v_mul_lo_u32 v6, v6, s23
	s_delay_alu instid0(VALU_DEP_1) | instskip(NEXT) | instid1(VALU_DEP_1)
	v_sub_nc_u32_e32 v5, v5, v6
	v_cmp_lt_u32_e64 s9, s39, v5
	s_delay_alu instid0(VALU_DEP_1)
	s_and_b32 s50, s9, exec_lo
; %bb.27:
	s_or_b32 exec_lo, exec_lo, s10
	v_add_nc_u32_e32 v5, s17, v13
	v_add_nc_u32_e32 v6, s19, v13
	s_mov_b32 s11, exec_lo
	s_delay_alu instid0(VALU_DEP_2) | instskip(NEXT) | instid1(VALU_DEP_2)
	v_mul_lo_u32 v5, v5, s16
	v_mul_lo_u32 v6, v6, s18
	s_delay_alu instid0(VALU_DEP_1) | instskip(NEXT) | instid1(VALU_DEP_1)
	v_sub_nc_u32_e32 v5, v5, v6
	v_cmp_lt_u32_e64 s9, s20, v5
	v_cmpx_ge_u32_e64 s20, v5
; %bb.28:
	v_add_nc_u32_e32 v5, s22, v13
	v_add_nc_u32_e32 v6, s38, v13
	s_delay_alu instid0(VALU_DEP_2) | instskip(NEXT) | instid1(VALU_DEP_2)
	v_mul_lo_u32 v5, v5, s21
	v_mul_lo_u32 v6, v6, s23
	s_delay_alu instid0(VALU_DEP_1) | instskip(NEXT) | instid1(VALU_DEP_1)
	v_sub_nc_u32_e32 v5, v5, v6
	v_cmp_lt_u32_e64 s10, s39, v5
	s_delay_alu instid0(VALU_DEP_1)
	s_and_b32 s51, s10, exec_lo
; %bb.29:
	s_or_b32 exec_lo, exec_lo, s11
	v_add_nc_u32_e32 v5, s17, v10
	v_add_nc_u32_e32 v6, s19, v10
	s_mov_b32 s52, 0
	s_mov_b32 s53, 0
	s_mov_b32 s12, exec_lo
	v_mul_lo_u32 v5, v5, s16
	v_mul_lo_u32 v6, v6, s18
	s_delay_alu instid0(VALU_DEP_1) | instskip(NEXT) | instid1(VALU_DEP_1)
	v_sub_nc_u32_e32 v5, v5, v6
	v_cmp_lt_u32_e64 s10, s20, v5
	v_cmpx_ge_u32_e64 s20, v5
; %bb.30:
	v_add_nc_u32_e32 v5, s22, v10
	v_add_nc_u32_e32 v6, s38, v10
	s_delay_alu instid0(VALU_DEP_2) | instskip(NEXT) | instid1(VALU_DEP_2)
	v_mul_lo_u32 v5, v5, s21
	v_mul_lo_u32 v6, v6, s23
	s_delay_alu instid0(VALU_DEP_1) | instskip(NEXT) | instid1(VALU_DEP_1)
	v_sub_nc_u32_e32 v5, v5, v6
	v_cmp_lt_u32_e64 s11, s39, v5
	s_delay_alu instid0(VALU_DEP_1)
	s_and_b32 s53, s11, exec_lo
; %bb.31:
	s_or_b32 exec_lo, exec_lo, s12
	v_add_nc_u32_e32 v5, s17, v11
	v_add_nc_u32_e32 v6, s19, v11
	s_mov_b32 s27, exec_lo
	s_delay_alu instid0(VALU_DEP_2) | instskip(NEXT) | instid1(VALU_DEP_2)
	v_mul_lo_u32 v5, v5, s16
	v_mul_lo_u32 v6, v6, s18
	s_delay_alu instid0(VALU_DEP_1) | instskip(NEXT) | instid1(VALU_DEP_1)
	v_sub_nc_u32_e32 v5, v5, v6
	v_cmp_lt_u32_e64 s11, s20, v5
	v_cmpx_ge_u32_e64 s20, v5
; %bb.32:
	v_add_nc_u32_e32 v5, s22, v11
	v_add_nc_u32_e32 v6, s38, v11
	s_delay_alu instid0(VALU_DEP_2) | instskip(NEXT) | instid1(VALU_DEP_2)
	v_mul_lo_u32 v5, v5, s21
	v_mul_lo_u32 v6, v6, s23
	s_delay_alu instid0(VALU_DEP_1) | instskip(NEXT) | instid1(VALU_DEP_1)
	v_sub_nc_u32_e32 v5, v5, v6
	v_cmp_lt_u32_e64 s12, s39, v5
	s_delay_alu instid0(VALU_DEP_1)
	s_and_b32 s52, s12, exec_lo
; %bb.33:
	s_or_b32 exec_lo, exec_lo, s27
	v_add_nc_u32_e32 v5, s17, v32
	v_add_nc_u32_e32 v6, s19, v32
	s_mov_b32 s27, -1
	s_mov_b32 s49, 0
	s_mov_b32 s33, 0
	v_mul_lo_u32 v5, v5, s16
	v_mul_lo_u32 v6, v6, s18
	s_mov_b32 s54, exec_lo
	s_delay_alu instid0(VALU_DEP_1) | instskip(NEXT) | instid1(VALU_DEP_1)
	v_sub_nc_u32_e32 v5, v5, v6
	v_cmpx_ge_u32_e64 s20, v5
; %bb.34:
	v_add_nc_u32_e32 v5, s22, v32
	v_add_nc_u32_e32 v6, s38, v32
	s_xor_b32 s27, exec_lo, -1
	s_delay_alu instid0(VALU_DEP_2) | instskip(NEXT) | instid1(VALU_DEP_2)
	v_mul_lo_u32 v5, v5, s21
	v_mul_lo_u32 v6, v6, s23
	s_delay_alu instid0(VALU_DEP_1) | instskip(NEXT) | instid1(VALU_DEP_1)
	v_sub_nc_u32_e32 v5, v5, v6
	v_cmp_lt_u32_e64 s12, s39, v5
	s_delay_alu instid0(VALU_DEP_1)
	s_and_b32 s33, s12, exec_lo
; %bb.35:
	s_or_b32 exec_lo, exec_lo, s54
	v_cndmask_b32_e64 v53, 0, 1, s53
	v_cndmask_b32_e64 v56, 0, 1, s11
	;; [unrolled: 1-line block ×22, first 2 shown]
	v_cndmask_b32_e64 v34, 0, 1, vcc_lo
	v_cndmask_b32_e64 v57, 0, 1, s52
	s_and_b32 vcc_lo, exec_lo, s49
	s_add_i32 s4, s40, 0xd00
	s_cbranch_vccnz .LBB1792_37
	s_branch .LBB1792_90
.LBB1792_36:
                                        ; implicit-def: $sgpr27
                                        ; implicit-def: $sgpr33
                                        ; implicit-def: $vgpr57
                                        ; implicit-def: $vgpr53
                                        ; implicit-def: $vgpr52
                                        ; implicit-def: $vgpr50
                                        ; implicit-def: $vgpr48
                                        ; implicit-def: $vgpr46
                                        ; implicit-def: $vgpr44
                                        ; implicit-def: $vgpr42
                                        ; implicit-def: $vgpr39
                                        ; implicit-def: $vgpr34
                                        ; implicit-def: $vgpr37
                                        ; implicit-def: $vgpr36
                                        ; implicit-def: $vgpr41
                                        ; implicit-def: $vgpr43
                                        ; implicit-def: $vgpr45
                                        ; implicit-def: $vgpr47
                                        ; implicit-def: $vgpr49
                                        ; implicit-def: $vgpr51
                                        ; implicit-def: $vgpr54
                                        ; implicit-def: $vgpr55
                                        ; implicit-def: $vgpr56
                                        ; implicit-def: $vgpr35
                                        ; implicit-def: $vgpr40
                                        ; implicit-def: $vgpr38
	s_add_i32 s4, s40, 0xd00
	s_cbranch_execz .LBB1792_90
.LBB1792_37:
	v_dual_mov_b32 v35, 0 :: v_dual_mov_b32 v34, 0
	s_mov_b32 s3, 0
	s_mov_b32 s1, exec_lo
	v_cmpx_gt_u32_e64 s4, v33
	s_cbranch_execz .LBB1792_41
; %bb.38:
	v_add_nc_u32_e32 v5, s17, v20
	v_add_nc_u32_e32 v6, s19, v20
	s_mov_b32 s5, exec_lo
	s_delay_alu instid0(VALU_DEP_2) | instskip(NEXT) | instid1(VALU_DEP_2)
	v_mul_lo_u32 v5, v5, s16
	v_mul_lo_u32 v6, v6, s18
	s_delay_alu instid0(VALU_DEP_1) | instskip(NEXT) | instid1(VALU_DEP_1)
	v_sub_nc_u32_e32 v5, v5, v6
	v_cmp_lt_u32_e32 vcc_lo, s20, v5
	v_cmpx_ge_u32_e64 s20, v5
; %bb.39:
	v_add_nc_u32_e32 v5, s22, v20
	v_add_nc_u32_e32 v6, s38, v20
	s_delay_alu instid0(VALU_DEP_2) | instskip(NEXT) | instid1(VALU_DEP_2)
	v_mul_lo_u32 v5, v5, s21
	v_mul_lo_u32 v6, v6, s23
	s_delay_alu instid0(VALU_DEP_1) | instskip(NEXT) | instid1(VALU_DEP_1)
	v_sub_nc_u32_e32 v5, v5, v6
	v_cmp_lt_u32_e64 s0, s39, v5
	s_delay_alu instid0(VALU_DEP_1)
	s_and_b32 s3, s0, exec_lo
; %bb.40:
	s_or_b32 exec_lo, exec_lo, s5
	v_cndmask_b32_e64 v34, 0, 1, vcc_lo
	v_cndmask_b32_e64 v35, 0, 1, s3
.LBB1792_41:
	s_or_b32 exec_lo, exec_lo, s1
	v_dual_mov_b32 v40, 0 :: v_dual_add_nc_u32 v5, 1, v33
	v_mov_b32_e32 v37, 0
	s_mov_b32 s3, 0
	s_mov_b32 s1, exec_lo
	s_delay_alu instid0(VALU_DEP_2)
	v_cmpx_gt_u32_e64 s4, v5
	s_cbranch_execz .LBB1792_45
; %bb.42:
	v_add_nc_u32_e32 v5, s17, v21
	v_add_nc_u32_e32 v6, s19, v21
	s_mov_b32 s5, exec_lo
	s_delay_alu instid0(VALU_DEP_2) | instskip(NEXT) | instid1(VALU_DEP_2)
	v_mul_lo_u32 v5, v5, s16
	v_mul_lo_u32 v6, v6, s18
	s_delay_alu instid0(VALU_DEP_1) | instskip(NEXT) | instid1(VALU_DEP_1)
	v_sub_nc_u32_e32 v5, v5, v6
	v_cmp_lt_u32_e32 vcc_lo, s20, v5
	v_cmpx_ge_u32_e64 s20, v5
; %bb.43:
	v_add_nc_u32_e32 v5, s22, v21
	v_add_nc_u32_e32 v6, s38, v21
	s_delay_alu instid0(VALU_DEP_2) | instskip(NEXT) | instid1(VALU_DEP_2)
	v_mul_lo_u32 v5, v5, s21
	v_mul_lo_u32 v6, v6, s23
	s_delay_alu instid0(VALU_DEP_1) | instskip(NEXT) | instid1(VALU_DEP_1)
	v_sub_nc_u32_e32 v5, v5, v6
	v_cmp_lt_u32_e64 s0, s39, v5
	s_delay_alu instid0(VALU_DEP_1)
	s_and_b32 s3, s0, exec_lo
; %bb.44:
	s_or_b32 exec_lo, exec_lo, s5
	v_cndmask_b32_e64 v37, 0, 1, vcc_lo
	v_cndmask_b32_e64 v40, 0, 1, s3
.LBB1792_45:
	s_or_b32 exec_lo, exec_lo, s1
	v_dual_mov_b32 v36, 0 :: v_dual_add_nc_u32 v5, 2, v33
	v_mov_b32_e32 v38, 0
	s_mov_b32 s3, 0
	s_mov_b32 s1, exec_lo
	s_delay_alu instid0(VALU_DEP_2)
	v_cmpx_gt_u32_e64 s4, v5
	s_cbranch_execz .LBB1792_49
; %bb.46:
	v_add_nc_u32_e32 v5, s17, v18
	v_add_nc_u32_e32 v6, s19, v18
	s_mov_b32 s5, exec_lo
	s_delay_alu instid0(VALU_DEP_2) | instskip(NEXT) | instid1(VALU_DEP_2)
	v_mul_lo_u32 v5, v5, s16
	v_mul_lo_u32 v6, v6, s18
	s_delay_alu instid0(VALU_DEP_1) | instskip(NEXT) | instid1(VALU_DEP_1)
	v_sub_nc_u32_e32 v5, v5, v6
	v_cmp_lt_u32_e32 vcc_lo, s20, v5
	v_cmpx_ge_u32_e64 s20, v5
; %bb.47:
	v_add_nc_u32_e32 v5, s22, v18
	v_add_nc_u32_e32 v6, s38, v18
	s_delay_alu instid0(VALU_DEP_2) | instskip(NEXT) | instid1(VALU_DEP_2)
	v_mul_lo_u32 v5, v5, s21
	v_mul_lo_u32 v6, v6, s23
	s_delay_alu instid0(VALU_DEP_1) | instskip(NEXT) | instid1(VALU_DEP_1)
	v_sub_nc_u32_e32 v5, v5, v6
	v_cmp_lt_u32_e64 s0, s39, v5
	s_delay_alu instid0(VALU_DEP_1)
	s_and_b32 s3, s0, exec_lo
; %bb.48:
	s_or_b32 exec_lo, exec_lo, s5
	v_cndmask_b32_e64 v36, 0, 1, vcc_lo
	v_cndmask_b32_e64 v38, 0, 1, s3
.LBB1792_49:
	s_or_b32 exec_lo, exec_lo, s1
	v_add_nc_u32_e32 v5, 3, v33
	v_mov_b32_e32 v39, 0
	v_mov_b32_e32 v41, 0
	s_mov_b32 s3, 0
	s_mov_b32 s1, exec_lo
	v_cmpx_gt_u32_e64 s4, v5
	s_cbranch_execz .LBB1792_53
; %bb.50:
	v_add_nc_u32_e32 v5, s17, v19
	v_add_nc_u32_e32 v6, s19, v19
	s_mov_b32 s5, exec_lo
	s_delay_alu instid0(VALU_DEP_2) | instskip(NEXT) | instid1(VALU_DEP_2)
	v_mul_lo_u32 v5, v5, s16
	v_mul_lo_u32 v6, v6, s18
	s_delay_alu instid0(VALU_DEP_1) | instskip(NEXT) | instid1(VALU_DEP_1)
	v_sub_nc_u32_e32 v5, v5, v6
	v_cmp_lt_u32_e32 vcc_lo, s20, v5
	v_cmpx_ge_u32_e64 s20, v5
; %bb.51:
	v_add_nc_u32_e32 v5, s22, v19
	v_add_nc_u32_e32 v6, s38, v19
	s_delay_alu instid0(VALU_DEP_2) | instskip(NEXT) | instid1(VALU_DEP_2)
	v_mul_lo_u32 v5, v5, s21
	v_mul_lo_u32 v6, v6, s23
	s_delay_alu instid0(VALU_DEP_1) | instskip(NEXT) | instid1(VALU_DEP_1)
	v_sub_nc_u32_e32 v5, v5, v6
	v_cmp_lt_u32_e64 s0, s39, v5
	s_delay_alu instid0(VALU_DEP_1)
	s_and_b32 s3, s0, exec_lo
; %bb.52:
	s_or_b32 exec_lo, exec_lo, s5
	v_cndmask_b32_e64 v41, 0, 1, vcc_lo
	v_cndmask_b32_e64 v39, 0, 1, s3
.LBB1792_53:
	s_or_b32 exec_lo, exec_lo, s1
	v_dual_mov_b32 v42, 0 :: v_dual_add_nc_u32 v5, 4, v33
	v_mov_b32_e32 v43, 0
	s_mov_b32 s3, 0
	s_mov_b32 s1, exec_lo
	s_delay_alu instid0(VALU_DEP_2)
	v_cmpx_gt_u32_e64 s4, v5
	s_cbranch_execz .LBB1792_57
; %bb.54:
	v_add_nc_u32_e32 v5, s17, v16
	v_add_nc_u32_e32 v6, s19, v16
	s_mov_b32 s5, exec_lo
	s_delay_alu instid0(VALU_DEP_2) | instskip(NEXT) | instid1(VALU_DEP_2)
	v_mul_lo_u32 v5, v5, s16
	v_mul_lo_u32 v6, v6, s18
	s_delay_alu instid0(VALU_DEP_1) | instskip(NEXT) | instid1(VALU_DEP_1)
	v_sub_nc_u32_e32 v5, v5, v6
	v_cmp_lt_u32_e32 vcc_lo, s20, v5
	v_cmpx_ge_u32_e64 s20, v5
; %bb.55:
	v_add_nc_u32_e32 v5, s22, v16
	v_add_nc_u32_e32 v6, s38, v16
	s_delay_alu instid0(VALU_DEP_2) | instskip(NEXT) | instid1(VALU_DEP_2)
	v_mul_lo_u32 v5, v5, s21
	v_mul_lo_u32 v6, v6, s23
	s_delay_alu instid0(VALU_DEP_1) | instskip(NEXT) | instid1(VALU_DEP_1)
	v_sub_nc_u32_e32 v5, v5, v6
	v_cmp_lt_u32_e64 s0, s39, v5
	s_delay_alu instid0(VALU_DEP_1)
	s_and_b32 s3, s0, exec_lo
; %bb.56:
	s_or_b32 exec_lo, exec_lo, s5
	v_cndmask_b32_e64 v43, 0, 1, vcc_lo
	v_cndmask_b32_e64 v42, 0, 1, s3
.LBB1792_57:
	s_or_b32 exec_lo, exec_lo, s1
	v_dual_mov_b32 v44, 0 :: v_dual_add_nc_u32 v5, 5, v33
	v_mov_b32_e32 v45, 0
	s_mov_b32 s3, 0
	s_mov_b32 s1, exec_lo
	s_delay_alu instid0(VALU_DEP_2)
	;; [unrolled: 35-line block ×6, first 2 shown]
	v_cmpx_gt_u32_e64 s4, v5
	s_cbranch_execz .LBB1792_77
; %bb.74:
	v_add_nc_u32_e32 v5, s17, v13
	v_add_nc_u32_e32 v6, s19, v13
	s_mov_b32 s5, exec_lo
	s_delay_alu instid0(VALU_DEP_2) | instskip(NEXT) | instid1(VALU_DEP_2)
	v_mul_lo_u32 v5, v5, s16
	v_mul_lo_u32 v6, v6, s18
	s_delay_alu instid0(VALU_DEP_1) | instskip(NEXT) | instid1(VALU_DEP_1)
	v_sub_nc_u32_e32 v5, v5, v6
	v_cmp_lt_u32_e32 vcc_lo, s20, v5
	v_cmpx_ge_u32_e64 s20, v5
; %bb.75:
	v_add_nc_u32_e32 v5, s22, v13
	v_add_nc_u32_e32 v6, s38, v13
	s_delay_alu instid0(VALU_DEP_2) | instskip(NEXT) | instid1(VALU_DEP_2)
	v_mul_lo_u32 v5, v5, s21
	v_mul_lo_u32 v6, v6, s23
	s_delay_alu instid0(VALU_DEP_1) | instskip(NEXT) | instid1(VALU_DEP_1)
	v_sub_nc_u32_e32 v5, v5, v6
	v_cmp_lt_u32_e64 s0, s39, v5
	s_delay_alu instid0(VALU_DEP_1)
	s_and_b32 s3, s0, exec_lo
; %bb.76:
	s_or_b32 exec_lo, exec_lo, s5
	v_cndmask_b32_e64 v54, 0, 1, vcc_lo
	v_cndmask_b32_e64 v52, 0, 1, s3
.LBB1792_77:
	s_or_b32 exec_lo, exec_lo, s1
	v_add_nc_u32_e32 v5, 10, v33
	v_mov_b32_e32 v53, 0
	v_mov_b32_e32 v55, 0
	s_mov_b32 s3, 0
	s_mov_b32 s1, exec_lo
	v_cmpx_gt_u32_e64 s4, v5
	s_cbranch_execz .LBB1792_81
; %bb.78:
	v_add_nc_u32_e32 v5, s17, v10
	v_add_nc_u32_e32 v6, s19, v10
	s_mov_b32 s5, exec_lo
	s_delay_alu instid0(VALU_DEP_2) | instskip(NEXT) | instid1(VALU_DEP_2)
	v_mul_lo_u32 v5, v5, s16
	v_mul_lo_u32 v6, v6, s18
	s_delay_alu instid0(VALU_DEP_1) | instskip(NEXT) | instid1(VALU_DEP_1)
	v_sub_nc_u32_e32 v5, v5, v6
	v_cmp_lt_u32_e32 vcc_lo, s20, v5
	v_cmpx_ge_u32_e64 s20, v5
; %bb.79:
	v_add_nc_u32_e32 v5, s22, v10
	v_add_nc_u32_e32 v6, s38, v10
	s_delay_alu instid0(VALU_DEP_2) | instskip(NEXT) | instid1(VALU_DEP_2)
	v_mul_lo_u32 v5, v5, s21
	v_mul_lo_u32 v6, v6, s23
	s_delay_alu instid0(VALU_DEP_1) | instskip(NEXT) | instid1(VALU_DEP_1)
	v_sub_nc_u32_e32 v5, v5, v6
	v_cmp_lt_u32_e64 s0, s39, v5
	s_delay_alu instid0(VALU_DEP_1)
	s_and_b32 s3, s0, exec_lo
; %bb.80:
	s_or_b32 exec_lo, exec_lo, s5
	v_cndmask_b32_e64 v55, 0, 1, vcc_lo
	v_cndmask_b32_e64 v53, 0, 1, s3
.LBB1792_81:
	s_or_b32 exec_lo, exec_lo, s1
	v_dual_mov_b32 v56, 0 :: v_dual_add_nc_u32 v5, 11, v33
	v_mov_b32_e32 v57, 0
	s_mov_b32 s3, 0
	s_mov_b32 s1, exec_lo
	s_delay_alu instid0(VALU_DEP_2)
	v_cmpx_gt_u32_e64 s4, v5
	s_cbranch_execz .LBB1792_85
; %bb.82:
	v_add_nc_u32_e32 v5, s17, v11
	v_add_nc_u32_e32 v6, s19, v11
	s_mov_b32 s5, exec_lo
	s_delay_alu instid0(VALU_DEP_2) | instskip(NEXT) | instid1(VALU_DEP_2)
	v_mul_lo_u32 v5, v5, s16
	v_mul_lo_u32 v6, v6, s18
	s_delay_alu instid0(VALU_DEP_1) | instskip(NEXT) | instid1(VALU_DEP_1)
	v_sub_nc_u32_e32 v5, v5, v6
	v_cmp_lt_u32_e32 vcc_lo, s20, v5
	v_cmpx_ge_u32_e64 s20, v5
; %bb.83:
	v_add_nc_u32_e32 v5, s22, v11
	v_add_nc_u32_e32 v6, s38, v11
	s_delay_alu instid0(VALU_DEP_2) | instskip(NEXT) | instid1(VALU_DEP_2)
	v_mul_lo_u32 v5, v5, s21
	v_mul_lo_u32 v6, v6, s23
	s_delay_alu instid0(VALU_DEP_1) | instskip(NEXT) | instid1(VALU_DEP_1)
	v_sub_nc_u32_e32 v5, v5, v6
	v_cmp_lt_u32_e64 s0, s39, v5
	s_delay_alu instid0(VALU_DEP_1)
	s_and_b32 s3, s0, exec_lo
; %bb.84:
	s_or_b32 exec_lo, exec_lo, s5
	v_cndmask_b32_e64 v56, 0, 1, vcc_lo
	v_cndmask_b32_e64 v57, 0, 1, s3
.LBB1792_85:
	s_or_b32 exec_lo, exec_lo, s1
	v_add_nc_u32_e32 v5, 12, v33
	s_mov_b32 s27, 0
	s_mov_b32 s33, 0
	s_mov_b32 s0, exec_lo
	s_delay_alu instid0(VALU_DEP_1)
	v_cmpx_gt_u32_e64 s4, v5
	s_cbranch_execz .LBB1792_89
; %bb.86:
	v_add_nc_u32_e32 v5, s17, v32
	v_add_nc_u32_e32 v6, s19, v32
	s_mov_b32 s3, -1
	s_mov_b32 s5, 0
	s_mov_b32 s1, exec_lo
	v_mul_lo_u32 v5, v5, s16
	v_mul_lo_u32 v6, v6, s18
	s_delay_alu instid0(VALU_DEP_1) | instskip(NEXT) | instid1(VALU_DEP_1)
	v_sub_nc_u32_e32 v5, v5, v6
	v_cmpx_ge_u32_e64 s20, v5
; %bb.87:
	v_add_nc_u32_e32 v5, s22, v32
	v_add_nc_u32_e32 v6, s38, v32
	s_xor_b32 s3, exec_lo, -1
	s_delay_alu instid0(VALU_DEP_2) | instskip(NEXT) | instid1(VALU_DEP_2)
	v_mul_lo_u32 v5, v5, s21
	v_mul_lo_u32 v6, v6, s23
	s_delay_alu instid0(VALU_DEP_1) | instskip(NEXT) | instid1(VALU_DEP_1)
	v_sub_nc_u32_e32 v5, v5, v6
	v_cmp_lt_u32_e32 vcc_lo, s39, v5
	s_and_b32 s5, vcc_lo, exec_lo
; %bb.88:
	s_or_b32 exec_lo, exec_lo, s1
	s_delay_alu instid0(SALU_CYCLE_1)
	s_and_b32 s33, s5, exec_lo
	s_and_b32 s27, s3, exec_lo
.LBB1792_89:
	s_or_b32 exec_lo, exec_lo, s0
.LBB1792_90:
	v_and_b32_e32 v80, 0xff, v34
	v_and_b32_e32 v81, 0xff, v35
	v_and_b32_e32 v76, 0xff, v37
	v_and_b32_e32 v77, 0xff, v40
	v_and_b32_e32 v78, 0xff, v36
	v_and_b32_e32 v79, 0xff, v38
	v_and_b32_e32 v74, 0xff, v41
	v_and_b32_e32 v75, 0xff, v39
	v_and_b32_e32 v72, 0xff, v43
	v_and_b32_e32 v73, 0xff, v42
	v_add3_u32 v5, v76, v78, v80
	v_add3_u32 v6, v77, v79, v81
	v_and_b32_e32 v70, 0xff, v45
	v_and_b32_e32 v71, 0xff, v44
	v_and_b32_e32 v64, 0xff, v47
	v_and_b32_e32 v65, 0xff, v46
	v_add3_u32 v5, v5, v74, v72
	v_add3_u32 v6, v6, v75, v73
	v_and_b32_e32 v68, 0xff, v49
	v_and_b32_e32 v69, 0xff, v48
	v_and_b32_e32 v66, 0xff, v51
	v_and_b32_e32 v67, 0xff, v50
	;; [unrolled: 6-line block ×3, first 2 shown]
	v_add3_u32 v5, v5, v68, v66
	v_add3_u32 v6, v6, v69, v67
	v_mbcnt_lo_u32_b32 v82, -1, 0
	v_and_b32_e32 v58, 0xff, v56
	v_and_b32_e32 v59, 0xff, v57
	v_cndmask_b32_e64 v7, 0, 1, s33
	v_add3_u32 v5, v5, v61, v60
	v_cndmask_b32_e64 v8, 0, 1, s27
	v_add3_u32 v6, v6, v62, v63
	v_and_b32_e32 v86, 15, v82
	v_and_b32_e32 v85, 16, v82
	v_lshrrev_b32_e32 v83, 5, v0
	v_add3_u32 v87, v5, v58, v8
	v_add3_u32 v88, v6, v59, v7
	v_cmp_eq_u32_e64 s1, 0, v86
	v_cmp_lt_u32_e64 s0, 1, v86
	v_cmp_lt_u32_e64 s3, 3, v86
	v_cmp_lt_u32_e32 vcc_lo, 7, v86
	v_or_b32_e32 v84, 31, v0
	s_cmp_lg_u32 s26, 0
	s_mov_b32 s5, -1
	s_cbranch_scc0 .LBB1792_123
; %bb.91:
	v_mov_b32_dpp v5, v88 row_shr:1 row_mask:0xf bank_mask:0xf
	v_mov_b32_dpp v6, v87 row_shr:1 row_mask:0xf bank_mask:0xf
	s_delay_alu instid0(VALU_DEP_2) | instskip(NEXT) | instid1(VALU_DEP_2)
	v_add_nc_u32_e32 v5, v5, v88
	v_add_nc_u32_e32 v6, v6, v87
	s_delay_alu instid0(VALU_DEP_2) | instskip(NEXT) | instid1(VALU_DEP_2)
	v_cndmask_b32_e64 v5, v5, v88, s1
	v_cndmask_b32_e64 v6, v6, v87, s1
	s_delay_alu instid0(VALU_DEP_2) | instskip(NEXT) | instid1(VALU_DEP_2)
	v_mov_b32_dpp v7, v5 row_shr:2 row_mask:0xf bank_mask:0xf
	v_mov_b32_dpp v8, v6 row_shr:2 row_mask:0xf bank_mask:0xf
	s_delay_alu instid0(VALU_DEP_2) | instskip(NEXT) | instid1(VALU_DEP_1)
	v_add_nc_u32_e32 v7, v5, v7
	v_cndmask_b32_e64 v5, v5, v7, s0
	s_delay_alu instid0(VALU_DEP_1) | instskip(NEXT) | instid1(VALU_DEP_1)
	v_mov_b32_dpp v7, v5 row_shr:4 row_mask:0xf bank_mask:0xf
	v_add_nc_u32_e32 v7, v5, v7
	s_delay_alu instid0(VALU_DEP_1) | instskip(NEXT) | instid1(VALU_DEP_1)
	v_cndmask_b32_e64 v5, v5, v7, s3
	v_mov_b32_dpp v7, v5 row_shr:8 row_mask:0xf bank_mask:0xf
	s_delay_alu instid0(VALU_DEP_1) | instskip(NEXT) | instid1(VALU_DEP_1)
	v_add_nc_u32_e32 v7, v5, v7
	v_dual_cndmask_b32 v5, v5, v7 :: v_dual_add_nc_u32 v8, v6, v8
	s_delay_alu instid0(VALU_DEP_1) | instskip(NEXT) | instid1(VALU_DEP_1)
	v_cndmask_b32_e64 v6, v6, v8, s0
	v_mov_b32_dpp v8, v6 row_shr:4 row_mask:0xf bank_mask:0xf
	s_delay_alu instid0(VALU_DEP_1) | instskip(NEXT) | instid1(VALU_DEP_1)
	v_add_nc_u32_e32 v8, v6, v8
	v_cndmask_b32_e64 v6, v6, v8, s3
	s_mov_b32 s3, exec_lo
	s_delay_alu instid0(VALU_DEP_1) | instskip(NEXT) | instid1(VALU_DEP_1)
	v_mov_b32_dpp v8, v6 row_shr:8 row_mask:0xf bank_mask:0xf
	v_add_nc_u32_e32 v8, v6, v8
	s_delay_alu instid0(VALU_DEP_1)
	v_cndmask_b32_e32 v7, v6, v8, vcc_lo
	ds_swizzle_b32 v6, v5 offset:swizzle(BROADCAST,32,15)
	v_cmp_eq_u32_e32 vcc_lo, 0, v85
	s_waitcnt lgkmcnt(0)
	v_add_nc_u32_e32 v6, v5, v6
	ds_swizzle_b32 v8, v7 offset:swizzle(BROADCAST,32,15)
	v_cndmask_b32_e32 v6, v6, v5, vcc_lo
	s_waitcnt lgkmcnt(0)
	v_add_nc_u32_e32 v8, v7, v8
	s_delay_alu instid0(VALU_DEP_1)
	v_cndmask_b32_e32 v5, v8, v7, vcc_lo
	v_cmpx_eq_u32_e64 v84, v0
	s_cbranch_execz .LBB1792_93
; %bb.92:
	v_lshlrev_b32_e32 v7, 3, v83
	ds_store_b64 v7, v[5:6]
.LBB1792_93:
	s_or_b32 exec_lo, exec_lo, s3
	s_delay_alu instid0(SALU_CYCLE_1)
	s_mov_b32 s3, exec_lo
	s_waitcnt lgkmcnt(0)
	s_barrier
	buffer_gl0_inv
	v_cmpx_gt_u32_e32 8, v0
	s_cbranch_execz .LBB1792_95
; %bb.94:
	v_lshlrev_b32_e32 v9, 3, v0
	ds_load_b64 v[7:8], v9
	s_waitcnt lgkmcnt(0)
	v_mov_b32_dpp v22, v7 row_shr:1 row_mask:0xf bank_mask:0xf
	v_mov_b32_dpp v23, v8 row_shr:1 row_mask:0xf bank_mask:0xf
	s_delay_alu instid0(VALU_DEP_2) | instskip(SKIP_1) | instid1(VALU_DEP_3)
	v_add_nc_u32_e32 v22, v22, v7
	v_and_b32_e32 v24, 7, v82
	v_add_nc_u32_e32 v23, v23, v8
	s_delay_alu instid0(VALU_DEP_2) | instskip(NEXT) | instid1(VALU_DEP_2)
	v_cmp_eq_u32_e32 vcc_lo, 0, v24
	v_dual_cndmask_b32 v8, v23, v8 :: v_dual_cndmask_b32 v7, v22, v7
	v_cmp_lt_u32_e32 vcc_lo, 1, v24
	s_delay_alu instid0(VALU_DEP_2) | instskip(NEXT) | instid1(VALU_DEP_3)
	v_mov_b32_dpp v23, v8 row_shr:2 row_mask:0xf bank_mask:0xf
	v_mov_b32_dpp v22, v7 row_shr:2 row_mask:0xf bank_mask:0xf
	s_delay_alu instid0(VALU_DEP_2) | instskip(NEXT) | instid1(VALU_DEP_2)
	v_add_nc_u32_e32 v23, v8, v23
	v_add_nc_u32_e32 v22, v7, v22
	s_delay_alu instid0(VALU_DEP_1) | instskip(SKIP_1) | instid1(VALU_DEP_2)
	v_dual_cndmask_b32 v8, v8, v23 :: v_dual_cndmask_b32 v7, v7, v22
	v_cmp_lt_u32_e32 vcc_lo, 3, v24
	v_mov_b32_dpp v23, v8 row_shr:4 row_mask:0xf bank_mask:0xf
	s_delay_alu instid0(VALU_DEP_3) | instskip(NEXT) | instid1(VALU_DEP_1)
	v_mov_b32_dpp v22, v7 row_shr:4 row_mask:0xf bank_mask:0xf
	v_dual_cndmask_b32 v23, 0, v23 :: v_dual_cndmask_b32 v22, 0, v22
	s_delay_alu instid0(VALU_DEP_1) | instskip(NEXT) | instid1(VALU_DEP_2)
	v_add_nc_u32_e32 v8, v23, v8
	v_add_nc_u32_e32 v7, v22, v7
	ds_store_b64 v9, v[7:8]
.LBB1792_95:
	s_or_b32 exec_lo, exec_lo, s3
	v_cmp_gt_u32_e32 vcc_lo, 32, v0
	v_cmp_lt_u32_e64 s3, 31, v0
	s_waitcnt lgkmcnt(0)
	s_barrier
	buffer_gl0_inv
                                        ; implicit-def: $vgpr23
	s_and_saveexec_b32 s5, s3
	s_delay_alu instid0(SALU_CYCLE_1)
	s_xor_b32 s3, exec_lo, s5
	s_cbranch_execz .LBB1792_97
; %bb.96:
	v_lshl_add_u32 v7, v83, 3, -8
	ds_load_b64 v[22:23], v7
	s_waitcnt lgkmcnt(0)
	v_add_nc_u32_e32 v6, v23, v6
	v_add_nc_u32_e32 v5, v22, v5
.LBB1792_97:
	s_and_not1_saveexec_b32 s3, s3
; %bb.98:
                                        ; implicit-def: $vgpr22
; %bb.99:
	s_delay_alu instid0(SALU_CYCLE_1) | instskip(SKIP_1) | instid1(VALU_DEP_1)
	s_or_b32 exec_lo, exec_lo, s3
	v_add_nc_u32_e32 v7, -1, v82
	v_cmp_gt_i32_e64 s3, 0, v7
	s_delay_alu instid0(VALU_DEP_1) | instskip(SKIP_1) | instid1(VALU_DEP_2)
	v_cndmask_b32_e64 v7, v7, v82, s3
	v_cmp_eq_u32_e64 s3, 0, v82
	v_lshlrev_b32_e32 v7, 2, v7
	ds_bpermute_b32 v89, v7, v5
	ds_bpermute_b32 v90, v7, v6
	s_and_saveexec_b32 s5, vcc_lo
	s_cbranch_execz .LBB1792_122
; %bb.100:
	v_mov_b32_e32 v8, 0
	ds_load_b64 v[5:6], v8 offset:56
	s_waitcnt lgkmcnt(0)
	v_readfirstlane_b32 s6, v6
	s_and_saveexec_b32 s7, s3
	s_cbranch_execz .LBB1792_102
; %bb.101:
	s_add_i32 s8, s26, 32
	s_mov_b32 s9, 0
	v_mov_b32_e32 v7, 1
	s_lshl_b64 s[10:11], s[8:9], 4
	s_mov_b32 s16, s9
	s_add_u32 s10, s36, s10
	s_addc_u32 s11, s37, s11
	s_and_b32 s17, s6, 0xff000000
	s_and_b32 s19, s6, 0xff0000
	s_mov_b32 s18, s9
	v_dual_mov_b32 v25, s11 :: v_dual_mov_b32 v24, s10
	s_or_b64 s[16:17], s[18:19], s[16:17]
	s_and_b32 s19, s6, 0xff00
	s_delay_alu instid0(SALU_CYCLE_1) | instskip(SKIP_1) | instid1(SALU_CYCLE_1)
	s_or_b64 s[16:17], s[16:17], s[18:19]
	s_and_b32 s19, s6, 0xff
	s_or_b64 s[8:9], s[16:17], s[18:19]
	s_delay_alu instid0(SALU_CYCLE_1)
	v_mov_b32_e32 v6, s9
	;;#ASMSTART
	global_store_dwordx4 v[24:25], v[5:8] off	
s_waitcnt vmcnt(0)
	;;#ASMEND
.LBB1792_102:
	s_or_b32 exec_lo, exec_lo, s7
	v_xad_u32 v24, v82, -1, s26
	s_mov_b32 s8, 0
	s_mov_b32 s7, exec_lo
	s_delay_alu instid0(VALU_DEP_1) | instskip(NEXT) | instid1(VALU_DEP_1)
	v_add_nc_u32_e32 v7, 32, v24
	v_lshlrev_b64 v[6:7], 4, v[7:8]
	s_delay_alu instid0(VALU_DEP_1) | instskip(NEXT) | instid1(VALU_DEP_2)
	v_add_co_u32 v25, vcc_lo, s36, v6
	v_add_co_ci_u32_e32 v26, vcc_lo, s37, v7, vcc_lo
	;;#ASMSTART
	global_load_dwordx4 v[6:9], v[25:26] off glc	
s_waitcnt vmcnt(0)
	;;#ASMEND
	v_and_b32_e32 v9, 0xff, v7
	v_and_b32_e32 v27, 0xff00, v7
	v_or3_b32 v6, v6, 0, 0
	v_and_b32_e32 v28, 0xff000000, v7
	v_and_b32_e32 v7, 0xff0000, v7
	s_delay_alu instid0(VALU_DEP_4) | instskip(SKIP_2) | instid1(VALU_DEP_3)
	v_or3_b32 v9, 0, v9, v27
	v_and_b32_e32 v27, 0xff, v8
	v_or3_b32 v6, v6, 0, 0
	v_or3_b32 v7, v9, v7, v28
	s_delay_alu instid0(VALU_DEP_3)
	v_cmpx_eq_u16_e32 0, v27
	s_cbranch_execz .LBB1792_108
; %bb.103:
	s_mov_b32 s9, 1
	.p2align	6
.LBB1792_104:                           ; =>This Loop Header: Depth=1
                                        ;     Child Loop BB1792_105 Depth 2
	s_delay_alu instid0(SALU_CYCLE_1)
	s_max_u32 s10, s9, 1
.LBB1792_105:                           ;   Parent Loop BB1792_104 Depth=1
                                        ; =>  This Inner Loop Header: Depth=2
	s_delay_alu instid0(SALU_CYCLE_1)
	s_add_i32 s10, s10, -1
	s_sleep 1
	s_cmp_eq_u32 s10, 0
	s_cbranch_scc0 .LBB1792_105
; %bb.106:                              ;   in Loop: Header=BB1792_104 Depth=1
	;;#ASMSTART
	global_load_dwordx4 v[6:9], v[25:26] off glc	
s_waitcnt vmcnt(0)
	;;#ASMEND
	v_and_b32_e32 v9, 0xff, v8
	s_cmp_lt_u32 s9, 32
	s_cselect_b32 s10, -1, 0
	s_delay_alu instid0(SALU_CYCLE_1) | instskip(NEXT) | instid1(VALU_DEP_1)
	s_cmp_lg_u32 s10, 0
	v_cmp_ne_u16_e32 vcc_lo, 0, v9
	s_addc_u32 s9, s9, 0
	s_or_b32 s8, vcc_lo, s8
	s_delay_alu instid0(SALU_CYCLE_1)
	s_and_not1_b32 exec_lo, exec_lo, s8
	s_cbranch_execnz .LBB1792_104
; %bb.107:
	s_or_b32 exec_lo, exec_lo, s8
.LBB1792_108:
	s_delay_alu instid0(SALU_CYCLE_1) | instskip(SKIP_3) | instid1(VALU_DEP_1)
	s_or_b32 exec_lo, exec_lo, s7
	v_cmp_ne_u32_e32 vcc_lo, 31, v82
	v_lshlrev_b32_e64 v92, v82, -1
	v_add_co_ci_u32_e32 v9, vcc_lo, 0, v82, vcc_lo
	v_lshlrev_b32_e32 v91, 2, v9
	ds_bpermute_b32 v25, v91, v7
	ds_bpermute_b32 v9, v91, v6
	s_waitcnt lgkmcnt(1)
	v_add_nc_u32_e32 v25, v25, v7
	v_and_b32_e32 v26, 0xff, v8
	s_waitcnt lgkmcnt(0)
	v_add_nc_u32_e32 v9, v9, v6
	s_delay_alu instid0(VALU_DEP_2) | instskip(SKIP_2) | instid1(VALU_DEP_2)
	v_cmp_eq_u16_e32 vcc_lo, 2, v26
	v_and_or_b32 v26, vcc_lo, v92, 0x80000000
	v_cmp_gt_u32_e32 vcc_lo, 30, v82
	v_ctz_i32_b32_e32 v26, v26
	v_cndmask_b32_e64 v27, 0, 1, vcc_lo
	s_delay_alu instid0(VALU_DEP_2) | instskip(NEXT) | instid1(VALU_DEP_2)
	v_cmp_lt_u32_e32 vcc_lo, v82, v26
	v_dual_cndmask_b32 v6, v6, v9 :: v_dual_lshlrev_b32 v27, 1, v27
	s_delay_alu instid0(VALU_DEP_1)
	v_add_lshl_u32 v93, v27, v82, 2
	v_cndmask_b32_e32 v7, v7, v25, vcc_lo
	v_cmp_gt_u32_e32 vcc_lo, 28, v82
	ds_bpermute_b32 v9, v93, v6
	ds_bpermute_b32 v25, v93, v7
	v_cndmask_b32_e64 v27, 0, 1, vcc_lo
	s_waitcnt lgkmcnt(1)
	v_add_nc_u32_e32 v9, v6, v9
	s_waitcnt lgkmcnt(0)
	v_add_nc_u32_e32 v25, v7, v25
	v_add_nc_u32_e32 v94, 2, v82
	s_delay_alu instid0(VALU_DEP_1) | instskip(NEXT) | instid1(VALU_DEP_3)
	v_cmp_gt_u32_e32 vcc_lo, v94, v26
	v_cndmask_b32_e32 v7, v25, v7, vcc_lo
	v_dual_cndmask_b32 v6, v9, v6 :: v_dual_lshlrev_b32 v27, 2, v27
	v_cmp_gt_u32_e32 vcc_lo, 24, v82
	s_delay_alu instid0(VALU_DEP_2) | instskip(SKIP_4) | instid1(VALU_DEP_1)
	v_add_lshl_u32 v95, v27, v82, 2
	v_cndmask_b32_e64 v27, 0, 1, vcc_lo
	ds_bpermute_b32 v25, v95, v7
	ds_bpermute_b32 v9, v95, v6
	v_lshlrev_b32_e32 v27, 3, v27
	v_add_lshl_u32 v97, v27, v82, 2
	s_waitcnt lgkmcnt(1)
	v_add_nc_u32_e32 v25, v7, v25
	v_add_nc_u32_e32 v96, 4, v82
	s_waitcnt lgkmcnt(0)
	v_add_nc_u32_e32 v9, v6, v9
	s_delay_alu instid0(VALU_DEP_2) | instskip(SKIP_1) | instid1(VALU_DEP_3)
	v_cmp_gt_u32_e32 vcc_lo, v96, v26
	v_cndmask_b32_e32 v7, v25, v7, vcc_lo
	v_cndmask_b32_e32 v6, v9, v6, vcc_lo
	v_cmp_gt_u32_e32 vcc_lo, 16, v82
	ds_bpermute_b32 v25, v97, v7
	ds_bpermute_b32 v9, v97, v6
	v_cndmask_b32_e64 v27, 0, 1, vcc_lo
	s_delay_alu instid0(VALU_DEP_1) | instskip(NEXT) | instid1(VALU_DEP_1)
	v_lshlrev_b32_e32 v27, 4, v27
	v_add_lshl_u32 v99, v27, v82, 2
	s_waitcnt lgkmcnt(1)
	v_add_nc_u32_e32 v25, v7, v25
	v_add_nc_u32_e32 v98, 8, v82
	s_waitcnt lgkmcnt(0)
	v_add_nc_u32_e32 v9, v6, v9
	s_delay_alu instid0(VALU_DEP_2) | instskip(SKIP_1) | instid1(VALU_DEP_3)
	v_cmp_gt_u32_e32 vcc_lo, v98, v26
	v_cndmask_b32_e32 v7, v25, v7, vcc_lo
	v_cndmask_b32_e32 v6, v9, v6, vcc_lo
	ds_bpermute_b32 v25, v99, v7
	ds_bpermute_b32 v9, v99, v6
	v_add_nc_u32_e32 v100, 16, v82
	s_delay_alu instid0(VALU_DEP_1) | instskip(SKIP_2) | instid1(VALU_DEP_1)
	v_cmp_le_u32_e32 vcc_lo, v100, v26
	s_waitcnt lgkmcnt(0)
	v_cndmask_b32_e32 v9, 0, v9, vcc_lo
	v_dual_cndmask_b32 v25, 0, v25 :: v_dual_add_nc_u32 v6, v9, v6
	s_delay_alu instid0(VALU_DEP_1)
	v_add_nc_u32_e32 v7, v25, v7
	v_mov_b32_e32 v25, 0
	s_branch .LBB1792_110
.LBB1792_109:                           ;   in Loop: Header=BB1792_110 Depth=1
	s_or_b32 exec_lo, exec_lo, s7
	ds_bpermute_b32 v9, v91, v6
	ds_bpermute_b32 v28, v91, v7
	v_subrev_nc_u32_e32 v24, 32, v24
	s_waitcnt lgkmcnt(1)
	v_add_nc_u32_e32 v9, v9, v6
	v_and_b32_e32 v29, 0xff, v8
	s_waitcnt lgkmcnt(0)
	v_add_nc_u32_e32 v28, v28, v7
	s_delay_alu instid0(VALU_DEP_2) | instskip(SKIP_1) | instid1(VALU_DEP_1)
	v_cmp_eq_u16_e32 vcc_lo, 2, v29
	v_and_or_b32 v29, vcc_lo, v92, 0x80000000
	v_ctz_i32_b32_e32 v29, v29
	s_delay_alu instid0(VALU_DEP_1)
	v_cmp_lt_u32_e32 vcc_lo, v82, v29
	v_cndmask_b32_e32 v6, v6, v9, vcc_lo
	ds_bpermute_b32 v9, v93, v6
	s_waitcnt lgkmcnt(0)
	v_add_nc_u32_e32 v9, v6, v9
	v_cndmask_b32_e32 v7, v7, v28, vcc_lo
	v_cmp_gt_u32_e32 vcc_lo, v94, v29
	s_delay_alu instid0(VALU_DEP_3)
	v_cndmask_b32_e32 v6, v9, v6, vcc_lo
	ds_bpermute_b32 v28, v93, v7
	ds_bpermute_b32 v9, v95, v6
	s_waitcnt lgkmcnt(1)
	v_add_nc_u32_e32 v28, v7, v28
	s_waitcnt lgkmcnt(0)
	v_add_nc_u32_e32 v9, v6, v9
	s_delay_alu instid0(VALU_DEP_2) | instskip(SKIP_1) | instid1(VALU_DEP_3)
	v_cndmask_b32_e32 v7, v28, v7, vcc_lo
	v_cmp_gt_u32_e32 vcc_lo, v96, v29
	v_cndmask_b32_e32 v6, v9, v6, vcc_lo
	ds_bpermute_b32 v28, v95, v7
	ds_bpermute_b32 v9, v97, v6
	s_waitcnt lgkmcnt(1)
	v_add_nc_u32_e32 v28, v7, v28
	s_waitcnt lgkmcnt(0)
	v_add_nc_u32_e32 v9, v6, v9
	s_delay_alu instid0(VALU_DEP_2) | instskip(SKIP_1) | instid1(VALU_DEP_3)
	v_cndmask_b32_e32 v7, v28, v7, vcc_lo
	v_cmp_gt_u32_e32 vcc_lo, v98, v29
	v_cndmask_b32_e32 v6, v9, v6, vcc_lo
	ds_bpermute_b32 v28, v97, v7
	ds_bpermute_b32 v9, v99, v6
	s_waitcnt lgkmcnt(1)
	v_add_nc_u32_e32 v28, v7, v28
	s_delay_alu instid0(VALU_DEP_1) | instskip(SKIP_4) | instid1(VALU_DEP_1)
	v_cndmask_b32_e32 v7, v28, v7, vcc_lo
	v_cmp_le_u32_e32 vcc_lo, v100, v29
	ds_bpermute_b32 v28, v99, v7
	s_waitcnt lgkmcnt(1)
	v_cndmask_b32_e32 v9, 0, v9, vcc_lo
	v_add3_u32 v6, v6, v26, v9
	s_waitcnt lgkmcnt(0)
	v_cndmask_b32_e32 v28, 0, v28, vcc_lo
	s_delay_alu instid0(VALU_DEP_1)
	v_add3_u32 v7, v7, v27, v28
.LBB1792_110:                           ; =>This Loop Header: Depth=1
                                        ;     Child Loop BB1792_113 Depth 2
                                        ;       Child Loop BB1792_114 Depth 3
	s_delay_alu instid0(VALU_DEP_1) | instskip(SKIP_1) | instid1(VALU_DEP_2)
	v_dual_mov_b32 v27, v7 :: v_dual_and_b32 v8, 0xff, v8
	v_mov_b32_e32 v26, v6
	v_cmp_ne_u16_e32 vcc_lo, 2, v8
	v_cndmask_b32_e64 v8, 0, 1, vcc_lo
	;;#ASMSTART
	;;#ASMEND
	s_delay_alu instid0(VALU_DEP_1)
	v_cmp_ne_u32_e32 vcc_lo, 0, v8
	s_cmp_lg_u32 vcc_lo, exec_lo
	s_cbranch_scc1 .LBB1792_117
; %bb.111:                              ;   in Loop: Header=BB1792_110 Depth=1
	v_lshlrev_b64 v[6:7], 4, v[24:25]
	s_mov_b32 s7, exec_lo
	s_delay_alu instid0(VALU_DEP_1) | instskip(NEXT) | instid1(VALU_DEP_2)
	v_add_co_u32 v28, vcc_lo, s36, v6
	v_add_co_ci_u32_e32 v29, vcc_lo, s37, v7, vcc_lo
	;;#ASMSTART
	global_load_dwordx4 v[6:9], v[28:29] off glc	
s_waitcnt vmcnt(0)
	;;#ASMEND
	v_and_b32_e32 v9, 0xff, v7
	v_and_b32_e32 v101, 0xff00, v7
	v_or3_b32 v6, v6, 0, 0
	v_and_b32_e32 v102, 0xff000000, v7
	v_and_b32_e32 v7, 0xff0000, v7
	s_delay_alu instid0(VALU_DEP_4) | instskip(SKIP_2) | instid1(VALU_DEP_3)
	v_or3_b32 v9, 0, v9, v101
	v_and_b32_e32 v101, 0xff, v8
	v_or3_b32 v6, v6, 0, 0
	v_or3_b32 v7, v9, v7, v102
	s_delay_alu instid0(VALU_DEP_3)
	v_cmpx_eq_u16_e32 0, v101
	s_cbranch_execz .LBB1792_109
; %bb.112:                              ;   in Loop: Header=BB1792_110 Depth=1
	s_mov_b32 s9, 1
	s_mov_b32 s8, 0
	.p2align	6
.LBB1792_113:                           ;   Parent Loop BB1792_110 Depth=1
                                        ; =>  This Loop Header: Depth=2
                                        ;       Child Loop BB1792_114 Depth 3
	s_max_u32 s10, s9, 1
.LBB1792_114:                           ;   Parent Loop BB1792_110 Depth=1
                                        ;     Parent Loop BB1792_113 Depth=2
                                        ; =>    This Inner Loop Header: Depth=3
	s_delay_alu instid0(SALU_CYCLE_1)
	s_add_i32 s10, s10, -1
	s_sleep 1
	s_cmp_eq_u32 s10, 0
	s_cbranch_scc0 .LBB1792_114
; %bb.115:                              ;   in Loop: Header=BB1792_113 Depth=2
	;;#ASMSTART
	global_load_dwordx4 v[6:9], v[28:29] off glc	
s_waitcnt vmcnt(0)
	;;#ASMEND
	v_and_b32_e32 v9, 0xff, v8
	s_cmp_lt_u32 s9, 32
	s_cselect_b32 s10, -1, 0
	s_delay_alu instid0(SALU_CYCLE_1) | instskip(NEXT) | instid1(VALU_DEP_1)
	s_cmp_lg_u32 s10, 0
	v_cmp_ne_u16_e32 vcc_lo, 0, v9
	s_addc_u32 s9, s9, 0
	s_or_b32 s8, vcc_lo, s8
	s_delay_alu instid0(SALU_CYCLE_1)
	s_and_not1_b32 exec_lo, exec_lo, s8
	s_cbranch_execnz .LBB1792_113
; %bb.116:                              ;   in Loop: Header=BB1792_110 Depth=1
	s_or_b32 exec_lo, exec_lo, s8
	s_branch .LBB1792_109
.LBB1792_117:                           ;   in Loop: Header=BB1792_110 Depth=1
                                        ; implicit-def: $vgpr8
                                        ; implicit-def: $vgpr6_vgpr7
	s_cbranch_execz .LBB1792_110
; %bb.118:
	s_and_saveexec_b32 s7, s3
	s_cbranch_execnz .LBB1792_361
; %bb.119:
	s_or_b32 exec_lo, exec_lo, s7
	s_and_saveexec_b32 s7, s3
	s_cbranch_execnz .LBB1792_362
.LBB1792_120:
	s_or_b32 exec_lo, exec_lo, s7
	s_delay_alu instid0(SALU_CYCLE_1)
	s_and_b32 exec_lo, exec_lo, s2
	s_cbranch_execz .LBB1792_122
.LBB1792_121:
	v_mov_b32_e32 v5, 0
	ds_store_b64 v5, v[26:27] offset:56
.LBB1792_122:
	s_or_b32 exec_lo, exec_lo, s5
	s_waitcnt lgkmcnt(1)
	v_cndmask_b32_e64 v22, v89, v22, s3
	v_mov_b32_e32 v5, 0
	s_waitcnt lgkmcnt(0)
	s_barrier
	buffer_gl0_inv
	v_add_nc_u32_e64 v7, 0x3400, 0
	ds_load_b64 v[24:25], v5 offset:56
	s_waitcnt lgkmcnt(0)
	s_barrier
	buffer_gl0_inv
	ds_load_2addr_b32 v[5:6], v7 offset1:2
	ds_load_2addr_b32 v[7:8], v7 offset0:4 offset1:6
	v_cndmask_b32_e64 v9, v90, v23, s3
	v_add_nc_u32_e32 v22, v24, v22
	s_delay_alu instid0(VALU_DEP_2) | instskip(NEXT) | instid1(VALU_DEP_2)
	v_add_nc_u32_e32 v9, v25, v9
	v_cndmask_b32_e64 v22, v22, v24, s2
	s_delay_alu instid0(VALU_DEP_2)
	v_cndmask_b32_e64 v9, v9, v25, s2
	s_branch .LBB1792_133
.LBB1792_123:
                                        ; implicit-def: $vgpr9
                                        ; implicit-def: $vgpr7
                                        ; implicit-def: $vgpr5
                                        ; implicit-def: $vgpr22_vgpr23
	s_and_b32 vcc_lo, exec_lo, s5
	s_cbranch_vccz .LBB1792_133
; %bb.124:
	s_waitcnt lgkmcnt(1)
	v_mov_b32_dpp v6, v88 row_shr:1 row_mask:0xf bank_mask:0xf
	v_cmp_lt_u32_e32 vcc_lo, 3, v86
	v_mov_b32_dpp v5, v87 row_shr:1 row_mask:0xf bank_mask:0xf
	s_delay_alu instid0(VALU_DEP_3) | instskip(NEXT) | instid1(VALU_DEP_1)
	v_add_nc_u32_e32 v6, v6, v88
	v_cndmask_b32_e64 v6, v6, v88, s1
	s_waitcnt lgkmcnt(0)
	s_delay_alu instid0(VALU_DEP_1) | instskip(NEXT) | instid1(VALU_DEP_1)
	v_mov_b32_dpp v8, v6 row_shr:2 row_mask:0xf bank_mask:0xf
	v_add_nc_u32_e32 v8, v6, v8
	s_delay_alu instid0(VALU_DEP_1) | instskip(NEXT) | instid1(VALU_DEP_1)
	v_cndmask_b32_e64 v6, v6, v8, s0
	v_mov_b32_dpp v8, v6 row_shr:4 row_mask:0xf bank_mask:0xf
	s_delay_alu instid0(VALU_DEP_1) | instskip(NEXT) | instid1(VALU_DEP_1)
	v_add_nc_u32_e32 v8, v6, v8
	v_dual_cndmask_b32 v6, v6, v8 :: v_dual_add_nc_u32 v5, v5, v87
	s_delay_alu instid0(VALU_DEP_1) | instskip(NEXT) | instid1(VALU_DEP_2)
	v_cndmask_b32_e64 v5, v5, v87, s1
	v_mov_b32_dpp v8, v6 row_shr:8 row_mask:0xf bank_mask:0xf
	s_delay_alu instid0(VALU_DEP_2) | instskip(NEXT) | instid1(VALU_DEP_2)
	v_mov_b32_dpp v7, v5 row_shr:2 row_mask:0xf bank_mask:0xf
	v_add_nc_u32_e32 v8, v6, v8
	s_delay_alu instid0(VALU_DEP_2) | instskip(NEXT) | instid1(VALU_DEP_1)
	v_add_nc_u32_e32 v7, v5, v7
	v_cndmask_b32_e64 v5, v5, v7, s0
	s_mov_b32 s0, exec_lo
	s_delay_alu instid0(VALU_DEP_1) | instskip(NEXT) | instid1(VALU_DEP_1)
	v_mov_b32_dpp v7, v5 row_shr:4 row_mask:0xf bank_mask:0xf
	v_add_nc_u32_e32 v7, v5, v7
	s_delay_alu instid0(VALU_DEP_1) | instskip(SKIP_1) | instid1(VALU_DEP_2)
	v_cndmask_b32_e32 v5, v5, v7, vcc_lo
	v_cmp_lt_u32_e32 vcc_lo, 7, v86
	v_mov_b32_dpp v7, v5 row_shr:8 row_mask:0xf bank_mask:0xf
	s_delay_alu instid0(VALU_DEP_1) | instskip(NEXT) | instid1(VALU_DEP_1)
	v_dual_cndmask_b32 v6, v6, v8 :: v_dual_add_nc_u32 v7, v5, v7
	v_cndmask_b32_e32 v5, v5, v7, vcc_lo
	ds_swizzle_b32 v7, v6 offset:swizzle(BROADCAST,32,15)
	v_cmp_eq_u32_e32 vcc_lo, 0, v85
	ds_swizzle_b32 v8, v5 offset:swizzle(BROADCAST,32,15)
	s_waitcnt lgkmcnt(1)
	v_add_nc_u32_e32 v7, v6, v7
	s_waitcnt lgkmcnt(0)
	v_add_nc_u32_e32 v8, v5, v8
	s_delay_alu instid0(VALU_DEP_1)
	v_dual_cndmask_b32 v6, v7, v6 :: v_dual_cndmask_b32 v5, v8, v5
	v_cmpx_eq_u32_e64 v84, v0
	s_cbranch_execz .LBB1792_126
; %bb.125:
	v_lshlrev_b32_e32 v7, 3, v83
	ds_store_b64 v7, v[5:6]
.LBB1792_126:
	s_or_b32 exec_lo, exec_lo, s0
	s_delay_alu instid0(SALU_CYCLE_1)
	s_mov_b32 s0, exec_lo
	s_waitcnt lgkmcnt(0)
	s_barrier
	buffer_gl0_inv
	v_cmpx_gt_u32_e32 8, v0
	s_cbranch_execz .LBB1792_128
; %bb.127:
	v_lshlrev_b32_e32 v9, 3, v0
	ds_load_b64 v[7:8], v9
	s_waitcnt lgkmcnt(0)
	v_mov_b32_dpp v22, v7 row_shr:1 row_mask:0xf bank_mask:0xf
	v_mov_b32_dpp v23, v8 row_shr:1 row_mask:0xf bank_mask:0xf
	s_delay_alu instid0(VALU_DEP_2) | instskip(SKIP_1) | instid1(VALU_DEP_3)
	v_add_nc_u32_e32 v22, v22, v7
	v_and_b32_e32 v24, 7, v82
	v_add_nc_u32_e32 v23, v23, v8
	s_delay_alu instid0(VALU_DEP_2) | instskip(NEXT) | instid1(VALU_DEP_2)
	v_cmp_eq_u32_e32 vcc_lo, 0, v24
	v_dual_cndmask_b32 v8, v23, v8 :: v_dual_cndmask_b32 v7, v22, v7
	v_cmp_lt_u32_e32 vcc_lo, 1, v24
	s_delay_alu instid0(VALU_DEP_2) | instskip(NEXT) | instid1(VALU_DEP_3)
	v_mov_b32_dpp v23, v8 row_shr:2 row_mask:0xf bank_mask:0xf
	v_mov_b32_dpp v22, v7 row_shr:2 row_mask:0xf bank_mask:0xf
	s_delay_alu instid0(VALU_DEP_2) | instskip(NEXT) | instid1(VALU_DEP_2)
	v_add_nc_u32_e32 v23, v8, v23
	v_add_nc_u32_e32 v22, v7, v22
	s_delay_alu instid0(VALU_DEP_1) | instskip(SKIP_1) | instid1(VALU_DEP_2)
	v_dual_cndmask_b32 v8, v8, v23 :: v_dual_cndmask_b32 v7, v7, v22
	v_cmp_lt_u32_e32 vcc_lo, 3, v24
	v_mov_b32_dpp v23, v8 row_shr:4 row_mask:0xf bank_mask:0xf
	s_delay_alu instid0(VALU_DEP_3) | instskip(NEXT) | instid1(VALU_DEP_1)
	v_mov_b32_dpp v22, v7 row_shr:4 row_mask:0xf bank_mask:0xf
	v_dual_cndmask_b32 v23, 0, v23 :: v_dual_cndmask_b32 v22, 0, v22
	s_delay_alu instid0(VALU_DEP_1) | instskip(NEXT) | instid1(VALU_DEP_2)
	v_add_nc_u32_e32 v8, v23, v8
	v_add_nc_u32_e32 v7, v22, v7
	ds_store_b64 v9, v[7:8]
.LBB1792_128:
	s_or_b32 exec_lo, exec_lo, s0
	v_dual_mov_b32 v7, 0 :: v_dual_mov_b32 v22, 0
	v_mov_b32_e32 v23, 0
	s_mov_b32 s0, exec_lo
	s_waitcnt lgkmcnt(0)
	s_barrier
	buffer_gl0_inv
	v_cmpx_lt_u32_e32 31, v0
	s_cbranch_execz .LBB1792_130
; %bb.129:
	v_lshl_add_u32 v8, v83, 3, -8
	ds_load_b64 v[22:23], v8
.LBB1792_130:
	s_or_b32 exec_lo, exec_lo, s0
	v_add_nc_u32_e32 v8, -1, v82
	s_waitcnt lgkmcnt(0)
	v_add_nc_u32_e32 v24, v23, v6
	v_add_nc_u32_e32 v9, v22, v5
	ds_load_b64 v[5:6], v7 offset:56
	v_cmp_gt_i32_e32 vcc_lo, 0, v8
	v_cndmask_b32_e32 v8, v8, v82, vcc_lo
	s_delay_alu instid0(VALU_DEP_1)
	v_lshlrev_b32_e32 v8, 2, v8
	ds_bpermute_b32 v9, v8, v9
	ds_bpermute_b32 v24, v8, v24
	s_waitcnt lgkmcnt(2)
	v_readfirstlane_b32 s0, v6
	s_and_saveexec_b32 s1, s2
	s_cbranch_execz .LBB1792_132
; %bb.131:
	s_mov_b32 s8, 0
	s_add_u32 s6, s36, 0x200
	s_addc_u32 s7, s37, 0
	s_and_b32 s9, s0, 0xff000000
	s_and_b32 s11, s0, 0xff0000
	s_mov_b32 s10, s8
	v_mov_b32_e32 v26, s7
	s_or_b64 s[10:11], s[10:11], s[8:9]
	s_and_b32 s9, s0, 0xff00
	v_dual_mov_b32 v8, 0 :: v_dual_mov_b32 v25, s6
	s_or_b64 s[10:11], s[10:11], s[8:9]
	s_and_b32 s9, s0, 0xff
	v_mov_b32_e32 v7, 2
	s_or_b64 s[8:9], s[10:11], s[8:9]
	s_delay_alu instid0(SALU_CYCLE_1)
	v_mov_b32_e32 v6, s9
	;;#ASMSTART
	global_store_dwordx4 v[25:26], v[5:8] off	
s_waitcnt vmcnt(0)
	;;#ASMEND
.LBB1792_132:
	s_or_b32 exec_lo, exec_lo, s1
	v_cmp_eq_u32_e32 vcc_lo, 0, v82
	v_dual_mov_b32 v7, 0 :: v_dual_mov_b32 v6, s0
	s_waitcnt lgkmcnt(0)
	s_barrier
	v_dual_cndmask_b32 v8, v9, v22 :: v_dual_cndmask_b32 v9, v24, v23
	buffer_gl0_inv
	v_cndmask_b32_e64 v22, v8, 0, s2
	v_cndmask_b32_e64 v9, v9, 0, s2
	v_mov_b32_e32 v8, 0
.LBB1792_133:
	s_delay_alu instid0(VALU_DEP_1) | instskip(SKIP_1) | instid1(VALU_DEP_2)
	v_add_nc_u32_e32 v24, v9, v81
	s_waitcnt lgkmcnt(0)
	v_sub_nc_u32_e32 v9, v9, v8
	v_add_co_u32 v1, vcc_lo, v1, v7
	v_and_b32_e32 v35, 1, v35
	v_add_nc_u32_e32 v26, v24, v77
	v_sub_nc_u32_e32 v24, v24, v8
	v_lshlrev_b32_e32 v77, 1, v5
	v_add_nc_u32_e32 v9, v9, v5
	v_add_co_ci_u32_e32 v2, vcc_lo, 0, v2, vcc_lo
	v_add_nc_u32_e32 v28, v26, v79
	s_delay_alu instid0(VALU_DEP_4)
	v_add3_u32 v33, v77, v6, v33
	v_and_b32_e32 v40, 1, v40
	v_and_b32_e32 v37, 1, v37
	;; [unrolled: 1-line block ×3, first 2 shown]
	v_add_nc_u32_e32 v29, v28, v75
	v_sub_nc_u32_e32 v28, v28, v8
	v_sub_co_u32 v75, vcc_lo, v3, v5
	s_add_u32 s1, s14, -4
	s_delay_alu instid0(VALU_DEP_3) | instskip(SKIP_4) | instid1(VALU_DEP_3)
	v_add_nc_u32_e32 v73, v29, v73
	v_sub_nc_u32_e32 v29, v29, v8
	v_add_nc_u32_e32 v28, v28, v5
	v_add_nc_u32_e32 v24, v24, v5
	s_mov_b32 s3, -1
	v_add_nc_u32_e32 v29, v29, v5
	v_add_nc_u32_e32 v23, v22, v80
	v_sub_nc_u32_e32 v22, v22, v7
	s_delay_alu instid0(VALU_DEP_2) | instskip(SKIP_3) | instid1(VALU_DEP_3)
	v_add_nc_u32_e32 v25, v23, v76
	v_sub_nc_u32_e32 v23, v23, v7
	v_subrev_co_ci_u32_e32 v76, vcc_lo, 0, v4, vcc_lo
	v_cmp_eq_u32_e32 vcc_lo, 1, v35
	v_add_nc_u32_e32 v79, v24, v23
	s_delay_alu instid0(VALU_DEP_1) | instskip(NEXT) | instid1(VALU_DEP_1)
	v_sub_nc_u32_e32 v79, v33, v79
	v_add_nc_u32_e32 v79, 1, v79
	v_add_nc_u32_e32 v27, v25, v78
	;; [unrolled: 1-line block ×3, first 2 shown]
	s_delay_alu instid0(VALU_DEP_1) | instskip(NEXT) | instid1(VALU_DEP_1)
	v_sub_nc_u32_e32 v78, v33, v78
	v_dual_cndmask_b32 v9, v78, v9 :: v_dual_and_b32 v34, 1, v34
	v_cmp_eq_u32_e32 vcc_lo, 1, v40
	v_cndmask_b32_e32 v24, v79, v24, vcc_lo
	s_delay_alu instid0(VALU_DEP_3) | instskip(NEXT) | instid1(VALU_DEP_4)
	v_cmp_eq_u32_e32 vcc_lo, 1, v34
	v_cndmask_b32_e32 v9, v9, v22, vcc_lo
	v_sub_nc_u32_e32 v26, v26, v8
	v_cmp_eq_u32_e32 vcc_lo, 1, v37
	v_and_b32_e32 v37, 1, v38
	s_delay_alu instid0(VALU_DEP_4) | instskip(NEXT) | instid1(VALU_DEP_4)
	v_lshlrev_b32_e32 v9, 2, v9
	v_add_nc_u32_e32 v26, v26, v5
	v_cndmask_b32_e32 v24, v24, v23, vcc_lo
	v_sub_nc_u32_e32 v25, v25, v7
	v_add_co_u32 v22, vcc_lo, v75, v8
	v_add_co_ci_u32_e32 v23, vcc_lo, 0, v76, vcc_lo
	s_delay_alu instid0(VALU_DEP_3)
	v_add_nc_u32_e32 v34, v26, v25
	v_cmp_eq_u32_e32 vcc_lo, 1, v37
	v_lshlrev_b32_e32 v24, 2, v24
	ds_store_b32 v9, v20
	v_sub_nc_u32_e32 v34, v33, v34
	ds_store_b32 v24, v21
	v_and_b32_e32 v24, 1, v39
	v_add_nc_u32_e32 v34, 2, v34
	s_delay_alu instid0(VALU_DEP_1) | instskip(SKIP_3) | instid1(VALU_DEP_4)
	v_cndmask_b32_e32 v26, v34, v26, vcc_lo
	v_cmp_eq_u32_e32 vcc_lo, 1, v36
	v_add_nc_u32_e32 v74, v27, v74
	v_sub_nc_u32_e32 v27, v27, v7
	v_cndmask_b32_e32 v25, v26, v25, vcc_lo
	s_delay_alu instid0(VALU_DEP_3) | instskip(NEXT) | instid1(VALU_DEP_3)
	v_sub_nc_u32_e32 v37, v74, v7
	v_add_nc_u32_e32 v34, v27, v28
	v_cmp_eq_u32_e32 vcc_lo, 1, v24
	v_sub_nc_u32_e32 v26, v73, v8
	v_lshlrev_b32_e32 v21, 2, v25
	v_and_b32_e32 v25, 1, v41
	v_sub_nc_u32_e32 v9, v33, v34
	v_add_nc_u32_e32 v20, v37, v29
	v_and_b32_e32 v24, 1, v42
	v_add_nc_u32_e32 v26, v26, v5
	ds_store_b32 v21, v18
	v_add_nc_u32_e32 v9, 3, v9
	v_sub_nc_u32_e32 v20, v33, v20
	s_delay_alu instid0(VALU_DEP_2) | instskip(SKIP_2) | instid1(VALU_DEP_4)
	v_cndmask_b32_e32 v9, v9, v28, vcc_lo
	v_cmp_eq_u32_e32 vcc_lo, 1, v25
	v_add_nc_u32_e32 v72, v74, v72
	v_add_nc_u32_e32 v20, 4, v20
	v_and_b32_e32 v25, 1, v43
	v_cndmask_b32_e32 v9, v9, v27, vcc_lo
	s_delay_alu instid0(VALU_DEP_4)
	v_sub_nc_u32_e32 v28, v72, v7
	v_cmp_eq_u32_e32 vcc_lo, 1, v24
	v_and_b32_e32 v24, 1, v44
	v_add_nc_u32_e32 v70, v72, v70
	v_lshlrev_b32_e32 v9, 2, v9
	v_add_nc_u32_e32 v27, v28, v26
	v_cndmask_b32_e32 v20, v20, v29, vcc_lo
	v_cmp_eq_u32_e32 vcc_lo, 1, v25
	v_and_b32_e32 v25, 1, v45
	v_add_nc_u32_e32 v64, v70, v64
	v_sub_nc_u32_e32 v18, v33, v27
	v_sub_nc_u32_e32 v27, v70, v7
	v_cndmask_b32_e32 v20, v20, v37, vcc_lo
	v_cmp_eq_u32_e32 vcc_lo, 1, v24
	ds_store_b32 v9, v19
	v_add_nc_u32_e32 v18, 5, v18
	v_and_b32_e32 v19, 1, v46
	v_lshlrev_b32_e32 v20, 2, v20
	v_add_nc_u32_e32 v68, v64, v68
	s_delay_alu instid0(VALU_DEP_4)
	v_cndmask_b32_e32 v18, v18, v26, vcc_lo
	v_cmp_eq_u32_e32 vcc_lo, 1, v25
	v_sub_nc_u32_e32 v25, v64, v7
	ds_store_b32 v20, v16
	v_and_b32_e32 v20, 1, v49
	v_add_nc_u32_e32 v66, v68, v66
	v_dual_cndmask_b32 v18, v18, v28 :: v_dual_add_nc_u32 v71, v73, v71
	v_cmp_eq_u32_e32 vcc_lo, 1, v19
	v_and_b32_e32 v19, 1, v48
	s_delay_alu instid0(VALU_DEP_4) | instskip(NEXT) | instid1(VALU_DEP_4)
	v_add_nc_u32_e32 v61, v66, v61
	v_lshlrev_b32_e32 v18, 2, v18
	v_add_nc_u32_e32 v65, v71, v65
	v_sub_nc_u32_e32 v21, v71, v8
	s_delay_alu instid0(VALU_DEP_4)
	v_add_nc_u32_e32 v60, v61, v60
	ds_store_b32 v18, v17
	v_sub_nc_u32_e32 v24, v65, v8
	v_add_nc_u32_e32 v21, v21, v5
	v_add_nc_u32_e32 v69, v65, v69
	v_and_b32_e32 v17, 1, v47
	s_delay_alu instid0(VALU_DEP_4) | instskip(NEXT) | instid1(VALU_DEP_4)
	v_add_nc_u32_e32 v24, v24, v5
	v_add_nc_u32_e32 v26, v27, v21
	s_delay_alu instid0(VALU_DEP_4) | instskip(NEXT) | instid1(VALU_DEP_3)
	v_sub_nc_u32_e32 v18, v69, v8
	v_add_nc_u32_e32 v16, v25, v24
	s_delay_alu instid0(VALU_DEP_3) | instskip(NEXT) | instid1(VALU_DEP_3)
	v_sub_nc_u32_e32 v9, v33, v26
	v_add_nc_u32_e32 v18, v18, v5
	v_sub_nc_u32_e32 v26, v60, v7
	s_delay_alu instid0(VALU_DEP_4) | instskip(NEXT) | instid1(VALU_DEP_4)
	v_sub_nc_u32_e32 v16, v33, v16
	v_add_nc_u32_e32 v9, 6, v9
	s_delay_alu instid0(VALU_DEP_1) | instskip(SKIP_2) | instid1(VALU_DEP_3)
	v_dual_cndmask_b32 v9, v9, v21 :: v_dual_add_nc_u32 v16, 7, v16
	v_cmp_eq_u32_e32 vcc_lo, 1, v19
	v_sub_nc_u32_e32 v21, v68, v7
	v_cndmask_b32_e32 v16, v16, v24, vcc_lo
	v_cmp_eq_u32_e32 vcc_lo, 1, v17
	s_delay_alu instid0(VALU_DEP_3) | instskip(SKIP_3) | instid1(VALU_DEP_4)
	v_add_nc_u32_e32 v17, v21, v18
	v_cndmask_b32_e32 v9, v9, v27, vcc_lo
	v_cmp_eq_u32_e32 vcc_lo, 1, v20
	v_add_nc_u32_e32 v67, v69, v67
	v_sub_nc_u32_e32 v17, v33, v17
	v_sub_nc_u32_e32 v20, v66, v7
	v_lshlrev_b32_e32 v9, 2, v9
	v_cndmask_b32_e32 v16, v16, v25, vcc_lo
	v_sub_nc_u32_e32 v19, v67, v8
	v_add_nc_u32_e32 v62, v67, v62
	v_sub_nc_u32_e32 v25, v61, v7
	ds_store_b32 v9, v14
	v_and_b32_e32 v9, 1, v50
	v_add_nc_u32_e32 v19, v19, v5
	v_add_nc_u32_e32 v14, 8, v17
	v_lshlrev_b32_e32 v16, 2, v16
	v_add_nc_u32_e32 v63, v62, v63
	v_cmp_eq_u32_e32 vcc_lo, 1, v9
	v_add_nc_u32_e32 v17, v20, v19
	ds_store_b32 v16, v15
	v_and_b32_e32 v15, 1, v51
	v_cndmask_b32_e32 v9, v14, v18, vcc_lo
	v_sub_nc_u32_e32 v14, v33, v17
	v_and_b32_e32 v18, 1, v52
	v_sub_nc_u32_e32 v17, v62, v8
	v_and_b32_e32 v16, 1, v54
	v_sub_nc_u32_e32 v24, v63, v8
	v_add_nc_u32_e32 v14, 9, v14
	v_cmp_eq_u32_e32 vcc_lo, 1, v18
	v_add_nc_u32_e32 v17, v17, v5
	v_add_nc_u32_e32 v35, v63, v59
	;; [unrolled: 1-line block ×3, first 2 shown]
	v_cndmask_b32_e32 v14, v14, v19, vcc_lo
	v_cmp_eq_u32_e32 vcc_lo, 1, v15
	v_add_nc_u32_e32 v15, v25, v17
	s_delay_alu instid0(VALU_DEP_4)
	v_add_nc_u32_e32 v18, v26, v24
	v_and_b32_e32 v19, 1, v55
	v_cndmask_b32_e32 v9, v9, v21, vcc_lo
	v_cmp_eq_u32_e32 vcc_lo, 1, v16
	v_sub_nc_u32_e32 v15, v33, v15
	v_sub_nc_u32_e32 v18, v33, v18
	v_and_b32_e32 v21, 1, v57
	v_sub_nc_u32_e32 v16, v35, v8
	v_cndmask_b32_e32 v14, v14, v20, vcc_lo
	v_and_b32_e32 v20, 1, v53
	v_add_nc_u32_e32 v15, 10, v15
	v_add_nc_u32_e32 v18, 11, v18
	;; [unrolled: 1-line block ×3, first 2 shown]
	v_lshlrev_b32_e32 v9, 2, v9
	v_cmp_eq_u32_e32 vcc_lo, 1, v20
	v_dual_cndmask_b32 v15, v15, v17 :: v_dual_lshlrev_b32 v14, 2, v14
	v_cmp_eq_u32_e32 vcc_lo, 1, v21
	v_and_b32_e32 v17, 1, v56
	v_cndmask_b32_e32 v18, v18, v24, vcc_lo
	v_cmp_eq_u32_e32 vcc_lo, 1, v19
	v_cndmask_b32_e32 v15, v15, v25, vcc_lo
	s_delay_alu instid0(VALU_DEP_4) | instskip(NEXT) | instid1(VALU_DEP_2)
	v_cmp_eq_u32_e32 vcc_lo, 1, v17
	v_lshlrev_b32_e32 v15, 2, v15
	v_cndmask_b32_e32 v17, v18, v26, vcc_lo
	v_add_nc_u32_e32 v40, v60, v58
	s_delay_alu instid0(VALU_DEP_2) | instskip(NEXT) | instid1(VALU_DEP_2)
	v_lshlrev_b32_e32 v17, 2, v17
	v_sub_nc_u32_e32 v7, v40, v7
	ds_store_b32 v9, v12
	ds_store_b32 v14, v13
	;; [unrolled: 1-line block ×4, first 2 shown]
	v_add_co_u32 v9, s0, v6, v77
	s_delay_alu instid0(VALU_DEP_1) | instskip(SKIP_1) | instid1(VALU_DEP_3)
	v_add_co_ci_u32_e64 v10, null, 0, 0, s0
	v_add_nc_u32_e32 v27, v7, v16
	v_add_co_u32 v9, vcc_lo, v9, v22
	s_delay_alu instid0(VALU_DEP_3) | instskip(NEXT) | instid1(VALU_DEP_3)
	v_add_co_ci_u32_e32 v10, vcc_lo, v10, v23, vcc_lo
	v_sub_nc_u32_e32 v20, v33, v27
	v_add_co_u32 v11, s0, s34, v30
	s_delay_alu instid0(VALU_DEP_4) | instskip(NEXT) | instid1(VALU_DEP_3)
	v_add_co_u32 v9, vcc_lo, v9, v1
	v_add_nc_u32_e32 v18, 12, v20
	v_add_co_ci_u32_e64 v12, null, s35, 0, s0
	v_add_co_ci_u32_e32 v10, vcc_lo, v10, v2, vcc_lo
	s_delay_alu instid0(VALU_DEP_3) | instskip(SKIP_1) | instid1(VALU_DEP_2)
	v_cndmask_b32_e64 v16, v18, v16, s33
	v_add_nc_u32_e32 v14, v5, v6
	v_cndmask_b32_e64 v7, v16, v7, s27
	s_delay_alu instid0(VALU_DEP_1)
	v_lshlrev_b32_e32 v7, 2, v7
	ds_store_b32 v7, v32
	v_sub_co_u32 v7, vcc_lo, v11, v9
	v_sub_co_ci_u32_e32 v13, vcc_lo, v12, v10, vcc_lo
	v_lshlrev_b64 v[9:10], 2, v[22:23]
	v_lshlrev_b64 v[11:12], 2, v[1:2]
	s_waitcnt lgkmcnt(0)
	s_barrier
	buffer_gl0_inv
	v_add_co_u32 v9, vcc_lo, s30, v9
	v_add_co_ci_u32_e32 v10, vcc_lo, s31, v10, vcc_lo
	v_cmp_ne_u32_e32 vcc_lo, 1, v31
	v_add_co_u32 v11, s0, s28, v11
	s_delay_alu instid0(VALU_DEP_1)
	v_add_co_ci_u32_e64 v12, s0, s29, v12, s0
	s_addc_u32 s0, s15, -1
	s_cbranch_vccz .LBB1792_137
; %bb.134:
	s_and_b32 vcc_lo, exec_lo, s3
	s_cbranch_vccnz .LBB1792_242
.LBB1792_135:
	s_and_b32 s0, s2, s13
	s_delay_alu instid0(SALU_CYCLE_1)
	s_and_saveexec_b32 s1, s0
	s_cbranch_execnz .LBB1792_360
.LBB1792_136:
	s_nop 0
	s_sendmsg sendmsg(MSG_DEALLOC_VGPRS)
	s_endpgm
.LBB1792_137:
	s_mov_b32 s3, exec_lo
	v_cmpx_le_u32_e64 v5, v0
	s_xor_b32 s3, exec_lo, s3
	s_cbranch_execz .LBB1792_143
; %bb.138:
	s_mov_b32 s5, exec_lo
	v_cmpx_le_u32_e64 v14, v0
	s_xor_b32 s5, exec_lo, s5
	s_cbranch_execz .LBB1792_140
; %bb.139:
	v_lshlrev_b32_e32 v15, 2, v0
	ds_load_b32 v17, v15
	v_add_co_u32 v15, vcc_lo, v7, v0
	v_add_co_ci_u32_e32 v16, vcc_lo, 0, v13, vcc_lo
	s_delay_alu instid0(VALU_DEP_1) | instskip(NEXT) | instid1(VALU_DEP_1)
	v_lshlrev_b64 v[15:16], 2, v[15:16]
	v_sub_co_u32 v15, vcc_lo, s14, v15
	s_delay_alu instid0(VALU_DEP_2)
	v_sub_co_ci_u32_e32 v16, vcc_lo, s15, v16, vcc_lo
	s_waitcnt lgkmcnt(0)
	global_store_b32 v[15:16], v17, off offset:-4
.LBB1792_140:
	s_and_not1_saveexec_b32 s5, s5
	s_cbranch_execz .LBB1792_142
; %bb.141:
	v_lshlrev_b32_e32 v15, 2, v0
	v_readfirstlane_b32 s6, v9
	v_readfirstlane_b32 s7, v10
	ds_load_b32 v16, v15
	s_waitcnt lgkmcnt(0)
	global_store_b32 v15, v16, s[6:7]
.LBB1792_142:
	s_or_b32 exec_lo, exec_lo, s5
.LBB1792_143:
	s_and_not1_saveexec_b32 s3, s3
	s_cbranch_execz .LBB1792_145
; %bb.144:
	v_lshlrev_b32_e32 v15, 2, v0
	v_readfirstlane_b32 s6, v11
	v_readfirstlane_b32 s7, v12
	ds_load_b32 v16, v15
	s_waitcnt lgkmcnt(0)
	global_store_b32 v15, v16, s[6:7]
.LBB1792_145:
	s_or_b32 exec_lo, exec_lo, s3
	v_or_b32_e32 v15, 0x100, v0
	s_mov_b32 s3, exec_lo
	s_delay_alu instid0(VALU_DEP_1)
	v_cmpx_le_u32_e64 v5, v15
	s_xor_b32 s3, exec_lo, s3
	s_cbranch_execz .LBB1792_151
; %bb.146:
	s_mov_b32 s5, exec_lo
	v_cmpx_le_u32_e64 v14, v15
	s_xor_b32 s5, exec_lo, s5
	s_cbranch_execz .LBB1792_148
; %bb.147:
	v_lshlrev_b32_e32 v15, 2, v0
	ds_load_b32 v17, v15 offset:1024
	v_add_co_u32 v15, vcc_lo, v7, v0
	v_add_co_ci_u32_e32 v16, vcc_lo, 0, v13, vcc_lo
	s_delay_alu instid0(VALU_DEP_1) | instskip(NEXT) | instid1(VALU_DEP_1)
	v_lshlrev_b64 v[15:16], 2, v[15:16]
	v_sub_co_u32 v15, vcc_lo, s1, v15
	s_delay_alu instid0(VALU_DEP_2)
	v_sub_co_ci_u32_e32 v16, vcc_lo, s0, v16, vcc_lo
	s_waitcnt lgkmcnt(0)
	global_store_b32 v[15:16], v17, off offset:-1024
.LBB1792_148:
	s_and_not1_saveexec_b32 s5, s5
	s_cbranch_execz .LBB1792_150
; %bb.149:
	v_lshlrev_b32_e32 v15, 2, v0
	v_readfirstlane_b32 s6, v9
	v_readfirstlane_b32 s7, v10
	ds_load_b32 v16, v15 offset:1024
	s_waitcnt lgkmcnt(0)
	global_store_b32 v15, v16, s[6:7] offset:1024
.LBB1792_150:
	s_or_b32 exec_lo, exec_lo, s5
.LBB1792_151:
	s_and_not1_saveexec_b32 s3, s3
	s_cbranch_execz .LBB1792_153
; %bb.152:
	v_lshlrev_b32_e32 v15, 2, v0
	v_readfirstlane_b32 s6, v11
	v_readfirstlane_b32 s7, v12
	ds_load_b32 v16, v15 offset:1024
	s_waitcnt lgkmcnt(0)
	global_store_b32 v15, v16, s[6:7] offset:1024
.LBB1792_153:
	s_or_b32 exec_lo, exec_lo, s3
	v_or_b32_e32 v15, 0x200, v0
	s_mov_b32 s3, exec_lo
	s_delay_alu instid0(VALU_DEP_1)
	v_cmpx_le_u32_e64 v5, v15
	s_xor_b32 s3, exec_lo, s3
	s_cbranch_execz .LBB1792_159
; %bb.154:
	s_mov_b32 s5, exec_lo
	v_cmpx_le_u32_e64 v14, v15
	s_xor_b32 s5, exec_lo, s5
	s_cbranch_execz .LBB1792_156
; %bb.155:
	v_lshlrev_b32_e32 v15, 2, v0
	ds_load_b32 v17, v15 offset:2048
	v_add_co_u32 v15, vcc_lo, v7, v0
	v_add_co_ci_u32_e32 v16, vcc_lo, 0, v13, vcc_lo
	s_delay_alu instid0(VALU_DEP_1) | instskip(NEXT) | instid1(VALU_DEP_1)
	v_lshlrev_b64 v[15:16], 2, v[15:16]
	v_sub_co_u32 v15, vcc_lo, s1, v15
	s_delay_alu instid0(VALU_DEP_2)
	v_sub_co_ci_u32_e32 v16, vcc_lo, s0, v16, vcc_lo
	s_waitcnt lgkmcnt(0)
	global_store_b32 v[15:16], v17, off offset:-2048
.LBB1792_156:
	s_and_not1_saveexec_b32 s5, s5
	s_cbranch_execz .LBB1792_158
; %bb.157:
	v_lshlrev_b32_e32 v15, 2, v0
	v_readfirstlane_b32 s6, v9
	v_readfirstlane_b32 s7, v10
	ds_load_b32 v16, v15 offset:2048
	s_waitcnt lgkmcnt(0)
	global_store_b32 v15, v16, s[6:7] offset:2048
.LBB1792_158:
	s_or_b32 exec_lo, exec_lo, s5
.LBB1792_159:
	s_and_not1_saveexec_b32 s3, s3
	s_cbranch_execz .LBB1792_161
; %bb.160:
	v_lshlrev_b32_e32 v15, 2, v0
	v_readfirstlane_b32 s6, v11
	v_readfirstlane_b32 s7, v12
	ds_load_b32 v16, v15 offset:2048
	s_waitcnt lgkmcnt(0)
	global_store_b32 v15, v16, s[6:7] offset:2048
.LBB1792_161:
	;; [unrolled: 47-line block ×3, first 2 shown]
	s_or_b32 exec_lo, exec_lo, s3
	v_or_b32_e32 v15, 0x400, v0
	s_mov_b32 s3, exec_lo
	s_delay_alu instid0(VALU_DEP_1)
	v_cmpx_le_u32_e64 v5, v15
	s_xor_b32 s3, exec_lo, s3
	s_cbranch_execz .LBB1792_175
; %bb.170:
	s_mov_b32 s5, exec_lo
	v_cmpx_le_u32_e64 v14, v15
	s_xor_b32 s5, exec_lo, s5
	s_cbranch_execz .LBB1792_172
; %bb.171:
	v_lshlrev_b32_e32 v15, 2, v0
	ds_load_b32 v17, v15 offset:4096
	v_add_co_u32 v15, vcc_lo, v7, v0
	v_add_co_ci_u32_e32 v16, vcc_lo, 0, v13, vcc_lo
	s_delay_alu instid0(VALU_DEP_1) | instskip(NEXT) | instid1(VALU_DEP_1)
	v_lshlrev_b64 v[15:16], 2, v[15:16]
	v_sub_co_u32 v15, vcc_lo, s1, v15
	s_delay_alu instid0(VALU_DEP_2)
	v_sub_co_ci_u32_e32 v16, vcc_lo, s0, v16, vcc_lo
	s_waitcnt lgkmcnt(0)
	global_store_b32 v[15:16], v17, off offset:-4096
                                        ; implicit-def: $vgpr15
.LBB1792_172:
	s_and_not1_saveexec_b32 s5, s5
	s_cbranch_execz .LBB1792_174
; %bb.173:
	v_lshlrev_b32_e32 v16, 2, v0
	v_lshlrev_b32_e32 v15, 2, v15
	v_readfirstlane_b32 s6, v9
	v_readfirstlane_b32 s7, v10
	ds_load_b32 v16, v16 offset:4096
	s_waitcnt lgkmcnt(0)
	global_store_b32 v15, v16, s[6:7]
.LBB1792_174:
	s_or_b32 exec_lo, exec_lo, s5
                                        ; implicit-def: $vgpr15
.LBB1792_175:
	s_and_not1_saveexec_b32 s3, s3
	s_cbranch_execz .LBB1792_177
; %bb.176:
	v_lshlrev_b32_e32 v16, 2, v0
	v_lshlrev_b32_e32 v15, 2, v15
	v_readfirstlane_b32 s6, v11
	v_readfirstlane_b32 s7, v12
	ds_load_b32 v16, v16 offset:4096
	s_waitcnt lgkmcnt(0)
	global_store_b32 v15, v16, s[6:7]
.LBB1792_177:
	s_or_b32 exec_lo, exec_lo, s3
	v_or_b32_e32 v15, 0x500, v0
	s_mov_b32 s3, exec_lo
	s_delay_alu instid0(VALU_DEP_1)
	v_cmpx_le_u32_e64 v5, v15
	s_xor_b32 s3, exec_lo, s3
	s_cbranch_execz .LBB1792_183
; %bb.178:
	s_mov_b32 s5, exec_lo
	v_cmpx_le_u32_e64 v14, v15
	s_xor_b32 s5, exec_lo, s5
	s_cbranch_execz .LBB1792_180
; %bb.179:
	v_lshlrev_b32_e32 v16, 2, v0
	v_add_co_u32 v15, vcc_lo, v7, v15
	ds_load_b32 v17, v16 offset:5120
	v_add_co_ci_u32_e32 v16, vcc_lo, 0, v13, vcc_lo
	s_delay_alu instid0(VALU_DEP_1) | instskip(NEXT) | instid1(VALU_DEP_1)
	v_lshlrev_b64 v[15:16], 2, v[15:16]
	v_sub_co_u32 v15, vcc_lo, s1, v15
	s_delay_alu instid0(VALU_DEP_2)
	v_sub_co_ci_u32_e32 v16, vcc_lo, s0, v16, vcc_lo
	s_waitcnt lgkmcnt(0)
	global_store_b32 v[15:16], v17, off
                                        ; implicit-def: $vgpr15
.LBB1792_180:
	s_and_not1_saveexec_b32 s5, s5
	s_cbranch_execz .LBB1792_182
; %bb.181:
	v_lshlrev_b32_e32 v16, 2, v0
	v_lshlrev_b32_e32 v15, 2, v15
	v_readfirstlane_b32 s6, v9
	v_readfirstlane_b32 s7, v10
	ds_load_b32 v16, v16 offset:5120
	s_waitcnt lgkmcnt(0)
	global_store_b32 v15, v16, s[6:7]
.LBB1792_182:
	s_or_b32 exec_lo, exec_lo, s5
                                        ; implicit-def: $vgpr15
.LBB1792_183:
	s_and_not1_saveexec_b32 s3, s3
	s_cbranch_execz .LBB1792_185
; %bb.184:
	v_lshlrev_b32_e32 v16, 2, v0
	v_lshlrev_b32_e32 v15, 2, v15
	v_readfirstlane_b32 s6, v11
	v_readfirstlane_b32 s7, v12
	ds_load_b32 v16, v16 offset:5120
	s_waitcnt lgkmcnt(0)
	global_store_b32 v15, v16, s[6:7]
.LBB1792_185:
	s_or_b32 exec_lo, exec_lo, s3
	v_or_b32_e32 v15, 0x600, v0
	s_mov_b32 s3, exec_lo
	s_delay_alu instid0(VALU_DEP_1)
	v_cmpx_le_u32_e64 v5, v15
	s_xor_b32 s3, exec_lo, s3
	s_cbranch_execz .LBB1792_191
; %bb.186:
	s_mov_b32 s5, exec_lo
	v_cmpx_le_u32_e64 v14, v15
	s_xor_b32 s5, exec_lo, s5
	s_cbranch_execz .LBB1792_188
; %bb.187:
	v_lshlrev_b32_e32 v16, 2, v0
	v_add_co_u32 v15, vcc_lo, v7, v15
	ds_load_b32 v17, v16 offset:6144
	v_add_co_ci_u32_e32 v16, vcc_lo, 0, v13, vcc_lo
	s_delay_alu instid0(VALU_DEP_1) | instskip(NEXT) | instid1(VALU_DEP_1)
	v_lshlrev_b64 v[15:16], 2, v[15:16]
	v_sub_co_u32 v15, vcc_lo, s1, v15
	s_delay_alu instid0(VALU_DEP_2)
	v_sub_co_ci_u32_e32 v16, vcc_lo, s0, v16, vcc_lo
	s_waitcnt lgkmcnt(0)
	global_store_b32 v[15:16], v17, off
                                        ; implicit-def: $vgpr15
.LBB1792_188:
	s_and_not1_saveexec_b32 s5, s5
	s_cbranch_execz .LBB1792_190
; %bb.189:
	v_lshlrev_b32_e32 v16, 2, v0
	v_lshlrev_b32_e32 v15, 2, v15
	v_readfirstlane_b32 s6, v9
	v_readfirstlane_b32 s7, v10
	ds_load_b32 v16, v16 offset:6144
	s_waitcnt lgkmcnt(0)
	global_store_b32 v15, v16, s[6:7]
.LBB1792_190:
	s_or_b32 exec_lo, exec_lo, s5
                                        ; implicit-def: $vgpr15
.LBB1792_191:
	;; [unrolled: 51-line block ×8, first 2 shown]
	s_and_not1_saveexec_b32 s3, s3
	s_cbranch_execz .LBB1792_241
; %bb.240:
	v_lshlrev_b32_e32 v16, 2, v0
	v_lshlrev_b32_e32 v15, 2, v15
	v_readfirstlane_b32 s6, v11
	v_readfirstlane_b32 s7, v12
	ds_load_b32 v16, v16 offset:12288
	s_waitcnt lgkmcnt(0)
	global_store_b32 v15, v16, s[6:7]
.LBB1792_241:
	s_or_b32 exec_lo, exec_lo, s3
	s_branch .LBB1792_135
.LBB1792_242:
	s_mov_b32 s3, exec_lo
	v_cmpx_gt_u32_e64 s4, v0
	s_cbranch_execz .LBB1792_251
; %bb.243:
	s_mov_b32 s5, exec_lo
	v_cmpx_le_u32_e64 v5, v0
	s_xor_b32 s5, exec_lo, s5
	s_cbranch_execz .LBB1792_249
; %bb.244:
	s_mov_b32 s6, exec_lo
	v_cmpx_le_u32_e64 v14, v0
	s_xor_b32 s6, exec_lo, s6
	s_cbranch_execz .LBB1792_246
; %bb.245:
	v_lshlrev_b32_e32 v15, 2, v0
	ds_load_b32 v17, v15
	v_add_co_u32 v15, vcc_lo, v7, v0
	v_add_co_ci_u32_e32 v16, vcc_lo, 0, v13, vcc_lo
	s_delay_alu instid0(VALU_DEP_1) | instskip(NEXT) | instid1(VALU_DEP_1)
	v_lshlrev_b64 v[15:16], 2, v[15:16]
	v_sub_co_u32 v15, vcc_lo, s14, v15
	s_delay_alu instid0(VALU_DEP_2)
	v_sub_co_ci_u32_e32 v16, vcc_lo, s15, v16, vcc_lo
	s_waitcnt lgkmcnt(0)
	global_store_b32 v[15:16], v17, off offset:-4
.LBB1792_246:
	s_and_not1_saveexec_b32 s6, s6
	s_cbranch_execz .LBB1792_248
; %bb.247:
	v_lshlrev_b32_e32 v15, 2, v0
	v_readfirstlane_b32 s8, v9
	v_readfirstlane_b32 s9, v10
	ds_load_b32 v16, v15
	s_waitcnt lgkmcnt(0)
	global_store_b32 v15, v16, s[8:9]
.LBB1792_248:
	s_or_b32 exec_lo, exec_lo, s6
.LBB1792_249:
	s_and_not1_saveexec_b32 s5, s5
	s_cbranch_execz .LBB1792_251
; %bb.250:
	v_lshlrev_b32_e32 v15, 2, v0
	v_readfirstlane_b32 s6, v11
	v_readfirstlane_b32 s7, v12
	ds_load_b32 v16, v15
	s_waitcnt lgkmcnt(0)
	global_store_b32 v15, v16, s[6:7]
.LBB1792_251:
	s_or_b32 exec_lo, exec_lo, s3
	v_or_b32_e32 v15, 0x100, v0
	s_mov_b32 s3, exec_lo
	s_delay_alu instid0(VALU_DEP_1)
	v_cmpx_gt_u32_e64 s4, v15
	s_cbranch_execz .LBB1792_260
; %bb.252:
	s_mov_b32 s5, exec_lo
	v_cmpx_le_u32_e64 v5, v15
	s_xor_b32 s5, exec_lo, s5
	s_cbranch_execz .LBB1792_258
; %bb.253:
	s_mov_b32 s6, exec_lo
	v_cmpx_le_u32_e64 v14, v15
	s_xor_b32 s6, exec_lo, s6
	s_cbranch_execz .LBB1792_255
; %bb.254:
	v_lshlrev_b32_e32 v15, 2, v0
	ds_load_b32 v17, v15 offset:1024
	v_add_co_u32 v15, vcc_lo, v7, v0
	v_add_co_ci_u32_e32 v16, vcc_lo, 0, v13, vcc_lo
	s_delay_alu instid0(VALU_DEP_1) | instskip(NEXT) | instid1(VALU_DEP_1)
	v_lshlrev_b64 v[15:16], 2, v[15:16]
	v_sub_co_u32 v15, vcc_lo, s1, v15
	s_delay_alu instid0(VALU_DEP_2)
	v_sub_co_ci_u32_e32 v16, vcc_lo, s0, v16, vcc_lo
	s_waitcnt lgkmcnt(0)
	global_store_b32 v[15:16], v17, off offset:-1024
.LBB1792_255:
	s_and_not1_saveexec_b32 s6, s6
	s_cbranch_execz .LBB1792_257
; %bb.256:
	v_lshlrev_b32_e32 v15, 2, v0
	v_readfirstlane_b32 s8, v9
	v_readfirstlane_b32 s9, v10
	ds_load_b32 v16, v15 offset:1024
	s_waitcnt lgkmcnt(0)
	global_store_b32 v15, v16, s[8:9] offset:1024
.LBB1792_257:
	s_or_b32 exec_lo, exec_lo, s6
.LBB1792_258:
	s_and_not1_saveexec_b32 s5, s5
	s_cbranch_execz .LBB1792_260
; %bb.259:
	v_lshlrev_b32_e32 v15, 2, v0
	v_readfirstlane_b32 s6, v11
	v_readfirstlane_b32 s7, v12
	ds_load_b32 v16, v15 offset:1024
	s_waitcnt lgkmcnt(0)
	global_store_b32 v15, v16, s[6:7] offset:1024
.LBB1792_260:
	s_or_b32 exec_lo, exec_lo, s3
	v_or_b32_e32 v15, 0x200, v0
	s_mov_b32 s3, exec_lo
	s_delay_alu instid0(VALU_DEP_1)
	v_cmpx_gt_u32_e64 s4, v15
	s_cbranch_execz .LBB1792_269
; %bb.261:
	s_mov_b32 s5, exec_lo
	v_cmpx_le_u32_e64 v5, v15
	s_xor_b32 s5, exec_lo, s5
	s_cbranch_execz .LBB1792_267
; %bb.262:
	s_mov_b32 s6, exec_lo
	v_cmpx_le_u32_e64 v14, v15
	s_xor_b32 s6, exec_lo, s6
	s_cbranch_execz .LBB1792_264
; %bb.263:
	v_lshlrev_b32_e32 v15, 2, v0
	ds_load_b32 v17, v15 offset:2048
	v_add_co_u32 v15, vcc_lo, v7, v0
	v_add_co_ci_u32_e32 v16, vcc_lo, 0, v13, vcc_lo
	s_delay_alu instid0(VALU_DEP_1) | instskip(NEXT) | instid1(VALU_DEP_1)
	v_lshlrev_b64 v[15:16], 2, v[15:16]
	v_sub_co_u32 v15, vcc_lo, s1, v15
	s_delay_alu instid0(VALU_DEP_2)
	v_sub_co_ci_u32_e32 v16, vcc_lo, s0, v16, vcc_lo
	s_waitcnt lgkmcnt(0)
	global_store_b32 v[15:16], v17, off offset:-2048
.LBB1792_264:
	s_and_not1_saveexec_b32 s6, s6
	s_cbranch_execz .LBB1792_266
; %bb.265:
	v_lshlrev_b32_e32 v15, 2, v0
	v_readfirstlane_b32 s8, v9
	v_readfirstlane_b32 s9, v10
	ds_load_b32 v16, v15 offset:2048
	s_waitcnt lgkmcnt(0)
	global_store_b32 v15, v16, s[8:9] offset:2048
.LBB1792_266:
	s_or_b32 exec_lo, exec_lo, s6
.LBB1792_267:
	s_and_not1_saveexec_b32 s5, s5
	s_cbranch_execz .LBB1792_269
; %bb.268:
	v_lshlrev_b32_e32 v15, 2, v0
	v_readfirstlane_b32 s6, v11
	v_readfirstlane_b32 s7, v12
	ds_load_b32 v16, v15 offset:2048
	s_waitcnt lgkmcnt(0)
	global_store_b32 v15, v16, s[6:7] offset:2048
.LBB1792_269:
	;; [unrolled: 51-line block ×3, first 2 shown]
	s_or_b32 exec_lo, exec_lo, s3
	v_or_b32_e32 v15, 0x400, v0
	s_mov_b32 s3, exec_lo
	s_delay_alu instid0(VALU_DEP_1)
	v_cmpx_gt_u32_e64 s4, v15
	s_cbranch_execz .LBB1792_287
; %bb.279:
	s_mov_b32 s5, exec_lo
	v_cmpx_le_u32_e64 v5, v15
	s_xor_b32 s5, exec_lo, s5
	s_cbranch_execz .LBB1792_285
; %bb.280:
	s_mov_b32 s6, exec_lo
	v_cmpx_le_u32_e64 v14, v15
	s_xor_b32 s6, exec_lo, s6
	s_cbranch_execz .LBB1792_282
; %bb.281:
	v_lshlrev_b32_e32 v15, 2, v0
	ds_load_b32 v17, v15 offset:4096
	v_add_co_u32 v15, vcc_lo, v7, v0
	v_add_co_ci_u32_e32 v16, vcc_lo, 0, v13, vcc_lo
	s_delay_alu instid0(VALU_DEP_1) | instskip(NEXT) | instid1(VALU_DEP_1)
	v_lshlrev_b64 v[15:16], 2, v[15:16]
	v_sub_co_u32 v15, vcc_lo, s1, v15
	s_delay_alu instid0(VALU_DEP_2)
	v_sub_co_ci_u32_e32 v16, vcc_lo, s0, v16, vcc_lo
	s_waitcnt lgkmcnt(0)
	global_store_b32 v[15:16], v17, off offset:-4096
                                        ; implicit-def: $vgpr15
.LBB1792_282:
	s_and_not1_saveexec_b32 s6, s6
	s_cbranch_execz .LBB1792_284
; %bb.283:
	v_lshlrev_b32_e32 v16, 2, v0
	v_lshlrev_b32_e32 v15, 2, v15
	v_readfirstlane_b32 s8, v9
	v_readfirstlane_b32 s9, v10
	ds_load_b32 v16, v16 offset:4096
	s_waitcnt lgkmcnt(0)
	global_store_b32 v15, v16, s[8:9]
.LBB1792_284:
	s_or_b32 exec_lo, exec_lo, s6
                                        ; implicit-def: $vgpr15
.LBB1792_285:
	s_and_not1_saveexec_b32 s5, s5
	s_cbranch_execz .LBB1792_287
; %bb.286:
	v_lshlrev_b32_e32 v16, 2, v0
	v_lshlrev_b32_e32 v15, 2, v15
	v_readfirstlane_b32 s6, v11
	v_readfirstlane_b32 s7, v12
	ds_load_b32 v16, v16 offset:4096
	s_waitcnt lgkmcnt(0)
	global_store_b32 v15, v16, s[6:7]
.LBB1792_287:
	s_or_b32 exec_lo, exec_lo, s3
	v_or_b32_e32 v15, 0x500, v0
	s_mov_b32 s3, exec_lo
	s_delay_alu instid0(VALU_DEP_1)
	v_cmpx_gt_u32_e64 s4, v15
	s_cbranch_execz .LBB1792_296
; %bb.288:
	s_mov_b32 s5, exec_lo
	v_cmpx_le_u32_e64 v5, v15
	s_xor_b32 s5, exec_lo, s5
	s_cbranch_execz .LBB1792_294
; %bb.289:
	s_mov_b32 s6, exec_lo
	v_cmpx_le_u32_e64 v14, v15
	s_xor_b32 s6, exec_lo, s6
	s_cbranch_execz .LBB1792_291
; %bb.290:
	v_lshlrev_b32_e32 v16, 2, v0
	v_add_co_u32 v15, vcc_lo, v7, v15
	ds_load_b32 v17, v16 offset:5120
	v_add_co_ci_u32_e32 v16, vcc_lo, 0, v13, vcc_lo
	s_delay_alu instid0(VALU_DEP_1) | instskip(NEXT) | instid1(VALU_DEP_1)
	v_lshlrev_b64 v[15:16], 2, v[15:16]
	v_sub_co_u32 v15, vcc_lo, s1, v15
	s_delay_alu instid0(VALU_DEP_2)
	v_sub_co_ci_u32_e32 v16, vcc_lo, s0, v16, vcc_lo
	s_waitcnt lgkmcnt(0)
	global_store_b32 v[15:16], v17, off
                                        ; implicit-def: $vgpr15
.LBB1792_291:
	s_and_not1_saveexec_b32 s6, s6
	s_cbranch_execz .LBB1792_293
; %bb.292:
	v_lshlrev_b32_e32 v16, 2, v0
	v_lshlrev_b32_e32 v15, 2, v15
	v_readfirstlane_b32 s8, v9
	v_readfirstlane_b32 s9, v10
	ds_load_b32 v16, v16 offset:5120
	s_waitcnt lgkmcnt(0)
	global_store_b32 v15, v16, s[8:9]
.LBB1792_293:
	s_or_b32 exec_lo, exec_lo, s6
                                        ; implicit-def: $vgpr15
.LBB1792_294:
	s_and_not1_saveexec_b32 s5, s5
	s_cbranch_execz .LBB1792_296
; %bb.295:
	v_lshlrev_b32_e32 v16, 2, v0
	v_lshlrev_b32_e32 v15, 2, v15
	v_readfirstlane_b32 s6, v11
	v_readfirstlane_b32 s7, v12
	ds_load_b32 v16, v16 offset:5120
	s_waitcnt lgkmcnt(0)
	global_store_b32 v15, v16, s[6:7]
.LBB1792_296:
	s_or_b32 exec_lo, exec_lo, s3
	v_or_b32_e32 v15, 0x600, v0
	s_mov_b32 s3, exec_lo
	s_delay_alu instid0(VALU_DEP_1)
	v_cmpx_gt_u32_e64 s4, v15
	s_cbranch_execz .LBB1792_305
; %bb.297:
	s_mov_b32 s5, exec_lo
	v_cmpx_le_u32_e64 v5, v15
	s_xor_b32 s5, exec_lo, s5
	s_cbranch_execz .LBB1792_303
; %bb.298:
	s_mov_b32 s6, exec_lo
	v_cmpx_le_u32_e64 v14, v15
	s_xor_b32 s6, exec_lo, s6
	s_cbranch_execz .LBB1792_300
; %bb.299:
	v_lshlrev_b32_e32 v16, 2, v0
	v_add_co_u32 v15, vcc_lo, v7, v15
	ds_load_b32 v17, v16 offset:6144
	v_add_co_ci_u32_e32 v16, vcc_lo, 0, v13, vcc_lo
	s_delay_alu instid0(VALU_DEP_1) | instskip(NEXT) | instid1(VALU_DEP_1)
	v_lshlrev_b64 v[15:16], 2, v[15:16]
	v_sub_co_u32 v15, vcc_lo, s1, v15
	s_delay_alu instid0(VALU_DEP_2)
	v_sub_co_ci_u32_e32 v16, vcc_lo, s0, v16, vcc_lo
	s_waitcnt lgkmcnt(0)
	global_store_b32 v[15:16], v17, off
                                        ; implicit-def: $vgpr15
.LBB1792_300:
	s_and_not1_saveexec_b32 s6, s6
	s_cbranch_execz .LBB1792_302
; %bb.301:
	v_lshlrev_b32_e32 v16, 2, v0
	v_lshlrev_b32_e32 v15, 2, v15
	v_readfirstlane_b32 s8, v9
	v_readfirstlane_b32 s9, v10
	ds_load_b32 v16, v16 offset:6144
	s_waitcnt lgkmcnt(0)
	global_store_b32 v15, v16, s[8:9]
.LBB1792_302:
	s_or_b32 exec_lo, exec_lo, s6
                                        ; implicit-def: $vgpr15
.LBB1792_303:
	s_and_not1_saveexec_b32 s5, s5
	s_cbranch_execz .LBB1792_305
; %bb.304:
	v_lshlrev_b32_e32 v16, 2, v0
	v_lshlrev_b32_e32 v15, 2, v15
	v_readfirstlane_b32 s6, v11
	v_readfirstlane_b32 s7, v12
	ds_load_b32 v16, v16 offset:6144
	s_waitcnt lgkmcnt(0)
	global_store_b32 v15, v16, s[6:7]
.LBB1792_305:
	;; [unrolled: 55-line block ×7, first 2 shown]
	s_or_b32 exec_lo, exec_lo, s3
	v_or_b32_e32 v15, 0xc00, v0
	s_mov_b32 s3, exec_lo
	s_delay_alu instid0(VALU_DEP_1)
	v_cmpx_gt_u32_e64 s4, v15
	s_cbranch_execz .LBB1792_359
; %bb.351:
	s_mov_b32 s4, exec_lo
	v_cmpx_le_u32_e64 v5, v15
	s_xor_b32 s4, exec_lo, s4
	s_cbranch_execz .LBB1792_357
; %bb.352:
	s_mov_b32 s5, exec_lo
	v_cmpx_le_u32_e64 v14, v15
	s_xor_b32 s5, exec_lo, s5
	s_cbranch_execz .LBB1792_354
; %bb.353:
	v_lshlrev_b32_e32 v0, 2, v0
	v_add_co_u32 v9, vcc_lo, v7, v15
	v_add_co_ci_u32_e32 v10, vcc_lo, 0, v13, vcc_lo
	ds_load_b32 v0, v0 offset:12288
                                        ; implicit-def: $vgpr15
	v_lshlrev_b64 v[9:10], 2, v[9:10]
	s_delay_alu instid0(VALU_DEP_1) | instskip(NEXT) | instid1(VALU_DEP_2)
	v_sub_co_u32 v9, vcc_lo, s1, v9
	v_sub_co_ci_u32_e32 v10, vcc_lo, s0, v10, vcc_lo
	s_waitcnt lgkmcnt(0)
	global_store_b32 v[9:10], v0, off
                                        ; implicit-def: $vgpr0
                                        ; implicit-def: $vgpr9_vgpr10
.LBB1792_354:
	s_and_not1_saveexec_b32 s0, s5
	s_cbranch_execz .LBB1792_356
; %bb.355:
	v_lshlrev_b32_e32 v0, 2, v0
	v_lshlrev_b32_e32 v7, 2, v15
	v_readfirstlane_b32 s6, v9
	v_readfirstlane_b32 s7, v10
	ds_load_b32 v0, v0 offset:12288
	s_waitcnt lgkmcnt(0)
	global_store_b32 v7, v0, s[6:7]
.LBB1792_356:
	s_or_b32 exec_lo, exec_lo, s0
                                        ; implicit-def: $vgpr0
                                        ; implicit-def: $vgpr15
                                        ; implicit-def: $vgpr11_vgpr12
.LBB1792_357:
	s_and_not1_saveexec_b32 s0, s4
	s_cbranch_execz .LBB1792_359
; %bb.358:
	v_lshlrev_b32_e32 v0, 2, v0
	v_lshlrev_b32_e32 v7, 2, v15
	v_readfirstlane_b32 s0, v11
	v_readfirstlane_b32 s1, v12
	ds_load_b32 v0, v0 offset:12288
	s_waitcnt lgkmcnt(0)
	global_store_b32 v7, v0, s[0:1]
.LBB1792_359:
	s_or_b32 exec_lo, exec_lo, s3
	s_and_b32 s0, s2, s13
	s_delay_alu instid0(SALU_CYCLE_1)
	s_and_saveexec_b32 s1, s0
	s_cbranch_execz .LBB1792_136
.LBB1792_360:
	v_add_co_u32 v3, vcc_lo, v3, v6
	v_add_co_ci_u32_e32 v4, vcc_lo, 0, v4, vcc_lo
	v_add_co_u32 v0, vcc_lo, v1, v5
	v_add_co_ci_u32_e32 v1, vcc_lo, 0, v2, vcc_lo
	s_delay_alu instid0(VALU_DEP_4)
	v_add_co_u32 v2, vcc_lo, v3, v8
	v_mov_b32_e32 v7, 0
	v_add_co_ci_u32_e32 v3, vcc_lo, 0, v4, vcc_lo
	global_store_b128 v7, v[0:3], s[24:25]
	s_nop 0
	s_sendmsg sendmsg(MSG_DEALLOC_VGPRS)
	s_endpgm
.LBB1792_361:
	v_add_nc_u32_e32 v7, s6, v27
	s_add_i32 s8, s26, 32
	s_mov_b32 s9, 0
	v_dual_mov_b32 v9, 0 :: v_dual_add_nc_u32 v6, v26, v5
	s_lshl_b64 s[8:9], s[8:9], 4
	v_and_b32_e32 v24, 0xff0000, v7
	s_add_u32 s8, s36, s8
	s_addc_u32 s9, s37, s9
	v_and_b32_e32 v8, 0xff000000, v7
	s_delay_alu instid0(VALU_DEP_1) | instskip(SKIP_2) | instid1(VALU_DEP_1)
	v_or_b32_e32 v24, v24, v8
	v_dual_mov_b32 v8, 2 :: v_dual_and_b32 v25, 0xff00, v7
	v_and_b32_e32 v7, 0xff, v7
	v_or3_b32 v7, v24, v25, v7
	v_dual_mov_b32 v25, s9 :: v_dual_mov_b32 v24, s8
	;;#ASMSTART
	global_store_dwordx4 v[24:25], v[6:9] off	
s_waitcnt vmcnt(0)
	;;#ASMEND
	s_or_b32 exec_lo, exec_lo, s7
	s_and_saveexec_b32 s7, s3
	s_cbranch_execz .LBB1792_120
.LBB1792_362:
	v_mov_b32_e32 v6, s6
	v_add_nc_u32_e64 v7, 0x3400, 0
	ds_store_2addr_b32 v7, v5, v6 offset1:2
	ds_store_2addr_b32 v7, v26, v27 offset0:4 offset1:6
	s_or_b32 exec_lo, exec_lo, s7
	s_delay_alu instid0(SALU_CYCLE_1)
	s_and_b32 exec_lo, exec_lo, s2
	s_cbranch_execnz .LBB1792_121
	s_branch .LBB1792_122
	.section	.rodata,"a",@progbits
	.p2align	6, 0x0
	.amdhsa_kernel _ZN7rocprim17ROCPRIM_400000_NS6detail17trampoline_kernelINS0_13select_configILj256ELj13ELNS0_17block_load_methodE3ELS4_3ELS4_3ELNS0_20block_scan_algorithmE0ELj4294967295EEENS1_25partition_config_selectorILNS1_17partition_subalgoE4EjNS0_10empty_typeEbEEZZNS1_14partition_implILS8_4ELb0ES6_15HIP_vector_typeIjLj2EENS0_17counting_iteratorIjlEEPS9_SG_NS0_5tupleIJPjSI_NS0_16reverse_iteratorISI_EEEEENSH_IJSG_SG_SG_EEES9_SI_JZNS1_25segmented_radix_sort_implINS0_14default_configELb0EPK6__halfPSP_PKlPlN2at6native12_GLOBAL__N_18offset_tEEE10hipError_tPvRmT1_PNSt15iterator_traitsIS13_E10value_typeET2_T3_PNS14_IS19_E10value_typeET4_jRbjT5_S1F_jjP12ihipStream_tbEUljE_ZNSN_ISO_Lb0ESR_SS_SU_SV_SZ_EES10_S11_S12_S13_S17_S18_S19_S1C_S1D_jS1E_jS1F_S1F_jjS1H_bEUljE0_EEES10_S11_S12_S19_S1D_S1F_T6_T7_T9_mT8_S1H_bDpT10_ENKUlT_T0_E_clISt17integral_constantIbLb1EES1V_EEDaS1Q_S1R_EUlS1Q_E_NS1_11comp_targetILNS1_3genE9ELNS1_11target_archE1100ELNS1_3gpuE3ELNS1_3repE0EEENS1_30default_config_static_selectorELNS0_4arch9wavefront6targetE0EEEvS13_
		.amdhsa_group_segment_fixed_size 13340
		.amdhsa_private_segment_fixed_size 0
		.amdhsa_kernarg_size 184
		.amdhsa_user_sgpr_count 15
		.amdhsa_user_sgpr_dispatch_ptr 0
		.amdhsa_user_sgpr_queue_ptr 0
		.amdhsa_user_sgpr_kernarg_segment_ptr 1
		.amdhsa_user_sgpr_dispatch_id 0
		.amdhsa_user_sgpr_private_segment_size 0
		.amdhsa_wavefront_size32 1
		.amdhsa_uses_dynamic_stack 0
		.amdhsa_enable_private_segment 0
		.amdhsa_system_sgpr_workgroup_id_x 1
		.amdhsa_system_sgpr_workgroup_id_y 0
		.amdhsa_system_sgpr_workgroup_id_z 0
		.amdhsa_system_sgpr_workgroup_info 0
		.amdhsa_system_vgpr_workitem_id 0
		.amdhsa_next_free_vgpr 103
		.amdhsa_next_free_sgpr 55
		.amdhsa_reserve_vcc 1
		.amdhsa_float_round_mode_32 0
		.amdhsa_float_round_mode_16_64 0
		.amdhsa_float_denorm_mode_32 3
		.amdhsa_float_denorm_mode_16_64 3
		.amdhsa_dx10_clamp 1
		.amdhsa_ieee_mode 1
		.amdhsa_fp16_overflow 0
		.amdhsa_workgroup_processor_mode 1
		.amdhsa_memory_ordered 1
		.amdhsa_forward_progress 0
		.amdhsa_shared_vgpr_count 0
		.amdhsa_exception_fp_ieee_invalid_op 0
		.amdhsa_exception_fp_denorm_src 0
		.amdhsa_exception_fp_ieee_div_zero 0
		.amdhsa_exception_fp_ieee_overflow 0
		.amdhsa_exception_fp_ieee_underflow 0
		.amdhsa_exception_fp_ieee_inexact 0
		.amdhsa_exception_int_div_zero 0
	.end_amdhsa_kernel
	.section	.text._ZN7rocprim17ROCPRIM_400000_NS6detail17trampoline_kernelINS0_13select_configILj256ELj13ELNS0_17block_load_methodE3ELS4_3ELS4_3ELNS0_20block_scan_algorithmE0ELj4294967295EEENS1_25partition_config_selectorILNS1_17partition_subalgoE4EjNS0_10empty_typeEbEEZZNS1_14partition_implILS8_4ELb0ES6_15HIP_vector_typeIjLj2EENS0_17counting_iteratorIjlEEPS9_SG_NS0_5tupleIJPjSI_NS0_16reverse_iteratorISI_EEEEENSH_IJSG_SG_SG_EEES9_SI_JZNS1_25segmented_radix_sort_implINS0_14default_configELb0EPK6__halfPSP_PKlPlN2at6native12_GLOBAL__N_18offset_tEEE10hipError_tPvRmT1_PNSt15iterator_traitsIS13_E10value_typeET2_T3_PNS14_IS19_E10value_typeET4_jRbjT5_S1F_jjP12ihipStream_tbEUljE_ZNSN_ISO_Lb0ESR_SS_SU_SV_SZ_EES10_S11_S12_S13_S17_S18_S19_S1C_S1D_jS1E_jS1F_S1F_jjS1H_bEUljE0_EEES10_S11_S12_S19_S1D_S1F_T6_T7_T9_mT8_S1H_bDpT10_ENKUlT_T0_E_clISt17integral_constantIbLb1EES1V_EEDaS1Q_S1R_EUlS1Q_E_NS1_11comp_targetILNS1_3genE9ELNS1_11target_archE1100ELNS1_3gpuE3ELNS1_3repE0EEENS1_30default_config_static_selectorELNS0_4arch9wavefront6targetE0EEEvS13_,"axG",@progbits,_ZN7rocprim17ROCPRIM_400000_NS6detail17trampoline_kernelINS0_13select_configILj256ELj13ELNS0_17block_load_methodE3ELS4_3ELS4_3ELNS0_20block_scan_algorithmE0ELj4294967295EEENS1_25partition_config_selectorILNS1_17partition_subalgoE4EjNS0_10empty_typeEbEEZZNS1_14partition_implILS8_4ELb0ES6_15HIP_vector_typeIjLj2EENS0_17counting_iteratorIjlEEPS9_SG_NS0_5tupleIJPjSI_NS0_16reverse_iteratorISI_EEEEENSH_IJSG_SG_SG_EEES9_SI_JZNS1_25segmented_radix_sort_implINS0_14default_configELb0EPK6__halfPSP_PKlPlN2at6native12_GLOBAL__N_18offset_tEEE10hipError_tPvRmT1_PNSt15iterator_traitsIS13_E10value_typeET2_T3_PNS14_IS19_E10value_typeET4_jRbjT5_S1F_jjP12ihipStream_tbEUljE_ZNSN_ISO_Lb0ESR_SS_SU_SV_SZ_EES10_S11_S12_S13_S17_S18_S19_S1C_S1D_jS1E_jS1F_S1F_jjS1H_bEUljE0_EEES10_S11_S12_S19_S1D_S1F_T6_T7_T9_mT8_S1H_bDpT10_ENKUlT_T0_E_clISt17integral_constantIbLb1EES1V_EEDaS1Q_S1R_EUlS1Q_E_NS1_11comp_targetILNS1_3genE9ELNS1_11target_archE1100ELNS1_3gpuE3ELNS1_3repE0EEENS1_30default_config_static_selectorELNS0_4arch9wavefront6targetE0EEEvS13_,comdat
.Lfunc_end1792:
	.size	_ZN7rocprim17ROCPRIM_400000_NS6detail17trampoline_kernelINS0_13select_configILj256ELj13ELNS0_17block_load_methodE3ELS4_3ELS4_3ELNS0_20block_scan_algorithmE0ELj4294967295EEENS1_25partition_config_selectorILNS1_17partition_subalgoE4EjNS0_10empty_typeEbEEZZNS1_14partition_implILS8_4ELb0ES6_15HIP_vector_typeIjLj2EENS0_17counting_iteratorIjlEEPS9_SG_NS0_5tupleIJPjSI_NS0_16reverse_iteratorISI_EEEEENSH_IJSG_SG_SG_EEES9_SI_JZNS1_25segmented_radix_sort_implINS0_14default_configELb0EPK6__halfPSP_PKlPlN2at6native12_GLOBAL__N_18offset_tEEE10hipError_tPvRmT1_PNSt15iterator_traitsIS13_E10value_typeET2_T3_PNS14_IS19_E10value_typeET4_jRbjT5_S1F_jjP12ihipStream_tbEUljE_ZNSN_ISO_Lb0ESR_SS_SU_SV_SZ_EES10_S11_S12_S13_S17_S18_S19_S1C_S1D_jS1E_jS1F_S1F_jjS1H_bEUljE0_EEES10_S11_S12_S19_S1D_S1F_T6_T7_T9_mT8_S1H_bDpT10_ENKUlT_T0_E_clISt17integral_constantIbLb1EES1V_EEDaS1Q_S1R_EUlS1Q_E_NS1_11comp_targetILNS1_3genE9ELNS1_11target_archE1100ELNS1_3gpuE3ELNS1_3repE0EEENS1_30default_config_static_selectorELNS0_4arch9wavefront6targetE0EEEvS13_, .Lfunc_end1792-_ZN7rocprim17ROCPRIM_400000_NS6detail17trampoline_kernelINS0_13select_configILj256ELj13ELNS0_17block_load_methodE3ELS4_3ELS4_3ELNS0_20block_scan_algorithmE0ELj4294967295EEENS1_25partition_config_selectorILNS1_17partition_subalgoE4EjNS0_10empty_typeEbEEZZNS1_14partition_implILS8_4ELb0ES6_15HIP_vector_typeIjLj2EENS0_17counting_iteratorIjlEEPS9_SG_NS0_5tupleIJPjSI_NS0_16reverse_iteratorISI_EEEEENSH_IJSG_SG_SG_EEES9_SI_JZNS1_25segmented_radix_sort_implINS0_14default_configELb0EPK6__halfPSP_PKlPlN2at6native12_GLOBAL__N_18offset_tEEE10hipError_tPvRmT1_PNSt15iterator_traitsIS13_E10value_typeET2_T3_PNS14_IS19_E10value_typeET4_jRbjT5_S1F_jjP12ihipStream_tbEUljE_ZNSN_ISO_Lb0ESR_SS_SU_SV_SZ_EES10_S11_S12_S13_S17_S18_S19_S1C_S1D_jS1E_jS1F_S1F_jjS1H_bEUljE0_EEES10_S11_S12_S19_S1D_S1F_T6_T7_T9_mT8_S1H_bDpT10_ENKUlT_T0_E_clISt17integral_constantIbLb1EES1V_EEDaS1Q_S1R_EUlS1Q_E_NS1_11comp_targetILNS1_3genE9ELNS1_11target_archE1100ELNS1_3gpuE3ELNS1_3repE0EEENS1_30default_config_static_selectorELNS0_4arch9wavefront6targetE0EEEvS13_
                                        ; -- End function
	.section	.AMDGPU.csdata,"",@progbits
; Kernel info:
; codeLenInByte = 15160
; NumSgprs: 57
; NumVgprs: 103
; ScratchSize: 0
; MemoryBound: 0
; FloatMode: 240
; IeeeMode: 1
; LDSByteSize: 13340 bytes/workgroup (compile time only)
; SGPRBlocks: 7
; VGPRBlocks: 12
; NumSGPRsForWavesPerEU: 57
; NumVGPRsForWavesPerEU: 103
; Occupancy: 12
; WaveLimiterHint : 1
; COMPUTE_PGM_RSRC2:SCRATCH_EN: 0
; COMPUTE_PGM_RSRC2:USER_SGPR: 15
; COMPUTE_PGM_RSRC2:TRAP_HANDLER: 0
; COMPUTE_PGM_RSRC2:TGID_X_EN: 1
; COMPUTE_PGM_RSRC2:TGID_Y_EN: 0
; COMPUTE_PGM_RSRC2:TGID_Z_EN: 0
; COMPUTE_PGM_RSRC2:TIDIG_COMP_CNT: 0
	.section	.text._ZN7rocprim17ROCPRIM_400000_NS6detail17trampoline_kernelINS0_13select_configILj256ELj13ELNS0_17block_load_methodE3ELS4_3ELS4_3ELNS0_20block_scan_algorithmE0ELj4294967295EEENS1_25partition_config_selectorILNS1_17partition_subalgoE4EjNS0_10empty_typeEbEEZZNS1_14partition_implILS8_4ELb0ES6_15HIP_vector_typeIjLj2EENS0_17counting_iteratorIjlEEPS9_SG_NS0_5tupleIJPjSI_NS0_16reverse_iteratorISI_EEEEENSH_IJSG_SG_SG_EEES9_SI_JZNS1_25segmented_radix_sort_implINS0_14default_configELb0EPK6__halfPSP_PKlPlN2at6native12_GLOBAL__N_18offset_tEEE10hipError_tPvRmT1_PNSt15iterator_traitsIS13_E10value_typeET2_T3_PNS14_IS19_E10value_typeET4_jRbjT5_S1F_jjP12ihipStream_tbEUljE_ZNSN_ISO_Lb0ESR_SS_SU_SV_SZ_EES10_S11_S12_S13_S17_S18_S19_S1C_S1D_jS1E_jS1F_S1F_jjS1H_bEUljE0_EEES10_S11_S12_S19_S1D_S1F_T6_T7_T9_mT8_S1H_bDpT10_ENKUlT_T0_E_clISt17integral_constantIbLb1EES1V_EEDaS1Q_S1R_EUlS1Q_E_NS1_11comp_targetILNS1_3genE8ELNS1_11target_archE1030ELNS1_3gpuE2ELNS1_3repE0EEENS1_30default_config_static_selectorELNS0_4arch9wavefront6targetE0EEEvS13_,"axG",@progbits,_ZN7rocprim17ROCPRIM_400000_NS6detail17trampoline_kernelINS0_13select_configILj256ELj13ELNS0_17block_load_methodE3ELS4_3ELS4_3ELNS0_20block_scan_algorithmE0ELj4294967295EEENS1_25partition_config_selectorILNS1_17partition_subalgoE4EjNS0_10empty_typeEbEEZZNS1_14partition_implILS8_4ELb0ES6_15HIP_vector_typeIjLj2EENS0_17counting_iteratorIjlEEPS9_SG_NS0_5tupleIJPjSI_NS0_16reverse_iteratorISI_EEEEENSH_IJSG_SG_SG_EEES9_SI_JZNS1_25segmented_radix_sort_implINS0_14default_configELb0EPK6__halfPSP_PKlPlN2at6native12_GLOBAL__N_18offset_tEEE10hipError_tPvRmT1_PNSt15iterator_traitsIS13_E10value_typeET2_T3_PNS14_IS19_E10value_typeET4_jRbjT5_S1F_jjP12ihipStream_tbEUljE_ZNSN_ISO_Lb0ESR_SS_SU_SV_SZ_EES10_S11_S12_S13_S17_S18_S19_S1C_S1D_jS1E_jS1F_S1F_jjS1H_bEUljE0_EEES10_S11_S12_S19_S1D_S1F_T6_T7_T9_mT8_S1H_bDpT10_ENKUlT_T0_E_clISt17integral_constantIbLb1EES1V_EEDaS1Q_S1R_EUlS1Q_E_NS1_11comp_targetILNS1_3genE8ELNS1_11target_archE1030ELNS1_3gpuE2ELNS1_3repE0EEENS1_30default_config_static_selectorELNS0_4arch9wavefront6targetE0EEEvS13_,comdat
	.globl	_ZN7rocprim17ROCPRIM_400000_NS6detail17trampoline_kernelINS0_13select_configILj256ELj13ELNS0_17block_load_methodE3ELS4_3ELS4_3ELNS0_20block_scan_algorithmE0ELj4294967295EEENS1_25partition_config_selectorILNS1_17partition_subalgoE4EjNS0_10empty_typeEbEEZZNS1_14partition_implILS8_4ELb0ES6_15HIP_vector_typeIjLj2EENS0_17counting_iteratorIjlEEPS9_SG_NS0_5tupleIJPjSI_NS0_16reverse_iteratorISI_EEEEENSH_IJSG_SG_SG_EEES9_SI_JZNS1_25segmented_radix_sort_implINS0_14default_configELb0EPK6__halfPSP_PKlPlN2at6native12_GLOBAL__N_18offset_tEEE10hipError_tPvRmT1_PNSt15iterator_traitsIS13_E10value_typeET2_T3_PNS14_IS19_E10value_typeET4_jRbjT5_S1F_jjP12ihipStream_tbEUljE_ZNSN_ISO_Lb0ESR_SS_SU_SV_SZ_EES10_S11_S12_S13_S17_S18_S19_S1C_S1D_jS1E_jS1F_S1F_jjS1H_bEUljE0_EEES10_S11_S12_S19_S1D_S1F_T6_T7_T9_mT8_S1H_bDpT10_ENKUlT_T0_E_clISt17integral_constantIbLb1EES1V_EEDaS1Q_S1R_EUlS1Q_E_NS1_11comp_targetILNS1_3genE8ELNS1_11target_archE1030ELNS1_3gpuE2ELNS1_3repE0EEENS1_30default_config_static_selectorELNS0_4arch9wavefront6targetE0EEEvS13_ ; -- Begin function _ZN7rocprim17ROCPRIM_400000_NS6detail17trampoline_kernelINS0_13select_configILj256ELj13ELNS0_17block_load_methodE3ELS4_3ELS4_3ELNS0_20block_scan_algorithmE0ELj4294967295EEENS1_25partition_config_selectorILNS1_17partition_subalgoE4EjNS0_10empty_typeEbEEZZNS1_14partition_implILS8_4ELb0ES6_15HIP_vector_typeIjLj2EENS0_17counting_iteratorIjlEEPS9_SG_NS0_5tupleIJPjSI_NS0_16reverse_iteratorISI_EEEEENSH_IJSG_SG_SG_EEES9_SI_JZNS1_25segmented_radix_sort_implINS0_14default_configELb0EPK6__halfPSP_PKlPlN2at6native12_GLOBAL__N_18offset_tEEE10hipError_tPvRmT1_PNSt15iterator_traitsIS13_E10value_typeET2_T3_PNS14_IS19_E10value_typeET4_jRbjT5_S1F_jjP12ihipStream_tbEUljE_ZNSN_ISO_Lb0ESR_SS_SU_SV_SZ_EES10_S11_S12_S13_S17_S18_S19_S1C_S1D_jS1E_jS1F_S1F_jjS1H_bEUljE0_EEES10_S11_S12_S19_S1D_S1F_T6_T7_T9_mT8_S1H_bDpT10_ENKUlT_T0_E_clISt17integral_constantIbLb1EES1V_EEDaS1Q_S1R_EUlS1Q_E_NS1_11comp_targetILNS1_3genE8ELNS1_11target_archE1030ELNS1_3gpuE2ELNS1_3repE0EEENS1_30default_config_static_selectorELNS0_4arch9wavefront6targetE0EEEvS13_
	.p2align	8
	.type	_ZN7rocprim17ROCPRIM_400000_NS6detail17trampoline_kernelINS0_13select_configILj256ELj13ELNS0_17block_load_methodE3ELS4_3ELS4_3ELNS0_20block_scan_algorithmE0ELj4294967295EEENS1_25partition_config_selectorILNS1_17partition_subalgoE4EjNS0_10empty_typeEbEEZZNS1_14partition_implILS8_4ELb0ES6_15HIP_vector_typeIjLj2EENS0_17counting_iteratorIjlEEPS9_SG_NS0_5tupleIJPjSI_NS0_16reverse_iteratorISI_EEEEENSH_IJSG_SG_SG_EEES9_SI_JZNS1_25segmented_radix_sort_implINS0_14default_configELb0EPK6__halfPSP_PKlPlN2at6native12_GLOBAL__N_18offset_tEEE10hipError_tPvRmT1_PNSt15iterator_traitsIS13_E10value_typeET2_T3_PNS14_IS19_E10value_typeET4_jRbjT5_S1F_jjP12ihipStream_tbEUljE_ZNSN_ISO_Lb0ESR_SS_SU_SV_SZ_EES10_S11_S12_S13_S17_S18_S19_S1C_S1D_jS1E_jS1F_S1F_jjS1H_bEUljE0_EEES10_S11_S12_S19_S1D_S1F_T6_T7_T9_mT8_S1H_bDpT10_ENKUlT_T0_E_clISt17integral_constantIbLb1EES1V_EEDaS1Q_S1R_EUlS1Q_E_NS1_11comp_targetILNS1_3genE8ELNS1_11target_archE1030ELNS1_3gpuE2ELNS1_3repE0EEENS1_30default_config_static_selectorELNS0_4arch9wavefront6targetE0EEEvS13_,@function
_ZN7rocprim17ROCPRIM_400000_NS6detail17trampoline_kernelINS0_13select_configILj256ELj13ELNS0_17block_load_methodE3ELS4_3ELS4_3ELNS0_20block_scan_algorithmE0ELj4294967295EEENS1_25partition_config_selectorILNS1_17partition_subalgoE4EjNS0_10empty_typeEbEEZZNS1_14partition_implILS8_4ELb0ES6_15HIP_vector_typeIjLj2EENS0_17counting_iteratorIjlEEPS9_SG_NS0_5tupleIJPjSI_NS0_16reverse_iteratorISI_EEEEENSH_IJSG_SG_SG_EEES9_SI_JZNS1_25segmented_radix_sort_implINS0_14default_configELb0EPK6__halfPSP_PKlPlN2at6native12_GLOBAL__N_18offset_tEEE10hipError_tPvRmT1_PNSt15iterator_traitsIS13_E10value_typeET2_T3_PNS14_IS19_E10value_typeET4_jRbjT5_S1F_jjP12ihipStream_tbEUljE_ZNSN_ISO_Lb0ESR_SS_SU_SV_SZ_EES10_S11_S12_S13_S17_S18_S19_S1C_S1D_jS1E_jS1F_S1F_jjS1H_bEUljE0_EEES10_S11_S12_S19_S1D_S1F_T6_T7_T9_mT8_S1H_bDpT10_ENKUlT_T0_E_clISt17integral_constantIbLb1EES1V_EEDaS1Q_S1R_EUlS1Q_E_NS1_11comp_targetILNS1_3genE8ELNS1_11target_archE1030ELNS1_3gpuE2ELNS1_3repE0EEENS1_30default_config_static_selectorELNS0_4arch9wavefront6targetE0EEEvS13_: ; @_ZN7rocprim17ROCPRIM_400000_NS6detail17trampoline_kernelINS0_13select_configILj256ELj13ELNS0_17block_load_methodE3ELS4_3ELS4_3ELNS0_20block_scan_algorithmE0ELj4294967295EEENS1_25partition_config_selectorILNS1_17partition_subalgoE4EjNS0_10empty_typeEbEEZZNS1_14partition_implILS8_4ELb0ES6_15HIP_vector_typeIjLj2EENS0_17counting_iteratorIjlEEPS9_SG_NS0_5tupleIJPjSI_NS0_16reverse_iteratorISI_EEEEENSH_IJSG_SG_SG_EEES9_SI_JZNS1_25segmented_radix_sort_implINS0_14default_configELb0EPK6__halfPSP_PKlPlN2at6native12_GLOBAL__N_18offset_tEEE10hipError_tPvRmT1_PNSt15iterator_traitsIS13_E10value_typeET2_T3_PNS14_IS19_E10value_typeET4_jRbjT5_S1F_jjP12ihipStream_tbEUljE_ZNSN_ISO_Lb0ESR_SS_SU_SV_SZ_EES10_S11_S12_S13_S17_S18_S19_S1C_S1D_jS1E_jS1F_S1F_jjS1H_bEUljE0_EEES10_S11_S12_S19_S1D_S1F_T6_T7_T9_mT8_S1H_bDpT10_ENKUlT_T0_E_clISt17integral_constantIbLb1EES1V_EEDaS1Q_S1R_EUlS1Q_E_NS1_11comp_targetILNS1_3genE8ELNS1_11target_archE1030ELNS1_3gpuE2ELNS1_3repE0EEENS1_30default_config_static_selectorELNS0_4arch9wavefront6targetE0EEEvS13_
; %bb.0:
	.section	.rodata,"a",@progbits
	.p2align	6, 0x0
	.amdhsa_kernel _ZN7rocprim17ROCPRIM_400000_NS6detail17trampoline_kernelINS0_13select_configILj256ELj13ELNS0_17block_load_methodE3ELS4_3ELS4_3ELNS0_20block_scan_algorithmE0ELj4294967295EEENS1_25partition_config_selectorILNS1_17partition_subalgoE4EjNS0_10empty_typeEbEEZZNS1_14partition_implILS8_4ELb0ES6_15HIP_vector_typeIjLj2EENS0_17counting_iteratorIjlEEPS9_SG_NS0_5tupleIJPjSI_NS0_16reverse_iteratorISI_EEEEENSH_IJSG_SG_SG_EEES9_SI_JZNS1_25segmented_radix_sort_implINS0_14default_configELb0EPK6__halfPSP_PKlPlN2at6native12_GLOBAL__N_18offset_tEEE10hipError_tPvRmT1_PNSt15iterator_traitsIS13_E10value_typeET2_T3_PNS14_IS19_E10value_typeET4_jRbjT5_S1F_jjP12ihipStream_tbEUljE_ZNSN_ISO_Lb0ESR_SS_SU_SV_SZ_EES10_S11_S12_S13_S17_S18_S19_S1C_S1D_jS1E_jS1F_S1F_jjS1H_bEUljE0_EEES10_S11_S12_S19_S1D_S1F_T6_T7_T9_mT8_S1H_bDpT10_ENKUlT_T0_E_clISt17integral_constantIbLb1EES1V_EEDaS1Q_S1R_EUlS1Q_E_NS1_11comp_targetILNS1_3genE8ELNS1_11target_archE1030ELNS1_3gpuE2ELNS1_3repE0EEENS1_30default_config_static_selectorELNS0_4arch9wavefront6targetE0EEEvS13_
		.amdhsa_group_segment_fixed_size 0
		.amdhsa_private_segment_fixed_size 0
		.amdhsa_kernarg_size 184
		.amdhsa_user_sgpr_count 15
		.amdhsa_user_sgpr_dispatch_ptr 0
		.amdhsa_user_sgpr_queue_ptr 0
		.amdhsa_user_sgpr_kernarg_segment_ptr 1
		.amdhsa_user_sgpr_dispatch_id 0
		.amdhsa_user_sgpr_private_segment_size 0
		.amdhsa_wavefront_size32 1
		.amdhsa_uses_dynamic_stack 0
		.amdhsa_enable_private_segment 0
		.amdhsa_system_sgpr_workgroup_id_x 1
		.amdhsa_system_sgpr_workgroup_id_y 0
		.amdhsa_system_sgpr_workgroup_id_z 0
		.amdhsa_system_sgpr_workgroup_info 0
		.amdhsa_system_vgpr_workitem_id 0
		.amdhsa_next_free_vgpr 1
		.amdhsa_next_free_sgpr 1
		.amdhsa_reserve_vcc 0
		.amdhsa_float_round_mode_32 0
		.amdhsa_float_round_mode_16_64 0
		.amdhsa_float_denorm_mode_32 3
		.amdhsa_float_denorm_mode_16_64 3
		.amdhsa_dx10_clamp 1
		.amdhsa_ieee_mode 1
		.amdhsa_fp16_overflow 0
		.amdhsa_workgroup_processor_mode 1
		.amdhsa_memory_ordered 1
		.amdhsa_forward_progress 0
		.amdhsa_shared_vgpr_count 0
		.amdhsa_exception_fp_ieee_invalid_op 0
		.amdhsa_exception_fp_denorm_src 0
		.amdhsa_exception_fp_ieee_div_zero 0
		.amdhsa_exception_fp_ieee_overflow 0
		.amdhsa_exception_fp_ieee_underflow 0
		.amdhsa_exception_fp_ieee_inexact 0
		.amdhsa_exception_int_div_zero 0
	.end_amdhsa_kernel
	.section	.text._ZN7rocprim17ROCPRIM_400000_NS6detail17trampoline_kernelINS0_13select_configILj256ELj13ELNS0_17block_load_methodE3ELS4_3ELS4_3ELNS0_20block_scan_algorithmE0ELj4294967295EEENS1_25partition_config_selectorILNS1_17partition_subalgoE4EjNS0_10empty_typeEbEEZZNS1_14partition_implILS8_4ELb0ES6_15HIP_vector_typeIjLj2EENS0_17counting_iteratorIjlEEPS9_SG_NS0_5tupleIJPjSI_NS0_16reverse_iteratorISI_EEEEENSH_IJSG_SG_SG_EEES9_SI_JZNS1_25segmented_radix_sort_implINS0_14default_configELb0EPK6__halfPSP_PKlPlN2at6native12_GLOBAL__N_18offset_tEEE10hipError_tPvRmT1_PNSt15iterator_traitsIS13_E10value_typeET2_T3_PNS14_IS19_E10value_typeET4_jRbjT5_S1F_jjP12ihipStream_tbEUljE_ZNSN_ISO_Lb0ESR_SS_SU_SV_SZ_EES10_S11_S12_S13_S17_S18_S19_S1C_S1D_jS1E_jS1F_S1F_jjS1H_bEUljE0_EEES10_S11_S12_S19_S1D_S1F_T6_T7_T9_mT8_S1H_bDpT10_ENKUlT_T0_E_clISt17integral_constantIbLb1EES1V_EEDaS1Q_S1R_EUlS1Q_E_NS1_11comp_targetILNS1_3genE8ELNS1_11target_archE1030ELNS1_3gpuE2ELNS1_3repE0EEENS1_30default_config_static_selectorELNS0_4arch9wavefront6targetE0EEEvS13_,"axG",@progbits,_ZN7rocprim17ROCPRIM_400000_NS6detail17trampoline_kernelINS0_13select_configILj256ELj13ELNS0_17block_load_methodE3ELS4_3ELS4_3ELNS0_20block_scan_algorithmE0ELj4294967295EEENS1_25partition_config_selectorILNS1_17partition_subalgoE4EjNS0_10empty_typeEbEEZZNS1_14partition_implILS8_4ELb0ES6_15HIP_vector_typeIjLj2EENS0_17counting_iteratorIjlEEPS9_SG_NS0_5tupleIJPjSI_NS0_16reverse_iteratorISI_EEEEENSH_IJSG_SG_SG_EEES9_SI_JZNS1_25segmented_radix_sort_implINS0_14default_configELb0EPK6__halfPSP_PKlPlN2at6native12_GLOBAL__N_18offset_tEEE10hipError_tPvRmT1_PNSt15iterator_traitsIS13_E10value_typeET2_T3_PNS14_IS19_E10value_typeET4_jRbjT5_S1F_jjP12ihipStream_tbEUljE_ZNSN_ISO_Lb0ESR_SS_SU_SV_SZ_EES10_S11_S12_S13_S17_S18_S19_S1C_S1D_jS1E_jS1F_S1F_jjS1H_bEUljE0_EEES10_S11_S12_S19_S1D_S1F_T6_T7_T9_mT8_S1H_bDpT10_ENKUlT_T0_E_clISt17integral_constantIbLb1EES1V_EEDaS1Q_S1R_EUlS1Q_E_NS1_11comp_targetILNS1_3genE8ELNS1_11target_archE1030ELNS1_3gpuE2ELNS1_3repE0EEENS1_30default_config_static_selectorELNS0_4arch9wavefront6targetE0EEEvS13_,comdat
.Lfunc_end1793:
	.size	_ZN7rocprim17ROCPRIM_400000_NS6detail17trampoline_kernelINS0_13select_configILj256ELj13ELNS0_17block_load_methodE3ELS4_3ELS4_3ELNS0_20block_scan_algorithmE0ELj4294967295EEENS1_25partition_config_selectorILNS1_17partition_subalgoE4EjNS0_10empty_typeEbEEZZNS1_14partition_implILS8_4ELb0ES6_15HIP_vector_typeIjLj2EENS0_17counting_iteratorIjlEEPS9_SG_NS0_5tupleIJPjSI_NS0_16reverse_iteratorISI_EEEEENSH_IJSG_SG_SG_EEES9_SI_JZNS1_25segmented_radix_sort_implINS0_14default_configELb0EPK6__halfPSP_PKlPlN2at6native12_GLOBAL__N_18offset_tEEE10hipError_tPvRmT1_PNSt15iterator_traitsIS13_E10value_typeET2_T3_PNS14_IS19_E10value_typeET4_jRbjT5_S1F_jjP12ihipStream_tbEUljE_ZNSN_ISO_Lb0ESR_SS_SU_SV_SZ_EES10_S11_S12_S13_S17_S18_S19_S1C_S1D_jS1E_jS1F_S1F_jjS1H_bEUljE0_EEES10_S11_S12_S19_S1D_S1F_T6_T7_T9_mT8_S1H_bDpT10_ENKUlT_T0_E_clISt17integral_constantIbLb1EES1V_EEDaS1Q_S1R_EUlS1Q_E_NS1_11comp_targetILNS1_3genE8ELNS1_11target_archE1030ELNS1_3gpuE2ELNS1_3repE0EEENS1_30default_config_static_selectorELNS0_4arch9wavefront6targetE0EEEvS13_, .Lfunc_end1793-_ZN7rocprim17ROCPRIM_400000_NS6detail17trampoline_kernelINS0_13select_configILj256ELj13ELNS0_17block_load_methodE3ELS4_3ELS4_3ELNS0_20block_scan_algorithmE0ELj4294967295EEENS1_25partition_config_selectorILNS1_17partition_subalgoE4EjNS0_10empty_typeEbEEZZNS1_14partition_implILS8_4ELb0ES6_15HIP_vector_typeIjLj2EENS0_17counting_iteratorIjlEEPS9_SG_NS0_5tupleIJPjSI_NS0_16reverse_iteratorISI_EEEEENSH_IJSG_SG_SG_EEES9_SI_JZNS1_25segmented_radix_sort_implINS0_14default_configELb0EPK6__halfPSP_PKlPlN2at6native12_GLOBAL__N_18offset_tEEE10hipError_tPvRmT1_PNSt15iterator_traitsIS13_E10value_typeET2_T3_PNS14_IS19_E10value_typeET4_jRbjT5_S1F_jjP12ihipStream_tbEUljE_ZNSN_ISO_Lb0ESR_SS_SU_SV_SZ_EES10_S11_S12_S13_S17_S18_S19_S1C_S1D_jS1E_jS1F_S1F_jjS1H_bEUljE0_EEES10_S11_S12_S19_S1D_S1F_T6_T7_T9_mT8_S1H_bDpT10_ENKUlT_T0_E_clISt17integral_constantIbLb1EES1V_EEDaS1Q_S1R_EUlS1Q_E_NS1_11comp_targetILNS1_3genE8ELNS1_11target_archE1030ELNS1_3gpuE2ELNS1_3repE0EEENS1_30default_config_static_selectorELNS0_4arch9wavefront6targetE0EEEvS13_
                                        ; -- End function
	.section	.AMDGPU.csdata,"",@progbits
; Kernel info:
; codeLenInByte = 0
; NumSgprs: 0
; NumVgprs: 0
; ScratchSize: 0
; MemoryBound: 0
; FloatMode: 240
; IeeeMode: 1
; LDSByteSize: 0 bytes/workgroup (compile time only)
; SGPRBlocks: 0
; VGPRBlocks: 0
; NumSGPRsForWavesPerEU: 1
; NumVGPRsForWavesPerEU: 1
; Occupancy: 16
; WaveLimiterHint : 0
; COMPUTE_PGM_RSRC2:SCRATCH_EN: 0
; COMPUTE_PGM_RSRC2:USER_SGPR: 15
; COMPUTE_PGM_RSRC2:TRAP_HANDLER: 0
; COMPUTE_PGM_RSRC2:TGID_X_EN: 1
; COMPUTE_PGM_RSRC2:TGID_Y_EN: 0
; COMPUTE_PGM_RSRC2:TGID_Z_EN: 0
; COMPUTE_PGM_RSRC2:TIDIG_COMP_CNT: 0
	.section	.text._ZN7rocprim17ROCPRIM_400000_NS6detail17trampoline_kernelINS0_13select_configILj256ELj13ELNS0_17block_load_methodE3ELS4_3ELS4_3ELNS0_20block_scan_algorithmE0ELj4294967295EEENS1_25partition_config_selectorILNS1_17partition_subalgoE4EjNS0_10empty_typeEbEEZZNS1_14partition_implILS8_4ELb0ES6_15HIP_vector_typeIjLj2EENS0_17counting_iteratorIjlEEPS9_SG_NS0_5tupleIJPjSI_NS0_16reverse_iteratorISI_EEEEENSH_IJSG_SG_SG_EEES9_SI_JZNS1_25segmented_radix_sort_implINS0_14default_configELb0EPK6__halfPSP_PKlPlN2at6native12_GLOBAL__N_18offset_tEEE10hipError_tPvRmT1_PNSt15iterator_traitsIS13_E10value_typeET2_T3_PNS14_IS19_E10value_typeET4_jRbjT5_S1F_jjP12ihipStream_tbEUljE_ZNSN_ISO_Lb0ESR_SS_SU_SV_SZ_EES10_S11_S12_S13_S17_S18_S19_S1C_S1D_jS1E_jS1F_S1F_jjS1H_bEUljE0_EEES10_S11_S12_S19_S1D_S1F_T6_T7_T9_mT8_S1H_bDpT10_ENKUlT_T0_E_clISt17integral_constantIbLb1EES1U_IbLb0EEEEDaS1Q_S1R_EUlS1Q_E_NS1_11comp_targetILNS1_3genE0ELNS1_11target_archE4294967295ELNS1_3gpuE0ELNS1_3repE0EEENS1_30default_config_static_selectorELNS0_4arch9wavefront6targetE0EEEvS13_,"axG",@progbits,_ZN7rocprim17ROCPRIM_400000_NS6detail17trampoline_kernelINS0_13select_configILj256ELj13ELNS0_17block_load_methodE3ELS4_3ELS4_3ELNS0_20block_scan_algorithmE0ELj4294967295EEENS1_25partition_config_selectorILNS1_17partition_subalgoE4EjNS0_10empty_typeEbEEZZNS1_14partition_implILS8_4ELb0ES6_15HIP_vector_typeIjLj2EENS0_17counting_iteratorIjlEEPS9_SG_NS0_5tupleIJPjSI_NS0_16reverse_iteratorISI_EEEEENSH_IJSG_SG_SG_EEES9_SI_JZNS1_25segmented_radix_sort_implINS0_14default_configELb0EPK6__halfPSP_PKlPlN2at6native12_GLOBAL__N_18offset_tEEE10hipError_tPvRmT1_PNSt15iterator_traitsIS13_E10value_typeET2_T3_PNS14_IS19_E10value_typeET4_jRbjT5_S1F_jjP12ihipStream_tbEUljE_ZNSN_ISO_Lb0ESR_SS_SU_SV_SZ_EES10_S11_S12_S13_S17_S18_S19_S1C_S1D_jS1E_jS1F_S1F_jjS1H_bEUljE0_EEES10_S11_S12_S19_S1D_S1F_T6_T7_T9_mT8_S1H_bDpT10_ENKUlT_T0_E_clISt17integral_constantIbLb1EES1U_IbLb0EEEEDaS1Q_S1R_EUlS1Q_E_NS1_11comp_targetILNS1_3genE0ELNS1_11target_archE4294967295ELNS1_3gpuE0ELNS1_3repE0EEENS1_30default_config_static_selectorELNS0_4arch9wavefront6targetE0EEEvS13_,comdat
	.globl	_ZN7rocprim17ROCPRIM_400000_NS6detail17trampoline_kernelINS0_13select_configILj256ELj13ELNS0_17block_load_methodE3ELS4_3ELS4_3ELNS0_20block_scan_algorithmE0ELj4294967295EEENS1_25partition_config_selectorILNS1_17partition_subalgoE4EjNS0_10empty_typeEbEEZZNS1_14partition_implILS8_4ELb0ES6_15HIP_vector_typeIjLj2EENS0_17counting_iteratorIjlEEPS9_SG_NS0_5tupleIJPjSI_NS0_16reverse_iteratorISI_EEEEENSH_IJSG_SG_SG_EEES9_SI_JZNS1_25segmented_radix_sort_implINS0_14default_configELb0EPK6__halfPSP_PKlPlN2at6native12_GLOBAL__N_18offset_tEEE10hipError_tPvRmT1_PNSt15iterator_traitsIS13_E10value_typeET2_T3_PNS14_IS19_E10value_typeET4_jRbjT5_S1F_jjP12ihipStream_tbEUljE_ZNSN_ISO_Lb0ESR_SS_SU_SV_SZ_EES10_S11_S12_S13_S17_S18_S19_S1C_S1D_jS1E_jS1F_S1F_jjS1H_bEUljE0_EEES10_S11_S12_S19_S1D_S1F_T6_T7_T9_mT8_S1H_bDpT10_ENKUlT_T0_E_clISt17integral_constantIbLb1EES1U_IbLb0EEEEDaS1Q_S1R_EUlS1Q_E_NS1_11comp_targetILNS1_3genE0ELNS1_11target_archE4294967295ELNS1_3gpuE0ELNS1_3repE0EEENS1_30default_config_static_selectorELNS0_4arch9wavefront6targetE0EEEvS13_ ; -- Begin function _ZN7rocprim17ROCPRIM_400000_NS6detail17trampoline_kernelINS0_13select_configILj256ELj13ELNS0_17block_load_methodE3ELS4_3ELS4_3ELNS0_20block_scan_algorithmE0ELj4294967295EEENS1_25partition_config_selectorILNS1_17partition_subalgoE4EjNS0_10empty_typeEbEEZZNS1_14partition_implILS8_4ELb0ES6_15HIP_vector_typeIjLj2EENS0_17counting_iteratorIjlEEPS9_SG_NS0_5tupleIJPjSI_NS0_16reverse_iteratorISI_EEEEENSH_IJSG_SG_SG_EEES9_SI_JZNS1_25segmented_radix_sort_implINS0_14default_configELb0EPK6__halfPSP_PKlPlN2at6native12_GLOBAL__N_18offset_tEEE10hipError_tPvRmT1_PNSt15iterator_traitsIS13_E10value_typeET2_T3_PNS14_IS19_E10value_typeET4_jRbjT5_S1F_jjP12ihipStream_tbEUljE_ZNSN_ISO_Lb0ESR_SS_SU_SV_SZ_EES10_S11_S12_S13_S17_S18_S19_S1C_S1D_jS1E_jS1F_S1F_jjS1H_bEUljE0_EEES10_S11_S12_S19_S1D_S1F_T6_T7_T9_mT8_S1H_bDpT10_ENKUlT_T0_E_clISt17integral_constantIbLb1EES1U_IbLb0EEEEDaS1Q_S1R_EUlS1Q_E_NS1_11comp_targetILNS1_3genE0ELNS1_11target_archE4294967295ELNS1_3gpuE0ELNS1_3repE0EEENS1_30default_config_static_selectorELNS0_4arch9wavefront6targetE0EEEvS13_
	.p2align	8
	.type	_ZN7rocprim17ROCPRIM_400000_NS6detail17trampoline_kernelINS0_13select_configILj256ELj13ELNS0_17block_load_methodE3ELS4_3ELS4_3ELNS0_20block_scan_algorithmE0ELj4294967295EEENS1_25partition_config_selectorILNS1_17partition_subalgoE4EjNS0_10empty_typeEbEEZZNS1_14partition_implILS8_4ELb0ES6_15HIP_vector_typeIjLj2EENS0_17counting_iteratorIjlEEPS9_SG_NS0_5tupleIJPjSI_NS0_16reverse_iteratorISI_EEEEENSH_IJSG_SG_SG_EEES9_SI_JZNS1_25segmented_radix_sort_implINS0_14default_configELb0EPK6__halfPSP_PKlPlN2at6native12_GLOBAL__N_18offset_tEEE10hipError_tPvRmT1_PNSt15iterator_traitsIS13_E10value_typeET2_T3_PNS14_IS19_E10value_typeET4_jRbjT5_S1F_jjP12ihipStream_tbEUljE_ZNSN_ISO_Lb0ESR_SS_SU_SV_SZ_EES10_S11_S12_S13_S17_S18_S19_S1C_S1D_jS1E_jS1F_S1F_jjS1H_bEUljE0_EEES10_S11_S12_S19_S1D_S1F_T6_T7_T9_mT8_S1H_bDpT10_ENKUlT_T0_E_clISt17integral_constantIbLb1EES1U_IbLb0EEEEDaS1Q_S1R_EUlS1Q_E_NS1_11comp_targetILNS1_3genE0ELNS1_11target_archE4294967295ELNS1_3gpuE0ELNS1_3repE0EEENS1_30default_config_static_selectorELNS0_4arch9wavefront6targetE0EEEvS13_,@function
_ZN7rocprim17ROCPRIM_400000_NS6detail17trampoline_kernelINS0_13select_configILj256ELj13ELNS0_17block_load_methodE3ELS4_3ELS4_3ELNS0_20block_scan_algorithmE0ELj4294967295EEENS1_25partition_config_selectorILNS1_17partition_subalgoE4EjNS0_10empty_typeEbEEZZNS1_14partition_implILS8_4ELb0ES6_15HIP_vector_typeIjLj2EENS0_17counting_iteratorIjlEEPS9_SG_NS0_5tupleIJPjSI_NS0_16reverse_iteratorISI_EEEEENSH_IJSG_SG_SG_EEES9_SI_JZNS1_25segmented_radix_sort_implINS0_14default_configELb0EPK6__halfPSP_PKlPlN2at6native12_GLOBAL__N_18offset_tEEE10hipError_tPvRmT1_PNSt15iterator_traitsIS13_E10value_typeET2_T3_PNS14_IS19_E10value_typeET4_jRbjT5_S1F_jjP12ihipStream_tbEUljE_ZNSN_ISO_Lb0ESR_SS_SU_SV_SZ_EES10_S11_S12_S13_S17_S18_S19_S1C_S1D_jS1E_jS1F_S1F_jjS1H_bEUljE0_EEES10_S11_S12_S19_S1D_S1F_T6_T7_T9_mT8_S1H_bDpT10_ENKUlT_T0_E_clISt17integral_constantIbLb1EES1U_IbLb0EEEEDaS1Q_S1R_EUlS1Q_E_NS1_11comp_targetILNS1_3genE0ELNS1_11target_archE4294967295ELNS1_3gpuE0ELNS1_3repE0EEENS1_30default_config_static_selectorELNS0_4arch9wavefront6targetE0EEEvS13_: ; @_ZN7rocprim17ROCPRIM_400000_NS6detail17trampoline_kernelINS0_13select_configILj256ELj13ELNS0_17block_load_methodE3ELS4_3ELS4_3ELNS0_20block_scan_algorithmE0ELj4294967295EEENS1_25partition_config_selectorILNS1_17partition_subalgoE4EjNS0_10empty_typeEbEEZZNS1_14partition_implILS8_4ELb0ES6_15HIP_vector_typeIjLj2EENS0_17counting_iteratorIjlEEPS9_SG_NS0_5tupleIJPjSI_NS0_16reverse_iteratorISI_EEEEENSH_IJSG_SG_SG_EEES9_SI_JZNS1_25segmented_radix_sort_implINS0_14default_configELb0EPK6__halfPSP_PKlPlN2at6native12_GLOBAL__N_18offset_tEEE10hipError_tPvRmT1_PNSt15iterator_traitsIS13_E10value_typeET2_T3_PNS14_IS19_E10value_typeET4_jRbjT5_S1F_jjP12ihipStream_tbEUljE_ZNSN_ISO_Lb0ESR_SS_SU_SV_SZ_EES10_S11_S12_S13_S17_S18_S19_S1C_S1D_jS1E_jS1F_S1F_jjS1H_bEUljE0_EEES10_S11_S12_S19_S1D_S1F_T6_T7_T9_mT8_S1H_bDpT10_ENKUlT_T0_E_clISt17integral_constantIbLb1EES1U_IbLb0EEEEDaS1Q_S1R_EUlS1Q_E_NS1_11comp_targetILNS1_3genE0ELNS1_11target_archE4294967295ELNS1_3gpuE0ELNS1_3repE0EEENS1_30default_config_static_selectorELNS0_4arch9wavefront6targetE0EEEvS13_
; %bb.0:
	.section	.rodata,"a",@progbits
	.p2align	6, 0x0
	.amdhsa_kernel _ZN7rocprim17ROCPRIM_400000_NS6detail17trampoline_kernelINS0_13select_configILj256ELj13ELNS0_17block_load_methodE3ELS4_3ELS4_3ELNS0_20block_scan_algorithmE0ELj4294967295EEENS1_25partition_config_selectorILNS1_17partition_subalgoE4EjNS0_10empty_typeEbEEZZNS1_14partition_implILS8_4ELb0ES6_15HIP_vector_typeIjLj2EENS0_17counting_iteratorIjlEEPS9_SG_NS0_5tupleIJPjSI_NS0_16reverse_iteratorISI_EEEEENSH_IJSG_SG_SG_EEES9_SI_JZNS1_25segmented_radix_sort_implINS0_14default_configELb0EPK6__halfPSP_PKlPlN2at6native12_GLOBAL__N_18offset_tEEE10hipError_tPvRmT1_PNSt15iterator_traitsIS13_E10value_typeET2_T3_PNS14_IS19_E10value_typeET4_jRbjT5_S1F_jjP12ihipStream_tbEUljE_ZNSN_ISO_Lb0ESR_SS_SU_SV_SZ_EES10_S11_S12_S13_S17_S18_S19_S1C_S1D_jS1E_jS1F_S1F_jjS1H_bEUljE0_EEES10_S11_S12_S19_S1D_S1F_T6_T7_T9_mT8_S1H_bDpT10_ENKUlT_T0_E_clISt17integral_constantIbLb1EES1U_IbLb0EEEEDaS1Q_S1R_EUlS1Q_E_NS1_11comp_targetILNS1_3genE0ELNS1_11target_archE4294967295ELNS1_3gpuE0ELNS1_3repE0EEENS1_30default_config_static_selectorELNS0_4arch9wavefront6targetE0EEEvS13_
		.amdhsa_group_segment_fixed_size 0
		.amdhsa_private_segment_fixed_size 0
		.amdhsa_kernarg_size 176
		.amdhsa_user_sgpr_count 15
		.amdhsa_user_sgpr_dispatch_ptr 0
		.amdhsa_user_sgpr_queue_ptr 0
		.amdhsa_user_sgpr_kernarg_segment_ptr 1
		.amdhsa_user_sgpr_dispatch_id 0
		.amdhsa_user_sgpr_private_segment_size 0
		.amdhsa_wavefront_size32 1
		.amdhsa_uses_dynamic_stack 0
		.amdhsa_enable_private_segment 0
		.amdhsa_system_sgpr_workgroup_id_x 1
		.amdhsa_system_sgpr_workgroup_id_y 0
		.amdhsa_system_sgpr_workgroup_id_z 0
		.amdhsa_system_sgpr_workgroup_info 0
		.amdhsa_system_vgpr_workitem_id 0
		.amdhsa_next_free_vgpr 1
		.amdhsa_next_free_sgpr 1
		.amdhsa_reserve_vcc 0
		.amdhsa_float_round_mode_32 0
		.amdhsa_float_round_mode_16_64 0
		.amdhsa_float_denorm_mode_32 3
		.amdhsa_float_denorm_mode_16_64 3
		.amdhsa_dx10_clamp 1
		.amdhsa_ieee_mode 1
		.amdhsa_fp16_overflow 0
		.amdhsa_workgroup_processor_mode 1
		.amdhsa_memory_ordered 1
		.amdhsa_forward_progress 0
		.amdhsa_shared_vgpr_count 0
		.amdhsa_exception_fp_ieee_invalid_op 0
		.amdhsa_exception_fp_denorm_src 0
		.amdhsa_exception_fp_ieee_div_zero 0
		.amdhsa_exception_fp_ieee_overflow 0
		.amdhsa_exception_fp_ieee_underflow 0
		.amdhsa_exception_fp_ieee_inexact 0
		.amdhsa_exception_int_div_zero 0
	.end_amdhsa_kernel
	.section	.text._ZN7rocprim17ROCPRIM_400000_NS6detail17trampoline_kernelINS0_13select_configILj256ELj13ELNS0_17block_load_methodE3ELS4_3ELS4_3ELNS0_20block_scan_algorithmE0ELj4294967295EEENS1_25partition_config_selectorILNS1_17partition_subalgoE4EjNS0_10empty_typeEbEEZZNS1_14partition_implILS8_4ELb0ES6_15HIP_vector_typeIjLj2EENS0_17counting_iteratorIjlEEPS9_SG_NS0_5tupleIJPjSI_NS0_16reverse_iteratorISI_EEEEENSH_IJSG_SG_SG_EEES9_SI_JZNS1_25segmented_radix_sort_implINS0_14default_configELb0EPK6__halfPSP_PKlPlN2at6native12_GLOBAL__N_18offset_tEEE10hipError_tPvRmT1_PNSt15iterator_traitsIS13_E10value_typeET2_T3_PNS14_IS19_E10value_typeET4_jRbjT5_S1F_jjP12ihipStream_tbEUljE_ZNSN_ISO_Lb0ESR_SS_SU_SV_SZ_EES10_S11_S12_S13_S17_S18_S19_S1C_S1D_jS1E_jS1F_S1F_jjS1H_bEUljE0_EEES10_S11_S12_S19_S1D_S1F_T6_T7_T9_mT8_S1H_bDpT10_ENKUlT_T0_E_clISt17integral_constantIbLb1EES1U_IbLb0EEEEDaS1Q_S1R_EUlS1Q_E_NS1_11comp_targetILNS1_3genE0ELNS1_11target_archE4294967295ELNS1_3gpuE0ELNS1_3repE0EEENS1_30default_config_static_selectorELNS0_4arch9wavefront6targetE0EEEvS13_,"axG",@progbits,_ZN7rocprim17ROCPRIM_400000_NS6detail17trampoline_kernelINS0_13select_configILj256ELj13ELNS0_17block_load_methodE3ELS4_3ELS4_3ELNS0_20block_scan_algorithmE0ELj4294967295EEENS1_25partition_config_selectorILNS1_17partition_subalgoE4EjNS0_10empty_typeEbEEZZNS1_14partition_implILS8_4ELb0ES6_15HIP_vector_typeIjLj2EENS0_17counting_iteratorIjlEEPS9_SG_NS0_5tupleIJPjSI_NS0_16reverse_iteratorISI_EEEEENSH_IJSG_SG_SG_EEES9_SI_JZNS1_25segmented_radix_sort_implINS0_14default_configELb0EPK6__halfPSP_PKlPlN2at6native12_GLOBAL__N_18offset_tEEE10hipError_tPvRmT1_PNSt15iterator_traitsIS13_E10value_typeET2_T3_PNS14_IS19_E10value_typeET4_jRbjT5_S1F_jjP12ihipStream_tbEUljE_ZNSN_ISO_Lb0ESR_SS_SU_SV_SZ_EES10_S11_S12_S13_S17_S18_S19_S1C_S1D_jS1E_jS1F_S1F_jjS1H_bEUljE0_EEES10_S11_S12_S19_S1D_S1F_T6_T7_T9_mT8_S1H_bDpT10_ENKUlT_T0_E_clISt17integral_constantIbLb1EES1U_IbLb0EEEEDaS1Q_S1R_EUlS1Q_E_NS1_11comp_targetILNS1_3genE0ELNS1_11target_archE4294967295ELNS1_3gpuE0ELNS1_3repE0EEENS1_30default_config_static_selectorELNS0_4arch9wavefront6targetE0EEEvS13_,comdat
.Lfunc_end1794:
	.size	_ZN7rocprim17ROCPRIM_400000_NS6detail17trampoline_kernelINS0_13select_configILj256ELj13ELNS0_17block_load_methodE3ELS4_3ELS4_3ELNS0_20block_scan_algorithmE0ELj4294967295EEENS1_25partition_config_selectorILNS1_17partition_subalgoE4EjNS0_10empty_typeEbEEZZNS1_14partition_implILS8_4ELb0ES6_15HIP_vector_typeIjLj2EENS0_17counting_iteratorIjlEEPS9_SG_NS0_5tupleIJPjSI_NS0_16reverse_iteratorISI_EEEEENSH_IJSG_SG_SG_EEES9_SI_JZNS1_25segmented_radix_sort_implINS0_14default_configELb0EPK6__halfPSP_PKlPlN2at6native12_GLOBAL__N_18offset_tEEE10hipError_tPvRmT1_PNSt15iterator_traitsIS13_E10value_typeET2_T3_PNS14_IS19_E10value_typeET4_jRbjT5_S1F_jjP12ihipStream_tbEUljE_ZNSN_ISO_Lb0ESR_SS_SU_SV_SZ_EES10_S11_S12_S13_S17_S18_S19_S1C_S1D_jS1E_jS1F_S1F_jjS1H_bEUljE0_EEES10_S11_S12_S19_S1D_S1F_T6_T7_T9_mT8_S1H_bDpT10_ENKUlT_T0_E_clISt17integral_constantIbLb1EES1U_IbLb0EEEEDaS1Q_S1R_EUlS1Q_E_NS1_11comp_targetILNS1_3genE0ELNS1_11target_archE4294967295ELNS1_3gpuE0ELNS1_3repE0EEENS1_30default_config_static_selectorELNS0_4arch9wavefront6targetE0EEEvS13_, .Lfunc_end1794-_ZN7rocprim17ROCPRIM_400000_NS6detail17trampoline_kernelINS0_13select_configILj256ELj13ELNS0_17block_load_methodE3ELS4_3ELS4_3ELNS0_20block_scan_algorithmE0ELj4294967295EEENS1_25partition_config_selectorILNS1_17partition_subalgoE4EjNS0_10empty_typeEbEEZZNS1_14partition_implILS8_4ELb0ES6_15HIP_vector_typeIjLj2EENS0_17counting_iteratorIjlEEPS9_SG_NS0_5tupleIJPjSI_NS0_16reverse_iteratorISI_EEEEENSH_IJSG_SG_SG_EEES9_SI_JZNS1_25segmented_radix_sort_implINS0_14default_configELb0EPK6__halfPSP_PKlPlN2at6native12_GLOBAL__N_18offset_tEEE10hipError_tPvRmT1_PNSt15iterator_traitsIS13_E10value_typeET2_T3_PNS14_IS19_E10value_typeET4_jRbjT5_S1F_jjP12ihipStream_tbEUljE_ZNSN_ISO_Lb0ESR_SS_SU_SV_SZ_EES10_S11_S12_S13_S17_S18_S19_S1C_S1D_jS1E_jS1F_S1F_jjS1H_bEUljE0_EEES10_S11_S12_S19_S1D_S1F_T6_T7_T9_mT8_S1H_bDpT10_ENKUlT_T0_E_clISt17integral_constantIbLb1EES1U_IbLb0EEEEDaS1Q_S1R_EUlS1Q_E_NS1_11comp_targetILNS1_3genE0ELNS1_11target_archE4294967295ELNS1_3gpuE0ELNS1_3repE0EEENS1_30default_config_static_selectorELNS0_4arch9wavefront6targetE0EEEvS13_
                                        ; -- End function
	.section	.AMDGPU.csdata,"",@progbits
; Kernel info:
; codeLenInByte = 0
; NumSgprs: 0
; NumVgprs: 0
; ScratchSize: 0
; MemoryBound: 0
; FloatMode: 240
; IeeeMode: 1
; LDSByteSize: 0 bytes/workgroup (compile time only)
; SGPRBlocks: 0
; VGPRBlocks: 0
; NumSGPRsForWavesPerEU: 1
; NumVGPRsForWavesPerEU: 1
; Occupancy: 16
; WaveLimiterHint : 0
; COMPUTE_PGM_RSRC2:SCRATCH_EN: 0
; COMPUTE_PGM_RSRC2:USER_SGPR: 15
; COMPUTE_PGM_RSRC2:TRAP_HANDLER: 0
; COMPUTE_PGM_RSRC2:TGID_X_EN: 1
; COMPUTE_PGM_RSRC2:TGID_Y_EN: 0
; COMPUTE_PGM_RSRC2:TGID_Z_EN: 0
; COMPUTE_PGM_RSRC2:TIDIG_COMP_CNT: 0
	.section	.text._ZN7rocprim17ROCPRIM_400000_NS6detail17trampoline_kernelINS0_13select_configILj256ELj13ELNS0_17block_load_methodE3ELS4_3ELS4_3ELNS0_20block_scan_algorithmE0ELj4294967295EEENS1_25partition_config_selectorILNS1_17partition_subalgoE4EjNS0_10empty_typeEbEEZZNS1_14partition_implILS8_4ELb0ES6_15HIP_vector_typeIjLj2EENS0_17counting_iteratorIjlEEPS9_SG_NS0_5tupleIJPjSI_NS0_16reverse_iteratorISI_EEEEENSH_IJSG_SG_SG_EEES9_SI_JZNS1_25segmented_radix_sort_implINS0_14default_configELb0EPK6__halfPSP_PKlPlN2at6native12_GLOBAL__N_18offset_tEEE10hipError_tPvRmT1_PNSt15iterator_traitsIS13_E10value_typeET2_T3_PNS14_IS19_E10value_typeET4_jRbjT5_S1F_jjP12ihipStream_tbEUljE_ZNSN_ISO_Lb0ESR_SS_SU_SV_SZ_EES10_S11_S12_S13_S17_S18_S19_S1C_S1D_jS1E_jS1F_S1F_jjS1H_bEUljE0_EEES10_S11_S12_S19_S1D_S1F_T6_T7_T9_mT8_S1H_bDpT10_ENKUlT_T0_E_clISt17integral_constantIbLb1EES1U_IbLb0EEEEDaS1Q_S1R_EUlS1Q_E_NS1_11comp_targetILNS1_3genE5ELNS1_11target_archE942ELNS1_3gpuE9ELNS1_3repE0EEENS1_30default_config_static_selectorELNS0_4arch9wavefront6targetE0EEEvS13_,"axG",@progbits,_ZN7rocprim17ROCPRIM_400000_NS6detail17trampoline_kernelINS0_13select_configILj256ELj13ELNS0_17block_load_methodE3ELS4_3ELS4_3ELNS0_20block_scan_algorithmE0ELj4294967295EEENS1_25partition_config_selectorILNS1_17partition_subalgoE4EjNS0_10empty_typeEbEEZZNS1_14partition_implILS8_4ELb0ES6_15HIP_vector_typeIjLj2EENS0_17counting_iteratorIjlEEPS9_SG_NS0_5tupleIJPjSI_NS0_16reverse_iteratorISI_EEEEENSH_IJSG_SG_SG_EEES9_SI_JZNS1_25segmented_radix_sort_implINS0_14default_configELb0EPK6__halfPSP_PKlPlN2at6native12_GLOBAL__N_18offset_tEEE10hipError_tPvRmT1_PNSt15iterator_traitsIS13_E10value_typeET2_T3_PNS14_IS19_E10value_typeET4_jRbjT5_S1F_jjP12ihipStream_tbEUljE_ZNSN_ISO_Lb0ESR_SS_SU_SV_SZ_EES10_S11_S12_S13_S17_S18_S19_S1C_S1D_jS1E_jS1F_S1F_jjS1H_bEUljE0_EEES10_S11_S12_S19_S1D_S1F_T6_T7_T9_mT8_S1H_bDpT10_ENKUlT_T0_E_clISt17integral_constantIbLb1EES1U_IbLb0EEEEDaS1Q_S1R_EUlS1Q_E_NS1_11comp_targetILNS1_3genE5ELNS1_11target_archE942ELNS1_3gpuE9ELNS1_3repE0EEENS1_30default_config_static_selectorELNS0_4arch9wavefront6targetE0EEEvS13_,comdat
	.globl	_ZN7rocprim17ROCPRIM_400000_NS6detail17trampoline_kernelINS0_13select_configILj256ELj13ELNS0_17block_load_methodE3ELS4_3ELS4_3ELNS0_20block_scan_algorithmE0ELj4294967295EEENS1_25partition_config_selectorILNS1_17partition_subalgoE4EjNS0_10empty_typeEbEEZZNS1_14partition_implILS8_4ELb0ES6_15HIP_vector_typeIjLj2EENS0_17counting_iteratorIjlEEPS9_SG_NS0_5tupleIJPjSI_NS0_16reverse_iteratorISI_EEEEENSH_IJSG_SG_SG_EEES9_SI_JZNS1_25segmented_radix_sort_implINS0_14default_configELb0EPK6__halfPSP_PKlPlN2at6native12_GLOBAL__N_18offset_tEEE10hipError_tPvRmT1_PNSt15iterator_traitsIS13_E10value_typeET2_T3_PNS14_IS19_E10value_typeET4_jRbjT5_S1F_jjP12ihipStream_tbEUljE_ZNSN_ISO_Lb0ESR_SS_SU_SV_SZ_EES10_S11_S12_S13_S17_S18_S19_S1C_S1D_jS1E_jS1F_S1F_jjS1H_bEUljE0_EEES10_S11_S12_S19_S1D_S1F_T6_T7_T9_mT8_S1H_bDpT10_ENKUlT_T0_E_clISt17integral_constantIbLb1EES1U_IbLb0EEEEDaS1Q_S1R_EUlS1Q_E_NS1_11comp_targetILNS1_3genE5ELNS1_11target_archE942ELNS1_3gpuE9ELNS1_3repE0EEENS1_30default_config_static_selectorELNS0_4arch9wavefront6targetE0EEEvS13_ ; -- Begin function _ZN7rocprim17ROCPRIM_400000_NS6detail17trampoline_kernelINS0_13select_configILj256ELj13ELNS0_17block_load_methodE3ELS4_3ELS4_3ELNS0_20block_scan_algorithmE0ELj4294967295EEENS1_25partition_config_selectorILNS1_17partition_subalgoE4EjNS0_10empty_typeEbEEZZNS1_14partition_implILS8_4ELb0ES6_15HIP_vector_typeIjLj2EENS0_17counting_iteratorIjlEEPS9_SG_NS0_5tupleIJPjSI_NS0_16reverse_iteratorISI_EEEEENSH_IJSG_SG_SG_EEES9_SI_JZNS1_25segmented_radix_sort_implINS0_14default_configELb0EPK6__halfPSP_PKlPlN2at6native12_GLOBAL__N_18offset_tEEE10hipError_tPvRmT1_PNSt15iterator_traitsIS13_E10value_typeET2_T3_PNS14_IS19_E10value_typeET4_jRbjT5_S1F_jjP12ihipStream_tbEUljE_ZNSN_ISO_Lb0ESR_SS_SU_SV_SZ_EES10_S11_S12_S13_S17_S18_S19_S1C_S1D_jS1E_jS1F_S1F_jjS1H_bEUljE0_EEES10_S11_S12_S19_S1D_S1F_T6_T7_T9_mT8_S1H_bDpT10_ENKUlT_T0_E_clISt17integral_constantIbLb1EES1U_IbLb0EEEEDaS1Q_S1R_EUlS1Q_E_NS1_11comp_targetILNS1_3genE5ELNS1_11target_archE942ELNS1_3gpuE9ELNS1_3repE0EEENS1_30default_config_static_selectorELNS0_4arch9wavefront6targetE0EEEvS13_
	.p2align	8
	.type	_ZN7rocprim17ROCPRIM_400000_NS6detail17trampoline_kernelINS0_13select_configILj256ELj13ELNS0_17block_load_methodE3ELS4_3ELS4_3ELNS0_20block_scan_algorithmE0ELj4294967295EEENS1_25partition_config_selectorILNS1_17partition_subalgoE4EjNS0_10empty_typeEbEEZZNS1_14partition_implILS8_4ELb0ES6_15HIP_vector_typeIjLj2EENS0_17counting_iteratorIjlEEPS9_SG_NS0_5tupleIJPjSI_NS0_16reverse_iteratorISI_EEEEENSH_IJSG_SG_SG_EEES9_SI_JZNS1_25segmented_radix_sort_implINS0_14default_configELb0EPK6__halfPSP_PKlPlN2at6native12_GLOBAL__N_18offset_tEEE10hipError_tPvRmT1_PNSt15iterator_traitsIS13_E10value_typeET2_T3_PNS14_IS19_E10value_typeET4_jRbjT5_S1F_jjP12ihipStream_tbEUljE_ZNSN_ISO_Lb0ESR_SS_SU_SV_SZ_EES10_S11_S12_S13_S17_S18_S19_S1C_S1D_jS1E_jS1F_S1F_jjS1H_bEUljE0_EEES10_S11_S12_S19_S1D_S1F_T6_T7_T9_mT8_S1H_bDpT10_ENKUlT_T0_E_clISt17integral_constantIbLb1EES1U_IbLb0EEEEDaS1Q_S1R_EUlS1Q_E_NS1_11comp_targetILNS1_3genE5ELNS1_11target_archE942ELNS1_3gpuE9ELNS1_3repE0EEENS1_30default_config_static_selectorELNS0_4arch9wavefront6targetE0EEEvS13_,@function
_ZN7rocprim17ROCPRIM_400000_NS6detail17trampoline_kernelINS0_13select_configILj256ELj13ELNS0_17block_load_methodE3ELS4_3ELS4_3ELNS0_20block_scan_algorithmE0ELj4294967295EEENS1_25partition_config_selectorILNS1_17partition_subalgoE4EjNS0_10empty_typeEbEEZZNS1_14partition_implILS8_4ELb0ES6_15HIP_vector_typeIjLj2EENS0_17counting_iteratorIjlEEPS9_SG_NS0_5tupleIJPjSI_NS0_16reverse_iteratorISI_EEEEENSH_IJSG_SG_SG_EEES9_SI_JZNS1_25segmented_radix_sort_implINS0_14default_configELb0EPK6__halfPSP_PKlPlN2at6native12_GLOBAL__N_18offset_tEEE10hipError_tPvRmT1_PNSt15iterator_traitsIS13_E10value_typeET2_T3_PNS14_IS19_E10value_typeET4_jRbjT5_S1F_jjP12ihipStream_tbEUljE_ZNSN_ISO_Lb0ESR_SS_SU_SV_SZ_EES10_S11_S12_S13_S17_S18_S19_S1C_S1D_jS1E_jS1F_S1F_jjS1H_bEUljE0_EEES10_S11_S12_S19_S1D_S1F_T6_T7_T9_mT8_S1H_bDpT10_ENKUlT_T0_E_clISt17integral_constantIbLb1EES1U_IbLb0EEEEDaS1Q_S1R_EUlS1Q_E_NS1_11comp_targetILNS1_3genE5ELNS1_11target_archE942ELNS1_3gpuE9ELNS1_3repE0EEENS1_30default_config_static_selectorELNS0_4arch9wavefront6targetE0EEEvS13_: ; @_ZN7rocprim17ROCPRIM_400000_NS6detail17trampoline_kernelINS0_13select_configILj256ELj13ELNS0_17block_load_methodE3ELS4_3ELS4_3ELNS0_20block_scan_algorithmE0ELj4294967295EEENS1_25partition_config_selectorILNS1_17partition_subalgoE4EjNS0_10empty_typeEbEEZZNS1_14partition_implILS8_4ELb0ES6_15HIP_vector_typeIjLj2EENS0_17counting_iteratorIjlEEPS9_SG_NS0_5tupleIJPjSI_NS0_16reverse_iteratorISI_EEEEENSH_IJSG_SG_SG_EEES9_SI_JZNS1_25segmented_radix_sort_implINS0_14default_configELb0EPK6__halfPSP_PKlPlN2at6native12_GLOBAL__N_18offset_tEEE10hipError_tPvRmT1_PNSt15iterator_traitsIS13_E10value_typeET2_T3_PNS14_IS19_E10value_typeET4_jRbjT5_S1F_jjP12ihipStream_tbEUljE_ZNSN_ISO_Lb0ESR_SS_SU_SV_SZ_EES10_S11_S12_S13_S17_S18_S19_S1C_S1D_jS1E_jS1F_S1F_jjS1H_bEUljE0_EEES10_S11_S12_S19_S1D_S1F_T6_T7_T9_mT8_S1H_bDpT10_ENKUlT_T0_E_clISt17integral_constantIbLb1EES1U_IbLb0EEEEDaS1Q_S1R_EUlS1Q_E_NS1_11comp_targetILNS1_3genE5ELNS1_11target_archE942ELNS1_3gpuE9ELNS1_3repE0EEENS1_30default_config_static_selectorELNS0_4arch9wavefront6targetE0EEEvS13_
; %bb.0:
	.section	.rodata,"a",@progbits
	.p2align	6, 0x0
	.amdhsa_kernel _ZN7rocprim17ROCPRIM_400000_NS6detail17trampoline_kernelINS0_13select_configILj256ELj13ELNS0_17block_load_methodE3ELS4_3ELS4_3ELNS0_20block_scan_algorithmE0ELj4294967295EEENS1_25partition_config_selectorILNS1_17partition_subalgoE4EjNS0_10empty_typeEbEEZZNS1_14partition_implILS8_4ELb0ES6_15HIP_vector_typeIjLj2EENS0_17counting_iteratorIjlEEPS9_SG_NS0_5tupleIJPjSI_NS0_16reverse_iteratorISI_EEEEENSH_IJSG_SG_SG_EEES9_SI_JZNS1_25segmented_radix_sort_implINS0_14default_configELb0EPK6__halfPSP_PKlPlN2at6native12_GLOBAL__N_18offset_tEEE10hipError_tPvRmT1_PNSt15iterator_traitsIS13_E10value_typeET2_T3_PNS14_IS19_E10value_typeET4_jRbjT5_S1F_jjP12ihipStream_tbEUljE_ZNSN_ISO_Lb0ESR_SS_SU_SV_SZ_EES10_S11_S12_S13_S17_S18_S19_S1C_S1D_jS1E_jS1F_S1F_jjS1H_bEUljE0_EEES10_S11_S12_S19_S1D_S1F_T6_T7_T9_mT8_S1H_bDpT10_ENKUlT_T0_E_clISt17integral_constantIbLb1EES1U_IbLb0EEEEDaS1Q_S1R_EUlS1Q_E_NS1_11comp_targetILNS1_3genE5ELNS1_11target_archE942ELNS1_3gpuE9ELNS1_3repE0EEENS1_30default_config_static_selectorELNS0_4arch9wavefront6targetE0EEEvS13_
		.amdhsa_group_segment_fixed_size 0
		.amdhsa_private_segment_fixed_size 0
		.amdhsa_kernarg_size 176
		.amdhsa_user_sgpr_count 15
		.amdhsa_user_sgpr_dispatch_ptr 0
		.amdhsa_user_sgpr_queue_ptr 0
		.amdhsa_user_sgpr_kernarg_segment_ptr 1
		.amdhsa_user_sgpr_dispatch_id 0
		.amdhsa_user_sgpr_private_segment_size 0
		.amdhsa_wavefront_size32 1
		.amdhsa_uses_dynamic_stack 0
		.amdhsa_enable_private_segment 0
		.amdhsa_system_sgpr_workgroup_id_x 1
		.amdhsa_system_sgpr_workgroup_id_y 0
		.amdhsa_system_sgpr_workgroup_id_z 0
		.amdhsa_system_sgpr_workgroup_info 0
		.amdhsa_system_vgpr_workitem_id 0
		.amdhsa_next_free_vgpr 1
		.amdhsa_next_free_sgpr 1
		.amdhsa_reserve_vcc 0
		.amdhsa_float_round_mode_32 0
		.amdhsa_float_round_mode_16_64 0
		.amdhsa_float_denorm_mode_32 3
		.amdhsa_float_denorm_mode_16_64 3
		.amdhsa_dx10_clamp 1
		.amdhsa_ieee_mode 1
		.amdhsa_fp16_overflow 0
		.amdhsa_workgroup_processor_mode 1
		.amdhsa_memory_ordered 1
		.amdhsa_forward_progress 0
		.amdhsa_shared_vgpr_count 0
		.amdhsa_exception_fp_ieee_invalid_op 0
		.amdhsa_exception_fp_denorm_src 0
		.amdhsa_exception_fp_ieee_div_zero 0
		.amdhsa_exception_fp_ieee_overflow 0
		.amdhsa_exception_fp_ieee_underflow 0
		.amdhsa_exception_fp_ieee_inexact 0
		.amdhsa_exception_int_div_zero 0
	.end_amdhsa_kernel
	.section	.text._ZN7rocprim17ROCPRIM_400000_NS6detail17trampoline_kernelINS0_13select_configILj256ELj13ELNS0_17block_load_methodE3ELS4_3ELS4_3ELNS0_20block_scan_algorithmE0ELj4294967295EEENS1_25partition_config_selectorILNS1_17partition_subalgoE4EjNS0_10empty_typeEbEEZZNS1_14partition_implILS8_4ELb0ES6_15HIP_vector_typeIjLj2EENS0_17counting_iteratorIjlEEPS9_SG_NS0_5tupleIJPjSI_NS0_16reverse_iteratorISI_EEEEENSH_IJSG_SG_SG_EEES9_SI_JZNS1_25segmented_radix_sort_implINS0_14default_configELb0EPK6__halfPSP_PKlPlN2at6native12_GLOBAL__N_18offset_tEEE10hipError_tPvRmT1_PNSt15iterator_traitsIS13_E10value_typeET2_T3_PNS14_IS19_E10value_typeET4_jRbjT5_S1F_jjP12ihipStream_tbEUljE_ZNSN_ISO_Lb0ESR_SS_SU_SV_SZ_EES10_S11_S12_S13_S17_S18_S19_S1C_S1D_jS1E_jS1F_S1F_jjS1H_bEUljE0_EEES10_S11_S12_S19_S1D_S1F_T6_T7_T9_mT8_S1H_bDpT10_ENKUlT_T0_E_clISt17integral_constantIbLb1EES1U_IbLb0EEEEDaS1Q_S1R_EUlS1Q_E_NS1_11comp_targetILNS1_3genE5ELNS1_11target_archE942ELNS1_3gpuE9ELNS1_3repE0EEENS1_30default_config_static_selectorELNS0_4arch9wavefront6targetE0EEEvS13_,"axG",@progbits,_ZN7rocprim17ROCPRIM_400000_NS6detail17trampoline_kernelINS0_13select_configILj256ELj13ELNS0_17block_load_methodE3ELS4_3ELS4_3ELNS0_20block_scan_algorithmE0ELj4294967295EEENS1_25partition_config_selectorILNS1_17partition_subalgoE4EjNS0_10empty_typeEbEEZZNS1_14partition_implILS8_4ELb0ES6_15HIP_vector_typeIjLj2EENS0_17counting_iteratorIjlEEPS9_SG_NS0_5tupleIJPjSI_NS0_16reverse_iteratorISI_EEEEENSH_IJSG_SG_SG_EEES9_SI_JZNS1_25segmented_radix_sort_implINS0_14default_configELb0EPK6__halfPSP_PKlPlN2at6native12_GLOBAL__N_18offset_tEEE10hipError_tPvRmT1_PNSt15iterator_traitsIS13_E10value_typeET2_T3_PNS14_IS19_E10value_typeET4_jRbjT5_S1F_jjP12ihipStream_tbEUljE_ZNSN_ISO_Lb0ESR_SS_SU_SV_SZ_EES10_S11_S12_S13_S17_S18_S19_S1C_S1D_jS1E_jS1F_S1F_jjS1H_bEUljE0_EEES10_S11_S12_S19_S1D_S1F_T6_T7_T9_mT8_S1H_bDpT10_ENKUlT_T0_E_clISt17integral_constantIbLb1EES1U_IbLb0EEEEDaS1Q_S1R_EUlS1Q_E_NS1_11comp_targetILNS1_3genE5ELNS1_11target_archE942ELNS1_3gpuE9ELNS1_3repE0EEENS1_30default_config_static_selectorELNS0_4arch9wavefront6targetE0EEEvS13_,comdat
.Lfunc_end1795:
	.size	_ZN7rocprim17ROCPRIM_400000_NS6detail17trampoline_kernelINS0_13select_configILj256ELj13ELNS0_17block_load_methodE3ELS4_3ELS4_3ELNS0_20block_scan_algorithmE0ELj4294967295EEENS1_25partition_config_selectorILNS1_17partition_subalgoE4EjNS0_10empty_typeEbEEZZNS1_14partition_implILS8_4ELb0ES6_15HIP_vector_typeIjLj2EENS0_17counting_iteratorIjlEEPS9_SG_NS0_5tupleIJPjSI_NS0_16reverse_iteratorISI_EEEEENSH_IJSG_SG_SG_EEES9_SI_JZNS1_25segmented_radix_sort_implINS0_14default_configELb0EPK6__halfPSP_PKlPlN2at6native12_GLOBAL__N_18offset_tEEE10hipError_tPvRmT1_PNSt15iterator_traitsIS13_E10value_typeET2_T3_PNS14_IS19_E10value_typeET4_jRbjT5_S1F_jjP12ihipStream_tbEUljE_ZNSN_ISO_Lb0ESR_SS_SU_SV_SZ_EES10_S11_S12_S13_S17_S18_S19_S1C_S1D_jS1E_jS1F_S1F_jjS1H_bEUljE0_EEES10_S11_S12_S19_S1D_S1F_T6_T7_T9_mT8_S1H_bDpT10_ENKUlT_T0_E_clISt17integral_constantIbLb1EES1U_IbLb0EEEEDaS1Q_S1R_EUlS1Q_E_NS1_11comp_targetILNS1_3genE5ELNS1_11target_archE942ELNS1_3gpuE9ELNS1_3repE0EEENS1_30default_config_static_selectorELNS0_4arch9wavefront6targetE0EEEvS13_, .Lfunc_end1795-_ZN7rocprim17ROCPRIM_400000_NS6detail17trampoline_kernelINS0_13select_configILj256ELj13ELNS0_17block_load_methodE3ELS4_3ELS4_3ELNS0_20block_scan_algorithmE0ELj4294967295EEENS1_25partition_config_selectorILNS1_17partition_subalgoE4EjNS0_10empty_typeEbEEZZNS1_14partition_implILS8_4ELb0ES6_15HIP_vector_typeIjLj2EENS0_17counting_iteratorIjlEEPS9_SG_NS0_5tupleIJPjSI_NS0_16reverse_iteratorISI_EEEEENSH_IJSG_SG_SG_EEES9_SI_JZNS1_25segmented_radix_sort_implINS0_14default_configELb0EPK6__halfPSP_PKlPlN2at6native12_GLOBAL__N_18offset_tEEE10hipError_tPvRmT1_PNSt15iterator_traitsIS13_E10value_typeET2_T3_PNS14_IS19_E10value_typeET4_jRbjT5_S1F_jjP12ihipStream_tbEUljE_ZNSN_ISO_Lb0ESR_SS_SU_SV_SZ_EES10_S11_S12_S13_S17_S18_S19_S1C_S1D_jS1E_jS1F_S1F_jjS1H_bEUljE0_EEES10_S11_S12_S19_S1D_S1F_T6_T7_T9_mT8_S1H_bDpT10_ENKUlT_T0_E_clISt17integral_constantIbLb1EES1U_IbLb0EEEEDaS1Q_S1R_EUlS1Q_E_NS1_11comp_targetILNS1_3genE5ELNS1_11target_archE942ELNS1_3gpuE9ELNS1_3repE0EEENS1_30default_config_static_selectorELNS0_4arch9wavefront6targetE0EEEvS13_
                                        ; -- End function
	.section	.AMDGPU.csdata,"",@progbits
; Kernel info:
; codeLenInByte = 0
; NumSgprs: 0
; NumVgprs: 0
; ScratchSize: 0
; MemoryBound: 0
; FloatMode: 240
; IeeeMode: 1
; LDSByteSize: 0 bytes/workgroup (compile time only)
; SGPRBlocks: 0
; VGPRBlocks: 0
; NumSGPRsForWavesPerEU: 1
; NumVGPRsForWavesPerEU: 1
; Occupancy: 16
; WaveLimiterHint : 0
; COMPUTE_PGM_RSRC2:SCRATCH_EN: 0
; COMPUTE_PGM_RSRC2:USER_SGPR: 15
; COMPUTE_PGM_RSRC2:TRAP_HANDLER: 0
; COMPUTE_PGM_RSRC2:TGID_X_EN: 1
; COMPUTE_PGM_RSRC2:TGID_Y_EN: 0
; COMPUTE_PGM_RSRC2:TGID_Z_EN: 0
; COMPUTE_PGM_RSRC2:TIDIG_COMP_CNT: 0
	.section	.text._ZN7rocprim17ROCPRIM_400000_NS6detail17trampoline_kernelINS0_13select_configILj256ELj13ELNS0_17block_load_methodE3ELS4_3ELS4_3ELNS0_20block_scan_algorithmE0ELj4294967295EEENS1_25partition_config_selectorILNS1_17partition_subalgoE4EjNS0_10empty_typeEbEEZZNS1_14partition_implILS8_4ELb0ES6_15HIP_vector_typeIjLj2EENS0_17counting_iteratorIjlEEPS9_SG_NS0_5tupleIJPjSI_NS0_16reverse_iteratorISI_EEEEENSH_IJSG_SG_SG_EEES9_SI_JZNS1_25segmented_radix_sort_implINS0_14default_configELb0EPK6__halfPSP_PKlPlN2at6native12_GLOBAL__N_18offset_tEEE10hipError_tPvRmT1_PNSt15iterator_traitsIS13_E10value_typeET2_T3_PNS14_IS19_E10value_typeET4_jRbjT5_S1F_jjP12ihipStream_tbEUljE_ZNSN_ISO_Lb0ESR_SS_SU_SV_SZ_EES10_S11_S12_S13_S17_S18_S19_S1C_S1D_jS1E_jS1F_S1F_jjS1H_bEUljE0_EEES10_S11_S12_S19_S1D_S1F_T6_T7_T9_mT8_S1H_bDpT10_ENKUlT_T0_E_clISt17integral_constantIbLb1EES1U_IbLb0EEEEDaS1Q_S1R_EUlS1Q_E_NS1_11comp_targetILNS1_3genE4ELNS1_11target_archE910ELNS1_3gpuE8ELNS1_3repE0EEENS1_30default_config_static_selectorELNS0_4arch9wavefront6targetE0EEEvS13_,"axG",@progbits,_ZN7rocprim17ROCPRIM_400000_NS6detail17trampoline_kernelINS0_13select_configILj256ELj13ELNS0_17block_load_methodE3ELS4_3ELS4_3ELNS0_20block_scan_algorithmE0ELj4294967295EEENS1_25partition_config_selectorILNS1_17partition_subalgoE4EjNS0_10empty_typeEbEEZZNS1_14partition_implILS8_4ELb0ES6_15HIP_vector_typeIjLj2EENS0_17counting_iteratorIjlEEPS9_SG_NS0_5tupleIJPjSI_NS0_16reverse_iteratorISI_EEEEENSH_IJSG_SG_SG_EEES9_SI_JZNS1_25segmented_radix_sort_implINS0_14default_configELb0EPK6__halfPSP_PKlPlN2at6native12_GLOBAL__N_18offset_tEEE10hipError_tPvRmT1_PNSt15iterator_traitsIS13_E10value_typeET2_T3_PNS14_IS19_E10value_typeET4_jRbjT5_S1F_jjP12ihipStream_tbEUljE_ZNSN_ISO_Lb0ESR_SS_SU_SV_SZ_EES10_S11_S12_S13_S17_S18_S19_S1C_S1D_jS1E_jS1F_S1F_jjS1H_bEUljE0_EEES10_S11_S12_S19_S1D_S1F_T6_T7_T9_mT8_S1H_bDpT10_ENKUlT_T0_E_clISt17integral_constantIbLb1EES1U_IbLb0EEEEDaS1Q_S1R_EUlS1Q_E_NS1_11comp_targetILNS1_3genE4ELNS1_11target_archE910ELNS1_3gpuE8ELNS1_3repE0EEENS1_30default_config_static_selectorELNS0_4arch9wavefront6targetE0EEEvS13_,comdat
	.globl	_ZN7rocprim17ROCPRIM_400000_NS6detail17trampoline_kernelINS0_13select_configILj256ELj13ELNS0_17block_load_methodE3ELS4_3ELS4_3ELNS0_20block_scan_algorithmE0ELj4294967295EEENS1_25partition_config_selectorILNS1_17partition_subalgoE4EjNS0_10empty_typeEbEEZZNS1_14partition_implILS8_4ELb0ES6_15HIP_vector_typeIjLj2EENS0_17counting_iteratorIjlEEPS9_SG_NS0_5tupleIJPjSI_NS0_16reverse_iteratorISI_EEEEENSH_IJSG_SG_SG_EEES9_SI_JZNS1_25segmented_radix_sort_implINS0_14default_configELb0EPK6__halfPSP_PKlPlN2at6native12_GLOBAL__N_18offset_tEEE10hipError_tPvRmT1_PNSt15iterator_traitsIS13_E10value_typeET2_T3_PNS14_IS19_E10value_typeET4_jRbjT5_S1F_jjP12ihipStream_tbEUljE_ZNSN_ISO_Lb0ESR_SS_SU_SV_SZ_EES10_S11_S12_S13_S17_S18_S19_S1C_S1D_jS1E_jS1F_S1F_jjS1H_bEUljE0_EEES10_S11_S12_S19_S1D_S1F_T6_T7_T9_mT8_S1H_bDpT10_ENKUlT_T0_E_clISt17integral_constantIbLb1EES1U_IbLb0EEEEDaS1Q_S1R_EUlS1Q_E_NS1_11comp_targetILNS1_3genE4ELNS1_11target_archE910ELNS1_3gpuE8ELNS1_3repE0EEENS1_30default_config_static_selectorELNS0_4arch9wavefront6targetE0EEEvS13_ ; -- Begin function _ZN7rocprim17ROCPRIM_400000_NS6detail17trampoline_kernelINS0_13select_configILj256ELj13ELNS0_17block_load_methodE3ELS4_3ELS4_3ELNS0_20block_scan_algorithmE0ELj4294967295EEENS1_25partition_config_selectorILNS1_17partition_subalgoE4EjNS0_10empty_typeEbEEZZNS1_14partition_implILS8_4ELb0ES6_15HIP_vector_typeIjLj2EENS0_17counting_iteratorIjlEEPS9_SG_NS0_5tupleIJPjSI_NS0_16reverse_iteratorISI_EEEEENSH_IJSG_SG_SG_EEES9_SI_JZNS1_25segmented_radix_sort_implINS0_14default_configELb0EPK6__halfPSP_PKlPlN2at6native12_GLOBAL__N_18offset_tEEE10hipError_tPvRmT1_PNSt15iterator_traitsIS13_E10value_typeET2_T3_PNS14_IS19_E10value_typeET4_jRbjT5_S1F_jjP12ihipStream_tbEUljE_ZNSN_ISO_Lb0ESR_SS_SU_SV_SZ_EES10_S11_S12_S13_S17_S18_S19_S1C_S1D_jS1E_jS1F_S1F_jjS1H_bEUljE0_EEES10_S11_S12_S19_S1D_S1F_T6_T7_T9_mT8_S1H_bDpT10_ENKUlT_T0_E_clISt17integral_constantIbLb1EES1U_IbLb0EEEEDaS1Q_S1R_EUlS1Q_E_NS1_11comp_targetILNS1_3genE4ELNS1_11target_archE910ELNS1_3gpuE8ELNS1_3repE0EEENS1_30default_config_static_selectorELNS0_4arch9wavefront6targetE0EEEvS13_
	.p2align	8
	.type	_ZN7rocprim17ROCPRIM_400000_NS6detail17trampoline_kernelINS0_13select_configILj256ELj13ELNS0_17block_load_methodE3ELS4_3ELS4_3ELNS0_20block_scan_algorithmE0ELj4294967295EEENS1_25partition_config_selectorILNS1_17partition_subalgoE4EjNS0_10empty_typeEbEEZZNS1_14partition_implILS8_4ELb0ES6_15HIP_vector_typeIjLj2EENS0_17counting_iteratorIjlEEPS9_SG_NS0_5tupleIJPjSI_NS0_16reverse_iteratorISI_EEEEENSH_IJSG_SG_SG_EEES9_SI_JZNS1_25segmented_radix_sort_implINS0_14default_configELb0EPK6__halfPSP_PKlPlN2at6native12_GLOBAL__N_18offset_tEEE10hipError_tPvRmT1_PNSt15iterator_traitsIS13_E10value_typeET2_T3_PNS14_IS19_E10value_typeET4_jRbjT5_S1F_jjP12ihipStream_tbEUljE_ZNSN_ISO_Lb0ESR_SS_SU_SV_SZ_EES10_S11_S12_S13_S17_S18_S19_S1C_S1D_jS1E_jS1F_S1F_jjS1H_bEUljE0_EEES10_S11_S12_S19_S1D_S1F_T6_T7_T9_mT8_S1H_bDpT10_ENKUlT_T0_E_clISt17integral_constantIbLb1EES1U_IbLb0EEEEDaS1Q_S1R_EUlS1Q_E_NS1_11comp_targetILNS1_3genE4ELNS1_11target_archE910ELNS1_3gpuE8ELNS1_3repE0EEENS1_30default_config_static_selectorELNS0_4arch9wavefront6targetE0EEEvS13_,@function
_ZN7rocprim17ROCPRIM_400000_NS6detail17trampoline_kernelINS0_13select_configILj256ELj13ELNS0_17block_load_methodE3ELS4_3ELS4_3ELNS0_20block_scan_algorithmE0ELj4294967295EEENS1_25partition_config_selectorILNS1_17partition_subalgoE4EjNS0_10empty_typeEbEEZZNS1_14partition_implILS8_4ELb0ES6_15HIP_vector_typeIjLj2EENS0_17counting_iteratorIjlEEPS9_SG_NS0_5tupleIJPjSI_NS0_16reverse_iteratorISI_EEEEENSH_IJSG_SG_SG_EEES9_SI_JZNS1_25segmented_radix_sort_implINS0_14default_configELb0EPK6__halfPSP_PKlPlN2at6native12_GLOBAL__N_18offset_tEEE10hipError_tPvRmT1_PNSt15iterator_traitsIS13_E10value_typeET2_T3_PNS14_IS19_E10value_typeET4_jRbjT5_S1F_jjP12ihipStream_tbEUljE_ZNSN_ISO_Lb0ESR_SS_SU_SV_SZ_EES10_S11_S12_S13_S17_S18_S19_S1C_S1D_jS1E_jS1F_S1F_jjS1H_bEUljE0_EEES10_S11_S12_S19_S1D_S1F_T6_T7_T9_mT8_S1H_bDpT10_ENKUlT_T0_E_clISt17integral_constantIbLb1EES1U_IbLb0EEEEDaS1Q_S1R_EUlS1Q_E_NS1_11comp_targetILNS1_3genE4ELNS1_11target_archE910ELNS1_3gpuE8ELNS1_3repE0EEENS1_30default_config_static_selectorELNS0_4arch9wavefront6targetE0EEEvS13_: ; @_ZN7rocprim17ROCPRIM_400000_NS6detail17trampoline_kernelINS0_13select_configILj256ELj13ELNS0_17block_load_methodE3ELS4_3ELS4_3ELNS0_20block_scan_algorithmE0ELj4294967295EEENS1_25partition_config_selectorILNS1_17partition_subalgoE4EjNS0_10empty_typeEbEEZZNS1_14partition_implILS8_4ELb0ES6_15HIP_vector_typeIjLj2EENS0_17counting_iteratorIjlEEPS9_SG_NS0_5tupleIJPjSI_NS0_16reverse_iteratorISI_EEEEENSH_IJSG_SG_SG_EEES9_SI_JZNS1_25segmented_radix_sort_implINS0_14default_configELb0EPK6__halfPSP_PKlPlN2at6native12_GLOBAL__N_18offset_tEEE10hipError_tPvRmT1_PNSt15iterator_traitsIS13_E10value_typeET2_T3_PNS14_IS19_E10value_typeET4_jRbjT5_S1F_jjP12ihipStream_tbEUljE_ZNSN_ISO_Lb0ESR_SS_SU_SV_SZ_EES10_S11_S12_S13_S17_S18_S19_S1C_S1D_jS1E_jS1F_S1F_jjS1H_bEUljE0_EEES10_S11_S12_S19_S1D_S1F_T6_T7_T9_mT8_S1H_bDpT10_ENKUlT_T0_E_clISt17integral_constantIbLb1EES1U_IbLb0EEEEDaS1Q_S1R_EUlS1Q_E_NS1_11comp_targetILNS1_3genE4ELNS1_11target_archE910ELNS1_3gpuE8ELNS1_3repE0EEENS1_30default_config_static_selectorELNS0_4arch9wavefront6targetE0EEEvS13_
; %bb.0:
	.section	.rodata,"a",@progbits
	.p2align	6, 0x0
	.amdhsa_kernel _ZN7rocprim17ROCPRIM_400000_NS6detail17trampoline_kernelINS0_13select_configILj256ELj13ELNS0_17block_load_methodE3ELS4_3ELS4_3ELNS0_20block_scan_algorithmE0ELj4294967295EEENS1_25partition_config_selectorILNS1_17partition_subalgoE4EjNS0_10empty_typeEbEEZZNS1_14partition_implILS8_4ELb0ES6_15HIP_vector_typeIjLj2EENS0_17counting_iteratorIjlEEPS9_SG_NS0_5tupleIJPjSI_NS0_16reverse_iteratorISI_EEEEENSH_IJSG_SG_SG_EEES9_SI_JZNS1_25segmented_radix_sort_implINS0_14default_configELb0EPK6__halfPSP_PKlPlN2at6native12_GLOBAL__N_18offset_tEEE10hipError_tPvRmT1_PNSt15iterator_traitsIS13_E10value_typeET2_T3_PNS14_IS19_E10value_typeET4_jRbjT5_S1F_jjP12ihipStream_tbEUljE_ZNSN_ISO_Lb0ESR_SS_SU_SV_SZ_EES10_S11_S12_S13_S17_S18_S19_S1C_S1D_jS1E_jS1F_S1F_jjS1H_bEUljE0_EEES10_S11_S12_S19_S1D_S1F_T6_T7_T9_mT8_S1H_bDpT10_ENKUlT_T0_E_clISt17integral_constantIbLb1EES1U_IbLb0EEEEDaS1Q_S1R_EUlS1Q_E_NS1_11comp_targetILNS1_3genE4ELNS1_11target_archE910ELNS1_3gpuE8ELNS1_3repE0EEENS1_30default_config_static_selectorELNS0_4arch9wavefront6targetE0EEEvS13_
		.amdhsa_group_segment_fixed_size 0
		.amdhsa_private_segment_fixed_size 0
		.amdhsa_kernarg_size 176
		.amdhsa_user_sgpr_count 15
		.amdhsa_user_sgpr_dispatch_ptr 0
		.amdhsa_user_sgpr_queue_ptr 0
		.amdhsa_user_sgpr_kernarg_segment_ptr 1
		.amdhsa_user_sgpr_dispatch_id 0
		.amdhsa_user_sgpr_private_segment_size 0
		.amdhsa_wavefront_size32 1
		.amdhsa_uses_dynamic_stack 0
		.amdhsa_enable_private_segment 0
		.amdhsa_system_sgpr_workgroup_id_x 1
		.amdhsa_system_sgpr_workgroup_id_y 0
		.amdhsa_system_sgpr_workgroup_id_z 0
		.amdhsa_system_sgpr_workgroup_info 0
		.amdhsa_system_vgpr_workitem_id 0
		.amdhsa_next_free_vgpr 1
		.amdhsa_next_free_sgpr 1
		.amdhsa_reserve_vcc 0
		.amdhsa_float_round_mode_32 0
		.amdhsa_float_round_mode_16_64 0
		.amdhsa_float_denorm_mode_32 3
		.amdhsa_float_denorm_mode_16_64 3
		.amdhsa_dx10_clamp 1
		.amdhsa_ieee_mode 1
		.amdhsa_fp16_overflow 0
		.amdhsa_workgroup_processor_mode 1
		.amdhsa_memory_ordered 1
		.amdhsa_forward_progress 0
		.amdhsa_shared_vgpr_count 0
		.amdhsa_exception_fp_ieee_invalid_op 0
		.amdhsa_exception_fp_denorm_src 0
		.amdhsa_exception_fp_ieee_div_zero 0
		.amdhsa_exception_fp_ieee_overflow 0
		.amdhsa_exception_fp_ieee_underflow 0
		.amdhsa_exception_fp_ieee_inexact 0
		.amdhsa_exception_int_div_zero 0
	.end_amdhsa_kernel
	.section	.text._ZN7rocprim17ROCPRIM_400000_NS6detail17trampoline_kernelINS0_13select_configILj256ELj13ELNS0_17block_load_methodE3ELS4_3ELS4_3ELNS0_20block_scan_algorithmE0ELj4294967295EEENS1_25partition_config_selectorILNS1_17partition_subalgoE4EjNS0_10empty_typeEbEEZZNS1_14partition_implILS8_4ELb0ES6_15HIP_vector_typeIjLj2EENS0_17counting_iteratorIjlEEPS9_SG_NS0_5tupleIJPjSI_NS0_16reverse_iteratorISI_EEEEENSH_IJSG_SG_SG_EEES9_SI_JZNS1_25segmented_radix_sort_implINS0_14default_configELb0EPK6__halfPSP_PKlPlN2at6native12_GLOBAL__N_18offset_tEEE10hipError_tPvRmT1_PNSt15iterator_traitsIS13_E10value_typeET2_T3_PNS14_IS19_E10value_typeET4_jRbjT5_S1F_jjP12ihipStream_tbEUljE_ZNSN_ISO_Lb0ESR_SS_SU_SV_SZ_EES10_S11_S12_S13_S17_S18_S19_S1C_S1D_jS1E_jS1F_S1F_jjS1H_bEUljE0_EEES10_S11_S12_S19_S1D_S1F_T6_T7_T9_mT8_S1H_bDpT10_ENKUlT_T0_E_clISt17integral_constantIbLb1EES1U_IbLb0EEEEDaS1Q_S1R_EUlS1Q_E_NS1_11comp_targetILNS1_3genE4ELNS1_11target_archE910ELNS1_3gpuE8ELNS1_3repE0EEENS1_30default_config_static_selectorELNS0_4arch9wavefront6targetE0EEEvS13_,"axG",@progbits,_ZN7rocprim17ROCPRIM_400000_NS6detail17trampoline_kernelINS0_13select_configILj256ELj13ELNS0_17block_load_methodE3ELS4_3ELS4_3ELNS0_20block_scan_algorithmE0ELj4294967295EEENS1_25partition_config_selectorILNS1_17partition_subalgoE4EjNS0_10empty_typeEbEEZZNS1_14partition_implILS8_4ELb0ES6_15HIP_vector_typeIjLj2EENS0_17counting_iteratorIjlEEPS9_SG_NS0_5tupleIJPjSI_NS0_16reverse_iteratorISI_EEEEENSH_IJSG_SG_SG_EEES9_SI_JZNS1_25segmented_radix_sort_implINS0_14default_configELb0EPK6__halfPSP_PKlPlN2at6native12_GLOBAL__N_18offset_tEEE10hipError_tPvRmT1_PNSt15iterator_traitsIS13_E10value_typeET2_T3_PNS14_IS19_E10value_typeET4_jRbjT5_S1F_jjP12ihipStream_tbEUljE_ZNSN_ISO_Lb0ESR_SS_SU_SV_SZ_EES10_S11_S12_S13_S17_S18_S19_S1C_S1D_jS1E_jS1F_S1F_jjS1H_bEUljE0_EEES10_S11_S12_S19_S1D_S1F_T6_T7_T9_mT8_S1H_bDpT10_ENKUlT_T0_E_clISt17integral_constantIbLb1EES1U_IbLb0EEEEDaS1Q_S1R_EUlS1Q_E_NS1_11comp_targetILNS1_3genE4ELNS1_11target_archE910ELNS1_3gpuE8ELNS1_3repE0EEENS1_30default_config_static_selectorELNS0_4arch9wavefront6targetE0EEEvS13_,comdat
.Lfunc_end1796:
	.size	_ZN7rocprim17ROCPRIM_400000_NS6detail17trampoline_kernelINS0_13select_configILj256ELj13ELNS0_17block_load_methodE3ELS4_3ELS4_3ELNS0_20block_scan_algorithmE0ELj4294967295EEENS1_25partition_config_selectorILNS1_17partition_subalgoE4EjNS0_10empty_typeEbEEZZNS1_14partition_implILS8_4ELb0ES6_15HIP_vector_typeIjLj2EENS0_17counting_iteratorIjlEEPS9_SG_NS0_5tupleIJPjSI_NS0_16reverse_iteratorISI_EEEEENSH_IJSG_SG_SG_EEES9_SI_JZNS1_25segmented_radix_sort_implINS0_14default_configELb0EPK6__halfPSP_PKlPlN2at6native12_GLOBAL__N_18offset_tEEE10hipError_tPvRmT1_PNSt15iterator_traitsIS13_E10value_typeET2_T3_PNS14_IS19_E10value_typeET4_jRbjT5_S1F_jjP12ihipStream_tbEUljE_ZNSN_ISO_Lb0ESR_SS_SU_SV_SZ_EES10_S11_S12_S13_S17_S18_S19_S1C_S1D_jS1E_jS1F_S1F_jjS1H_bEUljE0_EEES10_S11_S12_S19_S1D_S1F_T6_T7_T9_mT8_S1H_bDpT10_ENKUlT_T0_E_clISt17integral_constantIbLb1EES1U_IbLb0EEEEDaS1Q_S1R_EUlS1Q_E_NS1_11comp_targetILNS1_3genE4ELNS1_11target_archE910ELNS1_3gpuE8ELNS1_3repE0EEENS1_30default_config_static_selectorELNS0_4arch9wavefront6targetE0EEEvS13_, .Lfunc_end1796-_ZN7rocprim17ROCPRIM_400000_NS6detail17trampoline_kernelINS0_13select_configILj256ELj13ELNS0_17block_load_methodE3ELS4_3ELS4_3ELNS0_20block_scan_algorithmE0ELj4294967295EEENS1_25partition_config_selectorILNS1_17partition_subalgoE4EjNS0_10empty_typeEbEEZZNS1_14partition_implILS8_4ELb0ES6_15HIP_vector_typeIjLj2EENS0_17counting_iteratorIjlEEPS9_SG_NS0_5tupleIJPjSI_NS0_16reverse_iteratorISI_EEEEENSH_IJSG_SG_SG_EEES9_SI_JZNS1_25segmented_radix_sort_implINS0_14default_configELb0EPK6__halfPSP_PKlPlN2at6native12_GLOBAL__N_18offset_tEEE10hipError_tPvRmT1_PNSt15iterator_traitsIS13_E10value_typeET2_T3_PNS14_IS19_E10value_typeET4_jRbjT5_S1F_jjP12ihipStream_tbEUljE_ZNSN_ISO_Lb0ESR_SS_SU_SV_SZ_EES10_S11_S12_S13_S17_S18_S19_S1C_S1D_jS1E_jS1F_S1F_jjS1H_bEUljE0_EEES10_S11_S12_S19_S1D_S1F_T6_T7_T9_mT8_S1H_bDpT10_ENKUlT_T0_E_clISt17integral_constantIbLb1EES1U_IbLb0EEEEDaS1Q_S1R_EUlS1Q_E_NS1_11comp_targetILNS1_3genE4ELNS1_11target_archE910ELNS1_3gpuE8ELNS1_3repE0EEENS1_30default_config_static_selectorELNS0_4arch9wavefront6targetE0EEEvS13_
                                        ; -- End function
	.section	.AMDGPU.csdata,"",@progbits
; Kernel info:
; codeLenInByte = 0
; NumSgprs: 0
; NumVgprs: 0
; ScratchSize: 0
; MemoryBound: 0
; FloatMode: 240
; IeeeMode: 1
; LDSByteSize: 0 bytes/workgroup (compile time only)
; SGPRBlocks: 0
; VGPRBlocks: 0
; NumSGPRsForWavesPerEU: 1
; NumVGPRsForWavesPerEU: 1
; Occupancy: 16
; WaveLimiterHint : 0
; COMPUTE_PGM_RSRC2:SCRATCH_EN: 0
; COMPUTE_PGM_RSRC2:USER_SGPR: 15
; COMPUTE_PGM_RSRC2:TRAP_HANDLER: 0
; COMPUTE_PGM_RSRC2:TGID_X_EN: 1
; COMPUTE_PGM_RSRC2:TGID_Y_EN: 0
; COMPUTE_PGM_RSRC2:TGID_Z_EN: 0
; COMPUTE_PGM_RSRC2:TIDIG_COMP_CNT: 0
	.section	.text._ZN7rocprim17ROCPRIM_400000_NS6detail17trampoline_kernelINS0_13select_configILj256ELj13ELNS0_17block_load_methodE3ELS4_3ELS4_3ELNS0_20block_scan_algorithmE0ELj4294967295EEENS1_25partition_config_selectorILNS1_17partition_subalgoE4EjNS0_10empty_typeEbEEZZNS1_14partition_implILS8_4ELb0ES6_15HIP_vector_typeIjLj2EENS0_17counting_iteratorIjlEEPS9_SG_NS0_5tupleIJPjSI_NS0_16reverse_iteratorISI_EEEEENSH_IJSG_SG_SG_EEES9_SI_JZNS1_25segmented_radix_sort_implINS0_14default_configELb0EPK6__halfPSP_PKlPlN2at6native12_GLOBAL__N_18offset_tEEE10hipError_tPvRmT1_PNSt15iterator_traitsIS13_E10value_typeET2_T3_PNS14_IS19_E10value_typeET4_jRbjT5_S1F_jjP12ihipStream_tbEUljE_ZNSN_ISO_Lb0ESR_SS_SU_SV_SZ_EES10_S11_S12_S13_S17_S18_S19_S1C_S1D_jS1E_jS1F_S1F_jjS1H_bEUljE0_EEES10_S11_S12_S19_S1D_S1F_T6_T7_T9_mT8_S1H_bDpT10_ENKUlT_T0_E_clISt17integral_constantIbLb1EES1U_IbLb0EEEEDaS1Q_S1R_EUlS1Q_E_NS1_11comp_targetILNS1_3genE3ELNS1_11target_archE908ELNS1_3gpuE7ELNS1_3repE0EEENS1_30default_config_static_selectorELNS0_4arch9wavefront6targetE0EEEvS13_,"axG",@progbits,_ZN7rocprim17ROCPRIM_400000_NS6detail17trampoline_kernelINS0_13select_configILj256ELj13ELNS0_17block_load_methodE3ELS4_3ELS4_3ELNS0_20block_scan_algorithmE0ELj4294967295EEENS1_25partition_config_selectorILNS1_17partition_subalgoE4EjNS0_10empty_typeEbEEZZNS1_14partition_implILS8_4ELb0ES6_15HIP_vector_typeIjLj2EENS0_17counting_iteratorIjlEEPS9_SG_NS0_5tupleIJPjSI_NS0_16reverse_iteratorISI_EEEEENSH_IJSG_SG_SG_EEES9_SI_JZNS1_25segmented_radix_sort_implINS0_14default_configELb0EPK6__halfPSP_PKlPlN2at6native12_GLOBAL__N_18offset_tEEE10hipError_tPvRmT1_PNSt15iterator_traitsIS13_E10value_typeET2_T3_PNS14_IS19_E10value_typeET4_jRbjT5_S1F_jjP12ihipStream_tbEUljE_ZNSN_ISO_Lb0ESR_SS_SU_SV_SZ_EES10_S11_S12_S13_S17_S18_S19_S1C_S1D_jS1E_jS1F_S1F_jjS1H_bEUljE0_EEES10_S11_S12_S19_S1D_S1F_T6_T7_T9_mT8_S1H_bDpT10_ENKUlT_T0_E_clISt17integral_constantIbLb1EES1U_IbLb0EEEEDaS1Q_S1R_EUlS1Q_E_NS1_11comp_targetILNS1_3genE3ELNS1_11target_archE908ELNS1_3gpuE7ELNS1_3repE0EEENS1_30default_config_static_selectorELNS0_4arch9wavefront6targetE0EEEvS13_,comdat
	.globl	_ZN7rocprim17ROCPRIM_400000_NS6detail17trampoline_kernelINS0_13select_configILj256ELj13ELNS0_17block_load_methodE3ELS4_3ELS4_3ELNS0_20block_scan_algorithmE0ELj4294967295EEENS1_25partition_config_selectorILNS1_17partition_subalgoE4EjNS0_10empty_typeEbEEZZNS1_14partition_implILS8_4ELb0ES6_15HIP_vector_typeIjLj2EENS0_17counting_iteratorIjlEEPS9_SG_NS0_5tupleIJPjSI_NS0_16reverse_iteratorISI_EEEEENSH_IJSG_SG_SG_EEES9_SI_JZNS1_25segmented_radix_sort_implINS0_14default_configELb0EPK6__halfPSP_PKlPlN2at6native12_GLOBAL__N_18offset_tEEE10hipError_tPvRmT1_PNSt15iterator_traitsIS13_E10value_typeET2_T3_PNS14_IS19_E10value_typeET4_jRbjT5_S1F_jjP12ihipStream_tbEUljE_ZNSN_ISO_Lb0ESR_SS_SU_SV_SZ_EES10_S11_S12_S13_S17_S18_S19_S1C_S1D_jS1E_jS1F_S1F_jjS1H_bEUljE0_EEES10_S11_S12_S19_S1D_S1F_T6_T7_T9_mT8_S1H_bDpT10_ENKUlT_T0_E_clISt17integral_constantIbLb1EES1U_IbLb0EEEEDaS1Q_S1R_EUlS1Q_E_NS1_11comp_targetILNS1_3genE3ELNS1_11target_archE908ELNS1_3gpuE7ELNS1_3repE0EEENS1_30default_config_static_selectorELNS0_4arch9wavefront6targetE0EEEvS13_ ; -- Begin function _ZN7rocprim17ROCPRIM_400000_NS6detail17trampoline_kernelINS0_13select_configILj256ELj13ELNS0_17block_load_methodE3ELS4_3ELS4_3ELNS0_20block_scan_algorithmE0ELj4294967295EEENS1_25partition_config_selectorILNS1_17partition_subalgoE4EjNS0_10empty_typeEbEEZZNS1_14partition_implILS8_4ELb0ES6_15HIP_vector_typeIjLj2EENS0_17counting_iteratorIjlEEPS9_SG_NS0_5tupleIJPjSI_NS0_16reverse_iteratorISI_EEEEENSH_IJSG_SG_SG_EEES9_SI_JZNS1_25segmented_radix_sort_implINS0_14default_configELb0EPK6__halfPSP_PKlPlN2at6native12_GLOBAL__N_18offset_tEEE10hipError_tPvRmT1_PNSt15iterator_traitsIS13_E10value_typeET2_T3_PNS14_IS19_E10value_typeET4_jRbjT5_S1F_jjP12ihipStream_tbEUljE_ZNSN_ISO_Lb0ESR_SS_SU_SV_SZ_EES10_S11_S12_S13_S17_S18_S19_S1C_S1D_jS1E_jS1F_S1F_jjS1H_bEUljE0_EEES10_S11_S12_S19_S1D_S1F_T6_T7_T9_mT8_S1H_bDpT10_ENKUlT_T0_E_clISt17integral_constantIbLb1EES1U_IbLb0EEEEDaS1Q_S1R_EUlS1Q_E_NS1_11comp_targetILNS1_3genE3ELNS1_11target_archE908ELNS1_3gpuE7ELNS1_3repE0EEENS1_30default_config_static_selectorELNS0_4arch9wavefront6targetE0EEEvS13_
	.p2align	8
	.type	_ZN7rocprim17ROCPRIM_400000_NS6detail17trampoline_kernelINS0_13select_configILj256ELj13ELNS0_17block_load_methodE3ELS4_3ELS4_3ELNS0_20block_scan_algorithmE0ELj4294967295EEENS1_25partition_config_selectorILNS1_17partition_subalgoE4EjNS0_10empty_typeEbEEZZNS1_14partition_implILS8_4ELb0ES6_15HIP_vector_typeIjLj2EENS0_17counting_iteratorIjlEEPS9_SG_NS0_5tupleIJPjSI_NS0_16reverse_iteratorISI_EEEEENSH_IJSG_SG_SG_EEES9_SI_JZNS1_25segmented_radix_sort_implINS0_14default_configELb0EPK6__halfPSP_PKlPlN2at6native12_GLOBAL__N_18offset_tEEE10hipError_tPvRmT1_PNSt15iterator_traitsIS13_E10value_typeET2_T3_PNS14_IS19_E10value_typeET4_jRbjT5_S1F_jjP12ihipStream_tbEUljE_ZNSN_ISO_Lb0ESR_SS_SU_SV_SZ_EES10_S11_S12_S13_S17_S18_S19_S1C_S1D_jS1E_jS1F_S1F_jjS1H_bEUljE0_EEES10_S11_S12_S19_S1D_S1F_T6_T7_T9_mT8_S1H_bDpT10_ENKUlT_T0_E_clISt17integral_constantIbLb1EES1U_IbLb0EEEEDaS1Q_S1R_EUlS1Q_E_NS1_11comp_targetILNS1_3genE3ELNS1_11target_archE908ELNS1_3gpuE7ELNS1_3repE0EEENS1_30default_config_static_selectorELNS0_4arch9wavefront6targetE0EEEvS13_,@function
_ZN7rocprim17ROCPRIM_400000_NS6detail17trampoline_kernelINS0_13select_configILj256ELj13ELNS0_17block_load_methodE3ELS4_3ELS4_3ELNS0_20block_scan_algorithmE0ELj4294967295EEENS1_25partition_config_selectorILNS1_17partition_subalgoE4EjNS0_10empty_typeEbEEZZNS1_14partition_implILS8_4ELb0ES6_15HIP_vector_typeIjLj2EENS0_17counting_iteratorIjlEEPS9_SG_NS0_5tupleIJPjSI_NS0_16reverse_iteratorISI_EEEEENSH_IJSG_SG_SG_EEES9_SI_JZNS1_25segmented_radix_sort_implINS0_14default_configELb0EPK6__halfPSP_PKlPlN2at6native12_GLOBAL__N_18offset_tEEE10hipError_tPvRmT1_PNSt15iterator_traitsIS13_E10value_typeET2_T3_PNS14_IS19_E10value_typeET4_jRbjT5_S1F_jjP12ihipStream_tbEUljE_ZNSN_ISO_Lb0ESR_SS_SU_SV_SZ_EES10_S11_S12_S13_S17_S18_S19_S1C_S1D_jS1E_jS1F_S1F_jjS1H_bEUljE0_EEES10_S11_S12_S19_S1D_S1F_T6_T7_T9_mT8_S1H_bDpT10_ENKUlT_T0_E_clISt17integral_constantIbLb1EES1U_IbLb0EEEEDaS1Q_S1R_EUlS1Q_E_NS1_11comp_targetILNS1_3genE3ELNS1_11target_archE908ELNS1_3gpuE7ELNS1_3repE0EEENS1_30default_config_static_selectorELNS0_4arch9wavefront6targetE0EEEvS13_: ; @_ZN7rocprim17ROCPRIM_400000_NS6detail17trampoline_kernelINS0_13select_configILj256ELj13ELNS0_17block_load_methodE3ELS4_3ELS4_3ELNS0_20block_scan_algorithmE0ELj4294967295EEENS1_25partition_config_selectorILNS1_17partition_subalgoE4EjNS0_10empty_typeEbEEZZNS1_14partition_implILS8_4ELb0ES6_15HIP_vector_typeIjLj2EENS0_17counting_iteratorIjlEEPS9_SG_NS0_5tupleIJPjSI_NS0_16reverse_iteratorISI_EEEEENSH_IJSG_SG_SG_EEES9_SI_JZNS1_25segmented_radix_sort_implINS0_14default_configELb0EPK6__halfPSP_PKlPlN2at6native12_GLOBAL__N_18offset_tEEE10hipError_tPvRmT1_PNSt15iterator_traitsIS13_E10value_typeET2_T3_PNS14_IS19_E10value_typeET4_jRbjT5_S1F_jjP12ihipStream_tbEUljE_ZNSN_ISO_Lb0ESR_SS_SU_SV_SZ_EES10_S11_S12_S13_S17_S18_S19_S1C_S1D_jS1E_jS1F_S1F_jjS1H_bEUljE0_EEES10_S11_S12_S19_S1D_S1F_T6_T7_T9_mT8_S1H_bDpT10_ENKUlT_T0_E_clISt17integral_constantIbLb1EES1U_IbLb0EEEEDaS1Q_S1R_EUlS1Q_E_NS1_11comp_targetILNS1_3genE3ELNS1_11target_archE908ELNS1_3gpuE7ELNS1_3repE0EEENS1_30default_config_static_selectorELNS0_4arch9wavefront6targetE0EEEvS13_
; %bb.0:
	.section	.rodata,"a",@progbits
	.p2align	6, 0x0
	.amdhsa_kernel _ZN7rocprim17ROCPRIM_400000_NS6detail17trampoline_kernelINS0_13select_configILj256ELj13ELNS0_17block_load_methodE3ELS4_3ELS4_3ELNS0_20block_scan_algorithmE0ELj4294967295EEENS1_25partition_config_selectorILNS1_17partition_subalgoE4EjNS0_10empty_typeEbEEZZNS1_14partition_implILS8_4ELb0ES6_15HIP_vector_typeIjLj2EENS0_17counting_iteratorIjlEEPS9_SG_NS0_5tupleIJPjSI_NS0_16reverse_iteratorISI_EEEEENSH_IJSG_SG_SG_EEES9_SI_JZNS1_25segmented_radix_sort_implINS0_14default_configELb0EPK6__halfPSP_PKlPlN2at6native12_GLOBAL__N_18offset_tEEE10hipError_tPvRmT1_PNSt15iterator_traitsIS13_E10value_typeET2_T3_PNS14_IS19_E10value_typeET4_jRbjT5_S1F_jjP12ihipStream_tbEUljE_ZNSN_ISO_Lb0ESR_SS_SU_SV_SZ_EES10_S11_S12_S13_S17_S18_S19_S1C_S1D_jS1E_jS1F_S1F_jjS1H_bEUljE0_EEES10_S11_S12_S19_S1D_S1F_T6_T7_T9_mT8_S1H_bDpT10_ENKUlT_T0_E_clISt17integral_constantIbLb1EES1U_IbLb0EEEEDaS1Q_S1R_EUlS1Q_E_NS1_11comp_targetILNS1_3genE3ELNS1_11target_archE908ELNS1_3gpuE7ELNS1_3repE0EEENS1_30default_config_static_selectorELNS0_4arch9wavefront6targetE0EEEvS13_
		.amdhsa_group_segment_fixed_size 0
		.amdhsa_private_segment_fixed_size 0
		.amdhsa_kernarg_size 176
		.amdhsa_user_sgpr_count 15
		.amdhsa_user_sgpr_dispatch_ptr 0
		.amdhsa_user_sgpr_queue_ptr 0
		.amdhsa_user_sgpr_kernarg_segment_ptr 1
		.amdhsa_user_sgpr_dispatch_id 0
		.amdhsa_user_sgpr_private_segment_size 0
		.amdhsa_wavefront_size32 1
		.amdhsa_uses_dynamic_stack 0
		.amdhsa_enable_private_segment 0
		.amdhsa_system_sgpr_workgroup_id_x 1
		.amdhsa_system_sgpr_workgroup_id_y 0
		.amdhsa_system_sgpr_workgroup_id_z 0
		.amdhsa_system_sgpr_workgroup_info 0
		.amdhsa_system_vgpr_workitem_id 0
		.amdhsa_next_free_vgpr 1
		.amdhsa_next_free_sgpr 1
		.amdhsa_reserve_vcc 0
		.amdhsa_float_round_mode_32 0
		.amdhsa_float_round_mode_16_64 0
		.amdhsa_float_denorm_mode_32 3
		.amdhsa_float_denorm_mode_16_64 3
		.amdhsa_dx10_clamp 1
		.amdhsa_ieee_mode 1
		.amdhsa_fp16_overflow 0
		.amdhsa_workgroup_processor_mode 1
		.amdhsa_memory_ordered 1
		.amdhsa_forward_progress 0
		.amdhsa_shared_vgpr_count 0
		.amdhsa_exception_fp_ieee_invalid_op 0
		.amdhsa_exception_fp_denorm_src 0
		.amdhsa_exception_fp_ieee_div_zero 0
		.amdhsa_exception_fp_ieee_overflow 0
		.amdhsa_exception_fp_ieee_underflow 0
		.amdhsa_exception_fp_ieee_inexact 0
		.amdhsa_exception_int_div_zero 0
	.end_amdhsa_kernel
	.section	.text._ZN7rocprim17ROCPRIM_400000_NS6detail17trampoline_kernelINS0_13select_configILj256ELj13ELNS0_17block_load_methodE3ELS4_3ELS4_3ELNS0_20block_scan_algorithmE0ELj4294967295EEENS1_25partition_config_selectorILNS1_17partition_subalgoE4EjNS0_10empty_typeEbEEZZNS1_14partition_implILS8_4ELb0ES6_15HIP_vector_typeIjLj2EENS0_17counting_iteratorIjlEEPS9_SG_NS0_5tupleIJPjSI_NS0_16reverse_iteratorISI_EEEEENSH_IJSG_SG_SG_EEES9_SI_JZNS1_25segmented_radix_sort_implINS0_14default_configELb0EPK6__halfPSP_PKlPlN2at6native12_GLOBAL__N_18offset_tEEE10hipError_tPvRmT1_PNSt15iterator_traitsIS13_E10value_typeET2_T3_PNS14_IS19_E10value_typeET4_jRbjT5_S1F_jjP12ihipStream_tbEUljE_ZNSN_ISO_Lb0ESR_SS_SU_SV_SZ_EES10_S11_S12_S13_S17_S18_S19_S1C_S1D_jS1E_jS1F_S1F_jjS1H_bEUljE0_EEES10_S11_S12_S19_S1D_S1F_T6_T7_T9_mT8_S1H_bDpT10_ENKUlT_T0_E_clISt17integral_constantIbLb1EES1U_IbLb0EEEEDaS1Q_S1R_EUlS1Q_E_NS1_11comp_targetILNS1_3genE3ELNS1_11target_archE908ELNS1_3gpuE7ELNS1_3repE0EEENS1_30default_config_static_selectorELNS0_4arch9wavefront6targetE0EEEvS13_,"axG",@progbits,_ZN7rocprim17ROCPRIM_400000_NS6detail17trampoline_kernelINS0_13select_configILj256ELj13ELNS0_17block_load_methodE3ELS4_3ELS4_3ELNS0_20block_scan_algorithmE0ELj4294967295EEENS1_25partition_config_selectorILNS1_17partition_subalgoE4EjNS0_10empty_typeEbEEZZNS1_14partition_implILS8_4ELb0ES6_15HIP_vector_typeIjLj2EENS0_17counting_iteratorIjlEEPS9_SG_NS0_5tupleIJPjSI_NS0_16reverse_iteratorISI_EEEEENSH_IJSG_SG_SG_EEES9_SI_JZNS1_25segmented_radix_sort_implINS0_14default_configELb0EPK6__halfPSP_PKlPlN2at6native12_GLOBAL__N_18offset_tEEE10hipError_tPvRmT1_PNSt15iterator_traitsIS13_E10value_typeET2_T3_PNS14_IS19_E10value_typeET4_jRbjT5_S1F_jjP12ihipStream_tbEUljE_ZNSN_ISO_Lb0ESR_SS_SU_SV_SZ_EES10_S11_S12_S13_S17_S18_S19_S1C_S1D_jS1E_jS1F_S1F_jjS1H_bEUljE0_EEES10_S11_S12_S19_S1D_S1F_T6_T7_T9_mT8_S1H_bDpT10_ENKUlT_T0_E_clISt17integral_constantIbLb1EES1U_IbLb0EEEEDaS1Q_S1R_EUlS1Q_E_NS1_11comp_targetILNS1_3genE3ELNS1_11target_archE908ELNS1_3gpuE7ELNS1_3repE0EEENS1_30default_config_static_selectorELNS0_4arch9wavefront6targetE0EEEvS13_,comdat
.Lfunc_end1797:
	.size	_ZN7rocprim17ROCPRIM_400000_NS6detail17trampoline_kernelINS0_13select_configILj256ELj13ELNS0_17block_load_methodE3ELS4_3ELS4_3ELNS0_20block_scan_algorithmE0ELj4294967295EEENS1_25partition_config_selectorILNS1_17partition_subalgoE4EjNS0_10empty_typeEbEEZZNS1_14partition_implILS8_4ELb0ES6_15HIP_vector_typeIjLj2EENS0_17counting_iteratorIjlEEPS9_SG_NS0_5tupleIJPjSI_NS0_16reverse_iteratorISI_EEEEENSH_IJSG_SG_SG_EEES9_SI_JZNS1_25segmented_radix_sort_implINS0_14default_configELb0EPK6__halfPSP_PKlPlN2at6native12_GLOBAL__N_18offset_tEEE10hipError_tPvRmT1_PNSt15iterator_traitsIS13_E10value_typeET2_T3_PNS14_IS19_E10value_typeET4_jRbjT5_S1F_jjP12ihipStream_tbEUljE_ZNSN_ISO_Lb0ESR_SS_SU_SV_SZ_EES10_S11_S12_S13_S17_S18_S19_S1C_S1D_jS1E_jS1F_S1F_jjS1H_bEUljE0_EEES10_S11_S12_S19_S1D_S1F_T6_T7_T9_mT8_S1H_bDpT10_ENKUlT_T0_E_clISt17integral_constantIbLb1EES1U_IbLb0EEEEDaS1Q_S1R_EUlS1Q_E_NS1_11comp_targetILNS1_3genE3ELNS1_11target_archE908ELNS1_3gpuE7ELNS1_3repE0EEENS1_30default_config_static_selectorELNS0_4arch9wavefront6targetE0EEEvS13_, .Lfunc_end1797-_ZN7rocprim17ROCPRIM_400000_NS6detail17trampoline_kernelINS0_13select_configILj256ELj13ELNS0_17block_load_methodE3ELS4_3ELS4_3ELNS0_20block_scan_algorithmE0ELj4294967295EEENS1_25partition_config_selectorILNS1_17partition_subalgoE4EjNS0_10empty_typeEbEEZZNS1_14partition_implILS8_4ELb0ES6_15HIP_vector_typeIjLj2EENS0_17counting_iteratorIjlEEPS9_SG_NS0_5tupleIJPjSI_NS0_16reverse_iteratorISI_EEEEENSH_IJSG_SG_SG_EEES9_SI_JZNS1_25segmented_radix_sort_implINS0_14default_configELb0EPK6__halfPSP_PKlPlN2at6native12_GLOBAL__N_18offset_tEEE10hipError_tPvRmT1_PNSt15iterator_traitsIS13_E10value_typeET2_T3_PNS14_IS19_E10value_typeET4_jRbjT5_S1F_jjP12ihipStream_tbEUljE_ZNSN_ISO_Lb0ESR_SS_SU_SV_SZ_EES10_S11_S12_S13_S17_S18_S19_S1C_S1D_jS1E_jS1F_S1F_jjS1H_bEUljE0_EEES10_S11_S12_S19_S1D_S1F_T6_T7_T9_mT8_S1H_bDpT10_ENKUlT_T0_E_clISt17integral_constantIbLb1EES1U_IbLb0EEEEDaS1Q_S1R_EUlS1Q_E_NS1_11comp_targetILNS1_3genE3ELNS1_11target_archE908ELNS1_3gpuE7ELNS1_3repE0EEENS1_30default_config_static_selectorELNS0_4arch9wavefront6targetE0EEEvS13_
                                        ; -- End function
	.section	.AMDGPU.csdata,"",@progbits
; Kernel info:
; codeLenInByte = 0
; NumSgprs: 0
; NumVgprs: 0
; ScratchSize: 0
; MemoryBound: 0
; FloatMode: 240
; IeeeMode: 1
; LDSByteSize: 0 bytes/workgroup (compile time only)
; SGPRBlocks: 0
; VGPRBlocks: 0
; NumSGPRsForWavesPerEU: 1
; NumVGPRsForWavesPerEU: 1
; Occupancy: 16
; WaveLimiterHint : 0
; COMPUTE_PGM_RSRC2:SCRATCH_EN: 0
; COMPUTE_PGM_RSRC2:USER_SGPR: 15
; COMPUTE_PGM_RSRC2:TRAP_HANDLER: 0
; COMPUTE_PGM_RSRC2:TGID_X_EN: 1
; COMPUTE_PGM_RSRC2:TGID_Y_EN: 0
; COMPUTE_PGM_RSRC2:TGID_Z_EN: 0
; COMPUTE_PGM_RSRC2:TIDIG_COMP_CNT: 0
	.section	.text._ZN7rocprim17ROCPRIM_400000_NS6detail17trampoline_kernelINS0_13select_configILj256ELj13ELNS0_17block_load_methodE3ELS4_3ELS4_3ELNS0_20block_scan_algorithmE0ELj4294967295EEENS1_25partition_config_selectorILNS1_17partition_subalgoE4EjNS0_10empty_typeEbEEZZNS1_14partition_implILS8_4ELb0ES6_15HIP_vector_typeIjLj2EENS0_17counting_iteratorIjlEEPS9_SG_NS0_5tupleIJPjSI_NS0_16reverse_iteratorISI_EEEEENSH_IJSG_SG_SG_EEES9_SI_JZNS1_25segmented_radix_sort_implINS0_14default_configELb0EPK6__halfPSP_PKlPlN2at6native12_GLOBAL__N_18offset_tEEE10hipError_tPvRmT1_PNSt15iterator_traitsIS13_E10value_typeET2_T3_PNS14_IS19_E10value_typeET4_jRbjT5_S1F_jjP12ihipStream_tbEUljE_ZNSN_ISO_Lb0ESR_SS_SU_SV_SZ_EES10_S11_S12_S13_S17_S18_S19_S1C_S1D_jS1E_jS1F_S1F_jjS1H_bEUljE0_EEES10_S11_S12_S19_S1D_S1F_T6_T7_T9_mT8_S1H_bDpT10_ENKUlT_T0_E_clISt17integral_constantIbLb1EES1U_IbLb0EEEEDaS1Q_S1R_EUlS1Q_E_NS1_11comp_targetILNS1_3genE2ELNS1_11target_archE906ELNS1_3gpuE6ELNS1_3repE0EEENS1_30default_config_static_selectorELNS0_4arch9wavefront6targetE0EEEvS13_,"axG",@progbits,_ZN7rocprim17ROCPRIM_400000_NS6detail17trampoline_kernelINS0_13select_configILj256ELj13ELNS0_17block_load_methodE3ELS4_3ELS4_3ELNS0_20block_scan_algorithmE0ELj4294967295EEENS1_25partition_config_selectorILNS1_17partition_subalgoE4EjNS0_10empty_typeEbEEZZNS1_14partition_implILS8_4ELb0ES6_15HIP_vector_typeIjLj2EENS0_17counting_iteratorIjlEEPS9_SG_NS0_5tupleIJPjSI_NS0_16reverse_iteratorISI_EEEEENSH_IJSG_SG_SG_EEES9_SI_JZNS1_25segmented_radix_sort_implINS0_14default_configELb0EPK6__halfPSP_PKlPlN2at6native12_GLOBAL__N_18offset_tEEE10hipError_tPvRmT1_PNSt15iterator_traitsIS13_E10value_typeET2_T3_PNS14_IS19_E10value_typeET4_jRbjT5_S1F_jjP12ihipStream_tbEUljE_ZNSN_ISO_Lb0ESR_SS_SU_SV_SZ_EES10_S11_S12_S13_S17_S18_S19_S1C_S1D_jS1E_jS1F_S1F_jjS1H_bEUljE0_EEES10_S11_S12_S19_S1D_S1F_T6_T7_T9_mT8_S1H_bDpT10_ENKUlT_T0_E_clISt17integral_constantIbLb1EES1U_IbLb0EEEEDaS1Q_S1R_EUlS1Q_E_NS1_11comp_targetILNS1_3genE2ELNS1_11target_archE906ELNS1_3gpuE6ELNS1_3repE0EEENS1_30default_config_static_selectorELNS0_4arch9wavefront6targetE0EEEvS13_,comdat
	.globl	_ZN7rocprim17ROCPRIM_400000_NS6detail17trampoline_kernelINS0_13select_configILj256ELj13ELNS0_17block_load_methodE3ELS4_3ELS4_3ELNS0_20block_scan_algorithmE0ELj4294967295EEENS1_25partition_config_selectorILNS1_17partition_subalgoE4EjNS0_10empty_typeEbEEZZNS1_14partition_implILS8_4ELb0ES6_15HIP_vector_typeIjLj2EENS0_17counting_iteratorIjlEEPS9_SG_NS0_5tupleIJPjSI_NS0_16reverse_iteratorISI_EEEEENSH_IJSG_SG_SG_EEES9_SI_JZNS1_25segmented_radix_sort_implINS0_14default_configELb0EPK6__halfPSP_PKlPlN2at6native12_GLOBAL__N_18offset_tEEE10hipError_tPvRmT1_PNSt15iterator_traitsIS13_E10value_typeET2_T3_PNS14_IS19_E10value_typeET4_jRbjT5_S1F_jjP12ihipStream_tbEUljE_ZNSN_ISO_Lb0ESR_SS_SU_SV_SZ_EES10_S11_S12_S13_S17_S18_S19_S1C_S1D_jS1E_jS1F_S1F_jjS1H_bEUljE0_EEES10_S11_S12_S19_S1D_S1F_T6_T7_T9_mT8_S1H_bDpT10_ENKUlT_T0_E_clISt17integral_constantIbLb1EES1U_IbLb0EEEEDaS1Q_S1R_EUlS1Q_E_NS1_11comp_targetILNS1_3genE2ELNS1_11target_archE906ELNS1_3gpuE6ELNS1_3repE0EEENS1_30default_config_static_selectorELNS0_4arch9wavefront6targetE0EEEvS13_ ; -- Begin function _ZN7rocprim17ROCPRIM_400000_NS6detail17trampoline_kernelINS0_13select_configILj256ELj13ELNS0_17block_load_methodE3ELS4_3ELS4_3ELNS0_20block_scan_algorithmE0ELj4294967295EEENS1_25partition_config_selectorILNS1_17partition_subalgoE4EjNS0_10empty_typeEbEEZZNS1_14partition_implILS8_4ELb0ES6_15HIP_vector_typeIjLj2EENS0_17counting_iteratorIjlEEPS9_SG_NS0_5tupleIJPjSI_NS0_16reverse_iteratorISI_EEEEENSH_IJSG_SG_SG_EEES9_SI_JZNS1_25segmented_radix_sort_implINS0_14default_configELb0EPK6__halfPSP_PKlPlN2at6native12_GLOBAL__N_18offset_tEEE10hipError_tPvRmT1_PNSt15iterator_traitsIS13_E10value_typeET2_T3_PNS14_IS19_E10value_typeET4_jRbjT5_S1F_jjP12ihipStream_tbEUljE_ZNSN_ISO_Lb0ESR_SS_SU_SV_SZ_EES10_S11_S12_S13_S17_S18_S19_S1C_S1D_jS1E_jS1F_S1F_jjS1H_bEUljE0_EEES10_S11_S12_S19_S1D_S1F_T6_T7_T9_mT8_S1H_bDpT10_ENKUlT_T0_E_clISt17integral_constantIbLb1EES1U_IbLb0EEEEDaS1Q_S1R_EUlS1Q_E_NS1_11comp_targetILNS1_3genE2ELNS1_11target_archE906ELNS1_3gpuE6ELNS1_3repE0EEENS1_30default_config_static_selectorELNS0_4arch9wavefront6targetE0EEEvS13_
	.p2align	8
	.type	_ZN7rocprim17ROCPRIM_400000_NS6detail17trampoline_kernelINS0_13select_configILj256ELj13ELNS0_17block_load_methodE3ELS4_3ELS4_3ELNS0_20block_scan_algorithmE0ELj4294967295EEENS1_25partition_config_selectorILNS1_17partition_subalgoE4EjNS0_10empty_typeEbEEZZNS1_14partition_implILS8_4ELb0ES6_15HIP_vector_typeIjLj2EENS0_17counting_iteratorIjlEEPS9_SG_NS0_5tupleIJPjSI_NS0_16reverse_iteratorISI_EEEEENSH_IJSG_SG_SG_EEES9_SI_JZNS1_25segmented_radix_sort_implINS0_14default_configELb0EPK6__halfPSP_PKlPlN2at6native12_GLOBAL__N_18offset_tEEE10hipError_tPvRmT1_PNSt15iterator_traitsIS13_E10value_typeET2_T3_PNS14_IS19_E10value_typeET4_jRbjT5_S1F_jjP12ihipStream_tbEUljE_ZNSN_ISO_Lb0ESR_SS_SU_SV_SZ_EES10_S11_S12_S13_S17_S18_S19_S1C_S1D_jS1E_jS1F_S1F_jjS1H_bEUljE0_EEES10_S11_S12_S19_S1D_S1F_T6_T7_T9_mT8_S1H_bDpT10_ENKUlT_T0_E_clISt17integral_constantIbLb1EES1U_IbLb0EEEEDaS1Q_S1R_EUlS1Q_E_NS1_11comp_targetILNS1_3genE2ELNS1_11target_archE906ELNS1_3gpuE6ELNS1_3repE0EEENS1_30default_config_static_selectorELNS0_4arch9wavefront6targetE0EEEvS13_,@function
_ZN7rocprim17ROCPRIM_400000_NS6detail17trampoline_kernelINS0_13select_configILj256ELj13ELNS0_17block_load_methodE3ELS4_3ELS4_3ELNS0_20block_scan_algorithmE0ELj4294967295EEENS1_25partition_config_selectorILNS1_17partition_subalgoE4EjNS0_10empty_typeEbEEZZNS1_14partition_implILS8_4ELb0ES6_15HIP_vector_typeIjLj2EENS0_17counting_iteratorIjlEEPS9_SG_NS0_5tupleIJPjSI_NS0_16reverse_iteratorISI_EEEEENSH_IJSG_SG_SG_EEES9_SI_JZNS1_25segmented_radix_sort_implINS0_14default_configELb0EPK6__halfPSP_PKlPlN2at6native12_GLOBAL__N_18offset_tEEE10hipError_tPvRmT1_PNSt15iterator_traitsIS13_E10value_typeET2_T3_PNS14_IS19_E10value_typeET4_jRbjT5_S1F_jjP12ihipStream_tbEUljE_ZNSN_ISO_Lb0ESR_SS_SU_SV_SZ_EES10_S11_S12_S13_S17_S18_S19_S1C_S1D_jS1E_jS1F_S1F_jjS1H_bEUljE0_EEES10_S11_S12_S19_S1D_S1F_T6_T7_T9_mT8_S1H_bDpT10_ENKUlT_T0_E_clISt17integral_constantIbLb1EES1U_IbLb0EEEEDaS1Q_S1R_EUlS1Q_E_NS1_11comp_targetILNS1_3genE2ELNS1_11target_archE906ELNS1_3gpuE6ELNS1_3repE0EEENS1_30default_config_static_selectorELNS0_4arch9wavefront6targetE0EEEvS13_: ; @_ZN7rocprim17ROCPRIM_400000_NS6detail17trampoline_kernelINS0_13select_configILj256ELj13ELNS0_17block_load_methodE3ELS4_3ELS4_3ELNS0_20block_scan_algorithmE0ELj4294967295EEENS1_25partition_config_selectorILNS1_17partition_subalgoE4EjNS0_10empty_typeEbEEZZNS1_14partition_implILS8_4ELb0ES6_15HIP_vector_typeIjLj2EENS0_17counting_iteratorIjlEEPS9_SG_NS0_5tupleIJPjSI_NS0_16reverse_iteratorISI_EEEEENSH_IJSG_SG_SG_EEES9_SI_JZNS1_25segmented_radix_sort_implINS0_14default_configELb0EPK6__halfPSP_PKlPlN2at6native12_GLOBAL__N_18offset_tEEE10hipError_tPvRmT1_PNSt15iterator_traitsIS13_E10value_typeET2_T3_PNS14_IS19_E10value_typeET4_jRbjT5_S1F_jjP12ihipStream_tbEUljE_ZNSN_ISO_Lb0ESR_SS_SU_SV_SZ_EES10_S11_S12_S13_S17_S18_S19_S1C_S1D_jS1E_jS1F_S1F_jjS1H_bEUljE0_EEES10_S11_S12_S19_S1D_S1F_T6_T7_T9_mT8_S1H_bDpT10_ENKUlT_T0_E_clISt17integral_constantIbLb1EES1U_IbLb0EEEEDaS1Q_S1R_EUlS1Q_E_NS1_11comp_targetILNS1_3genE2ELNS1_11target_archE906ELNS1_3gpuE6ELNS1_3repE0EEENS1_30default_config_static_selectorELNS0_4arch9wavefront6targetE0EEEvS13_
; %bb.0:
	.section	.rodata,"a",@progbits
	.p2align	6, 0x0
	.amdhsa_kernel _ZN7rocprim17ROCPRIM_400000_NS6detail17trampoline_kernelINS0_13select_configILj256ELj13ELNS0_17block_load_methodE3ELS4_3ELS4_3ELNS0_20block_scan_algorithmE0ELj4294967295EEENS1_25partition_config_selectorILNS1_17partition_subalgoE4EjNS0_10empty_typeEbEEZZNS1_14partition_implILS8_4ELb0ES6_15HIP_vector_typeIjLj2EENS0_17counting_iteratorIjlEEPS9_SG_NS0_5tupleIJPjSI_NS0_16reverse_iteratorISI_EEEEENSH_IJSG_SG_SG_EEES9_SI_JZNS1_25segmented_radix_sort_implINS0_14default_configELb0EPK6__halfPSP_PKlPlN2at6native12_GLOBAL__N_18offset_tEEE10hipError_tPvRmT1_PNSt15iterator_traitsIS13_E10value_typeET2_T3_PNS14_IS19_E10value_typeET4_jRbjT5_S1F_jjP12ihipStream_tbEUljE_ZNSN_ISO_Lb0ESR_SS_SU_SV_SZ_EES10_S11_S12_S13_S17_S18_S19_S1C_S1D_jS1E_jS1F_S1F_jjS1H_bEUljE0_EEES10_S11_S12_S19_S1D_S1F_T6_T7_T9_mT8_S1H_bDpT10_ENKUlT_T0_E_clISt17integral_constantIbLb1EES1U_IbLb0EEEEDaS1Q_S1R_EUlS1Q_E_NS1_11comp_targetILNS1_3genE2ELNS1_11target_archE906ELNS1_3gpuE6ELNS1_3repE0EEENS1_30default_config_static_selectorELNS0_4arch9wavefront6targetE0EEEvS13_
		.amdhsa_group_segment_fixed_size 0
		.amdhsa_private_segment_fixed_size 0
		.amdhsa_kernarg_size 176
		.amdhsa_user_sgpr_count 15
		.amdhsa_user_sgpr_dispatch_ptr 0
		.amdhsa_user_sgpr_queue_ptr 0
		.amdhsa_user_sgpr_kernarg_segment_ptr 1
		.amdhsa_user_sgpr_dispatch_id 0
		.amdhsa_user_sgpr_private_segment_size 0
		.amdhsa_wavefront_size32 1
		.amdhsa_uses_dynamic_stack 0
		.amdhsa_enable_private_segment 0
		.amdhsa_system_sgpr_workgroup_id_x 1
		.amdhsa_system_sgpr_workgroup_id_y 0
		.amdhsa_system_sgpr_workgroup_id_z 0
		.amdhsa_system_sgpr_workgroup_info 0
		.amdhsa_system_vgpr_workitem_id 0
		.amdhsa_next_free_vgpr 1
		.amdhsa_next_free_sgpr 1
		.amdhsa_reserve_vcc 0
		.amdhsa_float_round_mode_32 0
		.amdhsa_float_round_mode_16_64 0
		.amdhsa_float_denorm_mode_32 3
		.amdhsa_float_denorm_mode_16_64 3
		.amdhsa_dx10_clamp 1
		.amdhsa_ieee_mode 1
		.amdhsa_fp16_overflow 0
		.amdhsa_workgroup_processor_mode 1
		.amdhsa_memory_ordered 1
		.amdhsa_forward_progress 0
		.amdhsa_shared_vgpr_count 0
		.amdhsa_exception_fp_ieee_invalid_op 0
		.amdhsa_exception_fp_denorm_src 0
		.amdhsa_exception_fp_ieee_div_zero 0
		.amdhsa_exception_fp_ieee_overflow 0
		.amdhsa_exception_fp_ieee_underflow 0
		.amdhsa_exception_fp_ieee_inexact 0
		.amdhsa_exception_int_div_zero 0
	.end_amdhsa_kernel
	.section	.text._ZN7rocprim17ROCPRIM_400000_NS6detail17trampoline_kernelINS0_13select_configILj256ELj13ELNS0_17block_load_methodE3ELS4_3ELS4_3ELNS0_20block_scan_algorithmE0ELj4294967295EEENS1_25partition_config_selectorILNS1_17partition_subalgoE4EjNS0_10empty_typeEbEEZZNS1_14partition_implILS8_4ELb0ES6_15HIP_vector_typeIjLj2EENS0_17counting_iteratorIjlEEPS9_SG_NS0_5tupleIJPjSI_NS0_16reverse_iteratorISI_EEEEENSH_IJSG_SG_SG_EEES9_SI_JZNS1_25segmented_radix_sort_implINS0_14default_configELb0EPK6__halfPSP_PKlPlN2at6native12_GLOBAL__N_18offset_tEEE10hipError_tPvRmT1_PNSt15iterator_traitsIS13_E10value_typeET2_T3_PNS14_IS19_E10value_typeET4_jRbjT5_S1F_jjP12ihipStream_tbEUljE_ZNSN_ISO_Lb0ESR_SS_SU_SV_SZ_EES10_S11_S12_S13_S17_S18_S19_S1C_S1D_jS1E_jS1F_S1F_jjS1H_bEUljE0_EEES10_S11_S12_S19_S1D_S1F_T6_T7_T9_mT8_S1H_bDpT10_ENKUlT_T0_E_clISt17integral_constantIbLb1EES1U_IbLb0EEEEDaS1Q_S1R_EUlS1Q_E_NS1_11comp_targetILNS1_3genE2ELNS1_11target_archE906ELNS1_3gpuE6ELNS1_3repE0EEENS1_30default_config_static_selectorELNS0_4arch9wavefront6targetE0EEEvS13_,"axG",@progbits,_ZN7rocprim17ROCPRIM_400000_NS6detail17trampoline_kernelINS0_13select_configILj256ELj13ELNS0_17block_load_methodE3ELS4_3ELS4_3ELNS0_20block_scan_algorithmE0ELj4294967295EEENS1_25partition_config_selectorILNS1_17partition_subalgoE4EjNS0_10empty_typeEbEEZZNS1_14partition_implILS8_4ELb0ES6_15HIP_vector_typeIjLj2EENS0_17counting_iteratorIjlEEPS9_SG_NS0_5tupleIJPjSI_NS0_16reverse_iteratorISI_EEEEENSH_IJSG_SG_SG_EEES9_SI_JZNS1_25segmented_radix_sort_implINS0_14default_configELb0EPK6__halfPSP_PKlPlN2at6native12_GLOBAL__N_18offset_tEEE10hipError_tPvRmT1_PNSt15iterator_traitsIS13_E10value_typeET2_T3_PNS14_IS19_E10value_typeET4_jRbjT5_S1F_jjP12ihipStream_tbEUljE_ZNSN_ISO_Lb0ESR_SS_SU_SV_SZ_EES10_S11_S12_S13_S17_S18_S19_S1C_S1D_jS1E_jS1F_S1F_jjS1H_bEUljE0_EEES10_S11_S12_S19_S1D_S1F_T6_T7_T9_mT8_S1H_bDpT10_ENKUlT_T0_E_clISt17integral_constantIbLb1EES1U_IbLb0EEEEDaS1Q_S1R_EUlS1Q_E_NS1_11comp_targetILNS1_3genE2ELNS1_11target_archE906ELNS1_3gpuE6ELNS1_3repE0EEENS1_30default_config_static_selectorELNS0_4arch9wavefront6targetE0EEEvS13_,comdat
.Lfunc_end1798:
	.size	_ZN7rocprim17ROCPRIM_400000_NS6detail17trampoline_kernelINS0_13select_configILj256ELj13ELNS0_17block_load_methodE3ELS4_3ELS4_3ELNS0_20block_scan_algorithmE0ELj4294967295EEENS1_25partition_config_selectorILNS1_17partition_subalgoE4EjNS0_10empty_typeEbEEZZNS1_14partition_implILS8_4ELb0ES6_15HIP_vector_typeIjLj2EENS0_17counting_iteratorIjlEEPS9_SG_NS0_5tupleIJPjSI_NS0_16reverse_iteratorISI_EEEEENSH_IJSG_SG_SG_EEES9_SI_JZNS1_25segmented_radix_sort_implINS0_14default_configELb0EPK6__halfPSP_PKlPlN2at6native12_GLOBAL__N_18offset_tEEE10hipError_tPvRmT1_PNSt15iterator_traitsIS13_E10value_typeET2_T3_PNS14_IS19_E10value_typeET4_jRbjT5_S1F_jjP12ihipStream_tbEUljE_ZNSN_ISO_Lb0ESR_SS_SU_SV_SZ_EES10_S11_S12_S13_S17_S18_S19_S1C_S1D_jS1E_jS1F_S1F_jjS1H_bEUljE0_EEES10_S11_S12_S19_S1D_S1F_T6_T7_T9_mT8_S1H_bDpT10_ENKUlT_T0_E_clISt17integral_constantIbLb1EES1U_IbLb0EEEEDaS1Q_S1R_EUlS1Q_E_NS1_11comp_targetILNS1_3genE2ELNS1_11target_archE906ELNS1_3gpuE6ELNS1_3repE0EEENS1_30default_config_static_selectorELNS0_4arch9wavefront6targetE0EEEvS13_, .Lfunc_end1798-_ZN7rocprim17ROCPRIM_400000_NS6detail17trampoline_kernelINS0_13select_configILj256ELj13ELNS0_17block_load_methodE3ELS4_3ELS4_3ELNS0_20block_scan_algorithmE0ELj4294967295EEENS1_25partition_config_selectorILNS1_17partition_subalgoE4EjNS0_10empty_typeEbEEZZNS1_14partition_implILS8_4ELb0ES6_15HIP_vector_typeIjLj2EENS0_17counting_iteratorIjlEEPS9_SG_NS0_5tupleIJPjSI_NS0_16reverse_iteratorISI_EEEEENSH_IJSG_SG_SG_EEES9_SI_JZNS1_25segmented_radix_sort_implINS0_14default_configELb0EPK6__halfPSP_PKlPlN2at6native12_GLOBAL__N_18offset_tEEE10hipError_tPvRmT1_PNSt15iterator_traitsIS13_E10value_typeET2_T3_PNS14_IS19_E10value_typeET4_jRbjT5_S1F_jjP12ihipStream_tbEUljE_ZNSN_ISO_Lb0ESR_SS_SU_SV_SZ_EES10_S11_S12_S13_S17_S18_S19_S1C_S1D_jS1E_jS1F_S1F_jjS1H_bEUljE0_EEES10_S11_S12_S19_S1D_S1F_T6_T7_T9_mT8_S1H_bDpT10_ENKUlT_T0_E_clISt17integral_constantIbLb1EES1U_IbLb0EEEEDaS1Q_S1R_EUlS1Q_E_NS1_11comp_targetILNS1_3genE2ELNS1_11target_archE906ELNS1_3gpuE6ELNS1_3repE0EEENS1_30default_config_static_selectorELNS0_4arch9wavefront6targetE0EEEvS13_
                                        ; -- End function
	.section	.AMDGPU.csdata,"",@progbits
; Kernel info:
; codeLenInByte = 0
; NumSgprs: 0
; NumVgprs: 0
; ScratchSize: 0
; MemoryBound: 0
; FloatMode: 240
; IeeeMode: 1
; LDSByteSize: 0 bytes/workgroup (compile time only)
; SGPRBlocks: 0
; VGPRBlocks: 0
; NumSGPRsForWavesPerEU: 1
; NumVGPRsForWavesPerEU: 1
; Occupancy: 16
; WaveLimiterHint : 0
; COMPUTE_PGM_RSRC2:SCRATCH_EN: 0
; COMPUTE_PGM_RSRC2:USER_SGPR: 15
; COMPUTE_PGM_RSRC2:TRAP_HANDLER: 0
; COMPUTE_PGM_RSRC2:TGID_X_EN: 1
; COMPUTE_PGM_RSRC2:TGID_Y_EN: 0
; COMPUTE_PGM_RSRC2:TGID_Z_EN: 0
; COMPUTE_PGM_RSRC2:TIDIG_COMP_CNT: 0
	.section	.text._ZN7rocprim17ROCPRIM_400000_NS6detail17trampoline_kernelINS0_13select_configILj256ELj13ELNS0_17block_load_methodE3ELS4_3ELS4_3ELNS0_20block_scan_algorithmE0ELj4294967295EEENS1_25partition_config_selectorILNS1_17partition_subalgoE4EjNS0_10empty_typeEbEEZZNS1_14partition_implILS8_4ELb0ES6_15HIP_vector_typeIjLj2EENS0_17counting_iteratorIjlEEPS9_SG_NS0_5tupleIJPjSI_NS0_16reverse_iteratorISI_EEEEENSH_IJSG_SG_SG_EEES9_SI_JZNS1_25segmented_radix_sort_implINS0_14default_configELb0EPK6__halfPSP_PKlPlN2at6native12_GLOBAL__N_18offset_tEEE10hipError_tPvRmT1_PNSt15iterator_traitsIS13_E10value_typeET2_T3_PNS14_IS19_E10value_typeET4_jRbjT5_S1F_jjP12ihipStream_tbEUljE_ZNSN_ISO_Lb0ESR_SS_SU_SV_SZ_EES10_S11_S12_S13_S17_S18_S19_S1C_S1D_jS1E_jS1F_S1F_jjS1H_bEUljE0_EEES10_S11_S12_S19_S1D_S1F_T6_T7_T9_mT8_S1H_bDpT10_ENKUlT_T0_E_clISt17integral_constantIbLb1EES1U_IbLb0EEEEDaS1Q_S1R_EUlS1Q_E_NS1_11comp_targetILNS1_3genE10ELNS1_11target_archE1200ELNS1_3gpuE4ELNS1_3repE0EEENS1_30default_config_static_selectorELNS0_4arch9wavefront6targetE0EEEvS13_,"axG",@progbits,_ZN7rocprim17ROCPRIM_400000_NS6detail17trampoline_kernelINS0_13select_configILj256ELj13ELNS0_17block_load_methodE3ELS4_3ELS4_3ELNS0_20block_scan_algorithmE0ELj4294967295EEENS1_25partition_config_selectorILNS1_17partition_subalgoE4EjNS0_10empty_typeEbEEZZNS1_14partition_implILS8_4ELb0ES6_15HIP_vector_typeIjLj2EENS0_17counting_iteratorIjlEEPS9_SG_NS0_5tupleIJPjSI_NS0_16reverse_iteratorISI_EEEEENSH_IJSG_SG_SG_EEES9_SI_JZNS1_25segmented_radix_sort_implINS0_14default_configELb0EPK6__halfPSP_PKlPlN2at6native12_GLOBAL__N_18offset_tEEE10hipError_tPvRmT1_PNSt15iterator_traitsIS13_E10value_typeET2_T3_PNS14_IS19_E10value_typeET4_jRbjT5_S1F_jjP12ihipStream_tbEUljE_ZNSN_ISO_Lb0ESR_SS_SU_SV_SZ_EES10_S11_S12_S13_S17_S18_S19_S1C_S1D_jS1E_jS1F_S1F_jjS1H_bEUljE0_EEES10_S11_S12_S19_S1D_S1F_T6_T7_T9_mT8_S1H_bDpT10_ENKUlT_T0_E_clISt17integral_constantIbLb1EES1U_IbLb0EEEEDaS1Q_S1R_EUlS1Q_E_NS1_11comp_targetILNS1_3genE10ELNS1_11target_archE1200ELNS1_3gpuE4ELNS1_3repE0EEENS1_30default_config_static_selectorELNS0_4arch9wavefront6targetE0EEEvS13_,comdat
	.globl	_ZN7rocprim17ROCPRIM_400000_NS6detail17trampoline_kernelINS0_13select_configILj256ELj13ELNS0_17block_load_methodE3ELS4_3ELS4_3ELNS0_20block_scan_algorithmE0ELj4294967295EEENS1_25partition_config_selectorILNS1_17partition_subalgoE4EjNS0_10empty_typeEbEEZZNS1_14partition_implILS8_4ELb0ES6_15HIP_vector_typeIjLj2EENS0_17counting_iteratorIjlEEPS9_SG_NS0_5tupleIJPjSI_NS0_16reverse_iteratorISI_EEEEENSH_IJSG_SG_SG_EEES9_SI_JZNS1_25segmented_radix_sort_implINS0_14default_configELb0EPK6__halfPSP_PKlPlN2at6native12_GLOBAL__N_18offset_tEEE10hipError_tPvRmT1_PNSt15iterator_traitsIS13_E10value_typeET2_T3_PNS14_IS19_E10value_typeET4_jRbjT5_S1F_jjP12ihipStream_tbEUljE_ZNSN_ISO_Lb0ESR_SS_SU_SV_SZ_EES10_S11_S12_S13_S17_S18_S19_S1C_S1D_jS1E_jS1F_S1F_jjS1H_bEUljE0_EEES10_S11_S12_S19_S1D_S1F_T6_T7_T9_mT8_S1H_bDpT10_ENKUlT_T0_E_clISt17integral_constantIbLb1EES1U_IbLb0EEEEDaS1Q_S1R_EUlS1Q_E_NS1_11comp_targetILNS1_3genE10ELNS1_11target_archE1200ELNS1_3gpuE4ELNS1_3repE0EEENS1_30default_config_static_selectorELNS0_4arch9wavefront6targetE0EEEvS13_ ; -- Begin function _ZN7rocprim17ROCPRIM_400000_NS6detail17trampoline_kernelINS0_13select_configILj256ELj13ELNS0_17block_load_methodE3ELS4_3ELS4_3ELNS0_20block_scan_algorithmE0ELj4294967295EEENS1_25partition_config_selectorILNS1_17partition_subalgoE4EjNS0_10empty_typeEbEEZZNS1_14partition_implILS8_4ELb0ES6_15HIP_vector_typeIjLj2EENS0_17counting_iteratorIjlEEPS9_SG_NS0_5tupleIJPjSI_NS0_16reverse_iteratorISI_EEEEENSH_IJSG_SG_SG_EEES9_SI_JZNS1_25segmented_radix_sort_implINS0_14default_configELb0EPK6__halfPSP_PKlPlN2at6native12_GLOBAL__N_18offset_tEEE10hipError_tPvRmT1_PNSt15iterator_traitsIS13_E10value_typeET2_T3_PNS14_IS19_E10value_typeET4_jRbjT5_S1F_jjP12ihipStream_tbEUljE_ZNSN_ISO_Lb0ESR_SS_SU_SV_SZ_EES10_S11_S12_S13_S17_S18_S19_S1C_S1D_jS1E_jS1F_S1F_jjS1H_bEUljE0_EEES10_S11_S12_S19_S1D_S1F_T6_T7_T9_mT8_S1H_bDpT10_ENKUlT_T0_E_clISt17integral_constantIbLb1EES1U_IbLb0EEEEDaS1Q_S1R_EUlS1Q_E_NS1_11comp_targetILNS1_3genE10ELNS1_11target_archE1200ELNS1_3gpuE4ELNS1_3repE0EEENS1_30default_config_static_selectorELNS0_4arch9wavefront6targetE0EEEvS13_
	.p2align	8
	.type	_ZN7rocprim17ROCPRIM_400000_NS6detail17trampoline_kernelINS0_13select_configILj256ELj13ELNS0_17block_load_methodE3ELS4_3ELS4_3ELNS0_20block_scan_algorithmE0ELj4294967295EEENS1_25partition_config_selectorILNS1_17partition_subalgoE4EjNS0_10empty_typeEbEEZZNS1_14partition_implILS8_4ELb0ES6_15HIP_vector_typeIjLj2EENS0_17counting_iteratorIjlEEPS9_SG_NS0_5tupleIJPjSI_NS0_16reverse_iteratorISI_EEEEENSH_IJSG_SG_SG_EEES9_SI_JZNS1_25segmented_radix_sort_implINS0_14default_configELb0EPK6__halfPSP_PKlPlN2at6native12_GLOBAL__N_18offset_tEEE10hipError_tPvRmT1_PNSt15iterator_traitsIS13_E10value_typeET2_T3_PNS14_IS19_E10value_typeET4_jRbjT5_S1F_jjP12ihipStream_tbEUljE_ZNSN_ISO_Lb0ESR_SS_SU_SV_SZ_EES10_S11_S12_S13_S17_S18_S19_S1C_S1D_jS1E_jS1F_S1F_jjS1H_bEUljE0_EEES10_S11_S12_S19_S1D_S1F_T6_T7_T9_mT8_S1H_bDpT10_ENKUlT_T0_E_clISt17integral_constantIbLb1EES1U_IbLb0EEEEDaS1Q_S1R_EUlS1Q_E_NS1_11comp_targetILNS1_3genE10ELNS1_11target_archE1200ELNS1_3gpuE4ELNS1_3repE0EEENS1_30default_config_static_selectorELNS0_4arch9wavefront6targetE0EEEvS13_,@function
_ZN7rocprim17ROCPRIM_400000_NS6detail17trampoline_kernelINS0_13select_configILj256ELj13ELNS0_17block_load_methodE3ELS4_3ELS4_3ELNS0_20block_scan_algorithmE0ELj4294967295EEENS1_25partition_config_selectorILNS1_17partition_subalgoE4EjNS0_10empty_typeEbEEZZNS1_14partition_implILS8_4ELb0ES6_15HIP_vector_typeIjLj2EENS0_17counting_iteratorIjlEEPS9_SG_NS0_5tupleIJPjSI_NS0_16reverse_iteratorISI_EEEEENSH_IJSG_SG_SG_EEES9_SI_JZNS1_25segmented_radix_sort_implINS0_14default_configELb0EPK6__halfPSP_PKlPlN2at6native12_GLOBAL__N_18offset_tEEE10hipError_tPvRmT1_PNSt15iterator_traitsIS13_E10value_typeET2_T3_PNS14_IS19_E10value_typeET4_jRbjT5_S1F_jjP12ihipStream_tbEUljE_ZNSN_ISO_Lb0ESR_SS_SU_SV_SZ_EES10_S11_S12_S13_S17_S18_S19_S1C_S1D_jS1E_jS1F_S1F_jjS1H_bEUljE0_EEES10_S11_S12_S19_S1D_S1F_T6_T7_T9_mT8_S1H_bDpT10_ENKUlT_T0_E_clISt17integral_constantIbLb1EES1U_IbLb0EEEEDaS1Q_S1R_EUlS1Q_E_NS1_11comp_targetILNS1_3genE10ELNS1_11target_archE1200ELNS1_3gpuE4ELNS1_3repE0EEENS1_30default_config_static_selectorELNS0_4arch9wavefront6targetE0EEEvS13_: ; @_ZN7rocprim17ROCPRIM_400000_NS6detail17trampoline_kernelINS0_13select_configILj256ELj13ELNS0_17block_load_methodE3ELS4_3ELS4_3ELNS0_20block_scan_algorithmE0ELj4294967295EEENS1_25partition_config_selectorILNS1_17partition_subalgoE4EjNS0_10empty_typeEbEEZZNS1_14partition_implILS8_4ELb0ES6_15HIP_vector_typeIjLj2EENS0_17counting_iteratorIjlEEPS9_SG_NS0_5tupleIJPjSI_NS0_16reverse_iteratorISI_EEEEENSH_IJSG_SG_SG_EEES9_SI_JZNS1_25segmented_radix_sort_implINS0_14default_configELb0EPK6__halfPSP_PKlPlN2at6native12_GLOBAL__N_18offset_tEEE10hipError_tPvRmT1_PNSt15iterator_traitsIS13_E10value_typeET2_T3_PNS14_IS19_E10value_typeET4_jRbjT5_S1F_jjP12ihipStream_tbEUljE_ZNSN_ISO_Lb0ESR_SS_SU_SV_SZ_EES10_S11_S12_S13_S17_S18_S19_S1C_S1D_jS1E_jS1F_S1F_jjS1H_bEUljE0_EEES10_S11_S12_S19_S1D_S1F_T6_T7_T9_mT8_S1H_bDpT10_ENKUlT_T0_E_clISt17integral_constantIbLb1EES1U_IbLb0EEEEDaS1Q_S1R_EUlS1Q_E_NS1_11comp_targetILNS1_3genE10ELNS1_11target_archE1200ELNS1_3gpuE4ELNS1_3repE0EEENS1_30default_config_static_selectorELNS0_4arch9wavefront6targetE0EEEvS13_
; %bb.0:
	.section	.rodata,"a",@progbits
	.p2align	6, 0x0
	.amdhsa_kernel _ZN7rocprim17ROCPRIM_400000_NS6detail17trampoline_kernelINS0_13select_configILj256ELj13ELNS0_17block_load_methodE3ELS4_3ELS4_3ELNS0_20block_scan_algorithmE0ELj4294967295EEENS1_25partition_config_selectorILNS1_17partition_subalgoE4EjNS0_10empty_typeEbEEZZNS1_14partition_implILS8_4ELb0ES6_15HIP_vector_typeIjLj2EENS0_17counting_iteratorIjlEEPS9_SG_NS0_5tupleIJPjSI_NS0_16reverse_iteratorISI_EEEEENSH_IJSG_SG_SG_EEES9_SI_JZNS1_25segmented_radix_sort_implINS0_14default_configELb0EPK6__halfPSP_PKlPlN2at6native12_GLOBAL__N_18offset_tEEE10hipError_tPvRmT1_PNSt15iterator_traitsIS13_E10value_typeET2_T3_PNS14_IS19_E10value_typeET4_jRbjT5_S1F_jjP12ihipStream_tbEUljE_ZNSN_ISO_Lb0ESR_SS_SU_SV_SZ_EES10_S11_S12_S13_S17_S18_S19_S1C_S1D_jS1E_jS1F_S1F_jjS1H_bEUljE0_EEES10_S11_S12_S19_S1D_S1F_T6_T7_T9_mT8_S1H_bDpT10_ENKUlT_T0_E_clISt17integral_constantIbLb1EES1U_IbLb0EEEEDaS1Q_S1R_EUlS1Q_E_NS1_11comp_targetILNS1_3genE10ELNS1_11target_archE1200ELNS1_3gpuE4ELNS1_3repE0EEENS1_30default_config_static_selectorELNS0_4arch9wavefront6targetE0EEEvS13_
		.amdhsa_group_segment_fixed_size 0
		.amdhsa_private_segment_fixed_size 0
		.amdhsa_kernarg_size 176
		.amdhsa_user_sgpr_count 15
		.amdhsa_user_sgpr_dispatch_ptr 0
		.amdhsa_user_sgpr_queue_ptr 0
		.amdhsa_user_sgpr_kernarg_segment_ptr 1
		.amdhsa_user_sgpr_dispatch_id 0
		.amdhsa_user_sgpr_private_segment_size 0
		.amdhsa_wavefront_size32 1
		.amdhsa_uses_dynamic_stack 0
		.amdhsa_enable_private_segment 0
		.amdhsa_system_sgpr_workgroup_id_x 1
		.amdhsa_system_sgpr_workgroup_id_y 0
		.amdhsa_system_sgpr_workgroup_id_z 0
		.amdhsa_system_sgpr_workgroup_info 0
		.amdhsa_system_vgpr_workitem_id 0
		.amdhsa_next_free_vgpr 1
		.amdhsa_next_free_sgpr 1
		.amdhsa_reserve_vcc 0
		.amdhsa_float_round_mode_32 0
		.amdhsa_float_round_mode_16_64 0
		.amdhsa_float_denorm_mode_32 3
		.amdhsa_float_denorm_mode_16_64 3
		.amdhsa_dx10_clamp 1
		.amdhsa_ieee_mode 1
		.amdhsa_fp16_overflow 0
		.amdhsa_workgroup_processor_mode 1
		.amdhsa_memory_ordered 1
		.amdhsa_forward_progress 0
		.amdhsa_shared_vgpr_count 0
		.amdhsa_exception_fp_ieee_invalid_op 0
		.amdhsa_exception_fp_denorm_src 0
		.amdhsa_exception_fp_ieee_div_zero 0
		.amdhsa_exception_fp_ieee_overflow 0
		.amdhsa_exception_fp_ieee_underflow 0
		.amdhsa_exception_fp_ieee_inexact 0
		.amdhsa_exception_int_div_zero 0
	.end_amdhsa_kernel
	.section	.text._ZN7rocprim17ROCPRIM_400000_NS6detail17trampoline_kernelINS0_13select_configILj256ELj13ELNS0_17block_load_methodE3ELS4_3ELS4_3ELNS0_20block_scan_algorithmE0ELj4294967295EEENS1_25partition_config_selectorILNS1_17partition_subalgoE4EjNS0_10empty_typeEbEEZZNS1_14partition_implILS8_4ELb0ES6_15HIP_vector_typeIjLj2EENS0_17counting_iteratorIjlEEPS9_SG_NS0_5tupleIJPjSI_NS0_16reverse_iteratorISI_EEEEENSH_IJSG_SG_SG_EEES9_SI_JZNS1_25segmented_radix_sort_implINS0_14default_configELb0EPK6__halfPSP_PKlPlN2at6native12_GLOBAL__N_18offset_tEEE10hipError_tPvRmT1_PNSt15iterator_traitsIS13_E10value_typeET2_T3_PNS14_IS19_E10value_typeET4_jRbjT5_S1F_jjP12ihipStream_tbEUljE_ZNSN_ISO_Lb0ESR_SS_SU_SV_SZ_EES10_S11_S12_S13_S17_S18_S19_S1C_S1D_jS1E_jS1F_S1F_jjS1H_bEUljE0_EEES10_S11_S12_S19_S1D_S1F_T6_T7_T9_mT8_S1H_bDpT10_ENKUlT_T0_E_clISt17integral_constantIbLb1EES1U_IbLb0EEEEDaS1Q_S1R_EUlS1Q_E_NS1_11comp_targetILNS1_3genE10ELNS1_11target_archE1200ELNS1_3gpuE4ELNS1_3repE0EEENS1_30default_config_static_selectorELNS0_4arch9wavefront6targetE0EEEvS13_,"axG",@progbits,_ZN7rocprim17ROCPRIM_400000_NS6detail17trampoline_kernelINS0_13select_configILj256ELj13ELNS0_17block_load_methodE3ELS4_3ELS4_3ELNS0_20block_scan_algorithmE0ELj4294967295EEENS1_25partition_config_selectorILNS1_17partition_subalgoE4EjNS0_10empty_typeEbEEZZNS1_14partition_implILS8_4ELb0ES6_15HIP_vector_typeIjLj2EENS0_17counting_iteratorIjlEEPS9_SG_NS0_5tupleIJPjSI_NS0_16reverse_iteratorISI_EEEEENSH_IJSG_SG_SG_EEES9_SI_JZNS1_25segmented_radix_sort_implINS0_14default_configELb0EPK6__halfPSP_PKlPlN2at6native12_GLOBAL__N_18offset_tEEE10hipError_tPvRmT1_PNSt15iterator_traitsIS13_E10value_typeET2_T3_PNS14_IS19_E10value_typeET4_jRbjT5_S1F_jjP12ihipStream_tbEUljE_ZNSN_ISO_Lb0ESR_SS_SU_SV_SZ_EES10_S11_S12_S13_S17_S18_S19_S1C_S1D_jS1E_jS1F_S1F_jjS1H_bEUljE0_EEES10_S11_S12_S19_S1D_S1F_T6_T7_T9_mT8_S1H_bDpT10_ENKUlT_T0_E_clISt17integral_constantIbLb1EES1U_IbLb0EEEEDaS1Q_S1R_EUlS1Q_E_NS1_11comp_targetILNS1_3genE10ELNS1_11target_archE1200ELNS1_3gpuE4ELNS1_3repE0EEENS1_30default_config_static_selectorELNS0_4arch9wavefront6targetE0EEEvS13_,comdat
.Lfunc_end1799:
	.size	_ZN7rocprim17ROCPRIM_400000_NS6detail17trampoline_kernelINS0_13select_configILj256ELj13ELNS0_17block_load_methodE3ELS4_3ELS4_3ELNS0_20block_scan_algorithmE0ELj4294967295EEENS1_25partition_config_selectorILNS1_17partition_subalgoE4EjNS0_10empty_typeEbEEZZNS1_14partition_implILS8_4ELb0ES6_15HIP_vector_typeIjLj2EENS0_17counting_iteratorIjlEEPS9_SG_NS0_5tupleIJPjSI_NS0_16reverse_iteratorISI_EEEEENSH_IJSG_SG_SG_EEES9_SI_JZNS1_25segmented_radix_sort_implINS0_14default_configELb0EPK6__halfPSP_PKlPlN2at6native12_GLOBAL__N_18offset_tEEE10hipError_tPvRmT1_PNSt15iterator_traitsIS13_E10value_typeET2_T3_PNS14_IS19_E10value_typeET4_jRbjT5_S1F_jjP12ihipStream_tbEUljE_ZNSN_ISO_Lb0ESR_SS_SU_SV_SZ_EES10_S11_S12_S13_S17_S18_S19_S1C_S1D_jS1E_jS1F_S1F_jjS1H_bEUljE0_EEES10_S11_S12_S19_S1D_S1F_T6_T7_T9_mT8_S1H_bDpT10_ENKUlT_T0_E_clISt17integral_constantIbLb1EES1U_IbLb0EEEEDaS1Q_S1R_EUlS1Q_E_NS1_11comp_targetILNS1_3genE10ELNS1_11target_archE1200ELNS1_3gpuE4ELNS1_3repE0EEENS1_30default_config_static_selectorELNS0_4arch9wavefront6targetE0EEEvS13_, .Lfunc_end1799-_ZN7rocprim17ROCPRIM_400000_NS6detail17trampoline_kernelINS0_13select_configILj256ELj13ELNS0_17block_load_methodE3ELS4_3ELS4_3ELNS0_20block_scan_algorithmE0ELj4294967295EEENS1_25partition_config_selectorILNS1_17partition_subalgoE4EjNS0_10empty_typeEbEEZZNS1_14partition_implILS8_4ELb0ES6_15HIP_vector_typeIjLj2EENS0_17counting_iteratorIjlEEPS9_SG_NS0_5tupleIJPjSI_NS0_16reverse_iteratorISI_EEEEENSH_IJSG_SG_SG_EEES9_SI_JZNS1_25segmented_radix_sort_implINS0_14default_configELb0EPK6__halfPSP_PKlPlN2at6native12_GLOBAL__N_18offset_tEEE10hipError_tPvRmT1_PNSt15iterator_traitsIS13_E10value_typeET2_T3_PNS14_IS19_E10value_typeET4_jRbjT5_S1F_jjP12ihipStream_tbEUljE_ZNSN_ISO_Lb0ESR_SS_SU_SV_SZ_EES10_S11_S12_S13_S17_S18_S19_S1C_S1D_jS1E_jS1F_S1F_jjS1H_bEUljE0_EEES10_S11_S12_S19_S1D_S1F_T6_T7_T9_mT8_S1H_bDpT10_ENKUlT_T0_E_clISt17integral_constantIbLb1EES1U_IbLb0EEEEDaS1Q_S1R_EUlS1Q_E_NS1_11comp_targetILNS1_3genE10ELNS1_11target_archE1200ELNS1_3gpuE4ELNS1_3repE0EEENS1_30default_config_static_selectorELNS0_4arch9wavefront6targetE0EEEvS13_
                                        ; -- End function
	.section	.AMDGPU.csdata,"",@progbits
; Kernel info:
; codeLenInByte = 0
; NumSgprs: 0
; NumVgprs: 0
; ScratchSize: 0
; MemoryBound: 0
; FloatMode: 240
; IeeeMode: 1
; LDSByteSize: 0 bytes/workgroup (compile time only)
; SGPRBlocks: 0
; VGPRBlocks: 0
; NumSGPRsForWavesPerEU: 1
; NumVGPRsForWavesPerEU: 1
; Occupancy: 16
; WaveLimiterHint : 0
; COMPUTE_PGM_RSRC2:SCRATCH_EN: 0
; COMPUTE_PGM_RSRC2:USER_SGPR: 15
; COMPUTE_PGM_RSRC2:TRAP_HANDLER: 0
; COMPUTE_PGM_RSRC2:TGID_X_EN: 1
; COMPUTE_PGM_RSRC2:TGID_Y_EN: 0
; COMPUTE_PGM_RSRC2:TGID_Z_EN: 0
; COMPUTE_PGM_RSRC2:TIDIG_COMP_CNT: 0
	.section	.text._ZN7rocprim17ROCPRIM_400000_NS6detail17trampoline_kernelINS0_13select_configILj256ELj13ELNS0_17block_load_methodE3ELS4_3ELS4_3ELNS0_20block_scan_algorithmE0ELj4294967295EEENS1_25partition_config_selectorILNS1_17partition_subalgoE4EjNS0_10empty_typeEbEEZZNS1_14partition_implILS8_4ELb0ES6_15HIP_vector_typeIjLj2EENS0_17counting_iteratorIjlEEPS9_SG_NS0_5tupleIJPjSI_NS0_16reverse_iteratorISI_EEEEENSH_IJSG_SG_SG_EEES9_SI_JZNS1_25segmented_radix_sort_implINS0_14default_configELb0EPK6__halfPSP_PKlPlN2at6native12_GLOBAL__N_18offset_tEEE10hipError_tPvRmT1_PNSt15iterator_traitsIS13_E10value_typeET2_T3_PNS14_IS19_E10value_typeET4_jRbjT5_S1F_jjP12ihipStream_tbEUljE_ZNSN_ISO_Lb0ESR_SS_SU_SV_SZ_EES10_S11_S12_S13_S17_S18_S19_S1C_S1D_jS1E_jS1F_S1F_jjS1H_bEUljE0_EEES10_S11_S12_S19_S1D_S1F_T6_T7_T9_mT8_S1H_bDpT10_ENKUlT_T0_E_clISt17integral_constantIbLb1EES1U_IbLb0EEEEDaS1Q_S1R_EUlS1Q_E_NS1_11comp_targetILNS1_3genE9ELNS1_11target_archE1100ELNS1_3gpuE3ELNS1_3repE0EEENS1_30default_config_static_selectorELNS0_4arch9wavefront6targetE0EEEvS13_,"axG",@progbits,_ZN7rocprim17ROCPRIM_400000_NS6detail17trampoline_kernelINS0_13select_configILj256ELj13ELNS0_17block_load_methodE3ELS4_3ELS4_3ELNS0_20block_scan_algorithmE0ELj4294967295EEENS1_25partition_config_selectorILNS1_17partition_subalgoE4EjNS0_10empty_typeEbEEZZNS1_14partition_implILS8_4ELb0ES6_15HIP_vector_typeIjLj2EENS0_17counting_iteratorIjlEEPS9_SG_NS0_5tupleIJPjSI_NS0_16reverse_iteratorISI_EEEEENSH_IJSG_SG_SG_EEES9_SI_JZNS1_25segmented_radix_sort_implINS0_14default_configELb0EPK6__halfPSP_PKlPlN2at6native12_GLOBAL__N_18offset_tEEE10hipError_tPvRmT1_PNSt15iterator_traitsIS13_E10value_typeET2_T3_PNS14_IS19_E10value_typeET4_jRbjT5_S1F_jjP12ihipStream_tbEUljE_ZNSN_ISO_Lb0ESR_SS_SU_SV_SZ_EES10_S11_S12_S13_S17_S18_S19_S1C_S1D_jS1E_jS1F_S1F_jjS1H_bEUljE0_EEES10_S11_S12_S19_S1D_S1F_T6_T7_T9_mT8_S1H_bDpT10_ENKUlT_T0_E_clISt17integral_constantIbLb1EES1U_IbLb0EEEEDaS1Q_S1R_EUlS1Q_E_NS1_11comp_targetILNS1_3genE9ELNS1_11target_archE1100ELNS1_3gpuE3ELNS1_3repE0EEENS1_30default_config_static_selectorELNS0_4arch9wavefront6targetE0EEEvS13_,comdat
	.globl	_ZN7rocprim17ROCPRIM_400000_NS6detail17trampoline_kernelINS0_13select_configILj256ELj13ELNS0_17block_load_methodE3ELS4_3ELS4_3ELNS0_20block_scan_algorithmE0ELj4294967295EEENS1_25partition_config_selectorILNS1_17partition_subalgoE4EjNS0_10empty_typeEbEEZZNS1_14partition_implILS8_4ELb0ES6_15HIP_vector_typeIjLj2EENS0_17counting_iteratorIjlEEPS9_SG_NS0_5tupleIJPjSI_NS0_16reverse_iteratorISI_EEEEENSH_IJSG_SG_SG_EEES9_SI_JZNS1_25segmented_radix_sort_implINS0_14default_configELb0EPK6__halfPSP_PKlPlN2at6native12_GLOBAL__N_18offset_tEEE10hipError_tPvRmT1_PNSt15iterator_traitsIS13_E10value_typeET2_T3_PNS14_IS19_E10value_typeET4_jRbjT5_S1F_jjP12ihipStream_tbEUljE_ZNSN_ISO_Lb0ESR_SS_SU_SV_SZ_EES10_S11_S12_S13_S17_S18_S19_S1C_S1D_jS1E_jS1F_S1F_jjS1H_bEUljE0_EEES10_S11_S12_S19_S1D_S1F_T6_T7_T9_mT8_S1H_bDpT10_ENKUlT_T0_E_clISt17integral_constantIbLb1EES1U_IbLb0EEEEDaS1Q_S1R_EUlS1Q_E_NS1_11comp_targetILNS1_3genE9ELNS1_11target_archE1100ELNS1_3gpuE3ELNS1_3repE0EEENS1_30default_config_static_selectorELNS0_4arch9wavefront6targetE0EEEvS13_ ; -- Begin function _ZN7rocprim17ROCPRIM_400000_NS6detail17trampoline_kernelINS0_13select_configILj256ELj13ELNS0_17block_load_methodE3ELS4_3ELS4_3ELNS0_20block_scan_algorithmE0ELj4294967295EEENS1_25partition_config_selectorILNS1_17partition_subalgoE4EjNS0_10empty_typeEbEEZZNS1_14partition_implILS8_4ELb0ES6_15HIP_vector_typeIjLj2EENS0_17counting_iteratorIjlEEPS9_SG_NS0_5tupleIJPjSI_NS0_16reverse_iteratorISI_EEEEENSH_IJSG_SG_SG_EEES9_SI_JZNS1_25segmented_radix_sort_implINS0_14default_configELb0EPK6__halfPSP_PKlPlN2at6native12_GLOBAL__N_18offset_tEEE10hipError_tPvRmT1_PNSt15iterator_traitsIS13_E10value_typeET2_T3_PNS14_IS19_E10value_typeET4_jRbjT5_S1F_jjP12ihipStream_tbEUljE_ZNSN_ISO_Lb0ESR_SS_SU_SV_SZ_EES10_S11_S12_S13_S17_S18_S19_S1C_S1D_jS1E_jS1F_S1F_jjS1H_bEUljE0_EEES10_S11_S12_S19_S1D_S1F_T6_T7_T9_mT8_S1H_bDpT10_ENKUlT_T0_E_clISt17integral_constantIbLb1EES1U_IbLb0EEEEDaS1Q_S1R_EUlS1Q_E_NS1_11comp_targetILNS1_3genE9ELNS1_11target_archE1100ELNS1_3gpuE3ELNS1_3repE0EEENS1_30default_config_static_selectorELNS0_4arch9wavefront6targetE0EEEvS13_
	.p2align	8
	.type	_ZN7rocprim17ROCPRIM_400000_NS6detail17trampoline_kernelINS0_13select_configILj256ELj13ELNS0_17block_load_methodE3ELS4_3ELS4_3ELNS0_20block_scan_algorithmE0ELj4294967295EEENS1_25partition_config_selectorILNS1_17partition_subalgoE4EjNS0_10empty_typeEbEEZZNS1_14partition_implILS8_4ELb0ES6_15HIP_vector_typeIjLj2EENS0_17counting_iteratorIjlEEPS9_SG_NS0_5tupleIJPjSI_NS0_16reverse_iteratorISI_EEEEENSH_IJSG_SG_SG_EEES9_SI_JZNS1_25segmented_radix_sort_implINS0_14default_configELb0EPK6__halfPSP_PKlPlN2at6native12_GLOBAL__N_18offset_tEEE10hipError_tPvRmT1_PNSt15iterator_traitsIS13_E10value_typeET2_T3_PNS14_IS19_E10value_typeET4_jRbjT5_S1F_jjP12ihipStream_tbEUljE_ZNSN_ISO_Lb0ESR_SS_SU_SV_SZ_EES10_S11_S12_S13_S17_S18_S19_S1C_S1D_jS1E_jS1F_S1F_jjS1H_bEUljE0_EEES10_S11_S12_S19_S1D_S1F_T6_T7_T9_mT8_S1H_bDpT10_ENKUlT_T0_E_clISt17integral_constantIbLb1EES1U_IbLb0EEEEDaS1Q_S1R_EUlS1Q_E_NS1_11comp_targetILNS1_3genE9ELNS1_11target_archE1100ELNS1_3gpuE3ELNS1_3repE0EEENS1_30default_config_static_selectorELNS0_4arch9wavefront6targetE0EEEvS13_,@function
_ZN7rocprim17ROCPRIM_400000_NS6detail17trampoline_kernelINS0_13select_configILj256ELj13ELNS0_17block_load_methodE3ELS4_3ELS4_3ELNS0_20block_scan_algorithmE0ELj4294967295EEENS1_25partition_config_selectorILNS1_17partition_subalgoE4EjNS0_10empty_typeEbEEZZNS1_14partition_implILS8_4ELb0ES6_15HIP_vector_typeIjLj2EENS0_17counting_iteratorIjlEEPS9_SG_NS0_5tupleIJPjSI_NS0_16reverse_iteratorISI_EEEEENSH_IJSG_SG_SG_EEES9_SI_JZNS1_25segmented_radix_sort_implINS0_14default_configELb0EPK6__halfPSP_PKlPlN2at6native12_GLOBAL__N_18offset_tEEE10hipError_tPvRmT1_PNSt15iterator_traitsIS13_E10value_typeET2_T3_PNS14_IS19_E10value_typeET4_jRbjT5_S1F_jjP12ihipStream_tbEUljE_ZNSN_ISO_Lb0ESR_SS_SU_SV_SZ_EES10_S11_S12_S13_S17_S18_S19_S1C_S1D_jS1E_jS1F_S1F_jjS1H_bEUljE0_EEES10_S11_S12_S19_S1D_S1F_T6_T7_T9_mT8_S1H_bDpT10_ENKUlT_T0_E_clISt17integral_constantIbLb1EES1U_IbLb0EEEEDaS1Q_S1R_EUlS1Q_E_NS1_11comp_targetILNS1_3genE9ELNS1_11target_archE1100ELNS1_3gpuE3ELNS1_3repE0EEENS1_30default_config_static_selectorELNS0_4arch9wavefront6targetE0EEEvS13_: ; @_ZN7rocprim17ROCPRIM_400000_NS6detail17trampoline_kernelINS0_13select_configILj256ELj13ELNS0_17block_load_methodE3ELS4_3ELS4_3ELNS0_20block_scan_algorithmE0ELj4294967295EEENS1_25partition_config_selectorILNS1_17partition_subalgoE4EjNS0_10empty_typeEbEEZZNS1_14partition_implILS8_4ELb0ES6_15HIP_vector_typeIjLj2EENS0_17counting_iteratorIjlEEPS9_SG_NS0_5tupleIJPjSI_NS0_16reverse_iteratorISI_EEEEENSH_IJSG_SG_SG_EEES9_SI_JZNS1_25segmented_radix_sort_implINS0_14default_configELb0EPK6__halfPSP_PKlPlN2at6native12_GLOBAL__N_18offset_tEEE10hipError_tPvRmT1_PNSt15iterator_traitsIS13_E10value_typeET2_T3_PNS14_IS19_E10value_typeET4_jRbjT5_S1F_jjP12ihipStream_tbEUljE_ZNSN_ISO_Lb0ESR_SS_SU_SV_SZ_EES10_S11_S12_S13_S17_S18_S19_S1C_S1D_jS1E_jS1F_S1F_jjS1H_bEUljE0_EEES10_S11_S12_S19_S1D_S1F_T6_T7_T9_mT8_S1H_bDpT10_ENKUlT_T0_E_clISt17integral_constantIbLb1EES1U_IbLb0EEEEDaS1Q_S1R_EUlS1Q_E_NS1_11comp_targetILNS1_3genE9ELNS1_11target_archE1100ELNS1_3gpuE3ELNS1_3repE0EEENS1_30default_config_static_selectorELNS0_4arch9wavefront6targetE0EEEvS13_
; %bb.0:
	s_clause 0x6
	s_load_b32 s5, s[0:1], 0x80
	s_load_b64 s[34:35], s[0:1], 0x10
	s_load_b64 s[2:3], s[0:1], 0x68
	s_load_b32 s8, s[0:1], 0x8
	s_load_b128 s[24:27], s[0:1], 0x58
	s_load_b64 s[40:41], s[0:1], 0xa8
	s_load_b256 s[16:23], s[0:1], 0x88
	s_mul_i32 s33, s15, 0xd00
	s_waitcnt lgkmcnt(0)
	s_mul_i32 s4, s5, 0xd00
	s_add_i32 s5, s5, -1
	s_add_u32 s6, s34, s4
	s_addc_u32 s7, s35, 0
	s_load_b128 s[28:31], s[26:27], 0x0
	s_cmp_eq_u32 s15, s5
	v_cmp_lt_u64_e64 s3, s[6:7], s[2:3]
	s_cselect_b32 s14, -1, 0
	s_cmp_lg_u32 s15, s5
	s_cselect_b32 s5, -1, 0
	s_add_i32 s6, s8, s33
	s_delay_alu instid0(VALU_DEP_1) | instskip(SKIP_4) | instid1(VALU_DEP_1)
	s_or_b32 s3, s5, s3
	s_add_i32 s6, s6, s34
	s_and_b32 vcc_lo, exec_lo, s3
	v_add_nc_u32_e32 v1, s6, v0
	s_mov_b32 s5, -1
	v_add_nc_u32_e32 v2, 0x100, v1
	v_add_nc_u32_e32 v3, 0x200, v1
	v_add_nc_u32_e32 v4, 0x300, v1
	v_add_nc_u32_e32 v5, 0x400, v1
	v_add_nc_u32_e32 v6, 0x500, v1
	v_add_nc_u32_e32 v7, 0x600, v1
	v_add_nc_u32_e32 v8, 0x700, v1
	v_add_nc_u32_e32 v9, 0x800, v1
	v_add_nc_u32_e32 v10, 0x900, v1
	v_add_nc_u32_e32 v11, 0xa00, v1
	v_add_nc_u32_e32 v12, 0xb00, v1
	v_add_nc_u32_e32 v13, 0xc00, v1
	s_cbranch_vccz .LBB1800_2
; %bb.1:
	v_lshlrev_b32_e32 v14, 2, v0
	s_mov_b32 s5, 0
	ds_store_2addr_stride64_b32 v14, v1, v2 offset1:4
	ds_store_2addr_stride64_b32 v14, v3, v4 offset0:8 offset1:12
	ds_store_2addr_stride64_b32 v14, v5, v6 offset0:16 offset1:20
	;; [unrolled: 1-line block ×5, first 2 shown]
	ds_store_b32 v14, v13 offset:12288
	s_waitcnt lgkmcnt(0)
	s_barrier
.LBB1800_2:
	s_and_not1_b32 vcc_lo, exec_lo, s5
	s_add_i32 s4, s4, s34
	s_cbranch_vccnz .LBB1800_4
; %bb.3:
	v_lshlrev_b32_e32 v14, 2, v0
	ds_store_2addr_stride64_b32 v14, v1, v2 offset1:4
	ds_store_2addr_stride64_b32 v14, v3, v4 offset0:8 offset1:12
	ds_store_2addr_stride64_b32 v14, v5, v6 offset0:16 offset1:20
	;; [unrolled: 1-line block ×5, first 2 shown]
	ds_store_b32 v14, v13 offset:12288
	s_waitcnt lgkmcnt(0)
	s_barrier
.LBB1800_4:
	v_mul_u32_u24_e32 v28, 13, v0
	s_clause 0x1
	s_load_b128 s[36:39], s[0:1], 0x28
	s_load_b64 s[26:27], s[0:1], 0x38
	s_waitcnt lgkmcnt(0)
	buffer_gl0_inv
	v_cndmask_b32_e64 v26, 0, 1, s3
	s_sub_i32 s44, s2, s4
	v_lshlrev_b32_e32 v1, 2, v28
	s_and_not1_b32 vcc_lo, exec_lo, s3
	ds_load_2addr_b32 v[16:17], v1 offset1:1
	ds_load_2addr_b32 v[14:15], v1 offset0:2 offset1:3
	ds_load_2addr_b32 v[12:13], v1 offset0:4 offset1:5
	ds_load_2addr_b32 v[10:11], v1 offset0:6 offset1:7
	ds_load_2addr_b32 v[8:9], v1 offset0:8 offset1:9
	ds_load_2addr_b32 v[6:7], v1 offset0:10 offset1:11
	ds_load_b32 v27, v1 offset:48
	s_waitcnt lgkmcnt(0)
	s_barrier
	buffer_gl0_inv
	s_cbranch_vccnz .LBB1800_32
; %bb.5:
	v_add_nc_u32_e32 v1, s17, v16
	v_add_nc_u32_e32 v2, s19, v16
	s_mov_b32 s46, 0
	s_mov_b32 s45, 0
	s_mov_b32 s3, exec_lo
	v_mul_lo_u32 v1, v1, s16
	v_mul_lo_u32 v2, v2, s18
	s_delay_alu instid0(VALU_DEP_1) | instskip(NEXT) | instid1(VALU_DEP_1)
	v_sub_nc_u32_e32 v1, v1, v2
	v_cmp_lt_u32_e32 vcc_lo, s20, v1
	v_cmpx_ge_u32_e64 s20, v1
; %bb.6:
	v_add_nc_u32_e32 v1, s22, v16
	v_add_nc_u32_e32 v2, s40, v16
	s_delay_alu instid0(VALU_DEP_2) | instskip(NEXT) | instid1(VALU_DEP_2)
	v_mul_lo_u32 v1, v1, s21
	v_mul_lo_u32 v2, v2, s23
	s_delay_alu instid0(VALU_DEP_1) | instskip(NEXT) | instid1(VALU_DEP_1)
	v_sub_nc_u32_e32 v1, v1, v2
	v_cmp_lt_u32_e64 s2, s41, v1
	s_delay_alu instid0(VALU_DEP_1)
	s_and_b32 s45, s2, exec_lo
; %bb.7:
	s_or_b32 exec_lo, exec_lo, s3
	v_add_nc_u32_e32 v1, s17, v17
	v_add_nc_u32_e32 v2, s19, v17
	s_mov_b32 s4, exec_lo
	s_delay_alu instid0(VALU_DEP_2) | instskip(NEXT) | instid1(VALU_DEP_2)
	v_mul_lo_u32 v1, v1, s16
	v_mul_lo_u32 v2, v2, s18
	s_delay_alu instid0(VALU_DEP_1) | instskip(NEXT) | instid1(VALU_DEP_1)
	v_sub_nc_u32_e32 v1, v1, v2
	v_cmp_lt_u32_e64 s2, s20, v1
	v_cmpx_ge_u32_e64 s20, v1
; %bb.8:
	v_add_nc_u32_e32 v1, s22, v17
	v_add_nc_u32_e32 v2, s40, v17
	s_delay_alu instid0(VALU_DEP_2) | instskip(NEXT) | instid1(VALU_DEP_2)
	v_mul_lo_u32 v1, v1, s21
	v_mul_lo_u32 v2, v2, s23
	s_delay_alu instid0(VALU_DEP_1) | instskip(NEXT) | instid1(VALU_DEP_1)
	v_sub_nc_u32_e32 v1, v1, v2
	v_cmp_lt_u32_e64 s3, s41, v1
	s_delay_alu instid0(VALU_DEP_1)
	s_and_b32 s46, s3, exec_lo
; %bb.9:
	s_or_b32 exec_lo, exec_lo, s4
	v_add_nc_u32_e32 v1, s17, v14
	v_add_nc_u32_e32 v2, s19, v14
	s_mov_b32 s48, 0
	s_mov_b32 s47, 0
	s_mov_b32 s5, exec_lo
	v_mul_lo_u32 v1, v1, s16
	v_mul_lo_u32 v2, v2, s18
	s_delay_alu instid0(VALU_DEP_1) | instskip(NEXT) | instid1(VALU_DEP_1)
	v_sub_nc_u32_e32 v1, v1, v2
	v_cmp_lt_u32_e64 s3, s20, v1
	v_cmpx_ge_u32_e64 s20, v1
; %bb.10:
	v_add_nc_u32_e32 v1, s22, v14
	v_add_nc_u32_e32 v2, s40, v14
	s_delay_alu instid0(VALU_DEP_2) | instskip(NEXT) | instid1(VALU_DEP_2)
	v_mul_lo_u32 v1, v1, s21
	v_mul_lo_u32 v2, v2, s23
	s_delay_alu instid0(VALU_DEP_1) | instskip(NEXT) | instid1(VALU_DEP_1)
	v_sub_nc_u32_e32 v1, v1, v2
	v_cmp_lt_u32_e64 s4, s41, v1
	s_delay_alu instid0(VALU_DEP_1)
	s_and_b32 s47, s4, exec_lo
; %bb.11:
	s_or_b32 exec_lo, exec_lo, s5
	v_add_nc_u32_e32 v1, s17, v15
	v_add_nc_u32_e32 v2, s19, v15
	s_mov_b32 s6, exec_lo
	s_delay_alu instid0(VALU_DEP_2) | instskip(NEXT) | instid1(VALU_DEP_2)
	v_mul_lo_u32 v1, v1, s16
	v_mul_lo_u32 v2, v2, s18
	s_delay_alu instid0(VALU_DEP_1) | instskip(NEXT) | instid1(VALU_DEP_1)
	v_sub_nc_u32_e32 v1, v1, v2
	v_cmp_lt_u32_e64 s4, s20, v1
	v_cmpx_ge_u32_e64 s20, v1
; %bb.12:
	v_add_nc_u32_e32 v1, s22, v15
	v_add_nc_u32_e32 v2, s40, v15
	s_delay_alu instid0(VALU_DEP_2) | instskip(NEXT) | instid1(VALU_DEP_2)
	v_mul_lo_u32 v1, v1, s21
	v_mul_lo_u32 v2, v2, s23
	s_delay_alu instid0(VALU_DEP_1) | instskip(NEXT) | instid1(VALU_DEP_1)
	v_sub_nc_u32_e32 v1, v1, v2
	v_cmp_lt_u32_e64 s5, s41, v1
	s_delay_alu instid0(VALU_DEP_1)
	s_and_b32 s48, s5, exec_lo
; %bb.13:
	s_or_b32 exec_lo, exec_lo, s6
	v_add_nc_u32_e32 v1, s17, v12
	v_add_nc_u32_e32 v2, s19, v12
	s_mov_b32 s50, 0
	s_mov_b32 s49, 0
	s_mov_b32 s7, exec_lo
	v_mul_lo_u32 v1, v1, s16
	v_mul_lo_u32 v2, v2, s18
	s_delay_alu instid0(VALU_DEP_1) | instskip(NEXT) | instid1(VALU_DEP_1)
	v_sub_nc_u32_e32 v1, v1, v2
	v_cmp_lt_u32_e64 s5, s20, v1
	;; [unrolled: 47-line block ×5, first 2 shown]
	v_cmpx_ge_u32_e64 s20, v1
; %bb.26:
	v_add_nc_u32_e32 v1, s22, v6
	v_add_nc_u32_e32 v2, s40, v6
	s_delay_alu instid0(VALU_DEP_2) | instskip(NEXT) | instid1(VALU_DEP_2)
	v_mul_lo_u32 v1, v1, s21
	v_mul_lo_u32 v2, v2, s23
	s_delay_alu instid0(VALU_DEP_1) | instskip(NEXT) | instid1(VALU_DEP_1)
	v_sub_nc_u32_e32 v1, v1, v2
	v_cmp_lt_u32_e64 s12, s41, v1
	s_delay_alu instid0(VALU_DEP_1)
	s_and_b32 s57, s12, exec_lo
; %bb.27:
	s_or_b32 exec_lo, exec_lo, s13
	v_add_nc_u32_e32 v1, s17, v7
	v_add_nc_u32_e32 v2, s19, v7
	s_mov_b32 s42, exec_lo
	s_delay_alu instid0(VALU_DEP_2) | instskip(NEXT) | instid1(VALU_DEP_2)
	v_mul_lo_u32 v1, v1, s16
	v_mul_lo_u32 v2, v2, s18
	s_delay_alu instid0(VALU_DEP_1) | instskip(NEXT) | instid1(VALU_DEP_1)
	v_sub_nc_u32_e32 v1, v1, v2
	v_cmp_lt_u32_e64 s12, s20, v1
	v_cmpx_ge_u32_e64 s20, v1
; %bb.28:
	v_add_nc_u32_e32 v1, s22, v7
	v_add_nc_u32_e32 v2, s40, v7
	s_delay_alu instid0(VALU_DEP_2) | instskip(NEXT) | instid1(VALU_DEP_2)
	v_mul_lo_u32 v1, v1, s21
	v_mul_lo_u32 v2, v2, s23
	s_delay_alu instid0(VALU_DEP_1) | instskip(NEXT) | instid1(VALU_DEP_1)
	v_sub_nc_u32_e32 v1, v1, v2
	v_cmp_lt_u32_e64 s13, s41, v1
	s_delay_alu instid0(VALU_DEP_1)
	s_and_b32 s56, s13, exec_lo
; %bb.29:
	s_or_b32 exec_lo, exec_lo, s42
	v_add_nc_u32_e32 v1, s17, v27
	v_add_nc_u32_e32 v2, s19, v27
	s_mov_b32 s42, -1
	s_mov_b32 s53, 0
	s_mov_b32 s43, 0
	v_mul_lo_u32 v1, v1, s16
	v_mul_lo_u32 v2, v2, s18
	s_mov_b32 s58, exec_lo
	s_delay_alu instid0(VALU_DEP_1) | instskip(NEXT) | instid1(VALU_DEP_1)
	v_sub_nc_u32_e32 v1, v1, v2
	v_cmpx_ge_u32_e64 s20, v1
; %bb.30:
	v_add_nc_u32_e32 v1, s22, v27
	v_add_nc_u32_e32 v2, s40, v27
	s_xor_b32 s42, exec_lo, -1
	s_delay_alu instid0(VALU_DEP_2) | instskip(NEXT) | instid1(VALU_DEP_2)
	v_mul_lo_u32 v1, v1, s21
	v_mul_lo_u32 v2, v2, s23
	s_delay_alu instid0(VALU_DEP_1) | instskip(NEXT) | instid1(VALU_DEP_1)
	v_sub_nc_u32_e32 v1, v1, v2
	v_cmp_lt_u32_e64 s13, s41, v1
	s_delay_alu instid0(VALU_DEP_1)
	s_and_b32 s43, s13, exec_lo
; %bb.31:
	s_or_b32 exec_lo, exec_lo, s58
	v_cndmask_b32_e64 v48, 0, 1, s57
	v_cndmask_b32_e64 v51, 0, 1, s12
	;; [unrolled: 1-line block ×22, first 2 shown]
	v_cndmask_b32_e64 v29, 0, 1, vcc_lo
	v_cndmask_b32_e64 v52, 0, 1, s56
	s_load_b64 s[4:5], s[0:1], 0x78
	s_and_b32 vcc_lo, exec_lo, s53
	s_add_i32 s3, s44, 0xd00
	s_cbranch_vccnz .LBB1800_33
	s_branch .LBB1800_86
.LBB1800_32:
                                        ; implicit-def: $sgpr42
                                        ; implicit-def: $sgpr43
                                        ; implicit-def: $vgpr52
                                        ; implicit-def: $vgpr48
                                        ; implicit-def: $vgpr47
                                        ; implicit-def: $vgpr45
                                        ; implicit-def: $vgpr43
                                        ; implicit-def: $vgpr40
                                        ; implicit-def: $vgpr39
                                        ; implicit-def: $vgpr37
                                        ; implicit-def: $vgpr35
                                        ; implicit-def: $vgpr29
                                        ; implicit-def: $vgpr33
                                        ; implicit-def: $vgpr31
                                        ; implicit-def: $vgpr32
                                        ; implicit-def: $vgpr38
                                        ; implicit-def: $vgpr41
                                        ; implicit-def: $vgpr42
                                        ; implicit-def: $vgpr44
                                        ; implicit-def: $vgpr46
                                        ; implicit-def: $vgpr49
                                        ; implicit-def: $vgpr50
                                        ; implicit-def: $vgpr51
                                        ; implicit-def: $vgpr30
                                        ; implicit-def: $vgpr34
                                        ; implicit-def: $vgpr36
	s_load_b64 s[4:5], s[0:1], 0x78
	s_add_i32 s3, s44, 0xd00
	s_cbranch_execz .LBB1800_86
.LBB1800_33:
	v_dual_mov_b32 v30, 0 :: v_dual_mov_b32 v29, 0
	s_mov_b32 s2, 0
	s_mov_b32 s1, exec_lo
	v_cmpx_gt_u32_e64 s3, v28
	s_cbranch_execz .LBB1800_37
; %bb.34:
	v_add_nc_u32_e32 v1, s17, v16
	v_add_nc_u32_e32 v2, s19, v16
	s_mov_b32 s6, exec_lo
	s_delay_alu instid0(VALU_DEP_2) | instskip(NEXT) | instid1(VALU_DEP_2)
	v_mul_lo_u32 v1, v1, s16
	v_mul_lo_u32 v2, v2, s18
	s_delay_alu instid0(VALU_DEP_1) | instskip(NEXT) | instid1(VALU_DEP_1)
	v_sub_nc_u32_e32 v1, v1, v2
	v_cmp_lt_u32_e32 vcc_lo, s20, v1
	v_cmpx_ge_u32_e64 s20, v1
; %bb.35:
	v_add_nc_u32_e32 v1, s22, v16
	v_add_nc_u32_e32 v2, s40, v16
	s_delay_alu instid0(VALU_DEP_2) | instskip(NEXT) | instid1(VALU_DEP_2)
	v_mul_lo_u32 v1, v1, s21
	v_mul_lo_u32 v2, v2, s23
	s_delay_alu instid0(VALU_DEP_1) | instskip(NEXT) | instid1(VALU_DEP_1)
	v_sub_nc_u32_e32 v1, v1, v2
	v_cmp_lt_u32_e64 s0, s41, v1
	s_delay_alu instid0(VALU_DEP_1)
	s_and_b32 s2, s0, exec_lo
; %bb.36:
	s_or_b32 exec_lo, exec_lo, s6
	v_cndmask_b32_e64 v29, 0, 1, vcc_lo
	v_cndmask_b32_e64 v30, 0, 1, s2
.LBB1800_37:
	s_or_b32 exec_lo, exec_lo, s1
	v_dual_mov_b32 v34, 0 :: v_dual_add_nc_u32 v1, 1, v28
	v_mov_b32_e32 v33, 0
	s_mov_b32 s2, 0
	s_mov_b32 s1, exec_lo
	s_delay_alu instid0(VALU_DEP_2)
	v_cmpx_gt_u32_e64 s3, v1
	s_cbranch_execz .LBB1800_41
; %bb.38:
	v_add_nc_u32_e32 v1, s17, v17
	v_add_nc_u32_e32 v2, s19, v17
	s_mov_b32 s6, exec_lo
	s_delay_alu instid0(VALU_DEP_2) | instskip(NEXT) | instid1(VALU_DEP_2)
	v_mul_lo_u32 v1, v1, s16
	v_mul_lo_u32 v2, v2, s18
	s_delay_alu instid0(VALU_DEP_1) | instskip(NEXT) | instid1(VALU_DEP_1)
	v_sub_nc_u32_e32 v1, v1, v2
	v_cmp_lt_u32_e32 vcc_lo, s20, v1
	v_cmpx_ge_u32_e64 s20, v1
; %bb.39:
	v_add_nc_u32_e32 v1, s22, v17
	v_add_nc_u32_e32 v2, s40, v17
	s_delay_alu instid0(VALU_DEP_2) | instskip(NEXT) | instid1(VALU_DEP_2)
	v_mul_lo_u32 v1, v1, s21
	v_mul_lo_u32 v2, v2, s23
	s_delay_alu instid0(VALU_DEP_1) | instskip(NEXT) | instid1(VALU_DEP_1)
	v_sub_nc_u32_e32 v1, v1, v2
	v_cmp_lt_u32_e64 s0, s41, v1
	s_delay_alu instid0(VALU_DEP_1)
	s_and_b32 s2, s0, exec_lo
; %bb.40:
	s_or_b32 exec_lo, exec_lo, s6
	v_cndmask_b32_e64 v33, 0, 1, vcc_lo
	v_cndmask_b32_e64 v34, 0, 1, s2
.LBB1800_41:
	s_or_b32 exec_lo, exec_lo, s1
	v_dual_mov_b32 v36, 0 :: v_dual_add_nc_u32 v1, 2, v28
	v_mov_b32_e32 v31, 0
	s_mov_b32 s2, 0
	s_mov_b32 s1, exec_lo
	s_delay_alu instid0(VALU_DEP_2)
	;; [unrolled: 35-line block ×4, first 2 shown]
	v_cmpx_gt_u32_e64 s3, v1
	s_cbranch_execz .LBB1800_53
; %bb.50:
	v_add_nc_u32_e32 v1, s17, v12
	v_add_nc_u32_e32 v2, s19, v12
	s_mov_b32 s6, exec_lo
	s_delay_alu instid0(VALU_DEP_2) | instskip(NEXT) | instid1(VALU_DEP_2)
	v_mul_lo_u32 v1, v1, s16
	v_mul_lo_u32 v2, v2, s18
	s_delay_alu instid0(VALU_DEP_1) | instskip(NEXT) | instid1(VALU_DEP_1)
	v_sub_nc_u32_e32 v1, v1, v2
	v_cmp_lt_u32_e32 vcc_lo, s20, v1
	v_cmpx_ge_u32_e64 s20, v1
; %bb.51:
	v_add_nc_u32_e32 v1, s22, v12
	v_add_nc_u32_e32 v2, s40, v12
	s_delay_alu instid0(VALU_DEP_2) | instskip(NEXT) | instid1(VALU_DEP_2)
	v_mul_lo_u32 v1, v1, s21
	v_mul_lo_u32 v2, v2, s23
	s_delay_alu instid0(VALU_DEP_1) | instskip(NEXT) | instid1(VALU_DEP_1)
	v_sub_nc_u32_e32 v1, v1, v2
	v_cmp_lt_u32_e64 s0, s41, v1
	s_delay_alu instid0(VALU_DEP_1)
	s_and_b32 s2, s0, exec_lo
; %bb.52:
	s_or_b32 exec_lo, exec_lo, s6
	v_cndmask_b32_e64 v38, 0, 1, vcc_lo
	v_cndmask_b32_e64 v37, 0, 1, s2
.LBB1800_53:
	s_or_b32 exec_lo, exec_lo, s1
	v_add_nc_u32_e32 v1, 5, v28
	v_mov_b32_e32 v39, 0
	v_mov_b32_e32 v41, 0
	s_mov_b32 s2, 0
	s_mov_b32 s1, exec_lo
	v_cmpx_gt_u32_e64 s3, v1
	s_cbranch_execz .LBB1800_57
; %bb.54:
	v_add_nc_u32_e32 v1, s17, v13
	v_add_nc_u32_e32 v2, s19, v13
	s_mov_b32 s6, exec_lo
	s_delay_alu instid0(VALU_DEP_2) | instskip(NEXT) | instid1(VALU_DEP_2)
	v_mul_lo_u32 v1, v1, s16
	v_mul_lo_u32 v2, v2, s18
	s_delay_alu instid0(VALU_DEP_1) | instskip(NEXT) | instid1(VALU_DEP_1)
	v_sub_nc_u32_e32 v1, v1, v2
	v_cmp_lt_u32_e32 vcc_lo, s20, v1
	v_cmpx_ge_u32_e64 s20, v1
; %bb.55:
	v_add_nc_u32_e32 v1, s22, v13
	v_add_nc_u32_e32 v2, s40, v13
	s_delay_alu instid0(VALU_DEP_2) | instskip(NEXT) | instid1(VALU_DEP_2)
	v_mul_lo_u32 v1, v1, s21
	v_mul_lo_u32 v2, v2, s23
	s_delay_alu instid0(VALU_DEP_1) | instskip(NEXT) | instid1(VALU_DEP_1)
	v_sub_nc_u32_e32 v1, v1, v2
	v_cmp_lt_u32_e64 s0, s41, v1
	s_delay_alu instid0(VALU_DEP_1)
	s_and_b32 s2, s0, exec_lo
; %bb.56:
	s_or_b32 exec_lo, exec_lo, s6
	v_cndmask_b32_e64 v41, 0, 1, vcc_lo
	v_cndmask_b32_e64 v39, 0, 1, s2
.LBB1800_57:
	s_or_b32 exec_lo, exec_lo, s1
	v_dual_mov_b32 v40, 0 :: v_dual_add_nc_u32 v1, 6, v28
	v_mov_b32_e32 v42, 0
	s_mov_b32 s2, 0
	s_mov_b32 s1, exec_lo
	s_delay_alu instid0(VALU_DEP_2)
	v_cmpx_gt_u32_e64 s3, v1
	s_cbranch_execz .LBB1800_61
; %bb.58:
	v_add_nc_u32_e32 v1, s17, v10
	v_add_nc_u32_e32 v2, s19, v10
	s_mov_b32 s6, exec_lo
	s_delay_alu instid0(VALU_DEP_2) | instskip(NEXT) | instid1(VALU_DEP_2)
	v_mul_lo_u32 v1, v1, s16
	v_mul_lo_u32 v2, v2, s18
	s_delay_alu instid0(VALU_DEP_1) | instskip(NEXT) | instid1(VALU_DEP_1)
	v_sub_nc_u32_e32 v1, v1, v2
	v_cmp_lt_u32_e32 vcc_lo, s20, v1
	v_cmpx_ge_u32_e64 s20, v1
; %bb.59:
	v_add_nc_u32_e32 v1, s22, v10
	v_add_nc_u32_e32 v2, s40, v10
	s_delay_alu instid0(VALU_DEP_2) | instskip(NEXT) | instid1(VALU_DEP_2)
	v_mul_lo_u32 v1, v1, s21
	v_mul_lo_u32 v2, v2, s23
	s_delay_alu instid0(VALU_DEP_1) | instskip(NEXT) | instid1(VALU_DEP_1)
	v_sub_nc_u32_e32 v1, v1, v2
	v_cmp_lt_u32_e64 s0, s41, v1
	s_delay_alu instid0(VALU_DEP_1)
	s_and_b32 s2, s0, exec_lo
; %bb.60:
	s_or_b32 exec_lo, exec_lo, s6
	v_cndmask_b32_e64 v42, 0, 1, vcc_lo
	v_cndmask_b32_e64 v40, 0, 1, s2
.LBB1800_61:
	s_or_b32 exec_lo, exec_lo, s1
	v_dual_mov_b32 v44, 0 :: v_dual_add_nc_u32 v1, 7, v28
	v_mov_b32_e32 v43, 0
	s_mov_b32 s2, 0
	s_mov_b32 s1, exec_lo
	s_delay_alu instid0(VALU_DEP_2)
	;; [unrolled: 35-line block ×3, first 2 shown]
	v_cmpx_gt_u32_e64 s3, v1
	s_cbranch_execz .LBB1800_69
; %bb.66:
	v_add_nc_u32_e32 v1, s17, v8
	v_add_nc_u32_e32 v2, s19, v8
	s_mov_b32 s6, exec_lo
	s_delay_alu instid0(VALU_DEP_2) | instskip(NEXT) | instid1(VALU_DEP_2)
	v_mul_lo_u32 v1, v1, s16
	v_mul_lo_u32 v2, v2, s18
	s_delay_alu instid0(VALU_DEP_1) | instskip(NEXT) | instid1(VALU_DEP_1)
	v_sub_nc_u32_e32 v1, v1, v2
	v_cmp_lt_u32_e32 vcc_lo, s20, v1
	v_cmpx_ge_u32_e64 s20, v1
; %bb.67:
	v_add_nc_u32_e32 v1, s22, v8
	v_add_nc_u32_e32 v2, s40, v8
	s_delay_alu instid0(VALU_DEP_2) | instskip(NEXT) | instid1(VALU_DEP_2)
	v_mul_lo_u32 v1, v1, s21
	v_mul_lo_u32 v2, v2, s23
	s_delay_alu instid0(VALU_DEP_1) | instskip(NEXT) | instid1(VALU_DEP_1)
	v_sub_nc_u32_e32 v1, v1, v2
	v_cmp_lt_u32_e64 s0, s41, v1
	s_delay_alu instid0(VALU_DEP_1)
	s_and_b32 s2, s0, exec_lo
; %bb.68:
	s_or_b32 exec_lo, exec_lo, s6
	v_cndmask_b32_e64 v46, 0, 1, vcc_lo
	v_cndmask_b32_e64 v45, 0, 1, s2
.LBB1800_69:
	s_or_b32 exec_lo, exec_lo, s1
	v_add_nc_u32_e32 v1, 9, v28
	v_mov_b32_e32 v47, 0
	v_mov_b32_e32 v49, 0
	s_mov_b32 s2, 0
	s_mov_b32 s1, exec_lo
	v_cmpx_gt_u32_e64 s3, v1
	s_cbranch_execz .LBB1800_73
; %bb.70:
	v_add_nc_u32_e32 v1, s17, v9
	v_add_nc_u32_e32 v2, s19, v9
	s_mov_b32 s6, exec_lo
	s_delay_alu instid0(VALU_DEP_2) | instskip(NEXT) | instid1(VALU_DEP_2)
	v_mul_lo_u32 v1, v1, s16
	v_mul_lo_u32 v2, v2, s18
	s_delay_alu instid0(VALU_DEP_1) | instskip(NEXT) | instid1(VALU_DEP_1)
	v_sub_nc_u32_e32 v1, v1, v2
	v_cmp_lt_u32_e32 vcc_lo, s20, v1
	v_cmpx_ge_u32_e64 s20, v1
; %bb.71:
	v_add_nc_u32_e32 v1, s22, v9
	v_add_nc_u32_e32 v2, s40, v9
	s_delay_alu instid0(VALU_DEP_2) | instskip(NEXT) | instid1(VALU_DEP_2)
	v_mul_lo_u32 v1, v1, s21
	v_mul_lo_u32 v2, v2, s23
	s_delay_alu instid0(VALU_DEP_1) | instskip(NEXT) | instid1(VALU_DEP_1)
	v_sub_nc_u32_e32 v1, v1, v2
	v_cmp_lt_u32_e64 s0, s41, v1
	s_delay_alu instid0(VALU_DEP_1)
	s_and_b32 s2, s0, exec_lo
; %bb.72:
	s_or_b32 exec_lo, exec_lo, s6
	v_cndmask_b32_e64 v49, 0, 1, vcc_lo
	v_cndmask_b32_e64 v47, 0, 1, s2
.LBB1800_73:
	s_or_b32 exec_lo, exec_lo, s1
	v_dual_mov_b32 v48, 0 :: v_dual_add_nc_u32 v1, 10, v28
	v_mov_b32_e32 v50, 0
	s_mov_b32 s2, 0
	s_mov_b32 s1, exec_lo
	s_delay_alu instid0(VALU_DEP_2)
	v_cmpx_gt_u32_e64 s3, v1
	s_cbranch_execz .LBB1800_77
; %bb.74:
	v_add_nc_u32_e32 v1, s17, v6
	v_add_nc_u32_e32 v2, s19, v6
	s_mov_b32 s6, exec_lo
	s_delay_alu instid0(VALU_DEP_2) | instskip(NEXT) | instid1(VALU_DEP_2)
	v_mul_lo_u32 v1, v1, s16
	v_mul_lo_u32 v2, v2, s18
	s_delay_alu instid0(VALU_DEP_1) | instskip(NEXT) | instid1(VALU_DEP_1)
	v_sub_nc_u32_e32 v1, v1, v2
	v_cmp_lt_u32_e32 vcc_lo, s20, v1
	v_cmpx_ge_u32_e64 s20, v1
; %bb.75:
	v_add_nc_u32_e32 v1, s22, v6
	v_add_nc_u32_e32 v2, s40, v6
	s_delay_alu instid0(VALU_DEP_2) | instskip(NEXT) | instid1(VALU_DEP_2)
	v_mul_lo_u32 v1, v1, s21
	v_mul_lo_u32 v2, v2, s23
	s_delay_alu instid0(VALU_DEP_1) | instskip(NEXT) | instid1(VALU_DEP_1)
	v_sub_nc_u32_e32 v1, v1, v2
	v_cmp_lt_u32_e64 s0, s41, v1
	s_delay_alu instid0(VALU_DEP_1)
	s_and_b32 s2, s0, exec_lo
; %bb.76:
	s_or_b32 exec_lo, exec_lo, s6
	v_cndmask_b32_e64 v50, 0, 1, vcc_lo
	v_cndmask_b32_e64 v48, 0, 1, s2
.LBB1800_77:
	s_or_b32 exec_lo, exec_lo, s1
	v_dual_mov_b32 v52, 0 :: v_dual_add_nc_u32 v1, 11, v28
	v_mov_b32_e32 v51, 0
	s_mov_b32 s2, 0
	s_mov_b32 s1, exec_lo
	s_delay_alu instid0(VALU_DEP_2)
	v_cmpx_gt_u32_e64 s3, v1
	s_cbranch_execz .LBB1800_81
; %bb.78:
	v_add_nc_u32_e32 v1, s17, v7
	v_add_nc_u32_e32 v2, s19, v7
	s_mov_b32 s6, exec_lo
	s_delay_alu instid0(VALU_DEP_2) | instskip(NEXT) | instid1(VALU_DEP_2)
	v_mul_lo_u32 v1, v1, s16
	v_mul_lo_u32 v2, v2, s18
	s_delay_alu instid0(VALU_DEP_1) | instskip(NEXT) | instid1(VALU_DEP_1)
	v_sub_nc_u32_e32 v1, v1, v2
	v_cmp_lt_u32_e32 vcc_lo, s20, v1
	v_cmpx_ge_u32_e64 s20, v1
; %bb.79:
	v_add_nc_u32_e32 v1, s22, v7
	v_add_nc_u32_e32 v2, s40, v7
	s_delay_alu instid0(VALU_DEP_2) | instskip(NEXT) | instid1(VALU_DEP_2)
	v_mul_lo_u32 v1, v1, s21
	v_mul_lo_u32 v2, v2, s23
	s_delay_alu instid0(VALU_DEP_1) | instskip(NEXT) | instid1(VALU_DEP_1)
	v_sub_nc_u32_e32 v1, v1, v2
	v_cmp_lt_u32_e64 s0, s41, v1
	s_delay_alu instid0(VALU_DEP_1)
	s_and_b32 s2, s0, exec_lo
; %bb.80:
	s_or_b32 exec_lo, exec_lo, s6
	v_cndmask_b32_e64 v51, 0, 1, vcc_lo
	v_cndmask_b32_e64 v52, 0, 1, s2
.LBB1800_81:
	s_or_b32 exec_lo, exec_lo, s1
	v_add_nc_u32_e32 v1, 12, v28
	s_mov_b32 s42, 0
	s_mov_b32 s43, 0
	s_mov_b32 s0, exec_lo
	s_delay_alu instid0(VALU_DEP_1)
	v_cmpx_gt_u32_e64 s3, v1
	s_cbranch_execz .LBB1800_85
; %bb.82:
	v_add_nc_u32_e32 v1, s17, v27
	v_add_nc_u32_e32 v2, s19, v27
	s_mov_b32 s2, -1
	s_mov_b32 s6, 0
	s_mov_b32 s1, exec_lo
	v_mul_lo_u32 v1, v1, s16
	v_mul_lo_u32 v2, v2, s18
	s_delay_alu instid0(VALU_DEP_1) | instskip(NEXT) | instid1(VALU_DEP_1)
	v_sub_nc_u32_e32 v1, v1, v2
	v_cmpx_ge_u32_e64 s20, v1
; %bb.83:
	v_add_nc_u32_e32 v1, s22, v27
	v_add_nc_u32_e32 v2, s40, v27
	s_xor_b32 s2, exec_lo, -1
	s_delay_alu instid0(VALU_DEP_2) | instskip(NEXT) | instid1(VALU_DEP_2)
	v_mul_lo_u32 v1, v1, s21
	v_mul_lo_u32 v2, v2, s23
	s_delay_alu instid0(VALU_DEP_1) | instskip(NEXT) | instid1(VALU_DEP_1)
	v_sub_nc_u32_e32 v1, v1, v2
	v_cmp_lt_u32_e32 vcc_lo, s41, v1
	s_and_b32 s6, vcc_lo, exec_lo
; %bb.84:
	s_or_b32 exec_lo, exec_lo, s1
	s_delay_alu instid0(SALU_CYCLE_1)
	s_and_b32 s43, s6, exec_lo
	s_and_b32 s42, s2, exec_lo
.LBB1800_85:
	s_or_b32 exec_lo, exec_lo, s0
.LBB1800_86:
	v_and_b32_e32 v75, 0xff, v29
	v_and_b32_e32 v76, 0xff, v30
	;; [unrolled: 1-line block ×10, first 2 shown]
	v_add3_u32 v1, v71, v73, v75
	v_add3_u32 v2, v72, v74, v76
	v_and_b32_e32 v65, 0xff, v41
	v_and_b32_e32 v66, 0xff, v39
	v_and_b32_e32 v61, 0xff, v42
	v_and_b32_e32 v62, 0xff, v40
	v_add3_u32 v1, v1, v69, v67
	v_add3_u32 v2, v2, v70, v68
	v_and_b32_e32 v63, 0xff, v44
	v_and_b32_e32 v64, 0xff, v43
	v_and_b32_e32 v59, 0xff, v46
	v_and_b32_e32 v60, 0xff, v45
	;; [unrolled: 6-line block ×3, first 2 shown]
	v_add3_u32 v1, v1, v63, v59
	v_add3_u32 v2, v2, v64, v60
	v_mbcnt_lo_u32_b32 v77, -1, 0
	v_and_b32_e32 v53, 0xff, v51
	v_and_b32_e32 v54, 0xff, v52
	v_cndmask_b32_e64 v3, 0, 1, s43
	v_add3_u32 v1, v1, v57, v55
	v_cndmask_b32_e64 v4, 0, 1, s42
	v_add3_u32 v2, v2, v58, v56
	v_and_b32_e32 v81, 15, v77
	v_and_b32_e32 v80, 16, v77
	v_lshrrev_b32_e32 v78, 5, v0
	v_add3_u32 v82, v1, v53, v4
	v_add3_u32 v83, v2, v54, v3
	v_cmp_eq_u32_e64 s1, 0, v81
	v_cmp_lt_u32_e64 s0, 1, v81
	v_cmp_lt_u32_e64 s2, 3, v81
	v_cmp_lt_u32_e32 vcc_lo, 7, v81
	v_or_b32_e32 v79, 31, v0
	s_cmp_lg_u32 s15, 0
	s_mov_b32 s6, -1
	s_cbranch_scc0 .LBB1800_119
; %bb.87:
	v_mov_b32_dpp v1, v83 row_shr:1 row_mask:0xf bank_mask:0xf
	v_mov_b32_dpp v2, v82 row_shr:1 row_mask:0xf bank_mask:0xf
	s_delay_alu instid0(VALU_DEP_2) | instskip(NEXT) | instid1(VALU_DEP_1)
	v_add_nc_u32_e32 v1, v1, v83
	v_cndmask_b32_e64 v1, v1, v83, s1
	s_delay_alu instid0(VALU_DEP_1) | instskip(NEXT) | instid1(VALU_DEP_1)
	v_mov_b32_dpp v3, v1 row_shr:2 row_mask:0xf bank_mask:0xf
	v_add_nc_u32_e32 v3, v1, v3
	s_delay_alu instid0(VALU_DEP_1) | instskip(NEXT) | instid1(VALU_DEP_1)
	v_cndmask_b32_e64 v1, v1, v3, s0
	v_mov_b32_dpp v3, v1 row_shr:4 row_mask:0xf bank_mask:0xf
	s_delay_alu instid0(VALU_DEP_1) | instskip(NEXT) | instid1(VALU_DEP_1)
	v_add_nc_u32_e32 v3, v1, v3
	v_cndmask_b32_e64 v1, v1, v3, s2
	s_delay_alu instid0(VALU_DEP_1) | instskip(NEXT) | instid1(VALU_DEP_1)
	v_mov_b32_dpp v3, v1 row_shr:8 row_mask:0xf bank_mask:0xf
	v_add_nc_u32_e32 v3, v1, v3
	s_delay_alu instid0(VALU_DEP_1) | instskip(NEXT) | instid1(VALU_DEP_1)
	v_dual_cndmask_b32 v1, v1, v3 :: v_dual_add_nc_u32 v2, v2, v82
	v_cndmask_b32_e64 v2, v2, v82, s1
	s_delay_alu instid0(VALU_DEP_1) | instskip(NEXT) | instid1(VALU_DEP_1)
	v_mov_b32_dpp v4, v2 row_shr:2 row_mask:0xf bank_mask:0xf
	v_add_nc_u32_e32 v4, v2, v4
	s_delay_alu instid0(VALU_DEP_1) | instskip(NEXT) | instid1(VALU_DEP_1)
	v_cndmask_b32_e64 v2, v2, v4, s0
	v_mov_b32_dpp v4, v2 row_shr:4 row_mask:0xf bank_mask:0xf
	s_delay_alu instid0(VALU_DEP_1) | instskip(NEXT) | instid1(VALU_DEP_1)
	v_add_nc_u32_e32 v4, v2, v4
	v_cndmask_b32_e64 v2, v2, v4, s2
	s_mov_b32 s2, exec_lo
	s_delay_alu instid0(VALU_DEP_1) | instskip(NEXT) | instid1(VALU_DEP_1)
	v_mov_b32_dpp v4, v2 row_shr:8 row_mask:0xf bank_mask:0xf
	v_add_nc_u32_e32 v4, v2, v4
	s_delay_alu instid0(VALU_DEP_1)
	v_cndmask_b32_e32 v3, v2, v4, vcc_lo
	ds_swizzle_b32 v2, v1 offset:swizzle(BROADCAST,32,15)
	v_cmp_eq_u32_e32 vcc_lo, 0, v80
	s_waitcnt lgkmcnt(0)
	v_add_nc_u32_e32 v2, v1, v2
	ds_swizzle_b32 v4, v3 offset:swizzle(BROADCAST,32,15)
	v_cndmask_b32_e32 v2, v2, v1, vcc_lo
	s_waitcnt lgkmcnt(0)
	v_add_nc_u32_e32 v4, v3, v4
	s_delay_alu instid0(VALU_DEP_1)
	v_cndmask_b32_e32 v1, v4, v3, vcc_lo
	v_cmpx_eq_u32_e64 v79, v0
	s_cbranch_execz .LBB1800_89
; %bb.88:
	v_lshlrev_b32_e32 v3, 3, v78
	ds_store_b64 v3, v[1:2]
.LBB1800_89:
	s_or_b32 exec_lo, exec_lo, s2
	s_delay_alu instid0(SALU_CYCLE_1)
	s_mov_b32 s2, exec_lo
	s_waitcnt lgkmcnt(0)
	s_barrier
	buffer_gl0_inv
	v_cmpx_gt_u32_e32 8, v0
	s_cbranch_execz .LBB1800_91
; %bb.90:
	v_lshlrev_b32_e32 v5, 3, v0
	ds_load_b64 v[3:4], v5
	s_waitcnt lgkmcnt(0)
	v_mov_b32_dpp v18, v3 row_shr:1 row_mask:0xf bank_mask:0xf
	v_mov_b32_dpp v19, v4 row_shr:1 row_mask:0xf bank_mask:0xf
	s_delay_alu instid0(VALU_DEP_2) | instskip(SKIP_1) | instid1(VALU_DEP_3)
	v_add_nc_u32_e32 v18, v18, v3
	v_and_b32_e32 v20, 7, v77
	v_add_nc_u32_e32 v19, v19, v4
	s_delay_alu instid0(VALU_DEP_2) | instskip(NEXT) | instid1(VALU_DEP_2)
	v_cmp_eq_u32_e32 vcc_lo, 0, v20
	v_dual_cndmask_b32 v4, v19, v4 :: v_dual_cndmask_b32 v3, v18, v3
	v_cmp_lt_u32_e32 vcc_lo, 1, v20
	s_delay_alu instid0(VALU_DEP_2) | instskip(NEXT) | instid1(VALU_DEP_3)
	v_mov_b32_dpp v19, v4 row_shr:2 row_mask:0xf bank_mask:0xf
	v_mov_b32_dpp v18, v3 row_shr:2 row_mask:0xf bank_mask:0xf
	s_delay_alu instid0(VALU_DEP_2) | instskip(NEXT) | instid1(VALU_DEP_2)
	v_add_nc_u32_e32 v19, v4, v19
	v_add_nc_u32_e32 v18, v3, v18
	s_delay_alu instid0(VALU_DEP_1) | instskip(SKIP_1) | instid1(VALU_DEP_2)
	v_dual_cndmask_b32 v4, v4, v19 :: v_dual_cndmask_b32 v3, v3, v18
	v_cmp_lt_u32_e32 vcc_lo, 3, v20
	v_mov_b32_dpp v19, v4 row_shr:4 row_mask:0xf bank_mask:0xf
	s_delay_alu instid0(VALU_DEP_3) | instskip(NEXT) | instid1(VALU_DEP_1)
	v_mov_b32_dpp v18, v3 row_shr:4 row_mask:0xf bank_mask:0xf
	v_dual_cndmask_b32 v19, 0, v19 :: v_dual_cndmask_b32 v18, 0, v18
	s_delay_alu instid0(VALU_DEP_1) | instskip(NEXT) | instid1(VALU_DEP_2)
	v_add_nc_u32_e32 v4, v19, v4
	v_add_nc_u32_e32 v3, v18, v3
	ds_store_b64 v5, v[3:4]
.LBB1800_91:
	s_or_b32 exec_lo, exec_lo, s2
	v_cmp_gt_u32_e32 vcc_lo, 32, v0
	v_cmp_lt_u32_e64 s2, 31, v0
	s_waitcnt lgkmcnt(0)
	s_barrier
	buffer_gl0_inv
                                        ; implicit-def: $vgpr19
	s_and_saveexec_b32 s6, s2
	s_delay_alu instid0(SALU_CYCLE_1)
	s_xor_b32 s2, exec_lo, s6
	s_cbranch_execz .LBB1800_93
; %bb.92:
	v_lshl_add_u32 v3, v78, 3, -8
	ds_load_b64 v[18:19], v3
	s_waitcnt lgkmcnt(0)
	v_add_nc_u32_e32 v2, v19, v2
	v_add_nc_u32_e32 v1, v18, v1
.LBB1800_93:
	s_and_not1_saveexec_b32 s2, s2
; %bb.94:
                                        ; implicit-def: $vgpr18
; %bb.95:
	s_delay_alu instid0(SALU_CYCLE_1) | instskip(SKIP_1) | instid1(VALU_DEP_1)
	s_or_b32 exec_lo, exec_lo, s2
	v_add_nc_u32_e32 v3, -1, v77
	v_cmp_gt_i32_e64 s2, 0, v3
	s_delay_alu instid0(VALU_DEP_1) | instskip(SKIP_1) | instid1(VALU_DEP_2)
	v_cndmask_b32_e64 v3, v3, v77, s2
	v_cmp_eq_u32_e64 s2, 0, v77
	v_lshlrev_b32_e32 v3, 2, v3
	ds_bpermute_b32 v84, v3, v1
	ds_bpermute_b32 v85, v3, v2
	s_and_saveexec_b32 s6, vcc_lo
	s_cbranch_execz .LBB1800_118
; %bb.96:
	v_mov_b32_e32 v4, 0
	ds_load_b64 v[1:2], v4 offset:56
	s_waitcnt lgkmcnt(0)
	v_readfirstlane_b32 s7, v2
	s_and_saveexec_b32 s8, s2
	s_cbranch_execz .LBB1800_98
; %bb.97:
	s_add_i32 s10, s15, 32
	s_mov_b32 s11, 0
	v_mov_b32_e32 v3, 1
	s_lshl_b64 s[12:13], s[10:11], 4
	s_mov_b32 s16, s11
	s_add_u32 s12, s4, s12
	s_addc_u32 s13, s5, s13
	s_and_b32 s17, s7, 0xff000000
	s_and_b32 s19, s7, 0xff0000
	s_mov_b32 s18, s11
	v_dual_mov_b32 v21, s13 :: v_dual_mov_b32 v20, s12
	s_or_b64 s[16:17], s[18:19], s[16:17]
	s_and_b32 s19, s7, 0xff00
	s_delay_alu instid0(SALU_CYCLE_1) | instskip(SKIP_1) | instid1(SALU_CYCLE_1)
	s_or_b64 s[16:17], s[16:17], s[18:19]
	s_and_b32 s19, s7, 0xff
	s_or_b64 s[10:11], s[16:17], s[18:19]
	s_delay_alu instid0(SALU_CYCLE_1)
	v_mov_b32_e32 v2, s11
	;;#ASMSTART
	global_store_dwordx4 v[20:21], v[1:4] off	
s_waitcnt vmcnt(0)
	;;#ASMEND
.LBB1800_98:
	s_or_b32 exec_lo, exec_lo, s8
	v_xad_u32 v20, v77, -1, s15
	s_mov_b32 s9, 0
	s_mov_b32 s8, exec_lo
	s_delay_alu instid0(VALU_DEP_1) | instskip(NEXT) | instid1(VALU_DEP_1)
	v_add_nc_u32_e32 v3, 32, v20
	v_lshlrev_b64 v[2:3], 4, v[3:4]
	s_delay_alu instid0(VALU_DEP_1) | instskip(NEXT) | instid1(VALU_DEP_2)
	v_add_co_u32 v21, vcc_lo, s4, v2
	v_add_co_ci_u32_e32 v22, vcc_lo, s5, v3, vcc_lo
	;;#ASMSTART
	global_load_dwordx4 v[2:5], v[21:22] off glc	
s_waitcnt vmcnt(0)
	;;#ASMEND
	v_and_b32_e32 v5, 0xff, v3
	v_and_b32_e32 v23, 0xff00, v3
	v_or3_b32 v2, v2, 0, 0
	v_and_b32_e32 v24, 0xff000000, v3
	v_and_b32_e32 v3, 0xff0000, v3
	s_delay_alu instid0(VALU_DEP_4) | instskip(SKIP_2) | instid1(VALU_DEP_3)
	v_or3_b32 v5, 0, v5, v23
	v_and_b32_e32 v23, 0xff, v4
	v_or3_b32 v2, v2, 0, 0
	v_or3_b32 v3, v5, v3, v24
	s_delay_alu instid0(VALU_DEP_3)
	v_cmpx_eq_u16_e32 0, v23
	s_cbranch_execz .LBB1800_104
; %bb.99:
	s_mov_b32 s10, 1
	.p2align	6
.LBB1800_100:                           ; =>This Loop Header: Depth=1
                                        ;     Child Loop BB1800_101 Depth 2
	s_delay_alu instid0(SALU_CYCLE_1)
	s_max_u32 s11, s10, 1
.LBB1800_101:                           ;   Parent Loop BB1800_100 Depth=1
                                        ; =>  This Inner Loop Header: Depth=2
	s_delay_alu instid0(SALU_CYCLE_1)
	s_add_i32 s11, s11, -1
	s_sleep 1
	s_cmp_eq_u32 s11, 0
	s_cbranch_scc0 .LBB1800_101
; %bb.102:                              ;   in Loop: Header=BB1800_100 Depth=1
	;;#ASMSTART
	global_load_dwordx4 v[2:5], v[21:22] off glc	
s_waitcnt vmcnt(0)
	;;#ASMEND
	v_and_b32_e32 v5, 0xff, v4
	s_cmp_lt_u32 s10, 32
	s_cselect_b32 s11, -1, 0
	s_delay_alu instid0(SALU_CYCLE_1) | instskip(NEXT) | instid1(VALU_DEP_1)
	s_cmp_lg_u32 s11, 0
	v_cmp_ne_u16_e32 vcc_lo, 0, v5
	s_addc_u32 s10, s10, 0
	s_or_b32 s9, vcc_lo, s9
	s_delay_alu instid0(SALU_CYCLE_1)
	s_and_not1_b32 exec_lo, exec_lo, s9
	s_cbranch_execnz .LBB1800_100
; %bb.103:
	s_or_b32 exec_lo, exec_lo, s9
.LBB1800_104:
	s_delay_alu instid0(SALU_CYCLE_1)
	s_or_b32 exec_lo, exec_lo, s8
	v_cmp_ne_u32_e32 vcc_lo, 31, v77
	v_lshlrev_b32_e64 v87, v77, -1
	v_add_nc_u32_e32 v91, 4, v77
	v_add_nc_u32_e32 v93, 8, v77
	;; [unrolled: 1-line block ×3, first 2 shown]
	v_add_co_ci_u32_e32 v5, vcc_lo, 0, v77, vcc_lo
	s_delay_alu instid0(VALU_DEP_1)
	v_lshlrev_b32_e32 v86, 2, v5
	ds_bpermute_b32 v21, v86, v3
	ds_bpermute_b32 v5, v86, v2
	s_waitcnt lgkmcnt(1)
	v_add_nc_u32_e32 v21, v21, v3
	v_and_b32_e32 v22, 0xff, v4
	s_waitcnt lgkmcnt(0)
	v_add_nc_u32_e32 v5, v5, v2
	s_delay_alu instid0(VALU_DEP_2) | instskip(SKIP_2) | instid1(VALU_DEP_2)
	v_cmp_eq_u16_e32 vcc_lo, 2, v22
	v_and_or_b32 v22, vcc_lo, v87, 0x80000000
	v_cmp_gt_u32_e32 vcc_lo, 30, v77
	v_ctz_i32_b32_e32 v22, v22
	v_cndmask_b32_e64 v23, 0, 1, vcc_lo
	s_delay_alu instid0(VALU_DEP_2) | instskip(NEXT) | instid1(VALU_DEP_2)
	v_cmp_lt_u32_e32 vcc_lo, v77, v22
	v_dual_cndmask_b32 v2, v2, v5 :: v_dual_lshlrev_b32 v23, 1, v23
	s_delay_alu instid0(VALU_DEP_1)
	v_add_lshl_u32 v88, v23, v77, 2
	v_cndmask_b32_e32 v3, v3, v21, vcc_lo
	v_cmp_gt_u32_e32 vcc_lo, 28, v77
	ds_bpermute_b32 v5, v88, v2
	ds_bpermute_b32 v21, v88, v3
	v_cndmask_b32_e64 v23, 0, 1, vcc_lo
	s_waitcnt lgkmcnt(1)
	v_add_nc_u32_e32 v5, v2, v5
	v_add_nc_u32_e32 v89, 2, v77
	s_waitcnt lgkmcnt(0)
	v_add_nc_u32_e32 v21, v3, v21
	s_delay_alu instid0(VALU_DEP_2) | instskip(SKIP_1) | instid1(VALU_DEP_3)
	v_cmp_gt_u32_e32 vcc_lo, v89, v22
	v_dual_cndmask_b32 v2, v5, v2 :: v_dual_lshlrev_b32 v23, 2, v23
	v_cndmask_b32_e32 v3, v21, v3, vcc_lo
	v_cmp_gt_u32_e32 vcc_lo, 24, v77
	s_delay_alu instid0(VALU_DEP_3)
	v_add_lshl_u32 v90, v23, v77, 2
	v_cndmask_b32_e64 v23, 0, 1, vcc_lo
	v_cmp_gt_u32_e32 vcc_lo, v91, v22
	ds_bpermute_b32 v5, v90, v2
	ds_bpermute_b32 v21, v90, v3
	v_lshlrev_b32_e32 v23, 3, v23
	s_delay_alu instid0(VALU_DEP_1) | instskip(SKIP_3) | instid1(VALU_DEP_1)
	v_add_lshl_u32 v92, v23, v77, 2
	s_waitcnt lgkmcnt(1)
	v_add_nc_u32_e32 v5, v2, v5
	s_waitcnt lgkmcnt(0)
	v_dual_cndmask_b32 v2, v5, v2 :: v_dual_add_nc_u32 v21, v3, v21
	s_delay_alu instid0(VALU_DEP_1)
	v_cndmask_b32_e32 v3, v21, v3, vcc_lo
	v_cmp_gt_u32_e32 vcc_lo, 16, v77
	ds_bpermute_b32 v5, v92, v2
	ds_bpermute_b32 v21, v92, v3
	v_cndmask_b32_e64 v23, 0, 1, vcc_lo
	v_cmp_gt_u32_e32 vcc_lo, v93, v22
	s_delay_alu instid0(VALU_DEP_2) | instskip(NEXT) | instid1(VALU_DEP_1)
	v_lshlrev_b32_e32 v23, 4, v23
	v_add_lshl_u32 v94, v23, v77, 2
	s_waitcnt lgkmcnt(1)
	v_add_nc_u32_e32 v5, v2, v5
	s_waitcnt lgkmcnt(0)
	s_delay_alu instid0(VALU_DEP_1) | instskip(NEXT) | instid1(VALU_DEP_1)
	v_dual_cndmask_b32 v2, v5, v2 :: v_dual_add_nc_u32 v21, v3, v21
	v_cndmask_b32_e32 v3, v21, v3, vcc_lo
	v_cmp_le_u32_e32 vcc_lo, v95, v22
	ds_bpermute_b32 v5, v94, v2
	ds_bpermute_b32 v21, v94, v3
	s_waitcnt lgkmcnt(1)
	v_cndmask_b32_e32 v5, 0, v5, vcc_lo
	s_waitcnt lgkmcnt(0)
	s_delay_alu instid0(VALU_DEP_1) | instskip(NEXT) | instid1(VALU_DEP_1)
	v_dual_cndmask_b32 v21, 0, v21 :: v_dual_add_nc_u32 v2, v5, v2
	v_add_nc_u32_e32 v3, v21, v3
	v_mov_b32_e32 v21, 0
	s_branch .LBB1800_106
.LBB1800_105:                           ;   in Loop: Header=BB1800_106 Depth=1
	s_or_b32 exec_lo, exec_lo, s8
	ds_bpermute_b32 v5, v86, v2
	ds_bpermute_b32 v24, v86, v3
	v_subrev_nc_u32_e32 v20, 32, v20
	s_waitcnt lgkmcnt(1)
	v_add_nc_u32_e32 v5, v5, v2
	v_and_b32_e32 v25, 0xff, v4
	s_waitcnt lgkmcnt(0)
	v_add_nc_u32_e32 v24, v24, v3
	s_delay_alu instid0(VALU_DEP_2) | instskip(SKIP_1) | instid1(VALU_DEP_1)
	v_cmp_eq_u16_e32 vcc_lo, 2, v25
	v_and_or_b32 v25, vcc_lo, v87, 0x80000000
	v_ctz_i32_b32_e32 v25, v25
	s_delay_alu instid0(VALU_DEP_1)
	v_cmp_lt_u32_e32 vcc_lo, v77, v25
	v_cndmask_b32_e32 v2, v2, v5, vcc_lo
	ds_bpermute_b32 v5, v88, v2
	s_waitcnt lgkmcnt(0)
	v_add_nc_u32_e32 v5, v2, v5
	v_cndmask_b32_e32 v3, v3, v24, vcc_lo
	v_cmp_gt_u32_e32 vcc_lo, v89, v25
	s_delay_alu instid0(VALU_DEP_3)
	v_cndmask_b32_e32 v2, v5, v2, vcc_lo
	ds_bpermute_b32 v24, v88, v3
	ds_bpermute_b32 v5, v90, v2
	s_waitcnt lgkmcnt(1)
	v_add_nc_u32_e32 v24, v3, v24
	s_waitcnt lgkmcnt(0)
	v_add_nc_u32_e32 v5, v2, v5
	s_delay_alu instid0(VALU_DEP_2) | instskip(SKIP_1) | instid1(VALU_DEP_3)
	v_cndmask_b32_e32 v3, v24, v3, vcc_lo
	v_cmp_gt_u32_e32 vcc_lo, v91, v25
	v_cndmask_b32_e32 v2, v5, v2, vcc_lo
	ds_bpermute_b32 v24, v90, v3
	ds_bpermute_b32 v5, v92, v2
	s_waitcnt lgkmcnt(1)
	v_add_nc_u32_e32 v24, v3, v24
	s_waitcnt lgkmcnt(0)
	v_add_nc_u32_e32 v5, v2, v5
	s_delay_alu instid0(VALU_DEP_2) | instskip(SKIP_1) | instid1(VALU_DEP_3)
	v_cndmask_b32_e32 v3, v24, v3, vcc_lo
	v_cmp_gt_u32_e32 vcc_lo, v93, v25
	v_cndmask_b32_e32 v2, v5, v2, vcc_lo
	ds_bpermute_b32 v24, v92, v3
	ds_bpermute_b32 v5, v94, v2
	s_waitcnt lgkmcnt(1)
	v_add_nc_u32_e32 v24, v3, v24
	s_delay_alu instid0(VALU_DEP_1) | instskip(SKIP_4) | instid1(VALU_DEP_1)
	v_cndmask_b32_e32 v3, v24, v3, vcc_lo
	v_cmp_le_u32_e32 vcc_lo, v95, v25
	ds_bpermute_b32 v24, v94, v3
	s_waitcnt lgkmcnt(1)
	v_cndmask_b32_e32 v5, 0, v5, vcc_lo
	v_add3_u32 v2, v2, v22, v5
	s_waitcnt lgkmcnt(0)
	v_cndmask_b32_e32 v24, 0, v24, vcc_lo
	s_delay_alu instid0(VALU_DEP_1)
	v_add3_u32 v3, v3, v23, v24
.LBB1800_106:                           ; =>This Loop Header: Depth=1
                                        ;     Child Loop BB1800_109 Depth 2
                                        ;       Child Loop BB1800_110 Depth 3
	s_delay_alu instid0(VALU_DEP_1) | instskip(SKIP_1) | instid1(VALU_DEP_2)
	v_dual_mov_b32 v23, v3 :: v_dual_and_b32 v4, 0xff, v4
	v_mov_b32_e32 v22, v2
	v_cmp_ne_u16_e32 vcc_lo, 2, v4
	v_cndmask_b32_e64 v4, 0, 1, vcc_lo
	;;#ASMSTART
	;;#ASMEND
	s_delay_alu instid0(VALU_DEP_1)
	v_cmp_ne_u32_e32 vcc_lo, 0, v4
	s_cmp_lg_u32 vcc_lo, exec_lo
	s_cbranch_scc1 .LBB1800_113
; %bb.107:                              ;   in Loop: Header=BB1800_106 Depth=1
	v_lshlrev_b64 v[2:3], 4, v[20:21]
	s_mov_b32 s8, exec_lo
	s_delay_alu instid0(VALU_DEP_1) | instskip(NEXT) | instid1(VALU_DEP_2)
	v_add_co_u32 v24, vcc_lo, s4, v2
	v_add_co_ci_u32_e32 v25, vcc_lo, s5, v3, vcc_lo
	;;#ASMSTART
	global_load_dwordx4 v[2:5], v[24:25] off glc	
s_waitcnt vmcnt(0)
	;;#ASMEND
	v_and_b32_e32 v5, 0xff, v3
	v_and_b32_e32 v96, 0xff00, v3
	v_or3_b32 v2, v2, 0, 0
	v_and_b32_e32 v97, 0xff000000, v3
	v_and_b32_e32 v3, 0xff0000, v3
	s_delay_alu instid0(VALU_DEP_4) | instskip(SKIP_2) | instid1(VALU_DEP_3)
	v_or3_b32 v5, 0, v5, v96
	v_and_b32_e32 v96, 0xff, v4
	v_or3_b32 v2, v2, 0, 0
	v_or3_b32 v3, v5, v3, v97
	s_delay_alu instid0(VALU_DEP_3)
	v_cmpx_eq_u16_e32 0, v96
	s_cbranch_execz .LBB1800_105
; %bb.108:                              ;   in Loop: Header=BB1800_106 Depth=1
	s_mov_b32 s10, 1
	s_mov_b32 s9, 0
	.p2align	6
.LBB1800_109:                           ;   Parent Loop BB1800_106 Depth=1
                                        ; =>  This Loop Header: Depth=2
                                        ;       Child Loop BB1800_110 Depth 3
	s_max_u32 s11, s10, 1
.LBB1800_110:                           ;   Parent Loop BB1800_106 Depth=1
                                        ;     Parent Loop BB1800_109 Depth=2
                                        ; =>    This Inner Loop Header: Depth=3
	s_delay_alu instid0(SALU_CYCLE_1)
	s_add_i32 s11, s11, -1
	s_sleep 1
	s_cmp_eq_u32 s11, 0
	s_cbranch_scc0 .LBB1800_110
; %bb.111:                              ;   in Loop: Header=BB1800_109 Depth=2
	;;#ASMSTART
	global_load_dwordx4 v[2:5], v[24:25] off glc	
s_waitcnt vmcnt(0)
	;;#ASMEND
	v_and_b32_e32 v5, 0xff, v4
	s_cmp_lt_u32 s10, 32
	s_cselect_b32 s11, -1, 0
	s_delay_alu instid0(SALU_CYCLE_1) | instskip(NEXT) | instid1(VALU_DEP_1)
	s_cmp_lg_u32 s11, 0
	v_cmp_ne_u16_e32 vcc_lo, 0, v5
	s_addc_u32 s10, s10, 0
	s_or_b32 s9, vcc_lo, s9
	s_delay_alu instid0(SALU_CYCLE_1)
	s_and_not1_b32 exec_lo, exec_lo, s9
	s_cbranch_execnz .LBB1800_109
; %bb.112:                              ;   in Loop: Header=BB1800_106 Depth=1
	s_or_b32 exec_lo, exec_lo, s9
	s_branch .LBB1800_105
.LBB1800_113:                           ;   in Loop: Header=BB1800_106 Depth=1
                                        ; implicit-def: $vgpr4
                                        ; implicit-def: $vgpr2_vgpr3
	s_cbranch_execz .LBB1800_106
; %bb.114:
	s_and_saveexec_b32 s8, s2
	s_cbranch_execnz .LBB1800_357
; %bb.115:
	s_or_b32 exec_lo, exec_lo, s8
	s_and_saveexec_b32 s8, s2
	s_cbranch_execnz .LBB1800_358
.LBB1800_116:
	s_or_b32 exec_lo, exec_lo, s8
	v_cmp_eq_u32_e32 vcc_lo, 0, v0
	s_and_b32 exec_lo, exec_lo, vcc_lo
	s_cbranch_execz .LBB1800_118
.LBB1800_117:
	v_mov_b32_e32 v1, 0
	ds_store_b64 v1, v[22:23] offset:56
.LBB1800_118:
	s_or_b32 exec_lo, exec_lo, s6
	v_cmp_eq_u32_e32 vcc_lo, 0, v0
	v_mov_b32_e32 v1, 0
	s_waitcnt lgkmcnt(0)
	s_barrier
	buffer_gl0_inv
	v_add_nc_u32_e64 v3, 0x3400, 0
	ds_load_b64 v[20:21], v1 offset:56
	s_waitcnt lgkmcnt(0)
	s_barrier
	buffer_gl0_inv
	ds_load_2addr_b32 v[1:2], v3 offset1:2
	ds_load_2addr_b32 v[3:4], v3 offset0:4 offset1:6
	v_cndmask_b32_e64 v5, v84, v18, s2
	v_cndmask_b32_e64 v18, v85, v19, s2
	s_delay_alu instid0(VALU_DEP_2) | instskip(NEXT) | instid1(VALU_DEP_1)
	v_add_nc_u32_e32 v19, v20, v5
	v_dual_cndmask_b32 v20, v19, v20 :: v_dual_add_nc_u32 v5, v21, v18
	s_delay_alu instid0(VALU_DEP_1)
	v_cndmask_b32_e32 v5, v5, v21, vcc_lo
	s_branch .LBB1800_129
.LBB1800_119:
                                        ; implicit-def: $vgpr5
                                        ; implicit-def: $vgpr3
                                        ; implicit-def: $vgpr1
                                        ; implicit-def: $vgpr20_vgpr21
	s_and_b32 vcc_lo, exec_lo, s6
	s_cbranch_vccz .LBB1800_129
; %bb.120:
	s_waitcnt lgkmcnt(0)
	v_mov_b32_dpp v2, v83 row_shr:1 row_mask:0xf bank_mask:0xf
	v_cmp_lt_u32_e32 vcc_lo, 3, v81
	v_mov_b32_dpp v1, v82 row_shr:1 row_mask:0xf bank_mask:0xf
	s_delay_alu instid0(VALU_DEP_3) | instskip(NEXT) | instid1(VALU_DEP_1)
	v_add_nc_u32_e32 v2, v2, v83
	v_cndmask_b32_e64 v2, v2, v83, s1
	s_delay_alu instid0(VALU_DEP_1) | instskip(NEXT) | instid1(VALU_DEP_1)
	v_mov_b32_dpp v4, v2 row_shr:2 row_mask:0xf bank_mask:0xf
	v_add_nc_u32_e32 v4, v2, v4
	s_delay_alu instid0(VALU_DEP_1) | instskip(NEXT) | instid1(VALU_DEP_1)
	v_cndmask_b32_e64 v2, v2, v4, s0
	v_mov_b32_dpp v4, v2 row_shr:4 row_mask:0xf bank_mask:0xf
	s_delay_alu instid0(VALU_DEP_1) | instskip(NEXT) | instid1(VALU_DEP_1)
	v_add_nc_u32_e32 v4, v2, v4
	v_dual_cndmask_b32 v2, v2, v4 :: v_dual_add_nc_u32 v1, v1, v82
	s_delay_alu instid0(VALU_DEP_1) | instskip(NEXT) | instid1(VALU_DEP_2)
	v_cndmask_b32_e64 v1, v1, v82, s1
	v_mov_b32_dpp v4, v2 row_shr:8 row_mask:0xf bank_mask:0xf
	s_delay_alu instid0(VALU_DEP_2) | instskip(NEXT) | instid1(VALU_DEP_2)
	v_mov_b32_dpp v3, v1 row_shr:2 row_mask:0xf bank_mask:0xf
	v_add_nc_u32_e32 v4, v2, v4
	s_delay_alu instid0(VALU_DEP_2) | instskip(NEXT) | instid1(VALU_DEP_1)
	v_add_nc_u32_e32 v3, v1, v3
	v_cndmask_b32_e64 v1, v1, v3, s0
	s_mov_b32 s0, exec_lo
	s_delay_alu instid0(VALU_DEP_1) | instskip(NEXT) | instid1(VALU_DEP_1)
	v_mov_b32_dpp v3, v1 row_shr:4 row_mask:0xf bank_mask:0xf
	v_add_nc_u32_e32 v3, v1, v3
	s_delay_alu instid0(VALU_DEP_1) | instskip(SKIP_1) | instid1(VALU_DEP_2)
	v_cndmask_b32_e32 v1, v1, v3, vcc_lo
	v_cmp_lt_u32_e32 vcc_lo, 7, v81
	v_mov_b32_dpp v3, v1 row_shr:8 row_mask:0xf bank_mask:0xf
	s_delay_alu instid0(VALU_DEP_1) | instskip(NEXT) | instid1(VALU_DEP_1)
	v_dual_cndmask_b32 v2, v2, v4 :: v_dual_add_nc_u32 v3, v1, v3
	v_cndmask_b32_e32 v1, v1, v3, vcc_lo
	ds_swizzle_b32 v3, v2 offset:swizzle(BROADCAST,32,15)
	v_cmp_eq_u32_e32 vcc_lo, 0, v80
	ds_swizzle_b32 v4, v1 offset:swizzle(BROADCAST,32,15)
	s_waitcnt lgkmcnt(1)
	v_add_nc_u32_e32 v3, v2, v3
	s_waitcnt lgkmcnt(0)
	v_add_nc_u32_e32 v4, v1, v4
	s_delay_alu instid0(VALU_DEP_1)
	v_dual_cndmask_b32 v2, v3, v2 :: v_dual_cndmask_b32 v1, v4, v1
	v_cmpx_eq_u32_e64 v79, v0
	s_cbranch_execz .LBB1800_122
; %bb.121:
	v_lshlrev_b32_e32 v3, 3, v78
	ds_store_b64 v3, v[1:2]
.LBB1800_122:
	s_or_b32 exec_lo, exec_lo, s0
	s_delay_alu instid0(SALU_CYCLE_1)
	s_mov_b32 s0, exec_lo
	s_waitcnt lgkmcnt(0)
	s_barrier
	buffer_gl0_inv
	v_cmpx_gt_u32_e32 8, v0
	s_cbranch_execz .LBB1800_124
; %bb.123:
	v_lshlrev_b32_e32 v5, 3, v0
	ds_load_b64 v[3:4], v5
	s_waitcnt lgkmcnt(0)
	v_mov_b32_dpp v18, v3 row_shr:1 row_mask:0xf bank_mask:0xf
	v_mov_b32_dpp v19, v4 row_shr:1 row_mask:0xf bank_mask:0xf
	s_delay_alu instid0(VALU_DEP_2) | instskip(SKIP_1) | instid1(VALU_DEP_3)
	v_add_nc_u32_e32 v18, v18, v3
	v_and_b32_e32 v20, 7, v77
	v_add_nc_u32_e32 v19, v19, v4
	s_delay_alu instid0(VALU_DEP_2) | instskip(NEXT) | instid1(VALU_DEP_2)
	v_cmp_eq_u32_e32 vcc_lo, 0, v20
	v_dual_cndmask_b32 v4, v19, v4 :: v_dual_cndmask_b32 v3, v18, v3
	v_cmp_lt_u32_e32 vcc_lo, 1, v20
	s_delay_alu instid0(VALU_DEP_2) | instskip(NEXT) | instid1(VALU_DEP_3)
	v_mov_b32_dpp v19, v4 row_shr:2 row_mask:0xf bank_mask:0xf
	v_mov_b32_dpp v18, v3 row_shr:2 row_mask:0xf bank_mask:0xf
	s_delay_alu instid0(VALU_DEP_2) | instskip(NEXT) | instid1(VALU_DEP_2)
	v_add_nc_u32_e32 v19, v4, v19
	v_add_nc_u32_e32 v18, v3, v18
	s_delay_alu instid0(VALU_DEP_1) | instskip(SKIP_1) | instid1(VALU_DEP_2)
	v_dual_cndmask_b32 v4, v4, v19 :: v_dual_cndmask_b32 v3, v3, v18
	v_cmp_lt_u32_e32 vcc_lo, 3, v20
	v_mov_b32_dpp v19, v4 row_shr:4 row_mask:0xf bank_mask:0xf
	s_delay_alu instid0(VALU_DEP_3) | instskip(NEXT) | instid1(VALU_DEP_1)
	v_mov_b32_dpp v18, v3 row_shr:4 row_mask:0xf bank_mask:0xf
	v_dual_cndmask_b32 v19, 0, v19 :: v_dual_cndmask_b32 v18, 0, v18
	s_delay_alu instid0(VALU_DEP_1) | instskip(NEXT) | instid1(VALU_DEP_2)
	v_add_nc_u32_e32 v4, v19, v4
	v_add_nc_u32_e32 v3, v18, v3
	ds_store_b64 v5, v[3:4]
.LBB1800_124:
	s_or_b32 exec_lo, exec_lo, s0
	v_dual_mov_b32 v3, 0 :: v_dual_mov_b32 v18, 0
	v_mov_b32_e32 v19, 0
	s_mov_b32 s0, exec_lo
	s_waitcnt lgkmcnt(0)
	s_barrier
	buffer_gl0_inv
	v_cmpx_lt_u32_e32 31, v0
	s_cbranch_execz .LBB1800_126
; %bb.125:
	v_lshl_add_u32 v4, v78, 3, -8
	ds_load_b64 v[18:19], v4
.LBB1800_126:
	s_or_b32 exec_lo, exec_lo, s0
	v_add_nc_u32_e32 v4, -1, v77
	s_waitcnt lgkmcnt(0)
	v_add_nc_u32_e32 v20, v19, v2
	v_add_nc_u32_e32 v5, v18, v1
	ds_load_b64 v[1:2], v3 offset:56
	v_cmp_gt_i32_e32 vcc_lo, 0, v4
	v_cndmask_b32_e32 v4, v4, v77, vcc_lo
	v_cmp_eq_u32_e32 vcc_lo, 0, v0
	s_delay_alu instid0(VALU_DEP_2)
	v_lshlrev_b32_e32 v4, 2, v4
	ds_bpermute_b32 v5, v4, v5
	ds_bpermute_b32 v20, v4, v20
	s_waitcnt lgkmcnt(2)
	v_readfirstlane_b32 s1, v2
	s_and_saveexec_b32 s0, vcc_lo
	s_cbranch_execz .LBB1800_128
; %bb.127:
	s_mov_b32 s6, 0
	s_add_u32 s4, s4, 0x200
	s_addc_u32 s5, s5, 0
	s_and_b32 s7, s1, 0xff000000
	s_and_b32 s9, s1, 0xff0000
	s_mov_b32 s8, s6
	v_mov_b32_e32 v22, s5
	s_or_b64 s[8:9], s[8:9], s[6:7]
	s_and_b32 s7, s1, 0xff00
	v_dual_mov_b32 v4, 0 :: v_dual_mov_b32 v21, s4
	s_or_b64 s[8:9], s[8:9], s[6:7]
	s_and_b32 s7, s1, 0xff
	v_mov_b32_e32 v3, 2
	s_or_b64 s[6:7], s[8:9], s[6:7]
	s_delay_alu instid0(SALU_CYCLE_1)
	v_mov_b32_e32 v2, s7
	;;#ASMSTART
	global_store_dwordx4 v[21:22], v[1:4] off	
s_waitcnt vmcnt(0)
	;;#ASMEND
.LBB1800_128:
	s_or_b32 exec_lo, exec_lo, s0
	v_cmp_eq_u32_e64 s0, 0, v77
	v_dual_mov_b32 v3, 0 :: v_dual_mov_b32 v2, s1
	s_waitcnt lgkmcnt(0)
	s_barrier
	s_delay_alu instid0(VALU_DEP_2)
	v_cndmask_b32_e64 v4, v5, v18, s0
	v_cndmask_b32_e64 v5, v20, v19, s0
	buffer_gl0_inv
	v_cndmask_b32_e64 v20, v4, 0, vcc_lo
	v_cndmask_b32_e64 v5, v5, 0, vcc_lo
	v_mov_b32_e32 v4, 0
.LBB1800_129:
	v_and_b32_e32 v30, 1, v30
	v_and_b32_e32 v34, 1, v34
	;; [unrolled: 1-line block ×4, first 2 shown]
	s_waitcnt lgkmcnt(0)
	v_add_co_u32 v18, s0, s28, v3
	v_cmp_eq_u32_e32 vcc_lo, 1, v30
	v_add_nc_u32_e32 v22, v5, v76
	v_sub_nc_u32_e32 v5, v5, v4
	v_add_co_ci_u32_e64 v19, null, s29, 0, s0
	s_mov_b32 s2, -1
	s_delay_alu instid0(VALU_DEP_3) | instskip(SKIP_3) | instid1(VALU_DEP_3)
	v_add_nc_u32_e32 v24, v22, v72
	v_sub_nc_u32_e32 v22, v22, v4
	v_add_nc_u32_e32 v5, v5, v1
	v_sub_co_u32 v72, s0, s30, v1
	v_add_nc_u32_e32 v22, v22, v1
	v_add_nc_u32_e32 v21, v20, v75
	v_sub_nc_u32_e32 v20, v20, v3
	s_delay_alu instid0(VALU_DEP_2)
	v_add_nc_u32_e32 v23, v21, v71
	v_add_nc_u32_e32 v71, v24, v74
	v_lshlrev_b32_e32 v74, 1, v1
	v_sub_nc_u32_e32 v21, v21, v3
	v_add_nc_u32_e32 v75, v20, v5
	v_sub_nc_u32_e32 v24, v24, v4
	s_delay_alu instid0(VALU_DEP_4) | instskip(NEXT) | instid1(VALU_DEP_4)
	v_add3_u32 v28, v74, v2, v28
	v_add_nc_u32_e32 v76, v22, v21
	s_delay_alu instid0(VALU_DEP_3) | instskip(NEXT) | instid1(VALU_DEP_3)
	v_add_nc_u32_e32 v24, v24, v1
	v_sub_nc_u32_e32 v75, v28, v75
	s_delay_alu instid0(VALU_DEP_3) | instskip(NEXT) | instid1(VALU_DEP_1)
	v_sub_nc_u32_e32 v76, v28, v76
	v_dual_cndmask_b32 v5, v75, v5 :: v_dual_add_nc_u32 v30, 1, v76
	v_cmp_eq_u32_e32 vcc_lo, 1, v34
	s_delay_alu instid0(VALU_DEP_2) | instskip(SKIP_1) | instid1(VALU_DEP_4)
	v_cndmask_b32_e32 v22, v30, v22, vcc_lo
	v_cmp_eq_u32_e32 vcc_lo, 1, v29
	v_cndmask_b32_e32 v5, v5, v20, vcc_lo
	v_and_b32_e32 v20, 1, v36
	v_cmp_eq_u32_e32 vcc_lo, 1, v33
	s_delay_alu instid0(VALU_DEP_3) | instskip(SKIP_1) | instid1(VALU_DEP_4)
	v_lshlrev_b32_e32 v5, 2, v5
	v_cndmask_b32_e32 v21, v22, v21, vcc_lo
	v_cmp_eq_u32_e32 vcc_lo, 1, v20
	v_add_nc_u32_e32 v25, v23, v73
	v_sub_nc_u32_e32 v23, v23, v3
	v_and_b32_e32 v22, 1, v31
	v_sub_co_ci_u32_e64 v73, null, s31, 0, s0
	v_and_b32_e32 v31, 1, v32
	s_delay_alu instid0(VALU_DEP_4) | instskip(NEXT) | instid1(VALU_DEP_1)
	v_add_nc_u32_e32 v77, v24, v23
	v_sub_nc_u32_e32 v75, v28, v77
	s_delay_alu instid0(VALU_DEP_1) | instskip(NEXT) | instid1(VALU_DEP_1)
	v_add_nc_u32_e32 v29, 2, v75
	v_cndmask_b32_e32 v20, v29, v24, vcc_lo
	v_sub_nc_u32_e32 v24, v71, v4
	v_cmp_eq_u32_e32 vcc_lo, 1, v22
	v_add_nc_u32_e32 v69, v25, v69
	v_lshlrev_b32_e32 v29, 2, v21
	ds_store_b32 v5, v16
	ds_store_b32 v29, v17
	v_cndmask_b32_e32 v22, v20, v23, vcc_lo
	v_sub_nc_u32_e32 v23, v25, v3
	v_add_nc_u32_e32 v24, v24, v1
	v_add_co_u32 v20, vcc_lo, v72, v4
	s_delay_alu instid0(VALU_DEP_4) | instskip(SKIP_1) | instid1(VALU_DEP_4)
	v_lshlrev_b32_e32 v5, 2, v22
	v_and_b32_e32 v22, 1, v35
	v_add_nc_u32_e32 v25, v23, v24
	v_add_co_ci_u32_e32 v21, vcc_lo, 0, v73, vcc_lo
	ds_store_b32 v5, v14
	v_cmp_eq_u32_e32 vcc_lo, 1, v22
	v_sub_nc_u32_e32 v17, v28, v25
	v_sub_nc_u32_e32 v29, v69, v3
	v_add_nc_u32_e32 v67, v69, v67
	s_delay_alu instid0(VALU_DEP_3) | instskip(NEXT) | instid1(VALU_DEP_2)
	v_add_nc_u32_e32 v17, 3, v17
	v_sub_nc_u32_e32 v30, v67, v3
	s_delay_alu instid0(VALU_DEP_2) | instskip(SKIP_2) | instid1(VALU_DEP_3)
	v_cndmask_b32_e32 v17, v17, v24, vcc_lo
	v_cmp_eq_u32_e32 vcc_lo, 1, v31
	v_and_b32_e32 v24, 1, v39
	v_cndmask_b32_e32 v14, v17, v23, vcc_lo
	v_add_nc_u32_e32 v70, v71, v70
	v_and_b32_e32 v23, 1, v38
	s_delay_alu instid0(VALU_DEP_3) | instskip(NEXT) | instid1(VALU_DEP_3)
	v_lshlrev_b32_e32 v14, 2, v14
	v_add_nc_u32_e32 v68, v70, v68
	v_sub_nc_u32_e32 v16, v70, v4
	ds_store_b32 v14, v15
	v_sub_nc_u32_e32 v25, v68, v4
	v_add_nc_u32_e32 v16, v16, v1
	s_delay_alu instid0(VALU_DEP_2) | instskip(NEXT) | instid1(VALU_DEP_2)
	v_add_nc_u32_e32 v25, v25, v1
	v_add_nc_u32_e32 v32, v29, v16
	s_delay_alu instid0(VALU_DEP_2) | instskip(NEXT) | instid1(VALU_DEP_2)
	v_add_nc_u32_e32 v22, v30, v25
	v_sub_nc_u32_e32 v5, v28, v32
	s_delay_alu instid0(VALU_DEP_2) | instskip(SKIP_1) | instid1(VALU_DEP_3)
	v_sub_nc_u32_e32 v17, v28, v22
	v_and_b32_e32 v22, 1, v37
	v_add_nc_u32_e32 v5, 4, v5
	s_delay_alu instid0(VALU_DEP_3) | instskip(NEXT) | instid1(VALU_DEP_3)
	v_add_nc_u32_e32 v17, 5, v17
	v_cmp_eq_u32_e32 vcc_lo, 1, v22
	s_delay_alu instid0(VALU_DEP_3)
	v_cndmask_b32_e32 v5, v5, v16, vcc_lo
	v_cmp_eq_u32_e32 vcc_lo, 1, v24
	v_and_b32_e32 v16, 1, v41
	v_cndmask_b32_e32 v17, v17, v25, vcc_lo
	v_cmp_eq_u32_e32 vcc_lo, 1, v23
	v_cndmask_b32_e32 v5, v5, v29, vcc_lo
	s_delay_alu instid0(VALU_DEP_4) | instskip(SKIP_1) | instid1(VALU_DEP_3)
	v_cmp_eq_u32_e32 vcc_lo, 1, v16
	v_add_nc_u32_e32 v66, v68, v66
	v_dual_cndmask_b32 v16, v17, v30 :: v_dual_lshlrev_b32 v5, 2, v5
	s_delay_alu instid0(VALU_DEP_2) | instskip(SKIP_1) | instid1(VALU_DEP_3)
	v_sub_nc_u32_e32 v22, v66, v4
	v_add_nc_u32_e32 v62, v66, v62
	v_lshlrev_b32_e32 v16, 2, v16
	ds_store_b32 v5, v12
	ds_store_b32 v16, v13
	v_and_b32_e32 v12, 1, v40
	v_add_nc_u32_e32 v22, v22, v1
	v_add_nc_u32_e32 v64, v62, v64
	v_sub_nc_u32_e32 v17, v62, v4
	v_and_b32_e32 v16, 1, v43
	v_cmp_eq_u32_e32 vcc_lo, 1, v12
	v_add_nc_u32_e32 v65, v67, v65
	v_sub_nc_u32_e32 v15, v64, v4
	v_add_nc_u32_e32 v17, v17, v1
	s_delay_alu instid0(VALU_DEP_3) | instskip(NEXT) | instid1(VALU_DEP_3)
	v_sub_nc_u32_e32 v23, v65, v3
	v_add_nc_u32_e32 v15, v15, v1
	s_delay_alu instid0(VALU_DEP_2) | instskip(NEXT) | instid1(VALU_DEP_1)
	v_add_nc_u32_e32 v24, v23, v22
	v_sub_nc_u32_e32 v14, v28, v24
	v_and_b32_e32 v24, 1, v48
	s_delay_alu instid0(VALU_DEP_2) | instskip(SKIP_1) | instid1(VALU_DEP_2)
	v_add_nc_u32_e32 v13, 6, v14
	v_and_b32_e32 v14, 1, v42
	v_cndmask_b32_e32 v12, v13, v22, vcc_lo
	v_add_nc_u32_e32 v61, v65, v61
	s_delay_alu instid0(VALU_DEP_3) | instskip(SKIP_1) | instid1(VALU_DEP_3)
	v_cmp_eq_u32_e32 vcc_lo, 1, v14
	v_and_b32_e32 v22, 1, v44
	v_sub_nc_u32_e32 v25, v61, v3
	v_add_nc_u32_e32 v63, v61, v63
	v_cndmask_b32_e32 v12, v12, v23, vcc_lo
	v_cmp_eq_u32_e32 vcc_lo, 1, v16
	v_and_b32_e32 v23, 1, v46
	v_add_nc_u32_e32 v5, v25, v17
	v_sub_nc_u32_e32 v13, v63, v3
	v_lshlrev_b32_e32 v12, 2, v12
	v_add_nc_u32_e32 v59, v63, v59
	s_delay_alu instid0(VALU_DEP_4) | instskip(NEXT) | instid1(VALU_DEP_4)
	v_sub_nc_u32_e32 v5, v28, v5
	v_add_nc_u32_e32 v14, v13, v15
	s_delay_alu instid0(VALU_DEP_3) | instskip(NEXT) | instid1(VALU_DEP_3)
	v_add_nc_u32_e32 v57, v59, v57
	v_add_nc_u32_e32 v5, 7, v5
	s_delay_alu instid0(VALU_DEP_3) | instskip(NEXT) | instid1(VALU_DEP_3)
	v_sub_nc_u32_e32 v14, v28, v14
	v_add_nc_u32_e32 v55, v57, v55
	s_delay_alu instid0(VALU_DEP_3)
	v_cndmask_b32_e32 v5, v5, v17, vcc_lo
	v_cmp_eq_u32_e32 vcc_lo, 1, v22
	v_and_b32_e32 v17, 1, v45
	v_add_nc_u32_e32 v14, 8, v14
	v_sub_nc_u32_e32 v22, v59, v3
	v_add_nc_u32_e32 v53, v55, v53
	v_cndmask_b32_e32 v5, v5, v25, vcc_lo
	v_cmp_eq_u32_e32 vcc_lo, 1, v17
	v_sub_nc_u32_e32 v17, v55, v3
	v_and_b32_e32 v25, 1, v52
	s_delay_alu instid0(VALU_DEP_4)
	v_dual_cndmask_b32 v14, v14, v15 :: v_dual_lshlrev_b32 v5, 2, v5
	v_cmp_eq_u32_e32 vcc_lo, 1, v23
	v_add_nc_u32_e32 v60, v64, v60
	ds_store_b32 v12, v10
	ds_store_b32 v5, v11
	v_and_b32_e32 v11, 1, v49
	v_cndmask_b32_e32 v5, v14, v13, vcc_lo
	v_sub_nc_u32_e32 v16, v60, v4
	v_add_nc_u32_e32 v58, v60, v58
	v_and_b32_e32 v13, 1, v47
	s_delay_alu instid0(VALU_DEP_4) | instskip(NEXT) | instid1(VALU_DEP_4)
	v_lshlrev_b32_e32 v5, 2, v5
	v_add_nc_u32_e32 v16, v16, v1
	s_delay_alu instid0(VALU_DEP_4) | instskip(SKIP_2) | instid1(VALU_DEP_4)
	v_add_nc_u32_e32 v56, v58, v56
	v_sub_nc_u32_e32 v12, v58, v4
	v_cmp_eq_u32_e32 vcc_lo, 1, v13
	v_add_nc_u32_e32 v15, v22, v16
	s_delay_alu instid0(VALU_DEP_4) | instskip(NEXT) | instid1(VALU_DEP_4)
	v_sub_nc_u32_e32 v14, v56, v4
	v_add_nc_u32_e32 v12, v12, v1
	v_add_nc_u32_e32 v54, v56, v54
	s_delay_alu instid0(VALU_DEP_4) | instskip(SKIP_2) | instid1(VALU_DEP_4)
	v_sub_nc_u32_e32 v10, v28, v15
	v_sub_nc_u32_e32 v15, v57, v3
	v_add_nc_u32_e32 v14, v14, v1
	v_sub_nc_u32_e32 v23, v54, v4
	v_sub_nc_u32_e32 v3, v53, v3
	v_add_nc_u32_e32 v10, 9, v10
	v_add_nc_u32_e32 v13, v15, v12
	s_delay_alu instid0(VALU_DEP_2) | instskip(SKIP_2) | instid1(VALU_DEP_4)
	v_dual_cndmask_b32 v10, v10, v16 :: v_dual_add_nc_u32 v23, v23, v1
	v_add_nc_u32_e32 v16, v17, v14
	v_cmp_eq_u32_e32 vcc_lo, 1, v11
	v_sub_nc_u32_e32 v11, v28, v13
	v_and_b32_e32 v13, 1, v50
	s_delay_alu instid0(VALU_DEP_4) | instskip(NEXT) | instid1(VALU_DEP_3)
	v_sub_nc_u32_e32 v16, v28, v16
	v_dual_cndmask_b32 v10, v10, v22 :: v_dual_add_nc_u32 v11, 10, v11
	v_cmp_eq_u32_e32 vcc_lo, 1, v24
	v_add_nc_u32_e32 v22, v3, v23
	s_delay_alu instid0(VALU_DEP_4) | instskip(NEXT) | instid1(VALU_DEP_4)
	v_add_nc_u32_e32 v16, 11, v16
	v_dual_cndmask_b32 v11, v11, v12 :: v_dual_lshlrev_b32 v10, 2, v10
	v_cmp_eq_u32_e32 vcc_lo, 1, v25
	s_delay_alu instid0(VALU_DEP_4) | instskip(SKIP_3) | instid1(VALU_DEP_4)
	v_sub_nc_u32_e32 v22, v28, v22
	v_and_b32_e32 v12, 1, v51
	v_cndmask_b32_e32 v14, v16, v14, vcc_lo
	v_cmp_eq_u32_e32 vcc_lo, 1, v13
	v_dual_cndmask_b32 v11, v11, v15 :: v_dual_add_nc_u32 v16, 12, v22
	s_delay_alu instid0(VALU_DEP_4) | instskip(NEXT) | instid1(VALU_DEP_2)
	v_cmp_eq_u32_e32 vcc_lo, 1, v12
	v_cndmask_b32_e64 v13, v16, v23, s43
	s_delay_alu instid0(VALU_DEP_3) | instskip(NEXT) | instid1(VALU_DEP_2)
	v_dual_cndmask_b32 v12, v14, v17 :: v_dual_lshlrev_b32 v11, 2, v11
	v_cndmask_b32_e64 v3, v13, v3, s42
	s_delay_alu instid0(VALU_DEP_2)
	v_lshlrev_b32_e32 v12, 2, v12
	ds_store_b32 v5, v8
	ds_store_b32 v10, v9
	;; [unrolled: 1-line block ×4, first 2 shown]
	v_lshlrev_b32_e32 v3, 2, v3
	v_add_co_u32 v5, s0, v2, v74
	s_delay_alu instid0(VALU_DEP_1) | instskip(SKIP_4) | instid1(VALU_DEP_2)
	v_add_co_ci_u32_e64 v6, null, 0, 0, s0
	ds_store_b32 v3, v27
	v_add_co_u32 v3, vcc_lo, v5, v20
	v_add_co_ci_u32_e32 v5, vcc_lo, v6, v21, vcc_lo
	s_add_u32 s0, s34, s33
	v_add_co_u32 v3, vcc_lo, v3, v18
	s_delay_alu instid0(VALU_DEP_2) | instskip(SKIP_1) | instid1(VALU_DEP_2)
	v_add_co_ci_u32_e32 v5, vcc_lo, v5, v19, vcc_lo
	s_addc_u32 s1, s35, 0
	v_sub_co_u32 v3, vcc_lo, s0, v3
	s_delay_alu instid0(VALU_DEP_2)
	v_sub_co_ci_u32_e32 v9, vcc_lo, s1, v5, vcc_lo
	v_lshlrev_b64 v[5:6], 2, v[20:21]
	v_lshlrev_b64 v[7:8], 2, v[18:19]
	v_add_nc_u32_e32 v10, v1, v2
	s_add_u32 s1, s26, -4
	s_waitcnt lgkmcnt(0)
	s_barrier
	v_add_co_u32 v5, vcc_lo, s38, v5
	v_add_co_ci_u32_e32 v6, vcc_lo, s39, v6, vcc_lo
	v_cmp_ne_u32_e32 vcc_lo, 1, v26
	v_add_co_u32 v7, s0, s36, v7
	s_delay_alu instid0(VALU_DEP_1)
	v_add_co_ci_u32_e64 v8, s0, s37, v8, s0
	s_addc_u32 s0, s27, -1
	buffer_gl0_inv
	s_cbranch_vccz .LBB1800_133
; %bb.130:
	s_and_b32 vcc_lo, exec_lo, s2
	s_cbranch_vccnz .LBB1800_238
.LBB1800_131:
	v_cmp_eq_u32_e32 vcc_lo, 0, v0
	s_and_b32 s0, vcc_lo, s14
	s_delay_alu instid0(SALU_CYCLE_1)
	s_and_saveexec_b32 s1, s0
	s_cbranch_execnz .LBB1800_356
.LBB1800_132:
	s_nop 0
	s_sendmsg sendmsg(MSG_DEALLOC_VGPRS)
	s_endpgm
.LBB1800_133:
	s_mov_b32 s2, exec_lo
	v_cmpx_le_u32_e64 v1, v0
	s_xor_b32 s2, exec_lo, s2
	s_cbranch_execz .LBB1800_139
; %bb.134:
	s_mov_b32 s4, exec_lo
	v_cmpx_le_u32_e64 v10, v0
	s_xor_b32 s4, exec_lo, s4
	s_cbranch_execz .LBB1800_136
; %bb.135:
	v_lshlrev_b32_e32 v11, 2, v0
	ds_load_b32 v13, v11
	v_add_co_u32 v11, vcc_lo, v3, v0
	v_add_co_ci_u32_e32 v12, vcc_lo, 0, v9, vcc_lo
	s_delay_alu instid0(VALU_DEP_1) | instskip(NEXT) | instid1(VALU_DEP_1)
	v_lshlrev_b64 v[11:12], 2, v[11:12]
	v_sub_co_u32 v11, vcc_lo, s26, v11
	s_delay_alu instid0(VALU_DEP_2)
	v_sub_co_ci_u32_e32 v12, vcc_lo, s27, v12, vcc_lo
	s_waitcnt lgkmcnt(0)
	global_store_b32 v[11:12], v13, off offset:-4
.LBB1800_136:
	s_and_not1_saveexec_b32 s4, s4
	s_cbranch_execz .LBB1800_138
; %bb.137:
	v_lshlrev_b32_e32 v11, 2, v0
	v_readfirstlane_b32 s6, v5
	v_readfirstlane_b32 s7, v6
	ds_load_b32 v12, v11
	s_waitcnt lgkmcnt(0)
	global_store_b32 v11, v12, s[6:7]
.LBB1800_138:
	s_or_b32 exec_lo, exec_lo, s4
.LBB1800_139:
	s_and_not1_saveexec_b32 s2, s2
	s_cbranch_execz .LBB1800_141
; %bb.140:
	v_lshlrev_b32_e32 v11, 2, v0
	v_readfirstlane_b32 s4, v7
	v_readfirstlane_b32 s5, v8
	ds_load_b32 v12, v11
	s_waitcnt lgkmcnt(0)
	global_store_b32 v11, v12, s[4:5]
.LBB1800_141:
	s_or_b32 exec_lo, exec_lo, s2
	v_or_b32_e32 v11, 0x100, v0
	s_mov_b32 s2, exec_lo
	s_delay_alu instid0(VALU_DEP_1)
	v_cmpx_le_u32_e64 v1, v11
	s_xor_b32 s2, exec_lo, s2
	s_cbranch_execz .LBB1800_147
; %bb.142:
	s_mov_b32 s4, exec_lo
	v_cmpx_le_u32_e64 v10, v11
	s_xor_b32 s4, exec_lo, s4
	s_cbranch_execz .LBB1800_144
; %bb.143:
	v_lshlrev_b32_e32 v11, 2, v0
	ds_load_b32 v13, v11 offset:1024
	v_add_co_u32 v11, vcc_lo, v3, v0
	v_add_co_ci_u32_e32 v12, vcc_lo, 0, v9, vcc_lo
	s_delay_alu instid0(VALU_DEP_1) | instskip(NEXT) | instid1(VALU_DEP_1)
	v_lshlrev_b64 v[11:12], 2, v[11:12]
	v_sub_co_u32 v11, vcc_lo, s1, v11
	s_delay_alu instid0(VALU_DEP_2)
	v_sub_co_ci_u32_e32 v12, vcc_lo, s0, v12, vcc_lo
	s_waitcnt lgkmcnt(0)
	global_store_b32 v[11:12], v13, off offset:-1024
.LBB1800_144:
	s_and_not1_saveexec_b32 s4, s4
	s_cbranch_execz .LBB1800_146
; %bb.145:
	v_lshlrev_b32_e32 v11, 2, v0
	v_readfirstlane_b32 s6, v5
	v_readfirstlane_b32 s7, v6
	ds_load_b32 v12, v11 offset:1024
	s_waitcnt lgkmcnt(0)
	global_store_b32 v11, v12, s[6:7] offset:1024
.LBB1800_146:
	s_or_b32 exec_lo, exec_lo, s4
.LBB1800_147:
	s_and_not1_saveexec_b32 s2, s2
	s_cbranch_execz .LBB1800_149
; %bb.148:
	v_lshlrev_b32_e32 v11, 2, v0
	v_readfirstlane_b32 s4, v7
	v_readfirstlane_b32 s5, v8
	ds_load_b32 v12, v11 offset:1024
	s_waitcnt lgkmcnt(0)
	global_store_b32 v11, v12, s[4:5] offset:1024
.LBB1800_149:
	s_or_b32 exec_lo, exec_lo, s2
	v_or_b32_e32 v11, 0x200, v0
	s_mov_b32 s2, exec_lo
	s_delay_alu instid0(VALU_DEP_1)
	v_cmpx_le_u32_e64 v1, v11
	s_xor_b32 s2, exec_lo, s2
	s_cbranch_execz .LBB1800_155
; %bb.150:
	s_mov_b32 s4, exec_lo
	v_cmpx_le_u32_e64 v10, v11
	s_xor_b32 s4, exec_lo, s4
	s_cbranch_execz .LBB1800_152
; %bb.151:
	v_lshlrev_b32_e32 v11, 2, v0
	ds_load_b32 v13, v11 offset:2048
	v_add_co_u32 v11, vcc_lo, v3, v0
	v_add_co_ci_u32_e32 v12, vcc_lo, 0, v9, vcc_lo
	s_delay_alu instid0(VALU_DEP_1) | instskip(NEXT) | instid1(VALU_DEP_1)
	v_lshlrev_b64 v[11:12], 2, v[11:12]
	v_sub_co_u32 v11, vcc_lo, s1, v11
	s_delay_alu instid0(VALU_DEP_2)
	v_sub_co_ci_u32_e32 v12, vcc_lo, s0, v12, vcc_lo
	s_waitcnt lgkmcnt(0)
	global_store_b32 v[11:12], v13, off offset:-2048
.LBB1800_152:
	s_and_not1_saveexec_b32 s4, s4
	s_cbranch_execz .LBB1800_154
; %bb.153:
	v_lshlrev_b32_e32 v11, 2, v0
	v_readfirstlane_b32 s6, v5
	v_readfirstlane_b32 s7, v6
	ds_load_b32 v12, v11 offset:2048
	s_waitcnt lgkmcnt(0)
	global_store_b32 v11, v12, s[6:7] offset:2048
.LBB1800_154:
	s_or_b32 exec_lo, exec_lo, s4
.LBB1800_155:
	s_and_not1_saveexec_b32 s2, s2
	s_cbranch_execz .LBB1800_157
; %bb.156:
	v_lshlrev_b32_e32 v11, 2, v0
	v_readfirstlane_b32 s4, v7
	v_readfirstlane_b32 s5, v8
	ds_load_b32 v12, v11 offset:2048
	s_waitcnt lgkmcnt(0)
	global_store_b32 v11, v12, s[4:5] offset:2048
.LBB1800_157:
	s_or_b32 exec_lo, exec_lo, s2
	v_or_b32_e32 v11, 0x300, v0
	s_mov_b32 s2, exec_lo
	s_delay_alu instid0(VALU_DEP_1)
	v_cmpx_le_u32_e64 v1, v11
	s_xor_b32 s2, exec_lo, s2
	s_cbranch_execz .LBB1800_163
; %bb.158:
	s_mov_b32 s4, exec_lo
	v_cmpx_le_u32_e64 v10, v11
	s_xor_b32 s4, exec_lo, s4
	s_cbranch_execz .LBB1800_160
; %bb.159:
	v_lshlrev_b32_e32 v11, 2, v0
	ds_load_b32 v13, v11 offset:3072
	v_add_co_u32 v11, vcc_lo, v3, v0
	v_add_co_ci_u32_e32 v12, vcc_lo, 0, v9, vcc_lo
	s_delay_alu instid0(VALU_DEP_1) | instskip(NEXT) | instid1(VALU_DEP_1)
	v_lshlrev_b64 v[11:12], 2, v[11:12]
	v_sub_co_u32 v11, vcc_lo, s1, v11
	s_delay_alu instid0(VALU_DEP_2)
	v_sub_co_ci_u32_e32 v12, vcc_lo, s0, v12, vcc_lo
	s_waitcnt lgkmcnt(0)
	global_store_b32 v[11:12], v13, off offset:-3072
.LBB1800_160:
	s_and_not1_saveexec_b32 s4, s4
	s_cbranch_execz .LBB1800_162
; %bb.161:
	v_lshlrev_b32_e32 v11, 2, v0
	v_readfirstlane_b32 s6, v5
	v_readfirstlane_b32 s7, v6
	ds_load_b32 v12, v11 offset:3072
	s_waitcnt lgkmcnt(0)
	global_store_b32 v11, v12, s[6:7] offset:3072
.LBB1800_162:
	s_or_b32 exec_lo, exec_lo, s4
.LBB1800_163:
	s_and_not1_saveexec_b32 s2, s2
	s_cbranch_execz .LBB1800_165
; %bb.164:
	v_lshlrev_b32_e32 v11, 2, v0
	v_readfirstlane_b32 s4, v7
	v_readfirstlane_b32 s5, v8
	ds_load_b32 v12, v11 offset:3072
	s_waitcnt lgkmcnt(0)
	global_store_b32 v11, v12, s[4:5] offset:3072
.LBB1800_165:
	s_or_b32 exec_lo, exec_lo, s2
	v_or_b32_e32 v11, 0x400, v0
	s_mov_b32 s2, exec_lo
	s_delay_alu instid0(VALU_DEP_1)
	v_cmpx_le_u32_e64 v1, v11
	s_xor_b32 s2, exec_lo, s2
	s_cbranch_execz .LBB1800_171
; %bb.166:
	s_mov_b32 s4, exec_lo
	v_cmpx_le_u32_e64 v10, v11
	s_xor_b32 s4, exec_lo, s4
	s_cbranch_execz .LBB1800_168
; %bb.167:
	v_lshlrev_b32_e32 v11, 2, v0
	ds_load_b32 v13, v11 offset:4096
	v_add_co_u32 v11, vcc_lo, v3, v0
	v_add_co_ci_u32_e32 v12, vcc_lo, 0, v9, vcc_lo
	s_delay_alu instid0(VALU_DEP_1) | instskip(NEXT) | instid1(VALU_DEP_1)
	v_lshlrev_b64 v[11:12], 2, v[11:12]
	v_sub_co_u32 v11, vcc_lo, s1, v11
	s_delay_alu instid0(VALU_DEP_2)
	v_sub_co_ci_u32_e32 v12, vcc_lo, s0, v12, vcc_lo
	s_waitcnt lgkmcnt(0)
	global_store_b32 v[11:12], v13, off offset:-4096
                                        ; implicit-def: $vgpr11
.LBB1800_168:
	s_and_not1_saveexec_b32 s4, s4
	s_cbranch_execz .LBB1800_170
; %bb.169:
	v_lshlrev_b32_e32 v12, 2, v0
	v_lshlrev_b32_e32 v11, 2, v11
	v_readfirstlane_b32 s6, v5
	v_readfirstlane_b32 s7, v6
	ds_load_b32 v12, v12 offset:4096
	s_waitcnt lgkmcnt(0)
	global_store_b32 v11, v12, s[6:7]
.LBB1800_170:
	s_or_b32 exec_lo, exec_lo, s4
                                        ; implicit-def: $vgpr11
.LBB1800_171:
	s_and_not1_saveexec_b32 s2, s2
	s_cbranch_execz .LBB1800_173
; %bb.172:
	v_lshlrev_b32_e32 v12, 2, v0
	v_lshlrev_b32_e32 v11, 2, v11
	v_readfirstlane_b32 s4, v7
	v_readfirstlane_b32 s5, v8
	ds_load_b32 v12, v12 offset:4096
	s_waitcnt lgkmcnt(0)
	global_store_b32 v11, v12, s[4:5]
.LBB1800_173:
	s_or_b32 exec_lo, exec_lo, s2
	v_or_b32_e32 v11, 0x500, v0
	s_mov_b32 s2, exec_lo
	s_delay_alu instid0(VALU_DEP_1)
	v_cmpx_le_u32_e64 v1, v11
	s_xor_b32 s2, exec_lo, s2
	s_cbranch_execz .LBB1800_179
; %bb.174:
	s_mov_b32 s4, exec_lo
	v_cmpx_le_u32_e64 v10, v11
	s_xor_b32 s4, exec_lo, s4
	s_cbranch_execz .LBB1800_176
; %bb.175:
	v_lshlrev_b32_e32 v12, 2, v0
	v_add_co_u32 v11, vcc_lo, v3, v11
	ds_load_b32 v13, v12 offset:5120
	v_add_co_ci_u32_e32 v12, vcc_lo, 0, v9, vcc_lo
	s_delay_alu instid0(VALU_DEP_1) | instskip(NEXT) | instid1(VALU_DEP_1)
	v_lshlrev_b64 v[11:12], 2, v[11:12]
	v_sub_co_u32 v11, vcc_lo, s1, v11
	s_delay_alu instid0(VALU_DEP_2)
	v_sub_co_ci_u32_e32 v12, vcc_lo, s0, v12, vcc_lo
	s_waitcnt lgkmcnt(0)
	global_store_b32 v[11:12], v13, off
                                        ; implicit-def: $vgpr11
.LBB1800_176:
	s_and_not1_saveexec_b32 s4, s4
	s_cbranch_execz .LBB1800_178
; %bb.177:
	v_lshlrev_b32_e32 v12, 2, v0
	v_lshlrev_b32_e32 v11, 2, v11
	v_readfirstlane_b32 s6, v5
	v_readfirstlane_b32 s7, v6
	ds_load_b32 v12, v12 offset:5120
	s_waitcnt lgkmcnt(0)
	global_store_b32 v11, v12, s[6:7]
.LBB1800_178:
	s_or_b32 exec_lo, exec_lo, s4
                                        ; implicit-def: $vgpr11
.LBB1800_179:
	s_and_not1_saveexec_b32 s2, s2
	s_cbranch_execz .LBB1800_181
; %bb.180:
	v_lshlrev_b32_e32 v12, 2, v0
	v_lshlrev_b32_e32 v11, 2, v11
	v_readfirstlane_b32 s4, v7
	v_readfirstlane_b32 s5, v8
	ds_load_b32 v12, v12 offset:5120
	s_waitcnt lgkmcnt(0)
	global_store_b32 v11, v12, s[4:5]
.LBB1800_181:
	s_or_b32 exec_lo, exec_lo, s2
	v_or_b32_e32 v11, 0x600, v0
	s_mov_b32 s2, exec_lo
	s_delay_alu instid0(VALU_DEP_1)
	v_cmpx_le_u32_e64 v1, v11
	s_xor_b32 s2, exec_lo, s2
	s_cbranch_execz .LBB1800_187
; %bb.182:
	s_mov_b32 s4, exec_lo
	v_cmpx_le_u32_e64 v10, v11
	s_xor_b32 s4, exec_lo, s4
	s_cbranch_execz .LBB1800_184
; %bb.183:
	v_lshlrev_b32_e32 v12, 2, v0
	v_add_co_u32 v11, vcc_lo, v3, v11
	ds_load_b32 v13, v12 offset:6144
	v_add_co_ci_u32_e32 v12, vcc_lo, 0, v9, vcc_lo
	s_delay_alu instid0(VALU_DEP_1) | instskip(NEXT) | instid1(VALU_DEP_1)
	v_lshlrev_b64 v[11:12], 2, v[11:12]
	v_sub_co_u32 v11, vcc_lo, s1, v11
	s_delay_alu instid0(VALU_DEP_2)
	v_sub_co_ci_u32_e32 v12, vcc_lo, s0, v12, vcc_lo
	s_waitcnt lgkmcnt(0)
	global_store_b32 v[11:12], v13, off
                                        ; implicit-def: $vgpr11
.LBB1800_184:
	s_and_not1_saveexec_b32 s4, s4
	s_cbranch_execz .LBB1800_186
; %bb.185:
	v_lshlrev_b32_e32 v12, 2, v0
	v_lshlrev_b32_e32 v11, 2, v11
	v_readfirstlane_b32 s6, v5
	v_readfirstlane_b32 s7, v6
	ds_load_b32 v12, v12 offset:6144
	s_waitcnt lgkmcnt(0)
	global_store_b32 v11, v12, s[6:7]
.LBB1800_186:
	s_or_b32 exec_lo, exec_lo, s4
                                        ; implicit-def: $vgpr11
.LBB1800_187:
	;; [unrolled: 51-line block ×8, first 2 shown]
	s_and_not1_saveexec_b32 s2, s2
	s_cbranch_execz .LBB1800_237
; %bb.236:
	v_lshlrev_b32_e32 v12, 2, v0
	v_lshlrev_b32_e32 v11, 2, v11
	v_readfirstlane_b32 s4, v7
	v_readfirstlane_b32 s5, v8
	ds_load_b32 v12, v12 offset:12288
	s_waitcnt lgkmcnt(0)
	global_store_b32 v11, v12, s[4:5]
.LBB1800_237:
	s_or_b32 exec_lo, exec_lo, s2
	s_branch .LBB1800_131
.LBB1800_238:
	s_mov_b32 s2, exec_lo
	v_cmpx_gt_u32_e64 s3, v0
	s_cbranch_execz .LBB1800_247
; %bb.239:
	s_mov_b32 s4, exec_lo
	v_cmpx_le_u32_e64 v1, v0
	s_xor_b32 s4, exec_lo, s4
	s_cbranch_execz .LBB1800_245
; %bb.240:
	s_mov_b32 s5, exec_lo
	v_cmpx_le_u32_e64 v10, v0
	s_xor_b32 s5, exec_lo, s5
	s_cbranch_execz .LBB1800_242
; %bb.241:
	v_lshlrev_b32_e32 v11, 2, v0
	ds_load_b32 v13, v11
	v_add_co_u32 v11, vcc_lo, v3, v0
	v_add_co_ci_u32_e32 v12, vcc_lo, 0, v9, vcc_lo
	s_delay_alu instid0(VALU_DEP_1) | instskip(NEXT) | instid1(VALU_DEP_1)
	v_lshlrev_b64 v[11:12], 2, v[11:12]
	v_sub_co_u32 v11, vcc_lo, s26, v11
	s_delay_alu instid0(VALU_DEP_2)
	v_sub_co_ci_u32_e32 v12, vcc_lo, s27, v12, vcc_lo
	s_waitcnt lgkmcnt(0)
	global_store_b32 v[11:12], v13, off offset:-4
.LBB1800_242:
	s_and_not1_saveexec_b32 s5, s5
	s_cbranch_execz .LBB1800_244
; %bb.243:
	v_lshlrev_b32_e32 v11, 2, v0
	v_readfirstlane_b32 s6, v5
	v_readfirstlane_b32 s7, v6
	ds_load_b32 v12, v11
	s_waitcnt lgkmcnt(0)
	global_store_b32 v11, v12, s[6:7]
.LBB1800_244:
	s_or_b32 exec_lo, exec_lo, s5
.LBB1800_245:
	s_and_not1_saveexec_b32 s4, s4
	s_cbranch_execz .LBB1800_247
; %bb.246:
	v_lshlrev_b32_e32 v11, 2, v0
	v_readfirstlane_b32 s4, v7
	v_readfirstlane_b32 s5, v8
	ds_load_b32 v12, v11
	s_waitcnt lgkmcnt(0)
	global_store_b32 v11, v12, s[4:5]
.LBB1800_247:
	s_or_b32 exec_lo, exec_lo, s2
	v_or_b32_e32 v11, 0x100, v0
	s_mov_b32 s2, exec_lo
	s_delay_alu instid0(VALU_DEP_1)
	v_cmpx_gt_u32_e64 s3, v11
	s_cbranch_execz .LBB1800_256
; %bb.248:
	s_mov_b32 s4, exec_lo
	v_cmpx_le_u32_e64 v1, v11
	s_xor_b32 s4, exec_lo, s4
	s_cbranch_execz .LBB1800_254
; %bb.249:
	s_mov_b32 s5, exec_lo
	v_cmpx_le_u32_e64 v10, v11
	s_xor_b32 s5, exec_lo, s5
	s_cbranch_execz .LBB1800_251
; %bb.250:
	v_lshlrev_b32_e32 v11, 2, v0
	ds_load_b32 v13, v11 offset:1024
	v_add_co_u32 v11, vcc_lo, v3, v0
	v_add_co_ci_u32_e32 v12, vcc_lo, 0, v9, vcc_lo
	s_delay_alu instid0(VALU_DEP_1) | instskip(NEXT) | instid1(VALU_DEP_1)
	v_lshlrev_b64 v[11:12], 2, v[11:12]
	v_sub_co_u32 v11, vcc_lo, s1, v11
	s_delay_alu instid0(VALU_DEP_2)
	v_sub_co_ci_u32_e32 v12, vcc_lo, s0, v12, vcc_lo
	s_waitcnt lgkmcnt(0)
	global_store_b32 v[11:12], v13, off offset:-1024
.LBB1800_251:
	s_and_not1_saveexec_b32 s5, s5
	s_cbranch_execz .LBB1800_253
; %bb.252:
	v_lshlrev_b32_e32 v11, 2, v0
	v_readfirstlane_b32 s6, v5
	v_readfirstlane_b32 s7, v6
	ds_load_b32 v12, v11 offset:1024
	s_waitcnt lgkmcnt(0)
	global_store_b32 v11, v12, s[6:7] offset:1024
.LBB1800_253:
	s_or_b32 exec_lo, exec_lo, s5
.LBB1800_254:
	s_and_not1_saveexec_b32 s4, s4
	s_cbranch_execz .LBB1800_256
; %bb.255:
	v_lshlrev_b32_e32 v11, 2, v0
	v_readfirstlane_b32 s4, v7
	v_readfirstlane_b32 s5, v8
	ds_load_b32 v12, v11 offset:1024
	s_waitcnt lgkmcnt(0)
	global_store_b32 v11, v12, s[4:5] offset:1024
.LBB1800_256:
	s_or_b32 exec_lo, exec_lo, s2
	v_or_b32_e32 v11, 0x200, v0
	s_mov_b32 s2, exec_lo
	s_delay_alu instid0(VALU_DEP_1)
	v_cmpx_gt_u32_e64 s3, v11
	s_cbranch_execz .LBB1800_265
; %bb.257:
	s_mov_b32 s4, exec_lo
	v_cmpx_le_u32_e64 v1, v11
	s_xor_b32 s4, exec_lo, s4
	s_cbranch_execz .LBB1800_263
; %bb.258:
	s_mov_b32 s5, exec_lo
	v_cmpx_le_u32_e64 v10, v11
	s_xor_b32 s5, exec_lo, s5
	s_cbranch_execz .LBB1800_260
; %bb.259:
	v_lshlrev_b32_e32 v11, 2, v0
	ds_load_b32 v13, v11 offset:2048
	v_add_co_u32 v11, vcc_lo, v3, v0
	v_add_co_ci_u32_e32 v12, vcc_lo, 0, v9, vcc_lo
	s_delay_alu instid0(VALU_DEP_1) | instskip(NEXT) | instid1(VALU_DEP_1)
	v_lshlrev_b64 v[11:12], 2, v[11:12]
	v_sub_co_u32 v11, vcc_lo, s1, v11
	s_delay_alu instid0(VALU_DEP_2)
	v_sub_co_ci_u32_e32 v12, vcc_lo, s0, v12, vcc_lo
	s_waitcnt lgkmcnt(0)
	global_store_b32 v[11:12], v13, off offset:-2048
.LBB1800_260:
	s_and_not1_saveexec_b32 s5, s5
	s_cbranch_execz .LBB1800_262
; %bb.261:
	v_lshlrev_b32_e32 v11, 2, v0
	v_readfirstlane_b32 s6, v5
	v_readfirstlane_b32 s7, v6
	ds_load_b32 v12, v11 offset:2048
	s_waitcnt lgkmcnt(0)
	global_store_b32 v11, v12, s[6:7] offset:2048
.LBB1800_262:
	s_or_b32 exec_lo, exec_lo, s5
.LBB1800_263:
	s_and_not1_saveexec_b32 s4, s4
	s_cbranch_execz .LBB1800_265
; %bb.264:
	v_lshlrev_b32_e32 v11, 2, v0
	v_readfirstlane_b32 s4, v7
	v_readfirstlane_b32 s5, v8
	ds_load_b32 v12, v11 offset:2048
	s_waitcnt lgkmcnt(0)
	global_store_b32 v11, v12, s[4:5] offset:2048
.LBB1800_265:
	;; [unrolled: 51-line block ×3, first 2 shown]
	s_or_b32 exec_lo, exec_lo, s2
	v_or_b32_e32 v11, 0x400, v0
	s_mov_b32 s2, exec_lo
	s_delay_alu instid0(VALU_DEP_1)
	v_cmpx_gt_u32_e64 s3, v11
	s_cbranch_execz .LBB1800_283
; %bb.275:
	s_mov_b32 s4, exec_lo
	v_cmpx_le_u32_e64 v1, v11
	s_xor_b32 s4, exec_lo, s4
	s_cbranch_execz .LBB1800_281
; %bb.276:
	s_mov_b32 s5, exec_lo
	v_cmpx_le_u32_e64 v10, v11
	s_xor_b32 s5, exec_lo, s5
	s_cbranch_execz .LBB1800_278
; %bb.277:
	v_lshlrev_b32_e32 v11, 2, v0
	ds_load_b32 v13, v11 offset:4096
	v_add_co_u32 v11, vcc_lo, v3, v0
	v_add_co_ci_u32_e32 v12, vcc_lo, 0, v9, vcc_lo
	s_delay_alu instid0(VALU_DEP_1) | instskip(NEXT) | instid1(VALU_DEP_1)
	v_lshlrev_b64 v[11:12], 2, v[11:12]
	v_sub_co_u32 v11, vcc_lo, s1, v11
	s_delay_alu instid0(VALU_DEP_2)
	v_sub_co_ci_u32_e32 v12, vcc_lo, s0, v12, vcc_lo
	s_waitcnt lgkmcnt(0)
	global_store_b32 v[11:12], v13, off offset:-4096
                                        ; implicit-def: $vgpr11
.LBB1800_278:
	s_and_not1_saveexec_b32 s5, s5
	s_cbranch_execz .LBB1800_280
; %bb.279:
	v_lshlrev_b32_e32 v12, 2, v0
	v_lshlrev_b32_e32 v11, 2, v11
	v_readfirstlane_b32 s6, v5
	v_readfirstlane_b32 s7, v6
	ds_load_b32 v12, v12 offset:4096
	s_waitcnt lgkmcnt(0)
	global_store_b32 v11, v12, s[6:7]
.LBB1800_280:
	s_or_b32 exec_lo, exec_lo, s5
                                        ; implicit-def: $vgpr11
.LBB1800_281:
	s_and_not1_saveexec_b32 s4, s4
	s_cbranch_execz .LBB1800_283
; %bb.282:
	v_lshlrev_b32_e32 v12, 2, v0
	v_lshlrev_b32_e32 v11, 2, v11
	v_readfirstlane_b32 s4, v7
	v_readfirstlane_b32 s5, v8
	ds_load_b32 v12, v12 offset:4096
	s_waitcnt lgkmcnt(0)
	global_store_b32 v11, v12, s[4:5]
.LBB1800_283:
	s_or_b32 exec_lo, exec_lo, s2
	v_or_b32_e32 v11, 0x500, v0
	s_mov_b32 s2, exec_lo
	s_delay_alu instid0(VALU_DEP_1)
	v_cmpx_gt_u32_e64 s3, v11
	s_cbranch_execz .LBB1800_292
; %bb.284:
	s_mov_b32 s4, exec_lo
	v_cmpx_le_u32_e64 v1, v11
	s_xor_b32 s4, exec_lo, s4
	s_cbranch_execz .LBB1800_290
; %bb.285:
	s_mov_b32 s5, exec_lo
	v_cmpx_le_u32_e64 v10, v11
	s_xor_b32 s5, exec_lo, s5
	s_cbranch_execz .LBB1800_287
; %bb.286:
	v_lshlrev_b32_e32 v12, 2, v0
	v_add_co_u32 v11, vcc_lo, v3, v11
	ds_load_b32 v13, v12 offset:5120
	v_add_co_ci_u32_e32 v12, vcc_lo, 0, v9, vcc_lo
	s_delay_alu instid0(VALU_DEP_1) | instskip(NEXT) | instid1(VALU_DEP_1)
	v_lshlrev_b64 v[11:12], 2, v[11:12]
	v_sub_co_u32 v11, vcc_lo, s1, v11
	s_delay_alu instid0(VALU_DEP_2)
	v_sub_co_ci_u32_e32 v12, vcc_lo, s0, v12, vcc_lo
	s_waitcnt lgkmcnt(0)
	global_store_b32 v[11:12], v13, off
                                        ; implicit-def: $vgpr11
.LBB1800_287:
	s_and_not1_saveexec_b32 s5, s5
	s_cbranch_execz .LBB1800_289
; %bb.288:
	v_lshlrev_b32_e32 v12, 2, v0
	v_lshlrev_b32_e32 v11, 2, v11
	v_readfirstlane_b32 s6, v5
	v_readfirstlane_b32 s7, v6
	ds_load_b32 v12, v12 offset:5120
	s_waitcnt lgkmcnt(0)
	global_store_b32 v11, v12, s[6:7]
.LBB1800_289:
	s_or_b32 exec_lo, exec_lo, s5
                                        ; implicit-def: $vgpr11
.LBB1800_290:
	s_and_not1_saveexec_b32 s4, s4
	s_cbranch_execz .LBB1800_292
; %bb.291:
	v_lshlrev_b32_e32 v12, 2, v0
	v_lshlrev_b32_e32 v11, 2, v11
	v_readfirstlane_b32 s4, v7
	v_readfirstlane_b32 s5, v8
	ds_load_b32 v12, v12 offset:5120
	s_waitcnt lgkmcnt(0)
	global_store_b32 v11, v12, s[4:5]
.LBB1800_292:
	s_or_b32 exec_lo, exec_lo, s2
	v_or_b32_e32 v11, 0x600, v0
	s_mov_b32 s2, exec_lo
	s_delay_alu instid0(VALU_DEP_1)
	v_cmpx_gt_u32_e64 s3, v11
	s_cbranch_execz .LBB1800_301
; %bb.293:
	s_mov_b32 s4, exec_lo
	v_cmpx_le_u32_e64 v1, v11
	s_xor_b32 s4, exec_lo, s4
	s_cbranch_execz .LBB1800_299
; %bb.294:
	s_mov_b32 s5, exec_lo
	v_cmpx_le_u32_e64 v10, v11
	s_xor_b32 s5, exec_lo, s5
	s_cbranch_execz .LBB1800_296
; %bb.295:
	v_lshlrev_b32_e32 v12, 2, v0
	v_add_co_u32 v11, vcc_lo, v3, v11
	ds_load_b32 v13, v12 offset:6144
	v_add_co_ci_u32_e32 v12, vcc_lo, 0, v9, vcc_lo
	s_delay_alu instid0(VALU_DEP_1) | instskip(NEXT) | instid1(VALU_DEP_1)
	v_lshlrev_b64 v[11:12], 2, v[11:12]
	v_sub_co_u32 v11, vcc_lo, s1, v11
	s_delay_alu instid0(VALU_DEP_2)
	v_sub_co_ci_u32_e32 v12, vcc_lo, s0, v12, vcc_lo
	s_waitcnt lgkmcnt(0)
	global_store_b32 v[11:12], v13, off
                                        ; implicit-def: $vgpr11
.LBB1800_296:
	s_and_not1_saveexec_b32 s5, s5
	s_cbranch_execz .LBB1800_298
; %bb.297:
	v_lshlrev_b32_e32 v12, 2, v0
	v_lshlrev_b32_e32 v11, 2, v11
	v_readfirstlane_b32 s6, v5
	v_readfirstlane_b32 s7, v6
	ds_load_b32 v12, v12 offset:6144
	s_waitcnt lgkmcnt(0)
	global_store_b32 v11, v12, s[6:7]
.LBB1800_298:
	s_or_b32 exec_lo, exec_lo, s5
                                        ; implicit-def: $vgpr11
.LBB1800_299:
	s_and_not1_saveexec_b32 s4, s4
	s_cbranch_execz .LBB1800_301
; %bb.300:
	v_lshlrev_b32_e32 v12, 2, v0
	v_lshlrev_b32_e32 v11, 2, v11
	v_readfirstlane_b32 s4, v7
	v_readfirstlane_b32 s5, v8
	ds_load_b32 v12, v12 offset:6144
	s_waitcnt lgkmcnt(0)
	global_store_b32 v11, v12, s[4:5]
.LBB1800_301:
	;; [unrolled: 55-line block ×7, first 2 shown]
	s_or_b32 exec_lo, exec_lo, s2
	v_or_b32_e32 v11, 0xc00, v0
	s_mov_b32 s2, exec_lo
	s_delay_alu instid0(VALU_DEP_1)
	v_cmpx_gt_u32_e64 s3, v11
	s_cbranch_execz .LBB1800_355
; %bb.347:
	s_mov_b32 s3, exec_lo
	v_cmpx_le_u32_e64 v1, v11
	s_xor_b32 s3, exec_lo, s3
	s_cbranch_execz .LBB1800_353
; %bb.348:
	s_mov_b32 s4, exec_lo
	v_cmpx_le_u32_e64 v10, v11
	s_xor_b32 s4, exec_lo, s4
	s_cbranch_execz .LBB1800_350
; %bb.349:
	v_lshlrev_b32_e32 v5, 2, v0
	ds_load_b32 v7, v5 offset:12288
	v_add_co_u32 v5, vcc_lo, v3, v11
	v_add_co_ci_u32_e32 v6, vcc_lo, 0, v9, vcc_lo
                                        ; implicit-def: $vgpr11
	s_delay_alu instid0(VALU_DEP_1) | instskip(NEXT) | instid1(VALU_DEP_1)
	v_lshlrev_b64 v[5:6], 2, v[5:6]
	v_sub_co_u32 v5, vcc_lo, s1, v5
	s_delay_alu instid0(VALU_DEP_2)
	v_sub_co_ci_u32_e32 v6, vcc_lo, s0, v6, vcc_lo
	s_waitcnt lgkmcnt(0)
	global_store_b32 v[5:6], v7, off
                                        ; implicit-def: $vgpr5_vgpr6
.LBB1800_350:
	s_and_not1_saveexec_b32 s0, s4
	s_cbranch_execz .LBB1800_352
; %bb.351:
	v_lshlrev_b32_e32 v3, 2, v0
	v_lshlrev_b32_e32 v7, 2, v11
	v_readfirstlane_b32 s4, v5
	v_readfirstlane_b32 s5, v6
	ds_load_b32 v3, v3 offset:12288
	s_waitcnt lgkmcnt(0)
	global_store_b32 v7, v3, s[4:5]
.LBB1800_352:
	s_or_b32 exec_lo, exec_lo, s0
                                        ; implicit-def: $vgpr11
                                        ; implicit-def: $vgpr7_vgpr8
.LBB1800_353:
	s_and_not1_saveexec_b32 s0, s3
	s_cbranch_execz .LBB1800_355
; %bb.354:
	v_lshlrev_b32_e32 v3, 2, v0
	v_lshlrev_b32_e32 v5, 2, v11
	v_readfirstlane_b32 s0, v7
	v_readfirstlane_b32 s1, v8
	ds_load_b32 v3, v3 offset:12288
	s_waitcnt lgkmcnt(0)
	global_store_b32 v5, v3, s[0:1]
.LBB1800_355:
	s_or_b32 exec_lo, exec_lo, s2
	v_cmp_eq_u32_e32 vcc_lo, 0, v0
	s_and_b32 s0, vcc_lo, s14
	s_delay_alu instid0(SALU_CYCLE_1)
	s_and_saveexec_b32 s1, s0
	s_cbranch_execz .LBB1800_132
.LBB1800_356:
	v_add_co_u32 v2, s0, s30, v2
	s_delay_alu instid0(VALU_DEP_1) | instskip(SKIP_2) | instid1(VALU_DEP_4)
	v_add_co_ci_u32_e64 v3, null, s31, 0, s0
	v_add_co_u32 v0, vcc_lo, v18, v1
	v_add_co_ci_u32_e32 v1, vcc_lo, 0, v19, vcc_lo
	v_add_co_u32 v2, vcc_lo, v2, v4
	v_mov_b32_e32 v5, 0
	v_add_co_ci_u32_e32 v3, vcc_lo, 0, v3, vcc_lo
	global_store_b128 v5, v[0:3], s[24:25]
	s_nop 0
	s_sendmsg sendmsg(MSG_DEALLOC_VGPRS)
	s_endpgm
.LBB1800_357:
	v_add_nc_u32_e32 v3, s7, v23
	s_add_i32 s10, s15, 32
	s_mov_b32 s11, 0
	v_dual_mov_b32 v5, 0 :: v_dual_add_nc_u32 v2, v22, v1
	s_lshl_b64 s[10:11], s[10:11], 4
	v_and_b32_e32 v20, 0xff0000, v3
	s_add_u32 s10, s4, s10
	s_addc_u32 s11, s5, s11
	v_and_b32_e32 v4, 0xff000000, v3
	s_delay_alu instid0(VALU_DEP_1) | instskip(SKIP_2) | instid1(VALU_DEP_1)
	v_or_b32_e32 v20, v20, v4
	v_dual_mov_b32 v4, 2 :: v_dual_and_b32 v21, 0xff00, v3
	v_and_b32_e32 v3, 0xff, v3
	v_or3_b32 v3, v20, v21, v3
	v_dual_mov_b32 v21, s11 :: v_dual_mov_b32 v20, s10
	;;#ASMSTART
	global_store_dwordx4 v[20:21], v[2:5] off	
s_waitcnt vmcnt(0)
	;;#ASMEND
	s_or_b32 exec_lo, exec_lo, s8
	s_and_saveexec_b32 s8, s2
	s_cbranch_execz .LBB1800_116
.LBB1800_358:
	v_mov_b32_e32 v2, s7
	v_add_nc_u32_e64 v3, 0x3400, 0
	ds_store_2addr_b32 v3, v1, v2 offset1:2
	ds_store_2addr_b32 v3, v22, v23 offset0:4 offset1:6
	s_or_b32 exec_lo, exec_lo, s8
	v_cmp_eq_u32_e32 vcc_lo, 0, v0
	s_and_b32 exec_lo, exec_lo, vcc_lo
	s_cbranch_execnz .LBB1800_117
	s_branch .LBB1800_118
	.section	.rodata,"a",@progbits
	.p2align	6, 0x0
	.amdhsa_kernel _ZN7rocprim17ROCPRIM_400000_NS6detail17trampoline_kernelINS0_13select_configILj256ELj13ELNS0_17block_load_methodE3ELS4_3ELS4_3ELNS0_20block_scan_algorithmE0ELj4294967295EEENS1_25partition_config_selectorILNS1_17partition_subalgoE4EjNS0_10empty_typeEbEEZZNS1_14partition_implILS8_4ELb0ES6_15HIP_vector_typeIjLj2EENS0_17counting_iteratorIjlEEPS9_SG_NS0_5tupleIJPjSI_NS0_16reverse_iteratorISI_EEEEENSH_IJSG_SG_SG_EEES9_SI_JZNS1_25segmented_radix_sort_implINS0_14default_configELb0EPK6__halfPSP_PKlPlN2at6native12_GLOBAL__N_18offset_tEEE10hipError_tPvRmT1_PNSt15iterator_traitsIS13_E10value_typeET2_T3_PNS14_IS19_E10value_typeET4_jRbjT5_S1F_jjP12ihipStream_tbEUljE_ZNSN_ISO_Lb0ESR_SS_SU_SV_SZ_EES10_S11_S12_S13_S17_S18_S19_S1C_S1D_jS1E_jS1F_S1F_jjS1H_bEUljE0_EEES10_S11_S12_S19_S1D_S1F_T6_T7_T9_mT8_S1H_bDpT10_ENKUlT_T0_E_clISt17integral_constantIbLb1EES1U_IbLb0EEEEDaS1Q_S1R_EUlS1Q_E_NS1_11comp_targetILNS1_3genE9ELNS1_11target_archE1100ELNS1_3gpuE3ELNS1_3repE0EEENS1_30default_config_static_selectorELNS0_4arch9wavefront6targetE0EEEvS13_
		.amdhsa_group_segment_fixed_size 13340
		.amdhsa_private_segment_fixed_size 0
		.amdhsa_kernarg_size 176
		.amdhsa_user_sgpr_count 15
		.amdhsa_user_sgpr_dispatch_ptr 0
		.amdhsa_user_sgpr_queue_ptr 0
		.amdhsa_user_sgpr_kernarg_segment_ptr 1
		.amdhsa_user_sgpr_dispatch_id 0
		.amdhsa_user_sgpr_private_segment_size 0
		.amdhsa_wavefront_size32 1
		.amdhsa_uses_dynamic_stack 0
		.amdhsa_enable_private_segment 0
		.amdhsa_system_sgpr_workgroup_id_x 1
		.amdhsa_system_sgpr_workgroup_id_y 0
		.amdhsa_system_sgpr_workgroup_id_z 0
		.amdhsa_system_sgpr_workgroup_info 0
		.amdhsa_system_vgpr_workitem_id 0
		.amdhsa_next_free_vgpr 98
		.amdhsa_next_free_sgpr 59
		.amdhsa_reserve_vcc 1
		.amdhsa_float_round_mode_32 0
		.amdhsa_float_round_mode_16_64 0
		.amdhsa_float_denorm_mode_32 3
		.amdhsa_float_denorm_mode_16_64 3
		.amdhsa_dx10_clamp 1
		.amdhsa_ieee_mode 1
		.amdhsa_fp16_overflow 0
		.amdhsa_workgroup_processor_mode 1
		.amdhsa_memory_ordered 1
		.amdhsa_forward_progress 0
		.amdhsa_shared_vgpr_count 0
		.amdhsa_exception_fp_ieee_invalid_op 0
		.amdhsa_exception_fp_denorm_src 0
		.amdhsa_exception_fp_ieee_div_zero 0
		.amdhsa_exception_fp_ieee_overflow 0
		.amdhsa_exception_fp_ieee_underflow 0
		.amdhsa_exception_fp_ieee_inexact 0
		.amdhsa_exception_int_div_zero 0
	.end_amdhsa_kernel
	.section	.text._ZN7rocprim17ROCPRIM_400000_NS6detail17trampoline_kernelINS0_13select_configILj256ELj13ELNS0_17block_load_methodE3ELS4_3ELS4_3ELNS0_20block_scan_algorithmE0ELj4294967295EEENS1_25partition_config_selectorILNS1_17partition_subalgoE4EjNS0_10empty_typeEbEEZZNS1_14partition_implILS8_4ELb0ES6_15HIP_vector_typeIjLj2EENS0_17counting_iteratorIjlEEPS9_SG_NS0_5tupleIJPjSI_NS0_16reverse_iteratorISI_EEEEENSH_IJSG_SG_SG_EEES9_SI_JZNS1_25segmented_radix_sort_implINS0_14default_configELb0EPK6__halfPSP_PKlPlN2at6native12_GLOBAL__N_18offset_tEEE10hipError_tPvRmT1_PNSt15iterator_traitsIS13_E10value_typeET2_T3_PNS14_IS19_E10value_typeET4_jRbjT5_S1F_jjP12ihipStream_tbEUljE_ZNSN_ISO_Lb0ESR_SS_SU_SV_SZ_EES10_S11_S12_S13_S17_S18_S19_S1C_S1D_jS1E_jS1F_S1F_jjS1H_bEUljE0_EEES10_S11_S12_S19_S1D_S1F_T6_T7_T9_mT8_S1H_bDpT10_ENKUlT_T0_E_clISt17integral_constantIbLb1EES1U_IbLb0EEEEDaS1Q_S1R_EUlS1Q_E_NS1_11comp_targetILNS1_3genE9ELNS1_11target_archE1100ELNS1_3gpuE3ELNS1_3repE0EEENS1_30default_config_static_selectorELNS0_4arch9wavefront6targetE0EEEvS13_,"axG",@progbits,_ZN7rocprim17ROCPRIM_400000_NS6detail17trampoline_kernelINS0_13select_configILj256ELj13ELNS0_17block_load_methodE3ELS4_3ELS4_3ELNS0_20block_scan_algorithmE0ELj4294967295EEENS1_25partition_config_selectorILNS1_17partition_subalgoE4EjNS0_10empty_typeEbEEZZNS1_14partition_implILS8_4ELb0ES6_15HIP_vector_typeIjLj2EENS0_17counting_iteratorIjlEEPS9_SG_NS0_5tupleIJPjSI_NS0_16reverse_iteratorISI_EEEEENSH_IJSG_SG_SG_EEES9_SI_JZNS1_25segmented_radix_sort_implINS0_14default_configELb0EPK6__halfPSP_PKlPlN2at6native12_GLOBAL__N_18offset_tEEE10hipError_tPvRmT1_PNSt15iterator_traitsIS13_E10value_typeET2_T3_PNS14_IS19_E10value_typeET4_jRbjT5_S1F_jjP12ihipStream_tbEUljE_ZNSN_ISO_Lb0ESR_SS_SU_SV_SZ_EES10_S11_S12_S13_S17_S18_S19_S1C_S1D_jS1E_jS1F_S1F_jjS1H_bEUljE0_EEES10_S11_S12_S19_S1D_S1F_T6_T7_T9_mT8_S1H_bDpT10_ENKUlT_T0_E_clISt17integral_constantIbLb1EES1U_IbLb0EEEEDaS1Q_S1R_EUlS1Q_E_NS1_11comp_targetILNS1_3genE9ELNS1_11target_archE1100ELNS1_3gpuE3ELNS1_3repE0EEENS1_30default_config_static_selectorELNS0_4arch9wavefront6targetE0EEEvS13_,comdat
.Lfunc_end1800:
	.size	_ZN7rocprim17ROCPRIM_400000_NS6detail17trampoline_kernelINS0_13select_configILj256ELj13ELNS0_17block_load_methodE3ELS4_3ELS4_3ELNS0_20block_scan_algorithmE0ELj4294967295EEENS1_25partition_config_selectorILNS1_17partition_subalgoE4EjNS0_10empty_typeEbEEZZNS1_14partition_implILS8_4ELb0ES6_15HIP_vector_typeIjLj2EENS0_17counting_iteratorIjlEEPS9_SG_NS0_5tupleIJPjSI_NS0_16reverse_iteratorISI_EEEEENSH_IJSG_SG_SG_EEES9_SI_JZNS1_25segmented_radix_sort_implINS0_14default_configELb0EPK6__halfPSP_PKlPlN2at6native12_GLOBAL__N_18offset_tEEE10hipError_tPvRmT1_PNSt15iterator_traitsIS13_E10value_typeET2_T3_PNS14_IS19_E10value_typeET4_jRbjT5_S1F_jjP12ihipStream_tbEUljE_ZNSN_ISO_Lb0ESR_SS_SU_SV_SZ_EES10_S11_S12_S13_S17_S18_S19_S1C_S1D_jS1E_jS1F_S1F_jjS1H_bEUljE0_EEES10_S11_S12_S19_S1D_S1F_T6_T7_T9_mT8_S1H_bDpT10_ENKUlT_T0_E_clISt17integral_constantIbLb1EES1U_IbLb0EEEEDaS1Q_S1R_EUlS1Q_E_NS1_11comp_targetILNS1_3genE9ELNS1_11target_archE1100ELNS1_3gpuE3ELNS1_3repE0EEENS1_30default_config_static_selectorELNS0_4arch9wavefront6targetE0EEEvS13_, .Lfunc_end1800-_ZN7rocprim17ROCPRIM_400000_NS6detail17trampoline_kernelINS0_13select_configILj256ELj13ELNS0_17block_load_methodE3ELS4_3ELS4_3ELNS0_20block_scan_algorithmE0ELj4294967295EEENS1_25partition_config_selectorILNS1_17partition_subalgoE4EjNS0_10empty_typeEbEEZZNS1_14partition_implILS8_4ELb0ES6_15HIP_vector_typeIjLj2EENS0_17counting_iteratorIjlEEPS9_SG_NS0_5tupleIJPjSI_NS0_16reverse_iteratorISI_EEEEENSH_IJSG_SG_SG_EEES9_SI_JZNS1_25segmented_radix_sort_implINS0_14default_configELb0EPK6__halfPSP_PKlPlN2at6native12_GLOBAL__N_18offset_tEEE10hipError_tPvRmT1_PNSt15iterator_traitsIS13_E10value_typeET2_T3_PNS14_IS19_E10value_typeET4_jRbjT5_S1F_jjP12ihipStream_tbEUljE_ZNSN_ISO_Lb0ESR_SS_SU_SV_SZ_EES10_S11_S12_S13_S17_S18_S19_S1C_S1D_jS1E_jS1F_S1F_jjS1H_bEUljE0_EEES10_S11_S12_S19_S1D_S1F_T6_T7_T9_mT8_S1H_bDpT10_ENKUlT_T0_E_clISt17integral_constantIbLb1EES1U_IbLb0EEEEDaS1Q_S1R_EUlS1Q_E_NS1_11comp_targetILNS1_3genE9ELNS1_11target_archE1100ELNS1_3gpuE3ELNS1_3repE0EEENS1_30default_config_static_selectorELNS0_4arch9wavefront6targetE0EEEvS13_
                                        ; -- End function
	.section	.AMDGPU.csdata,"",@progbits
; Kernel info:
; codeLenInByte = 15084
; NumSgprs: 61
; NumVgprs: 98
; ScratchSize: 0
; MemoryBound: 0
; FloatMode: 240
; IeeeMode: 1
; LDSByteSize: 13340 bytes/workgroup (compile time only)
; SGPRBlocks: 7
; VGPRBlocks: 12
; NumSGPRsForWavesPerEU: 61
; NumVGPRsForWavesPerEU: 98
; Occupancy: 12
; WaveLimiterHint : 1
; COMPUTE_PGM_RSRC2:SCRATCH_EN: 0
; COMPUTE_PGM_RSRC2:USER_SGPR: 15
; COMPUTE_PGM_RSRC2:TRAP_HANDLER: 0
; COMPUTE_PGM_RSRC2:TGID_X_EN: 1
; COMPUTE_PGM_RSRC2:TGID_Y_EN: 0
; COMPUTE_PGM_RSRC2:TGID_Z_EN: 0
; COMPUTE_PGM_RSRC2:TIDIG_COMP_CNT: 0
	.section	.text._ZN7rocprim17ROCPRIM_400000_NS6detail17trampoline_kernelINS0_13select_configILj256ELj13ELNS0_17block_load_methodE3ELS4_3ELS4_3ELNS0_20block_scan_algorithmE0ELj4294967295EEENS1_25partition_config_selectorILNS1_17partition_subalgoE4EjNS0_10empty_typeEbEEZZNS1_14partition_implILS8_4ELb0ES6_15HIP_vector_typeIjLj2EENS0_17counting_iteratorIjlEEPS9_SG_NS0_5tupleIJPjSI_NS0_16reverse_iteratorISI_EEEEENSH_IJSG_SG_SG_EEES9_SI_JZNS1_25segmented_radix_sort_implINS0_14default_configELb0EPK6__halfPSP_PKlPlN2at6native12_GLOBAL__N_18offset_tEEE10hipError_tPvRmT1_PNSt15iterator_traitsIS13_E10value_typeET2_T3_PNS14_IS19_E10value_typeET4_jRbjT5_S1F_jjP12ihipStream_tbEUljE_ZNSN_ISO_Lb0ESR_SS_SU_SV_SZ_EES10_S11_S12_S13_S17_S18_S19_S1C_S1D_jS1E_jS1F_S1F_jjS1H_bEUljE0_EEES10_S11_S12_S19_S1D_S1F_T6_T7_T9_mT8_S1H_bDpT10_ENKUlT_T0_E_clISt17integral_constantIbLb1EES1U_IbLb0EEEEDaS1Q_S1R_EUlS1Q_E_NS1_11comp_targetILNS1_3genE8ELNS1_11target_archE1030ELNS1_3gpuE2ELNS1_3repE0EEENS1_30default_config_static_selectorELNS0_4arch9wavefront6targetE0EEEvS13_,"axG",@progbits,_ZN7rocprim17ROCPRIM_400000_NS6detail17trampoline_kernelINS0_13select_configILj256ELj13ELNS0_17block_load_methodE3ELS4_3ELS4_3ELNS0_20block_scan_algorithmE0ELj4294967295EEENS1_25partition_config_selectorILNS1_17partition_subalgoE4EjNS0_10empty_typeEbEEZZNS1_14partition_implILS8_4ELb0ES6_15HIP_vector_typeIjLj2EENS0_17counting_iteratorIjlEEPS9_SG_NS0_5tupleIJPjSI_NS0_16reverse_iteratorISI_EEEEENSH_IJSG_SG_SG_EEES9_SI_JZNS1_25segmented_radix_sort_implINS0_14default_configELb0EPK6__halfPSP_PKlPlN2at6native12_GLOBAL__N_18offset_tEEE10hipError_tPvRmT1_PNSt15iterator_traitsIS13_E10value_typeET2_T3_PNS14_IS19_E10value_typeET4_jRbjT5_S1F_jjP12ihipStream_tbEUljE_ZNSN_ISO_Lb0ESR_SS_SU_SV_SZ_EES10_S11_S12_S13_S17_S18_S19_S1C_S1D_jS1E_jS1F_S1F_jjS1H_bEUljE0_EEES10_S11_S12_S19_S1D_S1F_T6_T7_T9_mT8_S1H_bDpT10_ENKUlT_T0_E_clISt17integral_constantIbLb1EES1U_IbLb0EEEEDaS1Q_S1R_EUlS1Q_E_NS1_11comp_targetILNS1_3genE8ELNS1_11target_archE1030ELNS1_3gpuE2ELNS1_3repE0EEENS1_30default_config_static_selectorELNS0_4arch9wavefront6targetE0EEEvS13_,comdat
	.globl	_ZN7rocprim17ROCPRIM_400000_NS6detail17trampoline_kernelINS0_13select_configILj256ELj13ELNS0_17block_load_methodE3ELS4_3ELS4_3ELNS0_20block_scan_algorithmE0ELj4294967295EEENS1_25partition_config_selectorILNS1_17partition_subalgoE4EjNS0_10empty_typeEbEEZZNS1_14partition_implILS8_4ELb0ES6_15HIP_vector_typeIjLj2EENS0_17counting_iteratorIjlEEPS9_SG_NS0_5tupleIJPjSI_NS0_16reverse_iteratorISI_EEEEENSH_IJSG_SG_SG_EEES9_SI_JZNS1_25segmented_radix_sort_implINS0_14default_configELb0EPK6__halfPSP_PKlPlN2at6native12_GLOBAL__N_18offset_tEEE10hipError_tPvRmT1_PNSt15iterator_traitsIS13_E10value_typeET2_T3_PNS14_IS19_E10value_typeET4_jRbjT5_S1F_jjP12ihipStream_tbEUljE_ZNSN_ISO_Lb0ESR_SS_SU_SV_SZ_EES10_S11_S12_S13_S17_S18_S19_S1C_S1D_jS1E_jS1F_S1F_jjS1H_bEUljE0_EEES10_S11_S12_S19_S1D_S1F_T6_T7_T9_mT8_S1H_bDpT10_ENKUlT_T0_E_clISt17integral_constantIbLb1EES1U_IbLb0EEEEDaS1Q_S1R_EUlS1Q_E_NS1_11comp_targetILNS1_3genE8ELNS1_11target_archE1030ELNS1_3gpuE2ELNS1_3repE0EEENS1_30default_config_static_selectorELNS0_4arch9wavefront6targetE0EEEvS13_ ; -- Begin function _ZN7rocprim17ROCPRIM_400000_NS6detail17trampoline_kernelINS0_13select_configILj256ELj13ELNS0_17block_load_methodE3ELS4_3ELS4_3ELNS0_20block_scan_algorithmE0ELj4294967295EEENS1_25partition_config_selectorILNS1_17partition_subalgoE4EjNS0_10empty_typeEbEEZZNS1_14partition_implILS8_4ELb0ES6_15HIP_vector_typeIjLj2EENS0_17counting_iteratorIjlEEPS9_SG_NS0_5tupleIJPjSI_NS0_16reverse_iteratorISI_EEEEENSH_IJSG_SG_SG_EEES9_SI_JZNS1_25segmented_radix_sort_implINS0_14default_configELb0EPK6__halfPSP_PKlPlN2at6native12_GLOBAL__N_18offset_tEEE10hipError_tPvRmT1_PNSt15iterator_traitsIS13_E10value_typeET2_T3_PNS14_IS19_E10value_typeET4_jRbjT5_S1F_jjP12ihipStream_tbEUljE_ZNSN_ISO_Lb0ESR_SS_SU_SV_SZ_EES10_S11_S12_S13_S17_S18_S19_S1C_S1D_jS1E_jS1F_S1F_jjS1H_bEUljE0_EEES10_S11_S12_S19_S1D_S1F_T6_T7_T9_mT8_S1H_bDpT10_ENKUlT_T0_E_clISt17integral_constantIbLb1EES1U_IbLb0EEEEDaS1Q_S1R_EUlS1Q_E_NS1_11comp_targetILNS1_3genE8ELNS1_11target_archE1030ELNS1_3gpuE2ELNS1_3repE0EEENS1_30default_config_static_selectorELNS0_4arch9wavefront6targetE0EEEvS13_
	.p2align	8
	.type	_ZN7rocprim17ROCPRIM_400000_NS6detail17trampoline_kernelINS0_13select_configILj256ELj13ELNS0_17block_load_methodE3ELS4_3ELS4_3ELNS0_20block_scan_algorithmE0ELj4294967295EEENS1_25partition_config_selectorILNS1_17partition_subalgoE4EjNS0_10empty_typeEbEEZZNS1_14partition_implILS8_4ELb0ES6_15HIP_vector_typeIjLj2EENS0_17counting_iteratorIjlEEPS9_SG_NS0_5tupleIJPjSI_NS0_16reverse_iteratorISI_EEEEENSH_IJSG_SG_SG_EEES9_SI_JZNS1_25segmented_radix_sort_implINS0_14default_configELb0EPK6__halfPSP_PKlPlN2at6native12_GLOBAL__N_18offset_tEEE10hipError_tPvRmT1_PNSt15iterator_traitsIS13_E10value_typeET2_T3_PNS14_IS19_E10value_typeET4_jRbjT5_S1F_jjP12ihipStream_tbEUljE_ZNSN_ISO_Lb0ESR_SS_SU_SV_SZ_EES10_S11_S12_S13_S17_S18_S19_S1C_S1D_jS1E_jS1F_S1F_jjS1H_bEUljE0_EEES10_S11_S12_S19_S1D_S1F_T6_T7_T9_mT8_S1H_bDpT10_ENKUlT_T0_E_clISt17integral_constantIbLb1EES1U_IbLb0EEEEDaS1Q_S1R_EUlS1Q_E_NS1_11comp_targetILNS1_3genE8ELNS1_11target_archE1030ELNS1_3gpuE2ELNS1_3repE0EEENS1_30default_config_static_selectorELNS0_4arch9wavefront6targetE0EEEvS13_,@function
_ZN7rocprim17ROCPRIM_400000_NS6detail17trampoline_kernelINS0_13select_configILj256ELj13ELNS0_17block_load_methodE3ELS4_3ELS4_3ELNS0_20block_scan_algorithmE0ELj4294967295EEENS1_25partition_config_selectorILNS1_17partition_subalgoE4EjNS0_10empty_typeEbEEZZNS1_14partition_implILS8_4ELb0ES6_15HIP_vector_typeIjLj2EENS0_17counting_iteratorIjlEEPS9_SG_NS0_5tupleIJPjSI_NS0_16reverse_iteratorISI_EEEEENSH_IJSG_SG_SG_EEES9_SI_JZNS1_25segmented_radix_sort_implINS0_14default_configELb0EPK6__halfPSP_PKlPlN2at6native12_GLOBAL__N_18offset_tEEE10hipError_tPvRmT1_PNSt15iterator_traitsIS13_E10value_typeET2_T3_PNS14_IS19_E10value_typeET4_jRbjT5_S1F_jjP12ihipStream_tbEUljE_ZNSN_ISO_Lb0ESR_SS_SU_SV_SZ_EES10_S11_S12_S13_S17_S18_S19_S1C_S1D_jS1E_jS1F_S1F_jjS1H_bEUljE0_EEES10_S11_S12_S19_S1D_S1F_T6_T7_T9_mT8_S1H_bDpT10_ENKUlT_T0_E_clISt17integral_constantIbLb1EES1U_IbLb0EEEEDaS1Q_S1R_EUlS1Q_E_NS1_11comp_targetILNS1_3genE8ELNS1_11target_archE1030ELNS1_3gpuE2ELNS1_3repE0EEENS1_30default_config_static_selectorELNS0_4arch9wavefront6targetE0EEEvS13_: ; @_ZN7rocprim17ROCPRIM_400000_NS6detail17trampoline_kernelINS0_13select_configILj256ELj13ELNS0_17block_load_methodE3ELS4_3ELS4_3ELNS0_20block_scan_algorithmE0ELj4294967295EEENS1_25partition_config_selectorILNS1_17partition_subalgoE4EjNS0_10empty_typeEbEEZZNS1_14partition_implILS8_4ELb0ES6_15HIP_vector_typeIjLj2EENS0_17counting_iteratorIjlEEPS9_SG_NS0_5tupleIJPjSI_NS0_16reverse_iteratorISI_EEEEENSH_IJSG_SG_SG_EEES9_SI_JZNS1_25segmented_radix_sort_implINS0_14default_configELb0EPK6__halfPSP_PKlPlN2at6native12_GLOBAL__N_18offset_tEEE10hipError_tPvRmT1_PNSt15iterator_traitsIS13_E10value_typeET2_T3_PNS14_IS19_E10value_typeET4_jRbjT5_S1F_jjP12ihipStream_tbEUljE_ZNSN_ISO_Lb0ESR_SS_SU_SV_SZ_EES10_S11_S12_S13_S17_S18_S19_S1C_S1D_jS1E_jS1F_S1F_jjS1H_bEUljE0_EEES10_S11_S12_S19_S1D_S1F_T6_T7_T9_mT8_S1H_bDpT10_ENKUlT_T0_E_clISt17integral_constantIbLb1EES1U_IbLb0EEEEDaS1Q_S1R_EUlS1Q_E_NS1_11comp_targetILNS1_3genE8ELNS1_11target_archE1030ELNS1_3gpuE2ELNS1_3repE0EEENS1_30default_config_static_selectorELNS0_4arch9wavefront6targetE0EEEvS13_
; %bb.0:
	.section	.rodata,"a",@progbits
	.p2align	6, 0x0
	.amdhsa_kernel _ZN7rocprim17ROCPRIM_400000_NS6detail17trampoline_kernelINS0_13select_configILj256ELj13ELNS0_17block_load_methodE3ELS4_3ELS4_3ELNS0_20block_scan_algorithmE0ELj4294967295EEENS1_25partition_config_selectorILNS1_17partition_subalgoE4EjNS0_10empty_typeEbEEZZNS1_14partition_implILS8_4ELb0ES6_15HIP_vector_typeIjLj2EENS0_17counting_iteratorIjlEEPS9_SG_NS0_5tupleIJPjSI_NS0_16reverse_iteratorISI_EEEEENSH_IJSG_SG_SG_EEES9_SI_JZNS1_25segmented_radix_sort_implINS0_14default_configELb0EPK6__halfPSP_PKlPlN2at6native12_GLOBAL__N_18offset_tEEE10hipError_tPvRmT1_PNSt15iterator_traitsIS13_E10value_typeET2_T3_PNS14_IS19_E10value_typeET4_jRbjT5_S1F_jjP12ihipStream_tbEUljE_ZNSN_ISO_Lb0ESR_SS_SU_SV_SZ_EES10_S11_S12_S13_S17_S18_S19_S1C_S1D_jS1E_jS1F_S1F_jjS1H_bEUljE0_EEES10_S11_S12_S19_S1D_S1F_T6_T7_T9_mT8_S1H_bDpT10_ENKUlT_T0_E_clISt17integral_constantIbLb1EES1U_IbLb0EEEEDaS1Q_S1R_EUlS1Q_E_NS1_11comp_targetILNS1_3genE8ELNS1_11target_archE1030ELNS1_3gpuE2ELNS1_3repE0EEENS1_30default_config_static_selectorELNS0_4arch9wavefront6targetE0EEEvS13_
		.amdhsa_group_segment_fixed_size 0
		.amdhsa_private_segment_fixed_size 0
		.amdhsa_kernarg_size 176
		.amdhsa_user_sgpr_count 15
		.amdhsa_user_sgpr_dispatch_ptr 0
		.amdhsa_user_sgpr_queue_ptr 0
		.amdhsa_user_sgpr_kernarg_segment_ptr 1
		.amdhsa_user_sgpr_dispatch_id 0
		.amdhsa_user_sgpr_private_segment_size 0
		.amdhsa_wavefront_size32 1
		.amdhsa_uses_dynamic_stack 0
		.amdhsa_enable_private_segment 0
		.amdhsa_system_sgpr_workgroup_id_x 1
		.amdhsa_system_sgpr_workgroup_id_y 0
		.amdhsa_system_sgpr_workgroup_id_z 0
		.amdhsa_system_sgpr_workgroup_info 0
		.amdhsa_system_vgpr_workitem_id 0
		.amdhsa_next_free_vgpr 1
		.amdhsa_next_free_sgpr 1
		.amdhsa_reserve_vcc 0
		.amdhsa_float_round_mode_32 0
		.amdhsa_float_round_mode_16_64 0
		.amdhsa_float_denorm_mode_32 3
		.amdhsa_float_denorm_mode_16_64 3
		.amdhsa_dx10_clamp 1
		.amdhsa_ieee_mode 1
		.amdhsa_fp16_overflow 0
		.amdhsa_workgroup_processor_mode 1
		.amdhsa_memory_ordered 1
		.amdhsa_forward_progress 0
		.amdhsa_shared_vgpr_count 0
		.amdhsa_exception_fp_ieee_invalid_op 0
		.amdhsa_exception_fp_denorm_src 0
		.amdhsa_exception_fp_ieee_div_zero 0
		.amdhsa_exception_fp_ieee_overflow 0
		.amdhsa_exception_fp_ieee_underflow 0
		.amdhsa_exception_fp_ieee_inexact 0
		.amdhsa_exception_int_div_zero 0
	.end_amdhsa_kernel
	.section	.text._ZN7rocprim17ROCPRIM_400000_NS6detail17trampoline_kernelINS0_13select_configILj256ELj13ELNS0_17block_load_methodE3ELS4_3ELS4_3ELNS0_20block_scan_algorithmE0ELj4294967295EEENS1_25partition_config_selectorILNS1_17partition_subalgoE4EjNS0_10empty_typeEbEEZZNS1_14partition_implILS8_4ELb0ES6_15HIP_vector_typeIjLj2EENS0_17counting_iteratorIjlEEPS9_SG_NS0_5tupleIJPjSI_NS0_16reverse_iteratorISI_EEEEENSH_IJSG_SG_SG_EEES9_SI_JZNS1_25segmented_radix_sort_implINS0_14default_configELb0EPK6__halfPSP_PKlPlN2at6native12_GLOBAL__N_18offset_tEEE10hipError_tPvRmT1_PNSt15iterator_traitsIS13_E10value_typeET2_T3_PNS14_IS19_E10value_typeET4_jRbjT5_S1F_jjP12ihipStream_tbEUljE_ZNSN_ISO_Lb0ESR_SS_SU_SV_SZ_EES10_S11_S12_S13_S17_S18_S19_S1C_S1D_jS1E_jS1F_S1F_jjS1H_bEUljE0_EEES10_S11_S12_S19_S1D_S1F_T6_T7_T9_mT8_S1H_bDpT10_ENKUlT_T0_E_clISt17integral_constantIbLb1EES1U_IbLb0EEEEDaS1Q_S1R_EUlS1Q_E_NS1_11comp_targetILNS1_3genE8ELNS1_11target_archE1030ELNS1_3gpuE2ELNS1_3repE0EEENS1_30default_config_static_selectorELNS0_4arch9wavefront6targetE0EEEvS13_,"axG",@progbits,_ZN7rocprim17ROCPRIM_400000_NS6detail17trampoline_kernelINS0_13select_configILj256ELj13ELNS0_17block_load_methodE3ELS4_3ELS4_3ELNS0_20block_scan_algorithmE0ELj4294967295EEENS1_25partition_config_selectorILNS1_17partition_subalgoE4EjNS0_10empty_typeEbEEZZNS1_14partition_implILS8_4ELb0ES6_15HIP_vector_typeIjLj2EENS0_17counting_iteratorIjlEEPS9_SG_NS0_5tupleIJPjSI_NS0_16reverse_iteratorISI_EEEEENSH_IJSG_SG_SG_EEES9_SI_JZNS1_25segmented_radix_sort_implINS0_14default_configELb0EPK6__halfPSP_PKlPlN2at6native12_GLOBAL__N_18offset_tEEE10hipError_tPvRmT1_PNSt15iterator_traitsIS13_E10value_typeET2_T3_PNS14_IS19_E10value_typeET4_jRbjT5_S1F_jjP12ihipStream_tbEUljE_ZNSN_ISO_Lb0ESR_SS_SU_SV_SZ_EES10_S11_S12_S13_S17_S18_S19_S1C_S1D_jS1E_jS1F_S1F_jjS1H_bEUljE0_EEES10_S11_S12_S19_S1D_S1F_T6_T7_T9_mT8_S1H_bDpT10_ENKUlT_T0_E_clISt17integral_constantIbLb1EES1U_IbLb0EEEEDaS1Q_S1R_EUlS1Q_E_NS1_11comp_targetILNS1_3genE8ELNS1_11target_archE1030ELNS1_3gpuE2ELNS1_3repE0EEENS1_30default_config_static_selectorELNS0_4arch9wavefront6targetE0EEEvS13_,comdat
.Lfunc_end1801:
	.size	_ZN7rocprim17ROCPRIM_400000_NS6detail17trampoline_kernelINS0_13select_configILj256ELj13ELNS0_17block_load_methodE3ELS4_3ELS4_3ELNS0_20block_scan_algorithmE0ELj4294967295EEENS1_25partition_config_selectorILNS1_17partition_subalgoE4EjNS0_10empty_typeEbEEZZNS1_14partition_implILS8_4ELb0ES6_15HIP_vector_typeIjLj2EENS0_17counting_iteratorIjlEEPS9_SG_NS0_5tupleIJPjSI_NS0_16reverse_iteratorISI_EEEEENSH_IJSG_SG_SG_EEES9_SI_JZNS1_25segmented_radix_sort_implINS0_14default_configELb0EPK6__halfPSP_PKlPlN2at6native12_GLOBAL__N_18offset_tEEE10hipError_tPvRmT1_PNSt15iterator_traitsIS13_E10value_typeET2_T3_PNS14_IS19_E10value_typeET4_jRbjT5_S1F_jjP12ihipStream_tbEUljE_ZNSN_ISO_Lb0ESR_SS_SU_SV_SZ_EES10_S11_S12_S13_S17_S18_S19_S1C_S1D_jS1E_jS1F_S1F_jjS1H_bEUljE0_EEES10_S11_S12_S19_S1D_S1F_T6_T7_T9_mT8_S1H_bDpT10_ENKUlT_T0_E_clISt17integral_constantIbLb1EES1U_IbLb0EEEEDaS1Q_S1R_EUlS1Q_E_NS1_11comp_targetILNS1_3genE8ELNS1_11target_archE1030ELNS1_3gpuE2ELNS1_3repE0EEENS1_30default_config_static_selectorELNS0_4arch9wavefront6targetE0EEEvS13_, .Lfunc_end1801-_ZN7rocprim17ROCPRIM_400000_NS6detail17trampoline_kernelINS0_13select_configILj256ELj13ELNS0_17block_load_methodE3ELS4_3ELS4_3ELNS0_20block_scan_algorithmE0ELj4294967295EEENS1_25partition_config_selectorILNS1_17partition_subalgoE4EjNS0_10empty_typeEbEEZZNS1_14partition_implILS8_4ELb0ES6_15HIP_vector_typeIjLj2EENS0_17counting_iteratorIjlEEPS9_SG_NS0_5tupleIJPjSI_NS0_16reverse_iteratorISI_EEEEENSH_IJSG_SG_SG_EEES9_SI_JZNS1_25segmented_radix_sort_implINS0_14default_configELb0EPK6__halfPSP_PKlPlN2at6native12_GLOBAL__N_18offset_tEEE10hipError_tPvRmT1_PNSt15iterator_traitsIS13_E10value_typeET2_T3_PNS14_IS19_E10value_typeET4_jRbjT5_S1F_jjP12ihipStream_tbEUljE_ZNSN_ISO_Lb0ESR_SS_SU_SV_SZ_EES10_S11_S12_S13_S17_S18_S19_S1C_S1D_jS1E_jS1F_S1F_jjS1H_bEUljE0_EEES10_S11_S12_S19_S1D_S1F_T6_T7_T9_mT8_S1H_bDpT10_ENKUlT_T0_E_clISt17integral_constantIbLb1EES1U_IbLb0EEEEDaS1Q_S1R_EUlS1Q_E_NS1_11comp_targetILNS1_3genE8ELNS1_11target_archE1030ELNS1_3gpuE2ELNS1_3repE0EEENS1_30default_config_static_selectorELNS0_4arch9wavefront6targetE0EEEvS13_
                                        ; -- End function
	.section	.AMDGPU.csdata,"",@progbits
; Kernel info:
; codeLenInByte = 0
; NumSgprs: 0
; NumVgprs: 0
; ScratchSize: 0
; MemoryBound: 0
; FloatMode: 240
; IeeeMode: 1
; LDSByteSize: 0 bytes/workgroup (compile time only)
; SGPRBlocks: 0
; VGPRBlocks: 0
; NumSGPRsForWavesPerEU: 1
; NumVGPRsForWavesPerEU: 1
; Occupancy: 16
; WaveLimiterHint : 0
; COMPUTE_PGM_RSRC2:SCRATCH_EN: 0
; COMPUTE_PGM_RSRC2:USER_SGPR: 15
; COMPUTE_PGM_RSRC2:TRAP_HANDLER: 0
; COMPUTE_PGM_RSRC2:TGID_X_EN: 1
; COMPUTE_PGM_RSRC2:TGID_Y_EN: 0
; COMPUTE_PGM_RSRC2:TGID_Z_EN: 0
; COMPUTE_PGM_RSRC2:TIDIG_COMP_CNT: 0
	.section	.text._ZN7rocprim17ROCPRIM_400000_NS6detail17trampoline_kernelINS0_13select_configILj256ELj13ELNS0_17block_load_methodE3ELS4_3ELS4_3ELNS0_20block_scan_algorithmE0ELj4294967295EEENS1_25partition_config_selectorILNS1_17partition_subalgoE4EjNS0_10empty_typeEbEEZZNS1_14partition_implILS8_4ELb0ES6_15HIP_vector_typeIjLj2EENS0_17counting_iteratorIjlEEPS9_SG_NS0_5tupleIJPjSI_NS0_16reverse_iteratorISI_EEEEENSH_IJSG_SG_SG_EEES9_SI_JZNS1_25segmented_radix_sort_implINS0_14default_configELb0EPK6__halfPSP_PKlPlN2at6native12_GLOBAL__N_18offset_tEEE10hipError_tPvRmT1_PNSt15iterator_traitsIS13_E10value_typeET2_T3_PNS14_IS19_E10value_typeET4_jRbjT5_S1F_jjP12ihipStream_tbEUljE_ZNSN_ISO_Lb0ESR_SS_SU_SV_SZ_EES10_S11_S12_S13_S17_S18_S19_S1C_S1D_jS1E_jS1F_S1F_jjS1H_bEUljE0_EEES10_S11_S12_S19_S1D_S1F_T6_T7_T9_mT8_S1H_bDpT10_ENKUlT_T0_E_clISt17integral_constantIbLb0EES1U_IbLb1EEEEDaS1Q_S1R_EUlS1Q_E_NS1_11comp_targetILNS1_3genE0ELNS1_11target_archE4294967295ELNS1_3gpuE0ELNS1_3repE0EEENS1_30default_config_static_selectorELNS0_4arch9wavefront6targetE0EEEvS13_,"axG",@progbits,_ZN7rocprim17ROCPRIM_400000_NS6detail17trampoline_kernelINS0_13select_configILj256ELj13ELNS0_17block_load_methodE3ELS4_3ELS4_3ELNS0_20block_scan_algorithmE0ELj4294967295EEENS1_25partition_config_selectorILNS1_17partition_subalgoE4EjNS0_10empty_typeEbEEZZNS1_14partition_implILS8_4ELb0ES6_15HIP_vector_typeIjLj2EENS0_17counting_iteratorIjlEEPS9_SG_NS0_5tupleIJPjSI_NS0_16reverse_iteratorISI_EEEEENSH_IJSG_SG_SG_EEES9_SI_JZNS1_25segmented_radix_sort_implINS0_14default_configELb0EPK6__halfPSP_PKlPlN2at6native12_GLOBAL__N_18offset_tEEE10hipError_tPvRmT1_PNSt15iterator_traitsIS13_E10value_typeET2_T3_PNS14_IS19_E10value_typeET4_jRbjT5_S1F_jjP12ihipStream_tbEUljE_ZNSN_ISO_Lb0ESR_SS_SU_SV_SZ_EES10_S11_S12_S13_S17_S18_S19_S1C_S1D_jS1E_jS1F_S1F_jjS1H_bEUljE0_EEES10_S11_S12_S19_S1D_S1F_T6_T7_T9_mT8_S1H_bDpT10_ENKUlT_T0_E_clISt17integral_constantIbLb0EES1U_IbLb1EEEEDaS1Q_S1R_EUlS1Q_E_NS1_11comp_targetILNS1_3genE0ELNS1_11target_archE4294967295ELNS1_3gpuE0ELNS1_3repE0EEENS1_30default_config_static_selectorELNS0_4arch9wavefront6targetE0EEEvS13_,comdat
	.globl	_ZN7rocprim17ROCPRIM_400000_NS6detail17trampoline_kernelINS0_13select_configILj256ELj13ELNS0_17block_load_methodE3ELS4_3ELS4_3ELNS0_20block_scan_algorithmE0ELj4294967295EEENS1_25partition_config_selectorILNS1_17partition_subalgoE4EjNS0_10empty_typeEbEEZZNS1_14partition_implILS8_4ELb0ES6_15HIP_vector_typeIjLj2EENS0_17counting_iteratorIjlEEPS9_SG_NS0_5tupleIJPjSI_NS0_16reverse_iteratorISI_EEEEENSH_IJSG_SG_SG_EEES9_SI_JZNS1_25segmented_radix_sort_implINS0_14default_configELb0EPK6__halfPSP_PKlPlN2at6native12_GLOBAL__N_18offset_tEEE10hipError_tPvRmT1_PNSt15iterator_traitsIS13_E10value_typeET2_T3_PNS14_IS19_E10value_typeET4_jRbjT5_S1F_jjP12ihipStream_tbEUljE_ZNSN_ISO_Lb0ESR_SS_SU_SV_SZ_EES10_S11_S12_S13_S17_S18_S19_S1C_S1D_jS1E_jS1F_S1F_jjS1H_bEUljE0_EEES10_S11_S12_S19_S1D_S1F_T6_T7_T9_mT8_S1H_bDpT10_ENKUlT_T0_E_clISt17integral_constantIbLb0EES1U_IbLb1EEEEDaS1Q_S1R_EUlS1Q_E_NS1_11comp_targetILNS1_3genE0ELNS1_11target_archE4294967295ELNS1_3gpuE0ELNS1_3repE0EEENS1_30default_config_static_selectorELNS0_4arch9wavefront6targetE0EEEvS13_ ; -- Begin function _ZN7rocprim17ROCPRIM_400000_NS6detail17trampoline_kernelINS0_13select_configILj256ELj13ELNS0_17block_load_methodE3ELS4_3ELS4_3ELNS0_20block_scan_algorithmE0ELj4294967295EEENS1_25partition_config_selectorILNS1_17partition_subalgoE4EjNS0_10empty_typeEbEEZZNS1_14partition_implILS8_4ELb0ES6_15HIP_vector_typeIjLj2EENS0_17counting_iteratorIjlEEPS9_SG_NS0_5tupleIJPjSI_NS0_16reverse_iteratorISI_EEEEENSH_IJSG_SG_SG_EEES9_SI_JZNS1_25segmented_radix_sort_implINS0_14default_configELb0EPK6__halfPSP_PKlPlN2at6native12_GLOBAL__N_18offset_tEEE10hipError_tPvRmT1_PNSt15iterator_traitsIS13_E10value_typeET2_T3_PNS14_IS19_E10value_typeET4_jRbjT5_S1F_jjP12ihipStream_tbEUljE_ZNSN_ISO_Lb0ESR_SS_SU_SV_SZ_EES10_S11_S12_S13_S17_S18_S19_S1C_S1D_jS1E_jS1F_S1F_jjS1H_bEUljE0_EEES10_S11_S12_S19_S1D_S1F_T6_T7_T9_mT8_S1H_bDpT10_ENKUlT_T0_E_clISt17integral_constantIbLb0EES1U_IbLb1EEEEDaS1Q_S1R_EUlS1Q_E_NS1_11comp_targetILNS1_3genE0ELNS1_11target_archE4294967295ELNS1_3gpuE0ELNS1_3repE0EEENS1_30default_config_static_selectorELNS0_4arch9wavefront6targetE0EEEvS13_
	.p2align	8
	.type	_ZN7rocprim17ROCPRIM_400000_NS6detail17trampoline_kernelINS0_13select_configILj256ELj13ELNS0_17block_load_methodE3ELS4_3ELS4_3ELNS0_20block_scan_algorithmE0ELj4294967295EEENS1_25partition_config_selectorILNS1_17partition_subalgoE4EjNS0_10empty_typeEbEEZZNS1_14partition_implILS8_4ELb0ES6_15HIP_vector_typeIjLj2EENS0_17counting_iteratorIjlEEPS9_SG_NS0_5tupleIJPjSI_NS0_16reverse_iteratorISI_EEEEENSH_IJSG_SG_SG_EEES9_SI_JZNS1_25segmented_radix_sort_implINS0_14default_configELb0EPK6__halfPSP_PKlPlN2at6native12_GLOBAL__N_18offset_tEEE10hipError_tPvRmT1_PNSt15iterator_traitsIS13_E10value_typeET2_T3_PNS14_IS19_E10value_typeET4_jRbjT5_S1F_jjP12ihipStream_tbEUljE_ZNSN_ISO_Lb0ESR_SS_SU_SV_SZ_EES10_S11_S12_S13_S17_S18_S19_S1C_S1D_jS1E_jS1F_S1F_jjS1H_bEUljE0_EEES10_S11_S12_S19_S1D_S1F_T6_T7_T9_mT8_S1H_bDpT10_ENKUlT_T0_E_clISt17integral_constantIbLb0EES1U_IbLb1EEEEDaS1Q_S1R_EUlS1Q_E_NS1_11comp_targetILNS1_3genE0ELNS1_11target_archE4294967295ELNS1_3gpuE0ELNS1_3repE0EEENS1_30default_config_static_selectorELNS0_4arch9wavefront6targetE0EEEvS13_,@function
_ZN7rocprim17ROCPRIM_400000_NS6detail17trampoline_kernelINS0_13select_configILj256ELj13ELNS0_17block_load_methodE3ELS4_3ELS4_3ELNS0_20block_scan_algorithmE0ELj4294967295EEENS1_25partition_config_selectorILNS1_17partition_subalgoE4EjNS0_10empty_typeEbEEZZNS1_14partition_implILS8_4ELb0ES6_15HIP_vector_typeIjLj2EENS0_17counting_iteratorIjlEEPS9_SG_NS0_5tupleIJPjSI_NS0_16reverse_iteratorISI_EEEEENSH_IJSG_SG_SG_EEES9_SI_JZNS1_25segmented_radix_sort_implINS0_14default_configELb0EPK6__halfPSP_PKlPlN2at6native12_GLOBAL__N_18offset_tEEE10hipError_tPvRmT1_PNSt15iterator_traitsIS13_E10value_typeET2_T3_PNS14_IS19_E10value_typeET4_jRbjT5_S1F_jjP12ihipStream_tbEUljE_ZNSN_ISO_Lb0ESR_SS_SU_SV_SZ_EES10_S11_S12_S13_S17_S18_S19_S1C_S1D_jS1E_jS1F_S1F_jjS1H_bEUljE0_EEES10_S11_S12_S19_S1D_S1F_T6_T7_T9_mT8_S1H_bDpT10_ENKUlT_T0_E_clISt17integral_constantIbLb0EES1U_IbLb1EEEEDaS1Q_S1R_EUlS1Q_E_NS1_11comp_targetILNS1_3genE0ELNS1_11target_archE4294967295ELNS1_3gpuE0ELNS1_3repE0EEENS1_30default_config_static_selectorELNS0_4arch9wavefront6targetE0EEEvS13_: ; @_ZN7rocprim17ROCPRIM_400000_NS6detail17trampoline_kernelINS0_13select_configILj256ELj13ELNS0_17block_load_methodE3ELS4_3ELS4_3ELNS0_20block_scan_algorithmE0ELj4294967295EEENS1_25partition_config_selectorILNS1_17partition_subalgoE4EjNS0_10empty_typeEbEEZZNS1_14partition_implILS8_4ELb0ES6_15HIP_vector_typeIjLj2EENS0_17counting_iteratorIjlEEPS9_SG_NS0_5tupleIJPjSI_NS0_16reverse_iteratorISI_EEEEENSH_IJSG_SG_SG_EEES9_SI_JZNS1_25segmented_radix_sort_implINS0_14default_configELb0EPK6__halfPSP_PKlPlN2at6native12_GLOBAL__N_18offset_tEEE10hipError_tPvRmT1_PNSt15iterator_traitsIS13_E10value_typeET2_T3_PNS14_IS19_E10value_typeET4_jRbjT5_S1F_jjP12ihipStream_tbEUljE_ZNSN_ISO_Lb0ESR_SS_SU_SV_SZ_EES10_S11_S12_S13_S17_S18_S19_S1C_S1D_jS1E_jS1F_S1F_jjS1H_bEUljE0_EEES10_S11_S12_S19_S1D_S1F_T6_T7_T9_mT8_S1H_bDpT10_ENKUlT_T0_E_clISt17integral_constantIbLb0EES1U_IbLb1EEEEDaS1Q_S1R_EUlS1Q_E_NS1_11comp_targetILNS1_3genE0ELNS1_11target_archE4294967295ELNS1_3gpuE0ELNS1_3repE0EEENS1_30default_config_static_selectorELNS0_4arch9wavefront6targetE0EEEvS13_
; %bb.0:
	.section	.rodata,"a",@progbits
	.p2align	6, 0x0
	.amdhsa_kernel _ZN7rocprim17ROCPRIM_400000_NS6detail17trampoline_kernelINS0_13select_configILj256ELj13ELNS0_17block_load_methodE3ELS4_3ELS4_3ELNS0_20block_scan_algorithmE0ELj4294967295EEENS1_25partition_config_selectorILNS1_17partition_subalgoE4EjNS0_10empty_typeEbEEZZNS1_14partition_implILS8_4ELb0ES6_15HIP_vector_typeIjLj2EENS0_17counting_iteratorIjlEEPS9_SG_NS0_5tupleIJPjSI_NS0_16reverse_iteratorISI_EEEEENSH_IJSG_SG_SG_EEES9_SI_JZNS1_25segmented_radix_sort_implINS0_14default_configELb0EPK6__halfPSP_PKlPlN2at6native12_GLOBAL__N_18offset_tEEE10hipError_tPvRmT1_PNSt15iterator_traitsIS13_E10value_typeET2_T3_PNS14_IS19_E10value_typeET4_jRbjT5_S1F_jjP12ihipStream_tbEUljE_ZNSN_ISO_Lb0ESR_SS_SU_SV_SZ_EES10_S11_S12_S13_S17_S18_S19_S1C_S1D_jS1E_jS1F_S1F_jjS1H_bEUljE0_EEES10_S11_S12_S19_S1D_S1F_T6_T7_T9_mT8_S1H_bDpT10_ENKUlT_T0_E_clISt17integral_constantIbLb0EES1U_IbLb1EEEEDaS1Q_S1R_EUlS1Q_E_NS1_11comp_targetILNS1_3genE0ELNS1_11target_archE4294967295ELNS1_3gpuE0ELNS1_3repE0EEENS1_30default_config_static_selectorELNS0_4arch9wavefront6targetE0EEEvS13_
		.amdhsa_group_segment_fixed_size 0
		.amdhsa_private_segment_fixed_size 0
		.amdhsa_kernarg_size 184
		.amdhsa_user_sgpr_count 15
		.amdhsa_user_sgpr_dispatch_ptr 0
		.amdhsa_user_sgpr_queue_ptr 0
		.amdhsa_user_sgpr_kernarg_segment_ptr 1
		.amdhsa_user_sgpr_dispatch_id 0
		.amdhsa_user_sgpr_private_segment_size 0
		.amdhsa_wavefront_size32 1
		.amdhsa_uses_dynamic_stack 0
		.amdhsa_enable_private_segment 0
		.amdhsa_system_sgpr_workgroup_id_x 1
		.amdhsa_system_sgpr_workgroup_id_y 0
		.amdhsa_system_sgpr_workgroup_id_z 0
		.amdhsa_system_sgpr_workgroup_info 0
		.amdhsa_system_vgpr_workitem_id 0
		.amdhsa_next_free_vgpr 1
		.amdhsa_next_free_sgpr 1
		.amdhsa_reserve_vcc 0
		.amdhsa_float_round_mode_32 0
		.amdhsa_float_round_mode_16_64 0
		.amdhsa_float_denorm_mode_32 3
		.amdhsa_float_denorm_mode_16_64 3
		.amdhsa_dx10_clamp 1
		.amdhsa_ieee_mode 1
		.amdhsa_fp16_overflow 0
		.amdhsa_workgroup_processor_mode 1
		.amdhsa_memory_ordered 1
		.amdhsa_forward_progress 0
		.amdhsa_shared_vgpr_count 0
		.amdhsa_exception_fp_ieee_invalid_op 0
		.amdhsa_exception_fp_denorm_src 0
		.amdhsa_exception_fp_ieee_div_zero 0
		.amdhsa_exception_fp_ieee_overflow 0
		.amdhsa_exception_fp_ieee_underflow 0
		.amdhsa_exception_fp_ieee_inexact 0
		.amdhsa_exception_int_div_zero 0
	.end_amdhsa_kernel
	.section	.text._ZN7rocprim17ROCPRIM_400000_NS6detail17trampoline_kernelINS0_13select_configILj256ELj13ELNS0_17block_load_methodE3ELS4_3ELS4_3ELNS0_20block_scan_algorithmE0ELj4294967295EEENS1_25partition_config_selectorILNS1_17partition_subalgoE4EjNS0_10empty_typeEbEEZZNS1_14partition_implILS8_4ELb0ES6_15HIP_vector_typeIjLj2EENS0_17counting_iteratorIjlEEPS9_SG_NS0_5tupleIJPjSI_NS0_16reverse_iteratorISI_EEEEENSH_IJSG_SG_SG_EEES9_SI_JZNS1_25segmented_radix_sort_implINS0_14default_configELb0EPK6__halfPSP_PKlPlN2at6native12_GLOBAL__N_18offset_tEEE10hipError_tPvRmT1_PNSt15iterator_traitsIS13_E10value_typeET2_T3_PNS14_IS19_E10value_typeET4_jRbjT5_S1F_jjP12ihipStream_tbEUljE_ZNSN_ISO_Lb0ESR_SS_SU_SV_SZ_EES10_S11_S12_S13_S17_S18_S19_S1C_S1D_jS1E_jS1F_S1F_jjS1H_bEUljE0_EEES10_S11_S12_S19_S1D_S1F_T6_T7_T9_mT8_S1H_bDpT10_ENKUlT_T0_E_clISt17integral_constantIbLb0EES1U_IbLb1EEEEDaS1Q_S1R_EUlS1Q_E_NS1_11comp_targetILNS1_3genE0ELNS1_11target_archE4294967295ELNS1_3gpuE0ELNS1_3repE0EEENS1_30default_config_static_selectorELNS0_4arch9wavefront6targetE0EEEvS13_,"axG",@progbits,_ZN7rocprim17ROCPRIM_400000_NS6detail17trampoline_kernelINS0_13select_configILj256ELj13ELNS0_17block_load_methodE3ELS4_3ELS4_3ELNS0_20block_scan_algorithmE0ELj4294967295EEENS1_25partition_config_selectorILNS1_17partition_subalgoE4EjNS0_10empty_typeEbEEZZNS1_14partition_implILS8_4ELb0ES6_15HIP_vector_typeIjLj2EENS0_17counting_iteratorIjlEEPS9_SG_NS0_5tupleIJPjSI_NS0_16reverse_iteratorISI_EEEEENSH_IJSG_SG_SG_EEES9_SI_JZNS1_25segmented_radix_sort_implINS0_14default_configELb0EPK6__halfPSP_PKlPlN2at6native12_GLOBAL__N_18offset_tEEE10hipError_tPvRmT1_PNSt15iterator_traitsIS13_E10value_typeET2_T3_PNS14_IS19_E10value_typeET4_jRbjT5_S1F_jjP12ihipStream_tbEUljE_ZNSN_ISO_Lb0ESR_SS_SU_SV_SZ_EES10_S11_S12_S13_S17_S18_S19_S1C_S1D_jS1E_jS1F_S1F_jjS1H_bEUljE0_EEES10_S11_S12_S19_S1D_S1F_T6_T7_T9_mT8_S1H_bDpT10_ENKUlT_T0_E_clISt17integral_constantIbLb0EES1U_IbLb1EEEEDaS1Q_S1R_EUlS1Q_E_NS1_11comp_targetILNS1_3genE0ELNS1_11target_archE4294967295ELNS1_3gpuE0ELNS1_3repE0EEENS1_30default_config_static_selectorELNS0_4arch9wavefront6targetE0EEEvS13_,comdat
.Lfunc_end1802:
	.size	_ZN7rocprim17ROCPRIM_400000_NS6detail17trampoline_kernelINS0_13select_configILj256ELj13ELNS0_17block_load_methodE3ELS4_3ELS4_3ELNS0_20block_scan_algorithmE0ELj4294967295EEENS1_25partition_config_selectorILNS1_17partition_subalgoE4EjNS0_10empty_typeEbEEZZNS1_14partition_implILS8_4ELb0ES6_15HIP_vector_typeIjLj2EENS0_17counting_iteratorIjlEEPS9_SG_NS0_5tupleIJPjSI_NS0_16reverse_iteratorISI_EEEEENSH_IJSG_SG_SG_EEES9_SI_JZNS1_25segmented_radix_sort_implINS0_14default_configELb0EPK6__halfPSP_PKlPlN2at6native12_GLOBAL__N_18offset_tEEE10hipError_tPvRmT1_PNSt15iterator_traitsIS13_E10value_typeET2_T3_PNS14_IS19_E10value_typeET4_jRbjT5_S1F_jjP12ihipStream_tbEUljE_ZNSN_ISO_Lb0ESR_SS_SU_SV_SZ_EES10_S11_S12_S13_S17_S18_S19_S1C_S1D_jS1E_jS1F_S1F_jjS1H_bEUljE0_EEES10_S11_S12_S19_S1D_S1F_T6_T7_T9_mT8_S1H_bDpT10_ENKUlT_T0_E_clISt17integral_constantIbLb0EES1U_IbLb1EEEEDaS1Q_S1R_EUlS1Q_E_NS1_11comp_targetILNS1_3genE0ELNS1_11target_archE4294967295ELNS1_3gpuE0ELNS1_3repE0EEENS1_30default_config_static_selectorELNS0_4arch9wavefront6targetE0EEEvS13_, .Lfunc_end1802-_ZN7rocprim17ROCPRIM_400000_NS6detail17trampoline_kernelINS0_13select_configILj256ELj13ELNS0_17block_load_methodE3ELS4_3ELS4_3ELNS0_20block_scan_algorithmE0ELj4294967295EEENS1_25partition_config_selectorILNS1_17partition_subalgoE4EjNS0_10empty_typeEbEEZZNS1_14partition_implILS8_4ELb0ES6_15HIP_vector_typeIjLj2EENS0_17counting_iteratorIjlEEPS9_SG_NS0_5tupleIJPjSI_NS0_16reverse_iteratorISI_EEEEENSH_IJSG_SG_SG_EEES9_SI_JZNS1_25segmented_radix_sort_implINS0_14default_configELb0EPK6__halfPSP_PKlPlN2at6native12_GLOBAL__N_18offset_tEEE10hipError_tPvRmT1_PNSt15iterator_traitsIS13_E10value_typeET2_T3_PNS14_IS19_E10value_typeET4_jRbjT5_S1F_jjP12ihipStream_tbEUljE_ZNSN_ISO_Lb0ESR_SS_SU_SV_SZ_EES10_S11_S12_S13_S17_S18_S19_S1C_S1D_jS1E_jS1F_S1F_jjS1H_bEUljE0_EEES10_S11_S12_S19_S1D_S1F_T6_T7_T9_mT8_S1H_bDpT10_ENKUlT_T0_E_clISt17integral_constantIbLb0EES1U_IbLb1EEEEDaS1Q_S1R_EUlS1Q_E_NS1_11comp_targetILNS1_3genE0ELNS1_11target_archE4294967295ELNS1_3gpuE0ELNS1_3repE0EEENS1_30default_config_static_selectorELNS0_4arch9wavefront6targetE0EEEvS13_
                                        ; -- End function
	.section	.AMDGPU.csdata,"",@progbits
; Kernel info:
; codeLenInByte = 0
; NumSgprs: 0
; NumVgprs: 0
; ScratchSize: 0
; MemoryBound: 0
; FloatMode: 240
; IeeeMode: 1
; LDSByteSize: 0 bytes/workgroup (compile time only)
; SGPRBlocks: 0
; VGPRBlocks: 0
; NumSGPRsForWavesPerEU: 1
; NumVGPRsForWavesPerEU: 1
; Occupancy: 16
; WaveLimiterHint : 0
; COMPUTE_PGM_RSRC2:SCRATCH_EN: 0
; COMPUTE_PGM_RSRC2:USER_SGPR: 15
; COMPUTE_PGM_RSRC2:TRAP_HANDLER: 0
; COMPUTE_PGM_RSRC2:TGID_X_EN: 1
; COMPUTE_PGM_RSRC2:TGID_Y_EN: 0
; COMPUTE_PGM_RSRC2:TGID_Z_EN: 0
; COMPUTE_PGM_RSRC2:TIDIG_COMP_CNT: 0
	.section	.text._ZN7rocprim17ROCPRIM_400000_NS6detail17trampoline_kernelINS0_13select_configILj256ELj13ELNS0_17block_load_methodE3ELS4_3ELS4_3ELNS0_20block_scan_algorithmE0ELj4294967295EEENS1_25partition_config_selectorILNS1_17partition_subalgoE4EjNS0_10empty_typeEbEEZZNS1_14partition_implILS8_4ELb0ES6_15HIP_vector_typeIjLj2EENS0_17counting_iteratorIjlEEPS9_SG_NS0_5tupleIJPjSI_NS0_16reverse_iteratorISI_EEEEENSH_IJSG_SG_SG_EEES9_SI_JZNS1_25segmented_radix_sort_implINS0_14default_configELb0EPK6__halfPSP_PKlPlN2at6native12_GLOBAL__N_18offset_tEEE10hipError_tPvRmT1_PNSt15iterator_traitsIS13_E10value_typeET2_T3_PNS14_IS19_E10value_typeET4_jRbjT5_S1F_jjP12ihipStream_tbEUljE_ZNSN_ISO_Lb0ESR_SS_SU_SV_SZ_EES10_S11_S12_S13_S17_S18_S19_S1C_S1D_jS1E_jS1F_S1F_jjS1H_bEUljE0_EEES10_S11_S12_S19_S1D_S1F_T6_T7_T9_mT8_S1H_bDpT10_ENKUlT_T0_E_clISt17integral_constantIbLb0EES1U_IbLb1EEEEDaS1Q_S1R_EUlS1Q_E_NS1_11comp_targetILNS1_3genE5ELNS1_11target_archE942ELNS1_3gpuE9ELNS1_3repE0EEENS1_30default_config_static_selectorELNS0_4arch9wavefront6targetE0EEEvS13_,"axG",@progbits,_ZN7rocprim17ROCPRIM_400000_NS6detail17trampoline_kernelINS0_13select_configILj256ELj13ELNS0_17block_load_methodE3ELS4_3ELS4_3ELNS0_20block_scan_algorithmE0ELj4294967295EEENS1_25partition_config_selectorILNS1_17partition_subalgoE4EjNS0_10empty_typeEbEEZZNS1_14partition_implILS8_4ELb0ES6_15HIP_vector_typeIjLj2EENS0_17counting_iteratorIjlEEPS9_SG_NS0_5tupleIJPjSI_NS0_16reverse_iteratorISI_EEEEENSH_IJSG_SG_SG_EEES9_SI_JZNS1_25segmented_radix_sort_implINS0_14default_configELb0EPK6__halfPSP_PKlPlN2at6native12_GLOBAL__N_18offset_tEEE10hipError_tPvRmT1_PNSt15iterator_traitsIS13_E10value_typeET2_T3_PNS14_IS19_E10value_typeET4_jRbjT5_S1F_jjP12ihipStream_tbEUljE_ZNSN_ISO_Lb0ESR_SS_SU_SV_SZ_EES10_S11_S12_S13_S17_S18_S19_S1C_S1D_jS1E_jS1F_S1F_jjS1H_bEUljE0_EEES10_S11_S12_S19_S1D_S1F_T6_T7_T9_mT8_S1H_bDpT10_ENKUlT_T0_E_clISt17integral_constantIbLb0EES1U_IbLb1EEEEDaS1Q_S1R_EUlS1Q_E_NS1_11comp_targetILNS1_3genE5ELNS1_11target_archE942ELNS1_3gpuE9ELNS1_3repE0EEENS1_30default_config_static_selectorELNS0_4arch9wavefront6targetE0EEEvS13_,comdat
	.globl	_ZN7rocprim17ROCPRIM_400000_NS6detail17trampoline_kernelINS0_13select_configILj256ELj13ELNS0_17block_load_methodE3ELS4_3ELS4_3ELNS0_20block_scan_algorithmE0ELj4294967295EEENS1_25partition_config_selectorILNS1_17partition_subalgoE4EjNS0_10empty_typeEbEEZZNS1_14partition_implILS8_4ELb0ES6_15HIP_vector_typeIjLj2EENS0_17counting_iteratorIjlEEPS9_SG_NS0_5tupleIJPjSI_NS0_16reverse_iteratorISI_EEEEENSH_IJSG_SG_SG_EEES9_SI_JZNS1_25segmented_radix_sort_implINS0_14default_configELb0EPK6__halfPSP_PKlPlN2at6native12_GLOBAL__N_18offset_tEEE10hipError_tPvRmT1_PNSt15iterator_traitsIS13_E10value_typeET2_T3_PNS14_IS19_E10value_typeET4_jRbjT5_S1F_jjP12ihipStream_tbEUljE_ZNSN_ISO_Lb0ESR_SS_SU_SV_SZ_EES10_S11_S12_S13_S17_S18_S19_S1C_S1D_jS1E_jS1F_S1F_jjS1H_bEUljE0_EEES10_S11_S12_S19_S1D_S1F_T6_T7_T9_mT8_S1H_bDpT10_ENKUlT_T0_E_clISt17integral_constantIbLb0EES1U_IbLb1EEEEDaS1Q_S1R_EUlS1Q_E_NS1_11comp_targetILNS1_3genE5ELNS1_11target_archE942ELNS1_3gpuE9ELNS1_3repE0EEENS1_30default_config_static_selectorELNS0_4arch9wavefront6targetE0EEEvS13_ ; -- Begin function _ZN7rocprim17ROCPRIM_400000_NS6detail17trampoline_kernelINS0_13select_configILj256ELj13ELNS0_17block_load_methodE3ELS4_3ELS4_3ELNS0_20block_scan_algorithmE0ELj4294967295EEENS1_25partition_config_selectorILNS1_17partition_subalgoE4EjNS0_10empty_typeEbEEZZNS1_14partition_implILS8_4ELb0ES6_15HIP_vector_typeIjLj2EENS0_17counting_iteratorIjlEEPS9_SG_NS0_5tupleIJPjSI_NS0_16reverse_iteratorISI_EEEEENSH_IJSG_SG_SG_EEES9_SI_JZNS1_25segmented_radix_sort_implINS0_14default_configELb0EPK6__halfPSP_PKlPlN2at6native12_GLOBAL__N_18offset_tEEE10hipError_tPvRmT1_PNSt15iterator_traitsIS13_E10value_typeET2_T3_PNS14_IS19_E10value_typeET4_jRbjT5_S1F_jjP12ihipStream_tbEUljE_ZNSN_ISO_Lb0ESR_SS_SU_SV_SZ_EES10_S11_S12_S13_S17_S18_S19_S1C_S1D_jS1E_jS1F_S1F_jjS1H_bEUljE0_EEES10_S11_S12_S19_S1D_S1F_T6_T7_T9_mT8_S1H_bDpT10_ENKUlT_T0_E_clISt17integral_constantIbLb0EES1U_IbLb1EEEEDaS1Q_S1R_EUlS1Q_E_NS1_11comp_targetILNS1_3genE5ELNS1_11target_archE942ELNS1_3gpuE9ELNS1_3repE0EEENS1_30default_config_static_selectorELNS0_4arch9wavefront6targetE0EEEvS13_
	.p2align	8
	.type	_ZN7rocprim17ROCPRIM_400000_NS6detail17trampoline_kernelINS0_13select_configILj256ELj13ELNS0_17block_load_methodE3ELS4_3ELS4_3ELNS0_20block_scan_algorithmE0ELj4294967295EEENS1_25partition_config_selectorILNS1_17partition_subalgoE4EjNS0_10empty_typeEbEEZZNS1_14partition_implILS8_4ELb0ES6_15HIP_vector_typeIjLj2EENS0_17counting_iteratorIjlEEPS9_SG_NS0_5tupleIJPjSI_NS0_16reverse_iteratorISI_EEEEENSH_IJSG_SG_SG_EEES9_SI_JZNS1_25segmented_radix_sort_implINS0_14default_configELb0EPK6__halfPSP_PKlPlN2at6native12_GLOBAL__N_18offset_tEEE10hipError_tPvRmT1_PNSt15iterator_traitsIS13_E10value_typeET2_T3_PNS14_IS19_E10value_typeET4_jRbjT5_S1F_jjP12ihipStream_tbEUljE_ZNSN_ISO_Lb0ESR_SS_SU_SV_SZ_EES10_S11_S12_S13_S17_S18_S19_S1C_S1D_jS1E_jS1F_S1F_jjS1H_bEUljE0_EEES10_S11_S12_S19_S1D_S1F_T6_T7_T9_mT8_S1H_bDpT10_ENKUlT_T0_E_clISt17integral_constantIbLb0EES1U_IbLb1EEEEDaS1Q_S1R_EUlS1Q_E_NS1_11comp_targetILNS1_3genE5ELNS1_11target_archE942ELNS1_3gpuE9ELNS1_3repE0EEENS1_30default_config_static_selectorELNS0_4arch9wavefront6targetE0EEEvS13_,@function
_ZN7rocprim17ROCPRIM_400000_NS6detail17trampoline_kernelINS0_13select_configILj256ELj13ELNS0_17block_load_methodE3ELS4_3ELS4_3ELNS0_20block_scan_algorithmE0ELj4294967295EEENS1_25partition_config_selectorILNS1_17partition_subalgoE4EjNS0_10empty_typeEbEEZZNS1_14partition_implILS8_4ELb0ES6_15HIP_vector_typeIjLj2EENS0_17counting_iteratorIjlEEPS9_SG_NS0_5tupleIJPjSI_NS0_16reverse_iteratorISI_EEEEENSH_IJSG_SG_SG_EEES9_SI_JZNS1_25segmented_radix_sort_implINS0_14default_configELb0EPK6__halfPSP_PKlPlN2at6native12_GLOBAL__N_18offset_tEEE10hipError_tPvRmT1_PNSt15iterator_traitsIS13_E10value_typeET2_T3_PNS14_IS19_E10value_typeET4_jRbjT5_S1F_jjP12ihipStream_tbEUljE_ZNSN_ISO_Lb0ESR_SS_SU_SV_SZ_EES10_S11_S12_S13_S17_S18_S19_S1C_S1D_jS1E_jS1F_S1F_jjS1H_bEUljE0_EEES10_S11_S12_S19_S1D_S1F_T6_T7_T9_mT8_S1H_bDpT10_ENKUlT_T0_E_clISt17integral_constantIbLb0EES1U_IbLb1EEEEDaS1Q_S1R_EUlS1Q_E_NS1_11comp_targetILNS1_3genE5ELNS1_11target_archE942ELNS1_3gpuE9ELNS1_3repE0EEENS1_30default_config_static_selectorELNS0_4arch9wavefront6targetE0EEEvS13_: ; @_ZN7rocprim17ROCPRIM_400000_NS6detail17trampoline_kernelINS0_13select_configILj256ELj13ELNS0_17block_load_methodE3ELS4_3ELS4_3ELNS0_20block_scan_algorithmE0ELj4294967295EEENS1_25partition_config_selectorILNS1_17partition_subalgoE4EjNS0_10empty_typeEbEEZZNS1_14partition_implILS8_4ELb0ES6_15HIP_vector_typeIjLj2EENS0_17counting_iteratorIjlEEPS9_SG_NS0_5tupleIJPjSI_NS0_16reverse_iteratorISI_EEEEENSH_IJSG_SG_SG_EEES9_SI_JZNS1_25segmented_radix_sort_implINS0_14default_configELb0EPK6__halfPSP_PKlPlN2at6native12_GLOBAL__N_18offset_tEEE10hipError_tPvRmT1_PNSt15iterator_traitsIS13_E10value_typeET2_T3_PNS14_IS19_E10value_typeET4_jRbjT5_S1F_jjP12ihipStream_tbEUljE_ZNSN_ISO_Lb0ESR_SS_SU_SV_SZ_EES10_S11_S12_S13_S17_S18_S19_S1C_S1D_jS1E_jS1F_S1F_jjS1H_bEUljE0_EEES10_S11_S12_S19_S1D_S1F_T6_T7_T9_mT8_S1H_bDpT10_ENKUlT_T0_E_clISt17integral_constantIbLb0EES1U_IbLb1EEEEDaS1Q_S1R_EUlS1Q_E_NS1_11comp_targetILNS1_3genE5ELNS1_11target_archE942ELNS1_3gpuE9ELNS1_3repE0EEENS1_30default_config_static_selectorELNS0_4arch9wavefront6targetE0EEEvS13_
; %bb.0:
	.section	.rodata,"a",@progbits
	.p2align	6, 0x0
	.amdhsa_kernel _ZN7rocprim17ROCPRIM_400000_NS6detail17trampoline_kernelINS0_13select_configILj256ELj13ELNS0_17block_load_methodE3ELS4_3ELS4_3ELNS0_20block_scan_algorithmE0ELj4294967295EEENS1_25partition_config_selectorILNS1_17partition_subalgoE4EjNS0_10empty_typeEbEEZZNS1_14partition_implILS8_4ELb0ES6_15HIP_vector_typeIjLj2EENS0_17counting_iteratorIjlEEPS9_SG_NS0_5tupleIJPjSI_NS0_16reverse_iteratorISI_EEEEENSH_IJSG_SG_SG_EEES9_SI_JZNS1_25segmented_radix_sort_implINS0_14default_configELb0EPK6__halfPSP_PKlPlN2at6native12_GLOBAL__N_18offset_tEEE10hipError_tPvRmT1_PNSt15iterator_traitsIS13_E10value_typeET2_T3_PNS14_IS19_E10value_typeET4_jRbjT5_S1F_jjP12ihipStream_tbEUljE_ZNSN_ISO_Lb0ESR_SS_SU_SV_SZ_EES10_S11_S12_S13_S17_S18_S19_S1C_S1D_jS1E_jS1F_S1F_jjS1H_bEUljE0_EEES10_S11_S12_S19_S1D_S1F_T6_T7_T9_mT8_S1H_bDpT10_ENKUlT_T0_E_clISt17integral_constantIbLb0EES1U_IbLb1EEEEDaS1Q_S1R_EUlS1Q_E_NS1_11comp_targetILNS1_3genE5ELNS1_11target_archE942ELNS1_3gpuE9ELNS1_3repE0EEENS1_30default_config_static_selectorELNS0_4arch9wavefront6targetE0EEEvS13_
		.amdhsa_group_segment_fixed_size 0
		.amdhsa_private_segment_fixed_size 0
		.amdhsa_kernarg_size 184
		.amdhsa_user_sgpr_count 15
		.amdhsa_user_sgpr_dispatch_ptr 0
		.amdhsa_user_sgpr_queue_ptr 0
		.amdhsa_user_sgpr_kernarg_segment_ptr 1
		.amdhsa_user_sgpr_dispatch_id 0
		.amdhsa_user_sgpr_private_segment_size 0
		.amdhsa_wavefront_size32 1
		.amdhsa_uses_dynamic_stack 0
		.amdhsa_enable_private_segment 0
		.amdhsa_system_sgpr_workgroup_id_x 1
		.amdhsa_system_sgpr_workgroup_id_y 0
		.amdhsa_system_sgpr_workgroup_id_z 0
		.amdhsa_system_sgpr_workgroup_info 0
		.amdhsa_system_vgpr_workitem_id 0
		.amdhsa_next_free_vgpr 1
		.amdhsa_next_free_sgpr 1
		.amdhsa_reserve_vcc 0
		.amdhsa_float_round_mode_32 0
		.amdhsa_float_round_mode_16_64 0
		.amdhsa_float_denorm_mode_32 3
		.amdhsa_float_denorm_mode_16_64 3
		.amdhsa_dx10_clamp 1
		.amdhsa_ieee_mode 1
		.amdhsa_fp16_overflow 0
		.amdhsa_workgroup_processor_mode 1
		.amdhsa_memory_ordered 1
		.amdhsa_forward_progress 0
		.amdhsa_shared_vgpr_count 0
		.amdhsa_exception_fp_ieee_invalid_op 0
		.amdhsa_exception_fp_denorm_src 0
		.amdhsa_exception_fp_ieee_div_zero 0
		.amdhsa_exception_fp_ieee_overflow 0
		.amdhsa_exception_fp_ieee_underflow 0
		.amdhsa_exception_fp_ieee_inexact 0
		.amdhsa_exception_int_div_zero 0
	.end_amdhsa_kernel
	.section	.text._ZN7rocprim17ROCPRIM_400000_NS6detail17trampoline_kernelINS0_13select_configILj256ELj13ELNS0_17block_load_methodE3ELS4_3ELS4_3ELNS0_20block_scan_algorithmE0ELj4294967295EEENS1_25partition_config_selectorILNS1_17partition_subalgoE4EjNS0_10empty_typeEbEEZZNS1_14partition_implILS8_4ELb0ES6_15HIP_vector_typeIjLj2EENS0_17counting_iteratorIjlEEPS9_SG_NS0_5tupleIJPjSI_NS0_16reverse_iteratorISI_EEEEENSH_IJSG_SG_SG_EEES9_SI_JZNS1_25segmented_radix_sort_implINS0_14default_configELb0EPK6__halfPSP_PKlPlN2at6native12_GLOBAL__N_18offset_tEEE10hipError_tPvRmT1_PNSt15iterator_traitsIS13_E10value_typeET2_T3_PNS14_IS19_E10value_typeET4_jRbjT5_S1F_jjP12ihipStream_tbEUljE_ZNSN_ISO_Lb0ESR_SS_SU_SV_SZ_EES10_S11_S12_S13_S17_S18_S19_S1C_S1D_jS1E_jS1F_S1F_jjS1H_bEUljE0_EEES10_S11_S12_S19_S1D_S1F_T6_T7_T9_mT8_S1H_bDpT10_ENKUlT_T0_E_clISt17integral_constantIbLb0EES1U_IbLb1EEEEDaS1Q_S1R_EUlS1Q_E_NS1_11comp_targetILNS1_3genE5ELNS1_11target_archE942ELNS1_3gpuE9ELNS1_3repE0EEENS1_30default_config_static_selectorELNS0_4arch9wavefront6targetE0EEEvS13_,"axG",@progbits,_ZN7rocprim17ROCPRIM_400000_NS6detail17trampoline_kernelINS0_13select_configILj256ELj13ELNS0_17block_load_methodE3ELS4_3ELS4_3ELNS0_20block_scan_algorithmE0ELj4294967295EEENS1_25partition_config_selectorILNS1_17partition_subalgoE4EjNS0_10empty_typeEbEEZZNS1_14partition_implILS8_4ELb0ES6_15HIP_vector_typeIjLj2EENS0_17counting_iteratorIjlEEPS9_SG_NS0_5tupleIJPjSI_NS0_16reverse_iteratorISI_EEEEENSH_IJSG_SG_SG_EEES9_SI_JZNS1_25segmented_radix_sort_implINS0_14default_configELb0EPK6__halfPSP_PKlPlN2at6native12_GLOBAL__N_18offset_tEEE10hipError_tPvRmT1_PNSt15iterator_traitsIS13_E10value_typeET2_T3_PNS14_IS19_E10value_typeET4_jRbjT5_S1F_jjP12ihipStream_tbEUljE_ZNSN_ISO_Lb0ESR_SS_SU_SV_SZ_EES10_S11_S12_S13_S17_S18_S19_S1C_S1D_jS1E_jS1F_S1F_jjS1H_bEUljE0_EEES10_S11_S12_S19_S1D_S1F_T6_T7_T9_mT8_S1H_bDpT10_ENKUlT_T0_E_clISt17integral_constantIbLb0EES1U_IbLb1EEEEDaS1Q_S1R_EUlS1Q_E_NS1_11comp_targetILNS1_3genE5ELNS1_11target_archE942ELNS1_3gpuE9ELNS1_3repE0EEENS1_30default_config_static_selectorELNS0_4arch9wavefront6targetE0EEEvS13_,comdat
.Lfunc_end1803:
	.size	_ZN7rocprim17ROCPRIM_400000_NS6detail17trampoline_kernelINS0_13select_configILj256ELj13ELNS0_17block_load_methodE3ELS4_3ELS4_3ELNS0_20block_scan_algorithmE0ELj4294967295EEENS1_25partition_config_selectorILNS1_17partition_subalgoE4EjNS0_10empty_typeEbEEZZNS1_14partition_implILS8_4ELb0ES6_15HIP_vector_typeIjLj2EENS0_17counting_iteratorIjlEEPS9_SG_NS0_5tupleIJPjSI_NS0_16reverse_iteratorISI_EEEEENSH_IJSG_SG_SG_EEES9_SI_JZNS1_25segmented_radix_sort_implINS0_14default_configELb0EPK6__halfPSP_PKlPlN2at6native12_GLOBAL__N_18offset_tEEE10hipError_tPvRmT1_PNSt15iterator_traitsIS13_E10value_typeET2_T3_PNS14_IS19_E10value_typeET4_jRbjT5_S1F_jjP12ihipStream_tbEUljE_ZNSN_ISO_Lb0ESR_SS_SU_SV_SZ_EES10_S11_S12_S13_S17_S18_S19_S1C_S1D_jS1E_jS1F_S1F_jjS1H_bEUljE0_EEES10_S11_S12_S19_S1D_S1F_T6_T7_T9_mT8_S1H_bDpT10_ENKUlT_T0_E_clISt17integral_constantIbLb0EES1U_IbLb1EEEEDaS1Q_S1R_EUlS1Q_E_NS1_11comp_targetILNS1_3genE5ELNS1_11target_archE942ELNS1_3gpuE9ELNS1_3repE0EEENS1_30default_config_static_selectorELNS0_4arch9wavefront6targetE0EEEvS13_, .Lfunc_end1803-_ZN7rocprim17ROCPRIM_400000_NS6detail17trampoline_kernelINS0_13select_configILj256ELj13ELNS0_17block_load_methodE3ELS4_3ELS4_3ELNS0_20block_scan_algorithmE0ELj4294967295EEENS1_25partition_config_selectorILNS1_17partition_subalgoE4EjNS0_10empty_typeEbEEZZNS1_14partition_implILS8_4ELb0ES6_15HIP_vector_typeIjLj2EENS0_17counting_iteratorIjlEEPS9_SG_NS0_5tupleIJPjSI_NS0_16reverse_iteratorISI_EEEEENSH_IJSG_SG_SG_EEES9_SI_JZNS1_25segmented_radix_sort_implINS0_14default_configELb0EPK6__halfPSP_PKlPlN2at6native12_GLOBAL__N_18offset_tEEE10hipError_tPvRmT1_PNSt15iterator_traitsIS13_E10value_typeET2_T3_PNS14_IS19_E10value_typeET4_jRbjT5_S1F_jjP12ihipStream_tbEUljE_ZNSN_ISO_Lb0ESR_SS_SU_SV_SZ_EES10_S11_S12_S13_S17_S18_S19_S1C_S1D_jS1E_jS1F_S1F_jjS1H_bEUljE0_EEES10_S11_S12_S19_S1D_S1F_T6_T7_T9_mT8_S1H_bDpT10_ENKUlT_T0_E_clISt17integral_constantIbLb0EES1U_IbLb1EEEEDaS1Q_S1R_EUlS1Q_E_NS1_11comp_targetILNS1_3genE5ELNS1_11target_archE942ELNS1_3gpuE9ELNS1_3repE0EEENS1_30default_config_static_selectorELNS0_4arch9wavefront6targetE0EEEvS13_
                                        ; -- End function
	.section	.AMDGPU.csdata,"",@progbits
; Kernel info:
; codeLenInByte = 0
; NumSgprs: 0
; NumVgprs: 0
; ScratchSize: 0
; MemoryBound: 0
; FloatMode: 240
; IeeeMode: 1
; LDSByteSize: 0 bytes/workgroup (compile time only)
; SGPRBlocks: 0
; VGPRBlocks: 0
; NumSGPRsForWavesPerEU: 1
; NumVGPRsForWavesPerEU: 1
; Occupancy: 16
; WaveLimiterHint : 0
; COMPUTE_PGM_RSRC2:SCRATCH_EN: 0
; COMPUTE_PGM_RSRC2:USER_SGPR: 15
; COMPUTE_PGM_RSRC2:TRAP_HANDLER: 0
; COMPUTE_PGM_RSRC2:TGID_X_EN: 1
; COMPUTE_PGM_RSRC2:TGID_Y_EN: 0
; COMPUTE_PGM_RSRC2:TGID_Z_EN: 0
; COMPUTE_PGM_RSRC2:TIDIG_COMP_CNT: 0
	.section	.text._ZN7rocprim17ROCPRIM_400000_NS6detail17trampoline_kernelINS0_13select_configILj256ELj13ELNS0_17block_load_methodE3ELS4_3ELS4_3ELNS0_20block_scan_algorithmE0ELj4294967295EEENS1_25partition_config_selectorILNS1_17partition_subalgoE4EjNS0_10empty_typeEbEEZZNS1_14partition_implILS8_4ELb0ES6_15HIP_vector_typeIjLj2EENS0_17counting_iteratorIjlEEPS9_SG_NS0_5tupleIJPjSI_NS0_16reverse_iteratorISI_EEEEENSH_IJSG_SG_SG_EEES9_SI_JZNS1_25segmented_radix_sort_implINS0_14default_configELb0EPK6__halfPSP_PKlPlN2at6native12_GLOBAL__N_18offset_tEEE10hipError_tPvRmT1_PNSt15iterator_traitsIS13_E10value_typeET2_T3_PNS14_IS19_E10value_typeET4_jRbjT5_S1F_jjP12ihipStream_tbEUljE_ZNSN_ISO_Lb0ESR_SS_SU_SV_SZ_EES10_S11_S12_S13_S17_S18_S19_S1C_S1D_jS1E_jS1F_S1F_jjS1H_bEUljE0_EEES10_S11_S12_S19_S1D_S1F_T6_T7_T9_mT8_S1H_bDpT10_ENKUlT_T0_E_clISt17integral_constantIbLb0EES1U_IbLb1EEEEDaS1Q_S1R_EUlS1Q_E_NS1_11comp_targetILNS1_3genE4ELNS1_11target_archE910ELNS1_3gpuE8ELNS1_3repE0EEENS1_30default_config_static_selectorELNS0_4arch9wavefront6targetE0EEEvS13_,"axG",@progbits,_ZN7rocprim17ROCPRIM_400000_NS6detail17trampoline_kernelINS0_13select_configILj256ELj13ELNS0_17block_load_methodE3ELS4_3ELS4_3ELNS0_20block_scan_algorithmE0ELj4294967295EEENS1_25partition_config_selectorILNS1_17partition_subalgoE4EjNS0_10empty_typeEbEEZZNS1_14partition_implILS8_4ELb0ES6_15HIP_vector_typeIjLj2EENS0_17counting_iteratorIjlEEPS9_SG_NS0_5tupleIJPjSI_NS0_16reverse_iteratorISI_EEEEENSH_IJSG_SG_SG_EEES9_SI_JZNS1_25segmented_radix_sort_implINS0_14default_configELb0EPK6__halfPSP_PKlPlN2at6native12_GLOBAL__N_18offset_tEEE10hipError_tPvRmT1_PNSt15iterator_traitsIS13_E10value_typeET2_T3_PNS14_IS19_E10value_typeET4_jRbjT5_S1F_jjP12ihipStream_tbEUljE_ZNSN_ISO_Lb0ESR_SS_SU_SV_SZ_EES10_S11_S12_S13_S17_S18_S19_S1C_S1D_jS1E_jS1F_S1F_jjS1H_bEUljE0_EEES10_S11_S12_S19_S1D_S1F_T6_T7_T9_mT8_S1H_bDpT10_ENKUlT_T0_E_clISt17integral_constantIbLb0EES1U_IbLb1EEEEDaS1Q_S1R_EUlS1Q_E_NS1_11comp_targetILNS1_3genE4ELNS1_11target_archE910ELNS1_3gpuE8ELNS1_3repE0EEENS1_30default_config_static_selectorELNS0_4arch9wavefront6targetE0EEEvS13_,comdat
	.globl	_ZN7rocprim17ROCPRIM_400000_NS6detail17trampoline_kernelINS0_13select_configILj256ELj13ELNS0_17block_load_methodE3ELS4_3ELS4_3ELNS0_20block_scan_algorithmE0ELj4294967295EEENS1_25partition_config_selectorILNS1_17partition_subalgoE4EjNS0_10empty_typeEbEEZZNS1_14partition_implILS8_4ELb0ES6_15HIP_vector_typeIjLj2EENS0_17counting_iteratorIjlEEPS9_SG_NS0_5tupleIJPjSI_NS0_16reverse_iteratorISI_EEEEENSH_IJSG_SG_SG_EEES9_SI_JZNS1_25segmented_radix_sort_implINS0_14default_configELb0EPK6__halfPSP_PKlPlN2at6native12_GLOBAL__N_18offset_tEEE10hipError_tPvRmT1_PNSt15iterator_traitsIS13_E10value_typeET2_T3_PNS14_IS19_E10value_typeET4_jRbjT5_S1F_jjP12ihipStream_tbEUljE_ZNSN_ISO_Lb0ESR_SS_SU_SV_SZ_EES10_S11_S12_S13_S17_S18_S19_S1C_S1D_jS1E_jS1F_S1F_jjS1H_bEUljE0_EEES10_S11_S12_S19_S1D_S1F_T6_T7_T9_mT8_S1H_bDpT10_ENKUlT_T0_E_clISt17integral_constantIbLb0EES1U_IbLb1EEEEDaS1Q_S1R_EUlS1Q_E_NS1_11comp_targetILNS1_3genE4ELNS1_11target_archE910ELNS1_3gpuE8ELNS1_3repE0EEENS1_30default_config_static_selectorELNS0_4arch9wavefront6targetE0EEEvS13_ ; -- Begin function _ZN7rocprim17ROCPRIM_400000_NS6detail17trampoline_kernelINS0_13select_configILj256ELj13ELNS0_17block_load_methodE3ELS4_3ELS4_3ELNS0_20block_scan_algorithmE0ELj4294967295EEENS1_25partition_config_selectorILNS1_17partition_subalgoE4EjNS0_10empty_typeEbEEZZNS1_14partition_implILS8_4ELb0ES6_15HIP_vector_typeIjLj2EENS0_17counting_iteratorIjlEEPS9_SG_NS0_5tupleIJPjSI_NS0_16reverse_iteratorISI_EEEEENSH_IJSG_SG_SG_EEES9_SI_JZNS1_25segmented_radix_sort_implINS0_14default_configELb0EPK6__halfPSP_PKlPlN2at6native12_GLOBAL__N_18offset_tEEE10hipError_tPvRmT1_PNSt15iterator_traitsIS13_E10value_typeET2_T3_PNS14_IS19_E10value_typeET4_jRbjT5_S1F_jjP12ihipStream_tbEUljE_ZNSN_ISO_Lb0ESR_SS_SU_SV_SZ_EES10_S11_S12_S13_S17_S18_S19_S1C_S1D_jS1E_jS1F_S1F_jjS1H_bEUljE0_EEES10_S11_S12_S19_S1D_S1F_T6_T7_T9_mT8_S1H_bDpT10_ENKUlT_T0_E_clISt17integral_constantIbLb0EES1U_IbLb1EEEEDaS1Q_S1R_EUlS1Q_E_NS1_11comp_targetILNS1_3genE4ELNS1_11target_archE910ELNS1_3gpuE8ELNS1_3repE0EEENS1_30default_config_static_selectorELNS0_4arch9wavefront6targetE0EEEvS13_
	.p2align	8
	.type	_ZN7rocprim17ROCPRIM_400000_NS6detail17trampoline_kernelINS0_13select_configILj256ELj13ELNS0_17block_load_methodE3ELS4_3ELS4_3ELNS0_20block_scan_algorithmE0ELj4294967295EEENS1_25partition_config_selectorILNS1_17partition_subalgoE4EjNS0_10empty_typeEbEEZZNS1_14partition_implILS8_4ELb0ES6_15HIP_vector_typeIjLj2EENS0_17counting_iteratorIjlEEPS9_SG_NS0_5tupleIJPjSI_NS0_16reverse_iteratorISI_EEEEENSH_IJSG_SG_SG_EEES9_SI_JZNS1_25segmented_radix_sort_implINS0_14default_configELb0EPK6__halfPSP_PKlPlN2at6native12_GLOBAL__N_18offset_tEEE10hipError_tPvRmT1_PNSt15iterator_traitsIS13_E10value_typeET2_T3_PNS14_IS19_E10value_typeET4_jRbjT5_S1F_jjP12ihipStream_tbEUljE_ZNSN_ISO_Lb0ESR_SS_SU_SV_SZ_EES10_S11_S12_S13_S17_S18_S19_S1C_S1D_jS1E_jS1F_S1F_jjS1H_bEUljE0_EEES10_S11_S12_S19_S1D_S1F_T6_T7_T9_mT8_S1H_bDpT10_ENKUlT_T0_E_clISt17integral_constantIbLb0EES1U_IbLb1EEEEDaS1Q_S1R_EUlS1Q_E_NS1_11comp_targetILNS1_3genE4ELNS1_11target_archE910ELNS1_3gpuE8ELNS1_3repE0EEENS1_30default_config_static_selectorELNS0_4arch9wavefront6targetE0EEEvS13_,@function
_ZN7rocprim17ROCPRIM_400000_NS6detail17trampoline_kernelINS0_13select_configILj256ELj13ELNS0_17block_load_methodE3ELS4_3ELS4_3ELNS0_20block_scan_algorithmE0ELj4294967295EEENS1_25partition_config_selectorILNS1_17partition_subalgoE4EjNS0_10empty_typeEbEEZZNS1_14partition_implILS8_4ELb0ES6_15HIP_vector_typeIjLj2EENS0_17counting_iteratorIjlEEPS9_SG_NS0_5tupleIJPjSI_NS0_16reverse_iteratorISI_EEEEENSH_IJSG_SG_SG_EEES9_SI_JZNS1_25segmented_radix_sort_implINS0_14default_configELb0EPK6__halfPSP_PKlPlN2at6native12_GLOBAL__N_18offset_tEEE10hipError_tPvRmT1_PNSt15iterator_traitsIS13_E10value_typeET2_T3_PNS14_IS19_E10value_typeET4_jRbjT5_S1F_jjP12ihipStream_tbEUljE_ZNSN_ISO_Lb0ESR_SS_SU_SV_SZ_EES10_S11_S12_S13_S17_S18_S19_S1C_S1D_jS1E_jS1F_S1F_jjS1H_bEUljE0_EEES10_S11_S12_S19_S1D_S1F_T6_T7_T9_mT8_S1H_bDpT10_ENKUlT_T0_E_clISt17integral_constantIbLb0EES1U_IbLb1EEEEDaS1Q_S1R_EUlS1Q_E_NS1_11comp_targetILNS1_3genE4ELNS1_11target_archE910ELNS1_3gpuE8ELNS1_3repE0EEENS1_30default_config_static_selectorELNS0_4arch9wavefront6targetE0EEEvS13_: ; @_ZN7rocprim17ROCPRIM_400000_NS6detail17trampoline_kernelINS0_13select_configILj256ELj13ELNS0_17block_load_methodE3ELS4_3ELS4_3ELNS0_20block_scan_algorithmE0ELj4294967295EEENS1_25partition_config_selectorILNS1_17partition_subalgoE4EjNS0_10empty_typeEbEEZZNS1_14partition_implILS8_4ELb0ES6_15HIP_vector_typeIjLj2EENS0_17counting_iteratorIjlEEPS9_SG_NS0_5tupleIJPjSI_NS0_16reverse_iteratorISI_EEEEENSH_IJSG_SG_SG_EEES9_SI_JZNS1_25segmented_radix_sort_implINS0_14default_configELb0EPK6__halfPSP_PKlPlN2at6native12_GLOBAL__N_18offset_tEEE10hipError_tPvRmT1_PNSt15iterator_traitsIS13_E10value_typeET2_T3_PNS14_IS19_E10value_typeET4_jRbjT5_S1F_jjP12ihipStream_tbEUljE_ZNSN_ISO_Lb0ESR_SS_SU_SV_SZ_EES10_S11_S12_S13_S17_S18_S19_S1C_S1D_jS1E_jS1F_S1F_jjS1H_bEUljE0_EEES10_S11_S12_S19_S1D_S1F_T6_T7_T9_mT8_S1H_bDpT10_ENKUlT_T0_E_clISt17integral_constantIbLb0EES1U_IbLb1EEEEDaS1Q_S1R_EUlS1Q_E_NS1_11comp_targetILNS1_3genE4ELNS1_11target_archE910ELNS1_3gpuE8ELNS1_3repE0EEENS1_30default_config_static_selectorELNS0_4arch9wavefront6targetE0EEEvS13_
; %bb.0:
	.section	.rodata,"a",@progbits
	.p2align	6, 0x0
	.amdhsa_kernel _ZN7rocprim17ROCPRIM_400000_NS6detail17trampoline_kernelINS0_13select_configILj256ELj13ELNS0_17block_load_methodE3ELS4_3ELS4_3ELNS0_20block_scan_algorithmE0ELj4294967295EEENS1_25partition_config_selectorILNS1_17partition_subalgoE4EjNS0_10empty_typeEbEEZZNS1_14partition_implILS8_4ELb0ES6_15HIP_vector_typeIjLj2EENS0_17counting_iteratorIjlEEPS9_SG_NS0_5tupleIJPjSI_NS0_16reverse_iteratorISI_EEEEENSH_IJSG_SG_SG_EEES9_SI_JZNS1_25segmented_radix_sort_implINS0_14default_configELb0EPK6__halfPSP_PKlPlN2at6native12_GLOBAL__N_18offset_tEEE10hipError_tPvRmT1_PNSt15iterator_traitsIS13_E10value_typeET2_T3_PNS14_IS19_E10value_typeET4_jRbjT5_S1F_jjP12ihipStream_tbEUljE_ZNSN_ISO_Lb0ESR_SS_SU_SV_SZ_EES10_S11_S12_S13_S17_S18_S19_S1C_S1D_jS1E_jS1F_S1F_jjS1H_bEUljE0_EEES10_S11_S12_S19_S1D_S1F_T6_T7_T9_mT8_S1H_bDpT10_ENKUlT_T0_E_clISt17integral_constantIbLb0EES1U_IbLb1EEEEDaS1Q_S1R_EUlS1Q_E_NS1_11comp_targetILNS1_3genE4ELNS1_11target_archE910ELNS1_3gpuE8ELNS1_3repE0EEENS1_30default_config_static_selectorELNS0_4arch9wavefront6targetE0EEEvS13_
		.amdhsa_group_segment_fixed_size 0
		.amdhsa_private_segment_fixed_size 0
		.amdhsa_kernarg_size 184
		.amdhsa_user_sgpr_count 15
		.amdhsa_user_sgpr_dispatch_ptr 0
		.amdhsa_user_sgpr_queue_ptr 0
		.amdhsa_user_sgpr_kernarg_segment_ptr 1
		.amdhsa_user_sgpr_dispatch_id 0
		.amdhsa_user_sgpr_private_segment_size 0
		.amdhsa_wavefront_size32 1
		.amdhsa_uses_dynamic_stack 0
		.amdhsa_enable_private_segment 0
		.amdhsa_system_sgpr_workgroup_id_x 1
		.amdhsa_system_sgpr_workgroup_id_y 0
		.amdhsa_system_sgpr_workgroup_id_z 0
		.amdhsa_system_sgpr_workgroup_info 0
		.amdhsa_system_vgpr_workitem_id 0
		.amdhsa_next_free_vgpr 1
		.amdhsa_next_free_sgpr 1
		.amdhsa_reserve_vcc 0
		.amdhsa_float_round_mode_32 0
		.amdhsa_float_round_mode_16_64 0
		.amdhsa_float_denorm_mode_32 3
		.amdhsa_float_denorm_mode_16_64 3
		.amdhsa_dx10_clamp 1
		.amdhsa_ieee_mode 1
		.amdhsa_fp16_overflow 0
		.amdhsa_workgroup_processor_mode 1
		.amdhsa_memory_ordered 1
		.amdhsa_forward_progress 0
		.amdhsa_shared_vgpr_count 0
		.amdhsa_exception_fp_ieee_invalid_op 0
		.amdhsa_exception_fp_denorm_src 0
		.amdhsa_exception_fp_ieee_div_zero 0
		.amdhsa_exception_fp_ieee_overflow 0
		.amdhsa_exception_fp_ieee_underflow 0
		.amdhsa_exception_fp_ieee_inexact 0
		.amdhsa_exception_int_div_zero 0
	.end_amdhsa_kernel
	.section	.text._ZN7rocprim17ROCPRIM_400000_NS6detail17trampoline_kernelINS0_13select_configILj256ELj13ELNS0_17block_load_methodE3ELS4_3ELS4_3ELNS0_20block_scan_algorithmE0ELj4294967295EEENS1_25partition_config_selectorILNS1_17partition_subalgoE4EjNS0_10empty_typeEbEEZZNS1_14partition_implILS8_4ELb0ES6_15HIP_vector_typeIjLj2EENS0_17counting_iteratorIjlEEPS9_SG_NS0_5tupleIJPjSI_NS0_16reverse_iteratorISI_EEEEENSH_IJSG_SG_SG_EEES9_SI_JZNS1_25segmented_radix_sort_implINS0_14default_configELb0EPK6__halfPSP_PKlPlN2at6native12_GLOBAL__N_18offset_tEEE10hipError_tPvRmT1_PNSt15iterator_traitsIS13_E10value_typeET2_T3_PNS14_IS19_E10value_typeET4_jRbjT5_S1F_jjP12ihipStream_tbEUljE_ZNSN_ISO_Lb0ESR_SS_SU_SV_SZ_EES10_S11_S12_S13_S17_S18_S19_S1C_S1D_jS1E_jS1F_S1F_jjS1H_bEUljE0_EEES10_S11_S12_S19_S1D_S1F_T6_T7_T9_mT8_S1H_bDpT10_ENKUlT_T0_E_clISt17integral_constantIbLb0EES1U_IbLb1EEEEDaS1Q_S1R_EUlS1Q_E_NS1_11comp_targetILNS1_3genE4ELNS1_11target_archE910ELNS1_3gpuE8ELNS1_3repE0EEENS1_30default_config_static_selectorELNS0_4arch9wavefront6targetE0EEEvS13_,"axG",@progbits,_ZN7rocprim17ROCPRIM_400000_NS6detail17trampoline_kernelINS0_13select_configILj256ELj13ELNS0_17block_load_methodE3ELS4_3ELS4_3ELNS0_20block_scan_algorithmE0ELj4294967295EEENS1_25partition_config_selectorILNS1_17partition_subalgoE4EjNS0_10empty_typeEbEEZZNS1_14partition_implILS8_4ELb0ES6_15HIP_vector_typeIjLj2EENS0_17counting_iteratorIjlEEPS9_SG_NS0_5tupleIJPjSI_NS0_16reverse_iteratorISI_EEEEENSH_IJSG_SG_SG_EEES9_SI_JZNS1_25segmented_radix_sort_implINS0_14default_configELb0EPK6__halfPSP_PKlPlN2at6native12_GLOBAL__N_18offset_tEEE10hipError_tPvRmT1_PNSt15iterator_traitsIS13_E10value_typeET2_T3_PNS14_IS19_E10value_typeET4_jRbjT5_S1F_jjP12ihipStream_tbEUljE_ZNSN_ISO_Lb0ESR_SS_SU_SV_SZ_EES10_S11_S12_S13_S17_S18_S19_S1C_S1D_jS1E_jS1F_S1F_jjS1H_bEUljE0_EEES10_S11_S12_S19_S1D_S1F_T6_T7_T9_mT8_S1H_bDpT10_ENKUlT_T0_E_clISt17integral_constantIbLb0EES1U_IbLb1EEEEDaS1Q_S1R_EUlS1Q_E_NS1_11comp_targetILNS1_3genE4ELNS1_11target_archE910ELNS1_3gpuE8ELNS1_3repE0EEENS1_30default_config_static_selectorELNS0_4arch9wavefront6targetE0EEEvS13_,comdat
.Lfunc_end1804:
	.size	_ZN7rocprim17ROCPRIM_400000_NS6detail17trampoline_kernelINS0_13select_configILj256ELj13ELNS0_17block_load_methodE3ELS4_3ELS4_3ELNS0_20block_scan_algorithmE0ELj4294967295EEENS1_25partition_config_selectorILNS1_17partition_subalgoE4EjNS0_10empty_typeEbEEZZNS1_14partition_implILS8_4ELb0ES6_15HIP_vector_typeIjLj2EENS0_17counting_iteratorIjlEEPS9_SG_NS0_5tupleIJPjSI_NS0_16reverse_iteratorISI_EEEEENSH_IJSG_SG_SG_EEES9_SI_JZNS1_25segmented_radix_sort_implINS0_14default_configELb0EPK6__halfPSP_PKlPlN2at6native12_GLOBAL__N_18offset_tEEE10hipError_tPvRmT1_PNSt15iterator_traitsIS13_E10value_typeET2_T3_PNS14_IS19_E10value_typeET4_jRbjT5_S1F_jjP12ihipStream_tbEUljE_ZNSN_ISO_Lb0ESR_SS_SU_SV_SZ_EES10_S11_S12_S13_S17_S18_S19_S1C_S1D_jS1E_jS1F_S1F_jjS1H_bEUljE0_EEES10_S11_S12_S19_S1D_S1F_T6_T7_T9_mT8_S1H_bDpT10_ENKUlT_T0_E_clISt17integral_constantIbLb0EES1U_IbLb1EEEEDaS1Q_S1R_EUlS1Q_E_NS1_11comp_targetILNS1_3genE4ELNS1_11target_archE910ELNS1_3gpuE8ELNS1_3repE0EEENS1_30default_config_static_selectorELNS0_4arch9wavefront6targetE0EEEvS13_, .Lfunc_end1804-_ZN7rocprim17ROCPRIM_400000_NS6detail17trampoline_kernelINS0_13select_configILj256ELj13ELNS0_17block_load_methodE3ELS4_3ELS4_3ELNS0_20block_scan_algorithmE0ELj4294967295EEENS1_25partition_config_selectorILNS1_17partition_subalgoE4EjNS0_10empty_typeEbEEZZNS1_14partition_implILS8_4ELb0ES6_15HIP_vector_typeIjLj2EENS0_17counting_iteratorIjlEEPS9_SG_NS0_5tupleIJPjSI_NS0_16reverse_iteratorISI_EEEEENSH_IJSG_SG_SG_EEES9_SI_JZNS1_25segmented_radix_sort_implINS0_14default_configELb0EPK6__halfPSP_PKlPlN2at6native12_GLOBAL__N_18offset_tEEE10hipError_tPvRmT1_PNSt15iterator_traitsIS13_E10value_typeET2_T3_PNS14_IS19_E10value_typeET4_jRbjT5_S1F_jjP12ihipStream_tbEUljE_ZNSN_ISO_Lb0ESR_SS_SU_SV_SZ_EES10_S11_S12_S13_S17_S18_S19_S1C_S1D_jS1E_jS1F_S1F_jjS1H_bEUljE0_EEES10_S11_S12_S19_S1D_S1F_T6_T7_T9_mT8_S1H_bDpT10_ENKUlT_T0_E_clISt17integral_constantIbLb0EES1U_IbLb1EEEEDaS1Q_S1R_EUlS1Q_E_NS1_11comp_targetILNS1_3genE4ELNS1_11target_archE910ELNS1_3gpuE8ELNS1_3repE0EEENS1_30default_config_static_selectorELNS0_4arch9wavefront6targetE0EEEvS13_
                                        ; -- End function
	.section	.AMDGPU.csdata,"",@progbits
; Kernel info:
; codeLenInByte = 0
; NumSgprs: 0
; NumVgprs: 0
; ScratchSize: 0
; MemoryBound: 0
; FloatMode: 240
; IeeeMode: 1
; LDSByteSize: 0 bytes/workgroup (compile time only)
; SGPRBlocks: 0
; VGPRBlocks: 0
; NumSGPRsForWavesPerEU: 1
; NumVGPRsForWavesPerEU: 1
; Occupancy: 16
; WaveLimiterHint : 0
; COMPUTE_PGM_RSRC2:SCRATCH_EN: 0
; COMPUTE_PGM_RSRC2:USER_SGPR: 15
; COMPUTE_PGM_RSRC2:TRAP_HANDLER: 0
; COMPUTE_PGM_RSRC2:TGID_X_EN: 1
; COMPUTE_PGM_RSRC2:TGID_Y_EN: 0
; COMPUTE_PGM_RSRC2:TGID_Z_EN: 0
; COMPUTE_PGM_RSRC2:TIDIG_COMP_CNT: 0
	.section	.text._ZN7rocprim17ROCPRIM_400000_NS6detail17trampoline_kernelINS0_13select_configILj256ELj13ELNS0_17block_load_methodE3ELS4_3ELS4_3ELNS0_20block_scan_algorithmE0ELj4294967295EEENS1_25partition_config_selectorILNS1_17partition_subalgoE4EjNS0_10empty_typeEbEEZZNS1_14partition_implILS8_4ELb0ES6_15HIP_vector_typeIjLj2EENS0_17counting_iteratorIjlEEPS9_SG_NS0_5tupleIJPjSI_NS0_16reverse_iteratorISI_EEEEENSH_IJSG_SG_SG_EEES9_SI_JZNS1_25segmented_radix_sort_implINS0_14default_configELb0EPK6__halfPSP_PKlPlN2at6native12_GLOBAL__N_18offset_tEEE10hipError_tPvRmT1_PNSt15iterator_traitsIS13_E10value_typeET2_T3_PNS14_IS19_E10value_typeET4_jRbjT5_S1F_jjP12ihipStream_tbEUljE_ZNSN_ISO_Lb0ESR_SS_SU_SV_SZ_EES10_S11_S12_S13_S17_S18_S19_S1C_S1D_jS1E_jS1F_S1F_jjS1H_bEUljE0_EEES10_S11_S12_S19_S1D_S1F_T6_T7_T9_mT8_S1H_bDpT10_ENKUlT_T0_E_clISt17integral_constantIbLb0EES1U_IbLb1EEEEDaS1Q_S1R_EUlS1Q_E_NS1_11comp_targetILNS1_3genE3ELNS1_11target_archE908ELNS1_3gpuE7ELNS1_3repE0EEENS1_30default_config_static_selectorELNS0_4arch9wavefront6targetE0EEEvS13_,"axG",@progbits,_ZN7rocprim17ROCPRIM_400000_NS6detail17trampoline_kernelINS0_13select_configILj256ELj13ELNS0_17block_load_methodE3ELS4_3ELS4_3ELNS0_20block_scan_algorithmE0ELj4294967295EEENS1_25partition_config_selectorILNS1_17partition_subalgoE4EjNS0_10empty_typeEbEEZZNS1_14partition_implILS8_4ELb0ES6_15HIP_vector_typeIjLj2EENS0_17counting_iteratorIjlEEPS9_SG_NS0_5tupleIJPjSI_NS0_16reverse_iteratorISI_EEEEENSH_IJSG_SG_SG_EEES9_SI_JZNS1_25segmented_radix_sort_implINS0_14default_configELb0EPK6__halfPSP_PKlPlN2at6native12_GLOBAL__N_18offset_tEEE10hipError_tPvRmT1_PNSt15iterator_traitsIS13_E10value_typeET2_T3_PNS14_IS19_E10value_typeET4_jRbjT5_S1F_jjP12ihipStream_tbEUljE_ZNSN_ISO_Lb0ESR_SS_SU_SV_SZ_EES10_S11_S12_S13_S17_S18_S19_S1C_S1D_jS1E_jS1F_S1F_jjS1H_bEUljE0_EEES10_S11_S12_S19_S1D_S1F_T6_T7_T9_mT8_S1H_bDpT10_ENKUlT_T0_E_clISt17integral_constantIbLb0EES1U_IbLb1EEEEDaS1Q_S1R_EUlS1Q_E_NS1_11comp_targetILNS1_3genE3ELNS1_11target_archE908ELNS1_3gpuE7ELNS1_3repE0EEENS1_30default_config_static_selectorELNS0_4arch9wavefront6targetE0EEEvS13_,comdat
	.globl	_ZN7rocprim17ROCPRIM_400000_NS6detail17trampoline_kernelINS0_13select_configILj256ELj13ELNS0_17block_load_methodE3ELS4_3ELS4_3ELNS0_20block_scan_algorithmE0ELj4294967295EEENS1_25partition_config_selectorILNS1_17partition_subalgoE4EjNS0_10empty_typeEbEEZZNS1_14partition_implILS8_4ELb0ES6_15HIP_vector_typeIjLj2EENS0_17counting_iteratorIjlEEPS9_SG_NS0_5tupleIJPjSI_NS0_16reverse_iteratorISI_EEEEENSH_IJSG_SG_SG_EEES9_SI_JZNS1_25segmented_radix_sort_implINS0_14default_configELb0EPK6__halfPSP_PKlPlN2at6native12_GLOBAL__N_18offset_tEEE10hipError_tPvRmT1_PNSt15iterator_traitsIS13_E10value_typeET2_T3_PNS14_IS19_E10value_typeET4_jRbjT5_S1F_jjP12ihipStream_tbEUljE_ZNSN_ISO_Lb0ESR_SS_SU_SV_SZ_EES10_S11_S12_S13_S17_S18_S19_S1C_S1D_jS1E_jS1F_S1F_jjS1H_bEUljE0_EEES10_S11_S12_S19_S1D_S1F_T6_T7_T9_mT8_S1H_bDpT10_ENKUlT_T0_E_clISt17integral_constantIbLb0EES1U_IbLb1EEEEDaS1Q_S1R_EUlS1Q_E_NS1_11comp_targetILNS1_3genE3ELNS1_11target_archE908ELNS1_3gpuE7ELNS1_3repE0EEENS1_30default_config_static_selectorELNS0_4arch9wavefront6targetE0EEEvS13_ ; -- Begin function _ZN7rocprim17ROCPRIM_400000_NS6detail17trampoline_kernelINS0_13select_configILj256ELj13ELNS0_17block_load_methodE3ELS4_3ELS4_3ELNS0_20block_scan_algorithmE0ELj4294967295EEENS1_25partition_config_selectorILNS1_17partition_subalgoE4EjNS0_10empty_typeEbEEZZNS1_14partition_implILS8_4ELb0ES6_15HIP_vector_typeIjLj2EENS0_17counting_iteratorIjlEEPS9_SG_NS0_5tupleIJPjSI_NS0_16reverse_iteratorISI_EEEEENSH_IJSG_SG_SG_EEES9_SI_JZNS1_25segmented_radix_sort_implINS0_14default_configELb0EPK6__halfPSP_PKlPlN2at6native12_GLOBAL__N_18offset_tEEE10hipError_tPvRmT1_PNSt15iterator_traitsIS13_E10value_typeET2_T3_PNS14_IS19_E10value_typeET4_jRbjT5_S1F_jjP12ihipStream_tbEUljE_ZNSN_ISO_Lb0ESR_SS_SU_SV_SZ_EES10_S11_S12_S13_S17_S18_S19_S1C_S1D_jS1E_jS1F_S1F_jjS1H_bEUljE0_EEES10_S11_S12_S19_S1D_S1F_T6_T7_T9_mT8_S1H_bDpT10_ENKUlT_T0_E_clISt17integral_constantIbLb0EES1U_IbLb1EEEEDaS1Q_S1R_EUlS1Q_E_NS1_11comp_targetILNS1_3genE3ELNS1_11target_archE908ELNS1_3gpuE7ELNS1_3repE0EEENS1_30default_config_static_selectorELNS0_4arch9wavefront6targetE0EEEvS13_
	.p2align	8
	.type	_ZN7rocprim17ROCPRIM_400000_NS6detail17trampoline_kernelINS0_13select_configILj256ELj13ELNS0_17block_load_methodE3ELS4_3ELS4_3ELNS0_20block_scan_algorithmE0ELj4294967295EEENS1_25partition_config_selectorILNS1_17partition_subalgoE4EjNS0_10empty_typeEbEEZZNS1_14partition_implILS8_4ELb0ES6_15HIP_vector_typeIjLj2EENS0_17counting_iteratorIjlEEPS9_SG_NS0_5tupleIJPjSI_NS0_16reverse_iteratorISI_EEEEENSH_IJSG_SG_SG_EEES9_SI_JZNS1_25segmented_radix_sort_implINS0_14default_configELb0EPK6__halfPSP_PKlPlN2at6native12_GLOBAL__N_18offset_tEEE10hipError_tPvRmT1_PNSt15iterator_traitsIS13_E10value_typeET2_T3_PNS14_IS19_E10value_typeET4_jRbjT5_S1F_jjP12ihipStream_tbEUljE_ZNSN_ISO_Lb0ESR_SS_SU_SV_SZ_EES10_S11_S12_S13_S17_S18_S19_S1C_S1D_jS1E_jS1F_S1F_jjS1H_bEUljE0_EEES10_S11_S12_S19_S1D_S1F_T6_T7_T9_mT8_S1H_bDpT10_ENKUlT_T0_E_clISt17integral_constantIbLb0EES1U_IbLb1EEEEDaS1Q_S1R_EUlS1Q_E_NS1_11comp_targetILNS1_3genE3ELNS1_11target_archE908ELNS1_3gpuE7ELNS1_3repE0EEENS1_30default_config_static_selectorELNS0_4arch9wavefront6targetE0EEEvS13_,@function
_ZN7rocprim17ROCPRIM_400000_NS6detail17trampoline_kernelINS0_13select_configILj256ELj13ELNS0_17block_load_methodE3ELS4_3ELS4_3ELNS0_20block_scan_algorithmE0ELj4294967295EEENS1_25partition_config_selectorILNS1_17partition_subalgoE4EjNS0_10empty_typeEbEEZZNS1_14partition_implILS8_4ELb0ES6_15HIP_vector_typeIjLj2EENS0_17counting_iteratorIjlEEPS9_SG_NS0_5tupleIJPjSI_NS0_16reverse_iteratorISI_EEEEENSH_IJSG_SG_SG_EEES9_SI_JZNS1_25segmented_radix_sort_implINS0_14default_configELb0EPK6__halfPSP_PKlPlN2at6native12_GLOBAL__N_18offset_tEEE10hipError_tPvRmT1_PNSt15iterator_traitsIS13_E10value_typeET2_T3_PNS14_IS19_E10value_typeET4_jRbjT5_S1F_jjP12ihipStream_tbEUljE_ZNSN_ISO_Lb0ESR_SS_SU_SV_SZ_EES10_S11_S12_S13_S17_S18_S19_S1C_S1D_jS1E_jS1F_S1F_jjS1H_bEUljE0_EEES10_S11_S12_S19_S1D_S1F_T6_T7_T9_mT8_S1H_bDpT10_ENKUlT_T0_E_clISt17integral_constantIbLb0EES1U_IbLb1EEEEDaS1Q_S1R_EUlS1Q_E_NS1_11comp_targetILNS1_3genE3ELNS1_11target_archE908ELNS1_3gpuE7ELNS1_3repE0EEENS1_30default_config_static_selectorELNS0_4arch9wavefront6targetE0EEEvS13_: ; @_ZN7rocprim17ROCPRIM_400000_NS6detail17trampoline_kernelINS0_13select_configILj256ELj13ELNS0_17block_load_methodE3ELS4_3ELS4_3ELNS0_20block_scan_algorithmE0ELj4294967295EEENS1_25partition_config_selectorILNS1_17partition_subalgoE4EjNS0_10empty_typeEbEEZZNS1_14partition_implILS8_4ELb0ES6_15HIP_vector_typeIjLj2EENS0_17counting_iteratorIjlEEPS9_SG_NS0_5tupleIJPjSI_NS0_16reverse_iteratorISI_EEEEENSH_IJSG_SG_SG_EEES9_SI_JZNS1_25segmented_radix_sort_implINS0_14default_configELb0EPK6__halfPSP_PKlPlN2at6native12_GLOBAL__N_18offset_tEEE10hipError_tPvRmT1_PNSt15iterator_traitsIS13_E10value_typeET2_T3_PNS14_IS19_E10value_typeET4_jRbjT5_S1F_jjP12ihipStream_tbEUljE_ZNSN_ISO_Lb0ESR_SS_SU_SV_SZ_EES10_S11_S12_S13_S17_S18_S19_S1C_S1D_jS1E_jS1F_S1F_jjS1H_bEUljE0_EEES10_S11_S12_S19_S1D_S1F_T6_T7_T9_mT8_S1H_bDpT10_ENKUlT_T0_E_clISt17integral_constantIbLb0EES1U_IbLb1EEEEDaS1Q_S1R_EUlS1Q_E_NS1_11comp_targetILNS1_3genE3ELNS1_11target_archE908ELNS1_3gpuE7ELNS1_3repE0EEENS1_30default_config_static_selectorELNS0_4arch9wavefront6targetE0EEEvS13_
; %bb.0:
	.section	.rodata,"a",@progbits
	.p2align	6, 0x0
	.amdhsa_kernel _ZN7rocprim17ROCPRIM_400000_NS6detail17trampoline_kernelINS0_13select_configILj256ELj13ELNS0_17block_load_methodE3ELS4_3ELS4_3ELNS0_20block_scan_algorithmE0ELj4294967295EEENS1_25partition_config_selectorILNS1_17partition_subalgoE4EjNS0_10empty_typeEbEEZZNS1_14partition_implILS8_4ELb0ES6_15HIP_vector_typeIjLj2EENS0_17counting_iteratorIjlEEPS9_SG_NS0_5tupleIJPjSI_NS0_16reverse_iteratorISI_EEEEENSH_IJSG_SG_SG_EEES9_SI_JZNS1_25segmented_radix_sort_implINS0_14default_configELb0EPK6__halfPSP_PKlPlN2at6native12_GLOBAL__N_18offset_tEEE10hipError_tPvRmT1_PNSt15iterator_traitsIS13_E10value_typeET2_T3_PNS14_IS19_E10value_typeET4_jRbjT5_S1F_jjP12ihipStream_tbEUljE_ZNSN_ISO_Lb0ESR_SS_SU_SV_SZ_EES10_S11_S12_S13_S17_S18_S19_S1C_S1D_jS1E_jS1F_S1F_jjS1H_bEUljE0_EEES10_S11_S12_S19_S1D_S1F_T6_T7_T9_mT8_S1H_bDpT10_ENKUlT_T0_E_clISt17integral_constantIbLb0EES1U_IbLb1EEEEDaS1Q_S1R_EUlS1Q_E_NS1_11comp_targetILNS1_3genE3ELNS1_11target_archE908ELNS1_3gpuE7ELNS1_3repE0EEENS1_30default_config_static_selectorELNS0_4arch9wavefront6targetE0EEEvS13_
		.amdhsa_group_segment_fixed_size 0
		.amdhsa_private_segment_fixed_size 0
		.amdhsa_kernarg_size 184
		.amdhsa_user_sgpr_count 15
		.amdhsa_user_sgpr_dispatch_ptr 0
		.amdhsa_user_sgpr_queue_ptr 0
		.amdhsa_user_sgpr_kernarg_segment_ptr 1
		.amdhsa_user_sgpr_dispatch_id 0
		.amdhsa_user_sgpr_private_segment_size 0
		.amdhsa_wavefront_size32 1
		.amdhsa_uses_dynamic_stack 0
		.amdhsa_enable_private_segment 0
		.amdhsa_system_sgpr_workgroup_id_x 1
		.amdhsa_system_sgpr_workgroup_id_y 0
		.amdhsa_system_sgpr_workgroup_id_z 0
		.amdhsa_system_sgpr_workgroup_info 0
		.amdhsa_system_vgpr_workitem_id 0
		.amdhsa_next_free_vgpr 1
		.amdhsa_next_free_sgpr 1
		.amdhsa_reserve_vcc 0
		.amdhsa_float_round_mode_32 0
		.amdhsa_float_round_mode_16_64 0
		.amdhsa_float_denorm_mode_32 3
		.amdhsa_float_denorm_mode_16_64 3
		.amdhsa_dx10_clamp 1
		.amdhsa_ieee_mode 1
		.amdhsa_fp16_overflow 0
		.amdhsa_workgroup_processor_mode 1
		.amdhsa_memory_ordered 1
		.amdhsa_forward_progress 0
		.amdhsa_shared_vgpr_count 0
		.amdhsa_exception_fp_ieee_invalid_op 0
		.amdhsa_exception_fp_denorm_src 0
		.amdhsa_exception_fp_ieee_div_zero 0
		.amdhsa_exception_fp_ieee_overflow 0
		.amdhsa_exception_fp_ieee_underflow 0
		.amdhsa_exception_fp_ieee_inexact 0
		.amdhsa_exception_int_div_zero 0
	.end_amdhsa_kernel
	.section	.text._ZN7rocprim17ROCPRIM_400000_NS6detail17trampoline_kernelINS0_13select_configILj256ELj13ELNS0_17block_load_methodE3ELS4_3ELS4_3ELNS0_20block_scan_algorithmE0ELj4294967295EEENS1_25partition_config_selectorILNS1_17partition_subalgoE4EjNS0_10empty_typeEbEEZZNS1_14partition_implILS8_4ELb0ES6_15HIP_vector_typeIjLj2EENS0_17counting_iteratorIjlEEPS9_SG_NS0_5tupleIJPjSI_NS0_16reverse_iteratorISI_EEEEENSH_IJSG_SG_SG_EEES9_SI_JZNS1_25segmented_radix_sort_implINS0_14default_configELb0EPK6__halfPSP_PKlPlN2at6native12_GLOBAL__N_18offset_tEEE10hipError_tPvRmT1_PNSt15iterator_traitsIS13_E10value_typeET2_T3_PNS14_IS19_E10value_typeET4_jRbjT5_S1F_jjP12ihipStream_tbEUljE_ZNSN_ISO_Lb0ESR_SS_SU_SV_SZ_EES10_S11_S12_S13_S17_S18_S19_S1C_S1D_jS1E_jS1F_S1F_jjS1H_bEUljE0_EEES10_S11_S12_S19_S1D_S1F_T6_T7_T9_mT8_S1H_bDpT10_ENKUlT_T0_E_clISt17integral_constantIbLb0EES1U_IbLb1EEEEDaS1Q_S1R_EUlS1Q_E_NS1_11comp_targetILNS1_3genE3ELNS1_11target_archE908ELNS1_3gpuE7ELNS1_3repE0EEENS1_30default_config_static_selectorELNS0_4arch9wavefront6targetE0EEEvS13_,"axG",@progbits,_ZN7rocprim17ROCPRIM_400000_NS6detail17trampoline_kernelINS0_13select_configILj256ELj13ELNS0_17block_load_methodE3ELS4_3ELS4_3ELNS0_20block_scan_algorithmE0ELj4294967295EEENS1_25partition_config_selectorILNS1_17partition_subalgoE4EjNS0_10empty_typeEbEEZZNS1_14partition_implILS8_4ELb0ES6_15HIP_vector_typeIjLj2EENS0_17counting_iteratorIjlEEPS9_SG_NS0_5tupleIJPjSI_NS0_16reverse_iteratorISI_EEEEENSH_IJSG_SG_SG_EEES9_SI_JZNS1_25segmented_radix_sort_implINS0_14default_configELb0EPK6__halfPSP_PKlPlN2at6native12_GLOBAL__N_18offset_tEEE10hipError_tPvRmT1_PNSt15iterator_traitsIS13_E10value_typeET2_T3_PNS14_IS19_E10value_typeET4_jRbjT5_S1F_jjP12ihipStream_tbEUljE_ZNSN_ISO_Lb0ESR_SS_SU_SV_SZ_EES10_S11_S12_S13_S17_S18_S19_S1C_S1D_jS1E_jS1F_S1F_jjS1H_bEUljE0_EEES10_S11_S12_S19_S1D_S1F_T6_T7_T9_mT8_S1H_bDpT10_ENKUlT_T0_E_clISt17integral_constantIbLb0EES1U_IbLb1EEEEDaS1Q_S1R_EUlS1Q_E_NS1_11comp_targetILNS1_3genE3ELNS1_11target_archE908ELNS1_3gpuE7ELNS1_3repE0EEENS1_30default_config_static_selectorELNS0_4arch9wavefront6targetE0EEEvS13_,comdat
.Lfunc_end1805:
	.size	_ZN7rocprim17ROCPRIM_400000_NS6detail17trampoline_kernelINS0_13select_configILj256ELj13ELNS0_17block_load_methodE3ELS4_3ELS4_3ELNS0_20block_scan_algorithmE0ELj4294967295EEENS1_25partition_config_selectorILNS1_17partition_subalgoE4EjNS0_10empty_typeEbEEZZNS1_14partition_implILS8_4ELb0ES6_15HIP_vector_typeIjLj2EENS0_17counting_iteratorIjlEEPS9_SG_NS0_5tupleIJPjSI_NS0_16reverse_iteratorISI_EEEEENSH_IJSG_SG_SG_EEES9_SI_JZNS1_25segmented_radix_sort_implINS0_14default_configELb0EPK6__halfPSP_PKlPlN2at6native12_GLOBAL__N_18offset_tEEE10hipError_tPvRmT1_PNSt15iterator_traitsIS13_E10value_typeET2_T3_PNS14_IS19_E10value_typeET4_jRbjT5_S1F_jjP12ihipStream_tbEUljE_ZNSN_ISO_Lb0ESR_SS_SU_SV_SZ_EES10_S11_S12_S13_S17_S18_S19_S1C_S1D_jS1E_jS1F_S1F_jjS1H_bEUljE0_EEES10_S11_S12_S19_S1D_S1F_T6_T7_T9_mT8_S1H_bDpT10_ENKUlT_T0_E_clISt17integral_constantIbLb0EES1U_IbLb1EEEEDaS1Q_S1R_EUlS1Q_E_NS1_11comp_targetILNS1_3genE3ELNS1_11target_archE908ELNS1_3gpuE7ELNS1_3repE0EEENS1_30default_config_static_selectorELNS0_4arch9wavefront6targetE0EEEvS13_, .Lfunc_end1805-_ZN7rocprim17ROCPRIM_400000_NS6detail17trampoline_kernelINS0_13select_configILj256ELj13ELNS0_17block_load_methodE3ELS4_3ELS4_3ELNS0_20block_scan_algorithmE0ELj4294967295EEENS1_25partition_config_selectorILNS1_17partition_subalgoE4EjNS0_10empty_typeEbEEZZNS1_14partition_implILS8_4ELb0ES6_15HIP_vector_typeIjLj2EENS0_17counting_iteratorIjlEEPS9_SG_NS0_5tupleIJPjSI_NS0_16reverse_iteratorISI_EEEEENSH_IJSG_SG_SG_EEES9_SI_JZNS1_25segmented_radix_sort_implINS0_14default_configELb0EPK6__halfPSP_PKlPlN2at6native12_GLOBAL__N_18offset_tEEE10hipError_tPvRmT1_PNSt15iterator_traitsIS13_E10value_typeET2_T3_PNS14_IS19_E10value_typeET4_jRbjT5_S1F_jjP12ihipStream_tbEUljE_ZNSN_ISO_Lb0ESR_SS_SU_SV_SZ_EES10_S11_S12_S13_S17_S18_S19_S1C_S1D_jS1E_jS1F_S1F_jjS1H_bEUljE0_EEES10_S11_S12_S19_S1D_S1F_T6_T7_T9_mT8_S1H_bDpT10_ENKUlT_T0_E_clISt17integral_constantIbLb0EES1U_IbLb1EEEEDaS1Q_S1R_EUlS1Q_E_NS1_11comp_targetILNS1_3genE3ELNS1_11target_archE908ELNS1_3gpuE7ELNS1_3repE0EEENS1_30default_config_static_selectorELNS0_4arch9wavefront6targetE0EEEvS13_
                                        ; -- End function
	.section	.AMDGPU.csdata,"",@progbits
; Kernel info:
; codeLenInByte = 0
; NumSgprs: 0
; NumVgprs: 0
; ScratchSize: 0
; MemoryBound: 0
; FloatMode: 240
; IeeeMode: 1
; LDSByteSize: 0 bytes/workgroup (compile time only)
; SGPRBlocks: 0
; VGPRBlocks: 0
; NumSGPRsForWavesPerEU: 1
; NumVGPRsForWavesPerEU: 1
; Occupancy: 16
; WaveLimiterHint : 0
; COMPUTE_PGM_RSRC2:SCRATCH_EN: 0
; COMPUTE_PGM_RSRC2:USER_SGPR: 15
; COMPUTE_PGM_RSRC2:TRAP_HANDLER: 0
; COMPUTE_PGM_RSRC2:TGID_X_EN: 1
; COMPUTE_PGM_RSRC2:TGID_Y_EN: 0
; COMPUTE_PGM_RSRC2:TGID_Z_EN: 0
; COMPUTE_PGM_RSRC2:TIDIG_COMP_CNT: 0
	.section	.text._ZN7rocprim17ROCPRIM_400000_NS6detail17trampoline_kernelINS0_13select_configILj256ELj13ELNS0_17block_load_methodE3ELS4_3ELS4_3ELNS0_20block_scan_algorithmE0ELj4294967295EEENS1_25partition_config_selectorILNS1_17partition_subalgoE4EjNS0_10empty_typeEbEEZZNS1_14partition_implILS8_4ELb0ES6_15HIP_vector_typeIjLj2EENS0_17counting_iteratorIjlEEPS9_SG_NS0_5tupleIJPjSI_NS0_16reverse_iteratorISI_EEEEENSH_IJSG_SG_SG_EEES9_SI_JZNS1_25segmented_radix_sort_implINS0_14default_configELb0EPK6__halfPSP_PKlPlN2at6native12_GLOBAL__N_18offset_tEEE10hipError_tPvRmT1_PNSt15iterator_traitsIS13_E10value_typeET2_T3_PNS14_IS19_E10value_typeET4_jRbjT5_S1F_jjP12ihipStream_tbEUljE_ZNSN_ISO_Lb0ESR_SS_SU_SV_SZ_EES10_S11_S12_S13_S17_S18_S19_S1C_S1D_jS1E_jS1F_S1F_jjS1H_bEUljE0_EEES10_S11_S12_S19_S1D_S1F_T6_T7_T9_mT8_S1H_bDpT10_ENKUlT_T0_E_clISt17integral_constantIbLb0EES1U_IbLb1EEEEDaS1Q_S1R_EUlS1Q_E_NS1_11comp_targetILNS1_3genE2ELNS1_11target_archE906ELNS1_3gpuE6ELNS1_3repE0EEENS1_30default_config_static_selectorELNS0_4arch9wavefront6targetE0EEEvS13_,"axG",@progbits,_ZN7rocprim17ROCPRIM_400000_NS6detail17trampoline_kernelINS0_13select_configILj256ELj13ELNS0_17block_load_methodE3ELS4_3ELS4_3ELNS0_20block_scan_algorithmE0ELj4294967295EEENS1_25partition_config_selectorILNS1_17partition_subalgoE4EjNS0_10empty_typeEbEEZZNS1_14partition_implILS8_4ELb0ES6_15HIP_vector_typeIjLj2EENS0_17counting_iteratorIjlEEPS9_SG_NS0_5tupleIJPjSI_NS0_16reverse_iteratorISI_EEEEENSH_IJSG_SG_SG_EEES9_SI_JZNS1_25segmented_radix_sort_implINS0_14default_configELb0EPK6__halfPSP_PKlPlN2at6native12_GLOBAL__N_18offset_tEEE10hipError_tPvRmT1_PNSt15iterator_traitsIS13_E10value_typeET2_T3_PNS14_IS19_E10value_typeET4_jRbjT5_S1F_jjP12ihipStream_tbEUljE_ZNSN_ISO_Lb0ESR_SS_SU_SV_SZ_EES10_S11_S12_S13_S17_S18_S19_S1C_S1D_jS1E_jS1F_S1F_jjS1H_bEUljE0_EEES10_S11_S12_S19_S1D_S1F_T6_T7_T9_mT8_S1H_bDpT10_ENKUlT_T0_E_clISt17integral_constantIbLb0EES1U_IbLb1EEEEDaS1Q_S1R_EUlS1Q_E_NS1_11comp_targetILNS1_3genE2ELNS1_11target_archE906ELNS1_3gpuE6ELNS1_3repE0EEENS1_30default_config_static_selectorELNS0_4arch9wavefront6targetE0EEEvS13_,comdat
	.globl	_ZN7rocprim17ROCPRIM_400000_NS6detail17trampoline_kernelINS0_13select_configILj256ELj13ELNS0_17block_load_methodE3ELS4_3ELS4_3ELNS0_20block_scan_algorithmE0ELj4294967295EEENS1_25partition_config_selectorILNS1_17partition_subalgoE4EjNS0_10empty_typeEbEEZZNS1_14partition_implILS8_4ELb0ES6_15HIP_vector_typeIjLj2EENS0_17counting_iteratorIjlEEPS9_SG_NS0_5tupleIJPjSI_NS0_16reverse_iteratorISI_EEEEENSH_IJSG_SG_SG_EEES9_SI_JZNS1_25segmented_radix_sort_implINS0_14default_configELb0EPK6__halfPSP_PKlPlN2at6native12_GLOBAL__N_18offset_tEEE10hipError_tPvRmT1_PNSt15iterator_traitsIS13_E10value_typeET2_T3_PNS14_IS19_E10value_typeET4_jRbjT5_S1F_jjP12ihipStream_tbEUljE_ZNSN_ISO_Lb0ESR_SS_SU_SV_SZ_EES10_S11_S12_S13_S17_S18_S19_S1C_S1D_jS1E_jS1F_S1F_jjS1H_bEUljE0_EEES10_S11_S12_S19_S1D_S1F_T6_T7_T9_mT8_S1H_bDpT10_ENKUlT_T0_E_clISt17integral_constantIbLb0EES1U_IbLb1EEEEDaS1Q_S1R_EUlS1Q_E_NS1_11comp_targetILNS1_3genE2ELNS1_11target_archE906ELNS1_3gpuE6ELNS1_3repE0EEENS1_30default_config_static_selectorELNS0_4arch9wavefront6targetE0EEEvS13_ ; -- Begin function _ZN7rocprim17ROCPRIM_400000_NS6detail17trampoline_kernelINS0_13select_configILj256ELj13ELNS0_17block_load_methodE3ELS4_3ELS4_3ELNS0_20block_scan_algorithmE0ELj4294967295EEENS1_25partition_config_selectorILNS1_17partition_subalgoE4EjNS0_10empty_typeEbEEZZNS1_14partition_implILS8_4ELb0ES6_15HIP_vector_typeIjLj2EENS0_17counting_iteratorIjlEEPS9_SG_NS0_5tupleIJPjSI_NS0_16reverse_iteratorISI_EEEEENSH_IJSG_SG_SG_EEES9_SI_JZNS1_25segmented_radix_sort_implINS0_14default_configELb0EPK6__halfPSP_PKlPlN2at6native12_GLOBAL__N_18offset_tEEE10hipError_tPvRmT1_PNSt15iterator_traitsIS13_E10value_typeET2_T3_PNS14_IS19_E10value_typeET4_jRbjT5_S1F_jjP12ihipStream_tbEUljE_ZNSN_ISO_Lb0ESR_SS_SU_SV_SZ_EES10_S11_S12_S13_S17_S18_S19_S1C_S1D_jS1E_jS1F_S1F_jjS1H_bEUljE0_EEES10_S11_S12_S19_S1D_S1F_T6_T7_T9_mT8_S1H_bDpT10_ENKUlT_T0_E_clISt17integral_constantIbLb0EES1U_IbLb1EEEEDaS1Q_S1R_EUlS1Q_E_NS1_11comp_targetILNS1_3genE2ELNS1_11target_archE906ELNS1_3gpuE6ELNS1_3repE0EEENS1_30default_config_static_selectorELNS0_4arch9wavefront6targetE0EEEvS13_
	.p2align	8
	.type	_ZN7rocprim17ROCPRIM_400000_NS6detail17trampoline_kernelINS0_13select_configILj256ELj13ELNS0_17block_load_methodE3ELS4_3ELS4_3ELNS0_20block_scan_algorithmE0ELj4294967295EEENS1_25partition_config_selectorILNS1_17partition_subalgoE4EjNS0_10empty_typeEbEEZZNS1_14partition_implILS8_4ELb0ES6_15HIP_vector_typeIjLj2EENS0_17counting_iteratorIjlEEPS9_SG_NS0_5tupleIJPjSI_NS0_16reverse_iteratorISI_EEEEENSH_IJSG_SG_SG_EEES9_SI_JZNS1_25segmented_radix_sort_implINS0_14default_configELb0EPK6__halfPSP_PKlPlN2at6native12_GLOBAL__N_18offset_tEEE10hipError_tPvRmT1_PNSt15iterator_traitsIS13_E10value_typeET2_T3_PNS14_IS19_E10value_typeET4_jRbjT5_S1F_jjP12ihipStream_tbEUljE_ZNSN_ISO_Lb0ESR_SS_SU_SV_SZ_EES10_S11_S12_S13_S17_S18_S19_S1C_S1D_jS1E_jS1F_S1F_jjS1H_bEUljE0_EEES10_S11_S12_S19_S1D_S1F_T6_T7_T9_mT8_S1H_bDpT10_ENKUlT_T0_E_clISt17integral_constantIbLb0EES1U_IbLb1EEEEDaS1Q_S1R_EUlS1Q_E_NS1_11comp_targetILNS1_3genE2ELNS1_11target_archE906ELNS1_3gpuE6ELNS1_3repE0EEENS1_30default_config_static_selectorELNS0_4arch9wavefront6targetE0EEEvS13_,@function
_ZN7rocprim17ROCPRIM_400000_NS6detail17trampoline_kernelINS0_13select_configILj256ELj13ELNS0_17block_load_methodE3ELS4_3ELS4_3ELNS0_20block_scan_algorithmE0ELj4294967295EEENS1_25partition_config_selectorILNS1_17partition_subalgoE4EjNS0_10empty_typeEbEEZZNS1_14partition_implILS8_4ELb0ES6_15HIP_vector_typeIjLj2EENS0_17counting_iteratorIjlEEPS9_SG_NS0_5tupleIJPjSI_NS0_16reverse_iteratorISI_EEEEENSH_IJSG_SG_SG_EEES9_SI_JZNS1_25segmented_radix_sort_implINS0_14default_configELb0EPK6__halfPSP_PKlPlN2at6native12_GLOBAL__N_18offset_tEEE10hipError_tPvRmT1_PNSt15iterator_traitsIS13_E10value_typeET2_T3_PNS14_IS19_E10value_typeET4_jRbjT5_S1F_jjP12ihipStream_tbEUljE_ZNSN_ISO_Lb0ESR_SS_SU_SV_SZ_EES10_S11_S12_S13_S17_S18_S19_S1C_S1D_jS1E_jS1F_S1F_jjS1H_bEUljE0_EEES10_S11_S12_S19_S1D_S1F_T6_T7_T9_mT8_S1H_bDpT10_ENKUlT_T0_E_clISt17integral_constantIbLb0EES1U_IbLb1EEEEDaS1Q_S1R_EUlS1Q_E_NS1_11comp_targetILNS1_3genE2ELNS1_11target_archE906ELNS1_3gpuE6ELNS1_3repE0EEENS1_30default_config_static_selectorELNS0_4arch9wavefront6targetE0EEEvS13_: ; @_ZN7rocprim17ROCPRIM_400000_NS6detail17trampoline_kernelINS0_13select_configILj256ELj13ELNS0_17block_load_methodE3ELS4_3ELS4_3ELNS0_20block_scan_algorithmE0ELj4294967295EEENS1_25partition_config_selectorILNS1_17partition_subalgoE4EjNS0_10empty_typeEbEEZZNS1_14partition_implILS8_4ELb0ES6_15HIP_vector_typeIjLj2EENS0_17counting_iteratorIjlEEPS9_SG_NS0_5tupleIJPjSI_NS0_16reverse_iteratorISI_EEEEENSH_IJSG_SG_SG_EEES9_SI_JZNS1_25segmented_radix_sort_implINS0_14default_configELb0EPK6__halfPSP_PKlPlN2at6native12_GLOBAL__N_18offset_tEEE10hipError_tPvRmT1_PNSt15iterator_traitsIS13_E10value_typeET2_T3_PNS14_IS19_E10value_typeET4_jRbjT5_S1F_jjP12ihipStream_tbEUljE_ZNSN_ISO_Lb0ESR_SS_SU_SV_SZ_EES10_S11_S12_S13_S17_S18_S19_S1C_S1D_jS1E_jS1F_S1F_jjS1H_bEUljE0_EEES10_S11_S12_S19_S1D_S1F_T6_T7_T9_mT8_S1H_bDpT10_ENKUlT_T0_E_clISt17integral_constantIbLb0EES1U_IbLb1EEEEDaS1Q_S1R_EUlS1Q_E_NS1_11comp_targetILNS1_3genE2ELNS1_11target_archE906ELNS1_3gpuE6ELNS1_3repE0EEENS1_30default_config_static_selectorELNS0_4arch9wavefront6targetE0EEEvS13_
; %bb.0:
	.section	.rodata,"a",@progbits
	.p2align	6, 0x0
	.amdhsa_kernel _ZN7rocprim17ROCPRIM_400000_NS6detail17trampoline_kernelINS0_13select_configILj256ELj13ELNS0_17block_load_methodE3ELS4_3ELS4_3ELNS0_20block_scan_algorithmE0ELj4294967295EEENS1_25partition_config_selectorILNS1_17partition_subalgoE4EjNS0_10empty_typeEbEEZZNS1_14partition_implILS8_4ELb0ES6_15HIP_vector_typeIjLj2EENS0_17counting_iteratorIjlEEPS9_SG_NS0_5tupleIJPjSI_NS0_16reverse_iteratorISI_EEEEENSH_IJSG_SG_SG_EEES9_SI_JZNS1_25segmented_radix_sort_implINS0_14default_configELb0EPK6__halfPSP_PKlPlN2at6native12_GLOBAL__N_18offset_tEEE10hipError_tPvRmT1_PNSt15iterator_traitsIS13_E10value_typeET2_T3_PNS14_IS19_E10value_typeET4_jRbjT5_S1F_jjP12ihipStream_tbEUljE_ZNSN_ISO_Lb0ESR_SS_SU_SV_SZ_EES10_S11_S12_S13_S17_S18_S19_S1C_S1D_jS1E_jS1F_S1F_jjS1H_bEUljE0_EEES10_S11_S12_S19_S1D_S1F_T6_T7_T9_mT8_S1H_bDpT10_ENKUlT_T0_E_clISt17integral_constantIbLb0EES1U_IbLb1EEEEDaS1Q_S1R_EUlS1Q_E_NS1_11comp_targetILNS1_3genE2ELNS1_11target_archE906ELNS1_3gpuE6ELNS1_3repE0EEENS1_30default_config_static_selectorELNS0_4arch9wavefront6targetE0EEEvS13_
		.amdhsa_group_segment_fixed_size 0
		.amdhsa_private_segment_fixed_size 0
		.amdhsa_kernarg_size 184
		.amdhsa_user_sgpr_count 15
		.amdhsa_user_sgpr_dispatch_ptr 0
		.amdhsa_user_sgpr_queue_ptr 0
		.amdhsa_user_sgpr_kernarg_segment_ptr 1
		.amdhsa_user_sgpr_dispatch_id 0
		.amdhsa_user_sgpr_private_segment_size 0
		.amdhsa_wavefront_size32 1
		.amdhsa_uses_dynamic_stack 0
		.amdhsa_enable_private_segment 0
		.amdhsa_system_sgpr_workgroup_id_x 1
		.amdhsa_system_sgpr_workgroup_id_y 0
		.amdhsa_system_sgpr_workgroup_id_z 0
		.amdhsa_system_sgpr_workgroup_info 0
		.amdhsa_system_vgpr_workitem_id 0
		.amdhsa_next_free_vgpr 1
		.amdhsa_next_free_sgpr 1
		.amdhsa_reserve_vcc 0
		.amdhsa_float_round_mode_32 0
		.amdhsa_float_round_mode_16_64 0
		.amdhsa_float_denorm_mode_32 3
		.amdhsa_float_denorm_mode_16_64 3
		.amdhsa_dx10_clamp 1
		.amdhsa_ieee_mode 1
		.amdhsa_fp16_overflow 0
		.amdhsa_workgroup_processor_mode 1
		.amdhsa_memory_ordered 1
		.amdhsa_forward_progress 0
		.amdhsa_shared_vgpr_count 0
		.amdhsa_exception_fp_ieee_invalid_op 0
		.amdhsa_exception_fp_denorm_src 0
		.amdhsa_exception_fp_ieee_div_zero 0
		.amdhsa_exception_fp_ieee_overflow 0
		.amdhsa_exception_fp_ieee_underflow 0
		.amdhsa_exception_fp_ieee_inexact 0
		.amdhsa_exception_int_div_zero 0
	.end_amdhsa_kernel
	.section	.text._ZN7rocprim17ROCPRIM_400000_NS6detail17trampoline_kernelINS0_13select_configILj256ELj13ELNS0_17block_load_methodE3ELS4_3ELS4_3ELNS0_20block_scan_algorithmE0ELj4294967295EEENS1_25partition_config_selectorILNS1_17partition_subalgoE4EjNS0_10empty_typeEbEEZZNS1_14partition_implILS8_4ELb0ES6_15HIP_vector_typeIjLj2EENS0_17counting_iteratorIjlEEPS9_SG_NS0_5tupleIJPjSI_NS0_16reverse_iteratorISI_EEEEENSH_IJSG_SG_SG_EEES9_SI_JZNS1_25segmented_radix_sort_implINS0_14default_configELb0EPK6__halfPSP_PKlPlN2at6native12_GLOBAL__N_18offset_tEEE10hipError_tPvRmT1_PNSt15iterator_traitsIS13_E10value_typeET2_T3_PNS14_IS19_E10value_typeET4_jRbjT5_S1F_jjP12ihipStream_tbEUljE_ZNSN_ISO_Lb0ESR_SS_SU_SV_SZ_EES10_S11_S12_S13_S17_S18_S19_S1C_S1D_jS1E_jS1F_S1F_jjS1H_bEUljE0_EEES10_S11_S12_S19_S1D_S1F_T6_T7_T9_mT8_S1H_bDpT10_ENKUlT_T0_E_clISt17integral_constantIbLb0EES1U_IbLb1EEEEDaS1Q_S1R_EUlS1Q_E_NS1_11comp_targetILNS1_3genE2ELNS1_11target_archE906ELNS1_3gpuE6ELNS1_3repE0EEENS1_30default_config_static_selectorELNS0_4arch9wavefront6targetE0EEEvS13_,"axG",@progbits,_ZN7rocprim17ROCPRIM_400000_NS6detail17trampoline_kernelINS0_13select_configILj256ELj13ELNS0_17block_load_methodE3ELS4_3ELS4_3ELNS0_20block_scan_algorithmE0ELj4294967295EEENS1_25partition_config_selectorILNS1_17partition_subalgoE4EjNS0_10empty_typeEbEEZZNS1_14partition_implILS8_4ELb0ES6_15HIP_vector_typeIjLj2EENS0_17counting_iteratorIjlEEPS9_SG_NS0_5tupleIJPjSI_NS0_16reverse_iteratorISI_EEEEENSH_IJSG_SG_SG_EEES9_SI_JZNS1_25segmented_radix_sort_implINS0_14default_configELb0EPK6__halfPSP_PKlPlN2at6native12_GLOBAL__N_18offset_tEEE10hipError_tPvRmT1_PNSt15iterator_traitsIS13_E10value_typeET2_T3_PNS14_IS19_E10value_typeET4_jRbjT5_S1F_jjP12ihipStream_tbEUljE_ZNSN_ISO_Lb0ESR_SS_SU_SV_SZ_EES10_S11_S12_S13_S17_S18_S19_S1C_S1D_jS1E_jS1F_S1F_jjS1H_bEUljE0_EEES10_S11_S12_S19_S1D_S1F_T6_T7_T9_mT8_S1H_bDpT10_ENKUlT_T0_E_clISt17integral_constantIbLb0EES1U_IbLb1EEEEDaS1Q_S1R_EUlS1Q_E_NS1_11comp_targetILNS1_3genE2ELNS1_11target_archE906ELNS1_3gpuE6ELNS1_3repE0EEENS1_30default_config_static_selectorELNS0_4arch9wavefront6targetE0EEEvS13_,comdat
.Lfunc_end1806:
	.size	_ZN7rocprim17ROCPRIM_400000_NS6detail17trampoline_kernelINS0_13select_configILj256ELj13ELNS0_17block_load_methodE3ELS4_3ELS4_3ELNS0_20block_scan_algorithmE0ELj4294967295EEENS1_25partition_config_selectorILNS1_17partition_subalgoE4EjNS0_10empty_typeEbEEZZNS1_14partition_implILS8_4ELb0ES6_15HIP_vector_typeIjLj2EENS0_17counting_iteratorIjlEEPS9_SG_NS0_5tupleIJPjSI_NS0_16reverse_iteratorISI_EEEEENSH_IJSG_SG_SG_EEES9_SI_JZNS1_25segmented_radix_sort_implINS0_14default_configELb0EPK6__halfPSP_PKlPlN2at6native12_GLOBAL__N_18offset_tEEE10hipError_tPvRmT1_PNSt15iterator_traitsIS13_E10value_typeET2_T3_PNS14_IS19_E10value_typeET4_jRbjT5_S1F_jjP12ihipStream_tbEUljE_ZNSN_ISO_Lb0ESR_SS_SU_SV_SZ_EES10_S11_S12_S13_S17_S18_S19_S1C_S1D_jS1E_jS1F_S1F_jjS1H_bEUljE0_EEES10_S11_S12_S19_S1D_S1F_T6_T7_T9_mT8_S1H_bDpT10_ENKUlT_T0_E_clISt17integral_constantIbLb0EES1U_IbLb1EEEEDaS1Q_S1R_EUlS1Q_E_NS1_11comp_targetILNS1_3genE2ELNS1_11target_archE906ELNS1_3gpuE6ELNS1_3repE0EEENS1_30default_config_static_selectorELNS0_4arch9wavefront6targetE0EEEvS13_, .Lfunc_end1806-_ZN7rocprim17ROCPRIM_400000_NS6detail17trampoline_kernelINS0_13select_configILj256ELj13ELNS0_17block_load_methodE3ELS4_3ELS4_3ELNS0_20block_scan_algorithmE0ELj4294967295EEENS1_25partition_config_selectorILNS1_17partition_subalgoE4EjNS0_10empty_typeEbEEZZNS1_14partition_implILS8_4ELb0ES6_15HIP_vector_typeIjLj2EENS0_17counting_iteratorIjlEEPS9_SG_NS0_5tupleIJPjSI_NS0_16reverse_iteratorISI_EEEEENSH_IJSG_SG_SG_EEES9_SI_JZNS1_25segmented_radix_sort_implINS0_14default_configELb0EPK6__halfPSP_PKlPlN2at6native12_GLOBAL__N_18offset_tEEE10hipError_tPvRmT1_PNSt15iterator_traitsIS13_E10value_typeET2_T3_PNS14_IS19_E10value_typeET4_jRbjT5_S1F_jjP12ihipStream_tbEUljE_ZNSN_ISO_Lb0ESR_SS_SU_SV_SZ_EES10_S11_S12_S13_S17_S18_S19_S1C_S1D_jS1E_jS1F_S1F_jjS1H_bEUljE0_EEES10_S11_S12_S19_S1D_S1F_T6_T7_T9_mT8_S1H_bDpT10_ENKUlT_T0_E_clISt17integral_constantIbLb0EES1U_IbLb1EEEEDaS1Q_S1R_EUlS1Q_E_NS1_11comp_targetILNS1_3genE2ELNS1_11target_archE906ELNS1_3gpuE6ELNS1_3repE0EEENS1_30default_config_static_selectorELNS0_4arch9wavefront6targetE0EEEvS13_
                                        ; -- End function
	.section	.AMDGPU.csdata,"",@progbits
; Kernel info:
; codeLenInByte = 0
; NumSgprs: 0
; NumVgprs: 0
; ScratchSize: 0
; MemoryBound: 0
; FloatMode: 240
; IeeeMode: 1
; LDSByteSize: 0 bytes/workgroup (compile time only)
; SGPRBlocks: 0
; VGPRBlocks: 0
; NumSGPRsForWavesPerEU: 1
; NumVGPRsForWavesPerEU: 1
; Occupancy: 16
; WaveLimiterHint : 0
; COMPUTE_PGM_RSRC2:SCRATCH_EN: 0
; COMPUTE_PGM_RSRC2:USER_SGPR: 15
; COMPUTE_PGM_RSRC2:TRAP_HANDLER: 0
; COMPUTE_PGM_RSRC2:TGID_X_EN: 1
; COMPUTE_PGM_RSRC2:TGID_Y_EN: 0
; COMPUTE_PGM_RSRC2:TGID_Z_EN: 0
; COMPUTE_PGM_RSRC2:TIDIG_COMP_CNT: 0
	.section	.text._ZN7rocprim17ROCPRIM_400000_NS6detail17trampoline_kernelINS0_13select_configILj256ELj13ELNS0_17block_load_methodE3ELS4_3ELS4_3ELNS0_20block_scan_algorithmE0ELj4294967295EEENS1_25partition_config_selectorILNS1_17partition_subalgoE4EjNS0_10empty_typeEbEEZZNS1_14partition_implILS8_4ELb0ES6_15HIP_vector_typeIjLj2EENS0_17counting_iteratorIjlEEPS9_SG_NS0_5tupleIJPjSI_NS0_16reverse_iteratorISI_EEEEENSH_IJSG_SG_SG_EEES9_SI_JZNS1_25segmented_radix_sort_implINS0_14default_configELb0EPK6__halfPSP_PKlPlN2at6native12_GLOBAL__N_18offset_tEEE10hipError_tPvRmT1_PNSt15iterator_traitsIS13_E10value_typeET2_T3_PNS14_IS19_E10value_typeET4_jRbjT5_S1F_jjP12ihipStream_tbEUljE_ZNSN_ISO_Lb0ESR_SS_SU_SV_SZ_EES10_S11_S12_S13_S17_S18_S19_S1C_S1D_jS1E_jS1F_S1F_jjS1H_bEUljE0_EEES10_S11_S12_S19_S1D_S1F_T6_T7_T9_mT8_S1H_bDpT10_ENKUlT_T0_E_clISt17integral_constantIbLb0EES1U_IbLb1EEEEDaS1Q_S1R_EUlS1Q_E_NS1_11comp_targetILNS1_3genE10ELNS1_11target_archE1200ELNS1_3gpuE4ELNS1_3repE0EEENS1_30default_config_static_selectorELNS0_4arch9wavefront6targetE0EEEvS13_,"axG",@progbits,_ZN7rocprim17ROCPRIM_400000_NS6detail17trampoline_kernelINS0_13select_configILj256ELj13ELNS0_17block_load_methodE3ELS4_3ELS4_3ELNS0_20block_scan_algorithmE0ELj4294967295EEENS1_25partition_config_selectorILNS1_17partition_subalgoE4EjNS0_10empty_typeEbEEZZNS1_14partition_implILS8_4ELb0ES6_15HIP_vector_typeIjLj2EENS0_17counting_iteratorIjlEEPS9_SG_NS0_5tupleIJPjSI_NS0_16reverse_iteratorISI_EEEEENSH_IJSG_SG_SG_EEES9_SI_JZNS1_25segmented_radix_sort_implINS0_14default_configELb0EPK6__halfPSP_PKlPlN2at6native12_GLOBAL__N_18offset_tEEE10hipError_tPvRmT1_PNSt15iterator_traitsIS13_E10value_typeET2_T3_PNS14_IS19_E10value_typeET4_jRbjT5_S1F_jjP12ihipStream_tbEUljE_ZNSN_ISO_Lb0ESR_SS_SU_SV_SZ_EES10_S11_S12_S13_S17_S18_S19_S1C_S1D_jS1E_jS1F_S1F_jjS1H_bEUljE0_EEES10_S11_S12_S19_S1D_S1F_T6_T7_T9_mT8_S1H_bDpT10_ENKUlT_T0_E_clISt17integral_constantIbLb0EES1U_IbLb1EEEEDaS1Q_S1R_EUlS1Q_E_NS1_11comp_targetILNS1_3genE10ELNS1_11target_archE1200ELNS1_3gpuE4ELNS1_3repE0EEENS1_30default_config_static_selectorELNS0_4arch9wavefront6targetE0EEEvS13_,comdat
	.globl	_ZN7rocprim17ROCPRIM_400000_NS6detail17trampoline_kernelINS0_13select_configILj256ELj13ELNS0_17block_load_methodE3ELS4_3ELS4_3ELNS0_20block_scan_algorithmE0ELj4294967295EEENS1_25partition_config_selectorILNS1_17partition_subalgoE4EjNS0_10empty_typeEbEEZZNS1_14partition_implILS8_4ELb0ES6_15HIP_vector_typeIjLj2EENS0_17counting_iteratorIjlEEPS9_SG_NS0_5tupleIJPjSI_NS0_16reverse_iteratorISI_EEEEENSH_IJSG_SG_SG_EEES9_SI_JZNS1_25segmented_radix_sort_implINS0_14default_configELb0EPK6__halfPSP_PKlPlN2at6native12_GLOBAL__N_18offset_tEEE10hipError_tPvRmT1_PNSt15iterator_traitsIS13_E10value_typeET2_T3_PNS14_IS19_E10value_typeET4_jRbjT5_S1F_jjP12ihipStream_tbEUljE_ZNSN_ISO_Lb0ESR_SS_SU_SV_SZ_EES10_S11_S12_S13_S17_S18_S19_S1C_S1D_jS1E_jS1F_S1F_jjS1H_bEUljE0_EEES10_S11_S12_S19_S1D_S1F_T6_T7_T9_mT8_S1H_bDpT10_ENKUlT_T0_E_clISt17integral_constantIbLb0EES1U_IbLb1EEEEDaS1Q_S1R_EUlS1Q_E_NS1_11comp_targetILNS1_3genE10ELNS1_11target_archE1200ELNS1_3gpuE4ELNS1_3repE0EEENS1_30default_config_static_selectorELNS0_4arch9wavefront6targetE0EEEvS13_ ; -- Begin function _ZN7rocprim17ROCPRIM_400000_NS6detail17trampoline_kernelINS0_13select_configILj256ELj13ELNS0_17block_load_methodE3ELS4_3ELS4_3ELNS0_20block_scan_algorithmE0ELj4294967295EEENS1_25partition_config_selectorILNS1_17partition_subalgoE4EjNS0_10empty_typeEbEEZZNS1_14partition_implILS8_4ELb0ES6_15HIP_vector_typeIjLj2EENS0_17counting_iteratorIjlEEPS9_SG_NS0_5tupleIJPjSI_NS0_16reverse_iteratorISI_EEEEENSH_IJSG_SG_SG_EEES9_SI_JZNS1_25segmented_radix_sort_implINS0_14default_configELb0EPK6__halfPSP_PKlPlN2at6native12_GLOBAL__N_18offset_tEEE10hipError_tPvRmT1_PNSt15iterator_traitsIS13_E10value_typeET2_T3_PNS14_IS19_E10value_typeET4_jRbjT5_S1F_jjP12ihipStream_tbEUljE_ZNSN_ISO_Lb0ESR_SS_SU_SV_SZ_EES10_S11_S12_S13_S17_S18_S19_S1C_S1D_jS1E_jS1F_S1F_jjS1H_bEUljE0_EEES10_S11_S12_S19_S1D_S1F_T6_T7_T9_mT8_S1H_bDpT10_ENKUlT_T0_E_clISt17integral_constantIbLb0EES1U_IbLb1EEEEDaS1Q_S1R_EUlS1Q_E_NS1_11comp_targetILNS1_3genE10ELNS1_11target_archE1200ELNS1_3gpuE4ELNS1_3repE0EEENS1_30default_config_static_selectorELNS0_4arch9wavefront6targetE0EEEvS13_
	.p2align	8
	.type	_ZN7rocprim17ROCPRIM_400000_NS6detail17trampoline_kernelINS0_13select_configILj256ELj13ELNS0_17block_load_methodE3ELS4_3ELS4_3ELNS0_20block_scan_algorithmE0ELj4294967295EEENS1_25partition_config_selectorILNS1_17partition_subalgoE4EjNS0_10empty_typeEbEEZZNS1_14partition_implILS8_4ELb0ES6_15HIP_vector_typeIjLj2EENS0_17counting_iteratorIjlEEPS9_SG_NS0_5tupleIJPjSI_NS0_16reverse_iteratorISI_EEEEENSH_IJSG_SG_SG_EEES9_SI_JZNS1_25segmented_radix_sort_implINS0_14default_configELb0EPK6__halfPSP_PKlPlN2at6native12_GLOBAL__N_18offset_tEEE10hipError_tPvRmT1_PNSt15iterator_traitsIS13_E10value_typeET2_T3_PNS14_IS19_E10value_typeET4_jRbjT5_S1F_jjP12ihipStream_tbEUljE_ZNSN_ISO_Lb0ESR_SS_SU_SV_SZ_EES10_S11_S12_S13_S17_S18_S19_S1C_S1D_jS1E_jS1F_S1F_jjS1H_bEUljE0_EEES10_S11_S12_S19_S1D_S1F_T6_T7_T9_mT8_S1H_bDpT10_ENKUlT_T0_E_clISt17integral_constantIbLb0EES1U_IbLb1EEEEDaS1Q_S1R_EUlS1Q_E_NS1_11comp_targetILNS1_3genE10ELNS1_11target_archE1200ELNS1_3gpuE4ELNS1_3repE0EEENS1_30default_config_static_selectorELNS0_4arch9wavefront6targetE0EEEvS13_,@function
_ZN7rocprim17ROCPRIM_400000_NS6detail17trampoline_kernelINS0_13select_configILj256ELj13ELNS0_17block_load_methodE3ELS4_3ELS4_3ELNS0_20block_scan_algorithmE0ELj4294967295EEENS1_25partition_config_selectorILNS1_17partition_subalgoE4EjNS0_10empty_typeEbEEZZNS1_14partition_implILS8_4ELb0ES6_15HIP_vector_typeIjLj2EENS0_17counting_iteratorIjlEEPS9_SG_NS0_5tupleIJPjSI_NS0_16reverse_iteratorISI_EEEEENSH_IJSG_SG_SG_EEES9_SI_JZNS1_25segmented_radix_sort_implINS0_14default_configELb0EPK6__halfPSP_PKlPlN2at6native12_GLOBAL__N_18offset_tEEE10hipError_tPvRmT1_PNSt15iterator_traitsIS13_E10value_typeET2_T3_PNS14_IS19_E10value_typeET4_jRbjT5_S1F_jjP12ihipStream_tbEUljE_ZNSN_ISO_Lb0ESR_SS_SU_SV_SZ_EES10_S11_S12_S13_S17_S18_S19_S1C_S1D_jS1E_jS1F_S1F_jjS1H_bEUljE0_EEES10_S11_S12_S19_S1D_S1F_T6_T7_T9_mT8_S1H_bDpT10_ENKUlT_T0_E_clISt17integral_constantIbLb0EES1U_IbLb1EEEEDaS1Q_S1R_EUlS1Q_E_NS1_11comp_targetILNS1_3genE10ELNS1_11target_archE1200ELNS1_3gpuE4ELNS1_3repE0EEENS1_30default_config_static_selectorELNS0_4arch9wavefront6targetE0EEEvS13_: ; @_ZN7rocprim17ROCPRIM_400000_NS6detail17trampoline_kernelINS0_13select_configILj256ELj13ELNS0_17block_load_methodE3ELS4_3ELS4_3ELNS0_20block_scan_algorithmE0ELj4294967295EEENS1_25partition_config_selectorILNS1_17partition_subalgoE4EjNS0_10empty_typeEbEEZZNS1_14partition_implILS8_4ELb0ES6_15HIP_vector_typeIjLj2EENS0_17counting_iteratorIjlEEPS9_SG_NS0_5tupleIJPjSI_NS0_16reverse_iteratorISI_EEEEENSH_IJSG_SG_SG_EEES9_SI_JZNS1_25segmented_radix_sort_implINS0_14default_configELb0EPK6__halfPSP_PKlPlN2at6native12_GLOBAL__N_18offset_tEEE10hipError_tPvRmT1_PNSt15iterator_traitsIS13_E10value_typeET2_T3_PNS14_IS19_E10value_typeET4_jRbjT5_S1F_jjP12ihipStream_tbEUljE_ZNSN_ISO_Lb0ESR_SS_SU_SV_SZ_EES10_S11_S12_S13_S17_S18_S19_S1C_S1D_jS1E_jS1F_S1F_jjS1H_bEUljE0_EEES10_S11_S12_S19_S1D_S1F_T6_T7_T9_mT8_S1H_bDpT10_ENKUlT_T0_E_clISt17integral_constantIbLb0EES1U_IbLb1EEEEDaS1Q_S1R_EUlS1Q_E_NS1_11comp_targetILNS1_3genE10ELNS1_11target_archE1200ELNS1_3gpuE4ELNS1_3repE0EEENS1_30default_config_static_selectorELNS0_4arch9wavefront6targetE0EEEvS13_
; %bb.0:
	.section	.rodata,"a",@progbits
	.p2align	6, 0x0
	.amdhsa_kernel _ZN7rocprim17ROCPRIM_400000_NS6detail17trampoline_kernelINS0_13select_configILj256ELj13ELNS0_17block_load_methodE3ELS4_3ELS4_3ELNS0_20block_scan_algorithmE0ELj4294967295EEENS1_25partition_config_selectorILNS1_17partition_subalgoE4EjNS0_10empty_typeEbEEZZNS1_14partition_implILS8_4ELb0ES6_15HIP_vector_typeIjLj2EENS0_17counting_iteratorIjlEEPS9_SG_NS0_5tupleIJPjSI_NS0_16reverse_iteratorISI_EEEEENSH_IJSG_SG_SG_EEES9_SI_JZNS1_25segmented_radix_sort_implINS0_14default_configELb0EPK6__halfPSP_PKlPlN2at6native12_GLOBAL__N_18offset_tEEE10hipError_tPvRmT1_PNSt15iterator_traitsIS13_E10value_typeET2_T3_PNS14_IS19_E10value_typeET4_jRbjT5_S1F_jjP12ihipStream_tbEUljE_ZNSN_ISO_Lb0ESR_SS_SU_SV_SZ_EES10_S11_S12_S13_S17_S18_S19_S1C_S1D_jS1E_jS1F_S1F_jjS1H_bEUljE0_EEES10_S11_S12_S19_S1D_S1F_T6_T7_T9_mT8_S1H_bDpT10_ENKUlT_T0_E_clISt17integral_constantIbLb0EES1U_IbLb1EEEEDaS1Q_S1R_EUlS1Q_E_NS1_11comp_targetILNS1_3genE10ELNS1_11target_archE1200ELNS1_3gpuE4ELNS1_3repE0EEENS1_30default_config_static_selectorELNS0_4arch9wavefront6targetE0EEEvS13_
		.amdhsa_group_segment_fixed_size 0
		.amdhsa_private_segment_fixed_size 0
		.amdhsa_kernarg_size 184
		.amdhsa_user_sgpr_count 15
		.amdhsa_user_sgpr_dispatch_ptr 0
		.amdhsa_user_sgpr_queue_ptr 0
		.amdhsa_user_sgpr_kernarg_segment_ptr 1
		.amdhsa_user_sgpr_dispatch_id 0
		.amdhsa_user_sgpr_private_segment_size 0
		.amdhsa_wavefront_size32 1
		.amdhsa_uses_dynamic_stack 0
		.amdhsa_enable_private_segment 0
		.amdhsa_system_sgpr_workgroup_id_x 1
		.amdhsa_system_sgpr_workgroup_id_y 0
		.amdhsa_system_sgpr_workgroup_id_z 0
		.amdhsa_system_sgpr_workgroup_info 0
		.amdhsa_system_vgpr_workitem_id 0
		.amdhsa_next_free_vgpr 1
		.amdhsa_next_free_sgpr 1
		.amdhsa_reserve_vcc 0
		.amdhsa_float_round_mode_32 0
		.amdhsa_float_round_mode_16_64 0
		.amdhsa_float_denorm_mode_32 3
		.amdhsa_float_denorm_mode_16_64 3
		.amdhsa_dx10_clamp 1
		.amdhsa_ieee_mode 1
		.amdhsa_fp16_overflow 0
		.amdhsa_workgroup_processor_mode 1
		.amdhsa_memory_ordered 1
		.amdhsa_forward_progress 0
		.amdhsa_shared_vgpr_count 0
		.amdhsa_exception_fp_ieee_invalid_op 0
		.amdhsa_exception_fp_denorm_src 0
		.amdhsa_exception_fp_ieee_div_zero 0
		.amdhsa_exception_fp_ieee_overflow 0
		.amdhsa_exception_fp_ieee_underflow 0
		.amdhsa_exception_fp_ieee_inexact 0
		.amdhsa_exception_int_div_zero 0
	.end_amdhsa_kernel
	.section	.text._ZN7rocprim17ROCPRIM_400000_NS6detail17trampoline_kernelINS0_13select_configILj256ELj13ELNS0_17block_load_methodE3ELS4_3ELS4_3ELNS0_20block_scan_algorithmE0ELj4294967295EEENS1_25partition_config_selectorILNS1_17partition_subalgoE4EjNS0_10empty_typeEbEEZZNS1_14partition_implILS8_4ELb0ES6_15HIP_vector_typeIjLj2EENS0_17counting_iteratorIjlEEPS9_SG_NS0_5tupleIJPjSI_NS0_16reverse_iteratorISI_EEEEENSH_IJSG_SG_SG_EEES9_SI_JZNS1_25segmented_radix_sort_implINS0_14default_configELb0EPK6__halfPSP_PKlPlN2at6native12_GLOBAL__N_18offset_tEEE10hipError_tPvRmT1_PNSt15iterator_traitsIS13_E10value_typeET2_T3_PNS14_IS19_E10value_typeET4_jRbjT5_S1F_jjP12ihipStream_tbEUljE_ZNSN_ISO_Lb0ESR_SS_SU_SV_SZ_EES10_S11_S12_S13_S17_S18_S19_S1C_S1D_jS1E_jS1F_S1F_jjS1H_bEUljE0_EEES10_S11_S12_S19_S1D_S1F_T6_T7_T9_mT8_S1H_bDpT10_ENKUlT_T0_E_clISt17integral_constantIbLb0EES1U_IbLb1EEEEDaS1Q_S1R_EUlS1Q_E_NS1_11comp_targetILNS1_3genE10ELNS1_11target_archE1200ELNS1_3gpuE4ELNS1_3repE0EEENS1_30default_config_static_selectorELNS0_4arch9wavefront6targetE0EEEvS13_,"axG",@progbits,_ZN7rocprim17ROCPRIM_400000_NS6detail17trampoline_kernelINS0_13select_configILj256ELj13ELNS0_17block_load_methodE3ELS4_3ELS4_3ELNS0_20block_scan_algorithmE0ELj4294967295EEENS1_25partition_config_selectorILNS1_17partition_subalgoE4EjNS0_10empty_typeEbEEZZNS1_14partition_implILS8_4ELb0ES6_15HIP_vector_typeIjLj2EENS0_17counting_iteratorIjlEEPS9_SG_NS0_5tupleIJPjSI_NS0_16reverse_iteratorISI_EEEEENSH_IJSG_SG_SG_EEES9_SI_JZNS1_25segmented_radix_sort_implINS0_14default_configELb0EPK6__halfPSP_PKlPlN2at6native12_GLOBAL__N_18offset_tEEE10hipError_tPvRmT1_PNSt15iterator_traitsIS13_E10value_typeET2_T3_PNS14_IS19_E10value_typeET4_jRbjT5_S1F_jjP12ihipStream_tbEUljE_ZNSN_ISO_Lb0ESR_SS_SU_SV_SZ_EES10_S11_S12_S13_S17_S18_S19_S1C_S1D_jS1E_jS1F_S1F_jjS1H_bEUljE0_EEES10_S11_S12_S19_S1D_S1F_T6_T7_T9_mT8_S1H_bDpT10_ENKUlT_T0_E_clISt17integral_constantIbLb0EES1U_IbLb1EEEEDaS1Q_S1R_EUlS1Q_E_NS1_11comp_targetILNS1_3genE10ELNS1_11target_archE1200ELNS1_3gpuE4ELNS1_3repE0EEENS1_30default_config_static_selectorELNS0_4arch9wavefront6targetE0EEEvS13_,comdat
.Lfunc_end1807:
	.size	_ZN7rocprim17ROCPRIM_400000_NS6detail17trampoline_kernelINS0_13select_configILj256ELj13ELNS0_17block_load_methodE3ELS4_3ELS4_3ELNS0_20block_scan_algorithmE0ELj4294967295EEENS1_25partition_config_selectorILNS1_17partition_subalgoE4EjNS0_10empty_typeEbEEZZNS1_14partition_implILS8_4ELb0ES6_15HIP_vector_typeIjLj2EENS0_17counting_iteratorIjlEEPS9_SG_NS0_5tupleIJPjSI_NS0_16reverse_iteratorISI_EEEEENSH_IJSG_SG_SG_EEES9_SI_JZNS1_25segmented_radix_sort_implINS0_14default_configELb0EPK6__halfPSP_PKlPlN2at6native12_GLOBAL__N_18offset_tEEE10hipError_tPvRmT1_PNSt15iterator_traitsIS13_E10value_typeET2_T3_PNS14_IS19_E10value_typeET4_jRbjT5_S1F_jjP12ihipStream_tbEUljE_ZNSN_ISO_Lb0ESR_SS_SU_SV_SZ_EES10_S11_S12_S13_S17_S18_S19_S1C_S1D_jS1E_jS1F_S1F_jjS1H_bEUljE0_EEES10_S11_S12_S19_S1D_S1F_T6_T7_T9_mT8_S1H_bDpT10_ENKUlT_T0_E_clISt17integral_constantIbLb0EES1U_IbLb1EEEEDaS1Q_S1R_EUlS1Q_E_NS1_11comp_targetILNS1_3genE10ELNS1_11target_archE1200ELNS1_3gpuE4ELNS1_3repE0EEENS1_30default_config_static_selectorELNS0_4arch9wavefront6targetE0EEEvS13_, .Lfunc_end1807-_ZN7rocprim17ROCPRIM_400000_NS6detail17trampoline_kernelINS0_13select_configILj256ELj13ELNS0_17block_load_methodE3ELS4_3ELS4_3ELNS0_20block_scan_algorithmE0ELj4294967295EEENS1_25partition_config_selectorILNS1_17partition_subalgoE4EjNS0_10empty_typeEbEEZZNS1_14partition_implILS8_4ELb0ES6_15HIP_vector_typeIjLj2EENS0_17counting_iteratorIjlEEPS9_SG_NS0_5tupleIJPjSI_NS0_16reverse_iteratorISI_EEEEENSH_IJSG_SG_SG_EEES9_SI_JZNS1_25segmented_radix_sort_implINS0_14default_configELb0EPK6__halfPSP_PKlPlN2at6native12_GLOBAL__N_18offset_tEEE10hipError_tPvRmT1_PNSt15iterator_traitsIS13_E10value_typeET2_T3_PNS14_IS19_E10value_typeET4_jRbjT5_S1F_jjP12ihipStream_tbEUljE_ZNSN_ISO_Lb0ESR_SS_SU_SV_SZ_EES10_S11_S12_S13_S17_S18_S19_S1C_S1D_jS1E_jS1F_S1F_jjS1H_bEUljE0_EEES10_S11_S12_S19_S1D_S1F_T6_T7_T9_mT8_S1H_bDpT10_ENKUlT_T0_E_clISt17integral_constantIbLb0EES1U_IbLb1EEEEDaS1Q_S1R_EUlS1Q_E_NS1_11comp_targetILNS1_3genE10ELNS1_11target_archE1200ELNS1_3gpuE4ELNS1_3repE0EEENS1_30default_config_static_selectorELNS0_4arch9wavefront6targetE0EEEvS13_
                                        ; -- End function
	.section	.AMDGPU.csdata,"",@progbits
; Kernel info:
; codeLenInByte = 0
; NumSgprs: 0
; NumVgprs: 0
; ScratchSize: 0
; MemoryBound: 0
; FloatMode: 240
; IeeeMode: 1
; LDSByteSize: 0 bytes/workgroup (compile time only)
; SGPRBlocks: 0
; VGPRBlocks: 0
; NumSGPRsForWavesPerEU: 1
; NumVGPRsForWavesPerEU: 1
; Occupancy: 16
; WaveLimiterHint : 0
; COMPUTE_PGM_RSRC2:SCRATCH_EN: 0
; COMPUTE_PGM_RSRC2:USER_SGPR: 15
; COMPUTE_PGM_RSRC2:TRAP_HANDLER: 0
; COMPUTE_PGM_RSRC2:TGID_X_EN: 1
; COMPUTE_PGM_RSRC2:TGID_Y_EN: 0
; COMPUTE_PGM_RSRC2:TGID_Z_EN: 0
; COMPUTE_PGM_RSRC2:TIDIG_COMP_CNT: 0
	.section	.text._ZN7rocprim17ROCPRIM_400000_NS6detail17trampoline_kernelINS0_13select_configILj256ELj13ELNS0_17block_load_methodE3ELS4_3ELS4_3ELNS0_20block_scan_algorithmE0ELj4294967295EEENS1_25partition_config_selectorILNS1_17partition_subalgoE4EjNS0_10empty_typeEbEEZZNS1_14partition_implILS8_4ELb0ES6_15HIP_vector_typeIjLj2EENS0_17counting_iteratorIjlEEPS9_SG_NS0_5tupleIJPjSI_NS0_16reverse_iteratorISI_EEEEENSH_IJSG_SG_SG_EEES9_SI_JZNS1_25segmented_radix_sort_implINS0_14default_configELb0EPK6__halfPSP_PKlPlN2at6native12_GLOBAL__N_18offset_tEEE10hipError_tPvRmT1_PNSt15iterator_traitsIS13_E10value_typeET2_T3_PNS14_IS19_E10value_typeET4_jRbjT5_S1F_jjP12ihipStream_tbEUljE_ZNSN_ISO_Lb0ESR_SS_SU_SV_SZ_EES10_S11_S12_S13_S17_S18_S19_S1C_S1D_jS1E_jS1F_S1F_jjS1H_bEUljE0_EEES10_S11_S12_S19_S1D_S1F_T6_T7_T9_mT8_S1H_bDpT10_ENKUlT_T0_E_clISt17integral_constantIbLb0EES1U_IbLb1EEEEDaS1Q_S1R_EUlS1Q_E_NS1_11comp_targetILNS1_3genE9ELNS1_11target_archE1100ELNS1_3gpuE3ELNS1_3repE0EEENS1_30default_config_static_selectorELNS0_4arch9wavefront6targetE0EEEvS13_,"axG",@progbits,_ZN7rocprim17ROCPRIM_400000_NS6detail17trampoline_kernelINS0_13select_configILj256ELj13ELNS0_17block_load_methodE3ELS4_3ELS4_3ELNS0_20block_scan_algorithmE0ELj4294967295EEENS1_25partition_config_selectorILNS1_17partition_subalgoE4EjNS0_10empty_typeEbEEZZNS1_14partition_implILS8_4ELb0ES6_15HIP_vector_typeIjLj2EENS0_17counting_iteratorIjlEEPS9_SG_NS0_5tupleIJPjSI_NS0_16reverse_iteratorISI_EEEEENSH_IJSG_SG_SG_EEES9_SI_JZNS1_25segmented_radix_sort_implINS0_14default_configELb0EPK6__halfPSP_PKlPlN2at6native12_GLOBAL__N_18offset_tEEE10hipError_tPvRmT1_PNSt15iterator_traitsIS13_E10value_typeET2_T3_PNS14_IS19_E10value_typeET4_jRbjT5_S1F_jjP12ihipStream_tbEUljE_ZNSN_ISO_Lb0ESR_SS_SU_SV_SZ_EES10_S11_S12_S13_S17_S18_S19_S1C_S1D_jS1E_jS1F_S1F_jjS1H_bEUljE0_EEES10_S11_S12_S19_S1D_S1F_T6_T7_T9_mT8_S1H_bDpT10_ENKUlT_T0_E_clISt17integral_constantIbLb0EES1U_IbLb1EEEEDaS1Q_S1R_EUlS1Q_E_NS1_11comp_targetILNS1_3genE9ELNS1_11target_archE1100ELNS1_3gpuE3ELNS1_3repE0EEENS1_30default_config_static_selectorELNS0_4arch9wavefront6targetE0EEEvS13_,comdat
	.globl	_ZN7rocprim17ROCPRIM_400000_NS6detail17trampoline_kernelINS0_13select_configILj256ELj13ELNS0_17block_load_methodE3ELS4_3ELS4_3ELNS0_20block_scan_algorithmE0ELj4294967295EEENS1_25partition_config_selectorILNS1_17partition_subalgoE4EjNS0_10empty_typeEbEEZZNS1_14partition_implILS8_4ELb0ES6_15HIP_vector_typeIjLj2EENS0_17counting_iteratorIjlEEPS9_SG_NS0_5tupleIJPjSI_NS0_16reverse_iteratorISI_EEEEENSH_IJSG_SG_SG_EEES9_SI_JZNS1_25segmented_radix_sort_implINS0_14default_configELb0EPK6__halfPSP_PKlPlN2at6native12_GLOBAL__N_18offset_tEEE10hipError_tPvRmT1_PNSt15iterator_traitsIS13_E10value_typeET2_T3_PNS14_IS19_E10value_typeET4_jRbjT5_S1F_jjP12ihipStream_tbEUljE_ZNSN_ISO_Lb0ESR_SS_SU_SV_SZ_EES10_S11_S12_S13_S17_S18_S19_S1C_S1D_jS1E_jS1F_S1F_jjS1H_bEUljE0_EEES10_S11_S12_S19_S1D_S1F_T6_T7_T9_mT8_S1H_bDpT10_ENKUlT_T0_E_clISt17integral_constantIbLb0EES1U_IbLb1EEEEDaS1Q_S1R_EUlS1Q_E_NS1_11comp_targetILNS1_3genE9ELNS1_11target_archE1100ELNS1_3gpuE3ELNS1_3repE0EEENS1_30default_config_static_selectorELNS0_4arch9wavefront6targetE0EEEvS13_ ; -- Begin function _ZN7rocprim17ROCPRIM_400000_NS6detail17trampoline_kernelINS0_13select_configILj256ELj13ELNS0_17block_load_methodE3ELS4_3ELS4_3ELNS0_20block_scan_algorithmE0ELj4294967295EEENS1_25partition_config_selectorILNS1_17partition_subalgoE4EjNS0_10empty_typeEbEEZZNS1_14partition_implILS8_4ELb0ES6_15HIP_vector_typeIjLj2EENS0_17counting_iteratorIjlEEPS9_SG_NS0_5tupleIJPjSI_NS0_16reverse_iteratorISI_EEEEENSH_IJSG_SG_SG_EEES9_SI_JZNS1_25segmented_radix_sort_implINS0_14default_configELb0EPK6__halfPSP_PKlPlN2at6native12_GLOBAL__N_18offset_tEEE10hipError_tPvRmT1_PNSt15iterator_traitsIS13_E10value_typeET2_T3_PNS14_IS19_E10value_typeET4_jRbjT5_S1F_jjP12ihipStream_tbEUljE_ZNSN_ISO_Lb0ESR_SS_SU_SV_SZ_EES10_S11_S12_S13_S17_S18_S19_S1C_S1D_jS1E_jS1F_S1F_jjS1H_bEUljE0_EEES10_S11_S12_S19_S1D_S1F_T6_T7_T9_mT8_S1H_bDpT10_ENKUlT_T0_E_clISt17integral_constantIbLb0EES1U_IbLb1EEEEDaS1Q_S1R_EUlS1Q_E_NS1_11comp_targetILNS1_3genE9ELNS1_11target_archE1100ELNS1_3gpuE3ELNS1_3repE0EEENS1_30default_config_static_selectorELNS0_4arch9wavefront6targetE0EEEvS13_
	.p2align	8
	.type	_ZN7rocprim17ROCPRIM_400000_NS6detail17trampoline_kernelINS0_13select_configILj256ELj13ELNS0_17block_load_methodE3ELS4_3ELS4_3ELNS0_20block_scan_algorithmE0ELj4294967295EEENS1_25partition_config_selectorILNS1_17partition_subalgoE4EjNS0_10empty_typeEbEEZZNS1_14partition_implILS8_4ELb0ES6_15HIP_vector_typeIjLj2EENS0_17counting_iteratorIjlEEPS9_SG_NS0_5tupleIJPjSI_NS0_16reverse_iteratorISI_EEEEENSH_IJSG_SG_SG_EEES9_SI_JZNS1_25segmented_radix_sort_implINS0_14default_configELb0EPK6__halfPSP_PKlPlN2at6native12_GLOBAL__N_18offset_tEEE10hipError_tPvRmT1_PNSt15iterator_traitsIS13_E10value_typeET2_T3_PNS14_IS19_E10value_typeET4_jRbjT5_S1F_jjP12ihipStream_tbEUljE_ZNSN_ISO_Lb0ESR_SS_SU_SV_SZ_EES10_S11_S12_S13_S17_S18_S19_S1C_S1D_jS1E_jS1F_S1F_jjS1H_bEUljE0_EEES10_S11_S12_S19_S1D_S1F_T6_T7_T9_mT8_S1H_bDpT10_ENKUlT_T0_E_clISt17integral_constantIbLb0EES1U_IbLb1EEEEDaS1Q_S1R_EUlS1Q_E_NS1_11comp_targetILNS1_3genE9ELNS1_11target_archE1100ELNS1_3gpuE3ELNS1_3repE0EEENS1_30default_config_static_selectorELNS0_4arch9wavefront6targetE0EEEvS13_,@function
_ZN7rocprim17ROCPRIM_400000_NS6detail17trampoline_kernelINS0_13select_configILj256ELj13ELNS0_17block_load_methodE3ELS4_3ELS4_3ELNS0_20block_scan_algorithmE0ELj4294967295EEENS1_25partition_config_selectorILNS1_17partition_subalgoE4EjNS0_10empty_typeEbEEZZNS1_14partition_implILS8_4ELb0ES6_15HIP_vector_typeIjLj2EENS0_17counting_iteratorIjlEEPS9_SG_NS0_5tupleIJPjSI_NS0_16reverse_iteratorISI_EEEEENSH_IJSG_SG_SG_EEES9_SI_JZNS1_25segmented_radix_sort_implINS0_14default_configELb0EPK6__halfPSP_PKlPlN2at6native12_GLOBAL__N_18offset_tEEE10hipError_tPvRmT1_PNSt15iterator_traitsIS13_E10value_typeET2_T3_PNS14_IS19_E10value_typeET4_jRbjT5_S1F_jjP12ihipStream_tbEUljE_ZNSN_ISO_Lb0ESR_SS_SU_SV_SZ_EES10_S11_S12_S13_S17_S18_S19_S1C_S1D_jS1E_jS1F_S1F_jjS1H_bEUljE0_EEES10_S11_S12_S19_S1D_S1F_T6_T7_T9_mT8_S1H_bDpT10_ENKUlT_T0_E_clISt17integral_constantIbLb0EES1U_IbLb1EEEEDaS1Q_S1R_EUlS1Q_E_NS1_11comp_targetILNS1_3genE9ELNS1_11target_archE1100ELNS1_3gpuE3ELNS1_3repE0EEENS1_30default_config_static_selectorELNS0_4arch9wavefront6targetE0EEEvS13_: ; @_ZN7rocprim17ROCPRIM_400000_NS6detail17trampoline_kernelINS0_13select_configILj256ELj13ELNS0_17block_load_methodE3ELS4_3ELS4_3ELNS0_20block_scan_algorithmE0ELj4294967295EEENS1_25partition_config_selectorILNS1_17partition_subalgoE4EjNS0_10empty_typeEbEEZZNS1_14partition_implILS8_4ELb0ES6_15HIP_vector_typeIjLj2EENS0_17counting_iteratorIjlEEPS9_SG_NS0_5tupleIJPjSI_NS0_16reverse_iteratorISI_EEEEENSH_IJSG_SG_SG_EEES9_SI_JZNS1_25segmented_radix_sort_implINS0_14default_configELb0EPK6__halfPSP_PKlPlN2at6native12_GLOBAL__N_18offset_tEEE10hipError_tPvRmT1_PNSt15iterator_traitsIS13_E10value_typeET2_T3_PNS14_IS19_E10value_typeET4_jRbjT5_S1F_jjP12ihipStream_tbEUljE_ZNSN_ISO_Lb0ESR_SS_SU_SV_SZ_EES10_S11_S12_S13_S17_S18_S19_S1C_S1D_jS1E_jS1F_S1F_jjS1H_bEUljE0_EEES10_S11_S12_S19_S1D_S1F_T6_T7_T9_mT8_S1H_bDpT10_ENKUlT_T0_E_clISt17integral_constantIbLb0EES1U_IbLb1EEEEDaS1Q_S1R_EUlS1Q_E_NS1_11comp_targetILNS1_3genE9ELNS1_11target_archE1100ELNS1_3gpuE3ELNS1_3repE0EEENS1_30default_config_static_selectorELNS0_4arch9wavefront6targetE0EEEvS13_
; %bb.0:
	s_clause 0x7
	s_load_b64 s[34:35], s[0:1], 0x10
	s_load_b128 s[28:31], s[0:1], 0x28
	s_load_b64 s[14:15], s[0:1], 0x38
	s_load_b128 s[24:27], s[0:1], 0x58
	s_load_b64 s[4:5], s[0:1], 0x68
	s_load_b64 s[36:37], s[0:1], 0x78
	s_load_b64 s[38:39], s[0:1], 0xb0
	s_load_b256 s[16:23], s[0:1], 0x90
	v_cmp_eq_u32_e64 s2, 0, v0
	s_delay_alu instid0(VALU_DEP_1)
	s_and_saveexec_b32 s3, s2
	s_cbranch_execz .LBB1808_4
; %bb.1:
	s_mov_b32 s7, exec_lo
	s_mov_b32 s6, exec_lo
	v_mbcnt_lo_u32_b32 v1, s7, 0
                                        ; implicit-def: $vgpr2
	s_delay_alu instid0(VALU_DEP_1)
	v_cmpx_eq_u32_e32 0, v1
	s_cbranch_execz .LBB1808_3
; %bb.2:
	s_load_b64 s[8:9], s[0:1], 0x88
	s_bcnt1_i32_b32 s7, s7
	s_delay_alu instid0(SALU_CYCLE_1)
	v_dual_mov_b32 v2, 0 :: v_dual_mov_b32 v3, s7
	s_waitcnt lgkmcnt(0)
	global_atomic_add_u32 v2, v2, v3, s[8:9] glc
.LBB1808_3:
	s_or_b32 exec_lo, exec_lo, s6
	s_waitcnt vmcnt(0)
	v_readfirstlane_b32 s6, v2
	s_delay_alu instid0(VALU_DEP_1)
	v_dual_mov_b32 v2, 0 :: v_dual_add_nc_u32 v1, s6, v1
	ds_store_b32 v2, v1
.LBB1808_4:
	s_or_b32 exec_lo, exec_lo, s3
	v_mov_b32_e32 v1, 0
	s_clause 0x1
	s_load_b32 s3, s[0:1], 0x8
	s_load_b32 s0, s[0:1], 0x80
	s_waitcnt lgkmcnt(0)
	s_barrier
	buffer_gl0_inv
	ds_load_b32 v5, v1
	s_waitcnt lgkmcnt(0)
	s_barrier
	buffer_gl0_inv
	global_load_b128 v[1:4], v1, s[26:27]
	s_add_i32 s3, s3, s34
	s_mul_i32 s1, s0, 0xd00
	s_add_i32 s0, s0, -1
	s_add_u32 s6, s34, s1
	s_addc_u32 s7, s35, 0
	v_mul_lo_u32 v30, 0xd00, v5
	v_readfirstlane_b32 s26, v5
	v_cmp_lt_u64_e64 s5, s[6:7], s[4:5]
	v_cmp_ne_u32_e32 vcc_lo, s0, v5
	s_delay_alu instid0(VALU_DEP_3) | instskip(SKIP_1) | instid1(VALU_DEP_4)
	s_cmp_eq_u32 s26, s0
	s_cselect_b32 s13, -1, 0
	v_add3_u32 v5, v30, s3, v0
	s_delay_alu instid0(VALU_DEP_3) | instskip(SKIP_2) | instid1(VALU_DEP_1)
	s_or_b32 s0, s5, vcc_lo
	s_mov_b32 s3, -1
	s_and_b32 vcc_lo, exec_lo, s0
	v_add_nc_u32_e32 v6, 0x100, v5
	v_add_nc_u32_e32 v7, 0x200, v5
	;; [unrolled: 1-line block ×12, first 2 shown]
	s_cbranch_vccz .LBB1808_6
; %bb.5:
	v_lshlrev_b32_e32 v18, 2, v0
	s_mov_b32 s3, 0
	ds_store_2addr_stride64_b32 v18, v5, v6 offset1:4
	ds_store_2addr_stride64_b32 v18, v7, v8 offset0:8 offset1:12
	ds_store_2addr_stride64_b32 v18, v9, v10 offset0:16 offset1:20
	;; [unrolled: 1-line block ×5, first 2 shown]
	ds_store_b32 v18, v17 offset:12288
	s_waitcnt vmcnt(0) lgkmcnt(0)
	s_barrier
.LBB1808_6:
	s_and_not1_b32 vcc_lo, exec_lo, s3
	s_add_i32 s1, s1, s34
	s_cbranch_vccnz .LBB1808_8
; %bb.7:
	v_lshlrev_b32_e32 v18, 2, v0
	ds_store_2addr_stride64_b32 v18, v5, v6 offset1:4
	ds_store_2addr_stride64_b32 v18, v7, v8 offset0:8 offset1:12
	ds_store_2addr_stride64_b32 v18, v9, v10 offset0:16 offset1:20
	;; [unrolled: 1-line block ×5, first 2 shown]
	ds_store_b32 v18, v17 offset:12288
	s_waitcnt vmcnt(0) lgkmcnt(0)
	s_barrier
.LBB1808_8:
	v_mul_u32_u24_e32 v33, 13, v0
	s_waitcnt vmcnt(0)
	buffer_gl0_inv
	v_cndmask_b32_e64 v31, 0, 1, s0
	s_sub_i32 s40, s4, s1
	s_and_not1_b32 vcc_lo, exec_lo, s0
	v_lshlrev_b32_e32 v5, 2, v33
	ds_load_2addr_b32 v[20:21], v5 offset1:1
	ds_load_2addr_b32 v[18:19], v5 offset0:2 offset1:3
	ds_load_2addr_b32 v[16:17], v5 offset0:4 offset1:5
	;; [unrolled: 1-line block ×5, first 2 shown]
	ds_load_b32 v32, v5 offset:48
	s_waitcnt lgkmcnt(0)
	s_barrier
	buffer_gl0_inv
	s_cbranch_vccnz .LBB1808_36
; %bb.9:
	v_add_nc_u32_e32 v5, s17, v20
	v_add_nc_u32_e32 v6, s19, v20
	s_mov_b32 s42, 0
	s_mov_b32 s41, 0
	s_mov_b32 s1, exec_lo
	v_mul_lo_u32 v5, v5, s16
	v_mul_lo_u32 v6, v6, s18
	s_delay_alu instid0(VALU_DEP_1) | instskip(NEXT) | instid1(VALU_DEP_1)
	v_sub_nc_u32_e32 v5, v5, v6
	v_cmp_lt_u32_e32 vcc_lo, s20, v5
	v_cmpx_ge_u32_e64 s20, v5
; %bb.10:
	v_add_nc_u32_e32 v5, s22, v20
	v_add_nc_u32_e32 v6, s38, v20
	s_delay_alu instid0(VALU_DEP_2) | instskip(NEXT) | instid1(VALU_DEP_2)
	v_mul_lo_u32 v5, v5, s21
	v_mul_lo_u32 v6, v6, s23
	s_delay_alu instid0(VALU_DEP_1) | instskip(NEXT) | instid1(VALU_DEP_1)
	v_sub_nc_u32_e32 v5, v5, v6
	v_cmp_lt_u32_e64 s0, s39, v5
	s_delay_alu instid0(VALU_DEP_1)
	s_and_b32 s41, s0, exec_lo
; %bb.11:
	s_or_b32 exec_lo, exec_lo, s1
	v_add_nc_u32_e32 v5, s17, v21
	v_add_nc_u32_e32 v6, s19, v21
	s_mov_b32 s3, exec_lo
	s_delay_alu instid0(VALU_DEP_2) | instskip(NEXT) | instid1(VALU_DEP_2)
	v_mul_lo_u32 v5, v5, s16
	v_mul_lo_u32 v6, v6, s18
	s_delay_alu instid0(VALU_DEP_1) | instskip(NEXT) | instid1(VALU_DEP_1)
	v_sub_nc_u32_e32 v5, v5, v6
	v_cmp_lt_u32_e64 s0, s20, v5
	v_cmpx_ge_u32_e64 s20, v5
; %bb.12:
	v_add_nc_u32_e32 v5, s22, v21
	v_add_nc_u32_e32 v6, s38, v21
	s_delay_alu instid0(VALU_DEP_2) | instskip(NEXT) | instid1(VALU_DEP_2)
	v_mul_lo_u32 v5, v5, s21
	v_mul_lo_u32 v6, v6, s23
	s_delay_alu instid0(VALU_DEP_1) | instskip(NEXT) | instid1(VALU_DEP_1)
	v_sub_nc_u32_e32 v5, v5, v6
	v_cmp_lt_u32_e64 s1, s39, v5
	s_delay_alu instid0(VALU_DEP_1)
	s_and_b32 s42, s1, exec_lo
; %bb.13:
	s_or_b32 exec_lo, exec_lo, s3
	v_add_nc_u32_e32 v5, s17, v18
	v_add_nc_u32_e32 v6, s19, v18
	s_mov_b32 s44, 0
	s_mov_b32 s43, 0
	s_mov_b32 s4, exec_lo
	v_mul_lo_u32 v5, v5, s16
	v_mul_lo_u32 v6, v6, s18
	s_delay_alu instid0(VALU_DEP_1) | instskip(NEXT) | instid1(VALU_DEP_1)
	v_sub_nc_u32_e32 v5, v5, v6
	v_cmp_lt_u32_e64 s1, s20, v5
	v_cmpx_ge_u32_e64 s20, v5
; %bb.14:
	v_add_nc_u32_e32 v5, s22, v18
	v_add_nc_u32_e32 v6, s38, v18
	s_delay_alu instid0(VALU_DEP_2) | instskip(NEXT) | instid1(VALU_DEP_2)
	v_mul_lo_u32 v5, v5, s21
	v_mul_lo_u32 v6, v6, s23
	s_delay_alu instid0(VALU_DEP_1) | instskip(NEXT) | instid1(VALU_DEP_1)
	v_sub_nc_u32_e32 v5, v5, v6
	v_cmp_lt_u32_e64 s3, s39, v5
	s_delay_alu instid0(VALU_DEP_1)
	s_and_b32 s43, s3, exec_lo
; %bb.15:
	s_or_b32 exec_lo, exec_lo, s4
	v_add_nc_u32_e32 v5, s17, v19
	v_add_nc_u32_e32 v6, s19, v19
	s_mov_b32 s5, exec_lo
	s_delay_alu instid0(VALU_DEP_2) | instskip(NEXT) | instid1(VALU_DEP_2)
	v_mul_lo_u32 v5, v5, s16
	v_mul_lo_u32 v6, v6, s18
	s_delay_alu instid0(VALU_DEP_1) | instskip(NEXT) | instid1(VALU_DEP_1)
	v_sub_nc_u32_e32 v5, v5, v6
	v_cmp_lt_u32_e64 s3, s20, v5
	v_cmpx_ge_u32_e64 s20, v5
; %bb.16:
	v_add_nc_u32_e32 v5, s22, v19
	v_add_nc_u32_e32 v6, s38, v19
	s_delay_alu instid0(VALU_DEP_2) | instskip(NEXT) | instid1(VALU_DEP_2)
	v_mul_lo_u32 v5, v5, s21
	v_mul_lo_u32 v6, v6, s23
	s_delay_alu instid0(VALU_DEP_1) | instskip(NEXT) | instid1(VALU_DEP_1)
	v_sub_nc_u32_e32 v5, v5, v6
	v_cmp_lt_u32_e64 s4, s39, v5
	s_delay_alu instid0(VALU_DEP_1)
	s_and_b32 s44, s4, exec_lo
; %bb.17:
	s_or_b32 exec_lo, exec_lo, s5
	v_add_nc_u32_e32 v5, s17, v16
	v_add_nc_u32_e32 v6, s19, v16
	s_mov_b32 s46, 0
	s_mov_b32 s45, 0
	s_mov_b32 s6, exec_lo
	v_mul_lo_u32 v5, v5, s16
	v_mul_lo_u32 v6, v6, s18
	s_delay_alu instid0(VALU_DEP_1) | instskip(NEXT) | instid1(VALU_DEP_1)
	v_sub_nc_u32_e32 v5, v5, v6
	v_cmp_lt_u32_e64 s4, s20, v5
	;; [unrolled: 47-line block ×5, first 2 shown]
	v_cmpx_ge_u32_e64 s20, v5
; %bb.30:
	v_add_nc_u32_e32 v5, s22, v10
	v_add_nc_u32_e32 v6, s38, v10
	s_delay_alu instid0(VALU_DEP_2) | instskip(NEXT) | instid1(VALU_DEP_2)
	v_mul_lo_u32 v5, v5, s21
	v_mul_lo_u32 v6, v6, s23
	s_delay_alu instid0(VALU_DEP_1) | instskip(NEXT) | instid1(VALU_DEP_1)
	v_sub_nc_u32_e32 v5, v5, v6
	v_cmp_lt_u32_e64 s11, s39, v5
	s_delay_alu instid0(VALU_DEP_1)
	s_and_b32 s53, s11, exec_lo
; %bb.31:
	s_or_b32 exec_lo, exec_lo, s12
	v_add_nc_u32_e32 v5, s17, v11
	v_add_nc_u32_e32 v6, s19, v11
	s_mov_b32 s27, exec_lo
	s_delay_alu instid0(VALU_DEP_2) | instskip(NEXT) | instid1(VALU_DEP_2)
	v_mul_lo_u32 v5, v5, s16
	v_mul_lo_u32 v6, v6, s18
	s_delay_alu instid0(VALU_DEP_1) | instskip(NEXT) | instid1(VALU_DEP_1)
	v_sub_nc_u32_e32 v5, v5, v6
	v_cmp_lt_u32_e64 s11, s20, v5
	v_cmpx_ge_u32_e64 s20, v5
; %bb.32:
	v_add_nc_u32_e32 v5, s22, v11
	v_add_nc_u32_e32 v6, s38, v11
	s_delay_alu instid0(VALU_DEP_2) | instskip(NEXT) | instid1(VALU_DEP_2)
	v_mul_lo_u32 v5, v5, s21
	v_mul_lo_u32 v6, v6, s23
	s_delay_alu instid0(VALU_DEP_1) | instskip(NEXT) | instid1(VALU_DEP_1)
	v_sub_nc_u32_e32 v5, v5, v6
	v_cmp_lt_u32_e64 s12, s39, v5
	s_delay_alu instid0(VALU_DEP_1)
	s_and_b32 s52, s12, exec_lo
; %bb.33:
	s_or_b32 exec_lo, exec_lo, s27
	v_add_nc_u32_e32 v5, s17, v32
	v_add_nc_u32_e32 v6, s19, v32
	s_mov_b32 s27, -1
	s_mov_b32 s49, 0
	s_mov_b32 s33, 0
	v_mul_lo_u32 v5, v5, s16
	v_mul_lo_u32 v6, v6, s18
	s_mov_b32 s54, exec_lo
	s_delay_alu instid0(VALU_DEP_1) | instskip(NEXT) | instid1(VALU_DEP_1)
	v_sub_nc_u32_e32 v5, v5, v6
	v_cmpx_ge_u32_e64 s20, v5
; %bb.34:
	v_add_nc_u32_e32 v5, s22, v32
	v_add_nc_u32_e32 v6, s38, v32
	s_xor_b32 s27, exec_lo, -1
	s_delay_alu instid0(VALU_DEP_2) | instskip(NEXT) | instid1(VALU_DEP_2)
	v_mul_lo_u32 v5, v5, s21
	v_mul_lo_u32 v6, v6, s23
	s_delay_alu instid0(VALU_DEP_1) | instskip(NEXT) | instid1(VALU_DEP_1)
	v_sub_nc_u32_e32 v5, v5, v6
	v_cmp_lt_u32_e64 s12, s39, v5
	s_delay_alu instid0(VALU_DEP_1)
	s_and_b32 s33, s12, exec_lo
; %bb.35:
	s_or_b32 exec_lo, exec_lo, s54
	v_cndmask_b32_e64 v53, 0, 1, s53
	v_cndmask_b32_e64 v56, 0, 1, s11
	;; [unrolled: 1-line block ×22, first 2 shown]
	v_cndmask_b32_e64 v34, 0, 1, vcc_lo
	v_cndmask_b32_e64 v57, 0, 1, s52
	s_and_b32 vcc_lo, exec_lo, s49
	s_add_i32 s4, s40, 0xd00
	s_cbranch_vccnz .LBB1808_37
	s_branch .LBB1808_90
.LBB1808_36:
                                        ; implicit-def: $sgpr27
                                        ; implicit-def: $sgpr33
                                        ; implicit-def: $vgpr57
                                        ; implicit-def: $vgpr53
                                        ; implicit-def: $vgpr52
                                        ; implicit-def: $vgpr50
                                        ; implicit-def: $vgpr48
                                        ; implicit-def: $vgpr46
                                        ; implicit-def: $vgpr44
                                        ; implicit-def: $vgpr42
                                        ; implicit-def: $vgpr39
                                        ; implicit-def: $vgpr34
                                        ; implicit-def: $vgpr37
                                        ; implicit-def: $vgpr36
                                        ; implicit-def: $vgpr41
                                        ; implicit-def: $vgpr43
                                        ; implicit-def: $vgpr45
                                        ; implicit-def: $vgpr47
                                        ; implicit-def: $vgpr49
                                        ; implicit-def: $vgpr51
                                        ; implicit-def: $vgpr54
                                        ; implicit-def: $vgpr55
                                        ; implicit-def: $vgpr56
                                        ; implicit-def: $vgpr35
                                        ; implicit-def: $vgpr40
                                        ; implicit-def: $vgpr38
	s_add_i32 s4, s40, 0xd00
	s_cbranch_execz .LBB1808_90
.LBB1808_37:
	v_dual_mov_b32 v35, 0 :: v_dual_mov_b32 v34, 0
	s_mov_b32 s3, 0
	s_mov_b32 s1, exec_lo
	v_cmpx_gt_u32_e64 s4, v33
	s_cbranch_execz .LBB1808_41
; %bb.38:
	v_add_nc_u32_e32 v5, s17, v20
	v_add_nc_u32_e32 v6, s19, v20
	s_mov_b32 s5, exec_lo
	s_delay_alu instid0(VALU_DEP_2) | instskip(NEXT) | instid1(VALU_DEP_2)
	v_mul_lo_u32 v5, v5, s16
	v_mul_lo_u32 v6, v6, s18
	s_delay_alu instid0(VALU_DEP_1) | instskip(NEXT) | instid1(VALU_DEP_1)
	v_sub_nc_u32_e32 v5, v5, v6
	v_cmp_lt_u32_e32 vcc_lo, s20, v5
	v_cmpx_ge_u32_e64 s20, v5
; %bb.39:
	v_add_nc_u32_e32 v5, s22, v20
	v_add_nc_u32_e32 v6, s38, v20
	s_delay_alu instid0(VALU_DEP_2) | instskip(NEXT) | instid1(VALU_DEP_2)
	v_mul_lo_u32 v5, v5, s21
	v_mul_lo_u32 v6, v6, s23
	s_delay_alu instid0(VALU_DEP_1) | instskip(NEXT) | instid1(VALU_DEP_1)
	v_sub_nc_u32_e32 v5, v5, v6
	v_cmp_lt_u32_e64 s0, s39, v5
	s_delay_alu instid0(VALU_DEP_1)
	s_and_b32 s3, s0, exec_lo
; %bb.40:
	s_or_b32 exec_lo, exec_lo, s5
	v_cndmask_b32_e64 v34, 0, 1, vcc_lo
	v_cndmask_b32_e64 v35, 0, 1, s3
.LBB1808_41:
	s_or_b32 exec_lo, exec_lo, s1
	v_dual_mov_b32 v40, 0 :: v_dual_add_nc_u32 v5, 1, v33
	v_mov_b32_e32 v37, 0
	s_mov_b32 s3, 0
	s_mov_b32 s1, exec_lo
	s_delay_alu instid0(VALU_DEP_2)
	v_cmpx_gt_u32_e64 s4, v5
	s_cbranch_execz .LBB1808_45
; %bb.42:
	v_add_nc_u32_e32 v5, s17, v21
	v_add_nc_u32_e32 v6, s19, v21
	s_mov_b32 s5, exec_lo
	s_delay_alu instid0(VALU_DEP_2) | instskip(NEXT) | instid1(VALU_DEP_2)
	v_mul_lo_u32 v5, v5, s16
	v_mul_lo_u32 v6, v6, s18
	s_delay_alu instid0(VALU_DEP_1) | instskip(NEXT) | instid1(VALU_DEP_1)
	v_sub_nc_u32_e32 v5, v5, v6
	v_cmp_lt_u32_e32 vcc_lo, s20, v5
	v_cmpx_ge_u32_e64 s20, v5
; %bb.43:
	v_add_nc_u32_e32 v5, s22, v21
	v_add_nc_u32_e32 v6, s38, v21
	s_delay_alu instid0(VALU_DEP_2) | instskip(NEXT) | instid1(VALU_DEP_2)
	v_mul_lo_u32 v5, v5, s21
	v_mul_lo_u32 v6, v6, s23
	s_delay_alu instid0(VALU_DEP_1) | instskip(NEXT) | instid1(VALU_DEP_1)
	v_sub_nc_u32_e32 v5, v5, v6
	v_cmp_lt_u32_e64 s0, s39, v5
	s_delay_alu instid0(VALU_DEP_1)
	s_and_b32 s3, s0, exec_lo
; %bb.44:
	s_or_b32 exec_lo, exec_lo, s5
	v_cndmask_b32_e64 v37, 0, 1, vcc_lo
	v_cndmask_b32_e64 v40, 0, 1, s3
.LBB1808_45:
	s_or_b32 exec_lo, exec_lo, s1
	v_dual_mov_b32 v36, 0 :: v_dual_add_nc_u32 v5, 2, v33
	v_mov_b32_e32 v38, 0
	s_mov_b32 s3, 0
	s_mov_b32 s1, exec_lo
	s_delay_alu instid0(VALU_DEP_2)
	v_cmpx_gt_u32_e64 s4, v5
	s_cbranch_execz .LBB1808_49
; %bb.46:
	v_add_nc_u32_e32 v5, s17, v18
	v_add_nc_u32_e32 v6, s19, v18
	s_mov_b32 s5, exec_lo
	s_delay_alu instid0(VALU_DEP_2) | instskip(NEXT) | instid1(VALU_DEP_2)
	v_mul_lo_u32 v5, v5, s16
	v_mul_lo_u32 v6, v6, s18
	s_delay_alu instid0(VALU_DEP_1) | instskip(NEXT) | instid1(VALU_DEP_1)
	v_sub_nc_u32_e32 v5, v5, v6
	v_cmp_lt_u32_e32 vcc_lo, s20, v5
	v_cmpx_ge_u32_e64 s20, v5
; %bb.47:
	v_add_nc_u32_e32 v5, s22, v18
	v_add_nc_u32_e32 v6, s38, v18
	s_delay_alu instid0(VALU_DEP_2) | instskip(NEXT) | instid1(VALU_DEP_2)
	v_mul_lo_u32 v5, v5, s21
	v_mul_lo_u32 v6, v6, s23
	s_delay_alu instid0(VALU_DEP_1) | instskip(NEXT) | instid1(VALU_DEP_1)
	v_sub_nc_u32_e32 v5, v5, v6
	v_cmp_lt_u32_e64 s0, s39, v5
	s_delay_alu instid0(VALU_DEP_1)
	s_and_b32 s3, s0, exec_lo
; %bb.48:
	s_or_b32 exec_lo, exec_lo, s5
	v_cndmask_b32_e64 v36, 0, 1, vcc_lo
	v_cndmask_b32_e64 v38, 0, 1, s3
.LBB1808_49:
	s_or_b32 exec_lo, exec_lo, s1
	v_add_nc_u32_e32 v5, 3, v33
	v_mov_b32_e32 v39, 0
	v_mov_b32_e32 v41, 0
	s_mov_b32 s3, 0
	s_mov_b32 s1, exec_lo
	v_cmpx_gt_u32_e64 s4, v5
	s_cbranch_execz .LBB1808_53
; %bb.50:
	v_add_nc_u32_e32 v5, s17, v19
	v_add_nc_u32_e32 v6, s19, v19
	s_mov_b32 s5, exec_lo
	s_delay_alu instid0(VALU_DEP_2) | instskip(NEXT) | instid1(VALU_DEP_2)
	v_mul_lo_u32 v5, v5, s16
	v_mul_lo_u32 v6, v6, s18
	s_delay_alu instid0(VALU_DEP_1) | instskip(NEXT) | instid1(VALU_DEP_1)
	v_sub_nc_u32_e32 v5, v5, v6
	v_cmp_lt_u32_e32 vcc_lo, s20, v5
	v_cmpx_ge_u32_e64 s20, v5
; %bb.51:
	v_add_nc_u32_e32 v5, s22, v19
	v_add_nc_u32_e32 v6, s38, v19
	s_delay_alu instid0(VALU_DEP_2) | instskip(NEXT) | instid1(VALU_DEP_2)
	v_mul_lo_u32 v5, v5, s21
	v_mul_lo_u32 v6, v6, s23
	s_delay_alu instid0(VALU_DEP_1) | instskip(NEXT) | instid1(VALU_DEP_1)
	v_sub_nc_u32_e32 v5, v5, v6
	v_cmp_lt_u32_e64 s0, s39, v5
	s_delay_alu instid0(VALU_DEP_1)
	s_and_b32 s3, s0, exec_lo
; %bb.52:
	s_or_b32 exec_lo, exec_lo, s5
	v_cndmask_b32_e64 v41, 0, 1, vcc_lo
	v_cndmask_b32_e64 v39, 0, 1, s3
.LBB1808_53:
	s_or_b32 exec_lo, exec_lo, s1
	v_dual_mov_b32 v42, 0 :: v_dual_add_nc_u32 v5, 4, v33
	v_mov_b32_e32 v43, 0
	s_mov_b32 s3, 0
	s_mov_b32 s1, exec_lo
	s_delay_alu instid0(VALU_DEP_2)
	v_cmpx_gt_u32_e64 s4, v5
	s_cbranch_execz .LBB1808_57
; %bb.54:
	v_add_nc_u32_e32 v5, s17, v16
	v_add_nc_u32_e32 v6, s19, v16
	s_mov_b32 s5, exec_lo
	s_delay_alu instid0(VALU_DEP_2) | instskip(NEXT) | instid1(VALU_DEP_2)
	v_mul_lo_u32 v5, v5, s16
	v_mul_lo_u32 v6, v6, s18
	s_delay_alu instid0(VALU_DEP_1) | instskip(NEXT) | instid1(VALU_DEP_1)
	v_sub_nc_u32_e32 v5, v5, v6
	v_cmp_lt_u32_e32 vcc_lo, s20, v5
	v_cmpx_ge_u32_e64 s20, v5
; %bb.55:
	v_add_nc_u32_e32 v5, s22, v16
	v_add_nc_u32_e32 v6, s38, v16
	s_delay_alu instid0(VALU_DEP_2) | instskip(NEXT) | instid1(VALU_DEP_2)
	v_mul_lo_u32 v5, v5, s21
	v_mul_lo_u32 v6, v6, s23
	s_delay_alu instid0(VALU_DEP_1) | instskip(NEXT) | instid1(VALU_DEP_1)
	v_sub_nc_u32_e32 v5, v5, v6
	v_cmp_lt_u32_e64 s0, s39, v5
	s_delay_alu instid0(VALU_DEP_1)
	s_and_b32 s3, s0, exec_lo
; %bb.56:
	s_or_b32 exec_lo, exec_lo, s5
	v_cndmask_b32_e64 v43, 0, 1, vcc_lo
	v_cndmask_b32_e64 v42, 0, 1, s3
.LBB1808_57:
	s_or_b32 exec_lo, exec_lo, s1
	v_dual_mov_b32 v44, 0 :: v_dual_add_nc_u32 v5, 5, v33
	v_mov_b32_e32 v45, 0
	s_mov_b32 s3, 0
	s_mov_b32 s1, exec_lo
	s_delay_alu instid0(VALU_DEP_2)
	;; [unrolled: 35-line block ×6, first 2 shown]
	v_cmpx_gt_u32_e64 s4, v5
	s_cbranch_execz .LBB1808_77
; %bb.74:
	v_add_nc_u32_e32 v5, s17, v13
	v_add_nc_u32_e32 v6, s19, v13
	s_mov_b32 s5, exec_lo
	s_delay_alu instid0(VALU_DEP_2) | instskip(NEXT) | instid1(VALU_DEP_2)
	v_mul_lo_u32 v5, v5, s16
	v_mul_lo_u32 v6, v6, s18
	s_delay_alu instid0(VALU_DEP_1) | instskip(NEXT) | instid1(VALU_DEP_1)
	v_sub_nc_u32_e32 v5, v5, v6
	v_cmp_lt_u32_e32 vcc_lo, s20, v5
	v_cmpx_ge_u32_e64 s20, v5
; %bb.75:
	v_add_nc_u32_e32 v5, s22, v13
	v_add_nc_u32_e32 v6, s38, v13
	s_delay_alu instid0(VALU_DEP_2) | instskip(NEXT) | instid1(VALU_DEP_2)
	v_mul_lo_u32 v5, v5, s21
	v_mul_lo_u32 v6, v6, s23
	s_delay_alu instid0(VALU_DEP_1) | instskip(NEXT) | instid1(VALU_DEP_1)
	v_sub_nc_u32_e32 v5, v5, v6
	v_cmp_lt_u32_e64 s0, s39, v5
	s_delay_alu instid0(VALU_DEP_1)
	s_and_b32 s3, s0, exec_lo
; %bb.76:
	s_or_b32 exec_lo, exec_lo, s5
	v_cndmask_b32_e64 v54, 0, 1, vcc_lo
	v_cndmask_b32_e64 v52, 0, 1, s3
.LBB1808_77:
	s_or_b32 exec_lo, exec_lo, s1
	v_add_nc_u32_e32 v5, 10, v33
	v_mov_b32_e32 v53, 0
	v_mov_b32_e32 v55, 0
	s_mov_b32 s3, 0
	s_mov_b32 s1, exec_lo
	v_cmpx_gt_u32_e64 s4, v5
	s_cbranch_execz .LBB1808_81
; %bb.78:
	v_add_nc_u32_e32 v5, s17, v10
	v_add_nc_u32_e32 v6, s19, v10
	s_mov_b32 s5, exec_lo
	s_delay_alu instid0(VALU_DEP_2) | instskip(NEXT) | instid1(VALU_DEP_2)
	v_mul_lo_u32 v5, v5, s16
	v_mul_lo_u32 v6, v6, s18
	s_delay_alu instid0(VALU_DEP_1) | instskip(NEXT) | instid1(VALU_DEP_1)
	v_sub_nc_u32_e32 v5, v5, v6
	v_cmp_lt_u32_e32 vcc_lo, s20, v5
	v_cmpx_ge_u32_e64 s20, v5
; %bb.79:
	v_add_nc_u32_e32 v5, s22, v10
	v_add_nc_u32_e32 v6, s38, v10
	s_delay_alu instid0(VALU_DEP_2) | instskip(NEXT) | instid1(VALU_DEP_2)
	v_mul_lo_u32 v5, v5, s21
	v_mul_lo_u32 v6, v6, s23
	s_delay_alu instid0(VALU_DEP_1) | instskip(NEXT) | instid1(VALU_DEP_1)
	v_sub_nc_u32_e32 v5, v5, v6
	v_cmp_lt_u32_e64 s0, s39, v5
	s_delay_alu instid0(VALU_DEP_1)
	s_and_b32 s3, s0, exec_lo
; %bb.80:
	s_or_b32 exec_lo, exec_lo, s5
	v_cndmask_b32_e64 v55, 0, 1, vcc_lo
	v_cndmask_b32_e64 v53, 0, 1, s3
.LBB1808_81:
	s_or_b32 exec_lo, exec_lo, s1
	v_dual_mov_b32 v56, 0 :: v_dual_add_nc_u32 v5, 11, v33
	v_mov_b32_e32 v57, 0
	s_mov_b32 s3, 0
	s_mov_b32 s1, exec_lo
	s_delay_alu instid0(VALU_DEP_2)
	v_cmpx_gt_u32_e64 s4, v5
	s_cbranch_execz .LBB1808_85
; %bb.82:
	v_add_nc_u32_e32 v5, s17, v11
	v_add_nc_u32_e32 v6, s19, v11
	s_mov_b32 s5, exec_lo
	s_delay_alu instid0(VALU_DEP_2) | instskip(NEXT) | instid1(VALU_DEP_2)
	v_mul_lo_u32 v5, v5, s16
	v_mul_lo_u32 v6, v6, s18
	s_delay_alu instid0(VALU_DEP_1) | instskip(NEXT) | instid1(VALU_DEP_1)
	v_sub_nc_u32_e32 v5, v5, v6
	v_cmp_lt_u32_e32 vcc_lo, s20, v5
	v_cmpx_ge_u32_e64 s20, v5
; %bb.83:
	v_add_nc_u32_e32 v5, s22, v11
	v_add_nc_u32_e32 v6, s38, v11
	s_delay_alu instid0(VALU_DEP_2) | instskip(NEXT) | instid1(VALU_DEP_2)
	v_mul_lo_u32 v5, v5, s21
	v_mul_lo_u32 v6, v6, s23
	s_delay_alu instid0(VALU_DEP_1) | instskip(NEXT) | instid1(VALU_DEP_1)
	v_sub_nc_u32_e32 v5, v5, v6
	v_cmp_lt_u32_e64 s0, s39, v5
	s_delay_alu instid0(VALU_DEP_1)
	s_and_b32 s3, s0, exec_lo
; %bb.84:
	s_or_b32 exec_lo, exec_lo, s5
	v_cndmask_b32_e64 v56, 0, 1, vcc_lo
	v_cndmask_b32_e64 v57, 0, 1, s3
.LBB1808_85:
	s_or_b32 exec_lo, exec_lo, s1
	v_add_nc_u32_e32 v5, 12, v33
	s_mov_b32 s27, 0
	s_mov_b32 s33, 0
	s_mov_b32 s0, exec_lo
	s_delay_alu instid0(VALU_DEP_1)
	v_cmpx_gt_u32_e64 s4, v5
	s_cbranch_execz .LBB1808_89
; %bb.86:
	v_add_nc_u32_e32 v5, s17, v32
	v_add_nc_u32_e32 v6, s19, v32
	s_mov_b32 s3, -1
	s_mov_b32 s5, 0
	s_mov_b32 s1, exec_lo
	v_mul_lo_u32 v5, v5, s16
	v_mul_lo_u32 v6, v6, s18
	s_delay_alu instid0(VALU_DEP_1) | instskip(NEXT) | instid1(VALU_DEP_1)
	v_sub_nc_u32_e32 v5, v5, v6
	v_cmpx_ge_u32_e64 s20, v5
; %bb.87:
	v_add_nc_u32_e32 v5, s22, v32
	v_add_nc_u32_e32 v6, s38, v32
	s_xor_b32 s3, exec_lo, -1
	s_delay_alu instid0(VALU_DEP_2) | instskip(NEXT) | instid1(VALU_DEP_2)
	v_mul_lo_u32 v5, v5, s21
	v_mul_lo_u32 v6, v6, s23
	s_delay_alu instid0(VALU_DEP_1) | instskip(NEXT) | instid1(VALU_DEP_1)
	v_sub_nc_u32_e32 v5, v5, v6
	v_cmp_lt_u32_e32 vcc_lo, s39, v5
	s_and_b32 s5, vcc_lo, exec_lo
; %bb.88:
	s_or_b32 exec_lo, exec_lo, s1
	s_delay_alu instid0(SALU_CYCLE_1)
	s_and_b32 s33, s5, exec_lo
	s_and_b32 s27, s3, exec_lo
.LBB1808_89:
	s_or_b32 exec_lo, exec_lo, s0
.LBB1808_90:
	v_and_b32_e32 v80, 0xff, v34
	v_and_b32_e32 v81, 0xff, v35
	;; [unrolled: 1-line block ×10, first 2 shown]
	v_add3_u32 v5, v76, v78, v80
	v_add3_u32 v6, v77, v79, v81
	v_and_b32_e32 v70, 0xff, v45
	v_and_b32_e32 v71, 0xff, v44
	v_and_b32_e32 v64, 0xff, v47
	v_and_b32_e32 v65, 0xff, v46
	v_add3_u32 v5, v5, v74, v72
	v_add3_u32 v6, v6, v75, v73
	v_and_b32_e32 v68, 0xff, v49
	v_and_b32_e32 v69, 0xff, v48
	v_and_b32_e32 v66, 0xff, v51
	v_and_b32_e32 v67, 0xff, v50
	;; [unrolled: 6-line block ×3, first 2 shown]
	v_add3_u32 v5, v5, v68, v66
	v_add3_u32 v6, v6, v69, v67
	v_mbcnt_lo_u32_b32 v82, -1, 0
	v_and_b32_e32 v58, 0xff, v56
	v_and_b32_e32 v59, 0xff, v57
	v_cndmask_b32_e64 v7, 0, 1, s33
	v_add3_u32 v5, v5, v61, v60
	v_cndmask_b32_e64 v8, 0, 1, s27
	v_add3_u32 v6, v6, v62, v63
	v_and_b32_e32 v86, 15, v82
	v_and_b32_e32 v85, 16, v82
	v_lshrrev_b32_e32 v83, 5, v0
	v_add3_u32 v87, v5, v58, v8
	v_add3_u32 v88, v6, v59, v7
	v_cmp_eq_u32_e64 s1, 0, v86
	v_cmp_lt_u32_e64 s0, 1, v86
	v_cmp_lt_u32_e64 s3, 3, v86
	v_cmp_lt_u32_e32 vcc_lo, 7, v86
	v_or_b32_e32 v84, 31, v0
	s_cmp_lg_u32 s26, 0
	s_mov_b32 s5, -1
	s_cbranch_scc0 .LBB1808_118
; %bb.91:
	v_mov_b32_dpp v5, v88 row_shr:1 row_mask:0xf bank_mask:0xf
	v_mov_b32_dpp v6, v87 row_shr:1 row_mask:0xf bank_mask:0xf
	s_delay_alu instid0(VALU_DEP_2) | instskip(NEXT) | instid1(VALU_DEP_2)
	v_add_nc_u32_e32 v5, v5, v88
	v_add_nc_u32_e32 v6, v6, v87
	s_delay_alu instid0(VALU_DEP_2) | instskip(NEXT) | instid1(VALU_DEP_2)
	v_cndmask_b32_e64 v5, v5, v88, s1
	v_cndmask_b32_e64 v6, v6, v87, s1
	s_delay_alu instid0(VALU_DEP_2) | instskip(NEXT) | instid1(VALU_DEP_2)
	v_mov_b32_dpp v7, v5 row_shr:2 row_mask:0xf bank_mask:0xf
	v_mov_b32_dpp v8, v6 row_shr:2 row_mask:0xf bank_mask:0xf
	s_delay_alu instid0(VALU_DEP_2) | instskip(NEXT) | instid1(VALU_DEP_1)
	v_add_nc_u32_e32 v7, v5, v7
	v_cndmask_b32_e64 v5, v5, v7, s0
	s_delay_alu instid0(VALU_DEP_1) | instskip(NEXT) | instid1(VALU_DEP_1)
	v_mov_b32_dpp v7, v5 row_shr:4 row_mask:0xf bank_mask:0xf
	v_add_nc_u32_e32 v7, v5, v7
	s_delay_alu instid0(VALU_DEP_1) | instskip(NEXT) | instid1(VALU_DEP_1)
	v_cndmask_b32_e64 v5, v5, v7, s3
	v_mov_b32_dpp v7, v5 row_shr:8 row_mask:0xf bank_mask:0xf
	s_delay_alu instid0(VALU_DEP_1) | instskip(NEXT) | instid1(VALU_DEP_1)
	v_add_nc_u32_e32 v7, v5, v7
	v_dual_cndmask_b32 v5, v5, v7 :: v_dual_add_nc_u32 v8, v6, v8
	s_delay_alu instid0(VALU_DEP_1) | instskip(NEXT) | instid1(VALU_DEP_1)
	v_cndmask_b32_e64 v6, v6, v8, s0
	v_mov_b32_dpp v8, v6 row_shr:4 row_mask:0xf bank_mask:0xf
	s_delay_alu instid0(VALU_DEP_1) | instskip(NEXT) | instid1(VALU_DEP_1)
	v_add_nc_u32_e32 v8, v6, v8
	v_cndmask_b32_e64 v6, v6, v8, s3
	s_mov_b32 s3, exec_lo
	s_delay_alu instid0(VALU_DEP_1) | instskip(NEXT) | instid1(VALU_DEP_1)
	v_mov_b32_dpp v8, v6 row_shr:8 row_mask:0xf bank_mask:0xf
	v_add_nc_u32_e32 v8, v6, v8
	s_delay_alu instid0(VALU_DEP_1)
	v_cndmask_b32_e32 v7, v6, v8, vcc_lo
	ds_swizzle_b32 v6, v5 offset:swizzle(BROADCAST,32,15)
	v_cmp_eq_u32_e32 vcc_lo, 0, v85
	s_waitcnt lgkmcnt(0)
	v_add_nc_u32_e32 v6, v5, v6
	ds_swizzle_b32 v8, v7 offset:swizzle(BROADCAST,32,15)
	v_cndmask_b32_e32 v6, v6, v5, vcc_lo
	s_waitcnt lgkmcnt(0)
	v_add_nc_u32_e32 v8, v7, v8
	s_delay_alu instid0(VALU_DEP_1)
	v_cndmask_b32_e32 v5, v8, v7, vcc_lo
	v_cmpx_eq_u32_e64 v84, v0
	s_cbranch_execz .LBB1808_93
; %bb.92:
	v_lshlrev_b32_e32 v7, 3, v83
	ds_store_b64 v7, v[5:6]
.LBB1808_93:
	s_or_b32 exec_lo, exec_lo, s3
	s_delay_alu instid0(SALU_CYCLE_1)
	s_mov_b32 s3, exec_lo
	s_waitcnt lgkmcnt(0)
	s_barrier
	buffer_gl0_inv
	v_cmpx_gt_u32_e32 8, v0
	s_cbranch_execz .LBB1808_95
; %bb.94:
	v_lshlrev_b32_e32 v9, 3, v0
	ds_load_b64 v[7:8], v9
	s_waitcnt lgkmcnt(0)
	v_mov_b32_dpp v22, v7 row_shr:1 row_mask:0xf bank_mask:0xf
	v_mov_b32_dpp v23, v8 row_shr:1 row_mask:0xf bank_mask:0xf
	s_delay_alu instid0(VALU_DEP_2) | instskip(SKIP_1) | instid1(VALU_DEP_3)
	v_add_nc_u32_e32 v22, v22, v7
	v_and_b32_e32 v24, 7, v82
	v_add_nc_u32_e32 v23, v23, v8
	s_delay_alu instid0(VALU_DEP_2) | instskip(NEXT) | instid1(VALU_DEP_2)
	v_cmp_eq_u32_e32 vcc_lo, 0, v24
	v_dual_cndmask_b32 v8, v23, v8 :: v_dual_cndmask_b32 v7, v22, v7
	v_cmp_lt_u32_e32 vcc_lo, 1, v24
	s_delay_alu instid0(VALU_DEP_2) | instskip(NEXT) | instid1(VALU_DEP_3)
	v_mov_b32_dpp v23, v8 row_shr:2 row_mask:0xf bank_mask:0xf
	v_mov_b32_dpp v22, v7 row_shr:2 row_mask:0xf bank_mask:0xf
	s_delay_alu instid0(VALU_DEP_2) | instskip(NEXT) | instid1(VALU_DEP_2)
	v_add_nc_u32_e32 v23, v8, v23
	v_add_nc_u32_e32 v22, v7, v22
	s_delay_alu instid0(VALU_DEP_1) | instskip(SKIP_1) | instid1(VALU_DEP_2)
	v_dual_cndmask_b32 v8, v8, v23 :: v_dual_cndmask_b32 v7, v7, v22
	v_cmp_lt_u32_e32 vcc_lo, 3, v24
	v_mov_b32_dpp v23, v8 row_shr:4 row_mask:0xf bank_mask:0xf
	s_delay_alu instid0(VALU_DEP_3) | instskip(NEXT) | instid1(VALU_DEP_1)
	v_mov_b32_dpp v22, v7 row_shr:4 row_mask:0xf bank_mask:0xf
	v_dual_cndmask_b32 v23, 0, v23 :: v_dual_cndmask_b32 v22, 0, v22
	s_delay_alu instid0(VALU_DEP_1) | instskip(NEXT) | instid1(VALU_DEP_2)
	v_add_nc_u32_e32 v8, v23, v8
	v_add_nc_u32_e32 v7, v22, v7
	ds_store_b64 v9, v[7:8]
.LBB1808_95:
	s_or_b32 exec_lo, exec_lo, s3
	v_cmp_gt_u32_e32 vcc_lo, 32, v0
	v_cmp_lt_u32_e64 s3, 31, v0
	s_waitcnt lgkmcnt(0)
	s_barrier
	buffer_gl0_inv
                                        ; implicit-def: $vgpr23
	s_and_saveexec_b32 s5, s3
	s_delay_alu instid0(SALU_CYCLE_1)
	s_xor_b32 s3, exec_lo, s5
	s_cbranch_execz .LBB1808_97
; %bb.96:
	v_lshl_add_u32 v7, v83, 3, -8
	ds_load_b64 v[22:23], v7
	s_waitcnt lgkmcnt(0)
	v_add_nc_u32_e32 v6, v23, v6
	v_add_nc_u32_e32 v5, v22, v5
.LBB1808_97:
	s_and_not1_saveexec_b32 s3, s3
; %bb.98:
                                        ; implicit-def: $vgpr22
; %bb.99:
	s_delay_alu instid0(SALU_CYCLE_1) | instskip(SKIP_1) | instid1(VALU_DEP_1)
	s_or_b32 exec_lo, exec_lo, s3
	v_add_nc_u32_e32 v7, -1, v82
	v_cmp_gt_i32_e64 s3, 0, v7
	s_delay_alu instid0(VALU_DEP_1) | instskip(SKIP_1) | instid1(VALU_DEP_2)
	v_cndmask_b32_e64 v7, v7, v82, s3
	v_cmp_eq_u32_e64 s3, 0, v82
	v_lshlrev_b32_e32 v7, 2, v7
	ds_bpermute_b32 v89, v7, v5
	ds_bpermute_b32 v90, v7, v6
	s_and_saveexec_b32 s5, vcc_lo
	s_cbranch_execz .LBB1808_117
; %bb.100:
	v_mov_b32_e32 v8, 0
	ds_load_b64 v[5:6], v8 offset:56
	s_waitcnt lgkmcnt(0)
	v_readfirstlane_b32 s6, v6
	s_and_saveexec_b32 s7, s3
	s_cbranch_execz .LBB1808_102
; %bb.101:
	s_add_i32 s8, s26, 32
	s_mov_b32 s9, 0
	v_mov_b32_e32 v7, 1
	s_lshl_b64 s[10:11], s[8:9], 4
	s_mov_b32 s16, s9
	s_add_u32 s10, s36, s10
	s_addc_u32 s11, s37, s11
	s_and_b32 s17, s6, 0xff000000
	s_and_b32 s19, s6, 0xff0000
	s_mov_b32 s18, s9
	v_dual_mov_b32 v25, s11 :: v_dual_mov_b32 v24, s10
	s_or_b64 s[16:17], s[18:19], s[16:17]
	s_and_b32 s19, s6, 0xff00
	s_delay_alu instid0(SALU_CYCLE_1) | instskip(SKIP_1) | instid1(SALU_CYCLE_1)
	s_or_b64 s[16:17], s[16:17], s[18:19]
	s_and_b32 s19, s6, 0xff
	s_or_b64 s[8:9], s[16:17], s[18:19]
	s_delay_alu instid0(SALU_CYCLE_1)
	v_mov_b32_e32 v6, s9
	;;#ASMSTART
	global_store_dwordx4 v[24:25], v[5:8] off	
s_waitcnt vmcnt(0)
	;;#ASMEND
.LBB1808_102:
	s_or_b32 exec_lo, exec_lo, s7
	v_xad_u32 v24, v82, -1, s26
	s_mov_b32 s8, 0
	s_mov_b32 s7, exec_lo
	s_delay_alu instid0(VALU_DEP_1) | instskip(NEXT) | instid1(VALU_DEP_1)
	v_add_nc_u32_e32 v7, 32, v24
	v_lshlrev_b64 v[6:7], 4, v[7:8]
	s_delay_alu instid0(VALU_DEP_1) | instskip(NEXT) | instid1(VALU_DEP_2)
	v_add_co_u32 v25, vcc_lo, s36, v6
	v_add_co_ci_u32_e32 v26, vcc_lo, s37, v7, vcc_lo
	;;#ASMSTART
	global_load_dwordx4 v[6:9], v[25:26] off glc	
s_waitcnt vmcnt(0)
	;;#ASMEND
	v_and_b32_e32 v9, 0xff, v7
	v_and_b32_e32 v27, 0xff00, v7
	v_or3_b32 v6, v6, 0, 0
	v_and_b32_e32 v28, 0xff000000, v7
	v_and_b32_e32 v7, 0xff0000, v7
	s_delay_alu instid0(VALU_DEP_4) | instskip(SKIP_2) | instid1(VALU_DEP_3)
	v_or3_b32 v9, 0, v9, v27
	v_and_b32_e32 v27, 0xff, v8
	v_or3_b32 v6, v6, 0, 0
	v_or3_b32 v7, v9, v7, v28
	s_delay_alu instid0(VALU_DEP_3)
	v_cmpx_eq_u16_e32 0, v27
	s_cbranch_execz .LBB1808_105
.LBB1808_103:                           ; =>This Inner Loop Header: Depth=1
	;;#ASMSTART
	global_load_dwordx4 v[6:9], v[25:26] off glc	
s_waitcnt vmcnt(0)
	;;#ASMEND
	v_and_b32_e32 v9, 0xff, v8
	s_delay_alu instid0(VALU_DEP_1) | instskip(SKIP_1) | instid1(SALU_CYCLE_1)
	v_cmp_ne_u16_e32 vcc_lo, 0, v9
	s_or_b32 s8, vcc_lo, s8
	s_and_not1_b32 exec_lo, exec_lo, s8
	s_cbranch_execnz .LBB1808_103
; %bb.104:
	s_or_b32 exec_lo, exec_lo, s8
.LBB1808_105:
	s_delay_alu instid0(SALU_CYCLE_1) | instskip(SKIP_3) | instid1(VALU_DEP_1)
	s_or_b32 exec_lo, exec_lo, s7
	v_cmp_ne_u32_e32 vcc_lo, 31, v82
	v_lshlrev_b32_e64 v92, v82, -1
	v_add_co_ci_u32_e32 v9, vcc_lo, 0, v82, vcc_lo
	v_lshlrev_b32_e32 v91, 2, v9
	ds_bpermute_b32 v25, v91, v7
	ds_bpermute_b32 v9, v91, v6
	s_waitcnt lgkmcnt(1)
	v_add_nc_u32_e32 v25, v25, v7
	v_and_b32_e32 v26, 0xff, v8
	s_waitcnt lgkmcnt(0)
	v_add_nc_u32_e32 v9, v9, v6
	s_delay_alu instid0(VALU_DEP_2) | instskip(SKIP_2) | instid1(VALU_DEP_2)
	v_cmp_eq_u16_e32 vcc_lo, 2, v26
	v_and_or_b32 v26, vcc_lo, v92, 0x80000000
	v_cmp_gt_u32_e32 vcc_lo, 30, v82
	v_ctz_i32_b32_e32 v26, v26
	v_cndmask_b32_e64 v27, 0, 1, vcc_lo
	s_delay_alu instid0(VALU_DEP_2) | instskip(NEXT) | instid1(VALU_DEP_2)
	v_cmp_lt_u32_e32 vcc_lo, v82, v26
	v_dual_cndmask_b32 v6, v6, v9 :: v_dual_lshlrev_b32 v27, 1, v27
	s_delay_alu instid0(VALU_DEP_1)
	v_add_lshl_u32 v93, v27, v82, 2
	v_cndmask_b32_e32 v7, v7, v25, vcc_lo
	v_cmp_gt_u32_e32 vcc_lo, 28, v82
	ds_bpermute_b32 v9, v93, v6
	ds_bpermute_b32 v25, v93, v7
	v_cndmask_b32_e64 v27, 0, 1, vcc_lo
	s_waitcnt lgkmcnt(1)
	v_add_nc_u32_e32 v9, v6, v9
	s_waitcnt lgkmcnt(0)
	v_add_nc_u32_e32 v25, v7, v25
	v_add_nc_u32_e32 v94, 2, v82
	s_delay_alu instid0(VALU_DEP_1) | instskip(NEXT) | instid1(VALU_DEP_3)
	v_cmp_gt_u32_e32 vcc_lo, v94, v26
	v_cndmask_b32_e32 v7, v25, v7, vcc_lo
	v_dual_cndmask_b32 v6, v9, v6 :: v_dual_lshlrev_b32 v27, 2, v27
	v_cmp_gt_u32_e32 vcc_lo, 24, v82
	s_delay_alu instid0(VALU_DEP_2) | instskip(SKIP_4) | instid1(VALU_DEP_1)
	v_add_lshl_u32 v95, v27, v82, 2
	v_cndmask_b32_e64 v27, 0, 1, vcc_lo
	ds_bpermute_b32 v25, v95, v7
	ds_bpermute_b32 v9, v95, v6
	v_lshlrev_b32_e32 v27, 3, v27
	v_add_lshl_u32 v97, v27, v82, 2
	s_waitcnt lgkmcnt(1)
	v_add_nc_u32_e32 v25, v7, v25
	v_add_nc_u32_e32 v96, 4, v82
	s_waitcnt lgkmcnt(0)
	v_add_nc_u32_e32 v9, v6, v9
	s_delay_alu instid0(VALU_DEP_2) | instskip(SKIP_1) | instid1(VALU_DEP_3)
	v_cmp_gt_u32_e32 vcc_lo, v96, v26
	v_cndmask_b32_e32 v7, v25, v7, vcc_lo
	v_cndmask_b32_e32 v6, v9, v6, vcc_lo
	v_cmp_gt_u32_e32 vcc_lo, 16, v82
	ds_bpermute_b32 v25, v97, v7
	ds_bpermute_b32 v9, v97, v6
	v_cndmask_b32_e64 v27, 0, 1, vcc_lo
	s_delay_alu instid0(VALU_DEP_1) | instskip(NEXT) | instid1(VALU_DEP_1)
	v_lshlrev_b32_e32 v27, 4, v27
	v_add_lshl_u32 v99, v27, v82, 2
	s_waitcnt lgkmcnt(1)
	v_add_nc_u32_e32 v25, v7, v25
	v_add_nc_u32_e32 v98, 8, v82
	s_waitcnt lgkmcnt(0)
	v_add_nc_u32_e32 v9, v6, v9
	s_delay_alu instid0(VALU_DEP_2) | instskip(SKIP_1) | instid1(VALU_DEP_3)
	v_cmp_gt_u32_e32 vcc_lo, v98, v26
	v_cndmask_b32_e32 v7, v25, v7, vcc_lo
	v_cndmask_b32_e32 v6, v9, v6, vcc_lo
	ds_bpermute_b32 v25, v99, v7
	ds_bpermute_b32 v9, v99, v6
	v_add_nc_u32_e32 v100, 16, v82
	s_delay_alu instid0(VALU_DEP_1) | instskip(SKIP_2) | instid1(VALU_DEP_1)
	v_cmp_le_u32_e32 vcc_lo, v100, v26
	s_waitcnt lgkmcnt(0)
	v_cndmask_b32_e32 v9, 0, v9, vcc_lo
	v_dual_cndmask_b32 v25, 0, v25 :: v_dual_add_nc_u32 v6, v9, v6
	s_delay_alu instid0(VALU_DEP_1)
	v_add_nc_u32_e32 v7, v25, v7
	v_mov_b32_e32 v25, 0
	s_branch .LBB1808_107
.LBB1808_106:                           ;   in Loop: Header=BB1808_107 Depth=1
	s_or_b32 exec_lo, exec_lo, s7
	ds_bpermute_b32 v9, v91, v6
	ds_bpermute_b32 v28, v91, v7
	v_subrev_nc_u32_e32 v24, 32, v24
	s_waitcnt lgkmcnt(1)
	v_add_nc_u32_e32 v9, v9, v6
	v_and_b32_e32 v29, 0xff, v8
	s_waitcnt lgkmcnt(0)
	v_add_nc_u32_e32 v28, v28, v7
	s_delay_alu instid0(VALU_DEP_2) | instskip(SKIP_1) | instid1(VALU_DEP_1)
	v_cmp_eq_u16_e32 vcc_lo, 2, v29
	v_and_or_b32 v29, vcc_lo, v92, 0x80000000
	v_ctz_i32_b32_e32 v29, v29
	s_delay_alu instid0(VALU_DEP_1)
	v_cmp_lt_u32_e32 vcc_lo, v82, v29
	v_cndmask_b32_e32 v6, v6, v9, vcc_lo
	ds_bpermute_b32 v9, v93, v6
	s_waitcnt lgkmcnt(0)
	v_add_nc_u32_e32 v9, v6, v9
	v_cndmask_b32_e32 v7, v7, v28, vcc_lo
	v_cmp_gt_u32_e32 vcc_lo, v94, v29
	s_delay_alu instid0(VALU_DEP_3)
	v_cndmask_b32_e32 v6, v9, v6, vcc_lo
	ds_bpermute_b32 v28, v93, v7
	ds_bpermute_b32 v9, v95, v6
	s_waitcnt lgkmcnt(1)
	v_add_nc_u32_e32 v28, v7, v28
	s_waitcnt lgkmcnt(0)
	v_add_nc_u32_e32 v9, v6, v9
	s_delay_alu instid0(VALU_DEP_2) | instskip(SKIP_1) | instid1(VALU_DEP_3)
	v_cndmask_b32_e32 v7, v28, v7, vcc_lo
	v_cmp_gt_u32_e32 vcc_lo, v96, v29
	v_cndmask_b32_e32 v6, v9, v6, vcc_lo
	ds_bpermute_b32 v28, v95, v7
	ds_bpermute_b32 v9, v97, v6
	s_waitcnt lgkmcnt(1)
	v_add_nc_u32_e32 v28, v7, v28
	s_waitcnt lgkmcnt(0)
	v_add_nc_u32_e32 v9, v6, v9
	s_delay_alu instid0(VALU_DEP_2) | instskip(SKIP_1) | instid1(VALU_DEP_3)
	v_cndmask_b32_e32 v7, v28, v7, vcc_lo
	v_cmp_gt_u32_e32 vcc_lo, v98, v29
	v_cndmask_b32_e32 v6, v9, v6, vcc_lo
	ds_bpermute_b32 v28, v97, v7
	ds_bpermute_b32 v9, v99, v6
	s_waitcnt lgkmcnt(1)
	v_add_nc_u32_e32 v28, v7, v28
	s_delay_alu instid0(VALU_DEP_1) | instskip(SKIP_4) | instid1(VALU_DEP_1)
	v_cndmask_b32_e32 v7, v28, v7, vcc_lo
	v_cmp_le_u32_e32 vcc_lo, v100, v29
	ds_bpermute_b32 v28, v99, v7
	s_waitcnt lgkmcnt(1)
	v_cndmask_b32_e32 v9, 0, v9, vcc_lo
	v_add3_u32 v6, v6, v26, v9
	s_waitcnt lgkmcnt(0)
	v_cndmask_b32_e32 v28, 0, v28, vcc_lo
	s_delay_alu instid0(VALU_DEP_1)
	v_add3_u32 v7, v7, v27, v28
.LBB1808_107:                           ; =>This Loop Header: Depth=1
                                        ;     Child Loop BB1808_110 Depth 2
	s_delay_alu instid0(VALU_DEP_1) | instskip(SKIP_1) | instid1(VALU_DEP_2)
	v_dual_mov_b32 v27, v7 :: v_dual_and_b32 v8, 0xff, v8
	v_mov_b32_e32 v26, v6
	v_cmp_ne_u16_e32 vcc_lo, 2, v8
	v_cndmask_b32_e64 v8, 0, 1, vcc_lo
	;;#ASMSTART
	;;#ASMEND
	s_delay_alu instid0(VALU_DEP_1)
	v_cmp_ne_u32_e32 vcc_lo, 0, v8
	s_cmp_lg_u32 vcc_lo, exec_lo
	s_cbranch_scc1 .LBB1808_112
; %bb.108:                              ;   in Loop: Header=BB1808_107 Depth=1
	v_lshlrev_b64 v[6:7], 4, v[24:25]
	s_mov_b32 s7, exec_lo
	s_delay_alu instid0(VALU_DEP_1) | instskip(NEXT) | instid1(VALU_DEP_2)
	v_add_co_u32 v28, vcc_lo, s36, v6
	v_add_co_ci_u32_e32 v29, vcc_lo, s37, v7, vcc_lo
	;;#ASMSTART
	global_load_dwordx4 v[6:9], v[28:29] off glc	
s_waitcnt vmcnt(0)
	;;#ASMEND
	v_and_b32_e32 v9, 0xff, v7
	v_and_b32_e32 v101, 0xff00, v7
	v_or3_b32 v6, v6, 0, 0
	v_and_b32_e32 v102, 0xff000000, v7
	v_and_b32_e32 v7, 0xff0000, v7
	s_delay_alu instid0(VALU_DEP_4) | instskip(SKIP_2) | instid1(VALU_DEP_3)
	v_or3_b32 v9, 0, v9, v101
	v_and_b32_e32 v101, 0xff, v8
	v_or3_b32 v6, v6, 0, 0
	v_or3_b32 v7, v9, v7, v102
	s_delay_alu instid0(VALU_DEP_3)
	v_cmpx_eq_u16_e32 0, v101
	s_cbranch_execz .LBB1808_106
; %bb.109:                              ;   in Loop: Header=BB1808_107 Depth=1
	s_mov_b32 s8, 0
.LBB1808_110:                           ;   Parent Loop BB1808_107 Depth=1
                                        ; =>  This Inner Loop Header: Depth=2
	;;#ASMSTART
	global_load_dwordx4 v[6:9], v[28:29] off glc	
s_waitcnt vmcnt(0)
	;;#ASMEND
	v_and_b32_e32 v9, 0xff, v8
	s_delay_alu instid0(VALU_DEP_1) | instskip(SKIP_1) | instid1(SALU_CYCLE_1)
	v_cmp_ne_u16_e32 vcc_lo, 0, v9
	s_or_b32 s8, vcc_lo, s8
	s_and_not1_b32 exec_lo, exec_lo, s8
	s_cbranch_execnz .LBB1808_110
; %bb.111:                              ;   in Loop: Header=BB1808_107 Depth=1
	s_or_b32 exec_lo, exec_lo, s8
	s_branch .LBB1808_106
.LBB1808_112:                           ;   in Loop: Header=BB1808_107 Depth=1
                                        ; implicit-def: $vgpr8
                                        ; implicit-def: $vgpr6_vgpr7
	s_cbranch_execz .LBB1808_107
; %bb.113:
	s_and_saveexec_b32 s7, s3
	s_cbranch_execnz .LBB1808_356
; %bb.114:
	s_or_b32 exec_lo, exec_lo, s7
	s_and_saveexec_b32 s7, s3
	s_cbranch_execnz .LBB1808_357
.LBB1808_115:
	s_or_b32 exec_lo, exec_lo, s7
	s_delay_alu instid0(SALU_CYCLE_1)
	s_and_b32 exec_lo, exec_lo, s2
	s_cbranch_execz .LBB1808_117
.LBB1808_116:
	v_mov_b32_e32 v5, 0
	ds_store_b64 v5, v[26:27] offset:56
.LBB1808_117:
	s_or_b32 exec_lo, exec_lo, s5
	s_waitcnt lgkmcnt(1)
	v_cndmask_b32_e64 v22, v89, v22, s3
	v_mov_b32_e32 v5, 0
	s_waitcnt lgkmcnt(0)
	s_barrier
	buffer_gl0_inv
	v_add_nc_u32_e64 v7, 0x3400, 0
	ds_load_b64 v[24:25], v5 offset:56
	s_waitcnt lgkmcnt(0)
	s_barrier
	buffer_gl0_inv
	ds_load_2addr_b32 v[5:6], v7 offset1:2
	ds_load_2addr_b32 v[7:8], v7 offset0:4 offset1:6
	v_cndmask_b32_e64 v9, v90, v23, s3
	v_add_nc_u32_e32 v22, v24, v22
	s_delay_alu instid0(VALU_DEP_2) | instskip(NEXT) | instid1(VALU_DEP_2)
	v_add_nc_u32_e32 v9, v25, v9
	v_cndmask_b32_e64 v22, v22, v24, s2
	s_delay_alu instid0(VALU_DEP_2)
	v_cndmask_b32_e64 v9, v9, v25, s2
	s_branch .LBB1808_128
.LBB1808_118:
                                        ; implicit-def: $vgpr9
                                        ; implicit-def: $vgpr7
                                        ; implicit-def: $vgpr5
                                        ; implicit-def: $vgpr22_vgpr23
	s_and_b32 vcc_lo, exec_lo, s5
	s_cbranch_vccz .LBB1808_128
; %bb.119:
	s_waitcnt lgkmcnt(1)
	v_mov_b32_dpp v6, v88 row_shr:1 row_mask:0xf bank_mask:0xf
	v_cmp_lt_u32_e32 vcc_lo, 3, v86
	v_mov_b32_dpp v5, v87 row_shr:1 row_mask:0xf bank_mask:0xf
	s_delay_alu instid0(VALU_DEP_3) | instskip(NEXT) | instid1(VALU_DEP_1)
	v_add_nc_u32_e32 v6, v6, v88
	v_cndmask_b32_e64 v6, v6, v88, s1
	s_waitcnt lgkmcnt(0)
	s_delay_alu instid0(VALU_DEP_1) | instskip(NEXT) | instid1(VALU_DEP_1)
	v_mov_b32_dpp v8, v6 row_shr:2 row_mask:0xf bank_mask:0xf
	v_add_nc_u32_e32 v8, v6, v8
	s_delay_alu instid0(VALU_DEP_1) | instskip(NEXT) | instid1(VALU_DEP_1)
	v_cndmask_b32_e64 v6, v6, v8, s0
	v_mov_b32_dpp v8, v6 row_shr:4 row_mask:0xf bank_mask:0xf
	s_delay_alu instid0(VALU_DEP_1) | instskip(NEXT) | instid1(VALU_DEP_1)
	v_add_nc_u32_e32 v8, v6, v8
	v_dual_cndmask_b32 v6, v6, v8 :: v_dual_add_nc_u32 v5, v5, v87
	s_delay_alu instid0(VALU_DEP_1) | instskip(NEXT) | instid1(VALU_DEP_2)
	v_cndmask_b32_e64 v5, v5, v87, s1
	v_mov_b32_dpp v8, v6 row_shr:8 row_mask:0xf bank_mask:0xf
	s_delay_alu instid0(VALU_DEP_2) | instskip(NEXT) | instid1(VALU_DEP_2)
	v_mov_b32_dpp v7, v5 row_shr:2 row_mask:0xf bank_mask:0xf
	v_add_nc_u32_e32 v8, v6, v8
	s_delay_alu instid0(VALU_DEP_2) | instskip(NEXT) | instid1(VALU_DEP_1)
	v_add_nc_u32_e32 v7, v5, v7
	v_cndmask_b32_e64 v5, v5, v7, s0
	s_mov_b32 s0, exec_lo
	s_delay_alu instid0(VALU_DEP_1) | instskip(NEXT) | instid1(VALU_DEP_1)
	v_mov_b32_dpp v7, v5 row_shr:4 row_mask:0xf bank_mask:0xf
	v_add_nc_u32_e32 v7, v5, v7
	s_delay_alu instid0(VALU_DEP_1) | instskip(SKIP_1) | instid1(VALU_DEP_2)
	v_cndmask_b32_e32 v5, v5, v7, vcc_lo
	v_cmp_lt_u32_e32 vcc_lo, 7, v86
	v_mov_b32_dpp v7, v5 row_shr:8 row_mask:0xf bank_mask:0xf
	s_delay_alu instid0(VALU_DEP_1) | instskip(NEXT) | instid1(VALU_DEP_1)
	v_dual_cndmask_b32 v6, v6, v8 :: v_dual_add_nc_u32 v7, v5, v7
	v_cndmask_b32_e32 v5, v5, v7, vcc_lo
	ds_swizzle_b32 v7, v6 offset:swizzle(BROADCAST,32,15)
	v_cmp_eq_u32_e32 vcc_lo, 0, v85
	ds_swizzle_b32 v8, v5 offset:swizzle(BROADCAST,32,15)
	s_waitcnt lgkmcnt(1)
	v_add_nc_u32_e32 v7, v6, v7
	s_waitcnt lgkmcnt(0)
	v_add_nc_u32_e32 v8, v5, v8
	s_delay_alu instid0(VALU_DEP_1)
	v_dual_cndmask_b32 v6, v7, v6 :: v_dual_cndmask_b32 v5, v8, v5
	v_cmpx_eq_u32_e64 v84, v0
	s_cbranch_execz .LBB1808_121
; %bb.120:
	v_lshlrev_b32_e32 v7, 3, v83
	ds_store_b64 v7, v[5:6]
.LBB1808_121:
	s_or_b32 exec_lo, exec_lo, s0
	s_delay_alu instid0(SALU_CYCLE_1)
	s_mov_b32 s0, exec_lo
	s_waitcnt lgkmcnt(0)
	s_barrier
	buffer_gl0_inv
	v_cmpx_gt_u32_e32 8, v0
	s_cbranch_execz .LBB1808_123
; %bb.122:
	v_lshlrev_b32_e32 v9, 3, v0
	ds_load_b64 v[7:8], v9
	s_waitcnt lgkmcnt(0)
	v_mov_b32_dpp v22, v7 row_shr:1 row_mask:0xf bank_mask:0xf
	v_mov_b32_dpp v23, v8 row_shr:1 row_mask:0xf bank_mask:0xf
	s_delay_alu instid0(VALU_DEP_2) | instskip(SKIP_1) | instid1(VALU_DEP_3)
	v_add_nc_u32_e32 v22, v22, v7
	v_and_b32_e32 v24, 7, v82
	v_add_nc_u32_e32 v23, v23, v8
	s_delay_alu instid0(VALU_DEP_2) | instskip(NEXT) | instid1(VALU_DEP_2)
	v_cmp_eq_u32_e32 vcc_lo, 0, v24
	v_dual_cndmask_b32 v8, v23, v8 :: v_dual_cndmask_b32 v7, v22, v7
	v_cmp_lt_u32_e32 vcc_lo, 1, v24
	s_delay_alu instid0(VALU_DEP_2) | instskip(NEXT) | instid1(VALU_DEP_3)
	v_mov_b32_dpp v23, v8 row_shr:2 row_mask:0xf bank_mask:0xf
	v_mov_b32_dpp v22, v7 row_shr:2 row_mask:0xf bank_mask:0xf
	s_delay_alu instid0(VALU_DEP_2) | instskip(NEXT) | instid1(VALU_DEP_2)
	v_add_nc_u32_e32 v23, v8, v23
	v_add_nc_u32_e32 v22, v7, v22
	s_delay_alu instid0(VALU_DEP_1) | instskip(SKIP_1) | instid1(VALU_DEP_2)
	v_dual_cndmask_b32 v8, v8, v23 :: v_dual_cndmask_b32 v7, v7, v22
	v_cmp_lt_u32_e32 vcc_lo, 3, v24
	v_mov_b32_dpp v23, v8 row_shr:4 row_mask:0xf bank_mask:0xf
	s_delay_alu instid0(VALU_DEP_3) | instskip(NEXT) | instid1(VALU_DEP_1)
	v_mov_b32_dpp v22, v7 row_shr:4 row_mask:0xf bank_mask:0xf
	v_dual_cndmask_b32 v23, 0, v23 :: v_dual_cndmask_b32 v22, 0, v22
	s_delay_alu instid0(VALU_DEP_1) | instskip(NEXT) | instid1(VALU_DEP_2)
	v_add_nc_u32_e32 v8, v23, v8
	v_add_nc_u32_e32 v7, v22, v7
	ds_store_b64 v9, v[7:8]
.LBB1808_123:
	s_or_b32 exec_lo, exec_lo, s0
	v_dual_mov_b32 v7, 0 :: v_dual_mov_b32 v22, 0
	v_mov_b32_e32 v23, 0
	s_mov_b32 s0, exec_lo
	s_waitcnt lgkmcnt(0)
	s_barrier
	buffer_gl0_inv
	v_cmpx_lt_u32_e32 31, v0
	s_cbranch_execz .LBB1808_125
; %bb.124:
	v_lshl_add_u32 v8, v83, 3, -8
	ds_load_b64 v[22:23], v8
.LBB1808_125:
	s_or_b32 exec_lo, exec_lo, s0
	v_add_nc_u32_e32 v8, -1, v82
	s_waitcnt lgkmcnt(0)
	v_add_nc_u32_e32 v24, v23, v6
	v_add_nc_u32_e32 v9, v22, v5
	ds_load_b64 v[5:6], v7 offset:56
	v_cmp_gt_i32_e32 vcc_lo, 0, v8
	v_cndmask_b32_e32 v8, v8, v82, vcc_lo
	s_delay_alu instid0(VALU_DEP_1)
	v_lshlrev_b32_e32 v8, 2, v8
	ds_bpermute_b32 v9, v8, v9
	ds_bpermute_b32 v24, v8, v24
	s_waitcnt lgkmcnt(2)
	v_readfirstlane_b32 s0, v6
	s_and_saveexec_b32 s1, s2
	s_cbranch_execz .LBB1808_127
; %bb.126:
	s_mov_b32 s8, 0
	s_add_u32 s6, s36, 0x200
	s_addc_u32 s7, s37, 0
	s_and_b32 s9, s0, 0xff000000
	s_and_b32 s11, s0, 0xff0000
	s_mov_b32 s10, s8
	v_mov_b32_e32 v26, s7
	s_or_b64 s[10:11], s[10:11], s[8:9]
	s_and_b32 s9, s0, 0xff00
	v_dual_mov_b32 v8, 0 :: v_dual_mov_b32 v25, s6
	s_or_b64 s[10:11], s[10:11], s[8:9]
	s_and_b32 s9, s0, 0xff
	v_mov_b32_e32 v7, 2
	s_or_b64 s[8:9], s[10:11], s[8:9]
	s_delay_alu instid0(SALU_CYCLE_1)
	v_mov_b32_e32 v6, s9
	;;#ASMSTART
	global_store_dwordx4 v[25:26], v[5:8] off	
s_waitcnt vmcnt(0)
	;;#ASMEND
.LBB1808_127:
	s_or_b32 exec_lo, exec_lo, s1
	v_cmp_eq_u32_e32 vcc_lo, 0, v82
	v_dual_mov_b32 v7, 0 :: v_dual_mov_b32 v6, s0
	s_waitcnt lgkmcnt(0)
	s_barrier
	v_dual_cndmask_b32 v8, v9, v22 :: v_dual_cndmask_b32 v9, v24, v23
	buffer_gl0_inv
	v_cndmask_b32_e64 v22, v8, 0, s2
	v_cndmask_b32_e64 v9, v9, 0, s2
	v_mov_b32_e32 v8, 0
.LBB1808_128:
	s_delay_alu instid0(VALU_DEP_1) | instskip(SKIP_1) | instid1(VALU_DEP_2)
	v_add_nc_u32_e32 v24, v9, v81
	s_waitcnt lgkmcnt(0)
	v_sub_nc_u32_e32 v9, v9, v8
	v_add_co_u32 v1, vcc_lo, v1, v7
	v_and_b32_e32 v35, 1, v35
	v_add_nc_u32_e32 v26, v24, v77
	v_sub_nc_u32_e32 v24, v24, v8
	v_lshlrev_b32_e32 v77, 1, v5
	v_add_nc_u32_e32 v9, v9, v5
	v_add_co_ci_u32_e32 v2, vcc_lo, 0, v2, vcc_lo
	v_add_nc_u32_e32 v28, v26, v79
	s_delay_alu instid0(VALU_DEP_4)
	v_add3_u32 v33, v77, v6, v33
	v_and_b32_e32 v40, 1, v40
	v_and_b32_e32 v37, 1, v37
	;; [unrolled: 1-line block ×3, first 2 shown]
	v_add_nc_u32_e32 v29, v28, v75
	v_sub_nc_u32_e32 v28, v28, v8
	v_sub_co_u32 v75, vcc_lo, v3, v5
	s_add_u32 s1, s14, -4
	s_delay_alu instid0(VALU_DEP_3) | instskip(SKIP_4) | instid1(VALU_DEP_3)
	v_add_nc_u32_e32 v73, v29, v73
	v_sub_nc_u32_e32 v29, v29, v8
	v_add_nc_u32_e32 v28, v28, v5
	v_add_nc_u32_e32 v24, v24, v5
	s_mov_b32 s3, -1
	v_add_nc_u32_e32 v29, v29, v5
	v_add_nc_u32_e32 v23, v22, v80
	v_sub_nc_u32_e32 v22, v22, v7
	s_delay_alu instid0(VALU_DEP_2) | instskip(SKIP_3) | instid1(VALU_DEP_3)
	v_add_nc_u32_e32 v25, v23, v76
	v_sub_nc_u32_e32 v23, v23, v7
	v_subrev_co_ci_u32_e32 v76, vcc_lo, 0, v4, vcc_lo
	v_cmp_eq_u32_e32 vcc_lo, 1, v35
	v_add_nc_u32_e32 v79, v24, v23
	s_delay_alu instid0(VALU_DEP_1) | instskip(NEXT) | instid1(VALU_DEP_1)
	v_sub_nc_u32_e32 v79, v33, v79
	v_add_nc_u32_e32 v79, 1, v79
	v_add_nc_u32_e32 v27, v25, v78
	;; [unrolled: 1-line block ×3, first 2 shown]
	s_delay_alu instid0(VALU_DEP_1) | instskip(NEXT) | instid1(VALU_DEP_1)
	v_sub_nc_u32_e32 v78, v33, v78
	v_dual_cndmask_b32 v9, v78, v9 :: v_dual_and_b32 v34, 1, v34
	v_cmp_eq_u32_e32 vcc_lo, 1, v40
	v_cndmask_b32_e32 v24, v79, v24, vcc_lo
	s_delay_alu instid0(VALU_DEP_3) | instskip(NEXT) | instid1(VALU_DEP_4)
	v_cmp_eq_u32_e32 vcc_lo, 1, v34
	v_cndmask_b32_e32 v9, v9, v22, vcc_lo
	v_sub_nc_u32_e32 v26, v26, v8
	v_cmp_eq_u32_e32 vcc_lo, 1, v37
	v_and_b32_e32 v37, 1, v38
	s_delay_alu instid0(VALU_DEP_4) | instskip(NEXT) | instid1(VALU_DEP_4)
	v_lshlrev_b32_e32 v9, 2, v9
	v_add_nc_u32_e32 v26, v26, v5
	v_cndmask_b32_e32 v24, v24, v23, vcc_lo
	v_sub_nc_u32_e32 v25, v25, v7
	v_add_co_u32 v22, vcc_lo, v75, v8
	v_add_co_ci_u32_e32 v23, vcc_lo, 0, v76, vcc_lo
	s_delay_alu instid0(VALU_DEP_3)
	v_add_nc_u32_e32 v34, v26, v25
	v_cmp_eq_u32_e32 vcc_lo, 1, v37
	v_lshlrev_b32_e32 v24, 2, v24
	ds_store_b32 v9, v20
	v_sub_nc_u32_e32 v34, v33, v34
	ds_store_b32 v24, v21
	v_and_b32_e32 v24, 1, v39
	v_add_nc_u32_e32 v34, 2, v34
	s_delay_alu instid0(VALU_DEP_1) | instskip(SKIP_3) | instid1(VALU_DEP_4)
	v_cndmask_b32_e32 v26, v34, v26, vcc_lo
	v_cmp_eq_u32_e32 vcc_lo, 1, v36
	v_add_nc_u32_e32 v74, v27, v74
	v_sub_nc_u32_e32 v27, v27, v7
	v_cndmask_b32_e32 v25, v26, v25, vcc_lo
	s_delay_alu instid0(VALU_DEP_3) | instskip(NEXT) | instid1(VALU_DEP_3)
	v_sub_nc_u32_e32 v37, v74, v7
	v_add_nc_u32_e32 v34, v27, v28
	v_cmp_eq_u32_e32 vcc_lo, 1, v24
	v_sub_nc_u32_e32 v26, v73, v8
	v_lshlrev_b32_e32 v21, 2, v25
	v_and_b32_e32 v25, 1, v41
	v_sub_nc_u32_e32 v9, v33, v34
	v_add_nc_u32_e32 v20, v37, v29
	v_and_b32_e32 v24, 1, v42
	v_add_nc_u32_e32 v26, v26, v5
	ds_store_b32 v21, v18
	v_add_nc_u32_e32 v9, 3, v9
	v_sub_nc_u32_e32 v20, v33, v20
	s_delay_alu instid0(VALU_DEP_2) | instskip(SKIP_2) | instid1(VALU_DEP_4)
	v_cndmask_b32_e32 v9, v9, v28, vcc_lo
	v_cmp_eq_u32_e32 vcc_lo, 1, v25
	v_add_nc_u32_e32 v72, v74, v72
	v_add_nc_u32_e32 v20, 4, v20
	v_and_b32_e32 v25, 1, v43
	v_cndmask_b32_e32 v9, v9, v27, vcc_lo
	s_delay_alu instid0(VALU_DEP_4)
	v_sub_nc_u32_e32 v28, v72, v7
	v_cmp_eq_u32_e32 vcc_lo, 1, v24
	v_and_b32_e32 v24, 1, v44
	v_add_nc_u32_e32 v70, v72, v70
	v_lshlrev_b32_e32 v9, 2, v9
	v_add_nc_u32_e32 v27, v28, v26
	v_cndmask_b32_e32 v20, v20, v29, vcc_lo
	v_cmp_eq_u32_e32 vcc_lo, 1, v25
	v_and_b32_e32 v25, 1, v45
	v_add_nc_u32_e32 v64, v70, v64
	v_sub_nc_u32_e32 v18, v33, v27
	v_sub_nc_u32_e32 v27, v70, v7
	v_cndmask_b32_e32 v20, v20, v37, vcc_lo
	v_cmp_eq_u32_e32 vcc_lo, 1, v24
	ds_store_b32 v9, v19
	v_add_nc_u32_e32 v18, 5, v18
	v_and_b32_e32 v19, 1, v46
	v_lshlrev_b32_e32 v20, 2, v20
	v_add_nc_u32_e32 v68, v64, v68
	s_delay_alu instid0(VALU_DEP_4)
	v_cndmask_b32_e32 v18, v18, v26, vcc_lo
	v_cmp_eq_u32_e32 vcc_lo, 1, v25
	v_sub_nc_u32_e32 v25, v64, v7
	ds_store_b32 v20, v16
	v_and_b32_e32 v20, 1, v49
	v_add_nc_u32_e32 v66, v68, v66
	v_dual_cndmask_b32 v18, v18, v28 :: v_dual_add_nc_u32 v71, v73, v71
	v_cmp_eq_u32_e32 vcc_lo, 1, v19
	v_and_b32_e32 v19, 1, v48
	s_delay_alu instid0(VALU_DEP_4) | instskip(NEXT) | instid1(VALU_DEP_4)
	v_add_nc_u32_e32 v61, v66, v61
	v_lshlrev_b32_e32 v18, 2, v18
	v_add_nc_u32_e32 v65, v71, v65
	v_sub_nc_u32_e32 v21, v71, v8
	s_delay_alu instid0(VALU_DEP_4)
	v_add_nc_u32_e32 v60, v61, v60
	ds_store_b32 v18, v17
	v_sub_nc_u32_e32 v24, v65, v8
	v_add_nc_u32_e32 v21, v21, v5
	v_add_nc_u32_e32 v69, v65, v69
	v_and_b32_e32 v17, 1, v47
	s_delay_alu instid0(VALU_DEP_4) | instskip(NEXT) | instid1(VALU_DEP_4)
	v_add_nc_u32_e32 v24, v24, v5
	v_add_nc_u32_e32 v26, v27, v21
	s_delay_alu instid0(VALU_DEP_4) | instskip(NEXT) | instid1(VALU_DEP_3)
	v_sub_nc_u32_e32 v18, v69, v8
	v_add_nc_u32_e32 v16, v25, v24
	s_delay_alu instid0(VALU_DEP_3) | instskip(NEXT) | instid1(VALU_DEP_3)
	v_sub_nc_u32_e32 v9, v33, v26
	v_add_nc_u32_e32 v18, v18, v5
	v_sub_nc_u32_e32 v26, v60, v7
	s_delay_alu instid0(VALU_DEP_4) | instskip(NEXT) | instid1(VALU_DEP_4)
	v_sub_nc_u32_e32 v16, v33, v16
	v_add_nc_u32_e32 v9, 6, v9
	s_delay_alu instid0(VALU_DEP_1) | instskip(SKIP_2) | instid1(VALU_DEP_3)
	v_dual_cndmask_b32 v9, v9, v21 :: v_dual_add_nc_u32 v16, 7, v16
	v_cmp_eq_u32_e32 vcc_lo, 1, v19
	v_sub_nc_u32_e32 v21, v68, v7
	v_cndmask_b32_e32 v16, v16, v24, vcc_lo
	v_cmp_eq_u32_e32 vcc_lo, 1, v17
	s_delay_alu instid0(VALU_DEP_3) | instskip(SKIP_3) | instid1(VALU_DEP_4)
	v_add_nc_u32_e32 v17, v21, v18
	v_cndmask_b32_e32 v9, v9, v27, vcc_lo
	v_cmp_eq_u32_e32 vcc_lo, 1, v20
	v_add_nc_u32_e32 v67, v69, v67
	v_sub_nc_u32_e32 v17, v33, v17
	v_sub_nc_u32_e32 v20, v66, v7
	v_lshlrev_b32_e32 v9, 2, v9
	v_cndmask_b32_e32 v16, v16, v25, vcc_lo
	v_sub_nc_u32_e32 v19, v67, v8
	v_add_nc_u32_e32 v62, v67, v62
	v_sub_nc_u32_e32 v25, v61, v7
	ds_store_b32 v9, v14
	v_and_b32_e32 v9, 1, v50
	v_add_nc_u32_e32 v19, v19, v5
	v_add_nc_u32_e32 v14, 8, v17
	v_lshlrev_b32_e32 v16, 2, v16
	v_add_nc_u32_e32 v63, v62, v63
	v_cmp_eq_u32_e32 vcc_lo, 1, v9
	v_add_nc_u32_e32 v17, v20, v19
	ds_store_b32 v16, v15
	v_and_b32_e32 v15, 1, v51
	v_cndmask_b32_e32 v9, v14, v18, vcc_lo
	v_sub_nc_u32_e32 v14, v33, v17
	v_and_b32_e32 v18, 1, v52
	v_sub_nc_u32_e32 v17, v62, v8
	v_and_b32_e32 v16, 1, v54
	v_sub_nc_u32_e32 v24, v63, v8
	v_add_nc_u32_e32 v14, 9, v14
	v_cmp_eq_u32_e32 vcc_lo, 1, v18
	v_add_nc_u32_e32 v17, v17, v5
	v_add_nc_u32_e32 v35, v63, v59
	;; [unrolled: 1-line block ×3, first 2 shown]
	v_cndmask_b32_e32 v14, v14, v19, vcc_lo
	v_cmp_eq_u32_e32 vcc_lo, 1, v15
	v_add_nc_u32_e32 v15, v25, v17
	s_delay_alu instid0(VALU_DEP_4)
	v_add_nc_u32_e32 v18, v26, v24
	v_and_b32_e32 v19, 1, v55
	v_cndmask_b32_e32 v9, v9, v21, vcc_lo
	v_cmp_eq_u32_e32 vcc_lo, 1, v16
	v_sub_nc_u32_e32 v15, v33, v15
	v_sub_nc_u32_e32 v18, v33, v18
	v_and_b32_e32 v21, 1, v57
	v_sub_nc_u32_e32 v16, v35, v8
	v_cndmask_b32_e32 v14, v14, v20, vcc_lo
	v_and_b32_e32 v20, 1, v53
	v_add_nc_u32_e32 v15, 10, v15
	v_add_nc_u32_e32 v18, 11, v18
	;; [unrolled: 1-line block ×3, first 2 shown]
	v_lshlrev_b32_e32 v9, 2, v9
	v_cmp_eq_u32_e32 vcc_lo, 1, v20
	v_dual_cndmask_b32 v15, v15, v17 :: v_dual_lshlrev_b32 v14, 2, v14
	v_cmp_eq_u32_e32 vcc_lo, 1, v21
	v_and_b32_e32 v17, 1, v56
	v_cndmask_b32_e32 v18, v18, v24, vcc_lo
	v_cmp_eq_u32_e32 vcc_lo, 1, v19
	v_cndmask_b32_e32 v15, v15, v25, vcc_lo
	s_delay_alu instid0(VALU_DEP_4) | instskip(NEXT) | instid1(VALU_DEP_2)
	v_cmp_eq_u32_e32 vcc_lo, 1, v17
	v_lshlrev_b32_e32 v15, 2, v15
	v_cndmask_b32_e32 v17, v18, v26, vcc_lo
	v_add_nc_u32_e32 v40, v60, v58
	s_delay_alu instid0(VALU_DEP_2) | instskip(NEXT) | instid1(VALU_DEP_2)
	v_lshlrev_b32_e32 v17, 2, v17
	v_sub_nc_u32_e32 v7, v40, v7
	ds_store_b32 v9, v12
	ds_store_b32 v14, v13
	;; [unrolled: 1-line block ×4, first 2 shown]
	v_add_co_u32 v9, s0, v6, v77
	s_delay_alu instid0(VALU_DEP_1) | instskip(SKIP_1) | instid1(VALU_DEP_3)
	v_add_co_ci_u32_e64 v10, null, 0, 0, s0
	v_add_nc_u32_e32 v27, v7, v16
	v_add_co_u32 v9, vcc_lo, v9, v22
	s_delay_alu instid0(VALU_DEP_3) | instskip(NEXT) | instid1(VALU_DEP_3)
	v_add_co_ci_u32_e32 v10, vcc_lo, v10, v23, vcc_lo
	v_sub_nc_u32_e32 v20, v33, v27
	v_add_co_u32 v11, s0, s34, v30
	s_delay_alu instid0(VALU_DEP_4) | instskip(NEXT) | instid1(VALU_DEP_3)
	v_add_co_u32 v9, vcc_lo, v9, v1
	v_add_nc_u32_e32 v18, 12, v20
	v_add_co_ci_u32_e64 v12, null, s35, 0, s0
	v_add_co_ci_u32_e32 v10, vcc_lo, v10, v2, vcc_lo
	s_delay_alu instid0(VALU_DEP_3) | instskip(SKIP_1) | instid1(VALU_DEP_2)
	v_cndmask_b32_e64 v16, v18, v16, s33
	v_add_nc_u32_e32 v14, v5, v6
	v_cndmask_b32_e64 v7, v16, v7, s27
	s_delay_alu instid0(VALU_DEP_1)
	v_lshlrev_b32_e32 v7, 2, v7
	ds_store_b32 v7, v32
	v_sub_co_u32 v7, vcc_lo, v11, v9
	v_sub_co_ci_u32_e32 v13, vcc_lo, v12, v10, vcc_lo
	v_lshlrev_b64 v[9:10], 2, v[22:23]
	v_lshlrev_b64 v[11:12], 2, v[1:2]
	s_waitcnt lgkmcnt(0)
	s_barrier
	buffer_gl0_inv
	v_add_co_u32 v9, vcc_lo, s30, v9
	v_add_co_ci_u32_e32 v10, vcc_lo, s31, v10, vcc_lo
	v_cmp_ne_u32_e32 vcc_lo, 1, v31
	v_add_co_u32 v11, s0, s28, v11
	s_delay_alu instid0(VALU_DEP_1)
	v_add_co_ci_u32_e64 v12, s0, s29, v12, s0
	s_addc_u32 s0, s15, -1
	s_cbranch_vccz .LBB1808_132
; %bb.129:
	s_and_b32 vcc_lo, exec_lo, s3
	s_cbranch_vccnz .LBB1808_237
.LBB1808_130:
	s_and_b32 s0, s2, s13
	s_delay_alu instid0(SALU_CYCLE_1)
	s_and_saveexec_b32 s1, s0
	s_cbranch_execnz .LBB1808_355
.LBB1808_131:
	s_nop 0
	s_sendmsg sendmsg(MSG_DEALLOC_VGPRS)
	s_endpgm
.LBB1808_132:
	s_mov_b32 s3, exec_lo
	v_cmpx_le_u32_e64 v5, v0
	s_xor_b32 s3, exec_lo, s3
	s_cbranch_execz .LBB1808_138
; %bb.133:
	s_mov_b32 s5, exec_lo
	v_cmpx_le_u32_e64 v14, v0
	s_xor_b32 s5, exec_lo, s5
	s_cbranch_execz .LBB1808_135
; %bb.134:
	v_lshlrev_b32_e32 v15, 2, v0
	ds_load_b32 v17, v15
	v_add_co_u32 v15, vcc_lo, v7, v0
	v_add_co_ci_u32_e32 v16, vcc_lo, 0, v13, vcc_lo
	s_delay_alu instid0(VALU_DEP_1) | instskip(NEXT) | instid1(VALU_DEP_1)
	v_lshlrev_b64 v[15:16], 2, v[15:16]
	v_sub_co_u32 v15, vcc_lo, s14, v15
	s_delay_alu instid0(VALU_DEP_2)
	v_sub_co_ci_u32_e32 v16, vcc_lo, s15, v16, vcc_lo
	s_waitcnt lgkmcnt(0)
	global_store_b32 v[15:16], v17, off offset:-4
.LBB1808_135:
	s_and_not1_saveexec_b32 s5, s5
	s_cbranch_execz .LBB1808_137
; %bb.136:
	v_lshlrev_b32_e32 v15, 2, v0
	v_readfirstlane_b32 s6, v9
	v_readfirstlane_b32 s7, v10
	ds_load_b32 v16, v15
	s_waitcnt lgkmcnt(0)
	global_store_b32 v15, v16, s[6:7]
.LBB1808_137:
	s_or_b32 exec_lo, exec_lo, s5
.LBB1808_138:
	s_and_not1_saveexec_b32 s3, s3
	s_cbranch_execz .LBB1808_140
; %bb.139:
	v_lshlrev_b32_e32 v15, 2, v0
	v_readfirstlane_b32 s6, v11
	v_readfirstlane_b32 s7, v12
	ds_load_b32 v16, v15
	s_waitcnt lgkmcnt(0)
	global_store_b32 v15, v16, s[6:7]
.LBB1808_140:
	s_or_b32 exec_lo, exec_lo, s3
	v_or_b32_e32 v15, 0x100, v0
	s_mov_b32 s3, exec_lo
	s_delay_alu instid0(VALU_DEP_1)
	v_cmpx_le_u32_e64 v5, v15
	s_xor_b32 s3, exec_lo, s3
	s_cbranch_execz .LBB1808_146
; %bb.141:
	s_mov_b32 s5, exec_lo
	v_cmpx_le_u32_e64 v14, v15
	s_xor_b32 s5, exec_lo, s5
	s_cbranch_execz .LBB1808_143
; %bb.142:
	v_lshlrev_b32_e32 v15, 2, v0
	ds_load_b32 v17, v15 offset:1024
	v_add_co_u32 v15, vcc_lo, v7, v0
	v_add_co_ci_u32_e32 v16, vcc_lo, 0, v13, vcc_lo
	s_delay_alu instid0(VALU_DEP_1) | instskip(NEXT) | instid1(VALU_DEP_1)
	v_lshlrev_b64 v[15:16], 2, v[15:16]
	v_sub_co_u32 v15, vcc_lo, s1, v15
	s_delay_alu instid0(VALU_DEP_2)
	v_sub_co_ci_u32_e32 v16, vcc_lo, s0, v16, vcc_lo
	s_waitcnt lgkmcnt(0)
	global_store_b32 v[15:16], v17, off offset:-1024
.LBB1808_143:
	s_and_not1_saveexec_b32 s5, s5
	s_cbranch_execz .LBB1808_145
; %bb.144:
	v_lshlrev_b32_e32 v15, 2, v0
	v_readfirstlane_b32 s6, v9
	v_readfirstlane_b32 s7, v10
	ds_load_b32 v16, v15 offset:1024
	s_waitcnt lgkmcnt(0)
	global_store_b32 v15, v16, s[6:7] offset:1024
.LBB1808_145:
	s_or_b32 exec_lo, exec_lo, s5
.LBB1808_146:
	s_and_not1_saveexec_b32 s3, s3
	s_cbranch_execz .LBB1808_148
; %bb.147:
	v_lshlrev_b32_e32 v15, 2, v0
	v_readfirstlane_b32 s6, v11
	v_readfirstlane_b32 s7, v12
	ds_load_b32 v16, v15 offset:1024
	s_waitcnt lgkmcnt(0)
	global_store_b32 v15, v16, s[6:7] offset:1024
.LBB1808_148:
	s_or_b32 exec_lo, exec_lo, s3
	v_or_b32_e32 v15, 0x200, v0
	s_mov_b32 s3, exec_lo
	s_delay_alu instid0(VALU_DEP_1)
	v_cmpx_le_u32_e64 v5, v15
	s_xor_b32 s3, exec_lo, s3
	s_cbranch_execz .LBB1808_154
; %bb.149:
	s_mov_b32 s5, exec_lo
	v_cmpx_le_u32_e64 v14, v15
	s_xor_b32 s5, exec_lo, s5
	s_cbranch_execz .LBB1808_151
; %bb.150:
	v_lshlrev_b32_e32 v15, 2, v0
	ds_load_b32 v17, v15 offset:2048
	v_add_co_u32 v15, vcc_lo, v7, v0
	v_add_co_ci_u32_e32 v16, vcc_lo, 0, v13, vcc_lo
	s_delay_alu instid0(VALU_DEP_1) | instskip(NEXT) | instid1(VALU_DEP_1)
	v_lshlrev_b64 v[15:16], 2, v[15:16]
	v_sub_co_u32 v15, vcc_lo, s1, v15
	s_delay_alu instid0(VALU_DEP_2)
	v_sub_co_ci_u32_e32 v16, vcc_lo, s0, v16, vcc_lo
	s_waitcnt lgkmcnt(0)
	global_store_b32 v[15:16], v17, off offset:-2048
.LBB1808_151:
	s_and_not1_saveexec_b32 s5, s5
	s_cbranch_execz .LBB1808_153
; %bb.152:
	v_lshlrev_b32_e32 v15, 2, v0
	v_readfirstlane_b32 s6, v9
	v_readfirstlane_b32 s7, v10
	ds_load_b32 v16, v15 offset:2048
	s_waitcnt lgkmcnt(0)
	global_store_b32 v15, v16, s[6:7] offset:2048
.LBB1808_153:
	s_or_b32 exec_lo, exec_lo, s5
.LBB1808_154:
	s_and_not1_saveexec_b32 s3, s3
	s_cbranch_execz .LBB1808_156
; %bb.155:
	v_lshlrev_b32_e32 v15, 2, v0
	v_readfirstlane_b32 s6, v11
	v_readfirstlane_b32 s7, v12
	ds_load_b32 v16, v15 offset:2048
	s_waitcnt lgkmcnt(0)
	global_store_b32 v15, v16, s[6:7] offset:2048
.LBB1808_156:
	;; [unrolled: 47-line block ×3, first 2 shown]
	s_or_b32 exec_lo, exec_lo, s3
	v_or_b32_e32 v15, 0x400, v0
	s_mov_b32 s3, exec_lo
	s_delay_alu instid0(VALU_DEP_1)
	v_cmpx_le_u32_e64 v5, v15
	s_xor_b32 s3, exec_lo, s3
	s_cbranch_execz .LBB1808_170
; %bb.165:
	s_mov_b32 s5, exec_lo
	v_cmpx_le_u32_e64 v14, v15
	s_xor_b32 s5, exec_lo, s5
	s_cbranch_execz .LBB1808_167
; %bb.166:
	v_lshlrev_b32_e32 v15, 2, v0
	ds_load_b32 v17, v15 offset:4096
	v_add_co_u32 v15, vcc_lo, v7, v0
	v_add_co_ci_u32_e32 v16, vcc_lo, 0, v13, vcc_lo
	s_delay_alu instid0(VALU_DEP_1) | instskip(NEXT) | instid1(VALU_DEP_1)
	v_lshlrev_b64 v[15:16], 2, v[15:16]
	v_sub_co_u32 v15, vcc_lo, s1, v15
	s_delay_alu instid0(VALU_DEP_2)
	v_sub_co_ci_u32_e32 v16, vcc_lo, s0, v16, vcc_lo
	s_waitcnt lgkmcnt(0)
	global_store_b32 v[15:16], v17, off offset:-4096
                                        ; implicit-def: $vgpr15
.LBB1808_167:
	s_and_not1_saveexec_b32 s5, s5
	s_cbranch_execz .LBB1808_169
; %bb.168:
	v_lshlrev_b32_e32 v16, 2, v0
	v_lshlrev_b32_e32 v15, 2, v15
	v_readfirstlane_b32 s6, v9
	v_readfirstlane_b32 s7, v10
	ds_load_b32 v16, v16 offset:4096
	s_waitcnt lgkmcnt(0)
	global_store_b32 v15, v16, s[6:7]
.LBB1808_169:
	s_or_b32 exec_lo, exec_lo, s5
                                        ; implicit-def: $vgpr15
.LBB1808_170:
	s_and_not1_saveexec_b32 s3, s3
	s_cbranch_execz .LBB1808_172
; %bb.171:
	v_lshlrev_b32_e32 v16, 2, v0
	v_lshlrev_b32_e32 v15, 2, v15
	v_readfirstlane_b32 s6, v11
	v_readfirstlane_b32 s7, v12
	ds_load_b32 v16, v16 offset:4096
	s_waitcnt lgkmcnt(0)
	global_store_b32 v15, v16, s[6:7]
.LBB1808_172:
	s_or_b32 exec_lo, exec_lo, s3
	v_or_b32_e32 v15, 0x500, v0
	s_mov_b32 s3, exec_lo
	s_delay_alu instid0(VALU_DEP_1)
	v_cmpx_le_u32_e64 v5, v15
	s_xor_b32 s3, exec_lo, s3
	s_cbranch_execz .LBB1808_178
; %bb.173:
	s_mov_b32 s5, exec_lo
	v_cmpx_le_u32_e64 v14, v15
	s_xor_b32 s5, exec_lo, s5
	s_cbranch_execz .LBB1808_175
; %bb.174:
	v_lshlrev_b32_e32 v16, 2, v0
	v_add_co_u32 v15, vcc_lo, v7, v15
	ds_load_b32 v17, v16 offset:5120
	v_add_co_ci_u32_e32 v16, vcc_lo, 0, v13, vcc_lo
	s_delay_alu instid0(VALU_DEP_1) | instskip(NEXT) | instid1(VALU_DEP_1)
	v_lshlrev_b64 v[15:16], 2, v[15:16]
	v_sub_co_u32 v15, vcc_lo, s1, v15
	s_delay_alu instid0(VALU_DEP_2)
	v_sub_co_ci_u32_e32 v16, vcc_lo, s0, v16, vcc_lo
	s_waitcnt lgkmcnt(0)
	global_store_b32 v[15:16], v17, off
                                        ; implicit-def: $vgpr15
.LBB1808_175:
	s_and_not1_saveexec_b32 s5, s5
	s_cbranch_execz .LBB1808_177
; %bb.176:
	v_lshlrev_b32_e32 v16, 2, v0
	v_lshlrev_b32_e32 v15, 2, v15
	v_readfirstlane_b32 s6, v9
	v_readfirstlane_b32 s7, v10
	ds_load_b32 v16, v16 offset:5120
	s_waitcnt lgkmcnt(0)
	global_store_b32 v15, v16, s[6:7]
.LBB1808_177:
	s_or_b32 exec_lo, exec_lo, s5
                                        ; implicit-def: $vgpr15
.LBB1808_178:
	s_and_not1_saveexec_b32 s3, s3
	s_cbranch_execz .LBB1808_180
; %bb.179:
	v_lshlrev_b32_e32 v16, 2, v0
	v_lshlrev_b32_e32 v15, 2, v15
	v_readfirstlane_b32 s6, v11
	v_readfirstlane_b32 s7, v12
	ds_load_b32 v16, v16 offset:5120
	s_waitcnt lgkmcnt(0)
	global_store_b32 v15, v16, s[6:7]
.LBB1808_180:
	s_or_b32 exec_lo, exec_lo, s3
	v_or_b32_e32 v15, 0x600, v0
	s_mov_b32 s3, exec_lo
	s_delay_alu instid0(VALU_DEP_1)
	v_cmpx_le_u32_e64 v5, v15
	s_xor_b32 s3, exec_lo, s3
	s_cbranch_execz .LBB1808_186
; %bb.181:
	s_mov_b32 s5, exec_lo
	v_cmpx_le_u32_e64 v14, v15
	s_xor_b32 s5, exec_lo, s5
	s_cbranch_execz .LBB1808_183
; %bb.182:
	v_lshlrev_b32_e32 v16, 2, v0
	v_add_co_u32 v15, vcc_lo, v7, v15
	ds_load_b32 v17, v16 offset:6144
	v_add_co_ci_u32_e32 v16, vcc_lo, 0, v13, vcc_lo
	s_delay_alu instid0(VALU_DEP_1) | instskip(NEXT) | instid1(VALU_DEP_1)
	v_lshlrev_b64 v[15:16], 2, v[15:16]
	v_sub_co_u32 v15, vcc_lo, s1, v15
	s_delay_alu instid0(VALU_DEP_2)
	v_sub_co_ci_u32_e32 v16, vcc_lo, s0, v16, vcc_lo
	s_waitcnt lgkmcnt(0)
	global_store_b32 v[15:16], v17, off
                                        ; implicit-def: $vgpr15
.LBB1808_183:
	s_and_not1_saveexec_b32 s5, s5
	s_cbranch_execz .LBB1808_185
; %bb.184:
	v_lshlrev_b32_e32 v16, 2, v0
	v_lshlrev_b32_e32 v15, 2, v15
	v_readfirstlane_b32 s6, v9
	v_readfirstlane_b32 s7, v10
	ds_load_b32 v16, v16 offset:6144
	s_waitcnt lgkmcnt(0)
	global_store_b32 v15, v16, s[6:7]
.LBB1808_185:
	s_or_b32 exec_lo, exec_lo, s5
                                        ; implicit-def: $vgpr15
.LBB1808_186:
	;; [unrolled: 51-line block ×8, first 2 shown]
	s_and_not1_saveexec_b32 s3, s3
	s_cbranch_execz .LBB1808_236
; %bb.235:
	v_lshlrev_b32_e32 v16, 2, v0
	v_lshlrev_b32_e32 v15, 2, v15
	v_readfirstlane_b32 s6, v11
	v_readfirstlane_b32 s7, v12
	ds_load_b32 v16, v16 offset:12288
	s_waitcnt lgkmcnt(0)
	global_store_b32 v15, v16, s[6:7]
.LBB1808_236:
	s_or_b32 exec_lo, exec_lo, s3
	s_branch .LBB1808_130
.LBB1808_237:
	s_mov_b32 s3, exec_lo
	v_cmpx_gt_u32_e64 s4, v0
	s_cbranch_execz .LBB1808_246
; %bb.238:
	s_mov_b32 s5, exec_lo
	v_cmpx_le_u32_e64 v5, v0
	s_xor_b32 s5, exec_lo, s5
	s_cbranch_execz .LBB1808_244
; %bb.239:
	s_mov_b32 s6, exec_lo
	v_cmpx_le_u32_e64 v14, v0
	s_xor_b32 s6, exec_lo, s6
	s_cbranch_execz .LBB1808_241
; %bb.240:
	v_lshlrev_b32_e32 v15, 2, v0
	ds_load_b32 v17, v15
	v_add_co_u32 v15, vcc_lo, v7, v0
	v_add_co_ci_u32_e32 v16, vcc_lo, 0, v13, vcc_lo
	s_delay_alu instid0(VALU_DEP_1) | instskip(NEXT) | instid1(VALU_DEP_1)
	v_lshlrev_b64 v[15:16], 2, v[15:16]
	v_sub_co_u32 v15, vcc_lo, s14, v15
	s_delay_alu instid0(VALU_DEP_2)
	v_sub_co_ci_u32_e32 v16, vcc_lo, s15, v16, vcc_lo
	s_waitcnt lgkmcnt(0)
	global_store_b32 v[15:16], v17, off offset:-4
.LBB1808_241:
	s_and_not1_saveexec_b32 s6, s6
	s_cbranch_execz .LBB1808_243
; %bb.242:
	v_lshlrev_b32_e32 v15, 2, v0
	v_readfirstlane_b32 s8, v9
	v_readfirstlane_b32 s9, v10
	ds_load_b32 v16, v15
	s_waitcnt lgkmcnt(0)
	global_store_b32 v15, v16, s[8:9]
.LBB1808_243:
	s_or_b32 exec_lo, exec_lo, s6
.LBB1808_244:
	s_and_not1_saveexec_b32 s5, s5
	s_cbranch_execz .LBB1808_246
; %bb.245:
	v_lshlrev_b32_e32 v15, 2, v0
	v_readfirstlane_b32 s6, v11
	v_readfirstlane_b32 s7, v12
	ds_load_b32 v16, v15
	s_waitcnt lgkmcnt(0)
	global_store_b32 v15, v16, s[6:7]
.LBB1808_246:
	s_or_b32 exec_lo, exec_lo, s3
	v_or_b32_e32 v15, 0x100, v0
	s_mov_b32 s3, exec_lo
	s_delay_alu instid0(VALU_DEP_1)
	v_cmpx_gt_u32_e64 s4, v15
	s_cbranch_execz .LBB1808_255
; %bb.247:
	s_mov_b32 s5, exec_lo
	v_cmpx_le_u32_e64 v5, v15
	s_xor_b32 s5, exec_lo, s5
	s_cbranch_execz .LBB1808_253
; %bb.248:
	s_mov_b32 s6, exec_lo
	v_cmpx_le_u32_e64 v14, v15
	s_xor_b32 s6, exec_lo, s6
	s_cbranch_execz .LBB1808_250
; %bb.249:
	v_lshlrev_b32_e32 v15, 2, v0
	ds_load_b32 v17, v15 offset:1024
	v_add_co_u32 v15, vcc_lo, v7, v0
	v_add_co_ci_u32_e32 v16, vcc_lo, 0, v13, vcc_lo
	s_delay_alu instid0(VALU_DEP_1) | instskip(NEXT) | instid1(VALU_DEP_1)
	v_lshlrev_b64 v[15:16], 2, v[15:16]
	v_sub_co_u32 v15, vcc_lo, s1, v15
	s_delay_alu instid0(VALU_DEP_2)
	v_sub_co_ci_u32_e32 v16, vcc_lo, s0, v16, vcc_lo
	s_waitcnt lgkmcnt(0)
	global_store_b32 v[15:16], v17, off offset:-1024
.LBB1808_250:
	s_and_not1_saveexec_b32 s6, s6
	s_cbranch_execz .LBB1808_252
; %bb.251:
	v_lshlrev_b32_e32 v15, 2, v0
	v_readfirstlane_b32 s8, v9
	v_readfirstlane_b32 s9, v10
	ds_load_b32 v16, v15 offset:1024
	s_waitcnt lgkmcnt(0)
	global_store_b32 v15, v16, s[8:9] offset:1024
.LBB1808_252:
	s_or_b32 exec_lo, exec_lo, s6
.LBB1808_253:
	s_and_not1_saveexec_b32 s5, s5
	s_cbranch_execz .LBB1808_255
; %bb.254:
	v_lshlrev_b32_e32 v15, 2, v0
	v_readfirstlane_b32 s6, v11
	v_readfirstlane_b32 s7, v12
	ds_load_b32 v16, v15 offset:1024
	s_waitcnt lgkmcnt(0)
	global_store_b32 v15, v16, s[6:7] offset:1024
.LBB1808_255:
	s_or_b32 exec_lo, exec_lo, s3
	v_or_b32_e32 v15, 0x200, v0
	s_mov_b32 s3, exec_lo
	s_delay_alu instid0(VALU_DEP_1)
	v_cmpx_gt_u32_e64 s4, v15
	s_cbranch_execz .LBB1808_264
; %bb.256:
	s_mov_b32 s5, exec_lo
	v_cmpx_le_u32_e64 v5, v15
	s_xor_b32 s5, exec_lo, s5
	s_cbranch_execz .LBB1808_262
; %bb.257:
	s_mov_b32 s6, exec_lo
	v_cmpx_le_u32_e64 v14, v15
	s_xor_b32 s6, exec_lo, s6
	s_cbranch_execz .LBB1808_259
; %bb.258:
	v_lshlrev_b32_e32 v15, 2, v0
	ds_load_b32 v17, v15 offset:2048
	v_add_co_u32 v15, vcc_lo, v7, v0
	v_add_co_ci_u32_e32 v16, vcc_lo, 0, v13, vcc_lo
	s_delay_alu instid0(VALU_DEP_1) | instskip(NEXT) | instid1(VALU_DEP_1)
	v_lshlrev_b64 v[15:16], 2, v[15:16]
	v_sub_co_u32 v15, vcc_lo, s1, v15
	s_delay_alu instid0(VALU_DEP_2)
	v_sub_co_ci_u32_e32 v16, vcc_lo, s0, v16, vcc_lo
	s_waitcnt lgkmcnt(0)
	global_store_b32 v[15:16], v17, off offset:-2048
.LBB1808_259:
	s_and_not1_saveexec_b32 s6, s6
	s_cbranch_execz .LBB1808_261
; %bb.260:
	v_lshlrev_b32_e32 v15, 2, v0
	v_readfirstlane_b32 s8, v9
	v_readfirstlane_b32 s9, v10
	ds_load_b32 v16, v15 offset:2048
	s_waitcnt lgkmcnt(0)
	global_store_b32 v15, v16, s[8:9] offset:2048
.LBB1808_261:
	s_or_b32 exec_lo, exec_lo, s6
.LBB1808_262:
	s_and_not1_saveexec_b32 s5, s5
	s_cbranch_execz .LBB1808_264
; %bb.263:
	v_lshlrev_b32_e32 v15, 2, v0
	v_readfirstlane_b32 s6, v11
	v_readfirstlane_b32 s7, v12
	ds_load_b32 v16, v15 offset:2048
	s_waitcnt lgkmcnt(0)
	global_store_b32 v15, v16, s[6:7] offset:2048
.LBB1808_264:
	;; [unrolled: 51-line block ×3, first 2 shown]
	s_or_b32 exec_lo, exec_lo, s3
	v_or_b32_e32 v15, 0x400, v0
	s_mov_b32 s3, exec_lo
	s_delay_alu instid0(VALU_DEP_1)
	v_cmpx_gt_u32_e64 s4, v15
	s_cbranch_execz .LBB1808_282
; %bb.274:
	s_mov_b32 s5, exec_lo
	v_cmpx_le_u32_e64 v5, v15
	s_xor_b32 s5, exec_lo, s5
	s_cbranch_execz .LBB1808_280
; %bb.275:
	s_mov_b32 s6, exec_lo
	v_cmpx_le_u32_e64 v14, v15
	s_xor_b32 s6, exec_lo, s6
	s_cbranch_execz .LBB1808_277
; %bb.276:
	v_lshlrev_b32_e32 v15, 2, v0
	ds_load_b32 v17, v15 offset:4096
	v_add_co_u32 v15, vcc_lo, v7, v0
	v_add_co_ci_u32_e32 v16, vcc_lo, 0, v13, vcc_lo
	s_delay_alu instid0(VALU_DEP_1) | instskip(NEXT) | instid1(VALU_DEP_1)
	v_lshlrev_b64 v[15:16], 2, v[15:16]
	v_sub_co_u32 v15, vcc_lo, s1, v15
	s_delay_alu instid0(VALU_DEP_2)
	v_sub_co_ci_u32_e32 v16, vcc_lo, s0, v16, vcc_lo
	s_waitcnt lgkmcnt(0)
	global_store_b32 v[15:16], v17, off offset:-4096
                                        ; implicit-def: $vgpr15
.LBB1808_277:
	s_and_not1_saveexec_b32 s6, s6
	s_cbranch_execz .LBB1808_279
; %bb.278:
	v_lshlrev_b32_e32 v16, 2, v0
	v_lshlrev_b32_e32 v15, 2, v15
	v_readfirstlane_b32 s8, v9
	v_readfirstlane_b32 s9, v10
	ds_load_b32 v16, v16 offset:4096
	s_waitcnt lgkmcnt(0)
	global_store_b32 v15, v16, s[8:9]
.LBB1808_279:
	s_or_b32 exec_lo, exec_lo, s6
                                        ; implicit-def: $vgpr15
.LBB1808_280:
	s_and_not1_saveexec_b32 s5, s5
	s_cbranch_execz .LBB1808_282
; %bb.281:
	v_lshlrev_b32_e32 v16, 2, v0
	v_lshlrev_b32_e32 v15, 2, v15
	v_readfirstlane_b32 s6, v11
	v_readfirstlane_b32 s7, v12
	ds_load_b32 v16, v16 offset:4096
	s_waitcnt lgkmcnt(0)
	global_store_b32 v15, v16, s[6:7]
.LBB1808_282:
	s_or_b32 exec_lo, exec_lo, s3
	v_or_b32_e32 v15, 0x500, v0
	s_mov_b32 s3, exec_lo
	s_delay_alu instid0(VALU_DEP_1)
	v_cmpx_gt_u32_e64 s4, v15
	s_cbranch_execz .LBB1808_291
; %bb.283:
	s_mov_b32 s5, exec_lo
	v_cmpx_le_u32_e64 v5, v15
	s_xor_b32 s5, exec_lo, s5
	s_cbranch_execz .LBB1808_289
; %bb.284:
	s_mov_b32 s6, exec_lo
	v_cmpx_le_u32_e64 v14, v15
	s_xor_b32 s6, exec_lo, s6
	s_cbranch_execz .LBB1808_286
; %bb.285:
	v_lshlrev_b32_e32 v16, 2, v0
	v_add_co_u32 v15, vcc_lo, v7, v15
	ds_load_b32 v17, v16 offset:5120
	v_add_co_ci_u32_e32 v16, vcc_lo, 0, v13, vcc_lo
	s_delay_alu instid0(VALU_DEP_1) | instskip(NEXT) | instid1(VALU_DEP_1)
	v_lshlrev_b64 v[15:16], 2, v[15:16]
	v_sub_co_u32 v15, vcc_lo, s1, v15
	s_delay_alu instid0(VALU_DEP_2)
	v_sub_co_ci_u32_e32 v16, vcc_lo, s0, v16, vcc_lo
	s_waitcnt lgkmcnt(0)
	global_store_b32 v[15:16], v17, off
                                        ; implicit-def: $vgpr15
.LBB1808_286:
	s_and_not1_saveexec_b32 s6, s6
	s_cbranch_execz .LBB1808_288
; %bb.287:
	v_lshlrev_b32_e32 v16, 2, v0
	v_lshlrev_b32_e32 v15, 2, v15
	v_readfirstlane_b32 s8, v9
	v_readfirstlane_b32 s9, v10
	ds_load_b32 v16, v16 offset:5120
	s_waitcnt lgkmcnt(0)
	global_store_b32 v15, v16, s[8:9]
.LBB1808_288:
	s_or_b32 exec_lo, exec_lo, s6
                                        ; implicit-def: $vgpr15
.LBB1808_289:
	s_and_not1_saveexec_b32 s5, s5
	s_cbranch_execz .LBB1808_291
; %bb.290:
	v_lshlrev_b32_e32 v16, 2, v0
	v_lshlrev_b32_e32 v15, 2, v15
	v_readfirstlane_b32 s6, v11
	v_readfirstlane_b32 s7, v12
	ds_load_b32 v16, v16 offset:5120
	s_waitcnt lgkmcnt(0)
	global_store_b32 v15, v16, s[6:7]
.LBB1808_291:
	s_or_b32 exec_lo, exec_lo, s3
	v_or_b32_e32 v15, 0x600, v0
	s_mov_b32 s3, exec_lo
	s_delay_alu instid0(VALU_DEP_1)
	v_cmpx_gt_u32_e64 s4, v15
	s_cbranch_execz .LBB1808_300
; %bb.292:
	s_mov_b32 s5, exec_lo
	v_cmpx_le_u32_e64 v5, v15
	s_xor_b32 s5, exec_lo, s5
	s_cbranch_execz .LBB1808_298
; %bb.293:
	s_mov_b32 s6, exec_lo
	v_cmpx_le_u32_e64 v14, v15
	s_xor_b32 s6, exec_lo, s6
	s_cbranch_execz .LBB1808_295
; %bb.294:
	v_lshlrev_b32_e32 v16, 2, v0
	v_add_co_u32 v15, vcc_lo, v7, v15
	ds_load_b32 v17, v16 offset:6144
	v_add_co_ci_u32_e32 v16, vcc_lo, 0, v13, vcc_lo
	s_delay_alu instid0(VALU_DEP_1) | instskip(NEXT) | instid1(VALU_DEP_1)
	v_lshlrev_b64 v[15:16], 2, v[15:16]
	v_sub_co_u32 v15, vcc_lo, s1, v15
	s_delay_alu instid0(VALU_DEP_2)
	v_sub_co_ci_u32_e32 v16, vcc_lo, s0, v16, vcc_lo
	s_waitcnt lgkmcnt(0)
	global_store_b32 v[15:16], v17, off
                                        ; implicit-def: $vgpr15
.LBB1808_295:
	s_and_not1_saveexec_b32 s6, s6
	s_cbranch_execz .LBB1808_297
; %bb.296:
	v_lshlrev_b32_e32 v16, 2, v0
	v_lshlrev_b32_e32 v15, 2, v15
	v_readfirstlane_b32 s8, v9
	v_readfirstlane_b32 s9, v10
	ds_load_b32 v16, v16 offset:6144
	s_waitcnt lgkmcnt(0)
	global_store_b32 v15, v16, s[8:9]
.LBB1808_297:
	s_or_b32 exec_lo, exec_lo, s6
                                        ; implicit-def: $vgpr15
.LBB1808_298:
	s_and_not1_saveexec_b32 s5, s5
	s_cbranch_execz .LBB1808_300
; %bb.299:
	v_lshlrev_b32_e32 v16, 2, v0
	v_lshlrev_b32_e32 v15, 2, v15
	v_readfirstlane_b32 s6, v11
	v_readfirstlane_b32 s7, v12
	ds_load_b32 v16, v16 offset:6144
	s_waitcnt lgkmcnt(0)
	global_store_b32 v15, v16, s[6:7]
.LBB1808_300:
	;; [unrolled: 55-line block ×7, first 2 shown]
	s_or_b32 exec_lo, exec_lo, s3
	v_or_b32_e32 v15, 0xc00, v0
	s_mov_b32 s3, exec_lo
	s_delay_alu instid0(VALU_DEP_1)
	v_cmpx_gt_u32_e64 s4, v15
	s_cbranch_execz .LBB1808_354
; %bb.346:
	s_mov_b32 s4, exec_lo
	v_cmpx_le_u32_e64 v5, v15
	s_xor_b32 s4, exec_lo, s4
	s_cbranch_execz .LBB1808_352
; %bb.347:
	s_mov_b32 s5, exec_lo
	v_cmpx_le_u32_e64 v14, v15
	s_xor_b32 s5, exec_lo, s5
	s_cbranch_execz .LBB1808_349
; %bb.348:
	v_lshlrev_b32_e32 v0, 2, v0
	v_add_co_u32 v9, vcc_lo, v7, v15
	v_add_co_ci_u32_e32 v10, vcc_lo, 0, v13, vcc_lo
	ds_load_b32 v0, v0 offset:12288
                                        ; implicit-def: $vgpr15
	v_lshlrev_b64 v[9:10], 2, v[9:10]
	s_delay_alu instid0(VALU_DEP_1) | instskip(NEXT) | instid1(VALU_DEP_2)
	v_sub_co_u32 v9, vcc_lo, s1, v9
	v_sub_co_ci_u32_e32 v10, vcc_lo, s0, v10, vcc_lo
	s_waitcnt lgkmcnt(0)
	global_store_b32 v[9:10], v0, off
                                        ; implicit-def: $vgpr0
                                        ; implicit-def: $vgpr9_vgpr10
.LBB1808_349:
	s_and_not1_saveexec_b32 s0, s5
	s_cbranch_execz .LBB1808_351
; %bb.350:
	v_lshlrev_b32_e32 v0, 2, v0
	v_lshlrev_b32_e32 v7, 2, v15
	v_readfirstlane_b32 s6, v9
	v_readfirstlane_b32 s7, v10
	ds_load_b32 v0, v0 offset:12288
	s_waitcnt lgkmcnt(0)
	global_store_b32 v7, v0, s[6:7]
.LBB1808_351:
	s_or_b32 exec_lo, exec_lo, s0
                                        ; implicit-def: $vgpr0
                                        ; implicit-def: $vgpr15
                                        ; implicit-def: $vgpr11_vgpr12
.LBB1808_352:
	s_and_not1_saveexec_b32 s0, s4
	s_cbranch_execz .LBB1808_354
; %bb.353:
	v_lshlrev_b32_e32 v0, 2, v0
	v_lshlrev_b32_e32 v7, 2, v15
	v_readfirstlane_b32 s0, v11
	v_readfirstlane_b32 s1, v12
	ds_load_b32 v0, v0 offset:12288
	s_waitcnt lgkmcnt(0)
	global_store_b32 v7, v0, s[0:1]
.LBB1808_354:
	s_or_b32 exec_lo, exec_lo, s3
	s_and_b32 s0, s2, s13
	s_delay_alu instid0(SALU_CYCLE_1)
	s_and_saveexec_b32 s1, s0
	s_cbranch_execz .LBB1808_131
.LBB1808_355:
	v_add_co_u32 v3, vcc_lo, v3, v6
	v_add_co_ci_u32_e32 v4, vcc_lo, 0, v4, vcc_lo
	v_add_co_u32 v0, vcc_lo, v1, v5
	v_add_co_ci_u32_e32 v1, vcc_lo, 0, v2, vcc_lo
	s_delay_alu instid0(VALU_DEP_4)
	v_add_co_u32 v2, vcc_lo, v3, v8
	v_mov_b32_e32 v7, 0
	v_add_co_ci_u32_e32 v3, vcc_lo, 0, v4, vcc_lo
	global_store_b128 v7, v[0:3], s[24:25]
	s_nop 0
	s_sendmsg sendmsg(MSG_DEALLOC_VGPRS)
	s_endpgm
.LBB1808_356:
	v_add_nc_u32_e32 v7, s6, v27
	s_add_i32 s8, s26, 32
	s_mov_b32 s9, 0
	v_dual_mov_b32 v9, 0 :: v_dual_add_nc_u32 v6, v26, v5
	s_lshl_b64 s[8:9], s[8:9], 4
	v_and_b32_e32 v24, 0xff0000, v7
	s_add_u32 s8, s36, s8
	s_addc_u32 s9, s37, s9
	v_and_b32_e32 v8, 0xff000000, v7
	s_delay_alu instid0(VALU_DEP_1) | instskip(SKIP_2) | instid1(VALU_DEP_1)
	v_or_b32_e32 v24, v24, v8
	v_dual_mov_b32 v8, 2 :: v_dual_and_b32 v25, 0xff00, v7
	v_and_b32_e32 v7, 0xff, v7
	v_or3_b32 v7, v24, v25, v7
	v_dual_mov_b32 v25, s9 :: v_dual_mov_b32 v24, s8
	;;#ASMSTART
	global_store_dwordx4 v[24:25], v[6:9] off	
s_waitcnt vmcnt(0)
	;;#ASMEND
	s_or_b32 exec_lo, exec_lo, s7
	s_and_saveexec_b32 s7, s3
	s_cbranch_execz .LBB1808_115
.LBB1808_357:
	v_mov_b32_e32 v6, s6
	v_add_nc_u32_e64 v7, 0x3400, 0
	ds_store_2addr_b32 v7, v5, v6 offset1:2
	ds_store_2addr_b32 v7, v26, v27 offset0:4 offset1:6
	s_or_b32 exec_lo, exec_lo, s7
	s_delay_alu instid0(SALU_CYCLE_1)
	s_and_b32 exec_lo, exec_lo, s2
	s_cbranch_execnz .LBB1808_116
	s_branch .LBB1808_117
	.section	.rodata,"a",@progbits
	.p2align	6, 0x0
	.amdhsa_kernel _ZN7rocprim17ROCPRIM_400000_NS6detail17trampoline_kernelINS0_13select_configILj256ELj13ELNS0_17block_load_methodE3ELS4_3ELS4_3ELNS0_20block_scan_algorithmE0ELj4294967295EEENS1_25partition_config_selectorILNS1_17partition_subalgoE4EjNS0_10empty_typeEbEEZZNS1_14partition_implILS8_4ELb0ES6_15HIP_vector_typeIjLj2EENS0_17counting_iteratorIjlEEPS9_SG_NS0_5tupleIJPjSI_NS0_16reverse_iteratorISI_EEEEENSH_IJSG_SG_SG_EEES9_SI_JZNS1_25segmented_radix_sort_implINS0_14default_configELb0EPK6__halfPSP_PKlPlN2at6native12_GLOBAL__N_18offset_tEEE10hipError_tPvRmT1_PNSt15iterator_traitsIS13_E10value_typeET2_T3_PNS14_IS19_E10value_typeET4_jRbjT5_S1F_jjP12ihipStream_tbEUljE_ZNSN_ISO_Lb0ESR_SS_SU_SV_SZ_EES10_S11_S12_S13_S17_S18_S19_S1C_S1D_jS1E_jS1F_S1F_jjS1H_bEUljE0_EEES10_S11_S12_S19_S1D_S1F_T6_T7_T9_mT8_S1H_bDpT10_ENKUlT_T0_E_clISt17integral_constantIbLb0EES1U_IbLb1EEEEDaS1Q_S1R_EUlS1Q_E_NS1_11comp_targetILNS1_3genE9ELNS1_11target_archE1100ELNS1_3gpuE3ELNS1_3repE0EEENS1_30default_config_static_selectorELNS0_4arch9wavefront6targetE0EEEvS13_
		.amdhsa_group_segment_fixed_size 13340
		.amdhsa_private_segment_fixed_size 0
		.amdhsa_kernarg_size 184
		.amdhsa_user_sgpr_count 15
		.amdhsa_user_sgpr_dispatch_ptr 0
		.amdhsa_user_sgpr_queue_ptr 0
		.amdhsa_user_sgpr_kernarg_segment_ptr 1
		.amdhsa_user_sgpr_dispatch_id 0
		.amdhsa_user_sgpr_private_segment_size 0
		.amdhsa_wavefront_size32 1
		.amdhsa_uses_dynamic_stack 0
		.amdhsa_enable_private_segment 0
		.amdhsa_system_sgpr_workgroup_id_x 1
		.amdhsa_system_sgpr_workgroup_id_y 0
		.amdhsa_system_sgpr_workgroup_id_z 0
		.amdhsa_system_sgpr_workgroup_info 0
		.amdhsa_system_vgpr_workitem_id 0
		.amdhsa_next_free_vgpr 103
		.amdhsa_next_free_sgpr 55
		.amdhsa_reserve_vcc 1
		.amdhsa_float_round_mode_32 0
		.amdhsa_float_round_mode_16_64 0
		.amdhsa_float_denorm_mode_32 3
		.amdhsa_float_denorm_mode_16_64 3
		.amdhsa_dx10_clamp 1
		.amdhsa_ieee_mode 1
		.amdhsa_fp16_overflow 0
		.amdhsa_workgroup_processor_mode 1
		.amdhsa_memory_ordered 1
		.amdhsa_forward_progress 0
		.amdhsa_shared_vgpr_count 0
		.amdhsa_exception_fp_ieee_invalid_op 0
		.amdhsa_exception_fp_denorm_src 0
		.amdhsa_exception_fp_ieee_div_zero 0
		.amdhsa_exception_fp_ieee_overflow 0
		.amdhsa_exception_fp_ieee_underflow 0
		.amdhsa_exception_fp_ieee_inexact 0
		.amdhsa_exception_int_div_zero 0
	.end_amdhsa_kernel
	.section	.text._ZN7rocprim17ROCPRIM_400000_NS6detail17trampoline_kernelINS0_13select_configILj256ELj13ELNS0_17block_load_methodE3ELS4_3ELS4_3ELNS0_20block_scan_algorithmE0ELj4294967295EEENS1_25partition_config_selectorILNS1_17partition_subalgoE4EjNS0_10empty_typeEbEEZZNS1_14partition_implILS8_4ELb0ES6_15HIP_vector_typeIjLj2EENS0_17counting_iteratorIjlEEPS9_SG_NS0_5tupleIJPjSI_NS0_16reverse_iteratorISI_EEEEENSH_IJSG_SG_SG_EEES9_SI_JZNS1_25segmented_radix_sort_implINS0_14default_configELb0EPK6__halfPSP_PKlPlN2at6native12_GLOBAL__N_18offset_tEEE10hipError_tPvRmT1_PNSt15iterator_traitsIS13_E10value_typeET2_T3_PNS14_IS19_E10value_typeET4_jRbjT5_S1F_jjP12ihipStream_tbEUljE_ZNSN_ISO_Lb0ESR_SS_SU_SV_SZ_EES10_S11_S12_S13_S17_S18_S19_S1C_S1D_jS1E_jS1F_S1F_jjS1H_bEUljE0_EEES10_S11_S12_S19_S1D_S1F_T6_T7_T9_mT8_S1H_bDpT10_ENKUlT_T0_E_clISt17integral_constantIbLb0EES1U_IbLb1EEEEDaS1Q_S1R_EUlS1Q_E_NS1_11comp_targetILNS1_3genE9ELNS1_11target_archE1100ELNS1_3gpuE3ELNS1_3repE0EEENS1_30default_config_static_selectorELNS0_4arch9wavefront6targetE0EEEvS13_,"axG",@progbits,_ZN7rocprim17ROCPRIM_400000_NS6detail17trampoline_kernelINS0_13select_configILj256ELj13ELNS0_17block_load_methodE3ELS4_3ELS4_3ELNS0_20block_scan_algorithmE0ELj4294967295EEENS1_25partition_config_selectorILNS1_17partition_subalgoE4EjNS0_10empty_typeEbEEZZNS1_14partition_implILS8_4ELb0ES6_15HIP_vector_typeIjLj2EENS0_17counting_iteratorIjlEEPS9_SG_NS0_5tupleIJPjSI_NS0_16reverse_iteratorISI_EEEEENSH_IJSG_SG_SG_EEES9_SI_JZNS1_25segmented_radix_sort_implINS0_14default_configELb0EPK6__halfPSP_PKlPlN2at6native12_GLOBAL__N_18offset_tEEE10hipError_tPvRmT1_PNSt15iterator_traitsIS13_E10value_typeET2_T3_PNS14_IS19_E10value_typeET4_jRbjT5_S1F_jjP12ihipStream_tbEUljE_ZNSN_ISO_Lb0ESR_SS_SU_SV_SZ_EES10_S11_S12_S13_S17_S18_S19_S1C_S1D_jS1E_jS1F_S1F_jjS1H_bEUljE0_EEES10_S11_S12_S19_S1D_S1F_T6_T7_T9_mT8_S1H_bDpT10_ENKUlT_T0_E_clISt17integral_constantIbLb0EES1U_IbLb1EEEEDaS1Q_S1R_EUlS1Q_E_NS1_11comp_targetILNS1_3genE9ELNS1_11target_archE1100ELNS1_3gpuE3ELNS1_3repE0EEENS1_30default_config_static_selectorELNS0_4arch9wavefront6targetE0EEEvS13_,comdat
.Lfunc_end1808:
	.size	_ZN7rocprim17ROCPRIM_400000_NS6detail17trampoline_kernelINS0_13select_configILj256ELj13ELNS0_17block_load_methodE3ELS4_3ELS4_3ELNS0_20block_scan_algorithmE0ELj4294967295EEENS1_25partition_config_selectorILNS1_17partition_subalgoE4EjNS0_10empty_typeEbEEZZNS1_14partition_implILS8_4ELb0ES6_15HIP_vector_typeIjLj2EENS0_17counting_iteratorIjlEEPS9_SG_NS0_5tupleIJPjSI_NS0_16reverse_iteratorISI_EEEEENSH_IJSG_SG_SG_EEES9_SI_JZNS1_25segmented_radix_sort_implINS0_14default_configELb0EPK6__halfPSP_PKlPlN2at6native12_GLOBAL__N_18offset_tEEE10hipError_tPvRmT1_PNSt15iterator_traitsIS13_E10value_typeET2_T3_PNS14_IS19_E10value_typeET4_jRbjT5_S1F_jjP12ihipStream_tbEUljE_ZNSN_ISO_Lb0ESR_SS_SU_SV_SZ_EES10_S11_S12_S13_S17_S18_S19_S1C_S1D_jS1E_jS1F_S1F_jjS1H_bEUljE0_EEES10_S11_S12_S19_S1D_S1F_T6_T7_T9_mT8_S1H_bDpT10_ENKUlT_T0_E_clISt17integral_constantIbLb0EES1U_IbLb1EEEEDaS1Q_S1R_EUlS1Q_E_NS1_11comp_targetILNS1_3genE9ELNS1_11target_archE1100ELNS1_3gpuE3ELNS1_3repE0EEENS1_30default_config_static_selectorELNS0_4arch9wavefront6targetE0EEEvS13_, .Lfunc_end1808-_ZN7rocprim17ROCPRIM_400000_NS6detail17trampoline_kernelINS0_13select_configILj256ELj13ELNS0_17block_load_methodE3ELS4_3ELS4_3ELNS0_20block_scan_algorithmE0ELj4294967295EEENS1_25partition_config_selectorILNS1_17partition_subalgoE4EjNS0_10empty_typeEbEEZZNS1_14partition_implILS8_4ELb0ES6_15HIP_vector_typeIjLj2EENS0_17counting_iteratorIjlEEPS9_SG_NS0_5tupleIJPjSI_NS0_16reverse_iteratorISI_EEEEENSH_IJSG_SG_SG_EEES9_SI_JZNS1_25segmented_radix_sort_implINS0_14default_configELb0EPK6__halfPSP_PKlPlN2at6native12_GLOBAL__N_18offset_tEEE10hipError_tPvRmT1_PNSt15iterator_traitsIS13_E10value_typeET2_T3_PNS14_IS19_E10value_typeET4_jRbjT5_S1F_jjP12ihipStream_tbEUljE_ZNSN_ISO_Lb0ESR_SS_SU_SV_SZ_EES10_S11_S12_S13_S17_S18_S19_S1C_S1D_jS1E_jS1F_S1F_jjS1H_bEUljE0_EEES10_S11_S12_S19_S1D_S1F_T6_T7_T9_mT8_S1H_bDpT10_ENKUlT_T0_E_clISt17integral_constantIbLb0EES1U_IbLb1EEEEDaS1Q_S1R_EUlS1Q_E_NS1_11comp_targetILNS1_3genE9ELNS1_11target_archE1100ELNS1_3gpuE3ELNS1_3repE0EEENS1_30default_config_static_selectorELNS0_4arch9wavefront6targetE0EEEvS13_
                                        ; -- End function
	.section	.AMDGPU.csdata,"",@progbits
; Kernel info:
; codeLenInByte = 15060
; NumSgprs: 57
; NumVgprs: 103
; ScratchSize: 0
; MemoryBound: 0
; FloatMode: 240
; IeeeMode: 1
; LDSByteSize: 13340 bytes/workgroup (compile time only)
; SGPRBlocks: 7
; VGPRBlocks: 12
; NumSGPRsForWavesPerEU: 57
; NumVGPRsForWavesPerEU: 103
; Occupancy: 12
; WaveLimiterHint : 1
; COMPUTE_PGM_RSRC2:SCRATCH_EN: 0
; COMPUTE_PGM_RSRC2:USER_SGPR: 15
; COMPUTE_PGM_RSRC2:TRAP_HANDLER: 0
; COMPUTE_PGM_RSRC2:TGID_X_EN: 1
; COMPUTE_PGM_RSRC2:TGID_Y_EN: 0
; COMPUTE_PGM_RSRC2:TGID_Z_EN: 0
; COMPUTE_PGM_RSRC2:TIDIG_COMP_CNT: 0
	.section	.text._ZN7rocprim17ROCPRIM_400000_NS6detail17trampoline_kernelINS0_13select_configILj256ELj13ELNS0_17block_load_methodE3ELS4_3ELS4_3ELNS0_20block_scan_algorithmE0ELj4294967295EEENS1_25partition_config_selectorILNS1_17partition_subalgoE4EjNS0_10empty_typeEbEEZZNS1_14partition_implILS8_4ELb0ES6_15HIP_vector_typeIjLj2EENS0_17counting_iteratorIjlEEPS9_SG_NS0_5tupleIJPjSI_NS0_16reverse_iteratorISI_EEEEENSH_IJSG_SG_SG_EEES9_SI_JZNS1_25segmented_radix_sort_implINS0_14default_configELb0EPK6__halfPSP_PKlPlN2at6native12_GLOBAL__N_18offset_tEEE10hipError_tPvRmT1_PNSt15iterator_traitsIS13_E10value_typeET2_T3_PNS14_IS19_E10value_typeET4_jRbjT5_S1F_jjP12ihipStream_tbEUljE_ZNSN_ISO_Lb0ESR_SS_SU_SV_SZ_EES10_S11_S12_S13_S17_S18_S19_S1C_S1D_jS1E_jS1F_S1F_jjS1H_bEUljE0_EEES10_S11_S12_S19_S1D_S1F_T6_T7_T9_mT8_S1H_bDpT10_ENKUlT_T0_E_clISt17integral_constantIbLb0EES1U_IbLb1EEEEDaS1Q_S1R_EUlS1Q_E_NS1_11comp_targetILNS1_3genE8ELNS1_11target_archE1030ELNS1_3gpuE2ELNS1_3repE0EEENS1_30default_config_static_selectorELNS0_4arch9wavefront6targetE0EEEvS13_,"axG",@progbits,_ZN7rocprim17ROCPRIM_400000_NS6detail17trampoline_kernelINS0_13select_configILj256ELj13ELNS0_17block_load_methodE3ELS4_3ELS4_3ELNS0_20block_scan_algorithmE0ELj4294967295EEENS1_25partition_config_selectorILNS1_17partition_subalgoE4EjNS0_10empty_typeEbEEZZNS1_14partition_implILS8_4ELb0ES6_15HIP_vector_typeIjLj2EENS0_17counting_iteratorIjlEEPS9_SG_NS0_5tupleIJPjSI_NS0_16reverse_iteratorISI_EEEEENSH_IJSG_SG_SG_EEES9_SI_JZNS1_25segmented_radix_sort_implINS0_14default_configELb0EPK6__halfPSP_PKlPlN2at6native12_GLOBAL__N_18offset_tEEE10hipError_tPvRmT1_PNSt15iterator_traitsIS13_E10value_typeET2_T3_PNS14_IS19_E10value_typeET4_jRbjT5_S1F_jjP12ihipStream_tbEUljE_ZNSN_ISO_Lb0ESR_SS_SU_SV_SZ_EES10_S11_S12_S13_S17_S18_S19_S1C_S1D_jS1E_jS1F_S1F_jjS1H_bEUljE0_EEES10_S11_S12_S19_S1D_S1F_T6_T7_T9_mT8_S1H_bDpT10_ENKUlT_T0_E_clISt17integral_constantIbLb0EES1U_IbLb1EEEEDaS1Q_S1R_EUlS1Q_E_NS1_11comp_targetILNS1_3genE8ELNS1_11target_archE1030ELNS1_3gpuE2ELNS1_3repE0EEENS1_30default_config_static_selectorELNS0_4arch9wavefront6targetE0EEEvS13_,comdat
	.globl	_ZN7rocprim17ROCPRIM_400000_NS6detail17trampoline_kernelINS0_13select_configILj256ELj13ELNS0_17block_load_methodE3ELS4_3ELS4_3ELNS0_20block_scan_algorithmE0ELj4294967295EEENS1_25partition_config_selectorILNS1_17partition_subalgoE4EjNS0_10empty_typeEbEEZZNS1_14partition_implILS8_4ELb0ES6_15HIP_vector_typeIjLj2EENS0_17counting_iteratorIjlEEPS9_SG_NS0_5tupleIJPjSI_NS0_16reverse_iteratorISI_EEEEENSH_IJSG_SG_SG_EEES9_SI_JZNS1_25segmented_radix_sort_implINS0_14default_configELb0EPK6__halfPSP_PKlPlN2at6native12_GLOBAL__N_18offset_tEEE10hipError_tPvRmT1_PNSt15iterator_traitsIS13_E10value_typeET2_T3_PNS14_IS19_E10value_typeET4_jRbjT5_S1F_jjP12ihipStream_tbEUljE_ZNSN_ISO_Lb0ESR_SS_SU_SV_SZ_EES10_S11_S12_S13_S17_S18_S19_S1C_S1D_jS1E_jS1F_S1F_jjS1H_bEUljE0_EEES10_S11_S12_S19_S1D_S1F_T6_T7_T9_mT8_S1H_bDpT10_ENKUlT_T0_E_clISt17integral_constantIbLb0EES1U_IbLb1EEEEDaS1Q_S1R_EUlS1Q_E_NS1_11comp_targetILNS1_3genE8ELNS1_11target_archE1030ELNS1_3gpuE2ELNS1_3repE0EEENS1_30default_config_static_selectorELNS0_4arch9wavefront6targetE0EEEvS13_ ; -- Begin function _ZN7rocprim17ROCPRIM_400000_NS6detail17trampoline_kernelINS0_13select_configILj256ELj13ELNS0_17block_load_methodE3ELS4_3ELS4_3ELNS0_20block_scan_algorithmE0ELj4294967295EEENS1_25partition_config_selectorILNS1_17partition_subalgoE4EjNS0_10empty_typeEbEEZZNS1_14partition_implILS8_4ELb0ES6_15HIP_vector_typeIjLj2EENS0_17counting_iteratorIjlEEPS9_SG_NS0_5tupleIJPjSI_NS0_16reverse_iteratorISI_EEEEENSH_IJSG_SG_SG_EEES9_SI_JZNS1_25segmented_radix_sort_implINS0_14default_configELb0EPK6__halfPSP_PKlPlN2at6native12_GLOBAL__N_18offset_tEEE10hipError_tPvRmT1_PNSt15iterator_traitsIS13_E10value_typeET2_T3_PNS14_IS19_E10value_typeET4_jRbjT5_S1F_jjP12ihipStream_tbEUljE_ZNSN_ISO_Lb0ESR_SS_SU_SV_SZ_EES10_S11_S12_S13_S17_S18_S19_S1C_S1D_jS1E_jS1F_S1F_jjS1H_bEUljE0_EEES10_S11_S12_S19_S1D_S1F_T6_T7_T9_mT8_S1H_bDpT10_ENKUlT_T0_E_clISt17integral_constantIbLb0EES1U_IbLb1EEEEDaS1Q_S1R_EUlS1Q_E_NS1_11comp_targetILNS1_3genE8ELNS1_11target_archE1030ELNS1_3gpuE2ELNS1_3repE0EEENS1_30default_config_static_selectorELNS0_4arch9wavefront6targetE0EEEvS13_
	.p2align	8
	.type	_ZN7rocprim17ROCPRIM_400000_NS6detail17trampoline_kernelINS0_13select_configILj256ELj13ELNS0_17block_load_methodE3ELS4_3ELS4_3ELNS0_20block_scan_algorithmE0ELj4294967295EEENS1_25partition_config_selectorILNS1_17partition_subalgoE4EjNS0_10empty_typeEbEEZZNS1_14partition_implILS8_4ELb0ES6_15HIP_vector_typeIjLj2EENS0_17counting_iteratorIjlEEPS9_SG_NS0_5tupleIJPjSI_NS0_16reverse_iteratorISI_EEEEENSH_IJSG_SG_SG_EEES9_SI_JZNS1_25segmented_radix_sort_implINS0_14default_configELb0EPK6__halfPSP_PKlPlN2at6native12_GLOBAL__N_18offset_tEEE10hipError_tPvRmT1_PNSt15iterator_traitsIS13_E10value_typeET2_T3_PNS14_IS19_E10value_typeET4_jRbjT5_S1F_jjP12ihipStream_tbEUljE_ZNSN_ISO_Lb0ESR_SS_SU_SV_SZ_EES10_S11_S12_S13_S17_S18_S19_S1C_S1D_jS1E_jS1F_S1F_jjS1H_bEUljE0_EEES10_S11_S12_S19_S1D_S1F_T6_T7_T9_mT8_S1H_bDpT10_ENKUlT_T0_E_clISt17integral_constantIbLb0EES1U_IbLb1EEEEDaS1Q_S1R_EUlS1Q_E_NS1_11comp_targetILNS1_3genE8ELNS1_11target_archE1030ELNS1_3gpuE2ELNS1_3repE0EEENS1_30default_config_static_selectorELNS0_4arch9wavefront6targetE0EEEvS13_,@function
_ZN7rocprim17ROCPRIM_400000_NS6detail17trampoline_kernelINS0_13select_configILj256ELj13ELNS0_17block_load_methodE3ELS4_3ELS4_3ELNS0_20block_scan_algorithmE0ELj4294967295EEENS1_25partition_config_selectorILNS1_17partition_subalgoE4EjNS0_10empty_typeEbEEZZNS1_14partition_implILS8_4ELb0ES6_15HIP_vector_typeIjLj2EENS0_17counting_iteratorIjlEEPS9_SG_NS0_5tupleIJPjSI_NS0_16reverse_iteratorISI_EEEEENSH_IJSG_SG_SG_EEES9_SI_JZNS1_25segmented_radix_sort_implINS0_14default_configELb0EPK6__halfPSP_PKlPlN2at6native12_GLOBAL__N_18offset_tEEE10hipError_tPvRmT1_PNSt15iterator_traitsIS13_E10value_typeET2_T3_PNS14_IS19_E10value_typeET4_jRbjT5_S1F_jjP12ihipStream_tbEUljE_ZNSN_ISO_Lb0ESR_SS_SU_SV_SZ_EES10_S11_S12_S13_S17_S18_S19_S1C_S1D_jS1E_jS1F_S1F_jjS1H_bEUljE0_EEES10_S11_S12_S19_S1D_S1F_T6_T7_T9_mT8_S1H_bDpT10_ENKUlT_T0_E_clISt17integral_constantIbLb0EES1U_IbLb1EEEEDaS1Q_S1R_EUlS1Q_E_NS1_11comp_targetILNS1_3genE8ELNS1_11target_archE1030ELNS1_3gpuE2ELNS1_3repE0EEENS1_30default_config_static_selectorELNS0_4arch9wavefront6targetE0EEEvS13_: ; @_ZN7rocprim17ROCPRIM_400000_NS6detail17trampoline_kernelINS0_13select_configILj256ELj13ELNS0_17block_load_methodE3ELS4_3ELS4_3ELNS0_20block_scan_algorithmE0ELj4294967295EEENS1_25partition_config_selectorILNS1_17partition_subalgoE4EjNS0_10empty_typeEbEEZZNS1_14partition_implILS8_4ELb0ES6_15HIP_vector_typeIjLj2EENS0_17counting_iteratorIjlEEPS9_SG_NS0_5tupleIJPjSI_NS0_16reverse_iteratorISI_EEEEENSH_IJSG_SG_SG_EEES9_SI_JZNS1_25segmented_radix_sort_implINS0_14default_configELb0EPK6__halfPSP_PKlPlN2at6native12_GLOBAL__N_18offset_tEEE10hipError_tPvRmT1_PNSt15iterator_traitsIS13_E10value_typeET2_T3_PNS14_IS19_E10value_typeET4_jRbjT5_S1F_jjP12ihipStream_tbEUljE_ZNSN_ISO_Lb0ESR_SS_SU_SV_SZ_EES10_S11_S12_S13_S17_S18_S19_S1C_S1D_jS1E_jS1F_S1F_jjS1H_bEUljE0_EEES10_S11_S12_S19_S1D_S1F_T6_T7_T9_mT8_S1H_bDpT10_ENKUlT_T0_E_clISt17integral_constantIbLb0EES1U_IbLb1EEEEDaS1Q_S1R_EUlS1Q_E_NS1_11comp_targetILNS1_3genE8ELNS1_11target_archE1030ELNS1_3gpuE2ELNS1_3repE0EEENS1_30default_config_static_selectorELNS0_4arch9wavefront6targetE0EEEvS13_
; %bb.0:
	.section	.rodata,"a",@progbits
	.p2align	6, 0x0
	.amdhsa_kernel _ZN7rocprim17ROCPRIM_400000_NS6detail17trampoline_kernelINS0_13select_configILj256ELj13ELNS0_17block_load_methodE3ELS4_3ELS4_3ELNS0_20block_scan_algorithmE0ELj4294967295EEENS1_25partition_config_selectorILNS1_17partition_subalgoE4EjNS0_10empty_typeEbEEZZNS1_14partition_implILS8_4ELb0ES6_15HIP_vector_typeIjLj2EENS0_17counting_iteratorIjlEEPS9_SG_NS0_5tupleIJPjSI_NS0_16reverse_iteratorISI_EEEEENSH_IJSG_SG_SG_EEES9_SI_JZNS1_25segmented_radix_sort_implINS0_14default_configELb0EPK6__halfPSP_PKlPlN2at6native12_GLOBAL__N_18offset_tEEE10hipError_tPvRmT1_PNSt15iterator_traitsIS13_E10value_typeET2_T3_PNS14_IS19_E10value_typeET4_jRbjT5_S1F_jjP12ihipStream_tbEUljE_ZNSN_ISO_Lb0ESR_SS_SU_SV_SZ_EES10_S11_S12_S13_S17_S18_S19_S1C_S1D_jS1E_jS1F_S1F_jjS1H_bEUljE0_EEES10_S11_S12_S19_S1D_S1F_T6_T7_T9_mT8_S1H_bDpT10_ENKUlT_T0_E_clISt17integral_constantIbLb0EES1U_IbLb1EEEEDaS1Q_S1R_EUlS1Q_E_NS1_11comp_targetILNS1_3genE8ELNS1_11target_archE1030ELNS1_3gpuE2ELNS1_3repE0EEENS1_30default_config_static_selectorELNS0_4arch9wavefront6targetE0EEEvS13_
		.amdhsa_group_segment_fixed_size 0
		.amdhsa_private_segment_fixed_size 0
		.amdhsa_kernarg_size 184
		.amdhsa_user_sgpr_count 15
		.amdhsa_user_sgpr_dispatch_ptr 0
		.amdhsa_user_sgpr_queue_ptr 0
		.amdhsa_user_sgpr_kernarg_segment_ptr 1
		.amdhsa_user_sgpr_dispatch_id 0
		.amdhsa_user_sgpr_private_segment_size 0
		.amdhsa_wavefront_size32 1
		.amdhsa_uses_dynamic_stack 0
		.amdhsa_enable_private_segment 0
		.amdhsa_system_sgpr_workgroup_id_x 1
		.amdhsa_system_sgpr_workgroup_id_y 0
		.amdhsa_system_sgpr_workgroup_id_z 0
		.amdhsa_system_sgpr_workgroup_info 0
		.amdhsa_system_vgpr_workitem_id 0
		.amdhsa_next_free_vgpr 1
		.amdhsa_next_free_sgpr 1
		.amdhsa_reserve_vcc 0
		.amdhsa_float_round_mode_32 0
		.amdhsa_float_round_mode_16_64 0
		.amdhsa_float_denorm_mode_32 3
		.amdhsa_float_denorm_mode_16_64 3
		.amdhsa_dx10_clamp 1
		.amdhsa_ieee_mode 1
		.amdhsa_fp16_overflow 0
		.amdhsa_workgroup_processor_mode 1
		.amdhsa_memory_ordered 1
		.amdhsa_forward_progress 0
		.amdhsa_shared_vgpr_count 0
		.amdhsa_exception_fp_ieee_invalid_op 0
		.amdhsa_exception_fp_denorm_src 0
		.amdhsa_exception_fp_ieee_div_zero 0
		.amdhsa_exception_fp_ieee_overflow 0
		.amdhsa_exception_fp_ieee_underflow 0
		.amdhsa_exception_fp_ieee_inexact 0
		.amdhsa_exception_int_div_zero 0
	.end_amdhsa_kernel
	.section	.text._ZN7rocprim17ROCPRIM_400000_NS6detail17trampoline_kernelINS0_13select_configILj256ELj13ELNS0_17block_load_methodE3ELS4_3ELS4_3ELNS0_20block_scan_algorithmE0ELj4294967295EEENS1_25partition_config_selectorILNS1_17partition_subalgoE4EjNS0_10empty_typeEbEEZZNS1_14partition_implILS8_4ELb0ES6_15HIP_vector_typeIjLj2EENS0_17counting_iteratorIjlEEPS9_SG_NS0_5tupleIJPjSI_NS0_16reverse_iteratorISI_EEEEENSH_IJSG_SG_SG_EEES9_SI_JZNS1_25segmented_radix_sort_implINS0_14default_configELb0EPK6__halfPSP_PKlPlN2at6native12_GLOBAL__N_18offset_tEEE10hipError_tPvRmT1_PNSt15iterator_traitsIS13_E10value_typeET2_T3_PNS14_IS19_E10value_typeET4_jRbjT5_S1F_jjP12ihipStream_tbEUljE_ZNSN_ISO_Lb0ESR_SS_SU_SV_SZ_EES10_S11_S12_S13_S17_S18_S19_S1C_S1D_jS1E_jS1F_S1F_jjS1H_bEUljE0_EEES10_S11_S12_S19_S1D_S1F_T6_T7_T9_mT8_S1H_bDpT10_ENKUlT_T0_E_clISt17integral_constantIbLb0EES1U_IbLb1EEEEDaS1Q_S1R_EUlS1Q_E_NS1_11comp_targetILNS1_3genE8ELNS1_11target_archE1030ELNS1_3gpuE2ELNS1_3repE0EEENS1_30default_config_static_selectorELNS0_4arch9wavefront6targetE0EEEvS13_,"axG",@progbits,_ZN7rocprim17ROCPRIM_400000_NS6detail17trampoline_kernelINS0_13select_configILj256ELj13ELNS0_17block_load_methodE3ELS4_3ELS4_3ELNS0_20block_scan_algorithmE0ELj4294967295EEENS1_25partition_config_selectorILNS1_17partition_subalgoE4EjNS0_10empty_typeEbEEZZNS1_14partition_implILS8_4ELb0ES6_15HIP_vector_typeIjLj2EENS0_17counting_iteratorIjlEEPS9_SG_NS0_5tupleIJPjSI_NS0_16reverse_iteratorISI_EEEEENSH_IJSG_SG_SG_EEES9_SI_JZNS1_25segmented_radix_sort_implINS0_14default_configELb0EPK6__halfPSP_PKlPlN2at6native12_GLOBAL__N_18offset_tEEE10hipError_tPvRmT1_PNSt15iterator_traitsIS13_E10value_typeET2_T3_PNS14_IS19_E10value_typeET4_jRbjT5_S1F_jjP12ihipStream_tbEUljE_ZNSN_ISO_Lb0ESR_SS_SU_SV_SZ_EES10_S11_S12_S13_S17_S18_S19_S1C_S1D_jS1E_jS1F_S1F_jjS1H_bEUljE0_EEES10_S11_S12_S19_S1D_S1F_T6_T7_T9_mT8_S1H_bDpT10_ENKUlT_T0_E_clISt17integral_constantIbLb0EES1U_IbLb1EEEEDaS1Q_S1R_EUlS1Q_E_NS1_11comp_targetILNS1_3genE8ELNS1_11target_archE1030ELNS1_3gpuE2ELNS1_3repE0EEENS1_30default_config_static_selectorELNS0_4arch9wavefront6targetE0EEEvS13_,comdat
.Lfunc_end1809:
	.size	_ZN7rocprim17ROCPRIM_400000_NS6detail17trampoline_kernelINS0_13select_configILj256ELj13ELNS0_17block_load_methodE3ELS4_3ELS4_3ELNS0_20block_scan_algorithmE0ELj4294967295EEENS1_25partition_config_selectorILNS1_17partition_subalgoE4EjNS0_10empty_typeEbEEZZNS1_14partition_implILS8_4ELb0ES6_15HIP_vector_typeIjLj2EENS0_17counting_iteratorIjlEEPS9_SG_NS0_5tupleIJPjSI_NS0_16reverse_iteratorISI_EEEEENSH_IJSG_SG_SG_EEES9_SI_JZNS1_25segmented_radix_sort_implINS0_14default_configELb0EPK6__halfPSP_PKlPlN2at6native12_GLOBAL__N_18offset_tEEE10hipError_tPvRmT1_PNSt15iterator_traitsIS13_E10value_typeET2_T3_PNS14_IS19_E10value_typeET4_jRbjT5_S1F_jjP12ihipStream_tbEUljE_ZNSN_ISO_Lb0ESR_SS_SU_SV_SZ_EES10_S11_S12_S13_S17_S18_S19_S1C_S1D_jS1E_jS1F_S1F_jjS1H_bEUljE0_EEES10_S11_S12_S19_S1D_S1F_T6_T7_T9_mT8_S1H_bDpT10_ENKUlT_T0_E_clISt17integral_constantIbLb0EES1U_IbLb1EEEEDaS1Q_S1R_EUlS1Q_E_NS1_11comp_targetILNS1_3genE8ELNS1_11target_archE1030ELNS1_3gpuE2ELNS1_3repE0EEENS1_30default_config_static_selectorELNS0_4arch9wavefront6targetE0EEEvS13_, .Lfunc_end1809-_ZN7rocprim17ROCPRIM_400000_NS6detail17trampoline_kernelINS0_13select_configILj256ELj13ELNS0_17block_load_methodE3ELS4_3ELS4_3ELNS0_20block_scan_algorithmE0ELj4294967295EEENS1_25partition_config_selectorILNS1_17partition_subalgoE4EjNS0_10empty_typeEbEEZZNS1_14partition_implILS8_4ELb0ES6_15HIP_vector_typeIjLj2EENS0_17counting_iteratorIjlEEPS9_SG_NS0_5tupleIJPjSI_NS0_16reverse_iteratorISI_EEEEENSH_IJSG_SG_SG_EEES9_SI_JZNS1_25segmented_radix_sort_implINS0_14default_configELb0EPK6__halfPSP_PKlPlN2at6native12_GLOBAL__N_18offset_tEEE10hipError_tPvRmT1_PNSt15iterator_traitsIS13_E10value_typeET2_T3_PNS14_IS19_E10value_typeET4_jRbjT5_S1F_jjP12ihipStream_tbEUljE_ZNSN_ISO_Lb0ESR_SS_SU_SV_SZ_EES10_S11_S12_S13_S17_S18_S19_S1C_S1D_jS1E_jS1F_S1F_jjS1H_bEUljE0_EEES10_S11_S12_S19_S1D_S1F_T6_T7_T9_mT8_S1H_bDpT10_ENKUlT_T0_E_clISt17integral_constantIbLb0EES1U_IbLb1EEEEDaS1Q_S1R_EUlS1Q_E_NS1_11comp_targetILNS1_3genE8ELNS1_11target_archE1030ELNS1_3gpuE2ELNS1_3repE0EEENS1_30default_config_static_selectorELNS0_4arch9wavefront6targetE0EEEvS13_
                                        ; -- End function
	.section	.AMDGPU.csdata,"",@progbits
; Kernel info:
; codeLenInByte = 0
; NumSgprs: 0
; NumVgprs: 0
; ScratchSize: 0
; MemoryBound: 0
; FloatMode: 240
; IeeeMode: 1
; LDSByteSize: 0 bytes/workgroup (compile time only)
; SGPRBlocks: 0
; VGPRBlocks: 0
; NumSGPRsForWavesPerEU: 1
; NumVGPRsForWavesPerEU: 1
; Occupancy: 16
; WaveLimiterHint : 0
; COMPUTE_PGM_RSRC2:SCRATCH_EN: 0
; COMPUTE_PGM_RSRC2:USER_SGPR: 15
; COMPUTE_PGM_RSRC2:TRAP_HANDLER: 0
; COMPUTE_PGM_RSRC2:TGID_X_EN: 1
; COMPUTE_PGM_RSRC2:TGID_Y_EN: 0
; COMPUTE_PGM_RSRC2:TGID_Z_EN: 0
; COMPUTE_PGM_RSRC2:TIDIG_COMP_CNT: 0
	.section	.text._ZN7rocprim17ROCPRIM_400000_NS6detail17trampoline_kernelINS0_13select_configILj256ELj13ELNS0_17block_load_methodE3ELS4_3ELS4_3ELNS0_20block_scan_algorithmE0ELj4294967295EEENS1_25partition_config_selectorILNS1_17partition_subalgoE3EjNS0_10empty_typeEbEEZZNS1_14partition_implILS8_3ELb0ES6_jNS0_17counting_iteratorIjlEEPS9_SE_NS0_5tupleIJPjSE_EEENSF_IJSE_SE_EEES9_SG_JZNS1_25segmented_radix_sort_implINS0_14default_configELb0EPK6__halfPSL_PKlPlN2at6native12_GLOBAL__N_18offset_tEEE10hipError_tPvRmT1_PNSt15iterator_traitsISZ_E10value_typeET2_T3_PNS10_IS15_E10value_typeET4_jRbjT5_S1B_jjP12ihipStream_tbEUljE_EEESW_SX_SY_S15_S19_S1B_T6_T7_T9_mT8_S1D_bDpT10_ENKUlT_T0_E_clISt17integral_constantIbLb0EES1Q_EEDaS1L_S1M_EUlS1L_E_NS1_11comp_targetILNS1_3genE0ELNS1_11target_archE4294967295ELNS1_3gpuE0ELNS1_3repE0EEENS1_30default_config_static_selectorELNS0_4arch9wavefront6targetE0EEEvSZ_,"axG",@progbits,_ZN7rocprim17ROCPRIM_400000_NS6detail17trampoline_kernelINS0_13select_configILj256ELj13ELNS0_17block_load_methodE3ELS4_3ELS4_3ELNS0_20block_scan_algorithmE0ELj4294967295EEENS1_25partition_config_selectorILNS1_17partition_subalgoE3EjNS0_10empty_typeEbEEZZNS1_14partition_implILS8_3ELb0ES6_jNS0_17counting_iteratorIjlEEPS9_SE_NS0_5tupleIJPjSE_EEENSF_IJSE_SE_EEES9_SG_JZNS1_25segmented_radix_sort_implINS0_14default_configELb0EPK6__halfPSL_PKlPlN2at6native12_GLOBAL__N_18offset_tEEE10hipError_tPvRmT1_PNSt15iterator_traitsISZ_E10value_typeET2_T3_PNS10_IS15_E10value_typeET4_jRbjT5_S1B_jjP12ihipStream_tbEUljE_EEESW_SX_SY_S15_S19_S1B_T6_T7_T9_mT8_S1D_bDpT10_ENKUlT_T0_E_clISt17integral_constantIbLb0EES1Q_EEDaS1L_S1M_EUlS1L_E_NS1_11comp_targetILNS1_3genE0ELNS1_11target_archE4294967295ELNS1_3gpuE0ELNS1_3repE0EEENS1_30default_config_static_selectorELNS0_4arch9wavefront6targetE0EEEvSZ_,comdat
	.globl	_ZN7rocprim17ROCPRIM_400000_NS6detail17trampoline_kernelINS0_13select_configILj256ELj13ELNS0_17block_load_methodE3ELS4_3ELS4_3ELNS0_20block_scan_algorithmE0ELj4294967295EEENS1_25partition_config_selectorILNS1_17partition_subalgoE3EjNS0_10empty_typeEbEEZZNS1_14partition_implILS8_3ELb0ES6_jNS0_17counting_iteratorIjlEEPS9_SE_NS0_5tupleIJPjSE_EEENSF_IJSE_SE_EEES9_SG_JZNS1_25segmented_radix_sort_implINS0_14default_configELb0EPK6__halfPSL_PKlPlN2at6native12_GLOBAL__N_18offset_tEEE10hipError_tPvRmT1_PNSt15iterator_traitsISZ_E10value_typeET2_T3_PNS10_IS15_E10value_typeET4_jRbjT5_S1B_jjP12ihipStream_tbEUljE_EEESW_SX_SY_S15_S19_S1B_T6_T7_T9_mT8_S1D_bDpT10_ENKUlT_T0_E_clISt17integral_constantIbLb0EES1Q_EEDaS1L_S1M_EUlS1L_E_NS1_11comp_targetILNS1_3genE0ELNS1_11target_archE4294967295ELNS1_3gpuE0ELNS1_3repE0EEENS1_30default_config_static_selectorELNS0_4arch9wavefront6targetE0EEEvSZ_ ; -- Begin function _ZN7rocprim17ROCPRIM_400000_NS6detail17trampoline_kernelINS0_13select_configILj256ELj13ELNS0_17block_load_methodE3ELS4_3ELS4_3ELNS0_20block_scan_algorithmE0ELj4294967295EEENS1_25partition_config_selectorILNS1_17partition_subalgoE3EjNS0_10empty_typeEbEEZZNS1_14partition_implILS8_3ELb0ES6_jNS0_17counting_iteratorIjlEEPS9_SE_NS0_5tupleIJPjSE_EEENSF_IJSE_SE_EEES9_SG_JZNS1_25segmented_radix_sort_implINS0_14default_configELb0EPK6__halfPSL_PKlPlN2at6native12_GLOBAL__N_18offset_tEEE10hipError_tPvRmT1_PNSt15iterator_traitsISZ_E10value_typeET2_T3_PNS10_IS15_E10value_typeET4_jRbjT5_S1B_jjP12ihipStream_tbEUljE_EEESW_SX_SY_S15_S19_S1B_T6_T7_T9_mT8_S1D_bDpT10_ENKUlT_T0_E_clISt17integral_constantIbLb0EES1Q_EEDaS1L_S1M_EUlS1L_E_NS1_11comp_targetILNS1_3genE0ELNS1_11target_archE4294967295ELNS1_3gpuE0ELNS1_3repE0EEENS1_30default_config_static_selectorELNS0_4arch9wavefront6targetE0EEEvSZ_
	.p2align	8
	.type	_ZN7rocprim17ROCPRIM_400000_NS6detail17trampoline_kernelINS0_13select_configILj256ELj13ELNS0_17block_load_methodE3ELS4_3ELS4_3ELNS0_20block_scan_algorithmE0ELj4294967295EEENS1_25partition_config_selectorILNS1_17partition_subalgoE3EjNS0_10empty_typeEbEEZZNS1_14partition_implILS8_3ELb0ES6_jNS0_17counting_iteratorIjlEEPS9_SE_NS0_5tupleIJPjSE_EEENSF_IJSE_SE_EEES9_SG_JZNS1_25segmented_radix_sort_implINS0_14default_configELb0EPK6__halfPSL_PKlPlN2at6native12_GLOBAL__N_18offset_tEEE10hipError_tPvRmT1_PNSt15iterator_traitsISZ_E10value_typeET2_T3_PNS10_IS15_E10value_typeET4_jRbjT5_S1B_jjP12ihipStream_tbEUljE_EEESW_SX_SY_S15_S19_S1B_T6_T7_T9_mT8_S1D_bDpT10_ENKUlT_T0_E_clISt17integral_constantIbLb0EES1Q_EEDaS1L_S1M_EUlS1L_E_NS1_11comp_targetILNS1_3genE0ELNS1_11target_archE4294967295ELNS1_3gpuE0ELNS1_3repE0EEENS1_30default_config_static_selectorELNS0_4arch9wavefront6targetE0EEEvSZ_,@function
_ZN7rocprim17ROCPRIM_400000_NS6detail17trampoline_kernelINS0_13select_configILj256ELj13ELNS0_17block_load_methodE3ELS4_3ELS4_3ELNS0_20block_scan_algorithmE0ELj4294967295EEENS1_25partition_config_selectorILNS1_17partition_subalgoE3EjNS0_10empty_typeEbEEZZNS1_14partition_implILS8_3ELb0ES6_jNS0_17counting_iteratorIjlEEPS9_SE_NS0_5tupleIJPjSE_EEENSF_IJSE_SE_EEES9_SG_JZNS1_25segmented_radix_sort_implINS0_14default_configELb0EPK6__halfPSL_PKlPlN2at6native12_GLOBAL__N_18offset_tEEE10hipError_tPvRmT1_PNSt15iterator_traitsISZ_E10value_typeET2_T3_PNS10_IS15_E10value_typeET4_jRbjT5_S1B_jjP12ihipStream_tbEUljE_EEESW_SX_SY_S15_S19_S1B_T6_T7_T9_mT8_S1D_bDpT10_ENKUlT_T0_E_clISt17integral_constantIbLb0EES1Q_EEDaS1L_S1M_EUlS1L_E_NS1_11comp_targetILNS1_3genE0ELNS1_11target_archE4294967295ELNS1_3gpuE0ELNS1_3repE0EEENS1_30default_config_static_selectorELNS0_4arch9wavefront6targetE0EEEvSZ_: ; @_ZN7rocprim17ROCPRIM_400000_NS6detail17trampoline_kernelINS0_13select_configILj256ELj13ELNS0_17block_load_methodE3ELS4_3ELS4_3ELNS0_20block_scan_algorithmE0ELj4294967295EEENS1_25partition_config_selectorILNS1_17partition_subalgoE3EjNS0_10empty_typeEbEEZZNS1_14partition_implILS8_3ELb0ES6_jNS0_17counting_iteratorIjlEEPS9_SE_NS0_5tupleIJPjSE_EEENSF_IJSE_SE_EEES9_SG_JZNS1_25segmented_radix_sort_implINS0_14default_configELb0EPK6__halfPSL_PKlPlN2at6native12_GLOBAL__N_18offset_tEEE10hipError_tPvRmT1_PNSt15iterator_traitsISZ_E10value_typeET2_T3_PNS10_IS15_E10value_typeET4_jRbjT5_S1B_jjP12ihipStream_tbEUljE_EEESW_SX_SY_S15_S19_S1B_T6_T7_T9_mT8_S1D_bDpT10_ENKUlT_T0_E_clISt17integral_constantIbLb0EES1Q_EEDaS1L_S1M_EUlS1L_E_NS1_11comp_targetILNS1_3genE0ELNS1_11target_archE4294967295ELNS1_3gpuE0ELNS1_3repE0EEENS1_30default_config_static_selectorELNS0_4arch9wavefront6targetE0EEEvSZ_
; %bb.0:
	.section	.rodata,"a",@progbits
	.p2align	6, 0x0
	.amdhsa_kernel _ZN7rocprim17ROCPRIM_400000_NS6detail17trampoline_kernelINS0_13select_configILj256ELj13ELNS0_17block_load_methodE3ELS4_3ELS4_3ELNS0_20block_scan_algorithmE0ELj4294967295EEENS1_25partition_config_selectorILNS1_17partition_subalgoE3EjNS0_10empty_typeEbEEZZNS1_14partition_implILS8_3ELb0ES6_jNS0_17counting_iteratorIjlEEPS9_SE_NS0_5tupleIJPjSE_EEENSF_IJSE_SE_EEES9_SG_JZNS1_25segmented_radix_sort_implINS0_14default_configELb0EPK6__halfPSL_PKlPlN2at6native12_GLOBAL__N_18offset_tEEE10hipError_tPvRmT1_PNSt15iterator_traitsISZ_E10value_typeET2_T3_PNS10_IS15_E10value_typeET4_jRbjT5_S1B_jjP12ihipStream_tbEUljE_EEESW_SX_SY_S15_S19_S1B_T6_T7_T9_mT8_S1D_bDpT10_ENKUlT_T0_E_clISt17integral_constantIbLb0EES1Q_EEDaS1L_S1M_EUlS1L_E_NS1_11comp_targetILNS1_3genE0ELNS1_11target_archE4294967295ELNS1_3gpuE0ELNS1_3repE0EEENS1_30default_config_static_selectorELNS0_4arch9wavefront6targetE0EEEvSZ_
		.amdhsa_group_segment_fixed_size 0
		.amdhsa_private_segment_fixed_size 0
		.amdhsa_kernarg_size 144
		.amdhsa_user_sgpr_count 15
		.amdhsa_user_sgpr_dispatch_ptr 0
		.amdhsa_user_sgpr_queue_ptr 0
		.amdhsa_user_sgpr_kernarg_segment_ptr 1
		.amdhsa_user_sgpr_dispatch_id 0
		.amdhsa_user_sgpr_private_segment_size 0
		.amdhsa_wavefront_size32 1
		.amdhsa_uses_dynamic_stack 0
		.amdhsa_enable_private_segment 0
		.amdhsa_system_sgpr_workgroup_id_x 1
		.amdhsa_system_sgpr_workgroup_id_y 0
		.amdhsa_system_sgpr_workgroup_id_z 0
		.amdhsa_system_sgpr_workgroup_info 0
		.amdhsa_system_vgpr_workitem_id 0
		.amdhsa_next_free_vgpr 1
		.amdhsa_next_free_sgpr 1
		.amdhsa_reserve_vcc 0
		.amdhsa_float_round_mode_32 0
		.amdhsa_float_round_mode_16_64 0
		.amdhsa_float_denorm_mode_32 3
		.amdhsa_float_denorm_mode_16_64 3
		.amdhsa_dx10_clamp 1
		.amdhsa_ieee_mode 1
		.amdhsa_fp16_overflow 0
		.amdhsa_workgroup_processor_mode 1
		.amdhsa_memory_ordered 1
		.amdhsa_forward_progress 0
		.amdhsa_shared_vgpr_count 0
		.amdhsa_exception_fp_ieee_invalid_op 0
		.amdhsa_exception_fp_denorm_src 0
		.amdhsa_exception_fp_ieee_div_zero 0
		.amdhsa_exception_fp_ieee_overflow 0
		.amdhsa_exception_fp_ieee_underflow 0
		.amdhsa_exception_fp_ieee_inexact 0
		.amdhsa_exception_int_div_zero 0
	.end_amdhsa_kernel
	.section	.text._ZN7rocprim17ROCPRIM_400000_NS6detail17trampoline_kernelINS0_13select_configILj256ELj13ELNS0_17block_load_methodE3ELS4_3ELS4_3ELNS0_20block_scan_algorithmE0ELj4294967295EEENS1_25partition_config_selectorILNS1_17partition_subalgoE3EjNS0_10empty_typeEbEEZZNS1_14partition_implILS8_3ELb0ES6_jNS0_17counting_iteratorIjlEEPS9_SE_NS0_5tupleIJPjSE_EEENSF_IJSE_SE_EEES9_SG_JZNS1_25segmented_radix_sort_implINS0_14default_configELb0EPK6__halfPSL_PKlPlN2at6native12_GLOBAL__N_18offset_tEEE10hipError_tPvRmT1_PNSt15iterator_traitsISZ_E10value_typeET2_T3_PNS10_IS15_E10value_typeET4_jRbjT5_S1B_jjP12ihipStream_tbEUljE_EEESW_SX_SY_S15_S19_S1B_T6_T7_T9_mT8_S1D_bDpT10_ENKUlT_T0_E_clISt17integral_constantIbLb0EES1Q_EEDaS1L_S1M_EUlS1L_E_NS1_11comp_targetILNS1_3genE0ELNS1_11target_archE4294967295ELNS1_3gpuE0ELNS1_3repE0EEENS1_30default_config_static_selectorELNS0_4arch9wavefront6targetE0EEEvSZ_,"axG",@progbits,_ZN7rocprim17ROCPRIM_400000_NS6detail17trampoline_kernelINS0_13select_configILj256ELj13ELNS0_17block_load_methodE3ELS4_3ELS4_3ELNS0_20block_scan_algorithmE0ELj4294967295EEENS1_25partition_config_selectorILNS1_17partition_subalgoE3EjNS0_10empty_typeEbEEZZNS1_14partition_implILS8_3ELb0ES6_jNS0_17counting_iteratorIjlEEPS9_SE_NS0_5tupleIJPjSE_EEENSF_IJSE_SE_EEES9_SG_JZNS1_25segmented_radix_sort_implINS0_14default_configELb0EPK6__halfPSL_PKlPlN2at6native12_GLOBAL__N_18offset_tEEE10hipError_tPvRmT1_PNSt15iterator_traitsISZ_E10value_typeET2_T3_PNS10_IS15_E10value_typeET4_jRbjT5_S1B_jjP12ihipStream_tbEUljE_EEESW_SX_SY_S15_S19_S1B_T6_T7_T9_mT8_S1D_bDpT10_ENKUlT_T0_E_clISt17integral_constantIbLb0EES1Q_EEDaS1L_S1M_EUlS1L_E_NS1_11comp_targetILNS1_3genE0ELNS1_11target_archE4294967295ELNS1_3gpuE0ELNS1_3repE0EEENS1_30default_config_static_selectorELNS0_4arch9wavefront6targetE0EEEvSZ_,comdat
.Lfunc_end1810:
	.size	_ZN7rocprim17ROCPRIM_400000_NS6detail17trampoline_kernelINS0_13select_configILj256ELj13ELNS0_17block_load_methodE3ELS4_3ELS4_3ELNS0_20block_scan_algorithmE0ELj4294967295EEENS1_25partition_config_selectorILNS1_17partition_subalgoE3EjNS0_10empty_typeEbEEZZNS1_14partition_implILS8_3ELb0ES6_jNS0_17counting_iteratorIjlEEPS9_SE_NS0_5tupleIJPjSE_EEENSF_IJSE_SE_EEES9_SG_JZNS1_25segmented_radix_sort_implINS0_14default_configELb0EPK6__halfPSL_PKlPlN2at6native12_GLOBAL__N_18offset_tEEE10hipError_tPvRmT1_PNSt15iterator_traitsISZ_E10value_typeET2_T3_PNS10_IS15_E10value_typeET4_jRbjT5_S1B_jjP12ihipStream_tbEUljE_EEESW_SX_SY_S15_S19_S1B_T6_T7_T9_mT8_S1D_bDpT10_ENKUlT_T0_E_clISt17integral_constantIbLb0EES1Q_EEDaS1L_S1M_EUlS1L_E_NS1_11comp_targetILNS1_3genE0ELNS1_11target_archE4294967295ELNS1_3gpuE0ELNS1_3repE0EEENS1_30default_config_static_selectorELNS0_4arch9wavefront6targetE0EEEvSZ_, .Lfunc_end1810-_ZN7rocprim17ROCPRIM_400000_NS6detail17trampoline_kernelINS0_13select_configILj256ELj13ELNS0_17block_load_methodE3ELS4_3ELS4_3ELNS0_20block_scan_algorithmE0ELj4294967295EEENS1_25partition_config_selectorILNS1_17partition_subalgoE3EjNS0_10empty_typeEbEEZZNS1_14partition_implILS8_3ELb0ES6_jNS0_17counting_iteratorIjlEEPS9_SE_NS0_5tupleIJPjSE_EEENSF_IJSE_SE_EEES9_SG_JZNS1_25segmented_radix_sort_implINS0_14default_configELb0EPK6__halfPSL_PKlPlN2at6native12_GLOBAL__N_18offset_tEEE10hipError_tPvRmT1_PNSt15iterator_traitsISZ_E10value_typeET2_T3_PNS10_IS15_E10value_typeET4_jRbjT5_S1B_jjP12ihipStream_tbEUljE_EEESW_SX_SY_S15_S19_S1B_T6_T7_T9_mT8_S1D_bDpT10_ENKUlT_T0_E_clISt17integral_constantIbLb0EES1Q_EEDaS1L_S1M_EUlS1L_E_NS1_11comp_targetILNS1_3genE0ELNS1_11target_archE4294967295ELNS1_3gpuE0ELNS1_3repE0EEENS1_30default_config_static_selectorELNS0_4arch9wavefront6targetE0EEEvSZ_
                                        ; -- End function
	.section	.AMDGPU.csdata,"",@progbits
; Kernel info:
; codeLenInByte = 0
; NumSgprs: 0
; NumVgprs: 0
; ScratchSize: 0
; MemoryBound: 0
; FloatMode: 240
; IeeeMode: 1
; LDSByteSize: 0 bytes/workgroup (compile time only)
; SGPRBlocks: 0
; VGPRBlocks: 0
; NumSGPRsForWavesPerEU: 1
; NumVGPRsForWavesPerEU: 1
; Occupancy: 16
; WaveLimiterHint : 0
; COMPUTE_PGM_RSRC2:SCRATCH_EN: 0
; COMPUTE_PGM_RSRC2:USER_SGPR: 15
; COMPUTE_PGM_RSRC2:TRAP_HANDLER: 0
; COMPUTE_PGM_RSRC2:TGID_X_EN: 1
; COMPUTE_PGM_RSRC2:TGID_Y_EN: 0
; COMPUTE_PGM_RSRC2:TGID_Z_EN: 0
; COMPUTE_PGM_RSRC2:TIDIG_COMP_CNT: 0
	.section	.text._ZN7rocprim17ROCPRIM_400000_NS6detail17trampoline_kernelINS0_13select_configILj256ELj13ELNS0_17block_load_methodE3ELS4_3ELS4_3ELNS0_20block_scan_algorithmE0ELj4294967295EEENS1_25partition_config_selectorILNS1_17partition_subalgoE3EjNS0_10empty_typeEbEEZZNS1_14partition_implILS8_3ELb0ES6_jNS0_17counting_iteratorIjlEEPS9_SE_NS0_5tupleIJPjSE_EEENSF_IJSE_SE_EEES9_SG_JZNS1_25segmented_radix_sort_implINS0_14default_configELb0EPK6__halfPSL_PKlPlN2at6native12_GLOBAL__N_18offset_tEEE10hipError_tPvRmT1_PNSt15iterator_traitsISZ_E10value_typeET2_T3_PNS10_IS15_E10value_typeET4_jRbjT5_S1B_jjP12ihipStream_tbEUljE_EEESW_SX_SY_S15_S19_S1B_T6_T7_T9_mT8_S1D_bDpT10_ENKUlT_T0_E_clISt17integral_constantIbLb0EES1Q_EEDaS1L_S1M_EUlS1L_E_NS1_11comp_targetILNS1_3genE5ELNS1_11target_archE942ELNS1_3gpuE9ELNS1_3repE0EEENS1_30default_config_static_selectorELNS0_4arch9wavefront6targetE0EEEvSZ_,"axG",@progbits,_ZN7rocprim17ROCPRIM_400000_NS6detail17trampoline_kernelINS0_13select_configILj256ELj13ELNS0_17block_load_methodE3ELS4_3ELS4_3ELNS0_20block_scan_algorithmE0ELj4294967295EEENS1_25partition_config_selectorILNS1_17partition_subalgoE3EjNS0_10empty_typeEbEEZZNS1_14partition_implILS8_3ELb0ES6_jNS0_17counting_iteratorIjlEEPS9_SE_NS0_5tupleIJPjSE_EEENSF_IJSE_SE_EEES9_SG_JZNS1_25segmented_radix_sort_implINS0_14default_configELb0EPK6__halfPSL_PKlPlN2at6native12_GLOBAL__N_18offset_tEEE10hipError_tPvRmT1_PNSt15iterator_traitsISZ_E10value_typeET2_T3_PNS10_IS15_E10value_typeET4_jRbjT5_S1B_jjP12ihipStream_tbEUljE_EEESW_SX_SY_S15_S19_S1B_T6_T7_T9_mT8_S1D_bDpT10_ENKUlT_T0_E_clISt17integral_constantIbLb0EES1Q_EEDaS1L_S1M_EUlS1L_E_NS1_11comp_targetILNS1_3genE5ELNS1_11target_archE942ELNS1_3gpuE9ELNS1_3repE0EEENS1_30default_config_static_selectorELNS0_4arch9wavefront6targetE0EEEvSZ_,comdat
	.globl	_ZN7rocprim17ROCPRIM_400000_NS6detail17trampoline_kernelINS0_13select_configILj256ELj13ELNS0_17block_load_methodE3ELS4_3ELS4_3ELNS0_20block_scan_algorithmE0ELj4294967295EEENS1_25partition_config_selectorILNS1_17partition_subalgoE3EjNS0_10empty_typeEbEEZZNS1_14partition_implILS8_3ELb0ES6_jNS0_17counting_iteratorIjlEEPS9_SE_NS0_5tupleIJPjSE_EEENSF_IJSE_SE_EEES9_SG_JZNS1_25segmented_radix_sort_implINS0_14default_configELb0EPK6__halfPSL_PKlPlN2at6native12_GLOBAL__N_18offset_tEEE10hipError_tPvRmT1_PNSt15iterator_traitsISZ_E10value_typeET2_T3_PNS10_IS15_E10value_typeET4_jRbjT5_S1B_jjP12ihipStream_tbEUljE_EEESW_SX_SY_S15_S19_S1B_T6_T7_T9_mT8_S1D_bDpT10_ENKUlT_T0_E_clISt17integral_constantIbLb0EES1Q_EEDaS1L_S1M_EUlS1L_E_NS1_11comp_targetILNS1_3genE5ELNS1_11target_archE942ELNS1_3gpuE9ELNS1_3repE0EEENS1_30default_config_static_selectorELNS0_4arch9wavefront6targetE0EEEvSZ_ ; -- Begin function _ZN7rocprim17ROCPRIM_400000_NS6detail17trampoline_kernelINS0_13select_configILj256ELj13ELNS0_17block_load_methodE3ELS4_3ELS4_3ELNS0_20block_scan_algorithmE0ELj4294967295EEENS1_25partition_config_selectorILNS1_17partition_subalgoE3EjNS0_10empty_typeEbEEZZNS1_14partition_implILS8_3ELb0ES6_jNS0_17counting_iteratorIjlEEPS9_SE_NS0_5tupleIJPjSE_EEENSF_IJSE_SE_EEES9_SG_JZNS1_25segmented_radix_sort_implINS0_14default_configELb0EPK6__halfPSL_PKlPlN2at6native12_GLOBAL__N_18offset_tEEE10hipError_tPvRmT1_PNSt15iterator_traitsISZ_E10value_typeET2_T3_PNS10_IS15_E10value_typeET4_jRbjT5_S1B_jjP12ihipStream_tbEUljE_EEESW_SX_SY_S15_S19_S1B_T6_T7_T9_mT8_S1D_bDpT10_ENKUlT_T0_E_clISt17integral_constantIbLb0EES1Q_EEDaS1L_S1M_EUlS1L_E_NS1_11comp_targetILNS1_3genE5ELNS1_11target_archE942ELNS1_3gpuE9ELNS1_3repE0EEENS1_30default_config_static_selectorELNS0_4arch9wavefront6targetE0EEEvSZ_
	.p2align	8
	.type	_ZN7rocprim17ROCPRIM_400000_NS6detail17trampoline_kernelINS0_13select_configILj256ELj13ELNS0_17block_load_methodE3ELS4_3ELS4_3ELNS0_20block_scan_algorithmE0ELj4294967295EEENS1_25partition_config_selectorILNS1_17partition_subalgoE3EjNS0_10empty_typeEbEEZZNS1_14partition_implILS8_3ELb0ES6_jNS0_17counting_iteratorIjlEEPS9_SE_NS0_5tupleIJPjSE_EEENSF_IJSE_SE_EEES9_SG_JZNS1_25segmented_radix_sort_implINS0_14default_configELb0EPK6__halfPSL_PKlPlN2at6native12_GLOBAL__N_18offset_tEEE10hipError_tPvRmT1_PNSt15iterator_traitsISZ_E10value_typeET2_T3_PNS10_IS15_E10value_typeET4_jRbjT5_S1B_jjP12ihipStream_tbEUljE_EEESW_SX_SY_S15_S19_S1B_T6_T7_T9_mT8_S1D_bDpT10_ENKUlT_T0_E_clISt17integral_constantIbLb0EES1Q_EEDaS1L_S1M_EUlS1L_E_NS1_11comp_targetILNS1_3genE5ELNS1_11target_archE942ELNS1_3gpuE9ELNS1_3repE0EEENS1_30default_config_static_selectorELNS0_4arch9wavefront6targetE0EEEvSZ_,@function
_ZN7rocprim17ROCPRIM_400000_NS6detail17trampoline_kernelINS0_13select_configILj256ELj13ELNS0_17block_load_methodE3ELS4_3ELS4_3ELNS0_20block_scan_algorithmE0ELj4294967295EEENS1_25partition_config_selectorILNS1_17partition_subalgoE3EjNS0_10empty_typeEbEEZZNS1_14partition_implILS8_3ELb0ES6_jNS0_17counting_iteratorIjlEEPS9_SE_NS0_5tupleIJPjSE_EEENSF_IJSE_SE_EEES9_SG_JZNS1_25segmented_radix_sort_implINS0_14default_configELb0EPK6__halfPSL_PKlPlN2at6native12_GLOBAL__N_18offset_tEEE10hipError_tPvRmT1_PNSt15iterator_traitsISZ_E10value_typeET2_T3_PNS10_IS15_E10value_typeET4_jRbjT5_S1B_jjP12ihipStream_tbEUljE_EEESW_SX_SY_S15_S19_S1B_T6_T7_T9_mT8_S1D_bDpT10_ENKUlT_T0_E_clISt17integral_constantIbLb0EES1Q_EEDaS1L_S1M_EUlS1L_E_NS1_11comp_targetILNS1_3genE5ELNS1_11target_archE942ELNS1_3gpuE9ELNS1_3repE0EEENS1_30default_config_static_selectorELNS0_4arch9wavefront6targetE0EEEvSZ_: ; @_ZN7rocprim17ROCPRIM_400000_NS6detail17trampoline_kernelINS0_13select_configILj256ELj13ELNS0_17block_load_methodE3ELS4_3ELS4_3ELNS0_20block_scan_algorithmE0ELj4294967295EEENS1_25partition_config_selectorILNS1_17partition_subalgoE3EjNS0_10empty_typeEbEEZZNS1_14partition_implILS8_3ELb0ES6_jNS0_17counting_iteratorIjlEEPS9_SE_NS0_5tupleIJPjSE_EEENSF_IJSE_SE_EEES9_SG_JZNS1_25segmented_radix_sort_implINS0_14default_configELb0EPK6__halfPSL_PKlPlN2at6native12_GLOBAL__N_18offset_tEEE10hipError_tPvRmT1_PNSt15iterator_traitsISZ_E10value_typeET2_T3_PNS10_IS15_E10value_typeET4_jRbjT5_S1B_jjP12ihipStream_tbEUljE_EEESW_SX_SY_S15_S19_S1B_T6_T7_T9_mT8_S1D_bDpT10_ENKUlT_T0_E_clISt17integral_constantIbLb0EES1Q_EEDaS1L_S1M_EUlS1L_E_NS1_11comp_targetILNS1_3genE5ELNS1_11target_archE942ELNS1_3gpuE9ELNS1_3repE0EEENS1_30default_config_static_selectorELNS0_4arch9wavefront6targetE0EEEvSZ_
; %bb.0:
	.section	.rodata,"a",@progbits
	.p2align	6, 0x0
	.amdhsa_kernel _ZN7rocprim17ROCPRIM_400000_NS6detail17trampoline_kernelINS0_13select_configILj256ELj13ELNS0_17block_load_methodE3ELS4_3ELS4_3ELNS0_20block_scan_algorithmE0ELj4294967295EEENS1_25partition_config_selectorILNS1_17partition_subalgoE3EjNS0_10empty_typeEbEEZZNS1_14partition_implILS8_3ELb0ES6_jNS0_17counting_iteratorIjlEEPS9_SE_NS0_5tupleIJPjSE_EEENSF_IJSE_SE_EEES9_SG_JZNS1_25segmented_radix_sort_implINS0_14default_configELb0EPK6__halfPSL_PKlPlN2at6native12_GLOBAL__N_18offset_tEEE10hipError_tPvRmT1_PNSt15iterator_traitsISZ_E10value_typeET2_T3_PNS10_IS15_E10value_typeET4_jRbjT5_S1B_jjP12ihipStream_tbEUljE_EEESW_SX_SY_S15_S19_S1B_T6_T7_T9_mT8_S1D_bDpT10_ENKUlT_T0_E_clISt17integral_constantIbLb0EES1Q_EEDaS1L_S1M_EUlS1L_E_NS1_11comp_targetILNS1_3genE5ELNS1_11target_archE942ELNS1_3gpuE9ELNS1_3repE0EEENS1_30default_config_static_selectorELNS0_4arch9wavefront6targetE0EEEvSZ_
		.amdhsa_group_segment_fixed_size 0
		.amdhsa_private_segment_fixed_size 0
		.amdhsa_kernarg_size 144
		.amdhsa_user_sgpr_count 15
		.amdhsa_user_sgpr_dispatch_ptr 0
		.amdhsa_user_sgpr_queue_ptr 0
		.amdhsa_user_sgpr_kernarg_segment_ptr 1
		.amdhsa_user_sgpr_dispatch_id 0
		.amdhsa_user_sgpr_private_segment_size 0
		.amdhsa_wavefront_size32 1
		.amdhsa_uses_dynamic_stack 0
		.amdhsa_enable_private_segment 0
		.amdhsa_system_sgpr_workgroup_id_x 1
		.amdhsa_system_sgpr_workgroup_id_y 0
		.amdhsa_system_sgpr_workgroup_id_z 0
		.amdhsa_system_sgpr_workgroup_info 0
		.amdhsa_system_vgpr_workitem_id 0
		.amdhsa_next_free_vgpr 1
		.amdhsa_next_free_sgpr 1
		.amdhsa_reserve_vcc 0
		.amdhsa_float_round_mode_32 0
		.amdhsa_float_round_mode_16_64 0
		.amdhsa_float_denorm_mode_32 3
		.amdhsa_float_denorm_mode_16_64 3
		.amdhsa_dx10_clamp 1
		.amdhsa_ieee_mode 1
		.amdhsa_fp16_overflow 0
		.amdhsa_workgroup_processor_mode 1
		.amdhsa_memory_ordered 1
		.amdhsa_forward_progress 0
		.amdhsa_shared_vgpr_count 0
		.amdhsa_exception_fp_ieee_invalid_op 0
		.amdhsa_exception_fp_denorm_src 0
		.amdhsa_exception_fp_ieee_div_zero 0
		.amdhsa_exception_fp_ieee_overflow 0
		.amdhsa_exception_fp_ieee_underflow 0
		.amdhsa_exception_fp_ieee_inexact 0
		.amdhsa_exception_int_div_zero 0
	.end_amdhsa_kernel
	.section	.text._ZN7rocprim17ROCPRIM_400000_NS6detail17trampoline_kernelINS0_13select_configILj256ELj13ELNS0_17block_load_methodE3ELS4_3ELS4_3ELNS0_20block_scan_algorithmE0ELj4294967295EEENS1_25partition_config_selectorILNS1_17partition_subalgoE3EjNS0_10empty_typeEbEEZZNS1_14partition_implILS8_3ELb0ES6_jNS0_17counting_iteratorIjlEEPS9_SE_NS0_5tupleIJPjSE_EEENSF_IJSE_SE_EEES9_SG_JZNS1_25segmented_radix_sort_implINS0_14default_configELb0EPK6__halfPSL_PKlPlN2at6native12_GLOBAL__N_18offset_tEEE10hipError_tPvRmT1_PNSt15iterator_traitsISZ_E10value_typeET2_T3_PNS10_IS15_E10value_typeET4_jRbjT5_S1B_jjP12ihipStream_tbEUljE_EEESW_SX_SY_S15_S19_S1B_T6_T7_T9_mT8_S1D_bDpT10_ENKUlT_T0_E_clISt17integral_constantIbLb0EES1Q_EEDaS1L_S1M_EUlS1L_E_NS1_11comp_targetILNS1_3genE5ELNS1_11target_archE942ELNS1_3gpuE9ELNS1_3repE0EEENS1_30default_config_static_selectorELNS0_4arch9wavefront6targetE0EEEvSZ_,"axG",@progbits,_ZN7rocprim17ROCPRIM_400000_NS6detail17trampoline_kernelINS0_13select_configILj256ELj13ELNS0_17block_load_methodE3ELS4_3ELS4_3ELNS0_20block_scan_algorithmE0ELj4294967295EEENS1_25partition_config_selectorILNS1_17partition_subalgoE3EjNS0_10empty_typeEbEEZZNS1_14partition_implILS8_3ELb0ES6_jNS0_17counting_iteratorIjlEEPS9_SE_NS0_5tupleIJPjSE_EEENSF_IJSE_SE_EEES9_SG_JZNS1_25segmented_radix_sort_implINS0_14default_configELb0EPK6__halfPSL_PKlPlN2at6native12_GLOBAL__N_18offset_tEEE10hipError_tPvRmT1_PNSt15iterator_traitsISZ_E10value_typeET2_T3_PNS10_IS15_E10value_typeET4_jRbjT5_S1B_jjP12ihipStream_tbEUljE_EEESW_SX_SY_S15_S19_S1B_T6_T7_T9_mT8_S1D_bDpT10_ENKUlT_T0_E_clISt17integral_constantIbLb0EES1Q_EEDaS1L_S1M_EUlS1L_E_NS1_11comp_targetILNS1_3genE5ELNS1_11target_archE942ELNS1_3gpuE9ELNS1_3repE0EEENS1_30default_config_static_selectorELNS0_4arch9wavefront6targetE0EEEvSZ_,comdat
.Lfunc_end1811:
	.size	_ZN7rocprim17ROCPRIM_400000_NS6detail17trampoline_kernelINS0_13select_configILj256ELj13ELNS0_17block_load_methodE3ELS4_3ELS4_3ELNS0_20block_scan_algorithmE0ELj4294967295EEENS1_25partition_config_selectorILNS1_17partition_subalgoE3EjNS0_10empty_typeEbEEZZNS1_14partition_implILS8_3ELb0ES6_jNS0_17counting_iteratorIjlEEPS9_SE_NS0_5tupleIJPjSE_EEENSF_IJSE_SE_EEES9_SG_JZNS1_25segmented_radix_sort_implINS0_14default_configELb0EPK6__halfPSL_PKlPlN2at6native12_GLOBAL__N_18offset_tEEE10hipError_tPvRmT1_PNSt15iterator_traitsISZ_E10value_typeET2_T3_PNS10_IS15_E10value_typeET4_jRbjT5_S1B_jjP12ihipStream_tbEUljE_EEESW_SX_SY_S15_S19_S1B_T6_T7_T9_mT8_S1D_bDpT10_ENKUlT_T0_E_clISt17integral_constantIbLb0EES1Q_EEDaS1L_S1M_EUlS1L_E_NS1_11comp_targetILNS1_3genE5ELNS1_11target_archE942ELNS1_3gpuE9ELNS1_3repE0EEENS1_30default_config_static_selectorELNS0_4arch9wavefront6targetE0EEEvSZ_, .Lfunc_end1811-_ZN7rocprim17ROCPRIM_400000_NS6detail17trampoline_kernelINS0_13select_configILj256ELj13ELNS0_17block_load_methodE3ELS4_3ELS4_3ELNS0_20block_scan_algorithmE0ELj4294967295EEENS1_25partition_config_selectorILNS1_17partition_subalgoE3EjNS0_10empty_typeEbEEZZNS1_14partition_implILS8_3ELb0ES6_jNS0_17counting_iteratorIjlEEPS9_SE_NS0_5tupleIJPjSE_EEENSF_IJSE_SE_EEES9_SG_JZNS1_25segmented_radix_sort_implINS0_14default_configELb0EPK6__halfPSL_PKlPlN2at6native12_GLOBAL__N_18offset_tEEE10hipError_tPvRmT1_PNSt15iterator_traitsISZ_E10value_typeET2_T3_PNS10_IS15_E10value_typeET4_jRbjT5_S1B_jjP12ihipStream_tbEUljE_EEESW_SX_SY_S15_S19_S1B_T6_T7_T9_mT8_S1D_bDpT10_ENKUlT_T0_E_clISt17integral_constantIbLb0EES1Q_EEDaS1L_S1M_EUlS1L_E_NS1_11comp_targetILNS1_3genE5ELNS1_11target_archE942ELNS1_3gpuE9ELNS1_3repE0EEENS1_30default_config_static_selectorELNS0_4arch9wavefront6targetE0EEEvSZ_
                                        ; -- End function
	.section	.AMDGPU.csdata,"",@progbits
; Kernel info:
; codeLenInByte = 0
; NumSgprs: 0
; NumVgprs: 0
; ScratchSize: 0
; MemoryBound: 0
; FloatMode: 240
; IeeeMode: 1
; LDSByteSize: 0 bytes/workgroup (compile time only)
; SGPRBlocks: 0
; VGPRBlocks: 0
; NumSGPRsForWavesPerEU: 1
; NumVGPRsForWavesPerEU: 1
; Occupancy: 16
; WaveLimiterHint : 0
; COMPUTE_PGM_RSRC2:SCRATCH_EN: 0
; COMPUTE_PGM_RSRC2:USER_SGPR: 15
; COMPUTE_PGM_RSRC2:TRAP_HANDLER: 0
; COMPUTE_PGM_RSRC2:TGID_X_EN: 1
; COMPUTE_PGM_RSRC2:TGID_Y_EN: 0
; COMPUTE_PGM_RSRC2:TGID_Z_EN: 0
; COMPUTE_PGM_RSRC2:TIDIG_COMP_CNT: 0
	.section	.text._ZN7rocprim17ROCPRIM_400000_NS6detail17trampoline_kernelINS0_13select_configILj256ELj13ELNS0_17block_load_methodE3ELS4_3ELS4_3ELNS0_20block_scan_algorithmE0ELj4294967295EEENS1_25partition_config_selectorILNS1_17partition_subalgoE3EjNS0_10empty_typeEbEEZZNS1_14partition_implILS8_3ELb0ES6_jNS0_17counting_iteratorIjlEEPS9_SE_NS0_5tupleIJPjSE_EEENSF_IJSE_SE_EEES9_SG_JZNS1_25segmented_radix_sort_implINS0_14default_configELb0EPK6__halfPSL_PKlPlN2at6native12_GLOBAL__N_18offset_tEEE10hipError_tPvRmT1_PNSt15iterator_traitsISZ_E10value_typeET2_T3_PNS10_IS15_E10value_typeET4_jRbjT5_S1B_jjP12ihipStream_tbEUljE_EEESW_SX_SY_S15_S19_S1B_T6_T7_T9_mT8_S1D_bDpT10_ENKUlT_T0_E_clISt17integral_constantIbLb0EES1Q_EEDaS1L_S1M_EUlS1L_E_NS1_11comp_targetILNS1_3genE4ELNS1_11target_archE910ELNS1_3gpuE8ELNS1_3repE0EEENS1_30default_config_static_selectorELNS0_4arch9wavefront6targetE0EEEvSZ_,"axG",@progbits,_ZN7rocprim17ROCPRIM_400000_NS6detail17trampoline_kernelINS0_13select_configILj256ELj13ELNS0_17block_load_methodE3ELS4_3ELS4_3ELNS0_20block_scan_algorithmE0ELj4294967295EEENS1_25partition_config_selectorILNS1_17partition_subalgoE3EjNS0_10empty_typeEbEEZZNS1_14partition_implILS8_3ELb0ES6_jNS0_17counting_iteratorIjlEEPS9_SE_NS0_5tupleIJPjSE_EEENSF_IJSE_SE_EEES9_SG_JZNS1_25segmented_radix_sort_implINS0_14default_configELb0EPK6__halfPSL_PKlPlN2at6native12_GLOBAL__N_18offset_tEEE10hipError_tPvRmT1_PNSt15iterator_traitsISZ_E10value_typeET2_T3_PNS10_IS15_E10value_typeET4_jRbjT5_S1B_jjP12ihipStream_tbEUljE_EEESW_SX_SY_S15_S19_S1B_T6_T7_T9_mT8_S1D_bDpT10_ENKUlT_T0_E_clISt17integral_constantIbLb0EES1Q_EEDaS1L_S1M_EUlS1L_E_NS1_11comp_targetILNS1_3genE4ELNS1_11target_archE910ELNS1_3gpuE8ELNS1_3repE0EEENS1_30default_config_static_selectorELNS0_4arch9wavefront6targetE0EEEvSZ_,comdat
	.globl	_ZN7rocprim17ROCPRIM_400000_NS6detail17trampoline_kernelINS0_13select_configILj256ELj13ELNS0_17block_load_methodE3ELS4_3ELS4_3ELNS0_20block_scan_algorithmE0ELj4294967295EEENS1_25partition_config_selectorILNS1_17partition_subalgoE3EjNS0_10empty_typeEbEEZZNS1_14partition_implILS8_3ELb0ES6_jNS0_17counting_iteratorIjlEEPS9_SE_NS0_5tupleIJPjSE_EEENSF_IJSE_SE_EEES9_SG_JZNS1_25segmented_radix_sort_implINS0_14default_configELb0EPK6__halfPSL_PKlPlN2at6native12_GLOBAL__N_18offset_tEEE10hipError_tPvRmT1_PNSt15iterator_traitsISZ_E10value_typeET2_T3_PNS10_IS15_E10value_typeET4_jRbjT5_S1B_jjP12ihipStream_tbEUljE_EEESW_SX_SY_S15_S19_S1B_T6_T7_T9_mT8_S1D_bDpT10_ENKUlT_T0_E_clISt17integral_constantIbLb0EES1Q_EEDaS1L_S1M_EUlS1L_E_NS1_11comp_targetILNS1_3genE4ELNS1_11target_archE910ELNS1_3gpuE8ELNS1_3repE0EEENS1_30default_config_static_selectorELNS0_4arch9wavefront6targetE0EEEvSZ_ ; -- Begin function _ZN7rocprim17ROCPRIM_400000_NS6detail17trampoline_kernelINS0_13select_configILj256ELj13ELNS0_17block_load_methodE3ELS4_3ELS4_3ELNS0_20block_scan_algorithmE0ELj4294967295EEENS1_25partition_config_selectorILNS1_17partition_subalgoE3EjNS0_10empty_typeEbEEZZNS1_14partition_implILS8_3ELb0ES6_jNS0_17counting_iteratorIjlEEPS9_SE_NS0_5tupleIJPjSE_EEENSF_IJSE_SE_EEES9_SG_JZNS1_25segmented_radix_sort_implINS0_14default_configELb0EPK6__halfPSL_PKlPlN2at6native12_GLOBAL__N_18offset_tEEE10hipError_tPvRmT1_PNSt15iterator_traitsISZ_E10value_typeET2_T3_PNS10_IS15_E10value_typeET4_jRbjT5_S1B_jjP12ihipStream_tbEUljE_EEESW_SX_SY_S15_S19_S1B_T6_T7_T9_mT8_S1D_bDpT10_ENKUlT_T0_E_clISt17integral_constantIbLb0EES1Q_EEDaS1L_S1M_EUlS1L_E_NS1_11comp_targetILNS1_3genE4ELNS1_11target_archE910ELNS1_3gpuE8ELNS1_3repE0EEENS1_30default_config_static_selectorELNS0_4arch9wavefront6targetE0EEEvSZ_
	.p2align	8
	.type	_ZN7rocprim17ROCPRIM_400000_NS6detail17trampoline_kernelINS0_13select_configILj256ELj13ELNS0_17block_load_methodE3ELS4_3ELS4_3ELNS0_20block_scan_algorithmE0ELj4294967295EEENS1_25partition_config_selectorILNS1_17partition_subalgoE3EjNS0_10empty_typeEbEEZZNS1_14partition_implILS8_3ELb0ES6_jNS0_17counting_iteratorIjlEEPS9_SE_NS0_5tupleIJPjSE_EEENSF_IJSE_SE_EEES9_SG_JZNS1_25segmented_radix_sort_implINS0_14default_configELb0EPK6__halfPSL_PKlPlN2at6native12_GLOBAL__N_18offset_tEEE10hipError_tPvRmT1_PNSt15iterator_traitsISZ_E10value_typeET2_T3_PNS10_IS15_E10value_typeET4_jRbjT5_S1B_jjP12ihipStream_tbEUljE_EEESW_SX_SY_S15_S19_S1B_T6_T7_T9_mT8_S1D_bDpT10_ENKUlT_T0_E_clISt17integral_constantIbLb0EES1Q_EEDaS1L_S1M_EUlS1L_E_NS1_11comp_targetILNS1_3genE4ELNS1_11target_archE910ELNS1_3gpuE8ELNS1_3repE0EEENS1_30default_config_static_selectorELNS0_4arch9wavefront6targetE0EEEvSZ_,@function
_ZN7rocprim17ROCPRIM_400000_NS6detail17trampoline_kernelINS0_13select_configILj256ELj13ELNS0_17block_load_methodE3ELS4_3ELS4_3ELNS0_20block_scan_algorithmE0ELj4294967295EEENS1_25partition_config_selectorILNS1_17partition_subalgoE3EjNS0_10empty_typeEbEEZZNS1_14partition_implILS8_3ELb0ES6_jNS0_17counting_iteratorIjlEEPS9_SE_NS0_5tupleIJPjSE_EEENSF_IJSE_SE_EEES9_SG_JZNS1_25segmented_radix_sort_implINS0_14default_configELb0EPK6__halfPSL_PKlPlN2at6native12_GLOBAL__N_18offset_tEEE10hipError_tPvRmT1_PNSt15iterator_traitsISZ_E10value_typeET2_T3_PNS10_IS15_E10value_typeET4_jRbjT5_S1B_jjP12ihipStream_tbEUljE_EEESW_SX_SY_S15_S19_S1B_T6_T7_T9_mT8_S1D_bDpT10_ENKUlT_T0_E_clISt17integral_constantIbLb0EES1Q_EEDaS1L_S1M_EUlS1L_E_NS1_11comp_targetILNS1_3genE4ELNS1_11target_archE910ELNS1_3gpuE8ELNS1_3repE0EEENS1_30default_config_static_selectorELNS0_4arch9wavefront6targetE0EEEvSZ_: ; @_ZN7rocprim17ROCPRIM_400000_NS6detail17trampoline_kernelINS0_13select_configILj256ELj13ELNS0_17block_load_methodE3ELS4_3ELS4_3ELNS0_20block_scan_algorithmE0ELj4294967295EEENS1_25partition_config_selectorILNS1_17partition_subalgoE3EjNS0_10empty_typeEbEEZZNS1_14partition_implILS8_3ELb0ES6_jNS0_17counting_iteratorIjlEEPS9_SE_NS0_5tupleIJPjSE_EEENSF_IJSE_SE_EEES9_SG_JZNS1_25segmented_radix_sort_implINS0_14default_configELb0EPK6__halfPSL_PKlPlN2at6native12_GLOBAL__N_18offset_tEEE10hipError_tPvRmT1_PNSt15iterator_traitsISZ_E10value_typeET2_T3_PNS10_IS15_E10value_typeET4_jRbjT5_S1B_jjP12ihipStream_tbEUljE_EEESW_SX_SY_S15_S19_S1B_T6_T7_T9_mT8_S1D_bDpT10_ENKUlT_T0_E_clISt17integral_constantIbLb0EES1Q_EEDaS1L_S1M_EUlS1L_E_NS1_11comp_targetILNS1_3genE4ELNS1_11target_archE910ELNS1_3gpuE8ELNS1_3repE0EEENS1_30default_config_static_selectorELNS0_4arch9wavefront6targetE0EEEvSZ_
; %bb.0:
	.section	.rodata,"a",@progbits
	.p2align	6, 0x0
	.amdhsa_kernel _ZN7rocprim17ROCPRIM_400000_NS6detail17trampoline_kernelINS0_13select_configILj256ELj13ELNS0_17block_load_methodE3ELS4_3ELS4_3ELNS0_20block_scan_algorithmE0ELj4294967295EEENS1_25partition_config_selectorILNS1_17partition_subalgoE3EjNS0_10empty_typeEbEEZZNS1_14partition_implILS8_3ELb0ES6_jNS0_17counting_iteratorIjlEEPS9_SE_NS0_5tupleIJPjSE_EEENSF_IJSE_SE_EEES9_SG_JZNS1_25segmented_radix_sort_implINS0_14default_configELb0EPK6__halfPSL_PKlPlN2at6native12_GLOBAL__N_18offset_tEEE10hipError_tPvRmT1_PNSt15iterator_traitsISZ_E10value_typeET2_T3_PNS10_IS15_E10value_typeET4_jRbjT5_S1B_jjP12ihipStream_tbEUljE_EEESW_SX_SY_S15_S19_S1B_T6_T7_T9_mT8_S1D_bDpT10_ENKUlT_T0_E_clISt17integral_constantIbLb0EES1Q_EEDaS1L_S1M_EUlS1L_E_NS1_11comp_targetILNS1_3genE4ELNS1_11target_archE910ELNS1_3gpuE8ELNS1_3repE0EEENS1_30default_config_static_selectorELNS0_4arch9wavefront6targetE0EEEvSZ_
		.amdhsa_group_segment_fixed_size 0
		.amdhsa_private_segment_fixed_size 0
		.amdhsa_kernarg_size 144
		.amdhsa_user_sgpr_count 15
		.amdhsa_user_sgpr_dispatch_ptr 0
		.amdhsa_user_sgpr_queue_ptr 0
		.amdhsa_user_sgpr_kernarg_segment_ptr 1
		.amdhsa_user_sgpr_dispatch_id 0
		.amdhsa_user_sgpr_private_segment_size 0
		.amdhsa_wavefront_size32 1
		.amdhsa_uses_dynamic_stack 0
		.amdhsa_enable_private_segment 0
		.amdhsa_system_sgpr_workgroup_id_x 1
		.amdhsa_system_sgpr_workgroup_id_y 0
		.amdhsa_system_sgpr_workgroup_id_z 0
		.amdhsa_system_sgpr_workgroup_info 0
		.amdhsa_system_vgpr_workitem_id 0
		.amdhsa_next_free_vgpr 1
		.amdhsa_next_free_sgpr 1
		.amdhsa_reserve_vcc 0
		.amdhsa_float_round_mode_32 0
		.amdhsa_float_round_mode_16_64 0
		.amdhsa_float_denorm_mode_32 3
		.amdhsa_float_denorm_mode_16_64 3
		.amdhsa_dx10_clamp 1
		.amdhsa_ieee_mode 1
		.amdhsa_fp16_overflow 0
		.amdhsa_workgroup_processor_mode 1
		.amdhsa_memory_ordered 1
		.amdhsa_forward_progress 0
		.amdhsa_shared_vgpr_count 0
		.amdhsa_exception_fp_ieee_invalid_op 0
		.amdhsa_exception_fp_denorm_src 0
		.amdhsa_exception_fp_ieee_div_zero 0
		.amdhsa_exception_fp_ieee_overflow 0
		.amdhsa_exception_fp_ieee_underflow 0
		.amdhsa_exception_fp_ieee_inexact 0
		.amdhsa_exception_int_div_zero 0
	.end_amdhsa_kernel
	.section	.text._ZN7rocprim17ROCPRIM_400000_NS6detail17trampoline_kernelINS0_13select_configILj256ELj13ELNS0_17block_load_methodE3ELS4_3ELS4_3ELNS0_20block_scan_algorithmE0ELj4294967295EEENS1_25partition_config_selectorILNS1_17partition_subalgoE3EjNS0_10empty_typeEbEEZZNS1_14partition_implILS8_3ELb0ES6_jNS0_17counting_iteratorIjlEEPS9_SE_NS0_5tupleIJPjSE_EEENSF_IJSE_SE_EEES9_SG_JZNS1_25segmented_radix_sort_implINS0_14default_configELb0EPK6__halfPSL_PKlPlN2at6native12_GLOBAL__N_18offset_tEEE10hipError_tPvRmT1_PNSt15iterator_traitsISZ_E10value_typeET2_T3_PNS10_IS15_E10value_typeET4_jRbjT5_S1B_jjP12ihipStream_tbEUljE_EEESW_SX_SY_S15_S19_S1B_T6_T7_T9_mT8_S1D_bDpT10_ENKUlT_T0_E_clISt17integral_constantIbLb0EES1Q_EEDaS1L_S1M_EUlS1L_E_NS1_11comp_targetILNS1_3genE4ELNS1_11target_archE910ELNS1_3gpuE8ELNS1_3repE0EEENS1_30default_config_static_selectorELNS0_4arch9wavefront6targetE0EEEvSZ_,"axG",@progbits,_ZN7rocprim17ROCPRIM_400000_NS6detail17trampoline_kernelINS0_13select_configILj256ELj13ELNS0_17block_load_methodE3ELS4_3ELS4_3ELNS0_20block_scan_algorithmE0ELj4294967295EEENS1_25partition_config_selectorILNS1_17partition_subalgoE3EjNS0_10empty_typeEbEEZZNS1_14partition_implILS8_3ELb0ES6_jNS0_17counting_iteratorIjlEEPS9_SE_NS0_5tupleIJPjSE_EEENSF_IJSE_SE_EEES9_SG_JZNS1_25segmented_radix_sort_implINS0_14default_configELb0EPK6__halfPSL_PKlPlN2at6native12_GLOBAL__N_18offset_tEEE10hipError_tPvRmT1_PNSt15iterator_traitsISZ_E10value_typeET2_T3_PNS10_IS15_E10value_typeET4_jRbjT5_S1B_jjP12ihipStream_tbEUljE_EEESW_SX_SY_S15_S19_S1B_T6_T7_T9_mT8_S1D_bDpT10_ENKUlT_T0_E_clISt17integral_constantIbLb0EES1Q_EEDaS1L_S1M_EUlS1L_E_NS1_11comp_targetILNS1_3genE4ELNS1_11target_archE910ELNS1_3gpuE8ELNS1_3repE0EEENS1_30default_config_static_selectorELNS0_4arch9wavefront6targetE0EEEvSZ_,comdat
.Lfunc_end1812:
	.size	_ZN7rocprim17ROCPRIM_400000_NS6detail17trampoline_kernelINS0_13select_configILj256ELj13ELNS0_17block_load_methodE3ELS4_3ELS4_3ELNS0_20block_scan_algorithmE0ELj4294967295EEENS1_25partition_config_selectorILNS1_17partition_subalgoE3EjNS0_10empty_typeEbEEZZNS1_14partition_implILS8_3ELb0ES6_jNS0_17counting_iteratorIjlEEPS9_SE_NS0_5tupleIJPjSE_EEENSF_IJSE_SE_EEES9_SG_JZNS1_25segmented_radix_sort_implINS0_14default_configELb0EPK6__halfPSL_PKlPlN2at6native12_GLOBAL__N_18offset_tEEE10hipError_tPvRmT1_PNSt15iterator_traitsISZ_E10value_typeET2_T3_PNS10_IS15_E10value_typeET4_jRbjT5_S1B_jjP12ihipStream_tbEUljE_EEESW_SX_SY_S15_S19_S1B_T6_T7_T9_mT8_S1D_bDpT10_ENKUlT_T0_E_clISt17integral_constantIbLb0EES1Q_EEDaS1L_S1M_EUlS1L_E_NS1_11comp_targetILNS1_3genE4ELNS1_11target_archE910ELNS1_3gpuE8ELNS1_3repE0EEENS1_30default_config_static_selectorELNS0_4arch9wavefront6targetE0EEEvSZ_, .Lfunc_end1812-_ZN7rocprim17ROCPRIM_400000_NS6detail17trampoline_kernelINS0_13select_configILj256ELj13ELNS0_17block_load_methodE3ELS4_3ELS4_3ELNS0_20block_scan_algorithmE0ELj4294967295EEENS1_25partition_config_selectorILNS1_17partition_subalgoE3EjNS0_10empty_typeEbEEZZNS1_14partition_implILS8_3ELb0ES6_jNS0_17counting_iteratorIjlEEPS9_SE_NS0_5tupleIJPjSE_EEENSF_IJSE_SE_EEES9_SG_JZNS1_25segmented_radix_sort_implINS0_14default_configELb0EPK6__halfPSL_PKlPlN2at6native12_GLOBAL__N_18offset_tEEE10hipError_tPvRmT1_PNSt15iterator_traitsISZ_E10value_typeET2_T3_PNS10_IS15_E10value_typeET4_jRbjT5_S1B_jjP12ihipStream_tbEUljE_EEESW_SX_SY_S15_S19_S1B_T6_T7_T9_mT8_S1D_bDpT10_ENKUlT_T0_E_clISt17integral_constantIbLb0EES1Q_EEDaS1L_S1M_EUlS1L_E_NS1_11comp_targetILNS1_3genE4ELNS1_11target_archE910ELNS1_3gpuE8ELNS1_3repE0EEENS1_30default_config_static_selectorELNS0_4arch9wavefront6targetE0EEEvSZ_
                                        ; -- End function
	.section	.AMDGPU.csdata,"",@progbits
; Kernel info:
; codeLenInByte = 0
; NumSgprs: 0
; NumVgprs: 0
; ScratchSize: 0
; MemoryBound: 0
; FloatMode: 240
; IeeeMode: 1
; LDSByteSize: 0 bytes/workgroup (compile time only)
; SGPRBlocks: 0
; VGPRBlocks: 0
; NumSGPRsForWavesPerEU: 1
; NumVGPRsForWavesPerEU: 1
; Occupancy: 16
; WaveLimiterHint : 0
; COMPUTE_PGM_RSRC2:SCRATCH_EN: 0
; COMPUTE_PGM_RSRC2:USER_SGPR: 15
; COMPUTE_PGM_RSRC2:TRAP_HANDLER: 0
; COMPUTE_PGM_RSRC2:TGID_X_EN: 1
; COMPUTE_PGM_RSRC2:TGID_Y_EN: 0
; COMPUTE_PGM_RSRC2:TGID_Z_EN: 0
; COMPUTE_PGM_RSRC2:TIDIG_COMP_CNT: 0
	.section	.text._ZN7rocprim17ROCPRIM_400000_NS6detail17trampoline_kernelINS0_13select_configILj256ELj13ELNS0_17block_load_methodE3ELS4_3ELS4_3ELNS0_20block_scan_algorithmE0ELj4294967295EEENS1_25partition_config_selectorILNS1_17partition_subalgoE3EjNS0_10empty_typeEbEEZZNS1_14partition_implILS8_3ELb0ES6_jNS0_17counting_iteratorIjlEEPS9_SE_NS0_5tupleIJPjSE_EEENSF_IJSE_SE_EEES9_SG_JZNS1_25segmented_radix_sort_implINS0_14default_configELb0EPK6__halfPSL_PKlPlN2at6native12_GLOBAL__N_18offset_tEEE10hipError_tPvRmT1_PNSt15iterator_traitsISZ_E10value_typeET2_T3_PNS10_IS15_E10value_typeET4_jRbjT5_S1B_jjP12ihipStream_tbEUljE_EEESW_SX_SY_S15_S19_S1B_T6_T7_T9_mT8_S1D_bDpT10_ENKUlT_T0_E_clISt17integral_constantIbLb0EES1Q_EEDaS1L_S1M_EUlS1L_E_NS1_11comp_targetILNS1_3genE3ELNS1_11target_archE908ELNS1_3gpuE7ELNS1_3repE0EEENS1_30default_config_static_selectorELNS0_4arch9wavefront6targetE0EEEvSZ_,"axG",@progbits,_ZN7rocprim17ROCPRIM_400000_NS6detail17trampoline_kernelINS0_13select_configILj256ELj13ELNS0_17block_load_methodE3ELS4_3ELS4_3ELNS0_20block_scan_algorithmE0ELj4294967295EEENS1_25partition_config_selectorILNS1_17partition_subalgoE3EjNS0_10empty_typeEbEEZZNS1_14partition_implILS8_3ELb0ES6_jNS0_17counting_iteratorIjlEEPS9_SE_NS0_5tupleIJPjSE_EEENSF_IJSE_SE_EEES9_SG_JZNS1_25segmented_radix_sort_implINS0_14default_configELb0EPK6__halfPSL_PKlPlN2at6native12_GLOBAL__N_18offset_tEEE10hipError_tPvRmT1_PNSt15iterator_traitsISZ_E10value_typeET2_T3_PNS10_IS15_E10value_typeET4_jRbjT5_S1B_jjP12ihipStream_tbEUljE_EEESW_SX_SY_S15_S19_S1B_T6_T7_T9_mT8_S1D_bDpT10_ENKUlT_T0_E_clISt17integral_constantIbLb0EES1Q_EEDaS1L_S1M_EUlS1L_E_NS1_11comp_targetILNS1_3genE3ELNS1_11target_archE908ELNS1_3gpuE7ELNS1_3repE0EEENS1_30default_config_static_selectorELNS0_4arch9wavefront6targetE0EEEvSZ_,comdat
	.globl	_ZN7rocprim17ROCPRIM_400000_NS6detail17trampoline_kernelINS0_13select_configILj256ELj13ELNS0_17block_load_methodE3ELS4_3ELS4_3ELNS0_20block_scan_algorithmE0ELj4294967295EEENS1_25partition_config_selectorILNS1_17partition_subalgoE3EjNS0_10empty_typeEbEEZZNS1_14partition_implILS8_3ELb0ES6_jNS0_17counting_iteratorIjlEEPS9_SE_NS0_5tupleIJPjSE_EEENSF_IJSE_SE_EEES9_SG_JZNS1_25segmented_radix_sort_implINS0_14default_configELb0EPK6__halfPSL_PKlPlN2at6native12_GLOBAL__N_18offset_tEEE10hipError_tPvRmT1_PNSt15iterator_traitsISZ_E10value_typeET2_T3_PNS10_IS15_E10value_typeET4_jRbjT5_S1B_jjP12ihipStream_tbEUljE_EEESW_SX_SY_S15_S19_S1B_T6_T7_T9_mT8_S1D_bDpT10_ENKUlT_T0_E_clISt17integral_constantIbLb0EES1Q_EEDaS1L_S1M_EUlS1L_E_NS1_11comp_targetILNS1_3genE3ELNS1_11target_archE908ELNS1_3gpuE7ELNS1_3repE0EEENS1_30default_config_static_selectorELNS0_4arch9wavefront6targetE0EEEvSZ_ ; -- Begin function _ZN7rocprim17ROCPRIM_400000_NS6detail17trampoline_kernelINS0_13select_configILj256ELj13ELNS0_17block_load_methodE3ELS4_3ELS4_3ELNS0_20block_scan_algorithmE0ELj4294967295EEENS1_25partition_config_selectorILNS1_17partition_subalgoE3EjNS0_10empty_typeEbEEZZNS1_14partition_implILS8_3ELb0ES6_jNS0_17counting_iteratorIjlEEPS9_SE_NS0_5tupleIJPjSE_EEENSF_IJSE_SE_EEES9_SG_JZNS1_25segmented_radix_sort_implINS0_14default_configELb0EPK6__halfPSL_PKlPlN2at6native12_GLOBAL__N_18offset_tEEE10hipError_tPvRmT1_PNSt15iterator_traitsISZ_E10value_typeET2_T3_PNS10_IS15_E10value_typeET4_jRbjT5_S1B_jjP12ihipStream_tbEUljE_EEESW_SX_SY_S15_S19_S1B_T6_T7_T9_mT8_S1D_bDpT10_ENKUlT_T0_E_clISt17integral_constantIbLb0EES1Q_EEDaS1L_S1M_EUlS1L_E_NS1_11comp_targetILNS1_3genE3ELNS1_11target_archE908ELNS1_3gpuE7ELNS1_3repE0EEENS1_30default_config_static_selectorELNS0_4arch9wavefront6targetE0EEEvSZ_
	.p2align	8
	.type	_ZN7rocprim17ROCPRIM_400000_NS6detail17trampoline_kernelINS0_13select_configILj256ELj13ELNS0_17block_load_methodE3ELS4_3ELS4_3ELNS0_20block_scan_algorithmE0ELj4294967295EEENS1_25partition_config_selectorILNS1_17partition_subalgoE3EjNS0_10empty_typeEbEEZZNS1_14partition_implILS8_3ELb0ES6_jNS0_17counting_iteratorIjlEEPS9_SE_NS0_5tupleIJPjSE_EEENSF_IJSE_SE_EEES9_SG_JZNS1_25segmented_radix_sort_implINS0_14default_configELb0EPK6__halfPSL_PKlPlN2at6native12_GLOBAL__N_18offset_tEEE10hipError_tPvRmT1_PNSt15iterator_traitsISZ_E10value_typeET2_T3_PNS10_IS15_E10value_typeET4_jRbjT5_S1B_jjP12ihipStream_tbEUljE_EEESW_SX_SY_S15_S19_S1B_T6_T7_T9_mT8_S1D_bDpT10_ENKUlT_T0_E_clISt17integral_constantIbLb0EES1Q_EEDaS1L_S1M_EUlS1L_E_NS1_11comp_targetILNS1_3genE3ELNS1_11target_archE908ELNS1_3gpuE7ELNS1_3repE0EEENS1_30default_config_static_selectorELNS0_4arch9wavefront6targetE0EEEvSZ_,@function
_ZN7rocprim17ROCPRIM_400000_NS6detail17trampoline_kernelINS0_13select_configILj256ELj13ELNS0_17block_load_methodE3ELS4_3ELS4_3ELNS0_20block_scan_algorithmE0ELj4294967295EEENS1_25partition_config_selectorILNS1_17partition_subalgoE3EjNS0_10empty_typeEbEEZZNS1_14partition_implILS8_3ELb0ES6_jNS0_17counting_iteratorIjlEEPS9_SE_NS0_5tupleIJPjSE_EEENSF_IJSE_SE_EEES9_SG_JZNS1_25segmented_radix_sort_implINS0_14default_configELb0EPK6__halfPSL_PKlPlN2at6native12_GLOBAL__N_18offset_tEEE10hipError_tPvRmT1_PNSt15iterator_traitsISZ_E10value_typeET2_T3_PNS10_IS15_E10value_typeET4_jRbjT5_S1B_jjP12ihipStream_tbEUljE_EEESW_SX_SY_S15_S19_S1B_T6_T7_T9_mT8_S1D_bDpT10_ENKUlT_T0_E_clISt17integral_constantIbLb0EES1Q_EEDaS1L_S1M_EUlS1L_E_NS1_11comp_targetILNS1_3genE3ELNS1_11target_archE908ELNS1_3gpuE7ELNS1_3repE0EEENS1_30default_config_static_selectorELNS0_4arch9wavefront6targetE0EEEvSZ_: ; @_ZN7rocprim17ROCPRIM_400000_NS6detail17trampoline_kernelINS0_13select_configILj256ELj13ELNS0_17block_load_methodE3ELS4_3ELS4_3ELNS0_20block_scan_algorithmE0ELj4294967295EEENS1_25partition_config_selectorILNS1_17partition_subalgoE3EjNS0_10empty_typeEbEEZZNS1_14partition_implILS8_3ELb0ES6_jNS0_17counting_iteratorIjlEEPS9_SE_NS0_5tupleIJPjSE_EEENSF_IJSE_SE_EEES9_SG_JZNS1_25segmented_radix_sort_implINS0_14default_configELb0EPK6__halfPSL_PKlPlN2at6native12_GLOBAL__N_18offset_tEEE10hipError_tPvRmT1_PNSt15iterator_traitsISZ_E10value_typeET2_T3_PNS10_IS15_E10value_typeET4_jRbjT5_S1B_jjP12ihipStream_tbEUljE_EEESW_SX_SY_S15_S19_S1B_T6_T7_T9_mT8_S1D_bDpT10_ENKUlT_T0_E_clISt17integral_constantIbLb0EES1Q_EEDaS1L_S1M_EUlS1L_E_NS1_11comp_targetILNS1_3genE3ELNS1_11target_archE908ELNS1_3gpuE7ELNS1_3repE0EEENS1_30default_config_static_selectorELNS0_4arch9wavefront6targetE0EEEvSZ_
; %bb.0:
	.section	.rodata,"a",@progbits
	.p2align	6, 0x0
	.amdhsa_kernel _ZN7rocprim17ROCPRIM_400000_NS6detail17trampoline_kernelINS0_13select_configILj256ELj13ELNS0_17block_load_methodE3ELS4_3ELS4_3ELNS0_20block_scan_algorithmE0ELj4294967295EEENS1_25partition_config_selectorILNS1_17partition_subalgoE3EjNS0_10empty_typeEbEEZZNS1_14partition_implILS8_3ELb0ES6_jNS0_17counting_iteratorIjlEEPS9_SE_NS0_5tupleIJPjSE_EEENSF_IJSE_SE_EEES9_SG_JZNS1_25segmented_radix_sort_implINS0_14default_configELb0EPK6__halfPSL_PKlPlN2at6native12_GLOBAL__N_18offset_tEEE10hipError_tPvRmT1_PNSt15iterator_traitsISZ_E10value_typeET2_T3_PNS10_IS15_E10value_typeET4_jRbjT5_S1B_jjP12ihipStream_tbEUljE_EEESW_SX_SY_S15_S19_S1B_T6_T7_T9_mT8_S1D_bDpT10_ENKUlT_T0_E_clISt17integral_constantIbLb0EES1Q_EEDaS1L_S1M_EUlS1L_E_NS1_11comp_targetILNS1_3genE3ELNS1_11target_archE908ELNS1_3gpuE7ELNS1_3repE0EEENS1_30default_config_static_selectorELNS0_4arch9wavefront6targetE0EEEvSZ_
		.amdhsa_group_segment_fixed_size 0
		.amdhsa_private_segment_fixed_size 0
		.amdhsa_kernarg_size 144
		.amdhsa_user_sgpr_count 15
		.amdhsa_user_sgpr_dispatch_ptr 0
		.amdhsa_user_sgpr_queue_ptr 0
		.amdhsa_user_sgpr_kernarg_segment_ptr 1
		.amdhsa_user_sgpr_dispatch_id 0
		.amdhsa_user_sgpr_private_segment_size 0
		.amdhsa_wavefront_size32 1
		.amdhsa_uses_dynamic_stack 0
		.amdhsa_enable_private_segment 0
		.amdhsa_system_sgpr_workgroup_id_x 1
		.amdhsa_system_sgpr_workgroup_id_y 0
		.amdhsa_system_sgpr_workgroup_id_z 0
		.amdhsa_system_sgpr_workgroup_info 0
		.amdhsa_system_vgpr_workitem_id 0
		.amdhsa_next_free_vgpr 1
		.amdhsa_next_free_sgpr 1
		.amdhsa_reserve_vcc 0
		.amdhsa_float_round_mode_32 0
		.amdhsa_float_round_mode_16_64 0
		.amdhsa_float_denorm_mode_32 3
		.amdhsa_float_denorm_mode_16_64 3
		.amdhsa_dx10_clamp 1
		.amdhsa_ieee_mode 1
		.amdhsa_fp16_overflow 0
		.amdhsa_workgroup_processor_mode 1
		.amdhsa_memory_ordered 1
		.amdhsa_forward_progress 0
		.amdhsa_shared_vgpr_count 0
		.amdhsa_exception_fp_ieee_invalid_op 0
		.amdhsa_exception_fp_denorm_src 0
		.amdhsa_exception_fp_ieee_div_zero 0
		.amdhsa_exception_fp_ieee_overflow 0
		.amdhsa_exception_fp_ieee_underflow 0
		.amdhsa_exception_fp_ieee_inexact 0
		.amdhsa_exception_int_div_zero 0
	.end_amdhsa_kernel
	.section	.text._ZN7rocprim17ROCPRIM_400000_NS6detail17trampoline_kernelINS0_13select_configILj256ELj13ELNS0_17block_load_methodE3ELS4_3ELS4_3ELNS0_20block_scan_algorithmE0ELj4294967295EEENS1_25partition_config_selectorILNS1_17partition_subalgoE3EjNS0_10empty_typeEbEEZZNS1_14partition_implILS8_3ELb0ES6_jNS0_17counting_iteratorIjlEEPS9_SE_NS0_5tupleIJPjSE_EEENSF_IJSE_SE_EEES9_SG_JZNS1_25segmented_radix_sort_implINS0_14default_configELb0EPK6__halfPSL_PKlPlN2at6native12_GLOBAL__N_18offset_tEEE10hipError_tPvRmT1_PNSt15iterator_traitsISZ_E10value_typeET2_T3_PNS10_IS15_E10value_typeET4_jRbjT5_S1B_jjP12ihipStream_tbEUljE_EEESW_SX_SY_S15_S19_S1B_T6_T7_T9_mT8_S1D_bDpT10_ENKUlT_T0_E_clISt17integral_constantIbLb0EES1Q_EEDaS1L_S1M_EUlS1L_E_NS1_11comp_targetILNS1_3genE3ELNS1_11target_archE908ELNS1_3gpuE7ELNS1_3repE0EEENS1_30default_config_static_selectorELNS0_4arch9wavefront6targetE0EEEvSZ_,"axG",@progbits,_ZN7rocprim17ROCPRIM_400000_NS6detail17trampoline_kernelINS0_13select_configILj256ELj13ELNS0_17block_load_methodE3ELS4_3ELS4_3ELNS0_20block_scan_algorithmE0ELj4294967295EEENS1_25partition_config_selectorILNS1_17partition_subalgoE3EjNS0_10empty_typeEbEEZZNS1_14partition_implILS8_3ELb0ES6_jNS0_17counting_iteratorIjlEEPS9_SE_NS0_5tupleIJPjSE_EEENSF_IJSE_SE_EEES9_SG_JZNS1_25segmented_radix_sort_implINS0_14default_configELb0EPK6__halfPSL_PKlPlN2at6native12_GLOBAL__N_18offset_tEEE10hipError_tPvRmT1_PNSt15iterator_traitsISZ_E10value_typeET2_T3_PNS10_IS15_E10value_typeET4_jRbjT5_S1B_jjP12ihipStream_tbEUljE_EEESW_SX_SY_S15_S19_S1B_T6_T7_T9_mT8_S1D_bDpT10_ENKUlT_T0_E_clISt17integral_constantIbLb0EES1Q_EEDaS1L_S1M_EUlS1L_E_NS1_11comp_targetILNS1_3genE3ELNS1_11target_archE908ELNS1_3gpuE7ELNS1_3repE0EEENS1_30default_config_static_selectorELNS0_4arch9wavefront6targetE0EEEvSZ_,comdat
.Lfunc_end1813:
	.size	_ZN7rocprim17ROCPRIM_400000_NS6detail17trampoline_kernelINS0_13select_configILj256ELj13ELNS0_17block_load_methodE3ELS4_3ELS4_3ELNS0_20block_scan_algorithmE0ELj4294967295EEENS1_25partition_config_selectorILNS1_17partition_subalgoE3EjNS0_10empty_typeEbEEZZNS1_14partition_implILS8_3ELb0ES6_jNS0_17counting_iteratorIjlEEPS9_SE_NS0_5tupleIJPjSE_EEENSF_IJSE_SE_EEES9_SG_JZNS1_25segmented_radix_sort_implINS0_14default_configELb0EPK6__halfPSL_PKlPlN2at6native12_GLOBAL__N_18offset_tEEE10hipError_tPvRmT1_PNSt15iterator_traitsISZ_E10value_typeET2_T3_PNS10_IS15_E10value_typeET4_jRbjT5_S1B_jjP12ihipStream_tbEUljE_EEESW_SX_SY_S15_S19_S1B_T6_T7_T9_mT8_S1D_bDpT10_ENKUlT_T0_E_clISt17integral_constantIbLb0EES1Q_EEDaS1L_S1M_EUlS1L_E_NS1_11comp_targetILNS1_3genE3ELNS1_11target_archE908ELNS1_3gpuE7ELNS1_3repE0EEENS1_30default_config_static_selectorELNS0_4arch9wavefront6targetE0EEEvSZ_, .Lfunc_end1813-_ZN7rocprim17ROCPRIM_400000_NS6detail17trampoline_kernelINS0_13select_configILj256ELj13ELNS0_17block_load_methodE3ELS4_3ELS4_3ELNS0_20block_scan_algorithmE0ELj4294967295EEENS1_25partition_config_selectorILNS1_17partition_subalgoE3EjNS0_10empty_typeEbEEZZNS1_14partition_implILS8_3ELb0ES6_jNS0_17counting_iteratorIjlEEPS9_SE_NS0_5tupleIJPjSE_EEENSF_IJSE_SE_EEES9_SG_JZNS1_25segmented_radix_sort_implINS0_14default_configELb0EPK6__halfPSL_PKlPlN2at6native12_GLOBAL__N_18offset_tEEE10hipError_tPvRmT1_PNSt15iterator_traitsISZ_E10value_typeET2_T3_PNS10_IS15_E10value_typeET4_jRbjT5_S1B_jjP12ihipStream_tbEUljE_EEESW_SX_SY_S15_S19_S1B_T6_T7_T9_mT8_S1D_bDpT10_ENKUlT_T0_E_clISt17integral_constantIbLb0EES1Q_EEDaS1L_S1M_EUlS1L_E_NS1_11comp_targetILNS1_3genE3ELNS1_11target_archE908ELNS1_3gpuE7ELNS1_3repE0EEENS1_30default_config_static_selectorELNS0_4arch9wavefront6targetE0EEEvSZ_
                                        ; -- End function
	.section	.AMDGPU.csdata,"",@progbits
; Kernel info:
; codeLenInByte = 0
; NumSgprs: 0
; NumVgprs: 0
; ScratchSize: 0
; MemoryBound: 0
; FloatMode: 240
; IeeeMode: 1
; LDSByteSize: 0 bytes/workgroup (compile time only)
; SGPRBlocks: 0
; VGPRBlocks: 0
; NumSGPRsForWavesPerEU: 1
; NumVGPRsForWavesPerEU: 1
; Occupancy: 16
; WaveLimiterHint : 0
; COMPUTE_PGM_RSRC2:SCRATCH_EN: 0
; COMPUTE_PGM_RSRC2:USER_SGPR: 15
; COMPUTE_PGM_RSRC2:TRAP_HANDLER: 0
; COMPUTE_PGM_RSRC2:TGID_X_EN: 1
; COMPUTE_PGM_RSRC2:TGID_Y_EN: 0
; COMPUTE_PGM_RSRC2:TGID_Z_EN: 0
; COMPUTE_PGM_RSRC2:TIDIG_COMP_CNT: 0
	.section	.text._ZN7rocprim17ROCPRIM_400000_NS6detail17trampoline_kernelINS0_13select_configILj256ELj13ELNS0_17block_load_methodE3ELS4_3ELS4_3ELNS0_20block_scan_algorithmE0ELj4294967295EEENS1_25partition_config_selectorILNS1_17partition_subalgoE3EjNS0_10empty_typeEbEEZZNS1_14partition_implILS8_3ELb0ES6_jNS0_17counting_iteratorIjlEEPS9_SE_NS0_5tupleIJPjSE_EEENSF_IJSE_SE_EEES9_SG_JZNS1_25segmented_radix_sort_implINS0_14default_configELb0EPK6__halfPSL_PKlPlN2at6native12_GLOBAL__N_18offset_tEEE10hipError_tPvRmT1_PNSt15iterator_traitsISZ_E10value_typeET2_T3_PNS10_IS15_E10value_typeET4_jRbjT5_S1B_jjP12ihipStream_tbEUljE_EEESW_SX_SY_S15_S19_S1B_T6_T7_T9_mT8_S1D_bDpT10_ENKUlT_T0_E_clISt17integral_constantIbLb0EES1Q_EEDaS1L_S1M_EUlS1L_E_NS1_11comp_targetILNS1_3genE2ELNS1_11target_archE906ELNS1_3gpuE6ELNS1_3repE0EEENS1_30default_config_static_selectorELNS0_4arch9wavefront6targetE0EEEvSZ_,"axG",@progbits,_ZN7rocprim17ROCPRIM_400000_NS6detail17trampoline_kernelINS0_13select_configILj256ELj13ELNS0_17block_load_methodE3ELS4_3ELS4_3ELNS0_20block_scan_algorithmE0ELj4294967295EEENS1_25partition_config_selectorILNS1_17partition_subalgoE3EjNS0_10empty_typeEbEEZZNS1_14partition_implILS8_3ELb0ES6_jNS0_17counting_iteratorIjlEEPS9_SE_NS0_5tupleIJPjSE_EEENSF_IJSE_SE_EEES9_SG_JZNS1_25segmented_radix_sort_implINS0_14default_configELb0EPK6__halfPSL_PKlPlN2at6native12_GLOBAL__N_18offset_tEEE10hipError_tPvRmT1_PNSt15iterator_traitsISZ_E10value_typeET2_T3_PNS10_IS15_E10value_typeET4_jRbjT5_S1B_jjP12ihipStream_tbEUljE_EEESW_SX_SY_S15_S19_S1B_T6_T7_T9_mT8_S1D_bDpT10_ENKUlT_T0_E_clISt17integral_constantIbLb0EES1Q_EEDaS1L_S1M_EUlS1L_E_NS1_11comp_targetILNS1_3genE2ELNS1_11target_archE906ELNS1_3gpuE6ELNS1_3repE0EEENS1_30default_config_static_selectorELNS0_4arch9wavefront6targetE0EEEvSZ_,comdat
	.globl	_ZN7rocprim17ROCPRIM_400000_NS6detail17trampoline_kernelINS0_13select_configILj256ELj13ELNS0_17block_load_methodE3ELS4_3ELS4_3ELNS0_20block_scan_algorithmE0ELj4294967295EEENS1_25partition_config_selectorILNS1_17partition_subalgoE3EjNS0_10empty_typeEbEEZZNS1_14partition_implILS8_3ELb0ES6_jNS0_17counting_iteratorIjlEEPS9_SE_NS0_5tupleIJPjSE_EEENSF_IJSE_SE_EEES9_SG_JZNS1_25segmented_radix_sort_implINS0_14default_configELb0EPK6__halfPSL_PKlPlN2at6native12_GLOBAL__N_18offset_tEEE10hipError_tPvRmT1_PNSt15iterator_traitsISZ_E10value_typeET2_T3_PNS10_IS15_E10value_typeET4_jRbjT5_S1B_jjP12ihipStream_tbEUljE_EEESW_SX_SY_S15_S19_S1B_T6_T7_T9_mT8_S1D_bDpT10_ENKUlT_T0_E_clISt17integral_constantIbLb0EES1Q_EEDaS1L_S1M_EUlS1L_E_NS1_11comp_targetILNS1_3genE2ELNS1_11target_archE906ELNS1_3gpuE6ELNS1_3repE0EEENS1_30default_config_static_selectorELNS0_4arch9wavefront6targetE0EEEvSZ_ ; -- Begin function _ZN7rocprim17ROCPRIM_400000_NS6detail17trampoline_kernelINS0_13select_configILj256ELj13ELNS0_17block_load_methodE3ELS4_3ELS4_3ELNS0_20block_scan_algorithmE0ELj4294967295EEENS1_25partition_config_selectorILNS1_17partition_subalgoE3EjNS0_10empty_typeEbEEZZNS1_14partition_implILS8_3ELb0ES6_jNS0_17counting_iteratorIjlEEPS9_SE_NS0_5tupleIJPjSE_EEENSF_IJSE_SE_EEES9_SG_JZNS1_25segmented_radix_sort_implINS0_14default_configELb0EPK6__halfPSL_PKlPlN2at6native12_GLOBAL__N_18offset_tEEE10hipError_tPvRmT1_PNSt15iterator_traitsISZ_E10value_typeET2_T3_PNS10_IS15_E10value_typeET4_jRbjT5_S1B_jjP12ihipStream_tbEUljE_EEESW_SX_SY_S15_S19_S1B_T6_T7_T9_mT8_S1D_bDpT10_ENKUlT_T0_E_clISt17integral_constantIbLb0EES1Q_EEDaS1L_S1M_EUlS1L_E_NS1_11comp_targetILNS1_3genE2ELNS1_11target_archE906ELNS1_3gpuE6ELNS1_3repE0EEENS1_30default_config_static_selectorELNS0_4arch9wavefront6targetE0EEEvSZ_
	.p2align	8
	.type	_ZN7rocprim17ROCPRIM_400000_NS6detail17trampoline_kernelINS0_13select_configILj256ELj13ELNS0_17block_load_methodE3ELS4_3ELS4_3ELNS0_20block_scan_algorithmE0ELj4294967295EEENS1_25partition_config_selectorILNS1_17partition_subalgoE3EjNS0_10empty_typeEbEEZZNS1_14partition_implILS8_3ELb0ES6_jNS0_17counting_iteratorIjlEEPS9_SE_NS0_5tupleIJPjSE_EEENSF_IJSE_SE_EEES9_SG_JZNS1_25segmented_radix_sort_implINS0_14default_configELb0EPK6__halfPSL_PKlPlN2at6native12_GLOBAL__N_18offset_tEEE10hipError_tPvRmT1_PNSt15iterator_traitsISZ_E10value_typeET2_T3_PNS10_IS15_E10value_typeET4_jRbjT5_S1B_jjP12ihipStream_tbEUljE_EEESW_SX_SY_S15_S19_S1B_T6_T7_T9_mT8_S1D_bDpT10_ENKUlT_T0_E_clISt17integral_constantIbLb0EES1Q_EEDaS1L_S1M_EUlS1L_E_NS1_11comp_targetILNS1_3genE2ELNS1_11target_archE906ELNS1_3gpuE6ELNS1_3repE0EEENS1_30default_config_static_selectorELNS0_4arch9wavefront6targetE0EEEvSZ_,@function
_ZN7rocprim17ROCPRIM_400000_NS6detail17trampoline_kernelINS0_13select_configILj256ELj13ELNS0_17block_load_methodE3ELS4_3ELS4_3ELNS0_20block_scan_algorithmE0ELj4294967295EEENS1_25partition_config_selectorILNS1_17partition_subalgoE3EjNS0_10empty_typeEbEEZZNS1_14partition_implILS8_3ELb0ES6_jNS0_17counting_iteratorIjlEEPS9_SE_NS0_5tupleIJPjSE_EEENSF_IJSE_SE_EEES9_SG_JZNS1_25segmented_radix_sort_implINS0_14default_configELb0EPK6__halfPSL_PKlPlN2at6native12_GLOBAL__N_18offset_tEEE10hipError_tPvRmT1_PNSt15iterator_traitsISZ_E10value_typeET2_T3_PNS10_IS15_E10value_typeET4_jRbjT5_S1B_jjP12ihipStream_tbEUljE_EEESW_SX_SY_S15_S19_S1B_T6_T7_T9_mT8_S1D_bDpT10_ENKUlT_T0_E_clISt17integral_constantIbLb0EES1Q_EEDaS1L_S1M_EUlS1L_E_NS1_11comp_targetILNS1_3genE2ELNS1_11target_archE906ELNS1_3gpuE6ELNS1_3repE0EEENS1_30default_config_static_selectorELNS0_4arch9wavefront6targetE0EEEvSZ_: ; @_ZN7rocprim17ROCPRIM_400000_NS6detail17trampoline_kernelINS0_13select_configILj256ELj13ELNS0_17block_load_methodE3ELS4_3ELS4_3ELNS0_20block_scan_algorithmE0ELj4294967295EEENS1_25partition_config_selectorILNS1_17partition_subalgoE3EjNS0_10empty_typeEbEEZZNS1_14partition_implILS8_3ELb0ES6_jNS0_17counting_iteratorIjlEEPS9_SE_NS0_5tupleIJPjSE_EEENSF_IJSE_SE_EEES9_SG_JZNS1_25segmented_radix_sort_implINS0_14default_configELb0EPK6__halfPSL_PKlPlN2at6native12_GLOBAL__N_18offset_tEEE10hipError_tPvRmT1_PNSt15iterator_traitsISZ_E10value_typeET2_T3_PNS10_IS15_E10value_typeET4_jRbjT5_S1B_jjP12ihipStream_tbEUljE_EEESW_SX_SY_S15_S19_S1B_T6_T7_T9_mT8_S1D_bDpT10_ENKUlT_T0_E_clISt17integral_constantIbLb0EES1Q_EEDaS1L_S1M_EUlS1L_E_NS1_11comp_targetILNS1_3genE2ELNS1_11target_archE906ELNS1_3gpuE6ELNS1_3repE0EEENS1_30default_config_static_selectorELNS0_4arch9wavefront6targetE0EEEvSZ_
; %bb.0:
	.section	.rodata,"a",@progbits
	.p2align	6, 0x0
	.amdhsa_kernel _ZN7rocprim17ROCPRIM_400000_NS6detail17trampoline_kernelINS0_13select_configILj256ELj13ELNS0_17block_load_methodE3ELS4_3ELS4_3ELNS0_20block_scan_algorithmE0ELj4294967295EEENS1_25partition_config_selectorILNS1_17partition_subalgoE3EjNS0_10empty_typeEbEEZZNS1_14partition_implILS8_3ELb0ES6_jNS0_17counting_iteratorIjlEEPS9_SE_NS0_5tupleIJPjSE_EEENSF_IJSE_SE_EEES9_SG_JZNS1_25segmented_radix_sort_implINS0_14default_configELb0EPK6__halfPSL_PKlPlN2at6native12_GLOBAL__N_18offset_tEEE10hipError_tPvRmT1_PNSt15iterator_traitsISZ_E10value_typeET2_T3_PNS10_IS15_E10value_typeET4_jRbjT5_S1B_jjP12ihipStream_tbEUljE_EEESW_SX_SY_S15_S19_S1B_T6_T7_T9_mT8_S1D_bDpT10_ENKUlT_T0_E_clISt17integral_constantIbLb0EES1Q_EEDaS1L_S1M_EUlS1L_E_NS1_11comp_targetILNS1_3genE2ELNS1_11target_archE906ELNS1_3gpuE6ELNS1_3repE0EEENS1_30default_config_static_selectorELNS0_4arch9wavefront6targetE0EEEvSZ_
		.amdhsa_group_segment_fixed_size 0
		.amdhsa_private_segment_fixed_size 0
		.amdhsa_kernarg_size 144
		.amdhsa_user_sgpr_count 15
		.amdhsa_user_sgpr_dispatch_ptr 0
		.amdhsa_user_sgpr_queue_ptr 0
		.amdhsa_user_sgpr_kernarg_segment_ptr 1
		.amdhsa_user_sgpr_dispatch_id 0
		.amdhsa_user_sgpr_private_segment_size 0
		.amdhsa_wavefront_size32 1
		.amdhsa_uses_dynamic_stack 0
		.amdhsa_enable_private_segment 0
		.amdhsa_system_sgpr_workgroup_id_x 1
		.amdhsa_system_sgpr_workgroup_id_y 0
		.amdhsa_system_sgpr_workgroup_id_z 0
		.amdhsa_system_sgpr_workgroup_info 0
		.amdhsa_system_vgpr_workitem_id 0
		.amdhsa_next_free_vgpr 1
		.amdhsa_next_free_sgpr 1
		.amdhsa_reserve_vcc 0
		.amdhsa_float_round_mode_32 0
		.amdhsa_float_round_mode_16_64 0
		.amdhsa_float_denorm_mode_32 3
		.amdhsa_float_denorm_mode_16_64 3
		.amdhsa_dx10_clamp 1
		.amdhsa_ieee_mode 1
		.amdhsa_fp16_overflow 0
		.amdhsa_workgroup_processor_mode 1
		.amdhsa_memory_ordered 1
		.amdhsa_forward_progress 0
		.amdhsa_shared_vgpr_count 0
		.amdhsa_exception_fp_ieee_invalid_op 0
		.amdhsa_exception_fp_denorm_src 0
		.amdhsa_exception_fp_ieee_div_zero 0
		.amdhsa_exception_fp_ieee_overflow 0
		.amdhsa_exception_fp_ieee_underflow 0
		.amdhsa_exception_fp_ieee_inexact 0
		.amdhsa_exception_int_div_zero 0
	.end_amdhsa_kernel
	.section	.text._ZN7rocprim17ROCPRIM_400000_NS6detail17trampoline_kernelINS0_13select_configILj256ELj13ELNS0_17block_load_methodE3ELS4_3ELS4_3ELNS0_20block_scan_algorithmE0ELj4294967295EEENS1_25partition_config_selectorILNS1_17partition_subalgoE3EjNS0_10empty_typeEbEEZZNS1_14partition_implILS8_3ELb0ES6_jNS0_17counting_iteratorIjlEEPS9_SE_NS0_5tupleIJPjSE_EEENSF_IJSE_SE_EEES9_SG_JZNS1_25segmented_radix_sort_implINS0_14default_configELb0EPK6__halfPSL_PKlPlN2at6native12_GLOBAL__N_18offset_tEEE10hipError_tPvRmT1_PNSt15iterator_traitsISZ_E10value_typeET2_T3_PNS10_IS15_E10value_typeET4_jRbjT5_S1B_jjP12ihipStream_tbEUljE_EEESW_SX_SY_S15_S19_S1B_T6_T7_T9_mT8_S1D_bDpT10_ENKUlT_T0_E_clISt17integral_constantIbLb0EES1Q_EEDaS1L_S1M_EUlS1L_E_NS1_11comp_targetILNS1_3genE2ELNS1_11target_archE906ELNS1_3gpuE6ELNS1_3repE0EEENS1_30default_config_static_selectorELNS0_4arch9wavefront6targetE0EEEvSZ_,"axG",@progbits,_ZN7rocprim17ROCPRIM_400000_NS6detail17trampoline_kernelINS0_13select_configILj256ELj13ELNS0_17block_load_methodE3ELS4_3ELS4_3ELNS0_20block_scan_algorithmE0ELj4294967295EEENS1_25partition_config_selectorILNS1_17partition_subalgoE3EjNS0_10empty_typeEbEEZZNS1_14partition_implILS8_3ELb0ES6_jNS0_17counting_iteratorIjlEEPS9_SE_NS0_5tupleIJPjSE_EEENSF_IJSE_SE_EEES9_SG_JZNS1_25segmented_radix_sort_implINS0_14default_configELb0EPK6__halfPSL_PKlPlN2at6native12_GLOBAL__N_18offset_tEEE10hipError_tPvRmT1_PNSt15iterator_traitsISZ_E10value_typeET2_T3_PNS10_IS15_E10value_typeET4_jRbjT5_S1B_jjP12ihipStream_tbEUljE_EEESW_SX_SY_S15_S19_S1B_T6_T7_T9_mT8_S1D_bDpT10_ENKUlT_T0_E_clISt17integral_constantIbLb0EES1Q_EEDaS1L_S1M_EUlS1L_E_NS1_11comp_targetILNS1_3genE2ELNS1_11target_archE906ELNS1_3gpuE6ELNS1_3repE0EEENS1_30default_config_static_selectorELNS0_4arch9wavefront6targetE0EEEvSZ_,comdat
.Lfunc_end1814:
	.size	_ZN7rocprim17ROCPRIM_400000_NS6detail17trampoline_kernelINS0_13select_configILj256ELj13ELNS0_17block_load_methodE3ELS4_3ELS4_3ELNS0_20block_scan_algorithmE0ELj4294967295EEENS1_25partition_config_selectorILNS1_17partition_subalgoE3EjNS0_10empty_typeEbEEZZNS1_14partition_implILS8_3ELb0ES6_jNS0_17counting_iteratorIjlEEPS9_SE_NS0_5tupleIJPjSE_EEENSF_IJSE_SE_EEES9_SG_JZNS1_25segmented_radix_sort_implINS0_14default_configELb0EPK6__halfPSL_PKlPlN2at6native12_GLOBAL__N_18offset_tEEE10hipError_tPvRmT1_PNSt15iterator_traitsISZ_E10value_typeET2_T3_PNS10_IS15_E10value_typeET4_jRbjT5_S1B_jjP12ihipStream_tbEUljE_EEESW_SX_SY_S15_S19_S1B_T6_T7_T9_mT8_S1D_bDpT10_ENKUlT_T0_E_clISt17integral_constantIbLb0EES1Q_EEDaS1L_S1M_EUlS1L_E_NS1_11comp_targetILNS1_3genE2ELNS1_11target_archE906ELNS1_3gpuE6ELNS1_3repE0EEENS1_30default_config_static_selectorELNS0_4arch9wavefront6targetE0EEEvSZ_, .Lfunc_end1814-_ZN7rocprim17ROCPRIM_400000_NS6detail17trampoline_kernelINS0_13select_configILj256ELj13ELNS0_17block_load_methodE3ELS4_3ELS4_3ELNS0_20block_scan_algorithmE0ELj4294967295EEENS1_25partition_config_selectorILNS1_17partition_subalgoE3EjNS0_10empty_typeEbEEZZNS1_14partition_implILS8_3ELb0ES6_jNS0_17counting_iteratorIjlEEPS9_SE_NS0_5tupleIJPjSE_EEENSF_IJSE_SE_EEES9_SG_JZNS1_25segmented_radix_sort_implINS0_14default_configELb0EPK6__halfPSL_PKlPlN2at6native12_GLOBAL__N_18offset_tEEE10hipError_tPvRmT1_PNSt15iterator_traitsISZ_E10value_typeET2_T3_PNS10_IS15_E10value_typeET4_jRbjT5_S1B_jjP12ihipStream_tbEUljE_EEESW_SX_SY_S15_S19_S1B_T6_T7_T9_mT8_S1D_bDpT10_ENKUlT_T0_E_clISt17integral_constantIbLb0EES1Q_EEDaS1L_S1M_EUlS1L_E_NS1_11comp_targetILNS1_3genE2ELNS1_11target_archE906ELNS1_3gpuE6ELNS1_3repE0EEENS1_30default_config_static_selectorELNS0_4arch9wavefront6targetE0EEEvSZ_
                                        ; -- End function
	.section	.AMDGPU.csdata,"",@progbits
; Kernel info:
; codeLenInByte = 0
; NumSgprs: 0
; NumVgprs: 0
; ScratchSize: 0
; MemoryBound: 0
; FloatMode: 240
; IeeeMode: 1
; LDSByteSize: 0 bytes/workgroup (compile time only)
; SGPRBlocks: 0
; VGPRBlocks: 0
; NumSGPRsForWavesPerEU: 1
; NumVGPRsForWavesPerEU: 1
; Occupancy: 16
; WaveLimiterHint : 0
; COMPUTE_PGM_RSRC2:SCRATCH_EN: 0
; COMPUTE_PGM_RSRC2:USER_SGPR: 15
; COMPUTE_PGM_RSRC2:TRAP_HANDLER: 0
; COMPUTE_PGM_RSRC2:TGID_X_EN: 1
; COMPUTE_PGM_RSRC2:TGID_Y_EN: 0
; COMPUTE_PGM_RSRC2:TGID_Z_EN: 0
; COMPUTE_PGM_RSRC2:TIDIG_COMP_CNT: 0
	.section	.text._ZN7rocprim17ROCPRIM_400000_NS6detail17trampoline_kernelINS0_13select_configILj256ELj13ELNS0_17block_load_methodE3ELS4_3ELS4_3ELNS0_20block_scan_algorithmE0ELj4294967295EEENS1_25partition_config_selectorILNS1_17partition_subalgoE3EjNS0_10empty_typeEbEEZZNS1_14partition_implILS8_3ELb0ES6_jNS0_17counting_iteratorIjlEEPS9_SE_NS0_5tupleIJPjSE_EEENSF_IJSE_SE_EEES9_SG_JZNS1_25segmented_radix_sort_implINS0_14default_configELb0EPK6__halfPSL_PKlPlN2at6native12_GLOBAL__N_18offset_tEEE10hipError_tPvRmT1_PNSt15iterator_traitsISZ_E10value_typeET2_T3_PNS10_IS15_E10value_typeET4_jRbjT5_S1B_jjP12ihipStream_tbEUljE_EEESW_SX_SY_S15_S19_S1B_T6_T7_T9_mT8_S1D_bDpT10_ENKUlT_T0_E_clISt17integral_constantIbLb0EES1Q_EEDaS1L_S1M_EUlS1L_E_NS1_11comp_targetILNS1_3genE10ELNS1_11target_archE1200ELNS1_3gpuE4ELNS1_3repE0EEENS1_30default_config_static_selectorELNS0_4arch9wavefront6targetE0EEEvSZ_,"axG",@progbits,_ZN7rocprim17ROCPRIM_400000_NS6detail17trampoline_kernelINS0_13select_configILj256ELj13ELNS0_17block_load_methodE3ELS4_3ELS4_3ELNS0_20block_scan_algorithmE0ELj4294967295EEENS1_25partition_config_selectorILNS1_17partition_subalgoE3EjNS0_10empty_typeEbEEZZNS1_14partition_implILS8_3ELb0ES6_jNS0_17counting_iteratorIjlEEPS9_SE_NS0_5tupleIJPjSE_EEENSF_IJSE_SE_EEES9_SG_JZNS1_25segmented_radix_sort_implINS0_14default_configELb0EPK6__halfPSL_PKlPlN2at6native12_GLOBAL__N_18offset_tEEE10hipError_tPvRmT1_PNSt15iterator_traitsISZ_E10value_typeET2_T3_PNS10_IS15_E10value_typeET4_jRbjT5_S1B_jjP12ihipStream_tbEUljE_EEESW_SX_SY_S15_S19_S1B_T6_T7_T9_mT8_S1D_bDpT10_ENKUlT_T0_E_clISt17integral_constantIbLb0EES1Q_EEDaS1L_S1M_EUlS1L_E_NS1_11comp_targetILNS1_3genE10ELNS1_11target_archE1200ELNS1_3gpuE4ELNS1_3repE0EEENS1_30default_config_static_selectorELNS0_4arch9wavefront6targetE0EEEvSZ_,comdat
	.globl	_ZN7rocprim17ROCPRIM_400000_NS6detail17trampoline_kernelINS0_13select_configILj256ELj13ELNS0_17block_load_methodE3ELS4_3ELS4_3ELNS0_20block_scan_algorithmE0ELj4294967295EEENS1_25partition_config_selectorILNS1_17partition_subalgoE3EjNS0_10empty_typeEbEEZZNS1_14partition_implILS8_3ELb0ES6_jNS0_17counting_iteratorIjlEEPS9_SE_NS0_5tupleIJPjSE_EEENSF_IJSE_SE_EEES9_SG_JZNS1_25segmented_radix_sort_implINS0_14default_configELb0EPK6__halfPSL_PKlPlN2at6native12_GLOBAL__N_18offset_tEEE10hipError_tPvRmT1_PNSt15iterator_traitsISZ_E10value_typeET2_T3_PNS10_IS15_E10value_typeET4_jRbjT5_S1B_jjP12ihipStream_tbEUljE_EEESW_SX_SY_S15_S19_S1B_T6_T7_T9_mT8_S1D_bDpT10_ENKUlT_T0_E_clISt17integral_constantIbLb0EES1Q_EEDaS1L_S1M_EUlS1L_E_NS1_11comp_targetILNS1_3genE10ELNS1_11target_archE1200ELNS1_3gpuE4ELNS1_3repE0EEENS1_30default_config_static_selectorELNS0_4arch9wavefront6targetE0EEEvSZ_ ; -- Begin function _ZN7rocprim17ROCPRIM_400000_NS6detail17trampoline_kernelINS0_13select_configILj256ELj13ELNS0_17block_load_methodE3ELS4_3ELS4_3ELNS0_20block_scan_algorithmE0ELj4294967295EEENS1_25partition_config_selectorILNS1_17partition_subalgoE3EjNS0_10empty_typeEbEEZZNS1_14partition_implILS8_3ELb0ES6_jNS0_17counting_iteratorIjlEEPS9_SE_NS0_5tupleIJPjSE_EEENSF_IJSE_SE_EEES9_SG_JZNS1_25segmented_radix_sort_implINS0_14default_configELb0EPK6__halfPSL_PKlPlN2at6native12_GLOBAL__N_18offset_tEEE10hipError_tPvRmT1_PNSt15iterator_traitsISZ_E10value_typeET2_T3_PNS10_IS15_E10value_typeET4_jRbjT5_S1B_jjP12ihipStream_tbEUljE_EEESW_SX_SY_S15_S19_S1B_T6_T7_T9_mT8_S1D_bDpT10_ENKUlT_T0_E_clISt17integral_constantIbLb0EES1Q_EEDaS1L_S1M_EUlS1L_E_NS1_11comp_targetILNS1_3genE10ELNS1_11target_archE1200ELNS1_3gpuE4ELNS1_3repE0EEENS1_30default_config_static_selectorELNS0_4arch9wavefront6targetE0EEEvSZ_
	.p2align	8
	.type	_ZN7rocprim17ROCPRIM_400000_NS6detail17trampoline_kernelINS0_13select_configILj256ELj13ELNS0_17block_load_methodE3ELS4_3ELS4_3ELNS0_20block_scan_algorithmE0ELj4294967295EEENS1_25partition_config_selectorILNS1_17partition_subalgoE3EjNS0_10empty_typeEbEEZZNS1_14partition_implILS8_3ELb0ES6_jNS0_17counting_iteratorIjlEEPS9_SE_NS0_5tupleIJPjSE_EEENSF_IJSE_SE_EEES9_SG_JZNS1_25segmented_radix_sort_implINS0_14default_configELb0EPK6__halfPSL_PKlPlN2at6native12_GLOBAL__N_18offset_tEEE10hipError_tPvRmT1_PNSt15iterator_traitsISZ_E10value_typeET2_T3_PNS10_IS15_E10value_typeET4_jRbjT5_S1B_jjP12ihipStream_tbEUljE_EEESW_SX_SY_S15_S19_S1B_T6_T7_T9_mT8_S1D_bDpT10_ENKUlT_T0_E_clISt17integral_constantIbLb0EES1Q_EEDaS1L_S1M_EUlS1L_E_NS1_11comp_targetILNS1_3genE10ELNS1_11target_archE1200ELNS1_3gpuE4ELNS1_3repE0EEENS1_30default_config_static_selectorELNS0_4arch9wavefront6targetE0EEEvSZ_,@function
_ZN7rocprim17ROCPRIM_400000_NS6detail17trampoline_kernelINS0_13select_configILj256ELj13ELNS0_17block_load_methodE3ELS4_3ELS4_3ELNS0_20block_scan_algorithmE0ELj4294967295EEENS1_25partition_config_selectorILNS1_17partition_subalgoE3EjNS0_10empty_typeEbEEZZNS1_14partition_implILS8_3ELb0ES6_jNS0_17counting_iteratorIjlEEPS9_SE_NS0_5tupleIJPjSE_EEENSF_IJSE_SE_EEES9_SG_JZNS1_25segmented_radix_sort_implINS0_14default_configELb0EPK6__halfPSL_PKlPlN2at6native12_GLOBAL__N_18offset_tEEE10hipError_tPvRmT1_PNSt15iterator_traitsISZ_E10value_typeET2_T3_PNS10_IS15_E10value_typeET4_jRbjT5_S1B_jjP12ihipStream_tbEUljE_EEESW_SX_SY_S15_S19_S1B_T6_T7_T9_mT8_S1D_bDpT10_ENKUlT_T0_E_clISt17integral_constantIbLb0EES1Q_EEDaS1L_S1M_EUlS1L_E_NS1_11comp_targetILNS1_3genE10ELNS1_11target_archE1200ELNS1_3gpuE4ELNS1_3repE0EEENS1_30default_config_static_selectorELNS0_4arch9wavefront6targetE0EEEvSZ_: ; @_ZN7rocprim17ROCPRIM_400000_NS6detail17trampoline_kernelINS0_13select_configILj256ELj13ELNS0_17block_load_methodE3ELS4_3ELS4_3ELNS0_20block_scan_algorithmE0ELj4294967295EEENS1_25partition_config_selectorILNS1_17partition_subalgoE3EjNS0_10empty_typeEbEEZZNS1_14partition_implILS8_3ELb0ES6_jNS0_17counting_iteratorIjlEEPS9_SE_NS0_5tupleIJPjSE_EEENSF_IJSE_SE_EEES9_SG_JZNS1_25segmented_radix_sort_implINS0_14default_configELb0EPK6__halfPSL_PKlPlN2at6native12_GLOBAL__N_18offset_tEEE10hipError_tPvRmT1_PNSt15iterator_traitsISZ_E10value_typeET2_T3_PNS10_IS15_E10value_typeET4_jRbjT5_S1B_jjP12ihipStream_tbEUljE_EEESW_SX_SY_S15_S19_S1B_T6_T7_T9_mT8_S1D_bDpT10_ENKUlT_T0_E_clISt17integral_constantIbLb0EES1Q_EEDaS1L_S1M_EUlS1L_E_NS1_11comp_targetILNS1_3genE10ELNS1_11target_archE1200ELNS1_3gpuE4ELNS1_3repE0EEENS1_30default_config_static_selectorELNS0_4arch9wavefront6targetE0EEEvSZ_
; %bb.0:
	.section	.rodata,"a",@progbits
	.p2align	6, 0x0
	.amdhsa_kernel _ZN7rocprim17ROCPRIM_400000_NS6detail17trampoline_kernelINS0_13select_configILj256ELj13ELNS0_17block_load_methodE3ELS4_3ELS4_3ELNS0_20block_scan_algorithmE0ELj4294967295EEENS1_25partition_config_selectorILNS1_17partition_subalgoE3EjNS0_10empty_typeEbEEZZNS1_14partition_implILS8_3ELb0ES6_jNS0_17counting_iteratorIjlEEPS9_SE_NS0_5tupleIJPjSE_EEENSF_IJSE_SE_EEES9_SG_JZNS1_25segmented_radix_sort_implINS0_14default_configELb0EPK6__halfPSL_PKlPlN2at6native12_GLOBAL__N_18offset_tEEE10hipError_tPvRmT1_PNSt15iterator_traitsISZ_E10value_typeET2_T3_PNS10_IS15_E10value_typeET4_jRbjT5_S1B_jjP12ihipStream_tbEUljE_EEESW_SX_SY_S15_S19_S1B_T6_T7_T9_mT8_S1D_bDpT10_ENKUlT_T0_E_clISt17integral_constantIbLb0EES1Q_EEDaS1L_S1M_EUlS1L_E_NS1_11comp_targetILNS1_3genE10ELNS1_11target_archE1200ELNS1_3gpuE4ELNS1_3repE0EEENS1_30default_config_static_selectorELNS0_4arch9wavefront6targetE0EEEvSZ_
		.amdhsa_group_segment_fixed_size 0
		.amdhsa_private_segment_fixed_size 0
		.amdhsa_kernarg_size 144
		.amdhsa_user_sgpr_count 15
		.amdhsa_user_sgpr_dispatch_ptr 0
		.amdhsa_user_sgpr_queue_ptr 0
		.amdhsa_user_sgpr_kernarg_segment_ptr 1
		.amdhsa_user_sgpr_dispatch_id 0
		.amdhsa_user_sgpr_private_segment_size 0
		.amdhsa_wavefront_size32 1
		.amdhsa_uses_dynamic_stack 0
		.amdhsa_enable_private_segment 0
		.amdhsa_system_sgpr_workgroup_id_x 1
		.amdhsa_system_sgpr_workgroup_id_y 0
		.amdhsa_system_sgpr_workgroup_id_z 0
		.amdhsa_system_sgpr_workgroup_info 0
		.amdhsa_system_vgpr_workitem_id 0
		.amdhsa_next_free_vgpr 1
		.amdhsa_next_free_sgpr 1
		.amdhsa_reserve_vcc 0
		.amdhsa_float_round_mode_32 0
		.amdhsa_float_round_mode_16_64 0
		.amdhsa_float_denorm_mode_32 3
		.amdhsa_float_denorm_mode_16_64 3
		.amdhsa_dx10_clamp 1
		.amdhsa_ieee_mode 1
		.amdhsa_fp16_overflow 0
		.amdhsa_workgroup_processor_mode 1
		.amdhsa_memory_ordered 1
		.amdhsa_forward_progress 0
		.amdhsa_shared_vgpr_count 0
		.amdhsa_exception_fp_ieee_invalid_op 0
		.amdhsa_exception_fp_denorm_src 0
		.amdhsa_exception_fp_ieee_div_zero 0
		.amdhsa_exception_fp_ieee_overflow 0
		.amdhsa_exception_fp_ieee_underflow 0
		.amdhsa_exception_fp_ieee_inexact 0
		.amdhsa_exception_int_div_zero 0
	.end_amdhsa_kernel
	.section	.text._ZN7rocprim17ROCPRIM_400000_NS6detail17trampoline_kernelINS0_13select_configILj256ELj13ELNS0_17block_load_methodE3ELS4_3ELS4_3ELNS0_20block_scan_algorithmE0ELj4294967295EEENS1_25partition_config_selectorILNS1_17partition_subalgoE3EjNS0_10empty_typeEbEEZZNS1_14partition_implILS8_3ELb0ES6_jNS0_17counting_iteratorIjlEEPS9_SE_NS0_5tupleIJPjSE_EEENSF_IJSE_SE_EEES9_SG_JZNS1_25segmented_radix_sort_implINS0_14default_configELb0EPK6__halfPSL_PKlPlN2at6native12_GLOBAL__N_18offset_tEEE10hipError_tPvRmT1_PNSt15iterator_traitsISZ_E10value_typeET2_T3_PNS10_IS15_E10value_typeET4_jRbjT5_S1B_jjP12ihipStream_tbEUljE_EEESW_SX_SY_S15_S19_S1B_T6_T7_T9_mT8_S1D_bDpT10_ENKUlT_T0_E_clISt17integral_constantIbLb0EES1Q_EEDaS1L_S1M_EUlS1L_E_NS1_11comp_targetILNS1_3genE10ELNS1_11target_archE1200ELNS1_3gpuE4ELNS1_3repE0EEENS1_30default_config_static_selectorELNS0_4arch9wavefront6targetE0EEEvSZ_,"axG",@progbits,_ZN7rocprim17ROCPRIM_400000_NS6detail17trampoline_kernelINS0_13select_configILj256ELj13ELNS0_17block_load_methodE3ELS4_3ELS4_3ELNS0_20block_scan_algorithmE0ELj4294967295EEENS1_25partition_config_selectorILNS1_17partition_subalgoE3EjNS0_10empty_typeEbEEZZNS1_14partition_implILS8_3ELb0ES6_jNS0_17counting_iteratorIjlEEPS9_SE_NS0_5tupleIJPjSE_EEENSF_IJSE_SE_EEES9_SG_JZNS1_25segmented_radix_sort_implINS0_14default_configELb0EPK6__halfPSL_PKlPlN2at6native12_GLOBAL__N_18offset_tEEE10hipError_tPvRmT1_PNSt15iterator_traitsISZ_E10value_typeET2_T3_PNS10_IS15_E10value_typeET4_jRbjT5_S1B_jjP12ihipStream_tbEUljE_EEESW_SX_SY_S15_S19_S1B_T6_T7_T9_mT8_S1D_bDpT10_ENKUlT_T0_E_clISt17integral_constantIbLb0EES1Q_EEDaS1L_S1M_EUlS1L_E_NS1_11comp_targetILNS1_3genE10ELNS1_11target_archE1200ELNS1_3gpuE4ELNS1_3repE0EEENS1_30default_config_static_selectorELNS0_4arch9wavefront6targetE0EEEvSZ_,comdat
.Lfunc_end1815:
	.size	_ZN7rocprim17ROCPRIM_400000_NS6detail17trampoline_kernelINS0_13select_configILj256ELj13ELNS0_17block_load_methodE3ELS4_3ELS4_3ELNS0_20block_scan_algorithmE0ELj4294967295EEENS1_25partition_config_selectorILNS1_17partition_subalgoE3EjNS0_10empty_typeEbEEZZNS1_14partition_implILS8_3ELb0ES6_jNS0_17counting_iteratorIjlEEPS9_SE_NS0_5tupleIJPjSE_EEENSF_IJSE_SE_EEES9_SG_JZNS1_25segmented_radix_sort_implINS0_14default_configELb0EPK6__halfPSL_PKlPlN2at6native12_GLOBAL__N_18offset_tEEE10hipError_tPvRmT1_PNSt15iterator_traitsISZ_E10value_typeET2_T3_PNS10_IS15_E10value_typeET4_jRbjT5_S1B_jjP12ihipStream_tbEUljE_EEESW_SX_SY_S15_S19_S1B_T6_T7_T9_mT8_S1D_bDpT10_ENKUlT_T0_E_clISt17integral_constantIbLb0EES1Q_EEDaS1L_S1M_EUlS1L_E_NS1_11comp_targetILNS1_3genE10ELNS1_11target_archE1200ELNS1_3gpuE4ELNS1_3repE0EEENS1_30default_config_static_selectorELNS0_4arch9wavefront6targetE0EEEvSZ_, .Lfunc_end1815-_ZN7rocprim17ROCPRIM_400000_NS6detail17trampoline_kernelINS0_13select_configILj256ELj13ELNS0_17block_load_methodE3ELS4_3ELS4_3ELNS0_20block_scan_algorithmE0ELj4294967295EEENS1_25partition_config_selectorILNS1_17partition_subalgoE3EjNS0_10empty_typeEbEEZZNS1_14partition_implILS8_3ELb0ES6_jNS0_17counting_iteratorIjlEEPS9_SE_NS0_5tupleIJPjSE_EEENSF_IJSE_SE_EEES9_SG_JZNS1_25segmented_radix_sort_implINS0_14default_configELb0EPK6__halfPSL_PKlPlN2at6native12_GLOBAL__N_18offset_tEEE10hipError_tPvRmT1_PNSt15iterator_traitsISZ_E10value_typeET2_T3_PNS10_IS15_E10value_typeET4_jRbjT5_S1B_jjP12ihipStream_tbEUljE_EEESW_SX_SY_S15_S19_S1B_T6_T7_T9_mT8_S1D_bDpT10_ENKUlT_T0_E_clISt17integral_constantIbLb0EES1Q_EEDaS1L_S1M_EUlS1L_E_NS1_11comp_targetILNS1_3genE10ELNS1_11target_archE1200ELNS1_3gpuE4ELNS1_3repE0EEENS1_30default_config_static_selectorELNS0_4arch9wavefront6targetE0EEEvSZ_
                                        ; -- End function
	.section	.AMDGPU.csdata,"",@progbits
; Kernel info:
; codeLenInByte = 0
; NumSgprs: 0
; NumVgprs: 0
; ScratchSize: 0
; MemoryBound: 0
; FloatMode: 240
; IeeeMode: 1
; LDSByteSize: 0 bytes/workgroup (compile time only)
; SGPRBlocks: 0
; VGPRBlocks: 0
; NumSGPRsForWavesPerEU: 1
; NumVGPRsForWavesPerEU: 1
; Occupancy: 16
; WaveLimiterHint : 0
; COMPUTE_PGM_RSRC2:SCRATCH_EN: 0
; COMPUTE_PGM_RSRC2:USER_SGPR: 15
; COMPUTE_PGM_RSRC2:TRAP_HANDLER: 0
; COMPUTE_PGM_RSRC2:TGID_X_EN: 1
; COMPUTE_PGM_RSRC2:TGID_Y_EN: 0
; COMPUTE_PGM_RSRC2:TGID_Z_EN: 0
; COMPUTE_PGM_RSRC2:TIDIG_COMP_CNT: 0
	.section	.text._ZN7rocprim17ROCPRIM_400000_NS6detail17trampoline_kernelINS0_13select_configILj256ELj13ELNS0_17block_load_methodE3ELS4_3ELS4_3ELNS0_20block_scan_algorithmE0ELj4294967295EEENS1_25partition_config_selectorILNS1_17partition_subalgoE3EjNS0_10empty_typeEbEEZZNS1_14partition_implILS8_3ELb0ES6_jNS0_17counting_iteratorIjlEEPS9_SE_NS0_5tupleIJPjSE_EEENSF_IJSE_SE_EEES9_SG_JZNS1_25segmented_radix_sort_implINS0_14default_configELb0EPK6__halfPSL_PKlPlN2at6native12_GLOBAL__N_18offset_tEEE10hipError_tPvRmT1_PNSt15iterator_traitsISZ_E10value_typeET2_T3_PNS10_IS15_E10value_typeET4_jRbjT5_S1B_jjP12ihipStream_tbEUljE_EEESW_SX_SY_S15_S19_S1B_T6_T7_T9_mT8_S1D_bDpT10_ENKUlT_T0_E_clISt17integral_constantIbLb0EES1Q_EEDaS1L_S1M_EUlS1L_E_NS1_11comp_targetILNS1_3genE9ELNS1_11target_archE1100ELNS1_3gpuE3ELNS1_3repE0EEENS1_30default_config_static_selectorELNS0_4arch9wavefront6targetE0EEEvSZ_,"axG",@progbits,_ZN7rocprim17ROCPRIM_400000_NS6detail17trampoline_kernelINS0_13select_configILj256ELj13ELNS0_17block_load_methodE3ELS4_3ELS4_3ELNS0_20block_scan_algorithmE0ELj4294967295EEENS1_25partition_config_selectorILNS1_17partition_subalgoE3EjNS0_10empty_typeEbEEZZNS1_14partition_implILS8_3ELb0ES6_jNS0_17counting_iteratorIjlEEPS9_SE_NS0_5tupleIJPjSE_EEENSF_IJSE_SE_EEES9_SG_JZNS1_25segmented_radix_sort_implINS0_14default_configELb0EPK6__halfPSL_PKlPlN2at6native12_GLOBAL__N_18offset_tEEE10hipError_tPvRmT1_PNSt15iterator_traitsISZ_E10value_typeET2_T3_PNS10_IS15_E10value_typeET4_jRbjT5_S1B_jjP12ihipStream_tbEUljE_EEESW_SX_SY_S15_S19_S1B_T6_T7_T9_mT8_S1D_bDpT10_ENKUlT_T0_E_clISt17integral_constantIbLb0EES1Q_EEDaS1L_S1M_EUlS1L_E_NS1_11comp_targetILNS1_3genE9ELNS1_11target_archE1100ELNS1_3gpuE3ELNS1_3repE0EEENS1_30default_config_static_selectorELNS0_4arch9wavefront6targetE0EEEvSZ_,comdat
	.globl	_ZN7rocprim17ROCPRIM_400000_NS6detail17trampoline_kernelINS0_13select_configILj256ELj13ELNS0_17block_load_methodE3ELS4_3ELS4_3ELNS0_20block_scan_algorithmE0ELj4294967295EEENS1_25partition_config_selectorILNS1_17partition_subalgoE3EjNS0_10empty_typeEbEEZZNS1_14partition_implILS8_3ELb0ES6_jNS0_17counting_iteratorIjlEEPS9_SE_NS0_5tupleIJPjSE_EEENSF_IJSE_SE_EEES9_SG_JZNS1_25segmented_radix_sort_implINS0_14default_configELb0EPK6__halfPSL_PKlPlN2at6native12_GLOBAL__N_18offset_tEEE10hipError_tPvRmT1_PNSt15iterator_traitsISZ_E10value_typeET2_T3_PNS10_IS15_E10value_typeET4_jRbjT5_S1B_jjP12ihipStream_tbEUljE_EEESW_SX_SY_S15_S19_S1B_T6_T7_T9_mT8_S1D_bDpT10_ENKUlT_T0_E_clISt17integral_constantIbLb0EES1Q_EEDaS1L_S1M_EUlS1L_E_NS1_11comp_targetILNS1_3genE9ELNS1_11target_archE1100ELNS1_3gpuE3ELNS1_3repE0EEENS1_30default_config_static_selectorELNS0_4arch9wavefront6targetE0EEEvSZ_ ; -- Begin function _ZN7rocprim17ROCPRIM_400000_NS6detail17trampoline_kernelINS0_13select_configILj256ELj13ELNS0_17block_load_methodE3ELS4_3ELS4_3ELNS0_20block_scan_algorithmE0ELj4294967295EEENS1_25partition_config_selectorILNS1_17partition_subalgoE3EjNS0_10empty_typeEbEEZZNS1_14partition_implILS8_3ELb0ES6_jNS0_17counting_iteratorIjlEEPS9_SE_NS0_5tupleIJPjSE_EEENSF_IJSE_SE_EEES9_SG_JZNS1_25segmented_radix_sort_implINS0_14default_configELb0EPK6__halfPSL_PKlPlN2at6native12_GLOBAL__N_18offset_tEEE10hipError_tPvRmT1_PNSt15iterator_traitsISZ_E10value_typeET2_T3_PNS10_IS15_E10value_typeET4_jRbjT5_S1B_jjP12ihipStream_tbEUljE_EEESW_SX_SY_S15_S19_S1B_T6_T7_T9_mT8_S1D_bDpT10_ENKUlT_T0_E_clISt17integral_constantIbLb0EES1Q_EEDaS1L_S1M_EUlS1L_E_NS1_11comp_targetILNS1_3genE9ELNS1_11target_archE1100ELNS1_3gpuE3ELNS1_3repE0EEENS1_30default_config_static_selectorELNS0_4arch9wavefront6targetE0EEEvSZ_
	.p2align	8
	.type	_ZN7rocprim17ROCPRIM_400000_NS6detail17trampoline_kernelINS0_13select_configILj256ELj13ELNS0_17block_load_methodE3ELS4_3ELS4_3ELNS0_20block_scan_algorithmE0ELj4294967295EEENS1_25partition_config_selectorILNS1_17partition_subalgoE3EjNS0_10empty_typeEbEEZZNS1_14partition_implILS8_3ELb0ES6_jNS0_17counting_iteratorIjlEEPS9_SE_NS0_5tupleIJPjSE_EEENSF_IJSE_SE_EEES9_SG_JZNS1_25segmented_radix_sort_implINS0_14default_configELb0EPK6__halfPSL_PKlPlN2at6native12_GLOBAL__N_18offset_tEEE10hipError_tPvRmT1_PNSt15iterator_traitsISZ_E10value_typeET2_T3_PNS10_IS15_E10value_typeET4_jRbjT5_S1B_jjP12ihipStream_tbEUljE_EEESW_SX_SY_S15_S19_S1B_T6_T7_T9_mT8_S1D_bDpT10_ENKUlT_T0_E_clISt17integral_constantIbLb0EES1Q_EEDaS1L_S1M_EUlS1L_E_NS1_11comp_targetILNS1_3genE9ELNS1_11target_archE1100ELNS1_3gpuE3ELNS1_3repE0EEENS1_30default_config_static_selectorELNS0_4arch9wavefront6targetE0EEEvSZ_,@function
_ZN7rocprim17ROCPRIM_400000_NS6detail17trampoline_kernelINS0_13select_configILj256ELj13ELNS0_17block_load_methodE3ELS4_3ELS4_3ELNS0_20block_scan_algorithmE0ELj4294967295EEENS1_25partition_config_selectorILNS1_17partition_subalgoE3EjNS0_10empty_typeEbEEZZNS1_14partition_implILS8_3ELb0ES6_jNS0_17counting_iteratorIjlEEPS9_SE_NS0_5tupleIJPjSE_EEENSF_IJSE_SE_EEES9_SG_JZNS1_25segmented_radix_sort_implINS0_14default_configELb0EPK6__halfPSL_PKlPlN2at6native12_GLOBAL__N_18offset_tEEE10hipError_tPvRmT1_PNSt15iterator_traitsISZ_E10value_typeET2_T3_PNS10_IS15_E10value_typeET4_jRbjT5_S1B_jjP12ihipStream_tbEUljE_EEESW_SX_SY_S15_S19_S1B_T6_T7_T9_mT8_S1D_bDpT10_ENKUlT_T0_E_clISt17integral_constantIbLb0EES1Q_EEDaS1L_S1M_EUlS1L_E_NS1_11comp_targetILNS1_3genE9ELNS1_11target_archE1100ELNS1_3gpuE3ELNS1_3repE0EEENS1_30default_config_static_selectorELNS0_4arch9wavefront6targetE0EEEvSZ_: ; @_ZN7rocprim17ROCPRIM_400000_NS6detail17trampoline_kernelINS0_13select_configILj256ELj13ELNS0_17block_load_methodE3ELS4_3ELS4_3ELNS0_20block_scan_algorithmE0ELj4294967295EEENS1_25partition_config_selectorILNS1_17partition_subalgoE3EjNS0_10empty_typeEbEEZZNS1_14partition_implILS8_3ELb0ES6_jNS0_17counting_iteratorIjlEEPS9_SE_NS0_5tupleIJPjSE_EEENSF_IJSE_SE_EEES9_SG_JZNS1_25segmented_radix_sort_implINS0_14default_configELb0EPK6__halfPSL_PKlPlN2at6native12_GLOBAL__N_18offset_tEEE10hipError_tPvRmT1_PNSt15iterator_traitsISZ_E10value_typeET2_T3_PNS10_IS15_E10value_typeET4_jRbjT5_S1B_jjP12ihipStream_tbEUljE_EEESW_SX_SY_S15_S19_S1B_T6_T7_T9_mT8_S1D_bDpT10_ENKUlT_T0_E_clISt17integral_constantIbLb0EES1Q_EEDaS1L_S1M_EUlS1L_E_NS1_11comp_targetILNS1_3genE9ELNS1_11target_archE1100ELNS1_3gpuE3ELNS1_3repE0EEENS1_30default_config_static_selectorELNS0_4arch9wavefront6targetE0EEEvSZ_
; %bb.0:
	s_clause 0x5
	s_load_b32 s2, s[0:1], 0x70
	s_load_b64 s[16:17], s[0:1], 0x10
	s_load_b64 s[12:13], s[0:1], 0x58
	s_load_b32 s18, s[0:1], 0x8
	s_load_b128 s[8:11], s[0:1], 0x48
	s_load_b128 s[4:7], s[0:1], 0x78
	s_mul_i32 s23, s15, 0xd00
	v_lshlrev_b32_e32 v30, 2, v0
	s_waitcnt lgkmcnt(0)
	s_mul_i32 s20, s2, 0xd00
	s_add_i32 s19, s2, -1
	s_add_u32 s2, s16, s20
	s_addc_u32 s3, s17, 0
	s_cmp_eq_u32 s15, s19
	v_cmp_lt_u64_e64 s3, s[2:3], s[12:13]
	s_cselect_b32 s14, -1, 0
	s_cmp_lg_u32 s15, s19
	s_cselect_b32 s21, -1, 0
	s_add_i32 s2, s18, s23
	s_delay_alu instid0(VALU_DEP_1)
	s_or_b32 s3, s21, s3
	s_add_i32 s18, s2, s16
	s_load_b32 s2, s[0:1], 0x88
	v_add_nc_u32_e32 v1, s18, v0
	s_load_b64 s[18:19], s[10:11], 0x0
	s_and_b32 vcc_lo, exec_lo, s3
	s_mov_b32 s10, -1
	s_delay_alu instid0(VALU_DEP_1)
	v_add_nc_u32_e32 v2, 0x100, v1
	v_add_nc_u32_e32 v3, 0x200, v1
	;; [unrolled: 1-line block ×12, first 2 shown]
	s_cbranch_vccz .LBB1816_2
; %bb.1:
	ds_store_2addr_stride64_b32 v30, v1, v2 offset1:4
	ds_store_2addr_stride64_b32 v30, v3, v4 offset0:8 offset1:12
	ds_store_2addr_stride64_b32 v30, v5, v6 offset0:16 offset1:20
	;; [unrolled: 1-line block ×5, first 2 shown]
	ds_store_b32 v30, v13 offset:12288
	s_waitcnt lgkmcnt(0)
	s_mov_b32 s10, 0
	s_barrier
.LBB1816_2:
	s_and_not1_b32 vcc_lo, exec_lo, s10
	s_add_i32 s20, s20, s16
	s_cbranch_vccnz .LBB1816_4
; %bb.3:
	ds_store_2addr_stride64_b32 v30, v1, v2 offset1:4
	ds_store_2addr_stride64_b32 v30, v3, v4 offset0:8 offset1:12
	ds_store_2addr_stride64_b32 v30, v5, v6 offset0:16 offset1:20
	;; [unrolled: 1-line block ×5, first 2 shown]
	ds_store_b32 v30, v13 offset:12288
	s_waitcnt lgkmcnt(0)
	s_barrier
.LBB1816_4:
	v_mul_u32_u24_e32 v33, 13, v0
	s_waitcnt lgkmcnt(0)
	buffer_gl0_inv
	v_cndmask_b32_e64 v31, 0, 1, s3
	s_sub_i32 s22, s12, s20
	s_and_not1_b32 vcc_lo, exec_lo, s3
	v_lshlrev_b32_e32 v1, 2, v33
	ds_load_2addr_b32 v[28:29], v1 offset1:1
	ds_load_2addr_b32 v[26:27], v1 offset0:2 offset1:3
	ds_load_2addr_b32 v[24:25], v1 offset0:4 offset1:5
	;; [unrolled: 1-line block ×5, first 2 shown]
	ds_load_b32 v32, v1 offset:48
	s_waitcnt lgkmcnt(0)
	s_barrier
	buffer_gl0_inv
	s_cbranch_vccnz .LBB1816_6
; %bb.5:
	v_add_nc_u32_e32 v1, s5, v28
	v_add_nc_u32_e32 v2, s7, v28
	;; [unrolled: 1-line block ×5, first 2 shown]
	v_mul_lo_u32 v1, v1, s4
	v_mul_lo_u32 v2, v2, s6
	;; [unrolled: 1-line block ×4, first 2 shown]
	v_add_nc_u32_e32 v6, s7, v26
	v_add_nc_u32_e32 v7, s5, v27
	;; [unrolled: 1-line block ×3, first 2 shown]
	v_mul_lo_u32 v5, v5, s4
	v_add_nc_u32_e32 v9, s5, v22
	v_sub_nc_u32_e32 v1, v1, v2
	v_mul_lo_u32 v2, v6, s6
	v_sub_nc_u32_e32 v3, v3, v4
	v_mul_lo_u32 v4, v7, s4
	v_mul_lo_u32 v6, v8, s6
	v_add_nc_u32_e32 v7, s5, v24
	v_cmp_lt_u32_e32 vcc_lo, s2, v1
	v_add_nc_u32_e32 v8, s5, v25
	v_add_nc_u32_e32 v10, s7, v22
	v_sub_nc_u32_e32 v2, v5, v2
	v_add_nc_u32_e32 v5, s7, v24
	v_cndmask_b32_e64 v1, 0, 1, vcc_lo
	v_sub_nc_u32_e32 v4, v4, v6
	v_mul_lo_u32 v6, v7, s4
	v_add_nc_u32_e32 v7, s7, v25
	v_cmp_lt_u32_e32 vcc_lo, s2, v3
	v_mul_lo_u32 v5, v5, s6
	v_mul_lo_u32 v8, v8, s4
	;; [unrolled: 1-line block ×4, first 2 shown]
	v_cndmask_b32_e64 v3, 0, 1, vcc_lo
	v_cmp_lt_u32_e32 vcc_lo, s2, v2
	v_mul_lo_u32 v10, v10, s6
	v_add_nc_u32_e32 v11, s5, v20
	v_sub_nc_u32_e32 v5, v6, v5
	v_add_nc_u32_e32 v12, s7, v20
	v_cndmask_b32_e64 v2, 0, 1, vcc_lo
	v_sub_nc_u32_e32 v6, v8, v7
	v_add_nc_u32_e32 v7, s5, v23
	v_add_nc_u32_e32 v8, s7, v23
	v_cmp_lt_u32_e32 vcc_lo, s2, v4
	v_sub_nc_u32_e32 v9, v9, v10
	v_mul_lo_u32 v10, v11, s4
	v_mul_lo_u32 v7, v7, s4
	;; [unrolled: 1-line block ×4, first 2 shown]
	v_cndmask_b32_e64 v4, 0, 1, vcc_lo
	v_cmp_lt_u32_e32 vcc_lo, s2, v5
	v_add_nc_u32_e32 v12, s5, v21
	v_add_nc_u32_e32 v13, s7, v18
	;; [unrolled: 1-line block ×4, first 2 shown]
	v_cndmask_b32_e64 v5, 0, 1, vcc_lo
	v_cmp_lt_u32_e32 vcc_lo, s2, v6
	v_sub_nc_u32_e32 v7, v7, v8
	v_sub_nc_u32_e32 v8, v10, v11
	v_add_nc_u32_e32 v11, s7, v21
	v_mul_lo_u32 v10, v12, s4
	v_cndmask_b32_e64 v6, 0, 1, vcc_lo
	v_cmp_lt_u32_e32 vcc_lo, s2, v9
	v_add_nc_u32_e32 v12, s5, v18
	v_mul_lo_u32 v11, v11, s6
	v_mul_lo_u32 v13, v13, s6
	;; [unrolled: 1-line block ×3, first 2 shown]
	v_cndmask_b32_e64 v9, 0, 1, vcc_lo
	v_cmp_lt_u32_e32 vcc_lo, s2, v7
	v_mul_lo_u32 v12, v12, s4
	v_mul_lo_u32 v15, v15, s6
	v_lshlrev_b16 v3, 8, v3
	v_sub_nc_u32_e32 v10, v10, v11
	v_cndmask_b32_e64 v7, 0, 1, vcc_lo
	v_cmp_lt_u32_e32 vcc_lo, s2, v8
	v_add_nc_u32_e32 v11, s5, v32
	v_or_b32_e32 v1, v1, v3
	v_sub_nc_u32_e32 v12, v12, v13
	v_sub_nc_u32_e32 v13, v14, v15
	v_cndmask_b32_e64 v8, 0, 1, vcc_lo
	v_cmp_lt_u32_e32 vcc_lo, s2, v10
	v_add_nc_u32_e32 v16, s7, v32
	v_mul_lo_u32 v11, v11, s4
	v_lshlrev_b16 v4, 8, v4
	v_lshlrev_b16 v6, 8, v6
	v_cndmask_b32_e64 v10, 0, 1, vcc_lo
	v_cmp_lt_u32_e32 vcc_lo, s2, v12
	v_mul_lo_u32 v14, v16, s6
	v_lshlrev_b16 v7, 8, v7
	v_or_b32_e32 v2, v2, v4
	v_lshlrev_b16 v10, 8, v10
	v_cndmask_b32_e64 v3, 0, 1, vcc_lo
	v_cmp_lt_u32_e32 vcc_lo, s2, v13
	v_or_b32_e32 v4, v5, v6
	v_or_b32_e32 v5, v9, v7
	v_sub_nc_u32_e32 v11, v11, v14
	v_or_b32_e32 v6, v8, v10
	v_cndmask_b32_e64 v12, 0, 1, vcc_lo
	v_and_b32_e32 v1, 0xffff, v1
	v_lshlrev_b32_e32 v2, 16, v2
	v_and_b32_e32 v4, 0xffff, v4
	v_lshlrev_b32_e32 v5, 16, v5
	v_lshlrev_b16 v12, 8, v12
	v_and_b32_e32 v6, 0xffff, v6
	v_cmp_lt_u32_e32 vcc_lo, s2, v11
	v_or_b32_e32 v39, v1, v2
	v_or_b32_e32 v37, v4, v5
	;; [unrolled: 1-line block ×3, first 2 shown]
	s_mov_b32 s3, 0
	v_cndmask_b32_e64 v34, 0, 1, vcc_lo
	s_delay_alu instid0(VALU_DEP_2) | instskip(NEXT) | instid1(VALU_DEP_1)
	v_lshlrev_b32_e32 v3, 16, v3
	v_or_b32_e32 v35, v6, v3
	s_branch .LBB1816_7
.LBB1816_6:
	s_mov_b32 s3, -1
                                        ; implicit-def: $vgpr34
                                        ; implicit-def: $vgpr35
                                        ; implicit-def: $vgpr37
                                        ; implicit-def: $vgpr39
.LBB1816_7:
	s_clause 0x1
	s_load_b64 s[10:11], s[0:1], 0x28
	s_load_b64 s[20:21], s[0:1], 0x68
	s_and_not1_b32 vcc_lo, exec_lo, s3
	s_addk_i32 s22, 0xd00
	s_cbranch_vccnz .LBB1816_35
; %bb.8:
	v_dual_mov_b32 v2, 0 :: v_dual_mov_b32 v1, 0
	s_mov_b32 s0, exec_lo
	v_cmpx_gt_u32_e64 s22, v33
; %bb.9:
	v_add_nc_u32_e32 v1, s5, v28
	v_add_nc_u32_e32 v3, s7, v28
	s_delay_alu instid0(VALU_DEP_2) | instskip(NEXT) | instid1(VALU_DEP_2)
	v_mul_lo_u32 v1, v1, s4
	v_mul_lo_u32 v3, v3, s6
	s_delay_alu instid0(VALU_DEP_1) | instskip(NEXT) | instid1(VALU_DEP_1)
	v_sub_nc_u32_e32 v1, v1, v3
	v_cmp_lt_u32_e32 vcc_lo, s2, v1
	v_cndmask_b32_e64 v1, 0, 1, vcc_lo
; %bb.10:
	s_or_b32 exec_lo, exec_lo, s0
	v_add_nc_u32_e32 v3, 1, v33
	s_mov_b32 s0, exec_lo
	s_delay_alu instid0(VALU_DEP_1)
	v_cmpx_gt_u32_e64 s22, v3
; %bb.11:
	v_add_nc_u32_e32 v2, s5, v29
	v_add_nc_u32_e32 v3, s7, v29
	s_delay_alu instid0(VALU_DEP_2) | instskip(NEXT) | instid1(VALU_DEP_2)
	v_mul_lo_u32 v2, v2, s4
	v_mul_lo_u32 v3, v3, s6
	s_delay_alu instid0(VALU_DEP_1) | instskip(NEXT) | instid1(VALU_DEP_1)
	v_sub_nc_u32_e32 v2, v2, v3
	v_cmp_lt_u32_e32 vcc_lo, s2, v2
	v_cndmask_b32_e64 v2, 0, 1, vcc_lo
; %bb.12:
	s_or_b32 exec_lo, exec_lo, s0
	v_dual_mov_b32 v4, 0 :: v_dual_add_nc_u32 v3, 2, v33
	s_delay_alu instid0(VALU_DEP_1)
	v_cmp_gt_u32_e32 vcc_lo, s22, v3
	v_mov_b32_e32 v3, 0
	s_and_saveexec_b32 s0, vcc_lo
; %bb.13:
	v_add_nc_u32_e32 v3, s5, v26
	v_add_nc_u32_e32 v5, s7, v26
	s_delay_alu instid0(VALU_DEP_2) | instskip(NEXT) | instid1(VALU_DEP_2)
	v_mul_lo_u32 v3, v3, s4
	v_mul_lo_u32 v5, v5, s6
	s_delay_alu instid0(VALU_DEP_1) | instskip(NEXT) | instid1(VALU_DEP_1)
	v_sub_nc_u32_e32 v3, v3, v5
	v_cmp_lt_u32_e32 vcc_lo, s2, v3
	v_cndmask_b32_e64 v3, 0, 1, vcc_lo
; %bb.14:
	s_or_b32 exec_lo, exec_lo, s0
	v_add_nc_u32_e32 v5, 3, v33
	s_mov_b32 s0, exec_lo
	s_delay_alu instid0(VALU_DEP_1)
	v_cmpx_gt_u32_e64 s22, v5
; %bb.15:
	v_add_nc_u32_e32 v4, s5, v27
	v_add_nc_u32_e32 v5, s7, v27
	s_delay_alu instid0(VALU_DEP_2) | instskip(NEXT) | instid1(VALU_DEP_2)
	v_mul_lo_u32 v4, v4, s4
	v_mul_lo_u32 v5, v5, s6
	s_delay_alu instid0(VALU_DEP_1) | instskip(NEXT) | instid1(VALU_DEP_1)
	v_sub_nc_u32_e32 v4, v4, v5
	v_cmp_lt_u32_e32 vcc_lo, s2, v4
	v_cndmask_b32_e64 v4, 0, 1, vcc_lo
; %bb.16:
	s_or_b32 exec_lo, exec_lo, s0
	v_dual_mov_b32 v6, 0 :: v_dual_add_nc_u32 v5, 4, v33
	s_delay_alu instid0(VALU_DEP_1)
	v_cmp_gt_u32_e32 vcc_lo, s22, v5
	v_mov_b32_e32 v5, 0
	s_and_saveexec_b32 s0, vcc_lo
	;; [unrolled: 33-line block ×5, first 2 shown]
; %bb.29:
	v_add_nc_u32_e32 v11, s5, v18
	v_add_nc_u32_e32 v13, s7, v18
	s_delay_alu instid0(VALU_DEP_2) | instskip(NEXT) | instid1(VALU_DEP_2)
	v_mul_lo_u32 v11, v11, s4
	v_mul_lo_u32 v13, v13, s6
	s_delay_alu instid0(VALU_DEP_1) | instskip(NEXT) | instid1(VALU_DEP_1)
	v_sub_nc_u32_e32 v11, v11, v13
	v_cmp_lt_u32_e32 vcc_lo, s2, v11
	v_cndmask_b32_e64 v11, 0, 1, vcc_lo
; %bb.30:
	s_or_b32 exec_lo, exec_lo, s0
	v_add_nc_u32_e32 v13, 11, v33
	s_mov_b32 s0, exec_lo
	s_delay_alu instid0(VALU_DEP_1)
	v_cmpx_gt_u32_e64 s22, v13
; %bb.31:
	v_add_nc_u32_e32 v12, s5, v19
	v_add_nc_u32_e32 v13, s7, v19
	s_delay_alu instid0(VALU_DEP_2) | instskip(NEXT) | instid1(VALU_DEP_2)
	v_mul_lo_u32 v12, v12, s4
	v_mul_lo_u32 v13, v13, s6
	s_delay_alu instid0(VALU_DEP_1) | instskip(NEXT) | instid1(VALU_DEP_1)
	v_sub_nc_u32_e32 v12, v12, v13
	v_cmp_lt_u32_e32 vcc_lo, s2, v12
	v_cndmask_b32_e64 v12, 0, 1, vcc_lo
; %bb.32:
	s_or_b32 exec_lo, exec_lo, s0
	v_dual_mov_b32 v34, 0 :: v_dual_add_nc_u32 v13, 12, v33
	s_mov_b32 s0, exec_lo
	s_delay_alu instid0(VALU_DEP_1)
	v_cmpx_gt_u32_e64 s22, v13
; %bb.33:
	v_add_nc_u32_e32 v13, s5, v32
	v_add_nc_u32_e32 v14, s7, v32
	s_delay_alu instid0(VALU_DEP_2) | instskip(NEXT) | instid1(VALU_DEP_2)
	v_mul_lo_u32 v13, v13, s4
	v_mul_lo_u32 v14, v14, s6
	s_delay_alu instid0(VALU_DEP_1) | instskip(NEXT) | instid1(VALU_DEP_1)
	v_sub_nc_u32_e32 v13, v13, v14
	v_cmp_lt_u32_e32 vcc_lo, s2, v13
	v_cndmask_b32_e64 v34, 0, 1, vcc_lo
; %bb.34:
	s_or_b32 exec_lo, exec_lo, s0
	v_lshlrev_b16 v2, 8, v2
	v_lshlrev_b16 v4, 8, v4
	v_lshlrev_b16 v6, 8, v6
	v_lshlrev_b16 v8, 8, v8
	v_lshlrev_b16 v10, 8, v10
	v_or_b32_e32 v1, v1, v2
	v_lshlrev_b16 v2, 8, v12
	v_or_b32_e32 v3, v3, v4
	v_or_b32_e32 v4, v5, v6
	;; [unrolled: 1-line block ×5, first 2 shown]
	v_and_b32_e32 v1, 0xffff, v1
	v_lshlrev_b32_e32 v3, 16, v3
	v_and_b32_e32 v4, 0xffff, v4
	v_lshlrev_b32_e32 v5, 16, v5
	v_and_b32_e32 v6, 0xffff, v6
	v_lshlrev_b32_e32 v2, 16, v2
	v_or_b32_e32 v39, v1, v3
	s_delay_alu instid0(VALU_DEP_4) | instskip(NEXT) | instid1(VALU_DEP_3)
	v_or_b32_e32 v37, v4, v5
	v_or_b32_e32 v35, v6, v2
.LBB1816_35:
	s_delay_alu instid0(VALU_DEP_3)
	v_and_b32_e32 v41, 0xff, v39
	v_bfe_u32 v42, v39, 8, 8
	v_bfe_u32 v43, v39, 16, 8
	v_lshrrev_b32_e32 v40, 24, v39
	v_and_b32_e32 v44, 0xff, v37
	v_bfe_u32 v45, v37, 8, 8
	v_bfe_u32 v46, v37, 16, 8
	v_add3_u32 v1, v42, v41, v43
	v_lshrrev_b32_e32 v38, 24, v37
	v_and_b32_e32 v47, 0xff, v35
	v_bfe_u32 v48, v35, 8, 8
	v_mbcnt_lo_u32_b32 v50, -1, 0
	v_add3_u32 v1, v1, v40, v44
	v_bfe_u32 v49, v35, 16, 8
	v_lshrrev_b32_e32 v36, 24, v35
	v_and_b32_e32 v2, 0xff, v34
	v_and_b32_e32 v3, 15, v50
	v_add3_u32 v1, v1, v45, v46
	v_or_b32_e32 v4, 31, v0
	v_and_b32_e32 v5, 16, v50
	v_lshrrev_b32_e32 v51, 5, v0
	v_cmp_eq_u32_e64 s5, 0, v3
	v_add3_u32 v1, v1, v38, v47
	v_cmp_lt_u32_e64 s4, 1, v3
	v_cmp_lt_u32_e64 s3, 3, v3
	;; [unrolled: 1-line block ×3, first 2 shown]
	v_cmp_eq_u32_e64 s1, 0, v5
	v_add3_u32 v1, v1, v48, v49
	v_cmp_eq_u32_e64 s0, v4, v0
	s_cmp_lg_u32 s15, 0
	s_mov_b32 s6, -1
	s_delay_alu instid0(VALU_DEP_2)
	v_add3_u32 v52, v1, v36, v2
	s_cbranch_scc0 .LBB1816_61
; %bb.36:
	s_delay_alu instid0(VALU_DEP_1) | instskip(NEXT) | instid1(VALU_DEP_1)
	v_mov_b32_dpp v1, v52 row_shr:1 row_mask:0xf bank_mask:0xf
	v_cndmask_b32_e64 v1, v1, 0, s5
	s_delay_alu instid0(VALU_DEP_1) | instskip(NEXT) | instid1(VALU_DEP_1)
	v_add_nc_u32_e32 v1, v1, v52
	v_mov_b32_dpp v2, v1 row_shr:2 row_mask:0xf bank_mask:0xf
	s_delay_alu instid0(VALU_DEP_1) | instskip(NEXT) | instid1(VALU_DEP_1)
	v_cndmask_b32_e64 v2, 0, v2, s4
	v_add_nc_u32_e32 v1, v1, v2
	s_delay_alu instid0(VALU_DEP_1) | instskip(NEXT) | instid1(VALU_DEP_1)
	v_mov_b32_dpp v2, v1 row_shr:4 row_mask:0xf bank_mask:0xf
	v_cndmask_b32_e64 v2, 0, v2, s3
	s_delay_alu instid0(VALU_DEP_1) | instskip(NEXT) | instid1(VALU_DEP_1)
	v_add_nc_u32_e32 v1, v1, v2
	v_mov_b32_dpp v2, v1 row_shr:8 row_mask:0xf bank_mask:0xf
	s_delay_alu instid0(VALU_DEP_1) | instskip(NEXT) | instid1(VALU_DEP_1)
	v_cndmask_b32_e64 v2, 0, v2, s2
	v_add_nc_u32_e32 v1, v1, v2
	ds_swizzle_b32 v2, v1 offset:swizzle(BROADCAST,32,15)
	s_waitcnt lgkmcnt(0)
	v_cndmask_b32_e64 v2, v2, 0, s1
	s_delay_alu instid0(VALU_DEP_1)
	v_add_nc_u32_e32 v1, v1, v2
	s_and_saveexec_b32 s6, s0
	s_cbranch_execz .LBB1816_38
; %bb.37:
	v_lshlrev_b32_e32 v2, 2, v51
	ds_store_b32 v2, v1
.LBB1816_38:
	s_or_b32 exec_lo, exec_lo, s6
	s_delay_alu instid0(SALU_CYCLE_1)
	s_mov_b32 s6, exec_lo
	s_waitcnt lgkmcnt(0)
	s_barrier
	buffer_gl0_inv
	v_cmpx_gt_u32_e32 8, v0
	s_cbranch_execz .LBB1816_40
; %bb.39:
	ds_load_b32 v2, v30
	s_waitcnt lgkmcnt(0)
	v_mov_b32_dpp v4, v2 row_shr:1 row_mask:0xf bank_mask:0xf
	v_and_b32_e32 v3, 7, v50
	s_delay_alu instid0(VALU_DEP_1) | instskip(NEXT) | instid1(VALU_DEP_3)
	v_cmp_ne_u32_e32 vcc_lo, 0, v3
	v_cndmask_b32_e32 v4, 0, v4, vcc_lo
	v_cmp_lt_u32_e32 vcc_lo, 1, v3
	s_delay_alu instid0(VALU_DEP_2) | instskip(NEXT) | instid1(VALU_DEP_1)
	v_add_nc_u32_e32 v2, v4, v2
	v_mov_b32_dpp v4, v2 row_shr:2 row_mask:0xf bank_mask:0xf
	s_delay_alu instid0(VALU_DEP_1) | instskip(SKIP_1) | instid1(VALU_DEP_2)
	v_cndmask_b32_e32 v4, 0, v4, vcc_lo
	v_cmp_lt_u32_e32 vcc_lo, 3, v3
	v_add_nc_u32_e32 v2, v2, v4
	s_delay_alu instid0(VALU_DEP_1) | instskip(NEXT) | instid1(VALU_DEP_1)
	v_mov_b32_dpp v4, v2 row_shr:4 row_mask:0xf bank_mask:0xf
	v_cndmask_b32_e32 v3, 0, v4, vcc_lo
	s_delay_alu instid0(VALU_DEP_1)
	v_add_nc_u32_e32 v2, v2, v3
	ds_store_b32 v30, v2
.LBB1816_40:
	s_or_b32 exec_lo, exec_lo, s6
	v_cmp_gt_u32_e32 vcc_lo, 32, v0
	s_mov_b32 s7, exec_lo
	s_waitcnt lgkmcnt(0)
	s_barrier
	buffer_gl0_inv
                                        ; implicit-def: $vgpr8
	v_cmpx_lt_u32_e32 31, v0
	s_cbranch_execz .LBB1816_42
; %bb.41:
	v_lshl_add_u32 v2, v51, 2, -4
	ds_load_b32 v8, v2
	s_waitcnt lgkmcnt(0)
	v_add_nc_u32_e32 v1, v8, v1
.LBB1816_42:
	s_or_b32 exec_lo, exec_lo, s7
	v_add_nc_u32_e32 v2, -1, v50
	s_delay_alu instid0(VALU_DEP_1) | instskip(NEXT) | instid1(VALU_DEP_1)
	v_cmp_gt_i32_e64 s6, 0, v2
	v_cndmask_b32_e64 v2, v2, v50, s6
	v_cmp_eq_u32_e64 s6, 0, v50
	s_delay_alu instid0(VALU_DEP_2)
	v_lshlrev_b32_e32 v2, 2, v2
	ds_bpermute_b32 v9, v2, v1
	s_and_saveexec_b32 s7, vcc_lo
	s_cbranch_execz .LBB1816_60
; %bb.43:
	v_mov_b32_e32 v4, 0
	ds_load_b32 v1, v4 offset:28
	s_and_saveexec_b32 s24, s6
	s_cbranch_execz .LBB1816_45
; %bb.44:
	s_add_i32 s26, s15, 32
	s_mov_b32 s27, 0
	v_mov_b32_e32 v2, 1
	s_lshl_b64 s[26:27], s[26:27], 3
	s_delay_alu instid0(SALU_CYCLE_1)
	s_add_u32 s26, s20, s26
	s_addc_u32 s27, s21, s27
	s_waitcnt lgkmcnt(0)
	global_store_b64 v4, v[1:2], s[26:27]
.LBB1816_45:
	s_or_b32 exec_lo, exec_lo, s24
	v_xad_u32 v2, v50, -1, s15
	s_mov_b32 s25, 0
	s_mov_b32 s24, exec_lo
	s_delay_alu instid0(VALU_DEP_1) | instskip(NEXT) | instid1(VALU_DEP_1)
	v_add_nc_u32_e32 v3, 32, v2
	v_lshlrev_b64 v[3:4], 3, v[3:4]
	s_delay_alu instid0(VALU_DEP_1) | instskip(NEXT) | instid1(VALU_DEP_2)
	v_add_co_u32 v6, vcc_lo, s20, v3
	v_add_co_ci_u32_e32 v7, vcc_lo, s21, v4, vcc_lo
	global_load_b64 v[4:5], v[6:7], off glc
	s_waitcnt vmcnt(0)
	v_and_b32_e32 v3, 0xff, v5
	s_delay_alu instid0(VALU_DEP_1)
	v_cmpx_eq_u16_e32 0, v3
	s_cbranch_execz .LBB1816_48
.LBB1816_46:                            ; =>This Inner Loop Header: Depth=1
	global_load_b64 v[4:5], v[6:7], off glc
	s_waitcnt vmcnt(0)
	v_and_b32_e32 v3, 0xff, v5
	s_delay_alu instid0(VALU_DEP_1) | instskip(SKIP_1) | instid1(SALU_CYCLE_1)
	v_cmp_ne_u16_e32 vcc_lo, 0, v3
	s_or_b32 s25, vcc_lo, s25
	s_and_not1_b32 exec_lo, exec_lo, s25
	s_cbranch_execnz .LBB1816_46
; %bb.47:
	s_or_b32 exec_lo, exec_lo, s25
.LBB1816_48:
	s_delay_alu instid0(SALU_CYCLE_1)
	s_or_b32 exec_lo, exec_lo, s24
	v_cmp_ne_u32_e32 vcc_lo, 31, v50
	v_lshlrev_b32_e64 v11, v50, -1
	v_add_nc_u32_e32 v13, 2, v50
	v_add_nc_u32_e32 v16, 4, v50
	;; [unrolled: 1-line block ×3, first 2 shown]
	v_add_co_ci_u32_e32 v3, vcc_lo, 0, v50, vcc_lo
	v_add_nc_u32_e32 v55, 16, v50
	s_delay_alu instid0(VALU_DEP_2) | instskip(SKIP_2) | instid1(VALU_DEP_1)
	v_lshlrev_b32_e32 v10, 2, v3
	ds_bpermute_b32 v6, v10, v4
	v_and_b32_e32 v3, 0xff, v5
	v_cmp_eq_u16_e32 vcc_lo, 2, v3
	v_and_or_b32 v3, vcc_lo, v11, 0x80000000
	v_cmp_gt_u32_e32 vcc_lo, 30, v50
	s_delay_alu instid0(VALU_DEP_2) | instskip(SKIP_1) | instid1(VALU_DEP_2)
	v_ctz_i32_b32_e32 v3, v3
	v_cndmask_b32_e64 v7, 0, 1, vcc_lo
	v_cmp_lt_u32_e32 vcc_lo, v50, v3
	s_waitcnt lgkmcnt(0)
	s_delay_alu instid0(VALU_DEP_2) | instskip(NEXT) | instid1(VALU_DEP_1)
	v_dual_cndmask_b32 v6, 0, v6 :: v_dual_lshlrev_b32 v7, 1, v7
	v_add_lshl_u32 v12, v7, v50, 2
	v_cmp_gt_u32_e32 vcc_lo, 28, v50
	s_delay_alu instid0(VALU_DEP_3) | instskip(SKIP_4) | instid1(VALU_DEP_1)
	v_add_nc_u32_e32 v4, v6, v4
	v_cndmask_b32_e64 v7, 0, 1, vcc_lo
	v_cmp_le_u32_e32 vcc_lo, v13, v3
	ds_bpermute_b32 v6, v12, v4
	v_lshlrev_b32_e32 v7, 2, v7
	v_add_lshl_u32 v14, v7, v50, 2
	s_waitcnt lgkmcnt(0)
	v_cndmask_b32_e32 v6, 0, v6, vcc_lo
	v_cmp_gt_u32_e32 vcc_lo, 24, v50
	s_delay_alu instid0(VALU_DEP_2) | instskip(SKIP_4) | instid1(VALU_DEP_1)
	v_add_nc_u32_e32 v4, v4, v6
	v_cndmask_b32_e64 v7, 0, 1, vcc_lo
	v_cmp_le_u32_e32 vcc_lo, v16, v3
	ds_bpermute_b32 v6, v14, v4
	v_lshlrev_b32_e32 v7, 3, v7
	v_add_lshl_u32 v17, v7, v50, 2
	s_waitcnt lgkmcnt(0)
	v_cndmask_b32_e32 v6, 0, v6, vcc_lo
	v_cmp_gt_u32_e32 vcc_lo, 16, v50
	s_delay_alu instid0(VALU_DEP_2) | instskip(SKIP_4) | instid1(VALU_DEP_1)
	v_add_nc_u32_e32 v4, v4, v6
	v_cndmask_b32_e64 v7, 0, 1, vcc_lo
	v_cmp_le_u32_e32 vcc_lo, v53, v3
	ds_bpermute_b32 v6, v17, v4
	v_lshlrev_b32_e32 v7, 4, v7
	v_add_lshl_u32 v54, v7, v50, 2
	s_waitcnt lgkmcnt(0)
	v_cndmask_b32_e32 v6, 0, v6, vcc_lo
	v_cmp_le_u32_e32 vcc_lo, v55, v3
	s_delay_alu instid0(VALU_DEP_2) | instskip(SKIP_3) | instid1(VALU_DEP_1)
	v_add_nc_u32_e32 v4, v4, v6
	ds_bpermute_b32 v6, v54, v4
	s_waitcnt lgkmcnt(0)
	v_cndmask_b32_e32 v3, 0, v6, vcc_lo
	v_dual_mov_b32 v3, 0 :: v_dual_add_nc_u32 v4, v4, v3
	s_branch .LBB1816_50
.LBB1816_49:                            ;   in Loop: Header=BB1816_50 Depth=1
	s_or_b32 exec_lo, exec_lo, s24
	ds_bpermute_b32 v7, v10, v4
	v_and_b32_e32 v6, 0xff, v5
	v_subrev_nc_u32_e32 v2, 32, v2
	s_delay_alu instid0(VALU_DEP_2) | instskip(SKIP_1) | instid1(VALU_DEP_1)
	v_cmp_eq_u16_e32 vcc_lo, 2, v6
	v_and_or_b32 v6, vcc_lo, v11, 0x80000000
	v_ctz_i32_b32_e32 v6, v6
	s_delay_alu instid0(VALU_DEP_1) | instskip(SKIP_3) | instid1(VALU_DEP_2)
	v_cmp_lt_u32_e32 vcc_lo, v50, v6
	s_waitcnt lgkmcnt(0)
	v_cndmask_b32_e32 v7, 0, v7, vcc_lo
	v_cmp_le_u32_e32 vcc_lo, v13, v6
	v_add_nc_u32_e32 v4, v7, v4
	ds_bpermute_b32 v7, v12, v4
	s_waitcnt lgkmcnt(0)
	v_cndmask_b32_e32 v7, 0, v7, vcc_lo
	v_cmp_le_u32_e32 vcc_lo, v16, v6
	s_delay_alu instid0(VALU_DEP_2) | instskip(SKIP_4) | instid1(VALU_DEP_2)
	v_add_nc_u32_e32 v4, v4, v7
	ds_bpermute_b32 v7, v14, v4
	s_waitcnt lgkmcnt(0)
	v_cndmask_b32_e32 v7, 0, v7, vcc_lo
	v_cmp_le_u32_e32 vcc_lo, v53, v6
	v_add_nc_u32_e32 v4, v4, v7
	ds_bpermute_b32 v7, v17, v4
	s_waitcnt lgkmcnt(0)
	v_cndmask_b32_e32 v7, 0, v7, vcc_lo
	v_cmp_le_u32_e32 vcc_lo, v55, v6
	s_delay_alu instid0(VALU_DEP_2) | instskip(SKIP_3) | instid1(VALU_DEP_1)
	v_add_nc_u32_e32 v4, v4, v7
	ds_bpermute_b32 v7, v54, v4
	s_waitcnt lgkmcnt(0)
	v_cndmask_b32_e32 v6, 0, v7, vcc_lo
	v_add3_u32 v4, v6, v15, v4
.LBB1816_50:                            ; =>This Loop Header: Depth=1
                                        ;     Child Loop BB1816_53 Depth 2
	v_and_b32_e32 v5, 0xff, v5
	s_delay_alu instid0(VALU_DEP_2) | instskip(NEXT) | instid1(VALU_DEP_2)
	v_mov_b32_e32 v15, v4
	v_cmp_ne_u16_e32 vcc_lo, 2, v5
	v_cndmask_b32_e64 v5, 0, 1, vcc_lo
	;;#ASMSTART
	;;#ASMEND
	s_delay_alu instid0(VALU_DEP_1)
	v_cmp_ne_u32_e32 vcc_lo, 0, v5
	s_cmp_lg_u32 vcc_lo, exec_lo
	s_cbranch_scc1 .LBB1816_55
; %bb.51:                               ;   in Loop: Header=BB1816_50 Depth=1
	v_lshlrev_b64 v[4:5], 3, v[2:3]
	s_mov_b32 s24, exec_lo
	s_delay_alu instid0(VALU_DEP_1) | instskip(NEXT) | instid1(VALU_DEP_2)
	v_add_co_u32 v6, vcc_lo, s20, v4
	v_add_co_ci_u32_e32 v7, vcc_lo, s21, v5, vcc_lo
	global_load_b64 v[4:5], v[6:7], off glc
	s_waitcnt vmcnt(0)
	v_and_b32_e32 v56, 0xff, v5
	s_delay_alu instid0(VALU_DEP_1)
	v_cmpx_eq_u16_e32 0, v56
	s_cbranch_execz .LBB1816_49
; %bb.52:                               ;   in Loop: Header=BB1816_50 Depth=1
	s_mov_b32 s25, 0
.LBB1816_53:                            ;   Parent Loop BB1816_50 Depth=1
                                        ; =>  This Inner Loop Header: Depth=2
	global_load_b64 v[4:5], v[6:7], off glc
	s_waitcnt vmcnt(0)
	v_and_b32_e32 v56, 0xff, v5
	s_delay_alu instid0(VALU_DEP_1) | instskip(SKIP_1) | instid1(SALU_CYCLE_1)
	v_cmp_ne_u16_e32 vcc_lo, 0, v56
	s_or_b32 s25, vcc_lo, s25
	s_and_not1_b32 exec_lo, exec_lo, s25
	s_cbranch_execnz .LBB1816_53
; %bb.54:                               ;   in Loop: Header=BB1816_50 Depth=1
	s_or_b32 exec_lo, exec_lo, s25
	s_branch .LBB1816_49
.LBB1816_55:                            ;   in Loop: Header=BB1816_50 Depth=1
                                        ; implicit-def: $vgpr4
                                        ; implicit-def: $vgpr5
	s_cbranch_execz .LBB1816_50
; %bb.56:
	s_and_saveexec_b32 s24, s6
	s_cbranch_execz .LBB1816_58
; %bb.57:
	s_add_i32 s26, s15, 32
	s_mov_b32 s27, 0
	v_dual_mov_b32 v3, 2 :: v_dual_add_nc_u32 v2, v15, v1
	s_lshl_b64 s[26:27], s[26:27], 3
	v_mov_b32_e32 v4, 0
	v_add_nc_u32_e64 v5, 0x3400, 0
	s_add_u32 s26, s20, s26
	s_addc_u32 s27, s21, s27
	global_store_b64 v4, v[2:3], s[26:27]
	ds_store_2addr_b32 v5, v1, v15 offset1:2
.LBB1816_58:
	s_or_b32 exec_lo, exec_lo, s24
	v_cmp_eq_u32_e32 vcc_lo, 0, v0
	s_and_b32 exec_lo, exec_lo, vcc_lo
	s_cbranch_execz .LBB1816_60
; %bb.59:
	v_mov_b32_e32 v1, 0
	ds_store_b32 v1, v15 offset:28
.LBB1816_60:
	s_or_b32 exec_lo, exec_lo, s7
	s_waitcnt lgkmcnt(0)
	v_cndmask_b32_e64 v2, v9, v8, s6
	v_cmp_ne_u32_e32 vcc_lo, 0, v0
	v_mov_b32_e32 v1, 0
	s_waitcnt_vscnt null, 0x0
	s_barrier
	buffer_gl0_inv
	v_cndmask_b32_e32 v2, 0, v2, vcc_lo
	ds_load_b32 v1, v1 offset:28
	v_add_nc_u32_e64 v11, 0x3400, 0
	s_waitcnt lgkmcnt(0)
	s_barrier
	buffer_gl0_inv
	ds_load_2addr_b32 v[16:17], v11 offset1:2
	v_add_nc_u32_e32 v1, v1, v2
	s_delay_alu instid0(VALU_DEP_1) | instskip(NEXT) | instid1(VALU_DEP_1)
	v_add_nc_u32_e32 v2, v1, v41
	v_add_nc_u32_e32 v3, v2, v42
	s_delay_alu instid0(VALU_DEP_1) | instskip(NEXT) | instid1(VALU_DEP_1)
	v_add_nc_u32_e32 v4, v3, v43
	;; [unrolled: 3-line block ×6, first 2 shown]
	v_add_nc_u32_e32 v13, v12, v36
	s_branch .LBB1816_71
.LBB1816_61:
                                        ; implicit-def: $vgpr17
                                        ; implicit-def: $vgpr1_vgpr2_vgpr3_vgpr4_vgpr5_vgpr6_vgpr7_vgpr8_vgpr9_vgpr10_vgpr11_vgpr12_vgpr13_vgpr14_vgpr15_vgpr16
	s_and_b32 vcc_lo, exec_lo, s6
	s_cbranch_vccz .LBB1816_71
; %bb.62:
	s_delay_alu instid0(VALU_DEP_1) | instskip(NEXT) | instid1(VALU_DEP_1)
	v_mov_b32_dpp v1, v52 row_shr:1 row_mask:0xf bank_mask:0xf
	v_cndmask_b32_e64 v1, v1, 0, s5
	s_delay_alu instid0(VALU_DEP_1) | instskip(NEXT) | instid1(VALU_DEP_1)
	v_add_nc_u32_e32 v1, v1, v52
	v_mov_b32_dpp v2, v1 row_shr:2 row_mask:0xf bank_mask:0xf
	s_delay_alu instid0(VALU_DEP_1) | instskip(NEXT) | instid1(VALU_DEP_1)
	v_cndmask_b32_e64 v2, 0, v2, s4
	v_add_nc_u32_e32 v1, v1, v2
	s_delay_alu instid0(VALU_DEP_1) | instskip(NEXT) | instid1(VALU_DEP_1)
	v_mov_b32_dpp v2, v1 row_shr:4 row_mask:0xf bank_mask:0xf
	v_cndmask_b32_e64 v2, 0, v2, s3
	s_delay_alu instid0(VALU_DEP_1) | instskip(NEXT) | instid1(VALU_DEP_1)
	v_add_nc_u32_e32 v1, v1, v2
	v_mov_b32_dpp v2, v1 row_shr:8 row_mask:0xf bank_mask:0xf
	s_delay_alu instid0(VALU_DEP_1) | instskip(NEXT) | instid1(VALU_DEP_1)
	v_cndmask_b32_e64 v2, 0, v2, s2
	v_add_nc_u32_e32 v1, v1, v2
	ds_swizzle_b32 v2, v1 offset:swizzle(BROADCAST,32,15)
	s_waitcnt lgkmcnt(0)
	v_cndmask_b32_e64 v2, v2, 0, s1
	s_delay_alu instid0(VALU_DEP_1)
	v_add_nc_u32_e32 v1, v1, v2
	s_and_saveexec_b32 s1, s0
	s_cbranch_execz .LBB1816_64
; %bb.63:
	v_lshlrev_b32_e32 v2, 2, v51
	ds_store_b32 v2, v1
.LBB1816_64:
	s_or_b32 exec_lo, exec_lo, s1
	s_delay_alu instid0(SALU_CYCLE_1)
	s_mov_b32 s0, exec_lo
	s_waitcnt lgkmcnt(0)
	s_barrier
	buffer_gl0_inv
	v_cmpx_gt_u32_e32 8, v0
	s_cbranch_execz .LBB1816_66
; %bb.65:
	ds_load_b32 v2, v30
	s_waitcnt lgkmcnt(0)
	v_mov_b32_dpp v4, v2 row_shr:1 row_mask:0xf bank_mask:0xf
	v_and_b32_e32 v3, 7, v50
	s_delay_alu instid0(VALU_DEP_1) | instskip(NEXT) | instid1(VALU_DEP_3)
	v_cmp_ne_u32_e32 vcc_lo, 0, v3
	v_cndmask_b32_e32 v4, 0, v4, vcc_lo
	v_cmp_lt_u32_e32 vcc_lo, 1, v3
	s_delay_alu instid0(VALU_DEP_2) | instskip(NEXT) | instid1(VALU_DEP_1)
	v_add_nc_u32_e32 v2, v4, v2
	v_mov_b32_dpp v4, v2 row_shr:2 row_mask:0xf bank_mask:0xf
	s_delay_alu instid0(VALU_DEP_1) | instskip(SKIP_1) | instid1(VALU_DEP_2)
	v_cndmask_b32_e32 v4, 0, v4, vcc_lo
	v_cmp_lt_u32_e32 vcc_lo, 3, v3
	v_add_nc_u32_e32 v2, v2, v4
	s_delay_alu instid0(VALU_DEP_1) | instskip(NEXT) | instid1(VALU_DEP_1)
	v_mov_b32_dpp v4, v2 row_shr:4 row_mask:0xf bank_mask:0xf
	v_cndmask_b32_e32 v3, 0, v4, vcc_lo
	s_delay_alu instid0(VALU_DEP_1)
	v_add_nc_u32_e32 v2, v2, v3
	ds_store_b32 v30, v2
.LBB1816_66:
	s_or_b32 exec_lo, exec_lo, s0
	v_dual_mov_b32 v3, 0 :: v_dual_mov_b32 v2, 0
	s_mov_b32 s0, exec_lo
	s_waitcnt lgkmcnt(0)
	s_barrier
	buffer_gl0_inv
	v_cmpx_lt_u32_e32 31, v0
	s_cbranch_execz .LBB1816_68
; %bb.67:
	v_lshl_add_u32 v2, v51, 2, -4
	ds_load_b32 v2, v2
.LBB1816_68:
	s_or_b32 exec_lo, exec_lo, s0
	v_add_nc_u32_e32 v4, -1, v50
	ds_load_b32 v16, v3 offset:28
	s_waitcnt lgkmcnt(1)
	v_add_nc_u32_e32 v1, v2, v1
	v_cmp_gt_i32_e32 vcc_lo, 0, v4
	v_cndmask_b32_e32 v4, v4, v50, vcc_lo
	v_cmp_eq_u32_e32 vcc_lo, 0, v0
	s_delay_alu instid0(VALU_DEP_2)
	v_lshlrev_b32_e32 v4, 2, v4
	ds_bpermute_b32 v1, v4, v1
	s_and_saveexec_b32 s0, vcc_lo
	s_cbranch_execz .LBB1816_70
; %bb.69:
	v_mov_b32_e32 v3, 0
	v_mov_b32_e32 v17, 2
	s_waitcnt lgkmcnt(1)
	global_store_b64 v3, v[16:17], s[20:21] offset:256
.LBB1816_70:
	s_or_b32 exec_lo, exec_lo, s0
	v_cmp_eq_u32_e64 s0, 0, v50
	s_waitcnt lgkmcnt(0)
	s_waitcnt_vscnt null, 0x0
	s_barrier
	buffer_gl0_inv
	v_mov_b32_e32 v17, 0
	v_cndmask_b32_e64 v1, v1, v2, s0
	s_delay_alu instid0(VALU_DEP_1) | instskip(NEXT) | instid1(VALU_DEP_1)
	v_cndmask_b32_e64 v1, v1, 0, vcc_lo
	v_add_nc_u32_e32 v2, v1, v41
	s_delay_alu instid0(VALU_DEP_1) | instskip(NEXT) | instid1(VALU_DEP_1)
	v_add_nc_u32_e32 v3, v2, v42
	v_add_nc_u32_e32 v4, v3, v43
	s_delay_alu instid0(VALU_DEP_1) | instskip(NEXT) | instid1(VALU_DEP_1)
	v_add_nc_u32_e32 v5, v4, v40
	;; [unrolled: 3-line block ×5, first 2 shown]
	v_add_nc_u32_e32 v12, v11, v49
	s_delay_alu instid0(VALU_DEP_1)
	v_add_nc_u32_e32 v13, v12, v36
.LBB1816_71:
	v_lshrrev_b32_e32 v44, 8, v39
	v_lshrrev_b32_e32 v43, 16, v39
	s_waitcnt lgkmcnt(0)
	v_sub_nc_u32_e32 v1, v1, v17
	v_and_b32_e32 v39, 1, v39
	v_sub_nc_u32_e32 v3, v3, v17
	v_add_nc_u32_e32 v33, v16, v33
	v_sub_nc_u32_e32 v2, v2, v17
	v_sub_nc_u32_e32 v4, v4, v17
	v_cmp_eq_u32_e32 vcc_lo, 1, v39
	v_and_b32_e32 v39, 1, v43
	v_sub_nc_u32_e32 v45, v33, v1
	v_and_b32_e32 v44, 1, v44
	v_sub_nc_u32_e32 v43, v33, v2
	v_lshrrev_b32_e32 v42, 8, v37
	v_lshrrev_b32_e32 v41, 16, v37
	v_cndmask_b32_e32 v1, v45, v1, vcc_lo
	v_sub_nc_u32_e32 v45, v33, v3
	v_add_nc_u32_e32 v43, 1, v43
	v_cmp_eq_u32_e32 vcc_lo, 1, v44
	v_and_b32_e32 v40, 1, v40
	v_lshlrev_b32_e32 v1, 2, v1
	v_add_nc_u32_e32 v45, 2, v45
	v_lshrrev_b32_e32 v15, 8, v35
	v_lshrrev_b32_e32 v14, 16, v35
	ds_store_b32 v1, v28
	v_cndmask_b32_e32 v1, v43, v2, vcc_lo
	v_cmp_eq_u32_e32 vcc_lo, 1, v39
	v_or_b32_e32 v28, 0x500, v0
	s_delay_alu instid0(VALU_DEP_3)
	v_dual_cndmask_b32 v2, v45, v3 :: v_dual_lshlrev_b32 v1, 2, v1
	v_sub_nc_u32_e32 v46, v33, v4
	v_cmp_eq_u32_e32 vcc_lo, 1, v40
	ds_store_b32 v1, v29
	v_lshlrev_b32_e32 v2, 2, v2
	v_add_nc_u32_e32 v46, 3, v46
	v_or_b32_e32 v29, 0x400, v0
	s_delay_alu instid0(VALU_DEP_2) | instskip(SKIP_2) | instid1(VALU_DEP_3)
	v_cndmask_b32_e32 v3, v46, v4, vcc_lo
	v_sub_nc_u32_e32 v4, v5, v17
	v_sub_nc_u32_e32 v5, v6, v17
	v_lshlrev_b32_e32 v3, 2, v3
	s_delay_alu instid0(VALU_DEP_3) | instskip(NEXT) | instid1(VALU_DEP_3)
	v_sub_nc_u32_e32 v1, v33, v4
	v_sub_nc_u32_e32 v6, v33, v5
	ds_store_b32 v2, v26
	ds_store_b32 v3, v27
	v_and_b32_e32 v2, 1, v37
	v_add_nc_u32_e32 v1, 4, v1
	v_add_nc_u32_e32 v3, 5, v6
	v_sub_nc_u32_e32 v6, v7, v17
	v_and_b32_e32 v7, 1, v42
	v_cmp_eq_u32_e32 vcc_lo, 1, v2
	v_sub_nc_u32_e32 v2, v8, v17
	v_and_b32_e32 v8, 1, v38
	v_or_b32_e32 v27, 0x600, v0
	v_or_b32_e32 v26, 0x700, v0
	v_cndmask_b32_e32 v1, v1, v4, vcc_lo
	v_sub_nc_u32_e32 v4, v33, v6
	v_cmp_eq_u32_e32 vcc_lo, 1, v7
	v_and_b32_e32 v7, 1, v41
	s_delay_alu instid0(VALU_DEP_4) | instskip(NEXT) | instid1(VALU_DEP_4)
	v_lshlrev_b32_e32 v1, 2, v1
	v_dual_cndmask_b32 v3, v3, v5 :: v_dual_add_nc_u32 v4, 6, v4
	v_sub_nc_u32_e32 v5, v33, v2
	s_delay_alu instid0(VALU_DEP_4) | instskip(SKIP_1) | instid1(VALU_DEP_4)
	v_cmp_eq_u32_e32 vcc_lo, 1, v7
	v_sub_nc_u32_e32 v7, v13, v17
	v_lshlrev_b32_e32 v3, 2, v3
	s_delay_alu instid0(VALU_DEP_4)
	v_dual_cndmask_b32 v4, v4, v6 :: v_dual_add_nc_u32 v5, 7, v5
	v_cmp_eq_u32_e32 vcc_lo, 1, v8
	v_sub_nc_u32_e32 v6, v9, v17
	ds_store_b32 v1, v24
	ds_store_b32 v3, v25
	v_or_b32_e32 v25, 0x800, v0
	v_dual_cndmask_b32 v2, v5, v2 :: v_dual_lshlrev_b32 v3, 2, v4
	v_and_b32_e32 v5, 1, v35
	v_sub_nc_u32_e32 v1, v33, v6
	v_sub_nc_u32_e32 v4, v10, v17
	v_and_b32_e32 v10, 1, v36
	v_or_b32_e32 v24, 0x900, v0
	v_cmp_eq_u32_e32 vcc_lo, 1, v5
	v_sub_nc_u32_e32 v5, v12, v17
	v_add_nc_u32_e32 v1, 8, v1
	s_delay_alu instid0(VALU_DEP_2) | instskip(NEXT) | instid1(VALU_DEP_2)
	v_sub_nc_u32_e32 v9, v33, v5
	v_dual_cndmask_b32 v1, v1, v6 :: v_dual_and_b32 v6, 1, v15
	v_add_co_u32 v15, s0, s18, v17
	s_delay_alu instid0(VALU_DEP_3)
	v_add_nc_u32_e32 v9, 11, v9
	v_lshlrev_b32_e32 v2, 2, v2
	ds_store_b32 v3, v22
	ds_store_b32 v2, v23
	v_sub_nc_u32_e32 v3, v11, v17
	v_sub_nc_u32_e32 v2, v33, v4
	v_cmp_eq_u32_e32 vcc_lo, 1, v6
	v_and_b32_e32 v11, 1, v34
	v_lshlrev_b32_e32 v1, 2, v1
	v_sub_nc_u32_e32 v8, v33, v3
	v_add_nc_u32_e32 v2, 9, v2
	v_add_co_ci_u32_e64 v17, null, s19, 0, s0
	s_add_u32 s0, s16, s23
	s_delay_alu instid0(VALU_DEP_3)
	v_add_nc_u32_e32 v6, 10, v8
	v_and_b32_e32 v8, 1, v14
	v_cndmask_b32_e32 v2, v2, v4, vcc_lo
	v_sub_nc_u32_e32 v4, v33, v7
	s_addc_u32 s1, s17, 0
	s_sub_u32 s0, s12, s0
	v_cmp_eq_u32_e32 vcc_lo, 1, v8
	v_lshlrev_b32_e32 v2, 2, v2
	v_add_nc_u32_e32 v4, 12, v4
	s_subb_u32 s1, s13, s1
	v_add_co_u32 v13, s0, s0, v16
	v_cndmask_b32_e32 v3, v6, v3, vcc_lo
	v_cmp_eq_u32_e32 vcc_lo, 1, v10
	v_add_co_ci_u32_e64 v14, null, s1, 0, s0
	v_or_b32_e32 v34, 0x100, v0
	s_delay_alu instid0(VALU_DEP_4)
	v_lshlrev_b32_e32 v3, 2, v3
	v_cndmask_b32_e32 v5, v9, v5, vcc_lo
	v_cmp_eq_u32_e32 vcc_lo, 1, v11
	v_or_b32_e32 v33, 0x200, v0
	v_or_b32_e32 v23, 0xa00, v0
	v_or_b32_e32 v22, 0xb00, v0
	v_dual_cndmask_b32 v4, v4, v7 :: v_dual_lshlrev_b32 v5, 2, v5
	v_cmp_ne_u32_e32 vcc_lo, 1, v31
	s_delay_alu instid0(VALU_DEP_2)
	v_lshlrev_b32_e32 v4, 2, v4
	ds_store_b32 v1, v20
	ds_store_b32 v2, v21
	ds_store_b32 v3, v18
	ds_store_b32 v5, v19
	ds_store_b32 v4, v32
	s_waitcnt lgkmcnt(0)
	s_barrier
	buffer_gl0_inv
	ds_load_2addr_stride64_b32 v[11:12], v30 offset1:4
	ds_load_2addr_stride64_b32 v[9:10], v30 offset0:8 offset1:12
	ds_load_2addr_stride64_b32 v[7:8], v30 offset0:16 offset1:20
	;; [unrolled: 1-line block ×5, first 2 shown]
	ds_load_b32 v18, v30 offset:12288
	v_add_co_u32 v20, s0, v13, v15
	v_or_b32_e32 v32, 0x300, v0
	v_or_b32_e32 v19, 0xc00, v0
	v_add_co_ci_u32_e64 v21, s0, v14, v17, s0
	s_mov_b32 s0, 0
	s_cbranch_vccnz .LBB1816_125
; %bb.72:
	s_mov_b32 s0, exec_lo
                                        ; implicit-def: $vgpr13_vgpr14
	v_cmpx_ge_u32_e64 v0, v16
	s_xor_b32 s0, exec_lo, s0
; %bb.73:
	v_not_b32_e32 v13, v0
	s_delay_alu instid0(VALU_DEP_1) | instskip(SKIP_1) | instid1(VALU_DEP_2)
	v_ashrrev_i32_e32 v14, 31, v13
	v_add_co_u32 v13, vcc_lo, v20, v13
	v_add_co_ci_u32_e32 v14, vcc_lo, v21, v14, vcc_lo
; %bb.74:
	s_and_not1_saveexec_b32 s0, s0
; %bb.75:
	v_add_co_u32 v13, vcc_lo, v15, v0
	v_add_co_ci_u32_e32 v14, vcc_lo, 0, v17, vcc_lo
; %bb.76:
	s_or_b32 exec_lo, exec_lo, s0
	s_delay_alu instid0(VALU_DEP_1) | instskip(SKIP_1) | instid1(VALU_DEP_1)
	v_lshlrev_b64 v[13:14], 2, v[13:14]
	s_mov_b32 s0, exec_lo
	v_add_co_u32 v13, vcc_lo, s10, v13
	s_delay_alu instid0(VALU_DEP_2)
	v_add_co_ci_u32_e32 v14, vcc_lo, s11, v14, vcc_lo
	s_waitcnt lgkmcnt(6)
	global_store_b32 v[13:14], v11, off
                                        ; implicit-def: $vgpr13_vgpr14
	v_cmpx_ge_u32_e64 v34, v16
	s_xor_b32 s0, exec_lo, s0
; %bb.77:
	v_xor_b32_e32 v13, 0xfffffeff, v0
	s_delay_alu instid0(VALU_DEP_1) | instskip(SKIP_1) | instid1(VALU_DEP_2)
	v_ashrrev_i32_e32 v14, 31, v13
	v_add_co_u32 v13, vcc_lo, v20, v13
	v_add_co_ci_u32_e32 v14, vcc_lo, v21, v14, vcc_lo
; %bb.78:
	s_and_not1_saveexec_b32 s0, s0
; %bb.79:
	v_add_co_u32 v13, vcc_lo, v15, v34
	v_add_co_ci_u32_e32 v14, vcc_lo, 0, v17, vcc_lo
; %bb.80:
	s_or_b32 exec_lo, exec_lo, s0
	s_delay_alu instid0(VALU_DEP_1) | instskip(SKIP_1) | instid1(VALU_DEP_1)
	v_lshlrev_b64 v[13:14], 2, v[13:14]
	s_mov_b32 s0, exec_lo
	v_add_co_u32 v13, vcc_lo, s10, v13
	s_delay_alu instid0(VALU_DEP_2)
	v_add_co_ci_u32_e32 v14, vcc_lo, s11, v14, vcc_lo
	global_store_b32 v[13:14], v12, off
                                        ; implicit-def: $vgpr13_vgpr14
	v_cmpx_ge_u32_e64 v33, v16
	s_xor_b32 s0, exec_lo, s0
; %bb.81:
	v_xor_b32_e32 v13, 0xfffffdff, v0
	s_delay_alu instid0(VALU_DEP_1) | instskip(SKIP_1) | instid1(VALU_DEP_2)
	v_ashrrev_i32_e32 v14, 31, v13
	v_add_co_u32 v13, vcc_lo, v20, v13
	v_add_co_ci_u32_e32 v14, vcc_lo, v21, v14, vcc_lo
; %bb.82:
	s_and_not1_saveexec_b32 s0, s0
; %bb.83:
	v_add_co_u32 v13, vcc_lo, v15, v33
	v_add_co_ci_u32_e32 v14, vcc_lo, 0, v17, vcc_lo
; %bb.84:
	s_or_b32 exec_lo, exec_lo, s0
	s_delay_alu instid0(VALU_DEP_1) | instskip(SKIP_1) | instid1(VALU_DEP_1)
	v_lshlrev_b64 v[13:14], 2, v[13:14]
	s_mov_b32 s0, exec_lo
	v_add_co_u32 v13, vcc_lo, s10, v13
	s_delay_alu instid0(VALU_DEP_2)
	v_add_co_ci_u32_e32 v14, vcc_lo, s11, v14, vcc_lo
	s_waitcnt lgkmcnt(5)
	global_store_b32 v[13:14], v9, off
                                        ; implicit-def: $vgpr13_vgpr14
	v_cmpx_ge_u32_e64 v32, v16
	s_xor_b32 s0, exec_lo, s0
; %bb.85:
	v_xor_b32_e32 v13, 0xfffffcff, v0
	s_delay_alu instid0(VALU_DEP_1) | instskip(SKIP_1) | instid1(VALU_DEP_2)
	v_ashrrev_i32_e32 v14, 31, v13
	v_add_co_u32 v13, vcc_lo, v20, v13
	v_add_co_ci_u32_e32 v14, vcc_lo, v21, v14, vcc_lo
; %bb.86:
	s_and_not1_saveexec_b32 s0, s0
; %bb.87:
	v_add_co_u32 v13, vcc_lo, v15, v32
	v_add_co_ci_u32_e32 v14, vcc_lo, 0, v17, vcc_lo
; %bb.88:
	s_or_b32 exec_lo, exec_lo, s0
	s_delay_alu instid0(VALU_DEP_1) | instskip(SKIP_1) | instid1(VALU_DEP_1)
	v_lshlrev_b64 v[13:14], 2, v[13:14]
	s_mov_b32 s0, exec_lo
	v_add_co_u32 v13, vcc_lo, s10, v13
	s_delay_alu instid0(VALU_DEP_2)
	v_add_co_ci_u32_e32 v14, vcc_lo, s11, v14, vcc_lo
	global_store_b32 v[13:14], v10, off
                                        ; implicit-def: $vgpr13_vgpr14
	v_cmpx_ge_u32_e64 v29, v16
	s_xor_b32 s0, exec_lo, s0
; %bb.89:
	v_xor_b32_e32 v13, 0xfffffbff, v0
	;; [unrolled: 47-line block ×6, first 2 shown]
	s_delay_alu instid0(VALU_DEP_1) | instskip(SKIP_1) | instid1(VALU_DEP_2)
	v_ashrrev_i32_e32 v14, 31, v13
	v_add_co_u32 v13, vcc_lo, v20, v13
	v_add_co_ci_u32_e32 v14, vcc_lo, v21, v14, vcc_lo
; %bb.122:
	s_and_not1_saveexec_b32 s0, s0
; %bb.123:
	v_add_co_u32 v13, vcc_lo, v15, v19
	v_add_co_ci_u32_e32 v14, vcc_lo, 0, v17, vcc_lo
; %bb.124:
	s_or_b32 exec_lo, exec_lo, s0
	s_mov_b32 s0, -1
	s_branch .LBB1816_205
.LBB1816_125:
                                        ; implicit-def: $vgpr13_vgpr14
	s_cbranch_execz .LBB1816_205
; %bb.126:
	s_mov_b32 s1, exec_lo
	v_cmpx_gt_u32_e64 s22, v0
	s_cbranch_execz .LBB1816_162
; %bb.127:
	s_mov_b32 s2, exec_lo
                                        ; implicit-def: $vgpr13_vgpr14
	v_cmpx_ge_u32_e64 v0, v16
	s_xor_b32 s2, exec_lo, s2
; %bb.128:
	v_not_b32_e32 v13, v0
	s_delay_alu instid0(VALU_DEP_1) | instskip(SKIP_1) | instid1(VALU_DEP_2)
	v_ashrrev_i32_e32 v14, 31, v13
	v_add_co_u32 v13, vcc_lo, v20, v13
	v_add_co_ci_u32_e32 v14, vcc_lo, v21, v14, vcc_lo
; %bb.129:
	s_and_not1_saveexec_b32 s2, s2
; %bb.130:
	v_add_co_u32 v13, vcc_lo, v15, v0
	v_add_co_ci_u32_e32 v14, vcc_lo, 0, v17, vcc_lo
; %bb.131:
	s_or_b32 exec_lo, exec_lo, s2
	s_delay_alu instid0(VALU_DEP_1) | instskip(NEXT) | instid1(VALU_DEP_1)
	v_lshlrev_b64 v[13:14], 2, v[13:14]
	v_add_co_u32 v13, vcc_lo, s10, v13
	s_delay_alu instid0(VALU_DEP_2) | instskip(SKIP_3) | instid1(SALU_CYCLE_1)
	v_add_co_ci_u32_e32 v14, vcc_lo, s11, v14, vcc_lo
	s_waitcnt lgkmcnt(6)
	global_store_b32 v[13:14], v11, off
	s_or_b32 exec_lo, exec_lo, s1
	s_mov_b32 s1, exec_lo
	v_cmpx_gt_u32_e64 s22, v34
	s_cbranch_execnz .LBB1816_163
.LBB1816_132:
	s_or_b32 exec_lo, exec_lo, s1
	s_delay_alu instid0(SALU_CYCLE_1)
	s_mov_b32 s1, exec_lo
	v_cmpx_gt_u32_e64 s22, v33
	s_cbranch_execz .LBB1816_168
.LBB1816_133:
	s_mov_b32 s2, exec_lo
                                        ; implicit-def: $vgpr11_vgpr12
	v_cmpx_ge_u32_e64 v33, v16
	s_xor_b32 s2, exec_lo, s2
	s_cbranch_execz .LBB1816_135
; %bb.134:
	s_waitcnt lgkmcnt(6)
	v_xor_b32_e32 v11, 0xfffffdff, v0
                                        ; implicit-def: $vgpr33
	s_delay_alu instid0(VALU_DEP_1) | instskip(SKIP_1) | instid1(VALU_DEP_2)
	v_ashrrev_i32_e32 v12, 31, v11
	v_add_co_u32 v11, vcc_lo, v20, v11
	v_add_co_ci_u32_e32 v12, vcc_lo, v21, v12, vcc_lo
.LBB1816_135:
	s_and_not1_saveexec_b32 s2, s2
	s_cbranch_execz .LBB1816_137
; %bb.136:
	s_waitcnt lgkmcnt(6)
	v_add_co_u32 v11, vcc_lo, v15, v33
	v_add_co_ci_u32_e32 v12, vcc_lo, 0, v17, vcc_lo
.LBB1816_137:
	s_or_b32 exec_lo, exec_lo, s2
	s_waitcnt lgkmcnt(6)
	s_delay_alu instid0(VALU_DEP_1) | instskip(NEXT) | instid1(VALU_DEP_1)
	v_lshlrev_b64 v[11:12], 2, v[11:12]
	v_add_co_u32 v11, vcc_lo, s10, v11
	s_delay_alu instid0(VALU_DEP_2) | instskip(SKIP_3) | instid1(SALU_CYCLE_1)
	v_add_co_ci_u32_e32 v12, vcc_lo, s11, v12, vcc_lo
	s_waitcnt lgkmcnt(5)
	global_store_b32 v[11:12], v9, off
	s_or_b32 exec_lo, exec_lo, s1
	s_mov_b32 s1, exec_lo
	v_cmpx_gt_u32_e64 s22, v32
	s_cbranch_execnz .LBB1816_169
.LBB1816_138:
	s_or_b32 exec_lo, exec_lo, s1
	s_delay_alu instid0(SALU_CYCLE_1)
	s_mov_b32 s1, exec_lo
	v_cmpx_gt_u32_e64 s22, v29
	s_cbranch_execz .LBB1816_174
.LBB1816_139:
	s_mov_b32 s2, exec_lo
                                        ; implicit-def: $vgpr9_vgpr10
	v_cmpx_ge_u32_e64 v29, v16
	s_xor_b32 s2, exec_lo, s2
	s_cbranch_execz .LBB1816_141
; %bb.140:
	s_waitcnt lgkmcnt(5)
	v_xor_b32_e32 v9, 0xfffffbff, v0
                                        ; implicit-def: $vgpr29
	s_delay_alu instid0(VALU_DEP_1) | instskip(SKIP_1) | instid1(VALU_DEP_2)
	v_ashrrev_i32_e32 v10, 31, v9
	v_add_co_u32 v9, vcc_lo, v20, v9
	v_add_co_ci_u32_e32 v10, vcc_lo, v21, v10, vcc_lo
.LBB1816_141:
	s_and_not1_saveexec_b32 s2, s2
	s_cbranch_execz .LBB1816_143
; %bb.142:
	s_waitcnt lgkmcnt(5)
	v_add_co_u32 v9, vcc_lo, v15, v29
	v_add_co_ci_u32_e32 v10, vcc_lo, 0, v17, vcc_lo
.LBB1816_143:
	s_or_b32 exec_lo, exec_lo, s2
	s_waitcnt lgkmcnt(5)
	s_delay_alu instid0(VALU_DEP_1) | instskip(NEXT) | instid1(VALU_DEP_1)
	v_lshlrev_b64 v[9:10], 2, v[9:10]
	v_add_co_u32 v9, vcc_lo, s10, v9
	s_delay_alu instid0(VALU_DEP_2) | instskip(SKIP_3) | instid1(SALU_CYCLE_1)
	v_add_co_ci_u32_e32 v10, vcc_lo, s11, v10, vcc_lo
	s_waitcnt lgkmcnt(4)
	global_store_b32 v[9:10], v7, off
	s_or_b32 exec_lo, exec_lo, s1
	s_mov_b32 s1, exec_lo
	v_cmpx_gt_u32_e64 s22, v28
	s_cbranch_execnz .LBB1816_175
.LBB1816_144:
	s_or_b32 exec_lo, exec_lo, s1
	s_delay_alu instid0(SALU_CYCLE_1)
	s_mov_b32 s1, exec_lo
	v_cmpx_gt_u32_e64 s22, v27
	s_cbranch_execz .LBB1816_180
.LBB1816_145:
	s_mov_b32 s2, exec_lo
                                        ; implicit-def: $vgpr7_vgpr8
	v_cmpx_ge_u32_e64 v27, v16
	s_xor_b32 s2, exec_lo, s2
	s_cbranch_execz .LBB1816_147
; %bb.146:
	s_waitcnt lgkmcnt(4)
	v_xor_b32_e32 v7, 0xfffff9ff, v0
                                        ; implicit-def: $vgpr27
	s_delay_alu instid0(VALU_DEP_1) | instskip(SKIP_1) | instid1(VALU_DEP_2)
	v_ashrrev_i32_e32 v8, 31, v7
	v_add_co_u32 v7, vcc_lo, v20, v7
	v_add_co_ci_u32_e32 v8, vcc_lo, v21, v8, vcc_lo
.LBB1816_147:
	s_and_not1_saveexec_b32 s2, s2
	s_cbranch_execz .LBB1816_149
; %bb.148:
	s_waitcnt lgkmcnt(4)
	v_add_co_u32 v7, vcc_lo, v15, v27
	v_add_co_ci_u32_e32 v8, vcc_lo, 0, v17, vcc_lo
.LBB1816_149:
	s_or_b32 exec_lo, exec_lo, s2
	s_waitcnt lgkmcnt(4)
	s_delay_alu instid0(VALU_DEP_1) | instskip(NEXT) | instid1(VALU_DEP_1)
	v_lshlrev_b64 v[7:8], 2, v[7:8]
	v_add_co_u32 v7, vcc_lo, s10, v7
	s_delay_alu instid0(VALU_DEP_2) | instskip(SKIP_3) | instid1(SALU_CYCLE_1)
	v_add_co_ci_u32_e32 v8, vcc_lo, s11, v8, vcc_lo
	s_waitcnt lgkmcnt(3)
	global_store_b32 v[7:8], v5, off
	s_or_b32 exec_lo, exec_lo, s1
	s_mov_b32 s1, exec_lo
	v_cmpx_gt_u32_e64 s22, v26
	s_cbranch_execnz .LBB1816_181
.LBB1816_150:
	s_or_b32 exec_lo, exec_lo, s1
	s_delay_alu instid0(SALU_CYCLE_1)
	s_mov_b32 s1, exec_lo
	v_cmpx_gt_u32_e64 s22, v25
	s_cbranch_execz .LBB1816_186
.LBB1816_151:
	s_mov_b32 s2, exec_lo
                                        ; implicit-def: $vgpr5_vgpr6
	v_cmpx_ge_u32_e64 v25, v16
	s_xor_b32 s2, exec_lo, s2
	s_cbranch_execz .LBB1816_153
; %bb.152:
	s_waitcnt lgkmcnt(3)
	v_xor_b32_e32 v5, 0xfffff7ff, v0
                                        ; implicit-def: $vgpr25
	s_delay_alu instid0(VALU_DEP_1) | instskip(SKIP_1) | instid1(VALU_DEP_2)
	v_ashrrev_i32_e32 v6, 31, v5
	v_add_co_u32 v5, vcc_lo, v20, v5
	v_add_co_ci_u32_e32 v6, vcc_lo, v21, v6, vcc_lo
.LBB1816_153:
	s_and_not1_saveexec_b32 s2, s2
	s_cbranch_execz .LBB1816_155
; %bb.154:
	s_waitcnt lgkmcnt(3)
	v_add_co_u32 v5, vcc_lo, v15, v25
	v_add_co_ci_u32_e32 v6, vcc_lo, 0, v17, vcc_lo
.LBB1816_155:
	s_or_b32 exec_lo, exec_lo, s2
	s_waitcnt lgkmcnt(3)
	s_delay_alu instid0(VALU_DEP_1) | instskip(NEXT) | instid1(VALU_DEP_1)
	v_lshlrev_b64 v[5:6], 2, v[5:6]
	v_add_co_u32 v5, vcc_lo, s10, v5
	s_delay_alu instid0(VALU_DEP_2) | instskip(SKIP_3) | instid1(SALU_CYCLE_1)
	v_add_co_ci_u32_e32 v6, vcc_lo, s11, v6, vcc_lo
	s_waitcnt lgkmcnt(2)
	global_store_b32 v[5:6], v3, off
	s_or_b32 exec_lo, exec_lo, s1
	s_mov_b32 s1, exec_lo
	v_cmpx_gt_u32_e64 s22, v24
	s_cbranch_execnz .LBB1816_187
.LBB1816_156:
	s_or_b32 exec_lo, exec_lo, s1
	s_delay_alu instid0(SALU_CYCLE_1)
	s_mov_b32 s1, exec_lo
	v_cmpx_gt_u32_e64 s22, v23
	s_cbranch_execz .LBB1816_192
.LBB1816_157:
	s_mov_b32 s2, exec_lo
                                        ; implicit-def: $vgpr3_vgpr4
	v_cmpx_ge_u32_e64 v23, v16
	s_xor_b32 s2, exec_lo, s2
	s_cbranch_execz .LBB1816_159
; %bb.158:
	s_waitcnt lgkmcnt(2)
	v_xor_b32_e32 v3, 0xfffff5ff, v0
                                        ; implicit-def: $vgpr23
	s_delay_alu instid0(VALU_DEP_1) | instskip(SKIP_1) | instid1(VALU_DEP_2)
	v_ashrrev_i32_e32 v4, 31, v3
	v_add_co_u32 v3, vcc_lo, v20, v3
	v_add_co_ci_u32_e32 v4, vcc_lo, v21, v4, vcc_lo
.LBB1816_159:
	s_and_not1_saveexec_b32 s2, s2
	s_cbranch_execz .LBB1816_161
; %bb.160:
	s_waitcnt lgkmcnt(2)
	v_add_co_u32 v3, vcc_lo, v15, v23
	v_add_co_ci_u32_e32 v4, vcc_lo, 0, v17, vcc_lo
.LBB1816_161:
	s_or_b32 exec_lo, exec_lo, s2
	s_waitcnt lgkmcnt(2)
	s_delay_alu instid0(VALU_DEP_1) | instskip(NEXT) | instid1(VALU_DEP_1)
	v_lshlrev_b64 v[3:4], 2, v[3:4]
	v_add_co_u32 v3, vcc_lo, s10, v3
	s_delay_alu instid0(VALU_DEP_2) | instskip(SKIP_3) | instid1(SALU_CYCLE_1)
	v_add_co_ci_u32_e32 v4, vcc_lo, s11, v4, vcc_lo
	s_waitcnt lgkmcnt(1)
	global_store_b32 v[3:4], v1, off
	s_or_b32 exec_lo, exec_lo, s1
	s_mov_b32 s1, exec_lo
	v_cmpx_gt_u32_e64 s22, v22
	s_cbranch_execz .LBB1816_198
	s_branch .LBB1816_193
.LBB1816_162:
	s_or_b32 exec_lo, exec_lo, s1
	s_delay_alu instid0(SALU_CYCLE_1)
	s_mov_b32 s1, exec_lo
	v_cmpx_gt_u32_e64 s22, v34
	s_cbranch_execz .LBB1816_132
.LBB1816_163:
	s_mov_b32 s2, exec_lo
                                        ; implicit-def: $vgpr13_vgpr14
	v_cmpx_ge_u32_e64 v34, v16
	s_xor_b32 s2, exec_lo, s2
	s_cbranch_execz .LBB1816_165
; %bb.164:
	s_waitcnt lgkmcnt(6)
	v_xor_b32_e32 v11, 0xfffffeff, v0
                                        ; implicit-def: $vgpr34
	s_delay_alu instid0(VALU_DEP_1) | instskip(SKIP_1) | instid1(VALU_DEP_2)
	v_ashrrev_i32_e32 v14, 31, v11
	v_add_co_u32 v13, vcc_lo, v20, v11
	v_add_co_ci_u32_e32 v14, vcc_lo, v21, v14, vcc_lo
.LBB1816_165:
	s_and_not1_saveexec_b32 s2, s2
; %bb.166:
	v_add_co_u32 v13, vcc_lo, v15, v34
	v_add_co_ci_u32_e32 v14, vcc_lo, 0, v17, vcc_lo
; %bb.167:
	s_or_b32 exec_lo, exec_lo, s2
	s_delay_alu instid0(VALU_DEP_1) | instskip(NEXT) | instid1(VALU_DEP_1)
	v_lshlrev_b64 v[13:14], 2, v[13:14]
	v_add_co_u32 v13, vcc_lo, s10, v13
	s_delay_alu instid0(VALU_DEP_2) | instskip(SKIP_3) | instid1(SALU_CYCLE_1)
	v_add_co_ci_u32_e32 v14, vcc_lo, s11, v14, vcc_lo
	s_waitcnt lgkmcnt(6)
	global_store_b32 v[13:14], v12, off
	s_or_b32 exec_lo, exec_lo, s1
	s_mov_b32 s1, exec_lo
	v_cmpx_gt_u32_e64 s22, v33
	s_cbranch_execnz .LBB1816_133
.LBB1816_168:
	s_or_b32 exec_lo, exec_lo, s1
	s_delay_alu instid0(SALU_CYCLE_1)
	s_mov_b32 s1, exec_lo
	v_cmpx_gt_u32_e64 s22, v32
	s_cbranch_execz .LBB1816_138
.LBB1816_169:
	s_mov_b32 s2, exec_lo
                                        ; implicit-def: $vgpr11_vgpr12
	v_cmpx_ge_u32_e64 v32, v16
	s_xor_b32 s2, exec_lo, s2
	s_cbranch_execz .LBB1816_171
; %bb.170:
	s_waitcnt lgkmcnt(5)
	v_xor_b32_e32 v9, 0xfffffcff, v0
                                        ; implicit-def: $vgpr32
	s_delay_alu instid0(VALU_DEP_1) | instskip(SKIP_1) | instid1(VALU_DEP_2)
	v_ashrrev_i32_e32 v12, 31, v9
	v_add_co_u32 v11, vcc_lo, v20, v9
	v_add_co_ci_u32_e32 v12, vcc_lo, v21, v12, vcc_lo
.LBB1816_171:
	s_and_not1_saveexec_b32 s2, s2
	s_cbranch_execz .LBB1816_173
; %bb.172:
	s_waitcnt lgkmcnt(6)
	v_add_co_u32 v11, vcc_lo, v15, v32
	v_add_co_ci_u32_e32 v12, vcc_lo, 0, v17, vcc_lo
.LBB1816_173:
	s_or_b32 exec_lo, exec_lo, s2
	s_waitcnt lgkmcnt(6)
	s_delay_alu instid0(VALU_DEP_1) | instskip(NEXT) | instid1(VALU_DEP_1)
	v_lshlrev_b64 v[11:12], 2, v[11:12]
	v_add_co_u32 v11, vcc_lo, s10, v11
	s_delay_alu instid0(VALU_DEP_2) | instskip(SKIP_3) | instid1(SALU_CYCLE_1)
	v_add_co_ci_u32_e32 v12, vcc_lo, s11, v12, vcc_lo
	s_waitcnt lgkmcnt(5)
	global_store_b32 v[11:12], v10, off
	s_or_b32 exec_lo, exec_lo, s1
	s_mov_b32 s1, exec_lo
	v_cmpx_gt_u32_e64 s22, v29
	s_cbranch_execnz .LBB1816_139
.LBB1816_174:
	s_or_b32 exec_lo, exec_lo, s1
	s_delay_alu instid0(SALU_CYCLE_1)
	s_mov_b32 s1, exec_lo
	v_cmpx_gt_u32_e64 s22, v28
	s_cbranch_execz .LBB1816_144
.LBB1816_175:
	s_mov_b32 s2, exec_lo
                                        ; implicit-def: $vgpr9_vgpr10
	v_cmpx_ge_u32_e64 v28, v16
	s_xor_b32 s2, exec_lo, s2
	s_cbranch_execz .LBB1816_177
; %bb.176:
	s_waitcnt lgkmcnt(4)
	v_xor_b32_e32 v7, 0xfffffaff, v0
                                        ; implicit-def: $vgpr28
	s_delay_alu instid0(VALU_DEP_1) | instskip(SKIP_1) | instid1(VALU_DEP_2)
	v_ashrrev_i32_e32 v10, 31, v7
	v_add_co_u32 v9, vcc_lo, v20, v7
	v_add_co_ci_u32_e32 v10, vcc_lo, v21, v10, vcc_lo
.LBB1816_177:
	s_and_not1_saveexec_b32 s2, s2
	s_cbranch_execz .LBB1816_179
; %bb.178:
	s_waitcnt lgkmcnt(5)
	v_add_co_u32 v9, vcc_lo, v15, v28
	v_add_co_ci_u32_e32 v10, vcc_lo, 0, v17, vcc_lo
.LBB1816_179:
	s_or_b32 exec_lo, exec_lo, s2
	s_waitcnt lgkmcnt(5)
	s_delay_alu instid0(VALU_DEP_1) | instskip(NEXT) | instid1(VALU_DEP_1)
	v_lshlrev_b64 v[9:10], 2, v[9:10]
	v_add_co_u32 v9, vcc_lo, s10, v9
	s_delay_alu instid0(VALU_DEP_2) | instskip(SKIP_3) | instid1(SALU_CYCLE_1)
	v_add_co_ci_u32_e32 v10, vcc_lo, s11, v10, vcc_lo
	s_waitcnt lgkmcnt(4)
	global_store_b32 v[9:10], v8, off
	s_or_b32 exec_lo, exec_lo, s1
	s_mov_b32 s1, exec_lo
	v_cmpx_gt_u32_e64 s22, v27
	s_cbranch_execnz .LBB1816_145
.LBB1816_180:
	s_or_b32 exec_lo, exec_lo, s1
	s_delay_alu instid0(SALU_CYCLE_1)
	s_mov_b32 s1, exec_lo
	v_cmpx_gt_u32_e64 s22, v26
	s_cbranch_execz .LBB1816_150
.LBB1816_181:
	s_mov_b32 s2, exec_lo
                                        ; implicit-def: $vgpr7_vgpr8
	v_cmpx_ge_u32_e64 v26, v16
	s_xor_b32 s2, exec_lo, s2
	s_cbranch_execz .LBB1816_183
; %bb.182:
	s_waitcnt lgkmcnt(3)
	v_xor_b32_e32 v5, 0xfffff8ff, v0
                                        ; implicit-def: $vgpr26
	s_delay_alu instid0(VALU_DEP_1) | instskip(SKIP_1) | instid1(VALU_DEP_2)
	v_ashrrev_i32_e32 v8, 31, v5
	v_add_co_u32 v7, vcc_lo, v20, v5
	v_add_co_ci_u32_e32 v8, vcc_lo, v21, v8, vcc_lo
.LBB1816_183:
	s_and_not1_saveexec_b32 s2, s2
	s_cbranch_execz .LBB1816_185
; %bb.184:
	s_waitcnt lgkmcnt(4)
	v_add_co_u32 v7, vcc_lo, v15, v26
	v_add_co_ci_u32_e32 v8, vcc_lo, 0, v17, vcc_lo
.LBB1816_185:
	s_or_b32 exec_lo, exec_lo, s2
	s_waitcnt lgkmcnt(4)
	s_delay_alu instid0(VALU_DEP_1) | instskip(NEXT) | instid1(VALU_DEP_1)
	v_lshlrev_b64 v[7:8], 2, v[7:8]
	v_add_co_u32 v7, vcc_lo, s10, v7
	s_delay_alu instid0(VALU_DEP_2) | instskip(SKIP_3) | instid1(SALU_CYCLE_1)
	v_add_co_ci_u32_e32 v8, vcc_lo, s11, v8, vcc_lo
	s_waitcnt lgkmcnt(3)
	global_store_b32 v[7:8], v6, off
	s_or_b32 exec_lo, exec_lo, s1
	s_mov_b32 s1, exec_lo
	v_cmpx_gt_u32_e64 s22, v25
	s_cbranch_execnz .LBB1816_151
.LBB1816_186:
	s_or_b32 exec_lo, exec_lo, s1
	s_delay_alu instid0(SALU_CYCLE_1)
	s_mov_b32 s1, exec_lo
	v_cmpx_gt_u32_e64 s22, v24
	s_cbranch_execz .LBB1816_156
.LBB1816_187:
	s_mov_b32 s2, exec_lo
                                        ; implicit-def: $vgpr5_vgpr6
	v_cmpx_ge_u32_e64 v24, v16
	s_xor_b32 s2, exec_lo, s2
	s_cbranch_execz .LBB1816_189
; %bb.188:
	s_waitcnt lgkmcnt(2)
	v_xor_b32_e32 v3, 0xfffff6ff, v0
                                        ; implicit-def: $vgpr24
	s_delay_alu instid0(VALU_DEP_1) | instskip(SKIP_1) | instid1(VALU_DEP_2)
	v_ashrrev_i32_e32 v6, 31, v3
	v_add_co_u32 v5, vcc_lo, v20, v3
	v_add_co_ci_u32_e32 v6, vcc_lo, v21, v6, vcc_lo
.LBB1816_189:
	s_and_not1_saveexec_b32 s2, s2
	s_cbranch_execz .LBB1816_191
; %bb.190:
	s_waitcnt lgkmcnt(3)
	v_add_co_u32 v5, vcc_lo, v15, v24
	v_add_co_ci_u32_e32 v6, vcc_lo, 0, v17, vcc_lo
.LBB1816_191:
	s_or_b32 exec_lo, exec_lo, s2
	s_waitcnt lgkmcnt(3)
	s_delay_alu instid0(VALU_DEP_1) | instskip(NEXT) | instid1(VALU_DEP_1)
	v_lshlrev_b64 v[5:6], 2, v[5:6]
	v_add_co_u32 v5, vcc_lo, s10, v5
	s_delay_alu instid0(VALU_DEP_2) | instskip(SKIP_3) | instid1(SALU_CYCLE_1)
	v_add_co_ci_u32_e32 v6, vcc_lo, s11, v6, vcc_lo
	s_waitcnt lgkmcnt(2)
	global_store_b32 v[5:6], v4, off
	s_or_b32 exec_lo, exec_lo, s1
	s_mov_b32 s1, exec_lo
	v_cmpx_gt_u32_e64 s22, v23
	s_cbranch_execnz .LBB1816_157
.LBB1816_192:
	s_or_b32 exec_lo, exec_lo, s1
	s_delay_alu instid0(SALU_CYCLE_1)
	s_mov_b32 s1, exec_lo
	v_cmpx_gt_u32_e64 s22, v22
	s_cbranch_execz .LBB1816_198
.LBB1816_193:
	s_mov_b32 s2, exec_lo
                                        ; implicit-def: $vgpr3_vgpr4
	v_cmpx_ge_u32_e64 v22, v16
	s_xor_b32 s2, exec_lo, s2
	s_cbranch_execz .LBB1816_195
; %bb.194:
	s_waitcnt lgkmcnt(1)
	v_xor_b32_e32 v1, 0xfffff4ff, v0
                                        ; implicit-def: $vgpr22
	s_delay_alu instid0(VALU_DEP_1) | instskip(SKIP_1) | instid1(VALU_DEP_2)
	v_ashrrev_i32_e32 v4, 31, v1
	v_add_co_u32 v3, vcc_lo, v20, v1
	v_add_co_ci_u32_e32 v4, vcc_lo, v21, v4, vcc_lo
.LBB1816_195:
	s_and_not1_saveexec_b32 s2, s2
	s_cbranch_execz .LBB1816_197
; %bb.196:
	s_waitcnt lgkmcnt(2)
	v_add_co_u32 v3, vcc_lo, v15, v22
	v_add_co_ci_u32_e32 v4, vcc_lo, 0, v17, vcc_lo
.LBB1816_197:
	s_or_b32 exec_lo, exec_lo, s2
	s_waitcnt lgkmcnt(2)
	s_delay_alu instid0(VALU_DEP_1) | instskip(NEXT) | instid1(VALU_DEP_1)
	v_lshlrev_b64 v[3:4], 2, v[3:4]
	v_add_co_u32 v3, vcc_lo, s10, v3
	s_delay_alu instid0(VALU_DEP_2)
	v_add_co_ci_u32_e32 v4, vcc_lo, s11, v4, vcc_lo
	s_waitcnt lgkmcnt(1)
	global_store_b32 v[3:4], v2, off
.LBB1816_198:
	s_or_b32 exec_lo, exec_lo, s1
	s_delay_alu instid0(SALU_CYCLE_1)
	s_mov_b32 s1, exec_lo
                                        ; implicit-def: $vgpr13_vgpr14
	v_cmpx_gt_u32_e64 s22, v19
	s_cbranch_execz .LBB1816_204
; %bb.199:
	s_mov_b32 s2, exec_lo
                                        ; implicit-def: $vgpr13_vgpr14
	v_cmpx_ge_u32_e64 v19, v16
	s_xor_b32 s2, exec_lo, s2
	s_cbranch_execz .LBB1816_201
; %bb.200:
	s_waitcnt lgkmcnt(1)
	v_xor_b32_e32 v1, 0xfffff3ff, v0
                                        ; implicit-def: $vgpr19
	s_delay_alu instid0(VALU_DEP_1) | instskip(SKIP_1) | instid1(VALU_DEP_2)
	v_ashrrev_i32_e32 v2, 31, v1
	v_add_co_u32 v13, vcc_lo, v20, v1
	v_add_co_ci_u32_e32 v14, vcc_lo, v21, v2, vcc_lo
.LBB1816_201:
	s_and_not1_saveexec_b32 s2, s2
; %bb.202:
	v_add_co_u32 v13, vcc_lo, v15, v19
	v_add_co_ci_u32_e32 v14, vcc_lo, 0, v17, vcc_lo
; %bb.203:
	s_or_b32 exec_lo, exec_lo, s2
	s_delay_alu instid0(SALU_CYCLE_1)
	s_or_b32 s0, s0, exec_lo
.LBB1816_204:
	s_or_b32 exec_lo, exec_lo, s1
.LBB1816_205:
	s_and_saveexec_b32 s1, s0
	s_cbranch_execz .LBB1816_207
; %bb.206:
	s_waitcnt lgkmcnt(1)
	v_lshlrev_b64 v[1:2], 2, v[13:14]
	s_delay_alu instid0(VALU_DEP_1) | instskip(NEXT) | instid1(VALU_DEP_2)
	v_add_co_u32 v1, vcc_lo, s10, v1
	v_add_co_ci_u32_e32 v2, vcc_lo, s11, v2, vcc_lo
	s_waitcnt lgkmcnt(0)
	global_store_b32 v[1:2], v18, off
.LBB1816_207:
	s_or_b32 exec_lo, exec_lo, s1
	v_cmp_eq_u32_e32 vcc_lo, 0, v0
	s_and_b32 s0, vcc_lo, s14
	s_delay_alu instid0(SALU_CYCLE_1)
	s_and_saveexec_b32 s1, s0
	s_cbranch_execz .LBB1816_209
; %bb.208:
	v_add_co_u32 v0, vcc_lo, v15, v16
	s_waitcnt lgkmcnt(1)
	v_mov_b32_e32 v2, 0
	v_add_co_ci_u32_e32 v1, vcc_lo, 0, v17, vcc_lo
	global_store_b64 v2, v[0:1], s[8:9]
.LBB1816_209:
	s_nop 0
	s_sendmsg sendmsg(MSG_DEALLOC_VGPRS)
	s_endpgm
	.section	.rodata,"a",@progbits
	.p2align	6, 0x0
	.amdhsa_kernel _ZN7rocprim17ROCPRIM_400000_NS6detail17trampoline_kernelINS0_13select_configILj256ELj13ELNS0_17block_load_methodE3ELS4_3ELS4_3ELNS0_20block_scan_algorithmE0ELj4294967295EEENS1_25partition_config_selectorILNS1_17partition_subalgoE3EjNS0_10empty_typeEbEEZZNS1_14partition_implILS8_3ELb0ES6_jNS0_17counting_iteratorIjlEEPS9_SE_NS0_5tupleIJPjSE_EEENSF_IJSE_SE_EEES9_SG_JZNS1_25segmented_radix_sort_implINS0_14default_configELb0EPK6__halfPSL_PKlPlN2at6native12_GLOBAL__N_18offset_tEEE10hipError_tPvRmT1_PNSt15iterator_traitsISZ_E10value_typeET2_T3_PNS10_IS15_E10value_typeET4_jRbjT5_S1B_jjP12ihipStream_tbEUljE_EEESW_SX_SY_S15_S19_S1B_T6_T7_T9_mT8_S1D_bDpT10_ENKUlT_T0_E_clISt17integral_constantIbLb0EES1Q_EEDaS1L_S1M_EUlS1L_E_NS1_11comp_targetILNS1_3genE9ELNS1_11target_archE1100ELNS1_3gpuE3ELNS1_3repE0EEENS1_30default_config_static_selectorELNS0_4arch9wavefront6targetE0EEEvSZ_
		.amdhsa_group_segment_fixed_size 13324
		.amdhsa_private_segment_fixed_size 0
		.amdhsa_kernarg_size 144
		.amdhsa_user_sgpr_count 15
		.amdhsa_user_sgpr_dispatch_ptr 0
		.amdhsa_user_sgpr_queue_ptr 0
		.amdhsa_user_sgpr_kernarg_segment_ptr 1
		.amdhsa_user_sgpr_dispatch_id 0
		.amdhsa_user_sgpr_private_segment_size 0
		.amdhsa_wavefront_size32 1
		.amdhsa_uses_dynamic_stack 0
		.amdhsa_enable_private_segment 0
		.amdhsa_system_sgpr_workgroup_id_x 1
		.amdhsa_system_sgpr_workgroup_id_y 0
		.amdhsa_system_sgpr_workgroup_id_z 0
		.amdhsa_system_sgpr_workgroup_info 0
		.amdhsa_system_vgpr_workitem_id 0
		.amdhsa_next_free_vgpr 57
		.amdhsa_next_free_sgpr 28
		.amdhsa_reserve_vcc 1
		.amdhsa_float_round_mode_32 0
		.amdhsa_float_round_mode_16_64 0
		.amdhsa_float_denorm_mode_32 3
		.amdhsa_float_denorm_mode_16_64 3
		.amdhsa_dx10_clamp 1
		.amdhsa_ieee_mode 1
		.amdhsa_fp16_overflow 0
		.amdhsa_workgroup_processor_mode 1
		.amdhsa_memory_ordered 1
		.amdhsa_forward_progress 0
		.amdhsa_shared_vgpr_count 0
		.amdhsa_exception_fp_ieee_invalid_op 0
		.amdhsa_exception_fp_denorm_src 0
		.amdhsa_exception_fp_ieee_div_zero 0
		.amdhsa_exception_fp_ieee_overflow 0
		.amdhsa_exception_fp_ieee_underflow 0
		.amdhsa_exception_fp_ieee_inexact 0
		.amdhsa_exception_int_div_zero 0
	.end_amdhsa_kernel
	.section	.text._ZN7rocprim17ROCPRIM_400000_NS6detail17trampoline_kernelINS0_13select_configILj256ELj13ELNS0_17block_load_methodE3ELS4_3ELS4_3ELNS0_20block_scan_algorithmE0ELj4294967295EEENS1_25partition_config_selectorILNS1_17partition_subalgoE3EjNS0_10empty_typeEbEEZZNS1_14partition_implILS8_3ELb0ES6_jNS0_17counting_iteratorIjlEEPS9_SE_NS0_5tupleIJPjSE_EEENSF_IJSE_SE_EEES9_SG_JZNS1_25segmented_radix_sort_implINS0_14default_configELb0EPK6__halfPSL_PKlPlN2at6native12_GLOBAL__N_18offset_tEEE10hipError_tPvRmT1_PNSt15iterator_traitsISZ_E10value_typeET2_T3_PNS10_IS15_E10value_typeET4_jRbjT5_S1B_jjP12ihipStream_tbEUljE_EEESW_SX_SY_S15_S19_S1B_T6_T7_T9_mT8_S1D_bDpT10_ENKUlT_T0_E_clISt17integral_constantIbLb0EES1Q_EEDaS1L_S1M_EUlS1L_E_NS1_11comp_targetILNS1_3genE9ELNS1_11target_archE1100ELNS1_3gpuE3ELNS1_3repE0EEENS1_30default_config_static_selectorELNS0_4arch9wavefront6targetE0EEEvSZ_,"axG",@progbits,_ZN7rocprim17ROCPRIM_400000_NS6detail17trampoline_kernelINS0_13select_configILj256ELj13ELNS0_17block_load_methodE3ELS4_3ELS4_3ELNS0_20block_scan_algorithmE0ELj4294967295EEENS1_25partition_config_selectorILNS1_17partition_subalgoE3EjNS0_10empty_typeEbEEZZNS1_14partition_implILS8_3ELb0ES6_jNS0_17counting_iteratorIjlEEPS9_SE_NS0_5tupleIJPjSE_EEENSF_IJSE_SE_EEES9_SG_JZNS1_25segmented_radix_sort_implINS0_14default_configELb0EPK6__halfPSL_PKlPlN2at6native12_GLOBAL__N_18offset_tEEE10hipError_tPvRmT1_PNSt15iterator_traitsISZ_E10value_typeET2_T3_PNS10_IS15_E10value_typeET4_jRbjT5_S1B_jjP12ihipStream_tbEUljE_EEESW_SX_SY_S15_S19_S1B_T6_T7_T9_mT8_S1D_bDpT10_ENKUlT_T0_E_clISt17integral_constantIbLb0EES1Q_EEDaS1L_S1M_EUlS1L_E_NS1_11comp_targetILNS1_3genE9ELNS1_11target_archE1100ELNS1_3gpuE3ELNS1_3repE0EEENS1_30default_config_static_selectorELNS0_4arch9wavefront6targetE0EEEvSZ_,comdat
.Lfunc_end1816:
	.size	_ZN7rocprim17ROCPRIM_400000_NS6detail17trampoline_kernelINS0_13select_configILj256ELj13ELNS0_17block_load_methodE3ELS4_3ELS4_3ELNS0_20block_scan_algorithmE0ELj4294967295EEENS1_25partition_config_selectorILNS1_17partition_subalgoE3EjNS0_10empty_typeEbEEZZNS1_14partition_implILS8_3ELb0ES6_jNS0_17counting_iteratorIjlEEPS9_SE_NS0_5tupleIJPjSE_EEENSF_IJSE_SE_EEES9_SG_JZNS1_25segmented_radix_sort_implINS0_14default_configELb0EPK6__halfPSL_PKlPlN2at6native12_GLOBAL__N_18offset_tEEE10hipError_tPvRmT1_PNSt15iterator_traitsISZ_E10value_typeET2_T3_PNS10_IS15_E10value_typeET4_jRbjT5_S1B_jjP12ihipStream_tbEUljE_EEESW_SX_SY_S15_S19_S1B_T6_T7_T9_mT8_S1D_bDpT10_ENKUlT_T0_E_clISt17integral_constantIbLb0EES1Q_EEDaS1L_S1M_EUlS1L_E_NS1_11comp_targetILNS1_3genE9ELNS1_11target_archE1100ELNS1_3gpuE3ELNS1_3repE0EEENS1_30default_config_static_selectorELNS0_4arch9wavefront6targetE0EEEvSZ_, .Lfunc_end1816-_ZN7rocprim17ROCPRIM_400000_NS6detail17trampoline_kernelINS0_13select_configILj256ELj13ELNS0_17block_load_methodE3ELS4_3ELS4_3ELNS0_20block_scan_algorithmE0ELj4294967295EEENS1_25partition_config_selectorILNS1_17partition_subalgoE3EjNS0_10empty_typeEbEEZZNS1_14partition_implILS8_3ELb0ES6_jNS0_17counting_iteratorIjlEEPS9_SE_NS0_5tupleIJPjSE_EEENSF_IJSE_SE_EEES9_SG_JZNS1_25segmented_radix_sort_implINS0_14default_configELb0EPK6__halfPSL_PKlPlN2at6native12_GLOBAL__N_18offset_tEEE10hipError_tPvRmT1_PNSt15iterator_traitsISZ_E10value_typeET2_T3_PNS10_IS15_E10value_typeET4_jRbjT5_S1B_jjP12ihipStream_tbEUljE_EEESW_SX_SY_S15_S19_S1B_T6_T7_T9_mT8_S1D_bDpT10_ENKUlT_T0_E_clISt17integral_constantIbLb0EES1Q_EEDaS1L_S1M_EUlS1L_E_NS1_11comp_targetILNS1_3genE9ELNS1_11target_archE1100ELNS1_3gpuE3ELNS1_3repE0EEENS1_30default_config_static_selectorELNS0_4arch9wavefront6targetE0EEEvSZ_
                                        ; -- End function
	.section	.AMDGPU.csdata,"",@progbits
; Kernel info:
; codeLenInByte = 8864
; NumSgprs: 30
; NumVgprs: 57
; ScratchSize: 0
; MemoryBound: 0
; FloatMode: 240
; IeeeMode: 1
; LDSByteSize: 13324 bytes/workgroup (compile time only)
; SGPRBlocks: 3
; VGPRBlocks: 7
; NumSGPRsForWavesPerEU: 30
; NumVGPRsForWavesPerEU: 57
; Occupancy: 16
; WaveLimiterHint : 0
; COMPUTE_PGM_RSRC2:SCRATCH_EN: 0
; COMPUTE_PGM_RSRC2:USER_SGPR: 15
; COMPUTE_PGM_RSRC2:TRAP_HANDLER: 0
; COMPUTE_PGM_RSRC2:TGID_X_EN: 1
; COMPUTE_PGM_RSRC2:TGID_Y_EN: 0
; COMPUTE_PGM_RSRC2:TGID_Z_EN: 0
; COMPUTE_PGM_RSRC2:TIDIG_COMP_CNT: 0
	.section	.text._ZN7rocprim17ROCPRIM_400000_NS6detail17trampoline_kernelINS0_13select_configILj256ELj13ELNS0_17block_load_methodE3ELS4_3ELS4_3ELNS0_20block_scan_algorithmE0ELj4294967295EEENS1_25partition_config_selectorILNS1_17partition_subalgoE3EjNS0_10empty_typeEbEEZZNS1_14partition_implILS8_3ELb0ES6_jNS0_17counting_iteratorIjlEEPS9_SE_NS0_5tupleIJPjSE_EEENSF_IJSE_SE_EEES9_SG_JZNS1_25segmented_radix_sort_implINS0_14default_configELb0EPK6__halfPSL_PKlPlN2at6native12_GLOBAL__N_18offset_tEEE10hipError_tPvRmT1_PNSt15iterator_traitsISZ_E10value_typeET2_T3_PNS10_IS15_E10value_typeET4_jRbjT5_S1B_jjP12ihipStream_tbEUljE_EEESW_SX_SY_S15_S19_S1B_T6_T7_T9_mT8_S1D_bDpT10_ENKUlT_T0_E_clISt17integral_constantIbLb0EES1Q_EEDaS1L_S1M_EUlS1L_E_NS1_11comp_targetILNS1_3genE8ELNS1_11target_archE1030ELNS1_3gpuE2ELNS1_3repE0EEENS1_30default_config_static_selectorELNS0_4arch9wavefront6targetE0EEEvSZ_,"axG",@progbits,_ZN7rocprim17ROCPRIM_400000_NS6detail17trampoline_kernelINS0_13select_configILj256ELj13ELNS0_17block_load_methodE3ELS4_3ELS4_3ELNS0_20block_scan_algorithmE0ELj4294967295EEENS1_25partition_config_selectorILNS1_17partition_subalgoE3EjNS0_10empty_typeEbEEZZNS1_14partition_implILS8_3ELb0ES6_jNS0_17counting_iteratorIjlEEPS9_SE_NS0_5tupleIJPjSE_EEENSF_IJSE_SE_EEES9_SG_JZNS1_25segmented_radix_sort_implINS0_14default_configELb0EPK6__halfPSL_PKlPlN2at6native12_GLOBAL__N_18offset_tEEE10hipError_tPvRmT1_PNSt15iterator_traitsISZ_E10value_typeET2_T3_PNS10_IS15_E10value_typeET4_jRbjT5_S1B_jjP12ihipStream_tbEUljE_EEESW_SX_SY_S15_S19_S1B_T6_T7_T9_mT8_S1D_bDpT10_ENKUlT_T0_E_clISt17integral_constantIbLb0EES1Q_EEDaS1L_S1M_EUlS1L_E_NS1_11comp_targetILNS1_3genE8ELNS1_11target_archE1030ELNS1_3gpuE2ELNS1_3repE0EEENS1_30default_config_static_selectorELNS0_4arch9wavefront6targetE0EEEvSZ_,comdat
	.globl	_ZN7rocprim17ROCPRIM_400000_NS6detail17trampoline_kernelINS0_13select_configILj256ELj13ELNS0_17block_load_methodE3ELS4_3ELS4_3ELNS0_20block_scan_algorithmE0ELj4294967295EEENS1_25partition_config_selectorILNS1_17partition_subalgoE3EjNS0_10empty_typeEbEEZZNS1_14partition_implILS8_3ELb0ES6_jNS0_17counting_iteratorIjlEEPS9_SE_NS0_5tupleIJPjSE_EEENSF_IJSE_SE_EEES9_SG_JZNS1_25segmented_radix_sort_implINS0_14default_configELb0EPK6__halfPSL_PKlPlN2at6native12_GLOBAL__N_18offset_tEEE10hipError_tPvRmT1_PNSt15iterator_traitsISZ_E10value_typeET2_T3_PNS10_IS15_E10value_typeET4_jRbjT5_S1B_jjP12ihipStream_tbEUljE_EEESW_SX_SY_S15_S19_S1B_T6_T7_T9_mT8_S1D_bDpT10_ENKUlT_T0_E_clISt17integral_constantIbLb0EES1Q_EEDaS1L_S1M_EUlS1L_E_NS1_11comp_targetILNS1_3genE8ELNS1_11target_archE1030ELNS1_3gpuE2ELNS1_3repE0EEENS1_30default_config_static_selectorELNS0_4arch9wavefront6targetE0EEEvSZ_ ; -- Begin function _ZN7rocprim17ROCPRIM_400000_NS6detail17trampoline_kernelINS0_13select_configILj256ELj13ELNS0_17block_load_methodE3ELS4_3ELS4_3ELNS0_20block_scan_algorithmE0ELj4294967295EEENS1_25partition_config_selectorILNS1_17partition_subalgoE3EjNS0_10empty_typeEbEEZZNS1_14partition_implILS8_3ELb0ES6_jNS0_17counting_iteratorIjlEEPS9_SE_NS0_5tupleIJPjSE_EEENSF_IJSE_SE_EEES9_SG_JZNS1_25segmented_radix_sort_implINS0_14default_configELb0EPK6__halfPSL_PKlPlN2at6native12_GLOBAL__N_18offset_tEEE10hipError_tPvRmT1_PNSt15iterator_traitsISZ_E10value_typeET2_T3_PNS10_IS15_E10value_typeET4_jRbjT5_S1B_jjP12ihipStream_tbEUljE_EEESW_SX_SY_S15_S19_S1B_T6_T7_T9_mT8_S1D_bDpT10_ENKUlT_T0_E_clISt17integral_constantIbLb0EES1Q_EEDaS1L_S1M_EUlS1L_E_NS1_11comp_targetILNS1_3genE8ELNS1_11target_archE1030ELNS1_3gpuE2ELNS1_3repE0EEENS1_30default_config_static_selectorELNS0_4arch9wavefront6targetE0EEEvSZ_
	.p2align	8
	.type	_ZN7rocprim17ROCPRIM_400000_NS6detail17trampoline_kernelINS0_13select_configILj256ELj13ELNS0_17block_load_methodE3ELS4_3ELS4_3ELNS0_20block_scan_algorithmE0ELj4294967295EEENS1_25partition_config_selectorILNS1_17partition_subalgoE3EjNS0_10empty_typeEbEEZZNS1_14partition_implILS8_3ELb0ES6_jNS0_17counting_iteratorIjlEEPS9_SE_NS0_5tupleIJPjSE_EEENSF_IJSE_SE_EEES9_SG_JZNS1_25segmented_radix_sort_implINS0_14default_configELb0EPK6__halfPSL_PKlPlN2at6native12_GLOBAL__N_18offset_tEEE10hipError_tPvRmT1_PNSt15iterator_traitsISZ_E10value_typeET2_T3_PNS10_IS15_E10value_typeET4_jRbjT5_S1B_jjP12ihipStream_tbEUljE_EEESW_SX_SY_S15_S19_S1B_T6_T7_T9_mT8_S1D_bDpT10_ENKUlT_T0_E_clISt17integral_constantIbLb0EES1Q_EEDaS1L_S1M_EUlS1L_E_NS1_11comp_targetILNS1_3genE8ELNS1_11target_archE1030ELNS1_3gpuE2ELNS1_3repE0EEENS1_30default_config_static_selectorELNS0_4arch9wavefront6targetE0EEEvSZ_,@function
_ZN7rocprim17ROCPRIM_400000_NS6detail17trampoline_kernelINS0_13select_configILj256ELj13ELNS0_17block_load_methodE3ELS4_3ELS4_3ELNS0_20block_scan_algorithmE0ELj4294967295EEENS1_25partition_config_selectorILNS1_17partition_subalgoE3EjNS0_10empty_typeEbEEZZNS1_14partition_implILS8_3ELb0ES6_jNS0_17counting_iteratorIjlEEPS9_SE_NS0_5tupleIJPjSE_EEENSF_IJSE_SE_EEES9_SG_JZNS1_25segmented_radix_sort_implINS0_14default_configELb0EPK6__halfPSL_PKlPlN2at6native12_GLOBAL__N_18offset_tEEE10hipError_tPvRmT1_PNSt15iterator_traitsISZ_E10value_typeET2_T3_PNS10_IS15_E10value_typeET4_jRbjT5_S1B_jjP12ihipStream_tbEUljE_EEESW_SX_SY_S15_S19_S1B_T6_T7_T9_mT8_S1D_bDpT10_ENKUlT_T0_E_clISt17integral_constantIbLb0EES1Q_EEDaS1L_S1M_EUlS1L_E_NS1_11comp_targetILNS1_3genE8ELNS1_11target_archE1030ELNS1_3gpuE2ELNS1_3repE0EEENS1_30default_config_static_selectorELNS0_4arch9wavefront6targetE0EEEvSZ_: ; @_ZN7rocprim17ROCPRIM_400000_NS6detail17trampoline_kernelINS0_13select_configILj256ELj13ELNS0_17block_load_methodE3ELS4_3ELS4_3ELNS0_20block_scan_algorithmE0ELj4294967295EEENS1_25partition_config_selectorILNS1_17partition_subalgoE3EjNS0_10empty_typeEbEEZZNS1_14partition_implILS8_3ELb0ES6_jNS0_17counting_iteratorIjlEEPS9_SE_NS0_5tupleIJPjSE_EEENSF_IJSE_SE_EEES9_SG_JZNS1_25segmented_radix_sort_implINS0_14default_configELb0EPK6__halfPSL_PKlPlN2at6native12_GLOBAL__N_18offset_tEEE10hipError_tPvRmT1_PNSt15iterator_traitsISZ_E10value_typeET2_T3_PNS10_IS15_E10value_typeET4_jRbjT5_S1B_jjP12ihipStream_tbEUljE_EEESW_SX_SY_S15_S19_S1B_T6_T7_T9_mT8_S1D_bDpT10_ENKUlT_T0_E_clISt17integral_constantIbLb0EES1Q_EEDaS1L_S1M_EUlS1L_E_NS1_11comp_targetILNS1_3genE8ELNS1_11target_archE1030ELNS1_3gpuE2ELNS1_3repE0EEENS1_30default_config_static_selectorELNS0_4arch9wavefront6targetE0EEEvSZ_
; %bb.0:
	.section	.rodata,"a",@progbits
	.p2align	6, 0x0
	.amdhsa_kernel _ZN7rocprim17ROCPRIM_400000_NS6detail17trampoline_kernelINS0_13select_configILj256ELj13ELNS0_17block_load_methodE3ELS4_3ELS4_3ELNS0_20block_scan_algorithmE0ELj4294967295EEENS1_25partition_config_selectorILNS1_17partition_subalgoE3EjNS0_10empty_typeEbEEZZNS1_14partition_implILS8_3ELb0ES6_jNS0_17counting_iteratorIjlEEPS9_SE_NS0_5tupleIJPjSE_EEENSF_IJSE_SE_EEES9_SG_JZNS1_25segmented_radix_sort_implINS0_14default_configELb0EPK6__halfPSL_PKlPlN2at6native12_GLOBAL__N_18offset_tEEE10hipError_tPvRmT1_PNSt15iterator_traitsISZ_E10value_typeET2_T3_PNS10_IS15_E10value_typeET4_jRbjT5_S1B_jjP12ihipStream_tbEUljE_EEESW_SX_SY_S15_S19_S1B_T6_T7_T9_mT8_S1D_bDpT10_ENKUlT_T0_E_clISt17integral_constantIbLb0EES1Q_EEDaS1L_S1M_EUlS1L_E_NS1_11comp_targetILNS1_3genE8ELNS1_11target_archE1030ELNS1_3gpuE2ELNS1_3repE0EEENS1_30default_config_static_selectorELNS0_4arch9wavefront6targetE0EEEvSZ_
		.amdhsa_group_segment_fixed_size 0
		.amdhsa_private_segment_fixed_size 0
		.amdhsa_kernarg_size 144
		.amdhsa_user_sgpr_count 15
		.amdhsa_user_sgpr_dispatch_ptr 0
		.amdhsa_user_sgpr_queue_ptr 0
		.amdhsa_user_sgpr_kernarg_segment_ptr 1
		.amdhsa_user_sgpr_dispatch_id 0
		.amdhsa_user_sgpr_private_segment_size 0
		.amdhsa_wavefront_size32 1
		.amdhsa_uses_dynamic_stack 0
		.amdhsa_enable_private_segment 0
		.amdhsa_system_sgpr_workgroup_id_x 1
		.amdhsa_system_sgpr_workgroup_id_y 0
		.amdhsa_system_sgpr_workgroup_id_z 0
		.amdhsa_system_sgpr_workgroup_info 0
		.amdhsa_system_vgpr_workitem_id 0
		.amdhsa_next_free_vgpr 1
		.amdhsa_next_free_sgpr 1
		.amdhsa_reserve_vcc 0
		.amdhsa_float_round_mode_32 0
		.amdhsa_float_round_mode_16_64 0
		.amdhsa_float_denorm_mode_32 3
		.amdhsa_float_denorm_mode_16_64 3
		.amdhsa_dx10_clamp 1
		.amdhsa_ieee_mode 1
		.amdhsa_fp16_overflow 0
		.amdhsa_workgroup_processor_mode 1
		.amdhsa_memory_ordered 1
		.amdhsa_forward_progress 0
		.amdhsa_shared_vgpr_count 0
		.amdhsa_exception_fp_ieee_invalid_op 0
		.amdhsa_exception_fp_denorm_src 0
		.amdhsa_exception_fp_ieee_div_zero 0
		.amdhsa_exception_fp_ieee_overflow 0
		.amdhsa_exception_fp_ieee_underflow 0
		.amdhsa_exception_fp_ieee_inexact 0
		.amdhsa_exception_int_div_zero 0
	.end_amdhsa_kernel
	.section	.text._ZN7rocprim17ROCPRIM_400000_NS6detail17trampoline_kernelINS0_13select_configILj256ELj13ELNS0_17block_load_methodE3ELS4_3ELS4_3ELNS0_20block_scan_algorithmE0ELj4294967295EEENS1_25partition_config_selectorILNS1_17partition_subalgoE3EjNS0_10empty_typeEbEEZZNS1_14partition_implILS8_3ELb0ES6_jNS0_17counting_iteratorIjlEEPS9_SE_NS0_5tupleIJPjSE_EEENSF_IJSE_SE_EEES9_SG_JZNS1_25segmented_radix_sort_implINS0_14default_configELb0EPK6__halfPSL_PKlPlN2at6native12_GLOBAL__N_18offset_tEEE10hipError_tPvRmT1_PNSt15iterator_traitsISZ_E10value_typeET2_T3_PNS10_IS15_E10value_typeET4_jRbjT5_S1B_jjP12ihipStream_tbEUljE_EEESW_SX_SY_S15_S19_S1B_T6_T7_T9_mT8_S1D_bDpT10_ENKUlT_T0_E_clISt17integral_constantIbLb0EES1Q_EEDaS1L_S1M_EUlS1L_E_NS1_11comp_targetILNS1_3genE8ELNS1_11target_archE1030ELNS1_3gpuE2ELNS1_3repE0EEENS1_30default_config_static_selectorELNS0_4arch9wavefront6targetE0EEEvSZ_,"axG",@progbits,_ZN7rocprim17ROCPRIM_400000_NS6detail17trampoline_kernelINS0_13select_configILj256ELj13ELNS0_17block_load_methodE3ELS4_3ELS4_3ELNS0_20block_scan_algorithmE0ELj4294967295EEENS1_25partition_config_selectorILNS1_17partition_subalgoE3EjNS0_10empty_typeEbEEZZNS1_14partition_implILS8_3ELb0ES6_jNS0_17counting_iteratorIjlEEPS9_SE_NS0_5tupleIJPjSE_EEENSF_IJSE_SE_EEES9_SG_JZNS1_25segmented_radix_sort_implINS0_14default_configELb0EPK6__halfPSL_PKlPlN2at6native12_GLOBAL__N_18offset_tEEE10hipError_tPvRmT1_PNSt15iterator_traitsISZ_E10value_typeET2_T3_PNS10_IS15_E10value_typeET4_jRbjT5_S1B_jjP12ihipStream_tbEUljE_EEESW_SX_SY_S15_S19_S1B_T6_T7_T9_mT8_S1D_bDpT10_ENKUlT_T0_E_clISt17integral_constantIbLb0EES1Q_EEDaS1L_S1M_EUlS1L_E_NS1_11comp_targetILNS1_3genE8ELNS1_11target_archE1030ELNS1_3gpuE2ELNS1_3repE0EEENS1_30default_config_static_selectorELNS0_4arch9wavefront6targetE0EEEvSZ_,comdat
.Lfunc_end1817:
	.size	_ZN7rocprim17ROCPRIM_400000_NS6detail17trampoline_kernelINS0_13select_configILj256ELj13ELNS0_17block_load_methodE3ELS4_3ELS4_3ELNS0_20block_scan_algorithmE0ELj4294967295EEENS1_25partition_config_selectorILNS1_17partition_subalgoE3EjNS0_10empty_typeEbEEZZNS1_14partition_implILS8_3ELb0ES6_jNS0_17counting_iteratorIjlEEPS9_SE_NS0_5tupleIJPjSE_EEENSF_IJSE_SE_EEES9_SG_JZNS1_25segmented_radix_sort_implINS0_14default_configELb0EPK6__halfPSL_PKlPlN2at6native12_GLOBAL__N_18offset_tEEE10hipError_tPvRmT1_PNSt15iterator_traitsISZ_E10value_typeET2_T3_PNS10_IS15_E10value_typeET4_jRbjT5_S1B_jjP12ihipStream_tbEUljE_EEESW_SX_SY_S15_S19_S1B_T6_T7_T9_mT8_S1D_bDpT10_ENKUlT_T0_E_clISt17integral_constantIbLb0EES1Q_EEDaS1L_S1M_EUlS1L_E_NS1_11comp_targetILNS1_3genE8ELNS1_11target_archE1030ELNS1_3gpuE2ELNS1_3repE0EEENS1_30default_config_static_selectorELNS0_4arch9wavefront6targetE0EEEvSZ_, .Lfunc_end1817-_ZN7rocprim17ROCPRIM_400000_NS6detail17trampoline_kernelINS0_13select_configILj256ELj13ELNS0_17block_load_methodE3ELS4_3ELS4_3ELNS0_20block_scan_algorithmE0ELj4294967295EEENS1_25partition_config_selectorILNS1_17partition_subalgoE3EjNS0_10empty_typeEbEEZZNS1_14partition_implILS8_3ELb0ES6_jNS0_17counting_iteratorIjlEEPS9_SE_NS0_5tupleIJPjSE_EEENSF_IJSE_SE_EEES9_SG_JZNS1_25segmented_radix_sort_implINS0_14default_configELb0EPK6__halfPSL_PKlPlN2at6native12_GLOBAL__N_18offset_tEEE10hipError_tPvRmT1_PNSt15iterator_traitsISZ_E10value_typeET2_T3_PNS10_IS15_E10value_typeET4_jRbjT5_S1B_jjP12ihipStream_tbEUljE_EEESW_SX_SY_S15_S19_S1B_T6_T7_T9_mT8_S1D_bDpT10_ENKUlT_T0_E_clISt17integral_constantIbLb0EES1Q_EEDaS1L_S1M_EUlS1L_E_NS1_11comp_targetILNS1_3genE8ELNS1_11target_archE1030ELNS1_3gpuE2ELNS1_3repE0EEENS1_30default_config_static_selectorELNS0_4arch9wavefront6targetE0EEEvSZ_
                                        ; -- End function
	.section	.AMDGPU.csdata,"",@progbits
; Kernel info:
; codeLenInByte = 0
; NumSgprs: 0
; NumVgprs: 0
; ScratchSize: 0
; MemoryBound: 0
; FloatMode: 240
; IeeeMode: 1
; LDSByteSize: 0 bytes/workgroup (compile time only)
; SGPRBlocks: 0
; VGPRBlocks: 0
; NumSGPRsForWavesPerEU: 1
; NumVGPRsForWavesPerEU: 1
; Occupancy: 16
; WaveLimiterHint : 0
; COMPUTE_PGM_RSRC2:SCRATCH_EN: 0
; COMPUTE_PGM_RSRC2:USER_SGPR: 15
; COMPUTE_PGM_RSRC2:TRAP_HANDLER: 0
; COMPUTE_PGM_RSRC2:TGID_X_EN: 1
; COMPUTE_PGM_RSRC2:TGID_Y_EN: 0
; COMPUTE_PGM_RSRC2:TGID_Z_EN: 0
; COMPUTE_PGM_RSRC2:TIDIG_COMP_CNT: 0
	.section	.text._ZN7rocprim17ROCPRIM_400000_NS6detail17trampoline_kernelINS0_13select_configILj256ELj13ELNS0_17block_load_methodE3ELS4_3ELS4_3ELNS0_20block_scan_algorithmE0ELj4294967295EEENS1_25partition_config_selectorILNS1_17partition_subalgoE3EjNS0_10empty_typeEbEEZZNS1_14partition_implILS8_3ELb0ES6_jNS0_17counting_iteratorIjlEEPS9_SE_NS0_5tupleIJPjSE_EEENSF_IJSE_SE_EEES9_SG_JZNS1_25segmented_radix_sort_implINS0_14default_configELb0EPK6__halfPSL_PKlPlN2at6native12_GLOBAL__N_18offset_tEEE10hipError_tPvRmT1_PNSt15iterator_traitsISZ_E10value_typeET2_T3_PNS10_IS15_E10value_typeET4_jRbjT5_S1B_jjP12ihipStream_tbEUljE_EEESW_SX_SY_S15_S19_S1B_T6_T7_T9_mT8_S1D_bDpT10_ENKUlT_T0_E_clISt17integral_constantIbLb1EES1Q_EEDaS1L_S1M_EUlS1L_E_NS1_11comp_targetILNS1_3genE0ELNS1_11target_archE4294967295ELNS1_3gpuE0ELNS1_3repE0EEENS1_30default_config_static_selectorELNS0_4arch9wavefront6targetE0EEEvSZ_,"axG",@progbits,_ZN7rocprim17ROCPRIM_400000_NS6detail17trampoline_kernelINS0_13select_configILj256ELj13ELNS0_17block_load_methodE3ELS4_3ELS4_3ELNS0_20block_scan_algorithmE0ELj4294967295EEENS1_25partition_config_selectorILNS1_17partition_subalgoE3EjNS0_10empty_typeEbEEZZNS1_14partition_implILS8_3ELb0ES6_jNS0_17counting_iteratorIjlEEPS9_SE_NS0_5tupleIJPjSE_EEENSF_IJSE_SE_EEES9_SG_JZNS1_25segmented_radix_sort_implINS0_14default_configELb0EPK6__halfPSL_PKlPlN2at6native12_GLOBAL__N_18offset_tEEE10hipError_tPvRmT1_PNSt15iterator_traitsISZ_E10value_typeET2_T3_PNS10_IS15_E10value_typeET4_jRbjT5_S1B_jjP12ihipStream_tbEUljE_EEESW_SX_SY_S15_S19_S1B_T6_T7_T9_mT8_S1D_bDpT10_ENKUlT_T0_E_clISt17integral_constantIbLb1EES1Q_EEDaS1L_S1M_EUlS1L_E_NS1_11comp_targetILNS1_3genE0ELNS1_11target_archE4294967295ELNS1_3gpuE0ELNS1_3repE0EEENS1_30default_config_static_selectorELNS0_4arch9wavefront6targetE0EEEvSZ_,comdat
	.globl	_ZN7rocprim17ROCPRIM_400000_NS6detail17trampoline_kernelINS0_13select_configILj256ELj13ELNS0_17block_load_methodE3ELS4_3ELS4_3ELNS0_20block_scan_algorithmE0ELj4294967295EEENS1_25partition_config_selectorILNS1_17partition_subalgoE3EjNS0_10empty_typeEbEEZZNS1_14partition_implILS8_3ELb0ES6_jNS0_17counting_iteratorIjlEEPS9_SE_NS0_5tupleIJPjSE_EEENSF_IJSE_SE_EEES9_SG_JZNS1_25segmented_radix_sort_implINS0_14default_configELb0EPK6__halfPSL_PKlPlN2at6native12_GLOBAL__N_18offset_tEEE10hipError_tPvRmT1_PNSt15iterator_traitsISZ_E10value_typeET2_T3_PNS10_IS15_E10value_typeET4_jRbjT5_S1B_jjP12ihipStream_tbEUljE_EEESW_SX_SY_S15_S19_S1B_T6_T7_T9_mT8_S1D_bDpT10_ENKUlT_T0_E_clISt17integral_constantIbLb1EES1Q_EEDaS1L_S1M_EUlS1L_E_NS1_11comp_targetILNS1_3genE0ELNS1_11target_archE4294967295ELNS1_3gpuE0ELNS1_3repE0EEENS1_30default_config_static_selectorELNS0_4arch9wavefront6targetE0EEEvSZ_ ; -- Begin function _ZN7rocprim17ROCPRIM_400000_NS6detail17trampoline_kernelINS0_13select_configILj256ELj13ELNS0_17block_load_methodE3ELS4_3ELS4_3ELNS0_20block_scan_algorithmE0ELj4294967295EEENS1_25partition_config_selectorILNS1_17partition_subalgoE3EjNS0_10empty_typeEbEEZZNS1_14partition_implILS8_3ELb0ES6_jNS0_17counting_iteratorIjlEEPS9_SE_NS0_5tupleIJPjSE_EEENSF_IJSE_SE_EEES9_SG_JZNS1_25segmented_radix_sort_implINS0_14default_configELb0EPK6__halfPSL_PKlPlN2at6native12_GLOBAL__N_18offset_tEEE10hipError_tPvRmT1_PNSt15iterator_traitsISZ_E10value_typeET2_T3_PNS10_IS15_E10value_typeET4_jRbjT5_S1B_jjP12ihipStream_tbEUljE_EEESW_SX_SY_S15_S19_S1B_T6_T7_T9_mT8_S1D_bDpT10_ENKUlT_T0_E_clISt17integral_constantIbLb1EES1Q_EEDaS1L_S1M_EUlS1L_E_NS1_11comp_targetILNS1_3genE0ELNS1_11target_archE4294967295ELNS1_3gpuE0ELNS1_3repE0EEENS1_30default_config_static_selectorELNS0_4arch9wavefront6targetE0EEEvSZ_
	.p2align	8
	.type	_ZN7rocprim17ROCPRIM_400000_NS6detail17trampoline_kernelINS0_13select_configILj256ELj13ELNS0_17block_load_methodE3ELS4_3ELS4_3ELNS0_20block_scan_algorithmE0ELj4294967295EEENS1_25partition_config_selectorILNS1_17partition_subalgoE3EjNS0_10empty_typeEbEEZZNS1_14partition_implILS8_3ELb0ES6_jNS0_17counting_iteratorIjlEEPS9_SE_NS0_5tupleIJPjSE_EEENSF_IJSE_SE_EEES9_SG_JZNS1_25segmented_radix_sort_implINS0_14default_configELb0EPK6__halfPSL_PKlPlN2at6native12_GLOBAL__N_18offset_tEEE10hipError_tPvRmT1_PNSt15iterator_traitsISZ_E10value_typeET2_T3_PNS10_IS15_E10value_typeET4_jRbjT5_S1B_jjP12ihipStream_tbEUljE_EEESW_SX_SY_S15_S19_S1B_T6_T7_T9_mT8_S1D_bDpT10_ENKUlT_T0_E_clISt17integral_constantIbLb1EES1Q_EEDaS1L_S1M_EUlS1L_E_NS1_11comp_targetILNS1_3genE0ELNS1_11target_archE4294967295ELNS1_3gpuE0ELNS1_3repE0EEENS1_30default_config_static_selectorELNS0_4arch9wavefront6targetE0EEEvSZ_,@function
_ZN7rocprim17ROCPRIM_400000_NS6detail17trampoline_kernelINS0_13select_configILj256ELj13ELNS0_17block_load_methodE3ELS4_3ELS4_3ELNS0_20block_scan_algorithmE0ELj4294967295EEENS1_25partition_config_selectorILNS1_17partition_subalgoE3EjNS0_10empty_typeEbEEZZNS1_14partition_implILS8_3ELb0ES6_jNS0_17counting_iteratorIjlEEPS9_SE_NS0_5tupleIJPjSE_EEENSF_IJSE_SE_EEES9_SG_JZNS1_25segmented_radix_sort_implINS0_14default_configELb0EPK6__halfPSL_PKlPlN2at6native12_GLOBAL__N_18offset_tEEE10hipError_tPvRmT1_PNSt15iterator_traitsISZ_E10value_typeET2_T3_PNS10_IS15_E10value_typeET4_jRbjT5_S1B_jjP12ihipStream_tbEUljE_EEESW_SX_SY_S15_S19_S1B_T6_T7_T9_mT8_S1D_bDpT10_ENKUlT_T0_E_clISt17integral_constantIbLb1EES1Q_EEDaS1L_S1M_EUlS1L_E_NS1_11comp_targetILNS1_3genE0ELNS1_11target_archE4294967295ELNS1_3gpuE0ELNS1_3repE0EEENS1_30default_config_static_selectorELNS0_4arch9wavefront6targetE0EEEvSZ_: ; @_ZN7rocprim17ROCPRIM_400000_NS6detail17trampoline_kernelINS0_13select_configILj256ELj13ELNS0_17block_load_methodE3ELS4_3ELS4_3ELNS0_20block_scan_algorithmE0ELj4294967295EEENS1_25partition_config_selectorILNS1_17partition_subalgoE3EjNS0_10empty_typeEbEEZZNS1_14partition_implILS8_3ELb0ES6_jNS0_17counting_iteratorIjlEEPS9_SE_NS0_5tupleIJPjSE_EEENSF_IJSE_SE_EEES9_SG_JZNS1_25segmented_radix_sort_implINS0_14default_configELb0EPK6__halfPSL_PKlPlN2at6native12_GLOBAL__N_18offset_tEEE10hipError_tPvRmT1_PNSt15iterator_traitsISZ_E10value_typeET2_T3_PNS10_IS15_E10value_typeET4_jRbjT5_S1B_jjP12ihipStream_tbEUljE_EEESW_SX_SY_S15_S19_S1B_T6_T7_T9_mT8_S1D_bDpT10_ENKUlT_T0_E_clISt17integral_constantIbLb1EES1Q_EEDaS1L_S1M_EUlS1L_E_NS1_11comp_targetILNS1_3genE0ELNS1_11target_archE4294967295ELNS1_3gpuE0ELNS1_3repE0EEENS1_30default_config_static_selectorELNS0_4arch9wavefront6targetE0EEEvSZ_
; %bb.0:
	.section	.rodata,"a",@progbits
	.p2align	6, 0x0
	.amdhsa_kernel _ZN7rocprim17ROCPRIM_400000_NS6detail17trampoline_kernelINS0_13select_configILj256ELj13ELNS0_17block_load_methodE3ELS4_3ELS4_3ELNS0_20block_scan_algorithmE0ELj4294967295EEENS1_25partition_config_selectorILNS1_17partition_subalgoE3EjNS0_10empty_typeEbEEZZNS1_14partition_implILS8_3ELb0ES6_jNS0_17counting_iteratorIjlEEPS9_SE_NS0_5tupleIJPjSE_EEENSF_IJSE_SE_EEES9_SG_JZNS1_25segmented_radix_sort_implINS0_14default_configELb0EPK6__halfPSL_PKlPlN2at6native12_GLOBAL__N_18offset_tEEE10hipError_tPvRmT1_PNSt15iterator_traitsISZ_E10value_typeET2_T3_PNS10_IS15_E10value_typeET4_jRbjT5_S1B_jjP12ihipStream_tbEUljE_EEESW_SX_SY_S15_S19_S1B_T6_T7_T9_mT8_S1D_bDpT10_ENKUlT_T0_E_clISt17integral_constantIbLb1EES1Q_EEDaS1L_S1M_EUlS1L_E_NS1_11comp_targetILNS1_3genE0ELNS1_11target_archE4294967295ELNS1_3gpuE0ELNS1_3repE0EEENS1_30default_config_static_selectorELNS0_4arch9wavefront6targetE0EEEvSZ_
		.amdhsa_group_segment_fixed_size 0
		.amdhsa_private_segment_fixed_size 0
		.amdhsa_kernarg_size 152
		.amdhsa_user_sgpr_count 15
		.amdhsa_user_sgpr_dispatch_ptr 0
		.amdhsa_user_sgpr_queue_ptr 0
		.amdhsa_user_sgpr_kernarg_segment_ptr 1
		.amdhsa_user_sgpr_dispatch_id 0
		.amdhsa_user_sgpr_private_segment_size 0
		.amdhsa_wavefront_size32 1
		.amdhsa_uses_dynamic_stack 0
		.amdhsa_enable_private_segment 0
		.amdhsa_system_sgpr_workgroup_id_x 1
		.amdhsa_system_sgpr_workgroup_id_y 0
		.amdhsa_system_sgpr_workgroup_id_z 0
		.amdhsa_system_sgpr_workgroup_info 0
		.amdhsa_system_vgpr_workitem_id 0
		.amdhsa_next_free_vgpr 1
		.amdhsa_next_free_sgpr 1
		.amdhsa_reserve_vcc 0
		.amdhsa_float_round_mode_32 0
		.amdhsa_float_round_mode_16_64 0
		.amdhsa_float_denorm_mode_32 3
		.amdhsa_float_denorm_mode_16_64 3
		.amdhsa_dx10_clamp 1
		.amdhsa_ieee_mode 1
		.amdhsa_fp16_overflow 0
		.amdhsa_workgroup_processor_mode 1
		.amdhsa_memory_ordered 1
		.amdhsa_forward_progress 0
		.amdhsa_shared_vgpr_count 0
		.amdhsa_exception_fp_ieee_invalid_op 0
		.amdhsa_exception_fp_denorm_src 0
		.amdhsa_exception_fp_ieee_div_zero 0
		.amdhsa_exception_fp_ieee_overflow 0
		.amdhsa_exception_fp_ieee_underflow 0
		.amdhsa_exception_fp_ieee_inexact 0
		.amdhsa_exception_int_div_zero 0
	.end_amdhsa_kernel
	.section	.text._ZN7rocprim17ROCPRIM_400000_NS6detail17trampoline_kernelINS0_13select_configILj256ELj13ELNS0_17block_load_methodE3ELS4_3ELS4_3ELNS0_20block_scan_algorithmE0ELj4294967295EEENS1_25partition_config_selectorILNS1_17partition_subalgoE3EjNS0_10empty_typeEbEEZZNS1_14partition_implILS8_3ELb0ES6_jNS0_17counting_iteratorIjlEEPS9_SE_NS0_5tupleIJPjSE_EEENSF_IJSE_SE_EEES9_SG_JZNS1_25segmented_radix_sort_implINS0_14default_configELb0EPK6__halfPSL_PKlPlN2at6native12_GLOBAL__N_18offset_tEEE10hipError_tPvRmT1_PNSt15iterator_traitsISZ_E10value_typeET2_T3_PNS10_IS15_E10value_typeET4_jRbjT5_S1B_jjP12ihipStream_tbEUljE_EEESW_SX_SY_S15_S19_S1B_T6_T7_T9_mT8_S1D_bDpT10_ENKUlT_T0_E_clISt17integral_constantIbLb1EES1Q_EEDaS1L_S1M_EUlS1L_E_NS1_11comp_targetILNS1_3genE0ELNS1_11target_archE4294967295ELNS1_3gpuE0ELNS1_3repE0EEENS1_30default_config_static_selectorELNS0_4arch9wavefront6targetE0EEEvSZ_,"axG",@progbits,_ZN7rocprim17ROCPRIM_400000_NS6detail17trampoline_kernelINS0_13select_configILj256ELj13ELNS0_17block_load_methodE3ELS4_3ELS4_3ELNS0_20block_scan_algorithmE0ELj4294967295EEENS1_25partition_config_selectorILNS1_17partition_subalgoE3EjNS0_10empty_typeEbEEZZNS1_14partition_implILS8_3ELb0ES6_jNS0_17counting_iteratorIjlEEPS9_SE_NS0_5tupleIJPjSE_EEENSF_IJSE_SE_EEES9_SG_JZNS1_25segmented_radix_sort_implINS0_14default_configELb0EPK6__halfPSL_PKlPlN2at6native12_GLOBAL__N_18offset_tEEE10hipError_tPvRmT1_PNSt15iterator_traitsISZ_E10value_typeET2_T3_PNS10_IS15_E10value_typeET4_jRbjT5_S1B_jjP12ihipStream_tbEUljE_EEESW_SX_SY_S15_S19_S1B_T6_T7_T9_mT8_S1D_bDpT10_ENKUlT_T0_E_clISt17integral_constantIbLb1EES1Q_EEDaS1L_S1M_EUlS1L_E_NS1_11comp_targetILNS1_3genE0ELNS1_11target_archE4294967295ELNS1_3gpuE0ELNS1_3repE0EEENS1_30default_config_static_selectorELNS0_4arch9wavefront6targetE0EEEvSZ_,comdat
.Lfunc_end1818:
	.size	_ZN7rocprim17ROCPRIM_400000_NS6detail17trampoline_kernelINS0_13select_configILj256ELj13ELNS0_17block_load_methodE3ELS4_3ELS4_3ELNS0_20block_scan_algorithmE0ELj4294967295EEENS1_25partition_config_selectorILNS1_17partition_subalgoE3EjNS0_10empty_typeEbEEZZNS1_14partition_implILS8_3ELb0ES6_jNS0_17counting_iteratorIjlEEPS9_SE_NS0_5tupleIJPjSE_EEENSF_IJSE_SE_EEES9_SG_JZNS1_25segmented_radix_sort_implINS0_14default_configELb0EPK6__halfPSL_PKlPlN2at6native12_GLOBAL__N_18offset_tEEE10hipError_tPvRmT1_PNSt15iterator_traitsISZ_E10value_typeET2_T3_PNS10_IS15_E10value_typeET4_jRbjT5_S1B_jjP12ihipStream_tbEUljE_EEESW_SX_SY_S15_S19_S1B_T6_T7_T9_mT8_S1D_bDpT10_ENKUlT_T0_E_clISt17integral_constantIbLb1EES1Q_EEDaS1L_S1M_EUlS1L_E_NS1_11comp_targetILNS1_3genE0ELNS1_11target_archE4294967295ELNS1_3gpuE0ELNS1_3repE0EEENS1_30default_config_static_selectorELNS0_4arch9wavefront6targetE0EEEvSZ_, .Lfunc_end1818-_ZN7rocprim17ROCPRIM_400000_NS6detail17trampoline_kernelINS0_13select_configILj256ELj13ELNS0_17block_load_methodE3ELS4_3ELS4_3ELNS0_20block_scan_algorithmE0ELj4294967295EEENS1_25partition_config_selectorILNS1_17partition_subalgoE3EjNS0_10empty_typeEbEEZZNS1_14partition_implILS8_3ELb0ES6_jNS0_17counting_iteratorIjlEEPS9_SE_NS0_5tupleIJPjSE_EEENSF_IJSE_SE_EEES9_SG_JZNS1_25segmented_radix_sort_implINS0_14default_configELb0EPK6__halfPSL_PKlPlN2at6native12_GLOBAL__N_18offset_tEEE10hipError_tPvRmT1_PNSt15iterator_traitsISZ_E10value_typeET2_T3_PNS10_IS15_E10value_typeET4_jRbjT5_S1B_jjP12ihipStream_tbEUljE_EEESW_SX_SY_S15_S19_S1B_T6_T7_T9_mT8_S1D_bDpT10_ENKUlT_T0_E_clISt17integral_constantIbLb1EES1Q_EEDaS1L_S1M_EUlS1L_E_NS1_11comp_targetILNS1_3genE0ELNS1_11target_archE4294967295ELNS1_3gpuE0ELNS1_3repE0EEENS1_30default_config_static_selectorELNS0_4arch9wavefront6targetE0EEEvSZ_
                                        ; -- End function
	.section	.AMDGPU.csdata,"",@progbits
; Kernel info:
; codeLenInByte = 0
; NumSgprs: 0
; NumVgprs: 0
; ScratchSize: 0
; MemoryBound: 0
; FloatMode: 240
; IeeeMode: 1
; LDSByteSize: 0 bytes/workgroup (compile time only)
; SGPRBlocks: 0
; VGPRBlocks: 0
; NumSGPRsForWavesPerEU: 1
; NumVGPRsForWavesPerEU: 1
; Occupancy: 16
; WaveLimiterHint : 0
; COMPUTE_PGM_RSRC2:SCRATCH_EN: 0
; COMPUTE_PGM_RSRC2:USER_SGPR: 15
; COMPUTE_PGM_RSRC2:TRAP_HANDLER: 0
; COMPUTE_PGM_RSRC2:TGID_X_EN: 1
; COMPUTE_PGM_RSRC2:TGID_Y_EN: 0
; COMPUTE_PGM_RSRC2:TGID_Z_EN: 0
; COMPUTE_PGM_RSRC2:TIDIG_COMP_CNT: 0
	.section	.text._ZN7rocprim17ROCPRIM_400000_NS6detail17trampoline_kernelINS0_13select_configILj256ELj13ELNS0_17block_load_methodE3ELS4_3ELS4_3ELNS0_20block_scan_algorithmE0ELj4294967295EEENS1_25partition_config_selectorILNS1_17partition_subalgoE3EjNS0_10empty_typeEbEEZZNS1_14partition_implILS8_3ELb0ES6_jNS0_17counting_iteratorIjlEEPS9_SE_NS0_5tupleIJPjSE_EEENSF_IJSE_SE_EEES9_SG_JZNS1_25segmented_radix_sort_implINS0_14default_configELb0EPK6__halfPSL_PKlPlN2at6native12_GLOBAL__N_18offset_tEEE10hipError_tPvRmT1_PNSt15iterator_traitsISZ_E10value_typeET2_T3_PNS10_IS15_E10value_typeET4_jRbjT5_S1B_jjP12ihipStream_tbEUljE_EEESW_SX_SY_S15_S19_S1B_T6_T7_T9_mT8_S1D_bDpT10_ENKUlT_T0_E_clISt17integral_constantIbLb1EES1Q_EEDaS1L_S1M_EUlS1L_E_NS1_11comp_targetILNS1_3genE5ELNS1_11target_archE942ELNS1_3gpuE9ELNS1_3repE0EEENS1_30default_config_static_selectorELNS0_4arch9wavefront6targetE0EEEvSZ_,"axG",@progbits,_ZN7rocprim17ROCPRIM_400000_NS6detail17trampoline_kernelINS0_13select_configILj256ELj13ELNS0_17block_load_methodE3ELS4_3ELS4_3ELNS0_20block_scan_algorithmE0ELj4294967295EEENS1_25partition_config_selectorILNS1_17partition_subalgoE3EjNS0_10empty_typeEbEEZZNS1_14partition_implILS8_3ELb0ES6_jNS0_17counting_iteratorIjlEEPS9_SE_NS0_5tupleIJPjSE_EEENSF_IJSE_SE_EEES9_SG_JZNS1_25segmented_radix_sort_implINS0_14default_configELb0EPK6__halfPSL_PKlPlN2at6native12_GLOBAL__N_18offset_tEEE10hipError_tPvRmT1_PNSt15iterator_traitsISZ_E10value_typeET2_T3_PNS10_IS15_E10value_typeET4_jRbjT5_S1B_jjP12ihipStream_tbEUljE_EEESW_SX_SY_S15_S19_S1B_T6_T7_T9_mT8_S1D_bDpT10_ENKUlT_T0_E_clISt17integral_constantIbLb1EES1Q_EEDaS1L_S1M_EUlS1L_E_NS1_11comp_targetILNS1_3genE5ELNS1_11target_archE942ELNS1_3gpuE9ELNS1_3repE0EEENS1_30default_config_static_selectorELNS0_4arch9wavefront6targetE0EEEvSZ_,comdat
	.globl	_ZN7rocprim17ROCPRIM_400000_NS6detail17trampoline_kernelINS0_13select_configILj256ELj13ELNS0_17block_load_methodE3ELS4_3ELS4_3ELNS0_20block_scan_algorithmE0ELj4294967295EEENS1_25partition_config_selectorILNS1_17partition_subalgoE3EjNS0_10empty_typeEbEEZZNS1_14partition_implILS8_3ELb0ES6_jNS0_17counting_iteratorIjlEEPS9_SE_NS0_5tupleIJPjSE_EEENSF_IJSE_SE_EEES9_SG_JZNS1_25segmented_radix_sort_implINS0_14default_configELb0EPK6__halfPSL_PKlPlN2at6native12_GLOBAL__N_18offset_tEEE10hipError_tPvRmT1_PNSt15iterator_traitsISZ_E10value_typeET2_T3_PNS10_IS15_E10value_typeET4_jRbjT5_S1B_jjP12ihipStream_tbEUljE_EEESW_SX_SY_S15_S19_S1B_T6_T7_T9_mT8_S1D_bDpT10_ENKUlT_T0_E_clISt17integral_constantIbLb1EES1Q_EEDaS1L_S1M_EUlS1L_E_NS1_11comp_targetILNS1_3genE5ELNS1_11target_archE942ELNS1_3gpuE9ELNS1_3repE0EEENS1_30default_config_static_selectorELNS0_4arch9wavefront6targetE0EEEvSZ_ ; -- Begin function _ZN7rocprim17ROCPRIM_400000_NS6detail17trampoline_kernelINS0_13select_configILj256ELj13ELNS0_17block_load_methodE3ELS4_3ELS4_3ELNS0_20block_scan_algorithmE0ELj4294967295EEENS1_25partition_config_selectorILNS1_17partition_subalgoE3EjNS0_10empty_typeEbEEZZNS1_14partition_implILS8_3ELb0ES6_jNS0_17counting_iteratorIjlEEPS9_SE_NS0_5tupleIJPjSE_EEENSF_IJSE_SE_EEES9_SG_JZNS1_25segmented_radix_sort_implINS0_14default_configELb0EPK6__halfPSL_PKlPlN2at6native12_GLOBAL__N_18offset_tEEE10hipError_tPvRmT1_PNSt15iterator_traitsISZ_E10value_typeET2_T3_PNS10_IS15_E10value_typeET4_jRbjT5_S1B_jjP12ihipStream_tbEUljE_EEESW_SX_SY_S15_S19_S1B_T6_T7_T9_mT8_S1D_bDpT10_ENKUlT_T0_E_clISt17integral_constantIbLb1EES1Q_EEDaS1L_S1M_EUlS1L_E_NS1_11comp_targetILNS1_3genE5ELNS1_11target_archE942ELNS1_3gpuE9ELNS1_3repE0EEENS1_30default_config_static_selectorELNS0_4arch9wavefront6targetE0EEEvSZ_
	.p2align	8
	.type	_ZN7rocprim17ROCPRIM_400000_NS6detail17trampoline_kernelINS0_13select_configILj256ELj13ELNS0_17block_load_methodE3ELS4_3ELS4_3ELNS0_20block_scan_algorithmE0ELj4294967295EEENS1_25partition_config_selectorILNS1_17partition_subalgoE3EjNS0_10empty_typeEbEEZZNS1_14partition_implILS8_3ELb0ES6_jNS0_17counting_iteratorIjlEEPS9_SE_NS0_5tupleIJPjSE_EEENSF_IJSE_SE_EEES9_SG_JZNS1_25segmented_radix_sort_implINS0_14default_configELb0EPK6__halfPSL_PKlPlN2at6native12_GLOBAL__N_18offset_tEEE10hipError_tPvRmT1_PNSt15iterator_traitsISZ_E10value_typeET2_T3_PNS10_IS15_E10value_typeET4_jRbjT5_S1B_jjP12ihipStream_tbEUljE_EEESW_SX_SY_S15_S19_S1B_T6_T7_T9_mT8_S1D_bDpT10_ENKUlT_T0_E_clISt17integral_constantIbLb1EES1Q_EEDaS1L_S1M_EUlS1L_E_NS1_11comp_targetILNS1_3genE5ELNS1_11target_archE942ELNS1_3gpuE9ELNS1_3repE0EEENS1_30default_config_static_selectorELNS0_4arch9wavefront6targetE0EEEvSZ_,@function
_ZN7rocprim17ROCPRIM_400000_NS6detail17trampoline_kernelINS0_13select_configILj256ELj13ELNS0_17block_load_methodE3ELS4_3ELS4_3ELNS0_20block_scan_algorithmE0ELj4294967295EEENS1_25partition_config_selectorILNS1_17partition_subalgoE3EjNS0_10empty_typeEbEEZZNS1_14partition_implILS8_3ELb0ES6_jNS0_17counting_iteratorIjlEEPS9_SE_NS0_5tupleIJPjSE_EEENSF_IJSE_SE_EEES9_SG_JZNS1_25segmented_radix_sort_implINS0_14default_configELb0EPK6__halfPSL_PKlPlN2at6native12_GLOBAL__N_18offset_tEEE10hipError_tPvRmT1_PNSt15iterator_traitsISZ_E10value_typeET2_T3_PNS10_IS15_E10value_typeET4_jRbjT5_S1B_jjP12ihipStream_tbEUljE_EEESW_SX_SY_S15_S19_S1B_T6_T7_T9_mT8_S1D_bDpT10_ENKUlT_T0_E_clISt17integral_constantIbLb1EES1Q_EEDaS1L_S1M_EUlS1L_E_NS1_11comp_targetILNS1_3genE5ELNS1_11target_archE942ELNS1_3gpuE9ELNS1_3repE0EEENS1_30default_config_static_selectorELNS0_4arch9wavefront6targetE0EEEvSZ_: ; @_ZN7rocprim17ROCPRIM_400000_NS6detail17trampoline_kernelINS0_13select_configILj256ELj13ELNS0_17block_load_methodE3ELS4_3ELS4_3ELNS0_20block_scan_algorithmE0ELj4294967295EEENS1_25partition_config_selectorILNS1_17partition_subalgoE3EjNS0_10empty_typeEbEEZZNS1_14partition_implILS8_3ELb0ES6_jNS0_17counting_iteratorIjlEEPS9_SE_NS0_5tupleIJPjSE_EEENSF_IJSE_SE_EEES9_SG_JZNS1_25segmented_radix_sort_implINS0_14default_configELb0EPK6__halfPSL_PKlPlN2at6native12_GLOBAL__N_18offset_tEEE10hipError_tPvRmT1_PNSt15iterator_traitsISZ_E10value_typeET2_T3_PNS10_IS15_E10value_typeET4_jRbjT5_S1B_jjP12ihipStream_tbEUljE_EEESW_SX_SY_S15_S19_S1B_T6_T7_T9_mT8_S1D_bDpT10_ENKUlT_T0_E_clISt17integral_constantIbLb1EES1Q_EEDaS1L_S1M_EUlS1L_E_NS1_11comp_targetILNS1_3genE5ELNS1_11target_archE942ELNS1_3gpuE9ELNS1_3repE0EEENS1_30default_config_static_selectorELNS0_4arch9wavefront6targetE0EEEvSZ_
; %bb.0:
	.section	.rodata,"a",@progbits
	.p2align	6, 0x0
	.amdhsa_kernel _ZN7rocprim17ROCPRIM_400000_NS6detail17trampoline_kernelINS0_13select_configILj256ELj13ELNS0_17block_load_methodE3ELS4_3ELS4_3ELNS0_20block_scan_algorithmE0ELj4294967295EEENS1_25partition_config_selectorILNS1_17partition_subalgoE3EjNS0_10empty_typeEbEEZZNS1_14partition_implILS8_3ELb0ES6_jNS0_17counting_iteratorIjlEEPS9_SE_NS0_5tupleIJPjSE_EEENSF_IJSE_SE_EEES9_SG_JZNS1_25segmented_radix_sort_implINS0_14default_configELb0EPK6__halfPSL_PKlPlN2at6native12_GLOBAL__N_18offset_tEEE10hipError_tPvRmT1_PNSt15iterator_traitsISZ_E10value_typeET2_T3_PNS10_IS15_E10value_typeET4_jRbjT5_S1B_jjP12ihipStream_tbEUljE_EEESW_SX_SY_S15_S19_S1B_T6_T7_T9_mT8_S1D_bDpT10_ENKUlT_T0_E_clISt17integral_constantIbLb1EES1Q_EEDaS1L_S1M_EUlS1L_E_NS1_11comp_targetILNS1_3genE5ELNS1_11target_archE942ELNS1_3gpuE9ELNS1_3repE0EEENS1_30default_config_static_selectorELNS0_4arch9wavefront6targetE0EEEvSZ_
		.amdhsa_group_segment_fixed_size 0
		.amdhsa_private_segment_fixed_size 0
		.amdhsa_kernarg_size 152
		.amdhsa_user_sgpr_count 15
		.amdhsa_user_sgpr_dispatch_ptr 0
		.amdhsa_user_sgpr_queue_ptr 0
		.amdhsa_user_sgpr_kernarg_segment_ptr 1
		.amdhsa_user_sgpr_dispatch_id 0
		.amdhsa_user_sgpr_private_segment_size 0
		.amdhsa_wavefront_size32 1
		.amdhsa_uses_dynamic_stack 0
		.amdhsa_enable_private_segment 0
		.amdhsa_system_sgpr_workgroup_id_x 1
		.amdhsa_system_sgpr_workgroup_id_y 0
		.amdhsa_system_sgpr_workgroup_id_z 0
		.amdhsa_system_sgpr_workgroup_info 0
		.amdhsa_system_vgpr_workitem_id 0
		.amdhsa_next_free_vgpr 1
		.amdhsa_next_free_sgpr 1
		.amdhsa_reserve_vcc 0
		.amdhsa_float_round_mode_32 0
		.amdhsa_float_round_mode_16_64 0
		.amdhsa_float_denorm_mode_32 3
		.amdhsa_float_denorm_mode_16_64 3
		.amdhsa_dx10_clamp 1
		.amdhsa_ieee_mode 1
		.amdhsa_fp16_overflow 0
		.amdhsa_workgroup_processor_mode 1
		.amdhsa_memory_ordered 1
		.amdhsa_forward_progress 0
		.amdhsa_shared_vgpr_count 0
		.amdhsa_exception_fp_ieee_invalid_op 0
		.amdhsa_exception_fp_denorm_src 0
		.amdhsa_exception_fp_ieee_div_zero 0
		.amdhsa_exception_fp_ieee_overflow 0
		.amdhsa_exception_fp_ieee_underflow 0
		.amdhsa_exception_fp_ieee_inexact 0
		.amdhsa_exception_int_div_zero 0
	.end_amdhsa_kernel
	.section	.text._ZN7rocprim17ROCPRIM_400000_NS6detail17trampoline_kernelINS0_13select_configILj256ELj13ELNS0_17block_load_methodE3ELS4_3ELS4_3ELNS0_20block_scan_algorithmE0ELj4294967295EEENS1_25partition_config_selectorILNS1_17partition_subalgoE3EjNS0_10empty_typeEbEEZZNS1_14partition_implILS8_3ELb0ES6_jNS0_17counting_iteratorIjlEEPS9_SE_NS0_5tupleIJPjSE_EEENSF_IJSE_SE_EEES9_SG_JZNS1_25segmented_radix_sort_implINS0_14default_configELb0EPK6__halfPSL_PKlPlN2at6native12_GLOBAL__N_18offset_tEEE10hipError_tPvRmT1_PNSt15iterator_traitsISZ_E10value_typeET2_T3_PNS10_IS15_E10value_typeET4_jRbjT5_S1B_jjP12ihipStream_tbEUljE_EEESW_SX_SY_S15_S19_S1B_T6_T7_T9_mT8_S1D_bDpT10_ENKUlT_T0_E_clISt17integral_constantIbLb1EES1Q_EEDaS1L_S1M_EUlS1L_E_NS1_11comp_targetILNS1_3genE5ELNS1_11target_archE942ELNS1_3gpuE9ELNS1_3repE0EEENS1_30default_config_static_selectorELNS0_4arch9wavefront6targetE0EEEvSZ_,"axG",@progbits,_ZN7rocprim17ROCPRIM_400000_NS6detail17trampoline_kernelINS0_13select_configILj256ELj13ELNS0_17block_load_methodE3ELS4_3ELS4_3ELNS0_20block_scan_algorithmE0ELj4294967295EEENS1_25partition_config_selectorILNS1_17partition_subalgoE3EjNS0_10empty_typeEbEEZZNS1_14partition_implILS8_3ELb0ES6_jNS0_17counting_iteratorIjlEEPS9_SE_NS0_5tupleIJPjSE_EEENSF_IJSE_SE_EEES9_SG_JZNS1_25segmented_radix_sort_implINS0_14default_configELb0EPK6__halfPSL_PKlPlN2at6native12_GLOBAL__N_18offset_tEEE10hipError_tPvRmT1_PNSt15iterator_traitsISZ_E10value_typeET2_T3_PNS10_IS15_E10value_typeET4_jRbjT5_S1B_jjP12ihipStream_tbEUljE_EEESW_SX_SY_S15_S19_S1B_T6_T7_T9_mT8_S1D_bDpT10_ENKUlT_T0_E_clISt17integral_constantIbLb1EES1Q_EEDaS1L_S1M_EUlS1L_E_NS1_11comp_targetILNS1_3genE5ELNS1_11target_archE942ELNS1_3gpuE9ELNS1_3repE0EEENS1_30default_config_static_selectorELNS0_4arch9wavefront6targetE0EEEvSZ_,comdat
.Lfunc_end1819:
	.size	_ZN7rocprim17ROCPRIM_400000_NS6detail17trampoline_kernelINS0_13select_configILj256ELj13ELNS0_17block_load_methodE3ELS4_3ELS4_3ELNS0_20block_scan_algorithmE0ELj4294967295EEENS1_25partition_config_selectorILNS1_17partition_subalgoE3EjNS0_10empty_typeEbEEZZNS1_14partition_implILS8_3ELb0ES6_jNS0_17counting_iteratorIjlEEPS9_SE_NS0_5tupleIJPjSE_EEENSF_IJSE_SE_EEES9_SG_JZNS1_25segmented_radix_sort_implINS0_14default_configELb0EPK6__halfPSL_PKlPlN2at6native12_GLOBAL__N_18offset_tEEE10hipError_tPvRmT1_PNSt15iterator_traitsISZ_E10value_typeET2_T3_PNS10_IS15_E10value_typeET4_jRbjT5_S1B_jjP12ihipStream_tbEUljE_EEESW_SX_SY_S15_S19_S1B_T6_T7_T9_mT8_S1D_bDpT10_ENKUlT_T0_E_clISt17integral_constantIbLb1EES1Q_EEDaS1L_S1M_EUlS1L_E_NS1_11comp_targetILNS1_3genE5ELNS1_11target_archE942ELNS1_3gpuE9ELNS1_3repE0EEENS1_30default_config_static_selectorELNS0_4arch9wavefront6targetE0EEEvSZ_, .Lfunc_end1819-_ZN7rocprim17ROCPRIM_400000_NS6detail17trampoline_kernelINS0_13select_configILj256ELj13ELNS0_17block_load_methodE3ELS4_3ELS4_3ELNS0_20block_scan_algorithmE0ELj4294967295EEENS1_25partition_config_selectorILNS1_17partition_subalgoE3EjNS0_10empty_typeEbEEZZNS1_14partition_implILS8_3ELb0ES6_jNS0_17counting_iteratorIjlEEPS9_SE_NS0_5tupleIJPjSE_EEENSF_IJSE_SE_EEES9_SG_JZNS1_25segmented_radix_sort_implINS0_14default_configELb0EPK6__halfPSL_PKlPlN2at6native12_GLOBAL__N_18offset_tEEE10hipError_tPvRmT1_PNSt15iterator_traitsISZ_E10value_typeET2_T3_PNS10_IS15_E10value_typeET4_jRbjT5_S1B_jjP12ihipStream_tbEUljE_EEESW_SX_SY_S15_S19_S1B_T6_T7_T9_mT8_S1D_bDpT10_ENKUlT_T0_E_clISt17integral_constantIbLb1EES1Q_EEDaS1L_S1M_EUlS1L_E_NS1_11comp_targetILNS1_3genE5ELNS1_11target_archE942ELNS1_3gpuE9ELNS1_3repE0EEENS1_30default_config_static_selectorELNS0_4arch9wavefront6targetE0EEEvSZ_
                                        ; -- End function
	.section	.AMDGPU.csdata,"",@progbits
; Kernel info:
; codeLenInByte = 0
; NumSgprs: 0
; NumVgprs: 0
; ScratchSize: 0
; MemoryBound: 0
; FloatMode: 240
; IeeeMode: 1
; LDSByteSize: 0 bytes/workgroup (compile time only)
; SGPRBlocks: 0
; VGPRBlocks: 0
; NumSGPRsForWavesPerEU: 1
; NumVGPRsForWavesPerEU: 1
; Occupancy: 16
; WaveLimiterHint : 0
; COMPUTE_PGM_RSRC2:SCRATCH_EN: 0
; COMPUTE_PGM_RSRC2:USER_SGPR: 15
; COMPUTE_PGM_RSRC2:TRAP_HANDLER: 0
; COMPUTE_PGM_RSRC2:TGID_X_EN: 1
; COMPUTE_PGM_RSRC2:TGID_Y_EN: 0
; COMPUTE_PGM_RSRC2:TGID_Z_EN: 0
; COMPUTE_PGM_RSRC2:TIDIG_COMP_CNT: 0
	.section	.text._ZN7rocprim17ROCPRIM_400000_NS6detail17trampoline_kernelINS0_13select_configILj256ELj13ELNS0_17block_load_methodE3ELS4_3ELS4_3ELNS0_20block_scan_algorithmE0ELj4294967295EEENS1_25partition_config_selectorILNS1_17partition_subalgoE3EjNS0_10empty_typeEbEEZZNS1_14partition_implILS8_3ELb0ES6_jNS0_17counting_iteratorIjlEEPS9_SE_NS0_5tupleIJPjSE_EEENSF_IJSE_SE_EEES9_SG_JZNS1_25segmented_radix_sort_implINS0_14default_configELb0EPK6__halfPSL_PKlPlN2at6native12_GLOBAL__N_18offset_tEEE10hipError_tPvRmT1_PNSt15iterator_traitsISZ_E10value_typeET2_T3_PNS10_IS15_E10value_typeET4_jRbjT5_S1B_jjP12ihipStream_tbEUljE_EEESW_SX_SY_S15_S19_S1B_T6_T7_T9_mT8_S1D_bDpT10_ENKUlT_T0_E_clISt17integral_constantIbLb1EES1Q_EEDaS1L_S1M_EUlS1L_E_NS1_11comp_targetILNS1_3genE4ELNS1_11target_archE910ELNS1_3gpuE8ELNS1_3repE0EEENS1_30default_config_static_selectorELNS0_4arch9wavefront6targetE0EEEvSZ_,"axG",@progbits,_ZN7rocprim17ROCPRIM_400000_NS6detail17trampoline_kernelINS0_13select_configILj256ELj13ELNS0_17block_load_methodE3ELS4_3ELS4_3ELNS0_20block_scan_algorithmE0ELj4294967295EEENS1_25partition_config_selectorILNS1_17partition_subalgoE3EjNS0_10empty_typeEbEEZZNS1_14partition_implILS8_3ELb0ES6_jNS0_17counting_iteratorIjlEEPS9_SE_NS0_5tupleIJPjSE_EEENSF_IJSE_SE_EEES9_SG_JZNS1_25segmented_radix_sort_implINS0_14default_configELb0EPK6__halfPSL_PKlPlN2at6native12_GLOBAL__N_18offset_tEEE10hipError_tPvRmT1_PNSt15iterator_traitsISZ_E10value_typeET2_T3_PNS10_IS15_E10value_typeET4_jRbjT5_S1B_jjP12ihipStream_tbEUljE_EEESW_SX_SY_S15_S19_S1B_T6_T7_T9_mT8_S1D_bDpT10_ENKUlT_T0_E_clISt17integral_constantIbLb1EES1Q_EEDaS1L_S1M_EUlS1L_E_NS1_11comp_targetILNS1_3genE4ELNS1_11target_archE910ELNS1_3gpuE8ELNS1_3repE0EEENS1_30default_config_static_selectorELNS0_4arch9wavefront6targetE0EEEvSZ_,comdat
	.globl	_ZN7rocprim17ROCPRIM_400000_NS6detail17trampoline_kernelINS0_13select_configILj256ELj13ELNS0_17block_load_methodE3ELS4_3ELS4_3ELNS0_20block_scan_algorithmE0ELj4294967295EEENS1_25partition_config_selectorILNS1_17partition_subalgoE3EjNS0_10empty_typeEbEEZZNS1_14partition_implILS8_3ELb0ES6_jNS0_17counting_iteratorIjlEEPS9_SE_NS0_5tupleIJPjSE_EEENSF_IJSE_SE_EEES9_SG_JZNS1_25segmented_radix_sort_implINS0_14default_configELb0EPK6__halfPSL_PKlPlN2at6native12_GLOBAL__N_18offset_tEEE10hipError_tPvRmT1_PNSt15iterator_traitsISZ_E10value_typeET2_T3_PNS10_IS15_E10value_typeET4_jRbjT5_S1B_jjP12ihipStream_tbEUljE_EEESW_SX_SY_S15_S19_S1B_T6_T7_T9_mT8_S1D_bDpT10_ENKUlT_T0_E_clISt17integral_constantIbLb1EES1Q_EEDaS1L_S1M_EUlS1L_E_NS1_11comp_targetILNS1_3genE4ELNS1_11target_archE910ELNS1_3gpuE8ELNS1_3repE0EEENS1_30default_config_static_selectorELNS0_4arch9wavefront6targetE0EEEvSZ_ ; -- Begin function _ZN7rocprim17ROCPRIM_400000_NS6detail17trampoline_kernelINS0_13select_configILj256ELj13ELNS0_17block_load_methodE3ELS4_3ELS4_3ELNS0_20block_scan_algorithmE0ELj4294967295EEENS1_25partition_config_selectorILNS1_17partition_subalgoE3EjNS0_10empty_typeEbEEZZNS1_14partition_implILS8_3ELb0ES6_jNS0_17counting_iteratorIjlEEPS9_SE_NS0_5tupleIJPjSE_EEENSF_IJSE_SE_EEES9_SG_JZNS1_25segmented_radix_sort_implINS0_14default_configELb0EPK6__halfPSL_PKlPlN2at6native12_GLOBAL__N_18offset_tEEE10hipError_tPvRmT1_PNSt15iterator_traitsISZ_E10value_typeET2_T3_PNS10_IS15_E10value_typeET4_jRbjT5_S1B_jjP12ihipStream_tbEUljE_EEESW_SX_SY_S15_S19_S1B_T6_T7_T9_mT8_S1D_bDpT10_ENKUlT_T0_E_clISt17integral_constantIbLb1EES1Q_EEDaS1L_S1M_EUlS1L_E_NS1_11comp_targetILNS1_3genE4ELNS1_11target_archE910ELNS1_3gpuE8ELNS1_3repE0EEENS1_30default_config_static_selectorELNS0_4arch9wavefront6targetE0EEEvSZ_
	.p2align	8
	.type	_ZN7rocprim17ROCPRIM_400000_NS6detail17trampoline_kernelINS0_13select_configILj256ELj13ELNS0_17block_load_methodE3ELS4_3ELS4_3ELNS0_20block_scan_algorithmE0ELj4294967295EEENS1_25partition_config_selectorILNS1_17partition_subalgoE3EjNS0_10empty_typeEbEEZZNS1_14partition_implILS8_3ELb0ES6_jNS0_17counting_iteratorIjlEEPS9_SE_NS0_5tupleIJPjSE_EEENSF_IJSE_SE_EEES9_SG_JZNS1_25segmented_radix_sort_implINS0_14default_configELb0EPK6__halfPSL_PKlPlN2at6native12_GLOBAL__N_18offset_tEEE10hipError_tPvRmT1_PNSt15iterator_traitsISZ_E10value_typeET2_T3_PNS10_IS15_E10value_typeET4_jRbjT5_S1B_jjP12ihipStream_tbEUljE_EEESW_SX_SY_S15_S19_S1B_T6_T7_T9_mT8_S1D_bDpT10_ENKUlT_T0_E_clISt17integral_constantIbLb1EES1Q_EEDaS1L_S1M_EUlS1L_E_NS1_11comp_targetILNS1_3genE4ELNS1_11target_archE910ELNS1_3gpuE8ELNS1_3repE0EEENS1_30default_config_static_selectorELNS0_4arch9wavefront6targetE0EEEvSZ_,@function
_ZN7rocprim17ROCPRIM_400000_NS6detail17trampoline_kernelINS0_13select_configILj256ELj13ELNS0_17block_load_methodE3ELS4_3ELS4_3ELNS0_20block_scan_algorithmE0ELj4294967295EEENS1_25partition_config_selectorILNS1_17partition_subalgoE3EjNS0_10empty_typeEbEEZZNS1_14partition_implILS8_3ELb0ES6_jNS0_17counting_iteratorIjlEEPS9_SE_NS0_5tupleIJPjSE_EEENSF_IJSE_SE_EEES9_SG_JZNS1_25segmented_radix_sort_implINS0_14default_configELb0EPK6__halfPSL_PKlPlN2at6native12_GLOBAL__N_18offset_tEEE10hipError_tPvRmT1_PNSt15iterator_traitsISZ_E10value_typeET2_T3_PNS10_IS15_E10value_typeET4_jRbjT5_S1B_jjP12ihipStream_tbEUljE_EEESW_SX_SY_S15_S19_S1B_T6_T7_T9_mT8_S1D_bDpT10_ENKUlT_T0_E_clISt17integral_constantIbLb1EES1Q_EEDaS1L_S1M_EUlS1L_E_NS1_11comp_targetILNS1_3genE4ELNS1_11target_archE910ELNS1_3gpuE8ELNS1_3repE0EEENS1_30default_config_static_selectorELNS0_4arch9wavefront6targetE0EEEvSZ_: ; @_ZN7rocprim17ROCPRIM_400000_NS6detail17trampoline_kernelINS0_13select_configILj256ELj13ELNS0_17block_load_methodE3ELS4_3ELS4_3ELNS0_20block_scan_algorithmE0ELj4294967295EEENS1_25partition_config_selectorILNS1_17partition_subalgoE3EjNS0_10empty_typeEbEEZZNS1_14partition_implILS8_3ELb0ES6_jNS0_17counting_iteratorIjlEEPS9_SE_NS0_5tupleIJPjSE_EEENSF_IJSE_SE_EEES9_SG_JZNS1_25segmented_radix_sort_implINS0_14default_configELb0EPK6__halfPSL_PKlPlN2at6native12_GLOBAL__N_18offset_tEEE10hipError_tPvRmT1_PNSt15iterator_traitsISZ_E10value_typeET2_T3_PNS10_IS15_E10value_typeET4_jRbjT5_S1B_jjP12ihipStream_tbEUljE_EEESW_SX_SY_S15_S19_S1B_T6_T7_T9_mT8_S1D_bDpT10_ENKUlT_T0_E_clISt17integral_constantIbLb1EES1Q_EEDaS1L_S1M_EUlS1L_E_NS1_11comp_targetILNS1_3genE4ELNS1_11target_archE910ELNS1_3gpuE8ELNS1_3repE0EEENS1_30default_config_static_selectorELNS0_4arch9wavefront6targetE0EEEvSZ_
; %bb.0:
	.section	.rodata,"a",@progbits
	.p2align	6, 0x0
	.amdhsa_kernel _ZN7rocprim17ROCPRIM_400000_NS6detail17trampoline_kernelINS0_13select_configILj256ELj13ELNS0_17block_load_methodE3ELS4_3ELS4_3ELNS0_20block_scan_algorithmE0ELj4294967295EEENS1_25partition_config_selectorILNS1_17partition_subalgoE3EjNS0_10empty_typeEbEEZZNS1_14partition_implILS8_3ELb0ES6_jNS0_17counting_iteratorIjlEEPS9_SE_NS0_5tupleIJPjSE_EEENSF_IJSE_SE_EEES9_SG_JZNS1_25segmented_radix_sort_implINS0_14default_configELb0EPK6__halfPSL_PKlPlN2at6native12_GLOBAL__N_18offset_tEEE10hipError_tPvRmT1_PNSt15iterator_traitsISZ_E10value_typeET2_T3_PNS10_IS15_E10value_typeET4_jRbjT5_S1B_jjP12ihipStream_tbEUljE_EEESW_SX_SY_S15_S19_S1B_T6_T7_T9_mT8_S1D_bDpT10_ENKUlT_T0_E_clISt17integral_constantIbLb1EES1Q_EEDaS1L_S1M_EUlS1L_E_NS1_11comp_targetILNS1_3genE4ELNS1_11target_archE910ELNS1_3gpuE8ELNS1_3repE0EEENS1_30default_config_static_selectorELNS0_4arch9wavefront6targetE0EEEvSZ_
		.amdhsa_group_segment_fixed_size 0
		.amdhsa_private_segment_fixed_size 0
		.amdhsa_kernarg_size 152
		.amdhsa_user_sgpr_count 15
		.amdhsa_user_sgpr_dispatch_ptr 0
		.amdhsa_user_sgpr_queue_ptr 0
		.amdhsa_user_sgpr_kernarg_segment_ptr 1
		.amdhsa_user_sgpr_dispatch_id 0
		.amdhsa_user_sgpr_private_segment_size 0
		.amdhsa_wavefront_size32 1
		.amdhsa_uses_dynamic_stack 0
		.amdhsa_enable_private_segment 0
		.amdhsa_system_sgpr_workgroup_id_x 1
		.amdhsa_system_sgpr_workgroup_id_y 0
		.amdhsa_system_sgpr_workgroup_id_z 0
		.amdhsa_system_sgpr_workgroup_info 0
		.amdhsa_system_vgpr_workitem_id 0
		.amdhsa_next_free_vgpr 1
		.amdhsa_next_free_sgpr 1
		.amdhsa_reserve_vcc 0
		.amdhsa_float_round_mode_32 0
		.amdhsa_float_round_mode_16_64 0
		.amdhsa_float_denorm_mode_32 3
		.amdhsa_float_denorm_mode_16_64 3
		.amdhsa_dx10_clamp 1
		.amdhsa_ieee_mode 1
		.amdhsa_fp16_overflow 0
		.amdhsa_workgroup_processor_mode 1
		.amdhsa_memory_ordered 1
		.amdhsa_forward_progress 0
		.amdhsa_shared_vgpr_count 0
		.amdhsa_exception_fp_ieee_invalid_op 0
		.amdhsa_exception_fp_denorm_src 0
		.amdhsa_exception_fp_ieee_div_zero 0
		.amdhsa_exception_fp_ieee_overflow 0
		.amdhsa_exception_fp_ieee_underflow 0
		.amdhsa_exception_fp_ieee_inexact 0
		.amdhsa_exception_int_div_zero 0
	.end_amdhsa_kernel
	.section	.text._ZN7rocprim17ROCPRIM_400000_NS6detail17trampoline_kernelINS0_13select_configILj256ELj13ELNS0_17block_load_methodE3ELS4_3ELS4_3ELNS0_20block_scan_algorithmE0ELj4294967295EEENS1_25partition_config_selectorILNS1_17partition_subalgoE3EjNS0_10empty_typeEbEEZZNS1_14partition_implILS8_3ELb0ES6_jNS0_17counting_iteratorIjlEEPS9_SE_NS0_5tupleIJPjSE_EEENSF_IJSE_SE_EEES9_SG_JZNS1_25segmented_radix_sort_implINS0_14default_configELb0EPK6__halfPSL_PKlPlN2at6native12_GLOBAL__N_18offset_tEEE10hipError_tPvRmT1_PNSt15iterator_traitsISZ_E10value_typeET2_T3_PNS10_IS15_E10value_typeET4_jRbjT5_S1B_jjP12ihipStream_tbEUljE_EEESW_SX_SY_S15_S19_S1B_T6_T7_T9_mT8_S1D_bDpT10_ENKUlT_T0_E_clISt17integral_constantIbLb1EES1Q_EEDaS1L_S1M_EUlS1L_E_NS1_11comp_targetILNS1_3genE4ELNS1_11target_archE910ELNS1_3gpuE8ELNS1_3repE0EEENS1_30default_config_static_selectorELNS0_4arch9wavefront6targetE0EEEvSZ_,"axG",@progbits,_ZN7rocprim17ROCPRIM_400000_NS6detail17trampoline_kernelINS0_13select_configILj256ELj13ELNS0_17block_load_methodE3ELS4_3ELS4_3ELNS0_20block_scan_algorithmE0ELj4294967295EEENS1_25partition_config_selectorILNS1_17partition_subalgoE3EjNS0_10empty_typeEbEEZZNS1_14partition_implILS8_3ELb0ES6_jNS0_17counting_iteratorIjlEEPS9_SE_NS0_5tupleIJPjSE_EEENSF_IJSE_SE_EEES9_SG_JZNS1_25segmented_radix_sort_implINS0_14default_configELb0EPK6__halfPSL_PKlPlN2at6native12_GLOBAL__N_18offset_tEEE10hipError_tPvRmT1_PNSt15iterator_traitsISZ_E10value_typeET2_T3_PNS10_IS15_E10value_typeET4_jRbjT5_S1B_jjP12ihipStream_tbEUljE_EEESW_SX_SY_S15_S19_S1B_T6_T7_T9_mT8_S1D_bDpT10_ENKUlT_T0_E_clISt17integral_constantIbLb1EES1Q_EEDaS1L_S1M_EUlS1L_E_NS1_11comp_targetILNS1_3genE4ELNS1_11target_archE910ELNS1_3gpuE8ELNS1_3repE0EEENS1_30default_config_static_selectorELNS0_4arch9wavefront6targetE0EEEvSZ_,comdat
.Lfunc_end1820:
	.size	_ZN7rocprim17ROCPRIM_400000_NS6detail17trampoline_kernelINS0_13select_configILj256ELj13ELNS0_17block_load_methodE3ELS4_3ELS4_3ELNS0_20block_scan_algorithmE0ELj4294967295EEENS1_25partition_config_selectorILNS1_17partition_subalgoE3EjNS0_10empty_typeEbEEZZNS1_14partition_implILS8_3ELb0ES6_jNS0_17counting_iteratorIjlEEPS9_SE_NS0_5tupleIJPjSE_EEENSF_IJSE_SE_EEES9_SG_JZNS1_25segmented_radix_sort_implINS0_14default_configELb0EPK6__halfPSL_PKlPlN2at6native12_GLOBAL__N_18offset_tEEE10hipError_tPvRmT1_PNSt15iterator_traitsISZ_E10value_typeET2_T3_PNS10_IS15_E10value_typeET4_jRbjT5_S1B_jjP12ihipStream_tbEUljE_EEESW_SX_SY_S15_S19_S1B_T6_T7_T9_mT8_S1D_bDpT10_ENKUlT_T0_E_clISt17integral_constantIbLb1EES1Q_EEDaS1L_S1M_EUlS1L_E_NS1_11comp_targetILNS1_3genE4ELNS1_11target_archE910ELNS1_3gpuE8ELNS1_3repE0EEENS1_30default_config_static_selectorELNS0_4arch9wavefront6targetE0EEEvSZ_, .Lfunc_end1820-_ZN7rocprim17ROCPRIM_400000_NS6detail17trampoline_kernelINS0_13select_configILj256ELj13ELNS0_17block_load_methodE3ELS4_3ELS4_3ELNS0_20block_scan_algorithmE0ELj4294967295EEENS1_25partition_config_selectorILNS1_17partition_subalgoE3EjNS0_10empty_typeEbEEZZNS1_14partition_implILS8_3ELb0ES6_jNS0_17counting_iteratorIjlEEPS9_SE_NS0_5tupleIJPjSE_EEENSF_IJSE_SE_EEES9_SG_JZNS1_25segmented_radix_sort_implINS0_14default_configELb0EPK6__halfPSL_PKlPlN2at6native12_GLOBAL__N_18offset_tEEE10hipError_tPvRmT1_PNSt15iterator_traitsISZ_E10value_typeET2_T3_PNS10_IS15_E10value_typeET4_jRbjT5_S1B_jjP12ihipStream_tbEUljE_EEESW_SX_SY_S15_S19_S1B_T6_T7_T9_mT8_S1D_bDpT10_ENKUlT_T0_E_clISt17integral_constantIbLb1EES1Q_EEDaS1L_S1M_EUlS1L_E_NS1_11comp_targetILNS1_3genE4ELNS1_11target_archE910ELNS1_3gpuE8ELNS1_3repE0EEENS1_30default_config_static_selectorELNS0_4arch9wavefront6targetE0EEEvSZ_
                                        ; -- End function
	.section	.AMDGPU.csdata,"",@progbits
; Kernel info:
; codeLenInByte = 0
; NumSgprs: 0
; NumVgprs: 0
; ScratchSize: 0
; MemoryBound: 0
; FloatMode: 240
; IeeeMode: 1
; LDSByteSize: 0 bytes/workgroup (compile time only)
; SGPRBlocks: 0
; VGPRBlocks: 0
; NumSGPRsForWavesPerEU: 1
; NumVGPRsForWavesPerEU: 1
; Occupancy: 16
; WaveLimiterHint : 0
; COMPUTE_PGM_RSRC2:SCRATCH_EN: 0
; COMPUTE_PGM_RSRC2:USER_SGPR: 15
; COMPUTE_PGM_RSRC2:TRAP_HANDLER: 0
; COMPUTE_PGM_RSRC2:TGID_X_EN: 1
; COMPUTE_PGM_RSRC2:TGID_Y_EN: 0
; COMPUTE_PGM_RSRC2:TGID_Z_EN: 0
; COMPUTE_PGM_RSRC2:TIDIG_COMP_CNT: 0
	.section	.text._ZN7rocprim17ROCPRIM_400000_NS6detail17trampoline_kernelINS0_13select_configILj256ELj13ELNS0_17block_load_methodE3ELS4_3ELS4_3ELNS0_20block_scan_algorithmE0ELj4294967295EEENS1_25partition_config_selectorILNS1_17partition_subalgoE3EjNS0_10empty_typeEbEEZZNS1_14partition_implILS8_3ELb0ES6_jNS0_17counting_iteratorIjlEEPS9_SE_NS0_5tupleIJPjSE_EEENSF_IJSE_SE_EEES9_SG_JZNS1_25segmented_radix_sort_implINS0_14default_configELb0EPK6__halfPSL_PKlPlN2at6native12_GLOBAL__N_18offset_tEEE10hipError_tPvRmT1_PNSt15iterator_traitsISZ_E10value_typeET2_T3_PNS10_IS15_E10value_typeET4_jRbjT5_S1B_jjP12ihipStream_tbEUljE_EEESW_SX_SY_S15_S19_S1B_T6_T7_T9_mT8_S1D_bDpT10_ENKUlT_T0_E_clISt17integral_constantIbLb1EES1Q_EEDaS1L_S1M_EUlS1L_E_NS1_11comp_targetILNS1_3genE3ELNS1_11target_archE908ELNS1_3gpuE7ELNS1_3repE0EEENS1_30default_config_static_selectorELNS0_4arch9wavefront6targetE0EEEvSZ_,"axG",@progbits,_ZN7rocprim17ROCPRIM_400000_NS6detail17trampoline_kernelINS0_13select_configILj256ELj13ELNS0_17block_load_methodE3ELS4_3ELS4_3ELNS0_20block_scan_algorithmE0ELj4294967295EEENS1_25partition_config_selectorILNS1_17partition_subalgoE3EjNS0_10empty_typeEbEEZZNS1_14partition_implILS8_3ELb0ES6_jNS0_17counting_iteratorIjlEEPS9_SE_NS0_5tupleIJPjSE_EEENSF_IJSE_SE_EEES9_SG_JZNS1_25segmented_radix_sort_implINS0_14default_configELb0EPK6__halfPSL_PKlPlN2at6native12_GLOBAL__N_18offset_tEEE10hipError_tPvRmT1_PNSt15iterator_traitsISZ_E10value_typeET2_T3_PNS10_IS15_E10value_typeET4_jRbjT5_S1B_jjP12ihipStream_tbEUljE_EEESW_SX_SY_S15_S19_S1B_T6_T7_T9_mT8_S1D_bDpT10_ENKUlT_T0_E_clISt17integral_constantIbLb1EES1Q_EEDaS1L_S1M_EUlS1L_E_NS1_11comp_targetILNS1_3genE3ELNS1_11target_archE908ELNS1_3gpuE7ELNS1_3repE0EEENS1_30default_config_static_selectorELNS0_4arch9wavefront6targetE0EEEvSZ_,comdat
	.globl	_ZN7rocprim17ROCPRIM_400000_NS6detail17trampoline_kernelINS0_13select_configILj256ELj13ELNS0_17block_load_methodE3ELS4_3ELS4_3ELNS0_20block_scan_algorithmE0ELj4294967295EEENS1_25partition_config_selectorILNS1_17partition_subalgoE3EjNS0_10empty_typeEbEEZZNS1_14partition_implILS8_3ELb0ES6_jNS0_17counting_iteratorIjlEEPS9_SE_NS0_5tupleIJPjSE_EEENSF_IJSE_SE_EEES9_SG_JZNS1_25segmented_radix_sort_implINS0_14default_configELb0EPK6__halfPSL_PKlPlN2at6native12_GLOBAL__N_18offset_tEEE10hipError_tPvRmT1_PNSt15iterator_traitsISZ_E10value_typeET2_T3_PNS10_IS15_E10value_typeET4_jRbjT5_S1B_jjP12ihipStream_tbEUljE_EEESW_SX_SY_S15_S19_S1B_T6_T7_T9_mT8_S1D_bDpT10_ENKUlT_T0_E_clISt17integral_constantIbLb1EES1Q_EEDaS1L_S1M_EUlS1L_E_NS1_11comp_targetILNS1_3genE3ELNS1_11target_archE908ELNS1_3gpuE7ELNS1_3repE0EEENS1_30default_config_static_selectorELNS0_4arch9wavefront6targetE0EEEvSZ_ ; -- Begin function _ZN7rocprim17ROCPRIM_400000_NS6detail17trampoline_kernelINS0_13select_configILj256ELj13ELNS0_17block_load_methodE3ELS4_3ELS4_3ELNS0_20block_scan_algorithmE0ELj4294967295EEENS1_25partition_config_selectorILNS1_17partition_subalgoE3EjNS0_10empty_typeEbEEZZNS1_14partition_implILS8_3ELb0ES6_jNS0_17counting_iteratorIjlEEPS9_SE_NS0_5tupleIJPjSE_EEENSF_IJSE_SE_EEES9_SG_JZNS1_25segmented_radix_sort_implINS0_14default_configELb0EPK6__halfPSL_PKlPlN2at6native12_GLOBAL__N_18offset_tEEE10hipError_tPvRmT1_PNSt15iterator_traitsISZ_E10value_typeET2_T3_PNS10_IS15_E10value_typeET4_jRbjT5_S1B_jjP12ihipStream_tbEUljE_EEESW_SX_SY_S15_S19_S1B_T6_T7_T9_mT8_S1D_bDpT10_ENKUlT_T0_E_clISt17integral_constantIbLb1EES1Q_EEDaS1L_S1M_EUlS1L_E_NS1_11comp_targetILNS1_3genE3ELNS1_11target_archE908ELNS1_3gpuE7ELNS1_3repE0EEENS1_30default_config_static_selectorELNS0_4arch9wavefront6targetE0EEEvSZ_
	.p2align	8
	.type	_ZN7rocprim17ROCPRIM_400000_NS6detail17trampoline_kernelINS0_13select_configILj256ELj13ELNS0_17block_load_methodE3ELS4_3ELS4_3ELNS0_20block_scan_algorithmE0ELj4294967295EEENS1_25partition_config_selectorILNS1_17partition_subalgoE3EjNS0_10empty_typeEbEEZZNS1_14partition_implILS8_3ELb0ES6_jNS0_17counting_iteratorIjlEEPS9_SE_NS0_5tupleIJPjSE_EEENSF_IJSE_SE_EEES9_SG_JZNS1_25segmented_radix_sort_implINS0_14default_configELb0EPK6__halfPSL_PKlPlN2at6native12_GLOBAL__N_18offset_tEEE10hipError_tPvRmT1_PNSt15iterator_traitsISZ_E10value_typeET2_T3_PNS10_IS15_E10value_typeET4_jRbjT5_S1B_jjP12ihipStream_tbEUljE_EEESW_SX_SY_S15_S19_S1B_T6_T7_T9_mT8_S1D_bDpT10_ENKUlT_T0_E_clISt17integral_constantIbLb1EES1Q_EEDaS1L_S1M_EUlS1L_E_NS1_11comp_targetILNS1_3genE3ELNS1_11target_archE908ELNS1_3gpuE7ELNS1_3repE0EEENS1_30default_config_static_selectorELNS0_4arch9wavefront6targetE0EEEvSZ_,@function
_ZN7rocprim17ROCPRIM_400000_NS6detail17trampoline_kernelINS0_13select_configILj256ELj13ELNS0_17block_load_methodE3ELS4_3ELS4_3ELNS0_20block_scan_algorithmE0ELj4294967295EEENS1_25partition_config_selectorILNS1_17partition_subalgoE3EjNS0_10empty_typeEbEEZZNS1_14partition_implILS8_3ELb0ES6_jNS0_17counting_iteratorIjlEEPS9_SE_NS0_5tupleIJPjSE_EEENSF_IJSE_SE_EEES9_SG_JZNS1_25segmented_radix_sort_implINS0_14default_configELb0EPK6__halfPSL_PKlPlN2at6native12_GLOBAL__N_18offset_tEEE10hipError_tPvRmT1_PNSt15iterator_traitsISZ_E10value_typeET2_T3_PNS10_IS15_E10value_typeET4_jRbjT5_S1B_jjP12ihipStream_tbEUljE_EEESW_SX_SY_S15_S19_S1B_T6_T7_T9_mT8_S1D_bDpT10_ENKUlT_T0_E_clISt17integral_constantIbLb1EES1Q_EEDaS1L_S1M_EUlS1L_E_NS1_11comp_targetILNS1_3genE3ELNS1_11target_archE908ELNS1_3gpuE7ELNS1_3repE0EEENS1_30default_config_static_selectorELNS0_4arch9wavefront6targetE0EEEvSZ_: ; @_ZN7rocprim17ROCPRIM_400000_NS6detail17trampoline_kernelINS0_13select_configILj256ELj13ELNS0_17block_load_methodE3ELS4_3ELS4_3ELNS0_20block_scan_algorithmE0ELj4294967295EEENS1_25partition_config_selectorILNS1_17partition_subalgoE3EjNS0_10empty_typeEbEEZZNS1_14partition_implILS8_3ELb0ES6_jNS0_17counting_iteratorIjlEEPS9_SE_NS0_5tupleIJPjSE_EEENSF_IJSE_SE_EEES9_SG_JZNS1_25segmented_radix_sort_implINS0_14default_configELb0EPK6__halfPSL_PKlPlN2at6native12_GLOBAL__N_18offset_tEEE10hipError_tPvRmT1_PNSt15iterator_traitsISZ_E10value_typeET2_T3_PNS10_IS15_E10value_typeET4_jRbjT5_S1B_jjP12ihipStream_tbEUljE_EEESW_SX_SY_S15_S19_S1B_T6_T7_T9_mT8_S1D_bDpT10_ENKUlT_T0_E_clISt17integral_constantIbLb1EES1Q_EEDaS1L_S1M_EUlS1L_E_NS1_11comp_targetILNS1_3genE3ELNS1_11target_archE908ELNS1_3gpuE7ELNS1_3repE0EEENS1_30default_config_static_selectorELNS0_4arch9wavefront6targetE0EEEvSZ_
; %bb.0:
	.section	.rodata,"a",@progbits
	.p2align	6, 0x0
	.amdhsa_kernel _ZN7rocprim17ROCPRIM_400000_NS6detail17trampoline_kernelINS0_13select_configILj256ELj13ELNS0_17block_load_methodE3ELS4_3ELS4_3ELNS0_20block_scan_algorithmE0ELj4294967295EEENS1_25partition_config_selectorILNS1_17partition_subalgoE3EjNS0_10empty_typeEbEEZZNS1_14partition_implILS8_3ELb0ES6_jNS0_17counting_iteratorIjlEEPS9_SE_NS0_5tupleIJPjSE_EEENSF_IJSE_SE_EEES9_SG_JZNS1_25segmented_radix_sort_implINS0_14default_configELb0EPK6__halfPSL_PKlPlN2at6native12_GLOBAL__N_18offset_tEEE10hipError_tPvRmT1_PNSt15iterator_traitsISZ_E10value_typeET2_T3_PNS10_IS15_E10value_typeET4_jRbjT5_S1B_jjP12ihipStream_tbEUljE_EEESW_SX_SY_S15_S19_S1B_T6_T7_T9_mT8_S1D_bDpT10_ENKUlT_T0_E_clISt17integral_constantIbLb1EES1Q_EEDaS1L_S1M_EUlS1L_E_NS1_11comp_targetILNS1_3genE3ELNS1_11target_archE908ELNS1_3gpuE7ELNS1_3repE0EEENS1_30default_config_static_selectorELNS0_4arch9wavefront6targetE0EEEvSZ_
		.amdhsa_group_segment_fixed_size 0
		.amdhsa_private_segment_fixed_size 0
		.amdhsa_kernarg_size 152
		.amdhsa_user_sgpr_count 15
		.amdhsa_user_sgpr_dispatch_ptr 0
		.amdhsa_user_sgpr_queue_ptr 0
		.amdhsa_user_sgpr_kernarg_segment_ptr 1
		.amdhsa_user_sgpr_dispatch_id 0
		.amdhsa_user_sgpr_private_segment_size 0
		.amdhsa_wavefront_size32 1
		.amdhsa_uses_dynamic_stack 0
		.amdhsa_enable_private_segment 0
		.amdhsa_system_sgpr_workgroup_id_x 1
		.amdhsa_system_sgpr_workgroup_id_y 0
		.amdhsa_system_sgpr_workgroup_id_z 0
		.amdhsa_system_sgpr_workgroup_info 0
		.amdhsa_system_vgpr_workitem_id 0
		.amdhsa_next_free_vgpr 1
		.amdhsa_next_free_sgpr 1
		.amdhsa_reserve_vcc 0
		.amdhsa_float_round_mode_32 0
		.amdhsa_float_round_mode_16_64 0
		.amdhsa_float_denorm_mode_32 3
		.amdhsa_float_denorm_mode_16_64 3
		.amdhsa_dx10_clamp 1
		.amdhsa_ieee_mode 1
		.amdhsa_fp16_overflow 0
		.amdhsa_workgroup_processor_mode 1
		.amdhsa_memory_ordered 1
		.amdhsa_forward_progress 0
		.amdhsa_shared_vgpr_count 0
		.amdhsa_exception_fp_ieee_invalid_op 0
		.amdhsa_exception_fp_denorm_src 0
		.amdhsa_exception_fp_ieee_div_zero 0
		.amdhsa_exception_fp_ieee_overflow 0
		.amdhsa_exception_fp_ieee_underflow 0
		.amdhsa_exception_fp_ieee_inexact 0
		.amdhsa_exception_int_div_zero 0
	.end_amdhsa_kernel
	.section	.text._ZN7rocprim17ROCPRIM_400000_NS6detail17trampoline_kernelINS0_13select_configILj256ELj13ELNS0_17block_load_methodE3ELS4_3ELS4_3ELNS0_20block_scan_algorithmE0ELj4294967295EEENS1_25partition_config_selectorILNS1_17partition_subalgoE3EjNS0_10empty_typeEbEEZZNS1_14partition_implILS8_3ELb0ES6_jNS0_17counting_iteratorIjlEEPS9_SE_NS0_5tupleIJPjSE_EEENSF_IJSE_SE_EEES9_SG_JZNS1_25segmented_radix_sort_implINS0_14default_configELb0EPK6__halfPSL_PKlPlN2at6native12_GLOBAL__N_18offset_tEEE10hipError_tPvRmT1_PNSt15iterator_traitsISZ_E10value_typeET2_T3_PNS10_IS15_E10value_typeET4_jRbjT5_S1B_jjP12ihipStream_tbEUljE_EEESW_SX_SY_S15_S19_S1B_T6_T7_T9_mT8_S1D_bDpT10_ENKUlT_T0_E_clISt17integral_constantIbLb1EES1Q_EEDaS1L_S1M_EUlS1L_E_NS1_11comp_targetILNS1_3genE3ELNS1_11target_archE908ELNS1_3gpuE7ELNS1_3repE0EEENS1_30default_config_static_selectorELNS0_4arch9wavefront6targetE0EEEvSZ_,"axG",@progbits,_ZN7rocprim17ROCPRIM_400000_NS6detail17trampoline_kernelINS0_13select_configILj256ELj13ELNS0_17block_load_methodE3ELS4_3ELS4_3ELNS0_20block_scan_algorithmE0ELj4294967295EEENS1_25partition_config_selectorILNS1_17partition_subalgoE3EjNS0_10empty_typeEbEEZZNS1_14partition_implILS8_3ELb0ES6_jNS0_17counting_iteratorIjlEEPS9_SE_NS0_5tupleIJPjSE_EEENSF_IJSE_SE_EEES9_SG_JZNS1_25segmented_radix_sort_implINS0_14default_configELb0EPK6__halfPSL_PKlPlN2at6native12_GLOBAL__N_18offset_tEEE10hipError_tPvRmT1_PNSt15iterator_traitsISZ_E10value_typeET2_T3_PNS10_IS15_E10value_typeET4_jRbjT5_S1B_jjP12ihipStream_tbEUljE_EEESW_SX_SY_S15_S19_S1B_T6_T7_T9_mT8_S1D_bDpT10_ENKUlT_T0_E_clISt17integral_constantIbLb1EES1Q_EEDaS1L_S1M_EUlS1L_E_NS1_11comp_targetILNS1_3genE3ELNS1_11target_archE908ELNS1_3gpuE7ELNS1_3repE0EEENS1_30default_config_static_selectorELNS0_4arch9wavefront6targetE0EEEvSZ_,comdat
.Lfunc_end1821:
	.size	_ZN7rocprim17ROCPRIM_400000_NS6detail17trampoline_kernelINS0_13select_configILj256ELj13ELNS0_17block_load_methodE3ELS4_3ELS4_3ELNS0_20block_scan_algorithmE0ELj4294967295EEENS1_25partition_config_selectorILNS1_17partition_subalgoE3EjNS0_10empty_typeEbEEZZNS1_14partition_implILS8_3ELb0ES6_jNS0_17counting_iteratorIjlEEPS9_SE_NS0_5tupleIJPjSE_EEENSF_IJSE_SE_EEES9_SG_JZNS1_25segmented_radix_sort_implINS0_14default_configELb0EPK6__halfPSL_PKlPlN2at6native12_GLOBAL__N_18offset_tEEE10hipError_tPvRmT1_PNSt15iterator_traitsISZ_E10value_typeET2_T3_PNS10_IS15_E10value_typeET4_jRbjT5_S1B_jjP12ihipStream_tbEUljE_EEESW_SX_SY_S15_S19_S1B_T6_T7_T9_mT8_S1D_bDpT10_ENKUlT_T0_E_clISt17integral_constantIbLb1EES1Q_EEDaS1L_S1M_EUlS1L_E_NS1_11comp_targetILNS1_3genE3ELNS1_11target_archE908ELNS1_3gpuE7ELNS1_3repE0EEENS1_30default_config_static_selectorELNS0_4arch9wavefront6targetE0EEEvSZ_, .Lfunc_end1821-_ZN7rocprim17ROCPRIM_400000_NS6detail17trampoline_kernelINS0_13select_configILj256ELj13ELNS0_17block_load_methodE3ELS4_3ELS4_3ELNS0_20block_scan_algorithmE0ELj4294967295EEENS1_25partition_config_selectorILNS1_17partition_subalgoE3EjNS0_10empty_typeEbEEZZNS1_14partition_implILS8_3ELb0ES6_jNS0_17counting_iteratorIjlEEPS9_SE_NS0_5tupleIJPjSE_EEENSF_IJSE_SE_EEES9_SG_JZNS1_25segmented_radix_sort_implINS0_14default_configELb0EPK6__halfPSL_PKlPlN2at6native12_GLOBAL__N_18offset_tEEE10hipError_tPvRmT1_PNSt15iterator_traitsISZ_E10value_typeET2_T3_PNS10_IS15_E10value_typeET4_jRbjT5_S1B_jjP12ihipStream_tbEUljE_EEESW_SX_SY_S15_S19_S1B_T6_T7_T9_mT8_S1D_bDpT10_ENKUlT_T0_E_clISt17integral_constantIbLb1EES1Q_EEDaS1L_S1M_EUlS1L_E_NS1_11comp_targetILNS1_3genE3ELNS1_11target_archE908ELNS1_3gpuE7ELNS1_3repE0EEENS1_30default_config_static_selectorELNS0_4arch9wavefront6targetE0EEEvSZ_
                                        ; -- End function
	.section	.AMDGPU.csdata,"",@progbits
; Kernel info:
; codeLenInByte = 0
; NumSgprs: 0
; NumVgprs: 0
; ScratchSize: 0
; MemoryBound: 0
; FloatMode: 240
; IeeeMode: 1
; LDSByteSize: 0 bytes/workgroup (compile time only)
; SGPRBlocks: 0
; VGPRBlocks: 0
; NumSGPRsForWavesPerEU: 1
; NumVGPRsForWavesPerEU: 1
; Occupancy: 16
; WaveLimiterHint : 0
; COMPUTE_PGM_RSRC2:SCRATCH_EN: 0
; COMPUTE_PGM_RSRC2:USER_SGPR: 15
; COMPUTE_PGM_RSRC2:TRAP_HANDLER: 0
; COMPUTE_PGM_RSRC2:TGID_X_EN: 1
; COMPUTE_PGM_RSRC2:TGID_Y_EN: 0
; COMPUTE_PGM_RSRC2:TGID_Z_EN: 0
; COMPUTE_PGM_RSRC2:TIDIG_COMP_CNT: 0
	.section	.text._ZN7rocprim17ROCPRIM_400000_NS6detail17trampoline_kernelINS0_13select_configILj256ELj13ELNS0_17block_load_methodE3ELS4_3ELS4_3ELNS0_20block_scan_algorithmE0ELj4294967295EEENS1_25partition_config_selectorILNS1_17partition_subalgoE3EjNS0_10empty_typeEbEEZZNS1_14partition_implILS8_3ELb0ES6_jNS0_17counting_iteratorIjlEEPS9_SE_NS0_5tupleIJPjSE_EEENSF_IJSE_SE_EEES9_SG_JZNS1_25segmented_radix_sort_implINS0_14default_configELb0EPK6__halfPSL_PKlPlN2at6native12_GLOBAL__N_18offset_tEEE10hipError_tPvRmT1_PNSt15iterator_traitsISZ_E10value_typeET2_T3_PNS10_IS15_E10value_typeET4_jRbjT5_S1B_jjP12ihipStream_tbEUljE_EEESW_SX_SY_S15_S19_S1B_T6_T7_T9_mT8_S1D_bDpT10_ENKUlT_T0_E_clISt17integral_constantIbLb1EES1Q_EEDaS1L_S1M_EUlS1L_E_NS1_11comp_targetILNS1_3genE2ELNS1_11target_archE906ELNS1_3gpuE6ELNS1_3repE0EEENS1_30default_config_static_selectorELNS0_4arch9wavefront6targetE0EEEvSZ_,"axG",@progbits,_ZN7rocprim17ROCPRIM_400000_NS6detail17trampoline_kernelINS0_13select_configILj256ELj13ELNS0_17block_load_methodE3ELS4_3ELS4_3ELNS0_20block_scan_algorithmE0ELj4294967295EEENS1_25partition_config_selectorILNS1_17partition_subalgoE3EjNS0_10empty_typeEbEEZZNS1_14partition_implILS8_3ELb0ES6_jNS0_17counting_iteratorIjlEEPS9_SE_NS0_5tupleIJPjSE_EEENSF_IJSE_SE_EEES9_SG_JZNS1_25segmented_radix_sort_implINS0_14default_configELb0EPK6__halfPSL_PKlPlN2at6native12_GLOBAL__N_18offset_tEEE10hipError_tPvRmT1_PNSt15iterator_traitsISZ_E10value_typeET2_T3_PNS10_IS15_E10value_typeET4_jRbjT5_S1B_jjP12ihipStream_tbEUljE_EEESW_SX_SY_S15_S19_S1B_T6_T7_T9_mT8_S1D_bDpT10_ENKUlT_T0_E_clISt17integral_constantIbLb1EES1Q_EEDaS1L_S1M_EUlS1L_E_NS1_11comp_targetILNS1_3genE2ELNS1_11target_archE906ELNS1_3gpuE6ELNS1_3repE0EEENS1_30default_config_static_selectorELNS0_4arch9wavefront6targetE0EEEvSZ_,comdat
	.globl	_ZN7rocprim17ROCPRIM_400000_NS6detail17trampoline_kernelINS0_13select_configILj256ELj13ELNS0_17block_load_methodE3ELS4_3ELS4_3ELNS0_20block_scan_algorithmE0ELj4294967295EEENS1_25partition_config_selectorILNS1_17partition_subalgoE3EjNS0_10empty_typeEbEEZZNS1_14partition_implILS8_3ELb0ES6_jNS0_17counting_iteratorIjlEEPS9_SE_NS0_5tupleIJPjSE_EEENSF_IJSE_SE_EEES9_SG_JZNS1_25segmented_radix_sort_implINS0_14default_configELb0EPK6__halfPSL_PKlPlN2at6native12_GLOBAL__N_18offset_tEEE10hipError_tPvRmT1_PNSt15iterator_traitsISZ_E10value_typeET2_T3_PNS10_IS15_E10value_typeET4_jRbjT5_S1B_jjP12ihipStream_tbEUljE_EEESW_SX_SY_S15_S19_S1B_T6_T7_T9_mT8_S1D_bDpT10_ENKUlT_T0_E_clISt17integral_constantIbLb1EES1Q_EEDaS1L_S1M_EUlS1L_E_NS1_11comp_targetILNS1_3genE2ELNS1_11target_archE906ELNS1_3gpuE6ELNS1_3repE0EEENS1_30default_config_static_selectorELNS0_4arch9wavefront6targetE0EEEvSZ_ ; -- Begin function _ZN7rocprim17ROCPRIM_400000_NS6detail17trampoline_kernelINS0_13select_configILj256ELj13ELNS0_17block_load_methodE3ELS4_3ELS4_3ELNS0_20block_scan_algorithmE0ELj4294967295EEENS1_25partition_config_selectorILNS1_17partition_subalgoE3EjNS0_10empty_typeEbEEZZNS1_14partition_implILS8_3ELb0ES6_jNS0_17counting_iteratorIjlEEPS9_SE_NS0_5tupleIJPjSE_EEENSF_IJSE_SE_EEES9_SG_JZNS1_25segmented_radix_sort_implINS0_14default_configELb0EPK6__halfPSL_PKlPlN2at6native12_GLOBAL__N_18offset_tEEE10hipError_tPvRmT1_PNSt15iterator_traitsISZ_E10value_typeET2_T3_PNS10_IS15_E10value_typeET4_jRbjT5_S1B_jjP12ihipStream_tbEUljE_EEESW_SX_SY_S15_S19_S1B_T6_T7_T9_mT8_S1D_bDpT10_ENKUlT_T0_E_clISt17integral_constantIbLb1EES1Q_EEDaS1L_S1M_EUlS1L_E_NS1_11comp_targetILNS1_3genE2ELNS1_11target_archE906ELNS1_3gpuE6ELNS1_3repE0EEENS1_30default_config_static_selectorELNS0_4arch9wavefront6targetE0EEEvSZ_
	.p2align	8
	.type	_ZN7rocprim17ROCPRIM_400000_NS6detail17trampoline_kernelINS0_13select_configILj256ELj13ELNS0_17block_load_methodE3ELS4_3ELS4_3ELNS0_20block_scan_algorithmE0ELj4294967295EEENS1_25partition_config_selectorILNS1_17partition_subalgoE3EjNS0_10empty_typeEbEEZZNS1_14partition_implILS8_3ELb0ES6_jNS0_17counting_iteratorIjlEEPS9_SE_NS0_5tupleIJPjSE_EEENSF_IJSE_SE_EEES9_SG_JZNS1_25segmented_radix_sort_implINS0_14default_configELb0EPK6__halfPSL_PKlPlN2at6native12_GLOBAL__N_18offset_tEEE10hipError_tPvRmT1_PNSt15iterator_traitsISZ_E10value_typeET2_T3_PNS10_IS15_E10value_typeET4_jRbjT5_S1B_jjP12ihipStream_tbEUljE_EEESW_SX_SY_S15_S19_S1B_T6_T7_T9_mT8_S1D_bDpT10_ENKUlT_T0_E_clISt17integral_constantIbLb1EES1Q_EEDaS1L_S1M_EUlS1L_E_NS1_11comp_targetILNS1_3genE2ELNS1_11target_archE906ELNS1_3gpuE6ELNS1_3repE0EEENS1_30default_config_static_selectorELNS0_4arch9wavefront6targetE0EEEvSZ_,@function
_ZN7rocprim17ROCPRIM_400000_NS6detail17trampoline_kernelINS0_13select_configILj256ELj13ELNS0_17block_load_methodE3ELS4_3ELS4_3ELNS0_20block_scan_algorithmE0ELj4294967295EEENS1_25partition_config_selectorILNS1_17partition_subalgoE3EjNS0_10empty_typeEbEEZZNS1_14partition_implILS8_3ELb0ES6_jNS0_17counting_iteratorIjlEEPS9_SE_NS0_5tupleIJPjSE_EEENSF_IJSE_SE_EEES9_SG_JZNS1_25segmented_radix_sort_implINS0_14default_configELb0EPK6__halfPSL_PKlPlN2at6native12_GLOBAL__N_18offset_tEEE10hipError_tPvRmT1_PNSt15iterator_traitsISZ_E10value_typeET2_T3_PNS10_IS15_E10value_typeET4_jRbjT5_S1B_jjP12ihipStream_tbEUljE_EEESW_SX_SY_S15_S19_S1B_T6_T7_T9_mT8_S1D_bDpT10_ENKUlT_T0_E_clISt17integral_constantIbLb1EES1Q_EEDaS1L_S1M_EUlS1L_E_NS1_11comp_targetILNS1_3genE2ELNS1_11target_archE906ELNS1_3gpuE6ELNS1_3repE0EEENS1_30default_config_static_selectorELNS0_4arch9wavefront6targetE0EEEvSZ_: ; @_ZN7rocprim17ROCPRIM_400000_NS6detail17trampoline_kernelINS0_13select_configILj256ELj13ELNS0_17block_load_methodE3ELS4_3ELS4_3ELNS0_20block_scan_algorithmE0ELj4294967295EEENS1_25partition_config_selectorILNS1_17partition_subalgoE3EjNS0_10empty_typeEbEEZZNS1_14partition_implILS8_3ELb0ES6_jNS0_17counting_iteratorIjlEEPS9_SE_NS0_5tupleIJPjSE_EEENSF_IJSE_SE_EEES9_SG_JZNS1_25segmented_radix_sort_implINS0_14default_configELb0EPK6__halfPSL_PKlPlN2at6native12_GLOBAL__N_18offset_tEEE10hipError_tPvRmT1_PNSt15iterator_traitsISZ_E10value_typeET2_T3_PNS10_IS15_E10value_typeET4_jRbjT5_S1B_jjP12ihipStream_tbEUljE_EEESW_SX_SY_S15_S19_S1B_T6_T7_T9_mT8_S1D_bDpT10_ENKUlT_T0_E_clISt17integral_constantIbLb1EES1Q_EEDaS1L_S1M_EUlS1L_E_NS1_11comp_targetILNS1_3genE2ELNS1_11target_archE906ELNS1_3gpuE6ELNS1_3repE0EEENS1_30default_config_static_selectorELNS0_4arch9wavefront6targetE0EEEvSZ_
; %bb.0:
	.section	.rodata,"a",@progbits
	.p2align	6, 0x0
	.amdhsa_kernel _ZN7rocprim17ROCPRIM_400000_NS6detail17trampoline_kernelINS0_13select_configILj256ELj13ELNS0_17block_load_methodE3ELS4_3ELS4_3ELNS0_20block_scan_algorithmE0ELj4294967295EEENS1_25partition_config_selectorILNS1_17partition_subalgoE3EjNS0_10empty_typeEbEEZZNS1_14partition_implILS8_3ELb0ES6_jNS0_17counting_iteratorIjlEEPS9_SE_NS0_5tupleIJPjSE_EEENSF_IJSE_SE_EEES9_SG_JZNS1_25segmented_radix_sort_implINS0_14default_configELb0EPK6__halfPSL_PKlPlN2at6native12_GLOBAL__N_18offset_tEEE10hipError_tPvRmT1_PNSt15iterator_traitsISZ_E10value_typeET2_T3_PNS10_IS15_E10value_typeET4_jRbjT5_S1B_jjP12ihipStream_tbEUljE_EEESW_SX_SY_S15_S19_S1B_T6_T7_T9_mT8_S1D_bDpT10_ENKUlT_T0_E_clISt17integral_constantIbLb1EES1Q_EEDaS1L_S1M_EUlS1L_E_NS1_11comp_targetILNS1_3genE2ELNS1_11target_archE906ELNS1_3gpuE6ELNS1_3repE0EEENS1_30default_config_static_selectorELNS0_4arch9wavefront6targetE0EEEvSZ_
		.amdhsa_group_segment_fixed_size 0
		.amdhsa_private_segment_fixed_size 0
		.amdhsa_kernarg_size 152
		.amdhsa_user_sgpr_count 15
		.amdhsa_user_sgpr_dispatch_ptr 0
		.amdhsa_user_sgpr_queue_ptr 0
		.amdhsa_user_sgpr_kernarg_segment_ptr 1
		.amdhsa_user_sgpr_dispatch_id 0
		.amdhsa_user_sgpr_private_segment_size 0
		.amdhsa_wavefront_size32 1
		.amdhsa_uses_dynamic_stack 0
		.amdhsa_enable_private_segment 0
		.amdhsa_system_sgpr_workgroup_id_x 1
		.amdhsa_system_sgpr_workgroup_id_y 0
		.amdhsa_system_sgpr_workgroup_id_z 0
		.amdhsa_system_sgpr_workgroup_info 0
		.amdhsa_system_vgpr_workitem_id 0
		.amdhsa_next_free_vgpr 1
		.amdhsa_next_free_sgpr 1
		.amdhsa_reserve_vcc 0
		.amdhsa_float_round_mode_32 0
		.amdhsa_float_round_mode_16_64 0
		.amdhsa_float_denorm_mode_32 3
		.amdhsa_float_denorm_mode_16_64 3
		.amdhsa_dx10_clamp 1
		.amdhsa_ieee_mode 1
		.amdhsa_fp16_overflow 0
		.amdhsa_workgroup_processor_mode 1
		.amdhsa_memory_ordered 1
		.amdhsa_forward_progress 0
		.amdhsa_shared_vgpr_count 0
		.amdhsa_exception_fp_ieee_invalid_op 0
		.amdhsa_exception_fp_denorm_src 0
		.amdhsa_exception_fp_ieee_div_zero 0
		.amdhsa_exception_fp_ieee_overflow 0
		.amdhsa_exception_fp_ieee_underflow 0
		.amdhsa_exception_fp_ieee_inexact 0
		.amdhsa_exception_int_div_zero 0
	.end_amdhsa_kernel
	.section	.text._ZN7rocprim17ROCPRIM_400000_NS6detail17trampoline_kernelINS0_13select_configILj256ELj13ELNS0_17block_load_methodE3ELS4_3ELS4_3ELNS0_20block_scan_algorithmE0ELj4294967295EEENS1_25partition_config_selectorILNS1_17partition_subalgoE3EjNS0_10empty_typeEbEEZZNS1_14partition_implILS8_3ELb0ES6_jNS0_17counting_iteratorIjlEEPS9_SE_NS0_5tupleIJPjSE_EEENSF_IJSE_SE_EEES9_SG_JZNS1_25segmented_radix_sort_implINS0_14default_configELb0EPK6__halfPSL_PKlPlN2at6native12_GLOBAL__N_18offset_tEEE10hipError_tPvRmT1_PNSt15iterator_traitsISZ_E10value_typeET2_T3_PNS10_IS15_E10value_typeET4_jRbjT5_S1B_jjP12ihipStream_tbEUljE_EEESW_SX_SY_S15_S19_S1B_T6_T7_T9_mT8_S1D_bDpT10_ENKUlT_T0_E_clISt17integral_constantIbLb1EES1Q_EEDaS1L_S1M_EUlS1L_E_NS1_11comp_targetILNS1_3genE2ELNS1_11target_archE906ELNS1_3gpuE6ELNS1_3repE0EEENS1_30default_config_static_selectorELNS0_4arch9wavefront6targetE0EEEvSZ_,"axG",@progbits,_ZN7rocprim17ROCPRIM_400000_NS6detail17trampoline_kernelINS0_13select_configILj256ELj13ELNS0_17block_load_methodE3ELS4_3ELS4_3ELNS0_20block_scan_algorithmE0ELj4294967295EEENS1_25partition_config_selectorILNS1_17partition_subalgoE3EjNS0_10empty_typeEbEEZZNS1_14partition_implILS8_3ELb0ES6_jNS0_17counting_iteratorIjlEEPS9_SE_NS0_5tupleIJPjSE_EEENSF_IJSE_SE_EEES9_SG_JZNS1_25segmented_radix_sort_implINS0_14default_configELb0EPK6__halfPSL_PKlPlN2at6native12_GLOBAL__N_18offset_tEEE10hipError_tPvRmT1_PNSt15iterator_traitsISZ_E10value_typeET2_T3_PNS10_IS15_E10value_typeET4_jRbjT5_S1B_jjP12ihipStream_tbEUljE_EEESW_SX_SY_S15_S19_S1B_T6_T7_T9_mT8_S1D_bDpT10_ENKUlT_T0_E_clISt17integral_constantIbLb1EES1Q_EEDaS1L_S1M_EUlS1L_E_NS1_11comp_targetILNS1_3genE2ELNS1_11target_archE906ELNS1_3gpuE6ELNS1_3repE0EEENS1_30default_config_static_selectorELNS0_4arch9wavefront6targetE0EEEvSZ_,comdat
.Lfunc_end1822:
	.size	_ZN7rocprim17ROCPRIM_400000_NS6detail17trampoline_kernelINS0_13select_configILj256ELj13ELNS0_17block_load_methodE3ELS4_3ELS4_3ELNS0_20block_scan_algorithmE0ELj4294967295EEENS1_25partition_config_selectorILNS1_17partition_subalgoE3EjNS0_10empty_typeEbEEZZNS1_14partition_implILS8_3ELb0ES6_jNS0_17counting_iteratorIjlEEPS9_SE_NS0_5tupleIJPjSE_EEENSF_IJSE_SE_EEES9_SG_JZNS1_25segmented_radix_sort_implINS0_14default_configELb0EPK6__halfPSL_PKlPlN2at6native12_GLOBAL__N_18offset_tEEE10hipError_tPvRmT1_PNSt15iterator_traitsISZ_E10value_typeET2_T3_PNS10_IS15_E10value_typeET4_jRbjT5_S1B_jjP12ihipStream_tbEUljE_EEESW_SX_SY_S15_S19_S1B_T6_T7_T9_mT8_S1D_bDpT10_ENKUlT_T0_E_clISt17integral_constantIbLb1EES1Q_EEDaS1L_S1M_EUlS1L_E_NS1_11comp_targetILNS1_3genE2ELNS1_11target_archE906ELNS1_3gpuE6ELNS1_3repE0EEENS1_30default_config_static_selectorELNS0_4arch9wavefront6targetE0EEEvSZ_, .Lfunc_end1822-_ZN7rocprim17ROCPRIM_400000_NS6detail17trampoline_kernelINS0_13select_configILj256ELj13ELNS0_17block_load_methodE3ELS4_3ELS4_3ELNS0_20block_scan_algorithmE0ELj4294967295EEENS1_25partition_config_selectorILNS1_17partition_subalgoE3EjNS0_10empty_typeEbEEZZNS1_14partition_implILS8_3ELb0ES6_jNS0_17counting_iteratorIjlEEPS9_SE_NS0_5tupleIJPjSE_EEENSF_IJSE_SE_EEES9_SG_JZNS1_25segmented_radix_sort_implINS0_14default_configELb0EPK6__halfPSL_PKlPlN2at6native12_GLOBAL__N_18offset_tEEE10hipError_tPvRmT1_PNSt15iterator_traitsISZ_E10value_typeET2_T3_PNS10_IS15_E10value_typeET4_jRbjT5_S1B_jjP12ihipStream_tbEUljE_EEESW_SX_SY_S15_S19_S1B_T6_T7_T9_mT8_S1D_bDpT10_ENKUlT_T0_E_clISt17integral_constantIbLb1EES1Q_EEDaS1L_S1M_EUlS1L_E_NS1_11comp_targetILNS1_3genE2ELNS1_11target_archE906ELNS1_3gpuE6ELNS1_3repE0EEENS1_30default_config_static_selectorELNS0_4arch9wavefront6targetE0EEEvSZ_
                                        ; -- End function
	.section	.AMDGPU.csdata,"",@progbits
; Kernel info:
; codeLenInByte = 0
; NumSgprs: 0
; NumVgprs: 0
; ScratchSize: 0
; MemoryBound: 0
; FloatMode: 240
; IeeeMode: 1
; LDSByteSize: 0 bytes/workgroup (compile time only)
; SGPRBlocks: 0
; VGPRBlocks: 0
; NumSGPRsForWavesPerEU: 1
; NumVGPRsForWavesPerEU: 1
; Occupancy: 16
; WaveLimiterHint : 0
; COMPUTE_PGM_RSRC2:SCRATCH_EN: 0
; COMPUTE_PGM_RSRC2:USER_SGPR: 15
; COMPUTE_PGM_RSRC2:TRAP_HANDLER: 0
; COMPUTE_PGM_RSRC2:TGID_X_EN: 1
; COMPUTE_PGM_RSRC2:TGID_Y_EN: 0
; COMPUTE_PGM_RSRC2:TGID_Z_EN: 0
; COMPUTE_PGM_RSRC2:TIDIG_COMP_CNT: 0
	.section	.text._ZN7rocprim17ROCPRIM_400000_NS6detail17trampoline_kernelINS0_13select_configILj256ELj13ELNS0_17block_load_methodE3ELS4_3ELS4_3ELNS0_20block_scan_algorithmE0ELj4294967295EEENS1_25partition_config_selectorILNS1_17partition_subalgoE3EjNS0_10empty_typeEbEEZZNS1_14partition_implILS8_3ELb0ES6_jNS0_17counting_iteratorIjlEEPS9_SE_NS0_5tupleIJPjSE_EEENSF_IJSE_SE_EEES9_SG_JZNS1_25segmented_radix_sort_implINS0_14default_configELb0EPK6__halfPSL_PKlPlN2at6native12_GLOBAL__N_18offset_tEEE10hipError_tPvRmT1_PNSt15iterator_traitsISZ_E10value_typeET2_T3_PNS10_IS15_E10value_typeET4_jRbjT5_S1B_jjP12ihipStream_tbEUljE_EEESW_SX_SY_S15_S19_S1B_T6_T7_T9_mT8_S1D_bDpT10_ENKUlT_T0_E_clISt17integral_constantIbLb1EES1Q_EEDaS1L_S1M_EUlS1L_E_NS1_11comp_targetILNS1_3genE10ELNS1_11target_archE1200ELNS1_3gpuE4ELNS1_3repE0EEENS1_30default_config_static_selectorELNS0_4arch9wavefront6targetE0EEEvSZ_,"axG",@progbits,_ZN7rocprim17ROCPRIM_400000_NS6detail17trampoline_kernelINS0_13select_configILj256ELj13ELNS0_17block_load_methodE3ELS4_3ELS4_3ELNS0_20block_scan_algorithmE0ELj4294967295EEENS1_25partition_config_selectorILNS1_17partition_subalgoE3EjNS0_10empty_typeEbEEZZNS1_14partition_implILS8_3ELb0ES6_jNS0_17counting_iteratorIjlEEPS9_SE_NS0_5tupleIJPjSE_EEENSF_IJSE_SE_EEES9_SG_JZNS1_25segmented_radix_sort_implINS0_14default_configELb0EPK6__halfPSL_PKlPlN2at6native12_GLOBAL__N_18offset_tEEE10hipError_tPvRmT1_PNSt15iterator_traitsISZ_E10value_typeET2_T3_PNS10_IS15_E10value_typeET4_jRbjT5_S1B_jjP12ihipStream_tbEUljE_EEESW_SX_SY_S15_S19_S1B_T6_T7_T9_mT8_S1D_bDpT10_ENKUlT_T0_E_clISt17integral_constantIbLb1EES1Q_EEDaS1L_S1M_EUlS1L_E_NS1_11comp_targetILNS1_3genE10ELNS1_11target_archE1200ELNS1_3gpuE4ELNS1_3repE0EEENS1_30default_config_static_selectorELNS0_4arch9wavefront6targetE0EEEvSZ_,comdat
	.globl	_ZN7rocprim17ROCPRIM_400000_NS6detail17trampoline_kernelINS0_13select_configILj256ELj13ELNS0_17block_load_methodE3ELS4_3ELS4_3ELNS0_20block_scan_algorithmE0ELj4294967295EEENS1_25partition_config_selectorILNS1_17partition_subalgoE3EjNS0_10empty_typeEbEEZZNS1_14partition_implILS8_3ELb0ES6_jNS0_17counting_iteratorIjlEEPS9_SE_NS0_5tupleIJPjSE_EEENSF_IJSE_SE_EEES9_SG_JZNS1_25segmented_radix_sort_implINS0_14default_configELb0EPK6__halfPSL_PKlPlN2at6native12_GLOBAL__N_18offset_tEEE10hipError_tPvRmT1_PNSt15iterator_traitsISZ_E10value_typeET2_T3_PNS10_IS15_E10value_typeET4_jRbjT5_S1B_jjP12ihipStream_tbEUljE_EEESW_SX_SY_S15_S19_S1B_T6_T7_T9_mT8_S1D_bDpT10_ENKUlT_T0_E_clISt17integral_constantIbLb1EES1Q_EEDaS1L_S1M_EUlS1L_E_NS1_11comp_targetILNS1_3genE10ELNS1_11target_archE1200ELNS1_3gpuE4ELNS1_3repE0EEENS1_30default_config_static_selectorELNS0_4arch9wavefront6targetE0EEEvSZ_ ; -- Begin function _ZN7rocprim17ROCPRIM_400000_NS6detail17trampoline_kernelINS0_13select_configILj256ELj13ELNS0_17block_load_methodE3ELS4_3ELS4_3ELNS0_20block_scan_algorithmE0ELj4294967295EEENS1_25partition_config_selectorILNS1_17partition_subalgoE3EjNS0_10empty_typeEbEEZZNS1_14partition_implILS8_3ELb0ES6_jNS0_17counting_iteratorIjlEEPS9_SE_NS0_5tupleIJPjSE_EEENSF_IJSE_SE_EEES9_SG_JZNS1_25segmented_radix_sort_implINS0_14default_configELb0EPK6__halfPSL_PKlPlN2at6native12_GLOBAL__N_18offset_tEEE10hipError_tPvRmT1_PNSt15iterator_traitsISZ_E10value_typeET2_T3_PNS10_IS15_E10value_typeET4_jRbjT5_S1B_jjP12ihipStream_tbEUljE_EEESW_SX_SY_S15_S19_S1B_T6_T7_T9_mT8_S1D_bDpT10_ENKUlT_T0_E_clISt17integral_constantIbLb1EES1Q_EEDaS1L_S1M_EUlS1L_E_NS1_11comp_targetILNS1_3genE10ELNS1_11target_archE1200ELNS1_3gpuE4ELNS1_3repE0EEENS1_30default_config_static_selectorELNS0_4arch9wavefront6targetE0EEEvSZ_
	.p2align	8
	.type	_ZN7rocprim17ROCPRIM_400000_NS6detail17trampoline_kernelINS0_13select_configILj256ELj13ELNS0_17block_load_methodE3ELS4_3ELS4_3ELNS0_20block_scan_algorithmE0ELj4294967295EEENS1_25partition_config_selectorILNS1_17partition_subalgoE3EjNS0_10empty_typeEbEEZZNS1_14partition_implILS8_3ELb0ES6_jNS0_17counting_iteratorIjlEEPS9_SE_NS0_5tupleIJPjSE_EEENSF_IJSE_SE_EEES9_SG_JZNS1_25segmented_radix_sort_implINS0_14default_configELb0EPK6__halfPSL_PKlPlN2at6native12_GLOBAL__N_18offset_tEEE10hipError_tPvRmT1_PNSt15iterator_traitsISZ_E10value_typeET2_T3_PNS10_IS15_E10value_typeET4_jRbjT5_S1B_jjP12ihipStream_tbEUljE_EEESW_SX_SY_S15_S19_S1B_T6_T7_T9_mT8_S1D_bDpT10_ENKUlT_T0_E_clISt17integral_constantIbLb1EES1Q_EEDaS1L_S1M_EUlS1L_E_NS1_11comp_targetILNS1_3genE10ELNS1_11target_archE1200ELNS1_3gpuE4ELNS1_3repE0EEENS1_30default_config_static_selectorELNS0_4arch9wavefront6targetE0EEEvSZ_,@function
_ZN7rocprim17ROCPRIM_400000_NS6detail17trampoline_kernelINS0_13select_configILj256ELj13ELNS0_17block_load_methodE3ELS4_3ELS4_3ELNS0_20block_scan_algorithmE0ELj4294967295EEENS1_25partition_config_selectorILNS1_17partition_subalgoE3EjNS0_10empty_typeEbEEZZNS1_14partition_implILS8_3ELb0ES6_jNS0_17counting_iteratorIjlEEPS9_SE_NS0_5tupleIJPjSE_EEENSF_IJSE_SE_EEES9_SG_JZNS1_25segmented_radix_sort_implINS0_14default_configELb0EPK6__halfPSL_PKlPlN2at6native12_GLOBAL__N_18offset_tEEE10hipError_tPvRmT1_PNSt15iterator_traitsISZ_E10value_typeET2_T3_PNS10_IS15_E10value_typeET4_jRbjT5_S1B_jjP12ihipStream_tbEUljE_EEESW_SX_SY_S15_S19_S1B_T6_T7_T9_mT8_S1D_bDpT10_ENKUlT_T0_E_clISt17integral_constantIbLb1EES1Q_EEDaS1L_S1M_EUlS1L_E_NS1_11comp_targetILNS1_3genE10ELNS1_11target_archE1200ELNS1_3gpuE4ELNS1_3repE0EEENS1_30default_config_static_selectorELNS0_4arch9wavefront6targetE0EEEvSZ_: ; @_ZN7rocprim17ROCPRIM_400000_NS6detail17trampoline_kernelINS0_13select_configILj256ELj13ELNS0_17block_load_methodE3ELS4_3ELS4_3ELNS0_20block_scan_algorithmE0ELj4294967295EEENS1_25partition_config_selectorILNS1_17partition_subalgoE3EjNS0_10empty_typeEbEEZZNS1_14partition_implILS8_3ELb0ES6_jNS0_17counting_iteratorIjlEEPS9_SE_NS0_5tupleIJPjSE_EEENSF_IJSE_SE_EEES9_SG_JZNS1_25segmented_radix_sort_implINS0_14default_configELb0EPK6__halfPSL_PKlPlN2at6native12_GLOBAL__N_18offset_tEEE10hipError_tPvRmT1_PNSt15iterator_traitsISZ_E10value_typeET2_T3_PNS10_IS15_E10value_typeET4_jRbjT5_S1B_jjP12ihipStream_tbEUljE_EEESW_SX_SY_S15_S19_S1B_T6_T7_T9_mT8_S1D_bDpT10_ENKUlT_T0_E_clISt17integral_constantIbLb1EES1Q_EEDaS1L_S1M_EUlS1L_E_NS1_11comp_targetILNS1_3genE10ELNS1_11target_archE1200ELNS1_3gpuE4ELNS1_3repE0EEENS1_30default_config_static_selectorELNS0_4arch9wavefront6targetE0EEEvSZ_
; %bb.0:
	.section	.rodata,"a",@progbits
	.p2align	6, 0x0
	.amdhsa_kernel _ZN7rocprim17ROCPRIM_400000_NS6detail17trampoline_kernelINS0_13select_configILj256ELj13ELNS0_17block_load_methodE3ELS4_3ELS4_3ELNS0_20block_scan_algorithmE0ELj4294967295EEENS1_25partition_config_selectorILNS1_17partition_subalgoE3EjNS0_10empty_typeEbEEZZNS1_14partition_implILS8_3ELb0ES6_jNS0_17counting_iteratorIjlEEPS9_SE_NS0_5tupleIJPjSE_EEENSF_IJSE_SE_EEES9_SG_JZNS1_25segmented_radix_sort_implINS0_14default_configELb0EPK6__halfPSL_PKlPlN2at6native12_GLOBAL__N_18offset_tEEE10hipError_tPvRmT1_PNSt15iterator_traitsISZ_E10value_typeET2_T3_PNS10_IS15_E10value_typeET4_jRbjT5_S1B_jjP12ihipStream_tbEUljE_EEESW_SX_SY_S15_S19_S1B_T6_T7_T9_mT8_S1D_bDpT10_ENKUlT_T0_E_clISt17integral_constantIbLb1EES1Q_EEDaS1L_S1M_EUlS1L_E_NS1_11comp_targetILNS1_3genE10ELNS1_11target_archE1200ELNS1_3gpuE4ELNS1_3repE0EEENS1_30default_config_static_selectorELNS0_4arch9wavefront6targetE0EEEvSZ_
		.amdhsa_group_segment_fixed_size 0
		.amdhsa_private_segment_fixed_size 0
		.amdhsa_kernarg_size 152
		.amdhsa_user_sgpr_count 15
		.amdhsa_user_sgpr_dispatch_ptr 0
		.amdhsa_user_sgpr_queue_ptr 0
		.amdhsa_user_sgpr_kernarg_segment_ptr 1
		.amdhsa_user_sgpr_dispatch_id 0
		.amdhsa_user_sgpr_private_segment_size 0
		.amdhsa_wavefront_size32 1
		.amdhsa_uses_dynamic_stack 0
		.amdhsa_enable_private_segment 0
		.amdhsa_system_sgpr_workgroup_id_x 1
		.amdhsa_system_sgpr_workgroup_id_y 0
		.amdhsa_system_sgpr_workgroup_id_z 0
		.amdhsa_system_sgpr_workgroup_info 0
		.amdhsa_system_vgpr_workitem_id 0
		.amdhsa_next_free_vgpr 1
		.amdhsa_next_free_sgpr 1
		.amdhsa_reserve_vcc 0
		.amdhsa_float_round_mode_32 0
		.amdhsa_float_round_mode_16_64 0
		.amdhsa_float_denorm_mode_32 3
		.amdhsa_float_denorm_mode_16_64 3
		.amdhsa_dx10_clamp 1
		.amdhsa_ieee_mode 1
		.amdhsa_fp16_overflow 0
		.amdhsa_workgroup_processor_mode 1
		.amdhsa_memory_ordered 1
		.amdhsa_forward_progress 0
		.amdhsa_shared_vgpr_count 0
		.amdhsa_exception_fp_ieee_invalid_op 0
		.amdhsa_exception_fp_denorm_src 0
		.amdhsa_exception_fp_ieee_div_zero 0
		.amdhsa_exception_fp_ieee_overflow 0
		.amdhsa_exception_fp_ieee_underflow 0
		.amdhsa_exception_fp_ieee_inexact 0
		.amdhsa_exception_int_div_zero 0
	.end_amdhsa_kernel
	.section	.text._ZN7rocprim17ROCPRIM_400000_NS6detail17trampoline_kernelINS0_13select_configILj256ELj13ELNS0_17block_load_methodE3ELS4_3ELS4_3ELNS0_20block_scan_algorithmE0ELj4294967295EEENS1_25partition_config_selectorILNS1_17partition_subalgoE3EjNS0_10empty_typeEbEEZZNS1_14partition_implILS8_3ELb0ES6_jNS0_17counting_iteratorIjlEEPS9_SE_NS0_5tupleIJPjSE_EEENSF_IJSE_SE_EEES9_SG_JZNS1_25segmented_radix_sort_implINS0_14default_configELb0EPK6__halfPSL_PKlPlN2at6native12_GLOBAL__N_18offset_tEEE10hipError_tPvRmT1_PNSt15iterator_traitsISZ_E10value_typeET2_T3_PNS10_IS15_E10value_typeET4_jRbjT5_S1B_jjP12ihipStream_tbEUljE_EEESW_SX_SY_S15_S19_S1B_T6_T7_T9_mT8_S1D_bDpT10_ENKUlT_T0_E_clISt17integral_constantIbLb1EES1Q_EEDaS1L_S1M_EUlS1L_E_NS1_11comp_targetILNS1_3genE10ELNS1_11target_archE1200ELNS1_3gpuE4ELNS1_3repE0EEENS1_30default_config_static_selectorELNS0_4arch9wavefront6targetE0EEEvSZ_,"axG",@progbits,_ZN7rocprim17ROCPRIM_400000_NS6detail17trampoline_kernelINS0_13select_configILj256ELj13ELNS0_17block_load_methodE3ELS4_3ELS4_3ELNS0_20block_scan_algorithmE0ELj4294967295EEENS1_25partition_config_selectorILNS1_17partition_subalgoE3EjNS0_10empty_typeEbEEZZNS1_14partition_implILS8_3ELb0ES6_jNS0_17counting_iteratorIjlEEPS9_SE_NS0_5tupleIJPjSE_EEENSF_IJSE_SE_EEES9_SG_JZNS1_25segmented_radix_sort_implINS0_14default_configELb0EPK6__halfPSL_PKlPlN2at6native12_GLOBAL__N_18offset_tEEE10hipError_tPvRmT1_PNSt15iterator_traitsISZ_E10value_typeET2_T3_PNS10_IS15_E10value_typeET4_jRbjT5_S1B_jjP12ihipStream_tbEUljE_EEESW_SX_SY_S15_S19_S1B_T6_T7_T9_mT8_S1D_bDpT10_ENKUlT_T0_E_clISt17integral_constantIbLb1EES1Q_EEDaS1L_S1M_EUlS1L_E_NS1_11comp_targetILNS1_3genE10ELNS1_11target_archE1200ELNS1_3gpuE4ELNS1_3repE0EEENS1_30default_config_static_selectorELNS0_4arch9wavefront6targetE0EEEvSZ_,comdat
.Lfunc_end1823:
	.size	_ZN7rocprim17ROCPRIM_400000_NS6detail17trampoline_kernelINS0_13select_configILj256ELj13ELNS0_17block_load_methodE3ELS4_3ELS4_3ELNS0_20block_scan_algorithmE0ELj4294967295EEENS1_25partition_config_selectorILNS1_17partition_subalgoE3EjNS0_10empty_typeEbEEZZNS1_14partition_implILS8_3ELb0ES6_jNS0_17counting_iteratorIjlEEPS9_SE_NS0_5tupleIJPjSE_EEENSF_IJSE_SE_EEES9_SG_JZNS1_25segmented_radix_sort_implINS0_14default_configELb0EPK6__halfPSL_PKlPlN2at6native12_GLOBAL__N_18offset_tEEE10hipError_tPvRmT1_PNSt15iterator_traitsISZ_E10value_typeET2_T3_PNS10_IS15_E10value_typeET4_jRbjT5_S1B_jjP12ihipStream_tbEUljE_EEESW_SX_SY_S15_S19_S1B_T6_T7_T9_mT8_S1D_bDpT10_ENKUlT_T0_E_clISt17integral_constantIbLb1EES1Q_EEDaS1L_S1M_EUlS1L_E_NS1_11comp_targetILNS1_3genE10ELNS1_11target_archE1200ELNS1_3gpuE4ELNS1_3repE0EEENS1_30default_config_static_selectorELNS0_4arch9wavefront6targetE0EEEvSZ_, .Lfunc_end1823-_ZN7rocprim17ROCPRIM_400000_NS6detail17trampoline_kernelINS0_13select_configILj256ELj13ELNS0_17block_load_methodE3ELS4_3ELS4_3ELNS0_20block_scan_algorithmE0ELj4294967295EEENS1_25partition_config_selectorILNS1_17partition_subalgoE3EjNS0_10empty_typeEbEEZZNS1_14partition_implILS8_3ELb0ES6_jNS0_17counting_iteratorIjlEEPS9_SE_NS0_5tupleIJPjSE_EEENSF_IJSE_SE_EEES9_SG_JZNS1_25segmented_radix_sort_implINS0_14default_configELb0EPK6__halfPSL_PKlPlN2at6native12_GLOBAL__N_18offset_tEEE10hipError_tPvRmT1_PNSt15iterator_traitsISZ_E10value_typeET2_T3_PNS10_IS15_E10value_typeET4_jRbjT5_S1B_jjP12ihipStream_tbEUljE_EEESW_SX_SY_S15_S19_S1B_T6_T7_T9_mT8_S1D_bDpT10_ENKUlT_T0_E_clISt17integral_constantIbLb1EES1Q_EEDaS1L_S1M_EUlS1L_E_NS1_11comp_targetILNS1_3genE10ELNS1_11target_archE1200ELNS1_3gpuE4ELNS1_3repE0EEENS1_30default_config_static_selectorELNS0_4arch9wavefront6targetE0EEEvSZ_
                                        ; -- End function
	.section	.AMDGPU.csdata,"",@progbits
; Kernel info:
; codeLenInByte = 0
; NumSgprs: 0
; NumVgprs: 0
; ScratchSize: 0
; MemoryBound: 0
; FloatMode: 240
; IeeeMode: 1
; LDSByteSize: 0 bytes/workgroup (compile time only)
; SGPRBlocks: 0
; VGPRBlocks: 0
; NumSGPRsForWavesPerEU: 1
; NumVGPRsForWavesPerEU: 1
; Occupancy: 16
; WaveLimiterHint : 0
; COMPUTE_PGM_RSRC2:SCRATCH_EN: 0
; COMPUTE_PGM_RSRC2:USER_SGPR: 15
; COMPUTE_PGM_RSRC2:TRAP_HANDLER: 0
; COMPUTE_PGM_RSRC2:TGID_X_EN: 1
; COMPUTE_PGM_RSRC2:TGID_Y_EN: 0
; COMPUTE_PGM_RSRC2:TGID_Z_EN: 0
; COMPUTE_PGM_RSRC2:TIDIG_COMP_CNT: 0
	.section	.text._ZN7rocprim17ROCPRIM_400000_NS6detail17trampoline_kernelINS0_13select_configILj256ELj13ELNS0_17block_load_methodE3ELS4_3ELS4_3ELNS0_20block_scan_algorithmE0ELj4294967295EEENS1_25partition_config_selectorILNS1_17partition_subalgoE3EjNS0_10empty_typeEbEEZZNS1_14partition_implILS8_3ELb0ES6_jNS0_17counting_iteratorIjlEEPS9_SE_NS0_5tupleIJPjSE_EEENSF_IJSE_SE_EEES9_SG_JZNS1_25segmented_radix_sort_implINS0_14default_configELb0EPK6__halfPSL_PKlPlN2at6native12_GLOBAL__N_18offset_tEEE10hipError_tPvRmT1_PNSt15iterator_traitsISZ_E10value_typeET2_T3_PNS10_IS15_E10value_typeET4_jRbjT5_S1B_jjP12ihipStream_tbEUljE_EEESW_SX_SY_S15_S19_S1B_T6_T7_T9_mT8_S1D_bDpT10_ENKUlT_T0_E_clISt17integral_constantIbLb1EES1Q_EEDaS1L_S1M_EUlS1L_E_NS1_11comp_targetILNS1_3genE9ELNS1_11target_archE1100ELNS1_3gpuE3ELNS1_3repE0EEENS1_30default_config_static_selectorELNS0_4arch9wavefront6targetE0EEEvSZ_,"axG",@progbits,_ZN7rocprim17ROCPRIM_400000_NS6detail17trampoline_kernelINS0_13select_configILj256ELj13ELNS0_17block_load_methodE3ELS4_3ELS4_3ELNS0_20block_scan_algorithmE0ELj4294967295EEENS1_25partition_config_selectorILNS1_17partition_subalgoE3EjNS0_10empty_typeEbEEZZNS1_14partition_implILS8_3ELb0ES6_jNS0_17counting_iteratorIjlEEPS9_SE_NS0_5tupleIJPjSE_EEENSF_IJSE_SE_EEES9_SG_JZNS1_25segmented_radix_sort_implINS0_14default_configELb0EPK6__halfPSL_PKlPlN2at6native12_GLOBAL__N_18offset_tEEE10hipError_tPvRmT1_PNSt15iterator_traitsISZ_E10value_typeET2_T3_PNS10_IS15_E10value_typeET4_jRbjT5_S1B_jjP12ihipStream_tbEUljE_EEESW_SX_SY_S15_S19_S1B_T6_T7_T9_mT8_S1D_bDpT10_ENKUlT_T0_E_clISt17integral_constantIbLb1EES1Q_EEDaS1L_S1M_EUlS1L_E_NS1_11comp_targetILNS1_3genE9ELNS1_11target_archE1100ELNS1_3gpuE3ELNS1_3repE0EEENS1_30default_config_static_selectorELNS0_4arch9wavefront6targetE0EEEvSZ_,comdat
	.globl	_ZN7rocprim17ROCPRIM_400000_NS6detail17trampoline_kernelINS0_13select_configILj256ELj13ELNS0_17block_load_methodE3ELS4_3ELS4_3ELNS0_20block_scan_algorithmE0ELj4294967295EEENS1_25partition_config_selectorILNS1_17partition_subalgoE3EjNS0_10empty_typeEbEEZZNS1_14partition_implILS8_3ELb0ES6_jNS0_17counting_iteratorIjlEEPS9_SE_NS0_5tupleIJPjSE_EEENSF_IJSE_SE_EEES9_SG_JZNS1_25segmented_radix_sort_implINS0_14default_configELb0EPK6__halfPSL_PKlPlN2at6native12_GLOBAL__N_18offset_tEEE10hipError_tPvRmT1_PNSt15iterator_traitsISZ_E10value_typeET2_T3_PNS10_IS15_E10value_typeET4_jRbjT5_S1B_jjP12ihipStream_tbEUljE_EEESW_SX_SY_S15_S19_S1B_T6_T7_T9_mT8_S1D_bDpT10_ENKUlT_T0_E_clISt17integral_constantIbLb1EES1Q_EEDaS1L_S1M_EUlS1L_E_NS1_11comp_targetILNS1_3genE9ELNS1_11target_archE1100ELNS1_3gpuE3ELNS1_3repE0EEENS1_30default_config_static_selectorELNS0_4arch9wavefront6targetE0EEEvSZ_ ; -- Begin function _ZN7rocprim17ROCPRIM_400000_NS6detail17trampoline_kernelINS0_13select_configILj256ELj13ELNS0_17block_load_methodE3ELS4_3ELS4_3ELNS0_20block_scan_algorithmE0ELj4294967295EEENS1_25partition_config_selectorILNS1_17partition_subalgoE3EjNS0_10empty_typeEbEEZZNS1_14partition_implILS8_3ELb0ES6_jNS0_17counting_iteratorIjlEEPS9_SE_NS0_5tupleIJPjSE_EEENSF_IJSE_SE_EEES9_SG_JZNS1_25segmented_radix_sort_implINS0_14default_configELb0EPK6__halfPSL_PKlPlN2at6native12_GLOBAL__N_18offset_tEEE10hipError_tPvRmT1_PNSt15iterator_traitsISZ_E10value_typeET2_T3_PNS10_IS15_E10value_typeET4_jRbjT5_S1B_jjP12ihipStream_tbEUljE_EEESW_SX_SY_S15_S19_S1B_T6_T7_T9_mT8_S1D_bDpT10_ENKUlT_T0_E_clISt17integral_constantIbLb1EES1Q_EEDaS1L_S1M_EUlS1L_E_NS1_11comp_targetILNS1_3genE9ELNS1_11target_archE1100ELNS1_3gpuE3ELNS1_3repE0EEENS1_30default_config_static_selectorELNS0_4arch9wavefront6targetE0EEEvSZ_
	.p2align	8
	.type	_ZN7rocprim17ROCPRIM_400000_NS6detail17trampoline_kernelINS0_13select_configILj256ELj13ELNS0_17block_load_methodE3ELS4_3ELS4_3ELNS0_20block_scan_algorithmE0ELj4294967295EEENS1_25partition_config_selectorILNS1_17partition_subalgoE3EjNS0_10empty_typeEbEEZZNS1_14partition_implILS8_3ELb0ES6_jNS0_17counting_iteratorIjlEEPS9_SE_NS0_5tupleIJPjSE_EEENSF_IJSE_SE_EEES9_SG_JZNS1_25segmented_radix_sort_implINS0_14default_configELb0EPK6__halfPSL_PKlPlN2at6native12_GLOBAL__N_18offset_tEEE10hipError_tPvRmT1_PNSt15iterator_traitsISZ_E10value_typeET2_T3_PNS10_IS15_E10value_typeET4_jRbjT5_S1B_jjP12ihipStream_tbEUljE_EEESW_SX_SY_S15_S19_S1B_T6_T7_T9_mT8_S1D_bDpT10_ENKUlT_T0_E_clISt17integral_constantIbLb1EES1Q_EEDaS1L_S1M_EUlS1L_E_NS1_11comp_targetILNS1_3genE9ELNS1_11target_archE1100ELNS1_3gpuE3ELNS1_3repE0EEENS1_30default_config_static_selectorELNS0_4arch9wavefront6targetE0EEEvSZ_,@function
_ZN7rocprim17ROCPRIM_400000_NS6detail17trampoline_kernelINS0_13select_configILj256ELj13ELNS0_17block_load_methodE3ELS4_3ELS4_3ELNS0_20block_scan_algorithmE0ELj4294967295EEENS1_25partition_config_selectorILNS1_17partition_subalgoE3EjNS0_10empty_typeEbEEZZNS1_14partition_implILS8_3ELb0ES6_jNS0_17counting_iteratorIjlEEPS9_SE_NS0_5tupleIJPjSE_EEENSF_IJSE_SE_EEES9_SG_JZNS1_25segmented_radix_sort_implINS0_14default_configELb0EPK6__halfPSL_PKlPlN2at6native12_GLOBAL__N_18offset_tEEE10hipError_tPvRmT1_PNSt15iterator_traitsISZ_E10value_typeET2_T3_PNS10_IS15_E10value_typeET4_jRbjT5_S1B_jjP12ihipStream_tbEUljE_EEESW_SX_SY_S15_S19_S1B_T6_T7_T9_mT8_S1D_bDpT10_ENKUlT_T0_E_clISt17integral_constantIbLb1EES1Q_EEDaS1L_S1M_EUlS1L_E_NS1_11comp_targetILNS1_3genE9ELNS1_11target_archE1100ELNS1_3gpuE3ELNS1_3repE0EEENS1_30default_config_static_selectorELNS0_4arch9wavefront6targetE0EEEvSZ_: ; @_ZN7rocprim17ROCPRIM_400000_NS6detail17trampoline_kernelINS0_13select_configILj256ELj13ELNS0_17block_load_methodE3ELS4_3ELS4_3ELNS0_20block_scan_algorithmE0ELj4294967295EEENS1_25partition_config_selectorILNS1_17partition_subalgoE3EjNS0_10empty_typeEbEEZZNS1_14partition_implILS8_3ELb0ES6_jNS0_17counting_iteratorIjlEEPS9_SE_NS0_5tupleIJPjSE_EEENSF_IJSE_SE_EEES9_SG_JZNS1_25segmented_radix_sort_implINS0_14default_configELb0EPK6__halfPSL_PKlPlN2at6native12_GLOBAL__N_18offset_tEEE10hipError_tPvRmT1_PNSt15iterator_traitsISZ_E10value_typeET2_T3_PNS10_IS15_E10value_typeET4_jRbjT5_S1B_jjP12ihipStream_tbEUljE_EEESW_SX_SY_S15_S19_S1B_T6_T7_T9_mT8_S1D_bDpT10_ENKUlT_T0_E_clISt17integral_constantIbLb1EES1Q_EEDaS1L_S1M_EUlS1L_E_NS1_11comp_targetILNS1_3genE9ELNS1_11target_archE1100ELNS1_3gpuE3ELNS1_3repE0EEENS1_30default_config_static_selectorELNS0_4arch9wavefront6targetE0EEEvSZ_
; %bb.0:
	s_clause 0x6
	s_load_b64 s[16:17], s[0:1], 0x10
	s_load_b64 s[12:13], s[0:1], 0x28
	;; [unrolled: 1-line block ×3, first 2 shown]
	s_load_b128 s[8:11], s[0:1], 0x48
	s_load_b32 s3, s[0:1], 0x90
	s_load_b64 s[18:19], s[0:1], 0x68
	s_load_b128 s[4:7], s[0:1], 0x80
	v_cmp_eq_u32_e64 s2, 0, v0
	s_delay_alu instid0(VALU_DEP_1)
	s_and_saveexec_b32 s20, s2
	s_cbranch_execz .LBB1824_4
; %bb.1:
	s_mov_b32 s22, exec_lo
	s_mov_b32 s21, exec_lo
	v_mbcnt_lo_u32_b32 v1, s22, 0
                                        ; implicit-def: $vgpr2
	s_delay_alu instid0(VALU_DEP_1)
	v_cmpx_eq_u32_e32 0, v1
	s_cbranch_execz .LBB1824_3
; %bb.2:
	s_load_b64 s[24:25], s[0:1], 0x78
	s_bcnt1_i32_b32 s22, s22
	s_delay_alu instid0(SALU_CYCLE_1)
	v_dual_mov_b32 v2, 0 :: v_dual_mov_b32 v3, s22
	s_waitcnt lgkmcnt(0)
	global_atomic_add_u32 v2, v2, v3, s[24:25] glc
.LBB1824_3:
	s_or_b32 exec_lo, exec_lo, s21
	s_waitcnt vmcnt(0)
	v_readfirstlane_b32 s21, v2
	s_delay_alu instid0(VALU_DEP_1)
	v_dual_mov_b32 v2, 0 :: v_dual_add_nc_u32 v1, s21, v1
	ds_store_b32 v2, v1
.LBB1824_4:
	s_or_b32 exec_lo, exec_lo, s20
	v_mov_b32_e32 v1, 0
	s_clause 0x1
	s_load_b32 s20, s[0:1], 0x8
	s_load_b32 s0, s[0:1], 0x70
	s_waitcnt lgkmcnt(0)
	s_barrier
	buffer_gl0_inv
	ds_load_b32 v2, v1
	s_waitcnt lgkmcnt(0)
	s_barrier
	buffer_gl0_inv
	global_load_b64 v[18:19], v1, s[10:11]
	v_lshlrev_b32_e32 v33, 2, v0
	s_add_i32 s21, s20, s16
	s_mul_i32 s1, s0, 0xd00
	s_add_i32 s0, s0, -1
	s_add_u32 s10, s16, s1
	s_addc_u32 s11, s17, 0
	v_mul_lo_u32 v32, 0xd00, v2
	v_readfirstlane_b32 s20, v2
	v_cmp_lt_u64_e64 s11, s[10:11], s[14:15]
	v_cmp_ne_u32_e32 vcc_lo, s0, v2
	s_delay_alu instid0(VALU_DEP_3) | instskip(SKIP_1) | instid1(VALU_DEP_4)
	s_cmp_eq_u32 s20, s0
	s_cselect_b32 s10, -1, 0
	v_add3_u32 v1, v32, s21, v0
	s_delay_alu instid0(VALU_DEP_3) | instskip(SKIP_2) | instid1(VALU_DEP_1)
	s_or_b32 s0, s11, vcc_lo
	s_mov_b32 s11, -1
	s_and_b32 vcc_lo, exec_lo, s0
	v_add_nc_u32_e32 v2, 0x100, v1
	v_add_nc_u32_e32 v3, 0x200, v1
	;; [unrolled: 1-line block ×12, first 2 shown]
	s_cbranch_vccz .LBB1824_6
; %bb.5:
	ds_store_2addr_stride64_b32 v33, v1, v2 offset1:4
	ds_store_2addr_stride64_b32 v33, v3, v4 offset0:8 offset1:12
	ds_store_2addr_stride64_b32 v33, v5, v6 offset0:16 offset1:20
	ds_store_2addr_stride64_b32 v33, v7, v8 offset0:24 offset1:28
	ds_store_2addr_stride64_b32 v33, v9, v10 offset0:32 offset1:36
	ds_store_2addr_stride64_b32 v33, v11, v12 offset0:40 offset1:44
	ds_store_b32 v33, v13 offset:12288
	s_waitcnt vmcnt(0) lgkmcnt(0)
	s_mov_b32 s11, 0
	s_barrier
.LBB1824_6:
	s_and_not1_b32 vcc_lo, exec_lo, s11
	s_add_i32 s1, s1, s16
	s_cbranch_vccnz .LBB1824_8
; %bb.7:
	ds_store_2addr_stride64_b32 v33, v1, v2 offset1:4
	ds_store_2addr_stride64_b32 v33, v3, v4 offset0:8 offset1:12
	ds_store_2addr_stride64_b32 v33, v5, v6 offset0:16 offset1:20
	;; [unrolled: 1-line block ×5, first 2 shown]
	ds_store_b32 v33, v13 offset:12288
	s_waitcnt vmcnt(0) lgkmcnt(0)
	s_barrier
.LBB1824_8:
	v_mul_u32_u24_e32 v36, 13, v0
	s_waitcnt vmcnt(0)
	buffer_gl0_inv
	v_cndmask_b32_e64 v34, 0, 1, s0
	s_sub_i32 s11, s14, s1
	s_and_not1_b32 vcc_lo, exec_lo, s0
	v_lshlrev_b32_e32 v1, 2, v36
	ds_load_2addr_b32 v[30:31], v1 offset1:1
	ds_load_2addr_b32 v[28:29], v1 offset0:2 offset1:3
	ds_load_2addr_b32 v[26:27], v1 offset0:4 offset1:5
	;; [unrolled: 1-line block ×5, first 2 shown]
	ds_load_b32 v35, v1 offset:48
	s_waitcnt lgkmcnt(0)
	s_barrier
	buffer_gl0_inv
	s_cbranch_vccnz .LBB1824_10
; %bb.9:
	v_add_nc_u32_e32 v1, s5, v30
	v_add_nc_u32_e32 v2, s7, v30
	;; [unrolled: 1-line block ×5, first 2 shown]
	v_mul_lo_u32 v1, v1, s4
	v_mul_lo_u32 v2, v2, s6
	;; [unrolled: 1-line block ×4, first 2 shown]
	v_add_nc_u32_e32 v6, s7, v28
	v_add_nc_u32_e32 v7, s5, v29
	;; [unrolled: 1-line block ×3, first 2 shown]
	v_mul_lo_u32 v5, v5, s4
	v_add_nc_u32_e32 v9, s5, v24
	v_sub_nc_u32_e32 v1, v1, v2
	v_mul_lo_u32 v2, v6, s6
	v_sub_nc_u32_e32 v3, v3, v4
	v_mul_lo_u32 v4, v7, s4
	v_mul_lo_u32 v6, v8, s6
	v_add_nc_u32_e32 v7, s5, v26
	v_cmp_lt_u32_e32 vcc_lo, s3, v1
	v_add_nc_u32_e32 v8, s5, v27
	v_add_nc_u32_e32 v10, s7, v24
	v_sub_nc_u32_e32 v2, v5, v2
	v_add_nc_u32_e32 v5, s7, v26
	v_cndmask_b32_e64 v1, 0, 1, vcc_lo
	v_sub_nc_u32_e32 v4, v4, v6
	v_mul_lo_u32 v6, v7, s4
	v_add_nc_u32_e32 v7, s7, v27
	v_cmp_lt_u32_e32 vcc_lo, s3, v3
	v_mul_lo_u32 v5, v5, s6
	v_mul_lo_u32 v8, v8, s4
	;; [unrolled: 1-line block ×4, first 2 shown]
	v_cndmask_b32_e64 v3, 0, 1, vcc_lo
	v_cmp_lt_u32_e32 vcc_lo, s3, v2
	v_mul_lo_u32 v10, v10, s6
	v_add_nc_u32_e32 v11, s5, v22
	v_sub_nc_u32_e32 v5, v6, v5
	v_add_nc_u32_e32 v12, s7, v22
	v_cndmask_b32_e64 v2, 0, 1, vcc_lo
	v_sub_nc_u32_e32 v6, v8, v7
	v_add_nc_u32_e32 v7, s5, v25
	v_add_nc_u32_e32 v8, s7, v25
	v_cmp_lt_u32_e32 vcc_lo, s3, v4
	v_sub_nc_u32_e32 v9, v9, v10
	v_mul_lo_u32 v10, v11, s4
	v_mul_lo_u32 v7, v7, s4
	;; [unrolled: 1-line block ×4, first 2 shown]
	v_cndmask_b32_e64 v4, 0, 1, vcc_lo
	v_cmp_lt_u32_e32 vcc_lo, s3, v5
	v_add_nc_u32_e32 v12, s5, v23
	v_add_nc_u32_e32 v13, s7, v20
	;; [unrolled: 1-line block ×4, first 2 shown]
	v_cndmask_b32_e64 v5, 0, 1, vcc_lo
	v_cmp_lt_u32_e32 vcc_lo, s3, v6
	v_sub_nc_u32_e32 v7, v7, v8
	v_sub_nc_u32_e32 v8, v10, v11
	v_add_nc_u32_e32 v11, s7, v23
	v_mul_lo_u32 v10, v12, s4
	v_cndmask_b32_e64 v6, 0, 1, vcc_lo
	v_cmp_lt_u32_e32 vcc_lo, s3, v9
	v_add_nc_u32_e32 v12, s5, v20
	v_mul_lo_u32 v11, v11, s6
	v_mul_lo_u32 v13, v13, s6
	;; [unrolled: 1-line block ×3, first 2 shown]
	v_cndmask_b32_e64 v9, 0, 1, vcc_lo
	v_cmp_lt_u32_e32 vcc_lo, s3, v7
	v_mul_lo_u32 v12, v12, s4
	v_mul_lo_u32 v15, v15, s6
	v_lshlrev_b16 v3, 8, v3
	v_sub_nc_u32_e32 v10, v10, v11
	v_cndmask_b32_e64 v7, 0, 1, vcc_lo
	v_cmp_lt_u32_e32 vcc_lo, s3, v8
	v_add_nc_u32_e32 v11, s5, v35
	v_or_b32_e32 v1, v1, v3
	v_sub_nc_u32_e32 v12, v12, v13
	v_sub_nc_u32_e32 v13, v14, v15
	v_cndmask_b32_e64 v8, 0, 1, vcc_lo
	v_cmp_lt_u32_e32 vcc_lo, s3, v10
	v_add_nc_u32_e32 v16, s7, v35
	v_mul_lo_u32 v11, v11, s4
	v_lshlrev_b16 v4, 8, v4
	v_lshlrev_b16 v6, 8, v6
	v_cndmask_b32_e64 v10, 0, 1, vcc_lo
	v_cmp_lt_u32_e32 vcc_lo, s3, v12
	v_mul_lo_u32 v14, v16, s6
	v_lshlrev_b16 v7, 8, v7
	v_or_b32_e32 v2, v2, v4
	v_lshlrev_b16 v10, 8, v10
	v_cndmask_b32_e64 v3, 0, 1, vcc_lo
	v_cmp_lt_u32_e32 vcc_lo, s3, v13
	v_or_b32_e32 v4, v5, v6
	v_or_b32_e32 v5, v9, v7
	v_sub_nc_u32_e32 v11, v11, v14
	v_or_b32_e32 v6, v8, v10
	v_cndmask_b32_e64 v12, 0, 1, vcc_lo
	v_and_b32_e32 v1, 0xffff, v1
	v_lshlrev_b32_e32 v2, 16, v2
	v_and_b32_e32 v4, 0xffff, v4
	v_lshlrev_b32_e32 v5, 16, v5
	v_lshlrev_b16 v12, 8, v12
	v_and_b32_e32 v6, 0xffff, v6
	v_cmp_lt_u32_e32 vcc_lo, s3, v11
	v_or_b32_e32 v42, v1, v2
	v_or_b32_e32 v40, v4, v5
	;; [unrolled: 1-line block ×3, first 2 shown]
	v_cndmask_b32_e64 v37, 0, 1, vcc_lo
	s_delay_alu instid0(VALU_DEP_2) | instskip(NEXT) | instid1(VALU_DEP_1)
	v_lshlrev_b32_e32 v3, 16, v3
	v_or_b32_e32 v38, v6, v3
	s_addk_i32 s11, 0xd00
	s_cbranch_execz .LBB1824_11
	s_branch .LBB1824_38
.LBB1824_10:
                                        ; implicit-def: $vgpr37
                                        ; implicit-def: $vgpr38
                                        ; implicit-def: $vgpr40
                                        ; implicit-def: $vgpr42
	s_addk_i32 s11, 0xd00
.LBB1824_11:
	v_dual_mov_b32 v2, 0 :: v_dual_mov_b32 v1, 0
	s_mov_b32 s0, exec_lo
	v_cmpx_gt_u32_e64 s11, v36
; %bb.12:
	v_add_nc_u32_e32 v1, s5, v30
	v_add_nc_u32_e32 v3, s7, v30
	s_delay_alu instid0(VALU_DEP_2) | instskip(NEXT) | instid1(VALU_DEP_2)
	v_mul_lo_u32 v1, v1, s4
	v_mul_lo_u32 v3, v3, s6
	s_delay_alu instid0(VALU_DEP_1) | instskip(NEXT) | instid1(VALU_DEP_1)
	v_sub_nc_u32_e32 v1, v1, v3
	v_cmp_lt_u32_e32 vcc_lo, s3, v1
	v_cndmask_b32_e64 v1, 0, 1, vcc_lo
; %bb.13:
	s_or_b32 exec_lo, exec_lo, s0
	v_add_nc_u32_e32 v3, 1, v36
	s_mov_b32 s0, exec_lo
	s_delay_alu instid0(VALU_DEP_1)
	v_cmpx_gt_u32_e64 s11, v3
; %bb.14:
	v_add_nc_u32_e32 v2, s5, v31
	v_add_nc_u32_e32 v3, s7, v31
	s_delay_alu instid0(VALU_DEP_2) | instskip(NEXT) | instid1(VALU_DEP_2)
	v_mul_lo_u32 v2, v2, s4
	v_mul_lo_u32 v3, v3, s6
	s_delay_alu instid0(VALU_DEP_1) | instskip(NEXT) | instid1(VALU_DEP_1)
	v_sub_nc_u32_e32 v2, v2, v3
	v_cmp_lt_u32_e32 vcc_lo, s3, v2
	v_cndmask_b32_e64 v2, 0, 1, vcc_lo
; %bb.15:
	s_or_b32 exec_lo, exec_lo, s0
	v_dual_mov_b32 v4, 0 :: v_dual_add_nc_u32 v3, 2, v36
	s_delay_alu instid0(VALU_DEP_1)
	v_cmp_gt_u32_e32 vcc_lo, s11, v3
	v_mov_b32_e32 v3, 0
	s_and_saveexec_b32 s0, vcc_lo
; %bb.16:
	v_add_nc_u32_e32 v3, s5, v28
	v_add_nc_u32_e32 v5, s7, v28
	s_delay_alu instid0(VALU_DEP_2) | instskip(NEXT) | instid1(VALU_DEP_2)
	v_mul_lo_u32 v3, v3, s4
	v_mul_lo_u32 v5, v5, s6
	s_delay_alu instid0(VALU_DEP_1) | instskip(NEXT) | instid1(VALU_DEP_1)
	v_sub_nc_u32_e32 v3, v3, v5
	v_cmp_lt_u32_e32 vcc_lo, s3, v3
	v_cndmask_b32_e64 v3, 0, 1, vcc_lo
; %bb.17:
	s_or_b32 exec_lo, exec_lo, s0
	v_add_nc_u32_e32 v5, 3, v36
	s_mov_b32 s0, exec_lo
	s_delay_alu instid0(VALU_DEP_1)
	v_cmpx_gt_u32_e64 s11, v5
; %bb.18:
	v_add_nc_u32_e32 v4, s5, v29
	v_add_nc_u32_e32 v5, s7, v29
	s_delay_alu instid0(VALU_DEP_2) | instskip(NEXT) | instid1(VALU_DEP_2)
	v_mul_lo_u32 v4, v4, s4
	v_mul_lo_u32 v5, v5, s6
	s_delay_alu instid0(VALU_DEP_1) | instskip(NEXT) | instid1(VALU_DEP_1)
	v_sub_nc_u32_e32 v4, v4, v5
	v_cmp_lt_u32_e32 vcc_lo, s3, v4
	v_cndmask_b32_e64 v4, 0, 1, vcc_lo
; %bb.19:
	s_or_b32 exec_lo, exec_lo, s0
	v_dual_mov_b32 v6, 0 :: v_dual_add_nc_u32 v5, 4, v36
	s_delay_alu instid0(VALU_DEP_1)
	v_cmp_gt_u32_e32 vcc_lo, s11, v5
	v_mov_b32_e32 v5, 0
	s_and_saveexec_b32 s0, vcc_lo
	;; [unrolled: 33-line block ×5, first 2 shown]
; %bb.32:
	v_add_nc_u32_e32 v11, s5, v20
	v_add_nc_u32_e32 v13, s7, v20
	s_delay_alu instid0(VALU_DEP_2) | instskip(NEXT) | instid1(VALU_DEP_2)
	v_mul_lo_u32 v11, v11, s4
	v_mul_lo_u32 v13, v13, s6
	s_delay_alu instid0(VALU_DEP_1) | instskip(NEXT) | instid1(VALU_DEP_1)
	v_sub_nc_u32_e32 v11, v11, v13
	v_cmp_lt_u32_e32 vcc_lo, s3, v11
	v_cndmask_b32_e64 v11, 0, 1, vcc_lo
; %bb.33:
	s_or_b32 exec_lo, exec_lo, s0
	v_add_nc_u32_e32 v13, 11, v36
	s_mov_b32 s0, exec_lo
	s_delay_alu instid0(VALU_DEP_1)
	v_cmpx_gt_u32_e64 s11, v13
; %bb.34:
	v_add_nc_u32_e32 v12, s5, v21
	v_add_nc_u32_e32 v13, s7, v21
	s_delay_alu instid0(VALU_DEP_2) | instskip(NEXT) | instid1(VALU_DEP_2)
	v_mul_lo_u32 v12, v12, s4
	v_mul_lo_u32 v13, v13, s6
	s_delay_alu instid0(VALU_DEP_1) | instskip(NEXT) | instid1(VALU_DEP_1)
	v_sub_nc_u32_e32 v12, v12, v13
	v_cmp_lt_u32_e32 vcc_lo, s3, v12
	v_cndmask_b32_e64 v12, 0, 1, vcc_lo
; %bb.35:
	s_or_b32 exec_lo, exec_lo, s0
	v_add_nc_u32_e32 v13, 12, v36
	v_mov_b32_e32 v37, 0
	s_mov_b32 s0, exec_lo
	s_delay_alu instid0(VALU_DEP_2)
	v_cmpx_gt_u32_e64 s11, v13
; %bb.36:
	v_add_nc_u32_e32 v13, s5, v35
	v_add_nc_u32_e32 v14, s7, v35
	s_delay_alu instid0(VALU_DEP_2) | instskip(NEXT) | instid1(VALU_DEP_2)
	v_mul_lo_u32 v13, v13, s4
	v_mul_lo_u32 v14, v14, s6
	s_delay_alu instid0(VALU_DEP_1) | instskip(NEXT) | instid1(VALU_DEP_1)
	v_sub_nc_u32_e32 v13, v13, v14
	v_cmp_lt_u32_e32 vcc_lo, s3, v13
	v_cndmask_b32_e64 v37, 0, 1, vcc_lo
; %bb.37:
	s_or_b32 exec_lo, exec_lo, s0
	v_lshlrev_b16 v2, 8, v2
	v_lshlrev_b16 v4, 8, v4
	;; [unrolled: 1-line block ×5, first 2 shown]
	v_or_b32_e32 v1, v1, v2
	v_lshlrev_b16 v2, 8, v12
	v_or_b32_e32 v3, v3, v4
	v_or_b32_e32 v4, v5, v6
	;; [unrolled: 1-line block ×5, first 2 shown]
	v_and_b32_e32 v1, 0xffff, v1
	v_lshlrev_b32_e32 v3, 16, v3
	v_and_b32_e32 v4, 0xffff, v4
	v_lshlrev_b32_e32 v5, 16, v5
	;; [unrolled: 2-line block ×3, first 2 shown]
	v_or_b32_e32 v42, v1, v3
	s_delay_alu instid0(VALU_DEP_4) | instskip(NEXT) | instid1(VALU_DEP_3)
	v_or_b32_e32 v40, v4, v5
	v_or_b32_e32 v38, v6, v2
.LBB1824_38:
	s_delay_alu instid0(VALU_DEP_3)
	v_and_b32_e32 v44, 0xff, v42
	v_bfe_u32 v45, v42, 8, 8
	v_bfe_u32 v46, v42, 16, 8
	v_lshrrev_b32_e32 v43, 24, v42
	v_and_b32_e32 v47, 0xff, v40
	v_bfe_u32 v48, v40, 8, 8
	v_bfe_u32 v49, v40, 16, 8
	v_add3_u32 v1, v45, v44, v46
	v_lshrrev_b32_e32 v41, 24, v40
	v_and_b32_e32 v50, 0xff, v38
	v_bfe_u32 v51, v38, 8, 8
	v_mbcnt_lo_u32_b32 v53, -1, 0
	v_add3_u32 v1, v1, v43, v47
	v_bfe_u32 v52, v38, 16, 8
	v_lshrrev_b32_e32 v39, 24, v38
	v_and_b32_e32 v2, 0xff, v37
	v_and_b32_e32 v3, 15, v53
	v_add3_u32 v1, v1, v48, v49
	v_or_b32_e32 v4, 31, v0
	v_and_b32_e32 v5, 16, v53
	v_lshrrev_b32_e32 v54, 5, v0
	v_cmp_eq_u32_e64 s6, 0, v3
	v_add3_u32 v1, v1, v41, v50
	v_cmp_lt_u32_e64 s5, 1, v3
	v_cmp_lt_u32_e64 s4, 3, v3
	;; [unrolled: 1-line block ×3, first 2 shown]
	v_cmp_eq_u32_e64 s1, 0, v5
	v_add3_u32 v1, v1, v51, v52
	v_cmp_eq_u32_e64 s0, v4, v0
	s_cmp_lg_u32 s20, 0
	s_mov_b32 s7, -1
	s_delay_alu instid0(VALU_DEP_2)
	v_add3_u32 v55, v1, v39, v2
	s_cbranch_scc0 .LBB1824_69
; %bb.39:
	s_delay_alu instid0(VALU_DEP_1) | instskip(NEXT) | instid1(VALU_DEP_1)
	v_mov_b32_dpp v1, v55 row_shr:1 row_mask:0xf bank_mask:0xf
	v_cndmask_b32_e64 v1, v1, 0, s6
	s_delay_alu instid0(VALU_DEP_1) | instskip(NEXT) | instid1(VALU_DEP_1)
	v_add_nc_u32_e32 v1, v1, v55
	v_mov_b32_dpp v2, v1 row_shr:2 row_mask:0xf bank_mask:0xf
	s_delay_alu instid0(VALU_DEP_1) | instskip(NEXT) | instid1(VALU_DEP_1)
	v_cndmask_b32_e64 v2, 0, v2, s5
	v_add_nc_u32_e32 v1, v1, v2
	s_delay_alu instid0(VALU_DEP_1) | instskip(NEXT) | instid1(VALU_DEP_1)
	v_mov_b32_dpp v2, v1 row_shr:4 row_mask:0xf bank_mask:0xf
	v_cndmask_b32_e64 v2, 0, v2, s4
	s_delay_alu instid0(VALU_DEP_1) | instskip(NEXT) | instid1(VALU_DEP_1)
	v_add_nc_u32_e32 v1, v1, v2
	v_mov_b32_dpp v2, v1 row_shr:8 row_mask:0xf bank_mask:0xf
	s_delay_alu instid0(VALU_DEP_1) | instskip(NEXT) | instid1(VALU_DEP_1)
	v_cndmask_b32_e64 v2, 0, v2, s3
	v_add_nc_u32_e32 v1, v1, v2
	ds_swizzle_b32 v2, v1 offset:swizzle(BROADCAST,32,15)
	s_waitcnt lgkmcnt(0)
	v_cndmask_b32_e64 v2, v2, 0, s1
	s_delay_alu instid0(VALU_DEP_1)
	v_add_nc_u32_e32 v1, v1, v2
	s_and_saveexec_b32 s7, s0
	s_cbranch_execz .LBB1824_41
; %bb.40:
	v_lshlrev_b32_e32 v2, 2, v54
	ds_store_b32 v2, v1
.LBB1824_41:
	s_or_b32 exec_lo, exec_lo, s7
	s_delay_alu instid0(SALU_CYCLE_1)
	s_mov_b32 s7, exec_lo
	s_waitcnt lgkmcnt(0)
	s_barrier
	buffer_gl0_inv
	v_cmpx_gt_u32_e32 8, v0
	s_cbranch_execz .LBB1824_43
; %bb.42:
	ds_load_b32 v2, v33
	s_waitcnt lgkmcnt(0)
	v_mov_b32_dpp v4, v2 row_shr:1 row_mask:0xf bank_mask:0xf
	v_and_b32_e32 v3, 7, v53
	s_delay_alu instid0(VALU_DEP_1) | instskip(NEXT) | instid1(VALU_DEP_3)
	v_cmp_ne_u32_e32 vcc_lo, 0, v3
	v_cndmask_b32_e32 v4, 0, v4, vcc_lo
	v_cmp_lt_u32_e32 vcc_lo, 1, v3
	s_delay_alu instid0(VALU_DEP_2) | instskip(NEXT) | instid1(VALU_DEP_1)
	v_add_nc_u32_e32 v2, v4, v2
	v_mov_b32_dpp v4, v2 row_shr:2 row_mask:0xf bank_mask:0xf
	s_delay_alu instid0(VALU_DEP_1) | instskip(SKIP_1) | instid1(VALU_DEP_2)
	v_cndmask_b32_e32 v4, 0, v4, vcc_lo
	v_cmp_lt_u32_e32 vcc_lo, 3, v3
	v_add_nc_u32_e32 v2, v2, v4
	s_delay_alu instid0(VALU_DEP_1) | instskip(NEXT) | instid1(VALU_DEP_1)
	v_mov_b32_dpp v4, v2 row_shr:4 row_mask:0xf bank_mask:0xf
	v_cndmask_b32_e32 v3, 0, v4, vcc_lo
	s_delay_alu instid0(VALU_DEP_1)
	v_add_nc_u32_e32 v2, v2, v3
	ds_store_b32 v33, v2
.LBB1824_43:
	s_or_b32 exec_lo, exec_lo, s7
	v_cmp_gt_u32_e32 vcc_lo, 32, v0
	s_mov_b32 s21, exec_lo
	s_waitcnt lgkmcnt(0)
	s_barrier
	buffer_gl0_inv
                                        ; implicit-def: $vgpr8
	v_cmpx_lt_u32_e32 31, v0
	s_cbranch_execz .LBB1824_45
; %bb.44:
	v_lshl_add_u32 v2, v54, 2, -4
	ds_load_b32 v8, v2
	s_waitcnt lgkmcnt(0)
	v_add_nc_u32_e32 v1, v8, v1
.LBB1824_45:
	s_or_b32 exec_lo, exec_lo, s21
	v_add_nc_u32_e32 v2, -1, v53
	s_delay_alu instid0(VALU_DEP_1) | instskip(NEXT) | instid1(VALU_DEP_1)
	v_cmp_gt_i32_e64 s7, 0, v2
	v_cndmask_b32_e64 v2, v2, v53, s7
	v_cmp_eq_u32_e64 s7, 0, v53
	s_delay_alu instid0(VALU_DEP_2)
	v_lshlrev_b32_e32 v2, 2, v2
	ds_bpermute_b32 v9, v2, v1
	s_and_saveexec_b32 s21, vcc_lo
	s_cbranch_execz .LBB1824_68
; %bb.46:
	v_mov_b32_e32 v4, 0
	ds_load_b32 v1, v4 offset:28
	s_and_saveexec_b32 s22, s7
	s_cbranch_execz .LBB1824_48
; %bb.47:
	s_add_i32 s24, s20, 32
	s_mov_b32 s25, 0
	v_mov_b32_e32 v2, 1
	s_lshl_b64 s[24:25], s[24:25], 3
	s_delay_alu instid0(SALU_CYCLE_1)
	s_add_u32 s24, s18, s24
	s_addc_u32 s25, s19, s25
	s_waitcnt lgkmcnt(0)
	global_store_b64 v4, v[1:2], s[24:25]
.LBB1824_48:
	s_or_b32 exec_lo, exec_lo, s22
	v_xad_u32 v2, v53, -1, s20
	s_mov_b32 s23, 0
	s_mov_b32 s22, exec_lo
	s_delay_alu instid0(VALU_DEP_1) | instskip(NEXT) | instid1(VALU_DEP_1)
	v_add_nc_u32_e32 v3, 32, v2
	v_lshlrev_b64 v[3:4], 3, v[3:4]
	s_delay_alu instid0(VALU_DEP_1) | instskip(NEXT) | instid1(VALU_DEP_2)
	v_add_co_u32 v6, vcc_lo, s18, v3
	v_add_co_ci_u32_e32 v7, vcc_lo, s19, v4, vcc_lo
	global_load_b64 v[4:5], v[6:7], off glc
	s_waitcnt vmcnt(0)
	v_and_b32_e32 v3, 0xff, v5
	s_delay_alu instid0(VALU_DEP_1)
	v_cmpx_eq_u16_e32 0, v3
	s_cbranch_execz .LBB1824_54
; %bb.49:
	s_mov_b32 s24, 1
	.p2align	6
.LBB1824_50:                            ; =>This Loop Header: Depth=1
                                        ;     Child Loop BB1824_51 Depth 2
	s_delay_alu instid0(SALU_CYCLE_1)
	s_max_u32 s25, s24, 1
.LBB1824_51:                            ;   Parent Loop BB1824_50 Depth=1
                                        ; =>  This Inner Loop Header: Depth=2
	s_delay_alu instid0(SALU_CYCLE_1)
	s_add_i32 s25, s25, -1
	s_sleep 1
	s_cmp_eq_u32 s25, 0
	s_cbranch_scc0 .LBB1824_51
; %bb.52:                               ;   in Loop: Header=BB1824_50 Depth=1
	global_load_b64 v[4:5], v[6:7], off glc
	s_cmp_lt_u32 s24, 32
	s_cselect_b32 s25, -1, 0
	s_delay_alu instid0(SALU_CYCLE_1) | instskip(SKIP_3) | instid1(VALU_DEP_1)
	s_cmp_lg_u32 s25, 0
	s_addc_u32 s24, s24, 0
	s_waitcnt vmcnt(0)
	v_and_b32_e32 v3, 0xff, v5
	v_cmp_ne_u16_e32 vcc_lo, 0, v3
	s_or_b32 s23, vcc_lo, s23
	s_delay_alu instid0(SALU_CYCLE_1)
	s_and_not1_b32 exec_lo, exec_lo, s23
	s_cbranch_execnz .LBB1824_50
; %bb.53:
	s_or_b32 exec_lo, exec_lo, s23
.LBB1824_54:
	s_delay_alu instid0(SALU_CYCLE_1)
	s_or_b32 exec_lo, exec_lo, s22
	v_cmp_ne_u32_e32 vcc_lo, 31, v53
	v_lshlrev_b32_e64 v11, v53, -1
	v_add_nc_u32_e32 v13, 2, v53
	v_add_nc_u32_e32 v15, 4, v53
	;; [unrolled: 1-line block ×3, first 2 shown]
	v_add_co_ci_u32_e32 v3, vcc_lo, 0, v53, vcc_lo
	v_add_nc_u32_e32 v58, 16, v53
	s_delay_alu instid0(VALU_DEP_2) | instskip(SKIP_2) | instid1(VALU_DEP_1)
	v_lshlrev_b32_e32 v10, 2, v3
	ds_bpermute_b32 v6, v10, v4
	v_and_b32_e32 v3, 0xff, v5
	v_cmp_eq_u16_e32 vcc_lo, 2, v3
	v_and_or_b32 v3, vcc_lo, v11, 0x80000000
	v_cmp_gt_u32_e32 vcc_lo, 30, v53
	s_delay_alu instid0(VALU_DEP_2) | instskip(SKIP_1) | instid1(VALU_DEP_2)
	v_ctz_i32_b32_e32 v3, v3
	v_cndmask_b32_e64 v7, 0, 1, vcc_lo
	v_cmp_lt_u32_e32 vcc_lo, v53, v3
	s_waitcnt lgkmcnt(0)
	s_delay_alu instid0(VALU_DEP_2) | instskip(NEXT) | instid1(VALU_DEP_1)
	v_dual_cndmask_b32 v6, 0, v6 :: v_dual_lshlrev_b32 v7, 1, v7
	v_add_lshl_u32 v12, v7, v53, 2
	v_cmp_gt_u32_e32 vcc_lo, 28, v53
	s_delay_alu instid0(VALU_DEP_3) | instskip(SKIP_4) | instid1(VALU_DEP_1)
	v_add_nc_u32_e32 v4, v6, v4
	v_cndmask_b32_e64 v7, 0, 1, vcc_lo
	v_cmp_le_u32_e32 vcc_lo, v13, v3
	ds_bpermute_b32 v6, v12, v4
	v_lshlrev_b32_e32 v7, 2, v7
	v_add_lshl_u32 v14, v7, v53, 2
	s_waitcnt lgkmcnt(0)
	v_cndmask_b32_e32 v6, 0, v6, vcc_lo
	v_cmp_gt_u32_e32 vcc_lo, 24, v53
	s_delay_alu instid0(VALU_DEP_2) | instskip(SKIP_4) | instid1(VALU_DEP_1)
	v_add_nc_u32_e32 v4, v4, v6
	v_cndmask_b32_e64 v7, 0, 1, vcc_lo
	v_cmp_le_u32_e32 vcc_lo, v15, v3
	ds_bpermute_b32 v6, v14, v4
	v_lshlrev_b32_e32 v7, 3, v7
	v_add_lshl_u32 v17, v7, v53, 2
	s_waitcnt lgkmcnt(0)
	v_cndmask_b32_e32 v6, 0, v6, vcc_lo
	v_cmp_gt_u32_e32 vcc_lo, 16, v53
	s_delay_alu instid0(VALU_DEP_2) | instskip(SKIP_4) | instid1(VALU_DEP_1)
	v_add_nc_u32_e32 v4, v4, v6
	v_cndmask_b32_e64 v7, 0, 1, vcc_lo
	v_cmp_le_u32_e32 vcc_lo, v56, v3
	ds_bpermute_b32 v6, v17, v4
	v_lshlrev_b32_e32 v7, 4, v7
	v_add_lshl_u32 v57, v7, v53, 2
	s_waitcnt lgkmcnt(0)
	v_cndmask_b32_e32 v6, 0, v6, vcc_lo
	v_cmp_le_u32_e32 vcc_lo, v58, v3
	s_delay_alu instid0(VALU_DEP_2) | instskip(SKIP_3) | instid1(VALU_DEP_1)
	v_add_nc_u32_e32 v4, v4, v6
	ds_bpermute_b32 v6, v57, v4
	s_waitcnt lgkmcnt(0)
	v_cndmask_b32_e32 v3, 0, v6, vcc_lo
	v_dual_mov_b32 v3, 0 :: v_dual_add_nc_u32 v4, v4, v3
	s_branch .LBB1824_56
.LBB1824_55:                            ;   in Loop: Header=BB1824_56 Depth=1
	s_or_b32 exec_lo, exec_lo, s22
	ds_bpermute_b32 v7, v10, v4
	v_and_b32_e32 v6, 0xff, v5
	v_subrev_nc_u32_e32 v2, 32, v2
	s_delay_alu instid0(VALU_DEP_2) | instskip(SKIP_1) | instid1(VALU_DEP_1)
	v_cmp_eq_u16_e32 vcc_lo, 2, v6
	v_and_or_b32 v6, vcc_lo, v11, 0x80000000
	v_ctz_i32_b32_e32 v6, v6
	s_delay_alu instid0(VALU_DEP_1) | instskip(SKIP_3) | instid1(VALU_DEP_2)
	v_cmp_lt_u32_e32 vcc_lo, v53, v6
	s_waitcnt lgkmcnt(0)
	v_cndmask_b32_e32 v7, 0, v7, vcc_lo
	v_cmp_le_u32_e32 vcc_lo, v13, v6
	v_add_nc_u32_e32 v4, v7, v4
	ds_bpermute_b32 v7, v12, v4
	s_waitcnt lgkmcnt(0)
	v_cndmask_b32_e32 v7, 0, v7, vcc_lo
	v_cmp_le_u32_e32 vcc_lo, v15, v6
	s_delay_alu instid0(VALU_DEP_2) | instskip(SKIP_4) | instid1(VALU_DEP_2)
	v_add_nc_u32_e32 v4, v4, v7
	ds_bpermute_b32 v7, v14, v4
	s_waitcnt lgkmcnt(0)
	v_cndmask_b32_e32 v7, 0, v7, vcc_lo
	v_cmp_le_u32_e32 vcc_lo, v56, v6
	v_add_nc_u32_e32 v4, v4, v7
	ds_bpermute_b32 v7, v17, v4
	s_waitcnt lgkmcnt(0)
	v_cndmask_b32_e32 v7, 0, v7, vcc_lo
	v_cmp_le_u32_e32 vcc_lo, v58, v6
	s_delay_alu instid0(VALU_DEP_2) | instskip(SKIP_3) | instid1(VALU_DEP_1)
	v_add_nc_u32_e32 v4, v4, v7
	ds_bpermute_b32 v7, v57, v4
	s_waitcnt lgkmcnt(0)
	v_cndmask_b32_e32 v6, 0, v7, vcc_lo
	v_add3_u32 v4, v6, v16, v4
.LBB1824_56:                            ; =>This Loop Header: Depth=1
                                        ;     Child Loop BB1824_59 Depth 2
                                        ;       Child Loop BB1824_60 Depth 3
	s_delay_alu instid0(VALU_DEP_1) | instskip(NEXT) | instid1(VALU_DEP_1)
	v_dual_mov_b32 v16, v4 :: v_dual_and_b32 v5, 0xff, v5
	v_cmp_ne_u16_e32 vcc_lo, 2, v5
	v_cndmask_b32_e64 v5, 0, 1, vcc_lo
	;;#ASMSTART
	;;#ASMEND
	s_delay_alu instid0(VALU_DEP_1)
	v_cmp_ne_u32_e32 vcc_lo, 0, v5
	s_cmp_lg_u32 vcc_lo, exec_lo
	s_cbranch_scc1 .LBB1824_63
; %bb.57:                               ;   in Loop: Header=BB1824_56 Depth=1
	v_lshlrev_b64 v[4:5], 3, v[2:3]
	s_mov_b32 s22, exec_lo
	s_delay_alu instid0(VALU_DEP_1) | instskip(NEXT) | instid1(VALU_DEP_2)
	v_add_co_u32 v6, vcc_lo, s18, v4
	v_add_co_ci_u32_e32 v7, vcc_lo, s19, v5, vcc_lo
	global_load_b64 v[4:5], v[6:7], off glc
	s_waitcnt vmcnt(0)
	v_and_b32_e32 v59, 0xff, v5
	s_delay_alu instid0(VALU_DEP_1)
	v_cmpx_eq_u16_e32 0, v59
	s_cbranch_execz .LBB1824_55
; %bb.58:                               ;   in Loop: Header=BB1824_56 Depth=1
	s_mov_b32 s24, 1
	s_mov_b32 s23, 0
	.p2align	6
.LBB1824_59:                            ;   Parent Loop BB1824_56 Depth=1
                                        ; =>  This Loop Header: Depth=2
                                        ;       Child Loop BB1824_60 Depth 3
	s_max_u32 s25, s24, 1
.LBB1824_60:                            ;   Parent Loop BB1824_56 Depth=1
                                        ;     Parent Loop BB1824_59 Depth=2
                                        ; =>    This Inner Loop Header: Depth=3
	s_delay_alu instid0(SALU_CYCLE_1)
	s_add_i32 s25, s25, -1
	s_sleep 1
	s_cmp_eq_u32 s25, 0
	s_cbranch_scc0 .LBB1824_60
; %bb.61:                               ;   in Loop: Header=BB1824_59 Depth=2
	global_load_b64 v[4:5], v[6:7], off glc
	s_cmp_lt_u32 s24, 32
	s_cselect_b32 s25, -1, 0
	s_delay_alu instid0(SALU_CYCLE_1) | instskip(SKIP_3) | instid1(VALU_DEP_1)
	s_cmp_lg_u32 s25, 0
	s_addc_u32 s24, s24, 0
	s_waitcnt vmcnt(0)
	v_and_b32_e32 v59, 0xff, v5
	v_cmp_ne_u16_e32 vcc_lo, 0, v59
	s_or_b32 s23, vcc_lo, s23
	s_delay_alu instid0(SALU_CYCLE_1)
	s_and_not1_b32 exec_lo, exec_lo, s23
	s_cbranch_execnz .LBB1824_59
; %bb.62:                               ;   in Loop: Header=BB1824_56 Depth=1
	s_or_b32 exec_lo, exec_lo, s23
	s_branch .LBB1824_55
.LBB1824_63:                            ;   in Loop: Header=BB1824_56 Depth=1
                                        ; implicit-def: $vgpr4
                                        ; implicit-def: $vgpr5
	s_cbranch_execz .LBB1824_56
; %bb.64:
	s_and_saveexec_b32 s22, s7
	s_cbranch_execz .LBB1824_66
; %bb.65:
	s_add_i32 s24, s20, 32
	s_mov_b32 s25, 0
	v_dual_mov_b32 v3, 2 :: v_dual_add_nc_u32 v2, v16, v1
	s_lshl_b64 s[24:25], s[24:25], 3
	v_mov_b32_e32 v4, 0
	v_add_nc_u32_e64 v5, 0x3400, 0
	s_add_u32 s24, s18, s24
	s_addc_u32 s25, s19, s25
	global_store_b64 v4, v[2:3], s[24:25]
	ds_store_2addr_b32 v5, v1, v16 offset1:2
.LBB1824_66:
	s_or_b32 exec_lo, exec_lo, s22
	s_delay_alu instid0(SALU_CYCLE_1)
	s_and_b32 exec_lo, exec_lo, s2
	s_cbranch_execz .LBB1824_68
; %bb.67:
	v_mov_b32_e32 v1, 0
	ds_store_b32 v1, v16 offset:28
.LBB1824_68:
	s_or_b32 exec_lo, exec_lo, s21
	v_mov_b32_e32 v1, 0
	s_waitcnt lgkmcnt(0)
	s_waitcnt_vscnt null, 0x0
	s_barrier
	buffer_gl0_inv
	v_cndmask_b32_e64 v2, v9, v8, s7
	ds_load_b32 v1, v1 offset:28
	v_add_nc_u32_e64 v11, 0x3400, 0
	s_waitcnt lgkmcnt(0)
	s_barrier
	v_cndmask_b32_e64 v2, v2, 0, s2
	buffer_gl0_inv
	ds_load_2addr_b32 v[16:17], v11 offset1:2
	v_add_nc_u32_e32 v1, v1, v2
	s_delay_alu instid0(VALU_DEP_1) | instskip(NEXT) | instid1(VALU_DEP_1)
	v_add_nc_u32_e32 v2, v1, v44
	v_add_nc_u32_e32 v3, v2, v45
	s_delay_alu instid0(VALU_DEP_1) | instskip(NEXT) | instid1(VALU_DEP_1)
	v_add_nc_u32_e32 v4, v3, v46
	;; [unrolled: 3-line block ×6, first 2 shown]
	v_add_nc_u32_e32 v13, v12, v39
	s_branch .LBB1824_79
.LBB1824_69:
                                        ; implicit-def: $vgpr17
                                        ; implicit-def: $vgpr1_vgpr2_vgpr3_vgpr4_vgpr5_vgpr6_vgpr7_vgpr8_vgpr9_vgpr10_vgpr11_vgpr12_vgpr13_vgpr14_vgpr15_vgpr16
	s_and_b32 vcc_lo, exec_lo, s7
	s_cbranch_vccz .LBB1824_79
; %bb.70:
	s_delay_alu instid0(VALU_DEP_1) | instskip(NEXT) | instid1(VALU_DEP_1)
	v_mov_b32_dpp v1, v55 row_shr:1 row_mask:0xf bank_mask:0xf
	v_cndmask_b32_e64 v1, v1, 0, s6
	s_delay_alu instid0(VALU_DEP_1) | instskip(NEXT) | instid1(VALU_DEP_1)
	v_add_nc_u32_e32 v1, v1, v55
	v_mov_b32_dpp v2, v1 row_shr:2 row_mask:0xf bank_mask:0xf
	s_delay_alu instid0(VALU_DEP_1) | instskip(NEXT) | instid1(VALU_DEP_1)
	v_cndmask_b32_e64 v2, 0, v2, s5
	v_add_nc_u32_e32 v1, v1, v2
	s_delay_alu instid0(VALU_DEP_1) | instskip(NEXT) | instid1(VALU_DEP_1)
	v_mov_b32_dpp v2, v1 row_shr:4 row_mask:0xf bank_mask:0xf
	v_cndmask_b32_e64 v2, 0, v2, s4
	s_delay_alu instid0(VALU_DEP_1) | instskip(NEXT) | instid1(VALU_DEP_1)
	v_add_nc_u32_e32 v1, v1, v2
	v_mov_b32_dpp v2, v1 row_shr:8 row_mask:0xf bank_mask:0xf
	s_delay_alu instid0(VALU_DEP_1) | instskip(NEXT) | instid1(VALU_DEP_1)
	v_cndmask_b32_e64 v2, 0, v2, s3
	v_add_nc_u32_e32 v1, v1, v2
	ds_swizzle_b32 v2, v1 offset:swizzle(BROADCAST,32,15)
	s_waitcnt lgkmcnt(0)
	v_cndmask_b32_e64 v2, v2, 0, s1
	s_delay_alu instid0(VALU_DEP_1)
	v_add_nc_u32_e32 v1, v1, v2
	s_and_saveexec_b32 s1, s0
	s_cbranch_execz .LBB1824_72
; %bb.71:
	v_lshlrev_b32_e32 v2, 2, v54
	ds_store_b32 v2, v1
.LBB1824_72:
	s_or_b32 exec_lo, exec_lo, s1
	s_delay_alu instid0(SALU_CYCLE_1)
	s_mov_b32 s0, exec_lo
	s_waitcnt lgkmcnt(0)
	s_barrier
	buffer_gl0_inv
	v_cmpx_gt_u32_e32 8, v0
	s_cbranch_execz .LBB1824_74
; %bb.73:
	ds_load_b32 v2, v33
	s_waitcnt lgkmcnt(0)
	v_mov_b32_dpp v4, v2 row_shr:1 row_mask:0xf bank_mask:0xf
	v_and_b32_e32 v3, 7, v53
	s_delay_alu instid0(VALU_DEP_1) | instskip(NEXT) | instid1(VALU_DEP_3)
	v_cmp_ne_u32_e32 vcc_lo, 0, v3
	v_cndmask_b32_e32 v4, 0, v4, vcc_lo
	v_cmp_lt_u32_e32 vcc_lo, 1, v3
	s_delay_alu instid0(VALU_DEP_2) | instskip(NEXT) | instid1(VALU_DEP_1)
	v_add_nc_u32_e32 v2, v4, v2
	v_mov_b32_dpp v4, v2 row_shr:2 row_mask:0xf bank_mask:0xf
	s_delay_alu instid0(VALU_DEP_1) | instskip(SKIP_1) | instid1(VALU_DEP_2)
	v_cndmask_b32_e32 v4, 0, v4, vcc_lo
	v_cmp_lt_u32_e32 vcc_lo, 3, v3
	v_add_nc_u32_e32 v2, v2, v4
	s_delay_alu instid0(VALU_DEP_1) | instskip(NEXT) | instid1(VALU_DEP_1)
	v_mov_b32_dpp v4, v2 row_shr:4 row_mask:0xf bank_mask:0xf
	v_cndmask_b32_e32 v3, 0, v4, vcc_lo
	s_delay_alu instid0(VALU_DEP_1)
	v_add_nc_u32_e32 v2, v2, v3
	ds_store_b32 v33, v2
.LBB1824_74:
	s_or_b32 exec_lo, exec_lo, s0
	v_dual_mov_b32 v3, 0 :: v_dual_mov_b32 v2, 0
	s_mov_b32 s0, exec_lo
	s_waitcnt lgkmcnt(0)
	s_barrier
	buffer_gl0_inv
	v_cmpx_lt_u32_e32 31, v0
	s_cbranch_execz .LBB1824_76
; %bb.75:
	v_lshl_add_u32 v2, v54, 2, -4
	ds_load_b32 v2, v2
.LBB1824_76:
	s_or_b32 exec_lo, exec_lo, s0
	v_add_nc_u32_e32 v4, -1, v53
	s_waitcnt lgkmcnt(0)
	v_add_nc_u32_e32 v1, v2, v1
	ds_load_b32 v16, v3 offset:28
	v_cmp_gt_i32_e32 vcc_lo, 0, v4
	v_cndmask_b32_e32 v4, v4, v53, vcc_lo
	s_delay_alu instid0(VALU_DEP_1)
	v_lshlrev_b32_e32 v4, 2, v4
	ds_bpermute_b32 v1, v4, v1
	s_and_saveexec_b32 s0, s2
	s_cbranch_execz .LBB1824_78
; %bb.77:
	v_mov_b32_e32 v3, 0
	v_mov_b32_e32 v17, 2
	s_waitcnt lgkmcnt(1)
	global_store_b64 v3, v[16:17], s[18:19] offset:256
.LBB1824_78:
	s_or_b32 exec_lo, exec_lo, s0
	v_cmp_eq_u32_e32 vcc_lo, 0, v53
	s_waitcnt lgkmcnt(0)
	s_waitcnt_vscnt null, 0x0
	s_barrier
	buffer_gl0_inv
	v_mov_b32_e32 v17, 0
	v_cndmask_b32_e32 v1, v1, v2, vcc_lo
	s_delay_alu instid0(VALU_DEP_1) | instskip(NEXT) | instid1(VALU_DEP_1)
	v_cndmask_b32_e64 v1, v1, 0, s2
	v_add_nc_u32_e32 v2, v1, v44
	s_delay_alu instid0(VALU_DEP_1) | instskip(NEXT) | instid1(VALU_DEP_1)
	v_add_nc_u32_e32 v3, v2, v45
	v_add_nc_u32_e32 v4, v3, v46
	s_delay_alu instid0(VALU_DEP_1) | instskip(NEXT) | instid1(VALU_DEP_1)
	v_add_nc_u32_e32 v5, v4, v43
	;; [unrolled: 3-line block ×5, first 2 shown]
	v_add_nc_u32_e32 v12, v11, v52
	s_delay_alu instid0(VALU_DEP_1)
	v_add_nc_u32_e32 v13, v12, v39
.LBB1824_79:
	s_waitcnt lgkmcnt(0)
	v_sub_nc_u32_e32 v1, v1, v17
	v_sub_nc_u32_e32 v2, v2, v17
	v_add_nc_u32_e32 v36, v16, v36
	v_lshrrev_b32_e32 v47, 8, v42
	v_lshrrev_b32_e32 v46, 16, v42
	v_sub_nc_u32_e32 v4, v4, v17
	v_sub_nc_u32_e32 v3, v3, v17
	;; [unrolled: 1-line block ×3, first 2 shown]
	v_and_b32_e32 v42, 1, v42
	v_and_b32_e32 v47, 1, v47
	;; [unrolled: 1-line block ×3, first 2 shown]
	v_lshrrev_b32_e32 v45, 8, v40
	v_lshrrev_b32_e32 v44, 16, v40
	v_cmp_eq_u32_e32 vcc_lo, 1, v42
	v_and_b32_e32 v42, 1, v46
	v_sub_nc_u32_e32 v46, v36, v2
	v_lshrrev_b32_e32 v15, 8, v38
	v_lshrrev_b32_e32 v14, 16, v38
	v_cndmask_b32_e32 v1, v48, v1, vcc_lo
	v_cmp_eq_u32_e32 vcc_lo, 1, v47
	v_add_nc_u32_e32 v46, 1, v46
	s_delay_alu instid0(VALU_DEP_3)
	v_lshlrev_b32_e32 v1, 2, v1
	ds_store_b32 v1, v30
	v_cndmask_b32_e32 v1, v46, v2, vcc_lo
	v_sub_nc_u32_e32 v48, v36, v3
	v_sub_nc_u32_e32 v49, v36, v4
	v_cmp_eq_u32_e32 vcc_lo, 1, v42
	v_or_b32_e32 v30, 0x300, v0
	v_lshlrev_b32_e32 v1, 2, v1
	v_add_nc_u32_e32 v48, 2, v48
	v_add_nc_u32_e32 v49, 3, v49
	ds_store_b32 v1, v31
	v_cndmask_b32_e32 v2, v48, v3, vcc_lo
	v_cmp_eq_u32_e32 vcc_lo, 1, v43
	v_or_b32_e32 v31, 0x200, v0
	s_delay_alu instid0(VALU_DEP_3) | instskip(SKIP_2) | instid1(VALU_DEP_3)
	v_dual_cndmask_b32 v3, v49, v4 :: v_dual_lshlrev_b32 v2, 2, v2
	v_sub_nc_u32_e32 v4, v5, v17
	v_sub_nc_u32_e32 v5, v6, v17
	v_lshlrev_b32_e32 v3, 2, v3
	s_delay_alu instid0(VALU_DEP_3) | instskip(NEXT) | instid1(VALU_DEP_3)
	v_sub_nc_u32_e32 v1, v36, v4
	v_sub_nc_u32_e32 v6, v36, v5
	ds_store_b32 v2, v28
	ds_store_b32 v3, v29
	v_and_b32_e32 v2, 1, v40
	v_add_nc_u32_e32 v1, 4, v1
	v_add_nc_u32_e32 v3, 5, v6
	v_sub_nc_u32_e32 v6, v7, v17
	v_and_b32_e32 v7, 1, v45
	v_cmp_eq_u32_e32 vcc_lo, 1, v2
	v_sub_nc_u32_e32 v2, v8, v17
	v_and_b32_e32 v8, 1, v41
	v_or_b32_e32 v29, 0x400, v0
	v_or_b32_e32 v28, 0x500, v0
	v_cndmask_b32_e32 v1, v1, v4, vcc_lo
	v_sub_nc_u32_e32 v4, v36, v6
	v_cmp_eq_u32_e32 vcc_lo, 1, v7
	v_and_b32_e32 v7, 1, v44
	s_delay_alu instid0(VALU_DEP_4) | instskip(NEXT) | instid1(VALU_DEP_4)
	v_lshlrev_b32_e32 v1, 2, v1
	v_dual_cndmask_b32 v3, v3, v5 :: v_dual_add_nc_u32 v4, 6, v4
	v_sub_nc_u32_e32 v5, v36, v2
	s_delay_alu instid0(VALU_DEP_4) | instskip(SKIP_2) | instid1(VALU_DEP_4)
	v_cmp_eq_u32_e32 vcc_lo, 1, v7
	v_sub_nc_u32_e32 v7, v13, v17
	v_add_co_u32 v13, s0, s16, v32
	v_dual_cndmask_b32 v4, v4, v6 :: v_dual_add_nc_u32 v5, 7, v5
	v_cmp_eq_u32_e32 vcc_lo, 1, v8
	v_sub_nc_u32_e32 v6, v9, v17
	v_lshlrev_b32_e32 v3, 2, v3
	ds_store_b32 v1, v26
	ds_store_b32 v3, v27
	v_cndmask_b32_e32 v2, v5, v2, vcc_lo
	v_sub_nc_u32_e32 v1, v36, v6
	v_lshlrev_b32_e32 v3, 2, v4
	v_and_b32_e32 v5, 1, v38
	v_sub_nc_u32_e32 v4, v10, v17
	v_lshlrev_b32_e32 v2, 2, v2
	v_add_nc_u32_e32 v1, 8, v1
	ds_store_b32 v3, v24
	ds_store_b32 v2, v25
	v_cmp_eq_u32_e32 vcc_lo, 1, v5
	v_sub_nc_u32_e32 v3, v11, v17
	v_sub_nc_u32_e32 v2, v36, v4
	;; [unrolled: 1-line block ×3, first 2 shown]
	v_dual_cndmask_b32 v1, v1, v6 :: v_dual_and_b32 v10, 1, v39
	v_and_b32_e32 v6, 1, v15
	v_sub_nc_u32_e32 v8, v36, v3
	v_add_nc_u32_e32 v2, 9, v2
	v_sub_nc_u32_e32 v9, v36, v5
	v_and_b32_e32 v11, 1, v37
	v_cmp_eq_u32_e32 vcc_lo, 1, v6
	v_add_nc_u32_e32 v6, 10, v8
	v_and_b32_e32 v8, 1, v14
	v_add_nc_u32_e32 v9, 11, v9
	v_dual_cndmask_b32 v2, v2, v4 :: v_dual_lshlrev_b32 v1, 2, v1
	v_sub_nc_u32_e32 v4, v36, v7
	s_delay_alu instid0(VALU_DEP_4) | instskip(SKIP_1) | instid1(VALU_DEP_4)
	v_cmp_eq_u32_e32 vcc_lo, 1, v8
	v_add_co_ci_u32_e64 v14, null, s17, 0, s0
	v_lshlrev_b32_e32 v2, 2, v2
	s_delay_alu instid0(VALU_DEP_4)
	v_dual_cndmask_b32 v3, v6, v3 :: v_dual_add_nc_u32 v4, 12, v4
	v_cmp_eq_u32_e32 vcc_lo, 1, v10
	v_or_b32_e32 v27, 0x600, v0
	v_or_b32_e32 v26, 0x700, v0
	;; [unrolled: 1-line block ×3, first 2 shown]
	v_lshlrev_b32_e32 v3, 2, v3
	v_cndmask_b32_e32 v5, v9, v5, vcc_lo
	v_cmp_eq_u32_e32 vcc_lo, 1, v11
	v_or_b32_e32 v24, 0x900, v0
	s_delay_alu instid0(VALU_DEP_3) | instskip(SKIP_2) | instid1(VALU_DEP_3)
	v_dual_cndmask_b32 v4, v4, v7 :: v_dual_lshlrev_b32 v5, 2, v5
	v_sub_co_u32 v13, vcc_lo, s14, v13
	v_sub_co_ci_u32_e32 v14, vcc_lo, s15, v14, vcc_lo
	v_lshlrev_b32_e32 v4, 2, v4
	ds_store_b32 v1, v22
	ds_store_b32 v2, v23
	ds_store_b32 v3, v20
	ds_store_b32 v5, v21
	ds_store_b32 v4, v35
	s_waitcnt lgkmcnt(0)
	s_barrier
	buffer_gl0_inv
	ds_load_2addr_stride64_b32 v[11:12], v33 offset1:4
	ds_load_2addr_stride64_b32 v[9:10], v33 offset0:8 offset1:12
	ds_load_2addr_stride64_b32 v[7:8], v33 offset0:16 offset1:20
	;; [unrolled: 1-line block ×5, first 2 shown]
	ds_load_b32 v20, v33 offset:12288
	v_add_co_u32 v15, vcc_lo, v18, v17
	v_add_co_ci_u32_e32 v17, vcc_lo, 0, v19, vcc_lo
	v_add_co_u32 v13, vcc_lo, v13, v16
	v_add_co_ci_u32_e32 v14, vcc_lo, 0, v14, vcc_lo
	v_cmp_ne_u32_e32 vcc_lo, 1, v34
	s_delay_alu instid0(VALU_DEP_3)
	v_add_co_u32 v18, s0, v13, v15
	v_or_b32_e32 v35, 0x100, v0
	v_or_b32_e32 v23, 0xa00, v0
	;; [unrolled: 1-line block ×4, first 2 shown]
	v_add_co_ci_u32_e64 v19, s0, v14, v17, s0
	s_mov_b32 s0, 0
	s_cbranch_vccnz .LBB1824_136
; %bb.80:
	s_mov_b32 s0, exec_lo
                                        ; implicit-def: $vgpr13_vgpr14
	v_cmpx_ge_u32_e64 v0, v16
	s_xor_b32 s0, exec_lo, s0
; %bb.81:
	v_not_b32_e32 v13, v0
	s_delay_alu instid0(VALU_DEP_1) | instskip(SKIP_1) | instid1(VALU_DEP_2)
	v_ashrrev_i32_e32 v14, 31, v13
	v_add_co_u32 v13, vcc_lo, v18, v13
	v_add_co_ci_u32_e32 v14, vcc_lo, v19, v14, vcc_lo
; %bb.82:
	s_and_not1_saveexec_b32 s0, s0
; %bb.83:
	v_add_co_u32 v13, vcc_lo, v15, v0
	v_add_co_ci_u32_e32 v14, vcc_lo, 0, v17, vcc_lo
; %bb.84:
	s_or_b32 exec_lo, exec_lo, s0
	s_delay_alu instid0(VALU_DEP_1) | instskip(SKIP_1) | instid1(VALU_DEP_1)
	v_lshlrev_b64 v[13:14], 2, v[13:14]
	s_mov_b32 s0, exec_lo
	v_add_co_u32 v13, vcc_lo, s12, v13
	s_delay_alu instid0(VALU_DEP_2)
	v_add_co_ci_u32_e32 v14, vcc_lo, s13, v14, vcc_lo
	s_waitcnt lgkmcnt(6)
	global_store_b32 v[13:14], v11, off
                                        ; implicit-def: $vgpr13_vgpr14
	v_cmpx_ge_u32_e64 v35, v16
	s_xor_b32 s0, exec_lo, s0
; %bb.85:
	v_xor_b32_e32 v13, 0xfffffeff, v0
	s_delay_alu instid0(VALU_DEP_1) | instskip(SKIP_1) | instid1(VALU_DEP_2)
	v_ashrrev_i32_e32 v14, 31, v13
	v_add_co_u32 v13, vcc_lo, v18, v13
	v_add_co_ci_u32_e32 v14, vcc_lo, v19, v14, vcc_lo
; %bb.86:
	s_and_not1_saveexec_b32 s0, s0
; %bb.87:
	v_add_co_u32 v13, vcc_lo, v15, v35
	v_add_co_ci_u32_e32 v14, vcc_lo, 0, v17, vcc_lo
; %bb.88:
	s_or_b32 exec_lo, exec_lo, s0
	s_delay_alu instid0(VALU_DEP_1) | instskip(SKIP_1) | instid1(VALU_DEP_1)
	v_lshlrev_b64 v[13:14], 2, v[13:14]
	s_mov_b32 s0, exec_lo
	v_add_co_u32 v13, vcc_lo, s12, v13
	s_delay_alu instid0(VALU_DEP_2)
	v_add_co_ci_u32_e32 v14, vcc_lo, s13, v14, vcc_lo
	global_store_b32 v[13:14], v12, off
                                        ; implicit-def: $vgpr13_vgpr14
	v_cmpx_ge_u32_e64 v31, v16
	s_xor_b32 s0, exec_lo, s0
; %bb.89:
	v_xor_b32_e32 v13, 0xfffffdff, v0
	s_delay_alu instid0(VALU_DEP_1) | instskip(SKIP_1) | instid1(VALU_DEP_2)
	v_ashrrev_i32_e32 v14, 31, v13
	v_add_co_u32 v13, vcc_lo, v18, v13
	v_add_co_ci_u32_e32 v14, vcc_lo, v19, v14, vcc_lo
; %bb.90:
	s_and_not1_saveexec_b32 s0, s0
; %bb.91:
	v_add_co_u32 v13, vcc_lo, v15, v31
	v_add_co_ci_u32_e32 v14, vcc_lo, 0, v17, vcc_lo
; %bb.92:
	s_or_b32 exec_lo, exec_lo, s0
	s_delay_alu instid0(VALU_DEP_1) | instskip(SKIP_1) | instid1(VALU_DEP_1)
	v_lshlrev_b64 v[13:14], 2, v[13:14]
	s_mov_b32 s0, exec_lo
	v_add_co_u32 v13, vcc_lo, s12, v13
	s_delay_alu instid0(VALU_DEP_2)
	v_add_co_ci_u32_e32 v14, vcc_lo, s13, v14, vcc_lo
	s_waitcnt lgkmcnt(5)
	global_store_b32 v[13:14], v9, off
                                        ; implicit-def: $vgpr13_vgpr14
	v_cmpx_ge_u32_e64 v30, v16
	s_xor_b32 s0, exec_lo, s0
; %bb.93:
	v_xor_b32_e32 v13, 0xfffffcff, v0
	s_delay_alu instid0(VALU_DEP_1) | instskip(SKIP_1) | instid1(VALU_DEP_2)
	v_ashrrev_i32_e32 v14, 31, v13
	v_add_co_u32 v13, vcc_lo, v18, v13
	v_add_co_ci_u32_e32 v14, vcc_lo, v19, v14, vcc_lo
; %bb.94:
	s_and_not1_saveexec_b32 s0, s0
; %bb.95:
	v_add_co_u32 v13, vcc_lo, v15, v30
	v_add_co_ci_u32_e32 v14, vcc_lo, 0, v17, vcc_lo
; %bb.96:
	s_or_b32 exec_lo, exec_lo, s0
	s_delay_alu instid0(VALU_DEP_1) | instskip(SKIP_1) | instid1(VALU_DEP_1)
	v_lshlrev_b64 v[13:14], 2, v[13:14]
	s_mov_b32 s0, exec_lo
	v_add_co_u32 v13, vcc_lo, s12, v13
	s_delay_alu instid0(VALU_DEP_2)
	v_add_co_ci_u32_e32 v14, vcc_lo, s13, v14, vcc_lo
	global_store_b32 v[13:14], v10, off
                                        ; implicit-def: $vgpr13_vgpr14
	v_cmpx_ge_u32_e64 v29, v16
	s_xor_b32 s0, exec_lo, s0
; %bb.97:
	v_xor_b32_e32 v13, 0xfffffbff, v0
	;; [unrolled: 47-line block ×6, first 2 shown]
	s_delay_alu instid0(VALU_DEP_1) | instskip(SKIP_1) | instid1(VALU_DEP_2)
	v_ashrrev_i32_e32 v14, 31, v13
	v_add_co_u32 v13, vcc_lo, v18, v13
	v_add_co_ci_u32_e32 v14, vcc_lo, v19, v14, vcc_lo
; %bb.130:
	s_and_not1_saveexec_b32 s0, s0
; %bb.131:
	v_add_co_u32 v13, vcc_lo, v15, v21
	v_add_co_ci_u32_e32 v14, vcc_lo, 0, v17, vcc_lo
; %bb.132:
	s_or_b32 exec_lo, exec_lo, s0
	s_mov_b32 s0, -1
.LBB1824_133:
	s_delay_alu instid0(SALU_CYCLE_1)
	s_and_saveexec_b32 s1, s0
	s_cbranch_execz .LBB1824_216
.LBB1824_134:
	s_waitcnt lgkmcnt(1)
	v_lshlrev_b64 v[0:1], 2, v[13:14]
	s_delay_alu instid0(VALU_DEP_1) | instskip(NEXT) | instid1(VALU_DEP_2)
	v_add_co_u32 v0, vcc_lo, s12, v0
	v_add_co_ci_u32_e32 v1, vcc_lo, s13, v1, vcc_lo
	s_waitcnt lgkmcnt(0)
	global_store_b32 v[0:1], v20, off
	s_or_b32 exec_lo, exec_lo, s1
	s_and_b32 s0, s2, s10
	s_delay_alu instid0(SALU_CYCLE_1)
	s_and_saveexec_b32 s1, s0
	s_cbranch_execnz .LBB1824_217
.LBB1824_135:
	s_nop 0
	s_sendmsg sendmsg(MSG_DEALLOC_VGPRS)
	s_endpgm
.LBB1824_136:
                                        ; implicit-def: $vgpr13_vgpr14
	s_cbranch_execz .LBB1824_133
; %bb.137:
	s_mov_b32 s1, exec_lo
	v_cmpx_gt_u32_e64 s11, v0
	s_cbranch_execz .LBB1824_173
; %bb.138:
	s_mov_b32 s3, exec_lo
                                        ; implicit-def: $vgpr13_vgpr14
	v_cmpx_ge_u32_e64 v0, v16
	s_xor_b32 s3, exec_lo, s3
; %bb.139:
	v_not_b32_e32 v13, v0
	s_delay_alu instid0(VALU_DEP_1) | instskip(SKIP_1) | instid1(VALU_DEP_2)
	v_ashrrev_i32_e32 v14, 31, v13
	v_add_co_u32 v13, vcc_lo, v18, v13
	v_add_co_ci_u32_e32 v14, vcc_lo, v19, v14, vcc_lo
; %bb.140:
	s_and_not1_saveexec_b32 s3, s3
; %bb.141:
	v_add_co_u32 v13, vcc_lo, v15, v0
	v_add_co_ci_u32_e32 v14, vcc_lo, 0, v17, vcc_lo
; %bb.142:
	s_or_b32 exec_lo, exec_lo, s3
	s_delay_alu instid0(VALU_DEP_1) | instskip(NEXT) | instid1(VALU_DEP_1)
	v_lshlrev_b64 v[13:14], 2, v[13:14]
	v_add_co_u32 v13, vcc_lo, s12, v13
	s_delay_alu instid0(VALU_DEP_2) | instskip(SKIP_3) | instid1(SALU_CYCLE_1)
	v_add_co_ci_u32_e32 v14, vcc_lo, s13, v14, vcc_lo
	s_waitcnt lgkmcnt(6)
	global_store_b32 v[13:14], v11, off
	s_or_b32 exec_lo, exec_lo, s1
	s_mov_b32 s1, exec_lo
	v_cmpx_gt_u32_e64 s11, v35
	s_cbranch_execnz .LBB1824_174
.LBB1824_143:
	s_or_b32 exec_lo, exec_lo, s1
	s_delay_alu instid0(SALU_CYCLE_1)
	s_mov_b32 s1, exec_lo
	v_cmpx_gt_u32_e64 s11, v31
	s_cbranch_execz .LBB1824_179
.LBB1824_144:
	s_mov_b32 s3, exec_lo
                                        ; implicit-def: $vgpr11_vgpr12
	v_cmpx_ge_u32_e64 v31, v16
	s_xor_b32 s3, exec_lo, s3
	s_cbranch_execz .LBB1824_146
; %bb.145:
	s_waitcnt lgkmcnt(6)
	v_xor_b32_e32 v11, 0xfffffdff, v0
                                        ; implicit-def: $vgpr31
	s_delay_alu instid0(VALU_DEP_1) | instskip(SKIP_1) | instid1(VALU_DEP_2)
	v_ashrrev_i32_e32 v12, 31, v11
	v_add_co_u32 v11, vcc_lo, v18, v11
	v_add_co_ci_u32_e32 v12, vcc_lo, v19, v12, vcc_lo
.LBB1824_146:
	s_and_not1_saveexec_b32 s3, s3
	s_cbranch_execz .LBB1824_148
; %bb.147:
	s_waitcnt lgkmcnt(6)
	v_add_co_u32 v11, vcc_lo, v15, v31
	v_add_co_ci_u32_e32 v12, vcc_lo, 0, v17, vcc_lo
.LBB1824_148:
	s_or_b32 exec_lo, exec_lo, s3
	s_waitcnt lgkmcnt(6)
	s_delay_alu instid0(VALU_DEP_1) | instskip(NEXT) | instid1(VALU_DEP_1)
	v_lshlrev_b64 v[11:12], 2, v[11:12]
	v_add_co_u32 v11, vcc_lo, s12, v11
	s_delay_alu instid0(VALU_DEP_2) | instskip(SKIP_3) | instid1(SALU_CYCLE_1)
	v_add_co_ci_u32_e32 v12, vcc_lo, s13, v12, vcc_lo
	s_waitcnt lgkmcnt(5)
	global_store_b32 v[11:12], v9, off
	s_or_b32 exec_lo, exec_lo, s1
	s_mov_b32 s1, exec_lo
	v_cmpx_gt_u32_e64 s11, v30
	s_cbranch_execnz .LBB1824_180
.LBB1824_149:
	s_or_b32 exec_lo, exec_lo, s1
	s_delay_alu instid0(SALU_CYCLE_1)
	s_mov_b32 s1, exec_lo
	v_cmpx_gt_u32_e64 s11, v29
	s_cbranch_execz .LBB1824_185
.LBB1824_150:
	s_mov_b32 s3, exec_lo
                                        ; implicit-def: $vgpr9_vgpr10
	v_cmpx_ge_u32_e64 v29, v16
	s_xor_b32 s3, exec_lo, s3
	s_cbranch_execz .LBB1824_152
; %bb.151:
	s_waitcnt lgkmcnt(5)
	v_xor_b32_e32 v9, 0xfffffbff, v0
                                        ; implicit-def: $vgpr29
	s_delay_alu instid0(VALU_DEP_1) | instskip(SKIP_1) | instid1(VALU_DEP_2)
	v_ashrrev_i32_e32 v10, 31, v9
	v_add_co_u32 v9, vcc_lo, v18, v9
	v_add_co_ci_u32_e32 v10, vcc_lo, v19, v10, vcc_lo
.LBB1824_152:
	s_and_not1_saveexec_b32 s3, s3
	s_cbranch_execz .LBB1824_154
; %bb.153:
	s_waitcnt lgkmcnt(5)
	v_add_co_u32 v9, vcc_lo, v15, v29
	v_add_co_ci_u32_e32 v10, vcc_lo, 0, v17, vcc_lo
.LBB1824_154:
	s_or_b32 exec_lo, exec_lo, s3
	s_waitcnt lgkmcnt(5)
	s_delay_alu instid0(VALU_DEP_1) | instskip(NEXT) | instid1(VALU_DEP_1)
	v_lshlrev_b64 v[9:10], 2, v[9:10]
	v_add_co_u32 v9, vcc_lo, s12, v9
	s_delay_alu instid0(VALU_DEP_2) | instskip(SKIP_3) | instid1(SALU_CYCLE_1)
	v_add_co_ci_u32_e32 v10, vcc_lo, s13, v10, vcc_lo
	s_waitcnt lgkmcnt(4)
	global_store_b32 v[9:10], v7, off
	s_or_b32 exec_lo, exec_lo, s1
	s_mov_b32 s1, exec_lo
	v_cmpx_gt_u32_e64 s11, v28
	s_cbranch_execnz .LBB1824_186
.LBB1824_155:
	s_or_b32 exec_lo, exec_lo, s1
	s_delay_alu instid0(SALU_CYCLE_1)
	s_mov_b32 s1, exec_lo
	v_cmpx_gt_u32_e64 s11, v27
	s_cbranch_execz .LBB1824_191
.LBB1824_156:
	s_mov_b32 s3, exec_lo
                                        ; implicit-def: $vgpr7_vgpr8
	v_cmpx_ge_u32_e64 v27, v16
	s_xor_b32 s3, exec_lo, s3
	s_cbranch_execz .LBB1824_158
; %bb.157:
	s_waitcnt lgkmcnt(4)
	v_xor_b32_e32 v7, 0xfffff9ff, v0
                                        ; implicit-def: $vgpr27
	s_delay_alu instid0(VALU_DEP_1) | instskip(SKIP_1) | instid1(VALU_DEP_2)
	v_ashrrev_i32_e32 v8, 31, v7
	v_add_co_u32 v7, vcc_lo, v18, v7
	v_add_co_ci_u32_e32 v8, vcc_lo, v19, v8, vcc_lo
.LBB1824_158:
	s_and_not1_saveexec_b32 s3, s3
	s_cbranch_execz .LBB1824_160
; %bb.159:
	s_waitcnt lgkmcnt(4)
	v_add_co_u32 v7, vcc_lo, v15, v27
	v_add_co_ci_u32_e32 v8, vcc_lo, 0, v17, vcc_lo
.LBB1824_160:
	s_or_b32 exec_lo, exec_lo, s3
	s_waitcnt lgkmcnt(4)
	s_delay_alu instid0(VALU_DEP_1) | instskip(NEXT) | instid1(VALU_DEP_1)
	v_lshlrev_b64 v[7:8], 2, v[7:8]
	v_add_co_u32 v7, vcc_lo, s12, v7
	s_delay_alu instid0(VALU_DEP_2) | instskip(SKIP_3) | instid1(SALU_CYCLE_1)
	v_add_co_ci_u32_e32 v8, vcc_lo, s13, v8, vcc_lo
	s_waitcnt lgkmcnt(3)
	global_store_b32 v[7:8], v5, off
	s_or_b32 exec_lo, exec_lo, s1
	s_mov_b32 s1, exec_lo
	v_cmpx_gt_u32_e64 s11, v26
	s_cbranch_execnz .LBB1824_192
.LBB1824_161:
	s_or_b32 exec_lo, exec_lo, s1
	s_delay_alu instid0(SALU_CYCLE_1)
	s_mov_b32 s1, exec_lo
	v_cmpx_gt_u32_e64 s11, v25
	s_cbranch_execz .LBB1824_197
.LBB1824_162:
	s_mov_b32 s3, exec_lo
                                        ; implicit-def: $vgpr5_vgpr6
	v_cmpx_ge_u32_e64 v25, v16
	s_xor_b32 s3, exec_lo, s3
	s_cbranch_execz .LBB1824_164
; %bb.163:
	s_waitcnt lgkmcnt(3)
	v_xor_b32_e32 v5, 0xfffff7ff, v0
                                        ; implicit-def: $vgpr25
	s_delay_alu instid0(VALU_DEP_1) | instskip(SKIP_1) | instid1(VALU_DEP_2)
	v_ashrrev_i32_e32 v6, 31, v5
	v_add_co_u32 v5, vcc_lo, v18, v5
	v_add_co_ci_u32_e32 v6, vcc_lo, v19, v6, vcc_lo
.LBB1824_164:
	s_and_not1_saveexec_b32 s3, s3
	s_cbranch_execz .LBB1824_166
; %bb.165:
	s_waitcnt lgkmcnt(3)
	v_add_co_u32 v5, vcc_lo, v15, v25
	v_add_co_ci_u32_e32 v6, vcc_lo, 0, v17, vcc_lo
.LBB1824_166:
	s_or_b32 exec_lo, exec_lo, s3
	s_waitcnt lgkmcnt(3)
	s_delay_alu instid0(VALU_DEP_1) | instskip(NEXT) | instid1(VALU_DEP_1)
	v_lshlrev_b64 v[5:6], 2, v[5:6]
	v_add_co_u32 v5, vcc_lo, s12, v5
	s_delay_alu instid0(VALU_DEP_2) | instskip(SKIP_3) | instid1(SALU_CYCLE_1)
	v_add_co_ci_u32_e32 v6, vcc_lo, s13, v6, vcc_lo
	s_waitcnt lgkmcnt(2)
	global_store_b32 v[5:6], v3, off
	s_or_b32 exec_lo, exec_lo, s1
	s_mov_b32 s1, exec_lo
	v_cmpx_gt_u32_e64 s11, v24
	s_cbranch_execnz .LBB1824_198
.LBB1824_167:
	s_or_b32 exec_lo, exec_lo, s1
	s_delay_alu instid0(SALU_CYCLE_1)
	s_mov_b32 s1, exec_lo
	v_cmpx_gt_u32_e64 s11, v23
	s_cbranch_execz .LBB1824_203
.LBB1824_168:
	s_mov_b32 s3, exec_lo
                                        ; implicit-def: $vgpr3_vgpr4
	v_cmpx_ge_u32_e64 v23, v16
	s_xor_b32 s3, exec_lo, s3
	s_cbranch_execz .LBB1824_170
; %bb.169:
	s_waitcnt lgkmcnt(2)
	v_xor_b32_e32 v3, 0xfffff5ff, v0
                                        ; implicit-def: $vgpr23
	s_delay_alu instid0(VALU_DEP_1) | instskip(SKIP_1) | instid1(VALU_DEP_2)
	v_ashrrev_i32_e32 v4, 31, v3
	v_add_co_u32 v3, vcc_lo, v18, v3
	v_add_co_ci_u32_e32 v4, vcc_lo, v19, v4, vcc_lo
.LBB1824_170:
	s_and_not1_saveexec_b32 s3, s3
	s_cbranch_execz .LBB1824_172
; %bb.171:
	s_waitcnt lgkmcnt(2)
	v_add_co_u32 v3, vcc_lo, v15, v23
	v_add_co_ci_u32_e32 v4, vcc_lo, 0, v17, vcc_lo
.LBB1824_172:
	s_or_b32 exec_lo, exec_lo, s3
	s_waitcnt lgkmcnt(2)
	s_delay_alu instid0(VALU_DEP_1) | instskip(NEXT) | instid1(VALU_DEP_1)
	v_lshlrev_b64 v[3:4], 2, v[3:4]
	v_add_co_u32 v3, vcc_lo, s12, v3
	s_delay_alu instid0(VALU_DEP_2) | instskip(SKIP_3) | instid1(SALU_CYCLE_1)
	v_add_co_ci_u32_e32 v4, vcc_lo, s13, v4, vcc_lo
	s_waitcnt lgkmcnt(1)
	global_store_b32 v[3:4], v1, off
	s_or_b32 exec_lo, exec_lo, s1
	s_mov_b32 s1, exec_lo
	v_cmpx_gt_u32_e64 s11, v22
	s_cbranch_execz .LBB1824_209
	s_branch .LBB1824_204
.LBB1824_173:
	s_or_b32 exec_lo, exec_lo, s1
	s_delay_alu instid0(SALU_CYCLE_1)
	s_mov_b32 s1, exec_lo
	v_cmpx_gt_u32_e64 s11, v35
	s_cbranch_execz .LBB1824_143
.LBB1824_174:
	s_mov_b32 s3, exec_lo
                                        ; implicit-def: $vgpr13_vgpr14
	v_cmpx_ge_u32_e64 v35, v16
	s_xor_b32 s3, exec_lo, s3
	s_cbranch_execz .LBB1824_176
; %bb.175:
	s_waitcnt lgkmcnt(6)
	v_xor_b32_e32 v11, 0xfffffeff, v0
                                        ; implicit-def: $vgpr35
	s_delay_alu instid0(VALU_DEP_1) | instskip(SKIP_1) | instid1(VALU_DEP_2)
	v_ashrrev_i32_e32 v14, 31, v11
	v_add_co_u32 v13, vcc_lo, v18, v11
	v_add_co_ci_u32_e32 v14, vcc_lo, v19, v14, vcc_lo
.LBB1824_176:
	s_and_not1_saveexec_b32 s3, s3
; %bb.177:
	v_add_co_u32 v13, vcc_lo, v15, v35
	v_add_co_ci_u32_e32 v14, vcc_lo, 0, v17, vcc_lo
; %bb.178:
	s_or_b32 exec_lo, exec_lo, s3
	s_delay_alu instid0(VALU_DEP_1) | instskip(NEXT) | instid1(VALU_DEP_1)
	v_lshlrev_b64 v[13:14], 2, v[13:14]
	v_add_co_u32 v13, vcc_lo, s12, v13
	s_delay_alu instid0(VALU_DEP_2) | instskip(SKIP_3) | instid1(SALU_CYCLE_1)
	v_add_co_ci_u32_e32 v14, vcc_lo, s13, v14, vcc_lo
	s_waitcnt lgkmcnt(6)
	global_store_b32 v[13:14], v12, off
	s_or_b32 exec_lo, exec_lo, s1
	s_mov_b32 s1, exec_lo
	v_cmpx_gt_u32_e64 s11, v31
	s_cbranch_execnz .LBB1824_144
.LBB1824_179:
	s_or_b32 exec_lo, exec_lo, s1
	s_delay_alu instid0(SALU_CYCLE_1)
	s_mov_b32 s1, exec_lo
	v_cmpx_gt_u32_e64 s11, v30
	s_cbranch_execz .LBB1824_149
.LBB1824_180:
	s_mov_b32 s3, exec_lo
                                        ; implicit-def: $vgpr11_vgpr12
	v_cmpx_ge_u32_e64 v30, v16
	s_xor_b32 s3, exec_lo, s3
	s_cbranch_execz .LBB1824_182
; %bb.181:
	s_waitcnt lgkmcnt(5)
	v_xor_b32_e32 v9, 0xfffffcff, v0
                                        ; implicit-def: $vgpr30
	s_delay_alu instid0(VALU_DEP_1) | instskip(SKIP_1) | instid1(VALU_DEP_2)
	v_ashrrev_i32_e32 v12, 31, v9
	v_add_co_u32 v11, vcc_lo, v18, v9
	v_add_co_ci_u32_e32 v12, vcc_lo, v19, v12, vcc_lo
.LBB1824_182:
	s_and_not1_saveexec_b32 s3, s3
	s_cbranch_execz .LBB1824_184
; %bb.183:
	s_waitcnt lgkmcnt(6)
	v_add_co_u32 v11, vcc_lo, v15, v30
	v_add_co_ci_u32_e32 v12, vcc_lo, 0, v17, vcc_lo
.LBB1824_184:
	s_or_b32 exec_lo, exec_lo, s3
	s_waitcnt lgkmcnt(6)
	s_delay_alu instid0(VALU_DEP_1) | instskip(NEXT) | instid1(VALU_DEP_1)
	v_lshlrev_b64 v[11:12], 2, v[11:12]
	v_add_co_u32 v11, vcc_lo, s12, v11
	s_delay_alu instid0(VALU_DEP_2) | instskip(SKIP_3) | instid1(SALU_CYCLE_1)
	v_add_co_ci_u32_e32 v12, vcc_lo, s13, v12, vcc_lo
	s_waitcnt lgkmcnt(5)
	global_store_b32 v[11:12], v10, off
	s_or_b32 exec_lo, exec_lo, s1
	s_mov_b32 s1, exec_lo
	v_cmpx_gt_u32_e64 s11, v29
	s_cbranch_execnz .LBB1824_150
.LBB1824_185:
	s_or_b32 exec_lo, exec_lo, s1
	s_delay_alu instid0(SALU_CYCLE_1)
	s_mov_b32 s1, exec_lo
	v_cmpx_gt_u32_e64 s11, v28
	s_cbranch_execz .LBB1824_155
.LBB1824_186:
	s_mov_b32 s3, exec_lo
                                        ; implicit-def: $vgpr9_vgpr10
	v_cmpx_ge_u32_e64 v28, v16
	s_xor_b32 s3, exec_lo, s3
	s_cbranch_execz .LBB1824_188
; %bb.187:
	s_waitcnt lgkmcnt(4)
	v_xor_b32_e32 v7, 0xfffffaff, v0
                                        ; implicit-def: $vgpr28
	s_delay_alu instid0(VALU_DEP_1) | instskip(SKIP_1) | instid1(VALU_DEP_2)
	v_ashrrev_i32_e32 v10, 31, v7
	v_add_co_u32 v9, vcc_lo, v18, v7
	v_add_co_ci_u32_e32 v10, vcc_lo, v19, v10, vcc_lo
.LBB1824_188:
	s_and_not1_saveexec_b32 s3, s3
	s_cbranch_execz .LBB1824_190
; %bb.189:
	s_waitcnt lgkmcnt(5)
	v_add_co_u32 v9, vcc_lo, v15, v28
	v_add_co_ci_u32_e32 v10, vcc_lo, 0, v17, vcc_lo
.LBB1824_190:
	s_or_b32 exec_lo, exec_lo, s3
	s_waitcnt lgkmcnt(5)
	s_delay_alu instid0(VALU_DEP_1) | instskip(NEXT) | instid1(VALU_DEP_1)
	v_lshlrev_b64 v[9:10], 2, v[9:10]
	v_add_co_u32 v9, vcc_lo, s12, v9
	s_delay_alu instid0(VALU_DEP_2) | instskip(SKIP_3) | instid1(SALU_CYCLE_1)
	v_add_co_ci_u32_e32 v10, vcc_lo, s13, v10, vcc_lo
	s_waitcnt lgkmcnt(4)
	global_store_b32 v[9:10], v8, off
	s_or_b32 exec_lo, exec_lo, s1
	s_mov_b32 s1, exec_lo
	v_cmpx_gt_u32_e64 s11, v27
	s_cbranch_execnz .LBB1824_156
.LBB1824_191:
	s_or_b32 exec_lo, exec_lo, s1
	s_delay_alu instid0(SALU_CYCLE_1)
	s_mov_b32 s1, exec_lo
	v_cmpx_gt_u32_e64 s11, v26
	s_cbranch_execz .LBB1824_161
.LBB1824_192:
	s_mov_b32 s3, exec_lo
                                        ; implicit-def: $vgpr7_vgpr8
	v_cmpx_ge_u32_e64 v26, v16
	s_xor_b32 s3, exec_lo, s3
	s_cbranch_execz .LBB1824_194
; %bb.193:
	s_waitcnt lgkmcnt(3)
	v_xor_b32_e32 v5, 0xfffff8ff, v0
                                        ; implicit-def: $vgpr26
	s_delay_alu instid0(VALU_DEP_1) | instskip(SKIP_1) | instid1(VALU_DEP_2)
	v_ashrrev_i32_e32 v8, 31, v5
	v_add_co_u32 v7, vcc_lo, v18, v5
	v_add_co_ci_u32_e32 v8, vcc_lo, v19, v8, vcc_lo
.LBB1824_194:
	s_and_not1_saveexec_b32 s3, s3
	s_cbranch_execz .LBB1824_196
; %bb.195:
	s_waitcnt lgkmcnt(4)
	v_add_co_u32 v7, vcc_lo, v15, v26
	v_add_co_ci_u32_e32 v8, vcc_lo, 0, v17, vcc_lo
.LBB1824_196:
	s_or_b32 exec_lo, exec_lo, s3
	s_waitcnt lgkmcnt(4)
	s_delay_alu instid0(VALU_DEP_1) | instskip(NEXT) | instid1(VALU_DEP_1)
	v_lshlrev_b64 v[7:8], 2, v[7:8]
	v_add_co_u32 v7, vcc_lo, s12, v7
	s_delay_alu instid0(VALU_DEP_2) | instskip(SKIP_3) | instid1(SALU_CYCLE_1)
	v_add_co_ci_u32_e32 v8, vcc_lo, s13, v8, vcc_lo
	s_waitcnt lgkmcnt(3)
	global_store_b32 v[7:8], v6, off
	s_or_b32 exec_lo, exec_lo, s1
	s_mov_b32 s1, exec_lo
	v_cmpx_gt_u32_e64 s11, v25
	s_cbranch_execnz .LBB1824_162
.LBB1824_197:
	s_or_b32 exec_lo, exec_lo, s1
	s_delay_alu instid0(SALU_CYCLE_1)
	s_mov_b32 s1, exec_lo
	v_cmpx_gt_u32_e64 s11, v24
	s_cbranch_execz .LBB1824_167
.LBB1824_198:
	s_mov_b32 s3, exec_lo
                                        ; implicit-def: $vgpr5_vgpr6
	v_cmpx_ge_u32_e64 v24, v16
	s_xor_b32 s3, exec_lo, s3
	s_cbranch_execz .LBB1824_200
; %bb.199:
	s_waitcnt lgkmcnt(2)
	v_xor_b32_e32 v3, 0xfffff6ff, v0
                                        ; implicit-def: $vgpr24
	s_delay_alu instid0(VALU_DEP_1) | instskip(SKIP_1) | instid1(VALU_DEP_2)
	v_ashrrev_i32_e32 v6, 31, v3
	v_add_co_u32 v5, vcc_lo, v18, v3
	v_add_co_ci_u32_e32 v6, vcc_lo, v19, v6, vcc_lo
.LBB1824_200:
	s_and_not1_saveexec_b32 s3, s3
	s_cbranch_execz .LBB1824_202
; %bb.201:
	s_waitcnt lgkmcnt(3)
	v_add_co_u32 v5, vcc_lo, v15, v24
	v_add_co_ci_u32_e32 v6, vcc_lo, 0, v17, vcc_lo
.LBB1824_202:
	s_or_b32 exec_lo, exec_lo, s3
	s_waitcnt lgkmcnt(3)
	s_delay_alu instid0(VALU_DEP_1) | instskip(NEXT) | instid1(VALU_DEP_1)
	v_lshlrev_b64 v[5:6], 2, v[5:6]
	v_add_co_u32 v5, vcc_lo, s12, v5
	s_delay_alu instid0(VALU_DEP_2) | instskip(SKIP_3) | instid1(SALU_CYCLE_1)
	v_add_co_ci_u32_e32 v6, vcc_lo, s13, v6, vcc_lo
	s_waitcnt lgkmcnt(2)
	global_store_b32 v[5:6], v4, off
	s_or_b32 exec_lo, exec_lo, s1
	s_mov_b32 s1, exec_lo
	v_cmpx_gt_u32_e64 s11, v23
	s_cbranch_execnz .LBB1824_168
.LBB1824_203:
	s_or_b32 exec_lo, exec_lo, s1
	s_delay_alu instid0(SALU_CYCLE_1)
	s_mov_b32 s1, exec_lo
	v_cmpx_gt_u32_e64 s11, v22
	s_cbranch_execz .LBB1824_209
.LBB1824_204:
	s_mov_b32 s3, exec_lo
                                        ; implicit-def: $vgpr3_vgpr4
	v_cmpx_ge_u32_e64 v22, v16
	s_xor_b32 s3, exec_lo, s3
	s_cbranch_execz .LBB1824_206
; %bb.205:
	s_waitcnt lgkmcnt(1)
	v_xor_b32_e32 v1, 0xfffff4ff, v0
                                        ; implicit-def: $vgpr22
	s_delay_alu instid0(VALU_DEP_1) | instskip(SKIP_1) | instid1(VALU_DEP_2)
	v_ashrrev_i32_e32 v4, 31, v1
	v_add_co_u32 v3, vcc_lo, v18, v1
	v_add_co_ci_u32_e32 v4, vcc_lo, v19, v4, vcc_lo
.LBB1824_206:
	s_and_not1_saveexec_b32 s3, s3
	s_cbranch_execz .LBB1824_208
; %bb.207:
	s_waitcnt lgkmcnt(2)
	v_add_co_u32 v3, vcc_lo, v15, v22
	v_add_co_ci_u32_e32 v4, vcc_lo, 0, v17, vcc_lo
.LBB1824_208:
	s_or_b32 exec_lo, exec_lo, s3
	s_waitcnt lgkmcnt(2)
	s_delay_alu instid0(VALU_DEP_1) | instskip(NEXT) | instid1(VALU_DEP_1)
	v_lshlrev_b64 v[3:4], 2, v[3:4]
	v_add_co_u32 v3, vcc_lo, s12, v3
	s_delay_alu instid0(VALU_DEP_2)
	v_add_co_ci_u32_e32 v4, vcc_lo, s13, v4, vcc_lo
	s_waitcnt lgkmcnt(1)
	global_store_b32 v[3:4], v2, off
.LBB1824_209:
	s_or_b32 exec_lo, exec_lo, s1
	s_delay_alu instid0(SALU_CYCLE_1)
	s_mov_b32 s1, exec_lo
                                        ; implicit-def: $vgpr13_vgpr14
	v_cmpx_gt_u32_e64 s11, v21
	s_cbranch_execz .LBB1824_215
; %bb.210:
	s_mov_b32 s3, exec_lo
                                        ; implicit-def: $vgpr13_vgpr14
	v_cmpx_ge_u32_e64 v21, v16
	s_xor_b32 s3, exec_lo, s3
	s_cbranch_execz .LBB1824_212
; %bb.211:
	v_xor_b32_e32 v0, 0xfffff3ff, v0
                                        ; implicit-def: $vgpr21
	s_waitcnt lgkmcnt(1)
	s_delay_alu instid0(VALU_DEP_1) | instskip(SKIP_1) | instid1(VALU_DEP_2)
	v_ashrrev_i32_e32 v1, 31, v0
	v_add_co_u32 v13, vcc_lo, v18, v0
	v_add_co_ci_u32_e32 v14, vcc_lo, v19, v1, vcc_lo
.LBB1824_212:
	s_and_not1_saveexec_b32 s3, s3
; %bb.213:
	v_add_co_u32 v13, vcc_lo, v15, v21
	v_add_co_ci_u32_e32 v14, vcc_lo, 0, v17, vcc_lo
; %bb.214:
	s_or_b32 exec_lo, exec_lo, s3
	s_delay_alu instid0(SALU_CYCLE_1)
	s_or_b32 s0, s0, exec_lo
.LBB1824_215:
	s_or_b32 exec_lo, exec_lo, s1
	s_and_saveexec_b32 s1, s0
	s_cbranch_execnz .LBB1824_134
.LBB1824_216:
	s_or_b32 exec_lo, exec_lo, s1
	s_and_b32 s0, s2, s10
	s_delay_alu instid0(SALU_CYCLE_1)
	s_and_saveexec_b32 s1, s0
	s_cbranch_execz .LBB1824_135
.LBB1824_217:
	v_add_co_u32 v0, vcc_lo, v15, v16
	s_waitcnt lgkmcnt(1)
	v_mov_b32_e32 v2, 0
	v_add_co_ci_u32_e32 v1, vcc_lo, 0, v17, vcc_lo
	global_store_b64 v2, v[0:1], s[8:9]
	s_nop 0
	s_sendmsg sendmsg(MSG_DEALLOC_VGPRS)
	s_endpgm
	.section	.rodata,"a",@progbits
	.p2align	6, 0x0
	.amdhsa_kernel _ZN7rocprim17ROCPRIM_400000_NS6detail17trampoline_kernelINS0_13select_configILj256ELj13ELNS0_17block_load_methodE3ELS4_3ELS4_3ELNS0_20block_scan_algorithmE0ELj4294967295EEENS1_25partition_config_selectorILNS1_17partition_subalgoE3EjNS0_10empty_typeEbEEZZNS1_14partition_implILS8_3ELb0ES6_jNS0_17counting_iteratorIjlEEPS9_SE_NS0_5tupleIJPjSE_EEENSF_IJSE_SE_EEES9_SG_JZNS1_25segmented_radix_sort_implINS0_14default_configELb0EPK6__halfPSL_PKlPlN2at6native12_GLOBAL__N_18offset_tEEE10hipError_tPvRmT1_PNSt15iterator_traitsISZ_E10value_typeET2_T3_PNS10_IS15_E10value_typeET4_jRbjT5_S1B_jjP12ihipStream_tbEUljE_EEESW_SX_SY_S15_S19_S1B_T6_T7_T9_mT8_S1D_bDpT10_ENKUlT_T0_E_clISt17integral_constantIbLb1EES1Q_EEDaS1L_S1M_EUlS1L_E_NS1_11comp_targetILNS1_3genE9ELNS1_11target_archE1100ELNS1_3gpuE3ELNS1_3repE0EEENS1_30default_config_static_selectorELNS0_4arch9wavefront6targetE0EEEvSZ_
		.amdhsa_group_segment_fixed_size 13324
		.amdhsa_private_segment_fixed_size 0
		.amdhsa_kernarg_size 152
		.amdhsa_user_sgpr_count 15
		.amdhsa_user_sgpr_dispatch_ptr 0
		.amdhsa_user_sgpr_queue_ptr 0
		.amdhsa_user_sgpr_kernarg_segment_ptr 1
		.amdhsa_user_sgpr_dispatch_id 0
		.amdhsa_user_sgpr_private_segment_size 0
		.amdhsa_wavefront_size32 1
		.amdhsa_uses_dynamic_stack 0
		.amdhsa_enable_private_segment 0
		.amdhsa_system_sgpr_workgroup_id_x 1
		.amdhsa_system_sgpr_workgroup_id_y 0
		.amdhsa_system_sgpr_workgroup_id_z 0
		.amdhsa_system_sgpr_workgroup_info 0
		.amdhsa_system_vgpr_workitem_id 0
		.amdhsa_next_free_vgpr 60
		.amdhsa_next_free_sgpr 26
		.amdhsa_reserve_vcc 1
		.amdhsa_float_round_mode_32 0
		.amdhsa_float_round_mode_16_64 0
		.amdhsa_float_denorm_mode_32 3
		.amdhsa_float_denorm_mode_16_64 3
		.amdhsa_dx10_clamp 1
		.amdhsa_ieee_mode 1
		.amdhsa_fp16_overflow 0
		.amdhsa_workgroup_processor_mode 1
		.amdhsa_memory_ordered 1
		.amdhsa_forward_progress 0
		.amdhsa_shared_vgpr_count 0
		.amdhsa_exception_fp_ieee_invalid_op 0
		.amdhsa_exception_fp_denorm_src 0
		.amdhsa_exception_fp_ieee_div_zero 0
		.amdhsa_exception_fp_ieee_overflow 0
		.amdhsa_exception_fp_ieee_underflow 0
		.amdhsa_exception_fp_ieee_inexact 0
		.amdhsa_exception_int_div_zero 0
	.end_amdhsa_kernel
	.section	.text._ZN7rocprim17ROCPRIM_400000_NS6detail17trampoline_kernelINS0_13select_configILj256ELj13ELNS0_17block_load_methodE3ELS4_3ELS4_3ELNS0_20block_scan_algorithmE0ELj4294967295EEENS1_25partition_config_selectorILNS1_17partition_subalgoE3EjNS0_10empty_typeEbEEZZNS1_14partition_implILS8_3ELb0ES6_jNS0_17counting_iteratorIjlEEPS9_SE_NS0_5tupleIJPjSE_EEENSF_IJSE_SE_EEES9_SG_JZNS1_25segmented_radix_sort_implINS0_14default_configELb0EPK6__halfPSL_PKlPlN2at6native12_GLOBAL__N_18offset_tEEE10hipError_tPvRmT1_PNSt15iterator_traitsISZ_E10value_typeET2_T3_PNS10_IS15_E10value_typeET4_jRbjT5_S1B_jjP12ihipStream_tbEUljE_EEESW_SX_SY_S15_S19_S1B_T6_T7_T9_mT8_S1D_bDpT10_ENKUlT_T0_E_clISt17integral_constantIbLb1EES1Q_EEDaS1L_S1M_EUlS1L_E_NS1_11comp_targetILNS1_3genE9ELNS1_11target_archE1100ELNS1_3gpuE3ELNS1_3repE0EEENS1_30default_config_static_selectorELNS0_4arch9wavefront6targetE0EEEvSZ_,"axG",@progbits,_ZN7rocprim17ROCPRIM_400000_NS6detail17trampoline_kernelINS0_13select_configILj256ELj13ELNS0_17block_load_methodE3ELS4_3ELS4_3ELNS0_20block_scan_algorithmE0ELj4294967295EEENS1_25partition_config_selectorILNS1_17partition_subalgoE3EjNS0_10empty_typeEbEEZZNS1_14partition_implILS8_3ELb0ES6_jNS0_17counting_iteratorIjlEEPS9_SE_NS0_5tupleIJPjSE_EEENSF_IJSE_SE_EEES9_SG_JZNS1_25segmented_radix_sort_implINS0_14default_configELb0EPK6__halfPSL_PKlPlN2at6native12_GLOBAL__N_18offset_tEEE10hipError_tPvRmT1_PNSt15iterator_traitsISZ_E10value_typeET2_T3_PNS10_IS15_E10value_typeET4_jRbjT5_S1B_jjP12ihipStream_tbEUljE_EEESW_SX_SY_S15_S19_S1B_T6_T7_T9_mT8_S1D_bDpT10_ENKUlT_T0_E_clISt17integral_constantIbLb1EES1Q_EEDaS1L_S1M_EUlS1L_E_NS1_11comp_targetILNS1_3genE9ELNS1_11target_archE1100ELNS1_3gpuE3ELNS1_3repE0EEENS1_30default_config_static_selectorELNS0_4arch9wavefront6targetE0EEEvSZ_,comdat
.Lfunc_end1824:
	.size	_ZN7rocprim17ROCPRIM_400000_NS6detail17trampoline_kernelINS0_13select_configILj256ELj13ELNS0_17block_load_methodE3ELS4_3ELS4_3ELNS0_20block_scan_algorithmE0ELj4294967295EEENS1_25partition_config_selectorILNS1_17partition_subalgoE3EjNS0_10empty_typeEbEEZZNS1_14partition_implILS8_3ELb0ES6_jNS0_17counting_iteratorIjlEEPS9_SE_NS0_5tupleIJPjSE_EEENSF_IJSE_SE_EEES9_SG_JZNS1_25segmented_radix_sort_implINS0_14default_configELb0EPK6__halfPSL_PKlPlN2at6native12_GLOBAL__N_18offset_tEEE10hipError_tPvRmT1_PNSt15iterator_traitsISZ_E10value_typeET2_T3_PNS10_IS15_E10value_typeET4_jRbjT5_S1B_jjP12ihipStream_tbEUljE_EEESW_SX_SY_S15_S19_S1B_T6_T7_T9_mT8_S1D_bDpT10_ENKUlT_T0_E_clISt17integral_constantIbLb1EES1Q_EEDaS1L_S1M_EUlS1L_E_NS1_11comp_targetILNS1_3genE9ELNS1_11target_archE1100ELNS1_3gpuE3ELNS1_3repE0EEENS1_30default_config_static_selectorELNS0_4arch9wavefront6targetE0EEEvSZ_, .Lfunc_end1824-_ZN7rocprim17ROCPRIM_400000_NS6detail17trampoline_kernelINS0_13select_configILj256ELj13ELNS0_17block_load_methodE3ELS4_3ELS4_3ELNS0_20block_scan_algorithmE0ELj4294967295EEENS1_25partition_config_selectorILNS1_17partition_subalgoE3EjNS0_10empty_typeEbEEZZNS1_14partition_implILS8_3ELb0ES6_jNS0_17counting_iteratorIjlEEPS9_SE_NS0_5tupleIJPjSE_EEENSF_IJSE_SE_EEES9_SG_JZNS1_25segmented_radix_sort_implINS0_14default_configELb0EPK6__halfPSL_PKlPlN2at6native12_GLOBAL__N_18offset_tEEE10hipError_tPvRmT1_PNSt15iterator_traitsISZ_E10value_typeET2_T3_PNS10_IS15_E10value_typeET4_jRbjT5_S1B_jjP12ihipStream_tbEUljE_EEESW_SX_SY_S15_S19_S1B_T6_T7_T9_mT8_S1D_bDpT10_ENKUlT_T0_E_clISt17integral_constantIbLb1EES1Q_EEDaS1L_S1M_EUlS1L_E_NS1_11comp_targetILNS1_3genE9ELNS1_11target_archE1100ELNS1_3gpuE3ELNS1_3repE0EEENS1_30default_config_static_selectorELNS0_4arch9wavefront6targetE0EEEvSZ_
                                        ; -- End function
	.section	.AMDGPU.csdata,"",@progbits
; Kernel info:
; codeLenInByte = 9140
; NumSgprs: 28
; NumVgprs: 60
; ScratchSize: 0
; MemoryBound: 0
; FloatMode: 240
; IeeeMode: 1
; LDSByteSize: 13324 bytes/workgroup (compile time only)
; SGPRBlocks: 3
; VGPRBlocks: 7
; NumSGPRsForWavesPerEU: 28
; NumVGPRsForWavesPerEU: 60
; Occupancy: 16
; WaveLimiterHint : 0
; COMPUTE_PGM_RSRC2:SCRATCH_EN: 0
; COMPUTE_PGM_RSRC2:USER_SGPR: 15
; COMPUTE_PGM_RSRC2:TRAP_HANDLER: 0
; COMPUTE_PGM_RSRC2:TGID_X_EN: 1
; COMPUTE_PGM_RSRC2:TGID_Y_EN: 0
; COMPUTE_PGM_RSRC2:TGID_Z_EN: 0
; COMPUTE_PGM_RSRC2:TIDIG_COMP_CNT: 0
	.section	.text._ZN7rocprim17ROCPRIM_400000_NS6detail17trampoline_kernelINS0_13select_configILj256ELj13ELNS0_17block_load_methodE3ELS4_3ELS4_3ELNS0_20block_scan_algorithmE0ELj4294967295EEENS1_25partition_config_selectorILNS1_17partition_subalgoE3EjNS0_10empty_typeEbEEZZNS1_14partition_implILS8_3ELb0ES6_jNS0_17counting_iteratorIjlEEPS9_SE_NS0_5tupleIJPjSE_EEENSF_IJSE_SE_EEES9_SG_JZNS1_25segmented_radix_sort_implINS0_14default_configELb0EPK6__halfPSL_PKlPlN2at6native12_GLOBAL__N_18offset_tEEE10hipError_tPvRmT1_PNSt15iterator_traitsISZ_E10value_typeET2_T3_PNS10_IS15_E10value_typeET4_jRbjT5_S1B_jjP12ihipStream_tbEUljE_EEESW_SX_SY_S15_S19_S1B_T6_T7_T9_mT8_S1D_bDpT10_ENKUlT_T0_E_clISt17integral_constantIbLb1EES1Q_EEDaS1L_S1M_EUlS1L_E_NS1_11comp_targetILNS1_3genE8ELNS1_11target_archE1030ELNS1_3gpuE2ELNS1_3repE0EEENS1_30default_config_static_selectorELNS0_4arch9wavefront6targetE0EEEvSZ_,"axG",@progbits,_ZN7rocprim17ROCPRIM_400000_NS6detail17trampoline_kernelINS0_13select_configILj256ELj13ELNS0_17block_load_methodE3ELS4_3ELS4_3ELNS0_20block_scan_algorithmE0ELj4294967295EEENS1_25partition_config_selectorILNS1_17partition_subalgoE3EjNS0_10empty_typeEbEEZZNS1_14partition_implILS8_3ELb0ES6_jNS0_17counting_iteratorIjlEEPS9_SE_NS0_5tupleIJPjSE_EEENSF_IJSE_SE_EEES9_SG_JZNS1_25segmented_radix_sort_implINS0_14default_configELb0EPK6__halfPSL_PKlPlN2at6native12_GLOBAL__N_18offset_tEEE10hipError_tPvRmT1_PNSt15iterator_traitsISZ_E10value_typeET2_T3_PNS10_IS15_E10value_typeET4_jRbjT5_S1B_jjP12ihipStream_tbEUljE_EEESW_SX_SY_S15_S19_S1B_T6_T7_T9_mT8_S1D_bDpT10_ENKUlT_T0_E_clISt17integral_constantIbLb1EES1Q_EEDaS1L_S1M_EUlS1L_E_NS1_11comp_targetILNS1_3genE8ELNS1_11target_archE1030ELNS1_3gpuE2ELNS1_3repE0EEENS1_30default_config_static_selectorELNS0_4arch9wavefront6targetE0EEEvSZ_,comdat
	.globl	_ZN7rocprim17ROCPRIM_400000_NS6detail17trampoline_kernelINS0_13select_configILj256ELj13ELNS0_17block_load_methodE3ELS4_3ELS4_3ELNS0_20block_scan_algorithmE0ELj4294967295EEENS1_25partition_config_selectorILNS1_17partition_subalgoE3EjNS0_10empty_typeEbEEZZNS1_14partition_implILS8_3ELb0ES6_jNS0_17counting_iteratorIjlEEPS9_SE_NS0_5tupleIJPjSE_EEENSF_IJSE_SE_EEES9_SG_JZNS1_25segmented_radix_sort_implINS0_14default_configELb0EPK6__halfPSL_PKlPlN2at6native12_GLOBAL__N_18offset_tEEE10hipError_tPvRmT1_PNSt15iterator_traitsISZ_E10value_typeET2_T3_PNS10_IS15_E10value_typeET4_jRbjT5_S1B_jjP12ihipStream_tbEUljE_EEESW_SX_SY_S15_S19_S1B_T6_T7_T9_mT8_S1D_bDpT10_ENKUlT_T0_E_clISt17integral_constantIbLb1EES1Q_EEDaS1L_S1M_EUlS1L_E_NS1_11comp_targetILNS1_3genE8ELNS1_11target_archE1030ELNS1_3gpuE2ELNS1_3repE0EEENS1_30default_config_static_selectorELNS0_4arch9wavefront6targetE0EEEvSZ_ ; -- Begin function _ZN7rocprim17ROCPRIM_400000_NS6detail17trampoline_kernelINS0_13select_configILj256ELj13ELNS0_17block_load_methodE3ELS4_3ELS4_3ELNS0_20block_scan_algorithmE0ELj4294967295EEENS1_25partition_config_selectorILNS1_17partition_subalgoE3EjNS0_10empty_typeEbEEZZNS1_14partition_implILS8_3ELb0ES6_jNS0_17counting_iteratorIjlEEPS9_SE_NS0_5tupleIJPjSE_EEENSF_IJSE_SE_EEES9_SG_JZNS1_25segmented_radix_sort_implINS0_14default_configELb0EPK6__halfPSL_PKlPlN2at6native12_GLOBAL__N_18offset_tEEE10hipError_tPvRmT1_PNSt15iterator_traitsISZ_E10value_typeET2_T3_PNS10_IS15_E10value_typeET4_jRbjT5_S1B_jjP12ihipStream_tbEUljE_EEESW_SX_SY_S15_S19_S1B_T6_T7_T9_mT8_S1D_bDpT10_ENKUlT_T0_E_clISt17integral_constantIbLb1EES1Q_EEDaS1L_S1M_EUlS1L_E_NS1_11comp_targetILNS1_3genE8ELNS1_11target_archE1030ELNS1_3gpuE2ELNS1_3repE0EEENS1_30default_config_static_selectorELNS0_4arch9wavefront6targetE0EEEvSZ_
	.p2align	8
	.type	_ZN7rocprim17ROCPRIM_400000_NS6detail17trampoline_kernelINS0_13select_configILj256ELj13ELNS0_17block_load_methodE3ELS4_3ELS4_3ELNS0_20block_scan_algorithmE0ELj4294967295EEENS1_25partition_config_selectorILNS1_17partition_subalgoE3EjNS0_10empty_typeEbEEZZNS1_14partition_implILS8_3ELb0ES6_jNS0_17counting_iteratorIjlEEPS9_SE_NS0_5tupleIJPjSE_EEENSF_IJSE_SE_EEES9_SG_JZNS1_25segmented_radix_sort_implINS0_14default_configELb0EPK6__halfPSL_PKlPlN2at6native12_GLOBAL__N_18offset_tEEE10hipError_tPvRmT1_PNSt15iterator_traitsISZ_E10value_typeET2_T3_PNS10_IS15_E10value_typeET4_jRbjT5_S1B_jjP12ihipStream_tbEUljE_EEESW_SX_SY_S15_S19_S1B_T6_T7_T9_mT8_S1D_bDpT10_ENKUlT_T0_E_clISt17integral_constantIbLb1EES1Q_EEDaS1L_S1M_EUlS1L_E_NS1_11comp_targetILNS1_3genE8ELNS1_11target_archE1030ELNS1_3gpuE2ELNS1_3repE0EEENS1_30default_config_static_selectorELNS0_4arch9wavefront6targetE0EEEvSZ_,@function
_ZN7rocprim17ROCPRIM_400000_NS6detail17trampoline_kernelINS0_13select_configILj256ELj13ELNS0_17block_load_methodE3ELS4_3ELS4_3ELNS0_20block_scan_algorithmE0ELj4294967295EEENS1_25partition_config_selectorILNS1_17partition_subalgoE3EjNS0_10empty_typeEbEEZZNS1_14partition_implILS8_3ELb0ES6_jNS0_17counting_iteratorIjlEEPS9_SE_NS0_5tupleIJPjSE_EEENSF_IJSE_SE_EEES9_SG_JZNS1_25segmented_radix_sort_implINS0_14default_configELb0EPK6__halfPSL_PKlPlN2at6native12_GLOBAL__N_18offset_tEEE10hipError_tPvRmT1_PNSt15iterator_traitsISZ_E10value_typeET2_T3_PNS10_IS15_E10value_typeET4_jRbjT5_S1B_jjP12ihipStream_tbEUljE_EEESW_SX_SY_S15_S19_S1B_T6_T7_T9_mT8_S1D_bDpT10_ENKUlT_T0_E_clISt17integral_constantIbLb1EES1Q_EEDaS1L_S1M_EUlS1L_E_NS1_11comp_targetILNS1_3genE8ELNS1_11target_archE1030ELNS1_3gpuE2ELNS1_3repE0EEENS1_30default_config_static_selectorELNS0_4arch9wavefront6targetE0EEEvSZ_: ; @_ZN7rocprim17ROCPRIM_400000_NS6detail17trampoline_kernelINS0_13select_configILj256ELj13ELNS0_17block_load_methodE3ELS4_3ELS4_3ELNS0_20block_scan_algorithmE0ELj4294967295EEENS1_25partition_config_selectorILNS1_17partition_subalgoE3EjNS0_10empty_typeEbEEZZNS1_14partition_implILS8_3ELb0ES6_jNS0_17counting_iteratorIjlEEPS9_SE_NS0_5tupleIJPjSE_EEENSF_IJSE_SE_EEES9_SG_JZNS1_25segmented_radix_sort_implINS0_14default_configELb0EPK6__halfPSL_PKlPlN2at6native12_GLOBAL__N_18offset_tEEE10hipError_tPvRmT1_PNSt15iterator_traitsISZ_E10value_typeET2_T3_PNS10_IS15_E10value_typeET4_jRbjT5_S1B_jjP12ihipStream_tbEUljE_EEESW_SX_SY_S15_S19_S1B_T6_T7_T9_mT8_S1D_bDpT10_ENKUlT_T0_E_clISt17integral_constantIbLb1EES1Q_EEDaS1L_S1M_EUlS1L_E_NS1_11comp_targetILNS1_3genE8ELNS1_11target_archE1030ELNS1_3gpuE2ELNS1_3repE0EEENS1_30default_config_static_selectorELNS0_4arch9wavefront6targetE0EEEvSZ_
; %bb.0:
	.section	.rodata,"a",@progbits
	.p2align	6, 0x0
	.amdhsa_kernel _ZN7rocprim17ROCPRIM_400000_NS6detail17trampoline_kernelINS0_13select_configILj256ELj13ELNS0_17block_load_methodE3ELS4_3ELS4_3ELNS0_20block_scan_algorithmE0ELj4294967295EEENS1_25partition_config_selectorILNS1_17partition_subalgoE3EjNS0_10empty_typeEbEEZZNS1_14partition_implILS8_3ELb0ES6_jNS0_17counting_iteratorIjlEEPS9_SE_NS0_5tupleIJPjSE_EEENSF_IJSE_SE_EEES9_SG_JZNS1_25segmented_radix_sort_implINS0_14default_configELb0EPK6__halfPSL_PKlPlN2at6native12_GLOBAL__N_18offset_tEEE10hipError_tPvRmT1_PNSt15iterator_traitsISZ_E10value_typeET2_T3_PNS10_IS15_E10value_typeET4_jRbjT5_S1B_jjP12ihipStream_tbEUljE_EEESW_SX_SY_S15_S19_S1B_T6_T7_T9_mT8_S1D_bDpT10_ENKUlT_T0_E_clISt17integral_constantIbLb1EES1Q_EEDaS1L_S1M_EUlS1L_E_NS1_11comp_targetILNS1_3genE8ELNS1_11target_archE1030ELNS1_3gpuE2ELNS1_3repE0EEENS1_30default_config_static_selectorELNS0_4arch9wavefront6targetE0EEEvSZ_
		.amdhsa_group_segment_fixed_size 0
		.amdhsa_private_segment_fixed_size 0
		.amdhsa_kernarg_size 152
		.amdhsa_user_sgpr_count 15
		.amdhsa_user_sgpr_dispatch_ptr 0
		.amdhsa_user_sgpr_queue_ptr 0
		.amdhsa_user_sgpr_kernarg_segment_ptr 1
		.amdhsa_user_sgpr_dispatch_id 0
		.amdhsa_user_sgpr_private_segment_size 0
		.amdhsa_wavefront_size32 1
		.amdhsa_uses_dynamic_stack 0
		.amdhsa_enable_private_segment 0
		.amdhsa_system_sgpr_workgroup_id_x 1
		.amdhsa_system_sgpr_workgroup_id_y 0
		.amdhsa_system_sgpr_workgroup_id_z 0
		.amdhsa_system_sgpr_workgroup_info 0
		.amdhsa_system_vgpr_workitem_id 0
		.amdhsa_next_free_vgpr 1
		.amdhsa_next_free_sgpr 1
		.amdhsa_reserve_vcc 0
		.amdhsa_float_round_mode_32 0
		.amdhsa_float_round_mode_16_64 0
		.amdhsa_float_denorm_mode_32 3
		.amdhsa_float_denorm_mode_16_64 3
		.amdhsa_dx10_clamp 1
		.amdhsa_ieee_mode 1
		.amdhsa_fp16_overflow 0
		.amdhsa_workgroup_processor_mode 1
		.amdhsa_memory_ordered 1
		.amdhsa_forward_progress 0
		.amdhsa_shared_vgpr_count 0
		.amdhsa_exception_fp_ieee_invalid_op 0
		.amdhsa_exception_fp_denorm_src 0
		.amdhsa_exception_fp_ieee_div_zero 0
		.amdhsa_exception_fp_ieee_overflow 0
		.amdhsa_exception_fp_ieee_underflow 0
		.amdhsa_exception_fp_ieee_inexact 0
		.amdhsa_exception_int_div_zero 0
	.end_amdhsa_kernel
	.section	.text._ZN7rocprim17ROCPRIM_400000_NS6detail17trampoline_kernelINS0_13select_configILj256ELj13ELNS0_17block_load_methodE3ELS4_3ELS4_3ELNS0_20block_scan_algorithmE0ELj4294967295EEENS1_25partition_config_selectorILNS1_17partition_subalgoE3EjNS0_10empty_typeEbEEZZNS1_14partition_implILS8_3ELb0ES6_jNS0_17counting_iteratorIjlEEPS9_SE_NS0_5tupleIJPjSE_EEENSF_IJSE_SE_EEES9_SG_JZNS1_25segmented_radix_sort_implINS0_14default_configELb0EPK6__halfPSL_PKlPlN2at6native12_GLOBAL__N_18offset_tEEE10hipError_tPvRmT1_PNSt15iterator_traitsISZ_E10value_typeET2_T3_PNS10_IS15_E10value_typeET4_jRbjT5_S1B_jjP12ihipStream_tbEUljE_EEESW_SX_SY_S15_S19_S1B_T6_T7_T9_mT8_S1D_bDpT10_ENKUlT_T0_E_clISt17integral_constantIbLb1EES1Q_EEDaS1L_S1M_EUlS1L_E_NS1_11comp_targetILNS1_3genE8ELNS1_11target_archE1030ELNS1_3gpuE2ELNS1_3repE0EEENS1_30default_config_static_selectorELNS0_4arch9wavefront6targetE0EEEvSZ_,"axG",@progbits,_ZN7rocprim17ROCPRIM_400000_NS6detail17trampoline_kernelINS0_13select_configILj256ELj13ELNS0_17block_load_methodE3ELS4_3ELS4_3ELNS0_20block_scan_algorithmE0ELj4294967295EEENS1_25partition_config_selectorILNS1_17partition_subalgoE3EjNS0_10empty_typeEbEEZZNS1_14partition_implILS8_3ELb0ES6_jNS0_17counting_iteratorIjlEEPS9_SE_NS0_5tupleIJPjSE_EEENSF_IJSE_SE_EEES9_SG_JZNS1_25segmented_radix_sort_implINS0_14default_configELb0EPK6__halfPSL_PKlPlN2at6native12_GLOBAL__N_18offset_tEEE10hipError_tPvRmT1_PNSt15iterator_traitsISZ_E10value_typeET2_T3_PNS10_IS15_E10value_typeET4_jRbjT5_S1B_jjP12ihipStream_tbEUljE_EEESW_SX_SY_S15_S19_S1B_T6_T7_T9_mT8_S1D_bDpT10_ENKUlT_T0_E_clISt17integral_constantIbLb1EES1Q_EEDaS1L_S1M_EUlS1L_E_NS1_11comp_targetILNS1_3genE8ELNS1_11target_archE1030ELNS1_3gpuE2ELNS1_3repE0EEENS1_30default_config_static_selectorELNS0_4arch9wavefront6targetE0EEEvSZ_,comdat
.Lfunc_end1825:
	.size	_ZN7rocprim17ROCPRIM_400000_NS6detail17trampoline_kernelINS0_13select_configILj256ELj13ELNS0_17block_load_methodE3ELS4_3ELS4_3ELNS0_20block_scan_algorithmE0ELj4294967295EEENS1_25partition_config_selectorILNS1_17partition_subalgoE3EjNS0_10empty_typeEbEEZZNS1_14partition_implILS8_3ELb0ES6_jNS0_17counting_iteratorIjlEEPS9_SE_NS0_5tupleIJPjSE_EEENSF_IJSE_SE_EEES9_SG_JZNS1_25segmented_radix_sort_implINS0_14default_configELb0EPK6__halfPSL_PKlPlN2at6native12_GLOBAL__N_18offset_tEEE10hipError_tPvRmT1_PNSt15iterator_traitsISZ_E10value_typeET2_T3_PNS10_IS15_E10value_typeET4_jRbjT5_S1B_jjP12ihipStream_tbEUljE_EEESW_SX_SY_S15_S19_S1B_T6_T7_T9_mT8_S1D_bDpT10_ENKUlT_T0_E_clISt17integral_constantIbLb1EES1Q_EEDaS1L_S1M_EUlS1L_E_NS1_11comp_targetILNS1_3genE8ELNS1_11target_archE1030ELNS1_3gpuE2ELNS1_3repE0EEENS1_30default_config_static_selectorELNS0_4arch9wavefront6targetE0EEEvSZ_, .Lfunc_end1825-_ZN7rocprim17ROCPRIM_400000_NS6detail17trampoline_kernelINS0_13select_configILj256ELj13ELNS0_17block_load_methodE3ELS4_3ELS4_3ELNS0_20block_scan_algorithmE0ELj4294967295EEENS1_25partition_config_selectorILNS1_17partition_subalgoE3EjNS0_10empty_typeEbEEZZNS1_14partition_implILS8_3ELb0ES6_jNS0_17counting_iteratorIjlEEPS9_SE_NS0_5tupleIJPjSE_EEENSF_IJSE_SE_EEES9_SG_JZNS1_25segmented_radix_sort_implINS0_14default_configELb0EPK6__halfPSL_PKlPlN2at6native12_GLOBAL__N_18offset_tEEE10hipError_tPvRmT1_PNSt15iterator_traitsISZ_E10value_typeET2_T3_PNS10_IS15_E10value_typeET4_jRbjT5_S1B_jjP12ihipStream_tbEUljE_EEESW_SX_SY_S15_S19_S1B_T6_T7_T9_mT8_S1D_bDpT10_ENKUlT_T0_E_clISt17integral_constantIbLb1EES1Q_EEDaS1L_S1M_EUlS1L_E_NS1_11comp_targetILNS1_3genE8ELNS1_11target_archE1030ELNS1_3gpuE2ELNS1_3repE0EEENS1_30default_config_static_selectorELNS0_4arch9wavefront6targetE0EEEvSZ_
                                        ; -- End function
	.section	.AMDGPU.csdata,"",@progbits
; Kernel info:
; codeLenInByte = 0
; NumSgprs: 0
; NumVgprs: 0
; ScratchSize: 0
; MemoryBound: 0
; FloatMode: 240
; IeeeMode: 1
; LDSByteSize: 0 bytes/workgroup (compile time only)
; SGPRBlocks: 0
; VGPRBlocks: 0
; NumSGPRsForWavesPerEU: 1
; NumVGPRsForWavesPerEU: 1
; Occupancy: 16
; WaveLimiterHint : 0
; COMPUTE_PGM_RSRC2:SCRATCH_EN: 0
; COMPUTE_PGM_RSRC2:USER_SGPR: 15
; COMPUTE_PGM_RSRC2:TRAP_HANDLER: 0
; COMPUTE_PGM_RSRC2:TGID_X_EN: 1
; COMPUTE_PGM_RSRC2:TGID_Y_EN: 0
; COMPUTE_PGM_RSRC2:TGID_Z_EN: 0
; COMPUTE_PGM_RSRC2:TIDIG_COMP_CNT: 0
	.section	.text._ZN7rocprim17ROCPRIM_400000_NS6detail17trampoline_kernelINS0_13select_configILj256ELj13ELNS0_17block_load_methodE3ELS4_3ELS4_3ELNS0_20block_scan_algorithmE0ELj4294967295EEENS1_25partition_config_selectorILNS1_17partition_subalgoE3EjNS0_10empty_typeEbEEZZNS1_14partition_implILS8_3ELb0ES6_jNS0_17counting_iteratorIjlEEPS9_SE_NS0_5tupleIJPjSE_EEENSF_IJSE_SE_EEES9_SG_JZNS1_25segmented_radix_sort_implINS0_14default_configELb0EPK6__halfPSL_PKlPlN2at6native12_GLOBAL__N_18offset_tEEE10hipError_tPvRmT1_PNSt15iterator_traitsISZ_E10value_typeET2_T3_PNS10_IS15_E10value_typeET4_jRbjT5_S1B_jjP12ihipStream_tbEUljE_EEESW_SX_SY_S15_S19_S1B_T6_T7_T9_mT8_S1D_bDpT10_ENKUlT_T0_E_clISt17integral_constantIbLb1EES1P_IbLb0EEEEDaS1L_S1M_EUlS1L_E_NS1_11comp_targetILNS1_3genE0ELNS1_11target_archE4294967295ELNS1_3gpuE0ELNS1_3repE0EEENS1_30default_config_static_selectorELNS0_4arch9wavefront6targetE0EEEvSZ_,"axG",@progbits,_ZN7rocprim17ROCPRIM_400000_NS6detail17trampoline_kernelINS0_13select_configILj256ELj13ELNS0_17block_load_methodE3ELS4_3ELS4_3ELNS0_20block_scan_algorithmE0ELj4294967295EEENS1_25partition_config_selectorILNS1_17partition_subalgoE3EjNS0_10empty_typeEbEEZZNS1_14partition_implILS8_3ELb0ES6_jNS0_17counting_iteratorIjlEEPS9_SE_NS0_5tupleIJPjSE_EEENSF_IJSE_SE_EEES9_SG_JZNS1_25segmented_radix_sort_implINS0_14default_configELb0EPK6__halfPSL_PKlPlN2at6native12_GLOBAL__N_18offset_tEEE10hipError_tPvRmT1_PNSt15iterator_traitsISZ_E10value_typeET2_T3_PNS10_IS15_E10value_typeET4_jRbjT5_S1B_jjP12ihipStream_tbEUljE_EEESW_SX_SY_S15_S19_S1B_T6_T7_T9_mT8_S1D_bDpT10_ENKUlT_T0_E_clISt17integral_constantIbLb1EES1P_IbLb0EEEEDaS1L_S1M_EUlS1L_E_NS1_11comp_targetILNS1_3genE0ELNS1_11target_archE4294967295ELNS1_3gpuE0ELNS1_3repE0EEENS1_30default_config_static_selectorELNS0_4arch9wavefront6targetE0EEEvSZ_,comdat
	.globl	_ZN7rocprim17ROCPRIM_400000_NS6detail17trampoline_kernelINS0_13select_configILj256ELj13ELNS0_17block_load_methodE3ELS4_3ELS4_3ELNS0_20block_scan_algorithmE0ELj4294967295EEENS1_25partition_config_selectorILNS1_17partition_subalgoE3EjNS0_10empty_typeEbEEZZNS1_14partition_implILS8_3ELb0ES6_jNS0_17counting_iteratorIjlEEPS9_SE_NS0_5tupleIJPjSE_EEENSF_IJSE_SE_EEES9_SG_JZNS1_25segmented_radix_sort_implINS0_14default_configELb0EPK6__halfPSL_PKlPlN2at6native12_GLOBAL__N_18offset_tEEE10hipError_tPvRmT1_PNSt15iterator_traitsISZ_E10value_typeET2_T3_PNS10_IS15_E10value_typeET4_jRbjT5_S1B_jjP12ihipStream_tbEUljE_EEESW_SX_SY_S15_S19_S1B_T6_T7_T9_mT8_S1D_bDpT10_ENKUlT_T0_E_clISt17integral_constantIbLb1EES1P_IbLb0EEEEDaS1L_S1M_EUlS1L_E_NS1_11comp_targetILNS1_3genE0ELNS1_11target_archE4294967295ELNS1_3gpuE0ELNS1_3repE0EEENS1_30default_config_static_selectorELNS0_4arch9wavefront6targetE0EEEvSZ_ ; -- Begin function _ZN7rocprim17ROCPRIM_400000_NS6detail17trampoline_kernelINS0_13select_configILj256ELj13ELNS0_17block_load_methodE3ELS4_3ELS4_3ELNS0_20block_scan_algorithmE0ELj4294967295EEENS1_25partition_config_selectorILNS1_17partition_subalgoE3EjNS0_10empty_typeEbEEZZNS1_14partition_implILS8_3ELb0ES6_jNS0_17counting_iteratorIjlEEPS9_SE_NS0_5tupleIJPjSE_EEENSF_IJSE_SE_EEES9_SG_JZNS1_25segmented_radix_sort_implINS0_14default_configELb0EPK6__halfPSL_PKlPlN2at6native12_GLOBAL__N_18offset_tEEE10hipError_tPvRmT1_PNSt15iterator_traitsISZ_E10value_typeET2_T3_PNS10_IS15_E10value_typeET4_jRbjT5_S1B_jjP12ihipStream_tbEUljE_EEESW_SX_SY_S15_S19_S1B_T6_T7_T9_mT8_S1D_bDpT10_ENKUlT_T0_E_clISt17integral_constantIbLb1EES1P_IbLb0EEEEDaS1L_S1M_EUlS1L_E_NS1_11comp_targetILNS1_3genE0ELNS1_11target_archE4294967295ELNS1_3gpuE0ELNS1_3repE0EEENS1_30default_config_static_selectorELNS0_4arch9wavefront6targetE0EEEvSZ_
	.p2align	8
	.type	_ZN7rocprim17ROCPRIM_400000_NS6detail17trampoline_kernelINS0_13select_configILj256ELj13ELNS0_17block_load_methodE3ELS4_3ELS4_3ELNS0_20block_scan_algorithmE0ELj4294967295EEENS1_25partition_config_selectorILNS1_17partition_subalgoE3EjNS0_10empty_typeEbEEZZNS1_14partition_implILS8_3ELb0ES6_jNS0_17counting_iteratorIjlEEPS9_SE_NS0_5tupleIJPjSE_EEENSF_IJSE_SE_EEES9_SG_JZNS1_25segmented_radix_sort_implINS0_14default_configELb0EPK6__halfPSL_PKlPlN2at6native12_GLOBAL__N_18offset_tEEE10hipError_tPvRmT1_PNSt15iterator_traitsISZ_E10value_typeET2_T3_PNS10_IS15_E10value_typeET4_jRbjT5_S1B_jjP12ihipStream_tbEUljE_EEESW_SX_SY_S15_S19_S1B_T6_T7_T9_mT8_S1D_bDpT10_ENKUlT_T0_E_clISt17integral_constantIbLb1EES1P_IbLb0EEEEDaS1L_S1M_EUlS1L_E_NS1_11comp_targetILNS1_3genE0ELNS1_11target_archE4294967295ELNS1_3gpuE0ELNS1_3repE0EEENS1_30default_config_static_selectorELNS0_4arch9wavefront6targetE0EEEvSZ_,@function
_ZN7rocprim17ROCPRIM_400000_NS6detail17trampoline_kernelINS0_13select_configILj256ELj13ELNS0_17block_load_methodE3ELS4_3ELS4_3ELNS0_20block_scan_algorithmE0ELj4294967295EEENS1_25partition_config_selectorILNS1_17partition_subalgoE3EjNS0_10empty_typeEbEEZZNS1_14partition_implILS8_3ELb0ES6_jNS0_17counting_iteratorIjlEEPS9_SE_NS0_5tupleIJPjSE_EEENSF_IJSE_SE_EEES9_SG_JZNS1_25segmented_radix_sort_implINS0_14default_configELb0EPK6__halfPSL_PKlPlN2at6native12_GLOBAL__N_18offset_tEEE10hipError_tPvRmT1_PNSt15iterator_traitsISZ_E10value_typeET2_T3_PNS10_IS15_E10value_typeET4_jRbjT5_S1B_jjP12ihipStream_tbEUljE_EEESW_SX_SY_S15_S19_S1B_T6_T7_T9_mT8_S1D_bDpT10_ENKUlT_T0_E_clISt17integral_constantIbLb1EES1P_IbLb0EEEEDaS1L_S1M_EUlS1L_E_NS1_11comp_targetILNS1_3genE0ELNS1_11target_archE4294967295ELNS1_3gpuE0ELNS1_3repE0EEENS1_30default_config_static_selectorELNS0_4arch9wavefront6targetE0EEEvSZ_: ; @_ZN7rocprim17ROCPRIM_400000_NS6detail17trampoline_kernelINS0_13select_configILj256ELj13ELNS0_17block_load_methodE3ELS4_3ELS4_3ELNS0_20block_scan_algorithmE0ELj4294967295EEENS1_25partition_config_selectorILNS1_17partition_subalgoE3EjNS0_10empty_typeEbEEZZNS1_14partition_implILS8_3ELb0ES6_jNS0_17counting_iteratorIjlEEPS9_SE_NS0_5tupleIJPjSE_EEENSF_IJSE_SE_EEES9_SG_JZNS1_25segmented_radix_sort_implINS0_14default_configELb0EPK6__halfPSL_PKlPlN2at6native12_GLOBAL__N_18offset_tEEE10hipError_tPvRmT1_PNSt15iterator_traitsISZ_E10value_typeET2_T3_PNS10_IS15_E10value_typeET4_jRbjT5_S1B_jjP12ihipStream_tbEUljE_EEESW_SX_SY_S15_S19_S1B_T6_T7_T9_mT8_S1D_bDpT10_ENKUlT_T0_E_clISt17integral_constantIbLb1EES1P_IbLb0EEEEDaS1L_S1M_EUlS1L_E_NS1_11comp_targetILNS1_3genE0ELNS1_11target_archE4294967295ELNS1_3gpuE0ELNS1_3repE0EEENS1_30default_config_static_selectorELNS0_4arch9wavefront6targetE0EEEvSZ_
; %bb.0:
	.section	.rodata,"a",@progbits
	.p2align	6, 0x0
	.amdhsa_kernel _ZN7rocprim17ROCPRIM_400000_NS6detail17trampoline_kernelINS0_13select_configILj256ELj13ELNS0_17block_load_methodE3ELS4_3ELS4_3ELNS0_20block_scan_algorithmE0ELj4294967295EEENS1_25partition_config_selectorILNS1_17partition_subalgoE3EjNS0_10empty_typeEbEEZZNS1_14partition_implILS8_3ELb0ES6_jNS0_17counting_iteratorIjlEEPS9_SE_NS0_5tupleIJPjSE_EEENSF_IJSE_SE_EEES9_SG_JZNS1_25segmented_radix_sort_implINS0_14default_configELb0EPK6__halfPSL_PKlPlN2at6native12_GLOBAL__N_18offset_tEEE10hipError_tPvRmT1_PNSt15iterator_traitsISZ_E10value_typeET2_T3_PNS10_IS15_E10value_typeET4_jRbjT5_S1B_jjP12ihipStream_tbEUljE_EEESW_SX_SY_S15_S19_S1B_T6_T7_T9_mT8_S1D_bDpT10_ENKUlT_T0_E_clISt17integral_constantIbLb1EES1P_IbLb0EEEEDaS1L_S1M_EUlS1L_E_NS1_11comp_targetILNS1_3genE0ELNS1_11target_archE4294967295ELNS1_3gpuE0ELNS1_3repE0EEENS1_30default_config_static_selectorELNS0_4arch9wavefront6targetE0EEEvSZ_
		.amdhsa_group_segment_fixed_size 0
		.amdhsa_private_segment_fixed_size 0
		.amdhsa_kernarg_size 144
		.amdhsa_user_sgpr_count 15
		.amdhsa_user_sgpr_dispatch_ptr 0
		.amdhsa_user_sgpr_queue_ptr 0
		.amdhsa_user_sgpr_kernarg_segment_ptr 1
		.amdhsa_user_sgpr_dispatch_id 0
		.amdhsa_user_sgpr_private_segment_size 0
		.amdhsa_wavefront_size32 1
		.amdhsa_uses_dynamic_stack 0
		.amdhsa_enable_private_segment 0
		.amdhsa_system_sgpr_workgroup_id_x 1
		.amdhsa_system_sgpr_workgroup_id_y 0
		.amdhsa_system_sgpr_workgroup_id_z 0
		.amdhsa_system_sgpr_workgroup_info 0
		.amdhsa_system_vgpr_workitem_id 0
		.amdhsa_next_free_vgpr 1
		.amdhsa_next_free_sgpr 1
		.amdhsa_reserve_vcc 0
		.amdhsa_float_round_mode_32 0
		.amdhsa_float_round_mode_16_64 0
		.amdhsa_float_denorm_mode_32 3
		.amdhsa_float_denorm_mode_16_64 3
		.amdhsa_dx10_clamp 1
		.amdhsa_ieee_mode 1
		.amdhsa_fp16_overflow 0
		.amdhsa_workgroup_processor_mode 1
		.amdhsa_memory_ordered 1
		.amdhsa_forward_progress 0
		.amdhsa_shared_vgpr_count 0
		.amdhsa_exception_fp_ieee_invalid_op 0
		.amdhsa_exception_fp_denorm_src 0
		.amdhsa_exception_fp_ieee_div_zero 0
		.amdhsa_exception_fp_ieee_overflow 0
		.amdhsa_exception_fp_ieee_underflow 0
		.amdhsa_exception_fp_ieee_inexact 0
		.amdhsa_exception_int_div_zero 0
	.end_amdhsa_kernel
	.section	.text._ZN7rocprim17ROCPRIM_400000_NS6detail17trampoline_kernelINS0_13select_configILj256ELj13ELNS0_17block_load_methodE3ELS4_3ELS4_3ELNS0_20block_scan_algorithmE0ELj4294967295EEENS1_25partition_config_selectorILNS1_17partition_subalgoE3EjNS0_10empty_typeEbEEZZNS1_14partition_implILS8_3ELb0ES6_jNS0_17counting_iteratorIjlEEPS9_SE_NS0_5tupleIJPjSE_EEENSF_IJSE_SE_EEES9_SG_JZNS1_25segmented_radix_sort_implINS0_14default_configELb0EPK6__halfPSL_PKlPlN2at6native12_GLOBAL__N_18offset_tEEE10hipError_tPvRmT1_PNSt15iterator_traitsISZ_E10value_typeET2_T3_PNS10_IS15_E10value_typeET4_jRbjT5_S1B_jjP12ihipStream_tbEUljE_EEESW_SX_SY_S15_S19_S1B_T6_T7_T9_mT8_S1D_bDpT10_ENKUlT_T0_E_clISt17integral_constantIbLb1EES1P_IbLb0EEEEDaS1L_S1M_EUlS1L_E_NS1_11comp_targetILNS1_3genE0ELNS1_11target_archE4294967295ELNS1_3gpuE0ELNS1_3repE0EEENS1_30default_config_static_selectorELNS0_4arch9wavefront6targetE0EEEvSZ_,"axG",@progbits,_ZN7rocprim17ROCPRIM_400000_NS6detail17trampoline_kernelINS0_13select_configILj256ELj13ELNS0_17block_load_methodE3ELS4_3ELS4_3ELNS0_20block_scan_algorithmE0ELj4294967295EEENS1_25partition_config_selectorILNS1_17partition_subalgoE3EjNS0_10empty_typeEbEEZZNS1_14partition_implILS8_3ELb0ES6_jNS0_17counting_iteratorIjlEEPS9_SE_NS0_5tupleIJPjSE_EEENSF_IJSE_SE_EEES9_SG_JZNS1_25segmented_radix_sort_implINS0_14default_configELb0EPK6__halfPSL_PKlPlN2at6native12_GLOBAL__N_18offset_tEEE10hipError_tPvRmT1_PNSt15iterator_traitsISZ_E10value_typeET2_T3_PNS10_IS15_E10value_typeET4_jRbjT5_S1B_jjP12ihipStream_tbEUljE_EEESW_SX_SY_S15_S19_S1B_T6_T7_T9_mT8_S1D_bDpT10_ENKUlT_T0_E_clISt17integral_constantIbLb1EES1P_IbLb0EEEEDaS1L_S1M_EUlS1L_E_NS1_11comp_targetILNS1_3genE0ELNS1_11target_archE4294967295ELNS1_3gpuE0ELNS1_3repE0EEENS1_30default_config_static_selectorELNS0_4arch9wavefront6targetE0EEEvSZ_,comdat
.Lfunc_end1826:
	.size	_ZN7rocprim17ROCPRIM_400000_NS6detail17trampoline_kernelINS0_13select_configILj256ELj13ELNS0_17block_load_methodE3ELS4_3ELS4_3ELNS0_20block_scan_algorithmE0ELj4294967295EEENS1_25partition_config_selectorILNS1_17partition_subalgoE3EjNS0_10empty_typeEbEEZZNS1_14partition_implILS8_3ELb0ES6_jNS0_17counting_iteratorIjlEEPS9_SE_NS0_5tupleIJPjSE_EEENSF_IJSE_SE_EEES9_SG_JZNS1_25segmented_radix_sort_implINS0_14default_configELb0EPK6__halfPSL_PKlPlN2at6native12_GLOBAL__N_18offset_tEEE10hipError_tPvRmT1_PNSt15iterator_traitsISZ_E10value_typeET2_T3_PNS10_IS15_E10value_typeET4_jRbjT5_S1B_jjP12ihipStream_tbEUljE_EEESW_SX_SY_S15_S19_S1B_T6_T7_T9_mT8_S1D_bDpT10_ENKUlT_T0_E_clISt17integral_constantIbLb1EES1P_IbLb0EEEEDaS1L_S1M_EUlS1L_E_NS1_11comp_targetILNS1_3genE0ELNS1_11target_archE4294967295ELNS1_3gpuE0ELNS1_3repE0EEENS1_30default_config_static_selectorELNS0_4arch9wavefront6targetE0EEEvSZ_, .Lfunc_end1826-_ZN7rocprim17ROCPRIM_400000_NS6detail17trampoline_kernelINS0_13select_configILj256ELj13ELNS0_17block_load_methodE3ELS4_3ELS4_3ELNS0_20block_scan_algorithmE0ELj4294967295EEENS1_25partition_config_selectorILNS1_17partition_subalgoE3EjNS0_10empty_typeEbEEZZNS1_14partition_implILS8_3ELb0ES6_jNS0_17counting_iteratorIjlEEPS9_SE_NS0_5tupleIJPjSE_EEENSF_IJSE_SE_EEES9_SG_JZNS1_25segmented_radix_sort_implINS0_14default_configELb0EPK6__halfPSL_PKlPlN2at6native12_GLOBAL__N_18offset_tEEE10hipError_tPvRmT1_PNSt15iterator_traitsISZ_E10value_typeET2_T3_PNS10_IS15_E10value_typeET4_jRbjT5_S1B_jjP12ihipStream_tbEUljE_EEESW_SX_SY_S15_S19_S1B_T6_T7_T9_mT8_S1D_bDpT10_ENKUlT_T0_E_clISt17integral_constantIbLb1EES1P_IbLb0EEEEDaS1L_S1M_EUlS1L_E_NS1_11comp_targetILNS1_3genE0ELNS1_11target_archE4294967295ELNS1_3gpuE0ELNS1_3repE0EEENS1_30default_config_static_selectorELNS0_4arch9wavefront6targetE0EEEvSZ_
                                        ; -- End function
	.section	.AMDGPU.csdata,"",@progbits
; Kernel info:
; codeLenInByte = 0
; NumSgprs: 0
; NumVgprs: 0
; ScratchSize: 0
; MemoryBound: 0
; FloatMode: 240
; IeeeMode: 1
; LDSByteSize: 0 bytes/workgroup (compile time only)
; SGPRBlocks: 0
; VGPRBlocks: 0
; NumSGPRsForWavesPerEU: 1
; NumVGPRsForWavesPerEU: 1
; Occupancy: 16
; WaveLimiterHint : 0
; COMPUTE_PGM_RSRC2:SCRATCH_EN: 0
; COMPUTE_PGM_RSRC2:USER_SGPR: 15
; COMPUTE_PGM_RSRC2:TRAP_HANDLER: 0
; COMPUTE_PGM_RSRC2:TGID_X_EN: 1
; COMPUTE_PGM_RSRC2:TGID_Y_EN: 0
; COMPUTE_PGM_RSRC2:TGID_Z_EN: 0
; COMPUTE_PGM_RSRC2:TIDIG_COMP_CNT: 0
	.section	.text._ZN7rocprim17ROCPRIM_400000_NS6detail17trampoline_kernelINS0_13select_configILj256ELj13ELNS0_17block_load_methodE3ELS4_3ELS4_3ELNS0_20block_scan_algorithmE0ELj4294967295EEENS1_25partition_config_selectorILNS1_17partition_subalgoE3EjNS0_10empty_typeEbEEZZNS1_14partition_implILS8_3ELb0ES6_jNS0_17counting_iteratorIjlEEPS9_SE_NS0_5tupleIJPjSE_EEENSF_IJSE_SE_EEES9_SG_JZNS1_25segmented_radix_sort_implINS0_14default_configELb0EPK6__halfPSL_PKlPlN2at6native12_GLOBAL__N_18offset_tEEE10hipError_tPvRmT1_PNSt15iterator_traitsISZ_E10value_typeET2_T3_PNS10_IS15_E10value_typeET4_jRbjT5_S1B_jjP12ihipStream_tbEUljE_EEESW_SX_SY_S15_S19_S1B_T6_T7_T9_mT8_S1D_bDpT10_ENKUlT_T0_E_clISt17integral_constantIbLb1EES1P_IbLb0EEEEDaS1L_S1M_EUlS1L_E_NS1_11comp_targetILNS1_3genE5ELNS1_11target_archE942ELNS1_3gpuE9ELNS1_3repE0EEENS1_30default_config_static_selectorELNS0_4arch9wavefront6targetE0EEEvSZ_,"axG",@progbits,_ZN7rocprim17ROCPRIM_400000_NS6detail17trampoline_kernelINS0_13select_configILj256ELj13ELNS0_17block_load_methodE3ELS4_3ELS4_3ELNS0_20block_scan_algorithmE0ELj4294967295EEENS1_25partition_config_selectorILNS1_17partition_subalgoE3EjNS0_10empty_typeEbEEZZNS1_14partition_implILS8_3ELb0ES6_jNS0_17counting_iteratorIjlEEPS9_SE_NS0_5tupleIJPjSE_EEENSF_IJSE_SE_EEES9_SG_JZNS1_25segmented_radix_sort_implINS0_14default_configELb0EPK6__halfPSL_PKlPlN2at6native12_GLOBAL__N_18offset_tEEE10hipError_tPvRmT1_PNSt15iterator_traitsISZ_E10value_typeET2_T3_PNS10_IS15_E10value_typeET4_jRbjT5_S1B_jjP12ihipStream_tbEUljE_EEESW_SX_SY_S15_S19_S1B_T6_T7_T9_mT8_S1D_bDpT10_ENKUlT_T0_E_clISt17integral_constantIbLb1EES1P_IbLb0EEEEDaS1L_S1M_EUlS1L_E_NS1_11comp_targetILNS1_3genE5ELNS1_11target_archE942ELNS1_3gpuE9ELNS1_3repE0EEENS1_30default_config_static_selectorELNS0_4arch9wavefront6targetE0EEEvSZ_,comdat
	.globl	_ZN7rocprim17ROCPRIM_400000_NS6detail17trampoline_kernelINS0_13select_configILj256ELj13ELNS0_17block_load_methodE3ELS4_3ELS4_3ELNS0_20block_scan_algorithmE0ELj4294967295EEENS1_25partition_config_selectorILNS1_17partition_subalgoE3EjNS0_10empty_typeEbEEZZNS1_14partition_implILS8_3ELb0ES6_jNS0_17counting_iteratorIjlEEPS9_SE_NS0_5tupleIJPjSE_EEENSF_IJSE_SE_EEES9_SG_JZNS1_25segmented_radix_sort_implINS0_14default_configELb0EPK6__halfPSL_PKlPlN2at6native12_GLOBAL__N_18offset_tEEE10hipError_tPvRmT1_PNSt15iterator_traitsISZ_E10value_typeET2_T3_PNS10_IS15_E10value_typeET4_jRbjT5_S1B_jjP12ihipStream_tbEUljE_EEESW_SX_SY_S15_S19_S1B_T6_T7_T9_mT8_S1D_bDpT10_ENKUlT_T0_E_clISt17integral_constantIbLb1EES1P_IbLb0EEEEDaS1L_S1M_EUlS1L_E_NS1_11comp_targetILNS1_3genE5ELNS1_11target_archE942ELNS1_3gpuE9ELNS1_3repE0EEENS1_30default_config_static_selectorELNS0_4arch9wavefront6targetE0EEEvSZ_ ; -- Begin function _ZN7rocprim17ROCPRIM_400000_NS6detail17trampoline_kernelINS0_13select_configILj256ELj13ELNS0_17block_load_methodE3ELS4_3ELS4_3ELNS0_20block_scan_algorithmE0ELj4294967295EEENS1_25partition_config_selectorILNS1_17partition_subalgoE3EjNS0_10empty_typeEbEEZZNS1_14partition_implILS8_3ELb0ES6_jNS0_17counting_iteratorIjlEEPS9_SE_NS0_5tupleIJPjSE_EEENSF_IJSE_SE_EEES9_SG_JZNS1_25segmented_radix_sort_implINS0_14default_configELb0EPK6__halfPSL_PKlPlN2at6native12_GLOBAL__N_18offset_tEEE10hipError_tPvRmT1_PNSt15iterator_traitsISZ_E10value_typeET2_T3_PNS10_IS15_E10value_typeET4_jRbjT5_S1B_jjP12ihipStream_tbEUljE_EEESW_SX_SY_S15_S19_S1B_T6_T7_T9_mT8_S1D_bDpT10_ENKUlT_T0_E_clISt17integral_constantIbLb1EES1P_IbLb0EEEEDaS1L_S1M_EUlS1L_E_NS1_11comp_targetILNS1_3genE5ELNS1_11target_archE942ELNS1_3gpuE9ELNS1_3repE0EEENS1_30default_config_static_selectorELNS0_4arch9wavefront6targetE0EEEvSZ_
	.p2align	8
	.type	_ZN7rocprim17ROCPRIM_400000_NS6detail17trampoline_kernelINS0_13select_configILj256ELj13ELNS0_17block_load_methodE3ELS4_3ELS4_3ELNS0_20block_scan_algorithmE0ELj4294967295EEENS1_25partition_config_selectorILNS1_17partition_subalgoE3EjNS0_10empty_typeEbEEZZNS1_14partition_implILS8_3ELb0ES6_jNS0_17counting_iteratorIjlEEPS9_SE_NS0_5tupleIJPjSE_EEENSF_IJSE_SE_EEES9_SG_JZNS1_25segmented_radix_sort_implINS0_14default_configELb0EPK6__halfPSL_PKlPlN2at6native12_GLOBAL__N_18offset_tEEE10hipError_tPvRmT1_PNSt15iterator_traitsISZ_E10value_typeET2_T3_PNS10_IS15_E10value_typeET4_jRbjT5_S1B_jjP12ihipStream_tbEUljE_EEESW_SX_SY_S15_S19_S1B_T6_T7_T9_mT8_S1D_bDpT10_ENKUlT_T0_E_clISt17integral_constantIbLb1EES1P_IbLb0EEEEDaS1L_S1M_EUlS1L_E_NS1_11comp_targetILNS1_3genE5ELNS1_11target_archE942ELNS1_3gpuE9ELNS1_3repE0EEENS1_30default_config_static_selectorELNS0_4arch9wavefront6targetE0EEEvSZ_,@function
_ZN7rocprim17ROCPRIM_400000_NS6detail17trampoline_kernelINS0_13select_configILj256ELj13ELNS0_17block_load_methodE3ELS4_3ELS4_3ELNS0_20block_scan_algorithmE0ELj4294967295EEENS1_25partition_config_selectorILNS1_17partition_subalgoE3EjNS0_10empty_typeEbEEZZNS1_14partition_implILS8_3ELb0ES6_jNS0_17counting_iteratorIjlEEPS9_SE_NS0_5tupleIJPjSE_EEENSF_IJSE_SE_EEES9_SG_JZNS1_25segmented_radix_sort_implINS0_14default_configELb0EPK6__halfPSL_PKlPlN2at6native12_GLOBAL__N_18offset_tEEE10hipError_tPvRmT1_PNSt15iterator_traitsISZ_E10value_typeET2_T3_PNS10_IS15_E10value_typeET4_jRbjT5_S1B_jjP12ihipStream_tbEUljE_EEESW_SX_SY_S15_S19_S1B_T6_T7_T9_mT8_S1D_bDpT10_ENKUlT_T0_E_clISt17integral_constantIbLb1EES1P_IbLb0EEEEDaS1L_S1M_EUlS1L_E_NS1_11comp_targetILNS1_3genE5ELNS1_11target_archE942ELNS1_3gpuE9ELNS1_3repE0EEENS1_30default_config_static_selectorELNS0_4arch9wavefront6targetE0EEEvSZ_: ; @_ZN7rocprim17ROCPRIM_400000_NS6detail17trampoline_kernelINS0_13select_configILj256ELj13ELNS0_17block_load_methodE3ELS4_3ELS4_3ELNS0_20block_scan_algorithmE0ELj4294967295EEENS1_25partition_config_selectorILNS1_17partition_subalgoE3EjNS0_10empty_typeEbEEZZNS1_14partition_implILS8_3ELb0ES6_jNS0_17counting_iteratorIjlEEPS9_SE_NS0_5tupleIJPjSE_EEENSF_IJSE_SE_EEES9_SG_JZNS1_25segmented_radix_sort_implINS0_14default_configELb0EPK6__halfPSL_PKlPlN2at6native12_GLOBAL__N_18offset_tEEE10hipError_tPvRmT1_PNSt15iterator_traitsISZ_E10value_typeET2_T3_PNS10_IS15_E10value_typeET4_jRbjT5_S1B_jjP12ihipStream_tbEUljE_EEESW_SX_SY_S15_S19_S1B_T6_T7_T9_mT8_S1D_bDpT10_ENKUlT_T0_E_clISt17integral_constantIbLb1EES1P_IbLb0EEEEDaS1L_S1M_EUlS1L_E_NS1_11comp_targetILNS1_3genE5ELNS1_11target_archE942ELNS1_3gpuE9ELNS1_3repE0EEENS1_30default_config_static_selectorELNS0_4arch9wavefront6targetE0EEEvSZ_
; %bb.0:
	.section	.rodata,"a",@progbits
	.p2align	6, 0x0
	.amdhsa_kernel _ZN7rocprim17ROCPRIM_400000_NS6detail17trampoline_kernelINS0_13select_configILj256ELj13ELNS0_17block_load_methodE3ELS4_3ELS4_3ELNS0_20block_scan_algorithmE0ELj4294967295EEENS1_25partition_config_selectorILNS1_17partition_subalgoE3EjNS0_10empty_typeEbEEZZNS1_14partition_implILS8_3ELb0ES6_jNS0_17counting_iteratorIjlEEPS9_SE_NS0_5tupleIJPjSE_EEENSF_IJSE_SE_EEES9_SG_JZNS1_25segmented_radix_sort_implINS0_14default_configELb0EPK6__halfPSL_PKlPlN2at6native12_GLOBAL__N_18offset_tEEE10hipError_tPvRmT1_PNSt15iterator_traitsISZ_E10value_typeET2_T3_PNS10_IS15_E10value_typeET4_jRbjT5_S1B_jjP12ihipStream_tbEUljE_EEESW_SX_SY_S15_S19_S1B_T6_T7_T9_mT8_S1D_bDpT10_ENKUlT_T0_E_clISt17integral_constantIbLb1EES1P_IbLb0EEEEDaS1L_S1M_EUlS1L_E_NS1_11comp_targetILNS1_3genE5ELNS1_11target_archE942ELNS1_3gpuE9ELNS1_3repE0EEENS1_30default_config_static_selectorELNS0_4arch9wavefront6targetE0EEEvSZ_
		.amdhsa_group_segment_fixed_size 0
		.amdhsa_private_segment_fixed_size 0
		.amdhsa_kernarg_size 144
		.amdhsa_user_sgpr_count 15
		.amdhsa_user_sgpr_dispatch_ptr 0
		.amdhsa_user_sgpr_queue_ptr 0
		.amdhsa_user_sgpr_kernarg_segment_ptr 1
		.amdhsa_user_sgpr_dispatch_id 0
		.amdhsa_user_sgpr_private_segment_size 0
		.amdhsa_wavefront_size32 1
		.amdhsa_uses_dynamic_stack 0
		.amdhsa_enable_private_segment 0
		.amdhsa_system_sgpr_workgroup_id_x 1
		.amdhsa_system_sgpr_workgroup_id_y 0
		.amdhsa_system_sgpr_workgroup_id_z 0
		.amdhsa_system_sgpr_workgroup_info 0
		.amdhsa_system_vgpr_workitem_id 0
		.amdhsa_next_free_vgpr 1
		.amdhsa_next_free_sgpr 1
		.amdhsa_reserve_vcc 0
		.amdhsa_float_round_mode_32 0
		.amdhsa_float_round_mode_16_64 0
		.amdhsa_float_denorm_mode_32 3
		.amdhsa_float_denorm_mode_16_64 3
		.amdhsa_dx10_clamp 1
		.amdhsa_ieee_mode 1
		.amdhsa_fp16_overflow 0
		.amdhsa_workgroup_processor_mode 1
		.amdhsa_memory_ordered 1
		.amdhsa_forward_progress 0
		.amdhsa_shared_vgpr_count 0
		.amdhsa_exception_fp_ieee_invalid_op 0
		.amdhsa_exception_fp_denorm_src 0
		.amdhsa_exception_fp_ieee_div_zero 0
		.amdhsa_exception_fp_ieee_overflow 0
		.amdhsa_exception_fp_ieee_underflow 0
		.amdhsa_exception_fp_ieee_inexact 0
		.amdhsa_exception_int_div_zero 0
	.end_amdhsa_kernel
	.section	.text._ZN7rocprim17ROCPRIM_400000_NS6detail17trampoline_kernelINS0_13select_configILj256ELj13ELNS0_17block_load_methodE3ELS4_3ELS4_3ELNS0_20block_scan_algorithmE0ELj4294967295EEENS1_25partition_config_selectorILNS1_17partition_subalgoE3EjNS0_10empty_typeEbEEZZNS1_14partition_implILS8_3ELb0ES6_jNS0_17counting_iteratorIjlEEPS9_SE_NS0_5tupleIJPjSE_EEENSF_IJSE_SE_EEES9_SG_JZNS1_25segmented_radix_sort_implINS0_14default_configELb0EPK6__halfPSL_PKlPlN2at6native12_GLOBAL__N_18offset_tEEE10hipError_tPvRmT1_PNSt15iterator_traitsISZ_E10value_typeET2_T3_PNS10_IS15_E10value_typeET4_jRbjT5_S1B_jjP12ihipStream_tbEUljE_EEESW_SX_SY_S15_S19_S1B_T6_T7_T9_mT8_S1D_bDpT10_ENKUlT_T0_E_clISt17integral_constantIbLb1EES1P_IbLb0EEEEDaS1L_S1M_EUlS1L_E_NS1_11comp_targetILNS1_3genE5ELNS1_11target_archE942ELNS1_3gpuE9ELNS1_3repE0EEENS1_30default_config_static_selectorELNS0_4arch9wavefront6targetE0EEEvSZ_,"axG",@progbits,_ZN7rocprim17ROCPRIM_400000_NS6detail17trampoline_kernelINS0_13select_configILj256ELj13ELNS0_17block_load_methodE3ELS4_3ELS4_3ELNS0_20block_scan_algorithmE0ELj4294967295EEENS1_25partition_config_selectorILNS1_17partition_subalgoE3EjNS0_10empty_typeEbEEZZNS1_14partition_implILS8_3ELb0ES6_jNS0_17counting_iteratorIjlEEPS9_SE_NS0_5tupleIJPjSE_EEENSF_IJSE_SE_EEES9_SG_JZNS1_25segmented_radix_sort_implINS0_14default_configELb0EPK6__halfPSL_PKlPlN2at6native12_GLOBAL__N_18offset_tEEE10hipError_tPvRmT1_PNSt15iterator_traitsISZ_E10value_typeET2_T3_PNS10_IS15_E10value_typeET4_jRbjT5_S1B_jjP12ihipStream_tbEUljE_EEESW_SX_SY_S15_S19_S1B_T6_T7_T9_mT8_S1D_bDpT10_ENKUlT_T0_E_clISt17integral_constantIbLb1EES1P_IbLb0EEEEDaS1L_S1M_EUlS1L_E_NS1_11comp_targetILNS1_3genE5ELNS1_11target_archE942ELNS1_3gpuE9ELNS1_3repE0EEENS1_30default_config_static_selectorELNS0_4arch9wavefront6targetE0EEEvSZ_,comdat
.Lfunc_end1827:
	.size	_ZN7rocprim17ROCPRIM_400000_NS6detail17trampoline_kernelINS0_13select_configILj256ELj13ELNS0_17block_load_methodE3ELS4_3ELS4_3ELNS0_20block_scan_algorithmE0ELj4294967295EEENS1_25partition_config_selectorILNS1_17partition_subalgoE3EjNS0_10empty_typeEbEEZZNS1_14partition_implILS8_3ELb0ES6_jNS0_17counting_iteratorIjlEEPS9_SE_NS0_5tupleIJPjSE_EEENSF_IJSE_SE_EEES9_SG_JZNS1_25segmented_radix_sort_implINS0_14default_configELb0EPK6__halfPSL_PKlPlN2at6native12_GLOBAL__N_18offset_tEEE10hipError_tPvRmT1_PNSt15iterator_traitsISZ_E10value_typeET2_T3_PNS10_IS15_E10value_typeET4_jRbjT5_S1B_jjP12ihipStream_tbEUljE_EEESW_SX_SY_S15_S19_S1B_T6_T7_T9_mT8_S1D_bDpT10_ENKUlT_T0_E_clISt17integral_constantIbLb1EES1P_IbLb0EEEEDaS1L_S1M_EUlS1L_E_NS1_11comp_targetILNS1_3genE5ELNS1_11target_archE942ELNS1_3gpuE9ELNS1_3repE0EEENS1_30default_config_static_selectorELNS0_4arch9wavefront6targetE0EEEvSZ_, .Lfunc_end1827-_ZN7rocprim17ROCPRIM_400000_NS6detail17trampoline_kernelINS0_13select_configILj256ELj13ELNS0_17block_load_methodE3ELS4_3ELS4_3ELNS0_20block_scan_algorithmE0ELj4294967295EEENS1_25partition_config_selectorILNS1_17partition_subalgoE3EjNS0_10empty_typeEbEEZZNS1_14partition_implILS8_3ELb0ES6_jNS0_17counting_iteratorIjlEEPS9_SE_NS0_5tupleIJPjSE_EEENSF_IJSE_SE_EEES9_SG_JZNS1_25segmented_radix_sort_implINS0_14default_configELb0EPK6__halfPSL_PKlPlN2at6native12_GLOBAL__N_18offset_tEEE10hipError_tPvRmT1_PNSt15iterator_traitsISZ_E10value_typeET2_T3_PNS10_IS15_E10value_typeET4_jRbjT5_S1B_jjP12ihipStream_tbEUljE_EEESW_SX_SY_S15_S19_S1B_T6_T7_T9_mT8_S1D_bDpT10_ENKUlT_T0_E_clISt17integral_constantIbLb1EES1P_IbLb0EEEEDaS1L_S1M_EUlS1L_E_NS1_11comp_targetILNS1_3genE5ELNS1_11target_archE942ELNS1_3gpuE9ELNS1_3repE0EEENS1_30default_config_static_selectorELNS0_4arch9wavefront6targetE0EEEvSZ_
                                        ; -- End function
	.section	.AMDGPU.csdata,"",@progbits
; Kernel info:
; codeLenInByte = 0
; NumSgprs: 0
; NumVgprs: 0
; ScratchSize: 0
; MemoryBound: 0
; FloatMode: 240
; IeeeMode: 1
; LDSByteSize: 0 bytes/workgroup (compile time only)
; SGPRBlocks: 0
; VGPRBlocks: 0
; NumSGPRsForWavesPerEU: 1
; NumVGPRsForWavesPerEU: 1
; Occupancy: 16
; WaveLimiterHint : 0
; COMPUTE_PGM_RSRC2:SCRATCH_EN: 0
; COMPUTE_PGM_RSRC2:USER_SGPR: 15
; COMPUTE_PGM_RSRC2:TRAP_HANDLER: 0
; COMPUTE_PGM_RSRC2:TGID_X_EN: 1
; COMPUTE_PGM_RSRC2:TGID_Y_EN: 0
; COMPUTE_PGM_RSRC2:TGID_Z_EN: 0
; COMPUTE_PGM_RSRC2:TIDIG_COMP_CNT: 0
	.section	.text._ZN7rocprim17ROCPRIM_400000_NS6detail17trampoline_kernelINS0_13select_configILj256ELj13ELNS0_17block_load_methodE3ELS4_3ELS4_3ELNS0_20block_scan_algorithmE0ELj4294967295EEENS1_25partition_config_selectorILNS1_17partition_subalgoE3EjNS0_10empty_typeEbEEZZNS1_14partition_implILS8_3ELb0ES6_jNS0_17counting_iteratorIjlEEPS9_SE_NS0_5tupleIJPjSE_EEENSF_IJSE_SE_EEES9_SG_JZNS1_25segmented_radix_sort_implINS0_14default_configELb0EPK6__halfPSL_PKlPlN2at6native12_GLOBAL__N_18offset_tEEE10hipError_tPvRmT1_PNSt15iterator_traitsISZ_E10value_typeET2_T3_PNS10_IS15_E10value_typeET4_jRbjT5_S1B_jjP12ihipStream_tbEUljE_EEESW_SX_SY_S15_S19_S1B_T6_T7_T9_mT8_S1D_bDpT10_ENKUlT_T0_E_clISt17integral_constantIbLb1EES1P_IbLb0EEEEDaS1L_S1M_EUlS1L_E_NS1_11comp_targetILNS1_3genE4ELNS1_11target_archE910ELNS1_3gpuE8ELNS1_3repE0EEENS1_30default_config_static_selectorELNS0_4arch9wavefront6targetE0EEEvSZ_,"axG",@progbits,_ZN7rocprim17ROCPRIM_400000_NS6detail17trampoline_kernelINS0_13select_configILj256ELj13ELNS0_17block_load_methodE3ELS4_3ELS4_3ELNS0_20block_scan_algorithmE0ELj4294967295EEENS1_25partition_config_selectorILNS1_17partition_subalgoE3EjNS0_10empty_typeEbEEZZNS1_14partition_implILS8_3ELb0ES6_jNS0_17counting_iteratorIjlEEPS9_SE_NS0_5tupleIJPjSE_EEENSF_IJSE_SE_EEES9_SG_JZNS1_25segmented_radix_sort_implINS0_14default_configELb0EPK6__halfPSL_PKlPlN2at6native12_GLOBAL__N_18offset_tEEE10hipError_tPvRmT1_PNSt15iterator_traitsISZ_E10value_typeET2_T3_PNS10_IS15_E10value_typeET4_jRbjT5_S1B_jjP12ihipStream_tbEUljE_EEESW_SX_SY_S15_S19_S1B_T6_T7_T9_mT8_S1D_bDpT10_ENKUlT_T0_E_clISt17integral_constantIbLb1EES1P_IbLb0EEEEDaS1L_S1M_EUlS1L_E_NS1_11comp_targetILNS1_3genE4ELNS1_11target_archE910ELNS1_3gpuE8ELNS1_3repE0EEENS1_30default_config_static_selectorELNS0_4arch9wavefront6targetE0EEEvSZ_,comdat
	.globl	_ZN7rocprim17ROCPRIM_400000_NS6detail17trampoline_kernelINS0_13select_configILj256ELj13ELNS0_17block_load_methodE3ELS4_3ELS4_3ELNS0_20block_scan_algorithmE0ELj4294967295EEENS1_25partition_config_selectorILNS1_17partition_subalgoE3EjNS0_10empty_typeEbEEZZNS1_14partition_implILS8_3ELb0ES6_jNS0_17counting_iteratorIjlEEPS9_SE_NS0_5tupleIJPjSE_EEENSF_IJSE_SE_EEES9_SG_JZNS1_25segmented_radix_sort_implINS0_14default_configELb0EPK6__halfPSL_PKlPlN2at6native12_GLOBAL__N_18offset_tEEE10hipError_tPvRmT1_PNSt15iterator_traitsISZ_E10value_typeET2_T3_PNS10_IS15_E10value_typeET4_jRbjT5_S1B_jjP12ihipStream_tbEUljE_EEESW_SX_SY_S15_S19_S1B_T6_T7_T9_mT8_S1D_bDpT10_ENKUlT_T0_E_clISt17integral_constantIbLb1EES1P_IbLb0EEEEDaS1L_S1M_EUlS1L_E_NS1_11comp_targetILNS1_3genE4ELNS1_11target_archE910ELNS1_3gpuE8ELNS1_3repE0EEENS1_30default_config_static_selectorELNS0_4arch9wavefront6targetE0EEEvSZ_ ; -- Begin function _ZN7rocprim17ROCPRIM_400000_NS6detail17trampoline_kernelINS0_13select_configILj256ELj13ELNS0_17block_load_methodE3ELS4_3ELS4_3ELNS0_20block_scan_algorithmE0ELj4294967295EEENS1_25partition_config_selectorILNS1_17partition_subalgoE3EjNS0_10empty_typeEbEEZZNS1_14partition_implILS8_3ELb0ES6_jNS0_17counting_iteratorIjlEEPS9_SE_NS0_5tupleIJPjSE_EEENSF_IJSE_SE_EEES9_SG_JZNS1_25segmented_radix_sort_implINS0_14default_configELb0EPK6__halfPSL_PKlPlN2at6native12_GLOBAL__N_18offset_tEEE10hipError_tPvRmT1_PNSt15iterator_traitsISZ_E10value_typeET2_T3_PNS10_IS15_E10value_typeET4_jRbjT5_S1B_jjP12ihipStream_tbEUljE_EEESW_SX_SY_S15_S19_S1B_T6_T7_T9_mT8_S1D_bDpT10_ENKUlT_T0_E_clISt17integral_constantIbLb1EES1P_IbLb0EEEEDaS1L_S1M_EUlS1L_E_NS1_11comp_targetILNS1_3genE4ELNS1_11target_archE910ELNS1_3gpuE8ELNS1_3repE0EEENS1_30default_config_static_selectorELNS0_4arch9wavefront6targetE0EEEvSZ_
	.p2align	8
	.type	_ZN7rocprim17ROCPRIM_400000_NS6detail17trampoline_kernelINS0_13select_configILj256ELj13ELNS0_17block_load_methodE3ELS4_3ELS4_3ELNS0_20block_scan_algorithmE0ELj4294967295EEENS1_25partition_config_selectorILNS1_17partition_subalgoE3EjNS0_10empty_typeEbEEZZNS1_14partition_implILS8_3ELb0ES6_jNS0_17counting_iteratorIjlEEPS9_SE_NS0_5tupleIJPjSE_EEENSF_IJSE_SE_EEES9_SG_JZNS1_25segmented_radix_sort_implINS0_14default_configELb0EPK6__halfPSL_PKlPlN2at6native12_GLOBAL__N_18offset_tEEE10hipError_tPvRmT1_PNSt15iterator_traitsISZ_E10value_typeET2_T3_PNS10_IS15_E10value_typeET4_jRbjT5_S1B_jjP12ihipStream_tbEUljE_EEESW_SX_SY_S15_S19_S1B_T6_T7_T9_mT8_S1D_bDpT10_ENKUlT_T0_E_clISt17integral_constantIbLb1EES1P_IbLb0EEEEDaS1L_S1M_EUlS1L_E_NS1_11comp_targetILNS1_3genE4ELNS1_11target_archE910ELNS1_3gpuE8ELNS1_3repE0EEENS1_30default_config_static_selectorELNS0_4arch9wavefront6targetE0EEEvSZ_,@function
_ZN7rocprim17ROCPRIM_400000_NS6detail17trampoline_kernelINS0_13select_configILj256ELj13ELNS0_17block_load_methodE3ELS4_3ELS4_3ELNS0_20block_scan_algorithmE0ELj4294967295EEENS1_25partition_config_selectorILNS1_17partition_subalgoE3EjNS0_10empty_typeEbEEZZNS1_14partition_implILS8_3ELb0ES6_jNS0_17counting_iteratorIjlEEPS9_SE_NS0_5tupleIJPjSE_EEENSF_IJSE_SE_EEES9_SG_JZNS1_25segmented_radix_sort_implINS0_14default_configELb0EPK6__halfPSL_PKlPlN2at6native12_GLOBAL__N_18offset_tEEE10hipError_tPvRmT1_PNSt15iterator_traitsISZ_E10value_typeET2_T3_PNS10_IS15_E10value_typeET4_jRbjT5_S1B_jjP12ihipStream_tbEUljE_EEESW_SX_SY_S15_S19_S1B_T6_T7_T9_mT8_S1D_bDpT10_ENKUlT_T0_E_clISt17integral_constantIbLb1EES1P_IbLb0EEEEDaS1L_S1M_EUlS1L_E_NS1_11comp_targetILNS1_3genE4ELNS1_11target_archE910ELNS1_3gpuE8ELNS1_3repE0EEENS1_30default_config_static_selectorELNS0_4arch9wavefront6targetE0EEEvSZ_: ; @_ZN7rocprim17ROCPRIM_400000_NS6detail17trampoline_kernelINS0_13select_configILj256ELj13ELNS0_17block_load_methodE3ELS4_3ELS4_3ELNS0_20block_scan_algorithmE0ELj4294967295EEENS1_25partition_config_selectorILNS1_17partition_subalgoE3EjNS0_10empty_typeEbEEZZNS1_14partition_implILS8_3ELb0ES6_jNS0_17counting_iteratorIjlEEPS9_SE_NS0_5tupleIJPjSE_EEENSF_IJSE_SE_EEES9_SG_JZNS1_25segmented_radix_sort_implINS0_14default_configELb0EPK6__halfPSL_PKlPlN2at6native12_GLOBAL__N_18offset_tEEE10hipError_tPvRmT1_PNSt15iterator_traitsISZ_E10value_typeET2_T3_PNS10_IS15_E10value_typeET4_jRbjT5_S1B_jjP12ihipStream_tbEUljE_EEESW_SX_SY_S15_S19_S1B_T6_T7_T9_mT8_S1D_bDpT10_ENKUlT_T0_E_clISt17integral_constantIbLb1EES1P_IbLb0EEEEDaS1L_S1M_EUlS1L_E_NS1_11comp_targetILNS1_3genE4ELNS1_11target_archE910ELNS1_3gpuE8ELNS1_3repE0EEENS1_30default_config_static_selectorELNS0_4arch9wavefront6targetE0EEEvSZ_
; %bb.0:
	.section	.rodata,"a",@progbits
	.p2align	6, 0x0
	.amdhsa_kernel _ZN7rocprim17ROCPRIM_400000_NS6detail17trampoline_kernelINS0_13select_configILj256ELj13ELNS0_17block_load_methodE3ELS4_3ELS4_3ELNS0_20block_scan_algorithmE0ELj4294967295EEENS1_25partition_config_selectorILNS1_17partition_subalgoE3EjNS0_10empty_typeEbEEZZNS1_14partition_implILS8_3ELb0ES6_jNS0_17counting_iteratorIjlEEPS9_SE_NS0_5tupleIJPjSE_EEENSF_IJSE_SE_EEES9_SG_JZNS1_25segmented_radix_sort_implINS0_14default_configELb0EPK6__halfPSL_PKlPlN2at6native12_GLOBAL__N_18offset_tEEE10hipError_tPvRmT1_PNSt15iterator_traitsISZ_E10value_typeET2_T3_PNS10_IS15_E10value_typeET4_jRbjT5_S1B_jjP12ihipStream_tbEUljE_EEESW_SX_SY_S15_S19_S1B_T6_T7_T9_mT8_S1D_bDpT10_ENKUlT_T0_E_clISt17integral_constantIbLb1EES1P_IbLb0EEEEDaS1L_S1M_EUlS1L_E_NS1_11comp_targetILNS1_3genE4ELNS1_11target_archE910ELNS1_3gpuE8ELNS1_3repE0EEENS1_30default_config_static_selectorELNS0_4arch9wavefront6targetE0EEEvSZ_
		.amdhsa_group_segment_fixed_size 0
		.amdhsa_private_segment_fixed_size 0
		.amdhsa_kernarg_size 144
		.amdhsa_user_sgpr_count 15
		.amdhsa_user_sgpr_dispatch_ptr 0
		.amdhsa_user_sgpr_queue_ptr 0
		.amdhsa_user_sgpr_kernarg_segment_ptr 1
		.amdhsa_user_sgpr_dispatch_id 0
		.amdhsa_user_sgpr_private_segment_size 0
		.amdhsa_wavefront_size32 1
		.amdhsa_uses_dynamic_stack 0
		.amdhsa_enable_private_segment 0
		.amdhsa_system_sgpr_workgroup_id_x 1
		.amdhsa_system_sgpr_workgroup_id_y 0
		.amdhsa_system_sgpr_workgroup_id_z 0
		.amdhsa_system_sgpr_workgroup_info 0
		.amdhsa_system_vgpr_workitem_id 0
		.amdhsa_next_free_vgpr 1
		.amdhsa_next_free_sgpr 1
		.amdhsa_reserve_vcc 0
		.amdhsa_float_round_mode_32 0
		.amdhsa_float_round_mode_16_64 0
		.amdhsa_float_denorm_mode_32 3
		.amdhsa_float_denorm_mode_16_64 3
		.amdhsa_dx10_clamp 1
		.amdhsa_ieee_mode 1
		.amdhsa_fp16_overflow 0
		.amdhsa_workgroup_processor_mode 1
		.amdhsa_memory_ordered 1
		.amdhsa_forward_progress 0
		.amdhsa_shared_vgpr_count 0
		.amdhsa_exception_fp_ieee_invalid_op 0
		.amdhsa_exception_fp_denorm_src 0
		.amdhsa_exception_fp_ieee_div_zero 0
		.amdhsa_exception_fp_ieee_overflow 0
		.amdhsa_exception_fp_ieee_underflow 0
		.amdhsa_exception_fp_ieee_inexact 0
		.amdhsa_exception_int_div_zero 0
	.end_amdhsa_kernel
	.section	.text._ZN7rocprim17ROCPRIM_400000_NS6detail17trampoline_kernelINS0_13select_configILj256ELj13ELNS0_17block_load_methodE3ELS4_3ELS4_3ELNS0_20block_scan_algorithmE0ELj4294967295EEENS1_25partition_config_selectorILNS1_17partition_subalgoE3EjNS0_10empty_typeEbEEZZNS1_14partition_implILS8_3ELb0ES6_jNS0_17counting_iteratorIjlEEPS9_SE_NS0_5tupleIJPjSE_EEENSF_IJSE_SE_EEES9_SG_JZNS1_25segmented_radix_sort_implINS0_14default_configELb0EPK6__halfPSL_PKlPlN2at6native12_GLOBAL__N_18offset_tEEE10hipError_tPvRmT1_PNSt15iterator_traitsISZ_E10value_typeET2_T3_PNS10_IS15_E10value_typeET4_jRbjT5_S1B_jjP12ihipStream_tbEUljE_EEESW_SX_SY_S15_S19_S1B_T6_T7_T9_mT8_S1D_bDpT10_ENKUlT_T0_E_clISt17integral_constantIbLb1EES1P_IbLb0EEEEDaS1L_S1M_EUlS1L_E_NS1_11comp_targetILNS1_3genE4ELNS1_11target_archE910ELNS1_3gpuE8ELNS1_3repE0EEENS1_30default_config_static_selectorELNS0_4arch9wavefront6targetE0EEEvSZ_,"axG",@progbits,_ZN7rocprim17ROCPRIM_400000_NS6detail17trampoline_kernelINS0_13select_configILj256ELj13ELNS0_17block_load_methodE3ELS4_3ELS4_3ELNS0_20block_scan_algorithmE0ELj4294967295EEENS1_25partition_config_selectorILNS1_17partition_subalgoE3EjNS0_10empty_typeEbEEZZNS1_14partition_implILS8_3ELb0ES6_jNS0_17counting_iteratorIjlEEPS9_SE_NS0_5tupleIJPjSE_EEENSF_IJSE_SE_EEES9_SG_JZNS1_25segmented_radix_sort_implINS0_14default_configELb0EPK6__halfPSL_PKlPlN2at6native12_GLOBAL__N_18offset_tEEE10hipError_tPvRmT1_PNSt15iterator_traitsISZ_E10value_typeET2_T3_PNS10_IS15_E10value_typeET4_jRbjT5_S1B_jjP12ihipStream_tbEUljE_EEESW_SX_SY_S15_S19_S1B_T6_T7_T9_mT8_S1D_bDpT10_ENKUlT_T0_E_clISt17integral_constantIbLb1EES1P_IbLb0EEEEDaS1L_S1M_EUlS1L_E_NS1_11comp_targetILNS1_3genE4ELNS1_11target_archE910ELNS1_3gpuE8ELNS1_3repE0EEENS1_30default_config_static_selectorELNS0_4arch9wavefront6targetE0EEEvSZ_,comdat
.Lfunc_end1828:
	.size	_ZN7rocprim17ROCPRIM_400000_NS6detail17trampoline_kernelINS0_13select_configILj256ELj13ELNS0_17block_load_methodE3ELS4_3ELS4_3ELNS0_20block_scan_algorithmE0ELj4294967295EEENS1_25partition_config_selectorILNS1_17partition_subalgoE3EjNS0_10empty_typeEbEEZZNS1_14partition_implILS8_3ELb0ES6_jNS0_17counting_iteratorIjlEEPS9_SE_NS0_5tupleIJPjSE_EEENSF_IJSE_SE_EEES9_SG_JZNS1_25segmented_radix_sort_implINS0_14default_configELb0EPK6__halfPSL_PKlPlN2at6native12_GLOBAL__N_18offset_tEEE10hipError_tPvRmT1_PNSt15iterator_traitsISZ_E10value_typeET2_T3_PNS10_IS15_E10value_typeET4_jRbjT5_S1B_jjP12ihipStream_tbEUljE_EEESW_SX_SY_S15_S19_S1B_T6_T7_T9_mT8_S1D_bDpT10_ENKUlT_T0_E_clISt17integral_constantIbLb1EES1P_IbLb0EEEEDaS1L_S1M_EUlS1L_E_NS1_11comp_targetILNS1_3genE4ELNS1_11target_archE910ELNS1_3gpuE8ELNS1_3repE0EEENS1_30default_config_static_selectorELNS0_4arch9wavefront6targetE0EEEvSZ_, .Lfunc_end1828-_ZN7rocprim17ROCPRIM_400000_NS6detail17trampoline_kernelINS0_13select_configILj256ELj13ELNS0_17block_load_methodE3ELS4_3ELS4_3ELNS0_20block_scan_algorithmE0ELj4294967295EEENS1_25partition_config_selectorILNS1_17partition_subalgoE3EjNS0_10empty_typeEbEEZZNS1_14partition_implILS8_3ELb0ES6_jNS0_17counting_iteratorIjlEEPS9_SE_NS0_5tupleIJPjSE_EEENSF_IJSE_SE_EEES9_SG_JZNS1_25segmented_radix_sort_implINS0_14default_configELb0EPK6__halfPSL_PKlPlN2at6native12_GLOBAL__N_18offset_tEEE10hipError_tPvRmT1_PNSt15iterator_traitsISZ_E10value_typeET2_T3_PNS10_IS15_E10value_typeET4_jRbjT5_S1B_jjP12ihipStream_tbEUljE_EEESW_SX_SY_S15_S19_S1B_T6_T7_T9_mT8_S1D_bDpT10_ENKUlT_T0_E_clISt17integral_constantIbLb1EES1P_IbLb0EEEEDaS1L_S1M_EUlS1L_E_NS1_11comp_targetILNS1_3genE4ELNS1_11target_archE910ELNS1_3gpuE8ELNS1_3repE0EEENS1_30default_config_static_selectorELNS0_4arch9wavefront6targetE0EEEvSZ_
                                        ; -- End function
	.section	.AMDGPU.csdata,"",@progbits
; Kernel info:
; codeLenInByte = 0
; NumSgprs: 0
; NumVgprs: 0
; ScratchSize: 0
; MemoryBound: 0
; FloatMode: 240
; IeeeMode: 1
; LDSByteSize: 0 bytes/workgroup (compile time only)
; SGPRBlocks: 0
; VGPRBlocks: 0
; NumSGPRsForWavesPerEU: 1
; NumVGPRsForWavesPerEU: 1
; Occupancy: 16
; WaveLimiterHint : 0
; COMPUTE_PGM_RSRC2:SCRATCH_EN: 0
; COMPUTE_PGM_RSRC2:USER_SGPR: 15
; COMPUTE_PGM_RSRC2:TRAP_HANDLER: 0
; COMPUTE_PGM_RSRC2:TGID_X_EN: 1
; COMPUTE_PGM_RSRC2:TGID_Y_EN: 0
; COMPUTE_PGM_RSRC2:TGID_Z_EN: 0
; COMPUTE_PGM_RSRC2:TIDIG_COMP_CNT: 0
	.section	.text._ZN7rocprim17ROCPRIM_400000_NS6detail17trampoline_kernelINS0_13select_configILj256ELj13ELNS0_17block_load_methodE3ELS4_3ELS4_3ELNS0_20block_scan_algorithmE0ELj4294967295EEENS1_25partition_config_selectorILNS1_17partition_subalgoE3EjNS0_10empty_typeEbEEZZNS1_14partition_implILS8_3ELb0ES6_jNS0_17counting_iteratorIjlEEPS9_SE_NS0_5tupleIJPjSE_EEENSF_IJSE_SE_EEES9_SG_JZNS1_25segmented_radix_sort_implINS0_14default_configELb0EPK6__halfPSL_PKlPlN2at6native12_GLOBAL__N_18offset_tEEE10hipError_tPvRmT1_PNSt15iterator_traitsISZ_E10value_typeET2_T3_PNS10_IS15_E10value_typeET4_jRbjT5_S1B_jjP12ihipStream_tbEUljE_EEESW_SX_SY_S15_S19_S1B_T6_T7_T9_mT8_S1D_bDpT10_ENKUlT_T0_E_clISt17integral_constantIbLb1EES1P_IbLb0EEEEDaS1L_S1M_EUlS1L_E_NS1_11comp_targetILNS1_3genE3ELNS1_11target_archE908ELNS1_3gpuE7ELNS1_3repE0EEENS1_30default_config_static_selectorELNS0_4arch9wavefront6targetE0EEEvSZ_,"axG",@progbits,_ZN7rocprim17ROCPRIM_400000_NS6detail17trampoline_kernelINS0_13select_configILj256ELj13ELNS0_17block_load_methodE3ELS4_3ELS4_3ELNS0_20block_scan_algorithmE0ELj4294967295EEENS1_25partition_config_selectorILNS1_17partition_subalgoE3EjNS0_10empty_typeEbEEZZNS1_14partition_implILS8_3ELb0ES6_jNS0_17counting_iteratorIjlEEPS9_SE_NS0_5tupleIJPjSE_EEENSF_IJSE_SE_EEES9_SG_JZNS1_25segmented_radix_sort_implINS0_14default_configELb0EPK6__halfPSL_PKlPlN2at6native12_GLOBAL__N_18offset_tEEE10hipError_tPvRmT1_PNSt15iterator_traitsISZ_E10value_typeET2_T3_PNS10_IS15_E10value_typeET4_jRbjT5_S1B_jjP12ihipStream_tbEUljE_EEESW_SX_SY_S15_S19_S1B_T6_T7_T9_mT8_S1D_bDpT10_ENKUlT_T0_E_clISt17integral_constantIbLb1EES1P_IbLb0EEEEDaS1L_S1M_EUlS1L_E_NS1_11comp_targetILNS1_3genE3ELNS1_11target_archE908ELNS1_3gpuE7ELNS1_3repE0EEENS1_30default_config_static_selectorELNS0_4arch9wavefront6targetE0EEEvSZ_,comdat
	.globl	_ZN7rocprim17ROCPRIM_400000_NS6detail17trampoline_kernelINS0_13select_configILj256ELj13ELNS0_17block_load_methodE3ELS4_3ELS4_3ELNS0_20block_scan_algorithmE0ELj4294967295EEENS1_25partition_config_selectorILNS1_17partition_subalgoE3EjNS0_10empty_typeEbEEZZNS1_14partition_implILS8_3ELb0ES6_jNS0_17counting_iteratorIjlEEPS9_SE_NS0_5tupleIJPjSE_EEENSF_IJSE_SE_EEES9_SG_JZNS1_25segmented_radix_sort_implINS0_14default_configELb0EPK6__halfPSL_PKlPlN2at6native12_GLOBAL__N_18offset_tEEE10hipError_tPvRmT1_PNSt15iterator_traitsISZ_E10value_typeET2_T3_PNS10_IS15_E10value_typeET4_jRbjT5_S1B_jjP12ihipStream_tbEUljE_EEESW_SX_SY_S15_S19_S1B_T6_T7_T9_mT8_S1D_bDpT10_ENKUlT_T0_E_clISt17integral_constantIbLb1EES1P_IbLb0EEEEDaS1L_S1M_EUlS1L_E_NS1_11comp_targetILNS1_3genE3ELNS1_11target_archE908ELNS1_3gpuE7ELNS1_3repE0EEENS1_30default_config_static_selectorELNS0_4arch9wavefront6targetE0EEEvSZ_ ; -- Begin function _ZN7rocprim17ROCPRIM_400000_NS6detail17trampoline_kernelINS0_13select_configILj256ELj13ELNS0_17block_load_methodE3ELS4_3ELS4_3ELNS0_20block_scan_algorithmE0ELj4294967295EEENS1_25partition_config_selectorILNS1_17partition_subalgoE3EjNS0_10empty_typeEbEEZZNS1_14partition_implILS8_3ELb0ES6_jNS0_17counting_iteratorIjlEEPS9_SE_NS0_5tupleIJPjSE_EEENSF_IJSE_SE_EEES9_SG_JZNS1_25segmented_radix_sort_implINS0_14default_configELb0EPK6__halfPSL_PKlPlN2at6native12_GLOBAL__N_18offset_tEEE10hipError_tPvRmT1_PNSt15iterator_traitsISZ_E10value_typeET2_T3_PNS10_IS15_E10value_typeET4_jRbjT5_S1B_jjP12ihipStream_tbEUljE_EEESW_SX_SY_S15_S19_S1B_T6_T7_T9_mT8_S1D_bDpT10_ENKUlT_T0_E_clISt17integral_constantIbLb1EES1P_IbLb0EEEEDaS1L_S1M_EUlS1L_E_NS1_11comp_targetILNS1_3genE3ELNS1_11target_archE908ELNS1_3gpuE7ELNS1_3repE0EEENS1_30default_config_static_selectorELNS0_4arch9wavefront6targetE0EEEvSZ_
	.p2align	8
	.type	_ZN7rocprim17ROCPRIM_400000_NS6detail17trampoline_kernelINS0_13select_configILj256ELj13ELNS0_17block_load_methodE3ELS4_3ELS4_3ELNS0_20block_scan_algorithmE0ELj4294967295EEENS1_25partition_config_selectorILNS1_17partition_subalgoE3EjNS0_10empty_typeEbEEZZNS1_14partition_implILS8_3ELb0ES6_jNS0_17counting_iteratorIjlEEPS9_SE_NS0_5tupleIJPjSE_EEENSF_IJSE_SE_EEES9_SG_JZNS1_25segmented_radix_sort_implINS0_14default_configELb0EPK6__halfPSL_PKlPlN2at6native12_GLOBAL__N_18offset_tEEE10hipError_tPvRmT1_PNSt15iterator_traitsISZ_E10value_typeET2_T3_PNS10_IS15_E10value_typeET4_jRbjT5_S1B_jjP12ihipStream_tbEUljE_EEESW_SX_SY_S15_S19_S1B_T6_T7_T9_mT8_S1D_bDpT10_ENKUlT_T0_E_clISt17integral_constantIbLb1EES1P_IbLb0EEEEDaS1L_S1M_EUlS1L_E_NS1_11comp_targetILNS1_3genE3ELNS1_11target_archE908ELNS1_3gpuE7ELNS1_3repE0EEENS1_30default_config_static_selectorELNS0_4arch9wavefront6targetE0EEEvSZ_,@function
_ZN7rocprim17ROCPRIM_400000_NS6detail17trampoline_kernelINS0_13select_configILj256ELj13ELNS0_17block_load_methodE3ELS4_3ELS4_3ELNS0_20block_scan_algorithmE0ELj4294967295EEENS1_25partition_config_selectorILNS1_17partition_subalgoE3EjNS0_10empty_typeEbEEZZNS1_14partition_implILS8_3ELb0ES6_jNS0_17counting_iteratorIjlEEPS9_SE_NS0_5tupleIJPjSE_EEENSF_IJSE_SE_EEES9_SG_JZNS1_25segmented_radix_sort_implINS0_14default_configELb0EPK6__halfPSL_PKlPlN2at6native12_GLOBAL__N_18offset_tEEE10hipError_tPvRmT1_PNSt15iterator_traitsISZ_E10value_typeET2_T3_PNS10_IS15_E10value_typeET4_jRbjT5_S1B_jjP12ihipStream_tbEUljE_EEESW_SX_SY_S15_S19_S1B_T6_T7_T9_mT8_S1D_bDpT10_ENKUlT_T0_E_clISt17integral_constantIbLb1EES1P_IbLb0EEEEDaS1L_S1M_EUlS1L_E_NS1_11comp_targetILNS1_3genE3ELNS1_11target_archE908ELNS1_3gpuE7ELNS1_3repE0EEENS1_30default_config_static_selectorELNS0_4arch9wavefront6targetE0EEEvSZ_: ; @_ZN7rocprim17ROCPRIM_400000_NS6detail17trampoline_kernelINS0_13select_configILj256ELj13ELNS0_17block_load_methodE3ELS4_3ELS4_3ELNS0_20block_scan_algorithmE0ELj4294967295EEENS1_25partition_config_selectorILNS1_17partition_subalgoE3EjNS0_10empty_typeEbEEZZNS1_14partition_implILS8_3ELb0ES6_jNS0_17counting_iteratorIjlEEPS9_SE_NS0_5tupleIJPjSE_EEENSF_IJSE_SE_EEES9_SG_JZNS1_25segmented_radix_sort_implINS0_14default_configELb0EPK6__halfPSL_PKlPlN2at6native12_GLOBAL__N_18offset_tEEE10hipError_tPvRmT1_PNSt15iterator_traitsISZ_E10value_typeET2_T3_PNS10_IS15_E10value_typeET4_jRbjT5_S1B_jjP12ihipStream_tbEUljE_EEESW_SX_SY_S15_S19_S1B_T6_T7_T9_mT8_S1D_bDpT10_ENKUlT_T0_E_clISt17integral_constantIbLb1EES1P_IbLb0EEEEDaS1L_S1M_EUlS1L_E_NS1_11comp_targetILNS1_3genE3ELNS1_11target_archE908ELNS1_3gpuE7ELNS1_3repE0EEENS1_30default_config_static_selectorELNS0_4arch9wavefront6targetE0EEEvSZ_
; %bb.0:
	.section	.rodata,"a",@progbits
	.p2align	6, 0x0
	.amdhsa_kernel _ZN7rocprim17ROCPRIM_400000_NS6detail17trampoline_kernelINS0_13select_configILj256ELj13ELNS0_17block_load_methodE3ELS4_3ELS4_3ELNS0_20block_scan_algorithmE0ELj4294967295EEENS1_25partition_config_selectorILNS1_17partition_subalgoE3EjNS0_10empty_typeEbEEZZNS1_14partition_implILS8_3ELb0ES6_jNS0_17counting_iteratorIjlEEPS9_SE_NS0_5tupleIJPjSE_EEENSF_IJSE_SE_EEES9_SG_JZNS1_25segmented_radix_sort_implINS0_14default_configELb0EPK6__halfPSL_PKlPlN2at6native12_GLOBAL__N_18offset_tEEE10hipError_tPvRmT1_PNSt15iterator_traitsISZ_E10value_typeET2_T3_PNS10_IS15_E10value_typeET4_jRbjT5_S1B_jjP12ihipStream_tbEUljE_EEESW_SX_SY_S15_S19_S1B_T6_T7_T9_mT8_S1D_bDpT10_ENKUlT_T0_E_clISt17integral_constantIbLb1EES1P_IbLb0EEEEDaS1L_S1M_EUlS1L_E_NS1_11comp_targetILNS1_3genE3ELNS1_11target_archE908ELNS1_3gpuE7ELNS1_3repE0EEENS1_30default_config_static_selectorELNS0_4arch9wavefront6targetE0EEEvSZ_
		.amdhsa_group_segment_fixed_size 0
		.amdhsa_private_segment_fixed_size 0
		.amdhsa_kernarg_size 144
		.amdhsa_user_sgpr_count 15
		.amdhsa_user_sgpr_dispatch_ptr 0
		.amdhsa_user_sgpr_queue_ptr 0
		.amdhsa_user_sgpr_kernarg_segment_ptr 1
		.amdhsa_user_sgpr_dispatch_id 0
		.amdhsa_user_sgpr_private_segment_size 0
		.amdhsa_wavefront_size32 1
		.amdhsa_uses_dynamic_stack 0
		.amdhsa_enable_private_segment 0
		.amdhsa_system_sgpr_workgroup_id_x 1
		.amdhsa_system_sgpr_workgroup_id_y 0
		.amdhsa_system_sgpr_workgroup_id_z 0
		.amdhsa_system_sgpr_workgroup_info 0
		.amdhsa_system_vgpr_workitem_id 0
		.amdhsa_next_free_vgpr 1
		.amdhsa_next_free_sgpr 1
		.amdhsa_reserve_vcc 0
		.amdhsa_float_round_mode_32 0
		.amdhsa_float_round_mode_16_64 0
		.amdhsa_float_denorm_mode_32 3
		.amdhsa_float_denorm_mode_16_64 3
		.amdhsa_dx10_clamp 1
		.amdhsa_ieee_mode 1
		.amdhsa_fp16_overflow 0
		.amdhsa_workgroup_processor_mode 1
		.amdhsa_memory_ordered 1
		.amdhsa_forward_progress 0
		.amdhsa_shared_vgpr_count 0
		.amdhsa_exception_fp_ieee_invalid_op 0
		.amdhsa_exception_fp_denorm_src 0
		.amdhsa_exception_fp_ieee_div_zero 0
		.amdhsa_exception_fp_ieee_overflow 0
		.amdhsa_exception_fp_ieee_underflow 0
		.amdhsa_exception_fp_ieee_inexact 0
		.amdhsa_exception_int_div_zero 0
	.end_amdhsa_kernel
	.section	.text._ZN7rocprim17ROCPRIM_400000_NS6detail17trampoline_kernelINS0_13select_configILj256ELj13ELNS0_17block_load_methodE3ELS4_3ELS4_3ELNS0_20block_scan_algorithmE0ELj4294967295EEENS1_25partition_config_selectorILNS1_17partition_subalgoE3EjNS0_10empty_typeEbEEZZNS1_14partition_implILS8_3ELb0ES6_jNS0_17counting_iteratorIjlEEPS9_SE_NS0_5tupleIJPjSE_EEENSF_IJSE_SE_EEES9_SG_JZNS1_25segmented_radix_sort_implINS0_14default_configELb0EPK6__halfPSL_PKlPlN2at6native12_GLOBAL__N_18offset_tEEE10hipError_tPvRmT1_PNSt15iterator_traitsISZ_E10value_typeET2_T3_PNS10_IS15_E10value_typeET4_jRbjT5_S1B_jjP12ihipStream_tbEUljE_EEESW_SX_SY_S15_S19_S1B_T6_T7_T9_mT8_S1D_bDpT10_ENKUlT_T0_E_clISt17integral_constantIbLb1EES1P_IbLb0EEEEDaS1L_S1M_EUlS1L_E_NS1_11comp_targetILNS1_3genE3ELNS1_11target_archE908ELNS1_3gpuE7ELNS1_3repE0EEENS1_30default_config_static_selectorELNS0_4arch9wavefront6targetE0EEEvSZ_,"axG",@progbits,_ZN7rocprim17ROCPRIM_400000_NS6detail17trampoline_kernelINS0_13select_configILj256ELj13ELNS0_17block_load_methodE3ELS4_3ELS4_3ELNS0_20block_scan_algorithmE0ELj4294967295EEENS1_25partition_config_selectorILNS1_17partition_subalgoE3EjNS0_10empty_typeEbEEZZNS1_14partition_implILS8_3ELb0ES6_jNS0_17counting_iteratorIjlEEPS9_SE_NS0_5tupleIJPjSE_EEENSF_IJSE_SE_EEES9_SG_JZNS1_25segmented_radix_sort_implINS0_14default_configELb0EPK6__halfPSL_PKlPlN2at6native12_GLOBAL__N_18offset_tEEE10hipError_tPvRmT1_PNSt15iterator_traitsISZ_E10value_typeET2_T3_PNS10_IS15_E10value_typeET4_jRbjT5_S1B_jjP12ihipStream_tbEUljE_EEESW_SX_SY_S15_S19_S1B_T6_T7_T9_mT8_S1D_bDpT10_ENKUlT_T0_E_clISt17integral_constantIbLb1EES1P_IbLb0EEEEDaS1L_S1M_EUlS1L_E_NS1_11comp_targetILNS1_3genE3ELNS1_11target_archE908ELNS1_3gpuE7ELNS1_3repE0EEENS1_30default_config_static_selectorELNS0_4arch9wavefront6targetE0EEEvSZ_,comdat
.Lfunc_end1829:
	.size	_ZN7rocprim17ROCPRIM_400000_NS6detail17trampoline_kernelINS0_13select_configILj256ELj13ELNS0_17block_load_methodE3ELS4_3ELS4_3ELNS0_20block_scan_algorithmE0ELj4294967295EEENS1_25partition_config_selectorILNS1_17partition_subalgoE3EjNS0_10empty_typeEbEEZZNS1_14partition_implILS8_3ELb0ES6_jNS0_17counting_iteratorIjlEEPS9_SE_NS0_5tupleIJPjSE_EEENSF_IJSE_SE_EEES9_SG_JZNS1_25segmented_radix_sort_implINS0_14default_configELb0EPK6__halfPSL_PKlPlN2at6native12_GLOBAL__N_18offset_tEEE10hipError_tPvRmT1_PNSt15iterator_traitsISZ_E10value_typeET2_T3_PNS10_IS15_E10value_typeET4_jRbjT5_S1B_jjP12ihipStream_tbEUljE_EEESW_SX_SY_S15_S19_S1B_T6_T7_T9_mT8_S1D_bDpT10_ENKUlT_T0_E_clISt17integral_constantIbLb1EES1P_IbLb0EEEEDaS1L_S1M_EUlS1L_E_NS1_11comp_targetILNS1_3genE3ELNS1_11target_archE908ELNS1_3gpuE7ELNS1_3repE0EEENS1_30default_config_static_selectorELNS0_4arch9wavefront6targetE0EEEvSZ_, .Lfunc_end1829-_ZN7rocprim17ROCPRIM_400000_NS6detail17trampoline_kernelINS0_13select_configILj256ELj13ELNS0_17block_load_methodE3ELS4_3ELS4_3ELNS0_20block_scan_algorithmE0ELj4294967295EEENS1_25partition_config_selectorILNS1_17partition_subalgoE3EjNS0_10empty_typeEbEEZZNS1_14partition_implILS8_3ELb0ES6_jNS0_17counting_iteratorIjlEEPS9_SE_NS0_5tupleIJPjSE_EEENSF_IJSE_SE_EEES9_SG_JZNS1_25segmented_radix_sort_implINS0_14default_configELb0EPK6__halfPSL_PKlPlN2at6native12_GLOBAL__N_18offset_tEEE10hipError_tPvRmT1_PNSt15iterator_traitsISZ_E10value_typeET2_T3_PNS10_IS15_E10value_typeET4_jRbjT5_S1B_jjP12ihipStream_tbEUljE_EEESW_SX_SY_S15_S19_S1B_T6_T7_T9_mT8_S1D_bDpT10_ENKUlT_T0_E_clISt17integral_constantIbLb1EES1P_IbLb0EEEEDaS1L_S1M_EUlS1L_E_NS1_11comp_targetILNS1_3genE3ELNS1_11target_archE908ELNS1_3gpuE7ELNS1_3repE0EEENS1_30default_config_static_selectorELNS0_4arch9wavefront6targetE0EEEvSZ_
                                        ; -- End function
	.section	.AMDGPU.csdata,"",@progbits
; Kernel info:
; codeLenInByte = 0
; NumSgprs: 0
; NumVgprs: 0
; ScratchSize: 0
; MemoryBound: 0
; FloatMode: 240
; IeeeMode: 1
; LDSByteSize: 0 bytes/workgroup (compile time only)
; SGPRBlocks: 0
; VGPRBlocks: 0
; NumSGPRsForWavesPerEU: 1
; NumVGPRsForWavesPerEU: 1
; Occupancy: 16
; WaveLimiterHint : 0
; COMPUTE_PGM_RSRC2:SCRATCH_EN: 0
; COMPUTE_PGM_RSRC2:USER_SGPR: 15
; COMPUTE_PGM_RSRC2:TRAP_HANDLER: 0
; COMPUTE_PGM_RSRC2:TGID_X_EN: 1
; COMPUTE_PGM_RSRC2:TGID_Y_EN: 0
; COMPUTE_PGM_RSRC2:TGID_Z_EN: 0
; COMPUTE_PGM_RSRC2:TIDIG_COMP_CNT: 0
	.section	.text._ZN7rocprim17ROCPRIM_400000_NS6detail17trampoline_kernelINS0_13select_configILj256ELj13ELNS0_17block_load_methodE3ELS4_3ELS4_3ELNS0_20block_scan_algorithmE0ELj4294967295EEENS1_25partition_config_selectorILNS1_17partition_subalgoE3EjNS0_10empty_typeEbEEZZNS1_14partition_implILS8_3ELb0ES6_jNS0_17counting_iteratorIjlEEPS9_SE_NS0_5tupleIJPjSE_EEENSF_IJSE_SE_EEES9_SG_JZNS1_25segmented_radix_sort_implINS0_14default_configELb0EPK6__halfPSL_PKlPlN2at6native12_GLOBAL__N_18offset_tEEE10hipError_tPvRmT1_PNSt15iterator_traitsISZ_E10value_typeET2_T3_PNS10_IS15_E10value_typeET4_jRbjT5_S1B_jjP12ihipStream_tbEUljE_EEESW_SX_SY_S15_S19_S1B_T6_T7_T9_mT8_S1D_bDpT10_ENKUlT_T0_E_clISt17integral_constantIbLb1EES1P_IbLb0EEEEDaS1L_S1M_EUlS1L_E_NS1_11comp_targetILNS1_3genE2ELNS1_11target_archE906ELNS1_3gpuE6ELNS1_3repE0EEENS1_30default_config_static_selectorELNS0_4arch9wavefront6targetE0EEEvSZ_,"axG",@progbits,_ZN7rocprim17ROCPRIM_400000_NS6detail17trampoline_kernelINS0_13select_configILj256ELj13ELNS0_17block_load_methodE3ELS4_3ELS4_3ELNS0_20block_scan_algorithmE0ELj4294967295EEENS1_25partition_config_selectorILNS1_17partition_subalgoE3EjNS0_10empty_typeEbEEZZNS1_14partition_implILS8_3ELb0ES6_jNS0_17counting_iteratorIjlEEPS9_SE_NS0_5tupleIJPjSE_EEENSF_IJSE_SE_EEES9_SG_JZNS1_25segmented_radix_sort_implINS0_14default_configELb0EPK6__halfPSL_PKlPlN2at6native12_GLOBAL__N_18offset_tEEE10hipError_tPvRmT1_PNSt15iterator_traitsISZ_E10value_typeET2_T3_PNS10_IS15_E10value_typeET4_jRbjT5_S1B_jjP12ihipStream_tbEUljE_EEESW_SX_SY_S15_S19_S1B_T6_T7_T9_mT8_S1D_bDpT10_ENKUlT_T0_E_clISt17integral_constantIbLb1EES1P_IbLb0EEEEDaS1L_S1M_EUlS1L_E_NS1_11comp_targetILNS1_3genE2ELNS1_11target_archE906ELNS1_3gpuE6ELNS1_3repE0EEENS1_30default_config_static_selectorELNS0_4arch9wavefront6targetE0EEEvSZ_,comdat
	.globl	_ZN7rocprim17ROCPRIM_400000_NS6detail17trampoline_kernelINS0_13select_configILj256ELj13ELNS0_17block_load_methodE3ELS4_3ELS4_3ELNS0_20block_scan_algorithmE0ELj4294967295EEENS1_25partition_config_selectorILNS1_17partition_subalgoE3EjNS0_10empty_typeEbEEZZNS1_14partition_implILS8_3ELb0ES6_jNS0_17counting_iteratorIjlEEPS9_SE_NS0_5tupleIJPjSE_EEENSF_IJSE_SE_EEES9_SG_JZNS1_25segmented_radix_sort_implINS0_14default_configELb0EPK6__halfPSL_PKlPlN2at6native12_GLOBAL__N_18offset_tEEE10hipError_tPvRmT1_PNSt15iterator_traitsISZ_E10value_typeET2_T3_PNS10_IS15_E10value_typeET4_jRbjT5_S1B_jjP12ihipStream_tbEUljE_EEESW_SX_SY_S15_S19_S1B_T6_T7_T9_mT8_S1D_bDpT10_ENKUlT_T0_E_clISt17integral_constantIbLb1EES1P_IbLb0EEEEDaS1L_S1M_EUlS1L_E_NS1_11comp_targetILNS1_3genE2ELNS1_11target_archE906ELNS1_3gpuE6ELNS1_3repE0EEENS1_30default_config_static_selectorELNS0_4arch9wavefront6targetE0EEEvSZ_ ; -- Begin function _ZN7rocprim17ROCPRIM_400000_NS6detail17trampoline_kernelINS0_13select_configILj256ELj13ELNS0_17block_load_methodE3ELS4_3ELS4_3ELNS0_20block_scan_algorithmE0ELj4294967295EEENS1_25partition_config_selectorILNS1_17partition_subalgoE3EjNS0_10empty_typeEbEEZZNS1_14partition_implILS8_3ELb0ES6_jNS0_17counting_iteratorIjlEEPS9_SE_NS0_5tupleIJPjSE_EEENSF_IJSE_SE_EEES9_SG_JZNS1_25segmented_radix_sort_implINS0_14default_configELb0EPK6__halfPSL_PKlPlN2at6native12_GLOBAL__N_18offset_tEEE10hipError_tPvRmT1_PNSt15iterator_traitsISZ_E10value_typeET2_T3_PNS10_IS15_E10value_typeET4_jRbjT5_S1B_jjP12ihipStream_tbEUljE_EEESW_SX_SY_S15_S19_S1B_T6_T7_T9_mT8_S1D_bDpT10_ENKUlT_T0_E_clISt17integral_constantIbLb1EES1P_IbLb0EEEEDaS1L_S1M_EUlS1L_E_NS1_11comp_targetILNS1_3genE2ELNS1_11target_archE906ELNS1_3gpuE6ELNS1_3repE0EEENS1_30default_config_static_selectorELNS0_4arch9wavefront6targetE0EEEvSZ_
	.p2align	8
	.type	_ZN7rocprim17ROCPRIM_400000_NS6detail17trampoline_kernelINS0_13select_configILj256ELj13ELNS0_17block_load_methodE3ELS4_3ELS4_3ELNS0_20block_scan_algorithmE0ELj4294967295EEENS1_25partition_config_selectorILNS1_17partition_subalgoE3EjNS0_10empty_typeEbEEZZNS1_14partition_implILS8_3ELb0ES6_jNS0_17counting_iteratorIjlEEPS9_SE_NS0_5tupleIJPjSE_EEENSF_IJSE_SE_EEES9_SG_JZNS1_25segmented_radix_sort_implINS0_14default_configELb0EPK6__halfPSL_PKlPlN2at6native12_GLOBAL__N_18offset_tEEE10hipError_tPvRmT1_PNSt15iterator_traitsISZ_E10value_typeET2_T3_PNS10_IS15_E10value_typeET4_jRbjT5_S1B_jjP12ihipStream_tbEUljE_EEESW_SX_SY_S15_S19_S1B_T6_T7_T9_mT8_S1D_bDpT10_ENKUlT_T0_E_clISt17integral_constantIbLb1EES1P_IbLb0EEEEDaS1L_S1M_EUlS1L_E_NS1_11comp_targetILNS1_3genE2ELNS1_11target_archE906ELNS1_3gpuE6ELNS1_3repE0EEENS1_30default_config_static_selectorELNS0_4arch9wavefront6targetE0EEEvSZ_,@function
_ZN7rocprim17ROCPRIM_400000_NS6detail17trampoline_kernelINS0_13select_configILj256ELj13ELNS0_17block_load_methodE3ELS4_3ELS4_3ELNS0_20block_scan_algorithmE0ELj4294967295EEENS1_25partition_config_selectorILNS1_17partition_subalgoE3EjNS0_10empty_typeEbEEZZNS1_14partition_implILS8_3ELb0ES6_jNS0_17counting_iteratorIjlEEPS9_SE_NS0_5tupleIJPjSE_EEENSF_IJSE_SE_EEES9_SG_JZNS1_25segmented_radix_sort_implINS0_14default_configELb0EPK6__halfPSL_PKlPlN2at6native12_GLOBAL__N_18offset_tEEE10hipError_tPvRmT1_PNSt15iterator_traitsISZ_E10value_typeET2_T3_PNS10_IS15_E10value_typeET4_jRbjT5_S1B_jjP12ihipStream_tbEUljE_EEESW_SX_SY_S15_S19_S1B_T6_T7_T9_mT8_S1D_bDpT10_ENKUlT_T0_E_clISt17integral_constantIbLb1EES1P_IbLb0EEEEDaS1L_S1M_EUlS1L_E_NS1_11comp_targetILNS1_3genE2ELNS1_11target_archE906ELNS1_3gpuE6ELNS1_3repE0EEENS1_30default_config_static_selectorELNS0_4arch9wavefront6targetE0EEEvSZ_: ; @_ZN7rocprim17ROCPRIM_400000_NS6detail17trampoline_kernelINS0_13select_configILj256ELj13ELNS0_17block_load_methodE3ELS4_3ELS4_3ELNS0_20block_scan_algorithmE0ELj4294967295EEENS1_25partition_config_selectorILNS1_17partition_subalgoE3EjNS0_10empty_typeEbEEZZNS1_14partition_implILS8_3ELb0ES6_jNS0_17counting_iteratorIjlEEPS9_SE_NS0_5tupleIJPjSE_EEENSF_IJSE_SE_EEES9_SG_JZNS1_25segmented_radix_sort_implINS0_14default_configELb0EPK6__halfPSL_PKlPlN2at6native12_GLOBAL__N_18offset_tEEE10hipError_tPvRmT1_PNSt15iterator_traitsISZ_E10value_typeET2_T3_PNS10_IS15_E10value_typeET4_jRbjT5_S1B_jjP12ihipStream_tbEUljE_EEESW_SX_SY_S15_S19_S1B_T6_T7_T9_mT8_S1D_bDpT10_ENKUlT_T0_E_clISt17integral_constantIbLb1EES1P_IbLb0EEEEDaS1L_S1M_EUlS1L_E_NS1_11comp_targetILNS1_3genE2ELNS1_11target_archE906ELNS1_3gpuE6ELNS1_3repE0EEENS1_30default_config_static_selectorELNS0_4arch9wavefront6targetE0EEEvSZ_
; %bb.0:
	.section	.rodata,"a",@progbits
	.p2align	6, 0x0
	.amdhsa_kernel _ZN7rocprim17ROCPRIM_400000_NS6detail17trampoline_kernelINS0_13select_configILj256ELj13ELNS0_17block_load_methodE3ELS4_3ELS4_3ELNS0_20block_scan_algorithmE0ELj4294967295EEENS1_25partition_config_selectorILNS1_17partition_subalgoE3EjNS0_10empty_typeEbEEZZNS1_14partition_implILS8_3ELb0ES6_jNS0_17counting_iteratorIjlEEPS9_SE_NS0_5tupleIJPjSE_EEENSF_IJSE_SE_EEES9_SG_JZNS1_25segmented_radix_sort_implINS0_14default_configELb0EPK6__halfPSL_PKlPlN2at6native12_GLOBAL__N_18offset_tEEE10hipError_tPvRmT1_PNSt15iterator_traitsISZ_E10value_typeET2_T3_PNS10_IS15_E10value_typeET4_jRbjT5_S1B_jjP12ihipStream_tbEUljE_EEESW_SX_SY_S15_S19_S1B_T6_T7_T9_mT8_S1D_bDpT10_ENKUlT_T0_E_clISt17integral_constantIbLb1EES1P_IbLb0EEEEDaS1L_S1M_EUlS1L_E_NS1_11comp_targetILNS1_3genE2ELNS1_11target_archE906ELNS1_3gpuE6ELNS1_3repE0EEENS1_30default_config_static_selectorELNS0_4arch9wavefront6targetE0EEEvSZ_
		.amdhsa_group_segment_fixed_size 0
		.amdhsa_private_segment_fixed_size 0
		.amdhsa_kernarg_size 144
		.amdhsa_user_sgpr_count 15
		.amdhsa_user_sgpr_dispatch_ptr 0
		.amdhsa_user_sgpr_queue_ptr 0
		.amdhsa_user_sgpr_kernarg_segment_ptr 1
		.amdhsa_user_sgpr_dispatch_id 0
		.amdhsa_user_sgpr_private_segment_size 0
		.amdhsa_wavefront_size32 1
		.amdhsa_uses_dynamic_stack 0
		.amdhsa_enable_private_segment 0
		.amdhsa_system_sgpr_workgroup_id_x 1
		.amdhsa_system_sgpr_workgroup_id_y 0
		.amdhsa_system_sgpr_workgroup_id_z 0
		.amdhsa_system_sgpr_workgroup_info 0
		.amdhsa_system_vgpr_workitem_id 0
		.amdhsa_next_free_vgpr 1
		.amdhsa_next_free_sgpr 1
		.amdhsa_reserve_vcc 0
		.amdhsa_float_round_mode_32 0
		.amdhsa_float_round_mode_16_64 0
		.amdhsa_float_denorm_mode_32 3
		.amdhsa_float_denorm_mode_16_64 3
		.amdhsa_dx10_clamp 1
		.amdhsa_ieee_mode 1
		.amdhsa_fp16_overflow 0
		.amdhsa_workgroup_processor_mode 1
		.amdhsa_memory_ordered 1
		.amdhsa_forward_progress 0
		.amdhsa_shared_vgpr_count 0
		.amdhsa_exception_fp_ieee_invalid_op 0
		.amdhsa_exception_fp_denorm_src 0
		.amdhsa_exception_fp_ieee_div_zero 0
		.amdhsa_exception_fp_ieee_overflow 0
		.amdhsa_exception_fp_ieee_underflow 0
		.amdhsa_exception_fp_ieee_inexact 0
		.amdhsa_exception_int_div_zero 0
	.end_amdhsa_kernel
	.section	.text._ZN7rocprim17ROCPRIM_400000_NS6detail17trampoline_kernelINS0_13select_configILj256ELj13ELNS0_17block_load_methodE3ELS4_3ELS4_3ELNS0_20block_scan_algorithmE0ELj4294967295EEENS1_25partition_config_selectorILNS1_17partition_subalgoE3EjNS0_10empty_typeEbEEZZNS1_14partition_implILS8_3ELb0ES6_jNS0_17counting_iteratorIjlEEPS9_SE_NS0_5tupleIJPjSE_EEENSF_IJSE_SE_EEES9_SG_JZNS1_25segmented_radix_sort_implINS0_14default_configELb0EPK6__halfPSL_PKlPlN2at6native12_GLOBAL__N_18offset_tEEE10hipError_tPvRmT1_PNSt15iterator_traitsISZ_E10value_typeET2_T3_PNS10_IS15_E10value_typeET4_jRbjT5_S1B_jjP12ihipStream_tbEUljE_EEESW_SX_SY_S15_S19_S1B_T6_T7_T9_mT8_S1D_bDpT10_ENKUlT_T0_E_clISt17integral_constantIbLb1EES1P_IbLb0EEEEDaS1L_S1M_EUlS1L_E_NS1_11comp_targetILNS1_3genE2ELNS1_11target_archE906ELNS1_3gpuE6ELNS1_3repE0EEENS1_30default_config_static_selectorELNS0_4arch9wavefront6targetE0EEEvSZ_,"axG",@progbits,_ZN7rocprim17ROCPRIM_400000_NS6detail17trampoline_kernelINS0_13select_configILj256ELj13ELNS0_17block_load_methodE3ELS4_3ELS4_3ELNS0_20block_scan_algorithmE0ELj4294967295EEENS1_25partition_config_selectorILNS1_17partition_subalgoE3EjNS0_10empty_typeEbEEZZNS1_14partition_implILS8_3ELb0ES6_jNS0_17counting_iteratorIjlEEPS9_SE_NS0_5tupleIJPjSE_EEENSF_IJSE_SE_EEES9_SG_JZNS1_25segmented_radix_sort_implINS0_14default_configELb0EPK6__halfPSL_PKlPlN2at6native12_GLOBAL__N_18offset_tEEE10hipError_tPvRmT1_PNSt15iterator_traitsISZ_E10value_typeET2_T3_PNS10_IS15_E10value_typeET4_jRbjT5_S1B_jjP12ihipStream_tbEUljE_EEESW_SX_SY_S15_S19_S1B_T6_T7_T9_mT8_S1D_bDpT10_ENKUlT_T0_E_clISt17integral_constantIbLb1EES1P_IbLb0EEEEDaS1L_S1M_EUlS1L_E_NS1_11comp_targetILNS1_3genE2ELNS1_11target_archE906ELNS1_3gpuE6ELNS1_3repE0EEENS1_30default_config_static_selectorELNS0_4arch9wavefront6targetE0EEEvSZ_,comdat
.Lfunc_end1830:
	.size	_ZN7rocprim17ROCPRIM_400000_NS6detail17trampoline_kernelINS0_13select_configILj256ELj13ELNS0_17block_load_methodE3ELS4_3ELS4_3ELNS0_20block_scan_algorithmE0ELj4294967295EEENS1_25partition_config_selectorILNS1_17partition_subalgoE3EjNS0_10empty_typeEbEEZZNS1_14partition_implILS8_3ELb0ES6_jNS0_17counting_iteratorIjlEEPS9_SE_NS0_5tupleIJPjSE_EEENSF_IJSE_SE_EEES9_SG_JZNS1_25segmented_radix_sort_implINS0_14default_configELb0EPK6__halfPSL_PKlPlN2at6native12_GLOBAL__N_18offset_tEEE10hipError_tPvRmT1_PNSt15iterator_traitsISZ_E10value_typeET2_T3_PNS10_IS15_E10value_typeET4_jRbjT5_S1B_jjP12ihipStream_tbEUljE_EEESW_SX_SY_S15_S19_S1B_T6_T7_T9_mT8_S1D_bDpT10_ENKUlT_T0_E_clISt17integral_constantIbLb1EES1P_IbLb0EEEEDaS1L_S1M_EUlS1L_E_NS1_11comp_targetILNS1_3genE2ELNS1_11target_archE906ELNS1_3gpuE6ELNS1_3repE0EEENS1_30default_config_static_selectorELNS0_4arch9wavefront6targetE0EEEvSZ_, .Lfunc_end1830-_ZN7rocprim17ROCPRIM_400000_NS6detail17trampoline_kernelINS0_13select_configILj256ELj13ELNS0_17block_load_methodE3ELS4_3ELS4_3ELNS0_20block_scan_algorithmE0ELj4294967295EEENS1_25partition_config_selectorILNS1_17partition_subalgoE3EjNS0_10empty_typeEbEEZZNS1_14partition_implILS8_3ELb0ES6_jNS0_17counting_iteratorIjlEEPS9_SE_NS0_5tupleIJPjSE_EEENSF_IJSE_SE_EEES9_SG_JZNS1_25segmented_radix_sort_implINS0_14default_configELb0EPK6__halfPSL_PKlPlN2at6native12_GLOBAL__N_18offset_tEEE10hipError_tPvRmT1_PNSt15iterator_traitsISZ_E10value_typeET2_T3_PNS10_IS15_E10value_typeET4_jRbjT5_S1B_jjP12ihipStream_tbEUljE_EEESW_SX_SY_S15_S19_S1B_T6_T7_T9_mT8_S1D_bDpT10_ENKUlT_T0_E_clISt17integral_constantIbLb1EES1P_IbLb0EEEEDaS1L_S1M_EUlS1L_E_NS1_11comp_targetILNS1_3genE2ELNS1_11target_archE906ELNS1_3gpuE6ELNS1_3repE0EEENS1_30default_config_static_selectorELNS0_4arch9wavefront6targetE0EEEvSZ_
                                        ; -- End function
	.section	.AMDGPU.csdata,"",@progbits
; Kernel info:
; codeLenInByte = 0
; NumSgprs: 0
; NumVgprs: 0
; ScratchSize: 0
; MemoryBound: 0
; FloatMode: 240
; IeeeMode: 1
; LDSByteSize: 0 bytes/workgroup (compile time only)
; SGPRBlocks: 0
; VGPRBlocks: 0
; NumSGPRsForWavesPerEU: 1
; NumVGPRsForWavesPerEU: 1
; Occupancy: 16
; WaveLimiterHint : 0
; COMPUTE_PGM_RSRC2:SCRATCH_EN: 0
; COMPUTE_PGM_RSRC2:USER_SGPR: 15
; COMPUTE_PGM_RSRC2:TRAP_HANDLER: 0
; COMPUTE_PGM_RSRC2:TGID_X_EN: 1
; COMPUTE_PGM_RSRC2:TGID_Y_EN: 0
; COMPUTE_PGM_RSRC2:TGID_Z_EN: 0
; COMPUTE_PGM_RSRC2:TIDIG_COMP_CNT: 0
	.section	.text._ZN7rocprim17ROCPRIM_400000_NS6detail17trampoline_kernelINS0_13select_configILj256ELj13ELNS0_17block_load_methodE3ELS4_3ELS4_3ELNS0_20block_scan_algorithmE0ELj4294967295EEENS1_25partition_config_selectorILNS1_17partition_subalgoE3EjNS0_10empty_typeEbEEZZNS1_14partition_implILS8_3ELb0ES6_jNS0_17counting_iteratorIjlEEPS9_SE_NS0_5tupleIJPjSE_EEENSF_IJSE_SE_EEES9_SG_JZNS1_25segmented_radix_sort_implINS0_14default_configELb0EPK6__halfPSL_PKlPlN2at6native12_GLOBAL__N_18offset_tEEE10hipError_tPvRmT1_PNSt15iterator_traitsISZ_E10value_typeET2_T3_PNS10_IS15_E10value_typeET4_jRbjT5_S1B_jjP12ihipStream_tbEUljE_EEESW_SX_SY_S15_S19_S1B_T6_T7_T9_mT8_S1D_bDpT10_ENKUlT_T0_E_clISt17integral_constantIbLb1EES1P_IbLb0EEEEDaS1L_S1M_EUlS1L_E_NS1_11comp_targetILNS1_3genE10ELNS1_11target_archE1200ELNS1_3gpuE4ELNS1_3repE0EEENS1_30default_config_static_selectorELNS0_4arch9wavefront6targetE0EEEvSZ_,"axG",@progbits,_ZN7rocprim17ROCPRIM_400000_NS6detail17trampoline_kernelINS0_13select_configILj256ELj13ELNS0_17block_load_methodE3ELS4_3ELS4_3ELNS0_20block_scan_algorithmE0ELj4294967295EEENS1_25partition_config_selectorILNS1_17partition_subalgoE3EjNS0_10empty_typeEbEEZZNS1_14partition_implILS8_3ELb0ES6_jNS0_17counting_iteratorIjlEEPS9_SE_NS0_5tupleIJPjSE_EEENSF_IJSE_SE_EEES9_SG_JZNS1_25segmented_radix_sort_implINS0_14default_configELb0EPK6__halfPSL_PKlPlN2at6native12_GLOBAL__N_18offset_tEEE10hipError_tPvRmT1_PNSt15iterator_traitsISZ_E10value_typeET2_T3_PNS10_IS15_E10value_typeET4_jRbjT5_S1B_jjP12ihipStream_tbEUljE_EEESW_SX_SY_S15_S19_S1B_T6_T7_T9_mT8_S1D_bDpT10_ENKUlT_T0_E_clISt17integral_constantIbLb1EES1P_IbLb0EEEEDaS1L_S1M_EUlS1L_E_NS1_11comp_targetILNS1_3genE10ELNS1_11target_archE1200ELNS1_3gpuE4ELNS1_3repE0EEENS1_30default_config_static_selectorELNS0_4arch9wavefront6targetE0EEEvSZ_,comdat
	.globl	_ZN7rocprim17ROCPRIM_400000_NS6detail17trampoline_kernelINS0_13select_configILj256ELj13ELNS0_17block_load_methodE3ELS4_3ELS4_3ELNS0_20block_scan_algorithmE0ELj4294967295EEENS1_25partition_config_selectorILNS1_17partition_subalgoE3EjNS0_10empty_typeEbEEZZNS1_14partition_implILS8_3ELb0ES6_jNS0_17counting_iteratorIjlEEPS9_SE_NS0_5tupleIJPjSE_EEENSF_IJSE_SE_EEES9_SG_JZNS1_25segmented_radix_sort_implINS0_14default_configELb0EPK6__halfPSL_PKlPlN2at6native12_GLOBAL__N_18offset_tEEE10hipError_tPvRmT1_PNSt15iterator_traitsISZ_E10value_typeET2_T3_PNS10_IS15_E10value_typeET4_jRbjT5_S1B_jjP12ihipStream_tbEUljE_EEESW_SX_SY_S15_S19_S1B_T6_T7_T9_mT8_S1D_bDpT10_ENKUlT_T0_E_clISt17integral_constantIbLb1EES1P_IbLb0EEEEDaS1L_S1M_EUlS1L_E_NS1_11comp_targetILNS1_3genE10ELNS1_11target_archE1200ELNS1_3gpuE4ELNS1_3repE0EEENS1_30default_config_static_selectorELNS0_4arch9wavefront6targetE0EEEvSZ_ ; -- Begin function _ZN7rocprim17ROCPRIM_400000_NS6detail17trampoline_kernelINS0_13select_configILj256ELj13ELNS0_17block_load_methodE3ELS4_3ELS4_3ELNS0_20block_scan_algorithmE0ELj4294967295EEENS1_25partition_config_selectorILNS1_17partition_subalgoE3EjNS0_10empty_typeEbEEZZNS1_14partition_implILS8_3ELb0ES6_jNS0_17counting_iteratorIjlEEPS9_SE_NS0_5tupleIJPjSE_EEENSF_IJSE_SE_EEES9_SG_JZNS1_25segmented_radix_sort_implINS0_14default_configELb0EPK6__halfPSL_PKlPlN2at6native12_GLOBAL__N_18offset_tEEE10hipError_tPvRmT1_PNSt15iterator_traitsISZ_E10value_typeET2_T3_PNS10_IS15_E10value_typeET4_jRbjT5_S1B_jjP12ihipStream_tbEUljE_EEESW_SX_SY_S15_S19_S1B_T6_T7_T9_mT8_S1D_bDpT10_ENKUlT_T0_E_clISt17integral_constantIbLb1EES1P_IbLb0EEEEDaS1L_S1M_EUlS1L_E_NS1_11comp_targetILNS1_3genE10ELNS1_11target_archE1200ELNS1_3gpuE4ELNS1_3repE0EEENS1_30default_config_static_selectorELNS0_4arch9wavefront6targetE0EEEvSZ_
	.p2align	8
	.type	_ZN7rocprim17ROCPRIM_400000_NS6detail17trampoline_kernelINS0_13select_configILj256ELj13ELNS0_17block_load_methodE3ELS4_3ELS4_3ELNS0_20block_scan_algorithmE0ELj4294967295EEENS1_25partition_config_selectorILNS1_17partition_subalgoE3EjNS0_10empty_typeEbEEZZNS1_14partition_implILS8_3ELb0ES6_jNS0_17counting_iteratorIjlEEPS9_SE_NS0_5tupleIJPjSE_EEENSF_IJSE_SE_EEES9_SG_JZNS1_25segmented_radix_sort_implINS0_14default_configELb0EPK6__halfPSL_PKlPlN2at6native12_GLOBAL__N_18offset_tEEE10hipError_tPvRmT1_PNSt15iterator_traitsISZ_E10value_typeET2_T3_PNS10_IS15_E10value_typeET4_jRbjT5_S1B_jjP12ihipStream_tbEUljE_EEESW_SX_SY_S15_S19_S1B_T6_T7_T9_mT8_S1D_bDpT10_ENKUlT_T0_E_clISt17integral_constantIbLb1EES1P_IbLb0EEEEDaS1L_S1M_EUlS1L_E_NS1_11comp_targetILNS1_3genE10ELNS1_11target_archE1200ELNS1_3gpuE4ELNS1_3repE0EEENS1_30default_config_static_selectorELNS0_4arch9wavefront6targetE0EEEvSZ_,@function
_ZN7rocprim17ROCPRIM_400000_NS6detail17trampoline_kernelINS0_13select_configILj256ELj13ELNS0_17block_load_methodE3ELS4_3ELS4_3ELNS0_20block_scan_algorithmE0ELj4294967295EEENS1_25partition_config_selectorILNS1_17partition_subalgoE3EjNS0_10empty_typeEbEEZZNS1_14partition_implILS8_3ELb0ES6_jNS0_17counting_iteratorIjlEEPS9_SE_NS0_5tupleIJPjSE_EEENSF_IJSE_SE_EEES9_SG_JZNS1_25segmented_radix_sort_implINS0_14default_configELb0EPK6__halfPSL_PKlPlN2at6native12_GLOBAL__N_18offset_tEEE10hipError_tPvRmT1_PNSt15iterator_traitsISZ_E10value_typeET2_T3_PNS10_IS15_E10value_typeET4_jRbjT5_S1B_jjP12ihipStream_tbEUljE_EEESW_SX_SY_S15_S19_S1B_T6_T7_T9_mT8_S1D_bDpT10_ENKUlT_T0_E_clISt17integral_constantIbLb1EES1P_IbLb0EEEEDaS1L_S1M_EUlS1L_E_NS1_11comp_targetILNS1_3genE10ELNS1_11target_archE1200ELNS1_3gpuE4ELNS1_3repE0EEENS1_30default_config_static_selectorELNS0_4arch9wavefront6targetE0EEEvSZ_: ; @_ZN7rocprim17ROCPRIM_400000_NS6detail17trampoline_kernelINS0_13select_configILj256ELj13ELNS0_17block_load_methodE3ELS4_3ELS4_3ELNS0_20block_scan_algorithmE0ELj4294967295EEENS1_25partition_config_selectorILNS1_17partition_subalgoE3EjNS0_10empty_typeEbEEZZNS1_14partition_implILS8_3ELb0ES6_jNS0_17counting_iteratorIjlEEPS9_SE_NS0_5tupleIJPjSE_EEENSF_IJSE_SE_EEES9_SG_JZNS1_25segmented_radix_sort_implINS0_14default_configELb0EPK6__halfPSL_PKlPlN2at6native12_GLOBAL__N_18offset_tEEE10hipError_tPvRmT1_PNSt15iterator_traitsISZ_E10value_typeET2_T3_PNS10_IS15_E10value_typeET4_jRbjT5_S1B_jjP12ihipStream_tbEUljE_EEESW_SX_SY_S15_S19_S1B_T6_T7_T9_mT8_S1D_bDpT10_ENKUlT_T0_E_clISt17integral_constantIbLb1EES1P_IbLb0EEEEDaS1L_S1M_EUlS1L_E_NS1_11comp_targetILNS1_3genE10ELNS1_11target_archE1200ELNS1_3gpuE4ELNS1_3repE0EEENS1_30default_config_static_selectorELNS0_4arch9wavefront6targetE0EEEvSZ_
; %bb.0:
	.section	.rodata,"a",@progbits
	.p2align	6, 0x0
	.amdhsa_kernel _ZN7rocprim17ROCPRIM_400000_NS6detail17trampoline_kernelINS0_13select_configILj256ELj13ELNS0_17block_load_methodE3ELS4_3ELS4_3ELNS0_20block_scan_algorithmE0ELj4294967295EEENS1_25partition_config_selectorILNS1_17partition_subalgoE3EjNS0_10empty_typeEbEEZZNS1_14partition_implILS8_3ELb0ES6_jNS0_17counting_iteratorIjlEEPS9_SE_NS0_5tupleIJPjSE_EEENSF_IJSE_SE_EEES9_SG_JZNS1_25segmented_radix_sort_implINS0_14default_configELb0EPK6__halfPSL_PKlPlN2at6native12_GLOBAL__N_18offset_tEEE10hipError_tPvRmT1_PNSt15iterator_traitsISZ_E10value_typeET2_T3_PNS10_IS15_E10value_typeET4_jRbjT5_S1B_jjP12ihipStream_tbEUljE_EEESW_SX_SY_S15_S19_S1B_T6_T7_T9_mT8_S1D_bDpT10_ENKUlT_T0_E_clISt17integral_constantIbLb1EES1P_IbLb0EEEEDaS1L_S1M_EUlS1L_E_NS1_11comp_targetILNS1_3genE10ELNS1_11target_archE1200ELNS1_3gpuE4ELNS1_3repE0EEENS1_30default_config_static_selectorELNS0_4arch9wavefront6targetE0EEEvSZ_
		.amdhsa_group_segment_fixed_size 0
		.amdhsa_private_segment_fixed_size 0
		.amdhsa_kernarg_size 144
		.amdhsa_user_sgpr_count 15
		.amdhsa_user_sgpr_dispatch_ptr 0
		.amdhsa_user_sgpr_queue_ptr 0
		.amdhsa_user_sgpr_kernarg_segment_ptr 1
		.amdhsa_user_sgpr_dispatch_id 0
		.amdhsa_user_sgpr_private_segment_size 0
		.amdhsa_wavefront_size32 1
		.amdhsa_uses_dynamic_stack 0
		.amdhsa_enable_private_segment 0
		.amdhsa_system_sgpr_workgroup_id_x 1
		.amdhsa_system_sgpr_workgroup_id_y 0
		.amdhsa_system_sgpr_workgroup_id_z 0
		.amdhsa_system_sgpr_workgroup_info 0
		.amdhsa_system_vgpr_workitem_id 0
		.amdhsa_next_free_vgpr 1
		.amdhsa_next_free_sgpr 1
		.amdhsa_reserve_vcc 0
		.amdhsa_float_round_mode_32 0
		.amdhsa_float_round_mode_16_64 0
		.amdhsa_float_denorm_mode_32 3
		.amdhsa_float_denorm_mode_16_64 3
		.amdhsa_dx10_clamp 1
		.amdhsa_ieee_mode 1
		.amdhsa_fp16_overflow 0
		.amdhsa_workgroup_processor_mode 1
		.amdhsa_memory_ordered 1
		.amdhsa_forward_progress 0
		.amdhsa_shared_vgpr_count 0
		.amdhsa_exception_fp_ieee_invalid_op 0
		.amdhsa_exception_fp_denorm_src 0
		.amdhsa_exception_fp_ieee_div_zero 0
		.amdhsa_exception_fp_ieee_overflow 0
		.amdhsa_exception_fp_ieee_underflow 0
		.amdhsa_exception_fp_ieee_inexact 0
		.amdhsa_exception_int_div_zero 0
	.end_amdhsa_kernel
	.section	.text._ZN7rocprim17ROCPRIM_400000_NS6detail17trampoline_kernelINS0_13select_configILj256ELj13ELNS0_17block_load_methodE3ELS4_3ELS4_3ELNS0_20block_scan_algorithmE0ELj4294967295EEENS1_25partition_config_selectorILNS1_17partition_subalgoE3EjNS0_10empty_typeEbEEZZNS1_14partition_implILS8_3ELb0ES6_jNS0_17counting_iteratorIjlEEPS9_SE_NS0_5tupleIJPjSE_EEENSF_IJSE_SE_EEES9_SG_JZNS1_25segmented_radix_sort_implINS0_14default_configELb0EPK6__halfPSL_PKlPlN2at6native12_GLOBAL__N_18offset_tEEE10hipError_tPvRmT1_PNSt15iterator_traitsISZ_E10value_typeET2_T3_PNS10_IS15_E10value_typeET4_jRbjT5_S1B_jjP12ihipStream_tbEUljE_EEESW_SX_SY_S15_S19_S1B_T6_T7_T9_mT8_S1D_bDpT10_ENKUlT_T0_E_clISt17integral_constantIbLb1EES1P_IbLb0EEEEDaS1L_S1M_EUlS1L_E_NS1_11comp_targetILNS1_3genE10ELNS1_11target_archE1200ELNS1_3gpuE4ELNS1_3repE0EEENS1_30default_config_static_selectorELNS0_4arch9wavefront6targetE0EEEvSZ_,"axG",@progbits,_ZN7rocprim17ROCPRIM_400000_NS6detail17trampoline_kernelINS0_13select_configILj256ELj13ELNS0_17block_load_methodE3ELS4_3ELS4_3ELNS0_20block_scan_algorithmE0ELj4294967295EEENS1_25partition_config_selectorILNS1_17partition_subalgoE3EjNS0_10empty_typeEbEEZZNS1_14partition_implILS8_3ELb0ES6_jNS0_17counting_iteratorIjlEEPS9_SE_NS0_5tupleIJPjSE_EEENSF_IJSE_SE_EEES9_SG_JZNS1_25segmented_radix_sort_implINS0_14default_configELb0EPK6__halfPSL_PKlPlN2at6native12_GLOBAL__N_18offset_tEEE10hipError_tPvRmT1_PNSt15iterator_traitsISZ_E10value_typeET2_T3_PNS10_IS15_E10value_typeET4_jRbjT5_S1B_jjP12ihipStream_tbEUljE_EEESW_SX_SY_S15_S19_S1B_T6_T7_T9_mT8_S1D_bDpT10_ENKUlT_T0_E_clISt17integral_constantIbLb1EES1P_IbLb0EEEEDaS1L_S1M_EUlS1L_E_NS1_11comp_targetILNS1_3genE10ELNS1_11target_archE1200ELNS1_3gpuE4ELNS1_3repE0EEENS1_30default_config_static_selectorELNS0_4arch9wavefront6targetE0EEEvSZ_,comdat
.Lfunc_end1831:
	.size	_ZN7rocprim17ROCPRIM_400000_NS6detail17trampoline_kernelINS0_13select_configILj256ELj13ELNS0_17block_load_methodE3ELS4_3ELS4_3ELNS0_20block_scan_algorithmE0ELj4294967295EEENS1_25partition_config_selectorILNS1_17partition_subalgoE3EjNS0_10empty_typeEbEEZZNS1_14partition_implILS8_3ELb0ES6_jNS0_17counting_iteratorIjlEEPS9_SE_NS0_5tupleIJPjSE_EEENSF_IJSE_SE_EEES9_SG_JZNS1_25segmented_radix_sort_implINS0_14default_configELb0EPK6__halfPSL_PKlPlN2at6native12_GLOBAL__N_18offset_tEEE10hipError_tPvRmT1_PNSt15iterator_traitsISZ_E10value_typeET2_T3_PNS10_IS15_E10value_typeET4_jRbjT5_S1B_jjP12ihipStream_tbEUljE_EEESW_SX_SY_S15_S19_S1B_T6_T7_T9_mT8_S1D_bDpT10_ENKUlT_T0_E_clISt17integral_constantIbLb1EES1P_IbLb0EEEEDaS1L_S1M_EUlS1L_E_NS1_11comp_targetILNS1_3genE10ELNS1_11target_archE1200ELNS1_3gpuE4ELNS1_3repE0EEENS1_30default_config_static_selectorELNS0_4arch9wavefront6targetE0EEEvSZ_, .Lfunc_end1831-_ZN7rocprim17ROCPRIM_400000_NS6detail17trampoline_kernelINS0_13select_configILj256ELj13ELNS0_17block_load_methodE3ELS4_3ELS4_3ELNS0_20block_scan_algorithmE0ELj4294967295EEENS1_25partition_config_selectorILNS1_17partition_subalgoE3EjNS0_10empty_typeEbEEZZNS1_14partition_implILS8_3ELb0ES6_jNS0_17counting_iteratorIjlEEPS9_SE_NS0_5tupleIJPjSE_EEENSF_IJSE_SE_EEES9_SG_JZNS1_25segmented_radix_sort_implINS0_14default_configELb0EPK6__halfPSL_PKlPlN2at6native12_GLOBAL__N_18offset_tEEE10hipError_tPvRmT1_PNSt15iterator_traitsISZ_E10value_typeET2_T3_PNS10_IS15_E10value_typeET4_jRbjT5_S1B_jjP12ihipStream_tbEUljE_EEESW_SX_SY_S15_S19_S1B_T6_T7_T9_mT8_S1D_bDpT10_ENKUlT_T0_E_clISt17integral_constantIbLb1EES1P_IbLb0EEEEDaS1L_S1M_EUlS1L_E_NS1_11comp_targetILNS1_3genE10ELNS1_11target_archE1200ELNS1_3gpuE4ELNS1_3repE0EEENS1_30default_config_static_selectorELNS0_4arch9wavefront6targetE0EEEvSZ_
                                        ; -- End function
	.section	.AMDGPU.csdata,"",@progbits
; Kernel info:
; codeLenInByte = 0
; NumSgprs: 0
; NumVgprs: 0
; ScratchSize: 0
; MemoryBound: 0
; FloatMode: 240
; IeeeMode: 1
; LDSByteSize: 0 bytes/workgroup (compile time only)
; SGPRBlocks: 0
; VGPRBlocks: 0
; NumSGPRsForWavesPerEU: 1
; NumVGPRsForWavesPerEU: 1
; Occupancy: 16
; WaveLimiterHint : 0
; COMPUTE_PGM_RSRC2:SCRATCH_EN: 0
; COMPUTE_PGM_RSRC2:USER_SGPR: 15
; COMPUTE_PGM_RSRC2:TRAP_HANDLER: 0
; COMPUTE_PGM_RSRC2:TGID_X_EN: 1
; COMPUTE_PGM_RSRC2:TGID_Y_EN: 0
; COMPUTE_PGM_RSRC2:TGID_Z_EN: 0
; COMPUTE_PGM_RSRC2:TIDIG_COMP_CNT: 0
	.section	.text._ZN7rocprim17ROCPRIM_400000_NS6detail17trampoline_kernelINS0_13select_configILj256ELj13ELNS0_17block_load_methodE3ELS4_3ELS4_3ELNS0_20block_scan_algorithmE0ELj4294967295EEENS1_25partition_config_selectorILNS1_17partition_subalgoE3EjNS0_10empty_typeEbEEZZNS1_14partition_implILS8_3ELb0ES6_jNS0_17counting_iteratorIjlEEPS9_SE_NS0_5tupleIJPjSE_EEENSF_IJSE_SE_EEES9_SG_JZNS1_25segmented_radix_sort_implINS0_14default_configELb0EPK6__halfPSL_PKlPlN2at6native12_GLOBAL__N_18offset_tEEE10hipError_tPvRmT1_PNSt15iterator_traitsISZ_E10value_typeET2_T3_PNS10_IS15_E10value_typeET4_jRbjT5_S1B_jjP12ihipStream_tbEUljE_EEESW_SX_SY_S15_S19_S1B_T6_T7_T9_mT8_S1D_bDpT10_ENKUlT_T0_E_clISt17integral_constantIbLb1EES1P_IbLb0EEEEDaS1L_S1M_EUlS1L_E_NS1_11comp_targetILNS1_3genE9ELNS1_11target_archE1100ELNS1_3gpuE3ELNS1_3repE0EEENS1_30default_config_static_selectorELNS0_4arch9wavefront6targetE0EEEvSZ_,"axG",@progbits,_ZN7rocprim17ROCPRIM_400000_NS6detail17trampoline_kernelINS0_13select_configILj256ELj13ELNS0_17block_load_methodE3ELS4_3ELS4_3ELNS0_20block_scan_algorithmE0ELj4294967295EEENS1_25partition_config_selectorILNS1_17partition_subalgoE3EjNS0_10empty_typeEbEEZZNS1_14partition_implILS8_3ELb0ES6_jNS0_17counting_iteratorIjlEEPS9_SE_NS0_5tupleIJPjSE_EEENSF_IJSE_SE_EEES9_SG_JZNS1_25segmented_radix_sort_implINS0_14default_configELb0EPK6__halfPSL_PKlPlN2at6native12_GLOBAL__N_18offset_tEEE10hipError_tPvRmT1_PNSt15iterator_traitsISZ_E10value_typeET2_T3_PNS10_IS15_E10value_typeET4_jRbjT5_S1B_jjP12ihipStream_tbEUljE_EEESW_SX_SY_S15_S19_S1B_T6_T7_T9_mT8_S1D_bDpT10_ENKUlT_T0_E_clISt17integral_constantIbLb1EES1P_IbLb0EEEEDaS1L_S1M_EUlS1L_E_NS1_11comp_targetILNS1_3genE9ELNS1_11target_archE1100ELNS1_3gpuE3ELNS1_3repE0EEENS1_30default_config_static_selectorELNS0_4arch9wavefront6targetE0EEEvSZ_,comdat
	.globl	_ZN7rocprim17ROCPRIM_400000_NS6detail17trampoline_kernelINS0_13select_configILj256ELj13ELNS0_17block_load_methodE3ELS4_3ELS4_3ELNS0_20block_scan_algorithmE0ELj4294967295EEENS1_25partition_config_selectorILNS1_17partition_subalgoE3EjNS0_10empty_typeEbEEZZNS1_14partition_implILS8_3ELb0ES6_jNS0_17counting_iteratorIjlEEPS9_SE_NS0_5tupleIJPjSE_EEENSF_IJSE_SE_EEES9_SG_JZNS1_25segmented_radix_sort_implINS0_14default_configELb0EPK6__halfPSL_PKlPlN2at6native12_GLOBAL__N_18offset_tEEE10hipError_tPvRmT1_PNSt15iterator_traitsISZ_E10value_typeET2_T3_PNS10_IS15_E10value_typeET4_jRbjT5_S1B_jjP12ihipStream_tbEUljE_EEESW_SX_SY_S15_S19_S1B_T6_T7_T9_mT8_S1D_bDpT10_ENKUlT_T0_E_clISt17integral_constantIbLb1EES1P_IbLb0EEEEDaS1L_S1M_EUlS1L_E_NS1_11comp_targetILNS1_3genE9ELNS1_11target_archE1100ELNS1_3gpuE3ELNS1_3repE0EEENS1_30default_config_static_selectorELNS0_4arch9wavefront6targetE0EEEvSZ_ ; -- Begin function _ZN7rocprim17ROCPRIM_400000_NS6detail17trampoline_kernelINS0_13select_configILj256ELj13ELNS0_17block_load_methodE3ELS4_3ELS4_3ELNS0_20block_scan_algorithmE0ELj4294967295EEENS1_25partition_config_selectorILNS1_17partition_subalgoE3EjNS0_10empty_typeEbEEZZNS1_14partition_implILS8_3ELb0ES6_jNS0_17counting_iteratorIjlEEPS9_SE_NS0_5tupleIJPjSE_EEENSF_IJSE_SE_EEES9_SG_JZNS1_25segmented_radix_sort_implINS0_14default_configELb0EPK6__halfPSL_PKlPlN2at6native12_GLOBAL__N_18offset_tEEE10hipError_tPvRmT1_PNSt15iterator_traitsISZ_E10value_typeET2_T3_PNS10_IS15_E10value_typeET4_jRbjT5_S1B_jjP12ihipStream_tbEUljE_EEESW_SX_SY_S15_S19_S1B_T6_T7_T9_mT8_S1D_bDpT10_ENKUlT_T0_E_clISt17integral_constantIbLb1EES1P_IbLb0EEEEDaS1L_S1M_EUlS1L_E_NS1_11comp_targetILNS1_3genE9ELNS1_11target_archE1100ELNS1_3gpuE3ELNS1_3repE0EEENS1_30default_config_static_selectorELNS0_4arch9wavefront6targetE0EEEvSZ_
	.p2align	8
	.type	_ZN7rocprim17ROCPRIM_400000_NS6detail17trampoline_kernelINS0_13select_configILj256ELj13ELNS0_17block_load_methodE3ELS4_3ELS4_3ELNS0_20block_scan_algorithmE0ELj4294967295EEENS1_25partition_config_selectorILNS1_17partition_subalgoE3EjNS0_10empty_typeEbEEZZNS1_14partition_implILS8_3ELb0ES6_jNS0_17counting_iteratorIjlEEPS9_SE_NS0_5tupleIJPjSE_EEENSF_IJSE_SE_EEES9_SG_JZNS1_25segmented_radix_sort_implINS0_14default_configELb0EPK6__halfPSL_PKlPlN2at6native12_GLOBAL__N_18offset_tEEE10hipError_tPvRmT1_PNSt15iterator_traitsISZ_E10value_typeET2_T3_PNS10_IS15_E10value_typeET4_jRbjT5_S1B_jjP12ihipStream_tbEUljE_EEESW_SX_SY_S15_S19_S1B_T6_T7_T9_mT8_S1D_bDpT10_ENKUlT_T0_E_clISt17integral_constantIbLb1EES1P_IbLb0EEEEDaS1L_S1M_EUlS1L_E_NS1_11comp_targetILNS1_3genE9ELNS1_11target_archE1100ELNS1_3gpuE3ELNS1_3repE0EEENS1_30default_config_static_selectorELNS0_4arch9wavefront6targetE0EEEvSZ_,@function
_ZN7rocprim17ROCPRIM_400000_NS6detail17trampoline_kernelINS0_13select_configILj256ELj13ELNS0_17block_load_methodE3ELS4_3ELS4_3ELNS0_20block_scan_algorithmE0ELj4294967295EEENS1_25partition_config_selectorILNS1_17partition_subalgoE3EjNS0_10empty_typeEbEEZZNS1_14partition_implILS8_3ELb0ES6_jNS0_17counting_iteratorIjlEEPS9_SE_NS0_5tupleIJPjSE_EEENSF_IJSE_SE_EEES9_SG_JZNS1_25segmented_radix_sort_implINS0_14default_configELb0EPK6__halfPSL_PKlPlN2at6native12_GLOBAL__N_18offset_tEEE10hipError_tPvRmT1_PNSt15iterator_traitsISZ_E10value_typeET2_T3_PNS10_IS15_E10value_typeET4_jRbjT5_S1B_jjP12ihipStream_tbEUljE_EEESW_SX_SY_S15_S19_S1B_T6_T7_T9_mT8_S1D_bDpT10_ENKUlT_T0_E_clISt17integral_constantIbLb1EES1P_IbLb0EEEEDaS1L_S1M_EUlS1L_E_NS1_11comp_targetILNS1_3genE9ELNS1_11target_archE1100ELNS1_3gpuE3ELNS1_3repE0EEENS1_30default_config_static_selectorELNS0_4arch9wavefront6targetE0EEEvSZ_: ; @_ZN7rocprim17ROCPRIM_400000_NS6detail17trampoline_kernelINS0_13select_configILj256ELj13ELNS0_17block_load_methodE3ELS4_3ELS4_3ELNS0_20block_scan_algorithmE0ELj4294967295EEENS1_25partition_config_selectorILNS1_17partition_subalgoE3EjNS0_10empty_typeEbEEZZNS1_14partition_implILS8_3ELb0ES6_jNS0_17counting_iteratorIjlEEPS9_SE_NS0_5tupleIJPjSE_EEENSF_IJSE_SE_EEES9_SG_JZNS1_25segmented_radix_sort_implINS0_14default_configELb0EPK6__halfPSL_PKlPlN2at6native12_GLOBAL__N_18offset_tEEE10hipError_tPvRmT1_PNSt15iterator_traitsISZ_E10value_typeET2_T3_PNS10_IS15_E10value_typeET4_jRbjT5_S1B_jjP12ihipStream_tbEUljE_EEESW_SX_SY_S15_S19_S1B_T6_T7_T9_mT8_S1D_bDpT10_ENKUlT_T0_E_clISt17integral_constantIbLb1EES1P_IbLb0EEEEDaS1L_S1M_EUlS1L_E_NS1_11comp_targetILNS1_3genE9ELNS1_11target_archE1100ELNS1_3gpuE3ELNS1_3repE0EEENS1_30default_config_static_selectorELNS0_4arch9wavefront6targetE0EEEvSZ_
; %bb.0:
	s_clause 0x5
	s_load_b32 s2, s[0:1], 0x70
	s_load_b64 s[16:17], s[0:1], 0x10
	s_load_b64 s[12:13], s[0:1], 0x58
	s_load_b32 s18, s[0:1], 0x8
	s_load_b128 s[8:11], s[0:1], 0x48
	s_load_b128 s[4:7], s[0:1], 0x78
	s_mul_i32 s23, s15, 0xd00
	v_lshlrev_b32_e32 v30, 2, v0
	s_waitcnt lgkmcnt(0)
	s_mul_i32 s20, s2, 0xd00
	s_add_i32 s19, s2, -1
	s_add_u32 s2, s16, s20
	s_addc_u32 s3, s17, 0
	s_cmp_eq_u32 s15, s19
	v_cmp_lt_u64_e64 s3, s[2:3], s[12:13]
	s_cselect_b32 s14, -1, 0
	s_cmp_lg_u32 s15, s19
	s_cselect_b32 s21, -1, 0
	s_add_i32 s2, s18, s23
	s_delay_alu instid0(VALU_DEP_1)
	s_or_b32 s3, s21, s3
	s_add_i32 s18, s2, s16
	s_load_b32 s2, s[0:1], 0x88
	v_add_nc_u32_e32 v1, s18, v0
	s_load_b64 s[18:19], s[10:11], 0x0
	s_and_b32 vcc_lo, exec_lo, s3
	s_mov_b32 s10, -1
	s_delay_alu instid0(VALU_DEP_1)
	v_add_nc_u32_e32 v2, 0x100, v1
	v_add_nc_u32_e32 v3, 0x200, v1
	;; [unrolled: 1-line block ×12, first 2 shown]
	s_cbranch_vccz .LBB1832_2
; %bb.1:
	ds_store_2addr_stride64_b32 v30, v1, v2 offset1:4
	ds_store_2addr_stride64_b32 v30, v3, v4 offset0:8 offset1:12
	ds_store_2addr_stride64_b32 v30, v5, v6 offset0:16 offset1:20
	;; [unrolled: 1-line block ×5, first 2 shown]
	ds_store_b32 v30, v13 offset:12288
	s_waitcnt lgkmcnt(0)
	s_mov_b32 s10, 0
	s_barrier
.LBB1832_2:
	s_and_not1_b32 vcc_lo, exec_lo, s10
	s_add_i32 s20, s20, s16
	s_cbranch_vccnz .LBB1832_4
; %bb.3:
	ds_store_2addr_stride64_b32 v30, v1, v2 offset1:4
	ds_store_2addr_stride64_b32 v30, v3, v4 offset0:8 offset1:12
	ds_store_2addr_stride64_b32 v30, v5, v6 offset0:16 offset1:20
	ds_store_2addr_stride64_b32 v30, v7, v8 offset0:24 offset1:28
	ds_store_2addr_stride64_b32 v30, v9, v10 offset0:32 offset1:36
	ds_store_2addr_stride64_b32 v30, v11, v12 offset0:40 offset1:44
	ds_store_b32 v30, v13 offset:12288
	s_waitcnt lgkmcnt(0)
	s_barrier
.LBB1832_4:
	v_mul_u32_u24_e32 v33, 13, v0
	s_waitcnt lgkmcnt(0)
	buffer_gl0_inv
	v_cndmask_b32_e64 v31, 0, 1, s3
	s_sub_i32 s22, s12, s20
	s_and_not1_b32 vcc_lo, exec_lo, s3
	v_lshlrev_b32_e32 v1, 2, v33
	ds_load_2addr_b32 v[28:29], v1 offset1:1
	ds_load_2addr_b32 v[26:27], v1 offset0:2 offset1:3
	ds_load_2addr_b32 v[24:25], v1 offset0:4 offset1:5
	ds_load_2addr_b32 v[22:23], v1 offset0:6 offset1:7
	ds_load_2addr_b32 v[20:21], v1 offset0:8 offset1:9
	ds_load_2addr_b32 v[18:19], v1 offset0:10 offset1:11
	ds_load_b32 v32, v1 offset:48
	s_waitcnt lgkmcnt(0)
	s_barrier
	buffer_gl0_inv
	s_cbranch_vccnz .LBB1832_6
; %bb.5:
	v_add_nc_u32_e32 v1, s5, v28
	v_add_nc_u32_e32 v2, s7, v28
	;; [unrolled: 1-line block ×5, first 2 shown]
	v_mul_lo_u32 v1, v1, s4
	v_mul_lo_u32 v2, v2, s6
	;; [unrolled: 1-line block ×4, first 2 shown]
	v_add_nc_u32_e32 v6, s7, v26
	v_add_nc_u32_e32 v7, s5, v27
	;; [unrolled: 1-line block ×3, first 2 shown]
	v_mul_lo_u32 v5, v5, s4
	v_add_nc_u32_e32 v9, s5, v22
	v_sub_nc_u32_e32 v1, v1, v2
	v_mul_lo_u32 v2, v6, s6
	v_sub_nc_u32_e32 v3, v3, v4
	v_mul_lo_u32 v4, v7, s4
	v_mul_lo_u32 v6, v8, s6
	v_add_nc_u32_e32 v7, s5, v24
	v_cmp_lt_u32_e32 vcc_lo, s2, v1
	v_add_nc_u32_e32 v8, s5, v25
	v_add_nc_u32_e32 v10, s7, v22
	v_sub_nc_u32_e32 v2, v5, v2
	v_add_nc_u32_e32 v5, s7, v24
	v_cndmask_b32_e64 v1, 0, 1, vcc_lo
	v_sub_nc_u32_e32 v4, v4, v6
	v_mul_lo_u32 v6, v7, s4
	v_add_nc_u32_e32 v7, s7, v25
	v_cmp_lt_u32_e32 vcc_lo, s2, v3
	v_mul_lo_u32 v5, v5, s6
	v_mul_lo_u32 v8, v8, s4
	;; [unrolled: 1-line block ×4, first 2 shown]
	v_cndmask_b32_e64 v3, 0, 1, vcc_lo
	v_cmp_lt_u32_e32 vcc_lo, s2, v2
	v_mul_lo_u32 v10, v10, s6
	v_add_nc_u32_e32 v11, s5, v20
	v_sub_nc_u32_e32 v5, v6, v5
	v_add_nc_u32_e32 v12, s7, v20
	v_cndmask_b32_e64 v2, 0, 1, vcc_lo
	v_sub_nc_u32_e32 v6, v8, v7
	v_add_nc_u32_e32 v7, s5, v23
	v_add_nc_u32_e32 v8, s7, v23
	v_cmp_lt_u32_e32 vcc_lo, s2, v4
	v_sub_nc_u32_e32 v9, v9, v10
	v_mul_lo_u32 v10, v11, s4
	v_mul_lo_u32 v7, v7, s4
	;; [unrolled: 1-line block ×4, first 2 shown]
	v_cndmask_b32_e64 v4, 0, 1, vcc_lo
	v_cmp_lt_u32_e32 vcc_lo, s2, v5
	v_add_nc_u32_e32 v12, s5, v21
	v_add_nc_u32_e32 v13, s7, v18
	;; [unrolled: 1-line block ×4, first 2 shown]
	v_cndmask_b32_e64 v5, 0, 1, vcc_lo
	v_cmp_lt_u32_e32 vcc_lo, s2, v6
	v_sub_nc_u32_e32 v7, v7, v8
	v_sub_nc_u32_e32 v8, v10, v11
	v_add_nc_u32_e32 v11, s7, v21
	v_mul_lo_u32 v10, v12, s4
	v_cndmask_b32_e64 v6, 0, 1, vcc_lo
	v_cmp_lt_u32_e32 vcc_lo, s2, v9
	v_add_nc_u32_e32 v12, s5, v18
	v_mul_lo_u32 v11, v11, s6
	v_mul_lo_u32 v13, v13, s6
	v_mul_lo_u32 v14, v14, s4
	v_cndmask_b32_e64 v9, 0, 1, vcc_lo
	v_cmp_lt_u32_e32 vcc_lo, s2, v7
	v_mul_lo_u32 v12, v12, s4
	v_mul_lo_u32 v15, v15, s6
	v_lshlrev_b16 v3, 8, v3
	v_sub_nc_u32_e32 v10, v10, v11
	v_cndmask_b32_e64 v7, 0, 1, vcc_lo
	v_cmp_lt_u32_e32 vcc_lo, s2, v8
	v_add_nc_u32_e32 v11, s5, v32
	v_or_b32_e32 v1, v1, v3
	v_sub_nc_u32_e32 v12, v12, v13
	v_sub_nc_u32_e32 v13, v14, v15
	v_cndmask_b32_e64 v8, 0, 1, vcc_lo
	v_cmp_lt_u32_e32 vcc_lo, s2, v10
	v_add_nc_u32_e32 v16, s7, v32
	v_mul_lo_u32 v11, v11, s4
	v_lshlrev_b16 v4, 8, v4
	v_lshlrev_b16 v6, 8, v6
	v_cndmask_b32_e64 v10, 0, 1, vcc_lo
	v_cmp_lt_u32_e32 vcc_lo, s2, v12
	v_mul_lo_u32 v14, v16, s6
	v_lshlrev_b16 v7, 8, v7
	v_or_b32_e32 v2, v2, v4
	v_lshlrev_b16 v10, 8, v10
	v_cndmask_b32_e64 v3, 0, 1, vcc_lo
	v_cmp_lt_u32_e32 vcc_lo, s2, v13
	v_or_b32_e32 v4, v5, v6
	v_or_b32_e32 v5, v9, v7
	v_sub_nc_u32_e32 v11, v11, v14
	v_or_b32_e32 v6, v8, v10
	v_cndmask_b32_e64 v12, 0, 1, vcc_lo
	v_and_b32_e32 v1, 0xffff, v1
	v_lshlrev_b32_e32 v2, 16, v2
	v_and_b32_e32 v4, 0xffff, v4
	v_lshlrev_b32_e32 v5, 16, v5
	v_lshlrev_b16 v12, 8, v12
	v_and_b32_e32 v6, 0xffff, v6
	v_cmp_lt_u32_e32 vcc_lo, s2, v11
	v_or_b32_e32 v39, v1, v2
	v_or_b32_e32 v37, v4, v5
	;; [unrolled: 1-line block ×3, first 2 shown]
	s_mov_b32 s3, 0
	v_cndmask_b32_e64 v34, 0, 1, vcc_lo
	s_delay_alu instid0(VALU_DEP_2) | instskip(NEXT) | instid1(VALU_DEP_1)
	v_lshlrev_b32_e32 v3, 16, v3
	v_or_b32_e32 v35, v6, v3
	s_branch .LBB1832_7
.LBB1832_6:
	s_mov_b32 s3, -1
                                        ; implicit-def: $vgpr34
                                        ; implicit-def: $vgpr35
                                        ; implicit-def: $vgpr37
                                        ; implicit-def: $vgpr39
.LBB1832_7:
	s_clause 0x1
	s_load_b64 s[10:11], s[0:1], 0x28
	s_load_b64 s[20:21], s[0:1], 0x68
	s_and_not1_b32 vcc_lo, exec_lo, s3
	s_addk_i32 s22, 0xd00
	s_cbranch_vccnz .LBB1832_35
; %bb.8:
	v_dual_mov_b32 v2, 0 :: v_dual_mov_b32 v1, 0
	s_mov_b32 s0, exec_lo
	v_cmpx_gt_u32_e64 s22, v33
; %bb.9:
	v_add_nc_u32_e32 v1, s5, v28
	v_add_nc_u32_e32 v3, s7, v28
	s_delay_alu instid0(VALU_DEP_2) | instskip(NEXT) | instid1(VALU_DEP_2)
	v_mul_lo_u32 v1, v1, s4
	v_mul_lo_u32 v3, v3, s6
	s_delay_alu instid0(VALU_DEP_1) | instskip(NEXT) | instid1(VALU_DEP_1)
	v_sub_nc_u32_e32 v1, v1, v3
	v_cmp_lt_u32_e32 vcc_lo, s2, v1
	v_cndmask_b32_e64 v1, 0, 1, vcc_lo
; %bb.10:
	s_or_b32 exec_lo, exec_lo, s0
	v_add_nc_u32_e32 v3, 1, v33
	s_mov_b32 s0, exec_lo
	s_delay_alu instid0(VALU_DEP_1)
	v_cmpx_gt_u32_e64 s22, v3
; %bb.11:
	v_add_nc_u32_e32 v2, s5, v29
	v_add_nc_u32_e32 v3, s7, v29
	s_delay_alu instid0(VALU_DEP_2) | instskip(NEXT) | instid1(VALU_DEP_2)
	v_mul_lo_u32 v2, v2, s4
	v_mul_lo_u32 v3, v3, s6
	s_delay_alu instid0(VALU_DEP_1) | instskip(NEXT) | instid1(VALU_DEP_1)
	v_sub_nc_u32_e32 v2, v2, v3
	v_cmp_lt_u32_e32 vcc_lo, s2, v2
	v_cndmask_b32_e64 v2, 0, 1, vcc_lo
; %bb.12:
	s_or_b32 exec_lo, exec_lo, s0
	v_dual_mov_b32 v4, 0 :: v_dual_add_nc_u32 v3, 2, v33
	s_delay_alu instid0(VALU_DEP_1)
	v_cmp_gt_u32_e32 vcc_lo, s22, v3
	v_mov_b32_e32 v3, 0
	s_and_saveexec_b32 s0, vcc_lo
; %bb.13:
	v_add_nc_u32_e32 v3, s5, v26
	v_add_nc_u32_e32 v5, s7, v26
	s_delay_alu instid0(VALU_DEP_2) | instskip(NEXT) | instid1(VALU_DEP_2)
	v_mul_lo_u32 v3, v3, s4
	v_mul_lo_u32 v5, v5, s6
	s_delay_alu instid0(VALU_DEP_1) | instskip(NEXT) | instid1(VALU_DEP_1)
	v_sub_nc_u32_e32 v3, v3, v5
	v_cmp_lt_u32_e32 vcc_lo, s2, v3
	v_cndmask_b32_e64 v3, 0, 1, vcc_lo
; %bb.14:
	s_or_b32 exec_lo, exec_lo, s0
	v_add_nc_u32_e32 v5, 3, v33
	s_mov_b32 s0, exec_lo
	s_delay_alu instid0(VALU_DEP_1)
	v_cmpx_gt_u32_e64 s22, v5
; %bb.15:
	v_add_nc_u32_e32 v4, s5, v27
	v_add_nc_u32_e32 v5, s7, v27
	s_delay_alu instid0(VALU_DEP_2) | instskip(NEXT) | instid1(VALU_DEP_2)
	v_mul_lo_u32 v4, v4, s4
	v_mul_lo_u32 v5, v5, s6
	s_delay_alu instid0(VALU_DEP_1) | instskip(NEXT) | instid1(VALU_DEP_1)
	v_sub_nc_u32_e32 v4, v4, v5
	v_cmp_lt_u32_e32 vcc_lo, s2, v4
	v_cndmask_b32_e64 v4, 0, 1, vcc_lo
; %bb.16:
	s_or_b32 exec_lo, exec_lo, s0
	v_dual_mov_b32 v6, 0 :: v_dual_add_nc_u32 v5, 4, v33
	s_delay_alu instid0(VALU_DEP_1)
	v_cmp_gt_u32_e32 vcc_lo, s22, v5
	v_mov_b32_e32 v5, 0
	s_and_saveexec_b32 s0, vcc_lo
	;; [unrolled: 33-line block ×5, first 2 shown]
; %bb.29:
	v_add_nc_u32_e32 v11, s5, v18
	v_add_nc_u32_e32 v13, s7, v18
	s_delay_alu instid0(VALU_DEP_2) | instskip(NEXT) | instid1(VALU_DEP_2)
	v_mul_lo_u32 v11, v11, s4
	v_mul_lo_u32 v13, v13, s6
	s_delay_alu instid0(VALU_DEP_1) | instskip(NEXT) | instid1(VALU_DEP_1)
	v_sub_nc_u32_e32 v11, v11, v13
	v_cmp_lt_u32_e32 vcc_lo, s2, v11
	v_cndmask_b32_e64 v11, 0, 1, vcc_lo
; %bb.30:
	s_or_b32 exec_lo, exec_lo, s0
	v_add_nc_u32_e32 v13, 11, v33
	s_mov_b32 s0, exec_lo
	s_delay_alu instid0(VALU_DEP_1)
	v_cmpx_gt_u32_e64 s22, v13
; %bb.31:
	v_add_nc_u32_e32 v12, s5, v19
	v_add_nc_u32_e32 v13, s7, v19
	s_delay_alu instid0(VALU_DEP_2) | instskip(NEXT) | instid1(VALU_DEP_2)
	v_mul_lo_u32 v12, v12, s4
	v_mul_lo_u32 v13, v13, s6
	s_delay_alu instid0(VALU_DEP_1) | instskip(NEXT) | instid1(VALU_DEP_1)
	v_sub_nc_u32_e32 v12, v12, v13
	v_cmp_lt_u32_e32 vcc_lo, s2, v12
	v_cndmask_b32_e64 v12, 0, 1, vcc_lo
; %bb.32:
	s_or_b32 exec_lo, exec_lo, s0
	v_dual_mov_b32 v34, 0 :: v_dual_add_nc_u32 v13, 12, v33
	s_mov_b32 s0, exec_lo
	s_delay_alu instid0(VALU_DEP_1)
	v_cmpx_gt_u32_e64 s22, v13
; %bb.33:
	v_add_nc_u32_e32 v13, s5, v32
	v_add_nc_u32_e32 v14, s7, v32
	s_delay_alu instid0(VALU_DEP_2) | instskip(NEXT) | instid1(VALU_DEP_2)
	v_mul_lo_u32 v13, v13, s4
	v_mul_lo_u32 v14, v14, s6
	s_delay_alu instid0(VALU_DEP_1) | instskip(NEXT) | instid1(VALU_DEP_1)
	v_sub_nc_u32_e32 v13, v13, v14
	v_cmp_lt_u32_e32 vcc_lo, s2, v13
	v_cndmask_b32_e64 v34, 0, 1, vcc_lo
; %bb.34:
	s_or_b32 exec_lo, exec_lo, s0
	v_lshlrev_b16 v2, 8, v2
	v_lshlrev_b16 v4, 8, v4
	;; [unrolled: 1-line block ×5, first 2 shown]
	v_or_b32_e32 v1, v1, v2
	v_lshlrev_b16 v2, 8, v12
	v_or_b32_e32 v3, v3, v4
	v_or_b32_e32 v4, v5, v6
	;; [unrolled: 1-line block ×5, first 2 shown]
	v_and_b32_e32 v1, 0xffff, v1
	v_lshlrev_b32_e32 v3, 16, v3
	v_and_b32_e32 v4, 0xffff, v4
	v_lshlrev_b32_e32 v5, 16, v5
	;; [unrolled: 2-line block ×3, first 2 shown]
	v_or_b32_e32 v39, v1, v3
	s_delay_alu instid0(VALU_DEP_4) | instskip(NEXT) | instid1(VALU_DEP_3)
	v_or_b32_e32 v37, v4, v5
	v_or_b32_e32 v35, v6, v2
.LBB1832_35:
	s_delay_alu instid0(VALU_DEP_3)
	v_and_b32_e32 v41, 0xff, v39
	v_bfe_u32 v42, v39, 8, 8
	v_bfe_u32 v43, v39, 16, 8
	v_lshrrev_b32_e32 v40, 24, v39
	v_and_b32_e32 v44, 0xff, v37
	v_bfe_u32 v45, v37, 8, 8
	v_bfe_u32 v46, v37, 16, 8
	v_add3_u32 v1, v42, v41, v43
	v_lshrrev_b32_e32 v38, 24, v37
	v_and_b32_e32 v47, 0xff, v35
	v_bfe_u32 v48, v35, 8, 8
	v_mbcnt_lo_u32_b32 v50, -1, 0
	v_add3_u32 v1, v1, v40, v44
	v_bfe_u32 v49, v35, 16, 8
	v_lshrrev_b32_e32 v36, 24, v35
	v_and_b32_e32 v2, 0xff, v34
	v_and_b32_e32 v3, 15, v50
	v_add3_u32 v1, v1, v45, v46
	v_or_b32_e32 v4, 31, v0
	v_and_b32_e32 v5, 16, v50
	v_lshrrev_b32_e32 v51, 5, v0
	v_cmp_eq_u32_e64 s5, 0, v3
	v_add3_u32 v1, v1, v38, v47
	v_cmp_lt_u32_e64 s4, 1, v3
	v_cmp_lt_u32_e64 s3, 3, v3
	;; [unrolled: 1-line block ×3, first 2 shown]
	v_cmp_eq_u32_e64 s1, 0, v5
	v_add3_u32 v1, v1, v48, v49
	v_cmp_eq_u32_e64 s0, v4, v0
	s_cmp_lg_u32 s15, 0
	s_mov_b32 s6, -1
	s_delay_alu instid0(VALU_DEP_2)
	v_add3_u32 v52, v1, v36, v2
	s_cbranch_scc0 .LBB1832_66
; %bb.36:
	s_delay_alu instid0(VALU_DEP_1) | instskip(NEXT) | instid1(VALU_DEP_1)
	v_mov_b32_dpp v1, v52 row_shr:1 row_mask:0xf bank_mask:0xf
	v_cndmask_b32_e64 v1, v1, 0, s5
	s_delay_alu instid0(VALU_DEP_1) | instskip(NEXT) | instid1(VALU_DEP_1)
	v_add_nc_u32_e32 v1, v1, v52
	v_mov_b32_dpp v2, v1 row_shr:2 row_mask:0xf bank_mask:0xf
	s_delay_alu instid0(VALU_DEP_1) | instskip(NEXT) | instid1(VALU_DEP_1)
	v_cndmask_b32_e64 v2, 0, v2, s4
	v_add_nc_u32_e32 v1, v1, v2
	s_delay_alu instid0(VALU_DEP_1) | instskip(NEXT) | instid1(VALU_DEP_1)
	v_mov_b32_dpp v2, v1 row_shr:4 row_mask:0xf bank_mask:0xf
	v_cndmask_b32_e64 v2, 0, v2, s3
	s_delay_alu instid0(VALU_DEP_1) | instskip(NEXT) | instid1(VALU_DEP_1)
	v_add_nc_u32_e32 v1, v1, v2
	v_mov_b32_dpp v2, v1 row_shr:8 row_mask:0xf bank_mask:0xf
	s_delay_alu instid0(VALU_DEP_1) | instskip(NEXT) | instid1(VALU_DEP_1)
	v_cndmask_b32_e64 v2, 0, v2, s2
	v_add_nc_u32_e32 v1, v1, v2
	ds_swizzle_b32 v2, v1 offset:swizzle(BROADCAST,32,15)
	s_waitcnt lgkmcnt(0)
	v_cndmask_b32_e64 v2, v2, 0, s1
	s_delay_alu instid0(VALU_DEP_1)
	v_add_nc_u32_e32 v1, v1, v2
	s_and_saveexec_b32 s6, s0
	s_cbranch_execz .LBB1832_38
; %bb.37:
	v_lshlrev_b32_e32 v2, 2, v51
	ds_store_b32 v2, v1
.LBB1832_38:
	s_or_b32 exec_lo, exec_lo, s6
	s_delay_alu instid0(SALU_CYCLE_1)
	s_mov_b32 s6, exec_lo
	s_waitcnt lgkmcnt(0)
	s_barrier
	buffer_gl0_inv
	v_cmpx_gt_u32_e32 8, v0
	s_cbranch_execz .LBB1832_40
; %bb.39:
	ds_load_b32 v2, v30
	s_waitcnt lgkmcnt(0)
	v_mov_b32_dpp v4, v2 row_shr:1 row_mask:0xf bank_mask:0xf
	v_and_b32_e32 v3, 7, v50
	s_delay_alu instid0(VALU_DEP_1) | instskip(NEXT) | instid1(VALU_DEP_3)
	v_cmp_ne_u32_e32 vcc_lo, 0, v3
	v_cndmask_b32_e32 v4, 0, v4, vcc_lo
	v_cmp_lt_u32_e32 vcc_lo, 1, v3
	s_delay_alu instid0(VALU_DEP_2) | instskip(NEXT) | instid1(VALU_DEP_1)
	v_add_nc_u32_e32 v2, v4, v2
	v_mov_b32_dpp v4, v2 row_shr:2 row_mask:0xf bank_mask:0xf
	s_delay_alu instid0(VALU_DEP_1) | instskip(SKIP_1) | instid1(VALU_DEP_2)
	v_cndmask_b32_e32 v4, 0, v4, vcc_lo
	v_cmp_lt_u32_e32 vcc_lo, 3, v3
	v_add_nc_u32_e32 v2, v2, v4
	s_delay_alu instid0(VALU_DEP_1) | instskip(NEXT) | instid1(VALU_DEP_1)
	v_mov_b32_dpp v4, v2 row_shr:4 row_mask:0xf bank_mask:0xf
	v_cndmask_b32_e32 v3, 0, v4, vcc_lo
	s_delay_alu instid0(VALU_DEP_1)
	v_add_nc_u32_e32 v2, v2, v3
	ds_store_b32 v30, v2
.LBB1832_40:
	s_or_b32 exec_lo, exec_lo, s6
	v_cmp_gt_u32_e32 vcc_lo, 32, v0
	s_mov_b32 s7, exec_lo
	s_waitcnt lgkmcnt(0)
	s_barrier
	buffer_gl0_inv
                                        ; implicit-def: $vgpr8
	v_cmpx_lt_u32_e32 31, v0
	s_cbranch_execz .LBB1832_42
; %bb.41:
	v_lshl_add_u32 v2, v51, 2, -4
	ds_load_b32 v8, v2
	s_waitcnt lgkmcnt(0)
	v_add_nc_u32_e32 v1, v8, v1
.LBB1832_42:
	s_or_b32 exec_lo, exec_lo, s7
	v_add_nc_u32_e32 v2, -1, v50
	s_delay_alu instid0(VALU_DEP_1) | instskip(NEXT) | instid1(VALU_DEP_1)
	v_cmp_gt_i32_e64 s6, 0, v2
	v_cndmask_b32_e64 v2, v2, v50, s6
	v_cmp_eq_u32_e64 s6, 0, v50
	s_delay_alu instid0(VALU_DEP_2)
	v_lshlrev_b32_e32 v2, 2, v2
	ds_bpermute_b32 v9, v2, v1
	s_and_saveexec_b32 s7, vcc_lo
	s_cbranch_execz .LBB1832_65
; %bb.43:
	v_mov_b32_e32 v4, 0
	ds_load_b32 v1, v4 offset:28
	s_and_saveexec_b32 s24, s6
	s_cbranch_execz .LBB1832_45
; %bb.44:
	s_add_i32 s26, s15, 32
	s_mov_b32 s27, 0
	v_mov_b32_e32 v2, 1
	s_lshl_b64 s[26:27], s[26:27], 3
	s_delay_alu instid0(SALU_CYCLE_1)
	s_add_u32 s26, s20, s26
	s_addc_u32 s27, s21, s27
	s_waitcnt lgkmcnt(0)
	global_store_b64 v4, v[1:2], s[26:27]
.LBB1832_45:
	s_or_b32 exec_lo, exec_lo, s24
	v_xad_u32 v2, v50, -1, s15
	s_mov_b32 s25, 0
	s_mov_b32 s24, exec_lo
	s_delay_alu instid0(VALU_DEP_1) | instskip(NEXT) | instid1(VALU_DEP_1)
	v_add_nc_u32_e32 v3, 32, v2
	v_lshlrev_b64 v[3:4], 3, v[3:4]
	s_delay_alu instid0(VALU_DEP_1) | instskip(NEXT) | instid1(VALU_DEP_2)
	v_add_co_u32 v6, vcc_lo, s20, v3
	v_add_co_ci_u32_e32 v7, vcc_lo, s21, v4, vcc_lo
	global_load_b64 v[4:5], v[6:7], off glc
	s_waitcnt vmcnt(0)
	v_and_b32_e32 v3, 0xff, v5
	s_delay_alu instid0(VALU_DEP_1)
	v_cmpx_eq_u16_e32 0, v3
	s_cbranch_execz .LBB1832_51
; %bb.46:
	s_mov_b32 s26, 1
	.p2align	6
.LBB1832_47:                            ; =>This Loop Header: Depth=1
                                        ;     Child Loop BB1832_48 Depth 2
	s_delay_alu instid0(SALU_CYCLE_1)
	s_max_u32 s27, s26, 1
.LBB1832_48:                            ;   Parent Loop BB1832_47 Depth=1
                                        ; =>  This Inner Loop Header: Depth=2
	s_delay_alu instid0(SALU_CYCLE_1)
	s_add_i32 s27, s27, -1
	s_sleep 1
	s_cmp_eq_u32 s27, 0
	s_cbranch_scc0 .LBB1832_48
; %bb.49:                               ;   in Loop: Header=BB1832_47 Depth=1
	global_load_b64 v[4:5], v[6:7], off glc
	s_cmp_lt_u32 s26, 32
	s_cselect_b32 s27, -1, 0
	s_delay_alu instid0(SALU_CYCLE_1) | instskip(SKIP_3) | instid1(VALU_DEP_1)
	s_cmp_lg_u32 s27, 0
	s_addc_u32 s26, s26, 0
	s_waitcnt vmcnt(0)
	v_and_b32_e32 v3, 0xff, v5
	v_cmp_ne_u16_e32 vcc_lo, 0, v3
	s_or_b32 s25, vcc_lo, s25
	s_delay_alu instid0(SALU_CYCLE_1)
	s_and_not1_b32 exec_lo, exec_lo, s25
	s_cbranch_execnz .LBB1832_47
; %bb.50:
	s_or_b32 exec_lo, exec_lo, s25
.LBB1832_51:
	s_delay_alu instid0(SALU_CYCLE_1)
	s_or_b32 exec_lo, exec_lo, s24
	v_cmp_ne_u32_e32 vcc_lo, 31, v50
	v_lshlrev_b32_e64 v11, v50, -1
	v_add_nc_u32_e32 v13, 2, v50
	v_add_nc_u32_e32 v16, 4, v50
	;; [unrolled: 1-line block ×3, first 2 shown]
	v_add_co_ci_u32_e32 v3, vcc_lo, 0, v50, vcc_lo
	v_add_nc_u32_e32 v55, 16, v50
	s_delay_alu instid0(VALU_DEP_2) | instskip(SKIP_2) | instid1(VALU_DEP_1)
	v_lshlrev_b32_e32 v10, 2, v3
	ds_bpermute_b32 v6, v10, v4
	v_and_b32_e32 v3, 0xff, v5
	v_cmp_eq_u16_e32 vcc_lo, 2, v3
	v_and_or_b32 v3, vcc_lo, v11, 0x80000000
	v_cmp_gt_u32_e32 vcc_lo, 30, v50
	s_delay_alu instid0(VALU_DEP_2) | instskip(SKIP_1) | instid1(VALU_DEP_2)
	v_ctz_i32_b32_e32 v3, v3
	v_cndmask_b32_e64 v7, 0, 1, vcc_lo
	v_cmp_lt_u32_e32 vcc_lo, v50, v3
	s_waitcnt lgkmcnt(0)
	s_delay_alu instid0(VALU_DEP_2) | instskip(NEXT) | instid1(VALU_DEP_1)
	v_dual_cndmask_b32 v6, 0, v6 :: v_dual_lshlrev_b32 v7, 1, v7
	v_add_lshl_u32 v12, v7, v50, 2
	v_cmp_gt_u32_e32 vcc_lo, 28, v50
	s_delay_alu instid0(VALU_DEP_3) | instskip(SKIP_4) | instid1(VALU_DEP_1)
	v_add_nc_u32_e32 v4, v6, v4
	v_cndmask_b32_e64 v7, 0, 1, vcc_lo
	v_cmp_le_u32_e32 vcc_lo, v13, v3
	ds_bpermute_b32 v6, v12, v4
	v_lshlrev_b32_e32 v7, 2, v7
	v_add_lshl_u32 v14, v7, v50, 2
	s_waitcnt lgkmcnt(0)
	v_cndmask_b32_e32 v6, 0, v6, vcc_lo
	v_cmp_gt_u32_e32 vcc_lo, 24, v50
	s_delay_alu instid0(VALU_DEP_2) | instskip(SKIP_4) | instid1(VALU_DEP_1)
	v_add_nc_u32_e32 v4, v4, v6
	v_cndmask_b32_e64 v7, 0, 1, vcc_lo
	v_cmp_le_u32_e32 vcc_lo, v16, v3
	ds_bpermute_b32 v6, v14, v4
	v_lshlrev_b32_e32 v7, 3, v7
	v_add_lshl_u32 v17, v7, v50, 2
	s_waitcnt lgkmcnt(0)
	v_cndmask_b32_e32 v6, 0, v6, vcc_lo
	v_cmp_gt_u32_e32 vcc_lo, 16, v50
	s_delay_alu instid0(VALU_DEP_2) | instskip(SKIP_4) | instid1(VALU_DEP_1)
	v_add_nc_u32_e32 v4, v4, v6
	v_cndmask_b32_e64 v7, 0, 1, vcc_lo
	v_cmp_le_u32_e32 vcc_lo, v53, v3
	ds_bpermute_b32 v6, v17, v4
	v_lshlrev_b32_e32 v7, 4, v7
	v_add_lshl_u32 v54, v7, v50, 2
	s_waitcnt lgkmcnt(0)
	v_cndmask_b32_e32 v6, 0, v6, vcc_lo
	v_cmp_le_u32_e32 vcc_lo, v55, v3
	s_delay_alu instid0(VALU_DEP_2) | instskip(SKIP_3) | instid1(VALU_DEP_1)
	v_add_nc_u32_e32 v4, v4, v6
	ds_bpermute_b32 v6, v54, v4
	s_waitcnt lgkmcnt(0)
	v_cndmask_b32_e32 v3, 0, v6, vcc_lo
	v_dual_mov_b32 v3, 0 :: v_dual_add_nc_u32 v4, v4, v3
	s_branch .LBB1832_53
.LBB1832_52:                            ;   in Loop: Header=BB1832_53 Depth=1
	s_or_b32 exec_lo, exec_lo, s24
	ds_bpermute_b32 v7, v10, v4
	v_and_b32_e32 v6, 0xff, v5
	v_subrev_nc_u32_e32 v2, 32, v2
	s_delay_alu instid0(VALU_DEP_2) | instskip(SKIP_1) | instid1(VALU_DEP_1)
	v_cmp_eq_u16_e32 vcc_lo, 2, v6
	v_and_or_b32 v6, vcc_lo, v11, 0x80000000
	v_ctz_i32_b32_e32 v6, v6
	s_delay_alu instid0(VALU_DEP_1) | instskip(SKIP_3) | instid1(VALU_DEP_2)
	v_cmp_lt_u32_e32 vcc_lo, v50, v6
	s_waitcnt lgkmcnt(0)
	v_cndmask_b32_e32 v7, 0, v7, vcc_lo
	v_cmp_le_u32_e32 vcc_lo, v13, v6
	v_add_nc_u32_e32 v4, v7, v4
	ds_bpermute_b32 v7, v12, v4
	s_waitcnt lgkmcnt(0)
	v_cndmask_b32_e32 v7, 0, v7, vcc_lo
	v_cmp_le_u32_e32 vcc_lo, v16, v6
	s_delay_alu instid0(VALU_DEP_2) | instskip(SKIP_4) | instid1(VALU_DEP_2)
	v_add_nc_u32_e32 v4, v4, v7
	ds_bpermute_b32 v7, v14, v4
	s_waitcnt lgkmcnt(0)
	v_cndmask_b32_e32 v7, 0, v7, vcc_lo
	v_cmp_le_u32_e32 vcc_lo, v53, v6
	v_add_nc_u32_e32 v4, v4, v7
	ds_bpermute_b32 v7, v17, v4
	s_waitcnt lgkmcnt(0)
	v_cndmask_b32_e32 v7, 0, v7, vcc_lo
	v_cmp_le_u32_e32 vcc_lo, v55, v6
	s_delay_alu instid0(VALU_DEP_2) | instskip(SKIP_3) | instid1(VALU_DEP_1)
	v_add_nc_u32_e32 v4, v4, v7
	ds_bpermute_b32 v7, v54, v4
	s_waitcnt lgkmcnt(0)
	v_cndmask_b32_e32 v6, 0, v7, vcc_lo
	v_add3_u32 v4, v6, v15, v4
.LBB1832_53:                            ; =>This Loop Header: Depth=1
                                        ;     Child Loop BB1832_56 Depth 2
                                        ;       Child Loop BB1832_57 Depth 3
	v_and_b32_e32 v5, 0xff, v5
	s_delay_alu instid0(VALU_DEP_2) | instskip(NEXT) | instid1(VALU_DEP_2)
	v_mov_b32_e32 v15, v4
	v_cmp_ne_u16_e32 vcc_lo, 2, v5
	v_cndmask_b32_e64 v5, 0, 1, vcc_lo
	;;#ASMSTART
	;;#ASMEND
	s_delay_alu instid0(VALU_DEP_1)
	v_cmp_ne_u32_e32 vcc_lo, 0, v5
	s_cmp_lg_u32 vcc_lo, exec_lo
	s_cbranch_scc1 .LBB1832_60
; %bb.54:                               ;   in Loop: Header=BB1832_53 Depth=1
	v_lshlrev_b64 v[4:5], 3, v[2:3]
	s_mov_b32 s24, exec_lo
	s_delay_alu instid0(VALU_DEP_1) | instskip(NEXT) | instid1(VALU_DEP_2)
	v_add_co_u32 v6, vcc_lo, s20, v4
	v_add_co_ci_u32_e32 v7, vcc_lo, s21, v5, vcc_lo
	global_load_b64 v[4:5], v[6:7], off glc
	s_waitcnt vmcnt(0)
	v_and_b32_e32 v56, 0xff, v5
	s_delay_alu instid0(VALU_DEP_1)
	v_cmpx_eq_u16_e32 0, v56
	s_cbranch_execz .LBB1832_52
; %bb.55:                               ;   in Loop: Header=BB1832_53 Depth=1
	s_mov_b32 s26, 1
	s_mov_b32 s25, 0
	.p2align	6
.LBB1832_56:                            ;   Parent Loop BB1832_53 Depth=1
                                        ; =>  This Loop Header: Depth=2
                                        ;       Child Loop BB1832_57 Depth 3
	s_max_u32 s27, s26, 1
.LBB1832_57:                            ;   Parent Loop BB1832_53 Depth=1
                                        ;     Parent Loop BB1832_56 Depth=2
                                        ; =>    This Inner Loop Header: Depth=3
	s_delay_alu instid0(SALU_CYCLE_1)
	s_add_i32 s27, s27, -1
	s_sleep 1
	s_cmp_eq_u32 s27, 0
	s_cbranch_scc0 .LBB1832_57
; %bb.58:                               ;   in Loop: Header=BB1832_56 Depth=2
	global_load_b64 v[4:5], v[6:7], off glc
	s_cmp_lt_u32 s26, 32
	s_cselect_b32 s27, -1, 0
	s_delay_alu instid0(SALU_CYCLE_1) | instskip(SKIP_3) | instid1(VALU_DEP_1)
	s_cmp_lg_u32 s27, 0
	s_addc_u32 s26, s26, 0
	s_waitcnt vmcnt(0)
	v_and_b32_e32 v56, 0xff, v5
	v_cmp_ne_u16_e32 vcc_lo, 0, v56
	s_or_b32 s25, vcc_lo, s25
	s_delay_alu instid0(SALU_CYCLE_1)
	s_and_not1_b32 exec_lo, exec_lo, s25
	s_cbranch_execnz .LBB1832_56
; %bb.59:                               ;   in Loop: Header=BB1832_53 Depth=1
	s_or_b32 exec_lo, exec_lo, s25
	s_branch .LBB1832_52
.LBB1832_60:                            ;   in Loop: Header=BB1832_53 Depth=1
                                        ; implicit-def: $vgpr4
                                        ; implicit-def: $vgpr5
	s_cbranch_execz .LBB1832_53
; %bb.61:
	s_and_saveexec_b32 s24, s6
	s_cbranch_execz .LBB1832_63
; %bb.62:
	s_add_i32 s26, s15, 32
	s_mov_b32 s27, 0
	v_dual_mov_b32 v3, 2 :: v_dual_add_nc_u32 v2, v15, v1
	s_lshl_b64 s[26:27], s[26:27], 3
	v_mov_b32_e32 v4, 0
	v_add_nc_u32_e64 v5, 0x3400, 0
	s_add_u32 s26, s20, s26
	s_addc_u32 s27, s21, s27
	global_store_b64 v4, v[2:3], s[26:27]
	ds_store_2addr_b32 v5, v1, v15 offset1:2
.LBB1832_63:
	s_or_b32 exec_lo, exec_lo, s24
	v_cmp_eq_u32_e32 vcc_lo, 0, v0
	s_and_b32 exec_lo, exec_lo, vcc_lo
	s_cbranch_execz .LBB1832_65
; %bb.64:
	v_mov_b32_e32 v1, 0
	ds_store_b32 v1, v15 offset:28
.LBB1832_65:
	s_or_b32 exec_lo, exec_lo, s7
	s_waitcnt lgkmcnt(0)
	v_cndmask_b32_e64 v2, v9, v8, s6
	v_cmp_ne_u32_e32 vcc_lo, 0, v0
	v_mov_b32_e32 v1, 0
	s_waitcnt_vscnt null, 0x0
	s_barrier
	buffer_gl0_inv
	v_cndmask_b32_e32 v2, 0, v2, vcc_lo
	ds_load_b32 v1, v1 offset:28
	v_add_nc_u32_e64 v11, 0x3400, 0
	s_waitcnt lgkmcnt(0)
	s_barrier
	buffer_gl0_inv
	ds_load_2addr_b32 v[16:17], v11 offset1:2
	v_add_nc_u32_e32 v1, v1, v2
	s_delay_alu instid0(VALU_DEP_1) | instskip(NEXT) | instid1(VALU_DEP_1)
	v_add_nc_u32_e32 v2, v1, v41
	v_add_nc_u32_e32 v3, v2, v42
	s_delay_alu instid0(VALU_DEP_1) | instskip(NEXT) | instid1(VALU_DEP_1)
	v_add_nc_u32_e32 v4, v3, v43
	;; [unrolled: 3-line block ×6, first 2 shown]
	v_add_nc_u32_e32 v13, v12, v36
	s_branch .LBB1832_76
.LBB1832_66:
                                        ; implicit-def: $vgpr17
                                        ; implicit-def: $vgpr1_vgpr2_vgpr3_vgpr4_vgpr5_vgpr6_vgpr7_vgpr8_vgpr9_vgpr10_vgpr11_vgpr12_vgpr13_vgpr14_vgpr15_vgpr16
	s_and_b32 vcc_lo, exec_lo, s6
	s_cbranch_vccz .LBB1832_76
; %bb.67:
	s_delay_alu instid0(VALU_DEP_1) | instskip(NEXT) | instid1(VALU_DEP_1)
	v_mov_b32_dpp v1, v52 row_shr:1 row_mask:0xf bank_mask:0xf
	v_cndmask_b32_e64 v1, v1, 0, s5
	s_delay_alu instid0(VALU_DEP_1) | instskip(NEXT) | instid1(VALU_DEP_1)
	v_add_nc_u32_e32 v1, v1, v52
	v_mov_b32_dpp v2, v1 row_shr:2 row_mask:0xf bank_mask:0xf
	s_delay_alu instid0(VALU_DEP_1) | instskip(NEXT) | instid1(VALU_DEP_1)
	v_cndmask_b32_e64 v2, 0, v2, s4
	v_add_nc_u32_e32 v1, v1, v2
	s_delay_alu instid0(VALU_DEP_1) | instskip(NEXT) | instid1(VALU_DEP_1)
	v_mov_b32_dpp v2, v1 row_shr:4 row_mask:0xf bank_mask:0xf
	v_cndmask_b32_e64 v2, 0, v2, s3
	s_delay_alu instid0(VALU_DEP_1) | instskip(NEXT) | instid1(VALU_DEP_1)
	v_add_nc_u32_e32 v1, v1, v2
	v_mov_b32_dpp v2, v1 row_shr:8 row_mask:0xf bank_mask:0xf
	s_delay_alu instid0(VALU_DEP_1) | instskip(NEXT) | instid1(VALU_DEP_1)
	v_cndmask_b32_e64 v2, 0, v2, s2
	v_add_nc_u32_e32 v1, v1, v2
	ds_swizzle_b32 v2, v1 offset:swizzle(BROADCAST,32,15)
	s_waitcnt lgkmcnt(0)
	v_cndmask_b32_e64 v2, v2, 0, s1
	s_delay_alu instid0(VALU_DEP_1)
	v_add_nc_u32_e32 v1, v1, v2
	s_and_saveexec_b32 s1, s0
	s_cbranch_execz .LBB1832_69
; %bb.68:
	v_lshlrev_b32_e32 v2, 2, v51
	ds_store_b32 v2, v1
.LBB1832_69:
	s_or_b32 exec_lo, exec_lo, s1
	s_delay_alu instid0(SALU_CYCLE_1)
	s_mov_b32 s0, exec_lo
	s_waitcnt lgkmcnt(0)
	s_barrier
	buffer_gl0_inv
	v_cmpx_gt_u32_e32 8, v0
	s_cbranch_execz .LBB1832_71
; %bb.70:
	ds_load_b32 v2, v30
	s_waitcnt lgkmcnt(0)
	v_mov_b32_dpp v4, v2 row_shr:1 row_mask:0xf bank_mask:0xf
	v_and_b32_e32 v3, 7, v50
	s_delay_alu instid0(VALU_DEP_1) | instskip(NEXT) | instid1(VALU_DEP_3)
	v_cmp_ne_u32_e32 vcc_lo, 0, v3
	v_cndmask_b32_e32 v4, 0, v4, vcc_lo
	v_cmp_lt_u32_e32 vcc_lo, 1, v3
	s_delay_alu instid0(VALU_DEP_2) | instskip(NEXT) | instid1(VALU_DEP_1)
	v_add_nc_u32_e32 v2, v4, v2
	v_mov_b32_dpp v4, v2 row_shr:2 row_mask:0xf bank_mask:0xf
	s_delay_alu instid0(VALU_DEP_1) | instskip(SKIP_1) | instid1(VALU_DEP_2)
	v_cndmask_b32_e32 v4, 0, v4, vcc_lo
	v_cmp_lt_u32_e32 vcc_lo, 3, v3
	v_add_nc_u32_e32 v2, v2, v4
	s_delay_alu instid0(VALU_DEP_1) | instskip(NEXT) | instid1(VALU_DEP_1)
	v_mov_b32_dpp v4, v2 row_shr:4 row_mask:0xf bank_mask:0xf
	v_cndmask_b32_e32 v3, 0, v4, vcc_lo
	s_delay_alu instid0(VALU_DEP_1)
	v_add_nc_u32_e32 v2, v2, v3
	ds_store_b32 v30, v2
.LBB1832_71:
	s_or_b32 exec_lo, exec_lo, s0
	v_dual_mov_b32 v3, 0 :: v_dual_mov_b32 v2, 0
	s_mov_b32 s0, exec_lo
	s_waitcnt lgkmcnt(0)
	s_barrier
	buffer_gl0_inv
	v_cmpx_lt_u32_e32 31, v0
	s_cbranch_execz .LBB1832_73
; %bb.72:
	v_lshl_add_u32 v2, v51, 2, -4
	ds_load_b32 v2, v2
.LBB1832_73:
	s_or_b32 exec_lo, exec_lo, s0
	v_add_nc_u32_e32 v4, -1, v50
	ds_load_b32 v16, v3 offset:28
	s_waitcnt lgkmcnt(1)
	v_add_nc_u32_e32 v1, v2, v1
	v_cmp_gt_i32_e32 vcc_lo, 0, v4
	v_cndmask_b32_e32 v4, v4, v50, vcc_lo
	v_cmp_eq_u32_e32 vcc_lo, 0, v0
	s_delay_alu instid0(VALU_DEP_2)
	v_lshlrev_b32_e32 v4, 2, v4
	ds_bpermute_b32 v1, v4, v1
	s_and_saveexec_b32 s0, vcc_lo
	s_cbranch_execz .LBB1832_75
; %bb.74:
	v_mov_b32_e32 v3, 0
	v_mov_b32_e32 v17, 2
	s_waitcnt lgkmcnt(1)
	global_store_b64 v3, v[16:17], s[20:21] offset:256
.LBB1832_75:
	s_or_b32 exec_lo, exec_lo, s0
	v_cmp_eq_u32_e64 s0, 0, v50
	s_waitcnt lgkmcnt(0)
	s_waitcnt_vscnt null, 0x0
	s_barrier
	buffer_gl0_inv
	v_mov_b32_e32 v17, 0
	v_cndmask_b32_e64 v1, v1, v2, s0
	s_delay_alu instid0(VALU_DEP_1) | instskip(NEXT) | instid1(VALU_DEP_1)
	v_cndmask_b32_e64 v1, v1, 0, vcc_lo
	v_add_nc_u32_e32 v2, v1, v41
	s_delay_alu instid0(VALU_DEP_1) | instskip(NEXT) | instid1(VALU_DEP_1)
	v_add_nc_u32_e32 v3, v2, v42
	v_add_nc_u32_e32 v4, v3, v43
	s_delay_alu instid0(VALU_DEP_1) | instskip(NEXT) | instid1(VALU_DEP_1)
	v_add_nc_u32_e32 v5, v4, v40
	;; [unrolled: 3-line block ×5, first 2 shown]
	v_add_nc_u32_e32 v12, v11, v49
	s_delay_alu instid0(VALU_DEP_1)
	v_add_nc_u32_e32 v13, v12, v36
.LBB1832_76:
	v_lshrrev_b32_e32 v44, 8, v39
	v_lshrrev_b32_e32 v43, 16, v39
	s_waitcnt lgkmcnt(0)
	v_sub_nc_u32_e32 v1, v1, v17
	v_and_b32_e32 v39, 1, v39
	v_sub_nc_u32_e32 v3, v3, v17
	v_add_nc_u32_e32 v33, v16, v33
	v_sub_nc_u32_e32 v2, v2, v17
	v_sub_nc_u32_e32 v4, v4, v17
	v_cmp_eq_u32_e32 vcc_lo, 1, v39
	v_and_b32_e32 v39, 1, v43
	v_sub_nc_u32_e32 v45, v33, v1
	v_and_b32_e32 v44, 1, v44
	v_sub_nc_u32_e32 v43, v33, v2
	v_lshrrev_b32_e32 v42, 8, v37
	v_lshrrev_b32_e32 v41, 16, v37
	v_cndmask_b32_e32 v1, v45, v1, vcc_lo
	v_sub_nc_u32_e32 v45, v33, v3
	v_add_nc_u32_e32 v43, 1, v43
	v_cmp_eq_u32_e32 vcc_lo, 1, v44
	v_and_b32_e32 v40, 1, v40
	v_lshlrev_b32_e32 v1, 2, v1
	v_add_nc_u32_e32 v45, 2, v45
	v_lshrrev_b32_e32 v15, 8, v35
	v_lshrrev_b32_e32 v14, 16, v35
	ds_store_b32 v1, v28
	v_cndmask_b32_e32 v1, v43, v2, vcc_lo
	v_cmp_eq_u32_e32 vcc_lo, 1, v39
	v_or_b32_e32 v28, 0x500, v0
	s_delay_alu instid0(VALU_DEP_3)
	v_dual_cndmask_b32 v2, v45, v3 :: v_dual_lshlrev_b32 v1, 2, v1
	v_sub_nc_u32_e32 v46, v33, v4
	v_cmp_eq_u32_e32 vcc_lo, 1, v40
	ds_store_b32 v1, v29
	v_lshlrev_b32_e32 v2, 2, v2
	v_add_nc_u32_e32 v46, 3, v46
	v_or_b32_e32 v29, 0x400, v0
	s_delay_alu instid0(VALU_DEP_2) | instskip(SKIP_2) | instid1(VALU_DEP_3)
	v_cndmask_b32_e32 v3, v46, v4, vcc_lo
	v_sub_nc_u32_e32 v4, v5, v17
	v_sub_nc_u32_e32 v5, v6, v17
	v_lshlrev_b32_e32 v3, 2, v3
	s_delay_alu instid0(VALU_DEP_3) | instskip(NEXT) | instid1(VALU_DEP_3)
	v_sub_nc_u32_e32 v1, v33, v4
	v_sub_nc_u32_e32 v6, v33, v5
	ds_store_b32 v2, v26
	ds_store_b32 v3, v27
	v_and_b32_e32 v2, 1, v37
	v_add_nc_u32_e32 v1, 4, v1
	v_add_nc_u32_e32 v3, 5, v6
	v_sub_nc_u32_e32 v6, v7, v17
	v_and_b32_e32 v7, 1, v42
	v_cmp_eq_u32_e32 vcc_lo, 1, v2
	v_sub_nc_u32_e32 v2, v8, v17
	v_and_b32_e32 v8, 1, v38
	v_or_b32_e32 v27, 0x600, v0
	v_or_b32_e32 v26, 0x700, v0
	v_cndmask_b32_e32 v1, v1, v4, vcc_lo
	v_sub_nc_u32_e32 v4, v33, v6
	v_cmp_eq_u32_e32 vcc_lo, 1, v7
	v_and_b32_e32 v7, 1, v41
	s_delay_alu instid0(VALU_DEP_4) | instskip(NEXT) | instid1(VALU_DEP_4)
	v_lshlrev_b32_e32 v1, 2, v1
	v_dual_cndmask_b32 v3, v3, v5 :: v_dual_add_nc_u32 v4, 6, v4
	v_sub_nc_u32_e32 v5, v33, v2
	s_delay_alu instid0(VALU_DEP_4) | instskip(SKIP_1) | instid1(VALU_DEP_4)
	v_cmp_eq_u32_e32 vcc_lo, 1, v7
	v_sub_nc_u32_e32 v7, v13, v17
	v_lshlrev_b32_e32 v3, 2, v3
	s_delay_alu instid0(VALU_DEP_4)
	v_dual_cndmask_b32 v4, v4, v6 :: v_dual_add_nc_u32 v5, 7, v5
	v_cmp_eq_u32_e32 vcc_lo, 1, v8
	v_sub_nc_u32_e32 v6, v9, v17
	ds_store_b32 v1, v24
	ds_store_b32 v3, v25
	v_or_b32_e32 v25, 0x800, v0
	v_dual_cndmask_b32 v2, v5, v2 :: v_dual_lshlrev_b32 v3, 2, v4
	v_and_b32_e32 v5, 1, v35
	v_sub_nc_u32_e32 v1, v33, v6
	v_sub_nc_u32_e32 v4, v10, v17
	v_and_b32_e32 v10, 1, v36
	v_or_b32_e32 v24, 0x900, v0
	v_cmp_eq_u32_e32 vcc_lo, 1, v5
	v_sub_nc_u32_e32 v5, v12, v17
	v_add_nc_u32_e32 v1, 8, v1
	s_delay_alu instid0(VALU_DEP_2) | instskip(NEXT) | instid1(VALU_DEP_2)
	v_sub_nc_u32_e32 v9, v33, v5
	v_dual_cndmask_b32 v1, v1, v6 :: v_dual_and_b32 v6, 1, v15
	v_add_co_u32 v15, s0, s18, v17
	s_delay_alu instid0(VALU_DEP_3)
	v_add_nc_u32_e32 v9, 11, v9
	v_lshlrev_b32_e32 v2, 2, v2
	ds_store_b32 v3, v22
	ds_store_b32 v2, v23
	v_sub_nc_u32_e32 v3, v11, v17
	v_sub_nc_u32_e32 v2, v33, v4
	v_cmp_eq_u32_e32 vcc_lo, 1, v6
	v_and_b32_e32 v11, 1, v34
	v_lshlrev_b32_e32 v1, 2, v1
	v_sub_nc_u32_e32 v8, v33, v3
	v_add_nc_u32_e32 v2, 9, v2
	v_add_co_ci_u32_e64 v17, null, s19, 0, s0
	s_add_u32 s0, s16, s23
	s_delay_alu instid0(VALU_DEP_3)
	v_add_nc_u32_e32 v6, 10, v8
	v_and_b32_e32 v8, 1, v14
	v_cndmask_b32_e32 v2, v2, v4, vcc_lo
	v_sub_nc_u32_e32 v4, v33, v7
	s_addc_u32 s1, s17, 0
	s_sub_u32 s0, s12, s0
	v_cmp_eq_u32_e32 vcc_lo, 1, v8
	v_lshlrev_b32_e32 v2, 2, v2
	v_add_nc_u32_e32 v4, 12, v4
	s_subb_u32 s1, s13, s1
	v_add_co_u32 v13, s0, s0, v16
	v_cndmask_b32_e32 v3, v6, v3, vcc_lo
	v_cmp_eq_u32_e32 vcc_lo, 1, v10
	v_add_co_ci_u32_e64 v14, null, s1, 0, s0
	v_or_b32_e32 v34, 0x100, v0
	s_delay_alu instid0(VALU_DEP_4)
	v_lshlrev_b32_e32 v3, 2, v3
	v_cndmask_b32_e32 v5, v9, v5, vcc_lo
	v_cmp_eq_u32_e32 vcc_lo, 1, v11
	v_or_b32_e32 v33, 0x200, v0
	v_or_b32_e32 v23, 0xa00, v0
	;; [unrolled: 1-line block ×3, first 2 shown]
	v_dual_cndmask_b32 v4, v4, v7 :: v_dual_lshlrev_b32 v5, 2, v5
	v_cmp_ne_u32_e32 vcc_lo, 1, v31
	s_delay_alu instid0(VALU_DEP_2)
	v_lshlrev_b32_e32 v4, 2, v4
	ds_store_b32 v1, v20
	ds_store_b32 v2, v21
	;; [unrolled: 1-line block ×5, first 2 shown]
	s_waitcnt lgkmcnt(0)
	s_barrier
	buffer_gl0_inv
	ds_load_2addr_stride64_b32 v[11:12], v30 offset1:4
	ds_load_2addr_stride64_b32 v[9:10], v30 offset0:8 offset1:12
	ds_load_2addr_stride64_b32 v[7:8], v30 offset0:16 offset1:20
	;; [unrolled: 1-line block ×5, first 2 shown]
	ds_load_b32 v18, v30 offset:12288
	v_add_co_u32 v20, s0, v13, v15
	v_or_b32_e32 v32, 0x300, v0
	v_or_b32_e32 v19, 0xc00, v0
	v_add_co_ci_u32_e64 v21, s0, v14, v17, s0
	s_mov_b32 s0, 0
	s_cbranch_vccnz .LBB1832_130
; %bb.77:
	s_mov_b32 s0, exec_lo
                                        ; implicit-def: $vgpr13_vgpr14
	v_cmpx_ge_u32_e64 v0, v16
	s_xor_b32 s0, exec_lo, s0
; %bb.78:
	v_not_b32_e32 v13, v0
	s_delay_alu instid0(VALU_DEP_1) | instskip(SKIP_1) | instid1(VALU_DEP_2)
	v_ashrrev_i32_e32 v14, 31, v13
	v_add_co_u32 v13, vcc_lo, v20, v13
	v_add_co_ci_u32_e32 v14, vcc_lo, v21, v14, vcc_lo
; %bb.79:
	s_and_not1_saveexec_b32 s0, s0
; %bb.80:
	v_add_co_u32 v13, vcc_lo, v15, v0
	v_add_co_ci_u32_e32 v14, vcc_lo, 0, v17, vcc_lo
; %bb.81:
	s_or_b32 exec_lo, exec_lo, s0
	s_delay_alu instid0(VALU_DEP_1) | instskip(SKIP_1) | instid1(VALU_DEP_1)
	v_lshlrev_b64 v[13:14], 2, v[13:14]
	s_mov_b32 s0, exec_lo
	v_add_co_u32 v13, vcc_lo, s10, v13
	s_delay_alu instid0(VALU_DEP_2)
	v_add_co_ci_u32_e32 v14, vcc_lo, s11, v14, vcc_lo
	s_waitcnt lgkmcnt(6)
	global_store_b32 v[13:14], v11, off
                                        ; implicit-def: $vgpr13_vgpr14
	v_cmpx_ge_u32_e64 v34, v16
	s_xor_b32 s0, exec_lo, s0
; %bb.82:
	v_xor_b32_e32 v13, 0xfffffeff, v0
	s_delay_alu instid0(VALU_DEP_1) | instskip(SKIP_1) | instid1(VALU_DEP_2)
	v_ashrrev_i32_e32 v14, 31, v13
	v_add_co_u32 v13, vcc_lo, v20, v13
	v_add_co_ci_u32_e32 v14, vcc_lo, v21, v14, vcc_lo
; %bb.83:
	s_and_not1_saveexec_b32 s0, s0
; %bb.84:
	v_add_co_u32 v13, vcc_lo, v15, v34
	v_add_co_ci_u32_e32 v14, vcc_lo, 0, v17, vcc_lo
; %bb.85:
	s_or_b32 exec_lo, exec_lo, s0
	s_delay_alu instid0(VALU_DEP_1) | instskip(SKIP_1) | instid1(VALU_DEP_1)
	v_lshlrev_b64 v[13:14], 2, v[13:14]
	s_mov_b32 s0, exec_lo
	v_add_co_u32 v13, vcc_lo, s10, v13
	s_delay_alu instid0(VALU_DEP_2)
	v_add_co_ci_u32_e32 v14, vcc_lo, s11, v14, vcc_lo
	global_store_b32 v[13:14], v12, off
                                        ; implicit-def: $vgpr13_vgpr14
	v_cmpx_ge_u32_e64 v33, v16
	s_xor_b32 s0, exec_lo, s0
; %bb.86:
	v_xor_b32_e32 v13, 0xfffffdff, v0
	s_delay_alu instid0(VALU_DEP_1) | instskip(SKIP_1) | instid1(VALU_DEP_2)
	v_ashrrev_i32_e32 v14, 31, v13
	v_add_co_u32 v13, vcc_lo, v20, v13
	v_add_co_ci_u32_e32 v14, vcc_lo, v21, v14, vcc_lo
; %bb.87:
	s_and_not1_saveexec_b32 s0, s0
; %bb.88:
	v_add_co_u32 v13, vcc_lo, v15, v33
	v_add_co_ci_u32_e32 v14, vcc_lo, 0, v17, vcc_lo
; %bb.89:
	s_or_b32 exec_lo, exec_lo, s0
	s_delay_alu instid0(VALU_DEP_1) | instskip(SKIP_1) | instid1(VALU_DEP_1)
	v_lshlrev_b64 v[13:14], 2, v[13:14]
	s_mov_b32 s0, exec_lo
	v_add_co_u32 v13, vcc_lo, s10, v13
	s_delay_alu instid0(VALU_DEP_2)
	v_add_co_ci_u32_e32 v14, vcc_lo, s11, v14, vcc_lo
	s_waitcnt lgkmcnt(5)
	global_store_b32 v[13:14], v9, off
                                        ; implicit-def: $vgpr13_vgpr14
	v_cmpx_ge_u32_e64 v32, v16
	s_xor_b32 s0, exec_lo, s0
; %bb.90:
	v_xor_b32_e32 v13, 0xfffffcff, v0
	s_delay_alu instid0(VALU_DEP_1) | instskip(SKIP_1) | instid1(VALU_DEP_2)
	v_ashrrev_i32_e32 v14, 31, v13
	v_add_co_u32 v13, vcc_lo, v20, v13
	v_add_co_ci_u32_e32 v14, vcc_lo, v21, v14, vcc_lo
; %bb.91:
	s_and_not1_saveexec_b32 s0, s0
; %bb.92:
	v_add_co_u32 v13, vcc_lo, v15, v32
	v_add_co_ci_u32_e32 v14, vcc_lo, 0, v17, vcc_lo
; %bb.93:
	s_or_b32 exec_lo, exec_lo, s0
	s_delay_alu instid0(VALU_DEP_1) | instskip(SKIP_1) | instid1(VALU_DEP_1)
	v_lshlrev_b64 v[13:14], 2, v[13:14]
	s_mov_b32 s0, exec_lo
	v_add_co_u32 v13, vcc_lo, s10, v13
	s_delay_alu instid0(VALU_DEP_2)
	v_add_co_ci_u32_e32 v14, vcc_lo, s11, v14, vcc_lo
	global_store_b32 v[13:14], v10, off
                                        ; implicit-def: $vgpr13_vgpr14
	v_cmpx_ge_u32_e64 v29, v16
	s_xor_b32 s0, exec_lo, s0
; %bb.94:
	v_xor_b32_e32 v13, 0xfffffbff, v0
	;; [unrolled: 47-line block ×6, first 2 shown]
	s_delay_alu instid0(VALU_DEP_1) | instskip(SKIP_1) | instid1(VALU_DEP_2)
	v_ashrrev_i32_e32 v14, 31, v13
	v_add_co_u32 v13, vcc_lo, v20, v13
	v_add_co_ci_u32_e32 v14, vcc_lo, v21, v14, vcc_lo
; %bb.127:
	s_and_not1_saveexec_b32 s0, s0
; %bb.128:
	v_add_co_u32 v13, vcc_lo, v15, v19
	v_add_co_ci_u32_e32 v14, vcc_lo, 0, v17, vcc_lo
; %bb.129:
	s_or_b32 exec_lo, exec_lo, s0
	s_mov_b32 s0, -1
	s_branch .LBB1832_210
.LBB1832_130:
                                        ; implicit-def: $vgpr13_vgpr14
	s_cbranch_execz .LBB1832_210
; %bb.131:
	s_mov_b32 s1, exec_lo
	v_cmpx_gt_u32_e64 s22, v0
	s_cbranch_execz .LBB1832_167
; %bb.132:
	s_mov_b32 s2, exec_lo
                                        ; implicit-def: $vgpr13_vgpr14
	v_cmpx_ge_u32_e64 v0, v16
	s_xor_b32 s2, exec_lo, s2
; %bb.133:
	v_not_b32_e32 v13, v0
	s_delay_alu instid0(VALU_DEP_1) | instskip(SKIP_1) | instid1(VALU_DEP_2)
	v_ashrrev_i32_e32 v14, 31, v13
	v_add_co_u32 v13, vcc_lo, v20, v13
	v_add_co_ci_u32_e32 v14, vcc_lo, v21, v14, vcc_lo
; %bb.134:
	s_and_not1_saveexec_b32 s2, s2
; %bb.135:
	v_add_co_u32 v13, vcc_lo, v15, v0
	v_add_co_ci_u32_e32 v14, vcc_lo, 0, v17, vcc_lo
; %bb.136:
	s_or_b32 exec_lo, exec_lo, s2
	s_delay_alu instid0(VALU_DEP_1) | instskip(NEXT) | instid1(VALU_DEP_1)
	v_lshlrev_b64 v[13:14], 2, v[13:14]
	v_add_co_u32 v13, vcc_lo, s10, v13
	s_delay_alu instid0(VALU_DEP_2) | instskip(SKIP_3) | instid1(SALU_CYCLE_1)
	v_add_co_ci_u32_e32 v14, vcc_lo, s11, v14, vcc_lo
	s_waitcnt lgkmcnt(6)
	global_store_b32 v[13:14], v11, off
	s_or_b32 exec_lo, exec_lo, s1
	s_mov_b32 s1, exec_lo
	v_cmpx_gt_u32_e64 s22, v34
	s_cbranch_execnz .LBB1832_168
.LBB1832_137:
	s_or_b32 exec_lo, exec_lo, s1
	s_delay_alu instid0(SALU_CYCLE_1)
	s_mov_b32 s1, exec_lo
	v_cmpx_gt_u32_e64 s22, v33
	s_cbranch_execz .LBB1832_173
.LBB1832_138:
	s_mov_b32 s2, exec_lo
                                        ; implicit-def: $vgpr11_vgpr12
	v_cmpx_ge_u32_e64 v33, v16
	s_xor_b32 s2, exec_lo, s2
	s_cbranch_execz .LBB1832_140
; %bb.139:
	s_waitcnt lgkmcnt(6)
	v_xor_b32_e32 v11, 0xfffffdff, v0
                                        ; implicit-def: $vgpr33
	s_delay_alu instid0(VALU_DEP_1) | instskip(SKIP_1) | instid1(VALU_DEP_2)
	v_ashrrev_i32_e32 v12, 31, v11
	v_add_co_u32 v11, vcc_lo, v20, v11
	v_add_co_ci_u32_e32 v12, vcc_lo, v21, v12, vcc_lo
.LBB1832_140:
	s_and_not1_saveexec_b32 s2, s2
	s_cbranch_execz .LBB1832_142
; %bb.141:
	s_waitcnt lgkmcnt(6)
	v_add_co_u32 v11, vcc_lo, v15, v33
	v_add_co_ci_u32_e32 v12, vcc_lo, 0, v17, vcc_lo
.LBB1832_142:
	s_or_b32 exec_lo, exec_lo, s2
	s_waitcnt lgkmcnt(6)
	s_delay_alu instid0(VALU_DEP_1) | instskip(NEXT) | instid1(VALU_DEP_1)
	v_lshlrev_b64 v[11:12], 2, v[11:12]
	v_add_co_u32 v11, vcc_lo, s10, v11
	s_delay_alu instid0(VALU_DEP_2) | instskip(SKIP_3) | instid1(SALU_CYCLE_1)
	v_add_co_ci_u32_e32 v12, vcc_lo, s11, v12, vcc_lo
	s_waitcnt lgkmcnt(5)
	global_store_b32 v[11:12], v9, off
	s_or_b32 exec_lo, exec_lo, s1
	s_mov_b32 s1, exec_lo
	v_cmpx_gt_u32_e64 s22, v32
	s_cbranch_execnz .LBB1832_174
.LBB1832_143:
	s_or_b32 exec_lo, exec_lo, s1
	s_delay_alu instid0(SALU_CYCLE_1)
	s_mov_b32 s1, exec_lo
	v_cmpx_gt_u32_e64 s22, v29
	s_cbranch_execz .LBB1832_179
.LBB1832_144:
	s_mov_b32 s2, exec_lo
                                        ; implicit-def: $vgpr9_vgpr10
	v_cmpx_ge_u32_e64 v29, v16
	s_xor_b32 s2, exec_lo, s2
	s_cbranch_execz .LBB1832_146
; %bb.145:
	s_waitcnt lgkmcnt(5)
	v_xor_b32_e32 v9, 0xfffffbff, v0
                                        ; implicit-def: $vgpr29
	s_delay_alu instid0(VALU_DEP_1) | instskip(SKIP_1) | instid1(VALU_DEP_2)
	v_ashrrev_i32_e32 v10, 31, v9
	v_add_co_u32 v9, vcc_lo, v20, v9
	v_add_co_ci_u32_e32 v10, vcc_lo, v21, v10, vcc_lo
.LBB1832_146:
	s_and_not1_saveexec_b32 s2, s2
	s_cbranch_execz .LBB1832_148
; %bb.147:
	s_waitcnt lgkmcnt(5)
	v_add_co_u32 v9, vcc_lo, v15, v29
	v_add_co_ci_u32_e32 v10, vcc_lo, 0, v17, vcc_lo
.LBB1832_148:
	s_or_b32 exec_lo, exec_lo, s2
	s_waitcnt lgkmcnt(5)
	s_delay_alu instid0(VALU_DEP_1) | instskip(NEXT) | instid1(VALU_DEP_1)
	v_lshlrev_b64 v[9:10], 2, v[9:10]
	v_add_co_u32 v9, vcc_lo, s10, v9
	s_delay_alu instid0(VALU_DEP_2) | instskip(SKIP_3) | instid1(SALU_CYCLE_1)
	v_add_co_ci_u32_e32 v10, vcc_lo, s11, v10, vcc_lo
	s_waitcnt lgkmcnt(4)
	global_store_b32 v[9:10], v7, off
	s_or_b32 exec_lo, exec_lo, s1
	s_mov_b32 s1, exec_lo
	v_cmpx_gt_u32_e64 s22, v28
	s_cbranch_execnz .LBB1832_180
.LBB1832_149:
	s_or_b32 exec_lo, exec_lo, s1
	s_delay_alu instid0(SALU_CYCLE_1)
	s_mov_b32 s1, exec_lo
	v_cmpx_gt_u32_e64 s22, v27
	s_cbranch_execz .LBB1832_185
.LBB1832_150:
	s_mov_b32 s2, exec_lo
                                        ; implicit-def: $vgpr7_vgpr8
	v_cmpx_ge_u32_e64 v27, v16
	s_xor_b32 s2, exec_lo, s2
	s_cbranch_execz .LBB1832_152
; %bb.151:
	s_waitcnt lgkmcnt(4)
	v_xor_b32_e32 v7, 0xfffff9ff, v0
                                        ; implicit-def: $vgpr27
	s_delay_alu instid0(VALU_DEP_1) | instskip(SKIP_1) | instid1(VALU_DEP_2)
	v_ashrrev_i32_e32 v8, 31, v7
	v_add_co_u32 v7, vcc_lo, v20, v7
	v_add_co_ci_u32_e32 v8, vcc_lo, v21, v8, vcc_lo
.LBB1832_152:
	s_and_not1_saveexec_b32 s2, s2
	s_cbranch_execz .LBB1832_154
; %bb.153:
	s_waitcnt lgkmcnt(4)
	v_add_co_u32 v7, vcc_lo, v15, v27
	v_add_co_ci_u32_e32 v8, vcc_lo, 0, v17, vcc_lo
.LBB1832_154:
	s_or_b32 exec_lo, exec_lo, s2
	s_waitcnt lgkmcnt(4)
	s_delay_alu instid0(VALU_DEP_1) | instskip(NEXT) | instid1(VALU_DEP_1)
	v_lshlrev_b64 v[7:8], 2, v[7:8]
	v_add_co_u32 v7, vcc_lo, s10, v7
	s_delay_alu instid0(VALU_DEP_2) | instskip(SKIP_3) | instid1(SALU_CYCLE_1)
	v_add_co_ci_u32_e32 v8, vcc_lo, s11, v8, vcc_lo
	s_waitcnt lgkmcnt(3)
	global_store_b32 v[7:8], v5, off
	s_or_b32 exec_lo, exec_lo, s1
	s_mov_b32 s1, exec_lo
	v_cmpx_gt_u32_e64 s22, v26
	s_cbranch_execnz .LBB1832_186
.LBB1832_155:
	s_or_b32 exec_lo, exec_lo, s1
	s_delay_alu instid0(SALU_CYCLE_1)
	s_mov_b32 s1, exec_lo
	v_cmpx_gt_u32_e64 s22, v25
	s_cbranch_execz .LBB1832_191
.LBB1832_156:
	s_mov_b32 s2, exec_lo
                                        ; implicit-def: $vgpr5_vgpr6
	v_cmpx_ge_u32_e64 v25, v16
	s_xor_b32 s2, exec_lo, s2
	s_cbranch_execz .LBB1832_158
; %bb.157:
	s_waitcnt lgkmcnt(3)
	v_xor_b32_e32 v5, 0xfffff7ff, v0
                                        ; implicit-def: $vgpr25
	s_delay_alu instid0(VALU_DEP_1) | instskip(SKIP_1) | instid1(VALU_DEP_2)
	v_ashrrev_i32_e32 v6, 31, v5
	v_add_co_u32 v5, vcc_lo, v20, v5
	v_add_co_ci_u32_e32 v6, vcc_lo, v21, v6, vcc_lo
.LBB1832_158:
	s_and_not1_saveexec_b32 s2, s2
	s_cbranch_execz .LBB1832_160
; %bb.159:
	s_waitcnt lgkmcnt(3)
	v_add_co_u32 v5, vcc_lo, v15, v25
	v_add_co_ci_u32_e32 v6, vcc_lo, 0, v17, vcc_lo
.LBB1832_160:
	s_or_b32 exec_lo, exec_lo, s2
	s_waitcnt lgkmcnt(3)
	s_delay_alu instid0(VALU_DEP_1) | instskip(NEXT) | instid1(VALU_DEP_1)
	v_lshlrev_b64 v[5:6], 2, v[5:6]
	v_add_co_u32 v5, vcc_lo, s10, v5
	s_delay_alu instid0(VALU_DEP_2) | instskip(SKIP_3) | instid1(SALU_CYCLE_1)
	v_add_co_ci_u32_e32 v6, vcc_lo, s11, v6, vcc_lo
	s_waitcnt lgkmcnt(2)
	global_store_b32 v[5:6], v3, off
	s_or_b32 exec_lo, exec_lo, s1
	s_mov_b32 s1, exec_lo
	v_cmpx_gt_u32_e64 s22, v24
	s_cbranch_execnz .LBB1832_192
.LBB1832_161:
	s_or_b32 exec_lo, exec_lo, s1
	s_delay_alu instid0(SALU_CYCLE_1)
	s_mov_b32 s1, exec_lo
	v_cmpx_gt_u32_e64 s22, v23
	s_cbranch_execz .LBB1832_197
.LBB1832_162:
	s_mov_b32 s2, exec_lo
                                        ; implicit-def: $vgpr3_vgpr4
	v_cmpx_ge_u32_e64 v23, v16
	s_xor_b32 s2, exec_lo, s2
	s_cbranch_execz .LBB1832_164
; %bb.163:
	s_waitcnt lgkmcnt(2)
	v_xor_b32_e32 v3, 0xfffff5ff, v0
                                        ; implicit-def: $vgpr23
	s_delay_alu instid0(VALU_DEP_1) | instskip(SKIP_1) | instid1(VALU_DEP_2)
	v_ashrrev_i32_e32 v4, 31, v3
	v_add_co_u32 v3, vcc_lo, v20, v3
	v_add_co_ci_u32_e32 v4, vcc_lo, v21, v4, vcc_lo
.LBB1832_164:
	s_and_not1_saveexec_b32 s2, s2
	s_cbranch_execz .LBB1832_166
; %bb.165:
	s_waitcnt lgkmcnt(2)
	v_add_co_u32 v3, vcc_lo, v15, v23
	v_add_co_ci_u32_e32 v4, vcc_lo, 0, v17, vcc_lo
.LBB1832_166:
	s_or_b32 exec_lo, exec_lo, s2
	s_waitcnt lgkmcnt(2)
	s_delay_alu instid0(VALU_DEP_1) | instskip(NEXT) | instid1(VALU_DEP_1)
	v_lshlrev_b64 v[3:4], 2, v[3:4]
	v_add_co_u32 v3, vcc_lo, s10, v3
	s_delay_alu instid0(VALU_DEP_2) | instskip(SKIP_3) | instid1(SALU_CYCLE_1)
	v_add_co_ci_u32_e32 v4, vcc_lo, s11, v4, vcc_lo
	s_waitcnt lgkmcnt(1)
	global_store_b32 v[3:4], v1, off
	s_or_b32 exec_lo, exec_lo, s1
	s_mov_b32 s1, exec_lo
	v_cmpx_gt_u32_e64 s22, v22
	s_cbranch_execz .LBB1832_203
	s_branch .LBB1832_198
.LBB1832_167:
	s_or_b32 exec_lo, exec_lo, s1
	s_delay_alu instid0(SALU_CYCLE_1)
	s_mov_b32 s1, exec_lo
	v_cmpx_gt_u32_e64 s22, v34
	s_cbranch_execz .LBB1832_137
.LBB1832_168:
	s_mov_b32 s2, exec_lo
                                        ; implicit-def: $vgpr13_vgpr14
	v_cmpx_ge_u32_e64 v34, v16
	s_xor_b32 s2, exec_lo, s2
	s_cbranch_execz .LBB1832_170
; %bb.169:
	s_waitcnt lgkmcnt(6)
	v_xor_b32_e32 v11, 0xfffffeff, v0
                                        ; implicit-def: $vgpr34
	s_delay_alu instid0(VALU_DEP_1) | instskip(SKIP_1) | instid1(VALU_DEP_2)
	v_ashrrev_i32_e32 v14, 31, v11
	v_add_co_u32 v13, vcc_lo, v20, v11
	v_add_co_ci_u32_e32 v14, vcc_lo, v21, v14, vcc_lo
.LBB1832_170:
	s_and_not1_saveexec_b32 s2, s2
; %bb.171:
	v_add_co_u32 v13, vcc_lo, v15, v34
	v_add_co_ci_u32_e32 v14, vcc_lo, 0, v17, vcc_lo
; %bb.172:
	s_or_b32 exec_lo, exec_lo, s2
	s_delay_alu instid0(VALU_DEP_1) | instskip(NEXT) | instid1(VALU_DEP_1)
	v_lshlrev_b64 v[13:14], 2, v[13:14]
	v_add_co_u32 v13, vcc_lo, s10, v13
	s_delay_alu instid0(VALU_DEP_2) | instskip(SKIP_3) | instid1(SALU_CYCLE_1)
	v_add_co_ci_u32_e32 v14, vcc_lo, s11, v14, vcc_lo
	s_waitcnt lgkmcnt(6)
	global_store_b32 v[13:14], v12, off
	s_or_b32 exec_lo, exec_lo, s1
	s_mov_b32 s1, exec_lo
	v_cmpx_gt_u32_e64 s22, v33
	s_cbranch_execnz .LBB1832_138
.LBB1832_173:
	s_or_b32 exec_lo, exec_lo, s1
	s_delay_alu instid0(SALU_CYCLE_1)
	s_mov_b32 s1, exec_lo
	v_cmpx_gt_u32_e64 s22, v32
	s_cbranch_execz .LBB1832_143
.LBB1832_174:
	s_mov_b32 s2, exec_lo
                                        ; implicit-def: $vgpr11_vgpr12
	v_cmpx_ge_u32_e64 v32, v16
	s_xor_b32 s2, exec_lo, s2
	s_cbranch_execz .LBB1832_176
; %bb.175:
	s_waitcnt lgkmcnt(5)
	v_xor_b32_e32 v9, 0xfffffcff, v0
                                        ; implicit-def: $vgpr32
	s_delay_alu instid0(VALU_DEP_1) | instskip(SKIP_1) | instid1(VALU_DEP_2)
	v_ashrrev_i32_e32 v12, 31, v9
	v_add_co_u32 v11, vcc_lo, v20, v9
	v_add_co_ci_u32_e32 v12, vcc_lo, v21, v12, vcc_lo
.LBB1832_176:
	s_and_not1_saveexec_b32 s2, s2
	s_cbranch_execz .LBB1832_178
; %bb.177:
	s_waitcnt lgkmcnt(6)
	v_add_co_u32 v11, vcc_lo, v15, v32
	v_add_co_ci_u32_e32 v12, vcc_lo, 0, v17, vcc_lo
.LBB1832_178:
	s_or_b32 exec_lo, exec_lo, s2
	s_waitcnt lgkmcnt(6)
	s_delay_alu instid0(VALU_DEP_1) | instskip(NEXT) | instid1(VALU_DEP_1)
	v_lshlrev_b64 v[11:12], 2, v[11:12]
	v_add_co_u32 v11, vcc_lo, s10, v11
	s_delay_alu instid0(VALU_DEP_2) | instskip(SKIP_3) | instid1(SALU_CYCLE_1)
	v_add_co_ci_u32_e32 v12, vcc_lo, s11, v12, vcc_lo
	s_waitcnt lgkmcnt(5)
	global_store_b32 v[11:12], v10, off
	s_or_b32 exec_lo, exec_lo, s1
	s_mov_b32 s1, exec_lo
	v_cmpx_gt_u32_e64 s22, v29
	s_cbranch_execnz .LBB1832_144
.LBB1832_179:
	s_or_b32 exec_lo, exec_lo, s1
	s_delay_alu instid0(SALU_CYCLE_1)
	s_mov_b32 s1, exec_lo
	v_cmpx_gt_u32_e64 s22, v28
	s_cbranch_execz .LBB1832_149
.LBB1832_180:
	s_mov_b32 s2, exec_lo
                                        ; implicit-def: $vgpr9_vgpr10
	v_cmpx_ge_u32_e64 v28, v16
	s_xor_b32 s2, exec_lo, s2
	s_cbranch_execz .LBB1832_182
; %bb.181:
	s_waitcnt lgkmcnt(4)
	v_xor_b32_e32 v7, 0xfffffaff, v0
                                        ; implicit-def: $vgpr28
	s_delay_alu instid0(VALU_DEP_1) | instskip(SKIP_1) | instid1(VALU_DEP_2)
	v_ashrrev_i32_e32 v10, 31, v7
	v_add_co_u32 v9, vcc_lo, v20, v7
	v_add_co_ci_u32_e32 v10, vcc_lo, v21, v10, vcc_lo
.LBB1832_182:
	s_and_not1_saveexec_b32 s2, s2
	s_cbranch_execz .LBB1832_184
; %bb.183:
	s_waitcnt lgkmcnt(5)
	v_add_co_u32 v9, vcc_lo, v15, v28
	v_add_co_ci_u32_e32 v10, vcc_lo, 0, v17, vcc_lo
.LBB1832_184:
	s_or_b32 exec_lo, exec_lo, s2
	s_waitcnt lgkmcnt(5)
	s_delay_alu instid0(VALU_DEP_1) | instskip(NEXT) | instid1(VALU_DEP_1)
	v_lshlrev_b64 v[9:10], 2, v[9:10]
	v_add_co_u32 v9, vcc_lo, s10, v9
	s_delay_alu instid0(VALU_DEP_2) | instskip(SKIP_3) | instid1(SALU_CYCLE_1)
	v_add_co_ci_u32_e32 v10, vcc_lo, s11, v10, vcc_lo
	s_waitcnt lgkmcnt(4)
	global_store_b32 v[9:10], v8, off
	s_or_b32 exec_lo, exec_lo, s1
	s_mov_b32 s1, exec_lo
	v_cmpx_gt_u32_e64 s22, v27
	s_cbranch_execnz .LBB1832_150
.LBB1832_185:
	s_or_b32 exec_lo, exec_lo, s1
	s_delay_alu instid0(SALU_CYCLE_1)
	s_mov_b32 s1, exec_lo
	v_cmpx_gt_u32_e64 s22, v26
	s_cbranch_execz .LBB1832_155
.LBB1832_186:
	s_mov_b32 s2, exec_lo
                                        ; implicit-def: $vgpr7_vgpr8
	v_cmpx_ge_u32_e64 v26, v16
	s_xor_b32 s2, exec_lo, s2
	s_cbranch_execz .LBB1832_188
; %bb.187:
	s_waitcnt lgkmcnt(3)
	v_xor_b32_e32 v5, 0xfffff8ff, v0
                                        ; implicit-def: $vgpr26
	s_delay_alu instid0(VALU_DEP_1) | instskip(SKIP_1) | instid1(VALU_DEP_2)
	v_ashrrev_i32_e32 v8, 31, v5
	v_add_co_u32 v7, vcc_lo, v20, v5
	v_add_co_ci_u32_e32 v8, vcc_lo, v21, v8, vcc_lo
.LBB1832_188:
	s_and_not1_saveexec_b32 s2, s2
	s_cbranch_execz .LBB1832_190
; %bb.189:
	s_waitcnt lgkmcnt(4)
	v_add_co_u32 v7, vcc_lo, v15, v26
	v_add_co_ci_u32_e32 v8, vcc_lo, 0, v17, vcc_lo
.LBB1832_190:
	s_or_b32 exec_lo, exec_lo, s2
	s_waitcnt lgkmcnt(4)
	s_delay_alu instid0(VALU_DEP_1) | instskip(NEXT) | instid1(VALU_DEP_1)
	v_lshlrev_b64 v[7:8], 2, v[7:8]
	v_add_co_u32 v7, vcc_lo, s10, v7
	s_delay_alu instid0(VALU_DEP_2) | instskip(SKIP_3) | instid1(SALU_CYCLE_1)
	v_add_co_ci_u32_e32 v8, vcc_lo, s11, v8, vcc_lo
	s_waitcnt lgkmcnt(3)
	global_store_b32 v[7:8], v6, off
	s_or_b32 exec_lo, exec_lo, s1
	s_mov_b32 s1, exec_lo
	v_cmpx_gt_u32_e64 s22, v25
	s_cbranch_execnz .LBB1832_156
.LBB1832_191:
	s_or_b32 exec_lo, exec_lo, s1
	s_delay_alu instid0(SALU_CYCLE_1)
	s_mov_b32 s1, exec_lo
	v_cmpx_gt_u32_e64 s22, v24
	s_cbranch_execz .LBB1832_161
.LBB1832_192:
	s_mov_b32 s2, exec_lo
                                        ; implicit-def: $vgpr5_vgpr6
	v_cmpx_ge_u32_e64 v24, v16
	s_xor_b32 s2, exec_lo, s2
	s_cbranch_execz .LBB1832_194
; %bb.193:
	s_waitcnt lgkmcnt(2)
	v_xor_b32_e32 v3, 0xfffff6ff, v0
                                        ; implicit-def: $vgpr24
	s_delay_alu instid0(VALU_DEP_1) | instskip(SKIP_1) | instid1(VALU_DEP_2)
	v_ashrrev_i32_e32 v6, 31, v3
	v_add_co_u32 v5, vcc_lo, v20, v3
	v_add_co_ci_u32_e32 v6, vcc_lo, v21, v6, vcc_lo
.LBB1832_194:
	s_and_not1_saveexec_b32 s2, s2
	s_cbranch_execz .LBB1832_196
; %bb.195:
	s_waitcnt lgkmcnt(3)
	v_add_co_u32 v5, vcc_lo, v15, v24
	v_add_co_ci_u32_e32 v6, vcc_lo, 0, v17, vcc_lo
.LBB1832_196:
	s_or_b32 exec_lo, exec_lo, s2
	s_waitcnt lgkmcnt(3)
	s_delay_alu instid0(VALU_DEP_1) | instskip(NEXT) | instid1(VALU_DEP_1)
	v_lshlrev_b64 v[5:6], 2, v[5:6]
	v_add_co_u32 v5, vcc_lo, s10, v5
	s_delay_alu instid0(VALU_DEP_2) | instskip(SKIP_3) | instid1(SALU_CYCLE_1)
	v_add_co_ci_u32_e32 v6, vcc_lo, s11, v6, vcc_lo
	s_waitcnt lgkmcnt(2)
	global_store_b32 v[5:6], v4, off
	s_or_b32 exec_lo, exec_lo, s1
	s_mov_b32 s1, exec_lo
	v_cmpx_gt_u32_e64 s22, v23
	s_cbranch_execnz .LBB1832_162
.LBB1832_197:
	s_or_b32 exec_lo, exec_lo, s1
	s_delay_alu instid0(SALU_CYCLE_1)
	s_mov_b32 s1, exec_lo
	v_cmpx_gt_u32_e64 s22, v22
	s_cbranch_execz .LBB1832_203
.LBB1832_198:
	s_mov_b32 s2, exec_lo
                                        ; implicit-def: $vgpr3_vgpr4
	v_cmpx_ge_u32_e64 v22, v16
	s_xor_b32 s2, exec_lo, s2
	s_cbranch_execz .LBB1832_200
; %bb.199:
	s_waitcnt lgkmcnt(1)
	v_xor_b32_e32 v1, 0xfffff4ff, v0
                                        ; implicit-def: $vgpr22
	s_delay_alu instid0(VALU_DEP_1) | instskip(SKIP_1) | instid1(VALU_DEP_2)
	v_ashrrev_i32_e32 v4, 31, v1
	v_add_co_u32 v3, vcc_lo, v20, v1
	v_add_co_ci_u32_e32 v4, vcc_lo, v21, v4, vcc_lo
.LBB1832_200:
	s_and_not1_saveexec_b32 s2, s2
	s_cbranch_execz .LBB1832_202
; %bb.201:
	s_waitcnt lgkmcnt(2)
	v_add_co_u32 v3, vcc_lo, v15, v22
	v_add_co_ci_u32_e32 v4, vcc_lo, 0, v17, vcc_lo
.LBB1832_202:
	s_or_b32 exec_lo, exec_lo, s2
	s_waitcnt lgkmcnt(2)
	s_delay_alu instid0(VALU_DEP_1) | instskip(NEXT) | instid1(VALU_DEP_1)
	v_lshlrev_b64 v[3:4], 2, v[3:4]
	v_add_co_u32 v3, vcc_lo, s10, v3
	s_delay_alu instid0(VALU_DEP_2)
	v_add_co_ci_u32_e32 v4, vcc_lo, s11, v4, vcc_lo
	s_waitcnt lgkmcnt(1)
	global_store_b32 v[3:4], v2, off
.LBB1832_203:
	s_or_b32 exec_lo, exec_lo, s1
	s_delay_alu instid0(SALU_CYCLE_1)
	s_mov_b32 s1, exec_lo
                                        ; implicit-def: $vgpr13_vgpr14
	v_cmpx_gt_u32_e64 s22, v19
	s_cbranch_execz .LBB1832_209
; %bb.204:
	s_mov_b32 s2, exec_lo
                                        ; implicit-def: $vgpr13_vgpr14
	v_cmpx_ge_u32_e64 v19, v16
	s_xor_b32 s2, exec_lo, s2
	s_cbranch_execz .LBB1832_206
; %bb.205:
	s_waitcnt lgkmcnt(1)
	v_xor_b32_e32 v1, 0xfffff3ff, v0
                                        ; implicit-def: $vgpr19
	s_delay_alu instid0(VALU_DEP_1) | instskip(SKIP_1) | instid1(VALU_DEP_2)
	v_ashrrev_i32_e32 v2, 31, v1
	v_add_co_u32 v13, vcc_lo, v20, v1
	v_add_co_ci_u32_e32 v14, vcc_lo, v21, v2, vcc_lo
.LBB1832_206:
	s_and_not1_saveexec_b32 s2, s2
; %bb.207:
	v_add_co_u32 v13, vcc_lo, v15, v19
	v_add_co_ci_u32_e32 v14, vcc_lo, 0, v17, vcc_lo
; %bb.208:
	s_or_b32 exec_lo, exec_lo, s2
	s_delay_alu instid0(SALU_CYCLE_1)
	s_or_b32 s0, s0, exec_lo
.LBB1832_209:
	s_or_b32 exec_lo, exec_lo, s1
.LBB1832_210:
	s_and_saveexec_b32 s1, s0
	s_cbranch_execz .LBB1832_212
; %bb.211:
	s_waitcnt lgkmcnt(1)
	v_lshlrev_b64 v[1:2], 2, v[13:14]
	s_delay_alu instid0(VALU_DEP_1) | instskip(NEXT) | instid1(VALU_DEP_2)
	v_add_co_u32 v1, vcc_lo, s10, v1
	v_add_co_ci_u32_e32 v2, vcc_lo, s11, v2, vcc_lo
	s_waitcnt lgkmcnt(0)
	global_store_b32 v[1:2], v18, off
.LBB1832_212:
	s_or_b32 exec_lo, exec_lo, s1
	v_cmp_eq_u32_e32 vcc_lo, 0, v0
	s_and_b32 s0, vcc_lo, s14
	s_delay_alu instid0(SALU_CYCLE_1)
	s_and_saveexec_b32 s1, s0
	s_cbranch_execz .LBB1832_214
; %bb.213:
	v_add_co_u32 v0, vcc_lo, v15, v16
	s_waitcnt lgkmcnt(1)
	v_mov_b32_e32 v2, 0
	v_add_co_ci_u32_e32 v1, vcc_lo, 0, v17, vcc_lo
	global_store_b64 v2, v[0:1], s[8:9]
.LBB1832_214:
	s_nop 0
	s_sendmsg sendmsg(MSG_DEALLOC_VGPRS)
	s_endpgm
	.section	.rodata,"a",@progbits
	.p2align	6, 0x0
	.amdhsa_kernel _ZN7rocprim17ROCPRIM_400000_NS6detail17trampoline_kernelINS0_13select_configILj256ELj13ELNS0_17block_load_methodE3ELS4_3ELS4_3ELNS0_20block_scan_algorithmE0ELj4294967295EEENS1_25partition_config_selectorILNS1_17partition_subalgoE3EjNS0_10empty_typeEbEEZZNS1_14partition_implILS8_3ELb0ES6_jNS0_17counting_iteratorIjlEEPS9_SE_NS0_5tupleIJPjSE_EEENSF_IJSE_SE_EEES9_SG_JZNS1_25segmented_radix_sort_implINS0_14default_configELb0EPK6__halfPSL_PKlPlN2at6native12_GLOBAL__N_18offset_tEEE10hipError_tPvRmT1_PNSt15iterator_traitsISZ_E10value_typeET2_T3_PNS10_IS15_E10value_typeET4_jRbjT5_S1B_jjP12ihipStream_tbEUljE_EEESW_SX_SY_S15_S19_S1B_T6_T7_T9_mT8_S1D_bDpT10_ENKUlT_T0_E_clISt17integral_constantIbLb1EES1P_IbLb0EEEEDaS1L_S1M_EUlS1L_E_NS1_11comp_targetILNS1_3genE9ELNS1_11target_archE1100ELNS1_3gpuE3ELNS1_3repE0EEENS1_30default_config_static_selectorELNS0_4arch9wavefront6targetE0EEEvSZ_
		.amdhsa_group_segment_fixed_size 13324
		.amdhsa_private_segment_fixed_size 0
		.amdhsa_kernarg_size 144
		.amdhsa_user_sgpr_count 15
		.amdhsa_user_sgpr_dispatch_ptr 0
		.amdhsa_user_sgpr_queue_ptr 0
		.amdhsa_user_sgpr_kernarg_segment_ptr 1
		.amdhsa_user_sgpr_dispatch_id 0
		.amdhsa_user_sgpr_private_segment_size 0
		.amdhsa_wavefront_size32 1
		.amdhsa_uses_dynamic_stack 0
		.amdhsa_enable_private_segment 0
		.amdhsa_system_sgpr_workgroup_id_x 1
		.amdhsa_system_sgpr_workgroup_id_y 0
		.amdhsa_system_sgpr_workgroup_id_z 0
		.amdhsa_system_sgpr_workgroup_info 0
		.amdhsa_system_vgpr_workitem_id 0
		.amdhsa_next_free_vgpr 57
		.amdhsa_next_free_sgpr 28
		.amdhsa_reserve_vcc 1
		.amdhsa_float_round_mode_32 0
		.amdhsa_float_round_mode_16_64 0
		.amdhsa_float_denorm_mode_32 3
		.amdhsa_float_denorm_mode_16_64 3
		.amdhsa_dx10_clamp 1
		.amdhsa_ieee_mode 1
		.amdhsa_fp16_overflow 0
		.amdhsa_workgroup_processor_mode 1
		.amdhsa_memory_ordered 1
		.amdhsa_forward_progress 0
		.amdhsa_shared_vgpr_count 0
		.amdhsa_exception_fp_ieee_invalid_op 0
		.amdhsa_exception_fp_denorm_src 0
		.amdhsa_exception_fp_ieee_div_zero 0
		.amdhsa_exception_fp_ieee_overflow 0
		.amdhsa_exception_fp_ieee_underflow 0
		.amdhsa_exception_fp_ieee_inexact 0
		.amdhsa_exception_int_div_zero 0
	.end_amdhsa_kernel
	.section	.text._ZN7rocprim17ROCPRIM_400000_NS6detail17trampoline_kernelINS0_13select_configILj256ELj13ELNS0_17block_load_methodE3ELS4_3ELS4_3ELNS0_20block_scan_algorithmE0ELj4294967295EEENS1_25partition_config_selectorILNS1_17partition_subalgoE3EjNS0_10empty_typeEbEEZZNS1_14partition_implILS8_3ELb0ES6_jNS0_17counting_iteratorIjlEEPS9_SE_NS0_5tupleIJPjSE_EEENSF_IJSE_SE_EEES9_SG_JZNS1_25segmented_radix_sort_implINS0_14default_configELb0EPK6__halfPSL_PKlPlN2at6native12_GLOBAL__N_18offset_tEEE10hipError_tPvRmT1_PNSt15iterator_traitsISZ_E10value_typeET2_T3_PNS10_IS15_E10value_typeET4_jRbjT5_S1B_jjP12ihipStream_tbEUljE_EEESW_SX_SY_S15_S19_S1B_T6_T7_T9_mT8_S1D_bDpT10_ENKUlT_T0_E_clISt17integral_constantIbLb1EES1P_IbLb0EEEEDaS1L_S1M_EUlS1L_E_NS1_11comp_targetILNS1_3genE9ELNS1_11target_archE1100ELNS1_3gpuE3ELNS1_3repE0EEENS1_30default_config_static_selectorELNS0_4arch9wavefront6targetE0EEEvSZ_,"axG",@progbits,_ZN7rocprim17ROCPRIM_400000_NS6detail17trampoline_kernelINS0_13select_configILj256ELj13ELNS0_17block_load_methodE3ELS4_3ELS4_3ELNS0_20block_scan_algorithmE0ELj4294967295EEENS1_25partition_config_selectorILNS1_17partition_subalgoE3EjNS0_10empty_typeEbEEZZNS1_14partition_implILS8_3ELb0ES6_jNS0_17counting_iteratorIjlEEPS9_SE_NS0_5tupleIJPjSE_EEENSF_IJSE_SE_EEES9_SG_JZNS1_25segmented_radix_sort_implINS0_14default_configELb0EPK6__halfPSL_PKlPlN2at6native12_GLOBAL__N_18offset_tEEE10hipError_tPvRmT1_PNSt15iterator_traitsISZ_E10value_typeET2_T3_PNS10_IS15_E10value_typeET4_jRbjT5_S1B_jjP12ihipStream_tbEUljE_EEESW_SX_SY_S15_S19_S1B_T6_T7_T9_mT8_S1D_bDpT10_ENKUlT_T0_E_clISt17integral_constantIbLb1EES1P_IbLb0EEEEDaS1L_S1M_EUlS1L_E_NS1_11comp_targetILNS1_3genE9ELNS1_11target_archE1100ELNS1_3gpuE3ELNS1_3repE0EEENS1_30default_config_static_selectorELNS0_4arch9wavefront6targetE0EEEvSZ_,comdat
.Lfunc_end1832:
	.size	_ZN7rocprim17ROCPRIM_400000_NS6detail17trampoline_kernelINS0_13select_configILj256ELj13ELNS0_17block_load_methodE3ELS4_3ELS4_3ELNS0_20block_scan_algorithmE0ELj4294967295EEENS1_25partition_config_selectorILNS1_17partition_subalgoE3EjNS0_10empty_typeEbEEZZNS1_14partition_implILS8_3ELb0ES6_jNS0_17counting_iteratorIjlEEPS9_SE_NS0_5tupleIJPjSE_EEENSF_IJSE_SE_EEES9_SG_JZNS1_25segmented_radix_sort_implINS0_14default_configELb0EPK6__halfPSL_PKlPlN2at6native12_GLOBAL__N_18offset_tEEE10hipError_tPvRmT1_PNSt15iterator_traitsISZ_E10value_typeET2_T3_PNS10_IS15_E10value_typeET4_jRbjT5_S1B_jjP12ihipStream_tbEUljE_EEESW_SX_SY_S15_S19_S1B_T6_T7_T9_mT8_S1D_bDpT10_ENKUlT_T0_E_clISt17integral_constantIbLb1EES1P_IbLb0EEEEDaS1L_S1M_EUlS1L_E_NS1_11comp_targetILNS1_3genE9ELNS1_11target_archE1100ELNS1_3gpuE3ELNS1_3repE0EEENS1_30default_config_static_selectorELNS0_4arch9wavefront6targetE0EEEvSZ_, .Lfunc_end1832-_ZN7rocprim17ROCPRIM_400000_NS6detail17trampoline_kernelINS0_13select_configILj256ELj13ELNS0_17block_load_methodE3ELS4_3ELS4_3ELNS0_20block_scan_algorithmE0ELj4294967295EEENS1_25partition_config_selectorILNS1_17partition_subalgoE3EjNS0_10empty_typeEbEEZZNS1_14partition_implILS8_3ELb0ES6_jNS0_17counting_iteratorIjlEEPS9_SE_NS0_5tupleIJPjSE_EEENSF_IJSE_SE_EEES9_SG_JZNS1_25segmented_radix_sort_implINS0_14default_configELb0EPK6__halfPSL_PKlPlN2at6native12_GLOBAL__N_18offset_tEEE10hipError_tPvRmT1_PNSt15iterator_traitsISZ_E10value_typeET2_T3_PNS10_IS15_E10value_typeET4_jRbjT5_S1B_jjP12ihipStream_tbEUljE_EEESW_SX_SY_S15_S19_S1B_T6_T7_T9_mT8_S1D_bDpT10_ENKUlT_T0_E_clISt17integral_constantIbLb1EES1P_IbLb0EEEEDaS1L_S1M_EUlS1L_E_NS1_11comp_targetILNS1_3genE9ELNS1_11target_archE1100ELNS1_3gpuE3ELNS1_3repE0EEENS1_30default_config_static_selectorELNS0_4arch9wavefront6targetE0EEEvSZ_
                                        ; -- End function
	.section	.AMDGPU.csdata,"",@progbits
; Kernel info:
; codeLenInByte = 8964
; NumSgprs: 30
; NumVgprs: 57
; ScratchSize: 0
; MemoryBound: 0
; FloatMode: 240
; IeeeMode: 1
; LDSByteSize: 13324 bytes/workgroup (compile time only)
; SGPRBlocks: 3
; VGPRBlocks: 7
; NumSGPRsForWavesPerEU: 30
; NumVGPRsForWavesPerEU: 57
; Occupancy: 16
; WaveLimiterHint : 0
; COMPUTE_PGM_RSRC2:SCRATCH_EN: 0
; COMPUTE_PGM_RSRC2:USER_SGPR: 15
; COMPUTE_PGM_RSRC2:TRAP_HANDLER: 0
; COMPUTE_PGM_RSRC2:TGID_X_EN: 1
; COMPUTE_PGM_RSRC2:TGID_Y_EN: 0
; COMPUTE_PGM_RSRC2:TGID_Z_EN: 0
; COMPUTE_PGM_RSRC2:TIDIG_COMP_CNT: 0
	.section	.text._ZN7rocprim17ROCPRIM_400000_NS6detail17trampoline_kernelINS0_13select_configILj256ELj13ELNS0_17block_load_methodE3ELS4_3ELS4_3ELNS0_20block_scan_algorithmE0ELj4294967295EEENS1_25partition_config_selectorILNS1_17partition_subalgoE3EjNS0_10empty_typeEbEEZZNS1_14partition_implILS8_3ELb0ES6_jNS0_17counting_iteratorIjlEEPS9_SE_NS0_5tupleIJPjSE_EEENSF_IJSE_SE_EEES9_SG_JZNS1_25segmented_radix_sort_implINS0_14default_configELb0EPK6__halfPSL_PKlPlN2at6native12_GLOBAL__N_18offset_tEEE10hipError_tPvRmT1_PNSt15iterator_traitsISZ_E10value_typeET2_T3_PNS10_IS15_E10value_typeET4_jRbjT5_S1B_jjP12ihipStream_tbEUljE_EEESW_SX_SY_S15_S19_S1B_T6_T7_T9_mT8_S1D_bDpT10_ENKUlT_T0_E_clISt17integral_constantIbLb1EES1P_IbLb0EEEEDaS1L_S1M_EUlS1L_E_NS1_11comp_targetILNS1_3genE8ELNS1_11target_archE1030ELNS1_3gpuE2ELNS1_3repE0EEENS1_30default_config_static_selectorELNS0_4arch9wavefront6targetE0EEEvSZ_,"axG",@progbits,_ZN7rocprim17ROCPRIM_400000_NS6detail17trampoline_kernelINS0_13select_configILj256ELj13ELNS0_17block_load_methodE3ELS4_3ELS4_3ELNS0_20block_scan_algorithmE0ELj4294967295EEENS1_25partition_config_selectorILNS1_17partition_subalgoE3EjNS0_10empty_typeEbEEZZNS1_14partition_implILS8_3ELb0ES6_jNS0_17counting_iteratorIjlEEPS9_SE_NS0_5tupleIJPjSE_EEENSF_IJSE_SE_EEES9_SG_JZNS1_25segmented_radix_sort_implINS0_14default_configELb0EPK6__halfPSL_PKlPlN2at6native12_GLOBAL__N_18offset_tEEE10hipError_tPvRmT1_PNSt15iterator_traitsISZ_E10value_typeET2_T3_PNS10_IS15_E10value_typeET4_jRbjT5_S1B_jjP12ihipStream_tbEUljE_EEESW_SX_SY_S15_S19_S1B_T6_T7_T9_mT8_S1D_bDpT10_ENKUlT_T0_E_clISt17integral_constantIbLb1EES1P_IbLb0EEEEDaS1L_S1M_EUlS1L_E_NS1_11comp_targetILNS1_3genE8ELNS1_11target_archE1030ELNS1_3gpuE2ELNS1_3repE0EEENS1_30default_config_static_selectorELNS0_4arch9wavefront6targetE0EEEvSZ_,comdat
	.globl	_ZN7rocprim17ROCPRIM_400000_NS6detail17trampoline_kernelINS0_13select_configILj256ELj13ELNS0_17block_load_methodE3ELS4_3ELS4_3ELNS0_20block_scan_algorithmE0ELj4294967295EEENS1_25partition_config_selectorILNS1_17partition_subalgoE3EjNS0_10empty_typeEbEEZZNS1_14partition_implILS8_3ELb0ES6_jNS0_17counting_iteratorIjlEEPS9_SE_NS0_5tupleIJPjSE_EEENSF_IJSE_SE_EEES9_SG_JZNS1_25segmented_radix_sort_implINS0_14default_configELb0EPK6__halfPSL_PKlPlN2at6native12_GLOBAL__N_18offset_tEEE10hipError_tPvRmT1_PNSt15iterator_traitsISZ_E10value_typeET2_T3_PNS10_IS15_E10value_typeET4_jRbjT5_S1B_jjP12ihipStream_tbEUljE_EEESW_SX_SY_S15_S19_S1B_T6_T7_T9_mT8_S1D_bDpT10_ENKUlT_T0_E_clISt17integral_constantIbLb1EES1P_IbLb0EEEEDaS1L_S1M_EUlS1L_E_NS1_11comp_targetILNS1_3genE8ELNS1_11target_archE1030ELNS1_3gpuE2ELNS1_3repE0EEENS1_30default_config_static_selectorELNS0_4arch9wavefront6targetE0EEEvSZ_ ; -- Begin function _ZN7rocprim17ROCPRIM_400000_NS6detail17trampoline_kernelINS0_13select_configILj256ELj13ELNS0_17block_load_methodE3ELS4_3ELS4_3ELNS0_20block_scan_algorithmE0ELj4294967295EEENS1_25partition_config_selectorILNS1_17partition_subalgoE3EjNS0_10empty_typeEbEEZZNS1_14partition_implILS8_3ELb0ES6_jNS0_17counting_iteratorIjlEEPS9_SE_NS0_5tupleIJPjSE_EEENSF_IJSE_SE_EEES9_SG_JZNS1_25segmented_radix_sort_implINS0_14default_configELb0EPK6__halfPSL_PKlPlN2at6native12_GLOBAL__N_18offset_tEEE10hipError_tPvRmT1_PNSt15iterator_traitsISZ_E10value_typeET2_T3_PNS10_IS15_E10value_typeET4_jRbjT5_S1B_jjP12ihipStream_tbEUljE_EEESW_SX_SY_S15_S19_S1B_T6_T7_T9_mT8_S1D_bDpT10_ENKUlT_T0_E_clISt17integral_constantIbLb1EES1P_IbLb0EEEEDaS1L_S1M_EUlS1L_E_NS1_11comp_targetILNS1_3genE8ELNS1_11target_archE1030ELNS1_3gpuE2ELNS1_3repE0EEENS1_30default_config_static_selectorELNS0_4arch9wavefront6targetE0EEEvSZ_
	.p2align	8
	.type	_ZN7rocprim17ROCPRIM_400000_NS6detail17trampoline_kernelINS0_13select_configILj256ELj13ELNS0_17block_load_methodE3ELS4_3ELS4_3ELNS0_20block_scan_algorithmE0ELj4294967295EEENS1_25partition_config_selectorILNS1_17partition_subalgoE3EjNS0_10empty_typeEbEEZZNS1_14partition_implILS8_3ELb0ES6_jNS0_17counting_iteratorIjlEEPS9_SE_NS0_5tupleIJPjSE_EEENSF_IJSE_SE_EEES9_SG_JZNS1_25segmented_radix_sort_implINS0_14default_configELb0EPK6__halfPSL_PKlPlN2at6native12_GLOBAL__N_18offset_tEEE10hipError_tPvRmT1_PNSt15iterator_traitsISZ_E10value_typeET2_T3_PNS10_IS15_E10value_typeET4_jRbjT5_S1B_jjP12ihipStream_tbEUljE_EEESW_SX_SY_S15_S19_S1B_T6_T7_T9_mT8_S1D_bDpT10_ENKUlT_T0_E_clISt17integral_constantIbLb1EES1P_IbLb0EEEEDaS1L_S1M_EUlS1L_E_NS1_11comp_targetILNS1_3genE8ELNS1_11target_archE1030ELNS1_3gpuE2ELNS1_3repE0EEENS1_30default_config_static_selectorELNS0_4arch9wavefront6targetE0EEEvSZ_,@function
_ZN7rocprim17ROCPRIM_400000_NS6detail17trampoline_kernelINS0_13select_configILj256ELj13ELNS0_17block_load_methodE3ELS4_3ELS4_3ELNS0_20block_scan_algorithmE0ELj4294967295EEENS1_25partition_config_selectorILNS1_17partition_subalgoE3EjNS0_10empty_typeEbEEZZNS1_14partition_implILS8_3ELb0ES6_jNS0_17counting_iteratorIjlEEPS9_SE_NS0_5tupleIJPjSE_EEENSF_IJSE_SE_EEES9_SG_JZNS1_25segmented_radix_sort_implINS0_14default_configELb0EPK6__halfPSL_PKlPlN2at6native12_GLOBAL__N_18offset_tEEE10hipError_tPvRmT1_PNSt15iterator_traitsISZ_E10value_typeET2_T3_PNS10_IS15_E10value_typeET4_jRbjT5_S1B_jjP12ihipStream_tbEUljE_EEESW_SX_SY_S15_S19_S1B_T6_T7_T9_mT8_S1D_bDpT10_ENKUlT_T0_E_clISt17integral_constantIbLb1EES1P_IbLb0EEEEDaS1L_S1M_EUlS1L_E_NS1_11comp_targetILNS1_3genE8ELNS1_11target_archE1030ELNS1_3gpuE2ELNS1_3repE0EEENS1_30default_config_static_selectorELNS0_4arch9wavefront6targetE0EEEvSZ_: ; @_ZN7rocprim17ROCPRIM_400000_NS6detail17trampoline_kernelINS0_13select_configILj256ELj13ELNS0_17block_load_methodE3ELS4_3ELS4_3ELNS0_20block_scan_algorithmE0ELj4294967295EEENS1_25partition_config_selectorILNS1_17partition_subalgoE3EjNS0_10empty_typeEbEEZZNS1_14partition_implILS8_3ELb0ES6_jNS0_17counting_iteratorIjlEEPS9_SE_NS0_5tupleIJPjSE_EEENSF_IJSE_SE_EEES9_SG_JZNS1_25segmented_radix_sort_implINS0_14default_configELb0EPK6__halfPSL_PKlPlN2at6native12_GLOBAL__N_18offset_tEEE10hipError_tPvRmT1_PNSt15iterator_traitsISZ_E10value_typeET2_T3_PNS10_IS15_E10value_typeET4_jRbjT5_S1B_jjP12ihipStream_tbEUljE_EEESW_SX_SY_S15_S19_S1B_T6_T7_T9_mT8_S1D_bDpT10_ENKUlT_T0_E_clISt17integral_constantIbLb1EES1P_IbLb0EEEEDaS1L_S1M_EUlS1L_E_NS1_11comp_targetILNS1_3genE8ELNS1_11target_archE1030ELNS1_3gpuE2ELNS1_3repE0EEENS1_30default_config_static_selectorELNS0_4arch9wavefront6targetE0EEEvSZ_
; %bb.0:
	.section	.rodata,"a",@progbits
	.p2align	6, 0x0
	.amdhsa_kernel _ZN7rocprim17ROCPRIM_400000_NS6detail17trampoline_kernelINS0_13select_configILj256ELj13ELNS0_17block_load_methodE3ELS4_3ELS4_3ELNS0_20block_scan_algorithmE0ELj4294967295EEENS1_25partition_config_selectorILNS1_17partition_subalgoE3EjNS0_10empty_typeEbEEZZNS1_14partition_implILS8_3ELb0ES6_jNS0_17counting_iteratorIjlEEPS9_SE_NS0_5tupleIJPjSE_EEENSF_IJSE_SE_EEES9_SG_JZNS1_25segmented_radix_sort_implINS0_14default_configELb0EPK6__halfPSL_PKlPlN2at6native12_GLOBAL__N_18offset_tEEE10hipError_tPvRmT1_PNSt15iterator_traitsISZ_E10value_typeET2_T3_PNS10_IS15_E10value_typeET4_jRbjT5_S1B_jjP12ihipStream_tbEUljE_EEESW_SX_SY_S15_S19_S1B_T6_T7_T9_mT8_S1D_bDpT10_ENKUlT_T0_E_clISt17integral_constantIbLb1EES1P_IbLb0EEEEDaS1L_S1M_EUlS1L_E_NS1_11comp_targetILNS1_3genE8ELNS1_11target_archE1030ELNS1_3gpuE2ELNS1_3repE0EEENS1_30default_config_static_selectorELNS0_4arch9wavefront6targetE0EEEvSZ_
		.amdhsa_group_segment_fixed_size 0
		.amdhsa_private_segment_fixed_size 0
		.amdhsa_kernarg_size 144
		.amdhsa_user_sgpr_count 15
		.amdhsa_user_sgpr_dispatch_ptr 0
		.amdhsa_user_sgpr_queue_ptr 0
		.amdhsa_user_sgpr_kernarg_segment_ptr 1
		.amdhsa_user_sgpr_dispatch_id 0
		.amdhsa_user_sgpr_private_segment_size 0
		.amdhsa_wavefront_size32 1
		.amdhsa_uses_dynamic_stack 0
		.amdhsa_enable_private_segment 0
		.amdhsa_system_sgpr_workgroup_id_x 1
		.amdhsa_system_sgpr_workgroup_id_y 0
		.amdhsa_system_sgpr_workgroup_id_z 0
		.amdhsa_system_sgpr_workgroup_info 0
		.amdhsa_system_vgpr_workitem_id 0
		.amdhsa_next_free_vgpr 1
		.amdhsa_next_free_sgpr 1
		.amdhsa_reserve_vcc 0
		.amdhsa_float_round_mode_32 0
		.amdhsa_float_round_mode_16_64 0
		.amdhsa_float_denorm_mode_32 3
		.amdhsa_float_denorm_mode_16_64 3
		.amdhsa_dx10_clamp 1
		.amdhsa_ieee_mode 1
		.amdhsa_fp16_overflow 0
		.amdhsa_workgroup_processor_mode 1
		.amdhsa_memory_ordered 1
		.amdhsa_forward_progress 0
		.amdhsa_shared_vgpr_count 0
		.amdhsa_exception_fp_ieee_invalid_op 0
		.amdhsa_exception_fp_denorm_src 0
		.amdhsa_exception_fp_ieee_div_zero 0
		.amdhsa_exception_fp_ieee_overflow 0
		.amdhsa_exception_fp_ieee_underflow 0
		.amdhsa_exception_fp_ieee_inexact 0
		.amdhsa_exception_int_div_zero 0
	.end_amdhsa_kernel
	.section	.text._ZN7rocprim17ROCPRIM_400000_NS6detail17trampoline_kernelINS0_13select_configILj256ELj13ELNS0_17block_load_methodE3ELS4_3ELS4_3ELNS0_20block_scan_algorithmE0ELj4294967295EEENS1_25partition_config_selectorILNS1_17partition_subalgoE3EjNS0_10empty_typeEbEEZZNS1_14partition_implILS8_3ELb0ES6_jNS0_17counting_iteratorIjlEEPS9_SE_NS0_5tupleIJPjSE_EEENSF_IJSE_SE_EEES9_SG_JZNS1_25segmented_radix_sort_implINS0_14default_configELb0EPK6__halfPSL_PKlPlN2at6native12_GLOBAL__N_18offset_tEEE10hipError_tPvRmT1_PNSt15iterator_traitsISZ_E10value_typeET2_T3_PNS10_IS15_E10value_typeET4_jRbjT5_S1B_jjP12ihipStream_tbEUljE_EEESW_SX_SY_S15_S19_S1B_T6_T7_T9_mT8_S1D_bDpT10_ENKUlT_T0_E_clISt17integral_constantIbLb1EES1P_IbLb0EEEEDaS1L_S1M_EUlS1L_E_NS1_11comp_targetILNS1_3genE8ELNS1_11target_archE1030ELNS1_3gpuE2ELNS1_3repE0EEENS1_30default_config_static_selectorELNS0_4arch9wavefront6targetE0EEEvSZ_,"axG",@progbits,_ZN7rocprim17ROCPRIM_400000_NS6detail17trampoline_kernelINS0_13select_configILj256ELj13ELNS0_17block_load_methodE3ELS4_3ELS4_3ELNS0_20block_scan_algorithmE0ELj4294967295EEENS1_25partition_config_selectorILNS1_17partition_subalgoE3EjNS0_10empty_typeEbEEZZNS1_14partition_implILS8_3ELb0ES6_jNS0_17counting_iteratorIjlEEPS9_SE_NS0_5tupleIJPjSE_EEENSF_IJSE_SE_EEES9_SG_JZNS1_25segmented_radix_sort_implINS0_14default_configELb0EPK6__halfPSL_PKlPlN2at6native12_GLOBAL__N_18offset_tEEE10hipError_tPvRmT1_PNSt15iterator_traitsISZ_E10value_typeET2_T3_PNS10_IS15_E10value_typeET4_jRbjT5_S1B_jjP12ihipStream_tbEUljE_EEESW_SX_SY_S15_S19_S1B_T6_T7_T9_mT8_S1D_bDpT10_ENKUlT_T0_E_clISt17integral_constantIbLb1EES1P_IbLb0EEEEDaS1L_S1M_EUlS1L_E_NS1_11comp_targetILNS1_3genE8ELNS1_11target_archE1030ELNS1_3gpuE2ELNS1_3repE0EEENS1_30default_config_static_selectorELNS0_4arch9wavefront6targetE0EEEvSZ_,comdat
.Lfunc_end1833:
	.size	_ZN7rocprim17ROCPRIM_400000_NS6detail17trampoline_kernelINS0_13select_configILj256ELj13ELNS0_17block_load_methodE3ELS4_3ELS4_3ELNS0_20block_scan_algorithmE0ELj4294967295EEENS1_25partition_config_selectorILNS1_17partition_subalgoE3EjNS0_10empty_typeEbEEZZNS1_14partition_implILS8_3ELb0ES6_jNS0_17counting_iteratorIjlEEPS9_SE_NS0_5tupleIJPjSE_EEENSF_IJSE_SE_EEES9_SG_JZNS1_25segmented_radix_sort_implINS0_14default_configELb0EPK6__halfPSL_PKlPlN2at6native12_GLOBAL__N_18offset_tEEE10hipError_tPvRmT1_PNSt15iterator_traitsISZ_E10value_typeET2_T3_PNS10_IS15_E10value_typeET4_jRbjT5_S1B_jjP12ihipStream_tbEUljE_EEESW_SX_SY_S15_S19_S1B_T6_T7_T9_mT8_S1D_bDpT10_ENKUlT_T0_E_clISt17integral_constantIbLb1EES1P_IbLb0EEEEDaS1L_S1M_EUlS1L_E_NS1_11comp_targetILNS1_3genE8ELNS1_11target_archE1030ELNS1_3gpuE2ELNS1_3repE0EEENS1_30default_config_static_selectorELNS0_4arch9wavefront6targetE0EEEvSZ_, .Lfunc_end1833-_ZN7rocprim17ROCPRIM_400000_NS6detail17trampoline_kernelINS0_13select_configILj256ELj13ELNS0_17block_load_methodE3ELS4_3ELS4_3ELNS0_20block_scan_algorithmE0ELj4294967295EEENS1_25partition_config_selectorILNS1_17partition_subalgoE3EjNS0_10empty_typeEbEEZZNS1_14partition_implILS8_3ELb0ES6_jNS0_17counting_iteratorIjlEEPS9_SE_NS0_5tupleIJPjSE_EEENSF_IJSE_SE_EEES9_SG_JZNS1_25segmented_radix_sort_implINS0_14default_configELb0EPK6__halfPSL_PKlPlN2at6native12_GLOBAL__N_18offset_tEEE10hipError_tPvRmT1_PNSt15iterator_traitsISZ_E10value_typeET2_T3_PNS10_IS15_E10value_typeET4_jRbjT5_S1B_jjP12ihipStream_tbEUljE_EEESW_SX_SY_S15_S19_S1B_T6_T7_T9_mT8_S1D_bDpT10_ENKUlT_T0_E_clISt17integral_constantIbLb1EES1P_IbLb0EEEEDaS1L_S1M_EUlS1L_E_NS1_11comp_targetILNS1_3genE8ELNS1_11target_archE1030ELNS1_3gpuE2ELNS1_3repE0EEENS1_30default_config_static_selectorELNS0_4arch9wavefront6targetE0EEEvSZ_
                                        ; -- End function
	.section	.AMDGPU.csdata,"",@progbits
; Kernel info:
; codeLenInByte = 0
; NumSgprs: 0
; NumVgprs: 0
; ScratchSize: 0
; MemoryBound: 0
; FloatMode: 240
; IeeeMode: 1
; LDSByteSize: 0 bytes/workgroup (compile time only)
; SGPRBlocks: 0
; VGPRBlocks: 0
; NumSGPRsForWavesPerEU: 1
; NumVGPRsForWavesPerEU: 1
; Occupancy: 16
; WaveLimiterHint : 0
; COMPUTE_PGM_RSRC2:SCRATCH_EN: 0
; COMPUTE_PGM_RSRC2:USER_SGPR: 15
; COMPUTE_PGM_RSRC2:TRAP_HANDLER: 0
; COMPUTE_PGM_RSRC2:TGID_X_EN: 1
; COMPUTE_PGM_RSRC2:TGID_Y_EN: 0
; COMPUTE_PGM_RSRC2:TGID_Z_EN: 0
; COMPUTE_PGM_RSRC2:TIDIG_COMP_CNT: 0
	.section	.text._ZN7rocprim17ROCPRIM_400000_NS6detail17trampoline_kernelINS0_13select_configILj256ELj13ELNS0_17block_load_methodE3ELS4_3ELS4_3ELNS0_20block_scan_algorithmE0ELj4294967295EEENS1_25partition_config_selectorILNS1_17partition_subalgoE3EjNS0_10empty_typeEbEEZZNS1_14partition_implILS8_3ELb0ES6_jNS0_17counting_iteratorIjlEEPS9_SE_NS0_5tupleIJPjSE_EEENSF_IJSE_SE_EEES9_SG_JZNS1_25segmented_radix_sort_implINS0_14default_configELb0EPK6__halfPSL_PKlPlN2at6native12_GLOBAL__N_18offset_tEEE10hipError_tPvRmT1_PNSt15iterator_traitsISZ_E10value_typeET2_T3_PNS10_IS15_E10value_typeET4_jRbjT5_S1B_jjP12ihipStream_tbEUljE_EEESW_SX_SY_S15_S19_S1B_T6_T7_T9_mT8_S1D_bDpT10_ENKUlT_T0_E_clISt17integral_constantIbLb0EES1P_IbLb1EEEEDaS1L_S1M_EUlS1L_E_NS1_11comp_targetILNS1_3genE0ELNS1_11target_archE4294967295ELNS1_3gpuE0ELNS1_3repE0EEENS1_30default_config_static_selectorELNS0_4arch9wavefront6targetE0EEEvSZ_,"axG",@progbits,_ZN7rocprim17ROCPRIM_400000_NS6detail17trampoline_kernelINS0_13select_configILj256ELj13ELNS0_17block_load_methodE3ELS4_3ELS4_3ELNS0_20block_scan_algorithmE0ELj4294967295EEENS1_25partition_config_selectorILNS1_17partition_subalgoE3EjNS0_10empty_typeEbEEZZNS1_14partition_implILS8_3ELb0ES6_jNS0_17counting_iteratorIjlEEPS9_SE_NS0_5tupleIJPjSE_EEENSF_IJSE_SE_EEES9_SG_JZNS1_25segmented_radix_sort_implINS0_14default_configELb0EPK6__halfPSL_PKlPlN2at6native12_GLOBAL__N_18offset_tEEE10hipError_tPvRmT1_PNSt15iterator_traitsISZ_E10value_typeET2_T3_PNS10_IS15_E10value_typeET4_jRbjT5_S1B_jjP12ihipStream_tbEUljE_EEESW_SX_SY_S15_S19_S1B_T6_T7_T9_mT8_S1D_bDpT10_ENKUlT_T0_E_clISt17integral_constantIbLb0EES1P_IbLb1EEEEDaS1L_S1M_EUlS1L_E_NS1_11comp_targetILNS1_3genE0ELNS1_11target_archE4294967295ELNS1_3gpuE0ELNS1_3repE0EEENS1_30default_config_static_selectorELNS0_4arch9wavefront6targetE0EEEvSZ_,comdat
	.globl	_ZN7rocprim17ROCPRIM_400000_NS6detail17trampoline_kernelINS0_13select_configILj256ELj13ELNS0_17block_load_methodE3ELS4_3ELS4_3ELNS0_20block_scan_algorithmE0ELj4294967295EEENS1_25partition_config_selectorILNS1_17partition_subalgoE3EjNS0_10empty_typeEbEEZZNS1_14partition_implILS8_3ELb0ES6_jNS0_17counting_iteratorIjlEEPS9_SE_NS0_5tupleIJPjSE_EEENSF_IJSE_SE_EEES9_SG_JZNS1_25segmented_radix_sort_implINS0_14default_configELb0EPK6__halfPSL_PKlPlN2at6native12_GLOBAL__N_18offset_tEEE10hipError_tPvRmT1_PNSt15iterator_traitsISZ_E10value_typeET2_T3_PNS10_IS15_E10value_typeET4_jRbjT5_S1B_jjP12ihipStream_tbEUljE_EEESW_SX_SY_S15_S19_S1B_T6_T7_T9_mT8_S1D_bDpT10_ENKUlT_T0_E_clISt17integral_constantIbLb0EES1P_IbLb1EEEEDaS1L_S1M_EUlS1L_E_NS1_11comp_targetILNS1_3genE0ELNS1_11target_archE4294967295ELNS1_3gpuE0ELNS1_3repE0EEENS1_30default_config_static_selectorELNS0_4arch9wavefront6targetE0EEEvSZ_ ; -- Begin function _ZN7rocprim17ROCPRIM_400000_NS6detail17trampoline_kernelINS0_13select_configILj256ELj13ELNS0_17block_load_methodE3ELS4_3ELS4_3ELNS0_20block_scan_algorithmE0ELj4294967295EEENS1_25partition_config_selectorILNS1_17partition_subalgoE3EjNS0_10empty_typeEbEEZZNS1_14partition_implILS8_3ELb0ES6_jNS0_17counting_iteratorIjlEEPS9_SE_NS0_5tupleIJPjSE_EEENSF_IJSE_SE_EEES9_SG_JZNS1_25segmented_radix_sort_implINS0_14default_configELb0EPK6__halfPSL_PKlPlN2at6native12_GLOBAL__N_18offset_tEEE10hipError_tPvRmT1_PNSt15iterator_traitsISZ_E10value_typeET2_T3_PNS10_IS15_E10value_typeET4_jRbjT5_S1B_jjP12ihipStream_tbEUljE_EEESW_SX_SY_S15_S19_S1B_T6_T7_T9_mT8_S1D_bDpT10_ENKUlT_T0_E_clISt17integral_constantIbLb0EES1P_IbLb1EEEEDaS1L_S1M_EUlS1L_E_NS1_11comp_targetILNS1_3genE0ELNS1_11target_archE4294967295ELNS1_3gpuE0ELNS1_3repE0EEENS1_30default_config_static_selectorELNS0_4arch9wavefront6targetE0EEEvSZ_
	.p2align	8
	.type	_ZN7rocprim17ROCPRIM_400000_NS6detail17trampoline_kernelINS0_13select_configILj256ELj13ELNS0_17block_load_methodE3ELS4_3ELS4_3ELNS0_20block_scan_algorithmE0ELj4294967295EEENS1_25partition_config_selectorILNS1_17partition_subalgoE3EjNS0_10empty_typeEbEEZZNS1_14partition_implILS8_3ELb0ES6_jNS0_17counting_iteratorIjlEEPS9_SE_NS0_5tupleIJPjSE_EEENSF_IJSE_SE_EEES9_SG_JZNS1_25segmented_radix_sort_implINS0_14default_configELb0EPK6__halfPSL_PKlPlN2at6native12_GLOBAL__N_18offset_tEEE10hipError_tPvRmT1_PNSt15iterator_traitsISZ_E10value_typeET2_T3_PNS10_IS15_E10value_typeET4_jRbjT5_S1B_jjP12ihipStream_tbEUljE_EEESW_SX_SY_S15_S19_S1B_T6_T7_T9_mT8_S1D_bDpT10_ENKUlT_T0_E_clISt17integral_constantIbLb0EES1P_IbLb1EEEEDaS1L_S1M_EUlS1L_E_NS1_11comp_targetILNS1_3genE0ELNS1_11target_archE4294967295ELNS1_3gpuE0ELNS1_3repE0EEENS1_30default_config_static_selectorELNS0_4arch9wavefront6targetE0EEEvSZ_,@function
_ZN7rocprim17ROCPRIM_400000_NS6detail17trampoline_kernelINS0_13select_configILj256ELj13ELNS0_17block_load_methodE3ELS4_3ELS4_3ELNS0_20block_scan_algorithmE0ELj4294967295EEENS1_25partition_config_selectorILNS1_17partition_subalgoE3EjNS0_10empty_typeEbEEZZNS1_14partition_implILS8_3ELb0ES6_jNS0_17counting_iteratorIjlEEPS9_SE_NS0_5tupleIJPjSE_EEENSF_IJSE_SE_EEES9_SG_JZNS1_25segmented_radix_sort_implINS0_14default_configELb0EPK6__halfPSL_PKlPlN2at6native12_GLOBAL__N_18offset_tEEE10hipError_tPvRmT1_PNSt15iterator_traitsISZ_E10value_typeET2_T3_PNS10_IS15_E10value_typeET4_jRbjT5_S1B_jjP12ihipStream_tbEUljE_EEESW_SX_SY_S15_S19_S1B_T6_T7_T9_mT8_S1D_bDpT10_ENKUlT_T0_E_clISt17integral_constantIbLb0EES1P_IbLb1EEEEDaS1L_S1M_EUlS1L_E_NS1_11comp_targetILNS1_3genE0ELNS1_11target_archE4294967295ELNS1_3gpuE0ELNS1_3repE0EEENS1_30default_config_static_selectorELNS0_4arch9wavefront6targetE0EEEvSZ_: ; @_ZN7rocprim17ROCPRIM_400000_NS6detail17trampoline_kernelINS0_13select_configILj256ELj13ELNS0_17block_load_methodE3ELS4_3ELS4_3ELNS0_20block_scan_algorithmE0ELj4294967295EEENS1_25partition_config_selectorILNS1_17partition_subalgoE3EjNS0_10empty_typeEbEEZZNS1_14partition_implILS8_3ELb0ES6_jNS0_17counting_iteratorIjlEEPS9_SE_NS0_5tupleIJPjSE_EEENSF_IJSE_SE_EEES9_SG_JZNS1_25segmented_radix_sort_implINS0_14default_configELb0EPK6__halfPSL_PKlPlN2at6native12_GLOBAL__N_18offset_tEEE10hipError_tPvRmT1_PNSt15iterator_traitsISZ_E10value_typeET2_T3_PNS10_IS15_E10value_typeET4_jRbjT5_S1B_jjP12ihipStream_tbEUljE_EEESW_SX_SY_S15_S19_S1B_T6_T7_T9_mT8_S1D_bDpT10_ENKUlT_T0_E_clISt17integral_constantIbLb0EES1P_IbLb1EEEEDaS1L_S1M_EUlS1L_E_NS1_11comp_targetILNS1_3genE0ELNS1_11target_archE4294967295ELNS1_3gpuE0ELNS1_3repE0EEENS1_30default_config_static_selectorELNS0_4arch9wavefront6targetE0EEEvSZ_
; %bb.0:
	.section	.rodata,"a",@progbits
	.p2align	6, 0x0
	.amdhsa_kernel _ZN7rocprim17ROCPRIM_400000_NS6detail17trampoline_kernelINS0_13select_configILj256ELj13ELNS0_17block_load_methodE3ELS4_3ELS4_3ELNS0_20block_scan_algorithmE0ELj4294967295EEENS1_25partition_config_selectorILNS1_17partition_subalgoE3EjNS0_10empty_typeEbEEZZNS1_14partition_implILS8_3ELb0ES6_jNS0_17counting_iteratorIjlEEPS9_SE_NS0_5tupleIJPjSE_EEENSF_IJSE_SE_EEES9_SG_JZNS1_25segmented_radix_sort_implINS0_14default_configELb0EPK6__halfPSL_PKlPlN2at6native12_GLOBAL__N_18offset_tEEE10hipError_tPvRmT1_PNSt15iterator_traitsISZ_E10value_typeET2_T3_PNS10_IS15_E10value_typeET4_jRbjT5_S1B_jjP12ihipStream_tbEUljE_EEESW_SX_SY_S15_S19_S1B_T6_T7_T9_mT8_S1D_bDpT10_ENKUlT_T0_E_clISt17integral_constantIbLb0EES1P_IbLb1EEEEDaS1L_S1M_EUlS1L_E_NS1_11comp_targetILNS1_3genE0ELNS1_11target_archE4294967295ELNS1_3gpuE0ELNS1_3repE0EEENS1_30default_config_static_selectorELNS0_4arch9wavefront6targetE0EEEvSZ_
		.amdhsa_group_segment_fixed_size 0
		.amdhsa_private_segment_fixed_size 0
		.amdhsa_kernarg_size 152
		.amdhsa_user_sgpr_count 15
		.amdhsa_user_sgpr_dispatch_ptr 0
		.amdhsa_user_sgpr_queue_ptr 0
		.amdhsa_user_sgpr_kernarg_segment_ptr 1
		.amdhsa_user_sgpr_dispatch_id 0
		.amdhsa_user_sgpr_private_segment_size 0
		.amdhsa_wavefront_size32 1
		.amdhsa_uses_dynamic_stack 0
		.amdhsa_enable_private_segment 0
		.amdhsa_system_sgpr_workgroup_id_x 1
		.amdhsa_system_sgpr_workgroup_id_y 0
		.amdhsa_system_sgpr_workgroup_id_z 0
		.amdhsa_system_sgpr_workgroup_info 0
		.amdhsa_system_vgpr_workitem_id 0
		.amdhsa_next_free_vgpr 1
		.amdhsa_next_free_sgpr 1
		.amdhsa_reserve_vcc 0
		.amdhsa_float_round_mode_32 0
		.amdhsa_float_round_mode_16_64 0
		.amdhsa_float_denorm_mode_32 3
		.amdhsa_float_denorm_mode_16_64 3
		.amdhsa_dx10_clamp 1
		.amdhsa_ieee_mode 1
		.amdhsa_fp16_overflow 0
		.amdhsa_workgroup_processor_mode 1
		.amdhsa_memory_ordered 1
		.amdhsa_forward_progress 0
		.amdhsa_shared_vgpr_count 0
		.amdhsa_exception_fp_ieee_invalid_op 0
		.amdhsa_exception_fp_denorm_src 0
		.amdhsa_exception_fp_ieee_div_zero 0
		.amdhsa_exception_fp_ieee_overflow 0
		.amdhsa_exception_fp_ieee_underflow 0
		.amdhsa_exception_fp_ieee_inexact 0
		.amdhsa_exception_int_div_zero 0
	.end_amdhsa_kernel
	.section	.text._ZN7rocprim17ROCPRIM_400000_NS6detail17trampoline_kernelINS0_13select_configILj256ELj13ELNS0_17block_load_methodE3ELS4_3ELS4_3ELNS0_20block_scan_algorithmE0ELj4294967295EEENS1_25partition_config_selectorILNS1_17partition_subalgoE3EjNS0_10empty_typeEbEEZZNS1_14partition_implILS8_3ELb0ES6_jNS0_17counting_iteratorIjlEEPS9_SE_NS0_5tupleIJPjSE_EEENSF_IJSE_SE_EEES9_SG_JZNS1_25segmented_radix_sort_implINS0_14default_configELb0EPK6__halfPSL_PKlPlN2at6native12_GLOBAL__N_18offset_tEEE10hipError_tPvRmT1_PNSt15iterator_traitsISZ_E10value_typeET2_T3_PNS10_IS15_E10value_typeET4_jRbjT5_S1B_jjP12ihipStream_tbEUljE_EEESW_SX_SY_S15_S19_S1B_T6_T7_T9_mT8_S1D_bDpT10_ENKUlT_T0_E_clISt17integral_constantIbLb0EES1P_IbLb1EEEEDaS1L_S1M_EUlS1L_E_NS1_11comp_targetILNS1_3genE0ELNS1_11target_archE4294967295ELNS1_3gpuE0ELNS1_3repE0EEENS1_30default_config_static_selectorELNS0_4arch9wavefront6targetE0EEEvSZ_,"axG",@progbits,_ZN7rocprim17ROCPRIM_400000_NS6detail17trampoline_kernelINS0_13select_configILj256ELj13ELNS0_17block_load_methodE3ELS4_3ELS4_3ELNS0_20block_scan_algorithmE0ELj4294967295EEENS1_25partition_config_selectorILNS1_17partition_subalgoE3EjNS0_10empty_typeEbEEZZNS1_14partition_implILS8_3ELb0ES6_jNS0_17counting_iteratorIjlEEPS9_SE_NS0_5tupleIJPjSE_EEENSF_IJSE_SE_EEES9_SG_JZNS1_25segmented_radix_sort_implINS0_14default_configELb0EPK6__halfPSL_PKlPlN2at6native12_GLOBAL__N_18offset_tEEE10hipError_tPvRmT1_PNSt15iterator_traitsISZ_E10value_typeET2_T3_PNS10_IS15_E10value_typeET4_jRbjT5_S1B_jjP12ihipStream_tbEUljE_EEESW_SX_SY_S15_S19_S1B_T6_T7_T9_mT8_S1D_bDpT10_ENKUlT_T0_E_clISt17integral_constantIbLb0EES1P_IbLb1EEEEDaS1L_S1M_EUlS1L_E_NS1_11comp_targetILNS1_3genE0ELNS1_11target_archE4294967295ELNS1_3gpuE0ELNS1_3repE0EEENS1_30default_config_static_selectorELNS0_4arch9wavefront6targetE0EEEvSZ_,comdat
.Lfunc_end1834:
	.size	_ZN7rocprim17ROCPRIM_400000_NS6detail17trampoline_kernelINS0_13select_configILj256ELj13ELNS0_17block_load_methodE3ELS4_3ELS4_3ELNS0_20block_scan_algorithmE0ELj4294967295EEENS1_25partition_config_selectorILNS1_17partition_subalgoE3EjNS0_10empty_typeEbEEZZNS1_14partition_implILS8_3ELb0ES6_jNS0_17counting_iteratorIjlEEPS9_SE_NS0_5tupleIJPjSE_EEENSF_IJSE_SE_EEES9_SG_JZNS1_25segmented_radix_sort_implINS0_14default_configELb0EPK6__halfPSL_PKlPlN2at6native12_GLOBAL__N_18offset_tEEE10hipError_tPvRmT1_PNSt15iterator_traitsISZ_E10value_typeET2_T3_PNS10_IS15_E10value_typeET4_jRbjT5_S1B_jjP12ihipStream_tbEUljE_EEESW_SX_SY_S15_S19_S1B_T6_T7_T9_mT8_S1D_bDpT10_ENKUlT_T0_E_clISt17integral_constantIbLb0EES1P_IbLb1EEEEDaS1L_S1M_EUlS1L_E_NS1_11comp_targetILNS1_3genE0ELNS1_11target_archE4294967295ELNS1_3gpuE0ELNS1_3repE0EEENS1_30default_config_static_selectorELNS0_4arch9wavefront6targetE0EEEvSZ_, .Lfunc_end1834-_ZN7rocprim17ROCPRIM_400000_NS6detail17trampoline_kernelINS0_13select_configILj256ELj13ELNS0_17block_load_methodE3ELS4_3ELS4_3ELNS0_20block_scan_algorithmE0ELj4294967295EEENS1_25partition_config_selectorILNS1_17partition_subalgoE3EjNS0_10empty_typeEbEEZZNS1_14partition_implILS8_3ELb0ES6_jNS0_17counting_iteratorIjlEEPS9_SE_NS0_5tupleIJPjSE_EEENSF_IJSE_SE_EEES9_SG_JZNS1_25segmented_radix_sort_implINS0_14default_configELb0EPK6__halfPSL_PKlPlN2at6native12_GLOBAL__N_18offset_tEEE10hipError_tPvRmT1_PNSt15iterator_traitsISZ_E10value_typeET2_T3_PNS10_IS15_E10value_typeET4_jRbjT5_S1B_jjP12ihipStream_tbEUljE_EEESW_SX_SY_S15_S19_S1B_T6_T7_T9_mT8_S1D_bDpT10_ENKUlT_T0_E_clISt17integral_constantIbLb0EES1P_IbLb1EEEEDaS1L_S1M_EUlS1L_E_NS1_11comp_targetILNS1_3genE0ELNS1_11target_archE4294967295ELNS1_3gpuE0ELNS1_3repE0EEENS1_30default_config_static_selectorELNS0_4arch9wavefront6targetE0EEEvSZ_
                                        ; -- End function
	.section	.AMDGPU.csdata,"",@progbits
; Kernel info:
; codeLenInByte = 0
; NumSgprs: 0
; NumVgprs: 0
; ScratchSize: 0
; MemoryBound: 0
; FloatMode: 240
; IeeeMode: 1
; LDSByteSize: 0 bytes/workgroup (compile time only)
; SGPRBlocks: 0
; VGPRBlocks: 0
; NumSGPRsForWavesPerEU: 1
; NumVGPRsForWavesPerEU: 1
; Occupancy: 16
; WaveLimiterHint : 0
; COMPUTE_PGM_RSRC2:SCRATCH_EN: 0
; COMPUTE_PGM_RSRC2:USER_SGPR: 15
; COMPUTE_PGM_RSRC2:TRAP_HANDLER: 0
; COMPUTE_PGM_RSRC2:TGID_X_EN: 1
; COMPUTE_PGM_RSRC2:TGID_Y_EN: 0
; COMPUTE_PGM_RSRC2:TGID_Z_EN: 0
; COMPUTE_PGM_RSRC2:TIDIG_COMP_CNT: 0
	.section	.text._ZN7rocprim17ROCPRIM_400000_NS6detail17trampoline_kernelINS0_13select_configILj256ELj13ELNS0_17block_load_methodE3ELS4_3ELS4_3ELNS0_20block_scan_algorithmE0ELj4294967295EEENS1_25partition_config_selectorILNS1_17partition_subalgoE3EjNS0_10empty_typeEbEEZZNS1_14partition_implILS8_3ELb0ES6_jNS0_17counting_iteratorIjlEEPS9_SE_NS0_5tupleIJPjSE_EEENSF_IJSE_SE_EEES9_SG_JZNS1_25segmented_radix_sort_implINS0_14default_configELb0EPK6__halfPSL_PKlPlN2at6native12_GLOBAL__N_18offset_tEEE10hipError_tPvRmT1_PNSt15iterator_traitsISZ_E10value_typeET2_T3_PNS10_IS15_E10value_typeET4_jRbjT5_S1B_jjP12ihipStream_tbEUljE_EEESW_SX_SY_S15_S19_S1B_T6_T7_T9_mT8_S1D_bDpT10_ENKUlT_T0_E_clISt17integral_constantIbLb0EES1P_IbLb1EEEEDaS1L_S1M_EUlS1L_E_NS1_11comp_targetILNS1_3genE5ELNS1_11target_archE942ELNS1_3gpuE9ELNS1_3repE0EEENS1_30default_config_static_selectorELNS0_4arch9wavefront6targetE0EEEvSZ_,"axG",@progbits,_ZN7rocprim17ROCPRIM_400000_NS6detail17trampoline_kernelINS0_13select_configILj256ELj13ELNS0_17block_load_methodE3ELS4_3ELS4_3ELNS0_20block_scan_algorithmE0ELj4294967295EEENS1_25partition_config_selectorILNS1_17partition_subalgoE3EjNS0_10empty_typeEbEEZZNS1_14partition_implILS8_3ELb0ES6_jNS0_17counting_iteratorIjlEEPS9_SE_NS0_5tupleIJPjSE_EEENSF_IJSE_SE_EEES9_SG_JZNS1_25segmented_radix_sort_implINS0_14default_configELb0EPK6__halfPSL_PKlPlN2at6native12_GLOBAL__N_18offset_tEEE10hipError_tPvRmT1_PNSt15iterator_traitsISZ_E10value_typeET2_T3_PNS10_IS15_E10value_typeET4_jRbjT5_S1B_jjP12ihipStream_tbEUljE_EEESW_SX_SY_S15_S19_S1B_T6_T7_T9_mT8_S1D_bDpT10_ENKUlT_T0_E_clISt17integral_constantIbLb0EES1P_IbLb1EEEEDaS1L_S1M_EUlS1L_E_NS1_11comp_targetILNS1_3genE5ELNS1_11target_archE942ELNS1_3gpuE9ELNS1_3repE0EEENS1_30default_config_static_selectorELNS0_4arch9wavefront6targetE0EEEvSZ_,comdat
	.globl	_ZN7rocprim17ROCPRIM_400000_NS6detail17trampoline_kernelINS0_13select_configILj256ELj13ELNS0_17block_load_methodE3ELS4_3ELS4_3ELNS0_20block_scan_algorithmE0ELj4294967295EEENS1_25partition_config_selectorILNS1_17partition_subalgoE3EjNS0_10empty_typeEbEEZZNS1_14partition_implILS8_3ELb0ES6_jNS0_17counting_iteratorIjlEEPS9_SE_NS0_5tupleIJPjSE_EEENSF_IJSE_SE_EEES9_SG_JZNS1_25segmented_radix_sort_implINS0_14default_configELb0EPK6__halfPSL_PKlPlN2at6native12_GLOBAL__N_18offset_tEEE10hipError_tPvRmT1_PNSt15iterator_traitsISZ_E10value_typeET2_T3_PNS10_IS15_E10value_typeET4_jRbjT5_S1B_jjP12ihipStream_tbEUljE_EEESW_SX_SY_S15_S19_S1B_T6_T7_T9_mT8_S1D_bDpT10_ENKUlT_T0_E_clISt17integral_constantIbLb0EES1P_IbLb1EEEEDaS1L_S1M_EUlS1L_E_NS1_11comp_targetILNS1_3genE5ELNS1_11target_archE942ELNS1_3gpuE9ELNS1_3repE0EEENS1_30default_config_static_selectorELNS0_4arch9wavefront6targetE0EEEvSZ_ ; -- Begin function _ZN7rocprim17ROCPRIM_400000_NS6detail17trampoline_kernelINS0_13select_configILj256ELj13ELNS0_17block_load_methodE3ELS4_3ELS4_3ELNS0_20block_scan_algorithmE0ELj4294967295EEENS1_25partition_config_selectorILNS1_17partition_subalgoE3EjNS0_10empty_typeEbEEZZNS1_14partition_implILS8_3ELb0ES6_jNS0_17counting_iteratorIjlEEPS9_SE_NS0_5tupleIJPjSE_EEENSF_IJSE_SE_EEES9_SG_JZNS1_25segmented_radix_sort_implINS0_14default_configELb0EPK6__halfPSL_PKlPlN2at6native12_GLOBAL__N_18offset_tEEE10hipError_tPvRmT1_PNSt15iterator_traitsISZ_E10value_typeET2_T3_PNS10_IS15_E10value_typeET4_jRbjT5_S1B_jjP12ihipStream_tbEUljE_EEESW_SX_SY_S15_S19_S1B_T6_T7_T9_mT8_S1D_bDpT10_ENKUlT_T0_E_clISt17integral_constantIbLb0EES1P_IbLb1EEEEDaS1L_S1M_EUlS1L_E_NS1_11comp_targetILNS1_3genE5ELNS1_11target_archE942ELNS1_3gpuE9ELNS1_3repE0EEENS1_30default_config_static_selectorELNS0_4arch9wavefront6targetE0EEEvSZ_
	.p2align	8
	.type	_ZN7rocprim17ROCPRIM_400000_NS6detail17trampoline_kernelINS0_13select_configILj256ELj13ELNS0_17block_load_methodE3ELS4_3ELS4_3ELNS0_20block_scan_algorithmE0ELj4294967295EEENS1_25partition_config_selectorILNS1_17partition_subalgoE3EjNS0_10empty_typeEbEEZZNS1_14partition_implILS8_3ELb0ES6_jNS0_17counting_iteratorIjlEEPS9_SE_NS0_5tupleIJPjSE_EEENSF_IJSE_SE_EEES9_SG_JZNS1_25segmented_radix_sort_implINS0_14default_configELb0EPK6__halfPSL_PKlPlN2at6native12_GLOBAL__N_18offset_tEEE10hipError_tPvRmT1_PNSt15iterator_traitsISZ_E10value_typeET2_T3_PNS10_IS15_E10value_typeET4_jRbjT5_S1B_jjP12ihipStream_tbEUljE_EEESW_SX_SY_S15_S19_S1B_T6_T7_T9_mT8_S1D_bDpT10_ENKUlT_T0_E_clISt17integral_constantIbLb0EES1P_IbLb1EEEEDaS1L_S1M_EUlS1L_E_NS1_11comp_targetILNS1_3genE5ELNS1_11target_archE942ELNS1_3gpuE9ELNS1_3repE0EEENS1_30default_config_static_selectorELNS0_4arch9wavefront6targetE0EEEvSZ_,@function
_ZN7rocprim17ROCPRIM_400000_NS6detail17trampoline_kernelINS0_13select_configILj256ELj13ELNS0_17block_load_methodE3ELS4_3ELS4_3ELNS0_20block_scan_algorithmE0ELj4294967295EEENS1_25partition_config_selectorILNS1_17partition_subalgoE3EjNS0_10empty_typeEbEEZZNS1_14partition_implILS8_3ELb0ES6_jNS0_17counting_iteratorIjlEEPS9_SE_NS0_5tupleIJPjSE_EEENSF_IJSE_SE_EEES9_SG_JZNS1_25segmented_radix_sort_implINS0_14default_configELb0EPK6__halfPSL_PKlPlN2at6native12_GLOBAL__N_18offset_tEEE10hipError_tPvRmT1_PNSt15iterator_traitsISZ_E10value_typeET2_T3_PNS10_IS15_E10value_typeET4_jRbjT5_S1B_jjP12ihipStream_tbEUljE_EEESW_SX_SY_S15_S19_S1B_T6_T7_T9_mT8_S1D_bDpT10_ENKUlT_T0_E_clISt17integral_constantIbLb0EES1P_IbLb1EEEEDaS1L_S1M_EUlS1L_E_NS1_11comp_targetILNS1_3genE5ELNS1_11target_archE942ELNS1_3gpuE9ELNS1_3repE0EEENS1_30default_config_static_selectorELNS0_4arch9wavefront6targetE0EEEvSZ_: ; @_ZN7rocprim17ROCPRIM_400000_NS6detail17trampoline_kernelINS0_13select_configILj256ELj13ELNS0_17block_load_methodE3ELS4_3ELS4_3ELNS0_20block_scan_algorithmE0ELj4294967295EEENS1_25partition_config_selectorILNS1_17partition_subalgoE3EjNS0_10empty_typeEbEEZZNS1_14partition_implILS8_3ELb0ES6_jNS0_17counting_iteratorIjlEEPS9_SE_NS0_5tupleIJPjSE_EEENSF_IJSE_SE_EEES9_SG_JZNS1_25segmented_radix_sort_implINS0_14default_configELb0EPK6__halfPSL_PKlPlN2at6native12_GLOBAL__N_18offset_tEEE10hipError_tPvRmT1_PNSt15iterator_traitsISZ_E10value_typeET2_T3_PNS10_IS15_E10value_typeET4_jRbjT5_S1B_jjP12ihipStream_tbEUljE_EEESW_SX_SY_S15_S19_S1B_T6_T7_T9_mT8_S1D_bDpT10_ENKUlT_T0_E_clISt17integral_constantIbLb0EES1P_IbLb1EEEEDaS1L_S1M_EUlS1L_E_NS1_11comp_targetILNS1_3genE5ELNS1_11target_archE942ELNS1_3gpuE9ELNS1_3repE0EEENS1_30default_config_static_selectorELNS0_4arch9wavefront6targetE0EEEvSZ_
; %bb.0:
	.section	.rodata,"a",@progbits
	.p2align	6, 0x0
	.amdhsa_kernel _ZN7rocprim17ROCPRIM_400000_NS6detail17trampoline_kernelINS0_13select_configILj256ELj13ELNS0_17block_load_methodE3ELS4_3ELS4_3ELNS0_20block_scan_algorithmE0ELj4294967295EEENS1_25partition_config_selectorILNS1_17partition_subalgoE3EjNS0_10empty_typeEbEEZZNS1_14partition_implILS8_3ELb0ES6_jNS0_17counting_iteratorIjlEEPS9_SE_NS0_5tupleIJPjSE_EEENSF_IJSE_SE_EEES9_SG_JZNS1_25segmented_radix_sort_implINS0_14default_configELb0EPK6__halfPSL_PKlPlN2at6native12_GLOBAL__N_18offset_tEEE10hipError_tPvRmT1_PNSt15iterator_traitsISZ_E10value_typeET2_T3_PNS10_IS15_E10value_typeET4_jRbjT5_S1B_jjP12ihipStream_tbEUljE_EEESW_SX_SY_S15_S19_S1B_T6_T7_T9_mT8_S1D_bDpT10_ENKUlT_T0_E_clISt17integral_constantIbLb0EES1P_IbLb1EEEEDaS1L_S1M_EUlS1L_E_NS1_11comp_targetILNS1_3genE5ELNS1_11target_archE942ELNS1_3gpuE9ELNS1_3repE0EEENS1_30default_config_static_selectorELNS0_4arch9wavefront6targetE0EEEvSZ_
		.amdhsa_group_segment_fixed_size 0
		.amdhsa_private_segment_fixed_size 0
		.amdhsa_kernarg_size 152
		.amdhsa_user_sgpr_count 15
		.amdhsa_user_sgpr_dispatch_ptr 0
		.amdhsa_user_sgpr_queue_ptr 0
		.amdhsa_user_sgpr_kernarg_segment_ptr 1
		.amdhsa_user_sgpr_dispatch_id 0
		.amdhsa_user_sgpr_private_segment_size 0
		.amdhsa_wavefront_size32 1
		.amdhsa_uses_dynamic_stack 0
		.amdhsa_enable_private_segment 0
		.amdhsa_system_sgpr_workgroup_id_x 1
		.amdhsa_system_sgpr_workgroup_id_y 0
		.amdhsa_system_sgpr_workgroup_id_z 0
		.amdhsa_system_sgpr_workgroup_info 0
		.amdhsa_system_vgpr_workitem_id 0
		.amdhsa_next_free_vgpr 1
		.amdhsa_next_free_sgpr 1
		.amdhsa_reserve_vcc 0
		.amdhsa_float_round_mode_32 0
		.amdhsa_float_round_mode_16_64 0
		.amdhsa_float_denorm_mode_32 3
		.amdhsa_float_denorm_mode_16_64 3
		.amdhsa_dx10_clamp 1
		.amdhsa_ieee_mode 1
		.amdhsa_fp16_overflow 0
		.amdhsa_workgroup_processor_mode 1
		.amdhsa_memory_ordered 1
		.amdhsa_forward_progress 0
		.amdhsa_shared_vgpr_count 0
		.amdhsa_exception_fp_ieee_invalid_op 0
		.amdhsa_exception_fp_denorm_src 0
		.amdhsa_exception_fp_ieee_div_zero 0
		.amdhsa_exception_fp_ieee_overflow 0
		.amdhsa_exception_fp_ieee_underflow 0
		.amdhsa_exception_fp_ieee_inexact 0
		.amdhsa_exception_int_div_zero 0
	.end_amdhsa_kernel
	.section	.text._ZN7rocprim17ROCPRIM_400000_NS6detail17trampoline_kernelINS0_13select_configILj256ELj13ELNS0_17block_load_methodE3ELS4_3ELS4_3ELNS0_20block_scan_algorithmE0ELj4294967295EEENS1_25partition_config_selectorILNS1_17partition_subalgoE3EjNS0_10empty_typeEbEEZZNS1_14partition_implILS8_3ELb0ES6_jNS0_17counting_iteratorIjlEEPS9_SE_NS0_5tupleIJPjSE_EEENSF_IJSE_SE_EEES9_SG_JZNS1_25segmented_radix_sort_implINS0_14default_configELb0EPK6__halfPSL_PKlPlN2at6native12_GLOBAL__N_18offset_tEEE10hipError_tPvRmT1_PNSt15iterator_traitsISZ_E10value_typeET2_T3_PNS10_IS15_E10value_typeET4_jRbjT5_S1B_jjP12ihipStream_tbEUljE_EEESW_SX_SY_S15_S19_S1B_T6_T7_T9_mT8_S1D_bDpT10_ENKUlT_T0_E_clISt17integral_constantIbLb0EES1P_IbLb1EEEEDaS1L_S1M_EUlS1L_E_NS1_11comp_targetILNS1_3genE5ELNS1_11target_archE942ELNS1_3gpuE9ELNS1_3repE0EEENS1_30default_config_static_selectorELNS0_4arch9wavefront6targetE0EEEvSZ_,"axG",@progbits,_ZN7rocprim17ROCPRIM_400000_NS6detail17trampoline_kernelINS0_13select_configILj256ELj13ELNS0_17block_load_methodE3ELS4_3ELS4_3ELNS0_20block_scan_algorithmE0ELj4294967295EEENS1_25partition_config_selectorILNS1_17partition_subalgoE3EjNS0_10empty_typeEbEEZZNS1_14partition_implILS8_3ELb0ES6_jNS0_17counting_iteratorIjlEEPS9_SE_NS0_5tupleIJPjSE_EEENSF_IJSE_SE_EEES9_SG_JZNS1_25segmented_radix_sort_implINS0_14default_configELb0EPK6__halfPSL_PKlPlN2at6native12_GLOBAL__N_18offset_tEEE10hipError_tPvRmT1_PNSt15iterator_traitsISZ_E10value_typeET2_T3_PNS10_IS15_E10value_typeET4_jRbjT5_S1B_jjP12ihipStream_tbEUljE_EEESW_SX_SY_S15_S19_S1B_T6_T7_T9_mT8_S1D_bDpT10_ENKUlT_T0_E_clISt17integral_constantIbLb0EES1P_IbLb1EEEEDaS1L_S1M_EUlS1L_E_NS1_11comp_targetILNS1_3genE5ELNS1_11target_archE942ELNS1_3gpuE9ELNS1_3repE0EEENS1_30default_config_static_selectorELNS0_4arch9wavefront6targetE0EEEvSZ_,comdat
.Lfunc_end1835:
	.size	_ZN7rocprim17ROCPRIM_400000_NS6detail17trampoline_kernelINS0_13select_configILj256ELj13ELNS0_17block_load_methodE3ELS4_3ELS4_3ELNS0_20block_scan_algorithmE0ELj4294967295EEENS1_25partition_config_selectorILNS1_17partition_subalgoE3EjNS0_10empty_typeEbEEZZNS1_14partition_implILS8_3ELb0ES6_jNS0_17counting_iteratorIjlEEPS9_SE_NS0_5tupleIJPjSE_EEENSF_IJSE_SE_EEES9_SG_JZNS1_25segmented_radix_sort_implINS0_14default_configELb0EPK6__halfPSL_PKlPlN2at6native12_GLOBAL__N_18offset_tEEE10hipError_tPvRmT1_PNSt15iterator_traitsISZ_E10value_typeET2_T3_PNS10_IS15_E10value_typeET4_jRbjT5_S1B_jjP12ihipStream_tbEUljE_EEESW_SX_SY_S15_S19_S1B_T6_T7_T9_mT8_S1D_bDpT10_ENKUlT_T0_E_clISt17integral_constantIbLb0EES1P_IbLb1EEEEDaS1L_S1M_EUlS1L_E_NS1_11comp_targetILNS1_3genE5ELNS1_11target_archE942ELNS1_3gpuE9ELNS1_3repE0EEENS1_30default_config_static_selectorELNS0_4arch9wavefront6targetE0EEEvSZ_, .Lfunc_end1835-_ZN7rocprim17ROCPRIM_400000_NS6detail17trampoline_kernelINS0_13select_configILj256ELj13ELNS0_17block_load_methodE3ELS4_3ELS4_3ELNS0_20block_scan_algorithmE0ELj4294967295EEENS1_25partition_config_selectorILNS1_17partition_subalgoE3EjNS0_10empty_typeEbEEZZNS1_14partition_implILS8_3ELb0ES6_jNS0_17counting_iteratorIjlEEPS9_SE_NS0_5tupleIJPjSE_EEENSF_IJSE_SE_EEES9_SG_JZNS1_25segmented_radix_sort_implINS0_14default_configELb0EPK6__halfPSL_PKlPlN2at6native12_GLOBAL__N_18offset_tEEE10hipError_tPvRmT1_PNSt15iterator_traitsISZ_E10value_typeET2_T3_PNS10_IS15_E10value_typeET4_jRbjT5_S1B_jjP12ihipStream_tbEUljE_EEESW_SX_SY_S15_S19_S1B_T6_T7_T9_mT8_S1D_bDpT10_ENKUlT_T0_E_clISt17integral_constantIbLb0EES1P_IbLb1EEEEDaS1L_S1M_EUlS1L_E_NS1_11comp_targetILNS1_3genE5ELNS1_11target_archE942ELNS1_3gpuE9ELNS1_3repE0EEENS1_30default_config_static_selectorELNS0_4arch9wavefront6targetE0EEEvSZ_
                                        ; -- End function
	.section	.AMDGPU.csdata,"",@progbits
; Kernel info:
; codeLenInByte = 0
; NumSgprs: 0
; NumVgprs: 0
; ScratchSize: 0
; MemoryBound: 0
; FloatMode: 240
; IeeeMode: 1
; LDSByteSize: 0 bytes/workgroup (compile time only)
; SGPRBlocks: 0
; VGPRBlocks: 0
; NumSGPRsForWavesPerEU: 1
; NumVGPRsForWavesPerEU: 1
; Occupancy: 16
; WaveLimiterHint : 0
; COMPUTE_PGM_RSRC2:SCRATCH_EN: 0
; COMPUTE_PGM_RSRC2:USER_SGPR: 15
; COMPUTE_PGM_RSRC2:TRAP_HANDLER: 0
; COMPUTE_PGM_RSRC2:TGID_X_EN: 1
; COMPUTE_PGM_RSRC2:TGID_Y_EN: 0
; COMPUTE_PGM_RSRC2:TGID_Z_EN: 0
; COMPUTE_PGM_RSRC2:TIDIG_COMP_CNT: 0
	.section	.text._ZN7rocprim17ROCPRIM_400000_NS6detail17trampoline_kernelINS0_13select_configILj256ELj13ELNS0_17block_load_methodE3ELS4_3ELS4_3ELNS0_20block_scan_algorithmE0ELj4294967295EEENS1_25partition_config_selectorILNS1_17partition_subalgoE3EjNS0_10empty_typeEbEEZZNS1_14partition_implILS8_3ELb0ES6_jNS0_17counting_iteratorIjlEEPS9_SE_NS0_5tupleIJPjSE_EEENSF_IJSE_SE_EEES9_SG_JZNS1_25segmented_radix_sort_implINS0_14default_configELb0EPK6__halfPSL_PKlPlN2at6native12_GLOBAL__N_18offset_tEEE10hipError_tPvRmT1_PNSt15iterator_traitsISZ_E10value_typeET2_T3_PNS10_IS15_E10value_typeET4_jRbjT5_S1B_jjP12ihipStream_tbEUljE_EEESW_SX_SY_S15_S19_S1B_T6_T7_T9_mT8_S1D_bDpT10_ENKUlT_T0_E_clISt17integral_constantIbLb0EES1P_IbLb1EEEEDaS1L_S1M_EUlS1L_E_NS1_11comp_targetILNS1_3genE4ELNS1_11target_archE910ELNS1_3gpuE8ELNS1_3repE0EEENS1_30default_config_static_selectorELNS0_4arch9wavefront6targetE0EEEvSZ_,"axG",@progbits,_ZN7rocprim17ROCPRIM_400000_NS6detail17trampoline_kernelINS0_13select_configILj256ELj13ELNS0_17block_load_methodE3ELS4_3ELS4_3ELNS0_20block_scan_algorithmE0ELj4294967295EEENS1_25partition_config_selectorILNS1_17partition_subalgoE3EjNS0_10empty_typeEbEEZZNS1_14partition_implILS8_3ELb0ES6_jNS0_17counting_iteratorIjlEEPS9_SE_NS0_5tupleIJPjSE_EEENSF_IJSE_SE_EEES9_SG_JZNS1_25segmented_radix_sort_implINS0_14default_configELb0EPK6__halfPSL_PKlPlN2at6native12_GLOBAL__N_18offset_tEEE10hipError_tPvRmT1_PNSt15iterator_traitsISZ_E10value_typeET2_T3_PNS10_IS15_E10value_typeET4_jRbjT5_S1B_jjP12ihipStream_tbEUljE_EEESW_SX_SY_S15_S19_S1B_T6_T7_T9_mT8_S1D_bDpT10_ENKUlT_T0_E_clISt17integral_constantIbLb0EES1P_IbLb1EEEEDaS1L_S1M_EUlS1L_E_NS1_11comp_targetILNS1_3genE4ELNS1_11target_archE910ELNS1_3gpuE8ELNS1_3repE0EEENS1_30default_config_static_selectorELNS0_4arch9wavefront6targetE0EEEvSZ_,comdat
	.globl	_ZN7rocprim17ROCPRIM_400000_NS6detail17trampoline_kernelINS0_13select_configILj256ELj13ELNS0_17block_load_methodE3ELS4_3ELS4_3ELNS0_20block_scan_algorithmE0ELj4294967295EEENS1_25partition_config_selectorILNS1_17partition_subalgoE3EjNS0_10empty_typeEbEEZZNS1_14partition_implILS8_3ELb0ES6_jNS0_17counting_iteratorIjlEEPS9_SE_NS0_5tupleIJPjSE_EEENSF_IJSE_SE_EEES9_SG_JZNS1_25segmented_radix_sort_implINS0_14default_configELb0EPK6__halfPSL_PKlPlN2at6native12_GLOBAL__N_18offset_tEEE10hipError_tPvRmT1_PNSt15iterator_traitsISZ_E10value_typeET2_T3_PNS10_IS15_E10value_typeET4_jRbjT5_S1B_jjP12ihipStream_tbEUljE_EEESW_SX_SY_S15_S19_S1B_T6_T7_T9_mT8_S1D_bDpT10_ENKUlT_T0_E_clISt17integral_constantIbLb0EES1P_IbLb1EEEEDaS1L_S1M_EUlS1L_E_NS1_11comp_targetILNS1_3genE4ELNS1_11target_archE910ELNS1_3gpuE8ELNS1_3repE0EEENS1_30default_config_static_selectorELNS0_4arch9wavefront6targetE0EEEvSZ_ ; -- Begin function _ZN7rocprim17ROCPRIM_400000_NS6detail17trampoline_kernelINS0_13select_configILj256ELj13ELNS0_17block_load_methodE3ELS4_3ELS4_3ELNS0_20block_scan_algorithmE0ELj4294967295EEENS1_25partition_config_selectorILNS1_17partition_subalgoE3EjNS0_10empty_typeEbEEZZNS1_14partition_implILS8_3ELb0ES6_jNS0_17counting_iteratorIjlEEPS9_SE_NS0_5tupleIJPjSE_EEENSF_IJSE_SE_EEES9_SG_JZNS1_25segmented_radix_sort_implINS0_14default_configELb0EPK6__halfPSL_PKlPlN2at6native12_GLOBAL__N_18offset_tEEE10hipError_tPvRmT1_PNSt15iterator_traitsISZ_E10value_typeET2_T3_PNS10_IS15_E10value_typeET4_jRbjT5_S1B_jjP12ihipStream_tbEUljE_EEESW_SX_SY_S15_S19_S1B_T6_T7_T9_mT8_S1D_bDpT10_ENKUlT_T0_E_clISt17integral_constantIbLb0EES1P_IbLb1EEEEDaS1L_S1M_EUlS1L_E_NS1_11comp_targetILNS1_3genE4ELNS1_11target_archE910ELNS1_3gpuE8ELNS1_3repE0EEENS1_30default_config_static_selectorELNS0_4arch9wavefront6targetE0EEEvSZ_
	.p2align	8
	.type	_ZN7rocprim17ROCPRIM_400000_NS6detail17trampoline_kernelINS0_13select_configILj256ELj13ELNS0_17block_load_methodE3ELS4_3ELS4_3ELNS0_20block_scan_algorithmE0ELj4294967295EEENS1_25partition_config_selectorILNS1_17partition_subalgoE3EjNS0_10empty_typeEbEEZZNS1_14partition_implILS8_3ELb0ES6_jNS0_17counting_iteratorIjlEEPS9_SE_NS0_5tupleIJPjSE_EEENSF_IJSE_SE_EEES9_SG_JZNS1_25segmented_radix_sort_implINS0_14default_configELb0EPK6__halfPSL_PKlPlN2at6native12_GLOBAL__N_18offset_tEEE10hipError_tPvRmT1_PNSt15iterator_traitsISZ_E10value_typeET2_T3_PNS10_IS15_E10value_typeET4_jRbjT5_S1B_jjP12ihipStream_tbEUljE_EEESW_SX_SY_S15_S19_S1B_T6_T7_T9_mT8_S1D_bDpT10_ENKUlT_T0_E_clISt17integral_constantIbLb0EES1P_IbLb1EEEEDaS1L_S1M_EUlS1L_E_NS1_11comp_targetILNS1_3genE4ELNS1_11target_archE910ELNS1_3gpuE8ELNS1_3repE0EEENS1_30default_config_static_selectorELNS0_4arch9wavefront6targetE0EEEvSZ_,@function
_ZN7rocprim17ROCPRIM_400000_NS6detail17trampoline_kernelINS0_13select_configILj256ELj13ELNS0_17block_load_methodE3ELS4_3ELS4_3ELNS0_20block_scan_algorithmE0ELj4294967295EEENS1_25partition_config_selectorILNS1_17partition_subalgoE3EjNS0_10empty_typeEbEEZZNS1_14partition_implILS8_3ELb0ES6_jNS0_17counting_iteratorIjlEEPS9_SE_NS0_5tupleIJPjSE_EEENSF_IJSE_SE_EEES9_SG_JZNS1_25segmented_radix_sort_implINS0_14default_configELb0EPK6__halfPSL_PKlPlN2at6native12_GLOBAL__N_18offset_tEEE10hipError_tPvRmT1_PNSt15iterator_traitsISZ_E10value_typeET2_T3_PNS10_IS15_E10value_typeET4_jRbjT5_S1B_jjP12ihipStream_tbEUljE_EEESW_SX_SY_S15_S19_S1B_T6_T7_T9_mT8_S1D_bDpT10_ENKUlT_T0_E_clISt17integral_constantIbLb0EES1P_IbLb1EEEEDaS1L_S1M_EUlS1L_E_NS1_11comp_targetILNS1_3genE4ELNS1_11target_archE910ELNS1_3gpuE8ELNS1_3repE0EEENS1_30default_config_static_selectorELNS0_4arch9wavefront6targetE0EEEvSZ_: ; @_ZN7rocprim17ROCPRIM_400000_NS6detail17trampoline_kernelINS0_13select_configILj256ELj13ELNS0_17block_load_methodE3ELS4_3ELS4_3ELNS0_20block_scan_algorithmE0ELj4294967295EEENS1_25partition_config_selectorILNS1_17partition_subalgoE3EjNS0_10empty_typeEbEEZZNS1_14partition_implILS8_3ELb0ES6_jNS0_17counting_iteratorIjlEEPS9_SE_NS0_5tupleIJPjSE_EEENSF_IJSE_SE_EEES9_SG_JZNS1_25segmented_radix_sort_implINS0_14default_configELb0EPK6__halfPSL_PKlPlN2at6native12_GLOBAL__N_18offset_tEEE10hipError_tPvRmT1_PNSt15iterator_traitsISZ_E10value_typeET2_T3_PNS10_IS15_E10value_typeET4_jRbjT5_S1B_jjP12ihipStream_tbEUljE_EEESW_SX_SY_S15_S19_S1B_T6_T7_T9_mT8_S1D_bDpT10_ENKUlT_T0_E_clISt17integral_constantIbLb0EES1P_IbLb1EEEEDaS1L_S1M_EUlS1L_E_NS1_11comp_targetILNS1_3genE4ELNS1_11target_archE910ELNS1_3gpuE8ELNS1_3repE0EEENS1_30default_config_static_selectorELNS0_4arch9wavefront6targetE0EEEvSZ_
; %bb.0:
	.section	.rodata,"a",@progbits
	.p2align	6, 0x0
	.amdhsa_kernel _ZN7rocprim17ROCPRIM_400000_NS6detail17trampoline_kernelINS0_13select_configILj256ELj13ELNS0_17block_load_methodE3ELS4_3ELS4_3ELNS0_20block_scan_algorithmE0ELj4294967295EEENS1_25partition_config_selectorILNS1_17partition_subalgoE3EjNS0_10empty_typeEbEEZZNS1_14partition_implILS8_3ELb0ES6_jNS0_17counting_iteratorIjlEEPS9_SE_NS0_5tupleIJPjSE_EEENSF_IJSE_SE_EEES9_SG_JZNS1_25segmented_radix_sort_implINS0_14default_configELb0EPK6__halfPSL_PKlPlN2at6native12_GLOBAL__N_18offset_tEEE10hipError_tPvRmT1_PNSt15iterator_traitsISZ_E10value_typeET2_T3_PNS10_IS15_E10value_typeET4_jRbjT5_S1B_jjP12ihipStream_tbEUljE_EEESW_SX_SY_S15_S19_S1B_T6_T7_T9_mT8_S1D_bDpT10_ENKUlT_T0_E_clISt17integral_constantIbLb0EES1P_IbLb1EEEEDaS1L_S1M_EUlS1L_E_NS1_11comp_targetILNS1_3genE4ELNS1_11target_archE910ELNS1_3gpuE8ELNS1_3repE0EEENS1_30default_config_static_selectorELNS0_4arch9wavefront6targetE0EEEvSZ_
		.amdhsa_group_segment_fixed_size 0
		.amdhsa_private_segment_fixed_size 0
		.amdhsa_kernarg_size 152
		.amdhsa_user_sgpr_count 15
		.amdhsa_user_sgpr_dispatch_ptr 0
		.amdhsa_user_sgpr_queue_ptr 0
		.amdhsa_user_sgpr_kernarg_segment_ptr 1
		.amdhsa_user_sgpr_dispatch_id 0
		.amdhsa_user_sgpr_private_segment_size 0
		.amdhsa_wavefront_size32 1
		.amdhsa_uses_dynamic_stack 0
		.amdhsa_enable_private_segment 0
		.amdhsa_system_sgpr_workgroup_id_x 1
		.amdhsa_system_sgpr_workgroup_id_y 0
		.amdhsa_system_sgpr_workgroup_id_z 0
		.amdhsa_system_sgpr_workgroup_info 0
		.amdhsa_system_vgpr_workitem_id 0
		.amdhsa_next_free_vgpr 1
		.amdhsa_next_free_sgpr 1
		.amdhsa_reserve_vcc 0
		.amdhsa_float_round_mode_32 0
		.amdhsa_float_round_mode_16_64 0
		.amdhsa_float_denorm_mode_32 3
		.amdhsa_float_denorm_mode_16_64 3
		.amdhsa_dx10_clamp 1
		.amdhsa_ieee_mode 1
		.amdhsa_fp16_overflow 0
		.amdhsa_workgroup_processor_mode 1
		.amdhsa_memory_ordered 1
		.amdhsa_forward_progress 0
		.amdhsa_shared_vgpr_count 0
		.amdhsa_exception_fp_ieee_invalid_op 0
		.amdhsa_exception_fp_denorm_src 0
		.amdhsa_exception_fp_ieee_div_zero 0
		.amdhsa_exception_fp_ieee_overflow 0
		.amdhsa_exception_fp_ieee_underflow 0
		.amdhsa_exception_fp_ieee_inexact 0
		.amdhsa_exception_int_div_zero 0
	.end_amdhsa_kernel
	.section	.text._ZN7rocprim17ROCPRIM_400000_NS6detail17trampoline_kernelINS0_13select_configILj256ELj13ELNS0_17block_load_methodE3ELS4_3ELS4_3ELNS0_20block_scan_algorithmE0ELj4294967295EEENS1_25partition_config_selectorILNS1_17partition_subalgoE3EjNS0_10empty_typeEbEEZZNS1_14partition_implILS8_3ELb0ES6_jNS0_17counting_iteratorIjlEEPS9_SE_NS0_5tupleIJPjSE_EEENSF_IJSE_SE_EEES9_SG_JZNS1_25segmented_radix_sort_implINS0_14default_configELb0EPK6__halfPSL_PKlPlN2at6native12_GLOBAL__N_18offset_tEEE10hipError_tPvRmT1_PNSt15iterator_traitsISZ_E10value_typeET2_T3_PNS10_IS15_E10value_typeET4_jRbjT5_S1B_jjP12ihipStream_tbEUljE_EEESW_SX_SY_S15_S19_S1B_T6_T7_T9_mT8_S1D_bDpT10_ENKUlT_T0_E_clISt17integral_constantIbLb0EES1P_IbLb1EEEEDaS1L_S1M_EUlS1L_E_NS1_11comp_targetILNS1_3genE4ELNS1_11target_archE910ELNS1_3gpuE8ELNS1_3repE0EEENS1_30default_config_static_selectorELNS0_4arch9wavefront6targetE0EEEvSZ_,"axG",@progbits,_ZN7rocprim17ROCPRIM_400000_NS6detail17trampoline_kernelINS0_13select_configILj256ELj13ELNS0_17block_load_methodE3ELS4_3ELS4_3ELNS0_20block_scan_algorithmE0ELj4294967295EEENS1_25partition_config_selectorILNS1_17partition_subalgoE3EjNS0_10empty_typeEbEEZZNS1_14partition_implILS8_3ELb0ES6_jNS0_17counting_iteratorIjlEEPS9_SE_NS0_5tupleIJPjSE_EEENSF_IJSE_SE_EEES9_SG_JZNS1_25segmented_radix_sort_implINS0_14default_configELb0EPK6__halfPSL_PKlPlN2at6native12_GLOBAL__N_18offset_tEEE10hipError_tPvRmT1_PNSt15iterator_traitsISZ_E10value_typeET2_T3_PNS10_IS15_E10value_typeET4_jRbjT5_S1B_jjP12ihipStream_tbEUljE_EEESW_SX_SY_S15_S19_S1B_T6_T7_T9_mT8_S1D_bDpT10_ENKUlT_T0_E_clISt17integral_constantIbLb0EES1P_IbLb1EEEEDaS1L_S1M_EUlS1L_E_NS1_11comp_targetILNS1_3genE4ELNS1_11target_archE910ELNS1_3gpuE8ELNS1_3repE0EEENS1_30default_config_static_selectorELNS0_4arch9wavefront6targetE0EEEvSZ_,comdat
.Lfunc_end1836:
	.size	_ZN7rocprim17ROCPRIM_400000_NS6detail17trampoline_kernelINS0_13select_configILj256ELj13ELNS0_17block_load_methodE3ELS4_3ELS4_3ELNS0_20block_scan_algorithmE0ELj4294967295EEENS1_25partition_config_selectorILNS1_17partition_subalgoE3EjNS0_10empty_typeEbEEZZNS1_14partition_implILS8_3ELb0ES6_jNS0_17counting_iteratorIjlEEPS9_SE_NS0_5tupleIJPjSE_EEENSF_IJSE_SE_EEES9_SG_JZNS1_25segmented_radix_sort_implINS0_14default_configELb0EPK6__halfPSL_PKlPlN2at6native12_GLOBAL__N_18offset_tEEE10hipError_tPvRmT1_PNSt15iterator_traitsISZ_E10value_typeET2_T3_PNS10_IS15_E10value_typeET4_jRbjT5_S1B_jjP12ihipStream_tbEUljE_EEESW_SX_SY_S15_S19_S1B_T6_T7_T9_mT8_S1D_bDpT10_ENKUlT_T0_E_clISt17integral_constantIbLb0EES1P_IbLb1EEEEDaS1L_S1M_EUlS1L_E_NS1_11comp_targetILNS1_3genE4ELNS1_11target_archE910ELNS1_3gpuE8ELNS1_3repE0EEENS1_30default_config_static_selectorELNS0_4arch9wavefront6targetE0EEEvSZ_, .Lfunc_end1836-_ZN7rocprim17ROCPRIM_400000_NS6detail17trampoline_kernelINS0_13select_configILj256ELj13ELNS0_17block_load_methodE3ELS4_3ELS4_3ELNS0_20block_scan_algorithmE0ELj4294967295EEENS1_25partition_config_selectorILNS1_17partition_subalgoE3EjNS0_10empty_typeEbEEZZNS1_14partition_implILS8_3ELb0ES6_jNS0_17counting_iteratorIjlEEPS9_SE_NS0_5tupleIJPjSE_EEENSF_IJSE_SE_EEES9_SG_JZNS1_25segmented_radix_sort_implINS0_14default_configELb0EPK6__halfPSL_PKlPlN2at6native12_GLOBAL__N_18offset_tEEE10hipError_tPvRmT1_PNSt15iterator_traitsISZ_E10value_typeET2_T3_PNS10_IS15_E10value_typeET4_jRbjT5_S1B_jjP12ihipStream_tbEUljE_EEESW_SX_SY_S15_S19_S1B_T6_T7_T9_mT8_S1D_bDpT10_ENKUlT_T0_E_clISt17integral_constantIbLb0EES1P_IbLb1EEEEDaS1L_S1M_EUlS1L_E_NS1_11comp_targetILNS1_3genE4ELNS1_11target_archE910ELNS1_3gpuE8ELNS1_3repE0EEENS1_30default_config_static_selectorELNS0_4arch9wavefront6targetE0EEEvSZ_
                                        ; -- End function
	.section	.AMDGPU.csdata,"",@progbits
; Kernel info:
; codeLenInByte = 0
; NumSgprs: 0
; NumVgprs: 0
; ScratchSize: 0
; MemoryBound: 0
; FloatMode: 240
; IeeeMode: 1
; LDSByteSize: 0 bytes/workgroup (compile time only)
; SGPRBlocks: 0
; VGPRBlocks: 0
; NumSGPRsForWavesPerEU: 1
; NumVGPRsForWavesPerEU: 1
; Occupancy: 16
; WaveLimiterHint : 0
; COMPUTE_PGM_RSRC2:SCRATCH_EN: 0
; COMPUTE_PGM_RSRC2:USER_SGPR: 15
; COMPUTE_PGM_RSRC2:TRAP_HANDLER: 0
; COMPUTE_PGM_RSRC2:TGID_X_EN: 1
; COMPUTE_PGM_RSRC2:TGID_Y_EN: 0
; COMPUTE_PGM_RSRC2:TGID_Z_EN: 0
; COMPUTE_PGM_RSRC2:TIDIG_COMP_CNT: 0
	.section	.text._ZN7rocprim17ROCPRIM_400000_NS6detail17trampoline_kernelINS0_13select_configILj256ELj13ELNS0_17block_load_methodE3ELS4_3ELS4_3ELNS0_20block_scan_algorithmE0ELj4294967295EEENS1_25partition_config_selectorILNS1_17partition_subalgoE3EjNS0_10empty_typeEbEEZZNS1_14partition_implILS8_3ELb0ES6_jNS0_17counting_iteratorIjlEEPS9_SE_NS0_5tupleIJPjSE_EEENSF_IJSE_SE_EEES9_SG_JZNS1_25segmented_radix_sort_implINS0_14default_configELb0EPK6__halfPSL_PKlPlN2at6native12_GLOBAL__N_18offset_tEEE10hipError_tPvRmT1_PNSt15iterator_traitsISZ_E10value_typeET2_T3_PNS10_IS15_E10value_typeET4_jRbjT5_S1B_jjP12ihipStream_tbEUljE_EEESW_SX_SY_S15_S19_S1B_T6_T7_T9_mT8_S1D_bDpT10_ENKUlT_T0_E_clISt17integral_constantIbLb0EES1P_IbLb1EEEEDaS1L_S1M_EUlS1L_E_NS1_11comp_targetILNS1_3genE3ELNS1_11target_archE908ELNS1_3gpuE7ELNS1_3repE0EEENS1_30default_config_static_selectorELNS0_4arch9wavefront6targetE0EEEvSZ_,"axG",@progbits,_ZN7rocprim17ROCPRIM_400000_NS6detail17trampoline_kernelINS0_13select_configILj256ELj13ELNS0_17block_load_methodE3ELS4_3ELS4_3ELNS0_20block_scan_algorithmE0ELj4294967295EEENS1_25partition_config_selectorILNS1_17partition_subalgoE3EjNS0_10empty_typeEbEEZZNS1_14partition_implILS8_3ELb0ES6_jNS0_17counting_iteratorIjlEEPS9_SE_NS0_5tupleIJPjSE_EEENSF_IJSE_SE_EEES9_SG_JZNS1_25segmented_radix_sort_implINS0_14default_configELb0EPK6__halfPSL_PKlPlN2at6native12_GLOBAL__N_18offset_tEEE10hipError_tPvRmT1_PNSt15iterator_traitsISZ_E10value_typeET2_T3_PNS10_IS15_E10value_typeET4_jRbjT5_S1B_jjP12ihipStream_tbEUljE_EEESW_SX_SY_S15_S19_S1B_T6_T7_T9_mT8_S1D_bDpT10_ENKUlT_T0_E_clISt17integral_constantIbLb0EES1P_IbLb1EEEEDaS1L_S1M_EUlS1L_E_NS1_11comp_targetILNS1_3genE3ELNS1_11target_archE908ELNS1_3gpuE7ELNS1_3repE0EEENS1_30default_config_static_selectorELNS0_4arch9wavefront6targetE0EEEvSZ_,comdat
	.globl	_ZN7rocprim17ROCPRIM_400000_NS6detail17trampoline_kernelINS0_13select_configILj256ELj13ELNS0_17block_load_methodE3ELS4_3ELS4_3ELNS0_20block_scan_algorithmE0ELj4294967295EEENS1_25partition_config_selectorILNS1_17partition_subalgoE3EjNS0_10empty_typeEbEEZZNS1_14partition_implILS8_3ELb0ES6_jNS0_17counting_iteratorIjlEEPS9_SE_NS0_5tupleIJPjSE_EEENSF_IJSE_SE_EEES9_SG_JZNS1_25segmented_radix_sort_implINS0_14default_configELb0EPK6__halfPSL_PKlPlN2at6native12_GLOBAL__N_18offset_tEEE10hipError_tPvRmT1_PNSt15iterator_traitsISZ_E10value_typeET2_T3_PNS10_IS15_E10value_typeET4_jRbjT5_S1B_jjP12ihipStream_tbEUljE_EEESW_SX_SY_S15_S19_S1B_T6_T7_T9_mT8_S1D_bDpT10_ENKUlT_T0_E_clISt17integral_constantIbLb0EES1P_IbLb1EEEEDaS1L_S1M_EUlS1L_E_NS1_11comp_targetILNS1_3genE3ELNS1_11target_archE908ELNS1_3gpuE7ELNS1_3repE0EEENS1_30default_config_static_selectorELNS0_4arch9wavefront6targetE0EEEvSZ_ ; -- Begin function _ZN7rocprim17ROCPRIM_400000_NS6detail17trampoline_kernelINS0_13select_configILj256ELj13ELNS0_17block_load_methodE3ELS4_3ELS4_3ELNS0_20block_scan_algorithmE0ELj4294967295EEENS1_25partition_config_selectorILNS1_17partition_subalgoE3EjNS0_10empty_typeEbEEZZNS1_14partition_implILS8_3ELb0ES6_jNS0_17counting_iteratorIjlEEPS9_SE_NS0_5tupleIJPjSE_EEENSF_IJSE_SE_EEES9_SG_JZNS1_25segmented_radix_sort_implINS0_14default_configELb0EPK6__halfPSL_PKlPlN2at6native12_GLOBAL__N_18offset_tEEE10hipError_tPvRmT1_PNSt15iterator_traitsISZ_E10value_typeET2_T3_PNS10_IS15_E10value_typeET4_jRbjT5_S1B_jjP12ihipStream_tbEUljE_EEESW_SX_SY_S15_S19_S1B_T6_T7_T9_mT8_S1D_bDpT10_ENKUlT_T0_E_clISt17integral_constantIbLb0EES1P_IbLb1EEEEDaS1L_S1M_EUlS1L_E_NS1_11comp_targetILNS1_3genE3ELNS1_11target_archE908ELNS1_3gpuE7ELNS1_3repE0EEENS1_30default_config_static_selectorELNS0_4arch9wavefront6targetE0EEEvSZ_
	.p2align	8
	.type	_ZN7rocprim17ROCPRIM_400000_NS6detail17trampoline_kernelINS0_13select_configILj256ELj13ELNS0_17block_load_methodE3ELS4_3ELS4_3ELNS0_20block_scan_algorithmE0ELj4294967295EEENS1_25partition_config_selectorILNS1_17partition_subalgoE3EjNS0_10empty_typeEbEEZZNS1_14partition_implILS8_3ELb0ES6_jNS0_17counting_iteratorIjlEEPS9_SE_NS0_5tupleIJPjSE_EEENSF_IJSE_SE_EEES9_SG_JZNS1_25segmented_radix_sort_implINS0_14default_configELb0EPK6__halfPSL_PKlPlN2at6native12_GLOBAL__N_18offset_tEEE10hipError_tPvRmT1_PNSt15iterator_traitsISZ_E10value_typeET2_T3_PNS10_IS15_E10value_typeET4_jRbjT5_S1B_jjP12ihipStream_tbEUljE_EEESW_SX_SY_S15_S19_S1B_T6_T7_T9_mT8_S1D_bDpT10_ENKUlT_T0_E_clISt17integral_constantIbLb0EES1P_IbLb1EEEEDaS1L_S1M_EUlS1L_E_NS1_11comp_targetILNS1_3genE3ELNS1_11target_archE908ELNS1_3gpuE7ELNS1_3repE0EEENS1_30default_config_static_selectorELNS0_4arch9wavefront6targetE0EEEvSZ_,@function
_ZN7rocprim17ROCPRIM_400000_NS6detail17trampoline_kernelINS0_13select_configILj256ELj13ELNS0_17block_load_methodE3ELS4_3ELS4_3ELNS0_20block_scan_algorithmE0ELj4294967295EEENS1_25partition_config_selectorILNS1_17partition_subalgoE3EjNS0_10empty_typeEbEEZZNS1_14partition_implILS8_3ELb0ES6_jNS0_17counting_iteratorIjlEEPS9_SE_NS0_5tupleIJPjSE_EEENSF_IJSE_SE_EEES9_SG_JZNS1_25segmented_radix_sort_implINS0_14default_configELb0EPK6__halfPSL_PKlPlN2at6native12_GLOBAL__N_18offset_tEEE10hipError_tPvRmT1_PNSt15iterator_traitsISZ_E10value_typeET2_T3_PNS10_IS15_E10value_typeET4_jRbjT5_S1B_jjP12ihipStream_tbEUljE_EEESW_SX_SY_S15_S19_S1B_T6_T7_T9_mT8_S1D_bDpT10_ENKUlT_T0_E_clISt17integral_constantIbLb0EES1P_IbLb1EEEEDaS1L_S1M_EUlS1L_E_NS1_11comp_targetILNS1_3genE3ELNS1_11target_archE908ELNS1_3gpuE7ELNS1_3repE0EEENS1_30default_config_static_selectorELNS0_4arch9wavefront6targetE0EEEvSZ_: ; @_ZN7rocprim17ROCPRIM_400000_NS6detail17trampoline_kernelINS0_13select_configILj256ELj13ELNS0_17block_load_methodE3ELS4_3ELS4_3ELNS0_20block_scan_algorithmE0ELj4294967295EEENS1_25partition_config_selectorILNS1_17partition_subalgoE3EjNS0_10empty_typeEbEEZZNS1_14partition_implILS8_3ELb0ES6_jNS0_17counting_iteratorIjlEEPS9_SE_NS0_5tupleIJPjSE_EEENSF_IJSE_SE_EEES9_SG_JZNS1_25segmented_radix_sort_implINS0_14default_configELb0EPK6__halfPSL_PKlPlN2at6native12_GLOBAL__N_18offset_tEEE10hipError_tPvRmT1_PNSt15iterator_traitsISZ_E10value_typeET2_T3_PNS10_IS15_E10value_typeET4_jRbjT5_S1B_jjP12ihipStream_tbEUljE_EEESW_SX_SY_S15_S19_S1B_T6_T7_T9_mT8_S1D_bDpT10_ENKUlT_T0_E_clISt17integral_constantIbLb0EES1P_IbLb1EEEEDaS1L_S1M_EUlS1L_E_NS1_11comp_targetILNS1_3genE3ELNS1_11target_archE908ELNS1_3gpuE7ELNS1_3repE0EEENS1_30default_config_static_selectorELNS0_4arch9wavefront6targetE0EEEvSZ_
; %bb.0:
	.section	.rodata,"a",@progbits
	.p2align	6, 0x0
	.amdhsa_kernel _ZN7rocprim17ROCPRIM_400000_NS6detail17trampoline_kernelINS0_13select_configILj256ELj13ELNS0_17block_load_methodE3ELS4_3ELS4_3ELNS0_20block_scan_algorithmE0ELj4294967295EEENS1_25partition_config_selectorILNS1_17partition_subalgoE3EjNS0_10empty_typeEbEEZZNS1_14partition_implILS8_3ELb0ES6_jNS0_17counting_iteratorIjlEEPS9_SE_NS0_5tupleIJPjSE_EEENSF_IJSE_SE_EEES9_SG_JZNS1_25segmented_radix_sort_implINS0_14default_configELb0EPK6__halfPSL_PKlPlN2at6native12_GLOBAL__N_18offset_tEEE10hipError_tPvRmT1_PNSt15iterator_traitsISZ_E10value_typeET2_T3_PNS10_IS15_E10value_typeET4_jRbjT5_S1B_jjP12ihipStream_tbEUljE_EEESW_SX_SY_S15_S19_S1B_T6_T7_T9_mT8_S1D_bDpT10_ENKUlT_T0_E_clISt17integral_constantIbLb0EES1P_IbLb1EEEEDaS1L_S1M_EUlS1L_E_NS1_11comp_targetILNS1_3genE3ELNS1_11target_archE908ELNS1_3gpuE7ELNS1_3repE0EEENS1_30default_config_static_selectorELNS0_4arch9wavefront6targetE0EEEvSZ_
		.amdhsa_group_segment_fixed_size 0
		.amdhsa_private_segment_fixed_size 0
		.amdhsa_kernarg_size 152
		.amdhsa_user_sgpr_count 15
		.amdhsa_user_sgpr_dispatch_ptr 0
		.amdhsa_user_sgpr_queue_ptr 0
		.amdhsa_user_sgpr_kernarg_segment_ptr 1
		.amdhsa_user_sgpr_dispatch_id 0
		.amdhsa_user_sgpr_private_segment_size 0
		.amdhsa_wavefront_size32 1
		.amdhsa_uses_dynamic_stack 0
		.amdhsa_enable_private_segment 0
		.amdhsa_system_sgpr_workgroup_id_x 1
		.amdhsa_system_sgpr_workgroup_id_y 0
		.amdhsa_system_sgpr_workgroup_id_z 0
		.amdhsa_system_sgpr_workgroup_info 0
		.amdhsa_system_vgpr_workitem_id 0
		.amdhsa_next_free_vgpr 1
		.amdhsa_next_free_sgpr 1
		.amdhsa_reserve_vcc 0
		.amdhsa_float_round_mode_32 0
		.amdhsa_float_round_mode_16_64 0
		.amdhsa_float_denorm_mode_32 3
		.amdhsa_float_denorm_mode_16_64 3
		.amdhsa_dx10_clamp 1
		.amdhsa_ieee_mode 1
		.amdhsa_fp16_overflow 0
		.amdhsa_workgroup_processor_mode 1
		.amdhsa_memory_ordered 1
		.amdhsa_forward_progress 0
		.amdhsa_shared_vgpr_count 0
		.amdhsa_exception_fp_ieee_invalid_op 0
		.amdhsa_exception_fp_denorm_src 0
		.amdhsa_exception_fp_ieee_div_zero 0
		.amdhsa_exception_fp_ieee_overflow 0
		.amdhsa_exception_fp_ieee_underflow 0
		.amdhsa_exception_fp_ieee_inexact 0
		.amdhsa_exception_int_div_zero 0
	.end_amdhsa_kernel
	.section	.text._ZN7rocprim17ROCPRIM_400000_NS6detail17trampoline_kernelINS0_13select_configILj256ELj13ELNS0_17block_load_methodE3ELS4_3ELS4_3ELNS0_20block_scan_algorithmE0ELj4294967295EEENS1_25partition_config_selectorILNS1_17partition_subalgoE3EjNS0_10empty_typeEbEEZZNS1_14partition_implILS8_3ELb0ES6_jNS0_17counting_iteratorIjlEEPS9_SE_NS0_5tupleIJPjSE_EEENSF_IJSE_SE_EEES9_SG_JZNS1_25segmented_radix_sort_implINS0_14default_configELb0EPK6__halfPSL_PKlPlN2at6native12_GLOBAL__N_18offset_tEEE10hipError_tPvRmT1_PNSt15iterator_traitsISZ_E10value_typeET2_T3_PNS10_IS15_E10value_typeET4_jRbjT5_S1B_jjP12ihipStream_tbEUljE_EEESW_SX_SY_S15_S19_S1B_T6_T7_T9_mT8_S1D_bDpT10_ENKUlT_T0_E_clISt17integral_constantIbLb0EES1P_IbLb1EEEEDaS1L_S1M_EUlS1L_E_NS1_11comp_targetILNS1_3genE3ELNS1_11target_archE908ELNS1_3gpuE7ELNS1_3repE0EEENS1_30default_config_static_selectorELNS0_4arch9wavefront6targetE0EEEvSZ_,"axG",@progbits,_ZN7rocprim17ROCPRIM_400000_NS6detail17trampoline_kernelINS0_13select_configILj256ELj13ELNS0_17block_load_methodE3ELS4_3ELS4_3ELNS0_20block_scan_algorithmE0ELj4294967295EEENS1_25partition_config_selectorILNS1_17partition_subalgoE3EjNS0_10empty_typeEbEEZZNS1_14partition_implILS8_3ELb0ES6_jNS0_17counting_iteratorIjlEEPS9_SE_NS0_5tupleIJPjSE_EEENSF_IJSE_SE_EEES9_SG_JZNS1_25segmented_radix_sort_implINS0_14default_configELb0EPK6__halfPSL_PKlPlN2at6native12_GLOBAL__N_18offset_tEEE10hipError_tPvRmT1_PNSt15iterator_traitsISZ_E10value_typeET2_T3_PNS10_IS15_E10value_typeET4_jRbjT5_S1B_jjP12ihipStream_tbEUljE_EEESW_SX_SY_S15_S19_S1B_T6_T7_T9_mT8_S1D_bDpT10_ENKUlT_T0_E_clISt17integral_constantIbLb0EES1P_IbLb1EEEEDaS1L_S1M_EUlS1L_E_NS1_11comp_targetILNS1_3genE3ELNS1_11target_archE908ELNS1_3gpuE7ELNS1_3repE0EEENS1_30default_config_static_selectorELNS0_4arch9wavefront6targetE0EEEvSZ_,comdat
.Lfunc_end1837:
	.size	_ZN7rocprim17ROCPRIM_400000_NS6detail17trampoline_kernelINS0_13select_configILj256ELj13ELNS0_17block_load_methodE3ELS4_3ELS4_3ELNS0_20block_scan_algorithmE0ELj4294967295EEENS1_25partition_config_selectorILNS1_17partition_subalgoE3EjNS0_10empty_typeEbEEZZNS1_14partition_implILS8_3ELb0ES6_jNS0_17counting_iteratorIjlEEPS9_SE_NS0_5tupleIJPjSE_EEENSF_IJSE_SE_EEES9_SG_JZNS1_25segmented_radix_sort_implINS0_14default_configELb0EPK6__halfPSL_PKlPlN2at6native12_GLOBAL__N_18offset_tEEE10hipError_tPvRmT1_PNSt15iterator_traitsISZ_E10value_typeET2_T3_PNS10_IS15_E10value_typeET4_jRbjT5_S1B_jjP12ihipStream_tbEUljE_EEESW_SX_SY_S15_S19_S1B_T6_T7_T9_mT8_S1D_bDpT10_ENKUlT_T0_E_clISt17integral_constantIbLb0EES1P_IbLb1EEEEDaS1L_S1M_EUlS1L_E_NS1_11comp_targetILNS1_3genE3ELNS1_11target_archE908ELNS1_3gpuE7ELNS1_3repE0EEENS1_30default_config_static_selectorELNS0_4arch9wavefront6targetE0EEEvSZ_, .Lfunc_end1837-_ZN7rocprim17ROCPRIM_400000_NS6detail17trampoline_kernelINS0_13select_configILj256ELj13ELNS0_17block_load_methodE3ELS4_3ELS4_3ELNS0_20block_scan_algorithmE0ELj4294967295EEENS1_25partition_config_selectorILNS1_17partition_subalgoE3EjNS0_10empty_typeEbEEZZNS1_14partition_implILS8_3ELb0ES6_jNS0_17counting_iteratorIjlEEPS9_SE_NS0_5tupleIJPjSE_EEENSF_IJSE_SE_EEES9_SG_JZNS1_25segmented_radix_sort_implINS0_14default_configELb0EPK6__halfPSL_PKlPlN2at6native12_GLOBAL__N_18offset_tEEE10hipError_tPvRmT1_PNSt15iterator_traitsISZ_E10value_typeET2_T3_PNS10_IS15_E10value_typeET4_jRbjT5_S1B_jjP12ihipStream_tbEUljE_EEESW_SX_SY_S15_S19_S1B_T6_T7_T9_mT8_S1D_bDpT10_ENKUlT_T0_E_clISt17integral_constantIbLb0EES1P_IbLb1EEEEDaS1L_S1M_EUlS1L_E_NS1_11comp_targetILNS1_3genE3ELNS1_11target_archE908ELNS1_3gpuE7ELNS1_3repE0EEENS1_30default_config_static_selectorELNS0_4arch9wavefront6targetE0EEEvSZ_
                                        ; -- End function
	.section	.AMDGPU.csdata,"",@progbits
; Kernel info:
; codeLenInByte = 0
; NumSgprs: 0
; NumVgprs: 0
; ScratchSize: 0
; MemoryBound: 0
; FloatMode: 240
; IeeeMode: 1
; LDSByteSize: 0 bytes/workgroup (compile time only)
; SGPRBlocks: 0
; VGPRBlocks: 0
; NumSGPRsForWavesPerEU: 1
; NumVGPRsForWavesPerEU: 1
; Occupancy: 16
; WaveLimiterHint : 0
; COMPUTE_PGM_RSRC2:SCRATCH_EN: 0
; COMPUTE_PGM_RSRC2:USER_SGPR: 15
; COMPUTE_PGM_RSRC2:TRAP_HANDLER: 0
; COMPUTE_PGM_RSRC2:TGID_X_EN: 1
; COMPUTE_PGM_RSRC2:TGID_Y_EN: 0
; COMPUTE_PGM_RSRC2:TGID_Z_EN: 0
; COMPUTE_PGM_RSRC2:TIDIG_COMP_CNT: 0
	.section	.text._ZN7rocprim17ROCPRIM_400000_NS6detail17trampoline_kernelINS0_13select_configILj256ELj13ELNS0_17block_load_methodE3ELS4_3ELS4_3ELNS0_20block_scan_algorithmE0ELj4294967295EEENS1_25partition_config_selectorILNS1_17partition_subalgoE3EjNS0_10empty_typeEbEEZZNS1_14partition_implILS8_3ELb0ES6_jNS0_17counting_iteratorIjlEEPS9_SE_NS0_5tupleIJPjSE_EEENSF_IJSE_SE_EEES9_SG_JZNS1_25segmented_radix_sort_implINS0_14default_configELb0EPK6__halfPSL_PKlPlN2at6native12_GLOBAL__N_18offset_tEEE10hipError_tPvRmT1_PNSt15iterator_traitsISZ_E10value_typeET2_T3_PNS10_IS15_E10value_typeET4_jRbjT5_S1B_jjP12ihipStream_tbEUljE_EEESW_SX_SY_S15_S19_S1B_T6_T7_T9_mT8_S1D_bDpT10_ENKUlT_T0_E_clISt17integral_constantIbLb0EES1P_IbLb1EEEEDaS1L_S1M_EUlS1L_E_NS1_11comp_targetILNS1_3genE2ELNS1_11target_archE906ELNS1_3gpuE6ELNS1_3repE0EEENS1_30default_config_static_selectorELNS0_4arch9wavefront6targetE0EEEvSZ_,"axG",@progbits,_ZN7rocprim17ROCPRIM_400000_NS6detail17trampoline_kernelINS0_13select_configILj256ELj13ELNS0_17block_load_methodE3ELS4_3ELS4_3ELNS0_20block_scan_algorithmE0ELj4294967295EEENS1_25partition_config_selectorILNS1_17partition_subalgoE3EjNS0_10empty_typeEbEEZZNS1_14partition_implILS8_3ELb0ES6_jNS0_17counting_iteratorIjlEEPS9_SE_NS0_5tupleIJPjSE_EEENSF_IJSE_SE_EEES9_SG_JZNS1_25segmented_radix_sort_implINS0_14default_configELb0EPK6__halfPSL_PKlPlN2at6native12_GLOBAL__N_18offset_tEEE10hipError_tPvRmT1_PNSt15iterator_traitsISZ_E10value_typeET2_T3_PNS10_IS15_E10value_typeET4_jRbjT5_S1B_jjP12ihipStream_tbEUljE_EEESW_SX_SY_S15_S19_S1B_T6_T7_T9_mT8_S1D_bDpT10_ENKUlT_T0_E_clISt17integral_constantIbLb0EES1P_IbLb1EEEEDaS1L_S1M_EUlS1L_E_NS1_11comp_targetILNS1_3genE2ELNS1_11target_archE906ELNS1_3gpuE6ELNS1_3repE0EEENS1_30default_config_static_selectorELNS0_4arch9wavefront6targetE0EEEvSZ_,comdat
	.globl	_ZN7rocprim17ROCPRIM_400000_NS6detail17trampoline_kernelINS0_13select_configILj256ELj13ELNS0_17block_load_methodE3ELS4_3ELS4_3ELNS0_20block_scan_algorithmE0ELj4294967295EEENS1_25partition_config_selectorILNS1_17partition_subalgoE3EjNS0_10empty_typeEbEEZZNS1_14partition_implILS8_3ELb0ES6_jNS0_17counting_iteratorIjlEEPS9_SE_NS0_5tupleIJPjSE_EEENSF_IJSE_SE_EEES9_SG_JZNS1_25segmented_radix_sort_implINS0_14default_configELb0EPK6__halfPSL_PKlPlN2at6native12_GLOBAL__N_18offset_tEEE10hipError_tPvRmT1_PNSt15iterator_traitsISZ_E10value_typeET2_T3_PNS10_IS15_E10value_typeET4_jRbjT5_S1B_jjP12ihipStream_tbEUljE_EEESW_SX_SY_S15_S19_S1B_T6_T7_T9_mT8_S1D_bDpT10_ENKUlT_T0_E_clISt17integral_constantIbLb0EES1P_IbLb1EEEEDaS1L_S1M_EUlS1L_E_NS1_11comp_targetILNS1_3genE2ELNS1_11target_archE906ELNS1_3gpuE6ELNS1_3repE0EEENS1_30default_config_static_selectorELNS0_4arch9wavefront6targetE0EEEvSZ_ ; -- Begin function _ZN7rocprim17ROCPRIM_400000_NS6detail17trampoline_kernelINS0_13select_configILj256ELj13ELNS0_17block_load_methodE3ELS4_3ELS4_3ELNS0_20block_scan_algorithmE0ELj4294967295EEENS1_25partition_config_selectorILNS1_17partition_subalgoE3EjNS0_10empty_typeEbEEZZNS1_14partition_implILS8_3ELb0ES6_jNS0_17counting_iteratorIjlEEPS9_SE_NS0_5tupleIJPjSE_EEENSF_IJSE_SE_EEES9_SG_JZNS1_25segmented_radix_sort_implINS0_14default_configELb0EPK6__halfPSL_PKlPlN2at6native12_GLOBAL__N_18offset_tEEE10hipError_tPvRmT1_PNSt15iterator_traitsISZ_E10value_typeET2_T3_PNS10_IS15_E10value_typeET4_jRbjT5_S1B_jjP12ihipStream_tbEUljE_EEESW_SX_SY_S15_S19_S1B_T6_T7_T9_mT8_S1D_bDpT10_ENKUlT_T0_E_clISt17integral_constantIbLb0EES1P_IbLb1EEEEDaS1L_S1M_EUlS1L_E_NS1_11comp_targetILNS1_3genE2ELNS1_11target_archE906ELNS1_3gpuE6ELNS1_3repE0EEENS1_30default_config_static_selectorELNS0_4arch9wavefront6targetE0EEEvSZ_
	.p2align	8
	.type	_ZN7rocprim17ROCPRIM_400000_NS6detail17trampoline_kernelINS0_13select_configILj256ELj13ELNS0_17block_load_methodE3ELS4_3ELS4_3ELNS0_20block_scan_algorithmE0ELj4294967295EEENS1_25partition_config_selectorILNS1_17partition_subalgoE3EjNS0_10empty_typeEbEEZZNS1_14partition_implILS8_3ELb0ES6_jNS0_17counting_iteratorIjlEEPS9_SE_NS0_5tupleIJPjSE_EEENSF_IJSE_SE_EEES9_SG_JZNS1_25segmented_radix_sort_implINS0_14default_configELb0EPK6__halfPSL_PKlPlN2at6native12_GLOBAL__N_18offset_tEEE10hipError_tPvRmT1_PNSt15iterator_traitsISZ_E10value_typeET2_T3_PNS10_IS15_E10value_typeET4_jRbjT5_S1B_jjP12ihipStream_tbEUljE_EEESW_SX_SY_S15_S19_S1B_T6_T7_T9_mT8_S1D_bDpT10_ENKUlT_T0_E_clISt17integral_constantIbLb0EES1P_IbLb1EEEEDaS1L_S1M_EUlS1L_E_NS1_11comp_targetILNS1_3genE2ELNS1_11target_archE906ELNS1_3gpuE6ELNS1_3repE0EEENS1_30default_config_static_selectorELNS0_4arch9wavefront6targetE0EEEvSZ_,@function
_ZN7rocprim17ROCPRIM_400000_NS6detail17trampoline_kernelINS0_13select_configILj256ELj13ELNS0_17block_load_methodE3ELS4_3ELS4_3ELNS0_20block_scan_algorithmE0ELj4294967295EEENS1_25partition_config_selectorILNS1_17partition_subalgoE3EjNS0_10empty_typeEbEEZZNS1_14partition_implILS8_3ELb0ES6_jNS0_17counting_iteratorIjlEEPS9_SE_NS0_5tupleIJPjSE_EEENSF_IJSE_SE_EEES9_SG_JZNS1_25segmented_radix_sort_implINS0_14default_configELb0EPK6__halfPSL_PKlPlN2at6native12_GLOBAL__N_18offset_tEEE10hipError_tPvRmT1_PNSt15iterator_traitsISZ_E10value_typeET2_T3_PNS10_IS15_E10value_typeET4_jRbjT5_S1B_jjP12ihipStream_tbEUljE_EEESW_SX_SY_S15_S19_S1B_T6_T7_T9_mT8_S1D_bDpT10_ENKUlT_T0_E_clISt17integral_constantIbLb0EES1P_IbLb1EEEEDaS1L_S1M_EUlS1L_E_NS1_11comp_targetILNS1_3genE2ELNS1_11target_archE906ELNS1_3gpuE6ELNS1_3repE0EEENS1_30default_config_static_selectorELNS0_4arch9wavefront6targetE0EEEvSZ_: ; @_ZN7rocprim17ROCPRIM_400000_NS6detail17trampoline_kernelINS0_13select_configILj256ELj13ELNS0_17block_load_methodE3ELS4_3ELS4_3ELNS0_20block_scan_algorithmE0ELj4294967295EEENS1_25partition_config_selectorILNS1_17partition_subalgoE3EjNS0_10empty_typeEbEEZZNS1_14partition_implILS8_3ELb0ES6_jNS0_17counting_iteratorIjlEEPS9_SE_NS0_5tupleIJPjSE_EEENSF_IJSE_SE_EEES9_SG_JZNS1_25segmented_radix_sort_implINS0_14default_configELb0EPK6__halfPSL_PKlPlN2at6native12_GLOBAL__N_18offset_tEEE10hipError_tPvRmT1_PNSt15iterator_traitsISZ_E10value_typeET2_T3_PNS10_IS15_E10value_typeET4_jRbjT5_S1B_jjP12ihipStream_tbEUljE_EEESW_SX_SY_S15_S19_S1B_T6_T7_T9_mT8_S1D_bDpT10_ENKUlT_T0_E_clISt17integral_constantIbLb0EES1P_IbLb1EEEEDaS1L_S1M_EUlS1L_E_NS1_11comp_targetILNS1_3genE2ELNS1_11target_archE906ELNS1_3gpuE6ELNS1_3repE0EEENS1_30default_config_static_selectorELNS0_4arch9wavefront6targetE0EEEvSZ_
; %bb.0:
	.section	.rodata,"a",@progbits
	.p2align	6, 0x0
	.amdhsa_kernel _ZN7rocprim17ROCPRIM_400000_NS6detail17trampoline_kernelINS0_13select_configILj256ELj13ELNS0_17block_load_methodE3ELS4_3ELS4_3ELNS0_20block_scan_algorithmE0ELj4294967295EEENS1_25partition_config_selectorILNS1_17partition_subalgoE3EjNS0_10empty_typeEbEEZZNS1_14partition_implILS8_3ELb0ES6_jNS0_17counting_iteratorIjlEEPS9_SE_NS0_5tupleIJPjSE_EEENSF_IJSE_SE_EEES9_SG_JZNS1_25segmented_radix_sort_implINS0_14default_configELb0EPK6__halfPSL_PKlPlN2at6native12_GLOBAL__N_18offset_tEEE10hipError_tPvRmT1_PNSt15iterator_traitsISZ_E10value_typeET2_T3_PNS10_IS15_E10value_typeET4_jRbjT5_S1B_jjP12ihipStream_tbEUljE_EEESW_SX_SY_S15_S19_S1B_T6_T7_T9_mT8_S1D_bDpT10_ENKUlT_T0_E_clISt17integral_constantIbLb0EES1P_IbLb1EEEEDaS1L_S1M_EUlS1L_E_NS1_11comp_targetILNS1_3genE2ELNS1_11target_archE906ELNS1_3gpuE6ELNS1_3repE0EEENS1_30default_config_static_selectorELNS0_4arch9wavefront6targetE0EEEvSZ_
		.amdhsa_group_segment_fixed_size 0
		.amdhsa_private_segment_fixed_size 0
		.amdhsa_kernarg_size 152
		.amdhsa_user_sgpr_count 15
		.amdhsa_user_sgpr_dispatch_ptr 0
		.amdhsa_user_sgpr_queue_ptr 0
		.amdhsa_user_sgpr_kernarg_segment_ptr 1
		.amdhsa_user_sgpr_dispatch_id 0
		.amdhsa_user_sgpr_private_segment_size 0
		.amdhsa_wavefront_size32 1
		.amdhsa_uses_dynamic_stack 0
		.amdhsa_enable_private_segment 0
		.amdhsa_system_sgpr_workgroup_id_x 1
		.amdhsa_system_sgpr_workgroup_id_y 0
		.amdhsa_system_sgpr_workgroup_id_z 0
		.amdhsa_system_sgpr_workgroup_info 0
		.amdhsa_system_vgpr_workitem_id 0
		.amdhsa_next_free_vgpr 1
		.amdhsa_next_free_sgpr 1
		.amdhsa_reserve_vcc 0
		.amdhsa_float_round_mode_32 0
		.amdhsa_float_round_mode_16_64 0
		.amdhsa_float_denorm_mode_32 3
		.amdhsa_float_denorm_mode_16_64 3
		.amdhsa_dx10_clamp 1
		.amdhsa_ieee_mode 1
		.amdhsa_fp16_overflow 0
		.amdhsa_workgroup_processor_mode 1
		.amdhsa_memory_ordered 1
		.amdhsa_forward_progress 0
		.amdhsa_shared_vgpr_count 0
		.amdhsa_exception_fp_ieee_invalid_op 0
		.amdhsa_exception_fp_denorm_src 0
		.amdhsa_exception_fp_ieee_div_zero 0
		.amdhsa_exception_fp_ieee_overflow 0
		.amdhsa_exception_fp_ieee_underflow 0
		.amdhsa_exception_fp_ieee_inexact 0
		.amdhsa_exception_int_div_zero 0
	.end_amdhsa_kernel
	.section	.text._ZN7rocprim17ROCPRIM_400000_NS6detail17trampoline_kernelINS0_13select_configILj256ELj13ELNS0_17block_load_methodE3ELS4_3ELS4_3ELNS0_20block_scan_algorithmE0ELj4294967295EEENS1_25partition_config_selectorILNS1_17partition_subalgoE3EjNS0_10empty_typeEbEEZZNS1_14partition_implILS8_3ELb0ES6_jNS0_17counting_iteratorIjlEEPS9_SE_NS0_5tupleIJPjSE_EEENSF_IJSE_SE_EEES9_SG_JZNS1_25segmented_radix_sort_implINS0_14default_configELb0EPK6__halfPSL_PKlPlN2at6native12_GLOBAL__N_18offset_tEEE10hipError_tPvRmT1_PNSt15iterator_traitsISZ_E10value_typeET2_T3_PNS10_IS15_E10value_typeET4_jRbjT5_S1B_jjP12ihipStream_tbEUljE_EEESW_SX_SY_S15_S19_S1B_T6_T7_T9_mT8_S1D_bDpT10_ENKUlT_T0_E_clISt17integral_constantIbLb0EES1P_IbLb1EEEEDaS1L_S1M_EUlS1L_E_NS1_11comp_targetILNS1_3genE2ELNS1_11target_archE906ELNS1_3gpuE6ELNS1_3repE0EEENS1_30default_config_static_selectorELNS0_4arch9wavefront6targetE0EEEvSZ_,"axG",@progbits,_ZN7rocprim17ROCPRIM_400000_NS6detail17trampoline_kernelINS0_13select_configILj256ELj13ELNS0_17block_load_methodE3ELS4_3ELS4_3ELNS0_20block_scan_algorithmE0ELj4294967295EEENS1_25partition_config_selectorILNS1_17partition_subalgoE3EjNS0_10empty_typeEbEEZZNS1_14partition_implILS8_3ELb0ES6_jNS0_17counting_iteratorIjlEEPS9_SE_NS0_5tupleIJPjSE_EEENSF_IJSE_SE_EEES9_SG_JZNS1_25segmented_radix_sort_implINS0_14default_configELb0EPK6__halfPSL_PKlPlN2at6native12_GLOBAL__N_18offset_tEEE10hipError_tPvRmT1_PNSt15iterator_traitsISZ_E10value_typeET2_T3_PNS10_IS15_E10value_typeET4_jRbjT5_S1B_jjP12ihipStream_tbEUljE_EEESW_SX_SY_S15_S19_S1B_T6_T7_T9_mT8_S1D_bDpT10_ENKUlT_T0_E_clISt17integral_constantIbLb0EES1P_IbLb1EEEEDaS1L_S1M_EUlS1L_E_NS1_11comp_targetILNS1_3genE2ELNS1_11target_archE906ELNS1_3gpuE6ELNS1_3repE0EEENS1_30default_config_static_selectorELNS0_4arch9wavefront6targetE0EEEvSZ_,comdat
.Lfunc_end1838:
	.size	_ZN7rocprim17ROCPRIM_400000_NS6detail17trampoline_kernelINS0_13select_configILj256ELj13ELNS0_17block_load_methodE3ELS4_3ELS4_3ELNS0_20block_scan_algorithmE0ELj4294967295EEENS1_25partition_config_selectorILNS1_17partition_subalgoE3EjNS0_10empty_typeEbEEZZNS1_14partition_implILS8_3ELb0ES6_jNS0_17counting_iteratorIjlEEPS9_SE_NS0_5tupleIJPjSE_EEENSF_IJSE_SE_EEES9_SG_JZNS1_25segmented_radix_sort_implINS0_14default_configELb0EPK6__halfPSL_PKlPlN2at6native12_GLOBAL__N_18offset_tEEE10hipError_tPvRmT1_PNSt15iterator_traitsISZ_E10value_typeET2_T3_PNS10_IS15_E10value_typeET4_jRbjT5_S1B_jjP12ihipStream_tbEUljE_EEESW_SX_SY_S15_S19_S1B_T6_T7_T9_mT8_S1D_bDpT10_ENKUlT_T0_E_clISt17integral_constantIbLb0EES1P_IbLb1EEEEDaS1L_S1M_EUlS1L_E_NS1_11comp_targetILNS1_3genE2ELNS1_11target_archE906ELNS1_3gpuE6ELNS1_3repE0EEENS1_30default_config_static_selectorELNS0_4arch9wavefront6targetE0EEEvSZ_, .Lfunc_end1838-_ZN7rocprim17ROCPRIM_400000_NS6detail17trampoline_kernelINS0_13select_configILj256ELj13ELNS0_17block_load_methodE3ELS4_3ELS4_3ELNS0_20block_scan_algorithmE0ELj4294967295EEENS1_25partition_config_selectorILNS1_17partition_subalgoE3EjNS0_10empty_typeEbEEZZNS1_14partition_implILS8_3ELb0ES6_jNS0_17counting_iteratorIjlEEPS9_SE_NS0_5tupleIJPjSE_EEENSF_IJSE_SE_EEES9_SG_JZNS1_25segmented_radix_sort_implINS0_14default_configELb0EPK6__halfPSL_PKlPlN2at6native12_GLOBAL__N_18offset_tEEE10hipError_tPvRmT1_PNSt15iterator_traitsISZ_E10value_typeET2_T3_PNS10_IS15_E10value_typeET4_jRbjT5_S1B_jjP12ihipStream_tbEUljE_EEESW_SX_SY_S15_S19_S1B_T6_T7_T9_mT8_S1D_bDpT10_ENKUlT_T0_E_clISt17integral_constantIbLb0EES1P_IbLb1EEEEDaS1L_S1M_EUlS1L_E_NS1_11comp_targetILNS1_3genE2ELNS1_11target_archE906ELNS1_3gpuE6ELNS1_3repE0EEENS1_30default_config_static_selectorELNS0_4arch9wavefront6targetE0EEEvSZ_
                                        ; -- End function
	.section	.AMDGPU.csdata,"",@progbits
; Kernel info:
; codeLenInByte = 0
; NumSgprs: 0
; NumVgprs: 0
; ScratchSize: 0
; MemoryBound: 0
; FloatMode: 240
; IeeeMode: 1
; LDSByteSize: 0 bytes/workgroup (compile time only)
; SGPRBlocks: 0
; VGPRBlocks: 0
; NumSGPRsForWavesPerEU: 1
; NumVGPRsForWavesPerEU: 1
; Occupancy: 16
; WaveLimiterHint : 0
; COMPUTE_PGM_RSRC2:SCRATCH_EN: 0
; COMPUTE_PGM_RSRC2:USER_SGPR: 15
; COMPUTE_PGM_RSRC2:TRAP_HANDLER: 0
; COMPUTE_PGM_RSRC2:TGID_X_EN: 1
; COMPUTE_PGM_RSRC2:TGID_Y_EN: 0
; COMPUTE_PGM_RSRC2:TGID_Z_EN: 0
; COMPUTE_PGM_RSRC2:TIDIG_COMP_CNT: 0
	.section	.text._ZN7rocprim17ROCPRIM_400000_NS6detail17trampoline_kernelINS0_13select_configILj256ELj13ELNS0_17block_load_methodE3ELS4_3ELS4_3ELNS0_20block_scan_algorithmE0ELj4294967295EEENS1_25partition_config_selectorILNS1_17partition_subalgoE3EjNS0_10empty_typeEbEEZZNS1_14partition_implILS8_3ELb0ES6_jNS0_17counting_iteratorIjlEEPS9_SE_NS0_5tupleIJPjSE_EEENSF_IJSE_SE_EEES9_SG_JZNS1_25segmented_radix_sort_implINS0_14default_configELb0EPK6__halfPSL_PKlPlN2at6native12_GLOBAL__N_18offset_tEEE10hipError_tPvRmT1_PNSt15iterator_traitsISZ_E10value_typeET2_T3_PNS10_IS15_E10value_typeET4_jRbjT5_S1B_jjP12ihipStream_tbEUljE_EEESW_SX_SY_S15_S19_S1B_T6_T7_T9_mT8_S1D_bDpT10_ENKUlT_T0_E_clISt17integral_constantIbLb0EES1P_IbLb1EEEEDaS1L_S1M_EUlS1L_E_NS1_11comp_targetILNS1_3genE10ELNS1_11target_archE1200ELNS1_3gpuE4ELNS1_3repE0EEENS1_30default_config_static_selectorELNS0_4arch9wavefront6targetE0EEEvSZ_,"axG",@progbits,_ZN7rocprim17ROCPRIM_400000_NS6detail17trampoline_kernelINS0_13select_configILj256ELj13ELNS0_17block_load_methodE3ELS4_3ELS4_3ELNS0_20block_scan_algorithmE0ELj4294967295EEENS1_25partition_config_selectorILNS1_17partition_subalgoE3EjNS0_10empty_typeEbEEZZNS1_14partition_implILS8_3ELb0ES6_jNS0_17counting_iteratorIjlEEPS9_SE_NS0_5tupleIJPjSE_EEENSF_IJSE_SE_EEES9_SG_JZNS1_25segmented_radix_sort_implINS0_14default_configELb0EPK6__halfPSL_PKlPlN2at6native12_GLOBAL__N_18offset_tEEE10hipError_tPvRmT1_PNSt15iterator_traitsISZ_E10value_typeET2_T3_PNS10_IS15_E10value_typeET4_jRbjT5_S1B_jjP12ihipStream_tbEUljE_EEESW_SX_SY_S15_S19_S1B_T6_T7_T9_mT8_S1D_bDpT10_ENKUlT_T0_E_clISt17integral_constantIbLb0EES1P_IbLb1EEEEDaS1L_S1M_EUlS1L_E_NS1_11comp_targetILNS1_3genE10ELNS1_11target_archE1200ELNS1_3gpuE4ELNS1_3repE0EEENS1_30default_config_static_selectorELNS0_4arch9wavefront6targetE0EEEvSZ_,comdat
	.globl	_ZN7rocprim17ROCPRIM_400000_NS6detail17trampoline_kernelINS0_13select_configILj256ELj13ELNS0_17block_load_methodE3ELS4_3ELS4_3ELNS0_20block_scan_algorithmE0ELj4294967295EEENS1_25partition_config_selectorILNS1_17partition_subalgoE3EjNS0_10empty_typeEbEEZZNS1_14partition_implILS8_3ELb0ES6_jNS0_17counting_iteratorIjlEEPS9_SE_NS0_5tupleIJPjSE_EEENSF_IJSE_SE_EEES9_SG_JZNS1_25segmented_radix_sort_implINS0_14default_configELb0EPK6__halfPSL_PKlPlN2at6native12_GLOBAL__N_18offset_tEEE10hipError_tPvRmT1_PNSt15iterator_traitsISZ_E10value_typeET2_T3_PNS10_IS15_E10value_typeET4_jRbjT5_S1B_jjP12ihipStream_tbEUljE_EEESW_SX_SY_S15_S19_S1B_T6_T7_T9_mT8_S1D_bDpT10_ENKUlT_T0_E_clISt17integral_constantIbLb0EES1P_IbLb1EEEEDaS1L_S1M_EUlS1L_E_NS1_11comp_targetILNS1_3genE10ELNS1_11target_archE1200ELNS1_3gpuE4ELNS1_3repE0EEENS1_30default_config_static_selectorELNS0_4arch9wavefront6targetE0EEEvSZ_ ; -- Begin function _ZN7rocprim17ROCPRIM_400000_NS6detail17trampoline_kernelINS0_13select_configILj256ELj13ELNS0_17block_load_methodE3ELS4_3ELS4_3ELNS0_20block_scan_algorithmE0ELj4294967295EEENS1_25partition_config_selectorILNS1_17partition_subalgoE3EjNS0_10empty_typeEbEEZZNS1_14partition_implILS8_3ELb0ES6_jNS0_17counting_iteratorIjlEEPS9_SE_NS0_5tupleIJPjSE_EEENSF_IJSE_SE_EEES9_SG_JZNS1_25segmented_radix_sort_implINS0_14default_configELb0EPK6__halfPSL_PKlPlN2at6native12_GLOBAL__N_18offset_tEEE10hipError_tPvRmT1_PNSt15iterator_traitsISZ_E10value_typeET2_T3_PNS10_IS15_E10value_typeET4_jRbjT5_S1B_jjP12ihipStream_tbEUljE_EEESW_SX_SY_S15_S19_S1B_T6_T7_T9_mT8_S1D_bDpT10_ENKUlT_T0_E_clISt17integral_constantIbLb0EES1P_IbLb1EEEEDaS1L_S1M_EUlS1L_E_NS1_11comp_targetILNS1_3genE10ELNS1_11target_archE1200ELNS1_3gpuE4ELNS1_3repE0EEENS1_30default_config_static_selectorELNS0_4arch9wavefront6targetE0EEEvSZ_
	.p2align	8
	.type	_ZN7rocprim17ROCPRIM_400000_NS6detail17trampoline_kernelINS0_13select_configILj256ELj13ELNS0_17block_load_methodE3ELS4_3ELS4_3ELNS0_20block_scan_algorithmE0ELj4294967295EEENS1_25partition_config_selectorILNS1_17partition_subalgoE3EjNS0_10empty_typeEbEEZZNS1_14partition_implILS8_3ELb0ES6_jNS0_17counting_iteratorIjlEEPS9_SE_NS0_5tupleIJPjSE_EEENSF_IJSE_SE_EEES9_SG_JZNS1_25segmented_radix_sort_implINS0_14default_configELb0EPK6__halfPSL_PKlPlN2at6native12_GLOBAL__N_18offset_tEEE10hipError_tPvRmT1_PNSt15iterator_traitsISZ_E10value_typeET2_T3_PNS10_IS15_E10value_typeET4_jRbjT5_S1B_jjP12ihipStream_tbEUljE_EEESW_SX_SY_S15_S19_S1B_T6_T7_T9_mT8_S1D_bDpT10_ENKUlT_T0_E_clISt17integral_constantIbLb0EES1P_IbLb1EEEEDaS1L_S1M_EUlS1L_E_NS1_11comp_targetILNS1_3genE10ELNS1_11target_archE1200ELNS1_3gpuE4ELNS1_3repE0EEENS1_30default_config_static_selectorELNS0_4arch9wavefront6targetE0EEEvSZ_,@function
_ZN7rocprim17ROCPRIM_400000_NS6detail17trampoline_kernelINS0_13select_configILj256ELj13ELNS0_17block_load_methodE3ELS4_3ELS4_3ELNS0_20block_scan_algorithmE0ELj4294967295EEENS1_25partition_config_selectorILNS1_17partition_subalgoE3EjNS0_10empty_typeEbEEZZNS1_14partition_implILS8_3ELb0ES6_jNS0_17counting_iteratorIjlEEPS9_SE_NS0_5tupleIJPjSE_EEENSF_IJSE_SE_EEES9_SG_JZNS1_25segmented_radix_sort_implINS0_14default_configELb0EPK6__halfPSL_PKlPlN2at6native12_GLOBAL__N_18offset_tEEE10hipError_tPvRmT1_PNSt15iterator_traitsISZ_E10value_typeET2_T3_PNS10_IS15_E10value_typeET4_jRbjT5_S1B_jjP12ihipStream_tbEUljE_EEESW_SX_SY_S15_S19_S1B_T6_T7_T9_mT8_S1D_bDpT10_ENKUlT_T0_E_clISt17integral_constantIbLb0EES1P_IbLb1EEEEDaS1L_S1M_EUlS1L_E_NS1_11comp_targetILNS1_3genE10ELNS1_11target_archE1200ELNS1_3gpuE4ELNS1_3repE0EEENS1_30default_config_static_selectorELNS0_4arch9wavefront6targetE0EEEvSZ_: ; @_ZN7rocprim17ROCPRIM_400000_NS6detail17trampoline_kernelINS0_13select_configILj256ELj13ELNS0_17block_load_methodE3ELS4_3ELS4_3ELNS0_20block_scan_algorithmE0ELj4294967295EEENS1_25partition_config_selectorILNS1_17partition_subalgoE3EjNS0_10empty_typeEbEEZZNS1_14partition_implILS8_3ELb0ES6_jNS0_17counting_iteratorIjlEEPS9_SE_NS0_5tupleIJPjSE_EEENSF_IJSE_SE_EEES9_SG_JZNS1_25segmented_radix_sort_implINS0_14default_configELb0EPK6__halfPSL_PKlPlN2at6native12_GLOBAL__N_18offset_tEEE10hipError_tPvRmT1_PNSt15iterator_traitsISZ_E10value_typeET2_T3_PNS10_IS15_E10value_typeET4_jRbjT5_S1B_jjP12ihipStream_tbEUljE_EEESW_SX_SY_S15_S19_S1B_T6_T7_T9_mT8_S1D_bDpT10_ENKUlT_T0_E_clISt17integral_constantIbLb0EES1P_IbLb1EEEEDaS1L_S1M_EUlS1L_E_NS1_11comp_targetILNS1_3genE10ELNS1_11target_archE1200ELNS1_3gpuE4ELNS1_3repE0EEENS1_30default_config_static_selectorELNS0_4arch9wavefront6targetE0EEEvSZ_
; %bb.0:
	.section	.rodata,"a",@progbits
	.p2align	6, 0x0
	.amdhsa_kernel _ZN7rocprim17ROCPRIM_400000_NS6detail17trampoline_kernelINS0_13select_configILj256ELj13ELNS0_17block_load_methodE3ELS4_3ELS4_3ELNS0_20block_scan_algorithmE0ELj4294967295EEENS1_25partition_config_selectorILNS1_17partition_subalgoE3EjNS0_10empty_typeEbEEZZNS1_14partition_implILS8_3ELb0ES6_jNS0_17counting_iteratorIjlEEPS9_SE_NS0_5tupleIJPjSE_EEENSF_IJSE_SE_EEES9_SG_JZNS1_25segmented_radix_sort_implINS0_14default_configELb0EPK6__halfPSL_PKlPlN2at6native12_GLOBAL__N_18offset_tEEE10hipError_tPvRmT1_PNSt15iterator_traitsISZ_E10value_typeET2_T3_PNS10_IS15_E10value_typeET4_jRbjT5_S1B_jjP12ihipStream_tbEUljE_EEESW_SX_SY_S15_S19_S1B_T6_T7_T9_mT8_S1D_bDpT10_ENKUlT_T0_E_clISt17integral_constantIbLb0EES1P_IbLb1EEEEDaS1L_S1M_EUlS1L_E_NS1_11comp_targetILNS1_3genE10ELNS1_11target_archE1200ELNS1_3gpuE4ELNS1_3repE0EEENS1_30default_config_static_selectorELNS0_4arch9wavefront6targetE0EEEvSZ_
		.amdhsa_group_segment_fixed_size 0
		.amdhsa_private_segment_fixed_size 0
		.amdhsa_kernarg_size 152
		.amdhsa_user_sgpr_count 15
		.amdhsa_user_sgpr_dispatch_ptr 0
		.amdhsa_user_sgpr_queue_ptr 0
		.amdhsa_user_sgpr_kernarg_segment_ptr 1
		.amdhsa_user_sgpr_dispatch_id 0
		.amdhsa_user_sgpr_private_segment_size 0
		.amdhsa_wavefront_size32 1
		.amdhsa_uses_dynamic_stack 0
		.amdhsa_enable_private_segment 0
		.amdhsa_system_sgpr_workgroup_id_x 1
		.amdhsa_system_sgpr_workgroup_id_y 0
		.amdhsa_system_sgpr_workgroup_id_z 0
		.amdhsa_system_sgpr_workgroup_info 0
		.amdhsa_system_vgpr_workitem_id 0
		.amdhsa_next_free_vgpr 1
		.amdhsa_next_free_sgpr 1
		.amdhsa_reserve_vcc 0
		.amdhsa_float_round_mode_32 0
		.amdhsa_float_round_mode_16_64 0
		.amdhsa_float_denorm_mode_32 3
		.amdhsa_float_denorm_mode_16_64 3
		.amdhsa_dx10_clamp 1
		.amdhsa_ieee_mode 1
		.amdhsa_fp16_overflow 0
		.amdhsa_workgroup_processor_mode 1
		.amdhsa_memory_ordered 1
		.amdhsa_forward_progress 0
		.amdhsa_shared_vgpr_count 0
		.amdhsa_exception_fp_ieee_invalid_op 0
		.amdhsa_exception_fp_denorm_src 0
		.amdhsa_exception_fp_ieee_div_zero 0
		.amdhsa_exception_fp_ieee_overflow 0
		.amdhsa_exception_fp_ieee_underflow 0
		.amdhsa_exception_fp_ieee_inexact 0
		.amdhsa_exception_int_div_zero 0
	.end_amdhsa_kernel
	.section	.text._ZN7rocprim17ROCPRIM_400000_NS6detail17trampoline_kernelINS0_13select_configILj256ELj13ELNS0_17block_load_methodE3ELS4_3ELS4_3ELNS0_20block_scan_algorithmE0ELj4294967295EEENS1_25partition_config_selectorILNS1_17partition_subalgoE3EjNS0_10empty_typeEbEEZZNS1_14partition_implILS8_3ELb0ES6_jNS0_17counting_iteratorIjlEEPS9_SE_NS0_5tupleIJPjSE_EEENSF_IJSE_SE_EEES9_SG_JZNS1_25segmented_radix_sort_implINS0_14default_configELb0EPK6__halfPSL_PKlPlN2at6native12_GLOBAL__N_18offset_tEEE10hipError_tPvRmT1_PNSt15iterator_traitsISZ_E10value_typeET2_T3_PNS10_IS15_E10value_typeET4_jRbjT5_S1B_jjP12ihipStream_tbEUljE_EEESW_SX_SY_S15_S19_S1B_T6_T7_T9_mT8_S1D_bDpT10_ENKUlT_T0_E_clISt17integral_constantIbLb0EES1P_IbLb1EEEEDaS1L_S1M_EUlS1L_E_NS1_11comp_targetILNS1_3genE10ELNS1_11target_archE1200ELNS1_3gpuE4ELNS1_3repE0EEENS1_30default_config_static_selectorELNS0_4arch9wavefront6targetE0EEEvSZ_,"axG",@progbits,_ZN7rocprim17ROCPRIM_400000_NS6detail17trampoline_kernelINS0_13select_configILj256ELj13ELNS0_17block_load_methodE3ELS4_3ELS4_3ELNS0_20block_scan_algorithmE0ELj4294967295EEENS1_25partition_config_selectorILNS1_17partition_subalgoE3EjNS0_10empty_typeEbEEZZNS1_14partition_implILS8_3ELb0ES6_jNS0_17counting_iteratorIjlEEPS9_SE_NS0_5tupleIJPjSE_EEENSF_IJSE_SE_EEES9_SG_JZNS1_25segmented_radix_sort_implINS0_14default_configELb0EPK6__halfPSL_PKlPlN2at6native12_GLOBAL__N_18offset_tEEE10hipError_tPvRmT1_PNSt15iterator_traitsISZ_E10value_typeET2_T3_PNS10_IS15_E10value_typeET4_jRbjT5_S1B_jjP12ihipStream_tbEUljE_EEESW_SX_SY_S15_S19_S1B_T6_T7_T9_mT8_S1D_bDpT10_ENKUlT_T0_E_clISt17integral_constantIbLb0EES1P_IbLb1EEEEDaS1L_S1M_EUlS1L_E_NS1_11comp_targetILNS1_3genE10ELNS1_11target_archE1200ELNS1_3gpuE4ELNS1_3repE0EEENS1_30default_config_static_selectorELNS0_4arch9wavefront6targetE0EEEvSZ_,comdat
.Lfunc_end1839:
	.size	_ZN7rocprim17ROCPRIM_400000_NS6detail17trampoline_kernelINS0_13select_configILj256ELj13ELNS0_17block_load_methodE3ELS4_3ELS4_3ELNS0_20block_scan_algorithmE0ELj4294967295EEENS1_25partition_config_selectorILNS1_17partition_subalgoE3EjNS0_10empty_typeEbEEZZNS1_14partition_implILS8_3ELb0ES6_jNS0_17counting_iteratorIjlEEPS9_SE_NS0_5tupleIJPjSE_EEENSF_IJSE_SE_EEES9_SG_JZNS1_25segmented_radix_sort_implINS0_14default_configELb0EPK6__halfPSL_PKlPlN2at6native12_GLOBAL__N_18offset_tEEE10hipError_tPvRmT1_PNSt15iterator_traitsISZ_E10value_typeET2_T3_PNS10_IS15_E10value_typeET4_jRbjT5_S1B_jjP12ihipStream_tbEUljE_EEESW_SX_SY_S15_S19_S1B_T6_T7_T9_mT8_S1D_bDpT10_ENKUlT_T0_E_clISt17integral_constantIbLb0EES1P_IbLb1EEEEDaS1L_S1M_EUlS1L_E_NS1_11comp_targetILNS1_3genE10ELNS1_11target_archE1200ELNS1_3gpuE4ELNS1_3repE0EEENS1_30default_config_static_selectorELNS0_4arch9wavefront6targetE0EEEvSZ_, .Lfunc_end1839-_ZN7rocprim17ROCPRIM_400000_NS6detail17trampoline_kernelINS0_13select_configILj256ELj13ELNS0_17block_load_methodE3ELS4_3ELS4_3ELNS0_20block_scan_algorithmE0ELj4294967295EEENS1_25partition_config_selectorILNS1_17partition_subalgoE3EjNS0_10empty_typeEbEEZZNS1_14partition_implILS8_3ELb0ES6_jNS0_17counting_iteratorIjlEEPS9_SE_NS0_5tupleIJPjSE_EEENSF_IJSE_SE_EEES9_SG_JZNS1_25segmented_radix_sort_implINS0_14default_configELb0EPK6__halfPSL_PKlPlN2at6native12_GLOBAL__N_18offset_tEEE10hipError_tPvRmT1_PNSt15iterator_traitsISZ_E10value_typeET2_T3_PNS10_IS15_E10value_typeET4_jRbjT5_S1B_jjP12ihipStream_tbEUljE_EEESW_SX_SY_S15_S19_S1B_T6_T7_T9_mT8_S1D_bDpT10_ENKUlT_T0_E_clISt17integral_constantIbLb0EES1P_IbLb1EEEEDaS1L_S1M_EUlS1L_E_NS1_11comp_targetILNS1_3genE10ELNS1_11target_archE1200ELNS1_3gpuE4ELNS1_3repE0EEENS1_30default_config_static_selectorELNS0_4arch9wavefront6targetE0EEEvSZ_
                                        ; -- End function
	.section	.AMDGPU.csdata,"",@progbits
; Kernel info:
; codeLenInByte = 0
; NumSgprs: 0
; NumVgprs: 0
; ScratchSize: 0
; MemoryBound: 0
; FloatMode: 240
; IeeeMode: 1
; LDSByteSize: 0 bytes/workgroup (compile time only)
; SGPRBlocks: 0
; VGPRBlocks: 0
; NumSGPRsForWavesPerEU: 1
; NumVGPRsForWavesPerEU: 1
; Occupancy: 16
; WaveLimiterHint : 0
; COMPUTE_PGM_RSRC2:SCRATCH_EN: 0
; COMPUTE_PGM_RSRC2:USER_SGPR: 15
; COMPUTE_PGM_RSRC2:TRAP_HANDLER: 0
; COMPUTE_PGM_RSRC2:TGID_X_EN: 1
; COMPUTE_PGM_RSRC2:TGID_Y_EN: 0
; COMPUTE_PGM_RSRC2:TGID_Z_EN: 0
; COMPUTE_PGM_RSRC2:TIDIG_COMP_CNT: 0
	.section	.text._ZN7rocprim17ROCPRIM_400000_NS6detail17trampoline_kernelINS0_13select_configILj256ELj13ELNS0_17block_load_methodE3ELS4_3ELS4_3ELNS0_20block_scan_algorithmE0ELj4294967295EEENS1_25partition_config_selectorILNS1_17partition_subalgoE3EjNS0_10empty_typeEbEEZZNS1_14partition_implILS8_3ELb0ES6_jNS0_17counting_iteratorIjlEEPS9_SE_NS0_5tupleIJPjSE_EEENSF_IJSE_SE_EEES9_SG_JZNS1_25segmented_radix_sort_implINS0_14default_configELb0EPK6__halfPSL_PKlPlN2at6native12_GLOBAL__N_18offset_tEEE10hipError_tPvRmT1_PNSt15iterator_traitsISZ_E10value_typeET2_T3_PNS10_IS15_E10value_typeET4_jRbjT5_S1B_jjP12ihipStream_tbEUljE_EEESW_SX_SY_S15_S19_S1B_T6_T7_T9_mT8_S1D_bDpT10_ENKUlT_T0_E_clISt17integral_constantIbLb0EES1P_IbLb1EEEEDaS1L_S1M_EUlS1L_E_NS1_11comp_targetILNS1_3genE9ELNS1_11target_archE1100ELNS1_3gpuE3ELNS1_3repE0EEENS1_30default_config_static_selectorELNS0_4arch9wavefront6targetE0EEEvSZ_,"axG",@progbits,_ZN7rocprim17ROCPRIM_400000_NS6detail17trampoline_kernelINS0_13select_configILj256ELj13ELNS0_17block_load_methodE3ELS4_3ELS4_3ELNS0_20block_scan_algorithmE0ELj4294967295EEENS1_25partition_config_selectorILNS1_17partition_subalgoE3EjNS0_10empty_typeEbEEZZNS1_14partition_implILS8_3ELb0ES6_jNS0_17counting_iteratorIjlEEPS9_SE_NS0_5tupleIJPjSE_EEENSF_IJSE_SE_EEES9_SG_JZNS1_25segmented_radix_sort_implINS0_14default_configELb0EPK6__halfPSL_PKlPlN2at6native12_GLOBAL__N_18offset_tEEE10hipError_tPvRmT1_PNSt15iterator_traitsISZ_E10value_typeET2_T3_PNS10_IS15_E10value_typeET4_jRbjT5_S1B_jjP12ihipStream_tbEUljE_EEESW_SX_SY_S15_S19_S1B_T6_T7_T9_mT8_S1D_bDpT10_ENKUlT_T0_E_clISt17integral_constantIbLb0EES1P_IbLb1EEEEDaS1L_S1M_EUlS1L_E_NS1_11comp_targetILNS1_3genE9ELNS1_11target_archE1100ELNS1_3gpuE3ELNS1_3repE0EEENS1_30default_config_static_selectorELNS0_4arch9wavefront6targetE0EEEvSZ_,comdat
	.globl	_ZN7rocprim17ROCPRIM_400000_NS6detail17trampoline_kernelINS0_13select_configILj256ELj13ELNS0_17block_load_methodE3ELS4_3ELS4_3ELNS0_20block_scan_algorithmE0ELj4294967295EEENS1_25partition_config_selectorILNS1_17partition_subalgoE3EjNS0_10empty_typeEbEEZZNS1_14partition_implILS8_3ELb0ES6_jNS0_17counting_iteratorIjlEEPS9_SE_NS0_5tupleIJPjSE_EEENSF_IJSE_SE_EEES9_SG_JZNS1_25segmented_radix_sort_implINS0_14default_configELb0EPK6__halfPSL_PKlPlN2at6native12_GLOBAL__N_18offset_tEEE10hipError_tPvRmT1_PNSt15iterator_traitsISZ_E10value_typeET2_T3_PNS10_IS15_E10value_typeET4_jRbjT5_S1B_jjP12ihipStream_tbEUljE_EEESW_SX_SY_S15_S19_S1B_T6_T7_T9_mT8_S1D_bDpT10_ENKUlT_T0_E_clISt17integral_constantIbLb0EES1P_IbLb1EEEEDaS1L_S1M_EUlS1L_E_NS1_11comp_targetILNS1_3genE9ELNS1_11target_archE1100ELNS1_3gpuE3ELNS1_3repE0EEENS1_30default_config_static_selectorELNS0_4arch9wavefront6targetE0EEEvSZ_ ; -- Begin function _ZN7rocprim17ROCPRIM_400000_NS6detail17trampoline_kernelINS0_13select_configILj256ELj13ELNS0_17block_load_methodE3ELS4_3ELS4_3ELNS0_20block_scan_algorithmE0ELj4294967295EEENS1_25partition_config_selectorILNS1_17partition_subalgoE3EjNS0_10empty_typeEbEEZZNS1_14partition_implILS8_3ELb0ES6_jNS0_17counting_iteratorIjlEEPS9_SE_NS0_5tupleIJPjSE_EEENSF_IJSE_SE_EEES9_SG_JZNS1_25segmented_radix_sort_implINS0_14default_configELb0EPK6__halfPSL_PKlPlN2at6native12_GLOBAL__N_18offset_tEEE10hipError_tPvRmT1_PNSt15iterator_traitsISZ_E10value_typeET2_T3_PNS10_IS15_E10value_typeET4_jRbjT5_S1B_jjP12ihipStream_tbEUljE_EEESW_SX_SY_S15_S19_S1B_T6_T7_T9_mT8_S1D_bDpT10_ENKUlT_T0_E_clISt17integral_constantIbLb0EES1P_IbLb1EEEEDaS1L_S1M_EUlS1L_E_NS1_11comp_targetILNS1_3genE9ELNS1_11target_archE1100ELNS1_3gpuE3ELNS1_3repE0EEENS1_30default_config_static_selectorELNS0_4arch9wavefront6targetE0EEEvSZ_
	.p2align	8
	.type	_ZN7rocprim17ROCPRIM_400000_NS6detail17trampoline_kernelINS0_13select_configILj256ELj13ELNS0_17block_load_methodE3ELS4_3ELS4_3ELNS0_20block_scan_algorithmE0ELj4294967295EEENS1_25partition_config_selectorILNS1_17partition_subalgoE3EjNS0_10empty_typeEbEEZZNS1_14partition_implILS8_3ELb0ES6_jNS0_17counting_iteratorIjlEEPS9_SE_NS0_5tupleIJPjSE_EEENSF_IJSE_SE_EEES9_SG_JZNS1_25segmented_radix_sort_implINS0_14default_configELb0EPK6__halfPSL_PKlPlN2at6native12_GLOBAL__N_18offset_tEEE10hipError_tPvRmT1_PNSt15iterator_traitsISZ_E10value_typeET2_T3_PNS10_IS15_E10value_typeET4_jRbjT5_S1B_jjP12ihipStream_tbEUljE_EEESW_SX_SY_S15_S19_S1B_T6_T7_T9_mT8_S1D_bDpT10_ENKUlT_T0_E_clISt17integral_constantIbLb0EES1P_IbLb1EEEEDaS1L_S1M_EUlS1L_E_NS1_11comp_targetILNS1_3genE9ELNS1_11target_archE1100ELNS1_3gpuE3ELNS1_3repE0EEENS1_30default_config_static_selectorELNS0_4arch9wavefront6targetE0EEEvSZ_,@function
_ZN7rocprim17ROCPRIM_400000_NS6detail17trampoline_kernelINS0_13select_configILj256ELj13ELNS0_17block_load_methodE3ELS4_3ELS4_3ELNS0_20block_scan_algorithmE0ELj4294967295EEENS1_25partition_config_selectorILNS1_17partition_subalgoE3EjNS0_10empty_typeEbEEZZNS1_14partition_implILS8_3ELb0ES6_jNS0_17counting_iteratorIjlEEPS9_SE_NS0_5tupleIJPjSE_EEENSF_IJSE_SE_EEES9_SG_JZNS1_25segmented_radix_sort_implINS0_14default_configELb0EPK6__halfPSL_PKlPlN2at6native12_GLOBAL__N_18offset_tEEE10hipError_tPvRmT1_PNSt15iterator_traitsISZ_E10value_typeET2_T3_PNS10_IS15_E10value_typeET4_jRbjT5_S1B_jjP12ihipStream_tbEUljE_EEESW_SX_SY_S15_S19_S1B_T6_T7_T9_mT8_S1D_bDpT10_ENKUlT_T0_E_clISt17integral_constantIbLb0EES1P_IbLb1EEEEDaS1L_S1M_EUlS1L_E_NS1_11comp_targetILNS1_3genE9ELNS1_11target_archE1100ELNS1_3gpuE3ELNS1_3repE0EEENS1_30default_config_static_selectorELNS0_4arch9wavefront6targetE0EEEvSZ_: ; @_ZN7rocprim17ROCPRIM_400000_NS6detail17trampoline_kernelINS0_13select_configILj256ELj13ELNS0_17block_load_methodE3ELS4_3ELS4_3ELNS0_20block_scan_algorithmE0ELj4294967295EEENS1_25partition_config_selectorILNS1_17partition_subalgoE3EjNS0_10empty_typeEbEEZZNS1_14partition_implILS8_3ELb0ES6_jNS0_17counting_iteratorIjlEEPS9_SE_NS0_5tupleIJPjSE_EEENSF_IJSE_SE_EEES9_SG_JZNS1_25segmented_radix_sort_implINS0_14default_configELb0EPK6__halfPSL_PKlPlN2at6native12_GLOBAL__N_18offset_tEEE10hipError_tPvRmT1_PNSt15iterator_traitsISZ_E10value_typeET2_T3_PNS10_IS15_E10value_typeET4_jRbjT5_S1B_jjP12ihipStream_tbEUljE_EEESW_SX_SY_S15_S19_S1B_T6_T7_T9_mT8_S1D_bDpT10_ENKUlT_T0_E_clISt17integral_constantIbLb0EES1P_IbLb1EEEEDaS1L_S1M_EUlS1L_E_NS1_11comp_targetILNS1_3genE9ELNS1_11target_archE1100ELNS1_3gpuE3ELNS1_3repE0EEENS1_30default_config_static_selectorELNS0_4arch9wavefront6targetE0EEEvSZ_
; %bb.0:
	s_clause 0x6
	s_load_b64 s[16:17], s[0:1], 0x10
	s_load_b64 s[12:13], s[0:1], 0x28
	s_load_b64 s[14:15], s[0:1], 0x58
	s_load_b128 s[8:11], s[0:1], 0x48
	s_load_b32 s3, s[0:1], 0x90
	s_load_b64 s[18:19], s[0:1], 0x68
	s_load_b128 s[4:7], s[0:1], 0x80
	v_cmp_eq_u32_e64 s2, 0, v0
	s_delay_alu instid0(VALU_DEP_1)
	s_and_saveexec_b32 s20, s2
	s_cbranch_execz .LBB1840_4
; %bb.1:
	s_mov_b32 s22, exec_lo
	s_mov_b32 s21, exec_lo
	v_mbcnt_lo_u32_b32 v1, s22, 0
                                        ; implicit-def: $vgpr2
	s_delay_alu instid0(VALU_DEP_1)
	v_cmpx_eq_u32_e32 0, v1
	s_cbranch_execz .LBB1840_3
; %bb.2:
	s_load_b64 s[24:25], s[0:1], 0x78
	s_bcnt1_i32_b32 s22, s22
	s_delay_alu instid0(SALU_CYCLE_1)
	v_dual_mov_b32 v2, 0 :: v_dual_mov_b32 v3, s22
	s_waitcnt lgkmcnt(0)
	global_atomic_add_u32 v2, v2, v3, s[24:25] glc
.LBB1840_3:
	s_or_b32 exec_lo, exec_lo, s21
	s_waitcnt vmcnt(0)
	v_readfirstlane_b32 s21, v2
	s_delay_alu instid0(VALU_DEP_1)
	v_dual_mov_b32 v2, 0 :: v_dual_add_nc_u32 v1, s21, v1
	ds_store_b32 v2, v1
.LBB1840_4:
	s_or_b32 exec_lo, exec_lo, s20
	v_mov_b32_e32 v1, 0
	s_clause 0x1
	s_load_b32 s20, s[0:1], 0x8
	s_load_b32 s0, s[0:1], 0x70
	s_waitcnt lgkmcnt(0)
	s_barrier
	buffer_gl0_inv
	ds_load_b32 v2, v1
	s_waitcnt lgkmcnt(0)
	s_barrier
	buffer_gl0_inv
	global_load_b64 v[18:19], v1, s[10:11]
	v_lshlrev_b32_e32 v33, 2, v0
	s_add_i32 s21, s20, s16
	s_mul_i32 s1, s0, 0xd00
	s_add_i32 s0, s0, -1
	s_add_u32 s10, s16, s1
	s_addc_u32 s11, s17, 0
	v_mul_lo_u32 v32, 0xd00, v2
	v_readfirstlane_b32 s20, v2
	v_cmp_lt_u64_e64 s11, s[10:11], s[14:15]
	v_cmp_ne_u32_e32 vcc_lo, s0, v2
	s_delay_alu instid0(VALU_DEP_3) | instskip(SKIP_1) | instid1(VALU_DEP_4)
	s_cmp_eq_u32 s20, s0
	s_cselect_b32 s10, -1, 0
	v_add3_u32 v1, v32, s21, v0
	s_delay_alu instid0(VALU_DEP_3) | instskip(SKIP_2) | instid1(VALU_DEP_1)
	s_or_b32 s0, s11, vcc_lo
	s_mov_b32 s11, -1
	s_and_b32 vcc_lo, exec_lo, s0
	v_add_nc_u32_e32 v2, 0x100, v1
	v_add_nc_u32_e32 v3, 0x200, v1
	;; [unrolled: 1-line block ×12, first 2 shown]
	s_cbranch_vccz .LBB1840_6
; %bb.5:
	ds_store_2addr_stride64_b32 v33, v1, v2 offset1:4
	ds_store_2addr_stride64_b32 v33, v3, v4 offset0:8 offset1:12
	ds_store_2addr_stride64_b32 v33, v5, v6 offset0:16 offset1:20
	;; [unrolled: 1-line block ×5, first 2 shown]
	ds_store_b32 v33, v13 offset:12288
	s_waitcnt vmcnt(0) lgkmcnt(0)
	s_mov_b32 s11, 0
	s_barrier
.LBB1840_6:
	s_and_not1_b32 vcc_lo, exec_lo, s11
	s_add_i32 s1, s1, s16
	s_cbranch_vccnz .LBB1840_8
; %bb.7:
	ds_store_2addr_stride64_b32 v33, v1, v2 offset1:4
	ds_store_2addr_stride64_b32 v33, v3, v4 offset0:8 offset1:12
	ds_store_2addr_stride64_b32 v33, v5, v6 offset0:16 offset1:20
	;; [unrolled: 1-line block ×5, first 2 shown]
	ds_store_b32 v33, v13 offset:12288
	s_waitcnt vmcnt(0) lgkmcnt(0)
	s_barrier
.LBB1840_8:
	v_mul_u32_u24_e32 v36, 13, v0
	s_waitcnt vmcnt(0)
	buffer_gl0_inv
	v_cndmask_b32_e64 v34, 0, 1, s0
	s_sub_i32 s11, s14, s1
	s_and_not1_b32 vcc_lo, exec_lo, s0
	v_lshlrev_b32_e32 v1, 2, v36
	ds_load_2addr_b32 v[30:31], v1 offset1:1
	ds_load_2addr_b32 v[28:29], v1 offset0:2 offset1:3
	ds_load_2addr_b32 v[26:27], v1 offset0:4 offset1:5
	;; [unrolled: 1-line block ×5, first 2 shown]
	ds_load_b32 v35, v1 offset:48
	s_waitcnt lgkmcnt(0)
	s_barrier
	buffer_gl0_inv
	s_cbranch_vccnz .LBB1840_10
; %bb.9:
	v_add_nc_u32_e32 v1, s5, v30
	v_add_nc_u32_e32 v2, s7, v30
	;; [unrolled: 1-line block ×5, first 2 shown]
	v_mul_lo_u32 v1, v1, s4
	v_mul_lo_u32 v2, v2, s6
	;; [unrolled: 1-line block ×4, first 2 shown]
	v_add_nc_u32_e32 v6, s7, v28
	v_add_nc_u32_e32 v7, s5, v29
	v_add_nc_u32_e32 v8, s7, v29
	v_mul_lo_u32 v5, v5, s4
	v_add_nc_u32_e32 v9, s5, v24
	v_sub_nc_u32_e32 v1, v1, v2
	v_mul_lo_u32 v2, v6, s6
	v_sub_nc_u32_e32 v3, v3, v4
	v_mul_lo_u32 v4, v7, s4
	v_mul_lo_u32 v6, v8, s6
	v_add_nc_u32_e32 v7, s5, v26
	v_cmp_lt_u32_e32 vcc_lo, s3, v1
	v_add_nc_u32_e32 v8, s5, v27
	v_add_nc_u32_e32 v10, s7, v24
	v_sub_nc_u32_e32 v2, v5, v2
	v_add_nc_u32_e32 v5, s7, v26
	v_cndmask_b32_e64 v1, 0, 1, vcc_lo
	v_sub_nc_u32_e32 v4, v4, v6
	v_mul_lo_u32 v6, v7, s4
	v_add_nc_u32_e32 v7, s7, v27
	v_cmp_lt_u32_e32 vcc_lo, s3, v3
	v_mul_lo_u32 v5, v5, s6
	v_mul_lo_u32 v8, v8, s4
	;; [unrolled: 1-line block ×4, first 2 shown]
	v_cndmask_b32_e64 v3, 0, 1, vcc_lo
	v_cmp_lt_u32_e32 vcc_lo, s3, v2
	v_mul_lo_u32 v10, v10, s6
	v_add_nc_u32_e32 v11, s5, v22
	v_sub_nc_u32_e32 v5, v6, v5
	v_add_nc_u32_e32 v12, s7, v22
	v_cndmask_b32_e64 v2, 0, 1, vcc_lo
	v_sub_nc_u32_e32 v6, v8, v7
	v_add_nc_u32_e32 v7, s5, v25
	v_add_nc_u32_e32 v8, s7, v25
	v_cmp_lt_u32_e32 vcc_lo, s3, v4
	v_sub_nc_u32_e32 v9, v9, v10
	v_mul_lo_u32 v10, v11, s4
	v_mul_lo_u32 v7, v7, s4
	;; [unrolled: 1-line block ×4, first 2 shown]
	v_cndmask_b32_e64 v4, 0, 1, vcc_lo
	v_cmp_lt_u32_e32 vcc_lo, s3, v5
	v_add_nc_u32_e32 v12, s5, v23
	v_add_nc_u32_e32 v13, s7, v20
	;; [unrolled: 1-line block ×4, first 2 shown]
	v_cndmask_b32_e64 v5, 0, 1, vcc_lo
	v_cmp_lt_u32_e32 vcc_lo, s3, v6
	v_sub_nc_u32_e32 v7, v7, v8
	v_sub_nc_u32_e32 v8, v10, v11
	v_add_nc_u32_e32 v11, s7, v23
	v_mul_lo_u32 v10, v12, s4
	v_cndmask_b32_e64 v6, 0, 1, vcc_lo
	v_cmp_lt_u32_e32 vcc_lo, s3, v9
	v_add_nc_u32_e32 v12, s5, v20
	v_mul_lo_u32 v11, v11, s6
	v_mul_lo_u32 v13, v13, s6
	;; [unrolled: 1-line block ×3, first 2 shown]
	v_cndmask_b32_e64 v9, 0, 1, vcc_lo
	v_cmp_lt_u32_e32 vcc_lo, s3, v7
	v_mul_lo_u32 v12, v12, s4
	v_mul_lo_u32 v15, v15, s6
	v_lshlrev_b16 v3, 8, v3
	v_sub_nc_u32_e32 v10, v10, v11
	v_cndmask_b32_e64 v7, 0, 1, vcc_lo
	v_cmp_lt_u32_e32 vcc_lo, s3, v8
	v_add_nc_u32_e32 v11, s5, v35
	v_or_b32_e32 v1, v1, v3
	v_sub_nc_u32_e32 v12, v12, v13
	v_sub_nc_u32_e32 v13, v14, v15
	v_cndmask_b32_e64 v8, 0, 1, vcc_lo
	v_cmp_lt_u32_e32 vcc_lo, s3, v10
	v_add_nc_u32_e32 v16, s7, v35
	v_mul_lo_u32 v11, v11, s4
	v_lshlrev_b16 v4, 8, v4
	v_lshlrev_b16 v6, 8, v6
	v_cndmask_b32_e64 v10, 0, 1, vcc_lo
	v_cmp_lt_u32_e32 vcc_lo, s3, v12
	v_mul_lo_u32 v14, v16, s6
	v_lshlrev_b16 v7, 8, v7
	v_or_b32_e32 v2, v2, v4
	v_lshlrev_b16 v10, 8, v10
	v_cndmask_b32_e64 v3, 0, 1, vcc_lo
	v_cmp_lt_u32_e32 vcc_lo, s3, v13
	v_or_b32_e32 v4, v5, v6
	v_or_b32_e32 v5, v9, v7
	v_sub_nc_u32_e32 v11, v11, v14
	v_or_b32_e32 v6, v8, v10
	v_cndmask_b32_e64 v12, 0, 1, vcc_lo
	v_and_b32_e32 v1, 0xffff, v1
	v_lshlrev_b32_e32 v2, 16, v2
	v_and_b32_e32 v4, 0xffff, v4
	v_lshlrev_b32_e32 v5, 16, v5
	v_lshlrev_b16 v12, 8, v12
	v_and_b32_e32 v6, 0xffff, v6
	v_cmp_lt_u32_e32 vcc_lo, s3, v11
	v_or_b32_e32 v42, v1, v2
	v_or_b32_e32 v40, v4, v5
	v_or_b32_e32 v3, v3, v12
	v_cndmask_b32_e64 v37, 0, 1, vcc_lo
	s_delay_alu instid0(VALU_DEP_2) | instskip(NEXT) | instid1(VALU_DEP_1)
	v_lshlrev_b32_e32 v3, 16, v3
	v_or_b32_e32 v38, v6, v3
	s_addk_i32 s11, 0xd00
	s_cbranch_execz .LBB1840_11
	s_branch .LBB1840_38
.LBB1840_10:
                                        ; implicit-def: $vgpr37
                                        ; implicit-def: $vgpr38
                                        ; implicit-def: $vgpr40
                                        ; implicit-def: $vgpr42
	s_addk_i32 s11, 0xd00
.LBB1840_11:
	v_dual_mov_b32 v2, 0 :: v_dual_mov_b32 v1, 0
	s_mov_b32 s0, exec_lo
	v_cmpx_gt_u32_e64 s11, v36
; %bb.12:
	v_add_nc_u32_e32 v1, s5, v30
	v_add_nc_u32_e32 v3, s7, v30
	s_delay_alu instid0(VALU_DEP_2) | instskip(NEXT) | instid1(VALU_DEP_2)
	v_mul_lo_u32 v1, v1, s4
	v_mul_lo_u32 v3, v3, s6
	s_delay_alu instid0(VALU_DEP_1) | instskip(NEXT) | instid1(VALU_DEP_1)
	v_sub_nc_u32_e32 v1, v1, v3
	v_cmp_lt_u32_e32 vcc_lo, s3, v1
	v_cndmask_b32_e64 v1, 0, 1, vcc_lo
; %bb.13:
	s_or_b32 exec_lo, exec_lo, s0
	v_add_nc_u32_e32 v3, 1, v36
	s_mov_b32 s0, exec_lo
	s_delay_alu instid0(VALU_DEP_1)
	v_cmpx_gt_u32_e64 s11, v3
; %bb.14:
	v_add_nc_u32_e32 v2, s5, v31
	v_add_nc_u32_e32 v3, s7, v31
	s_delay_alu instid0(VALU_DEP_2) | instskip(NEXT) | instid1(VALU_DEP_2)
	v_mul_lo_u32 v2, v2, s4
	v_mul_lo_u32 v3, v3, s6
	s_delay_alu instid0(VALU_DEP_1) | instskip(NEXT) | instid1(VALU_DEP_1)
	v_sub_nc_u32_e32 v2, v2, v3
	v_cmp_lt_u32_e32 vcc_lo, s3, v2
	v_cndmask_b32_e64 v2, 0, 1, vcc_lo
; %bb.15:
	s_or_b32 exec_lo, exec_lo, s0
	v_dual_mov_b32 v4, 0 :: v_dual_add_nc_u32 v3, 2, v36
	s_delay_alu instid0(VALU_DEP_1)
	v_cmp_gt_u32_e32 vcc_lo, s11, v3
	v_mov_b32_e32 v3, 0
	s_and_saveexec_b32 s0, vcc_lo
; %bb.16:
	v_add_nc_u32_e32 v3, s5, v28
	v_add_nc_u32_e32 v5, s7, v28
	s_delay_alu instid0(VALU_DEP_2) | instskip(NEXT) | instid1(VALU_DEP_2)
	v_mul_lo_u32 v3, v3, s4
	v_mul_lo_u32 v5, v5, s6
	s_delay_alu instid0(VALU_DEP_1) | instskip(NEXT) | instid1(VALU_DEP_1)
	v_sub_nc_u32_e32 v3, v3, v5
	v_cmp_lt_u32_e32 vcc_lo, s3, v3
	v_cndmask_b32_e64 v3, 0, 1, vcc_lo
; %bb.17:
	s_or_b32 exec_lo, exec_lo, s0
	v_add_nc_u32_e32 v5, 3, v36
	s_mov_b32 s0, exec_lo
	s_delay_alu instid0(VALU_DEP_1)
	v_cmpx_gt_u32_e64 s11, v5
; %bb.18:
	v_add_nc_u32_e32 v4, s5, v29
	v_add_nc_u32_e32 v5, s7, v29
	s_delay_alu instid0(VALU_DEP_2) | instskip(NEXT) | instid1(VALU_DEP_2)
	v_mul_lo_u32 v4, v4, s4
	v_mul_lo_u32 v5, v5, s6
	s_delay_alu instid0(VALU_DEP_1) | instskip(NEXT) | instid1(VALU_DEP_1)
	v_sub_nc_u32_e32 v4, v4, v5
	v_cmp_lt_u32_e32 vcc_lo, s3, v4
	v_cndmask_b32_e64 v4, 0, 1, vcc_lo
; %bb.19:
	s_or_b32 exec_lo, exec_lo, s0
	v_dual_mov_b32 v6, 0 :: v_dual_add_nc_u32 v5, 4, v36
	s_delay_alu instid0(VALU_DEP_1)
	v_cmp_gt_u32_e32 vcc_lo, s11, v5
	v_mov_b32_e32 v5, 0
	s_and_saveexec_b32 s0, vcc_lo
	;; [unrolled: 33-line block ×5, first 2 shown]
; %bb.32:
	v_add_nc_u32_e32 v11, s5, v20
	v_add_nc_u32_e32 v13, s7, v20
	s_delay_alu instid0(VALU_DEP_2) | instskip(NEXT) | instid1(VALU_DEP_2)
	v_mul_lo_u32 v11, v11, s4
	v_mul_lo_u32 v13, v13, s6
	s_delay_alu instid0(VALU_DEP_1) | instskip(NEXT) | instid1(VALU_DEP_1)
	v_sub_nc_u32_e32 v11, v11, v13
	v_cmp_lt_u32_e32 vcc_lo, s3, v11
	v_cndmask_b32_e64 v11, 0, 1, vcc_lo
; %bb.33:
	s_or_b32 exec_lo, exec_lo, s0
	v_add_nc_u32_e32 v13, 11, v36
	s_mov_b32 s0, exec_lo
	s_delay_alu instid0(VALU_DEP_1)
	v_cmpx_gt_u32_e64 s11, v13
; %bb.34:
	v_add_nc_u32_e32 v12, s5, v21
	v_add_nc_u32_e32 v13, s7, v21
	s_delay_alu instid0(VALU_DEP_2) | instskip(NEXT) | instid1(VALU_DEP_2)
	v_mul_lo_u32 v12, v12, s4
	v_mul_lo_u32 v13, v13, s6
	s_delay_alu instid0(VALU_DEP_1) | instskip(NEXT) | instid1(VALU_DEP_1)
	v_sub_nc_u32_e32 v12, v12, v13
	v_cmp_lt_u32_e32 vcc_lo, s3, v12
	v_cndmask_b32_e64 v12, 0, 1, vcc_lo
; %bb.35:
	s_or_b32 exec_lo, exec_lo, s0
	v_add_nc_u32_e32 v13, 12, v36
	v_mov_b32_e32 v37, 0
	s_mov_b32 s0, exec_lo
	s_delay_alu instid0(VALU_DEP_2)
	v_cmpx_gt_u32_e64 s11, v13
; %bb.36:
	v_add_nc_u32_e32 v13, s5, v35
	v_add_nc_u32_e32 v14, s7, v35
	s_delay_alu instid0(VALU_DEP_2) | instskip(NEXT) | instid1(VALU_DEP_2)
	v_mul_lo_u32 v13, v13, s4
	v_mul_lo_u32 v14, v14, s6
	s_delay_alu instid0(VALU_DEP_1) | instskip(NEXT) | instid1(VALU_DEP_1)
	v_sub_nc_u32_e32 v13, v13, v14
	v_cmp_lt_u32_e32 vcc_lo, s3, v13
	v_cndmask_b32_e64 v37, 0, 1, vcc_lo
; %bb.37:
	s_or_b32 exec_lo, exec_lo, s0
	v_lshlrev_b16 v2, 8, v2
	v_lshlrev_b16 v4, 8, v4
	;; [unrolled: 1-line block ×5, first 2 shown]
	v_or_b32_e32 v1, v1, v2
	v_lshlrev_b16 v2, 8, v12
	v_or_b32_e32 v3, v3, v4
	v_or_b32_e32 v4, v5, v6
	;; [unrolled: 1-line block ×5, first 2 shown]
	v_and_b32_e32 v1, 0xffff, v1
	v_lshlrev_b32_e32 v3, 16, v3
	v_and_b32_e32 v4, 0xffff, v4
	v_lshlrev_b32_e32 v5, 16, v5
	;; [unrolled: 2-line block ×3, first 2 shown]
	v_or_b32_e32 v42, v1, v3
	s_delay_alu instid0(VALU_DEP_4) | instskip(NEXT) | instid1(VALU_DEP_3)
	v_or_b32_e32 v40, v4, v5
	v_or_b32_e32 v38, v6, v2
.LBB1840_38:
	s_delay_alu instid0(VALU_DEP_3)
	v_and_b32_e32 v44, 0xff, v42
	v_bfe_u32 v45, v42, 8, 8
	v_bfe_u32 v46, v42, 16, 8
	v_lshrrev_b32_e32 v43, 24, v42
	v_and_b32_e32 v47, 0xff, v40
	v_bfe_u32 v48, v40, 8, 8
	v_bfe_u32 v49, v40, 16, 8
	v_add3_u32 v1, v45, v44, v46
	v_lshrrev_b32_e32 v41, 24, v40
	v_and_b32_e32 v50, 0xff, v38
	v_bfe_u32 v51, v38, 8, 8
	v_mbcnt_lo_u32_b32 v53, -1, 0
	v_add3_u32 v1, v1, v43, v47
	v_bfe_u32 v52, v38, 16, 8
	v_lshrrev_b32_e32 v39, 24, v38
	v_and_b32_e32 v2, 0xff, v37
	v_and_b32_e32 v3, 15, v53
	v_add3_u32 v1, v1, v48, v49
	v_or_b32_e32 v4, 31, v0
	v_and_b32_e32 v5, 16, v53
	v_lshrrev_b32_e32 v54, 5, v0
	v_cmp_eq_u32_e64 s6, 0, v3
	v_add3_u32 v1, v1, v41, v50
	v_cmp_lt_u32_e64 s5, 1, v3
	v_cmp_lt_u32_e64 s4, 3, v3
	;; [unrolled: 1-line block ×3, first 2 shown]
	v_cmp_eq_u32_e64 s1, 0, v5
	v_add3_u32 v1, v1, v51, v52
	v_cmp_eq_u32_e64 s0, v4, v0
	s_cmp_lg_u32 s20, 0
	s_mov_b32 s7, -1
	s_delay_alu instid0(VALU_DEP_2)
	v_add3_u32 v55, v1, v39, v2
	s_cbranch_scc0 .LBB1840_64
; %bb.39:
	s_delay_alu instid0(VALU_DEP_1) | instskip(NEXT) | instid1(VALU_DEP_1)
	v_mov_b32_dpp v1, v55 row_shr:1 row_mask:0xf bank_mask:0xf
	v_cndmask_b32_e64 v1, v1, 0, s6
	s_delay_alu instid0(VALU_DEP_1) | instskip(NEXT) | instid1(VALU_DEP_1)
	v_add_nc_u32_e32 v1, v1, v55
	v_mov_b32_dpp v2, v1 row_shr:2 row_mask:0xf bank_mask:0xf
	s_delay_alu instid0(VALU_DEP_1) | instskip(NEXT) | instid1(VALU_DEP_1)
	v_cndmask_b32_e64 v2, 0, v2, s5
	v_add_nc_u32_e32 v1, v1, v2
	s_delay_alu instid0(VALU_DEP_1) | instskip(NEXT) | instid1(VALU_DEP_1)
	v_mov_b32_dpp v2, v1 row_shr:4 row_mask:0xf bank_mask:0xf
	v_cndmask_b32_e64 v2, 0, v2, s4
	s_delay_alu instid0(VALU_DEP_1) | instskip(NEXT) | instid1(VALU_DEP_1)
	v_add_nc_u32_e32 v1, v1, v2
	v_mov_b32_dpp v2, v1 row_shr:8 row_mask:0xf bank_mask:0xf
	s_delay_alu instid0(VALU_DEP_1) | instskip(NEXT) | instid1(VALU_DEP_1)
	v_cndmask_b32_e64 v2, 0, v2, s3
	v_add_nc_u32_e32 v1, v1, v2
	ds_swizzle_b32 v2, v1 offset:swizzle(BROADCAST,32,15)
	s_waitcnt lgkmcnt(0)
	v_cndmask_b32_e64 v2, v2, 0, s1
	s_delay_alu instid0(VALU_DEP_1)
	v_add_nc_u32_e32 v1, v1, v2
	s_and_saveexec_b32 s7, s0
	s_cbranch_execz .LBB1840_41
; %bb.40:
	v_lshlrev_b32_e32 v2, 2, v54
	ds_store_b32 v2, v1
.LBB1840_41:
	s_or_b32 exec_lo, exec_lo, s7
	s_delay_alu instid0(SALU_CYCLE_1)
	s_mov_b32 s7, exec_lo
	s_waitcnt lgkmcnt(0)
	s_barrier
	buffer_gl0_inv
	v_cmpx_gt_u32_e32 8, v0
	s_cbranch_execz .LBB1840_43
; %bb.42:
	ds_load_b32 v2, v33
	s_waitcnt lgkmcnt(0)
	v_mov_b32_dpp v4, v2 row_shr:1 row_mask:0xf bank_mask:0xf
	v_and_b32_e32 v3, 7, v53
	s_delay_alu instid0(VALU_DEP_1) | instskip(NEXT) | instid1(VALU_DEP_3)
	v_cmp_ne_u32_e32 vcc_lo, 0, v3
	v_cndmask_b32_e32 v4, 0, v4, vcc_lo
	v_cmp_lt_u32_e32 vcc_lo, 1, v3
	s_delay_alu instid0(VALU_DEP_2) | instskip(NEXT) | instid1(VALU_DEP_1)
	v_add_nc_u32_e32 v2, v4, v2
	v_mov_b32_dpp v4, v2 row_shr:2 row_mask:0xf bank_mask:0xf
	s_delay_alu instid0(VALU_DEP_1) | instskip(SKIP_1) | instid1(VALU_DEP_2)
	v_cndmask_b32_e32 v4, 0, v4, vcc_lo
	v_cmp_lt_u32_e32 vcc_lo, 3, v3
	v_add_nc_u32_e32 v2, v2, v4
	s_delay_alu instid0(VALU_DEP_1) | instskip(NEXT) | instid1(VALU_DEP_1)
	v_mov_b32_dpp v4, v2 row_shr:4 row_mask:0xf bank_mask:0xf
	v_cndmask_b32_e32 v3, 0, v4, vcc_lo
	s_delay_alu instid0(VALU_DEP_1)
	v_add_nc_u32_e32 v2, v2, v3
	ds_store_b32 v33, v2
.LBB1840_43:
	s_or_b32 exec_lo, exec_lo, s7
	v_cmp_gt_u32_e32 vcc_lo, 32, v0
	s_mov_b32 s21, exec_lo
	s_waitcnt lgkmcnt(0)
	s_barrier
	buffer_gl0_inv
                                        ; implicit-def: $vgpr8
	v_cmpx_lt_u32_e32 31, v0
	s_cbranch_execz .LBB1840_45
; %bb.44:
	v_lshl_add_u32 v2, v54, 2, -4
	ds_load_b32 v8, v2
	s_waitcnt lgkmcnt(0)
	v_add_nc_u32_e32 v1, v8, v1
.LBB1840_45:
	s_or_b32 exec_lo, exec_lo, s21
	v_add_nc_u32_e32 v2, -1, v53
	s_delay_alu instid0(VALU_DEP_1) | instskip(NEXT) | instid1(VALU_DEP_1)
	v_cmp_gt_i32_e64 s7, 0, v2
	v_cndmask_b32_e64 v2, v2, v53, s7
	v_cmp_eq_u32_e64 s7, 0, v53
	s_delay_alu instid0(VALU_DEP_2)
	v_lshlrev_b32_e32 v2, 2, v2
	ds_bpermute_b32 v9, v2, v1
	s_and_saveexec_b32 s21, vcc_lo
	s_cbranch_execz .LBB1840_63
; %bb.46:
	v_mov_b32_e32 v4, 0
	ds_load_b32 v1, v4 offset:28
	s_and_saveexec_b32 s22, s7
	s_cbranch_execz .LBB1840_48
; %bb.47:
	s_add_i32 s24, s20, 32
	s_mov_b32 s25, 0
	v_mov_b32_e32 v2, 1
	s_lshl_b64 s[24:25], s[24:25], 3
	s_delay_alu instid0(SALU_CYCLE_1)
	s_add_u32 s24, s18, s24
	s_addc_u32 s25, s19, s25
	s_waitcnt lgkmcnt(0)
	global_store_b64 v4, v[1:2], s[24:25]
.LBB1840_48:
	s_or_b32 exec_lo, exec_lo, s22
	v_xad_u32 v2, v53, -1, s20
	s_mov_b32 s23, 0
	s_mov_b32 s22, exec_lo
	s_delay_alu instid0(VALU_DEP_1) | instskip(NEXT) | instid1(VALU_DEP_1)
	v_add_nc_u32_e32 v3, 32, v2
	v_lshlrev_b64 v[3:4], 3, v[3:4]
	s_delay_alu instid0(VALU_DEP_1) | instskip(NEXT) | instid1(VALU_DEP_2)
	v_add_co_u32 v6, vcc_lo, s18, v3
	v_add_co_ci_u32_e32 v7, vcc_lo, s19, v4, vcc_lo
	global_load_b64 v[4:5], v[6:7], off glc
	s_waitcnt vmcnt(0)
	v_and_b32_e32 v3, 0xff, v5
	s_delay_alu instid0(VALU_DEP_1)
	v_cmpx_eq_u16_e32 0, v3
	s_cbranch_execz .LBB1840_51
.LBB1840_49:                            ; =>This Inner Loop Header: Depth=1
	global_load_b64 v[4:5], v[6:7], off glc
	s_waitcnt vmcnt(0)
	v_and_b32_e32 v3, 0xff, v5
	s_delay_alu instid0(VALU_DEP_1) | instskip(SKIP_1) | instid1(SALU_CYCLE_1)
	v_cmp_ne_u16_e32 vcc_lo, 0, v3
	s_or_b32 s23, vcc_lo, s23
	s_and_not1_b32 exec_lo, exec_lo, s23
	s_cbranch_execnz .LBB1840_49
; %bb.50:
	s_or_b32 exec_lo, exec_lo, s23
.LBB1840_51:
	s_delay_alu instid0(SALU_CYCLE_1)
	s_or_b32 exec_lo, exec_lo, s22
	v_cmp_ne_u32_e32 vcc_lo, 31, v53
	v_lshlrev_b32_e64 v11, v53, -1
	v_add_nc_u32_e32 v13, 2, v53
	v_add_nc_u32_e32 v15, 4, v53
	;; [unrolled: 1-line block ×3, first 2 shown]
	v_add_co_ci_u32_e32 v3, vcc_lo, 0, v53, vcc_lo
	v_add_nc_u32_e32 v58, 16, v53
	s_delay_alu instid0(VALU_DEP_2) | instskip(SKIP_2) | instid1(VALU_DEP_1)
	v_lshlrev_b32_e32 v10, 2, v3
	ds_bpermute_b32 v6, v10, v4
	v_and_b32_e32 v3, 0xff, v5
	v_cmp_eq_u16_e32 vcc_lo, 2, v3
	v_and_or_b32 v3, vcc_lo, v11, 0x80000000
	v_cmp_gt_u32_e32 vcc_lo, 30, v53
	s_delay_alu instid0(VALU_DEP_2) | instskip(SKIP_1) | instid1(VALU_DEP_2)
	v_ctz_i32_b32_e32 v3, v3
	v_cndmask_b32_e64 v7, 0, 1, vcc_lo
	v_cmp_lt_u32_e32 vcc_lo, v53, v3
	s_waitcnt lgkmcnt(0)
	s_delay_alu instid0(VALU_DEP_2) | instskip(NEXT) | instid1(VALU_DEP_1)
	v_dual_cndmask_b32 v6, 0, v6 :: v_dual_lshlrev_b32 v7, 1, v7
	v_add_lshl_u32 v12, v7, v53, 2
	v_cmp_gt_u32_e32 vcc_lo, 28, v53
	s_delay_alu instid0(VALU_DEP_3) | instskip(SKIP_4) | instid1(VALU_DEP_1)
	v_add_nc_u32_e32 v4, v6, v4
	v_cndmask_b32_e64 v7, 0, 1, vcc_lo
	v_cmp_le_u32_e32 vcc_lo, v13, v3
	ds_bpermute_b32 v6, v12, v4
	v_lshlrev_b32_e32 v7, 2, v7
	v_add_lshl_u32 v14, v7, v53, 2
	s_waitcnt lgkmcnt(0)
	v_cndmask_b32_e32 v6, 0, v6, vcc_lo
	v_cmp_gt_u32_e32 vcc_lo, 24, v53
	s_delay_alu instid0(VALU_DEP_2) | instskip(SKIP_4) | instid1(VALU_DEP_1)
	v_add_nc_u32_e32 v4, v4, v6
	v_cndmask_b32_e64 v7, 0, 1, vcc_lo
	v_cmp_le_u32_e32 vcc_lo, v15, v3
	ds_bpermute_b32 v6, v14, v4
	v_lshlrev_b32_e32 v7, 3, v7
	v_add_lshl_u32 v17, v7, v53, 2
	s_waitcnt lgkmcnt(0)
	v_cndmask_b32_e32 v6, 0, v6, vcc_lo
	v_cmp_gt_u32_e32 vcc_lo, 16, v53
	s_delay_alu instid0(VALU_DEP_2) | instskip(SKIP_4) | instid1(VALU_DEP_1)
	v_add_nc_u32_e32 v4, v4, v6
	v_cndmask_b32_e64 v7, 0, 1, vcc_lo
	v_cmp_le_u32_e32 vcc_lo, v56, v3
	ds_bpermute_b32 v6, v17, v4
	v_lshlrev_b32_e32 v7, 4, v7
	v_add_lshl_u32 v57, v7, v53, 2
	s_waitcnt lgkmcnt(0)
	v_cndmask_b32_e32 v6, 0, v6, vcc_lo
	v_cmp_le_u32_e32 vcc_lo, v58, v3
	s_delay_alu instid0(VALU_DEP_2) | instskip(SKIP_3) | instid1(VALU_DEP_1)
	v_add_nc_u32_e32 v4, v4, v6
	ds_bpermute_b32 v6, v57, v4
	s_waitcnt lgkmcnt(0)
	v_cndmask_b32_e32 v3, 0, v6, vcc_lo
	v_dual_mov_b32 v3, 0 :: v_dual_add_nc_u32 v4, v4, v3
	s_branch .LBB1840_53
.LBB1840_52:                            ;   in Loop: Header=BB1840_53 Depth=1
	s_or_b32 exec_lo, exec_lo, s22
	ds_bpermute_b32 v7, v10, v4
	v_and_b32_e32 v6, 0xff, v5
	v_subrev_nc_u32_e32 v2, 32, v2
	s_delay_alu instid0(VALU_DEP_2) | instskip(SKIP_1) | instid1(VALU_DEP_1)
	v_cmp_eq_u16_e32 vcc_lo, 2, v6
	v_and_or_b32 v6, vcc_lo, v11, 0x80000000
	v_ctz_i32_b32_e32 v6, v6
	s_delay_alu instid0(VALU_DEP_1) | instskip(SKIP_3) | instid1(VALU_DEP_2)
	v_cmp_lt_u32_e32 vcc_lo, v53, v6
	s_waitcnt lgkmcnt(0)
	v_cndmask_b32_e32 v7, 0, v7, vcc_lo
	v_cmp_le_u32_e32 vcc_lo, v13, v6
	v_add_nc_u32_e32 v4, v7, v4
	ds_bpermute_b32 v7, v12, v4
	s_waitcnt lgkmcnt(0)
	v_cndmask_b32_e32 v7, 0, v7, vcc_lo
	v_cmp_le_u32_e32 vcc_lo, v15, v6
	s_delay_alu instid0(VALU_DEP_2) | instskip(SKIP_4) | instid1(VALU_DEP_2)
	v_add_nc_u32_e32 v4, v4, v7
	ds_bpermute_b32 v7, v14, v4
	s_waitcnt lgkmcnt(0)
	v_cndmask_b32_e32 v7, 0, v7, vcc_lo
	v_cmp_le_u32_e32 vcc_lo, v56, v6
	v_add_nc_u32_e32 v4, v4, v7
	ds_bpermute_b32 v7, v17, v4
	s_waitcnt lgkmcnt(0)
	v_cndmask_b32_e32 v7, 0, v7, vcc_lo
	v_cmp_le_u32_e32 vcc_lo, v58, v6
	s_delay_alu instid0(VALU_DEP_2) | instskip(SKIP_3) | instid1(VALU_DEP_1)
	v_add_nc_u32_e32 v4, v4, v7
	ds_bpermute_b32 v7, v57, v4
	s_waitcnt lgkmcnt(0)
	v_cndmask_b32_e32 v6, 0, v7, vcc_lo
	v_add3_u32 v4, v6, v16, v4
.LBB1840_53:                            ; =>This Loop Header: Depth=1
                                        ;     Child Loop BB1840_56 Depth 2
	s_delay_alu instid0(VALU_DEP_1) | instskip(NEXT) | instid1(VALU_DEP_1)
	v_dual_mov_b32 v16, v4 :: v_dual_and_b32 v5, 0xff, v5
	v_cmp_ne_u16_e32 vcc_lo, 2, v5
	v_cndmask_b32_e64 v5, 0, 1, vcc_lo
	;;#ASMSTART
	;;#ASMEND
	s_delay_alu instid0(VALU_DEP_1)
	v_cmp_ne_u32_e32 vcc_lo, 0, v5
	s_cmp_lg_u32 vcc_lo, exec_lo
	s_cbranch_scc1 .LBB1840_58
; %bb.54:                               ;   in Loop: Header=BB1840_53 Depth=1
	v_lshlrev_b64 v[4:5], 3, v[2:3]
	s_mov_b32 s22, exec_lo
	s_delay_alu instid0(VALU_DEP_1) | instskip(NEXT) | instid1(VALU_DEP_2)
	v_add_co_u32 v6, vcc_lo, s18, v4
	v_add_co_ci_u32_e32 v7, vcc_lo, s19, v5, vcc_lo
	global_load_b64 v[4:5], v[6:7], off glc
	s_waitcnt vmcnt(0)
	v_and_b32_e32 v59, 0xff, v5
	s_delay_alu instid0(VALU_DEP_1)
	v_cmpx_eq_u16_e32 0, v59
	s_cbranch_execz .LBB1840_52
; %bb.55:                               ;   in Loop: Header=BB1840_53 Depth=1
	s_mov_b32 s23, 0
.LBB1840_56:                            ;   Parent Loop BB1840_53 Depth=1
                                        ; =>  This Inner Loop Header: Depth=2
	global_load_b64 v[4:5], v[6:7], off glc
	s_waitcnt vmcnt(0)
	v_and_b32_e32 v59, 0xff, v5
	s_delay_alu instid0(VALU_DEP_1) | instskip(SKIP_1) | instid1(SALU_CYCLE_1)
	v_cmp_ne_u16_e32 vcc_lo, 0, v59
	s_or_b32 s23, vcc_lo, s23
	s_and_not1_b32 exec_lo, exec_lo, s23
	s_cbranch_execnz .LBB1840_56
; %bb.57:                               ;   in Loop: Header=BB1840_53 Depth=1
	s_or_b32 exec_lo, exec_lo, s23
	s_branch .LBB1840_52
.LBB1840_58:                            ;   in Loop: Header=BB1840_53 Depth=1
                                        ; implicit-def: $vgpr4
                                        ; implicit-def: $vgpr5
	s_cbranch_execz .LBB1840_53
; %bb.59:
	s_and_saveexec_b32 s22, s7
	s_cbranch_execz .LBB1840_61
; %bb.60:
	s_add_i32 s24, s20, 32
	s_mov_b32 s25, 0
	v_dual_mov_b32 v3, 2 :: v_dual_add_nc_u32 v2, v16, v1
	s_lshl_b64 s[24:25], s[24:25], 3
	v_mov_b32_e32 v4, 0
	v_add_nc_u32_e64 v5, 0x3400, 0
	s_add_u32 s24, s18, s24
	s_addc_u32 s25, s19, s25
	global_store_b64 v4, v[2:3], s[24:25]
	ds_store_2addr_b32 v5, v1, v16 offset1:2
.LBB1840_61:
	s_or_b32 exec_lo, exec_lo, s22
	s_delay_alu instid0(SALU_CYCLE_1)
	s_and_b32 exec_lo, exec_lo, s2
	s_cbranch_execz .LBB1840_63
; %bb.62:
	v_mov_b32_e32 v1, 0
	ds_store_b32 v1, v16 offset:28
.LBB1840_63:
	s_or_b32 exec_lo, exec_lo, s21
	v_mov_b32_e32 v1, 0
	s_waitcnt lgkmcnt(0)
	s_waitcnt_vscnt null, 0x0
	s_barrier
	buffer_gl0_inv
	v_cndmask_b32_e64 v2, v9, v8, s7
	ds_load_b32 v1, v1 offset:28
	v_add_nc_u32_e64 v11, 0x3400, 0
	s_waitcnt lgkmcnt(0)
	s_barrier
	v_cndmask_b32_e64 v2, v2, 0, s2
	buffer_gl0_inv
	ds_load_2addr_b32 v[16:17], v11 offset1:2
	v_add_nc_u32_e32 v1, v1, v2
	s_delay_alu instid0(VALU_DEP_1) | instskip(NEXT) | instid1(VALU_DEP_1)
	v_add_nc_u32_e32 v2, v1, v44
	v_add_nc_u32_e32 v3, v2, v45
	s_delay_alu instid0(VALU_DEP_1) | instskip(NEXT) | instid1(VALU_DEP_1)
	v_add_nc_u32_e32 v4, v3, v46
	;; [unrolled: 3-line block ×6, first 2 shown]
	v_add_nc_u32_e32 v13, v12, v39
	s_branch .LBB1840_74
.LBB1840_64:
                                        ; implicit-def: $vgpr17
                                        ; implicit-def: $vgpr1_vgpr2_vgpr3_vgpr4_vgpr5_vgpr6_vgpr7_vgpr8_vgpr9_vgpr10_vgpr11_vgpr12_vgpr13_vgpr14_vgpr15_vgpr16
	s_and_b32 vcc_lo, exec_lo, s7
	s_cbranch_vccz .LBB1840_74
; %bb.65:
	s_delay_alu instid0(VALU_DEP_1) | instskip(NEXT) | instid1(VALU_DEP_1)
	v_mov_b32_dpp v1, v55 row_shr:1 row_mask:0xf bank_mask:0xf
	v_cndmask_b32_e64 v1, v1, 0, s6
	s_delay_alu instid0(VALU_DEP_1) | instskip(NEXT) | instid1(VALU_DEP_1)
	v_add_nc_u32_e32 v1, v1, v55
	v_mov_b32_dpp v2, v1 row_shr:2 row_mask:0xf bank_mask:0xf
	s_delay_alu instid0(VALU_DEP_1) | instskip(NEXT) | instid1(VALU_DEP_1)
	v_cndmask_b32_e64 v2, 0, v2, s5
	v_add_nc_u32_e32 v1, v1, v2
	s_delay_alu instid0(VALU_DEP_1) | instskip(NEXT) | instid1(VALU_DEP_1)
	v_mov_b32_dpp v2, v1 row_shr:4 row_mask:0xf bank_mask:0xf
	v_cndmask_b32_e64 v2, 0, v2, s4
	s_delay_alu instid0(VALU_DEP_1) | instskip(NEXT) | instid1(VALU_DEP_1)
	v_add_nc_u32_e32 v1, v1, v2
	v_mov_b32_dpp v2, v1 row_shr:8 row_mask:0xf bank_mask:0xf
	s_delay_alu instid0(VALU_DEP_1) | instskip(NEXT) | instid1(VALU_DEP_1)
	v_cndmask_b32_e64 v2, 0, v2, s3
	v_add_nc_u32_e32 v1, v1, v2
	ds_swizzle_b32 v2, v1 offset:swizzle(BROADCAST,32,15)
	s_waitcnt lgkmcnt(0)
	v_cndmask_b32_e64 v2, v2, 0, s1
	s_delay_alu instid0(VALU_DEP_1)
	v_add_nc_u32_e32 v1, v1, v2
	s_and_saveexec_b32 s1, s0
	s_cbranch_execz .LBB1840_67
; %bb.66:
	v_lshlrev_b32_e32 v2, 2, v54
	ds_store_b32 v2, v1
.LBB1840_67:
	s_or_b32 exec_lo, exec_lo, s1
	s_delay_alu instid0(SALU_CYCLE_1)
	s_mov_b32 s0, exec_lo
	s_waitcnt lgkmcnt(0)
	s_barrier
	buffer_gl0_inv
	v_cmpx_gt_u32_e32 8, v0
	s_cbranch_execz .LBB1840_69
; %bb.68:
	ds_load_b32 v2, v33
	s_waitcnt lgkmcnt(0)
	v_mov_b32_dpp v4, v2 row_shr:1 row_mask:0xf bank_mask:0xf
	v_and_b32_e32 v3, 7, v53
	s_delay_alu instid0(VALU_DEP_1) | instskip(NEXT) | instid1(VALU_DEP_3)
	v_cmp_ne_u32_e32 vcc_lo, 0, v3
	v_cndmask_b32_e32 v4, 0, v4, vcc_lo
	v_cmp_lt_u32_e32 vcc_lo, 1, v3
	s_delay_alu instid0(VALU_DEP_2) | instskip(NEXT) | instid1(VALU_DEP_1)
	v_add_nc_u32_e32 v2, v4, v2
	v_mov_b32_dpp v4, v2 row_shr:2 row_mask:0xf bank_mask:0xf
	s_delay_alu instid0(VALU_DEP_1) | instskip(SKIP_1) | instid1(VALU_DEP_2)
	v_cndmask_b32_e32 v4, 0, v4, vcc_lo
	v_cmp_lt_u32_e32 vcc_lo, 3, v3
	v_add_nc_u32_e32 v2, v2, v4
	s_delay_alu instid0(VALU_DEP_1) | instskip(NEXT) | instid1(VALU_DEP_1)
	v_mov_b32_dpp v4, v2 row_shr:4 row_mask:0xf bank_mask:0xf
	v_cndmask_b32_e32 v3, 0, v4, vcc_lo
	s_delay_alu instid0(VALU_DEP_1)
	v_add_nc_u32_e32 v2, v2, v3
	ds_store_b32 v33, v2
.LBB1840_69:
	s_or_b32 exec_lo, exec_lo, s0
	v_dual_mov_b32 v3, 0 :: v_dual_mov_b32 v2, 0
	s_mov_b32 s0, exec_lo
	s_waitcnt lgkmcnt(0)
	s_barrier
	buffer_gl0_inv
	v_cmpx_lt_u32_e32 31, v0
	s_cbranch_execz .LBB1840_71
; %bb.70:
	v_lshl_add_u32 v2, v54, 2, -4
	ds_load_b32 v2, v2
.LBB1840_71:
	s_or_b32 exec_lo, exec_lo, s0
	v_add_nc_u32_e32 v4, -1, v53
	s_waitcnt lgkmcnt(0)
	v_add_nc_u32_e32 v1, v2, v1
	ds_load_b32 v16, v3 offset:28
	v_cmp_gt_i32_e32 vcc_lo, 0, v4
	v_cndmask_b32_e32 v4, v4, v53, vcc_lo
	s_delay_alu instid0(VALU_DEP_1)
	v_lshlrev_b32_e32 v4, 2, v4
	ds_bpermute_b32 v1, v4, v1
	s_and_saveexec_b32 s0, s2
	s_cbranch_execz .LBB1840_73
; %bb.72:
	v_mov_b32_e32 v3, 0
	v_mov_b32_e32 v17, 2
	s_waitcnt lgkmcnt(1)
	global_store_b64 v3, v[16:17], s[18:19] offset:256
.LBB1840_73:
	s_or_b32 exec_lo, exec_lo, s0
	v_cmp_eq_u32_e32 vcc_lo, 0, v53
	s_waitcnt lgkmcnt(0)
	s_waitcnt_vscnt null, 0x0
	s_barrier
	buffer_gl0_inv
	v_mov_b32_e32 v17, 0
	v_cndmask_b32_e32 v1, v1, v2, vcc_lo
	s_delay_alu instid0(VALU_DEP_1) | instskip(NEXT) | instid1(VALU_DEP_1)
	v_cndmask_b32_e64 v1, v1, 0, s2
	v_add_nc_u32_e32 v2, v1, v44
	s_delay_alu instid0(VALU_DEP_1) | instskip(NEXT) | instid1(VALU_DEP_1)
	v_add_nc_u32_e32 v3, v2, v45
	v_add_nc_u32_e32 v4, v3, v46
	s_delay_alu instid0(VALU_DEP_1) | instskip(NEXT) | instid1(VALU_DEP_1)
	v_add_nc_u32_e32 v5, v4, v43
	;; [unrolled: 3-line block ×5, first 2 shown]
	v_add_nc_u32_e32 v12, v11, v52
	s_delay_alu instid0(VALU_DEP_1)
	v_add_nc_u32_e32 v13, v12, v39
.LBB1840_74:
	s_waitcnt lgkmcnt(0)
	v_sub_nc_u32_e32 v1, v1, v17
	v_sub_nc_u32_e32 v2, v2, v17
	v_add_nc_u32_e32 v36, v16, v36
	v_lshrrev_b32_e32 v47, 8, v42
	v_lshrrev_b32_e32 v46, 16, v42
	v_sub_nc_u32_e32 v4, v4, v17
	v_sub_nc_u32_e32 v3, v3, v17
	;; [unrolled: 1-line block ×3, first 2 shown]
	v_and_b32_e32 v42, 1, v42
	v_and_b32_e32 v47, 1, v47
	;; [unrolled: 1-line block ×3, first 2 shown]
	v_lshrrev_b32_e32 v45, 8, v40
	v_lshrrev_b32_e32 v44, 16, v40
	v_cmp_eq_u32_e32 vcc_lo, 1, v42
	v_and_b32_e32 v42, 1, v46
	v_sub_nc_u32_e32 v46, v36, v2
	v_lshrrev_b32_e32 v15, 8, v38
	v_lshrrev_b32_e32 v14, 16, v38
	v_cndmask_b32_e32 v1, v48, v1, vcc_lo
	v_cmp_eq_u32_e32 vcc_lo, 1, v47
	v_add_nc_u32_e32 v46, 1, v46
	s_delay_alu instid0(VALU_DEP_3)
	v_lshlrev_b32_e32 v1, 2, v1
	ds_store_b32 v1, v30
	v_cndmask_b32_e32 v1, v46, v2, vcc_lo
	v_sub_nc_u32_e32 v48, v36, v3
	v_sub_nc_u32_e32 v49, v36, v4
	v_cmp_eq_u32_e32 vcc_lo, 1, v42
	v_or_b32_e32 v30, 0x300, v0
	v_lshlrev_b32_e32 v1, 2, v1
	v_add_nc_u32_e32 v48, 2, v48
	v_add_nc_u32_e32 v49, 3, v49
	ds_store_b32 v1, v31
	v_cndmask_b32_e32 v2, v48, v3, vcc_lo
	v_cmp_eq_u32_e32 vcc_lo, 1, v43
	v_or_b32_e32 v31, 0x200, v0
	s_delay_alu instid0(VALU_DEP_3) | instskip(SKIP_2) | instid1(VALU_DEP_3)
	v_dual_cndmask_b32 v3, v49, v4 :: v_dual_lshlrev_b32 v2, 2, v2
	v_sub_nc_u32_e32 v4, v5, v17
	v_sub_nc_u32_e32 v5, v6, v17
	v_lshlrev_b32_e32 v3, 2, v3
	s_delay_alu instid0(VALU_DEP_3) | instskip(NEXT) | instid1(VALU_DEP_3)
	v_sub_nc_u32_e32 v1, v36, v4
	v_sub_nc_u32_e32 v6, v36, v5
	ds_store_b32 v2, v28
	ds_store_b32 v3, v29
	v_and_b32_e32 v2, 1, v40
	v_add_nc_u32_e32 v1, 4, v1
	v_add_nc_u32_e32 v3, 5, v6
	v_sub_nc_u32_e32 v6, v7, v17
	v_and_b32_e32 v7, 1, v45
	v_cmp_eq_u32_e32 vcc_lo, 1, v2
	v_sub_nc_u32_e32 v2, v8, v17
	v_and_b32_e32 v8, 1, v41
	v_or_b32_e32 v29, 0x400, v0
	v_or_b32_e32 v28, 0x500, v0
	v_cndmask_b32_e32 v1, v1, v4, vcc_lo
	v_sub_nc_u32_e32 v4, v36, v6
	v_cmp_eq_u32_e32 vcc_lo, 1, v7
	v_and_b32_e32 v7, 1, v44
	s_delay_alu instid0(VALU_DEP_4) | instskip(NEXT) | instid1(VALU_DEP_4)
	v_lshlrev_b32_e32 v1, 2, v1
	v_dual_cndmask_b32 v3, v3, v5 :: v_dual_add_nc_u32 v4, 6, v4
	v_sub_nc_u32_e32 v5, v36, v2
	s_delay_alu instid0(VALU_DEP_4) | instskip(SKIP_2) | instid1(VALU_DEP_4)
	v_cmp_eq_u32_e32 vcc_lo, 1, v7
	v_sub_nc_u32_e32 v7, v13, v17
	v_add_co_u32 v13, s0, s16, v32
	v_dual_cndmask_b32 v4, v4, v6 :: v_dual_add_nc_u32 v5, 7, v5
	v_cmp_eq_u32_e32 vcc_lo, 1, v8
	v_sub_nc_u32_e32 v6, v9, v17
	v_lshlrev_b32_e32 v3, 2, v3
	ds_store_b32 v1, v26
	ds_store_b32 v3, v27
	v_cndmask_b32_e32 v2, v5, v2, vcc_lo
	v_sub_nc_u32_e32 v1, v36, v6
	v_lshlrev_b32_e32 v3, 2, v4
	v_and_b32_e32 v5, 1, v38
	v_sub_nc_u32_e32 v4, v10, v17
	v_lshlrev_b32_e32 v2, 2, v2
	v_add_nc_u32_e32 v1, 8, v1
	ds_store_b32 v3, v24
	ds_store_b32 v2, v25
	v_cmp_eq_u32_e32 vcc_lo, 1, v5
	v_sub_nc_u32_e32 v3, v11, v17
	v_sub_nc_u32_e32 v2, v36, v4
	;; [unrolled: 1-line block ×3, first 2 shown]
	v_dual_cndmask_b32 v1, v1, v6 :: v_dual_and_b32 v10, 1, v39
	v_and_b32_e32 v6, 1, v15
	v_sub_nc_u32_e32 v8, v36, v3
	v_add_nc_u32_e32 v2, 9, v2
	v_sub_nc_u32_e32 v9, v36, v5
	v_and_b32_e32 v11, 1, v37
	v_cmp_eq_u32_e32 vcc_lo, 1, v6
	v_add_nc_u32_e32 v6, 10, v8
	v_and_b32_e32 v8, 1, v14
	v_add_nc_u32_e32 v9, 11, v9
	v_dual_cndmask_b32 v2, v2, v4 :: v_dual_lshlrev_b32 v1, 2, v1
	v_sub_nc_u32_e32 v4, v36, v7
	s_delay_alu instid0(VALU_DEP_4) | instskip(SKIP_1) | instid1(VALU_DEP_4)
	v_cmp_eq_u32_e32 vcc_lo, 1, v8
	v_add_co_ci_u32_e64 v14, null, s17, 0, s0
	v_lshlrev_b32_e32 v2, 2, v2
	s_delay_alu instid0(VALU_DEP_4)
	v_dual_cndmask_b32 v3, v6, v3 :: v_dual_add_nc_u32 v4, 12, v4
	v_cmp_eq_u32_e32 vcc_lo, 1, v10
	v_or_b32_e32 v27, 0x600, v0
	v_or_b32_e32 v26, 0x700, v0
	v_or_b32_e32 v25, 0x800, v0
	v_lshlrev_b32_e32 v3, 2, v3
	v_cndmask_b32_e32 v5, v9, v5, vcc_lo
	v_cmp_eq_u32_e32 vcc_lo, 1, v11
	v_or_b32_e32 v24, 0x900, v0
	s_delay_alu instid0(VALU_DEP_3) | instskip(SKIP_2) | instid1(VALU_DEP_3)
	v_dual_cndmask_b32 v4, v4, v7 :: v_dual_lshlrev_b32 v5, 2, v5
	v_sub_co_u32 v13, vcc_lo, s14, v13
	v_sub_co_ci_u32_e32 v14, vcc_lo, s15, v14, vcc_lo
	v_lshlrev_b32_e32 v4, 2, v4
	ds_store_b32 v1, v22
	ds_store_b32 v2, v23
	;; [unrolled: 1-line block ×5, first 2 shown]
	s_waitcnt lgkmcnt(0)
	s_barrier
	buffer_gl0_inv
	ds_load_2addr_stride64_b32 v[11:12], v33 offset1:4
	ds_load_2addr_stride64_b32 v[9:10], v33 offset0:8 offset1:12
	ds_load_2addr_stride64_b32 v[7:8], v33 offset0:16 offset1:20
	;; [unrolled: 1-line block ×5, first 2 shown]
	ds_load_b32 v20, v33 offset:12288
	v_add_co_u32 v15, vcc_lo, v18, v17
	v_add_co_ci_u32_e32 v17, vcc_lo, 0, v19, vcc_lo
	v_add_co_u32 v13, vcc_lo, v13, v16
	v_add_co_ci_u32_e32 v14, vcc_lo, 0, v14, vcc_lo
	v_cmp_ne_u32_e32 vcc_lo, 1, v34
	s_delay_alu instid0(VALU_DEP_3)
	v_add_co_u32 v18, s0, v13, v15
	v_or_b32_e32 v35, 0x100, v0
	v_or_b32_e32 v23, 0xa00, v0
	;; [unrolled: 1-line block ×4, first 2 shown]
	v_add_co_ci_u32_e64 v19, s0, v14, v17, s0
	s_mov_b32 s0, 0
	s_cbranch_vccnz .LBB1840_131
; %bb.75:
	s_mov_b32 s0, exec_lo
                                        ; implicit-def: $vgpr13_vgpr14
	v_cmpx_ge_u32_e64 v0, v16
	s_xor_b32 s0, exec_lo, s0
; %bb.76:
	v_not_b32_e32 v13, v0
	s_delay_alu instid0(VALU_DEP_1) | instskip(SKIP_1) | instid1(VALU_DEP_2)
	v_ashrrev_i32_e32 v14, 31, v13
	v_add_co_u32 v13, vcc_lo, v18, v13
	v_add_co_ci_u32_e32 v14, vcc_lo, v19, v14, vcc_lo
; %bb.77:
	s_and_not1_saveexec_b32 s0, s0
; %bb.78:
	v_add_co_u32 v13, vcc_lo, v15, v0
	v_add_co_ci_u32_e32 v14, vcc_lo, 0, v17, vcc_lo
; %bb.79:
	s_or_b32 exec_lo, exec_lo, s0
	s_delay_alu instid0(VALU_DEP_1) | instskip(SKIP_1) | instid1(VALU_DEP_1)
	v_lshlrev_b64 v[13:14], 2, v[13:14]
	s_mov_b32 s0, exec_lo
	v_add_co_u32 v13, vcc_lo, s12, v13
	s_delay_alu instid0(VALU_DEP_2)
	v_add_co_ci_u32_e32 v14, vcc_lo, s13, v14, vcc_lo
	s_waitcnt lgkmcnt(6)
	global_store_b32 v[13:14], v11, off
                                        ; implicit-def: $vgpr13_vgpr14
	v_cmpx_ge_u32_e64 v35, v16
	s_xor_b32 s0, exec_lo, s0
; %bb.80:
	v_xor_b32_e32 v13, 0xfffffeff, v0
	s_delay_alu instid0(VALU_DEP_1) | instskip(SKIP_1) | instid1(VALU_DEP_2)
	v_ashrrev_i32_e32 v14, 31, v13
	v_add_co_u32 v13, vcc_lo, v18, v13
	v_add_co_ci_u32_e32 v14, vcc_lo, v19, v14, vcc_lo
; %bb.81:
	s_and_not1_saveexec_b32 s0, s0
; %bb.82:
	v_add_co_u32 v13, vcc_lo, v15, v35
	v_add_co_ci_u32_e32 v14, vcc_lo, 0, v17, vcc_lo
; %bb.83:
	s_or_b32 exec_lo, exec_lo, s0
	s_delay_alu instid0(VALU_DEP_1) | instskip(SKIP_1) | instid1(VALU_DEP_1)
	v_lshlrev_b64 v[13:14], 2, v[13:14]
	s_mov_b32 s0, exec_lo
	v_add_co_u32 v13, vcc_lo, s12, v13
	s_delay_alu instid0(VALU_DEP_2)
	v_add_co_ci_u32_e32 v14, vcc_lo, s13, v14, vcc_lo
	global_store_b32 v[13:14], v12, off
                                        ; implicit-def: $vgpr13_vgpr14
	v_cmpx_ge_u32_e64 v31, v16
	s_xor_b32 s0, exec_lo, s0
; %bb.84:
	v_xor_b32_e32 v13, 0xfffffdff, v0
	s_delay_alu instid0(VALU_DEP_1) | instskip(SKIP_1) | instid1(VALU_DEP_2)
	v_ashrrev_i32_e32 v14, 31, v13
	v_add_co_u32 v13, vcc_lo, v18, v13
	v_add_co_ci_u32_e32 v14, vcc_lo, v19, v14, vcc_lo
; %bb.85:
	s_and_not1_saveexec_b32 s0, s0
; %bb.86:
	v_add_co_u32 v13, vcc_lo, v15, v31
	v_add_co_ci_u32_e32 v14, vcc_lo, 0, v17, vcc_lo
; %bb.87:
	s_or_b32 exec_lo, exec_lo, s0
	s_delay_alu instid0(VALU_DEP_1) | instskip(SKIP_1) | instid1(VALU_DEP_1)
	v_lshlrev_b64 v[13:14], 2, v[13:14]
	s_mov_b32 s0, exec_lo
	v_add_co_u32 v13, vcc_lo, s12, v13
	s_delay_alu instid0(VALU_DEP_2)
	v_add_co_ci_u32_e32 v14, vcc_lo, s13, v14, vcc_lo
	s_waitcnt lgkmcnt(5)
	global_store_b32 v[13:14], v9, off
                                        ; implicit-def: $vgpr13_vgpr14
	v_cmpx_ge_u32_e64 v30, v16
	s_xor_b32 s0, exec_lo, s0
; %bb.88:
	v_xor_b32_e32 v13, 0xfffffcff, v0
	s_delay_alu instid0(VALU_DEP_1) | instskip(SKIP_1) | instid1(VALU_DEP_2)
	v_ashrrev_i32_e32 v14, 31, v13
	v_add_co_u32 v13, vcc_lo, v18, v13
	v_add_co_ci_u32_e32 v14, vcc_lo, v19, v14, vcc_lo
; %bb.89:
	s_and_not1_saveexec_b32 s0, s0
; %bb.90:
	v_add_co_u32 v13, vcc_lo, v15, v30
	v_add_co_ci_u32_e32 v14, vcc_lo, 0, v17, vcc_lo
; %bb.91:
	s_or_b32 exec_lo, exec_lo, s0
	s_delay_alu instid0(VALU_DEP_1) | instskip(SKIP_1) | instid1(VALU_DEP_1)
	v_lshlrev_b64 v[13:14], 2, v[13:14]
	s_mov_b32 s0, exec_lo
	v_add_co_u32 v13, vcc_lo, s12, v13
	s_delay_alu instid0(VALU_DEP_2)
	v_add_co_ci_u32_e32 v14, vcc_lo, s13, v14, vcc_lo
	global_store_b32 v[13:14], v10, off
                                        ; implicit-def: $vgpr13_vgpr14
	v_cmpx_ge_u32_e64 v29, v16
	s_xor_b32 s0, exec_lo, s0
; %bb.92:
	v_xor_b32_e32 v13, 0xfffffbff, v0
	;; [unrolled: 47-line block ×6, first 2 shown]
	s_delay_alu instid0(VALU_DEP_1) | instskip(SKIP_1) | instid1(VALU_DEP_2)
	v_ashrrev_i32_e32 v14, 31, v13
	v_add_co_u32 v13, vcc_lo, v18, v13
	v_add_co_ci_u32_e32 v14, vcc_lo, v19, v14, vcc_lo
; %bb.125:
	s_and_not1_saveexec_b32 s0, s0
; %bb.126:
	v_add_co_u32 v13, vcc_lo, v15, v21
	v_add_co_ci_u32_e32 v14, vcc_lo, 0, v17, vcc_lo
; %bb.127:
	s_or_b32 exec_lo, exec_lo, s0
	s_mov_b32 s0, -1
.LBB1840_128:
	s_delay_alu instid0(SALU_CYCLE_1)
	s_and_saveexec_b32 s1, s0
	s_cbranch_execz .LBB1840_211
.LBB1840_129:
	s_waitcnt lgkmcnt(1)
	v_lshlrev_b64 v[0:1], 2, v[13:14]
	s_delay_alu instid0(VALU_DEP_1) | instskip(NEXT) | instid1(VALU_DEP_2)
	v_add_co_u32 v0, vcc_lo, s12, v0
	v_add_co_ci_u32_e32 v1, vcc_lo, s13, v1, vcc_lo
	s_waitcnt lgkmcnt(0)
	global_store_b32 v[0:1], v20, off
	s_or_b32 exec_lo, exec_lo, s1
	s_and_b32 s0, s2, s10
	s_delay_alu instid0(SALU_CYCLE_1)
	s_and_saveexec_b32 s1, s0
	s_cbranch_execnz .LBB1840_212
.LBB1840_130:
	s_nop 0
	s_sendmsg sendmsg(MSG_DEALLOC_VGPRS)
	s_endpgm
.LBB1840_131:
                                        ; implicit-def: $vgpr13_vgpr14
	s_cbranch_execz .LBB1840_128
; %bb.132:
	s_mov_b32 s1, exec_lo
	v_cmpx_gt_u32_e64 s11, v0
	s_cbranch_execz .LBB1840_168
; %bb.133:
	s_mov_b32 s3, exec_lo
                                        ; implicit-def: $vgpr13_vgpr14
	v_cmpx_ge_u32_e64 v0, v16
	s_xor_b32 s3, exec_lo, s3
; %bb.134:
	v_not_b32_e32 v13, v0
	s_delay_alu instid0(VALU_DEP_1) | instskip(SKIP_1) | instid1(VALU_DEP_2)
	v_ashrrev_i32_e32 v14, 31, v13
	v_add_co_u32 v13, vcc_lo, v18, v13
	v_add_co_ci_u32_e32 v14, vcc_lo, v19, v14, vcc_lo
; %bb.135:
	s_and_not1_saveexec_b32 s3, s3
; %bb.136:
	v_add_co_u32 v13, vcc_lo, v15, v0
	v_add_co_ci_u32_e32 v14, vcc_lo, 0, v17, vcc_lo
; %bb.137:
	s_or_b32 exec_lo, exec_lo, s3
	s_delay_alu instid0(VALU_DEP_1) | instskip(NEXT) | instid1(VALU_DEP_1)
	v_lshlrev_b64 v[13:14], 2, v[13:14]
	v_add_co_u32 v13, vcc_lo, s12, v13
	s_delay_alu instid0(VALU_DEP_2) | instskip(SKIP_3) | instid1(SALU_CYCLE_1)
	v_add_co_ci_u32_e32 v14, vcc_lo, s13, v14, vcc_lo
	s_waitcnt lgkmcnt(6)
	global_store_b32 v[13:14], v11, off
	s_or_b32 exec_lo, exec_lo, s1
	s_mov_b32 s1, exec_lo
	v_cmpx_gt_u32_e64 s11, v35
	s_cbranch_execnz .LBB1840_169
.LBB1840_138:
	s_or_b32 exec_lo, exec_lo, s1
	s_delay_alu instid0(SALU_CYCLE_1)
	s_mov_b32 s1, exec_lo
	v_cmpx_gt_u32_e64 s11, v31
	s_cbranch_execz .LBB1840_174
.LBB1840_139:
	s_mov_b32 s3, exec_lo
                                        ; implicit-def: $vgpr11_vgpr12
	v_cmpx_ge_u32_e64 v31, v16
	s_xor_b32 s3, exec_lo, s3
	s_cbranch_execz .LBB1840_141
; %bb.140:
	s_waitcnt lgkmcnt(6)
	v_xor_b32_e32 v11, 0xfffffdff, v0
                                        ; implicit-def: $vgpr31
	s_delay_alu instid0(VALU_DEP_1) | instskip(SKIP_1) | instid1(VALU_DEP_2)
	v_ashrrev_i32_e32 v12, 31, v11
	v_add_co_u32 v11, vcc_lo, v18, v11
	v_add_co_ci_u32_e32 v12, vcc_lo, v19, v12, vcc_lo
.LBB1840_141:
	s_and_not1_saveexec_b32 s3, s3
	s_cbranch_execz .LBB1840_143
; %bb.142:
	s_waitcnt lgkmcnt(6)
	v_add_co_u32 v11, vcc_lo, v15, v31
	v_add_co_ci_u32_e32 v12, vcc_lo, 0, v17, vcc_lo
.LBB1840_143:
	s_or_b32 exec_lo, exec_lo, s3
	s_waitcnt lgkmcnt(6)
	s_delay_alu instid0(VALU_DEP_1) | instskip(NEXT) | instid1(VALU_DEP_1)
	v_lshlrev_b64 v[11:12], 2, v[11:12]
	v_add_co_u32 v11, vcc_lo, s12, v11
	s_delay_alu instid0(VALU_DEP_2) | instskip(SKIP_3) | instid1(SALU_CYCLE_1)
	v_add_co_ci_u32_e32 v12, vcc_lo, s13, v12, vcc_lo
	s_waitcnt lgkmcnt(5)
	global_store_b32 v[11:12], v9, off
	s_or_b32 exec_lo, exec_lo, s1
	s_mov_b32 s1, exec_lo
	v_cmpx_gt_u32_e64 s11, v30
	s_cbranch_execnz .LBB1840_175
.LBB1840_144:
	s_or_b32 exec_lo, exec_lo, s1
	s_delay_alu instid0(SALU_CYCLE_1)
	s_mov_b32 s1, exec_lo
	v_cmpx_gt_u32_e64 s11, v29
	s_cbranch_execz .LBB1840_180
.LBB1840_145:
	s_mov_b32 s3, exec_lo
                                        ; implicit-def: $vgpr9_vgpr10
	v_cmpx_ge_u32_e64 v29, v16
	s_xor_b32 s3, exec_lo, s3
	s_cbranch_execz .LBB1840_147
; %bb.146:
	s_waitcnt lgkmcnt(5)
	v_xor_b32_e32 v9, 0xfffffbff, v0
                                        ; implicit-def: $vgpr29
	s_delay_alu instid0(VALU_DEP_1) | instskip(SKIP_1) | instid1(VALU_DEP_2)
	v_ashrrev_i32_e32 v10, 31, v9
	v_add_co_u32 v9, vcc_lo, v18, v9
	v_add_co_ci_u32_e32 v10, vcc_lo, v19, v10, vcc_lo
.LBB1840_147:
	s_and_not1_saveexec_b32 s3, s3
	s_cbranch_execz .LBB1840_149
; %bb.148:
	s_waitcnt lgkmcnt(5)
	v_add_co_u32 v9, vcc_lo, v15, v29
	v_add_co_ci_u32_e32 v10, vcc_lo, 0, v17, vcc_lo
.LBB1840_149:
	s_or_b32 exec_lo, exec_lo, s3
	s_waitcnt lgkmcnt(5)
	s_delay_alu instid0(VALU_DEP_1) | instskip(NEXT) | instid1(VALU_DEP_1)
	v_lshlrev_b64 v[9:10], 2, v[9:10]
	v_add_co_u32 v9, vcc_lo, s12, v9
	s_delay_alu instid0(VALU_DEP_2) | instskip(SKIP_3) | instid1(SALU_CYCLE_1)
	v_add_co_ci_u32_e32 v10, vcc_lo, s13, v10, vcc_lo
	s_waitcnt lgkmcnt(4)
	global_store_b32 v[9:10], v7, off
	s_or_b32 exec_lo, exec_lo, s1
	s_mov_b32 s1, exec_lo
	v_cmpx_gt_u32_e64 s11, v28
	s_cbranch_execnz .LBB1840_181
.LBB1840_150:
	s_or_b32 exec_lo, exec_lo, s1
	s_delay_alu instid0(SALU_CYCLE_1)
	s_mov_b32 s1, exec_lo
	v_cmpx_gt_u32_e64 s11, v27
	s_cbranch_execz .LBB1840_186
.LBB1840_151:
	s_mov_b32 s3, exec_lo
                                        ; implicit-def: $vgpr7_vgpr8
	v_cmpx_ge_u32_e64 v27, v16
	s_xor_b32 s3, exec_lo, s3
	s_cbranch_execz .LBB1840_153
; %bb.152:
	s_waitcnt lgkmcnt(4)
	v_xor_b32_e32 v7, 0xfffff9ff, v0
                                        ; implicit-def: $vgpr27
	s_delay_alu instid0(VALU_DEP_1) | instskip(SKIP_1) | instid1(VALU_DEP_2)
	v_ashrrev_i32_e32 v8, 31, v7
	v_add_co_u32 v7, vcc_lo, v18, v7
	v_add_co_ci_u32_e32 v8, vcc_lo, v19, v8, vcc_lo
.LBB1840_153:
	s_and_not1_saveexec_b32 s3, s3
	s_cbranch_execz .LBB1840_155
; %bb.154:
	s_waitcnt lgkmcnt(4)
	v_add_co_u32 v7, vcc_lo, v15, v27
	v_add_co_ci_u32_e32 v8, vcc_lo, 0, v17, vcc_lo
.LBB1840_155:
	s_or_b32 exec_lo, exec_lo, s3
	s_waitcnt lgkmcnt(4)
	s_delay_alu instid0(VALU_DEP_1) | instskip(NEXT) | instid1(VALU_DEP_1)
	v_lshlrev_b64 v[7:8], 2, v[7:8]
	v_add_co_u32 v7, vcc_lo, s12, v7
	s_delay_alu instid0(VALU_DEP_2) | instskip(SKIP_3) | instid1(SALU_CYCLE_1)
	v_add_co_ci_u32_e32 v8, vcc_lo, s13, v8, vcc_lo
	s_waitcnt lgkmcnt(3)
	global_store_b32 v[7:8], v5, off
	s_or_b32 exec_lo, exec_lo, s1
	s_mov_b32 s1, exec_lo
	v_cmpx_gt_u32_e64 s11, v26
	s_cbranch_execnz .LBB1840_187
.LBB1840_156:
	s_or_b32 exec_lo, exec_lo, s1
	s_delay_alu instid0(SALU_CYCLE_1)
	s_mov_b32 s1, exec_lo
	v_cmpx_gt_u32_e64 s11, v25
	s_cbranch_execz .LBB1840_192
.LBB1840_157:
	s_mov_b32 s3, exec_lo
                                        ; implicit-def: $vgpr5_vgpr6
	v_cmpx_ge_u32_e64 v25, v16
	s_xor_b32 s3, exec_lo, s3
	s_cbranch_execz .LBB1840_159
; %bb.158:
	s_waitcnt lgkmcnt(3)
	v_xor_b32_e32 v5, 0xfffff7ff, v0
                                        ; implicit-def: $vgpr25
	s_delay_alu instid0(VALU_DEP_1) | instskip(SKIP_1) | instid1(VALU_DEP_2)
	v_ashrrev_i32_e32 v6, 31, v5
	v_add_co_u32 v5, vcc_lo, v18, v5
	v_add_co_ci_u32_e32 v6, vcc_lo, v19, v6, vcc_lo
.LBB1840_159:
	s_and_not1_saveexec_b32 s3, s3
	s_cbranch_execz .LBB1840_161
; %bb.160:
	s_waitcnt lgkmcnt(3)
	v_add_co_u32 v5, vcc_lo, v15, v25
	v_add_co_ci_u32_e32 v6, vcc_lo, 0, v17, vcc_lo
.LBB1840_161:
	s_or_b32 exec_lo, exec_lo, s3
	s_waitcnt lgkmcnt(3)
	s_delay_alu instid0(VALU_DEP_1) | instskip(NEXT) | instid1(VALU_DEP_1)
	v_lshlrev_b64 v[5:6], 2, v[5:6]
	v_add_co_u32 v5, vcc_lo, s12, v5
	s_delay_alu instid0(VALU_DEP_2) | instskip(SKIP_3) | instid1(SALU_CYCLE_1)
	v_add_co_ci_u32_e32 v6, vcc_lo, s13, v6, vcc_lo
	s_waitcnt lgkmcnt(2)
	global_store_b32 v[5:6], v3, off
	s_or_b32 exec_lo, exec_lo, s1
	s_mov_b32 s1, exec_lo
	v_cmpx_gt_u32_e64 s11, v24
	s_cbranch_execnz .LBB1840_193
.LBB1840_162:
	s_or_b32 exec_lo, exec_lo, s1
	s_delay_alu instid0(SALU_CYCLE_1)
	s_mov_b32 s1, exec_lo
	v_cmpx_gt_u32_e64 s11, v23
	s_cbranch_execz .LBB1840_198
.LBB1840_163:
	s_mov_b32 s3, exec_lo
                                        ; implicit-def: $vgpr3_vgpr4
	v_cmpx_ge_u32_e64 v23, v16
	s_xor_b32 s3, exec_lo, s3
	s_cbranch_execz .LBB1840_165
; %bb.164:
	s_waitcnt lgkmcnt(2)
	v_xor_b32_e32 v3, 0xfffff5ff, v0
                                        ; implicit-def: $vgpr23
	s_delay_alu instid0(VALU_DEP_1) | instskip(SKIP_1) | instid1(VALU_DEP_2)
	v_ashrrev_i32_e32 v4, 31, v3
	v_add_co_u32 v3, vcc_lo, v18, v3
	v_add_co_ci_u32_e32 v4, vcc_lo, v19, v4, vcc_lo
.LBB1840_165:
	s_and_not1_saveexec_b32 s3, s3
	s_cbranch_execz .LBB1840_167
; %bb.166:
	s_waitcnt lgkmcnt(2)
	v_add_co_u32 v3, vcc_lo, v15, v23
	v_add_co_ci_u32_e32 v4, vcc_lo, 0, v17, vcc_lo
.LBB1840_167:
	s_or_b32 exec_lo, exec_lo, s3
	s_waitcnt lgkmcnt(2)
	s_delay_alu instid0(VALU_DEP_1) | instskip(NEXT) | instid1(VALU_DEP_1)
	v_lshlrev_b64 v[3:4], 2, v[3:4]
	v_add_co_u32 v3, vcc_lo, s12, v3
	s_delay_alu instid0(VALU_DEP_2) | instskip(SKIP_3) | instid1(SALU_CYCLE_1)
	v_add_co_ci_u32_e32 v4, vcc_lo, s13, v4, vcc_lo
	s_waitcnt lgkmcnt(1)
	global_store_b32 v[3:4], v1, off
	s_or_b32 exec_lo, exec_lo, s1
	s_mov_b32 s1, exec_lo
	v_cmpx_gt_u32_e64 s11, v22
	s_cbranch_execz .LBB1840_204
	s_branch .LBB1840_199
.LBB1840_168:
	s_or_b32 exec_lo, exec_lo, s1
	s_delay_alu instid0(SALU_CYCLE_1)
	s_mov_b32 s1, exec_lo
	v_cmpx_gt_u32_e64 s11, v35
	s_cbranch_execz .LBB1840_138
.LBB1840_169:
	s_mov_b32 s3, exec_lo
                                        ; implicit-def: $vgpr13_vgpr14
	v_cmpx_ge_u32_e64 v35, v16
	s_xor_b32 s3, exec_lo, s3
	s_cbranch_execz .LBB1840_171
; %bb.170:
	s_waitcnt lgkmcnt(6)
	v_xor_b32_e32 v11, 0xfffffeff, v0
                                        ; implicit-def: $vgpr35
	s_delay_alu instid0(VALU_DEP_1) | instskip(SKIP_1) | instid1(VALU_DEP_2)
	v_ashrrev_i32_e32 v14, 31, v11
	v_add_co_u32 v13, vcc_lo, v18, v11
	v_add_co_ci_u32_e32 v14, vcc_lo, v19, v14, vcc_lo
.LBB1840_171:
	s_and_not1_saveexec_b32 s3, s3
; %bb.172:
	v_add_co_u32 v13, vcc_lo, v15, v35
	v_add_co_ci_u32_e32 v14, vcc_lo, 0, v17, vcc_lo
; %bb.173:
	s_or_b32 exec_lo, exec_lo, s3
	s_delay_alu instid0(VALU_DEP_1) | instskip(NEXT) | instid1(VALU_DEP_1)
	v_lshlrev_b64 v[13:14], 2, v[13:14]
	v_add_co_u32 v13, vcc_lo, s12, v13
	s_delay_alu instid0(VALU_DEP_2) | instskip(SKIP_3) | instid1(SALU_CYCLE_1)
	v_add_co_ci_u32_e32 v14, vcc_lo, s13, v14, vcc_lo
	s_waitcnt lgkmcnt(6)
	global_store_b32 v[13:14], v12, off
	s_or_b32 exec_lo, exec_lo, s1
	s_mov_b32 s1, exec_lo
	v_cmpx_gt_u32_e64 s11, v31
	s_cbranch_execnz .LBB1840_139
.LBB1840_174:
	s_or_b32 exec_lo, exec_lo, s1
	s_delay_alu instid0(SALU_CYCLE_1)
	s_mov_b32 s1, exec_lo
	v_cmpx_gt_u32_e64 s11, v30
	s_cbranch_execz .LBB1840_144
.LBB1840_175:
	s_mov_b32 s3, exec_lo
                                        ; implicit-def: $vgpr11_vgpr12
	v_cmpx_ge_u32_e64 v30, v16
	s_xor_b32 s3, exec_lo, s3
	s_cbranch_execz .LBB1840_177
; %bb.176:
	s_waitcnt lgkmcnt(5)
	v_xor_b32_e32 v9, 0xfffffcff, v0
                                        ; implicit-def: $vgpr30
	s_delay_alu instid0(VALU_DEP_1) | instskip(SKIP_1) | instid1(VALU_DEP_2)
	v_ashrrev_i32_e32 v12, 31, v9
	v_add_co_u32 v11, vcc_lo, v18, v9
	v_add_co_ci_u32_e32 v12, vcc_lo, v19, v12, vcc_lo
.LBB1840_177:
	s_and_not1_saveexec_b32 s3, s3
	s_cbranch_execz .LBB1840_179
; %bb.178:
	s_waitcnt lgkmcnt(6)
	v_add_co_u32 v11, vcc_lo, v15, v30
	v_add_co_ci_u32_e32 v12, vcc_lo, 0, v17, vcc_lo
.LBB1840_179:
	s_or_b32 exec_lo, exec_lo, s3
	s_waitcnt lgkmcnt(6)
	s_delay_alu instid0(VALU_DEP_1) | instskip(NEXT) | instid1(VALU_DEP_1)
	v_lshlrev_b64 v[11:12], 2, v[11:12]
	v_add_co_u32 v11, vcc_lo, s12, v11
	s_delay_alu instid0(VALU_DEP_2) | instskip(SKIP_3) | instid1(SALU_CYCLE_1)
	v_add_co_ci_u32_e32 v12, vcc_lo, s13, v12, vcc_lo
	s_waitcnt lgkmcnt(5)
	global_store_b32 v[11:12], v10, off
	s_or_b32 exec_lo, exec_lo, s1
	s_mov_b32 s1, exec_lo
	v_cmpx_gt_u32_e64 s11, v29
	s_cbranch_execnz .LBB1840_145
.LBB1840_180:
	s_or_b32 exec_lo, exec_lo, s1
	s_delay_alu instid0(SALU_CYCLE_1)
	s_mov_b32 s1, exec_lo
	v_cmpx_gt_u32_e64 s11, v28
	s_cbranch_execz .LBB1840_150
.LBB1840_181:
	s_mov_b32 s3, exec_lo
                                        ; implicit-def: $vgpr9_vgpr10
	v_cmpx_ge_u32_e64 v28, v16
	s_xor_b32 s3, exec_lo, s3
	s_cbranch_execz .LBB1840_183
; %bb.182:
	s_waitcnt lgkmcnt(4)
	v_xor_b32_e32 v7, 0xfffffaff, v0
                                        ; implicit-def: $vgpr28
	s_delay_alu instid0(VALU_DEP_1) | instskip(SKIP_1) | instid1(VALU_DEP_2)
	v_ashrrev_i32_e32 v10, 31, v7
	v_add_co_u32 v9, vcc_lo, v18, v7
	v_add_co_ci_u32_e32 v10, vcc_lo, v19, v10, vcc_lo
.LBB1840_183:
	s_and_not1_saveexec_b32 s3, s3
	s_cbranch_execz .LBB1840_185
; %bb.184:
	s_waitcnt lgkmcnt(5)
	v_add_co_u32 v9, vcc_lo, v15, v28
	v_add_co_ci_u32_e32 v10, vcc_lo, 0, v17, vcc_lo
.LBB1840_185:
	s_or_b32 exec_lo, exec_lo, s3
	s_waitcnt lgkmcnt(5)
	s_delay_alu instid0(VALU_DEP_1) | instskip(NEXT) | instid1(VALU_DEP_1)
	v_lshlrev_b64 v[9:10], 2, v[9:10]
	v_add_co_u32 v9, vcc_lo, s12, v9
	s_delay_alu instid0(VALU_DEP_2) | instskip(SKIP_3) | instid1(SALU_CYCLE_1)
	v_add_co_ci_u32_e32 v10, vcc_lo, s13, v10, vcc_lo
	s_waitcnt lgkmcnt(4)
	global_store_b32 v[9:10], v8, off
	s_or_b32 exec_lo, exec_lo, s1
	s_mov_b32 s1, exec_lo
	v_cmpx_gt_u32_e64 s11, v27
	s_cbranch_execnz .LBB1840_151
.LBB1840_186:
	s_or_b32 exec_lo, exec_lo, s1
	s_delay_alu instid0(SALU_CYCLE_1)
	s_mov_b32 s1, exec_lo
	v_cmpx_gt_u32_e64 s11, v26
	s_cbranch_execz .LBB1840_156
.LBB1840_187:
	s_mov_b32 s3, exec_lo
                                        ; implicit-def: $vgpr7_vgpr8
	v_cmpx_ge_u32_e64 v26, v16
	s_xor_b32 s3, exec_lo, s3
	s_cbranch_execz .LBB1840_189
; %bb.188:
	s_waitcnt lgkmcnt(3)
	v_xor_b32_e32 v5, 0xfffff8ff, v0
                                        ; implicit-def: $vgpr26
	s_delay_alu instid0(VALU_DEP_1) | instskip(SKIP_1) | instid1(VALU_DEP_2)
	v_ashrrev_i32_e32 v8, 31, v5
	v_add_co_u32 v7, vcc_lo, v18, v5
	v_add_co_ci_u32_e32 v8, vcc_lo, v19, v8, vcc_lo
.LBB1840_189:
	s_and_not1_saveexec_b32 s3, s3
	s_cbranch_execz .LBB1840_191
; %bb.190:
	s_waitcnt lgkmcnt(4)
	v_add_co_u32 v7, vcc_lo, v15, v26
	v_add_co_ci_u32_e32 v8, vcc_lo, 0, v17, vcc_lo
.LBB1840_191:
	s_or_b32 exec_lo, exec_lo, s3
	s_waitcnt lgkmcnt(4)
	s_delay_alu instid0(VALU_DEP_1) | instskip(NEXT) | instid1(VALU_DEP_1)
	v_lshlrev_b64 v[7:8], 2, v[7:8]
	v_add_co_u32 v7, vcc_lo, s12, v7
	s_delay_alu instid0(VALU_DEP_2) | instskip(SKIP_3) | instid1(SALU_CYCLE_1)
	v_add_co_ci_u32_e32 v8, vcc_lo, s13, v8, vcc_lo
	s_waitcnt lgkmcnt(3)
	global_store_b32 v[7:8], v6, off
	s_or_b32 exec_lo, exec_lo, s1
	s_mov_b32 s1, exec_lo
	v_cmpx_gt_u32_e64 s11, v25
	s_cbranch_execnz .LBB1840_157
.LBB1840_192:
	s_or_b32 exec_lo, exec_lo, s1
	s_delay_alu instid0(SALU_CYCLE_1)
	s_mov_b32 s1, exec_lo
	v_cmpx_gt_u32_e64 s11, v24
	s_cbranch_execz .LBB1840_162
.LBB1840_193:
	s_mov_b32 s3, exec_lo
                                        ; implicit-def: $vgpr5_vgpr6
	v_cmpx_ge_u32_e64 v24, v16
	s_xor_b32 s3, exec_lo, s3
	s_cbranch_execz .LBB1840_195
; %bb.194:
	s_waitcnt lgkmcnt(2)
	v_xor_b32_e32 v3, 0xfffff6ff, v0
                                        ; implicit-def: $vgpr24
	s_delay_alu instid0(VALU_DEP_1) | instskip(SKIP_1) | instid1(VALU_DEP_2)
	v_ashrrev_i32_e32 v6, 31, v3
	v_add_co_u32 v5, vcc_lo, v18, v3
	v_add_co_ci_u32_e32 v6, vcc_lo, v19, v6, vcc_lo
.LBB1840_195:
	s_and_not1_saveexec_b32 s3, s3
	s_cbranch_execz .LBB1840_197
; %bb.196:
	s_waitcnt lgkmcnt(3)
	v_add_co_u32 v5, vcc_lo, v15, v24
	v_add_co_ci_u32_e32 v6, vcc_lo, 0, v17, vcc_lo
.LBB1840_197:
	s_or_b32 exec_lo, exec_lo, s3
	s_waitcnt lgkmcnt(3)
	s_delay_alu instid0(VALU_DEP_1) | instskip(NEXT) | instid1(VALU_DEP_1)
	v_lshlrev_b64 v[5:6], 2, v[5:6]
	v_add_co_u32 v5, vcc_lo, s12, v5
	s_delay_alu instid0(VALU_DEP_2) | instskip(SKIP_3) | instid1(SALU_CYCLE_1)
	v_add_co_ci_u32_e32 v6, vcc_lo, s13, v6, vcc_lo
	s_waitcnt lgkmcnt(2)
	global_store_b32 v[5:6], v4, off
	s_or_b32 exec_lo, exec_lo, s1
	s_mov_b32 s1, exec_lo
	v_cmpx_gt_u32_e64 s11, v23
	s_cbranch_execnz .LBB1840_163
.LBB1840_198:
	s_or_b32 exec_lo, exec_lo, s1
	s_delay_alu instid0(SALU_CYCLE_1)
	s_mov_b32 s1, exec_lo
	v_cmpx_gt_u32_e64 s11, v22
	s_cbranch_execz .LBB1840_204
.LBB1840_199:
	s_mov_b32 s3, exec_lo
                                        ; implicit-def: $vgpr3_vgpr4
	v_cmpx_ge_u32_e64 v22, v16
	s_xor_b32 s3, exec_lo, s3
	s_cbranch_execz .LBB1840_201
; %bb.200:
	s_waitcnt lgkmcnt(1)
	v_xor_b32_e32 v1, 0xfffff4ff, v0
                                        ; implicit-def: $vgpr22
	s_delay_alu instid0(VALU_DEP_1) | instskip(SKIP_1) | instid1(VALU_DEP_2)
	v_ashrrev_i32_e32 v4, 31, v1
	v_add_co_u32 v3, vcc_lo, v18, v1
	v_add_co_ci_u32_e32 v4, vcc_lo, v19, v4, vcc_lo
.LBB1840_201:
	s_and_not1_saveexec_b32 s3, s3
	s_cbranch_execz .LBB1840_203
; %bb.202:
	s_waitcnt lgkmcnt(2)
	v_add_co_u32 v3, vcc_lo, v15, v22
	v_add_co_ci_u32_e32 v4, vcc_lo, 0, v17, vcc_lo
.LBB1840_203:
	s_or_b32 exec_lo, exec_lo, s3
	s_waitcnt lgkmcnt(2)
	s_delay_alu instid0(VALU_DEP_1) | instskip(NEXT) | instid1(VALU_DEP_1)
	v_lshlrev_b64 v[3:4], 2, v[3:4]
	v_add_co_u32 v3, vcc_lo, s12, v3
	s_delay_alu instid0(VALU_DEP_2)
	v_add_co_ci_u32_e32 v4, vcc_lo, s13, v4, vcc_lo
	s_waitcnt lgkmcnt(1)
	global_store_b32 v[3:4], v2, off
.LBB1840_204:
	s_or_b32 exec_lo, exec_lo, s1
	s_delay_alu instid0(SALU_CYCLE_1)
	s_mov_b32 s1, exec_lo
                                        ; implicit-def: $vgpr13_vgpr14
	v_cmpx_gt_u32_e64 s11, v21
	s_cbranch_execz .LBB1840_210
; %bb.205:
	s_mov_b32 s3, exec_lo
                                        ; implicit-def: $vgpr13_vgpr14
	v_cmpx_ge_u32_e64 v21, v16
	s_xor_b32 s3, exec_lo, s3
	s_cbranch_execz .LBB1840_207
; %bb.206:
	v_xor_b32_e32 v0, 0xfffff3ff, v0
                                        ; implicit-def: $vgpr21
	s_waitcnt lgkmcnt(1)
	s_delay_alu instid0(VALU_DEP_1) | instskip(SKIP_1) | instid1(VALU_DEP_2)
	v_ashrrev_i32_e32 v1, 31, v0
	v_add_co_u32 v13, vcc_lo, v18, v0
	v_add_co_ci_u32_e32 v14, vcc_lo, v19, v1, vcc_lo
.LBB1840_207:
	s_and_not1_saveexec_b32 s3, s3
; %bb.208:
	v_add_co_u32 v13, vcc_lo, v15, v21
	v_add_co_ci_u32_e32 v14, vcc_lo, 0, v17, vcc_lo
; %bb.209:
	s_or_b32 exec_lo, exec_lo, s3
	s_delay_alu instid0(SALU_CYCLE_1)
	s_or_b32 s0, s0, exec_lo
.LBB1840_210:
	s_or_b32 exec_lo, exec_lo, s1
	s_and_saveexec_b32 s1, s0
	s_cbranch_execnz .LBB1840_129
.LBB1840_211:
	s_or_b32 exec_lo, exec_lo, s1
	s_and_b32 s0, s2, s10
	s_delay_alu instid0(SALU_CYCLE_1)
	s_and_saveexec_b32 s1, s0
	s_cbranch_execz .LBB1840_130
.LBB1840_212:
	v_add_co_u32 v0, vcc_lo, v15, v16
	s_waitcnt lgkmcnt(1)
	v_mov_b32_e32 v2, 0
	v_add_co_ci_u32_e32 v1, vcc_lo, 0, v17, vcc_lo
	global_store_b64 v2, v[0:1], s[8:9]
	s_nop 0
	s_sendmsg sendmsg(MSG_DEALLOC_VGPRS)
	s_endpgm
	.section	.rodata,"a",@progbits
	.p2align	6, 0x0
	.amdhsa_kernel _ZN7rocprim17ROCPRIM_400000_NS6detail17trampoline_kernelINS0_13select_configILj256ELj13ELNS0_17block_load_methodE3ELS4_3ELS4_3ELNS0_20block_scan_algorithmE0ELj4294967295EEENS1_25partition_config_selectorILNS1_17partition_subalgoE3EjNS0_10empty_typeEbEEZZNS1_14partition_implILS8_3ELb0ES6_jNS0_17counting_iteratorIjlEEPS9_SE_NS0_5tupleIJPjSE_EEENSF_IJSE_SE_EEES9_SG_JZNS1_25segmented_radix_sort_implINS0_14default_configELb0EPK6__halfPSL_PKlPlN2at6native12_GLOBAL__N_18offset_tEEE10hipError_tPvRmT1_PNSt15iterator_traitsISZ_E10value_typeET2_T3_PNS10_IS15_E10value_typeET4_jRbjT5_S1B_jjP12ihipStream_tbEUljE_EEESW_SX_SY_S15_S19_S1B_T6_T7_T9_mT8_S1D_bDpT10_ENKUlT_T0_E_clISt17integral_constantIbLb0EES1P_IbLb1EEEEDaS1L_S1M_EUlS1L_E_NS1_11comp_targetILNS1_3genE9ELNS1_11target_archE1100ELNS1_3gpuE3ELNS1_3repE0EEENS1_30default_config_static_selectorELNS0_4arch9wavefront6targetE0EEEvSZ_
		.amdhsa_group_segment_fixed_size 13324
		.amdhsa_private_segment_fixed_size 0
		.amdhsa_kernarg_size 152
		.amdhsa_user_sgpr_count 15
		.amdhsa_user_sgpr_dispatch_ptr 0
		.amdhsa_user_sgpr_queue_ptr 0
		.amdhsa_user_sgpr_kernarg_segment_ptr 1
		.amdhsa_user_sgpr_dispatch_id 0
		.amdhsa_user_sgpr_private_segment_size 0
		.amdhsa_wavefront_size32 1
		.amdhsa_uses_dynamic_stack 0
		.amdhsa_enable_private_segment 0
		.amdhsa_system_sgpr_workgroup_id_x 1
		.amdhsa_system_sgpr_workgroup_id_y 0
		.amdhsa_system_sgpr_workgroup_id_z 0
		.amdhsa_system_sgpr_workgroup_info 0
		.amdhsa_system_vgpr_workitem_id 0
		.amdhsa_next_free_vgpr 60
		.amdhsa_next_free_sgpr 26
		.amdhsa_reserve_vcc 1
		.amdhsa_float_round_mode_32 0
		.amdhsa_float_round_mode_16_64 0
		.amdhsa_float_denorm_mode_32 3
		.amdhsa_float_denorm_mode_16_64 3
		.amdhsa_dx10_clamp 1
		.amdhsa_ieee_mode 1
		.amdhsa_fp16_overflow 0
		.amdhsa_workgroup_processor_mode 1
		.amdhsa_memory_ordered 1
		.amdhsa_forward_progress 0
		.amdhsa_shared_vgpr_count 0
		.amdhsa_exception_fp_ieee_invalid_op 0
		.amdhsa_exception_fp_denorm_src 0
		.amdhsa_exception_fp_ieee_div_zero 0
		.amdhsa_exception_fp_ieee_overflow 0
		.amdhsa_exception_fp_ieee_underflow 0
		.amdhsa_exception_fp_ieee_inexact 0
		.amdhsa_exception_int_div_zero 0
	.end_amdhsa_kernel
	.section	.text._ZN7rocprim17ROCPRIM_400000_NS6detail17trampoline_kernelINS0_13select_configILj256ELj13ELNS0_17block_load_methodE3ELS4_3ELS4_3ELNS0_20block_scan_algorithmE0ELj4294967295EEENS1_25partition_config_selectorILNS1_17partition_subalgoE3EjNS0_10empty_typeEbEEZZNS1_14partition_implILS8_3ELb0ES6_jNS0_17counting_iteratorIjlEEPS9_SE_NS0_5tupleIJPjSE_EEENSF_IJSE_SE_EEES9_SG_JZNS1_25segmented_radix_sort_implINS0_14default_configELb0EPK6__halfPSL_PKlPlN2at6native12_GLOBAL__N_18offset_tEEE10hipError_tPvRmT1_PNSt15iterator_traitsISZ_E10value_typeET2_T3_PNS10_IS15_E10value_typeET4_jRbjT5_S1B_jjP12ihipStream_tbEUljE_EEESW_SX_SY_S15_S19_S1B_T6_T7_T9_mT8_S1D_bDpT10_ENKUlT_T0_E_clISt17integral_constantIbLb0EES1P_IbLb1EEEEDaS1L_S1M_EUlS1L_E_NS1_11comp_targetILNS1_3genE9ELNS1_11target_archE1100ELNS1_3gpuE3ELNS1_3repE0EEENS1_30default_config_static_selectorELNS0_4arch9wavefront6targetE0EEEvSZ_,"axG",@progbits,_ZN7rocprim17ROCPRIM_400000_NS6detail17trampoline_kernelINS0_13select_configILj256ELj13ELNS0_17block_load_methodE3ELS4_3ELS4_3ELNS0_20block_scan_algorithmE0ELj4294967295EEENS1_25partition_config_selectorILNS1_17partition_subalgoE3EjNS0_10empty_typeEbEEZZNS1_14partition_implILS8_3ELb0ES6_jNS0_17counting_iteratorIjlEEPS9_SE_NS0_5tupleIJPjSE_EEENSF_IJSE_SE_EEES9_SG_JZNS1_25segmented_radix_sort_implINS0_14default_configELb0EPK6__halfPSL_PKlPlN2at6native12_GLOBAL__N_18offset_tEEE10hipError_tPvRmT1_PNSt15iterator_traitsISZ_E10value_typeET2_T3_PNS10_IS15_E10value_typeET4_jRbjT5_S1B_jjP12ihipStream_tbEUljE_EEESW_SX_SY_S15_S19_S1B_T6_T7_T9_mT8_S1D_bDpT10_ENKUlT_T0_E_clISt17integral_constantIbLb0EES1P_IbLb1EEEEDaS1L_S1M_EUlS1L_E_NS1_11comp_targetILNS1_3genE9ELNS1_11target_archE1100ELNS1_3gpuE3ELNS1_3repE0EEENS1_30default_config_static_selectorELNS0_4arch9wavefront6targetE0EEEvSZ_,comdat
.Lfunc_end1840:
	.size	_ZN7rocprim17ROCPRIM_400000_NS6detail17trampoline_kernelINS0_13select_configILj256ELj13ELNS0_17block_load_methodE3ELS4_3ELS4_3ELNS0_20block_scan_algorithmE0ELj4294967295EEENS1_25partition_config_selectorILNS1_17partition_subalgoE3EjNS0_10empty_typeEbEEZZNS1_14partition_implILS8_3ELb0ES6_jNS0_17counting_iteratorIjlEEPS9_SE_NS0_5tupleIJPjSE_EEENSF_IJSE_SE_EEES9_SG_JZNS1_25segmented_radix_sort_implINS0_14default_configELb0EPK6__halfPSL_PKlPlN2at6native12_GLOBAL__N_18offset_tEEE10hipError_tPvRmT1_PNSt15iterator_traitsISZ_E10value_typeET2_T3_PNS10_IS15_E10value_typeET4_jRbjT5_S1B_jjP12ihipStream_tbEUljE_EEESW_SX_SY_S15_S19_S1B_T6_T7_T9_mT8_S1D_bDpT10_ENKUlT_T0_E_clISt17integral_constantIbLb0EES1P_IbLb1EEEEDaS1L_S1M_EUlS1L_E_NS1_11comp_targetILNS1_3genE9ELNS1_11target_archE1100ELNS1_3gpuE3ELNS1_3repE0EEENS1_30default_config_static_selectorELNS0_4arch9wavefront6targetE0EEEvSZ_, .Lfunc_end1840-_ZN7rocprim17ROCPRIM_400000_NS6detail17trampoline_kernelINS0_13select_configILj256ELj13ELNS0_17block_load_methodE3ELS4_3ELS4_3ELNS0_20block_scan_algorithmE0ELj4294967295EEENS1_25partition_config_selectorILNS1_17partition_subalgoE3EjNS0_10empty_typeEbEEZZNS1_14partition_implILS8_3ELb0ES6_jNS0_17counting_iteratorIjlEEPS9_SE_NS0_5tupleIJPjSE_EEENSF_IJSE_SE_EEES9_SG_JZNS1_25segmented_radix_sort_implINS0_14default_configELb0EPK6__halfPSL_PKlPlN2at6native12_GLOBAL__N_18offset_tEEE10hipError_tPvRmT1_PNSt15iterator_traitsISZ_E10value_typeET2_T3_PNS10_IS15_E10value_typeET4_jRbjT5_S1B_jjP12ihipStream_tbEUljE_EEESW_SX_SY_S15_S19_S1B_T6_T7_T9_mT8_S1D_bDpT10_ENKUlT_T0_E_clISt17integral_constantIbLb0EES1P_IbLb1EEEEDaS1L_S1M_EUlS1L_E_NS1_11comp_targetILNS1_3genE9ELNS1_11target_archE1100ELNS1_3gpuE3ELNS1_3repE0EEENS1_30default_config_static_selectorELNS0_4arch9wavefront6targetE0EEEvSZ_
                                        ; -- End function
	.section	.AMDGPU.csdata,"",@progbits
; Kernel info:
; codeLenInByte = 9040
; NumSgprs: 28
; NumVgprs: 60
; ScratchSize: 0
; MemoryBound: 0
; FloatMode: 240
; IeeeMode: 1
; LDSByteSize: 13324 bytes/workgroup (compile time only)
; SGPRBlocks: 3
; VGPRBlocks: 7
; NumSGPRsForWavesPerEU: 28
; NumVGPRsForWavesPerEU: 60
; Occupancy: 16
; WaveLimiterHint : 0
; COMPUTE_PGM_RSRC2:SCRATCH_EN: 0
; COMPUTE_PGM_RSRC2:USER_SGPR: 15
; COMPUTE_PGM_RSRC2:TRAP_HANDLER: 0
; COMPUTE_PGM_RSRC2:TGID_X_EN: 1
; COMPUTE_PGM_RSRC2:TGID_Y_EN: 0
; COMPUTE_PGM_RSRC2:TGID_Z_EN: 0
; COMPUTE_PGM_RSRC2:TIDIG_COMP_CNT: 0
	.section	.text._ZN7rocprim17ROCPRIM_400000_NS6detail17trampoline_kernelINS0_13select_configILj256ELj13ELNS0_17block_load_methodE3ELS4_3ELS4_3ELNS0_20block_scan_algorithmE0ELj4294967295EEENS1_25partition_config_selectorILNS1_17partition_subalgoE3EjNS0_10empty_typeEbEEZZNS1_14partition_implILS8_3ELb0ES6_jNS0_17counting_iteratorIjlEEPS9_SE_NS0_5tupleIJPjSE_EEENSF_IJSE_SE_EEES9_SG_JZNS1_25segmented_radix_sort_implINS0_14default_configELb0EPK6__halfPSL_PKlPlN2at6native12_GLOBAL__N_18offset_tEEE10hipError_tPvRmT1_PNSt15iterator_traitsISZ_E10value_typeET2_T3_PNS10_IS15_E10value_typeET4_jRbjT5_S1B_jjP12ihipStream_tbEUljE_EEESW_SX_SY_S15_S19_S1B_T6_T7_T9_mT8_S1D_bDpT10_ENKUlT_T0_E_clISt17integral_constantIbLb0EES1P_IbLb1EEEEDaS1L_S1M_EUlS1L_E_NS1_11comp_targetILNS1_3genE8ELNS1_11target_archE1030ELNS1_3gpuE2ELNS1_3repE0EEENS1_30default_config_static_selectorELNS0_4arch9wavefront6targetE0EEEvSZ_,"axG",@progbits,_ZN7rocprim17ROCPRIM_400000_NS6detail17trampoline_kernelINS0_13select_configILj256ELj13ELNS0_17block_load_methodE3ELS4_3ELS4_3ELNS0_20block_scan_algorithmE0ELj4294967295EEENS1_25partition_config_selectorILNS1_17partition_subalgoE3EjNS0_10empty_typeEbEEZZNS1_14partition_implILS8_3ELb0ES6_jNS0_17counting_iteratorIjlEEPS9_SE_NS0_5tupleIJPjSE_EEENSF_IJSE_SE_EEES9_SG_JZNS1_25segmented_radix_sort_implINS0_14default_configELb0EPK6__halfPSL_PKlPlN2at6native12_GLOBAL__N_18offset_tEEE10hipError_tPvRmT1_PNSt15iterator_traitsISZ_E10value_typeET2_T3_PNS10_IS15_E10value_typeET4_jRbjT5_S1B_jjP12ihipStream_tbEUljE_EEESW_SX_SY_S15_S19_S1B_T6_T7_T9_mT8_S1D_bDpT10_ENKUlT_T0_E_clISt17integral_constantIbLb0EES1P_IbLb1EEEEDaS1L_S1M_EUlS1L_E_NS1_11comp_targetILNS1_3genE8ELNS1_11target_archE1030ELNS1_3gpuE2ELNS1_3repE0EEENS1_30default_config_static_selectorELNS0_4arch9wavefront6targetE0EEEvSZ_,comdat
	.globl	_ZN7rocprim17ROCPRIM_400000_NS6detail17trampoline_kernelINS0_13select_configILj256ELj13ELNS0_17block_load_methodE3ELS4_3ELS4_3ELNS0_20block_scan_algorithmE0ELj4294967295EEENS1_25partition_config_selectorILNS1_17partition_subalgoE3EjNS0_10empty_typeEbEEZZNS1_14partition_implILS8_3ELb0ES6_jNS0_17counting_iteratorIjlEEPS9_SE_NS0_5tupleIJPjSE_EEENSF_IJSE_SE_EEES9_SG_JZNS1_25segmented_radix_sort_implINS0_14default_configELb0EPK6__halfPSL_PKlPlN2at6native12_GLOBAL__N_18offset_tEEE10hipError_tPvRmT1_PNSt15iterator_traitsISZ_E10value_typeET2_T3_PNS10_IS15_E10value_typeET4_jRbjT5_S1B_jjP12ihipStream_tbEUljE_EEESW_SX_SY_S15_S19_S1B_T6_T7_T9_mT8_S1D_bDpT10_ENKUlT_T0_E_clISt17integral_constantIbLb0EES1P_IbLb1EEEEDaS1L_S1M_EUlS1L_E_NS1_11comp_targetILNS1_3genE8ELNS1_11target_archE1030ELNS1_3gpuE2ELNS1_3repE0EEENS1_30default_config_static_selectorELNS0_4arch9wavefront6targetE0EEEvSZ_ ; -- Begin function _ZN7rocprim17ROCPRIM_400000_NS6detail17trampoline_kernelINS0_13select_configILj256ELj13ELNS0_17block_load_methodE3ELS4_3ELS4_3ELNS0_20block_scan_algorithmE0ELj4294967295EEENS1_25partition_config_selectorILNS1_17partition_subalgoE3EjNS0_10empty_typeEbEEZZNS1_14partition_implILS8_3ELb0ES6_jNS0_17counting_iteratorIjlEEPS9_SE_NS0_5tupleIJPjSE_EEENSF_IJSE_SE_EEES9_SG_JZNS1_25segmented_radix_sort_implINS0_14default_configELb0EPK6__halfPSL_PKlPlN2at6native12_GLOBAL__N_18offset_tEEE10hipError_tPvRmT1_PNSt15iterator_traitsISZ_E10value_typeET2_T3_PNS10_IS15_E10value_typeET4_jRbjT5_S1B_jjP12ihipStream_tbEUljE_EEESW_SX_SY_S15_S19_S1B_T6_T7_T9_mT8_S1D_bDpT10_ENKUlT_T0_E_clISt17integral_constantIbLb0EES1P_IbLb1EEEEDaS1L_S1M_EUlS1L_E_NS1_11comp_targetILNS1_3genE8ELNS1_11target_archE1030ELNS1_3gpuE2ELNS1_3repE0EEENS1_30default_config_static_selectorELNS0_4arch9wavefront6targetE0EEEvSZ_
	.p2align	8
	.type	_ZN7rocprim17ROCPRIM_400000_NS6detail17trampoline_kernelINS0_13select_configILj256ELj13ELNS0_17block_load_methodE3ELS4_3ELS4_3ELNS0_20block_scan_algorithmE0ELj4294967295EEENS1_25partition_config_selectorILNS1_17partition_subalgoE3EjNS0_10empty_typeEbEEZZNS1_14partition_implILS8_3ELb0ES6_jNS0_17counting_iteratorIjlEEPS9_SE_NS0_5tupleIJPjSE_EEENSF_IJSE_SE_EEES9_SG_JZNS1_25segmented_radix_sort_implINS0_14default_configELb0EPK6__halfPSL_PKlPlN2at6native12_GLOBAL__N_18offset_tEEE10hipError_tPvRmT1_PNSt15iterator_traitsISZ_E10value_typeET2_T3_PNS10_IS15_E10value_typeET4_jRbjT5_S1B_jjP12ihipStream_tbEUljE_EEESW_SX_SY_S15_S19_S1B_T6_T7_T9_mT8_S1D_bDpT10_ENKUlT_T0_E_clISt17integral_constantIbLb0EES1P_IbLb1EEEEDaS1L_S1M_EUlS1L_E_NS1_11comp_targetILNS1_3genE8ELNS1_11target_archE1030ELNS1_3gpuE2ELNS1_3repE0EEENS1_30default_config_static_selectorELNS0_4arch9wavefront6targetE0EEEvSZ_,@function
_ZN7rocprim17ROCPRIM_400000_NS6detail17trampoline_kernelINS0_13select_configILj256ELj13ELNS0_17block_load_methodE3ELS4_3ELS4_3ELNS0_20block_scan_algorithmE0ELj4294967295EEENS1_25partition_config_selectorILNS1_17partition_subalgoE3EjNS0_10empty_typeEbEEZZNS1_14partition_implILS8_3ELb0ES6_jNS0_17counting_iteratorIjlEEPS9_SE_NS0_5tupleIJPjSE_EEENSF_IJSE_SE_EEES9_SG_JZNS1_25segmented_radix_sort_implINS0_14default_configELb0EPK6__halfPSL_PKlPlN2at6native12_GLOBAL__N_18offset_tEEE10hipError_tPvRmT1_PNSt15iterator_traitsISZ_E10value_typeET2_T3_PNS10_IS15_E10value_typeET4_jRbjT5_S1B_jjP12ihipStream_tbEUljE_EEESW_SX_SY_S15_S19_S1B_T6_T7_T9_mT8_S1D_bDpT10_ENKUlT_T0_E_clISt17integral_constantIbLb0EES1P_IbLb1EEEEDaS1L_S1M_EUlS1L_E_NS1_11comp_targetILNS1_3genE8ELNS1_11target_archE1030ELNS1_3gpuE2ELNS1_3repE0EEENS1_30default_config_static_selectorELNS0_4arch9wavefront6targetE0EEEvSZ_: ; @_ZN7rocprim17ROCPRIM_400000_NS6detail17trampoline_kernelINS0_13select_configILj256ELj13ELNS0_17block_load_methodE3ELS4_3ELS4_3ELNS0_20block_scan_algorithmE0ELj4294967295EEENS1_25partition_config_selectorILNS1_17partition_subalgoE3EjNS0_10empty_typeEbEEZZNS1_14partition_implILS8_3ELb0ES6_jNS0_17counting_iteratorIjlEEPS9_SE_NS0_5tupleIJPjSE_EEENSF_IJSE_SE_EEES9_SG_JZNS1_25segmented_radix_sort_implINS0_14default_configELb0EPK6__halfPSL_PKlPlN2at6native12_GLOBAL__N_18offset_tEEE10hipError_tPvRmT1_PNSt15iterator_traitsISZ_E10value_typeET2_T3_PNS10_IS15_E10value_typeET4_jRbjT5_S1B_jjP12ihipStream_tbEUljE_EEESW_SX_SY_S15_S19_S1B_T6_T7_T9_mT8_S1D_bDpT10_ENKUlT_T0_E_clISt17integral_constantIbLb0EES1P_IbLb1EEEEDaS1L_S1M_EUlS1L_E_NS1_11comp_targetILNS1_3genE8ELNS1_11target_archE1030ELNS1_3gpuE2ELNS1_3repE0EEENS1_30default_config_static_selectorELNS0_4arch9wavefront6targetE0EEEvSZ_
; %bb.0:
	.section	.rodata,"a",@progbits
	.p2align	6, 0x0
	.amdhsa_kernel _ZN7rocprim17ROCPRIM_400000_NS6detail17trampoline_kernelINS0_13select_configILj256ELj13ELNS0_17block_load_methodE3ELS4_3ELS4_3ELNS0_20block_scan_algorithmE0ELj4294967295EEENS1_25partition_config_selectorILNS1_17partition_subalgoE3EjNS0_10empty_typeEbEEZZNS1_14partition_implILS8_3ELb0ES6_jNS0_17counting_iteratorIjlEEPS9_SE_NS0_5tupleIJPjSE_EEENSF_IJSE_SE_EEES9_SG_JZNS1_25segmented_radix_sort_implINS0_14default_configELb0EPK6__halfPSL_PKlPlN2at6native12_GLOBAL__N_18offset_tEEE10hipError_tPvRmT1_PNSt15iterator_traitsISZ_E10value_typeET2_T3_PNS10_IS15_E10value_typeET4_jRbjT5_S1B_jjP12ihipStream_tbEUljE_EEESW_SX_SY_S15_S19_S1B_T6_T7_T9_mT8_S1D_bDpT10_ENKUlT_T0_E_clISt17integral_constantIbLb0EES1P_IbLb1EEEEDaS1L_S1M_EUlS1L_E_NS1_11comp_targetILNS1_3genE8ELNS1_11target_archE1030ELNS1_3gpuE2ELNS1_3repE0EEENS1_30default_config_static_selectorELNS0_4arch9wavefront6targetE0EEEvSZ_
		.amdhsa_group_segment_fixed_size 0
		.amdhsa_private_segment_fixed_size 0
		.amdhsa_kernarg_size 152
		.amdhsa_user_sgpr_count 15
		.amdhsa_user_sgpr_dispatch_ptr 0
		.amdhsa_user_sgpr_queue_ptr 0
		.amdhsa_user_sgpr_kernarg_segment_ptr 1
		.amdhsa_user_sgpr_dispatch_id 0
		.amdhsa_user_sgpr_private_segment_size 0
		.amdhsa_wavefront_size32 1
		.amdhsa_uses_dynamic_stack 0
		.amdhsa_enable_private_segment 0
		.amdhsa_system_sgpr_workgroup_id_x 1
		.amdhsa_system_sgpr_workgroup_id_y 0
		.amdhsa_system_sgpr_workgroup_id_z 0
		.amdhsa_system_sgpr_workgroup_info 0
		.amdhsa_system_vgpr_workitem_id 0
		.amdhsa_next_free_vgpr 1
		.amdhsa_next_free_sgpr 1
		.amdhsa_reserve_vcc 0
		.amdhsa_float_round_mode_32 0
		.amdhsa_float_round_mode_16_64 0
		.amdhsa_float_denorm_mode_32 3
		.amdhsa_float_denorm_mode_16_64 3
		.amdhsa_dx10_clamp 1
		.amdhsa_ieee_mode 1
		.amdhsa_fp16_overflow 0
		.amdhsa_workgroup_processor_mode 1
		.amdhsa_memory_ordered 1
		.amdhsa_forward_progress 0
		.amdhsa_shared_vgpr_count 0
		.amdhsa_exception_fp_ieee_invalid_op 0
		.amdhsa_exception_fp_denorm_src 0
		.amdhsa_exception_fp_ieee_div_zero 0
		.amdhsa_exception_fp_ieee_overflow 0
		.amdhsa_exception_fp_ieee_underflow 0
		.amdhsa_exception_fp_ieee_inexact 0
		.amdhsa_exception_int_div_zero 0
	.end_amdhsa_kernel
	.section	.text._ZN7rocprim17ROCPRIM_400000_NS6detail17trampoline_kernelINS0_13select_configILj256ELj13ELNS0_17block_load_methodE3ELS4_3ELS4_3ELNS0_20block_scan_algorithmE0ELj4294967295EEENS1_25partition_config_selectorILNS1_17partition_subalgoE3EjNS0_10empty_typeEbEEZZNS1_14partition_implILS8_3ELb0ES6_jNS0_17counting_iteratorIjlEEPS9_SE_NS0_5tupleIJPjSE_EEENSF_IJSE_SE_EEES9_SG_JZNS1_25segmented_radix_sort_implINS0_14default_configELb0EPK6__halfPSL_PKlPlN2at6native12_GLOBAL__N_18offset_tEEE10hipError_tPvRmT1_PNSt15iterator_traitsISZ_E10value_typeET2_T3_PNS10_IS15_E10value_typeET4_jRbjT5_S1B_jjP12ihipStream_tbEUljE_EEESW_SX_SY_S15_S19_S1B_T6_T7_T9_mT8_S1D_bDpT10_ENKUlT_T0_E_clISt17integral_constantIbLb0EES1P_IbLb1EEEEDaS1L_S1M_EUlS1L_E_NS1_11comp_targetILNS1_3genE8ELNS1_11target_archE1030ELNS1_3gpuE2ELNS1_3repE0EEENS1_30default_config_static_selectorELNS0_4arch9wavefront6targetE0EEEvSZ_,"axG",@progbits,_ZN7rocprim17ROCPRIM_400000_NS6detail17trampoline_kernelINS0_13select_configILj256ELj13ELNS0_17block_load_methodE3ELS4_3ELS4_3ELNS0_20block_scan_algorithmE0ELj4294967295EEENS1_25partition_config_selectorILNS1_17partition_subalgoE3EjNS0_10empty_typeEbEEZZNS1_14partition_implILS8_3ELb0ES6_jNS0_17counting_iteratorIjlEEPS9_SE_NS0_5tupleIJPjSE_EEENSF_IJSE_SE_EEES9_SG_JZNS1_25segmented_radix_sort_implINS0_14default_configELb0EPK6__halfPSL_PKlPlN2at6native12_GLOBAL__N_18offset_tEEE10hipError_tPvRmT1_PNSt15iterator_traitsISZ_E10value_typeET2_T3_PNS10_IS15_E10value_typeET4_jRbjT5_S1B_jjP12ihipStream_tbEUljE_EEESW_SX_SY_S15_S19_S1B_T6_T7_T9_mT8_S1D_bDpT10_ENKUlT_T0_E_clISt17integral_constantIbLb0EES1P_IbLb1EEEEDaS1L_S1M_EUlS1L_E_NS1_11comp_targetILNS1_3genE8ELNS1_11target_archE1030ELNS1_3gpuE2ELNS1_3repE0EEENS1_30default_config_static_selectorELNS0_4arch9wavefront6targetE0EEEvSZ_,comdat
.Lfunc_end1841:
	.size	_ZN7rocprim17ROCPRIM_400000_NS6detail17trampoline_kernelINS0_13select_configILj256ELj13ELNS0_17block_load_methodE3ELS4_3ELS4_3ELNS0_20block_scan_algorithmE0ELj4294967295EEENS1_25partition_config_selectorILNS1_17partition_subalgoE3EjNS0_10empty_typeEbEEZZNS1_14partition_implILS8_3ELb0ES6_jNS0_17counting_iteratorIjlEEPS9_SE_NS0_5tupleIJPjSE_EEENSF_IJSE_SE_EEES9_SG_JZNS1_25segmented_radix_sort_implINS0_14default_configELb0EPK6__halfPSL_PKlPlN2at6native12_GLOBAL__N_18offset_tEEE10hipError_tPvRmT1_PNSt15iterator_traitsISZ_E10value_typeET2_T3_PNS10_IS15_E10value_typeET4_jRbjT5_S1B_jjP12ihipStream_tbEUljE_EEESW_SX_SY_S15_S19_S1B_T6_T7_T9_mT8_S1D_bDpT10_ENKUlT_T0_E_clISt17integral_constantIbLb0EES1P_IbLb1EEEEDaS1L_S1M_EUlS1L_E_NS1_11comp_targetILNS1_3genE8ELNS1_11target_archE1030ELNS1_3gpuE2ELNS1_3repE0EEENS1_30default_config_static_selectorELNS0_4arch9wavefront6targetE0EEEvSZ_, .Lfunc_end1841-_ZN7rocprim17ROCPRIM_400000_NS6detail17trampoline_kernelINS0_13select_configILj256ELj13ELNS0_17block_load_methodE3ELS4_3ELS4_3ELNS0_20block_scan_algorithmE0ELj4294967295EEENS1_25partition_config_selectorILNS1_17partition_subalgoE3EjNS0_10empty_typeEbEEZZNS1_14partition_implILS8_3ELb0ES6_jNS0_17counting_iteratorIjlEEPS9_SE_NS0_5tupleIJPjSE_EEENSF_IJSE_SE_EEES9_SG_JZNS1_25segmented_radix_sort_implINS0_14default_configELb0EPK6__halfPSL_PKlPlN2at6native12_GLOBAL__N_18offset_tEEE10hipError_tPvRmT1_PNSt15iterator_traitsISZ_E10value_typeET2_T3_PNS10_IS15_E10value_typeET4_jRbjT5_S1B_jjP12ihipStream_tbEUljE_EEESW_SX_SY_S15_S19_S1B_T6_T7_T9_mT8_S1D_bDpT10_ENKUlT_T0_E_clISt17integral_constantIbLb0EES1P_IbLb1EEEEDaS1L_S1M_EUlS1L_E_NS1_11comp_targetILNS1_3genE8ELNS1_11target_archE1030ELNS1_3gpuE2ELNS1_3repE0EEENS1_30default_config_static_selectorELNS0_4arch9wavefront6targetE0EEEvSZ_
                                        ; -- End function
	.section	.AMDGPU.csdata,"",@progbits
; Kernel info:
; codeLenInByte = 0
; NumSgprs: 0
; NumVgprs: 0
; ScratchSize: 0
; MemoryBound: 0
; FloatMode: 240
; IeeeMode: 1
; LDSByteSize: 0 bytes/workgroup (compile time only)
; SGPRBlocks: 0
; VGPRBlocks: 0
; NumSGPRsForWavesPerEU: 1
; NumVGPRsForWavesPerEU: 1
; Occupancy: 16
; WaveLimiterHint : 0
; COMPUTE_PGM_RSRC2:SCRATCH_EN: 0
; COMPUTE_PGM_RSRC2:USER_SGPR: 15
; COMPUTE_PGM_RSRC2:TRAP_HANDLER: 0
; COMPUTE_PGM_RSRC2:TGID_X_EN: 1
; COMPUTE_PGM_RSRC2:TGID_Y_EN: 0
; COMPUTE_PGM_RSRC2:TGID_Z_EN: 0
; COMPUTE_PGM_RSRC2:TIDIG_COMP_CNT: 0
	.section	.text._ZN7rocprim17ROCPRIM_400000_NS6detail17trampoline_kernelINS0_14default_configENS1_36segmented_radix_sort_config_selectorI6__halflEEZNS1_25segmented_radix_sort_implIS3_Lb0EPKS5_PS5_PKlPlN2at6native12_GLOBAL__N_18offset_tEEE10hipError_tPvRmT1_PNSt15iterator_traitsISL_E10value_typeET2_T3_PNSM_ISR_E10value_typeET4_jRbjT5_SX_jjP12ihipStream_tbEUlT_E_NS1_11comp_targetILNS1_3genE0ELNS1_11target_archE4294967295ELNS1_3gpuE0ELNS1_3repE0EEENS1_30default_config_static_selectorELNS0_4arch9wavefront6targetE0EEEvSL_,"axG",@progbits,_ZN7rocprim17ROCPRIM_400000_NS6detail17trampoline_kernelINS0_14default_configENS1_36segmented_radix_sort_config_selectorI6__halflEEZNS1_25segmented_radix_sort_implIS3_Lb0EPKS5_PS5_PKlPlN2at6native12_GLOBAL__N_18offset_tEEE10hipError_tPvRmT1_PNSt15iterator_traitsISL_E10value_typeET2_T3_PNSM_ISR_E10value_typeET4_jRbjT5_SX_jjP12ihipStream_tbEUlT_E_NS1_11comp_targetILNS1_3genE0ELNS1_11target_archE4294967295ELNS1_3gpuE0ELNS1_3repE0EEENS1_30default_config_static_selectorELNS0_4arch9wavefront6targetE0EEEvSL_,comdat
	.globl	_ZN7rocprim17ROCPRIM_400000_NS6detail17trampoline_kernelINS0_14default_configENS1_36segmented_radix_sort_config_selectorI6__halflEEZNS1_25segmented_radix_sort_implIS3_Lb0EPKS5_PS5_PKlPlN2at6native12_GLOBAL__N_18offset_tEEE10hipError_tPvRmT1_PNSt15iterator_traitsISL_E10value_typeET2_T3_PNSM_ISR_E10value_typeET4_jRbjT5_SX_jjP12ihipStream_tbEUlT_E_NS1_11comp_targetILNS1_3genE0ELNS1_11target_archE4294967295ELNS1_3gpuE0ELNS1_3repE0EEENS1_30default_config_static_selectorELNS0_4arch9wavefront6targetE0EEEvSL_ ; -- Begin function _ZN7rocprim17ROCPRIM_400000_NS6detail17trampoline_kernelINS0_14default_configENS1_36segmented_radix_sort_config_selectorI6__halflEEZNS1_25segmented_radix_sort_implIS3_Lb0EPKS5_PS5_PKlPlN2at6native12_GLOBAL__N_18offset_tEEE10hipError_tPvRmT1_PNSt15iterator_traitsISL_E10value_typeET2_T3_PNSM_ISR_E10value_typeET4_jRbjT5_SX_jjP12ihipStream_tbEUlT_E_NS1_11comp_targetILNS1_3genE0ELNS1_11target_archE4294967295ELNS1_3gpuE0ELNS1_3repE0EEENS1_30default_config_static_selectorELNS0_4arch9wavefront6targetE0EEEvSL_
	.p2align	8
	.type	_ZN7rocprim17ROCPRIM_400000_NS6detail17trampoline_kernelINS0_14default_configENS1_36segmented_radix_sort_config_selectorI6__halflEEZNS1_25segmented_radix_sort_implIS3_Lb0EPKS5_PS5_PKlPlN2at6native12_GLOBAL__N_18offset_tEEE10hipError_tPvRmT1_PNSt15iterator_traitsISL_E10value_typeET2_T3_PNSM_ISR_E10value_typeET4_jRbjT5_SX_jjP12ihipStream_tbEUlT_E_NS1_11comp_targetILNS1_3genE0ELNS1_11target_archE4294967295ELNS1_3gpuE0ELNS1_3repE0EEENS1_30default_config_static_selectorELNS0_4arch9wavefront6targetE0EEEvSL_,@function
_ZN7rocprim17ROCPRIM_400000_NS6detail17trampoline_kernelINS0_14default_configENS1_36segmented_radix_sort_config_selectorI6__halflEEZNS1_25segmented_radix_sort_implIS3_Lb0EPKS5_PS5_PKlPlN2at6native12_GLOBAL__N_18offset_tEEE10hipError_tPvRmT1_PNSt15iterator_traitsISL_E10value_typeET2_T3_PNSM_ISR_E10value_typeET4_jRbjT5_SX_jjP12ihipStream_tbEUlT_E_NS1_11comp_targetILNS1_3genE0ELNS1_11target_archE4294967295ELNS1_3gpuE0ELNS1_3repE0EEENS1_30default_config_static_selectorELNS0_4arch9wavefront6targetE0EEEvSL_: ; @_ZN7rocprim17ROCPRIM_400000_NS6detail17trampoline_kernelINS0_14default_configENS1_36segmented_radix_sort_config_selectorI6__halflEEZNS1_25segmented_radix_sort_implIS3_Lb0EPKS5_PS5_PKlPlN2at6native12_GLOBAL__N_18offset_tEEE10hipError_tPvRmT1_PNSt15iterator_traitsISL_E10value_typeET2_T3_PNSM_ISR_E10value_typeET4_jRbjT5_SX_jjP12ihipStream_tbEUlT_E_NS1_11comp_targetILNS1_3genE0ELNS1_11target_archE4294967295ELNS1_3gpuE0ELNS1_3repE0EEENS1_30default_config_static_selectorELNS0_4arch9wavefront6targetE0EEEvSL_
; %bb.0:
	.section	.rodata,"a",@progbits
	.p2align	6, 0x0
	.amdhsa_kernel _ZN7rocprim17ROCPRIM_400000_NS6detail17trampoline_kernelINS0_14default_configENS1_36segmented_radix_sort_config_selectorI6__halflEEZNS1_25segmented_radix_sort_implIS3_Lb0EPKS5_PS5_PKlPlN2at6native12_GLOBAL__N_18offset_tEEE10hipError_tPvRmT1_PNSt15iterator_traitsISL_E10value_typeET2_T3_PNSM_ISR_E10value_typeET4_jRbjT5_SX_jjP12ihipStream_tbEUlT_E_NS1_11comp_targetILNS1_3genE0ELNS1_11target_archE4294967295ELNS1_3gpuE0ELNS1_3repE0EEENS1_30default_config_static_selectorELNS0_4arch9wavefront6targetE0EEEvSL_
		.amdhsa_group_segment_fixed_size 0
		.amdhsa_private_segment_fixed_size 0
		.amdhsa_kernarg_size 96
		.amdhsa_user_sgpr_count 15
		.amdhsa_user_sgpr_dispatch_ptr 0
		.amdhsa_user_sgpr_queue_ptr 0
		.amdhsa_user_sgpr_kernarg_segment_ptr 1
		.amdhsa_user_sgpr_dispatch_id 0
		.amdhsa_user_sgpr_private_segment_size 0
		.amdhsa_wavefront_size32 1
		.amdhsa_uses_dynamic_stack 0
		.amdhsa_enable_private_segment 0
		.amdhsa_system_sgpr_workgroup_id_x 1
		.amdhsa_system_sgpr_workgroup_id_y 0
		.amdhsa_system_sgpr_workgroup_id_z 0
		.amdhsa_system_sgpr_workgroup_info 0
		.amdhsa_system_vgpr_workitem_id 0
		.amdhsa_next_free_vgpr 1
		.amdhsa_next_free_sgpr 1
		.amdhsa_reserve_vcc 0
		.amdhsa_float_round_mode_32 0
		.amdhsa_float_round_mode_16_64 0
		.amdhsa_float_denorm_mode_32 3
		.amdhsa_float_denorm_mode_16_64 3
		.amdhsa_dx10_clamp 1
		.amdhsa_ieee_mode 1
		.amdhsa_fp16_overflow 0
		.amdhsa_workgroup_processor_mode 1
		.amdhsa_memory_ordered 1
		.amdhsa_forward_progress 0
		.amdhsa_shared_vgpr_count 0
		.amdhsa_exception_fp_ieee_invalid_op 0
		.amdhsa_exception_fp_denorm_src 0
		.amdhsa_exception_fp_ieee_div_zero 0
		.amdhsa_exception_fp_ieee_overflow 0
		.amdhsa_exception_fp_ieee_underflow 0
		.amdhsa_exception_fp_ieee_inexact 0
		.amdhsa_exception_int_div_zero 0
	.end_amdhsa_kernel
	.section	.text._ZN7rocprim17ROCPRIM_400000_NS6detail17trampoline_kernelINS0_14default_configENS1_36segmented_radix_sort_config_selectorI6__halflEEZNS1_25segmented_radix_sort_implIS3_Lb0EPKS5_PS5_PKlPlN2at6native12_GLOBAL__N_18offset_tEEE10hipError_tPvRmT1_PNSt15iterator_traitsISL_E10value_typeET2_T3_PNSM_ISR_E10value_typeET4_jRbjT5_SX_jjP12ihipStream_tbEUlT_E_NS1_11comp_targetILNS1_3genE0ELNS1_11target_archE4294967295ELNS1_3gpuE0ELNS1_3repE0EEENS1_30default_config_static_selectorELNS0_4arch9wavefront6targetE0EEEvSL_,"axG",@progbits,_ZN7rocprim17ROCPRIM_400000_NS6detail17trampoline_kernelINS0_14default_configENS1_36segmented_radix_sort_config_selectorI6__halflEEZNS1_25segmented_radix_sort_implIS3_Lb0EPKS5_PS5_PKlPlN2at6native12_GLOBAL__N_18offset_tEEE10hipError_tPvRmT1_PNSt15iterator_traitsISL_E10value_typeET2_T3_PNSM_ISR_E10value_typeET4_jRbjT5_SX_jjP12ihipStream_tbEUlT_E_NS1_11comp_targetILNS1_3genE0ELNS1_11target_archE4294967295ELNS1_3gpuE0ELNS1_3repE0EEENS1_30default_config_static_selectorELNS0_4arch9wavefront6targetE0EEEvSL_,comdat
.Lfunc_end1842:
	.size	_ZN7rocprim17ROCPRIM_400000_NS6detail17trampoline_kernelINS0_14default_configENS1_36segmented_radix_sort_config_selectorI6__halflEEZNS1_25segmented_radix_sort_implIS3_Lb0EPKS5_PS5_PKlPlN2at6native12_GLOBAL__N_18offset_tEEE10hipError_tPvRmT1_PNSt15iterator_traitsISL_E10value_typeET2_T3_PNSM_ISR_E10value_typeET4_jRbjT5_SX_jjP12ihipStream_tbEUlT_E_NS1_11comp_targetILNS1_3genE0ELNS1_11target_archE4294967295ELNS1_3gpuE0ELNS1_3repE0EEENS1_30default_config_static_selectorELNS0_4arch9wavefront6targetE0EEEvSL_, .Lfunc_end1842-_ZN7rocprim17ROCPRIM_400000_NS6detail17trampoline_kernelINS0_14default_configENS1_36segmented_radix_sort_config_selectorI6__halflEEZNS1_25segmented_radix_sort_implIS3_Lb0EPKS5_PS5_PKlPlN2at6native12_GLOBAL__N_18offset_tEEE10hipError_tPvRmT1_PNSt15iterator_traitsISL_E10value_typeET2_T3_PNSM_ISR_E10value_typeET4_jRbjT5_SX_jjP12ihipStream_tbEUlT_E_NS1_11comp_targetILNS1_3genE0ELNS1_11target_archE4294967295ELNS1_3gpuE0ELNS1_3repE0EEENS1_30default_config_static_selectorELNS0_4arch9wavefront6targetE0EEEvSL_
                                        ; -- End function
	.section	.AMDGPU.csdata,"",@progbits
; Kernel info:
; codeLenInByte = 0
; NumSgprs: 0
; NumVgprs: 0
; ScratchSize: 0
; MemoryBound: 0
; FloatMode: 240
; IeeeMode: 1
; LDSByteSize: 0 bytes/workgroup (compile time only)
; SGPRBlocks: 0
; VGPRBlocks: 0
; NumSGPRsForWavesPerEU: 1
; NumVGPRsForWavesPerEU: 1
; Occupancy: 16
; WaveLimiterHint : 0
; COMPUTE_PGM_RSRC2:SCRATCH_EN: 0
; COMPUTE_PGM_RSRC2:USER_SGPR: 15
; COMPUTE_PGM_RSRC2:TRAP_HANDLER: 0
; COMPUTE_PGM_RSRC2:TGID_X_EN: 1
; COMPUTE_PGM_RSRC2:TGID_Y_EN: 0
; COMPUTE_PGM_RSRC2:TGID_Z_EN: 0
; COMPUTE_PGM_RSRC2:TIDIG_COMP_CNT: 0
	.section	.text._ZN7rocprim17ROCPRIM_400000_NS6detail17trampoline_kernelINS0_14default_configENS1_36segmented_radix_sort_config_selectorI6__halflEEZNS1_25segmented_radix_sort_implIS3_Lb0EPKS5_PS5_PKlPlN2at6native12_GLOBAL__N_18offset_tEEE10hipError_tPvRmT1_PNSt15iterator_traitsISL_E10value_typeET2_T3_PNSM_ISR_E10value_typeET4_jRbjT5_SX_jjP12ihipStream_tbEUlT_E_NS1_11comp_targetILNS1_3genE5ELNS1_11target_archE942ELNS1_3gpuE9ELNS1_3repE0EEENS1_30default_config_static_selectorELNS0_4arch9wavefront6targetE0EEEvSL_,"axG",@progbits,_ZN7rocprim17ROCPRIM_400000_NS6detail17trampoline_kernelINS0_14default_configENS1_36segmented_radix_sort_config_selectorI6__halflEEZNS1_25segmented_radix_sort_implIS3_Lb0EPKS5_PS5_PKlPlN2at6native12_GLOBAL__N_18offset_tEEE10hipError_tPvRmT1_PNSt15iterator_traitsISL_E10value_typeET2_T3_PNSM_ISR_E10value_typeET4_jRbjT5_SX_jjP12ihipStream_tbEUlT_E_NS1_11comp_targetILNS1_3genE5ELNS1_11target_archE942ELNS1_3gpuE9ELNS1_3repE0EEENS1_30default_config_static_selectorELNS0_4arch9wavefront6targetE0EEEvSL_,comdat
	.globl	_ZN7rocprim17ROCPRIM_400000_NS6detail17trampoline_kernelINS0_14default_configENS1_36segmented_radix_sort_config_selectorI6__halflEEZNS1_25segmented_radix_sort_implIS3_Lb0EPKS5_PS5_PKlPlN2at6native12_GLOBAL__N_18offset_tEEE10hipError_tPvRmT1_PNSt15iterator_traitsISL_E10value_typeET2_T3_PNSM_ISR_E10value_typeET4_jRbjT5_SX_jjP12ihipStream_tbEUlT_E_NS1_11comp_targetILNS1_3genE5ELNS1_11target_archE942ELNS1_3gpuE9ELNS1_3repE0EEENS1_30default_config_static_selectorELNS0_4arch9wavefront6targetE0EEEvSL_ ; -- Begin function _ZN7rocprim17ROCPRIM_400000_NS6detail17trampoline_kernelINS0_14default_configENS1_36segmented_radix_sort_config_selectorI6__halflEEZNS1_25segmented_radix_sort_implIS3_Lb0EPKS5_PS5_PKlPlN2at6native12_GLOBAL__N_18offset_tEEE10hipError_tPvRmT1_PNSt15iterator_traitsISL_E10value_typeET2_T3_PNSM_ISR_E10value_typeET4_jRbjT5_SX_jjP12ihipStream_tbEUlT_E_NS1_11comp_targetILNS1_3genE5ELNS1_11target_archE942ELNS1_3gpuE9ELNS1_3repE0EEENS1_30default_config_static_selectorELNS0_4arch9wavefront6targetE0EEEvSL_
	.p2align	8
	.type	_ZN7rocprim17ROCPRIM_400000_NS6detail17trampoline_kernelINS0_14default_configENS1_36segmented_radix_sort_config_selectorI6__halflEEZNS1_25segmented_radix_sort_implIS3_Lb0EPKS5_PS5_PKlPlN2at6native12_GLOBAL__N_18offset_tEEE10hipError_tPvRmT1_PNSt15iterator_traitsISL_E10value_typeET2_T3_PNSM_ISR_E10value_typeET4_jRbjT5_SX_jjP12ihipStream_tbEUlT_E_NS1_11comp_targetILNS1_3genE5ELNS1_11target_archE942ELNS1_3gpuE9ELNS1_3repE0EEENS1_30default_config_static_selectorELNS0_4arch9wavefront6targetE0EEEvSL_,@function
_ZN7rocprim17ROCPRIM_400000_NS6detail17trampoline_kernelINS0_14default_configENS1_36segmented_radix_sort_config_selectorI6__halflEEZNS1_25segmented_radix_sort_implIS3_Lb0EPKS5_PS5_PKlPlN2at6native12_GLOBAL__N_18offset_tEEE10hipError_tPvRmT1_PNSt15iterator_traitsISL_E10value_typeET2_T3_PNSM_ISR_E10value_typeET4_jRbjT5_SX_jjP12ihipStream_tbEUlT_E_NS1_11comp_targetILNS1_3genE5ELNS1_11target_archE942ELNS1_3gpuE9ELNS1_3repE0EEENS1_30default_config_static_selectorELNS0_4arch9wavefront6targetE0EEEvSL_: ; @_ZN7rocprim17ROCPRIM_400000_NS6detail17trampoline_kernelINS0_14default_configENS1_36segmented_radix_sort_config_selectorI6__halflEEZNS1_25segmented_radix_sort_implIS3_Lb0EPKS5_PS5_PKlPlN2at6native12_GLOBAL__N_18offset_tEEE10hipError_tPvRmT1_PNSt15iterator_traitsISL_E10value_typeET2_T3_PNSM_ISR_E10value_typeET4_jRbjT5_SX_jjP12ihipStream_tbEUlT_E_NS1_11comp_targetILNS1_3genE5ELNS1_11target_archE942ELNS1_3gpuE9ELNS1_3repE0EEENS1_30default_config_static_selectorELNS0_4arch9wavefront6targetE0EEEvSL_
; %bb.0:
	.section	.rodata,"a",@progbits
	.p2align	6, 0x0
	.amdhsa_kernel _ZN7rocprim17ROCPRIM_400000_NS6detail17trampoline_kernelINS0_14default_configENS1_36segmented_radix_sort_config_selectorI6__halflEEZNS1_25segmented_radix_sort_implIS3_Lb0EPKS5_PS5_PKlPlN2at6native12_GLOBAL__N_18offset_tEEE10hipError_tPvRmT1_PNSt15iterator_traitsISL_E10value_typeET2_T3_PNSM_ISR_E10value_typeET4_jRbjT5_SX_jjP12ihipStream_tbEUlT_E_NS1_11comp_targetILNS1_3genE5ELNS1_11target_archE942ELNS1_3gpuE9ELNS1_3repE0EEENS1_30default_config_static_selectorELNS0_4arch9wavefront6targetE0EEEvSL_
		.amdhsa_group_segment_fixed_size 0
		.amdhsa_private_segment_fixed_size 0
		.amdhsa_kernarg_size 96
		.amdhsa_user_sgpr_count 15
		.amdhsa_user_sgpr_dispatch_ptr 0
		.amdhsa_user_sgpr_queue_ptr 0
		.amdhsa_user_sgpr_kernarg_segment_ptr 1
		.amdhsa_user_sgpr_dispatch_id 0
		.amdhsa_user_sgpr_private_segment_size 0
		.amdhsa_wavefront_size32 1
		.amdhsa_uses_dynamic_stack 0
		.amdhsa_enable_private_segment 0
		.amdhsa_system_sgpr_workgroup_id_x 1
		.amdhsa_system_sgpr_workgroup_id_y 0
		.amdhsa_system_sgpr_workgroup_id_z 0
		.amdhsa_system_sgpr_workgroup_info 0
		.amdhsa_system_vgpr_workitem_id 0
		.amdhsa_next_free_vgpr 1
		.amdhsa_next_free_sgpr 1
		.amdhsa_reserve_vcc 0
		.amdhsa_float_round_mode_32 0
		.amdhsa_float_round_mode_16_64 0
		.amdhsa_float_denorm_mode_32 3
		.amdhsa_float_denorm_mode_16_64 3
		.amdhsa_dx10_clamp 1
		.amdhsa_ieee_mode 1
		.amdhsa_fp16_overflow 0
		.amdhsa_workgroup_processor_mode 1
		.amdhsa_memory_ordered 1
		.amdhsa_forward_progress 0
		.amdhsa_shared_vgpr_count 0
		.amdhsa_exception_fp_ieee_invalid_op 0
		.amdhsa_exception_fp_denorm_src 0
		.amdhsa_exception_fp_ieee_div_zero 0
		.amdhsa_exception_fp_ieee_overflow 0
		.amdhsa_exception_fp_ieee_underflow 0
		.amdhsa_exception_fp_ieee_inexact 0
		.amdhsa_exception_int_div_zero 0
	.end_amdhsa_kernel
	.section	.text._ZN7rocprim17ROCPRIM_400000_NS6detail17trampoline_kernelINS0_14default_configENS1_36segmented_radix_sort_config_selectorI6__halflEEZNS1_25segmented_radix_sort_implIS3_Lb0EPKS5_PS5_PKlPlN2at6native12_GLOBAL__N_18offset_tEEE10hipError_tPvRmT1_PNSt15iterator_traitsISL_E10value_typeET2_T3_PNSM_ISR_E10value_typeET4_jRbjT5_SX_jjP12ihipStream_tbEUlT_E_NS1_11comp_targetILNS1_3genE5ELNS1_11target_archE942ELNS1_3gpuE9ELNS1_3repE0EEENS1_30default_config_static_selectorELNS0_4arch9wavefront6targetE0EEEvSL_,"axG",@progbits,_ZN7rocprim17ROCPRIM_400000_NS6detail17trampoline_kernelINS0_14default_configENS1_36segmented_radix_sort_config_selectorI6__halflEEZNS1_25segmented_radix_sort_implIS3_Lb0EPKS5_PS5_PKlPlN2at6native12_GLOBAL__N_18offset_tEEE10hipError_tPvRmT1_PNSt15iterator_traitsISL_E10value_typeET2_T3_PNSM_ISR_E10value_typeET4_jRbjT5_SX_jjP12ihipStream_tbEUlT_E_NS1_11comp_targetILNS1_3genE5ELNS1_11target_archE942ELNS1_3gpuE9ELNS1_3repE0EEENS1_30default_config_static_selectorELNS0_4arch9wavefront6targetE0EEEvSL_,comdat
.Lfunc_end1843:
	.size	_ZN7rocprim17ROCPRIM_400000_NS6detail17trampoline_kernelINS0_14default_configENS1_36segmented_radix_sort_config_selectorI6__halflEEZNS1_25segmented_radix_sort_implIS3_Lb0EPKS5_PS5_PKlPlN2at6native12_GLOBAL__N_18offset_tEEE10hipError_tPvRmT1_PNSt15iterator_traitsISL_E10value_typeET2_T3_PNSM_ISR_E10value_typeET4_jRbjT5_SX_jjP12ihipStream_tbEUlT_E_NS1_11comp_targetILNS1_3genE5ELNS1_11target_archE942ELNS1_3gpuE9ELNS1_3repE0EEENS1_30default_config_static_selectorELNS0_4arch9wavefront6targetE0EEEvSL_, .Lfunc_end1843-_ZN7rocprim17ROCPRIM_400000_NS6detail17trampoline_kernelINS0_14default_configENS1_36segmented_radix_sort_config_selectorI6__halflEEZNS1_25segmented_radix_sort_implIS3_Lb0EPKS5_PS5_PKlPlN2at6native12_GLOBAL__N_18offset_tEEE10hipError_tPvRmT1_PNSt15iterator_traitsISL_E10value_typeET2_T3_PNSM_ISR_E10value_typeET4_jRbjT5_SX_jjP12ihipStream_tbEUlT_E_NS1_11comp_targetILNS1_3genE5ELNS1_11target_archE942ELNS1_3gpuE9ELNS1_3repE0EEENS1_30default_config_static_selectorELNS0_4arch9wavefront6targetE0EEEvSL_
                                        ; -- End function
	.section	.AMDGPU.csdata,"",@progbits
; Kernel info:
; codeLenInByte = 0
; NumSgprs: 0
; NumVgprs: 0
; ScratchSize: 0
; MemoryBound: 0
; FloatMode: 240
; IeeeMode: 1
; LDSByteSize: 0 bytes/workgroup (compile time only)
; SGPRBlocks: 0
; VGPRBlocks: 0
; NumSGPRsForWavesPerEU: 1
; NumVGPRsForWavesPerEU: 1
; Occupancy: 16
; WaveLimiterHint : 0
; COMPUTE_PGM_RSRC2:SCRATCH_EN: 0
; COMPUTE_PGM_RSRC2:USER_SGPR: 15
; COMPUTE_PGM_RSRC2:TRAP_HANDLER: 0
; COMPUTE_PGM_RSRC2:TGID_X_EN: 1
; COMPUTE_PGM_RSRC2:TGID_Y_EN: 0
; COMPUTE_PGM_RSRC2:TGID_Z_EN: 0
; COMPUTE_PGM_RSRC2:TIDIG_COMP_CNT: 0
	.section	.text._ZN7rocprim17ROCPRIM_400000_NS6detail17trampoline_kernelINS0_14default_configENS1_36segmented_radix_sort_config_selectorI6__halflEEZNS1_25segmented_radix_sort_implIS3_Lb0EPKS5_PS5_PKlPlN2at6native12_GLOBAL__N_18offset_tEEE10hipError_tPvRmT1_PNSt15iterator_traitsISL_E10value_typeET2_T3_PNSM_ISR_E10value_typeET4_jRbjT5_SX_jjP12ihipStream_tbEUlT_E_NS1_11comp_targetILNS1_3genE4ELNS1_11target_archE910ELNS1_3gpuE8ELNS1_3repE0EEENS1_30default_config_static_selectorELNS0_4arch9wavefront6targetE0EEEvSL_,"axG",@progbits,_ZN7rocprim17ROCPRIM_400000_NS6detail17trampoline_kernelINS0_14default_configENS1_36segmented_radix_sort_config_selectorI6__halflEEZNS1_25segmented_radix_sort_implIS3_Lb0EPKS5_PS5_PKlPlN2at6native12_GLOBAL__N_18offset_tEEE10hipError_tPvRmT1_PNSt15iterator_traitsISL_E10value_typeET2_T3_PNSM_ISR_E10value_typeET4_jRbjT5_SX_jjP12ihipStream_tbEUlT_E_NS1_11comp_targetILNS1_3genE4ELNS1_11target_archE910ELNS1_3gpuE8ELNS1_3repE0EEENS1_30default_config_static_selectorELNS0_4arch9wavefront6targetE0EEEvSL_,comdat
	.globl	_ZN7rocprim17ROCPRIM_400000_NS6detail17trampoline_kernelINS0_14default_configENS1_36segmented_radix_sort_config_selectorI6__halflEEZNS1_25segmented_radix_sort_implIS3_Lb0EPKS5_PS5_PKlPlN2at6native12_GLOBAL__N_18offset_tEEE10hipError_tPvRmT1_PNSt15iterator_traitsISL_E10value_typeET2_T3_PNSM_ISR_E10value_typeET4_jRbjT5_SX_jjP12ihipStream_tbEUlT_E_NS1_11comp_targetILNS1_3genE4ELNS1_11target_archE910ELNS1_3gpuE8ELNS1_3repE0EEENS1_30default_config_static_selectorELNS0_4arch9wavefront6targetE0EEEvSL_ ; -- Begin function _ZN7rocprim17ROCPRIM_400000_NS6detail17trampoline_kernelINS0_14default_configENS1_36segmented_radix_sort_config_selectorI6__halflEEZNS1_25segmented_radix_sort_implIS3_Lb0EPKS5_PS5_PKlPlN2at6native12_GLOBAL__N_18offset_tEEE10hipError_tPvRmT1_PNSt15iterator_traitsISL_E10value_typeET2_T3_PNSM_ISR_E10value_typeET4_jRbjT5_SX_jjP12ihipStream_tbEUlT_E_NS1_11comp_targetILNS1_3genE4ELNS1_11target_archE910ELNS1_3gpuE8ELNS1_3repE0EEENS1_30default_config_static_selectorELNS0_4arch9wavefront6targetE0EEEvSL_
	.p2align	8
	.type	_ZN7rocprim17ROCPRIM_400000_NS6detail17trampoline_kernelINS0_14default_configENS1_36segmented_radix_sort_config_selectorI6__halflEEZNS1_25segmented_radix_sort_implIS3_Lb0EPKS5_PS5_PKlPlN2at6native12_GLOBAL__N_18offset_tEEE10hipError_tPvRmT1_PNSt15iterator_traitsISL_E10value_typeET2_T3_PNSM_ISR_E10value_typeET4_jRbjT5_SX_jjP12ihipStream_tbEUlT_E_NS1_11comp_targetILNS1_3genE4ELNS1_11target_archE910ELNS1_3gpuE8ELNS1_3repE0EEENS1_30default_config_static_selectorELNS0_4arch9wavefront6targetE0EEEvSL_,@function
_ZN7rocprim17ROCPRIM_400000_NS6detail17trampoline_kernelINS0_14default_configENS1_36segmented_radix_sort_config_selectorI6__halflEEZNS1_25segmented_radix_sort_implIS3_Lb0EPKS5_PS5_PKlPlN2at6native12_GLOBAL__N_18offset_tEEE10hipError_tPvRmT1_PNSt15iterator_traitsISL_E10value_typeET2_T3_PNSM_ISR_E10value_typeET4_jRbjT5_SX_jjP12ihipStream_tbEUlT_E_NS1_11comp_targetILNS1_3genE4ELNS1_11target_archE910ELNS1_3gpuE8ELNS1_3repE0EEENS1_30default_config_static_selectorELNS0_4arch9wavefront6targetE0EEEvSL_: ; @_ZN7rocprim17ROCPRIM_400000_NS6detail17trampoline_kernelINS0_14default_configENS1_36segmented_radix_sort_config_selectorI6__halflEEZNS1_25segmented_radix_sort_implIS3_Lb0EPKS5_PS5_PKlPlN2at6native12_GLOBAL__N_18offset_tEEE10hipError_tPvRmT1_PNSt15iterator_traitsISL_E10value_typeET2_T3_PNSM_ISR_E10value_typeET4_jRbjT5_SX_jjP12ihipStream_tbEUlT_E_NS1_11comp_targetILNS1_3genE4ELNS1_11target_archE910ELNS1_3gpuE8ELNS1_3repE0EEENS1_30default_config_static_selectorELNS0_4arch9wavefront6targetE0EEEvSL_
; %bb.0:
	.section	.rodata,"a",@progbits
	.p2align	6, 0x0
	.amdhsa_kernel _ZN7rocprim17ROCPRIM_400000_NS6detail17trampoline_kernelINS0_14default_configENS1_36segmented_radix_sort_config_selectorI6__halflEEZNS1_25segmented_radix_sort_implIS3_Lb0EPKS5_PS5_PKlPlN2at6native12_GLOBAL__N_18offset_tEEE10hipError_tPvRmT1_PNSt15iterator_traitsISL_E10value_typeET2_T3_PNSM_ISR_E10value_typeET4_jRbjT5_SX_jjP12ihipStream_tbEUlT_E_NS1_11comp_targetILNS1_3genE4ELNS1_11target_archE910ELNS1_3gpuE8ELNS1_3repE0EEENS1_30default_config_static_selectorELNS0_4arch9wavefront6targetE0EEEvSL_
		.amdhsa_group_segment_fixed_size 0
		.amdhsa_private_segment_fixed_size 0
		.amdhsa_kernarg_size 96
		.amdhsa_user_sgpr_count 15
		.amdhsa_user_sgpr_dispatch_ptr 0
		.amdhsa_user_sgpr_queue_ptr 0
		.amdhsa_user_sgpr_kernarg_segment_ptr 1
		.amdhsa_user_sgpr_dispatch_id 0
		.amdhsa_user_sgpr_private_segment_size 0
		.amdhsa_wavefront_size32 1
		.amdhsa_uses_dynamic_stack 0
		.amdhsa_enable_private_segment 0
		.amdhsa_system_sgpr_workgroup_id_x 1
		.amdhsa_system_sgpr_workgroup_id_y 0
		.amdhsa_system_sgpr_workgroup_id_z 0
		.amdhsa_system_sgpr_workgroup_info 0
		.amdhsa_system_vgpr_workitem_id 0
		.amdhsa_next_free_vgpr 1
		.amdhsa_next_free_sgpr 1
		.amdhsa_reserve_vcc 0
		.amdhsa_float_round_mode_32 0
		.amdhsa_float_round_mode_16_64 0
		.amdhsa_float_denorm_mode_32 3
		.amdhsa_float_denorm_mode_16_64 3
		.amdhsa_dx10_clamp 1
		.amdhsa_ieee_mode 1
		.amdhsa_fp16_overflow 0
		.amdhsa_workgroup_processor_mode 1
		.amdhsa_memory_ordered 1
		.amdhsa_forward_progress 0
		.amdhsa_shared_vgpr_count 0
		.amdhsa_exception_fp_ieee_invalid_op 0
		.amdhsa_exception_fp_denorm_src 0
		.amdhsa_exception_fp_ieee_div_zero 0
		.amdhsa_exception_fp_ieee_overflow 0
		.amdhsa_exception_fp_ieee_underflow 0
		.amdhsa_exception_fp_ieee_inexact 0
		.amdhsa_exception_int_div_zero 0
	.end_amdhsa_kernel
	.section	.text._ZN7rocprim17ROCPRIM_400000_NS6detail17trampoline_kernelINS0_14default_configENS1_36segmented_radix_sort_config_selectorI6__halflEEZNS1_25segmented_radix_sort_implIS3_Lb0EPKS5_PS5_PKlPlN2at6native12_GLOBAL__N_18offset_tEEE10hipError_tPvRmT1_PNSt15iterator_traitsISL_E10value_typeET2_T3_PNSM_ISR_E10value_typeET4_jRbjT5_SX_jjP12ihipStream_tbEUlT_E_NS1_11comp_targetILNS1_3genE4ELNS1_11target_archE910ELNS1_3gpuE8ELNS1_3repE0EEENS1_30default_config_static_selectorELNS0_4arch9wavefront6targetE0EEEvSL_,"axG",@progbits,_ZN7rocprim17ROCPRIM_400000_NS6detail17trampoline_kernelINS0_14default_configENS1_36segmented_radix_sort_config_selectorI6__halflEEZNS1_25segmented_radix_sort_implIS3_Lb0EPKS5_PS5_PKlPlN2at6native12_GLOBAL__N_18offset_tEEE10hipError_tPvRmT1_PNSt15iterator_traitsISL_E10value_typeET2_T3_PNSM_ISR_E10value_typeET4_jRbjT5_SX_jjP12ihipStream_tbEUlT_E_NS1_11comp_targetILNS1_3genE4ELNS1_11target_archE910ELNS1_3gpuE8ELNS1_3repE0EEENS1_30default_config_static_selectorELNS0_4arch9wavefront6targetE0EEEvSL_,comdat
.Lfunc_end1844:
	.size	_ZN7rocprim17ROCPRIM_400000_NS6detail17trampoline_kernelINS0_14default_configENS1_36segmented_radix_sort_config_selectorI6__halflEEZNS1_25segmented_radix_sort_implIS3_Lb0EPKS5_PS5_PKlPlN2at6native12_GLOBAL__N_18offset_tEEE10hipError_tPvRmT1_PNSt15iterator_traitsISL_E10value_typeET2_T3_PNSM_ISR_E10value_typeET4_jRbjT5_SX_jjP12ihipStream_tbEUlT_E_NS1_11comp_targetILNS1_3genE4ELNS1_11target_archE910ELNS1_3gpuE8ELNS1_3repE0EEENS1_30default_config_static_selectorELNS0_4arch9wavefront6targetE0EEEvSL_, .Lfunc_end1844-_ZN7rocprim17ROCPRIM_400000_NS6detail17trampoline_kernelINS0_14default_configENS1_36segmented_radix_sort_config_selectorI6__halflEEZNS1_25segmented_radix_sort_implIS3_Lb0EPKS5_PS5_PKlPlN2at6native12_GLOBAL__N_18offset_tEEE10hipError_tPvRmT1_PNSt15iterator_traitsISL_E10value_typeET2_T3_PNSM_ISR_E10value_typeET4_jRbjT5_SX_jjP12ihipStream_tbEUlT_E_NS1_11comp_targetILNS1_3genE4ELNS1_11target_archE910ELNS1_3gpuE8ELNS1_3repE0EEENS1_30default_config_static_selectorELNS0_4arch9wavefront6targetE0EEEvSL_
                                        ; -- End function
	.section	.AMDGPU.csdata,"",@progbits
; Kernel info:
; codeLenInByte = 0
; NumSgprs: 0
; NumVgprs: 0
; ScratchSize: 0
; MemoryBound: 0
; FloatMode: 240
; IeeeMode: 1
; LDSByteSize: 0 bytes/workgroup (compile time only)
; SGPRBlocks: 0
; VGPRBlocks: 0
; NumSGPRsForWavesPerEU: 1
; NumVGPRsForWavesPerEU: 1
; Occupancy: 16
; WaveLimiterHint : 0
; COMPUTE_PGM_RSRC2:SCRATCH_EN: 0
; COMPUTE_PGM_RSRC2:USER_SGPR: 15
; COMPUTE_PGM_RSRC2:TRAP_HANDLER: 0
; COMPUTE_PGM_RSRC2:TGID_X_EN: 1
; COMPUTE_PGM_RSRC2:TGID_Y_EN: 0
; COMPUTE_PGM_RSRC2:TGID_Z_EN: 0
; COMPUTE_PGM_RSRC2:TIDIG_COMP_CNT: 0
	.section	.text._ZN7rocprim17ROCPRIM_400000_NS6detail17trampoline_kernelINS0_14default_configENS1_36segmented_radix_sort_config_selectorI6__halflEEZNS1_25segmented_radix_sort_implIS3_Lb0EPKS5_PS5_PKlPlN2at6native12_GLOBAL__N_18offset_tEEE10hipError_tPvRmT1_PNSt15iterator_traitsISL_E10value_typeET2_T3_PNSM_ISR_E10value_typeET4_jRbjT5_SX_jjP12ihipStream_tbEUlT_E_NS1_11comp_targetILNS1_3genE3ELNS1_11target_archE908ELNS1_3gpuE7ELNS1_3repE0EEENS1_30default_config_static_selectorELNS0_4arch9wavefront6targetE0EEEvSL_,"axG",@progbits,_ZN7rocprim17ROCPRIM_400000_NS6detail17trampoline_kernelINS0_14default_configENS1_36segmented_radix_sort_config_selectorI6__halflEEZNS1_25segmented_radix_sort_implIS3_Lb0EPKS5_PS5_PKlPlN2at6native12_GLOBAL__N_18offset_tEEE10hipError_tPvRmT1_PNSt15iterator_traitsISL_E10value_typeET2_T3_PNSM_ISR_E10value_typeET4_jRbjT5_SX_jjP12ihipStream_tbEUlT_E_NS1_11comp_targetILNS1_3genE3ELNS1_11target_archE908ELNS1_3gpuE7ELNS1_3repE0EEENS1_30default_config_static_selectorELNS0_4arch9wavefront6targetE0EEEvSL_,comdat
	.globl	_ZN7rocprim17ROCPRIM_400000_NS6detail17trampoline_kernelINS0_14default_configENS1_36segmented_radix_sort_config_selectorI6__halflEEZNS1_25segmented_radix_sort_implIS3_Lb0EPKS5_PS5_PKlPlN2at6native12_GLOBAL__N_18offset_tEEE10hipError_tPvRmT1_PNSt15iterator_traitsISL_E10value_typeET2_T3_PNSM_ISR_E10value_typeET4_jRbjT5_SX_jjP12ihipStream_tbEUlT_E_NS1_11comp_targetILNS1_3genE3ELNS1_11target_archE908ELNS1_3gpuE7ELNS1_3repE0EEENS1_30default_config_static_selectorELNS0_4arch9wavefront6targetE0EEEvSL_ ; -- Begin function _ZN7rocprim17ROCPRIM_400000_NS6detail17trampoline_kernelINS0_14default_configENS1_36segmented_radix_sort_config_selectorI6__halflEEZNS1_25segmented_radix_sort_implIS3_Lb0EPKS5_PS5_PKlPlN2at6native12_GLOBAL__N_18offset_tEEE10hipError_tPvRmT1_PNSt15iterator_traitsISL_E10value_typeET2_T3_PNSM_ISR_E10value_typeET4_jRbjT5_SX_jjP12ihipStream_tbEUlT_E_NS1_11comp_targetILNS1_3genE3ELNS1_11target_archE908ELNS1_3gpuE7ELNS1_3repE0EEENS1_30default_config_static_selectorELNS0_4arch9wavefront6targetE0EEEvSL_
	.p2align	8
	.type	_ZN7rocprim17ROCPRIM_400000_NS6detail17trampoline_kernelINS0_14default_configENS1_36segmented_radix_sort_config_selectorI6__halflEEZNS1_25segmented_radix_sort_implIS3_Lb0EPKS5_PS5_PKlPlN2at6native12_GLOBAL__N_18offset_tEEE10hipError_tPvRmT1_PNSt15iterator_traitsISL_E10value_typeET2_T3_PNSM_ISR_E10value_typeET4_jRbjT5_SX_jjP12ihipStream_tbEUlT_E_NS1_11comp_targetILNS1_3genE3ELNS1_11target_archE908ELNS1_3gpuE7ELNS1_3repE0EEENS1_30default_config_static_selectorELNS0_4arch9wavefront6targetE0EEEvSL_,@function
_ZN7rocprim17ROCPRIM_400000_NS6detail17trampoline_kernelINS0_14default_configENS1_36segmented_radix_sort_config_selectorI6__halflEEZNS1_25segmented_radix_sort_implIS3_Lb0EPKS5_PS5_PKlPlN2at6native12_GLOBAL__N_18offset_tEEE10hipError_tPvRmT1_PNSt15iterator_traitsISL_E10value_typeET2_T3_PNSM_ISR_E10value_typeET4_jRbjT5_SX_jjP12ihipStream_tbEUlT_E_NS1_11comp_targetILNS1_3genE3ELNS1_11target_archE908ELNS1_3gpuE7ELNS1_3repE0EEENS1_30default_config_static_selectorELNS0_4arch9wavefront6targetE0EEEvSL_: ; @_ZN7rocprim17ROCPRIM_400000_NS6detail17trampoline_kernelINS0_14default_configENS1_36segmented_radix_sort_config_selectorI6__halflEEZNS1_25segmented_radix_sort_implIS3_Lb0EPKS5_PS5_PKlPlN2at6native12_GLOBAL__N_18offset_tEEE10hipError_tPvRmT1_PNSt15iterator_traitsISL_E10value_typeET2_T3_PNSM_ISR_E10value_typeET4_jRbjT5_SX_jjP12ihipStream_tbEUlT_E_NS1_11comp_targetILNS1_3genE3ELNS1_11target_archE908ELNS1_3gpuE7ELNS1_3repE0EEENS1_30default_config_static_selectorELNS0_4arch9wavefront6targetE0EEEvSL_
; %bb.0:
	.section	.rodata,"a",@progbits
	.p2align	6, 0x0
	.amdhsa_kernel _ZN7rocprim17ROCPRIM_400000_NS6detail17trampoline_kernelINS0_14default_configENS1_36segmented_radix_sort_config_selectorI6__halflEEZNS1_25segmented_radix_sort_implIS3_Lb0EPKS5_PS5_PKlPlN2at6native12_GLOBAL__N_18offset_tEEE10hipError_tPvRmT1_PNSt15iterator_traitsISL_E10value_typeET2_T3_PNSM_ISR_E10value_typeET4_jRbjT5_SX_jjP12ihipStream_tbEUlT_E_NS1_11comp_targetILNS1_3genE3ELNS1_11target_archE908ELNS1_3gpuE7ELNS1_3repE0EEENS1_30default_config_static_selectorELNS0_4arch9wavefront6targetE0EEEvSL_
		.amdhsa_group_segment_fixed_size 0
		.amdhsa_private_segment_fixed_size 0
		.amdhsa_kernarg_size 96
		.amdhsa_user_sgpr_count 15
		.amdhsa_user_sgpr_dispatch_ptr 0
		.amdhsa_user_sgpr_queue_ptr 0
		.amdhsa_user_sgpr_kernarg_segment_ptr 1
		.amdhsa_user_sgpr_dispatch_id 0
		.amdhsa_user_sgpr_private_segment_size 0
		.amdhsa_wavefront_size32 1
		.amdhsa_uses_dynamic_stack 0
		.amdhsa_enable_private_segment 0
		.amdhsa_system_sgpr_workgroup_id_x 1
		.amdhsa_system_sgpr_workgroup_id_y 0
		.amdhsa_system_sgpr_workgroup_id_z 0
		.amdhsa_system_sgpr_workgroup_info 0
		.amdhsa_system_vgpr_workitem_id 0
		.amdhsa_next_free_vgpr 1
		.amdhsa_next_free_sgpr 1
		.amdhsa_reserve_vcc 0
		.amdhsa_float_round_mode_32 0
		.amdhsa_float_round_mode_16_64 0
		.amdhsa_float_denorm_mode_32 3
		.amdhsa_float_denorm_mode_16_64 3
		.amdhsa_dx10_clamp 1
		.amdhsa_ieee_mode 1
		.amdhsa_fp16_overflow 0
		.amdhsa_workgroup_processor_mode 1
		.amdhsa_memory_ordered 1
		.amdhsa_forward_progress 0
		.amdhsa_shared_vgpr_count 0
		.amdhsa_exception_fp_ieee_invalid_op 0
		.amdhsa_exception_fp_denorm_src 0
		.amdhsa_exception_fp_ieee_div_zero 0
		.amdhsa_exception_fp_ieee_overflow 0
		.amdhsa_exception_fp_ieee_underflow 0
		.amdhsa_exception_fp_ieee_inexact 0
		.amdhsa_exception_int_div_zero 0
	.end_amdhsa_kernel
	.section	.text._ZN7rocprim17ROCPRIM_400000_NS6detail17trampoline_kernelINS0_14default_configENS1_36segmented_radix_sort_config_selectorI6__halflEEZNS1_25segmented_radix_sort_implIS3_Lb0EPKS5_PS5_PKlPlN2at6native12_GLOBAL__N_18offset_tEEE10hipError_tPvRmT1_PNSt15iterator_traitsISL_E10value_typeET2_T3_PNSM_ISR_E10value_typeET4_jRbjT5_SX_jjP12ihipStream_tbEUlT_E_NS1_11comp_targetILNS1_3genE3ELNS1_11target_archE908ELNS1_3gpuE7ELNS1_3repE0EEENS1_30default_config_static_selectorELNS0_4arch9wavefront6targetE0EEEvSL_,"axG",@progbits,_ZN7rocprim17ROCPRIM_400000_NS6detail17trampoline_kernelINS0_14default_configENS1_36segmented_radix_sort_config_selectorI6__halflEEZNS1_25segmented_radix_sort_implIS3_Lb0EPKS5_PS5_PKlPlN2at6native12_GLOBAL__N_18offset_tEEE10hipError_tPvRmT1_PNSt15iterator_traitsISL_E10value_typeET2_T3_PNSM_ISR_E10value_typeET4_jRbjT5_SX_jjP12ihipStream_tbEUlT_E_NS1_11comp_targetILNS1_3genE3ELNS1_11target_archE908ELNS1_3gpuE7ELNS1_3repE0EEENS1_30default_config_static_selectorELNS0_4arch9wavefront6targetE0EEEvSL_,comdat
.Lfunc_end1845:
	.size	_ZN7rocprim17ROCPRIM_400000_NS6detail17trampoline_kernelINS0_14default_configENS1_36segmented_radix_sort_config_selectorI6__halflEEZNS1_25segmented_radix_sort_implIS3_Lb0EPKS5_PS5_PKlPlN2at6native12_GLOBAL__N_18offset_tEEE10hipError_tPvRmT1_PNSt15iterator_traitsISL_E10value_typeET2_T3_PNSM_ISR_E10value_typeET4_jRbjT5_SX_jjP12ihipStream_tbEUlT_E_NS1_11comp_targetILNS1_3genE3ELNS1_11target_archE908ELNS1_3gpuE7ELNS1_3repE0EEENS1_30default_config_static_selectorELNS0_4arch9wavefront6targetE0EEEvSL_, .Lfunc_end1845-_ZN7rocprim17ROCPRIM_400000_NS6detail17trampoline_kernelINS0_14default_configENS1_36segmented_radix_sort_config_selectorI6__halflEEZNS1_25segmented_radix_sort_implIS3_Lb0EPKS5_PS5_PKlPlN2at6native12_GLOBAL__N_18offset_tEEE10hipError_tPvRmT1_PNSt15iterator_traitsISL_E10value_typeET2_T3_PNSM_ISR_E10value_typeET4_jRbjT5_SX_jjP12ihipStream_tbEUlT_E_NS1_11comp_targetILNS1_3genE3ELNS1_11target_archE908ELNS1_3gpuE7ELNS1_3repE0EEENS1_30default_config_static_selectorELNS0_4arch9wavefront6targetE0EEEvSL_
                                        ; -- End function
	.section	.AMDGPU.csdata,"",@progbits
; Kernel info:
; codeLenInByte = 0
; NumSgprs: 0
; NumVgprs: 0
; ScratchSize: 0
; MemoryBound: 0
; FloatMode: 240
; IeeeMode: 1
; LDSByteSize: 0 bytes/workgroup (compile time only)
; SGPRBlocks: 0
; VGPRBlocks: 0
; NumSGPRsForWavesPerEU: 1
; NumVGPRsForWavesPerEU: 1
; Occupancy: 16
; WaveLimiterHint : 0
; COMPUTE_PGM_RSRC2:SCRATCH_EN: 0
; COMPUTE_PGM_RSRC2:USER_SGPR: 15
; COMPUTE_PGM_RSRC2:TRAP_HANDLER: 0
; COMPUTE_PGM_RSRC2:TGID_X_EN: 1
; COMPUTE_PGM_RSRC2:TGID_Y_EN: 0
; COMPUTE_PGM_RSRC2:TGID_Z_EN: 0
; COMPUTE_PGM_RSRC2:TIDIG_COMP_CNT: 0
	.section	.text._ZN7rocprim17ROCPRIM_400000_NS6detail17trampoline_kernelINS0_14default_configENS1_36segmented_radix_sort_config_selectorI6__halflEEZNS1_25segmented_radix_sort_implIS3_Lb0EPKS5_PS5_PKlPlN2at6native12_GLOBAL__N_18offset_tEEE10hipError_tPvRmT1_PNSt15iterator_traitsISL_E10value_typeET2_T3_PNSM_ISR_E10value_typeET4_jRbjT5_SX_jjP12ihipStream_tbEUlT_E_NS1_11comp_targetILNS1_3genE2ELNS1_11target_archE906ELNS1_3gpuE6ELNS1_3repE0EEENS1_30default_config_static_selectorELNS0_4arch9wavefront6targetE0EEEvSL_,"axG",@progbits,_ZN7rocprim17ROCPRIM_400000_NS6detail17trampoline_kernelINS0_14default_configENS1_36segmented_radix_sort_config_selectorI6__halflEEZNS1_25segmented_radix_sort_implIS3_Lb0EPKS5_PS5_PKlPlN2at6native12_GLOBAL__N_18offset_tEEE10hipError_tPvRmT1_PNSt15iterator_traitsISL_E10value_typeET2_T3_PNSM_ISR_E10value_typeET4_jRbjT5_SX_jjP12ihipStream_tbEUlT_E_NS1_11comp_targetILNS1_3genE2ELNS1_11target_archE906ELNS1_3gpuE6ELNS1_3repE0EEENS1_30default_config_static_selectorELNS0_4arch9wavefront6targetE0EEEvSL_,comdat
	.globl	_ZN7rocprim17ROCPRIM_400000_NS6detail17trampoline_kernelINS0_14default_configENS1_36segmented_radix_sort_config_selectorI6__halflEEZNS1_25segmented_radix_sort_implIS3_Lb0EPKS5_PS5_PKlPlN2at6native12_GLOBAL__N_18offset_tEEE10hipError_tPvRmT1_PNSt15iterator_traitsISL_E10value_typeET2_T3_PNSM_ISR_E10value_typeET4_jRbjT5_SX_jjP12ihipStream_tbEUlT_E_NS1_11comp_targetILNS1_3genE2ELNS1_11target_archE906ELNS1_3gpuE6ELNS1_3repE0EEENS1_30default_config_static_selectorELNS0_4arch9wavefront6targetE0EEEvSL_ ; -- Begin function _ZN7rocprim17ROCPRIM_400000_NS6detail17trampoline_kernelINS0_14default_configENS1_36segmented_radix_sort_config_selectorI6__halflEEZNS1_25segmented_radix_sort_implIS3_Lb0EPKS5_PS5_PKlPlN2at6native12_GLOBAL__N_18offset_tEEE10hipError_tPvRmT1_PNSt15iterator_traitsISL_E10value_typeET2_T3_PNSM_ISR_E10value_typeET4_jRbjT5_SX_jjP12ihipStream_tbEUlT_E_NS1_11comp_targetILNS1_3genE2ELNS1_11target_archE906ELNS1_3gpuE6ELNS1_3repE0EEENS1_30default_config_static_selectorELNS0_4arch9wavefront6targetE0EEEvSL_
	.p2align	8
	.type	_ZN7rocprim17ROCPRIM_400000_NS6detail17trampoline_kernelINS0_14default_configENS1_36segmented_radix_sort_config_selectorI6__halflEEZNS1_25segmented_radix_sort_implIS3_Lb0EPKS5_PS5_PKlPlN2at6native12_GLOBAL__N_18offset_tEEE10hipError_tPvRmT1_PNSt15iterator_traitsISL_E10value_typeET2_T3_PNSM_ISR_E10value_typeET4_jRbjT5_SX_jjP12ihipStream_tbEUlT_E_NS1_11comp_targetILNS1_3genE2ELNS1_11target_archE906ELNS1_3gpuE6ELNS1_3repE0EEENS1_30default_config_static_selectorELNS0_4arch9wavefront6targetE0EEEvSL_,@function
_ZN7rocprim17ROCPRIM_400000_NS6detail17trampoline_kernelINS0_14default_configENS1_36segmented_radix_sort_config_selectorI6__halflEEZNS1_25segmented_radix_sort_implIS3_Lb0EPKS5_PS5_PKlPlN2at6native12_GLOBAL__N_18offset_tEEE10hipError_tPvRmT1_PNSt15iterator_traitsISL_E10value_typeET2_T3_PNSM_ISR_E10value_typeET4_jRbjT5_SX_jjP12ihipStream_tbEUlT_E_NS1_11comp_targetILNS1_3genE2ELNS1_11target_archE906ELNS1_3gpuE6ELNS1_3repE0EEENS1_30default_config_static_selectorELNS0_4arch9wavefront6targetE0EEEvSL_: ; @_ZN7rocprim17ROCPRIM_400000_NS6detail17trampoline_kernelINS0_14default_configENS1_36segmented_radix_sort_config_selectorI6__halflEEZNS1_25segmented_radix_sort_implIS3_Lb0EPKS5_PS5_PKlPlN2at6native12_GLOBAL__N_18offset_tEEE10hipError_tPvRmT1_PNSt15iterator_traitsISL_E10value_typeET2_T3_PNSM_ISR_E10value_typeET4_jRbjT5_SX_jjP12ihipStream_tbEUlT_E_NS1_11comp_targetILNS1_3genE2ELNS1_11target_archE906ELNS1_3gpuE6ELNS1_3repE0EEENS1_30default_config_static_selectorELNS0_4arch9wavefront6targetE0EEEvSL_
; %bb.0:
	.section	.rodata,"a",@progbits
	.p2align	6, 0x0
	.amdhsa_kernel _ZN7rocprim17ROCPRIM_400000_NS6detail17trampoline_kernelINS0_14default_configENS1_36segmented_radix_sort_config_selectorI6__halflEEZNS1_25segmented_radix_sort_implIS3_Lb0EPKS5_PS5_PKlPlN2at6native12_GLOBAL__N_18offset_tEEE10hipError_tPvRmT1_PNSt15iterator_traitsISL_E10value_typeET2_T3_PNSM_ISR_E10value_typeET4_jRbjT5_SX_jjP12ihipStream_tbEUlT_E_NS1_11comp_targetILNS1_3genE2ELNS1_11target_archE906ELNS1_3gpuE6ELNS1_3repE0EEENS1_30default_config_static_selectorELNS0_4arch9wavefront6targetE0EEEvSL_
		.amdhsa_group_segment_fixed_size 0
		.amdhsa_private_segment_fixed_size 0
		.amdhsa_kernarg_size 96
		.amdhsa_user_sgpr_count 15
		.amdhsa_user_sgpr_dispatch_ptr 0
		.amdhsa_user_sgpr_queue_ptr 0
		.amdhsa_user_sgpr_kernarg_segment_ptr 1
		.amdhsa_user_sgpr_dispatch_id 0
		.amdhsa_user_sgpr_private_segment_size 0
		.amdhsa_wavefront_size32 1
		.amdhsa_uses_dynamic_stack 0
		.amdhsa_enable_private_segment 0
		.amdhsa_system_sgpr_workgroup_id_x 1
		.amdhsa_system_sgpr_workgroup_id_y 0
		.amdhsa_system_sgpr_workgroup_id_z 0
		.amdhsa_system_sgpr_workgroup_info 0
		.amdhsa_system_vgpr_workitem_id 0
		.amdhsa_next_free_vgpr 1
		.amdhsa_next_free_sgpr 1
		.amdhsa_reserve_vcc 0
		.amdhsa_float_round_mode_32 0
		.amdhsa_float_round_mode_16_64 0
		.amdhsa_float_denorm_mode_32 3
		.amdhsa_float_denorm_mode_16_64 3
		.amdhsa_dx10_clamp 1
		.amdhsa_ieee_mode 1
		.amdhsa_fp16_overflow 0
		.amdhsa_workgroup_processor_mode 1
		.amdhsa_memory_ordered 1
		.amdhsa_forward_progress 0
		.amdhsa_shared_vgpr_count 0
		.amdhsa_exception_fp_ieee_invalid_op 0
		.amdhsa_exception_fp_denorm_src 0
		.amdhsa_exception_fp_ieee_div_zero 0
		.amdhsa_exception_fp_ieee_overflow 0
		.amdhsa_exception_fp_ieee_underflow 0
		.amdhsa_exception_fp_ieee_inexact 0
		.amdhsa_exception_int_div_zero 0
	.end_amdhsa_kernel
	.section	.text._ZN7rocprim17ROCPRIM_400000_NS6detail17trampoline_kernelINS0_14default_configENS1_36segmented_radix_sort_config_selectorI6__halflEEZNS1_25segmented_radix_sort_implIS3_Lb0EPKS5_PS5_PKlPlN2at6native12_GLOBAL__N_18offset_tEEE10hipError_tPvRmT1_PNSt15iterator_traitsISL_E10value_typeET2_T3_PNSM_ISR_E10value_typeET4_jRbjT5_SX_jjP12ihipStream_tbEUlT_E_NS1_11comp_targetILNS1_3genE2ELNS1_11target_archE906ELNS1_3gpuE6ELNS1_3repE0EEENS1_30default_config_static_selectorELNS0_4arch9wavefront6targetE0EEEvSL_,"axG",@progbits,_ZN7rocprim17ROCPRIM_400000_NS6detail17trampoline_kernelINS0_14default_configENS1_36segmented_radix_sort_config_selectorI6__halflEEZNS1_25segmented_radix_sort_implIS3_Lb0EPKS5_PS5_PKlPlN2at6native12_GLOBAL__N_18offset_tEEE10hipError_tPvRmT1_PNSt15iterator_traitsISL_E10value_typeET2_T3_PNSM_ISR_E10value_typeET4_jRbjT5_SX_jjP12ihipStream_tbEUlT_E_NS1_11comp_targetILNS1_3genE2ELNS1_11target_archE906ELNS1_3gpuE6ELNS1_3repE0EEENS1_30default_config_static_selectorELNS0_4arch9wavefront6targetE0EEEvSL_,comdat
.Lfunc_end1846:
	.size	_ZN7rocprim17ROCPRIM_400000_NS6detail17trampoline_kernelINS0_14default_configENS1_36segmented_radix_sort_config_selectorI6__halflEEZNS1_25segmented_radix_sort_implIS3_Lb0EPKS5_PS5_PKlPlN2at6native12_GLOBAL__N_18offset_tEEE10hipError_tPvRmT1_PNSt15iterator_traitsISL_E10value_typeET2_T3_PNSM_ISR_E10value_typeET4_jRbjT5_SX_jjP12ihipStream_tbEUlT_E_NS1_11comp_targetILNS1_3genE2ELNS1_11target_archE906ELNS1_3gpuE6ELNS1_3repE0EEENS1_30default_config_static_selectorELNS0_4arch9wavefront6targetE0EEEvSL_, .Lfunc_end1846-_ZN7rocprim17ROCPRIM_400000_NS6detail17trampoline_kernelINS0_14default_configENS1_36segmented_radix_sort_config_selectorI6__halflEEZNS1_25segmented_radix_sort_implIS3_Lb0EPKS5_PS5_PKlPlN2at6native12_GLOBAL__N_18offset_tEEE10hipError_tPvRmT1_PNSt15iterator_traitsISL_E10value_typeET2_T3_PNSM_ISR_E10value_typeET4_jRbjT5_SX_jjP12ihipStream_tbEUlT_E_NS1_11comp_targetILNS1_3genE2ELNS1_11target_archE906ELNS1_3gpuE6ELNS1_3repE0EEENS1_30default_config_static_selectorELNS0_4arch9wavefront6targetE0EEEvSL_
                                        ; -- End function
	.section	.AMDGPU.csdata,"",@progbits
; Kernel info:
; codeLenInByte = 0
; NumSgprs: 0
; NumVgprs: 0
; ScratchSize: 0
; MemoryBound: 0
; FloatMode: 240
; IeeeMode: 1
; LDSByteSize: 0 bytes/workgroup (compile time only)
; SGPRBlocks: 0
; VGPRBlocks: 0
; NumSGPRsForWavesPerEU: 1
; NumVGPRsForWavesPerEU: 1
; Occupancy: 16
; WaveLimiterHint : 0
; COMPUTE_PGM_RSRC2:SCRATCH_EN: 0
; COMPUTE_PGM_RSRC2:USER_SGPR: 15
; COMPUTE_PGM_RSRC2:TRAP_HANDLER: 0
; COMPUTE_PGM_RSRC2:TGID_X_EN: 1
; COMPUTE_PGM_RSRC2:TGID_Y_EN: 0
; COMPUTE_PGM_RSRC2:TGID_Z_EN: 0
; COMPUTE_PGM_RSRC2:TIDIG_COMP_CNT: 0
	.section	.text._ZN7rocprim17ROCPRIM_400000_NS6detail17trampoline_kernelINS0_14default_configENS1_36segmented_radix_sort_config_selectorI6__halflEEZNS1_25segmented_radix_sort_implIS3_Lb0EPKS5_PS5_PKlPlN2at6native12_GLOBAL__N_18offset_tEEE10hipError_tPvRmT1_PNSt15iterator_traitsISL_E10value_typeET2_T3_PNSM_ISR_E10value_typeET4_jRbjT5_SX_jjP12ihipStream_tbEUlT_E_NS1_11comp_targetILNS1_3genE10ELNS1_11target_archE1201ELNS1_3gpuE5ELNS1_3repE0EEENS1_30default_config_static_selectorELNS0_4arch9wavefront6targetE0EEEvSL_,"axG",@progbits,_ZN7rocprim17ROCPRIM_400000_NS6detail17trampoline_kernelINS0_14default_configENS1_36segmented_radix_sort_config_selectorI6__halflEEZNS1_25segmented_radix_sort_implIS3_Lb0EPKS5_PS5_PKlPlN2at6native12_GLOBAL__N_18offset_tEEE10hipError_tPvRmT1_PNSt15iterator_traitsISL_E10value_typeET2_T3_PNSM_ISR_E10value_typeET4_jRbjT5_SX_jjP12ihipStream_tbEUlT_E_NS1_11comp_targetILNS1_3genE10ELNS1_11target_archE1201ELNS1_3gpuE5ELNS1_3repE0EEENS1_30default_config_static_selectorELNS0_4arch9wavefront6targetE0EEEvSL_,comdat
	.globl	_ZN7rocprim17ROCPRIM_400000_NS6detail17trampoline_kernelINS0_14default_configENS1_36segmented_radix_sort_config_selectorI6__halflEEZNS1_25segmented_radix_sort_implIS3_Lb0EPKS5_PS5_PKlPlN2at6native12_GLOBAL__N_18offset_tEEE10hipError_tPvRmT1_PNSt15iterator_traitsISL_E10value_typeET2_T3_PNSM_ISR_E10value_typeET4_jRbjT5_SX_jjP12ihipStream_tbEUlT_E_NS1_11comp_targetILNS1_3genE10ELNS1_11target_archE1201ELNS1_3gpuE5ELNS1_3repE0EEENS1_30default_config_static_selectorELNS0_4arch9wavefront6targetE0EEEvSL_ ; -- Begin function _ZN7rocprim17ROCPRIM_400000_NS6detail17trampoline_kernelINS0_14default_configENS1_36segmented_radix_sort_config_selectorI6__halflEEZNS1_25segmented_radix_sort_implIS3_Lb0EPKS5_PS5_PKlPlN2at6native12_GLOBAL__N_18offset_tEEE10hipError_tPvRmT1_PNSt15iterator_traitsISL_E10value_typeET2_T3_PNSM_ISR_E10value_typeET4_jRbjT5_SX_jjP12ihipStream_tbEUlT_E_NS1_11comp_targetILNS1_3genE10ELNS1_11target_archE1201ELNS1_3gpuE5ELNS1_3repE0EEENS1_30default_config_static_selectorELNS0_4arch9wavefront6targetE0EEEvSL_
	.p2align	8
	.type	_ZN7rocprim17ROCPRIM_400000_NS6detail17trampoline_kernelINS0_14default_configENS1_36segmented_radix_sort_config_selectorI6__halflEEZNS1_25segmented_radix_sort_implIS3_Lb0EPKS5_PS5_PKlPlN2at6native12_GLOBAL__N_18offset_tEEE10hipError_tPvRmT1_PNSt15iterator_traitsISL_E10value_typeET2_T3_PNSM_ISR_E10value_typeET4_jRbjT5_SX_jjP12ihipStream_tbEUlT_E_NS1_11comp_targetILNS1_3genE10ELNS1_11target_archE1201ELNS1_3gpuE5ELNS1_3repE0EEENS1_30default_config_static_selectorELNS0_4arch9wavefront6targetE0EEEvSL_,@function
_ZN7rocprim17ROCPRIM_400000_NS6detail17trampoline_kernelINS0_14default_configENS1_36segmented_radix_sort_config_selectorI6__halflEEZNS1_25segmented_radix_sort_implIS3_Lb0EPKS5_PS5_PKlPlN2at6native12_GLOBAL__N_18offset_tEEE10hipError_tPvRmT1_PNSt15iterator_traitsISL_E10value_typeET2_T3_PNSM_ISR_E10value_typeET4_jRbjT5_SX_jjP12ihipStream_tbEUlT_E_NS1_11comp_targetILNS1_3genE10ELNS1_11target_archE1201ELNS1_3gpuE5ELNS1_3repE0EEENS1_30default_config_static_selectorELNS0_4arch9wavefront6targetE0EEEvSL_: ; @_ZN7rocprim17ROCPRIM_400000_NS6detail17trampoline_kernelINS0_14default_configENS1_36segmented_radix_sort_config_selectorI6__halflEEZNS1_25segmented_radix_sort_implIS3_Lb0EPKS5_PS5_PKlPlN2at6native12_GLOBAL__N_18offset_tEEE10hipError_tPvRmT1_PNSt15iterator_traitsISL_E10value_typeET2_T3_PNSM_ISR_E10value_typeET4_jRbjT5_SX_jjP12ihipStream_tbEUlT_E_NS1_11comp_targetILNS1_3genE10ELNS1_11target_archE1201ELNS1_3gpuE5ELNS1_3repE0EEENS1_30default_config_static_selectorELNS0_4arch9wavefront6targetE0EEEvSL_
; %bb.0:
	.section	.rodata,"a",@progbits
	.p2align	6, 0x0
	.amdhsa_kernel _ZN7rocprim17ROCPRIM_400000_NS6detail17trampoline_kernelINS0_14default_configENS1_36segmented_radix_sort_config_selectorI6__halflEEZNS1_25segmented_radix_sort_implIS3_Lb0EPKS5_PS5_PKlPlN2at6native12_GLOBAL__N_18offset_tEEE10hipError_tPvRmT1_PNSt15iterator_traitsISL_E10value_typeET2_T3_PNSM_ISR_E10value_typeET4_jRbjT5_SX_jjP12ihipStream_tbEUlT_E_NS1_11comp_targetILNS1_3genE10ELNS1_11target_archE1201ELNS1_3gpuE5ELNS1_3repE0EEENS1_30default_config_static_selectorELNS0_4arch9wavefront6targetE0EEEvSL_
		.amdhsa_group_segment_fixed_size 0
		.amdhsa_private_segment_fixed_size 0
		.amdhsa_kernarg_size 96
		.amdhsa_user_sgpr_count 15
		.amdhsa_user_sgpr_dispatch_ptr 0
		.amdhsa_user_sgpr_queue_ptr 0
		.amdhsa_user_sgpr_kernarg_segment_ptr 1
		.amdhsa_user_sgpr_dispatch_id 0
		.amdhsa_user_sgpr_private_segment_size 0
		.amdhsa_wavefront_size32 1
		.amdhsa_uses_dynamic_stack 0
		.amdhsa_enable_private_segment 0
		.amdhsa_system_sgpr_workgroup_id_x 1
		.amdhsa_system_sgpr_workgroup_id_y 0
		.amdhsa_system_sgpr_workgroup_id_z 0
		.amdhsa_system_sgpr_workgroup_info 0
		.amdhsa_system_vgpr_workitem_id 0
		.amdhsa_next_free_vgpr 1
		.amdhsa_next_free_sgpr 1
		.amdhsa_reserve_vcc 0
		.amdhsa_float_round_mode_32 0
		.amdhsa_float_round_mode_16_64 0
		.amdhsa_float_denorm_mode_32 3
		.amdhsa_float_denorm_mode_16_64 3
		.amdhsa_dx10_clamp 1
		.amdhsa_ieee_mode 1
		.amdhsa_fp16_overflow 0
		.amdhsa_workgroup_processor_mode 1
		.amdhsa_memory_ordered 1
		.amdhsa_forward_progress 0
		.amdhsa_shared_vgpr_count 0
		.amdhsa_exception_fp_ieee_invalid_op 0
		.amdhsa_exception_fp_denorm_src 0
		.amdhsa_exception_fp_ieee_div_zero 0
		.amdhsa_exception_fp_ieee_overflow 0
		.amdhsa_exception_fp_ieee_underflow 0
		.amdhsa_exception_fp_ieee_inexact 0
		.amdhsa_exception_int_div_zero 0
	.end_amdhsa_kernel
	.section	.text._ZN7rocprim17ROCPRIM_400000_NS6detail17trampoline_kernelINS0_14default_configENS1_36segmented_radix_sort_config_selectorI6__halflEEZNS1_25segmented_radix_sort_implIS3_Lb0EPKS5_PS5_PKlPlN2at6native12_GLOBAL__N_18offset_tEEE10hipError_tPvRmT1_PNSt15iterator_traitsISL_E10value_typeET2_T3_PNSM_ISR_E10value_typeET4_jRbjT5_SX_jjP12ihipStream_tbEUlT_E_NS1_11comp_targetILNS1_3genE10ELNS1_11target_archE1201ELNS1_3gpuE5ELNS1_3repE0EEENS1_30default_config_static_selectorELNS0_4arch9wavefront6targetE0EEEvSL_,"axG",@progbits,_ZN7rocprim17ROCPRIM_400000_NS6detail17trampoline_kernelINS0_14default_configENS1_36segmented_radix_sort_config_selectorI6__halflEEZNS1_25segmented_radix_sort_implIS3_Lb0EPKS5_PS5_PKlPlN2at6native12_GLOBAL__N_18offset_tEEE10hipError_tPvRmT1_PNSt15iterator_traitsISL_E10value_typeET2_T3_PNSM_ISR_E10value_typeET4_jRbjT5_SX_jjP12ihipStream_tbEUlT_E_NS1_11comp_targetILNS1_3genE10ELNS1_11target_archE1201ELNS1_3gpuE5ELNS1_3repE0EEENS1_30default_config_static_selectorELNS0_4arch9wavefront6targetE0EEEvSL_,comdat
.Lfunc_end1847:
	.size	_ZN7rocprim17ROCPRIM_400000_NS6detail17trampoline_kernelINS0_14default_configENS1_36segmented_radix_sort_config_selectorI6__halflEEZNS1_25segmented_radix_sort_implIS3_Lb0EPKS5_PS5_PKlPlN2at6native12_GLOBAL__N_18offset_tEEE10hipError_tPvRmT1_PNSt15iterator_traitsISL_E10value_typeET2_T3_PNSM_ISR_E10value_typeET4_jRbjT5_SX_jjP12ihipStream_tbEUlT_E_NS1_11comp_targetILNS1_3genE10ELNS1_11target_archE1201ELNS1_3gpuE5ELNS1_3repE0EEENS1_30default_config_static_selectorELNS0_4arch9wavefront6targetE0EEEvSL_, .Lfunc_end1847-_ZN7rocprim17ROCPRIM_400000_NS6detail17trampoline_kernelINS0_14default_configENS1_36segmented_radix_sort_config_selectorI6__halflEEZNS1_25segmented_radix_sort_implIS3_Lb0EPKS5_PS5_PKlPlN2at6native12_GLOBAL__N_18offset_tEEE10hipError_tPvRmT1_PNSt15iterator_traitsISL_E10value_typeET2_T3_PNSM_ISR_E10value_typeET4_jRbjT5_SX_jjP12ihipStream_tbEUlT_E_NS1_11comp_targetILNS1_3genE10ELNS1_11target_archE1201ELNS1_3gpuE5ELNS1_3repE0EEENS1_30default_config_static_selectorELNS0_4arch9wavefront6targetE0EEEvSL_
                                        ; -- End function
	.section	.AMDGPU.csdata,"",@progbits
; Kernel info:
; codeLenInByte = 0
; NumSgprs: 0
; NumVgprs: 0
; ScratchSize: 0
; MemoryBound: 0
; FloatMode: 240
; IeeeMode: 1
; LDSByteSize: 0 bytes/workgroup (compile time only)
; SGPRBlocks: 0
; VGPRBlocks: 0
; NumSGPRsForWavesPerEU: 1
; NumVGPRsForWavesPerEU: 1
; Occupancy: 16
; WaveLimiterHint : 0
; COMPUTE_PGM_RSRC2:SCRATCH_EN: 0
; COMPUTE_PGM_RSRC2:USER_SGPR: 15
; COMPUTE_PGM_RSRC2:TRAP_HANDLER: 0
; COMPUTE_PGM_RSRC2:TGID_X_EN: 1
; COMPUTE_PGM_RSRC2:TGID_Y_EN: 0
; COMPUTE_PGM_RSRC2:TGID_Z_EN: 0
; COMPUTE_PGM_RSRC2:TIDIG_COMP_CNT: 0
	.section	.text._ZN7rocprim17ROCPRIM_400000_NS6detail17trampoline_kernelINS0_14default_configENS1_36segmented_radix_sort_config_selectorI6__halflEEZNS1_25segmented_radix_sort_implIS3_Lb0EPKS5_PS5_PKlPlN2at6native12_GLOBAL__N_18offset_tEEE10hipError_tPvRmT1_PNSt15iterator_traitsISL_E10value_typeET2_T3_PNSM_ISR_E10value_typeET4_jRbjT5_SX_jjP12ihipStream_tbEUlT_E_NS1_11comp_targetILNS1_3genE10ELNS1_11target_archE1200ELNS1_3gpuE4ELNS1_3repE0EEENS1_30default_config_static_selectorELNS0_4arch9wavefront6targetE0EEEvSL_,"axG",@progbits,_ZN7rocprim17ROCPRIM_400000_NS6detail17trampoline_kernelINS0_14default_configENS1_36segmented_radix_sort_config_selectorI6__halflEEZNS1_25segmented_radix_sort_implIS3_Lb0EPKS5_PS5_PKlPlN2at6native12_GLOBAL__N_18offset_tEEE10hipError_tPvRmT1_PNSt15iterator_traitsISL_E10value_typeET2_T3_PNSM_ISR_E10value_typeET4_jRbjT5_SX_jjP12ihipStream_tbEUlT_E_NS1_11comp_targetILNS1_3genE10ELNS1_11target_archE1200ELNS1_3gpuE4ELNS1_3repE0EEENS1_30default_config_static_selectorELNS0_4arch9wavefront6targetE0EEEvSL_,comdat
	.globl	_ZN7rocprim17ROCPRIM_400000_NS6detail17trampoline_kernelINS0_14default_configENS1_36segmented_radix_sort_config_selectorI6__halflEEZNS1_25segmented_radix_sort_implIS3_Lb0EPKS5_PS5_PKlPlN2at6native12_GLOBAL__N_18offset_tEEE10hipError_tPvRmT1_PNSt15iterator_traitsISL_E10value_typeET2_T3_PNSM_ISR_E10value_typeET4_jRbjT5_SX_jjP12ihipStream_tbEUlT_E_NS1_11comp_targetILNS1_3genE10ELNS1_11target_archE1200ELNS1_3gpuE4ELNS1_3repE0EEENS1_30default_config_static_selectorELNS0_4arch9wavefront6targetE0EEEvSL_ ; -- Begin function _ZN7rocprim17ROCPRIM_400000_NS6detail17trampoline_kernelINS0_14default_configENS1_36segmented_radix_sort_config_selectorI6__halflEEZNS1_25segmented_radix_sort_implIS3_Lb0EPKS5_PS5_PKlPlN2at6native12_GLOBAL__N_18offset_tEEE10hipError_tPvRmT1_PNSt15iterator_traitsISL_E10value_typeET2_T3_PNSM_ISR_E10value_typeET4_jRbjT5_SX_jjP12ihipStream_tbEUlT_E_NS1_11comp_targetILNS1_3genE10ELNS1_11target_archE1200ELNS1_3gpuE4ELNS1_3repE0EEENS1_30default_config_static_selectorELNS0_4arch9wavefront6targetE0EEEvSL_
	.p2align	8
	.type	_ZN7rocprim17ROCPRIM_400000_NS6detail17trampoline_kernelINS0_14default_configENS1_36segmented_radix_sort_config_selectorI6__halflEEZNS1_25segmented_radix_sort_implIS3_Lb0EPKS5_PS5_PKlPlN2at6native12_GLOBAL__N_18offset_tEEE10hipError_tPvRmT1_PNSt15iterator_traitsISL_E10value_typeET2_T3_PNSM_ISR_E10value_typeET4_jRbjT5_SX_jjP12ihipStream_tbEUlT_E_NS1_11comp_targetILNS1_3genE10ELNS1_11target_archE1200ELNS1_3gpuE4ELNS1_3repE0EEENS1_30default_config_static_selectorELNS0_4arch9wavefront6targetE0EEEvSL_,@function
_ZN7rocprim17ROCPRIM_400000_NS6detail17trampoline_kernelINS0_14default_configENS1_36segmented_radix_sort_config_selectorI6__halflEEZNS1_25segmented_radix_sort_implIS3_Lb0EPKS5_PS5_PKlPlN2at6native12_GLOBAL__N_18offset_tEEE10hipError_tPvRmT1_PNSt15iterator_traitsISL_E10value_typeET2_T3_PNSM_ISR_E10value_typeET4_jRbjT5_SX_jjP12ihipStream_tbEUlT_E_NS1_11comp_targetILNS1_3genE10ELNS1_11target_archE1200ELNS1_3gpuE4ELNS1_3repE0EEENS1_30default_config_static_selectorELNS0_4arch9wavefront6targetE0EEEvSL_: ; @_ZN7rocprim17ROCPRIM_400000_NS6detail17trampoline_kernelINS0_14default_configENS1_36segmented_radix_sort_config_selectorI6__halflEEZNS1_25segmented_radix_sort_implIS3_Lb0EPKS5_PS5_PKlPlN2at6native12_GLOBAL__N_18offset_tEEE10hipError_tPvRmT1_PNSt15iterator_traitsISL_E10value_typeET2_T3_PNSM_ISR_E10value_typeET4_jRbjT5_SX_jjP12ihipStream_tbEUlT_E_NS1_11comp_targetILNS1_3genE10ELNS1_11target_archE1200ELNS1_3gpuE4ELNS1_3repE0EEENS1_30default_config_static_selectorELNS0_4arch9wavefront6targetE0EEEvSL_
; %bb.0:
	.section	.rodata,"a",@progbits
	.p2align	6, 0x0
	.amdhsa_kernel _ZN7rocprim17ROCPRIM_400000_NS6detail17trampoline_kernelINS0_14default_configENS1_36segmented_radix_sort_config_selectorI6__halflEEZNS1_25segmented_radix_sort_implIS3_Lb0EPKS5_PS5_PKlPlN2at6native12_GLOBAL__N_18offset_tEEE10hipError_tPvRmT1_PNSt15iterator_traitsISL_E10value_typeET2_T3_PNSM_ISR_E10value_typeET4_jRbjT5_SX_jjP12ihipStream_tbEUlT_E_NS1_11comp_targetILNS1_3genE10ELNS1_11target_archE1200ELNS1_3gpuE4ELNS1_3repE0EEENS1_30default_config_static_selectorELNS0_4arch9wavefront6targetE0EEEvSL_
		.amdhsa_group_segment_fixed_size 0
		.amdhsa_private_segment_fixed_size 0
		.amdhsa_kernarg_size 96
		.amdhsa_user_sgpr_count 15
		.amdhsa_user_sgpr_dispatch_ptr 0
		.amdhsa_user_sgpr_queue_ptr 0
		.amdhsa_user_sgpr_kernarg_segment_ptr 1
		.amdhsa_user_sgpr_dispatch_id 0
		.amdhsa_user_sgpr_private_segment_size 0
		.amdhsa_wavefront_size32 1
		.amdhsa_uses_dynamic_stack 0
		.amdhsa_enable_private_segment 0
		.amdhsa_system_sgpr_workgroup_id_x 1
		.amdhsa_system_sgpr_workgroup_id_y 0
		.amdhsa_system_sgpr_workgroup_id_z 0
		.amdhsa_system_sgpr_workgroup_info 0
		.amdhsa_system_vgpr_workitem_id 0
		.amdhsa_next_free_vgpr 1
		.amdhsa_next_free_sgpr 1
		.amdhsa_reserve_vcc 0
		.amdhsa_float_round_mode_32 0
		.amdhsa_float_round_mode_16_64 0
		.amdhsa_float_denorm_mode_32 3
		.amdhsa_float_denorm_mode_16_64 3
		.amdhsa_dx10_clamp 1
		.amdhsa_ieee_mode 1
		.amdhsa_fp16_overflow 0
		.amdhsa_workgroup_processor_mode 1
		.amdhsa_memory_ordered 1
		.amdhsa_forward_progress 0
		.amdhsa_shared_vgpr_count 0
		.amdhsa_exception_fp_ieee_invalid_op 0
		.amdhsa_exception_fp_denorm_src 0
		.amdhsa_exception_fp_ieee_div_zero 0
		.amdhsa_exception_fp_ieee_overflow 0
		.amdhsa_exception_fp_ieee_underflow 0
		.amdhsa_exception_fp_ieee_inexact 0
		.amdhsa_exception_int_div_zero 0
	.end_amdhsa_kernel
	.section	.text._ZN7rocprim17ROCPRIM_400000_NS6detail17trampoline_kernelINS0_14default_configENS1_36segmented_radix_sort_config_selectorI6__halflEEZNS1_25segmented_radix_sort_implIS3_Lb0EPKS5_PS5_PKlPlN2at6native12_GLOBAL__N_18offset_tEEE10hipError_tPvRmT1_PNSt15iterator_traitsISL_E10value_typeET2_T3_PNSM_ISR_E10value_typeET4_jRbjT5_SX_jjP12ihipStream_tbEUlT_E_NS1_11comp_targetILNS1_3genE10ELNS1_11target_archE1200ELNS1_3gpuE4ELNS1_3repE0EEENS1_30default_config_static_selectorELNS0_4arch9wavefront6targetE0EEEvSL_,"axG",@progbits,_ZN7rocprim17ROCPRIM_400000_NS6detail17trampoline_kernelINS0_14default_configENS1_36segmented_radix_sort_config_selectorI6__halflEEZNS1_25segmented_radix_sort_implIS3_Lb0EPKS5_PS5_PKlPlN2at6native12_GLOBAL__N_18offset_tEEE10hipError_tPvRmT1_PNSt15iterator_traitsISL_E10value_typeET2_T3_PNSM_ISR_E10value_typeET4_jRbjT5_SX_jjP12ihipStream_tbEUlT_E_NS1_11comp_targetILNS1_3genE10ELNS1_11target_archE1200ELNS1_3gpuE4ELNS1_3repE0EEENS1_30default_config_static_selectorELNS0_4arch9wavefront6targetE0EEEvSL_,comdat
.Lfunc_end1848:
	.size	_ZN7rocprim17ROCPRIM_400000_NS6detail17trampoline_kernelINS0_14default_configENS1_36segmented_radix_sort_config_selectorI6__halflEEZNS1_25segmented_radix_sort_implIS3_Lb0EPKS5_PS5_PKlPlN2at6native12_GLOBAL__N_18offset_tEEE10hipError_tPvRmT1_PNSt15iterator_traitsISL_E10value_typeET2_T3_PNSM_ISR_E10value_typeET4_jRbjT5_SX_jjP12ihipStream_tbEUlT_E_NS1_11comp_targetILNS1_3genE10ELNS1_11target_archE1200ELNS1_3gpuE4ELNS1_3repE0EEENS1_30default_config_static_selectorELNS0_4arch9wavefront6targetE0EEEvSL_, .Lfunc_end1848-_ZN7rocprim17ROCPRIM_400000_NS6detail17trampoline_kernelINS0_14default_configENS1_36segmented_radix_sort_config_selectorI6__halflEEZNS1_25segmented_radix_sort_implIS3_Lb0EPKS5_PS5_PKlPlN2at6native12_GLOBAL__N_18offset_tEEE10hipError_tPvRmT1_PNSt15iterator_traitsISL_E10value_typeET2_T3_PNSM_ISR_E10value_typeET4_jRbjT5_SX_jjP12ihipStream_tbEUlT_E_NS1_11comp_targetILNS1_3genE10ELNS1_11target_archE1200ELNS1_3gpuE4ELNS1_3repE0EEENS1_30default_config_static_selectorELNS0_4arch9wavefront6targetE0EEEvSL_
                                        ; -- End function
	.section	.AMDGPU.csdata,"",@progbits
; Kernel info:
; codeLenInByte = 0
; NumSgprs: 0
; NumVgprs: 0
; ScratchSize: 0
; MemoryBound: 0
; FloatMode: 240
; IeeeMode: 1
; LDSByteSize: 0 bytes/workgroup (compile time only)
; SGPRBlocks: 0
; VGPRBlocks: 0
; NumSGPRsForWavesPerEU: 1
; NumVGPRsForWavesPerEU: 1
; Occupancy: 16
; WaveLimiterHint : 0
; COMPUTE_PGM_RSRC2:SCRATCH_EN: 0
; COMPUTE_PGM_RSRC2:USER_SGPR: 15
; COMPUTE_PGM_RSRC2:TRAP_HANDLER: 0
; COMPUTE_PGM_RSRC2:TGID_X_EN: 1
; COMPUTE_PGM_RSRC2:TGID_Y_EN: 0
; COMPUTE_PGM_RSRC2:TGID_Z_EN: 0
; COMPUTE_PGM_RSRC2:TIDIG_COMP_CNT: 0
	.text
	.p2align	2                               ; -- Begin function _ZN7rocprim17ROCPRIM_400000_NS6detail40segmented_radix_sort_single_block_helperI6__halflLj256ELj16ELb0EE4sortIPKS3_PS3_PKlPlEEbT_T0_T1_T2_jjjjRNS4_12storage_typeE
	.type	_ZN7rocprim17ROCPRIM_400000_NS6detail40segmented_radix_sort_single_block_helperI6__halflLj256ELj16ELb0EE4sortIPKS3_PS3_PKlPlEEbT_T0_T1_T2_jjjjRNS4_12storage_typeE,@function
_ZN7rocprim17ROCPRIM_400000_NS6detail40segmented_radix_sort_single_block_helperI6__halflLj256ELj16ELb0EE4sortIPKS3_PS3_PKlPlEEbT_T0_T1_T2_jjjjRNS4_12storage_typeE: ; @_ZN7rocprim17ROCPRIM_400000_NS6detail40segmented_radix_sort_single_block_helperI6__halflLj256ELj16ELb0EE4sortIPKS3_PS3_PKlPlEEbT_T0_T1_T2_jjjjRNS4_12storage_typeE
; %bb.0:
	s_waitcnt vmcnt(0) expcnt(0) lgkmcnt(0)
	s_clause 0x1f
	scratch_store_b32 off, v40, s32 offset:212
	; meta instruction
	scratch_store_b32 off, v41, s32 offset:208
	; meta instruction
	;; [unrolled: 2-line block ×31, first 2 shown]
	scratch_store_b32 off, v95, s32 offset:88
	s_clause 0x15
	scratch_store_b32 off, v104, s32 offset:84
	; meta instruction
	scratch_store_b32 off, v105, s32 offset:80
	; meta instruction
	;; [unrolled: 2-line block ×21, first 2 shown]
	scratch_store_b32 off, v141, s32
	v_sub_nc_u32_e32 v47, v9, v8
	s_mov_b32 s24, exec_lo
	s_delay_alu instid0(VALU_DEP_1)
	v_cmpx_gt_u32_e32 0x1001, v47
	s_cbranch_execz .LBB1849_372
; %bb.1:
	v_bfe_u32 v14, v31, 10, 10
	v_bfe_u32 v15, v31, 20, 10
	v_and_b32_e32 v34, 0x3ff, v31
	v_mbcnt_lo_u32_b32 v16, -1, 0
	s_mov_b32 s0, exec_lo
	v_cmpx_lt_u32_e32 0x800, v47
	s_xor_b32 s25, exec_lo, s0
	s_cbranch_execz .LBB1849_143
; %bb.2:
	s_load_b64 s[0:1], s[8:9], 0x0
	v_mov_b32_e32 v9, 0
	v_lshlrev_b32_e32 v19, 1, v16
	s_waitcnt lgkmcnt(0)
	s_cmp_lt_u32 s13, s1
	s_cselect_b32 s1, 14, 20
	s_delay_alu instid0(SALU_CYCLE_1) | instskip(SKIP_4) | instid1(SALU_CYCLE_1)
	s_add_u32 s2, s8, s1
	s_addc_u32 s3, s9, 0
	s_cmp_lt_u32 s12, s0
	global_load_u16 v17, v9, s[2:3]
	s_cselect_b32 s0, 12, 18
	s_add_u32 s0, s8, s0
	s_addc_u32 s1, s9, 0
	global_load_u16 v18, v9, s[0:1]
	s_waitcnt vmcnt(1)
	v_mad_u32_u24 v14, v15, v17, v14
	v_mov_b32_e32 v17, 0x7fff
	s_waitcnt vmcnt(0)
	s_delay_alu instid0(VALU_DEP_2) | instskip(NEXT) | instid1(VALU_DEP_1)
	v_mad_u64_u32 v[26:27], null, v14, v18, v[34:35]
	v_dual_mov_b32 v27, 0x7fff :: v_dual_lshlrev_b32 v14, 4, v26
	v_lshlrev_b64 v[28:29], 1, v[8:9]
	s_delay_alu instid0(VALU_DEP_2) | instskip(NEXT) | instid1(VALU_DEP_2)
	v_dual_mov_b32 v15, v9 :: v_dual_and_b32 v14, 0xfffffe00, v14
	v_add_co_u32 v20, vcc_lo, v0, v28
	s_delay_alu instid0(VALU_DEP_3) | instskip(NEXT) | instid1(VALU_DEP_3)
	v_add_co_ci_u32_e32 v21, vcc_lo, v1, v29, vcc_lo
	v_lshlrev_b64 v[0:1], 1, v[14:15]
	s_delay_alu instid0(VALU_DEP_3) | instskip(SKIP_1) | instid1(VALU_DEP_4)
	v_add_co_u32 v19, vcc_lo, v20, v19
	v_or_b32_e32 v18, v14, v16
	v_add_co_ci_u32_e32 v20, vcc_lo, 0, v21, vcc_lo
	s_delay_alu instid0(VALU_DEP_3) | instskip(NEXT) | instid1(VALU_DEP_3)
	v_add_co_u32 v0, s0, v19, v0
	v_cmp_lt_u32_e32 vcc_lo, v18, v47
	s_delay_alu instid0(VALU_DEP_3)
	v_add_co_ci_u32_e64 v1, s0, v20, v1, s0
	s_and_saveexec_b32 s0, vcc_lo
	s_cbranch_execz .LBB1849_4
; %bb.3:
	flat_load_u16 v27, v[0:1]
.LBB1849_4:
	s_or_b32 exec_lo, exec_lo, s0
	v_or_b32_e32 v19, 32, v18
	s_delay_alu instid0(VALU_DEP_1) | instskip(NEXT) | instid1(VALU_DEP_1)
	v_cmp_lt_u32_e64 s0, v19, v47
	s_and_saveexec_b32 s1, s0
	s_cbranch_execz .LBB1849_6
; %bb.5:
	flat_load_u16 v17, v[0:1] offset:64
.LBB1849_6:
	s_or_b32 exec_lo, exec_lo, s1
	v_or_b32_e32 v19, 64, v18
	v_dual_mov_b32 v30, 0x7fff :: v_dual_mov_b32 v31, 0x7fff
	s_delay_alu instid0(VALU_DEP_2) | instskip(NEXT) | instid1(VALU_DEP_1)
	v_cmp_lt_u32_e64 s1, v19, v47
	s_and_saveexec_b32 s2, s1
	s_cbranch_execz .LBB1849_8
; %bb.7:
	flat_load_u16 v31, v[0:1] offset:128
.LBB1849_8:
	s_or_b32 exec_lo, exec_lo, s2
	v_or_b32_e32 v19, 0x60, v18
	s_delay_alu instid0(VALU_DEP_1) | instskip(NEXT) | instid1(VALU_DEP_1)
	v_cmp_lt_u32_e64 s2, v19, v47
	s_and_saveexec_b32 s3, s2
	s_cbranch_execz .LBB1849_10
; %bb.9:
	flat_load_u16 v30, v[0:1] offset:192
.LBB1849_10:
	s_or_b32 exec_lo, exec_lo, s3
	v_or_b32_e32 v19, 0x80, v18
	v_dual_mov_b32 v32, 0x7fff :: v_dual_mov_b32 v33, 0x7fff
	s_delay_alu instid0(VALU_DEP_2) | instskip(NEXT) | instid1(VALU_DEP_1)
	v_cmp_lt_u32_e64 s3, v19, v47
	s_and_saveexec_b32 s4, s3
	s_cbranch_execz .LBB1849_12
; %bb.11:
	flat_load_u16 v33, v[0:1] offset:256
.LBB1849_12:
	;; [unrolled: 19-line block ×7, first 2 shown]
	s_or_b32 exec_lo, exec_lo, s18
	v_or_b32_e32 v18, 0x1e0, v18
	s_delay_alu instid0(VALU_DEP_1) | instskip(NEXT) | instid1(VALU_DEP_1)
	v_cmp_lt_u32_e64 s18, v18, v47
	s_and_saveexec_b32 s19, s18
	s_cbranch_execz .LBB1849_34
; %bb.33:
	flat_load_u16 v51, v[0:1] offset:960
.LBB1849_34:
	s_or_b32 exec_lo, exec_lo, s19
	v_lshlrev_b64 v[0:1], 3, v[8:9]
	v_lshlrev_b32_e32 v8, 3, v16
                                        ; implicit-def: $vgpr22_vgpr23
	s_delay_alu instid0(VALU_DEP_2) | instskip(NEXT) | instid1(VALU_DEP_1)
	v_add_co_u32 v9, s19, v4, v0
	v_add_co_ci_u32_e64 v18, s19, v5, v1, s19
	v_lshlrev_b64 v[4:5], 3, v[14:15]
	s_delay_alu instid0(VALU_DEP_3) | instskip(NEXT) | instid1(VALU_DEP_1)
	v_add_co_u32 v8, s19, v9, v8
	v_add_co_ci_u32_e64 v9, s19, 0, v18, s19
	s_delay_alu instid0(VALU_DEP_2) | instskip(NEXT) | instid1(VALU_DEP_1)
	v_add_co_u32 v4, s19, v8, v4
	v_add_co_ci_u32_e64 v5, s19, v9, v5, s19
	s_and_saveexec_b32 s19, vcc_lo
	s_cbranch_execnz .LBB1849_196
; %bb.35:
	s_or_b32 exec_lo, exec_lo, s19
                                        ; implicit-def: $vgpr18_vgpr19
	s_and_saveexec_b32 s19, s0
	s_cbranch_execnz .LBB1849_197
.LBB1849_36:
	s_or_b32 exec_lo, exec_lo, s19
                                        ; implicit-def: $vgpr20_vgpr21
	s_and_saveexec_b32 s0, s1
	s_cbranch_execnz .LBB1849_198
.LBB1849_37:
	s_or_b32 exec_lo, exec_lo, s0
                                        ; implicit-def: $vgpr24_vgpr25
	s_and_saveexec_b32 s0, s2
	s_cbranch_execnz .LBB1849_199
.LBB1849_38:
	s_or_b32 exec_lo, exec_lo, s0
                                        ; implicit-def: $vgpr116_vgpr117
	s_and_saveexec_b32 s0, s3
	s_cbranch_execnz .LBB1849_200
.LBB1849_39:
	s_or_b32 exec_lo, exec_lo, s0
                                        ; implicit-def: $vgpr134_vgpr135
	s_and_saveexec_b32 s0, s4
	s_cbranch_execnz .LBB1849_201
.LBB1849_40:
	s_or_b32 exec_lo, exec_lo, s0
                                        ; implicit-def: $vgpr178_vgpr179
	s_and_saveexec_b32 s0, s5
	s_cbranch_execnz .LBB1849_202
.LBB1849_41:
	s_or_b32 exec_lo, exec_lo, s0
                                        ; implicit-def: $vgpr192_vgpr193
	s_and_saveexec_b32 s0, s6
	s_cbranch_execnz .LBB1849_203
.LBB1849_42:
	s_or_b32 exec_lo, exec_lo, s0
                                        ; implicit-def: $vgpr194_vgpr195
	s_and_saveexec_b32 s0, s7
	s_cbranch_execnz .LBB1849_204
.LBB1849_43:
	s_or_b32 exec_lo, exec_lo, s0
                                        ; implicit-def: $vgpr196_vgpr197
	s_and_saveexec_b32 s0, s10
	s_cbranch_execnz .LBB1849_205
.LBB1849_44:
	s_or_b32 exec_lo, exec_lo, s0
                                        ; implicit-def: $vgpr198_vgpr199
	s_and_saveexec_b32 s0, s11
	s_cbranch_execnz .LBB1849_206
.LBB1849_45:
	s_or_b32 exec_lo, exec_lo, s0
                                        ; implicit-def: $vgpr208_vgpr209
	s_and_saveexec_b32 s0, s14
	s_cbranch_execnz .LBB1849_207
.LBB1849_46:
	s_or_b32 exec_lo, exec_lo, s0
                                        ; implicit-def: $vgpr210_vgpr211
	s_and_saveexec_b32 s0, s15
	s_cbranch_execnz .LBB1849_208
.LBB1849_47:
	s_or_b32 exec_lo, exec_lo, s0
                                        ; implicit-def: $vgpr212_vgpr213
	s_and_saveexec_b32 s0, s16
	s_cbranch_execnz .LBB1849_209
.LBB1849_48:
	s_or_b32 exec_lo, exec_lo, s0
                                        ; implicit-def: $vgpr214_vgpr215
	s_and_saveexec_b32 s0, s17
	s_cbranch_execnz .LBB1849_210
.LBB1849_49:
	s_or_b32 exec_lo, exec_lo, s0
                                        ; implicit-def: $vgpr224_vgpr225
	s_and_saveexec_b32 s0, s18
	s_cbranch_execz .LBB1849_51
.LBB1849_50:
	flat_load_b64 v[224:225], v[4:5] offset:3840
.LBB1849_51:
	s_or_b32 exec_lo, exec_lo, s0
	s_waitcnt vmcnt(0) lgkmcnt(0)
	v_cmp_lt_i16_e32 vcc_lo, -1, v27
	s_mov_b32 s20, 0
	s_getpc_b64 s[0:1]
	s_add_u32 s0, s0, _ZN7rocprim17ROCPRIM_400000_NS16block_radix_sortI6__halfLj256ELj16ElLj1ELj1ELj8ELNS0_26block_radix_rank_algorithmE2ELNS0_18block_padding_hintE2ELNS0_4arch9wavefront6targetE0EE19radix_bits_per_passE@rel32@lo+4
	s_addc_u32 s1, s1, _ZN7rocprim17ROCPRIM_400000_NS16block_radix_sortI6__halfLj256ELj16ElLj1ELj1ELj8ELNS0_26block_radix_rank_algorithmE2ELNS0_18block_padding_hintE2ELNS0_4arch9wavefront6targetE0EE19radix_bits_per_passE@rel32@hi+12
	s_mov_b32 s21, s20
	s_mov_b32 s22, s20
	v_cndmask_b32_e64 v4, -1, 0xffff8000, vcc_lo
	v_cmp_lt_i16_e32 vcc_lo, -1, v17
	s_mov_b32 s23, s20
	s_load_b32 s19, s[0:1], 0x0
	v_cmp_eq_u32_e64 s7, 0, v16
	v_xor_b32_e32 v141, v4, v27
	v_cndmask_b32_e64 v5, -1, 0xffff8000, vcc_lo
	v_cmp_lt_i16_e32 vcc_lo, -1, v31
	v_and_b32_e32 v15, 7, v16
	v_lshrrev_b32_e32 v75, 5, v26
	v_cmp_gt_u32_e64 s5, 8, v34
	v_xor_b32_e32 v139, v5, v17
	v_cndmask_b32_e64 v4, -1, 0xffff8000, vcc_lo
	v_cmp_lt_i16_e32 vcc_lo, -1, v30
	v_cmp_lt_u32_e64 s14, 1, v15
	v_cmp_lt_u32_e64 s15, 3, v15
	;; [unrolled: 1-line block ×3, first 2 shown]
	v_xor_b32_e32 v140, v4, v31
	v_cndmask_b32_e64 v5, -1, 0xffff8000, vcc_lo
	v_cmp_lt_i16_e32 vcc_lo, -1, v33
	v_cmp_eq_u32_e64 s10, 0, v34
	v_sub_nc_u32_e32 v77, v11, v10
	s_waitcnt lgkmcnt(0)
	s_waitcnt_vscnt null, 0x0
	v_xor_b32_e32 v121, v5, v30
	v_cndmask_b32_e64 v8, -1, 0xffff8000, vcc_lo
	v_cmp_lt_i16_e32 vcc_lo, -1, v32
	s_barrier
	buffer_gl0_inv
	v_xor_b32_e32 v120, v8, v33
	v_cndmask_b32_e64 v9, -1, 0xffff8000, vcc_lo
	v_cmp_lt_i16_e32 vcc_lo, -1, v36
	s_delay_alu instid0(VALU_DEP_2) | instskip(SKIP_2) | instid1(VALU_DEP_2)
	v_xor_b32_e32 v111, v9, v32
	v_cndmask_b32_e64 v14, -1, 0xffff8000, vcc_lo
	v_cmp_lt_i16_e32 vcc_lo, -1, v35
	v_xor_b32_e32 v110, v14, v36
	v_cndmask_b32_e64 v4, -1, 0xffff8000, vcc_lo
	v_cmp_lt_i16_e32 vcc_lo, -1, v38
	s_delay_alu instid0(VALU_DEP_2) | instskip(SKIP_2) | instid1(VALU_DEP_2)
	v_xor_b32_e32 v122, v4, v35
	v_cndmask_b32_e64 v5, -1, 0xffff8000, vcc_lo
	v_cmp_lt_i16_e32 vcc_lo, -1, v37
	;; [unrolled: 7-line block ×3, first 2 shown]
	v_xor_b32_e32 v125, v9, v48
	v_cndmask_b32_e64 v14, -1, 0xffff8000, vcc_lo
	v_cmp_lt_i16_e32 vcc_lo, -1, v50
	s_delay_alu instid0(VALU_DEP_2) | instskip(SKIP_3) | instid1(VALU_DEP_3)
	v_xor_b32_e32 v126, v14, v39
	v_cndmask_b32_e64 v4, -1, 0xffff8000, vcc_lo
	v_cmp_lt_i16_e32 vcc_lo, -1, v49
	v_add_nc_u32_e32 v14, -1, v16
	v_xor_b32_e32 v127, v4, v50
	v_cndmask_b32_e64 v5, -1, 0xffff8000, vcc_lo
	v_cmp_lt_i16_e32 vcc_lo, -1, v52
	v_lshlrev_b32_e32 v4, 5, v34
	v_cmp_gt_i32_e64 s4, 0, v14
	s_delay_alu instid0(VALU_DEP_4) | instskip(SKIP_3) | instid1(VALU_DEP_2)
	v_xor_b32_e32 v136, v5, v49
	v_mov_b32_e32 v5, 0
	v_cndmask_b32_e64 v8, -1, 0xffff8000, vcc_lo
	v_cmp_lt_i16_e32 vcc_lo, -1, v51
	v_xor_b32_e32 v137, v8, v52
	v_cndmask_b32_e64 v9, -1, 0xffff8000, vcc_lo
	v_add_co_u32 v27, vcc_lo, v12, 32
	v_add_co_ci_u32_e32 v74, vcc_lo, 0, v13, vcc_lo
	s_delay_alu instid0(VALU_DEP_3)
	v_xor_b32_e32 v138, v9, v51
	v_and_b32_e32 v9, 0x3e0, v34
	v_add_co_u32 v48, vcc_lo, v12, v4
	v_and_b32_e32 v8, 15, v16
	v_add_co_ci_u32_e32 v49, vcc_lo, 0, v13, vcc_lo
	v_add_co_u32 v66, vcc_lo, v27, v4
	v_min_u32_e32 v4, 0xe0, v9
	v_and_b32_e32 v9, 16, v16
	v_add_co_ci_u32_e32 v67, vcc_lo, 0, v74, vcc_lo
	v_cmp_eq_u32_e32 vcc_lo, 0, v8
	v_cmp_lt_u32_e64 s0, 1, v8
	v_cmp_lt_u32_e64 s1, 3, v8
	;; [unrolled: 1-line block ×3, first 2 shown]
	v_cndmask_b32_e64 v8, v14, v16, s4
	v_lshlrev_b32_e32 v14, 4, v34
	v_or_b32_e32 v4, 31, v4
	v_cmp_eq_u32_e64 s3, 0, v9
	v_lshrrev_b32_e32 v9, 5, v34
	v_lshlrev_b32_e32 v76, 2, v8
	v_and_or_b32 v14, 0x3e00, v14, v16
	v_cmp_eq_u32_e64 s4, v4, v34
	v_lshlrev_b32_e32 v8, 2, v34
	v_lshlrev_b32_e32 v4, 2, v9
	s_delay_alu instid0(VALU_DEP_4) | instskip(NEXT) | instid1(VALU_DEP_2)
	v_lshlrev_b32_e32 v16, 1, v14
	v_add_co_u32 v98, s11, v12, v4
	v_add_nc_u32_e32 v4, -1, v9
	s_delay_alu instid0(VALU_DEP_3) | instskip(SKIP_2) | instid1(VALU_DEP_4)
	v_add_co_u32 v102, s16, v12, v16
	v_add_co_ci_u32_e64 v99, s11, 0, v13, s11
	v_add_co_u32 v100, s11, v12, v8
	v_lshlrev_b64 v[8:9], 2, v[4:5]
	v_add_co_ci_u32_e64 v103, s16, 0, v13, s16
	v_add_co_ci_u32_e64 v101, s11, 0, v13, s11
	v_cmp_eq_u32_e64 s11, 0, v15
	s_delay_alu instid0(VALU_DEP_3)
	v_mad_u64_u32 v[114:115], null, v14, 6, v[102:103]
	v_add_co_u32 v112, s16, v12, v8
	v_mov_b32_e32 v14, s20
	v_mov_b32_e32 v16, s22
	v_add_co_ci_u32_e64 v113, s16, v13, v9, s16
	v_mov_b32_e32 v15, s21
	v_mov_b32_e32 v17, s23
	s_branch .LBB1849_53
.LBB1849_52:                            ;   in Loop: Header=BB1849_53 Depth=1
	s_or_b32 exec_lo, exec_lo, s17
	s_delay_alu instid0(SALU_CYCLE_1) | instskip(NEXT) | instid1(SALU_CYCLE_1)
	s_and_b32 s16, exec_lo, s18
	s_or_b32 s20, s16, s20
	s_delay_alu instid0(SALU_CYCLE_1)
	s_and_not1_b32 exec_lo, exec_lo, s20
	s_cbranch_execz .LBB1849_93
.LBB1849_53:                            ; =>This Inner Loop Header: Depth=1
	v_dual_mov_b32 v78, v141 :: v_dual_mov_b32 v83, v23
	v_min_u32_e32 v4, s19, v77
	v_dual_mov_b32 v82, v22 :: v_dual_mov_b32 v97, v19
	s_delay_alu instid0(VALU_DEP_3) | instskip(SKIP_1) | instid1(VALU_DEP_4)
	v_cmp_ne_u16_e64 s16, 0x7fff, v78
	v_mov_b32_e32 v70, v134
	v_lshlrev_b32_e64 v4, v4, -1
	v_dual_mov_b32 v96, v18 :: v_dual_mov_b32 v87, v21
	s_delay_alu instid0(VALU_DEP_4) | instskip(SKIP_1) | instid1(VALU_DEP_4)
	v_cndmask_b32_e64 v8, 0xffff8000, v78, s16
	v_dual_mov_b32 v30, v212 :: v_dual_mov_b32 v79, v139
	v_not_b32_e32 v18, v4
	v_dual_mov_b32 v86, v20 :: v_dual_mov_b32 v85, v25
	s_delay_alu instid0(VALU_DEP_4) | instskip(SKIP_3) | instid1(VALU_DEP_4)
	v_dual_mov_b32 v71, v135 :: v_dual_and_b32 v8, 0xffff, v8
	v_mov_b32_e32 v84, v24
	v_mov_b32_e32 v80, v116
	;; [unrolled: 1-line block ×3, first 2 shown]
	v_lshrrev_b32_e32 v4, v10, v8
	v_dual_mov_b32 v8, v214 :: v_dual_mov_b32 v81, v117
	v_dual_mov_b32 v68, v178 :: v_dual_mov_b32 v31, v213
	s_delay_alu instid0(VALU_DEP_3) | instskip(SKIP_3) | instid1(VALU_DEP_4)
	v_and_b32_e32 v4, v4, v18
	v_mov_b32_e32 v32, v210
	v_mov_b32_e32 v38, v225
	v_dual_mov_b32 v88, v140 :: v_dual_mov_b32 v89, v121
	v_and_b32_e32 v19, 1, v4
	v_lshlrev_b32_e32 v20, 30, v4
	v_dual_mov_b32 v91, v111 :: v_dual_lshlrev_b32 v22, 29, v4
	v_lshlrev_b32_e32 v23, 28, v4
	s_delay_alu instid0(VALU_DEP_4) | instskip(NEXT) | instid1(VALU_DEP_1)
	v_add_co_u32 v19, s16, v19, -1
	v_cndmask_b32_e64 v21, 0, 1, s16
	v_not_b32_e32 v24, v20
	v_cmp_gt_i32_e64 s17, 0, v20
	v_not_b32_e32 v20, v22
	v_mov_b32_e32 v105, v127
	v_cmp_ne_u32_e64 s16, 0, v21
	v_ashrrev_i32_e32 v24, 31, v24
	v_lshlrev_b32_e32 v21, 27, v4
	v_ashrrev_i32_e32 v20, 31, v20
	v_mov_b32_e32 v64, v192
	v_xor_b32_e32 v19, s16, v19
	v_cmp_gt_i32_e64 s16, 0, v22
	v_not_b32_e32 v22, v23
	v_xor_b32_e32 v24, s17, v24
	v_cmp_gt_i32_e64 s17, 0, v23
	v_dual_mov_b32 v90, v120 :: v_dual_and_b32 v19, exec_lo, v19
	v_not_b32_e32 v23, v21
	v_ashrrev_i32_e32 v22, 31, v22
	v_xor_b32_e32 v20, s16, v20
	s_delay_alu instid0(VALU_DEP_4)
	v_dual_mov_b32 v104, v110 :: v_dual_and_b32 v19, v19, v24
	v_dual_mov_b32 v95, v122 :: v_dual_lshlrev_b32 v24, 26, v4
	v_cmp_gt_i32_e64 s16, 0, v21
	v_ashrrev_i32_e32 v21, 31, v23
	v_xor_b32_e32 v22, s17, v22
	v_dual_mov_b32 v94, v124 :: v_dual_and_b32 v19, v19, v20
	v_not_b32_e32 v20, v24
	v_dual_mov_b32 v108, v123 :: v_dual_lshlrev_b32 v23, 25, v4
	v_cmp_gt_i32_e64 s17, 0, v24
	v_xor_b32_e32 v21, s16, v21
	v_dual_mov_b32 v106, v126 :: v_dual_and_b32 v19, v19, v22
	v_ashrrev_i32_e32 v20, 31, v20
	v_not_b32_e32 v22, v23
	v_dual_mov_b32 v107, v125 :: v_dual_lshlrev_b32 v24, 24, v4
	s_delay_alu instid0(VALU_DEP_4) | instskip(NEXT) | instid1(VALU_DEP_4)
	v_dual_mov_b32 v92, v138 :: v_dual_and_b32 v19, v19, v21
	v_xor_b32_e32 v20, s17, v20
	v_cmp_gt_i32_e64 s16, 0, v23
	v_ashrrev_i32_e32 v21, 31, v22
	v_not_b32_e32 v22, v24
	s_delay_alu instid0(VALU_DEP_4) | instskip(SKIP_1) | instid1(VALU_DEP_4)
	v_dual_mov_b32 v54, v194 :: v_dual_and_b32 v19, v19, v20
	v_dual_mov_b32 v52, v196 :: v_dual_mov_b32 v33, v211
	v_xor_b32_e32 v20, s16, v21
	v_cmp_gt_i32_e64 s16, 0, v24
	v_ashrrev_i32_e32 v21, 31, v22
	v_dual_mov_b32 v50, v198 :: v_dual_mov_b32 v35, v208
	s_delay_alu instid0(VALU_DEP_4) | instskip(SKIP_1) | instid1(VALU_DEP_4)
	v_and_b32_e32 v19, v19, v20
	v_mov_b32_e32 v69, v179
	v_xor_b32_e32 v20, s16, v21
	v_mov_b32_e32 v65, v193
	v_mov_b32_e32 v55, v195
	;; [unrolled: 1-line block ×4, first 2 shown]
	v_and_b32_e32 v19, v19, v20
	v_lshlrev_b32_e32 v20, 3, v4
	v_dual_mov_b32 v36, v209 :: v_dual_mov_b32 v9, v215
	v_mov_b32_e32 v109, v136
	s_delay_alu instid0(VALU_DEP_4) | instskip(NEXT) | instid1(VALU_DEP_4)
	v_mbcnt_lo_u32_b32 v4, v19, 0
	v_add_lshl_u32 v20, v20, v75, 2
	v_cmp_ne_u32_e64 s17, 0, v19
	v_mov_b32_e32 v93, v137
	s_clause 0x1
	flat_store_b128 v[48:49], v[14:17] offset:32
	flat_store_b128 v[66:67], v[14:17] offset:16
	v_cmp_eq_u32_e64 s16, 0, v4
	v_add_co_u32 v116, s18, v27, v20
	s_delay_alu instid0(VALU_DEP_1) | instskip(NEXT) | instid1(VALU_DEP_3)
	v_add_co_ci_u32_e64 v117, s18, 0, v74, s18
	s_and_b32 s17, s17, s16
	s_waitcnt lgkmcnt(0)
	s_waitcnt_vscnt null, 0x0
	s_barrier
	buffer_gl0_inv
	; wave barrier
	s_and_saveexec_b32 s16, s17
	s_cbranch_execz .LBB1849_55
; %bb.54:                               ;   in Loop: Header=BB1849_53 Depth=1
	v_bcnt_u32_b32 v19, v19, 0
	flat_store_b32 v[116:117], v19
.LBB1849_55:                            ;   in Loop: Header=BB1849_53 Depth=1
	s_or_b32 exec_lo, exec_lo, s16
	v_cmp_ne_u16_e64 s16, 0x7fff, v79
	; wave barrier
	s_delay_alu instid0(VALU_DEP_1) | instskip(NEXT) | instid1(VALU_DEP_1)
	v_cndmask_b32_e64 v19, 0xffff8000, v79, s16
	v_and_b32_e32 v19, 0xffff, v19
	s_delay_alu instid0(VALU_DEP_1) | instskip(NEXT) | instid1(VALU_DEP_1)
	v_lshrrev_b32_e32 v19, v10, v19
	v_and_b32_e32 v19, v19, v18
	s_delay_alu instid0(VALU_DEP_1) | instskip(SKIP_3) | instid1(VALU_DEP_4)
	v_lshlrev_b32_e32 v20, 3, v19
	v_lshlrev_b32_e32 v22, 30, v19
	v_lshlrev_b32_e32 v23, 29, v19
	v_lshlrev_b32_e32 v24, 28, v19
	v_add_lshl_u32 v20, v20, v75, 2
	s_delay_alu instid0(VALU_DEP_1) | instskip(NEXT) | instid1(VALU_DEP_1)
	v_add_co_u32 v118, s16, v27, v20
	v_add_co_ci_u32_e64 v119, s16, 0, v74, s16
	v_and_b32_e32 v20, 1, v19
	flat_load_b32 v39, v[118:119]
	v_add_co_u32 v20, s16, v20, -1
	s_delay_alu instid0(VALU_DEP_1) | instskip(NEXT) | instid1(VALU_DEP_1)
	v_cndmask_b32_e64 v21, 0, 1, s16
	; wave barrier
	v_cmp_ne_u32_e64 s16, 0, v21
	v_not_b32_e32 v21, v22
	s_delay_alu instid0(VALU_DEP_2) | instskip(SKIP_1) | instid1(VALU_DEP_3)
	v_xor_b32_e32 v20, s16, v20
	v_cmp_gt_i32_e64 s16, 0, v22
	v_ashrrev_i32_e32 v21, 31, v21
	v_not_b32_e32 v22, v23
	s_delay_alu instid0(VALU_DEP_4) | instskip(NEXT) | instid1(VALU_DEP_3)
	v_and_b32_e32 v20, exec_lo, v20
	v_xor_b32_e32 v21, s16, v21
	v_cmp_gt_i32_e64 s16, 0, v23
	s_delay_alu instid0(VALU_DEP_4) | instskip(SKIP_1) | instid1(VALU_DEP_4)
	v_ashrrev_i32_e32 v22, 31, v22
	v_not_b32_e32 v23, v24
	v_and_b32_e32 v20, v20, v21
	v_lshlrev_b32_e32 v21, 27, v19
	s_delay_alu instid0(VALU_DEP_4) | instskip(SKIP_2) | instid1(VALU_DEP_4)
	v_xor_b32_e32 v22, s16, v22
	v_cmp_gt_i32_e64 s16, 0, v24
	v_ashrrev_i32_e32 v23, 31, v23
	v_not_b32_e32 v24, v21
	s_delay_alu instid0(VALU_DEP_4) | instskip(SKIP_1) | instid1(VALU_DEP_4)
	v_and_b32_e32 v20, v20, v22
	v_lshlrev_b32_e32 v22, 26, v19
	v_xor_b32_e32 v23, s16, v23
	v_cmp_gt_i32_e64 s16, 0, v21
	v_ashrrev_i32_e32 v21, 31, v24
	s_delay_alu instid0(VALU_DEP_4) | instskip(NEXT) | instid1(VALU_DEP_4)
	v_not_b32_e32 v24, v22
	v_and_b32_e32 v20, v20, v23
	v_lshlrev_b32_e32 v23, 25, v19
	s_delay_alu instid0(VALU_DEP_4)
	v_xor_b32_e32 v21, s16, v21
	v_cmp_gt_i32_e64 s16, 0, v22
	v_ashrrev_i32_e32 v22, 31, v24
	v_lshlrev_b32_e32 v19, 24, v19
	v_not_b32_e32 v24, v23
	v_and_b32_e32 v20, v20, v21
	s_delay_alu instid0(VALU_DEP_4) | instskip(SKIP_1) | instid1(VALU_DEP_4)
	v_xor_b32_e32 v21, s16, v22
	v_cmp_gt_i32_e64 s16, 0, v23
	v_ashrrev_i32_e32 v22, 31, v24
	v_not_b32_e32 v23, v19
	s_delay_alu instid0(VALU_DEP_4) | instskip(NEXT) | instid1(VALU_DEP_3)
	v_and_b32_e32 v20, v20, v21
	v_xor_b32_e32 v21, s16, v22
	v_cmp_gt_i32_e64 s16, 0, v19
	s_delay_alu instid0(VALU_DEP_4) | instskip(NEXT) | instid1(VALU_DEP_3)
	v_ashrrev_i32_e32 v19, 31, v23
	v_and_b32_e32 v20, v20, v21
	s_delay_alu instid0(VALU_DEP_2) | instskip(NEXT) | instid1(VALU_DEP_1)
	v_xor_b32_e32 v19, s16, v19
	v_and_b32_e32 v19, v20, v19
	s_delay_alu instid0(VALU_DEP_1) | instskip(SKIP_1) | instid1(VALU_DEP_2)
	v_mbcnt_lo_u32_b32 v180, v19, 0
	v_cmp_ne_u32_e64 s17, 0, v19
	v_cmp_eq_u32_e64 s16, 0, v180
	s_delay_alu instid0(VALU_DEP_1) | instskip(NEXT) | instid1(SALU_CYCLE_1)
	s_and_b32 s17, s17, s16
	s_and_saveexec_b32 s16, s17
	s_cbranch_execz .LBB1849_57
; %bb.56:                               ;   in Loop: Header=BB1849_53 Depth=1
	s_waitcnt vmcnt(0) lgkmcnt(0)
	v_bcnt_u32_b32 v19, v19, v39
	flat_store_b32 v[118:119], v19
.LBB1849_57:                            ;   in Loop: Header=BB1849_53 Depth=1
	s_or_b32 exec_lo, exec_lo, s16
	v_cmp_ne_u16_e64 s16, 0x7fff, v88
	; wave barrier
	s_delay_alu instid0(VALU_DEP_1) | instskip(NEXT) | instid1(VALU_DEP_1)
	v_cndmask_b32_e64 v19, 0xffff8000, v88, s16
	v_and_b32_e32 v19, 0xffff, v19
	s_delay_alu instid0(VALU_DEP_1) | instskip(NEXT) | instid1(VALU_DEP_1)
	v_lshrrev_b32_e32 v19, v10, v19
	v_and_b32_e32 v19, v19, v18
	s_delay_alu instid0(VALU_DEP_1) | instskip(SKIP_3) | instid1(VALU_DEP_4)
	v_lshlrev_b32_e32 v20, 3, v19
	v_lshlrev_b32_e32 v22, 30, v19
	;; [unrolled: 1-line block ×4, first 2 shown]
	v_add_lshl_u32 v20, v20, v75, 2
	s_delay_alu instid0(VALU_DEP_1) | instskip(NEXT) | instid1(VALU_DEP_1)
	v_add_co_u32 v128, s16, v27, v20
	v_add_co_ci_u32_e64 v129, s16, 0, v74, s16
	v_and_b32_e32 v20, 1, v19
	flat_load_b32 v192, v[128:129]
	v_add_co_u32 v20, s16, v20, -1
	s_delay_alu instid0(VALU_DEP_1) | instskip(NEXT) | instid1(VALU_DEP_1)
	v_cndmask_b32_e64 v21, 0, 1, s16
	; wave barrier
	v_cmp_ne_u32_e64 s16, 0, v21
	v_not_b32_e32 v21, v22
	s_delay_alu instid0(VALU_DEP_2) | instskip(SKIP_1) | instid1(VALU_DEP_3)
	v_xor_b32_e32 v20, s16, v20
	v_cmp_gt_i32_e64 s16, 0, v22
	v_ashrrev_i32_e32 v21, 31, v21
	v_not_b32_e32 v22, v23
	s_delay_alu instid0(VALU_DEP_4) | instskip(NEXT) | instid1(VALU_DEP_3)
	v_and_b32_e32 v20, exec_lo, v20
	v_xor_b32_e32 v21, s16, v21
	v_cmp_gt_i32_e64 s16, 0, v23
	s_delay_alu instid0(VALU_DEP_4) | instskip(SKIP_1) | instid1(VALU_DEP_4)
	v_ashrrev_i32_e32 v22, 31, v22
	v_not_b32_e32 v23, v24
	v_and_b32_e32 v20, v20, v21
	v_lshlrev_b32_e32 v21, 27, v19
	s_delay_alu instid0(VALU_DEP_4) | instskip(SKIP_2) | instid1(VALU_DEP_4)
	v_xor_b32_e32 v22, s16, v22
	v_cmp_gt_i32_e64 s16, 0, v24
	v_ashrrev_i32_e32 v23, 31, v23
	v_not_b32_e32 v24, v21
	s_delay_alu instid0(VALU_DEP_4) | instskip(SKIP_1) | instid1(VALU_DEP_4)
	v_and_b32_e32 v20, v20, v22
	v_lshlrev_b32_e32 v22, 26, v19
	v_xor_b32_e32 v23, s16, v23
	v_cmp_gt_i32_e64 s16, 0, v21
	v_ashrrev_i32_e32 v21, 31, v24
	s_delay_alu instid0(VALU_DEP_4) | instskip(NEXT) | instid1(VALU_DEP_4)
	v_not_b32_e32 v24, v22
	v_and_b32_e32 v20, v20, v23
	v_lshlrev_b32_e32 v23, 25, v19
	s_delay_alu instid0(VALU_DEP_4)
	v_xor_b32_e32 v21, s16, v21
	v_cmp_gt_i32_e64 s16, 0, v22
	v_ashrrev_i32_e32 v22, 31, v24
	v_lshlrev_b32_e32 v19, 24, v19
	v_not_b32_e32 v24, v23
	v_and_b32_e32 v20, v20, v21
	s_delay_alu instid0(VALU_DEP_4) | instskip(SKIP_1) | instid1(VALU_DEP_4)
	v_xor_b32_e32 v21, s16, v22
	v_cmp_gt_i32_e64 s16, 0, v23
	v_ashrrev_i32_e32 v22, 31, v24
	v_not_b32_e32 v23, v19
	s_delay_alu instid0(VALU_DEP_4) | instskip(NEXT) | instid1(VALU_DEP_3)
	v_and_b32_e32 v20, v20, v21
	v_xor_b32_e32 v21, s16, v22
	v_cmp_gt_i32_e64 s16, 0, v19
	s_delay_alu instid0(VALU_DEP_4) | instskip(NEXT) | instid1(VALU_DEP_3)
	v_ashrrev_i32_e32 v19, 31, v23
	v_and_b32_e32 v20, v20, v21
	s_delay_alu instid0(VALU_DEP_2) | instskip(NEXT) | instid1(VALU_DEP_1)
	v_xor_b32_e32 v19, s16, v19
	v_and_b32_e32 v19, v20, v19
	s_delay_alu instid0(VALU_DEP_1) | instskip(SKIP_1) | instid1(VALU_DEP_2)
	v_mbcnt_lo_u32_b32 v193, v19, 0
	v_cmp_ne_u32_e64 s17, 0, v19
	v_cmp_eq_u32_e64 s16, 0, v193
	s_delay_alu instid0(VALU_DEP_1) | instskip(NEXT) | instid1(SALU_CYCLE_1)
	s_and_b32 s17, s17, s16
	s_and_saveexec_b32 s16, s17
	s_cbranch_execz .LBB1849_59
; %bb.58:                               ;   in Loop: Header=BB1849_53 Depth=1
	s_waitcnt vmcnt(0) lgkmcnt(0)
	v_bcnt_u32_b32 v19, v19, v192
	flat_store_b32 v[128:129], v19
.LBB1849_59:                            ;   in Loop: Header=BB1849_53 Depth=1
	s_or_b32 exec_lo, exec_lo, s16
	v_cmp_ne_u16_e64 s16, 0x7fff, v89
	; wave barrier
	s_delay_alu instid0(VALU_DEP_1) | instskip(NEXT) | instid1(VALU_DEP_1)
	v_cndmask_b32_e64 v19, 0xffff8000, v89, s16
	v_and_b32_e32 v19, 0xffff, v19
	s_delay_alu instid0(VALU_DEP_1) | instskip(NEXT) | instid1(VALU_DEP_1)
	v_lshrrev_b32_e32 v19, v10, v19
	v_and_b32_e32 v19, v19, v18
	s_delay_alu instid0(VALU_DEP_1) | instskip(SKIP_3) | instid1(VALU_DEP_4)
	v_lshlrev_b32_e32 v20, 3, v19
	v_lshlrev_b32_e32 v22, 30, v19
	;; [unrolled: 1-line block ×4, first 2 shown]
	v_add_lshl_u32 v20, v20, v75, 2
	s_delay_alu instid0(VALU_DEP_1) | instskip(NEXT) | instid1(VALU_DEP_1)
	v_add_co_u32 v130, s16, v27, v20
	v_add_co_ci_u32_e64 v131, s16, 0, v74, s16
	v_and_b32_e32 v20, 1, v19
	flat_load_b32 v194, v[130:131]
	v_add_co_u32 v20, s16, v20, -1
	s_delay_alu instid0(VALU_DEP_1) | instskip(NEXT) | instid1(VALU_DEP_1)
	v_cndmask_b32_e64 v21, 0, 1, s16
	; wave barrier
	v_cmp_ne_u32_e64 s16, 0, v21
	v_not_b32_e32 v21, v22
	s_delay_alu instid0(VALU_DEP_2) | instskip(SKIP_1) | instid1(VALU_DEP_3)
	v_xor_b32_e32 v20, s16, v20
	v_cmp_gt_i32_e64 s16, 0, v22
	v_ashrrev_i32_e32 v21, 31, v21
	v_not_b32_e32 v22, v23
	s_delay_alu instid0(VALU_DEP_4) | instskip(NEXT) | instid1(VALU_DEP_3)
	v_and_b32_e32 v20, exec_lo, v20
	v_xor_b32_e32 v21, s16, v21
	v_cmp_gt_i32_e64 s16, 0, v23
	s_delay_alu instid0(VALU_DEP_4) | instskip(SKIP_1) | instid1(VALU_DEP_4)
	v_ashrrev_i32_e32 v22, 31, v22
	v_not_b32_e32 v23, v24
	v_and_b32_e32 v20, v20, v21
	v_lshlrev_b32_e32 v21, 27, v19
	s_delay_alu instid0(VALU_DEP_4) | instskip(SKIP_2) | instid1(VALU_DEP_4)
	v_xor_b32_e32 v22, s16, v22
	v_cmp_gt_i32_e64 s16, 0, v24
	v_ashrrev_i32_e32 v23, 31, v23
	v_not_b32_e32 v24, v21
	s_delay_alu instid0(VALU_DEP_4) | instskip(SKIP_1) | instid1(VALU_DEP_4)
	v_and_b32_e32 v20, v20, v22
	v_lshlrev_b32_e32 v22, 26, v19
	v_xor_b32_e32 v23, s16, v23
	v_cmp_gt_i32_e64 s16, 0, v21
	v_ashrrev_i32_e32 v21, 31, v24
	s_delay_alu instid0(VALU_DEP_4) | instskip(NEXT) | instid1(VALU_DEP_4)
	v_not_b32_e32 v24, v22
	v_and_b32_e32 v20, v20, v23
	v_lshlrev_b32_e32 v23, 25, v19
	s_delay_alu instid0(VALU_DEP_4)
	v_xor_b32_e32 v21, s16, v21
	v_cmp_gt_i32_e64 s16, 0, v22
	v_ashrrev_i32_e32 v22, 31, v24
	v_lshlrev_b32_e32 v19, 24, v19
	v_not_b32_e32 v24, v23
	v_and_b32_e32 v20, v20, v21
	s_delay_alu instid0(VALU_DEP_4) | instskip(SKIP_1) | instid1(VALU_DEP_4)
	v_xor_b32_e32 v21, s16, v22
	v_cmp_gt_i32_e64 s16, 0, v23
	v_ashrrev_i32_e32 v22, 31, v24
	v_not_b32_e32 v23, v19
	s_delay_alu instid0(VALU_DEP_4) | instskip(NEXT) | instid1(VALU_DEP_3)
	v_and_b32_e32 v20, v20, v21
	v_xor_b32_e32 v21, s16, v22
	v_cmp_gt_i32_e64 s16, 0, v19
	s_delay_alu instid0(VALU_DEP_4) | instskip(NEXT) | instid1(VALU_DEP_3)
	v_ashrrev_i32_e32 v19, 31, v23
	v_and_b32_e32 v20, v20, v21
	s_delay_alu instid0(VALU_DEP_2) | instskip(NEXT) | instid1(VALU_DEP_1)
	v_xor_b32_e32 v19, s16, v19
	v_and_b32_e32 v19, v20, v19
	s_delay_alu instid0(VALU_DEP_1) | instskip(SKIP_1) | instid1(VALU_DEP_2)
	v_mbcnt_lo_u32_b32 v195, v19, 0
	v_cmp_ne_u32_e64 s17, 0, v19
	v_cmp_eq_u32_e64 s16, 0, v195
	s_delay_alu instid0(VALU_DEP_1) | instskip(NEXT) | instid1(SALU_CYCLE_1)
	s_and_b32 s17, s17, s16
	s_and_saveexec_b32 s16, s17
	s_cbranch_execz .LBB1849_61
; %bb.60:                               ;   in Loop: Header=BB1849_53 Depth=1
	s_waitcnt vmcnt(0) lgkmcnt(0)
	v_bcnt_u32_b32 v19, v19, v194
	flat_store_b32 v[130:131], v19
.LBB1849_61:                            ;   in Loop: Header=BB1849_53 Depth=1
	s_or_b32 exec_lo, exec_lo, s16
	v_cmp_ne_u16_e64 s16, 0x7fff, v90
	; wave barrier
	s_delay_alu instid0(VALU_DEP_1) | instskip(NEXT) | instid1(VALU_DEP_1)
	v_cndmask_b32_e64 v19, 0xffff8000, v90, s16
	v_and_b32_e32 v19, 0xffff, v19
	s_delay_alu instid0(VALU_DEP_1) | instskip(NEXT) | instid1(VALU_DEP_1)
	v_lshrrev_b32_e32 v19, v10, v19
	v_and_b32_e32 v19, v19, v18
	s_delay_alu instid0(VALU_DEP_1) | instskip(SKIP_3) | instid1(VALU_DEP_4)
	v_lshlrev_b32_e32 v20, 3, v19
	v_lshlrev_b32_e32 v22, 30, v19
	;; [unrolled: 1-line block ×4, first 2 shown]
	v_add_lshl_u32 v20, v20, v75, 2
	s_delay_alu instid0(VALU_DEP_1) | instskip(NEXT) | instid1(VALU_DEP_1)
	v_add_co_u32 v132, s16, v27, v20
	v_add_co_ci_u32_e64 v133, s16, 0, v74, s16
	v_and_b32_e32 v20, 1, v19
	flat_load_b32 v196, v[132:133]
	v_add_co_u32 v20, s16, v20, -1
	s_delay_alu instid0(VALU_DEP_1) | instskip(NEXT) | instid1(VALU_DEP_1)
	v_cndmask_b32_e64 v21, 0, 1, s16
	; wave barrier
	v_cmp_ne_u32_e64 s16, 0, v21
	v_not_b32_e32 v21, v22
	s_delay_alu instid0(VALU_DEP_2) | instskip(SKIP_1) | instid1(VALU_DEP_3)
	v_xor_b32_e32 v20, s16, v20
	v_cmp_gt_i32_e64 s16, 0, v22
	v_ashrrev_i32_e32 v21, 31, v21
	v_not_b32_e32 v22, v23
	s_delay_alu instid0(VALU_DEP_4) | instskip(NEXT) | instid1(VALU_DEP_3)
	v_and_b32_e32 v20, exec_lo, v20
	v_xor_b32_e32 v21, s16, v21
	v_cmp_gt_i32_e64 s16, 0, v23
	s_delay_alu instid0(VALU_DEP_4) | instskip(SKIP_1) | instid1(VALU_DEP_4)
	v_ashrrev_i32_e32 v22, 31, v22
	v_not_b32_e32 v23, v24
	v_and_b32_e32 v20, v20, v21
	v_lshlrev_b32_e32 v21, 27, v19
	s_delay_alu instid0(VALU_DEP_4) | instskip(SKIP_2) | instid1(VALU_DEP_4)
	v_xor_b32_e32 v22, s16, v22
	v_cmp_gt_i32_e64 s16, 0, v24
	v_ashrrev_i32_e32 v23, 31, v23
	v_not_b32_e32 v24, v21
	s_delay_alu instid0(VALU_DEP_4) | instskip(SKIP_1) | instid1(VALU_DEP_4)
	v_and_b32_e32 v20, v20, v22
	v_lshlrev_b32_e32 v22, 26, v19
	v_xor_b32_e32 v23, s16, v23
	v_cmp_gt_i32_e64 s16, 0, v21
	v_ashrrev_i32_e32 v21, 31, v24
	s_delay_alu instid0(VALU_DEP_4) | instskip(NEXT) | instid1(VALU_DEP_4)
	v_not_b32_e32 v24, v22
	v_and_b32_e32 v20, v20, v23
	v_lshlrev_b32_e32 v23, 25, v19
	s_delay_alu instid0(VALU_DEP_4)
	v_xor_b32_e32 v21, s16, v21
	v_cmp_gt_i32_e64 s16, 0, v22
	v_ashrrev_i32_e32 v22, 31, v24
	v_lshlrev_b32_e32 v19, 24, v19
	v_not_b32_e32 v24, v23
	v_and_b32_e32 v20, v20, v21
	s_delay_alu instid0(VALU_DEP_4) | instskip(SKIP_1) | instid1(VALU_DEP_4)
	v_xor_b32_e32 v21, s16, v22
	v_cmp_gt_i32_e64 s16, 0, v23
	v_ashrrev_i32_e32 v22, 31, v24
	v_not_b32_e32 v23, v19
	s_delay_alu instid0(VALU_DEP_4) | instskip(NEXT) | instid1(VALU_DEP_3)
	v_and_b32_e32 v20, v20, v21
	v_xor_b32_e32 v21, s16, v22
	v_cmp_gt_i32_e64 s16, 0, v19
	s_delay_alu instid0(VALU_DEP_4) | instskip(NEXT) | instid1(VALU_DEP_3)
	v_ashrrev_i32_e32 v19, 31, v23
	v_and_b32_e32 v20, v20, v21
	s_delay_alu instid0(VALU_DEP_2) | instskip(NEXT) | instid1(VALU_DEP_1)
	v_xor_b32_e32 v19, s16, v19
	v_and_b32_e32 v19, v20, v19
	s_delay_alu instid0(VALU_DEP_1) | instskip(SKIP_1) | instid1(VALU_DEP_2)
	v_mbcnt_lo_u32_b32 v197, v19, 0
	v_cmp_ne_u32_e64 s17, 0, v19
	v_cmp_eq_u32_e64 s16, 0, v197
	s_delay_alu instid0(VALU_DEP_1) | instskip(NEXT) | instid1(SALU_CYCLE_1)
	s_and_b32 s17, s17, s16
	s_and_saveexec_b32 s16, s17
	s_cbranch_execz .LBB1849_63
; %bb.62:                               ;   in Loop: Header=BB1849_53 Depth=1
	s_waitcnt vmcnt(0) lgkmcnt(0)
	v_bcnt_u32_b32 v19, v19, v196
	flat_store_b32 v[132:133], v19
.LBB1849_63:                            ;   in Loop: Header=BB1849_53 Depth=1
	s_or_b32 exec_lo, exec_lo, s16
	v_cmp_ne_u16_e64 s16, 0x7fff, v91
	; wave barrier
	s_delay_alu instid0(VALU_DEP_1) | instskip(NEXT) | instid1(VALU_DEP_1)
	v_cndmask_b32_e64 v19, 0xffff8000, v91, s16
	v_and_b32_e32 v19, 0xffff, v19
	s_delay_alu instid0(VALU_DEP_1) | instskip(NEXT) | instid1(VALU_DEP_1)
	v_lshrrev_b32_e32 v19, v10, v19
	v_and_b32_e32 v19, v19, v18
	s_delay_alu instid0(VALU_DEP_1) | instskip(SKIP_3) | instid1(VALU_DEP_4)
	v_lshlrev_b32_e32 v20, 3, v19
	v_lshlrev_b32_e32 v22, 30, v19
	;; [unrolled: 1-line block ×4, first 2 shown]
	v_add_lshl_u32 v20, v20, v75, 2
	s_delay_alu instid0(VALU_DEP_1) | instskip(NEXT) | instid1(VALU_DEP_1)
	v_add_co_u32 v134, s16, v27, v20
	v_add_co_ci_u32_e64 v135, s16, 0, v74, s16
	v_and_b32_e32 v20, 1, v19
	flat_load_b32 v198, v[134:135]
	v_add_co_u32 v20, s16, v20, -1
	s_delay_alu instid0(VALU_DEP_1) | instskip(NEXT) | instid1(VALU_DEP_1)
	v_cndmask_b32_e64 v21, 0, 1, s16
	; wave barrier
	v_cmp_ne_u32_e64 s16, 0, v21
	v_not_b32_e32 v21, v22
	s_delay_alu instid0(VALU_DEP_2) | instskip(SKIP_1) | instid1(VALU_DEP_3)
	v_xor_b32_e32 v20, s16, v20
	v_cmp_gt_i32_e64 s16, 0, v22
	v_ashrrev_i32_e32 v21, 31, v21
	v_not_b32_e32 v22, v23
	s_delay_alu instid0(VALU_DEP_4) | instskip(NEXT) | instid1(VALU_DEP_3)
	v_and_b32_e32 v20, exec_lo, v20
	v_xor_b32_e32 v21, s16, v21
	v_cmp_gt_i32_e64 s16, 0, v23
	s_delay_alu instid0(VALU_DEP_4) | instskip(SKIP_1) | instid1(VALU_DEP_4)
	v_ashrrev_i32_e32 v22, 31, v22
	v_not_b32_e32 v23, v24
	v_and_b32_e32 v20, v20, v21
	v_lshlrev_b32_e32 v21, 27, v19
	s_delay_alu instid0(VALU_DEP_4) | instskip(SKIP_2) | instid1(VALU_DEP_4)
	v_xor_b32_e32 v22, s16, v22
	v_cmp_gt_i32_e64 s16, 0, v24
	v_ashrrev_i32_e32 v23, 31, v23
	v_not_b32_e32 v24, v21
	s_delay_alu instid0(VALU_DEP_4) | instskip(SKIP_1) | instid1(VALU_DEP_4)
	v_and_b32_e32 v20, v20, v22
	v_lshlrev_b32_e32 v22, 26, v19
	v_xor_b32_e32 v23, s16, v23
	v_cmp_gt_i32_e64 s16, 0, v21
	v_ashrrev_i32_e32 v21, 31, v24
	s_delay_alu instid0(VALU_DEP_4) | instskip(NEXT) | instid1(VALU_DEP_4)
	v_not_b32_e32 v24, v22
	v_and_b32_e32 v20, v20, v23
	v_lshlrev_b32_e32 v23, 25, v19
	s_delay_alu instid0(VALU_DEP_4)
	v_xor_b32_e32 v21, s16, v21
	v_cmp_gt_i32_e64 s16, 0, v22
	v_ashrrev_i32_e32 v22, 31, v24
	v_lshlrev_b32_e32 v19, 24, v19
	v_not_b32_e32 v24, v23
	v_and_b32_e32 v20, v20, v21
	s_delay_alu instid0(VALU_DEP_4) | instskip(SKIP_1) | instid1(VALU_DEP_4)
	v_xor_b32_e32 v21, s16, v22
	v_cmp_gt_i32_e64 s16, 0, v23
	v_ashrrev_i32_e32 v22, 31, v24
	v_not_b32_e32 v23, v19
	s_delay_alu instid0(VALU_DEP_4) | instskip(NEXT) | instid1(VALU_DEP_3)
	v_and_b32_e32 v20, v20, v21
	v_xor_b32_e32 v21, s16, v22
	v_cmp_gt_i32_e64 s16, 0, v19
	s_delay_alu instid0(VALU_DEP_4) | instskip(NEXT) | instid1(VALU_DEP_3)
	v_ashrrev_i32_e32 v19, 31, v23
	v_and_b32_e32 v20, v20, v21
	s_delay_alu instid0(VALU_DEP_2) | instskip(NEXT) | instid1(VALU_DEP_1)
	v_xor_b32_e32 v19, s16, v19
	v_and_b32_e32 v19, v20, v19
	s_delay_alu instid0(VALU_DEP_1) | instskip(SKIP_1) | instid1(VALU_DEP_2)
	v_mbcnt_lo_u32_b32 v199, v19, 0
	v_cmp_ne_u32_e64 s17, 0, v19
	v_cmp_eq_u32_e64 s16, 0, v199
	s_delay_alu instid0(VALU_DEP_1) | instskip(NEXT) | instid1(SALU_CYCLE_1)
	s_and_b32 s17, s17, s16
	s_and_saveexec_b32 s16, s17
	s_cbranch_execz .LBB1849_65
; %bb.64:                               ;   in Loop: Header=BB1849_53 Depth=1
	s_waitcnt vmcnt(0) lgkmcnt(0)
	v_bcnt_u32_b32 v19, v19, v198
	flat_store_b32 v[134:135], v19
.LBB1849_65:                            ;   in Loop: Header=BB1849_53 Depth=1
	s_or_b32 exec_lo, exec_lo, s16
	v_cmp_ne_u16_e64 s16, 0x7fff, v104
	; wave barrier
	s_delay_alu instid0(VALU_DEP_1) | instskip(NEXT) | instid1(VALU_DEP_1)
	v_cndmask_b32_e64 v19, 0xffff8000, v104, s16
	v_and_b32_e32 v19, 0xffff, v19
	s_delay_alu instid0(VALU_DEP_1) | instskip(NEXT) | instid1(VALU_DEP_1)
	v_lshrrev_b32_e32 v19, v10, v19
	v_and_b32_e32 v19, v19, v18
	s_delay_alu instid0(VALU_DEP_1) | instskip(SKIP_3) | instid1(VALU_DEP_4)
	v_lshlrev_b32_e32 v20, 3, v19
	v_lshlrev_b32_e32 v22, 30, v19
	;; [unrolled: 1-line block ×4, first 2 shown]
	v_add_lshl_u32 v20, v20, v75, 2
	s_delay_alu instid0(VALU_DEP_1) | instskip(NEXT) | instid1(VALU_DEP_1)
	v_add_co_u32 v144, s16, v27, v20
	v_add_co_ci_u32_e64 v145, s16, 0, v74, s16
	v_and_b32_e32 v20, 1, v19
	flat_load_b32 v208, v[144:145]
	v_add_co_u32 v20, s16, v20, -1
	s_delay_alu instid0(VALU_DEP_1) | instskip(NEXT) | instid1(VALU_DEP_1)
	v_cndmask_b32_e64 v21, 0, 1, s16
	; wave barrier
	v_cmp_ne_u32_e64 s16, 0, v21
	v_not_b32_e32 v21, v22
	s_delay_alu instid0(VALU_DEP_2) | instskip(SKIP_1) | instid1(VALU_DEP_3)
	v_xor_b32_e32 v20, s16, v20
	v_cmp_gt_i32_e64 s16, 0, v22
	v_ashrrev_i32_e32 v21, 31, v21
	v_not_b32_e32 v22, v23
	s_delay_alu instid0(VALU_DEP_4) | instskip(NEXT) | instid1(VALU_DEP_3)
	v_and_b32_e32 v20, exec_lo, v20
	v_xor_b32_e32 v21, s16, v21
	v_cmp_gt_i32_e64 s16, 0, v23
	s_delay_alu instid0(VALU_DEP_4) | instskip(SKIP_1) | instid1(VALU_DEP_4)
	v_ashrrev_i32_e32 v22, 31, v22
	v_not_b32_e32 v23, v24
	v_and_b32_e32 v20, v20, v21
	v_lshlrev_b32_e32 v21, 27, v19
	s_delay_alu instid0(VALU_DEP_4) | instskip(SKIP_2) | instid1(VALU_DEP_4)
	v_xor_b32_e32 v22, s16, v22
	v_cmp_gt_i32_e64 s16, 0, v24
	v_ashrrev_i32_e32 v23, 31, v23
	v_not_b32_e32 v24, v21
	s_delay_alu instid0(VALU_DEP_4) | instskip(SKIP_1) | instid1(VALU_DEP_4)
	v_and_b32_e32 v20, v20, v22
	v_lshlrev_b32_e32 v22, 26, v19
	v_xor_b32_e32 v23, s16, v23
	v_cmp_gt_i32_e64 s16, 0, v21
	v_ashrrev_i32_e32 v21, 31, v24
	s_delay_alu instid0(VALU_DEP_4) | instskip(NEXT) | instid1(VALU_DEP_4)
	v_not_b32_e32 v24, v22
	v_and_b32_e32 v20, v20, v23
	v_lshlrev_b32_e32 v23, 25, v19
	s_delay_alu instid0(VALU_DEP_4)
	v_xor_b32_e32 v21, s16, v21
	v_cmp_gt_i32_e64 s16, 0, v22
	v_ashrrev_i32_e32 v22, 31, v24
	v_lshlrev_b32_e32 v19, 24, v19
	v_not_b32_e32 v24, v23
	v_and_b32_e32 v20, v20, v21
	s_delay_alu instid0(VALU_DEP_4) | instskip(SKIP_1) | instid1(VALU_DEP_4)
	v_xor_b32_e32 v21, s16, v22
	v_cmp_gt_i32_e64 s16, 0, v23
	v_ashrrev_i32_e32 v22, 31, v24
	v_not_b32_e32 v23, v19
	s_delay_alu instid0(VALU_DEP_4) | instskip(NEXT) | instid1(VALU_DEP_3)
	v_and_b32_e32 v20, v20, v21
	v_xor_b32_e32 v21, s16, v22
	v_cmp_gt_i32_e64 s16, 0, v19
	s_delay_alu instid0(VALU_DEP_4) | instskip(NEXT) | instid1(VALU_DEP_3)
	v_ashrrev_i32_e32 v19, 31, v23
	v_and_b32_e32 v20, v20, v21
	s_delay_alu instid0(VALU_DEP_2) | instskip(NEXT) | instid1(VALU_DEP_1)
	v_xor_b32_e32 v19, s16, v19
	v_and_b32_e32 v19, v20, v19
	s_delay_alu instid0(VALU_DEP_1) | instskip(SKIP_1) | instid1(VALU_DEP_2)
	v_mbcnt_lo_u32_b32 v209, v19, 0
	v_cmp_ne_u32_e64 s17, 0, v19
	v_cmp_eq_u32_e64 s16, 0, v209
	s_delay_alu instid0(VALU_DEP_1) | instskip(NEXT) | instid1(SALU_CYCLE_1)
	s_and_b32 s17, s17, s16
	s_and_saveexec_b32 s16, s17
	s_cbranch_execz .LBB1849_67
; %bb.66:                               ;   in Loop: Header=BB1849_53 Depth=1
	s_waitcnt vmcnt(0) lgkmcnt(0)
	v_bcnt_u32_b32 v19, v19, v208
	flat_store_b32 v[144:145], v19
.LBB1849_67:                            ;   in Loop: Header=BB1849_53 Depth=1
	s_or_b32 exec_lo, exec_lo, s16
	v_cmp_ne_u16_e64 s16, 0x7fff, v95
	; wave barrier
	s_delay_alu instid0(VALU_DEP_1) | instskip(NEXT) | instid1(VALU_DEP_1)
	v_cndmask_b32_e64 v19, 0xffff8000, v95, s16
	v_and_b32_e32 v19, 0xffff, v19
	s_delay_alu instid0(VALU_DEP_1) | instskip(NEXT) | instid1(VALU_DEP_1)
	v_lshrrev_b32_e32 v19, v10, v19
	v_and_b32_e32 v19, v19, v18
	s_delay_alu instid0(VALU_DEP_1) | instskip(SKIP_3) | instid1(VALU_DEP_4)
	v_lshlrev_b32_e32 v20, 3, v19
	v_lshlrev_b32_e32 v22, 30, v19
	;; [unrolled: 1-line block ×4, first 2 shown]
	v_add_lshl_u32 v20, v20, v75, 2
	s_delay_alu instid0(VALU_DEP_1) | instskip(NEXT) | instid1(VALU_DEP_1)
	v_add_co_u32 v146, s16, v27, v20
	v_add_co_ci_u32_e64 v147, s16, 0, v74, s16
	v_and_b32_e32 v20, 1, v19
	flat_load_b32 v210, v[146:147]
	v_add_co_u32 v20, s16, v20, -1
	s_delay_alu instid0(VALU_DEP_1) | instskip(NEXT) | instid1(VALU_DEP_1)
	v_cndmask_b32_e64 v21, 0, 1, s16
	; wave barrier
	v_cmp_ne_u32_e64 s16, 0, v21
	v_not_b32_e32 v21, v22
	s_delay_alu instid0(VALU_DEP_2) | instskip(SKIP_1) | instid1(VALU_DEP_3)
	v_xor_b32_e32 v20, s16, v20
	v_cmp_gt_i32_e64 s16, 0, v22
	v_ashrrev_i32_e32 v21, 31, v21
	v_not_b32_e32 v22, v23
	s_delay_alu instid0(VALU_DEP_4) | instskip(NEXT) | instid1(VALU_DEP_3)
	v_and_b32_e32 v20, exec_lo, v20
	v_xor_b32_e32 v21, s16, v21
	v_cmp_gt_i32_e64 s16, 0, v23
	s_delay_alu instid0(VALU_DEP_4) | instskip(SKIP_1) | instid1(VALU_DEP_4)
	v_ashrrev_i32_e32 v22, 31, v22
	v_not_b32_e32 v23, v24
	v_and_b32_e32 v20, v20, v21
	v_lshlrev_b32_e32 v21, 27, v19
	s_delay_alu instid0(VALU_DEP_4) | instskip(SKIP_2) | instid1(VALU_DEP_4)
	v_xor_b32_e32 v22, s16, v22
	v_cmp_gt_i32_e64 s16, 0, v24
	v_ashrrev_i32_e32 v23, 31, v23
	v_not_b32_e32 v24, v21
	s_delay_alu instid0(VALU_DEP_4) | instskip(SKIP_1) | instid1(VALU_DEP_4)
	v_and_b32_e32 v20, v20, v22
	v_lshlrev_b32_e32 v22, 26, v19
	v_xor_b32_e32 v23, s16, v23
	v_cmp_gt_i32_e64 s16, 0, v21
	v_ashrrev_i32_e32 v21, 31, v24
	s_delay_alu instid0(VALU_DEP_4) | instskip(NEXT) | instid1(VALU_DEP_4)
	v_not_b32_e32 v24, v22
	v_and_b32_e32 v20, v20, v23
	v_lshlrev_b32_e32 v23, 25, v19
	s_delay_alu instid0(VALU_DEP_4)
	v_xor_b32_e32 v21, s16, v21
	v_cmp_gt_i32_e64 s16, 0, v22
	v_ashrrev_i32_e32 v22, 31, v24
	v_lshlrev_b32_e32 v19, 24, v19
	v_not_b32_e32 v24, v23
	v_and_b32_e32 v20, v20, v21
	s_delay_alu instid0(VALU_DEP_4) | instskip(SKIP_1) | instid1(VALU_DEP_4)
	v_xor_b32_e32 v21, s16, v22
	v_cmp_gt_i32_e64 s16, 0, v23
	v_ashrrev_i32_e32 v22, 31, v24
	v_not_b32_e32 v23, v19
	s_delay_alu instid0(VALU_DEP_4) | instskip(NEXT) | instid1(VALU_DEP_3)
	v_and_b32_e32 v20, v20, v21
	v_xor_b32_e32 v21, s16, v22
	v_cmp_gt_i32_e64 s16, 0, v19
	s_delay_alu instid0(VALU_DEP_4) | instskip(NEXT) | instid1(VALU_DEP_3)
	v_ashrrev_i32_e32 v19, 31, v23
	v_and_b32_e32 v20, v20, v21
	s_delay_alu instid0(VALU_DEP_2) | instskip(NEXT) | instid1(VALU_DEP_1)
	v_xor_b32_e32 v19, s16, v19
	v_and_b32_e32 v19, v20, v19
	s_delay_alu instid0(VALU_DEP_1) | instskip(SKIP_1) | instid1(VALU_DEP_2)
	v_mbcnt_lo_u32_b32 v211, v19, 0
	v_cmp_ne_u32_e64 s17, 0, v19
	v_cmp_eq_u32_e64 s16, 0, v211
	s_delay_alu instid0(VALU_DEP_1) | instskip(NEXT) | instid1(SALU_CYCLE_1)
	s_and_b32 s17, s17, s16
	s_and_saveexec_b32 s16, s17
	s_cbranch_execz .LBB1849_69
; %bb.68:                               ;   in Loop: Header=BB1849_53 Depth=1
	s_waitcnt vmcnt(0) lgkmcnt(0)
	v_bcnt_u32_b32 v19, v19, v210
	flat_store_b32 v[146:147], v19
.LBB1849_69:                            ;   in Loop: Header=BB1849_53 Depth=1
	s_or_b32 exec_lo, exec_lo, s16
	v_cmp_ne_u16_e64 s16, 0x7fff, v94
	; wave barrier
	s_delay_alu instid0(VALU_DEP_1) | instskip(NEXT) | instid1(VALU_DEP_1)
	v_cndmask_b32_e64 v19, 0xffff8000, v94, s16
	v_and_b32_e32 v19, 0xffff, v19
	s_delay_alu instid0(VALU_DEP_1) | instskip(NEXT) | instid1(VALU_DEP_1)
	v_lshrrev_b32_e32 v19, v10, v19
	v_and_b32_e32 v19, v19, v18
	s_delay_alu instid0(VALU_DEP_1) | instskip(SKIP_3) | instid1(VALU_DEP_4)
	v_lshlrev_b32_e32 v20, 3, v19
	v_lshlrev_b32_e32 v22, 30, v19
	;; [unrolled: 1-line block ×4, first 2 shown]
	v_add_lshl_u32 v20, v20, v75, 2
	s_delay_alu instid0(VALU_DEP_1) | instskip(NEXT) | instid1(VALU_DEP_1)
	v_add_co_u32 v148, s16, v27, v20
	v_add_co_ci_u32_e64 v149, s16, 0, v74, s16
	v_and_b32_e32 v20, 1, v19
	flat_load_b32 v212, v[148:149]
	v_add_co_u32 v20, s16, v20, -1
	s_delay_alu instid0(VALU_DEP_1) | instskip(NEXT) | instid1(VALU_DEP_1)
	v_cndmask_b32_e64 v21, 0, 1, s16
	; wave barrier
	v_cmp_ne_u32_e64 s16, 0, v21
	v_not_b32_e32 v21, v22
	s_delay_alu instid0(VALU_DEP_2) | instskip(SKIP_1) | instid1(VALU_DEP_3)
	v_xor_b32_e32 v20, s16, v20
	v_cmp_gt_i32_e64 s16, 0, v22
	v_ashrrev_i32_e32 v21, 31, v21
	v_not_b32_e32 v22, v23
	s_delay_alu instid0(VALU_DEP_4) | instskip(NEXT) | instid1(VALU_DEP_3)
	v_and_b32_e32 v20, exec_lo, v20
	v_xor_b32_e32 v21, s16, v21
	v_cmp_gt_i32_e64 s16, 0, v23
	s_delay_alu instid0(VALU_DEP_4) | instskip(SKIP_1) | instid1(VALU_DEP_4)
	v_ashrrev_i32_e32 v22, 31, v22
	v_not_b32_e32 v23, v24
	v_and_b32_e32 v20, v20, v21
	v_lshlrev_b32_e32 v21, 27, v19
	s_delay_alu instid0(VALU_DEP_4) | instskip(SKIP_2) | instid1(VALU_DEP_4)
	v_xor_b32_e32 v22, s16, v22
	v_cmp_gt_i32_e64 s16, 0, v24
	v_ashrrev_i32_e32 v23, 31, v23
	v_not_b32_e32 v24, v21
	s_delay_alu instid0(VALU_DEP_4) | instskip(SKIP_1) | instid1(VALU_DEP_4)
	v_and_b32_e32 v20, v20, v22
	v_lshlrev_b32_e32 v22, 26, v19
	v_xor_b32_e32 v23, s16, v23
	v_cmp_gt_i32_e64 s16, 0, v21
	v_ashrrev_i32_e32 v21, 31, v24
	s_delay_alu instid0(VALU_DEP_4) | instskip(NEXT) | instid1(VALU_DEP_4)
	v_not_b32_e32 v24, v22
	v_and_b32_e32 v20, v20, v23
	v_lshlrev_b32_e32 v23, 25, v19
	s_delay_alu instid0(VALU_DEP_4)
	v_xor_b32_e32 v21, s16, v21
	v_cmp_gt_i32_e64 s16, 0, v22
	v_ashrrev_i32_e32 v22, 31, v24
	v_lshlrev_b32_e32 v19, 24, v19
	v_not_b32_e32 v24, v23
	v_and_b32_e32 v20, v20, v21
	s_delay_alu instid0(VALU_DEP_4) | instskip(SKIP_1) | instid1(VALU_DEP_4)
	v_xor_b32_e32 v21, s16, v22
	v_cmp_gt_i32_e64 s16, 0, v23
	v_ashrrev_i32_e32 v22, 31, v24
	v_not_b32_e32 v23, v19
	s_delay_alu instid0(VALU_DEP_4) | instskip(NEXT) | instid1(VALU_DEP_3)
	v_and_b32_e32 v20, v20, v21
	v_xor_b32_e32 v21, s16, v22
	v_cmp_gt_i32_e64 s16, 0, v19
	s_delay_alu instid0(VALU_DEP_4) | instskip(NEXT) | instid1(VALU_DEP_3)
	v_ashrrev_i32_e32 v19, 31, v23
	v_and_b32_e32 v20, v20, v21
	s_delay_alu instid0(VALU_DEP_2) | instskip(NEXT) | instid1(VALU_DEP_1)
	v_xor_b32_e32 v19, s16, v19
	v_and_b32_e32 v19, v20, v19
	s_delay_alu instid0(VALU_DEP_1) | instskip(SKIP_1) | instid1(VALU_DEP_2)
	v_mbcnt_lo_u32_b32 v213, v19, 0
	v_cmp_ne_u32_e64 s17, 0, v19
	v_cmp_eq_u32_e64 s16, 0, v213
	s_delay_alu instid0(VALU_DEP_1) | instskip(NEXT) | instid1(SALU_CYCLE_1)
	s_and_b32 s17, s17, s16
	s_and_saveexec_b32 s16, s17
	s_cbranch_execz .LBB1849_71
; %bb.70:                               ;   in Loop: Header=BB1849_53 Depth=1
	s_waitcnt vmcnt(0) lgkmcnt(0)
	v_bcnt_u32_b32 v19, v19, v212
	flat_store_b32 v[148:149], v19
.LBB1849_71:                            ;   in Loop: Header=BB1849_53 Depth=1
	s_or_b32 exec_lo, exec_lo, s16
	v_cmp_ne_u16_e64 s16, 0x7fff, v108
	; wave barrier
	s_delay_alu instid0(VALU_DEP_1) | instskip(NEXT) | instid1(VALU_DEP_1)
	v_cndmask_b32_e64 v19, 0xffff8000, v108, s16
	v_and_b32_e32 v19, 0xffff, v19
	s_delay_alu instid0(VALU_DEP_1) | instskip(NEXT) | instid1(VALU_DEP_1)
	v_lshrrev_b32_e32 v19, v10, v19
	v_and_b32_e32 v19, v19, v18
	s_delay_alu instid0(VALU_DEP_1) | instskip(SKIP_3) | instid1(VALU_DEP_4)
	v_lshlrev_b32_e32 v20, 3, v19
	v_lshlrev_b32_e32 v22, 30, v19
	;; [unrolled: 1-line block ×4, first 2 shown]
	v_add_lshl_u32 v20, v20, v75, 2
	s_delay_alu instid0(VALU_DEP_1) | instskip(NEXT) | instid1(VALU_DEP_1)
	v_add_co_u32 v150, s16, v27, v20
	v_add_co_ci_u32_e64 v151, s16, 0, v74, s16
	v_and_b32_e32 v20, 1, v19
	flat_load_b32 v214, v[150:151]
	v_add_co_u32 v20, s16, v20, -1
	s_delay_alu instid0(VALU_DEP_1) | instskip(NEXT) | instid1(VALU_DEP_1)
	v_cndmask_b32_e64 v21, 0, 1, s16
	; wave barrier
	v_cmp_ne_u32_e64 s16, 0, v21
	v_not_b32_e32 v21, v22
	s_delay_alu instid0(VALU_DEP_2) | instskip(SKIP_1) | instid1(VALU_DEP_3)
	v_xor_b32_e32 v20, s16, v20
	v_cmp_gt_i32_e64 s16, 0, v22
	v_ashrrev_i32_e32 v21, 31, v21
	v_not_b32_e32 v22, v23
	s_delay_alu instid0(VALU_DEP_4) | instskip(NEXT) | instid1(VALU_DEP_3)
	v_and_b32_e32 v20, exec_lo, v20
	v_xor_b32_e32 v21, s16, v21
	v_cmp_gt_i32_e64 s16, 0, v23
	s_delay_alu instid0(VALU_DEP_4) | instskip(SKIP_1) | instid1(VALU_DEP_4)
	v_ashrrev_i32_e32 v22, 31, v22
	v_not_b32_e32 v23, v24
	v_and_b32_e32 v20, v20, v21
	v_lshlrev_b32_e32 v21, 27, v19
	s_delay_alu instid0(VALU_DEP_4) | instskip(SKIP_2) | instid1(VALU_DEP_4)
	v_xor_b32_e32 v22, s16, v22
	v_cmp_gt_i32_e64 s16, 0, v24
	v_ashrrev_i32_e32 v23, 31, v23
	v_not_b32_e32 v24, v21
	s_delay_alu instid0(VALU_DEP_4) | instskip(SKIP_1) | instid1(VALU_DEP_4)
	v_and_b32_e32 v20, v20, v22
	v_lshlrev_b32_e32 v22, 26, v19
	v_xor_b32_e32 v23, s16, v23
	v_cmp_gt_i32_e64 s16, 0, v21
	v_ashrrev_i32_e32 v21, 31, v24
	s_delay_alu instid0(VALU_DEP_4) | instskip(NEXT) | instid1(VALU_DEP_4)
	v_not_b32_e32 v24, v22
	v_and_b32_e32 v20, v20, v23
	v_lshlrev_b32_e32 v23, 25, v19
	s_delay_alu instid0(VALU_DEP_4)
	v_xor_b32_e32 v21, s16, v21
	v_cmp_gt_i32_e64 s16, 0, v22
	v_ashrrev_i32_e32 v22, 31, v24
	v_lshlrev_b32_e32 v19, 24, v19
	v_not_b32_e32 v24, v23
	v_and_b32_e32 v20, v20, v21
	s_delay_alu instid0(VALU_DEP_4) | instskip(SKIP_1) | instid1(VALU_DEP_4)
	v_xor_b32_e32 v21, s16, v22
	v_cmp_gt_i32_e64 s16, 0, v23
	v_ashrrev_i32_e32 v22, 31, v24
	v_not_b32_e32 v23, v19
	s_delay_alu instid0(VALU_DEP_4) | instskip(NEXT) | instid1(VALU_DEP_3)
	v_and_b32_e32 v20, v20, v21
	v_xor_b32_e32 v21, s16, v22
	v_cmp_gt_i32_e64 s16, 0, v19
	s_delay_alu instid0(VALU_DEP_4) | instskip(NEXT) | instid1(VALU_DEP_3)
	v_ashrrev_i32_e32 v19, 31, v23
	v_and_b32_e32 v20, v20, v21
	s_delay_alu instid0(VALU_DEP_2) | instskip(NEXT) | instid1(VALU_DEP_1)
	v_xor_b32_e32 v19, s16, v19
	v_and_b32_e32 v19, v20, v19
	s_delay_alu instid0(VALU_DEP_1) | instskip(SKIP_1) | instid1(VALU_DEP_2)
	v_mbcnt_lo_u32_b32 v215, v19, 0
	v_cmp_ne_u32_e64 s17, 0, v19
	v_cmp_eq_u32_e64 s16, 0, v215
	s_delay_alu instid0(VALU_DEP_1) | instskip(NEXT) | instid1(SALU_CYCLE_1)
	s_and_b32 s17, s17, s16
	s_and_saveexec_b32 s16, s17
	s_cbranch_execz .LBB1849_73
; %bb.72:                               ;   in Loop: Header=BB1849_53 Depth=1
	s_waitcnt vmcnt(0) lgkmcnt(0)
	v_bcnt_u32_b32 v19, v19, v214
	flat_store_b32 v[150:151], v19
.LBB1849_73:                            ;   in Loop: Header=BB1849_53 Depth=1
	s_or_b32 exec_lo, exec_lo, s16
	v_cmp_ne_u16_e64 s16, 0x7fff, v107
	; wave barrier
	s_delay_alu instid0(VALU_DEP_1) | instskip(NEXT) | instid1(VALU_DEP_1)
	v_cndmask_b32_e64 v19, 0xffff8000, v107, s16
	v_and_b32_e32 v19, 0xffff, v19
	s_delay_alu instid0(VALU_DEP_1) | instskip(NEXT) | instid1(VALU_DEP_1)
	v_lshrrev_b32_e32 v19, v10, v19
	v_and_b32_e32 v19, v19, v18
	s_delay_alu instid0(VALU_DEP_1) | instskip(SKIP_3) | instid1(VALU_DEP_4)
	v_lshlrev_b32_e32 v20, 3, v19
	v_lshlrev_b32_e32 v22, 30, v19
	;; [unrolled: 1-line block ×4, first 2 shown]
	v_add_lshl_u32 v20, v20, v75, 2
	s_delay_alu instid0(VALU_DEP_1) | instskip(NEXT) | instid1(VALU_DEP_1)
	v_add_co_u32 v160, s16, v27, v20
	v_add_co_ci_u32_e64 v161, s16, 0, v74, s16
	v_and_b32_e32 v20, 1, v19
	flat_load_b32 v224, v[160:161]
	v_add_co_u32 v20, s16, v20, -1
	s_delay_alu instid0(VALU_DEP_1) | instskip(NEXT) | instid1(VALU_DEP_1)
	v_cndmask_b32_e64 v21, 0, 1, s16
	; wave barrier
	v_cmp_ne_u32_e64 s16, 0, v21
	v_not_b32_e32 v21, v22
	s_delay_alu instid0(VALU_DEP_2) | instskip(SKIP_1) | instid1(VALU_DEP_3)
	v_xor_b32_e32 v20, s16, v20
	v_cmp_gt_i32_e64 s16, 0, v22
	v_ashrrev_i32_e32 v21, 31, v21
	v_not_b32_e32 v22, v23
	s_delay_alu instid0(VALU_DEP_4) | instskip(NEXT) | instid1(VALU_DEP_3)
	v_and_b32_e32 v20, exec_lo, v20
	v_xor_b32_e32 v21, s16, v21
	v_cmp_gt_i32_e64 s16, 0, v23
	s_delay_alu instid0(VALU_DEP_4) | instskip(SKIP_1) | instid1(VALU_DEP_4)
	v_ashrrev_i32_e32 v22, 31, v22
	v_not_b32_e32 v23, v24
	v_and_b32_e32 v20, v20, v21
	v_lshlrev_b32_e32 v21, 27, v19
	s_delay_alu instid0(VALU_DEP_4) | instskip(SKIP_2) | instid1(VALU_DEP_4)
	v_xor_b32_e32 v22, s16, v22
	v_cmp_gt_i32_e64 s16, 0, v24
	v_ashrrev_i32_e32 v23, 31, v23
	v_not_b32_e32 v24, v21
	s_delay_alu instid0(VALU_DEP_4) | instskip(SKIP_1) | instid1(VALU_DEP_4)
	v_and_b32_e32 v20, v20, v22
	v_lshlrev_b32_e32 v22, 26, v19
	v_xor_b32_e32 v23, s16, v23
	v_cmp_gt_i32_e64 s16, 0, v21
	v_ashrrev_i32_e32 v21, 31, v24
	s_delay_alu instid0(VALU_DEP_4) | instskip(NEXT) | instid1(VALU_DEP_4)
	v_not_b32_e32 v24, v22
	v_and_b32_e32 v20, v20, v23
	v_lshlrev_b32_e32 v23, 25, v19
	s_delay_alu instid0(VALU_DEP_4)
	v_xor_b32_e32 v21, s16, v21
	v_cmp_gt_i32_e64 s16, 0, v22
	v_ashrrev_i32_e32 v22, 31, v24
	v_lshlrev_b32_e32 v19, 24, v19
	v_not_b32_e32 v24, v23
	v_and_b32_e32 v20, v20, v21
	s_delay_alu instid0(VALU_DEP_4) | instskip(SKIP_1) | instid1(VALU_DEP_4)
	v_xor_b32_e32 v21, s16, v22
	v_cmp_gt_i32_e64 s16, 0, v23
	v_ashrrev_i32_e32 v22, 31, v24
	v_not_b32_e32 v23, v19
	s_delay_alu instid0(VALU_DEP_4) | instskip(NEXT) | instid1(VALU_DEP_3)
	v_and_b32_e32 v20, v20, v21
	v_xor_b32_e32 v21, s16, v22
	v_cmp_gt_i32_e64 s16, 0, v19
	s_delay_alu instid0(VALU_DEP_4) | instskip(NEXT) | instid1(VALU_DEP_3)
	v_ashrrev_i32_e32 v19, 31, v23
	v_and_b32_e32 v20, v20, v21
	s_delay_alu instid0(VALU_DEP_2) | instskip(NEXT) | instid1(VALU_DEP_1)
	v_xor_b32_e32 v19, s16, v19
	v_and_b32_e32 v19, v20, v19
	s_delay_alu instid0(VALU_DEP_1) | instskip(SKIP_1) | instid1(VALU_DEP_2)
	v_mbcnt_lo_u32_b32 v225, v19, 0
	v_cmp_ne_u32_e64 s17, 0, v19
	v_cmp_eq_u32_e64 s16, 0, v225
	s_delay_alu instid0(VALU_DEP_1) | instskip(NEXT) | instid1(SALU_CYCLE_1)
	s_and_b32 s17, s17, s16
	s_and_saveexec_b32 s16, s17
	s_cbranch_execz .LBB1849_75
; %bb.74:                               ;   in Loop: Header=BB1849_53 Depth=1
	s_waitcnt vmcnt(0) lgkmcnt(0)
	v_bcnt_u32_b32 v19, v19, v224
	flat_store_b32 v[160:161], v19
.LBB1849_75:                            ;   in Loop: Header=BB1849_53 Depth=1
	s_or_b32 exec_lo, exec_lo, s16
	v_cmp_ne_u16_e64 s16, 0x7fff, v106
	; wave barrier
	s_delay_alu instid0(VALU_DEP_1) | instskip(NEXT) | instid1(VALU_DEP_1)
	v_cndmask_b32_e64 v19, 0xffff8000, v106, s16
	v_and_b32_e32 v19, 0xffff, v19
	s_delay_alu instid0(VALU_DEP_1) | instskip(NEXT) | instid1(VALU_DEP_1)
	v_lshrrev_b32_e32 v19, v10, v19
	v_and_b32_e32 v19, v19, v18
	s_delay_alu instid0(VALU_DEP_1) | instskip(SKIP_3) | instid1(VALU_DEP_4)
	v_lshlrev_b32_e32 v20, 3, v19
	v_lshlrev_b32_e32 v22, 30, v19
	;; [unrolled: 1-line block ×4, first 2 shown]
	v_add_lshl_u32 v20, v20, v75, 2
	s_delay_alu instid0(VALU_DEP_1) | instskip(NEXT) | instid1(VALU_DEP_1)
	v_add_co_u32 v162, s16, v27, v20
	v_add_co_ci_u32_e64 v163, s16, 0, v74, s16
	v_and_b32_e32 v20, 1, v19
	flat_load_b32 v226, v[162:163]
	v_add_co_u32 v20, s16, v20, -1
	s_delay_alu instid0(VALU_DEP_1) | instskip(NEXT) | instid1(VALU_DEP_1)
	v_cndmask_b32_e64 v21, 0, 1, s16
	; wave barrier
	v_cmp_ne_u32_e64 s16, 0, v21
	v_not_b32_e32 v21, v22
	s_delay_alu instid0(VALU_DEP_2) | instskip(SKIP_1) | instid1(VALU_DEP_3)
	v_xor_b32_e32 v20, s16, v20
	v_cmp_gt_i32_e64 s16, 0, v22
	v_ashrrev_i32_e32 v21, 31, v21
	v_not_b32_e32 v22, v23
	s_delay_alu instid0(VALU_DEP_4) | instskip(NEXT) | instid1(VALU_DEP_3)
	v_and_b32_e32 v20, exec_lo, v20
	v_xor_b32_e32 v21, s16, v21
	v_cmp_gt_i32_e64 s16, 0, v23
	s_delay_alu instid0(VALU_DEP_4) | instskip(SKIP_1) | instid1(VALU_DEP_4)
	v_ashrrev_i32_e32 v22, 31, v22
	v_not_b32_e32 v23, v24
	v_and_b32_e32 v20, v20, v21
	v_lshlrev_b32_e32 v21, 27, v19
	s_delay_alu instid0(VALU_DEP_4) | instskip(SKIP_2) | instid1(VALU_DEP_4)
	v_xor_b32_e32 v22, s16, v22
	v_cmp_gt_i32_e64 s16, 0, v24
	v_ashrrev_i32_e32 v23, 31, v23
	v_not_b32_e32 v24, v21
	s_delay_alu instid0(VALU_DEP_4) | instskip(SKIP_1) | instid1(VALU_DEP_4)
	v_and_b32_e32 v20, v20, v22
	v_lshlrev_b32_e32 v22, 26, v19
	v_xor_b32_e32 v23, s16, v23
	v_cmp_gt_i32_e64 s16, 0, v21
	v_ashrrev_i32_e32 v21, 31, v24
	s_delay_alu instid0(VALU_DEP_4) | instskip(NEXT) | instid1(VALU_DEP_4)
	v_not_b32_e32 v24, v22
	v_and_b32_e32 v20, v20, v23
	v_lshlrev_b32_e32 v23, 25, v19
	s_delay_alu instid0(VALU_DEP_4)
	v_xor_b32_e32 v21, s16, v21
	v_cmp_gt_i32_e64 s16, 0, v22
	v_ashrrev_i32_e32 v22, 31, v24
	v_lshlrev_b32_e32 v19, 24, v19
	v_not_b32_e32 v24, v23
	v_and_b32_e32 v20, v20, v21
	s_delay_alu instid0(VALU_DEP_4) | instskip(SKIP_1) | instid1(VALU_DEP_4)
	v_xor_b32_e32 v21, s16, v22
	v_cmp_gt_i32_e64 s16, 0, v23
	v_ashrrev_i32_e32 v22, 31, v24
	v_not_b32_e32 v23, v19
	s_delay_alu instid0(VALU_DEP_4) | instskip(NEXT) | instid1(VALU_DEP_3)
	v_and_b32_e32 v20, v20, v21
	v_xor_b32_e32 v21, s16, v22
	v_cmp_gt_i32_e64 s16, 0, v19
	s_delay_alu instid0(VALU_DEP_4) | instskip(NEXT) | instid1(VALU_DEP_3)
	v_ashrrev_i32_e32 v19, 31, v23
	v_and_b32_e32 v20, v20, v21
	s_delay_alu instid0(VALU_DEP_2) | instskip(NEXT) | instid1(VALU_DEP_1)
	v_xor_b32_e32 v19, s16, v19
	v_and_b32_e32 v19, v20, v19
	s_delay_alu instid0(VALU_DEP_1) | instskip(SKIP_1) | instid1(VALU_DEP_2)
	v_mbcnt_lo_u32_b32 v227, v19, 0
	v_cmp_ne_u32_e64 s17, 0, v19
	v_cmp_eq_u32_e64 s16, 0, v227
	s_delay_alu instid0(VALU_DEP_1) | instskip(NEXT) | instid1(SALU_CYCLE_1)
	s_and_b32 s17, s17, s16
	s_and_saveexec_b32 s16, s17
	s_cbranch_execz .LBB1849_77
; %bb.76:                               ;   in Loop: Header=BB1849_53 Depth=1
	s_waitcnt vmcnt(0) lgkmcnt(0)
	v_bcnt_u32_b32 v19, v19, v226
	flat_store_b32 v[162:163], v19
.LBB1849_77:                            ;   in Loop: Header=BB1849_53 Depth=1
	s_or_b32 exec_lo, exec_lo, s16
	v_cmp_ne_u16_e64 s16, 0x7fff, v105
	; wave barrier
	s_delay_alu instid0(VALU_DEP_1) | instskip(NEXT) | instid1(VALU_DEP_1)
	v_cndmask_b32_e64 v19, 0xffff8000, v105, s16
	v_and_b32_e32 v19, 0xffff, v19
	s_delay_alu instid0(VALU_DEP_1) | instskip(NEXT) | instid1(VALU_DEP_1)
	v_lshrrev_b32_e32 v19, v10, v19
	v_and_b32_e32 v19, v19, v18
	s_delay_alu instid0(VALU_DEP_1) | instskip(SKIP_3) | instid1(VALU_DEP_4)
	v_lshlrev_b32_e32 v20, 3, v19
	v_lshlrev_b32_e32 v22, 30, v19
	;; [unrolled: 1-line block ×4, first 2 shown]
	v_add_lshl_u32 v20, v20, v75, 2
	s_delay_alu instid0(VALU_DEP_1) | instskip(NEXT) | instid1(VALU_DEP_1)
	v_add_co_u32 v164, s16, v27, v20
	v_add_co_ci_u32_e64 v165, s16, 0, v74, s16
	v_and_b32_e32 v20, 1, v19
	flat_load_b32 v228, v[164:165]
	v_add_co_u32 v20, s16, v20, -1
	s_delay_alu instid0(VALU_DEP_1) | instskip(NEXT) | instid1(VALU_DEP_1)
	v_cndmask_b32_e64 v21, 0, 1, s16
	; wave barrier
	v_cmp_ne_u32_e64 s16, 0, v21
	v_not_b32_e32 v21, v22
	s_delay_alu instid0(VALU_DEP_2) | instskip(SKIP_1) | instid1(VALU_DEP_3)
	v_xor_b32_e32 v20, s16, v20
	v_cmp_gt_i32_e64 s16, 0, v22
	v_ashrrev_i32_e32 v21, 31, v21
	v_not_b32_e32 v22, v23
	s_delay_alu instid0(VALU_DEP_4) | instskip(NEXT) | instid1(VALU_DEP_3)
	v_and_b32_e32 v20, exec_lo, v20
	v_xor_b32_e32 v21, s16, v21
	v_cmp_gt_i32_e64 s16, 0, v23
	s_delay_alu instid0(VALU_DEP_4) | instskip(SKIP_1) | instid1(VALU_DEP_4)
	v_ashrrev_i32_e32 v22, 31, v22
	v_not_b32_e32 v23, v24
	v_and_b32_e32 v20, v20, v21
	v_lshlrev_b32_e32 v21, 27, v19
	s_delay_alu instid0(VALU_DEP_4) | instskip(SKIP_2) | instid1(VALU_DEP_4)
	v_xor_b32_e32 v22, s16, v22
	v_cmp_gt_i32_e64 s16, 0, v24
	v_ashrrev_i32_e32 v23, 31, v23
	v_not_b32_e32 v24, v21
	s_delay_alu instid0(VALU_DEP_4) | instskip(SKIP_1) | instid1(VALU_DEP_4)
	v_and_b32_e32 v20, v20, v22
	v_lshlrev_b32_e32 v22, 26, v19
	v_xor_b32_e32 v23, s16, v23
	v_cmp_gt_i32_e64 s16, 0, v21
	v_ashrrev_i32_e32 v21, 31, v24
	s_delay_alu instid0(VALU_DEP_4) | instskip(NEXT) | instid1(VALU_DEP_4)
	v_not_b32_e32 v24, v22
	v_and_b32_e32 v20, v20, v23
	v_lshlrev_b32_e32 v23, 25, v19
	s_delay_alu instid0(VALU_DEP_4)
	v_xor_b32_e32 v21, s16, v21
	v_cmp_gt_i32_e64 s16, 0, v22
	v_ashrrev_i32_e32 v22, 31, v24
	v_lshlrev_b32_e32 v19, 24, v19
	v_not_b32_e32 v24, v23
	v_and_b32_e32 v20, v20, v21
	s_delay_alu instid0(VALU_DEP_4) | instskip(SKIP_1) | instid1(VALU_DEP_4)
	v_xor_b32_e32 v21, s16, v22
	v_cmp_gt_i32_e64 s16, 0, v23
	v_ashrrev_i32_e32 v22, 31, v24
	v_not_b32_e32 v23, v19
	s_delay_alu instid0(VALU_DEP_4) | instskip(NEXT) | instid1(VALU_DEP_3)
	v_and_b32_e32 v20, v20, v21
	v_xor_b32_e32 v21, s16, v22
	v_cmp_gt_i32_e64 s16, 0, v19
	s_delay_alu instid0(VALU_DEP_4) | instskip(NEXT) | instid1(VALU_DEP_3)
	v_ashrrev_i32_e32 v19, 31, v23
	v_and_b32_e32 v20, v20, v21
	s_delay_alu instid0(VALU_DEP_2) | instskip(NEXT) | instid1(VALU_DEP_1)
	v_xor_b32_e32 v19, s16, v19
	v_and_b32_e32 v19, v20, v19
	s_delay_alu instid0(VALU_DEP_1) | instskip(SKIP_1) | instid1(VALU_DEP_2)
	v_mbcnt_lo_u32_b32 v229, v19, 0
	v_cmp_ne_u32_e64 s17, 0, v19
	v_cmp_eq_u32_e64 s16, 0, v229
	s_delay_alu instid0(VALU_DEP_1) | instskip(NEXT) | instid1(SALU_CYCLE_1)
	s_and_b32 s17, s17, s16
	s_and_saveexec_b32 s16, s17
	s_cbranch_execz .LBB1849_79
; %bb.78:                               ;   in Loop: Header=BB1849_53 Depth=1
	s_waitcnt vmcnt(0) lgkmcnt(0)
	v_bcnt_u32_b32 v19, v19, v228
	flat_store_b32 v[164:165], v19
.LBB1849_79:                            ;   in Loop: Header=BB1849_53 Depth=1
	s_or_b32 exec_lo, exec_lo, s16
	v_cmp_ne_u16_e64 s16, 0x7fff, v109
	; wave barrier
	s_delay_alu instid0(VALU_DEP_1) | instskip(NEXT) | instid1(VALU_DEP_1)
	v_cndmask_b32_e64 v19, 0xffff8000, v109, s16
	v_and_b32_e32 v19, 0xffff, v19
	s_delay_alu instid0(VALU_DEP_1) | instskip(NEXT) | instid1(VALU_DEP_1)
	v_lshrrev_b32_e32 v19, v10, v19
	v_and_b32_e32 v19, v19, v18
	s_delay_alu instid0(VALU_DEP_1) | instskip(SKIP_3) | instid1(VALU_DEP_4)
	v_lshlrev_b32_e32 v20, 3, v19
	v_lshlrev_b32_e32 v22, 30, v19
	v_lshlrev_b32_e32 v23, 29, v19
	v_lshlrev_b32_e32 v24, 28, v19
	v_add_lshl_u32 v20, v20, v75, 2
	s_delay_alu instid0(VALU_DEP_1) | instskip(NEXT) | instid1(VALU_DEP_1)
	v_add_co_u32 v166, s16, v27, v20
	v_add_co_ci_u32_e64 v167, s16, 0, v74, s16
	v_and_b32_e32 v20, 1, v19
	flat_load_b32 v230, v[166:167]
	v_add_co_u32 v20, s16, v20, -1
	s_delay_alu instid0(VALU_DEP_1) | instskip(NEXT) | instid1(VALU_DEP_1)
	v_cndmask_b32_e64 v21, 0, 1, s16
	; wave barrier
	v_cmp_ne_u32_e64 s16, 0, v21
	v_not_b32_e32 v21, v22
	s_delay_alu instid0(VALU_DEP_2) | instskip(SKIP_1) | instid1(VALU_DEP_3)
	v_xor_b32_e32 v20, s16, v20
	v_cmp_gt_i32_e64 s16, 0, v22
	v_ashrrev_i32_e32 v21, 31, v21
	v_not_b32_e32 v22, v23
	s_delay_alu instid0(VALU_DEP_4) | instskip(NEXT) | instid1(VALU_DEP_3)
	v_and_b32_e32 v20, exec_lo, v20
	v_xor_b32_e32 v21, s16, v21
	v_cmp_gt_i32_e64 s16, 0, v23
	s_delay_alu instid0(VALU_DEP_4) | instskip(SKIP_1) | instid1(VALU_DEP_4)
	v_ashrrev_i32_e32 v22, 31, v22
	v_not_b32_e32 v23, v24
	v_and_b32_e32 v20, v20, v21
	v_lshlrev_b32_e32 v21, 27, v19
	s_delay_alu instid0(VALU_DEP_4) | instskip(SKIP_2) | instid1(VALU_DEP_4)
	v_xor_b32_e32 v22, s16, v22
	v_cmp_gt_i32_e64 s16, 0, v24
	v_ashrrev_i32_e32 v23, 31, v23
	v_not_b32_e32 v24, v21
	s_delay_alu instid0(VALU_DEP_4) | instskip(SKIP_1) | instid1(VALU_DEP_4)
	v_and_b32_e32 v20, v20, v22
	v_lshlrev_b32_e32 v22, 26, v19
	v_xor_b32_e32 v23, s16, v23
	v_cmp_gt_i32_e64 s16, 0, v21
	v_ashrrev_i32_e32 v21, 31, v24
	s_delay_alu instid0(VALU_DEP_4) | instskip(NEXT) | instid1(VALU_DEP_4)
	v_not_b32_e32 v24, v22
	v_and_b32_e32 v20, v20, v23
	v_lshlrev_b32_e32 v23, 25, v19
	s_delay_alu instid0(VALU_DEP_4)
	v_xor_b32_e32 v21, s16, v21
	v_cmp_gt_i32_e64 s16, 0, v22
	v_ashrrev_i32_e32 v22, 31, v24
	v_lshlrev_b32_e32 v19, 24, v19
	v_not_b32_e32 v24, v23
	v_and_b32_e32 v20, v20, v21
	s_delay_alu instid0(VALU_DEP_4) | instskip(SKIP_1) | instid1(VALU_DEP_4)
	v_xor_b32_e32 v21, s16, v22
	v_cmp_gt_i32_e64 s16, 0, v23
	v_ashrrev_i32_e32 v22, 31, v24
	v_not_b32_e32 v23, v19
	s_delay_alu instid0(VALU_DEP_4) | instskip(NEXT) | instid1(VALU_DEP_3)
	v_and_b32_e32 v20, v20, v21
	v_xor_b32_e32 v21, s16, v22
	v_cmp_gt_i32_e64 s16, 0, v19
	s_delay_alu instid0(VALU_DEP_4) | instskip(NEXT) | instid1(VALU_DEP_3)
	v_ashrrev_i32_e32 v19, 31, v23
	v_and_b32_e32 v20, v20, v21
	s_delay_alu instid0(VALU_DEP_2) | instskip(NEXT) | instid1(VALU_DEP_1)
	v_xor_b32_e32 v19, s16, v19
	v_and_b32_e32 v19, v20, v19
	s_delay_alu instid0(VALU_DEP_1) | instskip(SKIP_1) | instid1(VALU_DEP_2)
	v_mbcnt_lo_u32_b32 v231, v19, 0
	v_cmp_ne_u32_e64 s17, 0, v19
	v_cmp_eq_u32_e64 s16, 0, v231
	s_delay_alu instid0(VALU_DEP_1) | instskip(NEXT) | instid1(SALU_CYCLE_1)
	s_and_b32 s17, s17, s16
	s_and_saveexec_b32 s16, s17
	s_cbranch_execz .LBB1849_81
; %bb.80:                               ;   in Loop: Header=BB1849_53 Depth=1
	s_waitcnt vmcnt(0) lgkmcnt(0)
	v_bcnt_u32_b32 v19, v19, v230
	flat_store_b32 v[166:167], v19
.LBB1849_81:                            ;   in Loop: Header=BB1849_53 Depth=1
	s_or_b32 exec_lo, exec_lo, s16
	v_cmp_ne_u16_e64 s16, 0x7fff, v93
	; wave barrier
	s_delay_alu instid0(VALU_DEP_1) | instskip(NEXT) | instid1(VALU_DEP_1)
	v_cndmask_b32_e64 v19, 0xffff8000, v93, s16
	v_and_b32_e32 v19, 0xffff, v19
	s_delay_alu instid0(VALU_DEP_1) | instskip(NEXT) | instid1(VALU_DEP_1)
	v_lshrrev_b32_e32 v19, v10, v19
	v_and_b32_e32 v19, v19, v18
	s_delay_alu instid0(VALU_DEP_1) | instskip(SKIP_3) | instid1(VALU_DEP_4)
	v_lshlrev_b32_e32 v20, 3, v19
	v_lshlrev_b32_e32 v22, 30, v19
	;; [unrolled: 1-line block ×4, first 2 shown]
	v_add_lshl_u32 v20, v20, v75, 2
	s_delay_alu instid0(VALU_DEP_1) | instskip(NEXT) | instid1(VALU_DEP_1)
	v_add_co_u32 v176, s16, v27, v20
	v_add_co_ci_u32_e64 v177, s16, 0, v74, s16
	v_and_b32_e32 v20, 1, v19
	flat_load_b32 v240, v[176:177]
	v_add_co_u32 v20, s16, v20, -1
	s_delay_alu instid0(VALU_DEP_1) | instskip(NEXT) | instid1(VALU_DEP_1)
	v_cndmask_b32_e64 v21, 0, 1, s16
	; wave barrier
	v_cmp_ne_u32_e64 s16, 0, v21
	v_not_b32_e32 v21, v22
	s_delay_alu instid0(VALU_DEP_2) | instskip(SKIP_1) | instid1(VALU_DEP_3)
	v_xor_b32_e32 v20, s16, v20
	v_cmp_gt_i32_e64 s16, 0, v22
	v_ashrrev_i32_e32 v21, 31, v21
	v_not_b32_e32 v22, v23
	s_delay_alu instid0(VALU_DEP_4) | instskip(NEXT) | instid1(VALU_DEP_3)
	v_and_b32_e32 v20, exec_lo, v20
	v_xor_b32_e32 v21, s16, v21
	v_cmp_gt_i32_e64 s16, 0, v23
	s_delay_alu instid0(VALU_DEP_4) | instskip(SKIP_1) | instid1(VALU_DEP_4)
	v_ashrrev_i32_e32 v22, 31, v22
	v_not_b32_e32 v23, v24
	v_and_b32_e32 v20, v20, v21
	v_lshlrev_b32_e32 v21, 27, v19
	s_delay_alu instid0(VALU_DEP_4) | instskip(SKIP_2) | instid1(VALU_DEP_4)
	v_xor_b32_e32 v22, s16, v22
	v_cmp_gt_i32_e64 s16, 0, v24
	v_ashrrev_i32_e32 v23, 31, v23
	v_not_b32_e32 v24, v21
	s_delay_alu instid0(VALU_DEP_4) | instskip(SKIP_1) | instid1(VALU_DEP_4)
	v_and_b32_e32 v20, v20, v22
	v_lshlrev_b32_e32 v22, 26, v19
	v_xor_b32_e32 v23, s16, v23
	v_cmp_gt_i32_e64 s16, 0, v21
	v_ashrrev_i32_e32 v21, 31, v24
	s_delay_alu instid0(VALU_DEP_4) | instskip(NEXT) | instid1(VALU_DEP_4)
	v_not_b32_e32 v24, v22
	v_and_b32_e32 v20, v20, v23
	v_lshlrev_b32_e32 v23, 25, v19
	s_delay_alu instid0(VALU_DEP_4)
	v_xor_b32_e32 v21, s16, v21
	v_cmp_gt_i32_e64 s16, 0, v22
	v_ashrrev_i32_e32 v22, 31, v24
	v_lshlrev_b32_e32 v19, 24, v19
	v_not_b32_e32 v24, v23
	v_and_b32_e32 v20, v20, v21
	s_delay_alu instid0(VALU_DEP_4) | instskip(SKIP_1) | instid1(VALU_DEP_4)
	v_xor_b32_e32 v21, s16, v22
	v_cmp_gt_i32_e64 s16, 0, v23
	v_ashrrev_i32_e32 v22, 31, v24
	v_not_b32_e32 v23, v19
	s_delay_alu instid0(VALU_DEP_4) | instskip(NEXT) | instid1(VALU_DEP_3)
	v_and_b32_e32 v20, v20, v21
	v_xor_b32_e32 v21, s16, v22
	v_cmp_gt_i32_e64 s16, 0, v19
	s_delay_alu instid0(VALU_DEP_4) | instskip(NEXT) | instid1(VALU_DEP_3)
	v_ashrrev_i32_e32 v19, 31, v23
	v_and_b32_e32 v20, v20, v21
	s_delay_alu instid0(VALU_DEP_2) | instskip(NEXT) | instid1(VALU_DEP_1)
	v_xor_b32_e32 v19, s16, v19
	v_and_b32_e32 v19, v20, v19
	s_delay_alu instid0(VALU_DEP_1) | instskip(SKIP_1) | instid1(VALU_DEP_2)
	v_mbcnt_lo_u32_b32 v241, v19, 0
	v_cmp_ne_u32_e64 s17, 0, v19
	v_cmp_eq_u32_e64 s16, 0, v241
	s_delay_alu instid0(VALU_DEP_1) | instskip(NEXT) | instid1(SALU_CYCLE_1)
	s_and_b32 s17, s17, s16
	s_and_saveexec_b32 s16, s17
	s_cbranch_execz .LBB1849_83
; %bb.82:                               ;   in Loop: Header=BB1849_53 Depth=1
	s_waitcnt vmcnt(0) lgkmcnt(0)
	v_bcnt_u32_b32 v19, v19, v240
	flat_store_b32 v[176:177], v19
.LBB1849_83:                            ;   in Loop: Header=BB1849_53 Depth=1
	s_or_b32 exec_lo, exec_lo, s16
	v_cmp_ne_u16_e64 s16, 0x7fff, v92
	; wave barrier
	s_delay_alu instid0(VALU_DEP_1) | instskip(NEXT) | instid1(VALU_DEP_1)
	v_cndmask_b32_e64 v19, 0xffff8000, v92, s16
	v_and_b32_e32 v19, 0xffff, v19
	s_delay_alu instid0(VALU_DEP_1) | instskip(NEXT) | instid1(VALU_DEP_1)
	v_lshrrev_b32_e32 v19, v10, v19
	v_and_b32_e32 v18, v19, v18
	s_delay_alu instid0(VALU_DEP_1) | instskip(SKIP_3) | instid1(VALU_DEP_4)
	v_lshlrev_b32_e32 v19, 3, v18
	v_lshlrev_b32_e32 v21, 30, v18
	v_lshlrev_b32_e32 v22, 29, v18
	v_lshlrev_b32_e32 v23, 28, v18
	v_add_lshl_u32 v19, v19, v75, 2
	s_delay_alu instid0(VALU_DEP_1) | instskip(NEXT) | instid1(VALU_DEP_1)
	v_add_co_u32 v178, s16, v27, v19
	v_add_co_ci_u32_e64 v179, s16, 0, v74, s16
	v_and_b32_e32 v19, 1, v18
	flat_load_b32 v242, v[178:179]
	v_add_co_u32 v19, s16, v19, -1
	s_delay_alu instid0(VALU_DEP_1) | instskip(NEXT) | instid1(VALU_DEP_1)
	v_cndmask_b32_e64 v20, 0, 1, s16
	; wave barrier
	v_cmp_ne_u32_e64 s16, 0, v20
	v_not_b32_e32 v20, v21
	s_delay_alu instid0(VALU_DEP_2) | instskip(SKIP_1) | instid1(VALU_DEP_3)
	v_xor_b32_e32 v19, s16, v19
	v_cmp_gt_i32_e64 s16, 0, v21
	v_ashrrev_i32_e32 v20, 31, v20
	v_not_b32_e32 v21, v22
	s_delay_alu instid0(VALU_DEP_4) | instskip(NEXT) | instid1(VALU_DEP_3)
	v_and_b32_e32 v19, exec_lo, v19
	v_xor_b32_e32 v20, s16, v20
	v_cmp_gt_i32_e64 s16, 0, v22
	s_delay_alu instid0(VALU_DEP_4) | instskip(SKIP_1) | instid1(VALU_DEP_4)
	v_ashrrev_i32_e32 v21, 31, v21
	v_not_b32_e32 v22, v23
	v_and_b32_e32 v19, v19, v20
	v_lshlrev_b32_e32 v20, 27, v18
	s_delay_alu instid0(VALU_DEP_4) | instskip(SKIP_2) | instid1(VALU_DEP_4)
	v_xor_b32_e32 v21, s16, v21
	v_cmp_gt_i32_e64 s16, 0, v23
	v_ashrrev_i32_e32 v22, 31, v22
	v_not_b32_e32 v23, v20
	s_delay_alu instid0(VALU_DEP_4) | instskip(SKIP_1) | instid1(VALU_DEP_4)
	v_and_b32_e32 v19, v19, v21
	v_lshlrev_b32_e32 v21, 26, v18
	v_xor_b32_e32 v22, s16, v22
	v_cmp_gt_i32_e64 s16, 0, v20
	v_ashrrev_i32_e32 v20, 31, v23
	s_delay_alu instid0(VALU_DEP_4) | instskip(NEXT) | instid1(VALU_DEP_4)
	v_not_b32_e32 v23, v21
	v_and_b32_e32 v19, v19, v22
	v_lshlrev_b32_e32 v22, 25, v18
	s_delay_alu instid0(VALU_DEP_4)
	v_xor_b32_e32 v20, s16, v20
	v_cmp_gt_i32_e64 s16, 0, v21
	v_ashrrev_i32_e32 v21, 31, v23
	v_lshlrev_b32_e32 v18, 24, v18
	v_not_b32_e32 v23, v22
	v_and_b32_e32 v19, v19, v20
	s_delay_alu instid0(VALU_DEP_4) | instskip(SKIP_1) | instid1(VALU_DEP_4)
	v_xor_b32_e32 v20, s16, v21
	v_cmp_gt_i32_e64 s16, 0, v22
	v_ashrrev_i32_e32 v21, 31, v23
	v_not_b32_e32 v22, v18
	s_delay_alu instid0(VALU_DEP_4) | instskip(NEXT) | instid1(VALU_DEP_3)
	v_and_b32_e32 v19, v19, v20
	v_xor_b32_e32 v20, s16, v21
	v_cmp_gt_i32_e64 s16, 0, v18
	s_delay_alu instid0(VALU_DEP_4) | instskip(NEXT) | instid1(VALU_DEP_3)
	v_ashrrev_i32_e32 v18, 31, v22
	v_and_b32_e32 v19, v19, v20
	s_delay_alu instid0(VALU_DEP_2) | instskip(NEXT) | instid1(VALU_DEP_1)
	v_xor_b32_e32 v18, s16, v18
	v_and_b32_e32 v18, v19, v18
	s_delay_alu instid0(VALU_DEP_1) | instskip(SKIP_1) | instid1(VALU_DEP_2)
	v_mbcnt_lo_u32_b32 v243, v18, 0
	v_cmp_ne_u32_e64 s17, 0, v18
	v_cmp_eq_u32_e64 s16, 0, v243
	s_delay_alu instid0(VALU_DEP_1) | instskip(NEXT) | instid1(SALU_CYCLE_1)
	s_and_b32 s17, s17, s16
	s_and_saveexec_b32 s16, s17
	s_cbranch_execz .LBB1849_85
; %bb.84:                               ;   in Loop: Header=BB1849_53 Depth=1
	s_waitcnt vmcnt(0) lgkmcnt(0)
	v_bcnt_u32_b32 v18, v18, v242
	flat_store_b32 v[178:179], v18
.LBB1849_85:                            ;   in Loop: Header=BB1849_53 Depth=1
	s_or_b32 exec_lo, exec_lo, s16
	; wave barrier
	s_waitcnt vmcnt(0) lgkmcnt(0)
	s_waitcnt_vscnt null, 0x0
	s_barrier
	buffer_gl0_inv
	s_clause 0x1
	flat_load_b128 v[22:25], v[48:49] offset:32
	flat_load_b128 v[18:21], v[66:67] offset:16
	s_waitcnt vmcnt(1) lgkmcnt(1)
	v_add_nc_u32_e32 v181, v23, v22
	s_delay_alu instid0(VALU_DEP_1) | instskip(SKIP_1) | instid1(VALU_DEP_1)
	v_add3_u32 v181, v181, v24, v25
	s_waitcnt vmcnt(0) lgkmcnt(0)
	v_add3_u32 v181, v181, v18, v19
	s_delay_alu instid0(VALU_DEP_1) | instskip(NEXT) | instid1(VALU_DEP_1)
	v_add3_u32 v21, v181, v20, v21
	v_mov_b32_dpp v181, v21 row_shr:1 row_mask:0xf bank_mask:0xf
	s_delay_alu instid0(VALU_DEP_1) | instskip(NEXT) | instid1(VALU_DEP_1)
	v_cndmask_b32_e64 v181, v181, 0, vcc_lo
	v_add_nc_u32_e32 v21, v181, v21
	s_delay_alu instid0(VALU_DEP_1) | instskip(NEXT) | instid1(VALU_DEP_1)
	v_mov_b32_dpp v181, v21 row_shr:2 row_mask:0xf bank_mask:0xf
	v_cndmask_b32_e64 v181, 0, v181, s0
	s_delay_alu instid0(VALU_DEP_1) | instskip(NEXT) | instid1(VALU_DEP_1)
	v_add_nc_u32_e32 v21, v21, v181
	v_mov_b32_dpp v181, v21 row_shr:4 row_mask:0xf bank_mask:0xf
	s_delay_alu instid0(VALU_DEP_1) | instskip(NEXT) | instid1(VALU_DEP_1)
	v_cndmask_b32_e64 v181, 0, v181, s1
	v_add_nc_u32_e32 v21, v21, v181
	s_delay_alu instid0(VALU_DEP_1) | instskip(NEXT) | instid1(VALU_DEP_1)
	v_mov_b32_dpp v181, v21 row_shr:8 row_mask:0xf bank_mask:0xf
	v_cndmask_b32_e64 v181, 0, v181, s2
	s_delay_alu instid0(VALU_DEP_1) | instskip(SKIP_3) | instid1(VALU_DEP_1)
	v_add_nc_u32_e32 v21, v21, v181
	ds_swizzle_b32 v181, v21 offset:swizzle(BROADCAST,32,15)
	s_waitcnt lgkmcnt(0)
	v_cndmask_b32_e64 v181, v181, 0, s3
	v_add_nc_u32_e32 v21, v21, v181
	s_and_saveexec_b32 s16, s4
	s_cbranch_execz .LBB1849_87
; %bb.86:                               ;   in Loop: Header=BB1849_53 Depth=1
	flat_store_b32 v[98:99], v21
.LBB1849_87:                            ;   in Loop: Header=BB1849_53 Depth=1
	s_or_b32 exec_lo, exec_lo, s16
	s_waitcnt lgkmcnt(0)
	s_waitcnt_vscnt null, 0x0
	s_barrier
	buffer_gl0_inv
	s_and_saveexec_b32 s16, s5
	s_cbranch_execz .LBB1849_89
; %bb.88:                               ;   in Loop: Header=BB1849_53 Depth=1
	flat_load_b32 v181, v[100:101]
	s_waitcnt vmcnt(0) lgkmcnt(0)
	v_mov_b32_dpp v182, v181 row_shr:1 row_mask:0xf bank_mask:0xf
	s_delay_alu instid0(VALU_DEP_1) | instskip(NEXT) | instid1(VALU_DEP_1)
	v_cndmask_b32_e64 v182, v182, 0, s11
	v_add_nc_u32_e32 v181, v182, v181
	s_delay_alu instid0(VALU_DEP_1) | instskip(NEXT) | instid1(VALU_DEP_1)
	v_mov_b32_dpp v182, v181 row_shr:2 row_mask:0xf bank_mask:0xf
	v_cndmask_b32_e64 v182, 0, v182, s14
	s_delay_alu instid0(VALU_DEP_1) | instskip(NEXT) | instid1(VALU_DEP_1)
	v_add_nc_u32_e32 v181, v181, v182
	v_mov_b32_dpp v182, v181 row_shr:4 row_mask:0xf bank_mask:0xf
	s_delay_alu instid0(VALU_DEP_1) | instskip(NEXT) | instid1(VALU_DEP_1)
	v_cndmask_b32_e64 v182, 0, v182, s15
	v_add_nc_u32_e32 v181, v181, v182
	flat_store_b32 v[100:101], v181
.LBB1849_89:                            ;   in Loop: Header=BB1849_53 Depth=1
	s_or_b32 exec_lo, exec_lo, s16
	v_mov_b32_e32 v181, 0
	s_waitcnt lgkmcnt(0)
	s_waitcnt_vscnt null, 0x0
	s_barrier
	buffer_gl0_inv
	s_and_saveexec_b32 s16, s6
	s_cbranch_execz .LBB1849_91
; %bb.90:                               ;   in Loop: Header=BB1849_53 Depth=1
	flat_load_b32 v181, v[112:113]
.LBB1849_91:                            ;   in Loop: Header=BB1849_53 Depth=1
	s_or_b32 exec_lo, exec_lo, s16
	s_waitcnt vmcnt(0) lgkmcnt(0)
	v_add_nc_u32_e32 v21, v181, v21
	v_add_nc_u32_e32 v10, 8, v10
	s_mov_b32 s18, -1
                                        ; implicit-def: $vgpr141
                                        ; implicit-def: $vgpr139
                                        ; implicit-def: $vgpr140
                                        ; implicit-def: $vgpr121
                                        ; implicit-def: $vgpr120
                                        ; implicit-def: $vgpr111
                                        ; implicit-def: $vgpr110
                                        ; implicit-def: $vgpr122
                                        ; implicit-def: $vgpr124
                                        ; implicit-def: $vgpr123
                                        ; implicit-def: $vgpr125
                                        ; implicit-def: $vgpr126
                                        ; implicit-def: $vgpr127
                                        ; implicit-def: $vgpr136
                                        ; implicit-def: $vgpr137
                                        ; implicit-def: $vgpr138
	v_mov_b32_e32 v183, v5
	ds_bpermute_b32 v21, v76, v21
	s_waitcnt lgkmcnt(0)
	v_cndmask_b32_e64 v21, v21, v181, s7
	v_mov_b32_e32 v181, v5
	s_delay_alu instid0(VALU_DEP_2) | instskip(NEXT) | instid1(VALU_DEP_1)
	v_cndmask_b32_e64 v21, v21, 0, s10
	v_add_nc_u32_e32 v22, v21, v22
	s_delay_alu instid0(VALU_DEP_1) | instskip(NEXT) | instid1(VALU_DEP_1)
	v_add_nc_u32_e32 v23, v22, v23
	v_add_nc_u32_e32 v24, v23, v24
	s_delay_alu instid0(VALU_DEP_1) | instskip(NEXT) | instid1(VALU_DEP_1)
	v_add_nc_u32_e32 v244, v24, v25
	;; [unrolled: 3-line block ×3, first 2 shown]
	v_add_nc_u32_e32 v247, v246, v20
	s_clause 0x1
	flat_store_b128 v[48:49], v[21:24] offset:32
	flat_store_b128 v[66:67], v[244:247] offset:16
	s_waitcnt lgkmcnt(0)
	s_waitcnt_vscnt null, 0x0
	s_barrier
	buffer_gl0_inv
	s_clause 0xf
	flat_load_b32 v18, v[116:117]
	flat_load_b32 v19, v[118:119]
	;; [unrolled: 1-line block ×16, first 2 shown]
	v_mov_b32_e32 v167, v5
	v_mov_b32_e32 v177, v5
	;; [unrolled: 1-line block ×13, first 2 shown]
	v_cmp_lt_u32_e64 s16, v10, v11
	s_waitcnt vmcnt(0) lgkmcnt(0)
	v_add_nc_u32_e32 v4, v18, v4
	v_add3_u32 v182, v180, v39, v19
	v_add3_u32 v180, v193, v192, v20
	;; [unrolled: 1-line block ×4, first 2 shown]
	v_lshlrev_b64 v[18:19], 1, v[4:5]
	v_lshlrev_b64 v[20:21], 1, v[182:183]
	v_add3_u32 v164, v199, v198, v23
	v_lshlrev_b64 v[22:23], 1, v[180:181]
	v_add3_u32 v162, v209, v208, v24
	v_add3_u32 v160, v211, v210, v25
	;; [unrolled: 1-line block ×3, first 2 shown]
	v_add_co_u32 v226, s17, v12, v18
	s_delay_alu instid0(VALU_DEP_1) | instskip(SKIP_3) | instid1(VALU_DEP_1)
	v_add_co_ci_u32_e64 v227, s17, v13, v19, s17
	v_add3_u32 v132, v229, v228, v130
	v_lshlrev_b64 v[24:25], 1, v[176:177]
	v_add_co_u32 v228, s17, v12, v20
	v_add_co_ci_u32_e64 v229, s17, v13, v21, s17
	v_add3_u32 v150, v213, v212, v116
	v_add3_u32 v148, v215, v214, v117
	;; [unrolled: 1-line block ×3, first 2 shown]
	v_lshlrev_b64 v[116:117], 1, v[166:167]
	v_add_co_u32 v230, s17, v12, v22
	s_delay_alu instid0(VALU_DEP_1) | instskip(SKIP_3) | instid1(VALU_DEP_1)
	v_add_co_ci_u32_e64 v231, s17, v13, v23, s17
	v_add3_u32 v128, v241, v240, v135
	v_lshlrev_b64 v[134:135], 1, v[164:165]
	v_add_co_u32 v240, s17, v12, v24
	v_add_co_ci_u32_e64 v241, s17, v13, v25, s17
	v_add3_u32 v146, v225, v224, v118
	v_add3_u32 v118, v243, v242, v178
	v_lshlrev_b64 v[178:179], 1, v[162:163]
	v_add_co_u32 v242, s17, v12, v116
	s_delay_alu instid0(VALU_DEP_1) | instskip(SKIP_2) | instid1(VALU_DEP_1)
	v_add_co_ci_u32_e64 v243, s17, v13, v117, s17
	v_lshlrev_b64 v[192:193], 1, v[160:161]
	v_add_co_u32 v244, s17, v12, v134
	v_add_co_ci_u32_e64 v245, s17, v13, v135, s17
	v_lshlrev_b64 v[194:195], 1, v[150:151]
	v_add_co_u32 v246, s17, v12, v178
	s_delay_alu instid0(VALU_DEP_1) | instskip(SKIP_2) | instid1(VALU_DEP_1)
	v_add_co_ci_u32_e64 v247, s17, v13, v179, s17
	v_lshlrev_b64 v[196:197], 1, v[148:149]
	v_add_co_u32 v39, s17, v12, v192
	v_add_co_ci_u32_e64 v40, s17, v13, v193, s17
	;; [unrolled: 7-line block ×5, first 2 shown]
	v_add_co_u32 v43, s17, v12, v214
	s_delay_alu instid0(VALU_DEP_1) | instskip(SKIP_1) | instid1(VALU_DEP_1)
	v_add_co_ci_u32_e64 v44, s17, v13, v215, s17
	v_add_co_u32 v56, s17, v12, v224
	v_add_co_ci_u32_e64 v57, s17, v13, v225, s17
                                        ; implicit-def: $vgpr22_vgpr23
                                        ; implicit-def: $vgpr18_vgpr19
                                        ; implicit-def: $vgpr20_vgpr21
                                        ; implicit-def: $vgpr24_vgpr25
                                        ; implicit-def: $vgpr116_vgpr117
                                        ; implicit-def: $vgpr134_vgpr135
                                        ; implicit-def: $vgpr178_vgpr179
                                        ; implicit-def: $vgpr192_vgpr193
                                        ; implicit-def: $vgpr194_vgpr195
                                        ; implicit-def: $vgpr196_vgpr197
                                        ; implicit-def: $vgpr198_vgpr199
                                        ; implicit-def: $vgpr208_vgpr209
                                        ; implicit-def: $vgpr210_vgpr211
                                        ; implicit-def: $vgpr212_vgpr213
                                        ; implicit-def: $vgpr214_vgpr215
                                        ; implicit-def: $vgpr224_vgpr225
	s_and_saveexec_b32 s17, s16
	s_cbranch_execz .LBB1849_52
; %bb.92:                               ;   in Loop: Header=BB1849_53 Depth=1
	v_mad_u64_u32 v[18:19], null, v4, 6, v[226:227]
	v_mad_u64_u32 v[20:21], null, v182, 6, v[228:229]
	;; [unrolled: 1-line block ×8, first 2 shown]
	s_barrier
	buffer_gl0_inv
	s_clause 0xf
	flat_store_b16 v[226:227], v78
	flat_store_b16 v[228:229], v79
	flat_store_b16 v[230:231], v88
	flat_store_b16 v[240:241], v89
	flat_store_b16 v[242:243], v90
	flat_store_b16 v[244:245], v91
	flat_store_b16 v[246:247], v104
	flat_store_b16 v[39:40], v95
	flat_store_b16 v[41:42], v94
	flat_store_b16 v[45:46], v108
	flat_store_b16 v[58:59], v107
	flat_store_b16 v[60:61], v106
	flat_store_b16 v[62:63], v105
	flat_store_b16 v[72:73], v109
	flat_store_b16 v[43:44], v93
	flat_store_b16 v[56:57], v92
	s_waitcnt lgkmcnt(0)
	s_waitcnt_vscnt null, 0x0
	s_barrier
	buffer_gl0_inv
	s_clause 0xf
	flat_load_u16 v141, v[102:103]
	flat_load_u16 v139, v[102:103] offset:64
	flat_load_u16 v140, v[102:103] offset:128
	;; [unrolled: 1-line block ×15, first 2 shown]
	s_waitcnt vmcnt(0) lgkmcnt(0)
	s_barrier
	buffer_gl0_inv
	s_clause 0x7
	flat_store_b64 v[18:19], v[82:83]
	flat_store_b64 v[20:21], v[96:97]
	;; [unrolled: 1-line block ×8, first 2 shown]
	v_mad_u64_u32 v[18:19], null, v150, 6, v[41:42]
	v_mad_u64_u32 v[20:21], null, v148, 6, v[45:46]
	;; [unrolled: 1-line block ×8, first 2 shown]
	s_clause 0x7
	flat_store_b64 v[18:19], v[54:55]
	flat_store_b64 v[20:21], v[52:53]
	;; [unrolled: 1-line block ×8, first 2 shown]
	s_waitcnt lgkmcnt(0)
	s_waitcnt_vscnt null, 0x0
	s_barrier
	buffer_gl0_inv
	s_clause 0xf
	flat_load_b64 v[22:23], v[114:115]
	flat_load_b64 v[18:19], v[114:115] offset:256
	flat_load_b64 v[20:21], v[114:115] offset:512
	;; [unrolled: 1-line block ×15, first 2 shown]
	v_add_nc_u32_e32 v77, -8, v77
	s_xor_b32 s18, exec_lo, -1
	s_waitcnt vmcnt(0) lgkmcnt(0)
	s_barrier
	buffer_gl0_inv
	s_branch .LBB1849_52
.LBB1849_93:
	s_or_b32 exec_lo, exec_lo, s20
	v_or_b32_e32 v22, 0x800, v34
	v_dual_mov_b32 v27, 0 :: v_dual_lshlrev_b32 v10, 1, v34
	v_or_b32_e32 v24, 0xc00, v34
	v_lshlrev_b64 v[4:5], 3, v[4:5]
	s_delay_alu instid0(VALU_DEP_4) | instskip(NEXT) | instid1(VALU_DEP_4)
	v_lshlrev_b32_e32 v14, 1, v22
	v_add_co_u32 v10, vcc_lo, v12, v10
	v_add_co_ci_u32_e32 v11, vcc_lo, 0, v13, vcc_lo
	s_delay_alu instid0(VALU_DEP_3) | instskip(SKIP_4) | instid1(VALU_DEP_4)
	v_add_co_u32 v14, vcc_lo, v12, v14
	v_lshlrev_b32_e32 v18, 1, v24
	v_add_co_ci_u32_e32 v15, vcc_lo, 0, v13, vcc_lo
	v_add_co_u32 v16, vcc_lo, 0x1000, v10
	v_add_co_ci_u32_e32 v17, vcc_lo, 0, v11, vcc_lo
	v_add_co_u32 v18, vcc_lo, v12, v18
	v_add_co_ci_u32_e32 v19, vcc_lo, 0, v13, vcc_lo
	s_barrier
	buffer_gl0_inv
	s_clause 0xf
	flat_store_b16 v[226:227], v78
	flat_store_b16 v[228:229], v79
	;; [unrolled: 1-line block ×16, first 2 shown]
	s_waitcnt lgkmcnt(0)
	s_waitcnt_vscnt null, 0x0
	s_barrier
	buffer_gl0_inv
	s_clause 0xd
	flat_load_u16 v135, v[10:11]
	flat_load_u16 v134, v[10:11] offset:512
	flat_load_u16 v117, v[10:11] offset:1024
	;; [unrolled: 1-line block ×7, first 2 shown]
	flat_load_u16 v112, v[14:15]
	flat_load_u16 v102, v[16:17] offset:512
	flat_load_u16 v101, v[16:17] offset:1024
	;; [unrolled: 1-line block ×5, first 2 shown]
	v_add_co_u32 v10, vcc_lo, 0x1e00, v10
	v_lshlrev_b64 v[14:15], 3, v[182:183]
	v_add_co_ci_u32_e32 v11, vcc_lo, 0, v11, vcc_lo
	s_clause 0x1
	flat_load_u16 v99, v[18:19]
	flat_load_u16 v66, v[16:17] offset:3584
	v_add_co_u32 v4, vcc_lo, v12, v4
	v_lshlrev_b64 v[16:17], 3, v[180:181]
	v_add_co_ci_u32_e32 v5, vcc_lo, v13, v5, vcc_lo
	v_add_co_u32 v14, vcc_lo, v12, v14
	v_add_co_ci_u32_e32 v15, vcc_lo, v13, v15, vcc_lo
	s_delay_alu instid0(VALU_DEP_4)
	v_add_co_u32 v16, vcc_lo, v12, v16
	v_add_co_ci_u32_e32 v17, vcc_lo, v13, v17, vcc_lo
	v_lshlrev_b64 v[18:19], 3, v[176:177]
	s_waitcnt vmcnt(0) lgkmcnt(0)
	s_barrier
	buffer_gl0_inv
	s_clause 0x2
	flat_store_b64 v[4:5], v[82:83]
	flat_store_b64 v[14:15], v[96:97]
	;; [unrolled: 1-line block ×3, first 2 shown]
	v_lshlrev_b64 v[4:5], 3, v[166:167]
	v_add_co_u32 v14, vcc_lo, v12, v18
	v_lshlrev_b64 v[16:17], 3, v[164:165]
	v_add_co_ci_u32_e32 v15, vcc_lo, v13, v19, vcc_lo
	s_delay_alu instid0(VALU_DEP_4) | instskip(SKIP_4) | instid1(VALU_DEP_4)
	v_add_co_u32 v4, vcc_lo, v12, v4
	v_lshlrev_b64 v[18:19], 3, v[162:163]
	v_add_co_ci_u32_e32 v5, vcc_lo, v13, v5, vcc_lo
	v_add_co_u32 v16, vcc_lo, v12, v16
	v_add_co_ci_u32_e32 v17, vcc_lo, v13, v17, vcc_lo
	v_add_co_u32 v18, vcc_lo, v12, v18
	v_add_co_ci_u32_e32 v19, vcc_lo, v13, v19, vcc_lo
	flat_store_b64 v[14:15], v[84:85]
	v_lshlrev_b64 v[14:15], 3, v[160:161]
	s_clause 0x2
	flat_store_b64 v[4:5], v[80:81]
	flat_store_b64 v[16:17], v[70:71]
	;; [unrolled: 1-line block ×3, first 2 shown]
	v_lshlrev_b64 v[4:5], 3, v[150:151]
	v_lshlrev_b64 v[16:17], 3, v[148:149]
	;; [unrolled: 1-line block ×4, first 2 shown]
	v_add_co_u32 v14, vcc_lo, v12, v14
	v_add_co_ci_u32_e32 v15, vcc_lo, v13, v15, vcc_lo
	v_add_co_u32 v4, vcc_lo, v12, v4
	v_add_co_ci_u32_e32 v5, vcc_lo, v13, v5, vcc_lo
	;; [unrolled: 2-line block ×4, first 2 shown]
	flat_store_b64 v[14:15], v[64:65]
	v_lshlrev_b64 v[14:15], 3, v[144:145]
	s_clause 0x2
	flat_store_b64 v[4:5], v[54:55]
	flat_store_b64 v[16:17], v[52:53]
	;; [unrolled: 1-line block ×3, first 2 shown]
	v_lshlrev_b64 v[4:5], 3, v[132:133]
	v_lshlrev_b64 v[16:17], 3, v[130:131]
	;; [unrolled: 1-line block ×3, first 2 shown]
	v_add_nc_u32_e32 v25, 0xf00, v34
	v_add_co_u32 v14, vcc_lo, v12, v14
	v_add_co_ci_u32_e32 v15, vcc_lo, v13, v15, vcc_lo
	v_add_co_u32 v4, vcc_lo, v12, v4
	v_add_co_ci_u32_e32 v5, vcc_lo, v13, v5, vcc_lo
	;; [unrolled: 2-line block ×5, first 2 shown]
	s_clause 0x4
	flat_store_b64 v[14:15], v[35:36]
	flat_store_b64 v[4:5], v[32:33]
	;; [unrolled: 1-line block ×5, first 2 shown]
	v_lshlrev_b32_e32 v4, 3, v34
	v_lshl_or_b32 v14, v34, 3, 0x2000
	s_waitcnt lgkmcnt(0)
	s_waitcnt_vscnt null, 0x0
	s_barrier
	buffer_gl0_inv
	v_add_co_u32 v4, vcc_lo, v12, v4
	v_add_co_ci_u32_e32 v5, vcc_lo, 0, v13, vcc_lo
	v_mad_u64_u32 v[54:55], null, v25, 6, v[10:11]
	s_delay_alu instid0(VALU_DEP_3) | instskip(NEXT) | instid1(VALU_DEP_3)
	v_add_co_u32 v8, vcc_lo, 0x1000, v4
	v_add_co_ci_u32_e32 v9, vcc_lo, 0, v5, vcc_lo
	v_add_co_u32 v14, vcc_lo, v12, v14
	v_add_co_ci_u32_e32 v15, vcc_lo, 0, v13, vcc_lo
	v_add_co_u32 v16, vcc_lo, 0x2000, v4
	s_clause 0x3
	flat_load_b64 v[48:49], v[4:5]
	flat_load_b64 v[38:39], v[4:5] offset:2048
	flat_load_b64 v[36:37], v[8:9]
	flat_load_b64 v[34:35], v[8:9] offset:2048
	v_lshlrev_b32_e32 v8, 3, v22
	v_add_co_ci_u32_e32 v17, vcc_lo, 0, v5, vcc_lo
	v_add_co_u32 v18, vcc_lo, 0x3000, v4
	v_add_co_ci_u32_e32 v19, vcc_lo, 0, v5, vcc_lo
	s_delay_alu instid0(VALU_DEP_4)
	v_add_co_u32 v8, vcc_lo, v12, v8
	v_add_co_ci_u32_e32 v9, vcc_lo, 0, v13, vcc_lo
	s_clause 0x3
	flat_load_b64 v[32:33], v[14:15]
	flat_load_b64 v[30:31], v[16:17] offset:2048
	flat_load_b64 v[22:23], v[18:19]
	flat_load_b64 v[18:19], v[18:19] offset:2048
	v_add_co_u32 v14, vcc_lo, 0x4000, v4
	v_lshlrev_b32_e32 v16, 3, v24
	v_add_co_ci_u32_e32 v15, vcc_lo, 0, v5, vcc_lo
	v_add_co_u32 v50, vcc_lo, 0x5000, v4
	v_add_co_ci_u32_e32 v51, vcc_lo, 0, v5, vcc_lo
	s_delay_alu instid0(VALU_DEP_4)
	v_add_co_u32 v12, vcc_lo, v12, v16
	v_add_co_ci_u32_e32 v13, vcc_lo, 0, v13, vcc_lo
	v_add_co_u32 v52, vcc_lo, 0x6000, v4
	v_add_co_ci_u32_e32 v53, vcc_lo, 0, v5, vcc_lo
	;; [unrolled: 2-line block ×3, first 2 shown]
	s_clause 0x7
	flat_load_b64 v[24:25], v[8:9]
	flat_load_b64 v[20:21], v[14:15] offset:2048
	flat_load_b64 v[16:17], v[50:51]
	flat_load_b64 v[14:15], v[50:51] offset:2048
	;; [unrolled: 2-line block ×3, first 2 shown]
	flat_load_b64 v[8:9], v[4:5]
	flat_load_b64 v[4:5], v[54:55]
	v_lshlrev_b64 v[50:51], 1, v[26:27]
	v_add_co_u32 v2, vcc_lo, v2, v28
	v_add_co_ci_u32_e32 v3, vcc_lo, v3, v29, vcc_lo
	s_waitcnt vmcnt(0) lgkmcnt(0)
	s_delay_alu instid0(VALU_DEP_2) | instskip(NEXT) | instid1(VALU_DEP_2)
	v_add_co_u32 v2, vcc_lo, v2, v50
	v_add_co_ci_u32_e32 v3, vcc_lo, v3, v51, vcc_lo
	v_cmp_lt_u32_e32 vcc_lo, v26, v47
	s_barrier
	buffer_gl0_inv
	s_and_saveexec_b32 s1, vcc_lo
	s_cbranch_execz .LBB1849_95
; %bb.94:
	v_cmp_lt_i16_e64 s0, -1, v135
	s_delay_alu instid0(VALU_DEP_1) | instskip(NEXT) | instid1(VALU_DEP_1)
	v_cndmask_b32_e64 v28, 0xffff8000, -1, s0
	v_xor_b32_e32 v28, v28, v135
	flat_store_b16 v[2:3], v28
.LBB1849_95:
	s_or_b32 exec_lo, exec_lo, s1
	v_add_nc_u32_e32 v28, 0x100, v26
	s_delay_alu instid0(VALU_DEP_1) | instskip(NEXT) | instid1(VALU_DEP_1)
	v_cmp_lt_u32_e64 s0, v28, v47
	s_and_saveexec_b32 s2, s0
	s_cbranch_execz .LBB1849_97
; %bb.96:
	v_cmp_lt_i16_e64 s1, -1, v134
	s_delay_alu instid0(VALU_DEP_1) | instskip(NEXT) | instid1(VALU_DEP_1)
	v_cndmask_b32_e64 v28, 0xffff8000, -1, s1
	v_xor_b32_e32 v28, v28, v134
	flat_store_b16 v[2:3], v28 offset:512
.LBB1849_97:
	s_or_b32 exec_lo, exec_lo, s2
	v_add_nc_u32_e32 v28, 0x200, v26
	s_delay_alu instid0(VALU_DEP_1) | instskip(NEXT) | instid1(VALU_DEP_1)
	v_cmp_lt_u32_e64 s1, v28, v47
	s_and_saveexec_b32 s3, s1
	s_cbranch_execz .LBB1849_99
; %bb.98:
	v_cmp_lt_i16_e64 s2, -1, v117
	s_delay_alu instid0(VALU_DEP_1) | instskip(NEXT) | instid1(VALU_DEP_1)
	v_cndmask_b32_e64 v28, 0xffff8000, -1, s2
	v_xor_b32_e32 v28, v28, v117
	flat_store_b16 v[2:3], v28 offset:1024
.LBB1849_99:
	;; [unrolled: 13-line block ×7, first 2 shown]
	s_or_b32 exec_lo, exec_lo, s10
	v_add_nc_u32_e32 v28, 0x800, v26
	s_delay_alu instid0(VALU_DEP_1) | instskip(NEXT) | instid1(VALU_DEP_1)
	v_cmp_lt_u32_e64 s7, v28, v47
	s_and_saveexec_b32 s11, s7
	s_cbranch_execz .LBB1849_111
; %bb.110:
	v_cmp_lt_i16_e64 s10, -1, v112
	s_delay_alu instid0(VALU_DEP_1) | instskip(NEXT) | instid1(VALU_DEP_1)
	v_cndmask_b32_e64 v28, 0xffff8000, -1, s10
	v_xor_b32_e32 v50, v28, v112
	v_add_co_u32 v28, s10, 0x1000, v2
	s_delay_alu instid0(VALU_DEP_1)
	v_add_co_ci_u32_e64 v29, s10, 0, v3, s10
	flat_store_b16 v[28:29], v50
.LBB1849_111:
	s_or_b32 exec_lo, exec_lo, s11
	v_add_nc_u32_e32 v28, 0x900, v26
	s_delay_alu instid0(VALU_DEP_1) | instskip(NEXT) | instid1(VALU_DEP_1)
	v_cmp_lt_u32_e64 s10, v28, v47
	s_and_saveexec_b32 s14, s10
	s_cbranch_execz .LBB1849_113
; %bb.112:
	v_cmp_lt_i16_e64 s11, -1, v102
	s_delay_alu instid0(VALU_DEP_1) | instskip(NEXT) | instid1(VALU_DEP_1)
	v_cndmask_b32_e64 v28, 0xffff8000, -1, s11
	v_xor_b32_e32 v50, v28, v102
	v_add_co_u32 v28, s11, 0x1000, v2
	s_delay_alu instid0(VALU_DEP_1)
	v_add_co_ci_u32_e64 v29, s11, 0, v3, s11
	flat_store_b16 v[28:29], v50 offset:512
.LBB1849_113:
	s_or_b32 exec_lo, exec_lo, s14
	v_add_nc_u32_e32 v28, 0xa00, v26
	s_delay_alu instid0(VALU_DEP_1) | instskip(NEXT) | instid1(VALU_DEP_1)
	v_cmp_lt_u32_e64 s11, v28, v47
	s_and_saveexec_b32 s15, s11
	s_cbranch_execz .LBB1849_115
; %bb.114:
	v_cmp_lt_i16_e64 s14, -1, v101
	s_delay_alu instid0(VALU_DEP_1) | instskip(NEXT) | instid1(VALU_DEP_1)
	v_cndmask_b32_e64 v28, 0xffff8000, -1, s14
	v_xor_b32_e32 v50, v28, v101
	v_add_co_u32 v28, s14, 0x1000, v2
	s_delay_alu instid0(VALU_DEP_1)
	v_add_co_ci_u32_e64 v29, s14, 0, v3, s14
	flat_store_b16 v[28:29], v50 offset:1024
.LBB1849_115:
	;; [unrolled: 16-line block ×6, first 2 shown]
	s_or_b32 exec_lo, exec_lo, s19
	v_add_nc_u32_e32 v28, 0xf00, v26
	s_delay_alu instid0(VALU_DEP_1) | instskip(NEXT) | instid1(VALU_DEP_1)
	v_cmp_lt_u32_e64 s18, v28, v47
	s_and_saveexec_b32 s20, s18
	s_cbranch_execz .LBB1849_125
; %bb.124:
	v_cmp_lt_i16_e64 s19, -1, v66
	s_delay_alu instid0(VALU_DEP_1) | instskip(SKIP_1) | instid1(VALU_DEP_1)
	v_cndmask_b32_e64 v28, 0xffff8000, -1, s19
	v_add_co_u32 v2, s19, 0x1000, v2
	v_add_co_ci_u32_e64 v3, s19, 0, v3, s19
	s_delay_alu instid0(VALU_DEP_3)
	v_xor_b32_e32 v28, v28, v66
	flat_store_b16 v[2:3], v28 offset:3584
.LBB1849_125:
	s_or_b32 exec_lo, exec_lo, s20
	v_lshlrev_b64 v[2:3], 3, v[26:27]
	v_add_co_u32 v0, s19, v6, v0
	s_delay_alu instid0(VALU_DEP_1) | instskip(NEXT) | instid1(VALU_DEP_2)
	v_add_co_ci_u32_e64 v1, s19, v7, v1, s19
	v_add_co_u32 v0, s19, v0, v2
	s_delay_alu instid0(VALU_DEP_1)
	v_add_co_ci_u32_e64 v1, s19, v1, v3, s19
	s_and_saveexec_b32 s19, vcc_lo
	s_cbranch_execnz .LBB1849_211
; %bb.126:
	s_or_b32 exec_lo, exec_lo, s19
	s_and_saveexec_b32 s19, s0
	s_cbranch_execnz .LBB1849_212
.LBB1849_127:
	s_or_b32 exec_lo, exec_lo, s19
	s_and_saveexec_b32 s0, s1
	s_cbranch_execnz .LBB1849_213
.LBB1849_128:
	s_or_b32 exec_lo, exec_lo, s0
	s_and_saveexec_b32 s0, s2
	s_cbranch_execnz .LBB1849_214
.LBB1849_129:
	s_or_b32 exec_lo, exec_lo, s0
	s_and_saveexec_b32 s0, s3
	s_cbranch_execnz .LBB1849_215
.LBB1849_130:
	s_or_b32 exec_lo, exec_lo, s0
	s_and_saveexec_b32 s0, s4
	s_cbranch_execnz .LBB1849_216
.LBB1849_131:
	s_or_b32 exec_lo, exec_lo, s0
	s_and_saveexec_b32 s0, s5
	s_cbranch_execnz .LBB1849_217
.LBB1849_132:
	s_or_b32 exec_lo, exec_lo, s0
	s_and_saveexec_b32 s0, s6
	s_cbranch_execnz .LBB1849_218
.LBB1849_133:
	s_or_b32 exec_lo, exec_lo, s0
	s_and_saveexec_b32 s0, s7
	s_cbranch_execnz .LBB1849_219
.LBB1849_134:
	s_or_b32 exec_lo, exec_lo, s0
	s_and_saveexec_b32 s0, s10
	s_cbranch_execnz .LBB1849_220
.LBB1849_135:
	s_or_b32 exec_lo, exec_lo, s0
	s_and_saveexec_b32 s0, s11
	s_cbranch_execnz .LBB1849_221
.LBB1849_136:
	s_or_b32 exec_lo, exec_lo, s0
	s_and_saveexec_b32 s0, s14
	s_cbranch_execnz .LBB1849_222
.LBB1849_137:
	s_or_b32 exec_lo, exec_lo, s0
	s_and_saveexec_b32 s0, s15
	s_cbranch_execnz .LBB1849_223
.LBB1849_138:
	s_or_b32 exec_lo, exec_lo, s0
	s_and_saveexec_b32 s0, s16
	s_cbranch_execnz .LBB1849_224
.LBB1849_139:
	s_or_b32 exec_lo, exec_lo, s0
	s_and_saveexec_b32 s0, s17
	s_cbranch_execnz .LBB1849_225
.LBB1849_140:
	s_or_b32 exec_lo, exec_lo, s0
	s_and_saveexec_b32 s0, s18
	s_cbranch_execz .LBB1849_142
.LBB1849_141:
	v_add_co_u32 v0, vcc_lo, 0x7000, v0
	v_add_co_ci_u32_e32 v1, vcc_lo, 0, v1, vcc_lo
	flat_store_b64 v[0:1], v[4:5] offset:2048
.LBB1849_142:
	s_or_b32 exec_lo, exec_lo, s0
                                        ; implicit-def: $vgpr47
                                        ; implicit-def: $vgpr0
                                        ; implicit-def: $vgpr1
                                        ; implicit-def: $vgpr2
                                        ; implicit-def: $vgpr3
                                        ; implicit-def: $vgpr4
                                        ; implicit-def: $vgpr5
                                        ; implicit-def: $vgpr6
                                        ; implicit-def: $vgpr7
                                        ; implicit-def: $vgpr8
                                        ; implicit-def: $vgpr10
                                        ; implicit-def: $vgpr11
                                        ; implicit-def: $vgpr12
                                        ; implicit-def: $vgpr13
                                        ; implicit-def: $vgpr14
                                        ; implicit-def: $vgpr15
                                        ; implicit-def: $vgpr34
                                        ; implicit-def: $vgpr16
.LBB1849_143:
	s_and_not1_saveexec_b32 s0, s25
	s_cbranch_execz .LBB1849_372
; %bb.144:
	s_mov_b32 s0, exec_lo
	v_cmpx_lt_u32_e32 0x400, v47
	s_xor_b32 s19, exec_lo, s0
	s_cbranch_execz .LBB1849_252
; %bb.145:
	s_load_b64 s[0:1], s[8:9], 0x0
	v_mov_b32_e32 v9, 0
	v_lshlrev_b32_e32 v19, 1, v16
	s_waitcnt lgkmcnt(0)
	s_cmp_lt_u32 s13, s1
	s_cselect_b32 s1, 14, 20
	s_delay_alu instid0(SALU_CYCLE_1) | instskip(SKIP_4) | instid1(SALU_CYCLE_1)
	s_add_u32 s2, s8, s1
	s_addc_u32 s3, s9, 0
	s_cmp_lt_u32 s12, s0
	global_load_u16 v17, v9, s[2:3]
	s_cselect_b32 s0, 12, 18
	s_add_u32 s0, s8, s0
	s_addc_u32 s1, s9, 0
	global_load_u16 v18, v9, s[0:1]
	s_waitcnt vmcnt(1)
	v_mad_u32_u24 v14, v15, v17, v14
	v_mov_b32_e32 v17, 0x7fff
	s_waitcnt vmcnt(0)
	s_delay_alu instid0(VALU_DEP_2) | instskip(NEXT) | instid1(VALU_DEP_1)
	v_mad_u64_u32 v[26:27], null, v14, v18, v[34:35]
	v_dual_mov_b32 v27, 0x7fff :: v_dual_lshlrev_b32 v14, 3, v26
	v_lshlrev_b64 v[28:29], 1, v[8:9]
	s_delay_alu instid0(VALU_DEP_2) | instskip(NEXT) | instid1(VALU_DEP_2)
	v_dual_mov_b32 v15, v9 :: v_dual_and_b32 v14, 0xffffff00, v14
	v_add_co_u32 v20, vcc_lo, v0, v28
	s_delay_alu instid0(VALU_DEP_3) | instskip(NEXT) | instid1(VALU_DEP_3)
	v_add_co_ci_u32_e32 v21, vcc_lo, v1, v29, vcc_lo
	v_lshlrev_b64 v[0:1], 1, v[14:15]
	s_delay_alu instid0(VALU_DEP_3) | instskip(SKIP_1) | instid1(VALU_DEP_4)
	v_add_co_u32 v19, vcc_lo, v20, v19
	v_or_b32_e32 v18, v14, v16
	v_add_co_ci_u32_e32 v20, vcc_lo, 0, v21, vcc_lo
	s_delay_alu instid0(VALU_DEP_3) | instskip(NEXT) | instid1(VALU_DEP_3)
	v_add_co_u32 v0, s0, v19, v0
	v_cmp_lt_u32_e32 vcc_lo, v18, v47
	s_delay_alu instid0(VALU_DEP_3)
	v_add_co_ci_u32_e64 v1, s0, v20, v1, s0
	s_and_saveexec_b32 s0, vcc_lo
	s_cbranch_execz .LBB1849_147
; %bb.146:
	flat_load_u16 v27, v[0:1]
.LBB1849_147:
	s_or_b32 exec_lo, exec_lo, s0
	v_or_b32_e32 v19, 32, v18
	s_delay_alu instid0(VALU_DEP_1) | instskip(NEXT) | instid1(VALU_DEP_1)
	v_cmp_lt_u32_e64 s0, v19, v47
	s_and_saveexec_b32 s1, s0
	s_cbranch_execz .LBB1849_149
; %bb.148:
	flat_load_u16 v17, v[0:1] offset:64
.LBB1849_149:
	s_or_b32 exec_lo, exec_lo, s1
	v_or_b32_e32 v19, 64, v18
	v_dual_mov_b32 v30, 0x7fff :: v_dual_mov_b32 v31, 0x7fff
	s_delay_alu instid0(VALU_DEP_2) | instskip(NEXT) | instid1(VALU_DEP_1)
	v_cmp_lt_u32_e64 s1, v19, v47
	s_and_saveexec_b32 s2, s1
	s_cbranch_execz .LBB1849_151
; %bb.150:
	flat_load_u16 v31, v[0:1] offset:128
.LBB1849_151:
	s_or_b32 exec_lo, exec_lo, s2
	v_or_b32_e32 v19, 0x60, v18
	s_delay_alu instid0(VALU_DEP_1) | instskip(NEXT) | instid1(VALU_DEP_1)
	v_cmp_lt_u32_e64 s2, v19, v47
	s_and_saveexec_b32 s3, s2
	s_cbranch_execz .LBB1849_153
; %bb.152:
	flat_load_u16 v30, v[0:1] offset:192
.LBB1849_153:
	s_or_b32 exec_lo, exec_lo, s3
	v_or_b32_e32 v19, 0x80, v18
	v_dual_mov_b32 v32, 0x7fff :: v_dual_mov_b32 v33, 0x7fff
	s_delay_alu instid0(VALU_DEP_2) | instskip(NEXT) | instid1(VALU_DEP_1)
	v_cmp_lt_u32_e64 s3, v19, v47
	s_and_saveexec_b32 s4, s3
	s_cbranch_execz .LBB1849_155
; %bb.154:
	flat_load_u16 v33, v[0:1] offset:256
.LBB1849_155:
	;; [unrolled: 19-line block ×3, first 2 shown]
	s_or_b32 exec_lo, exec_lo, s6
	v_or_b32_e32 v18, 0xe0, v18
	s_delay_alu instid0(VALU_DEP_1) | instskip(NEXT) | instid1(VALU_DEP_1)
	v_cmp_lt_u32_e64 s6, v18, v47
	s_and_saveexec_b32 s7, s6
	s_cbranch_execz .LBB1849_161
; %bb.160:
	flat_load_u16 v35, v[0:1] offset:448
.LBB1849_161:
	s_or_b32 exec_lo, exec_lo, s7
	v_lshlrev_b64 v[0:1], 3, v[8:9]
	v_lshlrev_b32_e32 v8, 3, v16
                                        ; implicit-def: $vgpr20_vgpr21
	s_delay_alu instid0(VALU_DEP_2) | instskip(NEXT) | instid1(VALU_DEP_1)
	v_add_co_u32 v9, s7, v4, v0
	v_add_co_ci_u32_e64 v18, s7, v5, v1, s7
	v_lshlrev_b64 v[4:5], 3, v[14:15]
	s_delay_alu instid0(VALU_DEP_3) | instskip(NEXT) | instid1(VALU_DEP_1)
	v_add_co_u32 v8, s7, v9, v8
	v_add_co_ci_u32_e64 v9, s7, 0, v18, s7
	s_delay_alu instid0(VALU_DEP_2) | instskip(NEXT) | instid1(VALU_DEP_1)
	v_add_co_u32 v4, s7, v8, v4
	v_add_co_ci_u32_e64 v5, s7, v9, v5, s7
	s_and_saveexec_b32 s7, vcc_lo
	s_cbranch_execnz .LBB1849_285
; %bb.162:
	s_or_b32 exec_lo, exec_lo, s7
                                        ; implicit-def: $vgpr24_vgpr25
	s_and_saveexec_b32 s7, s0
	s_cbranch_execnz .LBB1849_286
.LBB1849_163:
	s_or_b32 exec_lo, exec_lo, s7
                                        ; implicit-def: $vgpr84_vgpr85
	s_and_saveexec_b32 s0, s1
	s_cbranch_execnz .LBB1849_287
.LBB1849_164:
	s_or_b32 exec_lo, exec_lo, s0
                                        ; implicit-def: $vgpr86_vgpr87
	s_and_saveexec_b32 s0, s2
	s_cbranch_execnz .LBB1849_288
.LBB1849_165:
	s_or_b32 exec_lo, exec_lo, s0
                                        ; implicit-def: $vgpr96_vgpr97
	s_and_saveexec_b32 s0, s3
	s_cbranch_execnz .LBB1849_289
.LBB1849_166:
	s_or_b32 exec_lo, exec_lo, s0
                                        ; implicit-def: $vgpr98_vgpr99
	s_and_saveexec_b32 s0, s4
	s_cbranch_execnz .LBB1849_290
.LBB1849_167:
	s_or_b32 exec_lo, exec_lo, s0
                                        ; implicit-def: $vgpr18_vgpr19
	s_and_saveexec_b32 s0, s5
	s_cbranch_execnz .LBB1849_291
.LBB1849_168:
	s_or_b32 exec_lo, exec_lo, s0
                                        ; implicit-def: $vgpr22_vgpr23
	s_and_saveexec_b32 s0, s6
	s_cbranch_execz .LBB1849_170
.LBB1849_169:
	flat_load_b64 v[22:23], v[4:5] offset:1792
.LBB1849_170:
	s_or_b32 exec_lo, exec_lo, s0
	s_waitcnt vmcnt(0) lgkmcnt(0)
	v_cmp_lt_i16_e32 vcc_lo, -1, v27
	s_mov_b32 s20, 0
	s_getpc_b64 s[0:1]
	s_add_u32 s0, s0, _ZN7rocprim17ROCPRIM_400000_NS16block_radix_sortI6__halfLj256ELj8ElLj1ELj1ELj8ELNS0_26block_radix_rank_algorithmE2ELNS0_18block_padding_hintE2ELNS0_4arch9wavefront6targetE0EE19radix_bits_per_passE@rel32@lo+4
	s_addc_u32 s1, s1, _ZN7rocprim17ROCPRIM_400000_NS16block_radix_sortI6__halfLj256ELj8ElLj1ELj1ELj8ELNS0_26block_radix_rank_algorithmE2ELNS0_18block_padding_hintE2ELNS0_4arch9wavefront6targetE0EE19radix_bits_per_passE@rel32@hi+12
	s_mov_b32 s21, s20
	s_mov_b32 s22, s20
	v_cndmask_b32_e64 v4, -1, 0xffff8000, vcc_lo
	v_cmp_lt_i16_e32 vcc_lo, -1, v17
	s_mov_b32 s23, s20
	v_and_b32_e32 v15, 15, v16
	v_lshlrev_b32_e32 v14, 3, v34
	v_xor_b32_e32 v181, v4, v27
	v_cndmask_b32_e64 v5, -1, 0xffff8000, vcc_lo
	v_cmp_lt_i16_e32 vcc_lo, -1, v31
	s_load_b32 s25, s[0:1], 0x0
	v_cmp_lt_u32_e64 s0, 1, v15
	v_cmp_lt_u32_e64 s1, 3, v15
	v_xor_b32_e32 v101, v5, v17
	v_cndmask_b32_e64 v8, -1, 0xffff8000, vcc_lo
	v_cmp_lt_i16_e32 vcc_lo, -1, v30
	v_and_b32_e32 v17, 0x3e0, v34
	v_cmp_lt_u32_e64 s2, 7, v15
	v_cmp_eq_u32_e64 s7, 0, v16
	v_xor_b32_e32 v113, v8, v31
	v_cndmask_b32_e64 v9, -1, 0xffff8000, vcc_lo
	v_cmp_lt_i16_e32 vcc_lo, -1, v33
	v_and_b32_e32 v37, 7, v16
	v_lshrrev_b32_e32 v135, 5, v26
	v_cmp_gt_u32_e64 s5, 8, v34
	v_xor_b32_e32 v103, v9, v30
	v_cndmask_b32_e64 v4, -1, 0xffff8000, vcc_lo
	v_cmp_lt_i16_e32 vcc_lo, -1, v32
	v_cmp_lt_u32_e64 s14, 1, v37
	v_cmp_lt_u32_e64 s15, 3, v37
	;; [unrolled: 1-line block ×3, first 2 shown]
	v_xor_b32_e32 v115, v4, v33
	v_cndmask_b32_e64 v5, -1, 0xffff8000, vcc_lo
	v_cmp_lt_i16_e32 vcc_lo, -1, v36
	v_lshlrev_b32_e32 v4, 5, v34
	v_cmp_eq_u32_e64 s10, 0, v34
	v_sub_nc_u32_e32 v163, v11, v10
	v_xor_b32_e32 v117, v5, v32
	v_mov_b32_e32 v5, 0
	v_cndmask_b32_e64 v8, -1, 0xffff8000, vcc_lo
	v_cmp_lt_i16_e32 vcc_lo, -1, v35
	v_add_nc_u32_e32 v32, -1, v16
	s_waitcnt lgkmcnt(0)
	s_waitcnt_vscnt null, 0x0
	s_barrier
	v_xor_b32_e32 v119, v8, v36
	v_cndmask_b32_e64 v9, -1, 0xffff8000, vcc_lo
	v_add_co_u32 v27, vcc_lo, v12, 32
	v_add_co_ci_u32_e32 v39, vcc_lo, 0, v13, vcc_lo
	v_add_co_u32 v8, vcc_lo, v12, v4
	s_delay_alu instid0(VALU_DEP_4)
	v_xor_b32_e32 v180, v9, v35
	v_add_co_ci_u32_e32 v9, vcc_lo, 0, v13, vcc_lo
	v_add_co_u32 v30, vcc_lo, v27, v4
	v_min_u32_e32 v4, 0xe0, v17
	v_and_b32_e32 v17, 16, v16
	v_cmp_gt_i32_e64 s4, 0, v32
	v_add_co_ci_u32_e32 v31, vcc_lo, 0, v39, vcc_lo
	s_delay_alu instid0(VALU_DEP_4) | instskip(NEXT) | instid1(VALU_DEP_4)
	v_or_b32_e32 v4, 31, v4
	v_cmp_eq_u32_e64 s3, 0, v17
	v_lshrrev_b32_e32 v17, 5, v34
	v_cmp_eq_u32_e32 vcc_lo, 0, v15
	v_cndmask_b32_e64 v15, v32, v16, s4
	v_cmp_eq_u32_e64 s4, v4, v34
	v_and_or_b32 v16, 0x1f00, v14, v16
	v_lshlrev_b32_e32 v4, 2, v17
	buffer_gl0_inv
	v_lshlrev_b32_e32 v162, 2, v15
	v_lshlrev_b32_e32 v15, 2, v34
	v_add_co_u32 v32, s11, v12, v4
	v_add_nc_u32_e32 v4, -1, v17
	v_lshlrev_b32_e32 v17, 1, v16
	v_add_co_ci_u32_e64 v33, s11, 0, v13, s11
	v_add_co_u32 v35, s11, v12, v15
	s_delay_alu instid0(VALU_DEP_1) | instskip(SKIP_4) | instid1(VALU_DEP_2)
	v_add_co_ci_u32_e64 v36, s11, 0, v13, s11
	v_cmp_eq_u32_e64 s11, 0, v37
	v_add_co_u32 v37, s16, v12, v17
	v_lshlrev_b64 v[14:15], 2, v[4:5]
	v_add_co_ci_u32_e64 v38, s16, 0, v13, s16
	v_add_co_u32 v48, s16, v12, v14
	s_delay_alu instid0(VALU_DEP_2) | instskip(NEXT) | instid1(VALU_DEP_4)
	v_mad_u64_u32 v[50:51], null, v16, 6, v[37:38]
	v_add_co_ci_u32_e64 v49, s16, v13, v15, s16
	v_dual_mov_b32 v14, s20 :: v_dual_mov_b32 v17, s23
	v_dual_mov_b32 v15, s21 :: v_dual_mov_b32 v16, s22
	s_branch .LBB1849_172
.LBB1849_171:                           ;   in Loop: Header=BB1849_172 Depth=1
	s_or_b32 exec_lo, exec_lo, s17
	s_delay_alu instid0(SALU_CYCLE_1) | instskip(NEXT) | instid1(SALU_CYCLE_1)
	s_and_b32 s16, exec_lo, s18
	s_or_b32 s20, s16, s20
	s_delay_alu instid0(SALU_CYCLE_1)
	s_and_not1_b32 exec_lo, exec_lo, s20
	s_cbranch_execz .LBB1849_226
.LBB1849_172:                           ; =>This Inner Loop Header: Depth=1
	v_mov_b32_e32 v164, v181
	v_dual_mov_b32 v64, v86 :: v_dual_mov_b32 v65, v87
	v_min_u32_e32 v4, s25, v163
	v_mov_b32_e32 v66, v84
	s_delay_alu instid0(VALU_DEP_4) | instskip(SKIP_1) | instid1(VALU_DEP_4)
	v_cmp_ne_u16_e64 s16, 0x7fff, v164
	v_dual_mov_b32 v178, v103 :: v_dual_mov_b32 v179, v180
	v_lshlrev_b32_e64 v4, v4, -1
	s_clause 0x1
	flat_store_b128 v[8:9], v[14:17] offset:32
	flat_store_b128 v[30:31], v[14:17] offset:16
	v_cndmask_b32_e64 v52, 0xffff8000, v164, s16
	s_waitcnt lgkmcnt(0)
	s_waitcnt_vscnt null, 0x0
	s_barrier
	v_not_b32_e32 v114, v4
	buffer_gl0_inv
	v_dual_mov_b32 v71, v21 :: v_dual_and_b32 v52, 0xffff, v52
	v_dual_mov_b32 v70, v20 :: v_dual_mov_b32 v69, v25
	v_dual_mov_b32 v68, v24 :: v_dual_mov_b32 v67, v85
	s_delay_alu instid0(VALU_DEP_3) | instskip(SKIP_1) | instid1(VALU_DEP_2)
	v_lshrrev_b32_e32 v4, v10, v52
	; wave barrier
	v_mov_b32_e32 v165, v113
	v_dual_mov_b32 v177, v115 :: v_dual_and_b32 v4, v4, v114
	v_dual_mov_b32 v54, v96 :: v_dual_mov_b32 v55, v97
	v_mov_b32_e32 v52, v98
	v_mov_b32_e32 v176, v117
	s_delay_alu instid0(VALU_DEP_4)
	v_and_b32_e32 v20, 1, v4
	v_lshlrev_b32_e32 v21, 30, v4
	v_lshlrev_b32_e32 v24, 29, v4
	;; [unrolled: 1-line block ×4, first 2 shown]
	v_add_co_u32 v20, s16, v20, -1
	s_delay_alu instid0(VALU_DEP_1)
	v_cndmask_b32_e64 v80, 0, 1, s16
	v_not_b32_e32 v84, v21
	v_cmp_gt_i32_e64 s17, 0, v21
	v_not_b32_e32 v21, v24
	v_lshlrev_b32_e32 v82, 26, v4
	v_cmp_ne_u32_e64 s16, 0, v80
	v_ashrrev_i32_e32 v80, 31, v84
	v_lshlrev_b32_e32 v83, 25, v4
	v_ashrrev_i32_e32 v21, 31, v21
	v_lshlrev_b32_e32 v85, 24, v4
	v_xor_b32_e32 v20, s16, v20
	v_cmp_gt_i32_e64 s16, 0, v24
	v_not_b32_e32 v24, v25
	v_xor_b32_e32 v80, s17, v80
	v_cmp_gt_i32_e64 s17, 0, v25
	v_and_b32_e32 v20, exec_lo, v20
	v_not_b32_e32 v25, v81
	v_ashrrev_i32_e32 v24, 31, v24
	v_xor_b32_e32 v21, s16, v21
	v_cmp_gt_i32_e64 s16, 0, v81
	v_dual_mov_b32 v167, v119 :: v_dual_and_b32 v20, v20, v80
	v_not_b32_e32 v80, v82
	v_ashrrev_i32_e32 v25, 31, v25
	v_xor_b32_e32 v24, s17, v24
	s_delay_alu instid0(VALU_DEP_4) | instskip(SKIP_3) | instid1(VALU_DEP_4)
	v_and_b32_e32 v20, v20, v21
	v_cmp_gt_i32_e64 s17, 0, v82
	v_ashrrev_i32_e32 v80, 31, v80
	v_xor_b32_e32 v25, s16, v25
	v_dual_mov_b32 v53, v99 :: v_dual_and_b32 v20, v20, v24
	s_delay_alu instid0(VALU_DEP_3) | instskip(SKIP_1) | instid1(VALU_DEP_3)
	v_xor_b32_e32 v82, s17, v80
	v_dual_mov_b32 v81, v19 :: v_dual_mov_b32 v80, v18
	v_and_b32_e32 v20, v20, v25
	v_not_b32_e32 v21, v83
	v_cmp_gt_i32_e64 s16, 0, v83
	s_delay_alu instid0(VALU_DEP_3) | instskip(NEXT) | instid1(VALU_DEP_3)
	v_dual_mov_b32 v83, v23 :: v_dual_and_b32 v20, v20, v82
	v_ashrrev_i32_e32 v21, 31, v21
	v_mov_b32_e32 v82, v22
	v_not_b32_e32 v24, v85
	v_cmp_gt_i32_e64 s17, 0, v85
	s_delay_alu instid0(VALU_DEP_4) | instskip(SKIP_1) | instid1(VALU_DEP_4)
	v_xor_b32_e32 v19, s16, v21
	v_mov_b32_e32 v166, v101
	v_ashrrev_i32_e32 v18, 31, v24
	s_delay_alu instid0(VALU_DEP_3) | instskip(NEXT) | instid1(VALU_DEP_2)
	v_and_b32_e32 v19, v20, v19
	v_xor_b32_e32 v18, s17, v18
	s_delay_alu instid0(VALU_DEP_1) | instskip(SKIP_1) | instid1(VALU_DEP_2)
	v_and_b32_e32 v18, v19, v18
	v_lshlrev_b32_e32 v19, 3, v4
	v_mbcnt_lo_u32_b32 v4, v18, 0
	s_delay_alu instid0(VALU_DEP_2) | instskip(SKIP_1) | instid1(VALU_DEP_3)
	v_add_lshl_u32 v19, v19, v135, 2
	v_cmp_ne_u32_e64 s16, 0, v18
	v_cmp_eq_u32_e64 s17, 0, v4
	s_delay_alu instid0(VALU_DEP_3) | instskip(NEXT) | instid1(VALU_DEP_1)
	v_add_co_u32 v84, s18, v27, v19
	v_add_co_ci_u32_e64 v85, s18, 0, v39, s18
	s_delay_alu instid0(VALU_DEP_3) | instskip(NEXT) | instid1(SALU_CYCLE_1)
	s_and_b32 s17, s16, s17
	s_and_saveexec_b32 s16, s17
	s_cbranch_execz .LBB1849_174
; %bb.173:                              ;   in Loop: Header=BB1849_172 Depth=1
	v_bcnt_u32_b32 v18, v18, 0
	flat_store_b32 v[84:85], v18
.LBB1849_174:                           ;   in Loop: Header=BB1849_172 Depth=1
	s_or_b32 exec_lo, exec_lo, s16
	v_cmp_ne_u16_e64 s16, 0x7fff, v166
	; wave barrier
	s_delay_alu instid0(VALU_DEP_1) | instskip(NEXT) | instid1(VALU_DEP_1)
	v_cndmask_b32_e64 v18, 0xffff8000, v166, s16
	v_and_b32_e32 v18, 0xffff, v18
	s_delay_alu instid0(VALU_DEP_1) | instskip(NEXT) | instid1(VALU_DEP_1)
	v_lshrrev_b32_e32 v18, v10, v18
	v_and_b32_e32 v18, v18, v114
	s_delay_alu instid0(VALU_DEP_1) | instskip(SKIP_3) | instid1(VALU_DEP_4)
	v_lshlrev_b32_e32 v19, 3, v18
	v_lshlrev_b32_e32 v21, 30, v18
	;; [unrolled: 1-line block ×4, first 2 shown]
	v_add_lshl_u32 v19, v19, v135, 2
	s_delay_alu instid0(VALU_DEP_1) | instskip(NEXT) | instid1(VALU_DEP_1)
	v_add_co_u32 v86, s16, v27, v19
	v_add_co_ci_u32_e64 v87, s16, 0, v39, s16
	v_and_b32_e32 v19, 1, v18
	flat_load_b32 v116, v[86:87]
	v_add_co_u32 v19, s16, v19, -1
	s_delay_alu instid0(VALU_DEP_1) | instskip(NEXT) | instid1(VALU_DEP_1)
	v_cndmask_b32_e64 v20, 0, 1, s16
	; wave barrier
	v_cmp_ne_u32_e64 s16, 0, v20
	v_not_b32_e32 v20, v21
	s_delay_alu instid0(VALU_DEP_2) | instskip(SKIP_1) | instid1(VALU_DEP_3)
	v_xor_b32_e32 v19, s16, v19
	v_cmp_gt_i32_e64 s16, 0, v21
	v_ashrrev_i32_e32 v20, 31, v20
	v_not_b32_e32 v21, v22
	s_delay_alu instid0(VALU_DEP_4) | instskip(NEXT) | instid1(VALU_DEP_3)
	v_and_b32_e32 v19, exec_lo, v19
	v_xor_b32_e32 v20, s16, v20
	v_cmp_gt_i32_e64 s16, 0, v22
	s_delay_alu instid0(VALU_DEP_4) | instskip(SKIP_1) | instid1(VALU_DEP_4)
	v_ashrrev_i32_e32 v21, 31, v21
	v_not_b32_e32 v22, v23
	v_and_b32_e32 v19, v19, v20
	v_lshlrev_b32_e32 v20, 27, v18
	s_delay_alu instid0(VALU_DEP_4) | instskip(SKIP_2) | instid1(VALU_DEP_4)
	v_xor_b32_e32 v21, s16, v21
	v_cmp_gt_i32_e64 s16, 0, v23
	v_ashrrev_i32_e32 v22, 31, v22
	v_not_b32_e32 v23, v20
	s_delay_alu instid0(VALU_DEP_4) | instskip(SKIP_1) | instid1(VALU_DEP_4)
	v_and_b32_e32 v19, v19, v21
	v_lshlrev_b32_e32 v21, 26, v18
	v_xor_b32_e32 v22, s16, v22
	v_cmp_gt_i32_e64 s16, 0, v20
	v_ashrrev_i32_e32 v20, 31, v23
	s_delay_alu instid0(VALU_DEP_4) | instskip(NEXT) | instid1(VALU_DEP_4)
	v_not_b32_e32 v23, v21
	v_and_b32_e32 v19, v19, v22
	v_lshlrev_b32_e32 v22, 25, v18
	s_delay_alu instid0(VALU_DEP_4)
	v_xor_b32_e32 v20, s16, v20
	v_cmp_gt_i32_e64 s16, 0, v21
	v_ashrrev_i32_e32 v21, 31, v23
	v_lshlrev_b32_e32 v18, 24, v18
	v_not_b32_e32 v23, v22
	v_and_b32_e32 v19, v19, v20
	s_delay_alu instid0(VALU_DEP_4) | instskip(SKIP_1) | instid1(VALU_DEP_4)
	v_xor_b32_e32 v20, s16, v21
	v_cmp_gt_i32_e64 s16, 0, v22
	v_ashrrev_i32_e32 v21, 31, v23
	v_not_b32_e32 v22, v18
	s_delay_alu instid0(VALU_DEP_4) | instskip(NEXT) | instid1(VALU_DEP_3)
	v_and_b32_e32 v19, v19, v20
	v_xor_b32_e32 v20, s16, v21
	v_cmp_gt_i32_e64 s16, 0, v18
	s_delay_alu instid0(VALU_DEP_4) | instskip(NEXT) | instid1(VALU_DEP_3)
	v_ashrrev_i32_e32 v18, 31, v22
	v_and_b32_e32 v19, v19, v20
	s_delay_alu instid0(VALU_DEP_2) | instskip(NEXT) | instid1(VALU_DEP_1)
	v_xor_b32_e32 v18, s16, v18
	v_and_b32_e32 v18, v19, v18
	s_delay_alu instid0(VALU_DEP_1) | instskip(SKIP_1) | instid1(VALU_DEP_2)
	v_mbcnt_lo_u32_b32 v118, v18, 0
	v_cmp_ne_u32_e64 s17, 0, v18
	v_cmp_eq_u32_e64 s16, 0, v118
	s_delay_alu instid0(VALU_DEP_1) | instskip(NEXT) | instid1(SALU_CYCLE_1)
	s_and_b32 s17, s17, s16
	s_and_saveexec_b32 s16, s17
	s_cbranch_execz .LBB1849_176
; %bb.175:                              ;   in Loop: Header=BB1849_172 Depth=1
	s_waitcnt vmcnt(0) lgkmcnt(0)
	v_bcnt_u32_b32 v18, v18, v116
	flat_store_b32 v[86:87], v18
.LBB1849_176:                           ;   in Loop: Header=BB1849_172 Depth=1
	s_or_b32 exec_lo, exec_lo, s16
	v_cmp_ne_u16_e64 s16, 0x7fff, v165
	; wave barrier
	s_delay_alu instid0(VALU_DEP_1) | instskip(NEXT) | instid1(VALU_DEP_1)
	v_cndmask_b32_e64 v18, 0xffff8000, v165, s16
	v_and_b32_e32 v18, 0xffff, v18
	s_delay_alu instid0(VALU_DEP_1) | instskip(NEXT) | instid1(VALU_DEP_1)
	v_lshrrev_b32_e32 v18, v10, v18
	v_and_b32_e32 v18, v18, v114
	s_delay_alu instid0(VALU_DEP_1) | instskip(SKIP_3) | instid1(VALU_DEP_4)
	v_lshlrev_b32_e32 v19, 3, v18
	v_lshlrev_b32_e32 v21, 30, v18
	;; [unrolled: 1-line block ×4, first 2 shown]
	v_add_lshl_u32 v19, v19, v135, 2
	s_delay_alu instid0(VALU_DEP_1) | instskip(NEXT) | instid1(VALU_DEP_1)
	v_add_co_u32 v96, s16, v27, v19
	v_add_co_ci_u32_e64 v97, s16, 0, v39, s16
	v_and_b32_e32 v19, 1, v18
	flat_load_b32 v128, v[96:97]
	v_add_co_u32 v19, s16, v19, -1
	s_delay_alu instid0(VALU_DEP_1) | instskip(NEXT) | instid1(VALU_DEP_1)
	v_cndmask_b32_e64 v20, 0, 1, s16
	; wave barrier
	v_cmp_ne_u32_e64 s16, 0, v20
	v_not_b32_e32 v20, v21
	s_delay_alu instid0(VALU_DEP_2) | instskip(SKIP_1) | instid1(VALU_DEP_3)
	v_xor_b32_e32 v19, s16, v19
	v_cmp_gt_i32_e64 s16, 0, v21
	v_ashrrev_i32_e32 v20, 31, v20
	v_not_b32_e32 v21, v22
	s_delay_alu instid0(VALU_DEP_4) | instskip(NEXT) | instid1(VALU_DEP_3)
	v_and_b32_e32 v19, exec_lo, v19
	v_xor_b32_e32 v20, s16, v20
	v_cmp_gt_i32_e64 s16, 0, v22
	s_delay_alu instid0(VALU_DEP_4) | instskip(SKIP_1) | instid1(VALU_DEP_4)
	v_ashrrev_i32_e32 v21, 31, v21
	v_not_b32_e32 v22, v23
	v_and_b32_e32 v19, v19, v20
	v_lshlrev_b32_e32 v20, 27, v18
	s_delay_alu instid0(VALU_DEP_4) | instskip(SKIP_2) | instid1(VALU_DEP_4)
	v_xor_b32_e32 v21, s16, v21
	v_cmp_gt_i32_e64 s16, 0, v23
	v_ashrrev_i32_e32 v22, 31, v22
	v_not_b32_e32 v23, v20
	s_delay_alu instid0(VALU_DEP_4) | instskip(SKIP_1) | instid1(VALU_DEP_4)
	v_and_b32_e32 v19, v19, v21
	v_lshlrev_b32_e32 v21, 26, v18
	v_xor_b32_e32 v22, s16, v22
	v_cmp_gt_i32_e64 s16, 0, v20
	v_ashrrev_i32_e32 v20, 31, v23
	s_delay_alu instid0(VALU_DEP_4) | instskip(NEXT) | instid1(VALU_DEP_4)
	v_not_b32_e32 v23, v21
	v_and_b32_e32 v19, v19, v22
	v_lshlrev_b32_e32 v22, 25, v18
	s_delay_alu instid0(VALU_DEP_4)
	v_xor_b32_e32 v20, s16, v20
	v_cmp_gt_i32_e64 s16, 0, v21
	v_ashrrev_i32_e32 v21, 31, v23
	v_lshlrev_b32_e32 v18, 24, v18
	v_not_b32_e32 v23, v22
	v_and_b32_e32 v19, v19, v20
	s_delay_alu instid0(VALU_DEP_4) | instskip(SKIP_1) | instid1(VALU_DEP_4)
	v_xor_b32_e32 v20, s16, v21
	v_cmp_gt_i32_e64 s16, 0, v22
	v_ashrrev_i32_e32 v21, 31, v23
	v_not_b32_e32 v22, v18
	s_delay_alu instid0(VALU_DEP_4) | instskip(NEXT) | instid1(VALU_DEP_3)
	v_and_b32_e32 v19, v19, v20
	v_xor_b32_e32 v20, s16, v21
	v_cmp_gt_i32_e64 s16, 0, v18
	s_delay_alu instid0(VALU_DEP_4) | instskip(NEXT) | instid1(VALU_DEP_3)
	v_ashrrev_i32_e32 v18, 31, v22
	v_and_b32_e32 v19, v19, v20
	s_delay_alu instid0(VALU_DEP_2) | instskip(NEXT) | instid1(VALU_DEP_1)
	v_xor_b32_e32 v18, s16, v18
	v_and_b32_e32 v18, v19, v18
	s_delay_alu instid0(VALU_DEP_1) | instskip(SKIP_1) | instid1(VALU_DEP_2)
	v_mbcnt_lo_u32_b32 v130, v18, 0
	v_cmp_ne_u32_e64 s17, 0, v18
	v_cmp_eq_u32_e64 s16, 0, v130
	s_delay_alu instid0(VALU_DEP_1) | instskip(NEXT) | instid1(SALU_CYCLE_1)
	s_and_b32 s17, s17, s16
	s_and_saveexec_b32 s16, s17
	s_cbranch_execz .LBB1849_178
; %bb.177:                              ;   in Loop: Header=BB1849_172 Depth=1
	s_waitcnt vmcnt(0) lgkmcnt(0)
	v_bcnt_u32_b32 v18, v18, v128
	flat_store_b32 v[96:97], v18
.LBB1849_178:                           ;   in Loop: Header=BB1849_172 Depth=1
	s_or_b32 exec_lo, exec_lo, s16
	v_cmp_ne_u16_e64 s16, 0x7fff, v178
	; wave barrier
	s_delay_alu instid0(VALU_DEP_1) | instskip(NEXT) | instid1(VALU_DEP_1)
	v_cndmask_b32_e64 v18, 0xffff8000, v178, s16
	v_and_b32_e32 v18, 0xffff, v18
	s_delay_alu instid0(VALU_DEP_1) | instskip(NEXT) | instid1(VALU_DEP_1)
	v_lshrrev_b32_e32 v18, v10, v18
	v_and_b32_e32 v18, v18, v114
	s_delay_alu instid0(VALU_DEP_1) | instskip(SKIP_3) | instid1(VALU_DEP_4)
	v_lshlrev_b32_e32 v19, 3, v18
	v_lshlrev_b32_e32 v21, 30, v18
	;; [unrolled: 1-line block ×4, first 2 shown]
	v_add_lshl_u32 v19, v19, v135, 2
	s_delay_alu instid0(VALU_DEP_1) | instskip(NEXT) | instid1(VALU_DEP_1)
	v_add_co_u32 v98, s16, v27, v19
	v_add_co_ci_u32_e64 v99, s16, 0, v39, s16
	v_and_b32_e32 v19, 1, v18
	flat_load_b32 v131, v[98:99]
	v_add_co_u32 v19, s16, v19, -1
	s_delay_alu instid0(VALU_DEP_1) | instskip(NEXT) | instid1(VALU_DEP_1)
	v_cndmask_b32_e64 v20, 0, 1, s16
	; wave barrier
	v_cmp_ne_u32_e64 s16, 0, v20
	v_not_b32_e32 v20, v21
	s_delay_alu instid0(VALU_DEP_2) | instskip(SKIP_1) | instid1(VALU_DEP_3)
	v_xor_b32_e32 v19, s16, v19
	v_cmp_gt_i32_e64 s16, 0, v21
	v_ashrrev_i32_e32 v20, 31, v20
	v_not_b32_e32 v21, v22
	s_delay_alu instid0(VALU_DEP_4) | instskip(NEXT) | instid1(VALU_DEP_3)
	v_and_b32_e32 v19, exec_lo, v19
	v_xor_b32_e32 v20, s16, v20
	v_cmp_gt_i32_e64 s16, 0, v22
	s_delay_alu instid0(VALU_DEP_4) | instskip(SKIP_1) | instid1(VALU_DEP_4)
	v_ashrrev_i32_e32 v21, 31, v21
	v_not_b32_e32 v22, v23
	v_and_b32_e32 v19, v19, v20
	v_lshlrev_b32_e32 v20, 27, v18
	s_delay_alu instid0(VALU_DEP_4) | instskip(SKIP_2) | instid1(VALU_DEP_4)
	v_xor_b32_e32 v21, s16, v21
	v_cmp_gt_i32_e64 s16, 0, v23
	v_ashrrev_i32_e32 v22, 31, v22
	v_not_b32_e32 v23, v20
	s_delay_alu instid0(VALU_DEP_4) | instskip(SKIP_1) | instid1(VALU_DEP_4)
	v_and_b32_e32 v19, v19, v21
	v_lshlrev_b32_e32 v21, 26, v18
	v_xor_b32_e32 v22, s16, v22
	v_cmp_gt_i32_e64 s16, 0, v20
	v_ashrrev_i32_e32 v20, 31, v23
	s_delay_alu instid0(VALU_DEP_4) | instskip(NEXT) | instid1(VALU_DEP_4)
	v_not_b32_e32 v23, v21
	v_and_b32_e32 v19, v19, v22
	v_lshlrev_b32_e32 v22, 25, v18
	s_delay_alu instid0(VALU_DEP_4)
	v_xor_b32_e32 v20, s16, v20
	v_cmp_gt_i32_e64 s16, 0, v21
	v_ashrrev_i32_e32 v21, 31, v23
	v_lshlrev_b32_e32 v18, 24, v18
	v_not_b32_e32 v23, v22
	v_and_b32_e32 v19, v19, v20
	s_delay_alu instid0(VALU_DEP_4) | instskip(SKIP_1) | instid1(VALU_DEP_4)
	v_xor_b32_e32 v20, s16, v21
	v_cmp_gt_i32_e64 s16, 0, v22
	v_ashrrev_i32_e32 v21, 31, v23
	v_not_b32_e32 v22, v18
	s_delay_alu instid0(VALU_DEP_4) | instskip(NEXT) | instid1(VALU_DEP_3)
	v_and_b32_e32 v19, v19, v20
	v_xor_b32_e32 v20, s16, v21
	v_cmp_gt_i32_e64 s16, 0, v18
	s_delay_alu instid0(VALU_DEP_4) | instskip(NEXT) | instid1(VALU_DEP_3)
	v_ashrrev_i32_e32 v18, 31, v22
	v_and_b32_e32 v19, v19, v20
	s_delay_alu instid0(VALU_DEP_2) | instskip(NEXT) | instid1(VALU_DEP_1)
	v_xor_b32_e32 v18, s16, v18
	v_and_b32_e32 v18, v19, v18
	s_delay_alu instid0(VALU_DEP_1) | instskip(SKIP_1) | instid1(VALU_DEP_2)
	v_mbcnt_lo_u32_b32 v132, v18, 0
	v_cmp_ne_u32_e64 s17, 0, v18
	v_cmp_eq_u32_e64 s16, 0, v132
	s_delay_alu instid0(VALU_DEP_1) | instskip(NEXT) | instid1(SALU_CYCLE_1)
	s_and_b32 s17, s17, s16
	s_and_saveexec_b32 s16, s17
	s_cbranch_execz .LBB1849_180
; %bb.179:                              ;   in Loop: Header=BB1849_172 Depth=1
	s_waitcnt vmcnt(0) lgkmcnt(0)
	v_bcnt_u32_b32 v18, v18, v131
	flat_store_b32 v[98:99], v18
.LBB1849_180:                           ;   in Loop: Header=BB1849_172 Depth=1
	s_or_b32 exec_lo, exec_lo, s16
	v_cmp_ne_u16_e64 s16, 0x7fff, v177
	; wave barrier
	s_delay_alu instid0(VALU_DEP_1) | instskip(NEXT) | instid1(VALU_DEP_1)
	v_cndmask_b32_e64 v18, 0xffff8000, v177, s16
	v_and_b32_e32 v18, 0xffff, v18
	s_delay_alu instid0(VALU_DEP_1) | instskip(NEXT) | instid1(VALU_DEP_1)
	v_lshrrev_b32_e32 v18, v10, v18
	v_and_b32_e32 v18, v18, v114
	s_delay_alu instid0(VALU_DEP_1) | instskip(SKIP_3) | instid1(VALU_DEP_4)
	v_lshlrev_b32_e32 v19, 3, v18
	v_lshlrev_b32_e32 v21, 30, v18
	;; [unrolled: 1-line block ×4, first 2 shown]
	v_add_lshl_u32 v19, v19, v135, 2
	s_delay_alu instid0(VALU_DEP_1) | instskip(NEXT) | instid1(VALU_DEP_1)
	v_add_co_u32 v100, s16, v27, v19
	v_add_co_ci_u32_e64 v101, s16, 0, v39, s16
	v_and_b32_e32 v19, 1, v18
	flat_load_b32 v133, v[100:101]
	v_add_co_u32 v19, s16, v19, -1
	s_delay_alu instid0(VALU_DEP_1) | instskip(NEXT) | instid1(VALU_DEP_1)
	v_cndmask_b32_e64 v20, 0, 1, s16
	; wave barrier
	v_cmp_ne_u32_e64 s16, 0, v20
	v_not_b32_e32 v20, v21
	s_delay_alu instid0(VALU_DEP_2) | instskip(SKIP_1) | instid1(VALU_DEP_3)
	v_xor_b32_e32 v19, s16, v19
	v_cmp_gt_i32_e64 s16, 0, v21
	v_ashrrev_i32_e32 v20, 31, v20
	v_not_b32_e32 v21, v22
	s_delay_alu instid0(VALU_DEP_4) | instskip(NEXT) | instid1(VALU_DEP_3)
	v_and_b32_e32 v19, exec_lo, v19
	v_xor_b32_e32 v20, s16, v20
	v_cmp_gt_i32_e64 s16, 0, v22
	s_delay_alu instid0(VALU_DEP_4) | instskip(SKIP_1) | instid1(VALU_DEP_4)
	v_ashrrev_i32_e32 v21, 31, v21
	v_not_b32_e32 v22, v23
	v_and_b32_e32 v19, v19, v20
	v_lshlrev_b32_e32 v20, 27, v18
	s_delay_alu instid0(VALU_DEP_4) | instskip(SKIP_2) | instid1(VALU_DEP_4)
	v_xor_b32_e32 v21, s16, v21
	v_cmp_gt_i32_e64 s16, 0, v23
	v_ashrrev_i32_e32 v22, 31, v22
	v_not_b32_e32 v23, v20
	s_delay_alu instid0(VALU_DEP_4) | instskip(SKIP_1) | instid1(VALU_DEP_4)
	v_and_b32_e32 v19, v19, v21
	v_lshlrev_b32_e32 v21, 26, v18
	v_xor_b32_e32 v22, s16, v22
	v_cmp_gt_i32_e64 s16, 0, v20
	v_ashrrev_i32_e32 v20, 31, v23
	s_delay_alu instid0(VALU_DEP_4) | instskip(NEXT) | instid1(VALU_DEP_4)
	v_not_b32_e32 v23, v21
	v_and_b32_e32 v19, v19, v22
	v_lshlrev_b32_e32 v22, 25, v18
	s_delay_alu instid0(VALU_DEP_4)
	v_xor_b32_e32 v20, s16, v20
	v_cmp_gt_i32_e64 s16, 0, v21
	v_ashrrev_i32_e32 v21, 31, v23
	v_lshlrev_b32_e32 v18, 24, v18
	v_not_b32_e32 v23, v22
	v_and_b32_e32 v19, v19, v20
	s_delay_alu instid0(VALU_DEP_4) | instskip(SKIP_1) | instid1(VALU_DEP_4)
	v_xor_b32_e32 v20, s16, v21
	v_cmp_gt_i32_e64 s16, 0, v22
	v_ashrrev_i32_e32 v21, 31, v23
	v_not_b32_e32 v22, v18
	s_delay_alu instid0(VALU_DEP_4) | instskip(NEXT) | instid1(VALU_DEP_3)
	v_and_b32_e32 v19, v19, v20
	v_xor_b32_e32 v20, s16, v21
	v_cmp_gt_i32_e64 s16, 0, v18
	s_delay_alu instid0(VALU_DEP_4) | instskip(NEXT) | instid1(VALU_DEP_3)
	v_ashrrev_i32_e32 v18, 31, v22
	v_and_b32_e32 v19, v19, v20
	s_delay_alu instid0(VALU_DEP_2) | instskip(NEXT) | instid1(VALU_DEP_1)
	v_xor_b32_e32 v18, s16, v18
	v_and_b32_e32 v18, v19, v18
	s_delay_alu instid0(VALU_DEP_1) | instskip(SKIP_1) | instid1(VALU_DEP_2)
	v_mbcnt_lo_u32_b32 v134, v18, 0
	v_cmp_ne_u32_e64 s17, 0, v18
	v_cmp_eq_u32_e64 s16, 0, v134
	s_delay_alu instid0(VALU_DEP_1) | instskip(NEXT) | instid1(SALU_CYCLE_1)
	s_and_b32 s17, s17, s16
	s_and_saveexec_b32 s16, s17
	s_cbranch_execz .LBB1849_182
; %bb.181:                              ;   in Loop: Header=BB1849_172 Depth=1
	s_waitcnt vmcnt(0) lgkmcnt(0)
	v_bcnt_u32_b32 v18, v18, v133
	flat_store_b32 v[100:101], v18
.LBB1849_182:                           ;   in Loop: Header=BB1849_172 Depth=1
	s_or_b32 exec_lo, exec_lo, s16
	v_cmp_ne_u16_e64 s16, 0x7fff, v176
	; wave barrier
	s_delay_alu instid0(VALU_DEP_1) | instskip(NEXT) | instid1(VALU_DEP_1)
	v_cndmask_b32_e64 v18, 0xffff8000, v176, s16
	v_and_b32_e32 v18, 0xffff, v18
	s_delay_alu instid0(VALU_DEP_1) | instskip(NEXT) | instid1(VALU_DEP_1)
	v_lshrrev_b32_e32 v18, v10, v18
	v_and_b32_e32 v18, v18, v114
	s_delay_alu instid0(VALU_DEP_1) | instskip(SKIP_3) | instid1(VALU_DEP_4)
	v_lshlrev_b32_e32 v19, 3, v18
	v_lshlrev_b32_e32 v21, 30, v18
	;; [unrolled: 1-line block ×4, first 2 shown]
	v_add_lshl_u32 v19, v19, v135, 2
	s_delay_alu instid0(VALU_DEP_1) | instskip(NEXT) | instid1(VALU_DEP_1)
	v_add_co_u32 v102, s16, v27, v19
	v_add_co_ci_u32_e64 v103, s16, 0, v39, s16
	v_and_b32_e32 v19, 1, v18
	flat_load_b32 v144, v[102:103]
	v_add_co_u32 v19, s16, v19, -1
	s_delay_alu instid0(VALU_DEP_1) | instskip(NEXT) | instid1(VALU_DEP_1)
	v_cndmask_b32_e64 v20, 0, 1, s16
	; wave barrier
	v_cmp_ne_u32_e64 s16, 0, v20
	v_not_b32_e32 v20, v21
	s_delay_alu instid0(VALU_DEP_2) | instskip(SKIP_1) | instid1(VALU_DEP_3)
	v_xor_b32_e32 v19, s16, v19
	v_cmp_gt_i32_e64 s16, 0, v21
	v_ashrrev_i32_e32 v20, 31, v20
	v_not_b32_e32 v21, v22
	s_delay_alu instid0(VALU_DEP_4) | instskip(NEXT) | instid1(VALU_DEP_3)
	v_and_b32_e32 v19, exec_lo, v19
	v_xor_b32_e32 v20, s16, v20
	v_cmp_gt_i32_e64 s16, 0, v22
	s_delay_alu instid0(VALU_DEP_4) | instskip(SKIP_1) | instid1(VALU_DEP_4)
	v_ashrrev_i32_e32 v21, 31, v21
	v_not_b32_e32 v22, v23
	v_and_b32_e32 v19, v19, v20
	v_lshlrev_b32_e32 v20, 27, v18
	s_delay_alu instid0(VALU_DEP_4) | instskip(SKIP_2) | instid1(VALU_DEP_4)
	v_xor_b32_e32 v21, s16, v21
	v_cmp_gt_i32_e64 s16, 0, v23
	v_ashrrev_i32_e32 v22, 31, v22
	v_not_b32_e32 v23, v20
	s_delay_alu instid0(VALU_DEP_4) | instskip(SKIP_1) | instid1(VALU_DEP_4)
	v_and_b32_e32 v19, v19, v21
	v_lshlrev_b32_e32 v21, 26, v18
	v_xor_b32_e32 v22, s16, v22
	v_cmp_gt_i32_e64 s16, 0, v20
	v_ashrrev_i32_e32 v20, 31, v23
	s_delay_alu instid0(VALU_DEP_4) | instskip(NEXT) | instid1(VALU_DEP_4)
	v_not_b32_e32 v23, v21
	v_and_b32_e32 v19, v19, v22
	v_lshlrev_b32_e32 v22, 25, v18
	s_delay_alu instid0(VALU_DEP_4)
	v_xor_b32_e32 v20, s16, v20
	v_cmp_gt_i32_e64 s16, 0, v21
	v_ashrrev_i32_e32 v21, 31, v23
	v_lshlrev_b32_e32 v18, 24, v18
	v_not_b32_e32 v23, v22
	v_and_b32_e32 v19, v19, v20
	s_delay_alu instid0(VALU_DEP_4) | instskip(SKIP_1) | instid1(VALU_DEP_4)
	v_xor_b32_e32 v20, s16, v21
	v_cmp_gt_i32_e64 s16, 0, v22
	v_ashrrev_i32_e32 v21, 31, v23
	v_not_b32_e32 v22, v18
	s_delay_alu instid0(VALU_DEP_4) | instskip(NEXT) | instid1(VALU_DEP_3)
	v_and_b32_e32 v19, v19, v20
	v_xor_b32_e32 v20, s16, v21
	v_cmp_gt_i32_e64 s16, 0, v18
	s_delay_alu instid0(VALU_DEP_4) | instskip(NEXT) | instid1(VALU_DEP_3)
	v_ashrrev_i32_e32 v18, 31, v22
	v_and_b32_e32 v19, v19, v20
	s_delay_alu instid0(VALU_DEP_2) | instskip(NEXT) | instid1(VALU_DEP_1)
	v_xor_b32_e32 v18, s16, v18
	v_and_b32_e32 v18, v19, v18
	s_delay_alu instid0(VALU_DEP_1) | instskip(SKIP_1) | instid1(VALU_DEP_2)
	v_mbcnt_lo_u32_b32 v145, v18, 0
	v_cmp_ne_u32_e64 s17, 0, v18
	v_cmp_eq_u32_e64 s16, 0, v145
	s_delay_alu instid0(VALU_DEP_1) | instskip(NEXT) | instid1(SALU_CYCLE_1)
	s_and_b32 s17, s17, s16
	s_and_saveexec_b32 s16, s17
	s_cbranch_execz .LBB1849_184
; %bb.183:                              ;   in Loop: Header=BB1849_172 Depth=1
	s_waitcnt vmcnt(0) lgkmcnt(0)
	v_bcnt_u32_b32 v18, v18, v144
	flat_store_b32 v[102:103], v18
.LBB1849_184:                           ;   in Loop: Header=BB1849_172 Depth=1
	s_or_b32 exec_lo, exec_lo, s16
	v_cmp_ne_u16_e64 s16, 0x7fff, v167
	; wave barrier
	s_delay_alu instid0(VALU_DEP_1) | instskip(NEXT) | instid1(VALU_DEP_1)
	v_cndmask_b32_e64 v18, 0xffff8000, v167, s16
	v_and_b32_e32 v18, 0xffff, v18
	s_delay_alu instid0(VALU_DEP_1) | instskip(NEXT) | instid1(VALU_DEP_1)
	v_lshrrev_b32_e32 v18, v10, v18
	v_and_b32_e32 v18, v18, v114
	s_delay_alu instid0(VALU_DEP_1) | instskip(SKIP_3) | instid1(VALU_DEP_4)
	v_lshlrev_b32_e32 v19, 3, v18
	v_lshlrev_b32_e32 v21, 30, v18
	;; [unrolled: 1-line block ×4, first 2 shown]
	v_add_lshl_u32 v19, v19, v135, 2
	s_delay_alu instid0(VALU_DEP_1) | instskip(NEXT) | instid1(VALU_DEP_1)
	v_add_co_u32 v112, s16, v27, v19
	v_add_co_ci_u32_e64 v113, s16, 0, v39, s16
	v_and_b32_e32 v19, 1, v18
	flat_load_b32 v146, v[112:113]
	v_add_co_u32 v19, s16, v19, -1
	s_delay_alu instid0(VALU_DEP_1) | instskip(NEXT) | instid1(VALU_DEP_1)
	v_cndmask_b32_e64 v20, 0, 1, s16
	; wave barrier
	v_cmp_ne_u32_e64 s16, 0, v20
	v_not_b32_e32 v20, v21
	s_delay_alu instid0(VALU_DEP_2) | instskip(SKIP_1) | instid1(VALU_DEP_3)
	v_xor_b32_e32 v19, s16, v19
	v_cmp_gt_i32_e64 s16, 0, v21
	v_ashrrev_i32_e32 v20, 31, v20
	v_not_b32_e32 v21, v22
	s_delay_alu instid0(VALU_DEP_4) | instskip(NEXT) | instid1(VALU_DEP_3)
	v_and_b32_e32 v19, exec_lo, v19
	v_xor_b32_e32 v20, s16, v20
	v_cmp_gt_i32_e64 s16, 0, v22
	s_delay_alu instid0(VALU_DEP_4) | instskip(SKIP_1) | instid1(VALU_DEP_4)
	v_ashrrev_i32_e32 v21, 31, v21
	v_not_b32_e32 v22, v23
	v_and_b32_e32 v19, v19, v20
	v_lshlrev_b32_e32 v20, 27, v18
	s_delay_alu instid0(VALU_DEP_4) | instskip(SKIP_2) | instid1(VALU_DEP_4)
	v_xor_b32_e32 v21, s16, v21
	v_cmp_gt_i32_e64 s16, 0, v23
	v_ashrrev_i32_e32 v22, 31, v22
	v_not_b32_e32 v23, v20
	s_delay_alu instid0(VALU_DEP_4) | instskip(SKIP_1) | instid1(VALU_DEP_4)
	v_and_b32_e32 v19, v19, v21
	v_lshlrev_b32_e32 v21, 26, v18
	v_xor_b32_e32 v22, s16, v22
	v_cmp_gt_i32_e64 s16, 0, v20
	v_ashrrev_i32_e32 v20, 31, v23
	s_delay_alu instid0(VALU_DEP_4) | instskip(NEXT) | instid1(VALU_DEP_4)
	v_not_b32_e32 v23, v21
	v_and_b32_e32 v19, v19, v22
	v_lshlrev_b32_e32 v22, 25, v18
	s_delay_alu instid0(VALU_DEP_4)
	v_xor_b32_e32 v20, s16, v20
	v_cmp_gt_i32_e64 s16, 0, v21
	v_ashrrev_i32_e32 v21, 31, v23
	v_lshlrev_b32_e32 v18, 24, v18
	v_not_b32_e32 v23, v22
	v_and_b32_e32 v19, v19, v20
	s_delay_alu instid0(VALU_DEP_4) | instskip(SKIP_1) | instid1(VALU_DEP_4)
	v_xor_b32_e32 v20, s16, v21
	v_cmp_gt_i32_e64 s16, 0, v22
	v_ashrrev_i32_e32 v21, 31, v23
	v_not_b32_e32 v22, v18
	s_delay_alu instid0(VALU_DEP_4) | instskip(NEXT) | instid1(VALU_DEP_3)
	v_and_b32_e32 v19, v19, v20
	v_xor_b32_e32 v20, s16, v21
	v_cmp_gt_i32_e64 s16, 0, v18
	s_delay_alu instid0(VALU_DEP_4) | instskip(NEXT) | instid1(VALU_DEP_3)
	v_ashrrev_i32_e32 v18, 31, v22
	v_and_b32_e32 v19, v19, v20
	s_delay_alu instid0(VALU_DEP_2) | instskip(NEXT) | instid1(VALU_DEP_1)
	v_xor_b32_e32 v18, s16, v18
	v_and_b32_e32 v18, v19, v18
	s_delay_alu instid0(VALU_DEP_1) | instskip(SKIP_1) | instid1(VALU_DEP_2)
	v_mbcnt_lo_u32_b32 v147, v18, 0
	v_cmp_ne_u32_e64 s17, 0, v18
	v_cmp_eq_u32_e64 s16, 0, v147
	s_delay_alu instid0(VALU_DEP_1) | instskip(NEXT) | instid1(SALU_CYCLE_1)
	s_and_b32 s17, s17, s16
	s_and_saveexec_b32 s16, s17
	s_cbranch_execz .LBB1849_186
; %bb.185:                              ;   in Loop: Header=BB1849_172 Depth=1
	s_waitcnt vmcnt(0) lgkmcnt(0)
	v_bcnt_u32_b32 v18, v18, v146
	flat_store_b32 v[112:113], v18
.LBB1849_186:                           ;   in Loop: Header=BB1849_172 Depth=1
	s_or_b32 exec_lo, exec_lo, s16
	v_cmp_ne_u16_e64 s16, 0x7fff, v179
	; wave barrier
	s_delay_alu instid0(VALU_DEP_1) | instskip(NEXT) | instid1(VALU_DEP_1)
	v_cndmask_b32_e64 v18, 0xffff8000, v179, s16
	v_and_b32_e32 v18, 0xffff, v18
	s_delay_alu instid0(VALU_DEP_1) | instskip(NEXT) | instid1(VALU_DEP_1)
	v_lshrrev_b32_e32 v18, v10, v18
	v_and_b32_e32 v18, v18, v114
	s_delay_alu instid0(VALU_DEP_1) | instskip(SKIP_3) | instid1(VALU_DEP_4)
	v_lshlrev_b32_e32 v19, 3, v18
	v_lshlrev_b32_e32 v21, 30, v18
	;; [unrolled: 1-line block ×4, first 2 shown]
	v_add_lshl_u32 v19, v19, v135, 2
	s_delay_alu instid0(VALU_DEP_1) | instskip(NEXT) | instid1(VALU_DEP_1)
	v_add_co_u32 v114, s16, v27, v19
	v_add_co_ci_u32_e64 v115, s16, 0, v39, s16
	v_and_b32_e32 v19, 1, v18
	flat_load_b32 v148, v[114:115]
	v_add_co_u32 v19, s16, v19, -1
	s_delay_alu instid0(VALU_DEP_1) | instskip(NEXT) | instid1(VALU_DEP_1)
	v_cndmask_b32_e64 v20, 0, 1, s16
	; wave barrier
	v_cmp_ne_u32_e64 s16, 0, v20
	v_not_b32_e32 v20, v21
	s_delay_alu instid0(VALU_DEP_2) | instskip(SKIP_1) | instid1(VALU_DEP_3)
	v_xor_b32_e32 v19, s16, v19
	v_cmp_gt_i32_e64 s16, 0, v21
	v_ashrrev_i32_e32 v20, 31, v20
	v_not_b32_e32 v21, v22
	s_delay_alu instid0(VALU_DEP_4) | instskip(NEXT) | instid1(VALU_DEP_3)
	v_and_b32_e32 v19, exec_lo, v19
	v_xor_b32_e32 v20, s16, v20
	v_cmp_gt_i32_e64 s16, 0, v22
	s_delay_alu instid0(VALU_DEP_4) | instskip(SKIP_1) | instid1(VALU_DEP_4)
	v_ashrrev_i32_e32 v21, 31, v21
	v_not_b32_e32 v22, v23
	v_and_b32_e32 v19, v19, v20
	v_lshlrev_b32_e32 v20, 27, v18
	s_delay_alu instid0(VALU_DEP_4) | instskip(SKIP_2) | instid1(VALU_DEP_4)
	v_xor_b32_e32 v21, s16, v21
	v_cmp_gt_i32_e64 s16, 0, v23
	v_ashrrev_i32_e32 v22, 31, v22
	v_not_b32_e32 v23, v20
	s_delay_alu instid0(VALU_DEP_4) | instskip(SKIP_1) | instid1(VALU_DEP_4)
	v_and_b32_e32 v19, v19, v21
	v_lshlrev_b32_e32 v21, 26, v18
	v_xor_b32_e32 v22, s16, v22
	v_cmp_gt_i32_e64 s16, 0, v20
	v_ashrrev_i32_e32 v20, 31, v23
	s_delay_alu instid0(VALU_DEP_4) | instskip(NEXT) | instid1(VALU_DEP_4)
	v_not_b32_e32 v23, v21
	v_and_b32_e32 v19, v19, v22
	v_lshlrev_b32_e32 v22, 25, v18
	s_delay_alu instid0(VALU_DEP_4)
	v_xor_b32_e32 v20, s16, v20
	v_cmp_gt_i32_e64 s16, 0, v21
	v_ashrrev_i32_e32 v21, 31, v23
	v_lshlrev_b32_e32 v18, 24, v18
	v_not_b32_e32 v23, v22
	v_and_b32_e32 v19, v19, v20
	s_delay_alu instid0(VALU_DEP_4) | instskip(SKIP_1) | instid1(VALU_DEP_4)
	v_xor_b32_e32 v20, s16, v21
	v_cmp_gt_i32_e64 s16, 0, v22
	v_ashrrev_i32_e32 v21, 31, v23
	v_not_b32_e32 v22, v18
	s_delay_alu instid0(VALU_DEP_4) | instskip(NEXT) | instid1(VALU_DEP_3)
	v_and_b32_e32 v19, v19, v20
	v_xor_b32_e32 v20, s16, v21
	v_cmp_gt_i32_e64 s16, 0, v18
	s_delay_alu instid0(VALU_DEP_4) | instskip(NEXT) | instid1(VALU_DEP_3)
	v_ashrrev_i32_e32 v18, 31, v22
	v_and_b32_e32 v19, v19, v20
	s_delay_alu instid0(VALU_DEP_2) | instskip(NEXT) | instid1(VALU_DEP_1)
	v_xor_b32_e32 v18, s16, v18
	v_and_b32_e32 v18, v19, v18
	s_delay_alu instid0(VALU_DEP_1) | instskip(SKIP_1) | instid1(VALU_DEP_2)
	v_mbcnt_lo_u32_b32 v149, v18, 0
	v_cmp_ne_u32_e64 s17, 0, v18
	v_cmp_eq_u32_e64 s16, 0, v149
	s_delay_alu instid0(VALU_DEP_1) | instskip(NEXT) | instid1(SALU_CYCLE_1)
	s_and_b32 s17, s17, s16
	s_and_saveexec_b32 s16, s17
	s_cbranch_execz .LBB1849_188
; %bb.187:                              ;   in Loop: Header=BB1849_172 Depth=1
	s_waitcnt vmcnt(0) lgkmcnt(0)
	v_bcnt_u32_b32 v18, v18, v148
	flat_store_b32 v[114:115], v18
.LBB1849_188:                           ;   in Loop: Header=BB1849_172 Depth=1
	s_or_b32 exec_lo, exec_lo, s16
	; wave barrier
	s_waitcnt vmcnt(0) lgkmcnt(0)
	s_waitcnt_vscnt null, 0x0
	s_barrier
	buffer_gl0_inv
	s_clause 0x1
	flat_load_b128 v[22:25], v[8:9] offset:32
	flat_load_b128 v[18:21], v[30:31] offset:16
	s_waitcnt vmcnt(1) lgkmcnt(1)
	v_add_nc_u32_e32 v117, v23, v22
	s_delay_alu instid0(VALU_DEP_1) | instskip(SKIP_1) | instid1(VALU_DEP_1)
	v_add3_u32 v117, v117, v24, v25
	s_waitcnt vmcnt(0) lgkmcnt(0)
	v_add3_u32 v117, v117, v18, v19
	s_delay_alu instid0(VALU_DEP_1) | instskip(NEXT) | instid1(VALU_DEP_1)
	v_add3_u32 v21, v117, v20, v21
	v_mov_b32_dpp v117, v21 row_shr:1 row_mask:0xf bank_mask:0xf
	s_delay_alu instid0(VALU_DEP_1) | instskip(NEXT) | instid1(VALU_DEP_1)
	v_cndmask_b32_e64 v117, v117, 0, vcc_lo
	v_add_nc_u32_e32 v21, v117, v21
	s_delay_alu instid0(VALU_DEP_1) | instskip(NEXT) | instid1(VALU_DEP_1)
	v_mov_b32_dpp v117, v21 row_shr:2 row_mask:0xf bank_mask:0xf
	v_cndmask_b32_e64 v117, 0, v117, s0
	s_delay_alu instid0(VALU_DEP_1) | instskip(NEXT) | instid1(VALU_DEP_1)
	v_add_nc_u32_e32 v21, v21, v117
	v_mov_b32_dpp v117, v21 row_shr:4 row_mask:0xf bank_mask:0xf
	s_delay_alu instid0(VALU_DEP_1) | instskip(NEXT) | instid1(VALU_DEP_1)
	v_cndmask_b32_e64 v117, 0, v117, s1
	v_add_nc_u32_e32 v21, v21, v117
	s_delay_alu instid0(VALU_DEP_1) | instskip(NEXT) | instid1(VALU_DEP_1)
	v_mov_b32_dpp v117, v21 row_shr:8 row_mask:0xf bank_mask:0xf
	v_cndmask_b32_e64 v117, 0, v117, s2
	s_delay_alu instid0(VALU_DEP_1) | instskip(SKIP_3) | instid1(VALU_DEP_1)
	v_add_nc_u32_e32 v21, v21, v117
	ds_swizzle_b32 v117, v21 offset:swizzle(BROADCAST,32,15)
	s_waitcnt lgkmcnt(0)
	v_cndmask_b32_e64 v117, v117, 0, s3
	v_add_nc_u32_e32 v21, v21, v117
	s_and_saveexec_b32 s16, s4
	s_cbranch_execz .LBB1849_190
; %bb.189:                              ;   in Loop: Header=BB1849_172 Depth=1
	flat_store_b32 v[32:33], v21
.LBB1849_190:                           ;   in Loop: Header=BB1849_172 Depth=1
	s_or_b32 exec_lo, exec_lo, s16
	s_waitcnt lgkmcnt(0)
	s_waitcnt_vscnt null, 0x0
	s_barrier
	buffer_gl0_inv
	s_and_saveexec_b32 s16, s5
	s_cbranch_execz .LBB1849_192
; %bb.191:                              ;   in Loop: Header=BB1849_172 Depth=1
	flat_load_b32 v117, v[35:36]
	s_waitcnt vmcnt(0) lgkmcnt(0)
	v_mov_b32_dpp v119, v117 row_shr:1 row_mask:0xf bank_mask:0xf
	s_delay_alu instid0(VALU_DEP_1) | instskip(NEXT) | instid1(VALU_DEP_1)
	v_cndmask_b32_e64 v119, v119, 0, s11
	v_add_nc_u32_e32 v117, v119, v117
	s_delay_alu instid0(VALU_DEP_1) | instskip(NEXT) | instid1(VALU_DEP_1)
	v_mov_b32_dpp v119, v117 row_shr:2 row_mask:0xf bank_mask:0xf
	v_cndmask_b32_e64 v119, 0, v119, s14
	s_delay_alu instid0(VALU_DEP_1) | instskip(NEXT) | instid1(VALU_DEP_1)
	v_add_nc_u32_e32 v117, v117, v119
	v_mov_b32_dpp v119, v117 row_shr:4 row_mask:0xf bank_mask:0xf
	s_delay_alu instid0(VALU_DEP_1) | instskip(NEXT) | instid1(VALU_DEP_1)
	v_cndmask_b32_e64 v119, 0, v119, s15
	v_add_nc_u32_e32 v117, v117, v119
	flat_store_b32 v[35:36], v117
.LBB1849_192:                           ;   in Loop: Header=BB1849_172 Depth=1
	s_or_b32 exec_lo, exec_lo, s16
	v_mov_b32_e32 v117, 0
	s_waitcnt lgkmcnt(0)
	s_waitcnt_vscnt null, 0x0
	s_barrier
	buffer_gl0_inv
	s_and_saveexec_b32 s16, s6
	s_cbranch_execz .LBB1849_194
; %bb.193:                              ;   in Loop: Header=BB1849_172 Depth=1
	flat_load_b32 v117, v[48:49]
.LBB1849_194:                           ;   in Loop: Header=BB1849_172 Depth=1
	s_or_b32 exec_lo, exec_lo, s16
	s_waitcnt vmcnt(0) lgkmcnt(0)
	v_add_nc_u32_e32 v21, v117, v21
	v_dual_mov_b32 v129, v5 :: v_dual_add_nc_u32 v10, 8, v10
	v_mov_b32_e32 v119, v5
	s_mov_b32 s18, -1
	ds_bpermute_b32 v21, v162, v21
	s_waitcnt lgkmcnt(0)
	v_cndmask_b32_e64 v21, v21, v117, s7
	v_mov_b32_e32 v117, v5
	s_delay_alu instid0(VALU_DEP_2) | instskip(NEXT) | instid1(VALU_DEP_1)
	v_cndmask_b32_e64 v21, v21, 0, s10
	v_add_nc_u32_e32 v22, v21, v22
	s_delay_alu instid0(VALU_DEP_1) | instskip(NEXT) | instid1(VALU_DEP_1)
	v_add_nc_u32_e32 v23, v22, v23
	v_add_nc_u32_e32 v24, v23, v24
	s_delay_alu instid0(VALU_DEP_1) | instskip(NEXT) | instid1(VALU_DEP_1)
	v_add_nc_u32_e32 v180, v24, v25
	;; [unrolled: 3-line block ×3, first 2 shown]
	v_add_nc_u32_e32 v183, v182, v20
	s_clause 0x1
	flat_store_b128 v[8:9], v[21:24] offset:32
	flat_store_b128 v[30:31], v[180:183] offset:16
	s_waitcnt lgkmcnt(0)
	s_waitcnt_vscnt null, 0x0
	s_barrier
	buffer_gl0_inv
	s_clause 0x7
	flat_load_b32 v18, v[84:85]
	flat_load_b32 v19, v[86:87]
	;; [unrolled: 1-line block ×8, first 2 shown]
	v_mov_b32_e32 v101, v5
	v_mov_b32_e32 v115, v5
	;; [unrolled: 1-line block ×4, first 2 shown]
	v_cmp_lt_u32_e64 s16, v10, v11
	s_waitcnt vmcnt(0) lgkmcnt(0)
	s_waitcnt_vscnt null, 0x0
                                        ; implicit-def: $vgpr181
                                        ; implicit-def: $vgpr180
	s_waitcnt vmcnt(7) lgkmcnt(7)
	v_add_nc_u32_e32 v4, v18, v4
	s_waitcnt vmcnt(6) lgkmcnt(6)
	v_add3_u32 v112, v118, v116, v19
	s_waitcnt vmcnt(5) lgkmcnt(5)
	v_add3_u32 v100, v130, v128, v20
	;; [unrolled: 2-line block ×4, first 2 shown]
	v_lshlrev_b64 v[18:19], 1, v[4:5]
	v_lshlrev_b64 v[20:21], 1, v[112:113]
	s_waitcnt vmcnt(2) lgkmcnt(2)
	v_add3_u32 v116, v145, v144, v23
	v_lshlrev_b64 v[22:23], 1, v[100:101]
	s_waitcnt vmcnt(0) lgkmcnt(0)
	v_add3_u32 v128, v149, v148, v25
	v_add3_u32 v118, v147, v146, v24
	v_add_co_u32 v150, s17, v12, v18
	s_delay_alu instid0(VALU_DEP_1) | instskip(SKIP_2) | instid1(VALU_DEP_1)
	v_add_co_ci_u32_e64 v151, s17, v13, v19, s17
	v_lshlrev_b64 v[24:25], 1, v[102:103]
	v_add_co_u32 v160, s17, v12, v20
	v_add_co_ci_u32_e64 v161, s17, v13, v21, s17
	v_lshlrev_b64 v[84:85], 1, v[114:115]
	v_lshlrev_b64 v[98:99], 1, v[128:129]
	v_add_co_u32 v129, s17, v12, v22
	s_delay_alu instid0(VALU_DEP_1) | instskip(SKIP_2) | instid1(VALU_DEP_1)
	v_add_co_ci_u32_e64 v130, s17, v13, v23, s17
	v_lshlrev_b64 v[86:87], 1, v[116:117]
	v_add_co_u32 v131, s17, v12, v24
	v_add_co_ci_u32_e64 v132, s17, v13, v25, s17
	v_lshlrev_b64 v[96:97], 1, v[118:119]
	v_add_co_u32 v133, s17, v12, v84
	s_delay_alu instid0(VALU_DEP_1) | instskip(SKIP_1) | instid1(VALU_DEP_1)
	v_add_co_ci_u32_e64 v134, s17, v13, v85, s17
	v_add_co_u32 v144, s17, v12, v86
	v_add_co_ci_u32_e64 v145, s17, v13, v87, s17
	v_add_co_u32 v146, s17, v12, v96
	s_delay_alu instid0(VALU_DEP_1) | instskip(SKIP_1) | instid1(VALU_DEP_1)
	v_add_co_ci_u32_e64 v147, s17, v13, v97, s17
	v_add_co_u32 v148, s17, v12, v98
	v_add_co_ci_u32_e64 v149, s17, v13, v99, s17
                                        ; implicit-def: $vgpr20_vgpr21
                                        ; implicit-def: $vgpr24_vgpr25
                                        ; implicit-def: $vgpr84_vgpr85
                                        ; implicit-def: $vgpr86_vgpr87
                                        ; implicit-def: $vgpr96_vgpr97
                                        ; implicit-def: $vgpr98_vgpr99
                                        ; implicit-def: $vgpr18_vgpr19
                                        ; implicit-def: $vgpr22_vgpr23
                                        ; implicit-def: $vgpr101
                                        ; implicit-def: $vgpr113
                                        ; implicit-def: $vgpr103
                                        ; implicit-def: $vgpr115
                                        ; implicit-def: $vgpr117
                                        ; implicit-def: $vgpr119
	s_and_saveexec_b32 s17, s16
	s_cbranch_execz .LBB1849_171
; %bb.195:                              ;   in Loop: Header=BB1849_172 Depth=1
	v_mad_u64_u32 v[18:19], null, v4, 6, v[150:151]
	v_mad_u64_u32 v[20:21], null, v112, 6, v[160:161]
	;; [unrolled: 1-line block ×8, first 2 shown]
	s_barrier
	buffer_gl0_inv
	s_clause 0x7
	flat_store_b16 v[150:151], v164
	flat_store_b16 v[160:161], v166
	;; [unrolled: 1-line block ×8, first 2 shown]
	s_waitcnt lgkmcnt(0)
	s_waitcnt_vscnt null, 0x0
	s_barrier
	buffer_gl0_inv
	s_clause 0x7
	flat_load_u16 v181, v[37:38]
	flat_load_u16 v101, v[37:38] offset:64
	flat_load_u16 v113, v[37:38] offset:128
	;; [unrolled: 1-line block ×7, first 2 shown]
	s_waitcnt vmcnt(0) lgkmcnt(0)
	s_barrier
	buffer_gl0_inv
	s_clause 0x7
	flat_store_b64 v[18:19], v[70:71]
	flat_store_b64 v[20:21], v[68:69]
	;; [unrolled: 1-line block ×8, first 2 shown]
	s_waitcnt lgkmcnt(0)
	s_waitcnt_vscnt null, 0x0
	s_barrier
	buffer_gl0_inv
	s_clause 0x7
	flat_load_b64 v[20:21], v[50:51]
	flat_load_b64 v[24:25], v[50:51] offset:256
	flat_load_b64 v[84:85], v[50:51] offset:512
	;; [unrolled: 1-line block ×7, first 2 shown]
	v_add_nc_u32_e32 v163, -8, v163
	s_xor_b32 s18, exec_lo, -1
	s_waitcnt vmcnt(0) lgkmcnt(0)
	s_barrier
	buffer_gl0_inv
	s_branch .LBB1849_171
.LBB1849_196:
	flat_load_b64 v[22:23], v[4:5]
	s_or_b32 exec_lo, exec_lo, s19
                                        ; implicit-def: $vgpr18_vgpr19
	s_and_saveexec_b32 s19, s0
	s_cbranch_execz .LBB1849_36
.LBB1849_197:
	flat_load_b64 v[18:19], v[4:5] offset:256
	s_or_b32 exec_lo, exec_lo, s19
                                        ; implicit-def: $vgpr20_vgpr21
	s_and_saveexec_b32 s0, s1
	s_cbranch_execz .LBB1849_37
.LBB1849_198:
	flat_load_b64 v[20:21], v[4:5] offset:512
	s_or_b32 exec_lo, exec_lo, s0
                                        ; implicit-def: $vgpr24_vgpr25
	s_and_saveexec_b32 s0, s2
	s_cbranch_execz .LBB1849_38
.LBB1849_199:
	flat_load_b64 v[24:25], v[4:5] offset:768
	s_or_b32 exec_lo, exec_lo, s0
                                        ; implicit-def: $vgpr116_vgpr117
	s_and_saveexec_b32 s0, s3
	s_cbranch_execz .LBB1849_39
.LBB1849_200:
	flat_load_b64 v[116:117], v[4:5] offset:1024
	s_or_b32 exec_lo, exec_lo, s0
                                        ; implicit-def: $vgpr134_vgpr135
	s_and_saveexec_b32 s0, s4
	s_cbranch_execz .LBB1849_40
.LBB1849_201:
	flat_load_b64 v[134:135], v[4:5] offset:1280
	s_or_b32 exec_lo, exec_lo, s0
                                        ; implicit-def: $vgpr178_vgpr179
	s_and_saveexec_b32 s0, s5
	s_cbranch_execz .LBB1849_41
.LBB1849_202:
	flat_load_b64 v[178:179], v[4:5] offset:1536
	s_or_b32 exec_lo, exec_lo, s0
                                        ; implicit-def: $vgpr192_vgpr193
	s_and_saveexec_b32 s0, s6
	s_cbranch_execz .LBB1849_42
.LBB1849_203:
	flat_load_b64 v[192:193], v[4:5] offset:1792
	s_or_b32 exec_lo, exec_lo, s0
                                        ; implicit-def: $vgpr194_vgpr195
	s_and_saveexec_b32 s0, s7
	s_cbranch_execz .LBB1849_43
.LBB1849_204:
	flat_load_b64 v[194:195], v[4:5] offset:2048
	s_or_b32 exec_lo, exec_lo, s0
                                        ; implicit-def: $vgpr196_vgpr197
	s_and_saveexec_b32 s0, s10
	s_cbranch_execz .LBB1849_44
.LBB1849_205:
	flat_load_b64 v[196:197], v[4:5] offset:2304
	s_or_b32 exec_lo, exec_lo, s0
                                        ; implicit-def: $vgpr198_vgpr199
	s_and_saveexec_b32 s0, s11
	s_cbranch_execz .LBB1849_45
.LBB1849_206:
	flat_load_b64 v[198:199], v[4:5] offset:2560
	s_or_b32 exec_lo, exec_lo, s0
                                        ; implicit-def: $vgpr208_vgpr209
	s_and_saveexec_b32 s0, s14
	s_cbranch_execz .LBB1849_46
.LBB1849_207:
	flat_load_b64 v[208:209], v[4:5] offset:2816
	s_or_b32 exec_lo, exec_lo, s0
                                        ; implicit-def: $vgpr210_vgpr211
	s_and_saveexec_b32 s0, s15
	s_cbranch_execz .LBB1849_47
.LBB1849_208:
	flat_load_b64 v[210:211], v[4:5] offset:3072
	s_or_b32 exec_lo, exec_lo, s0
                                        ; implicit-def: $vgpr212_vgpr213
	s_and_saveexec_b32 s0, s16
	s_cbranch_execz .LBB1849_48
.LBB1849_209:
	flat_load_b64 v[212:213], v[4:5] offset:3328
	s_or_b32 exec_lo, exec_lo, s0
                                        ; implicit-def: $vgpr214_vgpr215
	s_and_saveexec_b32 s0, s17
	s_cbranch_execz .LBB1849_49
.LBB1849_210:
	flat_load_b64 v[214:215], v[4:5] offset:3584
	s_or_b32 exec_lo, exec_lo, s0
                                        ; implicit-def: $vgpr224_vgpr225
	s_and_saveexec_b32 s0, s18
	s_cbranch_execnz .LBB1849_50
	s_branch .LBB1849_51
.LBB1849_211:
	flat_store_b64 v[0:1], v[48:49]
	s_or_b32 exec_lo, exec_lo, s19
	s_and_saveexec_b32 s19, s0
	s_cbranch_execz .LBB1849_127
.LBB1849_212:
	flat_store_b64 v[0:1], v[38:39] offset:2048
	s_or_b32 exec_lo, exec_lo, s19
	s_and_saveexec_b32 s0, s1
	s_cbranch_execz .LBB1849_128
.LBB1849_213:
	v_add_co_u32 v2, vcc_lo, 0x1000, v0
	v_add_co_ci_u32_e32 v3, vcc_lo, 0, v1, vcc_lo
	flat_store_b64 v[2:3], v[36:37]
	s_or_b32 exec_lo, exec_lo, s0
	s_and_saveexec_b32 s0, s2
	s_cbranch_execz .LBB1849_129
.LBB1849_214:
	v_add_co_u32 v2, vcc_lo, 0x1000, v0
	v_add_co_ci_u32_e32 v3, vcc_lo, 0, v1, vcc_lo
	flat_store_b64 v[2:3], v[34:35] offset:2048
	s_or_b32 exec_lo, exec_lo, s0
	s_and_saveexec_b32 s0, s3
	s_cbranch_execz .LBB1849_130
.LBB1849_215:
	v_add_co_u32 v2, vcc_lo, 0x2000, v0
	v_add_co_ci_u32_e32 v3, vcc_lo, 0, v1, vcc_lo
	flat_store_b64 v[2:3], v[32:33]
	s_or_b32 exec_lo, exec_lo, s0
	s_and_saveexec_b32 s0, s4
	s_cbranch_execz .LBB1849_131
.LBB1849_216:
	v_add_co_u32 v2, vcc_lo, 0x2000, v0
	v_add_co_ci_u32_e32 v3, vcc_lo, 0, v1, vcc_lo
	flat_store_b64 v[2:3], v[30:31] offset:2048
	s_or_b32 exec_lo, exec_lo, s0
	s_and_saveexec_b32 s0, s5
	s_cbranch_execz .LBB1849_132
.LBB1849_217:
	v_add_co_u32 v2, vcc_lo, 0x3000, v0
	v_add_co_ci_u32_e32 v3, vcc_lo, 0, v1, vcc_lo
	flat_store_b64 v[2:3], v[22:23]
	s_or_b32 exec_lo, exec_lo, s0
	s_and_saveexec_b32 s0, s6
	s_cbranch_execz .LBB1849_133
.LBB1849_218:
	v_add_co_u32 v2, vcc_lo, 0x3000, v0
	v_add_co_ci_u32_e32 v3, vcc_lo, 0, v1, vcc_lo
	flat_store_b64 v[2:3], v[18:19] offset:2048
	s_or_b32 exec_lo, exec_lo, s0
	s_and_saveexec_b32 s0, s7
	s_cbranch_execz .LBB1849_134
.LBB1849_219:
	v_add_co_u32 v2, vcc_lo, 0x4000, v0
	v_add_co_ci_u32_e32 v3, vcc_lo, 0, v1, vcc_lo
	flat_store_b64 v[2:3], v[24:25]
	s_or_b32 exec_lo, exec_lo, s0
	s_and_saveexec_b32 s0, s10
	s_cbranch_execz .LBB1849_135
.LBB1849_220:
	v_add_co_u32 v2, vcc_lo, 0x4000, v0
	v_add_co_ci_u32_e32 v3, vcc_lo, 0, v1, vcc_lo
	flat_store_b64 v[2:3], v[20:21] offset:2048
	s_or_b32 exec_lo, exec_lo, s0
	s_and_saveexec_b32 s0, s11
	s_cbranch_execz .LBB1849_136
.LBB1849_221:
	v_add_co_u32 v2, vcc_lo, 0x5000, v0
	v_add_co_ci_u32_e32 v3, vcc_lo, 0, v1, vcc_lo
	flat_store_b64 v[2:3], v[16:17]
	s_or_b32 exec_lo, exec_lo, s0
	s_and_saveexec_b32 s0, s14
	s_cbranch_execz .LBB1849_137
.LBB1849_222:
	v_add_co_u32 v2, vcc_lo, 0x5000, v0
	v_add_co_ci_u32_e32 v3, vcc_lo, 0, v1, vcc_lo
	flat_store_b64 v[2:3], v[14:15] offset:2048
	s_or_b32 exec_lo, exec_lo, s0
	s_and_saveexec_b32 s0, s15
	s_cbranch_execz .LBB1849_138
.LBB1849_223:
	v_add_co_u32 v2, vcc_lo, 0x6000, v0
	v_add_co_ci_u32_e32 v3, vcc_lo, 0, v1, vcc_lo
	flat_store_b64 v[2:3], v[12:13]
	s_or_b32 exec_lo, exec_lo, s0
	s_and_saveexec_b32 s0, s16
	s_cbranch_execz .LBB1849_139
.LBB1849_224:
	v_add_co_u32 v2, vcc_lo, 0x6000, v0
	v_add_co_ci_u32_e32 v3, vcc_lo, 0, v1, vcc_lo
	flat_store_b64 v[2:3], v[10:11] offset:2048
	s_or_b32 exec_lo, exec_lo, s0
	s_and_saveexec_b32 s0, s17
	s_cbranch_execz .LBB1849_140
.LBB1849_225:
	v_add_co_u32 v2, vcc_lo, 0x7000, v0
	v_add_co_ci_u32_e32 v3, vcc_lo, 0, v1, vcc_lo
	flat_store_b64 v[2:3], v[8:9]
	s_or_b32 exec_lo, exec_lo, s0
	s_and_saveexec_b32 s0, s18
	s_cbranch_execnz .LBB1849_141
	s_branch .LBB1849_142
.LBB1849_226:
	s_or_b32 exec_lo, exec_lo, s20
	v_lshlrev_b32_e32 v5, 1, v34
	v_mad_u64_u32 v[10:11], null, v4, 6, v[150:151]
	s_barrier
	buffer_gl0_inv
	v_add_co_u32 v8, vcc_lo, v12, v5
	v_mad_u64_u32 v[4:5], null, v112, 6, v[160:161]
	v_add_co_ci_u32_e32 v9, vcc_lo, 0, v13, vcc_lo
	s_clause 0x7
	flat_store_b16 v[150:151], v164
	flat_store_b16 v[160:161], v166
	;; [unrolled: 1-line block ×8, first 2 shown]
	s_waitcnt lgkmcnt(0)
	s_waitcnt_vscnt null, 0x0
	s_barrier
	buffer_gl0_inv
	s_clause 0x7
	flat_load_u16 v33, v[8:9]
	flat_load_u16 v32, v[8:9] offset:512
	flat_load_u16 v31, v[8:9] offset:1024
	;; [unrolled: 1-line block ×7, first 2 shown]
	s_waitcnt vmcnt(0) lgkmcnt(0)
	s_barrier
	buffer_gl0_inv
	s_clause 0x1
	flat_store_b64 v[10:11], v[70:71]
	flat_store_b64 v[4:5], v[68:69]
	v_mad_u64_u32 v[4:5], null, v100, 6, v[129:130]
	v_mad_u64_u32 v[10:11], null, v102, 6, v[131:132]
	v_mad_u64_u32 v[14:15], null, v114, 6, v[133:134]
	v_mad_u64_u32 v[16:17], null, v116, 6, v[144:145]
	s_clause 0x3
	flat_store_b64 v[4:5], v[66:67]
	flat_store_b64 v[10:11], v[64:65]
	;; [unrolled: 1-line block ×4, first 2 shown]
	v_mad_u64_u32 v[4:5], null, v34, 6, v[8:9]
	v_lshl_or_b32 v10, v34, 3, 0x2000
	v_mad_u64_u32 v[18:19], null, v118, 6, v[146:147]
	v_mad_u64_u32 v[20:21], null, v128, 6, v[148:149]
	s_clause 0x1
	flat_store_b64 v[18:19], v[80:81]
	flat_store_b64 v[20:21], v[82:83]
	v_add_co_u32 v8, vcc_lo, 0x1000, v4
	v_add_co_ci_u32_e32 v9, vcc_lo, 0, v5, vcc_lo
	v_add_co_u32 v10, vcc_lo, v12, v10
	v_add_co_ci_u32_e32 v11, vcc_lo, 0, v13, vcc_lo
	;; [unrolled: 2-line block ×3, first 2 shown]
	v_add_co_u32 v36, vcc_lo, 0x3000, v4
	s_waitcnt lgkmcnt(0)
	s_waitcnt_vscnt null, 0x0
	s_barrier
	buffer_gl0_inv
	v_add_co_ci_u32_e32 v37, vcc_lo, 0, v5, vcc_lo
	s_clause 0x7
	flat_load_b64 v[20:21], v[4:5]
	flat_load_b64 v[18:19], v[4:5] offset:2048
	flat_load_b64 v[16:17], v[8:9]
	flat_load_b64 v[14:15], v[8:9] offset:2048
	flat_load_b64 v[12:13], v[10:11]
	flat_load_b64 v[10:11], v[34:35] offset:2048
	flat_load_b64 v[8:9], v[36:37]
	flat_load_b64 v[4:5], v[36:37] offset:2048
	v_mov_b32_e32 v27, 0
	v_add_co_u32 v2, vcc_lo, v2, v28
	v_add_co_ci_u32_e32 v3, vcc_lo, v3, v29, vcc_lo
	s_delay_alu instid0(VALU_DEP_3)
	v_lshlrev_b64 v[34:35], 1, v[26:27]
	s_waitcnt vmcnt(0) lgkmcnt(0)
	s_barrier
	buffer_gl0_inv
	v_add_co_u32 v2, vcc_lo, v2, v34
	v_add_co_ci_u32_e32 v3, vcc_lo, v3, v35, vcc_lo
	v_cmp_lt_u32_e32 vcc_lo, v26, v47
	s_and_saveexec_b32 s1, vcc_lo
	s_cbranch_execz .LBB1849_228
; %bb.227:
	v_cmp_lt_i16_e64 s0, -1, v33
	s_delay_alu instid0(VALU_DEP_1) | instskip(NEXT) | instid1(VALU_DEP_1)
	v_cndmask_b32_e64 v28, 0xffff8000, -1, s0
	v_xor_b32_e32 v28, v28, v33
	flat_store_b16 v[2:3], v28
.LBB1849_228:
	s_or_b32 exec_lo, exec_lo, s1
	v_add_nc_u32_e32 v28, 0x100, v26
	s_delay_alu instid0(VALU_DEP_1) | instskip(NEXT) | instid1(VALU_DEP_1)
	v_cmp_lt_u32_e64 s0, v28, v47
	s_and_saveexec_b32 s2, s0
	s_cbranch_execz .LBB1849_230
; %bb.229:
	v_cmp_lt_i16_e64 s1, -1, v32
	s_delay_alu instid0(VALU_DEP_1) | instskip(NEXT) | instid1(VALU_DEP_1)
	v_cndmask_b32_e64 v28, 0xffff8000, -1, s1
	v_xor_b32_e32 v28, v28, v32
	flat_store_b16 v[2:3], v28 offset:512
.LBB1849_230:
	s_or_b32 exec_lo, exec_lo, s2
	v_add_nc_u32_e32 v28, 0x200, v26
	s_delay_alu instid0(VALU_DEP_1) | instskip(NEXT) | instid1(VALU_DEP_1)
	v_cmp_lt_u32_e64 s1, v28, v47
	s_and_saveexec_b32 s3, s1
	s_cbranch_execz .LBB1849_232
; %bb.231:
	v_cmp_lt_i16_e64 s2, -1, v31
	s_delay_alu instid0(VALU_DEP_1) | instskip(NEXT) | instid1(VALU_DEP_1)
	v_cndmask_b32_e64 v28, 0xffff8000, -1, s2
	v_xor_b32_e32 v28, v28, v31
	flat_store_b16 v[2:3], v28 offset:1024
.LBB1849_232:
	;; [unrolled: 13-line block ×7, first 2 shown]
	s_or_b32 exec_lo, exec_lo, s10
	v_lshlrev_b64 v[2:3], 3, v[26:27]
	v_add_co_u32 v0, s7, v6, v0
	s_delay_alu instid0(VALU_DEP_1) | instskip(NEXT) | instid1(VALU_DEP_2)
	v_add_co_ci_u32_e64 v1, s7, v7, v1, s7
	v_add_co_u32 v0, s7, v0, v2
	s_delay_alu instid0(VALU_DEP_1)
	v_add_co_ci_u32_e64 v1, s7, v1, v3, s7
	s_and_saveexec_b32 s7, vcc_lo
	s_cbranch_execnz .LBB1849_292
; %bb.243:
	s_or_b32 exec_lo, exec_lo, s7
	s_and_saveexec_b32 s7, s0
	s_cbranch_execnz .LBB1849_293
.LBB1849_244:
	s_or_b32 exec_lo, exec_lo, s7
	s_and_saveexec_b32 s0, s1
	s_cbranch_execnz .LBB1849_294
.LBB1849_245:
	s_or_b32 exec_lo, exec_lo, s0
	s_and_saveexec_b32 s0, s2
	s_cbranch_execnz .LBB1849_295
.LBB1849_246:
	s_or_b32 exec_lo, exec_lo, s0
	s_and_saveexec_b32 s0, s3
	s_cbranch_execnz .LBB1849_296
.LBB1849_247:
	s_or_b32 exec_lo, exec_lo, s0
	s_and_saveexec_b32 s0, s4
	s_cbranch_execnz .LBB1849_297
.LBB1849_248:
	s_or_b32 exec_lo, exec_lo, s0
	s_and_saveexec_b32 s0, s5
	s_cbranch_execnz .LBB1849_298
.LBB1849_249:
	s_or_b32 exec_lo, exec_lo, s0
	s_and_saveexec_b32 s0, s6
	s_cbranch_execz .LBB1849_251
.LBB1849_250:
	v_add_co_u32 v0, vcc_lo, 0x3000, v0
	v_add_co_ci_u32_e32 v1, vcc_lo, 0, v1, vcc_lo
	flat_store_b64 v[0:1], v[4:5] offset:2048
.LBB1849_251:
	s_or_b32 exec_lo, exec_lo, s0
                                        ; implicit-def: $vgpr47
                                        ; implicit-def: $vgpr0
                                        ; implicit-def: $vgpr1
                                        ; implicit-def: $vgpr2
                                        ; implicit-def: $vgpr3
                                        ; implicit-def: $vgpr4
                                        ; implicit-def: $vgpr5
                                        ; implicit-def: $vgpr6
                                        ; implicit-def: $vgpr7
                                        ; implicit-def: $vgpr8
                                        ; implicit-def: $vgpr10
                                        ; implicit-def: $vgpr11
                                        ; implicit-def: $vgpr12
                                        ; implicit-def: $vgpr13
                                        ; implicit-def: $vgpr14
                                        ; implicit-def: $vgpr15
                                        ; implicit-def: $vgpr34
                                        ; implicit-def: $vgpr16
.LBB1849_252:
	s_and_not1_saveexec_b32 s0, s19
	s_cbranch_execz .LBB1849_372
; %bb.253:
	s_mov_b32 s0, exec_lo
	v_cmpx_lt_u32_e32 0x200, v47
	s_xor_b32 s19, exec_lo, s0
	s_cbranch_execz .LBB1849_313
; %bb.254:
	s_load_b64 s[0:1], s[8:9], 0x0
	v_mov_b32_e32 v9, 0
	s_waitcnt lgkmcnt(0)
	s_cmp_lt_u32 s13, s1
	s_cselect_b32 s1, 14, 20
	s_delay_alu instid0(SALU_CYCLE_1) | instskip(SKIP_4) | instid1(SALU_CYCLE_1)
	s_add_u32 s2, s8, s1
	s_addc_u32 s3, s9, 0
	s_cmp_lt_u32 s12, s0
	global_load_u16 v17, v9, s[2:3]
	s_cselect_b32 s0, 12, 18
	s_add_u32 s0, s8, s0
	s_addc_u32 s1, s9, 0
	global_load_u16 v18, v9, s[0:1]
	s_waitcnt vmcnt(1)
	v_mad_u32_u24 v14, v15, v17, v14
	v_mov_b32_e32 v17, 0x7fff
	s_waitcnt vmcnt(0)
	s_delay_alu instid0(VALU_DEP_2) | instskip(SKIP_1) | instid1(VALU_DEP_2)
	v_mad_u64_u32 v[35:36], null, v14, v18, v[34:35]
	v_lshlrev_b32_e32 v18, 1, v16
	v_lshlrev_b32_e32 v14, 2, v35
	v_lshlrev_b64 v[37:38], 1, v[8:9]
	s_delay_alu instid0(VALU_DEP_2) | instskip(NEXT) | instid1(VALU_DEP_2)
	v_dual_mov_b32 v15, v9 :: v_dual_and_b32 v14, 0xffffff80, v14
	v_add_co_u32 v19, vcc_lo, v0, v37
	s_delay_alu instid0(VALU_DEP_3) | instskip(NEXT) | instid1(VALU_DEP_3)
	v_add_co_ci_u32_e32 v20, vcc_lo, v1, v38, vcc_lo
	v_lshlrev_b64 v[0:1], 1, v[14:15]
	s_delay_alu instid0(VALU_DEP_3) | instskip(SKIP_1) | instid1(VALU_DEP_4)
	v_add_co_u32 v18, vcc_lo, v19, v18
	v_or_b32_e32 v21, v14, v16
	v_add_co_ci_u32_e32 v19, vcc_lo, 0, v20, vcc_lo
	s_delay_alu instid0(VALU_DEP_3) | instskip(NEXT) | instid1(VALU_DEP_3)
	v_add_co_u32 v0, vcc_lo, v18, v0
	v_cmp_lt_u32_e64 s1, v21, v47
	s_delay_alu instid0(VALU_DEP_3) | instskip(SKIP_1) | instid1(VALU_DEP_3)
	v_add_co_ci_u32_e32 v1, vcc_lo, v19, v1, vcc_lo
	v_mov_b32_e32 v18, 0x7fff
	s_and_saveexec_b32 s0, s1
	s_cbranch_execz .LBB1849_256
; %bb.255:
	flat_load_u16 v18, v[0:1]
.LBB1849_256:
	s_or_b32 exec_lo, exec_lo, s0
	v_or_b32_e32 v19, 32, v21
	s_delay_alu instid0(VALU_DEP_1) | instskip(NEXT) | instid1(VALU_DEP_1)
	v_cmp_lt_u32_e64 s2, v19, v47
	s_and_saveexec_b32 s0, s2
	s_cbranch_execz .LBB1849_258
; %bb.257:
	flat_load_u16 v17, v[0:1] offset:64
.LBB1849_258:
	s_or_b32 exec_lo, exec_lo, s0
	v_or_b32_e32 v20, 64, v21
	v_mov_b32_e32 v19, 0x7fff
	s_delay_alu instid0(VALU_DEP_2) | instskip(SKIP_1) | instid1(VALU_DEP_2)
	v_cmp_lt_u32_e64 s0, v20, v47
	v_mov_b32_e32 v20, 0x7fff
	s_and_saveexec_b32 s3, s0
	s_cbranch_execz .LBB1849_260
; %bb.259:
	flat_load_u16 v20, v[0:1] offset:128
.LBB1849_260:
	s_or_b32 exec_lo, exec_lo, s3
	v_or_b32_e32 v21, 0x60, v21
	s_delay_alu instid0(VALU_DEP_1)
	v_cmp_lt_u32_e32 vcc_lo, v21, v47
	s_and_saveexec_b32 s3, vcc_lo
	s_cbranch_execz .LBB1849_262
; %bb.261:
	flat_load_u16 v19, v[0:1] offset:192
.LBB1849_262:
	s_or_b32 exec_lo, exec_lo, s3
	v_lshlrev_b64 v[0:1], 3, v[8:9]
	v_lshlrev_b32_e32 v8, 3, v16
                                        ; implicit-def: $vgpr22_vgpr23_vgpr24_vgpr25_vgpr26_vgpr27_vgpr28_vgpr29
	s_delay_alu instid0(VALU_DEP_2) | instskip(NEXT) | instid1(VALU_DEP_1)
	v_add_co_u32 v9, s3, v4, v0
	v_add_co_ci_u32_e64 v21, s3, v5, v1, s3
	v_lshlrev_b64 v[4:5], 3, v[14:15]
	s_delay_alu instid0(VALU_DEP_3) | instskip(NEXT) | instid1(VALU_DEP_1)
	v_add_co_u32 v8, s3, v9, v8
	v_add_co_ci_u32_e64 v9, s3, 0, v21, s3
	s_delay_alu instid0(VALU_DEP_2) | instskip(NEXT) | instid1(VALU_DEP_1)
	v_add_co_u32 v4, s3, v8, v4
	v_add_co_ci_u32_e64 v5, s3, v9, v5, s3
	s_and_saveexec_b32 s3, s1
	s_cbranch_execnz .LBB1849_337
; %bb.263:
	s_or_b32 exec_lo, exec_lo, s3
	s_and_saveexec_b32 s1, s2
	s_cbranch_execnz .LBB1849_338
.LBB1849_264:
	s_or_b32 exec_lo, exec_lo, s1
	s_and_saveexec_b32 s1, s0
	s_cbranch_execnz .LBB1849_339
.LBB1849_265:
	s_or_b32 exec_lo, exec_lo, s1
	s_and_saveexec_b32 s0, vcc_lo
	s_cbranch_execz .LBB1849_267
.LBB1849_266:
	flat_load_b64 v[28:29], v[4:5] offset:768
.LBB1849_267:
	s_or_b32 exec_lo, exec_lo, s0
	s_waitcnt vmcnt(0) lgkmcnt(0)
	v_cmp_lt_i16_e32 vcc_lo, -1, v18
	s_mov_b32 s20, 0
	s_getpc_b64 s[0:1]
	s_add_u32 s0, s0, _ZN7rocprim17ROCPRIM_400000_NS16block_radix_sortI6__halfLj256ELj4ElLj1ELj1ELj8ELNS0_26block_radix_rank_algorithmE2ELNS0_18block_padding_hintE2ELNS0_4arch9wavefront6targetE0EE19radix_bits_per_passE@rel32@lo+4
	s_addc_u32 s1, s1, _ZN7rocprim17ROCPRIM_400000_NS16block_radix_sortI6__halfLj256ELj4ElLj1ELj1ELj8ELNS0_26block_radix_rank_algorithmE2ELNS0_18block_padding_hintE2ELNS0_4arch9wavefront6targetE0EE19radix_bits_per_passE@rel32@hi+12
	s_mov_b32 s21, s20
	s_mov_b32 s22, s20
	v_cndmask_b32_e64 v4, -1, 0xffff8000, vcc_lo
	v_cmp_lt_i16_e32 vcc_lo, -1, v17
	s_mov_b32 s23, s20
	s_delay_alu instid0(SALU_CYCLE_1) | instskip(NEXT) | instid1(VALU_DEP_3)
	v_dual_mov_b32 v33, s23 :: v_dual_and_b32 v14, 15, v16
	v_xor_b32_e32 v113, v4, v18
	v_cndmask_b32_e64 v5, -1, 0xffff8000, vcc_lo
	v_cmp_lt_i16_e32 vcc_lo, -1, v20
	v_lshlrev_b32_e32 v4, 5, v34
	v_dual_mov_b32 v32, s22 :: v_dual_and_b32 v15, 0x3e0, v34
	s_delay_alu instid0(VALU_DEP_4)
	v_xor_b32_e32 v69, v5, v17
	v_cndmask_b32_e64 v8, -1, 0xffff8000, vcc_lo
	v_cmp_lt_i16_e32 vcc_lo, -1, v19
	v_add_nc_u32_e32 v17, -1, v16
	v_mov_b32_e32 v5, 0
	s_load_b32 s25, s[0:1], 0x0
	v_xor_b32_e32 v71, v8, v20
	v_cndmask_b32_e64 v9, -1, 0xffff8000, vcc_lo
	v_add_co_u32 v36, vcc_lo, v12, 32
	v_add_co_ci_u32_e32 v39, vcc_lo, 0, v13, vcc_lo
	v_add_co_u32 v8, vcc_lo, v12, v4
	v_cmp_gt_i32_e64 s4, 0, v17
	v_xor_b32_e32 v112, v9, v19
	v_add_co_ci_u32_e32 v9, vcc_lo, 0, v13, vcc_lo
	v_add_co_u32 v48, vcc_lo, v36, v4
	v_add_co_ci_u32_e32 v49, vcc_lo, 0, v39, vcc_lo
	v_cmp_eq_u32_e32 vcc_lo, 0, v14
	v_cmp_lt_u32_e64 s0, 1, v14
	v_cmp_lt_u32_e64 s1, 3, v14
	;; [unrolled: 1-line block ×3, first 2 shown]
	v_cndmask_b32_e64 v14, v17, v16, s4
	v_min_u32_e32 v4, 0xe0, v15
	v_dual_mov_b32 v30, s20 :: v_dual_and_b32 v15, 16, v16
	v_cmp_eq_u32_e64 s7, 0, v16
	s_delay_alu instid0(VALU_DEP_4)
	v_dual_mov_b32 v31, s21 :: v_dual_lshlrev_b32 v98, 2, v14
	v_lshlrev_b32_e32 v14, 2, v34
	v_or_b32_e32 v4, 31, v4
	v_cmp_eq_u32_e64 s3, 0, v15
	v_lshrrev_b32_e32 v15, 5, v34
	v_and_b32_e32 v17, 7, v16
	v_and_or_b32 v16, 0xf80, v14, v16
	v_cmp_eq_u32_e64 s4, v4, v34
	v_lshrrev_b32_e32 v87, 5, v35
	v_lshlrev_b32_e32 v4, 2, v15
	v_cmp_gt_u32_e64 s5, 8, v34
	v_lshlrev_b32_e32 v18, 1, v16
	v_cmp_lt_u32_e64 s6, 31, v34
	v_cmp_eq_u32_e64 s10, 0, v34
	v_add_co_u32 v50, s11, v12, v4
	v_add_nc_u32_e32 v4, -1, v15
	v_add_co_u32 v54, s16, v12, v18
	v_add_co_ci_u32_e64 v51, s11, 0, v13, s11
	v_add_co_u32 v52, s11, v12, v14
	s_delay_alu instid0(VALU_DEP_4) | instskip(SKIP_3) | instid1(VALU_DEP_3)
	v_lshlrev_b64 v[14:15], 2, v[4:5]
	v_add_co_ci_u32_e64 v55, s16, 0, v13, s16
	v_add_co_ci_u32_e64 v53, s11, 0, v13, s11
	v_cmp_eq_u32_e64 s11, 0, v17
	v_mad_u64_u32 v[66:67], null, v16, 6, v[54:55]
	v_add_co_u32 v64, s16, v12, v14
	v_cmp_lt_u32_e64 s14, 1, v17
	v_cmp_lt_u32_e64 s15, 3, v17
	v_add_co_ci_u32_e64 v65, s16, v13, v15, s16
	v_sub_nc_u32_e32 v99, v11, v10
	s_waitcnt lgkmcnt(0)
	s_waitcnt_vscnt null, 0x0
	s_barrier
	buffer_gl0_inv
	s_branch .LBB1849_269
.LBB1849_268:                           ;   in Loop: Header=BB1849_269 Depth=1
	s_or_b32 exec_lo, exec_lo, s17
	s_delay_alu instid0(SALU_CYCLE_1) | instskip(NEXT) | instid1(SALU_CYCLE_1)
	s_and_b32 s16, exec_lo, s18
	s_or_b32 s20, s16, s20
	s_delay_alu instid0(SALU_CYCLE_1)
	s_and_not1_b32 exec_lo, exec_lo, s20
	s_cbranch_execz .LBB1849_299
.LBB1849_269:                           ; =>This Inner Loop Header: Depth=1
	v_mov_b32_e32 v100, v113
	v_min_u32_e32 v4, s25, v99
	v_mov_b32_e32 v102, v71
	s_clause 0x1
	flat_store_b128 v[8:9], v[30:33] offset:32
	flat_store_b128 v[48:49], v[30:33] offset:16
	s_waitcnt lgkmcnt(0)
	s_waitcnt_vscnt null, 0x0
	v_cmp_ne_u16_e64 s16, 0x7fff, v100
	v_lshlrev_b32_e64 v4, v4, -1
	s_barrier
	buffer_gl0_inv
	v_cndmask_b32_e64 v14, 0xffff8000, v100, s16
	v_not_b32_e32 v82, v4
	; wave barrier
	v_mov_b32_e32 v103, v69
	s_delay_alu instid0(VALU_DEP_3) | instskip(NEXT) | instid1(VALU_DEP_1)
	v_dual_mov_b32 v101, v112 :: v_dual_and_b32 v14, 0xffff, v14
	v_lshrrev_b32_e32 v4, v10, v14
	s_delay_alu instid0(VALU_DEP_1) | instskip(NEXT) | instid1(VALU_DEP_1)
	v_and_b32_e32 v4, v4, v82
	v_and_b32_e32 v14, 1, v4
	v_lshlrev_b32_e32 v15, 30, v4
	v_lshlrev_b32_e32 v16, 29, v4
	;; [unrolled: 1-line block ×4, first 2 shown]
	v_add_co_u32 v14, s16, v14, -1
	s_delay_alu instid0(VALU_DEP_1)
	v_cndmask_b32_e64 v18, 0, 1, s16
	v_not_b32_e32 v68, v15
	v_cmp_gt_i32_e64 s17, 0, v15
	v_not_b32_e32 v15, v16
	v_lshlrev_b32_e32 v20, 26, v4
	v_cmp_ne_u32_e64 s16, 0, v18
	v_ashrrev_i32_e32 v68, 31, v68
	v_lshlrev_b32_e32 v21, 25, v4
	v_ashrrev_i32_e32 v15, 31, v15
	v_lshlrev_b32_e32 v18, 24, v4
	v_xor_b32_e32 v14, s16, v14
	v_cmp_gt_i32_e64 s16, 0, v16
	v_not_b32_e32 v16, v17
	v_xor_b32_e32 v68, s17, v68
	v_cmp_gt_i32_e64 s17, 0, v17
	v_and_b32_e32 v14, exec_lo, v14
	v_not_b32_e32 v17, v19
	v_ashrrev_i32_e32 v16, 31, v16
	v_xor_b32_e32 v15, s16, v15
	v_cmp_gt_i32_e64 s16, 0, v19
	v_and_b32_e32 v14, v14, v68
	v_not_b32_e32 v19, v20
	v_ashrrev_i32_e32 v17, 31, v17
	v_xor_b32_e32 v16, s17, v16
	v_cmp_gt_i32_e64 s17, 0, v20
	v_and_b32_e32 v14, v14, v15
	;; [unrolled: 5-line block ×4, first 2 shown]
	v_ashrrev_i32_e32 v16, 31, v16
	v_xor_b32_e32 v15, s16, v15
	s_delay_alu instid0(VALU_DEP_3) | instskip(NEXT) | instid1(VALU_DEP_3)
	v_and_b32_e32 v14, v14, v19
	v_xor_b32_e32 v68, s17, v16
	s_delay_alu instid0(VALU_DEP_2)
	v_and_b32_e32 v70, v14, v15
	v_dual_mov_b32 v14, v22 :: v_dual_mov_b32 v15, v23
	v_dual_mov_b32 v16, v24 :: v_dual_mov_b32 v17, v25
	;; [unrolled: 1-line block ×4, first 2 shown]
	v_lshlrev_b32_e32 v23, 3, v4
	v_and_b32_e32 v22, v70, v68
	s_delay_alu instid0(VALU_DEP_2) | instskip(NEXT) | instid1(VALU_DEP_2)
	v_add_lshl_u32 v23, v23, v87, 2
	v_mbcnt_lo_u32_b32 v4, v22, 0
	v_cmp_ne_u32_e64 s16, 0, v22
	s_delay_alu instid0(VALU_DEP_3) | instskip(NEXT) | instid1(VALU_DEP_3)
	v_add_co_u32 v68, s18, v36, v23
	v_cmp_eq_u32_e64 s17, 0, v4
	v_add_co_ci_u32_e64 v69, s18, 0, v39, s18
	s_delay_alu instid0(VALU_DEP_2) | instskip(NEXT) | instid1(SALU_CYCLE_1)
	s_and_b32 s17, s16, s17
	s_and_saveexec_b32 s16, s17
	s_cbranch_execz .LBB1849_271
; %bb.270:                              ;   in Loop: Header=BB1849_269 Depth=1
	v_bcnt_u32_b32 v22, v22, 0
	flat_store_b32 v[68:69], v22
.LBB1849_271:                           ;   in Loop: Header=BB1849_269 Depth=1
	s_or_b32 exec_lo, exec_lo, s16
	v_cmp_ne_u16_e64 s16, 0x7fff, v103
	; wave barrier
	s_delay_alu instid0(VALU_DEP_1) | instskip(NEXT) | instid1(VALU_DEP_1)
	v_cndmask_b32_e64 v22, 0xffff8000, v103, s16
	v_and_b32_e32 v22, 0xffff, v22
	s_delay_alu instid0(VALU_DEP_1) | instskip(NEXT) | instid1(VALU_DEP_1)
	v_lshrrev_b32_e32 v22, v10, v22
	v_and_b32_e32 v22, v22, v82
	s_delay_alu instid0(VALU_DEP_1) | instskip(SKIP_3) | instid1(VALU_DEP_4)
	v_lshlrev_b32_e32 v23, 3, v22
	v_lshlrev_b32_e32 v25, 30, v22
	;; [unrolled: 1-line block ×4, first 2 shown]
	v_add_lshl_u32 v23, v23, v87, 2
	s_delay_alu instid0(VALU_DEP_1) | instskip(NEXT) | instid1(VALU_DEP_1)
	v_add_co_u32 v70, s16, v36, v23
	v_add_co_ci_u32_e64 v71, s16, 0, v39, s16
	v_and_b32_e32 v23, 1, v22
	flat_load_b32 v84, v[70:71]
	v_add_co_u32 v23, s16, v23, -1
	s_delay_alu instid0(VALU_DEP_1) | instskip(NEXT) | instid1(VALU_DEP_1)
	v_cndmask_b32_e64 v24, 0, 1, s16
	; wave barrier
	v_cmp_ne_u32_e64 s16, 0, v24
	v_not_b32_e32 v24, v25
	s_delay_alu instid0(VALU_DEP_2) | instskip(SKIP_1) | instid1(VALU_DEP_3)
	v_xor_b32_e32 v23, s16, v23
	v_cmp_gt_i32_e64 s16, 0, v25
	v_ashrrev_i32_e32 v24, 31, v24
	v_not_b32_e32 v25, v26
	s_delay_alu instid0(VALU_DEP_4) | instskip(NEXT) | instid1(VALU_DEP_3)
	v_and_b32_e32 v23, exec_lo, v23
	v_xor_b32_e32 v24, s16, v24
	v_cmp_gt_i32_e64 s16, 0, v26
	s_delay_alu instid0(VALU_DEP_4) | instskip(SKIP_1) | instid1(VALU_DEP_4)
	v_ashrrev_i32_e32 v25, 31, v25
	v_not_b32_e32 v26, v27
	v_and_b32_e32 v23, v23, v24
	v_lshlrev_b32_e32 v24, 27, v22
	s_delay_alu instid0(VALU_DEP_4) | instskip(SKIP_2) | instid1(VALU_DEP_4)
	v_xor_b32_e32 v25, s16, v25
	v_cmp_gt_i32_e64 s16, 0, v27
	v_ashrrev_i32_e32 v26, 31, v26
	v_not_b32_e32 v27, v24
	s_delay_alu instid0(VALU_DEP_4) | instskip(SKIP_1) | instid1(VALU_DEP_4)
	v_and_b32_e32 v23, v23, v25
	v_lshlrev_b32_e32 v25, 26, v22
	v_xor_b32_e32 v26, s16, v26
	v_cmp_gt_i32_e64 s16, 0, v24
	v_ashrrev_i32_e32 v24, 31, v27
	s_delay_alu instid0(VALU_DEP_4) | instskip(NEXT) | instid1(VALU_DEP_4)
	v_not_b32_e32 v27, v25
	v_and_b32_e32 v23, v23, v26
	v_lshlrev_b32_e32 v26, 25, v22
	s_delay_alu instid0(VALU_DEP_4)
	v_xor_b32_e32 v24, s16, v24
	v_cmp_gt_i32_e64 s16, 0, v25
	v_ashrrev_i32_e32 v25, 31, v27
	v_lshlrev_b32_e32 v22, 24, v22
	v_not_b32_e32 v27, v26
	v_and_b32_e32 v23, v23, v24
	s_delay_alu instid0(VALU_DEP_4) | instskip(SKIP_1) | instid1(VALU_DEP_4)
	v_xor_b32_e32 v24, s16, v25
	v_cmp_gt_i32_e64 s16, 0, v26
	v_ashrrev_i32_e32 v25, 31, v27
	v_not_b32_e32 v26, v22
	s_delay_alu instid0(VALU_DEP_4) | instskip(NEXT) | instid1(VALU_DEP_3)
	v_and_b32_e32 v23, v23, v24
	v_xor_b32_e32 v24, s16, v25
	v_cmp_gt_i32_e64 s16, 0, v22
	s_delay_alu instid0(VALU_DEP_4) | instskip(NEXT) | instid1(VALU_DEP_3)
	v_ashrrev_i32_e32 v22, 31, v26
	v_and_b32_e32 v23, v23, v24
	s_delay_alu instid0(VALU_DEP_2) | instskip(NEXT) | instid1(VALU_DEP_1)
	v_xor_b32_e32 v22, s16, v22
	v_and_b32_e32 v22, v23, v22
	s_delay_alu instid0(VALU_DEP_1) | instskip(SKIP_1) | instid1(VALU_DEP_2)
	v_mbcnt_lo_u32_b32 v85, v22, 0
	v_cmp_ne_u32_e64 s17, 0, v22
	v_cmp_eq_u32_e64 s16, 0, v85
	s_delay_alu instid0(VALU_DEP_1) | instskip(NEXT) | instid1(SALU_CYCLE_1)
	s_and_b32 s17, s17, s16
	s_and_saveexec_b32 s16, s17
	s_cbranch_execz .LBB1849_273
; %bb.272:                              ;   in Loop: Header=BB1849_269 Depth=1
	s_waitcnt vmcnt(0) lgkmcnt(0)
	v_bcnt_u32_b32 v22, v22, v84
	flat_store_b32 v[70:71], v22
.LBB1849_273:                           ;   in Loop: Header=BB1849_269 Depth=1
	s_or_b32 exec_lo, exec_lo, s16
	v_cmp_ne_u16_e64 s16, 0x7fff, v102
	; wave barrier
	s_delay_alu instid0(VALU_DEP_1) | instskip(NEXT) | instid1(VALU_DEP_1)
	v_cndmask_b32_e64 v22, 0xffff8000, v102, s16
	v_and_b32_e32 v22, 0xffff, v22
	s_delay_alu instid0(VALU_DEP_1) | instskip(NEXT) | instid1(VALU_DEP_1)
	v_lshrrev_b32_e32 v22, v10, v22
	v_and_b32_e32 v22, v22, v82
	s_delay_alu instid0(VALU_DEP_1) | instskip(SKIP_3) | instid1(VALU_DEP_4)
	v_lshlrev_b32_e32 v23, 3, v22
	v_lshlrev_b32_e32 v25, 30, v22
	;; [unrolled: 1-line block ×4, first 2 shown]
	v_add_lshl_u32 v23, v23, v87, 2
	s_delay_alu instid0(VALU_DEP_1) | instskip(NEXT) | instid1(VALU_DEP_1)
	v_add_co_u32 v80, s16, v36, v23
	v_add_co_ci_u32_e64 v81, s16, 0, v39, s16
	v_and_b32_e32 v23, 1, v22
	flat_load_b32 v86, v[80:81]
	v_add_co_u32 v23, s16, v23, -1
	s_delay_alu instid0(VALU_DEP_1) | instskip(NEXT) | instid1(VALU_DEP_1)
	v_cndmask_b32_e64 v24, 0, 1, s16
	; wave barrier
	v_cmp_ne_u32_e64 s16, 0, v24
	v_not_b32_e32 v24, v25
	s_delay_alu instid0(VALU_DEP_2) | instskip(SKIP_1) | instid1(VALU_DEP_3)
	v_xor_b32_e32 v23, s16, v23
	v_cmp_gt_i32_e64 s16, 0, v25
	v_ashrrev_i32_e32 v24, 31, v24
	v_not_b32_e32 v25, v26
	s_delay_alu instid0(VALU_DEP_4) | instskip(NEXT) | instid1(VALU_DEP_3)
	v_and_b32_e32 v23, exec_lo, v23
	v_xor_b32_e32 v24, s16, v24
	v_cmp_gt_i32_e64 s16, 0, v26
	s_delay_alu instid0(VALU_DEP_4) | instskip(SKIP_1) | instid1(VALU_DEP_4)
	v_ashrrev_i32_e32 v25, 31, v25
	v_not_b32_e32 v26, v27
	v_and_b32_e32 v23, v23, v24
	v_lshlrev_b32_e32 v24, 27, v22
	s_delay_alu instid0(VALU_DEP_4) | instskip(SKIP_2) | instid1(VALU_DEP_4)
	v_xor_b32_e32 v25, s16, v25
	v_cmp_gt_i32_e64 s16, 0, v27
	v_ashrrev_i32_e32 v26, 31, v26
	v_not_b32_e32 v27, v24
	s_delay_alu instid0(VALU_DEP_4) | instskip(SKIP_1) | instid1(VALU_DEP_4)
	v_and_b32_e32 v23, v23, v25
	v_lshlrev_b32_e32 v25, 26, v22
	v_xor_b32_e32 v26, s16, v26
	v_cmp_gt_i32_e64 s16, 0, v24
	v_ashrrev_i32_e32 v24, 31, v27
	s_delay_alu instid0(VALU_DEP_4) | instskip(NEXT) | instid1(VALU_DEP_4)
	v_not_b32_e32 v27, v25
	v_and_b32_e32 v23, v23, v26
	v_lshlrev_b32_e32 v26, 25, v22
	s_delay_alu instid0(VALU_DEP_4)
	v_xor_b32_e32 v24, s16, v24
	v_cmp_gt_i32_e64 s16, 0, v25
	v_ashrrev_i32_e32 v25, 31, v27
	v_lshlrev_b32_e32 v22, 24, v22
	v_not_b32_e32 v27, v26
	v_and_b32_e32 v23, v23, v24
	s_delay_alu instid0(VALU_DEP_4) | instskip(SKIP_1) | instid1(VALU_DEP_4)
	v_xor_b32_e32 v24, s16, v25
	v_cmp_gt_i32_e64 s16, 0, v26
	v_ashrrev_i32_e32 v25, 31, v27
	v_not_b32_e32 v26, v22
	s_delay_alu instid0(VALU_DEP_4) | instskip(NEXT) | instid1(VALU_DEP_3)
	v_and_b32_e32 v23, v23, v24
	v_xor_b32_e32 v24, s16, v25
	v_cmp_gt_i32_e64 s16, 0, v22
	s_delay_alu instid0(VALU_DEP_4) | instskip(NEXT) | instid1(VALU_DEP_3)
	v_ashrrev_i32_e32 v22, 31, v26
	v_and_b32_e32 v23, v23, v24
	s_delay_alu instid0(VALU_DEP_2) | instskip(NEXT) | instid1(VALU_DEP_1)
	v_xor_b32_e32 v22, s16, v22
	v_and_b32_e32 v22, v23, v22
	s_delay_alu instid0(VALU_DEP_1) | instskip(SKIP_1) | instid1(VALU_DEP_2)
	v_mbcnt_lo_u32_b32 v96, v22, 0
	v_cmp_ne_u32_e64 s17, 0, v22
	v_cmp_eq_u32_e64 s16, 0, v96
	s_delay_alu instid0(VALU_DEP_1) | instskip(NEXT) | instid1(SALU_CYCLE_1)
	s_and_b32 s17, s17, s16
	s_and_saveexec_b32 s16, s17
	s_cbranch_execz .LBB1849_275
; %bb.274:                              ;   in Loop: Header=BB1849_269 Depth=1
	s_waitcnt vmcnt(0) lgkmcnt(0)
	v_bcnt_u32_b32 v22, v22, v86
	flat_store_b32 v[80:81], v22
.LBB1849_275:                           ;   in Loop: Header=BB1849_269 Depth=1
	s_or_b32 exec_lo, exec_lo, s16
	v_cmp_ne_u16_e64 s16, 0x7fff, v101
	; wave barrier
	s_delay_alu instid0(VALU_DEP_1) | instskip(NEXT) | instid1(VALU_DEP_1)
	v_cndmask_b32_e64 v22, 0xffff8000, v101, s16
	v_and_b32_e32 v22, 0xffff, v22
	s_delay_alu instid0(VALU_DEP_1) | instskip(NEXT) | instid1(VALU_DEP_1)
	v_lshrrev_b32_e32 v22, v10, v22
	v_and_b32_e32 v22, v22, v82
	s_delay_alu instid0(VALU_DEP_1) | instskip(SKIP_3) | instid1(VALU_DEP_4)
	v_lshlrev_b32_e32 v23, 3, v22
	v_lshlrev_b32_e32 v25, 30, v22
	;; [unrolled: 1-line block ×4, first 2 shown]
	v_add_lshl_u32 v23, v23, v87, 2
	s_delay_alu instid0(VALU_DEP_1) | instskip(NEXT) | instid1(VALU_DEP_1)
	v_add_co_u32 v82, s16, v36, v23
	v_add_co_ci_u32_e64 v83, s16, 0, v39, s16
	v_and_b32_e32 v23, 1, v22
	flat_load_b32 v97, v[82:83]
	v_add_co_u32 v23, s16, v23, -1
	s_delay_alu instid0(VALU_DEP_1) | instskip(NEXT) | instid1(VALU_DEP_1)
	v_cndmask_b32_e64 v24, 0, 1, s16
	; wave barrier
	v_cmp_ne_u32_e64 s16, 0, v24
	v_not_b32_e32 v24, v25
	s_delay_alu instid0(VALU_DEP_2) | instskip(SKIP_1) | instid1(VALU_DEP_3)
	v_xor_b32_e32 v23, s16, v23
	v_cmp_gt_i32_e64 s16, 0, v25
	v_ashrrev_i32_e32 v24, 31, v24
	v_not_b32_e32 v25, v26
	s_delay_alu instid0(VALU_DEP_4) | instskip(NEXT) | instid1(VALU_DEP_3)
	v_and_b32_e32 v23, exec_lo, v23
	v_xor_b32_e32 v24, s16, v24
	v_cmp_gt_i32_e64 s16, 0, v26
	s_delay_alu instid0(VALU_DEP_4) | instskip(SKIP_1) | instid1(VALU_DEP_4)
	v_ashrrev_i32_e32 v25, 31, v25
	v_not_b32_e32 v26, v27
	v_and_b32_e32 v23, v23, v24
	v_lshlrev_b32_e32 v24, 27, v22
	s_delay_alu instid0(VALU_DEP_4) | instskip(SKIP_2) | instid1(VALU_DEP_4)
	v_xor_b32_e32 v25, s16, v25
	v_cmp_gt_i32_e64 s16, 0, v27
	v_ashrrev_i32_e32 v26, 31, v26
	v_not_b32_e32 v27, v24
	s_delay_alu instid0(VALU_DEP_4) | instskip(SKIP_1) | instid1(VALU_DEP_4)
	v_and_b32_e32 v23, v23, v25
	v_lshlrev_b32_e32 v25, 26, v22
	v_xor_b32_e32 v26, s16, v26
	v_cmp_gt_i32_e64 s16, 0, v24
	v_ashrrev_i32_e32 v24, 31, v27
	s_delay_alu instid0(VALU_DEP_4) | instskip(NEXT) | instid1(VALU_DEP_4)
	v_not_b32_e32 v27, v25
	v_and_b32_e32 v23, v23, v26
	v_lshlrev_b32_e32 v26, 25, v22
	s_delay_alu instid0(VALU_DEP_4)
	v_xor_b32_e32 v24, s16, v24
	v_cmp_gt_i32_e64 s16, 0, v25
	v_ashrrev_i32_e32 v25, 31, v27
	v_lshlrev_b32_e32 v22, 24, v22
	v_not_b32_e32 v27, v26
	v_and_b32_e32 v23, v23, v24
	s_delay_alu instid0(VALU_DEP_4) | instskip(SKIP_1) | instid1(VALU_DEP_4)
	v_xor_b32_e32 v24, s16, v25
	v_cmp_gt_i32_e64 s16, 0, v26
	v_ashrrev_i32_e32 v25, 31, v27
	v_not_b32_e32 v26, v22
	s_delay_alu instid0(VALU_DEP_4) | instskip(NEXT) | instid1(VALU_DEP_3)
	v_and_b32_e32 v23, v23, v24
	v_xor_b32_e32 v24, s16, v25
	v_cmp_gt_i32_e64 s16, 0, v22
	s_delay_alu instid0(VALU_DEP_4) | instskip(NEXT) | instid1(VALU_DEP_3)
	v_ashrrev_i32_e32 v22, 31, v26
	v_and_b32_e32 v23, v23, v24
	s_delay_alu instid0(VALU_DEP_2) | instskip(NEXT) | instid1(VALU_DEP_1)
	v_xor_b32_e32 v22, s16, v22
	v_and_b32_e32 v22, v23, v22
	s_delay_alu instid0(VALU_DEP_1) | instskip(SKIP_1) | instid1(VALU_DEP_2)
	v_mbcnt_lo_u32_b32 v112, v22, 0
	v_cmp_ne_u32_e64 s17, 0, v22
	v_cmp_eq_u32_e64 s16, 0, v112
	s_delay_alu instid0(VALU_DEP_1) | instskip(NEXT) | instid1(SALU_CYCLE_1)
	s_and_b32 s17, s17, s16
	s_and_saveexec_b32 s16, s17
	s_cbranch_execz .LBB1849_277
; %bb.276:                              ;   in Loop: Header=BB1849_269 Depth=1
	s_waitcnt vmcnt(0) lgkmcnt(0)
	v_bcnt_u32_b32 v22, v22, v97
	flat_store_b32 v[82:83], v22
.LBB1849_277:                           ;   in Loop: Header=BB1849_269 Depth=1
	s_or_b32 exec_lo, exec_lo, s16
	; wave barrier
	s_waitcnt vmcnt(0) lgkmcnt(0)
	s_waitcnt_vscnt null, 0x0
	s_barrier
	buffer_gl0_inv
	s_clause 0x1
	flat_load_b128 v[26:29], v[8:9] offset:32
	flat_load_b128 v[22:25], v[48:49] offset:16
	s_waitcnt vmcnt(1) lgkmcnt(1)
	v_add_nc_u32_e32 v113, v27, v26
	s_delay_alu instid0(VALU_DEP_1) | instskip(SKIP_1) | instid1(VALU_DEP_1)
	v_add3_u32 v113, v113, v28, v29
	s_waitcnt vmcnt(0) lgkmcnt(0)
	v_add3_u32 v113, v113, v22, v23
	s_delay_alu instid0(VALU_DEP_1) | instskip(NEXT) | instid1(VALU_DEP_1)
	v_add3_u32 v25, v113, v24, v25
	v_mov_b32_dpp v113, v25 row_shr:1 row_mask:0xf bank_mask:0xf
	s_delay_alu instid0(VALU_DEP_1) | instskip(NEXT) | instid1(VALU_DEP_1)
	v_cndmask_b32_e64 v113, v113, 0, vcc_lo
	v_add_nc_u32_e32 v25, v113, v25
	s_delay_alu instid0(VALU_DEP_1) | instskip(NEXT) | instid1(VALU_DEP_1)
	v_mov_b32_dpp v113, v25 row_shr:2 row_mask:0xf bank_mask:0xf
	v_cndmask_b32_e64 v113, 0, v113, s0
	s_delay_alu instid0(VALU_DEP_1) | instskip(NEXT) | instid1(VALU_DEP_1)
	v_add_nc_u32_e32 v25, v25, v113
	v_mov_b32_dpp v113, v25 row_shr:4 row_mask:0xf bank_mask:0xf
	s_delay_alu instid0(VALU_DEP_1) | instskip(NEXT) | instid1(VALU_DEP_1)
	v_cndmask_b32_e64 v113, 0, v113, s1
	v_add_nc_u32_e32 v25, v25, v113
	s_delay_alu instid0(VALU_DEP_1) | instskip(NEXT) | instid1(VALU_DEP_1)
	v_mov_b32_dpp v113, v25 row_shr:8 row_mask:0xf bank_mask:0xf
	v_cndmask_b32_e64 v113, 0, v113, s2
	s_delay_alu instid0(VALU_DEP_1) | instskip(SKIP_3) | instid1(VALU_DEP_1)
	v_add_nc_u32_e32 v25, v25, v113
	ds_swizzle_b32 v113, v25 offset:swizzle(BROADCAST,32,15)
	s_waitcnt lgkmcnt(0)
	v_cndmask_b32_e64 v113, v113, 0, s3
	v_add_nc_u32_e32 v25, v25, v113
	s_and_saveexec_b32 s16, s4
	s_cbranch_execz .LBB1849_279
; %bb.278:                              ;   in Loop: Header=BB1849_269 Depth=1
	flat_store_b32 v[50:51], v25
.LBB1849_279:                           ;   in Loop: Header=BB1849_269 Depth=1
	s_or_b32 exec_lo, exec_lo, s16
	s_waitcnt lgkmcnt(0)
	s_waitcnt_vscnt null, 0x0
	s_barrier
	buffer_gl0_inv
	s_and_saveexec_b32 s16, s5
	s_cbranch_execz .LBB1849_281
; %bb.280:                              ;   in Loop: Header=BB1849_269 Depth=1
	flat_load_b32 v113, v[52:53]
	s_waitcnt vmcnt(0) lgkmcnt(0)
	v_mov_b32_dpp v114, v113 row_shr:1 row_mask:0xf bank_mask:0xf
	s_delay_alu instid0(VALU_DEP_1) | instskip(NEXT) | instid1(VALU_DEP_1)
	v_cndmask_b32_e64 v114, v114, 0, s11
	v_add_nc_u32_e32 v113, v114, v113
	s_delay_alu instid0(VALU_DEP_1) | instskip(NEXT) | instid1(VALU_DEP_1)
	v_mov_b32_dpp v114, v113 row_shr:2 row_mask:0xf bank_mask:0xf
	v_cndmask_b32_e64 v114, 0, v114, s14
	s_delay_alu instid0(VALU_DEP_1) | instskip(NEXT) | instid1(VALU_DEP_1)
	v_add_nc_u32_e32 v113, v113, v114
	v_mov_b32_dpp v114, v113 row_shr:4 row_mask:0xf bank_mask:0xf
	s_delay_alu instid0(VALU_DEP_1) | instskip(NEXT) | instid1(VALU_DEP_1)
	v_cndmask_b32_e64 v114, 0, v114, s15
	v_add_nc_u32_e32 v113, v113, v114
	flat_store_b32 v[52:53], v113
.LBB1849_281:                           ;   in Loop: Header=BB1849_269 Depth=1
	s_or_b32 exec_lo, exec_lo, s16
	v_mov_b32_e32 v113, 0
	s_waitcnt lgkmcnt(0)
	s_waitcnt_vscnt null, 0x0
	s_barrier
	buffer_gl0_inv
	s_and_saveexec_b32 s16, s6
	s_cbranch_execz .LBB1849_283
; %bb.282:                              ;   in Loop: Header=BB1849_269 Depth=1
	flat_load_b32 v113, v[64:65]
.LBB1849_283:                           ;   in Loop: Header=BB1849_269 Depth=1
	s_or_b32 exec_lo, exec_lo, s16
	s_waitcnt vmcnt(0) lgkmcnt(0)
	v_add_nc_u32_e32 v25, v113, v25
	v_add_nc_u32_e32 v10, 8, v10
	s_mov_b32 s18, -1
	ds_bpermute_b32 v25, v98, v25
	s_waitcnt lgkmcnt(0)
	v_cndmask_b32_e64 v25, v25, v113, s7
	s_delay_alu instid0(VALU_DEP_1) | instskip(NEXT) | instid1(VALU_DEP_1)
	v_cndmask_b32_e64 v25, v25, 0, s10
	v_add_nc_u32_e32 v26, v25, v26
	s_delay_alu instid0(VALU_DEP_1) | instskip(NEXT) | instid1(VALU_DEP_1)
	v_add_nc_u32_e32 v27, v26, v27
	v_add_nc_u32_e32 v28, v27, v28
	s_delay_alu instid0(VALU_DEP_1) | instskip(NEXT) | instid1(VALU_DEP_1)
	v_add_nc_u32_e32 v113, v28, v29
	;; [unrolled: 3-line block ×3, first 2 shown]
	v_add_nc_u32_e32 v116, v115, v24
	s_clause 0x1
	flat_store_b128 v[8:9], v[25:28] offset:32
	flat_store_b128 v[48:49], v[113:116] offset:16
	s_waitcnt lgkmcnt(0)
	s_waitcnt_vscnt null, 0x0
	s_barrier
	buffer_gl0_inv
	s_clause 0x3
	flat_load_b32 v22, v[68:69]
	flat_load_b32 v23, v[70:71]
	;; [unrolled: 1-line block ×4, first 2 shown]
	v_mov_b32_e32 v71, v5
	v_mov_b32_e32 v69, v5
	;; [unrolled: 1-line block ×3, first 2 shown]
	s_waitcnt vmcnt(0) lgkmcnt(0)
	s_waitcnt_vscnt null, 0x0
                                        ; implicit-def: $vgpr113
	s_waitcnt vmcnt(3) lgkmcnt(3)
	v_add_nc_u32_e32 v4, v22, v4
	s_waitcnt vmcnt(2) lgkmcnt(2)
	v_add3_u32 v68, v85, v84, v23
	s_waitcnt vmcnt(1) lgkmcnt(1)
	v_add3_u32 v70, v96, v86, v24
	;; [unrolled: 2-line block ×3, first 2 shown]
                                        ; implicit-def: $vgpr112
	v_lshlrev_b64 v[22:23], 1, v[4:5]
	v_lshlrev_b64 v[24:25], 1, v[68:69]
	v_lshlrev_b64 v[26:27], 1, v[70:71]
	s_delay_alu instid0(VALU_DEP_4) | instskip(NEXT) | instid1(VALU_DEP_4)
	v_lshlrev_b64 v[28:29], 1, v[80:81]
                                        ; implicit-def: $vgpr69
                                        ; implicit-def: $vgpr71
	v_add_co_u32 v96, s17, v12, v22
	s_delay_alu instid0(VALU_DEP_1) | instskip(SKIP_1) | instid1(VALU_DEP_1)
	v_add_co_ci_u32_e64 v97, s17, v13, v23, s17
	v_add_co_u32 v85, s17, v12, v24
	v_add_co_ci_u32_e64 v86, s17, v13, v25, s17
	v_add_co_u32 v83, s17, v12, v26
	s_delay_alu instid0(VALU_DEP_1) | instskip(SKIP_1) | instid1(VALU_DEP_1)
	v_add_co_ci_u32_e64 v84, s17, v13, v27, s17
	v_add_co_u32 v81, s17, v12, v28
	v_add_co_ci_u32_e64 v82, s17, v13, v29, s17
	s_mov_b32 s17, exec_lo
                                        ; implicit-def: $vgpr22_vgpr23_vgpr24_vgpr25_vgpr26_vgpr27_vgpr28_vgpr29
	v_cmpx_lt_u32_e64 v10, v11
	s_cbranch_execz .LBB1849_268
; %bb.284:                              ;   in Loop: Header=BB1849_269 Depth=1
	v_mad_u64_u32 v[22:23], null, v4, 6, v[96:97]
	v_mad_u64_u32 v[24:25], null, v68, 6, v[85:86]
	;; [unrolled: 1-line block ×4, first 2 shown]
	s_barrier
	buffer_gl0_inv
	s_clause 0x3
	flat_store_b16 v[96:97], v100
	flat_store_b16 v[85:86], v103
	;; [unrolled: 1-line block ×4, first 2 shown]
	s_waitcnt lgkmcnt(0)
	s_waitcnt_vscnt null, 0x0
	s_barrier
	buffer_gl0_inv
	s_clause 0x3
	flat_load_u16 v113, v[54:55]
	flat_load_u16 v69, v[54:55] offset:64
	flat_load_u16 v71, v[54:55] offset:128
	;; [unrolled: 1-line block ×3, first 2 shown]
	s_waitcnt vmcnt(0) lgkmcnt(0)
	s_barrier
	buffer_gl0_inv
	s_clause 0x3
	flat_store_b64 v[22:23], v[14:15]
	flat_store_b64 v[24:25], v[16:17]
	;; [unrolled: 1-line block ×4, first 2 shown]
	s_waitcnt lgkmcnt(0)
	s_waitcnt_vscnt null, 0x0
	s_barrier
	buffer_gl0_inv
	s_clause 0x3
	flat_load_b64 v[22:23], v[66:67]
	flat_load_b64 v[24:25], v[66:67] offset:256
	flat_load_b64 v[26:27], v[66:67] offset:512
	;; [unrolled: 1-line block ×3, first 2 shown]
	v_add_nc_u32_e32 v99, -8, v99
	s_xor_b32 s18, exec_lo, -1
	s_waitcnt vmcnt(0) lgkmcnt(0)
	s_barrier
	buffer_gl0_inv
	s_branch .LBB1849_268
.LBB1849_285:
	flat_load_b64 v[20:21], v[4:5]
	s_or_b32 exec_lo, exec_lo, s7
                                        ; implicit-def: $vgpr24_vgpr25
	s_and_saveexec_b32 s7, s0
	s_cbranch_execz .LBB1849_163
.LBB1849_286:
	flat_load_b64 v[24:25], v[4:5] offset:256
	s_or_b32 exec_lo, exec_lo, s7
                                        ; implicit-def: $vgpr84_vgpr85
	s_and_saveexec_b32 s0, s1
	s_cbranch_execz .LBB1849_164
.LBB1849_287:
	flat_load_b64 v[84:85], v[4:5] offset:512
	s_or_b32 exec_lo, exec_lo, s0
                                        ; implicit-def: $vgpr86_vgpr87
	s_and_saveexec_b32 s0, s2
	s_cbranch_execz .LBB1849_165
.LBB1849_288:
	flat_load_b64 v[86:87], v[4:5] offset:768
	s_or_b32 exec_lo, exec_lo, s0
                                        ; implicit-def: $vgpr96_vgpr97
	s_and_saveexec_b32 s0, s3
	s_cbranch_execz .LBB1849_166
.LBB1849_289:
	flat_load_b64 v[96:97], v[4:5] offset:1024
	s_or_b32 exec_lo, exec_lo, s0
                                        ; implicit-def: $vgpr98_vgpr99
	s_and_saveexec_b32 s0, s4
	s_cbranch_execz .LBB1849_167
.LBB1849_290:
	flat_load_b64 v[98:99], v[4:5] offset:1280
	s_or_b32 exec_lo, exec_lo, s0
                                        ; implicit-def: $vgpr18_vgpr19
	s_and_saveexec_b32 s0, s5
	s_cbranch_execz .LBB1849_168
.LBB1849_291:
	flat_load_b64 v[18:19], v[4:5] offset:1536
	s_or_b32 exec_lo, exec_lo, s0
                                        ; implicit-def: $vgpr22_vgpr23
	s_and_saveexec_b32 s0, s6
	s_cbranch_execnz .LBB1849_169
	s_branch .LBB1849_170
.LBB1849_292:
	flat_store_b64 v[0:1], v[20:21]
	s_or_b32 exec_lo, exec_lo, s7
	s_and_saveexec_b32 s7, s0
	s_cbranch_execz .LBB1849_244
.LBB1849_293:
	flat_store_b64 v[0:1], v[18:19] offset:2048
	s_or_b32 exec_lo, exec_lo, s7
	s_and_saveexec_b32 s0, s1
	s_cbranch_execz .LBB1849_245
.LBB1849_294:
	v_add_co_u32 v2, vcc_lo, 0x1000, v0
	v_add_co_ci_u32_e32 v3, vcc_lo, 0, v1, vcc_lo
	flat_store_b64 v[2:3], v[16:17]
	s_or_b32 exec_lo, exec_lo, s0
	s_and_saveexec_b32 s0, s2
	s_cbranch_execz .LBB1849_246
.LBB1849_295:
	v_add_co_u32 v2, vcc_lo, 0x1000, v0
	v_add_co_ci_u32_e32 v3, vcc_lo, 0, v1, vcc_lo
	flat_store_b64 v[2:3], v[14:15] offset:2048
	s_or_b32 exec_lo, exec_lo, s0
	s_and_saveexec_b32 s0, s3
	s_cbranch_execz .LBB1849_247
.LBB1849_296:
	v_add_co_u32 v2, vcc_lo, 0x2000, v0
	v_add_co_ci_u32_e32 v3, vcc_lo, 0, v1, vcc_lo
	flat_store_b64 v[2:3], v[12:13]
	s_or_b32 exec_lo, exec_lo, s0
	s_and_saveexec_b32 s0, s4
	s_cbranch_execz .LBB1849_248
.LBB1849_297:
	v_add_co_u32 v2, vcc_lo, 0x2000, v0
	v_add_co_ci_u32_e32 v3, vcc_lo, 0, v1, vcc_lo
	flat_store_b64 v[2:3], v[10:11] offset:2048
	s_or_b32 exec_lo, exec_lo, s0
	s_and_saveexec_b32 s0, s5
	s_cbranch_execz .LBB1849_249
.LBB1849_298:
	v_add_co_u32 v2, vcc_lo, 0x3000, v0
	v_add_co_ci_u32_e32 v3, vcc_lo, 0, v1, vcc_lo
	flat_store_b64 v[2:3], v[8:9]
	s_or_b32 exec_lo, exec_lo, s0
	s_and_saveexec_b32 s0, s6
	s_cbranch_execnz .LBB1849_250
	s_branch .LBB1849_251
.LBB1849_299:
	s_or_b32 exec_lo, exec_lo, s20
	v_dual_mov_b32 v36, 0 :: v_dual_lshlrev_b32 v5, 1, v34
	v_mad_u64_u32 v[10:11], null, v4, 6, v[96:97]
	v_mad_u64_u32 v[26:27], null, v80, 6, v[81:82]
	s_delay_alu instid0(VALU_DEP_3) | instskip(SKIP_3) | instid1(VALU_DEP_3)
	v_add_co_u32 v8, vcc_lo, v12, v5
	v_add_co_ci_u32_e32 v9, vcc_lo, 0, v13, vcc_lo
	v_mad_u64_u32 v[4:5], null, v68, 6, v[85:86]
	v_mad_u64_u32 v[12:13], null, v70, 6, v[83:84]
	;; [unrolled: 1-line block ×3, first 2 shown]
	s_barrier
	buffer_gl0_inv
	s_clause 0x3
	flat_store_b16 v[96:97], v100
	flat_store_b16 v[85:86], v103
	;; [unrolled: 1-line block ×4, first 2 shown]
	s_waitcnt lgkmcnt(0)
	s_waitcnt_vscnt null, 0x0
	s_barrier
	buffer_gl0_inv
	s_clause 0x3
	flat_load_u16 v25, v[8:9]
	flat_load_u16 v24, v[8:9] offset:512
	flat_load_u16 v23, v[8:9] offset:1024
	;; [unrolled: 1-line block ×3, first 2 shown]
	s_waitcnt vmcnt(0) lgkmcnt(0)
	s_barrier
	buffer_gl0_inv
	s_clause 0x3
	flat_store_b64 v[10:11], v[14:15]
	flat_store_b64 v[4:5], v[16:17]
	;; [unrolled: 1-line block ×4, first 2 shown]
	v_add_co_u32 v4, vcc_lo, 0x1000, v28
	v_add_co_ci_u32_e32 v5, vcc_lo, 0, v29, vcc_lo
	s_waitcnt lgkmcnt(0)
	s_waitcnt_vscnt null, 0x0
	s_barrier
	buffer_gl0_inv
	s_clause 0x3
	flat_load_b64 v[12:13], v[28:29]
	flat_load_b64 v[10:11], v[28:29] offset:2048
	flat_load_b64 v[8:9], v[4:5]
	flat_load_b64 v[4:5], v[4:5] offset:2048
	v_lshlrev_b64 v[14:15], 1, v[35:36]
	v_add_co_u32 v2, vcc_lo, v2, v37
	v_add_co_ci_u32_e32 v3, vcc_lo, v3, v38, vcc_lo
	s_waitcnt vmcnt(0) lgkmcnt(0)
	s_delay_alu instid0(VALU_DEP_2) | instskip(NEXT) | instid1(VALU_DEP_2)
	v_add_co_u32 v2, vcc_lo, v2, v14
	v_add_co_ci_u32_e32 v3, vcc_lo, v3, v15, vcc_lo
	v_cmp_lt_u32_e32 vcc_lo, v35, v47
	s_barrier
	buffer_gl0_inv
	s_and_saveexec_b32 s1, vcc_lo
	s_cbranch_execz .LBB1849_301
; %bb.300:
	v_cmp_lt_i16_e64 s0, -1, v25
	s_delay_alu instid0(VALU_DEP_1) | instskip(NEXT) | instid1(VALU_DEP_1)
	v_cndmask_b32_e64 v14, 0xffff8000, -1, s0
	v_xor_b32_e32 v14, v14, v25
	flat_store_b16 v[2:3], v14
.LBB1849_301:
	s_or_b32 exec_lo, exec_lo, s1
	v_add_nc_u32_e32 v14, 0x100, v35
	s_delay_alu instid0(VALU_DEP_1) | instskip(NEXT) | instid1(VALU_DEP_1)
	v_cmp_lt_u32_e64 s0, v14, v47
	s_and_saveexec_b32 s2, s0
	s_cbranch_execz .LBB1849_303
; %bb.302:
	v_cmp_lt_i16_e64 s1, -1, v24
	s_delay_alu instid0(VALU_DEP_1) | instskip(NEXT) | instid1(VALU_DEP_1)
	v_cndmask_b32_e64 v14, 0xffff8000, -1, s1
	v_xor_b32_e32 v14, v14, v24
	flat_store_b16 v[2:3], v14 offset:512
.LBB1849_303:
	s_or_b32 exec_lo, exec_lo, s2
	v_add_nc_u32_e32 v14, 0x200, v35
	s_delay_alu instid0(VALU_DEP_1) | instskip(NEXT) | instid1(VALU_DEP_1)
	v_cmp_lt_u32_e64 s1, v14, v47
	s_and_saveexec_b32 s3, s1
	s_cbranch_execz .LBB1849_305
; %bb.304:
	v_cmp_lt_i16_e64 s2, -1, v23
	s_delay_alu instid0(VALU_DEP_1) | instskip(NEXT) | instid1(VALU_DEP_1)
	v_cndmask_b32_e64 v14, 0xffff8000, -1, s2
	v_xor_b32_e32 v14, v14, v23
	flat_store_b16 v[2:3], v14 offset:1024
.LBB1849_305:
	s_or_b32 exec_lo, exec_lo, s3
	v_add_nc_u32_e32 v14, 0x300, v35
	s_delay_alu instid0(VALU_DEP_1) | instskip(NEXT) | instid1(VALU_DEP_1)
	v_cmp_lt_u32_e64 s2, v14, v47
	s_and_saveexec_b32 s4, s2
	s_cbranch_execz .LBB1849_307
; %bb.306:
	v_cmp_lt_i16_e64 s3, -1, v22
	s_delay_alu instid0(VALU_DEP_1) | instskip(NEXT) | instid1(VALU_DEP_1)
	v_cndmask_b32_e64 v14, 0xffff8000, -1, s3
	v_xor_b32_e32 v14, v14, v22
	flat_store_b16 v[2:3], v14 offset:1536
.LBB1849_307:
	s_or_b32 exec_lo, exec_lo, s4
	v_lshlrev_b64 v[2:3], 3, v[35:36]
	v_add_co_u32 v0, s3, v6, v0
	s_delay_alu instid0(VALU_DEP_1) | instskip(NEXT) | instid1(VALU_DEP_2)
	v_add_co_ci_u32_e64 v1, s3, v7, v1, s3
	v_add_co_u32 v0, s3, v0, v2
	s_delay_alu instid0(VALU_DEP_1)
	v_add_co_ci_u32_e64 v1, s3, v1, v3, s3
	s_and_saveexec_b32 s3, vcc_lo
	s_cbranch_execnz .LBB1849_340
; %bb.308:
	s_or_b32 exec_lo, exec_lo, s3
	s_and_saveexec_b32 s3, s0
	s_cbranch_execnz .LBB1849_341
.LBB1849_309:
	s_or_b32 exec_lo, exec_lo, s3
	s_and_saveexec_b32 s0, s1
	s_cbranch_execnz .LBB1849_342
.LBB1849_310:
	s_or_b32 exec_lo, exec_lo, s0
	s_and_saveexec_b32 s0, s2
	s_cbranch_execz .LBB1849_312
.LBB1849_311:
	v_add_co_u32 v0, vcc_lo, 0x1000, v0
	v_add_co_ci_u32_e32 v1, vcc_lo, 0, v1, vcc_lo
	flat_store_b64 v[0:1], v[4:5] offset:2048
.LBB1849_312:
	s_or_b32 exec_lo, exec_lo, s0
                                        ; implicit-def: $vgpr47
                                        ; implicit-def: $vgpr0
                                        ; implicit-def: $vgpr1
                                        ; implicit-def: $vgpr2
                                        ; implicit-def: $vgpr3
                                        ; implicit-def: $vgpr4
                                        ; implicit-def: $vgpr5
                                        ; implicit-def: $vgpr6
                                        ; implicit-def: $vgpr7
                                        ; implicit-def: $vgpr8
                                        ; implicit-def: $vgpr10
                                        ; implicit-def: $vgpr11
                                        ; implicit-def: $vgpr12
                                        ; implicit-def: $vgpr13
                                        ; implicit-def: $vgpr14
                                        ; implicit-def: $vgpr15
                                        ; implicit-def: $vgpr34
                                        ; implicit-def: $vgpr16
.LBB1849_313:
	s_and_not1_saveexec_b32 s0, s19
	s_cbranch_execz .LBB1849_372
; %bb.314:
	s_load_b64 s[0:1], s[8:9], 0x0
	v_mov_b32_e32 v9, 0
	s_delay_alu instid0(VALU_DEP_1) | instskip(SKIP_3) | instid1(SALU_CYCLE_1)
	v_lshlrev_b64 v[28:29], 1, v[8:9]
	s_waitcnt lgkmcnt(0)
	s_cmp_lt_u32 s13, s1
	s_cselect_b32 s1, 14, 20
	s_add_u32 s2, s8, s1
	s_addc_u32 s3, s9, 0
	s_cmp_lt_u32 s12, s0
	global_load_u16 v17, v9, s[2:3]
	s_cselect_b32 s0, 12, 18
	s_delay_alu instid0(SALU_CYCLE_1)
	s_add_u32 s0, s8, s0
	s_addc_u32 s1, s9, 0
	global_load_u16 v18, v9, s[0:1]
	s_mov_b32 s0, exec_lo
	s_waitcnt vmcnt(1)
	v_mad_u32_u24 v14, v15, v17, v14
	s_waitcnt vmcnt(0)
	s_delay_alu instid0(VALU_DEP_1)
	v_mad_u64_u32 v[26:27], null, v14, v18, v[34:35]
	v_cmpx_lt_u32_e32 0x100, v47
	s_xor_b32 s15, exec_lo, s0
	s_cbranch_execz .LBB1849_352
; %bb.315:
	s_delay_alu instid0(VALU_DEP_2) | instskip(SKIP_2) | instid1(VALU_DEP_3)
	v_dual_mov_b32 v15, v9 :: v_dual_lshlrev_b32 v14, 1, v26
	v_dual_mov_b32 v22, 0x7fff :: v_dual_lshlrev_b32 v17, 1, v16
	v_add_co_u32 v18, vcc_lo, v0, v28
	v_and_b32_e32 v14, 0xffffffc0, v14
	v_add_co_ci_u32_e32 v19, vcc_lo, v1, v29, vcc_lo
	s_delay_alu instid0(VALU_DEP_3) | instskip(NEXT) | instid1(VALU_DEP_3)
	v_add_co_u32 v17, vcc_lo, v18, v17
	v_lshlrev_b64 v[0:1], 1, v[14:15]
	s_delay_alu instid0(VALU_DEP_3) | instskip(SKIP_1) | instid1(VALU_DEP_3)
	v_add_co_ci_u32_e32 v19, vcc_lo, 0, v19, vcc_lo
	v_or_b32_e32 v18, v16, v14
	v_add_co_u32 v0, vcc_lo, v17, v0
	s_delay_alu instid0(VALU_DEP_3) | instskip(NEXT) | instid1(VALU_DEP_3)
	v_add_co_ci_u32_e32 v1, vcc_lo, v19, v1, vcc_lo
	v_cmp_lt_u32_e32 vcc_lo, v18, v47
	v_mov_b32_e32 v17, 0x7fff
	s_and_saveexec_b32 s0, vcc_lo
	s_cbranch_execz .LBB1849_317
; %bb.316:
	flat_load_u16 v22, v[0:1]
.LBB1849_317:
	s_or_b32 exec_lo, exec_lo, s0
	v_or_b32_e32 v18, 32, v18
	s_delay_alu instid0(VALU_DEP_1) | instskip(NEXT) | instid1(VALU_DEP_1)
	v_cmp_lt_u32_e64 s0, v18, v47
	s_and_saveexec_b32 s1, s0
	s_cbranch_execz .LBB1849_319
; %bb.318:
	flat_load_u16 v17, v[0:1] offset:64
.LBB1849_319:
	s_or_b32 exec_lo, exec_lo, s1
	v_lshlrev_b64 v[0:1], 3, v[8:9]
	v_lshlrev_b32_e32 v8, 3, v16
	s_delay_alu instid0(VALU_DEP_2) | instskip(NEXT) | instid1(VALU_DEP_1)
	v_add_co_u32 v9, s1, v4, v0
	v_add_co_ci_u32_e64 v18, s1, v5, v1, s1
	v_lshlrev_b64 v[4:5], 3, v[14:15]
	s_delay_alu instid0(VALU_DEP_3) | instskip(NEXT) | instid1(VALU_DEP_1)
	v_add_co_u32 v8, s1, v9, v8
	v_add_co_ci_u32_e64 v9, s1, 0, v18, s1
                                        ; implicit-def: $vgpr18_vgpr19
	s_delay_alu instid0(VALU_DEP_2) | instskip(NEXT) | instid1(VALU_DEP_1)
	v_add_co_u32 v4, s1, v8, v4
	v_add_co_ci_u32_e64 v5, s1, v9, v5, s1
	s_and_saveexec_b32 s1, vcc_lo
	s_cbranch_execz .LBB1849_321
; %bb.320:
	flat_load_b64 v[18:19], v[4:5]
.LBB1849_321:
	s_or_b32 exec_lo, exec_lo, s1
                                        ; implicit-def: $vgpr20_vgpr21
	s_and_saveexec_b32 s1, s0
	s_cbranch_execz .LBB1849_323
; %bb.322:
	flat_load_b64 v[20:21], v[4:5] offset:256
.LBB1849_323:
	s_or_b32 exec_lo, exec_lo, s1
	s_waitcnt vmcnt(0) lgkmcnt(0)
	v_cmp_lt_i16_e32 vcc_lo, -1, v22
	s_mov_b32 s16, 0
	s_getpc_b64 s[0:1]
	s_add_u32 s0, s0, _ZN7rocprim17ROCPRIM_400000_NS16block_radix_sortI6__halfLj256ELj2ElLj1ELj1ELj8ELNS0_26block_radix_rank_algorithmE2ELNS0_18block_padding_hintE2ELNS0_4arch9wavefront6targetE0EE19radix_bits_per_passE@rel32@lo+4
	s_addc_u32 s1, s1, _ZN7rocprim17ROCPRIM_400000_NS16block_radix_sortI6__halfLj256ELj2ElLj1ELj1ELj8ELNS0_26block_radix_rank_algorithmE2ELNS0_18block_padding_hintE2ELNS0_4arch9wavefront6targetE0EE19radix_bits_per_passE@rel32@hi+12
	s_mov_b32 s17, s16
	s_mov_b32 s18, s16
	v_cndmask_b32_e64 v4, -1, 0xffff8000, vcc_lo
	v_cmp_lt_i16_e32 vcc_lo, -1, v17
	s_mov_b32 s19, s16
	v_and_b32_e32 v15, 0x3e0, v34
	v_and_b32_e32 v14, 15, v16
	v_xor_b32_e32 v66, v4, v22
	v_cndmask_b32_e64 v5, -1, 0xffff8000, vcc_lo
	v_lshlrev_b32_e32 v4, 5, v34
	v_add_co_u32 v27, vcc_lo, v12, 32
	v_add_co_ci_u32_e32 v39, vcc_lo, 0, v13, vcc_lo
	s_delay_alu instid0(VALU_DEP_4) | instskip(SKIP_4) | instid1(VALU_DEP_3)
	v_xor_b32_e32 v25, v5, v17
	v_mov_b32_e32 v5, 0
	v_add_nc_u32_e32 v17, -1, v16
	v_add_co_u32 v8, vcc_lo, v12, v4
	v_add_co_ci_u32_e32 v9, vcc_lo, 0, v13, vcc_lo
	v_cmp_gt_i32_e64 s4, 0, v17
	v_add_co_u32 v30, vcc_lo, v27, v4
	v_min_u32_e32 v4, 0xe0, v15
	v_and_b32_e32 v15, 16, v16
	v_add_co_ci_u32_e32 v31, vcc_lo, 0, v39, vcc_lo
	s_load_b32 s20, s[0:1], 0x0
	v_cmp_eq_u32_e32 vcc_lo, 0, v14
	v_cmp_lt_u32_e64 s0, 1, v14
	v_cmp_lt_u32_e64 s1, 3, v14
	;; [unrolled: 1-line block ×3, first 2 shown]
	v_cndmask_b32_e64 v14, v17, v16, s4
	v_lshlrev_b32_e32 v17, 1, v34
	v_or_b32_e32 v4, 31, v4
	v_cmp_eq_u32_e64 s3, 0, v15
	v_lshrrev_b32_e32 v15, 5, v34
	v_cmp_eq_u32_e64 s7, 0, v16
	v_and_b32_e32 v22, 7, v16
	v_and_or_b32 v16, 0x7c0, v17, v16
	v_cmp_eq_u32_e64 s4, v4, v34
	v_lshlrev_b32_e32 v4, 2, v15
	v_lshlrev_b32_e32 v69, 2, v14
	;; [unrolled: 1-line block ×4, first 2 shown]
	v_lshrrev_b32_e32 v68, 5, v26
	v_add_co_u32 v32, s9, v12, v4
	v_add_nc_u32_e32 v4, -1, v15
	v_add_co_ci_u32_e64 v33, s9, 0, v13, s9
	v_add_co_u32 v37, s12, v12, v17
	v_add_co_u32 v35, s9, v12, v14
	s_delay_alu instid0(VALU_DEP_4) | instskip(SKIP_3) | instid1(VALU_DEP_4)
	v_lshlrev_b64 v[14:15], 2, v[4:5]
	v_add_co_ci_u32_e64 v38, s12, 0, v13, s12
	v_add_co_ci_u32_e64 v36, s9, 0, v13, s9
	v_cmp_gt_u32_e64 s5, 8, v34
	v_add_co_u32 v48, s12, v12, v14
	s_delay_alu instid0(VALU_DEP_4)
	v_mad_u64_u32 v[50:51], null, v16, 6, v[37:38]
	v_add_co_ci_u32_e64 v49, s12, v13, v15, s12
	v_mov_b32_e32 v14, s16
	v_cmp_lt_u32_e64 s6, 31, v34
	v_cmp_eq_u32_e64 s8, 0, v34
	v_cmp_eq_u32_e64 s9, 0, v22
	v_cmp_lt_u32_e64 s10, 1, v22
	v_cmp_lt_u32_e64 s11, 3, v22
	v_sub_nc_u32_e32 v70, v11, v10
	v_dual_mov_b32 v15, s17 :: v_dual_mov_b32 v16, s18
	v_mov_b32_e32 v17, s19
	s_waitcnt lgkmcnt(0)
	s_waitcnt_vscnt null, 0x0
	s_barrier
	buffer_gl0_inv
	s_branch .LBB1849_325
.LBB1849_324:                           ;   in Loop: Header=BB1849_325 Depth=1
	s_or_b32 exec_lo, exec_lo, s13
	s_delay_alu instid0(SALU_CYCLE_1) | instskip(NEXT) | instid1(SALU_CYCLE_1)
	s_and_b32 s12, exec_lo, s14
	s_or_b32 s16, s12, s16
	s_delay_alu instid0(SALU_CYCLE_1)
	s_and_not1_b32 exec_lo, exec_lo, s16
	s_cbranch_execz .LBB1849_343
.LBB1849_325:                           ; =>This Inner Loop Header: Depth=1
	v_mov_b32_e32 v71, v66
	v_min_u32_e32 v4, s20, v70
	s_clause 0x1
	flat_store_b128 v[8:9], v[14:17] offset:32
	flat_store_b128 v[30:31], v[14:17] offset:16
	s_waitcnt lgkmcnt(0)
	s_waitcnt_vscnt null, 0x0
	s_barrier
	v_cmp_ne_u16_e64 s12, 0x7fff, v71
	v_lshlrev_b32_e64 v4, v4, -1
	buffer_gl0_inv
	; wave barrier
	v_cndmask_b32_e64 v22, 0xffff8000, v71, s12
	s_delay_alu instid0(VALU_DEP_1) | instskip(SKIP_1) | instid1(VALU_DEP_2)
	v_dual_mov_b32 v80, v25 :: v_dual_and_b32 v23, 0xffff, v22
	v_not_b32_e32 v22, v4
	v_lshrrev_b32_e32 v4, v10, v23
	s_delay_alu instid0(VALU_DEP_1) | instskip(NEXT) | instid1(VALU_DEP_1)
	v_and_b32_e32 v4, v4, v22
	v_and_b32_e32 v23, 1, v4
	v_lshlrev_b32_e32 v24, 30, v4
	v_lshlrev_b32_e32 v52, 29, v4
	;; [unrolled: 1-line block ×4, first 2 shown]
	v_add_co_u32 v23, s12, v23, -1
	s_delay_alu instid0(VALU_DEP_1)
	v_cndmask_b32_e64 v54, 0, 1, s12
	v_not_b32_e32 v66, v24
	v_cmp_gt_i32_e64 s13, 0, v24
	v_not_b32_e32 v24, v52
	v_lshlrev_b32_e32 v64, 26, v4
	v_cmp_ne_u32_e64 s12, 0, v54
	v_ashrrev_i32_e32 v66, 31, v66
	v_lshlrev_b32_e32 v65, 25, v4
	v_ashrrev_i32_e32 v24, 31, v24
	v_lshlrev_b32_e32 v54, 24, v4
	v_xor_b32_e32 v23, s12, v23
	v_cmp_gt_i32_e64 s12, 0, v52
	v_not_b32_e32 v52, v53
	v_xor_b32_e32 v66, s13, v66
	v_cmp_gt_i32_e64 s13, 0, v53
	v_and_b32_e32 v23, exec_lo, v23
	v_not_b32_e32 v53, v55
	v_ashrrev_i32_e32 v52, 31, v52
	v_xor_b32_e32 v24, s12, v24
	v_cmp_gt_i32_e64 s12, 0, v55
	v_and_b32_e32 v23, v23, v66
	v_not_b32_e32 v55, v64
	v_ashrrev_i32_e32 v53, 31, v53
	v_xor_b32_e32 v52, s13, v52
	v_cmp_gt_i32_e64 s13, 0, v64
	v_and_b32_e32 v23, v23, v24
	;; [unrolled: 5-line block ×4, first 2 shown]
	v_ashrrev_i32_e32 v52, 31, v52
	v_xor_b32_e32 v24, s12, v24
	s_delay_alu instid0(VALU_DEP_3) | instskip(NEXT) | instid1(VALU_DEP_3)
	v_and_b32_e32 v23, v23, v55
	v_xor_b32_e32 v64, s13, v52
	v_dual_mov_b32 v55, v19 :: v_dual_mov_b32 v54, v18
	v_lshlrev_b32_e32 v19, 3, v4
	s_delay_alu instid0(VALU_DEP_4) | instskip(SKIP_1) | instid1(VALU_DEP_3)
	v_and_b32_e32 v23, v23, v24
	v_dual_mov_b32 v53, v21 :: v_dual_mov_b32 v52, v20
	v_add_lshl_u32 v19, v19, v68, 2
	s_delay_alu instid0(VALU_DEP_3) | instskip(NEXT) | instid1(VALU_DEP_2)
	v_and_b32_e32 v18, v23, v64
	v_add_co_u32 v64, s14, v27, v19
	s_delay_alu instid0(VALU_DEP_2) | instskip(SKIP_2) | instid1(VALU_DEP_3)
	v_mbcnt_lo_u32_b32 v4, v18, 0
	v_cmp_ne_u32_e64 s12, 0, v18
	v_add_co_ci_u32_e64 v65, s14, 0, v39, s14
	v_cmp_eq_u32_e64 s13, 0, v4
	s_delay_alu instid0(VALU_DEP_1) | instskip(NEXT) | instid1(SALU_CYCLE_1)
	s_and_b32 s13, s12, s13
	s_and_saveexec_b32 s12, s13
	s_cbranch_execz .LBB1849_327
; %bb.326:                              ;   in Loop: Header=BB1849_325 Depth=1
	v_bcnt_u32_b32 v18, v18, 0
	flat_store_b32 v[64:65], v18
.LBB1849_327:                           ;   in Loop: Header=BB1849_325 Depth=1
	s_or_b32 exec_lo, exec_lo, s12
	v_cmp_ne_u16_e64 s12, 0x7fff, v80
	; wave barrier
	s_delay_alu instid0(VALU_DEP_1) | instskip(NEXT) | instid1(VALU_DEP_1)
	v_cndmask_b32_e64 v18, 0xffff8000, v80, s12
	v_and_b32_e32 v18, 0xffff, v18
	s_delay_alu instid0(VALU_DEP_1) | instskip(NEXT) | instid1(VALU_DEP_1)
	v_lshrrev_b32_e32 v18, v10, v18
	v_and_b32_e32 v18, v18, v22
	s_delay_alu instid0(VALU_DEP_1) | instskip(SKIP_3) | instid1(VALU_DEP_4)
	v_lshlrev_b32_e32 v19, 3, v18
	v_lshlrev_b32_e32 v21, 30, v18
	;; [unrolled: 1-line block ×4, first 2 shown]
	v_add_lshl_u32 v19, v19, v68, 2
	s_delay_alu instid0(VALU_DEP_1) | instskip(NEXT) | instid1(VALU_DEP_1)
	v_add_co_u32 v66, s12, v27, v19
	v_add_co_ci_u32_e64 v67, s12, 0, v39, s12
	v_and_b32_e32 v19, 1, v18
	flat_load_b32 v81, v[66:67]
	v_add_co_u32 v19, s12, v19, -1
	s_delay_alu instid0(VALU_DEP_1) | instskip(NEXT) | instid1(VALU_DEP_1)
	v_cndmask_b32_e64 v20, 0, 1, s12
	; wave barrier
	v_cmp_ne_u32_e64 s12, 0, v20
	v_not_b32_e32 v20, v21
	s_delay_alu instid0(VALU_DEP_2) | instskip(SKIP_1) | instid1(VALU_DEP_3)
	v_xor_b32_e32 v19, s12, v19
	v_cmp_gt_i32_e64 s12, 0, v21
	v_ashrrev_i32_e32 v20, 31, v20
	v_not_b32_e32 v21, v22
	s_delay_alu instid0(VALU_DEP_4) | instskip(NEXT) | instid1(VALU_DEP_3)
	v_and_b32_e32 v19, exec_lo, v19
	v_xor_b32_e32 v20, s12, v20
	v_cmp_gt_i32_e64 s12, 0, v22
	s_delay_alu instid0(VALU_DEP_4) | instskip(SKIP_1) | instid1(VALU_DEP_4)
	v_ashrrev_i32_e32 v21, 31, v21
	v_not_b32_e32 v22, v23
	v_and_b32_e32 v19, v19, v20
	v_lshlrev_b32_e32 v20, 27, v18
	s_delay_alu instid0(VALU_DEP_4) | instskip(SKIP_2) | instid1(VALU_DEP_4)
	v_xor_b32_e32 v21, s12, v21
	v_cmp_gt_i32_e64 s12, 0, v23
	v_ashrrev_i32_e32 v22, 31, v22
	v_not_b32_e32 v23, v20
	s_delay_alu instid0(VALU_DEP_4) | instskip(SKIP_1) | instid1(VALU_DEP_4)
	v_and_b32_e32 v19, v19, v21
	v_lshlrev_b32_e32 v21, 26, v18
	v_xor_b32_e32 v22, s12, v22
	v_cmp_gt_i32_e64 s12, 0, v20
	v_ashrrev_i32_e32 v20, 31, v23
	s_delay_alu instid0(VALU_DEP_4) | instskip(NEXT) | instid1(VALU_DEP_4)
	v_not_b32_e32 v23, v21
	v_and_b32_e32 v19, v19, v22
	v_lshlrev_b32_e32 v22, 25, v18
	s_delay_alu instid0(VALU_DEP_4)
	v_xor_b32_e32 v20, s12, v20
	v_cmp_gt_i32_e64 s12, 0, v21
	v_ashrrev_i32_e32 v21, 31, v23
	v_lshlrev_b32_e32 v18, 24, v18
	v_not_b32_e32 v23, v22
	v_and_b32_e32 v19, v19, v20
	s_delay_alu instid0(VALU_DEP_4) | instskip(SKIP_1) | instid1(VALU_DEP_4)
	v_xor_b32_e32 v20, s12, v21
	v_cmp_gt_i32_e64 s12, 0, v22
	v_ashrrev_i32_e32 v21, 31, v23
	v_not_b32_e32 v22, v18
	s_delay_alu instid0(VALU_DEP_4) | instskip(NEXT) | instid1(VALU_DEP_3)
	v_and_b32_e32 v19, v19, v20
	v_xor_b32_e32 v20, s12, v21
	v_cmp_gt_i32_e64 s12, 0, v18
	s_delay_alu instid0(VALU_DEP_4) | instskip(NEXT) | instid1(VALU_DEP_3)
	v_ashrrev_i32_e32 v18, 31, v22
	v_and_b32_e32 v19, v19, v20
	s_delay_alu instid0(VALU_DEP_2) | instskip(NEXT) | instid1(VALU_DEP_1)
	v_xor_b32_e32 v18, s12, v18
	v_and_b32_e32 v18, v19, v18
	s_delay_alu instid0(VALU_DEP_1) | instskip(SKIP_1) | instid1(VALU_DEP_2)
	v_mbcnt_lo_u32_b32 v82, v18, 0
	v_cmp_ne_u32_e64 s13, 0, v18
	v_cmp_eq_u32_e64 s12, 0, v82
	s_delay_alu instid0(VALU_DEP_1) | instskip(NEXT) | instid1(SALU_CYCLE_1)
	s_and_b32 s13, s13, s12
	s_and_saveexec_b32 s12, s13
	s_cbranch_execz .LBB1849_329
; %bb.328:                              ;   in Loop: Header=BB1849_325 Depth=1
	s_waitcnt vmcnt(0) lgkmcnt(0)
	v_bcnt_u32_b32 v18, v18, v81
	flat_store_b32 v[66:67], v18
.LBB1849_329:                           ;   in Loop: Header=BB1849_325 Depth=1
	s_or_b32 exec_lo, exec_lo, s12
	; wave barrier
	s_waitcnt vmcnt(0) lgkmcnt(0)
	s_waitcnt_vscnt null, 0x0
	s_barrier
	buffer_gl0_inv
	s_clause 0x1
	flat_load_b128 v[22:25], v[8:9] offset:32
	flat_load_b128 v[18:21], v[30:31] offset:16
	s_waitcnt vmcnt(1) lgkmcnt(1)
	v_add_nc_u32_e32 v83, v23, v22
	s_delay_alu instid0(VALU_DEP_1) | instskip(SKIP_1) | instid1(VALU_DEP_1)
	v_add3_u32 v83, v83, v24, v25
	s_waitcnt vmcnt(0) lgkmcnt(0)
	v_add3_u32 v83, v83, v18, v19
	s_delay_alu instid0(VALU_DEP_1) | instskip(NEXT) | instid1(VALU_DEP_1)
	v_add3_u32 v21, v83, v20, v21
	v_mov_b32_dpp v83, v21 row_shr:1 row_mask:0xf bank_mask:0xf
	s_delay_alu instid0(VALU_DEP_1) | instskip(NEXT) | instid1(VALU_DEP_1)
	v_cndmask_b32_e64 v83, v83, 0, vcc_lo
	v_add_nc_u32_e32 v21, v83, v21
	s_delay_alu instid0(VALU_DEP_1) | instskip(NEXT) | instid1(VALU_DEP_1)
	v_mov_b32_dpp v83, v21 row_shr:2 row_mask:0xf bank_mask:0xf
	v_cndmask_b32_e64 v83, 0, v83, s0
	s_delay_alu instid0(VALU_DEP_1) | instskip(NEXT) | instid1(VALU_DEP_1)
	v_add_nc_u32_e32 v21, v21, v83
	v_mov_b32_dpp v83, v21 row_shr:4 row_mask:0xf bank_mask:0xf
	s_delay_alu instid0(VALU_DEP_1) | instskip(NEXT) | instid1(VALU_DEP_1)
	v_cndmask_b32_e64 v83, 0, v83, s1
	v_add_nc_u32_e32 v21, v21, v83
	s_delay_alu instid0(VALU_DEP_1) | instskip(NEXT) | instid1(VALU_DEP_1)
	v_mov_b32_dpp v83, v21 row_shr:8 row_mask:0xf bank_mask:0xf
	v_cndmask_b32_e64 v83, 0, v83, s2
	s_delay_alu instid0(VALU_DEP_1) | instskip(SKIP_3) | instid1(VALU_DEP_1)
	v_add_nc_u32_e32 v21, v21, v83
	ds_swizzle_b32 v83, v21 offset:swizzle(BROADCAST,32,15)
	s_waitcnt lgkmcnt(0)
	v_cndmask_b32_e64 v83, v83, 0, s3
	v_add_nc_u32_e32 v21, v21, v83
	s_and_saveexec_b32 s12, s4
	s_cbranch_execz .LBB1849_331
; %bb.330:                              ;   in Loop: Header=BB1849_325 Depth=1
	flat_store_b32 v[32:33], v21
.LBB1849_331:                           ;   in Loop: Header=BB1849_325 Depth=1
	s_or_b32 exec_lo, exec_lo, s12
	s_waitcnt lgkmcnt(0)
	s_waitcnt_vscnt null, 0x0
	s_barrier
	buffer_gl0_inv
	s_and_saveexec_b32 s12, s5
	s_cbranch_execz .LBB1849_333
; %bb.332:                              ;   in Loop: Header=BB1849_325 Depth=1
	flat_load_b32 v83, v[35:36]
	s_waitcnt vmcnt(0) lgkmcnt(0)
	v_mov_b32_dpp v84, v83 row_shr:1 row_mask:0xf bank_mask:0xf
	s_delay_alu instid0(VALU_DEP_1) | instskip(NEXT) | instid1(VALU_DEP_1)
	v_cndmask_b32_e64 v84, v84, 0, s9
	v_add_nc_u32_e32 v83, v84, v83
	s_delay_alu instid0(VALU_DEP_1) | instskip(NEXT) | instid1(VALU_DEP_1)
	v_mov_b32_dpp v84, v83 row_shr:2 row_mask:0xf bank_mask:0xf
	v_cndmask_b32_e64 v84, 0, v84, s10
	s_delay_alu instid0(VALU_DEP_1) | instskip(NEXT) | instid1(VALU_DEP_1)
	v_add_nc_u32_e32 v83, v83, v84
	v_mov_b32_dpp v84, v83 row_shr:4 row_mask:0xf bank_mask:0xf
	s_delay_alu instid0(VALU_DEP_1) | instskip(NEXT) | instid1(VALU_DEP_1)
	v_cndmask_b32_e64 v84, 0, v84, s11
	v_add_nc_u32_e32 v83, v83, v84
	flat_store_b32 v[35:36], v83
.LBB1849_333:                           ;   in Loop: Header=BB1849_325 Depth=1
	s_or_b32 exec_lo, exec_lo, s12
	v_mov_b32_e32 v83, 0
	s_waitcnt lgkmcnt(0)
	s_waitcnt_vscnt null, 0x0
	s_barrier
	buffer_gl0_inv
	s_and_saveexec_b32 s12, s6
	s_cbranch_execz .LBB1849_335
; %bb.334:                              ;   in Loop: Header=BB1849_325 Depth=1
	flat_load_b32 v83, v[48:49]
.LBB1849_335:                           ;   in Loop: Header=BB1849_325 Depth=1
	s_or_b32 exec_lo, exec_lo, s12
	s_waitcnt vmcnt(0) lgkmcnt(0)
	v_add_nc_u32_e32 v21, v83, v21
	v_add_nc_u32_e32 v10, 8, v10
	s_mov_b32 s14, -1
	ds_bpermute_b32 v21, v69, v21
	s_waitcnt lgkmcnt(0)
	v_cndmask_b32_e64 v21, v21, v83, s7
	s_delay_alu instid0(VALU_DEP_1) | instskip(NEXT) | instid1(VALU_DEP_1)
	v_cndmask_b32_e64 v21, v21, 0, s8
	v_add_nc_u32_e32 v22, v21, v22
	s_delay_alu instid0(VALU_DEP_1) | instskip(NEXT) | instid1(VALU_DEP_1)
	v_add_nc_u32_e32 v23, v22, v23
	v_add_nc_u32_e32 v24, v23, v24
	s_delay_alu instid0(VALU_DEP_1) | instskip(NEXT) | instid1(VALU_DEP_1)
	v_add_nc_u32_e32 v83, v24, v25
                                        ; implicit-def: $vgpr25
	v_add_nc_u32_e32 v84, v83, v18
	s_delay_alu instid0(VALU_DEP_1) | instskip(NEXT) | instid1(VALU_DEP_1)
	v_add_nc_u32_e32 v85, v84, v19
	v_add_nc_u32_e32 v86, v85, v20
	s_clause 0x1
	flat_store_b128 v[8:9], v[21:24] offset:32
	flat_store_b128 v[30:31], v[83:86] offset:16
	v_mov_b32_e32 v23, v5
	s_waitcnt lgkmcnt(0)
	s_waitcnt_vscnt null, 0x0
	s_barrier
	buffer_gl0_inv
	s_clause 0x1
	flat_load_b32 v18, v[64:65]
	flat_load_b32 v19, v[66:67]
	s_waitcnt vmcnt(0) lgkmcnt(0)
	s_waitcnt_vscnt null, 0x0
                                        ; implicit-def: $vgpr66
	s_waitcnt vmcnt(1) lgkmcnt(1)
	v_add_nc_u32_e32 v4, v18, v4
	s_waitcnt vmcnt(0) lgkmcnt(0)
	v_add3_u32 v22, v82, v81, v19
	s_delay_alu instid0(VALU_DEP_2) | instskip(NEXT) | instid1(VALU_DEP_2)
	v_lshlrev_b64 v[18:19], 1, v[4:5]
	v_lshlrev_b64 v[20:21], 1, v[22:23]
	s_delay_alu instid0(VALU_DEP_2) | instskip(NEXT) | instid1(VALU_DEP_1)
	v_add_co_u32 v23, s13, v12, v18
	v_add_co_ci_u32_e64 v24, s13, v13, v19, s13
	s_delay_alu instid0(VALU_DEP_3) | instskip(NEXT) | instid1(VALU_DEP_1)
	v_add_co_u32 v64, s13, v12, v20
	v_add_co_ci_u32_e64 v65, s13, v13, v21, s13
	s_mov_b32 s13, exec_lo
                                        ; implicit-def: $vgpr20_vgpr21
                                        ; implicit-def: $vgpr18_vgpr19
	v_cmpx_lt_u32_e64 v10, v11
	s_cbranch_execz .LBB1849_324
; %bb.336:                              ;   in Loop: Header=BB1849_325 Depth=1
	v_mad_u64_u32 v[18:19], null, v4, 6, v[23:24]
	v_mad_u64_u32 v[20:21], null, v22, 6, v[64:65]
	s_barrier
	buffer_gl0_inv
	s_clause 0x1
	flat_store_b16 v[23:24], v71
	flat_store_b16 v[64:65], v80
	s_waitcnt lgkmcnt(0)
	s_waitcnt_vscnt null, 0x0
	s_barrier
	buffer_gl0_inv
	s_clause 0x1
	flat_load_u16 v66, v[37:38]
	flat_load_u16 v25, v[37:38] offset:64
	s_waitcnt vmcnt(0) lgkmcnt(0)
	s_barrier
	buffer_gl0_inv
	s_clause 0x1
	flat_store_b64 v[18:19], v[54:55]
	flat_store_b64 v[20:21], v[52:53]
	s_waitcnt lgkmcnt(0)
	s_waitcnt_vscnt null, 0x0
	s_barrier
	buffer_gl0_inv
	s_clause 0x1
	flat_load_b64 v[18:19], v[50:51]
	flat_load_b64 v[20:21], v[50:51] offset:256
	v_add_nc_u32_e32 v70, -8, v70
	s_xor_b32 s14, exec_lo, -1
	s_waitcnt vmcnt(0) lgkmcnt(0)
	s_barrier
	buffer_gl0_inv
	s_branch .LBB1849_324
.LBB1849_337:
	flat_load_b64 v[22:23], v[4:5]
	s_or_b32 exec_lo, exec_lo, s3
	s_and_saveexec_b32 s1, s2
	s_cbranch_execz .LBB1849_264
.LBB1849_338:
	flat_load_b64 v[24:25], v[4:5] offset:256
	s_or_b32 exec_lo, exec_lo, s1
	s_and_saveexec_b32 s1, s0
	s_cbranch_execz .LBB1849_265
.LBB1849_339:
	flat_load_b64 v[26:27], v[4:5] offset:512
	s_or_b32 exec_lo, exec_lo, s1
	s_and_saveexec_b32 s0, vcc_lo
	s_cbranch_execnz .LBB1849_266
	s_branch .LBB1849_267
.LBB1849_340:
	flat_store_b64 v[0:1], v[12:13]
	s_or_b32 exec_lo, exec_lo, s3
	s_and_saveexec_b32 s3, s0
	s_cbranch_execz .LBB1849_309
.LBB1849_341:
	flat_store_b64 v[0:1], v[10:11] offset:2048
	s_or_b32 exec_lo, exec_lo, s3
	s_and_saveexec_b32 s0, s1
	s_cbranch_execz .LBB1849_310
.LBB1849_342:
	v_add_co_u32 v2, vcc_lo, 0x1000, v0
	v_add_co_ci_u32_e32 v3, vcc_lo, 0, v1, vcc_lo
	flat_store_b64 v[2:3], v[8:9]
	s_or_b32 exec_lo, exec_lo, s0
	s_and_saveexec_b32 s0, s2
	s_cbranch_execnz .LBB1849_311
	s_branch .LBB1849_312
.LBB1849_343:
	s_or_b32 exec_lo, exec_lo, s16
	v_lshlrev_b32_e32 v5, 1, v34
	s_barrier
	buffer_gl0_inv
	s_clause 0x1
	flat_store_b16 v[23:24], v71
	flat_store_b16 v[64:65], v80
	s_waitcnt lgkmcnt(0)
	s_waitcnt_vscnt null, 0x0
	v_add_co_u32 v8, vcc_lo, v12, v5
	v_add_co_ci_u32_e32 v9, vcc_lo, 0, v13, vcc_lo
	v_mad_u64_u32 v[12:13], null, v4, 6, v[23:24]
	v_mad_u64_u32 v[4:5], null, v22, 6, v[64:65]
	s_delay_alu instid0(VALU_DEP_3)
	v_mad_u64_u32 v[14:15], null, v34, 6, v[8:9]
	s_barrier
	buffer_gl0_inv
	s_clause 0x1
	flat_load_u16 v11, v[8:9]
	flat_load_u16 v10, v[8:9] offset:512
	s_waitcnt vmcnt(0) lgkmcnt(0)
	s_barrier
	buffer_gl0_inv
	s_clause 0x1
	flat_store_b64 v[12:13], v[54:55]
	flat_store_b64 v[4:5], v[52:53]
	s_waitcnt lgkmcnt(0)
	s_waitcnt_vscnt null, 0x0
	s_barrier
	buffer_gl0_inv
	s_clause 0x1
	flat_load_b64 v[8:9], v[14:15]
	flat_load_b64 v[4:5], v[14:15] offset:2048
	v_mov_b32_e32 v27, 0
	v_add_co_u32 v2, vcc_lo, v2, v28
	v_add_co_ci_u32_e32 v3, vcc_lo, v3, v29, vcc_lo
	s_delay_alu instid0(VALU_DEP_3)
	v_lshlrev_b64 v[12:13], 1, v[26:27]
	s_waitcnt vmcnt(0) lgkmcnt(0)
	s_barrier
	buffer_gl0_inv
	v_add_co_u32 v2, vcc_lo, v2, v12
	v_add_co_ci_u32_e32 v3, vcc_lo, v3, v13, vcc_lo
	v_cmp_lt_u32_e32 vcc_lo, v26, v47
	s_and_saveexec_b32 s1, vcc_lo
	s_cbranch_execz .LBB1849_345
; %bb.344:
	v_cmp_lt_i16_e64 s0, -1, v11
	s_delay_alu instid0(VALU_DEP_1) | instskip(NEXT) | instid1(VALU_DEP_1)
	v_cndmask_b32_e64 v12, 0xffff8000, -1, s0
	v_xor_b32_e32 v11, v12, v11
	flat_store_b16 v[2:3], v11
.LBB1849_345:
	s_or_b32 exec_lo, exec_lo, s1
	v_add_nc_u32_e32 v11, 0x100, v26
	s_delay_alu instid0(VALU_DEP_1) | instskip(NEXT) | instid1(VALU_DEP_1)
	v_cmp_lt_u32_e64 s0, v11, v47
	s_and_saveexec_b32 s2, s0
	s_cbranch_execz .LBB1849_347
; %bb.346:
	v_cmp_lt_i16_e64 s1, -1, v10
	s_delay_alu instid0(VALU_DEP_1) | instskip(NEXT) | instid1(VALU_DEP_1)
	v_cndmask_b32_e64 v11, 0xffff8000, -1, s1
	v_xor_b32_e32 v10, v11, v10
	flat_store_b16 v[2:3], v10 offset:512
.LBB1849_347:
	s_or_b32 exec_lo, exec_lo, s2
	v_lshlrev_b64 v[2:3], 3, v[26:27]
	v_add_co_u32 v0, s1, v6, v0
	s_delay_alu instid0(VALU_DEP_1) | instskip(NEXT) | instid1(VALU_DEP_2)
	v_add_co_ci_u32_e64 v1, s1, v7, v1, s1
	v_add_co_u32 v0, s1, v0, v2
	s_delay_alu instid0(VALU_DEP_1)
	v_add_co_ci_u32_e64 v1, s1, v1, v3, s1
	s_and_saveexec_b32 s1, vcc_lo
	s_cbranch_execz .LBB1849_349
; %bb.348:
	flat_store_b64 v[0:1], v[8:9]
.LBB1849_349:
	s_or_b32 exec_lo, exec_lo, s1
	s_and_saveexec_b32 s1, s0
	s_cbranch_execz .LBB1849_351
; %bb.350:
	flat_store_b64 v[0:1], v[4:5] offset:2048
.LBB1849_351:
	s_or_b32 exec_lo, exec_lo, s1
                                        ; implicit-def: $vgpr26_vgpr27
                                        ; implicit-def: $vgpr8_vgpr9
                                        ; implicit-def: $vgpr28_vgpr29
                                        ; implicit-def: $vgpr47
                                        ; implicit-def: $vgpr0
                                        ; implicit-def: $vgpr1
                                        ; implicit-def: $vgpr2
                                        ; implicit-def: $vgpr3
                                        ; implicit-def: $vgpr4
                                        ; implicit-def: $vgpr5
                                        ; implicit-def: $vgpr6
                                        ; implicit-def: $vgpr7
                                        ; implicit-def: $vgpr10
                                        ; implicit-def: $vgpr11
                                        ; implicit-def: $vgpr12
                                        ; implicit-def: $vgpr13
                                        ; implicit-def: $vgpr34
                                        ; implicit-def: $vgpr16
.LBB1849_352:
	s_and_not1_saveexec_b32 s0, s15
	s_cbranch_execz .LBB1849_372
; %bb.353:
	s_delay_alu instid0(VALU_DEP_2) | instskip(SKIP_1) | instid1(VALU_DEP_2)
	v_and_b32_e32 v14, 0xffffffe0, v26
	v_mov_b32_e32 v17, 0x7fff
	v_or_b32_e32 v15, v16, v14
	s_delay_alu instid0(VALU_DEP_1)
	v_cmp_lt_u32_e32 vcc_lo, v15, v47
	s_and_saveexec_b32 s1, vcc_lo
	s_cbranch_execz .LBB1849_355
; %bb.354:
	v_mov_b32_e32 v15, 0
	v_lshlrev_b32_e32 v17, 1, v16
	v_add_co_u32 v18, s0, v0, v28
	s_delay_alu instid0(VALU_DEP_1) | instskip(NEXT) | instid1(VALU_DEP_4)
	v_add_co_ci_u32_e64 v19, s0, v1, v29, s0
	v_lshlrev_b64 v[0:1], 1, v[14:15]
	s_delay_alu instid0(VALU_DEP_3) | instskip(NEXT) | instid1(VALU_DEP_1)
	v_add_co_u32 v15, s0, v18, v17
	v_add_co_ci_u32_e64 v17, s0, 0, v19, s0
	s_delay_alu instid0(VALU_DEP_2) | instskip(NEXT) | instid1(VALU_DEP_1)
	v_add_co_u32 v0, s0, v15, v0
	v_add_co_ci_u32_e64 v1, s0, v17, v1, s0
	flat_load_u16 v17, v[0:1]
.LBB1849_355:
	s_or_b32 exec_lo, exec_lo, s1
	v_lshlrev_b64 v[0:1], 3, v[8:9]
                                        ; implicit-def: $vgpr18_vgpr19
	s_and_saveexec_b32 s0, vcc_lo
	s_cbranch_execz .LBB1849_357
; %bb.356:
	v_dual_mov_b32 v15, 0 :: v_dual_lshlrev_b32 v8, 3, v16
	s_delay_alu instid0(VALU_DEP_2) | instskip(NEXT) | instid1(VALU_DEP_3)
	v_add_co_u32 v9, vcc_lo, v4, v0
	v_add_co_ci_u32_e32 v18, vcc_lo, v5, v1, vcc_lo
	s_delay_alu instid0(VALU_DEP_3) | instskip(NEXT) | instid1(VALU_DEP_3)
	v_lshlrev_b64 v[4:5], 3, v[14:15]
	v_add_co_u32 v8, vcc_lo, v9, v8
	s_delay_alu instid0(VALU_DEP_3) | instskip(NEXT) | instid1(VALU_DEP_2)
	v_add_co_ci_u32_e32 v9, vcc_lo, 0, v18, vcc_lo
	v_add_co_u32 v4, vcc_lo, v8, v4
	s_delay_alu instid0(VALU_DEP_2)
	v_add_co_ci_u32_e32 v5, vcc_lo, v9, v5, vcc_lo
	flat_load_b64 v[18:19], v[4:5]
.LBB1849_357:
	s_or_b32 exec_lo, exec_lo, s0
	s_waitcnt vmcnt(0) lgkmcnt(0)
	v_cmp_lt_i16_e32 vcc_lo, -1, v17
	v_dual_mov_b32 v5, 0 :: v_dual_lshlrev_b32 v14, 5, v34
	s_mov_b32 s16, 0
	s_getpc_b64 s[0:1]
	s_add_u32 s0, s0, _ZN7rocprim17ROCPRIM_400000_NS16block_radix_sortI6__halfLj256ELj1ElLj1ELj1ELj8ELNS0_26block_radix_rank_algorithmE2ELNS0_18block_padding_hintE2ELNS0_4arch9wavefront6targetE0EE19radix_bits_per_passE@rel32@lo+4
	s_addc_u32 s1, s1, _ZN7rocprim17ROCPRIM_400000_NS16block_radix_sortI6__halfLj256ELj1ElLj1ELj1ELj8ELNS0_26block_radix_rank_algorithmE2ELNS0_18block_padding_hintE2ELNS0_4arch9wavefront6targetE0EE19radix_bits_per_passE@rel32@hi+12
	v_cndmask_b32_e64 v4, -1, 0xffff8000, vcc_lo
	v_add_co_u32 v27, vcc_lo, v12, 32
	s_mov_b32 s17, s16
	s_mov_b32 s18, s16
	;; [unrolled: 1-line block ×3, first 2 shown]
	v_and_b32_e32 v15, 0x3e0, v34
	v_add_co_ci_u32_e32 v39, vcc_lo, 0, v13, vcc_lo
	v_add_co_u32 v8, vcc_lo, v12, v14
	v_add_co_ci_u32_e32 v9, vcc_lo, 0, v13, vcc_lo
	v_xor_b32_e32 v22, v4, v17
	v_and_b32_e32 v4, 15, v16
	v_add_co_u32 v30, vcc_lo, v27, v14
	v_min_u32_e32 v14, 0xe0, v15
	v_and_b32_e32 v17, 16, v16
	v_add_nc_u32_e32 v20, -1, v16
	v_add_co_ci_u32_e32 v31, vcc_lo, 0, v39, vcc_lo
	s_load_b32 s15, s[0:1], 0x0
	v_cmp_eq_u32_e32 vcc_lo, 0, v4
	v_cmp_lt_u32_e64 s0, 1, v4
	v_cmp_lt_u32_e64 s1, 3, v4
	;; [unrolled: 1-line block ×3, first 2 shown]
	v_or_b32_e32 v4, 31, v14
	v_cmp_eq_u32_e64 s3, 0, v17
	v_cmp_gt_i32_e64 s4, 0, v20
	v_lshrrev_b32_e32 v17, 5, v34
	v_cmp_eq_u32_e64 s7, 0, v16
	v_lshrrev_b32_e32 v64, 5, v26
	v_cmp_gt_u32_e64 s5, 8, v34
	v_cndmask_b32_e64 v14, v20, v16, s4
	v_cmp_eq_u32_e64 s4, v4, v34
	v_lshlrev_b32_e32 v4, 2, v17
	v_and_b32_e32 v20, 7, v16
	v_or_b32_e32 v16, v16, v15
	v_lshlrev_b32_e32 v65, 2, v14
	v_lshlrev_b32_e32 v14, 2, v34
	v_add_co_u32 v32, s9, v12, v4
	v_add_nc_u32_e32 v4, -1, v17
	v_lshlrev_b32_e32 v17, 1, v16
	v_add_co_ci_u32_e64 v33, s9, 0, v13, s9
	v_add_co_u32 v35, s9, v12, v14
	s_delay_alu instid0(VALU_DEP_3) | instskip(SKIP_4) | instid1(VALU_DEP_4)
	v_add_co_u32 v37, s12, v12, v17
	v_lshlrev_b64 v[14:15], 2, v[4:5]
	v_add_co_ci_u32_e64 v38, s12, 0, v13, s12
	v_add_co_ci_u32_e64 v36, s9, 0, v13, s9
	v_cmp_lt_u32_e64 s6, 31, v34
	v_add_co_u32 v48, s12, v12, v14
	s_delay_alu instid0(VALU_DEP_4)
	v_mad_u64_u32 v[50:51], null, v16, 6, v[37:38]
	v_add_co_ci_u32_e64 v49, s12, v13, v15, s12
	v_mov_b32_e32 v14, s16
	v_cmp_eq_u32_e64 s8, 0, v34
	v_cmp_eq_u32_e64 s9, 0, v20
	v_cmp_lt_u32_e64 s10, 1, v20
	v_cmp_lt_u32_e64 s11, 3, v20
	v_sub_nc_u32_e32 v66, v11, v10
	v_dual_mov_b32 v15, s17 :: v_dual_mov_b32 v16, s18
	v_mov_b32_e32 v17, s19
	s_waitcnt lgkmcnt(0)
	s_waitcnt_vscnt null, 0x0
	s_barrier
	buffer_gl0_inv
	s_branch .LBB1849_359
.LBB1849_358:                           ;   in Loop: Header=BB1849_359 Depth=1
	s_or_b32 exec_lo, exec_lo, s13
	s_delay_alu instid0(SALU_CYCLE_1) | instskip(NEXT) | instid1(SALU_CYCLE_1)
	s_and_b32 s12, exec_lo, s14
	s_or_b32 s16, s12, s16
	s_delay_alu instid0(SALU_CYCLE_1)
	s_and_not1_b32 exec_lo, exec_lo, s16
	s_cbranch_execz .LBB1849_369
.LBB1849_359:                           ; =>This Inner Loop Header: Depth=1
	v_mov_b32_e32 v67, v22
	v_min_u32_e32 v20, s15, v66
	s_clause 0x1
	flat_store_b128 v[8:9], v[14:17] offset:32
	flat_store_b128 v[30:31], v[14:17] offset:16
	s_waitcnt lgkmcnt(0)
	s_waitcnt_vscnt null, 0x0
	s_barrier
	v_cmp_ne_u16_e64 s12, 0x7fff, v67
	buffer_gl0_inv
	; wave barrier
	v_cndmask_b32_e64 v4, 0xffff8000, v67, s12
	s_delay_alu instid0(VALU_DEP_1) | instskip(NEXT) | instid1(VALU_DEP_1)
	v_and_b32_e32 v4, 0xffff, v4
	v_lshrrev_b32_e32 v4, v10, v4
	s_delay_alu instid0(VALU_DEP_1) | instskip(NEXT) | instid1(VALU_DEP_1)
	v_bfe_u32 v4, v4, 0, v20
	v_and_b32_e32 v20, 1, v4
	v_lshlrev_b32_e32 v21, 30, v4
	v_lshlrev_b32_e32 v22, 29, v4
	;; [unrolled: 1-line block ×4, first 2 shown]
	v_add_co_u32 v20, s12, v20, -1
	s_delay_alu instid0(VALU_DEP_1)
	v_cndmask_b32_e64 v24, 0, 1, s12
	v_not_b32_e32 v54, v21
	v_cmp_gt_i32_e64 s13, 0, v21
	v_not_b32_e32 v21, v22
	v_lshlrev_b32_e32 v52, 26, v4
	v_cmp_ne_u32_e64 s12, 0, v24
	v_ashrrev_i32_e32 v54, 31, v54
	v_lshlrev_b32_e32 v53, 25, v4
	v_ashrrev_i32_e32 v21, 31, v21
	v_lshlrev_b32_e32 v24, 24, v4
	v_xor_b32_e32 v20, s12, v20
	v_cmp_gt_i32_e64 s12, 0, v22
	v_not_b32_e32 v22, v23
	v_xor_b32_e32 v54, s13, v54
	v_cmp_gt_i32_e64 s13, 0, v23
	v_and_b32_e32 v20, exec_lo, v20
	v_not_b32_e32 v23, v25
	v_ashrrev_i32_e32 v22, 31, v22
	v_xor_b32_e32 v21, s12, v21
	v_cmp_gt_i32_e64 s12, 0, v25
	v_and_b32_e32 v20, v20, v54
	v_not_b32_e32 v25, v52
	v_ashrrev_i32_e32 v23, 31, v23
	v_xor_b32_e32 v22, s13, v22
	v_cmp_gt_i32_e64 s13, 0, v52
	v_and_b32_e32 v20, v20, v21
	;; [unrolled: 5-line block ×4, first 2 shown]
	v_ashrrev_i32_e32 v22, 31, v22
	v_xor_b32_e32 v21, s12, v21
	v_dual_mov_b32 v53, v19 :: v_dual_mov_b32 v52, v18
	s_delay_alu instid0(VALU_DEP_4) | instskip(NEXT) | instid1(VALU_DEP_4)
	v_and_b32_e32 v20, v20, v25
	v_xor_b32_e32 v22, s13, v22
	v_lshlrev_b32_e32 v18, 3, v4
	s_delay_alu instid0(VALU_DEP_3) | instskip(NEXT) | instid1(VALU_DEP_2)
	v_and_b32_e32 v20, v20, v21
	v_add_lshl_u32 v18, v18, v64, 2
	s_delay_alu instid0(VALU_DEP_2) | instskip(NEXT) | instid1(VALU_DEP_2)
	v_and_b32_e32 v20, v20, v22
	v_add_co_u32 v54, s14, v27, v18
	s_delay_alu instid0(VALU_DEP_1) | instskip(NEXT) | instid1(VALU_DEP_3)
	v_add_co_ci_u32_e64 v55, s14, 0, v39, s14
	v_mbcnt_lo_u32_b32 v4, v20, 0
	v_cmp_ne_u32_e64 s12, 0, v20
	s_delay_alu instid0(VALU_DEP_2) | instskip(NEXT) | instid1(VALU_DEP_1)
	v_cmp_eq_u32_e64 s13, 0, v4
	s_and_b32 s13, s12, s13
	s_delay_alu instid0(SALU_CYCLE_1)
	s_and_saveexec_b32 s12, s13
	s_cbranch_execz .LBB1849_361
; %bb.360:                              ;   in Loop: Header=BB1849_359 Depth=1
	v_bcnt_u32_b32 v18, v20, 0
	flat_store_b32 v[54:55], v18
.LBB1849_361:                           ;   in Loop: Header=BB1849_359 Depth=1
	s_or_b32 exec_lo, exec_lo, s12
	; wave barrier
	s_waitcnt lgkmcnt(0)
	s_waitcnt_vscnt null, 0x0
	s_barrier
	buffer_gl0_inv
	s_clause 0x1
	flat_load_b128 v[22:25], v[8:9] offset:32
	flat_load_b128 v[18:21], v[30:31] offset:16
	s_waitcnt vmcnt(1) lgkmcnt(1)
	v_add_nc_u32_e32 v68, v23, v22
	s_delay_alu instid0(VALU_DEP_1) | instskip(SKIP_1) | instid1(VALU_DEP_1)
	v_add3_u32 v68, v68, v24, v25
	s_waitcnt vmcnt(0) lgkmcnt(0)
	v_add3_u32 v68, v68, v18, v19
	s_delay_alu instid0(VALU_DEP_1) | instskip(NEXT) | instid1(VALU_DEP_1)
	v_add3_u32 v21, v68, v20, v21
	v_mov_b32_dpp v68, v21 row_shr:1 row_mask:0xf bank_mask:0xf
	s_delay_alu instid0(VALU_DEP_1) | instskip(NEXT) | instid1(VALU_DEP_1)
	v_cndmask_b32_e64 v68, v68, 0, vcc_lo
	v_add_nc_u32_e32 v21, v68, v21
	s_delay_alu instid0(VALU_DEP_1) | instskip(NEXT) | instid1(VALU_DEP_1)
	v_mov_b32_dpp v68, v21 row_shr:2 row_mask:0xf bank_mask:0xf
	v_cndmask_b32_e64 v68, 0, v68, s0
	s_delay_alu instid0(VALU_DEP_1) | instskip(NEXT) | instid1(VALU_DEP_1)
	v_add_nc_u32_e32 v21, v21, v68
	v_mov_b32_dpp v68, v21 row_shr:4 row_mask:0xf bank_mask:0xf
	s_delay_alu instid0(VALU_DEP_1) | instskip(NEXT) | instid1(VALU_DEP_1)
	v_cndmask_b32_e64 v68, 0, v68, s1
	v_add_nc_u32_e32 v21, v21, v68
	s_delay_alu instid0(VALU_DEP_1) | instskip(NEXT) | instid1(VALU_DEP_1)
	v_mov_b32_dpp v68, v21 row_shr:8 row_mask:0xf bank_mask:0xf
	v_cndmask_b32_e64 v68, 0, v68, s2
	s_delay_alu instid0(VALU_DEP_1) | instskip(SKIP_3) | instid1(VALU_DEP_1)
	v_add_nc_u32_e32 v21, v21, v68
	ds_swizzle_b32 v68, v21 offset:swizzle(BROADCAST,32,15)
	s_waitcnt lgkmcnt(0)
	v_cndmask_b32_e64 v68, v68, 0, s3
	v_add_nc_u32_e32 v21, v21, v68
	s_and_saveexec_b32 s12, s4
	s_cbranch_execz .LBB1849_363
; %bb.362:                              ;   in Loop: Header=BB1849_359 Depth=1
	flat_store_b32 v[32:33], v21
.LBB1849_363:                           ;   in Loop: Header=BB1849_359 Depth=1
	s_or_b32 exec_lo, exec_lo, s12
	s_waitcnt lgkmcnt(0)
	s_waitcnt_vscnt null, 0x0
	s_barrier
	buffer_gl0_inv
	s_and_saveexec_b32 s12, s5
	s_cbranch_execz .LBB1849_365
; %bb.364:                              ;   in Loop: Header=BB1849_359 Depth=1
	flat_load_b32 v68, v[35:36]
	s_waitcnt vmcnt(0) lgkmcnt(0)
	v_mov_b32_dpp v69, v68 row_shr:1 row_mask:0xf bank_mask:0xf
	s_delay_alu instid0(VALU_DEP_1) | instskip(NEXT) | instid1(VALU_DEP_1)
	v_cndmask_b32_e64 v69, v69, 0, s9
	v_add_nc_u32_e32 v68, v69, v68
	s_delay_alu instid0(VALU_DEP_1) | instskip(NEXT) | instid1(VALU_DEP_1)
	v_mov_b32_dpp v69, v68 row_shr:2 row_mask:0xf bank_mask:0xf
	v_cndmask_b32_e64 v69, 0, v69, s10
	s_delay_alu instid0(VALU_DEP_1) | instskip(NEXT) | instid1(VALU_DEP_1)
	v_add_nc_u32_e32 v68, v68, v69
	v_mov_b32_dpp v69, v68 row_shr:4 row_mask:0xf bank_mask:0xf
	s_delay_alu instid0(VALU_DEP_1) | instskip(NEXT) | instid1(VALU_DEP_1)
	v_cndmask_b32_e64 v69, 0, v69, s11
	v_add_nc_u32_e32 v68, v68, v69
	flat_store_b32 v[35:36], v68
.LBB1849_365:                           ;   in Loop: Header=BB1849_359 Depth=1
	s_or_b32 exec_lo, exec_lo, s12
	v_mov_b32_e32 v68, 0
	s_waitcnt lgkmcnt(0)
	s_waitcnt_vscnt null, 0x0
	s_barrier
	buffer_gl0_inv
	s_and_saveexec_b32 s12, s6
	s_cbranch_execz .LBB1849_367
; %bb.366:                              ;   in Loop: Header=BB1849_359 Depth=1
	flat_load_b32 v68, v[48:49]
.LBB1849_367:                           ;   in Loop: Header=BB1849_359 Depth=1
	s_or_b32 exec_lo, exec_lo, s12
	s_waitcnt vmcnt(0) lgkmcnt(0)
	v_add_nc_u32_e32 v21, v68, v21
	v_add_nc_u32_e32 v10, 8, v10
	s_mov_b32 s14, -1
	ds_bpermute_b32 v21, v65, v21
	s_waitcnt lgkmcnt(0)
	v_cndmask_b32_e64 v21, v21, v68, s7
	s_delay_alu instid0(VALU_DEP_1) | instskip(NEXT) | instid1(VALU_DEP_1)
	v_cndmask_b32_e64 v21, v21, 0, s8
	v_add_nc_u32_e32 v22, v21, v22
	s_delay_alu instid0(VALU_DEP_1) | instskip(NEXT) | instid1(VALU_DEP_1)
	v_add_nc_u32_e32 v23, v22, v23
	v_add_nc_u32_e32 v24, v23, v24
	s_delay_alu instid0(VALU_DEP_1) | instskip(NEXT) | instid1(VALU_DEP_1)
	v_add_nc_u32_e32 v68, v24, v25
	;; [unrolled: 3-line block ×3, first 2 shown]
	v_add_nc_u32_e32 v71, v70, v20
	s_clause 0x1
	flat_store_b128 v[8:9], v[21:24] offset:32
	flat_store_b128 v[30:31], v[68:71] offset:16
	s_waitcnt lgkmcnt(0)
	s_waitcnt_vscnt null, 0x0
	s_barrier
	buffer_gl0_inv
	flat_load_b32 v18, v[54:55]
	s_waitcnt vmcnt(0) lgkmcnt(0)
	s_waitcnt_vscnt null, 0x0
                                        ; implicit-def: $vgpr22
	s_waitcnt vmcnt(0) lgkmcnt(0)
	v_add_nc_u32_e32 v4, v18, v4
	s_delay_alu instid0(VALU_DEP_1) | instskip(NEXT) | instid1(VALU_DEP_1)
	v_lshlrev_b64 v[18:19], 1, v[4:5]
	v_add_co_u32 v20, s13, v12, v18
	s_delay_alu instid0(VALU_DEP_1)
	v_add_co_ci_u32_e64 v21, s13, v13, v19, s13
	s_mov_b32 s13, exec_lo
                                        ; implicit-def: $vgpr18_vgpr19
	v_cmpx_lt_u32_e64 v10, v11
	s_cbranch_execz .LBB1849_358
; %bb.368:                              ;   in Loop: Header=BB1849_359 Depth=1
	s_delay_alu instid0(VALU_DEP_2)
	v_mad_u64_u32 v[18:19], null, v4, 6, v[20:21]
	s_barrier
	buffer_gl0_inv
	flat_store_b16 v[20:21], v67
	s_waitcnt lgkmcnt(0)
	s_waitcnt_vscnt null, 0x0
	s_barrier
	buffer_gl0_inv
	flat_load_u16 v22, v[37:38]
	s_waitcnt vmcnt(0) lgkmcnt(0)
	s_barrier
	buffer_gl0_inv
	flat_store_b64 v[18:19], v[52:53]
	s_waitcnt lgkmcnt(0)
	s_waitcnt_vscnt null, 0x0
	s_barrier
	buffer_gl0_inv
	flat_load_b64 v[18:19], v[50:51]
	v_add_nc_u32_e32 v66, -8, v66
	s_xor_b32 s14, exec_lo, -1
	s_waitcnt vmcnt(0) lgkmcnt(0)
	s_barrier
	buffer_gl0_inv
	s_branch .LBB1849_358
.LBB1849_369:
	s_or_b32 exec_lo, exec_lo, s16
	v_lshlrev_b32_e32 v5, 1, v34
	s_barrier
	buffer_gl0_inv
	flat_store_b16 v[20:21], v67
	s_waitcnt lgkmcnt(0)
	s_waitcnt_vscnt null, 0x0
	v_add_co_u32 v9, vcc_lo, v12, v5
	v_add_co_ci_u32_e32 v10, vcc_lo, 0, v13, vcc_lo
	v_mad_u64_u32 v[11:12], null, v4, 6, v[20:21]
	s_barrier
	s_delay_alu instid0(VALU_DEP_2)
	v_mad_u64_u32 v[4:5], null, v34, 6, v[9:10]
	buffer_gl0_inv
	flat_load_u16 v8, v[9:10]
	s_waitcnt vmcnt(0) lgkmcnt(0)
	s_barrier
	buffer_gl0_inv
	flat_store_b64 v[11:12], v[52:53]
	s_waitcnt lgkmcnt(0)
	s_waitcnt_vscnt null, 0x0
	s_barrier
	buffer_gl0_inv
	flat_load_b64 v[4:5], v[4:5]
	v_mov_b32_e32 v27, 0
	s_mov_b32 s0, exec_lo
	s_waitcnt vmcnt(0) lgkmcnt(0)
	s_barrier
	buffer_gl0_inv
	v_cmpx_lt_u32_e64 v26, v47
	s_cbranch_execz .LBB1849_371
; %bb.370:
	v_lshlrev_b64 v[9:10], 1, v[26:27]
	v_add_co_u32 v2, vcc_lo, v2, v28
	v_add_co_ci_u32_e32 v3, vcc_lo, v3, v29, vcc_lo
	s_delay_alu instid0(VALU_DEP_2) | instskip(NEXT) | instid1(VALU_DEP_2)
	v_add_co_u32 v2, vcc_lo, v2, v9
	v_add_co_ci_u32_e32 v3, vcc_lo, v3, v10, vcc_lo
	v_cmp_lt_i16_e32 vcc_lo, -1, v8
	v_lshlrev_b64 v[9:10], 3, v[26:27]
	v_cndmask_b32_e64 v11, 0xffff8000, -1, vcc_lo
	v_add_co_u32 v0, vcc_lo, v6, v0
	v_add_co_ci_u32_e32 v1, vcc_lo, v7, v1, vcc_lo
	s_delay_alu instid0(VALU_DEP_3) | instskip(NEXT) | instid1(VALU_DEP_3)
	v_xor_b32_e32 v6, v11, v8
	v_add_co_u32 v0, vcc_lo, v0, v9
	s_delay_alu instid0(VALU_DEP_3)
	v_add_co_ci_u32_e32 v1, vcc_lo, v1, v10, vcc_lo
	flat_store_b16 v[2:3], v6
	flat_store_b64 v[0:1], v[4:5]
.LBB1849_371:
	s_or_b32 exec_lo, exec_lo, s0
.LBB1849_372:
	s_delay_alu instid0(SALU_CYCLE_1)
	s_or_b32 exec_lo, exec_lo, s24
	s_clause 0x1f
	scratch_load_b32 v141, off, s32
	scratch_load_b32 v140, off, s32 offset:4
	scratch_load_b32 v139, off, s32 offset:8
	;; [unrolled: 1-line block ×31, first 2 shown]
	s_clause 0x15
	scratch_load_b32 v77, off, s32 offset:128
	scratch_load_b32 v76, off, s32 offset:132
	;; [unrolled: 1-line block ×22, first 2 shown]
	s_waitcnt vmcnt(0) lgkmcnt(0)
	s_setpc_b64 s[30:31]
.Lfunc_end1849:
	.size	_ZN7rocprim17ROCPRIM_400000_NS6detail40segmented_radix_sort_single_block_helperI6__halflLj256ELj16ELb0EE4sortIPKS3_PS3_PKlPlEEbT_T0_T1_T2_jjjjRNS4_12storage_typeE, .Lfunc_end1849-_ZN7rocprim17ROCPRIM_400000_NS6detail40segmented_radix_sort_single_block_helperI6__halflLj256ELj16ELb0EE4sortIPKS3_PS3_PKlPlEEbT_T0_T1_T2_jjjjRNS4_12storage_typeE
                                        ; -- End function
	.section	.AMDGPU.csdata,"",@progbits
; Function info:
; codeLenInByte = 34012
; NumSgprs: 35
; NumVgprs: 248
; ScratchSize: 220
; MemoryBound: 1
	.section	.text._ZN7rocprim17ROCPRIM_400000_NS6detail17trampoline_kernelINS0_14default_configENS1_36segmented_radix_sort_config_selectorI6__halflEEZNS1_25segmented_radix_sort_implIS3_Lb0EPKS5_PS5_PKlPlN2at6native12_GLOBAL__N_18offset_tEEE10hipError_tPvRmT1_PNSt15iterator_traitsISL_E10value_typeET2_T3_PNSM_ISR_E10value_typeET4_jRbjT5_SX_jjP12ihipStream_tbEUlT_E_NS1_11comp_targetILNS1_3genE9ELNS1_11target_archE1100ELNS1_3gpuE3ELNS1_3repE0EEENS1_30default_config_static_selectorELNS0_4arch9wavefront6targetE0EEEvSL_,"axG",@progbits,_ZN7rocprim17ROCPRIM_400000_NS6detail17trampoline_kernelINS0_14default_configENS1_36segmented_radix_sort_config_selectorI6__halflEEZNS1_25segmented_radix_sort_implIS3_Lb0EPKS5_PS5_PKlPlN2at6native12_GLOBAL__N_18offset_tEEE10hipError_tPvRmT1_PNSt15iterator_traitsISL_E10value_typeET2_T3_PNSM_ISR_E10value_typeET4_jRbjT5_SX_jjP12ihipStream_tbEUlT_E_NS1_11comp_targetILNS1_3genE9ELNS1_11target_archE1100ELNS1_3gpuE3ELNS1_3repE0EEENS1_30default_config_static_selectorELNS0_4arch9wavefront6targetE0EEEvSL_,comdat
	.globl	_ZN7rocprim17ROCPRIM_400000_NS6detail17trampoline_kernelINS0_14default_configENS1_36segmented_radix_sort_config_selectorI6__halflEEZNS1_25segmented_radix_sort_implIS3_Lb0EPKS5_PS5_PKlPlN2at6native12_GLOBAL__N_18offset_tEEE10hipError_tPvRmT1_PNSt15iterator_traitsISL_E10value_typeET2_T3_PNSM_ISR_E10value_typeET4_jRbjT5_SX_jjP12ihipStream_tbEUlT_E_NS1_11comp_targetILNS1_3genE9ELNS1_11target_archE1100ELNS1_3gpuE3ELNS1_3repE0EEENS1_30default_config_static_selectorELNS0_4arch9wavefront6targetE0EEEvSL_ ; -- Begin function _ZN7rocprim17ROCPRIM_400000_NS6detail17trampoline_kernelINS0_14default_configENS1_36segmented_radix_sort_config_selectorI6__halflEEZNS1_25segmented_radix_sort_implIS3_Lb0EPKS5_PS5_PKlPlN2at6native12_GLOBAL__N_18offset_tEEE10hipError_tPvRmT1_PNSt15iterator_traitsISL_E10value_typeET2_T3_PNSM_ISR_E10value_typeET4_jRbjT5_SX_jjP12ihipStream_tbEUlT_E_NS1_11comp_targetILNS1_3genE9ELNS1_11target_archE1100ELNS1_3gpuE3ELNS1_3repE0EEENS1_30default_config_static_selectorELNS0_4arch9wavefront6targetE0EEEvSL_
	.p2align	8
	.type	_ZN7rocprim17ROCPRIM_400000_NS6detail17trampoline_kernelINS0_14default_configENS1_36segmented_radix_sort_config_selectorI6__halflEEZNS1_25segmented_radix_sort_implIS3_Lb0EPKS5_PS5_PKlPlN2at6native12_GLOBAL__N_18offset_tEEE10hipError_tPvRmT1_PNSt15iterator_traitsISL_E10value_typeET2_T3_PNSM_ISR_E10value_typeET4_jRbjT5_SX_jjP12ihipStream_tbEUlT_E_NS1_11comp_targetILNS1_3genE9ELNS1_11target_archE1100ELNS1_3gpuE3ELNS1_3repE0EEENS1_30default_config_static_selectorELNS0_4arch9wavefront6targetE0EEEvSL_,@function
_ZN7rocprim17ROCPRIM_400000_NS6detail17trampoline_kernelINS0_14default_configENS1_36segmented_radix_sort_config_selectorI6__halflEEZNS1_25segmented_radix_sort_implIS3_Lb0EPKS5_PS5_PKlPlN2at6native12_GLOBAL__N_18offset_tEEE10hipError_tPvRmT1_PNSt15iterator_traitsISL_E10value_typeET2_T3_PNSM_ISR_E10value_typeET4_jRbjT5_SX_jjP12ihipStream_tbEUlT_E_NS1_11comp_targetILNS1_3genE9ELNS1_11target_archE1100ELNS1_3gpuE3ELNS1_3repE0EEENS1_30default_config_static_selectorELNS0_4arch9wavefront6targetE0EEEvSL_: ; @_ZN7rocprim17ROCPRIM_400000_NS6detail17trampoline_kernelINS0_14default_configENS1_36segmented_radix_sort_config_selectorI6__halflEEZNS1_25segmented_radix_sort_implIS3_Lb0EPKS5_PS5_PKlPlN2at6native12_GLOBAL__N_18offset_tEEE10hipError_tPvRmT1_PNSt15iterator_traitsISL_E10value_typeET2_T3_PNSM_ISR_E10value_typeET4_jRbjT5_SX_jjP12ihipStream_tbEUlT_E_NS1_11comp_targetILNS1_3genE9ELNS1_11target_archE1100ELNS1_3gpuE3ELNS1_3repE0EEENS1_30default_config_static_selectorELNS0_4arch9wavefront6targetE0EEEvSL_
; %bb.0:
	s_clause 0x1
	s_load_b64 s[2:3], s[0:1], 0x38
	s_load_b128 s[4:7], s[0:1], 0x40
	s_mov_b32 s26, s14
	s_mov_b32 s27, 0
	;; [unrolled: 1-line block ×3, first 2 shown]
	s_lshl_b64 s[8:9], s[26:27], 2
	s_waitcnt lgkmcnt(0)
	s_add_u32 s2, s2, s8
	s_addc_u32 s3, s3, s9
	s_load_b32 s2, s[2:3], 0x0
	s_waitcnt lgkmcnt(0)
	s_add_i32 s52, s2, s5
	s_add_i32 s53, s2, s7
	s_mul_i32 s52, s52, s4
	s_mul_i32 s53, s53, s6
	s_delay_alu instid0(SALU_CYCLE_1)
	s_cmp_le_u32 s53, s52
	s_cbranch_scc1 .LBB1850_1190
; %bb.1:
	s_clause 0x3
	s_load_b32 s2, s[0:1], 0x30
	s_load_b128 s[44:47], s[0:1], 0x20
	s_load_b128 s[48:51], s[0:1], 0x50
	s_load_b256 s[36:43], s[0:1], 0x0
	s_waitcnt lgkmcnt(0)
	s_bitcmp1_b32 s2, 0
	s_mov_b32 s2, -1
	s_cselect_b32 s51, -1, 0
	s_sub_i32 s54, s53, s52
	s_delay_alu instid0(SALU_CYCLE_1)
	s_cmpk_lt_u32 s54, 0x1001
	s_cbranch_scc0 .LBB1850_7
; %bb.2:
	v_cndmask_b32_e64 v1, 0, 1, s51
	s_and_b32 s2, s48, 1
	s_delay_alu instid0(VALU_DEP_1) | instid1(SALU_CYCLE_1)
	v_cmp_ne_u32_e32 vcc_lo, s2, v1
	s_mov_b32 s2, -1
	s_cbranch_vccnz .LBB1850_4
; %bb.3:
	s_mov_b64 s[2:3], src_shared_base
	v_mov_b32_e32 v31, v0
	v_dual_mov_b32 v40, v0 :: v_dual_mov_b32 v1, s37
	v_mov_b32_e32 v0, s36
	v_dual_mov_b32 v2, s40 :: v_dual_mov_b32 v3, s41
	v_dual_mov_b32 v4, s42 :: v_dual_mov_b32 v5, s43
	;; [unrolled: 1-line block ×6, first 2 shown]
	s_add_u32 s8, s0, 0x60
	s_addc_u32 s9, s1, 0
	s_mov_b32 s12, s26
	s_mov_b32 s13, s15
	s_getpc_b64 s[4:5]
	s_add_u32 s4, s4, _ZN7rocprim17ROCPRIM_400000_NS6detail40segmented_radix_sort_single_block_helperI6__halflLj256ELj16ELb0EE4sortIPKS3_PS3_PKlPlEEbT_T0_T1_T2_jjjjRNS4_12storage_typeE@rel32@lo+4
	s_addc_u32 s5, s5, _ZN7rocprim17ROCPRIM_400000_NS6detail40segmented_radix_sort_single_block_helperI6__halflLj256ELj16ELb0EE4sortIPKS3_PS3_PKlPlEEbT_T0_T1_T2_jjjjRNS4_12storage_typeE@rel32@hi+12
	s_mov_b64 s[28:29], s[0:1]
	s_mov_b32 s27, s15
	s_swappc_b64 s[30:31], s[4:5]
	v_mov_b32_e32 v0, v40
	s_mov_b32 s15, s27
	s_mov_b64 s[0:1], s[28:29]
	s_mov_b32 s2, 0
.LBB1850_4:
	s_delay_alu instid0(SALU_CYCLE_1)
	s_and_not1_b32 vcc_lo, exec_lo, s2
	s_cbranch_vccnz .LBB1850_6
; %bb.5:
	s_mov_b64 s[2:3], src_shared_base
	v_mov_b32_e32 v31, v0
	v_dual_mov_b32 v40, v0 :: v_dual_mov_b32 v1, s37
	v_mov_b32_e32 v0, s36
	v_dual_mov_b32 v2, s38 :: v_dual_mov_b32 v3, s39
	v_dual_mov_b32 v4, s42 :: v_dual_mov_b32 v5, s43
	;; [unrolled: 1-line block ×6, first 2 shown]
	s_add_u32 s8, s0, 0x60
	s_addc_u32 s9, s1, 0
	s_mov_b32 s12, s26
	s_mov_b32 s13, s15
	s_getpc_b64 s[4:5]
	s_add_u32 s4, s4, _ZN7rocprim17ROCPRIM_400000_NS6detail40segmented_radix_sort_single_block_helperI6__halflLj256ELj16ELb0EE4sortIPKS3_PS3_PKlPlEEbT_T0_T1_T2_jjjjRNS4_12storage_typeE@rel32@lo+4
	s_addc_u32 s5, s5, _ZN7rocprim17ROCPRIM_400000_NS6detail40segmented_radix_sort_single_block_helperI6__halflLj256ELj16ELb0EE4sortIPKS3_PS3_PKlPlEEbT_T0_T1_T2_jjjjRNS4_12storage_typeE@rel32@hi+12
	s_mov_b64 s[28:29], s[0:1]
	s_mov_b32 s27, s15
	s_swappc_b64 s[30:31], s[4:5]
	v_mov_b32_e32 v0, v40
	s_mov_b32 s15, s27
	s_mov_b64 s[0:1], s[28:29]
.LBB1850_6:
	s_mov_b32 s2, 0
.LBB1850_7:
	s_delay_alu instid0(SALU_CYCLE_1)
	s_and_not1_b32 vcc_lo, exec_lo, s2
	s_cbranch_vccnz .LBB1850_1190
; %bb.8:
	s_cmp_ge_u32 s49, s50
	s_cbranch_scc1 .LBB1850_1190
; %bb.9:
	v_dual_mov_b32 v94, 1 :: v_dual_and_b32 v1, 0x3ff, v0
	v_mov_b32_e32 v3, 0
	v_bfe_u32 v70, v0, 20, 10
	v_bfe_u32 v0, v0, 10, 10
	s_delay_alu instid0(VALU_DEP_4)
	v_lshlrev_b32_e32 v44, 2, v1
	v_lshrrev_b32_e32 v4, 3, v1
	v_or_b32_e32 v5, 31, v1
	v_lshlrev_b32_e32 v6, 5, v1
	v_lshlrev_b32_e32 v2, 1, v1
	v_mad_u32_u24 v64, v1, 12, v44
	v_and_b32_e32 v62, 28, v4
	v_lshlrev_b32_e32 v4, 4, v1
	v_cmp_eq_u32_e64 s3, v5, v1
	v_add_nc_u32_e32 v5, 1, v1
	v_mad_u32_u24 v69, v1, 20, v64
	v_or_b32_e32 v55, 0x800, v1
	v_and_b32_e32 v68, 0xe00, v4
	v_mul_u32_u24_e32 v4, 9, v1
	v_or_b32_e32 v56, 0x900, v1
	v_sub_nc_u32_e32 v72, v69, v6
	v_or_b32_e32 v57, 0xa00, v1
	v_lshlrev_b32_e32 v6, 3, v68
	v_lshl_add_u32 v71, v4, 2, 0x420
	v_mul_u32_u24_e32 v4, 9, v5
	v_or_b32_e32 v58, 0xb00, v1
	v_or_b32_e32 v59, 0xc00, v1
	v_add_co_u32 v74, s8, s46, v6
	s_delay_alu instid0(VALU_DEP_4) | instskip(SKIP_4) | instid1(VALU_DEP_4)
	v_lshlrev_b32_e32 v73, 2, v4
	v_lshlrev_b32_e32 v4, 1, v68
	v_add_co_ci_u32_e64 v75, null, s47, 0, s8
	v_or_b32_e32 v60, 0xd00, v1
	v_or_b32_e32 v61, 0xe00, v1
	v_add_co_u32 v76, s8, s40, v4
	s_delay_alu instid0(VALU_DEP_1) | instskip(SKIP_1) | instid1(VALU_DEP_1)
	v_add_co_ci_u32_e64 v77, null, s41, 0, s8
	v_add_co_u32 v82, s8, s38, v2
	v_add_co_ci_u32_e64 v83, null, s39, 0, s8
	v_add_co_u32 v84, s8, s44, v6
	s_delay_alu instid0(VALU_DEP_1) | instskip(SKIP_1) | instid1(VALU_DEP_1)
	v_add_co_ci_u32_e64 v85, null, s45, 0, s8
	v_add_co_u32 v86, s8, s38, v4
	v_add_co_ci_u32_e64 v87, null, s39, 0, s8
	v_add_co_u32 v88, s8, s36, v2
	v_or_b32_e32 v63, 0xf00, v1
	v_add_co_ci_u32_e64 v89, null, s37, 0, s8
	v_add_co_u32 v90, s8, s42, v6
	v_add_co_u32 v49, s2, s40, v2
	v_add_co_ci_u32_e64 v91, null, s43, 0, s8
	v_add_co_u32 v92, s8, s36, v4
	v_or_b32_e32 v45, 0x100, v1
	v_or_b32_e32 v46, 0x200, v1
	;; [unrolled: 1-line block ×3, first 2 shown]
	v_and_b32_e32 v48, 3, v1
	v_add_co_ci_u32_e64 v50, null, s41, 0, s2
	v_or_b32_e32 v51, 0x400, v1
	v_or_b32_e32 v52, 0x500, v1
	;; [unrolled: 1-line block ×4, first 2 shown]
	v_cmp_gt_u32_e64 s2, 0x100, v1
	v_or_b32_e32 v65, 0x8400, v62
	v_cmp_gt_u32_e64 s4, 8, v1
	v_add_nc_u32_e32 v66, 0x8400, v44
	v_cmp_lt_u32_e64 s5, 31, v1
	v_add_nc_u32_e32 v67, 0x83fc, v62
	v_cmp_eq_u32_e64 s6, 0, v1
	v_cmp_ne_u32_e64 s7, 0x100, v5
	v_sub_nc_u32_e32 v78, 0, v2
	v_add_nc_u32_e32 v79, 0x400, v2
	v_lshlrev_b32_e32 v80, 3, v1
	v_mul_u32_u24_e32 v81, 6, v1
	v_add_co_ci_u32_e64 v93, null, s37, 0, s8
	v_lshlrev_b32_e32 v95, 1, v1
	v_lshlrev_b32_e32 v96, 1, v55
	;; [unrolled: 1-line block ×9, first 2 shown]
	v_mbcnt_lo_u32_b32 v104, -1, 0
	s_add_u32 s42, s0, 0x60
	s_mov_b32 s35, 0
	s_addc_u32 s43, s1, 0
	s_mov_b32 s48, s49
	s_branch .LBB1850_12
.LBB1850_10:                            ;   in Loop: Header=BB1850_12 Depth=1
	s_waitcnt lgkmcnt(0)
	s_barrier
.LBB1850_11:                            ;   in Loop: Header=BB1850_12 Depth=1
	s_add_i32 s48, s48, 8
	buffer_gl0_inv
	s_cmp_ge_u32 s48, s50
	s_cbranch_scc1 .LBB1850_1190
.LBB1850_12:                            ; =>This Loop Header: Depth=1
                                        ;     Child Loop BB1850_16 Depth 2
                                        ;     Child Loop BB1850_98 Depth 2
	;; [unrolled: 1-line block ×8, first 2 shown]
	s_sub_i32 s0, s50, s48
	s_xor_b32 s51, s51, -1
	s_min_u32 s0, s0, 8
	ds_store_2addr_stride64_b32 v44, v3, v3 offset1:4
	s_lshl_b32 s0, -1, s0
	ds_store_2addr_stride64_b32 v44, v3, v3 offset0:8 offset1:12
	s_not_b32 s55, s0
	s_cmp_lg_u32 s48, s49
	s_mov_b32 s0, -1
	s_waitcnt lgkmcnt(0)
	s_waitcnt_vscnt null, 0x0
	s_cbranch_scc0 .LBB1850_602
; %bb.13:                               ;   in Loop: Header=BB1850_12 Depth=1
	s_and_b32 vcc_lo, exec_lo, s51
	s_cbranch_vccz .LBB1850_307
; %bb.14:                               ;   in Loop: Header=BB1850_12 Depth=1
	s_mov_b32 s8, s54
	s_mov_b32 s34, s52
	s_barrier
	buffer_gl0_inv
                                        ; implicit-def: $vgpr20
                                        ; implicit-def: $vgpr2
                                        ; implicit-def: $vgpr6
                                        ; implicit-def: $vgpr7
                                        ; implicit-def: $vgpr8
                                        ; implicit-def: $vgpr9
                                        ; implicit-def: $vgpr10
                                        ; implicit-def: $vgpr11
                                        ; implicit-def: $vgpr12
                                        ; implicit-def: $vgpr13
                                        ; implicit-def: $vgpr14
                                        ; implicit-def: $vgpr15
                                        ; implicit-def: $vgpr16
                                        ; implicit-def: $vgpr17
                                        ; implicit-def: $vgpr18
                                        ; implicit-def: $vgpr19
	s_branch .LBB1850_16
.LBB1850_15:                            ;   in Loop: Header=BB1850_16 Depth=2
	s_or_b32 exec_lo, exec_lo, s0
	s_addk_i32 s8, 0xf000
	s_cmp_ge_u32 s9, s53
	s_mov_b32 s34, s9
	s_cbranch_scc1 .LBB1850_86
.LBB1850_16:                            ;   Parent Loop BB1850_12 Depth=1
                                        ; =>  This Inner Loop Header: Depth=2
	s_add_i32 s9, s34, 0x1000
	s_delay_alu instid0(SALU_CYCLE_1)
	s_cmp_gt_u32 s9, s53
	s_cbranch_scc1 .LBB1850_19
; %bb.17:                               ;   in Loop: Header=BB1850_16 Depth=2
	s_mov_b32 s1, 0
	s_mov_b32 s0, s34
	s_delay_alu instid0(SALU_CYCLE_1) | instskip(NEXT) | instid1(SALU_CYCLE_1)
	s_lshl_b64 s[10:11], s[0:1], 1
	v_add_co_u32 v4, vcc_lo, v49, s10
	v_add_co_ci_u32_e32 v5, vcc_lo, s11, v50, vcc_lo
	s_movk_i32 s11, 0x1000
	s_waitcnt vmcnt(0)
	s_delay_alu instid0(VALU_DEP_2) | instskip(NEXT) | instid1(VALU_DEP_2)
	v_add_co_u32 v36, vcc_lo, 0x1000, v4
	v_add_co_ci_u32_e32 v37, vcc_lo, 0, v5, vcc_lo
	s_clause 0xe
	global_load_u16 v22, v[4:5], off
	global_load_u16 v23, v[4:5], off offset:512
	global_load_u16 v24, v[4:5], off offset:1024
	;; [unrolled: 1-line block ×7, first 2 shown]
	global_load_u16 v30, v[36:37], off
	global_load_u16 v31, v[36:37], off offset:512
	global_load_u16 v32, v[36:37], off offset:1024
	;; [unrolled: 1-line block ×6, first 2 shown]
	v_add_co_u32 v4, vcc_lo, 0x1e00, v4
	v_add_co_ci_u32_e32 v5, vcc_lo, 0, v5, vcc_lo
	s_mov_b32 s10, -1
	s_cbranch_execz .LBB1850_20
; %bb.18:                               ;   in Loop: Header=BB1850_16 Depth=2
                                        ; implicit-def: $vgpr19
                                        ; implicit-def: $vgpr18
                                        ; implicit-def: $vgpr17
                                        ; implicit-def: $vgpr16
                                        ; implicit-def: $vgpr15
                                        ; implicit-def: $vgpr14
                                        ; implicit-def: $vgpr13
                                        ; implicit-def: $vgpr12
                                        ; implicit-def: $vgpr11
                                        ; implicit-def: $vgpr10
                                        ; implicit-def: $vgpr9
                                        ; implicit-def: $vgpr8
                                        ; implicit-def: $vgpr7
                                        ; implicit-def: $vgpr6
                                        ; implicit-def: $vgpr2
                                        ; implicit-def: $vgpr20
	v_mov_b32_e32 v21, s8
	s_and_saveexec_b32 s0, s10
	s_cbranch_execnz .LBB1850_39
	s_branch .LBB1850_40
.LBB1850_19:                            ;   in Loop: Header=BB1850_16 Depth=2
	s_mov_b32 s10, 0
                                        ; implicit-def: $sgpr11
                                        ; implicit-def: $vgpr22
                                        ; implicit-def: $vgpr23
                                        ; implicit-def: $vgpr24
                                        ; implicit-def: $vgpr25
                                        ; implicit-def: $vgpr26
                                        ; implicit-def: $vgpr27
                                        ; implicit-def: $vgpr28
                                        ; implicit-def: $vgpr29
                                        ; implicit-def: $vgpr30
                                        ; implicit-def: $vgpr31
                                        ; implicit-def: $vgpr32
                                        ; implicit-def: $vgpr33
                                        ; implicit-def: $vgpr34
                                        ; implicit-def: $vgpr35
                                        ; implicit-def: $vgpr36
                                        ; implicit-def: $vgpr4_vgpr5
.LBB1850_20:                            ;   in Loop: Header=BB1850_16 Depth=2
	s_lshl_b64 s[0:1], s[34:35], 1
	s_mov_b32 s11, exec_lo
	s_add_u32 s0, s40, s0
	s_addc_u32 s1, s41, s1
	v_cmpx_gt_u32_e64 s8, v1
	s_cbranch_execz .LBB1850_72
; %bb.21:                               ;   in Loop: Header=BB1850_16 Depth=2
	global_load_u16 v19, v95, s[0:1]
	s_or_b32 exec_lo, exec_lo, s11
	s_delay_alu instid0(SALU_CYCLE_1)
	s_mov_b32 s11, exec_lo
	v_cmpx_gt_u32_e64 s8, v45
	s_cbranch_execnz .LBB1850_73
.LBB1850_22:                            ;   in Loop: Header=BB1850_16 Depth=2
	s_or_b32 exec_lo, exec_lo, s11
	s_delay_alu instid0(SALU_CYCLE_1)
	s_mov_b32 s11, exec_lo
	v_cmpx_gt_u32_e64 s8, v46
	s_cbranch_execz .LBB1850_74
.LBB1850_23:                            ;   in Loop: Header=BB1850_16 Depth=2
	global_load_u16 v17, v95, s[0:1] offset:1024
	s_or_b32 exec_lo, exec_lo, s11
	s_delay_alu instid0(SALU_CYCLE_1)
	s_mov_b32 s11, exec_lo
	v_cmpx_gt_u32_e64 s8, v47
	s_cbranch_execnz .LBB1850_75
.LBB1850_24:                            ;   in Loop: Header=BB1850_16 Depth=2
	s_or_b32 exec_lo, exec_lo, s11
	s_delay_alu instid0(SALU_CYCLE_1)
	s_mov_b32 s11, exec_lo
	v_cmpx_gt_u32_e64 s8, v51
	s_cbranch_execz .LBB1850_76
.LBB1850_25:                            ;   in Loop: Header=BB1850_16 Depth=2
	global_load_u16 v15, v95, s[0:1] offset:2048
	s_or_b32 exec_lo, exec_lo, s11
	s_delay_alu instid0(SALU_CYCLE_1)
	s_mov_b32 s11, exec_lo
	v_cmpx_gt_u32_e64 s8, v52
	s_cbranch_execnz .LBB1850_77
.LBB1850_26:                            ;   in Loop: Header=BB1850_16 Depth=2
	s_or_b32 exec_lo, exec_lo, s11
	s_delay_alu instid0(SALU_CYCLE_1)
	s_mov_b32 s11, exec_lo
	v_cmpx_gt_u32_e64 s8, v53
	s_cbranch_execz .LBB1850_78
.LBB1850_27:                            ;   in Loop: Header=BB1850_16 Depth=2
	global_load_u16 v13, v95, s[0:1] offset:3072
	s_or_b32 exec_lo, exec_lo, s11
	s_delay_alu instid0(SALU_CYCLE_1)
	s_mov_b32 s11, exec_lo
	v_cmpx_gt_u32_e64 s8, v54
	s_cbranch_execnz .LBB1850_79
.LBB1850_28:                            ;   in Loop: Header=BB1850_16 Depth=2
	s_or_b32 exec_lo, exec_lo, s11
	s_delay_alu instid0(SALU_CYCLE_1)
	s_mov_b32 s11, exec_lo
	v_cmpx_gt_u32_e64 s8, v55
	s_cbranch_execz .LBB1850_80
.LBB1850_29:                            ;   in Loop: Header=BB1850_16 Depth=2
	global_load_u16 v11, v96, s[0:1]
	s_or_b32 exec_lo, exec_lo, s11
	s_delay_alu instid0(SALU_CYCLE_1)
	s_mov_b32 s11, exec_lo
	v_cmpx_gt_u32_e64 s8, v56
	s_cbranch_execnz .LBB1850_81
.LBB1850_30:                            ;   in Loop: Header=BB1850_16 Depth=2
	s_or_b32 exec_lo, exec_lo, s11
	s_delay_alu instid0(SALU_CYCLE_1)
	s_mov_b32 s11, exec_lo
	v_cmpx_gt_u32_e64 s8, v57
	s_cbranch_execz .LBB1850_82
.LBB1850_31:                            ;   in Loop: Header=BB1850_16 Depth=2
	global_load_u16 v9, v98, s[0:1]
	s_or_b32 exec_lo, exec_lo, s11
	s_delay_alu instid0(SALU_CYCLE_1)
	s_mov_b32 s11, exec_lo
	v_cmpx_gt_u32_e64 s8, v58
	s_cbranch_execnz .LBB1850_83
.LBB1850_32:                            ;   in Loop: Header=BB1850_16 Depth=2
	s_or_b32 exec_lo, exec_lo, s11
	s_delay_alu instid0(SALU_CYCLE_1)
	s_mov_b32 s11, exec_lo
	v_cmpx_gt_u32_e64 s8, v59
	s_cbranch_execz .LBB1850_84
.LBB1850_33:                            ;   in Loop: Header=BB1850_16 Depth=2
	global_load_u16 v7, v100, s[0:1]
	s_or_b32 exec_lo, exec_lo, s11
	s_delay_alu instid0(SALU_CYCLE_1)
	s_mov_b32 s11, exec_lo
	v_cmpx_gt_u32_e64 s8, v60
	s_cbranch_execnz .LBB1850_85
.LBB1850_34:                            ;   in Loop: Header=BB1850_16 Depth=2
	s_or_b32 exec_lo, exec_lo, s11
	s_delay_alu instid0(SALU_CYCLE_1)
	s_mov_b32 s11, exec_lo
	v_cmpx_gt_u32_e64 s8, v61
	s_cbranch_execz .LBB1850_36
.LBB1850_35:                            ;   in Loop: Header=BB1850_16 Depth=2
	global_load_u16 v2, v102, s[0:1]
.LBB1850_36:                            ;   in Loop: Header=BB1850_16 Depth=2
	s_or_b32 exec_lo, exec_lo, s11
	s_delay_alu instid0(SALU_CYCLE_1)
	s_mov_b32 s12, exec_lo
                                        ; implicit-def: $sgpr11
                                        ; implicit-def: $vgpr4_vgpr5
	v_cmpx_gt_u32_e64 s8, v63
; %bb.37:                               ;   in Loop: Header=BB1850_16 Depth=2
	v_add_co_u32 v4, s0, s0, v103
	s_delay_alu instid0(VALU_DEP_1)
	v_add_co_ci_u32_e64 v5, null, s1, 0, s0
	s_sub_i32 s11, s53, s34
	s_or_b32 s10, s10, exec_lo
                                        ; implicit-def: $vgpr20
; %bb.38:                               ;   in Loop: Header=BB1850_16 Depth=2
	s_or_b32 exec_lo, exec_lo, s12
	s_waitcnt vmcnt(0)
	v_dual_mov_b32 v22, v19 :: v_dual_mov_b32 v23, v18
	v_dual_mov_b32 v24, v17 :: v_dual_mov_b32 v25, v16
	;; [unrolled: 1-line block ×8, first 2 shown]
	s_and_saveexec_b32 s0, s10
	s_cbranch_execz .LBB1850_40
.LBB1850_39:                            ;   in Loop: Header=BB1850_16 Depth=2
	global_load_u16 v20, v[4:5], off
	s_waitcnt vmcnt(1)
	v_dual_mov_b32 v21, s11 :: v_dual_mov_b32 v2, v36
	v_dual_mov_b32 v6, v35 :: v_dual_mov_b32 v7, v34
	;; [unrolled: 1-line block ×8, first 2 shown]
.LBB1850_40:                            ;   in Loop: Header=BB1850_16 Depth=2
	s_or_b32 exec_lo, exec_lo, s0
	s_delay_alu instid0(SALU_CYCLE_1)
	s_mov_b32 s0, exec_lo
	v_cmpx_lt_u32_e64 v1, v21
	s_cbranch_execz .LBB1850_56
; %bb.41:                               ;   in Loop: Header=BB1850_16 Depth=2
	v_cmp_lt_i16_e32 vcc_lo, -1, v19
	v_lshlrev_b32_e32 v5, 2, v48
	v_cndmask_b32_e64 v4, -1, 0xffff8000, vcc_lo
	s_delay_alu instid0(VALU_DEP_1) | instskip(NEXT) | instid1(VALU_DEP_1)
	v_xor_b32_e32 v4, v4, v19
	v_cmp_ne_u16_e32 vcc_lo, 0x7fff, v4
	v_cndmask_b32_e32 v4, 0xffff8000, v4, vcc_lo
	s_delay_alu instid0(VALU_DEP_1) | instskip(NEXT) | instid1(VALU_DEP_1)
	v_and_b32_e32 v4, 0xffff, v4
	v_lshrrev_b32_e32 v4, s48, v4
	s_delay_alu instid0(VALU_DEP_1) | instskip(NEXT) | instid1(VALU_DEP_1)
	v_and_b32_e32 v4, s55, v4
	v_lshl_or_b32 v4, v4, 4, v5
	ds_add_u32 v4, v94
	s_or_b32 exec_lo, exec_lo, s0
	s_delay_alu instid0(SALU_CYCLE_1)
	s_mov_b32 s0, exec_lo
	v_cmpx_lt_u32_e64 v45, v21
	s_cbranch_execnz .LBB1850_57
.LBB1850_42:                            ;   in Loop: Header=BB1850_16 Depth=2
	s_or_b32 exec_lo, exec_lo, s0
	s_delay_alu instid0(SALU_CYCLE_1)
	s_mov_b32 s0, exec_lo
	v_cmpx_lt_u32_e64 v46, v21
	s_cbranch_execz .LBB1850_58
.LBB1850_43:                            ;   in Loop: Header=BB1850_16 Depth=2
	v_cmp_lt_i16_e32 vcc_lo, -1, v17
	v_lshlrev_b32_e32 v5, 2, v48
	v_cndmask_b32_e64 v4, -1, 0xffff8000, vcc_lo
	s_delay_alu instid0(VALU_DEP_1) | instskip(NEXT) | instid1(VALU_DEP_1)
	v_xor_b32_e32 v4, v4, v17
	v_cmp_ne_u16_e32 vcc_lo, 0x7fff, v4
	v_cndmask_b32_e32 v4, 0xffff8000, v4, vcc_lo
	s_delay_alu instid0(VALU_DEP_1) | instskip(NEXT) | instid1(VALU_DEP_1)
	v_and_b32_e32 v4, 0xffff, v4
	v_lshrrev_b32_e32 v4, s48, v4
	s_delay_alu instid0(VALU_DEP_1) | instskip(NEXT) | instid1(VALU_DEP_1)
	v_and_b32_e32 v4, s55, v4
	v_lshl_or_b32 v4, v4, 4, v5
	ds_add_u32 v4, v94
	s_or_b32 exec_lo, exec_lo, s0
	s_delay_alu instid0(SALU_CYCLE_1)
	s_mov_b32 s0, exec_lo
	v_cmpx_lt_u32_e64 v47, v21
	s_cbranch_execnz .LBB1850_59
.LBB1850_44:                            ;   in Loop: Header=BB1850_16 Depth=2
	s_or_b32 exec_lo, exec_lo, s0
	s_delay_alu instid0(SALU_CYCLE_1)
	s_mov_b32 s0, exec_lo
	v_cmpx_lt_u32_e64 v51, v21
	s_cbranch_execz .LBB1850_60
.LBB1850_45:                            ;   in Loop: Header=BB1850_16 Depth=2
	v_cmp_lt_i16_e32 vcc_lo, -1, v15
	v_lshlrev_b32_e32 v5, 2, v48
	v_cndmask_b32_e64 v4, -1, 0xffff8000, vcc_lo
	s_delay_alu instid0(VALU_DEP_1) | instskip(NEXT) | instid1(VALU_DEP_1)
	v_xor_b32_e32 v4, v4, v15
	v_cmp_ne_u16_e32 vcc_lo, 0x7fff, v4
	v_cndmask_b32_e32 v4, 0xffff8000, v4, vcc_lo
	s_delay_alu instid0(VALU_DEP_1) | instskip(NEXT) | instid1(VALU_DEP_1)
	v_and_b32_e32 v4, 0xffff, v4
	v_lshrrev_b32_e32 v4, s48, v4
	s_delay_alu instid0(VALU_DEP_1) | instskip(NEXT) | instid1(VALU_DEP_1)
	v_and_b32_e32 v4, s55, v4
	v_lshl_or_b32 v4, v4, 4, v5
	ds_add_u32 v4, v94
	s_or_b32 exec_lo, exec_lo, s0
	s_delay_alu instid0(SALU_CYCLE_1)
	s_mov_b32 s0, exec_lo
	v_cmpx_lt_u32_e64 v52, v21
	s_cbranch_execnz .LBB1850_61
.LBB1850_46:                            ;   in Loop: Header=BB1850_16 Depth=2
	s_or_b32 exec_lo, exec_lo, s0
	s_delay_alu instid0(SALU_CYCLE_1)
	s_mov_b32 s0, exec_lo
	v_cmpx_lt_u32_e64 v53, v21
	s_cbranch_execz .LBB1850_62
.LBB1850_47:                            ;   in Loop: Header=BB1850_16 Depth=2
	v_cmp_lt_i16_e32 vcc_lo, -1, v13
	v_lshlrev_b32_e32 v5, 2, v48
	v_cndmask_b32_e64 v4, -1, 0xffff8000, vcc_lo
	s_delay_alu instid0(VALU_DEP_1) | instskip(NEXT) | instid1(VALU_DEP_1)
	v_xor_b32_e32 v4, v4, v13
	v_cmp_ne_u16_e32 vcc_lo, 0x7fff, v4
	v_cndmask_b32_e32 v4, 0xffff8000, v4, vcc_lo
	s_delay_alu instid0(VALU_DEP_1) | instskip(NEXT) | instid1(VALU_DEP_1)
	v_and_b32_e32 v4, 0xffff, v4
	v_lshrrev_b32_e32 v4, s48, v4
	s_delay_alu instid0(VALU_DEP_1) | instskip(NEXT) | instid1(VALU_DEP_1)
	v_and_b32_e32 v4, s55, v4
	v_lshl_or_b32 v4, v4, 4, v5
	ds_add_u32 v4, v94
	s_or_b32 exec_lo, exec_lo, s0
	s_delay_alu instid0(SALU_CYCLE_1)
	s_mov_b32 s0, exec_lo
	v_cmpx_lt_u32_e64 v54, v21
	s_cbranch_execnz .LBB1850_63
.LBB1850_48:                            ;   in Loop: Header=BB1850_16 Depth=2
	s_or_b32 exec_lo, exec_lo, s0
	s_delay_alu instid0(SALU_CYCLE_1)
	s_mov_b32 s0, exec_lo
	v_cmpx_lt_u32_e64 v55, v21
	s_cbranch_execz .LBB1850_64
.LBB1850_49:                            ;   in Loop: Header=BB1850_16 Depth=2
	v_cmp_lt_i16_e32 vcc_lo, -1, v11
	v_lshlrev_b32_e32 v5, 2, v48
	v_cndmask_b32_e64 v4, -1, 0xffff8000, vcc_lo
	s_delay_alu instid0(VALU_DEP_1) | instskip(NEXT) | instid1(VALU_DEP_1)
	v_xor_b32_e32 v4, v4, v11
	v_cmp_ne_u16_e32 vcc_lo, 0x7fff, v4
	v_cndmask_b32_e32 v4, 0xffff8000, v4, vcc_lo
	s_delay_alu instid0(VALU_DEP_1) | instskip(NEXT) | instid1(VALU_DEP_1)
	v_and_b32_e32 v4, 0xffff, v4
	v_lshrrev_b32_e32 v4, s48, v4
	s_delay_alu instid0(VALU_DEP_1) | instskip(NEXT) | instid1(VALU_DEP_1)
	v_and_b32_e32 v4, s55, v4
	v_lshl_or_b32 v4, v4, 4, v5
	ds_add_u32 v4, v94
	s_or_b32 exec_lo, exec_lo, s0
	s_delay_alu instid0(SALU_CYCLE_1)
	s_mov_b32 s0, exec_lo
	v_cmpx_lt_u32_e64 v56, v21
	s_cbranch_execnz .LBB1850_65
.LBB1850_50:                            ;   in Loop: Header=BB1850_16 Depth=2
	s_or_b32 exec_lo, exec_lo, s0
	s_delay_alu instid0(SALU_CYCLE_1)
	s_mov_b32 s0, exec_lo
	v_cmpx_lt_u32_e64 v57, v21
	s_cbranch_execz .LBB1850_66
.LBB1850_51:                            ;   in Loop: Header=BB1850_16 Depth=2
	v_cmp_lt_i16_e32 vcc_lo, -1, v9
	v_lshlrev_b32_e32 v5, 2, v48
	v_cndmask_b32_e64 v4, -1, 0xffff8000, vcc_lo
	s_delay_alu instid0(VALU_DEP_1) | instskip(NEXT) | instid1(VALU_DEP_1)
	v_xor_b32_e32 v4, v4, v9
	v_cmp_ne_u16_e32 vcc_lo, 0x7fff, v4
	v_cndmask_b32_e32 v4, 0xffff8000, v4, vcc_lo
	s_delay_alu instid0(VALU_DEP_1) | instskip(NEXT) | instid1(VALU_DEP_1)
	v_and_b32_e32 v4, 0xffff, v4
	v_lshrrev_b32_e32 v4, s48, v4
	s_delay_alu instid0(VALU_DEP_1) | instskip(NEXT) | instid1(VALU_DEP_1)
	v_and_b32_e32 v4, s55, v4
	v_lshl_or_b32 v4, v4, 4, v5
	ds_add_u32 v4, v94
	s_or_b32 exec_lo, exec_lo, s0
	s_delay_alu instid0(SALU_CYCLE_1)
	s_mov_b32 s0, exec_lo
	v_cmpx_lt_u32_e64 v58, v21
	s_cbranch_execnz .LBB1850_67
.LBB1850_52:                            ;   in Loop: Header=BB1850_16 Depth=2
	s_or_b32 exec_lo, exec_lo, s0
	s_delay_alu instid0(SALU_CYCLE_1)
	s_mov_b32 s0, exec_lo
	v_cmpx_lt_u32_e64 v59, v21
	s_cbranch_execz .LBB1850_68
.LBB1850_53:                            ;   in Loop: Header=BB1850_16 Depth=2
	v_cmp_lt_i16_e32 vcc_lo, -1, v7
	v_lshlrev_b32_e32 v5, 2, v48
	v_cndmask_b32_e64 v4, -1, 0xffff8000, vcc_lo
	s_delay_alu instid0(VALU_DEP_1) | instskip(NEXT) | instid1(VALU_DEP_1)
	v_xor_b32_e32 v4, v4, v7
	v_cmp_ne_u16_e32 vcc_lo, 0x7fff, v4
	v_cndmask_b32_e32 v4, 0xffff8000, v4, vcc_lo
	s_delay_alu instid0(VALU_DEP_1) | instskip(NEXT) | instid1(VALU_DEP_1)
	v_and_b32_e32 v4, 0xffff, v4
	v_lshrrev_b32_e32 v4, s48, v4
	s_delay_alu instid0(VALU_DEP_1) | instskip(NEXT) | instid1(VALU_DEP_1)
	v_and_b32_e32 v4, s55, v4
	v_lshl_or_b32 v4, v4, 4, v5
	ds_add_u32 v4, v94
	s_or_b32 exec_lo, exec_lo, s0
	s_delay_alu instid0(SALU_CYCLE_1)
	s_mov_b32 s0, exec_lo
	v_cmpx_lt_u32_e64 v60, v21
	s_cbranch_execnz .LBB1850_69
.LBB1850_54:                            ;   in Loop: Header=BB1850_16 Depth=2
	s_or_b32 exec_lo, exec_lo, s0
	s_delay_alu instid0(SALU_CYCLE_1)
	s_mov_b32 s0, exec_lo
	v_cmpx_lt_u32_e64 v61, v21
	s_cbranch_execz .LBB1850_70
.LBB1850_55:                            ;   in Loop: Header=BB1850_16 Depth=2
	v_cmp_lt_i16_e32 vcc_lo, -1, v2
	v_lshlrev_b32_e32 v5, 2, v48
	v_cndmask_b32_e64 v4, -1, 0xffff8000, vcc_lo
	s_delay_alu instid0(VALU_DEP_1) | instskip(NEXT) | instid1(VALU_DEP_1)
	v_xor_b32_e32 v4, v4, v2
	v_cmp_ne_u16_e32 vcc_lo, 0x7fff, v4
	v_cndmask_b32_e32 v4, 0xffff8000, v4, vcc_lo
	s_delay_alu instid0(VALU_DEP_1) | instskip(NEXT) | instid1(VALU_DEP_1)
	v_and_b32_e32 v4, 0xffff, v4
	v_lshrrev_b32_e32 v4, s48, v4
	s_delay_alu instid0(VALU_DEP_1) | instskip(NEXT) | instid1(VALU_DEP_1)
	v_and_b32_e32 v4, s55, v4
	v_lshl_or_b32 v4, v4, 4, v5
	ds_add_u32 v4, v94
	s_or_b32 exec_lo, exec_lo, s0
	s_delay_alu instid0(SALU_CYCLE_1)
	s_mov_b32 s0, exec_lo
	v_cmpx_lt_u32_e64 v63, v21
	s_cbranch_execz .LBB1850_15
	s_branch .LBB1850_71
.LBB1850_56:                            ;   in Loop: Header=BB1850_16 Depth=2
	s_or_b32 exec_lo, exec_lo, s0
	s_delay_alu instid0(SALU_CYCLE_1)
	s_mov_b32 s0, exec_lo
	v_cmpx_lt_u32_e64 v45, v21
	s_cbranch_execz .LBB1850_42
.LBB1850_57:                            ;   in Loop: Header=BB1850_16 Depth=2
	v_cmp_lt_i16_e32 vcc_lo, -1, v18
	v_lshlrev_b32_e32 v5, 2, v48
	v_cndmask_b32_e64 v4, -1, 0xffff8000, vcc_lo
	s_delay_alu instid0(VALU_DEP_1) | instskip(NEXT) | instid1(VALU_DEP_1)
	v_xor_b32_e32 v4, v4, v18
	v_cmp_ne_u16_e32 vcc_lo, 0x7fff, v4
	v_cndmask_b32_e32 v4, 0xffff8000, v4, vcc_lo
	s_delay_alu instid0(VALU_DEP_1) | instskip(NEXT) | instid1(VALU_DEP_1)
	v_and_b32_e32 v4, 0xffff, v4
	v_lshrrev_b32_e32 v4, s48, v4
	s_delay_alu instid0(VALU_DEP_1) | instskip(NEXT) | instid1(VALU_DEP_1)
	v_and_b32_e32 v4, s55, v4
	v_lshl_or_b32 v4, v4, 4, v5
	ds_add_u32 v4, v94
	s_or_b32 exec_lo, exec_lo, s0
	s_delay_alu instid0(SALU_CYCLE_1)
	s_mov_b32 s0, exec_lo
	v_cmpx_lt_u32_e64 v46, v21
	s_cbranch_execnz .LBB1850_43
.LBB1850_58:                            ;   in Loop: Header=BB1850_16 Depth=2
	s_or_b32 exec_lo, exec_lo, s0
	s_delay_alu instid0(SALU_CYCLE_1)
	s_mov_b32 s0, exec_lo
	v_cmpx_lt_u32_e64 v47, v21
	s_cbranch_execz .LBB1850_44
.LBB1850_59:                            ;   in Loop: Header=BB1850_16 Depth=2
	v_cmp_lt_i16_e32 vcc_lo, -1, v16
	v_lshlrev_b32_e32 v5, 2, v48
	v_cndmask_b32_e64 v4, -1, 0xffff8000, vcc_lo
	s_delay_alu instid0(VALU_DEP_1) | instskip(NEXT) | instid1(VALU_DEP_1)
	v_xor_b32_e32 v4, v4, v16
	v_cmp_ne_u16_e32 vcc_lo, 0x7fff, v4
	v_cndmask_b32_e32 v4, 0xffff8000, v4, vcc_lo
	s_delay_alu instid0(VALU_DEP_1) | instskip(NEXT) | instid1(VALU_DEP_1)
	v_and_b32_e32 v4, 0xffff, v4
	v_lshrrev_b32_e32 v4, s48, v4
	s_delay_alu instid0(VALU_DEP_1) | instskip(NEXT) | instid1(VALU_DEP_1)
	v_and_b32_e32 v4, s55, v4
	v_lshl_or_b32 v4, v4, 4, v5
	ds_add_u32 v4, v94
	s_or_b32 exec_lo, exec_lo, s0
	s_delay_alu instid0(SALU_CYCLE_1)
	s_mov_b32 s0, exec_lo
	v_cmpx_lt_u32_e64 v51, v21
	s_cbranch_execnz .LBB1850_45
.LBB1850_60:                            ;   in Loop: Header=BB1850_16 Depth=2
	s_or_b32 exec_lo, exec_lo, s0
	s_delay_alu instid0(SALU_CYCLE_1)
	s_mov_b32 s0, exec_lo
	v_cmpx_lt_u32_e64 v52, v21
	s_cbranch_execz .LBB1850_46
.LBB1850_61:                            ;   in Loop: Header=BB1850_16 Depth=2
	v_cmp_lt_i16_e32 vcc_lo, -1, v14
	v_lshlrev_b32_e32 v5, 2, v48
	v_cndmask_b32_e64 v4, -1, 0xffff8000, vcc_lo
	s_delay_alu instid0(VALU_DEP_1) | instskip(NEXT) | instid1(VALU_DEP_1)
	v_xor_b32_e32 v4, v4, v14
	v_cmp_ne_u16_e32 vcc_lo, 0x7fff, v4
	v_cndmask_b32_e32 v4, 0xffff8000, v4, vcc_lo
	s_delay_alu instid0(VALU_DEP_1) | instskip(NEXT) | instid1(VALU_DEP_1)
	v_and_b32_e32 v4, 0xffff, v4
	v_lshrrev_b32_e32 v4, s48, v4
	s_delay_alu instid0(VALU_DEP_1) | instskip(NEXT) | instid1(VALU_DEP_1)
	v_and_b32_e32 v4, s55, v4
	v_lshl_or_b32 v4, v4, 4, v5
	ds_add_u32 v4, v94
	s_or_b32 exec_lo, exec_lo, s0
	s_delay_alu instid0(SALU_CYCLE_1)
	s_mov_b32 s0, exec_lo
	v_cmpx_lt_u32_e64 v53, v21
	s_cbranch_execnz .LBB1850_47
.LBB1850_62:                            ;   in Loop: Header=BB1850_16 Depth=2
	s_or_b32 exec_lo, exec_lo, s0
	s_delay_alu instid0(SALU_CYCLE_1)
	s_mov_b32 s0, exec_lo
	v_cmpx_lt_u32_e64 v54, v21
	s_cbranch_execz .LBB1850_48
.LBB1850_63:                            ;   in Loop: Header=BB1850_16 Depth=2
	v_cmp_lt_i16_e32 vcc_lo, -1, v12
	v_lshlrev_b32_e32 v5, 2, v48
	v_cndmask_b32_e64 v4, -1, 0xffff8000, vcc_lo
	s_delay_alu instid0(VALU_DEP_1) | instskip(NEXT) | instid1(VALU_DEP_1)
	v_xor_b32_e32 v4, v4, v12
	v_cmp_ne_u16_e32 vcc_lo, 0x7fff, v4
	v_cndmask_b32_e32 v4, 0xffff8000, v4, vcc_lo
	s_delay_alu instid0(VALU_DEP_1) | instskip(NEXT) | instid1(VALU_DEP_1)
	v_and_b32_e32 v4, 0xffff, v4
	v_lshrrev_b32_e32 v4, s48, v4
	s_delay_alu instid0(VALU_DEP_1) | instskip(NEXT) | instid1(VALU_DEP_1)
	v_and_b32_e32 v4, s55, v4
	v_lshl_or_b32 v4, v4, 4, v5
	ds_add_u32 v4, v94
	s_or_b32 exec_lo, exec_lo, s0
	s_delay_alu instid0(SALU_CYCLE_1)
	s_mov_b32 s0, exec_lo
	v_cmpx_lt_u32_e64 v55, v21
	s_cbranch_execnz .LBB1850_49
.LBB1850_64:                            ;   in Loop: Header=BB1850_16 Depth=2
	s_or_b32 exec_lo, exec_lo, s0
	s_delay_alu instid0(SALU_CYCLE_1)
	s_mov_b32 s0, exec_lo
	v_cmpx_lt_u32_e64 v56, v21
	s_cbranch_execz .LBB1850_50
.LBB1850_65:                            ;   in Loop: Header=BB1850_16 Depth=2
	v_cmp_lt_i16_e32 vcc_lo, -1, v10
	v_lshlrev_b32_e32 v5, 2, v48
	v_cndmask_b32_e64 v4, -1, 0xffff8000, vcc_lo
	s_delay_alu instid0(VALU_DEP_1) | instskip(NEXT) | instid1(VALU_DEP_1)
	v_xor_b32_e32 v4, v4, v10
	v_cmp_ne_u16_e32 vcc_lo, 0x7fff, v4
	v_cndmask_b32_e32 v4, 0xffff8000, v4, vcc_lo
	s_delay_alu instid0(VALU_DEP_1) | instskip(NEXT) | instid1(VALU_DEP_1)
	v_and_b32_e32 v4, 0xffff, v4
	v_lshrrev_b32_e32 v4, s48, v4
	s_delay_alu instid0(VALU_DEP_1) | instskip(NEXT) | instid1(VALU_DEP_1)
	v_and_b32_e32 v4, s55, v4
	v_lshl_or_b32 v4, v4, 4, v5
	ds_add_u32 v4, v94
	s_or_b32 exec_lo, exec_lo, s0
	s_delay_alu instid0(SALU_CYCLE_1)
	s_mov_b32 s0, exec_lo
	v_cmpx_lt_u32_e64 v57, v21
	s_cbranch_execnz .LBB1850_51
.LBB1850_66:                            ;   in Loop: Header=BB1850_16 Depth=2
	s_or_b32 exec_lo, exec_lo, s0
	s_delay_alu instid0(SALU_CYCLE_1)
	s_mov_b32 s0, exec_lo
	v_cmpx_lt_u32_e64 v58, v21
	s_cbranch_execz .LBB1850_52
.LBB1850_67:                            ;   in Loop: Header=BB1850_16 Depth=2
	v_cmp_lt_i16_e32 vcc_lo, -1, v8
	v_lshlrev_b32_e32 v5, 2, v48
	v_cndmask_b32_e64 v4, -1, 0xffff8000, vcc_lo
	s_delay_alu instid0(VALU_DEP_1) | instskip(NEXT) | instid1(VALU_DEP_1)
	v_xor_b32_e32 v4, v4, v8
	v_cmp_ne_u16_e32 vcc_lo, 0x7fff, v4
	v_cndmask_b32_e32 v4, 0xffff8000, v4, vcc_lo
	s_delay_alu instid0(VALU_DEP_1) | instskip(NEXT) | instid1(VALU_DEP_1)
	v_and_b32_e32 v4, 0xffff, v4
	v_lshrrev_b32_e32 v4, s48, v4
	s_delay_alu instid0(VALU_DEP_1) | instskip(NEXT) | instid1(VALU_DEP_1)
	v_and_b32_e32 v4, s55, v4
	v_lshl_or_b32 v4, v4, 4, v5
	ds_add_u32 v4, v94
	s_or_b32 exec_lo, exec_lo, s0
	s_delay_alu instid0(SALU_CYCLE_1)
	s_mov_b32 s0, exec_lo
	v_cmpx_lt_u32_e64 v59, v21
	s_cbranch_execnz .LBB1850_53
.LBB1850_68:                            ;   in Loop: Header=BB1850_16 Depth=2
	s_or_b32 exec_lo, exec_lo, s0
	s_delay_alu instid0(SALU_CYCLE_1)
	s_mov_b32 s0, exec_lo
	v_cmpx_lt_u32_e64 v60, v21
	s_cbranch_execz .LBB1850_54
.LBB1850_69:                            ;   in Loop: Header=BB1850_16 Depth=2
	v_cmp_lt_i16_e32 vcc_lo, -1, v6
	v_lshlrev_b32_e32 v5, 2, v48
	v_cndmask_b32_e64 v4, -1, 0xffff8000, vcc_lo
	s_delay_alu instid0(VALU_DEP_1) | instskip(NEXT) | instid1(VALU_DEP_1)
	v_xor_b32_e32 v4, v4, v6
	v_cmp_ne_u16_e32 vcc_lo, 0x7fff, v4
	v_cndmask_b32_e32 v4, 0xffff8000, v4, vcc_lo
	s_delay_alu instid0(VALU_DEP_1) | instskip(NEXT) | instid1(VALU_DEP_1)
	v_and_b32_e32 v4, 0xffff, v4
	v_lshrrev_b32_e32 v4, s48, v4
	s_delay_alu instid0(VALU_DEP_1) | instskip(NEXT) | instid1(VALU_DEP_1)
	v_and_b32_e32 v4, s55, v4
	v_lshl_or_b32 v4, v4, 4, v5
	ds_add_u32 v4, v94
	s_or_b32 exec_lo, exec_lo, s0
	s_delay_alu instid0(SALU_CYCLE_1)
	s_mov_b32 s0, exec_lo
	v_cmpx_lt_u32_e64 v61, v21
	s_cbranch_execnz .LBB1850_55
.LBB1850_70:                            ;   in Loop: Header=BB1850_16 Depth=2
	s_or_b32 exec_lo, exec_lo, s0
	s_delay_alu instid0(SALU_CYCLE_1)
	s_mov_b32 s0, exec_lo
	v_cmpx_lt_u32_e64 v63, v21
	s_cbranch_execz .LBB1850_15
.LBB1850_71:                            ;   in Loop: Header=BB1850_16 Depth=2
	s_waitcnt vmcnt(0)
	v_cmp_lt_i16_e32 vcc_lo, -1, v20
	v_lshlrev_b32_e32 v5, 2, v48
	v_cndmask_b32_e64 v4, -1, 0xffff8000, vcc_lo
	s_delay_alu instid0(VALU_DEP_1) | instskip(NEXT) | instid1(VALU_DEP_1)
	v_xor_b32_e32 v4, v4, v20
	v_cmp_ne_u16_e32 vcc_lo, 0x7fff, v4
	v_cndmask_b32_e32 v4, 0xffff8000, v4, vcc_lo
	s_delay_alu instid0(VALU_DEP_1) | instskip(NEXT) | instid1(VALU_DEP_1)
	v_and_b32_e32 v4, 0xffff, v4
	v_lshrrev_b32_e32 v4, s48, v4
	s_delay_alu instid0(VALU_DEP_1) | instskip(NEXT) | instid1(VALU_DEP_1)
	v_and_b32_e32 v4, s55, v4
	v_lshl_or_b32 v4, v4, 4, v5
	ds_add_u32 v4, v94
	s_branch .LBB1850_15
.LBB1850_72:                            ;   in Loop: Header=BB1850_16 Depth=2
	s_or_b32 exec_lo, exec_lo, s11
	s_delay_alu instid0(SALU_CYCLE_1)
	s_mov_b32 s11, exec_lo
	v_cmpx_gt_u32_e64 s8, v45
	s_cbranch_execz .LBB1850_22
.LBB1850_73:                            ;   in Loop: Header=BB1850_16 Depth=2
	global_load_u16 v18, v95, s[0:1] offset:512
	s_or_b32 exec_lo, exec_lo, s11
	s_delay_alu instid0(SALU_CYCLE_1)
	s_mov_b32 s11, exec_lo
	v_cmpx_gt_u32_e64 s8, v46
	s_cbranch_execnz .LBB1850_23
.LBB1850_74:                            ;   in Loop: Header=BB1850_16 Depth=2
	s_or_b32 exec_lo, exec_lo, s11
	s_delay_alu instid0(SALU_CYCLE_1)
	s_mov_b32 s11, exec_lo
	v_cmpx_gt_u32_e64 s8, v47
	s_cbranch_execz .LBB1850_24
.LBB1850_75:                            ;   in Loop: Header=BB1850_16 Depth=2
	global_load_u16 v16, v95, s[0:1] offset:1536
	s_or_b32 exec_lo, exec_lo, s11
	s_delay_alu instid0(SALU_CYCLE_1)
	s_mov_b32 s11, exec_lo
	v_cmpx_gt_u32_e64 s8, v51
	s_cbranch_execnz .LBB1850_25
.LBB1850_76:                            ;   in Loop: Header=BB1850_16 Depth=2
	s_or_b32 exec_lo, exec_lo, s11
	s_delay_alu instid0(SALU_CYCLE_1)
	s_mov_b32 s11, exec_lo
	v_cmpx_gt_u32_e64 s8, v52
	s_cbranch_execz .LBB1850_26
.LBB1850_77:                            ;   in Loop: Header=BB1850_16 Depth=2
	global_load_u16 v14, v95, s[0:1] offset:2560
	s_or_b32 exec_lo, exec_lo, s11
	s_delay_alu instid0(SALU_CYCLE_1)
	s_mov_b32 s11, exec_lo
	v_cmpx_gt_u32_e64 s8, v53
	s_cbranch_execnz .LBB1850_27
.LBB1850_78:                            ;   in Loop: Header=BB1850_16 Depth=2
	s_or_b32 exec_lo, exec_lo, s11
	s_delay_alu instid0(SALU_CYCLE_1)
	s_mov_b32 s11, exec_lo
	v_cmpx_gt_u32_e64 s8, v54
	s_cbranch_execz .LBB1850_28
.LBB1850_79:                            ;   in Loop: Header=BB1850_16 Depth=2
	global_load_u16 v12, v95, s[0:1] offset:3584
	s_or_b32 exec_lo, exec_lo, s11
	s_delay_alu instid0(SALU_CYCLE_1)
	s_mov_b32 s11, exec_lo
	v_cmpx_gt_u32_e64 s8, v55
	s_cbranch_execnz .LBB1850_29
.LBB1850_80:                            ;   in Loop: Header=BB1850_16 Depth=2
	s_or_b32 exec_lo, exec_lo, s11
	s_delay_alu instid0(SALU_CYCLE_1)
	s_mov_b32 s11, exec_lo
	v_cmpx_gt_u32_e64 s8, v56
	s_cbranch_execz .LBB1850_30
.LBB1850_81:                            ;   in Loop: Header=BB1850_16 Depth=2
	global_load_u16 v10, v97, s[0:1]
	s_or_b32 exec_lo, exec_lo, s11
	s_delay_alu instid0(SALU_CYCLE_1)
	s_mov_b32 s11, exec_lo
	v_cmpx_gt_u32_e64 s8, v57
	s_cbranch_execnz .LBB1850_31
.LBB1850_82:                            ;   in Loop: Header=BB1850_16 Depth=2
	s_or_b32 exec_lo, exec_lo, s11
	s_delay_alu instid0(SALU_CYCLE_1)
	s_mov_b32 s11, exec_lo
	v_cmpx_gt_u32_e64 s8, v58
	s_cbranch_execz .LBB1850_32
.LBB1850_83:                            ;   in Loop: Header=BB1850_16 Depth=2
	global_load_u16 v8, v99, s[0:1]
	s_or_b32 exec_lo, exec_lo, s11
	s_delay_alu instid0(SALU_CYCLE_1)
	s_mov_b32 s11, exec_lo
	v_cmpx_gt_u32_e64 s8, v59
	s_cbranch_execnz .LBB1850_33
.LBB1850_84:                            ;   in Loop: Header=BB1850_16 Depth=2
	s_or_b32 exec_lo, exec_lo, s11
	s_delay_alu instid0(SALU_CYCLE_1)
	s_mov_b32 s11, exec_lo
	v_cmpx_gt_u32_e64 s8, v60
	s_cbranch_execz .LBB1850_34
.LBB1850_85:                            ;   in Loop: Header=BB1850_16 Depth=2
	global_load_u16 v6, v101, s[0:1]
	s_or_b32 exec_lo, exec_lo, s11
	s_delay_alu instid0(SALU_CYCLE_1)
	s_mov_b32 s11, exec_lo
	v_cmpx_gt_u32_e64 s8, v61
	s_cbranch_execz .LBB1850_36
	s_branch .LBB1850_35
.LBB1850_86:                            ;   in Loop: Header=BB1850_12 Depth=1
	v_mov_b32_e32 v2, 0
	s_waitcnt vmcnt(0) lgkmcnt(0)
	s_barrier
	buffer_gl0_inv
	s_and_saveexec_b32 s0, s2
	s_cbranch_execz .LBB1850_88
; %bb.87:                               ;   in Loop: Header=BB1850_12 Depth=1
	ds_load_2addr_b64 v[4:7], v64 offset1:1
	s_waitcnt lgkmcnt(0)
	v_add_nc_u32_e32 v2, v5, v4
	s_delay_alu instid0(VALU_DEP_1)
	v_add3_u32 v2, v2, v6, v7
.LBB1850_88:                            ;   in Loop: Header=BB1850_12 Depth=1
	s_or_b32 exec_lo, exec_lo, s0
	v_and_b32_e32 v4, 15, v104
	s_delay_alu instid0(VALU_DEP_2) | instskip(SKIP_1) | instid1(VALU_DEP_3)
	v_mov_b32_dpp v5, v2 row_shr:1 row_mask:0xf bank_mask:0xf
	v_and_b32_e32 v6, 16, v104
	v_cmp_eq_u32_e64 s0, 0, v4
	v_cmp_lt_u32_e64 s1, 1, v4
	v_cmp_lt_u32_e64 s8, 3, v4
	;; [unrolled: 1-line block ×3, first 2 shown]
	v_cmp_eq_u32_e64 s10, 0, v6
	v_cndmask_b32_e64 v5, v5, 0, s0
	s_delay_alu instid0(VALU_DEP_1) | instskip(NEXT) | instid1(VALU_DEP_1)
	v_add_nc_u32_e32 v2, v5, v2
	v_mov_b32_dpp v5, v2 row_shr:2 row_mask:0xf bank_mask:0xf
	s_delay_alu instid0(VALU_DEP_1) | instskip(NEXT) | instid1(VALU_DEP_1)
	v_cndmask_b32_e64 v5, 0, v5, s1
	v_add_nc_u32_e32 v2, v2, v5
	s_delay_alu instid0(VALU_DEP_1) | instskip(NEXT) | instid1(VALU_DEP_1)
	v_mov_b32_dpp v5, v2 row_shr:4 row_mask:0xf bank_mask:0xf
	v_cndmask_b32_e64 v5, 0, v5, s8
	s_delay_alu instid0(VALU_DEP_1) | instskip(NEXT) | instid1(VALU_DEP_1)
	v_add_nc_u32_e32 v2, v2, v5
	v_mov_b32_dpp v5, v2 row_shr:8 row_mask:0xf bank_mask:0xf
	s_delay_alu instid0(VALU_DEP_1) | instskip(SKIP_1) | instid1(VALU_DEP_2)
	v_cndmask_b32_e64 v4, 0, v5, s9
	v_bfe_i32 v5, v104, 4, 1
	v_add_nc_u32_e32 v2, v2, v4
	ds_swizzle_b32 v4, v2 offset:swizzle(BROADCAST,32,15)
	s_waitcnt lgkmcnt(0)
	v_and_b32_e32 v4, v5, v4
	s_delay_alu instid0(VALU_DEP_1)
	v_add_nc_u32_e32 v4, v2, v4
	s_and_saveexec_b32 s11, s3
	s_cbranch_execz .LBB1850_90
; %bb.89:                               ;   in Loop: Header=BB1850_12 Depth=1
	ds_store_b32 v65, v4
.LBB1850_90:                            ;   in Loop: Header=BB1850_12 Depth=1
	s_or_b32 exec_lo, exec_lo, s11
	v_and_b32_e32 v2, 7, v104
	s_waitcnt lgkmcnt(0)
	s_barrier
	buffer_gl0_inv
	s_and_saveexec_b32 s11, s4
	s_cbranch_execz .LBB1850_92
; %bb.91:                               ;   in Loop: Header=BB1850_12 Depth=1
	ds_load_b32 v5, v66
	v_cmp_ne_u32_e32 vcc_lo, 0, v2
	s_waitcnt lgkmcnt(0)
	v_mov_b32_dpp v6, v5 row_shr:1 row_mask:0xf bank_mask:0xf
	s_delay_alu instid0(VALU_DEP_1) | instskip(SKIP_1) | instid1(VALU_DEP_2)
	v_cndmask_b32_e32 v6, 0, v6, vcc_lo
	v_cmp_lt_u32_e32 vcc_lo, 1, v2
	v_add_nc_u32_e32 v5, v6, v5
	s_delay_alu instid0(VALU_DEP_1) | instskip(NEXT) | instid1(VALU_DEP_1)
	v_mov_b32_dpp v6, v5 row_shr:2 row_mask:0xf bank_mask:0xf
	v_cndmask_b32_e32 v6, 0, v6, vcc_lo
	v_cmp_lt_u32_e32 vcc_lo, 3, v2
	s_delay_alu instid0(VALU_DEP_2) | instskip(NEXT) | instid1(VALU_DEP_1)
	v_add_nc_u32_e32 v5, v5, v6
	v_mov_b32_dpp v6, v5 row_shr:4 row_mask:0xf bank_mask:0xf
	s_delay_alu instid0(VALU_DEP_1) | instskip(NEXT) | instid1(VALU_DEP_1)
	v_cndmask_b32_e32 v6, 0, v6, vcc_lo
	v_add_nc_u32_e32 v5, v5, v6
	ds_store_b32 v66, v5
.LBB1850_92:                            ;   in Loop: Header=BB1850_12 Depth=1
	s_or_b32 exec_lo, exec_lo, s11
	v_mov_b32_e32 v5, 0
	s_waitcnt lgkmcnt(0)
	s_barrier
	buffer_gl0_inv
	s_and_saveexec_b32 s11, s5
	s_cbranch_execz .LBB1850_94
; %bb.93:                               ;   in Loop: Header=BB1850_12 Depth=1
	ds_load_b32 v5, v67
.LBB1850_94:                            ;   in Loop: Header=BB1850_12 Depth=1
	s_or_b32 exec_lo, exec_lo, s11
	v_add_nc_u32_e32 v6, -1, v104
	s_waitcnt lgkmcnt(0)
	v_add_nc_u32_e32 v4, v5, v4
	v_cmp_eq_u32_e64 s11, 0, v104
	s_barrier
	v_cmp_gt_i32_e32 vcc_lo, 0, v6
	buffer_gl0_inv
	v_cndmask_b32_e32 v6, v6, v104, vcc_lo
	s_delay_alu instid0(VALU_DEP_1)
	v_lshlrev_b32_e32 v105, 2, v6
	ds_bpermute_b32 v4, v105, v4
	s_and_saveexec_b32 s12, s2
	s_cbranch_execz .LBB1850_96
; %bb.95:                               ;   in Loop: Header=BB1850_12 Depth=1
	s_waitcnt lgkmcnt(0)
	v_cndmask_b32_e64 v4, v4, v5, s11
	s_delay_alu instid0(VALU_DEP_1)
	v_add_nc_u32_e32 v4, s52, v4
	ds_store_b32 v44, v4
.LBB1850_96:                            ;   in Loop: Header=BB1850_12 Depth=1
	s_or_b32 exec_lo, exec_lo, s12
	s_clause 0x1
	s_load_b32 s12, s[42:43], 0x4
	s_load_b32 s16, s[42:43], 0xc
	v_lshlrev_b32_e32 v5, 3, v104
	v_cmp_lt_u32_e64 s14, 3, v2
	v_or_b32_e32 v106, v104, v68
	s_mov_b32 s56, s54
	s_mov_b32 s34, s52
	v_add_co_u32 v107, vcc_lo, v74, v5
	v_add_co_ci_u32_e32 v108, vcc_lo, 0, v75, vcc_lo
	v_or_b32_e32 v109, 32, v106
	v_or_b32_e32 v110, 64, v106
	;; [unrolled: 1-line block ×9, first 2 shown]
	s_waitcnt lgkmcnt(0)
	s_cmp_lt_u32 s15, s12
	v_or_b32_e32 v118, 0x140, v106
	s_cselect_b32 s12, 14, 20
	v_or_b32_e32 v119, 0x160, v106
	s_add_u32 s12, s42, s12
	s_addc_u32 s13, s43, 0
	s_and_b32 s16, s16, 0xffff
	global_load_u16 v4, v3, s[12:13]
	v_cmp_eq_u32_e64 s12, 0, v2
	v_cmp_lt_u32_e64 s13, 1, v2
	v_lshlrev_b32_e32 v2, 1, v104
	v_or_b32_e32 v120, 0x180, v106
	v_or_b32_e32 v121, 0x1a0, v106
	;; [unrolled: 1-line block ×4, first 2 shown]
	v_add_co_u32 v124, vcc_lo, v76, v2
	v_add_co_ci_u32_e32 v125, vcc_lo, 0, v77, vcc_lo
                                        ; implicit-def: $vgpr8_vgpr9
                                        ; implicit-def: $vgpr10_vgpr11
                                        ; implicit-def: $vgpr12_vgpr13
                                        ; implicit-def: $vgpr14_vgpr15
                                        ; implicit-def: $vgpr16_vgpr17
                                        ; implicit-def: $vgpr18_vgpr19
                                        ; implicit-def: $vgpr20_vgpr21
                                        ; implicit-def: $vgpr22_vgpr23
                                        ; implicit-def: $vgpr24_vgpr25
                                        ; implicit-def: $vgpr26_vgpr27
                                        ; implicit-def: $vgpr28_vgpr29
                                        ; implicit-def: $vgpr30_vgpr31
                                        ; implicit-def: $vgpr32_vgpr33
                                        ; implicit-def: $vgpr34_vgpr35
                                        ; implicit-def: $vgpr129
                                        ; implicit-def: $vgpr130
                                        ; implicit-def: $vgpr131
                                        ; implicit-def: $vgpr132
                                        ; implicit-def: $vgpr133
                                        ; implicit-def: $vgpr134
                                        ; implicit-def: $vgpr135
                                        ; implicit-def: $vgpr136
                                        ; implicit-def: $vgpr137
                                        ; implicit-def: $vgpr138
                                        ; implicit-def: $vgpr139
                                        ; implicit-def: $vgpr140
                                        ; implicit-def: $vgpr141
                                        ; implicit-def: $vgpr142
                                        ; implicit-def: $vgpr143
                                        ; implicit-def: $vgpr144
	s_delay_alu instid0(VALU_DEP_2) | instskip(NEXT) | instid1(VALU_DEP_2)
	v_add_co_u32 v127, vcc_lo, 0x3c0, v124
	v_add_co_ci_u32_e32 v128, vcc_lo, 0, v125, vcc_lo
	s_waitcnt vmcnt(0)
	v_mad_u32_u24 v6, v70, v4, v0
	s_delay_alu instid0(VALU_DEP_1) | instskip(NEXT) | instid1(VALU_DEP_1)
	v_mad_u64_u32 v[4:5], null, v6, s16, v[1:2]
                                        ; implicit-def: $vgpr6_vgpr7
	v_lshrrev_b32_e32 v126, 5, v4
                                        ; implicit-def: $vgpr4_vgpr5
	s_branch .LBB1850_98
.LBB1850_97:                            ;   in Loop: Header=BB1850_98 Depth=2
	s_or_b32 exec_lo, exec_lo, s16
	s_addk_i32 s56, 0xf000
	s_cmp_lt_u32 s57, s53
	s_mov_b32 s34, s57
	s_cbranch_scc0 .LBB1850_306
.LBB1850_98:                            ;   Parent Loop BB1850_12 Depth=1
                                        ; =>  This Inner Loop Header: Depth=2
	s_add_i32 s57, s34, 0x1000
	s_delay_alu instid0(SALU_CYCLE_1)
	s_cmp_gt_u32 s57, s53
	s_cbranch_scc1 .LBB1850_101
; %bb.99:                               ;   in Loop: Header=BB1850_98 Depth=2
	s_mov_b32 s17, 0
	s_mov_b32 s16, s34
	s_delay_alu instid0(SALU_CYCLE_1) | instskip(NEXT) | instid1(SALU_CYCLE_1)
	s_lshl_b64 s[18:19], s[16:17], 1
	v_add_co_u32 v36, vcc_lo, v124, s18
	v_add_co_ci_u32_e32 v37, vcc_lo, s19, v125, vcc_lo
	s_mov_b32 s19, -1
	s_movk_i32 s18, 0x1000
	s_clause 0xe
	global_load_u16 v2, v[36:37], off
	global_load_u16 v146, v[36:37], off offset:64
	global_load_u16 v149, v[36:37], off offset:128
	;; [unrolled: 1-line block ×14, first 2 shown]
	s_cbranch_execz .LBB1850_102
; %bb.100:                              ;   in Loop: Header=BB1850_98 Depth=2
                                        ; implicit-def: $sgpr20
	v_dual_mov_b32 v36, s20 :: v_dual_mov_b32 v145, s56
	s_and_saveexec_b32 s20, s19
	s_cbranch_execnz .LBB1850_133
	s_branch .LBB1850_134
.LBB1850_101:                           ;   in Loop: Header=BB1850_98 Depth=2
	s_mov_b32 s17, -1
	s_mov_b32 s19, 0
                                        ; implicit-def: $sgpr18
                                        ; implicit-def: $vgpr2
                                        ; implicit-def: $vgpr146
                                        ; implicit-def: $vgpr149
                                        ; implicit-def: $vgpr153
                                        ; implicit-def: $vgpr157
                                        ; implicit-def: $vgpr161
                                        ; implicit-def: $vgpr165
                                        ; implicit-def: $vgpr170
                                        ; implicit-def: $vgpr169
                                        ; implicit-def: $vgpr43
                                        ; implicit-def: $vgpr42
                                        ; implicit-def: $vgpr41
                                        ; implicit-def: $vgpr40
                                        ; implicit-def: $vgpr39
                                        ; implicit-def: $vgpr38
.LBB1850_102:                           ;   in Loop: Header=BB1850_98 Depth=2
	s_lshl_b64 s[16:17], s[34:35], 1
	s_waitcnt vmcnt(13)
	v_mov_b32_e32 v146, 0x7fff
	v_add_co_u32 v36, vcc_lo, v124, s16
	v_add_co_ci_u32_e32 v37, vcc_lo, s17, v125, vcc_lo
	v_mov_b32_e32 v2, 0x7fff
	s_mov_b32 s16, exec_lo
	v_cmpx_gt_u32_e64 s56, v106
	s_cbranch_execz .LBB1850_104
; %bb.103:                              ;   in Loop: Header=BB1850_98 Depth=2
	global_load_u16 v2, v[36:37], off
.LBB1850_104:                           ;   in Loop: Header=BB1850_98 Depth=2
	s_or_b32 exec_lo, exec_lo, s16
	s_delay_alu instid0(SALU_CYCLE_1)
	s_mov_b32 s16, exec_lo
	v_cmpx_gt_u32_e64 s56, v109
	s_cbranch_execz .LBB1850_106
; %bb.105:                              ;   in Loop: Header=BB1850_98 Depth=2
	global_load_u16 v146, v[36:37], off offset:64
.LBB1850_106:                           ;   in Loop: Header=BB1850_98 Depth=2
	s_or_b32 exec_lo, exec_lo, s16
	s_waitcnt vmcnt(11)
	v_mov_b32_e32 v153, 0x7fff
	v_mov_b32_e32 v149, 0x7fff
	s_mov_b32 s16, exec_lo
	v_cmpx_gt_u32_e64 s56, v110
	s_cbranch_execz .LBB1850_108
; %bb.107:                              ;   in Loop: Header=BB1850_98 Depth=2
	global_load_u16 v149, v[36:37], off offset:128
.LBB1850_108:                           ;   in Loop: Header=BB1850_98 Depth=2
	s_or_b32 exec_lo, exec_lo, s16
	s_delay_alu instid0(SALU_CYCLE_1)
	s_mov_b32 s16, exec_lo
	v_cmpx_gt_u32_e64 s56, v111
	s_cbranch_execz .LBB1850_110
; %bb.109:                              ;   in Loop: Header=BB1850_98 Depth=2
	global_load_u16 v153, v[36:37], off offset:192
.LBB1850_110:                           ;   in Loop: Header=BB1850_98 Depth=2
	s_or_b32 exec_lo, exec_lo, s16
	s_waitcnt vmcnt(9)
	v_mov_b32_e32 v161, 0x7fff
	v_mov_b32_e32 v157, 0x7fff
	s_mov_b32 s16, exec_lo
	v_cmpx_gt_u32_e64 s56, v112
	s_cbranch_execz .LBB1850_112
; %bb.111:                              ;   in Loop: Header=BB1850_98 Depth=2
	global_load_u16 v157, v[36:37], off offset:256
.LBB1850_112:                           ;   in Loop: Header=BB1850_98 Depth=2
	s_or_b32 exec_lo, exec_lo, s16
	s_delay_alu instid0(SALU_CYCLE_1)
	s_mov_b32 s16, exec_lo
	v_cmpx_gt_u32_e64 s56, v113
	s_cbranch_execz .LBB1850_114
; %bb.113:                              ;   in Loop: Header=BB1850_98 Depth=2
	global_load_u16 v161, v[36:37], off offset:320
.LBB1850_114:                           ;   in Loop: Header=BB1850_98 Depth=2
	s_or_b32 exec_lo, exec_lo, s16
	s_waitcnt vmcnt(7)
	v_dual_mov_b32 v170, 0x7fff :: v_dual_mov_b32 v165, 0x7fff
	s_mov_b32 s16, exec_lo
	v_cmpx_gt_u32_e64 s56, v114
	s_cbranch_execz .LBB1850_116
; %bb.115:                              ;   in Loop: Header=BB1850_98 Depth=2
	global_load_u16 v165, v[36:37], off offset:384
.LBB1850_116:                           ;   in Loop: Header=BB1850_98 Depth=2
	s_or_b32 exec_lo, exec_lo, s16
	s_delay_alu instid0(SALU_CYCLE_1)
	s_mov_b32 s16, exec_lo
	v_cmpx_gt_u32_e64 s56, v115
	s_cbranch_execz .LBB1850_118
; %bb.117:                              ;   in Loop: Header=BB1850_98 Depth=2
	global_load_u16 v170, v[36:37], off offset:448
.LBB1850_118:                           ;   in Loop: Header=BB1850_98 Depth=2
	s_or_b32 exec_lo, exec_lo, s16
	s_waitcnt vmcnt(5)
	v_mov_b32_e32 v43, 0x7fff
	v_mov_b32_e32 v169, 0x7fff
	s_mov_b32 s16, exec_lo
	v_cmpx_gt_u32_e64 s56, v116
	s_cbranch_execz .LBB1850_120
; %bb.119:                              ;   in Loop: Header=BB1850_98 Depth=2
	global_load_u16 v169, v[36:37], off offset:512
.LBB1850_120:                           ;   in Loop: Header=BB1850_98 Depth=2
	s_or_b32 exec_lo, exec_lo, s16
	s_delay_alu instid0(SALU_CYCLE_1)
	s_mov_b32 s16, exec_lo
	v_cmpx_gt_u32_e64 s56, v117
	s_cbranch_execz .LBB1850_122
; %bb.121:                              ;   in Loop: Header=BB1850_98 Depth=2
	global_load_u16 v43, v[36:37], off offset:576
.LBB1850_122:                           ;   in Loop: Header=BB1850_98 Depth=2
	s_or_b32 exec_lo, exec_lo, s16
	s_waitcnt vmcnt(3)
	v_dual_mov_b32 v41, 0x7fff :: v_dual_mov_b32 v42, 0x7fff
	s_mov_b32 s16, exec_lo
	v_cmpx_gt_u32_e64 s56, v118
	s_cbranch_execz .LBB1850_124
; %bb.123:                              ;   in Loop: Header=BB1850_98 Depth=2
	global_load_u16 v42, v[36:37], off offset:640
.LBB1850_124:                           ;   in Loop: Header=BB1850_98 Depth=2
	s_or_b32 exec_lo, exec_lo, s16
	s_delay_alu instid0(SALU_CYCLE_1)
	s_mov_b32 s16, exec_lo
	v_cmpx_gt_u32_e64 s56, v119
	s_cbranch_execz .LBB1850_126
; %bb.125:                              ;   in Loop: Header=BB1850_98 Depth=2
	global_load_u16 v41, v[36:37], off offset:704
.LBB1850_126:                           ;   in Loop: Header=BB1850_98 Depth=2
	s_or_b32 exec_lo, exec_lo, s16
	s_waitcnt vmcnt(1)
	v_dual_mov_b32 v39, 0x7fff :: v_dual_mov_b32 v40, 0x7fff
	s_mov_b32 s16, exec_lo
	v_cmpx_gt_u32_e64 s56, v120
	s_cbranch_execz .LBB1850_128
; %bb.127:                              ;   in Loop: Header=BB1850_98 Depth=2
	global_load_u16 v40, v[36:37], off offset:768
.LBB1850_128:                           ;   in Loop: Header=BB1850_98 Depth=2
	s_or_b32 exec_lo, exec_lo, s16
	s_delay_alu instid0(SALU_CYCLE_1)
	s_mov_b32 s16, exec_lo
	v_cmpx_gt_u32_e64 s56, v121
	s_cbranch_execz .LBB1850_130
; %bb.129:                              ;   in Loop: Header=BB1850_98 Depth=2
	global_load_u16 v39, v[36:37], off offset:832
.LBB1850_130:                           ;   in Loop: Header=BB1850_98 Depth=2
	s_or_b32 exec_lo, exec_lo, s16
	s_waitcnt vmcnt(0)
	v_mov_b32_e32 v38, 0x7fff
	s_mov_b32 s16, exec_lo
	v_cmpx_gt_u32_e64 s56, v122
	s_cbranch_execz .LBB1850_132
; %bb.131:                              ;   in Loop: Header=BB1850_98 Depth=2
	global_load_u16 v38, v[36:37], off offset:896
.LBB1850_132:                           ;   in Loop: Header=BB1850_98 Depth=2
	s_or_b32 exec_lo, exec_lo, s16
	v_cmp_gt_u32_e64 s19, s56, v123
	s_sub_i32 s18, s53, s34
	s_movk_i32 s20, 0x7fff
	s_mov_b64 s[16:17], s[34:35]
	v_dual_mov_b32 v36, s20 :: v_dual_mov_b32 v145, s56
	s_and_saveexec_b32 s20, s19
	s_cbranch_execz .LBB1850_134
.LBB1850_133:                           ;   in Loop: Header=BB1850_98 Depth=2
	s_lshl_b64 s[16:17], s[16:17], 1
	v_mov_b32_e32 v145, s18
	v_add_co_u32 v36, vcc_lo, v127, s16
	v_add_co_ci_u32_e32 v37, vcc_lo, s17, v128, vcc_lo
	global_load_u16 v36, v[36:37], off
.LBB1850_134:                           ;   in Loop: Header=BB1850_98 Depth=2
	s_or_b32 exec_lo, exec_lo, s20
	s_waitcnt vmcnt(14)
	v_cmp_lt_i16_e32 vcc_lo, -1, v2
	ds_store_b32 v69, v3 offset:1056
	ds_store_2addr_b32 v71, v3, v3 offset0:1 offset1:2
	ds_store_2addr_b32 v71, v3, v3 offset0:3 offset1:4
	;; [unrolled: 1-line block ×4, first 2 shown]
	s_waitcnt vmcnt(0) lgkmcnt(0)
	s_barrier
	v_cndmask_b32_e64 v37, -1, 0xffff8000, vcc_lo
	buffer_gl0_inv
	; wave barrier
	v_xor_b32_e32 v2, v37, v2
	s_delay_alu instid0(VALU_DEP_1) | instskip(SKIP_1) | instid1(VALU_DEP_1)
	v_cmp_ne_u16_e32 vcc_lo, 0x7fff, v2
	v_cndmask_b32_e32 v37, 0xffff8000, v2, vcc_lo
	v_and_b32_e32 v37, 0xffff, v37
	s_delay_alu instid0(VALU_DEP_1) | instskip(NEXT) | instid1(VALU_DEP_1)
	v_lshrrev_b32_e32 v37, s48, v37
	v_and_b32_e32 v148, s55, v37
	s_delay_alu instid0(VALU_DEP_1)
	v_lshlrev_b32_e32 v150, 29, v148
	v_and_b32_e32 v37, 1, v148
	v_lshlrev_b32_e32 v147, 30, v148
	v_lshlrev_b32_e32 v151, 28, v148
	;; [unrolled: 1-line block ×4, first 2 shown]
	v_add_co_u32 v37, s16, v37, -1
	s_delay_alu instid0(VALU_DEP_1)
	v_cndmask_b32_e64 v152, 0, 1, s16
	v_not_b32_e32 v158, v147
	v_cmp_gt_i32_e64 s16, 0, v147
	v_not_b32_e32 v147, v150
	v_lshlrev_b32_e32 v156, 25, v148
	v_cmp_ne_u32_e32 vcc_lo, 0, v152
	v_ashrrev_i32_e32 v158, 31, v158
	v_lshlrev_b32_e32 v152, 24, v148
	v_ashrrev_i32_e32 v147, 31, v147
	v_mad_u32_u24 v148, v148, 9, v126
	v_xor_b32_e32 v37, vcc_lo, v37
	v_cmp_gt_i32_e32 vcc_lo, 0, v150
	v_not_b32_e32 v150, v151
	v_xor_b32_e32 v158, s16, v158
	v_cmp_gt_i32_e64 s16, 0, v151
	v_and_b32_e32 v37, exec_lo, v37
	v_not_b32_e32 v151, v154
	v_ashrrev_i32_e32 v150, 31, v150
	v_xor_b32_e32 v147, vcc_lo, v147
	v_cmp_gt_i32_e32 vcc_lo, 0, v154
	v_and_b32_e32 v37, v37, v158
	v_not_b32_e32 v154, v155
	v_ashrrev_i32_e32 v151, 31, v151
	v_xor_b32_e32 v150, s16, v150
	v_cmp_gt_i32_e64 s16, 0, v155
	v_and_b32_e32 v37, v37, v147
	v_not_b32_e32 v147, v156
	v_ashrrev_i32_e32 v154, 31, v154
	v_xor_b32_e32 v151, vcc_lo, v151
	v_cmp_gt_i32_e32 vcc_lo, 0, v156
	v_and_b32_e32 v37, v37, v150
	v_not_b32_e32 v150, v152
	v_ashrrev_i32_e32 v147, 31, v147
	v_xor_b32_e32 v154, s16, v154
	v_cmp_gt_i32_e64 s16, 0, v152
	v_and_b32_e32 v37, v37, v151
	v_ashrrev_i32_e32 v150, 31, v150
	v_xor_b32_e32 v147, vcc_lo, v147
	v_lshl_add_u32 v148, v148, 2, 0x420
	s_delay_alu instid0(VALU_DEP_4) | instskip(NEXT) | instid1(VALU_DEP_4)
	v_and_b32_e32 v37, v37, v154
	v_xor_b32_e32 v150, s16, v150
	s_delay_alu instid0(VALU_DEP_2) | instskip(NEXT) | instid1(VALU_DEP_1)
	v_and_b32_e32 v37, v37, v147
	v_and_b32_e32 v37, v37, v150
	s_delay_alu instid0(VALU_DEP_1) | instskip(SKIP_1) | instid1(VALU_DEP_2)
	v_mbcnt_lo_u32_b32 v147, v37, 0
	v_cmp_ne_u32_e64 s16, 0, v37
	v_cmp_eq_u32_e32 vcc_lo, 0, v147
	s_delay_alu instid0(VALU_DEP_2) | instskip(NEXT) | instid1(SALU_CYCLE_1)
	s_and_b32 s17, s16, vcc_lo
	s_and_saveexec_b32 s16, s17
	s_cbranch_execz .LBB1850_136
; %bb.135:                              ;   in Loop: Header=BB1850_98 Depth=2
	v_bcnt_u32_b32 v37, v37, 0
	ds_store_b32 v148, v37
.LBB1850_136:                           ;   in Loop: Header=BB1850_98 Depth=2
	s_or_b32 exec_lo, exec_lo, s16
	v_cmp_lt_i16_e64 vcc_lo, -1, v146
	; wave barrier
	s_delay_alu instid0(VALU_DEP_1) | instskip(NEXT) | instid1(VALU_DEP_1)
	v_cndmask_b32_e64 v37, -1, 0xffff8000, vcc_lo
	v_xor_b32_e32 v146, v37, v146
	s_delay_alu instid0(VALU_DEP_1) | instskip(SKIP_1) | instid1(VALU_DEP_1)
	v_cmp_ne_u16_e64 vcc_lo, 0x7fff, v146
	v_cndmask_b32_e32 v37, 0xffff8000, v146, vcc_lo
	v_and_b32_e32 v37, 0xffff, v37
	s_delay_alu instid0(VALU_DEP_1) | instskip(NEXT) | instid1(VALU_DEP_1)
	v_lshrrev_b32_e32 v37, s48, v37
	v_and_b32_e32 v37, s55, v37
	s_delay_alu instid0(VALU_DEP_1)
	v_and_b32_e32 v150, 1, v37
	v_lshlrev_b32_e32 v151, 30, v37
	v_lshlrev_b32_e32 v152, 29, v37
	;; [unrolled: 1-line block ×4, first 2 shown]
	v_add_co_u32 v150, s16, v150, -1
	s_delay_alu instid0(VALU_DEP_1)
	v_cndmask_b32_e64 v155, 0, 1, s16
	v_not_b32_e32 v160, v151
	v_cmp_gt_i32_e64 s16, 0, v151
	v_not_b32_e32 v151, v152
	v_lshlrev_b32_e32 v158, 26, v37
	v_cmp_ne_u32_e32 vcc_lo, 0, v155
	v_ashrrev_i32_e32 v160, 31, v160
	v_lshlrev_b32_e32 v159, 25, v37
	v_ashrrev_i32_e32 v151, 31, v151
	v_lshlrev_b32_e32 v155, 24, v37
	v_xor_b32_e32 v150, vcc_lo, v150
	v_cmp_gt_i32_e32 vcc_lo, 0, v152
	v_not_b32_e32 v152, v154
	v_xor_b32_e32 v160, s16, v160
	v_cmp_gt_i32_e64 s16, 0, v154
	v_and_b32_e32 v150, exec_lo, v150
	v_not_b32_e32 v154, v156
	v_ashrrev_i32_e32 v152, 31, v152
	v_xor_b32_e32 v151, vcc_lo, v151
	v_cmp_gt_i32_e32 vcc_lo, 0, v156
	v_and_b32_e32 v150, v150, v160
	v_not_b32_e32 v156, v158
	v_ashrrev_i32_e32 v154, 31, v154
	v_xor_b32_e32 v152, s16, v152
	v_cmp_gt_i32_e64 s16, 0, v158
	v_and_b32_e32 v150, v150, v151
	v_not_b32_e32 v151, v159
	v_ashrrev_i32_e32 v156, 31, v156
	v_xor_b32_e32 v154, vcc_lo, v154
	v_cmp_gt_i32_e32 vcc_lo, 0, v159
	v_and_b32_e32 v150, v150, v152
	v_not_b32_e32 v152, v155
	v_ashrrev_i32_e32 v151, 31, v151
	v_xor_b32_e32 v156, s16, v156
	v_mul_u32_u24_e32 v37, 9, v37
	v_and_b32_e32 v150, v150, v154
	v_cmp_gt_i32_e64 s16, 0, v155
	v_ashrrev_i32_e32 v152, 31, v152
	v_xor_b32_e32 v151, vcc_lo, v151
	v_add_lshl_u32 v154, v37, v126, 2
	v_and_b32_e32 v150, v150, v156
	s_delay_alu instid0(VALU_DEP_4) | instskip(NEXT) | instid1(VALU_DEP_3)
	v_xor_b32_e32 v37, s16, v152
	v_add_nc_u32_e32 v152, 0x420, v154
	s_delay_alu instid0(VALU_DEP_3) | instskip(SKIP_2) | instid1(VALU_DEP_1)
	v_and_b32_e32 v151, v150, v151
	ds_load_b32 v150, v154 offset:1056
	; wave barrier
	v_and_b32_e32 v37, v151, v37
	v_mbcnt_lo_u32_b32 v151, v37, 0
	v_cmp_ne_u32_e64 s16, 0, v37
	s_delay_alu instid0(VALU_DEP_2) | instskip(NEXT) | instid1(VALU_DEP_2)
	v_cmp_eq_u32_e32 vcc_lo, 0, v151
	s_and_b32 s17, s16, vcc_lo
	s_delay_alu instid0(SALU_CYCLE_1)
	s_and_saveexec_b32 s16, s17
	s_cbranch_execz .LBB1850_138
; %bb.137:                              ;   in Loop: Header=BB1850_98 Depth=2
	s_waitcnt lgkmcnt(0)
	v_bcnt_u32_b32 v37, v37, v150
	ds_store_b32 v152, v37
.LBB1850_138:                           ;   in Loop: Header=BB1850_98 Depth=2
	s_or_b32 exec_lo, exec_lo, s16
	v_cmp_lt_i16_e64 vcc_lo, -1, v149
	; wave barrier
	s_delay_alu instid0(VALU_DEP_1) | instskip(NEXT) | instid1(VALU_DEP_1)
	v_cndmask_b32_e64 v37, -1, 0xffff8000, vcc_lo
	v_xor_b32_e32 v149, v37, v149
	s_delay_alu instid0(VALU_DEP_1) | instskip(SKIP_1) | instid1(VALU_DEP_1)
	v_cmp_ne_u16_e64 vcc_lo, 0x7fff, v149
	v_cndmask_b32_e32 v37, 0xffff8000, v149, vcc_lo
	v_and_b32_e32 v37, 0xffff, v37
	s_delay_alu instid0(VALU_DEP_1) | instskip(NEXT) | instid1(VALU_DEP_1)
	v_lshrrev_b32_e32 v37, s48, v37
	v_and_b32_e32 v37, s55, v37
	s_delay_alu instid0(VALU_DEP_1)
	v_and_b32_e32 v154, 1, v37
	v_lshlrev_b32_e32 v155, 30, v37
	v_lshlrev_b32_e32 v156, 29, v37
	;; [unrolled: 1-line block ×4, first 2 shown]
	v_add_co_u32 v154, s16, v154, -1
	s_delay_alu instid0(VALU_DEP_1)
	v_cndmask_b32_e64 v159, 0, 1, s16
	v_not_b32_e32 v164, v155
	v_cmp_gt_i32_e64 s16, 0, v155
	v_not_b32_e32 v155, v156
	v_lshlrev_b32_e32 v162, 26, v37
	v_cmp_ne_u32_e32 vcc_lo, 0, v159
	v_ashrrev_i32_e32 v164, 31, v164
	v_lshlrev_b32_e32 v163, 25, v37
	v_ashrrev_i32_e32 v155, 31, v155
	v_lshlrev_b32_e32 v159, 24, v37
	v_xor_b32_e32 v154, vcc_lo, v154
	v_cmp_gt_i32_e32 vcc_lo, 0, v156
	v_not_b32_e32 v156, v158
	v_xor_b32_e32 v164, s16, v164
	v_cmp_gt_i32_e64 s16, 0, v158
	v_and_b32_e32 v154, exec_lo, v154
	v_not_b32_e32 v158, v160
	v_ashrrev_i32_e32 v156, 31, v156
	v_xor_b32_e32 v155, vcc_lo, v155
	v_cmp_gt_i32_e32 vcc_lo, 0, v160
	v_and_b32_e32 v154, v154, v164
	v_not_b32_e32 v160, v162
	v_ashrrev_i32_e32 v158, 31, v158
	v_xor_b32_e32 v156, s16, v156
	v_cmp_gt_i32_e64 s16, 0, v162
	v_and_b32_e32 v154, v154, v155
	v_not_b32_e32 v155, v163
	v_ashrrev_i32_e32 v160, 31, v160
	v_xor_b32_e32 v158, vcc_lo, v158
	v_cmp_gt_i32_e32 vcc_lo, 0, v163
	v_and_b32_e32 v154, v154, v156
	v_not_b32_e32 v156, v159
	v_ashrrev_i32_e32 v155, 31, v155
	v_xor_b32_e32 v160, s16, v160
	v_mul_u32_u24_e32 v37, 9, v37
	v_and_b32_e32 v154, v154, v158
	v_cmp_gt_i32_e64 s16, 0, v159
	v_ashrrev_i32_e32 v156, 31, v156
	v_xor_b32_e32 v155, vcc_lo, v155
	v_add_lshl_u32 v158, v37, v126, 2
	v_and_b32_e32 v154, v154, v160
	s_delay_alu instid0(VALU_DEP_4) | instskip(NEXT) | instid1(VALU_DEP_3)
	v_xor_b32_e32 v37, s16, v156
	v_add_nc_u32_e32 v156, 0x420, v158
	s_delay_alu instid0(VALU_DEP_3) | instskip(SKIP_2) | instid1(VALU_DEP_1)
	v_and_b32_e32 v155, v154, v155
	ds_load_b32 v154, v158 offset:1056
	; wave barrier
	v_and_b32_e32 v37, v155, v37
	v_mbcnt_lo_u32_b32 v155, v37, 0
	v_cmp_ne_u32_e64 s16, 0, v37
	s_delay_alu instid0(VALU_DEP_2) | instskip(NEXT) | instid1(VALU_DEP_2)
	v_cmp_eq_u32_e32 vcc_lo, 0, v155
	s_and_b32 s17, s16, vcc_lo
	s_delay_alu instid0(SALU_CYCLE_1)
	s_and_saveexec_b32 s16, s17
	s_cbranch_execz .LBB1850_140
; %bb.139:                              ;   in Loop: Header=BB1850_98 Depth=2
	s_waitcnt lgkmcnt(0)
	v_bcnt_u32_b32 v37, v37, v154
	ds_store_b32 v156, v37
.LBB1850_140:                           ;   in Loop: Header=BB1850_98 Depth=2
	s_or_b32 exec_lo, exec_lo, s16
	v_cmp_lt_i16_e64 vcc_lo, -1, v153
	; wave barrier
	s_delay_alu instid0(VALU_DEP_1) | instskip(NEXT) | instid1(VALU_DEP_1)
	v_cndmask_b32_e64 v37, -1, 0xffff8000, vcc_lo
	v_xor_b32_e32 v153, v37, v153
	s_delay_alu instid0(VALU_DEP_1) | instskip(SKIP_1) | instid1(VALU_DEP_1)
	v_cmp_ne_u16_e64 vcc_lo, 0x7fff, v153
	v_cndmask_b32_e32 v37, 0xffff8000, v153, vcc_lo
	v_and_b32_e32 v37, 0xffff, v37
	s_delay_alu instid0(VALU_DEP_1) | instskip(NEXT) | instid1(VALU_DEP_1)
	v_lshrrev_b32_e32 v37, s48, v37
	v_and_b32_e32 v37, s55, v37
	s_delay_alu instid0(VALU_DEP_1)
	v_and_b32_e32 v158, 1, v37
	v_lshlrev_b32_e32 v159, 30, v37
	v_lshlrev_b32_e32 v160, 29, v37
	;; [unrolled: 1-line block ×4, first 2 shown]
	v_add_co_u32 v158, s16, v158, -1
	s_delay_alu instid0(VALU_DEP_1)
	v_cndmask_b32_e64 v163, 0, 1, s16
	v_not_b32_e32 v168, v159
	v_cmp_gt_i32_e64 s16, 0, v159
	v_not_b32_e32 v159, v160
	v_lshlrev_b32_e32 v166, 26, v37
	v_cmp_ne_u32_e32 vcc_lo, 0, v163
	v_ashrrev_i32_e32 v168, 31, v168
	v_lshlrev_b32_e32 v167, 25, v37
	v_ashrrev_i32_e32 v159, 31, v159
	v_lshlrev_b32_e32 v163, 24, v37
	v_xor_b32_e32 v158, vcc_lo, v158
	v_cmp_gt_i32_e32 vcc_lo, 0, v160
	v_not_b32_e32 v160, v162
	v_xor_b32_e32 v168, s16, v168
	v_cmp_gt_i32_e64 s16, 0, v162
	v_and_b32_e32 v158, exec_lo, v158
	v_not_b32_e32 v162, v164
	v_ashrrev_i32_e32 v160, 31, v160
	v_xor_b32_e32 v159, vcc_lo, v159
	v_cmp_gt_i32_e32 vcc_lo, 0, v164
	v_and_b32_e32 v158, v158, v168
	v_not_b32_e32 v164, v166
	v_ashrrev_i32_e32 v162, 31, v162
	v_xor_b32_e32 v160, s16, v160
	v_cmp_gt_i32_e64 s16, 0, v166
	v_and_b32_e32 v158, v158, v159
	v_not_b32_e32 v159, v167
	v_ashrrev_i32_e32 v164, 31, v164
	v_xor_b32_e32 v162, vcc_lo, v162
	v_cmp_gt_i32_e32 vcc_lo, 0, v167
	v_and_b32_e32 v158, v158, v160
	v_not_b32_e32 v160, v163
	v_ashrrev_i32_e32 v159, 31, v159
	v_xor_b32_e32 v164, s16, v164
	v_mul_u32_u24_e32 v37, 9, v37
	v_and_b32_e32 v158, v158, v162
	v_cmp_gt_i32_e64 s16, 0, v163
	v_ashrrev_i32_e32 v160, 31, v160
	v_xor_b32_e32 v159, vcc_lo, v159
	v_add_lshl_u32 v162, v37, v126, 2
	v_and_b32_e32 v158, v158, v164
	s_delay_alu instid0(VALU_DEP_4) | instskip(NEXT) | instid1(VALU_DEP_3)
	v_xor_b32_e32 v37, s16, v160
	v_add_nc_u32_e32 v160, 0x420, v162
	s_delay_alu instid0(VALU_DEP_3) | instskip(SKIP_2) | instid1(VALU_DEP_1)
	v_and_b32_e32 v159, v158, v159
	ds_load_b32 v158, v162 offset:1056
	; wave barrier
	v_and_b32_e32 v37, v159, v37
	v_mbcnt_lo_u32_b32 v159, v37, 0
	v_cmp_ne_u32_e64 s16, 0, v37
	s_delay_alu instid0(VALU_DEP_2) | instskip(NEXT) | instid1(VALU_DEP_2)
	v_cmp_eq_u32_e32 vcc_lo, 0, v159
	s_and_b32 s17, s16, vcc_lo
	s_delay_alu instid0(SALU_CYCLE_1)
	s_and_saveexec_b32 s16, s17
	s_cbranch_execz .LBB1850_142
; %bb.141:                              ;   in Loop: Header=BB1850_98 Depth=2
	s_waitcnt lgkmcnt(0)
	v_bcnt_u32_b32 v37, v37, v158
	ds_store_b32 v160, v37
.LBB1850_142:                           ;   in Loop: Header=BB1850_98 Depth=2
	s_or_b32 exec_lo, exec_lo, s16
	v_cmp_lt_i16_e64 vcc_lo, -1, v157
	; wave barrier
	s_delay_alu instid0(VALU_DEP_1) | instskip(NEXT) | instid1(VALU_DEP_1)
	v_cndmask_b32_e64 v37, -1, 0xffff8000, vcc_lo
	v_xor_b32_e32 v157, v37, v157
	s_delay_alu instid0(VALU_DEP_1) | instskip(SKIP_1) | instid1(VALU_DEP_1)
	v_cmp_ne_u16_e64 vcc_lo, 0x7fff, v157
	v_cndmask_b32_e32 v37, 0xffff8000, v157, vcc_lo
	v_and_b32_e32 v37, 0xffff, v37
	s_delay_alu instid0(VALU_DEP_1) | instskip(NEXT) | instid1(VALU_DEP_1)
	v_lshrrev_b32_e32 v37, s48, v37
	v_and_b32_e32 v37, s55, v37
	s_delay_alu instid0(VALU_DEP_1)
	v_and_b32_e32 v162, 1, v37
	v_lshlrev_b32_e32 v163, 30, v37
	v_lshlrev_b32_e32 v164, 29, v37
	;; [unrolled: 1-line block ×4, first 2 shown]
	v_add_co_u32 v162, s16, v162, -1
	s_delay_alu instid0(VALU_DEP_1)
	v_cndmask_b32_e64 v167, 0, 1, s16
	v_not_b32_e32 v173, v163
	v_cmp_gt_i32_e64 s16, 0, v163
	v_not_b32_e32 v163, v164
	v_lshlrev_b32_e32 v171, 26, v37
	v_cmp_ne_u32_e32 vcc_lo, 0, v167
	v_ashrrev_i32_e32 v173, 31, v173
	v_lshlrev_b32_e32 v172, 25, v37
	v_ashrrev_i32_e32 v163, 31, v163
	v_lshlrev_b32_e32 v167, 24, v37
	v_xor_b32_e32 v162, vcc_lo, v162
	v_cmp_gt_i32_e32 vcc_lo, 0, v164
	v_not_b32_e32 v164, v166
	v_xor_b32_e32 v173, s16, v173
	v_cmp_gt_i32_e64 s16, 0, v166
	v_and_b32_e32 v162, exec_lo, v162
	v_not_b32_e32 v166, v168
	v_ashrrev_i32_e32 v164, 31, v164
	v_xor_b32_e32 v163, vcc_lo, v163
	v_cmp_gt_i32_e32 vcc_lo, 0, v168
	v_and_b32_e32 v162, v162, v173
	v_not_b32_e32 v168, v171
	v_ashrrev_i32_e32 v166, 31, v166
	v_xor_b32_e32 v164, s16, v164
	v_cmp_gt_i32_e64 s16, 0, v171
	v_and_b32_e32 v162, v162, v163
	v_not_b32_e32 v163, v172
	v_ashrrev_i32_e32 v168, 31, v168
	v_xor_b32_e32 v166, vcc_lo, v166
	v_cmp_gt_i32_e32 vcc_lo, 0, v172
	v_and_b32_e32 v162, v162, v164
	v_not_b32_e32 v164, v167
	v_ashrrev_i32_e32 v163, 31, v163
	v_xor_b32_e32 v168, s16, v168
	v_mul_u32_u24_e32 v37, 9, v37
	v_and_b32_e32 v162, v162, v166
	v_cmp_gt_i32_e64 s16, 0, v167
	v_ashrrev_i32_e32 v164, 31, v164
	v_xor_b32_e32 v163, vcc_lo, v163
	v_add_lshl_u32 v166, v37, v126, 2
	v_and_b32_e32 v162, v162, v168
	s_delay_alu instid0(VALU_DEP_4) | instskip(NEXT) | instid1(VALU_DEP_3)
	v_xor_b32_e32 v37, s16, v164
	v_add_nc_u32_e32 v164, 0x420, v166
	s_delay_alu instid0(VALU_DEP_3) | instskip(SKIP_2) | instid1(VALU_DEP_1)
	v_and_b32_e32 v163, v162, v163
	ds_load_b32 v162, v166 offset:1056
	; wave barrier
	v_and_b32_e32 v37, v163, v37
	v_mbcnt_lo_u32_b32 v163, v37, 0
	v_cmp_ne_u32_e64 s16, 0, v37
	s_delay_alu instid0(VALU_DEP_2) | instskip(NEXT) | instid1(VALU_DEP_2)
	v_cmp_eq_u32_e32 vcc_lo, 0, v163
	s_and_b32 s17, s16, vcc_lo
	s_delay_alu instid0(SALU_CYCLE_1)
	s_and_saveexec_b32 s16, s17
	s_cbranch_execz .LBB1850_144
; %bb.143:                              ;   in Loop: Header=BB1850_98 Depth=2
	s_waitcnt lgkmcnt(0)
	v_bcnt_u32_b32 v37, v37, v162
	ds_store_b32 v164, v37
.LBB1850_144:                           ;   in Loop: Header=BB1850_98 Depth=2
	s_or_b32 exec_lo, exec_lo, s16
	v_cmp_lt_i16_e64 vcc_lo, -1, v161
	; wave barrier
	s_delay_alu instid0(VALU_DEP_1) | instskip(NEXT) | instid1(VALU_DEP_1)
	v_cndmask_b32_e64 v37, -1, 0xffff8000, vcc_lo
	v_xor_b32_e32 v161, v37, v161
	s_delay_alu instid0(VALU_DEP_1) | instskip(SKIP_1) | instid1(VALU_DEP_1)
	v_cmp_ne_u16_e64 vcc_lo, 0x7fff, v161
	v_cndmask_b32_e32 v37, 0xffff8000, v161, vcc_lo
	v_and_b32_e32 v37, 0xffff, v37
	s_delay_alu instid0(VALU_DEP_1) | instskip(NEXT) | instid1(VALU_DEP_1)
	v_lshrrev_b32_e32 v37, s48, v37
	v_and_b32_e32 v37, s55, v37
	s_delay_alu instid0(VALU_DEP_1)
	v_and_b32_e32 v166, 1, v37
	v_lshlrev_b32_e32 v167, 30, v37
	v_lshlrev_b32_e32 v168, 29, v37
	;; [unrolled: 1-line block ×4, first 2 shown]
	v_add_co_u32 v166, s16, v166, -1
	s_delay_alu instid0(VALU_DEP_1)
	v_cndmask_b32_e64 v172, 0, 1, s16
	v_not_b32_e32 v176, v167
	v_cmp_gt_i32_e64 s16, 0, v167
	v_not_b32_e32 v167, v168
	v_lshlrev_b32_e32 v174, 26, v37
	v_cmp_ne_u32_e32 vcc_lo, 0, v172
	v_ashrrev_i32_e32 v176, 31, v176
	v_lshlrev_b32_e32 v175, 25, v37
	v_ashrrev_i32_e32 v167, 31, v167
	v_lshlrev_b32_e32 v172, 24, v37
	v_xor_b32_e32 v166, vcc_lo, v166
	v_cmp_gt_i32_e32 vcc_lo, 0, v168
	v_not_b32_e32 v168, v171
	v_xor_b32_e32 v176, s16, v176
	v_cmp_gt_i32_e64 s16, 0, v171
	v_and_b32_e32 v166, exec_lo, v166
	v_not_b32_e32 v171, v173
	v_ashrrev_i32_e32 v168, 31, v168
	v_xor_b32_e32 v167, vcc_lo, v167
	v_cmp_gt_i32_e32 vcc_lo, 0, v173
	v_and_b32_e32 v166, v166, v176
	v_not_b32_e32 v173, v174
	v_ashrrev_i32_e32 v171, 31, v171
	v_xor_b32_e32 v168, s16, v168
	v_cmp_gt_i32_e64 s16, 0, v174
	v_and_b32_e32 v166, v166, v167
	v_not_b32_e32 v167, v175
	v_ashrrev_i32_e32 v173, 31, v173
	v_xor_b32_e32 v171, vcc_lo, v171
	v_cmp_gt_i32_e32 vcc_lo, 0, v175
	v_and_b32_e32 v166, v166, v168
	v_not_b32_e32 v168, v172
	v_ashrrev_i32_e32 v167, 31, v167
	v_xor_b32_e32 v173, s16, v173
	v_mul_u32_u24_e32 v37, 9, v37
	v_and_b32_e32 v166, v166, v171
	v_cmp_gt_i32_e64 s16, 0, v172
	v_ashrrev_i32_e32 v168, 31, v168
	v_xor_b32_e32 v167, vcc_lo, v167
	v_add_lshl_u32 v171, v37, v126, 2
	v_and_b32_e32 v166, v166, v173
	s_delay_alu instid0(VALU_DEP_4) | instskip(NEXT) | instid1(VALU_DEP_3)
	v_xor_b32_e32 v37, s16, v168
	v_add_nc_u32_e32 v168, 0x420, v171
	s_delay_alu instid0(VALU_DEP_3) | instskip(SKIP_2) | instid1(VALU_DEP_1)
	v_and_b32_e32 v167, v166, v167
	ds_load_b32 v166, v171 offset:1056
	; wave barrier
	v_and_b32_e32 v37, v167, v37
	v_mbcnt_lo_u32_b32 v167, v37, 0
	v_cmp_ne_u32_e64 s16, 0, v37
	s_delay_alu instid0(VALU_DEP_2) | instskip(NEXT) | instid1(VALU_DEP_2)
	v_cmp_eq_u32_e32 vcc_lo, 0, v167
	s_and_b32 s17, s16, vcc_lo
	s_delay_alu instid0(SALU_CYCLE_1)
	s_and_saveexec_b32 s16, s17
	s_cbranch_execz .LBB1850_146
; %bb.145:                              ;   in Loop: Header=BB1850_98 Depth=2
	s_waitcnt lgkmcnt(0)
	v_bcnt_u32_b32 v37, v37, v166
	ds_store_b32 v168, v37
.LBB1850_146:                           ;   in Loop: Header=BB1850_98 Depth=2
	s_or_b32 exec_lo, exec_lo, s16
	v_cmp_lt_i16_e64 vcc_lo, -1, v165
	; wave barrier
	s_delay_alu instid0(VALU_DEP_1) | instskip(NEXT) | instid1(VALU_DEP_1)
	v_cndmask_b32_e64 v37, -1, 0xffff8000, vcc_lo
	v_xor_b32_e32 v165, v37, v165
	s_delay_alu instid0(VALU_DEP_1) | instskip(SKIP_1) | instid1(VALU_DEP_1)
	v_cmp_ne_u16_e64 vcc_lo, 0x7fff, v165
	v_cndmask_b32_e32 v37, 0xffff8000, v165, vcc_lo
	v_and_b32_e32 v37, 0xffff, v37
	s_delay_alu instid0(VALU_DEP_1) | instskip(NEXT) | instid1(VALU_DEP_1)
	v_lshrrev_b32_e32 v37, s48, v37
	v_and_b32_e32 v37, s55, v37
	s_delay_alu instid0(VALU_DEP_1)
	v_and_b32_e32 v171, 1, v37
	v_lshlrev_b32_e32 v172, 30, v37
	v_lshlrev_b32_e32 v173, 29, v37
	;; [unrolled: 1-line block ×4, first 2 shown]
	v_add_co_u32 v171, s16, v171, -1
	s_delay_alu instid0(VALU_DEP_1)
	v_cndmask_b32_e64 v175, 0, 1, s16
	v_not_b32_e32 v179, v172
	v_cmp_gt_i32_e64 s16, 0, v172
	v_not_b32_e32 v172, v173
	v_lshlrev_b32_e32 v177, 26, v37
	v_cmp_ne_u32_e32 vcc_lo, 0, v175
	v_ashrrev_i32_e32 v179, 31, v179
	v_lshlrev_b32_e32 v178, 25, v37
	v_ashrrev_i32_e32 v172, 31, v172
	v_lshlrev_b32_e32 v175, 24, v37
	v_xor_b32_e32 v171, vcc_lo, v171
	v_cmp_gt_i32_e32 vcc_lo, 0, v173
	v_not_b32_e32 v173, v174
	v_xor_b32_e32 v179, s16, v179
	v_cmp_gt_i32_e64 s16, 0, v174
	v_and_b32_e32 v171, exec_lo, v171
	v_not_b32_e32 v174, v176
	v_ashrrev_i32_e32 v173, 31, v173
	v_xor_b32_e32 v172, vcc_lo, v172
	v_cmp_gt_i32_e32 vcc_lo, 0, v176
	v_and_b32_e32 v171, v171, v179
	v_not_b32_e32 v176, v177
	v_ashrrev_i32_e32 v174, 31, v174
	v_xor_b32_e32 v173, s16, v173
	v_cmp_gt_i32_e64 s16, 0, v177
	v_and_b32_e32 v171, v171, v172
	v_not_b32_e32 v172, v178
	v_ashrrev_i32_e32 v176, 31, v176
	v_xor_b32_e32 v174, vcc_lo, v174
	v_cmp_gt_i32_e32 vcc_lo, 0, v178
	v_and_b32_e32 v171, v171, v173
	v_not_b32_e32 v173, v175
	v_ashrrev_i32_e32 v172, 31, v172
	v_xor_b32_e32 v176, s16, v176
	v_mul_u32_u24_e32 v37, 9, v37
	v_and_b32_e32 v171, v171, v174
	v_cmp_gt_i32_e64 s16, 0, v175
	v_ashrrev_i32_e32 v173, 31, v173
	v_xor_b32_e32 v172, vcc_lo, v172
	v_add_lshl_u32 v174, v37, v126, 2
	v_and_b32_e32 v171, v171, v176
	s_delay_alu instid0(VALU_DEP_4) | instskip(NEXT) | instid1(VALU_DEP_3)
	v_xor_b32_e32 v37, s16, v173
	v_add_nc_u32_e32 v173, 0x420, v174
	s_delay_alu instid0(VALU_DEP_3) | instskip(SKIP_2) | instid1(VALU_DEP_1)
	v_and_b32_e32 v172, v171, v172
	ds_load_b32 v171, v174 offset:1056
	; wave barrier
	v_and_b32_e32 v37, v172, v37
	v_mbcnt_lo_u32_b32 v172, v37, 0
	v_cmp_ne_u32_e64 s16, 0, v37
	s_delay_alu instid0(VALU_DEP_2) | instskip(NEXT) | instid1(VALU_DEP_2)
	v_cmp_eq_u32_e32 vcc_lo, 0, v172
	s_and_b32 s17, s16, vcc_lo
	s_delay_alu instid0(SALU_CYCLE_1)
	s_and_saveexec_b32 s16, s17
	s_cbranch_execz .LBB1850_148
; %bb.147:                              ;   in Loop: Header=BB1850_98 Depth=2
	s_waitcnt lgkmcnt(0)
	v_bcnt_u32_b32 v37, v37, v171
	ds_store_b32 v173, v37
.LBB1850_148:                           ;   in Loop: Header=BB1850_98 Depth=2
	s_or_b32 exec_lo, exec_lo, s16
	v_cmp_lt_i16_e64 vcc_lo, -1, v170
	; wave barrier
	s_delay_alu instid0(VALU_DEP_1) | instskip(NEXT) | instid1(VALU_DEP_1)
	v_cndmask_b32_e64 v37, -1, 0xffff8000, vcc_lo
	v_xor_b32_e32 v170, v37, v170
	s_delay_alu instid0(VALU_DEP_1) | instskip(SKIP_1) | instid1(VALU_DEP_1)
	v_cmp_ne_u16_e64 vcc_lo, 0x7fff, v170
	v_cndmask_b32_e32 v37, 0xffff8000, v170, vcc_lo
	v_and_b32_e32 v37, 0xffff, v37
	s_delay_alu instid0(VALU_DEP_1) | instskip(NEXT) | instid1(VALU_DEP_1)
	v_lshrrev_b32_e32 v37, s48, v37
	v_and_b32_e32 v37, s55, v37
	s_delay_alu instid0(VALU_DEP_1)
	v_and_b32_e32 v174, 1, v37
	v_lshlrev_b32_e32 v175, 30, v37
	v_lshlrev_b32_e32 v176, 29, v37
	;; [unrolled: 1-line block ×4, first 2 shown]
	v_add_co_u32 v174, s16, v174, -1
	s_delay_alu instid0(VALU_DEP_1)
	v_cndmask_b32_e64 v178, 0, 1, s16
	v_not_b32_e32 v182, v175
	v_cmp_gt_i32_e64 s16, 0, v175
	v_not_b32_e32 v175, v176
	v_lshlrev_b32_e32 v180, 26, v37
	v_cmp_ne_u32_e32 vcc_lo, 0, v178
	v_ashrrev_i32_e32 v182, 31, v182
	v_lshlrev_b32_e32 v181, 25, v37
	v_ashrrev_i32_e32 v175, 31, v175
	v_lshlrev_b32_e32 v178, 24, v37
	v_xor_b32_e32 v174, vcc_lo, v174
	v_cmp_gt_i32_e32 vcc_lo, 0, v176
	v_not_b32_e32 v176, v177
	v_xor_b32_e32 v182, s16, v182
	v_cmp_gt_i32_e64 s16, 0, v177
	v_and_b32_e32 v174, exec_lo, v174
	v_not_b32_e32 v177, v179
	v_ashrrev_i32_e32 v176, 31, v176
	v_xor_b32_e32 v175, vcc_lo, v175
	v_cmp_gt_i32_e32 vcc_lo, 0, v179
	v_and_b32_e32 v174, v174, v182
	v_not_b32_e32 v179, v180
	v_ashrrev_i32_e32 v177, 31, v177
	v_xor_b32_e32 v176, s16, v176
	v_cmp_gt_i32_e64 s16, 0, v180
	v_and_b32_e32 v174, v174, v175
	v_not_b32_e32 v175, v181
	v_ashrrev_i32_e32 v179, 31, v179
	v_xor_b32_e32 v177, vcc_lo, v177
	v_cmp_gt_i32_e32 vcc_lo, 0, v181
	v_and_b32_e32 v174, v174, v176
	v_not_b32_e32 v176, v178
	v_ashrrev_i32_e32 v175, 31, v175
	v_xor_b32_e32 v179, s16, v179
	v_mul_u32_u24_e32 v37, 9, v37
	v_and_b32_e32 v174, v174, v177
	v_cmp_gt_i32_e64 s16, 0, v178
	v_ashrrev_i32_e32 v176, 31, v176
	v_xor_b32_e32 v175, vcc_lo, v175
	v_add_lshl_u32 v177, v37, v126, 2
	v_and_b32_e32 v174, v174, v179
	s_delay_alu instid0(VALU_DEP_4) | instskip(NEXT) | instid1(VALU_DEP_3)
	v_xor_b32_e32 v37, s16, v176
	v_add_nc_u32_e32 v176, 0x420, v177
	s_delay_alu instid0(VALU_DEP_3) | instskip(SKIP_2) | instid1(VALU_DEP_1)
	v_and_b32_e32 v175, v174, v175
	ds_load_b32 v174, v177 offset:1056
	; wave barrier
	v_and_b32_e32 v37, v175, v37
	v_mbcnt_lo_u32_b32 v175, v37, 0
	v_cmp_ne_u32_e64 s16, 0, v37
	s_delay_alu instid0(VALU_DEP_2) | instskip(NEXT) | instid1(VALU_DEP_2)
	v_cmp_eq_u32_e32 vcc_lo, 0, v175
	s_and_b32 s17, s16, vcc_lo
	s_delay_alu instid0(SALU_CYCLE_1)
	s_and_saveexec_b32 s16, s17
	s_cbranch_execz .LBB1850_150
; %bb.149:                              ;   in Loop: Header=BB1850_98 Depth=2
	s_waitcnt lgkmcnt(0)
	v_bcnt_u32_b32 v37, v37, v174
	ds_store_b32 v176, v37
.LBB1850_150:                           ;   in Loop: Header=BB1850_98 Depth=2
	s_or_b32 exec_lo, exec_lo, s16
	v_cmp_lt_i16_e64 vcc_lo, -1, v169
	; wave barrier
	s_delay_alu instid0(VALU_DEP_1) | instskip(NEXT) | instid1(VALU_DEP_1)
	v_cndmask_b32_e64 v37, -1, 0xffff8000, vcc_lo
	v_xor_b32_e32 v169, v37, v169
	s_delay_alu instid0(VALU_DEP_1) | instskip(SKIP_1) | instid1(VALU_DEP_1)
	v_cmp_ne_u16_e64 vcc_lo, 0x7fff, v169
	v_cndmask_b32_e32 v37, 0xffff8000, v169, vcc_lo
	v_and_b32_e32 v37, 0xffff, v37
	s_delay_alu instid0(VALU_DEP_1) | instskip(NEXT) | instid1(VALU_DEP_1)
	v_lshrrev_b32_e32 v37, s48, v37
	v_and_b32_e32 v37, s55, v37
	s_delay_alu instid0(VALU_DEP_1)
	v_and_b32_e32 v177, 1, v37
	v_lshlrev_b32_e32 v178, 30, v37
	v_lshlrev_b32_e32 v179, 29, v37
	;; [unrolled: 1-line block ×4, first 2 shown]
	v_add_co_u32 v177, s16, v177, -1
	s_delay_alu instid0(VALU_DEP_1)
	v_cndmask_b32_e64 v181, 0, 1, s16
	v_not_b32_e32 v185, v178
	v_cmp_gt_i32_e64 s16, 0, v178
	v_not_b32_e32 v178, v179
	v_lshlrev_b32_e32 v183, 26, v37
	v_cmp_ne_u32_e32 vcc_lo, 0, v181
	v_ashrrev_i32_e32 v185, 31, v185
	v_lshlrev_b32_e32 v184, 25, v37
	v_ashrrev_i32_e32 v178, 31, v178
	v_lshlrev_b32_e32 v181, 24, v37
	v_xor_b32_e32 v177, vcc_lo, v177
	v_cmp_gt_i32_e32 vcc_lo, 0, v179
	v_not_b32_e32 v179, v180
	v_xor_b32_e32 v185, s16, v185
	v_cmp_gt_i32_e64 s16, 0, v180
	v_and_b32_e32 v177, exec_lo, v177
	v_not_b32_e32 v180, v182
	v_ashrrev_i32_e32 v179, 31, v179
	v_xor_b32_e32 v178, vcc_lo, v178
	v_cmp_gt_i32_e32 vcc_lo, 0, v182
	v_and_b32_e32 v177, v177, v185
	v_not_b32_e32 v182, v183
	v_ashrrev_i32_e32 v180, 31, v180
	v_xor_b32_e32 v179, s16, v179
	v_cmp_gt_i32_e64 s16, 0, v183
	v_and_b32_e32 v177, v177, v178
	v_not_b32_e32 v178, v184
	v_ashrrev_i32_e32 v182, 31, v182
	v_xor_b32_e32 v180, vcc_lo, v180
	v_cmp_gt_i32_e32 vcc_lo, 0, v184
	v_and_b32_e32 v177, v177, v179
	v_not_b32_e32 v179, v181
	v_ashrrev_i32_e32 v178, 31, v178
	v_xor_b32_e32 v182, s16, v182
	v_mul_u32_u24_e32 v37, 9, v37
	v_and_b32_e32 v177, v177, v180
	v_cmp_gt_i32_e64 s16, 0, v181
	v_ashrrev_i32_e32 v179, 31, v179
	v_xor_b32_e32 v178, vcc_lo, v178
	v_add_lshl_u32 v180, v37, v126, 2
	v_and_b32_e32 v177, v177, v182
	s_delay_alu instid0(VALU_DEP_4) | instskip(NEXT) | instid1(VALU_DEP_2)
	v_xor_b32_e32 v37, s16, v179
	v_and_b32_e32 v177, v177, v178
	ds_load_b32 v178, v180 offset:1056
	v_add_nc_u32_e32 v180, 0x420, v180
	; wave barrier
	v_and_b32_e32 v37, v177, v37
	s_delay_alu instid0(VALU_DEP_1) | instskip(SKIP_1) | instid1(VALU_DEP_2)
	v_mbcnt_lo_u32_b32 v179, v37, 0
	v_cmp_ne_u32_e64 s16, 0, v37
	v_cmp_eq_u32_e32 vcc_lo, 0, v179
	s_delay_alu instid0(VALU_DEP_2) | instskip(NEXT) | instid1(SALU_CYCLE_1)
	s_and_b32 s17, s16, vcc_lo
	s_and_saveexec_b32 s16, s17
	s_cbranch_execz .LBB1850_152
; %bb.151:                              ;   in Loop: Header=BB1850_98 Depth=2
	s_waitcnt lgkmcnt(0)
	v_bcnt_u32_b32 v37, v37, v178
	ds_store_b32 v180, v37
.LBB1850_152:                           ;   in Loop: Header=BB1850_98 Depth=2
	s_or_b32 exec_lo, exec_lo, s16
	v_cmp_lt_i16_e32 vcc_lo, -1, v43
	; wave barrier
	v_cndmask_b32_e64 v37, -1, 0xffff8000, vcc_lo
	s_delay_alu instid0(VALU_DEP_1) | instskip(NEXT) | instid1(VALU_DEP_1)
	v_xor_b32_e32 v177, v37, v43
	v_cmp_ne_u16_e64 vcc_lo, 0x7fff, v177
	v_cndmask_b32_e32 v37, 0xffff8000, v177, vcc_lo
	s_delay_alu instid0(VALU_DEP_1) | instskip(NEXT) | instid1(VALU_DEP_1)
	v_and_b32_e32 v37, 0xffff, v37
	v_lshrrev_b32_e32 v37, s48, v37
	s_delay_alu instid0(VALU_DEP_1) | instskip(NEXT) | instid1(VALU_DEP_1)
	v_and_b32_e32 v37, s55, v37
	v_and_b32_e32 v43, 1, v37
	v_lshlrev_b32_e32 v181, 30, v37
	v_lshlrev_b32_e32 v182, 29, v37
	;; [unrolled: 1-line block ×4, first 2 shown]
	v_add_co_u32 v43, s16, v43, -1
	s_delay_alu instid0(VALU_DEP_1)
	v_cndmask_b32_e64 v184, 0, 1, s16
	v_not_b32_e32 v188, v181
	v_cmp_gt_i32_e64 s16, 0, v181
	v_not_b32_e32 v181, v182
	v_lshlrev_b32_e32 v186, 26, v37
	v_cmp_ne_u32_e32 vcc_lo, 0, v184
	v_ashrrev_i32_e32 v188, 31, v188
	v_lshlrev_b32_e32 v187, 25, v37
	v_ashrrev_i32_e32 v181, 31, v181
	v_lshlrev_b32_e32 v184, 24, v37
	v_xor_b32_e32 v43, vcc_lo, v43
	v_cmp_gt_i32_e32 vcc_lo, 0, v182
	v_not_b32_e32 v182, v183
	v_xor_b32_e32 v188, s16, v188
	v_cmp_gt_i32_e64 s16, 0, v183
	v_and_b32_e32 v43, exec_lo, v43
	v_not_b32_e32 v183, v185
	v_ashrrev_i32_e32 v182, 31, v182
	v_xor_b32_e32 v181, vcc_lo, v181
	v_cmp_gt_i32_e32 vcc_lo, 0, v185
	v_and_b32_e32 v43, v43, v188
	v_not_b32_e32 v185, v186
	v_ashrrev_i32_e32 v183, 31, v183
	v_xor_b32_e32 v182, s16, v182
	v_cmp_gt_i32_e64 s16, 0, v186
	v_and_b32_e32 v43, v43, v181
	v_not_b32_e32 v181, v187
	v_ashrrev_i32_e32 v185, 31, v185
	v_xor_b32_e32 v183, vcc_lo, v183
	v_cmp_gt_i32_e32 vcc_lo, 0, v187
	v_and_b32_e32 v43, v43, v182
	v_not_b32_e32 v182, v184
	v_ashrrev_i32_e32 v181, 31, v181
	v_xor_b32_e32 v185, s16, v185
	v_mul_u32_u24_e32 v37, 9, v37
	v_and_b32_e32 v43, v43, v183
	v_cmp_gt_i32_e64 s16, 0, v184
	v_ashrrev_i32_e32 v182, 31, v182
	v_xor_b32_e32 v181, vcc_lo, v181
	v_add_lshl_u32 v184, v37, v126, 2
	v_and_b32_e32 v43, v43, v185
	s_delay_alu instid0(VALU_DEP_4) | instskip(SKIP_3) | instid1(VALU_DEP_2)
	v_xor_b32_e32 v37, s16, v182
	ds_load_b32 v182, v184 offset:1056
	v_and_b32_e32 v43, v43, v181
	v_add_nc_u32_e32 v184, 0x420, v184
	; wave barrier
	v_and_b32_e32 v37, v43, v37
	s_delay_alu instid0(VALU_DEP_1) | instskip(SKIP_1) | instid1(VALU_DEP_2)
	v_mbcnt_lo_u32_b32 v183, v37, 0
	v_cmp_ne_u32_e64 s16, 0, v37
	v_cmp_eq_u32_e32 vcc_lo, 0, v183
	s_delay_alu instid0(VALU_DEP_2) | instskip(NEXT) | instid1(SALU_CYCLE_1)
	s_and_b32 s17, s16, vcc_lo
	s_and_saveexec_b32 s16, s17
	s_cbranch_execz .LBB1850_154
; %bb.153:                              ;   in Loop: Header=BB1850_98 Depth=2
	s_waitcnt lgkmcnt(0)
	v_bcnt_u32_b32 v37, v37, v182
	ds_store_b32 v184, v37
.LBB1850_154:                           ;   in Loop: Header=BB1850_98 Depth=2
	s_or_b32 exec_lo, exec_lo, s16
	v_cmp_lt_i16_e32 vcc_lo, -1, v42
	; wave barrier
	v_cndmask_b32_e64 v37, -1, 0xffff8000, vcc_lo
	s_delay_alu instid0(VALU_DEP_1) | instskip(NEXT) | instid1(VALU_DEP_1)
	v_xor_b32_e32 v181, v37, v42
	v_cmp_ne_u16_e64 vcc_lo, 0x7fff, v181
	v_cndmask_b32_e32 v37, 0xffff8000, v181, vcc_lo
	s_delay_alu instid0(VALU_DEP_1) | instskip(NEXT) | instid1(VALU_DEP_1)
	v_and_b32_e32 v37, 0xffff, v37
	v_lshrrev_b32_e32 v37, s48, v37
	s_delay_alu instid0(VALU_DEP_1) | instskip(NEXT) | instid1(VALU_DEP_1)
	v_and_b32_e32 v37, s55, v37
	v_and_b32_e32 v42, 1, v37
	v_lshlrev_b32_e32 v43, 30, v37
	v_lshlrev_b32_e32 v185, 29, v37
	v_lshlrev_b32_e32 v186, 28, v37
	v_lshlrev_b32_e32 v188, 27, v37
	v_add_co_u32 v42, s16, v42, -1
	s_delay_alu instid0(VALU_DEP_1)
	v_cndmask_b32_e64 v187, 0, 1, s16
	v_not_b32_e32 v191, v43
	v_cmp_gt_i32_e64 s16, 0, v43
	v_not_b32_e32 v43, v185
	v_lshlrev_b32_e32 v189, 26, v37
	v_cmp_ne_u32_e32 vcc_lo, 0, v187
	v_ashrrev_i32_e32 v191, 31, v191
	v_lshlrev_b32_e32 v190, 25, v37
	v_ashrrev_i32_e32 v43, 31, v43
	v_lshlrev_b32_e32 v187, 24, v37
	v_xor_b32_e32 v42, vcc_lo, v42
	v_cmp_gt_i32_e32 vcc_lo, 0, v185
	v_not_b32_e32 v185, v186
	v_xor_b32_e32 v191, s16, v191
	v_cmp_gt_i32_e64 s16, 0, v186
	v_and_b32_e32 v42, exec_lo, v42
	v_not_b32_e32 v186, v188
	v_ashrrev_i32_e32 v185, 31, v185
	v_xor_b32_e32 v43, vcc_lo, v43
	v_cmp_gt_i32_e32 vcc_lo, 0, v188
	v_and_b32_e32 v42, v42, v191
	v_not_b32_e32 v188, v189
	v_ashrrev_i32_e32 v186, 31, v186
	v_xor_b32_e32 v185, s16, v185
	v_cmp_gt_i32_e64 s16, 0, v189
	v_and_b32_e32 v42, v42, v43
	v_not_b32_e32 v43, v190
	v_ashrrev_i32_e32 v188, 31, v188
	v_xor_b32_e32 v186, vcc_lo, v186
	v_cmp_gt_i32_e32 vcc_lo, 0, v190
	v_and_b32_e32 v42, v42, v185
	v_not_b32_e32 v185, v187
	v_ashrrev_i32_e32 v43, 31, v43
	v_xor_b32_e32 v188, s16, v188
	v_mul_u32_u24_e32 v37, 9, v37
	v_and_b32_e32 v42, v42, v186
	v_cmp_gt_i32_e64 s16, 0, v187
	v_ashrrev_i32_e32 v185, 31, v185
	v_xor_b32_e32 v43, vcc_lo, v43
	s_delay_alu instid0(VALU_DEP_4) | instskip(SKIP_1) | instid1(VALU_DEP_4)
	v_and_b32_e32 v42, v42, v188
	v_add_lshl_u32 v188, v37, v126, 2
	v_xor_b32_e32 v37, s16, v185
	s_delay_alu instid0(VALU_DEP_3) | instskip(SKIP_3) | instid1(VALU_DEP_1)
	v_and_b32_e32 v42, v42, v43
	ds_load_b32 v186, v188 offset:1056
	v_add_nc_u32_e32 v188, 0x420, v188
	; wave barrier
	v_and_b32_e32 v37, v42, v37
	v_mbcnt_lo_u32_b32 v187, v37, 0
	v_cmp_ne_u32_e64 s16, 0, v37
	s_delay_alu instid0(VALU_DEP_2) | instskip(NEXT) | instid1(VALU_DEP_2)
	v_cmp_eq_u32_e32 vcc_lo, 0, v187
	s_and_b32 s17, s16, vcc_lo
	s_delay_alu instid0(SALU_CYCLE_1)
	s_and_saveexec_b32 s16, s17
	s_cbranch_execz .LBB1850_156
; %bb.155:                              ;   in Loop: Header=BB1850_98 Depth=2
	s_waitcnt lgkmcnt(0)
	v_bcnt_u32_b32 v37, v37, v186
	ds_store_b32 v188, v37
.LBB1850_156:                           ;   in Loop: Header=BB1850_98 Depth=2
	s_or_b32 exec_lo, exec_lo, s16
	v_cmp_lt_i16_e32 vcc_lo, -1, v41
	; wave barrier
	v_cndmask_b32_e64 v37, -1, 0xffff8000, vcc_lo
	s_delay_alu instid0(VALU_DEP_1) | instskip(NEXT) | instid1(VALU_DEP_1)
	v_xor_b32_e32 v185, v37, v41
	v_cmp_ne_u16_e64 vcc_lo, 0x7fff, v185
	v_cndmask_b32_e32 v37, 0xffff8000, v185, vcc_lo
	s_delay_alu instid0(VALU_DEP_1) | instskip(NEXT) | instid1(VALU_DEP_1)
	v_and_b32_e32 v37, 0xffff, v37
	v_lshrrev_b32_e32 v37, s48, v37
	s_delay_alu instid0(VALU_DEP_1) | instskip(NEXT) | instid1(VALU_DEP_1)
	v_and_b32_e32 v37, s55, v37
	v_and_b32_e32 v41, 1, v37
	v_lshlrev_b32_e32 v42, 30, v37
	v_lshlrev_b32_e32 v43, 29, v37
	;; [unrolled: 1-line block ×4, first 2 shown]
	v_add_co_u32 v41, s16, v41, -1
	s_delay_alu instid0(VALU_DEP_1)
	v_cndmask_b32_e64 v190, 0, 1, s16
	v_not_b32_e32 v194, v42
	v_cmp_gt_i32_e64 s16, 0, v42
	v_not_b32_e32 v42, v43
	v_lshlrev_b32_e32 v192, 26, v37
	v_cmp_ne_u32_e32 vcc_lo, 0, v190
	v_ashrrev_i32_e32 v194, 31, v194
	v_lshlrev_b32_e32 v193, 25, v37
	v_ashrrev_i32_e32 v42, 31, v42
	v_lshlrev_b32_e32 v190, 24, v37
	v_xor_b32_e32 v41, vcc_lo, v41
	v_cmp_gt_i32_e32 vcc_lo, 0, v43
	v_not_b32_e32 v43, v189
	v_xor_b32_e32 v194, s16, v194
	v_cmp_gt_i32_e64 s16, 0, v189
	v_and_b32_e32 v41, exec_lo, v41
	v_not_b32_e32 v189, v191
	v_ashrrev_i32_e32 v43, 31, v43
	v_xor_b32_e32 v42, vcc_lo, v42
	v_cmp_gt_i32_e32 vcc_lo, 0, v191
	v_and_b32_e32 v41, v41, v194
	v_not_b32_e32 v191, v192
	v_ashrrev_i32_e32 v189, 31, v189
	v_xor_b32_e32 v43, s16, v43
	v_cmp_gt_i32_e64 s16, 0, v192
	v_and_b32_e32 v41, v41, v42
	v_not_b32_e32 v42, v193
	v_ashrrev_i32_e32 v191, 31, v191
	v_xor_b32_e32 v189, vcc_lo, v189
	v_cmp_gt_i32_e32 vcc_lo, 0, v193
	v_and_b32_e32 v41, v41, v43
	v_not_b32_e32 v43, v190
	v_ashrrev_i32_e32 v42, 31, v42
	v_xor_b32_e32 v191, s16, v191
	v_mul_u32_u24_e32 v37, 9, v37
	v_and_b32_e32 v41, v41, v189
	v_cmp_gt_i32_e64 s16, 0, v190
	v_ashrrev_i32_e32 v43, 31, v43
	v_xor_b32_e32 v42, vcc_lo, v42
	v_add_lshl_u32 v189, v37, v126, 2
	v_and_b32_e32 v41, v41, v191
	s_delay_alu instid0(VALU_DEP_4) | instskip(SKIP_3) | instid1(VALU_DEP_2)
	v_xor_b32_e32 v37, s16, v43
	ds_load_b32 v190, v189 offset:1056
	v_and_b32_e32 v41, v41, v42
	v_add_nc_u32_e32 v192, 0x420, v189
	; wave barrier
	v_and_b32_e32 v37, v41, v37
	s_delay_alu instid0(VALU_DEP_1) | instskip(SKIP_1) | instid1(VALU_DEP_2)
	v_mbcnt_lo_u32_b32 v191, v37, 0
	v_cmp_ne_u32_e64 s16, 0, v37
	v_cmp_eq_u32_e32 vcc_lo, 0, v191
	s_delay_alu instid0(VALU_DEP_2) | instskip(NEXT) | instid1(SALU_CYCLE_1)
	s_and_b32 s17, s16, vcc_lo
	s_and_saveexec_b32 s16, s17
	s_cbranch_execz .LBB1850_158
; %bb.157:                              ;   in Loop: Header=BB1850_98 Depth=2
	s_waitcnt lgkmcnt(0)
	v_bcnt_u32_b32 v37, v37, v190
	ds_store_b32 v192, v37
.LBB1850_158:                           ;   in Loop: Header=BB1850_98 Depth=2
	s_or_b32 exec_lo, exec_lo, s16
	v_cmp_lt_i16_e32 vcc_lo, -1, v40
	; wave barrier
	v_cndmask_b32_e64 v37, -1, 0xffff8000, vcc_lo
	s_delay_alu instid0(VALU_DEP_1) | instskip(NEXT) | instid1(VALU_DEP_1)
	v_xor_b32_e32 v189, v37, v40
	v_cmp_ne_u16_e64 vcc_lo, 0x7fff, v189
	v_cndmask_b32_e32 v37, 0xffff8000, v189, vcc_lo
	s_delay_alu instid0(VALU_DEP_1) | instskip(NEXT) | instid1(VALU_DEP_1)
	v_and_b32_e32 v37, 0xffff, v37
	v_lshrrev_b32_e32 v37, s48, v37
	s_delay_alu instid0(VALU_DEP_1) | instskip(NEXT) | instid1(VALU_DEP_1)
	v_and_b32_e32 v37, s55, v37
	v_and_b32_e32 v40, 1, v37
	v_lshlrev_b32_e32 v41, 30, v37
	v_lshlrev_b32_e32 v42, 29, v37
	;; [unrolled: 1-line block ×4, first 2 shown]
	v_add_co_u32 v40, s16, v40, -1
	s_delay_alu instid0(VALU_DEP_1)
	v_cndmask_b32_e64 v193, 0, 1, s16
	v_not_b32_e32 v197, v41
	v_cmp_gt_i32_e64 s16, 0, v41
	v_not_b32_e32 v41, v42
	v_lshlrev_b32_e32 v195, 26, v37
	v_cmp_ne_u32_e32 vcc_lo, 0, v193
	v_ashrrev_i32_e32 v197, 31, v197
	v_lshlrev_b32_e32 v196, 25, v37
	v_ashrrev_i32_e32 v41, 31, v41
	v_lshlrev_b32_e32 v193, 24, v37
	v_xor_b32_e32 v40, vcc_lo, v40
	v_cmp_gt_i32_e32 vcc_lo, 0, v42
	v_not_b32_e32 v42, v43
	v_xor_b32_e32 v197, s16, v197
	v_cmp_gt_i32_e64 s16, 0, v43
	v_and_b32_e32 v40, exec_lo, v40
	v_not_b32_e32 v43, v194
	v_ashrrev_i32_e32 v42, 31, v42
	v_xor_b32_e32 v41, vcc_lo, v41
	v_cmp_gt_i32_e32 vcc_lo, 0, v194
	v_and_b32_e32 v40, v40, v197
	v_not_b32_e32 v194, v195
	v_ashrrev_i32_e32 v43, 31, v43
	v_xor_b32_e32 v42, s16, v42
	v_cmp_gt_i32_e64 s16, 0, v195
	v_and_b32_e32 v40, v40, v41
	v_not_b32_e32 v41, v196
	v_ashrrev_i32_e32 v194, 31, v194
	v_xor_b32_e32 v43, vcc_lo, v43
	v_cmp_gt_i32_e32 vcc_lo, 0, v196
	v_and_b32_e32 v40, v40, v42
	v_not_b32_e32 v42, v193
	v_ashrrev_i32_e32 v41, 31, v41
	v_xor_b32_e32 v194, s16, v194
	v_mul_u32_u24_e32 v37, 9, v37
	v_and_b32_e32 v40, v40, v43
	v_cmp_gt_i32_e64 s16, 0, v193
	v_ashrrev_i32_e32 v42, 31, v42
	v_xor_b32_e32 v41, vcc_lo, v41
	v_add_lshl_u32 v43, v37, v126, 2
	v_and_b32_e32 v40, v40, v194
	s_delay_alu instid0(VALU_DEP_4) | instskip(SKIP_3) | instid1(VALU_DEP_2)
	v_xor_b32_e32 v37, s16, v42
	ds_load_b32 v194, v43 offset:1056
	v_and_b32_e32 v40, v40, v41
	v_add_nc_u32_e32 v196, 0x420, v43
	; wave barrier
	v_and_b32_e32 v37, v40, v37
	s_delay_alu instid0(VALU_DEP_1) | instskip(SKIP_1) | instid1(VALU_DEP_2)
	v_mbcnt_lo_u32_b32 v195, v37, 0
	v_cmp_ne_u32_e64 s16, 0, v37
	v_cmp_eq_u32_e32 vcc_lo, 0, v195
	s_delay_alu instid0(VALU_DEP_2) | instskip(NEXT) | instid1(SALU_CYCLE_1)
	s_and_b32 s17, s16, vcc_lo
	s_and_saveexec_b32 s16, s17
	s_cbranch_execz .LBB1850_160
; %bb.159:                              ;   in Loop: Header=BB1850_98 Depth=2
	s_waitcnt lgkmcnt(0)
	v_bcnt_u32_b32 v37, v37, v194
	ds_store_b32 v196, v37
.LBB1850_160:                           ;   in Loop: Header=BB1850_98 Depth=2
	s_or_b32 exec_lo, exec_lo, s16
	v_cmp_lt_i16_e32 vcc_lo, -1, v39
	; wave barrier
	v_cndmask_b32_e64 v37, -1, 0xffff8000, vcc_lo
	s_delay_alu instid0(VALU_DEP_1) | instskip(NEXT) | instid1(VALU_DEP_1)
	v_xor_b32_e32 v193, v37, v39
	v_cmp_ne_u16_e64 vcc_lo, 0x7fff, v193
	v_cndmask_b32_e32 v37, 0xffff8000, v193, vcc_lo
	s_delay_alu instid0(VALU_DEP_1) | instskip(NEXT) | instid1(VALU_DEP_1)
	v_and_b32_e32 v37, 0xffff, v37
	v_lshrrev_b32_e32 v37, s48, v37
	s_delay_alu instid0(VALU_DEP_1) | instskip(NEXT) | instid1(VALU_DEP_1)
	v_and_b32_e32 v37, s55, v37
	v_and_b32_e32 v39, 1, v37
	v_lshlrev_b32_e32 v40, 30, v37
	v_lshlrev_b32_e32 v41, 29, v37
	;; [unrolled: 1-line block ×4, first 2 shown]
	v_add_co_u32 v39, s16, v39, -1
	s_delay_alu instid0(VALU_DEP_1)
	v_cndmask_b32_e64 v43, 0, 1, s16
	v_not_b32_e32 v200, v40
	v_cmp_gt_i32_e64 s16, 0, v40
	v_not_b32_e32 v40, v41
	v_lshlrev_b32_e32 v198, 26, v37
	v_cmp_ne_u32_e32 vcc_lo, 0, v43
	v_ashrrev_i32_e32 v200, 31, v200
	v_lshlrev_b32_e32 v199, 25, v37
	v_ashrrev_i32_e32 v40, 31, v40
	v_lshlrev_b32_e32 v43, 24, v37
	v_xor_b32_e32 v39, vcc_lo, v39
	v_cmp_gt_i32_e32 vcc_lo, 0, v41
	v_not_b32_e32 v41, v42
	v_xor_b32_e32 v200, s16, v200
	v_cmp_gt_i32_e64 s16, 0, v42
	v_and_b32_e32 v39, exec_lo, v39
	v_not_b32_e32 v42, v197
	v_ashrrev_i32_e32 v41, 31, v41
	v_xor_b32_e32 v40, vcc_lo, v40
	v_cmp_gt_i32_e32 vcc_lo, 0, v197
	v_and_b32_e32 v39, v39, v200
	v_not_b32_e32 v197, v198
	v_ashrrev_i32_e32 v42, 31, v42
	v_xor_b32_e32 v41, s16, v41
	v_cmp_gt_i32_e64 s16, 0, v198
	v_and_b32_e32 v39, v39, v40
	v_not_b32_e32 v40, v199
	v_ashrrev_i32_e32 v197, 31, v197
	v_xor_b32_e32 v42, vcc_lo, v42
	v_cmp_gt_i32_e32 vcc_lo, 0, v199
	v_and_b32_e32 v39, v39, v41
	v_not_b32_e32 v41, v43
	v_ashrrev_i32_e32 v40, 31, v40
	v_xor_b32_e32 v197, s16, v197
	v_mul_u32_u24_e32 v37, 9, v37
	v_and_b32_e32 v39, v39, v42
	v_cmp_gt_i32_e64 s16, 0, v43
	v_ashrrev_i32_e32 v41, 31, v41
	v_xor_b32_e32 v40, vcc_lo, v40
	v_add_lshl_u32 v42, v37, v126, 2
	v_and_b32_e32 v39, v39, v197
	s_delay_alu instid0(VALU_DEP_4) | instskip(SKIP_3) | instid1(VALU_DEP_2)
	v_xor_b32_e32 v37, s16, v41
	ds_load_b32 v198, v42 offset:1056
	v_and_b32_e32 v39, v39, v40
	v_add_nc_u32_e32 v200, 0x420, v42
	; wave barrier
	v_and_b32_e32 v37, v39, v37
	s_delay_alu instid0(VALU_DEP_1) | instskip(SKIP_1) | instid1(VALU_DEP_2)
	v_mbcnt_lo_u32_b32 v199, v37, 0
	v_cmp_ne_u32_e64 s16, 0, v37
	v_cmp_eq_u32_e32 vcc_lo, 0, v199
	s_delay_alu instid0(VALU_DEP_2) | instskip(NEXT) | instid1(SALU_CYCLE_1)
	s_and_b32 s17, s16, vcc_lo
	s_and_saveexec_b32 s16, s17
	s_cbranch_execz .LBB1850_162
; %bb.161:                              ;   in Loop: Header=BB1850_98 Depth=2
	s_waitcnt lgkmcnt(0)
	v_bcnt_u32_b32 v37, v37, v198
	ds_store_b32 v200, v37
.LBB1850_162:                           ;   in Loop: Header=BB1850_98 Depth=2
	s_or_b32 exec_lo, exec_lo, s16
	v_cmp_lt_i16_e32 vcc_lo, -1, v38
	; wave barrier
	v_cndmask_b32_e64 v37, -1, 0xffff8000, vcc_lo
	s_delay_alu instid0(VALU_DEP_1) | instskip(NEXT) | instid1(VALU_DEP_1)
	v_xor_b32_e32 v197, v37, v38
	v_cmp_ne_u16_e64 vcc_lo, 0x7fff, v197
	v_cndmask_b32_e32 v37, 0xffff8000, v197, vcc_lo
	s_delay_alu instid0(VALU_DEP_1) | instskip(NEXT) | instid1(VALU_DEP_1)
	v_and_b32_e32 v37, 0xffff, v37
	v_lshrrev_b32_e32 v37, s48, v37
	s_delay_alu instid0(VALU_DEP_1) | instskip(NEXT) | instid1(VALU_DEP_1)
	v_and_b32_e32 v37, s55, v37
	v_and_b32_e32 v38, 1, v37
	v_lshlrev_b32_e32 v39, 30, v37
	v_lshlrev_b32_e32 v40, 29, v37
	;; [unrolled: 1-line block ×4, first 2 shown]
	v_add_co_u32 v38, s16, v38, -1
	s_delay_alu instid0(VALU_DEP_1)
	v_cndmask_b32_e64 v42, 0, 1, s16
	v_not_b32_e32 v203, v39
	v_cmp_gt_i32_e64 s16, 0, v39
	v_not_b32_e32 v39, v40
	v_lshlrev_b32_e32 v201, 26, v37
	v_cmp_ne_u32_e32 vcc_lo, 0, v42
	v_ashrrev_i32_e32 v203, 31, v203
	v_lshlrev_b32_e32 v202, 25, v37
	v_ashrrev_i32_e32 v39, 31, v39
	v_lshlrev_b32_e32 v42, 24, v37
	v_xor_b32_e32 v38, vcc_lo, v38
	v_cmp_gt_i32_e32 vcc_lo, 0, v40
	v_not_b32_e32 v40, v41
	v_xor_b32_e32 v203, s16, v203
	v_cmp_gt_i32_e64 s16, 0, v41
	v_and_b32_e32 v38, exec_lo, v38
	v_not_b32_e32 v41, v43
	v_ashrrev_i32_e32 v40, 31, v40
	v_xor_b32_e32 v39, vcc_lo, v39
	v_cmp_gt_i32_e32 vcc_lo, 0, v43
	v_and_b32_e32 v38, v38, v203
	v_not_b32_e32 v43, v201
	v_ashrrev_i32_e32 v41, 31, v41
	v_xor_b32_e32 v40, s16, v40
	v_cmp_gt_i32_e64 s16, 0, v201
	v_and_b32_e32 v38, v38, v39
	v_not_b32_e32 v39, v202
	v_ashrrev_i32_e32 v43, 31, v43
	v_xor_b32_e32 v41, vcc_lo, v41
	v_cmp_gt_i32_e32 vcc_lo, 0, v202
	v_and_b32_e32 v38, v38, v40
	v_not_b32_e32 v40, v42
	v_ashrrev_i32_e32 v39, 31, v39
	v_xor_b32_e32 v43, s16, v43
	v_mul_u32_u24_e32 v37, 9, v37
	v_and_b32_e32 v38, v38, v41
	v_cmp_gt_i32_e64 s16, 0, v42
	v_ashrrev_i32_e32 v40, 31, v40
	v_xor_b32_e32 v39, vcc_lo, v39
	v_add_lshl_u32 v41, v37, v126, 2
	v_and_b32_e32 v38, v38, v43
	s_delay_alu instid0(VALU_DEP_4) | instskip(SKIP_3) | instid1(VALU_DEP_2)
	v_xor_b32_e32 v37, s16, v40
	ds_load_b32 v202, v41 offset:1056
	v_and_b32_e32 v38, v38, v39
	v_add_nc_u32_e32 v204, 0x420, v41
	; wave barrier
	v_and_b32_e32 v37, v38, v37
	s_delay_alu instid0(VALU_DEP_1) | instskip(SKIP_1) | instid1(VALU_DEP_2)
	v_mbcnt_lo_u32_b32 v203, v37, 0
	v_cmp_ne_u32_e64 s16, 0, v37
	v_cmp_eq_u32_e32 vcc_lo, 0, v203
	s_delay_alu instid0(VALU_DEP_2) | instskip(NEXT) | instid1(SALU_CYCLE_1)
	s_and_b32 s17, s16, vcc_lo
	s_and_saveexec_b32 s16, s17
	s_cbranch_execz .LBB1850_164
; %bb.163:                              ;   in Loop: Header=BB1850_98 Depth=2
	s_waitcnt lgkmcnt(0)
	v_bcnt_u32_b32 v37, v37, v202
	ds_store_b32 v204, v37
.LBB1850_164:                           ;   in Loop: Header=BB1850_98 Depth=2
	s_or_b32 exec_lo, exec_lo, s16
	v_cmp_lt_i16_e32 vcc_lo, -1, v36
	; wave barrier
	v_cndmask_b32_e64 v37, -1, 0xffff8000, vcc_lo
	s_delay_alu instid0(VALU_DEP_1) | instskip(NEXT) | instid1(VALU_DEP_1)
	v_xor_b32_e32 v201, v37, v36
	v_cmp_ne_u16_e64 vcc_lo, 0x7fff, v201
	v_cndmask_b32_e32 v36, 0xffff8000, v201, vcc_lo
	s_delay_alu instid0(VALU_DEP_1) | instskip(NEXT) | instid1(VALU_DEP_1)
	v_and_b32_e32 v36, 0xffff, v36
	v_lshrrev_b32_e32 v36, s48, v36
	s_delay_alu instid0(VALU_DEP_1) | instskip(NEXT) | instid1(VALU_DEP_1)
	v_and_b32_e32 v36, s55, v36
	v_and_b32_e32 v37, 1, v36
	v_lshlrev_b32_e32 v38, 30, v36
	v_lshlrev_b32_e32 v39, 29, v36
	;; [unrolled: 1-line block ×4, first 2 shown]
	v_add_co_u32 v37, s16, v37, -1
	s_delay_alu instid0(VALU_DEP_1)
	v_cndmask_b32_e64 v41, 0, 1, s16
	v_not_b32_e32 v206, v38
	v_cmp_gt_i32_e64 s16, 0, v38
	v_not_b32_e32 v38, v39
	v_lshlrev_b32_e32 v43, 26, v36
	v_cmp_ne_u32_e32 vcc_lo, 0, v41
	v_ashrrev_i32_e32 v206, 31, v206
	v_lshlrev_b32_e32 v205, 25, v36
	v_ashrrev_i32_e32 v38, 31, v38
	v_lshlrev_b32_e32 v41, 24, v36
	v_xor_b32_e32 v37, vcc_lo, v37
	v_cmp_gt_i32_e32 vcc_lo, 0, v39
	v_not_b32_e32 v39, v40
	v_xor_b32_e32 v206, s16, v206
	v_cmp_gt_i32_e64 s16, 0, v40
	v_and_b32_e32 v37, exec_lo, v37
	v_not_b32_e32 v40, v42
	v_ashrrev_i32_e32 v39, 31, v39
	v_xor_b32_e32 v38, vcc_lo, v38
	v_cmp_gt_i32_e32 vcc_lo, 0, v42
	v_and_b32_e32 v37, v37, v206
	v_not_b32_e32 v42, v43
	v_ashrrev_i32_e32 v40, 31, v40
	v_xor_b32_e32 v39, s16, v39
	v_cmp_gt_i32_e64 s16, 0, v43
	v_and_b32_e32 v37, v37, v38
	v_not_b32_e32 v38, v205
	v_ashrrev_i32_e32 v42, 31, v42
	v_xor_b32_e32 v40, vcc_lo, v40
	v_cmp_gt_i32_e32 vcc_lo, 0, v205
	v_and_b32_e32 v37, v37, v39
	v_not_b32_e32 v39, v41
	v_ashrrev_i32_e32 v38, 31, v38
	v_xor_b32_e32 v42, s16, v42
	v_mul_u32_u24_e32 v36, 9, v36
	v_and_b32_e32 v37, v37, v40
	v_cmp_gt_i32_e64 s16, 0, v41
	v_ashrrev_i32_e32 v39, 31, v39
	v_xor_b32_e32 v38, vcc_lo, v38
	v_add_lshl_u32 v40, v36, v126, 2
	v_and_b32_e32 v37, v37, v42
	s_delay_alu instid0(VALU_DEP_4) | instskip(SKIP_3) | instid1(VALU_DEP_2)
	v_xor_b32_e32 v36, s16, v39
	ds_load_b32 v205, v40 offset:1056
	v_and_b32_e32 v37, v37, v38
	v_add_nc_u32_e32 v207, 0x420, v40
	; wave barrier
	v_and_b32_e32 v36, v37, v36
	s_delay_alu instid0(VALU_DEP_1) | instskip(SKIP_1) | instid1(VALU_DEP_2)
	v_mbcnt_lo_u32_b32 v206, v36, 0
	v_cmp_ne_u32_e64 s16, 0, v36
	v_cmp_eq_u32_e32 vcc_lo, 0, v206
	s_delay_alu instid0(VALU_DEP_2) | instskip(NEXT) | instid1(SALU_CYCLE_1)
	s_and_b32 s17, s16, vcc_lo
	s_and_saveexec_b32 s16, s17
	s_cbranch_execz .LBB1850_166
; %bb.165:                              ;   in Loop: Header=BB1850_98 Depth=2
	s_waitcnt lgkmcnt(0)
	v_bcnt_u32_b32 v36, v36, v205
	ds_store_b32 v207, v36
.LBB1850_166:                           ;   in Loop: Header=BB1850_98 Depth=2
	s_or_b32 exec_lo, exec_lo, s16
	; wave barrier
	s_waitcnt lgkmcnt(0)
	s_barrier
	buffer_gl0_inv
	ds_load_b32 v208, v69 offset:1056
	ds_load_2addr_b32 v[42:43], v71 offset0:1 offset1:2
	ds_load_2addr_b32 v[40:41], v71 offset0:3 offset1:4
	;; [unrolled: 1-line block ×4, first 2 shown]
	s_waitcnt lgkmcnt(3)
	v_add3_u32 v209, v42, v208, v43
	s_waitcnt lgkmcnt(2)
	s_delay_alu instid0(VALU_DEP_1) | instskip(SKIP_1) | instid1(VALU_DEP_1)
	v_add3_u32 v209, v209, v40, v41
	s_waitcnt lgkmcnt(1)
	v_add3_u32 v209, v209, v36, v37
	s_waitcnt lgkmcnt(0)
	s_delay_alu instid0(VALU_DEP_1) | instskip(NEXT) | instid1(VALU_DEP_1)
	v_add3_u32 v39, v209, v38, v39
	v_mov_b32_dpp v209, v39 row_shr:1 row_mask:0xf bank_mask:0xf
	s_delay_alu instid0(VALU_DEP_1) | instskip(NEXT) | instid1(VALU_DEP_1)
	v_cndmask_b32_e64 v209, v209, 0, s0
	v_add_nc_u32_e32 v39, v209, v39
	s_delay_alu instid0(VALU_DEP_1) | instskip(NEXT) | instid1(VALU_DEP_1)
	v_mov_b32_dpp v209, v39 row_shr:2 row_mask:0xf bank_mask:0xf
	v_cndmask_b32_e64 v209, 0, v209, s1
	s_delay_alu instid0(VALU_DEP_1) | instskip(NEXT) | instid1(VALU_DEP_1)
	v_add_nc_u32_e32 v39, v39, v209
	v_mov_b32_dpp v209, v39 row_shr:4 row_mask:0xf bank_mask:0xf
	s_delay_alu instid0(VALU_DEP_1) | instskip(NEXT) | instid1(VALU_DEP_1)
	v_cndmask_b32_e64 v209, 0, v209, s8
	v_add_nc_u32_e32 v39, v39, v209
	s_delay_alu instid0(VALU_DEP_1) | instskip(NEXT) | instid1(VALU_DEP_1)
	v_mov_b32_dpp v209, v39 row_shr:8 row_mask:0xf bank_mask:0xf
	v_cndmask_b32_e64 v209, 0, v209, s9
	s_delay_alu instid0(VALU_DEP_1) | instskip(SKIP_3) | instid1(VALU_DEP_1)
	v_add_nc_u32_e32 v39, v39, v209
	ds_swizzle_b32 v209, v39 offset:swizzle(BROADCAST,32,15)
	s_waitcnt lgkmcnt(0)
	v_cndmask_b32_e64 v209, v209, 0, s10
	v_add_nc_u32_e32 v39, v39, v209
	s_and_saveexec_b32 s16, s3
	s_cbranch_execz .LBB1850_168
; %bb.167:                              ;   in Loop: Header=BB1850_98 Depth=2
	ds_store_b32 v62, v39 offset:1024
.LBB1850_168:                           ;   in Loop: Header=BB1850_98 Depth=2
	s_or_b32 exec_lo, exec_lo, s16
	s_waitcnt lgkmcnt(0)
	s_barrier
	buffer_gl0_inv
	s_and_saveexec_b32 s16, s4
	s_cbranch_execz .LBB1850_170
; %bb.169:                              ;   in Loop: Header=BB1850_98 Depth=2
	ds_load_b32 v209, v72 offset:1024
	s_waitcnt lgkmcnt(0)
	v_mov_b32_dpp v210, v209 row_shr:1 row_mask:0xf bank_mask:0xf
	s_delay_alu instid0(VALU_DEP_1) | instskip(NEXT) | instid1(VALU_DEP_1)
	v_cndmask_b32_e64 v210, v210, 0, s12
	v_add_nc_u32_e32 v209, v210, v209
	s_delay_alu instid0(VALU_DEP_1) | instskip(NEXT) | instid1(VALU_DEP_1)
	v_mov_b32_dpp v210, v209 row_shr:2 row_mask:0xf bank_mask:0xf
	v_cndmask_b32_e64 v210, 0, v210, s13
	s_delay_alu instid0(VALU_DEP_1) | instskip(NEXT) | instid1(VALU_DEP_1)
	v_add_nc_u32_e32 v209, v209, v210
	v_mov_b32_dpp v210, v209 row_shr:4 row_mask:0xf bank_mask:0xf
	s_delay_alu instid0(VALU_DEP_1) | instskip(NEXT) | instid1(VALU_DEP_1)
	v_cndmask_b32_e64 v210, 0, v210, s14
	v_add_nc_u32_e32 v209, v209, v210
	ds_store_b32 v72, v209 offset:1024
.LBB1850_170:                           ;   in Loop: Header=BB1850_98 Depth=2
	s_or_b32 exec_lo, exec_lo, s16
	v_mov_b32_e32 v209, 0
	s_waitcnt lgkmcnt(0)
	s_barrier
	buffer_gl0_inv
	s_and_saveexec_b32 s16, s5
	s_cbranch_execz .LBB1850_172
; %bb.171:                              ;   in Loop: Header=BB1850_98 Depth=2
	ds_load_b32 v209, v62 offset:1020
.LBB1850_172:                           ;   in Loop: Header=BB1850_98 Depth=2
	s_or_b32 exec_lo, exec_lo, s16
	s_waitcnt lgkmcnt(0)
	v_add_nc_u32_e32 v39, v209, v39
	ds_bpermute_b32 v39, v105, v39
	s_waitcnt lgkmcnt(0)
	v_cndmask_b32_e64 v39, v39, v209, s11
	s_delay_alu instid0(VALU_DEP_1) | instskip(NEXT) | instid1(VALU_DEP_1)
	v_cndmask_b32_e64 v39, v39, 0, s6
	v_add_nc_u32_e32 v208, v39, v208
	s_delay_alu instid0(VALU_DEP_1) | instskip(NEXT) | instid1(VALU_DEP_1)
	v_add_nc_u32_e32 v42, v208, v42
	v_add_nc_u32_e32 v43, v42, v43
	s_delay_alu instid0(VALU_DEP_1) | instskip(NEXT) | instid1(VALU_DEP_1)
	v_add_nc_u32_e32 v40, v43, v40
	;; [unrolled: 3-line block ×3, first 2 shown]
	v_add_nc_u32_e32 v37, v36, v37
	s_delay_alu instid0(VALU_DEP_1)
	v_add_nc_u32_e32 v38, v37, v38
	ds_store_b32 v69, v39 offset:1056
	ds_store_2addr_b32 v71, v208, v42 offset0:1 offset1:2
	ds_store_2addr_b32 v71, v43, v40 offset0:3 offset1:4
	ds_store_2addr_b32 v71, v41, v36 offset0:5 offset1:6
	ds_store_2addr_b32 v71, v37, v38 offset0:7 offset1:8
	v_mov_b32_e32 v38, 0x1000
	s_waitcnt lgkmcnt(0)
	s_barrier
	buffer_gl0_inv
	ds_load_b32 v39, v152
	ds_load_b32 v40, v156
	;; [unrolled: 1-line block ×16, first 2 shown]
	ds_load_b32 v156, v69 offset:1056
	s_and_saveexec_b32 s16, s7
	s_cbranch_execz .LBB1850_174
; %bb.173:                              ;   in Loop: Header=BB1850_98 Depth=2
	ds_load_b32 v38, v73 offset:1056
.LBB1850_174:                           ;   in Loop: Header=BB1850_98 Depth=2
	s_or_b32 exec_lo, exec_lo, s16
	s_waitcnt lgkmcnt(0)
	s_barrier
	buffer_gl0_inv
	s_and_saveexec_b32 s16, s2
	s_cbranch_execz .LBB1850_176
; %bb.175:                              ;   in Loop: Header=BB1850_98 Depth=2
	ds_load_b32 v160, v44
	s_waitcnt lgkmcnt(0)
	v_sub_nc_u32_e32 v156, v160, v156
	ds_store_b32 v44, v156
.LBB1850_176:                           ;   in Loop: Header=BB1850_98 Depth=2
	s_or_b32 exec_lo, exec_lo, s16
	v_add_nc_u32_e32 v168, v148, v147
	v_add3_u32 v164, v151, v150, v39
	v_add3_u32 v160, v155, v154, v40
	;; [unrolled: 1-line block ×5, first 2 shown]
	v_lshlrev_b32_e32 v158, 1, v168
	v_add3_u32 v43, v199, v198, v36
	v_lshlrev_b32_e32 v36, 1, v164
	v_add3_u32 v152, v172, v171, v173
	v_add3_u32 v151, v175, v174, v176
	ds_store_b16 v158, v2 offset:1024
	v_lshlrev_b32_e32 v2, 1, v160
	ds_store_b16 v36, v146 offset:1024
	v_lshlrev_b32_e32 v36, 1, v154
	v_add3_u32 v150, v179, v178, v180
	v_add3_u32 v42, v203, v202, v37
	v_lshlrev_b32_e32 v37, 1, v156
	v_add3_u32 v148, v183, v182, v184
	v_lshlrev_b32_e32 v158, 1, v155
	v_add3_u32 v147, v187, v186, v188
	v_add3_u32 v40, v191, v190, v192
	ds_store_b16 v2, v149 offset:1024
	ds_store_b16 v37, v153 offset:1024
	;; [unrolled: 1-line block ×3, first 2 shown]
	v_lshlrev_b32_e32 v2, 1, v152
	ds_store_b16 v36, v161 offset:1024
	v_lshlrev_b32_e32 v36, 1, v151
	v_lshlrev_b32_e32 v37, 1, v150
	;; [unrolled: 1-line block ×3, first 2 shown]
	v_add3_u32 v39, v195, v194, v196
	v_add3_u32 v41, v206, v205, v41
	ds_store_b16 v2, v165 offset:1024
	v_lshlrev_b32_e32 v2, 1, v147
	ds_store_b16 v36, v170 offset:1024
	ds_store_b16 v37, v169 offset:1024
	;; [unrolled: 1-line block ×3, first 2 shown]
	v_lshlrev_b32_e32 v36, 1, v40
	v_cmp_lt_u32_e32 vcc_lo, v1, v145
	v_lshlrev_b32_e32 v37, 1, v43
	ds_store_b16 v2, v181 offset:1024
	v_lshlrev_b32_e32 v2, 1, v39
	ds_store_b16 v36, v185 offset:1024
	v_lshlrev_b32_e32 v36, 1, v41
	v_lshlrev_b32_e32 v146, 1, v42
	ds_store_b16 v2, v189 offset:1024
	ds_store_b16 v37, v193 offset:1024
	;; [unrolled: 1-line block ×4, first 2 shown]
	s_waitcnt lgkmcnt(0)
	s_barrier
	buffer_gl0_inv
	s_and_saveexec_b32 s17, vcc_lo
	s_cbranch_execz .LBB1850_192
; %bb.177:                              ;   in Loop: Header=BB1850_98 Depth=2
	v_add_nc_u32_e32 v2, v72, v78
	ds_load_u16 v146, v2 offset:1024
	s_waitcnt lgkmcnt(0)
	v_cmp_ne_u16_e64 s16, 0x7fff, v146
	s_delay_alu instid0(VALU_DEP_1) | instskip(SKIP_1) | instid1(VALU_DEP_2)
	v_cndmask_b32_e64 v2, 0xffff8000, v146, s16
	v_cmp_lt_i16_e64 s16, -1, v146
	v_and_b32_e32 v2, 0xffff, v2
	s_delay_alu instid0(VALU_DEP_2) | instskip(NEXT) | instid1(VALU_DEP_2)
	v_cndmask_b32_e64 v149, 0xffff8000, -1, s16
	v_lshrrev_b32_e32 v2, s48, v2
	s_delay_alu instid0(VALU_DEP_1) | instskip(NEXT) | instid1(VALU_DEP_1)
	v_and_b32_e32 v2, s55, v2
	v_lshlrev_b32_e32 v2, 2, v2
	ds_load_b32 v2, v2
	s_waitcnt lgkmcnt(0)
	v_add_nc_u32_e32 v2, v2, v1
	s_delay_alu instid0(VALU_DEP_1) | instskip(SKIP_1) | instid1(VALU_DEP_2)
	v_lshlrev_b64 v[36:37], 1, v[2:3]
	v_xor_b32_e32 v2, v149, v146
	v_add_co_u32 v36, s16, s38, v36
	s_delay_alu instid0(VALU_DEP_1) | instskip(SKIP_3) | instid1(VALU_DEP_1)
	v_add_co_ci_u32_e64 v37, s16, s39, v37, s16
	global_store_b16 v[36:37], v2, off
	s_or_b32 exec_lo, exec_lo, s17
	v_cmp_lt_u32_e64 s16, v45, v145
	s_and_saveexec_b32 s18, s16
	s_cbranch_execnz .LBB1850_193
.LBB1850_178:                           ;   in Loop: Header=BB1850_98 Depth=2
	s_or_b32 exec_lo, exec_lo, s18
	v_cmp_lt_u32_e64 s17, v46, v145
	s_delay_alu instid0(VALU_DEP_1)
	s_and_saveexec_b32 s19, s17
	s_cbranch_execz .LBB1850_194
.LBB1850_179:                           ;   in Loop: Header=BB1850_98 Depth=2
	ds_load_u16 v146, v79 offset:1024
	s_waitcnt lgkmcnt(0)
	v_cmp_ne_u16_e64 s18, 0x7fff, v146
	s_delay_alu instid0(VALU_DEP_1) | instskip(SKIP_1) | instid1(VALU_DEP_2)
	v_cndmask_b32_e64 v2, 0xffff8000, v146, s18
	v_cmp_lt_i16_e64 s18, -1, v146
	v_and_b32_e32 v2, 0xffff, v2
	s_delay_alu instid0(VALU_DEP_2) | instskip(NEXT) | instid1(VALU_DEP_2)
	v_cndmask_b32_e64 v149, 0xffff8000, -1, s18
	v_lshrrev_b32_e32 v2, s48, v2
	s_delay_alu instid0(VALU_DEP_1) | instskip(NEXT) | instid1(VALU_DEP_1)
	v_and_b32_e32 v2, s55, v2
	v_lshlrev_b32_e32 v2, 2, v2
	ds_load_b32 v2, v2
	s_waitcnt lgkmcnt(0)
	v_add_nc_u32_e32 v2, v2, v46
	s_delay_alu instid0(VALU_DEP_1) | instskip(SKIP_1) | instid1(VALU_DEP_2)
	v_lshlrev_b64 v[36:37], 1, v[2:3]
	v_xor_b32_e32 v2, v149, v146
	v_add_co_u32 v36, s18, s38, v36
	s_delay_alu instid0(VALU_DEP_1) | instskip(SKIP_3) | instid1(VALU_DEP_1)
	v_add_co_ci_u32_e64 v37, s18, s39, v37, s18
	global_store_b16 v[36:37], v2, off
	s_or_b32 exec_lo, exec_lo, s19
	v_cmp_lt_u32_e64 s18, v47, v145
	s_and_saveexec_b32 s20, s18
	s_cbranch_execnz .LBB1850_195
.LBB1850_180:                           ;   in Loop: Header=BB1850_98 Depth=2
	s_or_b32 exec_lo, exec_lo, s20
	v_cmp_lt_u32_e64 s19, v51, v145
	s_delay_alu instid0(VALU_DEP_1)
	s_and_saveexec_b32 s21, s19
	s_cbranch_execz .LBB1850_196
.LBB1850_181:                           ;   in Loop: Header=BB1850_98 Depth=2
	ds_load_u16 v146, v79 offset:2048
	s_waitcnt lgkmcnt(0)
	v_cmp_ne_u16_e64 s20, 0x7fff, v146
	s_delay_alu instid0(VALU_DEP_1) | instskip(SKIP_1) | instid1(VALU_DEP_2)
	v_cndmask_b32_e64 v2, 0xffff8000, v146, s20
	v_cmp_lt_i16_e64 s20, -1, v146
	v_and_b32_e32 v2, 0xffff, v2
	s_delay_alu instid0(VALU_DEP_2) | instskip(NEXT) | instid1(VALU_DEP_2)
	v_cndmask_b32_e64 v149, 0xffff8000, -1, s20
	v_lshrrev_b32_e32 v2, s48, v2
	s_delay_alu instid0(VALU_DEP_1) | instskip(NEXT) | instid1(VALU_DEP_1)
	v_and_b32_e32 v2, s55, v2
	v_lshlrev_b32_e32 v2, 2, v2
	ds_load_b32 v2, v2
	s_waitcnt lgkmcnt(0)
	v_add_nc_u32_e32 v2, v2, v51
	s_delay_alu instid0(VALU_DEP_1) | instskip(SKIP_1) | instid1(VALU_DEP_2)
	v_lshlrev_b64 v[36:37], 1, v[2:3]
	v_xor_b32_e32 v2, v149, v146
	v_add_co_u32 v36, s20, s38, v36
	s_delay_alu instid0(VALU_DEP_1) | instskip(SKIP_3) | instid1(VALU_DEP_1)
	v_add_co_ci_u32_e64 v37, s20, s39, v37, s20
	global_store_b16 v[36:37], v2, off
	s_or_b32 exec_lo, exec_lo, s21
	v_cmp_lt_u32_e64 s20, v52, v145
	s_and_saveexec_b32 s22, s20
	s_cbranch_execnz .LBB1850_197
.LBB1850_182:                           ;   in Loop: Header=BB1850_98 Depth=2
	s_or_b32 exec_lo, exec_lo, s22
	v_cmp_lt_u32_e64 s21, v53, v145
	s_delay_alu instid0(VALU_DEP_1)
	s_and_saveexec_b32 s23, s21
	s_cbranch_execz .LBB1850_198
.LBB1850_183:                           ;   in Loop: Header=BB1850_98 Depth=2
	ds_load_u16 v146, v79 offset:3072
	s_waitcnt lgkmcnt(0)
	v_cmp_ne_u16_e64 s22, 0x7fff, v146
	s_delay_alu instid0(VALU_DEP_1) | instskip(SKIP_1) | instid1(VALU_DEP_2)
	v_cndmask_b32_e64 v2, 0xffff8000, v146, s22
	v_cmp_lt_i16_e64 s22, -1, v146
	v_and_b32_e32 v2, 0xffff, v2
	s_delay_alu instid0(VALU_DEP_2) | instskip(NEXT) | instid1(VALU_DEP_2)
	v_cndmask_b32_e64 v149, 0xffff8000, -1, s22
	v_lshrrev_b32_e32 v2, s48, v2
	s_delay_alu instid0(VALU_DEP_1) | instskip(NEXT) | instid1(VALU_DEP_1)
	v_and_b32_e32 v2, s55, v2
	v_lshlrev_b32_e32 v2, 2, v2
	ds_load_b32 v2, v2
	s_waitcnt lgkmcnt(0)
	v_add_nc_u32_e32 v2, v2, v53
	s_delay_alu instid0(VALU_DEP_1) | instskip(SKIP_1) | instid1(VALU_DEP_2)
	v_lshlrev_b64 v[36:37], 1, v[2:3]
	v_xor_b32_e32 v2, v149, v146
	v_add_co_u32 v36, s22, s38, v36
	s_delay_alu instid0(VALU_DEP_1) | instskip(SKIP_3) | instid1(VALU_DEP_1)
	v_add_co_ci_u32_e64 v37, s22, s39, v37, s22
	global_store_b16 v[36:37], v2, off
	s_or_b32 exec_lo, exec_lo, s23
	v_cmp_lt_u32_e64 s22, v54, v145
	s_and_saveexec_b32 s24, s22
	s_cbranch_execnz .LBB1850_199
.LBB1850_184:                           ;   in Loop: Header=BB1850_98 Depth=2
	s_or_b32 exec_lo, exec_lo, s24
	v_cmp_lt_u32_e64 s23, v55, v145
	s_delay_alu instid0(VALU_DEP_1)
	s_and_saveexec_b32 s25, s23
	s_cbranch_execz .LBB1850_200
.LBB1850_185:                           ;   in Loop: Header=BB1850_98 Depth=2
	ds_load_u16 v146, v79 offset:4096
	s_waitcnt lgkmcnt(0)
	v_cmp_ne_u16_e64 s24, 0x7fff, v146
	s_delay_alu instid0(VALU_DEP_1) | instskip(SKIP_1) | instid1(VALU_DEP_2)
	v_cndmask_b32_e64 v2, 0xffff8000, v146, s24
	v_cmp_lt_i16_e64 s24, -1, v146
	v_and_b32_e32 v2, 0xffff, v2
	s_delay_alu instid0(VALU_DEP_2) | instskip(NEXT) | instid1(VALU_DEP_2)
	v_cndmask_b32_e64 v149, 0xffff8000, -1, s24
	v_lshrrev_b32_e32 v2, s48, v2
	s_delay_alu instid0(VALU_DEP_1) | instskip(NEXT) | instid1(VALU_DEP_1)
	v_and_b32_e32 v2, s55, v2
	v_lshlrev_b32_e32 v2, 2, v2
	ds_load_b32 v2, v2
	s_waitcnt lgkmcnt(0)
	v_add_nc_u32_e32 v2, v2, v55
	s_delay_alu instid0(VALU_DEP_1) | instskip(SKIP_1) | instid1(VALU_DEP_2)
	v_lshlrev_b64 v[36:37], 1, v[2:3]
	v_xor_b32_e32 v2, v149, v146
	v_add_co_u32 v36, s24, s38, v36
	s_delay_alu instid0(VALU_DEP_1) | instskip(SKIP_3) | instid1(VALU_DEP_1)
	v_add_co_ci_u32_e64 v37, s24, s39, v37, s24
	global_store_b16 v[36:37], v2, off
	s_or_b32 exec_lo, exec_lo, s25
	v_cmp_lt_u32_e64 s24, v56, v145
	s_and_saveexec_b32 s27, s24
	s_cbranch_execnz .LBB1850_201
.LBB1850_186:                           ;   in Loop: Header=BB1850_98 Depth=2
	s_or_b32 exec_lo, exec_lo, s27
	v_cmp_lt_u32_e64 s25, v57, v145
	s_delay_alu instid0(VALU_DEP_1)
	s_and_saveexec_b32 s28, s25
	s_cbranch_execz .LBB1850_202
.LBB1850_187:                           ;   in Loop: Header=BB1850_98 Depth=2
	ds_load_u16 v146, v79 offset:5120
	s_waitcnt lgkmcnt(0)
	v_cmp_ne_u16_e64 s27, 0x7fff, v146
	s_delay_alu instid0(VALU_DEP_1) | instskip(SKIP_1) | instid1(VALU_DEP_2)
	v_cndmask_b32_e64 v2, 0xffff8000, v146, s27
	v_cmp_lt_i16_e64 s27, -1, v146
	v_and_b32_e32 v2, 0xffff, v2
	s_delay_alu instid0(VALU_DEP_2) | instskip(NEXT) | instid1(VALU_DEP_2)
	v_cndmask_b32_e64 v149, 0xffff8000, -1, s27
	v_lshrrev_b32_e32 v2, s48, v2
	s_delay_alu instid0(VALU_DEP_1) | instskip(NEXT) | instid1(VALU_DEP_1)
	v_and_b32_e32 v2, s55, v2
	v_lshlrev_b32_e32 v2, 2, v2
	ds_load_b32 v2, v2
	s_waitcnt lgkmcnt(0)
	v_add_nc_u32_e32 v2, v2, v57
	s_delay_alu instid0(VALU_DEP_1) | instskip(SKIP_1) | instid1(VALU_DEP_2)
	v_lshlrev_b64 v[36:37], 1, v[2:3]
	v_xor_b32_e32 v2, v149, v146
	v_add_co_u32 v36, s27, s38, v36
	s_delay_alu instid0(VALU_DEP_1) | instskip(SKIP_3) | instid1(VALU_DEP_1)
	v_add_co_ci_u32_e64 v37, s27, s39, v37, s27
	global_store_b16 v[36:37], v2, off
	s_or_b32 exec_lo, exec_lo, s28
	v_cmp_lt_u32_e64 s27, v58, v145
	s_and_saveexec_b32 s29, s27
	s_cbranch_execnz .LBB1850_203
.LBB1850_188:                           ;   in Loop: Header=BB1850_98 Depth=2
	s_or_b32 exec_lo, exec_lo, s29
	v_cmp_lt_u32_e64 s28, v59, v145
	s_delay_alu instid0(VALU_DEP_1)
	s_and_saveexec_b32 s30, s28
	s_cbranch_execz .LBB1850_204
.LBB1850_189:                           ;   in Loop: Header=BB1850_98 Depth=2
	ds_load_u16 v146, v79 offset:6144
	s_waitcnt lgkmcnt(0)
	v_cmp_ne_u16_e64 s29, 0x7fff, v146
	s_delay_alu instid0(VALU_DEP_1) | instskip(SKIP_1) | instid1(VALU_DEP_2)
	v_cndmask_b32_e64 v2, 0xffff8000, v146, s29
	v_cmp_lt_i16_e64 s29, -1, v146
	v_and_b32_e32 v2, 0xffff, v2
	s_delay_alu instid0(VALU_DEP_2) | instskip(NEXT) | instid1(VALU_DEP_2)
	v_cndmask_b32_e64 v149, 0xffff8000, -1, s29
	v_lshrrev_b32_e32 v2, s48, v2
	s_delay_alu instid0(VALU_DEP_1) | instskip(NEXT) | instid1(VALU_DEP_1)
	v_and_b32_e32 v2, s55, v2
	v_lshlrev_b32_e32 v2, 2, v2
	ds_load_b32 v2, v2
	s_waitcnt lgkmcnt(0)
	v_add_nc_u32_e32 v2, v2, v59
	s_delay_alu instid0(VALU_DEP_1) | instskip(SKIP_1) | instid1(VALU_DEP_2)
	v_lshlrev_b64 v[36:37], 1, v[2:3]
	v_xor_b32_e32 v2, v149, v146
	v_add_co_u32 v36, s29, s38, v36
	s_delay_alu instid0(VALU_DEP_1) | instskip(SKIP_3) | instid1(VALU_DEP_1)
	v_add_co_ci_u32_e64 v37, s29, s39, v37, s29
	global_store_b16 v[36:37], v2, off
	s_or_b32 exec_lo, exec_lo, s30
	v_cmp_lt_u32_e64 s29, v60, v145
	s_and_saveexec_b32 s31, s29
	s_cbranch_execnz .LBB1850_205
.LBB1850_190:                           ;   in Loop: Header=BB1850_98 Depth=2
	s_or_b32 exec_lo, exec_lo, s31
	v_cmp_lt_u32_e64 s30, v61, v145
	s_delay_alu instid0(VALU_DEP_1)
	s_and_saveexec_b32 s33, s30
	s_cbranch_execz .LBB1850_206
.LBB1850_191:                           ;   in Loop: Header=BB1850_98 Depth=2
	ds_load_u16 v146, v79 offset:7168
	s_waitcnt lgkmcnt(0)
	v_cmp_ne_u16_e64 s31, 0x7fff, v146
	s_delay_alu instid0(VALU_DEP_1) | instskip(SKIP_1) | instid1(VALU_DEP_2)
	v_cndmask_b32_e64 v2, 0xffff8000, v146, s31
	v_cmp_lt_i16_e64 s31, -1, v146
	v_and_b32_e32 v2, 0xffff, v2
	s_delay_alu instid0(VALU_DEP_2) | instskip(NEXT) | instid1(VALU_DEP_2)
	v_cndmask_b32_e64 v149, 0xffff8000, -1, s31
	v_lshrrev_b32_e32 v2, s48, v2
	s_delay_alu instid0(VALU_DEP_1) | instskip(NEXT) | instid1(VALU_DEP_1)
	v_and_b32_e32 v2, s55, v2
	v_lshlrev_b32_e32 v2, 2, v2
	ds_load_b32 v2, v2
	s_waitcnt lgkmcnt(0)
	v_add_nc_u32_e32 v2, v2, v61
	s_delay_alu instid0(VALU_DEP_1) | instskip(SKIP_1) | instid1(VALU_DEP_2)
	v_lshlrev_b64 v[36:37], 1, v[2:3]
	v_xor_b32_e32 v2, v149, v146
	v_add_co_u32 v36, s31, s38, v36
	s_delay_alu instid0(VALU_DEP_1) | instskip(SKIP_3) | instid1(VALU_DEP_1)
	v_add_co_ci_u32_e64 v37, s31, s39, v37, s31
	global_store_b16 v[36:37], v2, off
	s_or_b32 exec_lo, exec_lo, s33
	v_cmp_lt_u32_e64 s31, v63, v145
	s_and_saveexec_b32 s58, s31
	s_cbranch_execnz .LBB1850_207
	s_branch .LBB1850_208
.LBB1850_192:                           ;   in Loop: Header=BB1850_98 Depth=2
	s_or_b32 exec_lo, exec_lo, s17
	v_cmp_lt_u32_e64 s16, v45, v145
	s_delay_alu instid0(VALU_DEP_1)
	s_and_saveexec_b32 s18, s16
	s_cbranch_execz .LBB1850_178
.LBB1850_193:                           ;   in Loop: Header=BB1850_98 Depth=2
	ds_load_u16 v146, v79 offset:512
	s_waitcnt lgkmcnt(0)
	v_cmp_ne_u16_e64 s17, 0x7fff, v146
	s_delay_alu instid0(VALU_DEP_1) | instskip(SKIP_1) | instid1(VALU_DEP_2)
	v_cndmask_b32_e64 v2, 0xffff8000, v146, s17
	v_cmp_lt_i16_e64 s17, -1, v146
	v_and_b32_e32 v2, 0xffff, v2
	s_delay_alu instid0(VALU_DEP_2) | instskip(NEXT) | instid1(VALU_DEP_2)
	v_cndmask_b32_e64 v149, 0xffff8000, -1, s17
	v_lshrrev_b32_e32 v2, s48, v2
	s_delay_alu instid0(VALU_DEP_1) | instskip(NEXT) | instid1(VALU_DEP_1)
	v_and_b32_e32 v2, s55, v2
	v_lshlrev_b32_e32 v2, 2, v2
	ds_load_b32 v2, v2
	s_waitcnt lgkmcnt(0)
	v_add_nc_u32_e32 v2, v2, v45
	s_delay_alu instid0(VALU_DEP_1) | instskip(SKIP_1) | instid1(VALU_DEP_2)
	v_lshlrev_b64 v[36:37], 1, v[2:3]
	v_xor_b32_e32 v2, v149, v146
	v_add_co_u32 v36, s17, s38, v36
	s_delay_alu instid0(VALU_DEP_1) | instskip(SKIP_3) | instid1(VALU_DEP_1)
	v_add_co_ci_u32_e64 v37, s17, s39, v37, s17
	global_store_b16 v[36:37], v2, off
	s_or_b32 exec_lo, exec_lo, s18
	v_cmp_lt_u32_e64 s17, v46, v145
	s_and_saveexec_b32 s19, s17
	s_cbranch_execnz .LBB1850_179
.LBB1850_194:                           ;   in Loop: Header=BB1850_98 Depth=2
	s_or_b32 exec_lo, exec_lo, s19
	v_cmp_lt_u32_e64 s18, v47, v145
	s_delay_alu instid0(VALU_DEP_1)
	s_and_saveexec_b32 s20, s18
	s_cbranch_execz .LBB1850_180
.LBB1850_195:                           ;   in Loop: Header=BB1850_98 Depth=2
	ds_load_u16 v146, v79 offset:1536
	s_waitcnt lgkmcnt(0)
	v_cmp_ne_u16_e64 s19, 0x7fff, v146
	s_delay_alu instid0(VALU_DEP_1) | instskip(SKIP_1) | instid1(VALU_DEP_2)
	v_cndmask_b32_e64 v2, 0xffff8000, v146, s19
	v_cmp_lt_i16_e64 s19, -1, v146
	v_and_b32_e32 v2, 0xffff, v2
	s_delay_alu instid0(VALU_DEP_2) | instskip(NEXT) | instid1(VALU_DEP_2)
	v_cndmask_b32_e64 v149, 0xffff8000, -1, s19
	v_lshrrev_b32_e32 v2, s48, v2
	s_delay_alu instid0(VALU_DEP_1) | instskip(NEXT) | instid1(VALU_DEP_1)
	v_and_b32_e32 v2, s55, v2
	v_lshlrev_b32_e32 v2, 2, v2
	ds_load_b32 v2, v2
	s_waitcnt lgkmcnt(0)
	v_add_nc_u32_e32 v2, v2, v47
	s_delay_alu instid0(VALU_DEP_1) | instskip(SKIP_1) | instid1(VALU_DEP_2)
	v_lshlrev_b64 v[36:37], 1, v[2:3]
	v_xor_b32_e32 v2, v149, v146
	v_add_co_u32 v36, s19, s38, v36
	s_delay_alu instid0(VALU_DEP_1) | instskip(SKIP_3) | instid1(VALU_DEP_1)
	v_add_co_ci_u32_e64 v37, s19, s39, v37, s19
	global_store_b16 v[36:37], v2, off
	s_or_b32 exec_lo, exec_lo, s20
	v_cmp_lt_u32_e64 s19, v51, v145
	s_and_saveexec_b32 s21, s19
	s_cbranch_execnz .LBB1850_181
.LBB1850_196:                           ;   in Loop: Header=BB1850_98 Depth=2
	s_or_b32 exec_lo, exec_lo, s21
	v_cmp_lt_u32_e64 s20, v52, v145
	s_delay_alu instid0(VALU_DEP_1)
	s_and_saveexec_b32 s22, s20
	s_cbranch_execz .LBB1850_182
.LBB1850_197:                           ;   in Loop: Header=BB1850_98 Depth=2
	ds_load_u16 v146, v79 offset:2560
	s_waitcnt lgkmcnt(0)
	v_cmp_ne_u16_e64 s21, 0x7fff, v146
	s_delay_alu instid0(VALU_DEP_1) | instskip(SKIP_1) | instid1(VALU_DEP_2)
	v_cndmask_b32_e64 v2, 0xffff8000, v146, s21
	v_cmp_lt_i16_e64 s21, -1, v146
	v_and_b32_e32 v2, 0xffff, v2
	s_delay_alu instid0(VALU_DEP_2) | instskip(NEXT) | instid1(VALU_DEP_2)
	v_cndmask_b32_e64 v149, 0xffff8000, -1, s21
	v_lshrrev_b32_e32 v2, s48, v2
	s_delay_alu instid0(VALU_DEP_1) | instskip(NEXT) | instid1(VALU_DEP_1)
	v_and_b32_e32 v2, s55, v2
	v_lshlrev_b32_e32 v2, 2, v2
	ds_load_b32 v2, v2
	s_waitcnt lgkmcnt(0)
	v_add_nc_u32_e32 v2, v2, v52
	s_delay_alu instid0(VALU_DEP_1) | instskip(SKIP_1) | instid1(VALU_DEP_2)
	v_lshlrev_b64 v[36:37], 1, v[2:3]
	v_xor_b32_e32 v2, v149, v146
	v_add_co_u32 v36, s21, s38, v36
	s_delay_alu instid0(VALU_DEP_1) | instskip(SKIP_3) | instid1(VALU_DEP_1)
	v_add_co_ci_u32_e64 v37, s21, s39, v37, s21
	global_store_b16 v[36:37], v2, off
	s_or_b32 exec_lo, exec_lo, s22
	v_cmp_lt_u32_e64 s21, v53, v145
	s_and_saveexec_b32 s23, s21
	s_cbranch_execnz .LBB1850_183
.LBB1850_198:                           ;   in Loop: Header=BB1850_98 Depth=2
	s_or_b32 exec_lo, exec_lo, s23
	v_cmp_lt_u32_e64 s22, v54, v145
	s_delay_alu instid0(VALU_DEP_1)
	s_and_saveexec_b32 s24, s22
	s_cbranch_execz .LBB1850_184
.LBB1850_199:                           ;   in Loop: Header=BB1850_98 Depth=2
	ds_load_u16 v146, v79 offset:3584
	s_waitcnt lgkmcnt(0)
	v_cmp_ne_u16_e64 s23, 0x7fff, v146
	s_delay_alu instid0(VALU_DEP_1) | instskip(SKIP_1) | instid1(VALU_DEP_2)
	v_cndmask_b32_e64 v2, 0xffff8000, v146, s23
	v_cmp_lt_i16_e64 s23, -1, v146
	v_and_b32_e32 v2, 0xffff, v2
	s_delay_alu instid0(VALU_DEP_2) | instskip(NEXT) | instid1(VALU_DEP_2)
	v_cndmask_b32_e64 v149, 0xffff8000, -1, s23
	v_lshrrev_b32_e32 v2, s48, v2
	s_delay_alu instid0(VALU_DEP_1) | instskip(NEXT) | instid1(VALU_DEP_1)
	v_and_b32_e32 v2, s55, v2
	v_lshlrev_b32_e32 v2, 2, v2
	ds_load_b32 v2, v2
	s_waitcnt lgkmcnt(0)
	v_add_nc_u32_e32 v2, v2, v54
	s_delay_alu instid0(VALU_DEP_1) | instskip(SKIP_1) | instid1(VALU_DEP_2)
	v_lshlrev_b64 v[36:37], 1, v[2:3]
	v_xor_b32_e32 v2, v149, v146
	v_add_co_u32 v36, s23, s38, v36
	s_delay_alu instid0(VALU_DEP_1) | instskip(SKIP_3) | instid1(VALU_DEP_1)
	v_add_co_ci_u32_e64 v37, s23, s39, v37, s23
	global_store_b16 v[36:37], v2, off
	s_or_b32 exec_lo, exec_lo, s24
	v_cmp_lt_u32_e64 s23, v55, v145
	s_and_saveexec_b32 s25, s23
	s_cbranch_execnz .LBB1850_185
.LBB1850_200:                           ;   in Loop: Header=BB1850_98 Depth=2
	s_or_b32 exec_lo, exec_lo, s25
	v_cmp_lt_u32_e64 s24, v56, v145
	s_delay_alu instid0(VALU_DEP_1)
	s_and_saveexec_b32 s27, s24
	s_cbranch_execz .LBB1850_186
.LBB1850_201:                           ;   in Loop: Header=BB1850_98 Depth=2
	ds_load_u16 v146, v79 offset:4608
	s_waitcnt lgkmcnt(0)
	v_cmp_ne_u16_e64 s25, 0x7fff, v146
	s_delay_alu instid0(VALU_DEP_1) | instskip(SKIP_1) | instid1(VALU_DEP_2)
	v_cndmask_b32_e64 v2, 0xffff8000, v146, s25
	v_cmp_lt_i16_e64 s25, -1, v146
	v_and_b32_e32 v2, 0xffff, v2
	s_delay_alu instid0(VALU_DEP_2) | instskip(NEXT) | instid1(VALU_DEP_2)
	v_cndmask_b32_e64 v149, 0xffff8000, -1, s25
	v_lshrrev_b32_e32 v2, s48, v2
	s_delay_alu instid0(VALU_DEP_1) | instskip(NEXT) | instid1(VALU_DEP_1)
	v_and_b32_e32 v2, s55, v2
	v_lshlrev_b32_e32 v2, 2, v2
	ds_load_b32 v2, v2
	s_waitcnt lgkmcnt(0)
	v_add_nc_u32_e32 v2, v2, v56
	s_delay_alu instid0(VALU_DEP_1) | instskip(SKIP_1) | instid1(VALU_DEP_2)
	v_lshlrev_b64 v[36:37], 1, v[2:3]
	v_xor_b32_e32 v2, v149, v146
	v_add_co_u32 v36, s25, s38, v36
	s_delay_alu instid0(VALU_DEP_1) | instskip(SKIP_3) | instid1(VALU_DEP_1)
	v_add_co_ci_u32_e64 v37, s25, s39, v37, s25
	global_store_b16 v[36:37], v2, off
	s_or_b32 exec_lo, exec_lo, s27
	v_cmp_lt_u32_e64 s25, v57, v145
	s_and_saveexec_b32 s28, s25
	s_cbranch_execnz .LBB1850_187
.LBB1850_202:                           ;   in Loop: Header=BB1850_98 Depth=2
	s_or_b32 exec_lo, exec_lo, s28
	v_cmp_lt_u32_e64 s27, v58, v145
	s_delay_alu instid0(VALU_DEP_1)
	s_and_saveexec_b32 s29, s27
	s_cbranch_execz .LBB1850_188
.LBB1850_203:                           ;   in Loop: Header=BB1850_98 Depth=2
	ds_load_u16 v146, v79 offset:5632
	s_waitcnt lgkmcnt(0)
	v_cmp_ne_u16_e64 s28, 0x7fff, v146
	s_delay_alu instid0(VALU_DEP_1) | instskip(SKIP_1) | instid1(VALU_DEP_2)
	v_cndmask_b32_e64 v2, 0xffff8000, v146, s28
	v_cmp_lt_i16_e64 s28, -1, v146
	v_and_b32_e32 v2, 0xffff, v2
	s_delay_alu instid0(VALU_DEP_2) | instskip(NEXT) | instid1(VALU_DEP_2)
	v_cndmask_b32_e64 v149, 0xffff8000, -1, s28
	v_lshrrev_b32_e32 v2, s48, v2
	s_delay_alu instid0(VALU_DEP_1) | instskip(NEXT) | instid1(VALU_DEP_1)
	v_and_b32_e32 v2, s55, v2
	v_lshlrev_b32_e32 v2, 2, v2
	ds_load_b32 v2, v2
	s_waitcnt lgkmcnt(0)
	v_add_nc_u32_e32 v2, v2, v58
	s_delay_alu instid0(VALU_DEP_1) | instskip(SKIP_1) | instid1(VALU_DEP_2)
	v_lshlrev_b64 v[36:37], 1, v[2:3]
	v_xor_b32_e32 v2, v149, v146
	v_add_co_u32 v36, s28, s38, v36
	s_delay_alu instid0(VALU_DEP_1) | instskip(SKIP_3) | instid1(VALU_DEP_1)
	v_add_co_ci_u32_e64 v37, s28, s39, v37, s28
	global_store_b16 v[36:37], v2, off
	s_or_b32 exec_lo, exec_lo, s29
	v_cmp_lt_u32_e64 s28, v59, v145
	s_and_saveexec_b32 s30, s28
	s_cbranch_execnz .LBB1850_189
.LBB1850_204:                           ;   in Loop: Header=BB1850_98 Depth=2
	s_or_b32 exec_lo, exec_lo, s30
	v_cmp_lt_u32_e64 s29, v60, v145
	s_delay_alu instid0(VALU_DEP_1)
	s_and_saveexec_b32 s31, s29
	s_cbranch_execz .LBB1850_190
.LBB1850_205:                           ;   in Loop: Header=BB1850_98 Depth=2
	ds_load_u16 v146, v79 offset:6656
	s_waitcnt lgkmcnt(0)
	v_cmp_ne_u16_e64 s30, 0x7fff, v146
	s_delay_alu instid0(VALU_DEP_1) | instskip(SKIP_1) | instid1(VALU_DEP_2)
	v_cndmask_b32_e64 v2, 0xffff8000, v146, s30
	v_cmp_lt_i16_e64 s30, -1, v146
	v_and_b32_e32 v2, 0xffff, v2
	s_delay_alu instid0(VALU_DEP_2) | instskip(NEXT) | instid1(VALU_DEP_2)
	v_cndmask_b32_e64 v149, 0xffff8000, -1, s30
	v_lshrrev_b32_e32 v2, s48, v2
	s_delay_alu instid0(VALU_DEP_1) | instskip(NEXT) | instid1(VALU_DEP_1)
	v_and_b32_e32 v2, s55, v2
	v_lshlrev_b32_e32 v2, 2, v2
	ds_load_b32 v2, v2
	s_waitcnt lgkmcnt(0)
	v_add_nc_u32_e32 v2, v2, v60
	s_delay_alu instid0(VALU_DEP_1) | instskip(SKIP_1) | instid1(VALU_DEP_2)
	v_lshlrev_b64 v[36:37], 1, v[2:3]
	v_xor_b32_e32 v2, v149, v146
	v_add_co_u32 v36, s30, s38, v36
	s_delay_alu instid0(VALU_DEP_1) | instskip(SKIP_3) | instid1(VALU_DEP_1)
	v_add_co_ci_u32_e64 v37, s30, s39, v37, s30
	global_store_b16 v[36:37], v2, off
	s_or_b32 exec_lo, exec_lo, s31
	v_cmp_lt_u32_e64 s30, v61, v145
	s_and_saveexec_b32 s33, s30
	s_cbranch_execnz .LBB1850_191
.LBB1850_206:                           ;   in Loop: Header=BB1850_98 Depth=2
	s_or_b32 exec_lo, exec_lo, s33
	v_cmp_lt_u32_e64 s31, v63, v145
	s_delay_alu instid0(VALU_DEP_1)
	s_and_saveexec_b32 s58, s31
	s_cbranch_execz .LBB1850_208
.LBB1850_207:                           ;   in Loop: Header=BB1850_98 Depth=2
	ds_load_u16 v146, v79 offset:7680
	s_waitcnt lgkmcnt(0)
	v_cmp_ne_u16_e64 s33, 0x7fff, v146
	s_delay_alu instid0(VALU_DEP_1) | instskip(SKIP_1) | instid1(VALU_DEP_2)
	v_cndmask_b32_e64 v2, 0xffff8000, v146, s33
	v_cmp_lt_i16_e64 s33, -1, v146
	v_and_b32_e32 v2, 0xffff, v2
	s_delay_alu instid0(VALU_DEP_2) | instskip(NEXT) | instid1(VALU_DEP_2)
	v_cndmask_b32_e64 v149, 0xffff8000, -1, s33
	v_lshrrev_b32_e32 v2, s48, v2
	s_delay_alu instid0(VALU_DEP_1) | instskip(NEXT) | instid1(VALU_DEP_1)
	v_and_b32_e32 v2, s55, v2
	v_lshlrev_b32_e32 v2, 2, v2
	ds_load_b32 v2, v2
	s_waitcnt lgkmcnt(0)
	v_add_nc_u32_e32 v2, v2, v63
	s_delay_alu instid0(VALU_DEP_1) | instskip(SKIP_1) | instid1(VALU_DEP_2)
	v_lshlrev_b64 v[36:37], 1, v[2:3]
	v_xor_b32_e32 v2, v149, v146
	v_add_co_u32 v36, s33, s38, v36
	s_delay_alu instid0(VALU_DEP_1)
	v_add_co_ci_u32_e64 v37, s33, s39, v37, s33
	global_store_b16 v[36:37], v2, off
.LBB1850_208:                           ;   in Loop: Header=BB1850_98 Depth=2
	s_or_b32 exec_lo, exec_lo, s58
	s_lshl_b64 s[58:59], s[34:35], 3
	s_delay_alu instid0(SALU_CYCLE_1) | instskip(NEXT) | instid1(VALU_DEP_1)
	v_add_co_u32 v36, s33, v107, s58
	v_add_co_ci_u32_e64 v37, s33, s59, v108, s33
	v_cmp_lt_u32_e64 s33, v106, v145
	s_delay_alu instid0(VALU_DEP_1) | instskip(NEXT) | instid1(SALU_CYCLE_1)
	s_and_saveexec_b32 s34, s33
	s_xor_b32 s33, exec_lo, s34
	s_cbranch_execz .LBB1850_240
; %bb.209:                              ;   in Loop: Header=BB1850_98 Depth=2
	global_load_b64 v[34:35], v[36:37], off
	s_or_b32 exec_lo, exec_lo, s33
	s_delay_alu instid0(SALU_CYCLE_1)
	s_mov_b32 s34, exec_lo
	v_cmpx_lt_u32_e64 v109, v145
	s_cbranch_execnz .LBB1850_241
.LBB1850_210:                           ;   in Loop: Header=BB1850_98 Depth=2
	s_or_b32 exec_lo, exec_lo, s34
	s_delay_alu instid0(SALU_CYCLE_1)
	s_mov_b32 s34, exec_lo
	v_cmpx_lt_u32_e64 v110, v145
	s_cbranch_execz .LBB1850_242
.LBB1850_211:                           ;   in Loop: Header=BB1850_98 Depth=2
	global_load_b64 v[30:31], v[36:37], off offset:512
	s_or_b32 exec_lo, exec_lo, s34
	s_delay_alu instid0(SALU_CYCLE_1)
	s_mov_b32 s34, exec_lo
	v_cmpx_lt_u32_e64 v111, v145
	s_cbranch_execnz .LBB1850_243
.LBB1850_212:                           ;   in Loop: Header=BB1850_98 Depth=2
	s_or_b32 exec_lo, exec_lo, s34
	s_delay_alu instid0(SALU_CYCLE_1)
	s_mov_b32 s34, exec_lo
	v_cmpx_lt_u32_e64 v112, v145
	s_cbranch_execz .LBB1850_244
.LBB1850_213:                           ;   in Loop: Header=BB1850_98 Depth=2
	global_load_b64 v[26:27], v[36:37], off offset:1024
	s_or_b32 exec_lo, exec_lo, s34
	s_delay_alu instid0(SALU_CYCLE_1)
	s_mov_b32 s34, exec_lo
	v_cmpx_lt_u32_e64 v113, v145
	s_cbranch_execnz .LBB1850_245
.LBB1850_214:                           ;   in Loop: Header=BB1850_98 Depth=2
	s_or_b32 exec_lo, exec_lo, s34
	s_delay_alu instid0(SALU_CYCLE_1)
	s_mov_b32 s34, exec_lo
	v_cmpx_lt_u32_e64 v114, v145
	s_cbranch_execz .LBB1850_246
.LBB1850_215:                           ;   in Loop: Header=BB1850_98 Depth=2
	global_load_b64 v[22:23], v[36:37], off offset:1536
	s_or_b32 exec_lo, exec_lo, s34
	s_delay_alu instid0(SALU_CYCLE_1)
	s_mov_b32 s34, exec_lo
	v_cmpx_lt_u32_e64 v115, v145
	s_cbranch_execnz .LBB1850_247
.LBB1850_216:                           ;   in Loop: Header=BB1850_98 Depth=2
	s_or_b32 exec_lo, exec_lo, s34
	s_delay_alu instid0(SALU_CYCLE_1)
	s_mov_b32 s34, exec_lo
	v_cmpx_lt_u32_e64 v116, v145
	s_cbranch_execz .LBB1850_248
.LBB1850_217:                           ;   in Loop: Header=BB1850_98 Depth=2
	global_load_b64 v[18:19], v[36:37], off offset:2048
	s_or_b32 exec_lo, exec_lo, s34
	s_delay_alu instid0(SALU_CYCLE_1)
	s_mov_b32 s34, exec_lo
	v_cmpx_lt_u32_e64 v117, v145
	s_cbranch_execnz .LBB1850_249
.LBB1850_218:                           ;   in Loop: Header=BB1850_98 Depth=2
	s_or_b32 exec_lo, exec_lo, s34
	s_delay_alu instid0(SALU_CYCLE_1)
	s_mov_b32 s34, exec_lo
	v_cmpx_lt_u32_e64 v118, v145
	s_cbranch_execz .LBB1850_250
.LBB1850_219:                           ;   in Loop: Header=BB1850_98 Depth=2
	global_load_b64 v[14:15], v[36:37], off offset:2560
	s_or_b32 exec_lo, exec_lo, s34
	s_delay_alu instid0(SALU_CYCLE_1)
	s_mov_b32 s34, exec_lo
	v_cmpx_lt_u32_e64 v119, v145
	s_cbranch_execnz .LBB1850_251
.LBB1850_220:                           ;   in Loop: Header=BB1850_98 Depth=2
	s_or_b32 exec_lo, exec_lo, s34
	s_delay_alu instid0(SALU_CYCLE_1)
	s_mov_b32 s34, exec_lo
	v_cmpx_lt_u32_e64 v120, v145
	s_cbranch_execz .LBB1850_252
.LBB1850_221:                           ;   in Loop: Header=BB1850_98 Depth=2
	global_load_b64 v[10:11], v[36:37], off offset:3072
	s_or_b32 exec_lo, exec_lo, s34
	s_delay_alu instid0(SALU_CYCLE_1)
	s_mov_b32 s34, exec_lo
	v_cmpx_lt_u32_e64 v121, v145
	s_cbranch_execnz .LBB1850_253
.LBB1850_222:                           ;   in Loop: Header=BB1850_98 Depth=2
	s_or_b32 exec_lo, exec_lo, s34
	s_delay_alu instid0(SALU_CYCLE_1)
	s_mov_b32 s34, exec_lo
	v_cmpx_lt_u32_e64 v122, v145
	s_cbranch_execz .LBB1850_254
.LBB1850_223:                           ;   in Loop: Header=BB1850_98 Depth=2
	global_load_b64 v[6:7], v[36:37], off offset:3584
	s_or_b32 exec_lo, exec_lo, s34
	s_delay_alu instid0(SALU_CYCLE_1)
	s_mov_b32 s34, exec_lo
	v_cmpx_lt_u32_e64 v123, v145
	s_cbranch_execnz .LBB1850_255
.LBB1850_224:                           ;   in Loop: Header=BB1850_98 Depth=2
	s_or_b32 exec_lo, exec_lo, s34
	s_and_saveexec_b32 s34, vcc_lo
	s_cbranch_execz .LBB1850_256
.LBB1850_225:                           ;   in Loop: Header=BB1850_98 Depth=2
	v_add_nc_u32_e32 v2, v72, v78
	ds_load_u16 v2, v2 offset:1024
	s_waitcnt lgkmcnt(0)
	v_cmp_ne_u16_e64 s33, 0x7fff, v2
	s_delay_alu instid0(VALU_DEP_1) | instskip(NEXT) | instid1(VALU_DEP_1)
	v_cndmask_b32_e64 v2, 0xffff8000, v2, s33
	v_and_b32_e32 v2, 0xffff, v2
	s_delay_alu instid0(VALU_DEP_1) | instskip(NEXT) | instid1(VALU_DEP_1)
	v_lshrrev_b32_e32 v2, s48, v2
	v_and_b32_e32 v144, s55, v2
	s_or_b32 exec_lo, exec_lo, s34
	s_and_saveexec_b32 s34, s16
	s_cbranch_execnz .LBB1850_257
.LBB1850_226:                           ;   in Loop: Header=BB1850_98 Depth=2
	s_or_b32 exec_lo, exec_lo, s34
	s_and_saveexec_b32 s34, s17
	s_cbranch_execz .LBB1850_258
.LBB1850_227:                           ;   in Loop: Header=BB1850_98 Depth=2
	ds_load_u16 v2, v79 offset:1024
	s_waitcnt lgkmcnt(0)
	v_cmp_ne_u16_e64 s33, 0x7fff, v2
	s_delay_alu instid0(VALU_DEP_1) | instskip(NEXT) | instid1(VALU_DEP_1)
	v_cndmask_b32_e64 v2, 0xffff8000, v2, s33
	v_and_b32_e32 v2, 0xffff, v2
	s_delay_alu instid0(VALU_DEP_1) | instskip(NEXT) | instid1(VALU_DEP_1)
	v_lshrrev_b32_e32 v2, s48, v2
	v_and_b32_e32 v142, s55, v2
	s_or_b32 exec_lo, exec_lo, s34
	s_and_saveexec_b32 s34, s18
	s_cbranch_execnz .LBB1850_259
.LBB1850_228:                           ;   in Loop: Header=BB1850_98 Depth=2
	s_or_b32 exec_lo, exec_lo, s34
	s_and_saveexec_b32 s34, s19
	s_cbranch_execz .LBB1850_260
.LBB1850_229:                           ;   in Loop: Header=BB1850_98 Depth=2
	ds_load_u16 v2, v79 offset:2048
	s_waitcnt lgkmcnt(0)
	v_cmp_ne_u16_e64 s33, 0x7fff, v2
	s_delay_alu instid0(VALU_DEP_1) | instskip(NEXT) | instid1(VALU_DEP_1)
	v_cndmask_b32_e64 v2, 0xffff8000, v2, s33
	v_and_b32_e32 v2, 0xffff, v2
	s_delay_alu instid0(VALU_DEP_1) | instskip(NEXT) | instid1(VALU_DEP_1)
	v_lshrrev_b32_e32 v2, s48, v2
	v_and_b32_e32 v140, s55, v2
	s_or_b32 exec_lo, exec_lo, s34
	s_and_saveexec_b32 s34, s20
	s_cbranch_execnz .LBB1850_261
.LBB1850_230:                           ;   in Loop: Header=BB1850_98 Depth=2
	s_or_b32 exec_lo, exec_lo, s34
	s_and_saveexec_b32 s34, s21
	s_cbranch_execz .LBB1850_262
.LBB1850_231:                           ;   in Loop: Header=BB1850_98 Depth=2
	ds_load_u16 v2, v79 offset:3072
	s_waitcnt lgkmcnt(0)
	v_cmp_ne_u16_e64 s33, 0x7fff, v2
	s_delay_alu instid0(VALU_DEP_1) | instskip(NEXT) | instid1(VALU_DEP_1)
	v_cndmask_b32_e64 v2, 0xffff8000, v2, s33
	v_and_b32_e32 v2, 0xffff, v2
	s_delay_alu instid0(VALU_DEP_1) | instskip(NEXT) | instid1(VALU_DEP_1)
	v_lshrrev_b32_e32 v2, s48, v2
	v_and_b32_e32 v138, s55, v2
	s_or_b32 exec_lo, exec_lo, s34
	s_and_saveexec_b32 s34, s22
	s_cbranch_execnz .LBB1850_263
.LBB1850_232:                           ;   in Loop: Header=BB1850_98 Depth=2
	s_or_b32 exec_lo, exec_lo, s34
	s_and_saveexec_b32 s34, s23
	s_cbranch_execz .LBB1850_264
.LBB1850_233:                           ;   in Loop: Header=BB1850_98 Depth=2
	ds_load_u16 v2, v79 offset:4096
	s_waitcnt lgkmcnt(0)
	v_cmp_ne_u16_e64 s33, 0x7fff, v2
	s_delay_alu instid0(VALU_DEP_1) | instskip(NEXT) | instid1(VALU_DEP_1)
	v_cndmask_b32_e64 v2, 0xffff8000, v2, s33
	v_and_b32_e32 v2, 0xffff, v2
	s_delay_alu instid0(VALU_DEP_1) | instskip(NEXT) | instid1(VALU_DEP_1)
	v_lshrrev_b32_e32 v2, s48, v2
	v_and_b32_e32 v136, s55, v2
	s_or_b32 exec_lo, exec_lo, s34
	s_and_saveexec_b32 s34, s24
	s_cbranch_execnz .LBB1850_265
.LBB1850_234:                           ;   in Loop: Header=BB1850_98 Depth=2
	s_or_b32 exec_lo, exec_lo, s34
	s_and_saveexec_b32 s34, s25
	s_cbranch_execz .LBB1850_266
.LBB1850_235:                           ;   in Loop: Header=BB1850_98 Depth=2
	ds_load_u16 v2, v79 offset:5120
	s_waitcnt lgkmcnt(0)
	v_cmp_ne_u16_e64 s33, 0x7fff, v2
	s_delay_alu instid0(VALU_DEP_1) | instskip(NEXT) | instid1(VALU_DEP_1)
	v_cndmask_b32_e64 v2, 0xffff8000, v2, s33
	v_and_b32_e32 v2, 0xffff, v2
	s_delay_alu instid0(VALU_DEP_1) | instskip(NEXT) | instid1(VALU_DEP_1)
	v_lshrrev_b32_e32 v2, s48, v2
	v_and_b32_e32 v134, s55, v2
	s_or_b32 exec_lo, exec_lo, s34
	s_and_saveexec_b32 s34, s27
	s_cbranch_execnz .LBB1850_267
.LBB1850_236:                           ;   in Loop: Header=BB1850_98 Depth=2
	s_or_b32 exec_lo, exec_lo, s34
	s_and_saveexec_b32 s34, s28
	s_cbranch_execz .LBB1850_268
.LBB1850_237:                           ;   in Loop: Header=BB1850_98 Depth=2
	ds_load_u16 v2, v79 offset:6144
	s_waitcnt lgkmcnt(0)
	v_cmp_ne_u16_e64 s33, 0x7fff, v2
	s_delay_alu instid0(VALU_DEP_1) | instskip(NEXT) | instid1(VALU_DEP_1)
	v_cndmask_b32_e64 v2, 0xffff8000, v2, s33
	v_and_b32_e32 v2, 0xffff, v2
	s_delay_alu instid0(VALU_DEP_1) | instskip(NEXT) | instid1(VALU_DEP_1)
	v_lshrrev_b32_e32 v2, s48, v2
	v_and_b32_e32 v132, s55, v2
	s_or_b32 exec_lo, exec_lo, s34
	s_and_saveexec_b32 s34, s29
	s_cbranch_execnz .LBB1850_269
.LBB1850_238:                           ;   in Loop: Header=BB1850_98 Depth=2
	s_or_b32 exec_lo, exec_lo, s34
	s_and_saveexec_b32 s34, s30
	s_cbranch_execz .LBB1850_270
.LBB1850_239:                           ;   in Loop: Header=BB1850_98 Depth=2
	ds_load_u16 v2, v79 offset:7168
	s_waitcnt lgkmcnt(0)
	v_cmp_ne_u16_e64 s33, 0x7fff, v2
	s_delay_alu instid0(VALU_DEP_1) | instskip(NEXT) | instid1(VALU_DEP_1)
	v_cndmask_b32_e64 v2, 0xffff8000, v2, s33
	v_and_b32_e32 v2, 0xffff, v2
	s_delay_alu instid0(VALU_DEP_1) | instskip(NEXT) | instid1(VALU_DEP_1)
	v_lshrrev_b32_e32 v2, s48, v2
	v_and_b32_e32 v130, s55, v2
	s_or_b32 exec_lo, exec_lo, s34
	s_and_saveexec_b32 s34, s31
	s_cbranch_execnz .LBB1850_271
	s_branch .LBB1850_272
.LBB1850_240:                           ;   in Loop: Header=BB1850_98 Depth=2
	s_or_b32 exec_lo, exec_lo, s33
	s_delay_alu instid0(SALU_CYCLE_1)
	s_mov_b32 s34, exec_lo
	v_cmpx_lt_u32_e64 v109, v145
	s_cbranch_execz .LBB1850_210
.LBB1850_241:                           ;   in Loop: Header=BB1850_98 Depth=2
	global_load_b64 v[32:33], v[36:37], off offset:256
	s_or_b32 exec_lo, exec_lo, s34
	s_delay_alu instid0(SALU_CYCLE_1)
	s_mov_b32 s34, exec_lo
	v_cmpx_lt_u32_e64 v110, v145
	s_cbranch_execnz .LBB1850_211
.LBB1850_242:                           ;   in Loop: Header=BB1850_98 Depth=2
	s_or_b32 exec_lo, exec_lo, s34
	s_delay_alu instid0(SALU_CYCLE_1)
	s_mov_b32 s34, exec_lo
	v_cmpx_lt_u32_e64 v111, v145
	s_cbranch_execz .LBB1850_212
.LBB1850_243:                           ;   in Loop: Header=BB1850_98 Depth=2
	global_load_b64 v[28:29], v[36:37], off offset:768
	s_or_b32 exec_lo, exec_lo, s34
	s_delay_alu instid0(SALU_CYCLE_1)
	s_mov_b32 s34, exec_lo
	v_cmpx_lt_u32_e64 v112, v145
	s_cbranch_execnz .LBB1850_213
.LBB1850_244:                           ;   in Loop: Header=BB1850_98 Depth=2
	s_or_b32 exec_lo, exec_lo, s34
	s_delay_alu instid0(SALU_CYCLE_1)
	s_mov_b32 s34, exec_lo
	v_cmpx_lt_u32_e64 v113, v145
	s_cbranch_execz .LBB1850_214
.LBB1850_245:                           ;   in Loop: Header=BB1850_98 Depth=2
	global_load_b64 v[24:25], v[36:37], off offset:1280
	s_or_b32 exec_lo, exec_lo, s34
	s_delay_alu instid0(SALU_CYCLE_1)
	s_mov_b32 s34, exec_lo
	v_cmpx_lt_u32_e64 v114, v145
	s_cbranch_execnz .LBB1850_215
.LBB1850_246:                           ;   in Loop: Header=BB1850_98 Depth=2
	s_or_b32 exec_lo, exec_lo, s34
	s_delay_alu instid0(SALU_CYCLE_1)
	s_mov_b32 s34, exec_lo
	v_cmpx_lt_u32_e64 v115, v145
	s_cbranch_execz .LBB1850_216
.LBB1850_247:                           ;   in Loop: Header=BB1850_98 Depth=2
	global_load_b64 v[20:21], v[36:37], off offset:1792
	s_or_b32 exec_lo, exec_lo, s34
	s_delay_alu instid0(SALU_CYCLE_1)
	s_mov_b32 s34, exec_lo
	v_cmpx_lt_u32_e64 v116, v145
	s_cbranch_execnz .LBB1850_217
.LBB1850_248:                           ;   in Loop: Header=BB1850_98 Depth=2
	s_or_b32 exec_lo, exec_lo, s34
	s_delay_alu instid0(SALU_CYCLE_1)
	s_mov_b32 s34, exec_lo
	v_cmpx_lt_u32_e64 v117, v145
	s_cbranch_execz .LBB1850_218
.LBB1850_249:                           ;   in Loop: Header=BB1850_98 Depth=2
	global_load_b64 v[16:17], v[36:37], off offset:2304
	s_or_b32 exec_lo, exec_lo, s34
	s_delay_alu instid0(SALU_CYCLE_1)
	s_mov_b32 s34, exec_lo
	v_cmpx_lt_u32_e64 v118, v145
	s_cbranch_execnz .LBB1850_219
.LBB1850_250:                           ;   in Loop: Header=BB1850_98 Depth=2
	s_or_b32 exec_lo, exec_lo, s34
	s_delay_alu instid0(SALU_CYCLE_1)
	s_mov_b32 s34, exec_lo
	v_cmpx_lt_u32_e64 v119, v145
	s_cbranch_execz .LBB1850_220
.LBB1850_251:                           ;   in Loop: Header=BB1850_98 Depth=2
	global_load_b64 v[12:13], v[36:37], off offset:2816
	s_or_b32 exec_lo, exec_lo, s34
	s_delay_alu instid0(SALU_CYCLE_1)
	s_mov_b32 s34, exec_lo
	v_cmpx_lt_u32_e64 v120, v145
	s_cbranch_execnz .LBB1850_221
.LBB1850_252:                           ;   in Loop: Header=BB1850_98 Depth=2
	s_or_b32 exec_lo, exec_lo, s34
	s_delay_alu instid0(SALU_CYCLE_1)
	s_mov_b32 s34, exec_lo
	v_cmpx_lt_u32_e64 v121, v145
	s_cbranch_execz .LBB1850_222
.LBB1850_253:                           ;   in Loop: Header=BB1850_98 Depth=2
	global_load_b64 v[8:9], v[36:37], off offset:3328
	s_or_b32 exec_lo, exec_lo, s34
	s_delay_alu instid0(SALU_CYCLE_1)
	s_mov_b32 s34, exec_lo
	v_cmpx_lt_u32_e64 v122, v145
	s_cbranch_execnz .LBB1850_223
.LBB1850_254:                           ;   in Loop: Header=BB1850_98 Depth=2
	s_or_b32 exec_lo, exec_lo, s34
	s_delay_alu instid0(SALU_CYCLE_1)
	s_mov_b32 s34, exec_lo
	v_cmpx_lt_u32_e64 v123, v145
	s_cbranch_execz .LBB1850_224
.LBB1850_255:                           ;   in Loop: Header=BB1850_98 Depth=2
	global_load_b64 v[4:5], v[36:37], off offset:3840
	s_or_b32 exec_lo, exec_lo, s34
	s_and_saveexec_b32 s34, vcc_lo
	s_cbranch_execnz .LBB1850_225
.LBB1850_256:                           ;   in Loop: Header=BB1850_98 Depth=2
	s_or_b32 exec_lo, exec_lo, s34
	s_and_saveexec_b32 s34, s16
	s_cbranch_execz .LBB1850_226
.LBB1850_257:                           ;   in Loop: Header=BB1850_98 Depth=2
	ds_load_u16 v2, v79 offset:512
	s_waitcnt lgkmcnt(0)
	v_cmp_ne_u16_e64 s33, 0x7fff, v2
	s_delay_alu instid0(VALU_DEP_1) | instskip(NEXT) | instid1(VALU_DEP_1)
	v_cndmask_b32_e64 v2, 0xffff8000, v2, s33
	v_and_b32_e32 v2, 0xffff, v2
	s_delay_alu instid0(VALU_DEP_1) | instskip(NEXT) | instid1(VALU_DEP_1)
	v_lshrrev_b32_e32 v2, s48, v2
	v_and_b32_e32 v143, s55, v2
	s_or_b32 exec_lo, exec_lo, s34
	s_and_saveexec_b32 s34, s17
	s_cbranch_execnz .LBB1850_227
.LBB1850_258:                           ;   in Loop: Header=BB1850_98 Depth=2
	s_or_b32 exec_lo, exec_lo, s34
	s_and_saveexec_b32 s34, s18
	s_cbranch_execz .LBB1850_228
.LBB1850_259:                           ;   in Loop: Header=BB1850_98 Depth=2
	ds_load_u16 v2, v79 offset:1536
	s_waitcnt lgkmcnt(0)
	v_cmp_ne_u16_e64 s33, 0x7fff, v2
	s_delay_alu instid0(VALU_DEP_1) | instskip(NEXT) | instid1(VALU_DEP_1)
	v_cndmask_b32_e64 v2, 0xffff8000, v2, s33
	v_and_b32_e32 v2, 0xffff, v2
	s_delay_alu instid0(VALU_DEP_1) | instskip(NEXT) | instid1(VALU_DEP_1)
	v_lshrrev_b32_e32 v2, s48, v2
	v_and_b32_e32 v141, s55, v2
	s_or_b32 exec_lo, exec_lo, s34
	s_and_saveexec_b32 s34, s19
	s_cbranch_execnz .LBB1850_229
.LBB1850_260:                           ;   in Loop: Header=BB1850_98 Depth=2
	s_or_b32 exec_lo, exec_lo, s34
	s_and_saveexec_b32 s34, s20
	s_cbranch_execz .LBB1850_230
.LBB1850_261:                           ;   in Loop: Header=BB1850_98 Depth=2
	ds_load_u16 v2, v79 offset:2560
	s_waitcnt lgkmcnt(0)
	v_cmp_ne_u16_e64 s33, 0x7fff, v2
	s_delay_alu instid0(VALU_DEP_1) | instskip(NEXT) | instid1(VALU_DEP_1)
	v_cndmask_b32_e64 v2, 0xffff8000, v2, s33
	v_and_b32_e32 v2, 0xffff, v2
	s_delay_alu instid0(VALU_DEP_1) | instskip(NEXT) | instid1(VALU_DEP_1)
	v_lshrrev_b32_e32 v2, s48, v2
	v_and_b32_e32 v139, s55, v2
	s_or_b32 exec_lo, exec_lo, s34
	s_and_saveexec_b32 s34, s21
	s_cbranch_execnz .LBB1850_231
.LBB1850_262:                           ;   in Loop: Header=BB1850_98 Depth=2
	s_or_b32 exec_lo, exec_lo, s34
	s_and_saveexec_b32 s34, s22
	s_cbranch_execz .LBB1850_232
.LBB1850_263:                           ;   in Loop: Header=BB1850_98 Depth=2
	ds_load_u16 v2, v79 offset:3584
	s_waitcnt lgkmcnt(0)
	v_cmp_ne_u16_e64 s33, 0x7fff, v2
	s_delay_alu instid0(VALU_DEP_1) | instskip(NEXT) | instid1(VALU_DEP_1)
	v_cndmask_b32_e64 v2, 0xffff8000, v2, s33
	v_and_b32_e32 v2, 0xffff, v2
	s_delay_alu instid0(VALU_DEP_1) | instskip(NEXT) | instid1(VALU_DEP_1)
	v_lshrrev_b32_e32 v2, s48, v2
	v_and_b32_e32 v137, s55, v2
	s_or_b32 exec_lo, exec_lo, s34
	s_and_saveexec_b32 s34, s23
	s_cbranch_execnz .LBB1850_233
.LBB1850_264:                           ;   in Loop: Header=BB1850_98 Depth=2
	s_or_b32 exec_lo, exec_lo, s34
	s_and_saveexec_b32 s34, s24
	s_cbranch_execz .LBB1850_234
.LBB1850_265:                           ;   in Loop: Header=BB1850_98 Depth=2
	ds_load_u16 v2, v79 offset:4608
	s_waitcnt lgkmcnt(0)
	v_cmp_ne_u16_e64 s33, 0x7fff, v2
	s_delay_alu instid0(VALU_DEP_1) | instskip(NEXT) | instid1(VALU_DEP_1)
	v_cndmask_b32_e64 v2, 0xffff8000, v2, s33
	v_and_b32_e32 v2, 0xffff, v2
	s_delay_alu instid0(VALU_DEP_1) | instskip(NEXT) | instid1(VALU_DEP_1)
	v_lshrrev_b32_e32 v2, s48, v2
	v_and_b32_e32 v135, s55, v2
	s_or_b32 exec_lo, exec_lo, s34
	s_and_saveexec_b32 s34, s25
	s_cbranch_execnz .LBB1850_235
.LBB1850_266:                           ;   in Loop: Header=BB1850_98 Depth=2
	s_or_b32 exec_lo, exec_lo, s34
	s_and_saveexec_b32 s34, s27
	s_cbranch_execz .LBB1850_236
.LBB1850_267:                           ;   in Loop: Header=BB1850_98 Depth=2
	ds_load_u16 v2, v79 offset:5632
	s_waitcnt lgkmcnt(0)
	v_cmp_ne_u16_e64 s33, 0x7fff, v2
	s_delay_alu instid0(VALU_DEP_1) | instskip(NEXT) | instid1(VALU_DEP_1)
	v_cndmask_b32_e64 v2, 0xffff8000, v2, s33
	v_and_b32_e32 v2, 0xffff, v2
	s_delay_alu instid0(VALU_DEP_1) | instskip(NEXT) | instid1(VALU_DEP_1)
	v_lshrrev_b32_e32 v2, s48, v2
	v_and_b32_e32 v133, s55, v2
	s_or_b32 exec_lo, exec_lo, s34
	s_and_saveexec_b32 s34, s28
	s_cbranch_execnz .LBB1850_237
.LBB1850_268:                           ;   in Loop: Header=BB1850_98 Depth=2
	s_or_b32 exec_lo, exec_lo, s34
	s_and_saveexec_b32 s34, s29
	s_cbranch_execz .LBB1850_238
.LBB1850_269:                           ;   in Loop: Header=BB1850_98 Depth=2
	ds_load_u16 v2, v79 offset:6656
	s_waitcnt lgkmcnt(0)
	v_cmp_ne_u16_e64 s33, 0x7fff, v2
	s_delay_alu instid0(VALU_DEP_1) | instskip(NEXT) | instid1(VALU_DEP_1)
	v_cndmask_b32_e64 v2, 0xffff8000, v2, s33
	v_and_b32_e32 v2, 0xffff, v2
	s_delay_alu instid0(VALU_DEP_1) | instskip(NEXT) | instid1(VALU_DEP_1)
	v_lshrrev_b32_e32 v2, s48, v2
	v_and_b32_e32 v131, s55, v2
	s_or_b32 exec_lo, exec_lo, s34
	s_and_saveexec_b32 s34, s30
	s_cbranch_execnz .LBB1850_239
.LBB1850_270:                           ;   in Loop: Header=BB1850_98 Depth=2
	s_or_b32 exec_lo, exec_lo, s34
	s_and_saveexec_b32 s34, s31
	s_cbranch_execz .LBB1850_272
.LBB1850_271:                           ;   in Loop: Header=BB1850_98 Depth=2
	ds_load_u16 v2, v79 offset:7680
	s_waitcnt lgkmcnt(0)
	v_cmp_ne_u16_e64 s33, 0x7fff, v2
	s_delay_alu instid0(VALU_DEP_1) | instskip(NEXT) | instid1(VALU_DEP_1)
	v_cndmask_b32_e64 v2, 0xffff8000, v2, s33
	v_and_b32_e32 v2, 0xffff, v2
	s_delay_alu instid0(VALU_DEP_1) | instskip(NEXT) | instid1(VALU_DEP_1)
	v_lshrrev_b32_e32 v2, s48, v2
	v_and_b32_e32 v129, s55, v2
.LBB1850_272:                           ;   in Loop: Header=BB1850_98 Depth=2
	s_or_b32 exec_lo, exec_lo, s34
	v_lshlrev_b32_e32 v2, 3, v168
	v_lshlrev_b32_e32 v36, 3, v164
	s_waitcnt vmcnt(0)
	s_waitcnt_vscnt null, 0x0
	s_barrier
	buffer_gl0_inv
	ds_store_b64 v2, v[34:35] offset:1024
	v_lshlrev_b32_e32 v2, 3, v160
	v_lshlrev_b32_e32 v37, 3, v156
	;; [unrolled: 1-line block ×4, first 2 shown]
	ds_store_b64 v36, v[32:33] offset:1024
	ds_store_b64 v2, v[30:31] offset:1024
	;; [unrolled: 1-line block ×5, first 2 shown]
	v_lshlrev_b32_e32 v2, 3, v152
	v_lshlrev_b32_e32 v36, 3, v151
	;; [unrolled: 1-line block ×5, first 2 shown]
	ds_store_b64 v2, v[22:23] offset:1024
	ds_store_b64 v36, v[20:21] offset:1024
	;; [unrolled: 1-line block ×5, first 2 shown]
	v_lshlrev_b32_e32 v2, 3, v40
	v_lshlrev_b32_e32 v36, 3, v39
	;; [unrolled: 1-line block ×5, first 2 shown]
	ds_store_b64 v2, v[12:13] offset:1024
	ds_store_b64 v36, v[10:11] offset:1024
	;; [unrolled: 1-line block ×5, first 2 shown]
	s_waitcnt lgkmcnt(0)
	s_barrier
	buffer_gl0_inv
	s_and_saveexec_b32 s33, vcc_lo
	s_cbranch_execz .LBB1850_288
; %bb.273:                              ;   in Loop: Header=BB1850_98 Depth=2
	v_lshlrev_b32_e32 v2, 2, v144
	ds_load_b32 v2, v2
	ds_load_b64 v[36:37], v80 offset:1024
	s_waitcnt lgkmcnt(1)
	v_add_nc_u32_e32 v2, v2, v1
	s_delay_alu instid0(VALU_DEP_1) | instskip(NEXT) | instid1(VALU_DEP_1)
	v_lshlrev_b64 v[39:40], 3, v[2:3]
	v_add_co_u32 v39, vcc_lo, s44, v39
	s_delay_alu instid0(VALU_DEP_2)
	v_add_co_ci_u32_e32 v40, vcc_lo, s45, v40, vcc_lo
	s_waitcnt lgkmcnt(0)
	global_store_b64 v[39:40], v[36:37], off
	s_or_b32 exec_lo, exec_lo, s33
	s_and_saveexec_b32 s33, s16
	s_cbranch_execnz .LBB1850_289
.LBB1850_274:                           ;   in Loop: Header=BB1850_98 Depth=2
	s_or_b32 exec_lo, exec_lo, s33
	s_and_saveexec_b32 s16, s17
	s_cbranch_execz .LBB1850_290
.LBB1850_275:                           ;   in Loop: Header=BB1850_98 Depth=2
	v_lshlrev_b32_e32 v2, 2, v142
	v_add_nc_u32_e32 v36, v79, v81
	ds_load_b32 v2, v2
	ds_load_b64 v[36:37], v36 offset:4096
	s_waitcnt lgkmcnt(1)
	v_add_nc_u32_e32 v2, v2, v46
	s_delay_alu instid0(VALU_DEP_1) | instskip(NEXT) | instid1(VALU_DEP_1)
	v_lshlrev_b64 v[39:40], 3, v[2:3]
	v_add_co_u32 v39, vcc_lo, s44, v39
	s_delay_alu instid0(VALU_DEP_2)
	v_add_co_ci_u32_e32 v40, vcc_lo, s45, v40, vcc_lo
	s_waitcnt lgkmcnt(0)
	global_store_b64 v[39:40], v[36:37], off
	s_or_b32 exec_lo, exec_lo, s16
	s_and_saveexec_b32 s16, s18
	s_cbranch_execnz .LBB1850_291
.LBB1850_276:                           ;   in Loop: Header=BB1850_98 Depth=2
	s_or_b32 exec_lo, exec_lo, s16
	s_and_saveexec_b32 s16, s19
	s_cbranch_execz .LBB1850_292
.LBB1850_277:                           ;   in Loop: Header=BB1850_98 Depth=2
	v_lshlrev_b32_e32 v2, 2, v140
	v_add_nc_u32_e32 v36, v79, v81
	ds_load_b32 v2, v2
	ds_load_b64 v[36:37], v36 offset:8192
	s_waitcnt lgkmcnt(1)
	v_add_nc_u32_e32 v2, v2, v51
	s_delay_alu instid0(VALU_DEP_1) | instskip(NEXT) | instid1(VALU_DEP_1)
	v_lshlrev_b64 v[39:40], 3, v[2:3]
	v_add_co_u32 v39, vcc_lo, s44, v39
	s_delay_alu instid0(VALU_DEP_2)
	v_add_co_ci_u32_e32 v40, vcc_lo, s45, v40, vcc_lo
	s_waitcnt lgkmcnt(0)
	global_store_b64 v[39:40], v[36:37], off
	s_or_b32 exec_lo, exec_lo, s16
	s_and_saveexec_b32 s16, s20
	s_cbranch_execnz .LBB1850_293
.LBB1850_278:                           ;   in Loop: Header=BB1850_98 Depth=2
	s_or_b32 exec_lo, exec_lo, s16
	s_and_saveexec_b32 s16, s21
	s_cbranch_execz .LBB1850_294
.LBB1850_279:                           ;   in Loop: Header=BB1850_98 Depth=2
	v_lshlrev_b32_e32 v2, 2, v138
	v_add_nc_u32_e32 v36, v79, v81
	ds_load_b32 v2, v2
	ds_load_b64 v[36:37], v36 offset:12288
	s_waitcnt lgkmcnt(1)
	v_add_nc_u32_e32 v2, v2, v53
	s_delay_alu instid0(VALU_DEP_1) | instskip(NEXT) | instid1(VALU_DEP_1)
	v_lshlrev_b64 v[39:40], 3, v[2:3]
	v_add_co_u32 v39, vcc_lo, s44, v39
	s_delay_alu instid0(VALU_DEP_2)
	v_add_co_ci_u32_e32 v40, vcc_lo, s45, v40, vcc_lo
	s_waitcnt lgkmcnt(0)
	global_store_b64 v[39:40], v[36:37], off
	s_or_b32 exec_lo, exec_lo, s16
	s_and_saveexec_b32 s16, s22
	s_cbranch_execnz .LBB1850_295
.LBB1850_280:                           ;   in Loop: Header=BB1850_98 Depth=2
	s_or_b32 exec_lo, exec_lo, s16
	s_and_saveexec_b32 s16, s23
	s_cbranch_execz .LBB1850_296
.LBB1850_281:                           ;   in Loop: Header=BB1850_98 Depth=2
	v_lshlrev_b32_e32 v2, 2, v136
	v_add_nc_u32_e32 v36, v79, v81
	ds_load_b32 v2, v2
	ds_load_b64 v[36:37], v36 offset:16384
	s_waitcnt lgkmcnt(1)
	v_add_nc_u32_e32 v2, v2, v55
	s_delay_alu instid0(VALU_DEP_1) | instskip(NEXT) | instid1(VALU_DEP_1)
	v_lshlrev_b64 v[39:40], 3, v[2:3]
	v_add_co_u32 v39, vcc_lo, s44, v39
	s_delay_alu instid0(VALU_DEP_2)
	v_add_co_ci_u32_e32 v40, vcc_lo, s45, v40, vcc_lo
	s_waitcnt lgkmcnt(0)
	global_store_b64 v[39:40], v[36:37], off
	s_or_b32 exec_lo, exec_lo, s16
	s_and_saveexec_b32 s16, s24
	s_cbranch_execnz .LBB1850_297
.LBB1850_282:                           ;   in Loop: Header=BB1850_98 Depth=2
	s_or_b32 exec_lo, exec_lo, s16
	s_and_saveexec_b32 s16, s25
	s_cbranch_execz .LBB1850_298
.LBB1850_283:                           ;   in Loop: Header=BB1850_98 Depth=2
	v_lshlrev_b32_e32 v2, 2, v134
	v_add_nc_u32_e32 v36, v79, v81
	ds_load_b32 v2, v2
	ds_load_b64 v[36:37], v36 offset:20480
	s_waitcnt lgkmcnt(1)
	v_add_nc_u32_e32 v2, v2, v57
	s_delay_alu instid0(VALU_DEP_1) | instskip(NEXT) | instid1(VALU_DEP_1)
	v_lshlrev_b64 v[39:40], 3, v[2:3]
	v_add_co_u32 v39, vcc_lo, s44, v39
	s_delay_alu instid0(VALU_DEP_2)
	v_add_co_ci_u32_e32 v40, vcc_lo, s45, v40, vcc_lo
	s_waitcnt lgkmcnt(0)
	global_store_b64 v[39:40], v[36:37], off
	s_or_b32 exec_lo, exec_lo, s16
	s_and_saveexec_b32 s16, s27
	s_cbranch_execnz .LBB1850_299
.LBB1850_284:                           ;   in Loop: Header=BB1850_98 Depth=2
	s_or_b32 exec_lo, exec_lo, s16
	s_and_saveexec_b32 s16, s28
	s_cbranch_execz .LBB1850_300
.LBB1850_285:                           ;   in Loop: Header=BB1850_98 Depth=2
	v_lshlrev_b32_e32 v2, 2, v132
	v_add_nc_u32_e32 v36, v79, v81
	ds_load_b32 v2, v2
	ds_load_b64 v[36:37], v36 offset:24576
	s_waitcnt lgkmcnt(1)
	v_add_nc_u32_e32 v2, v2, v59
	s_delay_alu instid0(VALU_DEP_1) | instskip(NEXT) | instid1(VALU_DEP_1)
	v_lshlrev_b64 v[39:40], 3, v[2:3]
	v_add_co_u32 v39, vcc_lo, s44, v39
	s_delay_alu instid0(VALU_DEP_2)
	v_add_co_ci_u32_e32 v40, vcc_lo, s45, v40, vcc_lo
	s_waitcnt lgkmcnt(0)
	global_store_b64 v[39:40], v[36:37], off
	s_or_b32 exec_lo, exec_lo, s16
	s_and_saveexec_b32 s16, s29
	s_cbranch_execnz .LBB1850_301
.LBB1850_286:                           ;   in Loop: Header=BB1850_98 Depth=2
	s_or_b32 exec_lo, exec_lo, s16
	s_and_saveexec_b32 s16, s30
	s_cbranch_execz .LBB1850_302
.LBB1850_287:                           ;   in Loop: Header=BB1850_98 Depth=2
	v_lshlrev_b32_e32 v2, 2, v130
	v_add_nc_u32_e32 v36, v79, v81
	ds_load_b32 v2, v2
	ds_load_b64 v[36:37], v36 offset:28672
	s_waitcnt lgkmcnt(1)
	v_add_nc_u32_e32 v2, v2, v61
	s_delay_alu instid0(VALU_DEP_1) | instskip(NEXT) | instid1(VALU_DEP_1)
	v_lshlrev_b64 v[39:40], 3, v[2:3]
	v_add_co_u32 v39, vcc_lo, s44, v39
	s_delay_alu instid0(VALU_DEP_2)
	v_add_co_ci_u32_e32 v40, vcc_lo, s45, v40, vcc_lo
	s_waitcnt lgkmcnt(0)
	global_store_b64 v[39:40], v[36:37], off
	s_or_b32 exec_lo, exec_lo, s16
	s_and_saveexec_b32 s16, s31
	s_cbranch_execnz .LBB1850_303
	s_branch .LBB1850_304
.LBB1850_288:                           ;   in Loop: Header=BB1850_98 Depth=2
	s_or_b32 exec_lo, exec_lo, s33
	s_and_saveexec_b32 s33, s16
	s_cbranch_execz .LBB1850_274
.LBB1850_289:                           ;   in Loop: Header=BB1850_98 Depth=2
	v_lshlrev_b32_e32 v2, 2, v143
	v_add_nc_u32_e32 v36, v79, v81
	ds_load_b32 v2, v2
	ds_load_b64 v[36:37], v36 offset:2048
	s_waitcnt lgkmcnt(1)
	v_add_nc_u32_e32 v2, v2, v45
	s_delay_alu instid0(VALU_DEP_1) | instskip(NEXT) | instid1(VALU_DEP_1)
	v_lshlrev_b64 v[39:40], 3, v[2:3]
	v_add_co_u32 v39, vcc_lo, s44, v39
	s_delay_alu instid0(VALU_DEP_2)
	v_add_co_ci_u32_e32 v40, vcc_lo, s45, v40, vcc_lo
	s_waitcnt lgkmcnt(0)
	global_store_b64 v[39:40], v[36:37], off
	s_or_b32 exec_lo, exec_lo, s33
	s_and_saveexec_b32 s16, s17
	s_cbranch_execnz .LBB1850_275
.LBB1850_290:                           ;   in Loop: Header=BB1850_98 Depth=2
	s_or_b32 exec_lo, exec_lo, s16
	s_and_saveexec_b32 s16, s18
	s_cbranch_execz .LBB1850_276
.LBB1850_291:                           ;   in Loop: Header=BB1850_98 Depth=2
	v_lshlrev_b32_e32 v2, 2, v141
	v_add_nc_u32_e32 v36, v79, v81
	ds_load_b32 v2, v2
	ds_load_b64 v[36:37], v36 offset:6144
	s_waitcnt lgkmcnt(1)
	v_add_nc_u32_e32 v2, v2, v47
	s_delay_alu instid0(VALU_DEP_1) | instskip(NEXT) | instid1(VALU_DEP_1)
	v_lshlrev_b64 v[39:40], 3, v[2:3]
	v_add_co_u32 v39, vcc_lo, s44, v39
	s_delay_alu instid0(VALU_DEP_2)
	v_add_co_ci_u32_e32 v40, vcc_lo, s45, v40, vcc_lo
	s_waitcnt lgkmcnt(0)
	global_store_b64 v[39:40], v[36:37], off
	s_or_b32 exec_lo, exec_lo, s16
	s_and_saveexec_b32 s16, s19
	s_cbranch_execnz .LBB1850_277
.LBB1850_292:                           ;   in Loop: Header=BB1850_98 Depth=2
	s_or_b32 exec_lo, exec_lo, s16
	s_and_saveexec_b32 s16, s20
	s_cbranch_execz .LBB1850_278
.LBB1850_293:                           ;   in Loop: Header=BB1850_98 Depth=2
	v_lshlrev_b32_e32 v2, 2, v139
	v_add_nc_u32_e32 v36, v79, v81
	ds_load_b32 v2, v2
	ds_load_b64 v[36:37], v36 offset:10240
	s_waitcnt lgkmcnt(1)
	v_add_nc_u32_e32 v2, v2, v52
	s_delay_alu instid0(VALU_DEP_1) | instskip(NEXT) | instid1(VALU_DEP_1)
	v_lshlrev_b64 v[39:40], 3, v[2:3]
	v_add_co_u32 v39, vcc_lo, s44, v39
	s_delay_alu instid0(VALU_DEP_2)
	v_add_co_ci_u32_e32 v40, vcc_lo, s45, v40, vcc_lo
	s_waitcnt lgkmcnt(0)
	global_store_b64 v[39:40], v[36:37], off
	s_or_b32 exec_lo, exec_lo, s16
	s_and_saveexec_b32 s16, s21
	s_cbranch_execnz .LBB1850_279
.LBB1850_294:                           ;   in Loop: Header=BB1850_98 Depth=2
	s_or_b32 exec_lo, exec_lo, s16
	s_and_saveexec_b32 s16, s22
	s_cbranch_execz .LBB1850_280
.LBB1850_295:                           ;   in Loop: Header=BB1850_98 Depth=2
	v_lshlrev_b32_e32 v2, 2, v137
	v_add_nc_u32_e32 v36, v79, v81
	ds_load_b32 v2, v2
	ds_load_b64 v[36:37], v36 offset:14336
	s_waitcnt lgkmcnt(1)
	v_add_nc_u32_e32 v2, v2, v54
	s_delay_alu instid0(VALU_DEP_1) | instskip(NEXT) | instid1(VALU_DEP_1)
	v_lshlrev_b64 v[39:40], 3, v[2:3]
	v_add_co_u32 v39, vcc_lo, s44, v39
	s_delay_alu instid0(VALU_DEP_2)
	v_add_co_ci_u32_e32 v40, vcc_lo, s45, v40, vcc_lo
	s_waitcnt lgkmcnt(0)
	global_store_b64 v[39:40], v[36:37], off
	s_or_b32 exec_lo, exec_lo, s16
	s_and_saveexec_b32 s16, s23
	s_cbranch_execnz .LBB1850_281
.LBB1850_296:                           ;   in Loop: Header=BB1850_98 Depth=2
	s_or_b32 exec_lo, exec_lo, s16
	s_and_saveexec_b32 s16, s24
	s_cbranch_execz .LBB1850_282
.LBB1850_297:                           ;   in Loop: Header=BB1850_98 Depth=2
	v_lshlrev_b32_e32 v2, 2, v135
	v_add_nc_u32_e32 v36, v79, v81
	ds_load_b32 v2, v2
	ds_load_b64 v[36:37], v36 offset:18432
	s_waitcnt lgkmcnt(1)
	v_add_nc_u32_e32 v2, v2, v56
	s_delay_alu instid0(VALU_DEP_1) | instskip(NEXT) | instid1(VALU_DEP_1)
	v_lshlrev_b64 v[39:40], 3, v[2:3]
	v_add_co_u32 v39, vcc_lo, s44, v39
	s_delay_alu instid0(VALU_DEP_2)
	v_add_co_ci_u32_e32 v40, vcc_lo, s45, v40, vcc_lo
	s_waitcnt lgkmcnt(0)
	global_store_b64 v[39:40], v[36:37], off
	s_or_b32 exec_lo, exec_lo, s16
	s_and_saveexec_b32 s16, s25
	s_cbranch_execnz .LBB1850_283
.LBB1850_298:                           ;   in Loop: Header=BB1850_98 Depth=2
	s_or_b32 exec_lo, exec_lo, s16
	s_and_saveexec_b32 s16, s27
	s_cbranch_execz .LBB1850_284
.LBB1850_299:                           ;   in Loop: Header=BB1850_98 Depth=2
	v_lshlrev_b32_e32 v2, 2, v133
	v_add_nc_u32_e32 v36, v79, v81
	ds_load_b32 v2, v2
	ds_load_b64 v[36:37], v36 offset:22528
	s_waitcnt lgkmcnt(1)
	v_add_nc_u32_e32 v2, v2, v58
	s_delay_alu instid0(VALU_DEP_1) | instskip(NEXT) | instid1(VALU_DEP_1)
	v_lshlrev_b64 v[39:40], 3, v[2:3]
	v_add_co_u32 v39, vcc_lo, s44, v39
	s_delay_alu instid0(VALU_DEP_2)
	v_add_co_ci_u32_e32 v40, vcc_lo, s45, v40, vcc_lo
	s_waitcnt lgkmcnt(0)
	global_store_b64 v[39:40], v[36:37], off
	s_or_b32 exec_lo, exec_lo, s16
	s_and_saveexec_b32 s16, s28
	s_cbranch_execnz .LBB1850_285
.LBB1850_300:                           ;   in Loop: Header=BB1850_98 Depth=2
	s_or_b32 exec_lo, exec_lo, s16
	s_and_saveexec_b32 s16, s29
	s_cbranch_execz .LBB1850_286
.LBB1850_301:                           ;   in Loop: Header=BB1850_98 Depth=2
	v_lshlrev_b32_e32 v2, 2, v131
	v_add_nc_u32_e32 v36, v79, v81
	ds_load_b32 v2, v2
	ds_load_b64 v[36:37], v36 offset:26624
	s_waitcnt lgkmcnt(1)
	v_add_nc_u32_e32 v2, v2, v60
	s_delay_alu instid0(VALU_DEP_1) | instskip(NEXT) | instid1(VALU_DEP_1)
	v_lshlrev_b64 v[39:40], 3, v[2:3]
	v_add_co_u32 v39, vcc_lo, s44, v39
	s_delay_alu instid0(VALU_DEP_2)
	v_add_co_ci_u32_e32 v40, vcc_lo, s45, v40, vcc_lo
	s_waitcnt lgkmcnt(0)
	global_store_b64 v[39:40], v[36:37], off
	s_or_b32 exec_lo, exec_lo, s16
	s_and_saveexec_b32 s16, s30
	s_cbranch_execnz .LBB1850_287
.LBB1850_302:                           ;   in Loop: Header=BB1850_98 Depth=2
	s_or_b32 exec_lo, exec_lo, s16
	s_and_saveexec_b32 s16, s31
	s_cbranch_execz .LBB1850_304
.LBB1850_303:                           ;   in Loop: Header=BB1850_98 Depth=2
	v_lshlrev_b32_e32 v2, 2, v129
	v_add_nc_u32_e32 v36, v79, v81
	ds_load_b32 v2, v2
	ds_load_b64 v[36:37], v36 offset:30720
	s_waitcnt lgkmcnt(1)
	v_add_nc_u32_e32 v2, v2, v63
	s_delay_alu instid0(VALU_DEP_1) | instskip(NEXT) | instid1(VALU_DEP_1)
	v_lshlrev_b64 v[39:40], 3, v[2:3]
	v_add_co_u32 v39, vcc_lo, s44, v39
	s_delay_alu instid0(VALU_DEP_2)
	v_add_co_ci_u32_e32 v40, vcc_lo, s45, v40, vcc_lo
	s_waitcnt lgkmcnt(0)
	global_store_b64 v[39:40], v[36:37], off
.LBB1850_304:                           ;   in Loop: Header=BB1850_98 Depth=2
	s_or_b32 exec_lo, exec_lo, s16
	s_waitcnt_vscnt null, 0x0
	s_barrier
	buffer_gl0_inv
	s_and_saveexec_b32 s16, s2
	s_cbranch_execz .LBB1850_97
; %bb.305:                              ;   in Loop: Header=BB1850_98 Depth=2
	ds_load_b32 v2, v44
	s_waitcnt lgkmcnt(0)
	v_add_nc_u32_e32 v2, v2, v38
	ds_store_b32 v44, v2
	s_branch .LBB1850_97
.LBB1850_306:                           ;   in Loop: Header=BB1850_12 Depth=1
	s_waitcnt lgkmcnt(0)
	s_mov_b32 s0, 0
	s_barrier
.LBB1850_307:                           ;   in Loop: Header=BB1850_12 Depth=1
	s_and_b32 vcc_lo, exec_lo, s0
	s_cbranch_vccz .LBB1850_601
; %bb.308:                              ;   in Loop: Header=BB1850_12 Depth=1
	s_mov_b32 s8, s54
	s_mov_b32 s34, s52
	s_barrier
	buffer_gl0_inv
                                        ; implicit-def: $vgpr20
                                        ; implicit-def: $vgpr2
                                        ; implicit-def: $vgpr6
                                        ; implicit-def: $vgpr7
                                        ; implicit-def: $vgpr8
                                        ; implicit-def: $vgpr9
                                        ; implicit-def: $vgpr10
                                        ; implicit-def: $vgpr11
                                        ; implicit-def: $vgpr12
                                        ; implicit-def: $vgpr13
                                        ; implicit-def: $vgpr14
                                        ; implicit-def: $vgpr15
                                        ; implicit-def: $vgpr16
                                        ; implicit-def: $vgpr17
                                        ; implicit-def: $vgpr18
                                        ; implicit-def: $vgpr19
	s_branch .LBB1850_310
.LBB1850_309:                           ;   in Loop: Header=BB1850_310 Depth=2
	s_or_b32 exec_lo, exec_lo, s0
	s_addk_i32 s8, 0xf000
	s_cmp_ge_u32 s9, s53
	s_mov_b32 s34, s9
	s_cbranch_scc1 .LBB1850_380
.LBB1850_310:                           ;   Parent Loop BB1850_12 Depth=1
                                        ; =>  This Inner Loop Header: Depth=2
	s_add_i32 s9, s34, 0x1000
	s_delay_alu instid0(SALU_CYCLE_1)
	s_cmp_gt_u32 s9, s53
	s_cbranch_scc1 .LBB1850_313
; %bb.311:                              ;   in Loop: Header=BB1850_310 Depth=2
	s_mov_b32 s1, 0
	s_mov_b32 s0, s34
	s_delay_alu instid0(SALU_CYCLE_1) | instskip(NEXT) | instid1(SALU_CYCLE_1)
	s_lshl_b64 s[10:11], s[0:1], 1
	v_add_co_u32 v4, vcc_lo, v82, s10
	v_add_co_ci_u32_e32 v5, vcc_lo, s11, v83, vcc_lo
	s_movk_i32 s11, 0x1000
	s_waitcnt vmcnt(0)
	s_delay_alu instid0(VALU_DEP_2) | instskip(NEXT) | instid1(VALU_DEP_2)
	v_add_co_u32 v36, vcc_lo, 0x1000, v4
	v_add_co_ci_u32_e32 v37, vcc_lo, 0, v5, vcc_lo
	s_clause 0xe
	global_load_u16 v22, v[4:5], off
	global_load_u16 v23, v[4:5], off offset:512
	global_load_u16 v24, v[4:5], off offset:1024
	global_load_u16 v25, v[4:5], off offset:1536
	global_load_u16 v26, v[4:5], off offset:2048
	global_load_u16 v27, v[4:5], off offset:2560
	global_load_u16 v28, v[4:5], off offset:3072
	global_load_u16 v29, v[4:5], off offset:3584
	global_load_u16 v30, v[36:37], off
	global_load_u16 v31, v[36:37], off offset:512
	global_load_u16 v32, v[36:37], off offset:1024
	;; [unrolled: 1-line block ×6, first 2 shown]
	v_add_co_u32 v4, vcc_lo, 0x1e00, v4
	v_add_co_ci_u32_e32 v5, vcc_lo, 0, v5, vcc_lo
	s_mov_b32 s10, -1
	s_cbranch_execz .LBB1850_314
; %bb.312:                              ;   in Loop: Header=BB1850_310 Depth=2
                                        ; implicit-def: $vgpr19
                                        ; implicit-def: $vgpr18
                                        ; implicit-def: $vgpr17
                                        ; implicit-def: $vgpr16
                                        ; implicit-def: $vgpr15
                                        ; implicit-def: $vgpr14
                                        ; implicit-def: $vgpr13
                                        ; implicit-def: $vgpr12
                                        ; implicit-def: $vgpr11
                                        ; implicit-def: $vgpr10
                                        ; implicit-def: $vgpr9
                                        ; implicit-def: $vgpr8
                                        ; implicit-def: $vgpr7
                                        ; implicit-def: $vgpr6
                                        ; implicit-def: $vgpr2
                                        ; implicit-def: $vgpr20
	v_mov_b32_e32 v21, s8
	s_and_saveexec_b32 s0, s10
	s_cbranch_execnz .LBB1850_333
	s_branch .LBB1850_334
.LBB1850_313:                           ;   in Loop: Header=BB1850_310 Depth=2
	s_mov_b32 s10, 0
                                        ; implicit-def: $sgpr11
                                        ; implicit-def: $vgpr22
                                        ; implicit-def: $vgpr23
                                        ; implicit-def: $vgpr24
                                        ; implicit-def: $vgpr25
                                        ; implicit-def: $vgpr26
                                        ; implicit-def: $vgpr27
                                        ; implicit-def: $vgpr28
                                        ; implicit-def: $vgpr29
                                        ; implicit-def: $vgpr30
                                        ; implicit-def: $vgpr31
                                        ; implicit-def: $vgpr32
                                        ; implicit-def: $vgpr33
                                        ; implicit-def: $vgpr34
                                        ; implicit-def: $vgpr35
                                        ; implicit-def: $vgpr36
                                        ; implicit-def: $vgpr4_vgpr5
.LBB1850_314:                           ;   in Loop: Header=BB1850_310 Depth=2
	s_lshl_b64 s[0:1], s[34:35], 1
	s_mov_b32 s11, exec_lo
	s_add_u32 s0, s38, s0
	s_addc_u32 s1, s39, s1
	v_cmpx_gt_u32_e64 s8, v1
	s_cbranch_execz .LBB1850_366
; %bb.315:                              ;   in Loop: Header=BB1850_310 Depth=2
	global_load_u16 v19, v95, s[0:1]
	s_or_b32 exec_lo, exec_lo, s11
	s_delay_alu instid0(SALU_CYCLE_1)
	s_mov_b32 s11, exec_lo
	v_cmpx_gt_u32_e64 s8, v45
	s_cbranch_execnz .LBB1850_367
.LBB1850_316:                           ;   in Loop: Header=BB1850_310 Depth=2
	s_or_b32 exec_lo, exec_lo, s11
	s_delay_alu instid0(SALU_CYCLE_1)
	s_mov_b32 s11, exec_lo
	v_cmpx_gt_u32_e64 s8, v46
	s_cbranch_execz .LBB1850_368
.LBB1850_317:                           ;   in Loop: Header=BB1850_310 Depth=2
	global_load_u16 v17, v95, s[0:1] offset:1024
	s_or_b32 exec_lo, exec_lo, s11
	s_delay_alu instid0(SALU_CYCLE_1)
	s_mov_b32 s11, exec_lo
	v_cmpx_gt_u32_e64 s8, v47
	s_cbranch_execnz .LBB1850_369
.LBB1850_318:                           ;   in Loop: Header=BB1850_310 Depth=2
	s_or_b32 exec_lo, exec_lo, s11
	s_delay_alu instid0(SALU_CYCLE_1)
	s_mov_b32 s11, exec_lo
	v_cmpx_gt_u32_e64 s8, v51
	s_cbranch_execz .LBB1850_370
.LBB1850_319:                           ;   in Loop: Header=BB1850_310 Depth=2
	global_load_u16 v15, v95, s[0:1] offset:2048
	s_or_b32 exec_lo, exec_lo, s11
	s_delay_alu instid0(SALU_CYCLE_1)
	s_mov_b32 s11, exec_lo
	v_cmpx_gt_u32_e64 s8, v52
	s_cbranch_execnz .LBB1850_371
.LBB1850_320:                           ;   in Loop: Header=BB1850_310 Depth=2
	s_or_b32 exec_lo, exec_lo, s11
	s_delay_alu instid0(SALU_CYCLE_1)
	s_mov_b32 s11, exec_lo
	v_cmpx_gt_u32_e64 s8, v53
	s_cbranch_execz .LBB1850_372
.LBB1850_321:                           ;   in Loop: Header=BB1850_310 Depth=2
	global_load_u16 v13, v95, s[0:1] offset:3072
	s_or_b32 exec_lo, exec_lo, s11
	s_delay_alu instid0(SALU_CYCLE_1)
	s_mov_b32 s11, exec_lo
	v_cmpx_gt_u32_e64 s8, v54
	s_cbranch_execnz .LBB1850_373
.LBB1850_322:                           ;   in Loop: Header=BB1850_310 Depth=2
	s_or_b32 exec_lo, exec_lo, s11
	s_delay_alu instid0(SALU_CYCLE_1)
	s_mov_b32 s11, exec_lo
	v_cmpx_gt_u32_e64 s8, v55
	s_cbranch_execz .LBB1850_374
.LBB1850_323:                           ;   in Loop: Header=BB1850_310 Depth=2
	global_load_u16 v11, v96, s[0:1]
	s_or_b32 exec_lo, exec_lo, s11
	s_delay_alu instid0(SALU_CYCLE_1)
	s_mov_b32 s11, exec_lo
	v_cmpx_gt_u32_e64 s8, v56
	s_cbranch_execnz .LBB1850_375
.LBB1850_324:                           ;   in Loop: Header=BB1850_310 Depth=2
	s_or_b32 exec_lo, exec_lo, s11
	s_delay_alu instid0(SALU_CYCLE_1)
	s_mov_b32 s11, exec_lo
	v_cmpx_gt_u32_e64 s8, v57
	s_cbranch_execz .LBB1850_376
.LBB1850_325:                           ;   in Loop: Header=BB1850_310 Depth=2
	global_load_u16 v9, v98, s[0:1]
	s_or_b32 exec_lo, exec_lo, s11
	s_delay_alu instid0(SALU_CYCLE_1)
	s_mov_b32 s11, exec_lo
	v_cmpx_gt_u32_e64 s8, v58
	s_cbranch_execnz .LBB1850_377
.LBB1850_326:                           ;   in Loop: Header=BB1850_310 Depth=2
	s_or_b32 exec_lo, exec_lo, s11
	s_delay_alu instid0(SALU_CYCLE_1)
	s_mov_b32 s11, exec_lo
	v_cmpx_gt_u32_e64 s8, v59
	s_cbranch_execz .LBB1850_378
.LBB1850_327:                           ;   in Loop: Header=BB1850_310 Depth=2
	global_load_u16 v7, v100, s[0:1]
	s_or_b32 exec_lo, exec_lo, s11
	s_delay_alu instid0(SALU_CYCLE_1)
	s_mov_b32 s11, exec_lo
	v_cmpx_gt_u32_e64 s8, v60
	s_cbranch_execnz .LBB1850_379
.LBB1850_328:                           ;   in Loop: Header=BB1850_310 Depth=2
	s_or_b32 exec_lo, exec_lo, s11
	s_delay_alu instid0(SALU_CYCLE_1)
	s_mov_b32 s11, exec_lo
	v_cmpx_gt_u32_e64 s8, v61
	s_cbranch_execz .LBB1850_330
.LBB1850_329:                           ;   in Loop: Header=BB1850_310 Depth=2
	global_load_u16 v2, v102, s[0:1]
.LBB1850_330:                           ;   in Loop: Header=BB1850_310 Depth=2
	s_or_b32 exec_lo, exec_lo, s11
	s_delay_alu instid0(SALU_CYCLE_1)
	s_mov_b32 s12, exec_lo
                                        ; implicit-def: $sgpr11
                                        ; implicit-def: $vgpr4_vgpr5
	v_cmpx_gt_u32_e64 s8, v63
; %bb.331:                              ;   in Loop: Header=BB1850_310 Depth=2
	v_add_co_u32 v4, s0, s0, v103
	s_delay_alu instid0(VALU_DEP_1)
	v_add_co_ci_u32_e64 v5, null, s1, 0, s0
	s_sub_i32 s11, s53, s34
	s_or_b32 s10, s10, exec_lo
                                        ; implicit-def: $vgpr20
; %bb.332:                              ;   in Loop: Header=BB1850_310 Depth=2
	s_or_b32 exec_lo, exec_lo, s12
	s_waitcnt vmcnt(0)
	v_dual_mov_b32 v22, v19 :: v_dual_mov_b32 v23, v18
	v_dual_mov_b32 v24, v17 :: v_dual_mov_b32 v25, v16
	;; [unrolled: 1-line block ×8, first 2 shown]
	s_and_saveexec_b32 s0, s10
	s_cbranch_execz .LBB1850_334
.LBB1850_333:                           ;   in Loop: Header=BB1850_310 Depth=2
	global_load_u16 v20, v[4:5], off
	s_waitcnt vmcnt(1)
	v_dual_mov_b32 v21, s11 :: v_dual_mov_b32 v2, v36
	v_dual_mov_b32 v6, v35 :: v_dual_mov_b32 v7, v34
	;; [unrolled: 1-line block ×8, first 2 shown]
.LBB1850_334:                           ;   in Loop: Header=BB1850_310 Depth=2
	s_or_b32 exec_lo, exec_lo, s0
	s_delay_alu instid0(SALU_CYCLE_1)
	s_mov_b32 s0, exec_lo
	v_cmpx_lt_u32_e64 v1, v21
	s_cbranch_execz .LBB1850_350
; %bb.335:                              ;   in Loop: Header=BB1850_310 Depth=2
	v_cmp_lt_i16_e32 vcc_lo, -1, v19
	v_lshlrev_b32_e32 v5, 2, v48
	v_cndmask_b32_e64 v4, -1, 0xffff8000, vcc_lo
	s_delay_alu instid0(VALU_DEP_1) | instskip(NEXT) | instid1(VALU_DEP_1)
	v_xor_b32_e32 v4, v4, v19
	v_cmp_ne_u16_e32 vcc_lo, 0x7fff, v4
	v_cndmask_b32_e32 v4, 0xffff8000, v4, vcc_lo
	s_delay_alu instid0(VALU_DEP_1) | instskip(NEXT) | instid1(VALU_DEP_1)
	v_and_b32_e32 v4, 0xffff, v4
	v_lshrrev_b32_e32 v4, s48, v4
	s_delay_alu instid0(VALU_DEP_1) | instskip(NEXT) | instid1(VALU_DEP_1)
	v_and_b32_e32 v4, s55, v4
	v_lshl_or_b32 v4, v4, 4, v5
	ds_add_u32 v4, v94
	s_or_b32 exec_lo, exec_lo, s0
	s_delay_alu instid0(SALU_CYCLE_1)
	s_mov_b32 s0, exec_lo
	v_cmpx_lt_u32_e64 v45, v21
	s_cbranch_execnz .LBB1850_351
.LBB1850_336:                           ;   in Loop: Header=BB1850_310 Depth=2
	s_or_b32 exec_lo, exec_lo, s0
	s_delay_alu instid0(SALU_CYCLE_1)
	s_mov_b32 s0, exec_lo
	v_cmpx_lt_u32_e64 v46, v21
	s_cbranch_execz .LBB1850_352
.LBB1850_337:                           ;   in Loop: Header=BB1850_310 Depth=2
	v_cmp_lt_i16_e32 vcc_lo, -1, v17
	v_lshlrev_b32_e32 v5, 2, v48
	v_cndmask_b32_e64 v4, -1, 0xffff8000, vcc_lo
	s_delay_alu instid0(VALU_DEP_1) | instskip(NEXT) | instid1(VALU_DEP_1)
	v_xor_b32_e32 v4, v4, v17
	v_cmp_ne_u16_e32 vcc_lo, 0x7fff, v4
	v_cndmask_b32_e32 v4, 0xffff8000, v4, vcc_lo
	s_delay_alu instid0(VALU_DEP_1) | instskip(NEXT) | instid1(VALU_DEP_1)
	v_and_b32_e32 v4, 0xffff, v4
	v_lshrrev_b32_e32 v4, s48, v4
	s_delay_alu instid0(VALU_DEP_1) | instskip(NEXT) | instid1(VALU_DEP_1)
	v_and_b32_e32 v4, s55, v4
	v_lshl_or_b32 v4, v4, 4, v5
	ds_add_u32 v4, v94
	s_or_b32 exec_lo, exec_lo, s0
	s_delay_alu instid0(SALU_CYCLE_1)
	s_mov_b32 s0, exec_lo
	v_cmpx_lt_u32_e64 v47, v21
	s_cbranch_execnz .LBB1850_353
.LBB1850_338:                           ;   in Loop: Header=BB1850_310 Depth=2
	s_or_b32 exec_lo, exec_lo, s0
	s_delay_alu instid0(SALU_CYCLE_1)
	s_mov_b32 s0, exec_lo
	v_cmpx_lt_u32_e64 v51, v21
	s_cbranch_execz .LBB1850_354
.LBB1850_339:                           ;   in Loop: Header=BB1850_310 Depth=2
	v_cmp_lt_i16_e32 vcc_lo, -1, v15
	v_lshlrev_b32_e32 v5, 2, v48
	v_cndmask_b32_e64 v4, -1, 0xffff8000, vcc_lo
	s_delay_alu instid0(VALU_DEP_1) | instskip(NEXT) | instid1(VALU_DEP_1)
	v_xor_b32_e32 v4, v4, v15
	v_cmp_ne_u16_e32 vcc_lo, 0x7fff, v4
	v_cndmask_b32_e32 v4, 0xffff8000, v4, vcc_lo
	s_delay_alu instid0(VALU_DEP_1) | instskip(NEXT) | instid1(VALU_DEP_1)
	v_and_b32_e32 v4, 0xffff, v4
	v_lshrrev_b32_e32 v4, s48, v4
	s_delay_alu instid0(VALU_DEP_1) | instskip(NEXT) | instid1(VALU_DEP_1)
	v_and_b32_e32 v4, s55, v4
	v_lshl_or_b32 v4, v4, 4, v5
	ds_add_u32 v4, v94
	s_or_b32 exec_lo, exec_lo, s0
	s_delay_alu instid0(SALU_CYCLE_1)
	s_mov_b32 s0, exec_lo
	v_cmpx_lt_u32_e64 v52, v21
	s_cbranch_execnz .LBB1850_355
.LBB1850_340:                           ;   in Loop: Header=BB1850_310 Depth=2
	s_or_b32 exec_lo, exec_lo, s0
	s_delay_alu instid0(SALU_CYCLE_1)
	s_mov_b32 s0, exec_lo
	v_cmpx_lt_u32_e64 v53, v21
	s_cbranch_execz .LBB1850_356
.LBB1850_341:                           ;   in Loop: Header=BB1850_310 Depth=2
	v_cmp_lt_i16_e32 vcc_lo, -1, v13
	v_lshlrev_b32_e32 v5, 2, v48
	v_cndmask_b32_e64 v4, -1, 0xffff8000, vcc_lo
	s_delay_alu instid0(VALU_DEP_1) | instskip(NEXT) | instid1(VALU_DEP_1)
	v_xor_b32_e32 v4, v4, v13
	v_cmp_ne_u16_e32 vcc_lo, 0x7fff, v4
	v_cndmask_b32_e32 v4, 0xffff8000, v4, vcc_lo
	s_delay_alu instid0(VALU_DEP_1) | instskip(NEXT) | instid1(VALU_DEP_1)
	v_and_b32_e32 v4, 0xffff, v4
	v_lshrrev_b32_e32 v4, s48, v4
	s_delay_alu instid0(VALU_DEP_1) | instskip(NEXT) | instid1(VALU_DEP_1)
	v_and_b32_e32 v4, s55, v4
	v_lshl_or_b32 v4, v4, 4, v5
	ds_add_u32 v4, v94
	s_or_b32 exec_lo, exec_lo, s0
	s_delay_alu instid0(SALU_CYCLE_1)
	s_mov_b32 s0, exec_lo
	v_cmpx_lt_u32_e64 v54, v21
	s_cbranch_execnz .LBB1850_357
.LBB1850_342:                           ;   in Loop: Header=BB1850_310 Depth=2
	s_or_b32 exec_lo, exec_lo, s0
	s_delay_alu instid0(SALU_CYCLE_1)
	s_mov_b32 s0, exec_lo
	v_cmpx_lt_u32_e64 v55, v21
	s_cbranch_execz .LBB1850_358
.LBB1850_343:                           ;   in Loop: Header=BB1850_310 Depth=2
	v_cmp_lt_i16_e32 vcc_lo, -1, v11
	v_lshlrev_b32_e32 v5, 2, v48
	v_cndmask_b32_e64 v4, -1, 0xffff8000, vcc_lo
	s_delay_alu instid0(VALU_DEP_1) | instskip(NEXT) | instid1(VALU_DEP_1)
	v_xor_b32_e32 v4, v4, v11
	v_cmp_ne_u16_e32 vcc_lo, 0x7fff, v4
	v_cndmask_b32_e32 v4, 0xffff8000, v4, vcc_lo
	s_delay_alu instid0(VALU_DEP_1) | instskip(NEXT) | instid1(VALU_DEP_1)
	v_and_b32_e32 v4, 0xffff, v4
	v_lshrrev_b32_e32 v4, s48, v4
	s_delay_alu instid0(VALU_DEP_1) | instskip(NEXT) | instid1(VALU_DEP_1)
	v_and_b32_e32 v4, s55, v4
	v_lshl_or_b32 v4, v4, 4, v5
	ds_add_u32 v4, v94
	s_or_b32 exec_lo, exec_lo, s0
	s_delay_alu instid0(SALU_CYCLE_1)
	s_mov_b32 s0, exec_lo
	v_cmpx_lt_u32_e64 v56, v21
	s_cbranch_execnz .LBB1850_359
.LBB1850_344:                           ;   in Loop: Header=BB1850_310 Depth=2
	s_or_b32 exec_lo, exec_lo, s0
	s_delay_alu instid0(SALU_CYCLE_1)
	s_mov_b32 s0, exec_lo
	v_cmpx_lt_u32_e64 v57, v21
	s_cbranch_execz .LBB1850_360
.LBB1850_345:                           ;   in Loop: Header=BB1850_310 Depth=2
	v_cmp_lt_i16_e32 vcc_lo, -1, v9
	v_lshlrev_b32_e32 v5, 2, v48
	v_cndmask_b32_e64 v4, -1, 0xffff8000, vcc_lo
	s_delay_alu instid0(VALU_DEP_1) | instskip(NEXT) | instid1(VALU_DEP_1)
	v_xor_b32_e32 v4, v4, v9
	v_cmp_ne_u16_e32 vcc_lo, 0x7fff, v4
	v_cndmask_b32_e32 v4, 0xffff8000, v4, vcc_lo
	s_delay_alu instid0(VALU_DEP_1) | instskip(NEXT) | instid1(VALU_DEP_1)
	v_and_b32_e32 v4, 0xffff, v4
	v_lshrrev_b32_e32 v4, s48, v4
	s_delay_alu instid0(VALU_DEP_1) | instskip(NEXT) | instid1(VALU_DEP_1)
	v_and_b32_e32 v4, s55, v4
	v_lshl_or_b32 v4, v4, 4, v5
	ds_add_u32 v4, v94
	s_or_b32 exec_lo, exec_lo, s0
	s_delay_alu instid0(SALU_CYCLE_1)
	s_mov_b32 s0, exec_lo
	v_cmpx_lt_u32_e64 v58, v21
	s_cbranch_execnz .LBB1850_361
.LBB1850_346:                           ;   in Loop: Header=BB1850_310 Depth=2
	s_or_b32 exec_lo, exec_lo, s0
	s_delay_alu instid0(SALU_CYCLE_1)
	s_mov_b32 s0, exec_lo
	v_cmpx_lt_u32_e64 v59, v21
	s_cbranch_execz .LBB1850_362
.LBB1850_347:                           ;   in Loop: Header=BB1850_310 Depth=2
	v_cmp_lt_i16_e32 vcc_lo, -1, v7
	v_lshlrev_b32_e32 v5, 2, v48
	v_cndmask_b32_e64 v4, -1, 0xffff8000, vcc_lo
	s_delay_alu instid0(VALU_DEP_1) | instskip(NEXT) | instid1(VALU_DEP_1)
	v_xor_b32_e32 v4, v4, v7
	v_cmp_ne_u16_e32 vcc_lo, 0x7fff, v4
	v_cndmask_b32_e32 v4, 0xffff8000, v4, vcc_lo
	s_delay_alu instid0(VALU_DEP_1) | instskip(NEXT) | instid1(VALU_DEP_1)
	v_and_b32_e32 v4, 0xffff, v4
	v_lshrrev_b32_e32 v4, s48, v4
	s_delay_alu instid0(VALU_DEP_1) | instskip(NEXT) | instid1(VALU_DEP_1)
	v_and_b32_e32 v4, s55, v4
	v_lshl_or_b32 v4, v4, 4, v5
	ds_add_u32 v4, v94
	s_or_b32 exec_lo, exec_lo, s0
	s_delay_alu instid0(SALU_CYCLE_1)
	s_mov_b32 s0, exec_lo
	v_cmpx_lt_u32_e64 v60, v21
	s_cbranch_execnz .LBB1850_363
.LBB1850_348:                           ;   in Loop: Header=BB1850_310 Depth=2
	s_or_b32 exec_lo, exec_lo, s0
	s_delay_alu instid0(SALU_CYCLE_1)
	s_mov_b32 s0, exec_lo
	v_cmpx_lt_u32_e64 v61, v21
	s_cbranch_execz .LBB1850_364
.LBB1850_349:                           ;   in Loop: Header=BB1850_310 Depth=2
	v_cmp_lt_i16_e32 vcc_lo, -1, v2
	v_lshlrev_b32_e32 v5, 2, v48
	v_cndmask_b32_e64 v4, -1, 0xffff8000, vcc_lo
	s_delay_alu instid0(VALU_DEP_1) | instskip(NEXT) | instid1(VALU_DEP_1)
	v_xor_b32_e32 v4, v4, v2
	v_cmp_ne_u16_e32 vcc_lo, 0x7fff, v4
	v_cndmask_b32_e32 v4, 0xffff8000, v4, vcc_lo
	s_delay_alu instid0(VALU_DEP_1) | instskip(NEXT) | instid1(VALU_DEP_1)
	v_and_b32_e32 v4, 0xffff, v4
	v_lshrrev_b32_e32 v4, s48, v4
	s_delay_alu instid0(VALU_DEP_1) | instskip(NEXT) | instid1(VALU_DEP_1)
	v_and_b32_e32 v4, s55, v4
	v_lshl_or_b32 v4, v4, 4, v5
	ds_add_u32 v4, v94
	s_or_b32 exec_lo, exec_lo, s0
	s_delay_alu instid0(SALU_CYCLE_1)
	s_mov_b32 s0, exec_lo
	v_cmpx_lt_u32_e64 v63, v21
	s_cbranch_execz .LBB1850_309
	s_branch .LBB1850_365
.LBB1850_350:                           ;   in Loop: Header=BB1850_310 Depth=2
	s_or_b32 exec_lo, exec_lo, s0
	s_delay_alu instid0(SALU_CYCLE_1)
	s_mov_b32 s0, exec_lo
	v_cmpx_lt_u32_e64 v45, v21
	s_cbranch_execz .LBB1850_336
.LBB1850_351:                           ;   in Loop: Header=BB1850_310 Depth=2
	v_cmp_lt_i16_e32 vcc_lo, -1, v18
	v_lshlrev_b32_e32 v5, 2, v48
	v_cndmask_b32_e64 v4, -1, 0xffff8000, vcc_lo
	s_delay_alu instid0(VALU_DEP_1) | instskip(NEXT) | instid1(VALU_DEP_1)
	v_xor_b32_e32 v4, v4, v18
	v_cmp_ne_u16_e32 vcc_lo, 0x7fff, v4
	v_cndmask_b32_e32 v4, 0xffff8000, v4, vcc_lo
	s_delay_alu instid0(VALU_DEP_1) | instskip(NEXT) | instid1(VALU_DEP_1)
	v_and_b32_e32 v4, 0xffff, v4
	v_lshrrev_b32_e32 v4, s48, v4
	s_delay_alu instid0(VALU_DEP_1) | instskip(NEXT) | instid1(VALU_DEP_1)
	v_and_b32_e32 v4, s55, v4
	v_lshl_or_b32 v4, v4, 4, v5
	ds_add_u32 v4, v94
	s_or_b32 exec_lo, exec_lo, s0
	s_delay_alu instid0(SALU_CYCLE_1)
	s_mov_b32 s0, exec_lo
	v_cmpx_lt_u32_e64 v46, v21
	s_cbranch_execnz .LBB1850_337
.LBB1850_352:                           ;   in Loop: Header=BB1850_310 Depth=2
	s_or_b32 exec_lo, exec_lo, s0
	s_delay_alu instid0(SALU_CYCLE_1)
	s_mov_b32 s0, exec_lo
	v_cmpx_lt_u32_e64 v47, v21
	s_cbranch_execz .LBB1850_338
.LBB1850_353:                           ;   in Loop: Header=BB1850_310 Depth=2
	v_cmp_lt_i16_e32 vcc_lo, -1, v16
	v_lshlrev_b32_e32 v5, 2, v48
	v_cndmask_b32_e64 v4, -1, 0xffff8000, vcc_lo
	s_delay_alu instid0(VALU_DEP_1) | instskip(NEXT) | instid1(VALU_DEP_1)
	v_xor_b32_e32 v4, v4, v16
	v_cmp_ne_u16_e32 vcc_lo, 0x7fff, v4
	v_cndmask_b32_e32 v4, 0xffff8000, v4, vcc_lo
	s_delay_alu instid0(VALU_DEP_1) | instskip(NEXT) | instid1(VALU_DEP_1)
	v_and_b32_e32 v4, 0xffff, v4
	v_lshrrev_b32_e32 v4, s48, v4
	s_delay_alu instid0(VALU_DEP_1) | instskip(NEXT) | instid1(VALU_DEP_1)
	v_and_b32_e32 v4, s55, v4
	v_lshl_or_b32 v4, v4, 4, v5
	ds_add_u32 v4, v94
	s_or_b32 exec_lo, exec_lo, s0
	s_delay_alu instid0(SALU_CYCLE_1)
	s_mov_b32 s0, exec_lo
	v_cmpx_lt_u32_e64 v51, v21
	s_cbranch_execnz .LBB1850_339
.LBB1850_354:                           ;   in Loop: Header=BB1850_310 Depth=2
	s_or_b32 exec_lo, exec_lo, s0
	s_delay_alu instid0(SALU_CYCLE_1)
	s_mov_b32 s0, exec_lo
	v_cmpx_lt_u32_e64 v52, v21
	s_cbranch_execz .LBB1850_340
.LBB1850_355:                           ;   in Loop: Header=BB1850_310 Depth=2
	v_cmp_lt_i16_e32 vcc_lo, -1, v14
	v_lshlrev_b32_e32 v5, 2, v48
	v_cndmask_b32_e64 v4, -1, 0xffff8000, vcc_lo
	s_delay_alu instid0(VALU_DEP_1) | instskip(NEXT) | instid1(VALU_DEP_1)
	v_xor_b32_e32 v4, v4, v14
	v_cmp_ne_u16_e32 vcc_lo, 0x7fff, v4
	v_cndmask_b32_e32 v4, 0xffff8000, v4, vcc_lo
	s_delay_alu instid0(VALU_DEP_1) | instskip(NEXT) | instid1(VALU_DEP_1)
	v_and_b32_e32 v4, 0xffff, v4
	v_lshrrev_b32_e32 v4, s48, v4
	s_delay_alu instid0(VALU_DEP_1) | instskip(NEXT) | instid1(VALU_DEP_1)
	v_and_b32_e32 v4, s55, v4
	v_lshl_or_b32 v4, v4, 4, v5
	ds_add_u32 v4, v94
	s_or_b32 exec_lo, exec_lo, s0
	s_delay_alu instid0(SALU_CYCLE_1)
	s_mov_b32 s0, exec_lo
	v_cmpx_lt_u32_e64 v53, v21
	s_cbranch_execnz .LBB1850_341
.LBB1850_356:                           ;   in Loop: Header=BB1850_310 Depth=2
	s_or_b32 exec_lo, exec_lo, s0
	s_delay_alu instid0(SALU_CYCLE_1)
	s_mov_b32 s0, exec_lo
	v_cmpx_lt_u32_e64 v54, v21
	s_cbranch_execz .LBB1850_342
.LBB1850_357:                           ;   in Loop: Header=BB1850_310 Depth=2
	v_cmp_lt_i16_e32 vcc_lo, -1, v12
	v_lshlrev_b32_e32 v5, 2, v48
	v_cndmask_b32_e64 v4, -1, 0xffff8000, vcc_lo
	s_delay_alu instid0(VALU_DEP_1) | instskip(NEXT) | instid1(VALU_DEP_1)
	v_xor_b32_e32 v4, v4, v12
	v_cmp_ne_u16_e32 vcc_lo, 0x7fff, v4
	v_cndmask_b32_e32 v4, 0xffff8000, v4, vcc_lo
	s_delay_alu instid0(VALU_DEP_1) | instskip(NEXT) | instid1(VALU_DEP_1)
	v_and_b32_e32 v4, 0xffff, v4
	v_lshrrev_b32_e32 v4, s48, v4
	s_delay_alu instid0(VALU_DEP_1) | instskip(NEXT) | instid1(VALU_DEP_1)
	v_and_b32_e32 v4, s55, v4
	v_lshl_or_b32 v4, v4, 4, v5
	ds_add_u32 v4, v94
	s_or_b32 exec_lo, exec_lo, s0
	s_delay_alu instid0(SALU_CYCLE_1)
	s_mov_b32 s0, exec_lo
	v_cmpx_lt_u32_e64 v55, v21
	s_cbranch_execnz .LBB1850_343
.LBB1850_358:                           ;   in Loop: Header=BB1850_310 Depth=2
	s_or_b32 exec_lo, exec_lo, s0
	s_delay_alu instid0(SALU_CYCLE_1)
	s_mov_b32 s0, exec_lo
	v_cmpx_lt_u32_e64 v56, v21
	s_cbranch_execz .LBB1850_344
.LBB1850_359:                           ;   in Loop: Header=BB1850_310 Depth=2
	v_cmp_lt_i16_e32 vcc_lo, -1, v10
	v_lshlrev_b32_e32 v5, 2, v48
	v_cndmask_b32_e64 v4, -1, 0xffff8000, vcc_lo
	s_delay_alu instid0(VALU_DEP_1) | instskip(NEXT) | instid1(VALU_DEP_1)
	v_xor_b32_e32 v4, v4, v10
	v_cmp_ne_u16_e32 vcc_lo, 0x7fff, v4
	v_cndmask_b32_e32 v4, 0xffff8000, v4, vcc_lo
	s_delay_alu instid0(VALU_DEP_1) | instskip(NEXT) | instid1(VALU_DEP_1)
	v_and_b32_e32 v4, 0xffff, v4
	v_lshrrev_b32_e32 v4, s48, v4
	s_delay_alu instid0(VALU_DEP_1) | instskip(NEXT) | instid1(VALU_DEP_1)
	v_and_b32_e32 v4, s55, v4
	v_lshl_or_b32 v4, v4, 4, v5
	ds_add_u32 v4, v94
	s_or_b32 exec_lo, exec_lo, s0
	s_delay_alu instid0(SALU_CYCLE_1)
	s_mov_b32 s0, exec_lo
	v_cmpx_lt_u32_e64 v57, v21
	s_cbranch_execnz .LBB1850_345
.LBB1850_360:                           ;   in Loop: Header=BB1850_310 Depth=2
	s_or_b32 exec_lo, exec_lo, s0
	s_delay_alu instid0(SALU_CYCLE_1)
	s_mov_b32 s0, exec_lo
	v_cmpx_lt_u32_e64 v58, v21
	s_cbranch_execz .LBB1850_346
.LBB1850_361:                           ;   in Loop: Header=BB1850_310 Depth=2
	v_cmp_lt_i16_e32 vcc_lo, -1, v8
	v_lshlrev_b32_e32 v5, 2, v48
	v_cndmask_b32_e64 v4, -1, 0xffff8000, vcc_lo
	s_delay_alu instid0(VALU_DEP_1) | instskip(NEXT) | instid1(VALU_DEP_1)
	v_xor_b32_e32 v4, v4, v8
	v_cmp_ne_u16_e32 vcc_lo, 0x7fff, v4
	v_cndmask_b32_e32 v4, 0xffff8000, v4, vcc_lo
	s_delay_alu instid0(VALU_DEP_1) | instskip(NEXT) | instid1(VALU_DEP_1)
	v_and_b32_e32 v4, 0xffff, v4
	v_lshrrev_b32_e32 v4, s48, v4
	s_delay_alu instid0(VALU_DEP_1) | instskip(NEXT) | instid1(VALU_DEP_1)
	v_and_b32_e32 v4, s55, v4
	v_lshl_or_b32 v4, v4, 4, v5
	ds_add_u32 v4, v94
	s_or_b32 exec_lo, exec_lo, s0
	s_delay_alu instid0(SALU_CYCLE_1)
	s_mov_b32 s0, exec_lo
	v_cmpx_lt_u32_e64 v59, v21
	s_cbranch_execnz .LBB1850_347
.LBB1850_362:                           ;   in Loop: Header=BB1850_310 Depth=2
	s_or_b32 exec_lo, exec_lo, s0
	s_delay_alu instid0(SALU_CYCLE_1)
	s_mov_b32 s0, exec_lo
	v_cmpx_lt_u32_e64 v60, v21
	s_cbranch_execz .LBB1850_348
.LBB1850_363:                           ;   in Loop: Header=BB1850_310 Depth=2
	v_cmp_lt_i16_e32 vcc_lo, -1, v6
	v_lshlrev_b32_e32 v5, 2, v48
	v_cndmask_b32_e64 v4, -1, 0xffff8000, vcc_lo
	s_delay_alu instid0(VALU_DEP_1) | instskip(NEXT) | instid1(VALU_DEP_1)
	v_xor_b32_e32 v4, v4, v6
	v_cmp_ne_u16_e32 vcc_lo, 0x7fff, v4
	v_cndmask_b32_e32 v4, 0xffff8000, v4, vcc_lo
	s_delay_alu instid0(VALU_DEP_1) | instskip(NEXT) | instid1(VALU_DEP_1)
	v_and_b32_e32 v4, 0xffff, v4
	v_lshrrev_b32_e32 v4, s48, v4
	s_delay_alu instid0(VALU_DEP_1) | instskip(NEXT) | instid1(VALU_DEP_1)
	v_and_b32_e32 v4, s55, v4
	v_lshl_or_b32 v4, v4, 4, v5
	ds_add_u32 v4, v94
	s_or_b32 exec_lo, exec_lo, s0
	s_delay_alu instid0(SALU_CYCLE_1)
	s_mov_b32 s0, exec_lo
	v_cmpx_lt_u32_e64 v61, v21
	s_cbranch_execnz .LBB1850_349
.LBB1850_364:                           ;   in Loop: Header=BB1850_310 Depth=2
	s_or_b32 exec_lo, exec_lo, s0
	s_delay_alu instid0(SALU_CYCLE_1)
	s_mov_b32 s0, exec_lo
	v_cmpx_lt_u32_e64 v63, v21
	s_cbranch_execz .LBB1850_309
.LBB1850_365:                           ;   in Loop: Header=BB1850_310 Depth=2
	s_waitcnt vmcnt(0)
	v_cmp_lt_i16_e32 vcc_lo, -1, v20
	v_lshlrev_b32_e32 v5, 2, v48
	v_cndmask_b32_e64 v4, -1, 0xffff8000, vcc_lo
	s_delay_alu instid0(VALU_DEP_1) | instskip(NEXT) | instid1(VALU_DEP_1)
	v_xor_b32_e32 v4, v4, v20
	v_cmp_ne_u16_e32 vcc_lo, 0x7fff, v4
	v_cndmask_b32_e32 v4, 0xffff8000, v4, vcc_lo
	s_delay_alu instid0(VALU_DEP_1) | instskip(NEXT) | instid1(VALU_DEP_1)
	v_and_b32_e32 v4, 0xffff, v4
	v_lshrrev_b32_e32 v4, s48, v4
	s_delay_alu instid0(VALU_DEP_1) | instskip(NEXT) | instid1(VALU_DEP_1)
	v_and_b32_e32 v4, s55, v4
	v_lshl_or_b32 v4, v4, 4, v5
	ds_add_u32 v4, v94
	s_branch .LBB1850_309
.LBB1850_366:                           ;   in Loop: Header=BB1850_310 Depth=2
	s_or_b32 exec_lo, exec_lo, s11
	s_delay_alu instid0(SALU_CYCLE_1)
	s_mov_b32 s11, exec_lo
	v_cmpx_gt_u32_e64 s8, v45
	s_cbranch_execz .LBB1850_316
.LBB1850_367:                           ;   in Loop: Header=BB1850_310 Depth=2
	global_load_u16 v18, v95, s[0:1] offset:512
	s_or_b32 exec_lo, exec_lo, s11
	s_delay_alu instid0(SALU_CYCLE_1)
	s_mov_b32 s11, exec_lo
	v_cmpx_gt_u32_e64 s8, v46
	s_cbranch_execnz .LBB1850_317
.LBB1850_368:                           ;   in Loop: Header=BB1850_310 Depth=2
	s_or_b32 exec_lo, exec_lo, s11
	s_delay_alu instid0(SALU_CYCLE_1)
	s_mov_b32 s11, exec_lo
	v_cmpx_gt_u32_e64 s8, v47
	s_cbranch_execz .LBB1850_318
.LBB1850_369:                           ;   in Loop: Header=BB1850_310 Depth=2
	global_load_u16 v16, v95, s[0:1] offset:1536
	s_or_b32 exec_lo, exec_lo, s11
	s_delay_alu instid0(SALU_CYCLE_1)
	s_mov_b32 s11, exec_lo
	v_cmpx_gt_u32_e64 s8, v51
	s_cbranch_execnz .LBB1850_319
.LBB1850_370:                           ;   in Loop: Header=BB1850_310 Depth=2
	s_or_b32 exec_lo, exec_lo, s11
	s_delay_alu instid0(SALU_CYCLE_1)
	s_mov_b32 s11, exec_lo
	v_cmpx_gt_u32_e64 s8, v52
	s_cbranch_execz .LBB1850_320
.LBB1850_371:                           ;   in Loop: Header=BB1850_310 Depth=2
	global_load_u16 v14, v95, s[0:1] offset:2560
	s_or_b32 exec_lo, exec_lo, s11
	s_delay_alu instid0(SALU_CYCLE_1)
	s_mov_b32 s11, exec_lo
	v_cmpx_gt_u32_e64 s8, v53
	s_cbranch_execnz .LBB1850_321
.LBB1850_372:                           ;   in Loop: Header=BB1850_310 Depth=2
	s_or_b32 exec_lo, exec_lo, s11
	s_delay_alu instid0(SALU_CYCLE_1)
	s_mov_b32 s11, exec_lo
	v_cmpx_gt_u32_e64 s8, v54
	s_cbranch_execz .LBB1850_322
.LBB1850_373:                           ;   in Loop: Header=BB1850_310 Depth=2
	global_load_u16 v12, v95, s[0:1] offset:3584
	s_or_b32 exec_lo, exec_lo, s11
	s_delay_alu instid0(SALU_CYCLE_1)
	s_mov_b32 s11, exec_lo
	v_cmpx_gt_u32_e64 s8, v55
	s_cbranch_execnz .LBB1850_323
.LBB1850_374:                           ;   in Loop: Header=BB1850_310 Depth=2
	s_or_b32 exec_lo, exec_lo, s11
	s_delay_alu instid0(SALU_CYCLE_1)
	s_mov_b32 s11, exec_lo
	v_cmpx_gt_u32_e64 s8, v56
	s_cbranch_execz .LBB1850_324
.LBB1850_375:                           ;   in Loop: Header=BB1850_310 Depth=2
	global_load_u16 v10, v97, s[0:1]
	s_or_b32 exec_lo, exec_lo, s11
	s_delay_alu instid0(SALU_CYCLE_1)
	s_mov_b32 s11, exec_lo
	v_cmpx_gt_u32_e64 s8, v57
	s_cbranch_execnz .LBB1850_325
.LBB1850_376:                           ;   in Loop: Header=BB1850_310 Depth=2
	s_or_b32 exec_lo, exec_lo, s11
	s_delay_alu instid0(SALU_CYCLE_1)
	s_mov_b32 s11, exec_lo
	v_cmpx_gt_u32_e64 s8, v58
	s_cbranch_execz .LBB1850_326
.LBB1850_377:                           ;   in Loop: Header=BB1850_310 Depth=2
	global_load_u16 v8, v99, s[0:1]
	s_or_b32 exec_lo, exec_lo, s11
	s_delay_alu instid0(SALU_CYCLE_1)
	s_mov_b32 s11, exec_lo
	v_cmpx_gt_u32_e64 s8, v59
	s_cbranch_execnz .LBB1850_327
.LBB1850_378:                           ;   in Loop: Header=BB1850_310 Depth=2
	s_or_b32 exec_lo, exec_lo, s11
	s_delay_alu instid0(SALU_CYCLE_1)
	s_mov_b32 s11, exec_lo
	v_cmpx_gt_u32_e64 s8, v60
	s_cbranch_execz .LBB1850_328
.LBB1850_379:                           ;   in Loop: Header=BB1850_310 Depth=2
	global_load_u16 v6, v101, s[0:1]
	s_or_b32 exec_lo, exec_lo, s11
	s_delay_alu instid0(SALU_CYCLE_1)
	s_mov_b32 s11, exec_lo
	v_cmpx_gt_u32_e64 s8, v61
	s_cbranch_execz .LBB1850_330
	s_branch .LBB1850_329
.LBB1850_380:                           ;   in Loop: Header=BB1850_12 Depth=1
	v_mov_b32_e32 v2, 0
	s_waitcnt vmcnt(0) lgkmcnt(0)
	s_barrier
	buffer_gl0_inv
	s_and_saveexec_b32 s0, s2
	s_cbranch_execz .LBB1850_382
; %bb.381:                              ;   in Loop: Header=BB1850_12 Depth=1
	ds_load_2addr_b64 v[4:7], v64 offset1:1
	s_waitcnt lgkmcnt(0)
	v_add_nc_u32_e32 v2, v5, v4
	s_delay_alu instid0(VALU_DEP_1)
	v_add3_u32 v2, v2, v6, v7
.LBB1850_382:                           ;   in Loop: Header=BB1850_12 Depth=1
	s_or_b32 exec_lo, exec_lo, s0
	v_and_b32_e32 v4, 15, v104
	s_delay_alu instid0(VALU_DEP_2) | instskip(SKIP_1) | instid1(VALU_DEP_3)
	v_mov_b32_dpp v5, v2 row_shr:1 row_mask:0xf bank_mask:0xf
	v_and_b32_e32 v6, 16, v104
	v_cmp_eq_u32_e64 s0, 0, v4
	v_cmp_lt_u32_e64 s1, 1, v4
	v_cmp_lt_u32_e64 s8, 3, v4
	;; [unrolled: 1-line block ×3, first 2 shown]
	v_cmp_eq_u32_e64 s10, 0, v6
	v_cndmask_b32_e64 v5, v5, 0, s0
	s_delay_alu instid0(VALU_DEP_1) | instskip(NEXT) | instid1(VALU_DEP_1)
	v_add_nc_u32_e32 v2, v5, v2
	v_mov_b32_dpp v5, v2 row_shr:2 row_mask:0xf bank_mask:0xf
	s_delay_alu instid0(VALU_DEP_1) | instskip(NEXT) | instid1(VALU_DEP_1)
	v_cndmask_b32_e64 v5, 0, v5, s1
	v_add_nc_u32_e32 v2, v2, v5
	s_delay_alu instid0(VALU_DEP_1) | instskip(NEXT) | instid1(VALU_DEP_1)
	v_mov_b32_dpp v5, v2 row_shr:4 row_mask:0xf bank_mask:0xf
	v_cndmask_b32_e64 v5, 0, v5, s8
	s_delay_alu instid0(VALU_DEP_1) | instskip(NEXT) | instid1(VALU_DEP_1)
	v_add_nc_u32_e32 v2, v2, v5
	v_mov_b32_dpp v5, v2 row_shr:8 row_mask:0xf bank_mask:0xf
	s_delay_alu instid0(VALU_DEP_1) | instskip(SKIP_1) | instid1(VALU_DEP_2)
	v_cndmask_b32_e64 v4, 0, v5, s9
	v_bfe_i32 v5, v104, 4, 1
	v_add_nc_u32_e32 v2, v2, v4
	ds_swizzle_b32 v4, v2 offset:swizzle(BROADCAST,32,15)
	s_waitcnt lgkmcnt(0)
	v_and_b32_e32 v4, v5, v4
	s_delay_alu instid0(VALU_DEP_1)
	v_add_nc_u32_e32 v4, v2, v4
	s_and_saveexec_b32 s11, s3
	s_cbranch_execz .LBB1850_384
; %bb.383:                              ;   in Loop: Header=BB1850_12 Depth=1
	ds_store_b32 v65, v4
.LBB1850_384:                           ;   in Loop: Header=BB1850_12 Depth=1
	s_or_b32 exec_lo, exec_lo, s11
	v_and_b32_e32 v2, 7, v104
	s_waitcnt lgkmcnt(0)
	s_barrier
	buffer_gl0_inv
	s_and_saveexec_b32 s11, s4
	s_cbranch_execz .LBB1850_386
; %bb.385:                              ;   in Loop: Header=BB1850_12 Depth=1
	ds_load_b32 v5, v66
	v_cmp_ne_u32_e32 vcc_lo, 0, v2
	s_waitcnt lgkmcnt(0)
	v_mov_b32_dpp v6, v5 row_shr:1 row_mask:0xf bank_mask:0xf
	s_delay_alu instid0(VALU_DEP_1) | instskip(SKIP_1) | instid1(VALU_DEP_2)
	v_cndmask_b32_e32 v6, 0, v6, vcc_lo
	v_cmp_lt_u32_e32 vcc_lo, 1, v2
	v_add_nc_u32_e32 v5, v6, v5
	s_delay_alu instid0(VALU_DEP_1) | instskip(NEXT) | instid1(VALU_DEP_1)
	v_mov_b32_dpp v6, v5 row_shr:2 row_mask:0xf bank_mask:0xf
	v_cndmask_b32_e32 v6, 0, v6, vcc_lo
	v_cmp_lt_u32_e32 vcc_lo, 3, v2
	s_delay_alu instid0(VALU_DEP_2) | instskip(NEXT) | instid1(VALU_DEP_1)
	v_add_nc_u32_e32 v5, v5, v6
	v_mov_b32_dpp v6, v5 row_shr:4 row_mask:0xf bank_mask:0xf
	s_delay_alu instid0(VALU_DEP_1) | instskip(NEXT) | instid1(VALU_DEP_1)
	v_cndmask_b32_e32 v6, 0, v6, vcc_lo
	v_add_nc_u32_e32 v5, v5, v6
	ds_store_b32 v66, v5
.LBB1850_386:                           ;   in Loop: Header=BB1850_12 Depth=1
	s_or_b32 exec_lo, exec_lo, s11
	v_mov_b32_e32 v5, 0
	s_waitcnt lgkmcnt(0)
	s_barrier
	buffer_gl0_inv
	s_and_saveexec_b32 s11, s5
	s_cbranch_execz .LBB1850_388
; %bb.387:                              ;   in Loop: Header=BB1850_12 Depth=1
	ds_load_b32 v5, v67
.LBB1850_388:                           ;   in Loop: Header=BB1850_12 Depth=1
	s_or_b32 exec_lo, exec_lo, s11
	v_add_nc_u32_e32 v6, -1, v104
	s_waitcnt lgkmcnt(0)
	v_add_nc_u32_e32 v4, v5, v4
	v_cmp_eq_u32_e64 s11, 0, v104
	s_barrier
	v_cmp_gt_i32_e32 vcc_lo, 0, v6
	buffer_gl0_inv
	v_cndmask_b32_e32 v6, v6, v104, vcc_lo
	s_delay_alu instid0(VALU_DEP_1)
	v_lshlrev_b32_e32 v105, 2, v6
	ds_bpermute_b32 v4, v105, v4
	s_and_saveexec_b32 s12, s2
	s_cbranch_execz .LBB1850_390
; %bb.389:                              ;   in Loop: Header=BB1850_12 Depth=1
	s_waitcnt lgkmcnt(0)
	v_cndmask_b32_e64 v4, v4, v5, s11
	s_delay_alu instid0(VALU_DEP_1)
	v_add_nc_u32_e32 v4, s52, v4
	ds_store_b32 v44, v4
.LBB1850_390:                           ;   in Loop: Header=BB1850_12 Depth=1
	s_or_b32 exec_lo, exec_lo, s12
	s_load_b64 s[12:13], s[42:43], 0x0
	v_lshlrev_b32_e32 v5, 3, v104
	v_cmp_lt_u32_e64 s14, 3, v2
	v_or_b32_e32 v106, v104, v68
	s_mov_b32 s56, s54
	s_mov_b32 s34, s52
	v_add_co_u32 v107, vcc_lo, v84, v5
	v_add_co_ci_u32_e32 v108, vcc_lo, 0, v85, vcc_lo
	v_or_b32_e32 v109, 32, v106
	v_or_b32_e32 v110, 64, v106
	;; [unrolled: 1-line block ×10, first 2 shown]
	s_waitcnt lgkmcnt(0)
	s_cmp_lt_u32 s15, s13
	v_or_b32_e32 v119, 0x160, v106
	s_cselect_b32 s13, 14, 20
	v_or_b32_e32 v120, 0x180, v106
	s_add_u32 s16, s42, s13
	s_addc_u32 s17, s43, 0
	s_cmp_lt_u32 s26, s12
	global_load_u16 v4, v3, s[16:17]
	s_cselect_b32 s12, 12, 18
	v_or_b32_e32 v121, 0x1a0, v106
	s_add_u32 s12, s42, s12
	s_addc_u32 s13, s43, 0
	v_or_b32_e32 v122, 0x1c0, v106
	global_load_u16 v6, v3, s[12:13]
	v_cmp_eq_u32_e64 s12, 0, v2
	v_cmp_lt_u32_e64 s13, 1, v2
	v_lshlrev_b32_e32 v2, 1, v104
	v_or_b32_e32 v123, 0x1e0, v106
                                        ; implicit-def: $vgpr8_vgpr9
                                        ; implicit-def: $vgpr10_vgpr11
                                        ; implicit-def: $vgpr12_vgpr13
                                        ; implicit-def: $vgpr14_vgpr15
                                        ; implicit-def: $vgpr16_vgpr17
                                        ; implicit-def: $vgpr18_vgpr19
                                        ; implicit-def: $vgpr20_vgpr21
                                        ; implicit-def: $vgpr22_vgpr23
                                        ; implicit-def: $vgpr24_vgpr25
                                        ; implicit-def: $vgpr26_vgpr27
                                        ; implicit-def: $vgpr28_vgpr29
                                        ; implicit-def: $vgpr30_vgpr31
                                        ; implicit-def: $vgpr32_vgpr33
                                        ; implicit-def: $vgpr34_vgpr35
                                        ; implicit-def: $vgpr129
                                        ; implicit-def: $vgpr130
                                        ; implicit-def: $vgpr131
                                        ; implicit-def: $vgpr132
                                        ; implicit-def: $vgpr133
                                        ; implicit-def: $vgpr134
                                        ; implicit-def: $vgpr135
                                        ; implicit-def: $vgpr136
                                        ; implicit-def: $vgpr137
                                        ; implicit-def: $vgpr138
                                        ; implicit-def: $vgpr139
                                        ; implicit-def: $vgpr140
                                        ; implicit-def: $vgpr141
                                        ; implicit-def: $vgpr142
                                        ; implicit-def: $vgpr143
                                        ; implicit-def: $vgpr144
	s_delay_alu instid0(VALU_DEP_2) | instskip(SKIP_1) | instid1(VALU_DEP_2)
	v_add_co_u32 v124, vcc_lo, v86, v2
	v_add_co_ci_u32_e32 v125, vcc_lo, 0, v87, vcc_lo
	v_add_co_u32 v127, vcc_lo, 0x3c0, v124
	s_delay_alu instid0(VALU_DEP_2) | instskip(SKIP_3) | instid1(VALU_DEP_1)
	v_add_co_ci_u32_e32 v128, vcc_lo, 0, v125, vcc_lo
	s_waitcnt vmcnt(1)
	v_mad_u32_u24 v7, v70, v4, v0
	s_waitcnt vmcnt(0)
	v_mad_u64_u32 v[4:5], null, v7, v6, v[1:2]
                                        ; implicit-def: $vgpr6_vgpr7
	s_delay_alu instid0(VALU_DEP_1)
	v_lshrrev_b32_e32 v126, 5, v4
                                        ; implicit-def: $vgpr4_vgpr5
	s_branch .LBB1850_392
.LBB1850_391:                           ;   in Loop: Header=BB1850_392 Depth=2
	s_or_b32 exec_lo, exec_lo, s16
	s_addk_i32 s56, 0xf000
	s_cmp_lt_u32 s57, s53
	s_mov_b32 s34, s57
	s_cbranch_scc0 .LBB1850_600
.LBB1850_392:                           ;   Parent Loop BB1850_12 Depth=1
                                        ; =>  This Inner Loop Header: Depth=2
	s_add_i32 s57, s34, 0x1000
	s_delay_alu instid0(SALU_CYCLE_1)
	s_cmp_gt_u32 s57, s53
	s_cbranch_scc1 .LBB1850_395
; %bb.393:                              ;   in Loop: Header=BB1850_392 Depth=2
	s_mov_b32 s17, 0
	s_mov_b32 s16, s34
	s_delay_alu instid0(SALU_CYCLE_1) | instskip(NEXT) | instid1(SALU_CYCLE_1)
	s_lshl_b64 s[18:19], s[16:17], 1
	v_add_co_u32 v36, vcc_lo, v124, s18
	v_add_co_ci_u32_e32 v37, vcc_lo, s19, v125, vcc_lo
	s_mov_b32 s19, -1
	s_movk_i32 s18, 0x1000
	s_clause 0xe
	global_load_u16 v2, v[36:37], off
	global_load_u16 v146, v[36:37], off offset:64
	global_load_u16 v149, v[36:37], off offset:128
	;; [unrolled: 1-line block ×14, first 2 shown]
	s_cbranch_execz .LBB1850_396
; %bb.394:                              ;   in Loop: Header=BB1850_392 Depth=2
                                        ; implicit-def: $sgpr20
	v_dual_mov_b32 v36, s20 :: v_dual_mov_b32 v145, s56
	s_and_saveexec_b32 s20, s19
	s_cbranch_execnz .LBB1850_427
	s_branch .LBB1850_428
.LBB1850_395:                           ;   in Loop: Header=BB1850_392 Depth=2
	s_mov_b32 s17, -1
	s_mov_b32 s19, 0
                                        ; implicit-def: $sgpr18
                                        ; implicit-def: $vgpr2
                                        ; implicit-def: $vgpr146
                                        ; implicit-def: $vgpr149
                                        ; implicit-def: $vgpr153
                                        ; implicit-def: $vgpr157
                                        ; implicit-def: $vgpr161
                                        ; implicit-def: $vgpr165
                                        ; implicit-def: $vgpr170
                                        ; implicit-def: $vgpr169
                                        ; implicit-def: $vgpr43
                                        ; implicit-def: $vgpr42
                                        ; implicit-def: $vgpr41
                                        ; implicit-def: $vgpr40
                                        ; implicit-def: $vgpr39
                                        ; implicit-def: $vgpr38
.LBB1850_396:                           ;   in Loop: Header=BB1850_392 Depth=2
	s_lshl_b64 s[16:17], s[34:35], 1
	s_waitcnt vmcnt(13)
	v_mov_b32_e32 v146, 0x7fff
	v_add_co_u32 v36, vcc_lo, v124, s16
	v_add_co_ci_u32_e32 v37, vcc_lo, s17, v125, vcc_lo
	v_mov_b32_e32 v2, 0x7fff
	s_mov_b32 s16, exec_lo
	v_cmpx_gt_u32_e64 s56, v106
	s_cbranch_execz .LBB1850_398
; %bb.397:                              ;   in Loop: Header=BB1850_392 Depth=2
	global_load_u16 v2, v[36:37], off
.LBB1850_398:                           ;   in Loop: Header=BB1850_392 Depth=2
	s_or_b32 exec_lo, exec_lo, s16
	s_delay_alu instid0(SALU_CYCLE_1)
	s_mov_b32 s16, exec_lo
	v_cmpx_gt_u32_e64 s56, v109
	s_cbranch_execz .LBB1850_400
; %bb.399:                              ;   in Loop: Header=BB1850_392 Depth=2
	global_load_u16 v146, v[36:37], off offset:64
.LBB1850_400:                           ;   in Loop: Header=BB1850_392 Depth=2
	s_or_b32 exec_lo, exec_lo, s16
	s_waitcnt vmcnt(11)
	v_mov_b32_e32 v153, 0x7fff
	v_mov_b32_e32 v149, 0x7fff
	s_mov_b32 s16, exec_lo
	v_cmpx_gt_u32_e64 s56, v110
	s_cbranch_execz .LBB1850_402
; %bb.401:                              ;   in Loop: Header=BB1850_392 Depth=2
	global_load_u16 v149, v[36:37], off offset:128
.LBB1850_402:                           ;   in Loop: Header=BB1850_392 Depth=2
	s_or_b32 exec_lo, exec_lo, s16
	s_delay_alu instid0(SALU_CYCLE_1)
	s_mov_b32 s16, exec_lo
	v_cmpx_gt_u32_e64 s56, v111
	s_cbranch_execz .LBB1850_404
; %bb.403:                              ;   in Loop: Header=BB1850_392 Depth=2
	global_load_u16 v153, v[36:37], off offset:192
.LBB1850_404:                           ;   in Loop: Header=BB1850_392 Depth=2
	s_or_b32 exec_lo, exec_lo, s16
	s_waitcnt vmcnt(9)
	v_mov_b32_e32 v161, 0x7fff
	v_mov_b32_e32 v157, 0x7fff
	s_mov_b32 s16, exec_lo
	v_cmpx_gt_u32_e64 s56, v112
	s_cbranch_execz .LBB1850_406
; %bb.405:                              ;   in Loop: Header=BB1850_392 Depth=2
	global_load_u16 v157, v[36:37], off offset:256
.LBB1850_406:                           ;   in Loop: Header=BB1850_392 Depth=2
	s_or_b32 exec_lo, exec_lo, s16
	s_delay_alu instid0(SALU_CYCLE_1)
	s_mov_b32 s16, exec_lo
	v_cmpx_gt_u32_e64 s56, v113
	s_cbranch_execz .LBB1850_408
; %bb.407:                              ;   in Loop: Header=BB1850_392 Depth=2
	global_load_u16 v161, v[36:37], off offset:320
.LBB1850_408:                           ;   in Loop: Header=BB1850_392 Depth=2
	s_or_b32 exec_lo, exec_lo, s16
	s_waitcnt vmcnt(7)
	v_dual_mov_b32 v170, 0x7fff :: v_dual_mov_b32 v165, 0x7fff
	s_mov_b32 s16, exec_lo
	v_cmpx_gt_u32_e64 s56, v114
	s_cbranch_execz .LBB1850_410
; %bb.409:                              ;   in Loop: Header=BB1850_392 Depth=2
	global_load_u16 v165, v[36:37], off offset:384
.LBB1850_410:                           ;   in Loop: Header=BB1850_392 Depth=2
	s_or_b32 exec_lo, exec_lo, s16
	s_delay_alu instid0(SALU_CYCLE_1)
	s_mov_b32 s16, exec_lo
	v_cmpx_gt_u32_e64 s56, v115
	s_cbranch_execz .LBB1850_412
; %bb.411:                              ;   in Loop: Header=BB1850_392 Depth=2
	global_load_u16 v170, v[36:37], off offset:448
.LBB1850_412:                           ;   in Loop: Header=BB1850_392 Depth=2
	s_or_b32 exec_lo, exec_lo, s16
	s_waitcnt vmcnt(5)
	v_mov_b32_e32 v43, 0x7fff
	v_mov_b32_e32 v169, 0x7fff
	s_mov_b32 s16, exec_lo
	v_cmpx_gt_u32_e64 s56, v116
	s_cbranch_execz .LBB1850_414
; %bb.413:                              ;   in Loop: Header=BB1850_392 Depth=2
	global_load_u16 v169, v[36:37], off offset:512
.LBB1850_414:                           ;   in Loop: Header=BB1850_392 Depth=2
	s_or_b32 exec_lo, exec_lo, s16
	s_delay_alu instid0(SALU_CYCLE_1)
	s_mov_b32 s16, exec_lo
	v_cmpx_gt_u32_e64 s56, v117
	s_cbranch_execz .LBB1850_416
; %bb.415:                              ;   in Loop: Header=BB1850_392 Depth=2
	global_load_u16 v43, v[36:37], off offset:576
.LBB1850_416:                           ;   in Loop: Header=BB1850_392 Depth=2
	s_or_b32 exec_lo, exec_lo, s16
	s_waitcnt vmcnt(3)
	v_dual_mov_b32 v41, 0x7fff :: v_dual_mov_b32 v42, 0x7fff
	s_mov_b32 s16, exec_lo
	v_cmpx_gt_u32_e64 s56, v118
	s_cbranch_execz .LBB1850_418
; %bb.417:                              ;   in Loop: Header=BB1850_392 Depth=2
	global_load_u16 v42, v[36:37], off offset:640
.LBB1850_418:                           ;   in Loop: Header=BB1850_392 Depth=2
	s_or_b32 exec_lo, exec_lo, s16
	s_delay_alu instid0(SALU_CYCLE_1)
	s_mov_b32 s16, exec_lo
	v_cmpx_gt_u32_e64 s56, v119
	s_cbranch_execz .LBB1850_420
; %bb.419:                              ;   in Loop: Header=BB1850_392 Depth=2
	global_load_u16 v41, v[36:37], off offset:704
.LBB1850_420:                           ;   in Loop: Header=BB1850_392 Depth=2
	s_or_b32 exec_lo, exec_lo, s16
	s_waitcnt vmcnt(1)
	v_dual_mov_b32 v39, 0x7fff :: v_dual_mov_b32 v40, 0x7fff
	s_mov_b32 s16, exec_lo
	v_cmpx_gt_u32_e64 s56, v120
	s_cbranch_execz .LBB1850_422
; %bb.421:                              ;   in Loop: Header=BB1850_392 Depth=2
	global_load_u16 v40, v[36:37], off offset:768
.LBB1850_422:                           ;   in Loop: Header=BB1850_392 Depth=2
	s_or_b32 exec_lo, exec_lo, s16
	s_delay_alu instid0(SALU_CYCLE_1)
	s_mov_b32 s16, exec_lo
	v_cmpx_gt_u32_e64 s56, v121
	s_cbranch_execz .LBB1850_424
; %bb.423:                              ;   in Loop: Header=BB1850_392 Depth=2
	global_load_u16 v39, v[36:37], off offset:832
.LBB1850_424:                           ;   in Loop: Header=BB1850_392 Depth=2
	s_or_b32 exec_lo, exec_lo, s16
	s_waitcnt vmcnt(0)
	v_mov_b32_e32 v38, 0x7fff
	s_mov_b32 s16, exec_lo
	v_cmpx_gt_u32_e64 s56, v122
	s_cbranch_execz .LBB1850_426
; %bb.425:                              ;   in Loop: Header=BB1850_392 Depth=2
	global_load_u16 v38, v[36:37], off offset:896
.LBB1850_426:                           ;   in Loop: Header=BB1850_392 Depth=2
	s_or_b32 exec_lo, exec_lo, s16
	v_cmp_gt_u32_e64 s19, s56, v123
	s_sub_i32 s18, s53, s34
	s_movk_i32 s20, 0x7fff
	s_mov_b64 s[16:17], s[34:35]
	v_dual_mov_b32 v36, s20 :: v_dual_mov_b32 v145, s56
	s_and_saveexec_b32 s20, s19
	s_cbranch_execz .LBB1850_428
.LBB1850_427:                           ;   in Loop: Header=BB1850_392 Depth=2
	s_lshl_b64 s[16:17], s[16:17], 1
	v_mov_b32_e32 v145, s18
	v_add_co_u32 v36, vcc_lo, v127, s16
	v_add_co_ci_u32_e32 v37, vcc_lo, s17, v128, vcc_lo
	global_load_u16 v36, v[36:37], off
.LBB1850_428:                           ;   in Loop: Header=BB1850_392 Depth=2
	s_or_b32 exec_lo, exec_lo, s20
	s_waitcnt vmcnt(14)
	v_cmp_lt_i16_e32 vcc_lo, -1, v2
	ds_store_b32 v69, v3 offset:1056
	ds_store_2addr_b32 v71, v3, v3 offset0:1 offset1:2
	ds_store_2addr_b32 v71, v3, v3 offset0:3 offset1:4
	;; [unrolled: 1-line block ×4, first 2 shown]
	s_waitcnt vmcnt(0) lgkmcnt(0)
	s_barrier
	v_cndmask_b32_e64 v37, -1, 0xffff8000, vcc_lo
	buffer_gl0_inv
	; wave barrier
	v_xor_b32_e32 v2, v37, v2
	s_delay_alu instid0(VALU_DEP_1) | instskip(SKIP_1) | instid1(VALU_DEP_1)
	v_cmp_ne_u16_e32 vcc_lo, 0x7fff, v2
	v_cndmask_b32_e32 v37, 0xffff8000, v2, vcc_lo
	v_and_b32_e32 v37, 0xffff, v37
	s_delay_alu instid0(VALU_DEP_1) | instskip(NEXT) | instid1(VALU_DEP_1)
	v_lshrrev_b32_e32 v37, s48, v37
	v_and_b32_e32 v148, s55, v37
	s_delay_alu instid0(VALU_DEP_1)
	v_lshlrev_b32_e32 v150, 29, v148
	v_and_b32_e32 v37, 1, v148
	v_lshlrev_b32_e32 v147, 30, v148
	v_lshlrev_b32_e32 v151, 28, v148
	;; [unrolled: 1-line block ×4, first 2 shown]
	v_add_co_u32 v37, s16, v37, -1
	s_delay_alu instid0(VALU_DEP_1)
	v_cndmask_b32_e64 v152, 0, 1, s16
	v_not_b32_e32 v158, v147
	v_cmp_gt_i32_e64 s16, 0, v147
	v_not_b32_e32 v147, v150
	v_lshlrev_b32_e32 v156, 25, v148
	v_cmp_ne_u32_e32 vcc_lo, 0, v152
	v_ashrrev_i32_e32 v158, 31, v158
	v_lshlrev_b32_e32 v152, 24, v148
	v_ashrrev_i32_e32 v147, 31, v147
	v_mad_u32_u24 v148, v148, 9, v126
	v_xor_b32_e32 v37, vcc_lo, v37
	v_cmp_gt_i32_e32 vcc_lo, 0, v150
	v_not_b32_e32 v150, v151
	v_xor_b32_e32 v158, s16, v158
	v_cmp_gt_i32_e64 s16, 0, v151
	v_and_b32_e32 v37, exec_lo, v37
	v_not_b32_e32 v151, v154
	v_ashrrev_i32_e32 v150, 31, v150
	v_xor_b32_e32 v147, vcc_lo, v147
	v_cmp_gt_i32_e32 vcc_lo, 0, v154
	v_and_b32_e32 v37, v37, v158
	v_not_b32_e32 v154, v155
	v_ashrrev_i32_e32 v151, 31, v151
	v_xor_b32_e32 v150, s16, v150
	v_cmp_gt_i32_e64 s16, 0, v155
	v_and_b32_e32 v37, v37, v147
	v_not_b32_e32 v147, v156
	v_ashrrev_i32_e32 v154, 31, v154
	v_xor_b32_e32 v151, vcc_lo, v151
	v_cmp_gt_i32_e32 vcc_lo, 0, v156
	v_and_b32_e32 v37, v37, v150
	v_not_b32_e32 v150, v152
	v_ashrrev_i32_e32 v147, 31, v147
	v_xor_b32_e32 v154, s16, v154
	v_cmp_gt_i32_e64 s16, 0, v152
	v_and_b32_e32 v37, v37, v151
	v_ashrrev_i32_e32 v150, 31, v150
	v_xor_b32_e32 v147, vcc_lo, v147
	v_lshl_add_u32 v148, v148, 2, 0x420
	s_delay_alu instid0(VALU_DEP_4) | instskip(NEXT) | instid1(VALU_DEP_4)
	v_and_b32_e32 v37, v37, v154
	v_xor_b32_e32 v150, s16, v150
	s_delay_alu instid0(VALU_DEP_2) | instskip(NEXT) | instid1(VALU_DEP_1)
	v_and_b32_e32 v37, v37, v147
	v_and_b32_e32 v37, v37, v150
	s_delay_alu instid0(VALU_DEP_1) | instskip(SKIP_1) | instid1(VALU_DEP_2)
	v_mbcnt_lo_u32_b32 v147, v37, 0
	v_cmp_ne_u32_e64 s16, 0, v37
	v_cmp_eq_u32_e32 vcc_lo, 0, v147
	s_delay_alu instid0(VALU_DEP_2) | instskip(NEXT) | instid1(SALU_CYCLE_1)
	s_and_b32 s17, s16, vcc_lo
	s_and_saveexec_b32 s16, s17
	s_cbranch_execz .LBB1850_430
; %bb.429:                              ;   in Loop: Header=BB1850_392 Depth=2
	v_bcnt_u32_b32 v37, v37, 0
	ds_store_b32 v148, v37
.LBB1850_430:                           ;   in Loop: Header=BB1850_392 Depth=2
	s_or_b32 exec_lo, exec_lo, s16
	v_cmp_lt_i16_e64 vcc_lo, -1, v146
	; wave barrier
	s_delay_alu instid0(VALU_DEP_1) | instskip(NEXT) | instid1(VALU_DEP_1)
	v_cndmask_b32_e64 v37, -1, 0xffff8000, vcc_lo
	v_xor_b32_e32 v146, v37, v146
	s_delay_alu instid0(VALU_DEP_1) | instskip(SKIP_1) | instid1(VALU_DEP_1)
	v_cmp_ne_u16_e64 vcc_lo, 0x7fff, v146
	v_cndmask_b32_e32 v37, 0xffff8000, v146, vcc_lo
	v_and_b32_e32 v37, 0xffff, v37
	s_delay_alu instid0(VALU_DEP_1) | instskip(NEXT) | instid1(VALU_DEP_1)
	v_lshrrev_b32_e32 v37, s48, v37
	v_and_b32_e32 v37, s55, v37
	s_delay_alu instid0(VALU_DEP_1)
	v_and_b32_e32 v150, 1, v37
	v_lshlrev_b32_e32 v151, 30, v37
	v_lshlrev_b32_e32 v152, 29, v37
	;; [unrolled: 1-line block ×4, first 2 shown]
	v_add_co_u32 v150, s16, v150, -1
	s_delay_alu instid0(VALU_DEP_1)
	v_cndmask_b32_e64 v155, 0, 1, s16
	v_not_b32_e32 v160, v151
	v_cmp_gt_i32_e64 s16, 0, v151
	v_not_b32_e32 v151, v152
	v_lshlrev_b32_e32 v158, 26, v37
	v_cmp_ne_u32_e32 vcc_lo, 0, v155
	v_ashrrev_i32_e32 v160, 31, v160
	v_lshlrev_b32_e32 v159, 25, v37
	v_ashrrev_i32_e32 v151, 31, v151
	v_lshlrev_b32_e32 v155, 24, v37
	v_xor_b32_e32 v150, vcc_lo, v150
	v_cmp_gt_i32_e32 vcc_lo, 0, v152
	v_not_b32_e32 v152, v154
	v_xor_b32_e32 v160, s16, v160
	v_cmp_gt_i32_e64 s16, 0, v154
	v_and_b32_e32 v150, exec_lo, v150
	v_not_b32_e32 v154, v156
	v_ashrrev_i32_e32 v152, 31, v152
	v_xor_b32_e32 v151, vcc_lo, v151
	v_cmp_gt_i32_e32 vcc_lo, 0, v156
	v_and_b32_e32 v150, v150, v160
	v_not_b32_e32 v156, v158
	v_ashrrev_i32_e32 v154, 31, v154
	v_xor_b32_e32 v152, s16, v152
	v_cmp_gt_i32_e64 s16, 0, v158
	v_and_b32_e32 v150, v150, v151
	v_not_b32_e32 v151, v159
	v_ashrrev_i32_e32 v156, 31, v156
	v_xor_b32_e32 v154, vcc_lo, v154
	v_cmp_gt_i32_e32 vcc_lo, 0, v159
	v_and_b32_e32 v150, v150, v152
	v_not_b32_e32 v152, v155
	v_ashrrev_i32_e32 v151, 31, v151
	v_xor_b32_e32 v156, s16, v156
	v_mul_u32_u24_e32 v37, 9, v37
	v_and_b32_e32 v150, v150, v154
	v_cmp_gt_i32_e64 s16, 0, v155
	v_ashrrev_i32_e32 v152, 31, v152
	v_xor_b32_e32 v151, vcc_lo, v151
	v_add_lshl_u32 v154, v37, v126, 2
	v_and_b32_e32 v150, v150, v156
	s_delay_alu instid0(VALU_DEP_4) | instskip(NEXT) | instid1(VALU_DEP_3)
	v_xor_b32_e32 v37, s16, v152
	v_add_nc_u32_e32 v152, 0x420, v154
	s_delay_alu instid0(VALU_DEP_3) | instskip(SKIP_2) | instid1(VALU_DEP_1)
	v_and_b32_e32 v151, v150, v151
	ds_load_b32 v150, v154 offset:1056
	; wave barrier
	v_and_b32_e32 v37, v151, v37
	v_mbcnt_lo_u32_b32 v151, v37, 0
	v_cmp_ne_u32_e64 s16, 0, v37
	s_delay_alu instid0(VALU_DEP_2) | instskip(NEXT) | instid1(VALU_DEP_2)
	v_cmp_eq_u32_e32 vcc_lo, 0, v151
	s_and_b32 s17, s16, vcc_lo
	s_delay_alu instid0(SALU_CYCLE_1)
	s_and_saveexec_b32 s16, s17
	s_cbranch_execz .LBB1850_432
; %bb.431:                              ;   in Loop: Header=BB1850_392 Depth=2
	s_waitcnt lgkmcnt(0)
	v_bcnt_u32_b32 v37, v37, v150
	ds_store_b32 v152, v37
.LBB1850_432:                           ;   in Loop: Header=BB1850_392 Depth=2
	s_or_b32 exec_lo, exec_lo, s16
	v_cmp_lt_i16_e64 vcc_lo, -1, v149
	; wave barrier
	s_delay_alu instid0(VALU_DEP_1) | instskip(NEXT) | instid1(VALU_DEP_1)
	v_cndmask_b32_e64 v37, -1, 0xffff8000, vcc_lo
	v_xor_b32_e32 v149, v37, v149
	s_delay_alu instid0(VALU_DEP_1) | instskip(SKIP_1) | instid1(VALU_DEP_1)
	v_cmp_ne_u16_e64 vcc_lo, 0x7fff, v149
	v_cndmask_b32_e32 v37, 0xffff8000, v149, vcc_lo
	v_and_b32_e32 v37, 0xffff, v37
	s_delay_alu instid0(VALU_DEP_1) | instskip(NEXT) | instid1(VALU_DEP_1)
	v_lshrrev_b32_e32 v37, s48, v37
	v_and_b32_e32 v37, s55, v37
	s_delay_alu instid0(VALU_DEP_1)
	v_and_b32_e32 v154, 1, v37
	v_lshlrev_b32_e32 v155, 30, v37
	v_lshlrev_b32_e32 v156, 29, v37
	;; [unrolled: 1-line block ×4, first 2 shown]
	v_add_co_u32 v154, s16, v154, -1
	s_delay_alu instid0(VALU_DEP_1)
	v_cndmask_b32_e64 v159, 0, 1, s16
	v_not_b32_e32 v164, v155
	v_cmp_gt_i32_e64 s16, 0, v155
	v_not_b32_e32 v155, v156
	v_lshlrev_b32_e32 v162, 26, v37
	v_cmp_ne_u32_e32 vcc_lo, 0, v159
	v_ashrrev_i32_e32 v164, 31, v164
	v_lshlrev_b32_e32 v163, 25, v37
	v_ashrrev_i32_e32 v155, 31, v155
	v_lshlrev_b32_e32 v159, 24, v37
	v_xor_b32_e32 v154, vcc_lo, v154
	v_cmp_gt_i32_e32 vcc_lo, 0, v156
	v_not_b32_e32 v156, v158
	v_xor_b32_e32 v164, s16, v164
	v_cmp_gt_i32_e64 s16, 0, v158
	v_and_b32_e32 v154, exec_lo, v154
	v_not_b32_e32 v158, v160
	v_ashrrev_i32_e32 v156, 31, v156
	v_xor_b32_e32 v155, vcc_lo, v155
	v_cmp_gt_i32_e32 vcc_lo, 0, v160
	v_and_b32_e32 v154, v154, v164
	v_not_b32_e32 v160, v162
	v_ashrrev_i32_e32 v158, 31, v158
	v_xor_b32_e32 v156, s16, v156
	v_cmp_gt_i32_e64 s16, 0, v162
	v_and_b32_e32 v154, v154, v155
	v_not_b32_e32 v155, v163
	v_ashrrev_i32_e32 v160, 31, v160
	v_xor_b32_e32 v158, vcc_lo, v158
	v_cmp_gt_i32_e32 vcc_lo, 0, v163
	v_and_b32_e32 v154, v154, v156
	v_not_b32_e32 v156, v159
	v_ashrrev_i32_e32 v155, 31, v155
	v_xor_b32_e32 v160, s16, v160
	v_mul_u32_u24_e32 v37, 9, v37
	v_and_b32_e32 v154, v154, v158
	v_cmp_gt_i32_e64 s16, 0, v159
	v_ashrrev_i32_e32 v156, 31, v156
	v_xor_b32_e32 v155, vcc_lo, v155
	v_add_lshl_u32 v158, v37, v126, 2
	v_and_b32_e32 v154, v154, v160
	s_delay_alu instid0(VALU_DEP_4) | instskip(NEXT) | instid1(VALU_DEP_3)
	v_xor_b32_e32 v37, s16, v156
	v_add_nc_u32_e32 v156, 0x420, v158
	s_delay_alu instid0(VALU_DEP_3) | instskip(SKIP_2) | instid1(VALU_DEP_1)
	v_and_b32_e32 v155, v154, v155
	ds_load_b32 v154, v158 offset:1056
	; wave barrier
	v_and_b32_e32 v37, v155, v37
	v_mbcnt_lo_u32_b32 v155, v37, 0
	v_cmp_ne_u32_e64 s16, 0, v37
	s_delay_alu instid0(VALU_DEP_2) | instskip(NEXT) | instid1(VALU_DEP_2)
	v_cmp_eq_u32_e32 vcc_lo, 0, v155
	s_and_b32 s17, s16, vcc_lo
	s_delay_alu instid0(SALU_CYCLE_1)
	s_and_saveexec_b32 s16, s17
	s_cbranch_execz .LBB1850_434
; %bb.433:                              ;   in Loop: Header=BB1850_392 Depth=2
	s_waitcnt lgkmcnt(0)
	v_bcnt_u32_b32 v37, v37, v154
	ds_store_b32 v156, v37
.LBB1850_434:                           ;   in Loop: Header=BB1850_392 Depth=2
	s_or_b32 exec_lo, exec_lo, s16
	v_cmp_lt_i16_e64 vcc_lo, -1, v153
	; wave barrier
	s_delay_alu instid0(VALU_DEP_1) | instskip(NEXT) | instid1(VALU_DEP_1)
	v_cndmask_b32_e64 v37, -1, 0xffff8000, vcc_lo
	v_xor_b32_e32 v153, v37, v153
	s_delay_alu instid0(VALU_DEP_1) | instskip(SKIP_1) | instid1(VALU_DEP_1)
	v_cmp_ne_u16_e64 vcc_lo, 0x7fff, v153
	v_cndmask_b32_e32 v37, 0xffff8000, v153, vcc_lo
	v_and_b32_e32 v37, 0xffff, v37
	s_delay_alu instid0(VALU_DEP_1) | instskip(NEXT) | instid1(VALU_DEP_1)
	v_lshrrev_b32_e32 v37, s48, v37
	v_and_b32_e32 v37, s55, v37
	s_delay_alu instid0(VALU_DEP_1)
	v_and_b32_e32 v158, 1, v37
	v_lshlrev_b32_e32 v159, 30, v37
	v_lshlrev_b32_e32 v160, 29, v37
	;; [unrolled: 1-line block ×4, first 2 shown]
	v_add_co_u32 v158, s16, v158, -1
	s_delay_alu instid0(VALU_DEP_1)
	v_cndmask_b32_e64 v163, 0, 1, s16
	v_not_b32_e32 v168, v159
	v_cmp_gt_i32_e64 s16, 0, v159
	v_not_b32_e32 v159, v160
	v_lshlrev_b32_e32 v166, 26, v37
	v_cmp_ne_u32_e32 vcc_lo, 0, v163
	v_ashrrev_i32_e32 v168, 31, v168
	v_lshlrev_b32_e32 v167, 25, v37
	v_ashrrev_i32_e32 v159, 31, v159
	v_lshlrev_b32_e32 v163, 24, v37
	v_xor_b32_e32 v158, vcc_lo, v158
	v_cmp_gt_i32_e32 vcc_lo, 0, v160
	v_not_b32_e32 v160, v162
	v_xor_b32_e32 v168, s16, v168
	v_cmp_gt_i32_e64 s16, 0, v162
	v_and_b32_e32 v158, exec_lo, v158
	v_not_b32_e32 v162, v164
	v_ashrrev_i32_e32 v160, 31, v160
	v_xor_b32_e32 v159, vcc_lo, v159
	v_cmp_gt_i32_e32 vcc_lo, 0, v164
	v_and_b32_e32 v158, v158, v168
	v_not_b32_e32 v164, v166
	v_ashrrev_i32_e32 v162, 31, v162
	v_xor_b32_e32 v160, s16, v160
	v_cmp_gt_i32_e64 s16, 0, v166
	v_and_b32_e32 v158, v158, v159
	v_not_b32_e32 v159, v167
	v_ashrrev_i32_e32 v164, 31, v164
	v_xor_b32_e32 v162, vcc_lo, v162
	v_cmp_gt_i32_e32 vcc_lo, 0, v167
	v_and_b32_e32 v158, v158, v160
	v_not_b32_e32 v160, v163
	v_ashrrev_i32_e32 v159, 31, v159
	v_xor_b32_e32 v164, s16, v164
	v_mul_u32_u24_e32 v37, 9, v37
	v_and_b32_e32 v158, v158, v162
	v_cmp_gt_i32_e64 s16, 0, v163
	v_ashrrev_i32_e32 v160, 31, v160
	v_xor_b32_e32 v159, vcc_lo, v159
	v_add_lshl_u32 v162, v37, v126, 2
	v_and_b32_e32 v158, v158, v164
	s_delay_alu instid0(VALU_DEP_4) | instskip(NEXT) | instid1(VALU_DEP_3)
	v_xor_b32_e32 v37, s16, v160
	v_add_nc_u32_e32 v160, 0x420, v162
	s_delay_alu instid0(VALU_DEP_3) | instskip(SKIP_2) | instid1(VALU_DEP_1)
	v_and_b32_e32 v159, v158, v159
	ds_load_b32 v158, v162 offset:1056
	; wave barrier
	v_and_b32_e32 v37, v159, v37
	v_mbcnt_lo_u32_b32 v159, v37, 0
	v_cmp_ne_u32_e64 s16, 0, v37
	s_delay_alu instid0(VALU_DEP_2) | instskip(NEXT) | instid1(VALU_DEP_2)
	v_cmp_eq_u32_e32 vcc_lo, 0, v159
	s_and_b32 s17, s16, vcc_lo
	s_delay_alu instid0(SALU_CYCLE_1)
	s_and_saveexec_b32 s16, s17
	s_cbranch_execz .LBB1850_436
; %bb.435:                              ;   in Loop: Header=BB1850_392 Depth=2
	s_waitcnt lgkmcnt(0)
	v_bcnt_u32_b32 v37, v37, v158
	ds_store_b32 v160, v37
.LBB1850_436:                           ;   in Loop: Header=BB1850_392 Depth=2
	s_or_b32 exec_lo, exec_lo, s16
	v_cmp_lt_i16_e64 vcc_lo, -1, v157
	; wave barrier
	s_delay_alu instid0(VALU_DEP_1) | instskip(NEXT) | instid1(VALU_DEP_1)
	v_cndmask_b32_e64 v37, -1, 0xffff8000, vcc_lo
	v_xor_b32_e32 v157, v37, v157
	s_delay_alu instid0(VALU_DEP_1) | instskip(SKIP_1) | instid1(VALU_DEP_1)
	v_cmp_ne_u16_e64 vcc_lo, 0x7fff, v157
	v_cndmask_b32_e32 v37, 0xffff8000, v157, vcc_lo
	v_and_b32_e32 v37, 0xffff, v37
	s_delay_alu instid0(VALU_DEP_1) | instskip(NEXT) | instid1(VALU_DEP_1)
	v_lshrrev_b32_e32 v37, s48, v37
	v_and_b32_e32 v37, s55, v37
	s_delay_alu instid0(VALU_DEP_1)
	v_and_b32_e32 v162, 1, v37
	v_lshlrev_b32_e32 v163, 30, v37
	v_lshlrev_b32_e32 v164, 29, v37
	;; [unrolled: 1-line block ×4, first 2 shown]
	v_add_co_u32 v162, s16, v162, -1
	s_delay_alu instid0(VALU_DEP_1)
	v_cndmask_b32_e64 v167, 0, 1, s16
	v_not_b32_e32 v173, v163
	v_cmp_gt_i32_e64 s16, 0, v163
	v_not_b32_e32 v163, v164
	v_lshlrev_b32_e32 v171, 26, v37
	v_cmp_ne_u32_e32 vcc_lo, 0, v167
	v_ashrrev_i32_e32 v173, 31, v173
	v_lshlrev_b32_e32 v172, 25, v37
	v_ashrrev_i32_e32 v163, 31, v163
	v_lshlrev_b32_e32 v167, 24, v37
	v_xor_b32_e32 v162, vcc_lo, v162
	v_cmp_gt_i32_e32 vcc_lo, 0, v164
	v_not_b32_e32 v164, v166
	v_xor_b32_e32 v173, s16, v173
	v_cmp_gt_i32_e64 s16, 0, v166
	v_and_b32_e32 v162, exec_lo, v162
	v_not_b32_e32 v166, v168
	v_ashrrev_i32_e32 v164, 31, v164
	v_xor_b32_e32 v163, vcc_lo, v163
	v_cmp_gt_i32_e32 vcc_lo, 0, v168
	v_and_b32_e32 v162, v162, v173
	v_not_b32_e32 v168, v171
	v_ashrrev_i32_e32 v166, 31, v166
	v_xor_b32_e32 v164, s16, v164
	v_cmp_gt_i32_e64 s16, 0, v171
	v_and_b32_e32 v162, v162, v163
	v_not_b32_e32 v163, v172
	v_ashrrev_i32_e32 v168, 31, v168
	v_xor_b32_e32 v166, vcc_lo, v166
	v_cmp_gt_i32_e32 vcc_lo, 0, v172
	v_and_b32_e32 v162, v162, v164
	v_not_b32_e32 v164, v167
	v_ashrrev_i32_e32 v163, 31, v163
	v_xor_b32_e32 v168, s16, v168
	v_mul_u32_u24_e32 v37, 9, v37
	v_and_b32_e32 v162, v162, v166
	v_cmp_gt_i32_e64 s16, 0, v167
	v_ashrrev_i32_e32 v164, 31, v164
	v_xor_b32_e32 v163, vcc_lo, v163
	v_add_lshl_u32 v166, v37, v126, 2
	v_and_b32_e32 v162, v162, v168
	s_delay_alu instid0(VALU_DEP_4) | instskip(NEXT) | instid1(VALU_DEP_3)
	v_xor_b32_e32 v37, s16, v164
	v_add_nc_u32_e32 v164, 0x420, v166
	s_delay_alu instid0(VALU_DEP_3) | instskip(SKIP_2) | instid1(VALU_DEP_1)
	v_and_b32_e32 v163, v162, v163
	ds_load_b32 v162, v166 offset:1056
	; wave barrier
	v_and_b32_e32 v37, v163, v37
	v_mbcnt_lo_u32_b32 v163, v37, 0
	v_cmp_ne_u32_e64 s16, 0, v37
	s_delay_alu instid0(VALU_DEP_2) | instskip(NEXT) | instid1(VALU_DEP_2)
	v_cmp_eq_u32_e32 vcc_lo, 0, v163
	s_and_b32 s17, s16, vcc_lo
	s_delay_alu instid0(SALU_CYCLE_1)
	s_and_saveexec_b32 s16, s17
	s_cbranch_execz .LBB1850_438
; %bb.437:                              ;   in Loop: Header=BB1850_392 Depth=2
	s_waitcnt lgkmcnt(0)
	v_bcnt_u32_b32 v37, v37, v162
	ds_store_b32 v164, v37
.LBB1850_438:                           ;   in Loop: Header=BB1850_392 Depth=2
	s_or_b32 exec_lo, exec_lo, s16
	v_cmp_lt_i16_e64 vcc_lo, -1, v161
	; wave barrier
	s_delay_alu instid0(VALU_DEP_1) | instskip(NEXT) | instid1(VALU_DEP_1)
	v_cndmask_b32_e64 v37, -1, 0xffff8000, vcc_lo
	v_xor_b32_e32 v161, v37, v161
	s_delay_alu instid0(VALU_DEP_1) | instskip(SKIP_1) | instid1(VALU_DEP_1)
	v_cmp_ne_u16_e64 vcc_lo, 0x7fff, v161
	v_cndmask_b32_e32 v37, 0xffff8000, v161, vcc_lo
	v_and_b32_e32 v37, 0xffff, v37
	s_delay_alu instid0(VALU_DEP_1) | instskip(NEXT) | instid1(VALU_DEP_1)
	v_lshrrev_b32_e32 v37, s48, v37
	v_and_b32_e32 v37, s55, v37
	s_delay_alu instid0(VALU_DEP_1)
	v_and_b32_e32 v166, 1, v37
	v_lshlrev_b32_e32 v167, 30, v37
	v_lshlrev_b32_e32 v168, 29, v37
	;; [unrolled: 1-line block ×4, first 2 shown]
	v_add_co_u32 v166, s16, v166, -1
	s_delay_alu instid0(VALU_DEP_1)
	v_cndmask_b32_e64 v172, 0, 1, s16
	v_not_b32_e32 v176, v167
	v_cmp_gt_i32_e64 s16, 0, v167
	v_not_b32_e32 v167, v168
	v_lshlrev_b32_e32 v174, 26, v37
	v_cmp_ne_u32_e32 vcc_lo, 0, v172
	v_ashrrev_i32_e32 v176, 31, v176
	v_lshlrev_b32_e32 v175, 25, v37
	v_ashrrev_i32_e32 v167, 31, v167
	v_lshlrev_b32_e32 v172, 24, v37
	v_xor_b32_e32 v166, vcc_lo, v166
	v_cmp_gt_i32_e32 vcc_lo, 0, v168
	v_not_b32_e32 v168, v171
	v_xor_b32_e32 v176, s16, v176
	v_cmp_gt_i32_e64 s16, 0, v171
	v_and_b32_e32 v166, exec_lo, v166
	v_not_b32_e32 v171, v173
	v_ashrrev_i32_e32 v168, 31, v168
	v_xor_b32_e32 v167, vcc_lo, v167
	v_cmp_gt_i32_e32 vcc_lo, 0, v173
	v_and_b32_e32 v166, v166, v176
	v_not_b32_e32 v173, v174
	v_ashrrev_i32_e32 v171, 31, v171
	v_xor_b32_e32 v168, s16, v168
	v_cmp_gt_i32_e64 s16, 0, v174
	v_and_b32_e32 v166, v166, v167
	v_not_b32_e32 v167, v175
	v_ashrrev_i32_e32 v173, 31, v173
	v_xor_b32_e32 v171, vcc_lo, v171
	v_cmp_gt_i32_e32 vcc_lo, 0, v175
	v_and_b32_e32 v166, v166, v168
	v_not_b32_e32 v168, v172
	v_ashrrev_i32_e32 v167, 31, v167
	v_xor_b32_e32 v173, s16, v173
	v_mul_u32_u24_e32 v37, 9, v37
	v_and_b32_e32 v166, v166, v171
	v_cmp_gt_i32_e64 s16, 0, v172
	v_ashrrev_i32_e32 v168, 31, v168
	v_xor_b32_e32 v167, vcc_lo, v167
	v_add_lshl_u32 v171, v37, v126, 2
	v_and_b32_e32 v166, v166, v173
	s_delay_alu instid0(VALU_DEP_4) | instskip(NEXT) | instid1(VALU_DEP_3)
	v_xor_b32_e32 v37, s16, v168
	v_add_nc_u32_e32 v168, 0x420, v171
	s_delay_alu instid0(VALU_DEP_3) | instskip(SKIP_2) | instid1(VALU_DEP_1)
	v_and_b32_e32 v167, v166, v167
	ds_load_b32 v166, v171 offset:1056
	; wave barrier
	v_and_b32_e32 v37, v167, v37
	v_mbcnt_lo_u32_b32 v167, v37, 0
	v_cmp_ne_u32_e64 s16, 0, v37
	s_delay_alu instid0(VALU_DEP_2) | instskip(NEXT) | instid1(VALU_DEP_2)
	v_cmp_eq_u32_e32 vcc_lo, 0, v167
	s_and_b32 s17, s16, vcc_lo
	s_delay_alu instid0(SALU_CYCLE_1)
	s_and_saveexec_b32 s16, s17
	s_cbranch_execz .LBB1850_440
; %bb.439:                              ;   in Loop: Header=BB1850_392 Depth=2
	s_waitcnt lgkmcnt(0)
	v_bcnt_u32_b32 v37, v37, v166
	ds_store_b32 v168, v37
.LBB1850_440:                           ;   in Loop: Header=BB1850_392 Depth=2
	s_or_b32 exec_lo, exec_lo, s16
	v_cmp_lt_i16_e64 vcc_lo, -1, v165
	; wave barrier
	s_delay_alu instid0(VALU_DEP_1) | instskip(NEXT) | instid1(VALU_DEP_1)
	v_cndmask_b32_e64 v37, -1, 0xffff8000, vcc_lo
	v_xor_b32_e32 v165, v37, v165
	s_delay_alu instid0(VALU_DEP_1) | instskip(SKIP_1) | instid1(VALU_DEP_1)
	v_cmp_ne_u16_e64 vcc_lo, 0x7fff, v165
	v_cndmask_b32_e32 v37, 0xffff8000, v165, vcc_lo
	v_and_b32_e32 v37, 0xffff, v37
	s_delay_alu instid0(VALU_DEP_1) | instskip(NEXT) | instid1(VALU_DEP_1)
	v_lshrrev_b32_e32 v37, s48, v37
	v_and_b32_e32 v37, s55, v37
	s_delay_alu instid0(VALU_DEP_1)
	v_and_b32_e32 v171, 1, v37
	v_lshlrev_b32_e32 v172, 30, v37
	v_lshlrev_b32_e32 v173, 29, v37
	v_lshlrev_b32_e32 v174, 28, v37
	v_lshlrev_b32_e32 v176, 27, v37
	v_add_co_u32 v171, s16, v171, -1
	s_delay_alu instid0(VALU_DEP_1)
	v_cndmask_b32_e64 v175, 0, 1, s16
	v_not_b32_e32 v179, v172
	v_cmp_gt_i32_e64 s16, 0, v172
	v_not_b32_e32 v172, v173
	v_lshlrev_b32_e32 v177, 26, v37
	v_cmp_ne_u32_e32 vcc_lo, 0, v175
	v_ashrrev_i32_e32 v179, 31, v179
	v_lshlrev_b32_e32 v178, 25, v37
	v_ashrrev_i32_e32 v172, 31, v172
	v_lshlrev_b32_e32 v175, 24, v37
	v_xor_b32_e32 v171, vcc_lo, v171
	v_cmp_gt_i32_e32 vcc_lo, 0, v173
	v_not_b32_e32 v173, v174
	v_xor_b32_e32 v179, s16, v179
	v_cmp_gt_i32_e64 s16, 0, v174
	v_and_b32_e32 v171, exec_lo, v171
	v_not_b32_e32 v174, v176
	v_ashrrev_i32_e32 v173, 31, v173
	v_xor_b32_e32 v172, vcc_lo, v172
	v_cmp_gt_i32_e32 vcc_lo, 0, v176
	v_and_b32_e32 v171, v171, v179
	v_not_b32_e32 v176, v177
	v_ashrrev_i32_e32 v174, 31, v174
	v_xor_b32_e32 v173, s16, v173
	v_cmp_gt_i32_e64 s16, 0, v177
	v_and_b32_e32 v171, v171, v172
	v_not_b32_e32 v172, v178
	v_ashrrev_i32_e32 v176, 31, v176
	v_xor_b32_e32 v174, vcc_lo, v174
	v_cmp_gt_i32_e32 vcc_lo, 0, v178
	v_and_b32_e32 v171, v171, v173
	v_not_b32_e32 v173, v175
	v_ashrrev_i32_e32 v172, 31, v172
	v_xor_b32_e32 v176, s16, v176
	v_mul_u32_u24_e32 v37, 9, v37
	v_and_b32_e32 v171, v171, v174
	v_cmp_gt_i32_e64 s16, 0, v175
	v_ashrrev_i32_e32 v173, 31, v173
	v_xor_b32_e32 v172, vcc_lo, v172
	v_add_lshl_u32 v174, v37, v126, 2
	v_and_b32_e32 v171, v171, v176
	s_delay_alu instid0(VALU_DEP_4) | instskip(NEXT) | instid1(VALU_DEP_3)
	v_xor_b32_e32 v37, s16, v173
	v_add_nc_u32_e32 v173, 0x420, v174
	s_delay_alu instid0(VALU_DEP_3) | instskip(SKIP_2) | instid1(VALU_DEP_1)
	v_and_b32_e32 v172, v171, v172
	ds_load_b32 v171, v174 offset:1056
	; wave barrier
	v_and_b32_e32 v37, v172, v37
	v_mbcnt_lo_u32_b32 v172, v37, 0
	v_cmp_ne_u32_e64 s16, 0, v37
	s_delay_alu instid0(VALU_DEP_2) | instskip(NEXT) | instid1(VALU_DEP_2)
	v_cmp_eq_u32_e32 vcc_lo, 0, v172
	s_and_b32 s17, s16, vcc_lo
	s_delay_alu instid0(SALU_CYCLE_1)
	s_and_saveexec_b32 s16, s17
	s_cbranch_execz .LBB1850_442
; %bb.441:                              ;   in Loop: Header=BB1850_392 Depth=2
	s_waitcnt lgkmcnt(0)
	v_bcnt_u32_b32 v37, v37, v171
	ds_store_b32 v173, v37
.LBB1850_442:                           ;   in Loop: Header=BB1850_392 Depth=2
	s_or_b32 exec_lo, exec_lo, s16
	v_cmp_lt_i16_e64 vcc_lo, -1, v170
	; wave barrier
	s_delay_alu instid0(VALU_DEP_1) | instskip(NEXT) | instid1(VALU_DEP_1)
	v_cndmask_b32_e64 v37, -1, 0xffff8000, vcc_lo
	v_xor_b32_e32 v170, v37, v170
	s_delay_alu instid0(VALU_DEP_1) | instskip(SKIP_1) | instid1(VALU_DEP_1)
	v_cmp_ne_u16_e64 vcc_lo, 0x7fff, v170
	v_cndmask_b32_e32 v37, 0xffff8000, v170, vcc_lo
	v_and_b32_e32 v37, 0xffff, v37
	s_delay_alu instid0(VALU_DEP_1) | instskip(NEXT) | instid1(VALU_DEP_1)
	v_lshrrev_b32_e32 v37, s48, v37
	v_and_b32_e32 v37, s55, v37
	s_delay_alu instid0(VALU_DEP_1)
	v_and_b32_e32 v174, 1, v37
	v_lshlrev_b32_e32 v175, 30, v37
	v_lshlrev_b32_e32 v176, 29, v37
	;; [unrolled: 1-line block ×4, first 2 shown]
	v_add_co_u32 v174, s16, v174, -1
	s_delay_alu instid0(VALU_DEP_1)
	v_cndmask_b32_e64 v178, 0, 1, s16
	v_not_b32_e32 v182, v175
	v_cmp_gt_i32_e64 s16, 0, v175
	v_not_b32_e32 v175, v176
	v_lshlrev_b32_e32 v180, 26, v37
	v_cmp_ne_u32_e32 vcc_lo, 0, v178
	v_ashrrev_i32_e32 v182, 31, v182
	v_lshlrev_b32_e32 v181, 25, v37
	v_ashrrev_i32_e32 v175, 31, v175
	v_lshlrev_b32_e32 v178, 24, v37
	v_xor_b32_e32 v174, vcc_lo, v174
	v_cmp_gt_i32_e32 vcc_lo, 0, v176
	v_not_b32_e32 v176, v177
	v_xor_b32_e32 v182, s16, v182
	v_cmp_gt_i32_e64 s16, 0, v177
	v_and_b32_e32 v174, exec_lo, v174
	v_not_b32_e32 v177, v179
	v_ashrrev_i32_e32 v176, 31, v176
	v_xor_b32_e32 v175, vcc_lo, v175
	v_cmp_gt_i32_e32 vcc_lo, 0, v179
	v_and_b32_e32 v174, v174, v182
	v_not_b32_e32 v179, v180
	v_ashrrev_i32_e32 v177, 31, v177
	v_xor_b32_e32 v176, s16, v176
	v_cmp_gt_i32_e64 s16, 0, v180
	v_and_b32_e32 v174, v174, v175
	v_not_b32_e32 v175, v181
	v_ashrrev_i32_e32 v179, 31, v179
	v_xor_b32_e32 v177, vcc_lo, v177
	v_cmp_gt_i32_e32 vcc_lo, 0, v181
	v_and_b32_e32 v174, v174, v176
	v_not_b32_e32 v176, v178
	v_ashrrev_i32_e32 v175, 31, v175
	v_xor_b32_e32 v179, s16, v179
	v_mul_u32_u24_e32 v37, 9, v37
	v_and_b32_e32 v174, v174, v177
	v_cmp_gt_i32_e64 s16, 0, v178
	v_ashrrev_i32_e32 v176, 31, v176
	v_xor_b32_e32 v175, vcc_lo, v175
	v_add_lshl_u32 v177, v37, v126, 2
	v_and_b32_e32 v174, v174, v179
	s_delay_alu instid0(VALU_DEP_4) | instskip(NEXT) | instid1(VALU_DEP_3)
	v_xor_b32_e32 v37, s16, v176
	v_add_nc_u32_e32 v176, 0x420, v177
	s_delay_alu instid0(VALU_DEP_3) | instskip(SKIP_2) | instid1(VALU_DEP_1)
	v_and_b32_e32 v175, v174, v175
	ds_load_b32 v174, v177 offset:1056
	; wave barrier
	v_and_b32_e32 v37, v175, v37
	v_mbcnt_lo_u32_b32 v175, v37, 0
	v_cmp_ne_u32_e64 s16, 0, v37
	s_delay_alu instid0(VALU_DEP_2) | instskip(NEXT) | instid1(VALU_DEP_2)
	v_cmp_eq_u32_e32 vcc_lo, 0, v175
	s_and_b32 s17, s16, vcc_lo
	s_delay_alu instid0(SALU_CYCLE_1)
	s_and_saveexec_b32 s16, s17
	s_cbranch_execz .LBB1850_444
; %bb.443:                              ;   in Loop: Header=BB1850_392 Depth=2
	s_waitcnt lgkmcnt(0)
	v_bcnt_u32_b32 v37, v37, v174
	ds_store_b32 v176, v37
.LBB1850_444:                           ;   in Loop: Header=BB1850_392 Depth=2
	s_or_b32 exec_lo, exec_lo, s16
	v_cmp_lt_i16_e64 vcc_lo, -1, v169
	; wave barrier
	s_delay_alu instid0(VALU_DEP_1) | instskip(NEXT) | instid1(VALU_DEP_1)
	v_cndmask_b32_e64 v37, -1, 0xffff8000, vcc_lo
	v_xor_b32_e32 v169, v37, v169
	s_delay_alu instid0(VALU_DEP_1) | instskip(SKIP_1) | instid1(VALU_DEP_1)
	v_cmp_ne_u16_e64 vcc_lo, 0x7fff, v169
	v_cndmask_b32_e32 v37, 0xffff8000, v169, vcc_lo
	v_and_b32_e32 v37, 0xffff, v37
	s_delay_alu instid0(VALU_DEP_1) | instskip(NEXT) | instid1(VALU_DEP_1)
	v_lshrrev_b32_e32 v37, s48, v37
	v_and_b32_e32 v37, s55, v37
	s_delay_alu instid0(VALU_DEP_1)
	v_and_b32_e32 v177, 1, v37
	v_lshlrev_b32_e32 v178, 30, v37
	v_lshlrev_b32_e32 v179, 29, v37
	;; [unrolled: 1-line block ×4, first 2 shown]
	v_add_co_u32 v177, s16, v177, -1
	s_delay_alu instid0(VALU_DEP_1)
	v_cndmask_b32_e64 v181, 0, 1, s16
	v_not_b32_e32 v185, v178
	v_cmp_gt_i32_e64 s16, 0, v178
	v_not_b32_e32 v178, v179
	v_lshlrev_b32_e32 v183, 26, v37
	v_cmp_ne_u32_e32 vcc_lo, 0, v181
	v_ashrrev_i32_e32 v185, 31, v185
	v_lshlrev_b32_e32 v184, 25, v37
	v_ashrrev_i32_e32 v178, 31, v178
	v_lshlrev_b32_e32 v181, 24, v37
	v_xor_b32_e32 v177, vcc_lo, v177
	v_cmp_gt_i32_e32 vcc_lo, 0, v179
	v_not_b32_e32 v179, v180
	v_xor_b32_e32 v185, s16, v185
	v_cmp_gt_i32_e64 s16, 0, v180
	v_and_b32_e32 v177, exec_lo, v177
	v_not_b32_e32 v180, v182
	v_ashrrev_i32_e32 v179, 31, v179
	v_xor_b32_e32 v178, vcc_lo, v178
	v_cmp_gt_i32_e32 vcc_lo, 0, v182
	v_and_b32_e32 v177, v177, v185
	v_not_b32_e32 v182, v183
	v_ashrrev_i32_e32 v180, 31, v180
	v_xor_b32_e32 v179, s16, v179
	v_cmp_gt_i32_e64 s16, 0, v183
	v_and_b32_e32 v177, v177, v178
	v_not_b32_e32 v178, v184
	v_ashrrev_i32_e32 v182, 31, v182
	v_xor_b32_e32 v180, vcc_lo, v180
	v_cmp_gt_i32_e32 vcc_lo, 0, v184
	v_and_b32_e32 v177, v177, v179
	v_not_b32_e32 v179, v181
	v_ashrrev_i32_e32 v178, 31, v178
	v_xor_b32_e32 v182, s16, v182
	v_mul_u32_u24_e32 v37, 9, v37
	v_and_b32_e32 v177, v177, v180
	v_cmp_gt_i32_e64 s16, 0, v181
	v_ashrrev_i32_e32 v179, 31, v179
	v_xor_b32_e32 v178, vcc_lo, v178
	v_add_lshl_u32 v180, v37, v126, 2
	v_and_b32_e32 v177, v177, v182
	s_delay_alu instid0(VALU_DEP_4) | instskip(NEXT) | instid1(VALU_DEP_2)
	v_xor_b32_e32 v37, s16, v179
	v_and_b32_e32 v177, v177, v178
	ds_load_b32 v178, v180 offset:1056
	v_add_nc_u32_e32 v180, 0x420, v180
	; wave barrier
	v_and_b32_e32 v37, v177, v37
	s_delay_alu instid0(VALU_DEP_1) | instskip(SKIP_1) | instid1(VALU_DEP_2)
	v_mbcnt_lo_u32_b32 v179, v37, 0
	v_cmp_ne_u32_e64 s16, 0, v37
	v_cmp_eq_u32_e32 vcc_lo, 0, v179
	s_delay_alu instid0(VALU_DEP_2) | instskip(NEXT) | instid1(SALU_CYCLE_1)
	s_and_b32 s17, s16, vcc_lo
	s_and_saveexec_b32 s16, s17
	s_cbranch_execz .LBB1850_446
; %bb.445:                              ;   in Loop: Header=BB1850_392 Depth=2
	s_waitcnt lgkmcnt(0)
	v_bcnt_u32_b32 v37, v37, v178
	ds_store_b32 v180, v37
.LBB1850_446:                           ;   in Loop: Header=BB1850_392 Depth=2
	s_or_b32 exec_lo, exec_lo, s16
	v_cmp_lt_i16_e32 vcc_lo, -1, v43
	; wave barrier
	v_cndmask_b32_e64 v37, -1, 0xffff8000, vcc_lo
	s_delay_alu instid0(VALU_DEP_1) | instskip(NEXT) | instid1(VALU_DEP_1)
	v_xor_b32_e32 v177, v37, v43
	v_cmp_ne_u16_e64 vcc_lo, 0x7fff, v177
	v_cndmask_b32_e32 v37, 0xffff8000, v177, vcc_lo
	s_delay_alu instid0(VALU_DEP_1) | instskip(NEXT) | instid1(VALU_DEP_1)
	v_and_b32_e32 v37, 0xffff, v37
	v_lshrrev_b32_e32 v37, s48, v37
	s_delay_alu instid0(VALU_DEP_1) | instskip(NEXT) | instid1(VALU_DEP_1)
	v_and_b32_e32 v37, s55, v37
	v_and_b32_e32 v43, 1, v37
	v_lshlrev_b32_e32 v181, 30, v37
	v_lshlrev_b32_e32 v182, 29, v37
	;; [unrolled: 1-line block ×4, first 2 shown]
	v_add_co_u32 v43, s16, v43, -1
	s_delay_alu instid0(VALU_DEP_1)
	v_cndmask_b32_e64 v184, 0, 1, s16
	v_not_b32_e32 v188, v181
	v_cmp_gt_i32_e64 s16, 0, v181
	v_not_b32_e32 v181, v182
	v_lshlrev_b32_e32 v186, 26, v37
	v_cmp_ne_u32_e32 vcc_lo, 0, v184
	v_ashrrev_i32_e32 v188, 31, v188
	v_lshlrev_b32_e32 v187, 25, v37
	v_ashrrev_i32_e32 v181, 31, v181
	v_lshlrev_b32_e32 v184, 24, v37
	v_xor_b32_e32 v43, vcc_lo, v43
	v_cmp_gt_i32_e32 vcc_lo, 0, v182
	v_not_b32_e32 v182, v183
	v_xor_b32_e32 v188, s16, v188
	v_cmp_gt_i32_e64 s16, 0, v183
	v_and_b32_e32 v43, exec_lo, v43
	v_not_b32_e32 v183, v185
	v_ashrrev_i32_e32 v182, 31, v182
	v_xor_b32_e32 v181, vcc_lo, v181
	v_cmp_gt_i32_e32 vcc_lo, 0, v185
	v_and_b32_e32 v43, v43, v188
	v_not_b32_e32 v185, v186
	v_ashrrev_i32_e32 v183, 31, v183
	v_xor_b32_e32 v182, s16, v182
	v_cmp_gt_i32_e64 s16, 0, v186
	v_and_b32_e32 v43, v43, v181
	v_not_b32_e32 v181, v187
	v_ashrrev_i32_e32 v185, 31, v185
	v_xor_b32_e32 v183, vcc_lo, v183
	v_cmp_gt_i32_e32 vcc_lo, 0, v187
	v_and_b32_e32 v43, v43, v182
	v_not_b32_e32 v182, v184
	v_ashrrev_i32_e32 v181, 31, v181
	v_xor_b32_e32 v185, s16, v185
	v_mul_u32_u24_e32 v37, 9, v37
	v_and_b32_e32 v43, v43, v183
	v_cmp_gt_i32_e64 s16, 0, v184
	v_ashrrev_i32_e32 v182, 31, v182
	v_xor_b32_e32 v181, vcc_lo, v181
	v_add_lshl_u32 v184, v37, v126, 2
	v_and_b32_e32 v43, v43, v185
	s_delay_alu instid0(VALU_DEP_4) | instskip(SKIP_3) | instid1(VALU_DEP_2)
	v_xor_b32_e32 v37, s16, v182
	ds_load_b32 v182, v184 offset:1056
	v_and_b32_e32 v43, v43, v181
	v_add_nc_u32_e32 v184, 0x420, v184
	; wave barrier
	v_and_b32_e32 v37, v43, v37
	s_delay_alu instid0(VALU_DEP_1) | instskip(SKIP_1) | instid1(VALU_DEP_2)
	v_mbcnt_lo_u32_b32 v183, v37, 0
	v_cmp_ne_u32_e64 s16, 0, v37
	v_cmp_eq_u32_e32 vcc_lo, 0, v183
	s_delay_alu instid0(VALU_DEP_2) | instskip(NEXT) | instid1(SALU_CYCLE_1)
	s_and_b32 s17, s16, vcc_lo
	s_and_saveexec_b32 s16, s17
	s_cbranch_execz .LBB1850_448
; %bb.447:                              ;   in Loop: Header=BB1850_392 Depth=2
	s_waitcnt lgkmcnt(0)
	v_bcnt_u32_b32 v37, v37, v182
	ds_store_b32 v184, v37
.LBB1850_448:                           ;   in Loop: Header=BB1850_392 Depth=2
	s_or_b32 exec_lo, exec_lo, s16
	v_cmp_lt_i16_e32 vcc_lo, -1, v42
	; wave barrier
	v_cndmask_b32_e64 v37, -1, 0xffff8000, vcc_lo
	s_delay_alu instid0(VALU_DEP_1) | instskip(NEXT) | instid1(VALU_DEP_1)
	v_xor_b32_e32 v181, v37, v42
	v_cmp_ne_u16_e64 vcc_lo, 0x7fff, v181
	v_cndmask_b32_e32 v37, 0xffff8000, v181, vcc_lo
	s_delay_alu instid0(VALU_DEP_1) | instskip(NEXT) | instid1(VALU_DEP_1)
	v_and_b32_e32 v37, 0xffff, v37
	v_lshrrev_b32_e32 v37, s48, v37
	s_delay_alu instid0(VALU_DEP_1) | instskip(NEXT) | instid1(VALU_DEP_1)
	v_and_b32_e32 v37, s55, v37
	v_and_b32_e32 v42, 1, v37
	v_lshlrev_b32_e32 v43, 30, v37
	v_lshlrev_b32_e32 v185, 29, v37
	;; [unrolled: 1-line block ×4, first 2 shown]
	v_add_co_u32 v42, s16, v42, -1
	s_delay_alu instid0(VALU_DEP_1)
	v_cndmask_b32_e64 v187, 0, 1, s16
	v_not_b32_e32 v191, v43
	v_cmp_gt_i32_e64 s16, 0, v43
	v_not_b32_e32 v43, v185
	v_lshlrev_b32_e32 v189, 26, v37
	v_cmp_ne_u32_e32 vcc_lo, 0, v187
	v_ashrrev_i32_e32 v191, 31, v191
	v_lshlrev_b32_e32 v190, 25, v37
	v_ashrrev_i32_e32 v43, 31, v43
	v_lshlrev_b32_e32 v187, 24, v37
	v_xor_b32_e32 v42, vcc_lo, v42
	v_cmp_gt_i32_e32 vcc_lo, 0, v185
	v_not_b32_e32 v185, v186
	v_xor_b32_e32 v191, s16, v191
	v_cmp_gt_i32_e64 s16, 0, v186
	v_and_b32_e32 v42, exec_lo, v42
	v_not_b32_e32 v186, v188
	v_ashrrev_i32_e32 v185, 31, v185
	v_xor_b32_e32 v43, vcc_lo, v43
	v_cmp_gt_i32_e32 vcc_lo, 0, v188
	v_and_b32_e32 v42, v42, v191
	v_not_b32_e32 v188, v189
	v_ashrrev_i32_e32 v186, 31, v186
	v_xor_b32_e32 v185, s16, v185
	v_cmp_gt_i32_e64 s16, 0, v189
	v_and_b32_e32 v42, v42, v43
	v_not_b32_e32 v43, v190
	v_ashrrev_i32_e32 v188, 31, v188
	v_xor_b32_e32 v186, vcc_lo, v186
	v_cmp_gt_i32_e32 vcc_lo, 0, v190
	v_and_b32_e32 v42, v42, v185
	v_not_b32_e32 v185, v187
	v_ashrrev_i32_e32 v43, 31, v43
	v_xor_b32_e32 v188, s16, v188
	v_mul_u32_u24_e32 v37, 9, v37
	v_and_b32_e32 v42, v42, v186
	v_cmp_gt_i32_e64 s16, 0, v187
	v_ashrrev_i32_e32 v185, 31, v185
	v_xor_b32_e32 v43, vcc_lo, v43
	s_delay_alu instid0(VALU_DEP_4) | instskip(SKIP_1) | instid1(VALU_DEP_4)
	v_and_b32_e32 v42, v42, v188
	v_add_lshl_u32 v188, v37, v126, 2
	v_xor_b32_e32 v37, s16, v185
	s_delay_alu instid0(VALU_DEP_3) | instskip(SKIP_3) | instid1(VALU_DEP_1)
	v_and_b32_e32 v42, v42, v43
	ds_load_b32 v186, v188 offset:1056
	v_add_nc_u32_e32 v188, 0x420, v188
	; wave barrier
	v_and_b32_e32 v37, v42, v37
	v_mbcnt_lo_u32_b32 v187, v37, 0
	v_cmp_ne_u32_e64 s16, 0, v37
	s_delay_alu instid0(VALU_DEP_2) | instskip(NEXT) | instid1(VALU_DEP_2)
	v_cmp_eq_u32_e32 vcc_lo, 0, v187
	s_and_b32 s17, s16, vcc_lo
	s_delay_alu instid0(SALU_CYCLE_1)
	s_and_saveexec_b32 s16, s17
	s_cbranch_execz .LBB1850_450
; %bb.449:                              ;   in Loop: Header=BB1850_392 Depth=2
	s_waitcnt lgkmcnt(0)
	v_bcnt_u32_b32 v37, v37, v186
	ds_store_b32 v188, v37
.LBB1850_450:                           ;   in Loop: Header=BB1850_392 Depth=2
	s_or_b32 exec_lo, exec_lo, s16
	v_cmp_lt_i16_e32 vcc_lo, -1, v41
	; wave barrier
	v_cndmask_b32_e64 v37, -1, 0xffff8000, vcc_lo
	s_delay_alu instid0(VALU_DEP_1) | instskip(NEXT) | instid1(VALU_DEP_1)
	v_xor_b32_e32 v185, v37, v41
	v_cmp_ne_u16_e64 vcc_lo, 0x7fff, v185
	v_cndmask_b32_e32 v37, 0xffff8000, v185, vcc_lo
	s_delay_alu instid0(VALU_DEP_1) | instskip(NEXT) | instid1(VALU_DEP_1)
	v_and_b32_e32 v37, 0xffff, v37
	v_lshrrev_b32_e32 v37, s48, v37
	s_delay_alu instid0(VALU_DEP_1) | instskip(NEXT) | instid1(VALU_DEP_1)
	v_and_b32_e32 v37, s55, v37
	v_and_b32_e32 v41, 1, v37
	v_lshlrev_b32_e32 v42, 30, v37
	v_lshlrev_b32_e32 v43, 29, v37
	;; [unrolled: 1-line block ×4, first 2 shown]
	v_add_co_u32 v41, s16, v41, -1
	s_delay_alu instid0(VALU_DEP_1)
	v_cndmask_b32_e64 v190, 0, 1, s16
	v_not_b32_e32 v194, v42
	v_cmp_gt_i32_e64 s16, 0, v42
	v_not_b32_e32 v42, v43
	v_lshlrev_b32_e32 v192, 26, v37
	v_cmp_ne_u32_e32 vcc_lo, 0, v190
	v_ashrrev_i32_e32 v194, 31, v194
	v_lshlrev_b32_e32 v193, 25, v37
	v_ashrrev_i32_e32 v42, 31, v42
	v_lshlrev_b32_e32 v190, 24, v37
	v_xor_b32_e32 v41, vcc_lo, v41
	v_cmp_gt_i32_e32 vcc_lo, 0, v43
	v_not_b32_e32 v43, v189
	v_xor_b32_e32 v194, s16, v194
	v_cmp_gt_i32_e64 s16, 0, v189
	v_and_b32_e32 v41, exec_lo, v41
	v_not_b32_e32 v189, v191
	v_ashrrev_i32_e32 v43, 31, v43
	v_xor_b32_e32 v42, vcc_lo, v42
	v_cmp_gt_i32_e32 vcc_lo, 0, v191
	v_and_b32_e32 v41, v41, v194
	v_not_b32_e32 v191, v192
	v_ashrrev_i32_e32 v189, 31, v189
	v_xor_b32_e32 v43, s16, v43
	v_cmp_gt_i32_e64 s16, 0, v192
	v_and_b32_e32 v41, v41, v42
	v_not_b32_e32 v42, v193
	v_ashrrev_i32_e32 v191, 31, v191
	v_xor_b32_e32 v189, vcc_lo, v189
	v_cmp_gt_i32_e32 vcc_lo, 0, v193
	v_and_b32_e32 v41, v41, v43
	v_not_b32_e32 v43, v190
	v_ashrrev_i32_e32 v42, 31, v42
	v_xor_b32_e32 v191, s16, v191
	v_mul_u32_u24_e32 v37, 9, v37
	v_and_b32_e32 v41, v41, v189
	v_cmp_gt_i32_e64 s16, 0, v190
	v_ashrrev_i32_e32 v43, 31, v43
	v_xor_b32_e32 v42, vcc_lo, v42
	v_add_lshl_u32 v189, v37, v126, 2
	v_and_b32_e32 v41, v41, v191
	s_delay_alu instid0(VALU_DEP_4) | instskip(SKIP_3) | instid1(VALU_DEP_2)
	v_xor_b32_e32 v37, s16, v43
	ds_load_b32 v190, v189 offset:1056
	v_and_b32_e32 v41, v41, v42
	v_add_nc_u32_e32 v192, 0x420, v189
	; wave barrier
	v_and_b32_e32 v37, v41, v37
	s_delay_alu instid0(VALU_DEP_1) | instskip(SKIP_1) | instid1(VALU_DEP_2)
	v_mbcnt_lo_u32_b32 v191, v37, 0
	v_cmp_ne_u32_e64 s16, 0, v37
	v_cmp_eq_u32_e32 vcc_lo, 0, v191
	s_delay_alu instid0(VALU_DEP_2) | instskip(NEXT) | instid1(SALU_CYCLE_1)
	s_and_b32 s17, s16, vcc_lo
	s_and_saveexec_b32 s16, s17
	s_cbranch_execz .LBB1850_452
; %bb.451:                              ;   in Loop: Header=BB1850_392 Depth=2
	s_waitcnt lgkmcnt(0)
	v_bcnt_u32_b32 v37, v37, v190
	ds_store_b32 v192, v37
.LBB1850_452:                           ;   in Loop: Header=BB1850_392 Depth=2
	s_or_b32 exec_lo, exec_lo, s16
	v_cmp_lt_i16_e32 vcc_lo, -1, v40
	; wave barrier
	v_cndmask_b32_e64 v37, -1, 0xffff8000, vcc_lo
	s_delay_alu instid0(VALU_DEP_1) | instskip(NEXT) | instid1(VALU_DEP_1)
	v_xor_b32_e32 v189, v37, v40
	v_cmp_ne_u16_e64 vcc_lo, 0x7fff, v189
	v_cndmask_b32_e32 v37, 0xffff8000, v189, vcc_lo
	s_delay_alu instid0(VALU_DEP_1) | instskip(NEXT) | instid1(VALU_DEP_1)
	v_and_b32_e32 v37, 0xffff, v37
	v_lshrrev_b32_e32 v37, s48, v37
	s_delay_alu instid0(VALU_DEP_1) | instskip(NEXT) | instid1(VALU_DEP_1)
	v_and_b32_e32 v37, s55, v37
	v_and_b32_e32 v40, 1, v37
	v_lshlrev_b32_e32 v41, 30, v37
	v_lshlrev_b32_e32 v42, 29, v37
	;; [unrolled: 1-line block ×4, first 2 shown]
	v_add_co_u32 v40, s16, v40, -1
	s_delay_alu instid0(VALU_DEP_1)
	v_cndmask_b32_e64 v193, 0, 1, s16
	v_not_b32_e32 v197, v41
	v_cmp_gt_i32_e64 s16, 0, v41
	v_not_b32_e32 v41, v42
	v_lshlrev_b32_e32 v195, 26, v37
	v_cmp_ne_u32_e32 vcc_lo, 0, v193
	v_ashrrev_i32_e32 v197, 31, v197
	v_lshlrev_b32_e32 v196, 25, v37
	v_ashrrev_i32_e32 v41, 31, v41
	v_lshlrev_b32_e32 v193, 24, v37
	v_xor_b32_e32 v40, vcc_lo, v40
	v_cmp_gt_i32_e32 vcc_lo, 0, v42
	v_not_b32_e32 v42, v43
	v_xor_b32_e32 v197, s16, v197
	v_cmp_gt_i32_e64 s16, 0, v43
	v_and_b32_e32 v40, exec_lo, v40
	v_not_b32_e32 v43, v194
	v_ashrrev_i32_e32 v42, 31, v42
	v_xor_b32_e32 v41, vcc_lo, v41
	v_cmp_gt_i32_e32 vcc_lo, 0, v194
	v_and_b32_e32 v40, v40, v197
	v_not_b32_e32 v194, v195
	v_ashrrev_i32_e32 v43, 31, v43
	v_xor_b32_e32 v42, s16, v42
	v_cmp_gt_i32_e64 s16, 0, v195
	v_and_b32_e32 v40, v40, v41
	v_not_b32_e32 v41, v196
	v_ashrrev_i32_e32 v194, 31, v194
	v_xor_b32_e32 v43, vcc_lo, v43
	v_cmp_gt_i32_e32 vcc_lo, 0, v196
	v_and_b32_e32 v40, v40, v42
	v_not_b32_e32 v42, v193
	v_ashrrev_i32_e32 v41, 31, v41
	v_xor_b32_e32 v194, s16, v194
	v_mul_u32_u24_e32 v37, 9, v37
	v_and_b32_e32 v40, v40, v43
	v_cmp_gt_i32_e64 s16, 0, v193
	v_ashrrev_i32_e32 v42, 31, v42
	v_xor_b32_e32 v41, vcc_lo, v41
	v_add_lshl_u32 v43, v37, v126, 2
	v_and_b32_e32 v40, v40, v194
	s_delay_alu instid0(VALU_DEP_4) | instskip(SKIP_3) | instid1(VALU_DEP_2)
	v_xor_b32_e32 v37, s16, v42
	ds_load_b32 v194, v43 offset:1056
	v_and_b32_e32 v40, v40, v41
	v_add_nc_u32_e32 v196, 0x420, v43
	; wave barrier
	v_and_b32_e32 v37, v40, v37
	s_delay_alu instid0(VALU_DEP_1) | instskip(SKIP_1) | instid1(VALU_DEP_2)
	v_mbcnt_lo_u32_b32 v195, v37, 0
	v_cmp_ne_u32_e64 s16, 0, v37
	v_cmp_eq_u32_e32 vcc_lo, 0, v195
	s_delay_alu instid0(VALU_DEP_2) | instskip(NEXT) | instid1(SALU_CYCLE_1)
	s_and_b32 s17, s16, vcc_lo
	s_and_saveexec_b32 s16, s17
	s_cbranch_execz .LBB1850_454
; %bb.453:                              ;   in Loop: Header=BB1850_392 Depth=2
	s_waitcnt lgkmcnt(0)
	v_bcnt_u32_b32 v37, v37, v194
	ds_store_b32 v196, v37
.LBB1850_454:                           ;   in Loop: Header=BB1850_392 Depth=2
	s_or_b32 exec_lo, exec_lo, s16
	v_cmp_lt_i16_e32 vcc_lo, -1, v39
	; wave barrier
	v_cndmask_b32_e64 v37, -1, 0xffff8000, vcc_lo
	s_delay_alu instid0(VALU_DEP_1) | instskip(NEXT) | instid1(VALU_DEP_1)
	v_xor_b32_e32 v193, v37, v39
	v_cmp_ne_u16_e64 vcc_lo, 0x7fff, v193
	v_cndmask_b32_e32 v37, 0xffff8000, v193, vcc_lo
	s_delay_alu instid0(VALU_DEP_1) | instskip(NEXT) | instid1(VALU_DEP_1)
	v_and_b32_e32 v37, 0xffff, v37
	v_lshrrev_b32_e32 v37, s48, v37
	s_delay_alu instid0(VALU_DEP_1) | instskip(NEXT) | instid1(VALU_DEP_1)
	v_and_b32_e32 v37, s55, v37
	v_and_b32_e32 v39, 1, v37
	v_lshlrev_b32_e32 v40, 30, v37
	v_lshlrev_b32_e32 v41, 29, v37
	;; [unrolled: 1-line block ×4, first 2 shown]
	v_add_co_u32 v39, s16, v39, -1
	s_delay_alu instid0(VALU_DEP_1)
	v_cndmask_b32_e64 v43, 0, 1, s16
	v_not_b32_e32 v200, v40
	v_cmp_gt_i32_e64 s16, 0, v40
	v_not_b32_e32 v40, v41
	v_lshlrev_b32_e32 v198, 26, v37
	v_cmp_ne_u32_e32 vcc_lo, 0, v43
	v_ashrrev_i32_e32 v200, 31, v200
	v_lshlrev_b32_e32 v199, 25, v37
	v_ashrrev_i32_e32 v40, 31, v40
	v_lshlrev_b32_e32 v43, 24, v37
	v_xor_b32_e32 v39, vcc_lo, v39
	v_cmp_gt_i32_e32 vcc_lo, 0, v41
	v_not_b32_e32 v41, v42
	v_xor_b32_e32 v200, s16, v200
	v_cmp_gt_i32_e64 s16, 0, v42
	v_and_b32_e32 v39, exec_lo, v39
	v_not_b32_e32 v42, v197
	v_ashrrev_i32_e32 v41, 31, v41
	v_xor_b32_e32 v40, vcc_lo, v40
	v_cmp_gt_i32_e32 vcc_lo, 0, v197
	v_and_b32_e32 v39, v39, v200
	v_not_b32_e32 v197, v198
	v_ashrrev_i32_e32 v42, 31, v42
	v_xor_b32_e32 v41, s16, v41
	v_cmp_gt_i32_e64 s16, 0, v198
	v_and_b32_e32 v39, v39, v40
	v_not_b32_e32 v40, v199
	v_ashrrev_i32_e32 v197, 31, v197
	v_xor_b32_e32 v42, vcc_lo, v42
	v_cmp_gt_i32_e32 vcc_lo, 0, v199
	v_and_b32_e32 v39, v39, v41
	v_not_b32_e32 v41, v43
	v_ashrrev_i32_e32 v40, 31, v40
	v_xor_b32_e32 v197, s16, v197
	v_mul_u32_u24_e32 v37, 9, v37
	v_and_b32_e32 v39, v39, v42
	v_cmp_gt_i32_e64 s16, 0, v43
	v_ashrrev_i32_e32 v41, 31, v41
	v_xor_b32_e32 v40, vcc_lo, v40
	v_add_lshl_u32 v42, v37, v126, 2
	v_and_b32_e32 v39, v39, v197
	s_delay_alu instid0(VALU_DEP_4) | instskip(SKIP_3) | instid1(VALU_DEP_2)
	v_xor_b32_e32 v37, s16, v41
	ds_load_b32 v198, v42 offset:1056
	v_and_b32_e32 v39, v39, v40
	v_add_nc_u32_e32 v200, 0x420, v42
	; wave barrier
	v_and_b32_e32 v37, v39, v37
	s_delay_alu instid0(VALU_DEP_1) | instskip(SKIP_1) | instid1(VALU_DEP_2)
	v_mbcnt_lo_u32_b32 v199, v37, 0
	v_cmp_ne_u32_e64 s16, 0, v37
	v_cmp_eq_u32_e32 vcc_lo, 0, v199
	s_delay_alu instid0(VALU_DEP_2) | instskip(NEXT) | instid1(SALU_CYCLE_1)
	s_and_b32 s17, s16, vcc_lo
	s_and_saveexec_b32 s16, s17
	s_cbranch_execz .LBB1850_456
; %bb.455:                              ;   in Loop: Header=BB1850_392 Depth=2
	s_waitcnt lgkmcnt(0)
	v_bcnt_u32_b32 v37, v37, v198
	ds_store_b32 v200, v37
.LBB1850_456:                           ;   in Loop: Header=BB1850_392 Depth=2
	s_or_b32 exec_lo, exec_lo, s16
	v_cmp_lt_i16_e32 vcc_lo, -1, v38
	; wave barrier
	v_cndmask_b32_e64 v37, -1, 0xffff8000, vcc_lo
	s_delay_alu instid0(VALU_DEP_1) | instskip(NEXT) | instid1(VALU_DEP_1)
	v_xor_b32_e32 v197, v37, v38
	v_cmp_ne_u16_e64 vcc_lo, 0x7fff, v197
	v_cndmask_b32_e32 v37, 0xffff8000, v197, vcc_lo
	s_delay_alu instid0(VALU_DEP_1) | instskip(NEXT) | instid1(VALU_DEP_1)
	v_and_b32_e32 v37, 0xffff, v37
	v_lshrrev_b32_e32 v37, s48, v37
	s_delay_alu instid0(VALU_DEP_1) | instskip(NEXT) | instid1(VALU_DEP_1)
	v_and_b32_e32 v37, s55, v37
	v_and_b32_e32 v38, 1, v37
	v_lshlrev_b32_e32 v39, 30, v37
	v_lshlrev_b32_e32 v40, 29, v37
	;; [unrolled: 1-line block ×4, first 2 shown]
	v_add_co_u32 v38, s16, v38, -1
	s_delay_alu instid0(VALU_DEP_1)
	v_cndmask_b32_e64 v42, 0, 1, s16
	v_not_b32_e32 v203, v39
	v_cmp_gt_i32_e64 s16, 0, v39
	v_not_b32_e32 v39, v40
	v_lshlrev_b32_e32 v201, 26, v37
	v_cmp_ne_u32_e32 vcc_lo, 0, v42
	v_ashrrev_i32_e32 v203, 31, v203
	v_lshlrev_b32_e32 v202, 25, v37
	v_ashrrev_i32_e32 v39, 31, v39
	v_lshlrev_b32_e32 v42, 24, v37
	v_xor_b32_e32 v38, vcc_lo, v38
	v_cmp_gt_i32_e32 vcc_lo, 0, v40
	v_not_b32_e32 v40, v41
	v_xor_b32_e32 v203, s16, v203
	v_cmp_gt_i32_e64 s16, 0, v41
	v_and_b32_e32 v38, exec_lo, v38
	v_not_b32_e32 v41, v43
	v_ashrrev_i32_e32 v40, 31, v40
	v_xor_b32_e32 v39, vcc_lo, v39
	v_cmp_gt_i32_e32 vcc_lo, 0, v43
	v_and_b32_e32 v38, v38, v203
	v_not_b32_e32 v43, v201
	v_ashrrev_i32_e32 v41, 31, v41
	v_xor_b32_e32 v40, s16, v40
	v_cmp_gt_i32_e64 s16, 0, v201
	v_and_b32_e32 v38, v38, v39
	v_not_b32_e32 v39, v202
	v_ashrrev_i32_e32 v43, 31, v43
	v_xor_b32_e32 v41, vcc_lo, v41
	v_cmp_gt_i32_e32 vcc_lo, 0, v202
	v_and_b32_e32 v38, v38, v40
	v_not_b32_e32 v40, v42
	v_ashrrev_i32_e32 v39, 31, v39
	v_xor_b32_e32 v43, s16, v43
	v_mul_u32_u24_e32 v37, 9, v37
	v_and_b32_e32 v38, v38, v41
	v_cmp_gt_i32_e64 s16, 0, v42
	v_ashrrev_i32_e32 v40, 31, v40
	v_xor_b32_e32 v39, vcc_lo, v39
	v_add_lshl_u32 v41, v37, v126, 2
	v_and_b32_e32 v38, v38, v43
	s_delay_alu instid0(VALU_DEP_4) | instskip(SKIP_3) | instid1(VALU_DEP_2)
	v_xor_b32_e32 v37, s16, v40
	ds_load_b32 v202, v41 offset:1056
	v_and_b32_e32 v38, v38, v39
	v_add_nc_u32_e32 v204, 0x420, v41
	; wave barrier
	v_and_b32_e32 v37, v38, v37
	s_delay_alu instid0(VALU_DEP_1) | instskip(SKIP_1) | instid1(VALU_DEP_2)
	v_mbcnt_lo_u32_b32 v203, v37, 0
	v_cmp_ne_u32_e64 s16, 0, v37
	v_cmp_eq_u32_e32 vcc_lo, 0, v203
	s_delay_alu instid0(VALU_DEP_2) | instskip(NEXT) | instid1(SALU_CYCLE_1)
	s_and_b32 s17, s16, vcc_lo
	s_and_saveexec_b32 s16, s17
	s_cbranch_execz .LBB1850_458
; %bb.457:                              ;   in Loop: Header=BB1850_392 Depth=2
	s_waitcnt lgkmcnt(0)
	v_bcnt_u32_b32 v37, v37, v202
	ds_store_b32 v204, v37
.LBB1850_458:                           ;   in Loop: Header=BB1850_392 Depth=2
	s_or_b32 exec_lo, exec_lo, s16
	v_cmp_lt_i16_e32 vcc_lo, -1, v36
	; wave barrier
	v_cndmask_b32_e64 v37, -1, 0xffff8000, vcc_lo
	s_delay_alu instid0(VALU_DEP_1) | instskip(NEXT) | instid1(VALU_DEP_1)
	v_xor_b32_e32 v201, v37, v36
	v_cmp_ne_u16_e64 vcc_lo, 0x7fff, v201
	v_cndmask_b32_e32 v36, 0xffff8000, v201, vcc_lo
	s_delay_alu instid0(VALU_DEP_1) | instskip(NEXT) | instid1(VALU_DEP_1)
	v_and_b32_e32 v36, 0xffff, v36
	v_lshrrev_b32_e32 v36, s48, v36
	s_delay_alu instid0(VALU_DEP_1) | instskip(NEXT) | instid1(VALU_DEP_1)
	v_and_b32_e32 v36, s55, v36
	v_and_b32_e32 v37, 1, v36
	v_lshlrev_b32_e32 v38, 30, v36
	v_lshlrev_b32_e32 v39, 29, v36
	;; [unrolled: 1-line block ×4, first 2 shown]
	v_add_co_u32 v37, s16, v37, -1
	s_delay_alu instid0(VALU_DEP_1)
	v_cndmask_b32_e64 v41, 0, 1, s16
	v_not_b32_e32 v206, v38
	v_cmp_gt_i32_e64 s16, 0, v38
	v_not_b32_e32 v38, v39
	v_lshlrev_b32_e32 v43, 26, v36
	v_cmp_ne_u32_e32 vcc_lo, 0, v41
	v_ashrrev_i32_e32 v206, 31, v206
	v_lshlrev_b32_e32 v205, 25, v36
	v_ashrrev_i32_e32 v38, 31, v38
	v_lshlrev_b32_e32 v41, 24, v36
	v_xor_b32_e32 v37, vcc_lo, v37
	v_cmp_gt_i32_e32 vcc_lo, 0, v39
	v_not_b32_e32 v39, v40
	v_xor_b32_e32 v206, s16, v206
	v_cmp_gt_i32_e64 s16, 0, v40
	v_and_b32_e32 v37, exec_lo, v37
	v_not_b32_e32 v40, v42
	v_ashrrev_i32_e32 v39, 31, v39
	v_xor_b32_e32 v38, vcc_lo, v38
	v_cmp_gt_i32_e32 vcc_lo, 0, v42
	v_and_b32_e32 v37, v37, v206
	v_not_b32_e32 v42, v43
	v_ashrrev_i32_e32 v40, 31, v40
	v_xor_b32_e32 v39, s16, v39
	v_cmp_gt_i32_e64 s16, 0, v43
	v_and_b32_e32 v37, v37, v38
	v_not_b32_e32 v38, v205
	v_ashrrev_i32_e32 v42, 31, v42
	v_xor_b32_e32 v40, vcc_lo, v40
	v_cmp_gt_i32_e32 vcc_lo, 0, v205
	v_and_b32_e32 v37, v37, v39
	v_not_b32_e32 v39, v41
	v_ashrrev_i32_e32 v38, 31, v38
	v_xor_b32_e32 v42, s16, v42
	v_mul_u32_u24_e32 v36, 9, v36
	v_and_b32_e32 v37, v37, v40
	v_cmp_gt_i32_e64 s16, 0, v41
	v_ashrrev_i32_e32 v39, 31, v39
	v_xor_b32_e32 v38, vcc_lo, v38
	v_add_lshl_u32 v40, v36, v126, 2
	v_and_b32_e32 v37, v37, v42
	s_delay_alu instid0(VALU_DEP_4) | instskip(SKIP_3) | instid1(VALU_DEP_2)
	v_xor_b32_e32 v36, s16, v39
	ds_load_b32 v205, v40 offset:1056
	v_and_b32_e32 v37, v37, v38
	v_add_nc_u32_e32 v207, 0x420, v40
	; wave barrier
	v_and_b32_e32 v36, v37, v36
	s_delay_alu instid0(VALU_DEP_1) | instskip(SKIP_1) | instid1(VALU_DEP_2)
	v_mbcnt_lo_u32_b32 v206, v36, 0
	v_cmp_ne_u32_e64 s16, 0, v36
	v_cmp_eq_u32_e32 vcc_lo, 0, v206
	s_delay_alu instid0(VALU_DEP_2) | instskip(NEXT) | instid1(SALU_CYCLE_1)
	s_and_b32 s17, s16, vcc_lo
	s_and_saveexec_b32 s16, s17
	s_cbranch_execz .LBB1850_460
; %bb.459:                              ;   in Loop: Header=BB1850_392 Depth=2
	s_waitcnt lgkmcnt(0)
	v_bcnt_u32_b32 v36, v36, v205
	ds_store_b32 v207, v36
.LBB1850_460:                           ;   in Loop: Header=BB1850_392 Depth=2
	s_or_b32 exec_lo, exec_lo, s16
	; wave barrier
	s_waitcnt lgkmcnt(0)
	s_barrier
	buffer_gl0_inv
	ds_load_b32 v208, v69 offset:1056
	ds_load_2addr_b32 v[42:43], v71 offset0:1 offset1:2
	ds_load_2addr_b32 v[40:41], v71 offset0:3 offset1:4
	;; [unrolled: 1-line block ×4, first 2 shown]
	s_waitcnt lgkmcnt(3)
	v_add3_u32 v209, v42, v208, v43
	s_waitcnt lgkmcnt(2)
	s_delay_alu instid0(VALU_DEP_1) | instskip(SKIP_1) | instid1(VALU_DEP_1)
	v_add3_u32 v209, v209, v40, v41
	s_waitcnt lgkmcnt(1)
	v_add3_u32 v209, v209, v36, v37
	s_waitcnt lgkmcnt(0)
	s_delay_alu instid0(VALU_DEP_1) | instskip(NEXT) | instid1(VALU_DEP_1)
	v_add3_u32 v39, v209, v38, v39
	v_mov_b32_dpp v209, v39 row_shr:1 row_mask:0xf bank_mask:0xf
	s_delay_alu instid0(VALU_DEP_1) | instskip(NEXT) | instid1(VALU_DEP_1)
	v_cndmask_b32_e64 v209, v209, 0, s0
	v_add_nc_u32_e32 v39, v209, v39
	s_delay_alu instid0(VALU_DEP_1) | instskip(NEXT) | instid1(VALU_DEP_1)
	v_mov_b32_dpp v209, v39 row_shr:2 row_mask:0xf bank_mask:0xf
	v_cndmask_b32_e64 v209, 0, v209, s1
	s_delay_alu instid0(VALU_DEP_1) | instskip(NEXT) | instid1(VALU_DEP_1)
	v_add_nc_u32_e32 v39, v39, v209
	v_mov_b32_dpp v209, v39 row_shr:4 row_mask:0xf bank_mask:0xf
	s_delay_alu instid0(VALU_DEP_1) | instskip(NEXT) | instid1(VALU_DEP_1)
	v_cndmask_b32_e64 v209, 0, v209, s8
	v_add_nc_u32_e32 v39, v39, v209
	s_delay_alu instid0(VALU_DEP_1) | instskip(NEXT) | instid1(VALU_DEP_1)
	v_mov_b32_dpp v209, v39 row_shr:8 row_mask:0xf bank_mask:0xf
	v_cndmask_b32_e64 v209, 0, v209, s9
	s_delay_alu instid0(VALU_DEP_1) | instskip(SKIP_3) | instid1(VALU_DEP_1)
	v_add_nc_u32_e32 v39, v39, v209
	ds_swizzle_b32 v209, v39 offset:swizzle(BROADCAST,32,15)
	s_waitcnt lgkmcnt(0)
	v_cndmask_b32_e64 v209, v209, 0, s10
	v_add_nc_u32_e32 v39, v39, v209
	s_and_saveexec_b32 s16, s3
	s_cbranch_execz .LBB1850_462
; %bb.461:                              ;   in Loop: Header=BB1850_392 Depth=2
	ds_store_b32 v62, v39 offset:1024
.LBB1850_462:                           ;   in Loop: Header=BB1850_392 Depth=2
	s_or_b32 exec_lo, exec_lo, s16
	s_waitcnt lgkmcnt(0)
	s_barrier
	buffer_gl0_inv
	s_and_saveexec_b32 s16, s4
	s_cbranch_execz .LBB1850_464
; %bb.463:                              ;   in Loop: Header=BB1850_392 Depth=2
	ds_load_b32 v209, v72 offset:1024
	s_waitcnt lgkmcnt(0)
	v_mov_b32_dpp v210, v209 row_shr:1 row_mask:0xf bank_mask:0xf
	s_delay_alu instid0(VALU_DEP_1) | instskip(NEXT) | instid1(VALU_DEP_1)
	v_cndmask_b32_e64 v210, v210, 0, s12
	v_add_nc_u32_e32 v209, v210, v209
	s_delay_alu instid0(VALU_DEP_1) | instskip(NEXT) | instid1(VALU_DEP_1)
	v_mov_b32_dpp v210, v209 row_shr:2 row_mask:0xf bank_mask:0xf
	v_cndmask_b32_e64 v210, 0, v210, s13
	s_delay_alu instid0(VALU_DEP_1) | instskip(NEXT) | instid1(VALU_DEP_1)
	v_add_nc_u32_e32 v209, v209, v210
	v_mov_b32_dpp v210, v209 row_shr:4 row_mask:0xf bank_mask:0xf
	s_delay_alu instid0(VALU_DEP_1) | instskip(NEXT) | instid1(VALU_DEP_1)
	v_cndmask_b32_e64 v210, 0, v210, s14
	v_add_nc_u32_e32 v209, v209, v210
	ds_store_b32 v72, v209 offset:1024
.LBB1850_464:                           ;   in Loop: Header=BB1850_392 Depth=2
	s_or_b32 exec_lo, exec_lo, s16
	v_mov_b32_e32 v209, 0
	s_waitcnt lgkmcnt(0)
	s_barrier
	buffer_gl0_inv
	s_and_saveexec_b32 s16, s5
	s_cbranch_execz .LBB1850_466
; %bb.465:                              ;   in Loop: Header=BB1850_392 Depth=2
	ds_load_b32 v209, v62 offset:1020
.LBB1850_466:                           ;   in Loop: Header=BB1850_392 Depth=2
	s_or_b32 exec_lo, exec_lo, s16
	s_waitcnt lgkmcnt(0)
	v_add_nc_u32_e32 v39, v209, v39
	ds_bpermute_b32 v39, v105, v39
	s_waitcnt lgkmcnt(0)
	v_cndmask_b32_e64 v39, v39, v209, s11
	s_delay_alu instid0(VALU_DEP_1) | instskip(NEXT) | instid1(VALU_DEP_1)
	v_cndmask_b32_e64 v39, v39, 0, s6
	v_add_nc_u32_e32 v208, v39, v208
	s_delay_alu instid0(VALU_DEP_1) | instskip(NEXT) | instid1(VALU_DEP_1)
	v_add_nc_u32_e32 v42, v208, v42
	v_add_nc_u32_e32 v43, v42, v43
	s_delay_alu instid0(VALU_DEP_1) | instskip(NEXT) | instid1(VALU_DEP_1)
	v_add_nc_u32_e32 v40, v43, v40
	;; [unrolled: 3-line block ×3, first 2 shown]
	v_add_nc_u32_e32 v37, v36, v37
	s_delay_alu instid0(VALU_DEP_1)
	v_add_nc_u32_e32 v38, v37, v38
	ds_store_b32 v69, v39 offset:1056
	ds_store_2addr_b32 v71, v208, v42 offset0:1 offset1:2
	ds_store_2addr_b32 v71, v43, v40 offset0:3 offset1:4
	;; [unrolled: 1-line block ×4, first 2 shown]
	v_mov_b32_e32 v38, 0x1000
	s_waitcnt lgkmcnt(0)
	s_barrier
	buffer_gl0_inv
	ds_load_b32 v39, v152
	ds_load_b32 v40, v156
	;; [unrolled: 1-line block ×16, first 2 shown]
	ds_load_b32 v156, v69 offset:1056
	s_and_saveexec_b32 s16, s7
	s_cbranch_execz .LBB1850_468
; %bb.467:                              ;   in Loop: Header=BB1850_392 Depth=2
	ds_load_b32 v38, v73 offset:1056
.LBB1850_468:                           ;   in Loop: Header=BB1850_392 Depth=2
	s_or_b32 exec_lo, exec_lo, s16
	s_waitcnt lgkmcnt(0)
	s_barrier
	buffer_gl0_inv
	s_and_saveexec_b32 s16, s2
	s_cbranch_execz .LBB1850_470
; %bb.469:                              ;   in Loop: Header=BB1850_392 Depth=2
	ds_load_b32 v160, v44
	s_waitcnt lgkmcnt(0)
	v_sub_nc_u32_e32 v156, v160, v156
	ds_store_b32 v44, v156
.LBB1850_470:                           ;   in Loop: Header=BB1850_392 Depth=2
	s_or_b32 exec_lo, exec_lo, s16
	v_add_nc_u32_e32 v168, v148, v147
	v_add3_u32 v164, v151, v150, v39
	v_add3_u32 v160, v155, v154, v40
	;; [unrolled: 1-line block ×5, first 2 shown]
	v_lshlrev_b32_e32 v158, 1, v168
	v_add3_u32 v43, v199, v198, v36
	v_lshlrev_b32_e32 v36, 1, v164
	v_add3_u32 v152, v172, v171, v173
	v_add3_u32 v151, v175, v174, v176
	ds_store_b16 v158, v2 offset:1024
	v_lshlrev_b32_e32 v2, 1, v160
	ds_store_b16 v36, v146 offset:1024
	v_lshlrev_b32_e32 v36, 1, v154
	v_add3_u32 v150, v179, v178, v180
	v_add3_u32 v42, v203, v202, v37
	v_lshlrev_b32_e32 v37, 1, v156
	v_add3_u32 v148, v183, v182, v184
	v_lshlrev_b32_e32 v158, 1, v155
	v_add3_u32 v147, v187, v186, v188
	v_add3_u32 v40, v191, v190, v192
	ds_store_b16 v2, v149 offset:1024
	ds_store_b16 v37, v153 offset:1024
	;; [unrolled: 1-line block ×3, first 2 shown]
	v_lshlrev_b32_e32 v2, 1, v152
	ds_store_b16 v36, v161 offset:1024
	v_lshlrev_b32_e32 v36, 1, v151
	v_lshlrev_b32_e32 v37, 1, v150
	;; [unrolled: 1-line block ×3, first 2 shown]
	v_add3_u32 v39, v195, v194, v196
	v_add3_u32 v41, v206, v205, v41
	ds_store_b16 v2, v165 offset:1024
	v_lshlrev_b32_e32 v2, 1, v147
	ds_store_b16 v36, v170 offset:1024
	ds_store_b16 v37, v169 offset:1024
	;; [unrolled: 1-line block ×3, first 2 shown]
	v_lshlrev_b32_e32 v36, 1, v40
	v_cmp_lt_u32_e32 vcc_lo, v1, v145
	v_lshlrev_b32_e32 v37, 1, v43
	ds_store_b16 v2, v181 offset:1024
	v_lshlrev_b32_e32 v2, 1, v39
	ds_store_b16 v36, v185 offset:1024
	v_lshlrev_b32_e32 v36, 1, v41
	v_lshlrev_b32_e32 v146, 1, v42
	ds_store_b16 v2, v189 offset:1024
	ds_store_b16 v37, v193 offset:1024
	ds_store_b16 v146, v197 offset:1024
	ds_store_b16 v36, v201 offset:1024
	s_waitcnt lgkmcnt(0)
	s_barrier
	buffer_gl0_inv
	s_and_saveexec_b32 s17, vcc_lo
	s_cbranch_execz .LBB1850_486
; %bb.471:                              ;   in Loop: Header=BB1850_392 Depth=2
	v_add_nc_u32_e32 v2, v72, v78
	ds_load_u16 v146, v2 offset:1024
	s_waitcnt lgkmcnt(0)
	v_cmp_ne_u16_e64 s16, 0x7fff, v146
	s_delay_alu instid0(VALU_DEP_1) | instskip(SKIP_1) | instid1(VALU_DEP_2)
	v_cndmask_b32_e64 v2, 0xffff8000, v146, s16
	v_cmp_lt_i16_e64 s16, -1, v146
	v_and_b32_e32 v2, 0xffff, v2
	s_delay_alu instid0(VALU_DEP_2) | instskip(NEXT) | instid1(VALU_DEP_2)
	v_cndmask_b32_e64 v149, 0xffff8000, -1, s16
	v_lshrrev_b32_e32 v2, s48, v2
	s_delay_alu instid0(VALU_DEP_1) | instskip(NEXT) | instid1(VALU_DEP_1)
	v_and_b32_e32 v2, s55, v2
	v_lshlrev_b32_e32 v2, 2, v2
	ds_load_b32 v2, v2
	s_waitcnt lgkmcnt(0)
	v_add_nc_u32_e32 v2, v2, v1
	s_delay_alu instid0(VALU_DEP_1) | instskip(SKIP_1) | instid1(VALU_DEP_2)
	v_lshlrev_b64 v[36:37], 1, v[2:3]
	v_xor_b32_e32 v2, v149, v146
	v_add_co_u32 v36, s16, s40, v36
	s_delay_alu instid0(VALU_DEP_1) | instskip(SKIP_3) | instid1(VALU_DEP_1)
	v_add_co_ci_u32_e64 v37, s16, s41, v37, s16
	global_store_b16 v[36:37], v2, off
	s_or_b32 exec_lo, exec_lo, s17
	v_cmp_lt_u32_e64 s16, v45, v145
	s_and_saveexec_b32 s18, s16
	s_cbranch_execnz .LBB1850_487
.LBB1850_472:                           ;   in Loop: Header=BB1850_392 Depth=2
	s_or_b32 exec_lo, exec_lo, s18
	v_cmp_lt_u32_e64 s17, v46, v145
	s_delay_alu instid0(VALU_DEP_1)
	s_and_saveexec_b32 s19, s17
	s_cbranch_execz .LBB1850_488
.LBB1850_473:                           ;   in Loop: Header=BB1850_392 Depth=2
	ds_load_u16 v146, v79 offset:1024
	s_waitcnt lgkmcnt(0)
	v_cmp_ne_u16_e64 s18, 0x7fff, v146
	s_delay_alu instid0(VALU_DEP_1) | instskip(SKIP_1) | instid1(VALU_DEP_2)
	v_cndmask_b32_e64 v2, 0xffff8000, v146, s18
	v_cmp_lt_i16_e64 s18, -1, v146
	v_and_b32_e32 v2, 0xffff, v2
	s_delay_alu instid0(VALU_DEP_2) | instskip(NEXT) | instid1(VALU_DEP_2)
	v_cndmask_b32_e64 v149, 0xffff8000, -1, s18
	v_lshrrev_b32_e32 v2, s48, v2
	s_delay_alu instid0(VALU_DEP_1) | instskip(NEXT) | instid1(VALU_DEP_1)
	v_and_b32_e32 v2, s55, v2
	v_lshlrev_b32_e32 v2, 2, v2
	ds_load_b32 v2, v2
	s_waitcnt lgkmcnt(0)
	v_add_nc_u32_e32 v2, v2, v46
	s_delay_alu instid0(VALU_DEP_1) | instskip(SKIP_1) | instid1(VALU_DEP_2)
	v_lshlrev_b64 v[36:37], 1, v[2:3]
	v_xor_b32_e32 v2, v149, v146
	v_add_co_u32 v36, s18, s40, v36
	s_delay_alu instid0(VALU_DEP_1) | instskip(SKIP_3) | instid1(VALU_DEP_1)
	v_add_co_ci_u32_e64 v37, s18, s41, v37, s18
	global_store_b16 v[36:37], v2, off
	s_or_b32 exec_lo, exec_lo, s19
	v_cmp_lt_u32_e64 s18, v47, v145
	s_and_saveexec_b32 s20, s18
	s_cbranch_execnz .LBB1850_489
.LBB1850_474:                           ;   in Loop: Header=BB1850_392 Depth=2
	s_or_b32 exec_lo, exec_lo, s20
	v_cmp_lt_u32_e64 s19, v51, v145
	s_delay_alu instid0(VALU_DEP_1)
	s_and_saveexec_b32 s21, s19
	s_cbranch_execz .LBB1850_490
.LBB1850_475:                           ;   in Loop: Header=BB1850_392 Depth=2
	ds_load_u16 v146, v79 offset:2048
	s_waitcnt lgkmcnt(0)
	v_cmp_ne_u16_e64 s20, 0x7fff, v146
	s_delay_alu instid0(VALU_DEP_1) | instskip(SKIP_1) | instid1(VALU_DEP_2)
	v_cndmask_b32_e64 v2, 0xffff8000, v146, s20
	v_cmp_lt_i16_e64 s20, -1, v146
	v_and_b32_e32 v2, 0xffff, v2
	s_delay_alu instid0(VALU_DEP_2) | instskip(NEXT) | instid1(VALU_DEP_2)
	v_cndmask_b32_e64 v149, 0xffff8000, -1, s20
	v_lshrrev_b32_e32 v2, s48, v2
	s_delay_alu instid0(VALU_DEP_1) | instskip(NEXT) | instid1(VALU_DEP_1)
	v_and_b32_e32 v2, s55, v2
	v_lshlrev_b32_e32 v2, 2, v2
	ds_load_b32 v2, v2
	s_waitcnt lgkmcnt(0)
	v_add_nc_u32_e32 v2, v2, v51
	s_delay_alu instid0(VALU_DEP_1) | instskip(SKIP_1) | instid1(VALU_DEP_2)
	v_lshlrev_b64 v[36:37], 1, v[2:3]
	v_xor_b32_e32 v2, v149, v146
	v_add_co_u32 v36, s20, s40, v36
	s_delay_alu instid0(VALU_DEP_1) | instskip(SKIP_3) | instid1(VALU_DEP_1)
	v_add_co_ci_u32_e64 v37, s20, s41, v37, s20
	global_store_b16 v[36:37], v2, off
	s_or_b32 exec_lo, exec_lo, s21
	v_cmp_lt_u32_e64 s20, v52, v145
	s_and_saveexec_b32 s22, s20
	s_cbranch_execnz .LBB1850_491
.LBB1850_476:                           ;   in Loop: Header=BB1850_392 Depth=2
	s_or_b32 exec_lo, exec_lo, s22
	v_cmp_lt_u32_e64 s21, v53, v145
	s_delay_alu instid0(VALU_DEP_1)
	s_and_saveexec_b32 s23, s21
	s_cbranch_execz .LBB1850_492
.LBB1850_477:                           ;   in Loop: Header=BB1850_392 Depth=2
	ds_load_u16 v146, v79 offset:3072
	s_waitcnt lgkmcnt(0)
	v_cmp_ne_u16_e64 s22, 0x7fff, v146
	s_delay_alu instid0(VALU_DEP_1) | instskip(SKIP_1) | instid1(VALU_DEP_2)
	v_cndmask_b32_e64 v2, 0xffff8000, v146, s22
	v_cmp_lt_i16_e64 s22, -1, v146
	v_and_b32_e32 v2, 0xffff, v2
	s_delay_alu instid0(VALU_DEP_2) | instskip(NEXT) | instid1(VALU_DEP_2)
	v_cndmask_b32_e64 v149, 0xffff8000, -1, s22
	v_lshrrev_b32_e32 v2, s48, v2
	s_delay_alu instid0(VALU_DEP_1) | instskip(NEXT) | instid1(VALU_DEP_1)
	v_and_b32_e32 v2, s55, v2
	v_lshlrev_b32_e32 v2, 2, v2
	ds_load_b32 v2, v2
	s_waitcnt lgkmcnt(0)
	v_add_nc_u32_e32 v2, v2, v53
	s_delay_alu instid0(VALU_DEP_1) | instskip(SKIP_1) | instid1(VALU_DEP_2)
	v_lshlrev_b64 v[36:37], 1, v[2:3]
	v_xor_b32_e32 v2, v149, v146
	v_add_co_u32 v36, s22, s40, v36
	s_delay_alu instid0(VALU_DEP_1) | instskip(SKIP_3) | instid1(VALU_DEP_1)
	v_add_co_ci_u32_e64 v37, s22, s41, v37, s22
	global_store_b16 v[36:37], v2, off
	s_or_b32 exec_lo, exec_lo, s23
	v_cmp_lt_u32_e64 s22, v54, v145
	s_and_saveexec_b32 s24, s22
	s_cbranch_execnz .LBB1850_493
.LBB1850_478:                           ;   in Loop: Header=BB1850_392 Depth=2
	s_or_b32 exec_lo, exec_lo, s24
	v_cmp_lt_u32_e64 s23, v55, v145
	s_delay_alu instid0(VALU_DEP_1)
	s_and_saveexec_b32 s25, s23
	s_cbranch_execz .LBB1850_494
.LBB1850_479:                           ;   in Loop: Header=BB1850_392 Depth=2
	ds_load_u16 v146, v79 offset:4096
	s_waitcnt lgkmcnt(0)
	v_cmp_ne_u16_e64 s24, 0x7fff, v146
	s_delay_alu instid0(VALU_DEP_1) | instskip(SKIP_1) | instid1(VALU_DEP_2)
	v_cndmask_b32_e64 v2, 0xffff8000, v146, s24
	v_cmp_lt_i16_e64 s24, -1, v146
	v_and_b32_e32 v2, 0xffff, v2
	s_delay_alu instid0(VALU_DEP_2) | instskip(NEXT) | instid1(VALU_DEP_2)
	v_cndmask_b32_e64 v149, 0xffff8000, -1, s24
	v_lshrrev_b32_e32 v2, s48, v2
	s_delay_alu instid0(VALU_DEP_1) | instskip(NEXT) | instid1(VALU_DEP_1)
	v_and_b32_e32 v2, s55, v2
	v_lshlrev_b32_e32 v2, 2, v2
	ds_load_b32 v2, v2
	s_waitcnt lgkmcnt(0)
	v_add_nc_u32_e32 v2, v2, v55
	s_delay_alu instid0(VALU_DEP_1) | instskip(SKIP_1) | instid1(VALU_DEP_2)
	v_lshlrev_b64 v[36:37], 1, v[2:3]
	v_xor_b32_e32 v2, v149, v146
	v_add_co_u32 v36, s24, s40, v36
	s_delay_alu instid0(VALU_DEP_1) | instskip(SKIP_3) | instid1(VALU_DEP_1)
	v_add_co_ci_u32_e64 v37, s24, s41, v37, s24
	global_store_b16 v[36:37], v2, off
	s_or_b32 exec_lo, exec_lo, s25
	v_cmp_lt_u32_e64 s24, v56, v145
	s_and_saveexec_b32 s27, s24
	s_cbranch_execnz .LBB1850_495
.LBB1850_480:                           ;   in Loop: Header=BB1850_392 Depth=2
	s_or_b32 exec_lo, exec_lo, s27
	v_cmp_lt_u32_e64 s25, v57, v145
	s_delay_alu instid0(VALU_DEP_1)
	s_and_saveexec_b32 s28, s25
	s_cbranch_execz .LBB1850_496
.LBB1850_481:                           ;   in Loop: Header=BB1850_392 Depth=2
	ds_load_u16 v146, v79 offset:5120
	s_waitcnt lgkmcnt(0)
	v_cmp_ne_u16_e64 s27, 0x7fff, v146
	s_delay_alu instid0(VALU_DEP_1) | instskip(SKIP_1) | instid1(VALU_DEP_2)
	v_cndmask_b32_e64 v2, 0xffff8000, v146, s27
	v_cmp_lt_i16_e64 s27, -1, v146
	v_and_b32_e32 v2, 0xffff, v2
	s_delay_alu instid0(VALU_DEP_2) | instskip(NEXT) | instid1(VALU_DEP_2)
	v_cndmask_b32_e64 v149, 0xffff8000, -1, s27
	v_lshrrev_b32_e32 v2, s48, v2
	s_delay_alu instid0(VALU_DEP_1) | instskip(NEXT) | instid1(VALU_DEP_1)
	v_and_b32_e32 v2, s55, v2
	v_lshlrev_b32_e32 v2, 2, v2
	ds_load_b32 v2, v2
	s_waitcnt lgkmcnt(0)
	v_add_nc_u32_e32 v2, v2, v57
	s_delay_alu instid0(VALU_DEP_1) | instskip(SKIP_1) | instid1(VALU_DEP_2)
	v_lshlrev_b64 v[36:37], 1, v[2:3]
	v_xor_b32_e32 v2, v149, v146
	v_add_co_u32 v36, s27, s40, v36
	s_delay_alu instid0(VALU_DEP_1) | instskip(SKIP_3) | instid1(VALU_DEP_1)
	v_add_co_ci_u32_e64 v37, s27, s41, v37, s27
	global_store_b16 v[36:37], v2, off
	s_or_b32 exec_lo, exec_lo, s28
	v_cmp_lt_u32_e64 s27, v58, v145
	s_and_saveexec_b32 s29, s27
	s_cbranch_execnz .LBB1850_497
.LBB1850_482:                           ;   in Loop: Header=BB1850_392 Depth=2
	s_or_b32 exec_lo, exec_lo, s29
	v_cmp_lt_u32_e64 s28, v59, v145
	s_delay_alu instid0(VALU_DEP_1)
	s_and_saveexec_b32 s30, s28
	s_cbranch_execz .LBB1850_498
.LBB1850_483:                           ;   in Loop: Header=BB1850_392 Depth=2
	ds_load_u16 v146, v79 offset:6144
	s_waitcnt lgkmcnt(0)
	v_cmp_ne_u16_e64 s29, 0x7fff, v146
	s_delay_alu instid0(VALU_DEP_1) | instskip(SKIP_1) | instid1(VALU_DEP_2)
	v_cndmask_b32_e64 v2, 0xffff8000, v146, s29
	v_cmp_lt_i16_e64 s29, -1, v146
	v_and_b32_e32 v2, 0xffff, v2
	s_delay_alu instid0(VALU_DEP_2) | instskip(NEXT) | instid1(VALU_DEP_2)
	v_cndmask_b32_e64 v149, 0xffff8000, -1, s29
	v_lshrrev_b32_e32 v2, s48, v2
	s_delay_alu instid0(VALU_DEP_1) | instskip(NEXT) | instid1(VALU_DEP_1)
	v_and_b32_e32 v2, s55, v2
	v_lshlrev_b32_e32 v2, 2, v2
	ds_load_b32 v2, v2
	s_waitcnt lgkmcnt(0)
	v_add_nc_u32_e32 v2, v2, v59
	s_delay_alu instid0(VALU_DEP_1) | instskip(SKIP_1) | instid1(VALU_DEP_2)
	v_lshlrev_b64 v[36:37], 1, v[2:3]
	v_xor_b32_e32 v2, v149, v146
	v_add_co_u32 v36, s29, s40, v36
	s_delay_alu instid0(VALU_DEP_1) | instskip(SKIP_3) | instid1(VALU_DEP_1)
	v_add_co_ci_u32_e64 v37, s29, s41, v37, s29
	global_store_b16 v[36:37], v2, off
	s_or_b32 exec_lo, exec_lo, s30
	v_cmp_lt_u32_e64 s29, v60, v145
	s_and_saveexec_b32 s31, s29
	s_cbranch_execnz .LBB1850_499
.LBB1850_484:                           ;   in Loop: Header=BB1850_392 Depth=2
	s_or_b32 exec_lo, exec_lo, s31
	v_cmp_lt_u32_e64 s30, v61, v145
	s_delay_alu instid0(VALU_DEP_1)
	s_and_saveexec_b32 s33, s30
	s_cbranch_execz .LBB1850_500
.LBB1850_485:                           ;   in Loop: Header=BB1850_392 Depth=2
	ds_load_u16 v146, v79 offset:7168
	s_waitcnt lgkmcnt(0)
	v_cmp_ne_u16_e64 s31, 0x7fff, v146
	s_delay_alu instid0(VALU_DEP_1) | instskip(SKIP_1) | instid1(VALU_DEP_2)
	v_cndmask_b32_e64 v2, 0xffff8000, v146, s31
	v_cmp_lt_i16_e64 s31, -1, v146
	v_and_b32_e32 v2, 0xffff, v2
	s_delay_alu instid0(VALU_DEP_2) | instskip(NEXT) | instid1(VALU_DEP_2)
	v_cndmask_b32_e64 v149, 0xffff8000, -1, s31
	v_lshrrev_b32_e32 v2, s48, v2
	s_delay_alu instid0(VALU_DEP_1) | instskip(NEXT) | instid1(VALU_DEP_1)
	v_and_b32_e32 v2, s55, v2
	v_lshlrev_b32_e32 v2, 2, v2
	ds_load_b32 v2, v2
	s_waitcnt lgkmcnt(0)
	v_add_nc_u32_e32 v2, v2, v61
	s_delay_alu instid0(VALU_DEP_1) | instskip(SKIP_1) | instid1(VALU_DEP_2)
	v_lshlrev_b64 v[36:37], 1, v[2:3]
	v_xor_b32_e32 v2, v149, v146
	v_add_co_u32 v36, s31, s40, v36
	s_delay_alu instid0(VALU_DEP_1) | instskip(SKIP_3) | instid1(VALU_DEP_1)
	v_add_co_ci_u32_e64 v37, s31, s41, v37, s31
	global_store_b16 v[36:37], v2, off
	s_or_b32 exec_lo, exec_lo, s33
	v_cmp_lt_u32_e64 s31, v63, v145
	s_and_saveexec_b32 s58, s31
	s_cbranch_execnz .LBB1850_501
	s_branch .LBB1850_502
.LBB1850_486:                           ;   in Loop: Header=BB1850_392 Depth=2
	s_or_b32 exec_lo, exec_lo, s17
	v_cmp_lt_u32_e64 s16, v45, v145
	s_delay_alu instid0(VALU_DEP_1)
	s_and_saveexec_b32 s18, s16
	s_cbranch_execz .LBB1850_472
.LBB1850_487:                           ;   in Loop: Header=BB1850_392 Depth=2
	ds_load_u16 v146, v79 offset:512
	s_waitcnt lgkmcnt(0)
	v_cmp_ne_u16_e64 s17, 0x7fff, v146
	s_delay_alu instid0(VALU_DEP_1) | instskip(SKIP_1) | instid1(VALU_DEP_2)
	v_cndmask_b32_e64 v2, 0xffff8000, v146, s17
	v_cmp_lt_i16_e64 s17, -1, v146
	v_and_b32_e32 v2, 0xffff, v2
	s_delay_alu instid0(VALU_DEP_2) | instskip(NEXT) | instid1(VALU_DEP_2)
	v_cndmask_b32_e64 v149, 0xffff8000, -1, s17
	v_lshrrev_b32_e32 v2, s48, v2
	s_delay_alu instid0(VALU_DEP_1) | instskip(NEXT) | instid1(VALU_DEP_1)
	v_and_b32_e32 v2, s55, v2
	v_lshlrev_b32_e32 v2, 2, v2
	ds_load_b32 v2, v2
	s_waitcnt lgkmcnt(0)
	v_add_nc_u32_e32 v2, v2, v45
	s_delay_alu instid0(VALU_DEP_1) | instskip(SKIP_1) | instid1(VALU_DEP_2)
	v_lshlrev_b64 v[36:37], 1, v[2:3]
	v_xor_b32_e32 v2, v149, v146
	v_add_co_u32 v36, s17, s40, v36
	s_delay_alu instid0(VALU_DEP_1) | instskip(SKIP_3) | instid1(VALU_DEP_1)
	v_add_co_ci_u32_e64 v37, s17, s41, v37, s17
	global_store_b16 v[36:37], v2, off
	s_or_b32 exec_lo, exec_lo, s18
	v_cmp_lt_u32_e64 s17, v46, v145
	s_and_saveexec_b32 s19, s17
	s_cbranch_execnz .LBB1850_473
.LBB1850_488:                           ;   in Loop: Header=BB1850_392 Depth=2
	s_or_b32 exec_lo, exec_lo, s19
	v_cmp_lt_u32_e64 s18, v47, v145
	s_delay_alu instid0(VALU_DEP_1)
	s_and_saveexec_b32 s20, s18
	s_cbranch_execz .LBB1850_474
.LBB1850_489:                           ;   in Loop: Header=BB1850_392 Depth=2
	ds_load_u16 v146, v79 offset:1536
	s_waitcnt lgkmcnt(0)
	v_cmp_ne_u16_e64 s19, 0x7fff, v146
	s_delay_alu instid0(VALU_DEP_1) | instskip(SKIP_1) | instid1(VALU_DEP_2)
	v_cndmask_b32_e64 v2, 0xffff8000, v146, s19
	v_cmp_lt_i16_e64 s19, -1, v146
	v_and_b32_e32 v2, 0xffff, v2
	s_delay_alu instid0(VALU_DEP_2) | instskip(NEXT) | instid1(VALU_DEP_2)
	v_cndmask_b32_e64 v149, 0xffff8000, -1, s19
	v_lshrrev_b32_e32 v2, s48, v2
	s_delay_alu instid0(VALU_DEP_1) | instskip(NEXT) | instid1(VALU_DEP_1)
	v_and_b32_e32 v2, s55, v2
	v_lshlrev_b32_e32 v2, 2, v2
	ds_load_b32 v2, v2
	s_waitcnt lgkmcnt(0)
	v_add_nc_u32_e32 v2, v2, v47
	s_delay_alu instid0(VALU_DEP_1) | instskip(SKIP_1) | instid1(VALU_DEP_2)
	v_lshlrev_b64 v[36:37], 1, v[2:3]
	v_xor_b32_e32 v2, v149, v146
	v_add_co_u32 v36, s19, s40, v36
	s_delay_alu instid0(VALU_DEP_1) | instskip(SKIP_3) | instid1(VALU_DEP_1)
	v_add_co_ci_u32_e64 v37, s19, s41, v37, s19
	global_store_b16 v[36:37], v2, off
	s_or_b32 exec_lo, exec_lo, s20
	v_cmp_lt_u32_e64 s19, v51, v145
	s_and_saveexec_b32 s21, s19
	s_cbranch_execnz .LBB1850_475
.LBB1850_490:                           ;   in Loop: Header=BB1850_392 Depth=2
	s_or_b32 exec_lo, exec_lo, s21
	v_cmp_lt_u32_e64 s20, v52, v145
	s_delay_alu instid0(VALU_DEP_1)
	s_and_saveexec_b32 s22, s20
	s_cbranch_execz .LBB1850_476
.LBB1850_491:                           ;   in Loop: Header=BB1850_392 Depth=2
	ds_load_u16 v146, v79 offset:2560
	s_waitcnt lgkmcnt(0)
	v_cmp_ne_u16_e64 s21, 0x7fff, v146
	s_delay_alu instid0(VALU_DEP_1) | instskip(SKIP_1) | instid1(VALU_DEP_2)
	v_cndmask_b32_e64 v2, 0xffff8000, v146, s21
	v_cmp_lt_i16_e64 s21, -1, v146
	v_and_b32_e32 v2, 0xffff, v2
	s_delay_alu instid0(VALU_DEP_2) | instskip(NEXT) | instid1(VALU_DEP_2)
	v_cndmask_b32_e64 v149, 0xffff8000, -1, s21
	v_lshrrev_b32_e32 v2, s48, v2
	s_delay_alu instid0(VALU_DEP_1) | instskip(NEXT) | instid1(VALU_DEP_1)
	v_and_b32_e32 v2, s55, v2
	v_lshlrev_b32_e32 v2, 2, v2
	ds_load_b32 v2, v2
	s_waitcnt lgkmcnt(0)
	v_add_nc_u32_e32 v2, v2, v52
	s_delay_alu instid0(VALU_DEP_1) | instskip(SKIP_1) | instid1(VALU_DEP_2)
	v_lshlrev_b64 v[36:37], 1, v[2:3]
	v_xor_b32_e32 v2, v149, v146
	v_add_co_u32 v36, s21, s40, v36
	s_delay_alu instid0(VALU_DEP_1) | instskip(SKIP_3) | instid1(VALU_DEP_1)
	v_add_co_ci_u32_e64 v37, s21, s41, v37, s21
	global_store_b16 v[36:37], v2, off
	s_or_b32 exec_lo, exec_lo, s22
	v_cmp_lt_u32_e64 s21, v53, v145
	s_and_saveexec_b32 s23, s21
	s_cbranch_execnz .LBB1850_477
.LBB1850_492:                           ;   in Loop: Header=BB1850_392 Depth=2
	s_or_b32 exec_lo, exec_lo, s23
	v_cmp_lt_u32_e64 s22, v54, v145
	s_delay_alu instid0(VALU_DEP_1)
	s_and_saveexec_b32 s24, s22
	s_cbranch_execz .LBB1850_478
.LBB1850_493:                           ;   in Loop: Header=BB1850_392 Depth=2
	ds_load_u16 v146, v79 offset:3584
	s_waitcnt lgkmcnt(0)
	v_cmp_ne_u16_e64 s23, 0x7fff, v146
	s_delay_alu instid0(VALU_DEP_1) | instskip(SKIP_1) | instid1(VALU_DEP_2)
	v_cndmask_b32_e64 v2, 0xffff8000, v146, s23
	v_cmp_lt_i16_e64 s23, -1, v146
	v_and_b32_e32 v2, 0xffff, v2
	s_delay_alu instid0(VALU_DEP_2) | instskip(NEXT) | instid1(VALU_DEP_2)
	v_cndmask_b32_e64 v149, 0xffff8000, -1, s23
	v_lshrrev_b32_e32 v2, s48, v2
	s_delay_alu instid0(VALU_DEP_1) | instskip(NEXT) | instid1(VALU_DEP_1)
	v_and_b32_e32 v2, s55, v2
	v_lshlrev_b32_e32 v2, 2, v2
	ds_load_b32 v2, v2
	s_waitcnt lgkmcnt(0)
	v_add_nc_u32_e32 v2, v2, v54
	s_delay_alu instid0(VALU_DEP_1) | instskip(SKIP_1) | instid1(VALU_DEP_2)
	v_lshlrev_b64 v[36:37], 1, v[2:3]
	v_xor_b32_e32 v2, v149, v146
	v_add_co_u32 v36, s23, s40, v36
	s_delay_alu instid0(VALU_DEP_1) | instskip(SKIP_3) | instid1(VALU_DEP_1)
	v_add_co_ci_u32_e64 v37, s23, s41, v37, s23
	global_store_b16 v[36:37], v2, off
	s_or_b32 exec_lo, exec_lo, s24
	v_cmp_lt_u32_e64 s23, v55, v145
	s_and_saveexec_b32 s25, s23
	s_cbranch_execnz .LBB1850_479
.LBB1850_494:                           ;   in Loop: Header=BB1850_392 Depth=2
	s_or_b32 exec_lo, exec_lo, s25
	v_cmp_lt_u32_e64 s24, v56, v145
	s_delay_alu instid0(VALU_DEP_1)
	s_and_saveexec_b32 s27, s24
	s_cbranch_execz .LBB1850_480
.LBB1850_495:                           ;   in Loop: Header=BB1850_392 Depth=2
	ds_load_u16 v146, v79 offset:4608
	s_waitcnt lgkmcnt(0)
	v_cmp_ne_u16_e64 s25, 0x7fff, v146
	s_delay_alu instid0(VALU_DEP_1) | instskip(SKIP_1) | instid1(VALU_DEP_2)
	v_cndmask_b32_e64 v2, 0xffff8000, v146, s25
	v_cmp_lt_i16_e64 s25, -1, v146
	v_and_b32_e32 v2, 0xffff, v2
	s_delay_alu instid0(VALU_DEP_2) | instskip(NEXT) | instid1(VALU_DEP_2)
	v_cndmask_b32_e64 v149, 0xffff8000, -1, s25
	v_lshrrev_b32_e32 v2, s48, v2
	s_delay_alu instid0(VALU_DEP_1) | instskip(NEXT) | instid1(VALU_DEP_1)
	v_and_b32_e32 v2, s55, v2
	v_lshlrev_b32_e32 v2, 2, v2
	ds_load_b32 v2, v2
	s_waitcnt lgkmcnt(0)
	v_add_nc_u32_e32 v2, v2, v56
	s_delay_alu instid0(VALU_DEP_1) | instskip(SKIP_1) | instid1(VALU_DEP_2)
	v_lshlrev_b64 v[36:37], 1, v[2:3]
	v_xor_b32_e32 v2, v149, v146
	v_add_co_u32 v36, s25, s40, v36
	s_delay_alu instid0(VALU_DEP_1) | instskip(SKIP_3) | instid1(VALU_DEP_1)
	v_add_co_ci_u32_e64 v37, s25, s41, v37, s25
	global_store_b16 v[36:37], v2, off
	s_or_b32 exec_lo, exec_lo, s27
	v_cmp_lt_u32_e64 s25, v57, v145
	s_and_saveexec_b32 s28, s25
	s_cbranch_execnz .LBB1850_481
.LBB1850_496:                           ;   in Loop: Header=BB1850_392 Depth=2
	s_or_b32 exec_lo, exec_lo, s28
	v_cmp_lt_u32_e64 s27, v58, v145
	s_delay_alu instid0(VALU_DEP_1)
	s_and_saveexec_b32 s29, s27
	s_cbranch_execz .LBB1850_482
.LBB1850_497:                           ;   in Loop: Header=BB1850_392 Depth=2
	ds_load_u16 v146, v79 offset:5632
	s_waitcnt lgkmcnt(0)
	v_cmp_ne_u16_e64 s28, 0x7fff, v146
	s_delay_alu instid0(VALU_DEP_1) | instskip(SKIP_1) | instid1(VALU_DEP_2)
	v_cndmask_b32_e64 v2, 0xffff8000, v146, s28
	v_cmp_lt_i16_e64 s28, -1, v146
	v_and_b32_e32 v2, 0xffff, v2
	s_delay_alu instid0(VALU_DEP_2) | instskip(NEXT) | instid1(VALU_DEP_2)
	v_cndmask_b32_e64 v149, 0xffff8000, -1, s28
	v_lshrrev_b32_e32 v2, s48, v2
	s_delay_alu instid0(VALU_DEP_1) | instskip(NEXT) | instid1(VALU_DEP_1)
	v_and_b32_e32 v2, s55, v2
	v_lshlrev_b32_e32 v2, 2, v2
	ds_load_b32 v2, v2
	s_waitcnt lgkmcnt(0)
	v_add_nc_u32_e32 v2, v2, v58
	s_delay_alu instid0(VALU_DEP_1) | instskip(SKIP_1) | instid1(VALU_DEP_2)
	v_lshlrev_b64 v[36:37], 1, v[2:3]
	v_xor_b32_e32 v2, v149, v146
	v_add_co_u32 v36, s28, s40, v36
	s_delay_alu instid0(VALU_DEP_1) | instskip(SKIP_3) | instid1(VALU_DEP_1)
	v_add_co_ci_u32_e64 v37, s28, s41, v37, s28
	global_store_b16 v[36:37], v2, off
	s_or_b32 exec_lo, exec_lo, s29
	v_cmp_lt_u32_e64 s28, v59, v145
	s_and_saveexec_b32 s30, s28
	s_cbranch_execnz .LBB1850_483
.LBB1850_498:                           ;   in Loop: Header=BB1850_392 Depth=2
	s_or_b32 exec_lo, exec_lo, s30
	v_cmp_lt_u32_e64 s29, v60, v145
	s_delay_alu instid0(VALU_DEP_1)
	s_and_saveexec_b32 s31, s29
	s_cbranch_execz .LBB1850_484
.LBB1850_499:                           ;   in Loop: Header=BB1850_392 Depth=2
	ds_load_u16 v146, v79 offset:6656
	s_waitcnt lgkmcnt(0)
	v_cmp_ne_u16_e64 s30, 0x7fff, v146
	s_delay_alu instid0(VALU_DEP_1) | instskip(SKIP_1) | instid1(VALU_DEP_2)
	v_cndmask_b32_e64 v2, 0xffff8000, v146, s30
	v_cmp_lt_i16_e64 s30, -1, v146
	v_and_b32_e32 v2, 0xffff, v2
	s_delay_alu instid0(VALU_DEP_2) | instskip(NEXT) | instid1(VALU_DEP_2)
	v_cndmask_b32_e64 v149, 0xffff8000, -1, s30
	v_lshrrev_b32_e32 v2, s48, v2
	s_delay_alu instid0(VALU_DEP_1) | instskip(NEXT) | instid1(VALU_DEP_1)
	v_and_b32_e32 v2, s55, v2
	v_lshlrev_b32_e32 v2, 2, v2
	ds_load_b32 v2, v2
	s_waitcnt lgkmcnt(0)
	v_add_nc_u32_e32 v2, v2, v60
	s_delay_alu instid0(VALU_DEP_1) | instskip(SKIP_1) | instid1(VALU_DEP_2)
	v_lshlrev_b64 v[36:37], 1, v[2:3]
	v_xor_b32_e32 v2, v149, v146
	v_add_co_u32 v36, s30, s40, v36
	s_delay_alu instid0(VALU_DEP_1) | instskip(SKIP_3) | instid1(VALU_DEP_1)
	v_add_co_ci_u32_e64 v37, s30, s41, v37, s30
	global_store_b16 v[36:37], v2, off
	s_or_b32 exec_lo, exec_lo, s31
	v_cmp_lt_u32_e64 s30, v61, v145
	s_and_saveexec_b32 s33, s30
	s_cbranch_execnz .LBB1850_485
.LBB1850_500:                           ;   in Loop: Header=BB1850_392 Depth=2
	s_or_b32 exec_lo, exec_lo, s33
	v_cmp_lt_u32_e64 s31, v63, v145
	s_delay_alu instid0(VALU_DEP_1)
	s_and_saveexec_b32 s58, s31
	s_cbranch_execz .LBB1850_502
.LBB1850_501:                           ;   in Loop: Header=BB1850_392 Depth=2
	ds_load_u16 v146, v79 offset:7680
	s_waitcnt lgkmcnt(0)
	v_cmp_ne_u16_e64 s33, 0x7fff, v146
	s_delay_alu instid0(VALU_DEP_1) | instskip(SKIP_1) | instid1(VALU_DEP_2)
	v_cndmask_b32_e64 v2, 0xffff8000, v146, s33
	v_cmp_lt_i16_e64 s33, -1, v146
	v_and_b32_e32 v2, 0xffff, v2
	s_delay_alu instid0(VALU_DEP_2) | instskip(NEXT) | instid1(VALU_DEP_2)
	v_cndmask_b32_e64 v149, 0xffff8000, -1, s33
	v_lshrrev_b32_e32 v2, s48, v2
	s_delay_alu instid0(VALU_DEP_1) | instskip(NEXT) | instid1(VALU_DEP_1)
	v_and_b32_e32 v2, s55, v2
	v_lshlrev_b32_e32 v2, 2, v2
	ds_load_b32 v2, v2
	s_waitcnt lgkmcnt(0)
	v_add_nc_u32_e32 v2, v2, v63
	s_delay_alu instid0(VALU_DEP_1) | instskip(SKIP_1) | instid1(VALU_DEP_2)
	v_lshlrev_b64 v[36:37], 1, v[2:3]
	v_xor_b32_e32 v2, v149, v146
	v_add_co_u32 v36, s33, s40, v36
	s_delay_alu instid0(VALU_DEP_1)
	v_add_co_ci_u32_e64 v37, s33, s41, v37, s33
	global_store_b16 v[36:37], v2, off
.LBB1850_502:                           ;   in Loop: Header=BB1850_392 Depth=2
	s_or_b32 exec_lo, exec_lo, s58
	s_lshl_b64 s[58:59], s[34:35], 3
	s_delay_alu instid0(SALU_CYCLE_1) | instskip(NEXT) | instid1(VALU_DEP_1)
	v_add_co_u32 v36, s33, v107, s58
	v_add_co_ci_u32_e64 v37, s33, s59, v108, s33
	v_cmp_lt_u32_e64 s33, v106, v145
	s_delay_alu instid0(VALU_DEP_1) | instskip(NEXT) | instid1(SALU_CYCLE_1)
	s_and_saveexec_b32 s34, s33
	s_xor_b32 s33, exec_lo, s34
	s_cbranch_execz .LBB1850_534
; %bb.503:                              ;   in Loop: Header=BB1850_392 Depth=2
	global_load_b64 v[34:35], v[36:37], off
	s_or_b32 exec_lo, exec_lo, s33
	s_delay_alu instid0(SALU_CYCLE_1)
	s_mov_b32 s34, exec_lo
	v_cmpx_lt_u32_e64 v109, v145
	s_cbranch_execnz .LBB1850_535
.LBB1850_504:                           ;   in Loop: Header=BB1850_392 Depth=2
	s_or_b32 exec_lo, exec_lo, s34
	s_delay_alu instid0(SALU_CYCLE_1)
	s_mov_b32 s34, exec_lo
	v_cmpx_lt_u32_e64 v110, v145
	s_cbranch_execz .LBB1850_536
.LBB1850_505:                           ;   in Loop: Header=BB1850_392 Depth=2
	global_load_b64 v[30:31], v[36:37], off offset:512
	s_or_b32 exec_lo, exec_lo, s34
	s_delay_alu instid0(SALU_CYCLE_1)
	s_mov_b32 s34, exec_lo
	v_cmpx_lt_u32_e64 v111, v145
	s_cbranch_execnz .LBB1850_537
.LBB1850_506:                           ;   in Loop: Header=BB1850_392 Depth=2
	s_or_b32 exec_lo, exec_lo, s34
	s_delay_alu instid0(SALU_CYCLE_1)
	s_mov_b32 s34, exec_lo
	v_cmpx_lt_u32_e64 v112, v145
	s_cbranch_execz .LBB1850_538
.LBB1850_507:                           ;   in Loop: Header=BB1850_392 Depth=2
	global_load_b64 v[26:27], v[36:37], off offset:1024
	s_or_b32 exec_lo, exec_lo, s34
	s_delay_alu instid0(SALU_CYCLE_1)
	s_mov_b32 s34, exec_lo
	v_cmpx_lt_u32_e64 v113, v145
	s_cbranch_execnz .LBB1850_539
.LBB1850_508:                           ;   in Loop: Header=BB1850_392 Depth=2
	s_or_b32 exec_lo, exec_lo, s34
	s_delay_alu instid0(SALU_CYCLE_1)
	s_mov_b32 s34, exec_lo
	v_cmpx_lt_u32_e64 v114, v145
	s_cbranch_execz .LBB1850_540
.LBB1850_509:                           ;   in Loop: Header=BB1850_392 Depth=2
	global_load_b64 v[22:23], v[36:37], off offset:1536
	s_or_b32 exec_lo, exec_lo, s34
	s_delay_alu instid0(SALU_CYCLE_1)
	s_mov_b32 s34, exec_lo
	v_cmpx_lt_u32_e64 v115, v145
	s_cbranch_execnz .LBB1850_541
.LBB1850_510:                           ;   in Loop: Header=BB1850_392 Depth=2
	s_or_b32 exec_lo, exec_lo, s34
	s_delay_alu instid0(SALU_CYCLE_1)
	s_mov_b32 s34, exec_lo
	v_cmpx_lt_u32_e64 v116, v145
	s_cbranch_execz .LBB1850_542
.LBB1850_511:                           ;   in Loop: Header=BB1850_392 Depth=2
	global_load_b64 v[18:19], v[36:37], off offset:2048
	s_or_b32 exec_lo, exec_lo, s34
	s_delay_alu instid0(SALU_CYCLE_1)
	s_mov_b32 s34, exec_lo
	v_cmpx_lt_u32_e64 v117, v145
	s_cbranch_execnz .LBB1850_543
.LBB1850_512:                           ;   in Loop: Header=BB1850_392 Depth=2
	s_or_b32 exec_lo, exec_lo, s34
	s_delay_alu instid0(SALU_CYCLE_1)
	s_mov_b32 s34, exec_lo
	v_cmpx_lt_u32_e64 v118, v145
	s_cbranch_execz .LBB1850_544
.LBB1850_513:                           ;   in Loop: Header=BB1850_392 Depth=2
	global_load_b64 v[14:15], v[36:37], off offset:2560
	s_or_b32 exec_lo, exec_lo, s34
	s_delay_alu instid0(SALU_CYCLE_1)
	s_mov_b32 s34, exec_lo
	v_cmpx_lt_u32_e64 v119, v145
	s_cbranch_execnz .LBB1850_545
.LBB1850_514:                           ;   in Loop: Header=BB1850_392 Depth=2
	s_or_b32 exec_lo, exec_lo, s34
	s_delay_alu instid0(SALU_CYCLE_1)
	s_mov_b32 s34, exec_lo
	v_cmpx_lt_u32_e64 v120, v145
	s_cbranch_execz .LBB1850_546
.LBB1850_515:                           ;   in Loop: Header=BB1850_392 Depth=2
	global_load_b64 v[10:11], v[36:37], off offset:3072
	s_or_b32 exec_lo, exec_lo, s34
	s_delay_alu instid0(SALU_CYCLE_1)
	s_mov_b32 s34, exec_lo
	v_cmpx_lt_u32_e64 v121, v145
	s_cbranch_execnz .LBB1850_547
.LBB1850_516:                           ;   in Loop: Header=BB1850_392 Depth=2
	s_or_b32 exec_lo, exec_lo, s34
	s_delay_alu instid0(SALU_CYCLE_1)
	s_mov_b32 s34, exec_lo
	v_cmpx_lt_u32_e64 v122, v145
	s_cbranch_execz .LBB1850_548
.LBB1850_517:                           ;   in Loop: Header=BB1850_392 Depth=2
	global_load_b64 v[6:7], v[36:37], off offset:3584
	s_or_b32 exec_lo, exec_lo, s34
	s_delay_alu instid0(SALU_CYCLE_1)
	s_mov_b32 s34, exec_lo
	v_cmpx_lt_u32_e64 v123, v145
	s_cbranch_execnz .LBB1850_549
.LBB1850_518:                           ;   in Loop: Header=BB1850_392 Depth=2
	s_or_b32 exec_lo, exec_lo, s34
	s_and_saveexec_b32 s34, vcc_lo
	s_cbranch_execz .LBB1850_550
.LBB1850_519:                           ;   in Loop: Header=BB1850_392 Depth=2
	v_add_nc_u32_e32 v2, v72, v78
	ds_load_u16 v2, v2 offset:1024
	s_waitcnt lgkmcnt(0)
	v_cmp_ne_u16_e64 s33, 0x7fff, v2
	s_delay_alu instid0(VALU_DEP_1) | instskip(NEXT) | instid1(VALU_DEP_1)
	v_cndmask_b32_e64 v2, 0xffff8000, v2, s33
	v_and_b32_e32 v2, 0xffff, v2
	s_delay_alu instid0(VALU_DEP_1) | instskip(NEXT) | instid1(VALU_DEP_1)
	v_lshrrev_b32_e32 v2, s48, v2
	v_and_b32_e32 v144, s55, v2
	s_or_b32 exec_lo, exec_lo, s34
	s_and_saveexec_b32 s34, s16
	s_cbranch_execnz .LBB1850_551
.LBB1850_520:                           ;   in Loop: Header=BB1850_392 Depth=2
	s_or_b32 exec_lo, exec_lo, s34
	s_and_saveexec_b32 s34, s17
	s_cbranch_execz .LBB1850_552
.LBB1850_521:                           ;   in Loop: Header=BB1850_392 Depth=2
	ds_load_u16 v2, v79 offset:1024
	s_waitcnt lgkmcnt(0)
	v_cmp_ne_u16_e64 s33, 0x7fff, v2
	s_delay_alu instid0(VALU_DEP_1) | instskip(NEXT) | instid1(VALU_DEP_1)
	v_cndmask_b32_e64 v2, 0xffff8000, v2, s33
	v_and_b32_e32 v2, 0xffff, v2
	s_delay_alu instid0(VALU_DEP_1) | instskip(NEXT) | instid1(VALU_DEP_1)
	v_lshrrev_b32_e32 v2, s48, v2
	v_and_b32_e32 v142, s55, v2
	s_or_b32 exec_lo, exec_lo, s34
	s_and_saveexec_b32 s34, s18
	s_cbranch_execnz .LBB1850_553
.LBB1850_522:                           ;   in Loop: Header=BB1850_392 Depth=2
	s_or_b32 exec_lo, exec_lo, s34
	s_and_saveexec_b32 s34, s19
	s_cbranch_execz .LBB1850_554
.LBB1850_523:                           ;   in Loop: Header=BB1850_392 Depth=2
	ds_load_u16 v2, v79 offset:2048
	s_waitcnt lgkmcnt(0)
	v_cmp_ne_u16_e64 s33, 0x7fff, v2
	s_delay_alu instid0(VALU_DEP_1) | instskip(NEXT) | instid1(VALU_DEP_1)
	v_cndmask_b32_e64 v2, 0xffff8000, v2, s33
	v_and_b32_e32 v2, 0xffff, v2
	s_delay_alu instid0(VALU_DEP_1) | instskip(NEXT) | instid1(VALU_DEP_1)
	v_lshrrev_b32_e32 v2, s48, v2
	v_and_b32_e32 v140, s55, v2
	s_or_b32 exec_lo, exec_lo, s34
	s_and_saveexec_b32 s34, s20
	s_cbranch_execnz .LBB1850_555
.LBB1850_524:                           ;   in Loop: Header=BB1850_392 Depth=2
	s_or_b32 exec_lo, exec_lo, s34
	s_and_saveexec_b32 s34, s21
	s_cbranch_execz .LBB1850_556
.LBB1850_525:                           ;   in Loop: Header=BB1850_392 Depth=2
	ds_load_u16 v2, v79 offset:3072
	s_waitcnt lgkmcnt(0)
	v_cmp_ne_u16_e64 s33, 0x7fff, v2
	s_delay_alu instid0(VALU_DEP_1) | instskip(NEXT) | instid1(VALU_DEP_1)
	v_cndmask_b32_e64 v2, 0xffff8000, v2, s33
	v_and_b32_e32 v2, 0xffff, v2
	s_delay_alu instid0(VALU_DEP_1) | instskip(NEXT) | instid1(VALU_DEP_1)
	v_lshrrev_b32_e32 v2, s48, v2
	v_and_b32_e32 v138, s55, v2
	s_or_b32 exec_lo, exec_lo, s34
	s_and_saveexec_b32 s34, s22
	s_cbranch_execnz .LBB1850_557
.LBB1850_526:                           ;   in Loop: Header=BB1850_392 Depth=2
	s_or_b32 exec_lo, exec_lo, s34
	s_and_saveexec_b32 s34, s23
	s_cbranch_execz .LBB1850_558
.LBB1850_527:                           ;   in Loop: Header=BB1850_392 Depth=2
	ds_load_u16 v2, v79 offset:4096
	s_waitcnt lgkmcnt(0)
	v_cmp_ne_u16_e64 s33, 0x7fff, v2
	s_delay_alu instid0(VALU_DEP_1) | instskip(NEXT) | instid1(VALU_DEP_1)
	v_cndmask_b32_e64 v2, 0xffff8000, v2, s33
	v_and_b32_e32 v2, 0xffff, v2
	s_delay_alu instid0(VALU_DEP_1) | instskip(NEXT) | instid1(VALU_DEP_1)
	v_lshrrev_b32_e32 v2, s48, v2
	v_and_b32_e32 v136, s55, v2
	s_or_b32 exec_lo, exec_lo, s34
	s_and_saveexec_b32 s34, s24
	s_cbranch_execnz .LBB1850_559
.LBB1850_528:                           ;   in Loop: Header=BB1850_392 Depth=2
	s_or_b32 exec_lo, exec_lo, s34
	s_and_saveexec_b32 s34, s25
	s_cbranch_execz .LBB1850_560
.LBB1850_529:                           ;   in Loop: Header=BB1850_392 Depth=2
	ds_load_u16 v2, v79 offset:5120
	s_waitcnt lgkmcnt(0)
	v_cmp_ne_u16_e64 s33, 0x7fff, v2
	s_delay_alu instid0(VALU_DEP_1) | instskip(NEXT) | instid1(VALU_DEP_1)
	v_cndmask_b32_e64 v2, 0xffff8000, v2, s33
	v_and_b32_e32 v2, 0xffff, v2
	s_delay_alu instid0(VALU_DEP_1) | instskip(NEXT) | instid1(VALU_DEP_1)
	v_lshrrev_b32_e32 v2, s48, v2
	v_and_b32_e32 v134, s55, v2
	s_or_b32 exec_lo, exec_lo, s34
	s_and_saveexec_b32 s34, s27
	s_cbranch_execnz .LBB1850_561
.LBB1850_530:                           ;   in Loop: Header=BB1850_392 Depth=2
	s_or_b32 exec_lo, exec_lo, s34
	s_and_saveexec_b32 s34, s28
	s_cbranch_execz .LBB1850_562
.LBB1850_531:                           ;   in Loop: Header=BB1850_392 Depth=2
	ds_load_u16 v2, v79 offset:6144
	s_waitcnt lgkmcnt(0)
	v_cmp_ne_u16_e64 s33, 0x7fff, v2
	s_delay_alu instid0(VALU_DEP_1) | instskip(NEXT) | instid1(VALU_DEP_1)
	v_cndmask_b32_e64 v2, 0xffff8000, v2, s33
	v_and_b32_e32 v2, 0xffff, v2
	s_delay_alu instid0(VALU_DEP_1) | instskip(NEXT) | instid1(VALU_DEP_1)
	v_lshrrev_b32_e32 v2, s48, v2
	v_and_b32_e32 v132, s55, v2
	s_or_b32 exec_lo, exec_lo, s34
	s_and_saveexec_b32 s34, s29
	s_cbranch_execnz .LBB1850_563
.LBB1850_532:                           ;   in Loop: Header=BB1850_392 Depth=2
	s_or_b32 exec_lo, exec_lo, s34
	s_and_saveexec_b32 s34, s30
	s_cbranch_execz .LBB1850_564
.LBB1850_533:                           ;   in Loop: Header=BB1850_392 Depth=2
	ds_load_u16 v2, v79 offset:7168
	s_waitcnt lgkmcnt(0)
	v_cmp_ne_u16_e64 s33, 0x7fff, v2
	s_delay_alu instid0(VALU_DEP_1) | instskip(NEXT) | instid1(VALU_DEP_1)
	v_cndmask_b32_e64 v2, 0xffff8000, v2, s33
	v_and_b32_e32 v2, 0xffff, v2
	s_delay_alu instid0(VALU_DEP_1) | instskip(NEXT) | instid1(VALU_DEP_1)
	v_lshrrev_b32_e32 v2, s48, v2
	v_and_b32_e32 v130, s55, v2
	s_or_b32 exec_lo, exec_lo, s34
	s_and_saveexec_b32 s34, s31
	s_cbranch_execnz .LBB1850_565
	s_branch .LBB1850_566
.LBB1850_534:                           ;   in Loop: Header=BB1850_392 Depth=2
	s_or_b32 exec_lo, exec_lo, s33
	s_delay_alu instid0(SALU_CYCLE_1)
	s_mov_b32 s34, exec_lo
	v_cmpx_lt_u32_e64 v109, v145
	s_cbranch_execz .LBB1850_504
.LBB1850_535:                           ;   in Loop: Header=BB1850_392 Depth=2
	global_load_b64 v[32:33], v[36:37], off offset:256
	s_or_b32 exec_lo, exec_lo, s34
	s_delay_alu instid0(SALU_CYCLE_1)
	s_mov_b32 s34, exec_lo
	v_cmpx_lt_u32_e64 v110, v145
	s_cbranch_execnz .LBB1850_505
.LBB1850_536:                           ;   in Loop: Header=BB1850_392 Depth=2
	s_or_b32 exec_lo, exec_lo, s34
	s_delay_alu instid0(SALU_CYCLE_1)
	s_mov_b32 s34, exec_lo
	v_cmpx_lt_u32_e64 v111, v145
	s_cbranch_execz .LBB1850_506
.LBB1850_537:                           ;   in Loop: Header=BB1850_392 Depth=2
	global_load_b64 v[28:29], v[36:37], off offset:768
	s_or_b32 exec_lo, exec_lo, s34
	s_delay_alu instid0(SALU_CYCLE_1)
	s_mov_b32 s34, exec_lo
	v_cmpx_lt_u32_e64 v112, v145
	s_cbranch_execnz .LBB1850_507
.LBB1850_538:                           ;   in Loop: Header=BB1850_392 Depth=2
	s_or_b32 exec_lo, exec_lo, s34
	s_delay_alu instid0(SALU_CYCLE_1)
	s_mov_b32 s34, exec_lo
	v_cmpx_lt_u32_e64 v113, v145
	s_cbranch_execz .LBB1850_508
.LBB1850_539:                           ;   in Loop: Header=BB1850_392 Depth=2
	global_load_b64 v[24:25], v[36:37], off offset:1280
	s_or_b32 exec_lo, exec_lo, s34
	s_delay_alu instid0(SALU_CYCLE_1)
	s_mov_b32 s34, exec_lo
	v_cmpx_lt_u32_e64 v114, v145
	s_cbranch_execnz .LBB1850_509
.LBB1850_540:                           ;   in Loop: Header=BB1850_392 Depth=2
	s_or_b32 exec_lo, exec_lo, s34
	s_delay_alu instid0(SALU_CYCLE_1)
	s_mov_b32 s34, exec_lo
	v_cmpx_lt_u32_e64 v115, v145
	s_cbranch_execz .LBB1850_510
.LBB1850_541:                           ;   in Loop: Header=BB1850_392 Depth=2
	global_load_b64 v[20:21], v[36:37], off offset:1792
	s_or_b32 exec_lo, exec_lo, s34
	s_delay_alu instid0(SALU_CYCLE_1)
	s_mov_b32 s34, exec_lo
	v_cmpx_lt_u32_e64 v116, v145
	s_cbranch_execnz .LBB1850_511
.LBB1850_542:                           ;   in Loop: Header=BB1850_392 Depth=2
	s_or_b32 exec_lo, exec_lo, s34
	s_delay_alu instid0(SALU_CYCLE_1)
	s_mov_b32 s34, exec_lo
	v_cmpx_lt_u32_e64 v117, v145
	s_cbranch_execz .LBB1850_512
.LBB1850_543:                           ;   in Loop: Header=BB1850_392 Depth=2
	global_load_b64 v[16:17], v[36:37], off offset:2304
	s_or_b32 exec_lo, exec_lo, s34
	s_delay_alu instid0(SALU_CYCLE_1)
	s_mov_b32 s34, exec_lo
	v_cmpx_lt_u32_e64 v118, v145
	s_cbranch_execnz .LBB1850_513
.LBB1850_544:                           ;   in Loop: Header=BB1850_392 Depth=2
	s_or_b32 exec_lo, exec_lo, s34
	s_delay_alu instid0(SALU_CYCLE_1)
	s_mov_b32 s34, exec_lo
	v_cmpx_lt_u32_e64 v119, v145
	s_cbranch_execz .LBB1850_514
.LBB1850_545:                           ;   in Loop: Header=BB1850_392 Depth=2
	global_load_b64 v[12:13], v[36:37], off offset:2816
	s_or_b32 exec_lo, exec_lo, s34
	s_delay_alu instid0(SALU_CYCLE_1)
	s_mov_b32 s34, exec_lo
	v_cmpx_lt_u32_e64 v120, v145
	s_cbranch_execnz .LBB1850_515
.LBB1850_546:                           ;   in Loop: Header=BB1850_392 Depth=2
	s_or_b32 exec_lo, exec_lo, s34
	s_delay_alu instid0(SALU_CYCLE_1)
	s_mov_b32 s34, exec_lo
	v_cmpx_lt_u32_e64 v121, v145
	s_cbranch_execz .LBB1850_516
.LBB1850_547:                           ;   in Loop: Header=BB1850_392 Depth=2
	global_load_b64 v[8:9], v[36:37], off offset:3328
	s_or_b32 exec_lo, exec_lo, s34
	s_delay_alu instid0(SALU_CYCLE_1)
	s_mov_b32 s34, exec_lo
	v_cmpx_lt_u32_e64 v122, v145
	s_cbranch_execnz .LBB1850_517
.LBB1850_548:                           ;   in Loop: Header=BB1850_392 Depth=2
	s_or_b32 exec_lo, exec_lo, s34
	s_delay_alu instid0(SALU_CYCLE_1)
	s_mov_b32 s34, exec_lo
	v_cmpx_lt_u32_e64 v123, v145
	s_cbranch_execz .LBB1850_518
.LBB1850_549:                           ;   in Loop: Header=BB1850_392 Depth=2
	global_load_b64 v[4:5], v[36:37], off offset:3840
	s_or_b32 exec_lo, exec_lo, s34
	s_and_saveexec_b32 s34, vcc_lo
	s_cbranch_execnz .LBB1850_519
.LBB1850_550:                           ;   in Loop: Header=BB1850_392 Depth=2
	s_or_b32 exec_lo, exec_lo, s34
	s_and_saveexec_b32 s34, s16
	s_cbranch_execz .LBB1850_520
.LBB1850_551:                           ;   in Loop: Header=BB1850_392 Depth=2
	ds_load_u16 v2, v79 offset:512
	s_waitcnt lgkmcnt(0)
	v_cmp_ne_u16_e64 s33, 0x7fff, v2
	s_delay_alu instid0(VALU_DEP_1) | instskip(NEXT) | instid1(VALU_DEP_1)
	v_cndmask_b32_e64 v2, 0xffff8000, v2, s33
	v_and_b32_e32 v2, 0xffff, v2
	s_delay_alu instid0(VALU_DEP_1) | instskip(NEXT) | instid1(VALU_DEP_1)
	v_lshrrev_b32_e32 v2, s48, v2
	v_and_b32_e32 v143, s55, v2
	s_or_b32 exec_lo, exec_lo, s34
	s_and_saveexec_b32 s34, s17
	s_cbranch_execnz .LBB1850_521
.LBB1850_552:                           ;   in Loop: Header=BB1850_392 Depth=2
	s_or_b32 exec_lo, exec_lo, s34
	s_and_saveexec_b32 s34, s18
	s_cbranch_execz .LBB1850_522
.LBB1850_553:                           ;   in Loop: Header=BB1850_392 Depth=2
	ds_load_u16 v2, v79 offset:1536
	s_waitcnt lgkmcnt(0)
	v_cmp_ne_u16_e64 s33, 0x7fff, v2
	s_delay_alu instid0(VALU_DEP_1) | instskip(NEXT) | instid1(VALU_DEP_1)
	v_cndmask_b32_e64 v2, 0xffff8000, v2, s33
	v_and_b32_e32 v2, 0xffff, v2
	s_delay_alu instid0(VALU_DEP_1) | instskip(NEXT) | instid1(VALU_DEP_1)
	v_lshrrev_b32_e32 v2, s48, v2
	v_and_b32_e32 v141, s55, v2
	s_or_b32 exec_lo, exec_lo, s34
	s_and_saveexec_b32 s34, s19
	s_cbranch_execnz .LBB1850_523
.LBB1850_554:                           ;   in Loop: Header=BB1850_392 Depth=2
	s_or_b32 exec_lo, exec_lo, s34
	s_and_saveexec_b32 s34, s20
	s_cbranch_execz .LBB1850_524
.LBB1850_555:                           ;   in Loop: Header=BB1850_392 Depth=2
	ds_load_u16 v2, v79 offset:2560
	s_waitcnt lgkmcnt(0)
	v_cmp_ne_u16_e64 s33, 0x7fff, v2
	s_delay_alu instid0(VALU_DEP_1) | instskip(NEXT) | instid1(VALU_DEP_1)
	v_cndmask_b32_e64 v2, 0xffff8000, v2, s33
	v_and_b32_e32 v2, 0xffff, v2
	s_delay_alu instid0(VALU_DEP_1) | instskip(NEXT) | instid1(VALU_DEP_1)
	v_lshrrev_b32_e32 v2, s48, v2
	v_and_b32_e32 v139, s55, v2
	s_or_b32 exec_lo, exec_lo, s34
	s_and_saveexec_b32 s34, s21
	s_cbranch_execnz .LBB1850_525
.LBB1850_556:                           ;   in Loop: Header=BB1850_392 Depth=2
	s_or_b32 exec_lo, exec_lo, s34
	s_and_saveexec_b32 s34, s22
	s_cbranch_execz .LBB1850_526
.LBB1850_557:                           ;   in Loop: Header=BB1850_392 Depth=2
	ds_load_u16 v2, v79 offset:3584
	s_waitcnt lgkmcnt(0)
	v_cmp_ne_u16_e64 s33, 0x7fff, v2
	s_delay_alu instid0(VALU_DEP_1) | instskip(NEXT) | instid1(VALU_DEP_1)
	v_cndmask_b32_e64 v2, 0xffff8000, v2, s33
	v_and_b32_e32 v2, 0xffff, v2
	s_delay_alu instid0(VALU_DEP_1) | instskip(NEXT) | instid1(VALU_DEP_1)
	v_lshrrev_b32_e32 v2, s48, v2
	v_and_b32_e32 v137, s55, v2
	s_or_b32 exec_lo, exec_lo, s34
	s_and_saveexec_b32 s34, s23
	s_cbranch_execnz .LBB1850_527
.LBB1850_558:                           ;   in Loop: Header=BB1850_392 Depth=2
	s_or_b32 exec_lo, exec_lo, s34
	s_and_saveexec_b32 s34, s24
	s_cbranch_execz .LBB1850_528
.LBB1850_559:                           ;   in Loop: Header=BB1850_392 Depth=2
	ds_load_u16 v2, v79 offset:4608
	s_waitcnt lgkmcnt(0)
	v_cmp_ne_u16_e64 s33, 0x7fff, v2
	s_delay_alu instid0(VALU_DEP_1) | instskip(NEXT) | instid1(VALU_DEP_1)
	v_cndmask_b32_e64 v2, 0xffff8000, v2, s33
	v_and_b32_e32 v2, 0xffff, v2
	s_delay_alu instid0(VALU_DEP_1) | instskip(NEXT) | instid1(VALU_DEP_1)
	v_lshrrev_b32_e32 v2, s48, v2
	v_and_b32_e32 v135, s55, v2
	s_or_b32 exec_lo, exec_lo, s34
	s_and_saveexec_b32 s34, s25
	s_cbranch_execnz .LBB1850_529
.LBB1850_560:                           ;   in Loop: Header=BB1850_392 Depth=2
	s_or_b32 exec_lo, exec_lo, s34
	s_and_saveexec_b32 s34, s27
	s_cbranch_execz .LBB1850_530
.LBB1850_561:                           ;   in Loop: Header=BB1850_392 Depth=2
	ds_load_u16 v2, v79 offset:5632
	s_waitcnt lgkmcnt(0)
	v_cmp_ne_u16_e64 s33, 0x7fff, v2
	s_delay_alu instid0(VALU_DEP_1) | instskip(NEXT) | instid1(VALU_DEP_1)
	v_cndmask_b32_e64 v2, 0xffff8000, v2, s33
	v_and_b32_e32 v2, 0xffff, v2
	s_delay_alu instid0(VALU_DEP_1) | instskip(NEXT) | instid1(VALU_DEP_1)
	v_lshrrev_b32_e32 v2, s48, v2
	v_and_b32_e32 v133, s55, v2
	s_or_b32 exec_lo, exec_lo, s34
	s_and_saveexec_b32 s34, s28
	s_cbranch_execnz .LBB1850_531
.LBB1850_562:                           ;   in Loop: Header=BB1850_392 Depth=2
	s_or_b32 exec_lo, exec_lo, s34
	s_and_saveexec_b32 s34, s29
	s_cbranch_execz .LBB1850_532
.LBB1850_563:                           ;   in Loop: Header=BB1850_392 Depth=2
	ds_load_u16 v2, v79 offset:6656
	s_waitcnt lgkmcnt(0)
	v_cmp_ne_u16_e64 s33, 0x7fff, v2
	s_delay_alu instid0(VALU_DEP_1) | instskip(NEXT) | instid1(VALU_DEP_1)
	v_cndmask_b32_e64 v2, 0xffff8000, v2, s33
	v_and_b32_e32 v2, 0xffff, v2
	s_delay_alu instid0(VALU_DEP_1) | instskip(NEXT) | instid1(VALU_DEP_1)
	v_lshrrev_b32_e32 v2, s48, v2
	v_and_b32_e32 v131, s55, v2
	s_or_b32 exec_lo, exec_lo, s34
	s_and_saveexec_b32 s34, s30
	s_cbranch_execnz .LBB1850_533
.LBB1850_564:                           ;   in Loop: Header=BB1850_392 Depth=2
	s_or_b32 exec_lo, exec_lo, s34
	s_and_saveexec_b32 s34, s31
	s_cbranch_execz .LBB1850_566
.LBB1850_565:                           ;   in Loop: Header=BB1850_392 Depth=2
	ds_load_u16 v2, v79 offset:7680
	s_waitcnt lgkmcnt(0)
	v_cmp_ne_u16_e64 s33, 0x7fff, v2
	s_delay_alu instid0(VALU_DEP_1) | instskip(NEXT) | instid1(VALU_DEP_1)
	v_cndmask_b32_e64 v2, 0xffff8000, v2, s33
	v_and_b32_e32 v2, 0xffff, v2
	s_delay_alu instid0(VALU_DEP_1) | instskip(NEXT) | instid1(VALU_DEP_1)
	v_lshrrev_b32_e32 v2, s48, v2
	v_and_b32_e32 v129, s55, v2
.LBB1850_566:                           ;   in Loop: Header=BB1850_392 Depth=2
	s_or_b32 exec_lo, exec_lo, s34
	v_lshlrev_b32_e32 v2, 3, v168
	v_lshlrev_b32_e32 v36, 3, v164
	s_waitcnt vmcnt(0)
	s_waitcnt_vscnt null, 0x0
	s_barrier
	buffer_gl0_inv
	ds_store_b64 v2, v[34:35] offset:1024
	v_lshlrev_b32_e32 v2, 3, v160
	v_lshlrev_b32_e32 v37, 3, v156
	;; [unrolled: 1-line block ×4, first 2 shown]
	ds_store_b64 v36, v[32:33] offset:1024
	ds_store_b64 v2, v[30:31] offset:1024
	;; [unrolled: 1-line block ×5, first 2 shown]
	v_lshlrev_b32_e32 v2, 3, v152
	v_lshlrev_b32_e32 v36, 3, v151
	;; [unrolled: 1-line block ×5, first 2 shown]
	ds_store_b64 v2, v[22:23] offset:1024
	ds_store_b64 v36, v[20:21] offset:1024
	;; [unrolled: 1-line block ×5, first 2 shown]
	v_lshlrev_b32_e32 v2, 3, v40
	v_lshlrev_b32_e32 v36, 3, v39
	;; [unrolled: 1-line block ×5, first 2 shown]
	ds_store_b64 v2, v[12:13] offset:1024
	ds_store_b64 v36, v[10:11] offset:1024
	;; [unrolled: 1-line block ×5, first 2 shown]
	s_waitcnt lgkmcnt(0)
	s_barrier
	buffer_gl0_inv
	s_and_saveexec_b32 s33, vcc_lo
	s_cbranch_execz .LBB1850_582
; %bb.567:                              ;   in Loop: Header=BB1850_392 Depth=2
	v_lshlrev_b32_e32 v2, 2, v144
	ds_load_b32 v2, v2
	ds_load_b64 v[36:37], v80 offset:1024
	s_waitcnt lgkmcnt(1)
	v_add_nc_u32_e32 v2, v2, v1
	s_delay_alu instid0(VALU_DEP_1) | instskip(NEXT) | instid1(VALU_DEP_1)
	v_lshlrev_b64 v[39:40], 3, v[2:3]
	v_add_co_u32 v39, vcc_lo, s46, v39
	s_delay_alu instid0(VALU_DEP_2)
	v_add_co_ci_u32_e32 v40, vcc_lo, s47, v40, vcc_lo
	s_waitcnt lgkmcnt(0)
	global_store_b64 v[39:40], v[36:37], off
	s_or_b32 exec_lo, exec_lo, s33
	s_and_saveexec_b32 s33, s16
	s_cbranch_execnz .LBB1850_583
.LBB1850_568:                           ;   in Loop: Header=BB1850_392 Depth=2
	s_or_b32 exec_lo, exec_lo, s33
	s_and_saveexec_b32 s16, s17
	s_cbranch_execz .LBB1850_584
.LBB1850_569:                           ;   in Loop: Header=BB1850_392 Depth=2
	v_lshlrev_b32_e32 v2, 2, v142
	v_add_nc_u32_e32 v36, v79, v81
	ds_load_b32 v2, v2
	ds_load_b64 v[36:37], v36 offset:4096
	s_waitcnt lgkmcnt(1)
	v_add_nc_u32_e32 v2, v2, v46
	s_delay_alu instid0(VALU_DEP_1) | instskip(NEXT) | instid1(VALU_DEP_1)
	v_lshlrev_b64 v[39:40], 3, v[2:3]
	v_add_co_u32 v39, vcc_lo, s46, v39
	s_delay_alu instid0(VALU_DEP_2)
	v_add_co_ci_u32_e32 v40, vcc_lo, s47, v40, vcc_lo
	s_waitcnt lgkmcnt(0)
	global_store_b64 v[39:40], v[36:37], off
	s_or_b32 exec_lo, exec_lo, s16
	s_and_saveexec_b32 s16, s18
	s_cbranch_execnz .LBB1850_585
.LBB1850_570:                           ;   in Loop: Header=BB1850_392 Depth=2
	s_or_b32 exec_lo, exec_lo, s16
	s_and_saveexec_b32 s16, s19
	s_cbranch_execz .LBB1850_586
.LBB1850_571:                           ;   in Loop: Header=BB1850_392 Depth=2
	v_lshlrev_b32_e32 v2, 2, v140
	v_add_nc_u32_e32 v36, v79, v81
	ds_load_b32 v2, v2
	ds_load_b64 v[36:37], v36 offset:8192
	s_waitcnt lgkmcnt(1)
	v_add_nc_u32_e32 v2, v2, v51
	s_delay_alu instid0(VALU_DEP_1) | instskip(NEXT) | instid1(VALU_DEP_1)
	v_lshlrev_b64 v[39:40], 3, v[2:3]
	v_add_co_u32 v39, vcc_lo, s46, v39
	s_delay_alu instid0(VALU_DEP_2)
	v_add_co_ci_u32_e32 v40, vcc_lo, s47, v40, vcc_lo
	s_waitcnt lgkmcnt(0)
	global_store_b64 v[39:40], v[36:37], off
	s_or_b32 exec_lo, exec_lo, s16
	s_and_saveexec_b32 s16, s20
	s_cbranch_execnz .LBB1850_587
.LBB1850_572:                           ;   in Loop: Header=BB1850_392 Depth=2
	s_or_b32 exec_lo, exec_lo, s16
	s_and_saveexec_b32 s16, s21
	s_cbranch_execz .LBB1850_588
.LBB1850_573:                           ;   in Loop: Header=BB1850_392 Depth=2
	v_lshlrev_b32_e32 v2, 2, v138
	v_add_nc_u32_e32 v36, v79, v81
	ds_load_b32 v2, v2
	ds_load_b64 v[36:37], v36 offset:12288
	s_waitcnt lgkmcnt(1)
	v_add_nc_u32_e32 v2, v2, v53
	s_delay_alu instid0(VALU_DEP_1) | instskip(NEXT) | instid1(VALU_DEP_1)
	v_lshlrev_b64 v[39:40], 3, v[2:3]
	v_add_co_u32 v39, vcc_lo, s46, v39
	s_delay_alu instid0(VALU_DEP_2)
	v_add_co_ci_u32_e32 v40, vcc_lo, s47, v40, vcc_lo
	s_waitcnt lgkmcnt(0)
	global_store_b64 v[39:40], v[36:37], off
	s_or_b32 exec_lo, exec_lo, s16
	s_and_saveexec_b32 s16, s22
	s_cbranch_execnz .LBB1850_589
.LBB1850_574:                           ;   in Loop: Header=BB1850_392 Depth=2
	s_or_b32 exec_lo, exec_lo, s16
	s_and_saveexec_b32 s16, s23
	s_cbranch_execz .LBB1850_590
.LBB1850_575:                           ;   in Loop: Header=BB1850_392 Depth=2
	v_lshlrev_b32_e32 v2, 2, v136
	v_add_nc_u32_e32 v36, v79, v81
	ds_load_b32 v2, v2
	ds_load_b64 v[36:37], v36 offset:16384
	s_waitcnt lgkmcnt(1)
	v_add_nc_u32_e32 v2, v2, v55
	s_delay_alu instid0(VALU_DEP_1) | instskip(NEXT) | instid1(VALU_DEP_1)
	v_lshlrev_b64 v[39:40], 3, v[2:3]
	v_add_co_u32 v39, vcc_lo, s46, v39
	s_delay_alu instid0(VALU_DEP_2)
	v_add_co_ci_u32_e32 v40, vcc_lo, s47, v40, vcc_lo
	s_waitcnt lgkmcnt(0)
	global_store_b64 v[39:40], v[36:37], off
	s_or_b32 exec_lo, exec_lo, s16
	s_and_saveexec_b32 s16, s24
	s_cbranch_execnz .LBB1850_591
.LBB1850_576:                           ;   in Loop: Header=BB1850_392 Depth=2
	s_or_b32 exec_lo, exec_lo, s16
	s_and_saveexec_b32 s16, s25
	s_cbranch_execz .LBB1850_592
.LBB1850_577:                           ;   in Loop: Header=BB1850_392 Depth=2
	v_lshlrev_b32_e32 v2, 2, v134
	v_add_nc_u32_e32 v36, v79, v81
	ds_load_b32 v2, v2
	ds_load_b64 v[36:37], v36 offset:20480
	s_waitcnt lgkmcnt(1)
	v_add_nc_u32_e32 v2, v2, v57
	s_delay_alu instid0(VALU_DEP_1) | instskip(NEXT) | instid1(VALU_DEP_1)
	v_lshlrev_b64 v[39:40], 3, v[2:3]
	v_add_co_u32 v39, vcc_lo, s46, v39
	s_delay_alu instid0(VALU_DEP_2)
	v_add_co_ci_u32_e32 v40, vcc_lo, s47, v40, vcc_lo
	s_waitcnt lgkmcnt(0)
	global_store_b64 v[39:40], v[36:37], off
	s_or_b32 exec_lo, exec_lo, s16
	s_and_saveexec_b32 s16, s27
	s_cbranch_execnz .LBB1850_593
.LBB1850_578:                           ;   in Loop: Header=BB1850_392 Depth=2
	s_or_b32 exec_lo, exec_lo, s16
	s_and_saveexec_b32 s16, s28
	s_cbranch_execz .LBB1850_594
.LBB1850_579:                           ;   in Loop: Header=BB1850_392 Depth=2
	v_lshlrev_b32_e32 v2, 2, v132
	v_add_nc_u32_e32 v36, v79, v81
	ds_load_b32 v2, v2
	ds_load_b64 v[36:37], v36 offset:24576
	s_waitcnt lgkmcnt(1)
	v_add_nc_u32_e32 v2, v2, v59
	s_delay_alu instid0(VALU_DEP_1) | instskip(NEXT) | instid1(VALU_DEP_1)
	v_lshlrev_b64 v[39:40], 3, v[2:3]
	v_add_co_u32 v39, vcc_lo, s46, v39
	s_delay_alu instid0(VALU_DEP_2)
	v_add_co_ci_u32_e32 v40, vcc_lo, s47, v40, vcc_lo
	s_waitcnt lgkmcnt(0)
	global_store_b64 v[39:40], v[36:37], off
	s_or_b32 exec_lo, exec_lo, s16
	s_and_saveexec_b32 s16, s29
	s_cbranch_execnz .LBB1850_595
.LBB1850_580:                           ;   in Loop: Header=BB1850_392 Depth=2
	s_or_b32 exec_lo, exec_lo, s16
	s_and_saveexec_b32 s16, s30
	s_cbranch_execz .LBB1850_596
.LBB1850_581:                           ;   in Loop: Header=BB1850_392 Depth=2
	v_lshlrev_b32_e32 v2, 2, v130
	v_add_nc_u32_e32 v36, v79, v81
	ds_load_b32 v2, v2
	ds_load_b64 v[36:37], v36 offset:28672
	s_waitcnt lgkmcnt(1)
	v_add_nc_u32_e32 v2, v2, v61
	s_delay_alu instid0(VALU_DEP_1) | instskip(NEXT) | instid1(VALU_DEP_1)
	v_lshlrev_b64 v[39:40], 3, v[2:3]
	v_add_co_u32 v39, vcc_lo, s46, v39
	s_delay_alu instid0(VALU_DEP_2)
	v_add_co_ci_u32_e32 v40, vcc_lo, s47, v40, vcc_lo
	s_waitcnt lgkmcnt(0)
	global_store_b64 v[39:40], v[36:37], off
	s_or_b32 exec_lo, exec_lo, s16
	s_and_saveexec_b32 s16, s31
	s_cbranch_execnz .LBB1850_597
	s_branch .LBB1850_598
.LBB1850_582:                           ;   in Loop: Header=BB1850_392 Depth=2
	s_or_b32 exec_lo, exec_lo, s33
	s_and_saveexec_b32 s33, s16
	s_cbranch_execz .LBB1850_568
.LBB1850_583:                           ;   in Loop: Header=BB1850_392 Depth=2
	v_lshlrev_b32_e32 v2, 2, v143
	v_add_nc_u32_e32 v36, v79, v81
	ds_load_b32 v2, v2
	ds_load_b64 v[36:37], v36 offset:2048
	s_waitcnt lgkmcnt(1)
	v_add_nc_u32_e32 v2, v2, v45
	s_delay_alu instid0(VALU_DEP_1) | instskip(NEXT) | instid1(VALU_DEP_1)
	v_lshlrev_b64 v[39:40], 3, v[2:3]
	v_add_co_u32 v39, vcc_lo, s46, v39
	s_delay_alu instid0(VALU_DEP_2)
	v_add_co_ci_u32_e32 v40, vcc_lo, s47, v40, vcc_lo
	s_waitcnt lgkmcnt(0)
	global_store_b64 v[39:40], v[36:37], off
	s_or_b32 exec_lo, exec_lo, s33
	s_and_saveexec_b32 s16, s17
	s_cbranch_execnz .LBB1850_569
.LBB1850_584:                           ;   in Loop: Header=BB1850_392 Depth=2
	s_or_b32 exec_lo, exec_lo, s16
	s_and_saveexec_b32 s16, s18
	s_cbranch_execz .LBB1850_570
.LBB1850_585:                           ;   in Loop: Header=BB1850_392 Depth=2
	v_lshlrev_b32_e32 v2, 2, v141
	v_add_nc_u32_e32 v36, v79, v81
	ds_load_b32 v2, v2
	ds_load_b64 v[36:37], v36 offset:6144
	s_waitcnt lgkmcnt(1)
	v_add_nc_u32_e32 v2, v2, v47
	s_delay_alu instid0(VALU_DEP_1) | instskip(NEXT) | instid1(VALU_DEP_1)
	v_lshlrev_b64 v[39:40], 3, v[2:3]
	v_add_co_u32 v39, vcc_lo, s46, v39
	s_delay_alu instid0(VALU_DEP_2)
	v_add_co_ci_u32_e32 v40, vcc_lo, s47, v40, vcc_lo
	s_waitcnt lgkmcnt(0)
	global_store_b64 v[39:40], v[36:37], off
	s_or_b32 exec_lo, exec_lo, s16
	s_and_saveexec_b32 s16, s19
	s_cbranch_execnz .LBB1850_571
.LBB1850_586:                           ;   in Loop: Header=BB1850_392 Depth=2
	s_or_b32 exec_lo, exec_lo, s16
	s_and_saveexec_b32 s16, s20
	s_cbranch_execz .LBB1850_572
.LBB1850_587:                           ;   in Loop: Header=BB1850_392 Depth=2
	v_lshlrev_b32_e32 v2, 2, v139
	v_add_nc_u32_e32 v36, v79, v81
	ds_load_b32 v2, v2
	ds_load_b64 v[36:37], v36 offset:10240
	s_waitcnt lgkmcnt(1)
	v_add_nc_u32_e32 v2, v2, v52
	s_delay_alu instid0(VALU_DEP_1) | instskip(NEXT) | instid1(VALU_DEP_1)
	v_lshlrev_b64 v[39:40], 3, v[2:3]
	v_add_co_u32 v39, vcc_lo, s46, v39
	s_delay_alu instid0(VALU_DEP_2)
	v_add_co_ci_u32_e32 v40, vcc_lo, s47, v40, vcc_lo
	s_waitcnt lgkmcnt(0)
	global_store_b64 v[39:40], v[36:37], off
	s_or_b32 exec_lo, exec_lo, s16
	s_and_saveexec_b32 s16, s21
	s_cbranch_execnz .LBB1850_573
.LBB1850_588:                           ;   in Loop: Header=BB1850_392 Depth=2
	s_or_b32 exec_lo, exec_lo, s16
	s_and_saveexec_b32 s16, s22
	s_cbranch_execz .LBB1850_574
.LBB1850_589:                           ;   in Loop: Header=BB1850_392 Depth=2
	v_lshlrev_b32_e32 v2, 2, v137
	v_add_nc_u32_e32 v36, v79, v81
	ds_load_b32 v2, v2
	ds_load_b64 v[36:37], v36 offset:14336
	s_waitcnt lgkmcnt(1)
	v_add_nc_u32_e32 v2, v2, v54
	s_delay_alu instid0(VALU_DEP_1) | instskip(NEXT) | instid1(VALU_DEP_1)
	v_lshlrev_b64 v[39:40], 3, v[2:3]
	v_add_co_u32 v39, vcc_lo, s46, v39
	s_delay_alu instid0(VALU_DEP_2)
	v_add_co_ci_u32_e32 v40, vcc_lo, s47, v40, vcc_lo
	s_waitcnt lgkmcnt(0)
	global_store_b64 v[39:40], v[36:37], off
	s_or_b32 exec_lo, exec_lo, s16
	s_and_saveexec_b32 s16, s23
	s_cbranch_execnz .LBB1850_575
.LBB1850_590:                           ;   in Loop: Header=BB1850_392 Depth=2
	s_or_b32 exec_lo, exec_lo, s16
	s_and_saveexec_b32 s16, s24
	s_cbranch_execz .LBB1850_576
.LBB1850_591:                           ;   in Loop: Header=BB1850_392 Depth=2
	v_lshlrev_b32_e32 v2, 2, v135
	v_add_nc_u32_e32 v36, v79, v81
	ds_load_b32 v2, v2
	ds_load_b64 v[36:37], v36 offset:18432
	s_waitcnt lgkmcnt(1)
	v_add_nc_u32_e32 v2, v2, v56
	s_delay_alu instid0(VALU_DEP_1) | instskip(NEXT) | instid1(VALU_DEP_1)
	v_lshlrev_b64 v[39:40], 3, v[2:3]
	v_add_co_u32 v39, vcc_lo, s46, v39
	s_delay_alu instid0(VALU_DEP_2)
	v_add_co_ci_u32_e32 v40, vcc_lo, s47, v40, vcc_lo
	s_waitcnt lgkmcnt(0)
	global_store_b64 v[39:40], v[36:37], off
	s_or_b32 exec_lo, exec_lo, s16
	s_and_saveexec_b32 s16, s25
	s_cbranch_execnz .LBB1850_577
.LBB1850_592:                           ;   in Loop: Header=BB1850_392 Depth=2
	s_or_b32 exec_lo, exec_lo, s16
	s_and_saveexec_b32 s16, s27
	s_cbranch_execz .LBB1850_578
.LBB1850_593:                           ;   in Loop: Header=BB1850_392 Depth=2
	v_lshlrev_b32_e32 v2, 2, v133
	v_add_nc_u32_e32 v36, v79, v81
	ds_load_b32 v2, v2
	ds_load_b64 v[36:37], v36 offset:22528
	s_waitcnt lgkmcnt(1)
	v_add_nc_u32_e32 v2, v2, v58
	s_delay_alu instid0(VALU_DEP_1) | instskip(NEXT) | instid1(VALU_DEP_1)
	v_lshlrev_b64 v[39:40], 3, v[2:3]
	v_add_co_u32 v39, vcc_lo, s46, v39
	s_delay_alu instid0(VALU_DEP_2)
	v_add_co_ci_u32_e32 v40, vcc_lo, s47, v40, vcc_lo
	s_waitcnt lgkmcnt(0)
	global_store_b64 v[39:40], v[36:37], off
	s_or_b32 exec_lo, exec_lo, s16
	s_and_saveexec_b32 s16, s28
	s_cbranch_execnz .LBB1850_579
.LBB1850_594:                           ;   in Loop: Header=BB1850_392 Depth=2
	s_or_b32 exec_lo, exec_lo, s16
	s_and_saveexec_b32 s16, s29
	s_cbranch_execz .LBB1850_580
.LBB1850_595:                           ;   in Loop: Header=BB1850_392 Depth=2
	v_lshlrev_b32_e32 v2, 2, v131
	v_add_nc_u32_e32 v36, v79, v81
	ds_load_b32 v2, v2
	ds_load_b64 v[36:37], v36 offset:26624
	s_waitcnt lgkmcnt(1)
	v_add_nc_u32_e32 v2, v2, v60
	s_delay_alu instid0(VALU_DEP_1) | instskip(NEXT) | instid1(VALU_DEP_1)
	v_lshlrev_b64 v[39:40], 3, v[2:3]
	v_add_co_u32 v39, vcc_lo, s46, v39
	s_delay_alu instid0(VALU_DEP_2)
	v_add_co_ci_u32_e32 v40, vcc_lo, s47, v40, vcc_lo
	s_waitcnt lgkmcnt(0)
	global_store_b64 v[39:40], v[36:37], off
	s_or_b32 exec_lo, exec_lo, s16
	s_and_saveexec_b32 s16, s30
	s_cbranch_execnz .LBB1850_581
.LBB1850_596:                           ;   in Loop: Header=BB1850_392 Depth=2
	s_or_b32 exec_lo, exec_lo, s16
	s_and_saveexec_b32 s16, s31
	s_cbranch_execz .LBB1850_598
.LBB1850_597:                           ;   in Loop: Header=BB1850_392 Depth=2
	v_lshlrev_b32_e32 v2, 2, v129
	v_add_nc_u32_e32 v36, v79, v81
	ds_load_b32 v2, v2
	ds_load_b64 v[36:37], v36 offset:30720
	s_waitcnt lgkmcnt(1)
	v_add_nc_u32_e32 v2, v2, v63
	s_delay_alu instid0(VALU_DEP_1) | instskip(NEXT) | instid1(VALU_DEP_1)
	v_lshlrev_b64 v[39:40], 3, v[2:3]
	v_add_co_u32 v39, vcc_lo, s46, v39
	s_delay_alu instid0(VALU_DEP_2)
	v_add_co_ci_u32_e32 v40, vcc_lo, s47, v40, vcc_lo
	s_waitcnt lgkmcnt(0)
	global_store_b64 v[39:40], v[36:37], off
.LBB1850_598:                           ;   in Loop: Header=BB1850_392 Depth=2
	s_or_b32 exec_lo, exec_lo, s16
	s_waitcnt_vscnt null, 0x0
	s_barrier
	buffer_gl0_inv
	s_and_saveexec_b32 s16, s2
	s_cbranch_execz .LBB1850_391
; %bb.599:                              ;   in Loop: Header=BB1850_392 Depth=2
	ds_load_b32 v2, v44
	s_waitcnt lgkmcnt(0)
	v_add_nc_u32_e32 v2, v2, v38
	ds_store_b32 v44, v2
	s_branch .LBB1850_391
.LBB1850_600:                           ;   in Loop: Header=BB1850_12 Depth=1
	s_waitcnt lgkmcnt(0)
	s_barrier
.LBB1850_601:                           ;   in Loop: Header=BB1850_12 Depth=1
	s_mov_b32 s0, 0
.LBB1850_602:                           ;   in Loop: Header=BB1850_12 Depth=1
	s_delay_alu instid0(SALU_CYCLE_1)
	s_and_not1_b32 vcc_lo, exec_lo, s0
	s_cbranch_vccnz .LBB1850_11
; %bb.603:                              ;   in Loop: Header=BB1850_12 Depth=1
	s_and_b32 vcc_lo, exec_lo, s51
	s_mov_b32 s0, -1
	s_cbranch_vccz .LBB1850_897
; %bb.604:                              ;   in Loop: Header=BB1850_12 Depth=1
	s_mov_b32 s8, s54
	s_mov_b32 s34, s52
	s_barrier
	buffer_gl0_inv
                                        ; implicit-def: $vgpr20
                                        ; implicit-def: $vgpr2
                                        ; implicit-def: $vgpr6
                                        ; implicit-def: $vgpr7
                                        ; implicit-def: $vgpr8
                                        ; implicit-def: $vgpr9
                                        ; implicit-def: $vgpr10
                                        ; implicit-def: $vgpr11
                                        ; implicit-def: $vgpr12
                                        ; implicit-def: $vgpr13
                                        ; implicit-def: $vgpr14
                                        ; implicit-def: $vgpr15
                                        ; implicit-def: $vgpr16
                                        ; implicit-def: $vgpr17
                                        ; implicit-def: $vgpr18
                                        ; implicit-def: $vgpr19
	s_branch .LBB1850_606
.LBB1850_605:                           ;   in Loop: Header=BB1850_606 Depth=2
	s_or_b32 exec_lo, exec_lo, s0
	s_addk_i32 s8, 0xf000
	s_cmp_ge_u32 s9, s53
	s_mov_b32 s34, s9
	s_cbranch_scc1 .LBB1850_676
.LBB1850_606:                           ;   Parent Loop BB1850_12 Depth=1
                                        ; =>  This Inner Loop Header: Depth=2
	s_add_i32 s9, s34, 0x1000
	s_delay_alu instid0(SALU_CYCLE_1)
	s_cmp_gt_u32 s9, s53
	s_cbranch_scc1 .LBB1850_609
; %bb.607:                              ;   in Loop: Header=BB1850_606 Depth=2
	s_mov_b32 s1, 0
	s_mov_b32 s0, s34
	s_delay_alu instid0(SALU_CYCLE_1) | instskip(NEXT) | instid1(SALU_CYCLE_1)
	s_lshl_b64 s[10:11], s[0:1], 1
	v_add_co_u32 v4, vcc_lo, v88, s10
	v_add_co_ci_u32_e32 v5, vcc_lo, s11, v89, vcc_lo
	s_movk_i32 s11, 0x1000
	s_waitcnt vmcnt(0)
	s_delay_alu instid0(VALU_DEP_2) | instskip(NEXT) | instid1(VALU_DEP_2)
	v_add_co_u32 v36, vcc_lo, 0x1000, v4
	v_add_co_ci_u32_e32 v37, vcc_lo, 0, v5, vcc_lo
	s_clause 0xe
	global_load_u16 v22, v[4:5], off
	global_load_u16 v23, v[4:5], off offset:512
	global_load_u16 v24, v[4:5], off offset:1024
	;; [unrolled: 1-line block ×7, first 2 shown]
	global_load_u16 v30, v[36:37], off
	global_load_u16 v31, v[36:37], off offset:512
	global_load_u16 v32, v[36:37], off offset:1024
	;; [unrolled: 1-line block ×6, first 2 shown]
	v_add_co_u32 v4, vcc_lo, 0x1e00, v4
	v_add_co_ci_u32_e32 v5, vcc_lo, 0, v5, vcc_lo
	s_mov_b32 s10, -1
	s_cbranch_execz .LBB1850_610
; %bb.608:                              ;   in Loop: Header=BB1850_606 Depth=2
                                        ; implicit-def: $vgpr19
                                        ; implicit-def: $vgpr18
                                        ; implicit-def: $vgpr17
                                        ; implicit-def: $vgpr16
                                        ; implicit-def: $vgpr15
                                        ; implicit-def: $vgpr14
                                        ; implicit-def: $vgpr13
                                        ; implicit-def: $vgpr12
                                        ; implicit-def: $vgpr11
                                        ; implicit-def: $vgpr10
                                        ; implicit-def: $vgpr9
                                        ; implicit-def: $vgpr8
                                        ; implicit-def: $vgpr7
                                        ; implicit-def: $vgpr6
                                        ; implicit-def: $vgpr2
                                        ; implicit-def: $vgpr20
	v_mov_b32_e32 v21, s8
	s_and_saveexec_b32 s0, s10
	s_cbranch_execnz .LBB1850_629
	s_branch .LBB1850_630
.LBB1850_609:                           ;   in Loop: Header=BB1850_606 Depth=2
	s_mov_b32 s10, 0
                                        ; implicit-def: $sgpr11
                                        ; implicit-def: $vgpr22
                                        ; implicit-def: $vgpr23
                                        ; implicit-def: $vgpr24
                                        ; implicit-def: $vgpr25
                                        ; implicit-def: $vgpr26
                                        ; implicit-def: $vgpr27
                                        ; implicit-def: $vgpr28
                                        ; implicit-def: $vgpr29
                                        ; implicit-def: $vgpr30
                                        ; implicit-def: $vgpr31
                                        ; implicit-def: $vgpr32
                                        ; implicit-def: $vgpr33
                                        ; implicit-def: $vgpr34
                                        ; implicit-def: $vgpr35
                                        ; implicit-def: $vgpr36
                                        ; implicit-def: $vgpr4_vgpr5
.LBB1850_610:                           ;   in Loop: Header=BB1850_606 Depth=2
	s_lshl_b64 s[0:1], s[34:35], 1
	s_mov_b32 s11, exec_lo
	s_add_u32 s0, s36, s0
	s_addc_u32 s1, s37, s1
	v_cmpx_gt_u32_e64 s8, v1
	s_cbranch_execz .LBB1850_662
; %bb.611:                              ;   in Loop: Header=BB1850_606 Depth=2
	global_load_u16 v19, v95, s[0:1]
	s_or_b32 exec_lo, exec_lo, s11
	s_delay_alu instid0(SALU_CYCLE_1)
	s_mov_b32 s11, exec_lo
	v_cmpx_gt_u32_e64 s8, v45
	s_cbranch_execnz .LBB1850_663
.LBB1850_612:                           ;   in Loop: Header=BB1850_606 Depth=2
	s_or_b32 exec_lo, exec_lo, s11
	s_delay_alu instid0(SALU_CYCLE_1)
	s_mov_b32 s11, exec_lo
	v_cmpx_gt_u32_e64 s8, v46
	s_cbranch_execz .LBB1850_664
.LBB1850_613:                           ;   in Loop: Header=BB1850_606 Depth=2
	global_load_u16 v17, v95, s[0:1] offset:1024
	s_or_b32 exec_lo, exec_lo, s11
	s_delay_alu instid0(SALU_CYCLE_1)
	s_mov_b32 s11, exec_lo
	v_cmpx_gt_u32_e64 s8, v47
	s_cbranch_execnz .LBB1850_665
.LBB1850_614:                           ;   in Loop: Header=BB1850_606 Depth=2
	s_or_b32 exec_lo, exec_lo, s11
	s_delay_alu instid0(SALU_CYCLE_1)
	s_mov_b32 s11, exec_lo
	v_cmpx_gt_u32_e64 s8, v51
	s_cbranch_execz .LBB1850_666
.LBB1850_615:                           ;   in Loop: Header=BB1850_606 Depth=2
	global_load_u16 v15, v95, s[0:1] offset:2048
	s_or_b32 exec_lo, exec_lo, s11
	s_delay_alu instid0(SALU_CYCLE_1)
	s_mov_b32 s11, exec_lo
	v_cmpx_gt_u32_e64 s8, v52
	s_cbranch_execnz .LBB1850_667
.LBB1850_616:                           ;   in Loop: Header=BB1850_606 Depth=2
	s_or_b32 exec_lo, exec_lo, s11
	s_delay_alu instid0(SALU_CYCLE_1)
	s_mov_b32 s11, exec_lo
	v_cmpx_gt_u32_e64 s8, v53
	s_cbranch_execz .LBB1850_668
.LBB1850_617:                           ;   in Loop: Header=BB1850_606 Depth=2
	global_load_u16 v13, v95, s[0:1] offset:3072
	s_or_b32 exec_lo, exec_lo, s11
	s_delay_alu instid0(SALU_CYCLE_1)
	s_mov_b32 s11, exec_lo
	v_cmpx_gt_u32_e64 s8, v54
	s_cbranch_execnz .LBB1850_669
.LBB1850_618:                           ;   in Loop: Header=BB1850_606 Depth=2
	s_or_b32 exec_lo, exec_lo, s11
	s_delay_alu instid0(SALU_CYCLE_1)
	s_mov_b32 s11, exec_lo
	v_cmpx_gt_u32_e64 s8, v55
	s_cbranch_execz .LBB1850_670
.LBB1850_619:                           ;   in Loop: Header=BB1850_606 Depth=2
	global_load_u16 v11, v96, s[0:1]
	s_or_b32 exec_lo, exec_lo, s11
	s_delay_alu instid0(SALU_CYCLE_1)
	s_mov_b32 s11, exec_lo
	v_cmpx_gt_u32_e64 s8, v56
	s_cbranch_execnz .LBB1850_671
.LBB1850_620:                           ;   in Loop: Header=BB1850_606 Depth=2
	s_or_b32 exec_lo, exec_lo, s11
	s_delay_alu instid0(SALU_CYCLE_1)
	s_mov_b32 s11, exec_lo
	v_cmpx_gt_u32_e64 s8, v57
	s_cbranch_execz .LBB1850_672
.LBB1850_621:                           ;   in Loop: Header=BB1850_606 Depth=2
	global_load_u16 v9, v98, s[0:1]
	s_or_b32 exec_lo, exec_lo, s11
	s_delay_alu instid0(SALU_CYCLE_1)
	s_mov_b32 s11, exec_lo
	v_cmpx_gt_u32_e64 s8, v58
	s_cbranch_execnz .LBB1850_673
.LBB1850_622:                           ;   in Loop: Header=BB1850_606 Depth=2
	s_or_b32 exec_lo, exec_lo, s11
	s_delay_alu instid0(SALU_CYCLE_1)
	s_mov_b32 s11, exec_lo
	v_cmpx_gt_u32_e64 s8, v59
	s_cbranch_execz .LBB1850_674
.LBB1850_623:                           ;   in Loop: Header=BB1850_606 Depth=2
	global_load_u16 v7, v100, s[0:1]
	s_or_b32 exec_lo, exec_lo, s11
	s_delay_alu instid0(SALU_CYCLE_1)
	s_mov_b32 s11, exec_lo
	v_cmpx_gt_u32_e64 s8, v60
	s_cbranch_execnz .LBB1850_675
.LBB1850_624:                           ;   in Loop: Header=BB1850_606 Depth=2
	s_or_b32 exec_lo, exec_lo, s11
	s_delay_alu instid0(SALU_CYCLE_1)
	s_mov_b32 s11, exec_lo
	v_cmpx_gt_u32_e64 s8, v61
	s_cbranch_execz .LBB1850_626
.LBB1850_625:                           ;   in Loop: Header=BB1850_606 Depth=2
	global_load_u16 v2, v102, s[0:1]
.LBB1850_626:                           ;   in Loop: Header=BB1850_606 Depth=2
	s_or_b32 exec_lo, exec_lo, s11
	s_delay_alu instid0(SALU_CYCLE_1)
	s_mov_b32 s12, exec_lo
                                        ; implicit-def: $sgpr11
                                        ; implicit-def: $vgpr4_vgpr5
	v_cmpx_gt_u32_e64 s8, v63
; %bb.627:                              ;   in Loop: Header=BB1850_606 Depth=2
	v_add_co_u32 v4, s0, s0, v103
	s_delay_alu instid0(VALU_DEP_1)
	v_add_co_ci_u32_e64 v5, null, s1, 0, s0
	s_sub_i32 s11, s53, s34
	s_or_b32 s10, s10, exec_lo
                                        ; implicit-def: $vgpr20
; %bb.628:                              ;   in Loop: Header=BB1850_606 Depth=2
	s_or_b32 exec_lo, exec_lo, s12
	s_waitcnt vmcnt(0)
	v_dual_mov_b32 v22, v19 :: v_dual_mov_b32 v23, v18
	v_dual_mov_b32 v24, v17 :: v_dual_mov_b32 v25, v16
	v_dual_mov_b32 v26, v15 :: v_dual_mov_b32 v27, v14
	v_dual_mov_b32 v28, v13 :: v_dual_mov_b32 v29, v12
	v_dual_mov_b32 v30, v11 :: v_dual_mov_b32 v31, v10
	v_dual_mov_b32 v32, v9 :: v_dual_mov_b32 v33, v8
	v_dual_mov_b32 v34, v7 :: v_dual_mov_b32 v35, v6
	v_dual_mov_b32 v36, v2 :: v_dual_mov_b32 v21, s8
	s_and_saveexec_b32 s0, s10
	s_cbranch_execz .LBB1850_630
.LBB1850_629:                           ;   in Loop: Header=BB1850_606 Depth=2
	global_load_u16 v20, v[4:5], off
	s_waitcnt vmcnt(1)
	v_dual_mov_b32 v21, s11 :: v_dual_mov_b32 v2, v36
	v_dual_mov_b32 v6, v35 :: v_dual_mov_b32 v7, v34
	;; [unrolled: 1-line block ×8, first 2 shown]
.LBB1850_630:                           ;   in Loop: Header=BB1850_606 Depth=2
	s_or_b32 exec_lo, exec_lo, s0
	s_delay_alu instid0(SALU_CYCLE_1)
	s_mov_b32 s0, exec_lo
	v_cmpx_lt_u32_e64 v1, v21
	s_cbranch_execz .LBB1850_646
; %bb.631:                              ;   in Loop: Header=BB1850_606 Depth=2
	v_cmp_lt_i16_e32 vcc_lo, -1, v19
	v_lshlrev_b32_e32 v5, 2, v48
	v_cndmask_b32_e64 v4, -1, 0xffff8000, vcc_lo
	s_delay_alu instid0(VALU_DEP_1) | instskip(NEXT) | instid1(VALU_DEP_1)
	v_xor_b32_e32 v4, v4, v19
	v_cmp_ne_u16_e32 vcc_lo, 0x7fff, v4
	v_cndmask_b32_e32 v4, 0xffff8000, v4, vcc_lo
	s_delay_alu instid0(VALU_DEP_1) | instskip(NEXT) | instid1(VALU_DEP_1)
	v_and_b32_e32 v4, 0xffff, v4
	v_lshrrev_b32_e32 v4, s49, v4
	s_delay_alu instid0(VALU_DEP_1) | instskip(NEXT) | instid1(VALU_DEP_1)
	v_and_b32_e32 v4, s55, v4
	v_lshl_or_b32 v4, v4, 4, v5
	ds_add_u32 v4, v94
	s_or_b32 exec_lo, exec_lo, s0
	s_delay_alu instid0(SALU_CYCLE_1)
	s_mov_b32 s0, exec_lo
	v_cmpx_lt_u32_e64 v45, v21
	s_cbranch_execnz .LBB1850_647
.LBB1850_632:                           ;   in Loop: Header=BB1850_606 Depth=2
	s_or_b32 exec_lo, exec_lo, s0
	s_delay_alu instid0(SALU_CYCLE_1)
	s_mov_b32 s0, exec_lo
	v_cmpx_lt_u32_e64 v46, v21
	s_cbranch_execz .LBB1850_648
.LBB1850_633:                           ;   in Loop: Header=BB1850_606 Depth=2
	v_cmp_lt_i16_e32 vcc_lo, -1, v17
	v_lshlrev_b32_e32 v5, 2, v48
	v_cndmask_b32_e64 v4, -1, 0xffff8000, vcc_lo
	s_delay_alu instid0(VALU_DEP_1) | instskip(NEXT) | instid1(VALU_DEP_1)
	v_xor_b32_e32 v4, v4, v17
	v_cmp_ne_u16_e32 vcc_lo, 0x7fff, v4
	v_cndmask_b32_e32 v4, 0xffff8000, v4, vcc_lo
	s_delay_alu instid0(VALU_DEP_1) | instskip(NEXT) | instid1(VALU_DEP_1)
	v_and_b32_e32 v4, 0xffff, v4
	v_lshrrev_b32_e32 v4, s49, v4
	s_delay_alu instid0(VALU_DEP_1) | instskip(NEXT) | instid1(VALU_DEP_1)
	v_and_b32_e32 v4, s55, v4
	v_lshl_or_b32 v4, v4, 4, v5
	ds_add_u32 v4, v94
	s_or_b32 exec_lo, exec_lo, s0
	s_delay_alu instid0(SALU_CYCLE_1)
	s_mov_b32 s0, exec_lo
	v_cmpx_lt_u32_e64 v47, v21
	s_cbranch_execnz .LBB1850_649
.LBB1850_634:                           ;   in Loop: Header=BB1850_606 Depth=2
	s_or_b32 exec_lo, exec_lo, s0
	s_delay_alu instid0(SALU_CYCLE_1)
	s_mov_b32 s0, exec_lo
	v_cmpx_lt_u32_e64 v51, v21
	s_cbranch_execz .LBB1850_650
.LBB1850_635:                           ;   in Loop: Header=BB1850_606 Depth=2
	v_cmp_lt_i16_e32 vcc_lo, -1, v15
	v_lshlrev_b32_e32 v5, 2, v48
	v_cndmask_b32_e64 v4, -1, 0xffff8000, vcc_lo
	s_delay_alu instid0(VALU_DEP_1) | instskip(NEXT) | instid1(VALU_DEP_1)
	v_xor_b32_e32 v4, v4, v15
	v_cmp_ne_u16_e32 vcc_lo, 0x7fff, v4
	v_cndmask_b32_e32 v4, 0xffff8000, v4, vcc_lo
	s_delay_alu instid0(VALU_DEP_1) | instskip(NEXT) | instid1(VALU_DEP_1)
	v_and_b32_e32 v4, 0xffff, v4
	v_lshrrev_b32_e32 v4, s49, v4
	s_delay_alu instid0(VALU_DEP_1) | instskip(NEXT) | instid1(VALU_DEP_1)
	v_and_b32_e32 v4, s55, v4
	v_lshl_or_b32 v4, v4, 4, v5
	ds_add_u32 v4, v94
	s_or_b32 exec_lo, exec_lo, s0
	s_delay_alu instid0(SALU_CYCLE_1)
	s_mov_b32 s0, exec_lo
	v_cmpx_lt_u32_e64 v52, v21
	s_cbranch_execnz .LBB1850_651
.LBB1850_636:                           ;   in Loop: Header=BB1850_606 Depth=2
	s_or_b32 exec_lo, exec_lo, s0
	s_delay_alu instid0(SALU_CYCLE_1)
	s_mov_b32 s0, exec_lo
	v_cmpx_lt_u32_e64 v53, v21
	s_cbranch_execz .LBB1850_652
.LBB1850_637:                           ;   in Loop: Header=BB1850_606 Depth=2
	v_cmp_lt_i16_e32 vcc_lo, -1, v13
	v_lshlrev_b32_e32 v5, 2, v48
	v_cndmask_b32_e64 v4, -1, 0xffff8000, vcc_lo
	s_delay_alu instid0(VALU_DEP_1) | instskip(NEXT) | instid1(VALU_DEP_1)
	v_xor_b32_e32 v4, v4, v13
	v_cmp_ne_u16_e32 vcc_lo, 0x7fff, v4
	v_cndmask_b32_e32 v4, 0xffff8000, v4, vcc_lo
	s_delay_alu instid0(VALU_DEP_1) | instskip(NEXT) | instid1(VALU_DEP_1)
	v_and_b32_e32 v4, 0xffff, v4
	v_lshrrev_b32_e32 v4, s49, v4
	s_delay_alu instid0(VALU_DEP_1) | instskip(NEXT) | instid1(VALU_DEP_1)
	v_and_b32_e32 v4, s55, v4
	v_lshl_or_b32 v4, v4, 4, v5
	ds_add_u32 v4, v94
	s_or_b32 exec_lo, exec_lo, s0
	s_delay_alu instid0(SALU_CYCLE_1)
	s_mov_b32 s0, exec_lo
	v_cmpx_lt_u32_e64 v54, v21
	s_cbranch_execnz .LBB1850_653
.LBB1850_638:                           ;   in Loop: Header=BB1850_606 Depth=2
	s_or_b32 exec_lo, exec_lo, s0
	s_delay_alu instid0(SALU_CYCLE_1)
	s_mov_b32 s0, exec_lo
	v_cmpx_lt_u32_e64 v55, v21
	s_cbranch_execz .LBB1850_654
.LBB1850_639:                           ;   in Loop: Header=BB1850_606 Depth=2
	v_cmp_lt_i16_e32 vcc_lo, -1, v11
	v_lshlrev_b32_e32 v5, 2, v48
	v_cndmask_b32_e64 v4, -1, 0xffff8000, vcc_lo
	s_delay_alu instid0(VALU_DEP_1) | instskip(NEXT) | instid1(VALU_DEP_1)
	v_xor_b32_e32 v4, v4, v11
	v_cmp_ne_u16_e32 vcc_lo, 0x7fff, v4
	v_cndmask_b32_e32 v4, 0xffff8000, v4, vcc_lo
	s_delay_alu instid0(VALU_DEP_1) | instskip(NEXT) | instid1(VALU_DEP_1)
	v_and_b32_e32 v4, 0xffff, v4
	v_lshrrev_b32_e32 v4, s49, v4
	s_delay_alu instid0(VALU_DEP_1) | instskip(NEXT) | instid1(VALU_DEP_1)
	v_and_b32_e32 v4, s55, v4
	v_lshl_or_b32 v4, v4, 4, v5
	ds_add_u32 v4, v94
	s_or_b32 exec_lo, exec_lo, s0
	s_delay_alu instid0(SALU_CYCLE_1)
	s_mov_b32 s0, exec_lo
	v_cmpx_lt_u32_e64 v56, v21
	s_cbranch_execnz .LBB1850_655
.LBB1850_640:                           ;   in Loop: Header=BB1850_606 Depth=2
	s_or_b32 exec_lo, exec_lo, s0
	s_delay_alu instid0(SALU_CYCLE_1)
	s_mov_b32 s0, exec_lo
	v_cmpx_lt_u32_e64 v57, v21
	s_cbranch_execz .LBB1850_656
.LBB1850_641:                           ;   in Loop: Header=BB1850_606 Depth=2
	v_cmp_lt_i16_e32 vcc_lo, -1, v9
	v_lshlrev_b32_e32 v5, 2, v48
	v_cndmask_b32_e64 v4, -1, 0xffff8000, vcc_lo
	s_delay_alu instid0(VALU_DEP_1) | instskip(NEXT) | instid1(VALU_DEP_1)
	v_xor_b32_e32 v4, v4, v9
	v_cmp_ne_u16_e32 vcc_lo, 0x7fff, v4
	v_cndmask_b32_e32 v4, 0xffff8000, v4, vcc_lo
	s_delay_alu instid0(VALU_DEP_1) | instskip(NEXT) | instid1(VALU_DEP_1)
	v_and_b32_e32 v4, 0xffff, v4
	v_lshrrev_b32_e32 v4, s49, v4
	s_delay_alu instid0(VALU_DEP_1) | instskip(NEXT) | instid1(VALU_DEP_1)
	v_and_b32_e32 v4, s55, v4
	v_lshl_or_b32 v4, v4, 4, v5
	ds_add_u32 v4, v94
	s_or_b32 exec_lo, exec_lo, s0
	s_delay_alu instid0(SALU_CYCLE_1)
	s_mov_b32 s0, exec_lo
	v_cmpx_lt_u32_e64 v58, v21
	s_cbranch_execnz .LBB1850_657
.LBB1850_642:                           ;   in Loop: Header=BB1850_606 Depth=2
	s_or_b32 exec_lo, exec_lo, s0
	s_delay_alu instid0(SALU_CYCLE_1)
	s_mov_b32 s0, exec_lo
	v_cmpx_lt_u32_e64 v59, v21
	s_cbranch_execz .LBB1850_658
.LBB1850_643:                           ;   in Loop: Header=BB1850_606 Depth=2
	v_cmp_lt_i16_e32 vcc_lo, -1, v7
	v_lshlrev_b32_e32 v5, 2, v48
	v_cndmask_b32_e64 v4, -1, 0xffff8000, vcc_lo
	s_delay_alu instid0(VALU_DEP_1) | instskip(NEXT) | instid1(VALU_DEP_1)
	v_xor_b32_e32 v4, v4, v7
	v_cmp_ne_u16_e32 vcc_lo, 0x7fff, v4
	v_cndmask_b32_e32 v4, 0xffff8000, v4, vcc_lo
	s_delay_alu instid0(VALU_DEP_1) | instskip(NEXT) | instid1(VALU_DEP_1)
	v_and_b32_e32 v4, 0xffff, v4
	v_lshrrev_b32_e32 v4, s49, v4
	s_delay_alu instid0(VALU_DEP_1) | instskip(NEXT) | instid1(VALU_DEP_1)
	v_and_b32_e32 v4, s55, v4
	v_lshl_or_b32 v4, v4, 4, v5
	ds_add_u32 v4, v94
	s_or_b32 exec_lo, exec_lo, s0
	s_delay_alu instid0(SALU_CYCLE_1)
	s_mov_b32 s0, exec_lo
	v_cmpx_lt_u32_e64 v60, v21
	s_cbranch_execnz .LBB1850_659
.LBB1850_644:                           ;   in Loop: Header=BB1850_606 Depth=2
	s_or_b32 exec_lo, exec_lo, s0
	s_delay_alu instid0(SALU_CYCLE_1)
	s_mov_b32 s0, exec_lo
	v_cmpx_lt_u32_e64 v61, v21
	s_cbranch_execz .LBB1850_660
.LBB1850_645:                           ;   in Loop: Header=BB1850_606 Depth=2
	v_cmp_lt_i16_e32 vcc_lo, -1, v2
	v_lshlrev_b32_e32 v5, 2, v48
	v_cndmask_b32_e64 v4, -1, 0xffff8000, vcc_lo
	s_delay_alu instid0(VALU_DEP_1) | instskip(NEXT) | instid1(VALU_DEP_1)
	v_xor_b32_e32 v4, v4, v2
	v_cmp_ne_u16_e32 vcc_lo, 0x7fff, v4
	v_cndmask_b32_e32 v4, 0xffff8000, v4, vcc_lo
	s_delay_alu instid0(VALU_DEP_1) | instskip(NEXT) | instid1(VALU_DEP_1)
	v_and_b32_e32 v4, 0xffff, v4
	v_lshrrev_b32_e32 v4, s49, v4
	s_delay_alu instid0(VALU_DEP_1) | instskip(NEXT) | instid1(VALU_DEP_1)
	v_and_b32_e32 v4, s55, v4
	v_lshl_or_b32 v4, v4, 4, v5
	ds_add_u32 v4, v94
	s_or_b32 exec_lo, exec_lo, s0
	s_delay_alu instid0(SALU_CYCLE_1)
	s_mov_b32 s0, exec_lo
	v_cmpx_lt_u32_e64 v63, v21
	s_cbranch_execz .LBB1850_605
	s_branch .LBB1850_661
.LBB1850_646:                           ;   in Loop: Header=BB1850_606 Depth=2
	s_or_b32 exec_lo, exec_lo, s0
	s_delay_alu instid0(SALU_CYCLE_1)
	s_mov_b32 s0, exec_lo
	v_cmpx_lt_u32_e64 v45, v21
	s_cbranch_execz .LBB1850_632
.LBB1850_647:                           ;   in Loop: Header=BB1850_606 Depth=2
	v_cmp_lt_i16_e32 vcc_lo, -1, v18
	v_lshlrev_b32_e32 v5, 2, v48
	v_cndmask_b32_e64 v4, -1, 0xffff8000, vcc_lo
	s_delay_alu instid0(VALU_DEP_1) | instskip(NEXT) | instid1(VALU_DEP_1)
	v_xor_b32_e32 v4, v4, v18
	v_cmp_ne_u16_e32 vcc_lo, 0x7fff, v4
	v_cndmask_b32_e32 v4, 0xffff8000, v4, vcc_lo
	s_delay_alu instid0(VALU_DEP_1) | instskip(NEXT) | instid1(VALU_DEP_1)
	v_and_b32_e32 v4, 0xffff, v4
	v_lshrrev_b32_e32 v4, s49, v4
	s_delay_alu instid0(VALU_DEP_1) | instskip(NEXT) | instid1(VALU_DEP_1)
	v_and_b32_e32 v4, s55, v4
	v_lshl_or_b32 v4, v4, 4, v5
	ds_add_u32 v4, v94
	s_or_b32 exec_lo, exec_lo, s0
	s_delay_alu instid0(SALU_CYCLE_1)
	s_mov_b32 s0, exec_lo
	v_cmpx_lt_u32_e64 v46, v21
	s_cbranch_execnz .LBB1850_633
.LBB1850_648:                           ;   in Loop: Header=BB1850_606 Depth=2
	s_or_b32 exec_lo, exec_lo, s0
	s_delay_alu instid0(SALU_CYCLE_1)
	s_mov_b32 s0, exec_lo
	v_cmpx_lt_u32_e64 v47, v21
	s_cbranch_execz .LBB1850_634
.LBB1850_649:                           ;   in Loop: Header=BB1850_606 Depth=2
	v_cmp_lt_i16_e32 vcc_lo, -1, v16
	v_lshlrev_b32_e32 v5, 2, v48
	v_cndmask_b32_e64 v4, -1, 0xffff8000, vcc_lo
	s_delay_alu instid0(VALU_DEP_1) | instskip(NEXT) | instid1(VALU_DEP_1)
	v_xor_b32_e32 v4, v4, v16
	v_cmp_ne_u16_e32 vcc_lo, 0x7fff, v4
	v_cndmask_b32_e32 v4, 0xffff8000, v4, vcc_lo
	s_delay_alu instid0(VALU_DEP_1) | instskip(NEXT) | instid1(VALU_DEP_1)
	v_and_b32_e32 v4, 0xffff, v4
	v_lshrrev_b32_e32 v4, s49, v4
	s_delay_alu instid0(VALU_DEP_1) | instskip(NEXT) | instid1(VALU_DEP_1)
	v_and_b32_e32 v4, s55, v4
	v_lshl_or_b32 v4, v4, 4, v5
	ds_add_u32 v4, v94
	s_or_b32 exec_lo, exec_lo, s0
	s_delay_alu instid0(SALU_CYCLE_1)
	s_mov_b32 s0, exec_lo
	v_cmpx_lt_u32_e64 v51, v21
	s_cbranch_execnz .LBB1850_635
.LBB1850_650:                           ;   in Loop: Header=BB1850_606 Depth=2
	s_or_b32 exec_lo, exec_lo, s0
	s_delay_alu instid0(SALU_CYCLE_1)
	s_mov_b32 s0, exec_lo
	v_cmpx_lt_u32_e64 v52, v21
	s_cbranch_execz .LBB1850_636
.LBB1850_651:                           ;   in Loop: Header=BB1850_606 Depth=2
	v_cmp_lt_i16_e32 vcc_lo, -1, v14
	v_lshlrev_b32_e32 v5, 2, v48
	v_cndmask_b32_e64 v4, -1, 0xffff8000, vcc_lo
	s_delay_alu instid0(VALU_DEP_1) | instskip(NEXT) | instid1(VALU_DEP_1)
	v_xor_b32_e32 v4, v4, v14
	v_cmp_ne_u16_e32 vcc_lo, 0x7fff, v4
	v_cndmask_b32_e32 v4, 0xffff8000, v4, vcc_lo
	s_delay_alu instid0(VALU_DEP_1) | instskip(NEXT) | instid1(VALU_DEP_1)
	v_and_b32_e32 v4, 0xffff, v4
	v_lshrrev_b32_e32 v4, s49, v4
	s_delay_alu instid0(VALU_DEP_1) | instskip(NEXT) | instid1(VALU_DEP_1)
	v_and_b32_e32 v4, s55, v4
	v_lshl_or_b32 v4, v4, 4, v5
	ds_add_u32 v4, v94
	s_or_b32 exec_lo, exec_lo, s0
	s_delay_alu instid0(SALU_CYCLE_1)
	s_mov_b32 s0, exec_lo
	v_cmpx_lt_u32_e64 v53, v21
	s_cbranch_execnz .LBB1850_637
.LBB1850_652:                           ;   in Loop: Header=BB1850_606 Depth=2
	s_or_b32 exec_lo, exec_lo, s0
	s_delay_alu instid0(SALU_CYCLE_1)
	s_mov_b32 s0, exec_lo
	v_cmpx_lt_u32_e64 v54, v21
	s_cbranch_execz .LBB1850_638
.LBB1850_653:                           ;   in Loop: Header=BB1850_606 Depth=2
	v_cmp_lt_i16_e32 vcc_lo, -1, v12
	v_lshlrev_b32_e32 v5, 2, v48
	v_cndmask_b32_e64 v4, -1, 0xffff8000, vcc_lo
	s_delay_alu instid0(VALU_DEP_1) | instskip(NEXT) | instid1(VALU_DEP_1)
	v_xor_b32_e32 v4, v4, v12
	v_cmp_ne_u16_e32 vcc_lo, 0x7fff, v4
	v_cndmask_b32_e32 v4, 0xffff8000, v4, vcc_lo
	s_delay_alu instid0(VALU_DEP_1) | instskip(NEXT) | instid1(VALU_DEP_1)
	v_and_b32_e32 v4, 0xffff, v4
	v_lshrrev_b32_e32 v4, s49, v4
	s_delay_alu instid0(VALU_DEP_1) | instskip(NEXT) | instid1(VALU_DEP_1)
	v_and_b32_e32 v4, s55, v4
	v_lshl_or_b32 v4, v4, 4, v5
	ds_add_u32 v4, v94
	s_or_b32 exec_lo, exec_lo, s0
	s_delay_alu instid0(SALU_CYCLE_1)
	s_mov_b32 s0, exec_lo
	v_cmpx_lt_u32_e64 v55, v21
	s_cbranch_execnz .LBB1850_639
.LBB1850_654:                           ;   in Loop: Header=BB1850_606 Depth=2
	s_or_b32 exec_lo, exec_lo, s0
	s_delay_alu instid0(SALU_CYCLE_1)
	s_mov_b32 s0, exec_lo
	v_cmpx_lt_u32_e64 v56, v21
	s_cbranch_execz .LBB1850_640
.LBB1850_655:                           ;   in Loop: Header=BB1850_606 Depth=2
	v_cmp_lt_i16_e32 vcc_lo, -1, v10
	v_lshlrev_b32_e32 v5, 2, v48
	v_cndmask_b32_e64 v4, -1, 0xffff8000, vcc_lo
	s_delay_alu instid0(VALU_DEP_1) | instskip(NEXT) | instid1(VALU_DEP_1)
	v_xor_b32_e32 v4, v4, v10
	v_cmp_ne_u16_e32 vcc_lo, 0x7fff, v4
	v_cndmask_b32_e32 v4, 0xffff8000, v4, vcc_lo
	s_delay_alu instid0(VALU_DEP_1) | instskip(NEXT) | instid1(VALU_DEP_1)
	v_and_b32_e32 v4, 0xffff, v4
	v_lshrrev_b32_e32 v4, s49, v4
	s_delay_alu instid0(VALU_DEP_1) | instskip(NEXT) | instid1(VALU_DEP_1)
	v_and_b32_e32 v4, s55, v4
	v_lshl_or_b32 v4, v4, 4, v5
	ds_add_u32 v4, v94
	s_or_b32 exec_lo, exec_lo, s0
	s_delay_alu instid0(SALU_CYCLE_1)
	s_mov_b32 s0, exec_lo
	v_cmpx_lt_u32_e64 v57, v21
	s_cbranch_execnz .LBB1850_641
.LBB1850_656:                           ;   in Loop: Header=BB1850_606 Depth=2
	s_or_b32 exec_lo, exec_lo, s0
	s_delay_alu instid0(SALU_CYCLE_1)
	s_mov_b32 s0, exec_lo
	v_cmpx_lt_u32_e64 v58, v21
	s_cbranch_execz .LBB1850_642
.LBB1850_657:                           ;   in Loop: Header=BB1850_606 Depth=2
	v_cmp_lt_i16_e32 vcc_lo, -1, v8
	v_lshlrev_b32_e32 v5, 2, v48
	v_cndmask_b32_e64 v4, -1, 0xffff8000, vcc_lo
	s_delay_alu instid0(VALU_DEP_1) | instskip(NEXT) | instid1(VALU_DEP_1)
	v_xor_b32_e32 v4, v4, v8
	v_cmp_ne_u16_e32 vcc_lo, 0x7fff, v4
	v_cndmask_b32_e32 v4, 0xffff8000, v4, vcc_lo
	s_delay_alu instid0(VALU_DEP_1) | instskip(NEXT) | instid1(VALU_DEP_1)
	v_and_b32_e32 v4, 0xffff, v4
	v_lshrrev_b32_e32 v4, s49, v4
	s_delay_alu instid0(VALU_DEP_1) | instskip(NEXT) | instid1(VALU_DEP_1)
	v_and_b32_e32 v4, s55, v4
	v_lshl_or_b32 v4, v4, 4, v5
	ds_add_u32 v4, v94
	s_or_b32 exec_lo, exec_lo, s0
	s_delay_alu instid0(SALU_CYCLE_1)
	s_mov_b32 s0, exec_lo
	v_cmpx_lt_u32_e64 v59, v21
	s_cbranch_execnz .LBB1850_643
.LBB1850_658:                           ;   in Loop: Header=BB1850_606 Depth=2
	s_or_b32 exec_lo, exec_lo, s0
	s_delay_alu instid0(SALU_CYCLE_1)
	s_mov_b32 s0, exec_lo
	v_cmpx_lt_u32_e64 v60, v21
	s_cbranch_execz .LBB1850_644
.LBB1850_659:                           ;   in Loop: Header=BB1850_606 Depth=2
	v_cmp_lt_i16_e32 vcc_lo, -1, v6
	v_lshlrev_b32_e32 v5, 2, v48
	v_cndmask_b32_e64 v4, -1, 0xffff8000, vcc_lo
	s_delay_alu instid0(VALU_DEP_1) | instskip(NEXT) | instid1(VALU_DEP_1)
	v_xor_b32_e32 v4, v4, v6
	v_cmp_ne_u16_e32 vcc_lo, 0x7fff, v4
	v_cndmask_b32_e32 v4, 0xffff8000, v4, vcc_lo
	s_delay_alu instid0(VALU_DEP_1) | instskip(NEXT) | instid1(VALU_DEP_1)
	v_and_b32_e32 v4, 0xffff, v4
	v_lshrrev_b32_e32 v4, s49, v4
	s_delay_alu instid0(VALU_DEP_1) | instskip(NEXT) | instid1(VALU_DEP_1)
	v_and_b32_e32 v4, s55, v4
	v_lshl_or_b32 v4, v4, 4, v5
	ds_add_u32 v4, v94
	s_or_b32 exec_lo, exec_lo, s0
	s_delay_alu instid0(SALU_CYCLE_1)
	s_mov_b32 s0, exec_lo
	v_cmpx_lt_u32_e64 v61, v21
	s_cbranch_execnz .LBB1850_645
.LBB1850_660:                           ;   in Loop: Header=BB1850_606 Depth=2
	s_or_b32 exec_lo, exec_lo, s0
	s_delay_alu instid0(SALU_CYCLE_1)
	s_mov_b32 s0, exec_lo
	v_cmpx_lt_u32_e64 v63, v21
	s_cbranch_execz .LBB1850_605
.LBB1850_661:                           ;   in Loop: Header=BB1850_606 Depth=2
	s_waitcnt vmcnt(0)
	v_cmp_lt_i16_e32 vcc_lo, -1, v20
	v_lshlrev_b32_e32 v5, 2, v48
	v_cndmask_b32_e64 v4, -1, 0xffff8000, vcc_lo
	s_delay_alu instid0(VALU_DEP_1) | instskip(NEXT) | instid1(VALU_DEP_1)
	v_xor_b32_e32 v4, v4, v20
	v_cmp_ne_u16_e32 vcc_lo, 0x7fff, v4
	v_cndmask_b32_e32 v4, 0xffff8000, v4, vcc_lo
	s_delay_alu instid0(VALU_DEP_1) | instskip(NEXT) | instid1(VALU_DEP_1)
	v_and_b32_e32 v4, 0xffff, v4
	v_lshrrev_b32_e32 v4, s49, v4
	s_delay_alu instid0(VALU_DEP_1) | instskip(NEXT) | instid1(VALU_DEP_1)
	v_and_b32_e32 v4, s55, v4
	v_lshl_or_b32 v4, v4, 4, v5
	ds_add_u32 v4, v94
	s_branch .LBB1850_605
.LBB1850_662:                           ;   in Loop: Header=BB1850_606 Depth=2
	s_or_b32 exec_lo, exec_lo, s11
	s_delay_alu instid0(SALU_CYCLE_1)
	s_mov_b32 s11, exec_lo
	v_cmpx_gt_u32_e64 s8, v45
	s_cbranch_execz .LBB1850_612
.LBB1850_663:                           ;   in Loop: Header=BB1850_606 Depth=2
	global_load_u16 v18, v95, s[0:1] offset:512
	s_or_b32 exec_lo, exec_lo, s11
	s_delay_alu instid0(SALU_CYCLE_1)
	s_mov_b32 s11, exec_lo
	v_cmpx_gt_u32_e64 s8, v46
	s_cbranch_execnz .LBB1850_613
.LBB1850_664:                           ;   in Loop: Header=BB1850_606 Depth=2
	s_or_b32 exec_lo, exec_lo, s11
	s_delay_alu instid0(SALU_CYCLE_1)
	s_mov_b32 s11, exec_lo
	v_cmpx_gt_u32_e64 s8, v47
	s_cbranch_execz .LBB1850_614
.LBB1850_665:                           ;   in Loop: Header=BB1850_606 Depth=2
	global_load_u16 v16, v95, s[0:1] offset:1536
	s_or_b32 exec_lo, exec_lo, s11
	s_delay_alu instid0(SALU_CYCLE_1)
	s_mov_b32 s11, exec_lo
	v_cmpx_gt_u32_e64 s8, v51
	s_cbranch_execnz .LBB1850_615
.LBB1850_666:                           ;   in Loop: Header=BB1850_606 Depth=2
	s_or_b32 exec_lo, exec_lo, s11
	s_delay_alu instid0(SALU_CYCLE_1)
	s_mov_b32 s11, exec_lo
	v_cmpx_gt_u32_e64 s8, v52
	s_cbranch_execz .LBB1850_616
.LBB1850_667:                           ;   in Loop: Header=BB1850_606 Depth=2
	global_load_u16 v14, v95, s[0:1] offset:2560
	s_or_b32 exec_lo, exec_lo, s11
	s_delay_alu instid0(SALU_CYCLE_1)
	s_mov_b32 s11, exec_lo
	v_cmpx_gt_u32_e64 s8, v53
	s_cbranch_execnz .LBB1850_617
.LBB1850_668:                           ;   in Loop: Header=BB1850_606 Depth=2
	s_or_b32 exec_lo, exec_lo, s11
	s_delay_alu instid0(SALU_CYCLE_1)
	s_mov_b32 s11, exec_lo
	v_cmpx_gt_u32_e64 s8, v54
	s_cbranch_execz .LBB1850_618
.LBB1850_669:                           ;   in Loop: Header=BB1850_606 Depth=2
	global_load_u16 v12, v95, s[0:1] offset:3584
	s_or_b32 exec_lo, exec_lo, s11
	s_delay_alu instid0(SALU_CYCLE_1)
	s_mov_b32 s11, exec_lo
	v_cmpx_gt_u32_e64 s8, v55
	s_cbranch_execnz .LBB1850_619
.LBB1850_670:                           ;   in Loop: Header=BB1850_606 Depth=2
	s_or_b32 exec_lo, exec_lo, s11
	s_delay_alu instid0(SALU_CYCLE_1)
	s_mov_b32 s11, exec_lo
	v_cmpx_gt_u32_e64 s8, v56
	s_cbranch_execz .LBB1850_620
.LBB1850_671:                           ;   in Loop: Header=BB1850_606 Depth=2
	global_load_u16 v10, v97, s[0:1]
	s_or_b32 exec_lo, exec_lo, s11
	s_delay_alu instid0(SALU_CYCLE_1)
	s_mov_b32 s11, exec_lo
	v_cmpx_gt_u32_e64 s8, v57
	s_cbranch_execnz .LBB1850_621
.LBB1850_672:                           ;   in Loop: Header=BB1850_606 Depth=2
	s_or_b32 exec_lo, exec_lo, s11
	s_delay_alu instid0(SALU_CYCLE_1)
	s_mov_b32 s11, exec_lo
	v_cmpx_gt_u32_e64 s8, v58
	s_cbranch_execz .LBB1850_622
.LBB1850_673:                           ;   in Loop: Header=BB1850_606 Depth=2
	global_load_u16 v8, v99, s[0:1]
	s_or_b32 exec_lo, exec_lo, s11
	s_delay_alu instid0(SALU_CYCLE_1)
	s_mov_b32 s11, exec_lo
	v_cmpx_gt_u32_e64 s8, v59
	s_cbranch_execnz .LBB1850_623
.LBB1850_674:                           ;   in Loop: Header=BB1850_606 Depth=2
	s_or_b32 exec_lo, exec_lo, s11
	s_delay_alu instid0(SALU_CYCLE_1)
	s_mov_b32 s11, exec_lo
	v_cmpx_gt_u32_e64 s8, v60
	s_cbranch_execz .LBB1850_624
.LBB1850_675:                           ;   in Loop: Header=BB1850_606 Depth=2
	global_load_u16 v6, v101, s[0:1]
	s_or_b32 exec_lo, exec_lo, s11
	s_delay_alu instid0(SALU_CYCLE_1)
	s_mov_b32 s11, exec_lo
	v_cmpx_gt_u32_e64 s8, v61
	s_cbranch_execz .LBB1850_626
	s_branch .LBB1850_625
.LBB1850_676:                           ;   in Loop: Header=BB1850_12 Depth=1
	v_mov_b32_e32 v2, 0
	s_waitcnt vmcnt(0) lgkmcnt(0)
	s_barrier
	buffer_gl0_inv
	s_and_saveexec_b32 s0, s2
	s_cbranch_execz .LBB1850_678
; %bb.677:                              ;   in Loop: Header=BB1850_12 Depth=1
	ds_load_2addr_b64 v[4:7], v64 offset1:1
	s_waitcnt lgkmcnt(0)
	v_add_nc_u32_e32 v2, v5, v4
	s_delay_alu instid0(VALU_DEP_1)
	v_add3_u32 v2, v2, v6, v7
.LBB1850_678:                           ;   in Loop: Header=BB1850_12 Depth=1
	s_or_b32 exec_lo, exec_lo, s0
	v_and_b32_e32 v4, 15, v104
	s_delay_alu instid0(VALU_DEP_2) | instskip(SKIP_1) | instid1(VALU_DEP_3)
	v_mov_b32_dpp v5, v2 row_shr:1 row_mask:0xf bank_mask:0xf
	v_and_b32_e32 v6, 16, v104
	v_cmp_eq_u32_e64 s0, 0, v4
	v_cmp_lt_u32_e64 s1, 1, v4
	v_cmp_lt_u32_e64 s8, 3, v4
	;; [unrolled: 1-line block ×3, first 2 shown]
	v_cmp_eq_u32_e64 s10, 0, v6
	v_cndmask_b32_e64 v5, v5, 0, s0
	s_delay_alu instid0(VALU_DEP_1) | instskip(NEXT) | instid1(VALU_DEP_1)
	v_add_nc_u32_e32 v2, v5, v2
	v_mov_b32_dpp v5, v2 row_shr:2 row_mask:0xf bank_mask:0xf
	s_delay_alu instid0(VALU_DEP_1) | instskip(NEXT) | instid1(VALU_DEP_1)
	v_cndmask_b32_e64 v5, 0, v5, s1
	v_add_nc_u32_e32 v2, v2, v5
	s_delay_alu instid0(VALU_DEP_1) | instskip(NEXT) | instid1(VALU_DEP_1)
	v_mov_b32_dpp v5, v2 row_shr:4 row_mask:0xf bank_mask:0xf
	v_cndmask_b32_e64 v5, 0, v5, s8
	s_delay_alu instid0(VALU_DEP_1) | instskip(NEXT) | instid1(VALU_DEP_1)
	v_add_nc_u32_e32 v2, v2, v5
	v_mov_b32_dpp v5, v2 row_shr:8 row_mask:0xf bank_mask:0xf
	s_delay_alu instid0(VALU_DEP_1) | instskip(SKIP_1) | instid1(VALU_DEP_2)
	v_cndmask_b32_e64 v4, 0, v5, s9
	v_bfe_i32 v5, v104, 4, 1
	v_add_nc_u32_e32 v2, v2, v4
	ds_swizzle_b32 v4, v2 offset:swizzle(BROADCAST,32,15)
	s_waitcnt lgkmcnt(0)
	v_and_b32_e32 v4, v5, v4
	s_delay_alu instid0(VALU_DEP_1)
	v_add_nc_u32_e32 v4, v2, v4
	s_and_saveexec_b32 s11, s3
	s_cbranch_execz .LBB1850_680
; %bb.679:                              ;   in Loop: Header=BB1850_12 Depth=1
	ds_store_b32 v65, v4
.LBB1850_680:                           ;   in Loop: Header=BB1850_12 Depth=1
	s_or_b32 exec_lo, exec_lo, s11
	v_and_b32_e32 v2, 7, v104
	s_waitcnt lgkmcnt(0)
	s_barrier
	buffer_gl0_inv
	s_and_saveexec_b32 s11, s4
	s_cbranch_execz .LBB1850_682
; %bb.681:                              ;   in Loop: Header=BB1850_12 Depth=1
	ds_load_b32 v5, v66
	v_cmp_ne_u32_e32 vcc_lo, 0, v2
	s_waitcnt lgkmcnt(0)
	v_mov_b32_dpp v6, v5 row_shr:1 row_mask:0xf bank_mask:0xf
	s_delay_alu instid0(VALU_DEP_1) | instskip(SKIP_1) | instid1(VALU_DEP_2)
	v_cndmask_b32_e32 v6, 0, v6, vcc_lo
	v_cmp_lt_u32_e32 vcc_lo, 1, v2
	v_add_nc_u32_e32 v5, v6, v5
	s_delay_alu instid0(VALU_DEP_1) | instskip(NEXT) | instid1(VALU_DEP_1)
	v_mov_b32_dpp v6, v5 row_shr:2 row_mask:0xf bank_mask:0xf
	v_cndmask_b32_e32 v6, 0, v6, vcc_lo
	v_cmp_lt_u32_e32 vcc_lo, 3, v2
	s_delay_alu instid0(VALU_DEP_2) | instskip(NEXT) | instid1(VALU_DEP_1)
	v_add_nc_u32_e32 v5, v5, v6
	v_mov_b32_dpp v6, v5 row_shr:4 row_mask:0xf bank_mask:0xf
	s_delay_alu instid0(VALU_DEP_1) | instskip(NEXT) | instid1(VALU_DEP_1)
	v_cndmask_b32_e32 v6, 0, v6, vcc_lo
	v_add_nc_u32_e32 v5, v5, v6
	ds_store_b32 v66, v5
.LBB1850_682:                           ;   in Loop: Header=BB1850_12 Depth=1
	s_or_b32 exec_lo, exec_lo, s11
	v_mov_b32_e32 v5, 0
	s_waitcnt lgkmcnt(0)
	s_barrier
	buffer_gl0_inv
	s_and_saveexec_b32 s11, s5
	s_cbranch_execz .LBB1850_684
; %bb.683:                              ;   in Loop: Header=BB1850_12 Depth=1
	ds_load_b32 v5, v67
.LBB1850_684:                           ;   in Loop: Header=BB1850_12 Depth=1
	s_or_b32 exec_lo, exec_lo, s11
	v_add_nc_u32_e32 v6, -1, v104
	s_waitcnt lgkmcnt(0)
	v_add_nc_u32_e32 v4, v5, v4
	v_cmp_eq_u32_e64 s11, 0, v104
	s_barrier
	v_cmp_gt_i32_e32 vcc_lo, 0, v6
	buffer_gl0_inv
	v_cndmask_b32_e32 v6, v6, v104, vcc_lo
	s_delay_alu instid0(VALU_DEP_1)
	v_lshlrev_b32_e32 v105, 2, v6
	ds_bpermute_b32 v4, v105, v4
	s_and_saveexec_b32 s12, s2
	s_cbranch_execz .LBB1850_686
; %bb.685:                              ;   in Loop: Header=BB1850_12 Depth=1
	s_waitcnt lgkmcnt(0)
	v_cndmask_b32_e64 v4, v4, v5, s11
	s_delay_alu instid0(VALU_DEP_1)
	v_add_nc_u32_e32 v4, s52, v4
	ds_store_b32 v44, v4
.LBB1850_686:                           ;   in Loop: Header=BB1850_12 Depth=1
	s_or_b32 exec_lo, exec_lo, s12
	s_load_b64 s[12:13], s[42:43], 0x0
	v_lshlrev_b32_e32 v5, 3, v104
	v_cmp_lt_u32_e64 s14, 3, v2
	v_or_b32_e32 v106, v104, v68
	s_mov_b32 s56, s54
	s_mov_b32 s34, s52
	v_add_co_u32 v107, vcc_lo, v90, v5
	v_add_co_ci_u32_e32 v108, vcc_lo, 0, v91, vcc_lo
	v_or_b32_e32 v109, 32, v106
	v_or_b32_e32 v110, 64, v106
	;; [unrolled: 1-line block ×10, first 2 shown]
	s_waitcnt lgkmcnt(0)
	s_cmp_lt_u32 s15, s13
	v_or_b32_e32 v119, 0x160, v106
	s_cselect_b32 s13, 14, 20
	v_or_b32_e32 v120, 0x180, v106
	s_add_u32 s16, s42, s13
	s_addc_u32 s17, s43, 0
	s_cmp_lt_u32 s26, s12
	global_load_u16 v4, v3, s[16:17]
	s_cselect_b32 s12, 12, 18
	v_or_b32_e32 v121, 0x1a0, v106
	s_add_u32 s12, s42, s12
	s_addc_u32 s13, s43, 0
	v_or_b32_e32 v122, 0x1c0, v106
	global_load_u16 v6, v3, s[12:13]
	v_cmp_eq_u32_e64 s12, 0, v2
	v_cmp_lt_u32_e64 s13, 1, v2
	v_lshlrev_b32_e32 v2, 1, v104
	v_or_b32_e32 v123, 0x1e0, v106
                                        ; implicit-def: $vgpr8_vgpr9
                                        ; implicit-def: $vgpr10_vgpr11
                                        ; implicit-def: $vgpr12_vgpr13
                                        ; implicit-def: $vgpr14_vgpr15
                                        ; implicit-def: $vgpr16_vgpr17
                                        ; implicit-def: $vgpr18_vgpr19
                                        ; implicit-def: $vgpr20_vgpr21
                                        ; implicit-def: $vgpr22_vgpr23
                                        ; implicit-def: $vgpr24_vgpr25
                                        ; implicit-def: $vgpr26_vgpr27
                                        ; implicit-def: $vgpr28_vgpr29
                                        ; implicit-def: $vgpr30_vgpr31
                                        ; implicit-def: $vgpr32_vgpr33
                                        ; implicit-def: $vgpr34_vgpr35
                                        ; implicit-def: $vgpr129
                                        ; implicit-def: $vgpr130
                                        ; implicit-def: $vgpr131
                                        ; implicit-def: $vgpr132
                                        ; implicit-def: $vgpr133
                                        ; implicit-def: $vgpr134
                                        ; implicit-def: $vgpr135
                                        ; implicit-def: $vgpr136
                                        ; implicit-def: $vgpr137
                                        ; implicit-def: $vgpr138
                                        ; implicit-def: $vgpr139
                                        ; implicit-def: $vgpr140
                                        ; implicit-def: $vgpr141
                                        ; implicit-def: $vgpr142
                                        ; implicit-def: $vgpr143
                                        ; implicit-def: $vgpr144
	s_delay_alu instid0(VALU_DEP_2) | instskip(SKIP_1) | instid1(VALU_DEP_2)
	v_add_co_u32 v124, vcc_lo, v92, v2
	v_add_co_ci_u32_e32 v125, vcc_lo, 0, v93, vcc_lo
	v_add_co_u32 v127, vcc_lo, 0x3c0, v124
	s_delay_alu instid0(VALU_DEP_2) | instskip(SKIP_3) | instid1(VALU_DEP_1)
	v_add_co_ci_u32_e32 v128, vcc_lo, 0, v125, vcc_lo
	s_waitcnt vmcnt(1)
	v_mad_u32_u24 v7, v70, v4, v0
	s_waitcnt vmcnt(0)
	v_mad_u64_u32 v[4:5], null, v7, v6, v[1:2]
                                        ; implicit-def: $vgpr6_vgpr7
	s_delay_alu instid0(VALU_DEP_1)
	v_lshrrev_b32_e32 v126, 5, v4
                                        ; implicit-def: $vgpr4_vgpr5
	s_branch .LBB1850_688
.LBB1850_687:                           ;   in Loop: Header=BB1850_688 Depth=2
	s_or_b32 exec_lo, exec_lo, s16
	s_addk_i32 s56, 0xf000
	s_cmp_lt_u32 s57, s53
	s_mov_b32 s34, s57
	s_cbranch_scc0 .LBB1850_896
.LBB1850_688:                           ;   Parent Loop BB1850_12 Depth=1
                                        ; =>  This Inner Loop Header: Depth=2
	s_add_i32 s57, s34, 0x1000
	s_delay_alu instid0(SALU_CYCLE_1)
	s_cmp_gt_u32 s57, s53
	s_cbranch_scc1 .LBB1850_691
; %bb.689:                              ;   in Loop: Header=BB1850_688 Depth=2
	s_mov_b32 s17, 0
	s_mov_b32 s16, s34
	s_delay_alu instid0(SALU_CYCLE_1) | instskip(NEXT) | instid1(SALU_CYCLE_1)
	s_lshl_b64 s[18:19], s[16:17], 1
	v_add_co_u32 v36, vcc_lo, v124, s18
	v_add_co_ci_u32_e32 v37, vcc_lo, s19, v125, vcc_lo
	s_mov_b32 s19, -1
	s_movk_i32 s18, 0x1000
	s_clause 0xe
	global_load_u16 v2, v[36:37], off
	global_load_u16 v146, v[36:37], off offset:64
	global_load_u16 v149, v[36:37], off offset:128
	;; [unrolled: 1-line block ×14, first 2 shown]
	s_cbranch_execz .LBB1850_692
; %bb.690:                              ;   in Loop: Header=BB1850_688 Depth=2
                                        ; implicit-def: $sgpr20
	v_dual_mov_b32 v36, s20 :: v_dual_mov_b32 v145, s56
	s_and_saveexec_b32 s20, s19
	s_cbranch_execnz .LBB1850_723
	s_branch .LBB1850_724
.LBB1850_691:                           ;   in Loop: Header=BB1850_688 Depth=2
	s_mov_b32 s17, -1
	s_mov_b32 s19, 0
                                        ; implicit-def: $sgpr18
                                        ; implicit-def: $vgpr2
                                        ; implicit-def: $vgpr146
                                        ; implicit-def: $vgpr149
                                        ; implicit-def: $vgpr153
                                        ; implicit-def: $vgpr157
                                        ; implicit-def: $vgpr161
                                        ; implicit-def: $vgpr165
                                        ; implicit-def: $vgpr170
                                        ; implicit-def: $vgpr169
                                        ; implicit-def: $vgpr43
                                        ; implicit-def: $vgpr42
                                        ; implicit-def: $vgpr41
                                        ; implicit-def: $vgpr40
                                        ; implicit-def: $vgpr39
                                        ; implicit-def: $vgpr38
.LBB1850_692:                           ;   in Loop: Header=BB1850_688 Depth=2
	s_lshl_b64 s[16:17], s[34:35], 1
	s_waitcnt vmcnt(13)
	v_mov_b32_e32 v146, 0x7fff
	v_add_co_u32 v36, vcc_lo, v124, s16
	v_add_co_ci_u32_e32 v37, vcc_lo, s17, v125, vcc_lo
	v_mov_b32_e32 v2, 0x7fff
	s_mov_b32 s16, exec_lo
	v_cmpx_gt_u32_e64 s56, v106
	s_cbranch_execz .LBB1850_694
; %bb.693:                              ;   in Loop: Header=BB1850_688 Depth=2
	global_load_u16 v2, v[36:37], off
.LBB1850_694:                           ;   in Loop: Header=BB1850_688 Depth=2
	s_or_b32 exec_lo, exec_lo, s16
	s_delay_alu instid0(SALU_CYCLE_1)
	s_mov_b32 s16, exec_lo
	v_cmpx_gt_u32_e64 s56, v109
	s_cbranch_execz .LBB1850_696
; %bb.695:                              ;   in Loop: Header=BB1850_688 Depth=2
	global_load_u16 v146, v[36:37], off offset:64
.LBB1850_696:                           ;   in Loop: Header=BB1850_688 Depth=2
	s_or_b32 exec_lo, exec_lo, s16
	s_waitcnt vmcnt(11)
	v_mov_b32_e32 v153, 0x7fff
	v_mov_b32_e32 v149, 0x7fff
	s_mov_b32 s16, exec_lo
	v_cmpx_gt_u32_e64 s56, v110
	s_cbranch_execz .LBB1850_698
; %bb.697:                              ;   in Loop: Header=BB1850_688 Depth=2
	global_load_u16 v149, v[36:37], off offset:128
.LBB1850_698:                           ;   in Loop: Header=BB1850_688 Depth=2
	s_or_b32 exec_lo, exec_lo, s16
	s_delay_alu instid0(SALU_CYCLE_1)
	s_mov_b32 s16, exec_lo
	v_cmpx_gt_u32_e64 s56, v111
	s_cbranch_execz .LBB1850_700
; %bb.699:                              ;   in Loop: Header=BB1850_688 Depth=2
	global_load_u16 v153, v[36:37], off offset:192
.LBB1850_700:                           ;   in Loop: Header=BB1850_688 Depth=2
	s_or_b32 exec_lo, exec_lo, s16
	s_waitcnt vmcnt(9)
	v_mov_b32_e32 v161, 0x7fff
	v_mov_b32_e32 v157, 0x7fff
	s_mov_b32 s16, exec_lo
	v_cmpx_gt_u32_e64 s56, v112
	s_cbranch_execz .LBB1850_702
; %bb.701:                              ;   in Loop: Header=BB1850_688 Depth=2
	global_load_u16 v157, v[36:37], off offset:256
.LBB1850_702:                           ;   in Loop: Header=BB1850_688 Depth=2
	s_or_b32 exec_lo, exec_lo, s16
	s_delay_alu instid0(SALU_CYCLE_1)
	s_mov_b32 s16, exec_lo
	v_cmpx_gt_u32_e64 s56, v113
	s_cbranch_execz .LBB1850_704
; %bb.703:                              ;   in Loop: Header=BB1850_688 Depth=2
	global_load_u16 v161, v[36:37], off offset:320
.LBB1850_704:                           ;   in Loop: Header=BB1850_688 Depth=2
	s_or_b32 exec_lo, exec_lo, s16
	s_waitcnt vmcnt(7)
	v_dual_mov_b32 v170, 0x7fff :: v_dual_mov_b32 v165, 0x7fff
	s_mov_b32 s16, exec_lo
	v_cmpx_gt_u32_e64 s56, v114
	s_cbranch_execz .LBB1850_706
; %bb.705:                              ;   in Loop: Header=BB1850_688 Depth=2
	global_load_u16 v165, v[36:37], off offset:384
.LBB1850_706:                           ;   in Loop: Header=BB1850_688 Depth=2
	s_or_b32 exec_lo, exec_lo, s16
	s_delay_alu instid0(SALU_CYCLE_1)
	s_mov_b32 s16, exec_lo
	v_cmpx_gt_u32_e64 s56, v115
	s_cbranch_execz .LBB1850_708
; %bb.707:                              ;   in Loop: Header=BB1850_688 Depth=2
	global_load_u16 v170, v[36:37], off offset:448
.LBB1850_708:                           ;   in Loop: Header=BB1850_688 Depth=2
	s_or_b32 exec_lo, exec_lo, s16
	s_waitcnt vmcnt(5)
	v_mov_b32_e32 v43, 0x7fff
	v_mov_b32_e32 v169, 0x7fff
	s_mov_b32 s16, exec_lo
	v_cmpx_gt_u32_e64 s56, v116
	s_cbranch_execz .LBB1850_710
; %bb.709:                              ;   in Loop: Header=BB1850_688 Depth=2
	global_load_u16 v169, v[36:37], off offset:512
.LBB1850_710:                           ;   in Loop: Header=BB1850_688 Depth=2
	s_or_b32 exec_lo, exec_lo, s16
	s_delay_alu instid0(SALU_CYCLE_1)
	s_mov_b32 s16, exec_lo
	v_cmpx_gt_u32_e64 s56, v117
	s_cbranch_execz .LBB1850_712
; %bb.711:                              ;   in Loop: Header=BB1850_688 Depth=2
	global_load_u16 v43, v[36:37], off offset:576
.LBB1850_712:                           ;   in Loop: Header=BB1850_688 Depth=2
	s_or_b32 exec_lo, exec_lo, s16
	s_waitcnt vmcnt(3)
	v_dual_mov_b32 v41, 0x7fff :: v_dual_mov_b32 v42, 0x7fff
	s_mov_b32 s16, exec_lo
	v_cmpx_gt_u32_e64 s56, v118
	s_cbranch_execz .LBB1850_714
; %bb.713:                              ;   in Loop: Header=BB1850_688 Depth=2
	global_load_u16 v42, v[36:37], off offset:640
.LBB1850_714:                           ;   in Loop: Header=BB1850_688 Depth=2
	s_or_b32 exec_lo, exec_lo, s16
	s_delay_alu instid0(SALU_CYCLE_1)
	s_mov_b32 s16, exec_lo
	v_cmpx_gt_u32_e64 s56, v119
	s_cbranch_execz .LBB1850_716
; %bb.715:                              ;   in Loop: Header=BB1850_688 Depth=2
	global_load_u16 v41, v[36:37], off offset:704
.LBB1850_716:                           ;   in Loop: Header=BB1850_688 Depth=2
	s_or_b32 exec_lo, exec_lo, s16
	s_waitcnt vmcnt(1)
	v_dual_mov_b32 v39, 0x7fff :: v_dual_mov_b32 v40, 0x7fff
	s_mov_b32 s16, exec_lo
	v_cmpx_gt_u32_e64 s56, v120
	s_cbranch_execz .LBB1850_718
; %bb.717:                              ;   in Loop: Header=BB1850_688 Depth=2
	global_load_u16 v40, v[36:37], off offset:768
.LBB1850_718:                           ;   in Loop: Header=BB1850_688 Depth=2
	s_or_b32 exec_lo, exec_lo, s16
	s_delay_alu instid0(SALU_CYCLE_1)
	s_mov_b32 s16, exec_lo
	v_cmpx_gt_u32_e64 s56, v121
	s_cbranch_execz .LBB1850_720
; %bb.719:                              ;   in Loop: Header=BB1850_688 Depth=2
	global_load_u16 v39, v[36:37], off offset:832
.LBB1850_720:                           ;   in Loop: Header=BB1850_688 Depth=2
	s_or_b32 exec_lo, exec_lo, s16
	s_waitcnt vmcnt(0)
	v_mov_b32_e32 v38, 0x7fff
	s_mov_b32 s16, exec_lo
	v_cmpx_gt_u32_e64 s56, v122
	s_cbranch_execz .LBB1850_722
; %bb.721:                              ;   in Loop: Header=BB1850_688 Depth=2
	global_load_u16 v38, v[36:37], off offset:896
.LBB1850_722:                           ;   in Loop: Header=BB1850_688 Depth=2
	s_or_b32 exec_lo, exec_lo, s16
	v_cmp_gt_u32_e64 s19, s56, v123
	s_sub_i32 s18, s53, s34
	s_movk_i32 s20, 0x7fff
	s_mov_b64 s[16:17], s[34:35]
	v_dual_mov_b32 v36, s20 :: v_dual_mov_b32 v145, s56
	s_and_saveexec_b32 s20, s19
	s_cbranch_execz .LBB1850_724
.LBB1850_723:                           ;   in Loop: Header=BB1850_688 Depth=2
	s_lshl_b64 s[16:17], s[16:17], 1
	v_mov_b32_e32 v145, s18
	v_add_co_u32 v36, vcc_lo, v127, s16
	v_add_co_ci_u32_e32 v37, vcc_lo, s17, v128, vcc_lo
	global_load_u16 v36, v[36:37], off
.LBB1850_724:                           ;   in Loop: Header=BB1850_688 Depth=2
	s_or_b32 exec_lo, exec_lo, s20
	s_waitcnt vmcnt(14)
	v_cmp_lt_i16_e32 vcc_lo, -1, v2
	ds_store_b32 v69, v3 offset:1056
	ds_store_2addr_b32 v71, v3, v3 offset0:1 offset1:2
	ds_store_2addr_b32 v71, v3, v3 offset0:3 offset1:4
	;; [unrolled: 1-line block ×4, first 2 shown]
	s_waitcnt vmcnt(0) lgkmcnt(0)
	s_barrier
	v_cndmask_b32_e64 v37, -1, 0xffff8000, vcc_lo
	buffer_gl0_inv
	; wave barrier
	v_xor_b32_e32 v2, v37, v2
	s_delay_alu instid0(VALU_DEP_1) | instskip(SKIP_1) | instid1(VALU_DEP_1)
	v_cmp_ne_u16_e32 vcc_lo, 0x7fff, v2
	v_cndmask_b32_e32 v37, 0xffff8000, v2, vcc_lo
	v_and_b32_e32 v37, 0xffff, v37
	s_delay_alu instid0(VALU_DEP_1) | instskip(NEXT) | instid1(VALU_DEP_1)
	v_lshrrev_b32_e32 v37, s49, v37
	v_and_b32_e32 v148, s55, v37
	s_delay_alu instid0(VALU_DEP_1)
	v_lshlrev_b32_e32 v150, 29, v148
	v_and_b32_e32 v37, 1, v148
	v_lshlrev_b32_e32 v147, 30, v148
	v_lshlrev_b32_e32 v151, 28, v148
	;; [unrolled: 1-line block ×4, first 2 shown]
	v_add_co_u32 v37, s16, v37, -1
	s_delay_alu instid0(VALU_DEP_1)
	v_cndmask_b32_e64 v152, 0, 1, s16
	v_not_b32_e32 v158, v147
	v_cmp_gt_i32_e64 s16, 0, v147
	v_not_b32_e32 v147, v150
	v_lshlrev_b32_e32 v156, 25, v148
	v_cmp_ne_u32_e32 vcc_lo, 0, v152
	v_ashrrev_i32_e32 v158, 31, v158
	v_lshlrev_b32_e32 v152, 24, v148
	v_ashrrev_i32_e32 v147, 31, v147
	v_mad_u32_u24 v148, v148, 9, v126
	v_xor_b32_e32 v37, vcc_lo, v37
	v_cmp_gt_i32_e32 vcc_lo, 0, v150
	v_not_b32_e32 v150, v151
	v_xor_b32_e32 v158, s16, v158
	v_cmp_gt_i32_e64 s16, 0, v151
	v_and_b32_e32 v37, exec_lo, v37
	v_not_b32_e32 v151, v154
	v_ashrrev_i32_e32 v150, 31, v150
	v_xor_b32_e32 v147, vcc_lo, v147
	v_cmp_gt_i32_e32 vcc_lo, 0, v154
	v_and_b32_e32 v37, v37, v158
	v_not_b32_e32 v154, v155
	v_ashrrev_i32_e32 v151, 31, v151
	v_xor_b32_e32 v150, s16, v150
	v_cmp_gt_i32_e64 s16, 0, v155
	v_and_b32_e32 v37, v37, v147
	v_not_b32_e32 v147, v156
	v_ashrrev_i32_e32 v154, 31, v154
	v_xor_b32_e32 v151, vcc_lo, v151
	v_cmp_gt_i32_e32 vcc_lo, 0, v156
	v_and_b32_e32 v37, v37, v150
	v_not_b32_e32 v150, v152
	v_ashrrev_i32_e32 v147, 31, v147
	v_xor_b32_e32 v154, s16, v154
	v_cmp_gt_i32_e64 s16, 0, v152
	v_and_b32_e32 v37, v37, v151
	v_ashrrev_i32_e32 v150, 31, v150
	v_xor_b32_e32 v147, vcc_lo, v147
	v_lshl_add_u32 v148, v148, 2, 0x420
	s_delay_alu instid0(VALU_DEP_4) | instskip(NEXT) | instid1(VALU_DEP_4)
	v_and_b32_e32 v37, v37, v154
	v_xor_b32_e32 v150, s16, v150
	s_delay_alu instid0(VALU_DEP_2) | instskip(NEXT) | instid1(VALU_DEP_1)
	v_and_b32_e32 v37, v37, v147
	v_and_b32_e32 v37, v37, v150
	s_delay_alu instid0(VALU_DEP_1) | instskip(SKIP_1) | instid1(VALU_DEP_2)
	v_mbcnt_lo_u32_b32 v147, v37, 0
	v_cmp_ne_u32_e64 s16, 0, v37
	v_cmp_eq_u32_e32 vcc_lo, 0, v147
	s_delay_alu instid0(VALU_DEP_2) | instskip(NEXT) | instid1(SALU_CYCLE_1)
	s_and_b32 s17, s16, vcc_lo
	s_and_saveexec_b32 s16, s17
	s_cbranch_execz .LBB1850_726
; %bb.725:                              ;   in Loop: Header=BB1850_688 Depth=2
	v_bcnt_u32_b32 v37, v37, 0
	ds_store_b32 v148, v37
.LBB1850_726:                           ;   in Loop: Header=BB1850_688 Depth=2
	s_or_b32 exec_lo, exec_lo, s16
	v_cmp_lt_i16_e64 vcc_lo, -1, v146
	; wave barrier
	s_delay_alu instid0(VALU_DEP_1) | instskip(NEXT) | instid1(VALU_DEP_1)
	v_cndmask_b32_e64 v37, -1, 0xffff8000, vcc_lo
	v_xor_b32_e32 v146, v37, v146
	s_delay_alu instid0(VALU_DEP_1) | instskip(SKIP_1) | instid1(VALU_DEP_1)
	v_cmp_ne_u16_e64 vcc_lo, 0x7fff, v146
	v_cndmask_b32_e32 v37, 0xffff8000, v146, vcc_lo
	v_and_b32_e32 v37, 0xffff, v37
	s_delay_alu instid0(VALU_DEP_1) | instskip(NEXT) | instid1(VALU_DEP_1)
	v_lshrrev_b32_e32 v37, s49, v37
	v_and_b32_e32 v37, s55, v37
	s_delay_alu instid0(VALU_DEP_1)
	v_and_b32_e32 v150, 1, v37
	v_lshlrev_b32_e32 v151, 30, v37
	v_lshlrev_b32_e32 v152, 29, v37
	;; [unrolled: 1-line block ×4, first 2 shown]
	v_add_co_u32 v150, s16, v150, -1
	s_delay_alu instid0(VALU_DEP_1)
	v_cndmask_b32_e64 v155, 0, 1, s16
	v_not_b32_e32 v160, v151
	v_cmp_gt_i32_e64 s16, 0, v151
	v_not_b32_e32 v151, v152
	v_lshlrev_b32_e32 v158, 26, v37
	v_cmp_ne_u32_e32 vcc_lo, 0, v155
	v_ashrrev_i32_e32 v160, 31, v160
	v_lshlrev_b32_e32 v159, 25, v37
	v_ashrrev_i32_e32 v151, 31, v151
	v_lshlrev_b32_e32 v155, 24, v37
	v_xor_b32_e32 v150, vcc_lo, v150
	v_cmp_gt_i32_e32 vcc_lo, 0, v152
	v_not_b32_e32 v152, v154
	v_xor_b32_e32 v160, s16, v160
	v_cmp_gt_i32_e64 s16, 0, v154
	v_and_b32_e32 v150, exec_lo, v150
	v_not_b32_e32 v154, v156
	v_ashrrev_i32_e32 v152, 31, v152
	v_xor_b32_e32 v151, vcc_lo, v151
	v_cmp_gt_i32_e32 vcc_lo, 0, v156
	v_and_b32_e32 v150, v150, v160
	v_not_b32_e32 v156, v158
	v_ashrrev_i32_e32 v154, 31, v154
	v_xor_b32_e32 v152, s16, v152
	v_cmp_gt_i32_e64 s16, 0, v158
	v_and_b32_e32 v150, v150, v151
	v_not_b32_e32 v151, v159
	v_ashrrev_i32_e32 v156, 31, v156
	v_xor_b32_e32 v154, vcc_lo, v154
	v_cmp_gt_i32_e32 vcc_lo, 0, v159
	v_and_b32_e32 v150, v150, v152
	v_not_b32_e32 v152, v155
	v_ashrrev_i32_e32 v151, 31, v151
	v_xor_b32_e32 v156, s16, v156
	v_mul_u32_u24_e32 v37, 9, v37
	v_and_b32_e32 v150, v150, v154
	v_cmp_gt_i32_e64 s16, 0, v155
	v_ashrrev_i32_e32 v152, 31, v152
	v_xor_b32_e32 v151, vcc_lo, v151
	v_add_lshl_u32 v154, v37, v126, 2
	v_and_b32_e32 v150, v150, v156
	s_delay_alu instid0(VALU_DEP_4) | instskip(NEXT) | instid1(VALU_DEP_3)
	v_xor_b32_e32 v37, s16, v152
	v_add_nc_u32_e32 v152, 0x420, v154
	s_delay_alu instid0(VALU_DEP_3) | instskip(SKIP_2) | instid1(VALU_DEP_1)
	v_and_b32_e32 v151, v150, v151
	ds_load_b32 v150, v154 offset:1056
	; wave barrier
	v_and_b32_e32 v37, v151, v37
	v_mbcnt_lo_u32_b32 v151, v37, 0
	v_cmp_ne_u32_e64 s16, 0, v37
	s_delay_alu instid0(VALU_DEP_2) | instskip(NEXT) | instid1(VALU_DEP_2)
	v_cmp_eq_u32_e32 vcc_lo, 0, v151
	s_and_b32 s17, s16, vcc_lo
	s_delay_alu instid0(SALU_CYCLE_1)
	s_and_saveexec_b32 s16, s17
	s_cbranch_execz .LBB1850_728
; %bb.727:                              ;   in Loop: Header=BB1850_688 Depth=2
	s_waitcnt lgkmcnt(0)
	v_bcnt_u32_b32 v37, v37, v150
	ds_store_b32 v152, v37
.LBB1850_728:                           ;   in Loop: Header=BB1850_688 Depth=2
	s_or_b32 exec_lo, exec_lo, s16
	v_cmp_lt_i16_e64 vcc_lo, -1, v149
	; wave barrier
	s_delay_alu instid0(VALU_DEP_1) | instskip(NEXT) | instid1(VALU_DEP_1)
	v_cndmask_b32_e64 v37, -1, 0xffff8000, vcc_lo
	v_xor_b32_e32 v149, v37, v149
	s_delay_alu instid0(VALU_DEP_1) | instskip(SKIP_1) | instid1(VALU_DEP_1)
	v_cmp_ne_u16_e64 vcc_lo, 0x7fff, v149
	v_cndmask_b32_e32 v37, 0xffff8000, v149, vcc_lo
	v_and_b32_e32 v37, 0xffff, v37
	s_delay_alu instid0(VALU_DEP_1) | instskip(NEXT) | instid1(VALU_DEP_1)
	v_lshrrev_b32_e32 v37, s49, v37
	v_and_b32_e32 v37, s55, v37
	s_delay_alu instid0(VALU_DEP_1)
	v_and_b32_e32 v154, 1, v37
	v_lshlrev_b32_e32 v155, 30, v37
	v_lshlrev_b32_e32 v156, 29, v37
	;; [unrolled: 1-line block ×4, first 2 shown]
	v_add_co_u32 v154, s16, v154, -1
	s_delay_alu instid0(VALU_DEP_1)
	v_cndmask_b32_e64 v159, 0, 1, s16
	v_not_b32_e32 v164, v155
	v_cmp_gt_i32_e64 s16, 0, v155
	v_not_b32_e32 v155, v156
	v_lshlrev_b32_e32 v162, 26, v37
	v_cmp_ne_u32_e32 vcc_lo, 0, v159
	v_ashrrev_i32_e32 v164, 31, v164
	v_lshlrev_b32_e32 v163, 25, v37
	v_ashrrev_i32_e32 v155, 31, v155
	v_lshlrev_b32_e32 v159, 24, v37
	v_xor_b32_e32 v154, vcc_lo, v154
	v_cmp_gt_i32_e32 vcc_lo, 0, v156
	v_not_b32_e32 v156, v158
	v_xor_b32_e32 v164, s16, v164
	v_cmp_gt_i32_e64 s16, 0, v158
	v_and_b32_e32 v154, exec_lo, v154
	v_not_b32_e32 v158, v160
	v_ashrrev_i32_e32 v156, 31, v156
	v_xor_b32_e32 v155, vcc_lo, v155
	v_cmp_gt_i32_e32 vcc_lo, 0, v160
	v_and_b32_e32 v154, v154, v164
	v_not_b32_e32 v160, v162
	v_ashrrev_i32_e32 v158, 31, v158
	v_xor_b32_e32 v156, s16, v156
	v_cmp_gt_i32_e64 s16, 0, v162
	v_and_b32_e32 v154, v154, v155
	v_not_b32_e32 v155, v163
	v_ashrrev_i32_e32 v160, 31, v160
	v_xor_b32_e32 v158, vcc_lo, v158
	v_cmp_gt_i32_e32 vcc_lo, 0, v163
	v_and_b32_e32 v154, v154, v156
	v_not_b32_e32 v156, v159
	v_ashrrev_i32_e32 v155, 31, v155
	v_xor_b32_e32 v160, s16, v160
	v_mul_u32_u24_e32 v37, 9, v37
	v_and_b32_e32 v154, v154, v158
	v_cmp_gt_i32_e64 s16, 0, v159
	v_ashrrev_i32_e32 v156, 31, v156
	v_xor_b32_e32 v155, vcc_lo, v155
	v_add_lshl_u32 v158, v37, v126, 2
	v_and_b32_e32 v154, v154, v160
	s_delay_alu instid0(VALU_DEP_4) | instskip(NEXT) | instid1(VALU_DEP_3)
	v_xor_b32_e32 v37, s16, v156
	v_add_nc_u32_e32 v156, 0x420, v158
	s_delay_alu instid0(VALU_DEP_3) | instskip(SKIP_2) | instid1(VALU_DEP_1)
	v_and_b32_e32 v155, v154, v155
	ds_load_b32 v154, v158 offset:1056
	; wave barrier
	v_and_b32_e32 v37, v155, v37
	v_mbcnt_lo_u32_b32 v155, v37, 0
	v_cmp_ne_u32_e64 s16, 0, v37
	s_delay_alu instid0(VALU_DEP_2) | instskip(NEXT) | instid1(VALU_DEP_2)
	v_cmp_eq_u32_e32 vcc_lo, 0, v155
	s_and_b32 s17, s16, vcc_lo
	s_delay_alu instid0(SALU_CYCLE_1)
	s_and_saveexec_b32 s16, s17
	s_cbranch_execz .LBB1850_730
; %bb.729:                              ;   in Loop: Header=BB1850_688 Depth=2
	s_waitcnt lgkmcnt(0)
	v_bcnt_u32_b32 v37, v37, v154
	ds_store_b32 v156, v37
.LBB1850_730:                           ;   in Loop: Header=BB1850_688 Depth=2
	s_or_b32 exec_lo, exec_lo, s16
	v_cmp_lt_i16_e64 vcc_lo, -1, v153
	; wave barrier
	s_delay_alu instid0(VALU_DEP_1) | instskip(NEXT) | instid1(VALU_DEP_1)
	v_cndmask_b32_e64 v37, -1, 0xffff8000, vcc_lo
	v_xor_b32_e32 v153, v37, v153
	s_delay_alu instid0(VALU_DEP_1) | instskip(SKIP_1) | instid1(VALU_DEP_1)
	v_cmp_ne_u16_e64 vcc_lo, 0x7fff, v153
	v_cndmask_b32_e32 v37, 0xffff8000, v153, vcc_lo
	v_and_b32_e32 v37, 0xffff, v37
	s_delay_alu instid0(VALU_DEP_1) | instskip(NEXT) | instid1(VALU_DEP_1)
	v_lshrrev_b32_e32 v37, s49, v37
	v_and_b32_e32 v37, s55, v37
	s_delay_alu instid0(VALU_DEP_1)
	v_and_b32_e32 v158, 1, v37
	v_lshlrev_b32_e32 v159, 30, v37
	v_lshlrev_b32_e32 v160, 29, v37
	;; [unrolled: 1-line block ×4, first 2 shown]
	v_add_co_u32 v158, s16, v158, -1
	s_delay_alu instid0(VALU_DEP_1)
	v_cndmask_b32_e64 v163, 0, 1, s16
	v_not_b32_e32 v168, v159
	v_cmp_gt_i32_e64 s16, 0, v159
	v_not_b32_e32 v159, v160
	v_lshlrev_b32_e32 v166, 26, v37
	v_cmp_ne_u32_e32 vcc_lo, 0, v163
	v_ashrrev_i32_e32 v168, 31, v168
	v_lshlrev_b32_e32 v167, 25, v37
	v_ashrrev_i32_e32 v159, 31, v159
	v_lshlrev_b32_e32 v163, 24, v37
	v_xor_b32_e32 v158, vcc_lo, v158
	v_cmp_gt_i32_e32 vcc_lo, 0, v160
	v_not_b32_e32 v160, v162
	v_xor_b32_e32 v168, s16, v168
	v_cmp_gt_i32_e64 s16, 0, v162
	v_and_b32_e32 v158, exec_lo, v158
	v_not_b32_e32 v162, v164
	v_ashrrev_i32_e32 v160, 31, v160
	v_xor_b32_e32 v159, vcc_lo, v159
	v_cmp_gt_i32_e32 vcc_lo, 0, v164
	v_and_b32_e32 v158, v158, v168
	v_not_b32_e32 v164, v166
	v_ashrrev_i32_e32 v162, 31, v162
	v_xor_b32_e32 v160, s16, v160
	v_cmp_gt_i32_e64 s16, 0, v166
	v_and_b32_e32 v158, v158, v159
	v_not_b32_e32 v159, v167
	v_ashrrev_i32_e32 v164, 31, v164
	v_xor_b32_e32 v162, vcc_lo, v162
	v_cmp_gt_i32_e32 vcc_lo, 0, v167
	v_and_b32_e32 v158, v158, v160
	v_not_b32_e32 v160, v163
	v_ashrrev_i32_e32 v159, 31, v159
	v_xor_b32_e32 v164, s16, v164
	v_mul_u32_u24_e32 v37, 9, v37
	v_and_b32_e32 v158, v158, v162
	v_cmp_gt_i32_e64 s16, 0, v163
	v_ashrrev_i32_e32 v160, 31, v160
	v_xor_b32_e32 v159, vcc_lo, v159
	v_add_lshl_u32 v162, v37, v126, 2
	v_and_b32_e32 v158, v158, v164
	s_delay_alu instid0(VALU_DEP_4) | instskip(NEXT) | instid1(VALU_DEP_3)
	v_xor_b32_e32 v37, s16, v160
	v_add_nc_u32_e32 v160, 0x420, v162
	s_delay_alu instid0(VALU_DEP_3) | instskip(SKIP_2) | instid1(VALU_DEP_1)
	v_and_b32_e32 v159, v158, v159
	ds_load_b32 v158, v162 offset:1056
	; wave barrier
	v_and_b32_e32 v37, v159, v37
	v_mbcnt_lo_u32_b32 v159, v37, 0
	v_cmp_ne_u32_e64 s16, 0, v37
	s_delay_alu instid0(VALU_DEP_2) | instskip(NEXT) | instid1(VALU_DEP_2)
	v_cmp_eq_u32_e32 vcc_lo, 0, v159
	s_and_b32 s17, s16, vcc_lo
	s_delay_alu instid0(SALU_CYCLE_1)
	s_and_saveexec_b32 s16, s17
	s_cbranch_execz .LBB1850_732
; %bb.731:                              ;   in Loop: Header=BB1850_688 Depth=2
	s_waitcnt lgkmcnt(0)
	v_bcnt_u32_b32 v37, v37, v158
	ds_store_b32 v160, v37
.LBB1850_732:                           ;   in Loop: Header=BB1850_688 Depth=2
	s_or_b32 exec_lo, exec_lo, s16
	v_cmp_lt_i16_e64 vcc_lo, -1, v157
	; wave barrier
	s_delay_alu instid0(VALU_DEP_1) | instskip(NEXT) | instid1(VALU_DEP_1)
	v_cndmask_b32_e64 v37, -1, 0xffff8000, vcc_lo
	v_xor_b32_e32 v157, v37, v157
	s_delay_alu instid0(VALU_DEP_1) | instskip(SKIP_1) | instid1(VALU_DEP_1)
	v_cmp_ne_u16_e64 vcc_lo, 0x7fff, v157
	v_cndmask_b32_e32 v37, 0xffff8000, v157, vcc_lo
	v_and_b32_e32 v37, 0xffff, v37
	s_delay_alu instid0(VALU_DEP_1) | instskip(NEXT) | instid1(VALU_DEP_1)
	v_lshrrev_b32_e32 v37, s49, v37
	v_and_b32_e32 v37, s55, v37
	s_delay_alu instid0(VALU_DEP_1)
	v_and_b32_e32 v162, 1, v37
	v_lshlrev_b32_e32 v163, 30, v37
	v_lshlrev_b32_e32 v164, 29, v37
	;; [unrolled: 1-line block ×4, first 2 shown]
	v_add_co_u32 v162, s16, v162, -1
	s_delay_alu instid0(VALU_DEP_1)
	v_cndmask_b32_e64 v167, 0, 1, s16
	v_not_b32_e32 v173, v163
	v_cmp_gt_i32_e64 s16, 0, v163
	v_not_b32_e32 v163, v164
	v_lshlrev_b32_e32 v171, 26, v37
	v_cmp_ne_u32_e32 vcc_lo, 0, v167
	v_ashrrev_i32_e32 v173, 31, v173
	v_lshlrev_b32_e32 v172, 25, v37
	v_ashrrev_i32_e32 v163, 31, v163
	v_lshlrev_b32_e32 v167, 24, v37
	v_xor_b32_e32 v162, vcc_lo, v162
	v_cmp_gt_i32_e32 vcc_lo, 0, v164
	v_not_b32_e32 v164, v166
	v_xor_b32_e32 v173, s16, v173
	v_cmp_gt_i32_e64 s16, 0, v166
	v_and_b32_e32 v162, exec_lo, v162
	v_not_b32_e32 v166, v168
	v_ashrrev_i32_e32 v164, 31, v164
	v_xor_b32_e32 v163, vcc_lo, v163
	v_cmp_gt_i32_e32 vcc_lo, 0, v168
	v_and_b32_e32 v162, v162, v173
	v_not_b32_e32 v168, v171
	v_ashrrev_i32_e32 v166, 31, v166
	v_xor_b32_e32 v164, s16, v164
	v_cmp_gt_i32_e64 s16, 0, v171
	v_and_b32_e32 v162, v162, v163
	v_not_b32_e32 v163, v172
	v_ashrrev_i32_e32 v168, 31, v168
	v_xor_b32_e32 v166, vcc_lo, v166
	v_cmp_gt_i32_e32 vcc_lo, 0, v172
	v_and_b32_e32 v162, v162, v164
	v_not_b32_e32 v164, v167
	v_ashrrev_i32_e32 v163, 31, v163
	v_xor_b32_e32 v168, s16, v168
	v_mul_u32_u24_e32 v37, 9, v37
	v_and_b32_e32 v162, v162, v166
	v_cmp_gt_i32_e64 s16, 0, v167
	v_ashrrev_i32_e32 v164, 31, v164
	v_xor_b32_e32 v163, vcc_lo, v163
	v_add_lshl_u32 v166, v37, v126, 2
	v_and_b32_e32 v162, v162, v168
	s_delay_alu instid0(VALU_DEP_4) | instskip(NEXT) | instid1(VALU_DEP_3)
	v_xor_b32_e32 v37, s16, v164
	v_add_nc_u32_e32 v164, 0x420, v166
	s_delay_alu instid0(VALU_DEP_3) | instskip(SKIP_2) | instid1(VALU_DEP_1)
	v_and_b32_e32 v163, v162, v163
	ds_load_b32 v162, v166 offset:1056
	; wave barrier
	v_and_b32_e32 v37, v163, v37
	v_mbcnt_lo_u32_b32 v163, v37, 0
	v_cmp_ne_u32_e64 s16, 0, v37
	s_delay_alu instid0(VALU_DEP_2) | instskip(NEXT) | instid1(VALU_DEP_2)
	v_cmp_eq_u32_e32 vcc_lo, 0, v163
	s_and_b32 s17, s16, vcc_lo
	s_delay_alu instid0(SALU_CYCLE_1)
	s_and_saveexec_b32 s16, s17
	s_cbranch_execz .LBB1850_734
; %bb.733:                              ;   in Loop: Header=BB1850_688 Depth=2
	s_waitcnt lgkmcnt(0)
	v_bcnt_u32_b32 v37, v37, v162
	ds_store_b32 v164, v37
.LBB1850_734:                           ;   in Loop: Header=BB1850_688 Depth=2
	s_or_b32 exec_lo, exec_lo, s16
	v_cmp_lt_i16_e64 vcc_lo, -1, v161
	; wave barrier
	s_delay_alu instid0(VALU_DEP_1) | instskip(NEXT) | instid1(VALU_DEP_1)
	v_cndmask_b32_e64 v37, -1, 0xffff8000, vcc_lo
	v_xor_b32_e32 v161, v37, v161
	s_delay_alu instid0(VALU_DEP_1) | instskip(SKIP_1) | instid1(VALU_DEP_1)
	v_cmp_ne_u16_e64 vcc_lo, 0x7fff, v161
	v_cndmask_b32_e32 v37, 0xffff8000, v161, vcc_lo
	v_and_b32_e32 v37, 0xffff, v37
	s_delay_alu instid0(VALU_DEP_1) | instskip(NEXT) | instid1(VALU_DEP_1)
	v_lshrrev_b32_e32 v37, s49, v37
	v_and_b32_e32 v37, s55, v37
	s_delay_alu instid0(VALU_DEP_1)
	v_and_b32_e32 v166, 1, v37
	v_lshlrev_b32_e32 v167, 30, v37
	v_lshlrev_b32_e32 v168, 29, v37
	;; [unrolled: 1-line block ×4, first 2 shown]
	v_add_co_u32 v166, s16, v166, -1
	s_delay_alu instid0(VALU_DEP_1)
	v_cndmask_b32_e64 v172, 0, 1, s16
	v_not_b32_e32 v176, v167
	v_cmp_gt_i32_e64 s16, 0, v167
	v_not_b32_e32 v167, v168
	v_lshlrev_b32_e32 v174, 26, v37
	v_cmp_ne_u32_e32 vcc_lo, 0, v172
	v_ashrrev_i32_e32 v176, 31, v176
	v_lshlrev_b32_e32 v175, 25, v37
	v_ashrrev_i32_e32 v167, 31, v167
	v_lshlrev_b32_e32 v172, 24, v37
	v_xor_b32_e32 v166, vcc_lo, v166
	v_cmp_gt_i32_e32 vcc_lo, 0, v168
	v_not_b32_e32 v168, v171
	v_xor_b32_e32 v176, s16, v176
	v_cmp_gt_i32_e64 s16, 0, v171
	v_and_b32_e32 v166, exec_lo, v166
	v_not_b32_e32 v171, v173
	v_ashrrev_i32_e32 v168, 31, v168
	v_xor_b32_e32 v167, vcc_lo, v167
	v_cmp_gt_i32_e32 vcc_lo, 0, v173
	v_and_b32_e32 v166, v166, v176
	v_not_b32_e32 v173, v174
	v_ashrrev_i32_e32 v171, 31, v171
	v_xor_b32_e32 v168, s16, v168
	v_cmp_gt_i32_e64 s16, 0, v174
	v_and_b32_e32 v166, v166, v167
	v_not_b32_e32 v167, v175
	v_ashrrev_i32_e32 v173, 31, v173
	v_xor_b32_e32 v171, vcc_lo, v171
	v_cmp_gt_i32_e32 vcc_lo, 0, v175
	v_and_b32_e32 v166, v166, v168
	v_not_b32_e32 v168, v172
	v_ashrrev_i32_e32 v167, 31, v167
	v_xor_b32_e32 v173, s16, v173
	v_mul_u32_u24_e32 v37, 9, v37
	v_and_b32_e32 v166, v166, v171
	v_cmp_gt_i32_e64 s16, 0, v172
	v_ashrrev_i32_e32 v168, 31, v168
	v_xor_b32_e32 v167, vcc_lo, v167
	v_add_lshl_u32 v171, v37, v126, 2
	v_and_b32_e32 v166, v166, v173
	s_delay_alu instid0(VALU_DEP_4) | instskip(NEXT) | instid1(VALU_DEP_3)
	v_xor_b32_e32 v37, s16, v168
	v_add_nc_u32_e32 v168, 0x420, v171
	s_delay_alu instid0(VALU_DEP_3) | instskip(SKIP_2) | instid1(VALU_DEP_1)
	v_and_b32_e32 v167, v166, v167
	ds_load_b32 v166, v171 offset:1056
	; wave barrier
	v_and_b32_e32 v37, v167, v37
	v_mbcnt_lo_u32_b32 v167, v37, 0
	v_cmp_ne_u32_e64 s16, 0, v37
	s_delay_alu instid0(VALU_DEP_2) | instskip(NEXT) | instid1(VALU_DEP_2)
	v_cmp_eq_u32_e32 vcc_lo, 0, v167
	s_and_b32 s17, s16, vcc_lo
	s_delay_alu instid0(SALU_CYCLE_1)
	s_and_saveexec_b32 s16, s17
	s_cbranch_execz .LBB1850_736
; %bb.735:                              ;   in Loop: Header=BB1850_688 Depth=2
	s_waitcnt lgkmcnt(0)
	v_bcnt_u32_b32 v37, v37, v166
	ds_store_b32 v168, v37
.LBB1850_736:                           ;   in Loop: Header=BB1850_688 Depth=2
	s_or_b32 exec_lo, exec_lo, s16
	v_cmp_lt_i16_e64 vcc_lo, -1, v165
	; wave barrier
	s_delay_alu instid0(VALU_DEP_1) | instskip(NEXT) | instid1(VALU_DEP_1)
	v_cndmask_b32_e64 v37, -1, 0xffff8000, vcc_lo
	v_xor_b32_e32 v165, v37, v165
	s_delay_alu instid0(VALU_DEP_1) | instskip(SKIP_1) | instid1(VALU_DEP_1)
	v_cmp_ne_u16_e64 vcc_lo, 0x7fff, v165
	v_cndmask_b32_e32 v37, 0xffff8000, v165, vcc_lo
	v_and_b32_e32 v37, 0xffff, v37
	s_delay_alu instid0(VALU_DEP_1) | instskip(NEXT) | instid1(VALU_DEP_1)
	v_lshrrev_b32_e32 v37, s49, v37
	v_and_b32_e32 v37, s55, v37
	s_delay_alu instid0(VALU_DEP_1)
	v_and_b32_e32 v171, 1, v37
	v_lshlrev_b32_e32 v172, 30, v37
	v_lshlrev_b32_e32 v173, 29, v37
	;; [unrolled: 1-line block ×4, first 2 shown]
	v_add_co_u32 v171, s16, v171, -1
	s_delay_alu instid0(VALU_DEP_1)
	v_cndmask_b32_e64 v175, 0, 1, s16
	v_not_b32_e32 v179, v172
	v_cmp_gt_i32_e64 s16, 0, v172
	v_not_b32_e32 v172, v173
	v_lshlrev_b32_e32 v177, 26, v37
	v_cmp_ne_u32_e32 vcc_lo, 0, v175
	v_ashrrev_i32_e32 v179, 31, v179
	v_lshlrev_b32_e32 v178, 25, v37
	v_ashrrev_i32_e32 v172, 31, v172
	v_lshlrev_b32_e32 v175, 24, v37
	v_xor_b32_e32 v171, vcc_lo, v171
	v_cmp_gt_i32_e32 vcc_lo, 0, v173
	v_not_b32_e32 v173, v174
	v_xor_b32_e32 v179, s16, v179
	v_cmp_gt_i32_e64 s16, 0, v174
	v_and_b32_e32 v171, exec_lo, v171
	v_not_b32_e32 v174, v176
	v_ashrrev_i32_e32 v173, 31, v173
	v_xor_b32_e32 v172, vcc_lo, v172
	v_cmp_gt_i32_e32 vcc_lo, 0, v176
	v_and_b32_e32 v171, v171, v179
	v_not_b32_e32 v176, v177
	v_ashrrev_i32_e32 v174, 31, v174
	v_xor_b32_e32 v173, s16, v173
	v_cmp_gt_i32_e64 s16, 0, v177
	v_and_b32_e32 v171, v171, v172
	v_not_b32_e32 v172, v178
	v_ashrrev_i32_e32 v176, 31, v176
	v_xor_b32_e32 v174, vcc_lo, v174
	v_cmp_gt_i32_e32 vcc_lo, 0, v178
	v_and_b32_e32 v171, v171, v173
	v_not_b32_e32 v173, v175
	v_ashrrev_i32_e32 v172, 31, v172
	v_xor_b32_e32 v176, s16, v176
	v_mul_u32_u24_e32 v37, 9, v37
	v_and_b32_e32 v171, v171, v174
	v_cmp_gt_i32_e64 s16, 0, v175
	v_ashrrev_i32_e32 v173, 31, v173
	v_xor_b32_e32 v172, vcc_lo, v172
	v_add_lshl_u32 v174, v37, v126, 2
	v_and_b32_e32 v171, v171, v176
	s_delay_alu instid0(VALU_DEP_4) | instskip(NEXT) | instid1(VALU_DEP_3)
	v_xor_b32_e32 v37, s16, v173
	v_add_nc_u32_e32 v173, 0x420, v174
	s_delay_alu instid0(VALU_DEP_3) | instskip(SKIP_2) | instid1(VALU_DEP_1)
	v_and_b32_e32 v172, v171, v172
	ds_load_b32 v171, v174 offset:1056
	; wave barrier
	v_and_b32_e32 v37, v172, v37
	v_mbcnt_lo_u32_b32 v172, v37, 0
	v_cmp_ne_u32_e64 s16, 0, v37
	s_delay_alu instid0(VALU_DEP_2) | instskip(NEXT) | instid1(VALU_DEP_2)
	v_cmp_eq_u32_e32 vcc_lo, 0, v172
	s_and_b32 s17, s16, vcc_lo
	s_delay_alu instid0(SALU_CYCLE_1)
	s_and_saveexec_b32 s16, s17
	s_cbranch_execz .LBB1850_738
; %bb.737:                              ;   in Loop: Header=BB1850_688 Depth=2
	s_waitcnt lgkmcnt(0)
	v_bcnt_u32_b32 v37, v37, v171
	ds_store_b32 v173, v37
.LBB1850_738:                           ;   in Loop: Header=BB1850_688 Depth=2
	s_or_b32 exec_lo, exec_lo, s16
	v_cmp_lt_i16_e64 vcc_lo, -1, v170
	; wave barrier
	s_delay_alu instid0(VALU_DEP_1) | instskip(NEXT) | instid1(VALU_DEP_1)
	v_cndmask_b32_e64 v37, -1, 0xffff8000, vcc_lo
	v_xor_b32_e32 v170, v37, v170
	s_delay_alu instid0(VALU_DEP_1) | instskip(SKIP_1) | instid1(VALU_DEP_1)
	v_cmp_ne_u16_e64 vcc_lo, 0x7fff, v170
	v_cndmask_b32_e32 v37, 0xffff8000, v170, vcc_lo
	v_and_b32_e32 v37, 0xffff, v37
	s_delay_alu instid0(VALU_DEP_1) | instskip(NEXT) | instid1(VALU_DEP_1)
	v_lshrrev_b32_e32 v37, s49, v37
	v_and_b32_e32 v37, s55, v37
	s_delay_alu instid0(VALU_DEP_1)
	v_and_b32_e32 v174, 1, v37
	v_lshlrev_b32_e32 v175, 30, v37
	v_lshlrev_b32_e32 v176, 29, v37
	;; [unrolled: 1-line block ×4, first 2 shown]
	v_add_co_u32 v174, s16, v174, -1
	s_delay_alu instid0(VALU_DEP_1)
	v_cndmask_b32_e64 v178, 0, 1, s16
	v_not_b32_e32 v182, v175
	v_cmp_gt_i32_e64 s16, 0, v175
	v_not_b32_e32 v175, v176
	v_lshlrev_b32_e32 v180, 26, v37
	v_cmp_ne_u32_e32 vcc_lo, 0, v178
	v_ashrrev_i32_e32 v182, 31, v182
	v_lshlrev_b32_e32 v181, 25, v37
	v_ashrrev_i32_e32 v175, 31, v175
	v_lshlrev_b32_e32 v178, 24, v37
	v_xor_b32_e32 v174, vcc_lo, v174
	v_cmp_gt_i32_e32 vcc_lo, 0, v176
	v_not_b32_e32 v176, v177
	v_xor_b32_e32 v182, s16, v182
	v_cmp_gt_i32_e64 s16, 0, v177
	v_and_b32_e32 v174, exec_lo, v174
	v_not_b32_e32 v177, v179
	v_ashrrev_i32_e32 v176, 31, v176
	v_xor_b32_e32 v175, vcc_lo, v175
	v_cmp_gt_i32_e32 vcc_lo, 0, v179
	v_and_b32_e32 v174, v174, v182
	v_not_b32_e32 v179, v180
	v_ashrrev_i32_e32 v177, 31, v177
	v_xor_b32_e32 v176, s16, v176
	v_cmp_gt_i32_e64 s16, 0, v180
	v_and_b32_e32 v174, v174, v175
	v_not_b32_e32 v175, v181
	v_ashrrev_i32_e32 v179, 31, v179
	v_xor_b32_e32 v177, vcc_lo, v177
	v_cmp_gt_i32_e32 vcc_lo, 0, v181
	v_and_b32_e32 v174, v174, v176
	v_not_b32_e32 v176, v178
	v_ashrrev_i32_e32 v175, 31, v175
	v_xor_b32_e32 v179, s16, v179
	v_mul_u32_u24_e32 v37, 9, v37
	v_and_b32_e32 v174, v174, v177
	v_cmp_gt_i32_e64 s16, 0, v178
	v_ashrrev_i32_e32 v176, 31, v176
	v_xor_b32_e32 v175, vcc_lo, v175
	v_add_lshl_u32 v177, v37, v126, 2
	v_and_b32_e32 v174, v174, v179
	s_delay_alu instid0(VALU_DEP_4) | instskip(NEXT) | instid1(VALU_DEP_3)
	v_xor_b32_e32 v37, s16, v176
	v_add_nc_u32_e32 v176, 0x420, v177
	s_delay_alu instid0(VALU_DEP_3) | instskip(SKIP_2) | instid1(VALU_DEP_1)
	v_and_b32_e32 v175, v174, v175
	ds_load_b32 v174, v177 offset:1056
	; wave barrier
	v_and_b32_e32 v37, v175, v37
	v_mbcnt_lo_u32_b32 v175, v37, 0
	v_cmp_ne_u32_e64 s16, 0, v37
	s_delay_alu instid0(VALU_DEP_2) | instskip(NEXT) | instid1(VALU_DEP_2)
	v_cmp_eq_u32_e32 vcc_lo, 0, v175
	s_and_b32 s17, s16, vcc_lo
	s_delay_alu instid0(SALU_CYCLE_1)
	s_and_saveexec_b32 s16, s17
	s_cbranch_execz .LBB1850_740
; %bb.739:                              ;   in Loop: Header=BB1850_688 Depth=2
	s_waitcnt lgkmcnt(0)
	v_bcnt_u32_b32 v37, v37, v174
	ds_store_b32 v176, v37
.LBB1850_740:                           ;   in Loop: Header=BB1850_688 Depth=2
	s_or_b32 exec_lo, exec_lo, s16
	v_cmp_lt_i16_e64 vcc_lo, -1, v169
	; wave barrier
	s_delay_alu instid0(VALU_DEP_1) | instskip(NEXT) | instid1(VALU_DEP_1)
	v_cndmask_b32_e64 v37, -1, 0xffff8000, vcc_lo
	v_xor_b32_e32 v169, v37, v169
	s_delay_alu instid0(VALU_DEP_1) | instskip(SKIP_1) | instid1(VALU_DEP_1)
	v_cmp_ne_u16_e64 vcc_lo, 0x7fff, v169
	v_cndmask_b32_e32 v37, 0xffff8000, v169, vcc_lo
	v_and_b32_e32 v37, 0xffff, v37
	s_delay_alu instid0(VALU_DEP_1) | instskip(NEXT) | instid1(VALU_DEP_1)
	v_lshrrev_b32_e32 v37, s49, v37
	v_and_b32_e32 v37, s55, v37
	s_delay_alu instid0(VALU_DEP_1)
	v_and_b32_e32 v177, 1, v37
	v_lshlrev_b32_e32 v178, 30, v37
	v_lshlrev_b32_e32 v179, 29, v37
	;; [unrolled: 1-line block ×4, first 2 shown]
	v_add_co_u32 v177, s16, v177, -1
	s_delay_alu instid0(VALU_DEP_1)
	v_cndmask_b32_e64 v181, 0, 1, s16
	v_not_b32_e32 v185, v178
	v_cmp_gt_i32_e64 s16, 0, v178
	v_not_b32_e32 v178, v179
	v_lshlrev_b32_e32 v183, 26, v37
	v_cmp_ne_u32_e32 vcc_lo, 0, v181
	v_ashrrev_i32_e32 v185, 31, v185
	v_lshlrev_b32_e32 v184, 25, v37
	v_ashrrev_i32_e32 v178, 31, v178
	v_lshlrev_b32_e32 v181, 24, v37
	v_xor_b32_e32 v177, vcc_lo, v177
	v_cmp_gt_i32_e32 vcc_lo, 0, v179
	v_not_b32_e32 v179, v180
	v_xor_b32_e32 v185, s16, v185
	v_cmp_gt_i32_e64 s16, 0, v180
	v_and_b32_e32 v177, exec_lo, v177
	v_not_b32_e32 v180, v182
	v_ashrrev_i32_e32 v179, 31, v179
	v_xor_b32_e32 v178, vcc_lo, v178
	v_cmp_gt_i32_e32 vcc_lo, 0, v182
	v_and_b32_e32 v177, v177, v185
	v_not_b32_e32 v182, v183
	v_ashrrev_i32_e32 v180, 31, v180
	v_xor_b32_e32 v179, s16, v179
	v_cmp_gt_i32_e64 s16, 0, v183
	v_and_b32_e32 v177, v177, v178
	v_not_b32_e32 v178, v184
	v_ashrrev_i32_e32 v182, 31, v182
	v_xor_b32_e32 v180, vcc_lo, v180
	v_cmp_gt_i32_e32 vcc_lo, 0, v184
	v_and_b32_e32 v177, v177, v179
	v_not_b32_e32 v179, v181
	v_ashrrev_i32_e32 v178, 31, v178
	v_xor_b32_e32 v182, s16, v182
	v_mul_u32_u24_e32 v37, 9, v37
	v_and_b32_e32 v177, v177, v180
	v_cmp_gt_i32_e64 s16, 0, v181
	v_ashrrev_i32_e32 v179, 31, v179
	v_xor_b32_e32 v178, vcc_lo, v178
	v_add_lshl_u32 v180, v37, v126, 2
	v_and_b32_e32 v177, v177, v182
	s_delay_alu instid0(VALU_DEP_4) | instskip(NEXT) | instid1(VALU_DEP_2)
	v_xor_b32_e32 v37, s16, v179
	v_and_b32_e32 v177, v177, v178
	ds_load_b32 v178, v180 offset:1056
	v_add_nc_u32_e32 v180, 0x420, v180
	; wave barrier
	v_and_b32_e32 v37, v177, v37
	s_delay_alu instid0(VALU_DEP_1) | instskip(SKIP_1) | instid1(VALU_DEP_2)
	v_mbcnt_lo_u32_b32 v179, v37, 0
	v_cmp_ne_u32_e64 s16, 0, v37
	v_cmp_eq_u32_e32 vcc_lo, 0, v179
	s_delay_alu instid0(VALU_DEP_2) | instskip(NEXT) | instid1(SALU_CYCLE_1)
	s_and_b32 s17, s16, vcc_lo
	s_and_saveexec_b32 s16, s17
	s_cbranch_execz .LBB1850_742
; %bb.741:                              ;   in Loop: Header=BB1850_688 Depth=2
	s_waitcnt lgkmcnt(0)
	v_bcnt_u32_b32 v37, v37, v178
	ds_store_b32 v180, v37
.LBB1850_742:                           ;   in Loop: Header=BB1850_688 Depth=2
	s_or_b32 exec_lo, exec_lo, s16
	v_cmp_lt_i16_e32 vcc_lo, -1, v43
	; wave barrier
	v_cndmask_b32_e64 v37, -1, 0xffff8000, vcc_lo
	s_delay_alu instid0(VALU_DEP_1) | instskip(NEXT) | instid1(VALU_DEP_1)
	v_xor_b32_e32 v177, v37, v43
	v_cmp_ne_u16_e64 vcc_lo, 0x7fff, v177
	v_cndmask_b32_e32 v37, 0xffff8000, v177, vcc_lo
	s_delay_alu instid0(VALU_DEP_1) | instskip(NEXT) | instid1(VALU_DEP_1)
	v_and_b32_e32 v37, 0xffff, v37
	v_lshrrev_b32_e32 v37, s49, v37
	s_delay_alu instid0(VALU_DEP_1) | instskip(NEXT) | instid1(VALU_DEP_1)
	v_and_b32_e32 v37, s55, v37
	v_and_b32_e32 v43, 1, v37
	v_lshlrev_b32_e32 v181, 30, v37
	v_lshlrev_b32_e32 v182, 29, v37
	;; [unrolled: 1-line block ×4, first 2 shown]
	v_add_co_u32 v43, s16, v43, -1
	s_delay_alu instid0(VALU_DEP_1)
	v_cndmask_b32_e64 v184, 0, 1, s16
	v_not_b32_e32 v188, v181
	v_cmp_gt_i32_e64 s16, 0, v181
	v_not_b32_e32 v181, v182
	v_lshlrev_b32_e32 v186, 26, v37
	v_cmp_ne_u32_e32 vcc_lo, 0, v184
	v_ashrrev_i32_e32 v188, 31, v188
	v_lshlrev_b32_e32 v187, 25, v37
	v_ashrrev_i32_e32 v181, 31, v181
	v_lshlrev_b32_e32 v184, 24, v37
	v_xor_b32_e32 v43, vcc_lo, v43
	v_cmp_gt_i32_e32 vcc_lo, 0, v182
	v_not_b32_e32 v182, v183
	v_xor_b32_e32 v188, s16, v188
	v_cmp_gt_i32_e64 s16, 0, v183
	v_and_b32_e32 v43, exec_lo, v43
	v_not_b32_e32 v183, v185
	v_ashrrev_i32_e32 v182, 31, v182
	v_xor_b32_e32 v181, vcc_lo, v181
	v_cmp_gt_i32_e32 vcc_lo, 0, v185
	v_and_b32_e32 v43, v43, v188
	v_not_b32_e32 v185, v186
	v_ashrrev_i32_e32 v183, 31, v183
	v_xor_b32_e32 v182, s16, v182
	v_cmp_gt_i32_e64 s16, 0, v186
	v_and_b32_e32 v43, v43, v181
	v_not_b32_e32 v181, v187
	v_ashrrev_i32_e32 v185, 31, v185
	v_xor_b32_e32 v183, vcc_lo, v183
	v_cmp_gt_i32_e32 vcc_lo, 0, v187
	v_and_b32_e32 v43, v43, v182
	v_not_b32_e32 v182, v184
	v_ashrrev_i32_e32 v181, 31, v181
	v_xor_b32_e32 v185, s16, v185
	v_mul_u32_u24_e32 v37, 9, v37
	v_and_b32_e32 v43, v43, v183
	v_cmp_gt_i32_e64 s16, 0, v184
	v_ashrrev_i32_e32 v182, 31, v182
	v_xor_b32_e32 v181, vcc_lo, v181
	v_add_lshl_u32 v184, v37, v126, 2
	v_and_b32_e32 v43, v43, v185
	s_delay_alu instid0(VALU_DEP_4) | instskip(SKIP_3) | instid1(VALU_DEP_2)
	v_xor_b32_e32 v37, s16, v182
	ds_load_b32 v182, v184 offset:1056
	v_and_b32_e32 v43, v43, v181
	v_add_nc_u32_e32 v184, 0x420, v184
	; wave barrier
	v_and_b32_e32 v37, v43, v37
	s_delay_alu instid0(VALU_DEP_1) | instskip(SKIP_1) | instid1(VALU_DEP_2)
	v_mbcnt_lo_u32_b32 v183, v37, 0
	v_cmp_ne_u32_e64 s16, 0, v37
	v_cmp_eq_u32_e32 vcc_lo, 0, v183
	s_delay_alu instid0(VALU_DEP_2) | instskip(NEXT) | instid1(SALU_CYCLE_1)
	s_and_b32 s17, s16, vcc_lo
	s_and_saveexec_b32 s16, s17
	s_cbranch_execz .LBB1850_744
; %bb.743:                              ;   in Loop: Header=BB1850_688 Depth=2
	s_waitcnt lgkmcnt(0)
	v_bcnt_u32_b32 v37, v37, v182
	ds_store_b32 v184, v37
.LBB1850_744:                           ;   in Loop: Header=BB1850_688 Depth=2
	s_or_b32 exec_lo, exec_lo, s16
	v_cmp_lt_i16_e32 vcc_lo, -1, v42
	; wave barrier
	v_cndmask_b32_e64 v37, -1, 0xffff8000, vcc_lo
	s_delay_alu instid0(VALU_DEP_1) | instskip(NEXT) | instid1(VALU_DEP_1)
	v_xor_b32_e32 v181, v37, v42
	v_cmp_ne_u16_e64 vcc_lo, 0x7fff, v181
	v_cndmask_b32_e32 v37, 0xffff8000, v181, vcc_lo
	s_delay_alu instid0(VALU_DEP_1) | instskip(NEXT) | instid1(VALU_DEP_1)
	v_and_b32_e32 v37, 0xffff, v37
	v_lshrrev_b32_e32 v37, s49, v37
	s_delay_alu instid0(VALU_DEP_1) | instskip(NEXT) | instid1(VALU_DEP_1)
	v_and_b32_e32 v37, s55, v37
	v_and_b32_e32 v42, 1, v37
	v_lshlrev_b32_e32 v43, 30, v37
	v_lshlrev_b32_e32 v185, 29, v37
	;; [unrolled: 1-line block ×4, first 2 shown]
	v_add_co_u32 v42, s16, v42, -1
	s_delay_alu instid0(VALU_DEP_1)
	v_cndmask_b32_e64 v187, 0, 1, s16
	v_not_b32_e32 v191, v43
	v_cmp_gt_i32_e64 s16, 0, v43
	v_not_b32_e32 v43, v185
	v_lshlrev_b32_e32 v189, 26, v37
	v_cmp_ne_u32_e32 vcc_lo, 0, v187
	v_ashrrev_i32_e32 v191, 31, v191
	v_lshlrev_b32_e32 v190, 25, v37
	v_ashrrev_i32_e32 v43, 31, v43
	v_lshlrev_b32_e32 v187, 24, v37
	v_xor_b32_e32 v42, vcc_lo, v42
	v_cmp_gt_i32_e32 vcc_lo, 0, v185
	v_not_b32_e32 v185, v186
	v_xor_b32_e32 v191, s16, v191
	v_cmp_gt_i32_e64 s16, 0, v186
	v_and_b32_e32 v42, exec_lo, v42
	v_not_b32_e32 v186, v188
	v_ashrrev_i32_e32 v185, 31, v185
	v_xor_b32_e32 v43, vcc_lo, v43
	v_cmp_gt_i32_e32 vcc_lo, 0, v188
	v_and_b32_e32 v42, v42, v191
	v_not_b32_e32 v188, v189
	v_ashrrev_i32_e32 v186, 31, v186
	v_xor_b32_e32 v185, s16, v185
	v_cmp_gt_i32_e64 s16, 0, v189
	v_and_b32_e32 v42, v42, v43
	v_not_b32_e32 v43, v190
	v_ashrrev_i32_e32 v188, 31, v188
	v_xor_b32_e32 v186, vcc_lo, v186
	v_cmp_gt_i32_e32 vcc_lo, 0, v190
	v_and_b32_e32 v42, v42, v185
	v_not_b32_e32 v185, v187
	v_ashrrev_i32_e32 v43, 31, v43
	v_xor_b32_e32 v188, s16, v188
	v_mul_u32_u24_e32 v37, 9, v37
	v_and_b32_e32 v42, v42, v186
	v_cmp_gt_i32_e64 s16, 0, v187
	v_ashrrev_i32_e32 v185, 31, v185
	v_xor_b32_e32 v43, vcc_lo, v43
	s_delay_alu instid0(VALU_DEP_4) | instskip(SKIP_1) | instid1(VALU_DEP_4)
	v_and_b32_e32 v42, v42, v188
	v_add_lshl_u32 v188, v37, v126, 2
	v_xor_b32_e32 v37, s16, v185
	s_delay_alu instid0(VALU_DEP_3) | instskip(SKIP_3) | instid1(VALU_DEP_1)
	v_and_b32_e32 v42, v42, v43
	ds_load_b32 v186, v188 offset:1056
	v_add_nc_u32_e32 v188, 0x420, v188
	; wave barrier
	v_and_b32_e32 v37, v42, v37
	v_mbcnt_lo_u32_b32 v187, v37, 0
	v_cmp_ne_u32_e64 s16, 0, v37
	s_delay_alu instid0(VALU_DEP_2) | instskip(NEXT) | instid1(VALU_DEP_2)
	v_cmp_eq_u32_e32 vcc_lo, 0, v187
	s_and_b32 s17, s16, vcc_lo
	s_delay_alu instid0(SALU_CYCLE_1)
	s_and_saveexec_b32 s16, s17
	s_cbranch_execz .LBB1850_746
; %bb.745:                              ;   in Loop: Header=BB1850_688 Depth=2
	s_waitcnt lgkmcnt(0)
	v_bcnt_u32_b32 v37, v37, v186
	ds_store_b32 v188, v37
.LBB1850_746:                           ;   in Loop: Header=BB1850_688 Depth=2
	s_or_b32 exec_lo, exec_lo, s16
	v_cmp_lt_i16_e32 vcc_lo, -1, v41
	; wave barrier
	v_cndmask_b32_e64 v37, -1, 0xffff8000, vcc_lo
	s_delay_alu instid0(VALU_DEP_1) | instskip(NEXT) | instid1(VALU_DEP_1)
	v_xor_b32_e32 v185, v37, v41
	v_cmp_ne_u16_e64 vcc_lo, 0x7fff, v185
	v_cndmask_b32_e32 v37, 0xffff8000, v185, vcc_lo
	s_delay_alu instid0(VALU_DEP_1) | instskip(NEXT) | instid1(VALU_DEP_1)
	v_and_b32_e32 v37, 0xffff, v37
	v_lshrrev_b32_e32 v37, s49, v37
	s_delay_alu instid0(VALU_DEP_1) | instskip(NEXT) | instid1(VALU_DEP_1)
	v_and_b32_e32 v37, s55, v37
	v_and_b32_e32 v41, 1, v37
	v_lshlrev_b32_e32 v42, 30, v37
	v_lshlrev_b32_e32 v43, 29, v37
	;; [unrolled: 1-line block ×4, first 2 shown]
	v_add_co_u32 v41, s16, v41, -1
	s_delay_alu instid0(VALU_DEP_1)
	v_cndmask_b32_e64 v190, 0, 1, s16
	v_not_b32_e32 v194, v42
	v_cmp_gt_i32_e64 s16, 0, v42
	v_not_b32_e32 v42, v43
	v_lshlrev_b32_e32 v192, 26, v37
	v_cmp_ne_u32_e32 vcc_lo, 0, v190
	v_ashrrev_i32_e32 v194, 31, v194
	v_lshlrev_b32_e32 v193, 25, v37
	v_ashrrev_i32_e32 v42, 31, v42
	v_lshlrev_b32_e32 v190, 24, v37
	v_xor_b32_e32 v41, vcc_lo, v41
	v_cmp_gt_i32_e32 vcc_lo, 0, v43
	v_not_b32_e32 v43, v189
	v_xor_b32_e32 v194, s16, v194
	v_cmp_gt_i32_e64 s16, 0, v189
	v_and_b32_e32 v41, exec_lo, v41
	v_not_b32_e32 v189, v191
	v_ashrrev_i32_e32 v43, 31, v43
	v_xor_b32_e32 v42, vcc_lo, v42
	v_cmp_gt_i32_e32 vcc_lo, 0, v191
	v_and_b32_e32 v41, v41, v194
	v_not_b32_e32 v191, v192
	v_ashrrev_i32_e32 v189, 31, v189
	v_xor_b32_e32 v43, s16, v43
	v_cmp_gt_i32_e64 s16, 0, v192
	v_and_b32_e32 v41, v41, v42
	v_not_b32_e32 v42, v193
	v_ashrrev_i32_e32 v191, 31, v191
	v_xor_b32_e32 v189, vcc_lo, v189
	v_cmp_gt_i32_e32 vcc_lo, 0, v193
	v_and_b32_e32 v41, v41, v43
	v_not_b32_e32 v43, v190
	v_ashrrev_i32_e32 v42, 31, v42
	v_xor_b32_e32 v191, s16, v191
	v_mul_u32_u24_e32 v37, 9, v37
	v_and_b32_e32 v41, v41, v189
	v_cmp_gt_i32_e64 s16, 0, v190
	v_ashrrev_i32_e32 v43, 31, v43
	v_xor_b32_e32 v42, vcc_lo, v42
	v_add_lshl_u32 v189, v37, v126, 2
	v_and_b32_e32 v41, v41, v191
	s_delay_alu instid0(VALU_DEP_4) | instskip(SKIP_3) | instid1(VALU_DEP_2)
	v_xor_b32_e32 v37, s16, v43
	ds_load_b32 v190, v189 offset:1056
	v_and_b32_e32 v41, v41, v42
	v_add_nc_u32_e32 v192, 0x420, v189
	; wave barrier
	v_and_b32_e32 v37, v41, v37
	s_delay_alu instid0(VALU_DEP_1) | instskip(SKIP_1) | instid1(VALU_DEP_2)
	v_mbcnt_lo_u32_b32 v191, v37, 0
	v_cmp_ne_u32_e64 s16, 0, v37
	v_cmp_eq_u32_e32 vcc_lo, 0, v191
	s_delay_alu instid0(VALU_DEP_2) | instskip(NEXT) | instid1(SALU_CYCLE_1)
	s_and_b32 s17, s16, vcc_lo
	s_and_saveexec_b32 s16, s17
	s_cbranch_execz .LBB1850_748
; %bb.747:                              ;   in Loop: Header=BB1850_688 Depth=2
	s_waitcnt lgkmcnt(0)
	v_bcnt_u32_b32 v37, v37, v190
	ds_store_b32 v192, v37
.LBB1850_748:                           ;   in Loop: Header=BB1850_688 Depth=2
	s_or_b32 exec_lo, exec_lo, s16
	v_cmp_lt_i16_e32 vcc_lo, -1, v40
	; wave barrier
	v_cndmask_b32_e64 v37, -1, 0xffff8000, vcc_lo
	s_delay_alu instid0(VALU_DEP_1) | instskip(NEXT) | instid1(VALU_DEP_1)
	v_xor_b32_e32 v189, v37, v40
	v_cmp_ne_u16_e64 vcc_lo, 0x7fff, v189
	v_cndmask_b32_e32 v37, 0xffff8000, v189, vcc_lo
	s_delay_alu instid0(VALU_DEP_1) | instskip(NEXT) | instid1(VALU_DEP_1)
	v_and_b32_e32 v37, 0xffff, v37
	v_lshrrev_b32_e32 v37, s49, v37
	s_delay_alu instid0(VALU_DEP_1) | instskip(NEXT) | instid1(VALU_DEP_1)
	v_and_b32_e32 v37, s55, v37
	v_and_b32_e32 v40, 1, v37
	v_lshlrev_b32_e32 v41, 30, v37
	v_lshlrev_b32_e32 v42, 29, v37
	;; [unrolled: 1-line block ×4, first 2 shown]
	v_add_co_u32 v40, s16, v40, -1
	s_delay_alu instid0(VALU_DEP_1)
	v_cndmask_b32_e64 v193, 0, 1, s16
	v_not_b32_e32 v197, v41
	v_cmp_gt_i32_e64 s16, 0, v41
	v_not_b32_e32 v41, v42
	v_lshlrev_b32_e32 v195, 26, v37
	v_cmp_ne_u32_e32 vcc_lo, 0, v193
	v_ashrrev_i32_e32 v197, 31, v197
	v_lshlrev_b32_e32 v196, 25, v37
	v_ashrrev_i32_e32 v41, 31, v41
	v_lshlrev_b32_e32 v193, 24, v37
	v_xor_b32_e32 v40, vcc_lo, v40
	v_cmp_gt_i32_e32 vcc_lo, 0, v42
	v_not_b32_e32 v42, v43
	v_xor_b32_e32 v197, s16, v197
	v_cmp_gt_i32_e64 s16, 0, v43
	v_and_b32_e32 v40, exec_lo, v40
	v_not_b32_e32 v43, v194
	v_ashrrev_i32_e32 v42, 31, v42
	v_xor_b32_e32 v41, vcc_lo, v41
	v_cmp_gt_i32_e32 vcc_lo, 0, v194
	v_and_b32_e32 v40, v40, v197
	v_not_b32_e32 v194, v195
	v_ashrrev_i32_e32 v43, 31, v43
	v_xor_b32_e32 v42, s16, v42
	v_cmp_gt_i32_e64 s16, 0, v195
	v_and_b32_e32 v40, v40, v41
	v_not_b32_e32 v41, v196
	v_ashrrev_i32_e32 v194, 31, v194
	v_xor_b32_e32 v43, vcc_lo, v43
	v_cmp_gt_i32_e32 vcc_lo, 0, v196
	v_and_b32_e32 v40, v40, v42
	v_not_b32_e32 v42, v193
	v_ashrrev_i32_e32 v41, 31, v41
	v_xor_b32_e32 v194, s16, v194
	v_mul_u32_u24_e32 v37, 9, v37
	v_and_b32_e32 v40, v40, v43
	v_cmp_gt_i32_e64 s16, 0, v193
	v_ashrrev_i32_e32 v42, 31, v42
	v_xor_b32_e32 v41, vcc_lo, v41
	v_add_lshl_u32 v43, v37, v126, 2
	v_and_b32_e32 v40, v40, v194
	s_delay_alu instid0(VALU_DEP_4) | instskip(SKIP_3) | instid1(VALU_DEP_2)
	v_xor_b32_e32 v37, s16, v42
	ds_load_b32 v194, v43 offset:1056
	v_and_b32_e32 v40, v40, v41
	v_add_nc_u32_e32 v196, 0x420, v43
	; wave barrier
	v_and_b32_e32 v37, v40, v37
	s_delay_alu instid0(VALU_DEP_1) | instskip(SKIP_1) | instid1(VALU_DEP_2)
	v_mbcnt_lo_u32_b32 v195, v37, 0
	v_cmp_ne_u32_e64 s16, 0, v37
	v_cmp_eq_u32_e32 vcc_lo, 0, v195
	s_delay_alu instid0(VALU_DEP_2) | instskip(NEXT) | instid1(SALU_CYCLE_1)
	s_and_b32 s17, s16, vcc_lo
	s_and_saveexec_b32 s16, s17
	s_cbranch_execz .LBB1850_750
; %bb.749:                              ;   in Loop: Header=BB1850_688 Depth=2
	s_waitcnt lgkmcnt(0)
	v_bcnt_u32_b32 v37, v37, v194
	ds_store_b32 v196, v37
.LBB1850_750:                           ;   in Loop: Header=BB1850_688 Depth=2
	s_or_b32 exec_lo, exec_lo, s16
	v_cmp_lt_i16_e32 vcc_lo, -1, v39
	; wave barrier
	v_cndmask_b32_e64 v37, -1, 0xffff8000, vcc_lo
	s_delay_alu instid0(VALU_DEP_1) | instskip(NEXT) | instid1(VALU_DEP_1)
	v_xor_b32_e32 v193, v37, v39
	v_cmp_ne_u16_e64 vcc_lo, 0x7fff, v193
	v_cndmask_b32_e32 v37, 0xffff8000, v193, vcc_lo
	s_delay_alu instid0(VALU_DEP_1) | instskip(NEXT) | instid1(VALU_DEP_1)
	v_and_b32_e32 v37, 0xffff, v37
	v_lshrrev_b32_e32 v37, s49, v37
	s_delay_alu instid0(VALU_DEP_1) | instskip(NEXT) | instid1(VALU_DEP_1)
	v_and_b32_e32 v37, s55, v37
	v_and_b32_e32 v39, 1, v37
	v_lshlrev_b32_e32 v40, 30, v37
	v_lshlrev_b32_e32 v41, 29, v37
	;; [unrolled: 1-line block ×4, first 2 shown]
	v_add_co_u32 v39, s16, v39, -1
	s_delay_alu instid0(VALU_DEP_1)
	v_cndmask_b32_e64 v43, 0, 1, s16
	v_not_b32_e32 v200, v40
	v_cmp_gt_i32_e64 s16, 0, v40
	v_not_b32_e32 v40, v41
	v_lshlrev_b32_e32 v198, 26, v37
	v_cmp_ne_u32_e32 vcc_lo, 0, v43
	v_ashrrev_i32_e32 v200, 31, v200
	v_lshlrev_b32_e32 v199, 25, v37
	v_ashrrev_i32_e32 v40, 31, v40
	v_lshlrev_b32_e32 v43, 24, v37
	v_xor_b32_e32 v39, vcc_lo, v39
	v_cmp_gt_i32_e32 vcc_lo, 0, v41
	v_not_b32_e32 v41, v42
	v_xor_b32_e32 v200, s16, v200
	v_cmp_gt_i32_e64 s16, 0, v42
	v_and_b32_e32 v39, exec_lo, v39
	v_not_b32_e32 v42, v197
	v_ashrrev_i32_e32 v41, 31, v41
	v_xor_b32_e32 v40, vcc_lo, v40
	v_cmp_gt_i32_e32 vcc_lo, 0, v197
	v_and_b32_e32 v39, v39, v200
	v_not_b32_e32 v197, v198
	v_ashrrev_i32_e32 v42, 31, v42
	v_xor_b32_e32 v41, s16, v41
	v_cmp_gt_i32_e64 s16, 0, v198
	v_and_b32_e32 v39, v39, v40
	v_not_b32_e32 v40, v199
	v_ashrrev_i32_e32 v197, 31, v197
	v_xor_b32_e32 v42, vcc_lo, v42
	v_cmp_gt_i32_e32 vcc_lo, 0, v199
	v_and_b32_e32 v39, v39, v41
	v_not_b32_e32 v41, v43
	v_ashrrev_i32_e32 v40, 31, v40
	v_xor_b32_e32 v197, s16, v197
	v_mul_u32_u24_e32 v37, 9, v37
	v_and_b32_e32 v39, v39, v42
	v_cmp_gt_i32_e64 s16, 0, v43
	v_ashrrev_i32_e32 v41, 31, v41
	v_xor_b32_e32 v40, vcc_lo, v40
	v_add_lshl_u32 v42, v37, v126, 2
	v_and_b32_e32 v39, v39, v197
	s_delay_alu instid0(VALU_DEP_4) | instskip(SKIP_3) | instid1(VALU_DEP_2)
	v_xor_b32_e32 v37, s16, v41
	ds_load_b32 v198, v42 offset:1056
	v_and_b32_e32 v39, v39, v40
	v_add_nc_u32_e32 v200, 0x420, v42
	; wave barrier
	v_and_b32_e32 v37, v39, v37
	s_delay_alu instid0(VALU_DEP_1) | instskip(SKIP_1) | instid1(VALU_DEP_2)
	v_mbcnt_lo_u32_b32 v199, v37, 0
	v_cmp_ne_u32_e64 s16, 0, v37
	v_cmp_eq_u32_e32 vcc_lo, 0, v199
	s_delay_alu instid0(VALU_DEP_2) | instskip(NEXT) | instid1(SALU_CYCLE_1)
	s_and_b32 s17, s16, vcc_lo
	s_and_saveexec_b32 s16, s17
	s_cbranch_execz .LBB1850_752
; %bb.751:                              ;   in Loop: Header=BB1850_688 Depth=2
	s_waitcnt lgkmcnt(0)
	v_bcnt_u32_b32 v37, v37, v198
	ds_store_b32 v200, v37
.LBB1850_752:                           ;   in Loop: Header=BB1850_688 Depth=2
	s_or_b32 exec_lo, exec_lo, s16
	v_cmp_lt_i16_e32 vcc_lo, -1, v38
	; wave barrier
	v_cndmask_b32_e64 v37, -1, 0xffff8000, vcc_lo
	s_delay_alu instid0(VALU_DEP_1) | instskip(NEXT) | instid1(VALU_DEP_1)
	v_xor_b32_e32 v197, v37, v38
	v_cmp_ne_u16_e64 vcc_lo, 0x7fff, v197
	v_cndmask_b32_e32 v37, 0xffff8000, v197, vcc_lo
	s_delay_alu instid0(VALU_DEP_1) | instskip(NEXT) | instid1(VALU_DEP_1)
	v_and_b32_e32 v37, 0xffff, v37
	v_lshrrev_b32_e32 v37, s49, v37
	s_delay_alu instid0(VALU_DEP_1) | instskip(NEXT) | instid1(VALU_DEP_1)
	v_and_b32_e32 v37, s55, v37
	v_and_b32_e32 v38, 1, v37
	v_lshlrev_b32_e32 v39, 30, v37
	v_lshlrev_b32_e32 v40, 29, v37
	;; [unrolled: 1-line block ×4, first 2 shown]
	v_add_co_u32 v38, s16, v38, -1
	s_delay_alu instid0(VALU_DEP_1)
	v_cndmask_b32_e64 v42, 0, 1, s16
	v_not_b32_e32 v203, v39
	v_cmp_gt_i32_e64 s16, 0, v39
	v_not_b32_e32 v39, v40
	v_lshlrev_b32_e32 v201, 26, v37
	v_cmp_ne_u32_e32 vcc_lo, 0, v42
	v_ashrrev_i32_e32 v203, 31, v203
	v_lshlrev_b32_e32 v202, 25, v37
	v_ashrrev_i32_e32 v39, 31, v39
	v_lshlrev_b32_e32 v42, 24, v37
	v_xor_b32_e32 v38, vcc_lo, v38
	v_cmp_gt_i32_e32 vcc_lo, 0, v40
	v_not_b32_e32 v40, v41
	v_xor_b32_e32 v203, s16, v203
	v_cmp_gt_i32_e64 s16, 0, v41
	v_and_b32_e32 v38, exec_lo, v38
	v_not_b32_e32 v41, v43
	v_ashrrev_i32_e32 v40, 31, v40
	v_xor_b32_e32 v39, vcc_lo, v39
	v_cmp_gt_i32_e32 vcc_lo, 0, v43
	v_and_b32_e32 v38, v38, v203
	v_not_b32_e32 v43, v201
	v_ashrrev_i32_e32 v41, 31, v41
	v_xor_b32_e32 v40, s16, v40
	v_cmp_gt_i32_e64 s16, 0, v201
	v_and_b32_e32 v38, v38, v39
	v_not_b32_e32 v39, v202
	v_ashrrev_i32_e32 v43, 31, v43
	v_xor_b32_e32 v41, vcc_lo, v41
	v_cmp_gt_i32_e32 vcc_lo, 0, v202
	v_and_b32_e32 v38, v38, v40
	v_not_b32_e32 v40, v42
	v_ashrrev_i32_e32 v39, 31, v39
	v_xor_b32_e32 v43, s16, v43
	v_mul_u32_u24_e32 v37, 9, v37
	v_and_b32_e32 v38, v38, v41
	v_cmp_gt_i32_e64 s16, 0, v42
	v_ashrrev_i32_e32 v40, 31, v40
	v_xor_b32_e32 v39, vcc_lo, v39
	v_add_lshl_u32 v41, v37, v126, 2
	v_and_b32_e32 v38, v38, v43
	s_delay_alu instid0(VALU_DEP_4) | instskip(SKIP_3) | instid1(VALU_DEP_2)
	v_xor_b32_e32 v37, s16, v40
	ds_load_b32 v202, v41 offset:1056
	v_and_b32_e32 v38, v38, v39
	v_add_nc_u32_e32 v204, 0x420, v41
	; wave barrier
	v_and_b32_e32 v37, v38, v37
	s_delay_alu instid0(VALU_DEP_1) | instskip(SKIP_1) | instid1(VALU_DEP_2)
	v_mbcnt_lo_u32_b32 v203, v37, 0
	v_cmp_ne_u32_e64 s16, 0, v37
	v_cmp_eq_u32_e32 vcc_lo, 0, v203
	s_delay_alu instid0(VALU_DEP_2) | instskip(NEXT) | instid1(SALU_CYCLE_1)
	s_and_b32 s17, s16, vcc_lo
	s_and_saveexec_b32 s16, s17
	s_cbranch_execz .LBB1850_754
; %bb.753:                              ;   in Loop: Header=BB1850_688 Depth=2
	s_waitcnt lgkmcnt(0)
	v_bcnt_u32_b32 v37, v37, v202
	ds_store_b32 v204, v37
.LBB1850_754:                           ;   in Loop: Header=BB1850_688 Depth=2
	s_or_b32 exec_lo, exec_lo, s16
	v_cmp_lt_i16_e32 vcc_lo, -1, v36
	; wave barrier
	v_cndmask_b32_e64 v37, -1, 0xffff8000, vcc_lo
	s_delay_alu instid0(VALU_DEP_1) | instskip(NEXT) | instid1(VALU_DEP_1)
	v_xor_b32_e32 v201, v37, v36
	v_cmp_ne_u16_e64 vcc_lo, 0x7fff, v201
	v_cndmask_b32_e32 v36, 0xffff8000, v201, vcc_lo
	s_delay_alu instid0(VALU_DEP_1) | instskip(NEXT) | instid1(VALU_DEP_1)
	v_and_b32_e32 v36, 0xffff, v36
	v_lshrrev_b32_e32 v36, s49, v36
	s_delay_alu instid0(VALU_DEP_1) | instskip(NEXT) | instid1(VALU_DEP_1)
	v_and_b32_e32 v36, s55, v36
	v_and_b32_e32 v37, 1, v36
	v_lshlrev_b32_e32 v38, 30, v36
	v_lshlrev_b32_e32 v39, 29, v36
	;; [unrolled: 1-line block ×4, first 2 shown]
	v_add_co_u32 v37, s16, v37, -1
	s_delay_alu instid0(VALU_DEP_1)
	v_cndmask_b32_e64 v41, 0, 1, s16
	v_not_b32_e32 v206, v38
	v_cmp_gt_i32_e64 s16, 0, v38
	v_not_b32_e32 v38, v39
	v_lshlrev_b32_e32 v43, 26, v36
	v_cmp_ne_u32_e32 vcc_lo, 0, v41
	v_ashrrev_i32_e32 v206, 31, v206
	v_lshlrev_b32_e32 v205, 25, v36
	v_ashrrev_i32_e32 v38, 31, v38
	v_lshlrev_b32_e32 v41, 24, v36
	v_xor_b32_e32 v37, vcc_lo, v37
	v_cmp_gt_i32_e32 vcc_lo, 0, v39
	v_not_b32_e32 v39, v40
	v_xor_b32_e32 v206, s16, v206
	v_cmp_gt_i32_e64 s16, 0, v40
	v_and_b32_e32 v37, exec_lo, v37
	v_not_b32_e32 v40, v42
	v_ashrrev_i32_e32 v39, 31, v39
	v_xor_b32_e32 v38, vcc_lo, v38
	v_cmp_gt_i32_e32 vcc_lo, 0, v42
	v_and_b32_e32 v37, v37, v206
	v_not_b32_e32 v42, v43
	v_ashrrev_i32_e32 v40, 31, v40
	v_xor_b32_e32 v39, s16, v39
	v_cmp_gt_i32_e64 s16, 0, v43
	v_and_b32_e32 v37, v37, v38
	v_not_b32_e32 v38, v205
	v_ashrrev_i32_e32 v42, 31, v42
	v_xor_b32_e32 v40, vcc_lo, v40
	v_cmp_gt_i32_e32 vcc_lo, 0, v205
	v_and_b32_e32 v37, v37, v39
	v_not_b32_e32 v39, v41
	v_ashrrev_i32_e32 v38, 31, v38
	v_xor_b32_e32 v42, s16, v42
	v_mul_u32_u24_e32 v36, 9, v36
	v_and_b32_e32 v37, v37, v40
	v_cmp_gt_i32_e64 s16, 0, v41
	v_ashrrev_i32_e32 v39, 31, v39
	v_xor_b32_e32 v38, vcc_lo, v38
	v_add_lshl_u32 v40, v36, v126, 2
	v_and_b32_e32 v37, v37, v42
	s_delay_alu instid0(VALU_DEP_4) | instskip(SKIP_3) | instid1(VALU_DEP_2)
	v_xor_b32_e32 v36, s16, v39
	ds_load_b32 v205, v40 offset:1056
	v_and_b32_e32 v37, v37, v38
	v_add_nc_u32_e32 v207, 0x420, v40
	; wave barrier
	v_and_b32_e32 v36, v37, v36
	s_delay_alu instid0(VALU_DEP_1) | instskip(SKIP_1) | instid1(VALU_DEP_2)
	v_mbcnt_lo_u32_b32 v206, v36, 0
	v_cmp_ne_u32_e64 s16, 0, v36
	v_cmp_eq_u32_e32 vcc_lo, 0, v206
	s_delay_alu instid0(VALU_DEP_2) | instskip(NEXT) | instid1(SALU_CYCLE_1)
	s_and_b32 s17, s16, vcc_lo
	s_and_saveexec_b32 s16, s17
	s_cbranch_execz .LBB1850_756
; %bb.755:                              ;   in Loop: Header=BB1850_688 Depth=2
	s_waitcnt lgkmcnt(0)
	v_bcnt_u32_b32 v36, v36, v205
	ds_store_b32 v207, v36
.LBB1850_756:                           ;   in Loop: Header=BB1850_688 Depth=2
	s_or_b32 exec_lo, exec_lo, s16
	; wave barrier
	s_waitcnt lgkmcnt(0)
	s_barrier
	buffer_gl0_inv
	ds_load_b32 v208, v69 offset:1056
	ds_load_2addr_b32 v[42:43], v71 offset0:1 offset1:2
	ds_load_2addr_b32 v[40:41], v71 offset0:3 offset1:4
	;; [unrolled: 1-line block ×4, first 2 shown]
	s_waitcnt lgkmcnt(3)
	v_add3_u32 v209, v42, v208, v43
	s_waitcnt lgkmcnt(2)
	s_delay_alu instid0(VALU_DEP_1) | instskip(SKIP_1) | instid1(VALU_DEP_1)
	v_add3_u32 v209, v209, v40, v41
	s_waitcnt lgkmcnt(1)
	v_add3_u32 v209, v209, v36, v37
	s_waitcnt lgkmcnt(0)
	s_delay_alu instid0(VALU_DEP_1) | instskip(NEXT) | instid1(VALU_DEP_1)
	v_add3_u32 v39, v209, v38, v39
	v_mov_b32_dpp v209, v39 row_shr:1 row_mask:0xf bank_mask:0xf
	s_delay_alu instid0(VALU_DEP_1) | instskip(NEXT) | instid1(VALU_DEP_1)
	v_cndmask_b32_e64 v209, v209, 0, s0
	v_add_nc_u32_e32 v39, v209, v39
	s_delay_alu instid0(VALU_DEP_1) | instskip(NEXT) | instid1(VALU_DEP_1)
	v_mov_b32_dpp v209, v39 row_shr:2 row_mask:0xf bank_mask:0xf
	v_cndmask_b32_e64 v209, 0, v209, s1
	s_delay_alu instid0(VALU_DEP_1) | instskip(NEXT) | instid1(VALU_DEP_1)
	v_add_nc_u32_e32 v39, v39, v209
	v_mov_b32_dpp v209, v39 row_shr:4 row_mask:0xf bank_mask:0xf
	s_delay_alu instid0(VALU_DEP_1) | instskip(NEXT) | instid1(VALU_DEP_1)
	v_cndmask_b32_e64 v209, 0, v209, s8
	v_add_nc_u32_e32 v39, v39, v209
	s_delay_alu instid0(VALU_DEP_1) | instskip(NEXT) | instid1(VALU_DEP_1)
	v_mov_b32_dpp v209, v39 row_shr:8 row_mask:0xf bank_mask:0xf
	v_cndmask_b32_e64 v209, 0, v209, s9
	s_delay_alu instid0(VALU_DEP_1) | instskip(SKIP_3) | instid1(VALU_DEP_1)
	v_add_nc_u32_e32 v39, v39, v209
	ds_swizzle_b32 v209, v39 offset:swizzle(BROADCAST,32,15)
	s_waitcnt lgkmcnt(0)
	v_cndmask_b32_e64 v209, v209, 0, s10
	v_add_nc_u32_e32 v39, v39, v209
	s_and_saveexec_b32 s16, s3
	s_cbranch_execz .LBB1850_758
; %bb.757:                              ;   in Loop: Header=BB1850_688 Depth=2
	ds_store_b32 v62, v39 offset:1024
.LBB1850_758:                           ;   in Loop: Header=BB1850_688 Depth=2
	s_or_b32 exec_lo, exec_lo, s16
	s_waitcnt lgkmcnt(0)
	s_barrier
	buffer_gl0_inv
	s_and_saveexec_b32 s16, s4
	s_cbranch_execz .LBB1850_760
; %bb.759:                              ;   in Loop: Header=BB1850_688 Depth=2
	ds_load_b32 v209, v72 offset:1024
	s_waitcnt lgkmcnt(0)
	v_mov_b32_dpp v210, v209 row_shr:1 row_mask:0xf bank_mask:0xf
	s_delay_alu instid0(VALU_DEP_1) | instskip(NEXT) | instid1(VALU_DEP_1)
	v_cndmask_b32_e64 v210, v210, 0, s12
	v_add_nc_u32_e32 v209, v210, v209
	s_delay_alu instid0(VALU_DEP_1) | instskip(NEXT) | instid1(VALU_DEP_1)
	v_mov_b32_dpp v210, v209 row_shr:2 row_mask:0xf bank_mask:0xf
	v_cndmask_b32_e64 v210, 0, v210, s13
	s_delay_alu instid0(VALU_DEP_1) | instskip(NEXT) | instid1(VALU_DEP_1)
	v_add_nc_u32_e32 v209, v209, v210
	v_mov_b32_dpp v210, v209 row_shr:4 row_mask:0xf bank_mask:0xf
	s_delay_alu instid0(VALU_DEP_1) | instskip(NEXT) | instid1(VALU_DEP_1)
	v_cndmask_b32_e64 v210, 0, v210, s14
	v_add_nc_u32_e32 v209, v209, v210
	ds_store_b32 v72, v209 offset:1024
.LBB1850_760:                           ;   in Loop: Header=BB1850_688 Depth=2
	s_or_b32 exec_lo, exec_lo, s16
	v_mov_b32_e32 v209, 0
	s_waitcnt lgkmcnt(0)
	s_barrier
	buffer_gl0_inv
	s_and_saveexec_b32 s16, s5
	s_cbranch_execz .LBB1850_762
; %bb.761:                              ;   in Loop: Header=BB1850_688 Depth=2
	ds_load_b32 v209, v62 offset:1020
.LBB1850_762:                           ;   in Loop: Header=BB1850_688 Depth=2
	s_or_b32 exec_lo, exec_lo, s16
	s_waitcnt lgkmcnt(0)
	v_add_nc_u32_e32 v39, v209, v39
	ds_bpermute_b32 v39, v105, v39
	s_waitcnt lgkmcnt(0)
	v_cndmask_b32_e64 v39, v39, v209, s11
	s_delay_alu instid0(VALU_DEP_1) | instskip(NEXT) | instid1(VALU_DEP_1)
	v_cndmask_b32_e64 v39, v39, 0, s6
	v_add_nc_u32_e32 v208, v39, v208
	s_delay_alu instid0(VALU_DEP_1) | instskip(NEXT) | instid1(VALU_DEP_1)
	v_add_nc_u32_e32 v42, v208, v42
	v_add_nc_u32_e32 v43, v42, v43
	s_delay_alu instid0(VALU_DEP_1) | instskip(NEXT) | instid1(VALU_DEP_1)
	v_add_nc_u32_e32 v40, v43, v40
	;; [unrolled: 3-line block ×3, first 2 shown]
	v_add_nc_u32_e32 v37, v36, v37
	s_delay_alu instid0(VALU_DEP_1)
	v_add_nc_u32_e32 v38, v37, v38
	ds_store_b32 v69, v39 offset:1056
	ds_store_2addr_b32 v71, v208, v42 offset0:1 offset1:2
	ds_store_2addr_b32 v71, v43, v40 offset0:3 offset1:4
	;; [unrolled: 1-line block ×4, first 2 shown]
	v_mov_b32_e32 v38, 0x1000
	s_waitcnt lgkmcnt(0)
	s_barrier
	buffer_gl0_inv
	ds_load_b32 v39, v152
	ds_load_b32 v40, v156
	;; [unrolled: 1-line block ×16, first 2 shown]
	ds_load_b32 v156, v69 offset:1056
	s_and_saveexec_b32 s16, s7
	s_cbranch_execz .LBB1850_764
; %bb.763:                              ;   in Loop: Header=BB1850_688 Depth=2
	ds_load_b32 v38, v73 offset:1056
.LBB1850_764:                           ;   in Loop: Header=BB1850_688 Depth=2
	s_or_b32 exec_lo, exec_lo, s16
	s_waitcnt lgkmcnt(0)
	s_barrier
	buffer_gl0_inv
	s_and_saveexec_b32 s16, s2
	s_cbranch_execz .LBB1850_766
; %bb.765:                              ;   in Loop: Header=BB1850_688 Depth=2
	ds_load_b32 v160, v44
	s_waitcnt lgkmcnt(0)
	v_sub_nc_u32_e32 v156, v160, v156
	ds_store_b32 v44, v156
.LBB1850_766:                           ;   in Loop: Header=BB1850_688 Depth=2
	s_or_b32 exec_lo, exec_lo, s16
	v_add_nc_u32_e32 v168, v148, v147
	v_add3_u32 v164, v151, v150, v39
	v_add3_u32 v160, v155, v154, v40
	;; [unrolled: 1-line block ×5, first 2 shown]
	v_lshlrev_b32_e32 v158, 1, v168
	v_add3_u32 v43, v199, v198, v36
	v_lshlrev_b32_e32 v36, 1, v164
	v_add3_u32 v152, v172, v171, v173
	v_add3_u32 v151, v175, v174, v176
	ds_store_b16 v158, v2 offset:1024
	v_lshlrev_b32_e32 v2, 1, v160
	ds_store_b16 v36, v146 offset:1024
	v_lshlrev_b32_e32 v36, 1, v154
	v_add3_u32 v150, v179, v178, v180
	v_add3_u32 v42, v203, v202, v37
	v_lshlrev_b32_e32 v37, 1, v156
	v_add3_u32 v148, v183, v182, v184
	v_lshlrev_b32_e32 v158, 1, v155
	v_add3_u32 v147, v187, v186, v188
	v_add3_u32 v40, v191, v190, v192
	ds_store_b16 v2, v149 offset:1024
	ds_store_b16 v37, v153 offset:1024
	;; [unrolled: 1-line block ×3, first 2 shown]
	v_lshlrev_b32_e32 v2, 1, v152
	ds_store_b16 v36, v161 offset:1024
	v_lshlrev_b32_e32 v36, 1, v151
	v_lshlrev_b32_e32 v37, 1, v150
	v_lshlrev_b32_e32 v146, 1, v148
	v_add3_u32 v39, v195, v194, v196
	v_add3_u32 v41, v206, v205, v41
	ds_store_b16 v2, v165 offset:1024
	v_lshlrev_b32_e32 v2, 1, v147
	ds_store_b16 v36, v170 offset:1024
	ds_store_b16 v37, v169 offset:1024
	;; [unrolled: 1-line block ×3, first 2 shown]
	v_lshlrev_b32_e32 v36, 1, v40
	v_cmp_lt_u32_e32 vcc_lo, v1, v145
	v_lshlrev_b32_e32 v37, 1, v43
	ds_store_b16 v2, v181 offset:1024
	v_lshlrev_b32_e32 v2, 1, v39
	ds_store_b16 v36, v185 offset:1024
	v_lshlrev_b32_e32 v36, 1, v41
	v_lshlrev_b32_e32 v146, 1, v42
	ds_store_b16 v2, v189 offset:1024
	ds_store_b16 v37, v193 offset:1024
	;; [unrolled: 1-line block ×4, first 2 shown]
	s_waitcnt lgkmcnt(0)
	s_barrier
	buffer_gl0_inv
	s_and_saveexec_b32 s17, vcc_lo
	s_cbranch_execz .LBB1850_782
; %bb.767:                              ;   in Loop: Header=BB1850_688 Depth=2
	v_add_nc_u32_e32 v2, v72, v78
	ds_load_u16 v146, v2 offset:1024
	s_waitcnt lgkmcnt(0)
	v_cmp_ne_u16_e64 s16, 0x7fff, v146
	s_delay_alu instid0(VALU_DEP_1) | instskip(SKIP_1) | instid1(VALU_DEP_2)
	v_cndmask_b32_e64 v2, 0xffff8000, v146, s16
	v_cmp_lt_i16_e64 s16, -1, v146
	v_and_b32_e32 v2, 0xffff, v2
	s_delay_alu instid0(VALU_DEP_2) | instskip(NEXT) | instid1(VALU_DEP_2)
	v_cndmask_b32_e64 v149, 0xffff8000, -1, s16
	v_lshrrev_b32_e32 v2, s49, v2
	s_delay_alu instid0(VALU_DEP_1) | instskip(NEXT) | instid1(VALU_DEP_1)
	v_and_b32_e32 v2, s55, v2
	v_lshlrev_b32_e32 v2, 2, v2
	ds_load_b32 v2, v2
	s_waitcnt lgkmcnt(0)
	v_add_nc_u32_e32 v2, v2, v1
	s_delay_alu instid0(VALU_DEP_1) | instskip(SKIP_1) | instid1(VALU_DEP_2)
	v_lshlrev_b64 v[36:37], 1, v[2:3]
	v_xor_b32_e32 v2, v149, v146
	v_add_co_u32 v36, s16, s38, v36
	s_delay_alu instid0(VALU_DEP_1) | instskip(SKIP_3) | instid1(VALU_DEP_1)
	v_add_co_ci_u32_e64 v37, s16, s39, v37, s16
	global_store_b16 v[36:37], v2, off
	s_or_b32 exec_lo, exec_lo, s17
	v_cmp_lt_u32_e64 s16, v45, v145
	s_and_saveexec_b32 s18, s16
	s_cbranch_execnz .LBB1850_783
.LBB1850_768:                           ;   in Loop: Header=BB1850_688 Depth=2
	s_or_b32 exec_lo, exec_lo, s18
	v_cmp_lt_u32_e64 s17, v46, v145
	s_delay_alu instid0(VALU_DEP_1)
	s_and_saveexec_b32 s19, s17
	s_cbranch_execz .LBB1850_784
.LBB1850_769:                           ;   in Loop: Header=BB1850_688 Depth=2
	ds_load_u16 v146, v79 offset:1024
	s_waitcnt lgkmcnt(0)
	v_cmp_ne_u16_e64 s18, 0x7fff, v146
	s_delay_alu instid0(VALU_DEP_1) | instskip(SKIP_1) | instid1(VALU_DEP_2)
	v_cndmask_b32_e64 v2, 0xffff8000, v146, s18
	v_cmp_lt_i16_e64 s18, -1, v146
	v_and_b32_e32 v2, 0xffff, v2
	s_delay_alu instid0(VALU_DEP_2) | instskip(NEXT) | instid1(VALU_DEP_2)
	v_cndmask_b32_e64 v149, 0xffff8000, -1, s18
	v_lshrrev_b32_e32 v2, s49, v2
	s_delay_alu instid0(VALU_DEP_1) | instskip(NEXT) | instid1(VALU_DEP_1)
	v_and_b32_e32 v2, s55, v2
	v_lshlrev_b32_e32 v2, 2, v2
	ds_load_b32 v2, v2
	s_waitcnt lgkmcnt(0)
	v_add_nc_u32_e32 v2, v2, v46
	s_delay_alu instid0(VALU_DEP_1) | instskip(SKIP_1) | instid1(VALU_DEP_2)
	v_lshlrev_b64 v[36:37], 1, v[2:3]
	v_xor_b32_e32 v2, v149, v146
	v_add_co_u32 v36, s18, s38, v36
	s_delay_alu instid0(VALU_DEP_1) | instskip(SKIP_3) | instid1(VALU_DEP_1)
	v_add_co_ci_u32_e64 v37, s18, s39, v37, s18
	global_store_b16 v[36:37], v2, off
	s_or_b32 exec_lo, exec_lo, s19
	v_cmp_lt_u32_e64 s18, v47, v145
	s_and_saveexec_b32 s20, s18
	s_cbranch_execnz .LBB1850_785
.LBB1850_770:                           ;   in Loop: Header=BB1850_688 Depth=2
	s_or_b32 exec_lo, exec_lo, s20
	v_cmp_lt_u32_e64 s19, v51, v145
	s_delay_alu instid0(VALU_DEP_1)
	s_and_saveexec_b32 s21, s19
	s_cbranch_execz .LBB1850_786
.LBB1850_771:                           ;   in Loop: Header=BB1850_688 Depth=2
	ds_load_u16 v146, v79 offset:2048
	s_waitcnt lgkmcnt(0)
	v_cmp_ne_u16_e64 s20, 0x7fff, v146
	s_delay_alu instid0(VALU_DEP_1) | instskip(SKIP_1) | instid1(VALU_DEP_2)
	v_cndmask_b32_e64 v2, 0xffff8000, v146, s20
	v_cmp_lt_i16_e64 s20, -1, v146
	v_and_b32_e32 v2, 0xffff, v2
	s_delay_alu instid0(VALU_DEP_2) | instskip(NEXT) | instid1(VALU_DEP_2)
	v_cndmask_b32_e64 v149, 0xffff8000, -1, s20
	v_lshrrev_b32_e32 v2, s49, v2
	s_delay_alu instid0(VALU_DEP_1) | instskip(NEXT) | instid1(VALU_DEP_1)
	v_and_b32_e32 v2, s55, v2
	v_lshlrev_b32_e32 v2, 2, v2
	ds_load_b32 v2, v2
	s_waitcnt lgkmcnt(0)
	v_add_nc_u32_e32 v2, v2, v51
	s_delay_alu instid0(VALU_DEP_1) | instskip(SKIP_1) | instid1(VALU_DEP_2)
	v_lshlrev_b64 v[36:37], 1, v[2:3]
	v_xor_b32_e32 v2, v149, v146
	v_add_co_u32 v36, s20, s38, v36
	s_delay_alu instid0(VALU_DEP_1) | instskip(SKIP_3) | instid1(VALU_DEP_1)
	v_add_co_ci_u32_e64 v37, s20, s39, v37, s20
	global_store_b16 v[36:37], v2, off
	s_or_b32 exec_lo, exec_lo, s21
	v_cmp_lt_u32_e64 s20, v52, v145
	s_and_saveexec_b32 s22, s20
	s_cbranch_execnz .LBB1850_787
.LBB1850_772:                           ;   in Loop: Header=BB1850_688 Depth=2
	s_or_b32 exec_lo, exec_lo, s22
	v_cmp_lt_u32_e64 s21, v53, v145
	s_delay_alu instid0(VALU_DEP_1)
	s_and_saveexec_b32 s23, s21
	s_cbranch_execz .LBB1850_788
.LBB1850_773:                           ;   in Loop: Header=BB1850_688 Depth=2
	ds_load_u16 v146, v79 offset:3072
	s_waitcnt lgkmcnt(0)
	v_cmp_ne_u16_e64 s22, 0x7fff, v146
	s_delay_alu instid0(VALU_DEP_1) | instskip(SKIP_1) | instid1(VALU_DEP_2)
	v_cndmask_b32_e64 v2, 0xffff8000, v146, s22
	v_cmp_lt_i16_e64 s22, -1, v146
	v_and_b32_e32 v2, 0xffff, v2
	s_delay_alu instid0(VALU_DEP_2) | instskip(NEXT) | instid1(VALU_DEP_2)
	v_cndmask_b32_e64 v149, 0xffff8000, -1, s22
	v_lshrrev_b32_e32 v2, s49, v2
	s_delay_alu instid0(VALU_DEP_1) | instskip(NEXT) | instid1(VALU_DEP_1)
	v_and_b32_e32 v2, s55, v2
	v_lshlrev_b32_e32 v2, 2, v2
	ds_load_b32 v2, v2
	s_waitcnt lgkmcnt(0)
	v_add_nc_u32_e32 v2, v2, v53
	s_delay_alu instid0(VALU_DEP_1) | instskip(SKIP_1) | instid1(VALU_DEP_2)
	v_lshlrev_b64 v[36:37], 1, v[2:3]
	v_xor_b32_e32 v2, v149, v146
	v_add_co_u32 v36, s22, s38, v36
	s_delay_alu instid0(VALU_DEP_1) | instskip(SKIP_3) | instid1(VALU_DEP_1)
	v_add_co_ci_u32_e64 v37, s22, s39, v37, s22
	global_store_b16 v[36:37], v2, off
	s_or_b32 exec_lo, exec_lo, s23
	v_cmp_lt_u32_e64 s22, v54, v145
	s_and_saveexec_b32 s24, s22
	s_cbranch_execnz .LBB1850_789
.LBB1850_774:                           ;   in Loop: Header=BB1850_688 Depth=2
	s_or_b32 exec_lo, exec_lo, s24
	v_cmp_lt_u32_e64 s23, v55, v145
	s_delay_alu instid0(VALU_DEP_1)
	s_and_saveexec_b32 s25, s23
	s_cbranch_execz .LBB1850_790
.LBB1850_775:                           ;   in Loop: Header=BB1850_688 Depth=2
	ds_load_u16 v146, v79 offset:4096
	s_waitcnt lgkmcnt(0)
	v_cmp_ne_u16_e64 s24, 0x7fff, v146
	s_delay_alu instid0(VALU_DEP_1) | instskip(SKIP_1) | instid1(VALU_DEP_2)
	v_cndmask_b32_e64 v2, 0xffff8000, v146, s24
	v_cmp_lt_i16_e64 s24, -1, v146
	v_and_b32_e32 v2, 0xffff, v2
	s_delay_alu instid0(VALU_DEP_2) | instskip(NEXT) | instid1(VALU_DEP_2)
	v_cndmask_b32_e64 v149, 0xffff8000, -1, s24
	v_lshrrev_b32_e32 v2, s49, v2
	s_delay_alu instid0(VALU_DEP_1) | instskip(NEXT) | instid1(VALU_DEP_1)
	v_and_b32_e32 v2, s55, v2
	v_lshlrev_b32_e32 v2, 2, v2
	ds_load_b32 v2, v2
	s_waitcnt lgkmcnt(0)
	v_add_nc_u32_e32 v2, v2, v55
	s_delay_alu instid0(VALU_DEP_1) | instskip(SKIP_1) | instid1(VALU_DEP_2)
	v_lshlrev_b64 v[36:37], 1, v[2:3]
	v_xor_b32_e32 v2, v149, v146
	v_add_co_u32 v36, s24, s38, v36
	s_delay_alu instid0(VALU_DEP_1) | instskip(SKIP_3) | instid1(VALU_DEP_1)
	v_add_co_ci_u32_e64 v37, s24, s39, v37, s24
	global_store_b16 v[36:37], v2, off
	s_or_b32 exec_lo, exec_lo, s25
	v_cmp_lt_u32_e64 s24, v56, v145
	s_and_saveexec_b32 s27, s24
	s_cbranch_execnz .LBB1850_791
.LBB1850_776:                           ;   in Loop: Header=BB1850_688 Depth=2
	s_or_b32 exec_lo, exec_lo, s27
	v_cmp_lt_u32_e64 s25, v57, v145
	s_delay_alu instid0(VALU_DEP_1)
	s_and_saveexec_b32 s28, s25
	s_cbranch_execz .LBB1850_792
.LBB1850_777:                           ;   in Loop: Header=BB1850_688 Depth=2
	ds_load_u16 v146, v79 offset:5120
	s_waitcnt lgkmcnt(0)
	v_cmp_ne_u16_e64 s27, 0x7fff, v146
	s_delay_alu instid0(VALU_DEP_1) | instskip(SKIP_1) | instid1(VALU_DEP_2)
	v_cndmask_b32_e64 v2, 0xffff8000, v146, s27
	v_cmp_lt_i16_e64 s27, -1, v146
	v_and_b32_e32 v2, 0xffff, v2
	s_delay_alu instid0(VALU_DEP_2) | instskip(NEXT) | instid1(VALU_DEP_2)
	v_cndmask_b32_e64 v149, 0xffff8000, -1, s27
	v_lshrrev_b32_e32 v2, s49, v2
	s_delay_alu instid0(VALU_DEP_1) | instskip(NEXT) | instid1(VALU_DEP_1)
	v_and_b32_e32 v2, s55, v2
	v_lshlrev_b32_e32 v2, 2, v2
	ds_load_b32 v2, v2
	s_waitcnt lgkmcnt(0)
	v_add_nc_u32_e32 v2, v2, v57
	s_delay_alu instid0(VALU_DEP_1) | instskip(SKIP_1) | instid1(VALU_DEP_2)
	v_lshlrev_b64 v[36:37], 1, v[2:3]
	v_xor_b32_e32 v2, v149, v146
	v_add_co_u32 v36, s27, s38, v36
	s_delay_alu instid0(VALU_DEP_1) | instskip(SKIP_3) | instid1(VALU_DEP_1)
	v_add_co_ci_u32_e64 v37, s27, s39, v37, s27
	global_store_b16 v[36:37], v2, off
	s_or_b32 exec_lo, exec_lo, s28
	v_cmp_lt_u32_e64 s27, v58, v145
	s_and_saveexec_b32 s29, s27
	s_cbranch_execnz .LBB1850_793
.LBB1850_778:                           ;   in Loop: Header=BB1850_688 Depth=2
	s_or_b32 exec_lo, exec_lo, s29
	v_cmp_lt_u32_e64 s28, v59, v145
	s_delay_alu instid0(VALU_DEP_1)
	s_and_saveexec_b32 s30, s28
	s_cbranch_execz .LBB1850_794
.LBB1850_779:                           ;   in Loop: Header=BB1850_688 Depth=2
	ds_load_u16 v146, v79 offset:6144
	s_waitcnt lgkmcnt(0)
	v_cmp_ne_u16_e64 s29, 0x7fff, v146
	s_delay_alu instid0(VALU_DEP_1) | instskip(SKIP_1) | instid1(VALU_DEP_2)
	v_cndmask_b32_e64 v2, 0xffff8000, v146, s29
	v_cmp_lt_i16_e64 s29, -1, v146
	v_and_b32_e32 v2, 0xffff, v2
	s_delay_alu instid0(VALU_DEP_2) | instskip(NEXT) | instid1(VALU_DEP_2)
	v_cndmask_b32_e64 v149, 0xffff8000, -1, s29
	v_lshrrev_b32_e32 v2, s49, v2
	s_delay_alu instid0(VALU_DEP_1) | instskip(NEXT) | instid1(VALU_DEP_1)
	v_and_b32_e32 v2, s55, v2
	v_lshlrev_b32_e32 v2, 2, v2
	ds_load_b32 v2, v2
	s_waitcnt lgkmcnt(0)
	v_add_nc_u32_e32 v2, v2, v59
	s_delay_alu instid0(VALU_DEP_1) | instskip(SKIP_1) | instid1(VALU_DEP_2)
	v_lshlrev_b64 v[36:37], 1, v[2:3]
	v_xor_b32_e32 v2, v149, v146
	v_add_co_u32 v36, s29, s38, v36
	s_delay_alu instid0(VALU_DEP_1) | instskip(SKIP_3) | instid1(VALU_DEP_1)
	v_add_co_ci_u32_e64 v37, s29, s39, v37, s29
	global_store_b16 v[36:37], v2, off
	s_or_b32 exec_lo, exec_lo, s30
	v_cmp_lt_u32_e64 s29, v60, v145
	s_and_saveexec_b32 s31, s29
	s_cbranch_execnz .LBB1850_795
.LBB1850_780:                           ;   in Loop: Header=BB1850_688 Depth=2
	s_or_b32 exec_lo, exec_lo, s31
	v_cmp_lt_u32_e64 s30, v61, v145
	s_delay_alu instid0(VALU_DEP_1)
	s_and_saveexec_b32 s33, s30
	s_cbranch_execz .LBB1850_796
.LBB1850_781:                           ;   in Loop: Header=BB1850_688 Depth=2
	ds_load_u16 v146, v79 offset:7168
	s_waitcnt lgkmcnt(0)
	v_cmp_ne_u16_e64 s31, 0x7fff, v146
	s_delay_alu instid0(VALU_DEP_1) | instskip(SKIP_1) | instid1(VALU_DEP_2)
	v_cndmask_b32_e64 v2, 0xffff8000, v146, s31
	v_cmp_lt_i16_e64 s31, -1, v146
	v_and_b32_e32 v2, 0xffff, v2
	s_delay_alu instid0(VALU_DEP_2) | instskip(NEXT) | instid1(VALU_DEP_2)
	v_cndmask_b32_e64 v149, 0xffff8000, -1, s31
	v_lshrrev_b32_e32 v2, s49, v2
	s_delay_alu instid0(VALU_DEP_1) | instskip(NEXT) | instid1(VALU_DEP_1)
	v_and_b32_e32 v2, s55, v2
	v_lshlrev_b32_e32 v2, 2, v2
	ds_load_b32 v2, v2
	s_waitcnt lgkmcnt(0)
	v_add_nc_u32_e32 v2, v2, v61
	s_delay_alu instid0(VALU_DEP_1) | instskip(SKIP_1) | instid1(VALU_DEP_2)
	v_lshlrev_b64 v[36:37], 1, v[2:3]
	v_xor_b32_e32 v2, v149, v146
	v_add_co_u32 v36, s31, s38, v36
	s_delay_alu instid0(VALU_DEP_1) | instskip(SKIP_3) | instid1(VALU_DEP_1)
	v_add_co_ci_u32_e64 v37, s31, s39, v37, s31
	global_store_b16 v[36:37], v2, off
	s_or_b32 exec_lo, exec_lo, s33
	v_cmp_lt_u32_e64 s31, v63, v145
	s_and_saveexec_b32 s58, s31
	s_cbranch_execnz .LBB1850_797
	s_branch .LBB1850_798
.LBB1850_782:                           ;   in Loop: Header=BB1850_688 Depth=2
	s_or_b32 exec_lo, exec_lo, s17
	v_cmp_lt_u32_e64 s16, v45, v145
	s_delay_alu instid0(VALU_DEP_1)
	s_and_saveexec_b32 s18, s16
	s_cbranch_execz .LBB1850_768
.LBB1850_783:                           ;   in Loop: Header=BB1850_688 Depth=2
	ds_load_u16 v146, v79 offset:512
	s_waitcnt lgkmcnt(0)
	v_cmp_ne_u16_e64 s17, 0x7fff, v146
	s_delay_alu instid0(VALU_DEP_1) | instskip(SKIP_1) | instid1(VALU_DEP_2)
	v_cndmask_b32_e64 v2, 0xffff8000, v146, s17
	v_cmp_lt_i16_e64 s17, -1, v146
	v_and_b32_e32 v2, 0xffff, v2
	s_delay_alu instid0(VALU_DEP_2) | instskip(NEXT) | instid1(VALU_DEP_2)
	v_cndmask_b32_e64 v149, 0xffff8000, -1, s17
	v_lshrrev_b32_e32 v2, s49, v2
	s_delay_alu instid0(VALU_DEP_1) | instskip(NEXT) | instid1(VALU_DEP_1)
	v_and_b32_e32 v2, s55, v2
	v_lshlrev_b32_e32 v2, 2, v2
	ds_load_b32 v2, v2
	s_waitcnt lgkmcnt(0)
	v_add_nc_u32_e32 v2, v2, v45
	s_delay_alu instid0(VALU_DEP_1) | instskip(SKIP_1) | instid1(VALU_DEP_2)
	v_lshlrev_b64 v[36:37], 1, v[2:3]
	v_xor_b32_e32 v2, v149, v146
	v_add_co_u32 v36, s17, s38, v36
	s_delay_alu instid0(VALU_DEP_1) | instskip(SKIP_3) | instid1(VALU_DEP_1)
	v_add_co_ci_u32_e64 v37, s17, s39, v37, s17
	global_store_b16 v[36:37], v2, off
	s_or_b32 exec_lo, exec_lo, s18
	v_cmp_lt_u32_e64 s17, v46, v145
	s_and_saveexec_b32 s19, s17
	s_cbranch_execnz .LBB1850_769
.LBB1850_784:                           ;   in Loop: Header=BB1850_688 Depth=2
	s_or_b32 exec_lo, exec_lo, s19
	v_cmp_lt_u32_e64 s18, v47, v145
	s_delay_alu instid0(VALU_DEP_1)
	s_and_saveexec_b32 s20, s18
	s_cbranch_execz .LBB1850_770
.LBB1850_785:                           ;   in Loop: Header=BB1850_688 Depth=2
	ds_load_u16 v146, v79 offset:1536
	s_waitcnt lgkmcnt(0)
	v_cmp_ne_u16_e64 s19, 0x7fff, v146
	s_delay_alu instid0(VALU_DEP_1) | instskip(SKIP_1) | instid1(VALU_DEP_2)
	v_cndmask_b32_e64 v2, 0xffff8000, v146, s19
	v_cmp_lt_i16_e64 s19, -1, v146
	v_and_b32_e32 v2, 0xffff, v2
	s_delay_alu instid0(VALU_DEP_2) | instskip(NEXT) | instid1(VALU_DEP_2)
	v_cndmask_b32_e64 v149, 0xffff8000, -1, s19
	v_lshrrev_b32_e32 v2, s49, v2
	s_delay_alu instid0(VALU_DEP_1) | instskip(NEXT) | instid1(VALU_DEP_1)
	v_and_b32_e32 v2, s55, v2
	v_lshlrev_b32_e32 v2, 2, v2
	ds_load_b32 v2, v2
	s_waitcnt lgkmcnt(0)
	v_add_nc_u32_e32 v2, v2, v47
	s_delay_alu instid0(VALU_DEP_1) | instskip(SKIP_1) | instid1(VALU_DEP_2)
	v_lshlrev_b64 v[36:37], 1, v[2:3]
	v_xor_b32_e32 v2, v149, v146
	v_add_co_u32 v36, s19, s38, v36
	s_delay_alu instid0(VALU_DEP_1) | instskip(SKIP_3) | instid1(VALU_DEP_1)
	v_add_co_ci_u32_e64 v37, s19, s39, v37, s19
	global_store_b16 v[36:37], v2, off
	s_or_b32 exec_lo, exec_lo, s20
	v_cmp_lt_u32_e64 s19, v51, v145
	s_and_saveexec_b32 s21, s19
	s_cbranch_execnz .LBB1850_771
.LBB1850_786:                           ;   in Loop: Header=BB1850_688 Depth=2
	s_or_b32 exec_lo, exec_lo, s21
	v_cmp_lt_u32_e64 s20, v52, v145
	s_delay_alu instid0(VALU_DEP_1)
	s_and_saveexec_b32 s22, s20
	s_cbranch_execz .LBB1850_772
.LBB1850_787:                           ;   in Loop: Header=BB1850_688 Depth=2
	ds_load_u16 v146, v79 offset:2560
	s_waitcnt lgkmcnt(0)
	v_cmp_ne_u16_e64 s21, 0x7fff, v146
	s_delay_alu instid0(VALU_DEP_1) | instskip(SKIP_1) | instid1(VALU_DEP_2)
	v_cndmask_b32_e64 v2, 0xffff8000, v146, s21
	v_cmp_lt_i16_e64 s21, -1, v146
	v_and_b32_e32 v2, 0xffff, v2
	s_delay_alu instid0(VALU_DEP_2) | instskip(NEXT) | instid1(VALU_DEP_2)
	v_cndmask_b32_e64 v149, 0xffff8000, -1, s21
	v_lshrrev_b32_e32 v2, s49, v2
	s_delay_alu instid0(VALU_DEP_1) | instskip(NEXT) | instid1(VALU_DEP_1)
	v_and_b32_e32 v2, s55, v2
	v_lshlrev_b32_e32 v2, 2, v2
	ds_load_b32 v2, v2
	s_waitcnt lgkmcnt(0)
	v_add_nc_u32_e32 v2, v2, v52
	s_delay_alu instid0(VALU_DEP_1) | instskip(SKIP_1) | instid1(VALU_DEP_2)
	v_lshlrev_b64 v[36:37], 1, v[2:3]
	v_xor_b32_e32 v2, v149, v146
	v_add_co_u32 v36, s21, s38, v36
	s_delay_alu instid0(VALU_DEP_1) | instskip(SKIP_3) | instid1(VALU_DEP_1)
	v_add_co_ci_u32_e64 v37, s21, s39, v37, s21
	global_store_b16 v[36:37], v2, off
	s_or_b32 exec_lo, exec_lo, s22
	v_cmp_lt_u32_e64 s21, v53, v145
	s_and_saveexec_b32 s23, s21
	s_cbranch_execnz .LBB1850_773
.LBB1850_788:                           ;   in Loop: Header=BB1850_688 Depth=2
	s_or_b32 exec_lo, exec_lo, s23
	v_cmp_lt_u32_e64 s22, v54, v145
	s_delay_alu instid0(VALU_DEP_1)
	s_and_saveexec_b32 s24, s22
	s_cbranch_execz .LBB1850_774
.LBB1850_789:                           ;   in Loop: Header=BB1850_688 Depth=2
	ds_load_u16 v146, v79 offset:3584
	s_waitcnt lgkmcnt(0)
	v_cmp_ne_u16_e64 s23, 0x7fff, v146
	s_delay_alu instid0(VALU_DEP_1) | instskip(SKIP_1) | instid1(VALU_DEP_2)
	v_cndmask_b32_e64 v2, 0xffff8000, v146, s23
	v_cmp_lt_i16_e64 s23, -1, v146
	v_and_b32_e32 v2, 0xffff, v2
	s_delay_alu instid0(VALU_DEP_2) | instskip(NEXT) | instid1(VALU_DEP_2)
	v_cndmask_b32_e64 v149, 0xffff8000, -1, s23
	v_lshrrev_b32_e32 v2, s49, v2
	s_delay_alu instid0(VALU_DEP_1) | instskip(NEXT) | instid1(VALU_DEP_1)
	v_and_b32_e32 v2, s55, v2
	v_lshlrev_b32_e32 v2, 2, v2
	ds_load_b32 v2, v2
	s_waitcnt lgkmcnt(0)
	v_add_nc_u32_e32 v2, v2, v54
	s_delay_alu instid0(VALU_DEP_1) | instskip(SKIP_1) | instid1(VALU_DEP_2)
	v_lshlrev_b64 v[36:37], 1, v[2:3]
	v_xor_b32_e32 v2, v149, v146
	v_add_co_u32 v36, s23, s38, v36
	s_delay_alu instid0(VALU_DEP_1) | instskip(SKIP_3) | instid1(VALU_DEP_1)
	v_add_co_ci_u32_e64 v37, s23, s39, v37, s23
	global_store_b16 v[36:37], v2, off
	s_or_b32 exec_lo, exec_lo, s24
	v_cmp_lt_u32_e64 s23, v55, v145
	s_and_saveexec_b32 s25, s23
	s_cbranch_execnz .LBB1850_775
.LBB1850_790:                           ;   in Loop: Header=BB1850_688 Depth=2
	s_or_b32 exec_lo, exec_lo, s25
	v_cmp_lt_u32_e64 s24, v56, v145
	s_delay_alu instid0(VALU_DEP_1)
	s_and_saveexec_b32 s27, s24
	s_cbranch_execz .LBB1850_776
.LBB1850_791:                           ;   in Loop: Header=BB1850_688 Depth=2
	ds_load_u16 v146, v79 offset:4608
	s_waitcnt lgkmcnt(0)
	v_cmp_ne_u16_e64 s25, 0x7fff, v146
	s_delay_alu instid0(VALU_DEP_1) | instskip(SKIP_1) | instid1(VALU_DEP_2)
	v_cndmask_b32_e64 v2, 0xffff8000, v146, s25
	v_cmp_lt_i16_e64 s25, -1, v146
	v_and_b32_e32 v2, 0xffff, v2
	s_delay_alu instid0(VALU_DEP_2) | instskip(NEXT) | instid1(VALU_DEP_2)
	v_cndmask_b32_e64 v149, 0xffff8000, -1, s25
	v_lshrrev_b32_e32 v2, s49, v2
	s_delay_alu instid0(VALU_DEP_1) | instskip(NEXT) | instid1(VALU_DEP_1)
	v_and_b32_e32 v2, s55, v2
	v_lshlrev_b32_e32 v2, 2, v2
	ds_load_b32 v2, v2
	s_waitcnt lgkmcnt(0)
	v_add_nc_u32_e32 v2, v2, v56
	s_delay_alu instid0(VALU_DEP_1) | instskip(SKIP_1) | instid1(VALU_DEP_2)
	v_lshlrev_b64 v[36:37], 1, v[2:3]
	v_xor_b32_e32 v2, v149, v146
	v_add_co_u32 v36, s25, s38, v36
	s_delay_alu instid0(VALU_DEP_1) | instskip(SKIP_3) | instid1(VALU_DEP_1)
	v_add_co_ci_u32_e64 v37, s25, s39, v37, s25
	global_store_b16 v[36:37], v2, off
	s_or_b32 exec_lo, exec_lo, s27
	v_cmp_lt_u32_e64 s25, v57, v145
	s_and_saveexec_b32 s28, s25
	s_cbranch_execnz .LBB1850_777
.LBB1850_792:                           ;   in Loop: Header=BB1850_688 Depth=2
	s_or_b32 exec_lo, exec_lo, s28
	v_cmp_lt_u32_e64 s27, v58, v145
	s_delay_alu instid0(VALU_DEP_1)
	s_and_saveexec_b32 s29, s27
	s_cbranch_execz .LBB1850_778
.LBB1850_793:                           ;   in Loop: Header=BB1850_688 Depth=2
	ds_load_u16 v146, v79 offset:5632
	s_waitcnt lgkmcnt(0)
	v_cmp_ne_u16_e64 s28, 0x7fff, v146
	s_delay_alu instid0(VALU_DEP_1) | instskip(SKIP_1) | instid1(VALU_DEP_2)
	v_cndmask_b32_e64 v2, 0xffff8000, v146, s28
	v_cmp_lt_i16_e64 s28, -1, v146
	v_and_b32_e32 v2, 0xffff, v2
	s_delay_alu instid0(VALU_DEP_2) | instskip(NEXT) | instid1(VALU_DEP_2)
	v_cndmask_b32_e64 v149, 0xffff8000, -1, s28
	v_lshrrev_b32_e32 v2, s49, v2
	s_delay_alu instid0(VALU_DEP_1) | instskip(NEXT) | instid1(VALU_DEP_1)
	v_and_b32_e32 v2, s55, v2
	v_lshlrev_b32_e32 v2, 2, v2
	ds_load_b32 v2, v2
	s_waitcnt lgkmcnt(0)
	v_add_nc_u32_e32 v2, v2, v58
	s_delay_alu instid0(VALU_DEP_1) | instskip(SKIP_1) | instid1(VALU_DEP_2)
	v_lshlrev_b64 v[36:37], 1, v[2:3]
	v_xor_b32_e32 v2, v149, v146
	v_add_co_u32 v36, s28, s38, v36
	s_delay_alu instid0(VALU_DEP_1) | instskip(SKIP_3) | instid1(VALU_DEP_1)
	v_add_co_ci_u32_e64 v37, s28, s39, v37, s28
	global_store_b16 v[36:37], v2, off
	s_or_b32 exec_lo, exec_lo, s29
	v_cmp_lt_u32_e64 s28, v59, v145
	s_and_saveexec_b32 s30, s28
	s_cbranch_execnz .LBB1850_779
.LBB1850_794:                           ;   in Loop: Header=BB1850_688 Depth=2
	s_or_b32 exec_lo, exec_lo, s30
	v_cmp_lt_u32_e64 s29, v60, v145
	s_delay_alu instid0(VALU_DEP_1)
	s_and_saveexec_b32 s31, s29
	s_cbranch_execz .LBB1850_780
.LBB1850_795:                           ;   in Loop: Header=BB1850_688 Depth=2
	ds_load_u16 v146, v79 offset:6656
	s_waitcnt lgkmcnt(0)
	v_cmp_ne_u16_e64 s30, 0x7fff, v146
	s_delay_alu instid0(VALU_DEP_1) | instskip(SKIP_1) | instid1(VALU_DEP_2)
	v_cndmask_b32_e64 v2, 0xffff8000, v146, s30
	v_cmp_lt_i16_e64 s30, -1, v146
	v_and_b32_e32 v2, 0xffff, v2
	s_delay_alu instid0(VALU_DEP_2) | instskip(NEXT) | instid1(VALU_DEP_2)
	v_cndmask_b32_e64 v149, 0xffff8000, -1, s30
	v_lshrrev_b32_e32 v2, s49, v2
	s_delay_alu instid0(VALU_DEP_1) | instskip(NEXT) | instid1(VALU_DEP_1)
	v_and_b32_e32 v2, s55, v2
	v_lshlrev_b32_e32 v2, 2, v2
	ds_load_b32 v2, v2
	s_waitcnt lgkmcnt(0)
	v_add_nc_u32_e32 v2, v2, v60
	s_delay_alu instid0(VALU_DEP_1) | instskip(SKIP_1) | instid1(VALU_DEP_2)
	v_lshlrev_b64 v[36:37], 1, v[2:3]
	v_xor_b32_e32 v2, v149, v146
	v_add_co_u32 v36, s30, s38, v36
	s_delay_alu instid0(VALU_DEP_1) | instskip(SKIP_3) | instid1(VALU_DEP_1)
	v_add_co_ci_u32_e64 v37, s30, s39, v37, s30
	global_store_b16 v[36:37], v2, off
	s_or_b32 exec_lo, exec_lo, s31
	v_cmp_lt_u32_e64 s30, v61, v145
	s_and_saveexec_b32 s33, s30
	s_cbranch_execnz .LBB1850_781
.LBB1850_796:                           ;   in Loop: Header=BB1850_688 Depth=2
	s_or_b32 exec_lo, exec_lo, s33
	v_cmp_lt_u32_e64 s31, v63, v145
	s_delay_alu instid0(VALU_DEP_1)
	s_and_saveexec_b32 s58, s31
	s_cbranch_execz .LBB1850_798
.LBB1850_797:                           ;   in Loop: Header=BB1850_688 Depth=2
	ds_load_u16 v146, v79 offset:7680
	s_waitcnt lgkmcnt(0)
	v_cmp_ne_u16_e64 s33, 0x7fff, v146
	s_delay_alu instid0(VALU_DEP_1) | instskip(SKIP_1) | instid1(VALU_DEP_2)
	v_cndmask_b32_e64 v2, 0xffff8000, v146, s33
	v_cmp_lt_i16_e64 s33, -1, v146
	v_and_b32_e32 v2, 0xffff, v2
	s_delay_alu instid0(VALU_DEP_2) | instskip(NEXT) | instid1(VALU_DEP_2)
	v_cndmask_b32_e64 v149, 0xffff8000, -1, s33
	v_lshrrev_b32_e32 v2, s49, v2
	s_delay_alu instid0(VALU_DEP_1) | instskip(NEXT) | instid1(VALU_DEP_1)
	v_and_b32_e32 v2, s55, v2
	v_lshlrev_b32_e32 v2, 2, v2
	ds_load_b32 v2, v2
	s_waitcnt lgkmcnt(0)
	v_add_nc_u32_e32 v2, v2, v63
	s_delay_alu instid0(VALU_DEP_1) | instskip(SKIP_1) | instid1(VALU_DEP_2)
	v_lshlrev_b64 v[36:37], 1, v[2:3]
	v_xor_b32_e32 v2, v149, v146
	v_add_co_u32 v36, s33, s38, v36
	s_delay_alu instid0(VALU_DEP_1)
	v_add_co_ci_u32_e64 v37, s33, s39, v37, s33
	global_store_b16 v[36:37], v2, off
.LBB1850_798:                           ;   in Loop: Header=BB1850_688 Depth=2
	s_or_b32 exec_lo, exec_lo, s58
	s_lshl_b64 s[58:59], s[34:35], 3
	s_delay_alu instid0(SALU_CYCLE_1) | instskip(NEXT) | instid1(VALU_DEP_1)
	v_add_co_u32 v36, s33, v107, s58
	v_add_co_ci_u32_e64 v37, s33, s59, v108, s33
	v_cmp_lt_u32_e64 s33, v106, v145
	s_delay_alu instid0(VALU_DEP_1) | instskip(NEXT) | instid1(SALU_CYCLE_1)
	s_and_saveexec_b32 s34, s33
	s_xor_b32 s33, exec_lo, s34
	s_cbranch_execz .LBB1850_830
; %bb.799:                              ;   in Loop: Header=BB1850_688 Depth=2
	global_load_b64 v[34:35], v[36:37], off
	s_or_b32 exec_lo, exec_lo, s33
	s_delay_alu instid0(SALU_CYCLE_1)
	s_mov_b32 s34, exec_lo
	v_cmpx_lt_u32_e64 v109, v145
	s_cbranch_execnz .LBB1850_831
.LBB1850_800:                           ;   in Loop: Header=BB1850_688 Depth=2
	s_or_b32 exec_lo, exec_lo, s34
	s_delay_alu instid0(SALU_CYCLE_1)
	s_mov_b32 s34, exec_lo
	v_cmpx_lt_u32_e64 v110, v145
	s_cbranch_execz .LBB1850_832
.LBB1850_801:                           ;   in Loop: Header=BB1850_688 Depth=2
	global_load_b64 v[30:31], v[36:37], off offset:512
	s_or_b32 exec_lo, exec_lo, s34
	s_delay_alu instid0(SALU_CYCLE_1)
	s_mov_b32 s34, exec_lo
	v_cmpx_lt_u32_e64 v111, v145
	s_cbranch_execnz .LBB1850_833
.LBB1850_802:                           ;   in Loop: Header=BB1850_688 Depth=2
	s_or_b32 exec_lo, exec_lo, s34
	s_delay_alu instid0(SALU_CYCLE_1)
	s_mov_b32 s34, exec_lo
	v_cmpx_lt_u32_e64 v112, v145
	s_cbranch_execz .LBB1850_834
.LBB1850_803:                           ;   in Loop: Header=BB1850_688 Depth=2
	global_load_b64 v[26:27], v[36:37], off offset:1024
	s_or_b32 exec_lo, exec_lo, s34
	s_delay_alu instid0(SALU_CYCLE_1)
	s_mov_b32 s34, exec_lo
	v_cmpx_lt_u32_e64 v113, v145
	s_cbranch_execnz .LBB1850_835
.LBB1850_804:                           ;   in Loop: Header=BB1850_688 Depth=2
	s_or_b32 exec_lo, exec_lo, s34
	s_delay_alu instid0(SALU_CYCLE_1)
	s_mov_b32 s34, exec_lo
	v_cmpx_lt_u32_e64 v114, v145
	s_cbranch_execz .LBB1850_836
.LBB1850_805:                           ;   in Loop: Header=BB1850_688 Depth=2
	global_load_b64 v[22:23], v[36:37], off offset:1536
	s_or_b32 exec_lo, exec_lo, s34
	s_delay_alu instid0(SALU_CYCLE_1)
	s_mov_b32 s34, exec_lo
	v_cmpx_lt_u32_e64 v115, v145
	s_cbranch_execnz .LBB1850_837
.LBB1850_806:                           ;   in Loop: Header=BB1850_688 Depth=2
	s_or_b32 exec_lo, exec_lo, s34
	s_delay_alu instid0(SALU_CYCLE_1)
	s_mov_b32 s34, exec_lo
	v_cmpx_lt_u32_e64 v116, v145
	s_cbranch_execz .LBB1850_838
.LBB1850_807:                           ;   in Loop: Header=BB1850_688 Depth=2
	global_load_b64 v[18:19], v[36:37], off offset:2048
	s_or_b32 exec_lo, exec_lo, s34
	s_delay_alu instid0(SALU_CYCLE_1)
	s_mov_b32 s34, exec_lo
	v_cmpx_lt_u32_e64 v117, v145
	s_cbranch_execnz .LBB1850_839
.LBB1850_808:                           ;   in Loop: Header=BB1850_688 Depth=2
	s_or_b32 exec_lo, exec_lo, s34
	s_delay_alu instid0(SALU_CYCLE_1)
	s_mov_b32 s34, exec_lo
	v_cmpx_lt_u32_e64 v118, v145
	s_cbranch_execz .LBB1850_840
.LBB1850_809:                           ;   in Loop: Header=BB1850_688 Depth=2
	global_load_b64 v[14:15], v[36:37], off offset:2560
	s_or_b32 exec_lo, exec_lo, s34
	s_delay_alu instid0(SALU_CYCLE_1)
	s_mov_b32 s34, exec_lo
	v_cmpx_lt_u32_e64 v119, v145
	s_cbranch_execnz .LBB1850_841
.LBB1850_810:                           ;   in Loop: Header=BB1850_688 Depth=2
	s_or_b32 exec_lo, exec_lo, s34
	s_delay_alu instid0(SALU_CYCLE_1)
	s_mov_b32 s34, exec_lo
	v_cmpx_lt_u32_e64 v120, v145
	s_cbranch_execz .LBB1850_842
.LBB1850_811:                           ;   in Loop: Header=BB1850_688 Depth=2
	global_load_b64 v[10:11], v[36:37], off offset:3072
	s_or_b32 exec_lo, exec_lo, s34
	s_delay_alu instid0(SALU_CYCLE_1)
	s_mov_b32 s34, exec_lo
	v_cmpx_lt_u32_e64 v121, v145
	s_cbranch_execnz .LBB1850_843
.LBB1850_812:                           ;   in Loop: Header=BB1850_688 Depth=2
	s_or_b32 exec_lo, exec_lo, s34
	s_delay_alu instid0(SALU_CYCLE_1)
	s_mov_b32 s34, exec_lo
	v_cmpx_lt_u32_e64 v122, v145
	s_cbranch_execz .LBB1850_844
.LBB1850_813:                           ;   in Loop: Header=BB1850_688 Depth=2
	global_load_b64 v[6:7], v[36:37], off offset:3584
	s_or_b32 exec_lo, exec_lo, s34
	s_delay_alu instid0(SALU_CYCLE_1)
	s_mov_b32 s34, exec_lo
	v_cmpx_lt_u32_e64 v123, v145
	s_cbranch_execnz .LBB1850_845
.LBB1850_814:                           ;   in Loop: Header=BB1850_688 Depth=2
	s_or_b32 exec_lo, exec_lo, s34
	s_and_saveexec_b32 s34, vcc_lo
	s_cbranch_execz .LBB1850_846
.LBB1850_815:                           ;   in Loop: Header=BB1850_688 Depth=2
	v_add_nc_u32_e32 v2, v72, v78
	ds_load_u16 v2, v2 offset:1024
	s_waitcnt lgkmcnt(0)
	v_cmp_ne_u16_e64 s33, 0x7fff, v2
	s_delay_alu instid0(VALU_DEP_1) | instskip(NEXT) | instid1(VALU_DEP_1)
	v_cndmask_b32_e64 v2, 0xffff8000, v2, s33
	v_and_b32_e32 v2, 0xffff, v2
	s_delay_alu instid0(VALU_DEP_1) | instskip(NEXT) | instid1(VALU_DEP_1)
	v_lshrrev_b32_e32 v2, s49, v2
	v_and_b32_e32 v144, s55, v2
	s_or_b32 exec_lo, exec_lo, s34
	s_and_saveexec_b32 s34, s16
	s_cbranch_execnz .LBB1850_847
.LBB1850_816:                           ;   in Loop: Header=BB1850_688 Depth=2
	s_or_b32 exec_lo, exec_lo, s34
	s_and_saveexec_b32 s34, s17
	s_cbranch_execz .LBB1850_848
.LBB1850_817:                           ;   in Loop: Header=BB1850_688 Depth=2
	ds_load_u16 v2, v79 offset:1024
	s_waitcnt lgkmcnt(0)
	v_cmp_ne_u16_e64 s33, 0x7fff, v2
	s_delay_alu instid0(VALU_DEP_1) | instskip(NEXT) | instid1(VALU_DEP_1)
	v_cndmask_b32_e64 v2, 0xffff8000, v2, s33
	v_and_b32_e32 v2, 0xffff, v2
	s_delay_alu instid0(VALU_DEP_1) | instskip(NEXT) | instid1(VALU_DEP_1)
	v_lshrrev_b32_e32 v2, s49, v2
	v_and_b32_e32 v142, s55, v2
	s_or_b32 exec_lo, exec_lo, s34
	s_and_saveexec_b32 s34, s18
	s_cbranch_execnz .LBB1850_849
.LBB1850_818:                           ;   in Loop: Header=BB1850_688 Depth=2
	s_or_b32 exec_lo, exec_lo, s34
	s_and_saveexec_b32 s34, s19
	s_cbranch_execz .LBB1850_850
.LBB1850_819:                           ;   in Loop: Header=BB1850_688 Depth=2
	ds_load_u16 v2, v79 offset:2048
	s_waitcnt lgkmcnt(0)
	v_cmp_ne_u16_e64 s33, 0x7fff, v2
	s_delay_alu instid0(VALU_DEP_1) | instskip(NEXT) | instid1(VALU_DEP_1)
	v_cndmask_b32_e64 v2, 0xffff8000, v2, s33
	v_and_b32_e32 v2, 0xffff, v2
	s_delay_alu instid0(VALU_DEP_1) | instskip(NEXT) | instid1(VALU_DEP_1)
	v_lshrrev_b32_e32 v2, s49, v2
	v_and_b32_e32 v140, s55, v2
	s_or_b32 exec_lo, exec_lo, s34
	s_and_saveexec_b32 s34, s20
	s_cbranch_execnz .LBB1850_851
.LBB1850_820:                           ;   in Loop: Header=BB1850_688 Depth=2
	s_or_b32 exec_lo, exec_lo, s34
	s_and_saveexec_b32 s34, s21
	s_cbranch_execz .LBB1850_852
.LBB1850_821:                           ;   in Loop: Header=BB1850_688 Depth=2
	ds_load_u16 v2, v79 offset:3072
	s_waitcnt lgkmcnt(0)
	v_cmp_ne_u16_e64 s33, 0x7fff, v2
	s_delay_alu instid0(VALU_DEP_1) | instskip(NEXT) | instid1(VALU_DEP_1)
	v_cndmask_b32_e64 v2, 0xffff8000, v2, s33
	v_and_b32_e32 v2, 0xffff, v2
	s_delay_alu instid0(VALU_DEP_1) | instskip(NEXT) | instid1(VALU_DEP_1)
	v_lshrrev_b32_e32 v2, s49, v2
	v_and_b32_e32 v138, s55, v2
	s_or_b32 exec_lo, exec_lo, s34
	s_and_saveexec_b32 s34, s22
	s_cbranch_execnz .LBB1850_853
.LBB1850_822:                           ;   in Loop: Header=BB1850_688 Depth=2
	s_or_b32 exec_lo, exec_lo, s34
	s_and_saveexec_b32 s34, s23
	s_cbranch_execz .LBB1850_854
.LBB1850_823:                           ;   in Loop: Header=BB1850_688 Depth=2
	ds_load_u16 v2, v79 offset:4096
	s_waitcnt lgkmcnt(0)
	v_cmp_ne_u16_e64 s33, 0x7fff, v2
	s_delay_alu instid0(VALU_DEP_1) | instskip(NEXT) | instid1(VALU_DEP_1)
	v_cndmask_b32_e64 v2, 0xffff8000, v2, s33
	v_and_b32_e32 v2, 0xffff, v2
	s_delay_alu instid0(VALU_DEP_1) | instskip(NEXT) | instid1(VALU_DEP_1)
	v_lshrrev_b32_e32 v2, s49, v2
	v_and_b32_e32 v136, s55, v2
	s_or_b32 exec_lo, exec_lo, s34
	s_and_saveexec_b32 s34, s24
	s_cbranch_execnz .LBB1850_855
.LBB1850_824:                           ;   in Loop: Header=BB1850_688 Depth=2
	s_or_b32 exec_lo, exec_lo, s34
	s_and_saveexec_b32 s34, s25
	s_cbranch_execz .LBB1850_856
.LBB1850_825:                           ;   in Loop: Header=BB1850_688 Depth=2
	ds_load_u16 v2, v79 offset:5120
	s_waitcnt lgkmcnt(0)
	v_cmp_ne_u16_e64 s33, 0x7fff, v2
	s_delay_alu instid0(VALU_DEP_1) | instskip(NEXT) | instid1(VALU_DEP_1)
	v_cndmask_b32_e64 v2, 0xffff8000, v2, s33
	v_and_b32_e32 v2, 0xffff, v2
	s_delay_alu instid0(VALU_DEP_1) | instskip(NEXT) | instid1(VALU_DEP_1)
	v_lshrrev_b32_e32 v2, s49, v2
	v_and_b32_e32 v134, s55, v2
	s_or_b32 exec_lo, exec_lo, s34
	s_and_saveexec_b32 s34, s27
	s_cbranch_execnz .LBB1850_857
.LBB1850_826:                           ;   in Loop: Header=BB1850_688 Depth=2
	s_or_b32 exec_lo, exec_lo, s34
	s_and_saveexec_b32 s34, s28
	s_cbranch_execz .LBB1850_858
.LBB1850_827:                           ;   in Loop: Header=BB1850_688 Depth=2
	ds_load_u16 v2, v79 offset:6144
	s_waitcnt lgkmcnt(0)
	v_cmp_ne_u16_e64 s33, 0x7fff, v2
	s_delay_alu instid0(VALU_DEP_1) | instskip(NEXT) | instid1(VALU_DEP_1)
	v_cndmask_b32_e64 v2, 0xffff8000, v2, s33
	v_and_b32_e32 v2, 0xffff, v2
	s_delay_alu instid0(VALU_DEP_1) | instskip(NEXT) | instid1(VALU_DEP_1)
	v_lshrrev_b32_e32 v2, s49, v2
	v_and_b32_e32 v132, s55, v2
	s_or_b32 exec_lo, exec_lo, s34
	s_and_saveexec_b32 s34, s29
	s_cbranch_execnz .LBB1850_859
.LBB1850_828:                           ;   in Loop: Header=BB1850_688 Depth=2
	s_or_b32 exec_lo, exec_lo, s34
	s_and_saveexec_b32 s34, s30
	s_cbranch_execz .LBB1850_860
.LBB1850_829:                           ;   in Loop: Header=BB1850_688 Depth=2
	ds_load_u16 v2, v79 offset:7168
	s_waitcnt lgkmcnt(0)
	v_cmp_ne_u16_e64 s33, 0x7fff, v2
	s_delay_alu instid0(VALU_DEP_1) | instskip(NEXT) | instid1(VALU_DEP_1)
	v_cndmask_b32_e64 v2, 0xffff8000, v2, s33
	v_and_b32_e32 v2, 0xffff, v2
	s_delay_alu instid0(VALU_DEP_1) | instskip(NEXT) | instid1(VALU_DEP_1)
	v_lshrrev_b32_e32 v2, s49, v2
	v_and_b32_e32 v130, s55, v2
	s_or_b32 exec_lo, exec_lo, s34
	s_and_saveexec_b32 s34, s31
	s_cbranch_execnz .LBB1850_861
	s_branch .LBB1850_862
.LBB1850_830:                           ;   in Loop: Header=BB1850_688 Depth=2
	s_or_b32 exec_lo, exec_lo, s33
	s_delay_alu instid0(SALU_CYCLE_1)
	s_mov_b32 s34, exec_lo
	v_cmpx_lt_u32_e64 v109, v145
	s_cbranch_execz .LBB1850_800
.LBB1850_831:                           ;   in Loop: Header=BB1850_688 Depth=2
	global_load_b64 v[32:33], v[36:37], off offset:256
	s_or_b32 exec_lo, exec_lo, s34
	s_delay_alu instid0(SALU_CYCLE_1)
	s_mov_b32 s34, exec_lo
	v_cmpx_lt_u32_e64 v110, v145
	s_cbranch_execnz .LBB1850_801
.LBB1850_832:                           ;   in Loop: Header=BB1850_688 Depth=2
	s_or_b32 exec_lo, exec_lo, s34
	s_delay_alu instid0(SALU_CYCLE_1)
	s_mov_b32 s34, exec_lo
	v_cmpx_lt_u32_e64 v111, v145
	s_cbranch_execz .LBB1850_802
.LBB1850_833:                           ;   in Loop: Header=BB1850_688 Depth=2
	global_load_b64 v[28:29], v[36:37], off offset:768
	s_or_b32 exec_lo, exec_lo, s34
	s_delay_alu instid0(SALU_CYCLE_1)
	s_mov_b32 s34, exec_lo
	v_cmpx_lt_u32_e64 v112, v145
	s_cbranch_execnz .LBB1850_803
.LBB1850_834:                           ;   in Loop: Header=BB1850_688 Depth=2
	s_or_b32 exec_lo, exec_lo, s34
	s_delay_alu instid0(SALU_CYCLE_1)
	s_mov_b32 s34, exec_lo
	v_cmpx_lt_u32_e64 v113, v145
	s_cbranch_execz .LBB1850_804
.LBB1850_835:                           ;   in Loop: Header=BB1850_688 Depth=2
	global_load_b64 v[24:25], v[36:37], off offset:1280
	s_or_b32 exec_lo, exec_lo, s34
	s_delay_alu instid0(SALU_CYCLE_1)
	s_mov_b32 s34, exec_lo
	v_cmpx_lt_u32_e64 v114, v145
	s_cbranch_execnz .LBB1850_805
.LBB1850_836:                           ;   in Loop: Header=BB1850_688 Depth=2
	s_or_b32 exec_lo, exec_lo, s34
	s_delay_alu instid0(SALU_CYCLE_1)
	s_mov_b32 s34, exec_lo
	v_cmpx_lt_u32_e64 v115, v145
	s_cbranch_execz .LBB1850_806
.LBB1850_837:                           ;   in Loop: Header=BB1850_688 Depth=2
	global_load_b64 v[20:21], v[36:37], off offset:1792
	s_or_b32 exec_lo, exec_lo, s34
	s_delay_alu instid0(SALU_CYCLE_1)
	s_mov_b32 s34, exec_lo
	v_cmpx_lt_u32_e64 v116, v145
	s_cbranch_execnz .LBB1850_807
.LBB1850_838:                           ;   in Loop: Header=BB1850_688 Depth=2
	s_or_b32 exec_lo, exec_lo, s34
	s_delay_alu instid0(SALU_CYCLE_1)
	s_mov_b32 s34, exec_lo
	v_cmpx_lt_u32_e64 v117, v145
	s_cbranch_execz .LBB1850_808
.LBB1850_839:                           ;   in Loop: Header=BB1850_688 Depth=2
	global_load_b64 v[16:17], v[36:37], off offset:2304
	s_or_b32 exec_lo, exec_lo, s34
	s_delay_alu instid0(SALU_CYCLE_1)
	s_mov_b32 s34, exec_lo
	v_cmpx_lt_u32_e64 v118, v145
	s_cbranch_execnz .LBB1850_809
.LBB1850_840:                           ;   in Loop: Header=BB1850_688 Depth=2
	s_or_b32 exec_lo, exec_lo, s34
	s_delay_alu instid0(SALU_CYCLE_1)
	s_mov_b32 s34, exec_lo
	v_cmpx_lt_u32_e64 v119, v145
	s_cbranch_execz .LBB1850_810
.LBB1850_841:                           ;   in Loop: Header=BB1850_688 Depth=2
	global_load_b64 v[12:13], v[36:37], off offset:2816
	s_or_b32 exec_lo, exec_lo, s34
	s_delay_alu instid0(SALU_CYCLE_1)
	s_mov_b32 s34, exec_lo
	v_cmpx_lt_u32_e64 v120, v145
	s_cbranch_execnz .LBB1850_811
.LBB1850_842:                           ;   in Loop: Header=BB1850_688 Depth=2
	s_or_b32 exec_lo, exec_lo, s34
	s_delay_alu instid0(SALU_CYCLE_1)
	s_mov_b32 s34, exec_lo
	v_cmpx_lt_u32_e64 v121, v145
	s_cbranch_execz .LBB1850_812
.LBB1850_843:                           ;   in Loop: Header=BB1850_688 Depth=2
	global_load_b64 v[8:9], v[36:37], off offset:3328
	s_or_b32 exec_lo, exec_lo, s34
	s_delay_alu instid0(SALU_CYCLE_1)
	s_mov_b32 s34, exec_lo
	v_cmpx_lt_u32_e64 v122, v145
	s_cbranch_execnz .LBB1850_813
.LBB1850_844:                           ;   in Loop: Header=BB1850_688 Depth=2
	s_or_b32 exec_lo, exec_lo, s34
	s_delay_alu instid0(SALU_CYCLE_1)
	s_mov_b32 s34, exec_lo
	v_cmpx_lt_u32_e64 v123, v145
	s_cbranch_execz .LBB1850_814
.LBB1850_845:                           ;   in Loop: Header=BB1850_688 Depth=2
	global_load_b64 v[4:5], v[36:37], off offset:3840
	s_or_b32 exec_lo, exec_lo, s34
	s_and_saveexec_b32 s34, vcc_lo
	s_cbranch_execnz .LBB1850_815
.LBB1850_846:                           ;   in Loop: Header=BB1850_688 Depth=2
	s_or_b32 exec_lo, exec_lo, s34
	s_and_saveexec_b32 s34, s16
	s_cbranch_execz .LBB1850_816
.LBB1850_847:                           ;   in Loop: Header=BB1850_688 Depth=2
	ds_load_u16 v2, v79 offset:512
	s_waitcnt lgkmcnt(0)
	v_cmp_ne_u16_e64 s33, 0x7fff, v2
	s_delay_alu instid0(VALU_DEP_1) | instskip(NEXT) | instid1(VALU_DEP_1)
	v_cndmask_b32_e64 v2, 0xffff8000, v2, s33
	v_and_b32_e32 v2, 0xffff, v2
	s_delay_alu instid0(VALU_DEP_1) | instskip(NEXT) | instid1(VALU_DEP_1)
	v_lshrrev_b32_e32 v2, s49, v2
	v_and_b32_e32 v143, s55, v2
	s_or_b32 exec_lo, exec_lo, s34
	s_and_saveexec_b32 s34, s17
	s_cbranch_execnz .LBB1850_817
.LBB1850_848:                           ;   in Loop: Header=BB1850_688 Depth=2
	s_or_b32 exec_lo, exec_lo, s34
	s_and_saveexec_b32 s34, s18
	s_cbranch_execz .LBB1850_818
.LBB1850_849:                           ;   in Loop: Header=BB1850_688 Depth=2
	ds_load_u16 v2, v79 offset:1536
	s_waitcnt lgkmcnt(0)
	v_cmp_ne_u16_e64 s33, 0x7fff, v2
	s_delay_alu instid0(VALU_DEP_1) | instskip(NEXT) | instid1(VALU_DEP_1)
	v_cndmask_b32_e64 v2, 0xffff8000, v2, s33
	v_and_b32_e32 v2, 0xffff, v2
	s_delay_alu instid0(VALU_DEP_1) | instskip(NEXT) | instid1(VALU_DEP_1)
	v_lshrrev_b32_e32 v2, s49, v2
	v_and_b32_e32 v141, s55, v2
	s_or_b32 exec_lo, exec_lo, s34
	s_and_saveexec_b32 s34, s19
	s_cbranch_execnz .LBB1850_819
.LBB1850_850:                           ;   in Loop: Header=BB1850_688 Depth=2
	s_or_b32 exec_lo, exec_lo, s34
	s_and_saveexec_b32 s34, s20
	s_cbranch_execz .LBB1850_820
.LBB1850_851:                           ;   in Loop: Header=BB1850_688 Depth=2
	ds_load_u16 v2, v79 offset:2560
	s_waitcnt lgkmcnt(0)
	v_cmp_ne_u16_e64 s33, 0x7fff, v2
	s_delay_alu instid0(VALU_DEP_1) | instskip(NEXT) | instid1(VALU_DEP_1)
	v_cndmask_b32_e64 v2, 0xffff8000, v2, s33
	v_and_b32_e32 v2, 0xffff, v2
	s_delay_alu instid0(VALU_DEP_1) | instskip(NEXT) | instid1(VALU_DEP_1)
	v_lshrrev_b32_e32 v2, s49, v2
	v_and_b32_e32 v139, s55, v2
	s_or_b32 exec_lo, exec_lo, s34
	s_and_saveexec_b32 s34, s21
	s_cbranch_execnz .LBB1850_821
.LBB1850_852:                           ;   in Loop: Header=BB1850_688 Depth=2
	s_or_b32 exec_lo, exec_lo, s34
	s_and_saveexec_b32 s34, s22
	s_cbranch_execz .LBB1850_822
.LBB1850_853:                           ;   in Loop: Header=BB1850_688 Depth=2
	ds_load_u16 v2, v79 offset:3584
	s_waitcnt lgkmcnt(0)
	v_cmp_ne_u16_e64 s33, 0x7fff, v2
	s_delay_alu instid0(VALU_DEP_1) | instskip(NEXT) | instid1(VALU_DEP_1)
	v_cndmask_b32_e64 v2, 0xffff8000, v2, s33
	v_and_b32_e32 v2, 0xffff, v2
	s_delay_alu instid0(VALU_DEP_1) | instskip(NEXT) | instid1(VALU_DEP_1)
	v_lshrrev_b32_e32 v2, s49, v2
	v_and_b32_e32 v137, s55, v2
	s_or_b32 exec_lo, exec_lo, s34
	s_and_saveexec_b32 s34, s23
	s_cbranch_execnz .LBB1850_823
.LBB1850_854:                           ;   in Loop: Header=BB1850_688 Depth=2
	s_or_b32 exec_lo, exec_lo, s34
	s_and_saveexec_b32 s34, s24
	s_cbranch_execz .LBB1850_824
.LBB1850_855:                           ;   in Loop: Header=BB1850_688 Depth=2
	ds_load_u16 v2, v79 offset:4608
	s_waitcnt lgkmcnt(0)
	v_cmp_ne_u16_e64 s33, 0x7fff, v2
	s_delay_alu instid0(VALU_DEP_1) | instskip(NEXT) | instid1(VALU_DEP_1)
	v_cndmask_b32_e64 v2, 0xffff8000, v2, s33
	v_and_b32_e32 v2, 0xffff, v2
	s_delay_alu instid0(VALU_DEP_1) | instskip(NEXT) | instid1(VALU_DEP_1)
	v_lshrrev_b32_e32 v2, s49, v2
	v_and_b32_e32 v135, s55, v2
	s_or_b32 exec_lo, exec_lo, s34
	s_and_saveexec_b32 s34, s25
	s_cbranch_execnz .LBB1850_825
.LBB1850_856:                           ;   in Loop: Header=BB1850_688 Depth=2
	s_or_b32 exec_lo, exec_lo, s34
	s_and_saveexec_b32 s34, s27
	s_cbranch_execz .LBB1850_826
.LBB1850_857:                           ;   in Loop: Header=BB1850_688 Depth=2
	ds_load_u16 v2, v79 offset:5632
	s_waitcnt lgkmcnt(0)
	v_cmp_ne_u16_e64 s33, 0x7fff, v2
	s_delay_alu instid0(VALU_DEP_1) | instskip(NEXT) | instid1(VALU_DEP_1)
	v_cndmask_b32_e64 v2, 0xffff8000, v2, s33
	v_and_b32_e32 v2, 0xffff, v2
	s_delay_alu instid0(VALU_DEP_1) | instskip(NEXT) | instid1(VALU_DEP_1)
	v_lshrrev_b32_e32 v2, s49, v2
	v_and_b32_e32 v133, s55, v2
	s_or_b32 exec_lo, exec_lo, s34
	s_and_saveexec_b32 s34, s28
	s_cbranch_execnz .LBB1850_827
.LBB1850_858:                           ;   in Loop: Header=BB1850_688 Depth=2
	s_or_b32 exec_lo, exec_lo, s34
	s_and_saveexec_b32 s34, s29
	s_cbranch_execz .LBB1850_828
.LBB1850_859:                           ;   in Loop: Header=BB1850_688 Depth=2
	ds_load_u16 v2, v79 offset:6656
	s_waitcnt lgkmcnt(0)
	v_cmp_ne_u16_e64 s33, 0x7fff, v2
	s_delay_alu instid0(VALU_DEP_1) | instskip(NEXT) | instid1(VALU_DEP_1)
	v_cndmask_b32_e64 v2, 0xffff8000, v2, s33
	v_and_b32_e32 v2, 0xffff, v2
	s_delay_alu instid0(VALU_DEP_1) | instskip(NEXT) | instid1(VALU_DEP_1)
	v_lshrrev_b32_e32 v2, s49, v2
	v_and_b32_e32 v131, s55, v2
	s_or_b32 exec_lo, exec_lo, s34
	s_and_saveexec_b32 s34, s30
	s_cbranch_execnz .LBB1850_829
.LBB1850_860:                           ;   in Loop: Header=BB1850_688 Depth=2
	s_or_b32 exec_lo, exec_lo, s34
	s_and_saveexec_b32 s34, s31
	s_cbranch_execz .LBB1850_862
.LBB1850_861:                           ;   in Loop: Header=BB1850_688 Depth=2
	ds_load_u16 v2, v79 offset:7680
	s_waitcnt lgkmcnt(0)
	v_cmp_ne_u16_e64 s33, 0x7fff, v2
	s_delay_alu instid0(VALU_DEP_1) | instskip(NEXT) | instid1(VALU_DEP_1)
	v_cndmask_b32_e64 v2, 0xffff8000, v2, s33
	v_and_b32_e32 v2, 0xffff, v2
	s_delay_alu instid0(VALU_DEP_1) | instskip(NEXT) | instid1(VALU_DEP_1)
	v_lshrrev_b32_e32 v2, s49, v2
	v_and_b32_e32 v129, s55, v2
.LBB1850_862:                           ;   in Loop: Header=BB1850_688 Depth=2
	s_or_b32 exec_lo, exec_lo, s34
	v_lshlrev_b32_e32 v2, 3, v168
	v_lshlrev_b32_e32 v36, 3, v164
	s_waitcnt vmcnt(0)
	s_waitcnt_vscnt null, 0x0
	s_barrier
	buffer_gl0_inv
	ds_store_b64 v2, v[34:35] offset:1024
	v_lshlrev_b32_e32 v2, 3, v160
	v_lshlrev_b32_e32 v37, 3, v156
	;; [unrolled: 1-line block ×4, first 2 shown]
	ds_store_b64 v36, v[32:33] offset:1024
	ds_store_b64 v2, v[30:31] offset:1024
	;; [unrolled: 1-line block ×5, first 2 shown]
	v_lshlrev_b32_e32 v2, 3, v152
	v_lshlrev_b32_e32 v36, 3, v151
	;; [unrolled: 1-line block ×5, first 2 shown]
	ds_store_b64 v2, v[22:23] offset:1024
	ds_store_b64 v36, v[20:21] offset:1024
	;; [unrolled: 1-line block ×5, first 2 shown]
	v_lshlrev_b32_e32 v2, 3, v40
	v_lshlrev_b32_e32 v36, 3, v39
	;; [unrolled: 1-line block ×5, first 2 shown]
	ds_store_b64 v2, v[12:13] offset:1024
	ds_store_b64 v36, v[10:11] offset:1024
	;; [unrolled: 1-line block ×5, first 2 shown]
	s_waitcnt lgkmcnt(0)
	s_barrier
	buffer_gl0_inv
	s_and_saveexec_b32 s33, vcc_lo
	s_cbranch_execz .LBB1850_878
; %bb.863:                              ;   in Loop: Header=BB1850_688 Depth=2
	v_lshlrev_b32_e32 v2, 2, v144
	ds_load_b32 v2, v2
	ds_load_b64 v[36:37], v80 offset:1024
	s_waitcnt lgkmcnt(1)
	v_add_nc_u32_e32 v2, v2, v1
	s_delay_alu instid0(VALU_DEP_1) | instskip(NEXT) | instid1(VALU_DEP_1)
	v_lshlrev_b64 v[39:40], 3, v[2:3]
	v_add_co_u32 v39, vcc_lo, s44, v39
	s_delay_alu instid0(VALU_DEP_2)
	v_add_co_ci_u32_e32 v40, vcc_lo, s45, v40, vcc_lo
	s_waitcnt lgkmcnt(0)
	global_store_b64 v[39:40], v[36:37], off
	s_or_b32 exec_lo, exec_lo, s33
	s_and_saveexec_b32 s33, s16
	s_cbranch_execnz .LBB1850_879
.LBB1850_864:                           ;   in Loop: Header=BB1850_688 Depth=2
	s_or_b32 exec_lo, exec_lo, s33
	s_and_saveexec_b32 s16, s17
	s_cbranch_execz .LBB1850_880
.LBB1850_865:                           ;   in Loop: Header=BB1850_688 Depth=2
	v_lshlrev_b32_e32 v2, 2, v142
	v_add_nc_u32_e32 v36, v79, v81
	ds_load_b32 v2, v2
	ds_load_b64 v[36:37], v36 offset:4096
	s_waitcnt lgkmcnt(1)
	v_add_nc_u32_e32 v2, v2, v46
	s_delay_alu instid0(VALU_DEP_1) | instskip(NEXT) | instid1(VALU_DEP_1)
	v_lshlrev_b64 v[39:40], 3, v[2:3]
	v_add_co_u32 v39, vcc_lo, s44, v39
	s_delay_alu instid0(VALU_DEP_2)
	v_add_co_ci_u32_e32 v40, vcc_lo, s45, v40, vcc_lo
	s_waitcnt lgkmcnt(0)
	global_store_b64 v[39:40], v[36:37], off
	s_or_b32 exec_lo, exec_lo, s16
	s_and_saveexec_b32 s16, s18
	s_cbranch_execnz .LBB1850_881
.LBB1850_866:                           ;   in Loop: Header=BB1850_688 Depth=2
	s_or_b32 exec_lo, exec_lo, s16
	s_and_saveexec_b32 s16, s19
	s_cbranch_execz .LBB1850_882
.LBB1850_867:                           ;   in Loop: Header=BB1850_688 Depth=2
	v_lshlrev_b32_e32 v2, 2, v140
	v_add_nc_u32_e32 v36, v79, v81
	ds_load_b32 v2, v2
	ds_load_b64 v[36:37], v36 offset:8192
	s_waitcnt lgkmcnt(1)
	v_add_nc_u32_e32 v2, v2, v51
	s_delay_alu instid0(VALU_DEP_1) | instskip(NEXT) | instid1(VALU_DEP_1)
	v_lshlrev_b64 v[39:40], 3, v[2:3]
	v_add_co_u32 v39, vcc_lo, s44, v39
	s_delay_alu instid0(VALU_DEP_2)
	v_add_co_ci_u32_e32 v40, vcc_lo, s45, v40, vcc_lo
	s_waitcnt lgkmcnt(0)
	global_store_b64 v[39:40], v[36:37], off
	s_or_b32 exec_lo, exec_lo, s16
	s_and_saveexec_b32 s16, s20
	s_cbranch_execnz .LBB1850_883
.LBB1850_868:                           ;   in Loop: Header=BB1850_688 Depth=2
	s_or_b32 exec_lo, exec_lo, s16
	s_and_saveexec_b32 s16, s21
	s_cbranch_execz .LBB1850_884
.LBB1850_869:                           ;   in Loop: Header=BB1850_688 Depth=2
	v_lshlrev_b32_e32 v2, 2, v138
	v_add_nc_u32_e32 v36, v79, v81
	ds_load_b32 v2, v2
	ds_load_b64 v[36:37], v36 offset:12288
	s_waitcnt lgkmcnt(1)
	v_add_nc_u32_e32 v2, v2, v53
	s_delay_alu instid0(VALU_DEP_1) | instskip(NEXT) | instid1(VALU_DEP_1)
	v_lshlrev_b64 v[39:40], 3, v[2:3]
	v_add_co_u32 v39, vcc_lo, s44, v39
	s_delay_alu instid0(VALU_DEP_2)
	v_add_co_ci_u32_e32 v40, vcc_lo, s45, v40, vcc_lo
	s_waitcnt lgkmcnt(0)
	global_store_b64 v[39:40], v[36:37], off
	s_or_b32 exec_lo, exec_lo, s16
	s_and_saveexec_b32 s16, s22
	s_cbranch_execnz .LBB1850_885
.LBB1850_870:                           ;   in Loop: Header=BB1850_688 Depth=2
	s_or_b32 exec_lo, exec_lo, s16
	s_and_saveexec_b32 s16, s23
	s_cbranch_execz .LBB1850_886
.LBB1850_871:                           ;   in Loop: Header=BB1850_688 Depth=2
	v_lshlrev_b32_e32 v2, 2, v136
	v_add_nc_u32_e32 v36, v79, v81
	ds_load_b32 v2, v2
	ds_load_b64 v[36:37], v36 offset:16384
	s_waitcnt lgkmcnt(1)
	v_add_nc_u32_e32 v2, v2, v55
	s_delay_alu instid0(VALU_DEP_1) | instskip(NEXT) | instid1(VALU_DEP_1)
	v_lshlrev_b64 v[39:40], 3, v[2:3]
	v_add_co_u32 v39, vcc_lo, s44, v39
	s_delay_alu instid0(VALU_DEP_2)
	v_add_co_ci_u32_e32 v40, vcc_lo, s45, v40, vcc_lo
	s_waitcnt lgkmcnt(0)
	global_store_b64 v[39:40], v[36:37], off
	s_or_b32 exec_lo, exec_lo, s16
	s_and_saveexec_b32 s16, s24
	s_cbranch_execnz .LBB1850_887
.LBB1850_872:                           ;   in Loop: Header=BB1850_688 Depth=2
	s_or_b32 exec_lo, exec_lo, s16
	s_and_saveexec_b32 s16, s25
	s_cbranch_execz .LBB1850_888
.LBB1850_873:                           ;   in Loop: Header=BB1850_688 Depth=2
	v_lshlrev_b32_e32 v2, 2, v134
	v_add_nc_u32_e32 v36, v79, v81
	ds_load_b32 v2, v2
	ds_load_b64 v[36:37], v36 offset:20480
	s_waitcnt lgkmcnt(1)
	v_add_nc_u32_e32 v2, v2, v57
	s_delay_alu instid0(VALU_DEP_1) | instskip(NEXT) | instid1(VALU_DEP_1)
	v_lshlrev_b64 v[39:40], 3, v[2:3]
	v_add_co_u32 v39, vcc_lo, s44, v39
	s_delay_alu instid0(VALU_DEP_2)
	v_add_co_ci_u32_e32 v40, vcc_lo, s45, v40, vcc_lo
	s_waitcnt lgkmcnt(0)
	global_store_b64 v[39:40], v[36:37], off
	s_or_b32 exec_lo, exec_lo, s16
	s_and_saveexec_b32 s16, s27
	s_cbranch_execnz .LBB1850_889
.LBB1850_874:                           ;   in Loop: Header=BB1850_688 Depth=2
	s_or_b32 exec_lo, exec_lo, s16
	s_and_saveexec_b32 s16, s28
	s_cbranch_execz .LBB1850_890
.LBB1850_875:                           ;   in Loop: Header=BB1850_688 Depth=2
	v_lshlrev_b32_e32 v2, 2, v132
	v_add_nc_u32_e32 v36, v79, v81
	ds_load_b32 v2, v2
	ds_load_b64 v[36:37], v36 offset:24576
	s_waitcnt lgkmcnt(1)
	v_add_nc_u32_e32 v2, v2, v59
	s_delay_alu instid0(VALU_DEP_1) | instskip(NEXT) | instid1(VALU_DEP_1)
	v_lshlrev_b64 v[39:40], 3, v[2:3]
	v_add_co_u32 v39, vcc_lo, s44, v39
	s_delay_alu instid0(VALU_DEP_2)
	v_add_co_ci_u32_e32 v40, vcc_lo, s45, v40, vcc_lo
	s_waitcnt lgkmcnt(0)
	global_store_b64 v[39:40], v[36:37], off
	s_or_b32 exec_lo, exec_lo, s16
	s_and_saveexec_b32 s16, s29
	s_cbranch_execnz .LBB1850_891
.LBB1850_876:                           ;   in Loop: Header=BB1850_688 Depth=2
	s_or_b32 exec_lo, exec_lo, s16
	s_and_saveexec_b32 s16, s30
	s_cbranch_execz .LBB1850_892
.LBB1850_877:                           ;   in Loop: Header=BB1850_688 Depth=2
	v_lshlrev_b32_e32 v2, 2, v130
	v_add_nc_u32_e32 v36, v79, v81
	ds_load_b32 v2, v2
	ds_load_b64 v[36:37], v36 offset:28672
	s_waitcnt lgkmcnt(1)
	v_add_nc_u32_e32 v2, v2, v61
	s_delay_alu instid0(VALU_DEP_1) | instskip(NEXT) | instid1(VALU_DEP_1)
	v_lshlrev_b64 v[39:40], 3, v[2:3]
	v_add_co_u32 v39, vcc_lo, s44, v39
	s_delay_alu instid0(VALU_DEP_2)
	v_add_co_ci_u32_e32 v40, vcc_lo, s45, v40, vcc_lo
	s_waitcnt lgkmcnt(0)
	global_store_b64 v[39:40], v[36:37], off
	s_or_b32 exec_lo, exec_lo, s16
	s_and_saveexec_b32 s16, s31
	s_cbranch_execnz .LBB1850_893
	s_branch .LBB1850_894
.LBB1850_878:                           ;   in Loop: Header=BB1850_688 Depth=2
	s_or_b32 exec_lo, exec_lo, s33
	s_and_saveexec_b32 s33, s16
	s_cbranch_execz .LBB1850_864
.LBB1850_879:                           ;   in Loop: Header=BB1850_688 Depth=2
	v_lshlrev_b32_e32 v2, 2, v143
	v_add_nc_u32_e32 v36, v79, v81
	ds_load_b32 v2, v2
	ds_load_b64 v[36:37], v36 offset:2048
	s_waitcnt lgkmcnt(1)
	v_add_nc_u32_e32 v2, v2, v45
	s_delay_alu instid0(VALU_DEP_1) | instskip(NEXT) | instid1(VALU_DEP_1)
	v_lshlrev_b64 v[39:40], 3, v[2:3]
	v_add_co_u32 v39, vcc_lo, s44, v39
	s_delay_alu instid0(VALU_DEP_2)
	v_add_co_ci_u32_e32 v40, vcc_lo, s45, v40, vcc_lo
	s_waitcnt lgkmcnt(0)
	global_store_b64 v[39:40], v[36:37], off
	s_or_b32 exec_lo, exec_lo, s33
	s_and_saveexec_b32 s16, s17
	s_cbranch_execnz .LBB1850_865
.LBB1850_880:                           ;   in Loop: Header=BB1850_688 Depth=2
	s_or_b32 exec_lo, exec_lo, s16
	s_and_saveexec_b32 s16, s18
	s_cbranch_execz .LBB1850_866
.LBB1850_881:                           ;   in Loop: Header=BB1850_688 Depth=2
	v_lshlrev_b32_e32 v2, 2, v141
	v_add_nc_u32_e32 v36, v79, v81
	ds_load_b32 v2, v2
	ds_load_b64 v[36:37], v36 offset:6144
	s_waitcnt lgkmcnt(1)
	v_add_nc_u32_e32 v2, v2, v47
	s_delay_alu instid0(VALU_DEP_1) | instskip(NEXT) | instid1(VALU_DEP_1)
	v_lshlrev_b64 v[39:40], 3, v[2:3]
	v_add_co_u32 v39, vcc_lo, s44, v39
	s_delay_alu instid0(VALU_DEP_2)
	v_add_co_ci_u32_e32 v40, vcc_lo, s45, v40, vcc_lo
	s_waitcnt lgkmcnt(0)
	global_store_b64 v[39:40], v[36:37], off
	s_or_b32 exec_lo, exec_lo, s16
	s_and_saveexec_b32 s16, s19
	s_cbranch_execnz .LBB1850_867
.LBB1850_882:                           ;   in Loop: Header=BB1850_688 Depth=2
	s_or_b32 exec_lo, exec_lo, s16
	s_and_saveexec_b32 s16, s20
	s_cbranch_execz .LBB1850_868
.LBB1850_883:                           ;   in Loop: Header=BB1850_688 Depth=2
	v_lshlrev_b32_e32 v2, 2, v139
	v_add_nc_u32_e32 v36, v79, v81
	ds_load_b32 v2, v2
	ds_load_b64 v[36:37], v36 offset:10240
	s_waitcnt lgkmcnt(1)
	v_add_nc_u32_e32 v2, v2, v52
	s_delay_alu instid0(VALU_DEP_1) | instskip(NEXT) | instid1(VALU_DEP_1)
	v_lshlrev_b64 v[39:40], 3, v[2:3]
	v_add_co_u32 v39, vcc_lo, s44, v39
	s_delay_alu instid0(VALU_DEP_2)
	v_add_co_ci_u32_e32 v40, vcc_lo, s45, v40, vcc_lo
	s_waitcnt lgkmcnt(0)
	global_store_b64 v[39:40], v[36:37], off
	s_or_b32 exec_lo, exec_lo, s16
	s_and_saveexec_b32 s16, s21
	s_cbranch_execnz .LBB1850_869
.LBB1850_884:                           ;   in Loop: Header=BB1850_688 Depth=2
	s_or_b32 exec_lo, exec_lo, s16
	s_and_saveexec_b32 s16, s22
	s_cbranch_execz .LBB1850_870
.LBB1850_885:                           ;   in Loop: Header=BB1850_688 Depth=2
	v_lshlrev_b32_e32 v2, 2, v137
	v_add_nc_u32_e32 v36, v79, v81
	ds_load_b32 v2, v2
	ds_load_b64 v[36:37], v36 offset:14336
	s_waitcnt lgkmcnt(1)
	v_add_nc_u32_e32 v2, v2, v54
	s_delay_alu instid0(VALU_DEP_1) | instskip(NEXT) | instid1(VALU_DEP_1)
	v_lshlrev_b64 v[39:40], 3, v[2:3]
	v_add_co_u32 v39, vcc_lo, s44, v39
	s_delay_alu instid0(VALU_DEP_2)
	v_add_co_ci_u32_e32 v40, vcc_lo, s45, v40, vcc_lo
	s_waitcnt lgkmcnt(0)
	global_store_b64 v[39:40], v[36:37], off
	s_or_b32 exec_lo, exec_lo, s16
	s_and_saveexec_b32 s16, s23
	s_cbranch_execnz .LBB1850_871
.LBB1850_886:                           ;   in Loop: Header=BB1850_688 Depth=2
	s_or_b32 exec_lo, exec_lo, s16
	s_and_saveexec_b32 s16, s24
	s_cbranch_execz .LBB1850_872
.LBB1850_887:                           ;   in Loop: Header=BB1850_688 Depth=2
	v_lshlrev_b32_e32 v2, 2, v135
	v_add_nc_u32_e32 v36, v79, v81
	ds_load_b32 v2, v2
	ds_load_b64 v[36:37], v36 offset:18432
	s_waitcnt lgkmcnt(1)
	v_add_nc_u32_e32 v2, v2, v56
	s_delay_alu instid0(VALU_DEP_1) | instskip(NEXT) | instid1(VALU_DEP_1)
	v_lshlrev_b64 v[39:40], 3, v[2:3]
	v_add_co_u32 v39, vcc_lo, s44, v39
	s_delay_alu instid0(VALU_DEP_2)
	v_add_co_ci_u32_e32 v40, vcc_lo, s45, v40, vcc_lo
	s_waitcnt lgkmcnt(0)
	global_store_b64 v[39:40], v[36:37], off
	s_or_b32 exec_lo, exec_lo, s16
	s_and_saveexec_b32 s16, s25
	s_cbranch_execnz .LBB1850_873
.LBB1850_888:                           ;   in Loop: Header=BB1850_688 Depth=2
	s_or_b32 exec_lo, exec_lo, s16
	s_and_saveexec_b32 s16, s27
	s_cbranch_execz .LBB1850_874
.LBB1850_889:                           ;   in Loop: Header=BB1850_688 Depth=2
	v_lshlrev_b32_e32 v2, 2, v133
	v_add_nc_u32_e32 v36, v79, v81
	ds_load_b32 v2, v2
	ds_load_b64 v[36:37], v36 offset:22528
	s_waitcnt lgkmcnt(1)
	v_add_nc_u32_e32 v2, v2, v58
	s_delay_alu instid0(VALU_DEP_1) | instskip(NEXT) | instid1(VALU_DEP_1)
	v_lshlrev_b64 v[39:40], 3, v[2:3]
	v_add_co_u32 v39, vcc_lo, s44, v39
	s_delay_alu instid0(VALU_DEP_2)
	v_add_co_ci_u32_e32 v40, vcc_lo, s45, v40, vcc_lo
	s_waitcnt lgkmcnt(0)
	global_store_b64 v[39:40], v[36:37], off
	s_or_b32 exec_lo, exec_lo, s16
	s_and_saveexec_b32 s16, s28
	s_cbranch_execnz .LBB1850_875
.LBB1850_890:                           ;   in Loop: Header=BB1850_688 Depth=2
	s_or_b32 exec_lo, exec_lo, s16
	s_and_saveexec_b32 s16, s29
	s_cbranch_execz .LBB1850_876
.LBB1850_891:                           ;   in Loop: Header=BB1850_688 Depth=2
	v_lshlrev_b32_e32 v2, 2, v131
	v_add_nc_u32_e32 v36, v79, v81
	ds_load_b32 v2, v2
	ds_load_b64 v[36:37], v36 offset:26624
	s_waitcnt lgkmcnt(1)
	v_add_nc_u32_e32 v2, v2, v60
	s_delay_alu instid0(VALU_DEP_1) | instskip(NEXT) | instid1(VALU_DEP_1)
	v_lshlrev_b64 v[39:40], 3, v[2:3]
	v_add_co_u32 v39, vcc_lo, s44, v39
	s_delay_alu instid0(VALU_DEP_2)
	v_add_co_ci_u32_e32 v40, vcc_lo, s45, v40, vcc_lo
	s_waitcnt lgkmcnt(0)
	global_store_b64 v[39:40], v[36:37], off
	s_or_b32 exec_lo, exec_lo, s16
	s_and_saveexec_b32 s16, s30
	s_cbranch_execnz .LBB1850_877
.LBB1850_892:                           ;   in Loop: Header=BB1850_688 Depth=2
	s_or_b32 exec_lo, exec_lo, s16
	s_and_saveexec_b32 s16, s31
	s_cbranch_execz .LBB1850_894
.LBB1850_893:                           ;   in Loop: Header=BB1850_688 Depth=2
	v_lshlrev_b32_e32 v2, 2, v129
	v_add_nc_u32_e32 v36, v79, v81
	ds_load_b32 v2, v2
	ds_load_b64 v[36:37], v36 offset:30720
	s_waitcnt lgkmcnt(1)
	v_add_nc_u32_e32 v2, v2, v63
	s_delay_alu instid0(VALU_DEP_1) | instskip(NEXT) | instid1(VALU_DEP_1)
	v_lshlrev_b64 v[39:40], 3, v[2:3]
	v_add_co_u32 v39, vcc_lo, s44, v39
	s_delay_alu instid0(VALU_DEP_2)
	v_add_co_ci_u32_e32 v40, vcc_lo, s45, v40, vcc_lo
	s_waitcnt lgkmcnt(0)
	global_store_b64 v[39:40], v[36:37], off
.LBB1850_894:                           ;   in Loop: Header=BB1850_688 Depth=2
	s_or_b32 exec_lo, exec_lo, s16
	s_waitcnt_vscnt null, 0x0
	s_barrier
	buffer_gl0_inv
	s_and_saveexec_b32 s16, s2
	s_cbranch_execz .LBB1850_687
; %bb.895:                              ;   in Loop: Header=BB1850_688 Depth=2
	ds_load_b32 v2, v44
	s_waitcnt lgkmcnt(0)
	v_add_nc_u32_e32 v2, v2, v38
	ds_store_b32 v44, v2
	s_branch .LBB1850_687
.LBB1850_896:                           ;   in Loop: Header=BB1850_12 Depth=1
	s_waitcnt lgkmcnt(0)
	s_mov_b32 s0, 0
	s_barrier
.LBB1850_897:                           ;   in Loop: Header=BB1850_12 Depth=1
	s_and_b32 vcc_lo, exec_lo, s0
	s_cbranch_vccz .LBB1850_11
; %bb.898:                              ;   in Loop: Header=BB1850_12 Depth=1
	s_mov_b32 s8, s54
	s_mov_b32 s34, s52
	s_barrier
	buffer_gl0_inv
                                        ; implicit-def: $vgpr20
                                        ; implicit-def: $vgpr2
                                        ; implicit-def: $vgpr6
                                        ; implicit-def: $vgpr7
                                        ; implicit-def: $vgpr8
                                        ; implicit-def: $vgpr9
                                        ; implicit-def: $vgpr10
                                        ; implicit-def: $vgpr11
                                        ; implicit-def: $vgpr12
                                        ; implicit-def: $vgpr13
                                        ; implicit-def: $vgpr14
                                        ; implicit-def: $vgpr15
                                        ; implicit-def: $vgpr16
                                        ; implicit-def: $vgpr17
                                        ; implicit-def: $vgpr18
                                        ; implicit-def: $vgpr19
	s_branch .LBB1850_900
.LBB1850_899:                           ;   in Loop: Header=BB1850_900 Depth=2
	s_or_b32 exec_lo, exec_lo, s0
	s_addk_i32 s8, 0xf000
	s_cmp_ge_u32 s9, s53
	s_mov_b32 s34, s9
	s_cbranch_scc1 .LBB1850_970
.LBB1850_900:                           ;   Parent Loop BB1850_12 Depth=1
                                        ; =>  This Inner Loop Header: Depth=2
	s_add_i32 s9, s34, 0x1000
	s_delay_alu instid0(SALU_CYCLE_1)
	s_cmp_gt_u32 s9, s53
	s_cbranch_scc1 .LBB1850_903
; %bb.901:                              ;   in Loop: Header=BB1850_900 Depth=2
	s_mov_b32 s1, 0
	s_mov_b32 s0, s34
	s_delay_alu instid0(SALU_CYCLE_1) | instskip(NEXT) | instid1(SALU_CYCLE_1)
	s_lshl_b64 s[10:11], s[0:1], 1
	v_add_co_u32 v4, vcc_lo, v88, s10
	v_add_co_ci_u32_e32 v5, vcc_lo, s11, v89, vcc_lo
	s_movk_i32 s11, 0x1000
	s_waitcnt vmcnt(0)
	s_delay_alu instid0(VALU_DEP_2) | instskip(NEXT) | instid1(VALU_DEP_2)
	v_add_co_u32 v36, vcc_lo, 0x1000, v4
	v_add_co_ci_u32_e32 v37, vcc_lo, 0, v5, vcc_lo
	s_clause 0xe
	global_load_u16 v22, v[4:5], off
	global_load_u16 v23, v[4:5], off offset:512
	global_load_u16 v24, v[4:5], off offset:1024
	;; [unrolled: 1-line block ×7, first 2 shown]
	global_load_u16 v30, v[36:37], off
	global_load_u16 v31, v[36:37], off offset:512
	global_load_u16 v32, v[36:37], off offset:1024
	;; [unrolled: 1-line block ×6, first 2 shown]
	v_add_co_u32 v4, vcc_lo, 0x1e00, v4
	v_add_co_ci_u32_e32 v5, vcc_lo, 0, v5, vcc_lo
	s_mov_b32 s10, -1
	s_cbranch_execz .LBB1850_904
; %bb.902:                              ;   in Loop: Header=BB1850_900 Depth=2
                                        ; implicit-def: $vgpr19
                                        ; implicit-def: $vgpr18
                                        ; implicit-def: $vgpr17
                                        ; implicit-def: $vgpr16
                                        ; implicit-def: $vgpr15
                                        ; implicit-def: $vgpr14
                                        ; implicit-def: $vgpr13
                                        ; implicit-def: $vgpr12
                                        ; implicit-def: $vgpr11
                                        ; implicit-def: $vgpr10
                                        ; implicit-def: $vgpr9
                                        ; implicit-def: $vgpr8
                                        ; implicit-def: $vgpr7
                                        ; implicit-def: $vgpr6
                                        ; implicit-def: $vgpr2
                                        ; implicit-def: $vgpr20
	v_mov_b32_e32 v21, s8
	s_and_saveexec_b32 s0, s10
	s_cbranch_execnz .LBB1850_923
	s_branch .LBB1850_924
.LBB1850_903:                           ;   in Loop: Header=BB1850_900 Depth=2
	s_mov_b32 s10, 0
                                        ; implicit-def: $sgpr11
                                        ; implicit-def: $vgpr22
                                        ; implicit-def: $vgpr23
                                        ; implicit-def: $vgpr24
                                        ; implicit-def: $vgpr25
                                        ; implicit-def: $vgpr26
                                        ; implicit-def: $vgpr27
                                        ; implicit-def: $vgpr28
                                        ; implicit-def: $vgpr29
                                        ; implicit-def: $vgpr30
                                        ; implicit-def: $vgpr31
                                        ; implicit-def: $vgpr32
                                        ; implicit-def: $vgpr33
                                        ; implicit-def: $vgpr34
                                        ; implicit-def: $vgpr35
                                        ; implicit-def: $vgpr36
                                        ; implicit-def: $vgpr4_vgpr5
.LBB1850_904:                           ;   in Loop: Header=BB1850_900 Depth=2
	s_lshl_b64 s[0:1], s[34:35], 1
	s_mov_b32 s11, exec_lo
	s_add_u32 s0, s36, s0
	s_addc_u32 s1, s37, s1
	v_cmpx_gt_u32_e64 s8, v1
	s_cbranch_execz .LBB1850_956
; %bb.905:                              ;   in Loop: Header=BB1850_900 Depth=2
	global_load_u16 v19, v95, s[0:1]
	s_or_b32 exec_lo, exec_lo, s11
	s_delay_alu instid0(SALU_CYCLE_1)
	s_mov_b32 s11, exec_lo
	v_cmpx_gt_u32_e64 s8, v45
	s_cbranch_execnz .LBB1850_957
.LBB1850_906:                           ;   in Loop: Header=BB1850_900 Depth=2
	s_or_b32 exec_lo, exec_lo, s11
	s_delay_alu instid0(SALU_CYCLE_1)
	s_mov_b32 s11, exec_lo
	v_cmpx_gt_u32_e64 s8, v46
	s_cbranch_execz .LBB1850_958
.LBB1850_907:                           ;   in Loop: Header=BB1850_900 Depth=2
	global_load_u16 v17, v95, s[0:1] offset:1024
	s_or_b32 exec_lo, exec_lo, s11
	s_delay_alu instid0(SALU_CYCLE_1)
	s_mov_b32 s11, exec_lo
	v_cmpx_gt_u32_e64 s8, v47
	s_cbranch_execnz .LBB1850_959
.LBB1850_908:                           ;   in Loop: Header=BB1850_900 Depth=2
	s_or_b32 exec_lo, exec_lo, s11
	s_delay_alu instid0(SALU_CYCLE_1)
	s_mov_b32 s11, exec_lo
	v_cmpx_gt_u32_e64 s8, v51
	s_cbranch_execz .LBB1850_960
.LBB1850_909:                           ;   in Loop: Header=BB1850_900 Depth=2
	global_load_u16 v15, v95, s[0:1] offset:2048
	s_or_b32 exec_lo, exec_lo, s11
	s_delay_alu instid0(SALU_CYCLE_1)
	s_mov_b32 s11, exec_lo
	v_cmpx_gt_u32_e64 s8, v52
	s_cbranch_execnz .LBB1850_961
.LBB1850_910:                           ;   in Loop: Header=BB1850_900 Depth=2
	s_or_b32 exec_lo, exec_lo, s11
	s_delay_alu instid0(SALU_CYCLE_1)
	s_mov_b32 s11, exec_lo
	v_cmpx_gt_u32_e64 s8, v53
	s_cbranch_execz .LBB1850_962
.LBB1850_911:                           ;   in Loop: Header=BB1850_900 Depth=2
	global_load_u16 v13, v95, s[0:1] offset:3072
	s_or_b32 exec_lo, exec_lo, s11
	s_delay_alu instid0(SALU_CYCLE_1)
	s_mov_b32 s11, exec_lo
	v_cmpx_gt_u32_e64 s8, v54
	s_cbranch_execnz .LBB1850_963
.LBB1850_912:                           ;   in Loop: Header=BB1850_900 Depth=2
	s_or_b32 exec_lo, exec_lo, s11
	s_delay_alu instid0(SALU_CYCLE_1)
	s_mov_b32 s11, exec_lo
	v_cmpx_gt_u32_e64 s8, v55
	s_cbranch_execz .LBB1850_964
.LBB1850_913:                           ;   in Loop: Header=BB1850_900 Depth=2
	global_load_u16 v11, v96, s[0:1]
	s_or_b32 exec_lo, exec_lo, s11
	s_delay_alu instid0(SALU_CYCLE_1)
	s_mov_b32 s11, exec_lo
	v_cmpx_gt_u32_e64 s8, v56
	s_cbranch_execnz .LBB1850_965
.LBB1850_914:                           ;   in Loop: Header=BB1850_900 Depth=2
	s_or_b32 exec_lo, exec_lo, s11
	s_delay_alu instid0(SALU_CYCLE_1)
	s_mov_b32 s11, exec_lo
	v_cmpx_gt_u32_e64 s8, v57
	s_cbranch_execz .LBB1850_966
.LBB1850_915:                           ;   in Loop: Header=BB1850_900 Depth=2
	global_load_u16 v9, v98, s[0:1]
	s_or_b32 exec_lo, exec_lo, s11
	s_delay_alu instid0(SALU_CYCLE_1)
	s_mov_b32 s11, exec_lo
	v_cmpx_gt_u32_e64 s8, v58
	s_cbranch_execnz .LBB1850_967
.LBB1850_916:                           ;   in Loop: Header=BB1850_900 Depth=2
	s_or_b32 exec_lo, exec_lo, s11
	s_delay_alu instid0(SALU_CYCLE_1)
	s_mov_b32 s11, exec_lo
	v_cmpx_gt_u32_e64 s8, v59
	s_cbranch_execz .LBB1850_968
.LBB1850_917:                           ;   in Loop: Header=BB1850_900 Depth=2
	global_load_u16 v7, v100, s[0:1]
	s_or_b32 exec_lo, exec_lo, s11
	s_delay_alu instid0(SALU_CYCLE_1)
	s_mov_b32 s11, exec_lo
	v_cmpx_gt_u32_e64 s8, v60
	s_cbranch_execnz .LBB1850_969
.LBB1850_918:                           ;   in Loop: Header=BB1850_900 Depth=2
	s_or_b32 exec_lo, exec_lo, s11
	s_delay_alu instid0(SALU_CYCLE_1)
	s_mov_b32 s11, exec_lo
	v_cmpx_gt_u32_e64 s8, v61
	s_cbranch_execz .LBB1850_920
.LBB1850_919:                           ;   in Loop: Header=BB1850_900 Depth=2
	global_load_u16 v2, v102, s[0:1]
.LBB1850_920:                           ;   in Loop: Header=BB1850_900 Depth=2
	s_or_b32 exec_lo, exec_lo, s11
	s_delay_alu instid0(SALU_CYCLE_1)
	s_mov_b32 s12, exec_lo
                                        ; implicit-def: $sgpr11
                                        ; implicit-def: $vgpr4_vgpr5
	v_cmpx_gt_u32_e64 s8, v63
; %bb.921:                              ;   in Loop: Header=BB1850_900 Depth=2
	v_add_co_u32 v4, s0, s0, v103
	s_delay_alu instid0(VALU_DEP_1)
	v_add_co_ci_u32_e64 v5, null, s1, 0, s0
	s_sub_i32 s11, s53, s34
	s_or_b32 s10, s10, exec_lo
                                        ; implicit-def: $vgpr20
; %bb.922:                              ;   in Loop: Header=BB1850_900 Depth=2
	s_or_b32 exec_lo, exec_lo, s12
	s_waitcnt vmcnt(0)
	v_dual_mov_b32 v22, v19 :: v_dual_mov_b32 v23, v18
	v_dual_mov_b32 v24, v17 :: v_dual_mov_b32 v25, v16
	;; [unrolled: 1-line block ×8, first 2 shown]
	s_and_saveexec_b32 s0, s10
	s_cbranch_execz .LBB1850_924
.LBB1850_923:                           ;   in Loop: Header=BB1850_900 Depth=2
	global_load_u16 v20, v[4:5], off
	s_waitcnt vmcnt(1)
	v_dual_mov_b32 v21, s11 :: v_dual_mov_b32 v2, v36
	v_dual_mov_b32 v6, v35 :: v_dual_mov_b32 v7, v34
	;; [unrolled: 1-line block ×8, first 2 shown]
.LBB1850_924:                           ;   in Loop: Header=BB1850_900 Depth=2
	s_or_b32 exec_lo, exec_lo, s0
	v_lshlrev_b32_e32 v4, 2, v48
	s_mov_b32 s0, exec_lo
	v_cmpx_lt_u32_e64 v1, v21
	s_cbranch_execz .LBB1850_940
; %bb.925:                              ;   in Loop: Header=BB1850_900 Depth=2
	v_cmp_lt_i16_e32 vcc_lo, -1, v19
	v_cndmask_b32_e64 v5, -1, 0xffff8000, vcc_lo
	s_delay_alu instid0(VALU_DEP_1) | instskip(NEXT) | instid1(VALU_DEP_1)
	v_xor_b32_e32 v5, v5, v19
	v_cmp_ne_u16_e32 vcc_lo, 0x7fff, v5
	v_cndmask_b32_e32 v5, 0xffff8000, v5, vcc_lo
	s_delay_alu instid0(VALU_DEP_1) | instskip(NEXT) | instid1(VALU_DEP_1)
	v_and_b32_e32 v5, 0xffff, v5
	v_lshrrev_b32_e32 v5, s49, v5
	s_delay_alu instid0(VALU_DEP_1) | instskip(NEXT) | instid1(VALU_DEP_1)
	v_and_b32_e32 v5, s55, v5
	v_lshl_or_b32 v5, v5, 4, v4
	ds_add_u32 v5, v94
	s_or_b32 exec_lo, exec_lo, s0
	s_delay_alu instid0(SALU_CYCLE_1)
	s_mov_b32 s0, exec_lo
	v_cmpx_lt_u32_e64 v45, v21
	s_cbranch_execnz .LBB1850_941
.LBB1850_926:                           ;   in Loop: Header=BB1850_900 Depth=2
	s_or_b32 exec_lo, exec_lo, s0
	s_delay_alu instid0(SALU_CYCLE_1)
	s_mov_b32 s0, exec_lo
	v_cmpx_lt_u32_e64 v46, v21
	s_cbranch_execz .LBB1850_942
.LBB1850_927:                           ;   in Loop: Header=BB1850_900 Depth=2
	v_cmp_lt_i16_e32 vcc_lo, -1, v17
	v_cndmask_b32_e64 v5, -1, 0xffff8000, vcc_lo
	s_delay_alu instid0(VALU_DEP_1) | instskip(NEXT) | instid1(VALU_DEP_1)
	v_xor_b32_e32 v5, v5, v17
	v_cmp_ne_u16_e32 vcc_lo, 0x7fff, v5
	v_cndmask_b32_e32 v5, 0xffff8000, v5, vcc_lo
	s_delay_alu instid0(VALU_DEP_1) | instskip(NEXT) | instid1(VALU_DEP_1)
	v_and_b32_e32 v5, 0xffff, v5
	v_lshrrev_b32_e32 v5, s49, v5
	s_delay_alu instid0(VALU_DEP_1) | instskip(NEXT) | instid1(VALU_DEP_1)
	v_and_b32_e32 v5, s55, v5
	v_lshl_or_b32 v5, v5, 4, v4
	ds_add_u32 v5, v94
	s_or_b32 exec_lo, exec_lo, s0
	s_delay_alu instid0(SALU_CYCLE_1)
	s_mov_b32 s0, exec_lo
	v_cmpx_lt_u32_e64 v47, v21
	s_cbranch_execnz .LBB1850_943
.LBB1850_928:                           ;   in Loop: Header=BB1850_900 Depth=2
	s_or_b32 exec_lo, exec_lo, s0
	s_delay_alu instid0(SALU_CYCLE_1)
	s_mov_b32 s0, exec_lo
	v_cmpx_lt_u32_e64 v51, v21
	s_cbranch_execz .LBB1850_944
.LBB1850_929:                           ;   in Loop: Header=BB1850_900 Depth=2
	v_cmp_lt_i16_e32 vcc_lo, -1, v15
	v_cndmask_b32_e64 v5, -1, 0xffff8000, vcc_lo
	s_delay_alu instid0(VALU_DEP_1) | instskip(NEXT) | instid1(VALU_DEP_1)
	v_xor_b32_e32 v5, v5, v15
	v_cmp_ne_u16_e32 vcc_lo, 0x7fff, v5
	v_cndmask_b32_e32 v5, 0xffff8000, v5, vcc_lo
	s_delay_alu instid0(VALU_DEP_1) | instskip(NEXT) | instid1(VALU_DEP_1)
	v_and_b32_e32 v5, 0xffff, v5
	v_lshrrev_b32_e32 v5, s49, v5
	s_delay_alu instid0(VALU_DEP_1) | instskip(NEXT) | instid1(VALU_DEP_1)
	v_and_b32_e32 v5, s55, v5
	v_lshl_or_b32 v5, v5, 4, v4
	ds_add_u32 v5, v94
	s_or_b32 exec_lo, exec_lo, s0
	s_delay_alu instid0(SALU_CYCLE_1)
	s_mov_b32 s0, exec_lo
	v_cmpx_lt_u32_e64 v52, v21
	s_cbranch_execnz .LBB1850_945
.LBB1850_930:                           ;   in Loop: Header=BB1850_900 Depth=2
	s_or_b32 exec_lo, exec_lo, s0
	s_delay_alu instid0(SALU_CYCLE_1)
	s_mov_b32 s0, exec_lo
	v_cmpx_lt_u32_e64 v53, v21
	s_cbranch_execz .LBB1850_946
.LBB1850_931:                           ;   in Loop: Header=BB1850_900 Depth=2
	v_cmp_lt_i16_e32 vcc_lo, -1, v13
	v_cndmask_b32_e64 v5, -1, 0xffff8000, vcc_lo
	s_delay_alu instid0(VALU_DEP_1) | instskip(NEXT) | instid1(VALU_DEP_1)
	v_xor_b32_e32 v5, v5, v13
	v_cmp_ne_u16_e32 vcc_lo, 0x7fff, v5
	v_cndmask_b32_e32 v5, 0xffff8000, v5, vcc_lo
	s_delay_alu instid0(VALU_DEP_1) | instskip(NEXT) | instid1(VALU_DEP_1)
	v_and_b32_e32 v5, 0xffff, v5
	v_lshrrev_b32_e32 v5, s49, v5
	s_delay_alu instid0(VALU_DEP_1) | instskip(NEXT) | instid1(VALU_DEP_1)
	v_and_b32_e32 v5, s55, v5
	v_lshl_or_b32 v5, v5, 4, v4
	ds_add_u32 v5, v94
	s_or_b32 exec_lo, exec_lo, s0
	s_delay_alu instid0(SALU_CYCLE_1)
	s_mov_b32 s0, exec_lo
	v_cmpx_lt_u32_e64 v54, v21
	s_cbranch_execnz .LBB1850_947
.LBB1850_932:                           ;   in Loop: Header=BB1850_900 Depth=2
	s_or_b32 exec_lo, exec_lo, s0
	s_delay_alu instid0(SALU_CYCLE_1)
	s_mov_b32 s0, exec_lo
	v_cmpx_lt_u32_e64 v55, v21
	s_cbranch_execz .LBB1850_948
.LBB1850_933:                           ;   in Loop: Header=BB1850_900 Depth=2
	v_cmp_lt_i16_e32 vcc_lo, -1, v11
	v_cndmask_b32_e64 v5, -1, 0xffff8000, vcc_lo
	s_delay_alu instid0(VALU_DEP_1) | instskip(NEXT) | instid1(VALU_DEP_1)
	v_xor_b32_e32 v5, v5, v11
	v_cmp_ne_u16_e32 vcc_lo, 0x7fff, v5
	v_cndmask_b32_e32 v5, 0xffff8000, v5, vcc_lo
	s_delay_alu instid0(VALU_DEP_1) | instskip(NEXT) | instid1(VALU_DEP_1)
	v_and_b32_e32 v5, 0xffff, v5
	v_lshrrev_b32_e32 v5, s49, v5
	s_delay_alu instid0(VALU_DEP_1) | instskip(NEXT) | instid1(VALU_DEP_1)
	v_and_b32_e32 v5, s55, v5
	v_lshl_or_b32 v5, v5, 4, v4
	ds_add_u32 v5, v94
	s_or_b32 exec_lo, exec_lo, s0
	s_delay_alu instid0(SALU_CYCLE_1)
	s_mov_b32 s0, exec_lo
	v_cmpx_lt_u32_e64 v56, v21
	s_cbranch_execnz .LBB1850_949
.LBB1850_934:                           ;   in Loop: Header=BB1850_900 Depth=2
	s_or_b32 exec_lo, exec_lo, s0
	s_delay_alu instid0(SALU_CYCLE_1)
	s_mov_b32 s0, exec_lo
	v_cmpx_lt_u32_e64 v57, v21
	s_cbranch_execz .LBB1850_950
.LBB1850_935:                           ;   in Loop: Header=BB1850_900 Depth=2
	v_cmp_lt_i16_e32 vcc_lo, -1, v9
	v_cndmask_b32_e64 v5, -1, 0xffff8000, vcc_lo
	s_delay_alu instid0(VALU_DEP_1) | instskip(NEXT) | instid1(VALU_DEP_1)
	v_xor_b32_e32 v5, v5, v9
	v_cmp_ne_u16_e32 vcc_lo, 0x7fff, v5
	v_cndmask_b32_e32 v5, 0xffff8000, v5, vcc_lo
	s_delay_alu instid0(VALU_DEP_1) | instskip(NEXT) | instid1(VALU_DEP_1)
	v_and_b32_e32 v5, 0xffff, v5
	v_lshrrev_b32_e32 v5, s49, v5
	s_delay_alu instid0(VALU_DEP_1) | instskip(NEXT) | instid1(VALU_DEP_1)
	v_and_b32_e32 v5, s55, v5
	v_lshl_or_b32 v5, v5, 4, v4
	ds_add_u32 v5, v94
	s_or_b32 exec_lo, exec_lo, s0
	s_delay_alu instid0(SALU_CYCLE_1)
	s_mov_b32 s0, exec_lo
	v_cmpx_lt_u32_e64 v58, v21
	s_cbranch_execnz .LBB1850_951
.LBB1850_936:                           ;   in Loop: Header=BB1850_900 Depth=2
	s_or_b32 exec_lo, exec_lo, s0
	s_delay_alu instid0(SALU_CYCLE_1)
	s_mov_b32 s0, exec_lo
	v_cmpx_lt_u32_e64 v59, v21
	s_cbranch_execz .LBB1850_952
.LBB1850_937:                           ;   in Loop: Header=BB1850_900 Depth=2
	v_cmp_lt_i16_e32 vcc_lo, -1, v7
	v_cndmask_b32_e64 v5, -1, 0xffff8000, vcc_lo
	s_delay_alu instid0(VALU_DEP_1) | instskip(NEXT) | instid1(VALU_DEP_1)
	v_xor_b32_e32 v5, v5, v7
	v_cmp_ne_u16_e32 vcc_lo, 0x7fff, v5
	v_cndmask_b32_e32 v5, 0xffff8000, v5, vcc_lo
	s_delay_alu instid0(VALU_DEP_1) | instskip(NEXT) | instid1(VALU_DEP_1)
	v_and_b32_e32 v5, 0xffff, v5
	v_lshrrev_b32_e32 v5, s49, v5
	s_delay_alu instid0(VALU_DEP_1) | instskip(NEXT) | instid1(VALU_DEP_1)
	v_and_b32_e32 v5, s55, v5
	v_lshl_or_b32 v5, v5, 4, v4
	ds_add_u32 v5, v94
	s_or_b32 exec_lo, exec_lo, s0
	s_delay_alu instid0(SALU_CYCLE_1)
	s_mov_b32 s0, exec_lo
	v_cmpx_lt_u32_e64 v60, v21
	s_cbranch_execnz .LBB1850_953
.LBB1850_938:                           ;   in Loop: Header=BB1850_900 Depth=2
	s_or_b32 exec_lo, exec_lo, s0
	s_delay_alu instid0(SALU_CYCLE_1)
	s_mov_b32 s0, exec_lo
	v_cmpx_lt_u32_e64 v61, v21
	s_cbranch_execz .LBB1850_954
.LBB1850_939:                           ;   in Loop: Header=BB1850_900 Depth=2
	v_cmp_lt_i16_e32 vcc_lo, -1, v2
	v_cndmask_b32_e64 v5, -1, 0xffff8000, vcc_lo
	s_delay_alu instid0(VALU_DEP_1) | instskip(NEXT) | instid1(VALU_DEP_1)
	v_xor_b32_e32 v5, v5, v2
	v_cmp_ne_u16_e32 vcc_lo, 0x7fff, v5
	v_cndmask_b32_e32 v5, 0xffff8000, v5, vcc_lo
	s_delay_alu instid0(VALU_DEP_1) | instskip(NEXT) | instid1(VALU_DEP_1)
	v_and_b32_e32 v5, 0xffff, v5
	v_lshrrev_b32_e32 v5, s49, v5
	s_delay_alu instid0(VALU_DEP_1) | instskip(NEXT) | instid1(VALU_DEP_1)
	v_and_b32_e32 v5, s55, v5
	v_lshl_or_b32 v5, v5, 4, v4
	ds_add_u32 v5, v94
	s_or_b32 exec_lo, exec_lo, s0
	s_delay_alu instid0(SALU_CYCLE_1)
	s_mov_b32 s0, exec_lo
	v_cmpx_lt_u32_e64 v63, v21
	s_cbranch_execz .LBB1850_899
	s_branch .LBB1850_955
.LBB1850_940:                           ;   in Loop: Header=BB1850_900 Depth=2
	s_or_b32 exec_lo, exec_lo, s0
	s_delay_alu instid0(SALU_CYCLE_1)
	s_mov_b32 s0, exec_lo
	v_cmpx_lt_u32_e64 v45, v21
	s_cbranch_execz .LBB1850_926
.LBB1850_941:                           ;   in Loop: Header=BB1850_900 Depth=2
	v_cmp_lt_i16_e32 vcc_lo, -1, v18
	v_cndmask_b32_e64 v5, -1, 0xffff8000, vcc_lo
	s_delay_alu instid0(VALU_DEP_1) | instskip(NEXT) | instid1(VALU_DEP_1)
	v_xor_b32_e32 v5, v5, v18
	v_cmp_ne_u16_e32 vcc_lo, 0x7fff, v5
	v_cndmask_b32_e32 v5, 0xffff8000, v5, vcc_lo
	s_delay_alu instid0(VALU_DEP_1) | instskip(NEXT) | instid1(VALU_DEP_1)
	v_and_b32_e32 v5, 0xffff, v5
	v_lshrrev_b32_e32 v5, s49, v5
	s_delay_alu instid0(VALU_DEP_1) | instskip(NEXT) | instid1(VALU_DEP_1)
	v_and_b32_e32 v5, s55, v5
	v_lshl_or_b32 v5, v5, 4, v4
	ds_add_u32 v5, v94
	s_or_b32 exec_lo, exec_lo, s0
	s_delay_alu instid0(SALU_CYCLE_1)
	s_mov_b32 s0, exec_lo
	v_cmpx_lt_u32_e64 v46, v21
	s_cbranch_execnz .LBB1850_927
.LBB1850_942:                           ;   in Loop: Header=BB1850_900 Depth=2
	s_or_b32 exec_lo, exec_lo, s0
	s_delay_alu instid0(SALU_CYCLE_1)
	s_mov_b32 s0, exec_lo
	v_cmpx_lt_u32_e64 v47, v21
	s_cbranch_execz .LBB1850_928
.LBB1850_943:                           ;   in Loop: Header=BB1850_900 Depth=2
	v_cmp_lt_i16_e32 vcc_lo, -1, v16
	v_cndmask_b32_e64 v5, -1, 0xffff8000, vcc_lo
	s_delay_alu instid0(VALU_DEP_1) | instskip(NEXT) | instid1(VALU_DEP_1)
	v_xor_b32_e32 v5, v5, v16
	v_cmp_ne_u16_e32 vcc_lo, 0x7fff, v5
	v_cndmask_b32_e32 v5, 0xffff8000, v5, vcc_lo
	s_delay_alu instid0(VALU_DEP_1) | instskip(NEXT) | instid1(VALU_DEP_1)
	v_and_b32_e32 v5, 0xffff, v5
	v_lshrrev_b32_e32 v5, s49, v5
	s_delay_alu instid0(VALU_DEP_1) | instskip(NEXT) | instid1(VALU_DEP_1)
	v_and_b32_e32 v5, s55, v5
	v_lshl_or_b32 v5, v5, 4, v4
	ds_add_u32 v5, v94
	s_or_b32 exec_lo, exec_lo, s0
	s_delay_alu instid0(SALU_CYCLE_1)
	s_mov_b32 s0, exec_lo
	v_cmpx_lt_u32_e64 v51, v21
	s_cbranch_execnz .LBB1850_929
.LBB1850_944:                           ;   in Loop: Header=BB1850_900 Depth=2
	s_or_b32 exec_lo, exec_lo, s0
	s_delay_alu instid0(SALU_CYCLE_1)
	s_mov_b32 s0, exec_lo
	v_cmpx_lt_u32_e64 v52, v21
	s_cbranch_execz .LBB1850_930
.LBB1850_945:                           ;   in Loop: Header=BB1850_900 Depth=2
	v_cmp_lt_i16_e32 vcc_lo, -1, v14
	v_cndmask_b32_e64 v5, -1, 0xffff8000, vcc_lo
	s_delay_alu instid0(VALU_DEP_1) | instskip(NEXT) | instid1(VALU_DEP_1)
	v_xor_b32_e32 v5, v5, v14
	v_cmp_ne_u16_e32 vcc_lo, 0x7fff, v5
	v_cndmask_b32_e32 v5, 0xffff8000, v5, vcc_lo
	s_delay_alu instid0(VALU_DEP_1) | instskip(NEXT) | instid1(VALU_DEP_1)
	v_and_b32_e32 v5, 0xffff, v5
	v_lshrrev_b32_e32 v5, s49, v5
	s_delay_alu instid0(VALU_DEP_1) | instskip(NEXT) | instid1(VALU_DEP_1)
	v_and_b32_e32 v5, s55, v5
	v_lshl_or_b32 v5, v5, 4, v4
	ds_add_u32 v5, v94
	s_or_b32 exec_lo, exec_lo, s0
	s_delay_alu instid0(SALU_CYCLE_1)
	s_mov_b32 s0, exec_lo
	v_cmpx_lt_u32_e64 v53, v21
	s_cbranch_execnz .LBB1850_931
.LBB1850_946:                           ;   in Loop: Header=BB1850_900 Depth=2
	s_or_b32 exec_lo, exec_lo, s0
	s_delay_alu instid0(SALU_CYCLE_1)
	s_mov_b32 s0, exec_lo
	v_cmpx_lt_u32_e64 v54, v21
	s_cbranch_execz .LBB1850_932
.LBB1850_947:                           ;   in Loop: Header=BB1850_900 Depth=2
	v_cmp_lt_i16_e32 vcc_lo, -1, v12
	v_cndmask_b32_e64 v5, -1, 0xffff8000, vcc_lo
	s_delay_alu instid0(VALU_DEP_1) | instskip(NEXT) | instid1(VALU_DEP_1)
	v_xor_b32_e32 v5, v5, v12
	v_cmp_ne_u16_e32 vcc_lo, 0x7fff, v5
	v_cndmask_b32_e32 v5, 0xffff8000, v5, vcc_lo
	s_delay_alu instid0(VALU_DEP_1) | instskip(NEXT) | instid1(VALU_DEP_1)
	v_and_b32_e32 v5, 0xffff, v5
	v_lshrrev_b32_e32 v5, s49, v5
	s_delay_alu instid0(VALU_DEP_1) | instskip(NEXT) | instid1(VALU_DEP_1)
	v_and_b32_e32 v5, s55, v5
	v_lshl_or_b32 v5, v5, 4, v4
	ds_add_u32 v5, v94
	s_or_b32 exec_lo, exec_lo, s0
	s_delay_alu instid0(SALU_CYCLE_1)
	s_mov_b32 s0, exec_lo
	v_cmpx_lt_u32_e64 v55, v21
	s_cbranch_execnz .LBB1850_933
.LBB1850_948:                           ;   in Loop: Header=BB1850_900 Depth=2
	s_or_b32 exec_lo, exec_lo, s0
	s_delay_alu instid0(SALU_CYCLE_1)
	s_mov_b32 s0, exec_lo
	v_cmpx_lt_u32_e64 v56, v21
	s_cbranch_execz .LBB1850_934
.LBB1850_949:                           ;   in Loop: Header=BB1850_900 Depth=2
	v_cmp_lt_i16_e32 vcc_lo, -1, v10
	v_cndmask_b32_e64 v5, -1, 0xffff8000, vcc_lo
	s_delay_alu instid0(VALU_DEP_1) | instskip(NEXT) | instid1(VALU_DEP_1)
	v_xor_b32_e32 v5, v5, v10
	v_cmp_ne_u16_e32 vcc_lo, 0x7fff, v5
	v_cndmask_b32_e32 v5, 0xffff8000, v5, vcc_lo
	s_delay_alu instid0(VALU_DEP_1) | instskip(NEXT) | instid1(VALU_DEP_1)
	v_and_b32_e32 v5, 0xffff, v5
	v_lshrrev_b32_e32 v5, s49, v5
	s_delay_alu instid0(VALU_DEP_1) | instskip(NEXT) | instid1(VALU_DEP_1)
	v_and_b32_e32 v5, s55, v5
	v_lshl_or_b32 v5, v5, 4, v4
	ds_add_u32 v5, v94
	s_or_b32 exec_lo, exec_lo, s0
	s_delay_alu instid0(SALU_CYCLE_1)
	s_mov_b32 s0, exec_lo
	v_cmpx_lt_u32_e64 v57, v21
	s_cbranch_execnz .LBB1850_935
.LBB1850_950:                           ;   in Loop: Header=BB1850_900 Depth=2
	s_or_b32 exec_lo, exec_lo, s0
	s_delay_alu instid0(SALU_CYCLE_1)
	s_mov_b32 s0, exec_lo
	v_cmpx_lt_u32_e64 v58, v21
	s_cbranch_execz .LBB1850_936
.LBB1850_951:                           ;   in Loop: Header=BB1850_900 Depth=2
	v_cmp_lt_i16_e32 vcc_lo, -1, v8
	v_cndmask_b32_e64 v5, -1, 0xffff8000, vcc_lo
	s_delay_alu instid0(VALU_DEP_1) | instskip(NEXT) | instid1(VALU_DEP_1)
	v_xor_b32_e32 v5, v5, v8
	v_cmp_ne_u16_e32 vcc_lo, 0x7fff, v5
	v_cndmask_b32_e32 v5, 0xffff8000, v5, vcc_lo
	s_delay_alu instid0(VALU_DEP_1) | instskip(NEXT) | instid1(VALU_DEP_1)
	v_and_b32_e32 v5, 0xffff, v5
	v_lshrrev_b32_e32 v5, s49, v5
	s_delay_alu instid0(VALU_DEP_1) | instskip(NEXT) | instid1(VALU_DEP_1)
	v_and_b32_e32 v5, s55, v5
	v_lshl_or_b32 v5, v5, 4, v4
	ds_add_u32 v5, v94
	s_or_b32 exec_lo, exec_lo, s0
	s_delay_alu instid0(SALU_CYCLE_1)
	s_mov_b32 s0, exec_lo
	v_cmpx_lt_u32_e64 v59, v21
	s_cbranch_execnz .LBB1850_937
.LBB1850_952:                           ;   in Loop: Header=BB1850_900 Depth=2
	s_or_b32 exec_lo, exec_lo, s0
	s_delay_alu instid0(SALU_CYCLE_1)
	s_mov_b32 s0, exec_lo
	v_cmpx_lt_u32_e64 v60, v21
	s_cbranch_execz .LBB1850_938
.LBB1850_953:                           ;   in Loop: Header=BB1850_900 Depth=2
	v_cmp_lt_i16_e32 vcc_lo, -1, v6
	v_cndmask_b32_e64 v5, -1, 0xffff8000, vcc_lo
	s_delay_alu instid0(VALU_DEP_1) | instskip(NEXT) | instid1(VALU_DEP_1)
	v_xor_b32_e32 v5, v5, v6
	v_cmp_ne_u16_e32 vcc_lo, 0x7fff, v5
	v_cndmask_b32_e32 v5, 0xffff8000, v5, vcc_lo
	s_delay_alu instid0(VALU_DEP_1) | instskip(NEXT) | instid1(VALU_DEP_1)
	v_and_b32_e32 v5, 0xffff, v5
	v_lshrrev_b32_e32 v5, s49, v5
	s_delay_alu instid0(VALU_DEP_1) | instskip(NEXT) | instid1(VALU_DEP_1)
	v_and_b32_e32 v5, s55, v5
	v_lshl_or_b32 v5, v5, 4, v4
	ds_add_u32 v5, v94
	s_or_b32 exec_lo, exec_lo, s0
	s_delay_alu instid0(SALU_CYCLE_1)
	s_mov_b32 s0, exec_lo
	v_cmpx_lt_u32_e64 v61, v21
	s_cbranch_execnz .LBB1850_939
.LBB1850_954:                           ;   in Loop: Header=BB1850_900 Depth=2
	s_or_b32 exec_lo, exec_lo, s0
	s_delay_alu instid0(SALU_CYCLE_1)
	s_mov_b32 s0, exec_lo
	v_cmpx_lt_u32_e64 v63, v21
	s_cbranch_execz .LBB1850_899
.LBB1850_955:                           ;   in Loop: Header=BB1850_900 Depth=2
	s_waitcnt vmcnt(0)
	v_cmp_lt_i16_e32 vcc_lo, -1, v20
	v_cndmask_b32_e64 v5, -1, 0xffff8000, vcc_lo
	s_delay_alu instid0(VALU_DEP_1) | instskip(NEXT) | instid1(VALU_DEP_1)
	v_xor_b32_e32 v5, v5, v20
	v_cmp_ne_u16_e32 vcc_lo, 0x7fff, v5
	v_cndmask_b32_e32 v5, 0xffff8000, v5, vcc_lo
	s_delay_alu instid0(VALU_DEP_1) | instskip(NEXT) | instid1(VALU_DEP_1)
	v_and_b32_e32 v5, 0xffff, v5
	v_lshrrev_b32_e32 v5, s49, v5
	s_delay_alu instid0(VALU_DEP_1) | instskip(NEXT) | instid1(VALU_DEP_1)
	v_and_b32_e32 v5, s55, v5
	v_lshl_or_b32 v4, v5, 4, v4
	ds_add_u32 v4, v94
	s_branch .LBB1850_899
.LBB1850_956:                           ;   in Loop: Header=BB1850_900 Depth=2
	s_or_b32 exec_lo, exec_lo, s11
	s_delay_alu instid0(SALU_CYCLE_1)
	s_mov_b32 s11, exec_lo
	v_cmpx_gt_u32_e64 s8, v45
	s_cbranch_execz .LBB1850_906
.LBB1850_957:                           ;   in Loop: Header=BB1850_900 Depth=2
	global_load_u16 v18, v95, s[0:1] offset:512
	s_or_b32 exec_lo, exec_lo, s11
	s_delay_alu instid0(SALU_CYCLE_1)
	s_mov_b32 s11, exec_lo
	v_cmpx_gt_u32_e64 s8, v46
	s_cbranch_execnz .LBB1850_907
.LBB1850_958:                           ;   in Loop: Header=BB1850_900 Depth=2
	s_or_b32 exec_lo, exec_lo, s11
	s_delay_alu instid0(SALU_CYCLE_1)
	s_mov_b32 s11, exec_lo
	v_cmpx_gt_u32_e64 s8, v47
	s_cbranch_execz .LBB1850_908
.LBB1850_959:                           ;   in Loop: Header=BB1850_900 Depth=2
	global_load_u16 v16, v95, s[0:1] offset:1536
	s_or_b32 exec_lo, exec_lo, s11
	s_delay_alu instid0(SALU_CYCLE_1)
	s_mov_b32 s11, exec_lo
	v_cmpx_gt_u32_e64 s8, v51
	s_cbranch_execnz .LBB1850_909
.LBB1850_960:                           ;   in Loop: Header=BB1850_900 Depth=2
	s_or_b32 exec_lo, exec_lo, s11
	s_delay_alu instid0(SALU_CYCLE_1)
	s_mov_b32 s11, exec_lo
	v_cmpx_gt_u32_e64 s8, v52
	s_cbranch_execz .LBB1850_910
.LBB1850_961:                           ;   in Loop: Header=BB1850_900 Depth=2
	global_load_u16 v14, v95, s[0:1] offset:2560
	s_or_b32 exec_lo, exec_lo, s11
	s_delay_alu instid0(SALU_CYCLE_1)
	s_mov_b32 s11, exec_lo
	v_cmpx_gt_u32_e64 s8, v53
	s_cbranch_execnz .LBB1850_911
.LBB1850_962:                           ;   in Loop: Header=BB1850_900 Depth=2
	s_or_b32 exec_lo, exec_lo, s11
	s_delay_alu instid0(SALU_CYCLE_1)
	s_mov_b32 s11, exec_lo
	v_cmpx_gt_u32_e64 s8, v54
	s_cbranch_execz .LBB1850_912
.LBB1850_963:                           ;   in Loop: Header=BB1850_900 Depth=2
	global_load_u16 v12, v95, s[0:1] offset:3584
	s_or_b32 exec_lo, exec_lo, s11
	s_delay_alu instid0(SALU_CYCLE_1)
	s_mov_b32 s11, exec_lo
	v_cmpx_gt_u32_e64 s8, v55
	s_cbranch_execnz .LBB1850_913
.LBB1850_964:                           ;   in Loop: Header=BB1850_900 Depth=2
	s_or_b32 exec_lo, exec_lo, s11
	s_delay_alu instid0(SALU_CYCLE_1)
	s_mov_b32 s11, exec_lo
	v_cmpx_gt_u32_e64 s8, v56
	s_cbranch_execz .LBB1850_914
.LBB1850_965:                           ;   in Loop: Header=BB1850_900 Depth=2
	global_load_u16 v10, v97, s[0:1]
	s_or_b32 exec_lo, exec_lo, s11
	s_delay_alu instid0(SALU_CYCLE_1)
	s_mov_b32 s11, exec_lo
	v_cmpx_gt_u32_e64 s8, v57
	s_cbranch_execnz .LBB1850_915
.LBB1850_966:                           ;   in Loop: Header=BB1850_900 Depth=2
	s_or_b32 exec_lo, exec_lo, s11
	s_delay_alu instid0(SALU_CYCLE_1)
	s_mov_b32 s11, exec_lo
	v_cmpx_gt_u32_e64 s8, v58
	s_cbranch_execz .LBB1850_916
.LBB1850_967:                           ;   in Loop: Header=BB1850_900 Depth=2
	global_load_u16 v8, v99, s[0:1]
	s_or_b32 exec_lo, exec_lo, s11
	s_delay_alu instid0(SALU_CYCLE_1)
	s_mov_b32 s11, exec_lo
	v_cmpx_gt_u32_e64 s8, v59
	s_cbranch_execnz .LBB1850_917
.LBB1850_968:                           ;   in Loop: Header=BB1850_900 Depth=2
	s_or_b32 exec_lo, exec_lo, s11
	s_delay_alu instid0(SALU_CYCLE_1)
	s_mov_b32 s11, exec_lo
	v_cmpx_gt_u32_e64 s8, v60
	s_cbranch_execz .LBB1850_918
.LBB1850_969:                           ;   in Loop: Header=BB1850_900 Depth=2
	global_load_u16 v6, v101, s[0:1]
	s_or_b32 exec_lo, exec_lo, s11
	s_delay_alu instid0(SALU_CYCLE_1)
	s_mov_b32 s11, exec_lo
	v_cmpx_gt_u32_e64 s8, v61
	s_cbranch_execz .LBB1850_920
	s_branch .LBB1850_919
.LBB1850_970:                           ;   in Loop: Header=BB1850_12 Depth=1
	v_mov_b32_e32 v2, 0
	s_waitcnt vmcnt(0) lgkmcnt(0)
	s_barrier
	buffer_gl0_inv
	s_and_saveexec_b32 s0, s2
	s_cbranch_execz .LBB1850_972
; %bb.971:                              ;   in Loop: Header=BB1850_12 Depth=1
	ds_load_2addr_b64 v[4:7], v64 offset1:1
	s_waitcnt lgkmcnt(0)
	v_add_nc_u32_e32 v2, v5, v4
	s_delay_alu instid0(VALU_DEP_1)
	v_add3_u32 v2, v2, v6, v7
.LBB1850_972:                           ;   in Loop: Header=BB1850_12 Depth=1
	s_or_b32 exec_lo, exec_lo, s0
	v_and_b32_e32 v4, 15, v104
	s_delay_alu instid0(VALU_DEP_2) | instskip(SKIP_1) | instid1(VALU_DEP_3)
	v_mov_b32_dpp v5, v2 row_shr:1 row_mask:0xf bank_mask:0xf
	v_and_b32_e32 v6, 16, v104
	v_cmp_eq_u32_e64 s0, 0, v4
	v_cmp_lt_u32_e64 s1, 1, v4
	v_cmp_lt_u32_e64 s8, 3, v4
	;; [unrolled: 1-line block ×3, first 2 shown]
	v_cmp_eq_u32_e64 s10, 0, v6
	v_cndmask_b32_e64 v5, v5, 0, s0
	s_delay_alu instid0(VALU_DEP_1) | instskip(NEXT) | instid1(VALU_DEP_1)
	v_add_nc_u32_e32 v2, v5, v2
	v_mov_b32_dpp v5, v2 row_shr:2 row_mask:0xf bank_mask:0xf
	s_delay_alu instid0(VALU_DEP_1) | instskip(NEXT) | instid1(VALU_DEP_1)
	v_cndmask_b32_e64 v5, 0, v5, s1
	v_add_nc_u32_e32 v2, v2, v5
	s_delay_alu instid0(VALU_DEP_1) | instskip(NEXT) | instid1(VALU_DEP_1)
	v_mov_b32_dpp v5, v2 row_shr:4 row_mask:0xf bank_mask:0xf
	v_cndmask_b32_e64 v5, 0, v5, s8
	s_delay_alu instid0(VALU_DEP_1) | instskip(NEXT) | instid1(VALU_DEP_1)
	v_add_nc_u32_e32 v2, v2, v5
	v_mov_b32_dpp v5, v2 row_shr:8 row_mask:0xf bank_mask:0xf
	s_delay_alu instid0(VALU_DEP_1) | instskip(SKIP_1) | instid1(VALU_DEP_2)
	v_cndmask_b32_e64 v4, 0, v5, s9
	v_bfe_i32 v5, v104, 4, 1
	v_add_nc_u32_e32 v2, v2, v4
	ds_swizzle_b32 v4, v2 offset:swizzle(BROADCAST,32,15)
	s_waitcnt lgkmcnt(0)
	v_and_b32_e32 v4, v5, v4
	s_delay_alu instid0(VALU_DEP_1)
	v_add_nc_u32_e32 v4, v2, v4
	s_and_saveexec_b32 s11, s3
	s_cbranch_execz .LBB1850_974
; %bb.973:                              ;   in Loop: Header=BB1850_12 Depth=1
	ds_store_b32 v65, v4
.LBB1850_974:                           ;   in Loop: Header=BB1850_12 Depth=1
	s_or_b32 exec_lo, exec_lo, s11
	v_and_b32_e32 v2, 7, v104
	s_waitcnt lgkmcnt(0)
	s_barrier
	buffer_gl0_inv
	s_and_saveexec_b32 s11, s4
	s_cbranch_execz .LBB1850_976
; %bb.975:                              ;   in Loop: Header=BB1850_12 Depth=1
	ds_load_b32 v5, v66
	v_cmp_ne_u32_e32 vcc_lo, 0, v2
	s_waitcnt lgkmcnt(0)
	v_mov_b32_dpp v6, v5 row_shr:1 row_mask:0xf bank_mask:0xf
	s_delay_alu instid0(VALU_DEP_1) | instskip(SKIP_1) | instid1(VALU_DEP_2)
	v_cndmask_b32_e32 v6, 0, v6, vcc_lo
	v_cmp_lt_u32_e32 vcc_lo, 1, v2
	v_add_nc_u32_e32 v5, v6, v5
	s_delay_alu instid0(VALU_DEP_1) | instskip(NEXT) | instid1(VALU_DEP_1)
	v_mov_b32_dpp v6, v5 row_shr:2 row_mask:0xf bank_mask:0xf
	v_cndmask_b32_e32 v6, 0, v6, vcc_lo
	v_cmp_lt_u32_e32 vcc_lo, 3, v2
	s_delay_alu instid0(VALU_DEP_2) | instskip(NEXT) | instid1(VALU_DEP_1)
	v_add_nc_u32_e32 v5, v5, v6
	v_mov_b32_dpp v6, v5 row_shr:4 row_mask:0xf bank_mask:0xf
	s_delay_alu instid0(VALU_DEP_1) | instskip(NEXT) | instid1(VALU_DEP_1)
	v_cndmask_b32_e32 v6, 0, v6, vcc_lo
	v_add_nc_u32_e32 v5, v5, v6
	ds_store_b32 v66, v5
.LBB1850_976:                           ;   in Loop: Header=BB1850_12 Depth=1
	s_or_b32 exec_lo, exec_lo, s11
	v_mov_b32_e32 v5, 0
	s_waitcnt lgkmcnt(0)
	s_barrier
	buffer_gl0_inv
	s_and_saveexec_b32 s11, s5
	s_cbranch_execz .LBB1850_978
; %bb.977:                              ;   in Loop: Header=BB1850_12 Depth=1
	ds_load_b32 v5, v67
.LBB1850_978:                           ;   in Loop: Header=BB1850_12 Depth=1
	s_or_b32 exec_lo, exec_lo, s11
	v_add_nc_u32_e32 v6, -1, v104
	s_waitcnt lgkmcnt(0)
	v_add_nc_u32_e32 v4, v5, v4
	v_cmp_eq_u32_e64 s11, 0, v104
	s_barrier
	v_cmp_gt_i32_e32 vcc_lo, 0, v6
	buffer_gl0_inv
	v_cndmask_b32_e32 v6, v6, v104, vcc_lo
	s_delay_alu instid0(VALU_DEP_1)
	v_lshlrev_b32_e32 v105, 2, v6
	ds_bpermute_b32 v4, v105, v4
	s_and_saveexec_b32 s12, s2
	s_cbranch_execz .LBB1850_980
; %bb.979:                              ;   in Loop: Header=BB1850_12 Depth=1
	s_waitcnt lgkmcnt(0)
	v_cndmask_b32_e64 v4, v4, v5, s11
	s_delay_alu instid0(VALU_DEP_1)
	v_add_nc_u32_e32 v4, s52, v4
	ds_store_b32 v44, v4
.LBB1850_980:                           ;   in Loop: Header=BB1850_12 Depth=1
	s_or_b32 exec_lo, exec_lo, s12
	s_load_b64 s[12:13], s[42:43], 0x0
	v_lshlrev_b32_e32 v5, 3, v104
	v_cmp_lt_u32_e64 s14, 3, v2
	v_or_b32_e32 v106, v104, v68
	s_mov_b32 s56, s54
	s_mov_b32 s34, s52
	v_add_co_u32 v107, vcc_lo, v90, v5
	v_add_co_ci_u32_e32 v108, vcc_lo, 0, v91, vcc_lo
	v_or_b32_e32 v109, 32, v106
	v_or_b32_e32 v110, 64, v106
	;; [unrolled: 1-line block ×10, first 2 shown]
	s_waitcnt lgkmcnt(0)
	s_cmp_lt_u32 s15, s13
	v_or_b32_e32 v119, 0x160, v106
	s_cselect_b32 s13, 14, 20
	v_or_b32_e32 v120, 0x180, v106
	s_add_u32 s16, s42, s13
	s_addc_u32 s17, s43, 0
	s_cmp_lt_u32 s26, s12
	global_load_u16 v4, v3, s[16:17]
	s_cselect_b32 s12, 12, 18
	v_or_b32_e32 v121, 0x1a0, v106
	s_add_u32 s12, s42, s12
	s_addc_u32 s13, s43, 0
	v_or_b32_e32 v122, 0x1c0, v106
	global_load_u16 v6, v3, s[12:13]
	v_cmp_eq_u32_e64 s12, 0, v2
	v_cmp_lt_u32_e64 s13, 1, v2
	v_lshlrev_b32_e32 v2, 1, v104
	v_or_b32_e32 v123, 0x1e0, v106
                                        ; implicit-def: $vgpr8_vgpr9
                                        ; implicit-def: $vgpr10_vgpr11
                                        ; implicit-def: $vgpr12_vgpr13
                                        ; implicit-def: $vgpr14_vgpr15
                                        ; implicit-def: $vgpr16_vgpr17
                                        ; implicit-def: $vgpr18_vgpr19
                                        ; implicit-def: $vgpr20_vgpr21
                                        ; implicit-def: $vgpr22_vgpr23
                                        ; implicit-def: $vgpr24_vgpr25
                                        ; implicit-def: $vgpr26_vgpr27
                                        ; implicit-def: $vgpr28_vgpr29
                                        ; implicit-def: $vgpr30_vgpr31
                                        ; implicit-def: $vgpr32_vgpr33
                                        ; implicit-def: $vgpr34_vgpr35
                                        ; implicit-def: $vgpr129
                                        ; implicit-def: $vgpr130
                                        ; implicit-def: $vgpr131
                                        ; implicit-def: $vgpr132
                                        ; implicit-def: $vgpr133
                                        ; implicit-def: $vgpr134
                                        ; implicit-def: $vgpr135
                                        ; implicit-def: $vgpr136
                                        ; implicit-def: $vgpr137
                                        ; implicit-def: $vgpr138
                                        ; implicit-def: $vgpr139
                                        ; implicit-def: $vgpr140
                                        ; implicit-def: $vgpr141
                                        ; implicit-def: $vgpr142
                                        ; implicit-def: $vgpr143
                                        ; implicit-def: $vgpr144
	s_delay_alu instid0(VALU_DEP_2) | instskip(SKIP_1) | instid1(VALU_DEP_2)
	v_add_co_u32 v124, vcc_lo, v92, v2
	v_add_co_ci_u32_e32 v125, vcc_lo, 0, v93, vcc_lo
	v_add_co_u32 v127, vcc_lo, 0x3c0, v124
	s_delay_alu instid0(VALU_DEP_2) | instskip(SKIP_3) | instid1(VALU_DEP_1)
	v_add_co_ci_u32_e32 v128, vcc_lo, 0, v125, vcc_lo
	s_waitcnt vmcnt(1)
	v_mad_u32_u24 v7, v70, v4, v0
	s_waitcnt vmcnt(0)
	v_mad_u64_u32 v[4:5], null, v7, v6, v[1:2]
                                        ; implicit-def: $vgpr6_vgpr7
	s_delay_alu instid0(VALU_DEP_1)
	v_lshrrev_b32_e32 v126, 5, v4
                                        ; implicit-def: $vgpr4_vgpr5
	s_branch .LBB1850_982
.LBB1850_981:                           ;   in Loop: Header=BB1850_982 Depth=2
	s_or_b32 exec_lo, exec_lo, s16
	s_addk_i32 s56, 0xf000
	s_cmp_lt_u32 s57, s53
	s_mov_b32 s34, s57
	s_cbranch_scc0 .LBB1850_10
.LBB1850_982:                           ;   Parent Loop BB1850_12 Depth=1
                                        ; =>  This Inner Loop Header: Depth=2
	s_add_i32 s57, s34, 0x1000
	s_delay_alu instid0(SALU_CYCLE_1)
	s_cmp_gt_u32 s57, s53
	s_cbranch_scc1 .LBB1850_985
; %bb.983:                              ;   in Loop: Header=BB1850_982 Depth=2
	s_mov_b32 s17, 0
	s_mov_b32 s16, s34
	s_delay_alu instid0(SALU_CYCLE_1) | instskip(NEXT) | instid1(SALU_CYCLE_1)
	s_lshl_b64 s[18:19], s[16:17], 1
	v_add_co_u32 v36, vcc_lo, v124, s18
	v_add_co_ci_u32_e32 v37, vcc_lo, s19, v125, vcc_lo
	s_mov_b32 s19, -1
	s_movk_i32 s18, 0x1000
	s_clause 0xe
	global_load_u16 v2, v[36:37], off
	global_load_u16 v147, v[36:37], off offset:64
	global_load_u16 v149, v[36:37], off offset:128
	;; [unrolled: 1-line block ×14, first 2 shown]
	s_cbranch_execz .LBB1850_986
; %bb.984:                              ;   in Loop: Header=BB1850_982 Depth=2
                                        ; implicit-def: $sgpr20
	v_dual_mov_b32 v36, s20 :: v_dual_mov_b32 v145, s56
	s_and_saveexec_b32 s20, s19
	s_cbranch_execnz .LBB1850_1017
	s_branch .LBB1850_1018
.LBB1850_985:                           ;   in Loop: Header=BB1850_982 Depth=2
	s_mov_b32 s17, -1
	s_mov_b32 s19, 0
                                        ; implicit-def: $sgpr18
                                        ; implicit-def: $vgpr2
                                        ; implicit-def: $vgpr147
                                        ; implicit-def: $vgpr149
                                        ; implicit-def: $vgpr153
                                        ; implicit-def: $vgpr157
                                        ; implicit-def: $vgpr161
                                        ; implicit-def: $vgpr165
                                        ; implicit-def: $vgpr170
                                        ; implicit-def: $vgpr169
                                        ; implicit-def: $vgpr43
                                        ; implicit-def: $vgpr42
                                        ; implicit-def: $vgpr41
                                        ; implicit-def: $vgpr40
                                        ; implicit-def: $vgpr39
                                        ; implicit-def: $vgpr38
.LBB1850_986:                           ;   in Loop: Header=BB1850_982 Depth=2
	s_lshl_b64 s[16:17], s[34:35], 1
	s_waitcnt vmcnt(13)
	v_dual_mov_b32 v147, 0x7fff :: v_dual_mov_b32 v2, 0x7fff
	v_add_co_u32 v36, vcc_lo, v124, s16
	v_add_co_ci_u32_e32 v37, vcc_lo, s17, v125, vcc_lo
	s_mov_b32 s16, exec_lo
	v_cmpx_gt_u32_e64 s56, v106
	s_cbranch_execz .LBB1850_988
; %bb.987:                              ;   in Loop: Header=BB1850_982 Depth=2
	global_load_u16 v2, v[36:37], off
.LBB1850_988:                           ;   in Loop: Header=BB1850_982 Depth=2
	s_or_b32 exec_lo, exec_lo, s16
	s_delay_alu instid0(SALU_CYCLE_1)
	s_mov_b32 s16, exec_lo
	v_cmpx_gt_u32_e64 s56, v109
	s_cbranch_execz .LBB1850_990
; %bb.989:                              ;   in Loop: Header=BB1850_982 Depth=2
	global_load_u16 v147, v[36:37], off offset:64
.LBB1850_990:                           ;   in Loop: Header=BB1850_982 Depth=2
	s_or_b32 exec_lo, exec_lo, s16
	s_waitcnt vmcnt(11)
	v_mov_b32_e32 v153, 0x7fff
	v_mov_b32_e32 v149, 0x7fff
	s_mov_b32 s16, exec_lo
	v_cmpx_gt_u32_e64 s56, v110
	s_cbranch_execz .LBB1850_992
; %bb.991:                              ;   in Loop: Header=BB1850_982 Depth=2
	global_load_u16 v149, v[36:37], off offset:128
.LBB1850_992:                           ;   in Loop: Header=BB1850_982 Depth=2
	s_or_b32 exec_lo, exec_lo, s16
	s_delay_alu instid0(SALU_CYCLE_1)
	s_mov_b32 s16, exec_lo
	v_cmpx_gt_u32_e64 s56, v111
	s_cbranch_execz .LBB1850_994
; %bb.993:                              ;   in Loop: Header=BB1850_982 Depth=2
	global_load_u16 v153, v[36:37], off offset:192
.LBB1850_994:                           ;   in Loop: Header=BB1850_982 Depth=2
	s_or_b32 exec_lo, exec_lo, s16
	s_waitcnt vmcnt(9)
	v_mov_b32_e32 v161, 0x7fff
	v_mov_b32_e32 v157, 0x7fff
	s_mov_b32 s16, exec_lo
	v_cmpx_gt_u32_e64 s56, v112
	s_cbranch_execz .LBB1850_996
; %bb.995:                              ;   in Loop: Header=BB1850_982 Depth=2
	global_load_u16 v157, v[36:37], off offset:256
.LBB1850_996:                           ;   in Loop: Header=BB1850_982 Depth=2
	s_or_b32 exec_lo, exec_lo, s16
	s_delay_alu instid0(SALU_CYCLE_1)
	s_mov_b32 s16, exec_lo
	v_cmpx_gt_u32_e64 s56, v113
	s_cbranch_execz .LBB1850_998
; %bb.997:                              ;   in Loop: Header=BB1850_982 Depth=2
	global_load_u16 v161, v[36:37], off offset:320
.LBB1850_998:                           ;   in Loop: Header=BB1850_982 Depth=2
	s_or_b32 exec_lo, exec_lo, s16
	s_waitcnt vmcnt(7)
	v_dual_mov_b32 v170, 0x7fff :: v_dual_mov_b32 v165, 0x7fff
	s_mov_b32 s16, exec_lo
	v_cmpx_gt_u32_e64 s56, v114
	s_cbranch_execz .LBB1850_1000
; %bb.999:                              ;   in Loop: Header=BB1850_982 Depth=2
	global_load_u16 v165, v[36:37], off offset:384
.LBB1850_1000:                          ;   in Loop: Header=BB1850_982 Depth=2
	s_or_b32 exec_lo, exec_lo, s16
	s_delay_alu instid0(SALU_CYCLE_1)
	s_mov_b32 s16, exec_lo
	v_cmpx_gt_u32_e64 s56, v115
	s_cbranch_execz .LBB1850_1002
; %bb.1001:                             ;   in Loop: Header=BB1850_982 Depth=2
	global_load_u16 v170, v[36:37], off offset:448
.LBB1850_1002:                          ;   in Loop: Header=BB1850_982 Depth=2
	s_or_b32 exec_lo, exec_lo, s16
	s_waitcnt vmcnt(5)
	v_mov_b32_e32 v43, 0x7fff
	v_mov_b32_e32 v169, 0x7fff
	s_mov_b32 s16, exec_lo
	v_cmpx_gt_u32_e64 s56, v116
	s_cbranch_execz .LBB1850_1004
; %bb.1003:                             ;   in Loop: Header=BB1850_982 Depth=2
	global_load_u16 v169, v[36:37], off offset:512
.LBB1850_1004:                          ;   in Loop: Header=BB1850_982 Depth=2
	s_or_b32 exec_lo, exec_lo, s16
	s_delay_alu instid0(SALU_CYCLE_1)
	s_mov_b32 s16, exec_lo
	v_cmpx_gt_u32_e64 s56, v117
	s_cbranch_execz .LBB1850_1006
; %bb.1005:                             ;   in Loop: Header=BB1850_982 Depth=2
	global_load_u16 v43, v[36:37], off offset:576
.LBB1850_1006:                          ;   in Loop: Header=BB1850_982 Depth=2
	s_or_b32 exec_lo, exec_lo, s16
	s_waitcnt vmcnt(3)
	v_dual_mov_b32 v41, 0x7fff :: v_dual_mov_b32 v42, 0x7fff
	s_mov_b32 s16, exec_lo
	v_cmpx_gt_u32_e64 s56, v118
	s_cbranch_execz .LBB1850_1008
; %bb.1007:                             ;   in Loop: Header=BB1850_982 Depth=2
	global_load_u16 v42, v[36:37], off offset:640
.LBB1850_1008:                          ;   in Loop: Header=BB1850_982 Depth=2
	s_or_b32 exec_lo, exec_lo, s16
	s_delay_alu instid0(SALU_CYCLE_1)
	s_mov_b32 s16, exec_lo
	v_cmpx_gt_u32_e64 s56, v119
	s_cbranch_execz .LBB1850_1010
; %bb.1009:                             ;   in Loop: Header=BB1850_982 Depth=2
	global_load_u16 v41, v[36:37], off offset:704
.LBB1850_1010:                          ;   in Loop: Header=BB1850_982 Depth=2
	s_or_b32 exec_lo, exec_lo, s16
	s_waitcnt vmcnt(1)
	v_dual_mov_b32 v39, 0x7fff :: v_dual_mov_b32 v40, 0x7fff
	s_mov_b32 s16, exec_lo
	v_cmpx_gt_u32_e64 s56, v120
	s_cbranch_execz .LBB1850_1012
; %bb.1011:                             ;   in Loop: Header=BB1850_982 Depth=2
	global_load_u16 v40, v[36:37], off offset:768
.LBB1850_1012:                          ;   in Loop: Header=BB1850_982 Depth=2
	s_or_b32 exec_lo, exec_lo, s16
	s_delay_alu instid0(SALU_CYCLE_1)
	s_mov_b32 s16, exec_lo
	v_cmpx_gt_u32_e64 s56, v121
	s_cbranch_execz .LBB1850_1014
; %bb.1013:                             ;   in Loop: Header=BB1850_982 Depth=2
	global_load_u16 v39, v[36:37], off offset:832
.LBB1850_1014:                          ;   in Loop: Header=BB1850_982 Depth=2
	s_or_b32 exec_lo, exec_lo, s16
	s_waitcnt vmcnt(0)
	v_mov_b32_e32 v38, 0x7fff
	s_mov_b32 s16, exec_lo
	v_cmpx_gt_u32_e64 s56, v122
	s_cbranch_execz .LBB1850_1016
; %bb.1015:                             ;   in Loop: Header=BB1850_982 Depth=2
	global_load_u16 v38, v[36:37], off offset:896
.LBB1850_1016:                          ;   in Loop: Header=BB1850_982 Depth=2
	s_or_b32 exec_lo, exec_lo, s16
	v_cmp_gt_u32_e64 s19, s56, v123
	s_sub_i32 s18, s53, s34
	s_movk_i32 s20, 0x7fff
	s_mov_b64 s[16:17], s[34:35]
	v_dual_mov_b32 v36, s20 :: v_dual_mov_b32 v145, s56
	s_and_saveexec_b32 s20, s19
	s_cbranch_execz .LBB1850_1018
.LBB1850_1017:                          ;   in Loop: Header=BB1850_982 Depth=2
	s_lshl_b64 s[16:17], s[16:17], 1
	v_mov_b32_e32 v145, s18
	v_add_co_u32 v36, vcc_lo, v127, s16
	v_add_co_ci_u32_e32 v37, vcc_lo, s17, v128, vcc_lo
	global_load_u16 v36, v[36:37], off
.LBB1850_1018:                          ;   in Loop: Header=BB1850_982 Depth=2
	s_or_b32 exec_lo, exec_lo, s20
	s_waitcnt vmcnt(14)
	v_cmp_lt_i16_e32 vcc_lo, -1, v2
	ds_store_b32 v69, v3 offset:1056
	ds_store_2addr_b32 v71, v3, v3 offset0:1 offset1:2
	ds_store_2addr_b32 v71, v3, v3 offset0:3 offset1:4
	;; [unrolled: 1-line block ×4, first 2 shown]
	s_waitcnt vmcnt(0) lgkmcnt(0)
	s_barrier
	v_cndmask_b32_e64 v37, -1, 0xffff8000, vcc_lo
	buffer_gl0_inv
	; wave barrier
	v_xor_b32_e32 v2, v37, v2
	s_delay_alu instid0(VALU_DEP_1) | instskip(SKIP_1) | instid1(VALU_DEP_1)
	v_cmp_ne_u16_e32 vcc_lo, 0x7fff, v2
	v_cndmask_b32_e32 v37, 0xffff8000, v2, vcc_lo
	v_and_b32_e32 v37, 0xffff, v37
	s_delay_alu instid0(VALU_DEP_1) | instskip(NEXT) | instid1(VALU_DEP_1)
	v_lshrrev_b32_e32 v37, s49, v37
	v_and_b32_e32 v148, s55, v37
	s_delay_alu instid0(VALU_DEP_1)
	v_lshlrev_b32_e32 v146, 30, v148
	v_and_b32_e32 v37, 1, v148
	v_lshlrev_b32_e32 v150, 29, v148
	v_lshlrev_b32_e32 v151, 28, v148
	;; [unrolled: 1-line block ×3, first 2 shown]
	v_not_b32_e32 v158, v146
	v_add_co_u32 v37, s16, v37, -1
	s_delay_alu instid0(VALU_DEP_1)
	v_cndmask_b32_e64 v152, 0, 1, s16
	v_cmp_gt_i32_e64 s16, 0, v146
	v_not_b32_e32 v146, v150
	v_ashrrev_i32_e32 v158, 31, v158
	v_lshlrev_b32_e32 v155, 26, v148
	v_cmp_ne_u32_e32 vcc_lo, 0, v152
	v_lshlrev_b32_e32 v156, 25, v148
	v_ashrrev_i32_e32 v146, 31, v146
	v_xor_b32_e32 v158, s16, v158
	v_cmp_gt_i32_e64 s16, 0, v151
	v_xor_b32_e32 v37, vcc_lo, v37
	v_cmp_gt_i32_e32 vcc_lo, 0, v150
	v_not_b32_e32 v150, v151
	v_not_b32_e32 v151, v154
	v_lshlrev_b32_e32 v152, 24, v148
	v_and_b32_e32 v37, exec_lo, v37
	v_xor_b32_e32 v146, vcc_lo, v146
	v_ashrrev_i32_e32 v150, 31, v150
	v_cmp_gt_i32_e32 vcc_lo, 0, v154
	v_not_b32_e32 v154, v155
	v_and_b32_e32 v37, v37, v158
	v_ashrrev_i32_e32 v151, 31, v151
	v_xor_b32_e32 v150, s16, v150
	v_cmp_gt_i32_e64 s16, 0, v155
	v_ashrrev_i32_e32 v154, 31, v154
	v_and_b32_e32 v37, v37, v146
	v_not_b32_e32 v146, v156
	v_xor_b32_e32 v151, vcc_lo, v151
	v_cmp_gt_i32_e32 vcc_lo, 0, v156
	v_xor_b32_e32 v154, s16, v154
	v_and_b32_e32 v37, v37, v150
	v_not_b32_e32 v150, v152
	v_ashrrev_i32_e32 v146, 31, v146
	v_cmp_gt_i32_e64 s16, 0, v152
	v_mad_u32_u24 v148, v148, 9, v126
	v_and_b32_e32 v37, v37, v151
	v_ashrrev_i32_e32 v150, 31, v150
	v_xor_b32_e32 v146, vcc_lo, v146
	s_delay_alu instid0(VALU_DEP_4) | instskip(NEXT) | instid1(VALU_DEP_4)
	v_lshl_add_u32 v148, v148, 2, 0x420
	v_and_b32_e32 v37, v37, v154
	s_delay_alu instid0(VALU_DEP_4) | instskip(NEXT) | instid1(VALU_DEP_2)
	v_xor_b32_e32 v150, s16, v150
	v_and_b32_e32 v37, v37, v146
	s_delay_alu instid0(VALU_DEP_1) | instskip(NEXT) | instid1(VALU_DEP_1)
	v_and_b32_e32 v37, v37, v150
	v_mbcnt_lo_u32_b32 v146, v37, 0
	v_cmp_ne_u32_e64 s16, 0, v37
	s_delay_alu instid0(VALU_DEP_2) | instskip(NEXT) | instid1(VALU_DEP_2)
	v_cmp_eq_u32_e32 vcc_lo, 0, v146
	s_and_b32 s17, s16, vcc_lo
	s_delay_alu instid0(SALU_CYCLE_1)
	s_and_saveexec_b32 s16, s17
	s_cbranch_execz .LBB1850_1020
; %bb.1019:                             ;   in Loop: Header=BB1850_982 Depth=2
	v_bcnt_u32_b32 v37, v37, 0
	ds_store_b32 v148, v37
.LBB1850_1020:                          ;   in Loop: Header=BB1850_982 Depth=2
	s_or_b32 exec_lo, exec_lo, s16
	v_cmp_lt_i16_e64 vcc_lo, -1, v147
	; wave barrier
	s_delay_alu instid0(VALU_DEP_1) | instskip(NEXT) | instid1(VALU_DEP_1)
	v_cndmask_b32_e64 v37, -1, 0xffff8000, vcc_lo
	v_xor_b32_e32 v147, v37, v147
	s_delay_alu instid0(VALU_DEP_1) | instskip(SKIP_1) | instid1(VALU_DEP_1)
	v_cmp_ne_u16_e64 vcc_lo, 0x7fff, v147
	v_cndmask_b32_e32 v37, 0xffff8000, v147, vcc_lo
	v_and_b32_e32 v37, 0xffff, v37
	s_delay_alu instid0(VALU_DEP_1) | instskip(NEXT) | instid1(VALU_DEP_1)
	v_lshrrev_b32_e32 v37, s49, v37
	v_and_b32_e32 v37, s55, v37
	s_delay_alu instid0(VALU_DEP_1)
	v_and_b32_e32 v150, 1, v37
	v_lshlrev_b32_e32 v151, 30, v37
	v_lshlrev_b32_e32 v152, 29, v37
	;; [unrolled: 1-line block ×4, first 2 shown]
	v_add_co_u32 v150, s16, v150, -1
	s_delay_alu instid0(VALU_DEP_1)
	v_cndmask_b32_e64 v155, 0, 1, s16
	v_not_b32_e32 v160, v151
	v_cmp_gt_i32_e64 s16, 0, v151
	v_not_b32_e32 v151, v152
	v_lshlrev_b32_e32 v158, 26, v37
	v_cmp_ne_u32_e32 vcc_lo, 0, v155
	v_ashrrev_i32_e32 v160, 31, v160
	v_lshlrev_b32_e32 v159, 25, v37
	v_ashrrev_i32_e32 v151, 31, v151
	v_lshlrev_b32_e32 v155, 24, v37
	v_xor_b32_e32 v150, vcc_lo, v150
	v_cmp_gt_i32_e32 vcc_lo, 0, v152
	v_not_b32_e32 v152, v154
	v_xor_b32_e32 v160, s16, v160
	v_cmp_gt_i32_e64 s16, 0, v154
	v_and_b32_e32 v150, exec_lo, v150
	v_not_b32_e32 v154, v156
	v_ashrrev_i32_e32 v152, 31, v152
	v_xor_b32_e32 v151, vcc_lo, v151
	v_cmp_gt_i32_e32 vcc_lo, 0, v156
	v_and_b32_e32 v150, v150, v160
	v_not_b32_e32 v156, v158
	v_ashrrev_i32_e32 v154, 31, v154
	v_xor_b32_e32 v152, s16, v152
	v_cmp_gt_i32_e64 s16, 0, v158
	v_and_b32_e32 v150, v150, v151
	v_not_b32_e32 v151, v159
	v_ashrrev_i32_e32 v156, 31, v156
	v_xor_b32_e32 v154, vcc_lo, v154
	v_cmp_gt_i32_e32 vcc_lo, 0, v159
	v_and_b32_e32 v150, v150, v152
	v_not_b32_e32 v152, v155
	v_ashrrev_i32_e32 v151, 31, v151
	v_xor_b32_e32 v156, s16, v156
	v_mul_u32_u24_e32 v37, 9, v37
	v_and_b32_e32 v150, v150, v154
	v_cmp_gt_i32_e64 s16, 0, v155
	v_ashrrev_i32_e32 v152, 31, v152
	v_xor_b32_e32 v151, vcc_lo, v151
	v_add_lshl_u32 v154, v37, v126, 2
	v_and_b32_e32 v150, v150, v156
	s_delay_alu instid0(VALU_DEP_4) | instskip(NEXT) | instid1(VALU_DEP_3)
	v_xor_b32_e32 v37, s16, v152
	v_add_nc_u32_e32 v152, 0x420, v154
	s_delay_alu instid0(VALU_DEP_3) | instskip(SKIP_2) | instid1(VALU_DEP_1)
	v_and_b32_e32 v151, v150, v151
	ds_load_b32 v150, v154 offset:1056
	; wave barrier
	v_and_b32_e32 v37, v151, v37
	v_mbcnt_lo_u32_b32 v151, v37, 0
	v_cmp_ne_u32_e64 s16, 0, v37
	s_delay_alu instid0(VALU_DEP_2) | instskip(NEXT) | instid1(VALU_DEP_2)
	v_cmp_eq_u32_e32 vcc_lo, 0, v151
	s_and_b32 s17, s16, vcc_lo
	s_delay_alu instid0(SALU_CYCLE_1)
	s_and_saveexec_b32 s16, s17
	s_cbranch_execz .LBB1850_1022
; %bb.1021:                             ;   in Loop: Header=BB1850_982 Depth=2
	s_waitcnt lgkmcnt(0)
	v_bcnt_u32_b32 v37, v37, v150
	ds_store_b32 v152, v37
.LBB1850_1022:                          ;   in Loop: Header=BB1850_982 Depth=2
	s_or_b32 exec_lo, exec_lo, s16
	v_cmp_lt_i16_e64 vcc_lo, -1, v149
	; wave barrier
	s_delay_alu instid0(VALU_DEP_1) | instskip(NEXT) | instid1(VALU_DEP_1)
	v_cndmask_b32_e64 v37, -1, 0xffff8000, vcc_lo
	v_xor_b32_e32 v149, v37, v149
	s_delay_alu instid0(VALU_DEP_1) | instskip(SKIP_1) | instid1(VALU_DEP_1)
	v_cmp_ne_u16_e64 vcc_lo, 0x7fff, v149
	v_cndmask_b32_e32 v37, 0xffff8000, v149, vcc_lo
	v_and_b32_e32 v37, 0xffff, v37
	s_delay_alu instid0(VALU_DEP_1) | instskip(NEXT) | instid1(VALU_DEP_1)
	v_lshrrev_b32_e32 v37, s49, v37
	v_and_b32_e32 v37, s55, v37
	s_delay_alu instid0(VALU_DEP_1)
	v_and_b32_e32 v154, 1, v37
	v_lshlrev_b32_e32 v155, 30, v37
	v_lshlrev_b32_e32 v156, 29, v37
	v_lshlrev_b32_e32 v158, 28, v37
	v_lshlrev_b32_e32 v160, 27, v37
	v_add_co_u32 v154, s16, v154, -1
	s_delay_alu instid0(VALU_DEP_1)
	v_cndmask_b32_e64 v159, 0, 1, s16
	v_not_b32_e32 v164, v155
	v_cmp_gt_i32_e64 s16, 0, v155
	v_not_b32_e32 v155, v156
	v_lshlrev_b32_e32 v162, 26, v37
	v_cmp_ne_u32_e32 vcc_lo, 0, v159
	v_ashrrev_i32_e32 v164, 31, v164
	v_lshlrev_b32_e32 v163, 25, v37
	v_ashrrev_i32_e32 v155, 31, v155
	v_lshlrev_b32_e32 v159, 24, v37
	v_xor_b32_e32 v154, vcc_lo, v154
	v_cmp_gt_i32_e32 vcc_lo, 0, v156
	v_not_b32_e32 v156, v158
	v_xor_b32_e32 v164, s16, v164
	v_cmp_gt_i32_e64 s16, 0, v158
	v_and_b32_e32 v154, exec_lo, v154
	v_not_b32_e32 v158, v160
	v_ashrrev_i32_e32 v156, 31, v156
	v_xor_b32_e32 v155, vcc_lo, v155
	v_cmp_gt_i32_e32 vcc_lo, 0, v160
	v_and_b32_e32 v154, v154, v164
	v_not_b32_e32 v160, v162
	v_ashrrev_i32_e32 v158, 31, v158
	v_xor_b32_e32 v156, s16, v156
	v_cmp_gt_i32_e64 s16, 0, v162
	v_and_b32_e32 v154, v154, v155
	v_not_b32_e32 v155, v163
	v_ashrrev_i32_e32 v160, 31, v160
	v_xor_b32_e32 v158, vcc_lo, v158
	v_cmp_gt_i32_e32 vcc_lo, 0, v163
	v_and_b32_e32 v154, v154, v156
	v_not_b32_e32 v156, v159
	v_ashrrev_i32_e32 v155, 31, v155
	v_xor_b32_e32 v160, s16, v160
	v_mul_u32_u24_e32 v37, 9, v37
	v_and_b32_e32 v154, v154, v158
	v_cmp_gt_i32_e64 s16, 0, v159
	v_ashrrev_i32_e32 v156, 31, v156
	v_xor_b32_e32 v155, vcc_lo, v155
	v_add_lshl_u32 v158, v37, v126, 2
	v_and_b32_e32 v154, v154, v160
	s_delay_alu instid0(VALU_DEP_4) | instskip(NEXT) | instid1(VALU_DEP_3)
	v_xor_b32_e32 v37, s16, v156
	v_add_nc_u32_e32 v156, 0x420, v158
	s_delay_alu instid0(VALU_DEP_3) | instskip(SKIP_2) | instid1(VALU_DEP_1)
	v_and_b32_e32 v155, v154, v155
	ds_load_b32 v154, v158 offset:1056
	; wave barrier
	v_and_b32_e32 v37, v155, v37
	v_mbcnt_lo_u32_b32 v155, v37, 0
	v_cmp_ne_u32_e64 s16, 0, v37
	s_delay_alu instid0(VALU_DEP_2) | instskip(NEXT) | instid1(VALU_DEP_2)
	v_cmp_eq_u32_e32 vcc_lo, 0, v155
	s_and_b32 s17, s16, vcc_lo
	s_delay_alu instid0(SALU_CYCLE_1)
	s_and_saveexec_b32 s16, s17
	s_cbranch_execz .LBB1850_1024
; %bb.1023:                             ;   in Loop: Header=BB1850_982 Depth=2
	s_waitcnt lgkmcnt(0)
	v_bcnt_u32_b32 v37, v37, v154
	ds_store_b32 v156, v37
.LBB1850_1024:                          ;   in Loop: Header=BB1850_982 Depth=2
	s_or_b32 exec_lo, exec_lo, s16
	v_cmp_lt_i16_e64 vcc_lo, -1, v153
	; wave barrier
	s_delay_alu instid0(VALU_DEP_1) | instskip(NEXT) | instid1(VALU_DEP_1)
	v_cndmask_b32_e64 v37, -1, 0xffff8000, vcc_lo
	v_xor_b32_e32 v153, v37, v153
	s_delay_alu instid0(VALU_DEP_1) | instskip(SKIP_1) | instid1(VALU_DEP_1)
	v_cmp_ne_u16_e64 vcc_lo, 0x7fff, v153
	v_cndmask_b32_e32 v37, 0xffff8000, v153, vcc_lo
	v_and_b32_e32 v37, 0xffff, v37
	s_delay_alu instid0(VALU_DEP_1) | instskip(NEXT) | instid1(VALU_DEP_1)
	v_lshrrev_b32_e32 v37, s49, v37
	v_and_b32_e32 v37, s55, v37
	s_delay_alu instid0(VALU_DEP_1)
	v_and_b32_e32 v158, 1, v37
	v_lshlrev_b32_e32 v159, 30, v37
	v_lshlrev_b32_e32 v160, 29, v37
	;; [unrolled: 1-line block ×4, first 2 shown]
	v_add_co_u32 v158, s16, v158, -1
	s_delay_alu instid0(VALU_DEP_1)
	v_cndmask_b32_e64 v163, 0, 1, s16
	v_not_b32_e32 v168, v159
	v_cmp_gt_i32_e64 s16, 0, v159
	v_not_b32_e32 v159, v160
	v_lshlrev_b32_e32 v166, 26, v37
	v_cmp_ne_u32_e32 vcc_lo, 0, v163
	v_ashrrev_i32_e32 v168, 31, v168
	v_lshlrev_b32_e32 v167, 25, v37
	v_ashrrev_i32_e32 v159, 31, v159
	v_lshlrev_b32_e32 v163, 24, v37
	v_xor_b32_e32 v158, vcc_lo, v158
	v_cmp_gt_i32_e32 vcc_lo, 0, v160
	v_not_b32_e32 v160, v162
	v_xor_b32_e32 v168, s16, v168
	v_cmp_gt_i32_e64 s16, 0, v162
	v_and_b32_e32 v158, exec_lo, v158
	v_not_b32_e32 v162, v164
	v_ashrrev_i32_e32 v160, 31, v160
	v_xor_b32_e32 v159, vcc_lo, v159
	v_cmp_gt_i32_e32 vcc_lo, 0, v164
	v_and_b32_e32 v158, v158, v168
	v_not_b32_e32 v164, v166
	v_ashrrev_i32_e32 v162, 31, v162
	v_xor_b32_e32 v160, s16, v160
	v_cmp_gt_i32_e64 s16, 0, v166
	v_and_b32_e32 v158, v158, v159
	v_not_b32_e32 v159, v167
	v_ashrrev_i32_e32 v164, 31, v164
	v_xor_b32_e32 v162, vcc_lo, v162
	v_cmp_gt_i32_e32 vcc_lo, 0, v167
	v_and_b32_e32 v158, v158, v160
	v_not_b32_e32 v160, v163
	v_ashrrev_i32_e32 v159, 31, v159
	v_xor_b32_e32 v164, s16, v164
	v_mul_u32_u24_e32 v37, 9, v37
	v_and_b32_e32 v158, v158, v162
	v_cmp_gt_i32_e64 s16, 0, v163
	v_ashrrev_i32_e32 v160, 31, v160
	v_xor_b32_e32 v159, vcc_lo, v159
	v_add_lshl_u32 v162, v37, v126, 2
	v_and_b32_e32 v158, v158, v164
	s_delay_alu instid0(VALU_DEP_4) | instskip(NEXT) | instid1(VALU_DEP_3)
	v_xor_b32_e32 v37, s16, v160
	v_add_nc_u32_e32 v160, 0x420, v162
	s_delay_alu instid0(VALU_DEP_3) | instskip(SKIP_2) | instid1(VALU_DEP_1)
	v_and_b32_e32 v159, v158, v159
	ds_load_b32 v158, v162 offset:1056
	; wave barrier
	v_and_b32_e32 v37, v159, v37
	v_mbcnt_lo_u32_b32 v159, v37, 0
	v_cmp_ne_u32_e64 s16, 0, v37
	s_delay_alu instid0(VALU_DEP_2) | instskip(NEXT) | instid1(VALU_DEP_2)
	v_cmp_eq_u32_e32 vcc_lo, 0, v159
	s_and_b32 s17, s16, vcc_lo
	s_delay_alu instid0(SALU_CYCLE_1)
	s_and_saveexec_b32 s16, s17
	s_cbranch_execz .LBB1850_1026
; %bb.1025:                             ;   in Loop: Header=BB1850_982 Depth=2
	s_waitcnt lgkmcnt(0)
	v_bcnt_u32_b32 v37, v37, v158
	ds_store_b32 v160, v37
.LBB1850_1026:                          ;   in Loop: Header=BB1850_982 Depth=2
	s_or_b32 exec_lo, exec_lo, s16
	v_cmp_lt_i16_e64 vcc_lo, -1, v157
	; wave barrier
	s_delay_alu instid0(VALU_DEP_1) | instskip(NEXT) | instid1(VALU_DEP_1)
	v_cndmask_b32_e64 v37, -1, 0xffff8000, vcc_lo
	v_xor_b32_e32 v157, v37, v157
	s_delay_alu instid0(VALU_DEP_1) | instskip(SKIP_1) | instid1(VALU_DEP_1)
	v_cmp_ne_u16_e64 vcc_lo, 0x7fff, v157
	v_cndmask_b32_e32 v37, 0xffff8000, v157, vcc_lo
	v_and_b32_e32 v37, 0xffff, v37
	s_delay_alu instid0(VALU_DEP_1) | instskip(NEXT) | instid1(VALU_DEP_1)
	v_lshrrev_b32_e32 v37, s49, v37
	v_and_b32_e32 v37, s55, v37
	s_delay_alu instid0(VALU_DEP_1)
	v_and_b32_e32 v162, 1, v37
	v_lshlrev_b32_e32 v163, 30, v37
	v_lshlrev_b32_e32 v164, 29, v37
	;; [unrolled: 1-line block ×4, first 2 shown]
	v_add_co_u32 v162, s16, v162, -1
	s_delay_alu instid0(VALU_DEP_1)
	v_cndmask_b32_e64 v167, 0, 1, s16
	v_not_b32_e32 v173, v163
	v_cmp_gt_i32_e64 s16, 0, v163
	v_not_b32_e32 v163, v164
	v_lshlrev_b32_e32 v171, 26, v37
	v_cmp_ne_u32_e32 vcc_lo, 0, v167
	v_ashrrev_i32_e32 v173, 31, v173
	v_lshlrev_b32_e32 v172, 25, v37
	v_ashrrev_i32_e32 v163, 31, v163
	v_lshlrev_b32_e32 v167, 24, v37
	v_xor_b32_e32 v162, vcc_lo, v162
	v_cmp_gt_i32_e32 vcc_lo, 0, v164
	v_not_b32_e32 v164, v166
	v_xor_b32_e32 v173, s16, v173
	v_cmp_gt_i32_e64 s16, 0, v166
	v_and_b32_e32 v162, exec_lo, v162
	v_not_b32_e32 v166, v168
	v_ashrrev_i32_e32 v164, 31, v164
	v_xor_b32_e32 v163, vcc_lo, v163
	v_cmp_gt_i32_e32 vcc_lo, 0, v168
	v_and_b32_e32 v162, v162, v173
	v_not_b32_e32 v168, v171
	v_ashrrev_i32_e32 v166, 31, v166
	v_xor_b32_e32 v164, s16, v164
	v_cmp_gt_i32_e64 s16, 0, v171
	v_and_b32_e32 v162, v162, v163
	v_not_b32_e32 v163, v172
	v_ashrrev_i32_e32 v168, 31, v168
	v_xor_b32_e32 v166, vcc_lo, v166
	v_cmp_gt_i32_e32 vcc_lo, 0, v172
	v_and_b32_e32 v162, v162, v164
	v_not_b32_e32 v164, v167
	v_ashrrev_i32_e32 v163, 31, v163
	v_xor_b32_e32 v168, s16, v168
	v_mul_u32_u24_e32 v37, 9, v37
	v_and_b32_e32 v162, v162, v166
	v_cmp_gt_i32_e64 s16, 0, v167
	v_ashrrev_i32_e32 v164, 31, v164
	v_xor_b32_e32 v163, vcc_lo, v163
	v_add_lshl_u32 v166, v37, v126, 2
	v_and_b32_e32 v162, v162, v168
	s_delay_alu instid0(VALU_DEP_4) | instskip(NEXT) | instid1(VALU_DEP_3)
	v_xor_b32_e32 v37, s16, v164
	v_add_nc_u32_e32 v164, 0x420, v166
	s_delay_alu instid0(VALU_DEP_3) | instskip(SKIP_2) | instid1(VALU_DEP_1)
	v_and_b32_e32 v163, v162, v163
	ds_load_b32 v162, v166 offset:1056
	; wave barrier
	v_and_b32_e32 v37, v163, v37
	v_mbcnt_lo_u32_b32 v163, v37, 0
	v_cmp_ne_u32_e64 s16, 0, v37
	s_delay_alu instid0(VALU_DEP_2) | instskip(NEXT) | instid1(VALU_DEP_2)
	v_cmp_eq_u32_e32 vcc_lo, 0, v163
	s_and_b32 s17, s16, vcc_lo
	s_delay_alu instid0(SALU_CYCLE_1)
	s_and_saveexec_b32 s16, s17
	s_cbranch_execz .LBB1850_1028
; %bb.1027:                             ;   in Loop: Header=BB1850_982 Depth=2
	s_waitcnt lgkmcnt(0)
	v_bcnt_u32_b32 v37, v37, v162
	ds_store_b32 v164, v37
.LBB1850_1028:                          ;   in Loop: Header=BB1850_982 Depth=2
	s_or_b32 exec_lo, exec_lo, s16
	v_cmp_lt_i16_e64 vcc_lo, -1, v161
	; wave barrier
	s_delay_alu instid0(VALU_DEP_1) | instskip(NEXT) | instid1(VALU_DEP_1)
	v_cndmask_b32_e64 v37, -1, 0xffff8000, vcc_lo
	v_xor_b32_e32 v161, v37, v161
	s_delay_alu instid0(VALU_DEP_1) | instskip(SKIP_1) | instid1(VALU_DEP_1)
	v_cmp_ne_u16_e64 vcc_lo, 0x7fff, v161
	v_cndmask_b32_e32 v37, 0xffff8000, v161, vcc_lo
	v_and_b32_e32 v37, 0xffff, v37
	s_delay_alu instid0(VALU_DEP_1) | instskip(NEXT) | instid1(VALU_DEP_1)
	v_lshrrev_b32_e32 v37, s49, v37
	v_and_b32_e32 v37, s55, v37
	s_delay_alu instid0(VALU_DEP_1)
	v_and_b32_e32 v166, 1, v37
	v_lshlrev_b32_e32 v167, 30, v37
	v_lshlrev_b32_e32 v168, 29, v37
	;; [unrolled: 1-line block ×4, first 2 shown]
	v_add_co_u32 v166, s16, v166, -1
	s_delay_alu instid0(VALU_DEP_1)
	v_cndmask_b32_e64 v172, 0, 1, s16
	v_not_b32_e32 v176, v167
	v_cmp_gt_i32_e64 s16, 0, v167
	v_not_b32_e32 v167, v168
	v_lshlrev_b32_e32 v174, 26, v37
	v_cmp_ne_u32_e32 vcc_lo, 0, v172
	v_ashrrev_i32_e32 v176, 31, v176
	v_lshlrev_b32_e32 v175, 25, v37
	v_ashrrev_i32_e32 v167, 31, v167
	v_lshlrev_b32_e32 v172, 24, v37
	v_xor_b32_e32 v166, vcc_lo, v166
	v_cmp_gt_i32_e32 vcc_lo, 0, v168
	v_not_b32_e32 v168, v171
	v_xor_b32_e32 v176, s16, v176
	v_cmp_gt_i32_e64 s16, 0, v171
	v_and_b32_e32 v166, exec_lo, v166
	v_not_b32_e32 v171, v173
	v_ashrrev_i32_e32 v168, 31, v168
	v_xor_b32_e32 v167, vcc_lo, v167
	v_cmp_gt_i32_e32 vcc_lo, 0, v173
	v_and_b32_e32 v166, v166, v176
	v_not_b32_e32 v173, v174
	v_ashrrev_i32_e32 v171, 31, v171
	v_xor_b32_e32 v168, s16, v168
	v_cmp_gt_i32_e64 s16, 0, v174
	v_and_b32_e32 v166, v166, v167
	v_not_b32_e32 v167, v175
	v_ashrrev_i32_e32 v173, 31, v173
	v_xor_b32_e32 v171, vcc_lo, v171
	v_cmp_gt_i32_e32 vcc_lo, 0, v175
	v_and_b32_e32 v166, v166, v168
	v_not_b32_e32 v168, v172
	v_ashrrev_i32_e32 v167, 31, v167
	v_xor_b32_e32 v173, s16, v173
	v_mul_u32_u24_e32 v37, 9, v37
	v_and_b32_e32 v166, v166, v171
	v_cmp_gt_i32_e64 s16, 0, v172
	v_ashrrev_i32_e32 v168, 31, v168
	v_xor_b32_e32 v167, vcc_lo, v167
	v_add_lshl_u32 v171, v37, v126, 2
	v_and_b32_e32 v166, v166, v173
	s_delay_alu instid0(VALU_DEP_4) | instskip(NEXT) | instid1(VALU_DEP_3)
	v_xor_b32_e32 v37, s16, v168
	v_add_nc_u32_e32 v168, 0x420, v171
	s_delay_alu instid0(VALU_DEP_3) | instskip(SKIP_2) | instid1(VALU_DEP_1)
	v_and_b32_e32 v167, v166, v167
	ds_load_b32 v166, v171 offset:1056
	; wave barrier
	v_and_b32_e32 v37, v167, v37
	v_mbcnt_lo_u32_b32 v167, v37, 0
	v_cmp_ne_u32_e64 s16, 0, v37
	s_delay_alu instid0(VALU_DEP_2) | instskip(NEXT) | instid1(VALU_DEP_2)
	v_cmp_eq_u32_e32 vcc_lo, 0, v167
	s_and_b32 s17, s16, vcc_lo
	s_delay_alu instid0(SALU_CYCLE_1)
	s_and_saveexec_b32 s16, s17
	s_cbranch_execz .LBB1850_1030
; %bb.1029:                             ;   in Loop: Header=BB1850_982 Depth=2
	s_waitcnt lgkmcnt(0)
	v_bcnt_u32_b32 v37, v37, v166
	ds_store_b32 v168, v37
.LBB1850_1030:                          ;   in Loop: Header=BB1850_982 Depth=2
	s_or_b32 exec_lo, exec_lo, s16
	v_cmp_lt_i16_e64 vcc_lo, -1, v165
	; wave barrier
	s_delay_alu instid0(VALU_DEP_1) | instskip(NEXT) | instid1(VALU_DEP_1)
	v_cndmask_b32_e64 v37, -1, 0xffff8000, vcc_lo
	v_xor_b32_e32 v165, v37, v165
	s_delay_alu instid0(VALU_DEP_1) | instskip(SKIP_1) | instid1(VALU_DEP_1)
	v_cmp_ne_u16_e64 vcc_lo, 0x7fff, v165
	v_cndmask_b32_e32 v37, 0xffff8000, v165, vcc_lo
	v_and_b32_e32 v37, 0xffff, v37
	s_delay_alu instid0(VALU_DEP_1) | instskip(NEXT) | instid1(VALU_DEP_1)
	v_lshrrev_b32_e32 v37, s49, v37
	v_and_b32_e32 v37, s55, v37
	s_delay_alu instid0(VALU_DEP_1)
	v_and_b32_e32 v171, 1, v37
	v_lshlrev_b32_e32 v172, 30, v37
	v_lshlrev_b32_e32 v173, 29, v37
	v_lshlrev_b32_e32 v174, 28, v37
	v_lshlrev_b32_e32 v176, 27, v37
	v_add_co_u32 v171, s16, v171, -1
	s_delay_alu instid0(VALU_DEP_1)
	v_cndmask_b32_e64 v175, 0, 1, s16
	v_not_b32_e32 v179, v172
	v_cmp_gt_i32_e64 s16, 0, v172
	v_not_b32_e32 v172, v173
	v_lshlrev_b32_e32 v177, 26, v37
	v_cmp_ne_u32_e32 vcc_lo, 0, v175
	v_ashrrev_i32_e32 v179, 31, v179
	v_lshlrev_b32_e32 v178, 25, v37
	v_ashrrev_i32_e32 v172, 31, v172
	v_lshlrev_b32_e32 v175, 24, v37
	v_xor_b32_e32 v171, vcc_lo, v171
	v_cmp_gt_i32_e32 vcc_lo, 0, v173
	v_not_b32_e32 v173, v174
	v_xor_b32_e32 v179, s16, v179
	v_cmp_gt_i32_e64 s16, 0, v174
	v_and_b32_e32 v171, exec_lo, v171
	v_not_b32_e32 v174, v176
	v_ashrrev_i32_e32 v173, 31, v173
	v_xor_b32_e32 v172, vcc_lo, v172
	v_cmp_gt_i32_e32 vcc_lo, 0, v176
	v_and_b32_e32 v171, v171, v179
	v_not_b32_e32 v176, v177
	v_ashrrev_i32_e32 v174, 31, v174
	v_xor_b32_e32 v173, s16, v173
	v_cmp_gt_i32_e64 s16, 0, v177
	v_and_b32_e32 v171, v171, v172
	v_not_b32_e32 v172, v178
	v_ashrrev_i32_e32 v176, 31, v176
	v_xor_b32_e32 v174, vcc_lo, v174
	v_cmp_gt_i32_e32 vcc_lo, 0, v178
	v_and_b32_e32 v171, v171, v173
	v_not_b32_e32 v173, v175
	v_ashrrev_i32_e32 v172, 31, v172
	v_xor_b32_e32 v176, s16, v176
	v_mul_u32_u24_e32 v37, 9, v37
	v_and_b32_e32 v171, v171, v174
	v_cmp_gt_i32_e64 s16, 0, v175
	v_ashrrev_i32_e32 v173, 31, v173
	v_xor_b32_e32 v172, vcc_lo, v172
	v_add_lshl_u32 v174, v37, v126, 2
	v_and_b32_e32 v171, v171, v176
	s_delay_alu instid0(VALU_DEP_4) | instskip(NEXT) | instid1(VALU_DEP_3)
	v_xor_b32_e32 v37, s16, v173
	v_add_nc_u32_e32 v173, 0x420, v174
	s_delay_alu instid0(VALU_DEP_3) | instskip(SKIP_2) | instid1(VALU_DEP_1)
	v_and_b32_e32 v172, v171, v172
	ds_load_b32 v171, v174 offset:1056
	; wave barrier
	v_and_b32_e32 v37, v172, v37
	v_mbcnt_lo_u32_b32 v172, v37, 0
	v_cmp_ne_u32_e64 s16, 0, v37
	s_delay_alu instid0(VALU_DEP_2) | instskip(NEXT) | instid1(VALU_DEP_2)
	v_cmp_eq_u32_e32 vcc_lo, 0, v172
	s_and_b32 s17, s16, vcc_lo
	s_delay_alu instid0(SALU_CYCLE_1)
	s_and_saveexec_b32 s16, s17
	s_cbranch_execz .LBB1850_1032
; %bb.1031:                             ;   in Loop: Header=BB1850_982 Depth=2
	s_waitcnt lgkmcnt(0)
	v_bcnt_u32_b32 v37, v37, v171
	ds_store_b32 v173, v37
.LBB1850_1032:                          ;   in Loop: Header=BB1850_982 Depth=2
	s_or_b32 exec_lo, exec_lo, s16
	v_cmp_lt_i16_e64 vcc_lo, -1, v170
	; wave barrier
	s_delay_alu instid0(VALU_DEP_1) | instskip(NEXT) | instid1(VALU_DEP_1)
	v_cndmask_b32_e64 v37, -1, 0xffff8000, vcc_lo
	v_xor_b32_e32 v170, v37, v170
	s_delay_alu instid0(VALU_DEP_1) | instskip(SKIP_1) | instid1(VALU_DEP_1)
	v_cmp_ne_u16_e64 vcc_lo, 0x7fff, v170
	v_cndmask_b32_e32 v37, 0xffff8000, v170, vcc_lo
	v_and_b32_e32 v37, 0xffff, v37
	s_delay_alu instid0(VALU_DEP_1) | instskip(NEXT) | instid1(VALU_DEP_1)
	v_lshrrev_b32_e32 v37, s49, v37
	v_and_b32_e32 v37, s55, v37
	s_delay_alu instid0(VALU_DEP_1)
	v_and_b32_e32 v174, 1, v37
	v_lshlrev_b32_e32 v175, 30, v37
	v_lshlrev_b32_e32 v176, 29, v37
	;; [unrolled: 1-line block ×4, first 2 shown]
	v_add_co_u32 v174, s16, v174, -1
	s_delay_alu instid0(VALU_DEP_1)
	v_cndmask_b32_e64 v178, 0, 1, s16
	v_not_b32_e32 v182, v175
	v_cmp_gt_i32_e64 s16, 0, v175
	v_not_b32_e32 v175, v176
	v_lshlrev_b32_e32 v180, 26, v37
	v_cmp_ne_u32_e32 vcc_lo, 0, v178
	v_ashrrev_i32_e32 v182, 31, v182
	v_lshlrev_b32_e32 v181, 25, v37
	v_ashrrev_i32_e32 v175, 31, v175
	v_lshlrev_b32_e32 v178, 24, v37
	v_xor_b32_e32 v174, vcc_lo, v174
	v_cmp_gt_i32_e32 vcc_lo, 0, v176
	v_not_b32_e32 v176, v177
	v_xor_b32_e32 v182, s16, v182
	v_cmp_gt_i32_e64 s16, 0, v177
	v_and_b32_e32 v174, exec_lo, v174
	v_not_b32_e32 v177, v179
	v_ashrrev_i32_e32 v176, 31, v176
	v_xor_b32_e32 v175, vcc_lo, v175
	v_cmp_gt_i32_e32 vcc_lo, 0, v179
	v_and_b32_e32 v174, v174, v182
	v_not_b32_e32 v179, v180
	v_ashrrev_i32_e32 v177, 31, v177
	v_xor_b32_e32 v176, s16, v176
	v_cmp_gt_i32_e64 s16, 0, v180
	v_and_b32_e32 v174, v174, v175
	v_not_b32_e32 v175, v181
	v_ashrrev_i32_e32 v179, 31, v179
	v_xor_b32_e32 v177, vcc_lo, v177
	v_cmp_gt_i32_e32 vcc_lo, 0, v181
	v_and_b32_e32 v174, v174, v176
	v_not_b32_e32 v176, v178
	v_ashrrev_i32_e32 v175, 31, v175
	v_xor_b32_e32 v179, s16, v179
	v_mul_u32_u24_e32 v37, 9, v37
	v_and_b32_e32 v174, v174, v177
	v_cmp_gt_i32_e64 s16, 0, v178
	v_ashrrev_i32_e32 v176, 31, v176
	v_xor_b32_e32 v175, vcc_lo, v175
	v_add_lshl_u32 v177, v37, v126, 2
	v_and_b32_e32 v174, v174, v179
	s_delay_alu instid0(VALU_DEP_4) | instskip(NEXT) | instid1(VALU_DEP_3)
	v_xor_b32_e32 v37, s16, v176
	v_add_nc_u32_e32 v176, 0x420, v177
	s_delay_alu instid0(VALU_DEP_3) | instskip(SKIP_2) | instid1(VALU_DEP_1)
	v_and_b32_e32 v175, v174, v175
	ds_load_b32 v174, v177 offset:1056
	; wave barrier
	v_and_b32_e32 v37, v175, v37
	v_mbcnt_lo_u32_b32 v175, v37, 0
	v_cmp_ne_u32_e64 s16, 0, v37
	s_delay_alu instid0(VALU_DEP_2) | instskip(NEXT) | instid1(VALU_DEP_2)
	v_cmp_eq_u32_e32 vcc_lo, 0, v175
	s_and_b32 s17, s16, vcc_lo
	s_delay_alu instid0(SALU_CYCLE_1)
	s_and_saveexec_b32 s16, s17
	s_cbranch_execz .LBB1850_1034
; %bb.1033:                             ;   in Loop: Header=BB1850_982 Depth=2
	s_waitcnt lgkmcnt(0)
	v_bcnt_u32_b32 v37, v37, v174
	ds_store_b32 v176, v37
.LBB1850_1034:                          ;   in Loop: Header=BB1850_982 Depth=2
	s_or_b32 exec_lo, exec_lo, s16
	v_cmp_lt_i16_e64 vcc_lo, -1, v169
	; wave barrier
	s_delay_alu instid0(VALU_DEP_1) | instskip(NEXT) | instid1(VALU_DEP_1)
	v_cndmask_b32_e64 v37, -1, 0xffff8000, vcc_lo
	v_xor_b32_e32 v169, v37, v169
	s_delay_alu instid0(VALU_DEP_1) | instskip(SKIP_1) | instid1(VALU_DEP_1)
	v_cmp_ne_u16_e64 vcc_lo, 0x7fff, v169
	v_cndmask_b32_e32 v37, 0xffff8000, v169, vcc_lo
	v_and_b32_e32 v37, 0xffff, v37
	s_delay_alu instid0(VALU_DEP_1) | instskip(NEXT) | instid1(VALU_DEP_1)
	v_lshrrev_b32_e32 v37, s49, v37
	v_and_b32_e32 v37, s55, v37
	s_delay_alu instid0(VALU_DEP_1)
	v_and_b32_e32 v177, 1, v37
	v_lshlrev_b32_e32 v178, 30, v37
	v_lshlrev_b32_e32 v179, 29, v37
	;; [unrolled: 1-line block ×4, first 2 shown]
	v_add_co_u32 v177, s16, v177, -1
	s_delay_alu instid0(VALU_DEP_1)
	v_cndmask_b32_e64 v181, 0, 1, s16
	v_not_b32_e32 v185, v178
	v_cmp_gt_i32_e64 s16, 0, v178
	v_not_b32_e32 v178, v179
	v_lshlrev_b32_e32 v183, 26, v37
	v_cmp_ne_u32_e32 vcc_lo, 0, v181
	v_ashrrev_i32_e32 v185, 31, v185
	v_lshlrev_b32_e32 v184, 25, v37
	v_ashrrev_i32_e32 v178, 31, v178
	v_lshlrev_b32_e32 v181, 24, v37
	v_xor_b32_e32 v177, vcc_lo, v177
	v_cmp_gt_i32_e32 vcc_lo, 0, v179
	v_not_b32_e32 v179, v180
	v_xor_b32_e32 v185, s16, v185
	v_cmp_gt_i32_e64 s16, 0, v180
	v_and_b32_e32 v177, exec_lo, v177
	v_not_b32_e32 v180, v182
	v_ashrrev_i32_e32 v179, 31, v179
	v_xor_b32_e32 v178, vcc_lo, v178
	v_cmp_gt_i32_e32 vcc_lo, 0, v182
	v_and_b32_e32 v177, v177, v185
	v_not_b32_e32 v182, v183
	v_ashrrev_i32_e32 v180, 31, v180
	v_xor_b32_e32 v179, s16, v179
	v_cmp_gt_i32_e64 s16, 0, v183
	v_and_b32_e32 v177, v177, v178
	v_not_b32_e32 v178, v184
	v_ashrrev_i32_e32 v182, 31, v182
	v_xor_b32_e32 v180, vcc_lo, v180
	v_cmp_gt_i32_e32 vcc_lo, 0, v184
	v_and_b32_e32 v177, v177, v179
	v_not_b32_e32 v179, v181
	v_ashrrev_i32_e32 v178, 31, v178
	v_xor_b32_e32 v182, s16, v182
	v_mul_u32_u24_e32 v37, 9, v37
	v_and_b32_e32 v177, v177, v180
	v_cmp_gt_i32_e64 s16, 0, v181
	v_ashrrev_i32_e32 v179, 31, v179
	v_xor_b32_e32 v178, vcc_lo, v178
	v_add_lshl_u32 v180, v37, v126, 2
	v_and_b32_e32 v177, v177, v182
	s_delay_alu instid0(VALU_DEP_4) | instskip(NEXT) | instid1(VALU_DEP_2)
	v_xor_b32_e32 v37, s16, v179
	v_and_b32_e32 v177, v177, v178
	ds_load_b32 v178, v180 offset:1056
	v_add_nc_u32_e32 v180, 0x420, v180
	; wave barrier
	v_and_b32_e32 v37, v177, v37
	s_delay_alu instid0(VALU_DEP_1) | instskip(SKIP_1) | instid1(VALU_DEP_2)
	v_mbcnt_lo_u32_b32 v179, v37, 0
	v_cmp_ne_u32_e64 s16, 0, v37
	v_cmp_eq_u32_e32 vcc_lo, 0, v179
	s_delay_alu instid0(VALU_DEP_2) | instskip(NEXT) | instid1(SALU_CYCLE_1)
	s_and_b32 s17, s16, vcc_lo
	s_and_saveexec_b32 s16, s17
	s_cbranch_execz .LBB1850_1036
; %bb.1035:                             ;   in Loop: Header=BB1850_982 Depth=2
	s_waitcnt lgkmcnt(0)
	v_bcnt_u32_b32 v37, v37, v178
	ds_store_b32 v180, v37
.LBB1850_1036:                          ;   in Loop: Header=BB1850_982 Depth=2
	s_or_b32 exec_lo, exec_lo, s16
	v_cmp_lt_i16_e32 vcc_lo, -1, v43
	; wave barrier
	v_cndmask_b32_e64 v37, -1, 0xffff8000, vcc_lo
	s_delay_alu instid0(VALU_DEP_1) | instskip(NEXT) | instid1(VALU_DEP_1)
	v_xor_b32_e32 v177, v37, v43
	v_cmp_ne_u16_e64 vcc_lo, 0x7fff, v177
	v_cndmask_b32_e32 v37, 0xffff8000, v177, vcc_lo
	s_delay_alu instid0(VALU_DEP_1) | instskip(NEXT) | instid1(VALU_DEP_1)
	v_and_b32_e32 v37, 0xffff, v37
	v_lshrrev_b32_e32 v37, s49, v37
	s_delay_alu instid0(VALU_DEP_1) | instskip(NEXT) | instid1(VALU_DEP_1)
	v_and_b32_e32 v37, s55, v37
	v_and_b32_e32 v43, 1, v37
	v_lshlrev_b32_e32 v181, 30, v37
	v_lshlrev_b32_e32 v182, 29, v37
	;; [unrolled: 1-line block ×4, first 2 shown]
	v_add_co_u32 v43, s16, v43, -1
	s_delay_alu instid0(VALU_DEP_1)
	v_cndmask_b32_e64 v184, 0, 1, s16
	v_not_b32_e32 v188, v181
	v_cmp_gt_i32_e64 s16, 0, v181
	v_not_b32_e32 v181, v182
	v_lshlrev_b32_e32 v186, 26, v37
	v_cmp_ne_u32_e32 vcc_lo, 0, v184
	v_ashrrev_i32_e32 v188, 31, v188
	v_lshlrev_b32_e32 v187, 25, v37
	v_ashrrev_i32_e32 v181, 31, v181
	v_lshlrev_b32_e32 v184, 24, v37
	v_xor_b32_e32 v43, vcc_lo, v43
	v_cmp_gt_i32_e32 vcc_lo, 0, v182
	v_not_b32_e32 v182, v183
	v_xor_b32_e32 v188, s16, v188
	v_cmp_gt_i32_e64 s16, 0, v183
	v_and_b32_e32 v43, exec_lo, v43
	v_not_b32_e32 v183, v185
	v_ashrrev_i32_e32 v182, 31, v182
	v_xor_b32_e32 v181, vcc_lo, v181
	v_cmp_gt_i32_e32 vcc_lo, 0, v185
	v_and_b32_e32 v43, v43, v188
	v_not_b32_e32 v185, v186
	v_ashrrev_i32_e32 v183, 31, v183
	v_xor_b32_e32 v182, s16, v182
	v_cmp_gt_i32_e64 s16, 0, v186
	v_and_b32_e32 v43, v43, v181
	v_not_b32_e32 v181, v187
	v_ashrrev_i32_e32 v185, 31, v185
	v_xor_b32_e32 v183, vcc_lo, v183
	v_cmp_gt_i32_e32 vcc_lo, 0, v187
	v_and_b32_e32 v43, v43, v182
	v_not_b32_e32 v182, v184
	v_ashrrev_i32_e32 v181, 31, v181
	v_xor_b32_e32 v185, s16, v185
	v_mul_u32_u24_e32 v37, 9, v37
	v_and_b32_e32 v43, v43, v183
	v_cmp_gt_i32_e64 s16, 0, v184
	v_ashrrev_i32_e32 v182, 31, v182
	v_xor_b32_e32 v181, vcc_lo, v181
	v_add_lshl_u32 v184, v37, v126, 2
	v_and_b32_e32 v43, v43, v185
	s_delay_alu instid0(VALU_DEP_4) | instskip(SKIP_3) | instid1(VALU_DEP_2)
	v_xor_b32_e32 v37, s16, v182
	ds_load_b32 v182, v184 offset:1056
	v_and_b32_e32 v43, v43, v181
	v_add_nc_u32_e32 v184, 0x420, v184
	; wave barrier
	v_and_b32_e32 v37, v43, v37
	s_delay_alu instid0(VALU_DEP_1) | instskip(SKIP_1) | instid1(VALU_DEP_2)
	v_mbcnt_lo_u32_b32 v183, v37, 0
	v_cmp_ne_u32_e64 s16, 0, v37
	v_cmp_eq_u32_e32 vcc_lo, 0, v183
	s_delay_alu instid0(VALU_DEP_2) | instskip(NEXT) | instid1(SALU_CYCLE_1)
	s_and_b32 s17, s16, vcc_lo
	s_and_saveexec_b32 s16, s17
	s_cbranch_execz .LBB1850_1038
; %bb.1037:                             ;   in Loop: Header=BB1850_982 Depth=2
	s_waitcnt lgkmcnt(0)
	v_bcnt_u32_b32 v37, v37, v182
	ds_store_b32 v184, v37
.LBB1850_1038:                          ;   in Loop: Header=BB1850_982 Depth=2
	s_or_b32 exec_lo, exec_lo, s16
	v_cmp_lt_i16_e32 vcc_lo, -1, v42
	; wave barrier
	v_cndmask_b32_e64 v37, -1, 0xffff8000, vcc_lo
	s_delay_alu instid0(VALU_DEP_1) | instskip(NEXT) | instid1(VALU_DEP_1)
	v_xor_b32_e32 v181, v37, v42
	v_cmp_ne_u16_e64 vcc_lo, 0x7fff, v181
	v_cndmask_b32_e32 v37, 0xffff8000, v181, vcc_lo
	s_delay_alu instid0(VALU_DEP_1) | instskip(NEXT) | instid1(VALU_DEP_1)
	v_and_b32_e32 v37, 0xffff, v37
	v_lshrrev_b32_e32 v37, s49, v37
	s_delay_alu instid0(VALU_DEP_1) | instskip(NEXT) | instid1(VALU_DEP_1)
	v_and_b32_e32 v37, s55, v37
	v_and_b32_e32 v42, 1, v37
	v_lshlrev_b32_e32 v43, 30, v37
	v_lshlrev_b32_e32 v185, 29, v37
	;; [unrolled: 1-line block ×4, first 2 shown]
	v_add_co_u32 v42, s16, v42, -1
	s_delay_alu instid0(VALU_DEP_1)
	v_cndmask_b32_e64 v187, 0, 1, s16
	v_not_b32_e32 v191, v43
	v_cmp_gt_i32_e64 s16, 0, v43
	v_not_b32_e32 v43, v185
	v_lshlrev_b32_e32 v189, 26, v37
	v_cmp_ne_u32_e32 vcc_lo, 0, v187
	v_ashrrev_i32_e32 v191, 31, v191
	v_lshlrev_b32_e32 v190, 25, v37
	v_ashrrev_i32_e32 v43, 31, v43
	v_lshlrev_b32_e32 v187, 24, v37
	v_xor_b32_e32 v42, vcc_lo, v42
	v_cmp_gt_i32_e32 vcc_lo, 0, v185
	v_not_b32_e32 v185, v186
	v_xor_b32_e32 v191, s16, v191
	v_cmp_gt_i32_e64 s16, 0, v186
	v_and_b32_e32 v42, exec_lo, v42
	v_not_b32_e32 v186, v188
	v_ashrrev_i32_e32 v185, 31, v185
	v_xor_b32_e32 v43, vcc_lo, v43
	v_cmp_gt_i32_e32 vcc_lo, 0, v188
	v_and_b32_e32 v42, v42, v191
	v_not_b32_e32 v188, v189
	v_ashrrev_i32_e32 v186, 31, v186
	v_xor_b32_e32 v185, s16, v185
	v_cmp_gt_i32_e64 s16, 0, v189
	v_and_b32_e32 v42, v42, v43
	v_not_b32_e32 v43, v190
	v_ashrrev_i32_e32 v188, 31, v188
	v_xor_b32_e32 v186, vcc_lo, v186
	v_cmp_gt_i32_e32 vcc_lo, 0, v190
	v_and_b32_e32 v42, v42, v185
	v_not_b32_e32 v185, v187
	v_ashrrev_i32_e32 v43, 31, v43
	v_xor_b32_e32 v188, s16, v188
	v_mul_u32_u24_e32 v37, 9, v37
	v_and_b32_e32 v42, v42, v186
	v_cmp_gt_i32_e64 s16, 0, v187
	v_ashrrev_i32_e32 v185, 31, v185
	v_xor_b32_e32 v43, vcc_lo, v43
	s_delay_alu instid0(VALU_DEP_4) | instskip(SKIP_1) | instid1(VALU_DEP_4)
	v_and_b32_e32 v42, v42, v188
	v_add_lshl_u32 v188, v37, v126, 2
	v_xor_b32_e32 v37, s16, v185
	s_delay_alu instid0(VALU_DEP_3) | instskip(SKIP_3) | instid1(VALU_DEP_1)
	v_and_b32_e32 v42, v42, v43
	ds_load_b32 v186, v188 offset:1056
	v_add_nc_u32_e32 v188, 0x420, v188
	; wave barrier
	v_and_b32_e32 v37, v42, v37
	v_mbcnt_lo_u32_b32 v187, v37, 0
	v_cmp_ne_u32_e64 s16, 0, v37
	s_delay_alu instid0(VALU_DEP_2) | instskip(NEXT) | instid1(VALU_DEP_2)
	v_cmp_eq_u32_e32 vcc_lo, 0, v187
	s_and_b32 s17, s16, vcc_lo
	s_delay_alu instid0(SALU_CYCLE_1)
	s_and_saveexec_b32 s16, s17
	s_cbranch_execz .LBB1850_1040
; %bb.1039:                             ;   in Loop: Header=BB1850_982 Depth=2
	s_waitcnt lgkmcnt(0)
	v_bcnt_u32_b32 v37, v37, v186
	ds_store_b32 v188, v37
.LBB1850_1040:                          ;   in Loop: Header=BB1850_982 Depth=2
	s_or_b32 exec_lo, exec_lo, s16
	v_cmp_lt_i16_e32 vcc_lo, -1, v41
	; wave barrier
	v_cndmask_b32_e64 v37, -1, 0xffff8000, vcc_lo
	s_delay_alu instid0(VALU_DEP_1) | instskip(NEXT) | instid1(VALU_DEP_1)
	v_xor_b32_e32 v185, v37, v41
	v_cmp_ne_u16_e64 vcc_lo, 0x7fff, v185
	v_cndmask_b32_e32 v37, 0xffff8000, v185, vcc_lo
	s_delay_alu instid0(VALU_DEP_1) | instskip(NEXT) | instid1(VALU_DEP_1)
	v_and_b32_e32 v37, 0xffff, v37
	v_lshrrev_b32_e32 v37, s49, v37
	s_delay_alu instid0(VALU_DEP_1) | instskip(NEXT) | instid1(VALU_DEP_1)
	v_and_b32_e32 v37, s55, v37
	v_and_b32_e32 v41, 1, v37
	v_lshlrev_b32_e32 v42, 30, v37
	v_lshlrev_b32_e32 v43, 29, v37
	;; [unrolled: 1-line block ×4, first 2 shown]
	v_add_co_u32 v41, s16, v41, -1
	s_delay_alu instid0(VALU_DEP_1)
	v_cndmask_b32_e64 v190, 0, 1, s16
	v_not_b32_e32 v194, v42
	v_cmp_gt_i32_e64 s16, 0, v42
	v_not_b32_e32 v42, v43
	v_lshlrev_b32_e32 v192, 26, v37
	v_cmp_ne_u32_e32 vcc_lo, 0, v190
	v_ashrrev_i32_e32 v194, 31, v194
	v_lshlrev_b32_e32 v193, 25, v37
	v_ashrrev_i32_e32 v42, 31, v42
	v_lshlrev_b32_e32 v190, 24, v37
	v_xor_b32_e32 v41, vcc_lo, v41
	v_cmp_gt_i32_e32 vcc_lo, 0, v43
	v_not_b32_e32 v43, v189
	v_xor_b32_e32 v194, s16, v194
	v_cmp_gt_i32_e64 s16, 0, v189
	v_and_b32_e32 v41, exec_lo, v41
	v_not_b32_e32 v189, v191
	v_ashrrev_i32_e32 v43, 31, v43
	v_xor_b32_e32 v42, vcc_lo, v42
	v_cmp_gt_i32_e32 vcc_lo, 0, v191
	v_and_b32_e32 v41, v41, v194
	v_not_b32_e32 v191, v192
	v_ashrrev_i32_e32 v189, 31, v189
	v_xor_b32_e32 v43, s16, v43
	v_cmp_gt_i32_e64 s16, 0, v192
	v_and_b32_e32 v41, v41, v42
	v_not_b32_e32 v42, v193
	v_ashrrev_i32_e32 v191, 31, v191
	v_xor_b32_e32 v189, vcc_lo, v189
	v_cmp_gt_i32_e32 vcc_lo, 0, v193
	v_and_b32_e32 v41, v41, v43
	v_not_b32_e32 v43, v190
	v_ashrrev_i32_e32 v42, 31, v42
	v_xor_b32_e32 v191, s16, v191
	v_mul_u32_u24_e32 v37, 9, v37
	v_and_b32_e32 v41, v41, v189
	v_cmp_gt_i32_e64 s16, 0, v190
	v_ashrrev_i32_e32 v43, 31, v43
	v_xor_b32_e32 v42, vcc_lo, v42
	v_add_lshl_u32 v189, v37, v126, 2
	v_and_b32_e32 v41, v41, v191
	s_delay_alu instid0(VALU_DEP_4) | instskip(SKIP_3) | instid1(VALU_DEP_2)
	v_xor_b32_e32 v37, s16, v43
	ds_load_b32 v190, v189 offset:1056
	v_and_b32_e32 v41, v41, v42
	v_add_nc_u32_e32 v192, 0x420, v189
	; wave barrier
	v_and_b32_e32 v37, v41, v37
	s_delay_alu instid0(VALU_DEP_1) | instskip(SKIP_1) | instid1(VALU_DEP_2)
	v_mbcnt_lo_u32_b32 v191, v37, 0
	v_cmp_ne_u32_e64 s16, 0, v37
	v_cmp_eq_u32_e32 vcc_lo, 0, v191
	s_delay_alu instid0(VALU_DEP_2) | instskip(NEXT) | instid1(SALU_CYCLE_1)
	s_and_b32 s17, s16, vcc_lo
	s_and_saveexec_b32 s16, s17
	s_cbranch_execz .LBB1850_1042
; %bb.1041:                             ;   in Loop: Header=BB1850_982 Depth=2
	s_waitcnt lgkmcnt(0)
	v_bcnt_u32_b32 v37, v37, v190
	ds_store_b32 v192, v37
.LBB1850_1042:                          ;   in Loop: Header=BB1850_982 Depth=2
	s_or_b32 exec_lo, exec_lo, s16
	v_cmp_lt_i16_e32 vcc_lo, -1, v40
	; wave barrier
	v_cndmask_b32_e64 v37, -1, 0xffff8000, vcc_lo
	s_delay_alu instid0(VALU_DEP_1) | instskip(NEXT) | instid1(VALU_DEP_1)
	v_xor_b32_e32 v189, v37, v40
	v_cmp_ne_u16_e64 vcc_lo, 0x7fff, v189
	v_cndmask_b32_e32 v37, 0xffff8000, v189, vcc_lo
	s_delay_alu instid0(VALU_DEP_1) | instskip(NEXT) | instid1(VALU_DEP_1)
	v_and_b32_e32 v37, 0xffff, v37
	v_lshrrev_b32_e32 v37, s49, v37
	s_delay_alu instid0(VALU_DEP_1) | instskip(NEXT) | instid1(VALU_DEP_1)
	v_and_b32_e32 v37, s55, v37
	v_and_b32_e32 v40, 1, v37
	v_lshlrev_b32_e32 v41, 30, v37
	v_lshlrev_b32_e32 v42, 29, v37
	;; [unrolled: 1-line block ×4, first 2 shown]
	v_add_co_u32 v40, s16, v40, -1
	s_delay_alu instid0(VALU_DEP_1)
	v_cndmask_b32_e64 v193, 0, 1, s16
	v_not_b32_e32 v197, v41
	v_cmp_gt_i32_e64 s16, 0, v41
	v_not_b32_e32 v41, v42
	v_lshlrev_b32_e32 v195, 26, v37
	v_cmp_ne_u32_e32 vcc_lo, 0, v193
	v_ashrrev_i32_e32 v197, 31, v197
	v_lshlrev_b32_e32 v196, 25, v37
	v_ashrrev_i32_e32 v41, 31, v41
	v_lshlrev_b32_e32 v193, 24, v37
	v_xor_b32_e32 v40, vcc_lo, v40
	v_cmp_gt_i32_e32 vcc_lo, 0, v42
	v_not_b32_e32 v42, v43
	v_xor_b32_e32 v197, s16, v197
	v_cmp_gt_i32_e64 s16, 0, v43
	v_and_b32_e32 v40, exec_lo, v40
	v_not_b32_e32 v43, v194
	v_ashrrev_i32_e32 v42, 31, v42
	v_xor_b32_e32 v41, vcc_lo, v41
	v_cmp_gt_i32_e32 vcc_lo, 0, v194
	v_and_b32_e32 v40, v40, v197
	v_not_b32_e32 v194, v195
	v_ashrrev_i32_e32 v43, 31, v43
	v_xor_b32_e32 v42, s16, v42
	v_cmp_gt_i32_e64 s16, 0, v195
	v_and_b32_e32 v40, v40, v41
	v_not_b32_e32 v41, v196
	v_ashrrev_i32_e32 v194, 31, v194
	v_xor_b32_e32 v43, vcc_lo, v43
	v_cmp_gt_i32_e32 vcc_lo, 0, v196
	v_and_b32_e32 v40, v40, v42
	v_not_b32_e32 v42, v193
	v_ashrrev_i32_e32 v41, 31, v41
	v_xor_b32_e32 v194, s16, v194
	v_mul_u32_u24_e32 v37, 9, v37
	v_and_b32_e32 v40, v40, v43
	v_cmp_gt_i32_e64 s16, 0, v193
	v_ashrrev_i32_e32 v42, 31, v42
	v_xor_b32_e32 v41, vcc_lo, v41
	v_add_lshl_u32 v43, v37, v126, 2
	v_and_b32_e32 v40, v40, v194
	s_delay_alu instid0(VALU_DEP_4) | instskip(SKIP_3) | instid1(VALU_DEP_2)
	v_xor_b32_e32 v37, s16, v42
	ds_load_b32 v194, v43 offset:1056
	v_and_b32_e32 v40, v40, v41
	v_add_nc_u32_e32 v196, 0x420, v43
	; wave barrier
	v_and_b32_e32 v37, v40, v37
	s_delay_alu instid0(VALU_DEP_1) | instskip(SKIP_1) | instid1(VALU_DEP_2)
	v_mbcnt_lo_u32_b32 v195, v37, 0
	v_cmp_ne_u32_e64 s16, 0, v37
	v_cmp_eq_u32_e32 vcc_lo, 0, v195
	s_delay_alu instid0(VALU_DEP_2) | instskip(NEXT) | instid1(SALU_CYCLE_1)
	s_and_b32 s17, s16, vcc_lo
	s_and_saveexec_b32 s16, s17
	s_cbranch_execz .LBB1850_1044
; %bb.1043:                             ;   in Loop: Header=BB1850_982 Depth=2
	s_waitcnt lgkmcnt(0)
	v_bcnt_u32_b32 v37, v37, v194
	ds_store_b32 v196, v37
.LBB1850_1044:                          ;   in Loop: Header=BB1850_982 Depth=2
	s_or_b32 exec_lo, exec_lo, s16
	v_cmp_lt_i16_e32 vcc_lo, -1, v39
	; wave barrier
	v_cndmask_b32_e64 v37, -1, 0xffff8000, vcc_lo
	s_delay_alu instid0(VALU_DEP_1) | instskip(NEXT) | instid1(VALU_DEP_1)
	v_xor_b32_e32 v193, v37, v39
	v_cmp_ne_u16_e64 vcc_lo, 0x7fff, v193
	v_cndmask_b32_e32 v37, 0xffff8000, v193, vcc_lo
	s_delay_alu instid0(VALU_DEP_1) | instskip(NEXT) | instid1(VALU_DEP_1)
	v_and_b32_e32 v37, 0xffff, v37
	v_lshrrev_b32_e32 v37, s49, v37
	s_delay_alu instid0(VALU_DEP_1) | instskip(NEXT) | instid1(VALU_DEP_1)
	v_and_b32_e32 v37, s55, v37
	v_and_b32_e32 v39, 1, v37
	v_lshlrev_b32_e32 v40, 30, v37
	v_lshlrev_b32_e32 v41, 29, v37
	;; [unrolled: 1-line block ×4, first 2 shown]
	v_add_co_u32 v39, s16, v39, -1
	s_delay_alu instid0(VALU_DEP_1)
	v_cndmask_b32_e64 v43, 0, 1, s16
	v_not_b32_e32 v200, v40
	v_cmp_gt_i32_e64 s16, 0, v40
	v_not_b32_e32 v40, v41
	v_lshlrev_b32_e32 v198, 26, v37
	v_cmp_ne_u32_e32 vcc_lo, 0, v43
	v_ashrrev_i32_e32 v200, 31, v200
	v_lshlrev_b32_e32 v199, 25, v37
	v_ashrrev_i32_e32 v40, 31, v40
	v_lshlrev_b32_e32 v43, 24, v37
	v_xor_b32_e32 v39, vcc_lo, v39
	v_cmp_gt_i32_e32 vcc_lo, 0, v41
	v_not_b32_e32 v41, v42
	v_xor_b32_e32 v200, s16, v200
	v_cmp_gt_i32_e64 s16, 0, v42
	v_and_b32_e32 v39, exec_lo, v39
	v_not_b32_e32 v42, v197
	v_ashrrev_i32_e32 v41, 31, v41
	v_xor_b32_e32 v40, vcc_lo, v40
	v_cmp_gt_i32_e32 vcc_lo, 0, v197
	v_and_b32_e32 v39, v39, v200
	v_not_b32_e32 v197, v198
	v_ashrrev_i32_e32 v42, 31, v42
	v_xor_b32_e32 v41, s16, v41
	v_cmp_gt_i32_e64 s16, 0, v198
	v_and_b32_e32 v39, v39, v40
	v_not_b32_e32 v40, v199
	v_ashrrev_i32_e32 v197, 31, v197
	v_xor_b32_e32 v42, vcc_lo, v42
	v_cmp_gt_i32_e32 vcc_lo, 0, v199
	v_and_b32_e32 v39, v39, v41
	v_not_b32_e32 v41, v43
	v_ashrrev_i32_e32 v40, 31, v40
	v_xor_b32_e32 v197, s16, v197
	v_mul_u32_u24_e32 v37, 9, v37
	v_and_b32_e32 v39, v39, v42
	v_cmp_gt_i32_e64 s16, 0, v43
	v_ashrrev_i32_e32 v41, 31, v41
	v_xor_b32_e32 v40, vcc_lo, v40
	v_add_lshl_u32 v42, v37, v126, 2
	v_and_b32_e32 v39, v39, v197
	s_delay_alu instid0(VALU_DEP_4) | instskip(SKIP_3) | instid1(VALU_DEP_2)
	v_xor_b32_e32 v37, s16, v41
	ds_load_b32 v198, v42 offset:1056
	v_and_b32_e32 v39, v39, v40
	v_add_nc_u32_e32 v200, 0x420, v42
	; wave barrier
	v_and_b32_e32 v37, v39, v37
	s_delay_alu instid0(VALU_DEP_1) | instskip(SKIP_1) | instid1(VALU_DEP_2)
	v_mbcnt_lo_u32_b32 v199, v37, 0
	v_cmp_ne_u32_e64 s16, 0, v37
	v_cmp_eq_u32_e32 vcc_lo, 0, v199
	s_delay_alu instid0(VALU_DEP_2) | instskip(NEXT) | instid1(SALU_CYCLE_1)
	s_and_b32 s17, s16, vcc_lo
	s_and_saveexec_b32 s16, s17
	s_cbranch_execz .LBB1850_1046
; %bb.1045:                             ;   in Loop: Header=BB1850_982 Depth=2
	s_waitcnt lgkmcnt(0)
	v_bcnt_u32_b32 v37, v37, v198
	ds_store_b32 v200, v37
.LBB1850_1046:                          ;   in Loop: Header=BB1850_982 Depth=2
	s_or_b32 exec_lo, exec_lo, s16
	v_cmp_lt_i16_e32 vcc_lo, -1, v38
	; wave barrier
	v_cndmask_b32_e64 v37, -1, 0xffff8000, vcc_lo
	s_delay_alu instid0(VALU_DEP_1) | instskip(NEXT) | instid1(VALU_DEP_1)
	v_xor_b32_e32 v197, v37, v38
	v_cmp_ne_u16_e64 vcc_lo, 0x7fff, v197
	v_cndmask_b32_e32 v37, 0xffff8000, v197, vcc_lo
	s_delay_alu instid0(VALU_DEP_1) | instskip(NEXT) | instid1(VALU_DEP_1)
	v_and_b32_e32 v37, 0xffff, v37
	v_lshrrev_b32_e32 v37, s49, v37
	s_delay_alu instid0(VALU_DEP_1) | instskip(NEXT) | instid1(VALU_DEP_1)
	v_and_b32_e32 v37, s55, v37
	v_and_b32_e32 v38, 1, v37
	v_lshlrev_b32_e32 v39, 30, v37
	v_lshlrev_b32_e32 v40, 29, v37
	;; [unrolled: 1-line block ×4, first 2 shown]
	v_add_co_u32 v38, s16, v38, -1
	s_delay_alu instid0(VALU_DEP_1)
	v_cndmask_b32_e64 v42, 0, 1, s16
	v_not_b32_e32 v203, v39
	v_cmp_gt_i32_e64 s16, 0, v39
	v_not_b32_e32 v39, v40
	v_lshlrev_b32_e32 v201, 26, v37
	v_cmp_ne_u32_e32 vcc_lo, 0, v42
	v_ashrrev_i32_e32 v203, 31, v203
	v_lshlrev_b32_e32 v202, 25, v37
	v_ashrrev_i32_e32 v39, 31, v39
	v_lshlrev_b32_e32 v42, 24, v37
	v_xor_b32_e32 v38, vcc_lo, v38
	v_cmp_gt_i32_e32 vcc_lo, 0, v40
	v_not_b32_e32 v40, v41
	v_xor_b32_e32 v203, s16, v203
	v_cmp_gt_i32_e64 s16, 0, v41
	v_and_b32_e32 v38, exec_lo, v38
	v_not_b32_e32 v41, v43
	v_ashrrev_i32_e32 v40, 31, v40
	v_xor_b32_e32 v39, vcc_lo, v39
	v_cmp_gt_i32_e32 vcc_lo, 0, v43
	v_and_b32_e32 v38, v38, v203
	v_not_b32_e32 v43, v201
	v_ashrrev_i32_e32 v41, 31, v41
	v_xor_b32_e32 v40, s16, v40
	v_cmp_gt_i32_e64 s16, 0, v201
	v_and_b32_e32 v38, v38, v39
	v_not_b32_e32 v39, v202
	v_ashrrev_i32_e32 v43, 31, v43
	v_xor_b32_e32 v41, vcc_lo, v41
	v_cmp_gt_i32_e32 vcc_lo, 0, v202
	v_and_b32_e32 v38, v38, v40
	v_not_b32_e32 v40, v42
	v_ashrrev_i32_e32 v39, 31, v39
	v_xor_b32_e32 v43, s16, v43
	v_mul_u32_u24_e32 v37, 9, v37
	v_and_b32_e32 v38, v38, v41
	v_cmp_gt_i32_e64 s16, 0, v42
	v_ashrrev_i32_e32 v40, 31, v40
	v_xor_b32_e32 v39, vcc_lo, v39
	v_add_lshl_u32 v41, v37, v126, 2
	v_and_b32_e32 v38, v38, v43
	s_delay_alu instid0(VALU_DEP_4) | instskip(SKIP_3) | instid1(VALU_DEP_2)
	v_xor_b32_e32 v37, s16, v40
	ds_load_b32 v202, v41 offset:1056
	v_and_b32_e32 v38, v38, v39
	v_add_nc_u32_e32 v204, 0x420, v41
	; wave barrier
	v_and_b32_e32 v37, v38, v37
	s_delay_alu instid0(VALU_DEP_1) | instskip(SKIP_1) | instid1(VALU_DEP_2)
	v_mbcnt_lo_u32_b32 v203, v37, 0
	v_cmp_ne_u32_e64 s16, 0, v37
	v_cmp_eq_u32_e32 vcc_lo, 0, v203
	s_delay_alu instid0(VALU_DEP_2) | instskip(NEXT) | instid1(SALU_CYCLE_1)
	s_and_b32 s17, s16, vcc_lo
	s_and_saveexec_b32 s16, s17
	s_cbranch_execz .LBB1850_1048
; %bb.1047:                             ;   in Loop: Header=BB1850_982 Depth=2
	s_waitcnt lgkmcnt(0)
	v_bcnt_u32_b32 v37, v37, v202
	ds_store_b32 v204, v37
.LBB1850_1048:                          ;   in Loop: Header=BB1850_982 Depth=2
	s_or_b32 exec_lo, exec_lo, s16
	v_cmp_lt_i16_e32 vcc_lo, -1, v36
	; wave barrier
	v_cndmask_b32_e64 v37, -1, 0xffff8000, vcc_lo
	s_delay_alu instid0(VALU_DEP_1) | instskip(NEXT) | instid1(VALU_DEP_1)
	v_xor_b32_e32 v201, v37, v36
	v_cmp_ne_u16_e64 vcc_lo, 0x7fff, v201
	v_cndmask_b32_e32 v36, 0xffff8000, v201, vcc_lo
	s_delay_alu instid0(VALU_DEP_1) | instskip(NEXT) | instid1(VALU_DEP_1)
	v_and_b32_e32 v36, 0xffff, v36
	v_lshrrev_b32_e32 v36, s49, v36
	s_delay_alu instid0(VALU_DEP_1) | instskip(NEXT) | instid1(VALU_DEP_1)
	v_and_b32_e32 v36, s55, v36
	v_and_b32_e32 v37, 1, v36
	v_lshlrev_b32_e32 v38, 30, v36
	v_lshlrev_b32_e32 v39, 29, v36
	;; [unrolled: 1-line block ×4, first 2 shown]
	v_add_co_u32 v37, s16, v37, -1
	s_delay_alu instid0(VALU_DEP_1)
	v_cndmask_b32_e64 v41, 0, 1, s16
	v_not_b32_e32 v206, v38
	v_cmp_gt_i32_e64 s16, 0, v38
	v_not_b32_e32 v38, v39
	v_lshlrev_b32_e32 v43, 26, v36
	v_cmp_ne_u32_e32 vcc_lo, 0, v41
	v_ashrrev_i32_e32 v206, 31, v206
	v_lshlrev_b32_e32 v205, 25, v36
	v_ashrrev_i32_e32 v38, 31, v38
	v_lshlrev_b32_e32 v41, 24, v36
	v_xor_b32_e32 v37, vcc_lo, v37
	v_cmp_gt_i32_e32 vcc_lo, 0, v39
	v_not_b32_e32 v39, v40
	v_xor_b32_e32 v206, s16, v206
	v_cmp_gt_i32_e64 s16, 0, v40
	v_and_b32_e32 v37, exec_lo, v37
	v_not_b32_e32 v40, v42
	v_ashrrev_i32_e32 v39, 31, v39
	v_xor_b32_e32 v38, vcc_lo, v38
	v_cmp_gt_i32_e32 vcc_lo, 0, v42
	v_and_b32_e32 v37, v37, v206
	v_not_b32_e32 v42, v43
	v_ashrrev_i32_e32 v40, 31, v40
	v_xor_b32_e32 v39, s16, v39
	v_cmp_gt_i32_e64 s16, 0, v43
	v_and_b32_e32 v37, v37, v38
	v_not_b32_e32 v38, v205
	v_ashrrev_i32_e32 v42, 31, v42
	v_xor_b32_e32 v40, vcc_lo, v40
	v_cmp_gt_i32_e32 vcc_lo, 0, v205
	v_and_b32_e32 v37, v37, v39
	v_not_b32_e32 v39, v41
	v_ashrrev_i32_e32 v38, 31, v38
	v_xor_b32_e32 v42, s16, v42
	v_mul_u32_u24_e32 v36, 9, v36
	v_and_b32_e32 v37, v37, v40
	v_cmp_gt_i32_e64 s16, 0, v41
	v_ashrrev_i32_e32 v39, 31, v39
	v_xor_b32_e32 v38, vcc_lo, v38
	v_add_lshl_u32 v40, v36, v126, 2
	v_and_b32_e32 v37, v37, v42
	s_delay_alu instid0(VALU_DEP_4) | instskip(SKIP_3) | instid1(VALU_DEP_2)
	v_xor_b32_e32 v36, s16, v39
	ds_load_b32 v205, v40 offset:1056
	v_and_b32_e32 v37, v37, v38
	v_add_nc_u32_e32 v207, 0x420, v40
	; wave barrier
	v_and_b32_e32 v36, v37, v36
	s_delay_alu instid0(VALU_DEP_1) | instskip(SKIP_1) | instid1(VALU_DEP_2)
	v_mbcnt_lo_u32_b32 v206, v36, 0
	v_cmp_ne_u32_e64 s16, 0, v36
	v_cmp_eq_u32_e32 vcc_lo, 0, v206
	s_delay_alu instid0(VALU_DEP_2) | instskip(NEXT) | instid1(SALU_CYCLE_1)
	s_and_b32 s17, s16, vcc_lo
	s_and_saveexec_b32 s16, s17
	s_cbranch_execz .LBB1850_1050
; %bb.1049:                             ;   in Loop: Header=BB1850_982 Depth=2
	s_waitcnt lgkmcnt(0)
	v_bcnt_u32_b32 v36, v36, v205
	ds_store_b32 v207, v36
.LBB1850_1050:                          ;   in Loop: Header=BB1850_982 Depth=2
	s_or_b32 exec_lo, exec_lo, s16
	; wave barrier
	s_waitcnt lgkmcnt(0)
	s_barrier
	buffer_gl0_inv
	ds_load_b32 v208, v69 offset:1056
	ds_load_2addr_b32 v[42:43], v71 offset0:1 offset1:2
	ds_load_2addr_b32 v[40:41], v71 offset0:3 offset1:4
	;; [unrolled: 1-line block ×4, first 2 shown]
	s_waitcnt lgkmcnt(3)
	v_add3_u32 v209, v42, v208, v43
	s_waitcnt lgkmcnt(2)
	s_delay_alu instid0(VALU_DEP_1) | instskip(SKIP_1) | instid1(VALU_DEP_1)
	v_add3_u32 v209, v209, v40, v41
	s_waitcnt lgkmcnt(1)
	v_add3_u32 v209, v209, v36, v37
	s_waitcnt lgkmcnt(0)
	s_delay_alu instid0(VALU_DEP_1) | instskip(NEXT) | instid1(VALU_DEP_1)
	v_add3_u32 v39, v209, v38, v39
	v_mov_b32_dpp v209, v39 row_shr:1 row_mask:0xf bank_mask:0xf
	s_delay_alu instid0(VALU_DEP_1) | instskip(NEXT) | instid1(VALU_DEP_1)
	v_cndmask_b32_e64 v209, v209, 0, s0
	v_add_nc_u32_e32 v39, v209, v39
	s_delay_alu instid0(VALU_DEP_1) | instskip(NEXT) | instid1(VALU_DEP_1)
	v_mov_b32_dpp v209, v39 row_shr:2 row_mask:0xf bank_mask:0xf
	v_cndmask_b32_e64 v209, 0, v209, s1
	s_delay_alu instid0(VALU_DEP_1) | instskip(NEXT) | instid1(VALU_DEP_1)
	v_add_nc_u32_e32 v39, v39, v209
	v_mov_b32_dpp v209, v39 row_shr:4 row_mask:0xf bank_mask:0xf
	s_delay_alu instid0(VALU_DEP_1) | instskip(NEXT) | instid1(VALU_DEP_1)
	v_cndmask_b32_e64 v209, 0, v209, s8
	v_add_nc_u32_e32 v39, v39, v209
	s_delay_alu instid0(VALU_DEP_1) | instskip(NEXT) | instid1(VALU_DEP_1)
	v_mov_b32_dpp v209, v39 row_shr:8 row_mask:0xf bank_mask:0xf
	v_cndmask_b32_e64 v209, 0, v209, s9
	s_delay_alu instid0(VALU_DEP_1) | instskip(SKIP_3) | instid1(VALU_DEP_1)
	v_add_nc_u32_e32 v39, v39, v209
	ds_swizzle_b32 v209, v39 offset:swizzle(BROADCAST,32,15)
	s_waitcnt lgkmcnt(0)
	v_cndmask_b32_e64 v209, v209, 0, s10
	v_add_nc_u32_e32 v39, v39, v209
	s_and_saveexec_b32 s16, s3
	s_cbranch_execz .LBB1850_1052
; %bb.1051:                             ;   in Loop: Header=BB1850_982 Depth=2
	ds_store_b32 v62, v39 offset:1024
.LBB1850_1052:                          ;   in Loop: Header=BB1850_982 Depth=2
	s_or_b32 exec_lo, exec_lo, s16
	s_waitcnt lgkmcnt(0)
	s_barrier
	buffer_gl0_inv
	s_and_saveexec_b32 s16, s4
	s_cbranch_execz .LBB1850_1054
; %bb.1053:                             ;   in Loop: Header=BB1850_982 Depth=2
	ds_load_b32 v209, v72 offset:1024
	s_waitcnt lgkmcnt(0)
	v_mov_b32_dpp v210, v209 row_shr:1 row_mask:0xf bank_mask:0xf
	s_delay_alu instid0(VALU_DEP_1) | instskip(NEXT) | instid1(VALU_DEP_1)
	v_cndmask_b32_e64 v210, v210, 0, s12
	v_add_nc_u32_e32 v209, v210, v209
	s_delay_alu instid0(VALU_DEP_1) | instskip(NEXT) | instid1(VALU_DEP_1)
	v_mov_b32_dpp v210, v209 row_shr:2 row_mask:0xf bank_mask:0xf
	v_cndmask_b32_e64 v210, 0, v210, s13
	s_delay_alu instid0(VALU_DEP_1) | instskip(NEXT) | instid1(VALU_DEP_1)
	v_add_nc_u32_e32 v209, v209, v210
	v_mov_b32_dpp v210, v209 row_shr:4 row_mask:0xf bank_mask:0xf
	s_delay_alu instid0(VALU_DEP_1) | instskip(NEXT) | instid1(VALU_DEP_1)
	v_cndmask_b32_e64 v210, 0, v210, s14
	v_add_nc_u32_e32 v209, v209, v210
	ds_store_b32 v72, v209 offset:1024
.LBB1850_1054:                          ;   in Loop: Header=BB1850_982 Depth=2
	s_or_b32 exec_lo, exec_lo, s16
	v_mov_b32_e32 v209, 0
	s_waitcnt lgkmcnt(0)
	s_barrier
	buffer_gl0_inv
	s_and_saveexec_b32 s16, s5
	s_cbranch_execz .LBB1850_1056
; %bb.1055:                             ;   in Loop: Header=BB1850_982 Depth=2
	ds_load_b32 v209, v62 offset:1020
.LBB1850_1056:                          ;   in Loop: Header=BB1850_982 Depth=2
	s_or_b32 exec_lo, exec_lo, s16
	s_waitcnt lgkmcnt(0)
	v_add_nc_u32_e32 v39, v209, v39
	ds_bpermute_b32 v39, v105, v39
	s_waitcnt lgkmcnt(0)
	v_cndmask_b32_e64 v39, v39, v209, s11
	s_delay_alu instid0(VALU_DEP_1) | instskip(NEXT) | instid1(VALU_DEP_1)
	v_cndmask_b32_e64 v39, v39, 0, s6
	v_add_nc_u32_e32 v208, v39, v208
	s_delay_alu instid0(VALU_DEP_1) | instskip(NEXT) | instid1(VALU_DEP_1)
	v_add_nc_u32_e32 v42, v208, v42
	v_add_nc_u32_e32 v43, v42, v43
	s_delay_alu instid0(VALU_DEP_1) | instskip(NEXT) | instid1(VALU_DEP_1)
	v_add_nc_u32_e32 v40, v43, v40
	;; [unrolled: 3-line block ×3, first 2 shown]
	v_add_nc_u32_e32 v37, v36, v37
	s_delay_alu instid0(VALU_DEP_1)
	v_add_nc_u32_e32 v38, v37, v38
	ds_store_b32 v69, v39 offset:1056
	ds_store_2addr_b32 v71, v208, v42 offset0:1 offset1:2
	ds_store_2addr_b32 v71, v43, v40 offset0:3 offset1:4
	;; [unrolled: 1-line block ×4, first 2 shown]
	v_mov_b32_e32 v38, 0x1000
	s_waitcnt lgkmcnt(0)
	s_barrier
	buffer_gl0_inv
	ds_load_b32 v39, v152
	ds_load_b32 v40, v156
	;; [unrolled: 1-line block ×16, first 2 shown]
	ds_load_b32 v156, v69 offset:1056
	s_and_saveexec_b32 s16, s7
	s_cbranch_execz .LBB1850_1058
; %bb.1057:                             ;   in Loop: Header=BB1850_982 Depth=2
	ds_load_b32 v38, v73 offset:1056
.LBB1850_1058:                          ;   in Loop: Header=BB1850_982 Depth=2
	s_or_b32 exec_lo, exec_lo, s16
	s_waitcnt lgkmcnt(0)
	s_barrier
	buffer_gl0_inv
	s_and_saveexec_b32 s16, s2
	s_cbranch_execz .LBB1850_1060
; %bb.1059:                             ;   in Loop: Header=BB1850_982 Depth=2
	ds_load_b32 v160, v44
	s_waitcnt lgkmcnt(0)
	v_sub_nc_u32_e32 v156, v160, v156
	ds_store_b32 v44, v156
.LBB1850_1060:                          ;   in Loop: Header=BB1850_982 Depth=2
	s_or_b32 exec_lo, exec_lo, s16
	v_add_nc_u32_e32 v168, v148, v146
	v_add3_u32 v164, v151, v150, v39
	v_add3_u32 v156, v159, v158, v41
	;; [unrolled: 1-line block ×4, first 2 shown]
	v_lshlrev_b32_e32 v158, 1, v168
	v_add3_u32 v154, v167, v166, v43
	v_add3_u32 v152, v172, v171, v152
	;; [unrolled: 1-line block ×3, first 2 shown]
	v_lshlrev_b32_e32 v36, 1, v164
	ds_store_b16 v158, v2 offset:1024
	v_lshlrev_b32_e32 v2, 1, v156
	v_add3_u32 v151, v175, v174, v173
	v_add3_u32 v41, v206, v205, v37
	v_lshlrev_b32_e32 v37, 1, v160
	v_lshlrev_b32_e32 v158, 1, v155
	v_add3_u32 v150, v179, v178, v176
	v_add3_u32 v146, v187, v186, v184
	ds_store_b16 v36, v147 offset:1024
	ds_store_b16 v37, v149 offset:1024
	v_lshlrev_b32_e32 v36, 1, v154
	ds_store_b16 v2, v153 offset:1024
	ds_store_b16 v158, v157 offset:1024
	v_lshlrev_b32_e32 v2, 1, v152
	v_add3_u32 v148, v183, v182, v180
	v_lshlrev_b32_e32 v37, 1, v151
	v_add3_u32 v42, v191, v190, v188
	v_add3_u32 v39, v199, v198, v196
	ds_store_b16 v36, v161 offset:1024
	v_lshlrev_b32_e32 v36, 1, v150
	ds_store_b16 v2, v165 offset:1024
	ds_store_b16 v37, v170 offset:1024
	v_lshlrev_b32_e32 v2, 1, v146
	v_add3_u32 v40, v195, v194, v192
	v_lshlrev_b32_e32 v147, 1, v148
	ds_store_b16 v36, v169 offset:1024
	ds_store_b16 v147, v177 offset:1024
	v_lshlrev_b32_e32 v36, 1, v42
	ds_store_b16 v2, v181 offset:1024
	v_lshlrev_b32_e32 v2, 1, v39
	v_lshlrev_b32_e32 v37, 1, v40
	;; [unrolled: 1-line block ×3, first 2 shown]
	ds_store_b16 v36, v185 offset:1024
	ds_store_b16 v37, v189 offset:1024
	v_lshlrev_b32_e32 v36, 1, v41
	ds_store_b16 v2, v193 offset:1024
	ds_store_b16 v147, v197 offset:1024
	v_cmp_lt_u32_e32 vcc_lo, v1, v145
	v_add_nc_u32_e32 v147, v72, v78
	ds_store_b16 v36, v201 offset:1024
	s_waitcnt lgkmcnt(0)
	s_barrier
	buffer_gl0_inv
	s_and_saveexec_b32 s17, vcc_lo
	s_cbranch_execz .LBB1850_1076
; %bb.1061:                             ;   in Loop: Header=BB1850_982 Depth=2
	ds_load_u16 v149, v147 offset:1024
	s_waitcnt lgkmcnt(0)
	v_cmp_ne_u16_e64 s16, 0x7fff, v149
	s_delay_alu instid0(VALU_DEP_1) | instskip(SKIP_1) | instid1(VALU_DEP_2)
	v_cndmask_b32_e64 v2, 0xffff8000, v149, s16
	v_cmp_lt_i16_e64 s16, -1, v149
	v_and_b32_e32 v2, 0xffff, v2
	s_delay_alu instid0(VALU_DEP_2) | instskip(NEXT) | instid1(VALU_DEP_2)
	v_cndmask_b32_e64 v153, 0xffff8000, -1, s16
	v_lshrrev_b32_e32 v2, s49, v2
	s_delay_alu instid0(VALU_DEP_1) | instskip(NEXT) | instid1(VALU_DEP_1)
	v_and_b32_e32 v2, s55, v2
	v_lshlrev_b32_e32 v2, 2, v2
	ds_load_b32 v2, v2
	s_waitcnt lgkmcnt(0)
	v_add_nc_u32_e32 v2, v2, v1
	s_delay_alu instid0(VALU_DEP_1) | instskip(SKIP_1) | instid1(VALU_DEP_2)
	v_lshlrev_b64 v[36:37], 1, v[2:3]
	v_xor_b32_e32 v2, v153, v149
	v_add_co_u32 v36, s16, s40, v36
	s_delay_alu instid0(VALU_DEP_1) | instskip(SKIP_3) | instid1(VALU_DEP_1)
	v_add_co_ci_u32_e64 v37, s16, s41, v37, s16
	global_store_b16 v[36:37], v2, off
	s_or_b32 exec_lo, exec_lo, s17
	v_cmp_lt_u32_e64 s16, v45, v145
	s_and_saveexec_b32 s18, s16
	s_cbranch_execnz .LBB1850_1077
.LBB1850_1062:                          ;   in Loop: Header=BB1850_982 Depth=2
	s_or_b32 exec_lo, exec_lo, s18
	v_cmp_lt_u32_e64 s17, v46, v145
	s_delay_alu instid0(VALU_DEP_1)
	s_and_saveexec_b32 s19, s17
	s_cbranch_execz .LBB1850_1078
.LBB1850_1063:                          ;   in Loop: Header=BB1850_982 Depth=2
	ds_load_u16 v149, v79 offset:1024
	s_waitcnt lgkmcnt(0)
	v_cmp_ne_u16_e64 s18, 0x7fff, v149
	s_delay_alu instid0(VALU_DEP_1) | instskip(SKIP_1) | instid1(VALU_DEP_2)
	v_cndmask_b32_e64 v2, 0xffff8000, v149, s18
	v_cmp_lt_i16_e64 s18, -1, v149
	v_and_b32_e32 v2, 0xffff, v2
	s_delay_alu instid0(VALU_DEP_2) | instskip(NEXT) | instid1(VALU_DEP_2)
	v_cndmask_b32_e64 v153, 0xffff8000, -1, s18
	v_lshrrev_b32_e32 v2, s49, v2
	s_delay_alu instid0(VALU_DEP_1) | instskip(NEXT) | instid1(VALU_DEP_1)
	v_and_b32_e32 v2, s55, v2
	v_lshlrev_b32_e32 v2, 2, v2
	ds_load_b32 v2, v2
	s_waitcnt lgkmcnt(0)
	v_add_nc_u32_e32 v2, v2, v46
	s_delay_alu instid0(VALU_DEP_1) | instskip(SKIP_1) | instid1(VALU_DEP_2)
	v_lshlrev_b64 v[36:37], 1, v[2:3]
	v_xor_b32_e32 v2, v153, v149
	v_add_co_u32 v36, s18, s40, v36
	s_delay_alu instid0(VALU_DEP_1) | instskip(SKIP_3) | instid1(VALU_DEP_1)
	v_add_co_ci_u32_e64 v37, s18, s41, v37, s18
	global_store_b16 v[36:37], v2, off
	s_or_b32 exec_lo, exec_lo, s19
	v_cmp_lt_u32_e64 s18, v47, v145
	s_and_saveexec_b32 s20, s18
	s_cbranch_execnz .LBB1850_1079
.LBB1850_1064:                          ;   in Loop: Header=BB1850_982 Depth=2
	s_or_b32 exec_lo, exec_lo, s20
	v_cmp_lt_u32_e64 s19, v51, v145
	s_delay_alu instid0(VALU_DEP_1)
	s_and_saveexec_b32 s21, s19
	s_cbranch_execz .LBB1850_1080
.LBB1850_1065:                          ;   in Loop: Header=BB1850_982 Depth=2
	ds_load_u16 v149, v79 offset:2048
	s_waitcnt lgkmcnt(0)
	v_cmp_ne_u16_e64 s20, 0x7fff, v149
	s_delay_alu instid0(VALU_DEP_1) | instskip(SKIP_1) | instid1(VALU_DEP_2)
	v_cndmask_b32_e64 v2, 0xffff8000, v149, s20
	v_cmp_lt_i16_e64 s20, -1, v149
	v_and_b32_e32 v2, 0xffff, v2
	s_delay_alu instid0(VALU_DEP_2) | instskip(NEXT) | instid1(VALU_DEP_2)
	v_cndmask_b32_e64 v153, 0xffff8000, -1, s20
	v_lshrrev_b32_e32 v2, s49, v2
	s_delay_alu instid0(VALU_DEP_1) | instskip(NEXT) | instid1(VALU_DEP_1)
	v_and_b32_e32 v2, s55, v2
	v_lshlrev_b32_e32 v2, 2, v2
	ds_load_b32 v2, v2
	s_waitcnt lgkmcnt(0)
	v_add_nc_u32_e32 v2, v2, v51
	s_delay_alu instid0(VALU_DEP_1) | instskip(SKIP_1) | instid1(VALU_DEP_2)
	v_lshlrev_b64 v[36:37], 1, v[2:3]
	v_xor_b32_e32 v2, v153, v149
	v_add_co_u32 v36, s20, s40, v36
	s_delay_alu instid0(VALU_DEP_1) | instskip(SKIP_3) | instid1(VALU_DEP_1)
	v_add_co_ci_u32_e64 v37, s20, s41, v37, s20
	global_store_b16 v[36:37], v2, off
	s_or_b32 exec_lo, exec_lo, s21
	v_cmp_lt_u32_e64 s20, v52, v145
	s_and_saveexec_b32 s22, s20
	s_cbranch_execnz .LBB1850_1081
.LBB1850_1066:                          ;   in Loop: Header=BB1850_982 Depth=2
	s_or_b32 exec_lo, exec_lo, s22
	v_cmp_lt_u32_e64 s21, v53, v145
	s_delay_alu instid0(VALU_DEP_1)
	s_and_saveexec_b32 s23, s21
	s_cbranch_execz .LBB1850_1082
.LBB1850_1067:                          ;   in Loop: Header=BB1850_982 Depth=2
	ds_load_u16 v149, v79 offset:3072
	s_waitcnt lgkmcnt(0)
	v_cmp_ne_u16_e64 s22, 0x7fff, v149
	s_delay_alu instid0(VALU_DEP_1) | instskip(SKIP_1) | instid1(VALU_DEP_2)
	v_cndmask_b32_e64 v2, 0xffff8000, v149, s22
	v_cmp_lt_i16_e64 s22, -1, v149
	v_and_b32_e32 v2, 0xffff, v2
	s_delay_alu instid0(VALU_DEP_2) | instskip(NEXT) | instid1(VALU_DEP_2)
	v_cndmask_b32_e64 v153, 0xffff8000, -1, s22
	v_lshrrev_b32_e32 v2, s49, v2
	s_delay_alu instid0(VALU_DEP_1) | instskip(NEXT) | instid1(VALU_DEP_1)
	v_and_b32_e32 v2, s55, v2
	v_lshlrev_b32_e32 v2, 2, v2
	ds_load_b32 v2, v2
	s_waitcnt lgkmcnt(0)
	v_add_nc_u32_e32 v2, v2, v53
	s_delay_alu instid0(VALU_DEP_1) | instskip(SKIP_1) | instid1(VALU_DEP_2)
	v_lshlrev_b64 v[36:37], 1, v[2:3]
	v_xor_b32_e32 v2, v153, v149
	v_add_co_u32 v36, s22, s40, v36
	s_delay_alu instid0(VALU_DEP_1) | instskip(SKIP_3) | instid1(VALU_DEP_1)
	v_add_co_ci_u32_e64 v37, s22, s41, v37, s22
	global_store_b16 v[36:37], v2, off
	s_or_b32 exec_lo, exec_lo, s23
	v_cmp_lt_u32_e64 s22, v54, v145
	s_and_saveexec_b32 s24, s22
	s_cbranch_execnz .LBB1850_1083
.LBB1850_1068:                          ;   in Loop: Header=BB1850_982 Depth=2
	s_or_b32 exec_lo, exec_lo, s24
	v_cmp_lt_u32_e64 s23, v55, v145
	s_delay_alu instid0(VALU_DEP_1)
	s_and_saveexec_b32 s25, s23
	s_cbranch_execz .LBB1850_1084
.LBB1850_1069:                          ;   in Loop: Header=BB1850_982 Depth=2
	ds_load_u16 v149, v79 offset:4096
	s_waitcnt lgkmcnt(0)
	v_cmp_ne_u16_e64 s24, 0x7fff, v149
	s_delay_alu instid0(VALU_DEP_1) | instskip(SKIP_1) | instid1(VALU_DEP_2)
	v_cndmask_b32_e64 v2, 0xffff8000, v149, s24
	v_cmp_lt_i16_e64 s24, -1, v149
	v_and_b32_e32 v2, 0xffff, v2
	s_delay_alu instid0(VALU_DEP_2) | instskip(NEXT) | instid1(VALU_DEP_2)
	v_cndmask_b32_e64 v153, 0xffff8000, -1, s24
	v_lshrrev_b32_e32 v2, s49, v2
	s_delay_alu instid0(VALU_DEP_1) | instskip(NEXT) | instid1(VALU_DEP_1)
	v_and_b32_e32 v2, s55, v2
	v_lshlrev_b32_e32 v2, 2, v2
	ds_load_b32 v2, v2
	s_waitcnt lgkmcnt(0)
	v_add_nc_u32_e32 v2, v2, v55
	s_delay_alu instid0(VALU_DEP_1) | instskip(SKIP_1) | instid1(VALU_DEP_2)
	v_lshlrev_b64 v[36:37], 1, v[2:3]
	v_xor_b32_e32 v2, v153, v149
	v_add_co_u32 v36, s24, s40, v36
	s_delay_alu instid0(VALU_DEP_1) | instskip(SKIP_3) | instid1(VALU_DEP_1)
	v_add_co_ci_u32_e64 v37, s24, s41, v37, s24
	global_store_b16 v[36:37], v2, off
	s_or_b32 exec_lo, exec_lo, s25
	v_cmp_lt_u32_e64 s24, v56, v145
	s_and_saveexec_b32 s27, s24
	s_cbranch_execnz .LBB1850_1085
.LBB1850_1070:                          ;   in Loop: Header=BB1850_982 Depth=2
	s_or_b32 exec_lo, exec_lo, s27
	v_cmp_lt_u32_e64 s25, v57, v145
	s_delay_alu instid0(VALU_DEP_1)
	s_and_saveexec_b32 s28, s25
	s_cbranch_execz .LBB1850_1086
.LBB1850_1071:                          ;   in Loop: Header=BB1850_982 Depth=2
	ds_load_u16 v149, v79 offset:5120
	s_waitcnt lgkmcnt(0)
	v_cmp_ne_u16_e64 s27, 0x7fff, v149
	s_delay_alu instid0(VALU_DEP_1) | instskip(SKIP_1) | instid1(VALU_DEP_2)
	v_cndmask_b32_e64 v2, 0xffff8000, v149, s27
	v_cmp_lt_i16_e64 s27, -1, v149
	v_and_b32_e32 v2, 0xffff, v2
	s_delay_alu instid0(VALU_DEP_2) | instskip(NEXT) | instid1(VALU_DEP_2)
	v_cndmask_b32_e64 v153, 0xffff8000, -1, s27
	v_lshrrev_b32_e32 v2, s49, v2
	s_delay_alu instid0(VALU_DEP_1) | instskip(NEXT) | instid1(VALU_DEP_1)
	v_and_b32_e32 v2, s55, v2
	v_lshlrev_b32_e32 v2, 2, v2
	ds_load_b32 v2, v2
	s_waitcnt lgkmcnt(0)
	v_add_nc_u32_e32 v2, v2, v57
	s_delay_alu instid0(VALU_DEP_1) | instskip(SKIP_1) | instid1(VALU_DEP_2)
	v_lshlrev_b64 v[36:37], 1, v[2:3]
	v_xor_b32_e32 v2, v153, v149
	v_add_co_u32 v36, s27, s40, v36
	s_delay_alu instid0(VALU_DEP_1) | instskip(SKIP_3) | instid1(VALU_DEP_1)
	v_add_co_ci_u32_e64 v37, s27, s41, v37, s27
	global_store_b16 v[36:37], v2, off
	s_or_b32 exec_lo, exec_lo, s28
	v_cmp_lt_u32_e64 s27, v58, v145
	s_and_saveexec_b32 s29, s27
	s_cbranch_execnz .LBB1850_1087
.LBB1850_1072:                          ;   in Loop: Header=BB1850_982 Depth=2
	s_or_b32 exec_lo, exec_lo, s29
	v_cmp_lt_u32_e64 s28, v59, v145
	s_delay_alu instid0(VALU_DEP_1)
	s_and_saveexec_b32 s30, s28
	s_cbranch_execz .LBB1850_1088
.LBB1850_1073:                          ;   in Loop: Header=BB1850_982 Depth=2
	ds_load_u16 v149, v79 offset:6144
	s_waitcnt lgkmcnt(0)
	v_cmp_ne_u16_e64 s29, 0x7fff, v149
	s_delay_alu instid0(VALU_DEP_1) | instskip(SKIP_1) | instid1(VALU_DEP_2)
	v_cndmask_b32_e64 v2, 0xffff8000, v149, s29
	v_cmp_lt_i16_e64 s29, -1, v149
	v_and_b32_e32 v2, 0xffff, v2
	s_delay_alu instid0(VALU_DEP_2) | instskip(NEXT) | instid1(VALU_DEP_2)
	v_cndmask_b32_e64 v153, 0xffff8000, -1, s29
	v_lshrrev_b32_e32 v2, s49, v2
	s_delay_alu instid0(VALU_DEP_1) | instskip(NEXT) | instid1(VALU_DEP_1)
	v_and_b32_e32 v2, s55, v2
	v_lshlrev_b32_e32 v2, 2, v2
	ds_load_b32 v2, v2
	s_waitcnt lgkmcnt(0)
	v_add_nc_u32_e32 v2, v2, v59
	s_delay_alu instid0(VALU_DEP_1) | instskip(SKIP_1) | instid1(VALU_DEP_2)
	v_lshlrev_b64 v[36:37], 1, v[2:3]
	v_xor_b32_e32 v2, v153, v149
	v_add_co_u32 v36, s29, s40, v36
	s_delay_alu instid0(VALU_DEP_1) | instskip(SKIP_3) | instid1(VALU_DEP_1)
	v_add_co_ci_u32_e64 v37, s29, s41, v37, s29
	global_store_b16 v[36:37], v2, off
	s_or_b32 exec_lo, exec_lo, s30
	v_cmp_lt_u32_e64 s29, v60, v145
	s_and_saveexec_b32 s31, s29
	s_cbranch_execnz .LBB1850_1089
.LBB1850_1074:                          ;   in Loop: Header=BB1850_982 Depth=2
	s_or_b32 exec_lo, exec_lo, s31
	v_cmp_lt_u32_e64 s30, v61, v145
	s_delay_alu instid0(VALU_DEP_1)
	s_and_saveexec_b32 s33, s30
	s_cbranch_execz .LBB1850_1090
.LBB1850_1075:                          ;   in Loop: Header=BB1850_982 Depth=2
	ds_load_u16 v149, v79 offset:7168
	s_waitcnt lgkmcnt(0)
	v_cmp_ne_u16_e64 s31, 0x7fff, v149
	s_delay_alu instid0(VALU_DEP_1) | instskip(SKIP_1) | instid1(VALU_DEP_2)
	v_cndmask_b32_e64 v2, 0xffff8000, v149, s31
	v_cmp_lt_i16_e64 s31, -1, v149
	v_and_b32_e32 v2, 0xffff, v2
	s_delay_alu instid0(VALU_DEP_2) | instskip(NEXT) | instid1(VALU_DEP_2)
	v_cndmask_b32_e64 v153, 0xffff8000, -1, s31
	v_lshrrev_b32_e32 v2, s49, v2
	s_delay_alu instid0(VALU_DEP_1) | instskip(NEXT) | instid1(VALU_DEP_1)
	v_and_b32_e32 v2, s55, v2
	v_lshlrev_b32_e32 v2, 2, v2
	ds_load_b32 v2, v2
	s_waitcnt lgkmcnt(0)
	v_add_nc_u32_e32 v2, v2, v61
	s_delay_alu instid0(VALU_DEP_1) | instskip(SKIP_1) | instid1(VALU_DEP_2)
	v_lshlrev_b64 v[36:37], 1, v[2:3]
	v_xor_b32_e32 v2, v153, v149
	v_add_co_u32 v36, s31, s40, v36
	s_delay_alu instid0(VALU_DEP_1) | instskip(SKIP_3) | instid1(VALU_DEP_1)
	v_add_co_ci_u32_e64 v37, s31, s41, v37, s31
	global_store_b16 v[36:37], v2, off
	s_or_b32 exec_lo, exec_lo, s33
	v_cmp_lt_u32_e64 s31, v63, v145
	s_and_saveexec_b32 s58, s31
	s_cbranch_execnz .LBB1850_1091
	s_branch .LBB1850_1092
.LBB1850_1076:                          ;   in Loop: Header=BB1850_982 Depth=2
	s_or_b32 exec_lo, exec_lo, s17
	v_cmp_lt_u32_e64 s16, v45, v145
	s_delay_alu instid0(VALU_DEP_1)
	s_and_saveexec_b32 s18, s16
	s_cbranch_execz .LBB1850_1062
.LBB1850_1077:                          ;   in Loop: Header=BB1850_982 Depth=2
	ds_load_u16 v149, v79 offset:512
	s_waitcnt lgkmcnt(0)
	v_cmp_ne_u16_e64 s17, 0x7fff, v149
	s_delay_alu instid0(VALU_DEP_1) | instskip(SKIP_1) | instid1(VALU_DEP_2)
	v_cndmask_b32_e64 v2, 0xffff8000, v149, s17
	v_cmp_lt_i16_e64 s17, -1, v149
	v_and_b32_e32 v2, 0xffff, v2
	s_delay_alu instid0(VALU_DEP_2) | instskip(NEXT) | instid1(VALU_DEP_2)
	v_cndmask_b32_e64 v153, 0xffff8000, -1, s17
	v_lshrrev_b32_e32 v2, s49, v2
	s_delay_alu instid0(VALU_DEP_1) | instskip(NEXT) | instid1(VALU_DEP_1)
	v_and_b32_e32 v2, s55, v2
	v_lshlrev_b32_e32 v2, 2, v2
	ds_load_b32 v2, v2
	s_waitcnt lgkmcnt(0)
	v_add_nc_u32_e32 v2, v2, v45
	s_delay_alu instid0(VALU_DEP_1) | instskip(SKIP_1) | instid1(VALU_DEP_2)
	v_lshlrev_b64 v[36:37], 1, v[2:3]
	v_xor_b32_e32 v2, v153, v149
	v_add_co_u32 v36, s17, s40, v36
	s_delay_alu instid0(VALU_DEP_1) | instskip(SKIP_3) | instid1(VALU_DEP_1)
	v_add_co_ci_u32_e64 v37, s17, s41, v37, s17
	global_store_b16 v[36:37], v2, off
	s_or_b32 exec_lo, exec_lo, s18
	v_cmp_lt_u32_e64 s17, v46, v145
	s_and_saveexec_b32 s19, s17
	s_cbranch_execnz .LBB1850_1063
.LBB1850_1078:                          ;   in Loop: Header=BB1850_982 Depth=2
	s_or_b32 exec_lo, exec_lo, s19
	v_cmp_lt_u32_e64 s18, v47, v145
	s_delay_alu instid0(VALU_DEP_1)
	s_and_saveexec_b32 s20, s18
	s_cbranch_execz .LBB1850_1064
.LBB1850_1079:                          ;   in Loop: Header=BB1850_982 Depth=2
	ds_load_u16 v149, v79 offset:1536
	s_waitcnt lgkmcnt(0)
	v_cmp_ne_u16_e64 s19, 0x7fff, v149
	s_delay_alu instid0(VALU_DEP_1) | instskip(SKIP_1) | instid1(VALU_DEP_2)
	v_cndmask_b32_e64 v2, 0xffff8000, v149, s19
	v_cmp_lt_i16_e64 s19, -1, v149
	v_and_b32_e32 v2, 0xffff, v2
	s_delay_alu instid0(VALU_DEP_2) | instskip(NEXT) | instid1(VALU_DEP_2)
	v_cndmask_b32_e64 v153, 0xffff8000, -1, s19
	v_lshrrev_b32_e32 v2, s49, v2
	s_delay_alu instid0(VALU_DEP_1) | instskip(NEXT) | instid1(VALU_DEP_1)
	v_and_b32_e32 v2, s55, v2
	v_lshlrev_b32_e32 v2, 2, v2
	ds_load_b32 v2, v2
	s_waitcnt lgkmcnt(0)
	v_add_nc_u32_e32 v2, v2, v47
	s_delay_alu instid0(VALU_DEP_1) | instskip(SKIP_1) | instid1(VALU_DEP_2)
	v_lshlrev_b64 v[36:37], 1, v[2:3]
	v_xor_b32_e32 v2, v153, v149
	v_add_co_u32 v36, s19, s40, v36
	s_delay_alu instid0(VALU_DEP_1) | instskip(SKIP_3) | instid1(VALU_DEP_1)
	v_add_co_ci_u32_e64 v37, s19, s41, v37, s19
	global_store_b16 v[36:37], v2, off
	s_or_b32 exec_lo, exec_lo, s20
	v_cmp_lt_u32_e64 s19, v51, v145
	s_and_saveexec_b32 s21, s19
	s_cbranch_execnz .LBB1850_1065
.LBB1850_1080:                          ;   in Loop: Header=BB1850_982 Depth=2
	s_or_b32 exec_lo, exec_lo, s21
	v_cmp_lt_u32_e64 s20, v52, v145
	s_delay_alu instid0(VALU_DEP_1)
	s_and_saveexec_b32 s22, s20
	s_cbranch_execz .LBB1850_1066
.LBB1850_1081:                          ;   in Loop: Header=BB1850_982 Depth=2
	ds_load_u16 v149, v79 offset:2560
	s_waitcnt lgkmcnt(0)
	v_cmp_ne_u16_e64 s21, 0x7fff, v149
	s_delay_alu instid0(VALU_DEP_1) | instskip(SKIP_1) | instid1(VALU_DEP_2)
	v_cndmask_b32_e64 v2, 0xffff8000, v149, s21
	v_cmp_lt_i16_e64 s21, -1, v149
	v_and_b32_e32 v2, 0xffff, v2
	s_delay_alu instid0(VALU_DEP_2) | instskip(NEXT) | instid1(VALU_DEP_2)
	v_cndmask_b32_e64 v153, 0xffff8000, -1, s21
	v_lshrrev_b32_e32 v2, s49, v2
	s_delay_alu instid0(VALU_DEP_1) | instskip(NEXT) | instid1(VALU_DEP_1)
	v_and_b32_e32 v2, s55, v2
	v_lshlrev_b32_e32 v2, 2, v2
	ds_load_b32 v2, v2
	s_waitcnt lgkmcnt(0)
	v_add_nc_u32_e32 v2, v2, v52
	s_delay_alu instid0(VALU_DEP_1) | instskip(SKIP_1) | instid1(VALU_DEP_2)
	v_lshlrev_b64 v[36:37], 1, v[2:3]
	v_xor_b32_e32 v2, v153, v149
	v_add_co_u32 v36, s21, s40, v36
	s_delay_alu instid0(VALU_DEP_1) | instskip(SKIP_3) | instid1(VALU_DEP_1)
	v_add_co_ci_u32_e64 v37, s21, s41, v37, s21
	global_store_b16 v[36:37], v2, off
	s_or_b32 exec_lo, exec_lo, s22
	v_cmp_lt_u32_e64 s21, v53, v145
	s_and_saveexec_b32 s23, s21
	s_cbranch_execnz .LBB1850_1067
.LBB1850_1082:                          ;   in Loop: Header=BB1850_982 Depth=2
	s_or_b32 exec_lo, exec_lo, s23
	v_cmp_lt_u32_e64 s22, v54, v145
	s_delay_alu instid0(VALU_DEP_1)
	s_and_saveexec_b32 s24, s22
	s_cbranch_execz .LBB1850_1068
.LBB1850_1083:                          ;   in Loop: Header=BB1850_982 Depth=2
	ds_load_u16 v149, v79 offset:3584
	s_waitcnt lgkmcnt(0)
	v_cmp_ne_u16_e64 s23, 0x7fff, v149
	s_delay_alu instid0(VALU_DEP_1) | instskip(SKIP_1) | instid1(VALU_DEP_2)
	v_cndmask_b32_e64 v2, 0xffff8000, v149, s23
	v_cmp_lt_i16_e64 s23, -1, v149
	v_and_b32_e32 v2, 0xffff, v2
	s_delay_alu instid0(VALU_DEP_2) | instskip(NEXT) | instid1(VALU_DEP_2)
	v_cndmask_b32_e64 v153, 0xffff8000, -1, s23
	v_lshrrev_b32_e32 v2, s49, v2
	s_delay_alu instid0(VALU_DEP_1) | instskip(NEXT) | instid1(VALU_DEP_1)
	v_and_b32_e32 v2, s55, v2
	v_lshlrev_b32_e32 v2, 2, v2
	ds_load_b32 v2, v2
	s_waitcnt lgkmcnt(0)
	v_add_nc_u32_e32 v2, v2, v54
	s_delay_alu instid0(VALU_DEP_1) | instskip(SKIP_1) | instid1(VALU_DEP_2)
	v_lshlrev_b64 v[36:37], 1, v[2:3]
	v_xor_b32_e32 v2, v153, v149
	v_add_co_u32 v36, s23, s40, v36
	s_delay_alu instid0(VALU_DEP_1) | instskip(SKIP_3) | instid1(VALU_DEP_1)
	v_add_co_ci_u32_e64 v37, s23, s41, v37, s23
	global_store_b16 v[36:37], v2, off
	s_or_b32 exec_lo, exec_lo, s24
	v_cmp_lt_u32_e64 s23, v55, v145
	s_and_saveexec_b32 s25, s23
	s_cbranch_execnz .LBB1850_1069
.LBB1850_1084:                          ;   in Loop: Header=BB1850_982 Depth=2
	s_or_b32 exec_lo, exec_lo, s25
	v_cmp_lt_u32_e64 s24, v56, v145
	s_delay_alu instid0(VALU_DEP_1)
	s_and_saveexec_b32 s27, s24
	s_cbranch_execz .LBB1850_1070
.LBB1850_1085:                          ;   in Loop: Header=BB1850_982 Depth=2
	ds_load_u16 v149, v79 offset:4608
	s_waitcnt lgkmcnt(0)
	v_cmp_ne_u16_e64 s25, 0x7fff, v149
	s_delay_alu instid0(VALU_DEP_1) | instskip(SKIP_1) | instid1(VALU_DEP_2)
	v_cndmask_b32_e64 v2, 0xffff8000, v149, s25
	v_cmp_lt_i16_e64 s25, -1, v149
	v_and_b32_e32 v2, 0xffff, v2
	s_delay_alu instid0(VALU_DEP_2) | instskip(NEXT) | instid1(VALU_DEP_2)
	v_cndmask_b32_e64 v153, 0xffff8000, -1, s25
	v_lshrrev_b32_e32 v2, s49, v2
	s_delay_alu instid0(VALU_DEP_1) | instskip(NEXT) | instid1(VALU_DEP_1)
	v_and_b32_e32 v2, s55, v2
	v_lshlrev_b32_e32 v2, 2, v2
	ds_load_b32 v2, v2
	s_waitcnt lgkmcnt(0)
	v_add_nc_u32_e32 v2, v2, v56
	s_delay_alu instid0(VALU_DEP_1) | instskip(SKIP_1) | instid1(VALU_DEP_2)
	v_lshlrev_b64 v[36:37], 1, v[2:3]
	v_xor_b32_e32 v2, v153, v149
	v_add_co_u32 v36, s25, s40, v36
	s_delay_alu instid0(VALU_DEP_1) | instskip(SKIP_3) | instid1(VALU_DEP_1)
	v_add_co_ci_u32_e64 v37, s25, s41, v37, s25
	global_store_b16 v[36:37], v2, off
	s_or_b32 exec_lo, exec_lo, s27
	v_cmp_lt_u32_e64 s25, v57, v145
	s_and_saveexec_b32 s28, s25
	s_cbranch_execnz .LBB1850_1071
.LBB1850_1086:                          ;   in Loop: Header=BB1850_982 Depth=2
	s_or_b32 exec_lo, exec_lo, s28
	v_cmp_lt_u32_e64 s27, v58, v145
	s_delay_alu instid0(VALU_DEP_1)
	s_and_saveexec_b32 s29, s27
	s_cbranch_execz .LBB1850_1072
.LBB1850_1087:                          ;   in Loop: Header=BB1850_982 Depth=2
	ds_load_u16 v149, v79 offset:5632
	s_waitcnt lgkmcnt(0)
	v_cmp_ne_u16_e64 s28, 0x7fff, v149
	s_delay_alu instid0(VALU_DEP_1) | instskip(SKIP_1) | instid1(VALU_DEP_2)
	v_cndmask_b32_e64 v2, 0xffff8000, v149, s28
	v_cmp_lt_i16_e64 s28, -1, v149
	v_and_b32_e32 v2, 0xffff, v2
	s_delay_alu instid0(VALU_DEP_2) | instskip(NEXT) | instid1(VALU_DEP_2)
	v_cndmask_b32_e64 v153, 0xffff8000, -1, s28
	v_lshrrev_b32_e32 v2, s49, v2
	s_delay_alu instid0(VALU_DEP_1) | instskip(NEXT) | instid1(VALU_DEP_1)
	v_and_b32_e32 v2, s55, v2
	v_lshlrev_b32_e32 v2, 2, v2
	ds_load_b32 v2, v2
	s_waitcnt lgkmcnt(0)
	v_add_nc_u32_e32 v2, v2, v58
	s_delay_alu instid0(VALU_DEP_1) | instskip(SKIP_1) | instid1(VALU_DEP_2)
	v_lshlrev_b64 v[36:37], 1, v[2:3]
	v_xor_b32_e32 v2, v153, v149
	v_add_co_u32 v36, s28, s40, v36
	s_delay_alu instid0(VALU_DEP_1) | instskip(SKIP_3) | instid1(VALU_DEP_1)
	v_add_co_ci_u32_e64 v37, s28, s41, v37, s28
	global_store_b16 v[36:37], v2, off
	s_or_b32 exec_lo, exec_lo, s29
	v_cmp_lt_u32_e64 s28, v59, v145
	s_and_saveexec_b32 s30, s28
	s_cbranch_execnz .LBB1850_1073
.LBB1850_1088:                          ;   in Loop: Header=BB1850_982 Depth=2
	s_or_b32 exec_lo, exec_lo, s30
	v_cmp_lt_u32_e64 s29, v60, v145
	s_delay_alu instid0(VALU_DEP_1)
	s_and_saveexec_b32 s31, s29
	s_cbranch_execz .LBB1850_1074
.LBB1850_1089:                          ;   in Loop: Header=BB1850_982 Depth=2
	ds_load_u16 v149, v79 offset:6656
	s_waitcnt lgkmcnt(0)
	v_cmp_ne_u16_e64 s30, 0x7fff, v149
	s_delay_alu instid0(VALU_DEP_1) | instskip(SKIP_1) | instid1(VALU_DEP_2)
	v_cndmask_b32_e64 v2, 0xffff8000, v149, s30
	v_cmp_lt_i16_e64 s30, -1, v149
	v_and_b32_e32 v2, 0xffff, v2
	s_delay_alu instid0(VALU_DEP_2) | instskip(NEXT) | instid1(VALU_DEP_2)
	v_cndmask_b32_e64 v153, 0xffff8000, -1, s30
	v_lshrrev_b32_e32 v2, s49, v2
	s_delay_alu instid0(VALU_DEP_1) | instskip(NEXT) | instid1(VALU_DEP_1)
	v_and_b32_e32 v2, s55, v2
	v_lshlrev_b32_e32 v2, 2, v2
	ds_load_b32 v2, v2
	s_waitcnt lgkmcnt(0)
	v_add_nc_u32_e32 v2, v2, v60
	s_delay_alu instid0(VALU_DEP_1) | instskip(SKIP_1) | instid1(VALU_DEP_2)
	v_lshlrev_b64 v[36:37], 1, v[2:3]
	v_xor_b32_e32 v2, v153, v149
	v_add_co_u32 v36, s30, s40, v36
	s_delay_alu instid0(VALU_DEP_1) | instskip(SKIP_3) | instid1(VALU_DEP_1)
	v_add_co_ci_u32_e64 v37, s30, s41, v37, s30
	global_store_b16 v[36:37], v2, off
	s_or_b32 exec_lo, exec_lo, s31
	v_cmp_lt_u32_e64 s30, v61, v145
	s_and_saveexec_b32 s33, s30
	s_cbranch_execnz .LBB1850_1075
.LBB1850_1090:                          ;   in Loop: Header=BB1850_982 Depth=2
	s_or_b32 exec_lo, exec_lo, s33
	v_cmp_lt_u32_e64 s31, v63, v145
	s_delay_alu instid0(VALU_DEP_1)
	s_and_saveexec_b32 s58, s31
	s_cbranch_execz .LBB1850_1092
.LBB1850_1091:                          ;   in Loop: Header=BB1850_982 Depth=2
	ds_load_u16 v149, v79 offset:7680
	s_waitcnt lgkmcnt(0)
	v_cmp_ne_u16_e64 s33, 0x7fff, v149
	s_delay_alu instid0(VALU_DEP_1) | instskip(SKIP_1) | instid1(VALU_DEP_2)
	v_cndmask_b32_e64 v2, 0xffff8000, v149, s33
	v_cmp_lt_i16_e64 s33, -1, v149
	v_and_b32_e32 v2, 0xffff, v2
	s_delay_alu instid0(VALU_DEP_2) | instskip(NEXT) | instid1(VALU_DEP_2)
	v_cndmask_b32_e64 v153, 0xffff8000, -1, s33
	v_lshrrev_b32_e32 v2, s49, v2
	s_delay_alu instid0(VALU_DEP_1) | instskip(NEXT) | instid1(VALU_DEP_1)
	v_and_b32_e32 v2, s55, v2
	v_lshlrev_b32_e32 v2, 2, v2
	ds_load_b32 v2, v2
	s_waitcnt lgkmcnt(0)
	v_add_nc_u32_e32 v2, v2, v63
	s_delay_alu instid0(VALU_DEP_1) | instskip(SKIP_1) | instid1(VALU_DEP_2)
	v_lshlrev_b64 v[36:37], 1, v[2:3]
	v_xor_b32_e32 v2, v153, v149
	v_add_co_u32 v36, s33, s40, v36
	s_delay_alu instid0(VALU_DEP_1)
	v_add_co_ci_u32_e64 v37, s33, s41, v37, s33
	global_store_b16 v[36:37], v2, off
.LBB1850_1092:                          ;   in Loop: Header=BB1850_982 Depth=2
	s_or_b32 exec_lo, exec_lo, s58
	s_lshl_b64 s[58:59], s[34:35], 3
	s_delay_alu instid0(SALU_CYCLE_1) | instskip(NEXT) | instid1(VALU_DEP_1)
	v_add_co_u32 v36, s33, v107, s58
	v_add_co_ci_u32_e64 v37, s33, s59, v108, s33
	v_cmp_lt_u32_e64 s33, v106, v145
	s_delay_alu instid0(VALU_DEP_1) | instskip(NEXT) | instid1(SALU_CYCLE_1)
	s_and_saveexec_b32 s34, s33
	s_xor_b32 s33, exec_lo, s34
	s_cbranch_execz .LBB1850_1124
; %bb.1093:                             ;   in Loop: Header=BB1850_982 Depth=2
	global_load_b64 v[34:35], v[36:37], off
	s_or_b32 exec_lo, exec_lo, s33
	s_delay_alu instid0(SALU_CYCLE_1)
	s_mov_b32 s34, exec_lo
	v_cmpx_lt_u32_e64 v109, v145
	s_cbranch_execnz .LBB1850_1125
.LBB1850_1094:                          ;   in Loop: Header=BB1850_982 Depth=2
	s_or_b32 exec_lo, exec_lo, s34
	s_delay_alu instid0(SALU_CYCLE_1)
	s_mov_b32 s34, exec_lo
	v_cmpx_lt_u32_e64 v110, v145
	s_cbranch_execz .LBB1850_1126
.LBB1850_1095:                          ;   in Loop: Header=BB1850_982 Depth=2
	global_load_b64 v[30:31], v[36:37], off offset:512
	s_or_b32 exec_lo, exec_lo, s34
	s_delay_alu instid0(SALU_CYCLE_1)
	s_mov_b32 s34, exec_lo
	v_cmpx_lt_u32_e64 v111, v145
	s_cbranch_execnz .LBB1850_1127
.LBB1850_1096:                          ;   in Loop: Header=BB1850_982 Depth=2
	s_or_b32 exec_lo, exec_lo, s34
	s_delay_alu instid0(SALU_CYCLE_1)
	s_mov_b32 s34, exec_lo
	v_cmpx_lt_u32_e64 v112, v145
	s_cbranch_execz .LBB1850_1128
.LBB1850_1097:                          ;   in Loop: Header=BB1850_982 Depth=2
	global_load_b64 v[26:27], v[36:37], off offset:1024
	s_or_b32 exec_lo, exec_lo, s34
	s_delay_alu instid0(SALU_CYCLE_1)
	s_mov_b32 s34, exec_lo
	v_cmpx_lt_u32_e64 v113, v145
	s_cbranch_execnz .LBB1850_1129
.LBB1850_1098:                          ;   in Loop: Header=BB1850_982 Depth=2
	s_or_b32 exec_lo, exec_lo, s34
	s_delay_alu instid0(SALU_CYCLE_1)
	s_mov_b32 s34, exec_lo
	v_cmpx_lt_u32_e64 v114, v145
	s_cbranch_execz .LBB1850_1130
.LBB1850_1099:                          ;   in Loop: Header=BB1850_982 Depth=2
	global_load_b64 v[22:23], v[36:37], off offset:1536
	s_or_b32 exec_lo, exec_lo, s34
	s_delay_alu instid0(SALU_CYCLE_1)
	s_mov_b32 s34, exec_lo
	v_cmpx_lt_u32_e64 v115, v145
	s_cbranch_execnz .LBB1850_1131
.LBB1850_1100:                          ;   in Loop: Header=BB1850_982 Depth=2
	s_or_b32 exec_lo, exec_lo, s34
	s_delay_alu instid0(SALU_CYCLE_1)
	s_mov_b32 s34, exec_lo
	v_cmpx_lt_u32_e64 v116, v145
	s_cbranch_execz .LBB1850_1132
.LBB1850_1101:                          ;   in Loop: Header=BB1850_982 Depth=2
	global_load_b64 v[18:19], v[36:37], off offset:2048
	s_or_b32 exec_lo, exec_lo, s34
	s_delay_alu instid0(SALU_CYCLE_1)
	s_mov_b32 s34, exec_lo
	v_cmpx_lt_u32_e64 v117, v145
	s_cbranch_execnz .LBB1850_1133
.LBB1850_1102:                          ;   in Loop: Header=BB1850_982 Depth=2
	s_or_b32 exec_lo, exec_lo, s34
	s_delay_alu instid0(SALU_CYCLE_1)
	s_mov_b32 s34, exec_lo
	v_cmpx_lt_u32_e64 v118, v145
	s_cbranch_execz .LBB1850_1134
.LBB1850_1103:                          ;   in Loop: Header=BB1850_982 Depth=2
	global_load_b64 v[14:15], v[36:37], off offset:2560
	s_or_b32 exec_lo, exec_lo, s34
	s_delay_alu instid0(SALU_CYCLE_1)
	s_mov_b32 s34, exec_lo
	v_cmpx_lt_u32_e64 v119, v145
	s_cbranch_execnz .LBB1850_1135
.LBB1850_1104:                          ;   in Loop: Header=BB1850_982 Depth=2
	s_or_b32 exec_lo, exec_lo, s34
	s_delay_alu instid0(SALU_CYCLE_1)
	s_mov_b32 s34, exec_lo
	v_cmpx_lt_u32_e64 v120, v145
	s_cbranch_execz .LBB1850_1136
.LBB1850_1105:                          ;   in Loop: Header=BB1850_982 Depth=2
	global_load_b64 v[10:11], v[36:37], off offset:3072
	s_or_b32 exec_lo, exec_lo, s34
	s_delay_alu instid0(SALU_CYCLE_1)
	s_mov_b32 s34, exec_lo
	v_cmpx_lt_u32_e64 v121, v145
	s_cbranch_execnz .LBB1850_1137
.LBB1850_1106:                          ;   in Loop: Header=BB1850_982 Depth=2
	s_or_b32 exec_lo, exec_lo, s34
	s_delay_alu instid0(SALU_CYCLE_1)
	s_mov_b32 s34, exec_lo
	v_cmpx_lt_u32_e64 v122, v145
	s_cbranch_execz .LBB1850_1138
.LBB1850_1107:                          ;   in Loop: Header=BB1850_982 Depth=2
	global_load_b64 v[6:7], v[36:37], off offset:3584
	s_or_b32 exec_lo, exec_lo, s34
	s_delay_alu instid0(SALU_CYCLE_1)
	s_mov_b32 s34, exec_lo
	v_cmpx_lt_u32_e64 v123, v145
	s_cbranch_execnz .LBB1850_1139
.LBB1850_1108:                          ;   in Loop: Header=BB1850_982 Depth=2
	s_or_b32 exec_lo, exec_lo, s34
	s_and_saveexec_b32 s34, vcc_lo
	s_cbranch_execz .LBB1850_1140
.LBB1850_1109:                          ;   in Loop: Header=BB1850_982 Depth=2
	ds_load_u16 v2, v147 offset:1024
	s_waitcnt lgkmcnt(0)
	v_cmp_ne_u16_e64 s33, 0x7fff, v2
	s_delay_alu instid0(VALU_DEP_1) | instskip(NEXT) | instid1(VALU_DEP_1)
	v_cndmask_b32_e64 v2, 0xffff8000, v2, s33
	v_and_b32_e32 v2, 0xffff, v2
	s_delay_alu instid0(VALU_DEP_1) | instskip(NEXT) | instid1(VALU_DEP_1)
	v_lshrrev_b32_e32 v2, s49, v2
	v_and_b32_e32 v144, s55, v2
	s_or_b32 exec_lo, exec_lo, s34
	s_and_saveexec_b32 s34, s16
	s_cbranch_execnz .LBB1850_1141
.LBB1850_1110:                          ;   in Loop: Header=BB1850_982 Depth=2
	s_or_b32 exec_lo, exec_lo, s34
	s_and_saveexec_b32 s34, s17
	s_cbranch_execz .LBB1850_1142
.LBB1850_1111:                          ;   in Loop: Header=BB1850_982 Depth=2
	ds_load_u16 v2, v79 offset:1024
	s_waitcnt lgkmcnt(0)
	v_cmp_ne_u16_e64 s33, 0x7fff, v2
	s_delay_alu instid0(VALU_DEP_1) | instskip(NEXT) | instid1(VALU_DEP_1)
	v_cndmask_b32_e64 v2, 0xffff8000, v2, s33
	v_and_b32_e32 v2, 0xffff, v2
	s_delay_alu instid0(VALU_DEP_1) | instskip(NEXT) | instid1(VALU_DEP_1)
	v_lshrrev_b32_e32 v2, s49, v2
	v_and_b32_e32 v142, s55, v2
	s_or_b32 exec_lo, exec_lo, s34
	s_and_saveexec_b32 s34, s18
	s_cbranch_execnz .LBB1850_1143
.LBB1850_1112:                          ;   in Loop: Header=BB1850_982 Depth=2
	s_or_b32 exec_lo, exec_lo, s34
	s_and_saveexec_b32 s34, s19
	s_cbranch_execz .LBB1850_1144
.LBB1850_1113:                          ;   in Loop: Header=BB1850_982 Depth=2
	ds_load_u16 v2, v79 offset:2048
	s_waitcnt lgkmcnt(0)
	v_cmp_ne_u16_e64 s33, 0x7fff, v2
	s_delay_alu instid0(VALU_DEP_1) | instskip(NEXT) | instid1(VALU_DEP_1)
	v_cndmask_b32_e64 v2, 0xffff8000, v2, s33
	v_and_b32_e32 v2, 0xffff, v2
	s_delay_alu instid0(VALU_DEP_1) | instskip(NEXT) | instid1(VALU_DEP_1)
	v_lshrrev_b32_e32 v2, s49, v2
	v_and_b32_e32 v140, s55, v2
	s_or_b32 exec_lo, exec_lo, s34
	s_and_saveexec_b32 s34, s20
	s_cbranch_execnz .LBB1850_1145
.LBB1850_1114:                          ;   in Loop: Header=BB1850_982 Depth=2
	s_or_b32 exec_lo, exec_lo, s34
	s_and_saveexec_b32 s34, s21
	s_cbranch_execz .LBB1850_1146
.LBB1850_1115:                          ;   in Loop: Header=BB1850_982 Depth=2
	ds_load_u16 v2, v79 offset:3072
	s_waitcnt lgkmcnt(0)
	v_cmp_ne_u16_e64 s33, 0x7fff, v2
	s_delay_alu instid0(VALU_DEP_1) | instskip(NEXT) | instid1(VALU_DEP_1)
	v_cndmask_b32_e64 v2, 0xffff8000, v2, s33
	v_and_b32_e32 v2, 0xffff, v2
	s_delay_alu instid0(VALU_DEP_1) | instskip(NEXT) | instid1(VALU_DEP_1)
	v_lshrrev_b32_e32 v2, s49, v2
	v_and_b32_e32 v138, s55, v2
	s_or_b32 exec_lo, exec_lo, s34
	s_and_saveexec_b32 s34, s22
	s_cbranch_execnz .LBB1850_1147
.LBB1850_1116:                          ;   in Loop: Header=BB1850_982 Depth=2
	s_or_b32 exec_lo, exec_lo, s34
	s_and_saveexec_b32 s34, s23
	s_cbranch_execz .LBB1850_1148
.LBB1850_1117:                          ;   in Loop: Header=BB1850_982 Depth=2
	ds_load_u16 v2, v79 offset:4096
	s_waitcnt lgkmcnt(0)
	v_cmp_ne_u16_e64 s33, 0x7fff, v2
	s_delay_alu instid0(VALU_DEP_1) | instskip(NEXT) | instid1(VALU_DEP_1)
	v_cndmask_b32_e64 v2, 0xffff8000, v2, s33
	v_and_b32_e32 v2, 0xffff, v2
	s_delay_alu instid0(VALU_DEP_1) | instskip(NEXT) | instid1(VALU_DEP_1)
	v_lshrrev_b32_e32 v2, s49, v2
	v_and_b32_e32 v136, s55, v2
	s_or_b32 exec_lo, exec_lo, s34
	s_and_saveexec_b32 s34, s24
	s_cbranch_execnz .LBB1850_1149
.LBB1850_1118:                          ;   in Loop: Header=BB1850_982 Depth=2
	s_or_b32 exec_lo, exec_lo, s34
	s_and_saveexec_b32 s34, s25
	s_cbranch_execz .LBB1850_1150
.LBB1850_1119:                          ;   in Loop: Header=BB1850_982 Depth=2
	ds_load_u16 v2, v79 offset:5120
	s_waitcnt lgkmcnt(0)
	v_cmp_ne_u16_e64 s33, 0x7fff, v2
	s_delay_alu instid0(VALU_DEP_1) | instskip(NEXT) | instid1(VALU_DEP_1)
	v_cndmask_b32_e64 v2, 0xffff8000, v2, s33
	v_and_b32_e32 v2, 0xffff, v2
	s_delay_alu instid0(VALU_DEP_1) | instskip(NEXT) | instid1(VALU_DEP_1)
	v_lshrrev_b32_e32 v2, s49, v2
	v_and_b32_e32 v134, s55, v2
	s_or_b32 exec_lo, exec_lo, s34
	s_and_saveexec_b32 s34, s27
	s_cbranch_execnz .LBB1850_1151
.LBB1850_1120:                          ;   in Loop: Header=BB1850_982 Depth=2
	s_or_b32 exec_lo, exec_lo, s34
	s_and_saveexec_b32 s34, s28
	s_cbranch_execz .LBB1850_1152
.LBB1850_1121:                          ;   in Loop: Header=BB1850_982 Depth=2
	ds_load_u16 v2, v79 offset:6144
	s_waitcnt lgkmcnt(0)
	v_cmp_ne_u16_e64 s33, 0x7fff, v2
	s_delay_alu instid0(VALU_DEP_1) | instskip(NEXT) | instid1(VALU_DEP_1)
	v_cndmask_b32_e64 v2, 0xffff8000, v2, s33
	v_and_b32_e32 v2, 0xffff, v2
	s_delay_alu instid0(VALU_DEP_1) | instskip(NEXT) | instid1(VALU_DEP_1)
	v_lshrrev_b32_e32 v2, s49, v2
	v_and_b32_e32 v132, s55, v2
	s_or_b32 exec_lo, exec_lo, s34
	s_and_saveexec_b32 s34, s29
	s_cbranch_execnz .LBB1850_1153
.LBB1850_1122:                          ;   in Loop: Header=BB1850_982 Depth=2
	s_or_b32 exec_lo, exec_lo, s34
	s_and_saveexec_b32 s34, s30
	s_cbranch_execz .LBB1850_1154
.LBB1850_1123:                          ;   in Loop: Header=BB1850_982 Depth=2
	ds_load_u16 v2, v79 offset:7168
	s_waitcnt lgkmcnt(0)
	v_cmp_ne_u16_e64 s33, 0x7fff, v2
	s_delay_alu instid0(VALU_DEP_1) | instskip(NEXT) | instid1(VALU_DEP_1)
	v_cndmask_b32_e64 v2, 0xffff8000, v2, s33
	v_and_b32_e32 v2, 0xffff, v2
	s_delay_alu instid0(VALU_DEP_1) | instskip(NEXT) | instid1(VALU_DEP_1)
	v_lshrrev_b32_e32 v2, s49, v2
	v_and_b32_e32 v130, s55, v2
	s_or_b32 exec_lo, exec_lo, s34
	s_and_saveexec_b32 s34, s31
	s_cbranch_execnz .LBB1850_1155
	s_branch .LBB1850_1156
.LBB1850_1124:                          ;   in Loop: Header=BB1850_982 Depth=2
	s_or_b32 exec_lo, exec_lo, s33
	s_delay_alu instid0(SALU_CYCLE_1)
	s_mov_b32 s34, exec_lo
	v_cmpx_lt_u32_e64 v109, v145
	s_cbranch_execz .LBB1850_1094
.LBB1850_1125:                          ;   in Loop: Header=BB1850_982 Depth=2
	global_load_b64 v[32:33], v[36:37], off offset:256
	s_or_b32 exec_lo, exec_lo, s34
	s_delay_alu instid0(SALU_CYCLE_1)
	s_mov_b32 s34, exec_lo
	v_cmpx_lt_u32_e64 v110, v145
	s_cbranch_execnz .LBB1850_1095
.LBB1850_1126:                          ;   in Loop: Header=BB1850_982 Depth=2
	s_or_b32 exec_lo, exec_lo, s34
	s_delay_alu instid0(SALU_CYCLE_1)
	s_mov_b32 s34, exec_lo
	v_cmpx_lt_u32_e64 v111, v145
	s_cbranch_execz .LBB1850_1096
.LBB1850_1127:                          ;   in Loop: Header=BB1850_982 Depth=2
	global_load_b64 v[28:29], v[36:37], off offset:768
	s_or_b32 exec_lo, exec_lo, s34
	s_delay_alu instid0(SALU_CYCLE_1)
	s_mov_b32 s34, exec_lo
	v_cmpx_lt_u32_e64 v112, v145
	s_cbranch_execnz .LBB1850_1097
.LBB1850_1128:                          ;   in Loop: Header=BB1850_982 Depth=2
	s_or_b32 exec_lo, exec_lo, s34
	s_delay_alu instid0(SALU_CYCLE_1)
	s_mov_b32 s34, exec_lo
	v_cmpx_lt_u32_e64 v113, v145
	s_cbranch_execz .LBB1850_1098
.LBB1850_1129:                          ;   in Loop: Header=BB1850_982 Depth=2
	global_load_b64 v[24:25], v[36:37], off offset:1280
	s_or_b32 exec_lo, exec_lo, s34
	s_delay_alu instid0(SALU_CYCLE_1)
	s_mov_b32 s34, exec_lo
	v_cmpx_lt_u32_e64 v114, v145
	s_cbranch_execnz .LBB1850_1099
.LBB1850_1130:                          ;   in Loop: Header=BB1850_982 Depth=2
	s_or_b32 exec_lo, exec_lo, s34
	s_delay_alu instid0(SALU_CYCLE_1)
	s_mov_b32 s34, exec_lo
	v_cmpx_lt_u32_e64 v115, v145
	s_cbranch_execz .LBB1850_1100
.LBB1850_1131:                          ;   in Loop: Header=BB1850_982 Depth=2
	global_load_b64 v[20:21], v[36:37], off offset:1792
	s_or_b32 exec_lo, exec_lo, s34
	s_delay_alu instid0(SALU_CYCLE_1)
	s_mov_b32 s34, exec_lo
	v_cmpx_lt_u32_e64 v116, v145
	s_cbranch_execnz .LBB1850_1101
.LBB1850_1132:                          ;   in Loop: Header=BB1850_982 Depth=2
	s_or_b32 exec_lo, exec_lo, s34
	s_delay_alu instid0(SALU_CYCLE_1)
	s_mov_b32 s34, exec_lo
	v_cmpx_lt_u32_e64 v117, v145
	s_cbranch_execz .LBB1850_1102
.LBB1850_1133:                          ;   in Loop: Header=BB1850_982 Depth=2
	global_load_b64 v[16:17], v[36:37], off offset:2304
	s_or_b32 exec_lo, exec_lo, s34
	s_delay_alu instid0(SALU_CYCLE_1)
	s_mov_b32 s34, exec_lo
	v_cmpx_lt_u32_e64 v118, v145
	s_cbranch_execnz .LBB1850_1103
.LBB1850_1134:                          ;   in Loop: Header=BB1850_982 Depth=2
	s_or_b32 exec_lo, exec_lo, s34
	s_delay_alu instid0(SALU_CYCLE_1)
	s_mov_b32 s34, exec_lo
	v_cmpx_lt_u32_e64 v119, v145
	s_cbranch_execz .LBB1850_1104
.LBB1850_1135:                          ;   in Loop: Header=BB1850_982 Depth=2
	global_load_b64 v[12:13], v[36:37], off offset:2816
	s_or_b32 exec_lo, exec_lo, s34
	s_delay_alu instid0(SALU_CYCLE_1)
	s_mov_b32 s34, exec_lo
	v_cmpx_lt_u32_e64 v120, v145
	s_cbranch_execnz .LBB1850_1105
.LBB1850_1136:                          ;   in Loop: Header=BB1850_982 Depth=2
	s_or_b32 exec_lo, exec_lo, s34
	s_delay_alu instid0(SALU_CYCLE_1)
	s_mov_b32 s34, exec_lo
	v_cmpx_lt_u32_e64 v121, v145
	s_cbranch_execz .LBB1850_1106
.LBB1850_1137:                          ;   in Loop: Header=BB1850_982 Depth=2
	global_load_b64 v[8:9], v[36:37], off offset:3328
	s_or_b32 exec_lo, exec_lo, s34
	s_delay_alu instid0(SALU_CYCLE_1)
	s_mov_b32 s34, exec_lo
	v_cmpx_lt_u32_e64 v122, v145
	s_cbranch_execnz .LBB1850_1107
.LBB1850_1138:                          ;   in Loop: Header=BB1850_982 Depth=2
	s_or_b32 exec_lo, exec_lo, s34
	s_delay_alu instid0(SALU_CYCLE_1)
	s_mov_b32 s34, exec_lo
	v_cmpx_lt_u32_e64 v123, v145
	s_cbranch_execz .LBB1850_1108
.LBB1850_1139:                          ;   in Loop: Header=BB1850_982 Depth=2
	global_load_b64 v[4:5], v[36:37], off offset:3840
	s_or_b32 exec_lo, exec_lo, s34
	s_and_saveexec_b32 s34, vcc_lo
	s_cbranch_execnz .LBB1850_1109
.LBB1850_1140:                          ;   in Loop: Header=BB1850_982 Depth=2
	s_or_b32 exec_lo, exec_lo, s34
	s_and_saveexec_b32 s34, s16
	s_cbranch_execz .LBB1850_1110
.LBB1850_1141:                          ;   in Loop: Header=BB1850_982 Depth=2
	ds_load_u16 v2, v79 offset:512
	s_waitcnt lgkmcnt(0)
	v_cmp_ne_u16_e64 s33, 0x7fff, v2
	s_delay_alu instid0(VALU_DEP_1) | instskip(NEXT) | instid1(VALU_DEP_1)
	v_cndmask_b32_e64 v2, 0xffff8000, v2, s33
	v_and_b32_e32 v2, 0xffff, v2
	s_delay_alu instid0(VALU_DEP_1) | instskip(NEXT) | instid1(VALU_DEP_1)
	v_lshrrev_b32_e32 v2, s49, v2
	v_and_b32_e32 v143, s55, v2
	s_or_b32 exec_lo, exec_lo, s34
	s_and_saveexec_b32 s34, s17
	s_cbranch_execnz .LBB1850_1111
.LBB1850_1142:                          ;   in Loop: Header=BB1850_982 Depth=2
	s_or_b32 exec_lo, exec_lo, s34
	s_and_saveexec_b32 s34, s18
	s_cbranch_execz .LBB1850_1112
.LBB1850_1143:                          ;   in Loop: Header=BB1850_982 Depth=2
	ds_load_u16 v2, v79 offset:1536
	s_waitcnt lgkmcnt(0)
	v_cmp_ne_u16_e64 s33, 0x7fff, v2
	s_delay_alu instid0(VALU_DEP_1) | instskip(NEXT) | instid1(VALU_DEP_1)
	v_cndmask_b32_e64 v2, 0xffff8000, v2, s33
	v_and_b32_e32 v2, 0xffff, v2
	s_delay_alu instid0(VALU_DEP_1) | instskip(NEXT) | instid1(VALU_DEP_1)
	v_lshrrev_b32_e32 v2, s49, v2
	v_and_b32_e32 v141, s55, v2
	s_or_b32 exec_lo, exec_lo, s34
	s_and_saveexec_b32 s34, s19
	s_cbranch_execnz .LBB1850_1113
.LBB1850_1144:                          ;   in Loop: Header=BB1850_982 Depth=2
	s_or_b32 exec_lo, exec_lo, s34
	s_and_saveexec_b32 s34, s20
	s_cbranch_execz .LBB1850_1114
.LBB1850_1145:                          ;   in Loop: Header=BB1850_982 Depth=2
	ds_load_u16 v2, v79 offset:2560
	s_waitcnt lgkmcnt(0)
	v_cmp_ne_u16_e64 s33, 0x7fff, v2
	s_delay_alu instid0(VALU_DEP_1) | instskip(NEXT) | instid1(VALU_DEP_1)
	v_cndmask_b32_e64 v2, 0xffff8000, v2, s33
	v_and_b32_e32 v2, 0xffff, v2
	s_delay_alu instid0(VALU_DEP_1) | instskip(NEXT) | instid1(VALU_DEP_1)
	v_lshrrev_b32_e32 v2, s49, v2
	v_and_b32_e32 v139, s55, v2
	s_or_b32 exec_lo, exec_lo, s34
	s_and_saveexec_b32 s34, s21
	s_cbranch_execnz .LBB1850_1115
.LBB1850_1146:                          ;   in Loop: Header=BB1850_982 Depth=2
	s_or_b32 exec_lo, exec_lo, s34
	s_and_saveexec_b32 s34, s22
	s_cbranch_execz .LBB1850_1116
.LBB1850_1147:                          ;   in Loop: Header=BB1850_982 Depth=2
	ds_load_u16 v2, v79 offset:3584
	s_waitcnt lgkmcnt(0)
	v_cmp_ne_u16_e64 s33, 0x7fff, v2
	s_delay_alu instid0(VALU_DEP_1) | instskip(NEXT) | instid1(VALU_DEP_1)
	v_cndmask_b32_e64 v2, 0xffff8000, v2, s33
	v_and_b32_e32 v2, 0xffff, v2
	s_delay_alu instid0(VALU_DEP_1) | instskip(NEXT) | instid1(VALU_DEP_1)
	v_lshrrev_b32_e32 v2, s49, v2
	v_and_b32_e32 v137, s55, v2
	s_or_b32 exec_lo, exec_lo, s34
	s_and_saveexec_b32 s34, s23
	s_cbranch_execnz .LBB1850_1117
.LBB1850_1148:                          ;   in Loop: Header=BB1850_982 Depth=2
	s_or_b32 exec_lo, exec_lo, s34
	s_and_saveexec_b32 s34, s24
	s_cbranch_execz .LBB1850_1118
.LBB1850_1149:                          ;   in Loop: Header=BB1850_982 Depth=2
	ds_load_u16 v2, v79 offset:4608
	s_waitcnt lgkmcnt(0)
	v_cmp_ne_u16_e64 s33, 0x7fff, v2
	s_delay_alu instid0(VALU_DEP_1) | instskip(NEXT) | instid1(VALU_DEP_1)
	v_cndmask_b32_e64 v2, 0xffff8000, v2, s33
	v_and_b32_e32 v2, 0xffff, v2
	s_delay_alu instid0(VALU_DEP_1) | instskip(NEXT) | instid1(VALU_DEP_1)
	v_lshrrev_b32_e32 v2, s49, v2
	v_and_b32_e32 v135, s55, v2
	s_or_b32 exec_lo, exec_lo, s34
	s_and_saveexec_b32 s34, s25
	s_cbranch_execnz .LBB1850_1119
.LBB1850_1150:                          ;   in Loop: Header=BB1850_982 Depth=2
	s_or_b32 exec_lo, exec_lo, s34
	s_and_saveexec_b32 s34, s27
	s_cbranch_execz .LBB1850_1120
.LBB1850_1151:                          ;   in Loop: Header=BB1850_982 Depth=2
	ds_load_u16 v2, v79 offset:5632
	s_waitcnt lgkmcnt(0)
	v_cmp_ne_u16_e64 s33, 0x7fff, v2
	s_delay_alu instid0(VALU_DEP_1) | instskip(NEXT) | instid1(VALU_DEP_1)
	v_cndmask_b32_e64 v2, 0xffff8000, v2, s33
	v_and_b32_e32 v2, 0xffff, v2
	s_delay_alu instid0(VALU_DEP_1) | instskip(NEXT) | instid1(VALU_DEP_1)
	v_lshrrev_b32_e32 v2, s49, v2
	v_and_b32_e32 v133, s55, v2
	s_or_b32 exec_lo, exec_lo, s34
	s_and_saveexec_b32 s34, s28
	s_cbranch_execnz .LBB1850_1121
.LBB1850_1152:                          ;   in Loop: Header=BB1850_982 Depth=2
	s_or_b32 exec_lo, exec_lo, s34
	s_and_saveexec_b32 s34, s29
	s_cbranch_execz .LBB1850_1122
.LBB1850_1153:                          ;   in Loop: Header=BB1850_982 Depth=2
	ds_load_u16 v2, v79 offset:6656
	s_waitcnt lgkmcnt(0)
	v_cmp_ne_u16_e64 s33, 0x7fff, v2
	s_delay_alu instid0(VALU_DEP_1) | instskip(NEXT) | instid1(VALU_DEP_1)
	v_cndmask_b32_e64 v2, 0xffff8000, v2, s33
	v_and_b32_e32 v2, 0xffff, v2
	s_delay_alu instid0(VALU_DEP_1) | instskip(NEXT) | instid1(VALU_DEP_1)
	v_lshrrev_b32_e32 v2, s49, v2
	v_and_b32_e32 v131, s55, v2
	s_or_b32 exec_lo, exec_lo, s34
	s_and_saveexec_b32 s34, s30
	s_cbranch_execnz .LBB1850_1123
.LBB1850_1154:                          ;   in Loop: Header=BB1850_982 Depth=2
	s_or_b32 exec_lo, exec_lo, s34
	s_and_saveexec_b32 s34, s31
	s_cbranch_execz .LBB1850_1156
.LBB1850_1155:                          ;   in Loop: Header=BB1850_982 Depth=2
	ds_load_u16 v2, v79 offset:7680
	s_waitcnt lgkmcnt(0)
	v_cmp_ne_u16_e64 s33, 0x7fff, v2
	s_delay_alu instid0(VALU_DEP_1) | instskip(NEXT) | instid1(VALU_DEP_1)
	v_cndmask_b32_e64 v2, 0xffff8000, v2, s33
	v_and_b32_e32 v2, 0xffff, v2
	s_delay_alu instid0(VALU_DEP_1) | instskip(NEXT) | instid1(VALU_DEP_1)
	v_lshrrev_b32_e32 v2, s49, v2
	v_and_b32_e32 v129, s55, v2
.LBB1850_1156:                          ;   in Loop: Header=BB1850_982 Depth=2
	s_or_b32 exec_lo, exec_lo, s34
	v_lshlrev_b32_e32 v2, 3, v168
	v_lshlrev_b32_e32 v36, 3, v164
	s_waitcnt vmcnt(0)
	s_waitcnt_vscnt null, 0x0
	s_barrier
	buffer_gl0_inv
	ds_store_b64 v2, v[34:35] offset:1024
	v_lshlrev_b32_e32 v2, 3, v160
	v_lshlrev_b32_e32 v37, 3, v156
	;; [unrolled: 1-line block ×4, first 2 shown]
	ds_store_b64 v36, v[32:33] offset:1024
	ds_store_b64 v2, v[30:31] offset:1024
	;; [unrolled: 1-line block ×5, first 2 shown]
	v_lshlrev_b32_e32 v2, 3, v152
	v_lshlrev_b32_e32 v36, 3, v151
	;; [unrolled: 1-line block ×5, first 2 shown]
	ds_store_b64 v2, v[22:23] offset:1024
	ds_store_b64 v36, v[20:21] offset:1024
	ds_store_b64 v37, v[18:19] offset:1024
	ds_store_b64 v145, v[16:17] offset:1024
	ds_store_b64 v146, v[14:15] offset:1024
	v_lshlrev_b32_e32 v2, 3, v42
	v_lshlrev_b32_e32 v36, 3, v40
	;; [unrolled: 1-line block ×5, first 2 shown]
	ds_store_b64 v2, v[12:13] offset:1024
	ds_store_b64 v36, v[10:11] offset:1024
	;; [unrolled: 1-line block ×5, first 2 shown]
	s_waitcnt lgkmcnt(0)
	s_barrier
	buffer_gl0_inv
	s_and_saveexec_b32 s33, vcc_lo
	s_cbranch_execz .LBB1850_1172
; %bb.1157:                             ;   in Loop: Header=BB1850_982 Depth=2
	v_lshlrev_b32_e32 v2, 2, v144
	ds_load_b32 v2, v2
	ds_load_b64 v[36:37], v80 offset:1024
	s_waitcnt lgkmcnt(1)
	v_add_nc_u32_e32 v2, v2, v1
	s_delay_alu instid0(VALU_DEP_1) | instskip(NEXT) | instid1(VALU_DEP_1)
	v_lshlrev_b64 v[39:40], 3, v[2:3]
	v_add_co_u32 v39, vcc_lo, s46, v39
	s_delay_alu instid0(VALU_DEP_2)
	v_add_co_ci_u32_e32 v40, vcc_lo, s47, v40, vcc_lo
	s_waitcnt lgkmcnt(0)
	global_store_b64 v[39:40], v[36:37], off
	s_or_b32 exec_lo, exec_lo, s33
	v_add_nc_u32_e32 v36, v79, v81
	s_and_saveexec_b32 s33, s16
	s_cbranch_execnz .LBB1850_1173
.LBB1850_1158:                          ;   in Loop: Header=BB1850_982 Depth=2
	s_or_b32 exec_lo, exec_lo, s33
	s_and_saveexec_b32 s16, s17
	s_cbranch_execz .LBB1850_1174
.LBB1850_1159:                          ;   in Loop: Header=BB1850_982 Depth=2
	v_lshlrev_b32_e32 v2, 2, v142
	ds_load_b32 v2, v2
	ds_load_b64 v[39:40], v36 offset:4096
	s_waitcnt lgkmcnt(1)
	v_add_nc_u32_e32 v2, v2, v46
	s_delay_alu instid0(VALU_DEP_1) | instskip(NEXT) | instid1(VALU_DEP_1)
	v_lshlrev_b64 v[41:42], 3, v[2:3]
	v_add_co_u32 v41, vcc_lo, s46, v41
	s_delay_alu instid0(VALU_DEP_2)
	v_add_co_ci_u32_e32 v42, vcc_lo, s47, v42, vcc_lo
	s_waitcnt lgkmcnt(0)
	global_store_b64 v[41:42], v[39:40], off
	s_or_b32 exec_lo, exec_lo, s16
	s_and_saveexec_b32 s16, s18
	s_cbranch_execnz .LBB1850_1175
.LBB1850_1160:                          ;   in Loop: Header=BB1850_982 Depth=2
	s_or_b32 exec_lo, exec_lo, s16
	s_and_saveexec_b32 s16, s19
	s_cbranch_execz .LBB1850_1176
.LBB1850_1161:                          ;   in Loop: Header=BB1850_982 Depth=2
	v_lshlrev_b32_e32 v2, 2, v140
	ds_load_b32 v2, v2
	ds_load_b64 v[39:40], v36 offset:8192
	s_waitcnt lgkmcnt(1)
	v_add_nc_u32_e32 v2, v2, v51
	s_delay_alu instid0(VALU_DEP_1) | instskip(NEXT) | instid1(VALU_DEP_1)
	v_lshlrev_b64 v[41:42], 3, v[2:3]
	v_add_co_u32 v41, vcc_lo, s46, v41
	s_delay_alu instid0(VALU_DEP_2)
	v_add_co_ci_u32_e32 v42, vcc_lo, s47, v42, vcc_lo
	s_waitcnt lgkmcnt(0)
	global_store_b64 v[41:42], v[39:40], off
	s_or_b32 exec_lo, exec_lo, s16
	s_and_saveexec_b32 s16, s20
	s_cbranch_execnz .LBB1850_1177
.LBB1850_1162:                          ;   in Loop: Header=BB1850_982 Depth=2
	s_or_b32 exec_lo, exec_lo, s16
	s_and_saveexec_b32 s16, s21
	s_cbranch_execz .LBB1850_1178
.LBB1850_1163:                          ;   in Loop: Header=BB1850_982 Depth=2
	v_lshlrev_b32_e32 v2, 2, v138
	ds_load_b32 v2, v2
	ds_load_b64 v[39:40], v36 offset:12288
	s_waitcnt lgkmcnt(1)
	v_add_nc_u32_e32 v2, v2, v53
	s_delay_alu instid0(VALU_DEP_1) | instskip(NEXT) | instid1(VALU_DEP_1)
	v_lshlrev_b64 v[41:42], 3, v[2:3]
	v_add_co_u32 v41, vcc_lo, s46, v41
	s_delay_alu instid0(VALU_DEP_2)
	v_add_co_ci_u32_e32 v42, vcc_lo, s47, v42, vcc_lo
	s_waitcnt lgkmcnt(0)
	global_store_b64 v[41:42], v[39:40], off
	s_or_b32 exec_lo, exec_lo, s16
	s_and_saveexec_b32 s16, s22
	s_cbranch_execnz .LBB1850_1179
.LBB1850_1164:                          ;   in Loop: Header=BB1850_982 Depth=2
	s_or_b32 exec_lo, exec_lo, s16
	s_and_saveexec_b32 s16, s23
	s_cbranch_execz .LBB1850_1180
.LBB1850_1165:                          ;   in Loop: Header=BB1850_982 Depth=2
	v_lshlrev_b32_e32 v2, 2, v136
	ds_load_b32 v2, v2
	ds_load_b64 v[39:40], v36 offset:16384
	s_waitcnt lgkmcnt(1)
	v_add_nc_u32_e32 v2, v2, v55
	s_delay_alu instid0(VALU_DEP_1) | instskip(NEXT) | instid1(VALU_DEP_1)
	v_lshlrev_b64 v[41:42], 3, v[2:3]
	v_add_co_u32 v41, vcc_lo, s46, v41
	s_delay_alu instid0(VALU_DEP_2)
	v_add_co_ci_u32_e32 v42, vcc_lo, s47, v42, vcc_lo
	s_waitcnt lgkmcnt(0)
	global_store_b64 v[41:42], v[39:40], off
	s_or_b32 exec_lo, exec_lo, s16
	s_and_saveexec_b32 s16, s24
	s_cbranch_execnz .LBB1850_1181
.LBB1850_1166:                          ;   in Loop: Header=BB1850_982 Depth=2
	s_or_b32 exec_lo, exec_lo, s16
	s_and_saveexec_b32 s16, s25
	s_cbranch_execz .LBB1850_1182
.LBB1850_1167:                          ;   in Loop: Header=BB1850_982 Depth=2
	v_lshlrev_b32_e32 v2, 2, v134
	ds_load_b32 v2, v2
	ds_load_b64 v[39:40], v36 offset:20480
	s_waitcnt lgkmcnt(1)
	v_add_nc_u32_e32 v2, v2, v57
	s_delay_alu instid0(VALU_DEP_1) | instskip(NEXT) | instid1(VALU_DEP_1)
	v_lshlrev_b64 v[41:42], 3, v[2:3]
	v_add_co_u32 v41, vcc_lo, s46, v41
	s_delay_alu instid0(VALU_DEP_2)
	v_add_co_ci_u32_e32 v42, vcc_lo, s47, v42, vcc_lo
	s_waitcnt lgkmcnt(0)
	global_store_b64 v[41:42], v[39:40], off
	s_or_b32 exec_lo, exec_lo, s16
	s_and_saveexec_b32 s16, s27
	s_cbranch_execnz .LBB1850_1183
.LBB1850_1168:                          ;   in Loop: Header=BB1850_982 Depth=2
	s_or_b32 exec_lo, exec_lo, s16
	s_and_saveexec_b32 s16, s28
	s_cbranch_execz .LBB1850_1184
.LBB1850_1169:                          ;   in Loop: Header=BB1850_982 Depth=2
	v_lshlrev_b32_e32 v2, 2, v132
	ds_load_b32 v2, v2
	ds_load_b64 v[39:40], v36 offset:24576
	s_waitcnt lgkmcnt(1)
	v_add_nc_u32_e32 v2, v2, v59
	s_delay_alu instid0(VALU_DEP_1) | instskip(NEXT) | instid1(VALU_DEP_1)
	v_lshlrev_b64 v[41:42], 3, v[2:3]
	v_add_co_u32 v41, vcc_lo, s46, v41
	s_delay_alu instid0(VALU_DEP_2)
	v_add_co_ci_u32_e32 v42, vcc_lo, s47, v42, vcc_lo
	s_waitcnt lgkmcnt(0)
	global_store_b64 v[41:42], v[39:40], off
	s_or_b32 exec_lo, exec_lo, s16
	s_and_saveexec_b32 s16, s29
	s_cbranch_execnz .LBB1850_1185
.LBB1850_1170:                          ;   in Loop: Header=BB1850_982 Depth=2
	s_or_b32 exec_lo, exec_lo, s16
	s_and_saveexec_b32 s16, s30
	s_cbranch_execz .LBB1850_1186
.LBB1850_1171:                          ;   in Loop: Header=BB1850_982 Depth=2
	v_lshlrev_b32_e32 v2, 2, v130
	ds_load_b32 v2, v2
	ds_load_b64 v[39:40], v36 offset:28672
	s_waitcnt lgkmcnt(1)
	v_add_nc_u32_e32 v2, v2, v61
	s_delay_alu instid0(VALU_DEP_1) | instskip(NEXT) | instid1(VALU_DEP_1)
	v_lshlrev_b64 v[41:42], 3, v[2:3]
	v_add_co_u32 v41, vcc_lo, s46, v41
	s_delay_alu instid0(VALU_DEP_2)
	v_add_co_ci_u32_e32 v42, vcc_lo, s47, v42, vcc_lo
	s_waitcnt lgkmcnt(0)
	global_store_b64 v[41:42], v[39:40], off
	s_or_b32 exec_lo, exec_lo, s16
	s_and_saveexec_b32 s16, s31
	s_cbranch_execnz .LBB1850_1187
	s_branch .LBB1850_1188
.LBB1850_1172:                          ;   in Loop: Header=BB1850_982 Depth=2
	s_or_b32 exec_lo, exec_lo, s33
	v_add_nc_u32_e32 v36, v79, v81
	s_and_saveexec_b32 s33, s16
	s_cbranch_execz .LBB1850_1158
.LBB1850_1173:                          ;   in Loop: Header=BB1850_982 Depth=2
	v_lshlrev_b32_e32 v2, 2, v143
	ds_load_b32 v2, v2
	ds_load_b64 v[39:40], v36 offset:2048
	s_waitcnt lgkmcnt(1)
	v_add_nc_u32_e32 v2, v2, v45
	s_delay_alu instid0(VALU_DEP_1) | instskip(NEXT) | instid1(VALU_DEP_1)
	v_lshlrev_b64 v[41:42], 3, v[2:3]
	v_add_co_u32 v41, vcc_lo, s46, v41
	s_delay_alu instid0(VALU_DEP_2)
	v_add_co_ci_u32_e32 v42, vcc_lo, s47, v42, vcc_lo
	s_waitcnt lgkmcnt(0)
	global_store_b64 v[41:42], v[39:40], off
	s_or_b32 exec_lo, exec_lo, s33
	s_and_saveexec_b32 s16, s17
	s_cbranch_execnz .LBB1850_1159
.LBB1850_1174:                          ;   in Loop: Header=BB1850_982 Depth=2
	s_or_b32 exec_lo, exec_lo, s16
	s_and_saveexec_b32 s16, s18
	s_cbranch_execz .LBB1850_1160
.LBB1850_1175:                          ;   in Loop: Header=BB1850_982 Depth=2
	v_lshlrev_b32_e32 v2, 2, v141
	ds_load_b32 v2, v2
	ds_load_b64 v[39:40], v36 offset:6144
	s_waitcnt lgkmcnt(1)
	v_add_nc_u32_e32 v2, v2, v47
	s_delay_alu instid0(VALU_DEP_1) | instskip(NEXT) | instid1(VALU_DEP_1)
	v_lshlrev_b64 v[41:42], 3, v[2:3]
	v_add_co_u32 v41, vcc_lo, s46, v41
	s_delay_alu instid0(VALU_DEP_2)
	v_add_co_ci_u32_e32 v42, vcc_lo, s47, v42, vcc_lo
	s_waitcnt lgkmcnt(0)
	global_store_b64 v[41:42], v[39:40], off
	s_or_b32 exec_lo, exec_lo, s16
	s_and_saveexec_b32 s16, s19
	s_cbranch_execnz .LBB1850_1161
.LBB1850_1176:                          ;   in Loop: Header=BB1850_982 Depth=2
	s_or_b32 exec_lo, exec_lo, s16
	s_and_saveexec_b32 s16, s20
	s_cbranch_execz .LBB1850_1162
.LBB1850_1177:                          ;   in Loop: Header=BB1850_982 Depth=2
	v_lshlrev_b32_e32 v2, 2, v139
	ds_load_b32 v2, v2
	ds_load_b64 v[39:40], v36 offset:10240
	s_waitcnt lgkmcnt(1)
	v_add_nc_u32_e32 v2, v2, v52
	s_delay_alu instid0(VALU_DEP_1) | instskip(NEXT) | instid1(VALU_DEP_1)
	v_lshlrev_b64 v[41:42], 3, v[2:3]
	v_add_co_u32 v41, vcc_lo, s46, v41
	s_delay_alu instid0(VALU_DEP_2)
	v_add_co_ci_u32_e32 v42, vcc_lo, s47, v42, vcc_lo
	s_waitcnt lgkmcnt(0)
	global_store_b64 v[41:42], v[39:40], off
	s_or_b32 exec_lo, exec_lo, s16
	s_and_saveexec_b32 s16, s21
	s_cbranch_execnz .LBB1850_1163
.LBB1850_1178:                          ;   in Loop: Header=BB1850_982 Depth=2
	s_or_b32 exec_lo, exec_lo, s16
	s_and_saveexec_b32 s16, s22
	s_cbranch_execz .LBB1850_1164
.LBB1850_1179:                          ;   in Loop: Header=BB1850_982 Depth=2
	v_lshlrev_b32_e32 v2, 2, v137
	ds_load_b32 v2, v2
	ds_load_b64 v[39:40], v36 offset:14336
	s_waitcnt lgkmcnt(1)
	v_add_nc_u32_e32 v2, v2, v54
	s_delay_alu instid0(VALU_DEP_1) | instskip(NEXT) | instid1(VALU_DEP_1)
	v_lshlrev_b64 v[41:42], 3, v[2:3]
	v_add_co_u32 v41, vcc_lo, s46, v41
	s_delay_alu instid0(VALU_DEP_2)
	v_add_co_ci_u32_e32 v42, vcc_lo, s47, v42, vcc_lo
	s_waitcnt lgkmcnt(0)
	global_store_b64 v[41:42], v[39:40], off
	s_or_b32 exec_lo, exec_lo, s16
	s_and_saveexec_b32 s16, s23
	s_cbranch_execnz .LBB1850_1165
.LBB1850_1180:                          ;   in Loop: Header=BB1850_982 Depth=2
	s_or_b32 exec_lo, exec_lo, s16
	s_and_saveexec_b32 s16, s24
	s_cbranch_execz .LBB1850_1166
.LBB1850_1181:                          ;   in Loop: Header=BB1850_982 Depth=2
	v_lshlrev_b32_e32 v2, 2, v135
	ds_load_b32 v2, v2
	ds_load_b64 v[39:40], v36 offset:18432
	s_waitcnt lgkmcnt(1)
	v_add_nc_u32_e32 v2, v2, v56
	s_delay_alu instid0(VALU_DEP_1) | instskip(NEXT) | instid1(VALU_DEP_1)
	v_lshlrev_b64 v[41:42], 3, v[2:3]
	v_add_co_u32 v41, vcc_lo, s46, v41
	s_delay_alu instid0(VALU_DEP_2)
	v_add_co_ci_u32_e32 v42, vcc_lo, s47, v42, vcc_lo
	s_waitcnt lgkmcnt(0)
	global_store_b64 v[41:42], v[39:40], off
	s_or_b32 exec_lo, exec_lo, s16
	s_and_saveexec_b32 s16, s25
	s_cbranch_execnz .LBB1850_1167
.LBB1850_1182:                          ;   in Loop: Header=BB1850_982 Depth=2
	s_or_b32 exec_lo, exec_lo, s16
	s_and_saveexec_b32 s16, s27
	s_cbranch_execz .LBB1850_1168
.LBB1850_1183:                          ;   in Loop: Header=BB1850_982 Depth=2
	v_lshlrev_b32_e32 v2, 2, v133
	ds_load_b32 v2, v2
	ds_load_b64 v[39:40], v36 offset:22528
	s_waitcnt lgkmcnt(1)
	v_add_nc_u32_e32 v2, v2, v58
	s_delay_alu instid0(VALU_DEP_1) | instskip(NEXT) | instid1(VALU_DEP_1)
	v_lshlrev_b64 v[41:42], 3, v[2:3]
	v_add_co_u32 v41, vcc_lo, s46, v41
	s_delay_alu instid0(VALU_DEP_2)
	v_add_co_ci_u32_e32 v42, vcc_lo, s47, v42, vcc_lo
	s_waitcnt lgkmcnt(0)
	global_store_b64 v[41:42], v[39:40], off
	s_or_b32 exec_lo, exec_lo, s16
	s_and_saveexec_b32 s16, s28
	s_cbranch_execnz .LBB1850_1169
.LBB1850_1184:                          ;   in Loop: Header=BB1850_982 Depth=2
	s_or_b32 exec_lo, exec_lo, s16
	s_and_saveexec_b32 s16, s29
	s_cbranch_execz .LBB1850_1170
.LBB1850_1185:                          ;   in Loop: Header=BB1850_982 Depth=2
	v_lshlrev_b32_e32 v2, 2, v131
	ds_load_b32 v2, v2
	ds_load_b64 v[39:40], v36 offset:26624
	s_waitcnt lgkmcnt(1)
	v_add_nc_u32_e32 v2, v2, v60
	s_delay_alu instid0(VALU_DEP_1) | instskip(NEXT) | instid1(VALU_DEP_1)
	v_lshlrev_b64 v[41:42], 3, v[2:3]
	v_add_co_u32 v41, vcc_lo, s46, v41
	s_delay_alu instid0(VALU_DEP_2)
	v_add_co_ci_u32_e32 v42, vcc_lo, s47, v42, vcc_lo
	s_waitcnt lgkmcnt(0)
	global_store_b64 v[41:42], v[39:40], off
	s_or_b32 exec_lo, exec_lo, s16
	s_and_saveexec_b32 s16, s30
	s_cbranch_execnz .LBB1850_1171
.LBB1850_1186:                          ;   in Loop: Header=BB1850_982 Depth=2
	s_or_b32 exec_lo, exec_lo, s16
	s_and_saveexec_b32 s16, s31
	s_cbranch_execz .LBB1850_1188
.LBB1850_1187:                          ;   in Loop: Header=BB1850_982 Depth=2
	v_lshlrev_b32_e32 v2, 2, v129
	ds_load_b32 v2, v2
	ds_load_b64 v[36:37], v36 offset:30720
	s_waitcnt lgkmcnt(1)
	v_add_nc_u32_e32 v2, v2, v63
	s_delay_alu instid0(VALU_DEP_1) | instskip(NEXT) | instid1(VALU_DEP_1)
	v_lshlrev_b64 v[39:40], 3, v[2:3]
	v_add_co_u32 v39, vcc_lo, s46, v39
	s_delay_alu instid0(VALU_DEP_2)
	v_add_co_ci_u32_e32 v40, vcc_lo, s47, v40, vcc_lo
	s_waitcnt lgkmcnt(0)
	global_store_b64 v[39:40], v[36:37], off
.LBB1850_1188:                          ;   in Loop: Header=BB1850_982 Depth=2
	s_or_b32 exec_lo, exec_lo, s16
	s_waitcnt_vscnt null, 0x0
	s_barrier
	buffer_gl0_inv
	s_and_saveexec_b32 s16, s2
	s_cbranch_execz .LBB1850_981
; %bb.1189:                             ;   in Loop: Header=BB1850_982 Depth=2
	ds_load_b32 v2, v44
	s_waitcnt lgkmcnt(0)
	v_add_nc_u32_e32 v2, v2, v38
	ds_store_b32 v44, v2
	s_branch .LBB1850_981
.LBB1850_1190:
	s_endpgm
	.section	.rodata,"a",@progbits
	.p2align	6, 0x0
	.amdhsa_kernel _ZN7rocprim17ROCPRIM_400000_NS6detail17trampoline_kernelINS0_14default_configENS1_36segmented_radix_sort_config_selectorI6__halflEEZNS1_25segmented_radix_sort_implIS3_Lb0EPKS5_PS5_PKlPlN2at6native12_GLOBAL__N_18offset_tEEE10hipError_tPvRmT1_PNSt15iterator_traitsISL_E10value_typeET2_T3_PNSM_ISR_E10value_typeET4_jRbjT5_SX_jjP12ihipStream_tbEUlT_E_NS1_11comp_targetILNS1_3genE9ELNS1_11target_archE1100ELNS1_3gpuE3ELNS1_3repE0EEENS1_30default_config_static_selectorELNS0_4arch9wavefront6targetE0EEEvSL_
		.amdhsa_group_segment_fixed_size 33824
		.amdhsa_private_segment_fixed_size 220
		.amdhsa_kernarg_size 352
		.amdhsa_user_sgpr_count 14
		.amdhsa_user_sgpr_dispatch_ptr 0
		.amdhsa_user_sgpr_queue_ptr 0
		.amdhsa_user_sgpr_kernarg_segment_ptr 1
		.amdhsa_user_sgpr_dispatch_id 0
		.amdhsa_user_sgpr_private_segment_size 0
		.amdhsa_wavefront_size32 1
		.amdhsa_uses_dynamic_stack 0
		.amdhsa_enable_private_segment 1
		.amdhsa_system_sgpr_workgroup_id_x 1
		.amdhsa_system_sgpr_workgroup_id_y 1
		.amdhsa_system_sgpr_workgroup_id_z 0
		.amdhsa_system_sgpr_workgroup_info 0
		.amdhsa_system_vgpr_workitem_id 2
		.amdhsa_next_free_vgpr 248
		.amdhsa_next_free_sgpr 60
		.amdhsa_reserve_vcc 1
		.amdhsa_float_round_mode_32 0
		.amdhsa_float_round_mode_16_64 0
		.amdhsa_float_denorm_mode_32 3
		.amdhsa_float_denorm_mode_16_64 3
		.amdhsa_dx10_clamp 1
		.amdhsa_ieee_mode 1
		.amdhsa_fp16_overflow 0
		.amdhsa_workgroup_processor_mode 1
		.amdhsa_memory_ordered 1
		.amdhsa_forward_progress 0
		.amdhsa_shared_vgpr_count 0
		.amdhsa_exception_fp_ieee_invalid_op 0
		.amdhsa_exception_fp_denorm_src 0
		.amdhsa_exception_fp_ieee_div_zero 0
		.amdhsa_exception_fp_ieee_overflow 0
		.amdhsa_exception_fp_ieee_underflow 0
		.amdhsa_exception_fp_ieee_inexact 0
		.amdhsa_exception_int_div_zero 0
	.end_amdhsa_kernel
	.section	.text._ZN7rocprim17ROCPRIM_400000_NS6detail17trampoline_kernelINS0_14default_configENS1_36segmented_radix_sort_config_selectorI6__halflEEZNS1_25segmented_radix_sort_implIS3_Lb0EPKS5_PS5_PKlPlN2at6native12_GLOBAL__N_18offset_tEEE10hipError_tPvRmT1_PNSt15iterator_traitsISL_E10value_typeET2_T3_PNSM_ISR_E10value_typeET4_jRbjT5_SX_jjP12ihipStream_tbEUlT_E_NS1_11comp_targetILNS1_3genE9ELNS1_11target_archE1100ELNS1_3gpuE3ELNS1_3repE0EEENS1_30default_config_static_selectorELNS0_4arch9wavefront6targetE0EEEvSL_,"axG",@progbits,_ZN7rocprim17ROCPRIM_400000_NS6detail17trampoline_kernelINS0_14default_configENS1_36segmented_radix_sort_config_selectorI6__halflEEZNS1_25segmented_radix_sort_implIS3_Lb0EPKS5_PS5_PKlPlN2at6native12_GLOBAL__N_18offset_tEEE10hipError_tPvRmT1_PNSt15iterator_traitsISL_E10value_typeET2_T3_PNSM_ISR_E10value_typeET4_jRbjT5_SX_jjP12ihipStream_tbEUlT_E_NS1_11comp_targetILNS1_3genE9ELNS1_11target_archE1100ELNS1_3gpuE3ELNS1_3repE0EEENS1_30default_config_static_selectorELNS0_4arch9wavefront6targetE0EEEvSL_,comdat
.Lfunc_end1850:
	.size	_ZN7rocprim17ROCPRIM_400000_NS6detail17trampoline_kernelINS0_14default_configENS1_36segmented_radix_sort_config_selectorI6__halflEEZNS1_25segmented_radix_sort_implIS3_Lb0EPKS5_PS5_PKlPlN2at6native12_GLOBAL__N_18offset_tEEE10hipError_tPvRmT1_PNSt15iterator_traitsISL_E10value_typeET2_T3_PNSM_ISR_E10value_typeET4_jRbjT5_SX_jjP12ihipStream_tbEUlT_E_NS1_11comp_targetILNS1_3genE9ELNS1_11target_archE1100ELNS1_3gpuE3ELNS1_3repE0EEENS1_30default_config_static_selectorELNS0_4arch9wavefront6targetE0EEEvSL_, .Lfunc_end1850-_ZN7rocprim17ROCPRIM_400000_NS6detail17trampoline_kernelINS0_14default_configENS1_36segmented_radix_sort_config_selectorI6__halflEEZNS1_25segmented_radix_sort_implIS3_Lb0EPKS5_PS5_PKlPlN2at6native12_GLOBAL__N_18offset_tEEE10hipError_tPvRmT1_PNSt15iterator_traitsISL_E10value_typeET2_T3_PNSM_ISR_E10value_typeET4_jRbjT5_SX_jjP12ihipStream_tbEUlT_E_NS1_11comp_targetILNS1_3genE9ELNS1_11target_archE1100ELNS1_3gpuE3ELNS1_3repE0EEENS1_30default_config_static_selectorELNS0_4arch9wavefront6targetE0EEEvSL_
                                        ; -- End function
	.section	.AMDGPU.csdata,"",@progbits
; Kernel info:
; codeLenInByte = 79744
; NumSgprs: 62
; NumVgprs: 248
; ScratchSize: 220
; MemoryBound: 0
; FloatMode: 240
; IeeeMode: 1
; LDSByteSize: 33824 bytes/workgroup (compile time only)
; SGPRBlocks: 7
; VGPRBlocks: 30
; NumSGPRsForWavesPerEU: 62
; NumVGPRsForWavesPerEU: 248
; Occupancy: 5
; WaveLimiterHint : 1
; COMPUTE_PGM_RSRC2:SCRATCH_EN: 1
; COMPUTE_PGM_RSRC2:USER_SGPR: 14
; COMPUTE_PGM_RSRC2:TRAP_HANDLER: 0
; COMPUTE_PGM_RSRC2:TGID_X_EN: 1
; COMPUTE_PGM_RSRC2:TGID_Y_EN: 1
; COMPUTE_PGM_RSRC2:TGID_Z_EN: 0
; COMPUTE_PGM_RSRC2:TIDIG_COMP_CNT: 2
	.section	.text._ZN7rocprim17ROCPRIM_400000_NS6detail17trampoline_kernelINS0_14default_configENS1_36segmented_radix_sort_config_selectorI6__halflEEZNS1_25segmented_radix_sort_implIS3_Lb0EPKS5_PS5_PKlPlN2at6native12_GLOBAL__N_18offset_tEEE10hipError_tPvRmT1_PNSt15iterator_traitsISL_E10value_typeET2_T3_PNSM_ISR_E10value_typeET4_jRbjT5_SX_jjP12ihipStream_tbEUlT_E_NS1_11comp_targetILNS1_3genE8ELNS1_11target_archE1030ELNS1_3gpuE2ELNS1_3repE0EEENS1_30default_config_static_selectorELNS0_4arch9wavefront6targetE0EEEvSL_,"axG",@progbits,_ZN7rocprim17ROCPRIM_400000_NS6detail17trampoline_kernelINS0_14default_configENS1_36segmented_radix_sort_config_selectorI6__halflEEZNS1_25segmented_radix_sort_implIS3_Lb0EPKS5_PS5_PKlPlN2at6native12_GLOBAL__N_18offset_tEEE10hipError_tPvRmT1_PNSt15iterator_traitsISL_E10value_typeET2_T3_PNSM_ISR_E10value_typeET4_jRbjT5_SX_jjP12ihipStream_tbEUlT_E_NS1_11comp_targetILNS1_3genE8ELNS1_11target_archE1030ELNS1_3gpuE2ELNS1_3repE0EEENS1_30default_config_static_selectorELNS0_4arch9wavefront6targetE0EEEvSL_,comdat
	.globl	_ZN7rocprim17ROCPRIM_400000_NS6detail17trampoline_kernelINS0_14default_configENS1_36segmented_radix_sort_config_selectorI6__halflEEZNS1_25segmented_radix_sort_implIS3_Lb0EPKS5_PS5_PKlPlN2at6native12_GLOBAL__N_18offset_tEEE10hipError_tPvRmT1_PNSt15iterator_traitsISL_E10value_typeET2_T3_PNSM_ISR_E10value_typeET4_jRbjT5_SX_jjP12ihipStream_tbEUlT_E_NS1_11comp_targetILNS1_3genE8ELNS1_11target_archE1030ELNS1_3gpuE2ELNS1_3repE0EEENS1_30default_config_static_selectorELNS0_4arch9wavefront6targetE0EEEvSL_ ; -- Begin function _ZN7rocprim17ROCPRIM_400000_NS6detail17trampoline_kernelINS0_14default_configENS1_36segmented_radix_sort_config_selectorI6__halflEEZNS1_25segmented_radix_sort_implIS3_Lb0EPKS5_PS5_PKlPlN2at6native12_GLOBAL__N_18offset_tEEE10hipError_tPvRmT1_PNSt15iterator_traitsISL_E10value_typeET2_T3_PNSM_ISR_E10value_typeET4_jRbjT5_SX_jjP12ihipStream_tbEUlT_E_NS1_11comp_targetILNS1_3genE8ELNS1_11target_archE1030ELNS1_3gpuE2ELNS1_3repE0EEENS1_30default_config_static_selectorELNS0_4arch9wavefront6targetE0EEEvSL_
	.p2align	8
	.type	_ZN7rocprim17ROCPRIM_400000_NS6detail17trampoline_kernelINS0_14default_configENS1_36segmented_radix_sort_config_selectorI6__halflEEZNS1_25segmented_radix_sort_implIS3_Lb0EPKS5_PS5_PKlPlN2at6native12_GLOBAL__N_18offset_tEEE10hipError_tPvRmT1_PNSt15iterator_traitsISL_E10value_typeET2_T3_PNSM_ISR_E10value_typeET4_jRbjT5_SX_jjP12ihipStream_tbEUlT_E_NS1_11comp_targetILNS1_3genE8ELNS1_11target_archE1030ELNS1_3gpuE2ELNS1_3repE0EEENS1_30default_config_static_selectorELNS0_4arch9wavefront6targetE0EEEvSL_,@function
_ZN7rocprim17ROCPRIM_400000_NS6detail17trampoline_kernelINS0_14default_configENS1_36segmented_radix_sort_config_selectorI6__halflEEZNS1_25segmented_radix_sort_implIS3_Lb0EPKS5_PS5_PKlPlN2at6native12_GLOBAL__N_18offset_tEEE10hipError_tPvRmT1_PNSt15iterator_traitsISL_E10value_typeET2_T3_PNSM_ISR_E10value_typeET4_jRbjT5_SX_jjP12ihipStream_tbEUlT_E_NS1_11comp_targetILNS1_3genE8ELNS1_11target_archE1030ELNS1_3gpuE2ELNS1_3repE0EEENS1_30default_config_static_selectorELNS0_4arch9wavefront6targetE0EEEvSL_: ; @_ZN7rocprim17ROCPRIM_400000_NS6detail17trampoline_kernelINS0_14default_configENS1_36segmented_radix_sort_config_selectorI6__halflEEZNS1_25segmented_radix_sort_implIS3_Lb0EPKS5_PS5_PKlPlN2at6native12_GLOBAL__N_18offset_tEEE10hipError_tPvRmT1_PNSt15iterator_traitsISL_E10value_typeET2_T3_PNSM_ISR_E10value_typeET4_jRbjT5_SX_jjP12ihipStream_tbEUlT_E_NS1_11comp_targetILNS1_3genE8ELNS1_11target_archE1030ELNS1_3gpuE2ELNS1_3repE0EEENS1_30default_config_static_selectorELNS0_4arch9wavefront6targetE0EEEvSL_
; %bb.0:
	.section	.rodata,"a",@progbits
	.p2align	6, 0x0
	.amdhsa_kernel _ZN7rocprim17ROCPRIM_400000_NS6detail17trampoline_kernelINS0_14default_configENS1_36segmented_radix_sort_config_selectorI6__halflEEZNS1_25segmented_radix_sort_implIS3_Lb0EPKS5_PS5_PKlPlN2at6native12_GLOBAL__N_18offset_tEEE10hipError_tPvRmT1_PNSt15iterator_traitsISL_E10value_typeET2_T3_PNSM_ISR_E10value_typeET4_jRbjT5_SX_jjP12ihipStream_tbEUlT_E_NS1_11comp_targetILNS1_3genE8ELNS1_11target_archE1030ELNS1_3gpuE2ELNS1_3repE0EEENS1_30default_config_static_selectorELNS0_4arch9wavefront6targetE0EEEvSL_
		.amdhsa_group_segment_fixed_size 0
		.amdhsa_private_segment_fixed_size 0
		.amdhsa_kernarg_size 96
		.amdhsa_user_sgpr_count 15
		.amdhsa_user_sgpr_dispatch_ptr 0
		.amdhsa_user_sgpr_queue_ptr 0
		.amdhsa_user_sgpr_kernarg_segment_ptr 1
		.amdhsa_user_sgpr_dispatch_id 0
		.amdhsa_user_sgpr_private_segment_size 0
		.amdhsa_wavefront_size32 1
		.amdhsa_uses_dynamic_stack 0
		.amdhsa_enable_private_segment 0
		.amdhsa_system_sgpr_workgroup_id_x 1
		.amdhsa_system_sgpr_workgroup_id_y 0
		.amdhsa_system_sgpr_workgroup_id_z 0
		.amdhsa_system_sgpr_workgroup_info 0
		.amdhsa_system_vgpr_workitem_id 0
		.amdhsa_next_free_vgpr 1
		.amdhsa_next_free_sgpr 1
		.amdhsa_reserve_vcc 0
		.amdhsa_float_round_mode_32 0
		.amdhsa_float_round_mode_16_64 0
		.amdhsa_float_denorm_mode_32 3
		.amdhsa_float_denorm_mode_16_64 3
		.amdhsa_dx10_clamp 1
		.amdhsa_ieee_mode 1
		.amdhsa_fp16_overflow 0
		.amdhsa_workgroup_processor_mode 1
		.amdhsa_memory_ordered 1
		.amdhsa_forward_progress 0
		.amdhsa_shared_vgpr_count 0
		.amdhsa_exception_fp_ieee_invalid_op 0
		.amdhsa_exception_fp_denorm_src 0
		.amdhsa_exception_fp_ieee_div_zero 0
		.amdhsa_exception_fp_ieee_overflow 0
		.amdhsa_exception_fp_ieee_underflow 0
		.amdhsa_exception_fp_ieee_inexact 0
		.amdhsa_exception_int_div_zero 0
	.end_amdhsa_kernel
	.section	.text._ZN7rocprim17ROCPRIM_400000_NS6detail17trampoline_kernelINS0_14default_configENS1_36segmented_radix_sort_config_selectorI6__halflEEZNS1_25segmented_radix_sort_implIS3_Lb0EPKS5_PS5_PKlPlN2at6native12_GLOBAL__N_18offset_tEEE10hipError_tPvRmT1_PNSt15iterator_traitsISL_E10value_typeET2_T3_PNSM_ISR_E10value_typeET4_jRbjT5_SX_jjP12ihipStream_tbEUlT_E_NS1_11comp_targetILNS1_3genE8ELNS1_11target_archE1030ELNS1_3gpuE2ELNS1_3repE0EEENS1_30default_config_static_selectorELNS0_4arch9wavefront6targetE0EEEvSL_,"axG",@progbits,_ZN7rocprim17ROCPRIM_400000_NS6detail17trampoline_kernelINS0_14default_configENS1_36segmented_radix_sort_config_selectorI6__halflEEZNS1_25segmented_radix_sort_implIS3_Lb0EPKS5_PS5_PKlPlN2at6native12_GLOBAL__N_18offset_tEEE10hipError_tPvRmT1_PNSt15iterator_traitsISL_E10value_typeET2_T3_PNSM_ISR_E10value_typeET4_jRbjT5_SX_jjP12ihipStream_tbEUlT_E_NS1_11comp_targetILNS1_3genE8ELNS1_11target_archE1030ELNS1_3gpuE2ELNS1_3repE0EEENS1_30default_config_static_selectorELNS0_4arch9wavefront6targetE0EEEvSL_,comdat
.Lfunc_end1851:
	.size	_ZN7rocprim17ROCPRIM_400000_NS6detail17trampoline_kernelINS0_14default_configENS1_36segmented_radix_sort_config_selectorI6__halflEEZNS1_25segmented_radix_sort_implIS3_Lb0EPKS5_PS5_PKlPlN2at6native12_GLOBAL__N_18offset_tEEE10hipError_tPvRmT1_PNSt15iterator_traitsISL_E10value_typeET2_T3_PNSM_ISR_E10value_typeET4_jRbjT5_SX_jjP12ihipStream_tbEUlT_E_NS1_11comp_targetILNS1_3genE8ELNS1_11target_archE1030ELNS1_3gpuE2ELNS1_3repE0EEENS1_30default_config_static_selectorELNS0_4arch9wavefront6targetE0EEEvSL_, .Lfunc_end1851-_ZN7rocprim17ROCPRIM_400000_NS6detail17trampoline_kernelINS0_14default_configENS1_36segmented_radix_sort_config_selectorI6__halflEEZNS1_25segmented_radix_sort_implIS3_Lb0EPKS5_PS5_PKlPlN2at6native12_GLOBAL__N_18offset_tEEE10hipError_tPvRmT1_PNSt15iterator_traitsISL_E10value_typeET2_T3_PNSM_ISR_E10value_typeET4_jRbjT5_SX_jjP12ihipStream_tbEUlT_E_NS1_11comp_targetILNS1_3genE8ELNS1_11target_archE1030ELNS1_3gpuE2ELNS1_3repE0EEENS1_30default_config_static_selectorELNS0_4arch9wavefront6targetE0EEEvSL_
                                        ; -- End function
	.section	.AMDGPU.csdata,"",@progbits
; Kernel info:
; codeLenInByte = 0
; NumSgprs: 0
; NumVgprs: 0
; ScratchSize: 0
; MemoryBound: 0
; FloatMode: 240
; IeeeMode: 1
; LDSByteSize: 0 bytes/workgroup (compile time only)
; SGPRBlocks: 0
; VGPRBlocks: 0
; NumSGPRsForWavesPerEU: 1
; NumVGPRsForWavesPerEU: 1
; Occupancy: 16
; WaveLimiterHint : 0
; COMPUTE_PGM_RSRC2:SCRATCH_EN: 0
; COMPUTE_PGM_RSRC2:USER_SGPR: 15
; COMPUTE_PGM_RSRC2:TRAP_HANDLER: 0
; COMPUTE_PGM_RSRC2:TGID_X_EN: 1
; COMPUTE_PGM_RSRC2:TGID_Y_EN: 0
; COMPUTE_PGM_RSRC2:TGID_Z_EN: 0
; COMPUTE_PGM_RSRC2:TIDIG_COMP_CNT: 0
	.section	.text._ZN7rocprim17ROCPRIM_400000_NS6detail17trampoline_kernelINS0_14default_configENS1_36segmented_radix_sort_config_selectorI6__halflEEZNS1_25segmented_radix_sort_implIS3_Lb0EPKS5_PS5_PKlPlN2at6native12_GLOBAL__N_18offset_tEEE10hipError_tPvRmT1_PNSt15iterator_traitsISL_E10value_typeET2_T3_PNSM_ISR_E10value_typeET4_jRbjT5_SX_jjP12ihipStream_tbEUlT_E0_NS1_11comp_targetILNS1_3genE0ELNS1_11target_archE4294967295ELNS1_3gpuE0ELNS1_3repE0EEENS1_60segmented_radix_sort_warp_sort_medium_config_static_selectorELNS0_4arch9wavefront6targetE0EEEvSL_,"axG",@progbits,_ZN7rocprim17ROCPRIM_400000_NS6detail17trampoline_kernelINS0_14default_configENS1_36segmented_radix_sort_config_selectorI6__halflEEZNS1_25segmented_radix_sort_implIS3_Lb0EPKS5_PS5_PKlPlN2at6native12_GLOBAL__N_18offset_tEEE10hipError_tPvRmT1_PNSt15iterator_traitsISL_E10value_typeET2_T3_PNSM_ISR_E10value_typeET4_jRbjT5_SX_jjP12ihipStream_tbEUlT_E0_NS1_11comp_targetILNS1_3genE0ELNS1_11target_archE4294967295ELNS1_3gpuE0ELNS1_3repE0EEENS1_60segmented_radix_sort_warp_sort_medium_config_static_selectorELNS0_4arch9wavefront6targetE0EEEvSL_,comdat
	.globl	_ZN7rocprim17ROCPRIM_400000_NS6detail17trampoline_kernelINS0_14default_configENS1_36segmented_radix_sort_config_selectorI6__halflEEZNS1_25segmented_radix_sort_implIS3_Lb0EPKS5_PS5_PKlPlN2at6native12_GLOBAL__N_18offset_tEEE10hipError_tPvRmT1_PNSt15iterator_traitsISL_E10value_typeET2_T3_PNSM_ISR_E10value_typeET4_jRbjT5_SX_jjP12ihipStream_tbEUlT_E0_NS1_11comp_targetILNS1_3genE0ELNS1_11target_archE4294967295ELNS1_3gpuE0ELNS1_3repE0EEENS1_60segmented_radix_sort_warp_sort_medium_config_static_selectorELNS0_4arch9wavefront6targetE0EEEvSL_ ; -- Begin function _ZN7rocprim17ROCPRIM_400000_NS6detail17trampoline_kernelINS0_14default_configENS1_36segmented_radix_sort_config_selectorI6__halflEEZNS1_25segmented_radix_sort_implIS3_Lb0EPKS5_PS5_PKlPlN2at6native12_GLOBAL__N_18offset_tEEE10hipError_tPvRmT1_PNSt15iterator_traitsISL_E10value_typeET2_T3_PNSM_ISR_E10value_typeET4_jRbjT5_SX_jjP12ihipStream_tbEUlT_E0_NS1_11comp_targetILNS1_3genE0ELNS1_11target_archE4294967295ELNS1_3gpuE0ELNS1_3repE0EEENS1_60segmented_radix_sort_warp_sort_medium_config_static_selectorELNS0_4arch9wavefront6targetE0EEEvSL_
	.p2align	8
	.type	_ZN7rocprim17ROCPRIM_400000_NS6detail17trampoline_kernelINS0_14default_configENS1_36segmented_radix_sort_config_selectorI6__halflEEZNS1_25segmented_radix_sort_implIS3_Lb0EPKS5_PS5_PKlPlN2at6native12_GLOBAL__N_18offset_tEEE10hipError_tPvRmT1_PNSt15iterator_traitsISL_E10value_typeET2_T3_PNSM_ISR_E10value_typeET4_jRbjT5_SX_jjP12ihipStream_tbEUlT_E0_NS1_11comp_targetILNS1_3genE0ELNS1_11target_archE4294967295ELNS1_3gpuE0ELNS1_3repE0EEENS1_60segmented_radix_sort_warp_sort_medium_config_static_selectorELNS0_4arch9wavefront6targetE0EEEvSL_,@function
_ZN7rocprim17ROCPRIM_400000_NS6detail17trampoline_kernelINS0_14default_configENS1_36segmented_radix_sort_config_selectorI6__halflEEZNS1_25segmented_radix_sort_implIS3_Lb0EPKS5_PS5_PKlPlN2at6native12_GLOBAL__N_18offset_tEEE10hipError_tPvRmT1_PNSt15iterator_traitsISL_E10value_typeET2_T3_PNSM_ISR_E10value_typeET4_jRbjT5_SX_jjP12ihipStream_tbEUlT_E0_NS1_11comp_targetILNS1_3genE0ELNS1_11target_archE4294967295ELNS1_3gpuE0ELNS1_3repE0EEENS1_60segmented_radix_sort_warp_sort_medium_config_static_selectorELNS0_4arch9wavefront6targetE0EEEvSL_: ; @_ZN7rocprim17ROCPRIM_400000_NS6detail17trampoline_kernelINS0_14default_configENS1_36segmented_radix_sort_config_selectorI6__halflEEZNS1_25segmented_radix_sort_implIS3_Lb0EPKS5_PS5_PKlPlN2at6native12_GLOBAL__N_18offset_tEEE10hipError_tPvRmT1_PNSt15iterator_traitsISL_E10value_typeET2_T3_PNSM_ISR_E10value_typeET4_jRbjT5_SX_jjP12ihipStream_tbEUlT_E0_NS1_11comp_targetILNS1_3genE0ELNS1_11target_archE4294967295ELNS1_3gpuE0ELNS1_3repE0EEENS1_60segmented_radix_sort_warp_sort_medium_config_static_selectorELNS0_4arch9wavefront6targetE0EEEvSL_
; %bb.0:
	.section	.rodata,"a",@progbits
	.p2align	6, 0x0
	.amdhsa_kernel _ZN7rocprim17ROCPRIM_400000_NS6detail17trampoline_kernelINS0_14default_configENS1_36segmented_radix_sort_config_selectorI6__halflEEZNS1_25segmented_radix_sort_implIS3_Lb0EPKS5_PS5_PKlPlN2at6native12_GLOBAL__N_18offset_tEEE10hipError_tPvRmT1_PNSt15iterator_traitsISL_E10value_typeET2_T3_PNSM_ISR_E10value_typeET4_jRbjT5_SX_jjP12ihipStream_tbEUlT_E0_NS1_11comp_targetILNS1_3genE0ELNS1_11target_archE4294967295ELNS1_3gpuE0ELNS1_3repE0EEENS1_60segmented_radix_sort_warp_sort_medium_config_static_selectorELNS0_4arch9wavefront6targetE0EEEvSL_
		.amdhsa_group_segment_fixed_size 0
		.amdhsa_private_segment_fixed_size 0
		.amdhsa_kernarg_size 88
		.amdhsa_user_sgpr_count 15
		.amdhsa_user_sgpr_dispatch_ptr 0
		.amdhsa_user_sgpr_queue_ptr 0
		.amdhsa_user_sgpr_kernarg_segment_ptr 1
		.amdhsa_user_sgpr_dispatch_id 0
		.amdhsa_user_sgpr_private_segment_size 0
		.amdhsa_wavefront_size32 1
		.amdhsa_uses_dynamic_stack 0
		.amdhsa_enable_private_segment 0
		.amdhsa_system_sgpr_workgroup_id_x 1
		.amdhsa_system_sgpr_workgroup_id_y 0
		.amdhsa_system_sgpr_workgroup_id_z 0
		.amdhsa_system_sgpr_workgroup_info 0
		.amdhsa_system_vgpr_workitem_id 0
		.amdhsa_next_free_vgpr 1
		.amdhsa_next_free_sgpr 1
		.amdhsa_reserve_vcc 0
		.amdhsa_float_round_mode_32 0
		.amdhsa_float_round_mode_16_64 0
		.amdhsa_float_denorm_mode_32 3
		.amdhsa_float_denorm_mode_16_64 3
		.amdhsa_dx10_clamp 1
		.amdhsa_ieee_mode 1
		.amdhsa_fp16_overflow 0
		.amdhsa_workgroup_processor_mode 1
		.amdhsa_memory_ordered 1
		.amdhsa_forward_progress 0
		.amdhsa_shared_vgpr_count 0
		.amdhsa_exception_fp_ieee_invalid_op 0
		.amdhsa_exception_fp_denorm_src 0
		.amdhsa_exception_fp_ieee_div_zero 0
		.amdhsa_exception_fp_ieee_overflow 0
		.amdhsa_exception_fp_ieee_underflow 0
		.amdhsa_exception_fp_ieee_inexact 0
		.amdhsa_exception_int_div_zero 0
	.end_amdhsa_kernel
	.section	.text._ZN7rocprim17ROCPRIM_400000_NS6detail17trampoline_kernelINS0_14default_configENS1_36segmented_radix_sort_config_selectorI6__halflEEZNS1_25segmented_radix_sort_implIS3_Lb0EPKS5_PS5_PKlPlN2at6native12_GLOBAL__N_18offset_tEEE10hipError_tPvRmT1_PNSt15iterator_traitsISL_E10value_typeET2_T3_PNSM_ISR_E10value_typeET4_jRbjT5_SX_jjP12ihipStream_tbEUlT_E0_NS1_11comp_targetILNS1_3genE0ELNS1_11target_archE4294967295ELNS1_3gpuE0ELNS1_3repE0EEENS1_60segmented_radix_sort_warp_sort_medium_config_static_selectorELNS0_4arch9wavefront6targetE0EEEvSL_,"axG",@progbits,_ZN7rocprim17ROCPRIM_400000_NS6detail17trampoline_kernelINS0_14default_configENS1_36segmented_radix_sort_config_selectorI6__halflEEZNS1_25segmented_radix_sort_implIS3_Lb0EPKS5_PS5_PKlPlN2at6native12_GLOBAL__N_18offset_tEEE10hipError_tPvRmT1_PNSt15iterator_traitsISL_E10value_typeET2_T3_PNSM_ISR_E10value_typeET4_jRbjT5_SX_jjP12ihipStream_tbEUlT_E0_NS1_11comp_targetILNS1_3genE0ELNS1_11target_archE4294967295ELNS1_3gpuE0ELNS1_3repE0EEENS1_60segmented_radix_sort_warp_sort_medium_config_static_selectorELNS0_4arch9wavefront6targetE0EEEvSL_,comdat
.Lfunc_end1852:
	.size	_ZN7rocprim17ROCPRIM_400000_NS6detail17trampoline_kernelINS0_14default_configENS1_36segmented_radix_sort_config_selectorI6__halflEEZNS1_25segmented_radix_sort_implIS3_Lb0EPKS5_PS5_PKlPlN2at6native12_GLOBAL__N_18offset_tEEE10hipError_tPvRmT1_PNSt15iterator_traitsISL_E10value_typeET2_T3_PNSM_ISR_E10value_typeET4_jRbjT5_SX_jjP12ihipStream_tbEUlT_E0_NS1_11comp_targetILNS1_3genE0ELNS1_11target_archE4294967295ELNS1_3gpuE0ELNS1_3repE0EEENS1_60segmented_radix_sort_warp_sort_medium_config_static_selectorELNS0_4arch9wavefront6targetE0EEEvSL_, .Lfunc_end1852-_ZN7rocprim17ROCPRIM_400000_NS6detail17trampoline_kernelINS0_14default_configENS1_36segmented_radix_sort_config_selectorI6__halflEEZNS1_25segmented_radix_sort_implIS3_Lb0EPKS5_PS5_PKlPlN2at6native12_GLOBAL__N_18offset_tEEE10hipError_tPvRmT1_PNSt15iterator_traitsISL_E10value_typeET2_T3_PNSM_ISR_E10value_typeET4_jRbjT5_SX_jjP12ihipStream_tbEUlT_E0_NS1_11comp_targetILNS1_3genE0ELNS1_11target_archE4294967295ELNS1_3gpuE0ELNS1_3repE0EEENS1_60segmented_radix_sort_warp_sort_medium_config_static_selectorELNS0_4arch9wavefront6targetE0EEEvSL_
                                        ; -- End function
	.section	.AMDGPU.csdata,"",@progbits
; Kernel info:
; codeLenInByte = 0
; NumSgprs: 0
; NumVgprs: 0
; ScratchSize: 0
; MemoryBound: 0
; FloatMode: 240
; IeeeMode: 1
; LDSByteSize: 0 bytes/workgroup (compile time only)
; SGPRBlocks: 0
; VGPRBlocks: 0
; NumSGPRsForWavesPerEU: 1
; NumVGPRsForWavesPerEU: 1
; Occupancy: 16
; WaveLimiterHint : 0
; COMPUTE_PGM_RSRC2:SCRATCH_EN: 0
; COMPUTE_PGM_RSRC2:USER_SGPR: 15
; COMPUTE_PGM_RSRC2:TRAP_HANDLER: 0
; COMPUTE_PGM_RSRC2:TGID_X_EN: 1
; COMPUTE_PGM_RSRC2:TGID_Y_EN: 0
; COMPUTE_PGM_RSRC2:TGID_Z_EN: 0
; COMPUTE_PGM_RSRC2:TIDIG_COMP_CNT: 0
	.section	.text._ZN7rocprim17ROCPRIM_400000_NS6detail17trampoline_kernelINS0_14default_configENS1_36segmented_radix_sort_config_selectorI6__halflEEZNS1_25segmented_radix_sort_implIS3_Lb0EPKS5_PS5_PKlPlN2at6native12_GLOBAL__N_18offset_tEEE10hipError_tPvRmT1_PNSt15iterator_traitsISL_E10value_typeET2_T3_PNSM_ISR_E10value_typeET4_jRbjT5_SX_jjP12ihipStream_tbEUlT_E0_NS1_11comp_targetILNS1_3genE5ELNS1_11target_archE942ELNS1_3gpuE9ELNS1_3repE0EEENS1_60segmented_radix_sort_warp_sort_medium_config_static_selectorELNS0_4arch9wavefront6targetE0EEEvSL_,"axG",@progbits,_ZN7rocprim17ROCPRIM_400000_NS6detail17trampoline_kernelINS0_14default_configENS1_36segmented_radix_sort_config_selectorI6__halflEEZNS1_25segmented_radix_sort_implIS3_Lb0EPKS5_PS5_PKlPlN2at6native12_GLOBAL__N_18offset_tEEE10hipError_tPvRmT1_PNSt15iterator_traitsISL_E10value_typeET2_T3_PNSM_ISR_E10value_typeET4_jRbjT5_SX_jjP12ihipStream_tbEUlT_E0_NS1_11comp_targetILNS1_3genE5ELNS1_11target_archE942ELNS1_3gpuE9ELNS1_3repE0EEENS1_60segmented_radix_sort_warp_sort_medium_config_static_selectorELNS0_4arch9wavefront6targetE0EEEvSL_,comdat
	.globl	_ZN7rocprim17ROCPRIM_400000_NS6detail17trampoline_kernelINS0_14default_configENS1_36segmented_radix_sort_config_selectorI6__halflEEZNS1_25segmented_radix_sort_implIS3_Lb0EPKS5_PS5_PKlPlN2at6native12_GLOBAL__N_18offset_tEEE10hipError_tPvRmT1_PNSt15iterator_traitsISL_E10value_typeET2_T3_PNSM_ISR_E10value_typeET4_jRbjT5_SX_jjP12ihipStream_tbEUlT_E0_NS1_11comp_targetILNS1_3genE5ELNS1_11target_archE942ELNS1_3gpuE9ELNS1_3repE0EEENS1_60segmented_radix_sort_warp_sort_medium_config_static_selectorELNS0_4arch9wavefront6targetE0EEEvSL_ ; -- Begin function _ZN7rocprim17ROCPRIM_400000_NS6detail17trampoline_kernelINS0_14default_configENS1_36segmented_radix_sort_config_selectorI6__halflEEZNS1_25segmented_radix_sort_implIS3_Lb0EPKS5_PS5_PKlPlN2at6native12_GLOBAL__N_18offset_tEEE10hipError_tPvRmT1_PNSt15iterator_traitsISL_E10value_typeET2_T3_PNSM_ISR_E10value_typeET4_jRbjT5_SX_jjP12ihipStream_tbEUlT_E0_NS1_11comp_targetILNS1_3genE5ELNS1_11target_archE942ELNS1_3gpuE9ELNS1_3repE0EEENS1_60segmented_radix_sort_warp_sort_medium_config_static_selectorELNS0_4arch9wavefront6targetE0EEEvSL_
	.p2align	8
	.type	_ZN7rocprim17ROCPRIM_400000_NS6detail17trampoline_kernelINS0_14default_configENS1_36segmented_radix_sort_config_selectorI6__halflEEZNS1_25segmented_radix_sort_implIS3_Lb0EPKS5_PS5_PKlPlN2at6native12_GLOBAL__N_18offset_tEEE10hipError_tPvRmT1_PNSt15iterator_traitsISL_E10value_typeET2_T3_PNSM_ISR_E10value_typeET4_jRbjT5_SX_jjP12ihipStream_tbEUlT_E0_NS1_11comp_targetILNS1_3genE5ELNS1_11target_archE942ELNS1_3gpuE9ELNS1_3repE0EEENS1_60segmented_radix_sort_warp_sort_medium_config_static_selectorELNS0_4arch9wavefront6targetE0EEEvSL_,@function
_ZN7rocprim17ROCPRIM_400000_NS6detail17trampoline_kernelINS0_14default_configENS1_36segmented_radix_sort_config_selectorI6__halflEEZNS1_25segmented_radix_sort_implIS3_Lb0EPKS5_PS5_PKlPlN2at6native12_GLOBAL__N_18offset_tEEE10hipError_tPvRmT1_PNSt15iterator_traitsISL_E10value_typeET2_T3_PNSM_ISR_E10value_typeET4_jRbjT5_SX_jjP12ihipStream_tbEUlT_E0_NS1_11comp_targetILNS1_3genE5ELNS1_11target_archE942ELNS1_3gpuE9ELNS1_3repE0EEENS1_60segmented_radix_sort_warp_sort_medium_config_static_selectorELNS0_4arch9wavefront6targetE0EEEvSL_: ; @_ZN7rocprim17ROCPRIM_400000_NS6detail17trampoline_kernelINS0_14default_configENS1_36segmented_radix_sort_config_selectorI6__halflEEZNS1_25segmented_radix_sort_implIS3_Lb0EPKS5_PS5_PKlPlN2at6native12_GLOBAL__N_18offset_tEEE10hipError_tPvRmT1_PNSt15iterator_traitsISL_E10value_typeET2_T3_PNSM_ISR_E10value_typeET4_jRbjT5_SX_jjP12ihipStream_tbEUlT_E0_NS1_11comp_targetILNS1_3genE5ELNS1_11target_archE942ELNS1_3gpuE9ELNS1_3repE0EEENS1_60segmented_radix_sort_warp_sort_medium_config_static_selectorELNS0_4arch9wavefront6targetE0EEEvSL_
; %bb.0:
	.section	.rodata,"a",@progbits
	.p2align	6, 0x0
	.amdhsa_kernel _ZN7rocprim17ROCPRIM_400000_NS6detail17trampoline_kernelINS0_14default_configENS1_36segmented_radix_sort_config_selectorI6__halflEEZNS1_25segmented_radix_sort_implIS3_Lb0EPKS5_PS5_PKlPlN2at6native12_GLOBAL__N_18offset_tEEE10hipError_tPvRmT1_PNSt15iterator_traitsISL_E10value_typeET2_T3_PNSM_ISR_E10value_typeET4_jRbjT5_SX_jjP12ihipStream_tbEUlT_E0_NS1_11comp_targetILNS1_3genE5ELNS1_11target_archE942ELNS1_3gpuE9ELNS1_3repE0EEENS1_60segmented_radix_sort_warp_sort_medium_config_static_selectorELNS0_4arch9wavefront6targetE0EEEvSL_
		.amdhsa_group_segment_fixed_size 0
		.amdhsa_private_segment_fixed_size 0
		.amdhsa_kernarg_size 88
		.amdhsa_user_sgpr_count 15
		.amdhsa_user_sgpr_dispatch_ptr 0
		.amdhsa_user_sgpr_queue_ptr 0
		.amdhsa_user_sgpr_kernarg_segment_ptr 1
		.amdhsa_user_sgpr_dispatch_id 0
		.amdhsa_user_sgpr_private_segment_size 0
		.amdhsa_wavefront_size32 1
		.amdhsa_uses_dynamic_stack 0
		.amdhsa_enable_private_segment 0
		.amdhsa_system_sgpr_workgroup_id_x 1
		.amdhsa_system_sgpr_workgroup_id_y 0
		.amdhsa_system_sgpr_workgroup_id_z 0
		.amdhsa_system_sgpr_workgroup_info 0
		.amdhsa_system_vgpr_workitem_id 0
		.amdhsa_next_free_vgpr 1
		.amdhsa_next_free_sgpr 1
		.amdhsa_reserve_vcc 0
		.amdhsa_float_round_mode_32 0
		.amdhsa_float_round_mode_16_64 0
		.amdhsa_float_denorm_mode_32 3
		.amdhsa_float_denorm_mode_16_64 3
		.amdhsa_dx10_clamp 1
		.amdhsa_ieee_mode 1
		.amdhsa_fp16_overflow 0
		.amdhsa_workgroup_processor_mode 1
		.amdhsa_memory_ordered 1
		.amdhsa_forward_progress 0
		.amdhsa_shared_vgpr_count 0
		.amdhsa_exception_fp_ieee_invalid_op 0
		.amdhsa_exception_fp_denorm_src 0
		.amdhsa_exception_fp_ieee_div_zero 0
		.amdhsa_exception_fp_ieee_overflow 0
		.amdhsa_exception_fp_ieee_underflow 0
		.amdhsa_exception_fp_ieee_inexact 0
		.amdhsa_exception_int_div_zero 0
	.end_amdhsa_kernel
	.section	.text._ZN7rocprim17ROCPRIM_400000_NS6detail17trampoline_kernelINS0_14default_configENS1_36segmented_radix_sort_config_selectorI6__halflEEZNS1_25segmented_radix_sort_implIS3_Lb0EPKS5_PS5_PKlPlN2at6native12_GLOBAL__N_18offset_tEEE10hipError_tPvRmT1_PNSt15iterator_traitsISL_E10value_typeET2_T3_PNSM_ISR_E10value_typeET4_jRbjT5_SX_jjP12ihipStream_tbEUlT_E0_NS1_11comp_targetILNS1_3genE5ELNS1_11target_archE942ELNS1_3gpuE9ELNS1_3repE0EEENS1_60segmented_radix_sort_warp_sort_medium_config_static_selectorELNS0_4arch9wavefront6targetE0EEEvSL_,"axG",@progbits,_ZN7rocprim17ROCPRIM_400000_NS6detail17trampoline_kernelINS0_14default_configENS1_36segmented_radix_sort_config_selectorI6__halflEEZNS1_25segmented_radix_sort_implIS3_Lb0EPKS5_PS5_PKlPlN2at6native12_GLOBAL__N_18offset_tEEE10hipError_tPvRmT1_PNSt15iterator_traitsISL_E10value_typeET2_T3_PNSM_ISR_E10value_typeET4_jRbjT5_SX_jjP12ihipStream_tbEUlT_E0_NS1_11comp_targetILNS1_3genE5ELNS1_11target_archE942ELNS1_3gpuE9ELNS1_3repE0EEENS1_60segmented_radix_sort_warp_sort_medium_config_static_selectorELNS0_4arch9wavefront6targetE0EEEvSL_,comdat
.Lfunc_end1853:
	.size	_ZN7rocprim17ROCPRIM_400000_NS6detail17trampoline_kernelINS0_14default_configENS1_36segmented_radix_sort_config_selectorI6__halflEEZNS1_25segmented_radix_sort_implIS3_Lb0EPKS5_PS5_PKlPlN2at6native12_GLOBAL__N_18offset_tEEE10hipError_tPvRmT1_PNSt15iterator_traitsISL_E10value_typeET2_T3_PNSM_ISR_E10value_typeET4_jRbjT5_SX_jjP12ihipStream_tbEUlT_E0_NS1_11comp_targetILNS1_3genE5ELNS1_11target_archE942ELNS1_3gpuE9ELNS1_3repE0EEENS1_60segmented_radix_sort_warp_sort_medium_config_static_selectorELNS0_4arch9wavefront6targetE0EEEvSL_, .Lfunc_end1853-_ZN7rocprim17ROCPRIM_400000_NS6detail17trampoline_kernelINS0_14default_configENS1_36segmented_radix_sort_config_selectorI6__halflEEZNS1_25segmented_radix_sort_implIS3_Lb0EPKS5_PS5_PKlPlN2at6native12_GLOBAL__N_18offset_tEEE10hipError_tPvRmT1_PNSt15iterator_traitsISL_E10value_typeET2_T3_PNSM_ISR_E10value_typeET4_jRbjT5_SX_jjP12ihipStream_tbEUlT_E0_NS1_11comp_targetILNS1_3genE5ELNS1_11target_archE942ELNS1_3gpuE9ELNS1_3repE0EEENS1_60segmented_radix_sort_warp_sort_medium_config_static_selectorELNS0_4arch9wavefront6targetE0EEEvSL_
                                        ; -- End function
	.section	.AMDGPU.csdata,"",@progbits
; Kernel info:
; codeLenInByte = 0
; NumSgprs: 0
; NumVgprs: 0
; ScratchSize: 0
; MemoryBound: 0
; FloatMode: 240
; IeeeMode: 1
; LDSByteSize: 0 bytes/workgroup (compile time only)
; SGPRBlocks: 0
; VGPRBlocks: 0
; NumSGPRsForWavesPerEU: 1
; NumVGPRsForWavesPerEU: 1
; Occupancy: 16
; WaveLimiterHint : 0
; COMPUTE_PGM_RSRC2:SCRATCH_EN: 0
; COMPUTE_PGM_RSRC2:USER_SGPR: 15
; COMPUTE_PGM_RSRC2:TRAP_HANDLER: 0
; COMPUTE_PGM_RSRC2:TGID_X_EN: 1
; COMPUTE_PGM_RSRC2:TGID_Y_EN: 0
; COMPUTE_PGM_RSRC2:TGID_Z_EN: 0
; COMPUTE_PGM_RSRC2:TIDIG_COMP_CNT: 0
	.section	.text._ZN7rocprim17ROCPRIM_400000_NS6detail17trampoline_kernelINS0_14default_configENS1_36segmented_radix_sort_config_selectorI6__halflEEZNS1_25segmented_radix_sort_implIS3_Lb0EPKS5_PS5_PKlPlN2at6native12_GLOBAL__N_18offset_tEEE10hipError_tPvRmT1_PNSt15iterator_traitsISL_E10value_typeET2_T3_PNSM_ISR_E10value_typeET4_jRbjT5_SX_jjP12ihipStream_tbEUlT_E0_NS1_11comp_targetILNS1_3genE4ELNS1_11target_archE910ELNS1_3gpuE8ELNS1_3repE0EEENS1_60segmented_radix_sort_warp_sort_medium_config_static_selectorELNS0_4arch9wavefront6targetE0EEEvSL_,"axG",@progbits,_ZN7rocprim17ROCPRIM_400000_NS6detail17trampoline_kernelINS0_14default_configENS1_36segmented_radix_sort_config_selectorI6__halflEEZNS1_25segmented_radix_sort_implIS3_Lb0EPKS5_PS5_PKlPlN2at6native12_GLOBAL__N_18offset_tEEE10hipError_tPvRmT1_PNSt15iterator_traitsISL_E10value_typeET2_T3_PNSM_ISR_E10value_typeET4_jRbjT5_SX_jjP12ihipStream_tbEUlT_E0_NS1_11comp_targetILNS1_3genE4ELNS1_11target_archE910ELNS1_3gpuE8ELNS1_3repE0EEENS1_60segmented_radix_sort_warp_sort_medium_config_static_selectorELNS0_4arch9wavefront6targetE0EEEvSL_,comdat
	.globl	_ZN7rocprim17ROCPRIM_400000_NS6detail17trampoline_kernelINS0_14default_configENS1_36segmented_radix_sort_config_selectorI6__halflEEZNS1_25segmented_radix_sort_implIS3_Lb0EPKS5_PS5_PKlPlN2at6native12_GLOBAL__N_18offset_tEEE10hipError_tPvRmT1_PNSt15iterator_traitsISL_E10value_typeET2_T3_PNSM_ISR_E10value_typeET4_jRbjT5_SX_jjP12ihipStream_tbEUlT_E0_NS1_11comp_targetILNS1_3genE4ELNS1_11target_archE910ELNS1_3gpuE8ELNS1_3repE0EEENS1_60segmented_radix_sort_warp_sort_medium_config_static_selectorELNS0_4arch9wavefront6targetE0EEEvSL_ ; -- Begin function _ZN7rocprim17ROCPRIM_400000_NS6detail17trampoline_kernelINS0_14default_configENS1_36segmented_radix_sort_config_selectorI6__halflEEZNS1_25segmented_radix_sort_implIS3_Lb0EPKS5_PS5_PKlPlN2at6native12_GLOBAL__N_18offset_tEEE10hipError_tPvRmT1_PNSt15iterator_traitsISL_E10value_typeET2_T3_PNSM_ISR_E10value_typeET4_jRbjT5_SX_jjP12ihipStream_tbEUlT_E0_NS1_11comp_targetILNS1_3genE4ELNS1_11target_archE910ELNS1_3gpuE8ELNS1_3repE0EEENS1_60segmented_radix_sort_warp_sort_medium_config_static_selectorELNS0_4arch9wavefront6targetE0EEEvSL_
	.p2align	8
	.type	_ZN7rocprim17ROCPRIM_400000_NS6detail17trampoline_kernelINS0_14default_configENS1_36segmented_radix_sort_config_selectorI6__halflEEZNS1_25segmented_radix_sort_implIS3_Lb0EPKS5_PS5_PKlPlN2at6native12_GLOBAL__N_18offset_tEEE10hipError_tPvRmT1_PNSt15iterator_traitsISL_E10value_typeET2_T3_PNSM_ISR_E10value_typeET4_jRbjT5_SX_jjP12ihipStream_tbEUlT_E0_NS1_11comp_targetILNS1_3genE4ELNS1_11target_archE910ELNS1_3gpuE8ELNS1_3repE0EEENS1_60segmented_radix_sort_warp_sort_medium_config_static_selectorELNS0_4arch9wavefront6targetE0EEEvSL_,@function
_ZN7rocprim17ROCPRIM_400000_NS6detail17trampoline_kernelINS0_14default_configENS1_36segmented_radix_sort_config_selectorI6__halflEEZNS1_25segmented_radix_sort_implIS3_Lb0EPKS5_PS5_PKlPlN2at6native12_GLOBAL__N_18offset_tEEE10hipError_tPvRmT1_PNSt15iterator_traitsISL_E10value_typeET2_T3_PNSM_ISR_E10value_typeET4_jRbjT5_SX_jjP12ihipStream_tbEUlT_E0_NS1_11comp_targetILNS1_3genE4ELNS1_11target_archE910ELNS1_3gpuE8ELNS1_3repE0EEENS1_60segmented_radix_sort_warp_sort_medium_config_static_selectorELNS0_4arch9wavefront6targetE0EEEvSL_: ; @_ZN7rocprim17ROCPRIM_400000_NS6detail17trampoline_kernelINS0_14default_configENS1_36segmented_radix_sort_config_selectorI6__halflEEZNS1_25segmented_radix_sort_implIS3_Lb0EPKS5_PS5_PKlPlN2at6native12_GLOBAL__N_18offset_tEEE10hipError_tPvRmT1_PNSt15iterator_traitsISL_E10value_typeET2_T3_PNSM_ISR_E10value_typeET4_jRbjT5_SX_jjP12ihipStream_tbEUlT_E0_NS1_11comp_targetILNS1_3genE4ELNS1_11target_archE910ELNS1_3gpuE8ELNS1_3repE0EEENS1_60segmented_radix_sort_warp_sort_medium_config_static_selectorELNS0_4arch9wavefront6targetE0EEEvSL_
; %bb.0:
	.section	.rodata,"a",@progbits
	.p2align	6, 0x0
	.amdhsa_kernel _ZN7rocprim17ROCPRIM_400000_NS6detail17trampoline_kernelINS0_14default_configENS1_36segmented_radix_sort_config_selectorI6__halflEEZNS1_25segmented_radix_sort_implIS3_Lb0EPKS5_PS5_PKlPlN2at6native12_GLOBAL__N_18offset_tEEE10hipError_tPvRmT1_PNSt15iterator_traitsISL_E10value_typeET2_T3_PNSM_ISR_E10value_typeET4_jRbjT5_SX_jjP12ihipStream_tbEUlT_E0_NS1_11comp_targetILNS1_3genE4ELNS1_11target_archE910ELNS1_3gpuE8ELNS1_3repE0EEENS1_60segmented_radix_sort_warp_sort_medium_config_static_selectorELNS0_4arch9wavefront6targetE0EEEvSL_
		.amdhsa_group_segment_fixed_size 0
		.amdhsa_private_segment_fixed_size 0
		.amdhsa_kernarg_size 88
		.amdhsa_user_sgpr_count 15
		.amdhsa_user_sgpr_dispatch_ptr 0
		.amdhsa_user_sgpr_queue_ptr 0
		.amdhsa_user_sgpr_kernarg_segment_ptr 1
		.amdhsa_user_sgpr_dispatch_id 0
		.amdhsa_user_sgpr_private_segment_size 0
		.amdhsa_wavefront_size32 1
		.amdhsa_uses_dynamic_stack 0
		.amdhsa_enable_private_segment 0
		.amdhsa_system_sgpr_workgroup_id_x 1
		.amdhsa_system_sgpr_workgroup_id_y 0
		.amdhsa_system_sgpr_workgroup_id_z 0
		.amdhsa_system_sgpr_workgroup_info 0
		.amdhsa_system_vgpr_workitem_id 0
		.amdhsa_next_free_vgpr 1
		.amdhsa_next_free_sgpr 1
		.amdhsa_reserve_vcc 0
		.amdhsa_float_round_mode_32 0
		.amdhsa_float_round_mode_16_64 0
		.amdhsa_float_denorm_mode_32 3
		.amdhsa_float_denorm_mode_16_64 3
		.amdhsa_dx10_clamp 1
		.amdhsa_ieee_mode 1
		.amdhsa_fp16_overflow 0
		.amdhsa_workgroup_processor_mode 1
		.amdhsa_memory_ordered 1
		.amdhsa_forward_progress 0
		.amdhsa_shared_vgpr_count 0
		.amdhsa_exception_fp_ieee_invalid_op 0
		.amdhsa_exception_fp_denorm_src 0
		.amdhsa_exception_fp_ieee_div_zero 0
		.amdhsa_exception_fp_ieee_overflow 0
		.amdhsa_exception_fp_ieee_underflow 0
		.amdhsa_exception_fp_ieee_inexact 0
		.amdhsa_exception_int_div_zero 0
	.end_amdhsa_kernel
	.section	.text._ZN7rocprim17ROCPRIM_400000_NS6detail17trampoline_kernelINS0_14default_configENS1_36segmented_radix_sort_config_selectorI6__halflEEZNS1_25segmented_radix_sort_implIS3_Lb0EPKS5_PS5_PKlPlN2at6native12_GLOBAL__N_18offset_tEEE10hipError_tPvRmT1_PNSt15iterator_traitsISL_E10value_typeET2_T3_PNSM_ISR_E10value_typeET4_jRbjT5_SX_jjP12ihipStream_tbEUlT_E0_NS1_11comp_targetILNS1_3genE4ELNS1_11target_archE910ELNS1_3gpuE8ELNS1_3repE0EEENS1_60segmented_radix_sort_warp_sort_medium_config_static_selectorELNS0_4arch9wavefront6targetE0EEEvSL_,"axG",@progbits,_ZN7rocprim17ROCPRIM_400000_NS6detail17trampoline_kernelINS0_14default_configENS1_36segmented_radix_sort_config_selectorI6__halflEEZNS1_25segmented_radix_sort_implIS3_Lb0EPKS5_PS5_PKlPlN2at6native12_GLOBAL__N_18offset_tEEE10hipError_tPvRmT1_PNSt15iterator_traitsISL_E10value_typeET2_T3_PNSM_ISR_E10value_typeET4_jRbjT5_SX_jjP12ihipStream_tbEUlT_E0_NS1_11comp_targetILNS1_3genE4ELNS1_11target_archE910ELNS1_3gpuE8ELNS1_3repE0EEENS1_60segmented_radix_sort_warp_sort_medium_config_static_selectorELNS0_4arch9wavefront6targetE0EEEvSL_,comdat
.Lfunc_end1854:
	.size	_ZN7rocprim17ROCPRIM_400000_NS6detail17trampoline_kernelINS0_14default_configENS1_36segmented_radix_sort_config_selectorI6__halflEEZNS1_25segmented_radix_sort_implIS3_Lb0EPKS5_PS5_PKlPlN2at6native12_GLOBAL__N_18offset_tEEE10hipError_tPvRmT1_PNSt15iterator_traitsISL_E10value_typeET2_T3_PNSM_ISR_E10value_typeET4_jRbjT5_SX_jjP12ihipStream_tbEUlT_E0_NS1_11comp_targetILNS1_3genE4ELNS1_11target_archE910ELNS1_3gpuE8ELNS1_3repE0EEENS1_60segmented_radix_sort_warp_sort_medium_config_static_selectorELNS0_4arch9wavefront6targetE0EEEvSL_, .Lfunc_end1854-_ZN7rocprim17ROCPRIM_400000_NS6detail17trampoline_kernelINS0_14default_configENS1_36segmented_radix_sort_config_selectorI6__halflEEZNS1_25segmented_radix_sort_implIS3_Lb0EPKS5_PS5_PKlPlN2at6native12_GLOBAL__N_18offset_tEEE10hipError_tPvRmT1_PNSt15iterator_traitsISL_E10value_typeET2_T3_PNSM_ISR_E10value_typeET4_jRbjT5_SX_jjP12ihipStream_tbEUlT_E0_NS1_11comp_targetILNS1_3genE4ELNS1_11target_archE910ELNS1_3gpuE8ELNS1_3repE0EEENS1_60segmented_radix_sort_warp_sort_medium_config_static_selectorELNS0_4arch9wavefront6targetE0EEEvSL_
                                        ; -- End function
	.section	.AMDGPU.csdata,"",@progbits
; Kernel info:
; codeLenInByte = 0
; NumSgprs: 0
; NumVgprs: 0
; ScratchSize: 0
; MemoryBound: 0
; FloatMode: 240
; IeeeMode: 1
; LDSByteSize: 0 bytes/workgroup (compile time only)
; SGPRBlocks: 0
; VGPRBlocks: 0
; NumSGPRsForWavesPerEU: 1
; NumVGPRsForWavesPerEU: 1
; Occupancy: 16
; WaveLimiterHint : 0
; COMPUTE_PGM_RSRC2:SCRATCH_EN: 0
; COMPUTE_PGM_RSRC2:USER_SGPR: 15
; COMPUTE_PGM_RSRC2:TRAP_HANDLER: 0
; COMPUTE_PGM_RSRC2:TGID_X_EN: 1
; COMPUTE_PGM_RSRC2:TGID_Y_EN: 0
; COMPUTE_PGM_RSRC2:TGID_Z_EN: 0
; COMPUTE_PGM_RSRC2:TIDIG_COMP_CNT: 0
	.section	.text._ZN7rocprim17ROCPRIM_400000_NS6detail17trampoline_kernelINS0_14default_configENS1_36segmented_radix_sort_config_selectorI6__halflEEZNS1_25segmented_radix_sort_implIS3_Lb0EPKS5_PS5_PKlPlN2at6native12_GLOBAL__N_18offset_tEEE10hipError_tPvRmT1_PNSt15iterator_traitsISL_E10value_typeET2_T3_PNSM_ISR_E10value_typeET4_jRbjT5_SX_jjP12ihipStream_tbEUlT_E0_NS1_11comp_targetILNS1_3genE3ELNS1_11target_archE908ELNS1_3gpuE7ELNS1_3repE0EEENS1_60segmented_radix_sort_warp_sort_medium_config_static_selectorELNS0_4arch9wavefront6targetE0EEEvSL_,"axG",@progbits,_ZN7rocprim17ROCPRIM_400000_NS6detail17trampoline_kernelINS0_14default_configENS1_36segmented_radix_sort_config_selectorI6__halflEEZNS1_25segmented_radix_sort_implIS3_Lb0EPKS5_PS5_PKlPlN2at6native12_GLOBAL__N_18offset_tEEE10hipError_tPvRmT1_PNSt15iterator_traitsISL_E10value_typeET2_T3_PNSM_ISR_E10value_typeET4_jRbjT5_SX_jjP12ihipStream_tbEUlT_E0_NS1_11comp_targetILNS1_3genE3ELNS1_11target_archE908ELNS1_3gpuE7ELNS1_3repE0EEENS1_60segmented_radix_sort_warp_sort_medium_config_static_selectorELNS0_4arch9wavefront6targetE0EEEvSL_,comdat
	.globl	_ZN7rocprim17ROCPRIM_400000_NS6detail17trampoline_kernelINS0_14default_configENS1_36segmented_radix_sort_config_selectorI6__halflEEZNS1_25segmented_radix_sort_implIS3_Lb0EPKS5_PS5_PKlPlN2at6native12_GLOBAL__N_18offset_tEEE10hipError_tPvRmT1_PNSt15iterator_traitsISL_E10value_typeET2_T3_PNSM_ISR_E10value_typeET4_jRbjT5_SX_jjP12ihipStream_tbEUlT_E0_NS1_11comp_targetILNS1_3genE3ELNS1_11target_archE908ELNS1_3gpuE7ELNS1_3repE0EEENS1_60segmented_radix_sort_warp_sort_medium_config_static_selectorELNS0_4arch9wavefront6targetE0EEEvSL_ ; -- Begin function _ZN7rocprim17ROCPRIM_400000_NS6detail17trampoline_kernelINS0_14default_configENS1_36segmented_radix_sort_config_selectorI6__halflEEZNS1_25segmented_radix_sort_implIS3_Lb0EPKS5_PS5_PKlPlN2at6native12_GLOBAL__N_18offset_tEEE10hipError_tPvRmT1_PNSt15iterator_traitsISL_E10value_typeET2_T3_PNSM_ISR_E10value_typeET4_jRbjT5_SX_jjP12ihipStream_tbEUlT_E0_NS1_11comp_targetILNS1_3genE3ELNS1_11target_archE908ELNS1_3gpuE7ELNS1_3repE0EEENS1_60segmented_radix_sort_warp_sort_medium_config_static_selectorELNS0_4arch9wavefront6targetE0EEEvSL_
	.p2align	8
	.type	_ZN7rocprim17ROCPRIM_400000_NS6detail17trampoline_kernelINS0_14default_configENS1_36segmented_radix_sort_config_selectorI6__halflEEZNS1_25segmented_radix_sort_implIS3_Lb0EPKS5_PS5_PKlPlN2at6native12_GLOBAL__N_18offset_tEEE10hipError_tPvRmT1_PNSt15iterator_traitsISL_E10value_typeET2_T3_PNSM_ISR_E10value_typeET4_jRbjT5_SX_jjP12ihipStream_tbEUlT_E0_NS1_11comp_targetILNS1_3genE3ELNS1_11target_archE908ELNS1_3gpuE7ELNS1_3repE0EEENS1_60segmented_radix_sort_warp_sort_medium_config_static_selectorELNS0_4arch9wavefront6targetE0EEEvSL_,@function
_ZN7rocprim17ROCPRIM_400000_NS6detail17trampoline_kernelINS0_14default_configENS1_36segmented_radix_sort_config_selectorI6__halflEEZNS1_25segmented_radix_sort_implIS3_Lb0EPKS5_PS5_PKlPlN2at6native12_GLOBAL__N_18offset_tEEE10hipError_tPvRmT1_PNSt15iterator_traitsISL_E10value_typeET2_T3_PNSM_ISR_E10value_typeET4_jRbjT5_SX_jjP12ihipStream_tbEUlT_E0_NS1_11comp_targetILNS1_3genE3ELNS1_11target_archE908ELNS1_3gpuE7ELNS1_3repE0EEENS1_60segmented_radix_sort_warp_sort_medium_config_static_selectorELNS0_4arch9wavefront6targetE0EEEvSL_: ; @_ZN7rocprim17ROCPRIM_400000_NS6detail17trampoline_kernelINS0_14default_configENS1_36segmented_radix_sort_config_selectorI6__halflEEZNS1_25segmented_radix_sort_implIS3_Lb0EPKS5_PS5_PKlPlN2at6native12_GLOBAL__N_18offset_tEEE10hipError_tPvRmT1_PNSt15iterator_traitsISL_E10value_typeET2_T3_PNSM_ISR_E10value_typeET4_jRbjT5_SX_jjP12ihipStream_tbEUlT_E0_NS1_11comp_targetILNS1_3genE3ELNS1_11target_archE908ELNS1_3gpuE7ELNS1_3repE0EEENS1_60segmented_radix_sort_warp_sort_medium_config_static_selectorELNS0_4arch9wavefront6targetE0EEEvSL_
; %bb.0:
	.section	.rodata,"a",@progbits
	.p2align	6, 0x0
	.amdhsa_kernel _ZN7rocprim17ROCPRIM_400000_NS6detail17trampoline_kernelINS0_14default_configENS1_36segmented_radix_sort_config_selectorI6__halflEEZNS1_25segmented_radix_sort_implIS3_Lb0EPKS5_PS5_PKlPlN2at6native12_GLOBAL__N_18offset_tEEE10hipError_tPvRmT1_PNSt15iterator_traitsISL_E10value_typeET2_T3_PNSM_ISR_E10value_typeET4_jRbjT5_SX_jjP12ihipStream_tbEUlT_E0_NS1_11comp_targetILNS1_3genE3ELNS1_11target_archE908ELNS1_3gpuE7ELNS1_3repE0EEENS1_60segmented_radix_sort_warp_sort_medium_config_static_selectorELNS0_4arch9wavefront6targetE0EEEvSL_
		.amdhsa_group_segment_fixed_size 0
		.amdhsa_private_segment_fixed_size 0
		.amdhsa_kernarg_size 88
		.amdhsa_user_sgpr_count 15
		.amdhsa_user_sgpr_dispatch_ptr 0
		.amdhsa_user_sgpr_queue_ptr 0
		.amdhsa_user_sgpr_kernarg_segment_ptr 1
		.amdhsa_user_sgpr_dispatch_id 0
		.amdhsa_user_sgpr_private_segment_size 0
		.amdhsa_wavefront_size32 1
		.amdhsa_uses_dynamic_stack 0
		.amdhsa_enable_private_segment 0
		.amdhsa_system_sgpr_workgroup_id_x 1
		.amdhsa_system_sgpr_workgroup_id_y 0
		.amdhsa_system_sgpr_workgroup_id_z 0
		.amdhsa_system_sgpr_workgroup_info 0
		.amdhsa_system_vgpr_workitem_id 0
		.amdhsa_next_free_vgpr 1
		.amdhsa_next_free_sgpr 1
		.amdhsa_reserve_vcc 0
		.amdhsa_float_round_mode_32 0
		.amdhsa_float_round_mode_16_64 0
		.amdhsa_float_denorm_mode_32 3
		.amdhsa_float_denorm_mode_16_64 3
		.amdhsa_dx10_clamp 1
		.amdhsa_ieee_mode 1
		.amdhsa_fp16_overflow 0
		.amdhsa_workgroup_processor_mode 1
		.amdhsa_memory_ordered 1
		.amdhsa_forward_progress 0
		.amdhsa_shared_vgpr_count 0
		.amdhsa_exception_fp_ieee_invalid_op 0
		.amdhsa_exception_fp_denorm_src 0
		.amdhsa_exception_fp_ieee_div_zero 0
		.amdhsa_exception_fp_ieee_overflow 0
		.amdhsa_exception_fp_ieee_underflow 0
		.amdhsa_exception_fp_ieee_inexact 0
		.amdhsa_exception_int_div_zero 0
	.end_amdhsa_kernel
	.section	.text._ZN7rocprim17ROCPRIM_400000_NS6detail17trampoline_kernelINS0_14default_configENS1_36segmented_radix_sort_config_selectorI6__halflEEZNS1_25segmented_radix_sort_implIS3_Lb0EPKS5_PS5_PKlPlN2at6native12_GLOBAL__N_18offset_tEEE10hipError_tPvRmT1_PNSt15iterator_traitsISL_E10value_typeET2_T3_PNSM_ISR_E10value_typeET4_jRbjT5_SX_jjP12ihipStream_tbEUlT_E0_NS1_11comp_targetILNS1_3genE3ELNS1_11target_archE908ELNS1_3gpuE7ELNS1_3repE0EEENS1_60segmented_radix_sort_warp_sort_medium_config_static_selectorELNS0_4arch9wavefront6targetE0EEEvSL_,"axG",@progbits,_ZN7rocprim17ROCPRIM_400000_NS6detail17trampoline_kernelINS0_14default_configENS1_36segmented_radix_sort_config_selectorI6__halflEEZNS1_25segmented_radix_sort_implIS3_Lb0EPKS5_PS5_PKlPlN2at6native12_GLOBAL__N_18offset_tEEE10hipError_tPvRmT1_PNSt15iterator_traitsISL_E10value_typeET2_T3_PNSM_ISR_E10value_typeET4_jRbjT5_SX_jjP12ihipStream_tbEUlT_E0_NS1_11comp_targetILNS1_3genE3ELNS1_11target_archE908ELNS1_3gpuE7ELNS1_3repE0EEENS1_60segmented_radix_sort_warp_sort_medium_config_static_selectorELNS0_4arch9wavefront6targetE0EEEvSL_,comdat
.Lfunc_end1855:
	.size	_ZN7rocprim17ROCPRIM_400000_NS6detail17trampoline_kernelINS0_14default_configENS1_36segmented_radix_sort_config_selectorI6__halflEEZNS1_25segmented_radix_sort_implIS3_Lb0EPKS5_PS5_PKlPlN2at6native12_GLOBAL__N_18offset_tEEE10hipError_tPvRmT1_PNSt15iterator_traitsISL_E10value_typeET2_T3_PNSM_ISR_E10value_typeET4_jRbjT5_SX_jjP12ihipStream_tbEUlT_E0_NS1_11comp_targetILNS1_3genE3ELNS1_11target_archE908ELNS1_3gpuE7ELNS1_3repE0EEENS1_60segmented_radix_sort_warp_sort_medium_config_static_selectorELNS0_4arch9wavefront6targetE0EEEvSL_, .Lfunc_end1855-_ZN7rocprim17ROCPRIM_400000_NS6detail17trampoline_kernelINS0_14default_configENS1_36segmented_radix_sort_config_selectorI6__halflEEZNS1_25segmented_radix_sort_implIS3_Lb0EPKS5_PS5_PKlPlN2at6native12_GLOBAL__N_18offset_tEEE10hipError_tPvRmT1_PNSt15iterator_traitsISL_E10value_typeET2_T3_PNSM_ISR_E10value_typeET4_jRbjT5_SX_jjP12ihipStream_tbEUlT_E0_NS1_11comp_targetILNS1_3genE3ELNS1_11target_archE908ELNS1_3gpuE7ELNS1_3repE0EEENS1_60segmented_radix_sort_warp_sort_medium_config_static_selectorELNS0_4arch9wavefront6targetE0EEEvSL_
                                        ; -- End function
	.section	.AMDGPU.csdata,"",@progbits
; Kernel info:
; codeLenInByte = 0
; NumSgprs: 0
; NumVgprs: 0
; ScratchSize: 0
; MemoryBound: 0
; FloatMode: 240
; IeeeMode: 1
; LDSByteSize: 0 bytes/workgroup (compile time only)
; SGPRBlocks: 0
; VGPRBlocks: 0
; NumSGPRsForWavesPerEU: 1
; NumVGPRsForWavesPerEU: 1
; Occupancy: 16
; WaveLimiterHint : 0
; COMPUTE_PGM_RSRC2:SCRATCH_EN: 0
; COMPUTE_PGM_RSRC2:USER_SGPR: 15
; COMPUTE_PGM_RSRC2:TRAP_HANDLER: 0
; COMPUTE_PGM_RSRC2:TGID_X_EN: 1
; COMPUTE_PGM_RSRC2:TGID_Y_EN: 0
; COMPUTE_PGM_RSRC2:TGID_Z_EN: 0
; COMPUTE_PGM_RSRC2:TIDIG_COMP_CNT: 0
	.section	.text._ZN7rocprim17ROCPRIM_400000_NS6detail17trampoline_kernelINS0_14default_configENS1_36segmented_radix_sort_config_selectorI6__halflEEZNS1_25segmented_radix_sort_implIS3_Lb0EPKS5_PS5_PKlPlN2at6native12_GLOBAL__N_18offset_tEEE10hipError_tPvRmT1_PNSt15iterator_traitsISL_E10value_typeET2_T3_PNSM_ISR_E10value_typeET4_jRbjT5_SX_jjP12ihipStream_tbEUlT_E0_NS1_11comp_targetILNS1_3genE2ELNS1_11target_archE906ELNS1_3gpuE6ELNS1_3repE0EEENS1_60segmented_radix_sort_warp_sort_medium_config_static_selectorELNS0_4arch9wavefront6targetE0EEEvSL_,"axG",@progbits,_ZN7rocprim17ROCPRIM_400000_NS6detail17trampoline_kernelINS0_14default_configENS1_36segmented_radix_sort_config_selectorI6__halflEEZNS1_25segmented_radix_sort_implIS3_Lb0EPKS5_PS5_PKlPlN2at6native12_GLOBAL__N_18offset_tEEE10hipError_tPvRmT1_PNSt15iterator_traitsISL_E10value_typeET2_T3_PNSM_ISR_E10value_typeET4_jRbjT5_SX_jjP12ihipStream_tbEUlT_E0_NS1_11comp_targetILNS1_3genE2ELNS1_11target_archE906ELNS1_3gpuE6ELNS1_3repE0EEENS1_60segmented_radix_sort_warp_sort_medium_config_static_selectorELNS0_4arch9wavefront6targetE0EEEvSL_,comdat
	.globl	_ZN7rocprim17ROCPRIM_400000_NS6detail17trampoline_kernelINS0_14default_configENS1_36segmented_radix_sort_config_selectorI6__halflEEZNS1_25segmented_radix_sort_implIS3_Lb0EPKS5_PS5_PKlPlN2at6native12_GLOBAL__N_18offset_tEEE10hipError_tPvRmT1_PNSt15iterator_traitsISL_E10value_typeET2_T3_PNSM_ISR_E10value_typeET4_jRbjT5_SX_jjP12ihipStream_tbEUlT_E0_NS1_11comp_targetILNS1_3genE2ELNS1_11target_archE906ELNS1_3gpuE6ELNS1_3repE0EEENS1_60segmented_radix_sort_warp_sort_medium_config_static_selectorELNS0_4arch9wavefront6targetE0EEEvSL_ ; -- Begin function _ZN7rocprim17ROCPRIM_400000_NS6detail17trampoline_kernelINS0_14default_configENS1_36segmented_radix_sort_config_selectorI6__halflEEZNS1_25segmented_radix_sort_implIS3_Lb0EPKS5_PS5_PKlPlN2at6native12_GLOBAL__N_18offset_tEEE10hipError_tPvRmT1_PNSt15iterator_traitsISL_E10value_typeET2_T3_PNSM_ISR_E10value_typeET4_jRbjT5_SX_jjP12ihipStream_tbEUlT_E0_NS1_11comp_targetILNS1_3genE2ELNS1_11target_archE906ELNS1_3gpuE6ELNS1_3repE0EEENS1_60segmented_radix_sort_warp_sort_medium_config_static_selectorELNS0_4arch9wavefront6targetE0EEEvSL_
	.p2align	8
	.type	_ZN7rocprim17ROCPRIM_400000_NS6detail17trampoline_kernelINS0_14default_configENS1_36segmented_radix_sort_config_selectorI6__halflEEZNS1_25segmented_radix_sort_implIS3_Lb0EPKS5_PS5_PKlPlN2at6native12_GLOBAL__N_18offset_tEEE10hipError_tPvRmT1_PNSt15iterator_traitsISL_E10value_typeET2_T3_PNSM_ISR_E10value_typeET4_jRbjT5_SX_jjP12ihipStream_tbEUlT_E0_NS1_11comp_targetILNS1_3genE2ELNS1_11target_archE906ELNS1_3gpuE6ELNS1_3repE0EEENS1_60segmented_radix_sort_warp_sort_medium_config_static_selectorELNS0_4arch9wavefront6targetE0EEEvSL_,@function
_ZN7rocprim17ROCPRIM_400000_NS6detail17trampoline_kernelINS0_14default_configENS1_36segmented_radix_sort_config_selectorI6__halflEEZNS1_25segmented_radix_sort_implIS3_Lb0EPKS5_PS5_PKlPlN2at6native12_GLOBAL__N_18offset_tEEE10hipError_tPvRmT1_PNSt15iterator_traitsISL_E10value_typeET2_T3_PNSM_ISR_E10value_typeET4_jRbjT5_SX_jjP12ihipStream_tbEUlT_E0_NS1_11comp_targetILNS1_3genE2ELNS1_11target_archE906ELNS1_3gpuE6ELNS1_3repE0EEENS1_60segmented_radix_sort_warp_sort_medium_config_static_selectorELNS0_4arch9wavefront6targetE0EEEvSL_: ; @_ZN7rocprim17ROCPRIM_400000_NS6detail17trampoline_kernelINS0_14default_configENS1_36segmented_radix_sort_config_selectorI6__halflEEZNS1_25segmented_radix_sort_implIS3_Lb0EPKS5_PS5_PKlPlN2at6native12_GLOBAL__N_18offset_tEEE10hipError_tPvRmT1_PNSt15iterator_traitsISL_E10value_typeET2_T3_PNSM_ISR_E10value_typeET4_jRbjT5_SX_jjP12ihipStream_tbEUlT_E0_NS1_11comp_targetILNS1_3genE2ELNS1_11target_archE906ELNS1_3gpuE6ELNS1_3repE0EEENS1_60segmented_radix_sort_warp_sort_medium_config_static_selectorELNS0_4arch9wavefront6targetE0EEEvSL_
; %bb.0:
	.section	.rodata,"a",@progbits
	.p2align	6, 0x0
	.amdhsa_kernel _ZN7rocprim17ROCPRIM_400000_NS6detail17trampoline_kernelINS0_14default_configENS1_36segmented_radix_sort_config_selectorI6__halflEEZNS1_25segmented_radix_sort_implIS3_Lb0EPKS5_PS5_PKlPlN2at6native12_GLOBAL__N_18offset_tEEE10hipError_tPvRmT1_PNSt15iterator_traitsISL_E10value_typeET2_T3_PNSM_ISR_E10value_typeET4_jRbjT5_SX_jjP12ihipStream_tbEUlT_E0_NS1_11comp_targetILNS1_3genE2ELNS1_11target_archE906ELNS1_3gpuE6ELNS1_3repE0EEENS1_60segmented_radix_sort_warp_sort_medium_config_static_selectorELNS0_4arch9wavefront6targetE0EEEvSL_
		.amdhsa_group_segment_fixed_size 0
		.amdhsa_private_segment_fixed_size 0
		.amdhsa_kernarg_size 88
		.amdhsa_user_sgpr_count 15
		.amdhsa_user_sgpr_dispatch_ptr 0
		.amdhsa_user_sgpr_queue_ptr 0
		.amdhsa_user_sgpr_kernarg_segment_ptr 1
		.amdhsa_user_sgpr_dispatch_id 0
		.amdhsa_user_sgpr_private_segment_size 0
		.amdhsa_wavefront_size32 1
		.amdhsa_uses_dynamic_stack 0
		.amdhsa_enable_private_segment 0
		.amdhsa_system_sgpr_workgroup_id_x 1
		.amdhsa_system_sgpr_workgroup_id_y 0
		.amdhsa_system_sgpr_workgroup_id_z 0
		.amdhsa_system_sgpr_workgroup_info 0
		.amdhsa_system_vgpr_workitem_id 0
		.amdhsa_next_free_vgpr 1
		.amdhsa_next_free_sgpr 1
		.amdhsa_reserve_vcc 0
		.amdhsa_float_round_mode_32 0
		.amdhsa_float_round_mode_16_64 0
		.amdhsa_float_denorm_mode_32 3
		.amdhsa_float_denorm_mode_16_64 3
		.amdhsa_dx10_clamp 1
		.amdhsa_ieee_mode 1
		.amdhsa_fp16_overflow 0
		.amdhsa_workgroup_processor_mode 1
		.amdhsa_memory_ordered 1
		.amdhsa_forward_progress 0
		.amdhsa_shared_vgpr_count 0
		.amdhsa_exception_fp_ieee_invalid_op 0
		.amdhsa_exception_fp_denorm_src 0
		.amdhsa_exception_fp_ieee_div_zero 0
		.amdhsa_exception_fp_ieee_overflow 0
		.amdhsa_exception_fp_ieee_underflow 0
		.amdhsa_exception_fp_ieee_inexact 0
		.amdhsa_exception_int_div_zero 0
	.end_amdhsa_kernel
	.section	.text._ZN7rocprim17ROCPRIM_400000_NS6detail17trampoline_kernelINS0_14default_configENS1_36segmented_radix_sort_config_selectorI6__halflEEZNS1_25segmented_radix_sort_implIS3_Lb0EPKS5_PS5_PKlPlN2at6native12_GLOBAL__N_18offset_tEEE10hipError_tPvRmT1_PNSt15iterator_traitsISL_E10value_typeET2_T3_PNSM_ISR_E10value_typeET4_jRbjT5_SX_jjP12ihipStream_tbEUlT_E0_NS1_11comp_targetILNS1_3genE2ELNS1_11target_archE906ELNS1_3gpuE6ELNS1_3repE0EEENS1_60segmented_radix_sort_warp_sort_medium_config_static_selectorELNS0_4arch9wavefront6targetE0EEEvSL_,"axG",@progbits,_ZN7rocprim17ROCPRIM_400000_NS6detail17trampoline_kernelINS0_14default_configENS1_36segmented_radix_sort_config_selectorI6__halflEEZNS1_25segmented_radix_sort_implIS3_Lb0EPKS5_PS5_PKlPlN2at6native12_GLOBAL__N_18offset_tEEE10hipError_tPvRmT1_PNSt15iterator_traitsISL_E10value_typeET2_T3_PNSM_ISR_E10value_typeET4_jRbjT5_SX_jjP12ihipStream_tbEUlT_E0_NS1_11comp_targetILNS1_3genE2ELNS1_11target_archE906ELNS1_3gpuE6ELNS1_3repE0EEENS1_60segmented_radix_sort_warp_sort_medium_config_static_selectorELNS0_4arch9wavefront6targetE0EEEvSL_,comdat
.Lfunc_end1856:
	.size	_ZN7rocprim17ROCPRIM_400000_NS6detail17trampoline_kernelINS0_14default_configENS1_36segmented_radix_sort_config_selectorI6__halflEEZNS1_25segmented_radix_sort_implIS3_Lb0EPKS5_PS5_PKlPlN2at6native12_GLOBAL__N_18offset_tEEE10hipError_tPvRmT1_PNSt15iterator_traitsISL_E10value_typeET2_T3_PNSM_ISR_E10value_typeET4_jRbjT5_SX_jjP12ihipStream_tbEUlT_E0_NS1_11comp_targetILNS1_3genE2ELNS1_11target_archE906ELNS1_3gpuE6ELNS1_3repE0EEENS1_60segmented_radix_sort_warp_sort_medium_config_static_selectorELNS0_4arch9wavefront6targetE0EEEvSL_, .Lfunc_end1856-_ZN7rocprim17ROCPRIM_400000_NS6detail17trampoline_kernelINS0_14default_configENS1_36segmented_radix_sort_config_selectorI6__halflEEZNS1_25segmented_radix_sort_implIS3_Lb0EPKS5_PS5_PKlPlN2at6native12_GLOBAL__N_18offset_tEEE10hipError_tPvRmT1_PNSt15iterator_traitsISL_E10value_typeET2_T3_PNSM_ISR_E10value_typeET4_jRbjT5_SX_jjP12ihipStream_tbEUlT_E0_NS1_11comp_targetILNS1_3genE2ELNS1_11target_archE906ELNS1_3gpuE6ELNS1_3repE0EEENS1_60segmented_radix_sort_warp_sort_medium_config_static_selectorELNS0_4arch9wavefront6targetE0EEEvSL_
                                        ; -- End function
	.section	.AMDGPU.csdata,"",@progbits
; Kernel info:
; codeLenInByte = 0
; NumSgprs: 0
; NumVgprs: 0
; ScratchSize: 0
; MemoryBound: 0
; FloatMode: 240
; IeeeMode: 1
; LDSByteSize: 0 bytes/workgroup (compile time only)
; SGPRBlocks: 0
; VGPRBlocks: 0
; NumSGPRsForWavesPerEU: 1
; NumVGPRsForWavesPerEU: 1
; Occupancy: 16
; WaveLimiterHint : 0
; COMPUTE_PGM_RSRC2:SCRATCH_EN: 0
; COMPUTE_PGM_RSRC2:USER_SGPR: 15
; COMPUTE_PGM_RSRC2:TRAP_HANDLER: 0
; COMPUTE_PGM_RSRC2:TGID_X_EN: 1
; COMPUTE_PGM_RSRC2:TGID_Y_EN: 0
; COMPUTE_PGM_RSRC2:TGID_Z_EN: 0
; COMPUTE_PGM_RSRC2:TIDIG_COMP_CNT: 0
	.section	.text._ZN7rocprim17ROCPRIM_400000_NS6detail17trampoline_kernelINS0_14default_configENS1_36segmented_radix_sort_config_selectorI6__halflEEZNS1_25segmented_radix_sort_implIS3_Lb0EPKS5_PS5_PKlPlN2at6native12_GLOBAL__N_18offset_tEEE10hipError_tPvRmT1_PNSt15iterator_traitsISL_E10value_typeET2_T3_PNSM_ISR_E10value_typeET4_jRbjT5_SX_jjP12ihipStream_tbEUlT_E0_NS1_11comp_targetILNS1_3genE10ELNS1_11target_archE1201ELNS1_3gpuE5ELNS1_3repE0EEENS1_60segmented_radix_sort_warp_sort_medium_config_static_selectorELNS0_4arch9wavefront6targetE0EEEvSL_,"axG",@progbits,_ZN7rocprim17ROCPRIM_400000_NS6detail17trampoline_kernelINS0_14default_configENS1_36segmented_radix_sort_config_selectorI6__halflEEZNS1_25segmented_radix_sort_implIS3_Lb0EPKS5_PS5_PKlPlN2at6native12_GLOBAL__N_18offset_tEEE10hipError_tPvRmT1_PNSt15iterator_traitsISL_E10value_typeET2_T3_PNSM_ISR_E10value_typeET4_jRbjT5_SX_jjP12ihipStream_tbEUlT_E0_NS1_11comp_targetILNS1_3genE10ELNS1_11target_archE1201ELNS1_3gpuE5ELNS1_3repE0EEENS1_60segmented_radix_sort_warp_sort_medium_config_static_selectorELNS0_4arch9wavefront6targetE0EEEvSL_,comdat
	.globl	_ZN7rocprim17ROCPRIM_400000_NS6detail17trampoline_kernelINS0_14default_configENS1_36segmented_radix_sort_config_selectorI6__halflEEZNS1_25segmented_radix_sort_implIS3_Lb0EPKS5_PS5_PKlPlN2at6native12_GLOBAL__N_18offset_tEEE10hipError_tPvRmT1_PNSt15iterator_traitsISL_E10value_typeET2_T3_PNSM_ISR_E10value_typeET4_jRbjT5_SX_jjP12ihipStream_tbEUlT_E0_NS1_11comp_targetILNS1_3genE10ELNS1_11target_archE1201ELNS1_3gpuE5ELNS1_3repE0EEENS1_60segmented_radix_sort_warp_sort_medium_config_static_selectorELNS0_4arch9wavefront6targetE0EEEvSL_ ; -- Begin function _ZN7rocprim17ROCPRIM_400000_NS6detail17trampoline_kernelINS0_14default_configENS1_36segmented_radix_sort_config_selectorI6__halflEEZNS1_25segmented_radix_sort_implIS3_Lb0EPKS5_PS5_PKlPlN2at6native12_GLOBAL__N_18offset_tEEE10hipError_tPvRmT1_PNSt15iterator_traitsISL_E10value_typeET2_T3_PNSM_ISR_E10value_typeET4_jRbjT5_SX_jjP12ihipStream_tbEUlT_E0_NS1_11comp_targetILNS1_3genE10ELNS1_11target_archE1201ELNS1_3gpuE5ELNS1_3repE0EEENS1_60segmented_radix_sort_warp_sort_medium_config_static_selectorELNS0_4arch9wavefront6targetE0EEEvSL_
	.p2align	8
	.type	_ZN7rocprim17ROCPRIM_400000_NS6detail17trampoline_kernelINS0_14default_configENS1_36segmented_radix_sort_config_selectorI6__halflEEZNS1_25segmented_radix_sort_implIS3_Lb0EPKS5_PS5_PKlPlN2at6native12_GLOBAL__N_18offset_tEEE10hipError_tPvRmT1_PNSt15iterator_traitsISL_E10value_typeET2_T3_PNSM_ISR_E10value_typeET4_jRbjT5_SX_jjP12ihipStream_tbEUlT_E0_NS1_11comp_targetILNS1_3genE10ELNS1_11target_archE1201ELNS1_3gpuE5ELNS1_3repE0EEENS1_60segmented_radix_sort_warp_sort_medium_config_static_selectorELNS0_4arch9wavefront6targetE0EEEvSL_,@function
_ZN7rocprim17ROCPRIM_400000_NS6detail17trampoline_kernelINS0_14default_configENS1_36segmented_radix_sort_config_selectorI6__halflEEZNS1_25segmented_radix_sort_implIS3_Lb0EPKS5_PS5_PKlPlN2at6native12_GLOBAL__N_18offset_tEEE10hipError_tPvRmT1_PNSt15iterator_traitsISL_E10value_typeET2_T3_PNSM_ISR_E10value_typeET4_jRbjT5_SX_jjP12ihipStream_tbEUlT_E0_NS1_11comp_targetILNS1_3genE10ELNS1_11target_archE1201ELNS1_3gpuE5ELNS1_3repE0EEENS1_60segmented_radix_sort_warp_sort_medium_config_static_selectorELNS0_4arch9wavefront6targetE0EEEvSL_: ; @_ZN7rocprim17ROCPRIM_400000_NS6detail17trampoline_kernelINS0_14default_configENS1_36segmented_radix_sort_config_selectorI6__halflEEZNS1_25segmented_radix_sort_implIS3_Lb0EPKS5_PS5_PKlPlN2at6native12_GLOBAL__N_18offset_tEEE10hipError_tPvRmT1_PNSt15iterator_traitsISL_E10value_typeET2_T3_PNSM_ISR_E10value_typeET4_jRbjT5_SX_jjP12ihipStream_tbEUlT_E0_NS1_11comp_targetILNS1_3genE10ELNS1_11target_archE1201ELNS1_3gpuE5ELNS1_3repE0EEENS1_60segmented_radix_sort_warp_sort_medium_config_static_selectorELNS0_4arch9wavefront6targetE0EEEvSL_
; %bb.0:
	.section	.rodata,"a",@progbits
	.p2align	6, 0x0
	.amdhsa_kernel _ZN7rocprim17ROCPRIM_400000_NS6detail17trampoline_kernelINS0_14default_configENS1_36segmented_radix_sort_config_selectorI6__halflEEZNS1_25segmented_radix_sort_implIS3_Lb0EPKS5_PS5_PKlPlN2at6native12_GLOBAL__N_18offset_tEEE10hipError_tPvRmT1_PNSt15iterator_traitsISL_E10value_typeET2_T3_PNSM_ISR_E10value_typeET4_jRbjT5_SX_jjP12ihipStream_tbEUlT_E0_NS1_11comp_targetILNS1_3genE10ELNS1_11target_archE1201ELNS1_3gpuE5ELNS1_3repE0EEENS1_60segmented_radix_sort_warp_sort_medium_config_static_selectorELNS0_4arch9wavefront6targetE0EEEvSL_
		.amdhsa_group_segment_fixed_size 0
		.amdhsa_private_segment_fixed_size 0
		.amdhsa_kernarg_size 88
		.amdhsa_user_sgpr_count 15
		.amdhsa_user_sgpr_dispatch_ptr 0
		.amdhsa_user_sgpr_queue_ptr 0
		.amdhsa_user_sgpr_kernarg_segment_ptr 1
		.amdhsa_user_sgpr_dispatch_id 0
		.amdhsa_user_sgpr_private_segment_size 0
		.amdhsa_wavefront_size32 1
		.amdhsa_uses_dynamic_stack 0
		.amdhsa_enable_private_segment 0
		.amdhsa_system_sgpr_workgroup_id_x 1
		.amdhsa_system_sgpr_workgroup_id_y 0
		.amdhsa_system_sgpr_workgroup_id_z 0
		.amdhsa_system_sgpr_workgroup_info 0
		.amdhsa_system_vgpr_workitem_id 0
		.amdhsa_next_free_vgpr 1
		.amdhsa_next_free_sgpr 1
		.amdhsa_reserve_vcc 0
		.amdhsa_float_round_mode_32 0
		.amdhsa_float_round_mode_16_64 0
		.amdhsa_float_denorm_mode_32 3
		.amdhsa_float_denorm_mode_16_64 3
		.amdhsa_dx10_clamp 1
		.amdhsa_ieee_mode 1
		.amdhsa_fp16_overflow 0
		.amdhsa_workgroup_processor_mode 1
		.amdhsa_memory_ordered 1
		.amdhsa_forward_progress 0
		.amdhsa_shared_vgpr_count 0
		.amdhsa_exception_fp_ieee_invalid_op 0
		.amdhsa_exception_fp_denorm_src 0
		.amdhsa_exception_fp_ieee_div_zero 0
		.amdhsa_exception_fp_ieee_overflow 0
		.amdhsa_exception_fp_ieee_underflow 0
		.amdhsa_exception_fp_ieee_inexact 0
		.amdhsa_exception_int_div_zero 0
	.end_amdhsa_kernel
	.section	.text._ZN7rocprim17ROCPRIM_400000_NS6detail17trampoline_kernelINS0_14default_configENS1_36segmented_radix_sort_config_selectorI6__halflEEZNS1_25segmented_radix_sort_implIS3_Lb0EPKS5_PS5_PKlPlN2at6native12_GLOBAL__N_18offset_tEEE10hipError_tPvRmT1_PNSt15iterator_traitsISL_E10value_typeET2_T3_PNSM_ISR_E10value_typeET4_jRbjT5_SX_jjP12ihipStream_tbEUlT_E0_NS1_11comp_targetILNS1_3genE10ELNS1_11target_archE1201ELNS1_3gpuE5ELNS1_3repE0EEENS1_60segmented_radix_sort_warp_sort_medium_config_static_selectorELNS0_4arch9wavefront6targetE0EEEvSL_,"axG",@progbits,_ZN7rocprim17ROCPRIM_400000_NS6detail17trampoline_kernelINS0_14default_configENS1_36segmented_radix_sort_config_selectorI6__halflEEZNS1_25segmented_radix_sort_implIS3_Lb0EPKS5_PS5_PKlPlN2at6native12_GLOBAL__N_18offset_tEEE10hipError_tPvRmT1_PNSt15iterator_traitsISL_E10value_typeET2_T3_PNSM_ISR_E10value_typeET4_jRbjT5_SX_jjP12ihipStream_tbEUlT_E0_NS1_11comp_targetILNS1_3genE10ELNS1_11target_archE1201ELNS1_3gpuE5ELNS1_3repE0EEENS1_60segmented_radix_sort_warp_sort_medium_config_static_selectorELNS0_4arch9wavefront6targetE0EEEvSL_,comdat
.Lfunc_end1857:
	.size	_ZN7rocprim17ROCPRIM_400000_NS6detail17trampoline_kernelINS0_14default_configENS1_36segmented_radix_sort_config_selectorI6__halflEEZNS1_25segmented_radix_sort_implIS3_Lb0EPKS5_PS5_PKlPlN2at6native12_GLOBAL__N_18offset_tEEE10hipError_tPvRmT1_PNSt15iterator_traitsISL_E10value_typeET2_T3_PNSM_ISR_E10value_typeET4_jRbjT5_SX_jjP12ihipStream_tbEUlT_E0_NS1_11comp_targetILNS1_3genE10ELNS1_11target_archE1201ELNS1_3gpuE5ELNS1_3repE0EEENS1_60segmented_radix_sort_warp_sort_medium_config_static_selectorELNS0_4arch9wavefront6targetE0EEEvSL_, .Lfunc_end1857-_ZN7rocprim17ROCPRIM_400000_NS6detail17trampoline_kernelINS0_14default_configENS1_36segmented_radix_sort_config_selectorI6__halflEEZNS1_25segmented_radix_sort_implIS3_Lb0EPKS5_PS5_PKlPlN2at6native12_GLOBAL__N_18offset_tEEE10hipError_tPvRmT1_PNSt15iterator_traitsISL_E10value_typeET2_T3_PNSM_ISR_E10value_typeET4_jRbjT5_SX_jjP12ihipStream_tbEUlT_E0_NS1_11comp_targetILNS1_3genE10ELNS1_11target_archE1201ELNS1_3gpuE5ELNS1_3repE0EEENS1_60segmented_radix_sort_warp_sort_medium_config_static_selectorELNS0_4arch9wavefront6targetE0EEEvSL_
                                        ; -- End function
	.section	.AMDGPU.csdata,"",@progbits
; Kernel info:
; codeLenInByte = 0
; NumSgprs: 0
; NumVgprs: 0
; ScratchSize: 0
; MemoryBound: 0
; FloatMode: 240
; IeeeMode: 1
; LDSByteSize: 0 bytes/workgroup (compile time only)
; SGPRBlocks: 0
; VGPRBlocks: 0
; NumSGPRsForWavesPerEU: 1
; NumVGPRsForWavesPerEU: 1
; Occupancy: 16
; WaveLimiterHint : 0
; COMPUTE_PGM_RSRC2:SCRATCH_EN: 0
; COMPUTE_PGM_RSRC2:USER_SGPR: 15
; COMPUTE_PGM_RSRC2:TRAP_HANDLER: 0
; COMPUTE_PGM_RSRC2:TGID_X_EN: 1
; COMPUTE_PGM_RSRC2:TGID_Y_EN: 0
; COMPUTE_PGM_RSRC2:TGID_Z_EN: 0
; COMPUTE_PGM_RSRC2:TIDIG_COMP_CNT: 0
	.section	.text._ZN7rocprim17ROCPRIM_400000_NS6detail17trampoline_kernelINS0_14default_configENS1_36segmented_radix_sort_config_selectorI6__halflEEZNS1_25segmented_radix_sort_implIS3_Lb0EPKS5_PS5_PKlPlN2at6native12_GLOBAL__N_18offset_tEEE10hipError_tPvRmT1_PNSt15iterator_traitsISL_E10value_typeET2_T3_PNSM_ISR_E10value_typeET4_jRbjT5_SX_jjP12ihipStream_tbEUlT_E0_NS1_11comp_targetILNS1_3genE10ELNS1_11target_archE1200ELNS1_3gpuE4ELNS1_3repE0EEENS1_60segmented_radix_sort_warp_sort_medium_config_static_selectorELNS0_4arch9wavefront6targetE0EEEvSL_,"axG",@progbits,_ZN7rocprim17ROCPRIM_400000_NS6detail17trampoline_kernelINS0_14default_configENS1_36segmented_radix_sort_config_selectorI6__halflEEZNS1_25segmented_radix_sort_implIS3_Lb0EPKS5_PS5_PKlPlN2at6native12_GLOBAL__N_18offset_tEEE10hipError_tPvRmT1_PNSt15iterator_traitsISL_E10value_typeET2_T3_PNSM_ISR_E10value_typeET4_jRbjT5_SX_jjP12ihipStream_tbEUlT_E0_NS1_11comp_targetILNS1_3genE10ELNS1_11target_archE1200ELNS1_3gpuE4ELNS1_3repE0EEENS1_60segmented_radix_sort_warp_sort_medium_config_static_selectorELNS0_4arch9wavefront6targetE0EEEvSL_,comdat
	.globl	_ZN7rocprim17ROCPRIM_400000_NS6detail17trampoline_kernelINS0_14default_configENS1_36segmented_radix_sort_config_selectorI6__halflEEZNS1_25segmented_radix_sort_implIS3_Lb0EPKS5_PS5_PKlPlN2at6native12_GLOBAL__N_18offset_tEEE10hipError_tPvRmT1_PNSt15iterator_traitsISL_E10value_typeET2_T3_PNSM_ISR_E10value_typeET4_jRbjT5_SX_jjP12ihipStream_tbEUlT_E0_NS1_11comp_targetILNS1_3genE10ELNS1_11target_archE1200ELNS1_3gpuE4ELNS1_3repE0EEENS1_60segmented_radix_sort_warp_sort_medium_config_static_selectorELNS0_4arch9wavefront6targetE0EEEvSL_ ; -- Begin function _ZN7rocprim17ROCPRIM_400000_NS6detail17trampoline_kernelINS0_14default_configENS1_36segmented_radix_sort_config_selectorI6__halflEEZNS1_25segmented_radix_sort_implIS3_Lb0EPKS5_PS5_PKlPlN2at6native12_GLOBAL__N_18offset_tEEE10hipError_tPvRmT1_PNSt15iterator_traitsISL_E10value_typeET2_T3_PNSM_ISR_E10value_typeET4_jRbjT5_SX_jjP12ihipStream_tbEUlT_E0_NS1_11comp_targetILNS1_3genE10ELNS1_11target_archE1200ELNS1_3gpuE4ELNS1_3repE0EEENS1_60segmented_radix_sort_warp_sort_medium_config_static_selectorELNS0_4arch9wavefront6targetE0EEEvSL_
	.p2align	8
	.type	_ZN7rocprim17ROCPRIM_400000_NS6detail17trampoline_kernelINS0_14default_configENS1_36segmented_radix_sort_config_selectorI6__halflEEZNS1_25segmented_radix_sort_implIS3_Lb0EPKS5_PS5_PKlPlN2at6native12_GLOBAL__N_18offset_tEEE10hipError_tPvRmT1_PNSt15iterator_traitsISL_E10value_typeET2_T3_PNSM_ISR_E10value_typeET4_jRbjT5_SX_jjP12ihipStream_tbEUlT_E0_NS1_11comp_targetILNS1_3genE10ELNS1_11target_archE1200ELNS1_3gpuE4ELNS1_3repE0EEENS1_60segmented_radix_sort_warp_sort_medium_config_static_selectorELNS0_4arch9wavefront6targetE0EEEvSL_,@function
_ZN7rocprim17ROCPRIM_400000_NS6detail17trampoline_kernelINS0_14default_configENS1_36segmented_radix_sort_config_selectorI6__halflEEZNS1_25segmented_radix_sort_implIS3_Lb0EPKS5_PS5_PKlPlN2at6native12_GLOBAL__N_18offset_tEEE10hipError_tPvRmT1_PNSt15iterator_traitsISL_E10value_typeET2_T3_PNSM_ISR_E10value_typeET4_jRbjT5_SX_jjP12ihipStream_tbEUlT_E0_NS1_11comp_targetILNS1_3genE10ELNS1_11target_archE1200ELNS1_3gpuE4ELNS1_3repE0EEENS1_60segmented_radix_sort_warp_sort_medium_config_static_selectorELNS0_4arch9wavefront6targetE0EEEvSL_: ; @_ZN7rocprim17ROCPRIM_400000_NS6detail17trampoline_kernelINS0_14default_configENS1_36segmented_radix_sort_config_selectorI6__halflEEZNS1_25segmented_radix_sort_implIS3_Lb0EPKS5_PS5_PKlPlN2at6native12_GLOBAL__N_18offset_tEEE10hipError_tPvRmT1_PNSt15iterator_traitsISL_E10value_typeET2_T3_PNSM_ISR_E10value_typeET4_jRbjT5_SX_jjP12ihipStream_tbEUlT_E0_NS1_11comp_targetILNS1_3genE10ELNS1_11target_archE1200ELNS1_3gpuE4ELNS1_3repE0EEENS1_60segmented_radix_sort_warp_sort_medium_config_static_selectorELNS0_4arch9wavefront6targetE0EEEvSL_
; %bb.0:
	.section	.rodata,"a",@progbits
	.p2align	6, 0x0
	.amdhsa_kernel _ZN7rocprim17ROCPRIM_400000_NS6detail17trampoline_kernelINS0_14default_configENS1_36segmented_radix_sort_config_selectorI6__halflEEZNS1_25segmented_radix_sort_implIS3_Lb0EPKS5_PS5_PKlPlN2at6native12_GLOBAL__N_18offset_tEEE10hipError_tPvRmT1_PNSt15iterator_traitsISL_E10value_typeET2_T3_PNSM_ISR_E10value_typeET4_jRbjT5_SX_jjP12ihipStream_tbEUlT_E0_NS1_11comp_targetILNS1_3genE10ELNS1_11target_archE1200ELNS1_3gpuE4ELNS1_3repE0EEENS1_60segmented_radix_sort_warp_sort_medium_config_static_selectorELNS0_4arch9wavefront6targetE0EEEvSL_
		.amdhsa_group_segment_fixed_size 0
		.amdhsa_private_segment_fixed_size 0
		.amdhsa_kernarg_size 88
		.amdhsa_user_sgpr_count 15
		.amdhsa_user_sgpr_dispatch_ptr 0
		.amdhsa_user_sgpr_queue_ptr 0
		.amdhsa_user_sgpr_kernarg_segment_ptr 1
		.amdhsa_user_sgpr_dispatch_id 0
		.amdhsa_user_sgpr_private_segment_size 0
		.amdhsa_wavefront_size32 1
		.amdhsa_uses_dynamic_stack 0
		.amdhsa_enable_private_segment 0
		.amdhsa_system_sgpr_workgroup_id_x 1
		.amdhsa_system_sgpr_workgroup_id_y 0
		.amdhsa_system_sgpr_workgroup_id_z 0
		.amdhsa_system_sgpr_workgroup_info 0
		.amdhsa_system_vgpr_workitem_id 0
		.amdhsa_next_free_vgpr 1
		.amdhsa_next_free_sgpr 1
		.amdhsa_reserve_vcc 0
		.amdhsa_float_round_mode_32 0
		.amdhsa_float_round_mode_16_64 0
		.amdhsa_float_denorm_mode_32 3
		.amdhsa_float_denorm_mode_16_64 3
		.amdhsa_dx10_clamp 1
		.amdhsa_ieee_mode 1
		.amdhsa_fp16_overflow 0
		.amdhsa_workgroup_processor_mode 1
		.amdhsa_memory_ordered 1
		.amdhsa_forward_progress 0
		.amdhsa_shared_vgpr_count 0
		.amdhsa_exception_fp_ieee_invalid_op 0
		.amdhsa_exception_fp_denorm_src 0
		.amdhsa_exception_fp_ieee_div_zero 0
		.amdhsa_exception_fp_ieee_overflow 0
		.amdhsa_exception_fp_ieee_underflow 0
		.amdhsa_exception_fp_ieee_inexact 0
		.amdhsa_exception_int_div_zero 0
	.end_amdhsa_kernel
	.section	.text._ZN7rocprim17ROCPRIM_400000_NS6detail17trampoline_kernelINS0_14default_configENS1_36segmented_radix_sort_config_selectorI6__halflEEZNS1_25segmented_radix_sort_implIS3_Lb0EPKS5_PS5_PKlPlN2at6native12_GLOBAL__N_18offset_tEEE10hipError_tPvRmT1_PNSt15iterator_traitsISL_E10value_typeET2_T3_PNSM_ISR_E10value_typeET4_jRbjT5_SX_jjP12ihipStream_tbEUlT_E0_NS1_11comp_targetILNS1_3genE10ELNS1_11target_archE1200ELNS1_3gpuE4ELNS1_3repE0EEENS1_60segmented_radix_sort_warp_sort_medium_config_static_selectorELNS0_4arch9wavefront6targetE0EEEvSL_,"axG",@progbits,_ZN7rocprim17ROCPRIM_400000_NS6detail17trampoline_kernelINS0_14default_configENS1_36segmented_radix_sort_config_selectorI6__halflEEZNS1_25segmented_radix_sort_implIS3_Lb0EPKS5_PS5_PKlPlN2at6native12_GLOBAL__N_18offset_tEEE10hipError_tPvRmT1_PNSt15iterator_traitsISL_E10value_typeET2_T3_PNSM_ISR_E10value_typeET4_jRbjT5_SX_jjP12ihipStream_tbEUlT_E0_NS1_11comp_targetILNS1_3genE10ELNS1_11target_archE1200ELNS1_3gpuE4ELNS1_3repE0EEENS1_60segmented_radix_sort_warp_sort_medium_config_static_selectorELNS0_4arch9wavefront6targetE0EEEvSL_,comdat
.Lfunc_end1858:
	.size	_ZN7rocprim17ROCPRIM_400000_NS6detail17trampoline_kernelINS0_14default_configENS1_36segmented_radix_sort_config_selectorI6__halflEEZNS1_25segmented_radix_sort_implIS3_Lb0EPKS5_PS5_PKlPlN2at6native12_GLOBAL__N_18offset_tEEE10hipError_tPvRmT1_PNSt15iterator_traitsISL_E10value_typeET2_T3_PNSM_ISR_E10value_typeET4_jRbjT5_SX_jjP12ihipStream_tbEUlT_E0_NS1_11comp_targetILNS1_3genE10ELNS1_11target_archE1200ELNS1_3gpuE4ELNS1_3repE0EEENS1_60segmented_radix_sort_warp_sort_medium_config_static_selectorELNS0_4arch9wavefront6targetE0EEEvSL_, .Lfunc_end1858-_ZN7rocprim17ROCPRIM_400000_NS6detail17trampoline_kernelINS0_14default_configENS1_36segmented_radix_sort_config_selectorI6__halflEEZNS1_25segmented_radix_sort_implIS3_Lb0EPKS5_PS5_PKlPlN2at6native12_GLOBAL__N_18offset_tEEE10hipError_tPvRmT1_PNSt15iterator_traitsISL_E10value_typeET2_T3_PNSM_ISR_E10value_typeET4_jRbjT5_SX_jjP12ihipStream_tbEUlT_E0_NS1_11comp_targetILNS1_3genE10ELNS1_11target_archE1200ELNS1_3gpuE4ELNS1_3repE0EEENS1_60segmented_radix_sort_warp_sort_medium_config_static_selectorELNS0_4arch9wavefront6targetE0EEEvSL_
                                        ; -- End function
	.section	.AMDGPU.csdata,"",@progbits
; Kernel info:
; codeLenInByte = 0
; NumSgprs: 0
; NumVgprs: 0
; ScratchSize: 0
; MemoryBound: 0
; FloatMode: 240
; IeeeMode: 1
; LDSByteSize: 0 bytes/workgroup (compile time only)
; SGPRBlocks: 0
; VGPRBlocks: 0
; NumSGPRsForWavesPerEU: 1
; NumVGPRsForWavesPerEU: 1
; Occupancy: 16
; WaveLimiterHint : 0
; COMPUTE_PGM_RSRC2:SCRATCH_EN: 0
; COMPUTE_PGM_RSRC2:USER_SGPR: 15
; COMPUTE_PGM_RSRC2:TRAP_HANDLER: 0
; COMPUTE_PGM_RSRC2:TGID_X_EN: 1
; COMPUTE_PGM_RSRC2:TGID_Y_EN: 0
; COMPUTE_PGM_RSRC2:TGID_Z_EN: 0
; COMPUTE_PGM_RSRC2:TIDIG_COMP_CNT: 0
	.text
	.p2align	2                               ; -- Begin function _ZN7rocprim17ROCPRIM_400000_NS6detail26segmented_warp_sort_helperINS1_20WarpSortHelperConfigILj16ELj8ELj256EEE6__halflLi256ELb0EvE4sortIPKS5_PS5_PKlPlEEvT_T0_T1_T2_jjjjRNS6_12storage_typeE
	.type	_ZN7rocprim17ROCPRIM_400000_NS6detail26segmented_warp_sort_helperINS1_20WarpSortHelperConfigILj16ELj8ELj256EEE6__halflLi256ELb0EvE4sortIPKS5_PS5_PKlPlEEvT_T0_T1_T2_jjjjRNS6_12storage_typeE,@function
_ZN7rocprim17ROCPRIM_400000_NS6detail26segmented_warp_sort_helperINS1_20WarpSortHelperConfigILj16ELj8ELj256EEE6__halflLi256ELb0EvE4sortIPKS5_PS5_PKlPlEEvT_T0_T1_T2_jjjjRNS6_12storage_typeE: ; @_ZN7rocprim17ROCPRIM_400000_NS6detail26segmented_warp_sort_helperINS1_20WarpSortHelperConfigILj16ELj8ELj256EEE6__halflLi256ELb0EvE4sortIPKS5_PS5_PKlPlEEvT_T0_T1_T2_jjjjRNS6_12storage_typeE
; %bb.0:
	s_waitcnt vmcnt(0) expcnt(0) lgkmcnt(0)
	v_mov_b32_e32 v10, v9
	v_mbcnt_lo_u32_b32 v9, -1, 0
	v_dual_mov_b32 v36, 0x7fff :: v_dual_mov_b32 v39, 0x7fff
	s_delay_alu instid0(VALU_DEP_2) | instskip(SKIP_2) | instid1(VALU_DEP_3)
	v_lshlrev_b32_e32 v35, 3, v9
	v_mov_b32_e32 v9, 0
	v_sub_nc_u32_e32 v10, v10, v8
	v_and_b32_e32 v34, 0x78, v35
	s_delay_alu instid0(VALU_DEP_3) | instskip(NEXT) | instid1(VALU_DEP_2)
	v_lshlrev_b64 v[11:12], 1, v[8:9]
	v_lshlrev_b32_e32 v32, 1, v34
	s_delay_alu instid0(VALU_DEP_2) | instskip(NEXT) | instid1(VALU_DEP_3)
	v_add_co_u32 v0, vcc_lo, v0, v11
	v_add_co_ci_u32_e32 v1, vcc_lo, v1, v12, vcc_lo
	s_delay_alu instid0(VALU_DEP_2) | instskip(NEXT) | instid1(VALU_DEP_2)
	v_add_co_u32 v0, vcc_lo, v0, v32
	v_add_co_ci_u32_e32 v1, vcc_lo, 0, v1, vcc_lo
	v_cmp_lt_u32_e32 vcc_lo, v34, v10
	s_and_saveexec_b32 s0, vcc_lo
	s_cbranch_execz .LBB1859_2
; %bb.1:
	flat_load_u16 v36, v[0:1]
.LBB1859_2:
	s_or_b32 exec_lo, exec_lo, s0
	v_or_b32_e32 v13, 1, v34
	s_delay_alu instid0(VALU_DEP_1) | instskip(NEXT) | instid1(VALU_DEP_1)
	v_cmp_lt_u32_e64 s0, v13, v10
	s_and_saveexec_b32 s1, s0
	s_cbranch_execz .LBB1859_4
; %bb.3:
	flat_load_u16 v39, v[0:1] offset:2
.LBB1859_4:
	s_or_b32 exec_lo, exec_lo, s1
	v_or_b32_e32 v13, 2, v34
	v_dual_mov_b32 v51, 0x7fff :: v_dual_mov_b32 v48, 0x7fff
	s_delay_alu instid0(VALU_DEP_2) | instskip(NEXT) | instid1(VALU_DEP_1)
	v_cmp_lt_u32_e64 s1, v13, v10
	s_and_saveexec_b32 s2, s1
	s_cbranch_execz .LBB1859_6
; %bb.5:
	flat_load_u16 v48, v[0:1] offset:4
.LBB1859_6:
	s_or_b32 exec_lo, exec_lo, s2
	v_or_b32_e32 v13, 3, v34
	s_delay_alu instid0(VALU_DEP_1) | instskip(NEXT) | instid1(VALU_DEP_1)
	v_cmp_lt_u32_e64 s2, v13, v10
	s_and_saveexec_b32 s3, s2
	s_cbranch_execz .LBB1859_8
; %bb.7:
	flat_load_u16 v51, v[0:1] offset:6
.LBB1859_8:
	s_or_b32 exec_lo, exec_lo, s3
	v_or_b32_e32 v13, 4, v34
	v_dual_mov_b32 v38, 0x7fff :: v_dual_mov_b32 v49, 0x7fff
	s_delay_alu instid0(VALU_DEP_2) | instskip(NEXT) | instid1(VALU_DEP_1)
	v_cmp_lt_u32_e64 s3, v13, v10
	s_and_saveexec_b32 s4, s3
	s_cbranch_execz .LBB1859_10
; %bb.9:
	flat_load_u16 v49, v[0:1] offset:8
.LBB1859_10:
	;; [unrolled: 19-line block ×3, first 2 shown]
	s_or_b32 exec_lo, exec_lo, s6
	v_or_b32_e32 v13, 7, v34
	s_delay_alu instid0(VALU_DEP_1) | instskip(NEXT) | instid1(VALU_DEP_1)
	v_cmp_lt_u32_e64 s6, v13, v10
	s_and_saveexec_b32 s7, s6
	s_cbranch_execz .LBB1859_16
; %bb.15:
	flat_load_u16 v37, v[0:1] offset:14
.LBB1859_16:
	s_or_b32 exec_lo, exec_lo, s7
	v_lshlrev_b64 v[0:1], 3, v[8:9]
	v_lshlrev_b32_e32 v33, 3, v34
	; wave barrier
	s_delay_alu instid0(VALU_DEP_2) | instskip(NEXT) | instid1(VALU_DEP_1)
	v_add_co_u32 v4, s7, v4, v0
	v_add_co_ci_u32_e64 v5, s7, v5, v1, s7
	s_delay_alu instid0(VALU_DEP_2) | instskip(NEXT) | instid1(VALU_DEP_1)
	v_add_co_u32 v13, s7, v4, v33
	v_add_co_ci_u32_e64 v14, s7, 0, v5, s7
                                        ; implicit-def: $vgpr4_vgpr5
	s_and_saveexec_b32 s7, vcc_lo
	s_cbranch_execnz .LBB1859_261
; %bb.17:
	s_or_b32 exec_lo, exec_lo, s7
                                        ; implicit-def: $vgpr8_vgpr9
	s_and_saveexec_b32 s7, s0
	s_cbranch_execnz .LBB1859_262
.LBB1859_18:
	s_or_b32 exec_lo, exec_lo, s7
                                        ; implicit-def: $vgpr15_vgpr16
	s_and_saveexec_b32 s7, s1
	s_cbranch_execnz .LBB1859_263
.LBB1859_19:
	s_or_b32 exec_lo, exec_lo, s7
                                        ; implicit-def: $vgpr17_vgpr18
	s_and_saveexec_b32 s7, s2
	s_cbranch_execnz .LBB1859_264
.LBB1859_20:
	s_or_b32 exec_lo, exec_lo, s7
                                        ; implicit-def: $vgpr19_vgpr20
	s_and_saveexec_b32 s7, s3
	s_cbranch_execnz .LBB1859_265
.LBB1859_21:
	s_or_b32 exec_lo, exec_lo, s7
                                        ; implicit-def: $vgpr23_vgpr24
	s_and_saveexec_b32 s7, s4
	s_cbranch_execnz .LBB1859_266
.LBB1859_22:
	s_or_b32 exec_lo, exec_lo, s7
                                        ; implicit-def: $vgpr21_vgpr22
	s_and_saveexec_b32 s7, s5
	s_cbranch_execnz .LBB1859_267
.LBB1859_23:
	s_or_b32 exec_lo, exec_lo, s7
                                        ; implicit-def: $vgpr25_vgpr26
	s_and_saveexec_b32 s7, s6
	s_cbranch_execz .LBB1859_25
.LBB1859_24:
	flat_load_b64 v[25:26], v[13:14] offset:56
.LBB1859_25:
	s_or_b32 exec_lo, exec_lo, s7
	; wave barrier
	s_load_b64 s[10:11], s[8:9], 0x0
	v_mov_b32_e32 v10, 0
	v_bfe_u32 v14, v31, 10, 10
	v_bfe_u32 v27, v31, 20, 10
	s_waitcnt lgkmcnt(0)
	s_cmp_lt_u32 s13, s11
	s_cselect_b32 s7, 14, 20
	s_delay_alu instid0(SALU_CYCLE_1) | instskip(SKIP_4) | instid1(SALU_CYCLE_1)
	s_add_u32 s14, s8, s7
	s_addc_u32 s15, s9, 0
	s_cmp_lt_u32 s12, s10
	global_load_u16 v13, v10, s[14:15]
	s_cselect_b32 s7, 12, 18
	s_add_u32 s8, s8, s7
	s_addc_u32 s9, s9, 0
	global_load_u16 v10, v10, s[8:9]
	s_mov_b32 s8, exec_lo
	s_waitcnt vmcnt(1)
	v_mad_u32_u24 v13, v27, v13, v14
	s_waitcnt vmcnt(0)
	s_delay_alu instid0(VALU_DEP_1) | instskip(SKIP_1) | instid1(VALU_DEP_1)
	v_mul_lo_u32 v10, v13, v10
	v_and_b32_e32 v13, 0x3ff, v31
	v_add_lshl_u32 v10, v10, v13, 3
	s_delay_alu instid0(VALU_DEP_1)
	v_cmpx_gt_u32_e32 0x800, v10
	s_cbranch_execz .LBB1859_83
; %bb.26:
	v_add_f16_e32 v13, 0, v36
	v_add_f16_e32 v14, 0, v39
	v_mov_b32_e32 v31, v39
	s_mov_b32 s9, exec_lo
	s_delay_alu instid0(VALU_DEP_3) | instskip(NEXT) | instid1(VALU_DEP_1)
	v_cmp_lt_i16_e64 s7, -1, v13
	v_cndmask_b32_e64 v27, -1, 0xffff8000, s7
	v_cmp_lt_i16_e64 s7, -1, v14
	s_delay_alu instid0(VALU_DEP_2) | instskip(NEXT) | instid1(VALU_DEP_2)
	v_xor_b32_e32 v13, v27, v13
	v_cndmask_b32_e64 v28, -1, 0xffff8000, s7
	s_delay_alu instid0(VALU_DEP_1) | instskip(SKIP_1) | instid1(VALU_DEP_2)
	v_xor_b32_e32 v14, v28, v14
	v_dual_mov_b32 v28, v9 :: v_dual_mov_b32 v27, v8
	v_cmpx_gt_u16_e64 v13, v14
; %bb.27:
	v_dual_mov_b32 v31, v36 :: v_dual_mov_b32 v36, v39
	v_dual_mov_b32 v28, v5 :: v_dual_mov_b32 v27, v4
	;; [unrolled: 1-line block ×3, first 2 shown]
; %bb.28:
	s_or_b32 exec_lo, exec_lo, s9
	v_add_f16_e32 v8, 0, v48
	v_add_f16_e32 v9, 0, v51
	v_mov_b32_e32 v30, v18
	v_dual_mov_b32 v52, v51 :: v_dual_mov_b32 v29, v17
	s_delay_alu instid0(VALU_DEP_4) | instskip(SKIP_1) | instid1(VALU_DEP_1)
	v_cmp_lt_i16_e64 s7, -1, v8
	s_mov_b32 s9, exec_lo
	v_cndmask_b32_e64 v13, -1, 0xffff8000, s7
	v_cmp_lt_i16_e64 s7, -1, v9
	s_delay_alu instid0(VALU_DEP_2) | instskip(NEXT) | instid1(VALU_DEP_2)
	v_xor_b32_e32 v8, v13, v8
	v_cndmask_b32_e64 v14, -1, 0xffff8000, s7
	s_delay_alu instid0(VALU_DEP_1) | instskip(NEXT) | instid1(VALU_DEP_1)
	v_xor_b32_e32 v9, v14, v9
	v_cmpx_gt_u16_e64 v8, v9
; %bb.29:
	v_mov_b32_e32 v30, v16
	v_dual_mov_b32 v52, v48 :: v_dual_mov_b32 v29, v15
	v_dual_mov_b32 v48, v51 :: v_dual_mov_b32 v15, v17
	v_mov_b32_e32 v16, v18
; %bb.30:
	s_or_b32 exec_lo, exec_lo, s9
	v_add_f16_e32 v8, 0, v49
	v_add_f16_e32 v9, 0, v38
	v_mov_b32_e32 v51, v49
	s_mov_b32 s9, exec_lo
	s_delay_alu instid0(VALU_DEP_3) | instskip(NEXT) | instid1(VALU_DEP_1)
	v_cmp_lt_i16_e64 s7, -1, v8
	v_cndmask_b32_e64 v13, -1, 0xffff8000, s7
	v_cmp_lt_i16_e64 s7, -1, v9
	s_delay_alu instid0(VALU_DEP_2) | instskip(NEXT) | instid1(VALU_DEP_2)
	v_xor_b32_e32 v8, v13, v8
	v_cndmask_b32_e64 v14, -1, 0xffff8000, s7
	s_delay_alu instid0(VALU_DEP_1) | instskip(SKIP_1) | instid1(VALU_DEP_2)
	v_xor_b32_e32 v9, v14, v9
	v_dual_mov_b32 v13, v23 :: v_dual_mov_b32 v14, v24
	v_cmpx_gt_u16_e64 v8, v9
; %bb.31:
	v_dual_mov_b32 v13, v19 :: v_dual_mov_b32 v14, v20
	v_dual_mov_b32 v19, v23 :: v_dual_mov_b32 v20, v24
	;; [unrolled: 1-line block ×3, first 2 shown]
; %bb.32:
	s_or_b32 exec_lo, exec_lo, s9
	v_add_f16_e32 v8, 0, v50
	v_add_f16_e32 v9, 0, v37
	v_mov_b32_e32 v49, v50
	s_mov_b32 s9, exec_lo
	s_delay_alu instid0(VALU_DEP_3) | instskip(NEXT) | instid1(VALU_DEP_1)
	v_cmp_lt_i16_e64 s7, -1, v8
	v_cndmask_b32_e64 v17, -1, 0xffff8000, s7
	v_cmp_lt_i16_e64 s7, -1, v9
	s_delay_alu instid0(VALU_DEP_2) | instskip(NEXT) | instid1(VALU_DEP_2)
	v_xor_b32_e32 v17, v17, v8
	v_cndmask_b32_e64 v18, -1, 0xffff8000, s7
	s_delay_alu instid0(VALU_DEP_1) | instskip(SKIP_1) | instid1(VALU_DEP_2)
	v_xor_b32_e32 v18, v18, v9
	v_dual_mov_b32 v8, v25 :: v_dual_mov_b32 v9, v26
	v_cmpx_gt_u16_e64 v17, v18
; %bb.33:
	v_dual_mov_b32 v8, v21 :: v_dual_mov_b32 v9, v22
	v_dual_mov_b32 v21, v25 :: v_dual_mov_b32 v22, v26
	v_mov_b32_e32 v49, v37
	v_mov_b32_e32 v37, v50
; %bb.34:
	s_or_b32 exec_lo, exec_lo, s9
	v_add_f16_e32 v17, 0, v31
	v_add_f16_e32 v18, 0, v48
	v_mov_b32_e32 v39, v48
	s_delay_alu instid0(VALU_DEP_3) | instskip(NEXT) | instid1(VALU_DEP_1)
	v_cmp_lt_i16_e64 s7, -1, v17
	v_cndmask_b32_e64 v23, -1, 0xffff8000, s7
	s_delay_alu instid0(VALU_DEP_4) | instskip(NEXT) | instid1(VALU_DEP_2)
	v_cmp_lt_i16_e64 s7, -1, v18
	v_xor_b32_e32 v17, v23, v17
	s_delay_alu instid0(VALU_DEP_2) | instskip(NEXT) | instid1(VALU_DEP_1)
	v_cndmask_b32_e64 v24, -1, 0xffff8000, s7
	v_xor_b32_e32 v18, v24, v18
	v_dual_mov_b32 v24, v16 :: v_dual_mov_b32 v23, v15
	s_delay_alu instid0(VALU_DEP_2) | instskip(NEXT) | instid1(VALU_DEP_1)
	v_cmp_gt_u16_e64 s7, v17, v18
	s_and_saveexec_b32 s9, s7
	s_delay_alu instid0(SALU_CYCLE_1)
	s_xor_b32 s7, exec_lo, s9
; %bb.35:
	v_mov_b32_e32 v23, v27
	v_dual_mov_b32 v39, v31 :: v_dual_mov_b32 v24, v28
	v_mov_b32_e32 v28, v16
	v_mov_b32_e32 v31, v48
	;; [unrolled: 1-line block ×3, first 2 shown]
; %bb.36:
	s_or_b32 exec_lo, exec_lo, s7
	v_add_f16_e32 v15, 0, v52
	v_add_f16_e32 v16, 0, v51
	v_dual_mov_b32 v26, v20 :: v_dual_mov_b32 v25, v19
	s_mov_b32 s9, exec_lo
	s_delay_alu instid0(VALU_DEP_3) | instskip(NEXT) | instid1(VALU_DEP_1)
	v_cmp_lt_i16_e64 s7, -1, v15
	v_cndmask_b32_e64 v17, -1, 0xffff8000, s7
	v_cmp_lt_i16_e64 s7, -1, v16
	s_delay_alu instid0(VALU_DEP_2) | instskip(NEXT) | instid1(VALU_DEP_2)
	v_xor_b32_e32 v15, v17, v15
	v_cndmask_b32_e64 v18, -1, 0xffff8000, s7
	v_mov_b32_e32 v17, v52
	s_delay_alu instid0(VALU_DEP_2) | instskip(NEXT) | instid1(VALU_DEP_1)
	v_xor_b32_e32 v16, v18, v16
	v_cmpx_gt_u16_e64 v15, v16
; %bb.37:
	v_mov_b32_e32 v25, v29
	v_dual_mov_b32 v17, v51 :: v_dual_mov_b32 v26, v30
	v_dual_mov_b32 v30, v20 :: v_dual_mov_b32 v29, v19
	v_mov_b32_e32 v51, v52
; %bb.38:
	s_or_b32 exec_lo, exec_lo, s9
	v_add_f16_e32 v15, 0, v38
	v_add_f16_e32 v16, 0, v49
	v_mov_b32_e32 v48, v38
	s_mov_b32 s9, exec_lo
	s_delay_alu instid0(VALU_DEP_3) | instskip(NEXT) | instid1(VALU_DEP_1)
	v_cmp_lt_i16_e64 s7, -1, v15
	v_cndmask_b32_e64 v18, -1, 0xffff8000, s7
	v_cmp_lt_i16_e64 s7, -1, v16
	s_delay_alu instid0(VALU_DEP_2) | instskip(NEXT) | instid1(VALU_DEP_2)
	v_xor_b32_e32 v18, v18, v15
	v_cndmask_b32_e64 v19, -1, 0xffff8000, s7
	s_delay_alu instid0(VALU_DEP_1) | instskip(SKIP_1) | instid1(VALU_DEP_2)
	v_xor_b32_e32 v19, v19, v16
	v_dual_mov_b32 v15, v21 :: v_dual_mov_b32 v16, v22
	v_cmpx_gt_u16_e64 v18, v19
; %bb.39:
	v_dual_mov_b32 v16, v14 :: v_dual_mov_b32 v15, v13
	v_dual_mov_b32 v13, v21 :: v_dual_mov_b32 v14, v22
	;; [unrolled: 1-line block ×3, first 2 shown]
; %bb.40:
	s_or_b32 exec_lo, exec_lo, s9
	v_add_f16_e32 v18, 0, v36
	v_add_f16_e32 v19, 0, v31
	v_mov_b32_e32 v38, v31
	s_delay_alu instid0(VALU_DEP_3) | instskip(NEXT) | instid1(VALU_DEP_1)
	v_cmp_lt_i16_e64 s7, -1, v18
	v_cndmask_b32_e64 v20, -1, 0xffff8000, s7
	s_delay_alu instid0(VALU_DEP_4) | instskip(NEXT) | instid1(VALU_DEP_2)
	v_cmp_lt_i16_e64 s7, -1, v19
	v_xor_b32_e32 v18, v20, v18
	s_delay_alu instid0(VALU_DEP_2) | instskip(NEXT) | instid1(VALU_DEP_1)
	v_cndmask_b32_e64 v21, -1, 0xffff8000, s7
	v_xor_b32_e32 v19, v21, v19
	s_delay_alu instid0(VALU_DEP_1) | instskip(SKIP_1) | instid1(VALU_DEP_2)
	v_cmp_gt_u16_e64 s7, v18, v19
	v_dual_mov_b32 v19, v27 :: v_dual_mov_b32 v20, v28
	s_and_saveexec_b32 s9, s7
; %bb.41:
	v_mov_b32_e32 v20, v5
	v_mov_b32_e32 v38, v36
	v_dual_mov_b32 v36, v31 :: v_dual_mov_b32 v19, v4
	v_dual_mov_b32 v4, v27 :: v_dual_mov_b32 v5, v28
; %bb.42:
	s_or_b32 exec_lo, exec_lo, s9
	v_add_f16_e32 v18, 0, v39
	v_add_f16_e32 v21, 0, v17
	v_mov_b32_e32 v53, v17
	s_mov_b32 s9, exec_lo
	s_delay_alu instid0(VALU_DEP_3) | instskip(NEXT) | instid1(VALU_DEP_1)
	v_cmp_lt_i16_e64 s7, -1, v18
	v_cndmask_b32_e64 v22, -1, 0xffff8000, s7
	v_cmp_lt_i16_e64 s7, -1, v21
	s_delay_alu instid0(VALU_DEP_2) | instskip(NEXT) | instid1(VALU_DEP_2)
	v_xor_b32_e32 v18, v22, v18
	v_cndmask_b32_e64 v27, -1, 0xffff8000, s7
	s_delay_alu instid0(VALU_DEP_1) | instskip(SKIP_1) | instid1(VALU_DEP_2)
	v_xor_b32_e32 v21, v27, v21
	v_dual_mov_b32 v27, v29 :: v_dual_mov_b32 v28, v30
	v_cmpx_gt_u16_e64 v18, v21
; %bb.43:
	v_dual_mov_b32 v53, v39 :: v_dual_mov_b32 v28, v24
	v_mov_b32_e32 v27, v23
	v_mov_b32_e32 v23, v29
	v_dual_mov_b32 v39, v17 :: v_dual_mov_b32 v24, v30
; %bb.44:
	s_or_b32 exec_lo, exec_lo, s9
	v_add_f16_e32 v17, 0, v51
	v_add_f16_e32 v18, 0, v48
	v_mov_b32_e32 v52, v51
	s_mov_b32 s9, exec_lo
	s_delay_alu instid0(VALU_DEP_3) | instskip(NEXT) | instid1(VALU_DEP_1)
	v_cmp_lt_i16_e64 s7, -1, v17
	v_cndmask_b32_e64 v21, -1, 0xffff8000, s7
	v_cmp_lt_i16_e64 s7, -1, v18
	s_delay_alu instid0(VALU_DEP_2) | instskip(NEXT) | instid1(VALU_DEP_2)
	v_xor_b32_e32 v21, v21, v17
	v_cndmask_b32_e64 v22, -1, 0xffff8000, s7
	s_delay_alu instid0(VALU_DEP_1) | instskip(SKIP_1) | instid1(VALU_DEP_2)
	v_xor_b32_e32 v22, v22, v18
	v_dual_mov_b32 v18, v14 :: v_dual_mov_b32 v17, v13
	v_cmpx_gt_u16_e64 v21, v22
; %bb.45:
	v_dual_mov_b32 v17, v25 :: v_dual_mov_b32 v18, v26
	v_dual_mov_b32 v26, v14 :: v_dual_mov_b32 v25, v13
	v_mov_b32_e32 v52, v48
	v_mov_b32_e32 v48, v51
; %bb.46:
	s_or_b32 exec_lo, exec_lo, s9
	v_add_f16_e32 v13, 0, v49
	v_add_f16_e32 v14, 0, v37
	v_mov_b32_e32 v50, v49
	s_mov_b32 s9, exec_lo
	s_delay_alu instid0(VALU_DEP_3) | instskip(NEXT) | instid1(VALU_DEP_1)
	v_cmp_lt_i16_e64 s7, -1, v13
	v_cndmask_b32_e64 v21, -1, 0xffff8000, s7
	v_cmp_lt_i16_e64 s7, -1, v14
	s_delay_alu instid0(VALU_DEP_2) | instskip(NEXT) | instid1(VALU_DEP_2)
	v_xor_b32_e32 v21, v21, v13
	v_cndmask_b32_e64 v22, -1, 0xffff8000, s7
	s_delay_alu instid0(VALU_DEP_1) | instskip(SKIP_1) | instid1(VALU_DEP_2)
	v_xor_b32_e32 v22, v22, v14
	v_dual_mov_b32 v14, v9 :: v_dual_mov_b32 v13, v8
	v_cmpx_gt_u16_e64 v21, v22
; %bb.47:
	v_dual_mov_b32 v13, v15 :: v_dual_mov_b32 v14, v16
	v_dual_mov_b32 v16, v9 :: v_dual_mov_b32 v15, v8
	v_mov_b32_e32 v50, v37
	v_mov_b32_e32 v37, v49
; %bb.48:
	s_or_b32 exec_lo, exec_lo, s9
	v_add_f16_e32 v8, 0, v38
	v_add_f16_e32 v9, 0, v39
	v_dual_mov_b32 v31, v39 :: v_dual_mov_b32 v30, v24
	v_mov_b32_e32 v29, v23
	s_delay_alu instid0(VALU_DEP_4) | instskip(SKIP_1) | instid1(VALU_DEP_1)
	v_cmp_lt_i16_e64 s7, -1, v8
	s_mov_b32 s9, exec_lo
	v_cndmask_b32_e64 v21, -1, 0xffff8000, s7
	v_cmp_lt_i16_e64 s7, -1, v9
	s_delay_alu instid0(VALU_DEP_2) | instskip(NEXT) | instid1(VALU_DEP_2)
	v_xor_b32_e32 v8, v21, v8
	v_cndmask_b32_e64 v22, -1, 0xffff8000, s7
	s_delay_alu instid0(VALU_DEP_1) | instskip(NEXT) | instid1(VALU_DEP_1)
	v_xor_b32_e32 v9, v22, v9
	v_cmpx_gt_u16_e64 v8, v9
; %bb.49:
	v_dual_mov_b32 v31, v38 :: v_dual_mov_b32 v38, v39
	v_dual_mov_b32 v30, v20 :: v_dual_mov_b32 v29, v19
	v_dual_mov_b32 v19, v23 :: v_dual_mov_b32 v20, v24
; %bb.50:
	s_or_b32 exec_lo, exec_lo, s9
	v_add_f16_e32 v8, 0, v53
	v_add_f16_e32 v9, 0, v52
	v_mov_b32_e32 v49, v53
	s_mov_b32 s9, exec_lo
	s_delay_alu instid0(VALU_DEP_3) | instskip(NEXT) | instid1(VALU_DEP_1)
	v_cmp_lt_i16_e64 s7, -1, v8
	v_cndmask_b32_e64 v21, -1, 0xffff8000, s7
	v_cmp_lt_i16_e64 s7, -1, v9
	s_delay_alu instid0(VALU_DEP_2) | instskip(NEXT) | instid1(VALU_DEP_2)
	v_xor_b32_e32 v8, v21, v8
	v_cndmask_b32_e64 v22, -1, 0xffff8000, s7
	s_delay_alu instid0(VALU_DEP_1) | instskip(SKIP_1) | instid1(VALU_DEP_2)
	v_xor_b32_e32 v9, v22, v9
	v_dual_mov_b32 v21, v25 :: v_dual_mov_b32 v22, v26
	v_cmpx_gt_u16_e64 v8, v9
; %bb.51:
	v_mov_b32_e32 v49, v52
	v_dual_mov_b32 v21, v27 :: v_dual_mov_b32 v22, v28
	v_dual_mov_b32 v28, v26 :: v_dual_mov_b32 v27, v25
	v_mov_b32_e32 v52, v53
; %bb.52:
	s_or_b32 exec_lo, exec_lo, s9
	v_add_f16_e32 v8, 0, v48
	v_add_f16_e32 v9, 0, v50
	v_mov_b32_e32 v39, v48
	s_mov_b32 s9, exec_lo
	s_delay_alu instid0(VALU_DEP_3) | instskip(NEXT) | instid1(VALU_DEP_1)
	v_cmp_lt_i16_e64 s7, -1, v8
	v_cndmask_b32_e64 v23, -1, 0xffff8000, s7
	v_cmp_lt_i16_e64 s7, -1, v9
	s_delay_alu instid0(VALU_DEP_2) | instskip(NEXT) | instid1(VALU_DEP_2)
	v_xor_b32_e32 v23, v23, v8
	v_cndmask_b32_e64 v24, -1, 0xffff8000, s7
	s_delay_alu instid0(VALU_DEP_1) | instskip(SKIP_1) | instid1(VALU_DEP_2)
	v_xor_b32_e32 v24, v24, v9
	v_dual_mov_b32 v8, v15 :: v_dual_mov_b32 v9, v16
	v_cmpx_gt_u16_e64 v23, v24
; %bb.53:
	v_dual_mov_b32 v8, v17 :: v_dual_mov_b32 v9, v18
	v_dual_mov_b32 v18, v16 :: v_dual_mov_b32 v17, v15
	v_dual_mov_b32 v39, v50 :: v_dual_mov_b32 v50, v48
; %bb.54:
	s_or_b32 exec_lo, exec_lo, s9
	v_add_f16_e32 v15, 0, v36
	v_add_f16_e32 v16, 0, v38
	v_mov_b32_e32 v48, v38
	s_mov_b32 s9, exec_lo
	s_delay_alu instid0(VALU_DEP_3) | instskip(NEXT) | instid1(VALU_DEP_1)
	v_cmp_lt_i16_e64 s7, -1, v15
	v_cndmask_b32_e64 v23, -1, 0xffff8000, s7
	v_cmp_lt_i16_e64 s7, -1, v16
	s_delay_alu instid0(VALU_DEP_2) | instskip(NEXT) | instid1(VALU_DEP_2)
	v_xor_b32_e32 v15, v23, v15
	v_cndmask_b32_e64 v24, -1, 0xffff8000, s7
	s_delay_alu instid0(VALU_DEP_1) | instskip(SKIP_1) | instid1(VALU_DEP_2)
	v_xor_b32_e32 v16, v24, v16
	v_dual_mov_b32 v24, v20 :: v_dual_mov_b32 v23, v19
	v_cmpx_gt_u16_e64 v15, v16
; %bb.55:
	v_mov_b32_e32 v24, v5
	v_mov_b32_e32 v48, v36
	v_dual_mov_b32 v36, v38 :: v_dual_mov_b32 v23, v4
	v_dual_mov_b32 v4, v19 :: v_dual_mov_b32 v5, v20
; %bb.56:
	s_or_b32 exec_lo, exec_lo, s9
	v_add_f16_e32 v15, 0, v31
	v_add_f16_e32 v16, 0, v49
	v_dual_mov_b32 v38, v49 :: v_dual_mov_b32 v25, v27
	v_mov_b32_e32 v26, v28
	s_delay_alu instid0(VALU_DEP_4) | instskip(SKIP_1) | instid1(VALU_DEP_1)
	v_cmp_lt_i16_e64 s7, -1, v15
	s_mov_b32 s9, exec_lo
	v_cndmask_b32_e64 v19, -1, 0xffff8000, s7
	v_cmp_lt_i16_e64 s7, -1, v16
	s_delay_alu instid0(VALU_DEP_2) | instskip(NEXT) | instid1(VALU_DEP_2)
	v_xor_b32_e32 v15, v19, v15
	v_cndmask_b32_e64 v20, -1, 0xffff8000, s7
	s_delay_alu instid0(VALU_DEP_1) | instskip(NEXT) | instid1(VALU_DEP_1)
	v_xor_b32_e32 v16, v20, v16
	v_cmpx_gt_u16_e64 v15, v16
; %bb.57:
	v_dual_mov_b32 v38, v31 :: v_dual_mov_b32 v31, v49
	v_dual_mov_b32 v25, v29 :: v_dual_mov_b32 v26, v30
	v_dual_mov_b32 v30, v28 :: v_dual_mov_b32 v29, v27
; %bb.58:
	s_or_b32 exec_lo, exec_lo, s9
	v_add_f16_e32 v15, 0, v52
	v_add_f16_e32 v16, 0, v39
	v_mov_b32_e32 v53, v52
	s_mov_b32 s9, exec_lo
	s_delay_alu instid0(VALU_DEP_3) | instskip(NEXT) | instid1(VALU_DEP_1)
	v_cmp_lt_i16_e64 s7, -1, v15
	v_cndmask_b32_e64 v19, -1, 0xffff8000, s7
	v_cmp_lt_i16_e64 s7, -1, v16
	s_delay_alu instid0(VALU_DEP_2) | instskip(NEXT) | instid1(VALU_DEP_2)
	v_xor_b32_e32 v15, v19, v15
	v_cndmask_b32_e64 v20, -1, 0xffff8000, s7
	s_delay_alu instid0(VALU_DEP_1) | instskip(SKIP_1) | instid1(VALU_DEP_2)
	v_xor_b32_e32 v16, v20, v16
	v_dual_mov_b32 v20, v18 :: v_dual_mov_b32 v19, v17
	v_cmpx_gt_u16_e64 v15, v16
; %bb.59:
	v_dual_mov_b32 v19, v21 :: v_dual_mov_b32 v20, v22
	v_dual_mov_b32 v22, v18 :: v_dual_mov_b32 v21, v17
	v_mov_b32_e32 v53, v39
	v_mov_b32_e32 v39, v52
; %bb.60:
	s_or_b32 exec_lo, exec_lo, s9
	v_add_f16_e32 v15, 0, v50
	v_add_f16_e32 v16, 0, v37
	v_mov_b32_e32 v51, v50
	s_mov_b32 s9, exec_lo
	s_delay_alu instid0(VALU_DEP_3) | instskip(NEXT) | instid1(VALU_DEP_1)
	v_cmp_lt_i16_e64 s7, -1, v15
	v_cndmask_b32_e64 v17, -1, 0xffff8000, s7
	v_cmp_lt_i16_e64 s7, -1, v16
	s_delay_alu instid0(VALU_DEP_2) | instskip(NEXT) | instid1(VALU_DEP_2)
	v_xor_b32_e32 v17, v17, v15
	v_cndmask_b32_e64 v18, -1, 0xffff8000, s7
	s_delay_alu instid0(VALU_DEP_1) | instskip(SKIP_1) | instid1(VALU_DEP_2)
	v_xor_b32_e32 v18, v18, v16
	v_dual_mov_b32 v16, v14 :: v_dual_mov_b32 v15, v13
	v_cmpx_gt_u16_e64 v17, v18
; %bb.61:
	v_dual_mov_b32 v16, v9 :: v_dual_mov_b32 v15, v8
	v_dual_mov_b32 v8, v13 :: v_dual_mov_b32 v9, v14
	v_mov_b32_e32 v51, v37
	v_mov_b32_e32 v37, v50
; %bb.62:
	s_or_b32 exec_lo, exec_lo, s9
	v_add_f16_e32 v13, 0, v48
	v_add_f16_e32 v14, 0, v31
	v_dual_mov_b32 v50, v31 :: v_dual_mov_b32 v27, v29
	v_mov_b32_e32 v28, v30
	s_delay_alu instid0(VALU_DEP_4) | instskip(SKIP_1) | instid1(VALU_DEP_1)
	v_cmp_lt_i16_e64 s7, -1, v13
	s_mov_b32 s9, exec_lo
	v_cndmask_b32_e64 v17, -1, 0xffff8000, s7
	v_cmp_lt_i16_e64 s7, -1, v14
	s_delay_alu instid0(VALU_DEP_2) | instskip(NEXT) | instid1(VALU_DEP_2)
	v_xor_b32_e32 v13, v17, v13
	v_cndmask_b32_e64 v18, -1, 0xffff8000, s7
	s_delay_alu instid0(VALU_DEP_1) | instskip(NEXT) | instid1(VALU_DEP_1)
	v_xor_b32_e32 v14, v18, v14
	v_cmpx_gt_u16_e64 v13, v14
; %bb.63:
	v_mov_b32_e32 v28, v24
	v_dual_mov_b32 v50, v48 :: v_dual_mov_b32 v27, v23
	v_dual_mov_b32 v48, v31 :: v_dual_mov_b32 v23, v29
	v_mov_b32_e32 v24, v30
; %bb.64:
	s_or_b32 exec_lo, exec_lo, s9
	v_add_f16_e32 v13, 0, v38
	v_add_f16_e32 v14, 0, v53
	v_mov_b32_e32 v29, v38
	s_delay_alu instid0(VALU_DEP_3) | instskip(NEXT) | instid1(VALU_DEP_1)
	v_cmp_lt_i16_e64 s7, -1, v13
	v_cndmask_b32_e64 v17, -1, 0xffff8000, s7
	s_delay_alu instid0(VALU_DEP_4) | instskip(NEXT) | instid1(VALU_DEP_2)
	v_cmp_lt_i16_e64 s7, -1, v14
	v_xor_b32_e32 v13, v17, v13
	s_delay_alu instid0(VALU_DEP_2) | instskip(NEXT) | instid1(VALU_DEP_1)
	v_cndmask_b32_e64 v18, -1, 0xffff8000, s7
	v_xor_b32_e32 v14, v18, v14
	s_delay_alu instid0(VALU_DEP_1) | instskip(SKIP_1) | instid1(VALU_DEP_2)
	v_cmp_gt_u16_e64 s7, v13, v14
	v_dual_mov_b32 v13, v21 :: v_dual_mov_b32 v14, v22
	s_and_saveexec_b32 s9, s7
; %bb.65:
	v_mov_b32_e32 v13, v25
	v_dual_mov_b32 v29, v53 :: v_dual_mov_b32 v14, v26
	v_dual_mov_b32 v26, v22 :: v_dual_mov_b32 v25, v21
	v_mov_b32_e32 v53, v38
; %bb.66:
	s_or_b32 exec_lo, exec_lo, s9
	v_add_f16_e32 v17, 0, v39
	v_add_f16_e32 v18, 0, v51
	v_mov_b32_e32 v38, v39
	s_mov_b32 s9, exec_lo
	s_delay_alu instid0(VALU_DEP_3) | instskip(NEXT) | instid1(VALU_DEP_1)
	v_cmp_lt_i16_e64 s7, -1, v17
	v_cndmask_b32_e64 v21, -1, 0xffff8000, s7
	v_cmp_lt_i16_e64 s7, -1, v18
	s_delay_alu instid0(VALU_DEP_2) | instskip(NEXT) | instid1(VALU_DEP_2)
	v_xor_b32_e32 v17, v21, v17
	v_cndmask_b32_e64 v22, -1, 0xffff8000, s7
	s_delay_alu instid0(VALU_DEP_1) | instskip(SKIP_1) | instid1(VALU_DEP_2)
	v_xor_b32_e32 v18, v22, v18
	v_dual_mov_b32 v22, v9 :: v_dual_mov_b32 v21, v8
	v_cmpx_gt_u16_e64 v17, v18
; %bb.67:
	v_dual_mov_b32 v22, v20 :: v_dual_mov_b32 v21, v19
	v_dual_mov_b32 v20, v9 :: v_dual_mov_b32 v19, v8
	v_mov_b32_e32 v38, v51
	v_mov_b32_e32 v51, v39
; %bb.68:
	s_or_b32 exec_lo, exec_lo, s9
	v_add_f16_e32 v8, 0, v36
	v_add_f16_e32 v9, 0, v48
	v_mov_b32_e32 v39, v48
	s_delay_alu instid0(VALU_DEP_3) | instskip(NEXT) | instid1(VALU_DEP_1)
	v_cmp_lt_i16_e64 s7, -1, v8
	v_cndmask_b32_e64 v17, -1, 0xffff8000, s7
	s_delay_alu instid0(VALU_DEP_4) | instskip(NEXT) | instid1(VALU_DEP_2)
	v_cmp_lt_i16_e64 s7, -1, v9
	v_xor_b32_e32 v8, v17, v8
	s_delay_alu instid0(VALU_DEP_2) | instskip(NEXT) | instid1(VALU_DEP_1)
	v_cndmask_b32_e64 v18, -1, 0xffff8000, s7
	v_xor_b32_e32 v9, v18, v9
	s_delay_alu instid0(VALU_DEP_1) | instskip(SKIP_1) | instid1(VALU_DEP_2)
	v_cmp_gt_u16_e64 s7, v8, v9
	v_dual_mov_b32 v8, v23 :: v_dual_mov_b32 v9, v24
	s_and_saveexec_b32 s9, s7
; %bb.69:
	v_mov_b32_e32 v39, v36
	v_dual_mov_b32 v36, v48 :: v_dual_mov_b32 v9, v5
	v_mov_b32_e32 v8, v4
	v_dual_mov_b32 v4, v23 :: v_dual_mov_b32 v5, v24
; %bb.70:
	s_or_b32 exec_lo, exec_lo, s9
	v_add_f16_e32 v17, 0, v50
	v_add_f16_e32 v18, 0, v29
	s_delay_alu instid0(VALU_DEP_2) | instskip(NEXT) | instid1(VALU_DEP_1)
	v_cmp_lt_i16_e64 s7, -1, v17
	v_cndmask_b32_e64 v23, -1, 0xffff8000, s7
	s_delay_alu instid0(VALU_DEP_3) | instskip(NEXT) | instid1(VALU_DEP_2)
	v_cmp_lt_i16_e64 s7, -1, v18
	v_xor_b32_e32 v17, v23, v17
	s_delay_alu instid0(VALU_DEP_2) | instskip(SKIP_1) | instid1(VALU_DEP_2)
	v_cndmask_b32_e64 v24, -1, 0xffff8000, s7
	v_mov_b32_e32 v23, v29
	v_xor_b32_e32 v18, v24, v18
	s_delay_alu instid0(VALU_DEP_1) | instskip(SKIP_1) | instid1(VALU_DEP_2)
	v_cmp_gt_u16_e64 s7, v17, v18
	v_dual_mov_b32 v17, v25 :: v_dual_mov_b32 v18, v26
	s_and_saveexec_b32 s9, s7
; %bb.71:
	v_dual_mov_b32 v23, v50 :: v_dual_mov_b32 v50, v29
	v_dual_mov_b32 v17, v27 :: v_dual_mov_b32 v18, v28
	;; [unrolled: 1-line block ×3, first 2 shown]
; %bb.72:
	s_or_b32 exec_lo, exec_lo, s9
	v_add_f16_e32 v24, 0, v53
	v_add_f16_e32 v25, 0, v38
	v_mov_b32_e32 v49, v53
	s_mov_b32 s9, exec_lo
	s_delay_alu instid0(VALU_DEP_3) | instskip(NEXT) | instid1(VALU_DEP_1)
	v_cmp_lt_i16_e64 s7, -1, v24
	v_cndmask_b32_e64 v26, -1, 0xffff8000, s7
	v_cmp_lt_i16_e64 s7, -1, v25
	s_delay_alu instid0(VALU_DEP_2) | instskip(NEXT) | instid1(VALU_DEP_2)
	v_xor_b32_e32 v24, v26, v24
	v_cndmask_b32_e64 v29, -1, 0xffff8000, s7
	s_delay_alu instid0(VALU_DEP_1) | instskip(SKIP_1) | instid1(VALU_DEP_2)
	v_xor_b32_e32 v25, v29, v25
	v_dual_mov_b32 v30, v20 :: v_dual_mov_b32 v29, v19
	v_cmpx_gt_u16_e64 v24, v25
; %bb.73:
	v_dual_mov_b32 v30, v14 :: v_dual_mov_b32 v29, v13
	v_dual_mov_b32 v13, v19 :: v_dual_mov_b32 v14, v20
	v_dual_mov_b32 v49, v38 :: v_dual_mov_b32 v38, v53
; %bb.74:
	s_or_b32 exec_lo, exec_lo, s9
	v_add_f16_e32 v19, 0, v51
	v_add_f16_e32 v20, 0, v37
	v_mov_b32_e32 v31, v51
	s_mov_b32 s9, exec_lo
	s_delay_alu instid0(VALU_DEP_3) | instskip(NEXT) | instid1(VALU_DEP_1)
	v_cmp_lt_i16_e64 s7, -1, v19
	v_cndmask_b32_e64 v24, -1, 0xffff8000, s7
	v_cmp_lt_i16_e64 s7, -1, v20
	s_delay_alu instid0(VALU_DEP_2) | instskip(NEXT) | instid1(VALU_DEP_2)
	v_xor_b32_e32 v19, v24, v19
	v_cndmask_b32_e64 v25, -1, 0xffff8000, s7
	s_delay_alu instid0(VALU_DEP_1) | instskip(SKIP_1) | instid1(VALU_DEP_2)
	v_xor_b32_e32 v20, v25, v20
	v_dual_mov_b32 v26, v16 :: v_dual_mov_b32 v25, v15
	v_cmpx_gt_u16_e64 v19, v20
; %bb.75:
	v_dual_mov_b32 v26, v22 :: v_dual_mov_b32 v25, v21
	v_dual_mov_b32 v22, v16 :: v_dual_mov_b32 v21, v15
	v_mov_b32_e32 v31, v37
	v_mov_b32_e32 v37, v51
; %bb.76:
	s_or_b32 exec_lo, exec_lo, s9
	v_add_f16_e32 v15, 0, v39
	v_add_f16_e32 v16, 0, v50
	v_mov_b32_e32 v48, v50
	s_delay_alu instid0(VALU_DEP_3) | instskip(NEXT) | instid1(VALU_DEP_1)
	v_cmp_lt_i16_e64 s7, -1, v15
	v_cndmask_b32_e64 v19, -1, 0xffff8000, s7
	s_delay_alu instid0(VALU_DEP_4) | instskip(NEXT) | instid1(VALU_DEP_2)
	v_cmp_lt_i16_e64 s7, -1, v16
	v_xor_b32_e32 v15, v19, v15
	s_delay_alu instid0(VALU_DEP_2) | instskip(NEXT) | instid1(VALU_DEP_1)
	v_cndmask_b32_e64 v20, -1, 0xffff8000, s7
	v_xor_b32_e32 v16, v20, v16
	s_delay_alu instid0(VALU_DEP_1) | instskip(SKIP_1) | instid1(VALU_DEP_2)
	v_cmp_gt_u16_e64 s7, v15, v16
	v_dual_mov_b32 v15, v27 :: v_dual_mov_b32 v16, v28
	s_and_saveexec_b32 s9, s7
; %bb.77:
	v_dual_mov_b32 v48, v39 :: v_dual_mov_b32 v39, v50
	v_dual_mov_b32 v16, v9 :: v_dual_mov_b32 v15, v8
	;; [unrolled: 1-line block ×3, first 2 shown]
; %bb.78:
	s_or_b32 exec_lo, exec_lo, s9
	v_add_f16_e32 v19, 0, v23
	v_add_f16_e32 v20, 0, v49
	v_mov_b32_e32 v51, v23
	s_delay_alu instid0(VALU_DEP_3) | instskip(NEXT) | instid1(VALU_DEP_1)
	v_cmp_lt_i16_e64 s7, -1, v19
	v_cndmask_b32_e64 v24, -1, 0xffff8000, s7
	s_delay_alu instid0(VALU_DEP_4) | instskip(NEXT) | instid1(VALU_DEP_2)
	v_cmp_lt_i16_e64 s7, -1, v20
	v_xor_b32_e32 v19, v24, v19
	s_delay_alu instid0(VALU_DEP_2) | instskip(NEXT) | instid1(VALU_DEP_1)
	v_cndmask_b32_e64 v27, -1, 0xffff8000, s7
	v_xor_b32_e32 v20, v27, v20
	s_delay_alu instid0(VALU_DEP_1) | instskip(SKIP_1) | instid1(VALU_DEP_2)
	v_cmp_gt_u16_e64 s7, v19, v20
	v_dual_mov_b32 v20, v14 :: v_dual_mov_b32 v19, v13
	s_and_saveexec_b32 s9, s7
; %bb.79:
	v_dual_mov_b32 v51, v49 :: v_dual_mov_b32 v20, v18
	v_dual_mov_b32 v19, v17 :: v_dual_mov_b32 v18, v14
	v_mov_b32_e32 v17, v13
	v_mov_b32_e32 v49, v23
; %bb.80:
	s_or_b32 exec_lo, exec_lo, s9
	v_add_f16_e32 v13, 0, v38
	v_add_f16_e32 v14, 0, v31
	v_mov_b32_e32 v50, v31
	s_mov_b32 s9, exec_lo
	s_delay_alu instid0(VALU_DEP_3) | instskip(NEXT) | instid1(VALU_DEP_1)
	v_cmp_lt_i16_e64 s7, -1, v13
	v_cndmask_b32_e64 v23, -1, 0xffff8000, s7
	v_cmp_lt_i16_e64 s7, -1, v14
	s_delay_alu instid0(VALU_DEP_2) | instskip(NEXT) | instid1(VALU_DEP_2)
	v_xor_b32_e32 v13, v23, v13
	v_cndmask_b32_e64 v24, -1, 0xffff8000, s7
	s_delay_alu instid0(VALU_DEP_1) | instskip(SKIP_1) | instid1(VALU_DEP_2)
	v_xor_b32_e32 v14, v24, v14
	v_dual_mov_b32 v23, v29 :: v_dual_mov_b32 v24, v30
	v_cmpx_gt_u16_e64 v13, v14
; %bb.81:
	v_mov_b32_e32 v24, v22
	v_dual_mov_b32 v50, v38 :: v_dual_mov_b32 v23, v21
	v_dual_mov_b32 v38, v31 :: v_dual_mov_b32 v21, v29
	v_mov_b32_e32 v22, v30
; %bb.82:
	s_or_b32 exec_lo, exec_lo, s9
.LBB1859_83:
	s_delay_alu instid0(SALU_CYCLE_1) | instskip(SKIP_4) | instid1(VALU_DEP_3)
	s_or_b32 exec_lo, exec_lo, s8
	v_and_b32_e32 v28, 0xffffff00, v10
	v_or_b32_e32 v29, 8, v35
	v_and_b32_e32 v54, 0xf0, v35
	s_mov_b32 s8, exec_lo
	v_sub_nc_u32_e64 v27, 0x800, v28 clamp
	v_lshlrev_b32_e32 v10, 1, v28
	s_delay_alu instid0(VALU_DEP_2) | instskip(SKIP_1) | instid1(VALU_DEP_3)
	v_min_u32_e32 v30, v27, v29
	v_and_b32_e32 v29, 8, v35
	v_mad_u64_u32 v[13:14], null, v28, 6, v[10:11]
	v_lshl_or_b32 v14, v35, 1, v10
	s_delay_alu instid0(VALU_DEP_4) | instskip(NEXT) | instid1(VALU_DEP_4)
	v_add_nc_u32_e32 v31, 8, v30
	v_min_u32_e32 v55, v27, v29
	v_sub_nc_u32_e32 v29, v30, v54
	v_lshl_or_b32 v53, v54, 1, v10
	ds_store_b16 v14, v36
	v_min_u32_e32 v31, v27, v31
	v_lshl_add_u32 v28, v35, 3, v13
	v_min_u32_e32 v29, v55, v29
	ds_store_b64 v28, v[4:5] offset:4096
	ds_store_b16 v14, v39 offset:2
	ds_store_b64 v28, v[8:9] offset:4104
	ds_store_b16 v14, v48 offset:4
	;; [unrolled: 2-line block ×3, first 2 shown]
	v_sub_nc_u32_e32 v52, v31, v30
	ds_store_b64 v28, v[17:18] offset:4120
	ds_store_b16 v14, v49 offset:8
	ds_store_b64 v28, v[19:20] offset:4128
	ds_store_b16 v14, v38 offset:10
	ds_store_b64 v28, v[23:24] offset:4136
	ds_store_b16 v14, v50 offset:12
	ds_store_b64 v28, v[21:22] offset:4144
	ds_store_b16 v14, v37 offset:14
	ds_store_b64 v28, v[25:26] offset:4152
	v_sub_nc_u32_e64 v52, v55, v52 clamp
	; wave barrier
	s_delay_alu instid0(VALU_DEP_1)
	v_cmpx_lt_u32_e64 v52, v29
	s_cbranch_execz .LBB1859_87
; %bb.84:
	v_lshlrev_b32_e32 v64, 1, v30
	v_lshlrev_b32_e32 v65, 1, v55
	s_mov_b32 s9, 0
	s_delay_alu instid0(VALU_DEP_1)
	v_add3_u32 v64, v10, v64, v65
	s_set_inst_prefetch_distance 0x1
	.p2align	6
.LBB1859_85:                            ; =>This Inner Loop Header: Depth=1
	v_add_nc_u32_e32 v65, v29, v52
	s_delay_alu instid0(VALU_DEP_1) | instskip(SKIP_1) | instid1(VALU_DEP_2)
	v_lshrrev_b32_e32 v66, 1, v65
	v_and_b32_e32 v65, -2, v65
	v_not_b32_e32 v67, v66
	s_delay_alu instid0(VALU_DEP_2) | instskip(NEXT) | instid1(VALU_DEP_2)
	v_add_nc_u32_e32 v65, v53, v65
	v_lshl_add_u32 v67, v67, 1, v64
	ds_load_u16 v65, v65
	ds_load_u16 v67, v67
	s_waitcnt lgkmcnt(1)
	v_add_f16_e32 v65, 0, v65
	s_waitcnt lgkmcnt(0)
	v_add_f16_e32 v67, 0, v67
	s_delay_alu instid0(VALU_DEP_2) | instskip(NEXT) | instid1(VALU_DEP_1)
	v_cmp_lt_i16_e64 s7, -1, v65
	v_cndmask_b32_e64 v68, -1, 0xffff8000, s7
	s_delay_alu instid0(VALU_DEP_3) | instskip(NEXT) | instid1(VALU_DEP_2)
	v_cmp_lt_i16_e64 s7, -1, v67
	v_xor_b32_e32 v65, v68, v65
	s_delay_alu instid0(VALU_DEP_2) | instskip(SKIP_1) | instid1(VALU_DEP_2)
	v_cndmask_b32_e64 v69, -1, 0xffff8000, s7
	v_add_nc_u32_e32 v68, 1, v66
	v_xor_b32_e32 v67, v69, v67
	s_delay_alu instid0(VALU_DEP_1) | instskip(NEXT) | instid1(VALU_DEP_1)
	v_cmp_gt_u16_e64 s7, v65, v67
	v_cndmask_b32_e64 v29, v29, v66, s7
	s_delay_alu instid0(VALU_DEP_4) | instskip(NEXT) | instid1(VALU_DEP_1)
	v_cndmask_b32_e64 v52, v68, v52, s7
	v_cmp_ge_u32_e64 s7, v52, v29
	s_delay_alu instid0(VALU_DEP_1) | instskip(NEXT) | instid1(SALU_CYCLE_1)
	s_or_b32 s9, s7, s9
	s_and_not1_b32 exec_lo, exec_lo, s9
	s_cbranch_execnz .LBB1859_85
; %bb.86:
	s_set_inst_prefetch_distance 0x2
	s_or_b32 exec_lo, exec_lo, s9
.LBB1859_87:
	s_delay_alu instid0(SALU_CYCLE_1) | instskip(SKIP_3) | instid1(VALU_DEP_3)
	s_or_b32 exec_lo, exec_lo, s8
	v_add_nc_u32_e32 v55, v30, v55
	v_add_nc_u32_e32 v54, v52, v54
	;; [unrolled: 1-line block ×3, first 2 shown]
	v_sub_nc_u32_e32 v55, v55, v52
	s_delay_alu instid0(VALU_DEP_3) | instskip(NEXT) | instid1(VALU_DEP_2)
	v_cmp_le_u32_e64 s7, v54, v30
	v_cmp_le_u32_e64 s8, v55, v31
	s_delay_alu instid0(VALU_DEP_1) | instskip(NEXT) | instid1(SALU_CYCLE_1)
	s_or_b32 s7, s7, s8
	s_and_saveexec_b32 s9, s7
	s_cbranch_execz .LBB1859_123
; %bb.88:
	v_cmp_ge_u32_e64 s7, v54, v30
	s_mov_b32 s10, exec_lo
                                        ; implicit-def: $vgpr36
	v_cmpx_lt_u32_e64 v54, v30
	s_cbranch_execz .LBB1859_90
; %bb.89:
	v_lshl_add_u32 v4, v52, 1, v53
	ds_load_u16 v36, v4
.LBB1859_90:
	s_or_b32 exec_lo, exec_lo, s10
	v_cmp_ge_u32_e64 s10, v55, v31
	s_mov_b32 s11, exec_lo
                                        ; implicit-def: $vgpr37
	v_cmpx_lt_u32_e64 v55, v31
	s_cbranch_execz .LBB1859_92
; %bb.91:
	v_lshl_add_u32 v4, v55, 1, v10
	ds_load_u16 v37, v4
.LBB1859_92:
	s_or_b32 exec_lo, exec_lo, s11
	s_or_b32 s7, s7, s10
	s_mov_b32 s8, -1
	s_xor_b32 s7, s7, -1
	s_delay_alu instid0(SALU_CYCLE_1)
	s_and_saveexec_b32 s11, s7
	s_cbranch_execz .LBB1859_94
; %bb.93:
	s_waitcnt lgkmcnt(0)
	v_add_f16_e32 v4, 0, v36
	v_add_f16_e32 v5, 0, v37
	s_and_not1_b32 s10, s10, exec_lo
	s_delay_alu instid0(VALU_DEP_2) | instskip(NEXT) | instid1(VALU_DEP_1)
	v_cmp_lt_i16_e64 s7, -1, v4
	v_cndmask_b32_e64 v8, -1, 0xffff8000, s7
	s_delay_alu instid0(VALU_DEP_3) | instskip(NEXT) | instid1(VALU_DEP_2)
	v_cmp_lt_i16_e64 s7, -1, v5
	v_xor_b32_e32 v4, v8, v4
	s_delay_alu instid0(VALU_DEP_2) | instskip(NEXT) | instid1(VALU_DEP_1)
	v_cndmask_b32_e64 v9, -1, 0xffff8000, s7
	v_xor_b32_e32 v5, v9, v5
	s_delay_alu instid0(VALU_DEP_1) | instskip(NEXT) | instid1(VALU_DEP_1)
	v_cmp_le_u16_e64 s7, v4, v5
	s_and_b32 s7, s7, exec_lo
	s_delay_alu instid0(SALU_CYCLE_1)
	s_or_b32 s10, s10, s7
.LBB1859_94:
	s_or_b32 exec_lo, exec_lo, s11
	v_cndmask_b32_e64 v4, v55, v54, s10
	v_cndmask_b32_e64 v5, v31, v30, s10
	s_mov_b32 s11, exec_lo
	s_delay_alu instid0(VALU_DEP_2) | instskip(NEXT) | instid1(VALU_DEP_2)
	v_add_nc_u32_e32 v8, 1, v4
	v_add_nc_u32_e32 v5, -1, v5
	v_lshl_add_u32 v4, v4, 3, v13
	s_delay_alu instid0(VALU_DEP_3) | instskip(NEXT) | instid1(VALU_DEP_3)
	v_cndmask_b32_e64 v15, v8, v55, s10
	v_min_u32_e32 v5, v8, v5
	v_cndmask_b32_e64 v16, v54, v8, s10
	s_delay_alu instid0(VALU_DEP_2)
	v_lshl_add_u32 v5, v5, 1, v10
	ds_load_u16 v9, v5
	ds_load_b64 v[4:5], v4 offset:4096
	s_waitcnt lgkmcnt(1)
	v_cndmask_b32_e64 v39, v9, v37, s10
	v_cndmask_b32_e64 v52, v36, v9, s10
	v_cmpx_lt_u32_e64 v15, v31
	s_cbranch_execz .LBB1859_98
; %bb.95:
	s_mov_b32 s12, 0
	s_mov_b32 s8, exec_lo
	v_cmpx_lt_u32_e64 v16, v30
; %bb.96:
	v_add_f16_e32 v8, 0, v52
	v_add_f16_e32 v9, 0, v39
	s_delay_alu instid0(VALU_DEP_2) | instskip(NEXT) | instid1(VALU_DEP_1)
	v_cmp_lt_i16_e64 s7, -1, v8
	v_cndmask_b32_e64 v17, -1, 0xffff8000, s7
	s_delay_alu instid0(VALU_DEP_3) | instskip(NEXT) | instid1(VALU_DEP_2)
	v_cmp_lt_i16_e64 s7, -1, v9
	v_xor_b32_e32 v8, v17, v8
	s_delay_alu instid0(VALU_DEP_2) | instskip(NEXT) | instid1(VALU_DEP_1)
	v_cndmask_b32_e64 v18, -1, 0xffff8000, s7
	v_xor_b32_e32 v9, v18, v9
	s_delay_alu instid0(VALU_DEP_1) | instskip(NEXT) | instid1(VALU_DEP_1)
	v_cmp_le_u16_e64 s7, v8, v9
	s_and_b32 s12, s7, exec_lo
; %bb.97:
	s_or_b32 exec_lo, exec_lo, s8
	s_delay_alu instid0(SALU_CYCLE_1)
	s_or_not1_b32 s8, s12, exec_lo
.LBB1859_98:
	s_or_b32 exec_lo, exec_lo, s11
	v_cndmask_b32_e64 v8, v15, v16, s8
	v_cndmask_b32_e64 v9, v31, v30, s8
	s_mov_b32 s12, -1
	s_mov_b32 s11, -1
	s_mov_b32 s13, exec_lo
	v_add_nc_u32_e32 v18, 1, v8
	v_add_nc_u32_e32 v9, -1, v9
	v_lshl_add_u32 v8, v8, 3, v13
	s_delay_alu instid0(VALU_DEP_3) | instskip(NEXT) | instid1(VALU_DEP_3)
	v_cndmask_b32_e64 v17, v18, v15, s8
	v_min_u32_e32 v9, v18, v9
	v_cndmask_b32_e64 v18, v16, v18, s8
	s_delay_alu instid0(VALU_DEP_2)
	v_lshl_add_u32 v9, v9, 1, v10
	ds_load_u16 v19, v9
	ds_load_b64 v[8:9], v8 offset:4096
	s_waitcnt lgkmcnt(1)
	v_cndmask_b32_e64 v48, v19, v39, s8
	v_cndmask_b32_e64 v53, v52, v19, s8
	v_cmpx_lt_u32_e64 v17, v31
	s_cbranch_execz .LBB1859_102
; %bb.99:
	s_mov_b32 s14, 0
	s_mov_b32 s11, exec_lo
	v_cmpx_lt_u32_e64 v18, v30
; %bb.100:
	v_add_f16_e32 v15, 0, v53
	v_add_f16_e32 v16, 0, v48
	s_delay_alu instid0(VALU_DEP_2) | instskip(NEXT) | instid1(VALU_DEP_1)
	v_cmp_lt_i16_e64 s7, -1, v15
	v_cndmask_b32_e64 v19, -1, 0xffff8000, s7
	s_delay_alu instid0(VALU_DEP_3) | instskip(NEXT) | instid1(VALU_DEP_2)
	v_cmp_lt_i16_e64 s7, -1, v16
	v_xor_b32_e32 v15, v19, v15
	s_delay_alu instid0(VALU_DEP_2) | instskip(NEXT) | instid1(VALU_DEP_1)
	v_cndmask_b32_e64 v20, -1, 0xffff8000, s7
	v_xor_b32_e32 v16, v20, v16
	s_delay_alu instid0(VALU_DEP_1) | instskip(NEXT) | instid1(VALU_DEP_1)
	v_cmp_le_u16_e64 s7, v15, v16
	s_and_b32 s14, s7, exec_lo
; %bb.101:
	s_or_b32 exec_lo, exec_lo, s11
	s_delay_alu instid0(SALU_CYCLE_1)
	s_or_not1_b32 s11, s14, exec_lo
.LBB1859_102:
	s_or_b32 exec_lo, exec_lo, s13
	v_cndmask_b32_e64 v15, v17, v18, s11
	v_cndmask_b32_e64 v16, v31, v30, s11
	s_mov_b32 s13, exec_lo
	s_delay_alu instid0(VALU_DEP_2) | instskip(NEXT) | instid1(VALU_DEP_2)
	v_add_nc_u32_e32 v20, 1, v15
	v_add_nc_u32_e32 v16, -1, v16
	v_lshl_add_u32 v15, v15, 3, v13
	s_delay_alu instid0(VALU_DEP_3) | instskip(NEXT) | instid1(VALU_DEP_3)
	v_cndmask_b32_e64 v19, v20, v17, s11
	v_min_u32_e32 v16, v20, v16
	v_cndmask_b32_e64 v20, v18, v20, s11
	s_delay_alu instid0(VALU_DEP_2)
	v_lshl_add_u32 v16, v16, 1, v10
	ds_load_u16 v21, v16
	ds_load_b64 v[15:16], v15 offset:4096
	s_waitcnt lgkmcnt(1)
	v_cndmask_b32_e64 v51, v21, v48, s11
	v_cndmask_b32_e64 v54, v53, v21, s11
	v_cmpx_lt_u32_e64 v19, v31
	s_cbranch_execz .LBB1859_106
; %bb.103:
	s_mov_b32 s14, 0
	s_mov_b32 s12, exec_lo
	v_cmpx_lt_u32_e64 v20, v30
; %bb.104:
	v_add_f16_e32 v17, 0, v54
	v_add_f16_e32 v18, 0, v51
	s_delay_alu instid0(VALU_DEP_2) | instskip(NEXT) | instid1(VALU_DEP_1)
	v_cmp_lt_i16_e64 s7, -1, v17
	v_cndmask_b32_e64 v21, -1, 0xffff8000, s7
	s_delay_alu instid0(VALU_DEP_3) | instskip(NEXT) | instid1(VALU_DEP_2)
	v_cmp_lt_i16_e64 s7, -1, v18
	v_xor_b32_e32 v17, v21, v17
	s_delay_alu instid0(VALU_DEP_2) | instskip(NEXT) | instid1(VALU_DEP_1)
	v_cndmask_b32_e64 v22, -1, 0xffff8000, s7
	v_xor_b32_e32 v18, v22, v18
	s_delay_alu instid0(VALU_DEP_1) | instskip(NEXT) | instid1(VALU_DEP_1)
	v_cmp_le_u16_e64 s7, v17, v18
	s_and_b32 s14, s7, exec_lo
; %bb.105:
	s_or_b32 exec_lo, exec_lo, s12
	s_delay_alu instid0(SALU_CYCLE_1)
	s_or_not1_b32 s12, s14, exec_lo
.LBB1859_106:
	s_or_b32 exec_lo, exec_lo, s13
	v_cndmask_b32_e64 v17, v19, v20, s12
	v_cndmask_b32_e64 v18, v31, v30, s12
	s_mov_b32 s14, -1
	s_mov_b32 s13, -1
	s_mov_b32 s15, exec_lo
	v_add_nc_u32_e32 v22, 1, v17
	v_add_nc_u32_e32 v18, -1, v18
	v_lshl_add_u32 v17, v17, 3, v13
	s_delay_alu instid0(VALU_DEP_3) | instskip(NEXT) | instid1(VALU_DEP_3)
	v_cndmask_b32_e64 v21, v22, v19, s12
	v_min_u32_e32 v18, v22, v18
	v_cndmask_b32_e64 v22, v20, v22, s12
	s_delay_alu instid0(VALU_DEP_2)
	v_lshl_add_u32 v18, v18, 1, v10
	ds_load_u16 v23, v18
	ds_load_b64 v[17:18], v17 offset:4096
	s_waitcnt lgkmcnt(1)
	v_cndmask_b32_e64 v49, v23, v51, s12
	v_cndmask_b32_e64 v55, v54, v23, s12
	v_cmpx_lt_u32_e64 v21, v31
	s_cbranch_execz .LBB1859_110
; %bb.107:
	s_mov_b32 s16, 0
	s_mov_b32 s13, exec_lo
	v_cmpx_lt_u32_e64 v22, v30
; %bb.108:
	v_add_f16_e32 v19, 0, v55
	v_add_f16_e32 v20, 0, v49
	s_delay_alu instid0(VALU_DEP_2) | instskip(NEXT) | instid1(VALU_DEP_1)
	v_cmp_lt_i16_e64 s7, -1, v19
	v_cndmask_b32_e64 v23, -1, 0xffff8000, s7
	s_delay_alu instid0(VALU_DEP_3) | instskip(NEXT) | instid1(VALU_DEP_2)
	v_cmp_lt_i16_e64 s7, -1, v20
	v_xor_b32_e32 v19, v23, v19
	s_delay_alu instid0(VALU_DEP_2) | instskip(NEXT) | instid1(VALU_DEP_1)
	v_cndmask_b32_e64 v24, -1, 0xffff8000, s7
	v_xor_b32_e32 v20, v24, v20
	s_delay_alu instid0(VALU_DEP_1) | instskip(NEXT) | instid1(VALU_DEP_1)
	v_cmp_le_u16_e64 s7, v19, v20
	s_and_b32 s16, s7, exec_lo
; %bb.109:
	s_or_b32 exec_lo, exec_lo, s13
	s_delay_alu instid0(SALU_CYCLE_1)
	s_or_not1_b32 s13, s16, exec_lo
.LBB1859_110:
	s_or_b32 exec_lo, exec_lo, s15
	v_cndmask_b32_e64 v19, v21, v22, s13
	v_cndmask_b32_e64 v20, v31, v30, s13
	s_mov_b32 s15, exec_lo
	s_delay_alu instid0(VALU_DEP_2) | instskip(NEXT) | instid1(VALU_DEP_2)
	v_add_nc_u32_e32 v23, 1, v19
	v_add_nc_u32_e32 v20, -1, v20
	v_lshl_add_u32 v19, v19, 3, v13
	s_delay_alu instid0(VALU_DEP_3) | instskip(NEXT) | instid1(VALU_DEP_3)
	v_cndmask_b32_e64 v21, v23, v21, s13
	v_min_u32_e32 v20, v23, v20
	v_cndmask_b32_e64 v22, v22, v23, s13
	s_delay_alu instid0(VALU_DEP_2)
	v_lshl_add_u32 v20, v20, 1, v10
	ds_load_u16 v24, v20
	ds_load_b64 v[19:20], v19 offset:4096
	s_waitcnt lgkmcnt(1)
	v_cndmask_b32_e64 v38, v24, v49, s13
	v_cndmask_b32_e64 v64, v55, v24, s13
	v_cmpx_lt_u32_e64 v21, v31
	s_cbranch_execz .LBB1859_114
; %bb.111:
	s_mov_b32 s16, 0
	s_mov_b32 s14, exec_lo
	v_cmpx_lt_u32_e64 v22, v30
; %bb.112:
	v_add_f16_e32 v23, 0, v64
	v_add_f16_e32 v24, 0, v38
	s_delay_alu instid0(VALU_DEP_2) | instskip(NEXT) | instid1(VALU_DEP_1)
	v_cmp_lt_i16_e64 s7, -1, v23
	v_cndmask_b32_e64 v25, -1, 0xffff8000, s7
	s_delay_alu instid0(VALU_DEP_3) | instskip(NEXT) | instid1(VALU_DEP_2)
	v_cmp_lt_i16_e64 s7, -1, v24
	v_xor_b32_e32 v23, v25, v23
	s_delay_alu instid0(VALU_DEP_2) | instskip(NEXT) | instid1(VALU_DEP_1)
	v_cndmask_b32_e64 v26, -1, 0xffff8000, s7
	v_xor_b32_e32 v24, v26, v24
	s_delay_alu instid0(VALU_DEP_1) | instskip(NEXT) | instid1(VALU_DEP_1)
	v_cmp_le_u16_e64 s7, v23, v24
	s_and_b32 s16, s7, exec_lo
; %bb.113:
	s_or_b32 exec_lo, exec_lo, s14
	s_delay_alu instid0(SALU_CYCLE_1)
	s_or_not1_b32 s14, s16, exec_lo
.LBB1859_114:
	s_or_b32 exec_lo, exec_lo, s15
	v_cndmask_b32_e64 v23, v21, v22, s14
	v_cndmask_b32_e64 v24, v31, v30, s14
	s_mov_b32 s15, -1
	s_mov_b32 s16, -1
	s_mov_b32 s17, exec_lo
	v_add_nc_u32_e32 v26, 1, v23
	v_add_nc_u32_e32 v24, -1, v24
	v_lshl_add_u32 v23, v23, 3, v13
	s_delay_alu instid0(VALU_DEP_3) | instskip(NEXT) | instid1(VALU_DEP_3)
	v_cndmask_b32_e64 v25, v26, v21, s14
	v_min_u32_e32 v24, v26, v24
	v_cndmask_b32_e64 v26, v22, v26, s14
	s_delay_alu instid0(VALU_DEP_2)
	v_lshl_add_u32 v24, v24, 1, v10
	ds_load_u16 v65, v24
	ds_load_b64 v[23:24], v23 offset:4096
	s_waitcnt lgkmcnt(1)
	v_cndmask_b32_e64 v50, v65, v38, s14
	v_cndmask_b32_e64 v65, v64, v65, s14
	v_cmpx_lt_u32_e64 v25, v31
	s_cbranch_execz .LBB1859_118
; %bb.115:
	s_mov_b32 s18, 0
	s_mov_b32 s16, exec_lo
	v_cmpx_lt_u32_e64 v26, v30
; %bb.116:
	v_add_f16_e32 v21, 0, v65
	v_add_f16_e32 v22, 0, v50
	s_delay_alu instid0(VALU_DEP_2) | instskip(NEXT) | instid1(VALU_DEP_1)
	v_cmp_lt_i16_e64 s7, -1, v21
	v_cndmask_b32_e64 v66, -1, 0xffff8000, s7
	s_delay_alu instid0(VALU_DEP_3) | instskip(NEXT) | instid1(VALU_DEP_2)
	v_cmp_lt_i16_e64 s7, -1, v22
	v_xor_b32_e32 v21, v66, v21
	s_delay_alu instid0(VALU_DEP_2) | instskip(NEXT) | instid1(VALU_DEP_1)
	v_cndmask_b32_e64 v67, -1, 0xffff8000, s7
	v_xor_b32_e32 v22, v67, v22
	s_delay_alu instid0(VALU_DEP_1) | instskip(NEXT) | instid1(VALU_DEP_1)
	v_cmp_le_u16_e64 s7, v21, v22
	s_and_b32 s18, s7, exec_lo
; %bb.117:
	s_or_b32 exec_lo, exec_lo, s16
	s_delay_alu instid0(SALU_CYCLE_1)
	s_or_not1_b32 s16, s18, exec_lo
.LBB1859_118:
	s_or_b32 exec_lo, exec_lo, s17
	v_cndmask_b32_e64 v21, v25, v26, s16
	v_cndmask_b32_e64 v22, v31, v30, s16
	s_mov_b32 s17, exec_lo
	s_delay_alu instid0(VALU_DEP_2) | instskip(NEXT) | instid1(VALU_DEP_2)
	v_add_nc_u32_e32 v66, 1, v21
	v_add_nc_u32_e32 v22, -1, v22
	v_lshl_add_u32 v21, v21, 3, v13
	s_delay_alu instid0(VALU_DEP_3) | instskip(NEXT) | instid1(VALU_DEP_3)
	v_cndmask_b32_e64 v25, v66, v25, s16
	v_min_u32_e32 v22, v66, v22
	v_cndmask_b32_e64 v26, v26, v66, s16
	s_delay_alu instid0(VALU_DEP_2)
	v_lshl_add_u32 v22, v22, 1, v10
	ds_load_u16 v67, v22
	ds_load_b64 v[21:22], v21 offset:4096
	s_waitcnt lgkmcnt(1)
	v_cndmask_b32_e64 v66, v67, v50, s16
	v_cndmask_b32_e64 v67, v65, v67, s16
	v_cmpx_lt_u32_e64 v25, v31
	s_cbranch_execz .LBB1859_122
; %bb.119:
	s_mov_b32 s18, 0
	s_mov_b32 s15, exec_lo
	v_cmpx_lt_u32_e64 v26, v30
; %bb.120:
	v_add_f16_e32 v30, 0, v67
	v_add_f16_e32 v31, 0, v66
	s_delay_alu instid0(VALU_DEP_2) | instskip(NEXT) | instid1(VALU_DEP_1)
	v_cmp_lt_i16_e64 s7, -1, v30
	v_cndmask_b32_e64 v68, -1, 0xffff8000, s7
	s_delay_alu instid0(VALU_DEP_3) | instskip(NEXT) | instid1(VALU_DEP_2)
	v_cmp_lt_i16_e64 s7, -1, v31
	v_xor_b32_e32 v30, v68, v30
	s_delay_alu instid0(VALU_DEP_2) | instskip(NEXT) | instid1(VALU_DEP_1)
	v_cndmask_b32_e64 v69, -1, 0xffff8000, s7
	v_xor_b32_e32 v31, v69, v31
	s_delay_alu instid0(VALU_DEP_1) | instskip(NEXT) | instid1(VALU_DEP_1)
	v_cmp_le_u16_e64 s7, v30, v31
	s_and_b32 s18, s7, exec_lo
; %bb.121:
	s_or_b32 exec_lo, exec_lo, s15
	s_delay_alu instid0(SALU_CYCLE_1)
	s_or_not1_b32 s15, s18, exec_lo
.LBB1859_122:
	s_or_b32 exec_lo, exec_lo, s17
	v_cndmask_b32_e64 v25, v25, v26, s15
	v_cndmask_b32_e64 v50, v50, v65, s16
	;; [unrolled: 1-line block ×5, first 2 shown]
	v_lshl_add_u32 v25, v25, 3, v13
	v_cndmask_b32_e64 v48, v48, v53, s11
	v_cndmask_b32_e64 v39, v39, v52, s8
	;; [unrolled: 1-line block ×4, first 2 shown]
	ds_load_b64 v[25:26], v25 offset:4096
.LBB1859_123:
	s_or_b32 exec_lo, exec_lo, s9
	v_and_b32_e32 v54, 0xe0, v35
	v_and_b32_e32 v52, 24, v35
	s_mov_b32 s8, exec_lo
	; wave barrier
	s_delay_alu instid0(VALU_DEP_2) | instskip(NEXT) | instid1(VALU_DEP_2)
	v_or_b32_e32 v30, 16, v54
	v_min_u32_e32 v55, v27, v52
	ds_store_b16 v14, v36
	ds_store_b64 v28, v[4:5] offset:4096
	ds_store_b16 v14, v39 offset:2
	ds_store_b64 v29, v[8:9] offset:8
	ds_store_b16 v14, v48 offset:4
	;; [unrolled: 2-line block ×3, first 2 shown]
	ds_store_b64 v29, v[17:18] offset:24
	v_min_u32_e32 v30, v27, v30
	ds_store_b16 v14, v49 offset:8
	ds_store_b64 v29, v[19:20] offset:32
	ds_store_b16 v14, v38 offset:10
	ds_store_b64 v29, v[23:24] offset:40
	ds_store_b16 v14, v50 offset:12
	s_waitcnt lgkmcnt(14)
	ds_store_b64 v29, v[21:22] offset:48
	ds_store_b16 v14, v37 offset:14
	s_waitcnt lgkmcnt(15)
	ds_store_b64 v29, v[25:26] offset:56
	v_add_nc_u32_e32 v31, 16, v30
	v_sub_nc_u32_e32 v53, v30, v54
	; wave barrier
	s_delay_alu instid0(VALU_DEP_2) | instskip(NEXT) | instid1(VALU_DEP_2)
	v_min_u32_e32 v31, v27, v31
	v_min_u32_e32 v64, v55, v53
	v_lshl_add_u32 v53, v54, 1, v10
	s_delay_alu instid0(VALU_DEP_3) | instskip(NEXT) | instid1(VALU_DEP_1)
	v_sub_nc_u32_e32 v52, v31, v30
	v_sub_nc_u32_e64 v52, v55, v52 clamp
	s_delay_alu instid0(VALU_DEP_1)
	v_cmpx_lt_u32_e64 v52, v64
	s_cbranch_execz .LBB1859_127
; %bb.124:
	v_lshlrev_b32_e32 v65, 1, v30
	v_lshlrev_b32_e32 v66, 1, v55
	s_mov_b32 s9, 0
	s_delay_alu instid0(VALU_DEP_1)
	v_add3_u32 v65, v10, v65, v66
	s_set_inst_prefetch_distance 0x1
	.p2align	6
.LBB1859_125:                           ; =>This Inner Loop Header: Depth=1
	v_add_nc_u32_e32 v66, v64, v52
	s_delay_alu instid0(VALU_DEP_1) | instskip(SKIP_1) | instid1(VALU_DEP_2)
	v_lshrrev_b32_e32 v67, 1, v66
	v_and_b32_e32 v66, -2, v66
	v_not_b32_e32 v68, v67
	s_delay_alu instid0(VALU_DEP_2) | instskip(NEXT) | instid1(VALU_DEP_2)
	v_add_nc_u32_e32 v66, v53, v66
	v_lshl_add_u32 v68, v68, 1, v65
	ds_load_u16 v66, v66
	ds_load_u16 v68, v68
	s_waitcnt lgkmcnt(1)
	v_add_f16_e32 v66, 0, v66
	s_waitcnt lgkmcnt(0)
	v_add_f16_e32 v68, 0, v68
	s_delay_alu instid0(VALU_DEP_2) | instskip(NEXT) | instid1(VALU_DEP_1)
	v_cmp_lt_i16_e64 s7, -1, v66
	v_cndmask_b32_e64 v69, -1, 0xffff8000, s7
	s_delay_alu instid0(VALU_DEP_3) | instskip(NEXT) | instid1(VALU_DEP_2)
	v_cmp_lt_i16_e64 s7, -1, v68
	v_xor_b32_e32 v66, v69, v66
	s_delay_alu instid0(VALU_DEP_2) | instskip(SKIP_1) | instid1(VALU_DEP_2)
	v_cndmask_b32_e64 v70, -1, 0xffff8000, s7
	v_add_nc_u32_e32 v69, 1, v67
	v_xor_b32_e32 v68, v70, v68
	s_delay_alu instid0(VALU_DEP_1) | instskip(NEXT) | instid1(VALU_DEP_1)
	v_cmp_gt_u16_e64 s7, v66, v68
	v_cndmask_b32_e64 v64, v64, v67, s7
	s_delay_alu instid0(VALU_DEP_4) | instskip(NEXT) | instid1(VALU_DEP_1)
	v_cndmask_b32_e64 v52, v69, v52, s7
	v_cmp_ge_u32_e64 s7, v52, v64
	s_delay_alu instid0(VALU_DEP_1) | instskip(NEXT) | instid1(SALU_CYCLE_1)
	s_or_b32 s9, s7, s9
	s_and_not1_b32 exec_lo, exec_lo, s9
	s_cbranch_execnz .LBB1859_125
; %bb.126:
	s_set_inst_prefetch_distance 0x2
	s_or_b32 exec_lo, exec_lo, s9
.LBB1859_127:
	s_delay_alu instid0(SALU_CYCLE_1) | instskip(SKIP_2) | instid1(VALU_DEP_2)
	s_or_b32 exec_lo, exec_lo, s8
	v_add_nc_u32_e32 v55, v30, v55
	v_add_nc_u32_e32 v54, v52, v54
	v_sub_nc_u32_e32 v55, v55, v52
	s_delay_alu instid0(VALU_DEP_2) | instskip(NEXT) | instid1(VALU_DEP_2)
	v_cmp_le_u32_e64 s7, v54, v30
	v_cmp_le_u32_e64 s8, v55, v31
	s_delay_alu instid0(VALU_DEP_1) | instskip(NEXT) | instid1(SALU_CYCLE_1)
	s_or_b32 s7, s7, s8
	s_and_saveexec_b32 s9, s7
	s_cbranch_execz .LBB1859_163
; %bb.128:
	v_cmp_ge_u32_e64 s7, v54, v30
	s_mov_b32 s10, exec_lo
                                        ; implicit-def: $vgpr36
	v_cmpx_lt_u32_e64 v54, v30
	s_cbranch_execz .LBB1859_130
; %bb.129:
	v_lshl_add_u32 v4, v52, 1, v53
	ds_load_u16 v36, v4
.LBB1859_130:
	s_or_b32 exec_lo, exec_lo, s10
	v_cmp_ge_u32_e64 s10, v55, v31
	s_mov_b32 s11, exec_lo
                                        ; implicit-def: $vgpr37
	v_cmpx_lt_u32_e64 v55, v31
	s_cbranch_execz .LBB1859_132
; %bb.131:
	v_lshl_add_u32 v4, v55, 1, v10
	ds_load_u16 v37, v4
.LBB1859_132:
	s_or_b32 exec_lo, exec_lo, s11
	s_or_b32 s7, s7, s10
	s_mov_b32 s8, -1
	s_xor_b32 s7, s7, -1
	s_delay_alu instid0(SALU_CYCLE_1)
	s_and_saveexec_b32 s11, s7
	s_cbranch_execz .LBB1859_134
; %bb.133:
	s_waitcnt lgkmcnt(0)
	v_add_f16_e32 v4, 0, v36
	v_add_f16_e32 v5, 0, v37
	s_and_not1_b32 s10, s10, exec_lo
	s_delay_alu instid0(VALU_DEP_2) | instskip(NEXT) | instid1(VALU_DEP_1)
	v_cmp_lt_i16_e64 s7, -1, v4
	v_cndmask_b32_e64 v8, -1, 0xffff8000, s7
	s_delay_alu instid0(VALU_DEP_3) | instskip(NEXT) | instid1(VALU_DEP_2)
	v_cmp_lt_i16_e64 s7, -1, v5
	v_xor_b32_e32 v4, v8, v4
	s_delay_alu instid0(VALU_DEP_2) | instskip(NEXT) | instid1(VALU_DEP_1)
	v_cndmask_b32_e64 v9, -1, 0xffff8000, s7
	v_xor_b32_e32 v5, v9, v5
	s_delay_alu instid0(VALU_DEP_1) | instskip(NEXT) | instid1(VALU_DEP_1)
	v_cmp_le_u16_e64 s7, v4, v5
	s_and_b32 s7, s7, exec_lo
	s_delay_alu instid0(SALU_CYCLE_1)
	s_or_b32 s10, s10, s7
.LBB1859_134:
	s_or_b32 exec_lo, exec_lo, s11
	v_cndmask_b32_e64 v4, v55, v54, s10
	v_cndmask_b32_e64 v5, v31, v30, s10
	s_mov_b32 s11, exec_lo
	s_delay_alu instid0(VALU_DEP_2) | instskip(NEXT) | instid1(VALU_DEP_2)
	v_add_nc_u32_e32 v8, 1, v4
	v_add_nc_u32_e32 v5, -1, v5
	v_lshl_add_u32 v4, v4, 3, v13
	s_delay_alu instid0(VALU_DEP_3) | instskip(NEXT) | instid1(VALU_DEP_3)
	v_cndmask_b32_e64 v15, v8, v55, s10
	v_min_u32_e32 v5, v8, v5
	v_cndmask_b32_e64 v16, v54, v8, s10
	s_delay_alu instid0(VALU_DEP_2)
	v_lshl_add_u32 v5, v5, 1, v10
	ds_load_u16 v9, v5
	ds_load_b64 v[4:5], v4 offset:4096
	s_waitcnt lgkmcnt(1)
	v_cndmask_b32_e64 v39, v9, v37, s10
	v_cndmask_b32_e64 v52, v36, v9, s10
	v_cmpx_lt_u32_e64 v15, v31
	s_cbranch_execz .LBB1859_138
; %bb.135:
	s_mov_b32 s12, 0
	s_mov_b32 s8, exec_lo
	v_cmpx_lt_u32_e64 v16, v30
; %bb.136:
	v_add_f16_e32 v8, 0, v52
	v_add_f16_e32 v9, 0, v39
	s_delay_alu instid0(VALU_DEP_2) | instskip(NEXT) | instid1(VALU_DEP_1)
	v_cmp_lt_i16_e64 s7, -1, v8
	v_cndmask_b32_e64 v17, -1, 0xffff8000, s7
	s_delay_alu instid0(VALU_DEP_3) | instskip(NEXT) | instid1(VALU_DEP_2)
	v_cmp_lt_i16_e64 s7, -1, v9
	v_xor_b32_e32 v8, v17, v8
	s_delay_alu instid0(VALU_DEP_2) | instskip(NEXT) | instid1(VALU_DEP_1)
	v_cndmask_b32_e64 v18, -1, 0xffff8000, s7
	v_xor_b32_e32 v9, v18, v9
	s_delay_alu instid0(VALU_DEP_1) | instskip(NEXT) | instid1(VALU_DEP_1)
	v_cmp_le_u16_e64 s7, v8, v9
	s_and_b32 s12, s7, exec_lo
; %bb.137:
	s_or_b32 exec_lo, exec_lo, s8
	s_delay_alu instid0(SALU_CYCLE_1)
	s_or_not1_b32 s8, s12, exec_lo
.LBB1859_138:
	s_or_b32 exec_lo, exec_lo, s11
	v_cndmask_b32_e64 v8, v15, v16, s8
	v_cndmask_b32_e64 v9, v31, v30, s8
	s_mov_b32 s12, -1
	s_mov_b32 s11, -1
	s_mov_b32 s13, exec_lo
	v_add_nc_u32_e32 v18, 1, v8
	v_add_nc_u32_e32 v9, -1, v9
	v_lshl_add_u32 v8, v8, 3, v13
	s_delay_alu instid0(VALU_DEP_3) | instskip(NEXT) | instid1(VALU_DEP_3)
	v_cndmask_b32_e64 v17, v18, v15, s8
	v_min_u32_e32 v9, v18, v9
	v_cndmask_b32_e64 v18, v16, v18, s8
	s_delay_alu instid0(VALU_DEP_2)
	v_lshl_add_u32 v9, v9, 1, v10
	ds_load_u16 v19, v9
	ds_load_b64 v[8:9], v8 offset:4096
	s_waitcnt lgkmcnt(1)
	v_cndmask_b32_e64 v48, v19, v39, s8
	v_cndmask_b32_e64 v53, v52, v19, s8
	v_cmpx_lt_u32_e64 v17, v31
	s_cbranch_execz .LBB1859_142
; %bb.139:
	s_mov_b32 s14, 0
	s_mov_b32 s11, exec_lo
	v_cmpx_lt_u32_e64 v18, v30
; %bb.140:
	v_add_f16_e32 v15, 0, v53
	v_add_f16_e32 v16, 0, v48
	s_delay_alu instid0(VALU_DEP_2) | instskip(NEXT) | instid1(VALU_DEP_1)
	v_cmp_lt_i16_e64 s7, -1, v15
	v_cndmask_b32_e64 v19, -1, 0xffff8000, s7
	s_delay_alu instid0(VALU_DEP_3) | instskip(NEXT) | instid1(VALU_DEP_2)
	v_cmp_lt_i16_e64 s7, -1, v16
	v_xor_b32_e32 v15, v19, v15
	s_delay_alu instid0(VALU_DEP_2) | instskip(NEXT) | instid1(VALU_DEP_1)
	v_cndmask_b32_e64 v20, -1, 0xffff8000, s7
	v_xor_b32_e32 v16, v20, v16
	s_delay_alu instid0(VALU_DEP_1) | instskip(NEXT) | instid1(VALU_DEP_1)
	v_cmp_le_u16_e64 s7, v15, v16
	s_and_b32 s14, s7, exec_lo
; %bb.141:
	s_or_b32 exec_lo, exec_lo, s11
	s_delay_alu instid0(SALU_CYCLE_1)
	s_or_not1_b32 s11, s14, exec_lo
.LBB1859_142:
	s_or_b32 exec_lo, exec_lo, s13
	v_cndmask_b32_e64 v15, v17, v18, s11
	v_cndmask_b32_e64 v16, v31, v30, s11
	s_mov_b32 s13, exec_lo
	s_delay_alu instid0(VALU_DEP_2) | instskip(NEXT) | instid1(VALU_DEP_2)
	v_add_nc_u32_e32 v20, 1, v15
	v_add_nc_u32_e32 v16, -1, v16
	v_lshl_add_u32 v15, v15, 3, v13
	s_delay_alu instid0(VALU_DEP_3) | instskip(NEXT) | instid1(VALU_DEP_3)
	v_cndmask_b32_e64 v19, v20, v17, s11
	v_min_u32_e32 v16, v20, v16
	v_cndmask_b32_e64 v20, v18, v20, s11
	s_delay_alu instid0(VALU_DEP_2)
	v_lshl_add_u32 v16, v16, 1, v10
	ds_load_u16 v21, v16
	ds_load_b64 v[15:16], v15 offset:4096
	s_waitcnt lgkmcnt(1)
	v_cndmask_b32_e64 v51, v21, v48, s11
	v_cndmask_b32_e64 v54, v53, v21, s11
	v_cmpx_lt_u32_e64 v19, v31
	s_cbranch_execz .LBB1859_146
; %bb.143:
	s_mov_b32 s14, 0
	s_mov_b32 s12, exec_lo
	v_cmpx_lt_u32_e64 v20, v30
; %bb.144:
	v_add_f16_e32 v17, 0, v54
	v_add_f16_e32 v18, 0, v51
	s_delay_alu instid0(VALU_DEP_2) | instskip(NEXT) | instid1(VALU_DEP_1)
	v_cmp_lt_i16_e64 s7, -1, v17
	v_cndmask_b32_e64 v21, -1, 0xffff8000, s7
	s_delay_alu instid0(VALU_DEP_3) | instskip(NEXT) | instid1(VALU_DEP_2)
	v_cmp_lt_i16_e64 s7, -1, v18
	v_xor_b32_e32 v17, v21, v17
	s_delay_alu instid0(VALU_DEP_2) | instskip(NEXT) | instid1(VALU_DEP_1)
	v_cndmask_b32_e64 v22, -1, 0xffff8000, s7
	v_xor_b32_e32 v18, v22, v18
	s_delay_alu instid0(VALU_DEP_1) | instskip(NEXT) | instid1(VALU_DEP_1)
	v_cmp_le_u16_e64 s7, v17, v18
	s_and_b32 s14, s7, exec_lo
; %bb.145:
	s_or_b32 exec_lo, exec_lo, s12
	s_delay_alu instid0(SALU_CYCLE_1)
	s_or_not1_b32 s12, s14, exec_lo
.LBB1859_146:
	s_or_b32 exec_lo, exec_lo, s13
	v_cndmask_b32_e64 v17, v19, v20, s12
	v_cndmask_b32_e64 v18, v31, v30, s12
	s_mov_b32 s14, -1
	s_mov_b32 s13, -1
	s_mov_b32 s15, exec_lo
	v_add_nc_u32_e32 v22, 1, v17
	v_add_nc_u32_e32 v18, -1, v18
	v_lshl_add_u32 v17, v17, 3, v13
	s_delay_alu instid0(VALU_DEP_3) | instskip(NEXT) | instid1(VALU_DEP_3)
	v_cndmask_b32_e64 v21, v22, v19, s12
	v_min_u32_e32 v18, v22, v18
	v_cndmask_b32_e64 v22, v20, v22, s12
	s_delay_alu instid0(VALU_DEP_2)
	v_lshl_add_u32 v18, v18, 1, v10
	ds_load_u16 v23, v18
	ds_load_b64 v[17:18], v17 offset:4096
	s_waitcnt lgkmcnt(1)
	v_cndmask_b32_e64 v49, v23, v51, s12
	v_cndmask_b32_e64 v55, v54, v23, s12
	v_cmpx_lt_u32_e64 v21, v31
	s_cbranch_execz .LBB1859_150
; %bb.147:
	s_mov_b32 s16, 0
	s_mov_b32 s13, exec_lo
	v_cmpx_lt_u32_e64 v22, v30
; %bb.148:
	v_add_f16_e32 v19, 0, v55
	v_add_f16_e32 v20, 0, v49
	s_delay_alu instid0(VALU_DEP_2) | instskip(NEXT) | instid1(VALU_DEP_1)
	v_cmp_lt_i16_e64 s7, -1, v19
	v_cndmask_b32_e64 v23, -1, 0xffff8000, s7
	s_delay_alu instid0(VALU_DEP_3) | instskip(NEXT) | instid1(VALU_DEP_2)
	v_cmp_lt_i16_e64 s7, -1, v20
	v_xor_b32_e32 v19, v23, v19
	s_delay_alu instid0(VALU_DEP_2) | instskip(NEXT) | instid1(VALU_DEP_1)
	v_cndmask_b32_e64 v24, -1, 0xffff8000, s7
	v_xor_b32_e32 v20, v24, v20
	s_delay_alu instid0(VALU_DEP_1) | instskip(NEXT) | instid1(VALU_DEP_1)
	v_cmp_le_u16_e64 s7, v19, v20
	s_and_b32 s16, s7, exec_lo
; %bb.149:
	s_or_b32 exec_lo, exec_lo, s13
	s_delay_alu instid0(SALU_CYCLE_1)
	s_or_not1_b32 s13, s16, exec_lo
.LBB1859_150:
	s_or_b32 exec_lo, exec_lo, s15
	v_cndmask_b32_e64 v19, v21, v22, s13
	v_cndmask_b32_e64 v20, v31, v30, s13
	s_mov_b32 s15, exec_lo
	s_delay_alu instid0(VALU_DEP_2) | instskip(NEXT) | instid1(VALU_DEP_2)
	v_add_nc_u32_e32 v23, 1, v19
	v_add_nc_u32_e32 v20, -1, v20
	v_lshl_add_u32 v19, v19, 3, v13
	s_delay_alu instid0(VALU_DEP_3) | instskip(NEXT) | instid1(VALU_DEP_3)
	v_cndmask_b32_e64 v21, v23, v21, s13
	v_min_u32_e32 v20, v23, v20
	v_cndmask_b32_e64 v22, v22, v23, s13
	s_delay_alu instid0(VALU_DEP_2)
	v_lshl_add_u32 v20, v20, 1, v10
	ds_load_u16 v24, v20
	ds_load_b64 v[19:20], v19 offset:4096
	s_waitcnt lgkmcnt(1)
	v_cndmask_b32_e64 v38, v24, v49, s13
	v_cndmask_b32_e64 v64, v55, v24, s13
	v_cmpx_lt_u32_e64 v21, v31
	s_cbranch_execz .LBB1859_154
; %bb.151:
	s_mov_b32 s16, 0
	s_mov_b32 s14, exec_lo
	v_cmpx_lt_u32_e64 v22, v30
; %bb.152:
	v_add_f16_e32 v23, 0, v64
	v_add_f16_e32 v24, 0, v38
	s_delay_alu instid0(VALU_DEP_2) | instskip(NEXT) | instid1(VALU_DEP_1)
	v_cmp_lt_i16_e64 s7, -1, v23
	v_cndmask_b32_e64 v25, -1, 0xffff8000, s7
	s_delay_alu instid0(VALU_DEP_3) | instskip(NEXT) | instid1(VALU_DEP_2)
	v_cmp_lt_i16_e64 s7, -1, v24
	v_xor_b32_e32 v23, v25, v23
	s_delay_alu instid0(VALU_DEP_2) | instskip(NEXT) | instid1(VALU_DEP_1)
	v_cndmask_b32_e64 v26, -1, 0xffff8000, s7
	v_xor_b32_e32 v24, v26, v24
	s_delay_alu instid0(VALU_DEP_1) | instskip(NEXT) | instid1(VALU_DEP_1)
	v_cmp_le_u16_e64 s7, v23, v24
	s_and_b32 s16, s7, exec_lo
; %bb.153:
	s_or_b32 exec_lo, exec_lo, s14
	s_delay_alu instid0(SALU_CYCLE_1)
	s_or_not1_b32 s14, s16, exec_lo
.LBB1859_154:
	s_or_b32 exec_lo, exec_lo, s15
	v_cndmask_b32_e64 v23, v21, v22, s14
	v_cndmask_b32_e64 v24, v31, v30, s14
	s_mov_b32 s15, -1
	s_mov_b32 s16, -1
	s_mov_b32 s17, exec_lo
	v_add_nc_u32_e32 v26, 1, v23
	v_add_nc_u32_e32 v24, -1, v24
	v_lshl_add_u32 v23, v23, 3, v13
	s_delay_alu instid0(VALU_DEP_3) | instskip(NEXT) | instid1(VALU_DEP_3)
	v_cndmask_b32_e64 v25, v26, v21, s14
	v_min_u32_e32 v24, v26, v24
	v_cndmask_b32_e64 v26, v22, v26, s14
	s_delay_alu instid0(VALU_DEP_2)
	v_lshl_add_u32 v24, v24, 1, v10
	ds_load_u16 v65, v24
	ds_load_b64 v[23:24], v23 offset:4096
	s_waitcnt lgkmcnt(1)
	v_cndmask_b32_e64 v50, v65, v38, s14
	v_cndmask_b32_e64 v65, v64, v65, s14
	v_cmpx_lt_u32_e64 v25, v31
	s_cbranch_execz .LBB1859_158
; %bb.155:
	s_mov_b32 s18, 0
	s_mov_b32 s16, exec_lo
	v_cmpx_lt_u32_e64 v26, v30
; %bb.156:
	v_add_f16_e32 v21, 0, v65
	v_add_f16_e32 v22, 0, v50
	s_delay_alu instid0(VALU_DEP_2) | instskip(NEXT) | instid1(VALU_DEP_1)
	v_cmp_lt_i16_e64 s7, -1, v21
	v_cndmask_b32_e64 v66, -1, 0xffff8000, s7
	s_delay_alu instid0(VALU_DEP_3) | instskip(NEXT) | instid1(VALU_DEP_2)
	v_cmp_lt_i16_e64 s7, -1, v22
	v_xor_b32_e32 v21, v66, v21
	s_delay_alu instid0(VALU_DEP_2) | instskip(NEXT) | instid1(VALU_DEP_1)
	v_cndmask_b32_e64 v67, -1, 0xffff8000, s7
	v_xor_b32_e32 v22, v67, v22
	s_delay_alu instid0(VALU_DEP_1) | instskip(NEXT) | instid1(VALU_DEP_1)
	v_cmp_le_u16_e64 s7, v21, v22
	s_and_b32 s18, s7, exec_lo
; %bb.157:
	s_or_b32 exec_lo, exec_lo, s16
	s_delay_alu instid0(SALU_CYCLE_1)
	s_or_not1_b32 s16, s18, exec_lo
.LBB1859_158:
	s_or_b32 exec_lo, exec_lo, s17
	v_cndmask_b32_e64 v21, v25, v26, s16
	v_cndmask_b32_e64 v22, v31, v30, s16
	s_mov_b32 s17, exec_lo
	s_delay_alu instid0(VALU_DEP_2) | instskip(NEXT) | instid1(VALU_DEP_2)
	v_add_nc_u32_e32 v66, 1, v21
	v_add_nc_u32_e32 v22, -1, v22
	v_lshl_add_u32 v21, v21, 3, v13
	s_delay_alu instid0(VALU_DEP_3) | instskip(NEXT) | instid1(VALU_DEP_3)
	v_cndmask_b32_e64 v25, v66, v25, s16
	v_min_u32_e32 v22, v66, v22
	v_cndmask_b32_e64 v26, v26, v66, s16
	s_delay_alu instid0(VALU_DEP_2)
	v_lshl_add_u32 v22, v22, 1, v10
	ds_load_u16 v67, v22
	ds_load_b64 v[21:22], v21 offset:4096
	s_waitcnt lgkmcnt(1)
	v_cndmask_b32_e64 v66, v67, v50, s16
	v_cndmask_b32_e64 v67, v65, v67, s16
	v_cmpx_lt_u32_e64 v25, v31
	s_cbranch_execz .LBB1859_162
; %bb.159:
	s_mov_b32 s18, 0
	s_mov_b32 s15, exec_lo
	v_cmpx_lt_u32_e64 v26, v30
; %bb.160:
	v_add_f16_e32 v30, 0, v67
	v_add_f16_e32 v31, 0, v66
	s_delay_alu instid0(VALU_DEP_2) | instskip(NEXT) | instid1(VALU_DEP_1)
	v_cmp_lt_i16_e64 s7, -1, v30
	v_cndmask_b32_e64 v68, -1, 0xffff8000, s7
	s_delay_alu instid0(VALU_DEP_3) | instskip(NEXT) | instid1(VALU_DEP_2)
	v_cmp_lt_i16_e64 s7, -1, v31
	v_xor_b32_e32 v30, v68, v30
	s_delay_alu instid0(VALU_DEP_2) | instskip(NEXT) | instid1(VALU_DEP_1)
	v_cndmask_b32_e64 v69, -1, 0xffff8000, s7
	v_xor_b32_e32 v31, v69, v31
	s_delay_alu instid0(VALU_DEP_1) | instskip(NEXT) | instid1(VALU_DEP_1)
	v_cmp_le_u16_e64 s7, v30, v31
	s_and_b32 s18, s7, exec_lo
; %bb.161:
	s_or_b32 exec_lo, exec_lo, s15
	s_delay_alu instid0(SALU_CYCLE_1)
	s_or_not1_b32 s15, s18, exec_lo
.LBB1859_162:
	s_or_b32 exec_lo, exec_lo, s17
	v_cndmask_b32_e64 v25, v25, v26, s15
	v_cndmask_b32_e64 v50, v50, v65, s16
	;; [unrolled: 1-line block ×5, first 2 shown]
	v_lshl_add_u32 v25, v25, 3, v13
	v_cndmask_b32_e64 v48, v48, v53, s11
	v_cndmask_b32_e64 v39, v39, v52, s8
	;; [unrolled: 1-line block ×4, first 2 shown]
	ds_load_b64 v[25:26], v25 offset:4096
.LBB1859_163:
	s_or_b32 exec_lo, exec_lo, s9
	v_and_b32_e32 v54, 0xc0, v35
	v_and_b32_e32 v52, 56, v35
	s_mov_b32 s8, exec_lo
	; wave barrier
	s_delay_alu instid0(VALU_DEP_2) | instskip(NEXT) | instid1(VALU_DEP_2)
	v_or_b32_e32 v30, 32, v54
	v_min_u32_e32 v55, v27, v52
	ds_store_b16 v14, v36
	ds_store_b64 v28, v[4:5] offset:4096
	ds_store_b16 v14, v39 offset:2
	ds_store_b64 v29, v[8:9] offset:8
	ds_store_b16 v14, v48 offset:4
	;; [unrolled: 2-line block ×3, first 2 shown]
	ds_store_b64 v29, v[17:18] offset:24
	v_min_u32_e32 v30, v27, v30
	ds_store_b16 v14, v49 offset:8
	ds_store_b64 v29, v[19:20] offset:32
	ds_store_b16 v14, v38 offset:10
	ds_store_b64 v29, v[23:24] offset:40
	ds_store_b16 v14, v50 offset:12
	s_waitcnt lgkmcnt(14)
	ds_store_b64 v29, v[21:22] offset:48
	ds_store_b16 v14, v37 offset:14
	s_waitcnt lgkmcnt(15)
	ds_store_b64 v29, v[25:26] offset:56
	v_add_nc_u32_e32 v31, 32, v30
	v_sub_nc_u32_e32 v53, v30, v54
	; wave barrier
	s_delay_alu instid0(VALU_DEP_2) | instskip(NEXT) | instid1(VALU_DEP_2)
	v_min_u32_e32 v31, v27, v31
	v_min_u32_e32 v64, v55, v53
	v_lshl_add_u32 v53, v54, 1, v10
	s_delay_alu instid0(VALU_DEP_3) | instskip(NEXT) | instid1(VALU_DEP_1)
	v_sub_nc_u32_e32 v52, v31, v30
	v_sub_nc_u32_e64 v52, v55, v52 clamp
	s_delay_alu instid0(VALU_DEP_1)
	v_cmpx_lt_u32_e64 v52, v64
	s_cbranch_execz .LBB1859_167
; %bb.164:
	v_lshlrev_b32_e32 v65, 1, v30
	v_lshlrev_b32_e32 v66, 1, v55
	s_mov_b32 s9, 0
	s_delay_alu instid0(VALU_DEP_1)
	v_add3_u32 v65, v10, v65, v66
	s_set_inst_prefetch_distance 0x1
	.p2align	6
.LBB1859_165:                           ; =>This Inner Loop Header: Depth=1
	v_add_nc_u32_e32 v66, v64, v52
	s_delay_alu instid0(VALU_DEP_1) | instskip(SKIP_1) | instid1(VALU_DEP_2)
	v_lshrrev_b32_e32 v67, 1, v66
	v_and_b32_e32 v66, -2, v66
	v_not_b32_e32 v68, v67
	s_delay_alu instid0(VALU_DEP_2) | instskip(NEXT) | instid1(VALU_DEP_2)
	v_add_nc_u32_e32 v66, v53, v66
	v_lshl_add_u32 v68, v68, 1, v65
	ds_load_u16 v66, v66
	ds_load_u16 v68, v68
	s_waitcnt lgkmcnt(1)
	v_add_f16_e32 v66, 0, v66
	s_waitcnt lgkmcnt(0)
	v_add_f16_e32 v68, 0, v68
	s_delay_alu instid0(VALU_DEP_2) | instskip(NEXT) | instid1(VALU_DEP_1)
	v_cmp_lt_i16_e64 s7, -1, v66
	v_cndmask_b32_e64 v69, -1, 0xffff8000, s7
	s_delay_alu instid0(VALU_DEP_3) | instskip(NEXT) | instid1(VALU_DEP_2)
	v_cmp_lt_i16_e64 s7, -1, v68
	v_xor_b32_e32 v66, v69, v66
	s_delay_alu instid0(VALU_DEP_2) | instskip(SKIP_1) | instid1(VALU_DEP_2)
	v_cndmask_b32_e64 v70, -1, 0xffff8000, s7
	v_add_nc_u32_e32 v69, 1, v67
	v_xor_b32_e32 v68, v70, v68
	s_delay_alu instid0(VALU_DEP_1) | instskip(NEXT) | instid1(VALU_DEP_1)
	v_cmp_gt_u16_e64 s7, v66, v68
	v_cndmask_b32_e64 v64, v64, v67, s7
	s_delay_alu instid0(VALU_DEP_4) | instskip(NEXT) | instid1(VALU_DEP_1)
	v_cndmask_b32_e64 v52, v69, v52, s7
	v_cmp_ge_u32_e64 s7, v52, v64
	s_delay_alu instid0(VALU_DEP_1) | instskip(NEXT) | instid1(SALU_CYCLE_1)
	s_or_b32 s9, s7, s9
	s_and_not1_b32 exec_lo, exec_lo, s9
	s_cbranch_execnz .LBB1859_165
; %bb.166:
	s_set_inst_prefetch_distance 0x2
	s_or_b32 exec_lo, exec_lo, s9
.LBB1859_167:
	s_delay_alu instid0(SALU_CYCLE_1) | instskip(SKIP_2) | instid1(VALU_DEP_2)
	s_or_b32 exec_lo, exec_lo, s8
	v_add_nc_u32_e32 v55, v30, v55
	v_add_nc_u32_e32 v54, v52, v54
	v_sub_nc_u32_e32 v55, v55, v52
	s_delay_alu instid0(VALU_DEP_2) | instskip(NEXT) | instid1(VALU_DEP_2)
	v_cmp_le_u32_e64 s7, v54, v30
	v_cmp_le_u32_e64 s8, v55, v31
	s_delay_alu instid0(VALU_DEP_1) | instskip(NEXT) | instid1(SALU_CYCLE_1)
	s_or_b32 s7, s7, s8
	s_and_saveexec_b32 s9, s7
	s_cbranch_execz .LBB1859_203
; %bb.168:
	v_cmp_ge_u32_e64 s7, v54, v30
	s_mov_b32 s10, exec_lo
                                        ; implicit-def: $vgpr36
	v_cmpx_lt_u32_e64 v54, v30
	s_cbranch_execz .LBB1859_170
; %bb.169:
	v_lshl_add_u32 v4, v52, 1, v53
	ds_load_u16 v36, v4
.LBB1859_170:
	s_or_b32 exec_lo, exec_lo, s10
	v_cmp_ge_u32_e64 s10, v55, v31
	s_mov_b32 s11, exec_lo
                                        ; implicit-def: $vgpr37
	v_cmpx_lt_u32_e64 v55, v31
	s_cbranch_execz .LBB1859_172
; %bb.171:
	v_lshl_add_u32 v4, v55, 1, v10
	ds_load_u16 v37, v4
.LBB1859_172:
	s_or_b32 exec_lo, exec_lo, s11
	s_or_b32 s7, s7, s10
	s_mov_b32 s8, -1
	s_xor_b32 s7, s7, -1
	s_delay_alu instid0(SALU_CYCLE_1)
	s_and_saveexec_b32 s11, s7
	s_cbranch_execz .LBB1859_174
; %bb.173:
	s_waitcnt lgkmcnt(0)
	v_add_f16_e32 v4, 0, v36
	v_add_f16_e32 v5, 0, v37
	s_and_not1_b32 s10, s10, exec_lo
	s_delay_alu instid0(VALU_DEP_2) | instskip(NEXT) | instid1(VALU_DEP_1)
	v_cmp_lt_i16_e64 s7, -1, v4
	v_cndmask_b32_e64 v8, -1, 0xffff8000, s7
	s_delay_alu instid0(VALU_DEP_3) | instskip(NEXT) | instid1(VALU_DEP_2)
	v_cmp_lt_i16_e64 s7, -1, v5
	v_xor_b32_e32 v4, v8, v4
	s_delay_alu instid0(VALU_DEP_2) | instskip(NEXT) | instid1(VALU_DEP_1)
	v_cndmask_b32_e64 v9, -1, 0xffff8000, s7
	v_xor_b32_e32 v5, v9, v5
	s_delay_alu instid0(VALU_DEP_1) | instskip(NEXT) | instid1(VALU_DEP_1)
	v_cmp_le_u16_e64 s7, v4, v5
	s_and_b32 s7, s7, exec_lo
	s_delay_alu instid0(SALU_CYCLE_1)
	s_or_b32 s10, s10, s7
.LBB1859_174:
	s_or_b32 exec_lo, exec_lo, s11
	v_cndmask_b32_e64 v4, v55, v54, s10
	v_cndmask_b32_e64 v5, v31, v30, s10
	s_mov_b32 s11, exec_lo
	s_delay_alu instid0(VALU_DEP_2) | instskip(NEXT) | instid1(VALU_DEP_2)
	v_add_nc_u32_e32 v8, 1, v4
	v_add_nc_u32_e32 v5, -1, v5
	v_lshl_add_u32 v4, v4, 3, v13
	s_delay_alu instid0(VALU_DEP_3) | instskip(NEXT) | instid1(VALU_DEP_3)
	v_cndmask_b32_e64 v15, v8, v55, s10
	v_min_u32_e32 v5, v8, v5
	v_cndmask_b32_e64 v16, v54, v8, s10
	s_delay_alu instid0(VALU_DEP_2)
	v_lshl_add_u32 v5, v5, 1, v10
	ds_load_u16 v9, v5
	ds_load_b64 v[4:5], v4 offset:4096
	s_waitcnt lgkmcnt(1)
	v_cndmask_b32_e64 v39, v9, v37, s10
	v_cndmask_b32_e64 v52, v36, v9, s10
	v_cmpx_lt_u32_e64 v15, v31
	s_cbranch_execz .LBB1859_178
; %bb.175:
	s_mov_b32 s12, 0
	s_mov_b32 s8, exec_lo
	v_cmpx_lt_u32_e64 v16, v30
; %bb.176:
	v_add_f16_e32 v8, 0, v52
	v_add_f16_e32 v9, 0, v39
	s_delay_alu instid0(VALU_DEP_2) | instskip(NEXT) | instid1(VALU_DEP_1)
	v_cmp_lt_i16_e64 s7, -1, v8
	v_cndmask_b32_e64 v17, -1, 0xffff8000, s7
	s_delay_alu instid0(VALU_DEP_3) | instskip(NEXT) | instid1(VALU_DEP_2)
	v_cmp_lt_i16_e64 s7, -1, v9
	v_xor_b32_e32 v8, v17, v8
	s_delay_alu instid0(VALU_DEP_2) | instskip(NEXT) | instid1(VALU_DEP_1)
	v_cndmask_b32_e64 v18, -1, 0xffff8000, s7
	v_xor_b32_e32 v9, v18, v9
	s_delay_alu instid0(VALU_DEP_1) | instskip(NEXT) | instid1(VALU_DEP_1)
	v_cmp_le_u16_e64 s7, v8, v9
	s_and_b32 s12, s7, exec_lo
; %bb.177:
	s_or_b32 exec_lo, exec_lo, s8
	s_delay_alu instid0(SALU_CYCLE_1)
	s_or_not1_b32 s8, s12, exec_lo
.LBB1859_178:
	s_or_b32 exec_lo, exec_lo, s11
	v_cndmask_b32_e64 v8, v15, v16, s8
	v_cndmask_b32_e64 v9, v31, v30, s8
	s_mov_b32 s12, -1
	s_mov_b32 s11, -1
	s_mov_b32 s13, exec_lo
	v_add_nc_u32_e32 v18, 1, v8
	v_add_nc_u32_e32 v9, -1, v9
	v_lshl_add_u32 v8, v8, 3, v13
	s_delay_alu instid0(VALU_DEP_3) | instskip(NEXT) | instid1(VALU_DEP_3)
	v_cndmask_b32_e64 v17, v18, v15, s8
	v_min_u32_e32 v9, v18, v9
	v_cndmask_b32_e64 v18, v16, v18, s8
	s_delay_alu instid0(VALU_DEP_2)
	v_lshl_add_u32 v9, v9, 1, v10
	ds_load_u16 v19, v9
	ds_load_b64 v[8:9], v8 offset:4096
	s_waitcnt lgkmcnt(1)
	v_cndmask_b32_e64 v48, v19, v39, s8
	v_cndmask_b32_e64 v53, v52, v19, s8
	v_cmpx_lt_u32_e64 v17, v31
	s_cbranch_execz .LBB1859_182
; %bb.179:
	s_mov_b32 s14, 0
	s_mov_b32 s11, exec_lo
	v_cmpx_lt_u32_e64 v18, v30
; %bb.180:
	v_add_f16_e32 v15, 0, v53
	v_add_f16_e32 v16, 0, v48
	s_delay_alu instid0(VALU_DEP_2) | instskip(NEXT) | instid1(VALU_DEP_1)
	v_cmp_lt_i16_e64 s7, -1, v15
	v_cndmask_b32_e64 v19, -1, 0xffff8000, s7
	s_delay_alu instid0(VALU_DEP_3) | instskip(NEXT) | instid1(VALU_DEP_2)
	v_cmp_lt_i16_e64 s7, -1, v16
	v_xor_b32_e32 v15, v19, v15
	s_delay_alu instid0(VALU_DEP_2) | instskip(NEXT) | instid1(VALU_DEP_1)
	v_cndmask_b32_e64 v20, -1, 0xffff8000, s7
	v_xor_b32_e32 v16, v20, v16
	s_delay_alu instid0(VALU_DEP_1) | instskip(NEXT) | instid1(VALU_DEP_1)
	v_cmp_le_u16_e64 s7, v15, v16
	s_and_b32 s14, s7, exec_lo
; %bb.181:
	s_or_b32 exec_lo, exec_lo, s11
	s_delay_alu instid0(SALU_CYCLE_1)
	s_or_not1_b32 s11, s14, exec_lo
.LBB1859_182:
	s_or_b32 exec_lo, exec_lo, s13
	v_cndmask_b32_e64 v15, v17, v18, s11
	v_cndmask_b32_e64 v16, v31, v30, s11
	s_mov_b32 s13, exec_lo
	s_delay_alu instid0(VALU_DEP_2) | instskip(NEXT) | instid1(VALU_DEP_2)
	v_add_nc_u32_e32 v20, 1, v15
	v_add_nc_u32_e32 v16, -1, v16
	v_lshl_add_u32 v15, v15, 3, v13
	s_delay_alu instid0(VALU_DEP_3) | instskip(NEXT) | instid1(VALU_DEP_3)
	v_cndmask_b32_e64 v19, v20, v17, s11
	v_min_u32_e32 v16, v20, v16
	v_cndmask_b32_e64 v20, v18, v20, s11
	s_delay_alu instid0(VALU_DEP_2)
	v_lshl_add_u32 v16, v16, 1, v10
	ds_load_u16 v21, v16
	ds_load_b64 v[15:16], v15 offset:4096
	s_waitcnt lgkmcnt(1)
	v_cndmask_b32_e64 v51, v21, v48, s11
	v_cndmask_b32_e64 v54, v53, v21, s11
	v_cmpx_lt_u32_e64 v19, v31
	s_cbranch_execz .LBB1859_186
; %bb.183:
	s_mov_b32 s14, 0
	s_mov_b32 s12, exec_lo
	v_cmpx_lt_u32_e64 v20, v30
; %bb.184:
	v_add_f16_e32 v17, 0, v54
	v_add_f16_e32 v18, 0, v51
	s_delay_alu instid0(VALU_DEP_2) | instskip(NEXT) | instid1(VALU_DEP_1)
	v_cmp_lt_i16_e64 s7, -1, v17
	v_cndmask_b32_e64 v21, -1, 0xffff8000, s7
	s_delay_alu instid0(VALU_DEP_3) | instskip(NEXT) | instid1(VALU_DEP_2)
	v_cmp_lt_i16_e64 s7, -1, v18
	v_xor_b32_e32 v17, v21, v17
	s_delay_alu instid0(VALU_DEP_2) | instskip(NEXT) | instid1(VALU_DEP_1)
	v_cndmask_b32_e64 v22, -1, 0xffff8000, s7
	v_xor_b32_e32 v18, v22, v18
	s_delay_alu instid0(VALU_DEP_1) | instskip(NEXT) | instid1(VALU_DEP_1)
	v_cmp_le_u16_e64 s7, v17, v18
	s_and_b32 s14, s7, exec_lo
; %bb.185:
	s_or_b32 exec_lo, exec_lo, s12
	s_delay_alu instid0(SALU_CYCLE_1)
	s_or_not1_b32 s12, s14, exec_lo
.LBB1859_186:
	s_or_b32 exec_lo, exec_lo, s13
	v_cndmask_b32_e64 v17, v19, v20, s12
	v_cndmask_b32_e64 v18, v31, v30, s12
	s_mov_b32 s14, -1
	s_mov_b32 s13, -1
	s_mov_b32 s15, exec_lo
	v_add_nc_u32_e32 v22, 1, v17
	v_add_nc_u32_e32 v18, -1, v18
	v_lshl_add_u32 v17, v17, 3, v13
	s_delay_alu instid0(VALU_DEP_3) | instskip(NEXT) | instid1(VALU_DEP_3)
	v_cndmask_b32_e64 v21, v22, v19, s12
	v_min_u32_e32 v18, v22, v18
	v_cndmask_b32_e64 v22, v20, v22, s12
	s_delay_alu instid0(VALU_DEP_2)
	v_lshl_add_u32 v18, v18, 1, v10
	ds_load_u16 v23, v18
	ds_load_b64 v[17:18], v17 offset:4096
	s_waitcnt lgkmcnt(1)
	v_cndmask_b32_e64 v49, v23, v51, s12
	v_cndmask_b32_e64 v55, v54, v23, s12
	v_cmpx_lt_u32_e64 v21, v31
	s_cbranch_execz .LBB1859_190
; %bb.187:
	s_mov_b32 s16, 0
	s_mov_b32 s13, exec_lo
	v_cmpx_lt_u32_e64 v22, v30
; %bb.188:
	v_add_f16_e32 v19, 0, v55
	v_add_f16_e32 v20, 0, v49
	s_delay_alu instid0(VALU_DEP_2) | instskip(NEXT) | instid1(VALU_DEP_1)
	v_cmp_lt_i16_e64 s7, -1, v19
	v_cndmask_b32_e64 v23, -1, 0xffff8000, s7
	s_delay_alu instid0(VALU_DEP_3) | instskip(NEXT) | instid1(VALU_DEP_2)
	v_cmp_lt_i16_e64 s7, -1, v20
	v_xor_b32_e32 v19, v23, v19
	s_delay_alu instid0(VALU_DEP_2) | instskip(NEXT) | instid1(VALU_DEP_1)
	v_cndmask_b32_e64 v24, -1, 0xffff8000, s7
	v_xor_b32_e32 v20, v24, v20
	s_delay_alu instid0(VALU_DEP_1) | instskip(NEXT) | instid1(VALU_DEP_1)
	v_cmp_le_u16_e64 s7, v19, v20
	s_and_b32 s16, s7, exec_lo
; %bb.189:
	s_or_b32 exec_lo, exec_lo, s13
	s_delay_alu instid0(SALU_CYCLE_1)
	s_or_not1_b32 s13, s16, exec_lo
.LBB1859_190:
	s_or_b32 exec_lo, exec_lo, s15
	v_cndmask_b32_e64 v19, v21, v22, s13
	v_cndmask_b32_e64 v20, v31, v30, s13
	s_mov_b32 s15, exec_lo
	s_delay_alu instid0(VALU_DEP_2) | instskip(NEXT) | instid1(VALU_DEP_2)
	v_add_nc_u32_e32 v23, 1, v19
	v_add_nc_u32_e32 v20, -1, v20
	v_lshl_add_u32 v19, v19, 3, v13
	s_delay_alu instid0(VALU_DEP_3) | instskip(NEXT) | instid1(VALU_DEP_3)
	v_cndmask_b32_e64 v21, v23, v21, s13
	v_min_u32_e32 v20, v23, v20
	v_cndmask_b32_e64 v22, v22, v23, s13
	s_delay_alu instid0(VALU_DEP_2)
	v_lshl_add_u32 v20, v20, 1, v10
	ds_load_u16 v24, v20
	ds_load_b64 v[19:20], v19 offset:4096
	s_waitcnt lgkmcnt(1)
	v_cndmask_b32_e64 v38, v24, v49, s13
	v_cndmask_b32_e64 v64, v55, v24, s13
	v_cmpx_lt_u32_e64 v21, v31
	s_cbranch_execz .LBB1859_194
; %bb.191:
	s_mov_b32 s16, 0
	s_mov_b32 s14, exec_lo
	v_cmpx_lt_u32_e64 v22, v30
; %bb.192:
	v_add_f16_e32 v23, 0, v64
	v_add_f16_e32 v24, 0, v38
	s_delay_alu instid0(VALU_DEP_2) | instskip(NEXT) | instid1(VALU_DEP_1)
	v_cmp_lt_i16_e64 s7, -1, v23
	v_cndmask_b32_e64 v25, -1, 0xffff8000, s7
	s_delay_alu instid0(VALU_DEP_3) | instskip(NEXT) | instid1(VALU_DEP_2)
	v_cmp_lt_i16_e64 s7, -1, v24
	v_xor_b32_e32 v23, v25, v23
	s_delay_alu instid0(VALU_DEP_2) | instskip(NEXT) | instid1(VALU_DEP_1)
	v_cndmask_b32_e64 v26, -1, 0xffff8000, s7
	v_xor_b32_e32 v24, v26, v24
	s_delay_alu instid0(VALU_DEP_1) | instskip(NEXT) | instid1(VALU_DEP_1)
	v_cmp_le_u16_e64 s7, v23, v24
	s_and_b32 s16, s7, exec_lo
; %bb.193:
	s_or_b32 exec_lo, exec_lo, s14
	s_delay_alu instid0(SALU_CYCLE_1)
	s_or_not1_b32 s14, s16, exec_lo
.LBB1859_194:
	s_or_b32 exec_lo, exec_lo, s15
	v_cndmask_b32_e64 v23, v21, v22, s14
	v_cndmask_b32_e64 v24, v31, v30, s14
	s_mov_b32 s15, -1
	s_mov_b32 s16, -1
	s_mov_b32 s17, exec_lo
	v_add_nc_u32_e32 v26, 1, v23
	v_add_nc_u32_e32 v24, -1, v24
	v_lshl_add_u32 v23, v23, 3, v13
	s_delay_alu instid0(VALU_DEP_3) | instskip(NEXT) | instid1(VALU_DEP_3)
	v_cndmask_b32_e64 v25, v26, v21, s14
	v_min_u32_e32 v24, v26, v24
	v_cndmask_b32_e64 v26, v22, v26, s14
	s_delay_alu instid0(VALU_DEP_2)
	v_lshl_add_u32 v24, v24, 1, v10
	ds_load_u16 v65, v24
	ds_load_b64 v[23:24], v23 offset:4096
	s_waitcnt lgkmcnt(1)
	v_cndmask_b32_e64 v50, v65, v38, s14
	v_cndmask_b32_e64 v65, v64, v65, s14
	v_cmpx_lt_u32_e64 v25, v31
	s_cbranch_execz .LBB1859_198
; %bb.195:
	s_mov_b32 s18, 0
	s_mov_b32 s16, exec_lo
	v_cmpx_lt_u32_e64 v26, v30
; %bb.196:
	v_add_f16_e32 v21, 0, v65
	v_add_f16_e32 v22, 0, v50
	s_delay_alu instid0(VALU_DEP_2) | instskip(NEXT) | instid1(VALU_DEP_1)
	v_cmp_lt_i16_e64 s7, -1, v21
	v_cndmask_b32_e64 v66, -1, 0xffff8000, s7
	s_delay_alu instid0(VALU_DEP_3) | instskip(NEXT) | instid1(VALU_DEP_2)
	v_cmp_lt_i16_e64 s7, -1, v22
	v_xor_b32_e32 v21, v66, v21
	s_delay_alu instid0(VALU_DEP_2) | instskip(NEXT) | instid1(VALU_DEP_1)
	v_cndmask_b32_e64 v67, -1, 0xffff8000, s7
	v_xor_b32_e32 v22, v67, v22
	s_delay_alu instid0(VALU_DEP_1) | instskip(NEXT) | instid1(VALU_DEP_1)
	v_cmp_le_u16_e64 s7, v21, v22
	s_and_b32 s18, s7, exec_lo
; %bb.197:
	s_or_b32 exec_lo, exec_lo, s16
	s_delay_alu instid0(SALU_CYCLE_1)
	s_or_not1_b32 s16, s18, exec_lo
.LBB1859_198:
	s_or_b32 exec_lo, exec_lo, s17
	v_cndmask_b32_e64 v21, v25, v26, s16
	v_cndmask_b32_e64 v22, v31, v30, s16
	s_mov_b32 s17, exec_lo
	s_delay_alu instid0(VALU_DEP_2) | instskip(NEXT) | instid1(VALU_DEP_2)
	v_add_nc_u32_e32 v66, 1, v21
	v_add_nc_u32_e32 v22, -1, v22
	v_lshl_add_u32 v21, v21, 3, v13
	s_delay_alu instid0(VALU_DEP_3) | instskip(NEXT) | instid1(VALU_DEP_3)
	v_cndmask_b32_e64 v25, v66, v25, s16
	v_min_u32_e32 v22, v66, v22
	v_cndmask_b32_e64 v26, v26, v66, s16
	s_delay_alu instid0(VALU_DEP_2)
	v_lshl_add_u32 v22, v22, 1, v10
	ds_load_u16 v67, v22
	ds_load_b64 v[21:22], v21 offset:4096
	s_waitcnt lgkmcnt(1)
	v_cndmask_b32_e64 v66, v67, v50, s16
	v_cndmask_b32_e64 v67, v65, v67, s16
	v_cmpx_lt_u32_e64 v25, v31
	s_cbranch_execz .LBB1859_202
; %bb.199:
	s_mov_b32 s18, 0
	s_mov_b32 s15, exec_lo
	v_cmpx_lt_u32_e64 v26, v30
; %bb.200:
	v_add_f16_e32 v30, 0, v67
	v_add_f16_e32 v31, 0, v66
	s_delay_alu instid0(VALU_DEP_2) | instskip(NEXT) | instid1(VALU_DEP_1)
	v_cmp_lt_i16_e64 s7, -1, v30
	v_cndmask_b32_e64 v68, -1, 0xffff8000, s7
	s_delay_alu instid0(VALU_DEP_3) | instskip(NEXT) | instid1(VALU_DEP_2)
	v_cmp_lt_i16_e64 s7, -1, v31
	v_xor_b32_e32 v30, v68, v30
	s_delay_alu instid0(VALU_DEP_2) | instskip(NEXT) | instid1(VALU_DEP_1)
	v_cndmask_b32_e64 v69, -1, 0xffff8000, s7
	v_xor_b32_e32 v31, v69, v31
	s_delay_alu instid0(VALU_DEP_1) | instskip(NEXT) | instid1(VALU_DEP_1)
	v_cmp_le_u16_e64 s7, v30, v31
	s_and_b32 s18, s7, exec_lo
; %bb.201:
	s_or_b32 exec_lo, exec_lo, s15
	s_delay_alu instid0(SALU_CYCLE_1)
	s_or_not1_b32 s15, s18, exec_lo
.LBB1859_202:
	s_or_b32 exec_lo, exec_lo, s17
	v_cndmask_b32_e64 v25, v25, v26, s15
	v_cndmask_b32_e64 v50, v50, v65, s16
	;; [unrolled: 1-line block ×5, first 2 shown]
	v_lshl_add_u32 v25, v25, 3, v13
	v_cndmask_b32_e64 v48, v48, v53, s11
	v_cndmask_b32_e64 v39, v39, v52, s8
	;; [unrolled: 1-line block ×4, first 2 shown]
	ds_load_b64 v[25:26], v25 offset:4096
.LBB1859_203:
	s_or_b32 exec_lo, exec_lo, s9
	v_and_b32_e32 v35, 0x80, v35
	; wave barrier
	ds_store_b16 v14, v36
	ds_store_b64 v28, v[4:5] offset:4096
	ds_store_b16 v14, v39 offset:2
	ds_store_b64 v29, v[8:9] offset:8
	ds_store_b16 v14, v48 offset:4
	v_or_b32_e32 v30, 64, v35
	v_min_u32_e32 v34, v27, v34
	s_mov_b32 s8, exec_lo
	ds_store_b64 v29, v[15:16] offset:16
	ds_store_b16 v14, v51 offset:6
	ds_store_b64 v29, v[17:18] offset:24
	ds_store_b16 v14, v49 offset:8
	;; [unrolled: 2-line block ×3, first 2 shown]
	v_min_u32_e32 v30, v27, v30
	ds_store_b64 v29, v[23:24] offset:40
	ds_store_b16 v14, v50 offset:12
	s_waitcnt lgkmcnt(14)
	ds_store_b64 v29, v[21:22] offset:48
	ds_store_b16 v14, v37 offset:14
	s_waitcnt lgkmcnt(15)
	ds_store_b64 v29, v[25:26] offset:56
	; wave barrier
	v_add_nc_u32_e32 v31, 64, v30
	s_delay_alu instid0(VALU_DEP_1) | instskip(SKIP_1) | instid1(VALU_DEP_2)
	v_min_u32_e32 v28, v27, v31
	v_sub_nc_u32_e32 v31, v30, v35
	v_sub_nc_u32_e32 v27, v28, v30
	s_delay_alu instid0(VALU_DEP_2) | instskip(SKIP_1) | instid1(VALU_DEP_3)
	v_min_u32_e32 v52, v34, v31
	v_lshl_add_u32 v31, v35, 1, v10
	v_sub_nc_u32_e64 v27, v34, v27 clamp
	s_delay_alu instid0(VALU_DEP_1)
	v_cmpx_lt_u32_e64 v27, v52
	s_cbranch_execz .LBB1859_207
; %bb.204:
	v_lshlrev_b32_e32 v14, 1, v30
	v_lshlrev_b32_e32 v29, 1, v34
	s_mov_b32 s9, 0
	s_delay_alu instid0(VALU_DEP_1)
	v_add3_u32 v14, v10, v14, v29
	s_set_inst_prefetch_distance 0x1
	.p2align	6
.LBB1859_205:                           ; =>This Inner Loop Header: Depth=1
	v_add_nc_u32_e32 v29, v52, v27
	s_delay_alu instid0(VALU_DEP_1) | instskip(SKIP_1) | instid1(VALU_DEP_2)
	v_lshrrev_b32_e32 v53, 1, v29
	v_and_b32_e32 v29, -2, v29
	v_not_b32_e32 v54, v53
	s_delay_alu instid0(VALU_DEP_2) | instskip(NEXT) | instid1(VALU_DEP_2)
	v_add_nc_u32_e32 v29, v31, v29
	v_lshl_add_u32 v54, v54, 1, v14
	ds_load_u16 v29, v29
	ds_load_u16 v54, v54
	s_waitcnt lgkmcnt(1)
	v_add_f16_e32 v29, 0, v29
	s_waitcnt lgkmcnt(0)
	v_add_f16_e32 v54, 0, v54
	s_delay_alu instid0(VALU_DEP_2) | instskip(NEXT) | instid1(VALU_DEP_1)
	v_cmp_lt_i16_e64 s7, -1, v29
	v_cndmask_b32_e64 v55, -1, 0xffff8000, s7
	s_delay_alu instid0(VALU_DEP_3) | instskip(NEXT) | instid1(VALU_DEP_2)
	v_cmp_lt_i16_e64 s7, -1, v54
	v_xor_b32_e32 v29, v55, v29
	s_delay_alu instid0(VALU_DEP_2) | instskip(SKIP_1) | instid1(VALU_DEP_2)
	v_cndmask_b32_e64 v64, -1, 0xffff8000, s7
	v_add_nc_u32_e32 v55, 1, v53
	v_xor_b32_e32 v54, v64, v54
	s_delay_alu instid0(VALU_DEP_1) | instskip(NEXT) | instid1(VALU_DEP_1)
	v_cmp_gt_u16_e64 s7, v29, v54
	v_cndmask_b32_e64 v52, v52, v53, s7
	s_delay_alu instid0(VALU_DEP_4) | instskip(NEXT) | instid1(VALU_DEP_1)
	v_cndmask_b32_e64 v27, v55, v27, s7
	v_cmp_ge_u32_e64 s7, v27, v52
	s_delay_alu instid0(VALU_DEP_1) | instskip(NEXT) | instid1(SALU_CYCLE_1)
	s_or_b32 s9, s7, s9
	s_and_not1_b32 exec_lo, exec_lo, s9
	s_cbranch_execnz .LBB1859_205
; %bb.206:
	s_set_inst_prefetch_distance 0x2
	s_or_b32 exec_lo, exec_lo, s9
.LBB1859_207:
	s_delay_alu instid0(SALU_CYCLE_1) | instskip(SKIP_2) | instid1(VALU_DEP_2)
	s_or_b32 exec_lo, exec_lo, s8
	v_add_nc_u32_e32 v14, v30, v34
	v_add_nc_u32_e32 v29, v27, v35
	v_sub_nc_u32_e32 v34, v14, v27
	s_delay_alu instid0(VALU_DEP_2) | instskip(NEXT) | instid1(VALU_DEP_2)
	v_cmp_le_u32_e64 s7, v29, v30
	v_cmp_le_u32_e64 s8, v34, v28
	s_delay_alu instid0(VALU_DEP_1) | instskip(NEXT) | instid1(SALU_CYCLE_1)
	s_or_b32 s7, s7, s8
	s_and_saveexec_b32 s9, s7
	s_cbranch_execz .LBB1859_243
; %bb.208:
	v_cmp_ge_u32_e64 s7, v29, v30
	s_mov_b32 s10, exec_lo
                                        ; implicit-def: $vgpr14
	v_cmpx_lt_u32_e64 v29, v30
	s_cbranch_execz .LBB1859_210
; %bb.209:
	v_lshl_add_u32 v4, v27, 1, v31
	ds_load_u16 v14, v4
.LBB1859_210:
	s_or_b32 exec_lo, exec_lo, s10
	v_cmp_ge_u32_e64 s10, v34, v28
	s_mov_b32 s11, exec_lo
                                        ; implicit-def: $vgpr27
	v_cmpx_lt_u32_e64 v34, v28
	s_cbranch_execz .LBB1859_212
; %bb.211:
	v_lshl_add_u32 v4, v34, 1, v10
	ds_load_u16 v27, v4
.LBB1859_212:
	s_or_b32 exec_lo, exec_lo, s11
	s_or_b32 s7, s7, s10
	s_mov_b32 s8, -1
	s_xor_b32 s7, s7, -1
	s_delay_alu instid0(SALU_CYCLE_1)
	s_and_saveexec_b32 s11, s7
	s_cbranch_execz .LBB1859_214
; %bb.213:
	s_waitcnt lgkmcnt(0)
	v_add_f16_e32 v4, 0, v14
	v_add_f16_e32 v5, 0, v27
	s_and_not1_b32 s10, s10, exec_lo
	s_delay_alu instid0(VALU_DEP_2) | instskip(NEXT) | instid1(VALU_DEP_1)
	v_cmp_lt_i16_e64 s7, -1, v4
	v_cndmask_b32_e64 v8, -1, 0xffff8000, s7
	s_delay_alu instid0(VALU_DEP_3) | instskip(NEXT) | instid1(VALU_DEP_2)
	v_cmp_lt_i16_e64 s7, -1, v5
	v_xor_b32_e32 v4, v8, v4
	s_delay_alu instid0(VALU_DEP_2) | instskip(NEXT) | instid1(VALU_DEP_1)
	v_cndmask_b32_e64 v9, -1, 0xffff8000, s7
	v_xor_b32_e32 v5, v9, v5
	s_delay_alu instid0(VALU_DEP_1) | instskip(NEXT) | instid1(VALU_DEP_1)
	v_cmp_le_u16_e64 s7, v4, v5
	s_and_b32 s7, s7, exec_lo
	s_delay_alu instid0(SALU_CYCLE_1)
	s_or_b32 s10, s10, s7
.LBB1859_214:
	s_or_b32 exec_lo, exec_lo, s11
	v_cndmask_b32_e64 v4, v34, v29, s10
	v_cndmask_b32_e64 v5, v28, v30, s10
	s_mov_b32 s11, exec_lo
	s_delay_alu instid0(VALU_DEP_2) | instskip(NEXT) | instid1(VALU_DEP_2)
	v_add_nc_u32_e32 v8, 1, v4
	v_add_nc_u32_e32 v5, -1, v5
	v_lshl_add_u32 v4, v4, 3, v13
	s_delay_alu instid0(VALU_DEP_3) | instskip(NEXT) | instid1(VALU_DEP_3)
	v_cndmask_b32_e64 v15, v8, v34, s10
	v_min_u32_e32 v5, v8, v5
	v_cndmask_b32_e64 v16, v29, v8, s10
	s_delay_alu instid0(VALU_DEP_2)
	v_lshl_add_u32 v5, v5, 1, v10
	ds_load_u16 v9, v5
	ds_load_b64 v[4:5], v4 offset:4096
	s_waitcnt lgkmcnt(1)
	v_cndmask_b32_e64 v29, v9, v27, s10
	v_cndmask_b32_e64 v31, v14, v9, s10
	v_cmpx_lt_u32_e64 v15, v28
	s_cbranch_execz .LBB1859_218
; %bb.215:
	s_mov_b32 s12, 0
	s_mov_b32 s8, exec_lo
	v_cmpx_lt_u32_e64 v16, v30
; %bb.216:
	v_add_f16_e32 v8, 0, v31
	v_add_f16_e32 v9, 0, v29
	s_delay_alu instid0(VALU_DEP_2) | instskip(NEXT) | instid1(VALU_DEP_1)
	v_cmp_lt_i16_e64 s7, -1, v8
	v_cndmask_b32_e64 v17, -1, 0xffff8000, s7
	s_delay_alu instid0(VALU_DEP_3) | instskip(NEXT) | instid1(VALU_DEP_2)
	v_cmp_lt_i16_e64 s7, -1, v9
	v_xor_b32_e32 v8, v17, v8
	s_delay_alu instid0(VALU_DEP_2) | instskip(NEXT) | instid1(VALU_DEP_1)
	v_cndmask_b32_e64 v18, -1, 0xffff8000, s7
	v_xor_b32_e32 v9, v18, v9
	s_delay_alu instid0(VALU_DEP_1) | instskip(NEXT) | instid1(VALU_DEP_1)
	v_cmp_le_u16_e64 s7, v8, v9
	s_and_b32 s12, s7, exec_lo
; %bb.217:
	s_or_b32 exec_lo, exec_lo, s8
	s_delay_alu instid0(SALU_CYCLE_1)
	s_or_not1_b32 s8, s12, exec_lo
.LBB1859_218:
	s_or_b32 exec_lo, exec_lo, s11
	v_cndmask_b32_e64 v8, v15, v16, s8
	v_cndmask_b32_e64 v9, v28, v30, s8
	s_mov_b32 s12, -1
	s_mov_b32 s11, -1
	s_mov_b32 s13, exec_lo
	v_add_nc_u32_e32 v18, 1, v8
	v_add_nc_u32_e32 v9, -1, v9
	v_lshl_add_u32 v8, v8, 3, v13
	s_delay_alu instid0(VALU_DEP_3) | instskip(NEXT) | instid1(VALU_DEP_3)
	v_cndmask_b32_e64 v17, v18, v15, s8
	v_min_u32_e32 v9, v18, v9
	v_cndmask_b32_e64 v18, v16, v18, s8
	s_delay_alu instid0(VALU_DEP_2)
	v_lshl_add_u32 v9, v9, 1, v10
	ds_load_u16 v19, v9
	ds_load_b64 v[8:9], v8 offset:4096
	s_waitcnt lgkmcnt(1)
	v_cndmask_b32_e64 v34, v19, v29, s8
	v_cndmask_b32_e64 v35, v31, v19, s8
	v_cmpx_lt_u32_e64 v17, v28
	s_cbranch_execz .LBB1859_222
; %bb.219:
	s_mov_b32 s14, 0
	s_mov_b32 s11, exec_lo
	v_cmpx_lt_u32_e64 v18, v30
; %bb.220:
	v_add_f16_e32 v15, 0, v35
	v_add_f16_e32 v16, 0, v34
	s_delay_alu instid0(VALU_DEP_2) | instskip(NEXT) | instid1(VALU_DEP_1)
	v_cmp_lt_i16_e64 s7, -1, v15
	v_cndmask_b32_e64 v19, -1, 0xffff8000, s7
	s_delay_alu instid0(VALU_DEP_3) | instskip(NEXT) | instid1(VALU_DEP_2)
	v_cmp_lt_i16_e64 s7, -1, v16
	v_xor_b32_e32 v15, v19, v15
	s_delay_alu instid0(VALU_DEP_2) | instskip(NEXT) | instid1(VALU_DEP_1)
	v_cndmask_b32_e64 v20, -1, 0xffff8000, s7
	v_xor_b32_e32 v16, v20, v16
	s_delay_alu instid0(VALU_DEP_1) | instskip(NEXT) | instid1(VALU_DEP_1)
	v_cmp_le_u16_e64 s7, v15, v16
	s_and_b32 s14, s7, exec_lo
; %bb.221:
	s_or_b32 exec_lo, exec_lo, s11
	s_delay_alu instid0(SALU_CYCLE_1)
	s_or_not1_b32 s11, s14, exec_lo
.LBB1859_222:
	s_or_b32 exec_lo, exec_lo, s13
	v_cndmask_b32_e64 v15, v17, v18, s11
	v_cndmask_b32_e64 v16, v28, v30, s11
	s_mov_b32 s13, exec_lo
	s_delay_alu instid0(VALU_DEP_2) | instskip(NEXT) | instid1(VALU_DEP_2)
	v_add_nc_u32_e32 v20, 1, v15
	v_add_nc_u32_e32 v16, -1, v16
	v_lshl_add_u32 v15, v15, 3, v13
	s_delay_alu instid0(VALU_DEP_3) | instskip(NEXT) | instid1(VALU_DEP_3)
	v_cndmask_b32_e64 v19, v20, v17, s11
	v_min_u32_e32 v16, v20, v16
	v_cndmask_b32_e64 v20, v18, v20, s11
	s_delay_alu instid0(VALU_DEP_2)
	v_lshl_add_u32 v16, v16, 1, v10
	ds_load_u16 v21, v16
	ds_load_b64 v[15:16], v15 offset:4096
	s_waitcnt lgkmcnt(1)
	v_cndmask_b32_e64 v36, v21, v34, s11
	v_cndmask_b32_e64 v37, v35, v21, s11
	v_cmpx_lt_u32_e64 v19, v28
	s_cbranch_execz .LBB1859_226
; %bb.223:
	s_mov_b32 s14, 0
	s_mov_b32 s12, exec_lo
	v_cmpx_lt_u32_e64 v20, v30
; %bb.224:
	v_add_f16_e32 v17, 0, v37
	v_add_f16_e32 v18, 0, v36
	s_delay_alu instid0(VALU_DEP_2) | instskip(NEXT) | instid1(VALU_DEP_1)
	v_cmp_lt_i16_e64 s7, -1, v17
	v_cndmask_b32_e64 v21, -1, 0xffff8000, s7
	s_delay_alu instid0(VALU_DEP_3) | instskip(NEXT) | instid1(VALU_DEP_2)
	v_cmp_lt_i16_e64 s7, -1, v18
	v_xor_b32_e32 v17, v21, v17
	s_delay_alu instid0(VALU_DEP_2) | instskip(NEXT) | instid1(VALU_DEP_1)
	v_cndmask_b32_e64 v22, -1, 0xffff8000, s7
	v_xor_b32_e32 v18, v22, v18
	s_delay_alu instid0(VALU_DEP_1) | instskip(NEXT) | instid1(VALU_DEP_1)
	v_cmp_le_u16_e64 s7, v17, v18
	s_and_b32 s14, s7, exec_lo
; %bb.225:
	s_or_b32 exec_lo, exec_lo, s12
	s_delay_alu instid0(SALU_CYCLE_1)
	s_or_not1_b32 s12, s14, exec_lo
.LBB1859_226:
	s_or_b32 exec_lo, exec_lo, s13
	v_cndmask_b32_e64 v17, v19, v20, s12
	v_cndmask_b32_e64 v18, v28, v30, s12
	s_mov_b32 s14, -1
	s_mov_b32 s13, -1
	s_mov_b32 s15, exec_lo
	v_add_nc_u32_e32 v22, 1, v17
	v_add_nc_u32_e32 v18, -1, v18
	v_lshl_add_u32 v17, v17, 3, v13
	s_delay_alu instid0(VALU_DEP_3) | instskip(NEXT) | instid1(VALU_DEP_3)
	v_cndmask_b32_e64 v21, v22, v19, s12
	v_min_u32_e32 v18, v22, v18
	v_cndmask_b32_e64 v22, v20, v22, s12
	s_delay_alu instid0(VALU_DEP_2)
	v_lshl_add_u32 v18, v18, 1, v10
	ds_load_u16 v23, v18
	ds_load_b64 v[17:18], v17 offset:4096
	s_waitcnt lgkmcnt(1)
	v_cndmask_b32_e64 v39, v23, v36, s12
	v_cndmask_b32_e64 v48, v37, v23, s12
	v_cmpx_lt_u32_e64 v21, v28
	s_cbranch_execz .LBB1859_230
; %bb.227:
	s_mov_b32 s16, 0
	s_mov_b32 s13, exec_lo
	v_cmpx_lt_u32_e64 v22, v30
; %bb.228:
	v_add_f16_e32 v19, 0, v48
	v_add_f16_e32 v20, 0, v39
	s_delay_alu instid0(VALU_DEP_2) | instskip(NEXT) | instid1(VALU_DEP_1)
	v_cmp_lt_i16_e64 s7, -1, v19
	v_cndmask_b32_e64 v23, -1, 0xffff8000, s7
	s_delay_alu instid0(VALU_DEP_3) | instskip(NEXT) | instid1(VALU_DEP_2)
	v_cmp_lt_i16_e64 s7, -1, v20
	v_xor_b32_e32 v19, v23, v19
	s_delay_alu instid0(VALU_DEP_2) | instskip(NEXT) | instid1(VALU_DEP_1)
	v_cndmask_b32_e64 v24, -1, 0xffff8000, s7
	v_xor_b32_e32 v20, v24, v20
	s_delay_alu instid0(VALU_DEP_1) | instskip(NEXT) | instid1(VALU_DEP_1)
	v_cmp_le_u16_e64 s7, v19, v20
	s_and_b32 s16, s7, exec_lo
; %bb.229:
	s_or_b32 exec_lo, exec_lo, s13
	s_delay_alu instid0(SALU_CYCLE_1)
	s_or_not1_b32 s13, s16, exec_lo
.LBB1859_230:
	s_or_b32 exec_lo, exec_lo, s15
	v_cndmask_b32_e64 v19, v21, v22, s13
	v_cndmask_b32_e64 v20, v28, v30, s13
	s_mov_b32 s15, exec_lo
	s_delay_alu instid0(VALU_DEP_2) | instskip(NEXT) | instid1(VALU_DEP_2)
	v_add_nc_u32_e32 v23, 1, v19
	v_add_nc_u32_e32 v20, -1, v20
	v_lshl_add_u32 v19, v19, 3, v13
	s_delay_alu instid0(VALU_DEP_3) | instskip(NEXT) | instid1(VALU_DEP_3)
	v_cndmask_b32_e64 v21, v23, v21, s13
	v_min_u32_e32 v20, v23, v20
	v_cndmask_b32_e64 v22, v22, v23, s13
	s_delay_alu instid0(VALU_DEP_2)
	v_lshl_add_u32 v20, v20, 1, v10
	ds_load_u16 v24, v20
	ds_load_b64 v[19:20], v19 offset:4096
	s_waitcnt lgkmcnt(1)
	v_cndmask_b32_e64 v38, v24, v39, s13
	v_cndmask_b32_e64 v49, v48, v24, s13
	v_cmpx_lt_u32_e64 v21, v28
	s_cbranch_execz .LBB1859_234
; %bb.231:
	s_mov_b32 s16, 0
	s_mov_b32 s14, exec_lo
	v_cmpx_lt_u32_e64 v22, v30
; %bb.232:
	v_add_f16_e32 v23, 0, v49
	v_add_f16_e32 v24, 0, v38
	s_delay_alu instid0(VALU_DEP_2) | instskip(NEXT) | instid1(VALU_DEP_1)
	v_cmp_lt_i16_e64 s7, -1, v23
	v_cndmask_b32_e64 v25, -1, 0xffff8000, s7
	s_delay_alu instid0(VALU_DEP_3) | instskip(NEXT) | instid1(VALU_DEP_2)
	v_cmp_lt_i16_e64 s7, -1, v24
	v_xor_b32_e32 v23, v25, v23
	s_delay_alu instid0(VALU_DEP_2) | instskip(NEXT) | instid1(VALU_DEP_1)
	v_cndmask_b32_e64 v26, -1, 0xffff8000, s7
	v_xor_b32_e32 v24, v26, v24
	s_delay_alu instid0(VALU_DEP_1) | instskip(NEXT) | instid1(VALU_DEP_1)
	v_cmp_le_u16_e64 s7, v23, v24
	s_and_b32 s16, s7, exec_lo
; %bb.233:
	s_or_b32 exec_lo, exec_lo, s14
	s_delay_alu instid0(SALU_CYCLE_1)
	s_or_not1_b32 s14, s16, exec_lo
.LBB1859_234:
	s_or_b32 exec_lo, exec_lo, s15
	v_cndmask_b32_e64 v23, v21, v22, s14
	v_cndmask_b32_e64 v24, v28, v30, s14
	s_mov_b32 s15, -1
	s_mov_b32 s16, -1
	s_mov_b32 s17, exec_lo
	v_add_nc_u32_e32 v26, 1, v23
	v_add_nc_u32_e32 v24, -1, v24
	v_lshl_add_u32 v23, v23, 3, v13
	s_delay_alu instid0(VALU_DEP_3) | instskip(NEXT) | instid1(VALU_DEP_3)
	v_cndmask_b32_e64 v25, v26, v21, s14
	v_min_u32_e32 v24, v26, v24
	v_cndmask_b32_e64 v26, v22, v26, s14
	s_delay_alu instid0(VALU_DEP_2)
	v_lshl_add_u32 v24, v24, 1, v10
	ds_load_u16 v51, v24
	ds_load_b64 v[23:24], v23 offset:4096
	s_waitcnt lgkmcnt(1)
	v_cndmask_b32_e64 v50, v51, v38, s14
	v_cndmask_b32_e64 v51, v49, v51, s14
	v_cmpx_lt_u32_e64 v25, v28
	s_cbranch_execz .LBB1859_238
; %bb.235:
	s_mov_b32 s18, 0
	s_mov_b32 s16, exec_lo
	v_cmpx_lt_u32_e64 v26, v30
; %bb.236:
	v_add_f16_e32 v21, 0, v51
	v_add_f16_e32 v22, 0, v50
	s_delay_alu instid0(VALU_DEP_2) | instskip(NEXT) | instid1(VALU_DEP_1)
	v_cmp_lt_i16_e64 s7, -1, v21
	v_cndmask_b32_e64 v52, -1, 0xffff8000, s7
	s_delay_alu instid0(VALU_DEP_3) | instskip(NEXT) | instid1(VALU_DEP_2)
	v_cmp_lt_i16_e64 s7, -1, v22
	v_xor_b32_e32 v21, v52, v21
	s_delay_alu instid0(VALU_DEP_2) | instskip(NEXT) | instid1(VALU_DEP_1)
	v_cndmask_b32_e64 v53, -1, 0xffff8000, s7
	v_xor_b32_e32 v22, v53, v22
	s_delay_alu instid0(VALU_DEP_1) | instskip(NEXT) | instid1(VALU_DEP_1)
	v_cmp_le_u16_e64 s7, v21, v22
	s_and_b32 s18, s7, exec_lo
; %bb.237:
	s_or_b32 exec_lo, exec_lo, s16
	s_delay_alu instid0(SALU_CYCLE_1)
	s_or_not1_b32 s16, s18, exec_lo
.LBB1859_238:
	s_or_b32 exec_lo, exec_lo, s17
	v_cndmask_b32_e64 v21, v25, v26, s16
	v_cndmask_b32_e64 v22, v28, v30, s16
	s_mov_b32 s17, exec_lo
	s_delay_alu instid0(VALU_DEP_2) | instskip(NEXT) | instid1(VALU_DEP_2)
	v_add_nc_u32_e32 v52, 1, v21
	v_add_nc_u32_e32 v22, -1, v22
	s_delay_alu instid0(VALU_DEP_2) | instskip(NEXT) | instid1(VALU_DEP_2)
	v_cndmask_b32_e64 v25, v52, v25, s16
	v_min_u32_e32 v22, v52, v22
	v_cndmask_b32_e64 v26, v26, v52, s16
	s_delay_alu instid0(VALU_DEP_2)
	v_lshl_add_u32 v10, v22, 1, v10
	ds_load_u16 v53, v10
	v_lshl_add_u32 v10, v21, 3, v13
	ds_load_b64 v[21:22], v10 offset:4096
	s_waitcnt lgkmcnt(1)
	v_cndmask_b32_e64 v10, v53, v50, s16
	v_cndmask_b32_e64 v52, v51, v53, s16
	v_cmpx_lt_u32_e64 v25, v28
	s_cbranch_execz .LBB1859_242
; %bb.239:
	s_mov_b32 s18, 0
	s_mov_b32 s15, exec_lo
	v_cmpx_lt_u32_e64 v26, v30
; %bb.240:
	v_add_f16_e32 v28, 0, v52
	v_add_f16_e32 v30, 0, v10
	s_delay_alu instid0(VALU_DEP_2) | instskip(NEXT) | instid1(VALU_DEP_1)
	v_cmp_lt_i16_e64 s7, -1, v28
	v_cndmask_b32_e64 v53, -1, 0xffff8000, s7
	s_delay_alu instid0(VALU_DEP_3) | instskip(NEXT) | instid1(VALU_DEP_2)
	v_cmp_lt_i16_e64 s7, -1, v30
	v_xor_b32_e32 v28, v53, v28
	s_delay_alu instid0(VALU_DEP_2) | instskip(NEXT) | instid1(VALU_DEP_1)
	v_cndmask_b32_e64 v54, -1, 0xffff8000, s7
	v_xor_b32_e32 v30, v54, v30
	s_delay_alu instid0(VALU_DEP_1) | instskip(NEXT) | instid1(VALU_DEP_1)
	v_cmp_le_u16_e64 s7, v28, v30
	s_and_b32 s18, s7, exec_lo
; %bb.241:
	s_or_b32 exec_lo, exec_lo, s15
	s_delay_alu instid0(SALU_CYCLE_1)
	s_or_not1_b32 s15, s18, exec_lo
.LBB1859_242:
	s_or_b32 exec_lo, exec_lo, s17
	v_cndmask_b32_e64 v25, v25, v26, s15
	v_cndmask_b32_e64 v50, v50, v51, s16
	;; [unrolled: 1-line block ×5, first 2 shown]
	v_lshl_add_u32 v13, v25, 3, v13
	v_cndmask_b32_e64 v48, v34, v35, s11
	v_cndmask_b32_e64 v39, v29, v31, s8
	;; [unrolled: 1-line block ×4, first 2 shown]
	ds_load_b64 v[25:26], v13 offset:4096
.LBB1859_243:
	s_or_b32 exec_lo, exec_lo, s9
	v_add_co_u32 v2, s7, v2, v11
	s_delay_alu instid0(VALU_DEP_1) | instskip(NEXT) | instid1(VALU_DEP_2)
	v_add_co_ci_u32_e64 v3, s7, v3, v12, s7
	v_add_co_u32 v2, s7, v2, v32
	s_delay_alu instid0(VALU_DEP_1)
	v_add_co_ci_u32_e64 v3, s7, 0, v3, s7
	; wave barrier
	s_waitcnt lgkmcnt(0)
	s_waitcnt_vscnt null, 0x0
	s_barrier
	buffer_gl0_inv
	; wave barrier
	s_and_saveexec_b32 s7, vcc_lo
	s_cbranch_execnz .LBB1859_268
; %bb.244:
	s_or_b32 exec_lo, exec_lo, s7
	s_and_saveexec_b32 s7, s0
	s_cbranch_execnz .LBB1859_269
.LBB1859_245:
	s_or_b32 exec_lo, exec_lo, s7
	s_and_saveexec_b32 s7, s1
	s_cbranch_execnz .LBB1859_270
.LBB1859_246:
	s_or_b32 exec_lo, exec_lo, s7
	s_and_saveexec_b32 s7, s2
	s_cbranch_execnz .LBB1859_271
.LBB1859_247:
	s_or_b32 exec_lo, exec_lo, s7
	s_and_saveexec_b32 s7, s3
	s_cbranch_execnz .LBB1859_272
.LBB1859_248:
	s_or_b32 exec_lo, exec_lo, s7
	s_and_saveexec_b32 s7, s4
	s_cbranch_execnz .LBB1859_273
.LBB1859_249:
	s_or_b32 exec_lo, exec_lo, s7
	s_and_saveexec_b32 s7, s5
	s_cbranch_execnz .LBB1859_274
.LBB1859_250:
	s_or_b32 exec_lo, exec_lo, s7
	s_and_saveexec_b32 s7, s6
	s_cbranch_execz .LBB1859_252
.LBB1859_251:
	flat_store_b16 v[2:3], v37 offset:14
.LBB1859_252:
	s_or_b32 exec_lo, exec_lo, s7
	v_add_co_u32 v0, s7, v6, v0
	s_delay_alu instid0(VALU_DEP_1) | instskip(NEXT) | instid1(VALU_DEP_2)
	v_add_co_ci_u32_e64 v1, s7, v7, v1, s7
	v_add_co_u32 v0, s7, v0, v33
	s_delay_alu instid0(VALU_DEP_1)
	v_add_co_ci_u32_e64 v1, s7, 0, v1, s7
	; wave barrier
	s_and_saveexec_b32 s7, vcc_lo
	s_cbranch_execnz .LBB1859_275
; %bb.253:
	s_or_b32 exec_lo, exec_lo, s7
	s_and_saveexec_b32 s7, s0
	s_cbranch_execnz .LBB1859_276
.LBB1859_254:
	s_or_b32 exec_lo, exec_lo, s7
	s_and_saveexec_b32 s0, s1
	s_cbranch_execnz .LBB1859_277
.LBB1859_255:
	s_or_b32 exec_lo, exec_lo, s0
	s_and_saveexec_b32 s0, s2
	s_cbranch_execnz .LBB1859_278
.LBB1859_256:
	s_or_b32 exec_lo, exec_lo, s0
	s_and_saveexec_b32 s0, s3
	s_cbranch_execnz .LBB1859_279
.LBB1859_257:
	s_or_b32 exec_lo, exec_lo, s0
	s_and_saveexec_b32 s0, s4
	s_cbranch_execnz .LBB1859_280
.LBB1859_258:
	s_or_b32 exec_lo, exec_lo, s0
	s_and_saveexec_b32 s0, s5
	s_cbranch_execnz .LBB1859_281
.LBB1859_259:
	s_or_b32 exec_lo, exec_lo, s0
	s_and_saveexec_b32 s0, s6
	s_cbranch_execnz .LBB1859_282
.LBB1859_260:
	s_or_b32 exec_lo, exec_lo, s0
	s_waitcnt lgkmcnt(0)
	s_setpc_b64 s[30:31]
.LBB1859_261:
	flat_load_b64 v[4:5], v[13:14]
	s_or_b32 exec_lo, exec_lo, s7
                                        ; implicit-def: $vgpr8_vgpr9
	s_and_saveexec_b32 s7, s0
	s_cbranch_execz .LBB1859_18
.LBB1859_262:
	flat_load_b64 v[8:9], v[13:14] offset:8
	s_or_b32 exec_lo, exec_lo, s7
                                        ; implicit-def: $vgpr15_vgpr16
	s_and_saveexec_b32 s7, s1
	s_cbranch_execz .LBB1859_19
.LBB1859_263:
	flat_load_b64 v[15:16], v[13:14] offset:16
	s_or_b32 exec_lo, exec_lo, s7
                                        ; implicit-def: $vgpr17_vgpr18
	s_and_saveexec_b32 s7, s2
	s_cbranch_execz .LBB1859_20
.LBB1859_264:
	flat_load_b64 v[17:18], v[13:14] offset:24
	s_or_b32 exec_lo, exec_lo, s7
                                        ; implicit-def: $vgpr19_vgpr20
	s_and_saveexec_b32 s7, s3
	s_cbranch_execz .LBB1859_21
.LBB1859_265:
	flat_load_b64 v[19:20], v[13:14] offset:32
	s_or_b32 exec_lo, exec_lo, s7
                                        ; implicit-def: $vgpr23_vgpr24
	s_and_saveexec_b32 s7, s4
	s_cbranch_execz .LBB1859_22
.LBB1859_266:
	flat_load_b64 v[23:24], v[13:14] offset:40
	s_or_b32 exec_lo, exec_lo, s7
                                        ; implicit-def: $vgpr21_vgpr22
	s_and_saveexec_b32 s7, s5
	s_cbranch_execz .LBB1859_23
.LBB1859_267:
	flat_load_b64 v[21:22], v[13:14] offset:48
	s_or_b32 exec_lo, exec_lo, s7
                                        ; implicit-def: $vgpr25_vgpr26
	s_and_saveexec_b32 s7, s6
	s_cbranch_execnz .LBB1859_24
	s_branch .LBB1859_25
.LBB1859_268:
	flat_store_b16 v[2:3], v36
	s_or_b32 exec_lo, exec_lo, s7
	s_and_saveexec_b32 s7, s0
	s_cbranch_execz .LBB1859_245
.LBB1859_269:
	flat_store_b16 v[2:3], v39 offset:2
	s_or_b32 exec_lo, exec_lo, s7
	s_and_saveexec_b32 s7, s1
	s_cbranch_execz .LBB1859_246
.LBB1859_270:
	flat_store_b16 v[2:3], v48 offset:4
	s_or_b32 exec_lo, exec_lo, s7
	s_and_saveexec_b32 s7, s2
	s_cbranch_execz .LBB1859_247
.LBB1859_271:
	flat_store_b16 v[2:3], v51 offset:6
	s_or_b32 exec_lo, exec_lo, s7
	s_and_saveexec_b32 s7, s3
	s_cbranch_execz .LBB1859_248
.LBB1859_272:
	flat_store_b16 v[2:3], v49 offset:8
	s_or_b32 exec_lo, exec_lo, s7
	s_and_saveexec_b32 s7, s4
	s_cbranch_execz .LBB1859_249
.LBB1859_273:
	flat_store_b16 v[2:3], v38 offset:10
	s_or_b32 exec_lo, exec_lo, s7
	s_and_saveexec_b32 s7, s5
	s_cbranch_execz .LBB1859_250
.LBB1859_274:
	flat_store_b16 v[2:3], v50 offset:12
	s_or_b32 exec_lo, exec_lo, s7
	s_and_saveexec_b32 s7, s6
	s_cbranch_execnz .LBB1859_251
	s_branch .LBB1859_252
.LBB1859_275:
	flat_store_b64 v[0:1], v[4:5]
	s_or_b32 exec_lo, exec_lo, s7
	s_and_saveexec_b32 s7, s0
	s_cbranch_execz .LBB1859_254
.LBB1859_276:
	flat_store_b64 v[0:1], v[8:9] offset:8
	s_or_b32 exec_lo, exec_lo, s7
	s_and_saveexec_b32 s0, s1
	s_cbranch_execz .LBB1859_255
.LBB1859_277:
	flat_store_b64 v[0:1], v[15:16] offset:16
	s_or_b32 exec_lo, exec_lo, s0
	s_and_saveexec_b32 s0, s2
	s_cbranch_execz .LBB1859_256
.LBB1859_278:
	flat_store_b64 v[0:1], v[17:18] offset:24
	s_or_b32 exec_lo, exec_lo, s0
	s_and_saveexec_b32 s0, s3
	s_cbranch_execz .LBB1859_257
.LBB1859_279:
	flat_store_b64 v[0:1], v[19:20] offset:32
	s_or_b32 exec_lo, exec_lo, s0
	s_and_saveexec_b32 s0, s4
	s_cbranch_execz .LBB1859_258
.LBB1859_280:
	flat_store_b64 v[0:1], v[23:24] offset:40
	s_or_b32 exec_lo, exec_lo, s0
	s_and_saveexec_b32 s0, s5
	s_cbranch_execz .LBB1859_259
.LBB1859_281:
	flat_store_b64 v[0:1], v[21:22] offset:48
	s_or_b32 exec_lo, exec_lo, s0
	s_and_saveexec_b32 s0, s6
	s_cbranch_execz .LBB1859_260
.LBB1859_282:
	flat_store_b64 v[0:1], v[25:26] offset:56
	s_or_b32 exec_lo, exec_lo, s0
	s_waitcnt lgkmcnt(0)
	s_setpc_b64 s[30:31]
.Lfunc_end1859:
	.size	_ZN7rocprim17ROCPRIM_400000_NS6detail26segmented_warp_sort_helperINS1_20WarpSortHelperConfigILj16ELj8ELj256EEE6__halflLi256ELb0EvE4sortIPKS5_PS5_PKlPlEEvT_T0_T1_T2_jjjjRNS6_12storage_typeE, .Lfunc_end1859-_ZN7rocprim17ROCPRIM_400000_NS6detail26segmented_warp_sort_helperINS1_20WarpSortHelperConfigILj16ELj8ELj256EEE6__halflLi256ELb0EvE4sortIPKS5_PS5_PKlPlEEvT_T0_T1_T2_jjjjRNS6_12storage_typeE
                                        ; -- End function
	.section	.AMDGPU.csdata,"",@progbits
; Function info:
; codeLenInByte = 14944
; NumSgprs: 34
; NumVgprs: 71
; ScratchSize: 0
; MemoryBound: 0
	.section	.text._ZN7rocprim17ROCPRIM_400000_NS6detail17trampoline_kernelINS0_14default_configENS1_36segmented_radix_sort_config_selectorI6__halflEEZNS1_25segmented_radix_sort_implIS3_Lb0EPKS5_PS5_PKlPlN2at6native12_GLOBAL__N_18offset_tEEE10hipError_tPvRmT1_PNSt15iterator_traitsISL_E10value_typeET2_T3_PNSM_ISR_E10value_typeET4_jRbjT5_SX_jjP12ihipStream_tbEUlT_E0_NS1_11comp_targetILNS1_3genE9ELNS1_11target_archE1100ELNS1_3gpuE3ELNS1_3repE0EEENS1_60segmented_radix_sort_warp_sort_medium_config_static_selectorELNS0_4arch9wavefront6targetE0EEEvSL_,"axG",@progbits,_ZN7rocprim17ROCPRIM_400000_NS6detail17trampoline_kernelINS0_14default_configENS1_36segmented_radix_sort_config_selectorI6__halflEEZNS1_25segmented_radix_sort_implIS3_Lb0EPKS5_PS5_PKlPlN2at6native12_GLOBAL__N_18offset_tEEE10hipError_tPvRmT1_PNSt15iterator_traitsISL_E10value_typeET2_T3_PNSM_ISR_E10value_typeET4_jRbjT5_SX_jjP12ihipStream_tbEUlT_E0_NS1_11comp_targetILNS1_3genE9ELNS1_11target_archE1100ELNS1_3gpuE3ELNS1_3repE0EEENS1_60segmented_radix_sort_warp_sort_medium_config_static_selectorELNS0_4arch9wavefront6targetE0EEEvSL_,comdat
	.globl	_ZN7rocprim17ROCPRIM_400000_NS6detail17trampoline_kernelINS0_14default_configENS1_36segmented_radix_sort_config_selectorI6__halflEEZNS1_25segmented_radix_sort_implIS3_Lb0EPKS5_PS5_PKlPlN2at6native12_GLOBAL__N_18offset_tEEE10hipError_tPvRmT1_PNSt15iterator_traitsISL_E10value_typeET2_T3_PNSM_ISR_E10value_typeET4_jRbjT5_SX_jjP12ihipStream_tbEUlT_E0_NS1_11comp_targetILNS1_3genE9ELNS1_11target_archE1100ELNS1_3gpuE3ELNS1_3repE0EEENS1_60segmented_radix_sort_warp_sort_medium_config_static_selectorELNS0_4arch9wavefront6targetE0EEEvSL_ ; -- Begin function _ZN7rocprim17ROCPRIM_400000_NS6detail17trampoline_kernelINS0_14default_configENS1_36segmented_radix_sort_config_selectorI6__halflEEZNS1_25segmented_radix_sort_implIS3_Lb0EPKS5_PS5_PKlPlN2at6native12_GLOBAL__N_18offset_tEEE10hipError_tPvRmT1_PNSt15iterator_traitsISL_E10value_typeET2_T3_PNSM_ISR_E10value_typeET4_jRbjT5_SX_jjP12ihipStream_tbEUlT_E0_NS1_11comp_targetILNS1_3genE9ELNS1_11target_archE1100ELNS1_3gpuE3ELNS1_3repE0EEENS1_60segmented_radix_sort_warp_sort_medium_config_static_selectorELNS0_4arch9wavefront6targetE0EEEvSL_
	.p2align	8
	.type	_ZN7rocprim17ROCPRIM_400000_NS6detail17trampoline_kernelINS0_14default_configENS1_36segmented_radix_sort_config_selectorI6__halflEEZNS1_25segmented_radix_sort_implIS3_Lb0EPKS5_PS5_PKlPlN2at6native12_GLOBAL__N_18offset_tEEE10hipError_tPvRmT1_PNSt15iterator_traitsISL_E10value_typeET2_T3_PNSM_ISR_E10value_typeET4_jRbjT5_SX_jjP12ihipStream_tbEUlT_E0_NS1_11comp_targetILNS1_3genE9ELNS1_11target_archE1100ELNS1_3gpuE3ELNS1_3repE0EEENS1_60segmented_radix_sort_warp_sort_medium_config_static_selectorELNS0_4arch9wavefront6targetE0EEEvSL_,@function
_ZN7rocprim17ROCPRIM_400000_NS6detail17trampoline_kernelINS0_14default_configENS1_36segmented_radix_sort_config_selectorI6__halflEEZNS1_25segmented_radix_sort_implIS3_Lb0EPKS5_PS5_PKlPlN2at6native12_GLOBAL__N_18offset_tEEE10hipError_tPvRmT1_PNSt15iterator_traitsISL_E10value_typeET2_T3_PNSM_ISR_E10value_typeET4_jRbjT5_SX_jjP12ihipStream_tbEUlT_E0_NS1_11comp_targetILNS1_3genE9ELNS1_11target_archE1100ELNS1_3gpuE3ELNS1_3repE0EEENS1_60segmented_radix_sort_warp_sort_medium_config_static_selectorELNS0_4arch9wavefront6targetE0EEEvSL_: ; @_ZN7rocprim17ROCPRIM_400000_NS6detail17trampoline_kernelINS0_14default_configENS1_36segmented_radix_sort_config_selectorI6__halflEEZNS1_25segmented_radix_sort_implIS3_Lb0EPKS5_PS5_PKlPlN2at6native12_GLOBAL__N_18offset_tEEE10hipError_tPvRmT1_PNSt15iterator_traitsISL_E10value_typeET2_T3_PNSM_ISR_E10value_typeET4_jRbjT5_SX_jjP12ihipStream_tbEUlT_E0_NS1_11comp_targetILNS1_3genE9ELNS1_11target_archE1100ELNS1_3gpuE3ELNS1_3repE0EEENS1_60segmented_radix_sort_warp_sort_medium_config_static_selectorELNS0_4arch9wavefront6targetE0EEEvSL_
; %bb.0:
	s_load_b32 s2, s[0:1], 0x64
	v_bfe_u32 v1, v0, 10, 10
	v_bfe_u32 v2, v0, 20, 10
	s_mov_b32 s32, 0
	s_waitcnt lgkmcnt(0)
	s_lshr_b32 s3, s2, 16
	s_and_b32 s2, s2, 0xffff
	v_mad_u32_u24 v4, v2, s3, v1
	v_and_b32_e32 v1, 0x3ff, v0
	s_load_b32 s3, s[0:1], 0x34
	s_delay_alu instid0(VALU_DEP_1) | instskip(SKIP_1) | instid1(VALU_DEP_1)
	v_mad_u64_u32 v[2:3], null, v4, s2, v[1:2]
	s_mov_b32 s2, exec_lo
	v_lshrrev_b32_e32 v1, 4, v2
	s_delay_alu instid0(VALU_DEP_1) | instskip(SKIP_1) | instid1(VALU_DEP_1)
	v_lshl_add_u32 v1, s14, 4, v1
	s_waitcnt lgkmcnt(0)
	v_cmpx_gt_u32_e64 s3, v1
	s_cbranch_execz .LBB1860_6
; %bb.1:
	s_clause 0x1
	s_load_b64 s[2:3], s[0:1], 0x38
	s_load_b128 s[4:7], s[0:1], 0x40
	v_mov_b32_e32 v2, 0
	s_delay_alu instid0(VALU_DEP_1) | instskip(SKIP_1) | instid1(VALU_DEP_1)
	v_lshlrev_b64 v[1:2], 2, v[1:2]
	s_waitcnt lgkmcnt(0)
	v_add_co_u32 v1, vcc_lo, s2, v1
	s_delay_alu instid0(VALU_DEP_2) | instskip(SKIP_4) | instid1(VALU_DEP_2)
	v_add_co_ci_u32_e32 v2, vcc_lo, s3, v2, vcc_lo
	global_load_b32 v1, v[1:2], off
	s_waitcnt vmcnt(0)
	v_add_nc_u32_e32 v2, s5, v1
	v_add_nc_u32_e32 v1, s7, v1
	v_mul_lo_u32 v40, v2, s4
	s_delay_alu instid0(VALU_DEP_2) | instskip(NEXT) | instid1(VALU_DEP_1)
	v_mul_lo_u32 v41, v1, s6
	v_cmp_gt_u32_e32 vcc_lo, v41, v40
	s_and_b32 exec_lo, exec_lo, vcc_lo
	s_cbranch_execz .LBB1860_6
; %bb.2:
	s_clause 0x2
	s_load_b32 s2, s[0:1], 0x30
	s_load_b128 s[36:39], s[0:1], 0x20
	s_load_b256 s[20:27], s[0:1], 0x0
	s_waitcnt lgkmcnt(0)
	s_bitcmp0_b32 s2, 0
	s_mov_b32 s2, -1
	s_cbranch_scc0 .LBB1860_4
; %bb.3:
	v_mov_b32_e32 v31, v0
	v_dual_mov_b32 v42, v0 :: v_dual_mov_b32 v1, s21
	v_mov_b32_e32 v0, s20
	v_dual_mov_b32 v2, s22 :: v_dual_mov_b32 v3, s23
	v_dual_mov_b32 v4, s26 :: v_dual_mov_b32 v5, s27
	;; [unrolled: 1-line block ×4, first 2 shown]
	s_add_u32 s8, s0, 0x58
	s_addc_u32 s9, s1, 0
	s_mov_b32 s12, s14
	s_mov_b32 s13, s15
	s_getpc_b64 s[2:3]
	s_add_u32 s2, s2, _ZN7rocprim17ROCPRIM_400000_NS6detail26segmented_warp_sort_helperINS1_20WarpSortHelperConfigILj16ELj8ELj256EEE6__halflLi256ELb0EvE4sortIPKS5_PS5_PKlPlEEvT_T0_T1_T2_jjjjRNS6_12storage_typeE@rel32@lo+4
	s_addc_u32 s3, s3, _ZN7rocprim17ROCPRIM_400000_NS6detail26segmented_warp_sort_helperINS1_20WarpSortHelperConfigILj16ELj8ELj256EEE6__halflLi256ELb0EvE4sortIPKS5_PS5_PKlPlEEvT_T0_T1_T2_jjjjRNS6_12storage_typeE@rel32@hi+12
	s_mov_b64 s[22:23], s[0:1]
	s_mov_b32 s19, s15
	s_mov_b32 s28, s14
	s_swappc_b64 s[30:31], s[2:3]
	v_mov_b32_e32 v0, v42
	s_mov_b32 s14, s28
	s_mov_b32 s15, s19
	s_mov_b64 s[0:1], s[22:23]
	s_mov_b32 s2, 0
.LBB1860_4:
	s_delay_alu instid0(SALU_CYCLE_1)
	s_and_not1_b32 vcc_lo, exec_lo, s2
	s_cbranch_vccnz .LBB1860_6
; %bb.5:
	v_dual_mov_b32 v31, v0 :: v_dual_mov_b32 v0, s20
	v_dual_mov_b32 v1, s21 :: v_dual_mov_b32 v2, s24
	;; [unrolled: 1-line block ×5, first 2 shown]
	v_mov_b32_e32 v9, v41
	s_add_u32 s8, s0, 0x58
	s_addc_u32 s9, s1, 0
	s_mov_b32 s12, s14
	s_mov_b32 s13, s15
	s_getpc_b64 s[0:1]
	s_add_u32 s0, s0, _ZN7rocprim17ROCPRIM_400000_NS6detail26segmented_warp_sort_helperINS1_20WarpSortHelperConfigILj16ELj8ELj256EEE6__halflLi256ELb0EvE4sortIPKS5_PS5_PKlPlEEvT_T0_T1_T2_jjjjRNS6_12storage_typeE@rel32@lo+4
	s_addc_u32 s1, s1, _ZN7rocprim17ROCPRIM_400000_NS6detail26segmented_warp_sort_helperINS1_20WarpSortHelperConfigILj16ELj8ELj256EEE6__halflLi256ELb0EvE4sortIPKS5_PS5_PKlPlEEvT_T0_T1_T2_jjjjRNS6_12storage_typeE@rel32@hi+12
	s_delay_alu instid0(SALU_CYCLE_1)
	s_swappc_b64 s[30:31], s[0:1]
.LBB1860_6:
	s_endpgm
	.section	.rodata,"a",@progbits
	.p2align	6, 0x0
	.amdhsa_kernel _ZN7rocprim17ROCPRIM_400000_NS6detail17trampoline_kernelINS0_14default_configENS1_36segmented_radix_sort_config_selectorI6__halflEEZNS1_25segmented_radix_sort_implIS3_Lb0EPKS5_PS5_PKlPlN2at6native12_GLOBAL__N_18offset_tEEE10hipError_tPvRmT1_PNSt15iterator_traitsISL_E10value_typeET2_T3_PNSM_ISR_E10value_typeET4_jRbjT5_SX_jjP12ihipStream_tbEUlT_E0_NS1_11comp_targetILNS1_3genE9ELNS1_11target_archE1100ELNS1_3gpuE3ELNS1_3repE0EEENS1_60segmented_radix_sort_warp_sort_medium_config_static_selectorELNS0_4arch9wavefront6targetE0EEEvSL_
		.amdhsa_group_segment_fixed_size 20480
		.amdhsa_private_segment_fixed_size 0
		.amdhsa_kernarg_size 344
		.amdhsa_user_sgpr_count 14
		.amdhsa_user_sgpr_dispatch_ptr 0
		.amdhsa_user_sgpr_queue_ptr 0
		.amdhsa_user_sgpr_kernarg_segment_ptr 1
		.amdhsa_user_sgpr_dispatch_id 0
		.amdhsa_user_sgpr_private_segment_size 0
		.amdhsa_wavefront_size32 1
		.amdhsa_uses_dynamic_stack 0
		.amdhsa_enable_private_segment 0
		.amdhsa_system_sgpr_workgroup_id_x 1
		.amdhsa_system_sgpr_workgroup_id_y 1
		.amdhsa_system_sgpr_workgroup_id_z 0
		.amdhsa_system_sgpr_workgroup_info 0
		.amdhsa_system_vgpr_workitem_id 2
		.amdhsa_next_free_vgpr 71
		.amdhsa_next_free_sgpr 40
		.amdhsa_reserve_vcc 1
		.amdhsa_float_round_mode_32 0
		.amdhsa_float_round_mode_16_64 0
		.amdhsa_float_denorm_mode_32 3
		.amdhsa_float_denorm_mode_16_64 3
		.amdhsa_dx10_clamp 1
		.amdhsa_ieee_mode 1
		.amdhsa_fp16_overflow 0
		.amdhsa_workgroup_processor_mode 1
		.amdhsa_memory_ordered 1
		.amdhsa_forward_progress 0
		.amdhsa_shared_vgpr_count 0
		.amdhsa_exception_fp_ieee_invalid_op 0
		.amdhsa_exception_fp_denorm_src 0
		.amdhsa_exception_fp_ieee_div_zero 0
		.amdhsa_exception_fp_ieee_overflow 0
		.amdhsa_exception_fp_ieee_underflow 0
		.amdhsa_exception_fp_ieee_inexact 0
		.amdhsa_exception_int_div_zero 0
	.end_amdhsa_kernel
	.section	.text._ZN7rocprim17ROCPRIM_400000_NS6detail17trampoline_kernelINS0_14default_configENS1_36segmented_radix_sort_config_selectorI6__halflEEZNS1_25segmented_radix_sort_implIS3_Lb0EPKS5_PS5_PKlPlN2at6native12_GLOBAL__N_18offset_tEEE10hipError_tPvRmT1_PNSt15iterator_traitsISL_E10value_typeET2_T3_PNSM_ISR_E10value_typeET4_jRbjT5_SX_jjP12ihipStream_tbEUlT_E0_NS1_11comp_targetILNS1_3genE9ELNS1_11target_archE1100ELNS1_3gpuE3ELNS1_3repE0EEENS1_60segmented_radix_sort_warp_sort_medium_config_static_selectorELNS0_4arch9wavefront6targetE0EEEvSL_,"axG",@progbits,_ZN7rocprim17ROCPRIM_400000_NS6detail17trampoline_kernelINS0_14default_configENS1_36segmented_radix_sort_config_selectorI6__halflEEZNS1_25segmented_radix_sort_implIS3_Lb0EPKS5_PS5_PKlPlN2at6native12_GLOBAL__N_18offset_tEEE10hipError_tPvRmT1_PNSt15iterator_traitsISL_E10value_typeET2_T3_PNSM_ISR_E10value_typeET4_jRbjT5_SX_jjP12ihipStream_tbEUlT_E0_NS1_11comp_targetILNS1_3genE9ELNS1_11target_archE1100ELNS1_3gpuE3ELNS1_3repE0EEENS1_60segmented_radix_sort_warp_sort_medium_config_static_selectorELNS0_4arch9wavefront6targetE0EEEvSL_,comdat
.Lfunc_end1860:
	.size	_ZN7rocprim17ROCPRIM_400000_NS6detail17trampoline_kernelINS0_14default_configENS1_36segmented_radix_sort_config_selectorI6__halflEEZNS1_25segmented_radix_sort_implIS3_Lb0EPKS5_PS5_PKlPlN2at6native12_GLOBAL__N_18offset_tEEE10hipError_tPvRmT1_PNSt15iterator_traitsISL_E10value_typeET2_T3_PNSM_ISR_E10value_typeET4_jRbjT5_SX_jjP12ihipStream_tbEUlT_E0_NS1_11comp_targetILNS1_3genE9ELNS1_11target_archE1100ELNS1_3gpuE3ELNS1_3repE0EEENS1_60segmented_radix_sort_warp_sort_medium_config_static_selectorELNS0_4arch9wavefront6targetE0EEEvSL_, .Lfunc_end1860-_ZN7rocprim17ROCPRIM_400000_NS6detail17trampoline_kernelINS0_14default_configENS1_36segmented_radix_sort_config_selectorI6__halflEEZNS1_25segmented_radix_sort_implIS3_Lb0EPKS5_PS5_PKlPlN2at6native12_GLOBAL__N_18offset_tEEE10hipError_tPvRmT1_PNSt15iterator_traitsISL_E10value_typeET2_T3_PNSM_ISR_E10value_typeET4_jRbjT5_SX_jjP12ihipStream_tbEUlT_E0_NS1_11comp_targetILNS1_3genE9ELNS1_11target_archE1100ELNS1_3gpuE3ELNS1_3repE0EEENS1_60segmented_radix_sort_warp_sort_medium_config_static_selectorELNS0_4arch9wavefront6targetE0EEEvSL_
                                        ; -- End function
	.section	.AMDGPU.csdata,"",@progbits
; Kernel info:
; codeLenInByte = 500
; NumSgprs: 42
; NumVgprs: 71
; ScratchSize: 0
; MemoryBound: 0
; FloatMode: 240
; IeeeMode: 1
; LDSByteSize: 20480 bytes/workgroup (compile time only)
; SGPRBlocks: 5
; VGPRBlocks: 8
; NumSGPRsForWavesPerEU: 42
; NumVGPRsForWavesPerEU: 71
; Occupancy: 12
; WaveLimiterHint : 0
; COMPUTE_PGM_RSRC2:SCRATCH_EN: 0
; COMPUTE_PGM_RSRC2:USER_SGPR: 14
; COMPUTE_PGM_RSRC2:TRAP_HANDLER: 0
; COMPUTE_PGM_RSRC2:TGID_X_EN: 1
; COMPUTE_PGM_RSRC2:TGID_Y_EN: 1
; COMPUTE_PGM_RSRC2:TGID_Z_EN: 0
; COMPUTE_PGM_RSRC2:TIDIG_COMP_CNT: 2
	.section	.text._ZN7rocprim17ROCPRIM_400000_NS6detail17trampoline_kernelINS0_14default_configENS1_36segmented_radix_sort_config_selectorI6__halflEEZNS1_25segmented_radix_sort_implIS3_Lb0EPKS5_PS5_PKlPlN2at6native12_GLOBAL__N_18offset_tEEE10hipError_tPvRmT1_PNSt15iterator_traitsISL_E10value_typeET2_T3_PNSM_ISR_E10value_typeET4_jRbjT5_SX_jjP12ihipStream_tbEUlT_E0_NS1_11comp_targetILNS1_3genE8ELNS1_11target_archE1030ELNS1_3gpuE2ELNS1_3repE0EEENS1_60segmented_radix_sort_warp_sort_medium_config_static_selectorELNS0_4arch9wavefront6targetE0EEEvSL_,"axG",@progbits,_ZN7rocprim17ROCPRIM_400000_NS6detail17trampoline_kernelINS0_14default_configENS1_36segmented_radix_sort_config_selectorI6__halflEEZNS1_25segmented_radix_sort_implIS3_Lb0EPKS5_PS5_PKlPlN2at6native12_GLOBAL__N_18offset_tEEE10hipError_tPvRmT1_PNSt15iterator_traitsISL_E10value_typeET2_T3_PNSM_ISR_E10value_typeET4_jRbjT5_SX_jjP12ihipStream_tbEUlT_E0_NS1_11comp_targetILNS1_3genE8ELNS1_11target_archE1030ELNS1_3gpuE2ELNS1_3repE0EEENS1_60segmented_radix_sort_warp_sort_medium_config_static_selectorELNS0_4arch9wavefront6targetE0EEEvSL_,comdat
	.globl	_ZN7rocprim17ROCPRIM_400000_NS6detail17trampoline_kernelINS0_14default_configENS1_36segmented_radix_sort_config_selectorI6__halflEEZNS1_25segmented_radix_sort_implIS3_Lb0EPKS5_PS5_PKlPlN2at6native12_GLOBAL__N_18offset_tEEE10hipError_tPvRmT1_PNSt15iterator_traitsISL_E10value_typeET2_T3_PNSM_ISR_E10value_typeET4_jRbjT5_SX_jjP12ihipStream_tbEUlT_E0_NS1_11comp_targetILNS1_3genE8ELNS1_11target_archE1030ELNS1_3gpuE2ELNS1_3repE0EEENS1_60segmented_radix_sort_warp_sort_medium_config_static_selectorELNS0_4arch9wavefront6targetE0EEEvSL_ ; -- Begin function _ZN7rocprim17ROCPRIM_400000_NS6detail17trampoline_kernelINS0_14default_configENS1_36segmented_radix_sort_config_selectorI6__halflEEZNS1_25segmented_radix_sort_implIS3_Lb0EPKS5_PS5_PKlPlN2at6native12_GLOBAL__N_18offset_tEEE10hipError_tPvRmT1_PNSt15iterator_traitsISL_E10value_typeET2_T3_PNSM_ISR_E10value_typeET4_jRbjT5_SX_jjP12ihipStream_tbEUlT_E0_NS1_11comp_targetILNS1_3genE8ELNS1_11target_archE1030ELNS1_3gpuE2ELNS1_3repE0EEENS1_60segmented_radix_sort_warp_sort_medium_config_static_selectorELNS0_4arch9wavefront6targetE0EEEvSL_
	.p2align	8
	.type	_ZN7rocprim17ROCPRIM_400000_NS6detail17trampoline_kernelINS0_14default_configENS1_36segmented_radix_sort_config_selectorI6__halflEEZNS1_25segmented_radix_sort_implIS3_Lb0EPKS5_PS5_PKlPlN2at6native12_GLOBAL__N_18offset_tEEE10hipError_tPvRmT1_PNSt15iterator_traitsISL_E10value_typeET2_T3_PNSM_ISR_E10value_typeET4_jRbjT5_SX_jjP12ihipStream_tbEUlT_E0_NS1_11comp_targetILNS1_3genE8ELNS1_11target_archE1030ELNS1_3gpuE2ELNS1_3repE0EEENS1_60segmented_radix_sort_warp_sort_medium_config_static_selectorELNS0_4arch9wavefront6targetE0EEEvSL_,@function
_ZN7rocprim17ROCPRIM_400000_NS6detail17trampoline_kernelINS0_14default_configENS1_36segmented_radix_sort_config_selectorI6__halflEEZNS1_25segmented_radix_sort_implIS3_Lb0EPKS5_PS5_PKlPlN2at6native12_GLOBAL__N_18offset_tEEE10hipError_tPvRmT1_PNSt15iterator_traitsISL_E10value_typeET2_T3_PNSM_ISR_E10value_typeET4_jRbjT5_SX_jjP12ihipStream_tbEUlT_E0_NS1_11comp_targetILNS1_3genE8ELNS1_11target_archE1030ELNS1_3gpuE2ELNS1_3repE0EEENS1_60segmented_radix_sort_warp_sort_medium_config_static_selectorELNS0_4arch9wavefront6targetE0EEEvSL_: ; @_ZN7rocprim17ROCPRIM_400000_NS6detail17trampoline_kernelINS0_14default_configENS1_36segmented_radix_sort_config_selectorI6__halflEEZNS1_25segmented_radix_sort_implIS3_Lb0EPKS5_PS5_PKlPlN2at6native12_GLOBAL__N_18offset_tEEE10hipError_tPvRmT1_PNSt15iterator_traitsISL_E10value_typeET2_T3_PNSM_ISR_E10value_typeET4_jRbjT5_SX_jjP12ihipStream_tbEUlT_E0_NS1_11comp_targetILNS1_3genE8ELNS1_11target_archE1030ELNS1_3gpuE2ELNS1_3repE0EEENS1_60segmented_radix_sort_warp_sort_medium_config_static_selectorELNS0_4arch9wavefront6targetE0EEEvSL_
; %bb.0:
	.section	.rodata,"a",@progbits
	.p2align	6, 0x0
	.amdhsa_kernel _ZN7rocprim17ROCPRIM_400000_NS6detail17trampoline_kernelINS0_14default_configENS1_36segmented_radix_sort_config_selectorI6__halflEEZNS1_25segmented_radix_sort_implIS3_Lb0EPKS5_PS5_PKlPlN2at6native12_GLOBAL__N_18offset_tEEE10hipError_tPvRmT1_PNSt15iterator_traitsISL_E10value_typeET2_T3_PNSM_ISR_E10value_typeET4_jRbjT5_SX_jjP12ihipStream_tbEUlT_E0_NS1_11comp_targetILNS1_3genE8ELNS1_11target_archE1030ELNS1_3gpuE2ELNS1_3repE0EEENS1_60segmented_radix_sort_warp_sort_medium_config_static_selectorELNS0_4arch9wavefront6targetE0EEEvSL_
		.amdhsa_group_segment_fixed_size 0
		.amdhsa_private_segment_fixed_size 0
		.amdhsa_kernarg_size 88
		.amdhsa_user_sgpr_count 15
		.amdhsa_user_sgpr_dispatch_ptr 0
		.amdhsa_user_sgpr_queue_ptr 0
		.amdhsa_user_sgpr_kernarg_segment_ptr 1
		.amdhsa_user_sgpr_dispatch_id 0
		.amdhsa_user_sgpr_private_segment_size 0
		.amdhsa_wavefront_size32 1
		.amdhsa_uses_dynamic_stack 0
		.amdhsa_enable_private_segment 0
		.amdhsa_system_sgpr_workgroup_id_x 1
		.amdhsa_system_sgpr_workgroup_id_y 0
		.amdhsa_system_sgpr_workgroup_id_z 0
		.amdhsa_system_sgpr_workgroup_info 0
		.amdhsa_system_vgpr_workitem_id 0
		.amdhsa_next_free_vgpr 1
		.amdhsa_next_free_sgpr 1
		.amdhsa_reserve_vcc 0
		.amdhsa_float_round_mode_32 0
		.amdhsa_float_round_mode_16_64 0
		.amdhsa_float_denorm_mode_32 3
		.amdhsa_float_denorm_mode_16_64 3
		.amdhsa_dx10_clamp 1
		.amdhsa_ieee_mode 1
		.amdhsa_fp16_overflow 0
		.amdhsa_workgroup_processor_mode 1
		.amdhsa_memory_ordered 1
		.amdhsa_forward_progress 0
		.amdhsa_shared_vgpr_count 0
		.amdhsa_exception_fp_ieee_invalid_op 0
		.amdhsa_exception_fp_denorm_src 0
		.amdhsa_exception_fp_ieee_div_zero 0
		.amdhsa_exception_fp_ieee_overflow 0
		.amdhsa_exception_fp_ieee_underflow 0
		.amdhsa_exception_fp_ieee_inexact 0
		.amdhsa_exception_int_div_zero 0
	.end_amdhsa_kernel
	.section	.text._ZN7rocprim17ROCPRIM_400000_NS6detail17trampoline_kernelINS0_14default_configENS1_36segmented_radix_sort_config_selectorI6__halflEEZNS1_25segmented_radix_sort_implIS3_Lb0EPKS5_PS5_PKlPlN2at6native12_GLOBAL__N_18offset_tEEE10hipError_tPvRmT1_PNSt15iterator_traitsISL_E10value_typeET2_T3_PNSM_ISR_E10value_typeET4_jRbjT5_SX_jjP12ihipStream_tbEUlT_E0_NS1_11comp_targetILNS1_3genE8ELNS1_11target_archE1030ELNS1_3gpuE2ELNS1_3repE0EEENS1_60segmented_radix_sort_warp_sort_medium_config_static_selectorELNS0_4arch9wavefront6targetE0EEEvSL_,"axG",@progbits,_ZN7rocprim17ROCPRIM_400000_NS6detail17trampoline_kernelINS0_14default_configENS1_36segmented_radix_sort_config_selectorI6__halflEEZNS1_25segmented_radix_sort_implIS3_Lb0EPKS5_PS5_PKlPlN2at6native12_GLOBAL__N_18offset_tEEE10hipError_tPvRmT1_PNSt15iterator_traitsISL_E10value_typeET2_T3_PNSM_ISR_E10value_typeET4_jRbjT5_SX_jjP12ihipStream_tbEUlT_E0_NS1_11comp_targetILNS1_3genE8ELNS1_11target_archE1030ELNS1_3gpuE2ELNS1_3repE0EEENS1_60segmented_radix_sort_warp_sort_medium_config_static_selectorELNS0_4arch9wavefront6targetE0EEEvSL_,comdat
.Lfunc_end1861:
	.size	_ZN7rocprim17ROCPRIM_400000_NS6detail17trampoline_kernelINS0_14default_configENS1_36segmented_radix_sort_config_selectorI6__halflEEZNS1_25segmented_radix_sort_implIS3_Lb0EPKS5_PS5_PKlPlN2at6native12_GLOBAL__N_18offset_tEEE10hipError_tPvRmT1_PNSt15iterator_traitsISL_E10value_typeET2_T3_PNSM_ISR_E10value_typeET4_jRbjT5_SX_jjP12ihipStream_tbEUlT_E0_NS1_11comp_targetILNS1_3genE8ELNS1_11target_archE1030ELNS1_3gpuE2ELNS1_3repE0EEENS1_60segmented_radix_sort_warp_sort_medium_config_static_selectorELNS0_4arch9wavefront6targetE0EEEvSL_, .Lfunc_end1861-_ZN7rocprim17ROCPRIM_400000_NS6detail17trampoline_kernelINS0_14default_configENS1_36segmented_radix_sort_config_selectorI6__halflEEZNS1_25segmented_radix_sort_implIS3_Lb0EPKS5_PS5_PKlPlN2at6native12_GLOBAL__N_18offset_tEEE10hipError_tPvRmT1_PNSt15iterator_traitsISL_E10value_typeET2_T3_PNSM_ISR_E10value_typeET4_jRbjT5_SX_jjP12ihipStream_tbEUlT_E0_NS1_11comp_targetILNS1_3genE8ELNS1_11target_archE1030ELNS1_3gpuE2ELNS1_3repE0EEENS1_60segmented_radix_sort_warp_sort_medium_config_static_selectorELNS0_4arch9wavefront6targetE0EEEvSL_
                                        ; -- End function
	.section	.AMDGPU.csdata,"",@progbits
; Kernel info:
; codeLenInByte = 0
; NumSgprs: 0
; NumVgprs: 0
; ScratchSize: 0
; MemoryBound: 0
; FloatMode: 240
; IeeeMode: 1
; LDSByteSize: 0 bytes/workgroup (compile time only)
; SGPRBlocks: 0
; VGPRBlocks: 0
; NumSGPRsForWavesPerEU: 1
; NumVGPRsForWavesPerEU: 1
; Occupancy: 16
; WaveLimiterHint : 0
; COMPUTE_PGM_RSRC2:SCRATCH_EN: 0
; COMPUTE_PGM_RSRC2:USER_SGPR: 15
; COMPUTE_PGM_RSRC2:TRAP_HANDLER: 0
; COMPUTE_PGM_RSRC2:TGID_X_EN: 1
; COMPUTE_PGM_RSRC2:TGID_Y_EN: 0
; COMPUTE_PGM_RSRC2:TGID_Z_EN: 0
; COMPUTE_PGM_RSRC2:TIDIG_COMP_CNT: 0
	.section	.text._ZN7rocprim17ROCPRIM_400000_NS6detail17trampoline_kernelINS0_14default_configENS1_36segmented_radix_sort_config_selectorI6__halflEEZNS1_25segmented_radix_sort_implIS3_Lb0EPKS5_PS5_PKlPlN2at6native12_GLOBAL__N_18offset_tEEE10hipError_tPvRmT1_PNSt15iterator_traitsISL_E10value_typeET2_T3_PNSM_ISR_E10value_typeET4_jRbjT5_SX_jjP12ihipStream_tbEUlT_E1_NS1_11comp_targetILNS1_3genE0ELNS1_11target_archE4294967295ELNS1_3gpuE0ELNS1_3repE0EEENS1_59segmented_radix_sort_warp_sort_small_config_static_selectorELNS0_4arch9wavefront6targetE0EEEvSL_,"axG",@progbits,_ZN7rocprim17ROCPRIM_400000_NS6detail17trampoline_kernelINS0_14default_configENS1_36segmented_radix_sort_config_selectorI6__halflEEZNS1_25segmented_radix_sort_implIS3_Lb0EPKS5_PS5_PKlPlN2at6native12_GLOBAL__N_18offset_tEEE10hipError_tPvRmT1_PNSt15iterator_traitsISL_E10value_typeET2_T3_PNSM_ISR_E10value_typeET4_jRbjT5_SX_jjP12ihipStream_tbEUlT_E1_NS1_11comp_targetILNS1_3genE0ELNS1_11target_archE4294967295ELNS1_3gpuE0ELNS1_3repE0EEENS1_59segmented_radix_sort_warp_sort_small_config_static_selectorELNS0_4arch9wavefront6targetE0EEEvSL_,comdat
	.globl	_ZN7rocprim17ROCPRIM_400000_NS6detail17trampoline_kernelINS0_14default_configENS1_36segmented_radix_sort_config_selectorI6__halflEEZNS1_25segmented_radix_sort_implIS3_Lb0EPKS5_PS5_PKlPlN2at6native12_GLOBAL__N_18offset_tEEE10hipError_tPvRmT1_PNSt15iterator_traitsISL_E10value_typeET2_T3_PNSM_ISR_E10value_typeET4_jRbjT5_SX_jjP12ihipStream_tbEUlT_E1_NS1_11comp_targetILNS1_3genE0ELNS1_11target_archE4294967295ELNS1_3gpuE0ELNS1_3repE0EEENS1_59segmented_radix_sort_warp_sort_small_config_static_selectorELNS0_4arch9wavefront6targetE0EEEvSL_ ; -- Begin function _ZN7rocprim17ROCPRIM_400000_NS6detail17trampoline_kernelINS0_14default_configENS1_36segmented_radix_sort_config_selectorI6__halflEEZNS1_25segmented_radix_sort_implIS3_Lb0EPKS5_PS5_PKlPlN2at6native12_GLOBAL__N_18offset_tEEE10hipError_tPvRmT1_PNSt15iterator_traitsISL_E10value_typeET2_T3_PNSM_ISR_E10value_typeET4_jRbjT5_SX_jjP12ihipStream_tbEUlT_E1_NS1_11comp_targetILNS1_3genE0ELNS1_11target_archE4294967295ELNS1_3gpuE0ELNS1_3repE0EEENS1_59segmented_radix_sort_warp_sort_small_config_static_selectorELNS0_4arch9wavefront6targetE0EEEvSL_
	.p2align	8
	.type	_ZN7rocprim17ROCPRIM_400000_NS6detail17trampoline_kernelINS0_14default_configENS1_36segmented_radix_sort_config_selectorI6__halflEEZNS1_25segmented_radix_sort_implIS3_Lb0EPKS5_PS5_PKlPlN2at6native12_GLOBAL__N_18offset_tEEE10hipError_tPvRmT1_PNSt15iterator_traitsISL_E10value_typeET2_T3_PNSM_ISR_E10value_typeET4_jRbjT5_SX_jjP12ihipStream_tbEUlT_E1_NS1_11comp_targetILNS1_3genE0ELNS1_11target_archE4294967295ELNS1_3gpuE0ELNS1_3repE0EEENS1_59segmented_radix_sort_warp_sort_small_config_static_selectorELNS0_4arch9wavefront6targetE0EEEvSL_,@function
_ZN7rocprim17ROCPRIM_400000_NS6detail17trampoline_kernelINS0_14default_configENS1_36segmented_radix_sort_config_selectorI6__halflEEZNS1_25segmented_radix_sort_implIS3_Lb0EPKS5_PS5_PKlPlN2at6native12_GLOBAL__N_18offset_tEEE10hipError_tPvRmT1_PNSt15iterator_traitsISL_E10value_typeET2_T3_PNSM_ISR_E10value_typeET4_jRbjT5_SX_jjP12ihipStream_tbEUlT_E1_NS1_11comp_targetILNS1_3genE0ELNS1_11target_archE4294967295ELNS1_3gpuE0ELNS1_3repE0EEENS1_59segmented_radix_sort_warp_sort_small_config_static_selectorELNS0_4arch9wavefront6targetE0EEEvSL_: ; @_ZN7rocprim17ROCPRIM_400000_NS6detail17trampoline_kernelINS0_14default_configENS1_36segmented_radix_sort_config_selectorI6__halflEEZNS1_25segmented_radix_sort_implIS3_Lb0EPKS5_PS5_PKlPlN2at6native12_GLOBAL__N_18offset_tEEE10hipError_tPvRmT1_PNSt15iterator_traitsISL_E10value_typeET2_T3_PNSM_ISR_E10value_typeET4_jRbjT5_SX_jjP12ihipStream_tbEUlT_E1_NS1_11comp_targetILNS1_3genE0ELNS1_11target_archE4294967295ELNS1_3gpuE0ELNS1_3repE0EEENS1_59segmented_radix_sort_warp_sort_small_config_static_selectorELNS0_4arch9wavefront6targetE0EEEvSL_
; %bb.0:
	.section	.rodata,"a",@progbits
	.p2align	6, 0x0
	.amdhsa_kernel _ZN7rocprim17ROCPRIM_400000_NS6detail17trampoline_kernelINS0_14default_configENS1_36segmented_radix_sort_config_selectorI6__halflEEZNS1_25segmented_radix_sort_implIS3_Lb0EPKS5_PS5_PKlPlN2at6native12_GLOBAL__N_18offset_tEEE10hipError_tPvRmT1_PNSt15iterator_traitsISL_E10value_typeET2_T3_PNSM_ISR_E10value_typeET4_jRbjT5_SX_jjP12ihipStream_tbEUlT_E1_NS1_11comp_targetILNS1_3genE0ELNS1_11target_archE4294967295ELNS1_3gpuE0ELNS1_3repE0EEENS1_59segmented_radix_sort_warp_sort_small_config_static_selectorELNS0_4arch9wavefront6targetE0EEEvSL_
		.amdhsa_group_segment_fixed_size 0
		.amdhsa_private_segment_fixed_size 0
		.amdhsa_kernarg_size 88
		.amdhsa_user_sgpr_count 15
		.amdhsa_user_sgpr_dispatch_ptr 0
		.amdhsa_user_sgpr_queue_ptr 0
		.amdhsa_user_sgpr_kernarg_segment_ptr 1
		.amdhsa_user_sgpr_dispatch_id 0
		.amdhsa_user_sgpr_private_segment_size 0
		.amdhsa_wavefront_size32 1
		.amdhsa_uses_dynamic_stack 0
		.amdhsa_enable_private_segment 0
		.amdhsa_system_sgpr_workgroup_id_x 1
		.amdhsa_system_sgpr_workgroup_id_y 0
		.amdhsa_system_sgpr_workgroup_id_z 0
		.amdhsa_system_sgpr_workgroup_info 0
		.amdhsa_system_vgpr_workitem_id 0
		.amdhsa_next_free_vgpr 1
		.amdhsa_next_free_sgpr 1
		.amdhsa_reserve_vcc 0
		.amdhsa_float_round_mode_32 0
		.amdhsa_float_round_mode_16_64 0
		.amdhsa_float_denorm_mode_32 3
		.amdhsa_float_denorm_mode_16_64 3
		.amdhsa_dx10_clamp 1
		.amdhsa_ieee_mode 1
		.amdhsa_fp16_overflow 0
		.amdhsa_workgroup_processor_mode 1
		.amdhsa_memory_ordered 1
		.amdhsa_forward_progress 0
		.amdhsa_shared_vgpr_count 0
		.amdhsa_exception_fp_ieee_invalid_op 0
		.amdhsa_exception_fp_denorm_src 0
		.amdhsa_exception_fp_ieee_div_zero 0
		.amdhsa_exception_fp_ieee_overflow 0
		.amdhsa_exception_fp_ieee_underflow 0
		.amdhsa_exception_fp_ieee_inexact 0
		.amdhsa_exception_int_div_zero 0
	.end_amdhsa_kernel
	.section	.text._ZN7rocprim17ROCPRIM_400000_NS6detail17trampoline_kernelINS0_14default_configENS1_36segmented_radix_sort_config_selectorI6__halflEEZNS1_25segmented_radix_sort_implIS3_Lb0EPKS5_PS5_PKlPlN2at6native12_GLOBAL__N_18offset_tEEE10hipError_tPvRmT1_PNSt15iterator_traitsISL_E10value_typeET2_T3_PNSM_ISR_E10value_typeET4_jRbjT5_SX_jjP12ihipStream_tbEUlT_E1_NS1_11comp_targetILNS1_3genE0ELNS1_11target_archE4294967295ELNS1_3gpuE0ELNS1_3repE0EEENS1_59segmented_radix_sort_warp_sort_small_config_static_selectorELNS0_4arch9wavefront6targetE0EEEvSL_,"axG",@progbits,_ZN7rocprim17ROCPRIM_400000_NS6detail17trampoline_kernelINS0_14default_configENS1_36segmented_radix_sort_config_selectorI6__halflEEZNS1_25segmented_radix_sort_implIS3_Lb0EPKS5_PS5_PKlPlN2at6native12_GLOBAL__N_18offset_tEEE10hipError_tPvRmT1_PNSt15iterator_traitsISL_E10value_typeET2_T3_PNSM_ISR_E10value_typeET4_jRbjT5_SX_jjP12ihipStream_tbEUlT_E1_NS1_11comp_targetILNS1_3genE0ELNS1_11target_archE4294967295ELNS1_3gpuE0ELNS1_3repE0EEENS1_59segmented_radix_sort_warp_sort_small_config_static_selectorELNS0_4arch9wavefront6targetE0EEEvSL_,comdat
.Lfunc_end1862:
	.size	_ZN7rocprim17ROCPRIM_400000_NS6detail17trampoline_kernelINS0_14default_configENS1_36segmented_radix_sort_config_selectorI6__halflEEZNS1_25segmented_radix_sort_implIS3_Lb0EPKS5_PS5_PKlPlN2at6native12_GLOBAL__N_18offset_tEEE10hipError_tPvRmT1_PNSt15iterator_traitsISL_E10value_typeET2_T3_PNSM_ISR_E10value_typeET4_jRbjT5_SX_jjP12ihipStream_tbEUlT_E1_NS1_11comp_targetILNS1_3genE0ELNS1_11target_archE4294967295ELNS1_3gpuE0ELNS1_3repE0EEENS1_59segmented_radix_sort_warp_sort_small_config_static_selectorELNS0_4arch9wavefront6targetE0EEEvSL_, .Lfunc_end1862-_ZN7rocprim17ROCPRIM_400000_NS6detail17trampoline_kernelINS0_14default_configENS1_36segmented_radix_sort_config_selectorI6__halflEEZNS1_25segmented_radix_sort_implIS3_Lb0EPKS5_PS5_PKlPlN2at6native12_GLOBAL__N_18offset_tEEE10hipError_tPvRmT1_PNSt15iterator_traitsISL_E10value_typeET2_T3_PNSM_ISR_E10value_typeET4_jRbjT5_SX_jjP12ihipStream_tbEUlT_E1_NS1_11comp_targetILNS1_3genE0ELNS1_11target_archE4294967295ELNS1_3gpuE0ELNS1_3repE0EEENS1_59segmented_radix_sort_warp_sort_small_config_static_selectorELNS0_4arch9wavefront6targetE0EEEvSL_
                                        ; -- End function
	.section	.AMDGPU.csdata,"",@progbits
; Kernel info:
; codeLenInByte = 0
; NumSgprs: 0
; NumVgprs: 0
; ScratchSize: 0
; MemoryBound: 0
; FloatMode: 240
; IeeeMode: 1
; LDSByteSize: 0 bytes/workgroup (compile time only)
; SGPRBlocks: 0
; VGPRBlocks: 0
; NumSGPRsForWavesPerEU: 1
; NumVGPRsForWavesPerEU: 1
; Occupancy: 16
; WaveLimiterHint : 0
; COMPUTE_PGM_RSRC2:SCRATCH_EN: 0
; COMPUTE_PGM_RSRC2:USER_SGPR: 15
; COMPUTE_PGM_RSRC2:TRAP_HANDLER: 0
; COMPUTE_PGM_RSRC2:TGID_X_EN: 1
; COMPUTE_PGM_RSRC2:TGID_Y_EN: 0
; COMPUTE_PGM_RSRC2:TGID_Z_EN: 0
; COMPUTE_PGM_RSRC2:TIDIG_COMP_CNT: 0
	.section	.text._ZN7rocprim17ROCPRIM_400000_NS6detail17trampoline_kernelINS0_14default_configENS1_36segmented_radix_sort_config_selectorI6__halflEEZNS1_25segmented_radix_sort_implIS3_Lb0EPKS5_PS5_PKlPlN2at6native12_GLOBAL__N_18offset_tEEE10hipError_tPvRmT1_PNSt15iterator_traitsISL_E10value_typeET2_T3_PNSM_ISR_E10value_typeET4_jRbjT5_SX_jjP12ihipStream_tbEUlT_E1_NS1_11comp_targetILNS1_3genE5ELNS1_11target_archE942ELNS1_3gpuE9ELNS1_3repE0EEENS1_59segmented_radix_sort_warp_sort_small_config_static_selectorELNS0_4arch9wavefront6targetE0EEEvSL_,"axG",@progbits,_ZN7rocprim17ROCPRIM_400000_NS6detail17trampoline_kernelINS0_14default_configENS1_36segmented_radix_sort_config_selectorI6__halflEEZNS1_25segmented_radix_sort_implIS3_Lb0EPKS5_PS5_PKlPlN2at6native12_GLOBAL__N_18offset_tEEE10hipError_tPvRmT1_PNSt15iterator_traitsISL_E10value_typeET2_T3_PNSM_ISR_E10value_typeET4_jRbjT5_SX_jjP12ihipStream_tbEUlT_E1_NS1_11comp_targetILNS1_3genE5ELNS1_11target_archE942ELNS1_3gpuE9ELNS1_3repE0EEENS1_59segmented_radix_sort_warp_sort_small_config_static_selectorELNS0_4arch9wavefront6targetE0EEEvSL_,comdat
	.globl	_ZN7rocprim17ROCPRIM_400000_NS6detail17trampoline_kernelINS0_14default_configENS1_36segmented_radix_sort_config_selectorI6__halflEEZNS1_25segmented_radix_sort_implIS3_Lb0EPKS5_PS5_PKlPlN2at6native12_GLOBAL__N_18offset_tEEE10hipError_tPvRmT1_PNSt15iterator_traitsISL_E10value_typeET2_T3_PNSM_ISR_E10value_typeET4_jRbjT5_SX_jjP12ihipStream_tbEUlT_E1_NS1_11comp_targetILNS1_3genE5ELNS1_11target_archE942ELNS1_3gpuE9ELNS1_3repE0EEENS1_59segmented_radix_sort_warp_sort_small_config_static_selectorELNS0_4arch9wavefront6targetE0EEEvSL_ ; -- Begin function _ZN7rocprim17ROCPRIM_400000_NS6detail17trampoline_kernelINS0_14default_configENS1_36segmented_radix_sort_config_selectorI6__halflEEZNS1_25segmented_radix_sort_implIS3_Lb0EPKS5_PS5_PKlPlN2at6native12_GLOBAL__N_18offset_tEEE10hipError_tPvRmT1_PNSt15iterator_traitsISL_E10value_typeET2_T3_PNSM_ISR_E10value_typeET4_jRbjT5_SX_jjP12ihipStream_tbEUlT_E1_NS1_11comp_targetILNS1_3genE5ELNS1_11target_archE942ELNS1_3gpuE9ELNS1_3repE0EEENS1_59segmented_radix_sort_warp_sort_small_config_static_selectorELNS0_4arch9wavefront6targetE0EEEvSL_
	.p2align	8
	.type	_ZN7rocprim17ROCPRIM_400000_NS6detail17trampoline_kernelINS0_14default_configENS1_36segmented_radix_sort_config_selectorI6__halflEEZNS1_25segmented_radix_sort_implIS3_Lb0EPKS5_PS5_PKlPlN2at6native12_GLOBAL__N_18offset_tEEE10hipError_tPvRmT1_PNSt15iterator_traitsISL_E10value_typeET2_T3_PNSM_ISR_E10value_typeET4_jRbjT5_SX_jjP12ihipStream_tbEUlT_E1_NS1_11comp_targetILNS1_3genE5ELNS1_11target_archE942ELNS1_3gpuE9ELNS1_3repE0EEENS1_59segmented_radix_sort_warp_sort_small_config_static_selectorELNS0_4arch9wavefront6targetE0EEEvSL_,@function
_ZN7rocprim17ROCPRIM_400000_NS6detail17trampoline_kernelINS0_14default_configENS1_36segmented_radix_sort_config_selectorI6__halflEEZNS1_25segmented_radix_sort_implIS3_Lb0EPKS5_PS5_PKlPlN2at6native12_GLOBAL__N_18offset_tEEE10hipError_tPvRmT1_PNSt15iterator_traitsISL_E10value_typeET2_T3_PNSM_ISR_E10value_typeET4_jRbjT5_SX_jjP12ihipStream_tbEUlT_E1_NS1_11comp_targetILNS1_3genE5ELNS1_11target_archE942ELNS1_3gpuE9ELNS1_3repE0EEENS1_59segmented_radix_sort_warp_sort_small_config_static_selectorELNS0_4arch9wavefront6targetE0EEEvSL_: ; @_ZN7rocprim17ROCPRIM_400000_NS6detail17trampoline_kernelINS0_14default_configENS1_36segmented_radix_sort_config_selectorI6__halflEEZNS1_25segmented_radix_sort_implIS3_Lb0EPKS5_PS5_PKlPlN2at6native12_GLOBAL__N_18offset_tEEE10hipError_tPvRmT1_PNSt15iterator_traitsISL_E10value_typeET2_T3_PNSM_ISR_E10value_typeET4_jRbjT5_SX_jjP12ihipStream_tbEUlT_E1_NS1_11comp_targetILNS1_3genE5ELNS1_11target_archE942ELNS1_3gpuE9ELNS1_3repE0EEENS1_59segmented_radix_sort_warp_sort_small_config_static_selectorELNS0_4arch9wavefront6targetE0EEEvSL_
; %bb.0:
	.section	.rodata,"a",@progbits
	.p2align	6, 0x0
	.amdhsa_kernel _ZN7rocprim17ROCPRIM_400000_NS6detail17trampoline_kernelINS0_14default_configENS1_36segmented_radix_sort_config_selectorI6__halflEEZNS1_25segmented_radix_sort_implIS3_Lb0EPKS5_PS5_PKlPlN2at6native12_GLOBAL__N_18offset_tEEE10hipError_tPvRmT1_PNSt15iterator_traitsISL_E10value_typeET2_T3_PNSM_ISR_E10value_typeET4_jRbjT5_SX_jjP12ihipStream_tbEUlT_E1_NS1_11comp_targetILNS1_3genE5ELNS1_11target_archE942ELNS1_3gpuE9ELNS1_3repE0EEENS1_59segmented_radix_sort_warp_sort_small_config_static_selectorELNS0_4arch9wavefront6targetE0EEEvSL_
		.amdhsa_group_segment_fixed_size 0
		.amdhsa_private_segment_fixed_size 0
		.amdhsa_kernarg_size 88
		.amdhsa_user_sgpr_count 15
		.amdhsa_user_sgpr_dispatch_ptr 0
		.amdhsa_user_sgpr_queue_ptr 0
		.amdhsa_user_sgpr_kernarg_segment_ptr 1
		.amdhsa_user_sgpr_dispatch_id 0
		.amdhsa_user_sgpr_private_segment_size 0
		.amdhsa_wavefront_size32 1
		.amdhsa_uses_dynamic_stack 0
		.amdhsa_enable_private_segment 0
		.amdhsa_system_sgpr_workgroup_id_x 1
		.amdhsa_system_sgpr_workgroup_id_y 0
		.amdhsa_system_sgpr_workgroup_id_z 0
		.amdhsa_system_sgpr_workgroup_info 0
		.amdhsa_system_vgpr_workitem_id 0
		.amdhsa_next_free_vgpr 1
		.amdhsa_next_free_sgpr 1
		.amdhsa_reserve_vcc 0
		.amdhsa_float_round_mode_32 0
		.amdhsa_float_round_mode_16_64 0
		.amdhsa_float_denorm_mode_32 3
		.amdhsa_float_denorm_mode_16_64 3
		.amdhsa_dx10_clamp 1
		.amdhsa_ieee_mode 1
		.amdhsa_fp16_overflow 0
		.amdhsa_workgroup_processor_mode 1
		.amdhsa_memory_ordered 1
		.amdhsa_forward_progress 0
		.amdhsa_shared_vgpr_count 0
		.amdhsa_exception_fp_ieee_invalid_op 0
		.amdhsa_exception_fp_denorm_src 0
		.amdhsa_exception_fp_ieee_div_zero 0
		.amdhsa_exception_fp_ieee_overflow 0
		.amdhsa_exception_fp_ieee_underflow 0
		.amdhsa_exception_fp_ieee_inexact 0
		.amdhsa_exception_int_div_zero 0
	.end_amdhsa_kernel
	.section	.text._ZN7rocprim17ROCPRIM_400000_NS6detail17trampoline_kernelINS0_14default_configENS1_36segmented_radix_sort_config_selectorI6__halflEEZNS1_25segmented_radix_sort_implIS3_Lb0EPKS5_PS5_PKlPlN2at6native12_GLOBAL__N_18offset_tEEE10hipError_tPvRmT1_PNSt15iterator_traitsISL_E10value_typeET2_T3_PNSM_ISR_E10value_typeET4_jRbjT5_SX_jjP12ihipStream_tbEUlT_E1_NS1_11comp_targetILNS1_3genE5ELNS1_11target_archE942ELNS1_3gpuE9ELNS1_3repE0EEENS1_59segmented_radix_sort_warp_sort_small_config_static_selectorELNS0_4arch9wavefront6targetE0EEEvSL_,"axG",@progbits,_ZN7rocprim17ROCPRIM_400000_NS6detail17trampoline_kernelINS0_14default_configENS1_36segmented_radix_sort_config_selectorI6__halflEEZNS1_25segmented_radix_sort_implIS3_Lb0EPKS5_PS5_PKlPlN2at6native12_GLOBAL__N_18offset_tEEE10hipError_tPvRmT1_PNSt15iterator_traitsISL_E10value_typeET2_T3_PNSM_ISR_E10value_typeET4_jRbjT5_SX_jjP12ihipStream_tbEUlT_E1_NS1_11comp_targetILNS1_3genE5ELNS1_11target_archE942ELNS1_3gpuE9ELNS1_3repE0EEENS1_59segmented_radix_sort_warp_sort_small_config_static_selectorELNS0_4arch9wavefront6targetE0EEEvSL_,comdat
.Lfunc_end1863:
	.size	_ZN7rocprim17ROCPRIM_400000_NS6detail17trampoline_kernelINS0_14default_configENS1_36segmented_radix_sort_config_selectorI6__halflEEZNS1_25segmented_radix_sort_implIS3_Lb0EPKS5_PS5_PKlPlN2at6native12_GLOBAL__N_18offset_tEEE10hipError_tPvRmT1_PNSt15iterator_traitsISL_E10value_typeET2_T3_PNSM_ISR_E10value_typeET4_jRbjT5_SX_jjP12ihipStream_tbEUlT_E1_NS1_11comp_targetILNS1_3genE5ELNS1_11target_archE942ELNS1_3gpuE9ELNS1_3repE0EEENS1_59segmented_radix_sort_warp_sort_small_config_static_selectorELNS0_4arch9wavefront6targetE0EEEvSL_, .Lfunc_end1863-_ZN7rocprim17ROCPRIM_400000_NS6detail17trampoline_kernelINS0_14default_configENS1_36segmented_radix_sort_config_selectorI6__halflEEZNS1_25segmented_radix_sort_implIS3_Lb0EPKS5_PS5_PKlPlN2at6native12_GLOBAL__N_18offset_tEEE10hipError_tPvRmT1_PNSt15iterator_traitsISL_E10value_typeET2_T3_PNSM_ISR_E10value_typeET4_jRbjT5_SX_jjP12ihipStream_tbEUlT_E1_NS1_11comp_targetILNS1_3genE5ELNS1_11target_archE942ELNS1_3gpuE9ELNS1_3repE0EEENS1_59segmented_radix_sort_warp_sort_small_config_static_selectorELNS0_4arch9wavefront6targetE0EEEvSL_
                                        ; -- End function
	.section	.AMDGPU.csdata,"",@progbits
; Kernel info:
; codeLenInByte = 0
; NumSgprs: 0
; NumVgprs: 0
; ScratchSize: 0
; MemoryBound: 0
; FloatMode: 240
; IeeeMode: 1
; LDSByteSize: 0 bytes/workgroup (compile time only)
; SGPRBlocks: 0
; VGPRBlocks: 0
; NumSGPRsForWavesPerEU: 1
; NumVGPRsForWavesPerEU: 1
; Occupancy: 16
; WaveLimiterHint : 0
; COMPUTE_PGM_RSRC2:SCRATCH_EN: 0
; COMPUTE_PGM_RSRC2:USER_SGPR: 15
; COMPUTE_PGM_RSRC2:TRAP_HANDLER: 0
; COMPUTE_PGM_RSRC2:TGID_X_EN: 1
; COMPUTE_PGM_RSRC2:TGID_Y_EN: 0
; COMPUTE_PGM_RSRC2:TGID_Z_EN: 0
; COMPUTE_PGM_RSRC2:TIDIG_COMP_CNT: 0
	.section	.text._ZN7rocprim17ROCPRIM_400000_NS6detail17trampoline_kernelINS0_14default_configENS1_36segmented_radix_sort_config_selectorI6__halflEEZNS1_25segmented_radix_sort_implIS3_Lb0EPKS5_PS5_PKlPlN2at6native12_GLOBAL__N_18offset_tEEE10hipError_tPvRmT1_PNSt15iterator_traitsISL_E10value_typeET2_T3_PNSM_ISR_E10value_typeET4_jRbjT5_SX_jjP12ihipStream_tbEUlT_E1_NS1_11comp_targetILNS1_3genE4ELNS1_11target_archE910ELNS1_3gpuE8ELNS1_3repE0EEENS1_59segmented_radix_sort_warp_sort_small_config_static_selectorELNS0_4arch9wavefront6targetE0EEEvSL_,"axG",@progbits,_ZN7rocprim17ROCPRIM_400000_NS6detail17trampoline_kernelINS0_14default_configENS1_36segmented_radix_sort_config_selectorI6__halflEEZNS1_25segmented_radix_sort_implIS3_Lb0EPKS5_PS5_PKlPlN2at6native12_GLOBAL__N_18offset_tEEE10hipError_tPvRmT1_PNSt15iterator_traitsISL_E10value_typeET2_T3_PNSM_ISR_E10value_typeET4_jRbjT5_SX_jjP12ihipStream_tbEUlT_E1_NS1_11comp_targetILNS1_3genE4ELNS1_11target_archE910ELNS1_3gpuE8ELNS1_3repE0EEENS1_59segmented_radix_sort_warp_sort_small_config_static_selectorELNS0_4arch9wavefront6targetE0EEEvSL_,comdat
	.globl	_ZN7rocprim17ROCPRIM_400000_NS6detail17trampoline_kernelINS0_14default_configENS1_36segmented_radix_sort_config_selectorI6__halflEEZNS1_25segmented_radix_sort_implIS3_Lb0EPKS5_PS5_PKlPlN2at6native12_GLOBAL__N_18offset_tEEE10hipError_tPvRmT1_PNSt15iterator_traitsISL_E10value_typeET2_T3_PNSM_ISR_E10value_typeET4_jRbjT5_SX_jjP12ihipStream_tbEUlT_E1_NS1_11comp_targetILNS1_3genE4ELNS1_11target_archE910ELNS1_3gpuE8ELNS1_3repE0EEENS1_59segmented_radix_sort_warp_sort_small_config_static_selectorELNS0_4arch9wavefront6targetE0EEEvSL_ ; -- Begin function _ZN7rocprim17ROCPRIM_400000_NS6detail17trampoline_kernelINS0_14default_configENS1_36segmented_radix_sort_config_selectorI6__halflEEZNS1_25segmented_radix_sort_implIS3_Lb0EPKS5_PS5_PKlPlN2at6native12_GLOBAL__N_18offset_tEEE10hipError_tPvRmT1_PNSt15iterator_traitsISL_E10value_typeET2_T3_PNSM_ISR_E10value_typeET4_jRbjT5_SX_jjP12ihipStream_tbEUlT_E1_NS1_11comp_targetILNS1_3genE4ELNS1_11target_archE910ELNS1_3gpuE8ELNS1_3repE0EEENS1_59segmented_radix_sort_warp_sort_small_config_static_selectorELNS0_4arch9wavefront6targetE0EEEvSL_
	.p2align	8
	.type	_ZN7rocprim17ROCPRIM_400000_NS6detail17trampoline_kernelINS0_14default_configENS1_36segmented_radix_sort_config_selectorI6__halflEEZNS1_25segmented_radix_sort_implIS3_Lb0EPKS5_PS5_PKlPlN2at6native12_GLOBAL__N_18offset_tEEE10hipError_tPvRmT1_PNSt15iterator_traitsISL_E10value_typeET2_T3_PNSM_ISR_E10value_typeET4_jRbjT5_SX_jjP12ihipStream_tbEUlT_E1_NS1_11comp_targetILNS1_3genE4ELNS1_11target_archE910ELNS1_3gpuE8ELNS1_3repE0EEENS1_59segmented_radix_sort_warp_sort_small_config_static_selectorELNS0_4arch9wavefront6targetE0EEEvSL_,@function
_ZN7rocprim17ROCPRIM_400000_NS6detail17trampoline_kernelINS0_14default_configENS1_36segmented_radix_sort_config_selectorI6__halflEEZNS1_25segmented_radix_sort_implIS3_Lb0EPKS5_PS5_PKlPlN2at6native12_GLOBAL__N_18offset_tEEE10hipError_tPvRmT1_PNSt15iterator_traitsISL_E10value_typeET2_T3_PNSM_ISR_E10value_typeET4_jRbjT5_SX_jjP12ihipStream_tbEUlT_E1_NS1_11comp_targetILNS1_3genE4ELNS1_11target_archE910ELNS1_3gpuE8ELNS1_3repE0EEENS1_59segmented_radix_sort_warp_sort_small_config_static_selectorELNS0_4arch9wavefront6targetE0EEEvSL_: ; @_ZN7rocprim17ROCPRIM_400000_NS6detail17trampoline_kernelINS0_14default_configENS1_36segmented_radix_sort_config_selectorI6__halflEEZNS1_25segmented_radix_sort_implIS3_Lb0EPKS5_PS5_PKlPlN2at6native12_GLOBAL__N_18offset_tEEE10hipError_tPvRmT1_PNSt15iterator_traitsISL_E10value_typeET2_T3_PNSM_ISR_E10value_typeET4_jRbjT5_SX_jjP12ihipStream_tbEUlT_E1_NS1_11comp_targetILNS1_3genE4ELNS1_11target_archE910ELNS1_3gpuE8ELNS1_3repE0EEENS1_59segmented_radix_sort_warp_sort_small_config_static_selectorELNS0_4arch9wavefront6targetE0EEEvSL_
; %bb.0:
	.section	.rodata,"a",@progbits
	.p2align	6, 0x0
	.amdhsa_kernel _ZN7rocprim17ROCPRIM_400000_NS6detail17trampoline_kernelINS0_14default_configENS1_36segmented_radix_sort_config_selectorI6__halflEEZNS1_25segmented_radix_sort_implIS3_Lb0EPKS5_PS5_PKlPlN2at6native12_GLOBAL__N_18offset_tEEE10hipError_tPvRmT1_PNSt15iterator_traitsISL_E10value_typeET2_T3_PNSM_ISR_E10value_typeET4_jRbjT5_SX_jjP12ihipStream_tbEUlT_E1_NS1_11comp_targetILNS1_3genE4ELNS1_11target_archE910ELNS1_3gpuE8ELNS1_3repE0EEENS1_59segmented_radix_sort_warp_sort_small_config_static_selectorELNS0_4arch9wavefront6targetE0EEEvSL_
		.amdhsa_group_segment_fixed_size 0
		.amdhsa_private_segment_fixed_size 0
		.amdhsa_kernarg_size 88
		.amdhsa_user_sgpr_count 15
		.amdhsa_user_sgpr_dispatch_ptr 0
		.amdhsa_user_sgpr_queue_ptr 0
		.amdhsa_user_sgpr_kernarg_segment_ptr 1
		.amdhsa_user_sgpr_dispatch_id 0
		.amdhsa_user_sgpr_private_segment_size 0
		.amdhsa_wavefront_size32 1
		.amdhsa_uses_dynamic_stack 0
		.amdhsa_enable_private_segment 0
		.amdhsa_system_sgpr_workgroup_id_x 1
		.amdhsa_system_sgpr_workgroup_id_y 0
		.amdhsa_system_sgpr_workgroup_id_z 0
		.amdhsa_system_sgpr_workgroup_info 0
		.amdhsa_system_vgpr_workitem_id 0
		.amdhsa_next_free_vgpr 1
		.amdhsa_next_free_sgpr 1
		.amdhsa_reserve_vcc 0
		.amdhsa_float_round_mode_32 0
		.amdhsa_float_round_mode_16_64 0
		.amdhsa_float_denorm_mode_32 3
		.amdhsa_float_denorm_mode_16_64 3
		.amdhsa_dx10_clamp 1
		.amdhsa_ieee_mode 1
		.amdhsa_fp16_overflow 0
		.amdhsa_workgroup_processor_mode 1
		.amdhsa_memory_ordered 1
		.amdhsa_forward_progress 0
		.amdhsa_shared_vgpr_count 0
		.amdhsa_exception_fp_ieee_invalid_op 0
		.amdhsa_exception_fp_denorm_src 0
		.amdhsa_exception_fp_ieee_div_zero 0
		.amdhsa_exception_fp_ieee_overflow 0
		.amdhsa_exception_fp_ieee_underflow 0
		.amdhsa_exception_fp_ieee_inexact 0
		.amdhsa_exception_int_div_zero 0
	.end_amdhsa_kernel
	.section	.text._ZN7rocprim17ROCPRIM_400000_NS6detail17trampoline_kernelINS0_14default_configENS1_36segmented_radix_sort_config_selectorI6__halflEEZNS1_25segmented_radix_sort_implIS3_Lb0EPKS5_PS5_PKlPlN2at6native12_GLOBAL__N_18offset_tEEE10hipError_tPvRmT1_PNSt15iterator_traitsISL_E10value_typeET2_T3_PNSM_ISR_E10value_typeET4_jRbjT5_SX_jjP12ihipStream_tbEUlT_E1_NS1_11comp_targetILNS1_3genE4ELNS1_11target_archE910ELNS1_3gpuE8ELNS1_3repE0EEENS1_59segmented_radix_sort_warp_sort_small_config_static_selectorELNS0_4arch9wavefront6targetE0EEEvSL_,"axG",@progbits,_ZN7rocprim17ROCPRIM_400000_NS6detail17trampoline_kernelINS0_14default_configENS1_36segmented_radix_sort_config_selectorI6__halflEEZNS1_25segmented_radix_sort_implIS3_Lb0EPKS5_PS5_PKlPlN2at6native12_GLOBAL__N_18offset_tEEE10hipError_tPvRmT1_PNSt15iterator_traitsISL_E10value_typeET2_T3_PNSM_ISR_E10value_typeET4_jRbjT5_SX_jjP12ihipStream_tbEUlT_E1_NS1_11comp_targetILNS1_3genE4ELNS1_11target_archE910ELNS1_3gpuE8ELNS1_3repE0EEENS1_59segmented_radix_sort_warp_sort_small_config_static_selectorELNS0_4arch9wavefront6targetE0EEEvSL_,comdat
.Lfunc_end1864:
	.size	_ZN7rocprim17ROCPRIM_400000_NS6detail17trampoline_kernelINS0_14default_configENS1_36segmented_radix_sort_config_selectorI6__halflEEZNS1_25segmented_radix_sort_implIS3_Lb0EPKS5_PS5_PKlPlN2at6native12_GLOBAL__N_18offset_tEEE10hipError_tPvRmT1_PNSt15iterator_traitsISL_E10value_typeET2_T3_PNSM_ISR_E10value_typeET4_jRbjT5_SX_jjP12ihipStream_tbEUlT_E1_NS1_11comp_targetILNS1_3genE4ELNS1_11target_archE910ELNS1_3gpuE8ELNS1_3repE0EEENS1_59segmented_radix_sort_warp_sort_small_config_static_selectorELNS0_4arch9wavefront6targetE0EEEvSL_, .Lfunc_end1864-_ZN7rocprim17ROCPRIM_400000_NS6detail17trampoline_kernelINS0_14default_configENS1_36segmented_radix_sort_config_selectorI6__halflEEZNS1_25segmented_radix_sort_implIS3_Lb0EPKS5_PS5_PKlPlN2at6native12_GLOBAL__N_18offset_tEEE10hipError_tPvRmT1_PNSt15iterator_traitsISL_E10value_typeET2_T3_PNSM_ISR_E10value_typeET4_jRbjT5_SX_jjP12ihipStream_tbEUlT_E1_NS1_11comp_targetILNS1_3genE4ELNS1_11target_archE910ELNS1_3gpuE8ELNS1_3repE0EEENS1_59segmented_radix_sort_warp_sort_small_config_static_selectorELNS0_4arch9wavefront6targetE0EEEvSL_
                                        ; -- End function
	.section	.AMDGPU.csdata,"",@progbits
; Kernel info:
; codeLenInByte = 0
; NumSgprs: 0
; NumVgprs: 0
; ScratchSize: 0
; MemoryBound: 0
; FloatMode: 240
; IeeeMode: 1
; LDSByteSize: 0 bytes/workgroup (compile time only)
; SGPRBlocks: 0
; VGPRBlocks: 0
; NumSGPRsForWavesPerEU: 1
; NumVGPRsForWavesPerEU: 1
; Occupancy: 16
; WaveLimiterHint : 0
; COMPUTE_PGM_RSRC2:SCRATCH_EN: 0
; COMPUTE_PGM_RSRC2:USER_SGPR: 15
; COMPUTE_PGM_RSRC2:TRAP_HANDLER: 0
; COMPUTE_PGM_RSRC2:TGID_X_EN: 1
; COMPUTE_PGM_RSRC2:TGID_Y_EN: 0
; COMPUTE_PGM_RSRC2:TGID_Z_EN: 0
; COMPUTE_PGM_RSRC2:TIDIG_COMP_CNT: 0
	.section	.text._ZN7rocprim17ROCPRIM_400000_NS6detail17trampoline_kernelINS0_14default_configENS1_36segmented_radix_sort_config_selectorI6__halflEEZNS1_25segmented_radix_sort_implIS3_Lb0EPKS5_PS5_PKlPlN2at6native12_GLOBAL__N_18offset_tEEE10hipError_tPvRmT1_PNSt15iterator_traitsISL_E10value_typeET2_T3_PNSM_ISR_E10value_typeET4_jRbjT5_SX_jjP12ihipStream_tbEUlT_E1_NS1_11comp_targetILNS1_3genE3ELNS1_11target_archE908ELNS1_3gpuE7ELNS1_3repE0EEENS1_59segmented_radix_sort_warp_sort_small_config_static_selectorELNS0_4arch9wavefront6targetE0EEEvSL_,"axG",@progbits,_ZN7rocprim17ROCPRIM_400000_NS6detail17trampoline_kernelINS0_14default_configENS1_36segmented_radix_sort_config_selectorI6__halflEEZNS1_25segmented_radix_sort_implIS3_Lb0EPKS5_PS5_PKlPlN2at6native12_GLOBAL__N_18offset_tEEE10hipError_tPvRmT1_PNSt15iterator_traitsISL_E10value_typeET2_T3_PNSM_ISR_E10value_typeET4_jRbjT5_SX_jjP12ihipStream_tbEUlT_E1_NS1_11comp_targetILNS1_3genE3ELNS1_11target_archE908ELNS1_3gpuE7ELNS1_3repE0EEENS1_59segmented_radix_sort_warp_sort_small_config_static_selectorELNS0_4arch9wavefront6targetE0EEEvSL_,comdat
	.globl	_ZN7rocprim17ROCPRIM_400000_NS6detail17trampoline_kernelINS0_14default_configENS1_36segmented_radix_sort_config_selectorI6__halflEEZNS1_25segmented_radix_sort_implIS3_Lb0EPKS5_PS5_PKlPlN2at6native12_GLOBAL__N_18offset_tEEE10hipError_tPvRmT1_PNSt15iterator_traitsISL_E10value_typeET2_T3_PNSM_ISR_E10value_typeET4_jRbjT5_SX_jjP12ihipStream_tbEUlT_E1_NS1_11comp_targetILNS1_3genE3ELNS1_11target_archE908ELNS1_3gpuE7ELNS1_3repE0EEENS1_59segmented_radix_sort_warp_sort_small_config_static_selectorELNS0_4arch9wavefront6targetE0EEEvSL_ ; -- Begin function _ZN7rocprim17ROCPRIM_400000_NS6detail17trampoline_kernelINS0_14default_configENS1_36segmented_radix_sort_config_selectorI6__halflEEZNS1_25segmented_radix_sort_implIS3_Lb0EPKS5_PS5_PKlPlN2at6native12_GLOBAL__N_18offset_tEEE10hipError_tPvRmT1_PNSt15iterator_traitsISL_E10value_typeET2_T3_PNSM_ISR_E10value_typeET4_jRbjT5_SX_jjP12ihipStream_tbEUlT_E1_NS1_11comp_targetILNS1_3genE3ELNS1_11target_archE908ELNS1_3gpuE7ELNS1_3repE0EEENS1_59segmented_radix_sort_warp_sort_small_config_static_selectorELNS0_4arch9wavefront6targetE0EEEvSL_
	.p2align	8
	.type	_ZN7rocprim17ROCPRIM_400000_NS6detail17trampoline_kernelINS0_14default_configENS1_36segmented_radix_sort_config_selectorI6__halflEEZNS1_25segmented_radix_sort_implIS3_Lb0EPKS5_PS5_PKlPlN2at6native12_GLOBAL__N_18offset_tEEE10hipError_tPvRmT1_PNSt15iterator_traitsISL_E10value_typeET2_T3_PNSM_ISR_E10value_typeET4_jRbjT5_SX_jjP12ihipStream_tbEUlT_E1_NS1_11comp_targetILNS1_3genE3ELNS1_11target_archE908ELNS1_3gpuE7ELNS1_3repE0EEENS1_59segmented_radix_sort_warp_sort_small_config_static_selectorELNS0_4arch9wavefront6targetE0EEEvSL_,@function
_ZN7rocprim17ROCPRIM_400000_NS6detail17trampoline_kernelINS0_14default_configENS1_36segmented_radix_sort_config_selectorI6__halflEEZNS1_25segmented_radix_sort_implIS3_Lb0EPKS5_PS5_PKlPlN2at6native12_GLOBAL__N_18offset_tEEE10hipError_tPvRmT1_PNSt15iterator_traitsISL_E10value_typeET2_T3_PNSM_ISR_E10value_typeET4_jRbjT5_SX_jjP12ihipStream_tbEUlT_E1_NS1_11comp_targetILNS1_3genE3ELNS1_11target_archE908ELNS1_3gpuE7ELNS1_3repE0EEENS1_59segmented_radix_sort_warp_sort_small_config_static_selectorELNS0_4arch9wavefront6targetE0EEEvSL_: ; @_ZN7rocprim17ROCPRIM_400000_NS6detail17trampoline_kernelINS0_14default_configENS1_36segmented_radix_sort_config_selectorI6__halflEEZNS1_25segmented_radix_sort_implIS3_Lb0EPKS5_PS5_PKlPlN2at6native12_GLOBAL__N_18offset_tEEE10hipError_tPvRmT1_PNSt15iterator_traitsISL_E10value_typeET2_T3_PNSM_ISR_E10value_typeET4_jRbjT5_SX_jjP12ihipStream_tbEUlT_E1_NS1_11comp_targetILNS1_3genE3ELNS1_11target_archE908ELNS1_3gpuE7ELNS1_3repE0EEENS1_59segmented_radix_sort_warp_sort_small_config_static_selectorELNS0_4arch9wavefront6targetE0EEEvSL_
; %bb.0:
	.section	.rodata,"a",@progbits
	.p2align	6, 0x0
	.amdhsa_kernel _ZN7rocprim17ROCPRIM_400000_NS6detail17trampoline_kernelINS0_14default_configENS1_36segmented_radix_sort_config_selectorI6__halflEEZNS1_25segmented_radix_sort_implIS3_Lb0EPKS5_PS5_PKlPlN2at6native12_GLOBAL__N_18offset_tEEE10hipError_tPvRmT1_PNSt15iterator_traitsISL_E10value_typeET2_T3_PNSM_ISR_E10value_typeET4_jRbjT5_SX_jjP12ihipStream_tbEUlT_E1_NS1_11comp_targetILNS1_3genE3ELNS1_11target_archE908ELNS1_3gpuE7ELNS1_3repE0EEENS1_59segmented_radix_sort_warp_sort_small_config_static_selectorELNS0_4arch9wavefront6targetE0EEEvSL_
		.amdhsa_group_segment_fixed_size 0
		.amdhsa_private_segment_fixed_size 0
		.amdhsa_kernarg_size 88
		.amdhsa_user_sgpr_count 15
		.amdhsa_user_sgpr_dispatch_ptr 0
		.amdhsa_user_sgpr_queue_ptr 0
		.amdhsa_user_sgpr_kernarg_segment_ptr 1
		.amdhsa_user_sgpr_dispatch_id 0
		.amdhsa_user_sgpr_private_segment_size 0
		.amdhsa_wavefront_size32 1
		.amdhsa_uses_dynamic_stack 0
		.amdhsa_enable_private_segment 0
		.amdhsa_system_sgpr_workgroup_id_x 1
		.amdhsa_system_sgpr_workgroup_id_y 0
		.amdhsa_system_sgpr_workgroup_id_z 0
		.amdhsa_system_sgpr_workgroup_info 0
		.amdhsa_system_vgpr_workitem_id 0
		.amdhsa_next_free_vgpr 1
		.amdhsa_next_free_sgpr 1
		.amdhsa_reserve_vcc 0
		.amdhsa_float_round_mode_32 0
		.amdhsa_float_round_mode_16_64 0
		.amdhsa_float_denorm_mode_32 3
		.amdhsa_float_denorm_mode_16_64 3
		.amdhsa_dx10_clamp 1
		.amdhsa_ieee_mode 1
		.amdhsa_fp16_overflow 0
		.amdhsa_workgroup_processor_mode 1
		.amdhsa_memory_ordered 1
		.amdhsa_forward_progress 0
		.amdhsa_shared_vgpr_count 0
		.amdhsa_exception_fp_ieee_invalid_op 0
		.amdhsa_exception_fp_denorm_src 0
		.amdhsa_exception_fp_ieee_div_zero 0
		.amdhsa_exception_fp_ieee_overflow 0
		.amdhsa_exception_fp_ieee_underflow 0
		.amdhsa_exception_fp_ieee_inexact 0
		.amdhsa_exception_int_div_zero 0
	.end_amdhsa_kernel
	.section	.text._ZN7rocprim17ROCPRIM_400000_NS6detail17trampoline_kernelINS0_14default_configENS1_36segmented_radix_sort_config_selectorI6__halflEEZNS1_25segmented_radix_sort_implIS3_Lb0EPKS5_PS5_PKlPlN2at6native12_GLOBAL__N_18offset_tEEE10hipError_tPvRmT1_PNSt15iterator_traitsISL_E10value_typeET2_T3_PNSM_ISR_E10value_typeET4_jRbjT5_SX_jjP12ihipStream_tbEUlT_E1_NS1_11comp_targetILNS1_3genE3ELNS1_11target_archE908ELNS1_3gpuE7ELNS1_3repE0EEENS1_59segmented_radix_sort_warp_sort_small_config_static_selectorELNS0_4arch9wavefront6targetE0EEEvSL_,"axG",@progbits,_ZN7rocprim17ROCPRIM_400000_NS6detail17trampoline_kernelINS0_14default_configENS1_36segmented_radix_sort_config_selectorI6__halflEEZNS1_25segmented_radix_sort_implIS3_Lb0EPKS5_PS5_PKlPlN2at6native12_GLOBAL__N_18offset_tEEE10hipError_tPvRmT1_PNSt15iterator_traitsISL_E10value_typeET2_T3_PNSM_ISR_E10value_typeET4_jRbjT5_SX_jjP12ihipStream_tbEUlT_E1_NS1_11comp_targetILNS1_3genE3ELNS1_11target_archE908ELNS1_3gpuE7ELNS1_3repE0EEENS1_59segmented_radix_sort_warp_sort_small_config_static_selectorELNS0_4arch9wavefront6targetE0EEEvSL_,comdat
.Lfunc_end1865:
	.size	_ZN7rocprim17ROCPRIM_400000_NS6detail17trampoline_kernelINS0_14default_configENS1_36segmented_radix_sort_config_selectorI6__halflEEZNS1_25segmented_radix_sort_implIS3_Lb0EPKS5_PS5_PKlPlN2at6native12_GLOBAL__N_18offset_tEEE10hipError_tPvRmT1_PNSt15iterator_traitsISL_E10value_typeET2_T3_PNSM_ISR_E10value_typeET4_jRbjT5_SX_jjP12ihipStream_tbEUlT_E1_NS1_11comp_targetILNS1_3genE3ELNS1_11target_archE908ELNS1_3gpuE7ELNS1_3repE0EEENS1_59segmented_radix_sort_warp_sort_small_config_static_selectorELNS0_4arch9wavefront6targetE0EEEvSL_, .Lfunc_end1865-_ZN7rocprim17ROCPRIM_400000_NS6detail17trampoline_kernelINS0_14default_configENS1_36segmented_radix_sort_config_selectorI6__halflEEZNS1_25segmented_radix_sort_implIS3_Lb0EPKS5_PS5_PKlPlN2at6native12_GLOBAL__N_18offset_tEEE10hipError_tPvRmT1_PNSt15iterator_traitsISL_E10value_typeET2_T3_PNSM_ISR_E10value_typeET4_jRbjT5_SX_jjP12ihipStream_tbEUlT_E1_NS1_11comp_targetILNS1_3genE3ELNS1_11target_archE908ELNS1_3gpuE7ELNS1_3repE0EEENS1_59segmented_radix_sort_warp_sort_small_config_static_selectorELNS0_4arch9wavefront6targetE0EEEvSL_
                                        ; -- End function
	.section	.AMDGPU.csdata,"",@progbits
; Kernel info:
; codeLenInByte = 0
; NumSgprs: 0
; NumVgprs: 0
; ScratchSize: 0
; MemoryBound: 0
; FloatMode: 240
; IeeeMode: 1
; LDSByteSize: 0 bytes/workgroup (compile time only)
; SGPRBlocks: 0
; VGPRBlocks: 0
; NumSGPRsForWavesPerEU: 1
; NumVGPRsForWavesPerEU: 1
; Occupancy: 16
; WaveLimiterHint : 0
; COMPUTE_PGM_RSRC2:SCRATCH_EN: 0
; COMPUTE_PGM_RSRC2:USER_SGPR: 15
; COMPUTE_PGM_RSRC2:TRAP_HANDLER: 0
; COMPUTE_PGM_RSRC2:TGID_X_EN: 1
; COMPUTE_PGM_RSRC2:TGID_Y_EN: 0
; COMPUTE_PGM_RSRC2:TGID_Z_EN: 0
; COMPUTE_PGM_RSRC2:TIDIG_COMP_CNT: 0
	.section	.text._ZN7rocprim17ROCPRIM_400000_NS6detail17trampoline_kernelINS0_14default_configENS1_36segmented_radix_sort_config_selectorI6__halflEEZNS1_25segmented_radix_sort_implIS3_Lb0EPKS5_PS5_PKlPlN2at6native12_GLOBAL__N_18offset_tEEE10hipError_tPvRmT1_PNSt15iterator_traitsISL_E10value_typeET2_T3_PNSM_ISR_E10value_typeET4_jRbjT5_SX_jjP12ihipStream_tbEUlT_E1_NS1_11comp_targetILNS1_3genE2ELNS1_11target_archE906ELNS1_3gpuE6ELNS1_3repE0EEENS1_59segmented_radix_sort_warp_sort_small_config_static_selectorELNS0_4arch9wavefront6targetE0EEEvSL_,"axG",@progbits,_ZN7rocprim17ROCPRIM_400000_NS6detail17trampoline_kernelINS0_14default_configENS1_36segmented_radix_sort_config_selectorI6__halflEEZNS1_25segmented_radix_sort_implIS3_Lb0EPKS5_PS5_PKlPlN2at6native12_GLOBAL__N_18offset_tEEE10hipError_tPvRmT1_PNSt15iterator_traitsISL_E10value_typeET2_T3_PNSM_ISR_E10value_typeET4_jRbjT5_SX_jjP12ihipStream_tbEUlT_E1_NS1_11comp_targetILNS1_3genE2ELNS1_11target_archE906ELNS1_3gpuE6ELNS1_3repE0EEENS1_59segmented_radix_sort_warp_sort_small_config_static_selectorELNS0_4arch9wavefront6targetE0EEEvSL_,comdat
	.globl	_ZN7rocprim17ROCPRIM_400000_NS6detail17trampoline_kernelINS0_14default_configENS1_36segmented_radix_sort_config_selectorI6__halflEEZNS1_25segmented_radix_sort_implIS3_Lb0EPKS5_PS5_PKlPlN2at6native12_GLOBAL__N_18offset_tEEE10hipError_tPvRmT1_PNSt15iterator_traitsISL_E10value_typeET2_T3_PNSM_ISR_E10value_typeET4_jRbjT5_SX_jjP12ihipStream_tbEUlT_E1_NS1_11comp_targetILNS1_3genE2ELNS1_11target_archE906ELNS1_3gpuE6ELNS1_3repE0EEENS1_59segmented_radix_sort_warp_sort_small_config_static_selectorELNS0_4arch9wavefront6targetE0EEEvSL_ ; -- Begin function _ZN7rocprim17ROCPRIM_400000_NS6detail17trampoline_kernelINS0_14default_configENS1_36segmented_radix_sort_config_selectorI6__halflEEZNS1_25segmented_radix_sort_implIS3_Lb0EPKS5_PS5_PKlPlN2at6native12_GLOBAL__N_18offset_tEEE10hipError_tPvRmT1_PNSt15iterator_traitsISL_E10value_typeET2_T3_PNSM_ISR_E10value_typeET4_jRbjT5_SX_jjP12ihipStream_tbEUlT_E1_NS1_11comp_targetILNS1_3genE2ELNS1_11target_archE906ELNS1_3gpuE6ELNS1_3repE0EEENS1_59segmented_radix_sort_warp_sort_small_config_static_selectorELNS0_4arch9wavefront6targetE0EEEvSL_
	.p2align	8
	.type	_ZN7rocprim17ROCPRIM_400000_NS6detail17trampoline_kernelINS0_14default_configENS1_36segmented_radix_sort_config_selectorI6__halflEEZNS1_25segmented_radix_sort_implIS3_Lb0EPKS5_PS5_PKlPlN2at6native12_GLOBAL__N_18offset_tEEE10hipError_tPvRmT1_PNSt15iterator_traitsISL_E10value_typeET2_T3_PNSM_ISR_E10value_typeET4_jRbjT5_SX_jjP12ihipStream_tbEUlT_E1_NS1_11comp_targetILNS1_3genE2ELNS1_11target_archE906ELNS1_3gpuE6ELNS1_3repE0EEENS1_59segmented_radix_sort_warp_sort_small_config_static_selectorELNS0_4arch9wavefront6targetE0EEEvSL_,@function
_ZN7rocprim17ROCPRIM_400000_NS6detail17trampoline_kernelINS0_14default_configENS1_36segmented_radix_sort_config_selectorI6__halflEEZNS1_25segmented_radix_sort_implIS3_Lb0EPKS5_PS5_PKlPlN2at6native12_GLOBAL__N_18offset_tEEE10hipError_tPvRmT1_PNSt15iterator_traitsISL_E10value_typeET2_T3_PNSM_ISR_E10value_typeET4_jRbjT5_SX_jjP12ihipStream_tbEUlT_E1_NS1_11comp_targetILNS1_3genE2ELNS1_11target_archE906ELNS1_3gpuE6ELNS1_3repE0EEENS1_59segmented_radix_sort_warp_sort_small_config_static_selectorELNS0_4arch9wavefront6targetE0EEEvSL_: ; @_ZN7rocprim17ROCPRIM_400000_NS6detail17trampoline_kernelINS0_14default_configENS1_36segmented_radix_sort_config_selectorI6__halflEEZNS1_25segmented_radix_sort_implIS3_Lb0EPKS5_PS5_PKlPlN2at6native12_GLOBAL__N_18offset_tEEE10hipError_tPvRmT1_PNSt15iterator_traitsISL_E10value_typeET2_T3_PNSM_ISR_E10value_typeET4_jRbjT5_SX_jjP12ihipStream_tbEUlT_E1_NS1_11comp_targetILNS1_3genE2ELNS1_11target_archE906ELNS1_3gpuE6ELNS1_3repE0EEENS1_59segmented_radix_sort_warp_sort_small_config_static_selectorELNS0_4arch9wavefront6targetE0EEEvSL_
; %bb.0:
	.section	.rodata,"a",@progbits
	.p2align	6, 0x0
	.amdhsa_kernel _ZN7rocprim17ROCPRIM_400000_NS6detail17trampoline_kernelINS0_14default_configENS1_36segmented_radix_sort_config_selectorI6__halflEEZNS1_25segmented_radix_sort_implIS3_Lb0EPKS5_PS5_PKlPlN2at6native12_GLOBAL__N_18offset_tEEE10hipError_tPvRmT1_PNSt15iterator_traitsISL_E10value_typeET2_T3_PNSM_ISR_E10value_typeET4_jRbjT5_SX_jjP12ihipStream_tbEUlT_E1_NS1_11comp_targetILNS1_3genE2ELNS1_11target_archE906ELNS1_3gpuE6ELNS1_3repE0EEENS1_59segmented_radix_sort_warp_sort_small_config_static_selectorELNS0_4arch9wavefront6targetE0EEEvSL_
		.amdhsa_group_segment_fixed_size 0
		.amdhsa_private_segment_fixed_size 0
		.amdhsa_kernarg_size 88
		.amdhsa_user_sgpr_count 15
		.amdhsa_user_sgpr_dispatch_ptr 0
		.amdhsa_user_sgpr_queue_ptr 0
		.amdhsa_user_sgpr_kernarg_segment_ptr 1
		.amdhsa_user_sgpr_dispatch_id 0
		.amdhsa_user_sgpr_private_segment_size 0
		.amdhsa_wavefront_size32 1
		.amdhsa_uses_dynamic_stack 0
		.amdhsa_enable_private_segment 0
		.amdhsa_system_sgpr_workgroup_id_x 1
		.amdhsa_system_sgpr_workgroup_id_y 0
		.amdhsa_system_sgpr_workgroup_id_z 0
		.amdhsa_system_sgpr_workgroup_info 0
		.amdhsa_system_vgpr_workitem_id 0
		.amdhsa_next_free_vgpr 1
		.amdhsa_next_free_sgpr 1
		.amdhsa_reserve_vcc 0
		.amdhsa_float_round_mode_32 0
		.amdhsa_float_round_mode_16_64 0
		.amdhsa_float_denorm_mode_32 3
		.amdhsa_float_denorm_mode_16_64 3
		.amdhsa_dx10_clamp 1
		.amdhsa_ieee_mode 1
		.amdhsa_fp16_overflow 0
		.amdhsa_workgroup_processor_mode 1
		.amdhsa_memory_ordered 1
		.amdhsa_forward_progress 0
		.amdhsa_shared_vgpr_count 0
		.amdhsa_exception_fp_ieee_invalid_op 0
		.amdhsa_exception_fp_denorm_src 0
		.amdhsa_exception_fp_ieee_div_zero 0
		.amdhsa_exception_fp_ieee_overflow 0
		.amdhsa_exception_fp_ieee_underflow 0
		.amdhsa_exception_fp_ieee_inexact 0
		.amdhsa_exception_int_div_zero 0
	.end_amdhsa_kernel
	.section	.text._ZN7rocprim17ROCPRIM_400000_NS6detail17trampoline_kernelINS0_14default_configENS1_36segmented_radix_sort_config_selectorI6__halflEEZNS1_25segmented_radix_sort_implIS3_Lb0EPKS5_PS5_PKlPlN2at6native12_GLOBAL__N_18offset_tEEE10hipError_tPvRmT1_PNSt15iterator_traitsISL_E10value_typeET2_T3_PNSM_ISR_E10value_typeET4_jRbjT5_SX_jjP12ihipStream_tbEUlT_E1_NS1_11comp_targetILNS1_3genE2ELNS1_11target_archE906ELNS1_3gpuE6ELNS1_3repE0EEENS1_59segmented_radix_sort_warp_sort_small_config_static_selectorELNS0_4arch9wavefront6targetE0EEEvSL_,"axG",@progbits,_ZN7rocprim17ROCPRIM_400000_NS6detail17trampoline_kernelINS0_14default_configENS1_36segmented_radix_sort_config_selectorI6__halflEEZNS1_25segmented_radix_sort_implIS3_Lb0EPKS5_PS5_PKlPlN2at6native12_GLOBAL__N_18offset_tEEE10hipError_tPvRmT1_PNSt15iterator_traitsISL_E10value_typeET2_T3_PNSM_ISR_E10value_typeET4_jRbjT5_SX_jjP12ihipStream_tbEUlT_E1_NS1_11comp_targetILNS1_3genE2ELNS1_11target_archE906ELNS1_3gpuE6ELNS1_3repE0EEENS1_59segmented_radix_sort_warp_sort_small_config_static_selectorELNS0_4arch9wavefront6targetE0EEEvSL_,comdat
.Lfunc_end1866:
	.size	_ZN7rocprim17ROCPRIM_400000_NS6detail17trampoline_kernelINS0_14default_configENS1_36segmented_radix_sort_config_selectorI6__halflEEZNS1_25segmented_radix_sort_implIS3_Lb0EPKS5_PS5_PKlPlN2at6native12_GLOBAL__N_18offset_tEEE10hipError_tPvRmT1_PNSt15iterator_traitsISL_E10value_typeET2_T3_PNSM_ISR_E10value_typeET4_jRbjT5_SX_jjP12ihipStream_tbEUlT_E1_NS1_11comp_targetILNS1_3genE2ELNS1_11target_archE906ELNS1_3gpuE6ELNS1_3repE0EEENS1_59segmented_radix_sort_warp_sort_small_config_static_selectorELNS0_4arch9wavefront6targetE0EEEvSL_, .Lfunc_end1866-_ZN7rocprim17ROCPRIM_400000_NS6detail17trampoline_kernelINS0_14default_configENS1_36segmented_radix_sort_config_selectorI6__halflEEZNS1_25segmented_radix_sort_implIS3_Lb0EPKS5_PS5_PKlPlN2at6native12_GLOBAL__N_18offset_tEEE10hipError_tPvRmT1_PNSt15iterator_traitsISL_E10value_typeET2_T3_PNSM_ISR_E10value_typeET4_jRbjT5_SX_jjP12ihipStream_tbEUlT_E1_NS1_11comp_targetILNS1_3genE2ELNS1_11target_archE906ELNS1_3gpuE6ELNS1_3repE0EEENS1_59segmented_radix_sort_warp_sort_small_config_static_selectorELNS0_4arch9wavefront6targetE0EEEvSL_
                                        ; -- End function
	.section	.AMDGPU.csdata,"",@progbits
; Kernel info:
; codeLenInByte = 0
; NumSgprs: 0
; NumVgprs: 0
; ScratchSize: 0
; MemoryBound: 0
; FloatMode: 240
; IeeeMode: 1
; LDSByteSize: 0 bytes/workgroup (compile time only)
; SGPRBlocks: 0
; VGPRBlocks: 0
; NumSGPRsForWavesPerEU: 1
; NumVGPRsForWavesPerEU: 1
; Occupancy: 16
; WaveLimiterHint : 0
; COMPUTE_PGM_RSRC2:SCRATCH_EN: 0
; COMPUTE_PGM_RSRC2:USER_SGPR: 15
; COMPUTE_PGM_RSRC2:TRAP_HANDLER: 0
; COMPUTE_PGM_RSRC2:TGID_X_EN: 1
; COMPUTE_PGM_RSRC2:TGID_Y_EN: 0
; COMPUTE_PGM_RSRC2:TGID_Z_EN: 0
; COMPUTE_PGM_RSRC2:TIDIG_COMP_CNT: 0
	.section	.text._ZN7rocprim17ROCPRIM_400000_NS6detail17trampoline_kernelINS0_14default_configENS1_36segmented_radix_sort_config_selectorI6__halflEEZNS1_25segmented_radix_sort_implIS3_Lb0EPKS5_PS5_PKlPlN2at6native12_GLOBAL__N_18offset_tEEE10hipError_tPvRmT1_PNSt15iterator_traitsISL_E10value_typeET2_T3_PNSM_ISR_E10value_typeET4_jRbjT5_SX_jjP12ihipStream_tbEUlT_E1_NS1_11comp_targetILNS1_3genE10ELNS1_11target_archE1201ELNS1_3gpuE5ELNS1_3repE0EEENS1_59segmented_radix_sort_warp_sort_small_config_static_selectorELNS0_4arch9wavefront6targetE0EEEvSL_,"axG",@progbits,_ZN7rocprim17ROCPRIM_400000_NS6detail17trampoline_kernelINS0_14default_configENS1_36segmented_radix_sort_config_selectorI6__halflEEZNS1_25segmented_radix_sort_implIS3_Lb0EPKS5_PS5_PKlPlN2at6native12_GLOBAL__N_18offset_tEEE10hipError_tPvRmT1_PNSt15iterator_traitsISL_E10value_typeET2_T3_PNSM_ISR_E10value_typeET4_jRbjT5_SX_jjP12ihipStream_tbEUlT_E1_NS1_11comp_targetILNS1_3genE10ELNS1_11target_archE1201ELNS1_3gpuE5ELNS1_3repE0EEENS1_59segmented_radix_sort_warp_sort_small_config_static_selectorELNS0_4arch9wavefront6targetE0EEEvSL_,comdat
	.globl	_ZN7rocprim17ROCPRIM_400000_NS6detail17trampoline_kernelINS0_14default_configENS1_36segmented_radix_sort_config_selectorI6__halflEEZNS1_25segmented_radix_sort_implIS3_Lb0EPKS5_PS5_PKlPlN2at6native12_GLOBAL__N_18offset_tEEE10hipError_tPvRmT1_PNSt15iterator_traitsISL_E10value_typeET2_T3_PNSM_ISR_E10value_typeET4_jRbjT5_SX_jjP12ihipStream_tbEUlT_E1_NS1_11comp_targetILNS1_3genE10ELNS1_11target_archE1201ELNS1_3gpuE5ELNS1_3repE0EEENS1_59segmented_radix_sort_warp_sort_small_config_static_selectorELNS0_4arch9wavefront6targetE0EEEvSL_ ; -- Begin function _ZN7rocprim17ROCPRIM_400000_NS6detail17trampoline_kernelINS0_14default_configENS1_36segmented_radix_sort_config_selectorI6__halflEEZNS1_25segmented_radix_sort_implIS3_Lb0EPKS5_PS5_PKlPlN2at6native12_GLOBAL__N_18offset_tEEE10hipError_tPvRmT1_PNSt15iterator_traitsISL_E10value_typeET2_T3_PNSM_ISR_E10value_typeET4_jRbjT5_SX_jjP12ihipStream_tbEUlT_E1_NS1_11comp_targetILNS1_3genE10ELNS1_11target_archE1201ELNS1_3gpuE5ELNS1_3repE0EEENS1_59segmented_radix_sort_warp_sort_small_config_static_selectorELNS0_4arch9wavefront6targetE0EEEvSL_
	.p2align	8
	.type	_ZN7rocprim17ROCPRIM_400000_NS6detail17trampoline_kernelINS0_14default_configENS1_36segmented_radix_sort_config_selectorI6__halflEEZNS1_25segmented_radix_sort_implIS3_Lb0EPKS5_PS5_PKlPlN2at6native12_GLOBAL__N_18offset_tEEE10hipError_tPvRmT1_PNSt15iterator_traitsISL_E10value_typeET2_T3_PNSM_ISR_E10value_typeET4_jRbjT5_SX_jjP12ihipStream_tbEUlT_E1_NS1_11comp_targetILNS1_3genE10ELNS1_11target_archE1201ELNS1_3gpuE5ELNS1_3repE0EEENS1_59segmented_radix_sort_warp_sort_small_config_static_selectorELNS0_4arch9wavefront6targetE0EEEvSL_,@function
_ZN7rocprim17ROCPRIM_400000_NS6detail17trampoline_kernelINS0_14default_configENS1_36segmented_radix_sort_config_selectorI6__halflEEZNS1_25segmented_radix_sort_implIS3_Lb0EPKS5_PS5_PKlPlN2at6native12_GLOBAL__N_18offset_tEEE10hipError_tPvRmT1_PNSt15iterator_traitsISL_E10value_typeET2_T3_PNSM_ISR_E10value_typeET4_jRbjT5_SX_jjP12ihipStream_tbEUlT_E1_NS1_11comp_targetILNS1_3genE10ELNS1_11target_archE1201ELNS1_3gpuE5ELNS1_3repE0EEENS1_59segmented_radix_sort_warp_sort_small_config_static_selectorELNS0_4arch9wavefront6targetE0EEEvSL_: ; @_ZN7rocprim17ROCPRIM_400000_NS6detail17trampoline_kernelINS0_14default_configENS1_36segmented_radix_sort_config_selectorI6__halflEEZNS1_25segmented_radix_sort_implIS3_Lb0EPKS5_PS5_PKlPlN2at6native12_GLOBAL__N_18offset_tEEE10hipError_tPvRmT1_PNSt15iterator_traitsISL_E10value_typeET2_T3_PNSM_ISR_E10value_typeET4_jRbjT5_SX_jjP12ihipStream_tbEUlT_E1_NS1_11comp_targetILNS1_3genE10ELNS1_11target_archE1201ELNS1_3gpuE5ELNS1_3repE0EEENS1_59segmented_radix_sort_warp_sort_small_config_static_selectorELNS0_4arch9wavefront6targetE0EEEvSL_
; %bb.0:
	.section	.rodata,"a",@progbits
	.p2align	6, 0x0
	.amdhsa_kernel _ZN7rocprim17ROCPRIM_400000_NS6detail17trampoline_kernelINS0_14default_configENS1_36segmented_radix_sort_config_selectorI6__halflEEZNS1_25segmented_radix_sort_implIS3_Lb0EPKS5_PS5_PKlPlN2at6native12_GLOBAL__N_18offset_tEEE10hipError_tPvRmT1_PNSt15iterator_traitsISL_E10value_typeET2_T3_PNSM_ISR_E10value_typeET4_jRbjT5_SX_jjP12ihipStream_tbEUlT_E1_NS1_11comp_targetILNS1_3genE10ELNS1_11target_archE1201ELNS1_3gpuE5ELNS1_3repE0EEENS1_59segmented_radix_sort_warp_sort_small_config_static_selectorELNS0_4arch9wavefront6targetE0EEEvSL_
		.amdhsa_group_segment_fixed_size 0
		.amdhsa_private_segment_fixed_size 0
		.amdhsa_kernarg_size 88
		.amdhsa_user_sgpr_count 15
		.amdhsa_user_sgpr_dispatch_ptr 0
		.amdhsa_user_sgpr_queue_ptr 0
		.amdhsa_user_sgpr_kernarg_segment_ptr 1
		.amdhsa_user_sgpr_dispatch_id 0
		.amdhsa_user_sgpr_private_segment_size 0
		.amdhsa_wavefront_size32 1
		.amdhsa_uses_dynamic_stack 0
		.amdhsa_enable_private_segment 0
		.amdhsa_system_sgpr_workgroup_id_x 1
		.amdhsa_system_sgpr_workgroup_id_y 0
		.amdhsa_system_sgpr_workgroup_id_z 0
		.amdhsa_system_sgpr_workgroup_info 0
		.amdhsa_system_vgpr_workitem_id 0
		.amdhsa_next_free_vgpr 1
		.amdhsa_next_free_sgpr 1
		.amdhsa_reserve_vcc 0
		.amdhsa_float_round_mode_32 0
		.amdhsa_float_round_mode_16_64 0
		.amdhsa_float_denorm_mode_32 3
		.amdhsa_float_denorm_mode_16_64 3
		.amdhsa_dx10_clamp 1
		.amdhsa_ieee_mode 1
		.amdhsa_fp16_overflow 0
		.amdhsa_workgroup_processor_mode 1
		.amdhsa_memory_ordered 1
		.amdhsa_forward_progress 0
		.amdhsa_shared_vgpr_count 0
		.amdhsa_exception_fp_ieee_invalid_op 0
		.amdhsa_exception_fp_denorm_src 0
		.amdhsa_exception_fp_ieee_div_zero 0
		.amdhsa_exception_fp_ieee_overflow 0
		.amdhsa_exception_fp_ieee_underflow 0
		.amdhsa_exception_fp_ieee_inexact 0
		.amdhsa_exception_int_div_zero 0
	.end_amdhsa_kernel
	.section	.text._ZN7rocprim17ROCPRIM_400000_NS6detail17trampoline_kernelINS0_14default_configENS1_36segmented_radix_sort_config_selectorI6__halflEEZNS1_25segmented_radix_sort_implIS3_Lb0EPKS5_PS5_PKlPlN2at6native12_GLOBAL__N_18offset_tEEE10hipError_tPvRmT1_PNSt15iterator_traitsISL_E10value_typeET2_T3_PNSM_ISR_E10value_typeET4_jRbjT5_SX_jjP12ihipStream_tbEUlT_E1_NS1_11comp_targetILNS1_3genE10ELNS1_11target_archE1201ELNS1_3gpuE5ELNS1_3repE0EEENS1_59segmented_radix_sort_warp_sort_small_config_static_selectorELNS0_4arch9wavefront6targetE0EEEvSL_,"axG",@progbits,_ZN7rocprim17ROCPRIM_400000_NS6detail17trampoline_kernelINS0_14default_configENS1_36segmented_radix_sort_config_selectorI6__halflEEZNS1_25segmented_radix_sort_implIS3_Lb0EPKS5_PS5_PKlPlN2at6native12_GLOBAL__N_18offset_tEEE10hipError_tPvRmT1_PNSt15iterator_traitsISL_E10value_typeET2_T3_PNSM_ISR_E10value_typeET4_jRbjT5_SX_jjP12ihipStream_tbEUlT_E1_NS1_11comp_targetILNS1_3genE10ELNS1_11target_archE1201ELNS1_3gpuE5ELNS1_3repE0EEENS1_59segmented_radix_sort_warp_sort_small_config_static_selectorELNS0_4arch9wavefront6targetE0EEEvSL_,comdat
.Lfunc_end1867:
	.size	_ZN7rocprim17ROCPRIM_400000_NS6detail17trampoline_kernelINS0_14default_configENS1_36segmented_radix_sort_config_selectorI6__halflEEZNS1_25segmented_radix_sort_implIS3_Lb0EPKS5_PS5_PKlPlN2at6native12_GLOBAL__N_18offset_tEEE10hipError_tPvRmT1_PNSt15iterator_traitsISL_E10value_typeET2_T3_PNSM_ISR_E10value_typeET4_jRbjT5_SX_jjP12ihipStream_tbEUlT_E1_NS1_11comp_targetILNS1_3genE10ELNS1_11target_archE1201ELNS1_3gpuE5ELNS1_3repE0EEENS1_59segmented_radix_sort_warp_sort_small_config_static_selectorELNS0_4arch9wavefront6targetE0EEEvSL_, .Lfunc_end1867-_ZN7rocprim17ROCPRIM_400000_NS6detail17trampoline_kernelINS0_14default_configENS1_36segmented_radix_sort_config_selectorI6__halflEEZNS1_25segmented_radix_sort_implIS3_Lb0EPKS5_PS5_PKlPlN2at6native12_GLOBAL__N_18offset_tEEE10hipError_tPvRmT1_PNSt15iterator_traitsISL_E10value_typeET2_T3_PNSM_ISR_E10value_typeET4_jRbjT5_SX_jjP12ihipStream_tbEUlT_E1_NS1_11comp_targetILNS1_3genE10ELNS1_11target_archE1201ELNS1_3gpuE5ELNS1_3repE0EEENS1_59segmented_radix_sort_warp_sort_small_config_static_selectorELNS0_4arch9wavefront6targetE0EEEvSL_
                                        ; -- End function
	.section	.AMDGPU.csdata,"",@progbits
; Kernel info:
; codeLenInByte = 0
; NumSgprs: 0
; NumVgprs: 0
; ScratchSize: 0
; MemoryBound: 0
; FloatMode: 240
; IeeeMode: 1
; LDSByteSize: 0 bytes/workgroup (compile time only)
; SGPRBlocks: 0
; VGPRBlocks: 0
; NumSGPRsForWavesPerEU: 1
; NumVGPRsForWavesPerEU: 1
; Occupancy: 16
; WaveLimiterHint : 0
; COMPUTE_PGM_RSRC2:SCRATCH_EN: 0
; COMPUTE_PGM_RSRC2:USER_SGPR: 15
; COMPUTE_PGM_RSRC2:TRAP_HANDLER: 0
; COMPUTE_PGM_RSRC2:TGID_X_EN: 1
; COMPUTE_PGM_RSRC2:TGID_Y_EN: 0
; COMPUTE_PGM_RSRC2:TGID_Z_EN: 0
; COMPUTE_PGM_RSRC2:TIDIG_COMP_CNT: 0
	.section	.text._ZN7rocprim17ROCPRIM_400000_NS6detail17trampoline_kernelINS0_14default_configENS1_36segmented_radix_sort_config_selectorI6__halflEEZNS1_25segmented_radix_sort_implIS3_Lb0EPKS5_PS5_PKlPlN2at6native12_GLOBAL__N_18offset_tEEE10hipError_tPvRmT1_PNSt15iterator_traitsISL_E10value_typeET2_T3_PNSM_ISR_E10value_typeET4_jRbjT5_SX_jjP12ihipStream_tbEUlT_E1_NS1_11comp_targetILNS1_3genE10ELNS1_11target_archE1200ELNS1_3gpuE4ELNS1_3repE0EEENS1_59segmented_radix_sort_warp_sort_small_config_static_selectorELNS0_4arch9wavefront6targetE0EEEvSL_,"axG",@progbits,_ZN7rocprim17ROCPRIM_400000_NS6detail17trampoline_kernelINS0_14default_configENS1_36segmented_radix_sort_config_selectorI6__halflEEZNS1_25segmented_radix_sort_implIS3_Lb0EPKS5_PS5_PKlPlN2at6native12_GLOBAL__N_18offset_tEEE10hipError_tPvRmT1_PNSt15iterator_traitsISL_E10value_typeET2_T3_PNSM_ISR_E10value_typeET4_jRbjT5_SX_jjP12ihipStream_tbEUlT_E1_NS1_11comp_targetILNS1_3genE10ELNS1_11target_archE1200ELNS1_3gpuE4ELNS1_3repE0EEENS1_59segmented_radix_sort_warp_sort_small_config_static_selectorELNS0_4arch9wavefront6targetE0EEEvSL_,comdat
	.globl	_ZN7rocprim17ROCPRIM_400000_NS6detail17trampoline_kernelINS0_14default_configENS1_36segmented_radix_sort_config_selectorI6__halflEEZNS1_25segmented_radix_sort_implIS3_Lb0EPKS5_PS5_PKlPlN2at6native12_GLOBAL__N_18offset_tEEE10hipError_tPvRmT1_PNSt15iterator_traitsISL_E10value_typeET2_T3_PNSM_ISR_E10value_typeET4_jRbjT5_SX_jjP12ihipStream_tbEUlT_E1_NS1_11comp_targetILNS1_3genE10ELNS1_11target_archE1200ELNS1_3gpuE4ELNS1_3repE0EEENS1_59segmented_radix_sort_warp_sort_small_config_static_selectorELNS0_4arch9wavefront6targetE0EEEvSL_ ; -- Begin function _ZN7rocprim17ROCPRIM_400000_NS6detail17trampoline_kernelINS0_14default_configENS1_36segmented_radix_sort_config_selectorI6__halflEEZNS1_25segmented_radix_sort_implIS3_Lb0EPKS5_PS5_PKlPlN2at6native12_GLOBAL__N_18offset_tEEE10hipError_tPvRmT1_PNSt15iterator_traitsISL_E10value_typeET2_T3_PNSM_ISR_E10value_typeET4_jRbjT5_SX_jjP12ihipStream_tbEUlT_E1_NS1_11comp_targetILNS1_3genE10ELNS1_11target_archE1200ELNS1_3gpuE4ELNS1_3repE0EEENS1_59segmented_radix_sort_warp_sort_small_config_static_selectorELNS0_4arch9wavefront6targetE0EEEvSL_
	.p2align	8
	.type	_ZN7rocprim17ROCPRIM_400000_NS6detail17trampoline_kernelINS0_14default_configENS1_36segmented_radix_sort_config_selectorI6__halflEEZNS1_25segmented_radix_sort_implIS3_Lb0EPKS5_PS5_PKlPlN2at6native12_GLOBAL__N_18offset_tEEE10hipError_tPvRmT1_PNSt15iterator_traitsISL_E10value_typeET2_T3_PNSM_ISR_E10value_typeET4_jRbjT5_SX_jjP12ihipStream_tbEUlT_E1_NS1_11comp_targetILNS1_3genE10ELNS1_11target_archE1200ELNS1_3gpuE4ELNS1_3repE0EEENS1_59segmented_radix_sort_warp_sort_small_config_static_selectorELNS0_4arch9wavefront6targetE0EEEvSL_,@function
_ZN7rocprim17ROCPRIM_400000_NS6detail17trampoline_kernelINS0_14default_configENS1_36segmented_radix_sort_config_selectorI6__halflEEZNS1_25segmented_radix_sort_implIS3_Lb0EPKS5_PS5_PKlPlN2at6native12_GLOBAL__N_18offset_tEEE10hipError_tPvRmT1_PNSt15iterator_traitsISL_E10value_typeET2_T3_PNSM_ISR_E10value_typeET4_jRbjT5_SX_jjP12ihipStream_tbEUlT_E1_NS1_11comp_targetILNS1_3genE10ELNS1_11target_archE1200ELNS1_3gpuE4ELNS1_3repE0EEENS1_59segmented_radix_sort_warp_sort_small_config_static_selectorELNS0_4arch9wavefront6targetE0EEEvSL_: ; @_ZN7rocprim17ROCPRIM_400000_NS6detail17trampoline_kernelINS0_14default_configENS1_36segmented_radix_sort_config_selectorI6__halflEEZNS1_25segmented_radix_sort_implIS3_Lb0EPKS5_PS5_PKlPlN2at6native12_GLOBAL__N_18offset_tEEE10hipError_tPvRmT1_PNSt15iterator_traitsISL_E10value_typeET2_T3_PNSM_ISR_E10value_typeET4_jRbjT5_SX_jjP12ihipStream_tbEUlT_E1_NS1_11comp_targetILNS1_3genE10ELNS1_11target_archE1200ELNS1_3gpuE4ELNS1_3repE0EEENS1_59segmented_radix_sort_warp_sort_small_config_static_selectorELNS0_4arch9wavefront6targetE0EEEvSL_
; %bb.0:
	.section	.rodata,"a",@progbits
	.p2align	6, 0x0
	.amdhsa_kernel _ZN7rocprim17ROCPRIM_400000_NS6detail17trampoline_kernelINS0_14default_configENS1_36segmented_radix_sort_config_selectorI6__halflEEZNS1_25segmented_radix_sort_implIS3_Lb0EPKS5_PS5_PKlPlN2at6native12_GLOBAL__N_18offset_tEEE10hipError_tPvRmT1_PNSt15iterator_traitsISL_E10value_typeET2_T3_PNSM_ISR_E10value_typeET4_jRbjT5_SX_jjP12ihipStream_tbEUlT_E1_NS1_11comp_targetILNS1_3genE10ELNS1_11target_archE1200ELNS1_3gpuE4ELNS1_3repE0EEENS1_59segmented_radix_sort_warp_sort_small_config_static_selectorELNS0_4arch9wavefront6targetE0EEEvSL_
		.amdhsa_group_segment_fixed_size 0
		.amdhsa_private_segment_fixed_size 0
		.amdhsa_kernarg_size 88
		.amdhsa_user_sgpr_count 15
		.amdhsa_user_sgpr_dispatch_ptr 0
		.amdhsa_user_sgpr_queue_ptr 0
		.amdhsa_user_sgpr_kernarg_segment_ptr 1
		.amdhsa_user_sgpr_dispatch_id 0
		.amdhsa_user_sgpr_private_segment_size 0
		.amdhsa_wavefront_size32 1
		.amdhsa_uses_dynamic_stack 0
		.amdhsa_enable_private_segment 0
		.amdhsa_system_sgpr_workgroup_id_x 1
		.amdhsa_system_sgpr_workgroup_id_y 0
		.amdhsa_system_sgpr_workgroup_id_z 0
		.amdhsa_system_sgpr_workgroup_info 0
		.amdhsa_system_vgpr_workitem_id 0
		.amdhsa_next_free_vgpr 1
		.amdhsa_next_free_sgpr 1
		.amdhsa_reserve_vcc 0
		.amdhsa_float_round_mode_32 0
		.amdhsa_float_round_mode_16_64 0
		.amdhsa_float_denorm_mode_32 3
		.amdhsa_float_denorm_mode_16_64 3
		.amdhsa_dx10_clamp 1
		.amdhsa_ieee_mode 1
		.amdhsa_fp16_overflow 0
		.amdhsa_workgroup_processor_mode 1
		.amdhsa_memory_ordered 1
		.amdhsa_forward_progress 0
		.amdhsa_shared_vgpr_count 0
		.amdhsa_exception_fp_ieee_invalid_op 0
		.amdhsa_exception_fp_denorm_src 0
		.amdhsa_exception_fp_ieee_div_zero 0
		.amdhsa_exception_fp_ieee_overflow 0
		.amdhsa_exception_fp_ieee_underflow 0
		.amdhsa_exception_fp_ieee_inexact 0
		.amdhsa_exception_int_div_zero 0
	.end_amdhsa_kernel
	.section	.text._ZN7rocprim17ROCPRIM_400000_NS6detail17trampoline_kernelINS0_14default_configENS1_36segmented_radix_sort_config_selectorI6__halflEEZNS1_25segmented_radix_sort_implIS3_Lb0EPKS5_PS5_PKlPlN2at6native12_GLOBAL__N_18offset_tEEE10hipError_tPvRmT1_PNSt15iterator_traitsISL_E10value_typeET2_T3_PNSM_ISR_E10value_typeET4_jRbjT5_SX_jjP12ihipStream_tbEUlT_E1_NS1_11comp_targetILNS1_3genE10ELNS1_11target_archE1200ELNS1_3gpuE4ELNS1_3repE0EEENS1_59segmented_radix_sort_warp_sort_small_config_static_selectorELNS0_4arch9wavefront6targetE0EEEvSL_,"axG",@progbits,_ZN7rocprim17ROCPRIM_400000_NS6detail17trampoline_kernelINS0_14default_configENS1_36segmented_radix_sort_config_selectorI6__halflEEZNS1_25segmented_radix_sort_implIS3_Lb0EPKS5_PS5_PKlPlN2at6native12_GLOBAL__N_18offset_tEEE10hipError_tPvRmT1_PNSt15iterator_traitsISL_E10value_typeET2_T3_PNSM_ISR_E10value_typeET4_jRbjT5_SX_jjP12ihipStream_tbEUlT_E1_NS1_11comp_targetILNS1_3genE10ELNS1_11target_archE1200ELNS1_3gpuE4ELNS1_3repE0EEENS1_59segmented_radix_sort_warp_sort_small_config_static_selectorELNS0_4arch9wavefront6targetE0EEEvSL_,comdat
.Lfunc_end1868:
	.size	_ZN7rocprim17ROCPRIM_400000_NS6detail17trampoline_kernelINS0_14default_configENS1_36segmented_radix_sort_config_selectorI6__halflEEZNS1_25segmented_radix_sort_implIS3_Lb0EPKS5_PS5_PKlPlN2at6native12_GLOBAL__N_18offset_tEEE10hipError_tPvRmT1_PNSt15iterator_traitsISL_E10value_typeET2_T3_PNSM_ISR_E10value_typeET4_jRbjT5_SX_jjP12ihipStream_tbEUlT_E1_NS1_11comp_targetILNS1_3genE10ELNS1_11target_archE1200ELNS1_3gpuE4ELNS1_3repE0EEENS1_59segmented_radix_sort_warp_sort_small_config_static_selectorELNS0_4arch9wavefront6targetE0EEEvSL_, .Lfunc_end1868-_ZN7rocprim17ROCPRIM_400000_NS6detail17trampoline_kernelINS0_14default_configENS1_36segmented_radix_sort_config_selectorI6__halflEEZNS1_25segmented_radix_sort_implIS3_Lb0EPKS5_PS5_PKlPlN2at6native12_GLOBAL__N_18offset_tEEE10hipError_tPvRmT1_PNSt15iterator_traitsISL_E10value_typeET2_T3_PNSM_ISR_E10value_typeET4_jRbjT5_SX_jjP12ihipStream_tbEUlT_E1_NS1_11comp_targetILNS1_3genE10ELNS1_11target_archE1200ELNS1_3gpuE4ELNS1_3repE0EEENS1_59segmented_radix_sort_warp_sort_small_config_static_selectorELNS0_4arch9wavefront6targetE0EEEvSL_
                                        ; -- End function
	.section	.AMDGPU.csdata,"",@progbits
; Kernel info:
; codeLenInByte = 0
; NumSgprs: 0
; NumVgprs: 0
; ScratchSize: 0
; MemoryBound: 0
; FloatMode: 240
; IeeeMode: 1
; LDSByteSize: 0 bytes/workgroup (compile time only)
; SGPRBlocks: 0
; VGPRBlocks: 0
; NumSGPRsForWavesPerEU: 1
; NumVGPRsForWavesPerEU: 1
; Occupancy: 16
; WaveLimiterHint : 0
; COMPUTE_PGM_RSRC2:SCRATCH_EN: 0
; COMPUTE_PGM_RSRC2:USER_SGPR: 15
; COMPUTE_PGM_RSRC2:TRAP_HANDLER: 0
; COMPUTE_PGM_RSRC2:TGID_X_EN: 1
; COMPUTE_PGM_RSRC2:TGID_Y_EN: 0
; COMPUTE_PGM_RSRC2:TGID_Z_EN: 0
; COMPUTE_PGM_RSRC2:TIDIG_COMP_CNT: 0
	.text
	.p2align	2                               ; -- Begin function _ZN7rocprim17ROCPRIM_400000_NS6detail26segmented_warp_sort_helperINS1_20WarpSortHelperConfigILj8ELj4ELj256EEE6__halflLi256ELb0EvE4sortIPKS5_PS5_PKlPlEEvT_SA_T0_T1_SD_T2_bjjjjRNS6_12storage_typeE
	.type	_ZN7rocprim17ROCPRIM_400000_NS6detail26segmented_warp_sort_helperINS1_20WarpSortHelperConfigILj8ELj4ELj256EEE6__halflLi256ELb0EvE4sortIPKS5_PS5_PKlPlEEvT_SA_T0_T1_SD_T2_bjjjjRNS6_12storage_typeE,@function
_ZN7rocprim17ROCPRIM_400000_NS6detail26segmented_warp_sort_helperINS1_20WarpSortHelperConfigILj8ELj4ELj256EEE6__halflLi256ELb0EvE4sortIPKS5_PS5_PKlPlEEvT_SA_T0_T1_SD_T2_bjjjjRNS6_12storage_typeE: ; @_ZN7rocprim17ROCPRIM_400000_NS6detail26segmented_warp_sort_helperINS1_20WarpSortHelperConfigILj8ELj4ELj256EEE6__halflLi256ELb0EvE4sortIPKS5_PS5_PKlPlEEvT_SA_T0_T1_SD_T2_bjjjjRNS6_12storage_typeE
; %bb.0:
	s_waitcnt vmcnt(0) expcnt(0) lgkmcnt(0)
	v_mov_b32_e32 v17, v14
	v_mbcnt_lo_u32_b32 v14, -1, 0
	v_and_b32_e32 v12, 1, v12
	s_mov_b32 s5, 0
	s_delay_alu instid0(VALU_DEP_2) | instskip(SKIP_1) | instid1(VALU_DEP_3)
	v_dual_mov_b32 v14, 0 :: v_dual_lshlrev_b32 v37, 2, v14
	v_sub_nc_u32_e32 v25, v17, v13
	v_cmp_eq_u32_e64 s0, 1, v12
                                        ; implicit-def: $vgpr17_vgpr18_vgpr19_vgpr20_vgpr21_vgpr22_vgpr23_vgpr24
	s_delay_alu instid0(VALU_DEP_3) | instskip(NEXT) | instid1(VALU_DEP_4)
	v_and_b32_e32 v35, 28, v37
	v_lshlrev_b64 v[33:34], 1, v[13:14]
	s_delay_alu instid0(VALU_DEP_3) | instskip(NEXT) | instid1(VALU_DEP_2)
	s_xor_b32 s0, s0, -1
	v_lshlrev_b32_e32 v36, 1, v35
	s_delay_alu instid0(VALU_DEP_2) | instskip(NEXT) | instid1(VALU_DEP_3)
	v_add_co_u32 v0, vcc_lo, v0, v33
	v_add_co_ci_u32_e32 v1, vcc_lo, v1, v34, vcc_lo
	s_delay_alu instid0(VALU_DEP_2) | instskip(NEXT) | instid1(VALU_DEP_2)
	v_add_co_u32 v0, vcc_lo, v0, v36
	v_add_co_ci_u32_e32 v1, vcc_lo, 0, v1, vcc_lo
	v_cmp_lt_u32_e32 vcc_lo, v35, v25
	s_and_saveexec_b32 s1, s0
	s_delay_alu instid0(SALU_CYCLE_1)
	s_xor_b32 s6, exec_lo, s1
	s_cbranch_execnz .LBB1869_4
; %bb.1:
	s_and_not1_saveexec_b32 s6, s6
	s_cbranch_execnz .LBB1869_109
.LBB1869_2:
	s_or_b32 exec_lo, exec_lo, s6
	s_and_saveexec_b32 s0, s5
	s_cbranch_execnz .LBB1869_214
.LBB1869_3:
	s_or_b32 exec_lo, exec_lo, s0
	s_waitcnt lgkmcnt(0)
	s_setpc_b64 s[30:31]
.LBB1869_4:
	v_dual_mov_b32 v39, 0x7fff :: v_dual_mov_b32 v48, 0x7fff
	s_and_saveexec_b32 s0, vcc_lo
	s_cbranch_execz .LBB1869_6
; %bb.5:
	flat_load_u16 v48, v[0:1]
.LBB1869_6:
	s_or_b32 exec_lo, exec_lo, s0
	v_or_b32_e32 v4, 1, v35
	s_delay_alu instid0(VALU_DEP_1) | instskip(NEXT) | instid1(VALU_DEP_1)
	v_cmp_lt_u32_e64 s0, v4, v25
	s_and_saveexec_b32 s1, s0
	s_cbranch_execz .LBB1869_8
; %bb.7:
	flat_load_u16 v39, v[0:1] offset:2
.LBB1869_8:
	s_or_b32 exec_lo, exec_lo, s1
	v_or_b32_e32 v4, 2, v35
	v_dual_mov_b32 v12, 0x7fff :: v_dual_mov_b32 v49, 0x7fff
	s_delay_alu instid0(VALU_DEP_2) | instskip(NEXT) | instid1(VALU_DEP_1)
	v_cmp_lt_u32_e64 s1, v4, v25
	s_and_saveexec_b32 s2, s1
	s_cbranch_execz .LBB1869_10
; %bb.9:
	flat_load_u16 v49, v[0:1] offset:4
.LBB1869_10:
	s_or_b32 exec_lo, exec_lo, s2
	v_or_b32_e32 v4, 3, v35
	s_delay_alu instid0(VALU_DEP_1) | instskip(NEXT) | instid1(VALU_DEP_1)
	v_cmp_lt_u32_e64 s2, v4, v25
	s_and_saveexec_b32 s3, s2
	s_cbranch_execz .LBB1869_12
; %bb.11:
	flat_load_u16 v12, v[0:1] offset:6
.LBB1869_12:
	s_or_b32 exec_lo, exec_lo, s3
	v_lshlrev_b64 v[0:1], 3, v[13:14]
	v_lshlrev_b32_e32 v38, 3, v35
	; wave barrier
                                        ; implicit-def: $vgpr17_vgpr18_vgpr19_vgpr20_vgpr21_vgpr22_vgpr23_vgpr24
	s_delay_alu instid0(VALU_DEP_2) | instskip(NEXT) | instid1(VALU_DEP_1)
	v_add_co_u32 v4, s3, v6, v0
	v_add_co_ci_u32_e64 v5, s3, v7, v1, s3
	s_delay_alu instid0(VALU_DEP_2) | instskip(NEXT) | instid1(VALU_DEP_1)
	v_add_co_u32 v4, s3, v4, v38
	v_add_co_ci_u32_e64 v5, s3, 0, v5, s3
	s_and_saveexec_b32 s3, vcc_lo
	s_cbranch_execnz .LBB1869_215
; %bb.13:
	s_or_b32 exec_lo, exec_lo, s3
	s_and_saveexec_b32 s3, s0
	s_cbranch_execnz .LBB1869_216
.LBB1869_14:
	s_or_b32 exec_lo, exec_lo, s3
	s_and_saveexec_b32 s3, s1
	s_cbranch_execnz .LBB1869_217
.LBB1869_15:
	s_or_b32 exec_lo, exec_lo, s3
	s_and_saveexec_b32 s3, s2
	s_cbranch_execz .LBB1869_17
.LBB1869_16:
	flat_load_b64 v[23:24], v[4:5] offset:24
.LBB1869_17:
	s_or_b32 exec_lo, exec_lo, s3
	; wave barrier
	s_load_b64 s[4:5], s[8:9], 0x0
	v_mov_b32_e32 v4, 0
	v_bfe_u32 v6, v31, 10, 10
	v_bfe_u32 v7, v31, 20, 10
	s_waitcnt lgkmcnt(0)
	s_cmp_lt_u32 s13, s5
	s_cselect_b32 s3, 14, 20
	s_delay_alu instid0(SALU_CYCLE_1) | instskip(SKIP_4) | instid1(SALU_CYCLE_1)
	s_add_u32 s10, s8, s3
	s_addc_u32 s11, s9, 0
	s_cmp_lt_u32 s12, s4
	global_load_u16 v5, v4, s[10:11]
	s_cselect_b32 s3, 12, 18
	s_add_u32 s4, s8, s3
	s_addc_u32 s5, s9, 0
	global_load_u16 v4, v4, s[4:5]
	s_mov_b32 s5, exec_lo
	s_waitcnt vmcnt(1)
	v_mad_u32_u24 v5, v7, v5, v6
	s_waitcnt vmcnt(0)
	s_delay_alu instid0(VALU_DEP_1) | instskip(SKIP_1) | instid1(VALU_DEP_1)
	v_mul_lo_u32 v4, v5, v4
	v_and_b32_e32 v5, 0x3ff, v31
	v_add_lshl_u32 v4, v4, v5, 2
	s_delay_alu instid0(VALU_DEP_1)
	v_cmpx_gt_u32_e32 0x400, v4
	s_cbranch_execz .LBB1869_27
; %bb.18:
	v_add_f16_e32 v5, 0, v48
	v_add_f16_e32 v6, 0, v39
	;; [unrolled: 1-line block ×4, first 2 shown]
	s_mov_b32 s7, exec_lo
	v_cmp_lt_i16_e64 s3, -1, v5
	v_dual_mov_b32 v30, v22 :: v_dual_mov_b32 v29, v21
	v_dual_mov_b32 v32, v24 :: v_dual_mov_b32 v31, v23
	s_delay_alu instid0(VALU_DEP_3) | instskip(SKIP_1) | instid1(VALU_DEP_2)
	v_cndmask_b32_e64 v11, -1, 0xffff8000, s3
	v_cmp_lt_i16_e64 s3, -1, v6
	v_xor_b32_e32 v5, v11, v5
	s_delay_alu instid0(VALU_DEP_2) | instskip(SKIP_1) | instid1(VALU_DEP_2)
	v_cndmask_b32_e64 v25, -1, 0xffff8000, s3
	v_cmp_lt_i16_e64 s3, -1, v7
	v_xor_b32_e32 v6, v25, v6
	s_delay_alu instid0(VALU_DEP_2) | instskip(SKIP_1) | instid1(VALU_DEP_1)
	v_cndmask_b32_e64 v11, -1, 0xffff8000, s3
	v_cmp_lt_i16_e64 s3, -1, v10
	v_cndmask_b32_e64 v25, -1, 0xffff8000, s3
	s_delay_alu instid0(VALU_DEP_4) | instskip(SKIP_2) | instid1(VALU_DEP_4)
	v_cmp_gt_u16_e64 s3, v5, v6
	v_mov_b32_e32 v5, v49
	v_xor_b32_e32 v6, v11, v7
	v_xor_b32_e32 v11, v25, v10
	s_delay_alu instid0(VALU_DEP_4)
	v_cndmask_b32_e64 v28, v20, v18, s3
	v_cndmask_b32_e64 v27, v19, v17, s3
	;; [unrolled: 1-line block ×4, first 2 shown]
	v_cmpx_gt_u16_e64 v6, v11
; %bb.19:
	v_dual_mov_b32 v7, v10 :: v_dual_mov_b32 v6, v11
	v_dual_mov_b32 v5, v12 :: v_dual_mov_b32 v12, v49
	;; [unrolled: 1-line block ×4, first 2 shown]
; %bb.20:
	s_or_b32 exec_lo, exec_lo, s7
	v_cndmask_b32_e64 v11, v39, v48, s3
	s_delay_alu instid0(VALU_DEP_1) | instskip(NEXT) | instid1(VALU_DEP_1)
	v_add_f16_e32 v10, 0, v11
	v_cmp_lt_i16_e64 s4, -1, v10
	s_delay_alu instid0(VALU_DEP_1) | instskip(NEXT) | instid1(VALU_DEP_1)
	v_cndmask_b32_e64 v17, -1, 0xffff8000, s4
	v_xor_b32_e32 v18, v17, v10
	v_mov_b32_e32 v17, v7
	s_delay_alu instid0(VALU_DEP_2) | instskip(SKIP_1) | instid1(VALU_DEP_2)
	v_cmp_gt_u16_e64 s4, v18, v6
	v_mov_b32_e32 v6, v11
	s_and_saveexec_b32 s7, s4
	s_delay_alu instid0(SALU_CYCLE_1)
	s_xor_b32 s4, exec_lo, s7
	s_cbranch_execz .LBB1869_22
; %bb.21:
	v_dual_mov_b32 v17, v25 :: v_dual_mov_b32 v18, v26
	v_dual_mov_b32 v23, v31 :: v_dual_mov_b32 v24, v32
	;; [unrolled: 1-line block ×7, first 2 shown]
	s_delay_alu instid0(VALU_DEP_3) | instskip(NEXT) | instid1(VALU_DEP_3)
	v_dual_mov_b32 v32, v24 :: v_dual_mov_b32 v31, v23
	v_dual_mov_b32 v28, v20 :: v_dual_mov_b32 v27, v19
	s_delay_alu instid0(VALU_DEP_3)
	v_dual_mov_b32 v30, v22 :: v_dual_mov_b32 v29, v21
	v_dual_mov_b32 v26, v18 :: v_dual_mov_b32 v25, v17
	v_dual_mov_b32 v17, v10 :: v_dual_mov_b32 v6, v5
	v_mov_b32_e32 v5, v11
	v_mov_b32_e32 v10, v7
.LBB1869_22:
	s_or_b32 exec_lo, exec_lo, s4
	v_cndmask_b32_e64 v7, v48, v39, s3
	s_delay_alu instid0(VALU_DEP_2)
	v_cmp_lt_i16_e64 s3, -1, v10
	v_add_f16_e32 v19, 0, v12
	v_mov_b32_e32 v21, v29
	s_mov_b32 s7, exec_lo
	v_add_f16_e32 v11, 0, v7
	v_cndmask_b32_e64 v18, -1, 0xffff8000, s3
	v_mov_b32_e32 v24, v32
	s_delay_alu instid0(VALU_DEP_3) | instskip(NEXT) | instid1(VALU_DEP_3)
	v_cmp_lt_i16_e64 s3, -1, v11
	v_xor_b32_e32 v10, v18, v10
	s_delay_alu instid0(VALU_DEP_2) | instskip(SKIP_1) | instid1(VALU_DEP_2)
	v_cndmask_b32_e64 v20, -1, 0xffff8000, s3
	v_cmp_lt_i16_e64 s3, -1, v17
	v_xor_b32_e32 v18, v20, v11
	s_delay_alu instid0(VALU_DEP_2) | instskip(SKIP_1) | instid1(VALU_DEP_2)
	v_cndmask_b32_e64 v22, -1, 0xffff8000, s3
	v_cmp_lt_i16_e64 s3, -1, v19
	v_xor_b32_e32 v11, v22, v17
	v_mov_b32_e32 v22, v30
	s_delay_alu instid0(VALU_DEP_3) | instskip(SKIP_2) | instid1(VALU_DEP_3)
	v_cndmask_b32_e64 v23, -1, 0xffff8000, s3
	v_cmp_gt_u16_e64 s3, v18, v10
	v_mov_b32_e32 v10, v5
	v_xor_b32_e32 v29, v23, v19
	v_mov_b32_e32 v23, v31
	s_delay_alu instid0(VALU_DEP_4)
	v_cndmask_b32_e64 v20, v28, v26, s3
	v_cndmask_b32_e64 v19, v27, v25, s3
	;; [unrolled: 1-line block ×4, first 2 shown]
	v_cmpx_gt_u16_e64 v11, v29
; %bb.23:
	s_delay_alu instid0(VALU_DEP_2)
	v_dual_mov_b32 v48, v17 :: v_dual_mov_b32 v49, v18
	v_dual_mov_b32 v50, v19 :: v_dual_mov_b32 v51, v20
	;; [unrolled: 1-line block ×9, first 2 shown]
	v_mov_b32_e32 v24, v55
; %bb.24:
	s_or_b32 exec_lo, exec_lo, s7
	v_cndmask_b32_e64 v39, v6, v7, s3
	v_mov_b32_e32 v49, v10
	s_mov_b32 s7, exec_lo
	s_delay_alu instid0(VALU_DEP_2) | instskip(NEXT) | instid1(VALU_DEP_1)
	v_add_f16_e32 v5, 0, v39
	v_cmp_lt_i16_e64 s4, -1, v5
	s_delay_alu instid0(VALU_DEP_1) | instskip(NEXT) | instid1(VALU_DEP_1)
	v_cndmask_b32_e64 v25, -1, 0xffff8000, s4
	v_xor_b32_e32 v5, v25, v5
	s_delay_alu instid0(VALU_DEP_1)
	v_cmpx_gt_u16_e64 v5, v11
; %bb.25:
	v_dual_mov_b32 v25, v17 :: v_dual_mov_b32 v26, v18
	v_dual_mov_b32 v27, v21 :: v_dual_mov_b32 v28, v22
	;; [unrolled: 1-line block ×4, first 2 shown]
	s_delay_alu instid0(VALU_DEP_4) | instskip(NEXT) | instid1(VALU_DEP_4)
	v_dual_mov_b32 v17, v25 :: v_dual_mov_b32 v18, v26
	v_dual_mov_b32 v19, v27 :: v_dual_mov_b32 v20, v28
	s_delay_alu instid0(VALU_DEP_4) | instskip(NEXT) | instid1(VALU_DEP_4)
	v_dual_mov_b32 v21, v29 :: v_dual_mov_b32 v22, v30
	v_dual_mov_b32 v23, v31 :: v_dual_mov_b32 v24, v32
	v_mov_b32_e32 v49, v39
	v_mov_b32_e32 v39, v10
; %bb.26:
	s_or_b32 exec_lo, exec_lo, s7
	v_cndmask_b32_e64 v48, v7, v6, s3
.LBB1869_27:
	s_or_b32 exec_lo, exec_lo, s5
	v_dual_mov_b32 v28, 0 :: v_dual_and_b32 v27, 0xffffff80, v4
	v_or_b32_e32 v6, 4, v37
	v_lshlrev_b32_e32 v10, 1, v37
	v_and_b32_e32 v11, 4, v37
	s_delay_alu instid0(VALU_DEP_4)
	v_sub_nc_u32_e64 v31, 0x400, v27 clamp
	v_lshlrev_b64 v[4:5], 1, v[27:28]
	v_lshlrev_b32_e32 v25, 3, v37
	v_and_b32_e32 v29, 0x78, v37
	v_perm_b32 v54, v12, v49, 0x5040100
	v_min_u32_e32 v32, v31, v6
	v_min_u32_e32 v30, v31, v11
	v_add_co_u32 v6, s3, v15, v4
	s_delay_alu instid0(VALU_DEP_1) | instskip(NEXT) | instid1(VALU_DEP_4)
	v_add_co_ci_u32_e64 v7, s3, v16, v5, s3
	v_add_nc_u32_e32 v15, 4, v32
	s_delay_alu instid0(VALU_DEP_3) | instskip(NEXT) | instid1(VALU_DEP_3)
	v_add_co_u32 v10, s3, v6, v10
	v_mad_u64_u32 v[4:5], null, v27, 6, v[6:7]
	s_delay_alu instid0(VALU_DEP_3) | instskip(SKIP_3) | instid1(VALU_DEP_4)
	v_min_u32_e32 v50, v31, v15
	v_add_co_ci_u32_e64 v11, s3, 0, v7, s3
	v_sub_nc_u32_e32 v26, v32, v29
	v_perm_b32 v53, v39, v48, 0x5040100
	v_sub_nc_u32_e32 v27, v50, v32
	v_add_co_u32 v15, s3, v4, v25
	s_delay_alu instid0(VALU_DEP_1) | instskip(NEXT) | instid1(VALU_DEP_3)
	v_add_co_ci_u32_e64 v16, s3, 0, v5, s3
	v_sub_nc_u32_e64 v51, v30, v27 clamp
	s_delay_alu instid0(VALU_DEP_3) | instskip(SKIP_1) | instid1(VALU_DEP_4)
	v_add_co_u32 v25, s3, 0x800, v15
	v_min_u32_e32 v52, v30, v26
	v_add_co_ci_u32_e64 v26, s3, 0, v16, s3
	s_mov_b32 s4, 0
	s_mov_b32 s5, exec_lo
	s_clause 0x2
	flat_store_b128 v[15:16], v[17:20] offset:2048
	flat_store_b64 v[10:11], v[53:54]
	flat_store_b128 v[15:16], v[21:24] offset:2064
	; wave barrier
	v_cmpx_lt_u32_e64 v51, v52
	s_cbranch_execz .LBB1869_31
; %bb.28:
	v_lshlrev_b32_e32 v27, 1, v29
	v_lshlrev_b32_e32 v55, 1, v32
	s_delay_alu instid0(VALU_DEP_2) | instskip(NEXT) | instid1(VALU_DEP_1)
	v_add_co_u32 v53, s3, v6, v27
	v_add_co_ci_u32_e64 v54, s3, 0, v7, s3
	s_delay_alu instid0(VALU_DEP_3) | instskip(NEXT) | instid1(VALU_DEP_1)
	v_add_co_u32 v55, s3, v6, v55
	v_add_co_ci_u32_e64 v64, s3, 0, v7, s3
	s_set_inst_prefetch_distance 0x1
	.p2align	6
.LBB1869_29:                            ; =>This Inner Loop Header: Depth=1
	v_add_nc_u32_e32 v27, v52, v51
	s_delay_alu instid0(VALU_DEP_1) | instskip(SKIP_1) | instid1(VALU_DEP_2)
	v_lshrrev_b32_e32 v69, 1, v27
	v_and_b32_e32 v65, -2, v27
	v_xad_u32 v27, v69, -1, v30
	s_delay_alu instid0(VALU_DEP_2) | instskip(NEXT) | instid1(VALU_DEP_1)
	v_add_co_u32 v65, s3, v53, v65
	v_add_co_ci_u32_e64 v66, s3, 0, v54, s3
	s_delay_alu instid0(VALU_DEP_3) | instskip(NEXT) | instid1(VALU_DEP_1)
	v_lshlrev_b64 v[67:68], 1, v[27:28]
	v_add_co_u32 v67, s3, v55, v67
	s_delay_alu instid0(VALU_DEP_1)
	v_add_co_ci_u32_e64 v68, s3, v64, v68, s3
	s_clause 0x1
	flat_load_u16 v27, v[65:66]
	flat_load_u16 v65, v[67:68]
	s_waitcnt vmcnt(1) lgkmcnt(1)
	v_add_f16_e32 v27, 0, v27
	s_waitcnt vmcnt(0) lgkmcnt(0)
	v_add_f16_e32 v65, 0, v65
	s_delay_alu instid0(VALU_DEP_2) | instskip(NEXT) | instid1(VALU_DEP_1)
	v_cmp_lt_i16_e64 s3, -1, v27
	v_cndmask_b32_e64 v66, -1, 0xffff8000, s3
	s_delay_alu instid0(VALU_DEP_3) | instskip(NEXT) | instid1(VALU_DEP_2)
	v_cmp_lt_i16_e64 s3, -1, v65
	v_xor_b32_e32 v27, v66, v27
	s_delay_alu instid0(VALU_DEP_2) | instskip(SKIP_1) | instid1(VALU_DEP_2)
	v_cndmask_b32_e64 v67, -1, 0xffff8000, s3
	v_add_nc_u32_e32 v66, 1, v69
	v_xor_b32_e32 v65, v67, v65
	s_delay_alu instid0(VALU_DEP_1) | instskip(NEXT) | instid1(VALU_DEP_1)
	v_cmp_gt_u16_e64 s3, v27, v65
	v_cndmask_b32_e64 v52, v52, v69, s3
	s_delay_alu instid0(VALU_DEP_4) | instskip(NEXT) | instid1(VALU_DEP_1)
	v_cndmask_b32_e64 v51, v66, v51, s3
	v_cmp_ge_u32_e64 s3, v51, v52
	s_delay_alu instid0(VALU_DEP_1) | instskip(NEXT) | instid1(SALU_CYCLE_1)
	s_or_b32 s4, s3, s4
	s_and_not1_b32 exec_lo, exec_lo, s4
	s_cbranch_execnz .LBB1869_29
; %bb.30:
	s_set_inst_prefetch_distance 0x2
	s_or_b32 exec_lo, exec_lo, s4
.LBB1869_31:
	s_delay_alu instid0(SALU_CYCLE_1) | instskip(SKIP_2) | instid1(VALU_DEP_2)
	s_or_b32 exec_lo, exec_lo, s5
	v_add_nc_u32_e32 v28, v32, v30
	v_add_nc_u32_e32 v27, v51, v29
	v_sub_nc_u32_e32 v29, v28, v51
	s_delay_alu instid0(VALU_DEP_2) | instskip(NEXT) | instid1(VALU_DEP_2)
	v_cmp_le_u32_e64 s3, v27, v32
	v_cmp_le_u32_e64 s4, v29, v50
	s_delay_alu instid0(VALU_DEP_1) | instskip(NEXT) | instid1(SALU_CYCLE_1)
	s_or_b32 s3, s3, s4
	s_and_saveexec_b32 s5, s3
	s_cbranch_execz .LBB1869_51
; %bb.32:
	v_cmp_ge_u32_e64 s3, v27, v32
	s_mov_b32 s7, exec_lo
                                        ; implicit-def: $vgpr12
	v_cmpx_lt_u32_e64 v27, v32
	s_cbranch_execz .LBB1869_34
; %bb.33:
	v_mov_b32_e32 v28, 0
	s_delay_alu instid0(VALU_DEP_1) | instskip(NEXT) | instid1(VALU_DEP_1)
	v_lshlrev_b64 v[17:18], 1, v[27:28]
	v_add_co_u32 v17, s4, v6, v17
	s_delay_alu instid0(VALU_DEP_1)
	v_add_co_ci_u32_e64 v18, s4, v7, v18, s4
	flat_load_u16 v12, v[17:18]
.LBB1869_34:
	s_or_b32 exec_lo, exec_lo, s7
	v_cmp_ge_u32_e64 s7, v29, v50
	s_mov_b32 s10, exec_lo
                                        ; implicit-def: $vgpr28
	v_cmpx_lt_u32_e64 v29, v50
	s_cbranch_execz .LBB1869_36
; %bb.35:
	v_mov_b32_e32 v30, 0
	s_delay_alu instid0(VALU_DEP_1) | instskip(NEXT) | instid1(VALU_DEP_1)
	v_lshlrev_b64 v[17:18], 1, v[29:30]
	v_add_co_u32 v17, s4, v6, v17
	s_delay_alu instid0(VALU_DEP_1)
	v_add_co_ci_u32_e64 v18, s4, v7, v18, s4
	flat_load_u16 v28, v[17:18]
.LBB1869_36:
	s_or_b32 exec_lo, exec_lo, s10
	s_or_b32 s3, s3, s7
	s_mov_b32 s4, -1
	s_xor_b32 s3, s3, -1
	s_delay_alu instid0(SALU_CYCLE_1)
	s_and_saveexec_b32 s10, s3
	s_cbranch_execz .LBB1869_38
; %bb.37:
	s_waitcnt vmcnt(0) lgkmcnt(0)
	v_add_f16_e32 v17, 0, v12
	v_add_f16_e32 v18, 0, v28
	s_and_not1_b32 s7, s7, exec_lo
	s_delay_alu instid0(VALU_DEP_2) | instskip(NEXT) | instid1(VALU_DEP_1)
	v_cmp_lt_i16_e64 s3, -1, v17
	v_cndmask_b32_e64 v19, -1, 0xffff8000, s3
	s_delay_alu instid0(VALU_DEP_3) | instskip(NEXT) | instid1(VALU_DEP_2)
	v_cmp_lt_i16_e64 s3, -1, v18
	v_xor_b32_e32 v17, v19, v17
	s_delay_alu instid0(VALU_DEP_2) | instskip(NEXT) | instid1(VALU_DEP_1)
	v_cndmask_b32_e64 v20, -1, 0xffff8000, s3
	v_xor_b32_e32 v18, v20, v18
	s_delay_alu instid0(VALU_DEP_1) | instskip(NEXT) | instid1(VALU_DEP_1)
	v_cmp_le_u16_e64 s3, v17, v18
	s_and_b32 s3, s3, exec_lo
	s_delay_alu instid0(SALU_CYCLE_1)
	s_or_b32 s7, s7, s3
.LBB1869_38:
	s_or_b32 exec_lo, exec_lo, s10
	v_cndmask_b32_e64 v19, v29, v27, s7
	v_cndmask_b32_e64 v17, v50, v32, s7
	v_mov_b32_e32 v20, 0
	s_mov_b32 s11, 0
	s_mov_b32 s10, exec_lo
	v_add_nc_u32_e32 v23, 1, v19
	v_add_nc_u32_e32 v21, -1, v17
	v_lshlrev_b64 v[17:18], 3, v[19:20]
	s_delay_alu instid0(VALU_DEP_2) | instskip(NEXT) | instid1(VALU_DEP_1)
	v_min_u32_e32 v19, v23, v21
	v_lshlrev_b64 v[21:22], 1, v[19:20]
	s_delay_alu instid0(VALU_DEP_1) | instskip(NEXT) | instid1(VALU_DEP_1)
	v_add_co_u32 v21, s3, v6, v21
	v_add_co_ci_u32_e64 v22, s3, v7, v22, s3
	v_add_co_u32 v17, s3, v4, v17
	s_delay_alu instid0(VALU_DEP_1)
	v_add_co_ci_u32_e64 v18, s3, v5, v18, s3
	s_clause 0x1
	flat_load_u16 v19, v[21:22]
	flat_load_b64 v[17:18], v[17:18] offset:2048
	v_cndmask_b32_e64 v21, v23, v29, s7
	v_cndmask_b32_e64 v22, v27, v23, s7
	s_waitcnt vmcnt(1) lgkmcnt(1)
	v_cndmask_b32_e64 v27, v19, v28, s7
	v_cndmask_b32_e64 v29, v12, v19, s7
	v_cmpx_lt_u32_e64 v21, v50
	s_cbranch_execz .LBB1869_42
; %bb.39:
	s_mov_b32 s4, exec_lo
	v_cmpx_lt_u32_e64 v22, v32
; %bb.40:
	v_add_f16_e32 v19, 0, v29
	v_add_f16_e32 v23, 0, v27
	s_delay_alu instid0(VALU_DEP_2) | instskip(NEXT) | instid1(VALU_DEP_1)
	v_cmp_lt_i16_e64 s3, -1, v19
	v_cndmask_b32_e64 v24, -1, 0xffff8000, s3
	s_delay_alu instid0(VALU_DEP_3) | instskip(NEXT) | instid1(VALU_DEP_2)
	v_cmp_lt_i16_e64 s3, -1, v23
	v_xor_b32_e32 v19, v24, v19
	s_delay_alu instid0(VALU_DEP_2) | instskip(NEXT) | instid1(VALU_DEP_1)
	v_cndmask_b32_e64 v30, -1, 0xffff8000, s3
	v_xor_b32_e32 v23, v30, v23
	s_delay_alu instid0(VALU_DEP_1) | instskip(NEXT) | instid1(VALU_DEP_1)
	v_cmp_le_u16_e64 s3, v19, v23
	s_and_b32 s11, s3, exec_lo
; %bb.41:
	s_or_b32 exec_lo, exec_lo, s4
	s_delay_alu instid0(SALU_CYCLE_1)
	s_or_not1_b32 s4, s11, exec_lo
.LBB1869_42:
	s_or_b32 exec_lo, exec_lo, s10
	v_cndmask_b32_e64 v19, v21, v22, s4
	v_cndmask_b32_e64 v23, v50, v32, s4
	s_mov_b32 s15, 0
	s_mov_b32 s10, -1
	s_mov_b32 s11, -1
	v_add_nc_u32_e32 v30, 1, v19
	v_add_nc_u32_e32 v39, -1, v23
	v_lshlrev_b64 v[23:24], 3, v[19:20]
	s_mov_b32 s14, exec_lo
	s_delay_alu instid0(VALU_DEP_3) | instskip(NEXT) | instid1(VALU_DEP_3)
	v_cndmask_b32_e64 v48, v30, v21, s4
	v_min_u32_e32 v19, v30, v39
	v_cndmask_b32_e64 v49, v22, v30, s4
	s_delay_alu instid0(VALU_DEP_2) | instskip(NEXT) | instid1(VALU_DEP_1)
	v_lshlrev_b64 v[19:20], 1, v[19:20]
	v_add_co_u32 v19, s3, v6, v19
	s_delay_alu instid0(VALU_DEP_1) | instskip(SKIP_2) | instid1(VALU_DEP_1)
	v_add_co_ci_u32_e64 v20, s3, v7, v20, s3
	flat_load_u16 v39, v[19:20]
	v_add_co_u32 v19, s3, v4, v23
	v_add_co_ci_u32_e64 v20, s3, v5, v24, s3
	flat_load_b64 v[19:20], v[19:20] offset:2048
	s_waitcnt vmcnt(1) lgkmcnt(1)
	v_cndmask_b32_e64 v30, v39, v27, s4
	v_cndmask_b32_e64 v39, v29, v39, s4
	v_cmpx_lt_u32_e64 v48, v50
	s_cbranch_execz .LBB1869_46
; %bb.43:
	s_mov_b32 s11, exec_lo
	v_cmpx_lt_u32_e64 v49, v32
; %bb.44:
	v_add_f16_e32 v21, 0, v39
	v_add_f16_e32 v22, 0, v30
	s_delay_alu instid0(VALU_DEP_2) | instskip(NEXT) | instid1(VALU_DEP_1)
	v_cmp_lt_i16_e64 s3, -1, v21
	v_cndmask_b32_e64 v23, -1, 0xffff8000, s3
	s_delay_alu instid0(VALU_DEP_3) | instskip(NEXT) | instid1(VALU_DEP_2)
	v_cmp_lt_i16_e64 s3, -1, v22
	v_xor_b32_e32 v21, v23, v21
	s_delay_alu instid0(VALU_DEP_2) | instskip(NEXT) | instid1(VALU_DEP_1)
	v_cndmask_b32_e64 v24, -1, 0xffff8000, s3
	v_xor_b32_e32 v22, v24, v22
	s_delay_alu instid0(VALU_DEP_1) | instskip(NEXT) | instid1(VALU_DEP_1)
	v_cmp_le_u16_e64 s3, v21, v22
	s_and_b32 s15, s3, exec_lo
; %bb.45:
	s_or_b32 exec_lo, exec_lo, s11
	s_delay_alu instid0(SALU_CYCLE_1)
	s_or_not1_b32 s11, s15, exec_lo
.LBB1869_46:
	s_or_b32 exec_lo, exec_lo, s14
	v_cndmask_b32_e64 v23, v48, v49, s11
	v_cndmask_b32_e64 v21, v50, v32, s11
	v_mov_b32_e32 v24, 0
	s_mov_b32 s15, 0
	s_mov_b32 s14, exec_lo
	v_add_nc_u32_e32 v53, 1, v23
	v_add_nc_u32_e32 v51, -1, v21
	v_lshlrev_b64 v[21:22], 3, v[23:24]
	s_delay_alu instid0(VALU_DEP_2) | instskip(NEXT) | instid1(VALU_DEP_1)
	v_min_u32_e32 v23, v53, v51
	v_lshlrev_b64 v[51:52], 1, v[23:24]
	v_cndmask_b32_e64 v23, v53, v48, s11
	v_cndmask_b32_e64 v48, v49, v53, s11
	s_delay_alu instid0(VALU_DEP_3) | instskip(NEXT) | instid1(VALU_DEP_1)
	v_add_co_u32 v51, s3, v6, v51
	v_add_co_ci_u32_e64 v52, s3, v7, v52, s3
	v_add_co_u32 v21, s3, v4, v21
	s_delay_alu instid0(VALU_DEP_1)
	v_add_co_ci_u32_e64 v22, s3, v5, v22, s3
	s_clause 0x1
	flat_load_u16 v52, v[51:52]
	flat_load_b64 v[21:22], v[21:22] offset:2048
	s_waitcnt vmcnt(1) lgkmcnt(1)
	v_cndmask_b32_e64 v51, v52, v30, s11
	v_cndmask_b32_e64 v52, v39, v52, s11
	v_cmpx_lt_u32_e64 v23, v50
	s_cbranch_execz .LBB1869_50
; %bb.47:
	s_mov_b32 s10, exec_lo
	v_cmpx_lt_u32_e64 v48, v32
; %bb.48:
	v_add_f16_e32 v32, 0, v52
	v_add_f16_e32 v49, 0, v51
	s_delay_alu instid0(VALU_DEP_2) | instskip(NEXT) | instid1(VALU_DEP_1)
	v_cmp_lt_i16_e64 s3, -1, v32
	v_cndmask_b32_e64 v50, -1, 0xffff8000, s3
	s_delay_alu instid0(VALU_DEP_3) | instskip(NEXT) | instid1(VALU_DEP_2)
	v_cmp_lt_i16_e64 s3, -1, v49
	v_xor_b32_e32 v32, v50, v32
	s_delay_alu instid0(VALU_DEP_2) | instskip(NEXT) | instid1(VALU_DEP_1)
	v_cndmask_b32_e64 v53, -1, 0xffff8000, s3
	v_xor_b32_e32 v49, v53, v49
	s_delay_alu instid0(VALU_DEP_1) | instskip(NEXT) | instid1(VALU_DEP_1)
	v_cmp_le_u16_e64 s3, v32, v49
	s_and_b32 s15, s3, exec_lo
; %bb.49:
	s_or_b32 exec_lo, exec_lo, s10
	s_delay_alu instid0(SALU_CYCLE_1)
	s_or_not1_b32 s10, s15, exec_lo
.LBB1869_50:
	s_or_b32 exec_lo, exec_lo, s14
	v_cndmask_b32_e64 v23, v23, v48, s10
	v_cndmask_b32_e64 v49, v30, v39, s11
	;; [unrolled: 1-line block ×5, first 2 shown]
	v_lshlrev_b64 v[23:24], 3, v[23:24]
	s_delay_alu instid0(VALU_DEP_1) | instskip(NEXT) | instid1(VALU_DEP_1)
	v_add_co_u32 v23, s3, v4, v23
	v_add_co_ci_u32_e64 v24, s3, v5, v24, s3
	flat_load_b64 v[23:24], v[23:24] offset:2048
.LBB1869_51:
	s_or_b32 exec_lo, exec_lo, s5
	v_and_b32_e32 v29, 0x70, v37
	v_and_b32_e32 v28, 12, v37
	s_mov_b32 s4, exec_lo
	; wave barrier
	s_delay_alu instid0(VALU_DEP_2) | instskip(NEXT) | instid1(VALU_DEP_2)
	v_or_b32_e32 v27, 8, v29
	v_min_u32_e32 v30, v31, v28
	s_delay_alu instid0(VALU_DEP_2) | instskip(NEXT) | instid1(VALU_DEP_1)
	v_min_u32_e32 v32, v31, v27
	v_add_nc_u32_e32 v27, 8, v32
	s_delay_alu instid0(VALU_DEP_1) | instskip(SKIP_1) | instid1(VALU_DEP_2)
	v_min_u32_e32 v50, v31, v27
	v_sub_nc_u32_e32 v27, v32, v29
	v_sub_nc_u32_e32 v28, v50, v32
	s_delay_alu instid0(VALU_DEP_2) | instskip(SKIP_1) | instid1(VALU_DEP_3)
	v_min_u32_e32 v52, v30, v27
	v_perm_b32 v27, v39, v48, 0x5040100
	v_sub_nc_u32_e64 v51, v30, v28 clamp
	v_perm_b32 v28, v12, v49, 0x5040100
	s_clause 0x1
	flat_store_b128 v[15:16], v[17:20] offset:2048
	flat_store_b64 v[10:11], v[27:28]
	s_waitcnt vmcnt(0) lgkmcnt(2)
	flat_store_b128 v[25:26], v[21:24] offset:16
	; wave barrier
	v_cmpx_lt_u32_e64 v51, v52
	s_cbranch_execz .LBB1869_55
; %bb.52:
	v_lshlrev_b32_e32 v27, 1, v29
	v_lshlrev_b32_e32 v28, 1, v32
	s_mov_b32 s5, 0
	s_delay_alu instid0(VALU_DEP_2) | instskip(NEXT) | instid1(VALU_DEP_1)
	v_add_co_u32 v53, s3, v6, v27
	v_add_co_ci_u32_e64 v54, s3, 0, v7, s3
	s_delay_alu instid0(VALU_DEP_3)
	v_add_co_u32 v55, s3, v6, v28
	v_mov_b32_e32 v28, 0
	v_add_co_ci_u32_e64 v64, s3, 0, v7, s3
	s_set_inst_prefetch_distance 0x1
	.p2align	6
.LBB1869_53:                            ; =>This Inner Loop Header: Depth=1
	v_add_nc_u32_e32 v27, v52, v51
	s_delay_alu instid0(VALU_DEP_1) | instskip(SKIP_1) | instid1(VALU_DEP_2)
	v_lshrrev_b32_e32 v69, 1, v27
	v_and_b32_e32 v65, -2, v27
	v_xad_u32 v27, v69, -1, v30
	s_delay_alu instid0(VALU_DEP_2) | instskip(NEXT) | instid1(VALU_DEP_1)
	v_add_co_u32 v65, s3, v53, v65
	v_add_co_ci_u32_e64 v66, s3, 0, v54, s3
	s_delay_alu instid0(VALU_DEP_3) | instskip(NEXT) | instid1(VALU_DEP_1)
	v_lshlrev_b64 v[67:68], 1, v[27:28]
	v_add_co_u32 v67, s3, v55, v67
	s_delay_alu instid0(VALU_DEP_1)
	v_add_co_ci_u32_e64 v68, s3, v64, v68, s3
	s_clause 0x1
	flat_load_u16 v27, v[65:66]
	flat_load_u16 v65, v[67:68]
	s_waitcnt vmcnt(1) lgkmcnt(1)
	v_add_f16_e32 v27, 0, v27
	s_waitcnt vmcnt(0) lgkmcnt(0)
	v_add_f16_e32 v65, 0, v65
	s_delay_alu instid0(VALU_DEP_2) | instskip(NEXT) | instid1(VALU_DEP_1)
	v_cmp_lt_i16_e64 s3, -1, v27
	v_cndmask_b32_e64 v66, -1, 0xffff8000, s3
	s_delay_alu instid0(VALU_DEP_3) | instskip(NEXT) | instid1(VALU_DEP_2)
	v_cmp_lt_i16_e64 s3, -1, v65
	v_xor_b32_e32 v27, v66, v27
	s_delay_alu instid0(VALU_DEP_2) | instskip(SKIP_1) | instid1(VALU_DEP_2)
	v_cndmask_b32_e64 v67, -1, 0xffff8000, s3
	v_add_nc_u32_e32 v66, 1, v69
	v_xor_b32_e32 v65, v67, v65
	s_delay_alu instid0(VALU_DEP_1) | instskip(NEXT) | instid1(VALU_DEP_1)
	v_cmp_gt_u16_e64 s3, v27, v65
	v_cndmask_b32_e64 v52, v52, v69, s3
	s_delay_alu instid0(VALU_DEP_4) | instskip(NEXT) | instid1(VALU_DEP_1)
	v_cndmask_b32_e64 v51, v66, v51, s3
	v_cmp_ge_u32_e64 s3, v51, v52
	s_delay_alu instid0(VALU_DEP_1) | instskip(NEXT) | instid1(SALU_CYCLE_1)
	s_or_b32 s5, s3, s5
	s_and_not1_b32 exec_lo, exec_lo, s5
	s_cbranch_execnz .LBB1869_53
; %bb.54:
	s_set_inst_prefetch_distance 0x2
	s_or_b32 exec_lo, exec_lo, s5
.LBB1869_55:
	s_delay_alu instid0(SALU_CYCLE_1) | instskip(SKIP_2) | instid1(VALU_DEP_2)
	s_or_b32 exec_lo, exec_lo, s4
	v_add_nc_u32_e32 v28, v32, v30
	v_add_nc_u32_e32 v27, v51, v29
	v_sub_nc_u32_e32 v29, v28, v51
	s_delay_alu instid0(VALU_DEP_2) | instskip(NEXT) | instid1(VALU_DEP_2)
	v_cmp_le_u32_e64 s3, v27, v32
	v_cmp_le_u32_e64 s4, v29, v50
	s_delay_alu instid0(VALU_DEP_1) | instskip(NEXT) | instid1(SALU_CYCLE_1)
	s_or_b32 s3, s3, s4
	s_and_saveexec_b32 s5, s3
	s_cbranch_execz .LBB1869_75
; %bb.56:
	v_cmp_ge_u32_e64 s3, v27, v32
	s_mov_b32 s7, exec_lo
                                        ; implicit-def: $vgpr12
	v_cmpx_lt_u32_e64 v27, v32
	s_cbranch_execz .LBB1869_58
; %bb.57:
	v_mov_b32_e32 v28, 0
	s_delay_alu instid0(VALU_DEP_1) | instskip(NEXT) | instid1(VALU_DEP_1)
	v_lshlrev_b64 v[17:18], 1, v[27:28]
	v_add_co_u32 v17, s4, v6, v17
	s_delay_alu instid0(VALU_DEP_1)
	v_add_co_ci_u32_e64 v18, s4, v7, v18, s4
	flat_load_u16 v12, v[17:18]
.LBB1869_58:
	s_or_b32 exec_lo, exec_lo, s7
	v_cmp_ge_u32_e64 s7, v29, v50
	s_mov_b32 s10, exec_lo
                                        ; implicit-def: $vgpr28
	v_cmpx_lt_u32_e64 v29, v50
	s_cbranch_execz .LBB1869_60
; %bb.59:
	v_mov_b32_e32 v30, 0
	s_delay_alu instid0(VALU_DEP_1) | instskip(NEXT) | instid1(VALU_DEP_1)
	v_lshlrev_b64 v[17:18], 1, v[29:30]
	v_add_co_u32 v17, s4, v6, v17
	s_delay_alu instid0(VALU_DEP_1)
	v_add_co_ci_u32_e64 v18, s4, v7, v18, s4
	flat_load_u16 v28, v[17:18]
.LBB1869_60:
	s_or_b32 exec_lo, exec_lo, s10
	s_or_b32 s3, s3, s7
	s_mov_b32 s4, -1
	s_xor_b32 s3, s3, -1
	s_delay_alu instid0(SALU_CYCLE_1)
	s_and_saveexec_b32 s10, s3
	s_cbranch_execz .LBB1869_62
; %bb.61:
	s_waitcnt vmcnt(0) lgkmcnt(0)
	v_add_f16_e32 v17, 0, v12
	v_add_f16_e32 v18, 0, v28
	s_and_not1_b32 s7, s7, exec_lo
	s_delay_alu instid0(VALU_DEP_2) | instskip(NEXT) | instid1(VALU_DEP_1)
	v_cmp_lt_i16_e64 s3, -1, v17
	v_cndmask_b32_e64 v19, -1, 0xffff8000, s3
	s_delay_alu instid0(VALU_DEP_3) | instskip(NEXT) | instid1(VALU_DEP_2)
	v_cmp_lt_i16_e64 s3, -1, v18
	v_xor_b32_e32 v17, v19, v17
	s_delay_alu instid0(VALU_DEP_2) | instskip(NEXT) | instid1(VALU_DEP_1)
	v_cndmask_b32_e64 v20, -1, 0xffff8000, s3
	v_xor_b32_e32 v18, v20, v18
	s_delay_alu instid0(VALU_DEP_1) | instskip(NEXT) | instid1(VALU_DEP_1)
	v_cmp_le_u16_e64 s3, v17, v18
	s_and_b32 s3, s3, exec_lo
	s_delay_alu instid0(SALU_CYCLE_1)
	s_or_b32 s7, s7, s3
.LBB1869_62:
	s_or_b32 exec_lo, exec_lo, s10
	v_cndmask_b32_e64 v19, v29, v27, s7
	v_cndmask_b32_e64 v17, v50, v32, s7
	v_mov_b32_e32 v20, 0
	s_mov_b32 s11, 0
	s_mov_b32 s10, exec_lo
	v_add_nc_u32_e32 v23, 1, v19
	v_add_nc_u32_e32 v21, -1, v17
	v_lshlrev_b64 v[17:18], 3, v[19:20]
	s_delay_alu instid0(VALU_DEP_2) | instskip(NEXT) | instid1(VALU_DEP_1)
	v_min_u32_e32 v19, v23, v21
	v_lshlrev_b64 v[21:22], 1, v[19:20]
	s_delay_alu instid0(VALU_DEP_1) | instskip(NEXT) | instid1(VALU_DEP_1)
	v_add_co_u32 v21, s3, v6, v21
	v_add_co_ci_u32_e64 v22, s3, v7, v22, s3
	v_add_co_u32 v17, s3, v4, v17
	s_delay_alu instid0(VALU_DEP_1)
	v_add_co_ci_u32_e64 v18, s3, v5, v18, s3
	s_clause 0x1
	flat_load_u16 v19, v[21:22]
	flat_load_b64 v[17:18], v[17:18] offset:2048
	v_cndmask_b32_e64 v21, v23, v29, s7
	v_cndmask_b32_e64 v22, v27, v23, s7
	s_waitcnt vmcnt(1) lgkmcnt(1)
	v_cndmask_b32_e64 v27, v19, v28, s7
	v_cndmask_b32_e64 v29, v12, v19, s7
	v_cmpx_lt_u32_e64 v21, v50
	s_cbranch_execz .LBB1869_66
; %bb.63:
	s_mov_b32 s4, exec_lo
	v_cmpx_lt_u32_e64 v22, v32
; %bb.64:
	v_add_f16_e32 v19, 0, v29
	v_add_f16_e32 v23, 0, v27
	s_delay_alu instid0(VALU_DEP_2) | instskip(NEXT) | instid1(VALU_DEP_1)
	v_cmp_lt_i16_e64 s3, -1, v19
	v_cndmask_b32_e64 v24, -1, 0xffff8000, s3
	s_delay_alu instid0(VALU_DEP_3) | instskip(NEXT) | instid1(VALU_DEP_2)
	v_cmp_lt_i16_e64 s3, -1, v23
	v_xor_b32_e32 v19, v24, v19
	s_delay_alu instid0(VALU_DEP_2) | instskip(NEXT) | instid1(VALU_DEP_1)
	v_cndmask_b32_e64 v30, -1, 0xffff8000, s3
	v_xor_b32_e32 v23, v30, v23
	s_delay_alu instid0(VALU_DEP_1) | instskip(NEXT) | instid1(VALU_DEP_1)
	v_cmp_le_u16_e64 s3, v19, v23
	s_and_b32 s11, s3, exec_lo
; %bb.65:
	s_or_b32 exec_lo, exec_lo, s4
	s_delay_alu instid0(SALU_CYCLE_1)
	s_or_not1_b32 s4, s11, exec_lo
.LBB1869_66:
	s_or_b32 exec_lo, exec_lo, s10
	v_cndmask_b32_e64 v19, v21, v22, s4
	v_cndmask_b32_e64 v23, v50, v32, s4
	s_mov_b32 s15, 0
	s_mov_b32 s10, -1
	s_mov_b32 s11, -1
	v_add_nc_u32_e32 v30, 1, v19
	v_add_nc_u32_e32 v39, -1, v23
	v_lshlrev_b64 v[23:24], 3, v[19:20]
	s_mov_b32 s14, exec_lo
	s_delay_alu instid0(VALU_DEP_3) | instskip(NEXT) | instid1(VALU_DEP_3)
	v_cndmask_b32_e64 v48, v30, v21, s4
	v_min_u32_e32 v19, v30, v39
	v_cndmask_b32_e64 v49, v22, v30, s4
	s_delay_alu instid0(VALU_DEP_2) | instskip(NEXT) | instid1(VALU_DEP_1)
	v_lshlrev_b64 v[19:20], 1, v[19:20]
	v_add_co_u32 v19, s3, v6, v19
	s_delay_alu instid0(VALU_DEP_1) | instskip(SKIP_2) | instid1(VALU_DEP_1)
	v_add_co_ci_u32_e64 v20, s3, v7, v20, s3
	flat_load_u16 v39, v[19:20]
	v_add_co_u32 v19, s3, v4, v23
	v_add_co_ci_u32_e64 v20, s3, v5, v24, s3
	flat_load_b64 v[19:20], v[19:20] offset:2048
	s_waitcnt vmcnt(1) lgkmcnt(1)
	v_cndmask_b32_e64 v30, v39, v27, s4
	v_cndmask_b32_e64 v39, v29, v39, s4
	v_cmpx_lt_u32_e64 v48, v50
	s_cbranch_execz .LBB1869_70
; %bb.67:
	s_mov_b32 s11, exec_lo
	v_cmpx_lt_u32_e64 v49, v32
; %bb.68:
	v_add_f16_e32 v21, 0, v39
	v_add_f16_e32 v22, 0, v30
	s_delay_alu instid0(VALU_DEP_2) | instskip(NEXT) | instid1(VALU_DEP_1)
	v_cmp_lt_i16_e64 s3, -1, v21
	v_cndmask_b32_e64 v23, -1, 0xffff8000, s3
	s_delay_alu instid0(VALU_DEP_3) | instskip(NEXT) | instid1(VALU_DEP_2)
	v_cmp_lt_i16_e64 s3, -1, v22
	v_xor_b32_e32 v21, v23, v21
	s_delay_alu instid0(VALU_DEP_2) | instskip(NEXT) | instid1(VALU_DEP_1)
	v_cndmask_b32_e64 v24, -1, 0xffff8000, s3
	v_xor_b32_e32 v22, v24, v22
	s_delay_alu instid0(VALU_DEP_1) | instskip(NEXT) | instid1(VALU_DEP_1)
	v_cmp_le_u16_e64 s3, v21, v22
	s_and_b32 s15, s3, exec_lo
; %bb.69:
	s_or_b32 exec_lo, exec_lo, s11
	s_delay_alu instid0(SALU_CYCLE_1)
	s_or_not1_b32 s11, s15, exec_lo
.LBB1869_70:
	s_or_b32 exec_lo, exec_lo, s14
	v_cndmask_b32_e64 v23, v48, v49, s11
	v_cndmask_b32_e64 v21, v50, v32, s11
	v_mov_b32_e32 v24, 0
	s_mov_b32 s15, 0
	s_mov_b32 s14, exec_lo
	v_add_nc_u32_e32 v53, 1, v23
	v_add_nc_u32_e32 v51, -1, v21
	v_lshlrev_b64 v[21:22], 3, v[23:24]
	s_delay_alu instid0(VALU_DEP_2) | instskip(NEXT) | instid1(VALU_DEP_1)
	v_min_u32_e32 v23, v53, v51
	v_lshlrev_b64 v[51:52], 1, v[23:24]
	v_cndmask_b32_e64 v23, v53, v48, s11
	v_cndmask_b32_e64 v48, v49, v53, s11
	s_delay_alu instid0(VALU_DEP_3) | instskip(NEXT) | instid1(VALU_DEP_1)
	v_add_co_u32 v51, s3, v6, v51
	v_add_co_ci_u32_e64 v52, s3, v7, v52, s3
	v_add_co_u32 v21, s3, v4, v21
	s_delay_alu instid0(VALU_DEP_1)
	v_add_co_ci_u32_e64 v22, s3, v5, v22, s3
	s_clause 0x1
	flat_load_u16 v52, v[51:52]
	flat_load_b64 v[21:22], v[21:22] offset:2048
	s_waitcnt vmcnt(1) lgkmcnt(1)
	v_cndmask_b32_e64 v51, v52, v30, s11
	v_cndmask_b32_e64 v52, v39, v52, s11
	v_cmpx_lt_u32_e64 v23, v50
	s_cbranch_execz .LBB1869_74
; %bb.71:
	s_mov_b32 s10, exec_lo
	v_cmpx_lt_u32_e64 v48, v32
; %bb.72:
	v_add_f16_e32 v32, 0, v52
	v_add_f16_e32 v49, 0, v51
	s_delay_alu instid0(VALU_DEP_2) | instskip(NEXT) | instid1(VALU_DEP_1)
	v_cmp_lt_i16_e64 s3, -1, v32
	v_cndmask_b32_e64 v50, -1, 0xffff8000, s3
	s_delay_alu instid0(VALU_DEP_3) | instskip(NEXT) | instid1(VALU_DEP_2)
	v_cmp_lt_i16_e64 s3, -1, v49
	v_xor_b32_e32 v32, v50, v32
	s_delay_alu instid0(VALU_DEP_2) | instskip(NEXT) | instid1(VALU_DEP_1)
	v_cndmask_b32_e64 v53, -1, 0xffff8000, s3
	v_xor_b32_e32 v49, v53, v49
	s_delay_alu instid0(VALU_DEP_1) | instskip(NEXT) | instid1(VALU_DEP_1)
	v_cmp_le_u16_e64 s3, v32, v49
	s_and_b32 s15, s3, exec_lo
; %bb.73:
	s_or_b32 exec_lo, exec_lo, s10
	s_delay_alu instid0(SALU_CYCLE_1)
	s_or_not1_b32 s10, s15, exec_lo
.LBB1869_74:
	s_or_b32 exec_lo, exec_lo, s14
	v_cndmask_b32_e64 v23, v23, v48, s10
	v_cndmask_b32_e64 v49, v30, v39, s11
	v_cndmask_b32_e64 v39, v27, v29, s4
	v_cndmask_b32_e64 v48, v28, v12, s7
	v_cndmask_b32_e64 v12, v51, v52, s10
	v_lshlrev_b64 v[23:24], 3, v[23:24]
	s_delay_alu instid0(VALU_DEP_1) | instskip(NEXT) | instid1(VALU_DEP_1)
	v_add_co_u32 v23, s3, v4, v23
	v_add_co_ci_u32_e64 v24, s3, v5, v24, s3
	flat_load_b64 v[23:24], v[23:24] offset:2048
.LBB1869_75:
	s_or_b32 exec_lo, exec_lo, s5
	v_and_b32_e32 v29, 0x60, v37
	v_min_u32_e32 v30, v31, v35
	v_perm_b32 v51, v12, v49, 0x5040100
	v_perm_b32 v50, v39, v48, 0x5040100
	s_mov_b32 s4, exec_lo
	v_or_b32_e32 v27, 16, v29
	; wave barrier
	s_clause 0x1
	flat_store_b128 v[15:16], v[17:20] offset:2048
	flat_store_b64 v[10:11], v[50:51]
	s_waitcnt vmcnt(0) lgkmcnt(2)
	flat_store_b128 v[25:26], v[21:24] offset:16
	v_min_u32_e32 v27, v31, v27
	; wave barrier
	s_delay_alu instid0(VALU_DEP_1) | instskip(NEXT) | instid1(VALU_DEP_1)
	v_add_nc_u32_e32 v28, 16, v27
	v_min_u32_e32 v28, v31, v28
	v_sub_nc_u32_e32 v31, v27, v29
	s_delay_alu instid0(VALU_DEP_2) | instskip(NEXT) | instid1(VALU_DEP_2)
	v_sub_nc_u32_e32 v37, v28, v27
	v_min_u32_e32 v32, v30, v31
	s_delay_alu instid0(VALU_DEP_2) | instskip(NEXT) | instid1(VALU_DEP_1)
	v_sub_nc_u32_e64 v31, v30, v37 clamp
	v_cmpx_lt_u32_e64 v31, v32
	s_cbranch_execz .LBB1869_79
; %bb.76:
	v_lshlrev_b32_e32 v10, 1, v29
	v_lshlrev_b32_e32 v11, 1, v27
	s_mov_b32 s5, 0
	s_delay_alu instid0(VALU_DEP_2) | instskip(NEXT) | instid1(VALU_DEP_1)
	v_add_co_u32 v15, s3, v6, v10
	v_add_co_ci_u32_e64 v16, s3, 0, v7, s3
	s_delay_alu instid0(VALU_DEP_3)
	v_add_co_u32 v25, s3, v6, v11
	v_mov_b32_e32 v11, 0
	v_add_co_ci_u32_e64 v26, s3, 0, v7, s3
	s_set_inst_prefetch_distance 0x1
	.p2align	6
.LBB1869_77:                            ; =>This Inner Loop Header: Depth=1
	v_add_nc_u32_e32 v10, v32, v31
	s_delay_alu instid0(VALU_DEP_1) | instskip(SKIP_1) | instid1(VALU_DEP_2)
	v_lshrrev_b32_e32 v37, 1, v10
	v_and_b32_e32 v50, -2, v10
	v_xad_u32 v10, v37, -1, v30
	s_delay_alu instid0(VALU_DEP_2) | instskip(NEXT) | instid1(VALU_DEP_1)
	v_add_co_u32 v50, s3, v15, v50
	v_add_co_ci_u32_e64 v51, s3, 0, v16, s3
	s_delay_alu instid0(VALU_DEP_3) | instskip(NEXT) | instid1(VALU_DEP_1)
	v_lshlrev_b64 v[52:53], 1, v[10:11]
	v_add_co_u32 v52, s3, v25, v52
	s_delay_alu instid0(VALU_DEP_1)
	v_add_co_ci_u32_e64 v53, s3, v26, v53, s3
	s_clause 0x1
	flat_load_u16 v10, v[50:51]
	flat_load_u16 v50, v[52:53]
	s_waitcnt vmcnt(1) lgkmcnt(1)
	v_add_f16_e32 v10, 0, v10
	s_waitcnt vmcnt(0) lgkmcnt(0)
	v_add_f16_e32 v50, 0, v50
	s_delay_alu instid0(VALU_DEP_2) | instskip(NEXT) | instid1(VALU_DEP_1)
	v_cmp_lt_i16_e64 s3, -1, v10
	v_cndmask_b32_e64 v51, -1, 0xffff8000, s3
	s_delay_alu instid0(VALU_DEP_3) | instskip(NEXT) | instid1(VALU_DEP_2)
	v_cmp_lt_i16_e64 s3, -1, v50
	v_xor_b32_e32 v10, v51, v10
	s_delay_alu instid0(VALU_DEP_2) | instskip(SKIP_1) | instid1(VALU_DEP_2)
	v_cndmask_b32_e64 v52, -1, 0xffff8000, s3
	v_add_nc_u32_e32 v51, 1, v37
	v_xor_b32_e32 v50, v52, v50
	s_delay_alu instid0(VALU_DEP_1) | instskip(NEXT) | instid1(VALU_DEP_1)
	v_cmp_gt_u16_e64 s3, v10, v50
	v_cndmask_b32_e64 v32, v32, v37, s3
	s_delay_alu instid0(VALU_DEP_4) | instskip(NEXT) | instid1(VALU_DEP_1)
	v_cndmask_b32_e64 v31, v51, v31, s3
	v_cmp_ge_u32_e64 s3, v31, v32
	s_delay_alu instid0(VALU_DEP_1) | instskip(NEXT) | instid1(SALU_CYCLE_1)
	s_or_b32 s5, s3, s5
	s_and_not1_b32 exec_lo, exec_lo, s5
	s_cbranch_execnz .LBB1869_77
; %bb.78:
	s_set_inst_prefetch_distance 0x2
	s_or_b32 exec_lo, exec_lo, s5
.LBB1869_79:
	s_delay_alu instid0(SALU_CYCLE_1) | instskip(SKIP_2) | instid1(VALU_DEP_2)
	s_or_b32 exec_lo, exec_lo, s4
	v_add_nc_u32_e32 v11, v27, v30
	v_add_nc_u32_e32 v10, v31, v29
	v_sub_nc_u32_e32 v15, v11, v31
	s_delay_alu instid0(VALU_DEP_2) | instskip(NEXT) | instid1(VALU_DEP_2)
	v_cmp_le_u32_e64 s3, v10, v27
	v_cmp_le_u32_e64 s4, v15, v28
	s_delay_alu instid0(VALU_DEP_1) | instskip(NEXT) | instid1(SALU_CYCLE_1)
	s_or_b32 s3, s3, s4
	s_and_saveexec_b32 s5, s3
	s_cbranch_execz .LBB1869_99
; %bb.80:
	v_cmp_ge_u32_e64 s3, v10, v27
	s_mov_b32 s7, exec_lo
                                        ; implicit-def: $vgpr25
	v_cmpx_lt_u32_e64 v10, v27
	s_cbranch_execz .LBB1869_82
; %bb.81:
	v_mov_b32_e32 v11, 0
	s_delay_alu instid0(VALU_DEP_1) | instskip(NEXT) | instid1(VALU_DEP_1)
	v_lshlrev_b64 v[11:12], 1, v[10:11]
	v_add_co_u32 v11, s4, v6, v11
	s_delay_alu instid0(VALU_DEP_1)
	v_add_co_ci_u32_e64 v12, s4, v7, v12, s4
	flat_load_u16 v25, v[11:12]
.LBB1869_82:
	s_or_b32 exec_lo, exec_lo, s7
	v_cmp_ge_u32_e64 s7, v15, v28
	s_mov_b32 s10, exec_lo
                                        ; implicit-def: $vgpr16
	v_cmpx_lt_u32_e64 v15, v28
	s_cbranch_execz .LBB1869_84
; %bb.83:
	v_mov_b32_e32 v16, 0
	s_delay_alu instid0(VALU_DEP_1) | instskip(NEXT) | instid1(VALU_DEP_1)
	v_lshlrev_b64 v[11:12], 1, v[15:16]
	v_add_co_u32 v11, s4, v6, v11
	s_delay_alu instid0(VALU_DEP_1)
	v_add_co_ci_u32_e64 v12, s4, v7, v12, s4
	flat_load_u16 v16, v[11:12]
.LBB1869_84:
	s_or_b32 exec_lo, exec_lo, s10
	s_or_b32 s3, s3, s7
	s_mov_b32 s4, -1
	s_xor_b32 s3, s3, -1
	s_delay_alu instid0(SALU_CYCLE_1)
	s_and_saveexec_b32 s10, s3
	s_cbranch_execz .LBB1869_86
; %bb.85:
	s_waitcnt vmcnt(0) lgkmcnt(0)
	v_add_f16_e32 v11, 0, v25
	v_add_f16_e32 v12, 0, v16
	s_and_not1_b32 s7, s7, exec_lo
	s_delay_alu instid0(VALU_DEP_2) | instskip(NEXT) | instid1(VALU_DEP_1)
	v_cmp_lt_i16_e64 s3, -1, v11
	v_cndmask_b32_e64 v17, -1, 0xffff8000, s3
	s_delay_alu instid0(VALU_DEP_3) | instskip(NEXT) | instid1(VALU_DEP_2)
	v_cmp_lt_i16_e64 s3, -1, v12
	v_xor_b32_e32 v11, v17, v11
	s_delay_alu instid0(VALU_DEP_2) | instskip(NEXT) | instid1(VALU_DEP_1)
	v_cndmask_b32_e64 v18, -1, 0xffff8000, s3
	v_xor_b32_e32 v12, v18, v12
	s_delay_alu instid0(VALU_DEP_1) | instskip(NEXT) | instid1(VALU_DEP_1)
	v_cmp_le_u16_e64 s3, v11, v12
	s_and_b32 s3, s3, exec_lo
	s_delay_alu instid0(SALU_CYCLE_1)
	s_or_b32 s7, s7, s3
.LBB1869_86:
	s_or_b32 exec_lo, exec_lo, s10
	v_cndmask_b32_e64 v11, v15, v10, s7
	v_cndmask_b32_e64 v17, v28, v27, s7
	v_mov_b32_e32 v12, 0
	s_mov_b32 s11, 0
	s_mov_b32 s10, exec_lo
	v_add_nc_u32_e32 v22, 1, v11
	v_add_nc_u32_e32 v19, -1, v17
	v_lshlrev_b64 v[17:18], 3, v[11:12]
	s_delay_alu instid0(VALU_DEP_3) | instskip(NEXT) | instid1(VALU_DEP_3)
	v_cndmask_b32_e64 v21, v22, v15, s7
	v_min_u32_e32 v11, v22, v19
	v_cndmask_b32_e64 v10, v10, v22, s7
	s_delay_alu instid0(VALU_DEP_2) | instskip(NEXT) | instid1(VALU_DEP_1)
	v_lshlrev_b64 v[19:20], 1, v[11:12]
	v_add_co_u32 v19, s3, v6, v19
	s_delay_alu instid0(VALU_DEP_1) | instskip(SKIP_1) | instid1(VALU_DEP_1)
	v_add_co_ci_u32_e64 v20, s3, v7, v20, s3
	v_add_co_u32 v17, s3, v4, v17
	v_add_co_ci_u32_e64 v18, s3, v5, v18, s3
	s_clause 0x1
	flat_load_u16 v11, v[19:20]
	flat_load_b64 v[17:18], v[17:18] offset:2048
	s_waitcnt vmcnt(1) lgkmcnt(1)
	v_cndmask_b32_e64 v15, v11, v16, s7
	v_cndmask_b32_e64 v26, v25, v11, s7
	v_cmpx_lt_u32_e64 v21, v28
	s_cbranch_execz .LBB1869_90
; %bb.87:
	s_mov_b32 s4, exec_lo
	v_cmpx_lt_u32_e64 v10, v27
; %bb.88:
	v_add_f16_e32 v11, 0, v26
	v_add_f16_e32 v19, 0, v15
	s_delay_alu instid0(VALU_DEP_2) | instskip(NEXT) | instid1(VALU_DEP_1)
	v_cmp_lt_i16_e64 s3, -1, v11
	v_cndmask_b32_e64 v20, -1, 0xffff8000, s3
	s_delay_alu instid0(VALU_DEP_3) | instskip(NEXT) | instid1(VALU_DEP_2)
	v_cmp_lt_i16_e64 s3, -1, v19
	v_xor_b32_e32 v11, v20, v11
	s_delay_alu instid0(VALU_DEP_2) | instskip(NEXT) | instid1(VALU_DEP_1)
	v_cndmask_b32_e64 v22, -1, 0xffff8000, s3
	v_xor_b32_e32 v19, v22, v19
	s_delay_alu instid0(VALU_DEP_1) | instskip(NEXT) | instid1(VALU_DEP_1)
	v_cmp_le_u16_e64 s3, v11, v19
	s_and_b32 s11, s3, exec_lo
; %bb.89:
	s_or_b32 exec_lo, exec_lo, s4
	s_delay_alu instid0(SALU_CYCLE_1)
	s_or_not1_b32 s4, s11, exec_lo
.LBB1869_90:
	s_or_b32 exec_lo, exec_lo, s10
	v_cndmask_b32_e64 v11, v21, v10, s4
	v_cndmask_b32_e64 v19, v28, v27, s4
	s_mov_b32 s15, 0
	s_mov_b32 s10, -1
	s_mov_b32 s11, -1
	v_add_nc_u32_e32 v22, 1, v11
	v_add_nc_u32_e32 v23, -1, v19
	v_lshlrev_b64 v[19:20], 3, v[11:12]
	s_mov_b32 s14, exec_lo
	s_delay_alu instid0(VALU_DEP_3) | instskip(NEXT) | instid1(VALU_DEP_3)
	v_cndmask_b32_e64 v24, v10, v22, s4
	v_min_u32_e32 v11, v22, v23
	v_cndmask_b32_e64 v23, v22, v21, s4
	s_delay_alu instid0(VALU_DEP_2) | instskip(NEXT) | instid1(VALU_DEP_1)
	v_lshlrev_b64 v[11:12], 1, v[11:12]
	v_add_co_u32 v11, s3, v6, v11
	s_delay_alu instid0(VALU_DEP_1) | instskip(SKIP_2) | instid1(VALU_DEP_1)
	v_add_co_ci_u32_e64 v12, s3, v7, v12, s3
	flat_load_u16 v29, v[11:12]
	v_add_co_u32 v11, s3, v4, v19
	v_add_co_ci_u32_e64 v12, s3, v5, v20, s3
	flat_load_b64 v[19:20], v[11:12] offset:2048
	s_waitcnt vmcnt(1) lgkmcnt(1)
	v_cndmask_b32_e64 v12, v29, v15, s4
	v_cndmask_b32_e64 v29, v26, v29, s4
	v_cmpx_lt_u32_e64 v23, v28
	s_cbranch_execz .LBB1869_94
; %bb.91:
	s_mov_b32 s11, exec_lo
	v_cmpx_lt_u32_e64 v24, v27
; %bb.92:
	v_add_f16_e32 v10, 0, v29
	v_add_f16_e32 v11, 0, v12
	s_delay_alu instid0(VALU_DEP_2) | instskip(NEXT) | instid1(VALU_DEP_1)
	v_cmp_lt_i16_e64 s3, -1, v10
	v_cndmask_b32_e64 v21, -1, 0xffff8000, s3
	s_delay_alu instid0(VALU_DEP_3) | instskip(NEXT) | instid1(VALU_DEP_2)
	v_cmp_lt_i16_e64 s3, -1, v11
	v_xor_b32_e32 v10, v21, v10
	s_delay_alu instid0(VALU_DEP_2) | instskip(NEXT) | instid1(VALU_DEP_1)
	v_cndmask_b32_e64 v22, -1, 0xffff8000, s3
	v_xor_b32_e32 v11, v22, v11
	s_delay_alu instid0(VALU_DEP_1) | instskip(NEXT) | instid1(VALU_DEP_1)
	v_cmp_le_u16_e64 s3, v10, v11
	s_and_b32 s15, s3, exec_lo
; %bb.93:
	s_or_b32 exec_lo, exec_lo, s11
	s_delay_alu instid0(SALU_CYCLE_1)
	s_or_not1_b32 s11, s15, exec_lo
.LBB1869_94:
	s_or_b32 exec_lo, exec_lo, s14
	v_cndmask_b32_e64 v10, v23, v24, s11
	v_cndmask_b32_e64 v21, v28, v27, s11
	v_mov_b32_e32 v11, 0
	s_mov_b32 s15, 0
	s_mov_b32 s14, exec_lo
	v_add_nc_u32_e32 v32, 1, v10
	v_add_nc_u32_e32 v30, -1, v21
	v_lshlrev_b64 v[21:22], 3, v[10:11]
	s_delay_alu instid0(VALU_DEP_2) | instskip(NEXT) | instid1(VALU_DEP_1)
	v_min_u32_e32 v10, v32, v30
	v_lshlrev_b64 v[30:31], 1, v[10:11]
	v_cndmask_b32_e64 v10, v32, v23, s11
	v_cndmask_b32_e64 v23, v24, v32, s11
	s_delay_alu instid0(VALU_DEP_3) | instskip(NEXT) | instid1(VALU_DEP_1)
	v_add_co_u32 v6, s3, v6, v30
	v_add_co_ci_u32_e64 v7, s3, v7, v31, s3
	flat_load_u16 v30, v[6:7]
	v_add_co_u32 v6, s3, v4, v21
	s_delay_alu instid0(VALU_DEP_1)
	v_add_co_ci_u32_e64 v7, s3, v5, v22, s3
	flat_load_b64 v[21:22], v[6:7] offset:2048
	s_waitcnt vmcnt(1) lgkmcnt(1)
	v_cndmask_b32_e64 v6, v30, v12, s11
	v_cndmask_b32_e64 v7, v29, v30, s11
	v_cmpx_lt_u32_e64 v10, v28
	s_cbranch_execz .LBB1869_98
; %bb.95:
	s_mov_b32 s10, exec_lo
	v_cmpx_lt_u32_e64 v23, v27
; %bb.96:
	v_add_f16_e32 v24, 0, v7
	v_add_f16_e32 v27, 0, v6
	s_delay_alu instid0(VALU_DEP_2) | instskip(NEXT) | instid1(VALU_DEP_1)
	v_cmp_lt_i16_e64 s3, -1, v24
	v_cndmask_b32_e64 v28, -1, 0xffff8000, s3
	s_delay_alu instid0(VALU_DEP_3) | instskip(NEXT) | instid1(VALU_DEP_2)
	v_cmp_lt_i16_e64 s3, -1, v27
	v_xor_b32_e32 v24, v28, v24
	s_delay_alu instid0(VALU_DEP_2) | instskip(NEXT) | instid1(VALU_DEP_1)
	v_cndmask_b32_e64 v30, -1, 0xffff8000, s3
	v_xor_b32_e32 v27, v30, v27
	s_delay_alu instid0(VALU_DEP_1) | instskip(NEXT) | instid1(VALU_DEP_1)
	v_cmp_le_u16_e64 s3, v24, v27
	s_and_b32 s15, s3, exec_lo
; %bb.97:
	s_or_b32 exec_lo, exec_lo, s10
	s_delay_alu instid0(SALU_CYCLE_1)
	s_or_not1_b32 s10, s15, exec_lo
.LBB1869_98:
	s_or_b32 exec_lo, exec_lo, s14
	v_cndmask_b32_e64 v10, v10, v23, s10
	v_cndmask_b32_e64 v49, v12, v29, s11
	v_cndmask_b32_e64 v39, v15, v26, s4
	v_cndmask_b32_e64 v48, v16, v25, s7
	v_cndmask_b32_e64 v12, v6, v7, s10
	v_lshlrev_b64 v[10:11], 3, v[10:11]
	s_delay_alu instid0(VALU_DEP_1) | instskip(NEXT) | instid1(VALU_DEP_1)
	v_add_co_u32 v4, s3, v4, v10
	v_add_co_ci_u32_e64 v5, s3, v5, v11, s3
	flat_load_b64 v[23:24], v[4:5] offset:2048
.LBB1869_99:
	s_or_b32 exec_lo, exec_lo, s5
	v_add_co_u32 v2, s3, v2, v33
	s_delay_alu instid0(VALU_DEP_1) | instskip(NEXT) | instid1(VALU_DEP_2)
	v_add_co_ci_u32_e64 v3, s3, v3, v34, s3
	v_add_co_u32 v2, s3, v2, v36
	s_delay_alu instid0(VALU_DEP_1)
	v_add_co_ci_u32_e64 v3, s3, 0, v3, s3
	; wave barrier
	s_waitcnt vmcnt(0) lgkmcnt(0)
	s_waitcnt_vscnt null, 0x0
	s_barrier
	buffer_gl0_inv
	; wave barrier
	s_and_saveexec_b32 s3, vcc_lo
	s_cbranch_execnz .LBB1869_218
; %bb.100:
	s_or_b32 exec_lo, exec_lo, s3
	s_and_saveexec_b32 s3, s0
	s_cbranch_execnz .LBB1869_219
.LBB1869_101:
	s_or_b32 exec_lo, exec_lo, s3
	s_and_saveexec_b32 s3, s1
	s_cbranch_execnz .LBB1869_220
.LBB1869_102:
	s_or_b32 exec_lo, exec_lo, s3
	s_and_saveexec_b32 s3, s2
	s_cbranch_execz .LBB1869_104
.LBB1869_103:
	flat_store_b16 v[2:3], v12 offset:6
.LBB1869_104:
	s_or_b32 exec_lo, exec_lo, s3
	v_add_co_u32 v0, s3, v8, v0
	s_delay_alu instid0(VALU_DEP_1) | instskip(NEXT) | instid1(VALU_DEP_2)
	v_add_co_ci_u32_e64 v1, s3, v9, v1, s3
	v_add_co_u32 v0, s3, v0, v38
	s_delay_alu instid0(VALU_DEP_1)
	v_add_co_ci_u32_e64 v1, s3, 0, v1, s3
	; wave barrier
	s_and_saveexec_b32 s3, vcc_lo
	s_cbranch_execnz .LBB1869_221
; %bb.105:
	s_or_b32 exec_lo, exec_lo, s3
	s_and_saveexec_b32 s3, s0
	s_cbranch_execnz .LBB1869_222
.LBB1869_106:
	s_or_b32 exec_lo, exec_lo, s3
	s_and_saveexec_b32 s0, s1
	s_cbranch_execz .LBB1869_108
.LBB1869_107:
	flat_store_b64 v[0:1], v[21:22] offset:16
.LBB1869_108:
	s_or_b32 exec_lo, exec_lo, s0
	s_delay_alu instid0(SALU_CYCLE_1)
	s_and_b32 s5, s2, exec_lo
                                        ; implicit-def: $vgpr25
                                        ; implicit-def: $vgpr37
                                        ; implicit-def: $vgpr0_vgpr1
                                        ; implicit-def: $vgpr4
                                        ; implicit-def: $vgpr5
                                        ; implicit-def: $vgpr6
                                        ; implicit-def: $vgpr7
                                        ; implicit-def: $vgpr10
                                        ; implicit-def: $vgpr15
                                        ; implicit-def: $vgpr16
                                        ; implicit-def: $vgpr33_vgpr34
                                        ; implicit-def: $vgpr36
                                        ; implicit-def: $vgpr31
	s_and_not1_saveexec_b32 s6, s6
	s_cbranch_execz .LBB1869_2
.LBB1869_109:
	v_dual_mov_b32 v39, 0x7fff :: v_dual_mov_b32 v48, 0x7fff
	s_and_saveexec_b32 s0, vcc_lo
	s_cbranch_execz .LBB1869_111
; %bb.110:
	flat_load_u16 v48, v[0:1]
.LBB1869_111:
	s_or_b32 exec_lo, exec_lo, s0
	v_or_b32_e32 v2, 1, v35
	s_delay_alu instid0(VALU_DEP_1) | instskip(NEXT) | instid1(VALU_DEP_1)
	v_cmp_lt_u32_e64 s1, v2, v25
	s_and_saveexec_b32 s0, s1
	s_cbranch_execz .LBB1869_113
; %bb.112:
	flat_load_u16 v39, v[0:1] offset:2
.LBB1869_113:
	s_or_b32 exec_lo, exec_lo, s0
	v_or_b32_e32 v2, 2, v35
	v_dual_mov_b32 v38, 0x7fff :: v_dual_mov_b32 v49, 0x7fff
	s_delay_alu instid0(VALU_DEP_2) | instskip(NEXT) | instid1(VALU_DEP_1)
	v_cmp_lt_u32_e64 s2, v2, v25
	s_and_saveexec_b32 s0, s2
	s_cbranch_execz .LBB1869_115
; %bb.114:
	flat_load_u16 v49, v[0:1] offset:4
.LBB1869_115:
	s_or_b32 exec_lo, exec_lo, s0
	v_or_b32_e32 v2, 3, v35
	s_delay_alu instid0(VALU_DEP_1) | instskip(NEXT) | instid1(VALU_DEP_1)
	v_cmp_lt_u32_e64 s0, v2, v25
	s_and_saveexec_b32 s3, s0
	s_cbranch_execz .LBB1869_117
; %bb.116:
	flat_load_u16 v38, v[0:1] offset:6
.LBB1869_117:
	s_or_b32 exec_lo, exec_lo, s3
	v_lshlrev_b64 v[0:1], 3, v[13:14]
	v_lshlrev_b32_e32 v12, 3, v35
	; wave barrier
                                        ; implicit-def: $vgpr17_vgpr18_vgpr19_vgpr20_vgpr21_vgpr22_vgpr23_vgpr24
	s_delay_alu instid0(VALU_DEP_2) | instskip(NEXT) | instid1(VALU_DEP_1)
	v_add_co_u32 v2, s3, v6, v0
	v_add_co_ci_u32_e64 v3, s3, v7, v1, s3
	s_delay_alu instid0(VALU_DEP_2) | instskip(NEXT) | instid1(VALU_DEP_1)
	v_add_co_u32 v2, s3, v2, v12
	v_add_co_ci_u32_e64 v3, s3, 0, v3, s3
	s_and_saveexec_b32 s3, vcc_lo
	s_cbranch_execnz .LBB1869_223
; %bb.118:
	s_or_b32 exec_lo, exec_lo, s3
	s_and_saveexec_b32 s3, s1
	s_cbranch_execnz .LBB1869_224
.LBB1869_119:
	s_or_b32 exec_lo, exec_lo, s3
	s_and_saveexec_b32 s3, s2
	s_cbranch_execnz .LBB1869_225
.LBB1869_120:
	s_or_b32 exec_lo, exec_lo, s3
	s_and_saveexec_b32 s3, s0
	s_cbranch_execz .LBB1869_122
.LBB1869_121:
	flat_load_b64 v[23:24], v[2:3] offset:24
.LBB1869_122:
	s_or_b32 exec_lo, exec_lo, s3
	; wave barrier
	s_load_b64 s[10:11], s[8:9], 0x0
	v_mov_b32_e32 v2, 0
	v_bfe_u32 v6, v31, 10, 10
	v_bfe_u32 v7, v31, 20, 10
	s_mov_b32 s7, exec_lo
	s_waitcnt lgkmcnt(0)
	s_cmp_lt_u32 s13, s11
	s_cselect_b32 s3, 14, 20
	s_delay_alu instid0(SALU_CYCLE_1) | instskip(SKIP_4) | instid1(SALU_CYCLE_1)
	s_add_u32 s14, s8, s3
	s_addc_u32 s15, s9, 0
	s_cmp_lt_u32 s12, s10
	global_load_u16 v3, v2, s[14:15]
	s_cselect_b32 s3, 12, 18
	s_add_u32 s8, s8, s3
	s_addc_u32 s9, s9, 0
	global_load_u16 v2, v2, s[8:9]
	s_waitcnt vmcnt(1)
	v_mad_u32_u24 v3, v7, v3, v6
	s_waitcnt vmcnt(0)
	s_delay_alu instid0(VALU_DEP_1) | instskip(SKIP_1) | instid1(VALU_DEP_1)
	v_mul_lo_u32 v2, v3, v2
	v_and_b32_e32 v3, 0x3ff, v31
	v_add_lshl_u32 v2, v2, v3, 2
	s_delay_alu instid0(VALU_DEP_1)
	v_cmpx_gt_u32_e32 0x400, v2
	s_cbranch_execz .LBB1869_132
; %bb.123:
	v_add_f16_e32 v3, 0, v48
	v_add_f16_e32 v6, 0, v39
	v_add_f16_e32 v7, 0, v49
	v_add_f16_e32 v8, 0, v38
	s_mov_b32 s8, exec_lo
	v_cmp_lt_i16_e64 s3, -1, v3
	v_dual_mov_b32 v30, v22 :: v_dual_mov_b32 v29, v21
	v_dual_mov_b32 v32, v24 :: v_dual_mov_b32 v31, v23
	s_delay_alu instid0(VALU_DEP_3) | instskip(SKIP_1) | instid1(VALU_DEP_2)
	v_cndmask_b32_e64 v9, -1, 0xffff8000, s3
	v_cmp_lt_i16_e64 s3, -1, v6
	v_xor_b32_e32 v3, v9, v3
	s_delay_alu instid0(VALU_DEP_2) | instskip(SKIP_1) | instid1(VALU_DEP_2)
	v_cndmask_b32_e64 v25, -1, 0xffff8000, s3
	v_cmp_lt_i16_e64 s3, -1, v7
	v_xor_b32_e32 v6, v25, v6
	s_delay_alu instid0(VALU_DEP_2) | instskip(SKIP_1) | instid1(VALU_DEP_1)
	v_cndmask_b32_e64 v9, -1, 0xffff8000, s3
	v_cmp_lt_i16_e64 s3, -1, v8
	v_cndmask_b32_e64 v25, -1, 0xffff8000, s3
	s_delay_alu instid0(VALU_DEP_4) | instskip(SKIP_2) | instid1(VALU_DEP_4)
	v_cmp_gt_u16_e64 s3, v3, v6
	v_mov_b32_e32 v3, v49
	v_xor_b32_e32 v6, v9, v7
	v_xor_b32_e32 v9, v25, v8
	s_delay_alu instid0(VALU_DEP_4)
	v_cndmask_b32_e64 v28, v20, v18, s3
	v_cndmask_b32_e64 v27, v19, v17, s3
	;; [unrolled: 1-line block ×4, first 2 shown]
	v_cmpx_gt_u16_e64 v6, v9
; %bb.124:
	v_dual_mov_b32 v7, v8 :: v_dual_mov_b32 v6, v9
	v_dual_mov_b32 v3, v38 :: v_dual_mov_b32 v38, v49
	;; [unrolled: 1-line block ×4, first 2 shown]
; %bb.125:
	s_or_b32 exec_lo, exec_lo, s8
	v_cndmask_b32_e64 v9, v39, v48, s3
	s_delay_alu instid0(VALU_DEP_1) | instskip(NEXT) | instid1(VALU_DEP_1)
	v_add_f16_e32 v8, 0, v9
	v_cmp_lt_i16_e64 s4, -1, v8
	s_delay_alu instid0(VALU_DEP_1) | instskip(NEXT) | instid1(VALU_DEP_1)
	v_cndmask_b32_e64 v17, -1, 0xffff8000, s4
	v_xor_b32_e32 v18, v17, v8
	v_mov_b32_e32 v17, v7
	s_delay_alu instid0(VALU_DEP_2) | instskip(SKIP_1) | instid1(VALU_DEP_2)
	v_cmp_gt_u16_e64 s4, v18, v6
	v_mov_b32_e32 v6, v9
	s_and_saveexec_b32 s8, s4
	s_delay_alu instid0(SALU_CYCLE_1)
	s_xor_b32 s4, exec_lo, s8
	s_cbranch_execz .LBB1869_127
; %bb.126:
	v_dual_mov_b32 v17, v25 :: v_dual_mov_b32 v18, v26
	v_dual_mov_b32 v23, v31 :: v_dual_mov_b32 v24, v32
	;; [unrolled: 1-line block ×7, first 2 shown]
	s_delay_alu instid0(VALU_DEP_3) | instskip(NEXT) | instid1(VALU_DEP_3)
	v_dual_mov_b32 v32, v24 :: v_dual_mov_b32 v31, v23
	v_dual_mov_b32 v28, v20 :: v_dual_mov_b32 v27, v19
	s_delay_alu instid0(VALU_DEP_3)
	v_dual_mov_b32 v30, v22 :: v_dual_mov_b32 v29, v21
	v_dual_mov_b32 v26, v18 :: v_dual_mov_b32 v25, v17
	;; [unrolled: 1-line block ×4, first 2 shown]
.LBB1869_127:
	s_or_b32 exec_lo, exec_lo, s4
	v_cndmask_b32_e64 v7, v48, v39, s3
	s_delay_alu instid0(VALU_DEP_2)
	v_cmp_lt_i16_e64 s3, -1, v8
	v_add_f16_e32 v19, 0, v38
	v_mov_b32_e32 v21, v29
	s_mov_b32 s8, exec_lo
	v_add_f16_e32 v9, 0, v7
	v_cndmask_b32_e64 v18, -1, 0xffff8000, s3
	v_mov_b32_e32 v24, v32
	s_delay_alu instid0(VALU_DEP_3) | instskip(NEXT) | instid1(VALU_DEP_3)
	v_cmp_lt_i16_e64 s3, -1, v9
	v_xor_b32_e32 v8, v18, v8
	s_delay_alu instid0(VALU_DEP_2) | instskip(SKIP_1) | instid1(VALU_DEP_2)
	v_cndmask_b32_e64 v20, -1, 0xffff8000, s3
	v_cmp_lt_i16_e64 s3, -1, v17
	v_xor_b32_e32 v18, v20, v9
	s_delay_alu instid0(VALU_DEP_2) | instskip(SKIP_1) | instid1(VALU_DEP_2)
	v_cndmask_b32_e64 v22, -1, 0xffff8000, s3
	v_cmp_lt_i16_e64 s3, -1, v19
	v_xor_b32_e32 v9, v22, v17
	v_mov_b32_e32 v22, v30
	s_delay_alu instid0(VALU_DEP_3) | instskip(SKIP_2) | instid1(VALU_DEP_3)
	v_cndmask_b32_e64 v23, -1, 0xffff8000, s3
	v_cmp_gt_u16_e64 s3, v18, v8
	v_mov_b32_e32 v8, v3
	v_xor_b32_e32 v29, v23, v19
	v_mov_b32_e32 v23, v31
	s_delay_alu instid0(VALU_DEP_4)
	v_cndmask_b32_e64 v20, v28, v26, s3
	v_cndmask_b32_e64 v19, v27, v25, s3
	;; [unrolled: 1-line block ×4, first 2 shown]
	v_cmpx_gt_u16_e64 v9, v29
; %bb.128:
	s_delay_alu instid0(VALU_DEP_2)
	v_dual_mov_b32 v48, v17 :: v_dual_mov_b32 v49, v18
	v_dual_mov_b32 v50, v19 :: v_dual_mov_b32 v51, v20
	;; [unrolled: 1-line block ×9, first 2 shown]
	v_mov_b32_e32 v24, v55
; %bb.129:
	s_or_b32 exec_lo, exec_lo, s8
	v_cndmask_b32_e64 v39, v6, v7, s3
	v_mov_b32_e32 v49, v8
	s_mov_b32 s8, exec_lo
	s_delay_alu instid0(VALU_DEP_2) | instskip(NEXT) | instid1(VALU_DEP_1)
	v_add_f16_e32 v3, 0, v39
	v_cmp_lt_i16_e64 s4, -1, v3
	s_delay_alu instid0(VALU_DEP_1) | instskip(NEXT) | instid1(VALU_DEP_1)
	v_cndmask_b32_e64 v25, -1, 0xffff8000, s4
	v_xor_b32_e32 v3, v25, v3
	s_delay_alu instid0(VALU_DEP_1)
	v_cmpx_gt_u16_e64 v3, v9
; %bb.130:
	v_dual_mov_b32 v25, v17 :: v_dual_mov_b32 v26, v18
	v_dual_mov_b32 v27, v21 :: v_dual_mov_b32 v28, v22
	;; [unrolled: 1-line block ×4, first 2 shown]
	s_delay_alu instid0(VALU_DEP_4) | instskip(NEXT) | instid1(VALU_DEP_4)
	v_dual_mov_b32 v17, v25 :: v_dual_mov_b32 v18, v26
	v_dual_mov_b32 v19, v27 :: v_dual_mov_b32 v20, v28
	s_delay_alu instid0(VALU_DEP_4) | instskip(NEXT) | instid1(VALU_DEP_4)
	v_dual_mov_b32 v21, v29 :: v_dual_mov_b32 v22, v30
	v_dual_mov_b32 v23, v31 :: v_dual_mov_b32 v24, v32
	v_mov_b32_e32 v49, v39
	v_mov_b32_e32 v39, v8
; %bb.131:
	s_or_b32 exec_lo, exec_lo, s8
	v_cndmask_b32_e64 v48, v7, v6, s3
.LBB1869_132:
	s_or_b32 exec_lo, exec_lo, s7
	v_dual_mov_b32 v28, 0 :: v_dual_and_b32 v27, 0xffffff80, v2
	v_or_b32_e32 v6, 4, v37
	v_lshlrev_b32_e32 v8, 1, v37
	v_and_b32_e32 v9, 4, v37
	s_delay_alu instid0(VALU_DEP_4)
	v_sub_nc_u32_e64 v31, 0x400, v27 clamp
	v_lshlrev_b64 v[2:3], 1, v[27:28]
	v_lshlrev_b32_e32 v25, 3, v37
	v_and_b32_e32 v29, 0x78, v37
	v_perm_b32 v54, v38, v49, 0x5040100
	v_min_u32_e32 v32, v31, v6
	v_min_u32_e32 v30, v31, v9
	v_add_co_u32 v6, s3, v15, v2
	s_delay_alu instid0(VALU_DEP_1) | instskip(NEXT) | instid1(VALU_DEP_4)
	v_add_co_ci_u32_e64 v7, s3, v16, v3, s3
	v_add_nc_u32_e32 v15, 4, v32
	s_delay_alu instid0(VALU_DEP_3) | instskip(NEXT) | instid1(VALU_DEP_3)
	v_add_co_u32 v8, s3, v6, v8
	v_mad_u64_u32 v[2:3], null, v27, 6, v[6:7]
	s_delay_alu instid0(VALU_DEP_3) | instskip(SKIP_3) | instid1(VALU_DEP_4)
	v_min_u32_e32 v50, v31, v15
	v_add_co_ci_u32_e64 v9, s3, 0, v7, s3
	v_sub_nc_u32_e32 v26, v32, v29
	v_perm_b32 v53, v39, v48, 0x5040100
	v_sub_nc_u32_e32 v27, v50, v32
	v_add_co_u32 v15, s3, v2, v25
	s_delay_alu instid0(VALU_DEP_1) | instskip(NEXT) | instid1(VALU_DEP_3)
	v_add_co_ci_u32_e64 v16, s3, 0, v3, s3
	v_sub_nc_u32_e64 v51, v30, v27 clamp
	s_delay_alu instid0(VALU_DEP_3) | instskip(SKIP_1) | instid1(VALU_DEP_4)
	v_add_co_u32 v25, s3, 0x800, v15
	v_min_u32_e32 v52, v30, v26
	v_add_co_ci_u32_e64 v26, s3, 0, v16, s3
	s_mov_b32 s4, 0
	s_mov_b32 s7, exec_lo
	s_clause 0x2
	flat_store_b128 v[15:16], v[17:20] offset:2048
	flat_store_b64 v[8:9], v[53:54]
	flat_store_b128 v[15:16], v[21:24] offset:2064
	; wave barrier
	v_cmpx_lt_u32_e64 v51, v52
	s_cbranch_execz .LBB1869_136
; %bb.133:
	v_lshlrev_b32_e32 v27, 1, v29
	v_lshlrev_b32_e32 v55, 1, v32
	s_delay_alu instid0(VALU_DEP_2) | instskip(NEXT) | instid1(VALU_DEP_1)
	v_add_co_u32 v53, s3, v6, v27
	v_add_co_ci_u32_e64 v54, s3, 0, v7, s3
	s_delay_alu instid0(VALU_DEP_3) | instskip(NEXT) | instid1(VALU_DEP_1)
	v_add_co_u32 v55, s3, v6, v55
	v_add_co_ci_u32_e64 v64, s3, 0, v7, s3
	s_set_inst_prefetch_distance 0x1
	.p2align	6
.LBB1869_134:                           ; =>This Inner Loop Header: Depth=1
	v_add_nc_u32_e32 v27, v52, v51
	s_delay_alu instid0(VALU_DEP_1) | instskip(SKIP_1) | instid1(VALU_DEP_2)
	v_lshrrev_b32_e32 v69, 1, v27
	v_and_b32_e32 v65, -2, v27
	v_xad_u32 v27, v69, -1, v30
	s_delay_alu instid0(VALU_DEP_2) | instskip(NEXT) | instid1(VALU_DEP_1)
	v_add_co_u32 v65, s3, v53, v65
	v_add_co_ci_u32_e64 v66, s3, 0, v54, s3
	s_delay_alu instid0(VALU_DEP_3) | instskip(NEXT) | instid1(VALU_DEP_1)
	v_lshlrev_b64 v[67:68], 1, v[27:28]
	v_add_co_u32 v67, s3, v55, v67
	s_delay_alu instid0(VALU_DEP_1)
	v_add_co_ci_u32_e64 v68, s3, v64, v68, s3
	s_clause 0x1
	flat_load_u16 v27, v[65:66]
	flat_load_u16 v65, v[67:68]
	s_waitcnt vmcnt(1) lgkmcnt(1)
	v_add_f16_e32 v27, 0, v27
	s_waitcnt vmcnt(0) lgkmcnt(0)
	v_add_f16_e32 v65, 0, v65
	s_delay_alu instid0(VALU_DEP_2) | instskip(NEXT) | instid1(VALU_DEP_1)
	v_cmp_lt_i16_e64 s3, -1, v27
	v_cndmask_b32_e64 v66, -1, 0xffff8000, s3
	s_delay_alu instid0(VALU_DEP_3) | instskip(NEXT) | instid1(VALU_DEP_2)
	v_cmp_lt_i16_e64 s3, -1, v65
	v_xor_b32_e32 v27, v66, v27
	s_delay_alu instid0(VALU_DEP_2) | instskip(SKIP_1) | instid1(VALU_DEP_2)
	v_cndmask_b32_e64 v67, -1, 0xffff8000, s3
	v_add_nc_u32_e32 v66, 1, v69
	v_xor_b32_e32 v65, v67, v65
	s_delay_alu instid0(VALU_DEP_1) | instskip(NEXT) | instid1(VALU_DEP_1)
	v_cmp_gt_u16_e64 s3, v27, v65
	v_cndmask_b32_e64 v52, v52, v69, s3
	s_delay_alu instid0(VALU_DEP_4) | instskip(NEXT) | instid1(VALU_DEP_1)
	v_cndmask_b32_e64 v51, v66, v51, s3
	v_cmp_ge_u32_e64 s3, v51, v52
	s_delay_alu instid0(VALU_DEP_1) | instskip(NEXT) | instid1(SALU_CYCLE_1)
	s_or_b32 s4, s3, s4
	s_and_not1_b32 exec_lo, exec_lo, s4
	s_cbranch_execnz .LBB1869_134
; %bb.135:
	s_set_inst_prefetch_distance 0x2
	s_or_b32 exec_lo, exec_lo, s4
.LBB1869_136:
	s_delay_alu instid0(SALU_CYCLE_1) | instskip(SKIP_2) | instid1(VALU_DEP_2)
	s_or_b32 exec_lo, exec_lo, s7
	v_add_nc_u32_e32 v28, v32, v30
	v_add_nc_u32_e32 v27, v51, v29
	v_sub_nc_u32_e32 v29, v28, v51
	s_delay_alu instid0(VALU_DEP_2) | instskip(NEXT) | instid1(VALU_DEP_2)
	v_cmp_le_u32_e64 s3, v27, v32
	v_cmp_le_u32_e64 s4, v29, v50
	s_delay_alu instid0(VALU_DEP_1) | instskip(NEXT) | instid1(SALU_CYCLE_1)
	s_or_b32 s3, s3, s4
	s_and_saveexec_b32 s7, s3
	s_cbranch_execz .LBB1869_156
; %bb.137:
	v_cmp_ge_u32_e64 s3, v27, v32
	s_mov_b32 s8, exec_lo
                                        ; implicit-def: $vgpr28
	v_cmpx_lt_u32_e64 v27, v32
	s_cbranch_execz .LBB1869_139
; %bb.138:
	v_mov_b32_e32 v28, 0
	s_delay_alu instid0(VALU_DEP_1) | instskip(NEXT) | instid1(VALU_DEP_1)
	v_lshlrev_b64 v[17:18], 1, v[27:28]
	v_add_co_u32 v17, s4, v6, v17
	s_delay_alu instid0(VALU_DEP_1)
	v_add_co_ci_u32_e64 v18, s4, v7, v18, s4
	flat_load_u16 v28, v[17:18]
.LBB1869_139:
	s_or_b32 exec_lo, exec_lo, s8
	v_cmp_ge_u32_e64 s8, v29, v50
	s_mov_b32 s9, exec_lo
                                        ; implicit-def: $vgpr30
	v_cmpx_lt_u32_e64 v29, v50
	s_cbranch_execz .LBB1869_141
; %bb.140:
	v_mov_b32_e32 v30, 0
	s_delay_alu instid0(VALU_DEP_1) | instskip(NEXT) | instid1(VALU_DEP_1)
	v_lshlrev_b64 v[17:18], 1, v[29:30]
	v_add_co_u32 v17, s4, v6, v17
	s_delay_alu instid0(VALU_DEP_1)
	v_add_co_ci_u32_e64 v18, s4, v7, v18, s4
	flat_load_u16 v30, v[17:18]
.LBB1869_141:
	s_or_b32 exec_lo, exec_lo, s9
	s_or_b32 s3, s3, s8
	s_mov_b32 s4, -1
	s_xor_b32 s3, s3, -1
	s_delay_alu instid0(SALU_CYCLE_1)
	s_and_saveexec_b32 s9, s3
	s_cbranch_execz .LBB1869_143
; %bb.142:
	s_waitcnt vmcnt(0) lgkmcnt(0)
	v_add_f16_e32 v17, 0, v28
	v_add_f16_e32 v18, 0, v30
	s_and_not1_b32 s8, s8, exec_lo
	s_delay_alu instid0(VALU_DEP_2) | instskip(NEXT) | instid1(VALU_DEP_1)
	v_cmp_lt_i16_e64 s3, -1, v17
	v_cndmask_b32_e64 v19, -1, 0xffff8000, s3
	s_delay_alu instid0(VALU_DEP_3) | instskip(NEXT) | instid1(VALU_DEP_2)
	v_cmp_lt_i16_e64 s3, -1, v18
	v_xor_b32_e32 v17, v19, v17
	s_delay_alu instid0(VALU_DEP_2) | instskip(NEXT) | instid1(VALU_DEP_1)
	v_cndmask_b32_e64 v20, -1, 0xffff8000, s3
	v_xor_b32_e32 v18, v20, v18
	s_delay_alu instid0(VALU_DEP_1) | instskip(NEXT) | instid1(VALU_DEP_1)
	v_cmp_le_u16_e64 s3, v17, v18
	s_and_b32 s3, s3, exec_lo
	s_delay_alu instid0(SALU_CYCLE_1)
	s_or_b32 s8, s8, s3
.LBB1869_143:
	s_or_b32 exec_lo, exec_lo, s9
	v_cndmask_b32_e64 v19, v29, v27, s8
	v_cndmask_b32_e64 v17, v50, v32, s8
	v_mov_b32_e32 v20, 0
	s_mov_b32 s10, 0
	s_mov_b32 s9, exec_lo
	v_add_nc_u32_e32 v23, 1, v19
	v_add_nc_u32_e32 v21, -1, v17
	v_lshlrev_b64 v[17:18], 3, v[19:20]
	s_delay_alu instid0(VALU_DEP_2) | instskip(NEXT) | instid1(VALU_DEP_1)
	v_min_u32_e32 v19, v23, v21
	v_lshlrev_b64 v[21:22], 1, v[19:20]
	s_delay_alu instid0(VALU_DEP_1) | instskip(NEXT) | instid1(VALU_DEP_1)
	v_add_co_u32 v21, s3, v6, v21
	v_add_co_ci_u32_e64 v22, s3, v7, v22, s3
	v_add_co_u32 v17, s3, v2, v17
	s_delay_alu instid0(VALU_DEP_1)
	v_add_co_ci_u32_e64 v18, s3, v3, v18, s3
	s_clause 0x1
	flat_load_u16 v19, v[21:22]
	flat_load_b64 v[17:18], v[17:18] offset:2048
	v_cndmask_b32_e64 v21, v23, v29, s8
	v_cndmask_b32_e64 v22, v27, v23, s8
	s_waitcnt vmcnt(1) lgkmcnt(1)
	v_cndmask_b32_e64 v27, v19, v30, s8
	v_cndmask_b32_e64 v29, v28, v19, s8
	v_cmpx_lt_u32_e64 v21, v50
	s_cbranch_execz .LBB1869_147
; %bb.144:
	s_mov_b32 s4, exec_lo
	v_cmpx_lt_u32_e64 v22, v32
; %bb.145:
	v_add_f16_e32 v19, 0, v29
	v_add_f16_e32 v23, 0, v27
	s_delay_alu instid0(VALU_DEP_2) | instskip(NEXT) | instid1(VALU_DEP_1)
	v_cmp_lt_i16_e64 s3, -1, v19
	v_cndmask_b32_e64 v24, -1, 0xffff8000, s3
	s_delay_alu instid0(VALU_DEP_3) | instskip(NEXT) | instid1(VALU_DEP_2)
	v_cmp_lt_i16_e64 s3, -1, v23
	v_xor_b32_e32 v19, v24, v19
	s_delay_alu instid0(VALU_DEP_2) | instskip(NEXT) | instid1(VALU_DEP_1)
	v_cndmask_b32_e64 v38, -1, 0xffff8000, s3
	v_xor_b32_e32 v23, v38, v23
	s_delay_alu instid0(VALU_DEP_1) | instskip(NEXT) | instid1(VALU_DEP_1)
	v_cmp_le_u16_e64 s3, v19, v23
	s_and_b32 s10, s3, exec_lo
; %bb.146:
	s_or_b32 exec_lo, exec_lo, s4
	s_delay_alu instid0(SALU_CYCLE_1)
	s_or_not1_b32 s4, s10, exec_lo
.LBB1869_147:
	s_or_b32 exec_lo, exec_lo, s9
	v_cndmask_b32_e64 v19, v21, v22, s4
	v_cndmask_b32_e64 v23, v50, v32, s4
	s_mov_b32 s12, 0
	s_mov_b32 s9, -1
	s_mov_b32 s10, -1
	v_add_nc_u32_e32 v38, 1, v19
	v_add_nc_u32_e32 v39, -1, v23
	v_lshlrev_b64 v[23:24], 3, v[19:20]
	s_mov_b32 s11, exec_lo
	s_delay_alu instid0(VALU_DEP_3) | instskip(NEXT) | instid1(VALU_DEP_3)
	v_cndmask_b32_e64 v48, v38, v21, s4
	v_min_u32_e32 v19, v38, v39
	v_cndmask_b32_e64 v49, v22, v38, s4
	s_delay_alu instid0(VALU_DEP_2) | instskip(NEXT) | instid1(VALU_DEP_1)
	v_lshlrev_b64 v[19:20], 1, v[19:20]
	v_add_co_u32 v19, s3, v6, v19
	s_delay_alu instid0(VALU_DEP_1) | instskip(SKIP_2) | instid1(VALU_DEP_1)
	v_add_co_ci_u32_e64 v20, s3, v7, v20, s3
	flat_load_u16 v39, v[19:20]
	v_add_co_u32 v19, s3, v2, v23
	v_add_co_ci_u32_e64 v20, s3, v3, v24, s3
	flat_load_b64 v[19:20], v[19:20] offset:2048
	s_waitcnt vmcnt(1) lgkmcnt(1)
	v_cndmask_b32_e64 v38, v39, v27, s4
	v_cndmask_b32_e64 v39, v29, v39, s4
	v_cmpx_lt_u32_e64 v48, v50
	s_cbranch_execz .LBB1869_151
; %bb.148:
	s_mov_b32 s10, exec_lo
	v_cmpx_lt_u32_e64 v49, v32
; %bb.149:
	v_add_f16_e32 v21, 0, v39
	v_add_f16_e32 v22, 0, v38
	s_delay_alu instid0(VALU_DEP_2) | instskip(NEXT) | instid1(VALU_DEP_1)
	v_cmp_lt_i16_e64 s3, -1, v21
	v_cndmask_b32_e64 v23, -1, 0xffff8000, s3
	s_delay_alu instid0(VALU_DEP_3) | instskip(NEXT) | instid1(VALU_DEP_2)
	v_cmp_lt_i16_e64 s3, -1, v22
	v_xor_b32_e32 v21, v23, v21
	s_delay_alu instid0(VALU_DEP_2) | instskip(NEXT) | instid1(VALU_DEP_1)
	v_cndmask_b32_e64 v24, -1, 0xffff8000, s3
	v_xor_b32_e32 v22, v24, v22
	s_delay_alu instid0(VALU_DEP_1) | instskip(NEXT) | instid1(VALU_DEP_1)
	v_cmp_le_u16_e64 s3, v21, v22
	s_and_b32 s12, s3, exec_lo
; %bb.150:
	s_or_b32 exec_lo, exec_lo, s10
	s_delay_alu instid0(SALU_CYCLE_1)
	s_or_not1_b32 s10, s12, exec_lo
.LBB1869_151:
	s_or_b32 exec_lo, exec_lo, s11
	v_cndmask_b32_e64 v23, v48, v49, s10
	v_cndmask_b32_e64 v21, v50, v32, s10
	v_mov_b32_e32 v24, 0
	s_mov_b32 s12, 0
	s_mov_b32 s11, exec_lo
	v_add_nc_u32_e32 v53, 1, v23
	v_add_nc_u32_e32 v51, -1, v21
	v_lshlrev_b64 v[21:22], 3, v[23:24]
	s_delay_alu instid0(VALU_DEP_2) | instskip(NEXT) | instid1(VALU_DEP_1)
	v_min_u32_e32 v23, v53, v51
	v_lshlrev_b64 v[51:52], 1, v[23:24]
	v_cndmask_b32_e64 v23, v53, v48, s10
	v_cndmask_b32_e64 v48, v49, v53, s10
	s_delay_alu instid0(VALU_DEP_3) | instskip(NEXT) | instid1(VALU_DEP_1)
	v_add_co_u32 v51, s3, v6, v51
	v_add_co_ci_u32_e64 v52, s3, v7, v52, s3
	v_add_co_u32 v21, s3, v2, v21
	s_delay_alu instid0(VALU_DEP_1)
	v_add_co_ci_u32_e64 v22, s3, v3, v22, s3
	s_clause 0x1
	flat_load_u16 v52, v[51:52]
	flat_load_b64 v[21:22], v[21:22] offset:2048
	s_waitcnt vmcnt(1) lgkmcnt(1)
	v_cndmask_b32_e64 v51, v52, v38, s10
	v_cndmask_b32_e64 v52, v39, v52, s10
	v_cmpx_lt_u32_e64 v23, v50
	s_cbranch_execz .LBB1869_155
; %bb.152:
	s_mov_b32 s9, exec_lo
	v_cmpx_lt_u32_e64 v48, v32
; %bb.153:
	v_add_f16_e32 v32, 0, v52
	v_add_f16_e32 v49, 0, v51
	s_delay_alu instid0(VALU_DEP_2) | instskip(NEXT) | instid1(VALU_DEP_1)
	v_cmp_lt_i16_e64 s3, -1, v32
	v_cndmask_b32_e64 v50, -1, 0xffff8000, s3
	s_delay_alu instid0(VALU_DEP_3) | instskip(NEXT) | instid1(VALU_DEP_2)
	v_cmp_lt_i16_e64 s3, -1, v49
	v_xor_b32_e32 v32, v50, v32
	s_delay_alu instid0(VALU_DEP_2) | instskip(NEXT) | instid1(VALU_DEP_1)
	v_cndmask_b32_e64 v53, -1, 0xffff8000, s3
	v_xor_b32_e32 v49, v53, v49
	s_delay_alu instid0(VALU_DEP_1) | instskip(NEXT) | instid1(VALU_DEP_1)
	v_cmp_le_u16_e64 s3, v32, v49
	s_and_b32 s12, s3, exec_lo
; %bb.154:
	s_or_b32 exec_lo, exec_lo, s9
	s_delay_alu instid0(SALU_CYCLE_1)
	s_or_not1_b32 s9, s12, exec_lo
.LBB1869_155:
	s_or_b32 exec_lo, exec_lo, s11
	v_cndmask_b32_e64 v23, v23, v48, s9
	v_cndmask_b32_e64 v49, v38, v39, s10
	;; [unrolled: 1-line block ×5, first 2 shown]
	v_lshlrev_b64 v[23:24], 3, v[23:24]
	s_delay_alu instid0(VALU_DEP_1) | instskip(NEXT) | instid1(VALU_DEP_1)
	v_add_co_u32 v23, s3, v2, v23
	v_add_co_ci_u32_e64 v24, s3, v3, v24, s3
	flat_load_b64 v[23:24], v[23:24] offset:2048
.LBB1869_156:
	s_or_b32 exec_lo, exec_lo, s7
	v_and_b32_e32 v29, 0x70, v37
	v_and_b32_e32 v28, 12, v37
	s_mov_b32 s4, exec_lo
	; wave barrier
	s_delay_alu instid0(VALU_DEP_2) | instskip(NEXT) | instid1(VALU_DEP_2)
	v_or_b32_e32 v27, 8, v29
	v_min_u32_e32 v30, v31, v28
	s_delay_alu instid0(VALU_DEP_2) | instskip(NEXT) | instid1(VALU_DEP_1)
	v_min_u32_e32 v32, v31, v27
	v_add_nc_u32_e32 v27, 8, v32
	s_delay_alu instid0(VALU_DEP_1) | instskip(SKIP_1) | instid1(VALU_DEP_2)
	v_min_u32_e32 v50, v31, v27
	v_sub_nc_u32_e32 v27, v32, v29
	v_sub_nc_u32_e32 v28, v50, v32
	s_delay_alu instid0(VALU_DEP_2) | instskip(SKIP_1) | instid1(VALU_DEP_3)
	v_min_u32_e32 v52, v30, v27
	v_perm_b32 v27, v39, v48, 0x5040100
	v_sub_nc_u32_e64 v51, v30, v28 clamp
	v_perm_b32 v28, v38, v49, 0x5040100
	s_clause 0x1
	flat_store_b128 v[15:16], v[17:20] offset:2048
	flat_store_b64 v[8:9], v[27:28]
	s_waitcnt vmcnt(0) lgkmcnt(2)
	flat_store_b128 v[25:26], v[21:24] offset:16
	; wave barrier
	v_cmpx_lt_u32_e64 v51, v52
	s_cbranch_execz .LBB1869_160
; %bb.157:
	v_lshlrev_b32_e32 v27, 1, v29
	v_lshlrev_b32_e32 v28, 1, v32
	s_mov_b32 s7, 0
	s_delay_alu instid0(VALU_DEP_2) | instskip(NEXT) | instid1(VALU_DEP_1)
	v_add_co_u32 v53, s3, v6, v27
	v_add_co_ci_u32_e64 v54, s3, 0, v7, s3
	s_delay_alu instid0(VALU_DEP_3)
	v_add_co_u32 v55, s3, v6, v28
	v_mov_b32_e32 v28, 0
	v_add_co_ci_u32_e64 v64, s3, 0, v7, s3
	s_set_inst_prefetch_distance 0x1
	.p2align	6
.LBB1869_158:                           ; =>This Inner Loop Header: Depth=1
	v_add_nc_u32_e32 v27, v52, v51
	s_delay_alu instid0(VALU_DEP_1) | instskip(SKIP_1) | instid1(VALU_DEP_2)
	v_lshrrev_b32_e32 v69, 1, v27
	v_and_b32_e32 v65, -2, v27
	v_xad_u32 v27, v69, -1, v30
	s_delay_alu instid0(VALU_DEP_2) | instskip(NEXT) | instid1(VALU_DEP_1)
	v_add_co_u32 v65, s3, v53, v65
	v_add_co_ci_u32_e64 v66, s3, 0, v54, s3
	s_delay_alu instid0(VALU_DEP_3) | instskip(NEXT) | instid1(VALU_DEP_1)
	v_lshlrev_b64 v[67:68], 1, v[27:28]
	v_add_co_u32 v67, s3, v55, v67
	s_delay_alu instid0(VALU_DEP_1)
	v_add_co_ci_u32_e64 v68, s3, v64, v68, s3
	s_clause 0x1
	flat_load_u16 v27, v[65:66]
	flat_load_u16 v65, v[67:68]
	s_waitcnt vmcnt(1) lgkmcnt(1)
	v_add_f16_e32 v27, 0, v27
	s_waitcnt vmcnt(0) lgkmcnt(0)
	v_add_f16_e32 v65, 0, v65
	s_delay_alu instid0(VALU_DEP_2) | instskip(NEXT) | instid1(VALU_DEP_1)
	v_cmp_lt_i16_e64 s3, -1, v27
	v_cndmask_b32_e64 v66, -1, 0xffff8000, s3
	s_delay_alu instid0(VALU_DEP_3) | instskip(NEXT) | instid1(VALU_DEP_2)
	v_cmp_lt_i16_e64 s3, -1, v65
	v_xor_b32_e32 v27, v66, v27
	s_delay_alu instid0(VALU_DEP_2) | instskip(SKIP_1) | instid1(VALU_DEP_2)
	v_cndmask_b32_e64 v67, -1, 0xffff8000, s3
	v_add_nc_u32_e32 v66, 1, v69
	v_xor_b32_e32 v65, v67, v65
	s_delay_alu instid0(VALU_DEP_1) | instskip(NEXT) | instid1(VALU_DEP_1)
	v_cmp_gt_u16_e64 s3, v27, v65
	v_cndmask_b32_e64 v52, v52, v69, s3
	s_delay_alu instid0(VALU_DEP_4) | instskip(NEXT) | instid1(VALU_DEP_1)
	v_cndmask_b32_e64 v51, v66, v51, s3
	v_cmp_ge_u32_e64 s3, v51, v52
	s_delay_alu instid0(VALU_DEP_1) | instskip(NEXT) | instid1(SALU_CYCLE_1)
	s_or_b32 s7, s3, s7
	s_and_not1_b32 exec_lo, exec_lo, s7
	s_cbranch_execnz .LBB1869_158
; %bb.159:
	s_set_inst_prefetch_distance 0x2
	s_or_b32 exec_lo, exec_lo, s7
.LBB1869_160:
	s_delay_alu instid0(SALU_CYCLE_1) | instskip(SKIP_2) | instid1(VALU_DEP_2)
	s_or_b32 exec_lo, exec_lo, s4
	v_add_nc_u32_e32 v28, v32, v30
	v_add_nc_u32_e32 v27, v51, v29
	v_sub_nc_u32_e32 v29, v28, v51
	s_delay_alu instid0(VALU_DEP_2) | instskip(NEXT) | instid1(VALU_DEP_2)
	v_cmp_le_u32_e64 s3, v27, v32
	v_cmp_le_u32_e64 s4, v29, v50
	s_delay_alu instid0(VALU_DEP_1) | instskip(NEXT) | instid1(SALU_CYCLE_1)
	s_or_b32 s3, s3, s4
	s_and_saveexec_b32 s7, s3
	s_cbranch_execz .LBB1869_180
; %bb.161:
	v_cmp_ge_u32_e64 s3, v27, v32
	s_mov_b32 s8, exec_lo
                                        ; implicit-def: $vgpr28
	v_cmpx_lt_u32_e64 v27, v32
	s_cbranch_execz .LBB1869_163
; %bb.162:
	v_mov_b32_e32 v28, 0
	s_delay_alu instid0(VALU_DEP_1) | instskip(NEXT) | instid1(VALU_DEP_1)
	v_lshlrev_b64 v[17:18], 1, v[27:28]
	v_add_co_u32 v17, s4, v6, v17
	s_delay_alu instid0(VALU_DEP_1)
	v_add_co_ci_u32_e64 v18, s4, v7, v18, s4
	flat_load_u16 v28, v[17:18]
.LBB1869_163:
	s_or_b32 exec_lo, exec_lo, s8
	v_cmp_ge_u32_e64 s8, v29, v50
	s_mov_b32 s9, exec_lo
                                        ; implicit-def: $vgpr30
	v_cmpx_lt_u32_e64 v29, v50
	s_cbranch_execz .LBB1869_165
; %bb.164:
	v_mov_b32_e32 v30, 0
	s_delay_alu instid0(VALU_DEP_1) | instskip(NEXT) | instid1(VALU_DEP_1)
	v_lshlrev_b64 v[17:18], 1, v[29:30]
	v_add_co_u32 v17, s4, v6, v17
	s_delay_alu instid0(VALU_DEP_1)
	v_add_co_ci_u32_e64 v18, s4, v7, v18, s4
	flat_load_u16 v30, v[17:18]
.LBB1869_165:
	s_or_b32 exec_lo, exec_lo, s9
	s_or_b32 s3, s3, s8
	s_mov_b32 s4, -1
	s_xor_b32 s3, s3, -1
	s_delay_alu instid0(SALU_CYCLE_1)
	s_and_saveexec_b32 s9, s3
	s_cbranch_execz .LBB1869_167
; %bb.166:
	s_waitcnt vmcnt(0) lgkmcnt(0)
	v_add_f16_e32 v17, 0, v28
	v_add_f16_e32 v18, 0, v30
	s_and_not1_b32 s8, s8, exec_lo
	s_delay_alu instid0(VALU_DEP_2) | instskip(NEXT) | instid1(VALU_DEP_1)
	v_cmp_lt_i16_e64 s3, -1, v17
	v_cndmask_b32_e64 v19, -1, 0xffff8000, s3
	s_delay_alu instid0(VALU_DEP_3) | instskip(NEXT) | instid1(VALU_DEP_2)
	v_cmp_lt_i16_e64 s3, -1, v18
	v_xor_b32_e32 v17, v19, v17
	s_delay_alu instid0(VALU_DEP_2) | instskip(NEXT) | instid1(VALU_DEP_1)
	v_cndmask_b32_e64 v20, -1, 0xffff8000, s3
	v_xor_b32_e32 v18, v20, v18
	s_delay_alu instid0(VALU_DEP_1) | instskip(NEXT) | instid1(VALU_DEP_1)
	v_cmp_le_u16_e64 s3, v17, v18
	s_and_b32 s3, s3, exec_lo
	s_delay_alu instid0(SALU_CYCLE_1)
	s_or_b32 s8, s8, s3
.LBB1869_167:
	s_or_b32 exec_lo, exec_lo, s9
	v_cndmask_b32_e64 v19, v29, v27, s8
	v_cndmask_b32_e64 v17, v50, v32, s8
	v_mov_b32_e32 v20, 0
	s_mov_b32 s10, 0
	s_mov_b32 s9, exec_lo
	v_add_nc_u32_e32 v23, 1, v19
	v_add_nc_u32_e32 v21, -1, v17
	v_lshlrev_b64 v[17:18], 3, v[19:20]
	s_delay_alu instid0(VALU_DEP_2) | instskip(NEXT) | instid1(VALU_DEP_1)
	v_min_u32_e32 v19, v23, v21
	v_lshlrev_b64 v[21:22], 1, v[19:20]
	s_delay_alu instid0(VALU_DEP_1) | instskip(NEXT) | instid1(VALU_DEP_1)
	v_add_co_u32 v21, s3, v6, v21
	v_add_co_ci_u32_e64 v22, s3, v7, v22, s3
	v_add_co_u32 v17, s3, v2, v17
	s_delay_alu instid0(VALU_DEP_1)
	v_add_co_ci_u32_e64 v18, s3, v3, v18, s3
	s_clause 0x1
	flat_load_u16 v19, v[21:22]
	flat_load_b64 v[17:18], v[17:18] offset:2048
	v_cndmask_b32_e64 v21, v23, v29, s8
	v_cndmask_b32_e64 v22, v27, v23, s8
	s_waitcnt vmcnt(1) lgkmcnt(1)
	v_cndmask_b32_e64 v27, v19, v30, s8
	v_cndmask_b32_e64 v29, v28, v19, s8
	v_cmpx_lt_u32_e64 v21, v50
	s_cbranch_execz .LBB1869_171
; %bb.168:
	s_mov_b32 s4, exec_lo
	v_cmpx_lt_u32_e64 v22, v32
; %bb.169:
	v_add_f16_e32 v19, 0, v29
	v_add_f16_e32 v23, 0, v27
	s_delay_alu instid0(VALU_DEP_2) | instskip(NEXT) | instid1(VALU_DEP_1)
	v_cmp_lt_i16_e64 s3, -1, v19
	v_cndmask_b32_e64 v24, -1, 0xffff8000, s3
	s_delay_alu instid0(VALU_DEP_3) | instskip(NEXT) | instid1(VALU_DEP_2)
	v_cmp_lt_i16_e64 s3, -1, v23
	v_xor_b32_e32 v19, v24, v19
	s_delay_alu instid0(VALU_DEP_2) | instskip(NEXT) | instid1(VALU_DEP_1)
	v_cndmask_b32_e64 v38, -1, 0xffff8000, s3
	v_xor_b32_e32 v23, v38, v23
	s_delay_alu instid0(VALU_DEP_1) | instskip(NEXT) | instid1(VALU_DEP_1)
	v_cmp_le_u16_e64 s3, v19, v23
	s_and_b32 s10, s3, exec_lo
; %bb.170:
	s_or_b32 exec_lo, exec_lo, s4
	s_delay_alu instid0(SALU_CYCLE_1)
	s_or_not1_b32 s4, s10, exec_lo
.LBB1869_171:
	s_or_b32 exec_lo, exec_lo, s9
	v_cndmask_b32_e64 v19, v21, v22, s4
	v_cndmask_b32_e64 v23, v50, v32, s4
	s_mov_b32 s12, 0
	s_mov_b32 s9, -1
	s_mov_b32 s10, -1
	v_add_nc_u32_e32 v38, 1, v19
	v_add_nc_u32_e32 v39, -1, v23
	v_lshlrev_b64 v[23:24], 3, v[19:20]
	s_mov_b32 s11, exec_lo
	s_delay_alu instid0(VALU_DEP_3) | instskip(NEXT) | instid1(VALU_DEP_3)
	v_cndmask_b32_e64 v48, v38, v21, s4
	v_min_u32_e32 v19, v38, v39
	v_cndmask_b32_e64 v49, v22, v38, s4
	s_delay_alu instid0(VALU_DEP_2) | instskip(NEXT) | instid1(VALU_DEP_1)
	v_lshlrev_b64 v[19:20], 1, v[19:20]
	v_add_co_u32 v19, s3, v6, v19
	s_delay_alu instid0(VALU_DEP_1) | instskip(SKIP_2) | instid1(VALU_DEP_1)
	v_add_co_ci_u32_e64 v20, s3, v7, v20, s3
	flat_load_u16 v39, v[19:20]
	v_add_co_u32 v19, s3, v2, v23
	v_add_co_ci_u32_e64 v20, s3, v3, v24, s3
	flat_load_b64 v[19:20], v[19:20] offset:2048
	s_waitcnt vmcnt(1) lgkmcnt(1)
	v_cndmask_b32_e64 v38, v39, v27, s4
	v_cndmask_b32_e64 v39, v29, v39, s4
	v_cmpx_lt_u32_e64 v48, v50
	s_cbranch_execz .LBB1869_175
; %bb.172:
	s_mov_b32 s10, exec_lo
	v_cmpx_lt_u32_e64 v49, v32
; %bb.173:
	v_add_f16_e32 v21, 0, v39
	v_add_f16_e32 v22, 0, v38
	s_delay_alu instid0(VALU_DEP_2) | instskip(NEXT) | instid1(VALU_DEP_1)
	v_cmp_lt_i16_e64 s3, -1, v21
	v_cndmask_b32_e64 v23, -1, 0xffff8000, s3
	s_delay_alu instid0(VALU_DEP_3) | instskip(NEXT) | instid1(VALU_DEP_2)
	v_cmp_lt_i16_e64 s3, -1, v22
	v_xor_b32_e32 v21, v23, v21
	s_delay_alu instid0(VALU_DEP_2) | instskip(NEXT) | instid1(VALU_DEP_1)
	v_cndmask_b32_e64 v24, -1, 0xffff8000, s3
	v_xor_b32_e32 v22, v24, v22
	s_delay_alu instid0(VALU_DEP_1) | instskip(NEXT) | instid1(VALU_DEP_1)
	v_cmp_le_u16_e64 s3, v21, v22
	s_and_b32 s12, s3, exec_lo
; %bb.174:
	s_or_b32 exec_lo, exec_lo, s10
	s_delay_alu instid0(SALU_CYCLE_1)
	s_or_not1_b32 s10, s12, exec_lo
.LBB1869_175:
	s_or_b32 exec_lo, exec_lo, s11
	v_cndmask_b32_e64 v23, v48, v49, s10
	v_cndmask_b32_e64 v21, v50, v32, s10
	v_mov_b32_e32 v24, 0
	s_mov_b32 s12, 0
	s_mov_b32 s11, exec_lo
	v_add_nc_u32_e32 v53, 1, v23
	v_add_nc_u32_e32 v51, -1, v21
	v_lshlrev_b64 v[21:22], 3, v[23:24]
	s_delay_alu instid0(VALU_DEP_2) | instskip(NEXT) | instid1(VALU_DEP_1)
	v_min_u32_e32 v23, v53, v51
	v_lshlrev_b64 v[51:52], 1, v[23:24]
	v_cndmask_b32_e64 v23, v53, v48, s10
	v_cndmask_b32_e64 v48, v49, v53, s10
	s_delay_alu instid0(VALU_DEP_3) | instskip(NEXT) | instid1(VALU_DEP_1)
	v_add_co_u32 v51, s3, v6, v51
	v_add_co_ci_u32_e64 v52, s3, v7, v52, s3
	v_add_co_u32 v21, s3, v2, v21
	s_delay_alu instid0(VALU_DEP_1)
	v_add_co_ci_u32_e64 v22, s3, v3, v22, s3
	s_clause 0x1
	flat_load_u16 v52, v[51:52]
	flat_load_b64 v[21:22], v[21:22] offset:2048
	s_waitcnt vmcnt(1) lgkmcnt(1)
	v_cndmask_b32_e64 v51, v52, v38, s10
	v_cndmask_b32_e64 v52, v39, v52, s10
	v_cmpx_lt_u32_e64 v23, v50
	s_cbranch_execz .LBB1869_179
; %bb.176:
	s_mov_b32 s9, exec_lo
	v_cmpx_lt_u32_e64 v48, v32
; %bb.177:
	v_add_f16_e32 v32, 0, v52
	v_add_f16_e32 v49, 0, v51
	s_delay_alu instid0(VALU_DEP_2) | instskip(NEXT) | instid1(VALU_DEP_1)
	v_cmp_lt_i16_e64 s3, -1, v32
	v_cndmask_b32_e64 v50, -1, 0xffff8000, s3
	s_delay_alu instid0(VALU_DEP_3) | instskip(NEXT) | instid1(VALU_DEP_2)
	v_cmp_lt_i16_e64 s3, -1, v49
	v_xor_b32_e32 v32, v50, v32
	s_delay_alu instid0(VALU_DEP_2) | instskip(NEXT) | instid1(VALU_DEP_1)
	v_cndmask_b32_e64 v53, -1, 0xffff8000, s3
	v_xor_b32_e32 v49, v53, v49
	s_delay_alu instid0(VALU_DEP_1) | instskip(NEXT) | instid1(VALU_DEP_1)
	v_cmp_le_u16_e64 s3, v32, v49
	s_and_b32 s12, s3, exec_lo
; %bb.178:
	s_or_b32 exec_lo, exec_lo, s9
	s_delay_alu instid0(SALU_CYCLE_1)
	s_or_not1_b32 s9, s12, exec_lo
.LBB1869_179:
	s_or_b32 exec_lo, exec_lo, s11
	v_cndmask_b32_e64 v23, v23, v48, s9
	v_cndmask_b32_e64 v49, v38, v39, s10
	;; [unrolled: 1-line block ×5, first 2 shown]
	v_lshlrev_b64 v[23:24], 3, v[23:24]
	s_delay_alu instid0(VALU_DEP_1) | instskip(NEXT) | instid1(VALU_DEP_1)
	v_add_co_u32 v23, s3, v2, v23
	v_add_co_ci_u32_e64 v24, s3, v3, v24, s3
	flat_load_b64 v[23:24], v[23:24] offset:2048
.LBB1869_180:
	s_or_b32 exec_lo, exec_lo, s7
	v_and_b32_e32 v29, 0x60, v37
	v_min_u32_e32 v30, v31, v35
	v_perm_b32 v51, v38, v49, 0x5040100
	v_perm_b32 v50, v39, v48, 0x5040100
	s_mov_b32 s4, exec_lo
	v_or_b32_e32 v27, 16, v29
	; wave barrier
	s_clause 0x1
	flat_store_b128 v[15:16], v[17:20] offset:2048
	flat_store_b64 v[8:9], v[50:51]
	s_waitcnt vmcnt(0) lgkmcnt(2)
	flat_store_b128 v[25:26], v[21:24] offset:16
	v_min_u32_e32 v27, v31, v27
	; wave barrier
	s_delay_alu instid0(VALU_DEP_1) | instskip(NEXT) | instid1(VALU_DEP_1)
	v_add_nc_u32_e32 v28, 16, v27
	v_min_u32_e32 v28, v31, v28
	v_sub_nc_u32_e32 v31, v27, v29
	s_delay_alu instid0(VALU_DEP_2) | instskip(NEXT) | instid1(VALU_DEP_2)
	v_sub_nc_u32_e32 v37, v28, v27
	v_min_u32_e32 v32, v30, v31
	s_delay_alu instid0(VALU_DEP_2) | instskip(NEXT) | instid1(VALU_DEP_1)
	v_sub_nc_u32_e64 v31, v30, v37 clamp
	v_cmpx_lt_u32_e64 v31, v32
	s_cbranch_execz .LBB1869_184
; %bb.181:
	v_lshlrev_b32_e32 v8, 1, v29
	v_lshlrev_b32_e32 v9, 1, v27
	s_mov_b32 s7, 0
	s_delay_alu instid0(VALU_DEP_2) | instskip(NEXT) | instid1(VALU_DEP_1)
	v_add_co_u32 v15, s3, v6, v8
	v_add_co_ci_u32_e64 v16, s3, 0, v7, s3
	s_delay_alu instid0(VALU_DEP_3)
	v_add_co_u32 v25, s3, v6, v9
	v_mov_b32_e32 v9, 0
	v_add_co_ci_u32_e64 v26, s3, 0, v7, s3
	s_set_inst_prefetch_distance 0x1
	.p2align	6
.LBB1869_182:                           ; =>This Inner Loop Header: Depth=1
	v_add_nc_u32_e32 v8, v32, v31
	s_delay_alu instid0(VALU_DEP_1) | instskip(SKIP_1) | instid1(VALU_DEP_2)
	v_lshrrev_b32_e32 v37, 1, v8
	v_and_b32_e32 v50, -2, v8
	v_xad_u32 v8, v37, -1, v30
	s_delay_alu instid0(VALU_DEP_2) | instskip(NEXT) | instid1(VALU_DEP_1)
	v_add_co_u32 v50, s3, v15, v50
	v_add_co_ci_u32_e64 v51, s3, 0, v16, s3
	s_delay_alu instid0(VALU_DEP_3) | instskip(NEXT) | instid1(VALU_DEP_1)
	v_lshlrev_b64 v[52:53], 1, v[8:9]
	v_add_co_u32 v52, s3, v25, v52
	s_delay_alu instid0(VALU_DEP_1)
	v_add_co_ci_u32_e64 v53, s3, v26, v53, s3
	s_clause 0x1
	flat_load_u16 v8, v[50:51]
	flat_load_u16 v50, v[52:53]
	s_waitcnt vmcnt(1) lgkmcnt(1)
	v_add_f16_e32 v8, 0, v8
	s_waitcnt vmcnt(0) lgkmcnt(0)
	v_add_f16_e32 v50, 0, v50
	s_delay_alu instid0(VALU_DEP_2) | instskip(NEXT) | instid1(VALU_DEP_1)
	v_cmp_lt_i16_e64 s3, -1, v8
	v_cndmask_b32_e64 v51, -1, 0xffff8000, s3
	s_delay_alu instid0(VALU_DEP_3) | instskip(NEXT) | instid1(VALU_DEP_2)
	v_cmp_lt_i16_e64 s3, -1, v50
	v_xor_b32_e32 v8, v51, v8
	s_delay_alu instid0(VALU_DEP_2) | instskip(SKIP_1) | instid1(VALU_DEP_2)
	v_cndmask_b32_e64 v52, -1, 0xffff8000, s3
	v_add_nc_u32_e32 v51, 1, v37
	v_xor_b32_e32 v50, v52, v50
	s_delay_alu instid0(VALU_DEP_1) | instskip(NEXT) | instid1(VALU_DEP_1)
	v_cmp_gt_u16_e64 s3, v8, v50
	v_cndmask_b32_e64 v32, v32, v37, s3
	s_delay_alu instid0(VALU_DEP_4) | instskip(NEXT) | instid1(VALU_DEP_1)
	v_cndmask_b32_e64 v31, v51, v31, s3
	v_cmp_ge_u32_e64 s3, v31, v32
	s_delay_alu instid0(VALU_DEP_1) | instskip(NEXT) | instid1(SALU_CYCLE_1)
	s_or_b32 s7, s3, s7
	s_and_not1_b32 exec_lo, exec_lo, s7
	s_cbranch_execnz .LBB1869_182
; %bb.183:
	s_set_inst_prefetch_distance 0x2
	s_or_b32 exec_lo, exec_lo, s7
.LBB1869_184:
	s_delay_alu instid0(SALU_CYCLE_1) | instskip(SKIP_2) | instid1(VALU_DEP_2)
	s_or_b32 exec_lo, exec_lo, s4
	v_add_nc_u32_e32 v9, v27, v30
	v_add_nc_u32_e32 v8, v31, v29
	v_sub_nc_u32_e32 v15, v9, v31
	s_delay_alu instid0(VALU_DEP_2) | instskip(NEXT) | instid1(VALU_DEP_2)
	v_cmp_le_u32_e64 s3, v8, v27
	v_cmp_le_u32_e64 s4, v15, v28
	s_delay_alu instid0(VALU_DEP_1) | instskip(NEXT) | instid1(SALU_CYCLE_1)
	s_or_b32 s3, s3, s4
	s_and_saveexec_b32 s7, s3
	s_cbranch_execz .LBB1869_204
; %bb.185:
	v_cmp_ge_u32_e64 s3, v8, v27
	s_mov_b32 s8, exec_lo
                                        ; implicit-def: $vgpr25
	v_cmpx_lt_u32_e64 v8, v27
	s_cbranch_execz .LBB1869_187
; %bb.186:
	v_mov_b32_e32 v9, 0
	s_delay_alu instid0(VALU_DEP_1) | instskip(NEXT) | instid1(VALU_DEP_1)
	v_lshlrev_b64 v[16:17], 1, v[8:9]
	v_add_co_u32 v16, s4, v6, v16
	s_delay_alu instid0(VALU_DEP_1)
	v_add_co_ci_u32_e64 v17, s4, v7, v17, s4
	flat_load_u16 v25, v[16:17]
.LBB1869_187:
	s_or_b32 exec_lo, exec_lo, s8
	v_cmp_ge_u32_e64 s8, v15, v28
	s_mov_b32 s9, exec_lo
                                        ; implicit-def: $vgpr16
	v_cmpx_lt_u32_e64 v15, v28
	s_cbranch_execz .LBB1869_189
; %bb.188:
	v_mov_b32_e32 v16, 0
	s_delay_alu instid0(VALU_DEP_1) | instskip(NEXT) | instid1(VALU_DEP_1)
	v_lshlrev_b64 v[16:17], 1, v[15:16]
	v_add_co_u32 v16, s4, v6, v16
	s_delay_alu instid0(VALU_DEP_1)
	v_add_co_ci_u32_e64 v17, s4, v7, v17, s4
	flat_load_u16 v16, v[16:17]
.LBB1869_189:
	s_or_b32 exec_lo, exec_lo, s9
	s_or_b32 s3, s3, s8
	s_mov_b32 s4, -1
	s_xor_b32 s3, s3, -1
	s_delay_alu instid0(SALU_CYCLE_1)
	s_and_saveexec_b32 s9, s3
	s_cbranch_execz .LBB1869_191
; %bb.190:
	s_waitcnt vmcnt(0) lgkmcnt(0)
	v_add_f16_e32 v9, 0, v25
	v_add_f16_e32 v17, 0, v16
	s_and_not1_b32 s8, s8, exec_lo
	s_delay_alu instid0(VALU_DEP_2) | instskip(NEXT) | instid1(VALU_DEP_1)
	v_cmp_lt_i16_e64 s3, -1, v9
	v_cndmask_b32_e64 v18, -1, 0xffff8000, s3
	s_delay_alu instid0(VALU_DEP_3) | instskip(NEXT) | instid1(VALU_DEP_2)
	v_cmp_lt_i16_e64 s3, -1, v17
	v_xor_b32_e32 v9, v18, v9
	s_delay_alu instid0(VALU_DEP_2) | instskip(NEXT) | instid1(VALU_DEP_1)
	v_cndmask_b32_e64 v19, -1, 0xffff8000, s3
	v_xor_b32_e32 v17, v19, v17
	s_delay_alu instid0(VALU_DEP_1) | instskip(NEXT) | instid1(VALU_DEP_1)
	v_cmp_le_u16_e64 s3, v9, v17
	s_and_b32 s3, s3, exec_lo
	s_delay_alu instid0(SALU_CYCLE_1)
	s_or_b32 s8, s8, s3
.LBB1869_191:
	s_or_b32 exec_lo, exec_lo, s9
	v_cndmask_b32_e64 v19, v15, v8, s8
	v_cndmask_b32_e64 v9, v28, v27, s8
	v_mov_b32_e32 v20, 0
	s_mov_b32 s10, 0
	s_mov_b32 s9, exec_lo
	v_add_nc_u32_e32 v23, 1, v19
	v_add_nc_u32_e32 v9, -1, v9
	v_lshlrev_b64 v[17:18], 3, v[19:20]
	s_delay_alu instid0(VALU_DEP_3) | instskip(NEXT) | instid1(VALU_DEP_3)
	v_cndmask_b32_e64 v8, v8, v23, s8
	v_min_u32_e32 v19, v23, v9
	v_cndmask_b32_e64 v9, v23, v15, s8
	s_delay_alu instid0(VALU_DEP_2) | instskip(NEXT) | instid1(VALU_DEP_1)
	v_lshlrev_b64 v[21:22], 1, v[19:20]
	v_add_co_u32 v21, s3, v6, v21
	s_delay_alu instid0(VALU_DEP_1) | instskip(SKIP_1) | instid1(VALU_DEP_1)
	v_add_co_ci_u32_e64 v22, s3, v7, v22, s3
	v_add_co_u32 v17, s3, v2, v17
	v_add_co_ci_u32_e64 v18, s3, v3, v18, s3
	s_clause 0x1
	flat_load_u16 v19, v[21:22]
	flat_load_b64 v[17:18], v[17:18] offset:2048
	s_waitcnt vmcnt(1) lgkmcnt(1)
	v_cndmask_b32_e64 v15, v19, v16, s8
	v_cndmask_b32_e64 v26, v25, v19, s8
	v_cmpx_lt_u32_e64 v9, v28
	s_cbranch_execz .LBB1869_195
; %bb.192:
	s_mov_b32 s4, exec_lo
	v_cmpx_lt_u32_e64 v8, v27
; %bb.193:
	v_add_f16_e32 v19, 0, v26
	v_add_f16_e32 v21, 0, v15
	s_delay_alu instid0(VALU_DEP_2) | instskip(NEXT) | instid1(VALU_DEP_1)
	v_cmp_lt_i16_e64 s3, -1, v19
	v_cndmask_b32_e64 v22, -1, 0xffff8000, s3
	s_delay_alu instid0(VALU_DEP_3) | instskip(NEXT) | instid1(VALU_DEP_2)
	v_cmp_lt_i16_e64 s3, -1, v21
	v_xor_b32_e32 v19, v22, v19
	s_delay_alu instid0(VALU_DEP_2) | instskip(NEXT) | instid1(VALU_DEP_1)
	v_cndmask_b32_e64 v23, -1, 0xffff8000, s3
	v_xor_b32_e32 v21, v23, v21
	s_delay_alu instid0(VALU_DEP_1) | instskip(NEXT) | instid1(VALU_DEP_1)
	v_cmp_le_u16_e64 s3, v19, v21
	s_and_b32 s10, s3, exec_lo
; %bb.194:
	s_or_b32 exec_lo, exec_lo, s4
	s_delay_alu instid0(SALU_CYCLE_1)
	s_or_not1_b32 s4, s10, exec_lo
.LBB1869_195:
	s_or_b32 exec_lo, exec_lo, s9
	v_cndmask_b32_e64 v19, v9, v8, s4
	v_cndmask_b32_e64 v21, v28, v27, s4
	s_mov_b32 s12, 0
	s_mov_b32 s9, -1
	s_mov_b32 s10, -1
	v_add_nc_u32_e32 v24, 1, v19
	v_add_nc_u32_e32 v23, -1, v21
	v_lshlrev_b64 v[21:22], 3, v[19:20]
	s_mov_b32 s11, exec_lo
	s_delay_alu instid0(VALU_DEP_2) | instskip(SKIP_2) | instid1(VALU_DEP_3)
	v_min_u32_e32 v19, v24, v23
	v_cndmask_b32_e64 v23, v24, v9, s4
	v_cndmask_b32_e64 v24, v8, v24, s4
	v_lshlrev_b64 v[19:20], 1, v[19:20]
	s_delay_alu instid0(VALU_DEP_1) | instskip(NEXT) | instid1(VALU_DEP_1)
	v_add_co_u32 v19, s3, v6, v19
	v_add_co_ci_u32_e64 v20, s3, v7, v20, s3
	flat_load_u16 v30, v[19:20]
	v_add_co_u32 v19, s3, v2, v21
	s_delay_alu instid0(VALU_DEP_1)
	v_add_co_ci_u32_e64 v20, s3, v3, v22, s3
	flat_load_b64 v[19:20], v[19:20] offset:2048
	s_waitcnt vmcnt(1) lgkmcnt(1)
	v_cndmask_b32_e64 v29, v30, v15, s4
	v_cndmask_b32_e64 v30, v26, v30, s4
	v_cmpx_lt_u32_e64 v23, v28
	s_cbranch_execz .LBB1869_199
; %bb.196:
	s_mov_b32 s10, exec_lo
	v_cmpx_lt_u32_e64 v24, v27
; %bb.197:
	v_add_f16_e32 v8, 0, v30
	v_add_f16_e32 v9, 0, v29
	s_delay_alu instid0(VALU_DEP_2) | instskip(NEXT) | instid1(VALU_DEP_1)
	v_cmp_lt_i16_e64 s3, -1, v8
	v_cndmask_b32_e64 v21, -1, 0xffff8000, s3
	s_delay_alu instid0(VALU_DEP_3) | instskip(NEXT) | instid1(VALU_DEP_2)
	v_cmp_lt_i16_e64 s3, -1, v9
	v_xor_b32_e32 v8, v21, v8
	s_delay_alu instid0(VALU_DEP_2) | instskip(NEXT) | instid1(VALU_DEP_1)
	v_cndmask_b32_e64 v22, -1, 0xffff8000, s3
	v_xor_b32_e32 v9, v22, v9
	s_delay_alu instid0(VALU_DEP_1) | instskip(NEXT) | instid1(VALU_DEP_1)
	v_cmp_le_u16_e64 s3, v8, v9
	s_and_b32 s12, s3, exec_lo
; %bb.198:
	s_or_b32 exec_lo, exec_lo, s10
	s_delay_alu instid0(SALU_CYCLE_1)
	s_or_not1_b32 s10, s12, exec_lo
.LBB1869_199:
	s_or_b32 exec_lo, exec_lo, s11
	v_cndmask_b32_e64 v8, v23, v24, s10
	v_cndmask_b32_e64 v21, v28, v27, s10
	v_mov_b32_e32 v9, 0
	s_mov_b32 s12, 0
	s_mov_b32 s11, exec_lo
	v_add_nc_u32_e32 v37, 1, v8
	v_add_nc_u32_e32 v31, -1, v21
	v_lshlrev_b64 v[21:22], 3, v[8:9]
	s_delay_alu instid0(VALU_DEP_2) | instskip(NEXT) | instid1(VALU_DEP_1)
	v_min_u32_e32 v8, v37, v31
	v_lshlrev_b64 v[31:32], 1, v[8:9]
	v_cndmask_b32_e64 v8, v37, v23, s10
	v_cndmask_b32_e64 v23, v24, v37, s10
	s_delay_alu instid0(VALU_DEP_3) | instskip(NEXT) | instid1(VALU_DEP_1)
	v_add_co_u32 v6, s3, v6, v31
	v_add_co_ci_u32_e64 v7, s3, v7, v32, s3
	flat_load_u16 v31, v[6:7]
	v_add_co_u32 v6, s3, v2, v21
	s_delay_alu instid0(VALU_DEP_1)
	v_add_co_ci_u32_e64 v7, s3, v3, v22, s3
	flat_load_b64 v[21:22], v[6:7] offset:2048
	s_waitcnt vmcnt(1) lgkmcnt(1)
	v_cndmask_b32_e64 v6, v31, v29, s10
	v_cndmask_b32_e64 v7, v30, v31, s10
	v_cmpx_lt_u32_e64 v8, v28
	s_cbranch_execz .LBB1869_203
; %bb.200:
	s_mov_b32 s9, exec_lo
	v_cmpx_lt_u32_e64 v23, v27
; %bb.201:
	v_add_f16_e32 v24, 0, v7
	v_add_f16_e32 v27, 0, v6
	s_delay_alu instid0(VALU_DEP_2) | instskip(NEXT) | instid1(VALU_DEP_1)
	v_cmp_lt_i16_e64 s3, -1, v24
	v_cndmask_b32_e64 v28, -1, 0xffff8000, s3
	s_delay_alu instid0(VALU_DEP_3) | instskip(NEXT) | instid1(VALU_DEP_2)
	v_cmp_lt_i16_e64 s3, -1, v27
	v_xor_b32_e32 v24, v28, v24
	s_delay_alu instid0(VALU_DEP_2) | instskip(NEXT) | instid1(VALU_DEP_1)
	v_cndmask_b32_e64 v31, -1, 0xffff8000, s3
	v_xor_b32_e32 v27, v31, v27
	s_delay_alu instid0(VALU_DEP_1) | instskip(NEXT) | instid1(VALU_DEP_1)
	v_cmp_le_u16_e64 s3, v24, v27
	s_and_b32 s12, s3, exec_lo
; %bb.202:
	s_or_b32 exec_lo, exec_lo, s9
	s_delay_alu instid0(SALU_CYCLE_1)
	s_or_not1_b32 s9, s12, exec_lo
.LBB1869_203:
	s_or_b32 exec_lo, exec_lo, s11
	v_cndmask_b32_e64 v8, v8, v23, s9
	v_cndmask_b32_e64 v49, v29, v30, s10
	;; [unrolled: 1-line block ×5, first 2 shown]
	v_lshlrev_b64 v[8:9], 3, v[8:9]
	s_delay_alu instid0(VALU_DEP_1) | instskip(NEXT) | instid1(VALU_DEP_1)
	v_add_co_u32 v2, s3, v2, v8
	v_add_co_ci_u32_e64 v3, s3, v3, v9, s3
	flat_load_b64 v[23:24], v[2:3] offset:2048
.LBB1869_204:
	s_or_b32 exec_lo, exec_lo, s7
	v_add_co_u32 v2, s3, v4, v33
	s_delay_alu instid0(VALU_DEP_1) | instskip(NEXT) | instid1(VALU_DEP_2)
	v_add_co_ci_u32_e64 v3, s3, v5, v34, s3
	v_add_co_u32 v2, s3, v2, v36
	s_delay_alu instid0(VALU_DEP_1)
	v_add_co_ci_u32_e64 v3, s3, 0, v3, s3
	; wave barrier
	s_waitcnt vmcnt(0) lgkmcnt(0)
	s_waitcnt_vscnt null, 0x0
	s_barrier
	buffer_gl0_inv
	; wave barrier
	s_and_saveexec_b32 s3, vcc_lo
	s_cbranch_execnz .LBB1869_226
; %bb.205:
	s_or_b32 exec_lo, exec_lo, s3
	s_and_saveexec_b32 s3, s1
	s_cbranch_execnz .LBB1869_227
.LBB1869_206:
	s_or_b32 exec_lo, exec_lo, s3
	s_and_saveexec_b32 s3, s2
	s_cbranch_execnz .LBB1869_228
.LBB1869_207:
	s_or_b32 exec_lo, exec_lo, s3
	s_and_saveexec_b32 s3, s0
	s_cbranch_execz .LBB1869_209
.LBB1869_208:
	flat_store_b16 v[2:3], v38 offset:6
.LBB1869_209:
	s_or_b32 exec_lo, exec_lo, s3
	v_add_co_u32 v0, s3, v10, v0
	s_delay_alu instid0(VALU_DEP_1) | instskip(NEXT) | instid1(VALU_DEP_2)
	v_add_co_ci_u32_e64 v1, s3, v11, v1, s3
	v_add_co_u32 v0, s3, v0, v12
	s_delay_alu instid0(VALU_DEP_1)
	v_add_co_ci_u32_e64 v1, s3, 0, v1, s3
	; wave barrier
	s_and_saveexec_b32 s3, vcc_lo
	s_cbranch_execnz .LBB1869_229
; %bb.210:
	s_or_b32 exec_lo, exec_lo, s3
	s_and_saveexec_b32 s3, s1
	s_cbranch_execnz .LBB1869_230
.LBB1869_211:
	s_or_b32 exec_lo, exec_lo, s3
	s_and_saveexec_b32 s1, s2
	s_cbranch_execz .LBB1869_213
.LBB1869_212:
	flat_store_b64 v[0:1], v[21:22] offset:16
.LBB1869_213:
	s_or_b32 exec_lo, exec_lo, s1
	v_dual_mov_b32 v8, v10 :: v_dual_mov_b32 v9, v11
	s_and_not1_b32 s1, s5, exec_lo
	s_and_b32 s0, s0, exec_lo
	s_delay_alu instid0(SALU_CYCLE_1)
	s_or_b32 s5, s1, s0
	s_or_b32 exec_lo, exec_lo, s6
	s_and_saveexec_b32 s0, s5
	s_cbranch_execz .LBB1869_3
.LBB1869_214:
	v_lshlrev_b64 v[0:1], 3, v[13:14]
	v_lshlrev_b32_e32 v2, 3, v35
	s_delay_alu instid0(VALU_DEP_2) | instskip(NEXT) | instid1(VALU_DEP_3)
	v_add_co_u32 v0, vcc_lo, v8, v0
	v_add_co_ci_u32_e32 v1, vcc_lo, v9, v1, vcc_lo
	s_delay_alu instid0(VALU_DEP_2) | instskip(NEXT) | instid1(VALU_DEP_2)
	v_add_co_u32 v0, vcc_lo, v0, v2
	v_add_co_ci_u32_e32 v1, vcc_lo, 0, v1, vcc_lo
	flat_store_b64 v[0:1], v[23:24] offset:24
	s_or_b32 exec_lo, exec_lo, s0
	s_waitcnt lgkmcnt(0)
	s_setpc_b64 s[30:31]
.LBB1869_215:
	flat_load_b64 v[17:18], v[4:5]
	s_or_b32 exec_lo, exec_lo, s3
	s_and_saveexec_b32 s3, s0
	s_cbranch_execz .LBB1869_14
.LBB1869_216:
	flat_load_b64 v[19:20], v[4:5] offset:8
	s_or_b32 exec_lo, exec_lo, s3
	s_and_saveexec_b32 s3, s1
	s_cbranch_execz .LBB1869_15
.LBB1869_217:
	flat_load_b64 v[21:22], v[4:5] offset:16
	s_or_b32 exec_lo, exec_lo, s3
	s_and_saveexec_b32 s3, s2
	s_cbranch_execnz .LBB1869_16
	s_branch .LBB1869_17
.LBB1869_218:
	flat_store_b16 v[2:3], v48
	s_or_b32 exec_lo, exec_lo, s3
	s_and_saveexec_b32 s3, s0
	s_cbranch_execz .LBB1869_101
.LBB1869_219:
	flat_store_b16 v[2:3], v39 offset:2
	s_or_b32 exec_lo, exec_lo, s3
	s_and_saveexec_b32 s3, s1
	s_cbranch_execz .LBB1869_102
.LBB1869_220:
	flat_store_b16 v[2:3], v49 offset:4
	s_or_b32 exec_lo, exec_lo, s3
	s_and_saveexec_b32 s3, s2
	s_cbranch_execnz .LBB1869_103
	s_branch .LBB1869_104
.LBB1869_221:
	flat_store_b64 v[0:1], v[17:18]
	s_or_b32 exec_lo, exec_lo, s3
	s_and_saveexec_b32 s3, s0
	s_cbranch_execz .LBB1869_106
.LBB1869_222:
	flat_store_b64 v[0:1], v[19:20] offset:8
	s_or_b32 exec_lo, exec_lo, s3
	s_and_saveexec_b32 s0, s1
	s_cbranch_execnz .LBB1869_107
	s_branch .LBB1869_108
.LBB1869_223:
	flat_load_b64 v[17:18], v[2:3]
	s_or_b32 exec_lo, exec_lo, s3
	s_and_saveexec_b32 s3, s1
	s_cbranch_execz .LBB1869_119
.LBB1869_224:
	flat_load_b64 v[19:20], v[2:3] offset:8
	s_or_b32 exec_lo, exec_lo, s3
	s_and_saveexec_b32 s3, s2
	s_cbranch_execz .LBB1869_120
.LBB1869_225:
	flat_load_b64 v[21:22], v[2:3] offset:16
	s_or_b32 exec_lo, exec_lo, s3
	s_and_saveexec_b32 s3, s0
	s_cbranch_execnz .LBB1869_121
	s_branch .LBB1869_122
.LBB1869_226:
	flat_store_b16 v[2:3], v48
	s_or_b32 exec_lo, exec_lo, s3
	s_and_saveexec_b32 s3, s1
	s_cbranch_execz .LBB1869_206
.LBB1869_227:
	flat_store_b16 v[2:3], v39 offset:2
	s_or_b32 exec_lo, exec_lo, s3
	s_and_saveexec_b32 s3, s2
	s_cbranch_execz .LBB1869_207
.LBB1869_228:
	flat_store_b16 v[2:3], v49 offset:4
	s_or_b32 exec_lo, exec_lo, s3
	s_and_saveexec_b32 s3, s0
	s_cbranch_execnz .LBB1869_208
	s_branch .LBB1869_209
.LBB1869_229:
	flat_store_b64 v[0:1], v[17:18]
	s_or_b32 exec_lo, exec_lo, s3
	s_and_saveexec_b32 s3, s1
	s_cbranch_execz .LBB1869_211
.LBB1869_230:
	flat_store_b64 v[0:1], v[19:20] offset:8
	s_or_b32 exec_lo, exec_lo, s3
	s_and_saveexec_b32 s1, s2
	s_cbranch_execnz .LBB1869_212
	s_branch .LBB1869_213
.Lfunc_end1869:
	.size	_ZN7rocprim17ROCPRIM_400000_NS6detail26segmented_warp_sort_helperINS1_20WarpSortHelperConfigILj8ELj4ELj256EEE6__halflLi256ELb0EvE4sortIPKS5_PS5_PKlPlEEvT_SA_T0_T1_SD_T2_bjjjjRNS6_12storage_typeE, .Lfunc_end1869-_ZN7rocprim17ROCPRIM_400000_NS6detail26segmented_warp_sort_helperINS1_20WarpSortHelperConfigILj8ELj4ELj256EEE6__halflLi256ELb0EvE4sortIPKS5_PS5_PKlPlEEvT_SA_T0_T1_SD_T2_bjjjjRNS6_12storage_typeE
                                        ; -- End function
	.section	.AMDGPU.csdata,"",@progbits
; Function info:
; codeLenInByte = 13948
; NumSgprs: 34
; NumVgprs: 70
; ScratchSize: 0
; MemoryBound: 1
	.section	.text._ZN7rocprim17ROCPRIM_400000_NS6detail17trampoline_kernelINS0_14default_configENS1_36segmented_radix_sort_config_selectorI6__halflEEZNS1_25segmented_radix_sort_implIS3_Lb0EPKS5_PS5_PKlPlN2at6native12_GLOBAL__N_18offset_tEEE10hipError_tPvRmT1_PNSt15iterator_traitsISL_E10value_typeET2_T3_PNSM_ISR_E10value_typeET4_jRbjT5_SX_jjP12ihipStream_tbEUlT_E1_NS1_11comp_targetILNS1_3genE9ELNS1_11target_archE1100ELNS1_3gpuE3ELNS1_3repE0EEENS1_59segmented_radix_sort_warp_sort_small_config_static_selectorELNS0_4arch9wavefront6targetE0EEEvSL_,"axG",@progbits,_ZN7rocprim17ROCPRIM_400000_NS6detail17trampoline_kernelINS0_14default_configENS1_36segmented_radix_sort_config_selectorI6__halflEEZNS1_25segmented_radix_sort_implIS3_Lb0EPKS5_PS5_PKlPlN2at6native12_GLOBAL__N_18offset_tEEE10hipError_tPvRmT1_PNSt15iterator_traitsISL_E10value_typeET2_T3_PNSM_ISR_E10value_typeET4_jRbjT5_SX_jjP12ihipStream_tbEUlT_E1_NS1_11comp_targetILNS1_3genE9ELNS1_11target_archE1100ELNS1_3gpuE3ELNS1_3repE0EEENS1_59segmented_radix_sort_warp_sort_small_config_static_selectorELNS0_4arch9wavefront6targetE0EEEvSL_,comdat
	.globl	_ZN7rocprim17ROCPRIM_400000_NS6detail17trampoline_kernelINS0_14default_configENS1_36segmented_radix_sort_config_selectorI6__halflEEZNS1_25segmented_radix_sort_implIS3_Lb0EPKS5_PS5_PKlPlN2at6native12_GLOBAL__N_18offset_tEEE10hipError_tPvRmT1_PNSt15iterator_traitsISL_E10value_typeET2_T3_PNSM_ISR_E10value_typeET4_jRbjT5_SX_jjP12ihipStream_tbEUlT_E1_NS1_11comp_targetILNS1_3genE9ELNS1_11target_archE1100ELNS1_3gpuE3ELNS1_3repE0EEENS1_59segmented_radix_sort_warp_sort_small_config_static_selectorELNS0_4arch9wavefront6targetE0EEEvSL_ ; -- Begin function _ZN7rocprim17ROCPRIM_400000_NS6detail17trampoline_kernelINS0_14default_configENS1_36segmented_radix_sort_config_selectorI6__halflEEZNS1_25segmented_radix_sort_implIS3_Lb0EPKS5_PS5_PKlPlN2at6native12_GLOBAL__N_18offset_tEEE10hipError_tPvRmT1_PNSt15iterator_traitsISL_E10value_typeET2_T3_PNSM_ISR_E10value_typeET4_jRbjT5_SX_jjP12ihipStream_tbEUlT_E1_NS1_11comp_targetILNS1_3genE9ELNS1_11target_archE1100ELNS1_3gpuE3ELNS1_3repE0EEENS1_59segmented_radix_sort_warp_sort_small_config_static_selectorELNS0_4arch9wavefront6targetE0EEEvSL_
	.p2align	8
	.type	_ZN7rocprim17ROCPRIM_400000_NS6detail17trampoline_kernelINS0_14default_configENS1_36segmented_radix_sort_config_selectorI6__halflEEZNS1_25segmented_radix_sort_implIS3_Lb0EPKS5_PS5_PKlPlN2at6native12_GLOBAL__N_18offset_tEEE10hipError_tPvRmT1_PNSt15iterator_traitsISL_E10value_typeET2_T3_PNSM_ISR_E10value_typeET4_jRbjT5_SX_jjP12ihipStream_tbEUlT_E1_NS1_11comp_targetILNS1_3genE9ELNS1_11target_archE1100ELNS1_3gpuE3ELNS1_3repE0EEENS1_59segmented_radix_sort_warp_sort_small_config_static_selectorELNS0_4arch9wavefront6targetE0EEEvSL_,@function
_ZN7rocprim17ROCPRIM_400000_NS6detail17trampoline_kernelINS0_14default_configENS1_36segmented_radix_sort_config_selectorI6__halflEEZNS1_25segmented_radix_sort_implIS3_Lb0EPKS5_PS5_PKlPlN2at6native12_GLOBAL__N_18offset_tEEE10hipError_tPvRmT1_PNSt15iterator_traitsISL_E10value_typeET2_T3_PNSM_ISR_E10value_typeET4_jRbjT5_SX_jjP12ihipStream_tbEUlT_E1_NS1_11comp_targetILNS1_3genE9ELNS1_11target_archE1100ELNS1_3gpuE3ELNS1_3repE0EEENS1_59segmented_radix_sort_warp_sort_small_config_static_selectorELNS0_4arch9wavefront6targetE0EEEvSL_: ; @_ZN7rocprim17ROCPRIM_400000_NS6detail17trampoline_kernelINS0_14default_configENS1_36segmented_radix_sort_config_selectorI6__halflEEZNS1_25segmented_radix_sort_implIS3_Lb0EPKS5_PS5_PKlPlN2at6native12_GLOBAL__N_18offset_tEEE10hipError_tPvRmT1_PNSt15iterator_traitsISL_E10value_typeET2_T3_PNSM_ISR_E10value_typeET4_jRbjT5_SX_jjP12ihipStream_tbEUlT_E1_NS1_11comp_targetILNS1_3genE9ELNS1_11target_archE1100ELNS1_3gpuE3ELNS1_3repE0EEENS1_59segmented_radix_sort_warp_sort_small_config_static_selectorELNS0_4arch9wavefront6targetE0EEEvSL_
; %bb.0:
	s_load_b32 s2, s[0:1], 0x64
	v_bfe_u32 v1, v0, 10, 10
	v_bfe_u32 v2, v0, 20, 10
	s_mov_b32 s32, 0
	s_waitcnt lgkmcnt(0)
	s_lshr_b32 s3, s2, 16
	s_and_b32 s2, s2, 0xffff
	v_mad_u32_u24 v4, v2, s3, v1
	v_and_b32_e32 v1, 0x3ff, v0
	s_load_b32 s3, s[0:1], 0x34
	s_delay_alu instid0(VALU_DEP_1) | instskip(SKIP_1) | instid1(VALU_DEP_1)
	v_mad_u64_u32 v[2:3], null, v4, s2, v[1:2]
	s_mov_b32 s2, exec_lo
	v_lshrrev_b32_e32 v1, 3, v2
	s_delay_alu instid0(VALU_DEP_1) | instskip(SKIP_1) | instid1(VALU_DEP_1)
	v_lshl_add_u32 v1, s14, 5, v1
	s_waitcnt lgkmcnt(0)
	v_cmpx_gt_u32_e64 s3, v1
	s_cbranch_execz .LBB1870_3
; %bb.1:
	s_clause 0x1
	s_load_b64 s[2:3], s[0:1], 0x38
	s_load_b128 s[4:7], s[0:1], 0x40
	v_mov_b32_e32 v2, 0
	s_delay_alu instid0(VALU_DEP_1) | instskip(SKIP_1) | instid1(VALU_DEP_1)
	v_lshlrev_b64 v[1:2], 2, v[1:2]
	s_waitcnt lgkmcnt(0)
	v_sub_co_u32 v1, vcc_lo, s2, v1
	s_delay_alu instid0(VALU_DEP_2) | instskip(SKIP_4) | instid1(VALU_DEP_2)
	v_sub_co_ci_u32_e32 v2, vcc_lo, s3, v2, vcc_lo
	global_load_b32 v1, v[1:2], off offset:-4
	s_waitcnt vmcnt(0)
	v_add_nc_u32_e32 v2, s5, v1
	v_add_nc_u32_e32 v1, s7, v1
	v_mul_lo_u32 v13, v2, s4
	s_delay_alu instid0(VALU_DEP_2) | instskip(NEXT) | instid1(VALU_DEP_1)
	v_mul_lo_u32 v14, v1, s6
	v_cmp_gt_u32_e32 vcc_lo, v14, v13
	s_and_b32 exec_lo, exec_lo, vcc_lo
	s_cbranch_execz .LBB1870_3
; %bb.2:
	s_clause 0x2
	s_load_b32 s10, s[0:1], 0x30
	s_load_b256 s[16:23], s[0:1], 0x0
	s_load_b128 s[4:7], s[0:1], 0x20
	s_add_u32 s8, s0, 0x58
	s_addc_u32 s9, s1, 0
	s_mov_b64 s[2:3], src_shared_base
	s_getpc_b64 s[0:1]
	s_add_u32 s0, s0, _ZN7rocprim17ROCPRIM_400000_NS6detail26segmented_warp_sort_helperINS1_20WarpSortHelperConfigILj8ELj4ELj256EEE6__halflLi256ELb0EvE4sortIPKS5_PS5_PKlPlEEvT_SA_T0_T1_SD_T2_bjjjjRNS6_12storage_typeE@rel32@lo+4
	s_addc_u32 s1, s1, _ZN7rocprim17ROCPRIM_400000_NS6detail26segmented_warp_sort_helperINS1_20WarpSortHelperConfigILj8ELj4ELj256EEE6__halflLi256ELb0EvE4sortIPKS5_PS5_PKlPlEEvT_SA_T0_T1_SD_T2_bjjjjRNS6_12storage_typeE@rel32@hi+12
	v_mov_b32_e32 v31, v0
	v_dual_mov_b32 v15, 0 :: v_dual_mov_b32 v16, s3
	s_mov_b32 s12, s14
	s_mov_b32 s13, s15
	s_waitcnt lgkmcnt(0)
	s_and_b32 s2, s10, 1
	v_dual_mov_b32 v0, s16 :: v_dual_mov_b32 v1, s17
	v_dual_mov_b32 v2, s18 :: v_dual_mov_b32 v3, s19
	;; [unrolled: 1-line block ×6, first 2 shown]
	v_mov_b32_e32 v12, s2
	s_swappc_b64 s[30:31], s[0:1]
.LBB1870_3:
	s_endpgm
	.section	.rodata,"a",@progbits
	.p2align	6, 0x0
	.amdhsa_kernel _ZN7rocprim17ROCPRIM_400000_NS6detail17trampoline_kernelINS0_14default_configENS1_36segmented_radix_sort_config_selectorI6__halflEEZNS1_25segmented_radix_sort_implIS3_Lb0EPKS5_PS5_PKlPlN2at6native12_GLOBAL__N_18offset_tEEE10hipError_tPvRmT1_PNSt15iterator_traitsISL_E10value_typeET2_T3_PNSM_ISR_E10value_typeET4_jRbjT5_SX_jjP12ihipStream_tbEUlT_E1_NS1_11comp_targetILNS1_3genE9ELNS1_11target_archE1100ELNS1_3gpuE3ELNS1_3repE0EEENS1_59segmented_radix_sort_warp_sort_small_config_static_selectorELNS0_4arch9wavefront6targetE0EEEvSL_
		.amdhsa_group_segment_fixed_size 10240
		.amdhsa_private_segment_fixed_size 0
		.amdhsa_kernarg_size 344
		.amdhsa_user_sgpr_count 14
		.amdhsa_user_sgpr_dispatch_ptr 0
		.amdhsa_user_sgpr_queue_ptr 0
		.amdhsa_user_sgpr_kernarg_segment_ptr 1
		.amdhsa_user_sgpr_dispatch_id 0
		.amdhsa_user_sgpr_private_segment_size 0
		.amdhsa_wavefront_size32 1
		.amdhsa_uses_dynamic_stack 0
		.amdhsa_enable_private_segment 0
		.amdhsa_system_sgpr_workgroup_id_x 1
		.amdhsa_system_sgpr_workgroup_id_y 1
		.amdhsa_system_sgpr_workgroup_id_z 0
		.amdhsa_system_sgpr_workgroup_info 0
		.amdhsa_system_vgpr_workitem_id 2
		.amdhsa_next_free_vgpr 70
		.amdhsa_next_free_sgpr 33
		.amdhsa_reserve_vcc 1
		.amdhsa_float_round_mode_32 0
		.amdhsa_float_round_mode_16_64 0
		.amdhsa_float_denorm_mode_32 3
		.amdhsa_float_denorm_mode_16_64 3
		.amdhsa_dx10_clamp 1
		.amdhsa_ieee_mode 1
		.amdhsa_fp16_overflow 0
		.amdhsa_workgroup_processor_mode 1
		.amdhsa_memory_ordered 1
		.amdhsa_forward_progress 0
		.amdhsa_shared_vgpr_count 0
		.amdhsa_exception_fp_ieee_invalid_op 0
		.amdhsa_exception_fp_denorm_src 0
		.amdhsa_exception_fp_ieee_div_zero 0
		.amdhsa_exception_fp_ieee_overflow 0
		.amdhsa_exception_fp_ieee_underflow 0
		.amdhsa_exception_fp_ieee_inexact 0
		.amdhsa_exception_int_div_zero 0
	.end_amdhsa_kernel
	.section	.text._ZN7rocprim17ROCPRIM_400000_NS6detail17trampoline_kernelINS0_14default_configENS1_36segmented_radix_sort_config_selectorI6__halflEEZNS1_25segmented_radix_sort_implIS3_Lb0EPKS5_PS5_PKlPlN2at6native12_GLOBAL__N_18offset_tEEE10hipError_tPvRmT1_PNSt15iterator_traitsISL_E10value_typeET2_T3_PNSM_ISR_E10value_typeET4_jRbjT5_SX_jjP12ihipStream_tbEUlT_E1_NS1_11comp_targetILNS1_3genE9ELNS1_11target_archE1100ELNS1_3gpuE3ELNS1_3repE0EEENS1_59segmented_radix_sort_warp_sort_small_config_static_selectorELNS0_4arch9wavefront6targetE0EEEvSL_,"axG",@progbits,_ZN7rocprim17ROCPRIM_400000_NS6detail17trampoline_kernelINS0_14default_configENS1_36segmented_radix_sort_config_selectorI6__halflEEZNS1_25segmented_radix_sort_implIS3_Lb0EPKS5_PS5_PKlPlN2at6native12_GLOBAL__N_18offset_tEEE10hipError_tPvRmT1_PNSt15iterator_traitsISL_E10value_typeET2_T3_PNSM_ISR_E10value_typeET4_jRbjT5_SX_jjP12ihipStream_tbEUlT_E1_NS1_11comp_targetILNS1_3genE9ELNS1_11target_archE1100ELNS1_3gpuE3ELNS1_3repE0EEENS1_59segmented_radix_sort_warp_sort_small_config_static_selectorELNS0_4arch9wavefront6targetE0EEEvSL_,comdat
.Lfunc_end1870:
	.size	_ZN7rocprim17ROCPRIM_400000_NS6detail17trampoline_kernelINS0_14default_configENS1_36segmented_radix_sort_config_selectorI6__halflEEZNS1_25segmented_radix_sort_implIS3_Lb0EPKS5_PS5_PKlPlN2at6native12_GLOBAL__N_18offset_tEEE10hipError_tPvRmT1_PNSt15iterator_traitsISL_E10value_typeET2_T3_PNSM_ISR_E10value_typeET4_jRbjT5_SX_jjP12ihipStream_tbEUlT_E1_NS1_11comp_targetILNS1_3genE9ELNS1_11target_archE1100ELNS1_3gpuE3ELNS1_3repE0EEENS1_59segmented_radix_sort_warp_sort_small_config_static_selectorELNS0_4arch9wavefront6targetE0EEEvSL_, .Lfunc_end1870-_ZN7rocprim17ROCPRIM_400000_NS6detail17trampoline_kernelINS0_14default_configENS1_36segmented_radix_sort_config_selectorI6__halflEEZNS1_25segmented_radix_sort_implIS3_Lb0EPKS5_PS5_PKlPlN2at6native12_GLOBAL__N_18offset_tEEE10hipError_tPvRmT1_PNSt15iterator_traitsISL_E10value_typeET2_T3_PNSM_ISR_E10value_typeET4_jRbjT5_SX_jjP12ihipStream_tbEUlT_E1_NS1_11comp_targetILNS1_3genE9ELNS1_11target_archE1100ELNS1_3gpuE3ELNS1_3repE0EEENS1_59segmented_radix_sort_warp_sort_small_config_static_selectorELNS0_4arch9wavefront6targetE0EEEvSL_
                                        ; -- End function
	.section	.AMDGPU.csdata,"",@progbits
; Kernel info:
; codeLenInByte = 376
; NumSgprs: 35
; NumVgprs: 70
; ScratchSize: 0
; MemoryBound: 0
; FloatMode: 240
; IeeeMode: 1
; LDSByteSize: 10240 bytes/workgroup (compile time only)
; SGPRBlocks: 4
; VGPRBlocks: 8
; NumSGPRsForWavesPerEU: 35
; NumVGPRsForWavesPerEU: 70
; Occupancy: 16
; WaveLimiterHint : 0
; COMPUTE_PGM_RSRC2:SCRATCH_EN: 0
; COMPUTE_PGM_RSRC2:USER_SGPR: 14
; COMPUTE_PGM_RSRC2:TRAP_HANDLER: 0
; COMPUTE_PGM_RSRC2:TGID_X_EN: 1
; COMPUTE_PGM_RSRC2:TGID_Y_EN: 1
; COMPUTE_PGM_RSRC2:TGID_Z_EN: 0
; COMPUTE_PGM_RSRC2:TIDIG_COMP_CNT: 2
	.section	.text._ZN7rocprim17ROCPRIM_400000_NS6detail17trampoline_kernelINS0_14default_configENS1_36segmented_radix_sort_config_selectorI6__halflEEZNS1_25segmented_radix_sort_implIS3_Lb0EPKS5_PS5_PKlPlN2at6native12_GLOBAL__N_18offset_tEEE10hipError_tPvRmT1_PNSt15iterator_traitsISL_E10value_typeET2_T3_PNSM_ISR_E10value_typeET4_jRbjT5_SX_jjP12ihipStream_tbEUlT_E1_NS1_11comp_targetILNS1_3genE8ELNS1_11target_archE1030ELNS1_3gpuE2ELNS1_3repE0EEENS1_59segmented_radix_sort_warp_sort_small_config_static_selectorELNS0_4arch9wavefront6targetE0EEEvSL_,"axG",@progbits,_ZN7rocprim17ROCPRIM_400000_NS6detail17trampoline_kernelINS0_14default_configENS1_36segmented_radix_sort_config_selectorI6__halflEEZNS1_25segmented_radix_sort_implIS3_Lb0EPKS5_PS5_PKlPlN2at6native12_GLOBAL__N_18offset_tEEE10hipError_tPvRmT1_PNSt15iterator_traitsISL_E10value_typeET2_T3_PNSM_ISR_E10value_typeET4_jRbjT5_SX_jjP12ihipStream_tbEUlT_E1_NS1_11comp_targetILNS1_3genE8ELNS1_11target_archE1030ELNS1_3gpuE2ELNS1_3repE0EEENS1_59segmented_radix_sort_warp_sort_small_config_static_selectorELNS0_4arch9wavefront6targetE0EEEvSL_,comdat
	.globl	_ZN7rocprim17ROCPRIM_400000_NS6detail17trampoline_kernelINS0_14default_configENS1_36segmented_radix_sort_config_selectorI6__halflEEZNS1_25segmented_radix_sort_implIS3_Lb0EPKS5_PS5_PKlPlN2at6native12_GLOBAL__N_18offset_tEEE10hipError_tPvRmT1_PNSt15iterator_traitsISL_E10value_typeET2_T3_PNSM_ISR_E10value_typeET4_jRbjT5_SX_jjP12ihipStream_tbEUlT_E1_NS1_11comp_targetILNS1_3genE8ELNS1_11target_archE1030ELNS1_3gpuE2ELNS1_3repE0EEENS1_59segmented_radix_sort_warp_sort_small_config_static_selectorELNS0_4arch9wavefront6targetE0EEEvSL_ ; -- Begin function _ZN7rocprim17ROCPRIM_400000_NS6detail17trampoline_kernelINS0_14default_configENS1_36segmented_radix_sort_config_selectorI6__halflEEZNS1_25segmented_radix_sort_implIS3_Lb0EPKS5_PS5_PKlPlN2at6native12_GLOBAL__N_18offset_tEEE10hipError_tPvRmT1_PNSt15iterator_traitsISL_E10value_typeET2_T3_PNSM_ISR_E10value_typeET4_jRbjT5_SX_jjP12ihipStream_tbEUlT_E1_NS1_11comp_targetILNS1_3genE8ELNS1_11target_archE1030ELNS1_3gpuE2ELNS1_3repE0EEENS1_59segmented_radix_sort_warp_sort_small_config_static_selectorELNS0_4arch9wavefront6targetE0EEEvSL_
	.p2align	8
	.type	_ZN7rocprim17ROCPRIM_400000_NS6detail17trampoline_kernelINS0_14default_configENS1_36segmented_radix_sort_config_selectorI6__halflEEZNS1_25segmented_radix_sort_implIS3_Lb0EPKS5_PS5_PKlPlN2at6native12_GLOBAL__N_18offset_tEEE10hipError_tPvRmT1_PNSt15iterator_traitsISL_E10value_typeET2_T3_PNSM_ISR_E10value_typeET4_jRbjT5_SX_jjP12ihipStream_tbEUlT_E1_NS1_11comp_targetILNS1_3genE8ELNS1_11target_archE1030ELNS1_3gpuE2ELNS1_3repE0EEENS1_59segmented_radix_sort_warp_sort_small_config_static_selectorELNS0_4arch9wavefront6targetE0EEEvSL_,@function
_ZN7rocprim17ROCPRIM_400000_NS6detail17trampoline_kernelINS0_14default_configENS1_36segmented_radix_sort_config_selectorI6__halflEEZNS1_25segmented_radix_sort_implIS3_Lb0EPKS5_PS5_PKlPlN2at6native12_GLOBAL__N_18offset_tEEE10hipError_tPvRmT1_PNSt15iterator_traitsISL_E10value_typeET2_T3_PNSM_ISR_E10value_typeET4_jRbjT5_SX_jjP12ihipStream_tbEUlT_E1_NS1_11comp_targetILNS1_3genE8ELNS1_11target_archE1030ELNS1_3gpuE2ELNS1_3repE0EEENS1_59segmented_radix_sort_warp_sort_small_config_static_selectorELNS0_4arch9wavefront6targetE0EEEvSL_: ; @_ZN7rocprim17ROCPRIM_400000_NS6detail17trampoline_kernelINS0_14default_configENS1_36segmented_radix_sort_config_selectorI6__halflEEZNS1_25segmented_radix_sort_implIS3_Lb0EPKS5_PS5_PKlPlN2at6native12_GLOBAL__N_18offset_tEEE10hipError_tPvRmT1_PNSt15iterator_traitsISL_E10value_typeET2_T3_PNSM_ISR_E10value_typeET4_jRbjT5_SX_jjP12ihipStream_tbEUlT_E1_NS1_11comp_targetILNS1_3genE8ELNS1_11target_archE1030ELNS1_3gpuE2ELNS1_3repE0EEENS1_59segmented_radix_sort_warp_sort_small_config_static_selectorELNS0_4arch9wavefront6targetE0EEEvSL_
; %bb.0:
	.section	.rodata,"a",@progbits
	.p2align	6, 0x0
	.amdhsa_kernel _ZN7rocprim17ROCPRIM_400000_NS6detail17trampoline_kernelINS0_14default_configENS1_36segmented_radix_sort_config_selectorI6__halflEEZNS1_25segmented_radix_sort_implIS3_Lb0EPKS5_PS5_PKlPlN2at6native12_GLOBAL__N_18offset_tEEE10hipError_tPvRmT1_PNSt15iterator_traitsISL_E10value_typeET2_T3_PNSM_ISR_E10value_typeET4_jRbjT5_SX_jjP12ihipStream_tbEUlT_E1_NS1_11comp_targetILNS1_3genE8ELNS1_11target_archE1030ELNS1_3gpuE2ELNS1_3repE0EEENS1_59segmented_radix_sort_warp_sort_small_config_static_selectorELNS0_4arch9wavefront6targetE0EEEvSL_
		.amdhsa_group_segment_fixed_size 0
		.amdhsa_private_segment_fixed_size 0
		.amdhsa_kernarg_size 88
		.amdhsa_user_sgpr_count 15
		.amdhsa_user_sgpr_dispatch_ptr 0
		.amdhsa_user_sgpr_queue_ptr 0
		.amdhsa_user_sgpr_kernarg_segment_ptr 1
		.amdhsa_user_sgpr_dispatch_id 0
		.amdhsa_user_sgpr_private_segment_size 0
		.amdhsa_wavefront_size32 1
		.amdhsa_uses_dynamic_stack 0
		.amdhsa_enable_private_segment 0
		.amdhsa_system_sgpr_workgroup_id_x 1
		.amdhsa_system_sgpr_workgroup_id_y 0
		.amdhsa_system_sgpr_workgroup_id_z 0
		.amdhsa_system_sgpr_workgroup_info 0
		.amdhsa_system_vgpr_workitem_id 0
		.amdhsa_next_free_vgpr 1
		.amdhsa_next_free_sgpr 1
		.amdhsa_reserve_vcc 0
		.amdhsa_float_round_mode_32 0
		.amdhsa_float_round_mode_16_64 0
		.amdhsa_float_denorm_mode_32 3
		.amdhsa_float_denorm_mode_16_64 3
		.amdhsa_dx10_clamp 1
		.amdhsa_ieee_mode 1
		.amdhsa_fp16_overflow 0
		.amdhsa_workgroup_processor_mode 1
		.amdhsa_memory_ordered 1
		.amdhsa_forward_progress 0
		.amdhsa_shared_vgpr_count 0
		.amdhsa_exception_fp_ieee_invalid_op 0
		.amdhsa_exception_fp_denorm_src 0
		.amdhsa_exception_fp_ieee_div_zero 0
		.amdhsa_exception_fp_ieee_overflow 0
		.amdhsa_exception_fp_ieee_underflow 0
		.amdhsa_exception_fp_ieee_inexact 0
		.amdhsa_exception_int_div_zero 0
	.end_amdhsa_kernel
	.section	.text._ZN7rocprim17ROCPRIM_400000_NS6detail17trampoline_kernelINS0_14default_configENS1_36segmented_radix_sort_config_selectorI6__halflEEZNS1_25segmented_radix_sort_implIS3_Lb0EPKS5_PS5_PKlPlN2at6native12_GLOBAL__N_18offset_tEEE10hipError_tPvRmT1_PNSt15iterator_traitsISL_E10value_typeET2_T3_PNSM_ISR_E10value_typeET4_jRbjT5_SX_jjP12ihipStream_tbEUlT_E1_NS1_11comp_targetILNS1_3genE8ELNS1_11target_archE1030ELNS1_3gpuE2ELNS1_3repE0EEENS1_59segmented_radix_sort_warp_sort_small_config_static_selectorELNS0_4arch9wavefront6targetE0EEEvSL_,"axG",@progbits,_ZN7rocprim17ROCPRIM_400000_NS6detail17trampoline_kernelINS0_14default_configENS1_36segmented_radix_sort_config_selectorI6__halflEEZNS1_25segmented_radix_sort_implIS3_Lb0EPKS5_PS5_PKlPlN2at6native12_GLOBAL__N_18offset_tEEE10hipError_tPvRmT1_PNSt15iterator_traitsISL_E10value_typeET2_T3_PNSM_ISR_E10value_typeET4_jRbjT5_SX_jjP12ihipStream_tbEUlT_E1_NS1_11comp_targetILNS1_3genE8ELNS1_11target_archE1030ELNS1_3gpuE2ELNS1_3repE0EEENS1_59segmented_radix_sort_warp_sort_small_config_static_selectorELNS0_4arch9wavefront6targetE0EEEvSL_,comdat
.Lfunc_end1871:
	.size	_ZN7rocprim17ROCPRIM_400000_NS6detail17trampoline_kernelINS0_14default_configENS1_36segmented_radix_sort_config_selectorI6__halflEEZNS1_25segmented_radix_sort_implIS3_Lb0EPKS5_PS5_PKlPlN2at6native12_GLOBAL__N_18offset_tEEE10hipError_tPvRmT1_PNSt15iterator_traitsISL_E10value_typeET2_T3_PNSM_ISR_E10value_typeET4_jRbjT5_SX_jjP12ihipStream_tbEUlT_E1_NS1_11comp_targetILNS1_3genE8ELNS1_11target_archE1030ELNS1_3gpuE2ELNS1_3repE0EEENS1_59segmented_radix_sort_warp_sort_small_config_static_selectorELNS0_4arch9wavefront6targetE0EEEvSL_, .Lfunc_end1871-_ZN7rocprim17ROCPRIM_400000_NS6detail17trampoline_kernelINS0_14default_configENS1_36segmented_radix_sort_config_selectorI6__halflEEZNS1_25segmented_radix_sort_implIS3_Lb0EPKS5_PS5_PKlPlN2at6native12_GLOBAL__N_18offset_tEEE10hipError_tPvRmT1_PNSt15iterator_traitsISL_E10value_typeET2_T3_PNSM_ISR_E10value_typeET4_jRbjT5_SX_jjP12ihipStream_tbEUlT_E1_NS1_11comp_targetILNS1_3genE8ELNS1_11target_archE1030ELNS1_3gpuE2ELNS1_3repE0EEENS1_59segmented_radix_sort_warp_sort_small_config_static_selectorELNS0_4arch9wavefront6targetE0EEEvSL_
                                        ; -- End function
	.section	.AMDGPU.csdata,"",@progbits
; Kernel info:
; codeLenInByte = 0
; NumSgprs: 0
; NumVgprs: 0
; ScratchSize: 0
; MemoryBound: 0
; FloatMode: 240
; IeeeMode: 1
; LDSByteSize: 0 bytes/workgroup (compile time only)
; SGPRBlocks: 0
; VGPRBlocks: 0
; NumSGPRsForWavesPerEU: 1
; NumVGPRsForWavesPerEU: 1
; Occupancy: 16
; WaveLimiterHint : 0
; COMPUTE_PGM_RSRC2:SCRATCH_EN: 0
; COMPUTE_PGM_RSRC2:USER_SGPR: 15
; COMPUTE_PGM_RSRC2:TRAP_HANDLER: 0
; COMPUTE_PGM_RSRC2:TGID_X_EN: 1
; COMPUTE_PGM_RSRC2:TGID_Y_EN: 0
; COMPUTE_PGM_RSRC2:TGID_Z_EN: 0
; COMPUTE_PGM_RSRC2:TIDIG_COMP_CNT: 0
	.section	.text._ZN7rocprim17ROCPRIM_400000_NS6detail17trampoline_kernelINS0_14default_configENS1_36segmented_radix_sort_config_selectorI6__halflEEZNS1_25segmented_radix_sort_implIS3_Lb0EPKS5_PS5_PKlPlN2at6native12_GLOBAL__N_18offset_tEEE10hipError_tPvRmT1_PNSt15iterator_traitsISL_E10value_typeET2_T3_PNSM_ISR_E10value_typeET4_jRbjT5_SX_jjP12ihipStream_tbEUlT_E2_NS1_11comp_targetILNS1_3genE0ELNS1_11target_archE4294967295ELNS1_3gpuE0ELNS1_3repE0EEENS1_30default_config_static_selectorELNS0_4arch9wavefront6targetE0EEEvSL_,"axG",@progbits,_ZN7rocprim17ROCPRIM_400000_NS6detail17trampoline_kernelINS0_14default_configENS1_36segmented_radix_sort_config_selectorI6__halflEEZNS1_25segmented_radix_sort_implIS3_Lb0EPKS5_PS5_PKlPlN2at6native12_GLOBAL__N_18offset_tEEE10hipError_tPvRmT1_PNSt15iterator_traitsISL_E10value_typeET2_T3_PNSM_ISR_E10value_typeET4_jRbjT5_SX_jjP12ihipStream_tbEUlT_E2_NS1_11comp_targetILNS1_3genE0ELNS1_11target_archE4294967295ELNS1_3gpuE0ELNS1_3repE0EEENS1_30default_config_static_selectorELNS0_4arch9wavefront6targetE0EEEvSL_,comdat
	.globl	_ZN7rocprim17ROCPRIM_400000_NS6detail17trampoline_kernelINS0_14default_configENS1_36segmented_radix_sort_config_selectorI6__halflEEZNS1_25segmented_radix_sort_implIS3_Lb0EPKS5_PS5_PKlPlN2at6native12_GLOBAL__N_18offset_tEEE10hipError_tPvRmT1_PNSt15iterator_traitsISL_E10value_typeET2_T3_PNSM_ISR_E10value_typeET4_jRbjT5_SX_jjP12ihipStream_tbEUlT_E2_NS1_11comp_targetILNS1_3genE0ELNS1_11target_archE4294967295ELNS1_3gpuE0ELNS1_3repE0EEENS1_30default_config_static_selectorELNS0_4arch9wavefront6targetE0EEEvSL_ ; -- Begin function _ZN7rocprim17ROCPRIM_400000_NS6detail17trampoline_kernelINS0_14default_configENS1_36segmented_radix_sort_config_selectorI6__halflEEZNS1_25segmented_radix_sort_implIS3_Lb0EPKS5_PS5_PKlPlN2at6native12_GLOBAL__N_18offset_tEEE10hipError_tPvRmT1_PNSt15iterator_traitsISL_E10value_typeET2_T3_PNSM_ISR_E10value_typeET4_jRbjT5_SX_jjP12ihipStream_tbEUlT_E2_NS1_11comp_targetILNS1_3genE0ELNS1_11target_archE4294967295ELNS1_3gpuE0ELNS1_3repE0EEENS1_30default_config_static_selectorELNS0_4arch9wavefront6targetE0EEEvSL_
	.p2align	8
	.type	_ZN7rocprim17ROCPRIM_400000_NS6detail17trampoline_kernelINS0_14default_configENS1_36segmented_radix_sort_config_selectorI6__halflEEZNS1_25segmented_radix_sort_implIS3_Lb0EPKS5_PS5_PKlPlN2at6native12_GLOBAL__N_18offset_tEEE10hipError_tPvRmT1_PNSt15iterator_traitsISL_E10value_typeET2_T3_PNSM_ISR_E10value_typeET4_jRbjT5_SX_jjP12ihipStream_tbEUlT_E2_NS1_11comp_targetILNS1_3genE0ELNS1_11target_archE4294967295ELNS1_3gpuE0ELNS1_3repE0EEENS1_30default_config_static_selectorELNS0_4arch9wavefront6targetE0EEEvSL_,@function
_ZN7rocprim17ROCPRIM_400000_NS6detail17trampoline_kernelINS0_14default_configENS1_36segmented_radix_sort_config_selectorI6__halflEEZNS1_25segmented_radix_sort_implIS3_Lb0EPKS5_PS5_PKlPlN2at6native12_GLOBAL__N_18offset_tEEE10hipError_tPvRmT1_PNSt15iterator_traitsISL_E10value_typeET2_T3_PNSM_ISR_E10value_typeET4_jRbjT5_SX_jjP12ihipStream_tbEUlT_E2_NS1_11comp_targetILNS1_3genE0ELNS1_11target_archE4294967295ELNS1_3gpuE0ELNS1_3repE0EEENS1_30default_config_static_selectorELNS0_4arch9wavefront6targetE0EEEvSL_: ; @_ZN7rocprim17ROCPRIM_400000_NS6detail17trampoline_kernelINS0_14default_configENS1_36segmented_radix_sort_config_selectorI6__halflEEZNS1_25segmented_radix_sort_implIS3_Lb0EPKS5_PS5_PKlPlN2at6native12_GLOBAL__N_18offset_tEEE10hipError_tPvRmT1_PNSt15iterator_traitsISL_E10value_typeET2_T3_PNSM_ISR_E10value_typeET4_jRbjT5_SX_jjP12ihipStream_tbEUlT_E2_NS1_11comp_targetILNS1_3genE0ELNS1_11target_archE4294967295ELNS1_3gpuE0ELNS1_3repE0EEENS1_30default_config_static_selectorELNS0_4arch9wavefront6targetE0EEEvSL_
; %bb.0:
	.section	.rodata,"a",@progbits
	.p2align	6, 0x0
	.amdhsa_kernel _ZN7rocprim17ROCPRIM_400000_NS6detail17trampoline_kernelINS0_14default_configENS1_36segmented_radix_sort_config_selectorI6__halflEEZNS1_25segmented_radix_sort_implIS3_Lb0EPKS5_PS5_PKlPlN2at6native12_GLOBAL__N_18offset_tEEE10hipError_tPvRmT1_PNSt15iterator_traitsISL_E10value_typeET2_T3_PNSM_ISR_E10value_typeET4_jRbjT5_SX_jjP12ihipStream_tbEUlT_E2_NS1_11comp_targetILNS1_3genE0ELNS1_11target_archE4294967295ELNS1_3gpuE0ELNS1_3repE0EEENS1_30default_config_static_selectorELNS0_4arch9wavefront6targetE0EEEvSL_
		.amdhsa_group_segment_fixed_size 0
		.amdhsa_private_segment_fixed_size 0
		.amdhsa_kernarg_size 80
		.amdhsa_user_sgpr_count 15
		.amdhsa_user_sgpr_dispatch_ptr 0
		.amdhsa_user_sgpr_queue_ptr 0
		.amdhsa_user_sgpr_kernarg_segment_ptr 1
		.amdhsa_user_sgpr_dispatch_id 0
		.amdhsa_user_sgpr_private_segment_size 0
		.amdhsa_wavefront_size32 1
		.amdhsa_uses_dynamic_stack 0
		.amdhsa_enable_private_segment 0
		.amdhsa_system_sgpr_workgroup_id_x 1
		.amdhsa_system_sgpr_workgroup_id_y 0
		.amdhsa_system_sgpr_workgroup_id_z 0
		.amdhsa_system_sgpr_workgroup_info 0
		.amdhsa_system_vgpr_workitem_id 0
		.amdhsa_next_free_vgpr 1
		.amdhsa_next_free_sgpr 1
		.amdhsa_reserve_vcc 0
		.amdhsa_float_round_mode_32 0
		.amdhsa_float_round_mode_16_64 0
		.amdhsa_float_denorm_mode_32 3
		.amdhsa_float_denorm_mode_16_64 3
		.amdhsa_dx10_clamp 1
		.amdhsa_ieee_mode 1
		.amdhsa_fp16_overflow 0
		.amdhsa_workgroup_processor_mode 1
		.amdhsa_memory_ordered 1
		.amdhsa_forward_progress 0
		.amdhsa_shared_vgpr_count 0
		.amdhsa_exception_fp_ieee_invalid_op 0
		.amdhsa_exception_fp_denorm_src 0
		.amdhsa_exception_fp_ieee_div_zero 0
		.amdhsa_exception_fp_ieee_overflow 0
		.amdhsa_exception_fp_ieee_underflow 0
		.amdhsa_exception_fp_ieee_inexact 0
		.amdhsa_exception_int_div_zero 0
	.end_amdhsa_kernel
	.section	.text._ZN7rocprim17ROCPRIM_400000_NS6detail17trampoline_kernelINS0_14default_configENS1_36segmented_radix_sort_config_selectorI6__halflEEZNS1_25segmented_radix_sort_implIS3_Lb0EPKS5_PS5_PKlPlN2at6native12_GLOBAL__N_18offset_tEEE10hipError_tPvRmT1_PNSt15iterator_traitsISL_E10value_typeET2_T3_PNSM_ISR_E10value_typeET4_jRbjT5_SX_jjP12ihipStream_tbEUlT_E2_NS1_11comp_targetILNS1_3genE0ELNS1_11target_archE4294967295ELNS1_3gpuE0ELNS1_3repE0EEENS1_30default_config_static_selectorELNS0_4arch9wavefront6targetE0EEEvSL_,"axG",@progbits,_ZN7rocprim17ROCPRIM_400000_NS6detail17trampoline_kernelINS0_14default_configENS1_36segmented_radix_sort_config_selectorI6__halflEEZNS1_25segmented_radix_sort_implIS3_Lb0EPKS5_PS5_PKlPlN2at6native12_GLOBAL__N_18offset_tEEE10hipError_tPvRmT1_PNSt15iterator_traitsISL_E10value_typeET2_T3_PNSM_ISR_E10value_typeET4_jRbjT5_SX_jjP12ihipStream_tbEUlT_E2_NS1_11comp_targetILNS1_3genE0ELNS1_11target_archE4294967295ELNS1_3gpuE0ELNS1_3repE0EEENS1_30default_config_static_selectorELNS0_4arch9wavefront6targetE0EEEvSL_,comdat
.Lfunc_end1872:
	.size	_ZN7rocprim17ROCPRIM_400000_NS6detail17trampoline_kernelINS0_14default_configENS1_36segmented_radix_sort_config_selectorI6__halflEEZNS1_25segmented_radix_sort_implIS3_Lb0EPKS5_PS5_PKlPlN2at6native12_GLOBAL__N_18offset_tEEE10hipError_tPvRmT1_PNSt15iterator_traitsISL_E10value_typeET2_T3_PNSM_ISR_E10value_typeET4_jRbjT5_SX_jjP12ihipStream_tbEUlT_E2_NS1_11comp_targetILNS1_3genE0ELNS1_11target_archE4294967295ELNS1_3gpuE0ELNS1_3repE0EEENS1_30default_config_static_selectorELNS0_4arch9wavefront6targetE0EEEvSL_, .Lfunc_end1872-_ZN7rocprim17ROCPRIM_400000_NS6detail17trampoline_kernelINS0_14default_configENS1_36segmented_radix_sort_config_selectorI6__halflEEZNS1_25segmented_radix_sort_implIS3_Lb0EPKS5_PS5_PKlPlN2at6native12_GLOBAL__N_18offset_tEEE10hipError_tPvRmT1_PNSt15iterator_traitsISL_E10value_typeET2_T3_PNSM_ISR_E10value_typeET4_jRbjT5_SX_jjP12ihipStream_tbEUlT_E2_NS1_11comp_targetILNS1_3genE0ELNS1_11target_archE4294967295ELNS1_3gpuE0ELNS1_3repE0EEENS1_30default_config_static_selectorELNS0_4arch9wavefront6targetE0EEEvSL_
                                        ; -- End function
	.section	.AMDGPU.csdata,"",@progbits
; Kernel info:
; codeLenInByte = 0
; NumSgprs: 0
; NumVgprs: 0
; ScratchSize: 0
; MemoryBound: 0
; FloatMode: 240
; IeeeMode: 1
; LDSByteSize: 0 bytes/workgroup (compile time only)
; SGPRBlocks: 0
; VGPRBlocks: 0
; NumSGPRsForWavesPerEU: 1
; NumVGPRsForWavesPerEU: 1
; Occupancy: 16
; WaveLimiterHint : 0
; COMPUTE_PGM_RSRC2:SCRATCH_EN: 0
; COMPUTE_PGM_RSRC2:USER_SGPR: 15
; COMPUTE_PGM_RSRC2:TRAP_HANDLER: 0
; COMPUTE_PGM_RSRC2:TGID_X_EN: 1
; COMPUTE_PGM_RSRC2:TGID_Y_EN: 0
; COMPUTE_PGM_RSRC2:TGID_Z_EN: 0
; COMPUTE_PGM_RSRC2:TIDIG_COMP_CNT: 0
	.section	.text._ZN7rocprim17ROCPRIM_400000_NS6detail17trampoline_kernelINS0_14default_configENS1_36segmented_radix_sort_config_selectorI6__halflEEZNS1_25segmented_radix_sort_implIS3_Lb0EPKS5_PS5_PKlPlN2at6native12_GLOBAL__N_18offset_tEEE10hipError_tPvRmT1_PNSt15iterator_traitsISL_E10value_typeET2_T3_PNSM_ISR_E10value_typeET4_jRbjT5_SX_jjP12ihipStream_tbEUlT_E2_NS1_11comp_targetILNS1_3genE5ELNS1_11target_archE942ELNS1_3gpuE9ELNS1_3repE0EEENS1_30default_config_static_selectorELNS0_4arch9wavefront6targetE0EEEvSL_,"axG",@progbits,_ZN7rocprim17ROCPRIM_400000_NS6detail17trampoline_kernelINS0_14default_configENS1_36segmented_radix_sort_config_selectorI6__halflEEZNS1_25segmented_radix_sort_implIS3_Lb0EPKS5_PS5_PKlPlN2at6native12_GLOBAL__N_18offset_tEEE10hipError_tPvRmT1_PNSt15iterator_traitsISL_E10value_typeET2_T3_PNSM_ISR_E10value_typeET4_jRbjT5_SX_jjP12ihipStream_tbEUlT_E2_NS1_11comp_targetILNS1_3genE5ELNS1_11target_archE942ELNS1_3gpuE9ELNS1_3repE0EEENS1_30default_config_static_selectorELNS0_4arch9wavefront6targetE0EEEvSL_,comdat
	.globl	_ZN7rocprim17ROCPRIM_400000_NS6detail17trampoline_kernelINS0_14default_configENS1_36segmented_radix_sort_config_selectorI6__halflEEZNS1_25segmented_radix_sort_implIS3_Lb0EPKS5_PS5_PKlPlN2at6native12_GLOBAL__N_18offset_tEEE10hipError_tPvRmT1_PNSt15iterator_traitsISL_E10value_typeET2_T3_PNSM_ISR_E10value_typeET4_jRbjT5_SX_jjP12ihipStream_tbEUlT_E2_NS1_11comp_targetILNS1_3genE5ELNS1_11target_archE942ELNS1_3gpuE9ELNS1_3repE0EEENS1_30default_config_static_selectorELNS0_4arch9wavefront6targetE0EEEvSL_ ; -- Begin function _ZN7rocprim17ROCPRIM_400000_NS6detail17trampoline_kernelINS0_14default_configENS1_36segmented_radix_sort_config_selectorI6__halflEEZNS1_25segmented_radix_sort_implIS3_Lb0EPKS5_PS5_PKlPlN2at6native12_GLOBAL__N_18offset_tEEE10hipError_tPvRmT1_PNSt15iterator_traitsISL_E10value_typeET2_T3_PNSM_ISR_E10value_typeET4_jRbjT5_SX_jjP12ihipStream_tbEUlT_E2_NS1_11comp_targetILNS1_3genE5ELNS1_11target_archE942ELNS1_3gpuE9ELNS1_3repE0EEENS1_30default_config_static_selectorELNS0_4arch9wavefront6targetE0EEEvSL_
	.p2align	8
	.type	_ZN7rocprim17ROCPRIM_400000_NS6detail17trampoline_kernelINS0_14default_configENS1_36segmented_radix_sort_config_selectorI6__halflEEZNS1_25segmented_radix_sort_implIS3_Lb0EPKS5_PS5_PKlPlN2at6native12_GLOBAL__N_18offset_tEEE10hipError_tPvRmT1_PNSt15iterator_traitsISL_E10value_typeET2_T3_PNSM_ISR_E10value_typeET4_jRbjT5_SX_jjP12ihipStream_tbEUlT_E2_NS1_11comp_targetILNS1_3genE5ELNS1_11target_archE942ELNS1_3gpuE9ELNS1_3repE0EEENS1_30default_config_static_selectorELNS0_4arch9wavefront6targetE0EEEvSL_,@function
_ZN7rocprim17ROCPRIM_400000_NS6detail17trampoline_kernelINS0_14default_configENS1_36segmented_radix_sort_config_selectorI6__halflEEZNS1_25segmented_radix_sort_implIS3_Lb0EPKS5_PS5_PKlPlN2at6native12_GLOBAL__N_18offset_tEEE10hipError_tPvRmT1_PNSt15iterator_traitsISL_E10value_typeET2_T3_PNSM_ISR_E10value_typeET4_jRbjT5_SX_jjP12ihipStream_tbEUlT_E2_NS1_11comp_targetILNS1_3genE5ELNS1_11target_archE942ELNS1_3gpuE9ELNS1_3repE0EEENS1_30default_config_static_selectorELNS0_4arch9wavefront6targetE0EEEvSL_: ; @_ZN7rocprim17ROCPRIM_400000_NS6detail17trampoline_kernelINS0_14default_configENS1_36segmented_radix_sort_config_selectorI6__halflEEZNS1_25segmented_radix_sort_implIS3_Lb0EPKS5_PS5_PKlPlN2at6native12_GLOBAL__N_18offset_tEEE10hipError_tPvRmT1_PNSt15iterator_traitsISL_E10value_typeET2_T3_PNSM_ISR_E10value_typeET4_jRbjT5_SX_jjP12ihipStream_tbEUlT_E2_NS1_11comp_targetILNS1_3genE5ELNS1_11target_archE942ELNS1_3gpuE9ELNS1_3repE0EEENS1_30default_config_static_selectorELNS0_4arch9wavefront6targetE0EEEvSL_
; %bb.0:
	.section	.rodata,"a",@progbits
	.p2align	6, 0x0
	.amdhsa_kernel _ZN7rocprim17ROCPRIM_400000_NS6detail17trampoline_kernelINS0_14default_configENS1_36segmented_radix_sort_config_selectorI6__halflEEZNS1_25segmented_radix_sort_implIS3_Lb0EPKS5_PS5_PKlPlN2at6native12_GLOBAL__N_18offset_tEEE10hipError_tPvRmT1_PNSt15iterator_traitsISL_E10value_typeET2_T3_PNSM_ISR_E10value_typeET4_jRbjT5_SX_jjP12ihipStream_tbEUlT_E2_NS1_11comp_targetILNS1_3genE5ELNS1_11target_archE942ELNS1_3gpuE9ELNS1_3repE0EEENS1_30default_config_static_selectorELNS0_4arch9wavefront6targetE0EEEvSL_
		.amdhsa_group_segment_fixed_size 0
		.amdhsa_private_segment_fixed_size 0
		.amdhsa_kernarg_size 80
		.amdhsa_user_sgpr_count 15
		.amdhsa_user_sgpr_dispatch_ptr 0
		.amdhsa_user_sgpr_queue_ptr 0
		.amdhsa_user_sgpr_kernarg_segment_ptr 1
		.amdhsa_user_sgpr_dispatch_id 0
		.amdhsa_user_sgpr_private_segment_size 0
		.amdhsa_wavefront_size32 1
		.amdhsa_uses_dynamic_stack 0
		.amdhsa_enable_private_segment 0
		.amdhsa_system_sgpr_workgroup_id_x 1
		.amdhsa_system_sgpr_workgroup_id_y 0
		.amdhsa_system_sgpr_workgroup_id_z 0
		.amdhsa_system_sgpr_workgroup_info 0
		.amdhsa_system_vgpr_workitem_id 0
		.amdhsa_next_free_vgpr 1
		.amdhsa_next_free_sgpr 1
		.amdhsa_reserve_vcc 0
		.amdhsa_float_round_mode_32 0
		.amdhsa_float_round_mode_16_64 0
		.amdhsa_float_denorm_mode_32 3
		.amdhsa_float_denorm_mode_16_64 3
		.amdhsa_dx10_clamp 1
		.amdhsa_ieee_mode 1
		.amdhsa_fp16_overflow 0
		.amdhsa_workgroup_processor_mode 1
		.amdhsa_memory_ordered 1
		.amdhsa_forward_progress 0
		.amdhsa_shared_vgpr_count 0
		.amdhsa_exception_fp_ieee_invalid_op 0
		.amdhsa_exception_fp_denorm_src 0
		.amdhsa_exception_fp_ieee_div_zero 0
		.amdhsa_exception_fp_ieee_overflow 0
		.amdhsa_exception_fp_ieee_underflow 0
		.amdhsa_exception_fp_ieee_inexact 0
		.amdhsa_exception_int_div_zero 0
	.end_amdhsa_kernel
	.section	.text._ZN7rocprim17ROCPRIM_400000_NS6detail17trampoline_kernelINS0_14default_configENS1_36segmented_radix_sort_config_selectorI6__halflEEZNS1_25segmented_radix_sort_implIS3_Lb0EPKS5_PS5_PKlPlN2at6native12_GLOBAL__N_18offset_tEEE10hipError_tPvRmT1_PNSt15iterator_traitsISL_E10value_typeET2_T3_PNSM_ISR_E10value_typeET4_jRbjT5_SX_jjP12ihipStream_tbEUlT_E2_NS1_11comp_targetILNS1_3genE5ELNS1_11target_archE942ELNS1_3gpuE9ELNS1_3repE0EEENS1_30default_config_static_selectorELNS0_4arch9wavefront6targetE0EEEvSL_,"axG",@progbits,_ZN7rocprim17ROCPRIM_400000_NS6detail17trampoline_kernelINS0_14default_configENS1_36segmented_radix_sort_config_selectorI6__halflEEZNS1_25segmented_radix_sort_implIS3_Lb0EPKS5_PS5_PKlPlN2at6native12_GLOBAL__N_18offset_tEEE10hipError_tPvRmT1_PNSt15iterator_traitsISL_E10value_typeET2_T3_PNSM_ISR_E10value_typeET4_jRbjT5_SX_jjP12ihipStream_tbEUlT_E2_NS1_11comp_targetILNS1_3genE5ELNS1_11target_archE942ELNS1_3gpuE9ELNS1_3repE0EEENS1_30default_config_static_selectorELNS0_4arch9wavefront6targetE0EEEvSL_,comdat
.Lfunc_end1873:
	.size	_ZN7rocprim17ROCPRIM_400000_NS6detail17trampoline_kernelINS0_14default_configENS1_36segmented_radix_sort_config_selectorI6__halflEEZNS1_25segmented_radix_sort_implIS3_Lb0EPKS5_PS5_PKlPlN2at6native12_GLOBAL__N_18offset_tEEE10hipError_tPvRmT1_PNSt15iterator_traitsISL_E10value_typeET2_T3_PNSM_ISR_E10value_typeET4_jRbjT5_SX_jjP12ihipStream_tbEUlT_E2_NS1_11comp_targetILNS1_3genE5ELNS1_11target_archE942ELNS1_3gpuE9ELNS1_3repE0EEENS1_30default_config_static_selectorELNS0_4arch9wavefront6targetE0EEEvSL_, .Lfunc_end1873-_ZN7rocprim17ROCPRIM_400000_NS6detail17trampoline_kernelINS0_14default_configENS1_36segmented_radix_sort_config_selectorI6__halflEEZNS1_25segmented_radix_sort_implIS3_Lb0EPKS5_PS5_PKlPlN2at6native12_GLOBAL__N_18offset_tEEE10hipError_tPvRmT1_PNSt15iterator_traitsISL_E10value_typeET2_T3_PNSM_ISR_E10value_typeET4_jRbjT5_SX_jjP12ihipStream_tbEUlT_E2_NS1_11comp_targetILNS1_3genE5ELNS1_11target_archE942ELNS1_3gpuE9ELNS1_3repE0EEENS1_30default_config_static_selectorELNS0_4arch9wavefront6targetE0EEEvSL_
                                        ; -- End function
	.section	.AMDGPU.csdata,"",@progbits
; Kernel info:
; codeLenInByte = 0
; NumSgprs: 0
; NumVgprs: 0
; ScratchSize: 0
; MemoryBound: 0
; FloatMode: 240
; IeeeMode: 1
; LDSByteSize: 0 bytes/workgroup (compile time only)
; SGPRBlocks: 0
; VGPRBlocks: 0
; NumSGPRsForWavesPerEU: 1
; NumVGPRsForWavesPerEU: 1
; Occupancy: 16
; WaveLimiterHint : 0
; COMPUTE_PGM_RSRC2:SCRATCH_EN: 0
; COMPUTE_PGM_RSRC2:USER_SGPR: 15
; COMPUTE_PGM_RSRC2:TRAP_HANDLER: 0
; COMPUTE_PGM_RSRC2:TGID_X_EN: 1
; COMPUTE_PGM_RSRC2:TGID_Y_EN: 0
; COMPUTE_PGM_RSRC2:TGID_Z_EN: 0
; COMPUTE_PGM_RSRC2:TIDIG_COMP_CNT: 0
	.section	.text._ZN7rocprim17ROCPRIM_400000_NS6detail17trampoline_kernelINS0_14default_configENS1_36segmented_radix_sort_config_selectorI6__halflEEZNS1_25segmented_radix_sort_implIS3_Lb0EPKS5_PS5_PKlPlN2at6native12_GLOBAL__N_18offset_tEEE10hipError_tPvRmT1_PNSt15iterator_traitsISL_E10value_typeET2_T3_PNSM_ISR_E10value_typeET4_jRbjT5_SX_jjP12ihipStream_tbEUlT_E2_NS1_11comp_targetILNS1_3genE4ELNS1_11target_archE910ELNS1_3gpuE8ELNS1_3repE0EEENS1_30default_config_static_selectorELNS0_4arch9wavefront6targetE0EEEvSL_,"axG",@progbits,_ZN7rocprim17ROCPRIM_400000_NS6detail17trampoline_kernelINS0_14default_configENS1_36segmented_radix_sort_config_selectorI6__halflEEZNS1_25segmented_radix_sort_implIS3_Lb0EPKS5_PS5_PKlPlN2at6native12_GLOBAL__N_18offset_tEEE10hipError_tPvRmT1_PNSt15iterator_traitsISL_E10value_typeET2_T3_PNSM_ISR_E10value_typeET4_jRbjT5_SX_jjP12ihipStream_tbEUlT_E2_NS1_11comp_targetILNS1_3genE4ELNS1_11target_archE910ELNS1_3gpuE8ELNS1_3repE0EEENS1_30default_config_static_selectorELNS0_4arch9wavefront6targetE0EEEvSL_,comdat
	.globl	_ZN7rocprim17ROCPRIM_400000_NS6detail17trampoline_kernelINS0_14default_configENS1_36segmented_radix_sort_config_selectorI6__halflEEZNS1_25segmented_radix_sort_implIS3_Lb0EPKS5_PS5_PKlPlN2at6native12_GLOBAL__N_18offset_tEEE10hipError_tPvRmT1_PNSt15iterator_traitsISL_E10value_typeET2_T3_PNSM_ISR_E10value_typeET4_jRbjT5_SX_jjP12ihipStream_tbEUlT_E2_NS1_11comp_targetILNS1_3genE4ELNS1_11target_archE910ELNS1_3gpuE8ELNS1_3repE0EEENS1_30default_config_static_selectorELNS0_4arch9wavefront6targetE0EEEvSL_ ; -- Begin function _ZN7rocprim17ROCPRIM_400000_NS6detail17trampoline_kernelINS0_14default_configENS1_36segmented_radix_sort_config_selectorI6__halflEEZNS1_25segmented_radix_sort_implIS3_Lb0EPKS5_PS5_PKlPlN2at6native12_GLOBAL__N_18offset_tEEE10hipError_tPvRmT1_PNSt15iterator_traitsISL_E10value_typeET2_T3_PNSM_ISR_E10value_typeET4_jRbjT5_SX_jjP12ihipStream_tbEUlT_E2_NS1_11comp_targetILNS1_3genE4ELNS1_11target_archE910ELNS1_3gpuE8ELNS1_3repE0EEENS1_30default_config_static_selectorELNS0_4arch9wavefront6targetE0EEEvSL_
	.p2align	8
	.type	_ZN7rocprim17ROCPRIM_400000_NS6detail17trampoline_kernelINS0_14default_configENS1_36segmented_radix_sort_config_selectorI6__halflEEZNS1_25segmented_radix_sort_implIS3_Lb0EPKS5_PS5_PKlPlN2at6native12_GLOBAL__N_18offset_tEEE10hipError_tPvRmT1_PNSt15iterator_traitsISL_E10value_typeET2_T3_PNSM_ISR_E10value_typeET4_jRbjT5_SX_jjP12ihipStream_tbEUlT_E2_NS1_11comp_targetILNS1_3genE4ELNS1_11target_archE910ELNS1_3gpuE8ELNS1_3repE0EEENS1_30default_config_static_selectorELNS0_4arch9wavefront6targetE0EEEvSL_,@function
_ZN7rocprim17ROCPRIM_400000_NS6detail17trampoline_kernelINS0_14default_configENS1_36segmented_radix_sort_config_selectorI6__halflEEZNS1_25segmented_radix_sort_implIS3_Lb0EPKS5_PS5_PKlPlN2at6native12_GLOBAL__N_18offset_tEEE10hipError_tPvRmT1_PNSt15iterator_traitsISL_E10value_typeET2_T3_PNSM_ISR_E10value_typeET4_jRbjT5_SX_jjP12ihipStream_tbEUlT_E2_NS1_11comp_targetILNS1_3genE4ELNS1_11target_archE910ELNS1_3gpuE8ELNS1_3repE0EEENS1_30default_config_static_selectorELNS0_4arch9wavefront6targetE0EEEvSL_: ; @_ZN7rocprim17ROCPRIM_400000_NS6detail17trampoline_kernelINS0_14default_configENS1_36segmented_radix_sort_config_selectorI6__halflEEZNS1_25segmented_radix_sort_implIS3_Lb0EPKS5_PS5_PKlPlN2at6native12_GLOBAL__N_18offset_tEEE10hipError_tPvRmT1_PNSt15iterator_traitsISL_E10value_typeET2_T3_PNSM_ISR_E10value_typeET4_jRbjT5_SX_jjP12ihipStream_tbEUlT_E2_NS1_11comp_targetILNS1_3genE4ELNS1_11target_archE910ELNS1_3gpuE8ELNS1_3repE0EEENS1_30default_config_static_selectorELNS0_4arch9wavefront6targetE0EEEvSL_
; %bb.0:
	.section	.rodata,"a",@progbits
	.p2align	6, 0x0
	.amdhsa_kernel _ZN7rocprim17ROCPRIM_400000_NS6detail17trampoline_kernelINS0_14default_configENS1_36segmented_radix_sort_config_selectorI6__halflEEZNS1_25segmented_radix_sort_implIS3_Lb0EPKS5_PS5_PKlPlN2at6native12_GLOBAL__N_18offset_tEEE10hipError_tPvRmT1_PNSt15iterator_traitsISL_E10value_typeET2_T3_PNSM_ISR_E10value_typeET4_jRbjT5_SX_jjP12ihipStream_tbEUlT_E2_NS1_11comp_targetILNS1_3genE4ELNS1_11target_archE910ELNS1_3gpuE8ELNS1_3repE0EEENS1_30default_config_static_selectorELNS0_4arch9wavefront6targetE0EEEvSL_
		.amdhsa_group_segment_fixed_size 0
		.amdhsa_private_segment_fixed_size 0
		.amdhsa_kernarg_size 80
		.amdhsa_user_sgpr_count 15
		.amdhsa_user_sgpr_dispatch_ptr 0
		.amdhsa_user_sgpr_queue_ptr 0
		.amdhsa_user_sgpr_kernarg_segment_ptr 1
		.amdhsa_user_sgpr_dispatch_id 0
		.amdhsa_user_sgpr_private_segment_size 0
		.amdhsa_wavefront_size32 1
		.amdhsa_uses_dynamic_stack 0
		.amdhsa_enable_private_segment 0
		.amdhsa_system_sgpr_workgroup_id_x 1
		.amdhsa_system_sgpr_workgroup_id_y 0
		.amdhsa_system_sgpr_workgroup_id_z 0
		.amdhsa_system_sgpr_workgroup_info 0
		.amdhsa_system_vgpr_workitem_id 0
		.amdhsa_next_free_vgpr 1
		.amdhsa_next_free_sgpr 1
		.amdhsa_reserve_vcc 0
		.amdhsa_float_round_mode_32 0
		.amdhsa_float_round_mode_16_64 0
		.amdhsa_float_denorm_mode_32 3
		.amdhsa_float_denorm_mode_16_64 3
		.amdhsa_dx10_clamp 1
		.amdhsa_ieee_mode 1
		.amdhsa_fp16_overflow 0
		.amdhsa_workgroup_processor_mode 1
		.amdhsa_memory_ordered 1
		.amdhsa_forward_progress 0
		.amdhsa_shared_vgpr_count 0
		.amdhsa_exception_fp_ieee_invalid_op 0
		.amdhsa_exception_fp_denorm_src 0
		.amdhsa_exception_fp_ieee_div_zero 0
		.amdhsa_exception_fp_ieee_overflow 0
		.amdhsa_exception_fp_ieee_underflow 0
		.amdhsa_exception_fp_ieee_inexact 0
		.amdhsa_exception_int_div_zero 0
	.end_amdhsa_kernel
	.section	.text._ZN7rocprim17ROCPRIM_400000_NS6detail17trampoline_kernelINS0_14default_configENS1_36segmented_radix_sort_config_selectorI6__halflEEZNS1_25segmented_radix_sort_implIS3_Lb0EPKS5_PS5_PKlPlN2at6native12_GLOBAL__N_18offset_tEEE10hipError_tPvRmT1_PNSt15iterator_traitsISL_E10value_typeET2_T3_PNSM_ISR_E10value_typeET4_jRbjT5_SX_jjP12ihipStream_tbEUlT_E2_NS1_11comp_targetILNS1_3genE4ELNS1_11target_archE910ELNS1_3gpuE8ELNS1_3repE0EEENS1_30default_config_static_selectorELNS0_4arch9wavefront6targetE0EEEvSL_,"axG",@progbits,_ZN7rocprim17ROCPRIM_400000_NS6detail17trampoline_kernelINS0_14default_configENS1_36segmented_radix_sort_config_selectorI6__halflEEZNS1_25segmented_radix_sort_implIS3_Lb0EPKS5_PS5_PKlPlN2at6native12_GLOBAL__N_18offset_tEEE10hipError_tPvRmT1_PNSt15iterator_traitsISL_E10value_typeET2_T3_PNSM_ISR_E10value_typeET4_jRbjT5_SX_jjP12ihipStream_tbEUlT_E2_NS1_11comp_targetILNS1_3genE4ELNS1_11target_archE910ELNS1_3gpuE8ELNS1_3repE0EEENS1_30default_config_static_selectorELNS0_4arch9wavefront6targetE0EEEvSL_,comdat
.Lfunc_end1874:
	.size	_ZN7rocprim17ROCPRIM_400000_NS6detail17trampoline_kernelINS0_14default_configENS1_36segmented_radix_sort_config_selectorI6__halflEEZNS1_25segmented_radix_sort_implIS3_Lb0EPKS5_PS5_PKlPlN2at6native12_GLOBAL__N_18offset_tEEE10hipError_tPvRmT1_PNSt15iterator_traitsISL_E10value_typeET2_T3_PNSM_ISR_E10value_typeET4_jRbjT5_SX_jjP12ihipStream_tbEUlT_E2_NS1_11comp_targetILNS1_3genE4ELNS1_11target_archE910ELNS1_3gpuE8ELNS1_3repE0EEENS1_30default_config_static_selectorELNS0_4arch9wavefront6targetE0EEEvSL_, .Lfunc_end1874-_ZN7rocprim17ROCPRIM_400000_NS6detail17trampoline_kernelINS0_14default_configENS1_36segmented_radix_sort_config_selectorI6__halflEEZNS1_25segmented_radix_sort_implIS3_Lb0EPKS5_PS5_PKlPlN2at6native12_GLOBAL__N_18offset_tEEE10hipError_tPvRmT1_PNSt15iterator_traitsISL_E10value_typeET2_T3_PNSM_ISR_E10value_typeET4_jRbjT5_SX_jjP12ihipStream_tbEUlT_E2_NS1_11comp_targetILNS1_3genE4ELNS1_11target_archE910ELNS1_3gpuE8ELNS1_3repE0EEENS1_30default_config_static_selectorELNS0_4arch9wavefront6targetE0EEEvSL_
                                        ; -- End function
	.section	.AMDGPU.csdata,"",@progbits
; Kernel info:
; codeLenInByte = 0
; NumSgprs: 0
; NumVgprs: 0
; ScratchSize: 0
; MemoryBound: 0
; FloatMode: 240
; IeeeMode: 1
; LDSByteSize: 0 bytes/workgroup (compile time only)
; SGPRBlocks: 0
; VGPRBlocks: 0
; NumSGPRsForWavesPerEU: 1
; NumVGPRsForWavesPerEU: 1
; Occupancy: 16
; WaveLimiterHint : 0
; COMPUTE_PGM_RSRC2:SCRATCH_EN: 0
; COMPUTE_PGM_RSRC2:USER_SGPR: 15
; COMPUTE_PGM_RSRC2:TRAP_HANDLER: 0
; COMPUTE_PGM_RSRC2:TGID_X_EN: 1
; COMPUTE_PGM_RSRC2:TGID_Y_EN: 0
; COMPUTE_PGM_RSRC2:TGID_Z_EN: 0
; COMPUTE_PGM_RSRC2:TIDIG_COMP_CNT: 0
	.section	.text._ZN7rocprim17ROCPRIM_400000_NS6detail17trampoline_kernelINS0_14default_configENS1_36segmented_radix_sort_config_selectorI6__halflEEZNS1_25segmented_radix_sort_implIS3_Lb0EPKS5_PS5_PKlPlN2at6native12_GLOBAL__N_18offset_tEEE10hipError_tPvRmT1_PNSt15iterator_traitsISL_E10value_typeET2_T3_PNSM_ISR_E10value_typeET4_jRbjT5_SX_jjP12ihipStream_tbEUlT_E2_NS1_11comp_targetILNS1_3genE3ELNS1_11target_archE908ELNS1_3gpuE7ELNS1_3repE0EEENS1_30default_config_static_selectorELNS0_4arch9wavefront6targetE0EEEvSL_,"axG",@progbits,_ZN7rocprim17ROCPRIM_400000_NS6detail17trampoline_kernelINS0_14default_configENS1_36segmented_radix_sort_config_selectorI6__halflEEZNS1_25segmented_radix_sort_implIS3_Lb0EPKS5_PS5_PKlPlN2at6native12_GLOBAL__N_18offset_tEEE10hipError_tPvRmT1_PNSt15iterator_traitsISL_E10value_typeET2_T3_PNSM_ISR_E10value_typeET4_jRbjT5_SX_jjP12ihipStream_tbEUlT_E2_NS1_11comp_targetILNS1_3genE3ELNS1_11target_archE908ELNS1_3gpuE7ELNS1_3repE0EEENS1_30default_config_static_selectorELNS0_4arch9wavefront6targetE0EEEvSL_,comdat
	.globl	_ZN7rocprim17ROCPRIM_400000_NS6detail17trampoline_kernelINS0_14default_configENS1_36segmented_radix_sort_config_selectorI6__halflEEZNS1_25segmented_radix_sort_implIS3_Lb0EPKS5_PS5_PKlPlN2at6native12_GLOBAL__N_18offset_tEEE10hipError_tPvRmT1_PNSt15iterator_traitsISL_E10value_typeET2_T3_PNSM_ISR_E10value_typeET4_jRbjT5_SX_jjP12ihipStream_tbEUlT_E2_NS1_11comp_targetILNS1_3genE3ELNS1_11target_archE908ELNS1_3gpuE7ELNS1_3repE0EEENS1_30default_config_static_selectorELNS0_4arch9wavefront6targetE0EEEvSL_ ; -- Begin function _ZN7rocprim17ROCPRIM_400000_NS6detail17trampoline_kernelINS0_14default_configENS1_36segmented_radix_sort_config_selectorI6__halflEEZNS1_25segmented_radix_sort_implIS3_Lb0EPKS5_PS5_PKlPlN2at6native12_GLOBAL__N_18offset_tEEE10hipError_tPvRmT1_PNSt15iterator_traitsISL_E10value_typeET2_T3_PNSM_ISR_E10value_typeET4_jRbjT5_SX_jjP12ihipStream_tbEUlT_E2_NS1_11comp_targetILNS1_3genE3ELNS1_11target_archE908ELNS1_3gpuE7ELNS1_3repE0EEENS1_30default_config_static_selectorELNS0_4arch9wavefront6targetE0EEEvSL_
	.p2align	8
	.type	_ZN7rocprim17ROCPRIM_400000_NS6detail17trampoline_kernelINS0_14default_configENS1_36segmented_radix_sort_config_selectorI6__halflEEZNS1_25segmented_radix_sort_implIS3_Lb0EPKS5_PS5_PKlPlN2at6native12_GLOBAL__N_18offset_tEEE10hipError_tPvRmT1_PNSt15iterator_traitsISL_E10value_typeET2_T3_PNSM_ISR_E10value_typeET4_jRbjT5_SX_jjP12ihipStream_tbEUlT_E2_NS1_11comp_targetILNS1_3genE3ELNS1_11target_archE908ELNS1_3gpuE7ELNS1_3repE0EEENS1_30default_config_static_selectorELNS0_4arch9wavefront6targetE0EEEvSL_,@function
_ZN7rocprim17ROCPRIM_400000_NS6detail17trampoline_kernelINS0_14default_configENS1_36segmented_radix_sort_config_selectorI6__halflEEZNS1_25segmented_radix_sort_implIS3_Lb0EPKS5_PS5_PKlPlN2at6native12_GLOBAL__N_18offset_tEEE10hipError_tPvRmT1_PNSt15iterator_traitsISL_E10value_typeET2_T3_PNSM_ISR_E10value_typeET4_jRbjT5_SX_jjP12ihipStream_tbEUlT_E2_NS1_11comp_targetILNS1_3genE3ELNS1_11target_archE908ELNS1_3gpuE7ELNS1_3repE0EEENS1_30default_config_static_selectorELNS0_4arch9wavefront6targetE0EEEvSL_: ; @_ZN7rocprim17ROCPRIM_400000_NS6detail17trampoline_kernelINS0_14default_configENS1_36segmented_radix_sort_config_selectorI6__halflEEZNS1_25segmented_radix_sort_implIS3_Lb0EPKS5_PS5_PKlPlN2at6native12_GLOBAL__N_18offset_tEEE10hipError_tPvRmT1_PNSt15iterator_traitsISL_E10value_typeET2_T3_PNSM_ISR_E10value_typeET4_jRbjT5_SX_jjP12ihipStream_tbEUlT_E2_NS1_11comp_targetILNS1_3genE3ELNS1_11target_archE908ELNS1_3gpuE7ELNS1_3repE0EEENS1_30default_config_static_selectorELNS0_4arch9wavefront6targetE0EEEvSL_
; %bb.0:
	.section	.rodata,"a",@progbits
	.p2align	6, 0x0
	.amdhsa_kernel _ZN7rocprim17ROCPRIM_400000_NS6detail17trampoline_kernelINS0_14default_configENS1_36segmented_radix_sort_config_selectorI6__halflEEZNS1_25segmented_radix_sort_implIS3_Lb0EPKS5_PS5_PKlPlN2at6native12_GLOBAL__N_18offset_tEEE10hipError_tPvRmT1_PNSt15iterator_traitsISL_E10value_typeET2_T3_PNSM_ISR_E10value_typeET4_jRbjT5_SX_jjP12ihipStream_tbEUlT_E2_NS1_11comp_targetILNS1_3genE3ELNS1_11target_archE908ELNS1_3gpuE7ELNS1_3repE0EEENS1_30default_config_static_selectorELNS0_4arch9wavefront6targetE0EEEvSL_
		.amdhsa_group_segment_fixed_size 0
		.amdhsa_private_segment_fixed_size 0
		.amdhsa_kernarg_size 80
		.amdhsa_user_sgpr_count 15
		.amdhsa_user_sgpr_dispatch_ptr 0
		.amdhsa_user_sgpr_queue_ptr 0
		.amdhsa_user_sgpr_kernarg_segment_ptr 1
		.amdhsa_user_sgpr_dispatch_id 0
		.amdhsa_user_sgpr_private_segment_size 0
		.amdhsa_wavefront_size32 1
		.amdhsa_uses_dynamic_stack 0
		.amdhsa_enable_private_segment 0
		.amdhsa_system_sgpr_workgroup_id_x 1
		.amdhsa_system_sgpr_workgroup_id_y 0
		.amdhsa_system_sgpr_workgroup_id_z 0
		.amdhsa_system_sgpr_workgroup_info 0
		.amdhsa_system_vgpr_workitem_id 0
		.amdhsa_next_free_vgpr 1
		.amdhsa_next_free_sgpr 1
		.amdhsa_reserve_vcc 0
		.amdhsa_float_round_mode_32 0
		.amdhsa_float_round_mode_16_64 0
		.amdhsa_float_denorm_mode_32 3
		.amdhsa_float_denorm_mode_16_64 3
		.amdhsa_dx10_clamp 1
		.amdhsa_ieee_mode 1
		.amdhsa_fp16_overflow 0
		.amdhsa_workgroup_processor_mode 1
		.amdhsa_memory_ordered 1
		.amdhsa_forward_progress 0
		.amdhsa_shared_vgpr_count 0
		.amdhsa_exception_fp_ieee_invalid_op 0
		.amdhsa_exception_fp_denorm_src 0
		.amdhsa_exception_fp_ieee_div_zero 0
		.amdhsa_exception_fp_ieee_overflow 0
		.amdhsa_exception_fp_ieee_underflow 0
		.amdhsa_exception_fp_ieee_inexact 0
		.amdhsa_exception_int_div_zero 0
	.end_amdhsa_kernel
	.section	.text._ZN7rocprim17ROCPRIM_400000_NS6detail17trampoline_kernelINS0_14default_configENS1_36segmented_radix_sort_config_selectorI6__halflEEZNS1_25segmented_radix_sort_implIS3_Lb0EPKS5_PS5_PKlPlN2at6native12_GLOBAL__N_18offset_tEEE10hipError_tPvRmT1_PNSt15iterator_traitsISL_E10value_typeET2_T3_PNSM_ISR_E10value_typeET4_jRbjT5_SX_jjP12ihipStream_tbEUlT_E2_NS1_11comp_targetILNS1_3genE3ELNS1_11target_archE908ELNS1_3gpuE7ELNS1_3repE0EEENS1_30default_config_static_selectorELNS0_4arch9wavefront6targetE0EEEvSL_,"axG",@progbits,_ZN7rocprim17ROCPRIM_400000_NS6detail17trampoline_kernelINS0_14default_configENS1_36segmented_radix_sort_config_selectorI6__halflEEZNS1_25segmented_radix_sort_implIS3_Lb0EPKS5_PS5_PKlPlN2at6native12_GLOBAL__N_18offset_tEEE10hipError_tPvRmT1_PNSt15iterator_traitsISL_E10value_typeET2_T3_PNSM_ISR_E10value_typeET4_jRbjT5_SX_jjP12ihipStream_tbEUlT_E2_NS1_11comp_targetILNS1_3genE3ELNS1_11target_archE908ELNS1_3gpuE7ELNS1_3repE0EEENS1_30default_config_static_selectorELNS0_4arch9wavefront6targetE0EEEvSL_,comdat
.Lfunc_end1875:
	.size	_ZN7rocprim17ROCPRIM_400000_NS6detail17trampoline_kernelINS0_14default_configENS1_36segmented_radix_sort_config_selectorI6__halflEEZNS1_25segmented_radix_sort_implIS3_Lb0EPKS5_PS5_PKlPlN2at6native12_GLOBAL__N_18offset_tEEE10hipError_tPvRmT1_PNSt15iterator_traitsISL_E10value_typeET2_T3_PNSM_ISR_E10value_typeET4_jRbjT5_SX_jjP12ihipStream_tbEUlT_E2_NS1_11comp_targetILNS1_3genE3ELNS1_11target_archE908ELNS1_3gpuE7ELNS1_3repE0EEENS1_30default_config_static_selectorELNS0_4arch9wavefront6targetE0EEEvSL_, .Lfunc_end1875-_ZN7rocprim17ROCPRIM_400000_NS6detail17trampoline_kernelINS0_14default_configENS1_36segmented_radix_sort_config_selectorI6__halflEEZNS1_25segmented_radix_sort_implIS3_Lb0EPKS5_PS5_PKlPlN2at6native12_GLOBAL__N_18offset_tEEE10hipError_tPvRmT1_PNSt15iterator_traitsISL_E10value_typeET2_T3_PNSM_ISR_E10value_typeET4_jRbjT5_SX_jjP12ihipStream_tbEUlT_E2_NS1_11comp_targetILNS1_3genE3ELNS1_11target_archE908ELNS1_3gpuE7ELNS1_3repE0EEENS1_30default_config_static_selectorELNS0_4arch9wavefront6targetE0EEEvSL_
                                        ; -- End function
	.section	.AMDGPU.csdata,"",@progbits
; Kernel info:
; codeLenInByte = 0
; NumSgprs: 0
; NumVgprs: 0
; ScratchSize: 0
; MemoryBound: 0
; FloatMode: 240
; IeeeMode: 1
; LDSByteSize: 0 bytes/workgroup (compile time only)
; SGPRBlocks: 0
; VGPRBlocks: 0
; NumSGPRsForWavesPerEU: 1
; NumVGPRsForWavesPerEU: 1
; Occupancy: 16
; WaveLimiterHint : 0
; COMPUTE_PGM_RSRC2:SCRATCH_EN: 0
; COMPUTE_PGM_RSRC2:USER_SGPR: 15
; COMPUTE_PGM_RSRC2:TRAP_HANDLER: 0
; COMPUTE_PGM_RSRC2:TGID_X_EN: 1
; COMPUTE_PGM_RSRC2:TGID_Y_EN: 0
; COMPUTE_PGM_RSRC2:TGID_Z_EN: 0
; COMPUTE_PGM_RSRC2:TIDIG_COMP_CNT: 0
	.section	.text._ZN7rocprim17ROCPRIM_400000_NS6detail17trampoline_kernelINS0_14default_configENS1_36segmented_radix_sort_config_selectorI6__halflEEZNS1_25segmented_radix_sort_implIS3_Lb0EPKS5_PS5_PKlPlN2at6native12_GLOBAL__N_18offset_tEEE10hipError_tPvRmT1_PNSt15iterator_traitsISL_E10value_typeET2_T3_PNSM_ISR_E10value_typeET4_jRbjT5_SX_jjP12ihipStream_tbEUlT_E2_NS1_11comp_targetILNS1_3genE2ELNS1_11target_archE906ELNS1_3gpuE6ELNS1_3repE0EEENS1_30default_config_static_selectorELNS0_4arch9wavefront6targetE0EEEvSL_,"axG",@progbits,_ZN7rocprim17ROCPRIM_400000_NS6detail17trampoline_kernelINS0_14default_configENS1_36segmented_radix_sort_config_selectorI6__halflEEZNS1_25segmented_radix_sort_implIS3_Lb0EPKS5_PS5_PKlPlN2at6native12_GLOBAL__N_18offset_tEEE10hipError_tPvRmT1_PNSt15iterator_traitsISL_E10value_typeET2_T3_PNSM_ISR_E10value_typeET4_jRbjT5_SX_jjP12ihipStream_tbEUlT_E2_NS1_11comp_targetILNS1_3genE2ELNS1_11target_archE906ELNS1_3gpuE6ELNS1_3repE0EEENS1_30default_config_static_selectorELNS0_4arch9wavefront6targetE0EEEvSL_,comdat
	.globl	_ZN7rocprim17ROCPRIM_400000_NS6detail17trampoline_kernelINS0_14default_configENS1_36segmented_radix_sort_config_selectorI6__halflEEZNS1_25segmented_radix_sort_implIS3_Lb0EPKS5_PS5_PKlPlN2at6native12_GLOBAL__N_18offset_tEEE10hipError_tPvRmT1_PNSt15iterator_traitsISL_E10value_typeET2_T3_PNSM_ISR_E10value_typeET4_jRbjT5_SX_jjP12ihipStream_tbEUlT_E2_NS1_11comp_targetILNS1_3genE2ELNS1_11target_archE906ELNS1_3gpuE6ELNS1_3repE0EEENS1_30default_config_static_selectorELNS0_4arch9wavefront6targetE0EEEvSL_ ; -- Begin function _ZN7rocprim17ROCPRIM_400000_NS6detail17trampoline_kernelINS0_14default_configENS1_36segmented_radix_sort_config_selectorI6__halflEEZNS1_25segmented_radix_sort_implIS3_Lb0EPKS5_PS5_PKlPlN2at6native12_GLOBAL__N_18offset_tEEE10hipError_tPvRmT1_PNSt15iterator_traitsISL_E10value_typeET2_T3_PNSM_ISR_E10value_typeET4_jRbjT5_SX_jjP12ihipStream_tbEUlT_E2_NS1_11comp_targetILNS1_3genE2ELNS1_11target_archE906ELNS1_3gpuE6ELNS1_3repE0EEENS1_30default_config_static_selectorELNS0_4arch9wavefront6targetE0EEEvSL_
	.p2align	8
	.type	_ZN7rocprim17ROCPRIM_400000_NS6detail17trampoline_kernelINS0_14default_configENS1_36segmented_radix_sort_config_selectorI6__halflEEZNS1_25segmented_radix_sort_implIS3_Lb0EPKS5_PS5_PKlPlN2at6native12_GLOBAL__N_18offset_tEEE10hipError_tPvRmT1_PNSt15iterator_traitsISL_E10value_typeET2_T3_PNSM_ISR_E10value_typeET4_jRbjT5_SX_jjP12ihipStream_tbEUlT_E2_NS1_11comp_targetILNS1_3genE2ELNS1_11target_archE906ELNS1_3gpuE6ELNS1_3repE0EEENS1_30default_config_static_selectorELNS0_4arch9wavefront6targetE0EEEvSL_,@function
_ZN7rocprim17ROCPRIM_400000_NS6detail17trampoline_kernelINS0_14default_configENS1_36segmented_radix_sort_config_selectorI6__halflEEZNS1_25segmented_radix_sort_implIS3_Lb0EPKS5_PS5_PKlPlN2at6native12_GLOBAL__N_18offset_tEEE10hipError_tPvRmT1_PNSt15iterator_traitsISL_E10value_typeET2_T3_PNSM_ISR_E10value_typeET4_jRbjT5_SX_jjP12ihipStream_tbEUlT_E2_NS1_11comp_targetILNS1_3genE2ELNS1_11target_archE906ELNS1_3gpuE6ELNS1_3repE0EEENS1_30default_config_static_selectorELNS0_4arch9wavefront6targetE0EEEvSL_: ; @_ZN7rocprim17ROCPRIM_400000_NS6detail17trampoline_kernelINS0_14default_configENS1_36segmented_radix_sort_config_selectorI6__halflEEZNS1_25segmented_radix_sort_implIS3_Lb0EPKS5_PS5_PKlPlN2at6native12_GLOBAL__N_18offset_tEEE10hipError_tPvRmT1_PNSt15iterator_traitsISL_E10value_typeET2_T3_PNSM_ISR_E10value_typeET4_jRbjT5_SX_jjP12ihipStream_tbEUlT_E2_NS1_11comp_targetILNS1_3genE2ELNS1_11target_archE906ELNS1_3gpuE6ELNS1_3repE0EEENS1_30default_config_static_selectorELNS0_4arch9wavefront6targetE0EEEvSL_
; %bb.0:
	.section	.rodata,"a",@progbits
	.p2align	6, 0x0
	.amdhsa_kernel _ZN7rocprim17ROCPRIM_400000_NS6detail17trampoline_kernelINS0_14default_configENS1_36segmented_radix_sort_config_selectorI6__halflEEZNS1_25segmented_radix_sort_implIS3_Lb0EPKS5_PS5_PKlPlN2at6native12_GLOBAL__N_18offset_tEEE10hipError_tPvRmT1_PNSt15iterator_traitsISL_E10value_typeET2_T3_PNSM_ISR_E10value_typeET4_jRbjT5_SX_jjP12ihipStream_tbEUlT_E2_NS1_11comp_targetILNS1_3genE2ELNS1_11target_archE906ELNS1_3gpuE6ELNS1_3repE0EEENS1_30default_config_static_selectorELNS0_4arch9wavefront6targetE0EEEvSL_
		.amdhsa_group_segment_fixed_size 0
		.amdhsa_private_segment_fixed_size 0
		.amdhsa_kernarg_size 80
		.amdhsa_user_sgpr_count 15
		.amdhsa_user_sgpr_dispatch_ptr 0
		.amdhsa_user_sgpr_queue_ptr 0
		.amdhsa_user_sgpr_kernarg_segment_ptr 1
		.amdhsa_user_sgpr_dispatch_id 0
		.amdhsa_user_sgpr_private_segment_size 0
		.amdhsa_wavefront_size32 1
		.amdhsa_uses_dynamic_stack 0
		.amdhsa_enable_private_segment 0
		.amdhsa_system_sgpr_workgroup_id_x 1
		.amdhsa_system_sgpr_workgroup_id_y 0
		.amdhsa_system_sgpr_workgroup_id_z 0
		.amdhsa_system_sgpr_workgroup_info 0
		.amdhsa_system_vgpr_workitem_id 0
		.amdhsa_next_free_vgpr 1
		.amdhsa_next_free_sgpr 1
		.amdhsa_reserve_vcc 0
		.amdhsa_float_round_mode_32 0
		.amdhsa_float_round_mode_16_64 0
		.amdhsa_float_denorm_mode_32 3
		.amdhsa_float_denorm_mode_16_64 3
		.amdhsa_dx10_clamp 1
		.amdhsa_ieee_mode 1
		.amdhsa_fp16_overflow 0
		.amdhsa_workgroup_processor_mode 1
		.amdhsa_memory_ordered 1
		.amdhsa_forward_progress 0
		.amdhsa_shared_vgpr_count 0
		.amdhsa_exception_fp_ieee_invalid_op 0
		.amdhsa_exception_fp_denorm_src 0
		.amdhsa_exception_fp_ieee_div_zero 0
		.amdhsa_exception_fp_ieee_overflow 0
		.amdhsa_exception_fp_ieee_underflow 0
		.amdhsa_exception_fp_ieee_inexact 0
		.amdhsa_exception_int_div_zero 0
	.end_amdhsa_kernel
	.section	.text._ZN7rocprim17ROCPRIM_400000_NS6detail17trampoline_kernelINS0_14default_configENS1_36segmented_radix_sort_config_selectorI6__halflEEZNS1_25segmented_radix_sort_implIS3_Lb0EPKS5_PS5_PKlPlN2at6native12_GLOBAL__N_18offset_tEEE10hipError_tPvRmT1_PNSt15iterator_traitsISL_E10value_typeET2_T3_PNSM_ISR_E10value_typeET4_jRbjT5_SX_jjP12ihipStream_tbEUlT_E2_NS1_11comp_targetILNS1_3genE2ELNS1_11target_archE906ELNS1_3gpuE6ELNS1_3repE0EEENS1_30default_config_static_selectorELNS0_4arch9wavefront6targetE0EEEvSL_,"axG",@progbits,_ZN7rocprim17ROCPRIM_400000_NS6detail17trampoline_kernelINS0_14default_configENS1_36segmented_radix_sort_config_selectorI6__halflEEZNS1_25segmented_radix_sort_implIS3_Lb0EPKS5_PS5_PKlPlN2at6native12_GLOBAL__N_18offset_tEEE10hipError_tPvRmT1_PNSt15iterator_traitsISL_E10value_typeET2_T3_PNSM_ISR_E10value_typeET4_jRbjT5_SX_jjP12ihipStream_tbEUlT_E2_NS1_11comp_targetILNS1_3genE2ELNS1_11target_archE906ELNS1_3gpuE6ELNS1_3repE0EEENS1_30default_config_static_selectorELNS0_4arch9wavefront6targetE0EEEvSL_,comdat
.Lfunc_end1876:
	.size	_ZN7rocprim17ROCPRIM_400000_NS6detail17trampoline_kernelINS0_14default_configENS1_36segmented_radix_sort_config_selectorI6__halflEEZNS1_25segmented_radix_sort_implIS3_Lb0EPKS5_PS5_PKlPlN2at6native12_GLOBAL__N_18offset_tEEE10hipError_tPvRmT1_PNSt15iterator_traitsISL_E10value_typeET2_T3_PNSM_ISR_E10value_typeET4_jRbjT5_SX_jjP12ihipStream_tbEUlT_E2_NS1_11comp_targetILNS1_3genE2ELNS1_11target_archE906ELNS1_3gpuE6ELNS1_3repE0EEENS1_30default_config_static_selectorELNS0_4arch9wavefront6targetE0EEEvSL_, .Lfunc_end1876-_ZN7rocprim17ROCPRIM_400000_NS6detail17trampoline_kernelINS0_14default_configENS1_36segmented_radix_sort_config_selectorI6__halflEEZNS1_25segmented_radix_sort_implIS3_Lb0EPKS5_PS5_PKlPlN2at6native12_GLOBAL__N_18offset_tEEE10hipError_tPvRmT1_PNSt15iterator_traitsISL_E10value_typeET2_T3_PNSM_ISR_E10value_typeET4_jRbjT5_SX_jjP12ihipStream_tbEUlT_E2_NS1_11comp_targetILNS1_3genE2ELNS1_11target_archE906ELNS1_3gpuE6ELNS1_3repE0EEENS1_30default_config_static_selectorELNS0_4arch9wavefront6targetE0EEEvSL_
                                        ; -- End function
	.section	.AMDGPU.csdata,"",@progbits
; Kernel info:
; codeLenInByte = 0
; NumSgprs: 0
; NumVgprs: 0
; ScratchSize: 0
; MemoryBound: 0
; FloatMode: 240
; IeeeMode: 1
; LDSByteSize: 0 bytes/workgroup (compile time only)
; SGPRBlocks: 0
; VGPRBlocks: 0
; NumSGPRsForWavesPerEU: 1
; NumVGPRsForWavesPerEU: 1
; Occupancy: 16
; WaveLimiterHint : 0
; COMPUTE_PGM_RSRC2:SCRATCH_EN: 0
; COMPUTE_PGM_RSRC2:USER_SGPR: 15
; COMPUTE_PGM_RSRC2:TRAP_HANDLER: 0
; COMPUTE_PGM_RSRC2:TGID_X_EN: 1
; COMPUTE_PGM_RSRC2:TGID_Y_EN: 0
; COMPUTE_PGM_RSRC2:TGID_Z_EN: 0
; COMPUTE_PGM_RSRC2:TIDIG_COMP_CNT: 0
	.section	.text._ZN7rocprim17ROCPRIM_400000_NS6detail17trampoline_kernelINS0_14default_configENS1_36segmented_radix_sort_config_selectorI6__halflEEZNS1_25segmented_radix_sort_implIS3_Lb0EPKS5_PS5_PKlPlN2at6native12_GLOBAL__N_18offset_tEEE10hipError_tPvRmT1_PNSt15iterator_traitsISL_E10value_typeET2_T3_PNSM_ISR_E10value_typeET4_jRbjT5_SX_jjP12ihipStream_tbEUlT_E2_NS1_11comp_targetILNS1_3genE10ELNS1_11target_archE1201ELNS1_3gpuE5ELNS1_3repE0EEENS1_30default_config_static_selectorELNS0_4arch9wavefront6targetE0EEEvSL_,"axG",@progbits,_ZN7rocprim17ROCPRIM_400000_NS6detail17trampoline_kernelINS0_14default_configENS1_36segmented_radix_sort_config_selectorI6__halflEEZNS1_25segmented_radix_sort_implIS3_Lb0EPKS5_PS5_PKlPlN2at6native12_GLOBAL__N_18offset_tEEE10hipError_tPvRmT1_PNSt15iterator_traitsISL_E10value_typeET2_T3_PNSM_ISR_E10value_typeET4_jRbjT5_SX_jjP12ihipStream_tbEUlT_E2_NS1_11comp_targetILNS1_3genE10ELNS1_11target_archE1201ELNS1_3gpuE5ELNS1_3repE0EEENS1_30default_config_static_selectorELNS0_4arch9wavefront6targetE0EEEvSL_,comdat
	.globl	_ZN7rocprim17ROCPRIM_400000_NS6detail17trampoline_kernelINS0_14default_configENS1_36segmented_radix_sort_config_selectorI6__halflEEZNS1_25segmented_radix_sort_implIS3_Lb0EPKS5_PS5_PKlPlN2at6native12_GLOBAL__N_18offset_tEEE10hipError_tPvRmT1_PNSt15iterator_traitsISL_E10value_typeET2_T3_PNSM_ISR_E10value_typeET4_jRbjT5_SX_jjP12ihipStream_tbEUlT_E2_NS1_11comp_targetILNS1_3genE10ELNS1_11target_archE1201ELNS1_3gpuE5ELNS1_3repE0EEENS1_30default_config_static_selectorELNS0_4arch9wavefront6targetE0EEEvSL_ ; -- Begin function _ZN7rocprim17ROCPRIM_400000_NS6detail17trampoline_kernelINS0_14default_configENS1_36segmented_radix_sort_config_selectorI6__halflEEZNS1_25segmented_radix_sort_implIS3_Lb0EPKS5_PS5_PKlPlN2at6native12_GLOBAL__N_18offset_tEEE10hipError_tPvRmT1_PNSt15iterator_traitsISL_E10value_typeET2_T3_PNSM_ISR_E10value_typeET4_jRbjT5_SX_jjP12ihipStream_tbEUlT_E2_NS1_11comp_targetILNS1_3genE10ELNS1_11target_archE1201ELNS1_3gpuE5ELNS1_3repE0EEENS1_30default_config_static_selectorELNS0_4arch9wavefront6targetE0EEEvSL_
	.p2align	8
	.type	_ZN7rocprim17ROCPRIM_400000_NS6detail17trampoline_kernelINS0_14default_configENS1_36segmented_radix_sort_config_selectorI6__halflEEZNS1_25segmented_radix_sort_implIS3_Lb0EPKS5_PS5_PKlPlN2at6native12_GLOBAL__N_18offset_tEEE10hipError_tPvRmT1_PNSt15iterator_traitsISL_E10value_typeET2_T3_PNSM_ISR_E10value_typeET4_jRbjT5_SX_jjP12ihipStream_tbEUlT_E2_NS1_11comp_targetILNS1_3genE10ELNS1_11target_archE1201ELNS1_3gpuE5ELNS1_3repE0EEENS1_30default_config_static_selectorELNS0_4arch9wavefront6targetE0EEEvSL_,@function
_ZN7rocprim17ROCPRIM_400000_NS6detail17trampoline_kernelINS0_14default_configENS1_36segmented_radix_sort_config_selectorI6__halflEEZNS1_25segmented_radix_sort_implIS3_Lb0EPKS5_PS5_PKlPlN2at6native12_GLOBAL__N_18offset_tEEE10hipError_tPvRmT1_PNSt15iterator_traitsISL_E10value_typeET2_T3_PNSM_ISR_E10value_typeET4_jRbjT5_SX_jjP12ihipStream_tbEUlT_E2_NS1_11comp_targetILNS1_3genE10ELNS1_11target_archE1201ELNS1_3gpuE5ELNS1_3repE0EEENS1_30default_config_static_selectorELNS0_4arch9wavefront6targetE0EEEvSL_: ; @_ZN7rocprim17ROCPRIM_400000_NS6detail17trampoline_kernelINS0_14default_configENS1_36segmented_radix_sort_config_selectorI6__halflEEZNS1_25segmented_radix_sort_implIS3_Lb0EPKS5_PS5_PKlPlN2at6native12_GLOBAL__N_18offset_tEEE10hipError_tPvRmT1_PNSt15iterator_traitsISL_E10value_typeET2_T3_PNSM_ISR_E10value_typeET4_jRbjT5_SX_jjP12ihipStream_tbEUlT_E2_NS1_11comp_targetILNS1_3genE10ELNS1_11target_archE1201ELNS1_3gpuE5ELNS1_3repE0EEENS1_30default_config_static_selectorELNS0_4arch9wavefront6targetE0EEEvSL_
; %bb.0:
	.section	.rodata,"a",@progbits
	.p2align	6, 0x0
	.amdhsa_kernel _ZN7rocprim17ROCPRIM_400000_NS6detail17trampoline_kernelINS0_14default_configENS1_36segmented_radix_sort_config_selectorI6__halflEEZNS1_25segmented_radix_sort_implIS3_Lb0EPKS5_PS5_PKlPlN2at6native12_GLOBAL__N_18offset_tEEE10hipError_tPvRmT1_PNSt15iterator_traitsISL_E10value_typeET2_T3_PNSM_ISR_E10value_typeET4_jRbjT5_SX_jjP12ihipStream_tbEUlT_E2_NS1_11comp_targetILNS1_3genE10ELNS1_11target_archE1201ELNS1_3gpuE5ELNS1_3repE0EEENS1_30default_config_static_selectorELNS0_4arch9wavefront6targetE0EEEvSL_
		.amdhsa_group_segment_fixed_size 0
		.amdhsa_private_segment_fixed_size 0
		.amdhsa_kernarg_size 80
		.amdhsa_user_sgpr_count 15
		.amdhsa_user_sgpr_dispatch_ptr 0
		.amdhsa_user_sgpr_queue_ptr 0
		.amdhsa_user_sgpr_kernarg_segment_ptr 1
		.amdhsa_user_sgpr_dispatch_id 0
		.amdhsa_user_sgpr_private_segment_size 0
		.amdhsa_wavefront_size32 1
		.amdhsa_uses_dynamic_stack 0
		.amdhsa_enable_private_segment 0
		.amdhsa_system_sgpr_workgroup_id_x 1
		.amdhsa_system_sgpr_workgroup_id_y 0
		.amdhsa_system_sgpr_workgroup_id_z 0
		.amdhsa_system_sgpr_workgroup_info 0
		.amdhsa_system_vgpr_workitem_id 0
		.amdhsa_next_free_vgpr 1
		.amdhsa_next_free_sgpr 1
		.amdhsa_reserve_vcc 0
		.amdhsa_float_round_mode_32 0
		.amdhsa_float_round_mode_16_64 0
		.amdhsa_float_denorm_mode_32 3
		.amdhsa_float_denorm_mode_16_64 3
		.amdhsa_dx10_clamp 1
		.amdhsa_ieee_mode 1
		.amdhsa_fp16_overflow 0
		.amdhsa_workgroup_processor_mode 1
		.amdhsa_memory_ordered 1
		.amdhsa_forward_progress 0
		.amdhsa_shared_vgpr_count 0
		.amdhsa_exception_fp_ieee_invalid_op 0
		.amdhsa_exception_fp_denorm_src 0
		.amdhsa_exception_fp_ieee_div_zero 0
		.amdhsa_exception_fp_ieee_overflow 0
		.amdhsa_exception_fp_ieee_underflow 0
		.amdhsa_exception_fp_ieee_inexact 0
		.amdhsa_exception_int_div_zero 0
	.end_amdhsa_kernel
	.section	.text._ZN7rocprim17ROCPRIM_400000_NS6detail17trampoline_kernelINS0_14default_configENS1_36segmented_radix_sort_config_selectorI6__halflEEZNS1_25segmented_radix_sort_implIS3_Lb0EPKS5_PS5_PKlPlN2at6native12_GLOBAL__N_18offset_tEEE10hipError_tPvRmT1_PNSt15iterator_traitsISL_E10value_typeET2_T3_PNSM_ISR_E10value_typeET4_jRbjT5_SX_jjP12ihipStream_tbEUlT_E2_NS1_11comp_targetILNS1_3genE10ELNS1_11target_archE1201ELNS1_3gpuE5ELNS1_3repE0EEENS1_30default_config_static_selectorELNS0_4arch9wavefront6targetE0EEEvSL_,"axG",@progbits,_ZN7rocprim17ROCPRIM_400000_NS6detail17trampoline_kernelINS0_14default_configENS1_36segmented_radix_sort_config_selectorI6__halflEEZNS1_25segmented_radix_sort_implIS3_Lb0EPKS5_PS5_PKlPlN2at6native12_GLOBAL__N_18offset_tEEE10hipError_tPvRmT1_PNSt15iterator_traitsISL_E10value_typeET2_T3_PNSM_ISR_E10value_typeET4_jRbjT5_SX_jjP12ihipStream_tbEUlT_E2_NS1_11comp_targetILNS1_3genE10ELNS1_11target_archE1201ELNS1_3gpuE5ELNS1_3repE0EEENS1_30default_config_static_selectorELNS0_4arch9wavefront6targetE0EEEvSL_,comdat
.Lfunc_end1877:
	.size	_ZN7rocprim17ROCPRIM_400000_NS6detail17trampoline_kernelINS0_14default_configENS1_36segmented_radix_sort_config_selectorI6__halflEEZNS1_25segmented_radix_sort_implIS3_Lb0EPKS5_PS5_PKlPlN2at6native12_GLOBAL__N_18offset_tEEE10hipError_tPvRmT1_PNSt15iterator_traitsISL_E10value_typeET2_T3_PNSM_ISR_E10value_typeET4_jRbjT5_SX_jjP12ihipStream_tbEUlT_E2_NS1_11comp_targetILNS1_3genE10ELNS1_11target_archE1201ELNS1_3gpuE5ELNS1_3repE0EEENS1_30default_config_static_selectorELNS0_4arch9wavefront6targetE0EEEvSL_, .Lfunc_end1877-_ZN7rocprim17ROCPRIM_400000_NS6detail17trampoline_kernelINS0_14default_configENS1_36segmented_radix_sort_config_selectorI6__halflEEZNS1_25segmented_radix_sort_implIS3_Lb0EPKS5_PS5_PKlPlN2at6native12_GLOBAL__N_18offset_tEEE10hipError_tPvRmT1_PNSt15iterator_traitsISL_E10value_typeET2_T3_PNSM_ISR_E10value_typeET4_jRbjT5_SX_jjP12ihipStream_tbEUlT_E2_NS1_11comp_targetILNS1_3genE10ELNS1_11target_archE1201ELNS1_3gpuE5ELNS1_3repE0EEENS1_30default_config_static_selectorELNS0_4arch9wavefront6targetE0EEEvSL_
                                        ; -- End function
	.section	.AMDGPU.csdata,"",@progbits
; Kernel info:
; codeLenInByte = 0
; NumSgprs: 0
; NumVgprs: 0
; ScratchSize: 0
; MemoryBound: 0
; FloatMode: 240
; IeeeMode: 1
; LDSByteSize: 0 bytes/workgroup (compile time only)
; SGPRBlocks: 0
; VGPRBlocks: 0
; NumSGPRsForWavesPerEU: 1
; NumVGPRsForWavesPerEU: 1
; Occupancy: 16
; WaveLimiterHint : 0
; COMPUTE_PGM_RSRC2:SCRATCH_EN: 0
; COMPUTE_PGM_RSRC2:USER_SGPR: 15
; COMPUTE_PGM_RSRC2:TRAP_HANDLER: 0
; COMPUTE_PGM_RSRC2:TGID_X_EN: 1
; COMPUTE_PGM_RSRC2:TGID_Y_EN: 0
; COMPUTE_PGM_RSRC2:TGID_Z_EN: 0
; COMPUTE_PGM_RSRC2:TIDIG_COMP_CNT: 0
	.section	.text._ZN7rocprim17ROCPRIM_400000_NS6detail17trampoline_kernelINS0_14default_configENS1_36segmented_radix_sort_config_selectorI6__halflEEZNS1_25segmented_radix_sort_implIS3_Lb0EPKS5_PS5_PKlPlN2at6native12_GLOBAL__N_18offset_tEEE10hipError_tPvRmT1_PNSt15iterator_traitsISL_E10value_typeET2_T3_PNSM_ISR_E10value_typeET4_jRbjT5_SX_jjP12ihipStream_tbEUlT_E2_NS1_11comp_targetILNS1_3genE10ELNS1_11target_archE1200ELNS1_3gpuE4ELNS1_3repE0EEENS1_30default_config_static_selectorELNS0_4arch9wavefront6targetE0EEEvSL_,"axG",@progbits,_ZN7rocprim17ROCPRIM_400000_NS6detail17trampoline_kernelINS0_14default_configENS1_36segmented_radix_sort_config_selectorI6__halflEEZNS1_25segmented_radix_sort_implIS3_Lb0EPKS5_PS5_PKlPlN2at6native12_GLOBAL__N_18offset_tEEE10hipError_tPvRmT1_PNSt15iterator_traitsISL_E10value_typeET2_T3_PNSM_ISR_E10value_typeET4_jRbjT5_SX_jjP12ihipStream_tbEUlT_E2_NS1_11comp_targetILNS1_3genE10ELNS1_11target_archE1200ELNS1_3gpuE4ELNS1_3repE0EEENS1_30default_config_static_selectorELNS0_4arch9wavefront6targetE0EEEvSL_,comdat
	.globl	_ZN7rocprim17ROCPRIM_400000_NS6detail17trampoline_kernelINS0_14default_configENS1_36segmented_radix_sort_config_selectorI6__halflEEZNS1_25segmented_radix_sort_implIS3_Lb0EPKS5_PS5_PKlPlN2at6native12_GLOBAL__N_18offset_tEEE10hipError_tPvRmT1_PNSt15iterator_traitsISL_E10value_typeET2_T3_PNSM_ISR_E10value_typeET4_jRbjT5_SX_jjP12ihipStream_tbEUlT_E2_NS1_11comp_targetILNS1_3genE10ELNS1_11target_archE1200ELNS1_3gpuE4ELNS1_3repE0EEENS1_30default_config_static_selectorELNS0_4arch9wavefront6targetE0EEEvSL_ ; -- Begin function _ZN7rocprim17ROCPRIM_400000_NS6detail17trampoline_kernelINS0_14default_configENS1_36segmented_radix_sort_config_selectorI6__halflEEZNS1_25segmented_radix_sort_implIS3_Lb0EPKS5_PS5_PKlPlN2at6native12_GLOBAL__N_18offset_tEEE10hipError_tPvRmT1_PNSt15iterator_traitsISL_E10value_typeET2_T3_PNSM_ISR_E10value_typeET4_jRbjT5_SX_jjP12ihipStream_tbEUlT_E2_NS1_11comp_targetILNS1_3genE10ELNS1_11target_archE1200ELNS1_3gpuE4ELNS1_3repE0EEENS1_30default_config_static_selectorELNS0_4arch9wavefront6targetE0EEEvSL_
	.p2align	8
	.type	_ZN7rocprim17ROCPRIM_400000_NS6detail17trampoline_kernelINS0_14default_configENS1_36segmented_radix_sort_config_selectorI6__halflEEZNS1_25segmented_radix_sort_implIS3_Lb0EPKS5_PS5_PKlPlN2at6native12_GLOBAL__N_18offset_tEEE10hipError_tPvRmT1_PNSt15iterator_traitsISL_E10value_typeET2_T3_PNSM_ISR_E10value_typeET4_jRbjT5_SX_jjP12ihipStream_tbEUlT_E2_NS1_11comp_targetILNS1_3genE10ELNS1_11target_archE1200ELNS1_3gpuE4ELNS1_3repE0EEENS1_30default_config_static_selectorELNS0_4arch9wavefront6targetE0EEEvSL_,@function
_ZN7rocprim17ROCPRIM_400000_NS6detail17trampoline_kernelINS0_14default_configENS1_36segmented_radix_sort_config_selectorI6__halflEEZNS1_25segmented_radix_sort_implIS3_Lb0EPKS5_PS5_PKlPlN2at6native12_GLOBAL__N_18offset_tEEE10hipError_tPvRmT1_PNSt15iterator_traitsISL_E10value_typeET2_T3_PNSM_ISR_E10value_typeET4_jRbjT5_SX_jjP12ihipStream_tbEUlT_E2_NS1_11comp_targetILNS1_3genE10ELNS1_11target_archE1200ELNS1_3gpuE4ELNS1_3repE0EEENS1_30default_config_static_selectorELNS0_4arch9wavefront6targetE0EEEvSL_: ; @_ZN7rocprim17ROCPRIM_400000_NS6detail17trampoline_kernelINS0_14default_configENS1_36segmented_radix_sort_config_selectorI6__halflEEZNS1_25segmented_radix_sort_implIS3_Lb0EPKS5_PS5_PKlPlN2at6native12_GLOBAL__N_18offset_tEEE10hipError_tPvRmT1_PNSt15iterator_traitsISL_E10value_typeET2_T3_PNSM_ISR_E10value_typeET4_jRbjT5_SX_jjP12ihipStream_tbEUlT_E2_NS1_11comp_targetILNS1_3genE10ELNS1_11target_archE1200ELNS1_3gpuE4ELNS1_3repE0EEENS1_30default_config_static_selectorELNS0_4arch9wavefront6targetE0EEEvSL_
; %bb.0:
	.section	.rodata,"a",@progbits
	.p2align	6, 0x0
	.amdhsa_kernel _ZN7rocprim17ROCPRIM_400000_NS6detail17trampoline_kernelINS0_14default_configENS1_36segmented_radix_sort_config_selectorI6__halflEEZNS1_25segmented_radix_sort_implIS3_Lb0EPKS5_PS5_PKlPlN2at6native12_GLOBAL__N_18offset_tEEE10hipError_tPvRmT1_PNSt15iterator_traitsISL_E10value_typeET2_T3_PNSM_ISR_E10value_typeET4_jRbjT5_SX_jjP12ihipStream_tbEUlT_E2_NS1_11comp_targetILNS1_3genE10ELNS1_11target_archE1200ELNS1_3gpuE4ELNS1_3repE0EEENS1_30default_config_static_selectorELNS0_4arch9wavefront6targetE0EEEvSL_
		.amdhsa_group_segment_fixed_size 0
		.amdhsa_private_segment_fixed_size 0
		.amdhsa_kernarg_size 80
		.amdhsa_user_sgpr_count 15
		.amdhsa_user_sgpr_dispatch_ptr 0
		.amdhsa_user_sgpr_queue_ptr 0
		.amdhsa_user_sgpr_kernarg_segment_ptr 1
		.amdhsa_user_sgpr_dispatch_id 0
		.amdhsa_user_sgpr_private_segment_size 0
		.amdhsa_wavefront_size32 1
		.amdhsa_uses_dynamic_stack 0
		.amdhsa_enable_private_segment 0
		.amdhsa_system_sgpr_workgroup_id_x 1
		.amdhsa_system_sgpr_workgroup_id_y 0
		.amdhsa_system_sgpr_workgroup_id_z 0
		.amdhsa_system_sgpr_workgroup_info 0
		.amdhsa_system_vgpr_workitem_id 0
		.amdhsa_next_free_vgpr 1
		.amdhsa_next_free_sgpr 1
		.amdhsa_reserve_vcc 0
		.amdhsa_float_round_mode_32 0
		.amdhsa_float_round_mode_16_64 0
		.amdhsa_float_denorm_mode_32 3
		.amdhsa_float_denorm_mode_16_64 3
		.amdhsa_dx10_clamp 1
		.amdhsa_ieee_mode 1
		.amdhsa_fp16_overflow 0
		.amdhsa_workgroup_processor_mode 1
		.amdhsa_memory_ordered 1
		.amdhsa_forward_progress 0
		.amdhsa_shared_vgpr_count 0
		.amdhsa_exception_fp_ieee_invalid_op 0
		.amdhsa_exception_fp_denorm_src 0
		.amdhsa_exception_fp_ieee_div_zero 0
		.amdhsa_exception_fp_ieee_overflow 0
		.amdhsa_exception_fp_ieee_underflow 0
		.amdhsa_exception_fp_ieee_inexact 0
		.amdhsa_exception_int_div_zero 0
	.end_amdhsa_kernel
	.section	.text._ZN7rocprim17ROCPRIM_400000_NS6detail17trampoline_kernelINS0_14default_configENS1_36segmented_radix_sort_config_selectorI6__halflEEZNS1_25segmented_radix_sort_implIS3_Lb0EPKS5_PS5_PKlPlN2at6native12_GLOBAL__N_18offset_tEEE10hipError_tPvRmT1_PNSt15iterator_traitsISL_E10value_typeET2_T3_PNSM_ISR_E10value_typeET4_jRbjT5_SX_jjP12ihipStream_tbEUlT_E2_NS1_11comp_targetILNS1_3genE10ELNS1_11target_archE1200ELNS1_3gpuE4ELNS1_3repE0EEENS1_30default_config_static_selectorELNS0_4arch9wavefront6targetE0EEEvSL_,"axG",@progbits,_ZN7rocprim17ROCPRIM_400000_NS6detail17trampoline_kernelINS0_14default_configENS1_36segmented_radix_sort_config_selectorI6__halflEEZNS1_25segmented_radix_sort_implIS3_Lb0EPKS5_PS5_PKlPlN2at6native12_GLOBAL__N_18offset_tEEE10hipError_tPvRmT1_PNSt15iterator_traitsISL_E10value_typeET2_T3_PNSM_ISR_E10value_typeET4_jRbjT5_SX_jjP12ihipStream_tbEUlT_E2_NS1_11comp_targetILNS1_3genE10ELNS1_11target_archE1200ELNS1_3gpuE4ELNS1_3repE0EEENS1_30default_config_static_selectorELNS0_4arch9wavefront6targetE0EEEvSL_,comdat
.Lfunc_end1878:
	.size	_ZN7rocprim17ROCPRIM_400000_NS6detail17trampoline_kernelINS0_14default_configENS1_36segmented_radix_sort_config_selectorI6__halflEEZNS1_25segmented_radix_sort_implIS3_Lb0EPKS5_PS5_PKlPlN2at6native12_GLOBAL__N_18offset_tEEE10hipError_tPvRmT1_PNSt15iterator_traitsISL_E10value_typeET2_T3_PNSM_ISR_E10value_typeET4_jRbjT5_SX_jjP12ihipStream_tbEUlT_E2_NS1_11comp_targetILNS1_3genE10ELNS1_11target_archE1200ELNS1_3gpuE4ELNS1_3repE0EEENS1_30default_config_static_selectorELNS0_4arch9wavefront6targetE0EEEvSL_, .Lfunc_end1878-_ZN7rocprim17ROCPRIM_400000_NS6detail17trampoline_kernelINS0_14default_configENS1_36segmented_radix_sort_config_selectorI6__halflEEZNS1_25segmented_radix_sort_implIS3_Lb0EPKS5_PS5_PKlPlN2at6native12_GLOBAL__N_18offset_tEEE10hipError_tPvRmT1_PNSt15iterator_traitsISL_E10value_typeET2_T3_PNSM_ISR_E10value_typeET4_jRbjT5_SX_jjP12ihipStream_tbEUlT_E2_NS1_11comp_targetILNS1_3genE10ELNS1_11target_archE1200ELNS1_3gpuE4ELNS1_3repE0EEENS1_30default_config_static_selectorELNS0_4arch9wavefront6targetE0EEEvSL_
                                        ; -- End function
	.section	.AMDGPU.csdata,"",@progbits
; Kernel info:
; codeLenInByte = 0
; NumSgprs: 0
; NumVgprs: 0
; ScratchSize: 0
; MemoryBound: 0
; FloatMode: 240
; IeeeMode: 1
; LDSByteSize: 0 bytes/workgroup (compile time only)
; SGPRBlocks: 0
; VGPRBlocks: 0
; NumSGPRsForWavesPerEU: 1
; NumVGPRsForWavesPerEU: 1
; Occupancy: 16
; WaveLimiterHint : 0
; COMPUTE_PGM_RSRC2:SCRATCH_EN: 0
; COMPUTE_PGM_RSRC2:USER_SGPR: 15
; COMPUTE_PGM_RSRC2:TRAP_HANDLER: 0
; COMPUTE_PGM_RSRC2:TGID_X_EN: 1
; COMPUTE_PGM_RSRC2:TGID_Y_EN: 0
; COMPUTE_PGM_RSRC2:TGID_Z_EN: 0
; COMPUTE_PGM_RSRC2:TIDIG_COMP_CNT: 0
	.section	.text._ZN7rocprim17ROCPRIM_400000_NS6detail17trampoline_kernelINS0_14default_configENS1_36segmented_radix_sort_config_selectorI6__halflEEZNS1_25segmented_radix_sort_implIS3_Lb0EPKS5_PS5_PKlPlN2at6native12_GLOBAL__N_18offset_tEEE10hipError_tPvRmT1_PNSt15iterator_traitsISL_E10value_typeET2_T3_PNSM_ISR_E10value_typeET4_jRbjT5_SX_jjP12ihipStream_tbEUlT_E2_NS1_11comp_targetILNS1_3genE9ELNS1_11target_archE1100ELNS1_3gpuE3ELNS1_3repE0EEENS1_30default_config_static_selectorELNS0_4arch9wavefront6targetE0EEEvSL_,"axG",@progbits,_ZN7rocprim17ROCPRIM_400000_NS6detail17trampoline_kernelINS0_14default_configENS1_36segmented_radix_sort_config_selectorI6__halflEEZNS1_25segmented_radix_sort_implIS3_Lb0EPKS5_PS5_PKlPlN2at6native12_GLOBAL__N_18offset_tEEE10hipError_tPvRmT1_PNSt15iterator_traitsISL_E10value_typeET2_T3_PNSM_ISR_E10value_typeET4_jRbjT5_SX_jjP12ihipStream_tbEUlT_E2_NS1_11comp_targetILNS1_3genE9ELNS1_11target_archE1100ELNS1_3gpuE3ELNS1_3repE0EEENS1_30default_config_static_selectorELNS0_4arch9wavefront6targetE0EEEvSL_,comdat
	.globl	_ZN7rocprim17ROCPRIM_400000_NS6detail17trampoline_kernelINS0_14default_configENS1_36segmented_radix_sort_config_selectorI6__halflEEZNS1_25segmented_radix_sort_implIS3_Lb0EPKS5_PS5_PKlPlN2at6native12_GLOBAL__N_18offset_tEEE10hipError_tPvRmT1_PNSt15iterator_traitsISL_E10value_typeET2_T3_PNSM_ISR_E10value_typeET4_jRbjT5_SX_jjP12ihipStream_tbEUlT_E2_NS1_11comp_targetILNS1_3genE9ELNS1_11target_archE1100ELNS1_3gpuE3ELNS1_3repE0EEENS1_30default_config_static_selectorELNS0_4arch9wavefront6targetE0EEEvSL_ ; -- Begin function _ZN7rocprim17ROCPRIM_400000_NS6detail17trampoline_kernelINS0_14default_configENS1_36segmented_radix_sort_config_selectorI6__halflEEZNS1_25segmented_radix_sort_implIS3_Lb0EPKS5_PS5_PKlPlN2at6native12_GLOBAL__N_18offset_tEEE10hipError_tPvRmT1_PNSt15iterator_traitsISL_E10value_typeET2_T3_PNSM_ISR_E10value_typeET4_jRbjT5_SX_jjP12ihipStream_tbEUlT_E2_NS1_11comp_targetILNS1_3genE9ELNS1_11target_archE1100ELNS1_3gpuE3ELNS1_3repE0EEENS1_30default_config_static_selectorELNS0_4arch9wavefront6targetE0EEEvSL_
	.p2align	8
	.type	_ZN7rocprim17ROCPRIM_400000_NS6detail17trampoline_kernelINS0_14default_configENS1_36segmented_radix_sort_config_selectorI6__halflEEZNS1_25segmented_radix_sort_implIS3_Lb0EPKS5_PS5_PKlPlN2at6native12_GLOBAL__N_18offset_tEEE10hipError_tPvRmT1_PNSt15iterator_traitsISL_E10value_typeET2_T3_PNSM_ISR_E10value_typeET4_jRbjT5_SX_jjP12ihipStream_tbEUlT_E2_NS1_11comp_targetILNS1_3genE9ELNS1_11target_archE1100ELNS1_3gpuE3ELNS1_3repE0EEENS1_30default_config_static_selectorELNS0_4arch9wavefront6targetE0EEEvSL_,@function
_ZN7rocprim17ROCPRIM_400000_NS6detail17trampoline_kernelINS0_14default_configENS1_36segmented_radix_sort_config_selectorI6__halflEEZNS1_25segmented_radix_sort_implIS3_Lb0EPKS5_PS5_PKlPlN2at6native12_GLOBAL__N_18offset_tEEE10hipError_tPvRmT1_PNSt15iterator_traitsISL_E10value_typeET2_T3_PNSM_ISR_E10value_typeET4_jRbjT5_SX_jjP12ihipStream_tbEUlT_E2_NS1_11comp_targetILNS1_3genE9ELNS1_11target_archE1100ELNS1_3gpuE3ELNS1_3repE0EEENS1_30default_config_static_selectorELNS0_4arch9wavefront6targetE0EEEvSL_: ; @_ZN7rocprim17ROCPRIM_400000_NS6detail17trampoline_kernelINS0_14default_configENS1_36segmented_radix_sort_config_selectorI6__halflEEZNS1_25segmented_radix_sort_implIS3_Lb0EPKS5_PS5_PKlPlN2at6native12_GLOBAL__N_18offset_tEEE10hipError_tPvRmT1_PNSt15iterator_traitsISL_E10value_typeET2_T3_PNSM_ISR_E10value_typeET4_jRbjT5_SX_jjP12ihipStream_tbEUlT_E2_NS1_11comp_targetILNS1_3genE9ELNS1_11target_archE1100ELNS1_3gpuE3ELNS1_3repE0EEENS1_30default_config_static_selectorELNS0_4arch9wavefront6targetE0EEEvSL_
; %bb.0:
	s_load_b128 s[4:7], s[0:1], 0x34
	s_mov_b32 s32, 0
	s_waitcnt lgkmcnt(0)
	s_add_i32 s52, s5, s14
	s_add_i32 s53, s7, s14
	s_mul_i32 s52, s52, s4
	s_mul_i32 s53, s53, s6
	s_delay_alu instid0(SALU_CYCLE_1)
	s_cmp_le_u32 s53, s52
	s_cbranch_scc1 .LBB1879_1195
; %bb.1:
	s_clause 0x3
	s_load_b32 s2, s[0:1], 0x30
	s_load_b128 s[44:47], s[0:1], 0x20
	s_load_b128 s[48:51], s[0:1], 0x44
	s_load_b256 s[36:43], s[0:1], 0x0
	s_waitcnt lgkmcnt(0)
	s_bitcmp1_b32 s2, 0
	s_mov_b32 s2, -1
	s_cselect_b32 s51, -1, 0
	s_sub_i32 s54, s53, s52
	s_delay_alu instid0(SALU_CYCLE_1)
	s_cmpk_lt_u32 s54, 0x1001
	s_cbranch_scc0 .LBB1879_12
; %bb.2:
	s_cmp_lt_u32 s54, 33
	s_cbranch_scc0 .LBB1879_6
; %bb.3:
	s_load_b32 s2, s[0:1], 0x5c
	v_bfe_u32 v1, v0, 10, 10
	v_bfe_u32 v2, v0, 20, 10
	s_mov_b32 s18, exec_lo
	s_waitcnt lgkmcnt(0)
	s_lshr_b32 s3, s2, 16
	s_and_b32 s2, s2, 0xffff
	v_mad_u32_u24 v4, v2, s3, v1
	v_and_b32_e32 v1, 0x3ff, v0
	s_delay_alu instid0(VALU_DEP_1) | instskip(NEXT) | instid1(VALU_DEP_1)
	v_mad_u64_u32 v[2:3], null, v4, s2, v[1:2]
	v_cmpx_gt_u32_e32 8, v2
	s_cbranch_execz .LBB1879_5
; %bb.4:
	s_bitcmp1_b32 s48, 0
	v_mov_b32_e32 v31, v0
	s_cselect_b32 s2, -1, 0
	v_dual_mov_b32 v40, v0 :: v_dual_mov_b32 v1, s37
	s_xor_b32 s4, s51, s2
	s_mov_b64 s[2:3], src_shared_base
	s_xor_b32 s2, s4, -1
	v_mov_b32_e32 v0, s36
	v_cndmask_b32_e64 v12, 0, 1, s2
	v_dual_mov_b32 v2, s38 :: v_dual_mov_b32 v3, s39
	v_dual_mov_b32 v4, s40 :: v_dual_mov_b32 v5, s41
	;; [unrolled: 1-line block ×7, first 2 shown]
	s_add_u32 s8, s0, 0x50
	s_addc_u32 s9, s1, 0
	s_mov_b32 s12, s14
	s_mov_b32 s13, s15
	s_getpc_b64 s[4:5]
	s_add_u32 s4, s4, _ZN7rocprim17ROCPRIM_400000_NS6detail26segmented_warp_sort_helperINS1_20WarpSortHelperConfigILj8ELj4ELj256EEE6__halflLi256ELb0EvE4sortIPKS5_PS5_PKlPlEEvT_SA_T0_T1_SD_T2_bjjjjRNS6_12storage_typeE@rel32@lo+4
	s_addc_u32 s5, s5, _ZN7rocprim17ROCPRIM_400000_NS6detail26segmented_warp_sort_helperINS1_20WarpSortHelperConfigILj8ELj4ELj256EEE6__halflLi256ELb0EvE4sortIPKS5_PS5_PKlPlEEvT_SA_T0_T1_SD_T2_bjjjjRNS6_12storage_typeE@rel32@hi+12
	s_mov_b64 s[16:17], s[0:1]
	s_mov_b32 s20, s15
	s_mov_b32 s19, s14
	s_swappc_b64 s[30:31], s[4:5]
	v_mov_b32_e32 v0, v40
	s_mov_b32 s14, s19
	s_mov_b32 s15, s20
	s_mov_b64 s[0:1], s[16:17]
.LBB1879_5:
	s_or_b32 exec_lo, exec_lo, s18
	s_mov_b32 s2, 0
.LBB1879_6:
	s_delay_alu instid0(SALU_CYCLE_1)
	s_and_not1_b32 vcc_lo, exec_lo, s2
	s_cbranch_vccnz .LBB1879_11
; %bb.7:
	v_cndmask_b32_e64 v1, 0, 1, s51
	s_and_b32 s2, s48, 1
	s_delay_alu instid0(VALU_DEP_1) | instid1(SALU_CYCLE_1)
	v_cmp_ne_u32_e32 vcc_lo, s2, v1
	s_mov_b32 s2, -1
	s_cbranch_vccnz .LBB1879_9
; %bb.8:
	s_mov_b64 s[2:3], src_shared_base
	v_mov_b32_e32 v31, v0
	v_dual_mov_b32 v40, v0 :: v_dual_mov_b32 v1, s37
	v_mov_b32_e32 v0, s36
	v_dual_mov_b32 v2, s40 :: v_dual_mov_b32 v3, s41
	v_dual_mov_b32 v4, s42 :: v_dual_mov_b32 v5, s43
	v_dual_mov_b32 v6, s46 :: v_dual_mov_b32 v7, s47
	v_dual_mov_b32 v8, s52 :: v_dual_mov_b32 v9, s53
	v_dual_mov_b32 v10, s49 :: v_dual_mov_b32 v11, s50
	v_dual_mov_b32 v12, 0 :: v_dual_mov_b32 v13, s3
	s_add_u32 s8, s0, 0x50
	s_addc_u32 s9, s1, 0
	s_mov_b32 s12, s14
	s_mov_b32 s13, s15
	s_getpc_b64 s[4:5]
	s_add_u32 s4, s4, _ZN7rocprim17ROCPRIM_400000_NS6detail40segmented_radix_sort_single_block_helperI6__halflLj256ELj16ELb0EE4sortIPKS3_PS3_PKlPlEEbT_T0_T1_T2_jjjjRNS4_12storage_typeE@rel32@lo+4
	s_addc_u32 s5, s5, _ZN7rocprim17ROCPRIM_400000_NS6detail40segmented_radix_sort_single_block_helperI6__halflLj256ELj16ELb0EE4sortIPKS3_PS3_PKlPlEEbT_T0_T1_T2_jjjjRNS4_12storage_typeE@rel32@hi+12
	s_mov_b64 s[26:27], s[0:1]
	s_mov_b32 s28, s15
	s_mov_b32 s29, s14
	s_swappc_b64 s[30:31], s[4:5]
	v_mov_b32_e32 v0, v40
	s_mov_b32 s14, s29
	s_mov_b32 s15, s28
	s_mov_b64 s[0:1], s[26:27]
	s_mov_b32 s2, 0
.LBB1879_9:
	s_delay_alu instid0(SALU_CYCLE_1)
	s_and_not1_b32 vcc_lo, exec_lo, s2
	s_cbranch_vccnz .LBB1879_11
; %bb.10:
	s_mov_b64 s[2:3], src_shared_base
	v_mov_b32_e32 v31, v0
	v_dual_mov_b32 v40, v0 :: v_dual_mov_b32 v1, s37
	v_mov_b32_e32 v0, s36
	v_dual_mov_b32 v2, s38 :: v_dual_mov_b32 v3, s39
	v_dual_mov_b32 v4, s42 :: v_dual_mov_b32 v5, s43
	;; [unrolled: 1-line block ×6, first 2 shown]
	s_add_u32 s8, s0, 0x50
	s_addc_u32 s9, s1, 0
	s_mov_b32 s12, s14
	s_mov_b32 s13, s15
	s_getpc_b64 s[4:5]
	s_add_u32 s4, s4, _ZN7rocprim17ROCPRIM_400000_NS6detail40segmented_radix_sort_single_block_helperI6__halflLj256ELj16ELb0EE4sortIPKS3_PS3_PKlPlEEbT_T0_T1_T2_jjjjRNS4_12storage_typeE@rel32@lo+4
	s_addc_u32 s5, s5, _ZN7rocprim17ROCPRIM_400000_NS6detail40segmented_radix_sort_single_block_helperI6__halflLj256ELj16ELb0EE4sortIPKS3_PS3_PKlPlEEbT_T0_T1_T2_jjjjRNS4_12storage_typeE@rel32@hi+12
	s_mov_b64 s[26:27], s[0:1]
	s_mov_b32 s29, s15
	s_mov_b32 s28, s14
	s_swappc_b64 s[30:31], s[4:5]
	v_mov_b32_e32 v0, v40
	s_mov_b32 s14, s28
	s_mov_b32 s15, s29
	s_mov_b64 s[0:1], s[26:27]
.LBB1879_11:
	s_mov_b32 s2, 0
.LBB1879_12:
	s_delay_alu instid0(SALU_CYCLE_1)
	s_and_not1_b32 vcc_lo, exec_lo, s2
	s_cbranch_vccnz .LBB1879_1195
; %bb.13:
	s_cmp_ge_u32 s49, s50
	s_cbranch_scc1 .LBB1879_1195
; %bb.14:
	v_dual_mov_b32 v94, 1 :: v_dual_and_b32 v1, 0x3ff, v0
	v_mov_b32_e32 v3, 0
	v_bfe_u32 v70, v0, 20, 10
	v_bfe_u32 v0, v0, 10, 10
	s_delay_alu instid0(VALU_DEP_4)
	v_lshlrev_b32_e32 v44, 2, v1
	v_lshrrev_b32_e32 v4, 3, v1
	v_or_b32_e32 v5, 31, v1
	v_lshlrev_b32_e32 v6, 5, v1
	v_lshlrev_b32_e32 v2, 1, v1
	v_mad_u32_u24 v64, v1, 12, v44
	v_and_b32_e32 v62, 28, v4
	v_lshlrev_b32_e32 v4, 4, v1
	v_cmp_eq_u32_e64 s3, v5, v1
	v_add_nc_u32_e32 v5, 1, v1
	v_mad_u32_u24 v69, v1, 20, v64
	v_or_b32_e32 v55, 0x800, v1
	v_and_b32_e32 v68, 0xe00, v4
	v_mul_u32_u24_e32 v4, 9, v1
	v_or_b32_e32 v56, 0x900, v1
	v_sub_nc_u32_e32 v72, v69, v6
	v_or_b32_e32 v57, 0xa00, v1
	v_lshlrev_b32_e32 v6, 3, v68
	v_lshl_add_u32 v71, v4, 2, 0x420
	v_mul_u32_u24_e32 v4, 9, v5
	v_or_b32_e32 v58, 0xb00, v1
	v_or_b32_e32 v59, 0xc00, v1
	v_add_co_u32 v74, s8, s46, v6
	s_delay_alu instid0(VALU_DEP_4) | instskip(SKIP_4) | instid1(VALU_DEP_4)
	v_lshlrev_b32_e32 v73, 2, v4
	v_lshlrev_b32_e32 v4, 1, v68
	v_add_co_ci_u32_e64 v75, null, s47, 0, s8
	v_or_b32_e32 v60, 0xd00, v1
	v_or_b32_e32 v61, 0xe00, v1
	v_add_co_u32 v76, s8, s40, v4
	s_delay_alu instid0(VALU_DEP_1) | instskip(SKIP_1) | instid1(VALU_DEP_1)
	v_add_co_ci_u32_e64 v77, null, s41, 0, s8
	v_add_co_u32 v82, s8, s38, v2
	v_add_co_ci_u32_e64 v83, null, s39, 0, s8
	v_add_co_u32 v84, s8, s44, v6
	s_delay_alu instid0(VALU_DEP_1) | instskip(SKIP_1) | instid1(VALU_DEP_1)
	v_add_co_ci_u32_e64 v85, null, s45, 0, s8
	v_add_co_u32 v86, s8, s38, v4
	v_add_co_ci_u32_e64 v87, null, s39, 0, s8
	v_add_co_u32 v88, s8, s36, v2
	v_or_b32_e32 v63, 0xf00, v1
	v_add_co_ci_u32_e64 v89, null, s37, 0, s8
	v_add_co_u32 v90, s8, s42, v6
	v_add_co_u32 v49, s2, s40, v2
	v_add_co_ci_u32_e64 v91, null, s43, 0, s8
	v_add_co_u32 v92, s8, s36, v4
	v_or_b32_e32 v45, 0x100, v1
	v_or_b32_e32 v46, 0x200, v1
	;; [unrolled: 1-line block ×3, first 2 shown]
	v_and_b32_e32 v48, 3, v1
	v_add_co_ci_u32_e64 v50, null, s41, 0, s2
	v_or_b32_e32 v51, 0x400, v1
	v_or_b32_e32 v52, 0x500, v1
	;; [unrolled: 1-line block ×4, first 2 shown]
	v_cmp_gt_u32_e64 s2, 0x100, v1
	v_or_b32_e32 v65, 0x8400, v62
	v_cmp_gt_u32_e64 s4, 8, v1
	v_add_nc_u32_e32 v66, 0x8400, v44
	v_cmp_lt_u32_e64 s5, 31, v1
	v_add_nc_u32_e32 v67, 0x83fc, v62
	v_cmp_eq_u32_e64 s6, 0, v1
	v_cmp_ne_u32_e64 s7, 0x100, v5
	v_sub_nc_u32_e32 v78, 0, v2
	v_add_nc_u32_e32 v79, 0x400, v2
	v_lshlrev_b32_e32 v80, 3, v1
	v_mul_u32_u24_e32 v81, 6, v1
	v_add_co_ci_u32_e64 v93, null, s37, 0, s8
	v_lshlrev_b32_e32 v95, 1, v1
	v_lshlrev_b32_e32 v96, 1, v55
	;; [unrolled: 1-line block ×9, first 2 shown]
	v_mbcnt_lo_u32_b32 v104, -1, 0
	s_add_u32 s42, s0, 0x50
	s_mov_b32 s35, 0
	s_addc_u32 s43, s1, 0
	s_mov_b32 s48, s49
	s_branch .LBB1879_17
.LBB1879_15:                            ;   in Loop: Header=BB1879_17 Depth=1
	s_waitcnt lgkmcnt(0)
	s_barrier
.LBB1879_16:                            ;   in Loop: Header=BB1879_17 Depth=1
	s_add_i32 s48, s48, 8
	buffer_gl0_inv
	s_cmp_ge_u32 s48, s50
	s_cbranch_scc1 .LBB1879_1195
.LBB1879_17:                            ; =>This Loop Header: Depth=1
                                        ;     Child Loop BB1879_21 Depth 2
                                        ;     Child Loop BB1879_103 Depth 2
	;; [unrolled: 1-line block ×8, first 2 shown]
	s_sub_i32 s0, s50, s48
	s_xor_b32 s51, s51, -1
	s_min_u32 s0, s0, 8
	ds_store_2addr_stride64_b32 v44, v3, v3 offset1:4
	s_lshl_b32 s0, -1, s0
	ds_store_2addr_stride64_b32 v44, v3, v3 offset0:8 offset1:12
	s_not_b32 s55, s0
	s_cmp_lg_u32 s48, s49
	s_mov_b32 s0, -1
	s_waitcnt lgkmcnt(0)
	s_waitcnt_vscnt null, 0x0
	s_cbranch_scc0 .LBB1879_607
; %bb.18:                               ;   in Loop: Header=BB1879_17 Depth=1
	s_and_b32 vcc_lo, exec_lo, s51
	s_cbranch_vccz .LBB1879_312
; %bb.19:                               ;   in Loop: Header=BB1879_17 Depth=1
	s_mov_b32 s8, s54
	s_mov_b32 s34, s52
	s_barrier
	buffer_gl0_inv
                                        ; implicit-def: $vgpr20
                                        ; implicit-def: $vgpr2
                                        ; implicit-def: $vgpr6
                                        ; implicit-def: $vgpr7
                                        ; implicit-def: $vgpr8
                                        ; implicit-def: $vgpr9
                                        ; implicit-def: $vgpr10
                                        ; implicit-def: $vgpr11
                                        ; implicit-def: $vgpr12
                                        ; implicit-def: $vgpr13
                                        ; implicit-def: $vgpr14
                                        ; implicit-def: $vgpr15
                                        ; implicit-def: $vgpr16
                                        ; implicit-def: $vgpr17
                                        ; implicit-def: $vgpr18
                                        ; implicit-def: $vgpr19
	s_branch .LBB1879_21
.LBB1879_20:                            ;   in Loop: Header=BB1879_21 Depth=2
	s_or_b32 exec_lo, exec_lo, s0
	s_addk_i32 s8, 0xf000
	s_cmp_ge_u32 s9, s53
	s_mov_b32 s34, s9
	s_cbranch_scc1 .LBB1879_91
.LBB1879_21:                            ;   Parent Loop BB1879_17 Depth=1
                                        ; =>  This Inner Loop Header: Depth=2
	s_add_i32 s9, s34, 0x1000
	s_delay_alu instid0(SALU_CYCLE_1)
	s_cmp_gt_u32 s9, s53
	s_cbranch_scc1 .LBB1879_24
; %bb.22:                               ;   in Loop: Header=BB1879_21 Depth=2
	s_mov_b32 s1, 0
	s_mov_b32 s0, s34
	s_delay_alu instid0(SALU_CYCLE_1) | instskip(NEXT) | instid1(SALU_CYCLE_1)
	s_lshl_b64 s[10:11], s[0:1], 1
	v_add_co_u32 v4, vcc_lo, v49, s10
	v_add_co_ci_u32_e32 v5, vcc_lo, s11, v50, vcc_lo
	s_movk_i32 s11, 0x1000
	s_waitcnt vmcnt(0)
	s_delay_alu instid0(VALU_DEP_2) | instskip(NEXT) | instid1(VALU_DEP_2)
	v_add_co_u32 v36, vcc_lo, 0x1000, v4
	v_add_co_ci_u32_e32 v37, vcc_lo, 0, v5, vcc_lo
	s_clause 0xe
	global_load_u16 v22, v[4:5], off
	global_load_u16 v23, v[4:5], off offset:512
	global_load_u16 v24, v[4:5], off offset:1024
	;; [unrolled: 1-line block ×7, first 2 shown]
	global_load_u16 v30, v[36:37], off
	global_load_u16 v31, v[36:37], off offset:512
	global_load_u16 v32, v[36:37], off offset:1024
	;; [unrolled: 1-line block ×6, first 2 shown]
	v_add_co_u32 v4, vcc_lo, 0x1e00, v4
	v_add_co_ci_u32_e32 v5, vcc_lo, 0, v5, vcc_lo
	s_mov_b32 s10, -1
	s_cbranch_execz .LBB1879_25
; %bb.23:                               ;   in Loop: Header=BB1879_21 Depth=2
                                        ; implicit-def: $vgpr19
                                        ; implicit-def: $vgpr18
                                        ; implicit-def: $vgpr17
                                        ; implicit-def: $vgpr16
                                        ; implicit-def: $vgpr15
                                        ; implicit-def: $vgpr14
                                        ; implicit-def: $vgpr13
                                        ; implicit-def: $vgpr12
                                        ; implicit-def: $vgpr11
                                        ; implicit-def: $vgpr10
                                        ; implicit-def: $vgpr9
                                        ; implicit-def: $vgpr8
                                        ; implicit-def: $vgpr7
                                        ; implicit-def: $vgpr6
                                        ; implicit-def: $vgpr2
                                        ; implicit-def: $vgpr20
	v_mov_b32_e32 v21, s8
	s_and_saveexec_b32 s0, s10
	s_cbranch_execnz .LBB1879_44
	s_branch .LBB1879_45
.LBB1879_24:                            ;   in Loop: Header=BB1879_21 Depth=2
	s_mov_b32 s10, 0
                                        ; implicit-def: $sgpr11
                                        ; implicit-def: $vgpr22
                                        ; implicit-def: $vgpr23
                                        ; implicit-def: $vgpr24
                                        ; implicit-def: $vgpr25
                                        ; implicit-def: $vgpr26
                                        ; implicit-def: $vgpr27
                                        ; implicit-def: $vgpr28
                                        ; implicit-def: $vgpr29
                                        ; implicit-def: $vgpr30
                                        ; implicit-def: $vgpr31
                                        ; implicit-def: $vgpr32
                                        ; implicit-def: $vgpr33
                                        ; implicit-def: $vgpr34
                                        ; implicit-def: $vgpr35
                                        ; implicit-def: $vgpr36
                                        ; implicit-def: $vgpr4_vgpr5
.LBB1879_25:                            ;   in Loop: Header=BB1879_21 Depth=2
	s_lshl_b64 s[0:1], s[34:35], 1
	s_mov_b32 s11, exec_lo
	s_add_u32 s0, s40, s0
	s_addc_u32 s1, s41, s1
	v_cmpx_gt_u32_e64 s8, v1
	s_cbranch_execz .LBB1879_77
; %bb.26:                               ;   in Loop: Header=BB1879_21 Depth=2
	global_load_u16 v19, v95, s[0:1]
	s_or_b32 exec_lo, exec_lo, s11
	s_delay_alu instid0(SALU_CYCLE_1)
	s_mov_b32 s11, exec_lo
	v_cmpx_gt_u32_e64 s8, v45
	s_cbranch_execnz .LBB1879_78
.LBB1879_27:                            ;   in Loop: Header=BB1879_21 Depth=2
	s_or_b32 exec_lo, exec_lo, s11
	s_delay_alu instid0(SALU_CYCLE_1)
	s_mov_b32 s11, exec_lo
	v_cmpx_gt_u32_e64 s8, v46
	s_cbranch_execz .LBB1879_79
.LBB1879_28:                            ;   in Loop: Header=BB1879_21 Depth=2
	global_load_u16 v17, v95, s[0:1] offset:1024
	s_or_b32 exec_lo, exec_lo, s11
	s_delay_alu instid0(SALU_CYCLE_1)
	s_mov_b32 s11, exec_lo
	v_cmpx_gt_u32_e64 s8, v47
	s_cbranch_execnz .LBB1879_80
.LBB1879_29:                            ;   in Loop: Header=BB1879_21 Depth=2
	s_or_b32 exec_lo, exec_lo, s11
	s_delay_alu instid0(SALU_CYCLE_1)
	s_mov_b32 s11, exec_lo
	v_cmpx_gt_u32_e64 s8, v51
	s_cbranch_execz .LBB1879_81
.LBB1879_30:                            ;   in Loop: Header=BB1879_21 Depth=2
	global_load_u16 v15, v95, s[0:1] offset:2048
	s_or_b32 exec_lo, exec_lo, s11
	s_delay_alu instid0(SALU_CYCLE_1)
	s_mov_b32 s11, exec_lo
	v_cmpx_gt_u32_e64 s8, v52
	s_cbranch_execnz .LBB1879_82
.LBB1879_31:                            ;   in Loop: Header=BB1879_21 Depth=2
	s_or_b32 exec_lo, exec_lo, s11
	s_delay_alu instid0(SALU_CYCLE_1)
	s_mov_b32 s11, exec_lo
	v_cmpx_gt_u32_e64 s8, v53
	s_cbranch_execz .LBB1879_83
.LBB1879_32:                            ;   in Loop: Header=BB1879_21 Depth=2
	global_load_u16 v13, v95, s[0:1] offset:3072
	s_or_b32 exec_lo, exec_lo, s11
	s_delay_alu instid0(SALU_CYCLE_1)
	s_mov_b32 s11, exec_lo
	v_cmpx_gt_u32_e64 s8, v54
	s_cbranch_execnz .LBB1879_84
.LBB1879_33:                            ;   in Loop: Header=BB1879_21 Depth=2
	s_or_b32 exec_lo, exec_lo, s11
	s_delay_alu instid0(SALU_CYCLE_1)
	s_mov_b32 s11, exec_lo
	v_cmpx_gt_u32_e64 s8, v55
	s_cbranch_execz .LBB1879_85
.LBB1879_34:                            ;   in Loop: Header=BB1879_21 Depth=2
	global_load_u16 v11, v96, s[0:1]
	s_or_b32 exec_lo, exec_lo, s11
	s_delay_alu instid0(SALU_CYCLE_1)
	s_mov_b32 s11, exec_lo
	v_cmpx_gt_u32_e64 s8, v56
	s_cbranch_execnz .LBB1879_86
.LBB1879_35:                            ;   in Loop: Header=BB1879_21 Depth=2
	s_or_b32 exec_lo, exec_lo, s11
	s_delay_alu instid0(SALU_CYCLE_1)
	s_mov_b32 s11, exec_lo
	v_cmpx_gt_u32_e64 s8, v57
	s_cbranch_execz .LBB1879_87
.LBB1879_36:                            ;   in Loop: Header=BB1879_21 Depth=2
	global_load_u16 v9, v98, s[0:1]
	s_or_b32 exec_lo, exec_lo, s11
	s_delay_alu instid0(SALU_CYCLE_1)
	s_mov_b32 s11, exec_lo
	v_cmpx_gt_u32_e64 s8, v58
	s_cbranch_execnz .LBB1879_88
.LBB1879_37:                            ;   in Loop: Header=BB1879_21 Depth=2
	s_or_b32 exec_lo, exec_lo, s11
	s_delay_alu instid0(SALU_CYCLE_1)
	s_mov_b32 s11, exec_lo
	v_cmpx_gt_u32_e64 s8, v59
	s_cbranch_execz .LBB1879_89
.LBB1879_38:                            ;   in Loop: Header=BB1879_21 Depth=2
	global_load_u16 v7, v100, s[0:1]
	s_or_b32 exec_lo, exec_lo, s11
	s_delay_alu instid0(SALU_CYCLE_1)
	s_mov_b32 s11, exec_lo
	v_cmpx_gt_u32_e64 s8, v60
	s_cbranch_execnz .LBB1879_90
.LBB1879_39:                            ;   in Loop: Header=BB1879_21 Depth=2
	s_or_b32 exec_lo, exec_lo, s11
	s_delay_alu instid0(SALU_CYCLE_1)
	s_mov_b32 s11, exec_lo
	v_cmpx_gt_u32_e64 s8, v61
	s_cbranch_execz .LBB1879_41
.LBB1879_40:                            ;   in Loop: Header=BB1879_21 Depth=2
	global_load_u16 v2, v102, s[0:1]
.LBB1879_41:                            ;   in Loop: Header=BB1879_21 Depth=2
	s_or_b32 exec_lo, exec_lo, s11
	s_delay_alu instid0(SALU_CYCLE_1)
	s_mov_b32 s12, exec_lo
                                        ; implicit-def: $sgpr11
                                        ; implicit-def: $vgpr4_vgpr5
	v_cmpx_gt_u32_e64 s8, v63
; %bb.42:                               ;   in Loop: Header=BB1879_21 Depth=2
	v_add_co_u32 v4, s0, s0, v103
	s_delay_alu instid0(VALU_DEP_1)
	v_add_co_ci_u32_e64 v5, null, s1, 0, s0
	s_sub_i32 s11, s53, s34
	s_or_b32 s10, s10, exec_lo
                                        ; implicit-def: $vgpr20
; %bb.43:                               ;   in Loop: Header=BB1879_21 Depth=2
	s_or_b32 exec_lo, exec_lo, s12
	s_waitcnt vmcnt(0)
	v_dual_mov_b32 v22, v19 :: v_dual_mov_b32 v23, v18
	v_dual_mov_b32 v24, v17 :: v_dual_mov_b32 v25, v16
	;; [unrolled: 1-line block ×8, first 2 shown]
	s_and_saveexec_b32 s0, s10
	s_cbranch_execz .LBB1879_45
.LBB1879_44:                            ;   in Loop: Header=BB1879_21 Depth=2
	global_load_u16 v20, v[4:5], off
	s_waitcnt vmcnt(1)
	v_dual_mov_b32 v21, s11 :: v_dual_mov_b32 v2, v36
	v_dual_mov_b32 v6, v35 :: v_dual_mov_b32 v7, v34
	;; [unrolled: 1-line block ×8, first 2 shown]
.LBB1879_45:                            ;   in Loop: Header=BB1879_21 Depth=2
	s_or_b32 exec_lo, exec_lo, s0
	s_delay_alu instid0(SALU_CYCLE_1)
	s_mov_b32 s0, exec_lo
	v_cmpx_lt_u32_e64 v1, v21
	s_cbranch_execz .LBB1879_61
; %bb.46:                               ;   in Loop: Header=BB1879_21 Depth=2
	v_cmp_lt_i16_e32 vcc_lo, -1, v19
	v_lshlrev_b32_e32 v5, 2, v48
	v_cndmask_b32_e64 v4, -1, 0xffff8000, vcc_lo
	s_delay_alu instid0(VALU_DEP_1) | instskip(NEXT) | instid1(VALU_DEP_1)
	v_xor_b32_e32 v4, v4, v19
	v_cmp_ne_u16_e32 vcc_lo, 0x7fff, v4
	v_cndmask_b32_e32 v4, 0xffff8000, v4, vcc_lo
	s_delay_alu instid0(VALU_DEP_1) | instskip(NEXT) | instid1(VALU_DEP_1)
	v_and_b32_e32 v4, 0xffff, v4
	v_lshrrev_b32_e32 v4, s48, v4
	s_delay_alu instid0(VALU_DEP_1) | instskip(NEXT) | instid1(VALU_DEP_1)
	v_and_b32_e32 v4, s55, v4
	v_lshl_or_b32 v4, v4, 4, v5
	ds_add_u32 v4, v94
	s_or_b32 exec_lo, exec_lo, s0
	s_delay_alu instid0(SALU_CYCLE_1)
	s_mov_b32 s0, exec_lo
	v_cmpx_lt_u32_e64 v45, v21
	s_cbranch_execnz .LBB1879_62
.LBB1879_47:                            ;   in Loop: Header=BB1879_21 Depth=2
	s_or_b32 exec_lo, exec_lo, s0
	s_delay_alu instid0(SALU_CYCLE_1)
	s_mov_b32 s0, exec_lo
	v_cmpx_lt_u32_e64 v46, v21
	s_cbranch_execz .LBB1879_63
.LBB1879_48:                            ;   in Loop: Header=BB1879_21 Depth=2
	v_cmp_lt_i16_e32 vcc_lo, -1, v17
	v_lshlrev_b32_e32 v5, 2, v48
	v_cndmask_b32_e64 v4, -1, 0xffff8000, vcc_lo
	s_delay_alu instid0(VALU_DEP_1) | instskip(NEXT) | instid1(VALU_DEP_1)
	v_xor_b32_e32 v4, v4, v17
	v_cmp_ne_u16_e32 vcc_lo, 0x7fff, v4
	v_cndmask_b32_e32 v4, 0xffff8000, v4, vcc_lo
	s_delay_alu instid0(VALU_DEP_1) | instskip(NEXT) | instid1(VALU_DEP_1)
	v_and_b32_e32 v4, 0xffff, v4
	v_lshrrev_b32_e32 v4, s48, v4
	s_delay_alu instid0(VALU_DEP_1) | instskip(NEXT) | instid1(VALU_DEP_1)
	v_and_b32_e32 v4, s55, v4
	v_lshl_or_b32 v4, v4, 4, v5
	ds_add_u32 v4, v94
	s_or_b32 exec_lo, exec_lo, s0
	s_delay_alu instid0(SALU_CYCLE_1)
	s_mov_b32 s0, exec_lo
	v_cmpx_lt_u32_e64 v47, v21
	s_cbranch_execnz .LBB1879_64
.LBB1879_49:                            ;   in Loop: Header=BB1879_21 Depth=2
	s_or_b32 exec_lo, exec_lo, s0
	s_delay_alu instid0(SALU_CYCLE_1)
	s_mov_b32 s0, exec_lo
	v_cmpx_lt_u32_e64 v51, v21
	s_cbranch_execz .LBB1879_65
.LBB1879_50:                            ;   in Loop: Header=BB1879_21 Depth=2
	v_cmp_lt_i16_e32 vcc_lo, -1, v15
	v_lshlrev_b32_e32 v5, 2, v48
	v_cndmask_b32_e64 v4, -1, 0xffff8000, vcc_lo
	s_delay_alu instid0(VALU_DEP_1) | instskip(NEXT) | instid1(VALU_DEP_1)
	v_xor_b32_e32 v4, v4, v15
	v_cmp_ne_u16_e32 vcc_lo, 0x7fff, v4
	v_cndmask_b32_e32 v4, 0xffff8000, v4, vcc_lo
	s_delay_alu instid0(VALU_DEP_1) | instskip(NEXT) | instid1(VALU_DEP_1)
	v_and_b32_e32 v4, 0xffff, v4
	v_lshrrev_b32_e32 v4, s48, v4
	s_delay_alu instid0(VALU_DEP_1) | instskip(NEXT) | instid1(VALU_DEP_1)
	v_and_b32_e32 v4, s55, v4
	v_lshl_or_b32 v4, v4, 4, v5
	ds_add_u32 v4, v94
	s_or_b32 exec_lo, exec_lo, s0
	s_delay_alu instid0(SALU_CYCLE_1)
	s_mov_b32 s0, exec_lo
	v_cmpx_lt_u32_e64 v52, v21
	s_cbranch_execnz .LBB1879_66
.LBB1879_51:                            ;   in Loop: Header=BB1879_21 Depth=2
	s_or_b32 exec_lo, exec_lo, s0
	s_delay_alu instid0(SALU_CYCLE_1)
	s_mov_b32 s0, exec_lo
	v_cmpx_lt_u32_e64 v53, v21
	s_cbranch_execz .LBB1879_67
.LBB1879_52:                            ;   in Loop: Header=BB1879_21 Depth=2
	v_cmp_lt_i16_e32 vcc_lo, -1, v13
	v_lshlrev_b32_e32 v5, 2, v48
	v_cndmask_b32_e64 v4, -1, 0xffff8000, vcc_lo
	s_delay_alu instid0(VALU_DEP_1) | instskip(NEXT) | instid1(VALU_DEP_1)
	v_xor_b32_e32 v4, v4, v13
	v_cmp_ne_u16_e32 vcc_lo, 0x7fff, v4
	v_cndmask_b32_e32 v4, 0xffff8000, v4, vcc_lo
	s_delay_alu instid0(VALU_DEP_1) | instskip(NEXT) | instid1(VALU_DEP_1)
	v_and_b32_e32 v4, 0xffff, v4
	v_lshrrev_b32_e32 v4, s48, v4
	s_delay_alu instid0(VALU_DEP_1) | instskip(NEXT) | instid1(VALU_DEP_1)
	v_and_b32_e32 v4, s55, v4
	v_lshl_or_b32 v4, v4, 4, v5
	ds_add_u32 v4, v94
	s_or_b32 exec_lo, exec_lo, s0
	s_delay_alu instid0(SALU_CYCLE_1)
	s_mov_b32 s0, exec_lo
	v_cmpx_lt_u32_e64 v54, v21
	s_cbranch_execnz .LBB1879_68
.LBB1879_53:                            ;   in Loop: Header=BB1879_21 Depth=2
	s_or_b32 exec_lo, exec_lo, s0
	s_delay_alu instid0(SALU_CYCLE_1)
	s_mov_b32 s0, exec_lo
	v_cmpx_lt_u32_e64 v55, v21
	s_cbranch_execz .LBB1879_69
.LBB1879_54:                            ;   in Loop: Header=BB1879_21 Depth=2
	v_cmp_lt_i16_e32 vcc_lo, -1, v11
	v_lshlrev_b32_e32 v5, 2, v48
	v_cndmask_b32_e64 v4, -1, 0xffff8000, vcc_lo
	s_delay_alu instid0(VALU_DEP_1) | instskip(NEXT) | instid1(VALU_DEP_1)
	v_xor_b32_e32 v4, v4, v11
	v_cmp_ne_u16_e32 vcc_lo, 0x7fff, v4
	v_cndmask_b32_e32 v4, 0xffff8000, v4, vcc_lo
	s_delay_alu instid0(VALU_DEP_1) | instskip(NEXT) | instid1(VALU_DEP_1)
	v_and_b32_e32 v4, 0xffff, v4
	v_lshrrev_b32_e32 v4, s48, v4
	s_delay_alu instid0(VALU_DEP_1) | instskip(NEXT) | instid1(VALU_DEP_1)
	v_and_b32_e32 v4, s55, v4
	v_lshl_or_b32 v4, v4, 4, v5
	ds_add_u32 v4, v94
	s_or_b32 exec_lo, exec_lo, s0
	s_delay_alu instid0(SALU_CYCLE_1)
	s_mov_b32 s0, exec_lo
	v_cmpx_lt_u32_e64 v56, v21
	s_cbranch_execnz .LBB1879_70
.LBB1879_55:                            ;   in Loop: Header=BB1879_21 Depth=2
	s_or_b32 exec_lo, exec_lo, s0
	s_delay_alu instid0(SALU_CYCLE_1)
	s_mov_b32 s0, exec_lo
	v_cmpx_lt_u32_e64 v57, v21
	s_cbranch_execz .LBB1879_71
.LBB1879_56:                            ;   in Loop: Header=BB1879_21 Depth=2
	v_cmp_lt_i16_e32 vcc_lo, -1, v9
	v_lshlrev_b32_e32 v5, 2, v48
	v_cndmask_b32_e64 v4, -1, 0xffff8000, vcc_lo
	s_delay_alu instid0(VALU_DEP_1) | instskip(NEXT) | instid1(VALU_DEP_1)
	v_xor_b32_e32 v4, v4, v9
	v_cmp_ne_u16_e32 vcc_lo, 0x7fff, v4
	v_cndmask_b32_e32 v4, 0xffff8000, v4, vcc_lo
	s_delay_alu instid0(VALU_DEP_1) | instskip(NEXT) | instid1(VALU_DEP_1)
	v_and_b32_e32 v4, 0xffff, v4
	v_lshrrev_b32_e32 v4, s48, v4
	s_delay_alu instid0(VALU_DEP_1) | instskip(NEXT) | instid1(VALU_DEP_1)
	v_and_b32_e32 v4, s55, v4
	v_lshl_or_b32 v4, v4, 4, v5
	ds_add_u32 v4, v94
	s_or_b32 exec_lo, exec_lo, s0
	s_delay_alu instid0(SALU_CYCLE_1)
	s_mov_b32 s0, exec_lo
	v_cmpx_lt_u32_e64 v58, v21
	s_cbranch_execnz .LBB1879_72
.LBB1879_57:                            ;   in Loop: Header=BB1879_21 Depth=2
	s_or_b32 exec_lo, exec_lo, s0
	s_delay_alu instid0(SALU_CYCLE_1)
	s_mov_b32 s0, exec_lo
	v_cmpx_lt_u32_e64 v59, v21
	s_cbranch_execz .LBB1879_73
.LBB1879_58:                            ;   in Loop: Header=BB1879_21 Depth=2
	v_cmp_lt_i16_e32 vcc_lo, -1, v7
	v_lshlrev_b32_e32 v5, 2, v48
	v_cndmask_b32_e64 v4, -1, 0xffff8000, vcc_lo
	s_delay_alu instid0(VALU_DEP_1) | instskip(NEXT) | instid1(VALU_DEP_1)
	v_xor_b32_e32 v4, v4, v7
	v_cmp_ne_u16_e32 vcc_lo, 0x7fff, v4
	v_cndmask_b32_e32 v4, 0xffff8000, v4, vcc_lo
	s_delay_alu instid0(VALU_DEP_1) | instskip(NEXT) | instid1(VALU_DEP_1)
	v_and_b32_e32 v4, 0xffff, v4
	v_lshrrev_b32_e32 v4, s48, v4
	s_delay_alu instid0(VALU_DEP_1) | instskip(NEXT) | instid1(VALU_DEP_1)
	v_and_b32_e32 v4, s55, v4
	v_lshl_or_b32 v4, v4, 4, v5
	ds_add_u32 v4, v94
	s_or_b32 exec_lo, exec_lo, s0
	s_delay_alu instid0(SALU_CYCLE_1)
	s_mov_b32 s0, exec_lo
	v_cmpx_lt_u32_e64 v60, v21
	s_cbranch_execnz .LBB1879_74
.LBB1879_59:                            ;   in Loop: Header=BB1879_21 Depth=2
	s_or_b32 exec_lo, exec_lo, s0
	s_delay_alu instid0(SALU_CYCLE_1)
	s_mov_b32 s0, exec_lo
	v_cmpx_lt_u32_e64 v61, v21
	s_cbranch_execz .LBB1879_75
.LBB1879_60:                            ;   in Loop: Header=BB1879_21 Depth=2
	v_cmp_lt_i16_e32 vcc_lo, -1, v2
	v_lshlrev_b32_e32 v5, 2, v48
	v_cndmask_b32_e64 v4, -1, 0xffff8000, vcc_lo
	s_delay_alu instid0(VALU_DEP_1) | instskip(NEXT) | instid1(VALU_DEP_1)
	v_xor_b32_e32 v4, v4, v2
	v_cmp_ne_u16_e32 vcc_lo, 0x7fff, v4
	v_cndmask_b32_e32 v4, 0xffff8000, v4, vcc_lo
	s_delay_alu instid0(VALU_DEP_1) | instskip(NEXT) | instid1(VALU_DEP_1)
	v_and_b32_e32 v4, 0xffff, v4
	v_lshrrev_b32_e32 v4, s48, v4
	s_delay_alu instid0(VALU_DEP_1) | instskip(NEXT) | instid1(VALU_DEP_1)
	v_and_b32_e32 v4, s55, v4
	v_lshl_or_b32 v4, v4, 4, v5
	ds_add_u32 v4, v94
	s_or_b32 exec_lo, exec_lo, s0
	s_delay_alu instid0(SALU_CYCLE_1)
	s_mov_b32 s0, exec_lo
	v_cmpx_lt_u32_e64 v63, v21
	s_cbranch_execz .LBB1879_20
	s_branch .LBB1879_76
.LBB1879_61:                            ;   in Loop: Header=BB1879_21 Depth=2
	s_or_b32 exec_lo, exec_lo, s0
	s_delay_alu instid0(SALU_CYCLE_1)
	s_mov_b32 s0, exec_lo
	v_cmpx_lt_u32_e64 v45, v21
	s_cbranch_execz .LBB1879_47
.LBB1879_62:                            ;   in Loop: Header=BB1879_21 Depth=2
	v_cmp_lt_i16_e32 vcc_lo, -1, v18
	v_lshlrev_b32_e32 v5, 2, v48
	v_cndmask_b32_e64 v4, -1, 0xffff8000, vcc_lo
	s_delay_alu instid0(VALU_DEP_1) | instskip(NEXT) | instid1(VALU_DEP_1)
	v_xor_b32_e32 v4, v4, v18
	v_cmp_ne_u16_e32 vcc_lo, 0x7fff, v4
	v_cndmask_b32_e32 v4, 0xffff8000, v4, vcc_lo
	s_delay_alu instid0(VALU_DEP_1) | instskip(NEXT) | instid1(VALU_DEP_1)
	v_and_b32_e32 v4, 0xffff, v4
	v_lshrrev_b32_e32 v4, s48, v4
	s_delay_alu instid0(VALU_DEP_1) | instskip(NEXT) | instid1(VALU_DEP_1)
	v_and_b32_e32 v4, s55, v4
	v_lshl_or_b32 v4, v4, 4, v5
	ds_add_u32 v4, v94
	s_or_b32 exec_lo, exec_lo, s0
	s_delay_alu instid0(SALU_CYCLE_1)
	s_mov_b32 s0, exec_lo
	v_cmpx_lt_u32_e64 v46, v21
	s_cbranch_execnz .LBB1879_48
.LBB1879_63:                            ;   in Loop: Header=BB1879_21 Depth=2
	s_or_b32 exec_lo, exec_lo, s0
	s_delay_alu instid0(SALU_CYCLE_1)
	s_mov_b32 s0, exec_lo
	v_cmpx_lt_u32_e64 v47, v21
	s_cbranch_execz .LBB1879_49
.LBB1879_64:                            ;   in Loop: Header=BB1879_21 Depth=2
	v_cmp_lt_i16_e32 vcc_lo, -1, v16
	v_lshlrev_b32_e32 v5, 2, v48
	v_cndmask_b32_e64 v4, -1, 0xffff8000, vcc_lo
	s_delay_alu instid0(VALU_DEP_1) | instskip(NEXT) | instid1(VALU_DEP_1)
	v_xor_b32_e32 v4, v4, v16
	v_cmp_ne_u16_e32 vcc_lo, 0x7fff, v4
	v_cndmask_b32_e32 v4, 0xffff8000, v4, vcc_lo
	s_delay_alu instid0(VALU_DEP_1) | instskip(NEXT) | instid1(VALU_DEP_1)
	v_and_b32_e32 v4, 0xffff, v4
	v_lshrrev_b32_e32 v4, s48, v4
	s_delay_alu instid0(VALU_DEP_1) | instskip(NEXT) | instid1(VALU_DEP_1)
	v_and_b32_e32 v4, s55, v4
	v_lshl_or_b32 v4, v4, 4, v5
	ds_add_u32 v4, v94
	s_or_b32 exec_lo, exec_lo, s0
	s_delay_alu instid0(SALU_CYCLE_1)
	s_mov_b32 s0, exec_lo
	v_cmpx_lt_u32_e64 v51, v21
	s_cbranch_execnz .LBB1879_50
.LBB1879_65:                            ;   in Loop: Header=BB1879_21 Depth=2
	s_or_b32 exec_lo, exec_lo, s0
	s_delay_alu instid0(SALU_CYCLE_1)
	s_mov_b32 s0, exec_lo
	v_cmpx_lt_u32_e64 v52, v21
	s_cbranch_execz .LBB1879_51
.LBB1879_66:                            ;   in Loop: Header=BB1879_21 Depth=2
	v_cmp_lt_i16_e32 vcc_lo, -1, v14
	v_lshlrev_b32_e32 v5, 2, v48
	v_cndmask_b32_e64 v4, -1, 0xffff8000, vcc_lo
	s_delay_alu instid0(VALU_DEP_1) | instskip(NEXT) | instid1(VALU_DEP_1)
	v_xor_b32_e32 v4, v4, v14
	v_cmp_ne_u16_e32 vcc_lo, 0x7fff, v4
	v_cndmask_b32_e32 v4, 0xffff8000, v4, vcc_lo
	s_delay_alu instid0(VALU_DEP_1) | instskip(NEXT) | instid1(VALU_DEP_1)
	v_and_b32_e32 v4, 0xffff, v4
	v_lshrrev_b32_e32 v4, s48, v4
	s_delay_alu instid0(VALU_DEP_1) | instskip(NEXT) | instid1(VALU_DEP_1)
	v_and_b32_e32 v4, s55, v4
	v_lshl_or_b32 v4, v4, 4, v5
	ds_add_u32 v4, v94
	s_or_b32 exec_lo, exec_lo, s0
	s_delay_alu instid0(SALU_CYCLE_1)
	s_mov_b32 s0, exec_lo
	v_cmpx_lt_u32_e64 v53, v21
	s_cbranch_execnz .LBB1879_52
.LBB1879_67:                            ;   in Loop: Header=BB1879_21 Depth=2
	s_or_b32 exec_lo, exec_lo, s0
	s_delay_alu instid0(SALU_CYCLE_1)
	s_mov_b32 s0, exec_lo
	v_cmpx_lt_u32_e64 v54, v21
	s_cbranch_execz .LBB1879_53
.LBB1879_68:                            ;   in Loop: Header=BB1879_21 Depth=2
	v_cmp_lt_i16_e32 vcc_lo, -1, v12
	v_lshlrev_b32_e32 v5, 2, v48
	v_cndmask_b32_e64 v4, -1, 0xffff8000, vcc_lo
	s_delay_alu instid0(VALU_DEP_1) | instskip(NEXT) | instid1(VALU_DEP_1)
	v_xor_b32_e32 v4, v4, v12
	v_cmp_ne_u16_e32 vcc_lo, 0x7fff, v4
	v_cndmask_b32_e32 v4, 0xffff8000, v4, vcc_lo
	s_delay_alu instid0(VALU_DEP_1) | instskip(NEXT) | instid1(VALU_DEP_1)
	v_and_b32_e32 v4, 0xffff, v4
	v_lshrrev_b32_e32 v4, s48, v4
	s_delay_alu instid0(VALU_DEP_1) | instskip(NEXT) | instid1(VALU_DEP_1)
	v_and_b32_e32 v4, s55, v4
	v_lshl_or_b32 v4, v4, 4, v5
	ds_add_u32 v4, v94
	s_or_b32 exec_lo, exec_lo, s0
	s_delay_alu instid0(SALU_CYCLE_1)
	s_mov_b32 s0, exec_lo
	v_cmpx_lt_u32_e64 v55, v21
	s_cbranch_execnz .LBB1879_54
.LBB1879_69:                            ;   in Loop: Header=BB1879_21 Depth=2
	s_or_b32 exec_lo, exec_lo, s0
	s_delay_alu instid0(SALU_CYCLE_1)
	s_mov_b32 s0, exec_lo
	v_cmpx_lt_u32_e64 v56, v21
	s_cbranch_execz .LBB1879_55
.LBB1879_70:                            ;   in Loop: Header=BB1879_21 Depth=2
	v_cmp_lt_i16_e32 vcc_lo, -1, v10
	v_lshlrev_b32_e32 v5, 2, v48
	v_cndmask_b32_e64 v4, -1, 0xffff8000, vcc_lo
	s_delay_alu instid0(VALU_DEP_1) | instskip(NEXT) | instid1(VALU_DEP_1)
	v_xor_b32_e32 v4, v4, v10
	v_cmp_ne_u16_e32 vcc_lo, 0x7fff, v4
	v_cndmask_b32_e32 v4, 0xffff8000, v4, vcc_lo
	s_delay_alu instid0(VALU_DEP_1) | instskip(NEXT) | instid1(VALU_DEP_1)
	v_and_b32_e32 v4, 0xffff, v4
	v_lshrrev_b32_e32 v4, s48, v4
	s_delay_alu instid0(VALU_DEP_1) | instskip(NEXT) | instid1(VALU_DEP_1)
	v_and_b32_e32 v4, s55, v4
	v_lshl_or_b32 v4, v4, 4, v5
	ds_add_u32 v4, v94
	s_or_b32 exec_lo, exec_lo, s0
	s_delay_alu instid0(SALU_CYCLE_1)
	s_mov_b32 s0, exec_lo
	v_cmpx_lt_u32_e64 v57, v21
	s_cbranch_execnz .LBB1879_56
.LBB1879_71:                            ;   in Loop: Header=BB1879_21 Depth=2
	s_or_b32 exec_lo, exec_lo, s0
	s_delay_alu instid0(SALU_CYCLE_1)
	s_mov_b32 s0, exec_lo
	v_cmpx_lt_u32_e64 v58, v21
	s_cbranch_execz .LBB1879_57
.LBB1879_72:                            ;   in Loop: Header=BB1879_21 Depth=2
	v_cmp_lt_i16_e32 vcc_lo, -1, v8
	v_lshlrev_b32_e32 v5, 2, v48
	v_cndmask_b32_e64 v4, -1, 0xffff8000, vcc_lo
	s_delay_alu instid0(VALU_DEP_1) | instskip(NEXT) | instid1(VALU_DEP_1)
	v_xor_b32_e32 v4, v4, v8
	v_cmp_ne_u16_e32 vcc_lo, 0x7fff, v4
	v_cndmask_b32_e32 v4, 0xffff8000, v4, vcc_lo
	s_delay_alu instid0(VALU_DEP_1) | instskip(NEXT) | instid1(VALU_DEP_1)
	v_and_b32_e32 v4, 0xffff, v4
	v_lshrrev_b32_e32 v4, s48, v4
	s_delay_alu instid0(VALU_DEP_1) | instskip(NEXT) | instid1(VALU_DEP_1)
	v_and_b32_e32 v4, s55, v4
	v_lshl_or_b32 v4, v4, 4, v5
	ds_add_u32 v4, v94
	s_or_b32 exec_lo, exec_lo, s0
	s_delay_alu instid0(SALU_CYCLE_1)
	s_mov_b32 s0, exec_lo
	v_cmpx_lt_u32_e64 v59, v21
	s_cbranch_execnz .LBB1879_58
.LBB1879_73:                            ;   in Loop: Header=BB1879_21 Depth=2
	s_or_b32 exec_lo, exec_lo, s0
	s_delay_alu instid0(SALU_CYCLE_1)
	s_mov_b32 s0, exec_lo
	v_cmpx_lt_u32_e64 v60, v21
	s_cbranch_execz .LBB1879_59
.LBB1879_74:                            ;   in Loop: Header=BB1879_21 Depth=2
	v_cmp_lt_i16_e32 vcc_lo, -1, v6
	v_lshlrev_b32_e32 v5, 2, v48
	v_cndmask_b32_e64 v4, -1, 0xffff8000, vcc_lo
	s_delay_alu instid0(VALU_DEP_1) | instskip(NEXT) | instid1(VALU_DEP_1)
	v_xor_b32_e32 v4, v4, v6
	v_cmp_ne_u16_e32 vcc_lo, 0x7fff, v4
	v_cndmask_b32_e32 v4, 0xffff8000, v4, vcc_lo
	s_delay_alu instid0(VALU_DEP_1) | instskip(NEXT) | instid1(VALU_DEP_1)
	v_and_b32_e32 v4, 0xffff, v4
	v_lshrrev_b32_e32 v4, s48, v4
	s_delay_alu instid0(VALU_DEP_1) | instskip(NEXT) | instid1(VALU_DEP_1)
	v_and_b32_e32 v4, s55, v4
	v_lshl_or_b32 v4, v4, 4, v5
	ds_add_u32 v4, v94
	s_or_b32 exec_lo, exec_lo, s0
	s_delay_alu instid0(SALU_CYCLE_1)
	s_mov_b32 s0, exec_lo
	v_cmpx_lt_u32_e64 v61, v21
	s_cbranch_execnz .LBB1879_60
.LBB1879_75:                            ;   in Loop: Header=BB1879_21 Depth=2
	s_or_b32 exec_lo, exec_lo, s0
	s_delay_alu instid0(SALU_CYCLE_1)
	s_mov_b32 s0, exec_lo
	v_cmpx_lt_u32_e64 v63, v21
	s_cbranch_execz .LBB1879_20
.LBB1879_76:                            ;   in Loop: Header=BB1879_21 Depth=2
	s_waitcnt vmcnt(0)
	v_cmp_lt_i16_e32 vcc_lo, -1, v20
	v_lshlrev_b32_e32 v5, 2, v48
	v_cndmask_b32_e64 v4, -1, 0xffff8000, vcc_lo
	s_delay_alu instid0(VALU_DEP_1) | instskip(NEXT) | instid1(VALU_DEP_1)
	v_xor_b32_e32 v4, v4, v20
	v_cmp_ne_u16_e32 vcc_lo, 0x7fff, v4
	v_cndmask_b32_e32 v4, 0xffff8000, v4, vcc_lo
	s_delay_alu instid0(VALU_DEP_1) | instskip(NEXT) | instid1(VALU_DEP_1)
	v_and_b32_e32 v4, 0xffff, v4
	v_lshrrev_b32_e32 v4, s48, v4
	s_delay_alu instid0(VALU_DEP_1) | instskip(NEXT) | instid1(VALU_DEP_1)
	v_and_b32_e32 v4, s55, v4
	v_lshl_or_b32 v4, v4, 4, v5
	ds_add_u32 v4, v94
	s_branch .LBB1879_20
.LBB1879_77:                            ;   in Loop: Header=BB1879_21 Depth=2
	s_or_b32 exec_lo, exec_lo, s11
	s_delay_alu instid0(SALU_CYCLE_1)
	s_mov_b32 s11, exec_lo
	v_cmpx_gt_u32_e64 s8, v45
	s_cbranch_execz .LBB1879_27
.LBB1879_78:                            ;   in Loop: Header=BB1879_21 Depth=2
	global_load_u16 v18, v95, s[0:1] offset:512
	s_or_b32 exec_lo, exec_lo, s11
	s_delay_alu instid0(SALU_CYCLE_1)
	s_mov_b32 s11, exec_lo
	v_cmpx_gt_u32_e64 s8, v46
	s_cbranch_execnz .LBB1879_28
.LBB1879_79:                            ;   in Loop: Header=BB1879_21 Depth=2
	s_or_b32 exec_lo, exec_lo, s11
	s_delay_alu instid0(SALU_CYCLE_1)
	s_mov_b32 s11, exec_lo
	v_cmpx_gt_u32_e64 s8, v47
	s_cbranch_execz .LBB1879_29
.LBB1879_80:                            ;   in Loop: Header=BB1879_21 Depth=2
	global_load_u16 v16, v95, s[0:1] offset:1536
	s_or_b32 exec_lo, exec_lo, s11
	s_delay_alu instid0(SALU_CYCLE_1)
	s_mov_b32 s11, exec_lo
	v_cmpx_gt_u32_e64 s8, v51
	s_cbranch_execnz .LBB1879_30
.LBB1879_81:                            ;   in Loop: Header=BB1879_21 Depth=2
	s_or_b32 exec_lo, exec_lo, s11
	s_delay_alu instid0(SALU_CYCLE_1)
	s_mov_b32 s11, exec_lo
	v_cmpx_gt_u32_e64 s8, v52
	s_cbranch_execz .LBB1879_31
.LBB1879_82:                            ;   in Loop: Header=BB1879_21 Depth=2
	global_load_u16 v14, v95, s[0:1] offset:2560
	s_or_b32 exec_lo, exec_lo, s11
	s_delay_alu instid0(SALU_CYCLE_1)
	s_mov_b32 s11, exec_lo
	v_cmpx_gt_u32_e64 s8, v53
	s_cbranch_execnz .LBB1879_32
.LBB1879_83:                            ;   in Loop: Header=BB1879_21 Depth=2
	s_or_b32 exec_lo, exec_lo, s11
	s_delay_alu instid0(SALU_CYCLE_1)
	s_mov_b32 s11, exec_lo
	v_cmpx_gt_u32_e64 s8, v54
	s_cbranch_execz .LBB1879_33
.LBB1879_84:                            ;   in Loop: Header=BB1879_21 Depth=2
	global_load_u16 v12, v95, s[0:1] offset:3584
	s_or_b32 exec_lo, exec_lo, s11
	s_delay_alu instid0(SALU_CYCLE_1)
	s_mov_b32 s11, exec_lo
	v_cmpx_gt_u32_e64 s8, v55
	s_cbranch_execnz .LBB1879_34
.LBB1879_85:                            ;   in Loop: Header=BB1879_21 Depth=2
	s_or_b32 exec_lo, exec_lo, s11
	s_delay_alu instid0(SALU_CYCLE_1)
	s_mov_b32 s11, exec_lo
	v_cmpx_gt_u32_e64 s8, v56
	s_cbranch_execz .LBB1879_35
.LBB1879_86:                            ;   in Loop: Header=BB1879_21 Depth=2
	global_load_u16 v10, v97, s[0:1]
	s_or_b32 exec_lo, exec_lo, s11
	s_delay_alu instid0(SALU_CYCLE_1)
	s_mov_b32 s11, exec_lo
	v_cmpx_gt_u32_e64 s8, v57
	s_cbranch_execnz .LBB1879_36
.LBB1879_87:                            ;   in Loop: Header=BB1879_21 Depth=2
	s_or_b32 exec_lo, exec_lo, s11
	s_delay_alu instid0(SALU_CYCLE_1)
	s_mov_b32 s11, exec_lo
	v_cmpx_gt_u32_e64 s8, v58
	s_cbranch_execz .LBB1879_37
.LBB1879_88:                            ;   in Loop: Header=BB1879_21 Depth=2
	global_load_u16 v8, v99, s[0:1]
	s_or_b32 exec_lo, exec_lo, s11
	s_delay_alu instid0(SALU_CYCLE_1)
	s_mov_b32 s11, exec_lo
	v_cmpx_gt_u32_e64 s8, v59
	s_cbranch_execnz .LBB1879_38
.LBB1879_89:                            ;   in Loop: Header=BB1879_21 Depth=2
	s_or_b32 exec_lo, exec_lo, s11
	s_delay_alu instid0(SALU_CYCLE_1)
	s_mov_b32 s11, exec_lo
	v_cmpx_gt_u32_e64 s8, v60
	s_cbranch_execz .LBB1879_39
.LBB1879_90:                            ;   in Loop: Header=BB1879_21 Depth=2
	global_load_u16 v6, v101, s[0:1]
	s_or_b32 exec_lo, exec_lo, s11
	s_delay_alu instid0(SALU_CYCLE_1)
	s_mov_b32 s11, exec_lo
	v_cmpx_gt_u32_e64 s8, v61
	s_cbranch_execz .LBB1879_41
	s_branch .LBB1879_40
.LBB1879_91:                            ;   in Loop: Header=BB1879_17 Depth=1
	v_mov_b32_e32 v2, 0
	s_waitcnt vmcnt(0) lgkmcnt(0)
	s_barrier
	buffer_gl0_inv
	s_and_saveexec_b32 s0, s2
	s_cbranch_execz .LBB1879_93
; %bb.92:                               ;   in Loop: Header=BB1879_17 Depth=1
	ds_load_2addr_b64 v[4:7], v64 offset1:1
	s_waitcnt lgkmcnt(0)
	v_add_nc_u32_e32 v2, v5, v4
	s_delay_alu instid0(VALU_DEP_1)
	v_add3_u32 v2, v2, v6, v7
.LBB1879_93:                            ;   in Loop: Header=BB1879_17 Depth=1
	s_or_b32 exec_lo, exec_lo, s0
	v_and_b32_e32 v4, 15, v104
	s_delay_alu instid0(VALU_DEP_2) | instskip(SKIP_1) | instid1(VALU_DEP_3)
	v_mov_b32_dpp v5, v2 row_shr:1 row_mask:0xf bank_mask:0xf
	v_and_b32_e32 v6, 16, v104
	v_cmp_eq_u32_e64 s0, 0, v4
	v_cmp_lt_u32_e64 s1, 1, v4
	v_cmp_lt_u32_e64 s8, 3, v4
	;; [unrolled: 1-line block ×3, first 2 shown]
	v_cmp_eq_u32_e64 s10, 0, v6
	v_cndmask_b32_e64 v5, v5, 0, s0
	s_delay_alu instid0(VALU_DEP_1) | instskip(NEXT) | instid1(VALU_DEP_1)
	v_add_nc_u32_e32 v2, v5, v2
	v_mov_b32_dpp v5, v2 row_shr:2 row_mask:0xf bank_mask:0xf
	s_delay_alu instid0(VALU_DEP_1) | instskip(NEXT) | instid1(VALU_DEP_1)
	v_cndmask_b32_e64 v5, 0, v5, s1
	v_add_nc_u32_e32 v2, v2, v5
	s_delay_alu instid0(VALU_DEP_1) | instskip(NEXT) | instid1(VALU_DEP_1)
	v_mov_b32_dpp v5, v2 row_shr:4 row_mask:0xf bank_mask:0xf
	v_cndmask_b32_e64 v5, 0, v5, s8
	s_delay_alu instid0(VALU_DEP_1) | instskip(NEXT) | instid1(VALU_DEP_1)
	v_add_nc_u32_e32 v2, v2, v5
	v_mov_b32_dpp v5, v2 row_shr:8 row_mask:0xf bank_mask:0xf
	s_delay_alu instid0(VALU_DEP_1) | instskip(SKIP_1) | instid1(VALU_DEP_2)
	v_cndmask_b32_e64 v4, 0, v5, s9
	v_bfe_i32 v5, v104, 4, 1
	v_add_nc_u32_e32 v2, v2, v4
	ds_swizzle_b32 v4, v2 offset:swizzle(BROADCAST,32,15)
	s_waitcnt lgkmcnt(0)
	v_and_b32_e32 v4, v5, v4
	s_delay_alu instid0(VALU_DEP_1)
	v_add_nc_u32_e32 v4, v2, v4
	s_and_saveexec_b32 s11, s3
	s_cbranch_execz .LBB1879_95
; %bb.94:                               ;   in Loop: Header=BB1879_17 Depth=1
	ds_store_b32 v65, v4
.LBB1879_95:                            ;   in Loop: Header=BB1879_17 Depth=1
	s_or_b32 exec_lo, exec_lo, s11
	v_and_b32_e32 v2, 7, v104
	s_waitcnt lgkmcnt(0)
	s_barrier
	buffer_gl0_inv
	s_and_saveexec_b32 s11, s4
	s_cbranch_execz .LBB1879_97
; %bb.96:                               ;   in Loop: Header=BB1879_17 Depth=1
	ds_load_b32 v5, v66
	v_cmp_ne_u32_e32 vcc_lo, 0, v2
	s_waitcnt lgkmcnt(0)
	v_mov_b32_dpp v6, v5 row_shr:1 row_mask:0xf bank_mask:0xf
	s_delay_alu instid0(VALU_DEP_1) | instskip(SKIP_1) | instid1(VALU_DEP_2)
	v_cndmask_b32_e32 v6, 0, v6, vcc_lo
	v_cmp_lt_u32_e32 vcc_lo, 1, v2
	v_add_nc_u32_e32 v5, v6, v5
	s_delay_alu instid0(VALU_DEP_1) | instskip(NEXT) | instid1(VALU_DEP_1)
	v_mov_b32_dpp v6, v5 row_shr:2 row_mask:0xf bank_mask:0xf
	v_cndmask_b32_e32 v6, 0, v6, vcc_lo
	v_cmp_lt_u32_e32 vcc_lo, 3, v2
	s_delay_alu instid0(VALU_DEP_2) | instskip(NEXT) | instid1(VALU_DEP_1)
	v_add_nc_u32_e32 v5, v5, v6
	v_mov_b32_dpp v6, v5 row_shr:4 row_mask:0xf bank_mask:0xf
	s_delay_alu instid0(VALU_DEP_1) | instskip(NEXT) | instid1(VALU_DEP_1)
	v_cndmask_b32_e32 v6, 0, v6, vcc_lo
	v_add_nc_u32_e32 v5, v5, v6
	ds_store_b32 v66, v5
.LBB1879_97:                            ;   in Loop: Header=BB1879_17 Depth=1
	s_or_b32 exec_lo, exec_lo, s11
	v_mov_b32_e32 v5, 0
	s_waitcnt lgkmcnt(0)
	s_barrier
	buffer_gl0_inv
	s_and_saveexec_b32 s11, s5
	s_cbranch_execz .LBB1879_99
; %bb.98:                               ;   in Loop: Header=BB1879_17 Depth=1
	ds_load_b32 v5, v67
.LBB1879_99:                            ;   in Loop: Header=BB1879_17 Depth=1
	s_or_b32 exec_lo, exec_lo, s11
	v_add_nc_u32_e32 v6, -1, v104
	s_waitcnt lgkmcnt(0)
	v_add_nc_u32_e32 v4, v5, v4
	v_cmp_eq_u32_e64 s11, 0, v104
	s_barrier
	v_cmp_gt_i32_e32 vcc_lo, 0, v6
	buffer_gl0_inv
	v_cndmask_b32_e32 v6, v6, v104, vcc_lo
	s_delay_alu instid0(VALU_DEP_1)
	v_lshlrev_b32_e32 v105, 2, v6
	ds_bpermute_b32 v4, v105, v4
	s_and_saveexec_b32 s12, s2
	s_cbranch_execz .LBB1879_101
; %bb.100:                              ;   in Loop: Header=BB1879_17 Depth=1
	s_waitcnt lgkmcnt(0)
	v_cndmask_b32_e64 v4, v4, v5, s11
	s_delay_alu instid0(VALU_DEP_1)
	v_add_nc_u32_e32 v4, s52, v4
	ds_store_b32 v44, v4
.LBB1879_101:                           ;   in Loop: Header=BB1879_17 Depth=1
	s_or_b32 exec_lo, exec_lo, s12
	s_clause 0x1
	s_load_b32 s12, s[42:43], 0x4
	s_load_b32 s17, s[42:43], 0xc
	v_lshlrev_b32_e32 v5, 3, v104
	v_cmp_lt_u32_e64 s16, 3, v2
	v_or_b32_e32 v106, v104, v68
	s_mov_b32 s56, s54
	s_mov_b32 s34, s52
	v_add_co_u32 v107, vcc_lo, v74, v5
	v_add_co_ci_u32_e32 v108, vcc_lo, 0, v75, vcc_lo
	v_or_b32_e32 v109, 32, v106
	v_or_b32_e32 v110, 64, v106
	;; [unrolled: 1-line block ×9, first 2 shown]
	s_waitcnt lgkmcnt(0)
	s_cmp_lt_u32 s15, s12
	v_or_b32_e32 v118, 0x140, v106
	s_cselect_b32 s12, 14, 20
	v_or_b32_e32 v119, 0x160, v106
	s_add_u32 s12, s42, s12
	s_addc_u32 s13, s43, 0
	s_and_b32 s17, s17, 0xffff
	global_load_u16 v4, v3, s[12:13]
	v_cmp_eq_u32_e64 s12, 0, v2
	v_cmp_lt_u32_e64 s13, 1, v2
	v_lshlrev_b32_e32 v2, 1, v104
	v_or_b32_e32 v120, 0x180, v106
	v_or_b32_e32 v121, 0x1a0, v106
	;; [unrolled: 1-line block ×4, first 2 shown]
	v_add_co_u32 v124, vcc_lo, v76, v2
	v_add_co_ci_u32_e32 v125, vcc_lo, 0, v77, vcc_lo
                                        ; implicit-def: $vgpr8_vgpr9
                                        ; implicit-def: $vgpr10_vgpr11
                                        ; implicit-def: $vgpr12_vgpr13
                                        ; implicit-def: $vgpr14_vgpr15
                                        ; implicit-def: $vgpr16_vgpr17
                                        ; implicit-def: $vgpr18_vgpr19
                                        ; implicit-def: $vgpr20_vgpr21
                                        ; implicit-def: $vgpr22_vgpr23
                                        ; implicit-def: $vgpr24_vgpr25
                                        ; implicit-def: $vgpr26_vgpr27
                                        ; implicit-def: $vgpr28_vgpr29
                                        ; implicit-def: $vgpr30_vgpr31
                                        ; implicit-def: $vgpr32_vgpr33
                                        ; implicit-def: $vgpr34_vgpr35
                                        ; implicit-def: $vgpr129
                                        ; implicit-def: $vgpr130
                                        ; implicit-def: $vgpr131
                                        ; implicit-def: $vgpr132
                                        ; implicit-def: $vgpr133
                                        ; implicit-def: $vgpr134
                                        ; implicit-def: $vgpr135
                                        ; implicit-def: $vgpr136
                                        ; implicit-def: $vgpr137
                                        ; implicit-def: $vgpr138
                                        ; implicit-def: $vgpr139
                                        ; implicit-def: $vgpr140
                                        ; implicit-def: $vgpr141
                                        ; implicit-def: $vgpr142
                                        ; implicit-def: $vgpr143
                                        ; implicit-def: $vgpr144
	s_delay_alu instid0(VALU_DEP_2) | instskip(NEXT) | instid1(VALU_DEP_2)
	v_add_co_u32 v127, vcc_lo, 0x3c0, v124
	v_add_co_ci_u32_e32 v128, vcc_lo, 0, v125, vcc_lo
	s_waitcnt vmcnt(0)
	v_mad_u32_u24 v6, v70, v4, v0
	s_delay_alu instid0(VALU_DEP_1) | instskip(NEXT) | instid1(VALU_DEP_1)
	v_mad_u64_u32 v[4:5], null, v6, s17, v[1:2]
                                        ; implicit-def: $vgpr6_vgpr7
	v_lshrrev_b32_e32 v126, 5, v4
                                        ; implicit-def: $vgpr4_vgpr5
	s_branch .LBB1879_103
.LBB1879_102:                           ;   in Loop: Header=BB1879_103 Depth=2
	s_or_b32 exec_lo, exec_lo, s17
	s_addk_i32 s56, 0xf000
	s_cmp_lt_u32 s57, s53
	s_mov_b32 s34, s57
	s_cbranch_scc0 .LBB1879_311
.LBB1879_103:                           ;   Parent Loop BB1879_17 Depth=1
                                        ; =>  This Inner Loop Header: Depth=2
	s_add_i32 s57, s34, 0x1000
	s_delay_alu instid0(SALU_CYCLE_1)
	s_cmp_gt_u32 s57, s53
	s_cbranch_scc1 .LBB1879_106
; %bb.104:                              ;   in Loop: Header=BB1879_103 Depth=2
	s_mov_b32 s19, 0
	s_mov_b32 s18, s34
	s_movk_i32 s17, 0x1000
	s_lshl_b64 s[20:21], s[18:19], 1
	s_delay_alu instid0(SALU_CYCLE_1)
	v_add_co_u32 v36, vcc_lo, v124, s20
	v_add_co_ci_u32_e32 v37, vcc_lo, s21, v125, vcc_lo
	s_mov_b32 s20, -1
	s_clause 0xe
	global_load_u16 v2, v[36:37], off
	global_load_u16 v146, v[36:37], off offset:64
	global_load_u16 v149, v[36:37], off offset:128
	;; [unrolled: 1-line block ×14, first 2 shown]
	s_cbranch_execz .LBB1879_107
; %bb.105:                              ;   in Loop: Header=BB1879_103 Depth=2
                                        ; implicit-def: $sgpr21
	v_dual_mov_b32 v36, s21 :: v_dual_mov_b32 v145, s56
	s_and_saveexec_b32 s21, s20
	s_cbranch_execnz .LBB1879_138
	s_branch .LBB1879_139
.LBB1879_106:                           ;   in Loop: Header=BB1879_103 Depth=2
	s_mov_b32 s19, -1
	s_mov_b32 s20, 0
                                        ; implicit-def: $sgpr17
                                        ; implicit-def: $vgpr2
                                        ; implicit-def: $vgpr146
                                        ; implicit-def: $vgpr149
                                        ; implicit-def: $vgpr153
                                        ; implicit-def: $vgpr157
                                        ; implicit-def: $vgpr161
                                        ; implicit-def: $vgpr165
                                        ; implicit-def: $vgpr170
                                        ; implicit-def: $vgpr169
                                        ; implicit-def: $vgpr43
                                        ; implicit-def: $vgpr42
                                        ; implicit-def: $vgpr41
                                        ; implicit-def: $vgpr40
                                        ; implicit-def: $vgpr39
                                        ; implicit-def: $vgpr38
.LBB1879_107:                           ;   in Loop: Header=BB1879_103 Depth=2
	s_lshl_b64 s[18:19], s[34:35], 1
	s_waitcnt vmcnt(13)
	v_mov_b32_e32 v146, 0x7fff
	v_add_co_u32 v36, vcc_lo, v124, s18
	v_add_co_ci_u32_e32 v37, vcc_lo, s19, v125, vcc_lo
	v_mov_b32_e32 v2, 0x7fff
	s_mov_b32 s17, exec_lo
	v_cmpx_gt_u32_e64 s56, v106
	s_cbranch_execz .LBB1879_109
; %bb.108:                              ;   in Loop: Header=BB1879_103 Depth=2
	global_load_u16 v2, v[36:37], off
.LBB1879_109:                           ;   in Loop: Header=BB1879_103 Depth=2
	s_or_b32 exec_lo, exec_lo, s17
	s_delay_alu instid0(SALU_CYCLE_1)
	s_mov_b32 s17, exec_lo
	v_cmpx_gt_u32_e64 s56, v109
	s_cbranch_execz .LBB1879_111
; %bb.110:                              ;   in Loop: Header=BB1879_103 Depth=2
	global_load_u16 v146, v[36:37], off offset:64
.LBB1879_111:                           ;   in Loop: Header=BB1879_103 Depth=2
	s_or_b32 exec_lo, exec_lo, s17
	s_waitcnt vmcnt(11)
	v_mov_b32_e32 v153, 0x7fff
	v_mov_b32_e32 v149, 0x7fff
	s_mov_b32 s17, exec_lo
	v_cmpx_gt_u32_e64 s56, v110
	s_cbranch_execz .LBB1879_113
; %bb.112:                              ;   in Loop: Header=BB1879_103 Depth=2
	global_load_u16 v149, v[36:37], off offset:128
.LBB1879_113:                           ;   in Loop: Header=BB1879_103 Depth=2
	s_or_b32 exec_lo, exec_lo, s17
	s_delay_alu instid0(SALU_CYCLE_1)
	s_mov_b32 s17, exec_lo
	v_cmpx_gt_u32_e64 s56, v111
	s_cbranch_execz .LBB1879_115
; %bb.114:                              ;   in Loop: Header=BB1879_103 Depth=2
	global_load_u16 v153, v[36:37], off offset:192
.LBB1879_115:                           ;   in Loop: Header=BB1879_103 Depth=2
	s_or_b32 exec_lo, exec_lo, s17
	s_waitcnt vmcnt(9)
	v_mov_b32_e32 v161, 0x7fff
	v_mov_b32_e32 v157, 0x7fff
	s_mov_b32 s17, exec_lo
	v_cmpx_gt_u32_e64 s56, v112
	s_cbranch_execz .LBB1879_117
; %bb.116:                              ;   in Loop: Header=BB1879_103 Depth=2
	global_load_u16 v157, v[36:37], off offset:256
.LBB1879_117:                           ;   in Loop: Header=BB1879_103 Depth=2
	s_or_b32 exec_lo, exec_lo, s17
	s_delay_alu instid0(SALU_CYCLE_1)
	s_mov_b32 s17, exec_lo
	v_cmpx_gt_u32_e64 s56, v113
	s_cbranch_execz .LBB1879_119
; %bb.118:                              ;   in Loop: Header=BB1879_103 Depth=2
	global_load_u16 v161, v[36:37], off offset:320
.LBB1879_119:                           ;   in Loop: Header=BB1879_103 Depth=2
	s_or_b32 exec_lo, exec_lo, s17
	s_waitcnt vmcnt(7)
	v_dual_mov_b32 v170, 0x7fff :: v_dual_mov_b32 v165, 0x7fff
	s_mov_b32 s17, exec_lo
	v_cmpx_gt_u32_e64 s56, v114
	s_cbranch_execz .LBB1879_121
; %bb.120:                              ;   in Loop: Header=BB1879_103 Depth=2
	global_load_u16 v165, v[36:37], off offset:384
.LBB1879_121:                           ;   in Loop: Header=BB1879_103 Depth=2
	s_or_b32 exec_lo, exec_lo, s17
	s_delay_alu instid0(SALU_CYCLE_1)
	s_mov_b32 s17, exec_lo
	v_cmpx_gt_u32_e64 s56, v115
	s_cbranch_execz .LBB1879_123
; %bb.122:                              ;   in Loop: Header=BB1879_103 Depth=2
	global_load_u16 v170, v[36:37], off offset:448
.LBB1879_123:                           ;   in Loop: Header=BB1879_103 Depth=2
	s_or_b32 exec_lo, exec_lo, s17
	s_waitcnt vmcnt(5)
	v_mov_b32_e32 v43, 0x7fff
	v_mov_b32_e32 v169, 0x7fff
	s_mov_b32 s17, exec_lo
	v_cmpx_gt_u32_e64 s56, v116
	s_cbranch_execz .LBB1879_125
; %bb.124:                              ;   in Loop: Header=BB1879_103 Depth=2
	global_load_u16 v169, v[36:37], off offset:512
.LBB1879_125:                           ;   in Loop: Header=BB1879_103 Depth=2
	s_or_b32 exec_lo, exec_lo, s17
	s_delay_alu instid0(SALU_CYCLE_1)
	s_mov_b32 s17, exec_lo
	v_cmpx_gt_u32_e64 s56, v117
	s_cbranch_execz .LBB1879_127
; %bb.126:                              ;   in Loop: Header=BB1879_103 Depth=2
	global_load_u16 v43, v[36:37], off offset:576
.LBB1879_127:                           ;   in Loop: Header=BB1879_103 Depth=2
	s_or_b32 exec_lo, exec_lo, s17
	s_waitcnt vmcnt(3)
	v_dual_mov_b32 v41, 0x7fff :: v_dual_mov_b32 v42, 0x7fff
	s_mov_b32 s17, exec_lo
	v_cmpx_gt_u32_e64 s56, v118
	s_cbranch_execz .LBB1879_129
; %bb.128:                              ;   in Loop: Header=BB1879_103 Depth=2
	global_load_u16 v42, v[36:37], off offset:640
.LBB1879_129:                           ;   in Loop: Header=BB1879_103 Depth=2
	s_or_b32 exec_lo, exec_lo, s17
	s_delay_alu instid0(SALU_CYCLE_1)
	s_mov_b32 s17, exec_lo
	v_cmpx_gt_u32_e64 s56, v119
	s_cbranch_execz .LBB1879_131
; %bb.130:                              ;   in Loop: Header=BB1879_103 Depth=2
	global_load_u16 v41, v[36:37], off offset:704
.LBB1879_131:                           ;   in Loop: Header=BB1879_103 Depth=2
	s_or_b32 exec_lo, exec_lo, s17
	s_waitcnt vmcnt(1)
	v_dual_mov_b32 v39, 0x7fff :: v_dual_mov_b32 v40, 0x7fff
	s_mov_b32 s17, exec_lo
	v_cmpx_gt_u32_e64 s56, v120
	s_cbranch_execz .LBB1879_133
; %bb.132:                              ;   in Loop: Header=BB1879_103 Depth=2
	global_load_u16 v40, v[36:37], off offset:768
.LBB1879_133:                           ;   in Loop: Header=BB1879_103 Depth=2
	s_or_b32 exec_lo, exec_lo, s17
	s_delay_alu instid0(SALU_CYCLE_1)
	s_mov_b32 s17, exec_lo
	v_cmpx_gt_u32_e64 s56, v121
	s_cbranch_execz .LBB1879_135
; %bb.134:                              ;   in Loop: Header=BB1879_103 Depth=2
	global_load_u16 v39, v[36:37], off offset:832
.LBB1879_135:                           ;   in Loop: Header=BB1879_103 Depth=2
	s_or_b32 exec_lo, exec_lo, s17
	s_waitcnt vmcnt(0)
	v_mov_b32_e32 v38, 0x7fff
	s_mov_b32 s17, exec_lo
	v_cmpx_gt_u32_e64 s56, v122
	s_cbranch_execz .LBB1879_137
; %bb.136:                              ;   in Loop: Header=BB1879_103 Depth=2
	global_load_u16 v38, v[36:37], off offset:896
.LBB1879_137:                           ;   in Loop: Header=BB1879_103 Depth=2
	s_or_b32 exec_lo, exec_lo, s17
	v_cmp_gt_u32_e64 s20, s56, v123
	s_sub_i32 s17, s53, s34
	s_movk_i32 s21, 0x7fff
	s_mov_b64 s[18:19], s[34:35]
	v_dual_mov_b32 v36, s21 :: v_dual_mov_b32 v145, s56
	s_and_saveexec_b32 s21, s20
	s_cbranch_execz .LBB1879_139
.LBB1879_138:                           ;   in Loop: Header=BB1879_103 Depth=2
	s_lshl_b64 s[18:19], s[18:19], 1
	v_mov_b32_e32 v145, s17
	v_add_co_u32 v36, vcc_lo, v127, s18
	v_add_co_ci_u32_e32 v37, vcc_lo, s19, v128, vcc_lo
	global_load_u16 v36, v[36:37], off
.LBB1879_139:                           ;   in Loop: Header=BB1879_103 Depth=2
	s_or_b32 exec_lo, exec_lo, s21
	s_waitcnt vmcnt(14)
	v_cmp_lt_i16_e32 vcc_lo, -1, v2
	ds_store_b32 v69, v3 offset:1056
	ds_store_2addr_b32 v71, v3, v3 offset0:1 offset1:2
	ds_store_2addr_b32 v71, v3, v3 offset0:3 offset1:4
	;; [unrolled: 1-line block ×4, first 2 shown]
	s_waitcnt vmcnt(0) lgkmcnt(0)
	s_barrier
	v_cndmask_b32_e64 v37, -1, 0xffff8000, vcc_lo
	buffer_gl0_inv
	; wave barrier
	v_xor_b32_e32 v2, v37, v2
	s_delay_alu instid0(VALU_DEP_1) | instskip(SKIP_1) | instid1(VALU_DEP_1)
	v_cmp_ne_u16_e32 vcc_lo, 0x7fff, v2
	v_cndmask_b32_e32 v37, 0xffff8000, v2, vcc_lo
	v_and_b32_e32 v37, 0xffff, v37
	s_delay_alu instid0(VALU_DEP_1) | instskip(NEXT) | instid1(VALU_DEP_1)
	v_lshrrev_b32_e32 v37, s48, v37
	v_and_b32_e32 v148, s55, v37
	s_delay_alu instid0(VALU_DEP_1)
	v_lshlrev_b32_e32 v150, 29, v148
	v_and_b32_e32 v37, 1, v148
	v_lshlrev_b32_e32 v147, 30, v148
	v_lshlrev_b32_e32 v151, 28, v148
	v_lshlrev_b32_e32 v154, 27, v148
	v_lshlrev_b32_e32 v155, 26, v148
	v_add_co_u32 v37, s17, v37, -1
	s_delay_alu instid0(VALU_DEP_1)
	v_cndmask_b32_e64 v152, 0, 1, s17
	v_not_b32_e32 v158, v147
	v_cmp_gt_i32_e64 s17, 0, v147
	v_not_b32_e32 v147, v150
	v_lshlrev_b32_e32 v156, 25, v148
	v_cmp_ne_u32_e32 vcc_lo, 0, v152
	v_ashrrev_i32_e32 v158, 31, v158
	v_lshlrev_b32_e32 v152, 24, v148
	v_ashrrev_i32_e32 v147, 31, v147
	v_mad_u32_u24 v148, v148, 9, v126
	v_xor_b32_e32 v37, vcc_lo, v37
	v_cmp_gt_i32_e32 vcc_lo, 0, v150
	v_not_b32_e32 v150, v151
	v_xor_b32_e32 v158, s17, v158
	v_cmp_gt_i32_e64 s17, 0, v151
	v_and_b32_e32 v37, exec_lo, v37
	v_not_b32_e32 v151, v154
	v_ashrrev_i32_e32 v150, 31, v150
	v_xor_b32_e32 v147, vcc_lo, v147
	v_cmp_gt_i32_e32 vcc_lo, 0, v154
	v_and_b32_e32 v37, v37, v158
	v_not_b32_e32 v154, v155
	v_ashrrev_i32_e32 v151, 31, v151
	v_xor_b32_e32 v150, s17, v150
	v_cmp_gt_i32_e64 s17, 0, v155
	v_and_b32_e32 v37, v37, v147
	v_not_b32_e32 v147, v156
	v_ashrrev_i32_e32 v154, 31, v154
	v_xor_b32_e32 v151, vcc_lo, v151
	v_cmp_gt_i32_e32 vcc_lo, 0, v156
	v_and_b32_e32 v37, v37, v150
	v_not_b32_e32 v150, v152
	v_ashrrev_i32_e32 v147, 31, v147
	v_xor_b32_e32 v154, s17, v154
	v_cmp_gt_i32_e64 s17, 0, v152
	v_and_b32_e32 v37, v37, v151
	v_ashrrev_i32_e32 v150, 31, v150
	v_xor_b32_e32 v147, vcc_lo, v147
	v_lshl_add_u32 v148, v148, 2, 0x420
	s_delay_alu instid0(VALU_DEP_4) | instskip(NEXT) | instid1(VALU_DEP_4)
	v_and_b32_e32 v37, v37, v154
	v_xor_b32_e32 v150, s17, v150
	s_delay_alu instid0(VALU_DEP_2) | instskip(NEXT) | instid1(VALU_DEP_1)
	v_and_b32_e32 v37, v37, v147
	v_and_b32_e32 v37, v37, v150
	s_delay_alu instid0(VALU_DEP_1) | instskip(SKIP_1) | instid1(VALU_DEP_2)
	v_mbcnt_lo_u32_b32 v147, v37, 0
	v_cmp_ne_u32_e64 s17, 0, v37
	v_cmp_eq_u32_e32 vcc_lo, 0, v147
	s_delay_alu instid0(VALU_DEP_2) | instskip(NEXT) | instid1(SALU_CYCLE_1)
	s_and_b32 s18, s17, vcc_lo
	s_and_saveexec_b32 s17, s18
	s_cbranch_execz .LBB1879_141
; %bb.140:                              ;   in Loop: Header=BB1879_103 Depth=2
	v_bcnt_u32_b32 v37, v37, 0
	ds_store_b32 v148, v37
.LBB1879_141:                           ;   in Loop: Header=BB1879_103 Depth=2
	s_or_b32 exec_lo, exec_lo, s17
	v_cmp_lt_i16_e64 vcc_lo, -1, v146
	; wave barrier
	s_delay_alu instid0(VALU_DEP_1) | instskip(NEXT) | instid1(VALU_DEP_1)
	v_cndmask_b32_e64 v37, -1, 0xffff8000, vcc_lo
	v_xor_b32_e32 v146, v37, v146
	s_delay_alu instid0(VALU_DEP_1) | instskip(SKIP_1) | instid1(VALU_DEP_1)
	v_cmp_ne_u16_e64 vcc_lo, 0x7fff, v146
	v_cndmask_b32_e32 v37, 0xffff8000, v146, vcc_lo
	v_and_b32_e32 v37, 0xffff, v37
	s_delay_alu instid0(VALU_DEP_1) | instskip(NEXT) | instid1(VALU_DEP_1)
	v_lshrrev_b32_e32 v37, s48, v37
	v_and_b32_e32 v37, s55, v37
	s_delay_alu instid0(VALU_DEP_1)
	v_and_b32_e32 v150, 1, v37
	v_lshlrev_b32_e32 v151, 30, v37
	v_lshlrev_b32_e32 v152, 29, v37
	;; [unrolled: 1-line block ×4, first 2 shown]
	v_add_co_u32 v150, s17, v150, -1
	s_delay_alu instid0(VALU_DEP_1)
	v_cndmask_b32_e64 v155, 0, 1, s17
	v_not_b32_e32 v160, v151
	v_cmp_gt_i32_e64 s17, 0, v151
	v_not_b32_e32 v151, v152
	v_lshlrev_b32_e32 v158, 26, v37
	v_cmp_ne_u32_e32 vcc_lo, 0, v155
	v_ashrrev_i32_e32 v160, 31, v160
	v_lshlrev_b32_e32 v159, 25, v37
	v_ashrrev_i32_e32 v151, 31, v151
	v_lshlrev_b32_e32 v155, 24, v37
	v_xor_b32_e32 v150, vcc_lo, v150
	v_cmp_gt_i32_e32 vcc_lo, 0, v152
	v_not_b32_e32 v152, v154
	v_xor_b32_e32 v160, s17, v160
	v_cmp_gt_i32_e64 s17, 0, v154
	v_and_b32_e32 v150, exec_lo, v150
	v_not_b32_e32 v154, v156
	v_ashrrev_i32_e32 v152, 31, v152
	v_xor_b32_e32 v151, vcc_lo, v151
	v_cmp_gt_i32_e32 vcc_lo, 0, v156
	v_and_b32_e32 v150, v150, v160
	v_not_b32_e32 v156, v158
	v_ashrrev_i32_e32 v154, 31, v154
	v_xor_b32_e32 v152, s17, v152
	v_cmp_gt_i32_e64 s17, 0, v158
	v_and_b32_e32 v150, v150, v151
	v_not_b32_e32 v151, v159
	v_ashrrev_i32_e32 v156, 31, v156
	v_xor_b32_e32 v154, vcc_lo, v154
	v_cmp_gt_i32_e32 vcc_lo, 0, v159
	v_and_b32_e32 v150, v150, v152
	v_not_b32_e32 v152, v155
	v_ashrrev_i32_e32 v151, 31, v151
	v_xor_b32_e32 v156, s17, v156
	v_mul_u32_u24_e32 v37, 9, v37
	v_and_b32_e32 v150, v150, v154
	v_cmp_gt_i32_e64 s17, 0, v155
	v_ashrrev_i32_e32 v152, 31, v152
	v_xor_b32_e32 v151, vcc_lo, v151
	v_add_lshl_u32 v154, v37, v126, 2
	v_and_b32_e32 v150, v150, v156
	s_delay_alu instid0(VALU_DEP_4) | instskip(NEXT) | instid1(VALU_DEP_3)
	v_xor_b32_e32 v37, s17, v152
	v_add_nc_u32_e32 v152, 0x420, v154
	s_delay_alu instid0(VALU_DEP_3) | instskip(SKIP_2) | instid1(VALU_DEP_1)
	v_and_b32_e32 v151, v150, v151
	ds_load_b32 v150, v154 offset:1056
	; wave barrier
	v_and_b32_e32 v37, v151, v37
	v_mbcnt_lo_u32_b32 v151, v37, 0
	v_cmp_ne_u32_e64 s17, 0, v37
	s_delay_alu instid0(VALU_DEP_2) | instskip(NEXT) | instid1(VALU_DEP_2)
	v_cmp_eq_u32_e32 vcc_lo, 0, v151
	s_and_b32 s18, s17, vcc_lo
	s_delay_alu instid0(SALU_CYCLE_1)
	s_and_saveexec_b32 s17, s18
	s_cbranch_execz .LBB1879_143
; %bb.142:                              ;   in Loop: Header=BB1879_103 Depth=2
	s_waitcnt lgkmcnt(0)
	v_bcnt_u32_b32 v37, v37, v150
	ds_store_b32 v152, v37
.LBB1879_143:                           ;   in Loop: Header=BB1879_103 Depth=2
	s_or_b32 exec_lo, exec_lo, s17
	v_cmp_lt_i16_e64 vcc_lo, -1, v149
	; wave barrier
	s_delay_alu instid0(VALU_DEP_1) | instskip(NEXT) | instid1(VALU_DEP_1)
	v_cndmask_b32_e64 v37, -1, 0xffff8000, vcc_lo
	v_xor_b32_e32 v149, v37, v149
	s_delay_alu instid0(VALU_DEP_1) | instskip(SKIP_1) | instid1(VALU_DEP_1)
	v_cmp_ne_u16_e64 vcc_lo, 0x7fff, v149
	v_cndmask_b32_e32 v37, 0xffff8000, v149, vcc_lo
	v_and_b32_e32 v37, 0xffff, v37
	s_delay_alu instid0(VALU_DEP_1) | instskip(NEXT) | instid1(VALU_DEP_1)
	v_lshrrev_b32_e32 v37, s48, v37
	v_and_b32_e32 v37, s55, v37
	s_delay_alu instid0(VALU_DEP_1)
	v_and_b32_e32 v154, 1, v37
	v_lshlrev_b32_e32 v155, 30, v37
	v_lshlrev_b32_e32 v156, 29, v37
	;; [unrolled: 1-line block ×4, first 2 shown]
	v_add_co_u32 v154, s17, v154, -1
	s_delay_alu instid0(VALU_DEP_1)
	v_cndmask_b32_e64 v159, 0, 1, s17
	v_not_b32_e32 v164, v155
	v_cmp_gt_i32_e64 s17, 0, v155
	v_not_b32_e32 v155, v156
	v_lshlrev_b32_e32 v162, 26, v37
	v_cmp_ne_u32_e32 vcc_lo, 0, v159
	v_ashrrev_i32_e32 v164, 31, v164
	v_lshlrev_b32_e32 v163, 25, v37
	v_ashrrev_i32_e32 v155, 31, v155
	v_lshlrev_b32_e32 v159, 24, v37
	v_xor_b32_e32 v154, vcc_lo, v154
	v_cmp_gt_i32_e32 vcc_lo, 0, v156
	v_not_b32_e32 v156, v158
	v_xor_b32_e32 v164, s17, v164
	v_cmp_gt_i32_e64 s17, 0, v158
	v_and_b32_e32 v154, exec_lo, v154
	v_not_b32_e32 v158, v160
	v_ashrrev_i32_e32 v156, 31, v156
	v_xor_b32_e32 v155, vcc_lo, v155
	v_cmp_gt_i32_e32 vcc_lo, 0, v160
	v_and_b32_e32 v154, v154, v164
	v_not_b32_e32 v160, v162
	v_ashrrev_i32_e32 v158, 31, v158
	v_xor_b32_e32 v156, s17, v156
	v_cmp_gt_i32_e64 s17, 0, v162
	v_and_b32_e32 v154, v154, v155
	v_not_b32_e32 v155, v163
	v_ashrrev_i32_e32 v160, 31, v160
	v_xor_b32_e32 v158, vcc_lo, v158
	v_cmp_gt_i32_e32 vcc_lo, 0, v163
	v_and_b32_e32 v154, v154, v156
	v_not_b32_e32 v156, v159
	v_ashrrev_i32_e32 v155, 31, v155
	v_xor_b32_e32 v160, s17, v160
	v_mul_u32_u24_e32 v37, 9, v37
	v_and_b32_e32 v154, v154, v158
	v_cmp_gt_i32_e64 s17, 0, v159
	v_ashrrev_i32_e32 v156, 31, v156
	v_xor_b32_e32 v155, vcc_lo, v155
	v_add_lshl_u32 v158, v37, v126, 2
	v_and_b32_e32 v154, v154, v160
	s_delay_alu instid0(VALU_DEP_4) | instskip(NEXT) | instid1(VALU_DEP_3)
	v_xor_b32_e32 v37, s17, v156
	v_add_nc_u32_e32 v156, 0x420, v158
	s_delay_alu instid0(VALU_DEP_3) | instskip(SKIP_2) | instid1(VALU_DEP_1)
	v_and_b32_e32 v155, v154, v155
	ds_load_b32 v154, v158 offset:1056
	; wave barrier
	v_and_b32_e32 v37, v155, v37
	v_mbcnt_lo_u32_b32 v155, v37, 0
	v_cmp_ne_u32_e64 s17, 0, v37
	s_delay_alu instid0(VALU_DEP_2) | instskip(NEXT) | instid1(VALU_DEP_2)
	v_cmp_eq_u32_e32 vcc_lo, 0, v155
	s_and_b32 s18, s17, vcc_lo
	s_delay_alu instid0(SALU_CYCLE_1)
	s_and_saveexec_b32 s17, s18
	s_cbranch_execz .LBB1879_145
; %bb.144:                              ;   in Loop: Header=BB1879_103 Depth=2
	s_waitcnt lgkmcnt(0)
	v_bcnt_u32_b32 v37, v37, v154
	ds_store_b32 v156, v37
.LBB1879_145:                           ;   in Loop: Header=BB1879_103 Depth=2
	s_or_b32 exec_lo, exec_lo, s17
	v_cmp_lt_i16_e64 vcc_lo, -1, v153
	; wave barrier
	s_delay_alu instid0(VALU_DEP_1) | instskip(NEXT) | instid1(VALU_DEP_1)
	v_cndmask_b32_e64 v37, -1, 0xffff8000, vcc_lo
	v_xor_b32_e32 v153, v37, v153
	s_delay_alu instid0(VALU_DEP_1) | instskip(SKIP_1) | instid1(VALU_DEP_1)
	v_cmp_ne_u16_e64 vcc_lo, 0x7fff, v153
	v_cndmask_b32_e32 v37, 0xffff8000, v153, vcc_lo
	v_and_b32_e32 v37, 0xffff, v37
	s_delay_alu instid0(VALU_DEP_1) | instskip(NEXT) | instid1(VALU_DEP_1)
	v_lshrrev_b32_e32 v37, s48, v37
	v_and_b32_e32 v37, s55, v37
	s_delay_alu instid0(VALU_DEP_1)
	v_and_b32_e32 v158, 1, v37
	v_lshlrev_b32_e32 v159, 30, v37
	v_lshlrev_b32_e32 v160, 29, v37
	;; [unrolled: 1-line block ×4, first 2 shown]
	v_add_co_u32 v158, s17, v158, -1
	s_delay_alu instid0(VALU_DEP_1)
	v_cndmask_b32_e64 v163, 0, 1, s17
	v_not_b32_e32 v168, v159
	v_cmp_gt_i32_e64 s17, 0, v159
	v_not_b32_e32 v159, v160
	v_lshlrev_b32_e32 v166, 26, v37
	v_cmp_ne_u32_e32 vcc_lo, 0, v163
	v_ashrrev_i32_e32 v168, 31, v168
	v_lshlrev_b32_e32 v167, 25, v37
	v_ashrrev_i32_e32 v159, 31, v159
	v_lshlrev_b32_e32 v163, 24, v37
	v_xor_b32_e32 v158, vcc_lo, v158
	v_cmp_gt_i32_e32 vcc_lo, 0, v160
	v_not_b32_e32 v160, v162
	v_xor_b32_e32 v168, s17, v168
	v_cmp_gt_i32_e64 s17, 0, v162
	v_and_b32_e32 v158, exec_lo, v158
	v_not_b32_e32 v162, v164
	v_ashrrev_i32_e32 v160, 31, v160
	v_xor_b32_e32 v159, vcc_lo, v159
	v_cmp_gt_i32_e32 vcc_lo, 0, v164
	v_and_b32_e32 v158, v158, v168
	v_not_b32_e32 v164, v166
	v_ashrrev_i32_e32 v162, 31, v162
	v_xor_b32_e32 v160, s17, v160
	v_cmp_gt_i32_e64 s17, 0, v166
	v_and_b32_e32 v158, v158, v159
	v_not_b32_e32 v159, v167
	v_ashrrev_i32_e32 v164, 31, v164
	v_xor_b32_e32 v162, vcc_lo, v162
	v_cmp_gt_i32_e32 vcc_lo, 0, v167
	v_and_b32_e32 v158, v158, v160
	v_not_b32_e32 v160, v163
	v_ashrrev_i32_e32 v159, 31, v159
	v_xor_b32_e32 v164, s17, v164
	v_mul_u32_u24_e32 v37, 9, v37
	v_and_b32_e32 v158, v158, v162
	v_cmp_gt_i32_e64 s17, 0, v163
	v_ashrrev_i32_e32 v160, 31, v160
	v_xor_b32_e32 v159, vcc_lo, v159
	v_add_lshl_u32 v162, v37, v126, 2
	v_and_b32_e32 v158, v158, v164
	s_delay_alu instid0(VALU_DEP_4) | instskip(NEXT) | instid1(VALU_DEP_3)
	v_xor_b32_e32 v37, s17, v160
	v_add_nc_u32_e32 v160, 0x420, v162
	s_delay_alu instid0(VALU_DEP_3) | instskip(SKIP_2) | instid1(VALU_DEP_1)
	v_and_b32_e32 v159, v158, v159
	ds_load_b32 v158, v162 offset:1056
	; wave barrier
	v_and_b32_e32 v37, v159, v37
	v_mbcnt_lo_u32_b32 v159, v37, 0
	v_cmp_ne_u32_e64 s17, 0, v37
	s_delay_alu instid0(VALU_DEP_2) | instskip(NEXT) | instid1(VALU_DEP_2)
	v_cmp_eq_u32_e32 vcc_lo, 0, v159
	s_and_b32 s18, s17, vcc_lo
	s_delay_alu instid0(SALU_CYCLE_1)
	s_and_saveexec_b32 s17, s18
	s_cbranch_execz .LBB1879_147
; %bb.146:                              ;   in Loop: Header=BB1879_103 Depth=2
	s_waitcnt lgkmcnt(0)
	v_bcnt_u32_b32 v37, v37, v158
	ds_store_b32 v160, v37
.LBB1879_147:                           ;   in Loop: Header=BB1879_103 Depth=2
	s_or_b32 exec_lo, exec_lo, s17
	v_cmp_lt_i16_e64 vcc_lo, -1, v157
	; wave barrier
	s_delay_alu instid0(VALU_DEP_1) | instskip(NEXT) | instid1(VALU_DEP_1)
	v_cndmask_b32_e64 v37, -1, 0xffff8000, vcc_lo
	v_xor_b32_e32 v157, v37, v157
	s_delay_alu instid0(VALU_DEP_1) | instskip(SKIP_1) | instid1(VALU_DEP_1)
	v_cmp_ne_u16_e64 vcc_lo, 0x7fff, v157
	v_cndmask_b32_e32 v37, 0xffff8000, v157, vcc_lo
	v_and_b32_e32 v37, 0xffff, v37
	s_delay_alu instid0(VALU_DEP_1) | instskip(NEXT) | instid1(VALU_DEP_1)
	v_lshrrev_b32_e32 v37, s48, v37
	v_and_b32_e32 v37, s55, v37
	s_delay_alu instid0(VALU_DEP_1)
	v_and_b32_e32 v162, 1, v37
	v_lshlrev_b32_e32 v163, 30, v37
	v_lshlrev_b32_e32 v164, 29, v37
	;; [unrolled: 1-line block ×4, first 2 shown]
	v_add_co_u32 v162, s17, v162, -1
	s_delay_alu instid0(VALU_DEP_1)
	v_cndmask_b32_e64 v167, 0, 1, s17
	v_not_b32_e32 v173, v163
	v_cmp_gt_i32_e64 s17, 0, v163
	v_not_b32_e32 v163, v164
	v_lshlrev_b32_e32 v171, 26, v37
	v_cmp_ne_u32_e32 vcc_lo, 0, v167
	v_ashrrev_i32_e32 v173, 31, v173
	v_lshlrev_b32_e32 v172, 25, v37
	v_ashrrev_i32_e32 v163, 31, v163
	v_lshlrev_b32_e32 v167, 24, v37
	v_xor_b32_e32 v162, vcc_lo, v162
	v_cmp_gt_i32_e32 vcc_lo, 0, v164
	v_not_b32_e32 v164, v166
	v_xor_b32_e32 v173, s17, v173
	v_cmp_gt_i32_e64 s17, 0, v166
	v_and_b32_e32 v162, exec_lo, v162
	v_not_b32_e32 v166, v168
	v_ashrrev_i32_e32 v164, 31, v164
	v_xor_b32_e32 v163, vcc_lo, v163
	v_cmp_gt_i32_e32 vcc_lo, 0, v168
	v_and_b32_e32 v162, v162, v173
	v_not_b32_e32 v168, v171
	v_ashrrev_i32_e32 v166, 31, v166
	v_xor_b32_e32 v164, s17, v164
	v_cmp_gt_i32_e64 s17, 0, v171
	v_and_b32_e32 v162, v162, v163
	v_not_b32_e32 v163, v172
	v_ashrrev_i32_e32 v168, 31, v168
	v_xor_b32_e32 v166, vcc_lo, v166
	v_cmp_gt_i32_e32 vcc_lo, 0, v172
	v_and_b32_e32 v162, v162, v164
	v_not_b32_e32 v164, v167
	v_ashrrev_i32_e32 v163, 31, v163
	v_xor_b32_e32 v168, s17, v168
	v_mul_u32_u24_e32 v37, 9, v37
	v_and_b32_e32 v162, v162, v166
	v_cmp_gt_i32_e64 s17, 0, v167
	v_ashrrev_i32_e32 v164, 31, v164
	v_xor_b32_e32 v163, vcc_lo, v163
	v_add_lshl_u32 v166, v37, v126, 2
	v_and_b32_e32 v162, v162, v168
	s_delay_alu instid0(VALU_DEP_4) | instskip(NEXT) | instid1(VALU_DEP_3)
	v_xor_b32_e32 v37, s17, v164
	v_add_nc_u32_e32 v164, 0x420, v166
	s_delay_alu instid0(VALU_DEP_3) | instskip(SKIP_2) | instid1(VALU_DEP_1)
	v_and_b32_e32 v163, v162, v163
	ds_load_b32 v162, v166 offset:1056
	; wave barrier
	v_and_b32_e32 v37, v163, v37
	v_mbcnt_lo_u32_b32 v163, v37, 0
	v_cmp_ne_u32_e64 s17, 0, v37
	s_delay_alu instid0(VALU_DEP_2) | instskip(NEXT) | instid1(VALU_DEP_2)
	v_cmp_eq_u32_e32 vcc_lo, 0, v163
	s_and_b32 s18, s17, vcc_lo
	s_delay_alu instid0(SALU_CYCLE_1)
	s_and_saveexec_b32 s17, s18
	s_cbranch_execz .LBB1879_149
; %bb.148:                              ;   in Loop: Header=BB1879_103 Depth=2
	s_waitcnt lgkmcnt(0)
	v_bcnt_u32_b32 v37, v37, v162
	ds_store_b32 v164, v37
.LBB1879_149:                           ;   in Loop: Header=BB1879_103 Depth=2
	s_or_b32 exec_lo, exec_lo, s17
	v_cmp_lt_i16_e64 vcc_lo, -1, v161
	; wave barrier
	s_delay_alu instid0(VALU_DEP_1) | instskip(NEXT) | instid1(VALU_DEP_1)
	v_cndmask_b32_e64 v37, -1, 0xffff8000, vcc_lo
	v_xor_b32_e32 v161, v37, v161
	s_delay_alu instid0(VALU_DEP_1) | instskip(SKIP_1) | instid1(VALU_DEP_1)
	v_cmp_ne_u16_e64 vcc_lo, 0x7fff, v161
	v_cndmask_b32_e32 v37, 0xffff8000, v161, vcc_lo
	v_and_b32_e32 v37, 0xffff, v37
	s_delay_alu instid0(VALU_DEP_1) | instskip(NEXT) | instid1(VALU_DEP_1)
	v_lshrrev_b32_e32 v37, s48, v37
	v_and_b32_e32 v37, s55, v37
	s_delay_alu instid0(VALU_DEP_1)
	v_and_b32_e32 v166, 1, v37
	v_lshlrev_b32_e32 v167, 30, v37
	v_lshlrev_b32_e32 v168, 29, v37
	;; [unrolled: 1-line block ×4, first 2 shown]
	v_add_co_u32 v166, s17, v166, -1
	s_delay_alu instid0(VALU_DEP_1)
	v_cndmask_b32_e64 v172, 0, 1, s17
	v_not_b32_e32 v176, v167
	v_cmp_gt_i32_e64 s17, 0, v167
	v_not_b32_e32 v167, v168
	v_lshlrev_b32_e32 v174, 26, v37
	v_cmp_ne_u32_e32 vcc_lo, 0, v172
	v_ashrrev_i32_e32 v176, 31, v176
	v_lshlrev_b32_e32 v175, 25, v37
	v_ashrrev_i32_e32 v167, 31, v167
	v_lshlrev_b32_e32 v172, 24, v37
	v_xor_b32_e32 v166, vcc_lo, v166
	v_cmp_gt_i32_e32 vcc_lo, 0, v168
	v_not_b32_e32 v168, v171
	v_xor_b32_e32 v176, s17, v176
	v_cmp_gt_i32_e64 s17, 0, v171
	v_and_b32_e32 v166, exec_lo, v166
	v_not_b32_e32 v171, v173
	v_ashrrev_i32_e32 v168, 31, v168
	v_xor_b32_e32 v167, vcc_lo, v167
	v_cmp_gt_i32_e32 vcc_lo, 0, v173
	v_and_b32_e32 v166, v166, v176
	v_not_b32_e32 v173, v174
	v_ashrrev_i32_e32 v171, 31, v171
	v_xor_b32_e32 v168, s17, v168
	v_cmp_gt_i32_e64 s17, 0, v174
	v_and_b32_e32 v166, v166, v167
	v_not_b32_e32 v167, v175
	v_ashrrev_i32_e32 v173, 31, v173
	v_xor_b32_e32 v171, vcc_lo, v171
	v_cmp_gt_i32_e32 vcc_lo, 0, v175
	v_and_b32_e32 v166, v166, v168
	v_not_b32_e32 v168, v172
	v_ashrrev_i32_e32 v167, 31, v167
	v_xor_b32_e32 v173, s17, v173
	v_mul_u32_u24_e32 v37, 9, v37
	v_and_b32_e32 v166, v166, v171
	v_cmp_gt_i32_e64 s17, 0, v172
	v_ashrrev_i32_e32 v168, 31, v168
	v_xor_b32_e32 v167, vcc_lo, v167
	v_add_lshl_u32 v171, v37, v126, 2
	v_and_b32_e32 v166, v166, v173
	s_delay_alu instid0(VALU_DEP_4) | instskip(NEXT) | instid1(VALU_DEP_3)
	v_xor_b32_e32 v37, s17, v168
	v_add_nc_u32_e32 v168, 0x420, v171
	s_delay_alu instid0(VALU_DEP_3) | instskip(SKIP_2) | instid1(VALU_DEP_1)
	v_and_b32_e32 v167, v166, v167
	ds_load_b32 v166, v171 offset:1056
	; wave barrier
	v_and_b32_e32 v37, v167, v37
	v_mbcnt_lo_u32_b32 v167, v37, 0
	v_cmp_ne_u32_e64 s17, 0, v37
	s_delay_alu instid0(VALU_DEP_2) | instskip(NEXT) | instid1(VALU_DEP_2)
	v_cmp_eq_u32_e32 vcc_lo, 0, v167
	s_and_b32 s18, s17, vcc_lo
	s_delay_alu instid0(SALU_CYCLE_1)
	s_and_saveexec_b32 s17, s18
	s_cbranch_execz .LBB1879_151
; %bb.150:                              ;   in Loop: Header=BB1879_103 Depth=2
	s_waitcnt lgkmcnt(0)
	v_bcnt_u32_b32 v37, v37, v166
	ds_store_b32 v168, v37
.LBB1879_151:                           ;   in Loop: Header=BB1879_103 Depth=2
	s_or_b32 exec_lo, exec_lo, s17
	v_cmp_lt_i16_e64 vcc_lo, -1, v165
	; wave barrier
	s_delay_alu instid0(VALU_DEP_1) | instskip(NEXT) | instid1(VALU_DEP_1)
	v_cndmask_b32_e64 v37, -1, 0xffff8000, vcc_lo
	v_xor_b32_e32 v165, v37, v165
	s_delay_alu instid0(VALU_DEP_1) | instskip(SKIP_1) | instid1(VALU_DEP_1)
	v_cmp_ne_u16_e64 vcc_lo, 0x7fff, v165
	v_cndmask_b32_e32 v37, 0xffff8000, v165, vcc_lo
	v_and_b32_e32 v37, 0xffff, v37
	s_delay_alu instid0(VALU_DEP_1) | instskip(NEXT) | instid1(VALU_DEP_1)
	v_lshrrev_b32_e32 v37, s48, v37
	v_and_b32_e32 v37, s55, v37
	s_delay_alu instid0(VALU_DEP_1)
	v_and_b32_e32 v171, 1, v37
	v_lshlrev_b32_e32 v172, 30, v37
	v_lshlrev_b32_e32 v173, 29, v37
	;; [unrolled: 1-line block ×4, first 2 shown]
	v_add_co_u32 v171, s17, v171, -1
	s_delay_alu instid0(VALU_DEP_1)
	v_cndmask_b32_e64 v175, 0, 1, s17
	v_not_b32_e32 v179, v172
	v_cmp_gt_i32_e64 s17, 0, v172
	v_not_b32_e32 v172, v173
	v_lshlrev_b32_e32 v177, 26, v37
	v_cmp_ne_u32_e32 vcc_lo, 0, v175
	v_ashrrev_i32_e32 v179, 31, v179
	v_lshlrev_b32_e32 v178, 25, v37
	v_ashrrev_i32_e32 v172, 31, v172
	v_lshlrev_b32_e32 v175, 24, v37
	v_xor_b32_e32 v171, vcc_lo, v171
	v_cmp_gt_i32_e32 vcc_lo, 0, v173
	v_not_b32_e32 v173, v174
	v_xor_b32_e32 v179, s17, v179
	v_cmp_gt_i32_e64 s17, 0, v174
	v_and_b32_e32 v171, exec_lo, v171
	v_not_b32_e32 v174, v176
	v_ashrrev_i32_e32 v173, 31, v173
	v_xor_b32_e32 v172, vcc_lo, v172
	v_cmp_gt_i32_e32 vcc_lo, 0, v176
	v_and_b32_e32 v171, v171, v179
	v_not_b32_e32 v176, v177
	v_ashrrev_i32_e32 v174, 31, v174
	v_xor_b32_e32 v173, s17, v173
	v_cmp_gt_i32_e64 s17, 0, v177
	v_and_b32_e32 v171, v171, v172
	v_not_b32_e32 v172, v178
	v_ashrrev_i32_e32 v176, 31, v176
	v_xor_b32_e32 v174, vcc_lo, v174
	v_cmp_gt_i32_e32 vcc_lo, 0, v178
	v_and_b32_e32 v171, v171, v173
	v_not_b32_e32 v173, v175
	v_ashrrev_i32_e32 v172, 31, v172
	v_xor_b32_e32 v176, s17, v176
	v_mul_u32_u24_e32 v37, 9, v37
	v_and_b32_e32 v171, v171, v174
	v_cmp_gt_i32_e64 s17, 0, v175
	v_ashrrev_i32_e32 v173, 31, v173
	v_xor_b32_e32 v172, vcc_lo, v172
	v_add_lshl_u32 v174, v37, v126, 2
	v_and_b32_e32 v171, v171, v176
	s_delay_alu instid0(VALU_DEP_4) | instskip(NEXT) | instid1(VALU_DEP_3)
	v_xor_b32_e32 v37, s17, v173
	v_add_nc_u32_e32 v173, 0x420, v174
	s_delay_alu instid0(VALU_DEP_3) | instskip(SKIP_2) | instid1(VALU_DEP_1)
	v_and_b32_e32 v172, v171, v172
	ds_load_b32 v171, v174 offset:1056
	; wave barrier
	v_and_b32_e32 v37, v172, v37
	v_mbcnt_lo_u32_b32 v172, v37, 0
	v_cmp_ne_u32_e64 s17, 0, v37
	s_delay_alu instid0(VALU_DEP_2) | instskip(NEXT) | instid1(VALU_DEP_2)
	v_cmp_eq_u32_e32 vcc_lo, 0, v172
	s_and_b32 s18, s17, vcc_lo
	s_delay_alu instid0(SALU_CYCLE_1)
	s_and_saveexec_b32 s17, s18
	s_cbranch_execz .LBB1879_153
; %bb.152:                              ;   in Loop: Header=BB1879_103 Depth=2
	s_waitcnt lgkmcnt(0)
	v_bcnt_u32_b32 v37, v37, v171
	ds_store_b32 v173, v37
.LBB1879_153:                           ;   in Loop: Header=BB1879_103 Depth=2
	s_or_b32 exec_lo, exec_lo, s17
	v_cmp_lt_i16_e64 vcc_lo, -1, v170
	; wave barrier
	s_delay_alu instid0(VALU_DEP_1) | instskip(NEXT) | instid1(VALU_DEP_1)
	v_cndmask_b32_e64 v37, -1, 0xffff8000, vcc_lo
	v_xor_b32_e32 v170, v37, v170
	s_delay_alu instid0(VALU_DEP_1) | instskip(SKIP_1) | instid1(VALU_DEP_1)
	v_cmp_ne_u16_e64 vcc_lo, 0x7fff, v170
	v_cndmask_b32_e32 v37, 0xffff8000, v170, vcc_lo
	v_and_b32_e32 v37, 0xffff, v37
	s_delay_alu instid0(VALU_DEP_1) | instskip(NEXT) | instid1(VALU_DEP_1)
	v_lshrrev_b32_e32 v37, s48, v37
	v_and_b32_e32 v37, s55, v37
	s_delay_alu instid0(VALU_DEP_1)
	v_and_b32_e32 v174, 1, v37
	v_lshlrev_b32_e32 v175, 30, v37
	v_lshlrev_b32_e32 v176, 29, v37
	;; [unrolled: 1-line block ×4, first 2 shown]
	v_add_co_u32 v174, s17, v174, -1
	s_delay_alu instid0(VALU_DEP_1)
	v_cndmask_b32_e64 v178, 0, 1, s17
	v_not_b32_e32 v182, v175
	v_cmp_gt_i32_e64 s17, 0, v175
	v_not_b32_e32 v175, v176
	v_lshlrev_b32_e32 v180, 26, v37
	v_cmp_ne_u32_e32 vcc_lo, 0, v178
	v_ashrrev_i32_e32 v182, 31, v182
	v_lshlrev_b32_e32 v181, 25, v37
	v_ashrrev_i32_e32 v175, 31, v175
	v_lshlrev_b32_e32 v178, 24, v37
	v_xor_b32_e32 v174, vcc_lo, v174
	v_cmp_gt_i32_e32 vcc_lo, 0, v176
	v_not_b32_e32 v176, v177
	v_xor_b32_e32 v182, s17, v182
	v_cmp_gt_i32_e64 s17, 0, v177
	v_and_b32_e32 v174, exec_lo, v174
	v_not_b32_e32 v177, v179
	v_ashrrev_i32_e32 v176, 31, v176
	v_xor_b32_e32 v175, vcc_lo, v175
	v_cmp_gt_i32_e32 vcc_lo, 0, v179
	v_and_b32_e32 v174, v174, v182
	v_not_b32_e32 v179, v180
	v_ashrrev_i32_e32 v177, 31, v177
	v_xor_b32_e32 v176, s17, v176
	v_cmp_gt_i32_e64 s17, 0, v180
	v_and_b32_e32 v174, v174, v175
	v_not_b32_e32 v175, v181
	v_ashrrev_i32_e32 v179, 31, v179
	v_xor_b32_e32 v177, vcc_lo, v177
	v_cmp_gt_i32_e32 vcc_lo, 0, v181
	v_and_b32_e32 v174, v174, v176
	v_not_b32_e32 v176, v178
	v_ashrrev_i32_e32 v175, 31, v175
	v_xor_b32_e32 v179, s17, v179
	v_mul_u32_u24_e32 v37, 9, v37
	v_and_b32_e32 v174, v174, v177
	v_cmp_gt_i32_e64 s17, 0, v178
	v_ashrrev_i32_e32 v176, 31, v176
	v_xor_b32_e32 v175, vcc_lo, v175
	v_add_lshl_u32 v177, v37, v126, 2
	v_and_b32_e32 v174, v174, v179
	s_delay_alu instid0(VALU_DEP_4) | instskip(NEXT) | instid1(VALU_DEP_3)
	v_xor_b32_e32 v37, s17, v176
	v_add_nc_u32_e32 v176, 0x420, v177
	s_delay_alu instid0(VALU_DEP_3) | instskip(SKIP_2) | instid1(VALU_DEP_1)
	v_and_b32_e32 v175, v174, v175
	ds_load_b32 v174, v177 offset:1056
	; wave barrier
	v_and_b32_e32 v37, v175, v37
	v_mbcnt_lo_u32_b32 v175, v37, 0
	v_cmp_ne_u32_e64 s17, 0, v37
	s_delay_alu instid0(VALU_DEP_2) | instskip(NEXT) | instid1(VALU_DEP_2)
	v_cmp_eq_u32_e32 vcc_lo, 0, v175
	s_and_b32 s18, s17, vcc_lo
	s_delay_alu instid0(SALU_CYCLE_1)
	s_and_saveexec_b32 s17, s18
	s_cbranch_execz .LBB1879_155
; %bb.154:                              ;   in Loop: Header=BB1879_103 Depth=2
	s_waitcnt lgkmcnt(0)
	v_bcnt_u32_b32 v37, v37, v174
	ds_store_b32 v176, v37
.LBB1879_155:                           ;   in Loop: Header=BB1879_103 Depth=2
	s_or_b32 exec_lo, exec_lo, s17
	v_cmp_lt_i16_e64 vcc_lo, -1, v169
	; wave barrier
	s_delay_alu instid0(VALU_DEP_1) | instskip(NEXT) | instid1(VALU_DEP_1)
	v_cndmask_b32_e64 v37, -1, 0xffff8000, vcc_lo
	v_xor_b32_e32 v169, v37, v169
	s_delay_alu instid0(VALU_DEP_1) | instskip(SKIP_1) | instid1(VALU_DEP_1)
	v_cmp_ne_u16_e64 vcc_lo, 0x7fff, v169
	v_cndmask_b32_e32 v37, 0xffff8000, v169, vcc_lo
	v_and_b32_e32 v37, 0xffff, v37
	s_delay_alu instid0(VALU_DEP_1) | instskip(NEXT) | instid1(VALU_DEP_1)
	v_lshrrev_b32_e32 v37, s48, v37
	v_and_b32_e32 v37, s55, v37
	s_delay_alu instid0(VALU_DEP_1)
	v_and_b32_e32 v177, 1, v37
	v_lshlrev_b32_e32 v178, 30, v37
	v_lshlrev_b32_e32 v179, 29, v37
	;; [unrolled: 1-line block ×4, first 2 shown]
	v_add_co_u32 v177, s17, v177, -1
	s_delay_alu instid0(VALU_DEP_1)
	v_cndmask_b32_e64 v181, 0, 1, s17
	v_not_b32_e32 v185, v178
	v_cmp_gt_i32_e64 s17, 0, v178
	v_not_b32_e32 v178, v179
	v_lshlrev_b32_e32 v183, 26, v37
	v_cmp_ne_u32_e32 vcc_lo, 0, v181
	v_ashrrev_i32_e32 v185, 31, v185
	v_lshlrev_b32_e32 v184, 25, v37
	v_ashrrev_i32_e32 v178, 31, v178
	v_lshlrev_b32_e32 v181, 24, v37
	v_xor_b32_e32 v177, vcc_lo, v177
	v_cmp_gt_i32_e32 vcc_lo, 0, v179
	v_not_b32_e32 v179, v180
	v_xor_b32_e32 v185, s17, v185
	v_cmp_gt_i32_e64 s17, 0, v180
	v_and_b32_e32 v177, exec_lo, v177
	v_not_b32_e32 v180, v182
	v_ashrrev_i32_e32 v179, 31, v179
	v_xor_b32_e32 v178, vcc_lo, v178
	v_cmp_gt_i32_e32 vcc_lo, 0, v182
	v_and_b32_e32 v177, v177, v185
	v_not_b32_e32 v182, v183
	v_ashrrev_i32_e32 v180, 31, v180
	v_xor_b32_e32 v179, s17, v179
	v_cmp_gt_i32_e64 s17, 0, v183
	v_and_b32_e32 v177, v177, v178
	v_not_b32_e32 v178, v184
	v_ashrrev_i32_e32 v182, 31, v182
	v_xor_b32_e32 v180, vcc_lo, v180
	v_cmp_gt_i32_e32 vcc_lo, 0, v184
	v_and_b32_e32 v177, v177, v179
	v_not_b32_e32 v179, v181
	v_ashrrev_i32_e32 v178, 31, v178
	v_xor_b32_e32 v182, s17, v182
	v_mul_u32_u24_e32 v37, 9, v37
	v_and_b32_e32 v177, v177, v180
	v_cmp_gt_i32_e64 s17, 0, v181
	v_ashrrev_i32_e32 v179, 31, v179
	v_xor_b32_e32 v178, vcc_lo, v178
	v_add_lshl_u32 v180, v37, v126, 2
	v_and_b32_e32 v177, v177, v182
	s_delay_alu instid0(VALU_DEP_4) | instskip(NEXT) | instid1(VALU_DEP_2)
	v_xor_b32_e32 v37, s17, v179
	v_and_b32_e32 v177, v177, v178
	ds_load_b32 v178, v180 offset:1056
	v_add_nc_u32_e32 v180, 0x420, v180
	; wave barrier
	v_and_b32_e32 v37, v177, v37
	s_delay_alu instid0(VALU_DEP_1) | instskip(SKIP_1) | instid1(VALU_DEP_2)
	v_mbcnt_lo_u32_b32 v179, v37, 0
	v_cmp_ne_u32_e64 s17, 0, v37
	v_cmp_eq_u32_e32 vcc_lo, 0, v179
	s_delay_alu instid0(VALU_DEP_2) | instskip(NEXT) | instid1(SALU_CYCLE_1)
	s_and_b32 s18, s17, vcc_lo
	s_and_saveexec_b32 s17, s18
	s_cbranch_execz .LBB1879_157
; %bb.156:                              ;   in Loop: Header=BB1879_103 Depth=2
	s_waitcnt lgkmcnt(0)
	v_bcnt_u32_b32 v37, v37, v178
	ds_store_b32 v180, v37
.LBB1879_157:                           ;   in Loop: Header=BB1879_103 Depth=2
	s_or_b32 exec_lo, exec_lo, s17
	v_cmp_lt_i16_e32 vcc_lo, -1, v43
	; wave barrier
	v_cndmask_b32_e64 v37, -1, 0xffff8000, vcc_lo
	s_delay_alu instid0(VALU_DEP_1) | instskip(NEXT) | instid1(VALU_DEP_1)
	v_xor_b32_e32 v177, v37, v43
	v_cmp_ne_u16_e64 vcc_lo, 0x7fff, v177
	v_cndmask_b32_e32 v37, 0xffff8000, v177, vcc_lo
	s_delay_alu instid0(VALU_DEP_1) | instskip(NEXT) | instid1(VALU_DEP_1)
	v_and_b32_e32 v37, 0xffff, v37
	v_lshrrev_b32_e32 v37, s48, v37
	s_delay_alu instid0(VALU_DEP_1) | instskip(NEXT) | instid1(VALU_DEP_1)
	v_and_b32_e32 v37, s55, v37
	v_and_b32_e32 v43, 1, v37
	v_lshlrev_b32_e32 v181, 30, v37
	v_lshlrev_b32_e32 v182, 29, v37
	;; [unrolled: 1-line block ×4, first 2 shown]
	v_add_co_u32 v43, s17, v43, -1
	s_delay_alu instid0(VALU_DEP_1)
	v_cndmask_b32_e64 v184, 0, 1, s17
	v_not_b32_e32 v188, v181
	v_cmp_gt_i32_e64 s17, 0, v181
	v_not_b32_e32 v181, v182
	v_lshlrev_b32_e32 v186, 26, v37
	v_cmp_ne_u32_e32 vcc_lo, 0, v184
	v_ashrrev_i32_e32 v188, 31, v188
	v_lshlrev_b32_e32 v187, 25, v37
	v_ashrrev_i32_e32 v181, 31, v181
	v_lshlrev_b32_e32 v184, 24, v37
	v_xor_b32_e32 v43, vcc_lo, v43
	v_cmp_gt_i32_e32 vcc_lo, 0, v182
	v_not_b32_e32 v182, v183
	v_xor_b32_e32 v188, s17, v188
	v_cmp_gt_i32_e64 s17, 0, v183
	v_and_b32_e32 v43, exec_lo, v43
	v_not_b32_e32 v183, v185
	v_ashrrev_i32_e32 v182, 31, v182
	v_xor_b32_e32 v181, vcc_lo, v181
	v_cmp_gt_i32_e32 vcc_lo, 0, v185
	v_and_b32_e32 v43, v43, v188
	v_not_b32_e32 v185, v186
	v_ashrrev_i32_e32 v183, 31, v183
	v_xor_b32_e32 v182, s17, v182
	v_cmp_gt_i32_e64 s17, 0, v186
	v_and_b32_e32 v43, v43, v181
	v_not_b32_e32 v181, v187
	v_ashrrev_i32_e32 v185, 31, v185
	v_xor_b32_e32 v183, vcc_lo, v183
	v_cmp_gt_i32_e32 vcc_lo, 0, v187
	v_and_b32_e32 v43, v43, v182
	v_not_b32_e32 v182, v184
	v_ashrrev_i32_e32 v181, 31, v181
	v_xor_b32_e32 v185, s17, v185
	v_mul_u32_u24_e32 v37, 9, v37
	v_and_b32_e32 v43, v43, v183
	v_cmp_gt_i32_e64 s17, 0, v184
	v_ashrrev_i32_e32 v182, 31, v182
	v_xor_b32_e32 v181, vcc_lo, v181
	v_add_lshl_u32 v184, v37, v126, 2
	v_and_b32_e32 v43, v43, v185
	s_delay_alu instid0(VALU_DEP_4) | instskip(SKIP_3) | instid1(VALU_DEP_2)
	v_xor_b32_e32 v37, s17, v182
	ds_load_b32 v182, v184 offset:1056
	v_and_b32_e32 v43, v43, v181
	v_add_nc_u32_e32 v184, 0x420, v184
	; wave barrier
	v_and_b32_e32 v37, v43, v37
	s_delay_alu instid0(VALU_DEP_1) | instskip(SKIP_1) | instid1(VALU_DEP_2)
	v_mbcnt_lo_u32_b32 v183, v37, 0
	v_cmp_ne_u32_e64 s17, 0, v37
	v_cmp_eq_u32_e32 vcc_lo, 0, v183
	s_delay_alu instid0(VALU_DEP_2) | instskip(NEXT) | instid1(SALU_CYCLE_1)
	s_and_b32 s18, s17, vcc_lo
	s_and_saveexec_b32 s17, s18
	s_cbranch_execz .LBB1879_159
; %bb.158:                              ;   in Loop: Header=BB1879_103 Depth=2
	s_waitcnt lgkmcnt(0)
	v_bcnt_u32_b32 v37, v37, v182
	ds_store_b32 v184, v37
.LBB1879_159:                           ;   in Loop: Header=BB1879_103 Depth=2
	s_or_b32 exec_lo, exec_lo, s17
	v_cmp_lt_i16_e32 vcc_lo, -1, v42
	; wave barrier
	v_cndmask_b32_e64 v37, -1, 0xffff8000, vcc_lo
	s_delay_alu instid0(VALU_DEP_1) | instskip(NEXT) | instid1(VALU_DEP_1)
	v_xor_b32_e32 v181, v37, v42
	v_cmp_ne_u16_e64 vcc_lo, 0x7fff, v181
	v_cndmask_b32_e32 v37, 0xffff8000, v181, vcc_lo
	s_delay_alu instid0(VALU_DEP_1) | instskip(NEXT) | instid1(VALU_DEP_1)
	v_and_b32_e32 v37, 0xffff, v37
	v_lshrrev_b32_e32 v37, s48, v37
	s_delay_alu instid0(VALU_DEP_1) | instskip(NEXT) | instid1(VALU_DEP_1)
	v_and_b32_e32 v37, s55, v37
	v_and_b32_e32 v42, 1, v37
	v_lshlrev_b32_e32 v43, 30, v37
	v_lshlrev_b32_e32 v185, 29, v37
	;; [unrolled: 1-line block ×4, first 2 shown]
	v_add_co_u32 v42, s17, v42, -1
	s_delay_alu instid0(VALU_DEP_1)
	v_cndmask_b32_e64 v187, 0, 1, s17
	v_not_b32_e32 v191, v43
	v_cmp_gt_i32_e64 s17, 0, v43
	v_not_b32_e32 v43, v185
	v_lshlrev_b32_e32 v189, 26, v37
	v_cmp_ne_u32_e32 vcc_lo, 0, v187
	v_ashrrev_i32_e32 v191, 31, v191
	v_lshlrev_b32_e32 v190, 25, v37
	v_ashrrev_i32_e32 v43, 31, v43
	v_lshlrev_b32_e32 v187, 24, v37
	v_xor_b32_e32 v42, vcc_lo, v42
	v_cmp_gt_i32_e32 vcc_lo, 0, v185
	v_not_b32_e32 v185, v186
	v_xor_b32_e32 v191, s17, v191
	v_cmp_gt_i32_e64 s17, 0, v186
	v_and_b32_e32 v42, exec_lo, v42
	v_not_b32_e32 v186, v188
	v_ashrrev_i32_e32 v185, 31, v185
	v_xor_b32_e32 v43, vcc_lo, v43
	v_cmp_gt_i32_e32 vcc_lo, 0, v188
	v_and_b32_e32 v42, v42, v191
	v_not_b32_e32 v188, v189
	v_ashrrev_i32_e32 v186, 31, v186
	v_xor_b32_e32 v185, s17, v185
	v_cmp_gt_i32_e64 s17, 0, v189
	v_and_b32_e32 v42, v42, v43
	v_not_b32_e32 v43, v190
	v_ashrrev_i32_e32 v188, 31, v188
	v_xor_b32_e32 v186, vcc_lo, v186
	v_cmp_gt_i32_e32 vcc_lo, 0, v190
	v_and_b32_e32 v42, v42, v185
	v_not_b32_e32 v185, v187
	v_ashrrev_i32_e32 v43, 31, v43
	v_xor_b32_e32 v188, s17, v188
	v_mul_u32_u24_e32 v37, 9, v37
	v_and_b32_e32 v42, v42, v186
	v_cmp_gt_i32_e64 s17, 0, v187
	v_ashrrev_i32_e32 v185, 31, v185
	v_xor_b32_e32 v43, vcc_lo, v43
	s_delay_alu instid0(VALU_DEP_4) | instskip(SKIP_1) | instid1(VALU_DEP_4)
	v_and_b32_e32 v42, v42, v188
	v_add_lshl_u32 v188, v37, v126, 2
	v_xor_b32_e32 v37, s17, v185
	s_delay_alu instid0(VALU_DEP_3) | instskip(SKIP_3) | instid1(VALU_DEP_1)
	v_and_b32_e32 v42, v42, v43
	ds_load_b32 v186, v188 offset:1056
	v_add_nc_u32_e32 v188, 0x420, v188
	; wave barrier
	v_and_b32_e32 v37, v42, v37
	v_mbcnt_lo_u32_b32 v187, v37, 0
	v_cmp_ne_u32_e64 s17, 0, v37
	s_delay_alu instid0(VALU_DEP_2) | instskip(NEXT) | instid1(VALU_DEP_2)
	v_cmp_eq_u32_e32 vcc_lo, 0, v187
	s_and_b32 s18, s17, vcc_lo
	s_delay_alu instid0(SALU_CYCLE_1)
	s_and_saveexec_b32 s17, s18
	s_cbranch_execz .LBB1879_161
; %bb.160:                              ;   in Loop: Header=BB1879_103 Depth=2
	s_waitcnt lgkmcnt(0)
	v_bcnt_u32_b32 v37, v37, v186
	ds_store_b32 v188, v37
.LBB1879_161:                           ;   in Loop: Header=BB1879_103 Depth=2
	s_or_b32 exec_lo, exec_lo, s17
	v_cmp_lt_i16_e32 vcc_lo, -1, v41
	; wave barrier
	v_cndmask_b32_e64 v37, -1, 0xffff8000, vcc_lo
	s_delay_alu instid0(VALU_DEP_1) | instskip(NEXT) | instid1(VALU_DEP_1)
	v_xor_b32_e32 v185, v37, v41
	v_cmp_ne_u16_e64 vcc_lo, 0x7fff, v185
	v_cndmask_b32_e32 v37, 0xffff8000, v185, vcc_lo
	s_delay_alu instid0(VALU_DEP_1) | instskip(NEXT) | instid1(VALU_DEP_1)
	v_and_b32_e32 v37, 0xffff, v37
	v_lshrrev_b32_e32 v37, s48, v37
	s_delay_alu instid0(VALU_DEP_1) | instskip(NEXT) | instid1(VALU_DEP_1)
	v_and_b32_e32 v37, s55, v37
	v_and_b32_e32 v41, 1, v37
	v_lshlrev_b32_e32 v42, 30, v37
	v_lshlrev_b32_e32 v43, 29, v37
	;; [unrolled: 1-line block ×4, first 2 shown]
	v_add_co_u32 v41, s17, v41, -1
	s_delay_alu instid0(VALU_DEP_1)
	v_cndmask_b32_e64 v190, 0, 1, s17
	v_not_b32_e32 v194, v42
	v_cmp_gt_i32_e64 s17, 0, v42
	v_not_b32_e32 v42, v43
	v_lshlrev_b32_e32 v192, 26, v37
	v_cmp_ne_u32_e32 vcc_lo, 0, v190
	v_ashrrev_i32_e32 v194, 31, v194
	v_lshlrev_b32_e32 v193, 25, v37
	v_ashrrev_i32_e32 v42, 31, v42
	v_lshlrev_b32_e32 v190, 24, v37
	v_xor_b32_e32 v41, vcc_lo, v41
	v_cmp_gt_i32_e32 vcc_lo, 0, v43
	v_not_b32_e32 v43, v189
	v_xor_b32_e32 v194, s17, v194
	v_cmp_gt_i32_e64 s17, 0, v189
	v_and_b32_e32 v41, exec_lo, v41
	v_not_b32_e32 v189, v191
	v_ashrrev_i32_e32 v43, 31, v43
	v_xor_b32_e32 v42, vcc_lo, v42
	v_cmp_gt_i32_e32 vcc_lo, 0, v191
	v_and_b32_e32 v41, v41, v194
	v_not_b32_e32 v191, v192
	v_ashrrev_i32_e32 v189, 31, v189
	v_xor_b32_e32 v43, s17, v43
	v_cmp_gt_i32_e64 s17, 0, v192
	v_and_b32_e32 v41, v41, v42
	v_not_b32_e32 v42, v193
	v_ashrrev_i32_e32 v191, 31, v191
	v_xor_b32_e32 v189, vcc_lo, v189
	v_cmp_gt_i32_e32 vcc_lo, 0, v193
	v_and_b32_e32 v41, v41, v43
	v_not_b32_e32 v43, v190
	v_ashrrev_i32_e32 v42, 31, v42
	v_xor_b32_e32 v191, s17, v191
	v_mul_u32_u24_e32 v37, 9, v37
	v_and_b32_e32 v41, v41, v189
	v_cmp_gt_i32_e64 s17, 0, v190
	v_ashrrev_i32_e32 v43, 31, v43
	v_xor_b32_e32 v42, vcc_lo, v42
	v_add_lshl_u32 v189, v37, v126, 2
	v_and_b32_e32 v41, v41, v191
	s_delay_alu instid0(VALU_DEP_4) | instskip(SKIP_3) | instid1(VALU_DEP_2)
	v_xor_b32_e32 v37, s17, v43
	ds_load_b32 v190, v189 offset:1056
	v_and_b32_e32 v41, v41, v42
	v_add_nc_u32_e32 v192, 0x420, v189
	; wave barrier
	v_and_b32_e32 v37, v41, v37
	s_delay_alu instid0(VALU_DEP_1) | instskip(SKIP_1) | instid1(VALU_DEP_2)
	v_mbcnt_lo_u32_b32 v191, v37, 0
	v_cmp_ne_u32_e64 s17, 0, v37
	v_cmp_eq_u32_e32 vcc_lo, 0, v191
	s_delay_alu instid0(VALU_DEP_2) | instskip(NEXT) | instid1(SALU_CYCLE_1)
	s_and_b32 s18, s17, vcc_lo
	s_and_saveexec_b32 s17, s18
	s_cbranch_execz .LBB1879_163
; %bb.162:                              ;   in Loop: Header=BB1879_103 Depth=2
	s_waitcnt lgkmcnt(0)
	v_bcnt_u32_b32 v37, v37, v190
	ds_store_b32 v192, v37
.LBB1879_163:                           ;   in Loop: Header=BB1879_103 Depth=2
	s_or_b32 exec_lo, exec_lo, s17
	v_cmp_lt_i16_e32 vcc_lo, -1, v40
	; wave barrier
	v_cndmask_b32_e64 v37, -1, 0xffff8000, vcc_lo
	s_delay_alu instid0(VALU_DEP_1) | instskip(NEXT) | instid1(VALU_DEP_1)
	v_xor_b32_e32 v189, v37, v40
	v_cmp_ne_u16_e64 vcc_lo, 0x7fff, v189
	v_cndmask_b32_e32 v37, 0xffff8000, v189, vcc_lo
	s_delay_alu instid0(VALU_DEP_1) | instskip(NEXT) | instid1(VALU_DEP_1)
	v_and_b32_e32 v37, 0xffff, v37
	v_lshrrev_b32_e32 v37, s48, v37
	s_delay_alu instid0(VALU_DEP_1) | instskip(NEXT) | instid1(VALU_DEP_1)
	v_and_b32_e32 v37, s55, v37
	v_and_b32_e32 v40, 1, v37
	v_lshlrev_b32_e32 v41, 30, v37
	v_lshlrev_b32_e32 v42, 29, v37
	;; [unrolled: 1-line block ×4, first 2 shown]
	v_add_co_u32 v40, s17, v40, -1
	s_delay_alu instid0(VALU_DEP_1)
	v_cndmask_b32_e64 v193, 0, 1, s17
	v_not_b32_e32 v197, v41
	v_cmp_gt_i32_e64 s17, 0, v41
	v_not_b32_e32 v41, v42
	v_lshlrev_b32_e32 v195, 26, v37
	v_cmp_ne_u32_e32 vcc_lo, 0, v193
	v_ashrrev_i32_e32 v197, 31, v197
	v_lshlrev_b32_e32 v196, 25, v37
	v_ashrrev_i32_e32 v41, 31, v41
	v_lshlrev_b32_e32 v193, 24, v37
	v_xor_b32_e32 v40, vcc_lo, v40
	v_cmp_gt_i32_e32 vcc_lo, 0, v42
	v_not_b32_e32 v42, v43
	v_xor_b32_e32 v197, s17, v197
	v_cmp_gt_i32_e64 s17, 0, v43
	v_and_b32_e32 v40, exec_lo, v40
	v_not_b32_e32 v43, v194
	v_ashrrev_i32_e32 v42, 31, v42
	v_xor_b32_e32 v41, vcc_lo, v41
	v_cmp_gt_i32_e32 vcc_lo, 0, v194
	v_and_b32_e32 v40, v40, v197
	v_not_b32_e32 v194, v195
	v_ashrrev_i32_e32 v43, 31, v43
	v_xor_b32_e32 v42, s17, v42
	v_cmp_gt_i32_e64 s17, 0, v195
	v_and_b32_e32 v40, v40, v41
	v_not_b32_e32 v41, v196
	v_ashrrev_i32_e32 v194, 31, v194
	v_xor_b32_e32 v43, vcc_lo, v43
	v_cmp_gt_i32_e32 vcc_lo, 0, v196
	v_and_b32_e32 v40, v40, v42
	v_not_b32_e32 v42, v193
	v_ashrrev_i32_e32 v41, 31, v41
	v_xor_b32_e32 v194, s17, v194
	v_mul_u32_u24_e32 v37, 9, v37
	v_and_b32_e32 v40, v40, v43
	v_cmp_gt_i32_e64 s17, 0, v193
	v_ashrrev_i32_e32 v42, 31, v42
	v_xor_b32_e32 v41, vcc_lo, v41
	v_add_lshl_u32 v43, v37, v126, 2
	v_and_b32_e32 v40, v40, v194
	s_delay_alu instid0(VALU_DEP_4) | instskip(SKIP_3) | instid1(VALU_DEP_2)
	v_xor_b32_e32 v37, s17, v42
	ds_load_b32 v194, v43 offset:1056
	v_and_b32_e32 v40, v40, v41
	v_add_nc_u32_e32 v196, 0x420, v43
	; wave barrier
	v_and_b32_e32 v37, v40, v37
	s_delay_alu instid0(VALU_DEP_1) | instskip(SKIP_1) | instid1(VALU_DEP_2)
	v_mbcnt_lo_u32_b32 v195, v37, 0
	v_cmp_ne_u32_e64 s17, 0, v37
	v_cmp_eq_u32_e32 vcc_lo, 0, v195
	s_delay_alu instid0(VALU_DEP_2) | instskip(NEXT) | instid1(SALU_CYCLE_1)
	s_and_b32 s18, s17, vcc_lo
	s_and_saveexec_b32 s17, s18
	s_cbranch_execz .LBB1879_165
; %bb.164:                              ;   in Loop: Header=BB1879_103 Depth=2
	s_waitcnt lgkmcnt(0)
	v_bcnt_u32_b32 v37, v37, v194
	ds_store_b32 v196, v37
.LBB1879_165:                           ;   in Loop: Header=BB1879_103 Depth=2
	s_or_b32 exec_lo, exec_lo, s17
	v_cmp_lt_i16_e32 vcc_lo, -1, v39
	; wave barrier
	v_cndmask_b32_e64 v37, -1, 0xffff8000, vcc_lo
	s_delay_alu instid0(VALU_DEP_1) | instskip(NEXT) | instid1(VALU_DEP_1)
	v_xor_b32_e32 v193, v37, v39
	v_cmp_ne_u16_e64 vcc_lo, 0x7fff, v193
	v_cndmask_b32_e32 v37, 0xffff8000, v193, vcc_lo
	s_delay_alu instid0(VALU_DEP_1) | instskip(NEXT) | instid1(VALU_DEP_1)
	v_and_b32_e32 v37, 0xffff, v37
	v_lshrrev_b32_e32 v37, s48, v37
	s_delay_alu instid0(VALU_DEP_1) | instskip(NEXT) | instid1(VALU_DEP_1)
	v_and_b32_e32 v37, s55, v37
	v_and_b32_e32 v39, 1, v37
	v_lshlrev_b32_e32 v40, 30, v37
	v_lshlrev_b32_e32 v41, 29, v37
	;; [unrolled: 1-line block ×4, first 2 shown]
	v_add_co_u32 v39, s17, v39, -1
	s_delay_alu instid0(VALU_DEP_1)
	v_cndmask_b32_e64 v43, 0, 1, s17
	v_not_b32_e32 v200, v40
	v_cmp_gt_i32_e64 s17, 0, v40
	v_not_b32_e32 v40, v41
	v_lshlrev_b32_e32 v198, 26, v37
	v_cmp_ne_u32_e32 vcc_lo, 0, v43
	v_ashrrev_i32_e32 v200, 31, v200
	v_lshlrev_b32_e32 v199, 25, v37
	v_ashrrev_i32_e32 v40, 31, v40
	v_lshlrev_b32_e32 v43, 24, v37
	v_xor_b32_e32 v39, vcc_lo, v39
	v_cmp_gt_i32_e32 vcc_lo, 0, v41
	v_not_b32_e32 v41, v42
	v_xor_b32_e32 v200, s17, v200
	v_cmp_gt_i32_e64 s17, 0, v42
	v_and_b32_e32 v39, exec_lo, v39
	v_not_b32_e32 v42, v197
	v_ashrrev_i32_e32 v41, 31, v41
	v_xor_b32_e32 v40, vcc_lo, v40
	v_cmp_gt_i32_e32 vcc_lo, 0, v197
	v_and_b32_e32 v39, v39, v200
	v_not_b32_e32 v197, v198
	v_ashrrev_i32_e32 v42, 31, v42
	v_xor_b32_e32 v41, s17, v41
	v_cmp_gt_i32_e64 s17, 0, v198
	v_and_b32_e32 v39, v39, v40
	v_not_b32_e32 v40, v199
	v_ashrrev_i32_e32 v197, 31, v197
	v_xor_b32_e32 v42, vcc_lo, v42
	v_cmp_gt_i32_e32 vcc_lo, 0, v199
	v_and_b32_e32 v39, v39, v41
	v_not_b32_e32 v41, v43
	v_ashrrev_i32_e32 v40, 31, v40
	v_xor_b32_e32 v197, s17, v197
	v_mul_u32_u24_e32 v37, 9, v37
	v_and_b32_e32 v39, v39, v42
	v_cmp_gt_i32_e64 s17, 0, v43
	v_ashrrev_i32_e32 v41, 31, v41
	v_xor_b32_e32 v40, vcc_lo, v40
	v_add_lshl_u32 v42, v37, v126, 2
	v_and_b32_e32 v39, v39, v197
	s_delay_alu instid0(VALU_DEP_4) | instskip(SKIP_3) | instid1(VALU_DEP_2)
	v_xor_b32_e32 v37, s17, v41
	ds_load_b32 v198, v42 offset:1056
	v_and_b32_e32 v39, v39, v40
	v_add_nc_u32_e32 v200, 0x420, v42
	; wave barrier
	v_and_b32_e32 v37, v39, v37
	s_delay_alu instid0(VALU_DEP_1) | instskip(SKIP_1) | instid1(VALU_DEP_2)
	v_mbcnt_lo_u32_b32 v199, v37, 0
	v_cmp_ne_u32_e64 s17, 0, v37
	v_cmp_eq_u32_e32 vcc_lo, 0, v199
	s_delay_alu instid0(VALU_DEP_2) | instskip(NEXT) | instid1(SALU_CYCLE_1)
	s_and_b32 s18, s17, vcc_lo
	s_and_saveexec_b32 s17, s18
	s_cbranch_execz .LBB1879_167
; %bb.166:                              ;   in Loop: Header=BB1879_103 Depth=2
	s_waitcnt lgkmcnt(0)
	v_bcnt_u32_b32 v37, v37, v198
	ds_store_b32 v200, v37
.LBB1879_167:                           ;   in Loop: Header=BB1879_103 Depth=2
	s_or_b32 exec_lo, exec_lo, s17
	v_cmp_lt_i16_e32 vcc_lo, -1, v38
	; wave barrier
	v_cndmask_b32_e64 v37, -1, 0xffff8000, vcc_lo
	s_delay_alu instid0(VALU_DEP_1) | instskip(NEXT) | instid1(VALU_DEP_1)
	v_xor_b32_e32 v197, v37, v38
	v_cmp_ne_u16_e64 vcc_lo, 0x7fff, v197
	v_cndmask_b32_e32 v37, 0xffff8000, v197, vcc_lo
	s_delay_alu instid0(VALU_DEP_1) | instskip(NEXT) | instid1(VALU_DEP_1)
	v_and_b32_e32 v37, 0xffff, v37
	v_lshrrev_b32_e32 v37, s48, v37
	s_delay_alu instid0(VALU_DEP_1) | instskip(NEXT) | instid1(VALU_DEP_1)
	v_and_b32_e32 v37, s55, v37
	v_and_b32_e32 v38, 1, v37
	v_lshlrev_b32_e32 v39, 30, v37
	v_lshlrev_b32_e32 v40, 29, v37
	;; [unrolled: 1-line block ×4, first 2 shown]
	v_add_co_u32 v38, s17, v38, -1
	s_delay_alu instid0(VALU_DEP_1)
	v_cndmask_b32_e64 v42, 0, 1, s17
	v_not_b32_e32 v203, v39
	v_cmp_gt_i32_e64 s17, 0, v39
	v_not_b32_e32 v39, v40
	v_lshlrev_b32_e32 v201, 26, v37
	v_cmp_ne_u32_e32 vcc_lo, 0, v42
	v_ashrrev_i32_e32 v203, 31, v203
	v_lshlrev_b32_e32 v202, 25, v37
	v_ashrrev_i32_e32 v39, 31, v39
	v_lshlrev_b32_e32 v42, 24, v37
	v_xor_b32_e32 v38, vcc_lo, v38
	v_cmp_gt_i32_e32 vcc_lo, 0, v40
	v_not_b32_e32 v40, v41
	v_xor_b32_e32 v203, s17, v203
	v_cmp_gt_i32_e64 s17, 0, v41
	v_and_b32_e32 v38, exec_lo, v38
	v_not_b32_e32 v41, v43
	v_ashrrev_i32_e32 v40, 31, v40
	v_xor_b32_e32 v39, vcc_lo, v39
	v_cmp_gt_i32_e32 vcc_lo, 0, v43
	v_and_b32_e32 v38, v38, v203
	v_not_b32_e32 v43, v201
	v_ashrrev_i32_e32 v41, 31, v41
	v_xor_b32_e32 v40, s17, v40
	v_cmp_gt_i32_e64 s17, 0, v201
	v_and_b32_e32 v38, v38, v39
	v_not_b32_e32 v39, v202
	v_ashrrev_i32_e32 v43, 31, v43
	v_xor_b32_e32 v41, vcc_lo, v41
	v_cmp_gt_i32_e32 vcc_lo, 0, v202
	v_and_b32_e32 v38, v38, v40
	v_not_b32_e32 v40, v42
	v_ashrrev_i32_e32 v39, 31, v39
	v_xor_b32_e32 v43, s17, v43
	v_mul_u32_u24_e32 v37, 9, v37
	v_and_b32_e32 v38, v38, v41
	v_cmp_gt_i32_e64 s17, 0, v42
	v_ashrrev_i32_e32 v40, 31, v40
	v_xor_b32_e32 v39, vcc_lo, v39
	v_add_lshl_u32 v41, v37, v126, 2
	v_and_b32_e32 v38, v38, v43
	s_delay_alu instid0(VALU_DEP_4) | instskip(SKIP_3) | instid1(VALU_DEP_2)
	v_xor_b32_e32 v37, s17, v40
	ds_load_b32 v202, v41 offset:1056
	v_and_b32_e32 v38, v38, v39
	v_add_nc_u32_e32 v204, 0x420, v41
	; wave barrier
	v_and_b32_e32 v37, v38, v37
	s_delay_alu instid0(VALU_DEP_1) | instskip(SKIP_1) | instid1(VALU_DEP_2)
	v_mbcnt_lo_u32_b32 v203, v37, 0
	v_cmp_ne_u32_e64 s17, 0, v37
	v_cmp_eq_u32_e32 vcc_lo, 0, v203
	s_delay_alu instid0(VALU_DEP_2) | instskip(NEXT) | instid1(SALU_CYCLE_1)
	s_and_b32 s18, s17, vcc_lo
	s_and_saveexec_b32 s17, s18
	s_cbranch_execz .LBB1879_169
; %bb.168:                              ;   in Loop: Header=BB1879_103 Depth=2
	s_waitcnt lgkmcnt(0)
	v_bcnt_u32_b32 v37, v37, v202
	ds_store_b32 v204, v37
.LBB1879_169:                           ;   in Loop: Header=BB1879_103 Depth=2
	s_or_b32 exec_lo, exec_lo, s17
	v_cmp_lt_i16_e32 vcc_lo, -1, v36
	; wave barrier
	v_cndmask_b32_e64 v37, -1, 0xffff8000, vcc_lo
	s_delay_alu instid0(VALU_DEP_1) | instskip(NEXT) | instid1(VALU_DEP_1)
	v_xor_b32_e32 v201, v37, v36
	v_cmp_ne_u16_e64 vcc_lo, 0x7fff, v201
	v_cndmask_b32_e32 v36, 0xffff8000, v201, vcc_lo
	s_delay_alu instid0(VALU_DEP_1) | instskip(NEXT) | instid1(VALU_DEP_1)
	v_and_b32_e32 v36, 0xffff, v36
	v_lshrrev_b32_e32 v36, s48, v36
	s_delay_alu instid0(VALU_DEP_1) | instskip(NEXT) | instid1(VALU_DEP_1)
	v_and_b32_e32 v36, s55, v36
	v_and_b32_e32 v37, 1, v36
	v_lshlrev_b32_e32 v38, 30, v36
	v_lshlrev_b32_e32 v39, 29, v36
	;; [unrolled: 1-line block ×4, first 2 shown]
	v_add_co_u32 v37, s17, v37, -1
	s_delay_alu instid0(VALU_DEP_1)
	v_cndmask_b32_e64 v41, 0, 1, s17
	v_not_b32_e32 v206, v38
	v_cmp_gt_i32_e64 s17, 0, v38
	v_not_b32_e32 v38, v39
	v_lshlrev_b32_e32 v43, 26, v36
	v_cmp_ne_u32_e32 vcc_lo, 0, v41
	v_ashrrev_i32_e32 v206, 31, v206
	v_lshlrev_b32_e32 v205, 25, v36
	v_ashrrev_i32_e32 v38, 31, v38
	v_lshlrev_b32_e32 v41, 24, v36
	v_xor_b32_e32 v37, vcc_lo, v37
	v_cmp_gt_i32_e32 vcc_lo, 0, v39
	v_not_b32_e32 v39, v40
	v_xor_b32_e32 v206, s17, v206
	v_cmp_gt_i32_e64 s17, 0, v40
	v_and_b32_e32 v37, exec_lo, v37
	v_not_b32_e32 v40, v42
	v_ashrrev_i32_e32 v39, 31, v39
	v_xor_b32_e32 v38, vcc_lo, v38
	v_cmp_gt_i32_e32 vcc_lo, 0, v42
	v_and_b32_e32 v37, v37, v206
	v_not_b32_e32 v42, v43
	v_ashrrev_i32_e32 v40, 31, v40
	v_xor_b32_e32 v39, s17, v39
	v_cmp_gt_i32_e64 s17, 0, v43
	v_and_b32_e32 v37, v37, v38
	v_not_b32_e32 v38, v205
	v_ashrrev_i32_e32 v42, 31, v42
	v_xor_b32_e32 v40, vcc_lo, v40
	v_cmp_gt_i32_e32 vcc_lo, 0, v205
	v_and_b32_e32 v37, v37, v39
	v_not_b32_e32 v39, v41
	v_ashrrev_i32_e32 v38, 31, v38
	v_xor_b32_e32 v42, s17, v42
	v_mul_u32_u24_e32 v36, 9, v36
	v_and_b32_e32 v37, v37, v40
	v_cmp_gt_i32_e64 s17, 0, v41
	v_ashrrev_i32_e32 v39, 31, v39
	v_xor_b32_e32 v38, vcc_lo, v38
	v_add_lshl_u32 v40, v36, v126, 2
	v_and_b32_e32 v37, v37, v42
	s_delay_alu instid0(VALU_DEP_4) | instskip(SKIP_3) | instid1(VALU_DEP_2)
	v_xor_b32_e32 v36, s17, v39
	ds_load_b32 v205, v40 offset:1056
	v_and_b32_e32 v37, v37, v38
	v_add_nc_u32_e32 v207, 0x420, v40
	; wave barrier
	v_and_b32_e32 v36, v37, v36
	s_delay_alu instid0(VALU_DEP_1) | instskip(SKIP_1) | instid1(VALU_DEP_2)
	v_mbcnt_lo_u32_b32 v206, v36, 0
	v_cmp_ne_u32_e64 s17, 0, v36
	v_cmp_eq_u32_e32 vcc_lo, 0, v206
	s_delay_alu instid0(VALU_DEP_2) | instskip(NEXT) | instid1(SALU_CYCLE_1)
	s_and_b32 s18, s17, vcc_lo
	s_and_saveexec_b32 s17, s18
	s_cbranch_execz .LBB1879_171
; %bb.170:                              ;   in Loop: Header=BB1879_103 Depth=2
	s_waitcnt lgkmcnt(0)
	v_bcnt_u32_b32 v36, v36, v205
	ds_store_b32 v207, v36
.LBB1879_171:                           ;   in Loop: Header=BB1879_103 Depth=2
	s_or_b32 exec_lo, exec_lo, s17
	; wave barrier
	s_waitcnt lgkmcnt(0)
	s_barrier
	buffer_gl0_inv
	ds_load_b32 v208, v69 offset:1056
	ds_load_2addr_b32 v[42:43], v71 offset0:1 offset1:2
	ds_load_2addr_b32 v[40:41], v71 offset0:3 offset1:4
	;; [unrolled: 1-line block ×4, first 2 shown]
	s_waitcnt lgkmcnt(3)
	v_add3_u32 v209, v42, v208, v43
	s_waitcnt lgkmcnt(2)
	s_delay_alu instid0(VALU_DEP_1) | instskip(SKIP_1) | instid1(VALU_DEP_1)
	v_add3_u32 v209, v209, v40, v41
	s_waitcnt lgkmcnt(1)
	v_add3_u32 v209, v209, v36, v37
	s_waitcnt lgkmcnt(0)
	s_delay_alu instid0(VALU_DEP_1) | instskip(NEXT) | instid1(VALU_DEP_1)
	v_add3_u32 v39, v209, v38, v39
	v_mov_b32_dpp v209, v39 row_shr:1 row_mask:0xf bank_mask:0xf
	s_delay_alu instid0(VALU_DEP_1) | instskip(NEXT) | instid1(VALU_DEP_1)
	v_cndmask_b32_e64 v209, v209, 0, s0
	v_add_nc_u32_e32 v39, v209, v39
	s_delay_alu instid0(VALU_DEP_1) | instskip(NEXT) | instid1(VALU_DEP_1)
	v_mov_b32_dpp v209, v39 row_shr:2 row_mask:0xf bank_mask:0xf
	v_cndmask_b32_e64 v209, 0, v209, s1
	s_delay_alu instid0(VALU_DEP_1) | instskip(NEXT) | instid1(VALU_DEP_1)
	v_add_nc_u32_e32 v39, v39, v209
	v_mov_b32_dpp v209, v39 row_shr:4 row_mask:0xf bank_mask:0xf
	s_delay_alu instid0(VALU_DEP_1) | instskip(NEXT) | instid1(VALU_DEP_1)
	v_cndmask_b32_e64 v209, 0, v209, s8
	v_add_nc_u32_e32 v39, v39, v209
	s_delay_alu instid0(VALU_DEP_1) | instskip(NEXT) | instid1(VALU_DEP_1)
	v_mov_b32_dpp v209, v39 row_shr:8 row_mask:0xf bank_mask:0xf
	v_cndmask_b32_e64 v209, 0, v209, s9
	s_delay_alu instid0(VALU_DEP_1) | instskip(SKIP_3) | instid1(VALU_DEP_1)
	v_add_nc_u32_e32 v39, v39, v209
	ds_swizzle_b32 v209, v39 offset:swizzle(BROADCAST,32,15)
	s_waitcnt lgkmcnt(0)
	v_cndmask_b32_e64 v209, v209, 0, s10
	v_add_nc_u32_e32 v39, v39, v209
	s_and_saveexec_b32 s17, s3
	s_cbranch_execz .LBB1879_173
; %bb.172:                              ;   in Loop: Header=BB1879_103 Depth=2
	ds_store_b32 v62, v39 offset:1024
.LBB1879_173:                           ;   in Loop: Header=BB1879_103 Depth=2
	s_or_b32 exec_lo, exec_lo, s17
	s_waitcnt lgkmcnt(0)
	s_barrier
	buffer_gl0_inv
	s_and_saveexec_b32 s17, s4
	s_cbranch_execz .LBB1879_175
; %bb.174:                              ;   in Loop: Header=BB1879_103 Depth=2
	ds_load_b32 v209, v72 offset:1024
	s_waitcnt lgkmcnt(0)
	v_mov_b32_dpp v210, v209 row_shr:1 row_mask:0xf bank_mask:0xf
	s_delay_alu instid0(VALU_DEP_1) | instskip(NEXT) | instid1(VALU_DEP_1)
	v_cndmask_b32_e64 v210, v210, 0, s12
	v_add_nc_u32_e32 v209, v210, v209
	s_delay_alu instid0(VALU_DEP_1) | instskip(NEXT) | instid1(VALU_DEP_1)
	v_mov_b32_dpp v210, v209 row_shr:2 row_mask:0xf bank_mask:0xf
	v_cndmask_b32_e64 v210, 0, v210, s13
	s_delay_alu instid0(VALU_DEP_1) | instskip(NEXT) | instid1(VALU_DEP_1)
	v_add_nc_u32_e32 v209, v209, v210
	v_mov_b32_dpp v210, v209 row_shr:4 row_mask:0xf bank_mask:0xf
	s_delay_alu instid0(VALU_DEP_1) | instskip(NEXT) | instid1(VALU_DEP_1)
	v_cndmask_b32_e64 v210, 0, v210, s16
	v_add_nc_u32_e32 v209, v209, v210
	ds_store_b32 v72, v209 offset:1024
.LBB1879_175:                           ;   in Loop: Header=BB1879_103 Depth=2
	s_or_b32 exec_lo, exec_lo, s17
	v_mov_b32_e32 v209, 0
	s_waitcnt lgkmcnt(0)
	s_barrier
	buffer_gl0_inv
	s_and_saveexec_b32 s17, s5
	s_cbranch_execz .LBB1879_177
; %bb.176:                              ;   in Loop: Header=BB1879_103 Depth=2
	ds_load_b32 v209, v62 offset:1020
.LBB1879_177:                           ;   in Loop: Header=BB1879_103 Depth=2
	s_or_b32 exec_lo, exec_lo, s17
	s_waitcnt lgkmcnt(0)
	v_add_nc_u32_e32 v39, v209, v39
	ds_bpermute_b32 v39, v105, v39
	s_waitcnt lgkmcnt(0)
	v_cndmask_b32_e64 v39, v39, v209, s11
	s_delay_alu instid0(VALU_DEP_1) | instskip(NEXT) | instid1(VALU_DEP_1)
	v_cndmask_b32_e64 v39, v39, 0, s6
	v_add_nc_u32_e32 v208, v39, v208
	s_delay_alu instid0(VALU_DEP_1) | instskip(NEXT) | instid1(VALU_DEP_1)
	v_add_nc_u32_e32 v42, v208, v42
	v_add_nc_u32_e32 v43, v42, v43
	s_delay_alu instid0(VALU_DEP_1) | instskip(NEXT) | instid1(VALU_DEP_1)
	v_add_nc_u32_e32 v40, v43, v40
	;; [unrolled: 3-line block ×3, first 2 shown]
	v_add_nc_u32_e32 v37, v36, v37
	s_delay_alu instid0(VALU_DEP_1)
	v_add_nc_u32_e32 v38, v37, v38
	ds_store_b32 v69, v39 offset:1056
	ds_store_2addr_b32 v71, v208, v42 offset0:1 offset1:2
	ds_store_2addr_b32 v71, v43, v40 offset0:3 offset1:4
	ds_store_2addr_b32 v71, v41, v36 offset0:5 offset1:6
	ds_store_2addr_b32 v71, v37, v38 offset0:7 offset1:8
	v_mov_b32_e32 v38, 0x1000
	s_waitcnt lgkmcnt(0)
	s_barrier
	buffer_gl0_inv
	ds_load_b32 v39, v152
	ds_load_b32 v40, v156
	;; [unrolled: 1-line block ×16, first 2 shown]
	ds_load_b32 v156, v69 offset:1056
	s_and_saveexec_b32 s17, s7
	s_cbranch_execz .LBB1879_179
; %bb.178:                              ;   in Loop: Header=BB1879_103 Depth=2
	ds_load_b32 v38, v73 offset:1056
.LBB1879_179:                           ;   in Loop: Header=BB1879_103 Depth=2
	s_or_b32 exec_lo, exec_lo, s17
	s_waitcnt lgkmcnt(0)
	s_barrier
	buffer_gl0_inv
	s_and_saveexec_b32 s17, s2
	s_cbranch_execz .LBB1879_181
; %bb.180:                              ;   in Loop: Header=BB1879_103 Depth=2
	ds_load_b32 v160, v44
	s_waitcnt lgkmcnt(0)
	v_sub_nc_u32_e32 v156, v160, v156
	ds_store_b32 v44, v156
.LBB1879_181:                           ;   in Loop: Header=BB1879_103 Depth=2
	s_or_b32 exec_lo, exec_lo, s17
	v_add_nc_u32_e32 v168, v148, v147
	v_add3_u32 v164, v151, v150, v39
	v_add3_u32 v160, v155, v154, v40
	;; [unrolled: 1-line block ×5, first 2 shown]
	v_lshlrev_b32_e32 v158, 1, v168
	v_add3_u32 v43, v199, v198, v36
	v_lshlrev_b32_e32 v36, 1, v164
	v_add3_u32 v152, v172, v171, v173
	v_add3_u32 v151, v175, v174, v176
	ds_store_b16 v158, v2 offset:1024
	v_lshlrev_b32_e32 v2, 1, v160
	ds_store_b16 v36, v146 offset:1024
	v_lshlrev_b32_e32 v36, 1, v154
	v_add3_u32 v150, v179, v178, v180
	v_add3_u32 v42, v203, v202, v37
	v_lshlrev_b32_e32 v37, 1, v156
	v_add3_u32 v148, v183, v182, v184
	v_lshlrev_b32_e32 v158, 1, v155
	v_add3_u32 v147, v187, v186, v188
	v_add3_u32 v40, v191, v190, v192
	ds_store_b16 v2, v149 offset:1024
	ds_store_b16 v37, v153 offset:1024
	;; [unrolled: 1-line block ×3, first 2 shown]
	v_lshlrev_b32_e32 v2, 1, v152
	ds_store_b16 v36, v161 offset:1024
	v_lshlrev_b32_e32 v36, 1, v151
	v_lshlrev_b32_e32 v37, 1, v150
	;; [unrolled: 1-line block ×3, first 2 shown]
	v_add3_u32 v39, v195, v194, v196
	v_add3_u32 v41, v206, v205, v41
	ds_store_b16 v2, v165 offset:1024
	v_lshlrev_b32_e32 v2, 1, v147
	ds_store_b16 v36, v170 offset:1024
	ds_store_b16 v37, v169 offset:1024
	;; [unrolled: 1-line block ×3, first 2 shown]
	v_lshlrev_b32_e32 v36, 1, v40
	v_cmp_lt_u32_e32 vcc_lo, v1, v145
	v_lshlrev_b32_e32 v37, 1, v43
	ds_store_b16 v2, v181 offset:1024
	v_lshlrev_b32_e32 v2, 1, v39
	ds_store_b16 v36, v185 offset:1024
	v_lshlrev_b32_e32 v36, 1, v41
	v_lshlrev_b32_e32 v146, 1, v42
	ds_store_b16 v2, v189 offset:1024
	ds_store_b16 v37, v193 offset:1024
	;; [unrolled: 1-line block ×4, first 2 shown]
	s_waitcnt lgkmcnt(0)
	s_barrier
	buffer_gl0_inv
	s_and_saveexec_b32 s18, vcc_lo
	s_cbranch_execz .LBB1879_197
; %bb.182:                              ;   in Loop: Header=BB1879_103 Depth=2
	v_add_nc_u32_e32 v2, v72, v78
	ds_load_u16 v146, v2 offset:1024
	s_waitcnt lgkmcnt(0)
	v_cmp_ne_u16_e64 s17, 0x7fff, v146
	s_delay_alu instid0(VALU_DEP_1) | instskip(SKIP_1) | instid1(VALU_DEP_2)
	v_cndmask_b32_e64 v2, 0xffff8000, v146, s17
	v_cmp_lt_i16_e64 s17, -1, v146
	v_and_b32_e32 v2, 0xffff, v2
	s_delay_alu instid0(VALU_DEP_2) | instskip(NEXT) | instid1(VALU_DEP_2)
	v_cndmask_b32_e64 v149, 0xffff8000, -1, s17
	v_lshrrev_b32_e32 v2, s48, v2
	s_delay_alu instid0(VALU_DEP_1) | instskip(NEXT) | instid1(VALU_DEP_1)
	v_and_b32_e32 v2, s55, v2
	v_lshlrev_b32_e32 v2, 2, v2
	ds_load_b32 v2, v2
	s_waitcnt lgkmcnt(0)
	v_add_nc_u32_e32 v2, v2, v1
	s_delay_alu instid0(VALU_DEP_1) | instskip(SKIP_1) | instid1(VALU_DEP_2)
	v_lshlrev_b64 v[36:37], 1, v[2:3]
	v_xor_b32_e32 v2, v149, v146
	v_add_co_u32 v36, s17, s38, v36
	s_delay_alu instid0(VALU_DEP_1) | instskip(SKIP_3) | instid1(VALU_DEP_1)
	v_add_co_ci_u32_e64 v37, s17, s39, v37, s17
	global_store_b16 v[36:37], v2, off
	s_or_b32 exec_lo, exec_lo, s18
	v_cmp_lt_u32_e64 s17, v45, v145
	s_and_saveexec_b32 s19, s17
	s_cbranch_execnz .LBB1879_198
.LBB1879_183:                           ;   in Loop: Header=BB1879_103 Depth=2
	s_or_b32 exec_lo, exec_lo, s19
	v_cmp_lt_u32_e64 s18, v46, v145
	s_delay_alu instid0(VALU_DEP_1)
	s_and_saveexec_b32 s20, s18
	s_cbranch_execz .LBB1879_199
.LBB1879_184:                           ;   in Loop: Header=BB1879_103 Depth=2
	ds_load_u16 v146, v79 offset:1024
	s_waitcnt lgkmcnt(0)
	v_cmp_ne_u16_e64 s19, 0x7fff, v146
	s_delay_alu instid0(VALU_DEP_1) | instskip(SKIP_1) | instid1(VALU_DEP_2)
	v_cndmask_b32_e64 v2, 0xffff8000, v146, s19
	v_cmp_lt_i16_e64 s19, -1, v146
	v_and_b32_e32 v2, 0xffff, v2
	s_delay_alu instid0(VALU_DEP_2) | instskip(NEXT) | instid1(VALU_DEP_2)
	v_cndmask_b32_e64 v149, 0xffff8000, -1, s19
	v_lshrrev_b32_e32 v2, s48, v2
	s_delay_alu instid0(VALU_DEP_1) | instskip(NEXT) | instid1(VALU_DEP_1)
	v_and_b32_e32 v2, s55, v2
	v_lshlrev_b32_e32 v2, 2, v2
	ds_load_b32 v2, v2
	s_waitcnt lgkmcnt(0)
	v_add_nc_u32_e32 v2, v2, v46
	s_delay_alu instid0(VALU_DEP_1) | instskip(SKIP_1) | instid1(VALU_DEP_2)
	v_lshlrev_b64 v[36:37], 1, v[2:3]
	v_xor_b32_e32 v2, v149, v146
	v_add_co_u32 v36, s19, s38, v36
	s_delay_alu instid0(VALU_DEP_1) | instskip(SKIP_3) | instid1(VALU_DEP_1)
	v_add_co_ci_u32_e64 v37, s19, s39, v37, s19
	global_store_b16 v[36:37], v2, off
	s_or_b32 exec_lo, exec_lo, s20
	v_cmp_lt_u32_e64 s19, v47, v145
	s_and_saveexec_b32 s21, s19
	s_cbranch_execnz .LBB1879_200
.LBB1879_185:                           ;   in Loop: Header=BB1879_103 Depth=2
	s_or_b32 exec_lo, exec_lo, s21
	v_cmp_lt_u32_e64 s20, v51, v145
	s_delay_alu instid0(VALU_DEP_1)
	s_and_saveexec_b32 s22, s20
	s_cbranch_execz .LBB1879_201
.LBB1879_186:                           ;   in Loop: Header=BB1879_103 Depth=2
	ds_load_u16 v146, v79 offset:2048
	s_waitcnt lgkmcnt(0)
	v_cmp_ne_u16_e64 s21, 0x7fff, v146
	s_delay_alu instid0(VALU_DEP_1) | instskip(SKIP_1) | instid1(VALU_DEP_2)
	v_cndmask_b32_e64 v2, 0xffff8000, v146, s21
	v_cmp_lt_i16_e64 s21, -1, v146
	v_and_b32_e32 v2, 0xffff, v2
	s_delay_alu instid0(VALU_DEP_2) | instskip(NEXT) | instid1(VALU_DEP_2)
	v_cndmask_b32_e64 v149, 0xffff8000, -1, s21
	v_lshrrev_b32_e32 v2, s48, v2
	s_delay_alu instid0(VALU_DEP_1) | instskip(NEXT) | instid1(VALU_DEP_1)
	v_and_b32_e32 v2, s55, v2
	v_lshlrev_b32_e32 v2, 2, v2
	ds_load_b32 v2, v2
	s_waitcnt lgkmcnt(0)
	v_add_nc_u32_e32 v2, v2, v51
	s_delay_alu instid0(VALU_DEP_1) | instskip(SKIP_1) | instid1(VALU_DEP_2)
	v_lshlrev_b64 v[36:37], 1, v[2:3]
	v_xor_b32_e32 v2, v149, v146
	v_add_co_u32 v36, s21, s38, v36
	s_delay_alu instid0(VALU_DEP_1) | instskip(SKIP_3) | instid1(VALU_DEP_1)
	v_add_co_ci_u32_e64 v37, s21, s39, v37, s21
	global_store_b16 v[36:37], v2, off
	s_or_b32 exec_lo, exec_lo, s22
	v_cmp_lt_u32_e64 s21, v52, v145
	s_and_saveexec_b32 s23, s21
	s_cbranch_execnz .LBB1879_202
.LBB1879_187:                           ;   in Loop: Header=BB1879_103 Depth=2
	s_or_b32 exec_lo, exec_lo, s23
	v_cmp_lt_u32_e64 s22, v53, v145
	s_delay_alu instid0(VALU_DEP_1)
	s_and_saveexec_b32 s24, s22
	s_cbranch_execz .LBB1879_203
.LBB1879_188:                           ;   in Loop: Header=BB1879_103 Depth=2
	ds_load_u16 v146, v79 offset:3072
	s_waitcnt lgkmcnt(0)
	v_cmp_ne_u16_e64 s23, 0x7fff, v146
	s_delay_alu instid0(VALU_DEP_1) | instskip(SKIP_1) | instid1(VALU_DEP_2)
	v_cndmask_b32_e64 v2, 0xffff8000, v146, s23
	v_cmp_lt_i16_e64 s23, -1, v146
	v_and_b32_e32 v2, 0xffff, v2
	s_delay_alu instid0(VALU_DEP_2) | instskip(NEXT) | instid1(VALU_DEP_2)
	v_cndmask_b32_e64 v149, 0xffff8000, -1, s23
	v_lshrrev_b32_e32 v2, s48, v2
	s_delay_alu instid0(VALU_DEP_1) | instskip(NEXT) | instid1(VALU_DEP_1)
	v_and_b32_e32 v2, s55, v2
	v_lshlrev_b32_e32 v2, 2, v2
	ds_load_b32 v2, v2
	s_waitcnt lgkmcnt(0)
	v_add_nc_u32_e32 v2, v2, v53
	s_delay_alu instid0(VALU_DEP_1) | instskip(SKIP_1) | instid1(VALU_DEP_2)
	v_lshlrev_b64 v[36:37], 1, v[2:3]
	v_xor_b32_e32 v2, v149, v146
	v_add_co_u32 v36, s23, s38, v36
	s_delay_alu instid0(VALU_DEP_1) | instskip(SKIP_3) | instid1(VALU_DEP_1)
	v_add_co_ci_u32_e64 v37, s23, s39, v37, s23
	global_store_b16 v[36:37], v2, off
	s_or_b32 exec_lo, exec_lo, s24
	v_cmp_lt_u32_e64 s23, v54, v145
	s_and_saveexec_b32 s25, s23
	s_cbranch_execnz .LBB1879_204
.LBB1879_189:                           ;   in Loop: Header=BB1879_103 Depth=2
	s_or_b32 exec_lo, exec_lo, s25
	v_cmp_lt_u32_e64 s24, v55, v145
	s_delay_alu instid0(VALU_DEP_1)
	s_and_saveexec_b32 s26, s24
	s_cbranch_execz .LBB1879_205
.LBB1879_190:                           ;   in Loop: Header=BB1879_103 Depth=2
	ds_load_u16 v146, v79 offset:4096
	s_waitcnt lgkmcnt(0)
	v_cmp_ne_u16_e64 s25, 0x7fff, v146
	s_delay_alu instid0(VALU_DEP_1) | instskip(SKIP_1) | instid1(VALU_DEP_2)
	v_cndmask_b32_e64 v2, 0xffff8000, v146, s25
	v_cmp_lt_i16_e64 s25, -1, v146
	v_and_b32_e32 v2, 0xffff, v2
	s_delay_alu instid0(VALU_DEP_2) | instskip(NEXT) | instid1(VALU_DEP_2)
	v_cndmask_b32_e64 v149, 0xffff8000, -1, s25
	v_lshrrev_b32_e32 v2, s48, v2
	s_delay_alu instid0(VALU_DEP_1) | instskip(NEXT) | instid1(VALU_DEP_1)
	v_and_b32_e32 v2, s55, v2
	v_lshlrev_b32_e32 v2, 2, v2
	ds_load_b32 v2, v2
	s_waitcnt lgkmcnt(0)
	v_add_nc_u32_e32 v2, v2, v55
	s_delay_alu instid0(VALU_DEP_1) | instskip(SKIP_1) | instid1(VALU_DEP_2)
	v_lshlrev_b64 v[36:37], 1, v[2:3]
	v_xor_b32_e32 v2, v149, v146
	v_add_co_u32 v36, s25, s38, v36
	s_delay_alu instid0(VALU_DEP_1) | instskip(SKIP_3) | instid1(VALU_DEP_1)
	v_add_co_ci_u32_e64 v37, s25, s39, v37, s25
	global_store_b16 v[36:37], v2, off
	s_or_b32 exec_lo, exec_lo, s26
	v_cmp_lt_u32_e64 s25, v56, v145
	s_and_saveexec_b32 s27, s25
	s_cbranch_execnz .LBB1879_206
.LBB1879_191:                           ;   in Loop: Header=BB1879_103 Depth=2
	s_or_b32 exec_lo, exec_lo, s27
	v_cmp_lt_u32_e64 s26, v57, v145
	s_delay_alu instid0(VALU_DEP_1)
	s_and_saveexec_b32 s28, s26
	s_cbranch_execz .LBB1879_207
.LBB1879_192:                           ;   in Loop: Header=BB1879_103 Depth=2
	ds_load_u16 v146, v79 offset:5120
	s_waitcnt lgkmcnt(0)
	v_cmp_ne_u16_e64 s27, 0x7fff, v146
	s_delay_alu instid0(VALU_DEP_1) | instskip(SKIP_1) | instid1(VALU_DEP_2)
	v_cndmask_b32_e64 v2, 0xffff8000, v146, s27
	v_cmp_lt_i16_e64 s27, -1, v146
	v_and_b32_e32 v2, 0xffff, v2
	s_delay_alu instid0(VALU_DEP_2) | instskip(NEXT) | instid1(VALU_DEP_2)
	v_cndmask_b32_e64 v149, 0xffff8000, -1, s27
	v_lshrrev_b32_e32 v2, s48, v2
	s_delay_alu instid0(VALU_DEP_1) | instskip(NEXT) | instid1(VALU_DEP_1)
	v_and_b32_e32 v2, s55, v2
	v_lshlrev_b32_e32 v2, 2, v2
	ds_load_b32 v2, v2
	s_waitcnt lgkmcnt(0)
	v_add_nc_u32_e32 v2, v2, v57
	s_delay_alu instid0(VALU_DEP_1) | instskip(SKIP_1) | instid1(VALU_DEP_2)
	v_lshlrev_b64 v[36:37], 1, v[2:3]
	v_xor_b32_e32 v2, v149, v146
	v_add_co_u32 v36, s27, s38, v36
	s_delay_alu instid0(VALU_DEP_1) | instskip(SKIP_3) | instid1(VALU_DEP_1)
	v_add_co_ci_u32_e64 v37, s27, s39, v37, s27
	global_store_b16 v[36:37], v2, off
	s_or_b32 exec_lo, exec_lo, s28
	v_cmp_lt_u32_e64 s27, v58, v145
	s_and_saveexec_b32 s29, s27
	s_cbranch_execnz .LBB1879_208
.LBB1879_193:                           ;   in Loop: Header=BB1879_103 Depth=2
	s_or_b32 exec_lo, exec_lo, s29
	v_cmp_lt_u32_e64 s28, v59, v145
	s_delay_alu instid0(VALU_DEP_1)
	s_and_saveexec_b32 s30, s28
	s_cbranch_execz .LBB1879_209
.LBB1879_194:                           ;   in Loop: Header=BB1879_103 Depth=2
	ds_load_u16 v146, v79 offset:6144
	s_waitcnt lgkmcnt(0)
	v_cmp_ne_u16_e64 s29, 0x7fff, v146
	s_delay_alu instid0(VALU_DEP_1) | instskip(SKIP_1) | instid1(VALU_DEP_2)
	v_cndmask_b32_e64 v2, 0xffff8000, v146, s29
	v_cmp_lt_i16_e64 s29, -1, v146
	v_and_b32_e32 v2, 0xffff, v2
	s_delay_alu instid0(VALU_DEP_2) | instskip(NEXT) | instid1(VALU_DEP_2)
	v_cndmask_b32_e64 v149, 0xffff8000, -1, s29
	v_lshrrev_b32_e32 v2, s48, v2
	s_delay_alu instid0(VALU_DEP_1) | instskip(NEXT) | instid1(VALU_DEP_1)
	v_and_b32_e32 v2, s55, v2
	v_lshlrev_b32_e32 v2, 2, v2
	ds_load_b32 v2, v2
	s_waitcnt lgkmcnt(0)
	v_add_nc_u32_e32 v2, v2, v59
	s_delay_alu instid0(VALU_DEP_1) | instskip(SKIP_1) | instid1(VALU_DEP_2)
	v_lshlrev_b64 v[36:37], 1, v[2:3]
	v_xor_b32_e32 v2, v149, v146
	v_add_co_u32 v36, s29, s38, v36
	s_delay_alu instid0(VALU_DEP_1) | instskip(SKIP_3) | instid1(VALU_DEP_1)
	v_add_co_ci_u32_e64 v37, s29, s39, v37, s29
	global_store_b16 v[36:37], v2, off
	s_or_b32 exec_lo, exec_lo, s30
	v_cmp_lt_u32_e64 s29, v60, v145
	s_and_saveexec_b32 s31, s29
	s_cbranch_execnz .LBB1879_210
.LBB1879_195:                           ;   in Loop: Header=BB1879_103 Depth=2
	s_or_b32 exec_lo, exec_lo, s31
	v_cmp_lt_u32_e64 s30, v61, v145
	s_delay_alu instid0(VALU_DEP_1)
	s_and_saveexec_b32 s33, s30
	s_cbranch_execz .LBB1879_211
.LBB1879_196:                           ;   in Loop: Header=BB1879_103 Depth=2
	ds_load_u16 v146, v79 offset:7168
	s_waitcnt lgkmcnt(0)
	v_cmp_ne_u16_e64 s31, 0x7fff, v146
	s_delay_alu instid0(VALU_DEP_1) | instskip(SKIP_1) | instid1(VALU_DEP_2)
	v_cndmask_b32_e64 v2, 0xffff8000, v146, s31
	v_cmp_lt_i16_e64 s31, -1, v146
	v_and_b32_e32 v2, 0xffff, v2
	s_delay_alu instid0(VALU_DEP_2) | instskip(NEXT) | instid1(VALU_DEP_2)
	v_cndmask_b32_e64 v149, 0xffff8000, -1, s31
	v_lshrrev_b32_e32 v2, s48, v2
	s_delay_alu instid0(VALU_DEP_1) | instskip(NEXT) | instid1(VALU_DEP_1)
	v_and_b32_e32 v2, s55, v2
	v_lshlrev_b32_e32 v2, 2, v2
	ds_load_b32 v2, v2
	s_waitcnt lgkmcnt(0)
	v_add_nc_u32_e32 v2, v2, v61
	s_delay_alu instid0(VALU_DEP_1) | instskip(SKIP_1) | instid1(VALU_DEP_2)
	v_lshlrev_b64 v[36:37], 1, v[2:3]
	v_xor_b32_e32 v2, v149, v146
	v_add_co_u32 v36, s31, s38, v36
	s_delay_alu instid0(VALU_DEP_1) | instskip(SKIP_3) | instid1(VALU_DEP_1)
	v_add_co_ci_u32_e64 v37, s31, s39, v37, s31
	global_store_b16 v[36:37], v2, off
	s_or_b32 exec_lo, exec_lo, s33
	v_cmp_lt_u32_e64 s31, v63, v145
	s_and_saveexec_b32 s58, s31
	s_cbranch_execnz .LBB1879_212
	s_branch .LBB1879_213
.LBB1879_197:                           ;   in Loop: Header=BB1879_103 Depth=2
	s_or_b32 exec_lo, exec_lo, s18
	v_cmp_lt_u32_e64 s17, v45, v145
	s_delay_alu instid0(VALU_DEP_1)
	s_and_saveexec_b32 s19, s17
	s_cbranch_execz .LBB1879_183
.LBB1879_198:                           ;   in Loop: Header=BB1879_103 Depth=2
	ds_load_u16 v146, v79 offset:512
	s_waitcnt lgkmcnt(0)
	v_cmp_ne_u16_e64 s18, 0x7fff, v146
	s_delay_alu instid0(VALU_DEP_1) | instskip(SKIP_1) | instid1(VALU_DEP_2)
	v_cndmask_b32_e64 v2, 0xffff8000, v146, s18
	v_cmp_lt_i16_e64 s18, -1, v146
	v_and_b32_e32 v2, 0xffff, v2
	s_delay_alu instid0(VALU_DEP_2) | instskip(NEXT) | instid1(VALU_DEP_2)
	v_cndmask_b32_e64 v149, 0xffff8000, -1, s18
	v_lshrrev_b32_e32 v2, s48, v2
	s_delay_alu instid0(VALU_DEP_1) | instskip(NEXT) | instid1(VALU_DEP_1)
	v_and_b32_e32 v2, s55, v2
	v_lshlrev_b32_e32 v2, 2, v2
	ds_load_b32 v2, v2
	s_waitcnt lgkmcnt(0)
	v_add_nc_u32_e32 v2, v2, v45
	s_delay_alu instid0(VALU_DEP_1) | instskip(SKIP_1) | instid1(VALU_DEP_2)
	v_lshlrev_b64 v[36:37], 1, v[2:3]
	v_xor_b32_e32 v2, v149, v146
	v_add_co_u32 v36, s18, s38, v36
	s_delay_alu instid0(VALU_DEP_1) | instskip(SKIP_3) | instid1(VALU_DEP_1)
	v_add_co_ci_u32_e64 v37, s18, s39, v37, s18
	global_store_b16 v[36:37], v2, off
	s_or_b32 exec_lo, exec_lo, s19
	v_cmp_lt_u32_e64 s18, v46, v145
	s_and_saveexec_b32 s20, s18
	s_cbranch_execnz .LBB1879_184
.LBB1879_199:                           ;   in Loop: Header=BB1879_103 Depth=2
	s_or_b32 exec_lo, exec_lo, s20
	v_cmp_lt_u32_e64 s19, v47, v145
	s_delay_alu instid0(VALU_DEP_1)
	s_and_saveexec_b32 s21, s19
	s_cbranch_execz .LBB1879_185
.LBB1879_200:                           ;   in Loop: Header=BB1879_103 Depth=2
	ds_load_u16 v146, v79 offset:1536
	s_waitcnt lgkmcnt(0)
	v_cmp_ne_u16_e64 s20, 0x7fff, v146
	s_delay_alu instid0(VALU_DEP_1) | instskip(SKIP_1) | instid1(VALU_DEP_2)
	v_cndmask_b32_e64 v2, 0xffff8000, v146, s20
	v_cmp_lt_i16_e64 s20, -1, v146
	v_and_b32_e32 v2, 0xffff, v2
	s_delay_alu instid0(VALU_DEP_2) | instskip(NEXT) | instid1(VALU_DEP_2)
	v_cndmask_b32_e64 v149, 0xffff8000, -1, s20
	v_lshrrev_b32_e32 v2, s48, v2
	s_delay_alu instid0(VALU_DEP_1) | instskip(NEXT) | instid1(VALU_DEP_1)
	v_and_b32_e32 v2, s55, v2
	v_lshlrev_b32_e32 v2, 2, v2
	ds_load_b32 v2, v2
	s_waitcnt lgkmcnt(0)
	v_add_nc_u32_e32 v2, v2, v47
	s_delay_alu instid0(VALU_DEP_1) | instskip(SKIP_1) | instid1(VALU_DEP_2)
	v_lshlrev_b64 v[36:37], 1, v[2:3]
	v_xor_b32_e32 v2, v149, v146
	v_add_co_u32 v36, s20, s38, v36
	s_delay_alu instid0(VALU_DEP_1) | instskip(SKIP_3) | instid1(VALU_DEP_1)
	v_add_co_ci_u32_e64 v37, s20, s39, v37, s20
	global_store_b16 v[36:37], v2, off
	s_or_b32 exec_lo, exec_lo, s21
	v_cmp_lt_u32_e64 s20, v51, v145
	s_and_saveexec_b32 s22, s20
	s_cbranch_execnz .LBB1879_186
.LBB1879_201:                           ;   in Loop: Header=BB1879_103 Depth=2
	s_or_b32 exec_lo, exec_lo, s22
	v_cmp_lt_u32_e64 s21, v52, v145
	s_delay_alu instid0(VALU_DEP_1)
	s_and_saveexec_b32 s23, s21
	s_cbranch_execz .LBB1879_187
.LBB1879_202:                           ;   in Loop: Header=BB1879_103 Depth=2
	ds_load_u16 v146, v79 offset:2560
	s_waitcnt lgkmcnt(0)
	v_cmp_ne_u16_e64 s22, 0x7fff, v146
	s_delay_alu instid0(VALU_DEP_1) | instskip(SKIP_1) | instid1(VALU_DEP_2)
	v_cndmask_b32_e64 v2, 0xffff8000, v146, s22
	v_cmp_lt_i16_e64 s22, -1, v146
	v_and_b32_e32 v2, 0xffff, v2
	s_delay_alu instid0(VALU_DEP_2) | instskip(NEXT) | instid1(VALU_DEP_2)
	v_cndmask_b32_e64 v149, 0xffff8000, -1, s22
	v_lshrrev_b32_e32 v2, s48, v2
	s_delay_alu instid0(VALU_DEP_1) | instskip(NEXT) | instid1(VALU_DEP_1)
	v_and_b32_e32 v2, s55, v2
	v_lshlrev_b32_e32 v2, 2, v2
	ds_load_b32 v2, v2
	s_waitcnt lgkmcnt(0)
	v_add_nc_u32_e32 v2, v2, v52
	s_delay_alu instid0(VALU_DEP_1) | instskip(SKIP_1) | instid1(VALU_DEP_2)
	v_lshlrev_b64 v[36:37], 1, v[2:3]
	v_xor_b32_e32 v2, v149, v146
	v_add_co_u32 v36, s22, s38, v36
	s_delay_alu instid0(VALU_DEP_1) | instskip(SKIP_3) | instid1(VALU_DEP_1)
	v_add_co_ci_u32_e64 v37, s22, s39, v37, s22
	global_store_b16 v[36:37], v2, off
	s_or_b32 exec_lo, exec_lo, s23
	v_cmp_lt_u32_e64 s22, v53, v145
	s_and_saveexec_b32 s24, s22
	s_cbranch_execnz .LBB1879_188
.LBB1879_203:                           ;   in Loop: Header=BB1879_103 Depth=2
	s_or_b32 exec_lo, exec_lo, s24
	v_cmp_lt_u32_e64 s23, v54, v145
	s_delay_alu instid0(VALU_DEP_1)
	s_and_saveexec_b32 s25, s23
	s_cbranch_execz .LBB1879_189
.LBB1879_204:                           ;   in Loop: Header=BB1879_103 Depth=2
	ds_load_u16 v146, v79 offset:3584
	s_waitcnt lgkmcnt(0)
	v_cmp_ne_u16_e64 s24, 0x7fff, v146
	s_delay_alu instid0(VALU_DEP_1) | instskip(SKIP_1) | instid1(VALU_DEP_2)
	v_cndmask_b32_e64 v2, 0xffff8000, v146, s24
	v_cmp_lt_i16_e64 s24, -1, v146
	v_and_b32_e32 v2, 0xffff, v2
	s_delay_alu instid0(VALU_DEP_2) | instskip(NEXT) | instid1(VALU_DEP_2)
	v_cndmask_b32_e64 v149, 0xffff8000, -1, s24
	v_lshrrev_b32_e32 v2, s48, v2
	s_delay_alu instid0(VALU_DEP_1) | instskip(NEXT) | instid1(VALU_DEP_1)
	v_and_b32_e32 v2, s55, v2
	v_lshlrev_b32_e32 v2, 2, v2
	ds_load_b32 v2, v2
	s_waitcnt lgkmcnt(0)
	v_add_nc_u32_e32 v2, v2, v54
	s_delay_alu instid0(VALU_DEP_1) | instskip(SKIP_1) | instid1(VALU_DEP_2)
	v_lshlrev_b64 v[36:37], 1, v[2:3]
	v_xor_b32_e32 v2, v149, v146
	v_add_co_u32 v36, s24, s38, v36
	s_delay_alu instid0(VALU_DEP_1) | instskip(SKIP_3) | instid1(VALU_DEP_1)
	v_add_co_ci_u32_e64 v37, s24, s39, v37, s24
	global_store_b16 v[36:37], v2, off
	s_or_b32 exec_lo, exec_lo, s25
	v_cmp_lt_u32_e64 s24, v55, v145
	s_and_saveexec_b32 s26, s24
	s_cbranch_execnz .LBB1879_190
.LBB1879_205:                           ;   in Loop: Header=BB1879_103 Depth=2
	s_or_b32 exec_lo, exec_lo, s26
	v_cmp_lt_u32_e64 s25, v56, v145
	s_delay_alu instid0(VALU_DEP_1)
	s_and_saveexec_b32 s27, s25
	s_cbranch_execz .LBB1879_191
.LBB1879_206:                           ;   in Loop: Header=BB1879_103 Depth=2
	ds_load_u16 v146, v79 offset:4608
	s_waitcnt lgkmcnt(0)
	v_cmp_ne_u16_e64 s26, 0x7fff, v146
	s_delay_alu instid0(VALU_DEP_1) | instskip(SKIP_1) | instid1(VALU_DEP_2)
	v_cndmask_b32_e64 v2, 0xffff8000, v146, s26
	v_cmp_lt_i16_e64 s26, -1, v146
	v_and_b32_e32 v2, 0xffff, v2
	s_delay_alu instid0(VALU_DEP_2) | instskip(NEXT) | instid1(VALU_DEP_2)
	v_cndmask_b32_e64 v149, 0xffff8000, -1, s26
	v_lshrrev_b32_e32 v2, s48, v2
	s_delay_alu instid0(VALU_DEP_1) | instskip(NEXT) | instid1(VALU_DEP_1)
	v_and_b32_e32 v2, s55, v2
	v_lshlrev_b32_e32 v2, 2, v2
	ds_load_b32 v2, v2
	s_waitcnt lgkmcnt(0)
	v_add_nc_u32_e32 v2, v2, v56
	s_delay_alu instid0(VALU_DEP_1) | instskip(SKIP_1) | instid1(VALU_DEP_2)
	v_lshlrev_b64 v[36:37], 1, v[2:3]
	v_xor_b32_e32 v2, v149, v146
	v_add_co_u32 v36, s26, s38, v36
	s_delay_alu instid0(VALU_DEP_1) | instskip(SKIP_3) | instid1(VALU_DEP_1)
	v_add_co_ci_u32_e64 v37, s26, s39, v37, s26
	global_store_b16 v[36:37], v2, off
	s_or_b32 exec_lo, exec_lo, s27
	v_cmp_lt_u32_e64 s26, v57, v145
	s_and_saveexec_b32 s28, s26
	s_cbranch_execnz .LBB1879_192
.LBB1879_207:                           ;   in Loop: Header=BB1879_103 Depth=2
	s_or_b32 exec_lo, exec_lo, s28
	v_cmp_lt_u32_e64 s27, v58, v145
	s_delay_alu instid0(VALU_DEP_1)
	s_and_saveexec_b32 s29, s27
	s_cbranch_execz .LBB1879_193
.LBB1879_208:                           ;   in Loop: Header=BB1879_103 Depth=2
	ds_load_u16 v146, v79 offset:5632
	s_waitcnt lgkmcnt(0)
	v_cmp_ne_u16_e64 s28, 0x7fff, v146
	s_delay_alu instid0(VALU_DEP_1) | instskip(SKIP_1) | instid1(VALU_DEP_2)
	v_cndmask_b32_e64 v2, 0xffff8000, v146, s28
	v_cmp_lt_i16_e64 s28, -1, v146
	v_and_b32_e32 v2, 0xffff, v2
	s_delay_alu instid0(VALU_DEP_2) | instskip(NEXT) | instid1(VALU_DEP_2)
	v_cndmask_b32_e64 v149, 0xffff8000, -1, s28
	v_lshrrev_b32_e32 v2, s48, v2
	s_delay_alu instid0(VALU_DEP_1) | instskip(NEXT) | instid1(VALU_DEP_1)
	v_and_b32_e32 v2, s55, v2
	v_lshlrev_b32_e32 v2, 2, v2
	ds_load_b32 v2, v2
	s_waitcnt lgkmcnt(0)
	v_add_nc_u32_e32 v2, v2, v58
	s_delay_alu instid0(VALU_DEP_1) | instskip(SKIP_1) | instid1(VALU_DEP_2)
	v_lshlrev_b64 v[36:37], 1, v[2:3]
	v_xor_b32_e32 v2, v149, v146
	v_add_co_u32 v36, s28, s38, v36
	s_delay_alu instid0(VALU_DEP_1) | instskip(SKIP_3) | instid1(VALU_DEP_1)
	v_add_co_ci_u32_e64 v37, s28, s39, v37, s28
	global_store_b16 v[36:37], v2, off
	s_or_b32 exec_lo, exec_lo, s29
	v_cmp_lt_u32_e64 s28, v59, v145
	s_and_saveexec_b32 s30, s28
	s_cbranch_execnz .LBB1879_194
.LBB1879_209:                           ;   in Loop: Header=BB1879_103 Depth=2
	s_or_b32 exec_lo, exec_lo, s30
	v_cmp_lt_u32_e64 s29, v60, v145
	s_delay_alu instid0(VALU_DEP_1)
	s_and_saveexec_b32 s31, s29
	s_cbranch_execz .LBB1879_195
.LBB1879_210:                           ;   in Loop: Header=BB1879_103 Depth=2
	ds_load_u16 v146, v79 offset:6656
	s_waitcnt lgkmcnt(0)
	v_cmp_ne_u16_e64 s30, 0x7fff, v146
	s_delay_alu instid0(VALU_DEP_1) | instskip(SKIP_1) | instid1(VALU_DEP_2)
	v_cndmask_b32_e64 v2, 0xffff8000, v146, s30
	v_cmp_lt_i16_e64 s30, -1, v146
	v_and_b32_e32 v2, 0xffff, v2
	s_delay_alu instid0(VALU_DEP_2) | instskip(NEXT) | instid1(VALU_DEP_2)
	v_cndmask_b32_e64 v149, 0xffff8000, -1, s30
	v_lshrrev_b32_e32 v2, s48, v2
	s_delay_alu instid0(VALU_DEP_1) | instskip(NEXT) | instid1(VALU_DEP_1)
	v_and_b32_e32 v2, s55, v2
	v_lshlrev_b32_e32 v2, 2, v2
	ds_load_b32 v2, v2
	s_waitcnt lgkmcnt(0)
	v_add_nc_u32_e32 v2, v2, v60
	s_delay_alu instid0(VALU_DEP_1) | instskip(SKIP_1) | instid1(VALU_DEP_2)
	v_lshlrev_b64 v[36:37], 1, v[2:3]
	v_xor_b32_e32 v2, v149, v146
	v_add_co_u32 v36, s30, s38, v36
	s_delay_alu instid0(VALU_DEP_1) | instskip(SKIP_3) | instid1(VALU_DEP_1)
	v_add_co_ci_u32_e64 v37, s30, s39, v37, s30
	global_store_b16 v[36:37], v2, off
	s_or_b32 exec_lo, exec_lo, s31
	v_cmp_lt_u32_e64 s30, v61, v145
	s_and_saveexec_b32 s33, s30
	s_cbranch_execnz .LBB1879_196
.LBB1879_211:                           ;   in Loop: Header=BB1879_103 Depth=2
	s_or_b32 exec_lo, exec_lo, s33
	v_cmp_lt_u32_e64 s31, v63, v145
	s_delay_alu instid0(VALU_DEP_1)
	s_and_saveexec_b32 s58, s31
	s_cbranch_execz .LBB1879_213
.LBB1879_212:                           ;   in Loop: Header=BB1879_103 Depth=2
	ds_load_u16 v146, v79 offset:7680
	s_waitcnt lgkmcnt(0)
	v_cmp_ne_u16_e64 s33, 0x7fff, v146
	s_delay_alu instid0(VALU_DEP_1) | instskip(SKIP_1) | instid1(VALU_DEP_2)
	v_cndmask_b32_e64 v2, 0xffff8000, v146, s33
	v_cmp_lt_i16_e64 s33, -1, v146
	v_and_b32_e32 v2, 0xffff, v2
	s_delay_alu instid0(VALU_DEP_2) | instskip(NEXT) | instid1(VALU_DEP_2)
	v_cndmask_b32_e64 v149, 0xffff8000, -1, s33
	v_lshrrev_b32_e32 v2, s48, v2
	s_delay_alu instid0(VALU_DEP_1) | instskip(NEXT) | instid1(VALU_DEP_1)
	v_and_b32_e32 v2, s55, v2
	v_lshlrev_b32_e32 v2, 2, v2
	ds_load_b32 v2, v2
	s_waitcnt lgkmcnt(0)
	v_add_nc_u32_e32 v2, v2, v63
	s_delay_alu instid0(VALU_DEP_1) | instskip(SKIP_1) | instid1(VALU_DEP_2)
	v_lshlrev_b64 v[36:37], 1, v[2:3]
	v_xor_b32_e32 v2, v149, v146
	v_add_co_u32 v36, s33, s38, v36
	s_delay_alu instid0(VALU_DEP_1)
	v_add_co_ci_u32_e64 v37, s33, s39, v37, s33
	global_store_b16 v[36:37], v2, off
.LBB1879_213:                           ;   in Loop: Header=BB1879_103 Depth=2
	s_or_b32 exec_lo, exec_lo, s58
	s_lshl_b64 s[58:59], s[34:35], 3
	s_delay_alu instid0(SALU_CYCLE_1) | instskip(NEXT) | instid1(VALU_DEP_1)
	v_add_co_u32 v36, s33, v107, s58
	v_add_co_ci_u32_e64 v37, s33, s59, v108, s33
	v_cmp_lt_u32_e64 s33, v106, v145
	s_delay_alu instid0(VALU_DEP_1) | instskip(NEXT) | instid1(SALU_CYCLE_1)
	s_and_saveexec_b32 s34, s33
	s_xor_b32 s33, exec_lo, s34
	s_cbranch_execz .LBB1879_245
; %bb.214:                              ;   in Loop: Header=BB1879_103 Depth=2
	global_load_b64 v[34:35], v[36:37], off
	s_or_b32 exec_lo, exec_lo, s33
	s_delay_alu instid0(SALU_CYCLE_1)
	s_mov_b32 s34, exec_lo
	v_cmpx_lt_u32_e64 v109, v145
	s_cbranch_execnz .LBB1879_246
.LBB1879_215:                           ;   in Loop: Header=BB1879_103 Depth=2
	s_or_b32 exec_lo, exec_lo, s34
	s_delay_alu instid0(SALU_CYCLE_1)
	s_mov_b32 s34, exec_lo
	v_cmpx_lt_u32_e64 v110, v145
	s_cbranch_execz .LBB1879_247
.LBB1879_216:                           ;   in Loop: Header=BB1879_103 Depth=2
	global_load_b64 v[30:31], v[36:37], off offset:512
	s_or_b32 exec_lo, exec_lo, s34
	s_delay_alu instid0(SALU_CYCLE_1)
	s_mov_b32 s34, exec_lo
	v_cmpx_lt_u32_e64 v111, v145
	s_cbranch_execnz .LBB1879_248
.LBB1879_217:                           ;   in Loop: Header=BB1879_103 Depth=2
	s_or_b32 exec_lo, exec_lo, s34
	s_delay_alu instid0(SALU_CYCLE_1)
	s_mov_b32 s34, exec_lo
	v_cmpx_lt_u32_e64 v112, v145
	s_cbranch_execz .LBB1879_249
.LBB1879_218:                           ;   in Loop: Header=BB1879_103 Depth=2
	global_load_b64 v[26:27], v[36:37], off offset:1024
	s_or_b32 exec_lo, exec_lo, s34
	s_delay_alu instid0(SALU_CYCLE_1)
	s_mov_b32 s34, exec_lo
	v_cmpx_lt_u32_e64 v113, v145
	s_cbranch_execnz .LBB1879_250
.LBB1879_219:                           ;   in Loop: Header=BB1879_103 Depth=2
	s_or_b32 exec_lo, exec_lo, s34
	s_delay_alu instid0(SALU_CYCLE_1)
	s_mov_b32 s34, exec_lo
	v_cmpx_lt_u32_e64 v114, v145
	s_cbranch_execz .LBB1879_251
.LBB1879_220:                           ;   in Loop: Header=BB1879_103 Depth=2
	global_load_b64 v[22:23], v[36:37], off offset:1536
	s_or_b32 exec_lo, exec_lo, s34
	s_delay_alu instid0(SALU_CYCLE_1)
	s_mov_b32 s34, exec_lo
	v_cmpx_lt_u32_e64 v115, v145
	s_cbranch_execnz .LBB1879_252
.LBB1879_221:                           ;   in Loop: Header=BB1879_103 Depth=2
	s_or_b32 exec_lo, exec_lo, s34
	s_delay_alu instid0(SALU_CYCLE_1)
	s_mov_b32 s34, exec_lo
	v_cmpx_lt_u32_e64 v116, v145
	s_cbranch_execz .LBB1879_253
.LBB1879_222:                           ;   in Loop: Header=BB1879_103 Depth=2
	global_load_b64 v[18:19], v[36:37], off offset:2048
	s_or_b32 exec_lo, exec_lo, s34
	s_delay_alu instid0(SALU_CYCLE_1)
	s_mov_b32 s34, exec_lo
	v_cmpx_lt_u32_e64 v117, v145
	s_cbranch_execnz .LBB1879_254
.LBB1879_223:                           ;   in Loop: Header=BB1879_103 Depth=2
	s_or_b32 exec_lo, exec_lo, s34
	s_delay_alu instid0(SALU_CYCLE_1)
	s_mov_b32 s34, exec_lo
	v_cmpx_lt_u32_e64 v118, v145
	s_cbranch_execz .LBB1879_255
.LBB1879_224:                           ;   in Loop: Header=BB1879_103 Depth=2
	global_load_b64 v[14:15], v[36:37], off offset:2560
	s_or_b32 exec_lo, exec_lo, s34
	s_delay_alu instid0(SALU_CYCLE_1)
	s_mov_b32 s34, exec_lo
	v_cmpx_lt_u32_e64 v119, v145
	s_cbranch_execnz .LBB1879_256
.LBB1879_225:                           ;   in Loop: Header=BB1879_103 Depth=2
	s_or_b32 exec_lo, exec_lo, s34
	s_delay_alu instid0(SALU_CYCLE_1)
	s_mov_b32 s34, exec_lo
	v_cmpx_lt_u32_e64 v120, v145
	s_cbranch_execz .LBB1879_257
.LBB1879_226:                           ;   in Loop: Header=BB1879_103 Depth=2
	global_load_b64 v[10:11], v[36:37], off offset:3072
	s_or_b32 exec_lo, exec_lo, s34
	s_delay_alu instid0(SALU_CYCLE_1)
	s_mov_b32 s34, exec_lo
	v_cmpx_lt_u32_e64 v121, v145
	s_cbranch_execnz .LBB1879_258
.LBB1879_227:                           ;   in Loop: Header=BB1879_103 Depth=2
	s_or_b32 exec_lo, exec_lo, s34
	s_delay_alu instid0(SALU_CYCLE_1)
	s_mov_b32 s34, exec_lo
	v_cmpx_lt_u32_e64 v122, v145
	s_cbranch_execz .LBB1879_259
.LBB1879_228:                           ;   in Loop: Header=BB1879_103 Depth=2
	global_load_b64 v[6:7], v[36:37], off offset:3584
	s_or_b32 exec_lo, exec_lo, s34
	s_delay_alu instid0(SALU_CYCLE_1)
	s_mov_b32 s34, exec_lo
	v_cmpx_lt_u32_e64 v123, v145
	s_cbranch_execnz .LBB1879_260
.LBB1879_229:                           ;   in Loop: Header=BB1879_103 Depth=2
	s_or_b32 exec_lo, exec_lo, s34
	s_and_saveexec_b32 s34, vcc_lo
	s_cbranch_execz .LBB1879_261
.LBB1879_230:                           ;   in Loop: Header=BB1879_103 Depth=2
	v_add_nc_u32_e32 v2, v72, v78
	ds_load_u16 v2, v2 offset:1024
	s_waitcnt lgkmcnt(0)
	v_cmp_ne_u16_e64 s33, 0x7fff, v2
	s_delay_alu instid0(VALU_DEP_1) | instskip(NEXT) | instid1(VALU_DEP_1)
	v_cndmask_b32_e64 v2, 0xffff8000, v2, s33
	v_and_b32_e32 v2, 0xffff, v2
	s_delay_alu instid0(VALU_DEP_1) | instskip(NEXT) | instid1(VALU_DEP_1)
	v_lshrrev_b32_e32 v2, s48, v2
	v_and_b32_e32 v144, s55, v2
	s_or_b32 exec_lo, exec_lo, s34
	s_and_saveexec_b32 s34, s17
	s_cbranch_execnz .LBB1879_262
.LBB1879_231:                           ;   in Loop: Header=BB1879_103 Depth=2
	s_or_b32 exec_lo, exec_lo, s34
	s_and_saveexec_b32 s34, s18
	s_cbranch_execz .LBB1879_263
.LBB1879_232:                           ;   in Loop: Header=BB1879_103 Depth=2
	ds_load_u16 v2, v79 offset:1024
	s_waitcnt lgkmcnt(0)
	v_cmp_ne_u16_e64 s33, 0x7fff, v2
	s_delay_alu instid0(VALU_DEP_1) | instskip(NEXT) | instid1(VALU_DEP_1)
	v_cndmask_b32_e64 v2, 0xffff8000, v2, s33
	v_and_b32_e32 v2, 0xffff, v2
	s_delay_alu instid0(VALU_DEP_1) | instskip(NEXT) | instid1(VALU_DEP_1)
	v_lshrrev_b32_e32 v2, s48, v2
	v_and_b32_e32 v142, s55, v2
	s_or_b32 exec_lo, exec_lo, s34
	s_and_saveexec_b32 s34, s19
	s_cbranch_execnz .LBB1879_264
.LBB1879_233:                           ;   in Loop: Header=BB1879_103 Depth=2
	s_or_b32 exec_lo, exec_lo, s34
	s_and_saveexec_b32 s34, s20
	s_cbranch_execz .LBB1879_265
.LBB1879_234:                           ;   in Loop: Header=BB1879_103 Depth=2
	ds_load_u16 v2, v79 offset:2048
	s_waitcnt lgkmcnt(0)
	v_cmp_ne_u16_e64 s33, 0x7fff, v2
	s_delay_alu instid0(VALU_DEP_1) | instskip(NEXT) | instid1(VALU_DEP_1)
	v_cndmask_b32_e64 v2, 0xffff8000, v2, s33
	v_and_b32_e32 v2, 0xffff, v2
	s_delay_alu instid0(VALU_DEP_1) | instskip(NEXT) | instid1(VALU_DEP_1)
	v_lshrrev_b32_e32 v2, s48, v2
	v_and_b32_e32 v140, s55, v2
	s_or_b32 exec_lo, exec_lo, s34
	s_and_saveexec_b32 s34, s21
	s_cbranch_execnz .LBB1879_266
.LBB1879_235:                           ;   in Loop: Header=BB1879_103 Depth=2
	s_or_b32 exec_lo, exec_lo, s34
	s_and_saveexec_b32 s34, s22
	s_cbranch_execz .LBB1879_267
.LBB1879_236:                           ;   in Loop: Header=BB1879_103 Depth=2
	ds_load_u16 v2, v79 offset:3072
	s_waitcnt lgkmcnt(0)
	v_cmp_ne_u16_e64 s33, 0x7fff, v2
	s_delay_alu instid0(VALU_DEP_1) | instskip(NEXT) | instid1(VALU_DEP_1)
	v_cndmask_b32_e64 v2, 0xffff8000, v2, s33
	v_and_b32_e32 v2, 0xffff, v2
	s_delay_alu instid0(VALU_DEP_1) | instskip(NEXT) | instid1(VALU_DEP_1)
	v_lshrrev_b32_e32 v2, s48, v2
	v_and_b32_e32 v138, s55, v2
	s_or_b32 exec_lo, exec_lo, s34
	s_and_saveexec_b32 s34, s23
	s_cbranch_execnz .LBB1879_268
.LBB1879_237:                           ;   in Loop: Header=BB1879_103 Depth=2
	s_or_b32 exec_lo, exec_lo, s34
	s_and_saveexec_b32 s34, s24
	s_cbranch_execz .LBB1879_269
.LBB1879_238:                           ;   in Loop: Header=BB1879_103 Depth=2
	ds_load_u16 v2, v79 offset:4096
	s_waitcnt lgkmcnt(0)
	v_cmp_ne_u16_e64 s33, 0x7fff, v2
	s_delay_alu instid0(VALU_DEP_1) | instskip(NEXT) | instid1(VALU_DEP_1)
	v_cndmask_b32_e64 v2, 0xffff8000, v2, s33
	v_and_b32_e32 v2, 0xffff, v2
	s_delay_alu instid0(VALU_DEP_1) | instskip(NEXT) | instid1(VALU_DEP_1)
	v_lshrrev_b32_e32 v2, s48, v2
	v_and_b32_e32 v136, s55, v2
	s_or_b32 exec_lo, exec_lo, s34
	s_and_saveexec_b32 s34, s25
	s_cbranch_execnz .LBB1879_270
.LBB1879_239:                           ;   in Loop: Header=BB1879_103 Depth=2
	s_or_b32 exec_lo, exec_lo, s34
	s_and_saveexec_b32 s34, s26
	s_cbranch_execz .LBB1879_271
.LBB1879_240:                           ;   in Loop: Header=BB1879_103 Depth=2
	ds_load_u16 v2, v79 offset:5120
	s_waitcnt lgkmcnt(0)
	v_cmp_ne_u16_e64 s33, 0x7fff, v2
	s_delay_alu instid0(VALU_DEP_1) | instskip(NEXT) | instid1(VALU_DEP_1)
	v_cndmask_b32_e64 v2, 0xffff8000, v2, s33
	v_and_b32_e32 v2, 0xffff, v2
	s_delay_alu instid0(VALU_DEP_1) | instskip(NEXT) | instid1(VALU_DEP_1)
	v_lshrrev_b32_e32 v2, s48, v2
	v_and_b32_e32 v134, s55, v2
	s_or_b32 exec_lo, exec_lo, s34
	s_and_saveexec_b32 s34, s27
	s_cbranch_execnz .LBB1879_272
.LBB1879_241:                           ;   in Loop: Header=BB1879_103 Depth=2
	s_or_b32 exec_lo, exec_lo, s34
	s_and_saveexec_b32 s34, s28
	s_cbranch_execz .LBB1879_273
.LBB1879_242:                           ;   in Loop: Header=BB1879_103 Depth=2
	ds_load_u16 v2, v79 offset:6144
	s_waitcnt lgkmcnt(0)
	v_cmp_ne_u16_e64 s33, 0x7fff, v2
	s_delay_alu instid0(VALU_DEP_1) | instskip(NEXT) | instid1(VALU_DEP_1)
	v_cndmask_b32_e64 v2, 0xffff8000, v2, s33
	v_and_b32_e32 v2, 0xffff, v2
	s_delay_alu instid0(VALU_DEP_1) | instskip(NEXT) | instid1(VALU_DEP_1)
	v_lshrrev_b32_e32 v2, s48, v2
	v_and_b32_e32 v132, s55, v2
	s_or_b32 exec_lo, exec_lo, s34
	s_and_saveexec_b32 s34, s29
	s_cbranch_execnz .LBB1879_274
.LBB1879_243:                           ;   in Loop: Header=BB1879_103 Depth=2
	s_or_b32 exec_lo, exec_lo, s34
	s_and_saveexec_b32 s34, s30
	s_cbranch_execz .LBB1879_275
.LBB1879_244:                           ;   in Loop: Header=BB1879_103 Depth=2
	ds_load_u16 v2, v79 offset:7168
	s_waitcnt lgkmcnt(0)
	v_cmp_ne_u16_e64 s33, 0x7fff, v2
	s_delay_alu instid0(VALU_DEP_1) | instskip(NEXT) | instid1(VALU_DEP_1)
	v_cndmask_b32_e64 v2, 0xffff8000, v2, s33
	v_and_b32_e32 v2, 0xffff, v2
	s_delay_alu instid0(VALU_DEP_1) | instskip(NEXT) | instid1(VALU_DEP_1)
	v_lshrrev_b32_e32 v2, s48, v2
	v_and_b32_e32 v130, s55, v2
	s_or_b32 exec_lo, exec_lo, s34
	s_and_saveexec_b32 s34, s31
	s_cbranch_execnz .LBB1879_276
	s_branch .LBB1879_277
.LBB1879_245:                           ;   in Loop: Header=BB1879_103 Depth=2
	s_or_b32 exec_lo, exec_lo, s33
	s_delay_alu instid0(SALU_CYCLE_1)
	s_mov_b32 s34, exec_lo
	v_cmpx_lt_u32_e64 v109, v145
	s_cbranch_execz .LBB1879_215
.LBB1879_246:                           ;   in Loop: Header=BB1879_103 Depth=2
	global_load_b64 v[32:33], v[36:37], off offset:256
	s_or_b32 exec_lo, exec_lo, s34
	s_delay_alu instid0(SALU_CYCLE_1)
	s_mov_b32 s34, exec_lo
	v_cmpx_lt_u32_e64 v110, v145
	s_cbranch_execnz .LBB1879_216
.LBB1879_247:                           ;   in Loop: Header=BB1879_103 Depth=2
	s_or_b32 exec_lo, exec_lo, s34
	s_delay_alu instid0(SALU_CYCLE_1)
	s_mov_b32 s34, exec_lo
	v_cmpx_lt_u32_e64 v111, v145
	s_cbranch_execz .LBB1879_217
.LBB1879_248:                           ;   in Loop: Header=BB1879_103 Depth=2
	global_load_b64 v[28:29], v[36:37], off offset:768
	s_or_b32 exec_lo, exec_lo, s34
	s_delay_alu instid0(SALU_CYCLE_1)
	s_mov_b32 s34, exec_lo
	v_cmpx_lt_u32_e64 v112, v145
	s_cbranch_execnz .LBB1879_218
.LBB1879_249:                           ;   in Loop: Header=BB1879_103 Depth=2
	s_or_b32 exec_lo, exec_lo, s34
	s_delay_alu instid0(SALU_CYCLE_1)
	s_mov_b32 s34, exec_lo
	v_cmpx_lt_u32_e64 v113, v145
	s_cbranch_execz .LBB1879_219
.LBB1879_250:                           ;   in Loop: Header=BB1879_103 Depth=2
	global_load_b64 v[24:25], v[36:37], off offset:1280
	s_or_b32 exec_lo, exec_lo, s34
	s_delay_alu instid0(SALU_CYCLE_1)
	s_mov_b32 s34, exec_lo
	v_cmpx_lt_u32_e64 v114, v145
	s_cbranch_execnz .LBB1879_220
.LBB1879_251:                           ;   in Loop: Header=BB1879_103 Depth=2
	s_or_b32 exec_lo, exec_lo, s34
	s_delay_alu instid0(SALU_CYCLE_1)
	s_mov_b32 s34, exec_lo
	v_cmpx_lt_u32_e64 v115, v145
	s_cbranch_execz .LBB1879_221
.LBB1879_252:                           ;   in Loop: Header=BB1879_103 Depth=2
	global_load_b64 v[20:21], v[36:37], off offset:1792
	s_or_b32 exec_lo, exec_lo, s34
	s_delay_alu instid0(SALU_CYCLE_1)
	s_mov_b32 s34, exec_lo
	v_cmpx_lt_u32_e64 v116, v145
	s_cbranch_execnz .LBB1879_222
.LBB1879_253:                           ;   in Loop: Header=BB1879_103 Depth=2
	s_or_b32 exec_lo, exec_lo, s34
	s_delay_alu instid0(SALU_CYCLE_1)
	s_mov_b32 s34, exec_lo
	v_cmpx_lt_u32_e64 v117, v145
	s_cbranch_execz .LBB1879_223
.LBB1879_254:                           ;   in Loop: Header=BB1879_103 Depth=2
	global_load_b64 v[16:17], v[36:37], off offset:2304
	s_or_b32 exec_lo, exec_lo, s34
	s_delay_alu instid0(SALU_CYCLE_1)
	s_mov_b32 s34, exec_lo
	v_cmpx_lt_u32_e64 v118, v145
	s_cbranch_execnz .LBB1879_224
.LBB1879_255:                           ;   in Loop: Header=BB1879_103 Depth=2
	s_or_b32 exec_lo, exec_lo, s34
	s_delay_alu instid0(SALU_CYCLE_1)
	s_mov_b32 s34, exec_lo
	v_cmpx_lt_u32_e64 v119, v145
	s_cbranch_execz .LBB1879_225
.LBB1879_256:                           ;   in Loop: Header=BB1879_103 Depth=2
	global_load_b64 v[12:13], v[36:37], off offset:2816
	s_or_b32 exec_lo, exec_lo, s34
	s_delay_alu instid0(SALU_CYCLE_1)
	s_mov_b32 s34, exec_lo
	v_cmpx_lt_u32_e64 v120, v145
	s_cbranch_execnz .LBB1879_226
.LBB1879_257:                           ;   in Loop: Header=BB1879_103 Depth=2
	s_or_b32 exec_lo, exec_lo, s34
	s_delay_alu instid0(SALU_CYCLE_1)
	s_mov_b32 s34, exec_lo
	v_cmpx_lt_u32_e64 v121, v145
	s_cbranch_execz .LBB1879_227
.LBB1879_258:                           ;   in Loop: Header=BB1879_103 Depth=2
	global_load_b64 v[8:9], v[36:37], off offset:3328
	s_or_b32 exec_lo, exec_lo, s34
	s_delay_alu instid0(SALU_CYCLE_1)
	s_mov_b32 s34, exec_lo
	v_cmpx_lt_u32_e64 v122, v145
	s_cbranch_execnz .LBB1879_228
.LBB1879_259:                           ;   in Loop: Header=BB1879_103 Depth=2
	s_or_b32 exec_lo, exec_lo, s34
	s_delay_alu instid0(SALU_CYCLE_1)
	s_mov_b32 s34, exec_lo
	v_cmpx_lt_u32_e64 v123, v145
	s_cbranch_execz .LBB1879_229
.LBB1879_260:                           ;   in Loop: Header=BB1879_103 Depth=2
	global_load_b64 v[4:5], v[36:37], off offset:3840
	s_or_b32 exec_lo, exec_lo, s34
	s_and_saveexec_b32 s34, vcc_lo
	s_cbranch_execnz .LBB1879_230
.LBB1879_261:                           ;   in Loop: Header=BB1879_103 Depth=2
	s_or_b32 exec_lo, exec_lo, s34
	s_and_saveexec_b32 s34, s17
	s_cbranch_execz .LBB1879_231
.LBB1879_262:                           ;   in Loop: Header=BB1879_103 Depth=2
	ds_load_u16 v2, v79 offset:512
	s_waitcnt lgkmcnt(0)
	v_cmp_ne_u16_e64 s33, 0x7fff, v2
	s_delay_alu instid0(VALU_DEP_1) | instskip(NEXT) | instid1(VALU_DEP_1)
	v_cndmask_b32_e64 v2, 0xffff8000, v2, s33
	v_and_b32_e32 v2, 0xffff, v2
	s_delay_alu instid0(VALU_DEP_1) | instskip(NEXT) | instid1(VALU_DEP_1)
	v_lshrrev_b32_e32 v2, s48, v2
	v_and_b32_e32 v143, s55, v2
	s_or_b32 exec_lo, exec_lo, s34
	s_and_saveexec_b32 s34, s18
	s_cbranch_execnz .LBB1879_232
.LBB1879_263:                           ;   in Loop: Header=BB1879_103 Depth=2
	s_or_b32 exec_lo, exec_lo, s34
	s_and_saveexec_b32 s34, s19
	s_cbranch_execz .LBB1879_233
.LBB1879_264:                           ;   in Loop: Header=BB1879_103 Depth=2
	ds_load_u16 v2, v79 offset:1536
	s_waitcnt lgkmcnt(0)
	v_cmp_ne_u16_e64 s33, 0x7fff, v2
	s_delay_alu instid0(VALU_DEP_1) | instskip(NEXT) | instid1(VALU_DEP_1)
	v_cndmask_b32_e64 v2, 0xffff8000, v2, s33
	v_and_b32_e32 v2, 0xffff, v2
	s_delay_alu instid0(VALU_DEP_1) | instskip(NEXT) | instid1(VALU_DEP_1)
	v_lshrrev_b32_e32 v2, s48, v2
	v_and_b32_e32 v141, s55, v2
	s_or_b32 exec_lo, exec_lo, s34
	s_and_saveexec_b32 s34, s20
	s_cbranch_execnz .LBB1879_234
.LBB1879_265:                           ;   in Loop: Header=BB1879_103 Depth=2
	s_or_b32 exec_lo, exec_lo, s34
	s_and_saveexec_b32 s34, s21
	s_cbranch_execz .LBB1879_235
.LBB1879_266:                           ;   in Loop: Header=BB1879_103 Depth=2
	ds_load_u16 v2, v79 offset:2560
	s_waitcnt lgkmcnt(0)
	v_cmp_ne_u16_e64 s33, 0x7fff, v2
	s_delay_alu instid0(VALU_DEP_1) | instskip(NEXT) | instid1(VALU_DEP_1)
	v_cndmask_b32_e64 v2, 0xffff8000, v2, s33
	v_and_b32_e32 v2, 0xffff, v2
	s_delay_alu instid0(VALU_DEP_1) | instskip(NEXT) | instid1(VALU_DEP_1)
	v_lshrrev_b32_e32 v2, s48, v2
	v_and_b32_e32 v139, s55, v2
	s_or_b32 exec_lo, exec_lo, s34
	s_and_saveexec_b32 s34, s22
	s_cbranch_execnz .LBB1879_236
.LBB1879_267:                           ;   in Loop: Header=BB1879_103 Depth=2
	s_or_b32 exec_lo, exec_lo, s34
	s_and_saveexec_b32 s34, s23
	s_cbranch_execz .LBB1879_237
.LBB1879_268:                           ;   in Loop: Header=BB1879_103 Depth=2
	ds_load_u16 v2, v79 offset:3584
	s_waitcnt lgkmcnt(0)
	v_cmp_ne_u16_e64 s33, 0x7fff, v2
	s_delay_alu instid0(VALU_DEP_1) | instskip(NEXT) | instid1(VALU_DEP_1)
	v_cndmask_b32_e64 v2, 0xffff8000, v2, s33
	v_and_b32_e32 v2, 0xffff, v2
	s_delay_alu instid0(VALU_DEP_1) | instskip(NEXT) | instid1(VALU_DEP_1)
	v_lshrrev_b32_e32 v2, s48, v2
	v_and_b32_e32 v137, s55, v2
	s_or_b32 exec_lo, exec_lo, s34
	s_and_saveexec_b32 s34, s24
	s_cbranch_execnz .LBB1879_238
.LBB1879_269:                           ;   in Loop: Header=BB1879_103 Depth=2
	s_or_b32 exec_lo, exec_lo, s34
	s_and_saveexec_b32 s34, s25
	s_cbranch_execz .LBB1879_239
.LBB1879_270:                           ;   in Loop: Header=BB1879_103 Depth=2
	ds_load_u16 v2, v79 offset:4608
	s_waitcnt lgkmcnt(0)
	v_cmp_ne_u16_e64 s33, 0x7fff, v2
	s_delay_alu instid0(VALU_DEP_1) | instskip(NEXT) | instid1(VALU_DEP_1)
	v_cndmask_b32_e64 v2, 0xffff8000, v2, s33
	v_and_b32_e32 v2, 0xffff, v2
	s_delay_alu instid0(VALU_DEP_1) | instskip(NEXT) | instid1(VALU_DEP_1)
	v_lshrrev_b32_e32 v2, s48, v2
	v_and_b32_e32 v135, s55, v2
	s_or_b32 exec_lo, exec_lo, s34
	s_and_saveexec_b32 s34, s26
	s_cbranch_execnz .LBB1879_240
.LBB1879_271:                           ;   in Loop: Header=BB1879_103 Depth=2
	s_or_b32 exec_lo, exec_lo, s34
	s_and_saveexec_b32 s34, s27
	s_cbranch_execz .LBB1879_241
.LBB1879_272:                           ;   in Loop: Header=BB1879_103 Depth=2
	ds_load_u16 v2, v79 offset:5632
	s_waitcnt lgkmcnt(0)
	v_cmp_ne_u16_e64 s33, 0x7fff, v2
	s_delay_alu instid0(VALU_DEP_1) | instskip(NEXT) | instid1(VALU_DEP_1)
	v_cndmask_b32_e64 v2, 0xffff8000, v2, s33
	v_and_b32_e32 v2, 0xffff, v2
	s_delay_alu instid0(VALU_DEP_1) | instskip(NEXT) | instid1(VALU_DEP_1)
	v_lshrrev_b32_e32 v2, s48, v2
	v_and_b32_e32 v133, s55, v2
	s_or_b32 exec_lo, exec_lo, s34
	s_and_saveexec_b32 s34, s28
	s_cbranch_execnz .LBB1879_242
.LBB1879_273:                           ;   in Loop: Header=BB1879_103 Depth=2
	s_or_b32 exec_lo, exec_lo, s34
	s_and_saveexec_b32 s34, s29
	s_cbranch_execz .LBB1879_243
.LBB1879_274:                           ;   in Loop: Header=BB1879_103 Depth=2
	ds_load_u16 v2, v79 offset:6656
	s_waitcnt lgkmcnt(0)
	v_cmp_ne_u16_e64 s33, 0x7fff, v2
	s_delay_alu instid0(VALU_DEP_1) | instskip(NEXT) | instid1(VALU_DEP_1)
	v_cndmask_b32_e64 v2, 0xffff8000, v2, s33
	v_and_b32_e32 v2, 0xffff, v2
	s_delay_alu instid0(VALU_DEP_1) | instskip(NEXT) | instid1(VALU_DEP_1)
	v_lshrrev_b32_e32 v2, s48, v2
	v_and_b32_e32 v131, s55, v2
	s_or_b32 exec_lo, exec_lo, s34
	s_and_saveexec_b32 s34, s30
	s_cbranch_execnz .LBB1879_244
.LBB1879_275:                           ;   in Loop: Header=BB1879_103 Depth=2
	s_or_b32 exec_lo, exec_lo, s34
	s_and_saveexec_b32 s34, s31
	s_cbranch_execz .LBB1879_277
.LBB1879_276:                           ;   in Loop: Header=BB1879_103 Depth=2
	ds_load_u16 v2, v79 offset:7680
	s_waitcnt lgkmcnt(0)
	v_cmp_ne_u16_e64 s33, 0x7fff, v2
	s_delay_alu instid0(VALU_DEP_1) | instskip(NEXT) | instid1(VALU_DEP_1)
	v_cndmask_b32_e64 v2, 0xffff8000, v2, s33
	v_and_b32_e32 v2, 0xffff, v2
	s_delay_alu instid0(VALU_DEP_1) | instskip(NEXT) | instid1(VALU_DEP_1)
	v_lshrrev_b32_e32 v2, s48, v2
	v_and_b32_e32 v129, s55, v2
.LBB1879_277:                           ;   in Loop: Header=BB1879_103 Depth=2
	s_or_b32 exec_lo, exec_lo, s34
	v_lshlrev_b32_e32 v2, 3, v168
	v_lshlrev_b32_e32 v36, 3, v164
	s_waitcnt vmcnt(0)
	s_waitcnt_vscnt null, 0x0
	s_barrier
	buffer_gl0_inv
	ds_store_b64 v2, v[34:35] offset:1024
	v_lshlrev_b32_e32 v2, 3, v160
	v_lshlrev_b32_e32 v37, 3, v156
	;; [unrolled: 1-line block ×4, first 2 shown]
	ds_store_b64 v36, v[32:33] offset:1024
	ds_store_b64 v2, v[30:31] offset:1024
	;; [unrolled: 1-line block ×5, first 2 shown]
	v_lshlrev_b32_e32 v2, 3, v152
	v_lshlrev_b32_e32 v36, 3, v151
	;; [unrolled: 1-line block ×5, first 2 shown]
	ds_store_b64 v2, v[22:23] offset:1024
	ds_store_b64 v36, v[20:21] offset:1024
	;; [unrolled: 1-line block ×5, first 2 shown]
	v_lshlrev_b32_e32 v2, 3, v40
	v_lshlrev_b32_e32 v36, 3, v39
	;; [unrolled: 1-line block ×5, first 2 shown]
	ds_store_b64 v2, v[12:13] offset:1024
	ds_store_b64 v36, v[10:11] offset:1024
	;; [unrolled: 1-line block ×5, first 2 shown]
	s_waitcnt lgkmcnt(0)
	s_barrier
	buffer_gl0_inv
	s_and_saveexec_b32 s33, vcc_lo
	s_cbranch_execz .LBB1879_293
; %bb.278:                              ;   in Loop: Header=BB1879_103 Depth=2
	v_lshlrev_b32_e32 v2, 2, v144
	ds_load_b32 v2, v2
	ds_load_b64 v[36:37], v80 offset:1024
	s_waitcnt lgkmcnt(1)
	v_add_nc_u32_e32 v2, v2, v1
	s_delay_alu instid0(VALU_DEP_1) | instskip(NEXT) | instid1(VALU_DEP_1)
	v_lshlrev_b64 v[39:40], 3, v[2:3]
	v_add_co_u32 v39, vcc_lo, s44, v39
	s_delay_alu instid0(VALU_DEP_2)
	v_add_co_ci_u32_e32 v40, vcc_lo, s45, v40, vcc_lo
	s_waitcnt lgkmcnt(0)
	global_store_b64 v[39:40], v[36:37], off
	s_or_b32 exec_lo, exec_lo, s33
	s_and_saveexec_b32 s33, s17
	s_cbranch_execnz .LBB1879_294
.LBB1879_279:                           ;   in Loop: Header=BB1879_103 Depth=2
	s_or_b32 exec_lo, exec_lo, s33
	s_and_saveexec_b32 s17, s18
	s_cbranch_execz .LBB1879_295
.LBB1879_280:                           ;   in Loop: Header=BB1879_103 Depth=2
	v_lshlrev_b32_e32 v2, 2, v142
	v_add_nc_u32_e32 v36, v79, v81
	ds_load_b32 v2, v2
	ds_load_b64 v[36:37], v36 offset:4096
	s_waitcnt lgkmcnt(1)
	v_add_nc_u32_e32 v2, v2, v46
	s_delay_alu instid0(VALU_DEP_1) | instskip(NEXT) | instid1(VALU_DEP_1)
	v_lshlrev_b64 v[39:40], 3, v[2:3]
	v_add_co_u32 v39, vcc_lo, s44, v39
	s_delay_alu instid0(VALU_DEP_2)
	v_add_co_ci_u32_e32 v40, vcc_lo, s45, v40, vcc_lo
	s_waitcnt lgkmcnt(0)
	global_store_b64 v[39:40], v[36:37], off
	s_or_b32 exec_lo, exec_lo, s17
	s_and_saveexec_b32 s17, s19
	s_cbranch_execnz .LBB1879_296
.LBB1879_281:                           ;   in Loop: Header=BB1879_103 Depth=2
	s_or_b32 exec_lo, exec_lo, s17
	s_and_saveexec_b32 s17, s20
	s_cbranch_execz .LBB1879_297
.LBB1879_282:                           ;   in Loop: Header=BB1879_103 Depth=2
	v_lshlrev_b32_e32 v2, 2, v140
	v_add_nc_u32_e32 v36, v79, v81
	ds_load_b32 v2, v2
	ds_load_b64 v[36:37], v36 offset:8192
	s_waitcnt lgkmcnt(1)
	v_add_nc_u32_e32 v2, v2, v51
	s_delay_alu instid0(VALU_DEP_1) | instskip(NEXT) | instid1(VALU_DEP_1)
	v_lshlrev_b64 v[39:40], 3, v[2:3]
	v_add_co_u32 v39, vcc_lo, s44, v39
	s_delay_alu instid0(VALU_DEP_2)
	v_add_co_ci_u32_e32 v40, vcc_lo, s45, v40, vcc_lo
	s_waitcnt lgkmcnt(0)
	global_store_b64 v[39:40], v[36:37], off
	s_or_b32 exec_lo, exec_lo, s17
	s_and_saveexec_b32 s17, s21
	s_cbranch_execnz .LBB1879_298
.LBB1879_283:                           ;   in Loop: Header=BB1879_103 Depth=2
	s_or_b32 exec_lo, exec_lo, s17
	s_and_saveexec_b32 s17, s22
	s_cbranch_execz .LBB1879_299
.LBB1879_284:                           ;   in Loop: Header=BB1879_103 Depth=2
	v_lshlrev_b32_e32 v2, 2, v138
	v_add_nc_u32_e32 v36, v79, v81
	ds_load_b32 v2, v2
	ds_load_b64 v[36:37], v36 offset:12288
	s_waitcnt lgkmcnt(1)
	v_add_nc_u32_e32 v2, v2, v53
	s_delay_alu instid0(VALU_DEP_1) | instskip(NEXT) | instid1(VALU_DEP_1)
	v_lshlrev_b64 v[39:40], 3, v[2:3]
	v_add_co_u32 v39, vcc_lo, s44, v39
	s_delay_alu instid0(VALU_DEP_2)
	v_add_co_ci_u32_e32 v40, vcc_lo, s45, v40, vcc_lo
	s_waitcnt lgkmcnt(0)
	global_store_b64 v[39:40], v[36:37], off
	s_or_b32 exec_lo, exec_lo, s17
	s_and_saveexec_b32 s17, s23
	s_cbranch_execnz .LBB1879_300
.LBB1879_285:                           ;   in Loop: Header=BB1879_103 Depth=2
	s_or_b32 exec_lo, exec_lo, s17
	s_and_saveexec_b32 s17, s24
	s_cbranch_execz .LBB1879_301
.LBB1879_286:                           ;   in Loop: Header=BB1879_103 Depth=2
	v_lshlrev_b32_e32 v2, 2, v136
	v_add_nc_u32_e32 v36, v79, v81
	ds_load_b32 v2, v2
	ds_load_b64 v[36:37], v36 offset:16384
	s_waitcnt lgkmcnt(1)
	v_add_nc_u32_e32 v2, v2, v55
	s_delay_alu instid0(VALU_DEP_1) | instskip(NEXT) | instid1(VALU_DEP_1)
	v_lshlrev_b64 v[39:40], 3, v[2:3]
	v_add_co_u32 v39, vcc_lo, s44, v39
	s_delay_alu instid0(VALU_DEP_2)
	v_add_co_ci_u32_e32 v40, vcc_lo, s45, v40, vcc_lo
	s_waitcnt lgkmcnt(0)
	global_store_b64 v[39:40], v[36:37], off
	s_or_b32 exec_lo, exec_lo, s17
	s_and_saveexec_b32 s17, s25
	s_cbranch_execnz .LBB1879_302
.LBB1879_287:                           ;   in Loop: Header=BB1879_103 Depth=2
	s_or_b32 exec_lo, exec_lo, s17
	s_and_saveexec_b32 s17, s26
	s_cbranch_execz .LBB1879_303
.LBB1879_288:                           ;   in Loop: Header=BB1879_103 Depth=2
	v_lshlrev_b32_e32 v2, 2, v134
	v_add_nc_u32_e32 v36, v79, v81
	ds_load_b32 v2, v2
	ds_load_b64 v[36:37], v36 offset:20480
	s_waitcnt lgkmcnt(1)
	v_add_nc_u32_e32 v2, v2, v57
	s_delay_alu instid0(VALU_DEP_1) | instskip(NEXT) | instid1(VALU_DEP_1)
	v_lshlrev_b64 v[39:40], 3, v[2:3]
	v_add_co_u32 v39, vcc_lo, s44, v39
	s_delay_alu instid0(VALU_DEP_2)
	v_add_co_ci_u32_e32 v40, vcc_lo, s45, v40, vcc_lo
	s_waitcnt lgkmcnt(0)
	global_store_b64 v[39:40], v[36:37], off
	s_or_b32 exec_lo, exec_lo, s17
	s_and_saveexec_b32 s17, s27
	s_cbranch_execnz .LBB1879_304
.LBB1879_289:                           ;   in Loop: Header=BB1879_103 Depth=2
	s_or_b32 exec_lo, exec_lo, s17
	s_and_saveexec_b32 s17, s28
	s_cbranch_execz .LBB1879_305
.LBB1879_290:                           ;   in Loop: Header=BB1879_103 Depth=2
	v_lshlrev_b32_e32 v2, 2, v132
	v_add_nc_u32_e32 v36, v79, v81
	ds_load_b32 v2, v2
	ds_load_b64 v[36:37], v36 offset:24576
	s_waitcnt lgkmcnt(1)
	v_add_nc_u32_e32 v2, v2, v59
	s_delay_alu instid0(VALU_DEP_1) | instskip(NEXT) | instid1(VALU_DEP_1)
	v_lshlrev_b64 v[39:40], 3, v[2:3]
	v_add_co_u32 v39, vcc_lo, s44, v39
	s_delay_alu instid0(VALU_DEP_2)
	v_add_co_ci_u32_e32 v40, vcc_lo, s45, v40, vcc_lo
	s_waitcnt lgkmcnt(0)
	global_store_b64 v[39:40], v[36:37], off
	s_or_b32 exec_lo, exec_lo, s17
	s_and_saveexec_b32 s17, s29
	s_cbranch_execnz .LBB1879_306
.LBB1879_291:                           ;   in Loop: Header=BB1879_103 Depth=2
	s_or_b32 exec_lo, exec_lo, s17
	s_and_saveexec_b32 s17, s30
	s_cbranch_execz .LBB1879_307
.LBB1879_292:                           ;   in Loop: Header=BB1879_103 Depth=2
	v_lshlrev_b32_e32 v2, 2, v130
	v_add_nc_u32_e32 v36, v79, v81
	ds_load_b32 v2, v2
	ds_load_b64 v[36:37], v36 offset:28672
	s_waitcnt lgkmcnt(1)
	v_add_nc_u32_e32 v2, v2, v61
	s_delay_alu instid0(VALU_DEP_1) | instskip(NEXT) | instid1(VALU_DEP_1)
	v_lshlrev_b64 v[39:40], 3, v[2:3]
	v_add_co_u32 v39, vcc_lo, s44, v39
	s_delay_alu instid0(VALU_DEP_2)
	v_add_co_ci_u32_e32 v40, vcc_lo, s45, v40, vcc_lo
	s_waitcnt lgkmcnt(0)
	global_store_b64 v[39:40], v[36:37], off
	s_or_b32 exec_lo, exec_lo, s17
	s_and_saveexec_b32 s17, s31
	s_cbranch_execnz .LBB1879_308
	s_branch .LBB1879_309
.LBB1879_293:                           ;   in Loop: Header=BB1879_103 Depth=2
	s_or_b32 exec_lo, exec_lo, s33
	s_and_saveexec_b32 s33, s17
	s_cbranch_execz .LBB1879_279
.LBB1879_294:                           ;   in Loop: Header=BB1879_103 Depth=2
	v_lshlrev_b32_e32 v2, 2, v143
	v_add_nc_u32_e32 v36, v79, v81
	ds_load_b32 v2, v2
	ds_load_b64 v[36:37], v36 offset:2048
	s_waitcnt lgkmcnt(1)
	v_add_nc_u32_e32 v2, v2, v45
	s_delay_alu instid0(VALU_DEP_1) | instskip(NEXT) | instid1(VALU_DEP_1)
	v_lshlrev_b64 v[39:40], 3, v[2:3]
	v_add_co_u32 v39, vcc_lo, s44, v39
	s_delay_alu instid0(VALU_DEP_2)
	v_add_co_ci_u32_e32 v40, vcc_lo, s45, v40, vcc_lo
	s_waitcnt lgkmcnt(0)
	global_store_b64 v[39:40], v[36:37], off
	s_or_b32 exec_lo, exec_lo, s33
	s_and_saveexec_b32 s17, s18
	s_cbranch_execnz .LBB1879_280
.LBB1879_295:                           ;   in Loop: Header=BB1879_103 Depth=2
	s_or_b32 exec_lo, exec_lo, s17
	s_and_saveexec_b32 s17, s19
	s_cbranch_execz .LBB1879_281
.LBB1879_296:                           ;   in Loop: Header=BB1879_103 Depth=2
	v_lshlrev_b32_e32 v2, 2, v141
	v_add_nc_u32_e32 v36, v79, v81
	ds_load_b32 v2, v2
	ds_load_b64 v[36:37], v36 offset:6144
	s_waitcnt lgkmcnt(1)
	v_add_nc_u32_e32 v2, v2, v47
	s_delay_alu instid0(VALU_DEP_1) | instskip(NEXT) | instid1(VALU_DEP_1)
	v_lshlrev_b64 v[39:40], 3, v[2:3]
	v_add_co_u32 v39, vcc_lo, s44, v39
	s_delay_alu instid0(VALU_DEP_2)
	v_add_co_ci_u32_e32 v40, vcc_lo, s45, v40, vcc_lo
	s_waitcnt lgkmcnt(0)
	global_store_b64 v[39:40], v[36:37], off
	s_or_b32 exec_lo, exec_lo, s17
	s_and_saveexec_b32 s17, s20
	s_cbranch_execnz .LBB1879_282
.LBB1879_297:                           ;   in Loop: Header=BB1879_103 Depth=2
	s_or_b32 exec_lo, exec_lo, s17
	s_and_saveexec_b32 s17, s21
	s_cbranch_execz .LBB1879_283
.LBB1879_298:                           ;   in Loop: Header=BB1879_103 Depth=2
	v_lshlrev_b32_e32 v2, 2, v139
	v_add_nc_u32_e32 v36, v79, v81
	ds_load_b32 v2, v2
	ds_load_b64 v[36:37], v36 offset:10240
	s_waitcnt lgkmcnt(1)
	v_add_nc_u32_e32 v2, v2, v52
	s_delay_alu instid0(VALU_DEP_1) | instskip(NEXT) | instid1(VALU_DEP_1)
	v_lshlrev_b64 v[39:40], 3, v[2:3]
	v_add_co_u32 v39, vcc_lo, s44, v39
	s_delay_alu instid0(VALU_DEP_2)
	v_add_co_ci_u32_e32 v40, vcc_lo, s45, v40, vcc_lo
	s_waitcnt lgkmcnt(0)
	global_store_b64 v[39:40], v[36:37], off
	s_or_b32 exec_lo, exec_lo, s17
	s_and_saveexec_b32 s17, s22
	s_cbranch_execnz .LBB1879_284
.LBB1879_299:                           ;   in Loop: Header=BB1879_103 Depth=2
	s_or_b32 exec_lo, exec_lo, s17
	s_and_saveexec_b32 s17, s23
	s_cbranch_execz .LBB1879_285
.LBB1879_300:                           ;   in Loop: Header=BB1879_103 Depth=2
	v_lshlrev_b32_e32 v2, 2, v137
	v_add_nc_u32_e32 v36, v79, v81
	ds_load_b32 v2, v2
	ds_load_b64 v[36:37], v36 offset:14336
	s_waitcnt lgkmcnt(1)
	v_add_nc_u32_e32 v2, v2, v54
	s_delay_alu instid0(VALU_DEP_1) | instskip(NEXT) | instid1(VALU_DEP_1)
	v_lshlrev_b64 v[39:40], 3, v[2:3]
	v_add_co_u32 v39, vcc_lo, s44, v39
	s_delay_alu instid0(VALU_DEP_2)
	v_add_co_ci_u32_e32 v40, vcc_lo, s45, v40, vcc_lo
	s_waitcnt lgkmcnt(0)
	global_store_b64 v[39:40], v[36:37], off
	s_or_b32 exec_lo, exec_lo, s17
	s_and_saveexec_b32 s17, s24
	s_cbranch_execnz .LBB1879_286
.LBB1879_301:                           ;   in Loop: Header=BB1879_103 Depth=2
	s_or_b32 exec_lo, exec_lo, s17
	s_and_saveexec_b32 s17, s25
	s_cbranch_execz .LBB1879_287
.LBB1879_302:                           ;   in Loop: Header=BB1879_103 Depth=2
	v_lshlrev_b32_e32 v2, 2, v135
	v_add_nc_u32_e32 v36, v79, v81
	ds_load_b32 v2, v2
	ds_load_b64 v[36:37], v36 offset:18432
	s_waitcnt lgkmcnt(1)
	v_add_nc_u32_e32 v2, v2, v56
	s_delay_alu instid0(VALU_DEP_1) | instskip(NEXT) | instid1(VALU_DEP_1)
	v_lshlrev_b64 v[39:40], 3, v[2:3]
	v_add_co_u32 v39, vcc_lo, s44, v39
	s_delay_alu instid0(VALU_DEP_2)
	v_add_co_ci_u32_e32 v40, vcc_lo, s45, v40, vcc_lo
	s_waitcnt lgkmcnt(0)
	global_store_b64 v[39:40], v[36:37], off
	s_or_b32 exec_lo, exec_lo, s17
	s_and_saveexec_b32 s17, s26
	s_cbranch_execnz .LBB1879_288
.LBB1879_303:                           ;   in Loop: Header=BB1879_103 Depth=2
	s_or_b32 exec_lo, exec_lo, s17
	s_and_saveexec_b32 s17, s27
	s_cbranch_execz .LBB1879_289
.LBB1879_304:                           ;   in Loop: Header=BB1879_103 Depth=2
	v_lshlrev_b32_e32 v2, 2, v133
	v_add_nc_u32_e32 v36, v79, v81
	ds_load_b32 v2, v2
	ds_load_b64 v[36:37], v36 offset:22528
	s_waitcnt lgkmcnt(1)
	v_add_nc_u32_e32 v2, v2, v58
	s_delay_alu instid0(VALU_DEP_1) | instskip(NEXT) | instid1(VALU_DEP_1)
	v_lshlrev_b64 v[39:40], 3, v[2:3]
	v_add_co_u32 v39, vcc_lo, s44, v39
	s_delay_alu instid0(VALU_DEP_2)
	v_add_co_ci_u32_e32 v40, vcc_lo, s45, v40, vcc_lo
	s_waitcnt lgkmcnt(0)
	global_store_b64 v[39:40], v[36:37], off
	s_or_b32 exec_lo, exec_lo, s17
	s_and_saveexec_b32 s17, s28
	s_cbranch_execnz .LBB1879_290
.LBB1879_305:                           ;   in Loop: Header=BB1879_103 Depth=2
	s_or_b32 exec_lo, exec_lo, s17
	s_and_saveexec_b32 s17, s29
	s_cbranch_execz .LBB1879_291
.LBB1879_306:                           ;   in Loop: Header=BB1879_103 Depth=2
	v_lshlrev_b32_e32 v2, 2, v131
	v_add_nc_u32_e32 v36, v79, v81
	ds_load_b32 v2, v2
	ds_load_b64 v[36:37], v36 offset:26624
	s_waitcnt lgkmcnt(1)
	v_add_nc_u32_e32 v2, v2, v60
	s_delay_alu instid0(VALU_DEP_1) | instskip(NEXT) | instid1(VALU_DEP_1)
	v_lshlrev_b64 v[39:40], 3, v[2:3]
	v_add_co_u32 v39, vcc_lo, s44, v39
	s_delay_alu instid0(VALU_DEP_2)
	v_add_co_ci_u32_e32 v40, vcc_lo, s45, v40, vcc_lo
	s_waitcnt lgkmcnt(0)
	global_store_b64 v[39:40], v[36:37], off
	s_or_b32 exec_lo, exec_lo, s17
	s_and_saveexec_b32 s17, s30
	s_cbranch_execnz .LBB1879_292
.LBB1879_307:                           ;   in Loop: Header=BB1879_103 Depth=2
	s_or_b32 exec_lo, exec_lo, s17
	s_and_saveexec_b32 s17, s31
	s_cbranch_execz .LBB1879_309
.LBB1879_308:                           ;   in Loop: Header=BB1879_103 Depth=2
	v_lshlrev_b32_e32 v2, 2, v129
	v_add_nc_u32_e32 v36, v79, v81
	ds_load_b32 v2, v2
	ds_load_b64 v[36:37], v36 offset:30720
	s_waitcnt lgkmcnt(1)
	v_add_nc_u32_e32 v2, v2, v63
	s_delay_alu instid0(VALU_DEP_1) | instskip(NEXT) | instid1(VALU_DEP_1)
	v_lshlrev_b64 v[39:40], 3, v[2:3]
	v_add_co_u32 v39, vcc_lo, s44, v39
	s_delay_alu instid0(VALU_DEP_2)
	v_add_co_ci_u32_e32 v40, vcc_lo, s45, v40, vcc_lo
	s_waitcnt lgkmcnt(0)
	global_store_b64 v[39:40], v[36:37], off
.LBB1879_309:                           ;   in Loop: Header=BB1879_103 Depth=2
	s_or_b32 exec_lo, exec_lo, s17
	s_waitcnt_vscnt null, 0x0
	s_barrier
	buffer_gl0_inv
	s_and_saveexec_b32 s17, s2
	s_cbranch_execz .LBB1879_102
; %bb.310:                              ;   in Loop: Header=BB1879_103 Depth=2
	ds_load_b32 v2, v44
	s_waitcnt lgkmcnt(0)
	v_add_nc_u32_e32 v2, v2, v38
	ds_store_b32 v44, v2
	s_branch .LBB1879_102
.LBB1879_311:                           ;   in Loop: Header=BB1879_17 Depth=1
	s_waitcnt lgkmcnt(0)
	s_mov_b32 s0, 0
	s_barrier
.LBB1879_312:                           ;   in Loop: Header=BB1879_17 Depth=1
	s_and_b32 vcc_lo, exec_lo, s0
	s_cbranch_vccz .LBB1879_606
; %bb.313:                              ;   in Loop: Header=BB1879_17 Depth=1
	s_mov_b32 s8, s54
	s_mov_b32 s34, s52
	s_barrier
	buffer_gl0_inv
                                        ; implicit-def: $vgpr20
                                        ; implicit-def: $vgpr2
                                        ; implicit-def: $vgpr6
                                        ; implicit-def: $vgpr7
                                        ; implicit-def: $vgpr8
                                        ; implicit-def: $vgpr9
                                        ; implicit-def: $vgpr10
                                        ; implicit-def: $vgpr11
                                        ; implicit-def: $vgpr12
                                        ; implicit-def: $vgpr13
                                        ; implicit-def: $vgpr14
                                        ; implicit-def: $vgpr15
                                        ; implicit-def: $vgpr16
                                        ; implicit-def: $vgpr17
                                        ; implicit-def: $vgpr18
                                        ; implicit-def: $vgpr19
	s_branch .LBB1879_315
.LBB1879_314:                           ;   in Loop: Header=BB1879_315 Depth=2
	s_or_b32 exec_lo, exec_lo, s0
	s_addk_i32 s8, 0xf000
	s_cmp_ge_u32 s9, s53
	s_mov_b32 s34, s9
	s_cbranch_scc1 .LBB1879_385
.LBB1879_315:                           ;   Parent Loop BB1879_17 Depth=1
                                        ; =>  This Inner Loop Header: Depth=2
	s_add_i32 s9, s34, 0x1000
	s_delay_alu instid0(SALU_CYCLE_1)
	s_cmp_gt_u32 s9, s53
	s_cbranch_scc1 .LBB1879_318
; %bb.316:                              ;   in Loop: Header=BB1879_315 Depth=2
	s_mov_b32 s1, 0
	s_mov_b32 s0, s34
	s_delay_alu instid0(SALU_CYCLE_1) | instskip(NEXT) | instid1(SALU_CYCLE_1)
	s_lshl_b64 s[10:11], s[0:1], 1
	v_add_co_u32 v4, vcc_lo, v82, s10
	v_add_co_ci_u32_e32 v5, vcc_lo, s11, v83, vcc_lo
	s_movk_i32 s11, 0x1000
	s_waitcnt vmcnt(0)
	s_delay_alu instid0(VALU_DEP_2) | instskip(NEXT) | instid1(VALU_DEP_2)
	v_add_co_u32 v36, vcc_lo, 0x1000, v4
	v_add_co_ci_u32_e32 v37, vcc_lo, 0, v5, vcc_lo
	s_clause 0xe
	global_load_u16 v22, v[4:5], off
	global_load_u16 v23, v[4:5], off offset:512
	global_load_u16 v24, v[4:5], off offset:1024
	;; [unrolled: 1-line block ×7, first 2 shown]
	global_load_u16 v30, v[36:37], off
	global_load_u16 v31, v[36:37], off offset:512
	global_load_u16 v32, v[36:37], off offset:1024
	;; [unrolled: 1-line block ×6, first 2 shown]
	v_add_co_u32 v4, vcc_lo, 0x1e00, v4
	v_add_co_ci_u32_e32 v5, vcc_lo, 0, v5, vcc_lo
	s_mov_b32 s10, -1
	s_cbranch_execz .LBB1879_319
; %bb.317:                              ;   in Loop: Header=BB1879_315 Depth=2
                                        ; implicit-def: $vgpr19
                                        ; implicit-def: $vgpr18
                                        ; implicit-def: $vgpr17
                                        ; implicit-def: $vgpr16
                                        ; implicit-def: $vgpr15
                                        ; implicit-def: $vgpr14
                                        ; implicit-def: $vgpr13
                                        ; implicit-def: $vgpr12
                                        ; implicit-def: $vgpr11
                                        ; implicit-def: $vgpr10
                                        ; implicit-def: $vgpr9
                                        ; implicit-def: $vgpr8
                                        ; implicit-def: $vgpr7
                                        ; implicit-def: $vgpr6
                                        ; implicit-def: $vgpr2
                                        ; implicit-def: $vgpr20
	v_mov_b32_e32 v21, s8
	s_and_saveexec_b32 s0, s10
	s_cbranch_execnz .LBB1879_338
	s_branch .LBB1879_339
.LBB1879_318:                           ;   in Loop: Header=BB1879_315 Depth=2
	s_mov_b32 s10, 0
                                        ; implicit-def: $sgpr11
                                        ; implicit-def: $vgpr22
                                        ; implicit-def: $vgpr23
                                        ; implicit-def: $vgpr24
                                        ; implicit-def: $vgpr25
                                        ; implicit-def: $vgpr26
                                        ; implicit-def: $vgpr27
                                        ; implicit-def: $vgpr28
                                        ; implicit-def: $vgpr29
                                        ; implicit-def: $vgpr30
                                        ; implicit-def: $vgpr31
                                        ; implicit-def: $vgpr32
                                        ; implicit-def: $vgpr33
                                        ; implicit-def: $vgpr34
                                        ; implicit-def: $vgpr35
                                        ; implicit-def: $vgpr36
                                        ; implicit-def: $vgpr4_vgpr5
.LBB1879_319:                           ;   in Loop: Header=BB1879_315 Depth=2
	s_lshl_b64 s[0:1], s[34:35], 1
	s_mov_b32 s11, exec_lo
	s_add_u32 s0, s38, s0
	s_addc_u32 s1, s39, s1
	v_cmpx_gt_u32_e64 s8, v1
	s_cbranch_execz .LBB1879_371
; %bb.320:                              ;   in Loop: Header=BB1879_315 Depth=2
	global_load_u16 v19, v95, s[0:1]
	s_or_b32 exec_lo, exec_lo, s11
	s_delay_alu instid0(SALU_CYCLE_1)
	s_mov_b32 s11, exec_lo
	v_cmpx_gt_u32_e64 s8, v45
	s_cbranch_execnz .LBB1879_372
.LBB1879_321:                           ;   in Loop: Header=BB1879_315 Depth=2
	s_or_b32 exec_lo, exec_lo, s11
	s_delay_alu instid0(SALU_CYCLE_1)
	s_mov_b32 s11, exec_lo
	v_cmpx_gt_u32_e64 s8, v46
	s_cbranch_execz .LBB1879_373
.LBB1879_322:                           ;   in Loop: Header=BB1879_315 Depth=2
	global_load_u16 v17, v95, s[0:1] offset:1024
	s_or_b32 exec_lo, exec_lo, s11
	s_delay_alu instid0(SALU_CYCLE_1)
	s_mov_b32 s11, exec_lo
	v_cmpx_gt_u32_e64 s8, v47
	s_cbranch_execnz .LBB1879_374
.LBB1879_323:                           ;   in Loop: Header=BB1879_315 Depth=2
	s_or_b32 exec_lo, exec_lo, s11
	s_delay_alu instid0(SALU_CYCLE_1)
	s_mov_b32 s11, exec_lo
	v_cmpx_gt_u32_e64 s8, v51
	s_cbranch_execz .LBB1879_375
.LBB1879_324:                           ;   in Loop: Header=BB1879_315 Depth=2
	global_load_u16 v15, v95, s[0:1] offset:2048
	s_or_b32 exec_lo, exec_lo, s11
	s_delay_alu instid0(SALU_CYCLE_1)
	s_mov_b32 s11, exec_lo
	v_cmpx_gt_u32_e64 s8, v52
	s_cbranch_execnz .LBB1879_376
.LBB1879_325:                           ;   in Loop: Header=BB1879_315 Depth=2
	s_or_b32 exec_lo, exec_lo, s11
	s_delay_alu instid0(SALU_CYCLE_1)
	s_mov_b32 s11, exec_lo
	v_cmpx_gt_u32_e64 s8, v53
	s_cbranch_execz .LBB1879_377
.LBB1879_326:                           ;   in Loop: Header=BB1879_315 Depth=2
	global_load_u16 v13, v95, s[0:1] offset:3072
	s_or_b32 exec_lo, exec_lo, s11
	s_delay_alu instid0(SALU_CYCLE_1)
	s_mov_b32 s11, exec_lo
	v_cmpx_gt_u32_e64 s8, v54
	s_cbranch_execnz .LBB1879_378
.LBB1879_327:                           ;   in Loop: Header=BB1879_315 Depth=2
	s_or_b32 exec_lo, exec_lo, s11
	s_delay_alu instid0(SALU_CYCLE_1)
	s_mov_b32 s11, exec_lo
	v_cmpx_gt_u32_e64 s8, v55
	s_cbranch_execz .LBB1879_379
.LBB1879_328:                           ;   in Loop: Header=BB1879_315 Depth=2
	global_load_u16 v11, v96, s[0:1]
	s_or_b32 exec_lo, exec_lo, s11
	s_delay_alu instid0(SALU_CYCLE_1)
	s_mov_b32 s11, exec_lo
	v_cmpx_gt_u32_e64 s8, v56
	s_cbranch_execnz .LBB1879_380
.LBB1879_329:                           ;   in Loop: Header=BB1879_315 Depth=2
	s_or_b32 exec_lo, exec_lo, s11
	s_delay_alu instid0(SALU_CYCLE_1)
	s_mov_b32 s11, exec_lo
	v_cmpx_gt_u32_e64 s8, v57
	s_cbranch_execz .LBB1879_381
.LBB1879_330:                           ;   in Loop: Header=BB1879_315 Depth=2
	global_load_u16 v9, v98, s[0:1]
	s_or_b32 exec_lo, exec_lo, s11
	s_delay_alu instid0(SALU_CYCLE_1)
	s_mov_b32 s11, exec_lo
	v_cmpx_gt_u32_e64 s8, v58
	s_cbranch_execnz .LBB1879_382
.LBB1879_331:                           ;   in Loop: Header=BB1879_315 Depth=2
	s_or_b32 exec_lo, exec_lo, s11
	s_delay_alu instid0(SALU_CYCLE_1)
	s_mov_b32 s11, exec_lo
	v_cmpx_gt_u32_e64 s8, v59
	s_cbranch_execz .LBB1879_383
.LBB1879_332:                           ;   in Loop: Header=BB1879_315 Depth=2
	global_load_u16 v7, v100, s[0:1]
	s_or_b32 exec_lo, exec_lo, s11
	s_delay_alu instid0(SALU_CYCLE_1)
	s_mov_b32 s11, exec_lo
	v_cmpx_gt_u32_e64 s8, v60
	s_cbranch_execnz .LBB1879_384
.LBB1879_333:                           ;   in Loop: Header=BB1879_315 Depth=2
	s_or_b32 exec_lo, exec_lo, s11
	s_delay_alu instid0(SALU_CYCLE_1)
	s_mov_b32 s11, exec_lo
	v_cmpx_gt_u32_e64 s8, v61
	s_cbranch_execz .LBB1879_335
.LBB1879_334:                           ;   in Loop: Header=BB1879_315 Depth=2
	global_load_u16 v2, v102, s[0:1]
.LBB1879_335:                           ;   in Loop: Header=BB1879_315 Depth=2
	s_or_b32 exec_lo, exec_lo, s11
	s_delay_alu instid0(SALU_CYCLE_1)
	s_mov_b32 s12, exec_lo
                                        ; implicit-def: $sgpr11
                                        ; implicit-def: $vgpr4_vgpr5
	v_cmpx_gt_u32_e64 s8, v63
; %bb.336:                              ;   in Loop: Header=BB1879_315 Depth=2
	v_add_co_u32 v4, s0, s0, v103
	s_delay_alu instid0(VALU_DEP_1)
	v_add_co_ci_u32_e64 v5, null, s1, 0, s0
	s_sub_i32 s11, s53, s34
	s_or_b32 s10, s10, exec_lo
                                        ; implicit-def: $vgpr20
; %bb.337:                              ;   in Loop: Header=BB1879_315 Depth=2
	s_or_b32 exec_lo, exec_lo, s12
	s_waitcnt vmcnt(0)
	v_dual_mov_b32 v22, v19 :: v_dual_mov_b32 v23, v18
	v_dual_mov_b32 v24, v17 :: v_dual_mov_b32 v25, v16
	;; [unrolled: 1-line block ×8, first 2 shown]
	s_and_saveexec_b32 s0, s10
	s_cbranch_execz .LBB1879_339
.LBB1879_338:                           ;   in Loop: Header=BB1879_315 Depth=2
	global_load_u16 v20, v[4:5], off
	s_waitcnt vmcnt(1)
	v_dual_mov_b32 v21, s11 :: v_dual_mov_b32 v2, v36
	v_dual_mov_b32 v6, v35 :: v_dual_mov_b32 v7, v34
	v_dual_mov_b32 v8, v33 :: v_dual_mov_b32 v9, v32
	v_dual_mov_b32 v10, v31 :: v_dual_mov_b32 v11, v30
	v_dual_mov_b32 v12, v29 :: v_dual_mov_b32 v13, v28
	v_dual_mov_b32 v14, v27 :: v_dual_mov_b32 v15, v26
	v_dual_mov_b32 v16, v25 :: v_dual_mov_b32 v17, v24
	v_dual_mov_b32 v18, v23 :: v_dual_mov_b32 v19, v22
.LBB1879_339:                           ;   in Loop: Header=BB1879_315 Depth=2
	s_or_b32 exec_lo, exec_lo, s0
	s_delay_alu instid0(SALU_CYCLE_1)
	s_mov_b32 s0, exec_lo
	v_cmpx_lt_u32_e64 v1, v21
	s_cbranch_execz .LBB1879_355
; %bb.340:                              ;   in Loop: Header=BB1879_315 Depth=2
	v_cmp_lt_i16_e32 vcc_lo, -1, v19
	v_lshlrev_b32_e32 v5, 2, v48
	v_cndmask_b32_e64 v4, -1, 0xffff8000, vcc_lo
	s_delay_alu instid0(VALU_DEP_1) | instskip(NEXT) | instid1(VALU_DEP_1)
	v_xor_b32_e32 v4, v4, v19
	v_cmp_ne_u16_e32 vcc_lo, 0x7fff, v4
	v_cndmask_b32_e32 v4, 0xffff8000, v4, vcc_lo
	s_delay_alu instid0(VALU_DEP_1) | instskip(NEXT) | instid1(VALU_DEP_1)
	v_and_b32_e32 v4, 0xffff, v4
	v_lshrrev_b32_e32 v4, s48, v4
	s_delay_alu instid0(VALU_DEP_1) | instskip(NEXT) | instid1(VALU_DEP_1)
	v_and_b32_e32 v4, s55, v4
	v_lshl_or_b32 v4, v4, 4, v5
	ds_add_u32 v4, v94
	s_or_b32 exec_lo, exec_lo, s0
	s_delay_alu instid0(SALU_CYCLE_1)
	s_mov_b32 s0, exec_lo
	v_cmpx_lt_u32_e64 v45, v21
	s_cbranch_execnz .LBB1879_356
.LBB1879_341:                           ;   in Loop: Header=BB1879_315 Depth=2
	s_or_b32 exec_lo, exec_lo, s0
	s_delay_alu instid0(SALU_CYCLE_1)
	s_mov_b32 s0, exec_lo
	v_cmpx_lt_u32_e64 v46, v21
	s_cbranch_execz .LBB1879_357
.LBB1879_342:                           ;   in Loop: Header=BB1879_315 Depth=2
	v_cmp_lt_i16_e32 vcc_lo, -1, v17
	v_lshlrev_b32_e32 v5, 2, v48
	v_cndmask_b32_e64 v4, -1, 0xffff8000, vcc_lo
	s_delay_alu instid0(VALU_DEP_1) | instskip(NEXT) | instid1(VALU_DEP_1)
	v_xor_b32_e32 v4, v4, v17
	v_cmp_ne_u16_e32 vcc_lo, 0x7fff, v4
	v_cndmask_b32_e32 v4, 0xffff8000, v4, vcc_lo
	s_delay_alu instid0(VALU_DEP_1) | instskip(NEXT) | instid1(VALU_DEP_1)
	v_and_b32_e32 v4, 0xffff, v4
	v_lshrrev_b32_e32 v4, s48, v4
	s_delay_alu instid0(VALU_DEP_1) | instskip(NEXT) | instid1(VALU_DEP_1)
	v_and_b32_e32 v4, s55, v4
	v_lshl_or_b32 v4, v4, 4, v5
	ds_add_u32 v4, v94
	s_or_b32 exec_lo, exec_lo, s0
	s_delay_alu instid0(SALU_CYCLE_1)
	s_mov_b32 s0, exec_lo
	v_cmpx_lt_u32_e64 v47, v21
	s_cbranch_execnz .LBB1879_358
.LBB1879_343:                           ;   in Loop: Header=BB1879_315 Depth=2
	s_or_b32 exec_lo, exec_lo, s0
	s_delay_alu instid0(SALU_CYCLE_1)
	s_mov_b32 s0, exec_lo
	v_cmpx_lt_u32_e64 v51, v21
	s_cbranch_execz .LBB1879_359
.LBB1879_344:                           ;   in Loop: Header=BB1879_315 Depth=2
	v_cmp_lt_i16_e32 vcc_lo, -1, v15
	v_lshlrev_b32_e32 v5, 2, v48
	v_cndmask_b32_e64 v4, -1, 0xffff8000, vcc_lo
	s_delay_alu instid0(VALU_DEP_1) | instskip(NEXT) | instid1(VALU_DEP_1)
	v_xor_b32_e32 v4, v4, v15
	v_cmp_ne_u16_e32 vcc_lo, 0x7fff, v4
	v_cndmask_b32_e32 v4, 0xffff8000, v4, vcc_lo
	s_delay_alu instid0(VALU_DEP_1) | instskip(NEXT) | instid1(VALU_DEP_1)
	v_and_b32_e32 v4, 0xffff, v4
	v_lshrrev_b32_e32 v4, s48, v4
	s_delay_alu instid0(VALU_DEP_1) | instskip(NEXT) | instid1(VALU_DEP_1)
	v_and_b32_e32 v4, s55, v4
	v_lshl_or_b32 v4, v4, 4, v5
	ds_add_u32 v4, v94
	s_or_b32 exec_lo, exec_lo, s0
	s_delay_alu instid0(SALU_CYCLE_1)
	s_mov_b32 s0, exec_lo
	v_cmpx_lt_u32_e64 v52, v21
	s_cbranch_execnz .LBB1879_360
.LBB1879_345:                           ;   in Loop: Header=BB1879_315 Depth=2
	s_or_b32 exec_lo, exec_lo, s0
	s_delay_alu instid0(SALU_CYCLE_1)
	s_mov_b32 s0, exec_lo
	v_cmpx_lt_u32_e64 v53, v21
	s_cbranch_execz .LBB1879_361
.LBB1879_346:                           ;   in Loop: Header=BB1879_315 Depth=2
	v_cmp_lt_i16_e32 vcc_lo, -1, v13
	v_lshlrev_b32_e32 v5, 2, v48
	v_cndmask_b32_e64 v4, -1, 0xffff8000, vcc_lo
	s_delay_alu instid0(VALU_DEP_1) | instskip(NEXT) | instid1(VALU_DEP_1)
	v_xor_b32_e32 v4, v4, v13
	v_cmp_ne_u16_e32 vcc_lo, 0x7fff, v4
	v_cndmask_b32_e32 v4, 0xffff8000, v4, vcc_lo
	s_delay_alu instid0(VALU_DEP_1) | instskip(NEXT) | instid1(VALU_DEP_1)
	v_and_b32_e32 v4, 0xffff, v4
	v_lshrrev_b32_e32 v4, s48, v4
	s_delay_alu instid0(VALU_DEP_1) | instskip(NEXT) | instid1(VALU_DEP_1)
	v_and_b32_e32 v4, s55, v4
	v_lshl_or_b32 v4, v4, 4, v5
	ds_add_u32 v4, v94
	s_or_b32 exec_lo, exec_lo, s0
	s_delay_alu instid0(SALU_CYCLE_1)
	s_mov_b32 s0, exec_lo
	v_cmpx_lt_u32_e64 v54, v21
	s_cbranch_execnz .LBB1879_362
.LBB1879_347:                           ;   in Loop: Header=BB1879_315 Depth=2
	s_or_b32 exec_lo, exec_lo, s0
	s_delay_alu instid0(SALU_CYCLE_1)
	s_mov_b32 s0, exec_lo
	v_cmpx_lt_u32_e64 v55, v21
	s_cbranch_execz .LBB1879_363
.LBB1879_348:                           ;   in Loop: Header=BB1879_315 Depth=2
	v_cmp_lt_i16_e32 vcc_lo, -1, v11
	v_lshlrev_b32_e32 v5, 2, v48
	v_cndmask_b32_e64 v4, -1, 0xffff8000, vcc_lo
	s_delay_alu instid0(VALU_DEP_1) | instskip(NEXT) | instid1(VALU_DEP_1)
	v_xor_b32_e32 v4, v4, v11
	v_cmp_ne_u16_e32 vcc_lo, 0x7fff, v4
	v_cndmask_b32_e32 v4, 0xffff8000, v4, vcc_lo
	s_delay_alu instid0(VALU_DEP_1) | instskip(NEXT) | instid1(VALU_DEP_1)
	v_and_b32_e32 v4, 0xffff, v4
	v_lshrrev_b32_e32 v4, s48, v4
	s_delay_alu instid0(VALU_DEP_1) | instskip(NEXT) | instid1(VALU_DEP_1)
	v_and_b32_e32 v4, s55, v4
	v_lshl_or_b32 v4, v4, 4, v5
	ds_add_u32 v4, v94
	s_or_b32 exec_lo, exec_lo, s0
	s_delay_alu instid0(SALU_CYCLE_1)
	s_mov_b32 s0, exec_lo
	v_cmpx_lt_u32_e64 v56, v21
	s_cbranch_execnz .LBB1879_364
.LBB1879_349:                           ;   in Loop: Header=BB1879_315 Depth=2
	s_or_b32 exec_lo, exec_lo, s0
	s_delay_alu instid0(SALU_CYCLE_1)
	s_mov_b32 s0, exec_lo
	v_cmpx_lt_u32_e64 v57, v21
	s_cbranch_execz .LBB1879_365
.LBB1879_350:                           ;   in Loop: Header=BB1879_315 Depth=2
	v_cmp_lt_i16_e32 vcc_lo, -1, v9
	v_lshlrev_b32_e32 v5, 2, v48
	v_cndmask_b32_e64 v4, -1, 0xffff8000, vcc_lo
	s_delay_alu instid0(VALU_DEP_1) | instskip(NEXT) | instid1(VALU_DEP_1)
	v_xor_b32_e32 v4, v4, v9
	v_cmp_ne_u16_e32 vcc_lo, 0x7fff, v4
	v_cndmask_b32_e32 v4, 0xffff8000, v4, vcc_lo
	s_delay_alu instid0(VALU_DEP_1) | instskip(NEXT) | instid1(VALU_DEP_1)
	v_and_b32_e32 v4, 0xffff, v4
	v_lshrrev_b32_e32 v4, s48, v4
	s_delay_alu instid0(VALU_DEP_1) | instskip(NEXT) | instid1(VALU_DEP_1)
	v_and_b32_e32 v4, s55, v4
	v_lshl_or_b32 v4, v4, 4, v5
	ds_add_u32 v4, v94
	s_or_b32 exec_lo, exec_lo, s0
	s_delay_alu instid0(SALU_CYCLE_1)
	s_mov_b32 s0, exec_lo
	v_cmpx_lt_u32_e64 v58, v21
	s_cbranch_execnz .LBB1879_366
.LBB1879_351:                           ;   in Loop: Header=BB1879_315 Depth=2
	s_or_b32 exec_lo, exec_lo, s0
	s_delay_alu instid0(SALU_CYCLE_1)
	s_mov_b32 s0, exec_lo
	v_cmpx_lt_u32_e64 v59, v21
	s_cbranch_execz .LBB1879_367
.LBB1879_352:                           ;   in Loop: Header=BB1879_315 Depth=2
	v_cmp_lt_i16_e32 vcc_lo, -1, v7
	v_lshlrev_b32_e32 v5, 2, v48
	v_cndmask_b32_e64 v4, -1, 0xffff8000, vcc_lo
	s_delay_alu instid0(VALU_DEP_1) | instskip(NEXT) | instid1(VALU_DEP_1)
	v_xor_b32_e32 v4, v4, v7
	v_cmp_ne_u16_e32 vcc_lo, 0x7fff, v4
	v_cndmask_b32_e32 v4, 0xffff8000, v4, vcc_lo
	s_delay_alu instid0(VALU_DEP_1) | instskip(NEXT) | instid1(VALU_DEP_1)
	v_and_b32_e32 v4, 0xffff, v4
	v_lshrrev_b32_e32 v4, s48, v4
	s_delay_alu instid0(VALU_DEP_1) | instskip(NEXT) | instid1(VALU_DEP_1)
	v_and_b32_e32 v4, s55, v4
	v_lshl_or_b32 v4, v4, 4, v5
	ds_add_u32 v4, v94
	s_or_b32 exec_lo, exec_lo, s0
	s_delay_alu instid0(SALU_CYCLE_1)
	s_mov_b32 s0, exec_lo
	v_cmpx_lt_u32_e64 v60, v21
	s_cbranch_execnz .LBB1879_368
.LBB1879_353:                           ;   in Loop: Header=BB1879_315 Depth=2
	s_or_b32 exec_lo, exec_lo, s0
	s_delay_alu instid0(SALU_CYCLE_1)
	s_mov_b32 s0, exec_lo
	v_cmpx_lt_u32_e64 v61, v21
	s_cbranch_execz .LBB1879_369
.LBB1879_354:                           ;   in Loop: Header=BB1879_315 Depth=2
	v_cmp_lt_i16_e32 vcc_lo, -1, v2
	v_lshlrev_b32_e32 v5, 2, v48
	v_cndmask_b32_e64 v4, -1, 0xffff8000, vcc_lo
	s_delay_alu instid0(VALU_DEP_1) | instskip(NEXT) | instid1(VALU_DEP_1)
	v_xor_b32_e32 v4, v4, v2
	v_cmp_ne_u16_e32 vcc_lo, 0x7fff, v4
	v_cndmask_b32_e32 v4, 0xffff8000, v4, vcc_lo
	s_delay_alu instid0(VALU_DEP_1) | instskip(NEXT) | instid1(VALU_DEP_1)
	v_and_b32_e32 v4, 0xffff, v4
	v_lshrrev_b32_e32 v4, s48, v4
	s_delay_alu instid0(VALU_DEP_1) | instskip(NEXT) | instid1(VALU_DEP_1)
	v_and_b32_e32 v4, s55, v4
	v_lshl_or_b32 v4, v4, 4, v5
	ds_add_u32 v4, v94
	s_or_b32 exec_lo, exec_lo, s0
	s_delay_alu instid0(SALU_CYCLE_1)
	s_mov_b32 s0, exec_lo
	v_cmpx_lt_u32_e64 v63, v21
	s_cbranch_execz .LBB1879_314
	s_branch .LBB1879_370
.LBB1879_355:                           ;   in Loop: Header=BB1879_315 Depth=2
	s_or_b32 exec_lo, exec_lo, s0
	s_delay_alu instid0(SALU_CYCLE_1)
	s_mov_b32 s0, exec_lo
	v_cmpx_lt_u32_e64 v45, v21
	s_cbranch_execz .LBB1879_341
.LBB1879_356:                           ;   in Loop: Header=BB1879_315 Depth=2
	v_cmp_lt_i16_e32 vcc_lo, -1, v18
	v_lshlrev_b32_e32 v5, 2, v48
	v_cndmask_b32_e64 v4, -1, 0xffff8000, vcc_lo
	s_delay_alu instid0(VALU_DEP_1) | instskip(NEXT) | instid1(VALU_DEP_1)
	v_xor_b32_e32 v4, v4, v18
	v_cmp_ne_u16_e32 vcc_lo, 0x7fff, v4
	v_cndmask_b32_e32 v4, 0xffff8000, v4, vcc_lo
	s_delay_alu instid0(VALU_DEP_1) | instskip(NEXT) | instid1(VALU_DEP_1)
	v_and_b32_e32 v4, 0xffff, v4
	v_lshrrev_b32_e32 v4, s48, v4
	s_delay_alu instid0(VALU_DEP_1) | instskip(NEXT) | instid1(VALU_DEP_1)
	v_and_b32_e32 v4, s55, v4
	v_lshl_or_b32 v4, v4, 4, v5
	ds_add_u32 v4, v94
	s_or_b32 exec_lo, exec_lo, s0
	s_delay_alu instid0(SALU_CYCLE_1)
	s_mov_b32 s0, exec_lo
	v_cmpx_lt_u32_e64 v46, v21
	s_cbranch_execnz .LBB1879_342
.LBB1879_357:                           ;   in Loop: Header=BB1879_315 Depth=2
	s_or_b32 exec_lo, exec_lo, s0
	s_delay_alu instid0(SALU_CYCLE_1)
	s_mov_b32 s0, exec_lo
	v_cmpx_lt_u32_e64 v47, v21
	s_cbranch_execz .LBB1879_343
.LBB1879_358:                           ;   in Loop: Header=BB1879_315 Depth=2
	v_cmp_lt_i16_e32 vcc_lo, -1, v16
	v_lshlrev_b32_e32 v5, 2, v48
	v_cndmask_b32_e64 v4, -1, 0xffff8000, vcc_lo
	s_delay_alu instid0(VALU_DEP_1) | instskip(NEXT) | instid1(VALU_DEP_1)
	v_xor_b32_e32 v4, v4, v16
	v_cmp_ne_u16_e32 vcc_lo, 0x7fff, v4
	v_cndmask_b32_e32 v4, 0xffff8000, v4, vcc_lo
	s_delay_alu instid0(VALU_DEP_1) | instskip(NEXT) | instid1(VALU_DEP_1)
	v_and_b32_e32 v4, 0xffff, v4
	v_lshrrev_b32_e32 v4, s48, v4
	s_delay_alu instid0(VALU_DEP_1) | instskip(NEXT) | instid1(VALU_DEP_1)
	v_and_b32_e32 v4, s55, v4
	v_lshl_or_b32 v4, v4, 4, v5
	ds_add_u32 v4, v94
	s_or_b32 exec_lo, exec_lo, s0
	s_delay_alu instid0(SALU_CYCLE_1)
	s_mov_b32 s0, exec_lo
	v_cmpx_lt_u32_e64 v51, v21
	s_cbranch_execnz .LBB1879_344
.LBB1879_359:                           ;   in Loop: Header=BB1879_315 Depth=2
	s_or_b32 exec_lo, exec_lo, s0
	s_delay_alu instid0(SALU_CYCLE_1)
	s_mov_b32 s0, exec_lo
	v_cmpx_lt_u32_e64 v52, v21
	s_cbranch_execz .LBB1879_345
.LBB1879_360:                           ;   in Loop: Header=BB1879_315 Depth=2
	v_cmp_lt_i16_e32 vcc_lo, -1, v14
	v_lshlrev_b32_e32 v5, 2, v48
	v_cndmask_b32_e64 v4, -1, 0xffff8000, vcc_lo
	s_delay_alu instid0(VALU_DEP_1) | instskip(NEXT) | instid1(VALU_DEP_1)
	v_xor_b32_e32 v4, v4, v14
	v_cmp_ne_u16_e32 vcc_lo, 0x7fff, v4
	v_cndmask_b32_e32 v4, 0xffff8000, v4, vcc_lo
	s_delay_alu instid0(VALU_DEP_1) | instskip(NEXT) | instid1(VALU_DEP_1)
	v_and_b32_e32 v4, 0xffff, v4
	v_lshrrev_b32_e32 v4, s48, v4
	s_delay_alu instid0(VALU_DEP_1) | instskip(NEXT) | instid1(VALU_DEP_1)
	v_and_b32_e32 v4, s55, v4
	v_lshl_or_b32 v4, v4, 4, v5
	ds_add_u32 v4, v94
	s_or_b32 exec_lo, exec_lo, s0
	s_delay_alu instid0(SALU_CYCLE_1)
	s_mov_b32 s0, exec_lo
	v_cmpx_lt_u32_e64 v53, v21
	s_cbranch_execnz .LBB1879_346
.LBB1879_361:                           ;   in Loop: Header=BB1879_315 Depth=2
	s_or_b32 exec_lo, exec_lo, s0
	s_delay_alu instid0(SALU_CYCLE_1)
	s_mov_b32 s0, exec_lo
	v_cmpx_lt_u32_e64 v54, v21
	s_cbranch_execz .LBB1879_347
.LBB1879_362:                           ;   in Loop: Header=BB1879_315 Depth=2
	v_cmp_lt_i16_e32 vcc_lo, -1, v12
	v_lshlrev_b32_e32 v5, 2, v48
	v_cndmask_b32_e64 v4, -1, 0xffff8000, vcc_lo
	s_delay_alu instid0(VALU_DEP_1) | instskip(NEXT) | instid1(VALU_DEP_1)
	v_xor_b32_e32 v4, v4, v12
	v_cmp_ne_u16_e32 vcc_lo, 0x7fff, v4
	v_cndmask_b32_e32 v4, 0xffff8000, v4, vcc_lo
	s_delay_alu instid0(VALU_DEP_1) | instskip(NEXT) | instid1(VALU_DEP_1)
	v_and_b32_e32 v4, 0xffff, v4
	v_lshrrev_b32_e32 v4, s48, v4
	s_delay_alu instid0(VALU_DEP_1) | instskip(NEXT) | instid1(VALU_DEP_1)
	v_and_b32_e32 v4, s55, v4
	v_lshl_or_b32 v4, v4, 4, v5
	ds_add_u32 v4, v94
	s_or_b32 exec_lo, exec_lo, s0
	s_delay_alu instid0(SALU_CYCLE_1)
	s_mov_b32 s0, exec_lo
	v_cmpx_lt_u32_e64 v55, v21
	s_cbranch_execnz .LBB1879_348
.LBB1879_363:                           ;   in Loop: Header=BB1879_315 Depth=2
	s_or_b32 exec_lo, exec_lo, s0
	s_delay_alu instid0(SALU_CYCLE_1)
	s_mov_b32 s0, exec_lo
	v_cmpx_lt_u32_e64 v56, v21
	s_cbranch_execz .LBB1879_349
.LBB1879_364:                           ;   in Loop: Header=BB1879_315 Depth=2
	v_cmp_lt_i16_e32 vcc_lo, -1, v10
	v_lshlrev_b32_e32 v5, 2, v48
	v_cndmask_b32_e64 v4, -1, 0xffff8000, vcc_lo
	s_delay_alu instid0(VALU_DEP_1) | instskip(NEXT) | instid1(VALU_DEP_1)
	v_xor_b32_e32 v4, v4, v10
	v_cmp_ne_u16_e32 vcc_lo, 0x7fff, v4
	v_cndmask_b32_e32 v4, 0xffff8000, v4, vcc_lo
	s_delay_alu instid0(VALU_DEP_1) | instskip(NEXT) | instid1(VALU_DEP_1)
	v_and_b32_e32 v4, 0xffff, v4
	v_lshrrev_b32_e32 v4, s48, v4
	s_delay_alu instid0(VALU_DEP_1) | instskip(NEXT) | instid1(VALU_DEP_1)
	v_and_b32_e32 v4, s55, v4
	v_lshl_or_b32 v4, v4, 4, v5
	ds_add_u32 v4, v94
	s_or_b32 exec_lo, exec_lo, s0
	s_delay_alu instid0(SALU_CYCLE_1)
	s_mov_b32 s0, exec_lo
	v_cmpx_lt_u32_e64 v57, v21
	s_cbranch_execnz .LBB1879_350
.LBB1879_365:                           ;   in Loop: Header=BB1879_315 Depth=2
	s_or_b32 exec_lo, exec_lo, s0
	s_delay_alu instid0(SALU_CYCLE_1)
	s_mov_b32 s0, exec_lo
	v_cmpx_lt_u32_e64 v58, v21
	s_cbranch_execz .LBB1879_351
.LBB1879_366:                           ;   in Loop: Header=BB1879_315 Depth=2
	v_cmp_lt_i16_e32 vcc_lo, -1, v8
	v_lshlrev_b32_e32 v5, 2, v48
	v_cndmask_b32_e64 v4, -1, 0xffff8000, vcc_lo
	s_delay_alu instid0(VALU_DEP_1) | instskip(NEXT) | instid1(VALU_DEP_1)
	v_xor_b32_e32 v4, v4, v8
	v_cmp_ne_u16_e32 vcc_lo, 0x7fff, v4
	v_cndmask_b32_e32 v4, 0xffff8000, v4, vcc_lo
	s_delay_alu instid0(VALU_DEP_1) | instskip(NEXT) | instid1(VALU_DEP_1)
	v_and_b32_e32 v4, 0xffff, v4
	v_lshrrev_b32_e32 v4, s48, v4
	s_delay_alu instid0(VALU_DEP_1) | instskip(NEXT) | instid1(VALU_DEP_1)
	v_and_b32_e32 v4, s55, v4
	v_lshl_or_b32 v4, v4, 4, v5
	ds_add_u32 v4, v94
	s_or_b32 exec_lo, exec_lo, s0
	s_delay_alu instid0(SALU_CYCLE_1)
	s_mov_b32 s0, exec_lo
	v_cmpx_lt_u32_e64 v59, v21
	s_cbranch_execnz .LBB1879_352
.LBB1879_367:                           ;   in Loop: Header=BB1879_315 Depth=2
	s_or_b32 exec_lo, exec_lo, s0
	s_delay_alu instid0(SALU_CYCLE_1)
	s_mov_b32 s0, exec_lo
	v_cmpx_lt_u32_e64 v60, v21
	s_cbranch_execz .LBB1879_353
.LBB1879_368:                           ;   in Loop: Header=BB1879_315 Depth=2
	v_cmp_lt_i16_e32 vcc_lo, -1, v6
	v_lshlrev_b32_e32 v5, 2, v48
	v_cndmask_b32_e64 v4, -1, 0xffff8000, vcc_lo
	s_delay_alu instid0(VALU_DEP_1) | instskip(NEXT) | instid1(VALU_DEP_1)
	v_xor_b32_e32 v4, v4, v6
	v_cmp_ne_u16_e32 vcc_lo, 0x7fff, v4
	v_cndmask_b32_e32 v4, 0xffff8000, v4, vcc_lo
	s_delay_alu instid0(VALU_DEP_1) | instskip(NEXT) | instid1(VALU_DEP_1)
	v_and_b32_e32 v4, 0xffff, v4
	v_lshrrev_b32_e32 v4, s48, v4
	s_delay_alu instid0(VALU_DEP_1) | instskip(NEXT) | instid1(VALU_DEP_1)
	v_and_b32_e32 v4, s55, v4
	v_lshl_or_b32 v4, v4, 4, v5
	ds_add_u32 v4, v94
	s_or_b32 exec_lo, exec_lo, s0
	s_delay_alu instid0(SALU_CYCLE_1)
	s_mov_b32 s0, exec_lo
	v_cmpx_lt_u32_e64 v61, v21
	s_cbranch_execnz .LBB1879_354
.LBB1879_369:                           ;   in Loop: Header=BB1879_315 Depth=2
	s_or_b32 exec_lo, exec_lo, s0
	s_delay_alu instid0(SALU_CYCLE_1)
	s_mov_b32 s0, exec_lo
	v_cmpx_lt_u32_e64 v63, v21
	s_cbranch_execz .LBB1879_314
.LBB1879_370:                           ;   in Loop: Header=BB1879_315 Depth=2
	s_waitcnt vmcnt(0)
	v_cmp_lt_i16_e32 vcc_lo, -1, v20
	v_lshlrev_b32_e32 v5, 2, v48
	v_cndmask_b32_e64 v4, -1, 0xffff8000, vcc_lo
	s_delay_alu instid0(VALU_DEP_1) | instskip(NEXT) | instid1(VALU_DEP_1)
	v_xor_b32_e32 v4, v4, v20
	v_cmp_ne_u16_e32 vcc_lo, 0x7fff, v4
	v_cndmask_b32_e32 v4, 0xffff8000, v4, vcc_lo
	s_delay_alu instid0(VALU_DEP_1) | instskip(NEXT) | instid1(VALU_DEP_1)
	v_and_b32_e32 v4, 0xffff, v4
	v_lshrrev_b32_e32 v4, s48, v4
	s_delay_alu instid0(VALU_DEP_1) | instskip(NEXT) | instid1(VALU_DEP_1)
	v_and_b32_e32 v4, s55, v4
	v_lshl_or_b32 v4, v4, 4, v5
	ds_add_u32 v4, v94
	s_branch .LBB1879_314
.LBB1879_371:                           ;   in Loop: Header=BB1879_315 Depth=2
	s_or_b32 exec_lo, exec_lo, s11
	s_delay_alu instid0(SALU_CYCLE_1)
	s_mov_b32 s11, exec_lo
	v_cmpx_gt_u32_e64 s8, v45
	s_cbranch_execz .LBB1879_321
.LBB1879_372:                           ;   in Loop: Header=BB1879_315 Depth=2
	global_load_u16 v18, v95, s[0:1] offset:512
	s_or_b32 exec_lo, exec_lo, s11
	s_delay_alu instid0(SALU_CYCLE_1)
	s_mov_b32 s11, exec_lo
	v_cmpx_gt_u32_e64 s8, v46
	s_cbranch_execnz .LBB1879_322
.LBB1879_373:                           ;   in Loop: Header=BB1879_315 Depth=2
	s_or_b32 exec_lo, exec_lo, s11
	s_delay_alu instid0(SALU_CYCLE_1)
	s_mov_b32 s11, exec_lo
	v_cmpx_gt_u32_e64 s8, v47
	s_cbranch_execz .LBB1879_323
.LBB1879_374:                           ;   in Loop: Header=BB1879_315 Depth=2
	global_load_u16 v16, v95, s[0:1] offset:1536
	s_or_b32 exec_lo, exec_lo, s11
	s_delay_alu instid0(SALU_CYCLE_1)
	s_mov_b32 s11, exec_lo
	v_cmpx_gt_u32_e64 s8, v51
	s_cbranch_execnz .LBB1879_324
.LBB1879_375:                           ;   in Loop: Header=BB1879_315 Depth=2
	s_or_b32 exec_lo, exec_lo, s11
	s_delay_alu instid0(SALU_CYCLE_1)
	s_mov_b32 s11, exec_lo
	v_cmpx_gt_u32_e64 s8, v52
	s_cbranch_execz .LBB1879_325
.LBB1879_376:                           ;   in Loop: Header=BB1879_315 Depth=2
	global_load_u16 v14, v95, s[0:1] offset:2560
	s_or_b32 exec_lo, exec_lo, s11
	s_delay_alu instid0(SALU_CYCLE_1)
	s_mov_b32 s11, exec_lo
	v_cmpx_gt_u32_e64 s8, v53
	s_cbranch_execnz .LBB1879_326
.LBB1879_377:                           ;   in Loop: Header=BB1879_315 Depth=2
	s_or_b32 exec_lo, exec_lo, s11
	s_delay_alu instid0(SALU_CYCLE_1)
	s_mov_b32 s11, exec_lo
	v_cmpx_gt_u32_e64 s8, v54
	s_cbranch_execz .LBB1879_327
.LBB1879_378:                           ;   in Loop: Header=BB1879_315 Depth=2
	global_load_u16 v12, v95, s[0:1] offset:3584
	s_or_b32 exec_lo, exec_lo, s11
	s_delay_alu instid0(SALU_CYCLE_1)
	s_mov_b32 s11, exec_lo
	v_cmpx_gt_u32_e64 s8, v55
	s_cbranch_execnz .LBB1879_328
.LBB1879_379:                           ;   in Loop: Header=BB1879_315 Depth=2
	s_or_b32 exec_lo, exec_lo, s11
	s_delay_alu instid0(SALU_CYCLE_1)
	s_mov_b32 s11, exec_lo
	v_cmpx_gt_u32_e64 s8, v56
	s_cbranch_execz .LBB1879_329
.LBB1879_380:                           ;   in Loop: Header=BB1879_315 Depth=2
	global_load_u16 v10, v97, s[0:1]
	s_or_b32 exec_lo, exec_lo, s11
	s_delay_alu instid0(SALU_CYCLE_1)
	s_mov_b32 s11, exec_lo
	v_cmpx_gt_u32_e64 s8, v57
	s_cbranch_execnz .LBB1879_330
.LBB1879_381:                           ;   in Loop: Header=BB1879_315 Depth=2
	s_or_b32 exec_lo, exec_lo, s11
	s_delay_alu instid0(SALU_CYCLE_1)
	s_mov_b32 s11, exec_lo
	v_cmpx_gt_u32_e64 s8, v58
	s_cbranch_execz .LBB1879_331
.LBB1879_382:                           ;   in Loop: Header=BB1879_315 Depth=2
	global_load_u16 v8, v99, s[0:1]
	s_or_b32 exec_lo, exec_lo, s11
	s_delay_alu instid0(SALU_CYCLE_1)
	s_mov_b32 s11, exec_lo
	v_cmpx_gt_u32_e64 s8, v59
	s_cbranch_execnz .LBB1879_332
.LBB1879_383:                           ;   in Loop: Header=BB1879_315 Depth=2
	s_or_b32 exec_lo, exec_lo, s11
	s_delay_alu instid0(SALU_CYCLE_1)
	s_mov_b32 s11, exec_lo
	v_cmpx_gt_u32_e64 s8, v60
	s_cbranch_execz .LBB1879_333
.LBB1879_384:                           ;   in Loop: Header=BB1879_315 Depth=2
	global_load_u16 v6, v101, s[0:1]
	s_or_b32 exec_lo, exec_lo, s11
	s_delay_alu instid0(SALU_CYCLE_1)
	s_mov_b32 s11, exec_lo
	v_cmpx_gt_u32_e64 s8, v61
	s_cbranch_execz .LBB1879_335
	s_branch .LBB1879_334
.LBB1879_385:                           ;   in Loop: Header=BB1879_17 Depth=1
	v_mov_b32_e32 v2, 0
	s_waitcnt vmcnt(0) lgkmcnt(0)
	s_barrier
	buffer_gl0_inv
	s_and_saveexec_b32 s0, s2
	s_cbranch_execz .LBB1879_387
; %bb.386:                              ;   in Loop: Header=BB1879_17 Depth=1
	ds_load_2addr_b64 v[4:7], v64 offset1:1
	s_waitcnt lgkmcnt(0)
	v_add_nc_u32_e32 v2, v5, v4
	s_delay_alu instid0(VALU_DEP_1)
	v_add3_u32 v2, v2, v6, v7
.LBB1879_387:                           ;   in Loop: Header=BB1879_17 Depth=1
	s_or_b32 exec_lo, exec_lo, s0
	v_and_b32_e32 v4, 15, v104
	s_delay_alu instid0(VALU_DEP_2) | instskip(SKIP_1) | instid1(VALU_DEP_3)
	v_mov_b32_dpp v5, v2 row_shr:1 row_mask:0xf bank_mask:0xf
	v_and_b32_e32 v6, 16, v104
	v_cmp_eq_u32_e64 s0, 0, v4
	v_cmp_lt_u32_e64 s1, 1, v4
	v_cmp_lt_u32_e64 s8, 3, v4
	;; [unrolled: 1-line block ×3, first 2 shown]
	v_cmp_eq_u32_e64 s10, 0, v6
	v_cndmask_b32_e64 v5, v5, 0, s0
	s_delay_alu instid0(VALU_DEP_1) | instskip(NEXT) | instid1(VALU_DEP_1)
	v_add_nc_u32_e32 v2, v5, v2
	v_mov_b32_dpp v5, v2 row_shr:2 row_mask:0xf bank_mask:0xf
	s_delay_alu instid0(VALU_DEP_1) | instskip(NEXT) | instid1(VALU_DEP_1)
	v_cndmask_b32_e64 v5, 0, v5, s1
	v_add_nc_u32_e32 v2, v2, v5
	s_delay_alu instid0(VALU_DEP_1) | instskip(NEXT) | instid1(VALU_DEP_1)
	v_mov_b32_dpp v5, v2 row_shr:4 row_mask:0xf bank_mask:0xf
	v_cndmask_b32_e64 v5, 0, v5, s8
	s_delay_alu instid0(VALU_DEP_1) | instskip(NEXT) | instid1(VALU_DEP_1)
	v_add_nc_u32_e32 v2, v2, v5
	v_mov_b32_dpp v5, v2 row_shr:8 row_mask:0xf bank_mask:0xf
	s_delay_alu instid0(VALU_DEP_1) | instskip(SKIP_1) | instid1(VALU_DEP_2)
	v_cndmask_b32_e64 v4, 0, v5, s9
	v_bfe_i32 v5, v104, 4, 1
	v_add_nc_u32_e32 v2, v2, v4
	ds_swizzle_b32 v4, v2 offset:swizzle(BROADCAST,32,15)
	s_waitcnt lgkmcnt(0)
	v_and_b32_e32 v4, v5, v4
	s_delay_alu instid0(VALU_DEP_1)
	v_add_nc_u32_e32 v4, v2, v4
	s_and_saveexec_b32 s11, s3
	s_cbranch_execz .LBB1879_389
; %bb.388:                              ;   in Loop: Header=BB1879_17 Depth=1
	ds_store_b32 v65, v4
.LBB1879_389:                           ;   in Loop: Header=BB1879_17 Depth=1
	s_or_b32 exec_lo, exec_lo, s11
	v_and_b32_e32 v2, 7, v104
	s_waitcnt lgkmcnt(0)
	s_barrier
	buffer_gl0_inv
	s_and_saveexec_b32 s11, s4
	s_cbranch_execz .LBB1879_391
; %bb.390:                              ;   in Loop: Header=BB1879_17 Depth=1
	ds_load_b32 v5, v66
	v_cmp_ne_u32_e32 vcc_lo, 0, v2
	s_waitcnt lgkmcnt(0)
	v_mov_b32_dpp v6, v5 row_shr:1 row_mask:0xf bank_mask:0xf
	s_delay_alu instid0(VALU_DEP_1) | instskip(SKIP_1) | instid1(VALU_DEP_2)
	v_cndmask_b32_e32 v6, 0, v6, vcc_lo
	v_cmp_lt_u32_e32 vcc_lo, 1, v2
	v_add_nc_u32_e32 v5, v6, v5
	s_delay_alu instid0(VALU_DEP_1) | instskip(NEXT) | instid1(VALU_DEP_1)
	v_mov_b32_dpp v6, v5 row_shr:2 row_mask:0xf bank_mask:0xf
	v_cndmask_b32_e32 v6, 0, v6, vcc_lo
	v_cmp_lt_u32_e32 vcc_lo, 3, v2
	s_delay_alu instid0(VALU_DEP_2) | instskip(NEXT) | instid1(VALU_DEP_1)
	v_add_nc_u32_e32 v5, v5, v6
	v_mov_b32_dpp v6, v5 row_shr:4 row_mask:0xf bank_mask:0xf
	s_delay_alu instid0(VALU_DEP_1) | instskip(NEXT) | instid1(VALU_DEP_1)
	v_cndmask_b32_e32 v6, 0, v6, vcc_lo
	v_add_nc_u32_e32 v5, v5, v6
	ds_store_b32 v66, v5
.LBB1879_391:                           ;   in Loop: Header=BB1879_17 Depth=1
	s_or_b32 exec_lo, exec_lo, s11
	v_mov_b32_e32 v5, 0
	s_waitcnt lgkmcnt(0)
	s_barrier
	buffer_gl0_inv
	s_and_saveexec_b32 s11, s5
	s_cbranch_execz .LBB1879_393
; %bb.392:                              ;   in Loop: Header=BB1879_17 Depth=1
	ds_load_b32 v5, v67
.LBB1879_393:                           ;   in Loop: Header=BB1879_17 Depth=1
	s_or_b32 exec_lo, exec_lo, s11
	v_add_nc_u32_e32 v6, -1, v104
	s_waitcnt lgkmcnt(0)
	v_add_nc_u32_e32 v4, v5, v4
	v_cmp_eq_u32_e64 s11, 0, v104
	s_barrier
	v_cmp_gt_i32_e32 vcc_lo, 0, v6
	buffer_gl0_inv
	v_cndmask_b32_e32 v6, v6, v104, vcc_lo
	s_delay_alu instid0(VALU_DEP_1)
	v_lshlrev_b32_e32 v105, 2, v6
	ds_bpermute_b32 v4, v105, v4
	s_and_saveexec_b32 s12, s2
	s_cbranch_execz .LBB1879_395
; %bb.394:                              ;   in Loop: Header=BB1879_17 Depth=1
	s_waitcnt lgkmcnt(0)
	v_cndmask_b32_e64 v4, v4, v5, s11
	s_delay_alu instid0(VALU_DEP_1)
	v_add_nc_u32_e32 v4, s52, v4
	ds_store_b32 v44, v4
.LBB1879_395:                           ;   in Loop: Header=BB1879_17 Depth=1
	s_or_b32 exec_lo, exec_lo, s12
	s_load_b64 s[12:13], s[42:43], 0x0
	v_lshlrev_b32_e32 v5, 3, v104
	v_or_b32_e32 v106, v104, v68
	s_mov_b32 s56, s54
	s_mov_b32 s34, s52
                                        ; implicit-def: $vgpr8_vgpr9
                                        ; implicit-def: $vgpr10_vgpr11
                                        ; implicit-def: $vgpr12_vgpr13
                                        ; implicit-def: $vgpr14_vgpr15
                                        ; implicit-def: $vgpr16_vgpr17
                                        ; implicit-def: $vgpr18_vgpr19
                                        ; implicit-def: $vgpr20_vgpr21
                                        ; implicit-def: $vgpr22_vgpr23
                                        ; implicit-def: $vgpr24_vgpr25
                                        ; implicit-def: $vgpr26_vgpr27
                                        ; implicit-def: $vgpr28_vgpr29
                                        ; implicit-def: $vgpr30_vgpr31
                                        ; implicit-def: $vgpr32_vgpr33
                                        ; implicit-def: $vgpr34_vgpr35
                                        ; implicit-def: $vgpr129
                                        ; implicit-def: $vgpr130
                                        ; implicit-def: $vgpr131
                                        ; implicit-def: $vgpr132
                                        ; implicit-def: $vgpr133
                                        ; implicit-def: $vgpr134
                                        ; implicit-def: $vgpr135
                                        ; implicit-def: $vgpr136
                                        ; implicit-def: $vgpr137
                                        ; implicit-def: $vgpr138
                                        ; implicit-def: $vgpr139
                                        ; implicit-def: $vgpr140
                                        ; implicit-def: $vgpr141
                                        ; implicit-def: $vgpr142
                                        ; implicit-def: $vgpr143
                                        ; implicit-def: $vgpr144
	s_delay_alu instid0(VALU_DEP_2)
	v_add_co_u32 v107, vcc_lo, v84, v5
	v_add_co_ci_u32_e32 v108, vcc_lo, 0, v85, vcc_lo
	v_or_b32_e32 v109, 32, v106
	v_or_b32_e32 v110, 64, v106
	;; [unrolled: 1-line block ×10, first 2 shown]
	s_waitcnt lgkmcnt(0)
	s_cmp_lt_u32 s15, s13
	v_or_b32_e32 v119, 0x160, v106
	s_cselect_b32 s13, 14, 20
	v_or_b32_e32 v120, 0x180, v106
	s_add_u32 s16, s42, s13
	s_addc_u32 s17, s43, 0
	s_cmp_lt_u32 s14, s12
	global_load_u16 v4, v3, s[16:17]
	s_cselect_b32 s12, 12, 18
	v_or_b32_e32 v121, 0x1a0, v106
	s_add_u32 s12, s42, s12
	s_addc_u32 s13, s43, 0
	v_or_b32_e32 v122, 0x1c0, v106
	global_load_u16 v6, v3, s[12:13]
	v_cmp_eq_u32_e64 s12, 0, v2
	v_cmp_lt_u32_e64 s13, 1, v2
	v_cmp_lt_u32_e64 s16, 3, v2
	v_lshlrev_b32_e32 v2, 1, v104
	v_or_b32_e32 v123, 0x1e0, v106
	s_delay_alu instid0(VALU_DEP_2) | instskip(SKIP_1) | instid1(VALU_DEP_2)
	v_add_co_u32 v124, vcc_lo, v86, v2
	v_add_co_ci_u32_e32 v125, vcc_lo, 0, v87, vcc_lo
	v_add_co_u32 v127, vcc_lo, 0x3c0, v124
	s_delay_alu instid0(VALU_DEP_2) | instskip(SKIP_3) | instid1(VALU_DEP_1)
	v_add_co_ci_u32_e32 v128, vcc_lo, 0, v125, vcc_lo
	s_waitcnt vmcnt(1)
	v_mad_u32_u24 v7, v70, v4, v0
	s_waitcnt vmcnt(0)
	v_mad_u64_u32 v[4:5], null, v7, v6, v[1:2]
                                        ; implicit-def: $vgpr6_vgpr7
	s_delay_alu instid0(VALU_DEP_1)
	v_lshrrev_b32_e32 v126, 5, v4
                                        ; implicit-def: $vgpr4_vgpr5
	s_branch .LBB1879_397
.LBB1879_396:                           ;   in Loop: Header=BB1879_397 Depth=2
	s_or_b32 exec_lo, exec_lo, s17
	s_addk_i32 s56, 0xf000
	s_cmp_lt_u32 s57, s53
	s_mov_b32 s34, s57
	s_cbranch_scc0 .LBB1879_605
.LBB1879_397:                           ;   Parent Loop BB1879_17 Depth=1
                                        ; =>  This Inner Loop Header: Depth=2
	s_add_i32 s57, s34, 0x1000
	s_delay_alu instid0(SALU_CYCLE_1)
	s_cmp_gt_u32 s57, s53
	s_cbranch_scc1 .LBB1879_400
; %bb.398:                              ;   in Loop: Header=BB1879_397 Depth=2
	s_mov_b32 s19, 0
	s_mov_b32 s18, s34
	s_movk_i32 s17, 0x1000
	s_lshl_b64 s[20:21], s[18:19], 1
	s_delay_alu instid0(SALU_CYCLE_1)
	v_add_co_u32 v36, vcc_lo, v124, s20
	v_add_co_ci_u32_e32 v37, vcc_lo, s21, v125, vcc_lo
	s_mov_b32 s20, -1
	s_clause 0xe
	global_load_u16 v2, v[36:37], off
	global_load_u16 v146, v[36:37], off offset:64
	global_load_u16 v149, v[36:37], off offset:128
	global_load_u16 v153, v[36:37], off offset:192
	global_load_u16 v157, v[36:37], off offset:256
	global_load_u16 v161, v[36:37], off offset:320
	global_load_u16 v165, v[36:37], off offset:384
	global_load_u16 v170, v[36:37], off offset:448
	global_load_u16 v169, v[36:37], off offset:512
	global_load_u16 v43, v[36:37], off offset:576
	global_load_u16 v42, v[36:37], off offset:640
	global_load_u16 v41, v[36:37], off offset:704
	global_load_u16 v40, v[36:37], off offset:768
	global_load_u16 v39, v[36:37], off offset:832
	global_load_u16 v38, v[36:37], off offset:896
	s_cbranch_execz .LBB1879_401
; %bb.399:                              ;   in Loop: Header=BB1879_397 Depth=2
                                        ; implicit-def: $sgpr21
	v_dual_mov_b32 v36, s21 :: v_dual_mov_b32 v145, s56
	s_and_saveexec_b32 s21, s20
	s_cbranch_execnz .LBB1879_432
	s_branch .LBB1879_433
.LBB1879_400:                           ;   in Loop: Header=BB1879_397 Depth=2
	s_mov_b32 s19, -1
	s_mov_b32 s20, 0
                                        ; implicit-def: $sgpr17
                                        ; implicit-def: $vgpr2
                                        ; implicit-def: $vgpr146
                                        ; implicit-def: $vgpr149
                                        ; implicit-def: $vgpr153
                                        ; implicit-def: $vgpr157
                                        ; implicit-def: $vgpr161
                                        ; implicit-def: $vgpr165
                                        ; implicit-def: $vgpr170
                                        ; implicit-def: $vgpr169
                                        ; implicit-def: $vgpr43
                                        ; implicit-def: $vgpr42
                                        ; implicit-def: $vgpr41
                                        ; implicit-def: $vgpr40
                                        ; implicit-def: $vgpr39
                                        ; implicit-def: $vgpr38
.LBB1879_401:                           ;   in Loop: Header=BB1879_397 Depth=2
	s_lshl_b64 s[18:19], s[34:35], 1
	s_waitcnt vmcnt(13)
	v_mov_b32_e32 v146, 0x7fff
	v_add_co_u32 v36, vcc_lo, v124, s18
	v_add_co_ci_u32_e32 v37, vcc_lo, s19, v125, vcc_lo
	v_mov_b32_e32 v2, 0x7fff
	s_mov_b32 s17, exec_lo
	v_cmpx_gt_u32_e64 s56, v106
	s_cbranch_execz .LBB1879_403
; %bb.402:                              ;   in Loop: Header=BB1879_397 Depth=2
	global_load_u16 v2, v[36:37], off
.LBB1879_403:                           ;   in Loop: Header=BB1879_397 Depth=2
	s_or_b32 exec_lo, exec_lo, s17
	s_delay_alu instid0(SALU_CYCLE_1)
	s_mov_b32 s17, exec_lo
	v_cmpx_gt_u32_e64 s56, v109
	s_cbranch_execz .LBB1879_405
; %bb.404:                              ;   in Loop: Header=BB1879_397 Depth=2
	global_load_u16 v146, v[36:37], off offset:64
.LBB1879_405:                           ;   in Loop: Header=BB1879_397 Depth=2
	s_or_b32 exec_lo, exec_lo, s17
	s_waitcnt vmcnt(11)
	v_mov_b32_e32 v153, 0x7fff
	v_mov_b32_e32 v149, 0x7fff
	s_mov_b32 s17, exec_lo
	v_cmpx_gt_u32_e64 s56, v110
	s_cbranch_execz .LBB1879_407
; %bb.406:                              ;   in Loop: Header=BB1879_397 Depth=2
	global_load_u16 v149, v[36:37], off offset:128
.LBB1879_407:                           ;   in Loop: Header=BB1879_397 Depth=2
	s_or_b32 exec_lo, exec_lo, s17
	s_delay_alu instid0(SALU_CYCLE_1)
	s_mov_b32 s17, exec_lo
	v_cmpx_gt_u32_e64 s56, v111
	s_cbranch_execz .LBB1879_409
; %bb.408:                              ;   in Loop: Header=BB1879_397 Depth=2
	global_load_u16 v153, v[36:37], off offset:192
.LBB1879_409:                           ;   in Loop: Header=BB1879_397 Depth=2
	s_or_b32 exec_lo, exec_lo, s17
	s_waitcnt vmcnt(9)
	v_mov_b32_e32 v161, 0x7fff
	v_mov_b32_e32 v157, 0x7fff
	s_mov_b32 s17, exec_lo
	v_cmpx_gt_u32_e64 s56, v112
	s_cbranch_execz .LBB1879_411
; %bb.410:                              ;   in Loop: Header=BB1879_397 Depth=2
	global_load_u16 v157, v[36:37], off offset:256
.LBB1879_411:                           ;   in Loop: Header=BB1879_397 Depth=2
	s_or_b32 exec_lo, exec_lo, s17
	s_delay_alu instid0(SALU_CYCLE_1)
	s_mov_b32 s17, exec_lo
	v_cmpx_gt_u32_e64 s56, v113
	s_cbranch_execz .LBB1879_413
; %bb.412:                              ;   in Loop: Header=BB1879_397 Depth=2
	global_load_u16 v161, v[36:37], off offset:320
.LBB1879_413:                           ;   in Loop: Header=BB1879_397 Depth=2
	s_or_b32 exec_lo, exec_lo, s17
	s_waitcnt vmcnt(7)
	v_dual_mov_b32 v170, 0x7fff :: v_dual_mov_b32 v165, 0x7fff
	s_mov_b32 s17, exec_lo
	v_cmpx_gt_u32_e64 s56, v114
	s_cbranch_execz .LBB1879_415
; %bb.414:                              ;   in Loop: Header=BB1879_397 Depth=2
	global_load_u16 v165, v[36:37], off offset:384
.LBB1879_415:                           ;   in Loop: Header=BB1879_397 Depth=2
	s_or_b32 exec_lo, exec_lo, s17
	s_delay_alu instid0(SALU_CYCLE_1)
	s_mov_b32 s17, exec_lo
	v_cmpx_gt_u32_e64 s56, v115
	s_cbranch_execz .LBB1879_417
; %bb.416:                              ;   in Loop: Header=BB1879_397 Depth=2
	global_load_u16 v170, v[36:37], off offset:448
.LBB1879_417:                           ;   in Loop: Header=BB1879_397 Depth=2
	s_or_b32 exec_lo, exec_lo, s17
	s_waitcnt vmcnt(5)
	v_mov_b32_e32 v43, 0x7fff
	v_mov_b32_e32 v169, 0x7fff
	s_mov_b32 s17, exec_lo
	v_cmpx_gt_u32_e64 s56, v116
	s_cbranch_execz .LBB1879_419
; %bb.418:                              ;   in Loop: Header=BB1879_397 Depth=2
	global_load_u16 v169, v[36:37], off offset:512
.LBB1879_419:                           ;   in Loop: Header=BB1879_397 Depth=2
	s_or_b32 exec_lo, exec_lo, s17
	s_delay_alu instid0(SALU_CYCLE_1)
	s_mov_b32 s17, exec_lo
	v_cmpx_gt_u32_e64 s56, v117
	s_cbranch_execz .LBB1879_421
; %bb.420:                              ;   in Loop: Header=BB1879_397 Depth=2
	global_load_u16 v43, v[36:37], off offset:576
.LBB1879_421:                           ;   in Loop: Header=BB1879_397 Depth=2
	s_or_b32 exec_lo, exec_lo, s17
	s_waitcnt vmcnt(3)
	v_dual_mov_b32 v41, 0x7fff :: v_dual_mov_b32 v42, 0x7fff
	s_mov_b32 s17, exec_lo
	v_cmpx_gt_u32_e64 s56, v118
	s_cbranch_execz .LBB1879_423
; %bb.422:                              ;   in Loop: Header=BB1879_397 Depth=2
	global_load_u16 v42, v[36:37], off offset:640
.LBB1879_423:                           ;   in Loop: Header=BB1879_397 Depth=2
	s_or_b32 exec_lo, exec_lo, s17
	s_delay_alu instid0(SALU_CYCLE_1)
	s_mov_b32 s17, exec_lo
	v_cmpx_gt_u32_e64 s56, v119
	s_cbranch_execz .LBB1879_425
; %bb.424:                              ;   in Loop: Header=BB1879_397 Depth=2
	global_load_u16 v41, v[36:37], off offset:704
.LBB1879_425:                           ;   in Loop: Header=BB1879_397 Depth=2
	s_or_b32 exec_lo, exec_lo, s17
	s_waitcnt vmcnt(1)
	v_dual_mov_b32 v39, 0x7fff :: v_dual_mov_b32 v40, 0x7fff
	s_mov_b32 s17, exec_lo
	v_cmpx_gt_u32_e64 s56, v120
	s_cbranch_execz .LBB1879_427
; %bb.426:                              ;   in Loop: Header=BB1879_397 Depth=2
	global_load_u16 v40, v[36:37], off offset:768
.LBB1879_427:                           ;   in Loop: Header=BB1879_397 Depth=2
	s_or_b32 exec_lo, exec_lo, s17
	s_delay_alu instid0(SALU_CYCLE_1)
	s_mov_b32 s17, exec_lo
	v_cmpx_gt_u32_e64 s56, v121
	s_cbranch_execz .LBB1879_429
; %bb.428:                              ;   in Loop: Header=BB1879_397 Depth=2
	global_load_u16 v39, v[36:37], off offset:832
.LBB1879_429:                           ;   in Loop: Header=BB1879_397 Depth=2
	s_or_b32 exec_lo, exec_lo, s17
	s_waitcnt vmcnt(0)
	v_mov_b32_e32 v38, 0x7fff
	s_mov_b32 s17, exec_lo
	v_cmpx_gt_u32_e64 s56, v122
	s_cbranch_execz .LBB1879_431
; %bb.430:                              ;   in Loop: Header=BB1879_397 Depth=2
	global_load_u16 v38, v[36:37], off offset:896
.LBB1879_431:                           ;   in Loop: Header=BB1879_397 Depth=2
	s_or_b32 exec_lo, exec_lo, s17
	v_cmp_gt_u32_e64 s20, s56, v123
	s_sub_i32 s17, s53, s34
	s_movk_i32 s21, 0x7fff
	s_mov_b64 s[18:19], s[34:35]
	v_dual_mov_b32 v36, s21 :: v_dual_mov_b32 v145, s56
	s_and_saveexec_b32 s21, s20
	s_cbranch_execz .LBB1879_433
.LBB1879_432:                           ;   in Loop: Header=BB1879_397 Depth=2
	s_lshl_b64 s[18:19], s[18:19], 1
	v_mov_b32_e32 v145, s17
	v_add_co_u32 v36, vcc_lo, v127, s18
	v_add_co_ci_u32_e32 v37, vcc_lo, s19, v128, vcc_lo
	global_load_u16 v36, v[36:37], off
.LBB1879_433:                           ;   in Loop: Header=BB1879_397 Depth=2
	s_or_b32 exec_lo, exec_lo, s21
	s_waitcnt vmcnt(14)
	v_cmp_lt_i16_e32 vcc_lo, -1, v2
	ds_store_b32 v69, v3 offset:1056
	ds_store_2addr_b32 v71, v3, v3 offset0:1 offset1:2
	ds_store_2addr_b32 v71, v3, v3 offset0:3 offset1:4
	;; [unrolled: 1-line block ×4, first 2 shown]
	s_waitcnt vmcnt(0) lgkmcnt(0)
	s_barrier
	v_cndmask_b32_e64 v37, -1, 0xffff8000, vcc_lo
	buffer_gl0_inv
	; wave barrier
	v_xor_b32_e32 v2, v37, v2
	s_delay_alu instid0(VALU_DEP_1) | instskip(SKIP_1) | instid1(VALU_DEP_1)
	v_cmp_ne_u16_e32 vcc_lo, 0x7fff, v2
	v_cndmask_b32_e32 v37, 0xffff8000, v2, vcc_lo
	v_and_b32_e32 v37, 0xffff, v37
	s_delay_alu instid0(VALU_DEP_1) | instskip(NEXT) | instid1(VALU_DEP_1)
	v_lshrrev_b32_e32 v37, s48, v37
	v_and_b32_e32 v148, s55, v37
	s_delay_alu instid0(VALU_DEP_1)
	v_lshlrev_b32_e32 v150, 29, v148
	v_and_b32_e32 v37, 1, v148
	v_lshlrev_b32_e32 v147, 30, v148
	v_lshlrev_b32_e32 v151, 28, v148
	;; [unrolled: 1-line block ×4, first 2 shown]
	v_add_co_u32 v37, s17, v37, -1
	s_delay_alu instid0(VALU_DEP_1)
	v_cndmask_b32_e64 v152, 0, 1, s17
	v_not_b32_e32 v158, v147
	v_cmp_gt_i32_e64 s17, 0, v147
	v_not_b32_e32 v147, v150
	v_lshlrev_b32_e32 v156, 25, v148
	v_cmp_ne_u32_e32 vcc_lo, 0, v152
	v_ashrrev_i32_e32 v158, 31, v158
	v_lshlrev_b32_e32 v152, 24, v148
	v_ashrrev_i32_e32 v147, 31, v147
	v_mad_u32_u24 v148, v148, 9, v126
	v_xor_b32_e32 v37, vcc_lo, v37
	v_cmp_gt_i32_e32 vcc_lo, 0, v150
	v_not_b32_e32 v150, v151
	v_xor_b32_e32 v158, s17, v158
	v_cmp_gt_i32_e64 s17, 0, v151
	v_and_b32_e32 v37, exec_lo, v37
	v_not_b32_e32 v151, v154
	v_ashrrev_i32_e32 v150, 31, v150
	v_xor_b32_e32 v147, vcc_lo, v147
	v_cmp_gt_i32_e32 vcc_lo, 0, v154
	v_and_b32_e32 v37, v37, v158
	v_not_b32_e32 v154, v155
	v_ashrrev_i32_e32 v151, 31, v151
	v_xor_b32_e32 v150, s17, v150
	v_cmp_gt_i32_e64 s17, 0, v155
	v_and_b32_e32 v37, v37, v147
	v_not_b32_e32 v147, v156
	v_ashrrev_i32_e32 v154, 31, v154
	v_xor_b32_e32 v151, vcc_lo, v151
	v_cmp_gt_i32_e32 vcc_lo, 0, v156
	v_and_b32_e32 v37, v37, v150
	v_not_b32_e32 v150, v152
	v_ashrrev_i32_e32 v147, 31, v147
	v_xor_b32_e32 v154, s17, v154
	v_cmp_gt_i32_e64 s17, 0, v152
	v_and_b32_e32 v37, v37, v151
	v_ashrrev_i32_e32 v150, 31, v150
	v_xor_b32_e32 v147, vcc_lo, v147
	v_lshl_add_u32 v148, v148, 2, 0x420
	s_delay_alu instid0(VALU_DEP_4) | instskip(NEXT) | instid1(VALU_DEP_4)
	v_and_b32_e32 v37, v37, v154
	v_xor_b32_e32 v150, s17, v150
	s_delay_alu instid0(VALU_DEP_2) | instskip(NEXT) | instid1(VALU_DEP_1)
	v_and_b32_e32 v37, v37, v147
	v_and_b32_e32 v37, v37, v150
	s_delay_alu instid0(VALU_DEP_1) | instskip(SKIP_1) | instid1(VALU_DEP_2)
	v_mbcnt_lo_u32_b32 v147, v37, 0
	v_cmp_ne_u32_e64 s17, 0, v37
	v_cmp_eq_u32_e32 vcc_lo, 0, v147
	s_delay_alu instid0(VALU_DEP_2) | instskip(NEXT) | instid1(SALU_CYCLE_1)
	s_and_b32 s18, s17, vcc_lo
	s_and_saveexec_b32 s17, s18
	s_cbranch_execz .LBB1879_435
; %bb.434:                              ;   in Loop: Header=BB1879_397 Depth=2
	v_bcnt_u32_b32 v37, v37, 0
	ds_store_b32 v148, v37
.LBB1879_435:                           ;   in Loop: Header=BB1879_397 Depth=2
	s_or_b32 exec_lo, exec_lo, s17
	v_cmp_lt_i16_e64 vcc_lo, -1, v146
	; wave barrier
	s_delay_alu instid0(VALU_DEP_1) | instskip(NEXT) | instid1(VALU_DEP_1)
	v_cndmask_b32_e64 v37, -1, 0xffff8000, vcc_lo
	v_xor_b32_e32 v146, v37, v146
	s_delay_alu instid0(VALU_DEP_1) | instskip(SKIP_1) | instid1(VALU_DEP_1)
	v_cmp_ne_u16_e64 vcc_lo, 0x7fff, v146
	v_cndmask_b32_e32 v37, 0xffff8000, v146, vcc_lo
	v_and_b32_e32 v37, 0xffff, v37
	s_delay_alu instid0(VALU_DEP_1) | instskip(NEXT) | instid1(VALU_DEP_1)
	v_lshrrev_b32_e32 v37, s48, v37
	v_and_b32_e32 v37, s55, v37
	s_delay_alu instid0(VALU_DEP_1)
	v_and_b32_e32 v150, 1, v37
	v_lshlrev_b32_e32 v151, 30, v37
	v_lshlrev_b32_e32 v152, 29, v37
	;; [unrolled: 1-line block ×4, first 2 shown]
	v_add_co_u32 v150, s17, v150, -1
	s_delay_alu instid0(VALU_DEP_1)
	v_cndmask_b32_e64 v155, 0, 1, s17
	v_not_b32_e32 v160, v151
	v_cmp_gt_i32_e64 s17, 0, v151
	v_not_b32_e32 v151, v152
	v_lshlrev_b32_e32 v158, 26, v37
	v_cmp_ne_u32_e32 vcc_lo, 0, v155
	v_ashrrev_i32_e32 v160, 31, v160
	v_lshlrev_b32_e32 v159, 25, v37
	v_ashrrev_i32_e32 v151, 31, v151
	v_lshlrev_b32_e32 v155, 24, v37
	v_xor_b32_e32 v150, vcc_lo, v150
	v_cmp_gt_i32_e32 vcc_lo, 0, v152
	v_not_b32_e32 v152, v154
	v_xor_b32_e32 v160, s17, v160
	v_cmp_gt_i32_e64 s17, 0, v154
	v_and_b32_e32 v150, exec_lo, v150
	v_not_b32_e32 v154, v156
	v_ashrrev_i32_e32 v152, 31, v152
	v_xor_b32_e32 v151, vcc_lo, v151
	v_cmp_gt_i32_e32 vcc_lo, 0, v156
	v_and_b32_e32 v150, v150, v160
	v_not_b32_e32 v156, v158
	v_ashrrev_i32_e32 v154, 31, v154
	v_xor_b32_e32 v152, s17, v152
	v_cmp_gt_i32_e64 s17, 0, v158
	v_and_b32_e32 v150, v150, v151
	v_not_b32_e32 v151, v159
	v_ashrrev_i32_e32 v156, 31, v156
	v_xor_b32_e32 v154, vcc_lo, v154
	v_cmp_gt_i32_e32 vcc_lo, 0, v159
	v_and_b32_e32 v150, v150, v152
	v_not_b32_e32 v152, v155
	v_ashrrev_i32_e32 v151, 31, v151
	v_xor_b32_e32 v156, s17, v156
	v_mul_u32_u24_e32 v37, 9, v37
	v_and_b32_e32 v150, v150, v154
	v_cmp_gt_i32_e64 s17, 0, v155
	v_ashrrev_i32_e32 v152, 31, v152
	v_xor_b32_e32 v151, vcc_lo, v151
	v_add_lshl_u32 v154, v37, v126, 2
	v_and_b32_e32 v150, v150, v156
	s_delay_alu instid0(VALU_DEP_4) | instskip(NEXT) | instid1(VALU_DEP_3)
	v_xor_b32_e32 v37, s17, v152
	v_add_nc_u32_e32 v152, 0x420, v154
	s_delay_alu instid0(VALU_DEP_3) | instskip(SKIP_2) | instid1(VALU_DEP_1)
	v_and_b32_e32 v151, v150, v151
	ds_load_b32 v150, v154 offset:1056
	; wave barrier
	v_and_b32_e32 v37, v151, v37
	v_mbcnt_lo_u32_b32 v151, v37, 0
	v_cmp_ne_u32_e64 s17, 0, v37
	s_delay_alu instid0(VALU_DEP_2) | instskip(NEXT) | instid1(VALU_DEP_2)
	v_cmp_eq_u32_e32 vcc_lo, 0, v151
	s_and_b32 s18, s17, vcc_lo
	s_delay_alu instid0(SALU_CYCLE_1)
	s_and_saveexec_b32 s17, s18
	s_cbranch_execz .LBB1879_437
; %bb.436:                              ;   in Loop: Header=BB1879_397 Depth=2
	s_waitcnt lgkmcnt(0)
	v_bcnt_u32_b32 v37, v37, v150
	ds_store_b32 v152, v37
.LBB1879_437:                           ;   in Loop: Header=BB1879_397 Depth=2
	s_or_b32 exec_lo, exec_lo, s17
	v_cmp_lt_i16_e64 vcc_lo, -1, v149
	; wave barrier
	s_delay_alu instid0(VALU_DEP_1) | instskip(NEXT) | instid1(VALU_DEP_1)
	v_cndmask_b32_e64 v37, -1, 0xffff8000, vcc_lo
	v_xor_b32_e32 v149, v37, v149
	s_delay_alu instid0(VALU_DEP_1) | instskip(SKIP_1) | instid1(VALU_DEP_1)
	v_cmp_ne_u16_e64 vcc_lo, 0x7fff, v149
	v_cndmask_b32_e32 v37, 0xffff8000, v149, vcc_lo
	v_and_b32_e32 v37, 0xffff, v37
	s_delay_alu instid0(VALU_DEP_1) | instskip(NEXT) | instid1(VALU_DEP_1)
	v_lshrrev_b32_e32 v37, s48, v37
	v_and_b32_e32 v37, s55, v37
	s_delay_alu instid0(VALU_DEP_1)
	v_and_b32_e32 v154, 1, v37
	v_lshlrev_b32_e32 v155, 30, v37
	v_lshlrev_b32_e32 v156, 29, v37
	;; [unrolled: 1-line block ×4, first 2 shown]
	v_add_co_u32 v154, s17, v154, -1
	s_delay_alu instid0(VALU_DEP_1)
	v_cndmask_b32_e64 v159, 0, 1, s17
	v_not_b32_e32 v164, v155
	v_cmp_gt_i32_e64 s17, 0, v155
	v_not_b32_e32 v155, v156
	v_lshlrev_b32_e32 v162, 26, v37
	v_cmp_ne_u32_e32 vcc_lo, 0, v159
	v_ashrrev_i32_e32 v164, 31, v164
	v_lshlrev_b32_e32 v163, 25, v37
	v_ashrrev_i32_e32 v155, 31, v155
	v_lshlrev_b32_e32 v159, 24, v37
	v_xor_b32_e32 v154, vcc_lo, v154
	v_cmp_gt_i32_e32 vcc_lo, 0, v156
	v_not_b32_e32 v156, v158
	v_xor_b32_e32 v164, s17, v164
	v_cmp_gt_i32_e64 s17, 0, v158
	v_and_b32_e32 v154, exec_lo, v154
	v_not_b32_e32 v158, v160
	v_ashrrev_i32_e32 v156, 31, v156
	v_xor_b32_e32 v155, vcc_lo, v155
	v_cmp_gt_i32_e32 vcc_lo, 0, v160
	v_and_b32_e32 v154, v154, v164
	v_not_b32_e32 v160, v162
	v_ashrrev_i32_e32 v158, 31, v158
	v_xor_b32_e32 v156, s17, v156
	v_cmp_gt_i32_e64 s17, 0, v162
	v_and_b32_e32 v154, v154, v155
	v_not_b32_e32 v155, v163
	v_ashrrev_i32_e32 v160, 31, v160
	v_xor_b32_e32 v158, vcc_lo, v158
	v_cmp_gt_i32_e32 vcc_lo, 0, v163
	v_and_b32_e32 v154, v154, v156
	v_not_b32_e32 v156, v159
	v_ashrrev_i32_e32 v155, 31, v155
	v_xor_b32_e32 v160, s17, v160
	v_mul_u32_u24_e32 v37, 9, v37
	v_and_b32_e32 v154, v154, v158
	v_cmp_gt_i32_e64 s17, 0, v159
	v_ashrrev_i32_e32 v156, 31, v156
	v_xor_b32_e32 v155, vcc_lo, v155
	v_add_lshl_u32 v158, v37, v126, 2
	v_and_b32_e32 v154, v154, v160
	s_delay_alu instid0(VALU_DEP_4) | instskip(NEXT) | instid1(VALU_DEP_3)
	v_xor_b32_e32 v37, s17, v156
	v_add_nc_u32_e32 v156, 0x420, v158
	s_delay_alu instid0(VALU_DEP_3) | instskip(SKIP_2) | instid1(VALU_DEP_1)
	v_and_b32_e32 v155, v154, v155
	ds_load_b32 v154, v158 offset:1056
	; wave barrier
	v_and_b32_e32 v37, v155, v37
	v_mbcnt_lo_u32_b32 v155, v37, 0
	v_cmp_ne_u32_e64 s17, 0, v37
	s_delay_alu instid0(VALU_DEP_2) | instskip(NEXT) | instid1(VALU_DEP_2)
	v_cmp_eq_u32_e32 vcc_lo, 0, v155
	s_and_b32 s18, s17, vcc_lo
	s_delay_alu instid0(SALU_CYCLE_1)
	s_and_saveexec_b32 s17, s18
	s_cbranch_execz .LBB1879_439
; %bb.438:                              ;   in Loop: Header=BB1879_397 Depth=2
	s_waitcnt lgkmcnt(0)
	v_bcnt_u32_b32 v37, v37, v154
	ds_store_b32 v156, v37
.LBB1879_439:                           ;   in Loop: Header=BB1879_397 Depth=2
	s_or_b32 exec_lo, exec_lo, s17
	v_cmp_lt_i16_e64 vcc_lo, -1, v153
	; wave barrier
	s_delay_alu instid0(VALU_DEP_1) | instskip(NEXT) | instid1(VALU_DEP_1)
	v_cndmask_b32_e64 v37, -1, 0xffff8000, vcc_lo
	v_xor_b32_e32 v153, v37, v153
	s_delay_alu instid0(VALU_DEP_1) | instskip(SKIP_1) | instid1(VALU_DEP_1)
	v_cmp_ne_u16_e64 vcc_lo, 0x7fff, v153
	v_cndmask_b32_e32 v37, 0xffff8000, v153, vcc_lo
	v_and_b32_e32 v37, 0xffff, v37
	s_delay_alu instid0(VALU_DEP_1) | instskip(NEXT) | instid1(VALU_DEP_1)
	v_lshrrev_b32_e32 v37, s48, v37
	v_and_b32_e32 v37, s55, v37
	s_delay_alu instid0(VALU_DEP_1)
	v_and_b32_e32 v158, 1, v37
	v_lshlrev_b32_e32 v159, 30, v37
	v_lshlrev_b32_e32 v160, 29, v37
	;; [unrolled: 1-line block ×4, first 2 shown]
	v_add_co_u32 v158, s17, v158, -1
	s_delay_alu instid0(VALU_DEP_1)
	v_cndmask_b32_e64 v163, 0, 1, s17
	v_not_b32_e32 v168, v159
	v_cmp_gt_i32_e64 s17, 0, v159
	v_not_b32_e32 v159, v160
	v_lshlrev_b32_e32 v166, 26, v37
	v_cmp_ne_u32_e32 vcc_lo, 0, v163
	v_ashrrev_i32_e32 v168, 31, v168
	v_lshlrev_b32_e32 v167, 25, v37
	v_ashrrev_i32_e32 v159, 31, v159
	v_lshlrev_b32_e32 v163, 24, v37
	v_xor_b32_e32 v158, vcc_lo, v158
	v_cmp_gt_i32_e32 vcc_lo, 0, v160
	v_not_b32_e32 v160, v162
	v_xor_b32_e32 v168, s17, v168
	v_cmp_gt_i32_e64 s17, 0, v162
	v_and_b32_e32 v158, exec_lo, v158
	v_not_b32_e32 v162, v164
	v_ashrrev_i32_e32 v160, 31, v160
	v_xor_b32_e32 v159, vcc_lo, v159
	v_cmp_gt_i32_e32 vcc_lo, 0, v164
	v_and_b32_e32 v158, v158, v168
	v_not_b32_e32 v164, v166
	v_ashrrev_i32_e32 v162, 31, v162
	v_xor_b32_e32 v160, s17, v160
	v_cmp_gt_i32_e64 s17, 0, v166
	v_and_b32_e32 v158, v158, v159
	v_not_b32_e32 v159, v167
	v_ashrrev_i32_e32 v164, 31, v164
	v_xor_b32_e32 v162, vcc_lo, v162
	v_cmp_gt_i32_e32 vcc_lo, 0, v167
	v_and_b32_e32 v158, v158, v160
	v_not_b32_e32 v160, v163
	v_ashrrev_i32_e32 v159, 31, v159
	v_xor_b32_e32 v164, s17, v164
	v_mul_u32_u24_e32 v37, 9, v37
	v_and_b32_e32 v158, v158, v162
	v_cmp_gt_i32_e64 s17, 0, v163
	v_ashrrev_i32_e32 v160, 31, v160
	v_xor_b32_e32 v159, vcc_lo, v159
	v_add_lshl_u32 v162, v37, v126, 2
	v_and_b32_e32 v158, v158, v164
	s_delay_alu instid0(VALU_DEP_4) | instskip(NEXT) | instid1(VALU_DEP_3)
	v_xor_b32_e32 v37, s17, v160
	v_add_nc_u32_e32 v160, 0x420, v162
	s_delay_alu instid0(VALU_DEP_3) | instskip(SKIP_2) | instid1(VALU_DEP_1)
	v_and_b32_e32 v159, v158, v159
	ds_load_b32 v158, v162 offset:1056
	; wave barrier
	v_and_b32_e32 v37, v159, v37
	v_mbcnt_lo_u32_b32 v159, v37, 0
	v_cmp_ne_u32_e64 s17, 0, v37
	s_delay_alu instid0(VALU_DEP_2) | instskip(NEXT) | instid1(VALU_DEP_2)
	v_cmp_eq_u32_e32 vcc_lo, 0, v159
	s_and_b32 s18, s17, vcc_lo
	s_delay_alu instid0(SALU_CYCLE_1)
	s_and_saveexec_b32 s17, s18
	s_cbranch_execz .LBB1879_441
; %bb.440:                              ;   in Loop: Header=BB1879_397 Depth=2
	s_waitcnt lgkmcnt(0)
	v_bcnt_u32_b32 v37, v37, v158
	ds_store_b32 v160, v37
.LBB1879_441:                           ;   in Loop: Header=BB1879_397 Depth=2
	s_or_b32 exec_lo, exec_lo, s17
	v_cmp_lt_i16_e64 vcc_lo, -1, v157
	; wave barrier
	s_delay_alu instid0(VALU_DEP_1) | instskip(NEXT) | instid1(VALU_DEP_1)
	v_cndmask_b32_e64 v37, -1, 0xffff8000, vcc_lo
	v_xor_b32_e32 v157, v37, v157
	s_delay_alu instid0(VALU_DEP_1) | instskip(SKIP_1) | instid1(VALU_DEP_1)
	v_cmp_ne_u16_e64 vcc_lo, 0x7fff, v157
	v_cndmask_b32_e32 v37, 0xffff8000, v157, vcc_lo
	v_and_b32_e32 v37, 0xffff, v37
	s_delay_alu instid0(VALU_DEP_1) | instskip(NEXT) | instid1(VALU_DEP_1)
	v_lshrrev_b32_e32 v37, s48, v37
	v_and_b32_e32 v37, s55, v37
	s_delay_alu instid0(VALU_DEP_1)
	v_and_b32_e32 v162, 1, v37
	v_lshlrev_b32_e32 v163, 30, v37
	v_lshlrev_b32_e32 v164, 29, v37
	;; [unrolled: 1-line block ×4, first 2 shown]
	v_add_co_u32 v162, s17, v162, -1
	s_delay_alu instid0(VALU_DEP_1)
	v_cndmask_b32_e64 v167, 0, 1, s17
	v_not_b32_e32 v173, v163
	v_cmp_gt_i32_e64 s17, 0, v163
	v_not_b32_e32 v163, v164
	v_lshlrev_b32_e32 v171, 26, v37
	v_cmp_ne_u32_e32 vcc_lo, 0, v167
	v_ashrrev_i32_e32 v173, 31, v173
	v_lshlrev_b32_e32 v172, 25, v37
	v_ashrrev_i32_e32 v163, 31, v163
	v_lshlrev_b32_e32 v167, 24, v37
	v_xor_b32_e32 v162, vcc_lo, v162
	v_cmp_gt_i32_e32 vcc_lo, 0, v164
	v_not_b32_e32 v164, v166
	v_xor_b32_e32 v173, s17, v173
	v_cmp_gt_i32_e64 s17, 0, v166
	v_and_b32_e32 v162, exec_lo, v162
	v_not_b32_e32 v166, v168
	v_ashrrev_i32_e32 v164, 31, v164
	v_xor_b32_e32 v163, vcc_lo, v163
	v_cmp_gt_i32_e32 vcc_lo, 0, v168
	v_and_b32_e32 v162, v162, v173
	v_not_b32_e32 v168, v171
	v_ashrrev_i32_e32 v166, 31, v166
	v_xor_b32_e32 v164, s17, v164
	v_cmp_gt_i32_e64 s17, 0, v171
	v_and_b32_e32 v162, v162, v163
	v_not_b32_e32 v163, v172
	v_ashrrev_i32_e32 v168, 31, v168
	v_xor_b32_e32 v166, vcc_lo, v166
	v_cmp_gt_i32_e32 vcc_lo, 0, v172
	v_and_b32_e32 v162, v162, v164
	v_not_b32_e32 v164, v167
	v_ashrrev_i32_e32 v163, 31, v163
	v_xor_b32_e32 v168, s17, v168
	v_mul_u32_u24_e32 v37, 9, v37
	v_and_b32_e32 v162, v162, v166
	v_cmp_gt_i32_e64 s17, 0, v167
	v_ashrrev_i32_e32 v164, 31, v164
	v_xor_b32_e32 v163, vcc_lo, v163
	v_add_lshl_u32 v166, v37, v126, 2
	v_and_b32_e32 v162, v162, v168
	s_delay_alu instid0(VALU_DEP_4) | instskip(NEXT) | instid1(VALU_DEP_3)
	v_xor_b32_e32 v37, s17, v164
	v_add_nc_u32_e32 v164, 0x420, v166
	s_delay_alu instid0(VALU_DEP_3) | instskip(SKIP_2) | instid1(VALU_DEP_1)
	v_and_b32_e32 v163, v162, v163
	ds_load_b32 v162, v166 offset:1056
	; wave barrier
	v_and_b32_e32 v37, v163, v37
	v_mbcnt_lo_u32_b32 v163, v37, 0
	v_cmp_ne_u32_e64 s17, 0, v37
	s_delay_alu instid0(VALU_DEP_2) | instskip(NEXT) | instid1(VALU_DEP_2)
	v_cmp_eq_u32_e32 vcc_lo, 0, v163
	s_and_b32 s18, s17, vcc_lo
	s_delay_alu instid0(SALU_CYCLE_1)
	s_and_saveexec_b32 s17, s18
	s_cbranch_execz .LBB1879_443
; %bb.442:                              ;   in Loop: Header=BB1879_397 Depth=2
	s_waitcnt lgkmcnt(0)
	v_bcnt_u32_b32 v37, v37, v162
	ds_store_b32 v164, v37
.LBB1879_443:                           ;   in Loop: Header=BB1879_397 Depth=2
	s_or_b32 exec_lo, exec_lo, s17
	v_cmp_lt_i16_e64 vcc_lo, -1, v161
	; wave barrier
	s_delay_alu instid0(VALU_DEP_1) | instskip(NEXT) | instid1(VALU_DEP_1)
	v_cndmask_b32_e64 v37, -1, 0xffff8000, vcc_lo
	v_xor_b32_e32 v161, v37, v161
	s_delay_alu instid0(VALU_DEP_1) | instskip(SKIP_1) | instid1(VALU_DEP_1)
	v_cmp_ne_u16_e64 vcc_lo, 0x7fff, v161
	v_cndmask_b32_e32 v37, 0xffff8000, v161, vcc_lo
	v_and_b32_e32 v37, 0xffff, v37
	s_delay_alu instid0(VALU_DEP_1) | instskip(NEXT) | instid1(VALU_DEP_1)
	v_lshrrev_b32_e32 v37, s48, v37
	v_and_b32_e32 v37, s55, v37
	s_delay_alu instid0(VALU_DEP_1)
	v_and_b32_e32 v166, 1, v37
	v_lshlrev_b32_e32 v167, 30, v37
	v_lshlrev_b32_e32 v168, 29, v37
	;; [unrolled: 1-line block ×4, first 2 shown]
	v_add_co_u32 v166, s17, v166, -1
	s_delay_alu instid0(VALU_DEP_1)
	v_cndmask_b32_e64 v172, 0, 1, s17
	v_not_b32_e32 v176, v167
	v_cmp_gt_i32_e64 s17, 0, v167
	v_not_b32_e32 v167, v168
	v_lshlrev_b32_e32 v174, 26, v37
	v_cmp_ne_u32_e32 vcc_lo, 0, v172
	v_ashrrev_i32_e32 v176, 31, v176
	v_lshlrev_b32_e32 v175, 25, v37
	v_ashrrev_i32_e32 v167, 31, v167
	v_lshlrev_b32_e32 v172, 24, v37
	v_xor_b32_e32 v166, vcc_lo, v166
	v_cmp_gt_i32_e32 vcc_lo, 0, v168
	v_not_b32_e32 v168, v171
	v_xor_b32_e32 v176, s17, v176
	v_cmp_gt_i32_e64 s17, 0, v171
	v_and_b32_e32 v166, exec_lo, v166
	v_not_b32_e32 v171, v173
	v_ashrrev_i32_e32 v168, 31, v168
	v_xor_b32_e32 v167, vcc_lo, v167
	v_cmp_gt_i32_e32 vcc_lo, 0, v173
	v_and_b32_e32 v166, v166, v176
	v_not_b32_e32 v173, v174
	v_ashrrev_i32_e32 v171, 31, v171
	v_xor_b32_e32 v168, s17, v168
	v_cmp_gt_i32_e64 s17, 0, v174
	v_and_b32_e32 v166, v166, v167
	v_not_b32_e32 v167, v175
	v_ashrrev_i32_e32 v173, 31, v173
	v_xor_b32_e32 v171, vcc_lo, v171
	v_cmp_gt_i32_e32 vcc_lo, 0, v175
	v_and_b32_e32 v166, v166, v168
	v_not_b32_e32 v168, v172
	v_ashrrev_i32_e32 v167, 31, v167
	v_xor_b32_e32 v173, s17, v173
	v_mul_u32_u24_e32 v37, 9, v37
	v_and_b32_e32 v166, v166, v171
	v_cmp_gt_i32_e64 s17, 0, v172
	v_ashrrev_i32_e32 v168, 31, v168
	v_xor_b32_e32 v167, vcc_lo, v167
	v_add_lshl_u32 v171, v37, v126, 2
	v_and_b32_e32 v166, v166, v173
	s_delay_alu instid0(VALU_DEP_4) | instskip(NEXT) | instid1(VALU_DEP_3)
	v_xor_b32_e32 v37, s17, v168
	v_add_nc_u32_e32 v168, 0x420, v171
	s_delay_alu instid0(VALU_DEP_3) | instskip(SKIP_2) | instid1(VALU_DEP_1)
	v_and_b32_e32 v167, v166, v167
	ds_load_b32 v166, v171 offset:1056
	; wave barrier
	v_and_b32_e32 v37, v167, v37
	v_mbcnt_lo_u32_b32 v167, v37, 0
	v_cmp_ne_u32_e64 s17, 0, v37
	s_delay_alu instid0(VALU_DEP_2) | instskip(NEXT) | instid1(VALU_DEP_2)
	v_cmp_eq_u32_e32 vcc_lo, 0, v167
	s_and_b32 s18, s17, vcc_lo
	s_delay_alu instid0(SALU_CYCLE_1)
	s_and_saveexec_b32 s17, s18
	s_cbranch_execz .LBB1879_445
; %bb.444:                              ;   in Loop: Header=BB1879_397 Depth=2
	s_waitcnt lgkmcnt(0)
	v_bcnt_u32_b32 v37, v37, v166
	ds_store_b32 v168, v37
.LBB1879_445:                           ;   in Loop: Header=BB1879_397 Depth=2
	s_or_b32 exec_lo, exec_lo, s17
	v_cmp_lt_i16_e64 vcc_lo, -1, v165
	; wave barrier
	s_delay_alu instid0(VALU_DEP_1) | instskip(NEXT) | instid1(VALU_DEP_1)
	v_cndmask_b32_e64 v37, -1, 0xffff8000, vcc_lo
	v_xor_b32_e32 v165, v37, v165
	s_delay_alu instid0(VALU_DEP_1) | instskip(SKIP_1) | instid1(VALU_DEP_1)
	v_cmp_ne_u16_e64 vcc_lo, 0x7fff, v165
	v_cndmask_b32_e32 v37, 0xffff8000, v165, vcc_lo
	v_and_b32_e32 v37, 0xffff, v37
	s_delay_alu instid0(VALU_DEP_1) | instskip(NEXT) | instid1(VALU_DEP_1)
	v_lshrrev_b32_e32 v37, s48, v37
	v_and_b32_e32 v37, s55, v37
	s_delay_alu instid0(VALU_DEP_1)
	v_and_b32_e32 v171, 1, v37
	v_lshlrev_b32_e32 v172, 30, v37
	v_lshlrev_b32_e32 v173, 29, v37
	;; [unrolled: 1-line block ×4, first 2 shown]
	v_add_co_u32 v171, s17, v171, -1
	s_delay_alu instid0(VALU_DEP_1)
	v_cndmask_b32_e64 v175, 0, 1, s17
	v_not_b32_e32 v179, v172
	v_cmp_gt_i32_e64 s17, 0, v172
	v_not_b32_e32 v172, v173
	v_lshlrev_b32_e32 v177, 26, v37
	v_cmp_ne_u32_e32 vcc_lo, 0, v175
	v_ashrrev_i32_e32 v179, 31, v179
	v_lshlrev_b32_e32 v178, 25, v37
	v_ashrrev_i32_e32 v172, 31, v172
	v_lshlrev_b32_e32 v175, 24, v37
	v_xor_b32_e32 v171, vcc_lo, v171
	v_cmp_gt_i32_e32 vcc_lo, 0, v173
	v_not_b32_e32 v173, v174
	v_xor_b32_e32 v179, s17, v179
	v_cmp_gt_i32_e64 s17, 0, v174
	v_and_b32_e32 v171, exec_lo, v171
	v_not_b32_e32 v174, v176
	v_ashrrev_i32_e32 v173, 31, v173
	v_xor_b32_e32 v172, vcc_lo, v172
	v_cmp_gt_i32_e32 vcc_lo, 0, v176
	v_and_b32_e32 v171, v171, v179
	v_not_b32_e32 v176, v177
	v_ashrrev_i32_e32 v174, 31, v174
	v_xor_b32_e32 v173, s17, v173
	v_cmp_gt_i32_e64 s17, 0, v177
	v_and_b32_e32 v171, v171, v172
	v_not_b32_e32 v172, v178
	v_ashrrev_i32_e32 v176, 31, v176
	v_xor_b32_e32 v174, vcc_lo, v174
	v_cmp_gt_i32_e32 vcc_lo, 0, v178
	v_and_b32_e32 v171, v171, v173
	v_not_b32_e32 v173, v175
	v_ashrrev_i32_e32 v172, 31, v172
	v_xor_b32_e32 v176, s17, v176
	v_mul_u32_u24_e32 v37, 9, v37
	v_and_b32_e32 v171, v171, v174
	v_cmp_gt_i32_e64 s17, 0, v175
	v_ashrrev_i32_e32 v173, 31, v173
	v_xor_b32_e32 v172, vcc_lo, v172
	v_add_lshl_u32 v174, v37, v126, 2
	v_and_b32_e32 v171, v171, v176
	s_delay_alu instid0(VALU_DEP_4) | instskip(NEXT) | instid1(VALU_DEP_3)
	v_xor_b32_e32 v37, s17, v173
	v_add_nc_u32_e32 v173, 0x420, v174
	s_delay_alu instid0(VALU_DEP_3) | instskip(SKIP_2) | instid1(VALU_DEP_1)
	v_and_b32_e32 v172, v171, v172
	ds_load_b32 v171, v174 offset:1056
	; wave barrier
	v_and_b32_e32 v37, v172, v37
	v_mbcnt_lo_u32_b32 v172, v37, 0
	v_cmp_ne_u32_e64 s17, 0, v37
	s_delay_alu instid0(VALU_DEP_2) | instskip(NEXT) | instid1(VALU_DEP_2)
	v_cmp_eq_u32_e32 vcc_lo, 0, v172
	s_and_b32 s18, s17, vcc_lo
	s_delay_alu instid0(SALU_CYCLE_1)
	s_and_saveexec_b32 s17, s18
	s_cbranch_execz .LBB1879_447
; %bb.446:                              ;   in Loop: Header=BB1879_397 Depth=2
	s_waitcnt lgkmcnt(0)
	v_bcnt_u32_b32 v37, v37, v171
	ds_store_b32 v173, v37
.LBB1879_447:                           ;   in Loop: Header=BB1879_397 Depth=2
	s_or_b32 exec_lo, exec_lo, s17
	v_cmp_lt_i16_e64 vcc_lo, -1, v170
	; wave barrier
	s_delay_alu instid0(VALU_DEP_1) | instskip(NEXT) | instid1(VALU_DEP_1)
	v_cndmask_b32_e64 v37, -1, 0xffff8000, vcc_lo
	v_xor_b32_e32 v170, v37, v170
	s_delay_alu instid0(VALU_DEP_1) | instskip(SKIP_1) | instid1(VALU_DEP_1)
	v_cmp_ne_u16_e64 vcc_lo, 0x7fff, v170
	v_cndmask_b32_e32 v37, 0xffff8000, v170, vcc_lo
	v_and_b32_e32 v37, 0xffff, v37
	s_delay_alu instid0(VALU_DEP_1) | instskip(NEXT) | instid1(VALU_DEP_1)
	v_lshrrev_b32_e32 v37, s48, v37
	v_and_b32_e32 v37, s55, v37
	s_delay_alu instid0(VALU_DEP_1)
	v_and_b32_e32 v174, 1, v37
	v_lshlrev_b32_e32 v175, 30, v37
	v_lshlrev_b32_e32 v176, 29, v37
	;; [unrolled: 1-line block ×4, first 2 shown]
	v_add_co_u32 v174, s17, v174, -1
	s_delay_alu instid0(VALU_DEP_1)
	v_cndmask_b32_e64 v178, 0, 1, s17
	v_not_b32_e32 v182, v175
	v_cmp_gt_i32_e64 s17, 0, v175
	v_not_b32_e32 v175, v176
	v_lshlrev_b32_e32 v180, 26, v37
	v_cmp_ne_u32_e32 vcc_lo, 0, v178
	v_ashrrev_i32_e32 v182, 31, v182
	v_lshlrev_b32_e32 v181, 25, v37
	v_ashrrev_i32_e32 v175, 31, v175
	v_lshlrev_b32_e32 v178, 24, v37
	v_xor_b32_e32 v174, vcc_lo, v174
	v_cmp_gt_i32_e32 vcc_lo, 0, v176
	v_not_b32_e32 v176, v177
	v_xor_b32_e32 v182, s17, v182
	v_cmp_gt_i32_e64 s17, 0, v177
	v_and_b32_e32 v174, exec_lo, v174
	v_not_b32_e32 v177, v179
	v_ashrrev_i32_e32 v176, 31, v176
	v_xor_b32_e32 v175, vcc_lo, v175
	v_cmp_gt_i32_e32 vcc_lo, 0, v179
	v_and_b32_e32 v174, v174, v182
	v_not_b32_e32 v179, v180
	v_ashrrev_i32_e32 v177, 31, v177
	v_xor_b32_e32 v176, s17, v176
	v_cmp_gt_i32_e64 s17, 0, v180
	v_and_b32_e32 v174, v174, v175
	v_not_b32_e32 v175, v181
	v_ashrrev_i32_e32 v179, 31, v179
	v_xor_b32_e32 v177, vcc_lo, v177
	v_cmp_gt_i32_e32 vcc_lo, 0, v181
	v_and_b32_e32 v174, v174, v176
	v_not_b32_e32 v176, v178
	v_ashrrev_i32_e32 v175, 31, v175
	v_xor_b32_e32 v179, s17, v179
	v_mul_u32_u24_e32 v37, 9, v37
	v_and_b32_e32 v174, v174, v177
	v_cmp_gt_i32_e64 s17, 0, v178
	v_ashrrev_i32_e32 v176, 31, v176
	v_xor_b32_e32 v175, vcc_lo, v175
	v_add_lshl_u32 v177, v37, v126, 2
	v_and_b32_e32 v174, v174, v179
	s_delay_alu instid0(VALU_DEP_4) | instskip(NEXT) | instid1(VALU_DEP_3)
	v_xor_b32_e32 v37, s17, v176
	v_add_nc_u32_e32 v176, 0x420, v177
	s_delay_alu instid0(VALU_DEP_3) | instskip(SKIP_2) | instid1(VALU_DEP_1)
	v_and_b32_e32 v175, v174, v175
	ds_load_b32 v174, v177 offset:1056
	; wave barrier
	v_and_b32_e32 v37, v175, v37
	v_mbcnt_lo_u32_b32 v175, v37, 0
	v_cmp_ne_u32_e64 s17, 0, v37
	s_delay_alu instid0(VALU_DEP_2) | instskip(NEXT) | instid1(VALU_DEP_2)
	v_cmp_eq_u32_e32 vcc_lo, 0, v175
	s_and_b32 s18, s17, vcc_lo
	s_delay_alu instid0(SALU_CYCLE_1)
	s_and_saveexec_b32 s17, s18
	s_cbranch_execz .LBB1879_449
; %bb.448:                              ;   in Loop: Header=BB1879_397 Depth=2
	s_waitcnt lgkmcnt(0)
	v_bcnt_u32_b32 v37, v37, v174
	ds_store_b32 v176, v37
.LBB1879_449:                           ;   in Loop: Header=BB1879_397 Depth=2
	s_or_b32 exec_lo, exec_lo, s17
	v_cmp_lt_i16_e64 vcc_lo, -1, v169
	; wave barrier
	s_delay_alu instid0(VALU_DEP_1) | instskip(NEXT) | instid1(VALU_DEP_1)
	v_cndmask_b32_e64 v37, -1, 0xffff8000, vcc_lo
	v_xor_b32_e32 v169, v37, v169
	s_delay_alu instid0(VALU_DEP_1) | instskip(SKIP_1) | instid1(VALU_DEP_1)
	v_cmp_ne_u16_e64 vcc_lo, 0x7fff, v169
	v_cndmask_b32_e32 v37, 0xffff8000, v169, vcc_lo
	v_and_b32_e32 v37, 0xffff, v37
	s_delay_alu instid0(VALU_DEP_1) | instskip(NEXT) | instid1(VALU_DEP_1)
	v_lshrrev_b32_e32 v37, s48, v37
	v_and_b32_e32 v37, s55, v37
	s_delay_alu instid0(VALU_DEP_1)
	v_and_b32_e32 v177, 1, v37
	v_lshlrev_b32_e32 v178, 30, v37
	v_lshlrev_b32_e32 v179, 29, v37
	;; [unrolled: 1-line block ×4, first 2 shown]
	v_add_co_u32 v177, s17, v177, -1
	s_delay_alu instid0(VALU_DEP_1)
	v_cndmask_b32_e64 v181, 0, 1, s17
	v_not_b32_e32 v185, v178
	v_cmp_gt_i32_e64 s17, 0, v178
	v_not_b32_e32 v178, v179
	v_lshlrev_b32_e32 v183, 26, v37
	v_cmp_ne_u32_e32 vcc_lo, 0, v181
	v_ashrrev_i32_e32 v185, 31, v185
	v_lshlrev_b32_e32 v184, 25, v37
	v_ashrrev_i32_e32 v178, 31, v178
	v_lshlrev_b32_e32 v181, 24, v37
	v_xor_b32_e32 v177, vcc_lo, v177
	v_cmp_gt_i32_e32 vcc_lo, 0, v179
	v_not_b32_e32 v179, v180
	v_xor_b32_e32 v185, s17, v185
	v_cmp_gt_i32_e64 s17, 0, v180
	v_and_b32_e32 v177, exec_lo, v177
	v_not_b32_e32 v180, v182
	v_ashrrev_i32_e32 v179, 31, v179
	v_xor_b32_e32 v178, vcc_lo, v178
	v_cmp_gt_i32_e32 vcc_lo, 0, v182
	v_and_b32_e32 v177, v177, v185
	v_not_b32_e32 v182, v183
	v_ashrrev_i32_e32 v180, 31, v180
	v_xor_b32_e32 v179, s17, v179
	v_cmp_gt_i32_e64 s17, 0, v183
	v_and_b32_e32 v177, v177, v178
	v_not_b32_e32 v178, v184
	v_ashrrev_i32_e32 v182, 31, v182
	v_xor_b32_e32 v180, vcc_lo, v180
	v_cmp_gt_i32_e32 vcc_lo, 0, v184
	v_and_b32_e32 v177, v177, v179
	v_not_b32_e32 v179, v181
	v_ashrrev_i32_e32 v178, 31, v178
	v_xor_b32_e32 v182, s17, v182
	v_mul_u32_u24_e32 v37, 9, v37
	v_and_b32_e32 v177, v177, v180
	v_cmp_gt_i32_e64 s17, 0, v181
	v_ashrrev_i32_e32 v179, 31, v179
	v_xor_b32_e32 v178, vcc_lo, v178
	v_add_lshl_u32 v180, v37, v126, 2
	v_and_b32_e32 v177, v177, v182
	s_delay_alu instid0(VALU_DEP_4) | instskip(NEXT) | instid1(VALU_DEP_2)
	v_xor_b32_e32 v37, s17, v179
	v_and_b32_e32 v177, v177, v178
	ds_load_b32 v178, v180 offset:1056
	v_add_nc_u32_e32 v180, 0x420, v180
	; wave barrier
	v_and_b32_e32 v37, v177, v37
	s_delay_alu instid0(VALU_DEP_1) | instskip(SKIP_1) | instid1(VALU_DEP_2)
	v_mbcnt_lo_u32_b32 v179, v37, 0
	v_cmp_ne_u32_e64 s17, 0, v37
	v_cmp_eq_u32_e32 vcc_lo, 0, v179
	s_delay_alu instid0(VALU_DEP_2) | instskip(NEXT) | instid1(SALU_CYCLE_1)
	s_and_b32 s18, s17, vcc_lo
	s_and_saveexec_b32 s17, s18
	s_cbranch_execz .LBB1879_451
; %bb.450:                              ;   in Loop: Header=BB1879_397 Depth=2
	s_waitcnt lgkmcnt(0)
	v_bcnt_u32_b32 v37, v37, v178
	ds_store_b32 v180, v37
.LBB1879_451:                           ;   in Loop: Header=BB1879_397 Depth=2
	s_or_b32 exec_lo, exec_lo, s17
	v_cmp_lt_i16_e32 vcc_lo, -1, v43
	; wave barrier
	v_cndmask_b32_e64 v37, -1, 0xffff8000, vcc_lo
	s_delay_alu instid0(VALU_DEP_1) | instskip(NEXT) | instid1(VALU_DEP_1)
	v_xor_b32_e32 v177, v37, v43
	v_cmp_ne_u16_e64 vcc_lo, 0x7fff, v177
	v_cndmask_b32_e32 v37, 0xffff8000, v177, vcc_lo
	s_delay_alu instid0(VALU_DEP_1) | instskip(NEXT) | instid1(VALU_DEP_1)
	v_and_b32_e32 v37, 0xffff, v37
	v_lshrrev_b32_e32 v37, s48, v37
	s_delay_alu instid0(VALU_DEP_1) | instskip(NEXT) | instid1(VALU_DEP_1)
	v_and_b32_e32 v37, s55, v37
	v_and_b32_e32 v43, 1, v37
	v_lshlrev_b32_e32 v181, 30, v37
	v_lshlrev_b32_e32 v182, 29, v37
	;; [unrolled: 1-line block ×4, first 2 shown]
	v_add_co_u32 v43, s17, v43, -1
	s_delay_alu instid0(VALU_DEP_1)
	v_cndmask_b32_e64 v184, 0, 1, s17
	v_not_b32_e32 v188, v181
	v_cmp_gt_i32_e64 s17, 0, v181
	v_not_b32_e32 v181, v182
	v_lshlrev_b32_e32 v186, 26, v37
	v_cmp_ne_u32_e32 vcc_lo, 0, v184
	v_ashrrev_i32_e32 v188, 31, v188
	v_lshlrev_b32_e32 v187, 25, v37
	v_ashrrev_i32_e32 v181, 31, v181
	v_lshlrev_b32_e32 v184, 24, v37
	v_xor_b32_e32 v43, vcc_lo, v43
	v_cmp_gt_i32_e32 vcc_lo, 0, v182
	v_not_b32_e32 v182, v183
	v_xor_b32_e32 v188, s17, v188
	v_cmp_gt_i32_e64 s17, 0, v183
	v_and_b32_e32 v43, exec_lo, v43
	v_not_b32_e32 v183, v185
	v_ashrrev_i32_e32 v182, 31, v182
	v_xor_b32_e32 v181, vcc_lo, v181
	v_cmp_gt_i32_e32 vcc_lo, 0, v185
	v_and_b32_e32 v43, v43, v188
	v_not_b32_e32 v185, v186
	v_ashrrev_i32_e32 v183, 31, v183
	v_xor_b32_e32 v182, s17, v182
	v_cmp_gt_i32_e64 s17, 0, v186
	v_and_b32_e32 v43, v43, v181
	v_not_b32_e32 v181, v187
	v_ashrrev_i32_e32 v185, 31, v185
	v_xor_b32_e32 v183, vcc_lo, v183
	v_cmp_gt_i32_e32 vcc_lo, 0, v187
	v_and_b32_e32 v43, v43, v182
	v_not_b32_e32 v182, v184
	v_ashrrev_i32_e32 v181, 31, v181
	v_xor_b32_e32 v185, s17, v185
	v_mul_u32_u24_e32 v37, 9, v37
	v_and_b32_e32 v43, v43, v183
	v_cmp_gt_i32_e64 s17, 0, v184
	v_ashrrev_i32_e32 v182, 31, v182
	v_xor_b32_e32 v181, vcc_lo, v181
	v_add_lshl_u32 v184, v37, v126, 2
	v_and_b32_e32 v43, v43, v185
	s_delay_alu instid0(VALU_DEP_4) | instskip(SKIP_3) | instid1(VALU_DEP_2)
	v_xor_b32_e32 v37, s17, v182
	ds_load_b32 v182, v184 offset:1056
	v_and_b32_e32 v43, v43, v181
	v_add_nc_u32_e32 v184, 0x420, v184
	; wave barrier
	v_and_b32_e32 v37, v43, v37
	s_delay_alu instid0(VALU_DEP_1) | instskip(SKIP_1) | instid1(VALU_DEP_2)
	v_mbcnt_lo_u32_b32 v183, v37, 0
	v_cmp_ne_u32_e64 s17, 0, v37
	v_cmp_eq_u32_e32 vcc_lo, 0, v183
	s_delay_alu instid0(VALU_DEP_2) | instskip(NEXT) | instid1(SALU_CYCLE_1)
	s_and_b32 s18, s17, vcc_lo
	s_and_saveexec_b32 s17, s18
	s_cbranch_execz .LBB1879_453
; %bb.452:                              ;   in Loop: Header=BB1879_397 Depth=2
	s_waitcnt lgkmcnt(0)
	v_bcnt_u32_b32 v37, v37, v182
	ds_store_b32 v184, v37
.LBB1879_453:                           ;   in Loop: Header=BB1879_397 Depth=2
	s_or_b32 exec_lo, exec_lo, s17
	v_cmp_lt_i16_e32 vcc_lo, -1, v42
	; wave barrier
	v_cndmask_b32_e64 v37, -1, 0xffff8000, vcc_lo
	s_delay_alu instid0(VALU_DEP_1) | instskip(NEXT) | instid1(VALU_DEP_1)
	v_xor_b32_e32 v181, v37, v42
	v_cmp_ne_u16_e64 vcc_lo, 0x7fff, v181
	v_cndmask_b32_e32 v37, 0xffff8000, v181, vcc_lo
	s_delay_alu instid0(VALU_DEP_1) | instskip(NEXT) | instid1(VALU_DEP_1)
	v_and_b32_e32 v37, 0xffff, v37
	v_lshrrev_b32_e32 v37, s48, v37
	s_delay_alu instid0(VALU_DEP_1) | instskip(NEXT) | instid1(VALU_DEP_1)
	v_and_b32_e32 v37, s55, v37
	v_and_b32_e32 v42, 1, v37
	v_lshlrev_b32_e32 v43, 30, v37
	v_lshlrev_b32_e32 v185, 29, v37
	;; [unrolled: 1-line block ×4, first 2 shown]
	v_add_co_u32 v42, s17, v42, -1
	s_delay_alu instid0(VALU_DEP_1)
	v_cndmask_b32_e64 v187, 0, 1, s17
	v_not_b32_e32 v191, v43
	v_cmp_gt_i32_e64 s17, 0, v43
	v_not_b32_e32 v43, v185
	v_lshlrev_b32_e32 v189, 26, v37
	v_cmp_ne_u32_e32 vcc_lo, 0, v187
	v_ashrrev_i32_e32 v191, 31, v191
	v_lshlrev_b32_e32 v190, 25, v37
	v_ashrrev_i32_e32 v43, 31, v43
	v_lshlrev_b32_e32 v187, 24, v37
	v_xor_b32_e32 v42, vcc_lo, v42
	v_cmp_gt_i32_e32 vcc_lo, 0, v185
	v_not_b32_e32 v185, v186
	v_xor_b32_e32 v191, s17, v191
	v_cmp_gt_i32_e64 s17, 0, v186
	v_and_b32_e32 v42, exec_lo, v42
	v_not_b32_e32 v186, v188
	v_ashrrev_i32_e32 v185, 31, v185
	v_xor_b32_e32 v43, vcc_lo, v43
	v_cmp_gt_i32_e32 vcc_lo, 0, v188
	v_and_b32_e32 v42, v42, v191
	v_not_b32_e32 v188, v189
	v_ashrrev_i32_e32 v186, 31, v186
	v_xor_b32_e32 v185, s17, v185
	v_cmp_gt_i32_e64 s17, 0, v189
	v_and_b32_e32 v42, v42, v43
	v_not_b32_e32 v43, v190
	v_ashrrev_i32_e32 v188, 31, v188
	v_xor_b32_e32 v186, vcc_lo, v186
	v_cmp_gt_i32_e32 vcc_lo, 0, v190
	v_and_b32_e32 v42, v42, v185
	v_not_b32_e32 v185, v187
	v_ashrrev_i32_e32 v43, 31, v43
	v_xor_b32_e32 v188, s17, v188
	v_mul_u32_u24_e32 v37, 9, v37
	v_and_b32_e32 v42, v42, v186
	v_cmp_gt_i32_e64 s17, 0, v187
	v_ashrrev_i32_e32 v185, 31, v185
	v_xor_b32_e32 v43, vcc_lo, v43
	s_delay_alu instid0(VALU_DEP_4) | instskip(SKIP_1) | instid1(VALU_DEP_4)
	v_and_b32_e32 v42, v42, v188
	v_add_lshl_u32 v188, v37, v126, 2
	v_xor_b32_e32 v37, s17, v185
	s_delay_alu instid0(VALU_DEP_3) | instskip(SKIP_3) | instid1(VALU_DEP_1)
	v_and_b32_e32 v42, v42, v43
	ds_load_b32 v186, v188 offset:1056
	v_add_nc_u32_e32 v188, 0x420, v188
	; wave barrier
	v_and_b32_e32 v37, v42, v37
	v_mbcnt_lo_u32_b32 v187, v37, 0
	v_cmp_ne_u32_e64 s17, 0, v37
	s_delay_alu instid0(VALU_DEP_2) | instskip(NEXT) | instid1(VALU_DEP_2)
	v_cmp_eq_u32_e32 vcc_lo, 0, v187
	s_and_b32 s18, s17, vcc_lo
	s_delay_alu instid0(SALU_CYCLE_1)
	s_and_saveexec_b32 s17, s18
	s_cbranch_execz .LBB1879_455
; %bb.454:                              ;   in Loop: Header=BB1879_397 Depth=2
	s_waitcnt lgkmcnt(0)
	v_bcnt_u32_b32 v37, v37, v186
	ds_store_b32 v188, v37
.LBB1879_455:                           ;   in Loop: Header=BB1879_397 Depth=2
	s_or_b32 exec_lo, exec_lo, s17
	v_cmp_lt_i16_e32 vcc_lo, -1, v41
	; wave barrier
	v_cndmask_b32_e64 v37, -1, 0xffff8000, vcc_lo
	s_delay_alu instid0(VALU_DEP_1) | instskip(NEXT) | instid1(VALU_DEP_1)
	v_xor_b32_e32 v185, v37, v41
	v_cmp_ne_u16_e64 vcc_lo, 0x7fff, v185
	v_cndmask_b32_e32 v37, 0xffff8000, v185, vcc_lo
	s_delay_alu instid0(VALU_DEP_1) | instskip(NEXT) | instid1(VALU_DEP_1)
	v_and_b32_e32 v37, 0xffff, v37
	v_lshrrev_b32_e32 v37, s48, v37
	s_delay_alu instid0(VALU_DEP_1) | instskip(NEXT) | instid1(VALU_DEP_1)
	v_and_b32_e32 v37, s55, v37
	v_and_b32_e32 v41, 1, v37
	v_lshlrev_b32_e32 v42, 30, v37
	v_lshlrev_b32_e32 v43, 29, v37
	;; [unrolled: 1-line block ×4, first 2 shown]
	v_add_co_u32 v41, s17, v41, -1
	s_delay_alu instid0(VALU_DEP_1)
	v_cndmask_b32_e64 v190, 0, 1, s17
	v_not_b32_e32 v194, v42
	v_cmp_gt_i32_e64 s17, 0, v42
	v_not_b32_e32 v42, v43
	v_lshlrev_b32_e32 v192, 26, v37
	v_cmp_ne_u32_e32 vcc_lo, 0, v190
	v_ashrrev_i32_e32 v194, 31, v194
	v_lshlrev_b32_e32 v193, 25, v37
	v_ashrrev_i32_e32 v42, 31, v42
	v_lshlrev_b32_e32 v190, 24, v37
	v_xor_b32_e32 v41, vcc_lo, v41
	v_cmp_gt_i32_e32 vcc_lo, 0, v43
	v_not_b32_e32 v43, v189
	v_xor_b32_e32 v194, s17, v194
	v_cmp_gt_i32_e64 s17, 0, v189
	v_and_b32_e32 v41, exec_lo, v41
	v_not_b32_e32 v189, v191
	v_ashrrev_i32_e32 v43, 31, v43
	v_xor_b32_e32 v42, vcc_lo, v42
	v_cmp_gt_i32_e32 vcc_lo, 0, v191
	v_and_b32_e32 v41, v41, v194
	v_not_b32_e32 v191, v192
	v_ashrrev_i32_e32 v189, 31, v189
	v_xor_b32_e32 v43, s17, v43
	v_cmp_gt_i32_e64 s17, 0, v192
	v_and_b32_e32 v41, v41, v42
	v_not_b32_e32 v42, v193
	v_ashrrev_i32_e32 v191, 31, v191
	v_xor_b32_e32 v189, vcc_lo, v189
	v_cmp_gt_i32_e32 vcc_lo, 0, v193
	v_and_b32_e32 v41, v41, v43
	v_not_b32_e32 v43, v190
	v_ashrrev_i32_e32 v42, 31, v42
	v_xor_b32_e32 v191, s17, v191
	v_mul_u32_u24_e32 v37, 9, v37
	v_and_b32_e32 v41, v41, v189
	v_cmp_gt_i32_e64 s17, 0, v190
	v_ashrrev_i32_e32 v43, 31, v43
	v_xor_b32_e32 v42, vcc_lo, v42
	v_add_lshl_u32 v189, v37, v126, 2
	v_and_b32_e32 v41, v41, v191
	s_delay_alu instid0(VALU_DEP_4) | instskip(SKIP_3) | instid1(VALU_DEP_2)
	v_xor_b32_e32 v37, s17, v43
	ds_load_b32 v190, v189 offset:1056
	v_and_b32_e32 v41, v41, v42
	v_add_nc_u32_e32 v192, 0x420, v189
	; wave barrier
	v_and_b32_e32 v37, v41, v37
	s_delay_alu instid0(VALU_DEP_1) | instskip(SKIP_1) | instid1(VALU_DEP_2)
	v_mbcnt_lo_u32_b32 v191, v37, 0
	v_cmp_ne_u32_e64 s17, 0, v37
	v_cmp_eq_u32_e32 vcc_lo, 0, v191
	s_delay_alu instid0(VALU_DEP_2) | instskip(NEXT) | instid1(SALU_CYCLE_1)
	s_and_b32 s18, s17, vcc_lo
	s_and_saveexec_b32 s17, s18
	s_cbranch_execz .LBB1879_457
; %bb.456:                              ;   in Loop: Header=BB1879_397 Depth=2
	s_waitcnt lgkmcnt(0)
	v_bcnt_u32_b32 v37, v37, v190
	ds_store_b32 v192, v37
.LBB1879_457:                           ;   in Loop: Header=BB1879_397 Depth=2
	s_or_b32 exec_lo, exec_lo, s17
	v_cmp_lt_i16_e32 vcc_lo, -1, v40
	; wave barrier
	v_cndmask_b32_e64 v37, -1, 0xffff8000, vcc_lo
	s_delay_alu instid0(VALU_DEP_1) | instskip(NEXT) | instid1(VALU_DEP_1)
	v_xor_b32_e32 v189, v37, v40
	v_cmp_ne_u16_e64 vcc_lo, 0x7fff, v189
	v_cndmask_b32_e32 v37, 0xffff8000, v189, vcc_lo
	s_delay_alu instid0(VALU_DEP_1) | instskip(NEXT) | instid1(VALU_DEP_1)
	v_and_b32_e32 v37, 0xffff, v37
	v_lshrrev_b32_e32 v37, s48, v37
	s_delay_alu instid0(VALU_DEP_1) | instskip(NEXT) | instid1(VALU_DEP_1)
	v_and_b32_e32 v37, s55, v37
	v_and_b32_e32 v40, 1, v37
	v_lshlrev_b32_e32 v41, 30, v37
	v_lshlrev_b32_e32 v42, 29, v37
	;; [unrolled: 1-line block ×4, first 2 shown]
	v_add_co_u32 v40, s17, v40, -1
	s_delay_alu instid0(VALU_DEP_1)
	v_cndmask_b32_e64 v193, 0, 1, s17
	v_not_b32_e32 v197, v41
	v_cmp_gt_i32_e64 s17, 0, v41
	v_not_b32_e32 v41, v42
	v_lshlrev_b32_e32 v195, 26, v37
	v_cmp_ne_u32_e32 vcc_lo, 0, v193
	v_ashrrev_i32_e32 v197, 31, v197
	v_lshlrev_b32_e32 v196, 25, v37
	v_ashrrev_i32_e32 v41, 31, v41
	v_lshlrev_b32_e32 v193, 24, v37
	v_xor_b32_e32 v40, vcc_lo, v40
	v_cmp_gt_i32_e32 vcc_lo, 0, v42
	v_not_b32_e32 v42, v43
	v_xor_b32_e32 v197, s17, v197
	v_cmp_gt_i32_e64 s17, 0, v43
	v_and_b32_e32 v40, exec_lo, v40
	v_not_b32_e32 v43, v194
	v_ashrrev_i32_e32 v42, 31, v42
	v_xor_b32_e32 v41, vcc_lo, v41
	v_cmp_gt_i32_e32 vcc_lo, 0, v194
	v_and_b32_e32 v40, v40, v197
	v_not_b32_e32 v194, v195
	v_ashrrev_i32_e32 v43, 31, v43
	v_xor_b32_e32 v42, s17, v42
	v_cmp_gt_i32_e64 s17, 0, v195
	v_and_b32_e32 v40, v40, v41
	v_not_b32_e32 v41, v196
	v_ashrrev_i32_e32 v194, 31, v194
	v_xor_b32_e32 v43, vcc_lo, v43
	v_cmp_gt_i32_e32 vcc_lo, 0, v196
	v_and_b32_e32 v40, v40, v42
	v_not_b32_e32 v42, v193
	v_ashrrev_i32_e32 v41, 31, v41
	v_xor_b32_e32 v194, s17, v194
	v_mul_u32_u24_e32 v37, 9, v37
	v_and_b32_e32 v40, v40, v43
	v_cmp_gt_i32_e64 s17, 0, v193
	v_ashrrev_i32_e32 v42, 31, v42
	v_xor_b32_e32 v41, vcc_lo, v41
	v_add_lshl_u32 v43, v37, v126, 2
	v_and_b32_e32 v40, v40, v194
	s_delay_alu instid0(VALU_DEP_4) | instskip(SKIP_3) | instid1(VALU_DEP_2)
	v_xor_b32_e32 v37, s17, v42
	ds_load_b32 v194, v43 offset:1056
	v_and_b32_e32 v40, v40, v41
	v_add_nc_u32_e32 v196, 0x420, v43
	; wave barrier
	v_and_b32_e32 v37, v40, v37
	s_delay_alu instid0(VALU_DEP_1) | instskip(SKIP_1) | instid1(VALU_DEP_2)
	v_mbcnt_lo_u32_b32 v195, v37, 0
	v_cmp_ne_u32_e64 s17, 0, v37
	v_cmp_eq_u32_e32 vcc_lo, 0, v195
	s_delay_alu instid0(VALU_DEP_2) | instskip(NEXT) | instid1(SALU_CYCLE_1)
	s_and_b32 s18, s17, vcc_lo
	s_and_saveexec_b32 s17, s18
	s_cbranch_execz .LBB1879_459
; %bb.458:                              ;   in Loop: Header=BB1879_397 Depth=2
	s_waitcnt lgkmcnt(0)
	v_bcnt_u32_b32 v37, v37, v194
	ds_store_b32 v196, v37
.LBB1879_459:                           ;   in Loop: Header=BB1879_397 Depth=2
	s_or_b32 exec_lo, exec_lo, s17
	v_cmp_lt_i16_e32 vcc_lo, -1, v39
	; wave barrier
	v_cndmask_b32_e64 v37, -1, 0xffff8000, vcc_lo
	s_delay_alu instid0(VALU_DEP_1) | instskip(NEXT) | instid1(VALU_DEP_1)
	v_xor_b32_e32 v193, v37, v39
	v_cmp_ne_u16_e64 vcc_lo, 0x7fff, v193
	v_cndmask_b32_e32 v37, 0xffff8000, v193, vcc_lo
	s_delay_alu instid0(VALU_DEP_1) | instskip(NEXT) | instid1(VALU_DEP_1)
	v_and_b32_e32 v37, 0xffff, v37
	v_lshrrev_b32_e32 v37, s48, v37
	s_delay_alu instid0(VALU_DEP_1) | instskip(NEXT) | instid1(VALU_DEP_1)
	v_and_b32_e32 v37, s55, v37
	v_and_b32_e32 v39, 1, v37
	v_lshlrev_b32_e32 v40, 30, v37
	v_lshlrev_b32_e32 v41, 29, v37
	v_lshlrev_b32_e32 v42, 28, v37
	v_lshlrev_b32_e32 v197, 27, v37
	v_add_co_u32 v39, s17, v39, -1
	s_delay_alu instid0(VALU_DEP_1)
	v_cndmask_b32_e64 v43, 0, 1, s17
	v_not_b32_e32 v200, v40
	v_cmp_gt_i32_e64 s17, 0, v40
	v_not_b32_e32 v40, v41
	v_lshlrev_b32_e32 v198, 26, v37
	v_cmp_ne_u32_e32 vcc_lo, 0, v43
	v_ashrrev_i32_e32 v200, 31, v200
	v_lshlrev_b32_e32 v199, 25, v37
	v_ashrrev_i32_e32 v40, 31, v40
	v_lshlrev_b32_e32 v43, 24, v37
	v_xor_b32_e32 v39, vcc_lo, v39
	v_cmp_gt_i32_e32 vcc_lo, 0, v41
	v_not_b32_e32 v41, v42
	v_xor_b32_e32 v200, s17, v200
	v_cmp_gt_i32_e64 s17, 0, v42
	v_and_b32_e32 v39, exec_lo, v39
	v_not_b32_e32 v42, v197
	v_ashrrev_i32_e32 v41, 31, v41
	v_xor_b32_e32 v40, vcc_lo, v40
	v_cmp_gt_i32_e32 vcc_lo, 0, v197
	v_and_b32_e32 v39, v39, v200
	v_not_b32_e32 v197, v198
	v_ashrrev_i32_e32 v42, 31, v42
	v_xor_b32_e32 v41, s17, v41
	v_cmp_gt_i32_e64 s17, 0, v198
	v_and_b32_e32 v39, v39, v40
	v_not_b32_e32 v40, v199
	v_ashrrev_i32_e32 v197, 31, v197
	v_xor_b32_e32 v42, vcc_lo, v42
	v_cmp_gt_i32_e32 vcc_lo, 0, v199
	v_and_b32_e32 v39, v39, v41
	v_not_b32_e32 v41, v43
	v_ashrrev_i32_e32 v40, 31, v40
	v_xor_b32_e32 v197, s17, v197
	v_mul_u32_u24_e32 v37, 9, v37
	v_and_b32_e32 v39, v39, v42
	v_cmp_gt_i32_e64 s17, 0, v43
	v_ashrrev_i32_e32 v41, 31, v41
	v_xor_b32_e32 v40, vcc_lo, v40
	v_add_lshl_u32 v42, v37, v126, 2
	v_and_b32_e32 v39, v39, v197
	s_delay_alu instid0(VALU_DEP_4) | instskip(SKIP_3) | instid1(VALU_DEP_2)
	v_xor_b32_e32 v37, s17, v41
	ds_load_b32 v198, v42 offset:1056
	v_and_b32_e32 v39, v39, v40
	v_add_nc_u32_e32 v200, 0x420, v42
	; wave barrier
	v_and_b32_e32 v37, v39, v37
	s_delay_alu instid0(VALU_DEP_1) | instskip(SKIP_1) | instid1(VALU_DEP_2)
	v_mbcnt_lo_u32_b32 v199, v37, 0
	v_cmp_ne_u32_e64 s17, 0, v37
	v_cmp_eq_u32_e32 vcc_lo, 0, v199
	s_delay_alu instid0(VALU_DEP_2) | instskip(NEXT) | instid1(SALU_CYCLE_1)
	s_and_b32 s18, s17, vcc_lo
	s_and_saveexec_b32 s17, s18
	s_cbranch_execz .LBB1879_461
; %bb.460:                              ;   in Loop: Header=BB1879_397 Depth=2
	s_waitcnt lgkmcnt(0)
	v_bcnt_u32_b32 v37, v37, v198
	ds_store_b32 v200, v37
.LBB1879_461:                           ;   in Loop: Header=BB1879_397 Depth=2
	s_or_b32 exec_lo, exec_lo, s17
	v_cmp_lt_i16_e32 vcc_lo, -1, v38
	; wave barrier
	v_cndmask_b32_e64 v37, -1, 0xffff8000, vcc_lo
	s_delay_alu instid0(VALU_DEP_1) | instskip(NEXT) | instid1(VALU_DEP_1)
	v_xor_b32_e32 v197, v37, v38
	v_cmp_ne_u16_e64 vcc_lo, 0x7fff, v197
	v_cndmask_b32_e32 v37, 0xffff8000, v197, vcc_lo
	s_delay_alu instid0(VALU_DEP_1) | instskip(NEXT) | instid1(VALU_DEP_1)
	v_and_b32_e32 v37, 0xffff, v37
	v_lshrrev_b32_e32 v37, s48, v37
	s_delay_alu instid0(VALU_DEP_1) | instskip(NEXT) | instid1(VALU_DEP_1)
	v_and_b32_e32 v37, s55, v37
	v_and_b32_e32 v38, 1, v37
	v_lshlrev_b32_e32 v39, 30, v37
	v_lshlrev_b32_e32 v40, 29, v37
	;; [unrolled: 1-line block ×4, first 2 shown]
	v_add_co_u32 v38, s17, v38, -1
	s_delay_alu instid0(VALU_DEP_1)
	v_cndmask_b32_e64 v42, 0, 1, s17
	v_not_b32_e32 v203, v39
	v_cmp_gt_i32_e64 s17, 0, v39
	v_not_b32_e32 v39, v40
	v_lshlrev_b32_e32 v201, 26, v37
	v_cmp_ne_u32_e32 vcc_lo, 0, v42
	v_ashrrev_i32_e32 v203, 31, v203
	v_lshlrev_b32_e32 v202, 25, v37
	v_ashrrev_i32_e32 v39, 31, v39
	v_lshlrev_b32_e32 v42, 24, v37
	v_xor_b32_e32 v38, vcc_lo, v38
	v_cmp_gt_i32_e32 vcc_lo, 0, v40
	v_not_b32_e32 v40, v41
	v_xor_b32_e32 v203, s17, v203
	v_cmp_gt_i32_e64 s17, 0, v41
	v_and_b32_e32 v38, exec_lo, v38
	v_not_b32_e32 v41, v43
	v_ashrrev_i32_e32 v40, 31, v40
	v_xor_b32_e32 v39, vcc_lo, v39
	v_cmp_gt_i32_e32 vcc_lo, 0, v43
	v_and_b32_e32 v38, v38, v203
	v_not_b32_e32 v43, v201
	v_ashrrev_i32_e32 v41, 31, v41
	v_xor_b32_e32 v40, s17, v40
	v_cmp_gt_i32_e64 s17, 0, v201
	v_and_b32_e32 v38, v38, v39
	v_not_b32_e32 v39, v202
	v_ashrrev_i32_e32 v43, 31, v43
	v_xor_b32_e32 v41, vcc_lo, v41
	v_cmp_gt_i32_e32 vcc_lo, 0, v202
	v_and_b32_e32 v38, v38, v40
	v_not_b32_e32 v40, v42
	v_ashrrev_i32_e32 v39, 31, v39
	v_xor_b32_e32 v43, s17, v43
	v_mul_u32_u24_e32 v37, 9, v37
	v_and_b32_e32 v38, v38, v41
	v_cmp_gt_i32_e64 s17, 0, v42
	v_ashrrev_i32_e32 v40, 31, v40
	v_xor_b32_e32 v39, vcc_lo, v39
	v_add_lshl_u32 v41, v37, v126, 2
	v_and_b32_e32 v38, v38, v43
	s_delay_alu instid0(VALU_DEP_4) | instskip(SKIP_3) | instid1(VALU_DEP_2)
	v_xor_b32_e32 v37, s17, v40
	ds_load_b32 v202, v41 offset:1056
	v_and_b32_e32 v38, v38, v39
	v_add_nc_u32_e32 v204, 0x420, v41
	; wave barrier
	v_and_b32_e32 v37, v38, v37
	s_delay_alu instid0(VALU_DEP_1) | instskip(SKIP_1) | instid1(VALU_DEP_2)
	v_mbcnt_lo_u32_b32 v203, v37, 0
	v_cmp_ne_u32_e64 s17, 0, v37
	v_cmp_eq_u32_e32 vcc_lo, 0, v203
	s_delay_alu instid0(VALU_DEP_2) | instskip(NEXT) | instid1(SALU_CYCLE_1)
	s_and_b32 s18, s17, vcc_lo
	s_and_saveexec_b32 s17, s18
	s_cbranch_execz .LBB1879_463
; %bb.462:                              ;   in Loop: Header=BB1879_397 Depth=2
	s_waitcnt lgkmcnt(0)
	v_bcnt_u32_b32 v37, v37, v202
	ds_store_b32 v204, v37
.LBB1879_463:                           ;   in Loop: Header=BB1879_397 Depth=2
	s_or_b32 exec_lo, exec_lo, s17
	v_cmp_lt_i16_e32 vcc_lo, -1, v36
	; wave barrier
	v_cndmask_b32_e64 v37, -1, 0xffff8000, vcc_lo
	s_delay_alu instid0(VALU_DEP_1) | instskip(NEXT) | instid1(VALU_DEP_1)
	v_xor_b32_e32 v201, v37, v36
	v_cmp_ne_u16_e64 vcc_lo, 0x7fff, v201
	v_cndmask_b32_e32 v36, 0xffff8000, v201, vcc_lo
	s_delay_alu instid0(VALU_DEP_1) | instskip(NEXT) | instid1(VALU_DEP_1)
	v_and_b32_e32 v36, 0xffff, v36
	v_lshrrev_b32_e32 v36, s48, v36
	s_delay_alu instid0(VALU_DEP_1) | instskip(NEXT) | instid1(VALU_DEP_1)
	v_and_b32_e32 v36, s55, v36
	v_and_b32_e32 v37, 1, v36
	v_lshlrev_b32_e32 v38, 30, v36
	v_lshlrev_b32_e32 v39, 29, v36
	;; [unrolled: 1-line block ×4, first 2 shown]
	v_add_co_u32 v37, s17, v37, -1
	s_delay_alu instid0(VALU_DEP_1)
	v_cndmask_b32_e64 v41, 0, 1, s17
	v_not_b32_e32 v206, v38
	v_cmp_gt_i32_e64 s17, 0, v38
	v_not_b32_e32 v38, v39
	v_lshlrev_b32_e32 v43, 26, v36
	v_cmp_ne_u32_e32 vcc_lo, 0, v41
	v_ashrrev_i32_e32 v206, 31, v206
	v_lshlrev_b32_e32 v205, 25, v36
	v_ashrrev_i32_e32 v38, 31, v38
	v_lshlrev_b32_e32 v41, 24, v36
	v_xor_b32_e32 v37, vcc_lo, v37
	v_cmp_gt_i32_e32 vcc_lo, 0, v39
	v_not_b32_e32 v39, v40
	v_xor_b32_e32 v206, s17, v206
	v_cmp_gt_i32_e64 s17, 0, v40
	v_and_b32_e32 v37, exec_lo, v37
	v_not_b32_e32 v40, v42
	v_ashrrev_i32_e32 v39, 31, v39
	v_xor_b32_e32 v38, vcc_lo, v38
	v_cmp_gt_i32_e32 vcc_lo, 0, v42
	v_and_b32_e32 v37, v37, v206
	v_not_b32_e32 v42, v43
	v_ashrrev_i32_e32 v40, 31, v40
	v_xor_b32_e32 v39, s17, v39
	v_cmp_gt_i32_e64 s17, 0, v43
	v_and_b32_e32 v37, v37, v38
	v_not_b32_e32 v38, v205
	v_ashrrev_i32_e32 v42, 31, v42
	v_xor_b32_e32 v40, vcc_lo, v40
	v_cmp_gt_i32_e32 vcc_lo, 0, v205
	v_and_b32_e32 v37, v37, v39
	v_not_b32_e32 v39, v41
	v_ashrrev_i32_e32 v38, 31, v38
	v_xor_b32_e32 v42, s17, v42
	v_mul_u32_u24_e32 v36, 9, v36
	v_and_b32_e32 v37, v37, v40
	v_cmp_gt_i32_e64 s17, 0, v41
	v_ashrrev_i32_e32 v39, 31, v39
	v_xor_b32_e32 v38, vcc_lo, v38
	v_add_lshl_u32 v40, v36, v126, 2
	v_and_b32_e32 v37, v37, v42
	s_delay_alu instid0(VALU_DEP_4) | instskip(SKIP_3) | instid1(VALU_DEP_2)
	v_xor_b32_e32 v36, s17, v39
	ds_load_b32 v205, v40 offset:1056
	v_and_b32_e32 v37, v37, v38
	v_add_nc_u32_e32 v207, 0x420, v40
	; wave barrier
	v_and_b32_e32 v36, v37, v36
	s_delay_alu instid0(VALU_DEP_1) | instskip(SKIP_1) | instid1(VALU_DEP_2)
	v_mbcnt_lo_u32_b32 v206, v36, 0
	v_cmp_ne_u32_e64 s17, 0, v36
	v_cmp_eq_u32_e32 vcc_lo, 0, v206
	s_delay_alu instid0(VALU_DEP_2) | instskip(NEXT) | instid1(SALU_CYCLE_1)
	s_and_b32 s18, s17, vcc_lo
	s_and_saveexec_b32 s17, s18
	s_cbranch_execz .LBB1879_465
; %bb.464:                              ;   in Loop: Header=BB1879_397 Depth=2
	s_waitcnt lgkmcnt(0)
	v_bcnt_u32_b32 v36, v36, v205
	ds_store_b32 v207, v36
.LBB1879_465:                           ;   in Loop: Header=BB1879_397 Depth=2
	s_or_b32 exec_lo, exec_lo, s17
	; wave barrier
	s_waitcnt lgkmcnt(0)
	s_barrier
	buffer_gl0_inv
	ds_load_b32 v208, v69 offset:1056
	ds_load_2addr_b32 v[42:43], v71 offset0:1 offset1:2
	ds_load_2addr_b32 v[40:41], v71 offset0:3 offset1:4
	;; [unrolled: 1-line block ×4, first 2 shown]
	s_waitcnt lgkmcnt(3)
	v_add3_u32 v209, v42, v208, v43
	s_waitcnt lgkmcnt(2)
	s_delay_alu instid0(VALU_DEP_1) | instskip(SKIP_1) | instid1(VALU_DEP_1)
	v_add3_u32 v209, v209, v40, v41
	s_waitcnt lgkmcnt(1)
	v_add3_u32 v209, v209, v36, v37
	s_waitcnt lgkmcnt(0)
	s_delay_alu instid0(VALU_DEP_1) | instskip(NEXT) | instid1(VALU_DEP_1)
	v_add3_u32 v39, v209, v38, v39
	v_mov_b32_dpp v209, v39 row_shr:1 row_mask:0xf bank_mask:0xf
	s_delay_alu instid0(VALU_DEP_1) | instskip(NEXT) | instid1(VALU_DEP_1)
	v_cndmask_b32_e64 v209, v209, 0, s0
	v_add_nc_u32_e32 v39, v209, v39
	s_delay_alu instid0(VALU_DEP_1) | instskip(NEXT) | instid1(VALU_DEP_1)
	v_mov_b32_dpp v209, v39 row_shr:2 row_mask:0xf bank_mask:0xf
	v_cndmask_b32_e64 v209, 0, v209, s1
	s_delay_alu instid0(VALU_DEP_1) | instskip(NEXT) | instid1(VALU_DEP_1)
	v_add_nc_u32_e32 v39, v39, v209
	v_mov_b32_dpp v209, v39 row_shr:4 row_mask:0xf bank_mask:0xf
	s_delay_alu instid0(VALU_DEP_1) | instskip(NEXT) | instid1(VALU_DEP_1)
	v_cndmask_b32_e64 v209, 0, v209, s8
	v_add_nc_u32_e32 v39, v39, v209
	s_delay_alu instid0(VALU_DEP_1) | instskip(NEXT) | instid1(VALU_DEP_1)
	v_mov_b32_dpp v209, v39 row_shr:8 row_mask:0xf bank_mask:0xf
	v_cndmask_b32_e64 v209, 0, v209, s9
	s_delay_alu instid0(VALU_DEP_1) | instskip(SKIP_3) | instid1(VALU_DEP_1)
	v_add_nc_u32_e32 v39, v39, v209
	ds_swizzle_b32 v209, v39 offset:swizzle(BROADCAST,32,15)
	s_waitcnt lgkmcnt(0)
	v_cndmask_b32_e64 v209, v209, 0, s10
	v_add_nc_u32_e32 v39, v39, v209
	s_and_saveexec_b32 s17, s3
	s_cbranch_execz .LBB1879_467
; %bb.466:                              ;   in Loop: Header=BB1879_397 Depth=2
	ds_store_b32 v62, v39 offset:1024
.LBB1879_467:                           ;   in Loop: Header=BB1879_397 Depth=2
	s_or_b32 exec_lo, exec_lo, s17
	s_waitcnt lgkmcnt(0)
	s_barrier
	buffer_gl0_inv
	s_and_saveexec_b32 s17, s4
	s_cbranch_execz .LBB1879_469
; %bb.468:                              ;   in Loop: Header=BB1879_397 Depth=2
	ds_load_b32 v209, v72 offset:1024
	s_waitcnt lgkmcnt(0)
	v_mov_b32_dpp v210, v209 row_shr:1 row_mask:0xf bank_mask:0xf
	s_delay_alu instid0(VALU_DEP_1) | instskip(NEXT) | instid1(VALU_DEP_1)
	v_cndmask_b32_e64 v210, v210, 0, s12
	v_add_nc_u32_e32 v209, v210, v209
	s_delay_alu instid0(VALU_DEP_1) | instskip(NEXT) | instid1(VALU_DEP_1)
	v_mov_b32_dpp v210, v209 row_shr:2 row_mask:0xf bank_mask:0xf
	v_cndmask_b32_e64 v210, 0, v210, s13
	s_delay_alu instid0(VALU_DEP_1) | instskip(NEXT) | instid1(VALU_DEP_1)
	v_add_nc_u32_e32 v209, v209, v210
	v_mov_b32_dpp v210, v209 row_shr:4 row_mask:0xf bank_mask:0xf
	s_delay_alu instid0(VALU_DEP_1) | instskip(NEXT) | instid1(VALU_DEP_1)
	v_cndmask_b32_e64 v210, 0, v210, s16
	v_add_nc_u32_e32 v209, v209, v210
	ds_store_b32 v72, v209 offset:1024
.LBB1879_469:                           ;   in Loop: Header=BB1879_397 Depth=2
	s_or_b32 exec_lo, exec_lo, s17
	v_mov_b32_e32 v209, 0
	s_waitcnt lgkmcnt(0)
	s_barrier
	buffer_gl0_inv
	s_and_saveexec_b32 s17, s5
	s_cbranch_execz .LBB1879_471
; %bb.470:                              ;   in Loop: Header=BB1879_397 Depth=2
	ds_load_b32 v209, v62 offset:1020
.LBB1879_471:                           ;   in Loop: Header=BB1879_397 Depth=2
	s_or_b32 exec_lo, exec_lo, s17
	s_waitcnt lgkmcnt(0)
	v_add_nc_u32_e32 v39, v209, v39
	ds_bpermute_b32 v39, v105, v39
	s_waitcnt lgkmcnt(0)
	v_cndmask_b32_e64 v39, v39, v209, s11
	s_delay_alu instid0(VALU_DEP_1) | instskip(NEXT) | instid1(VALU_DEP_1)
	v_cndmask_b32_e64 v39, v39, 0, s6
	v_add_nc_u32_e32 v208, v39, v208
	s_delay_alu instid0(VALU_DEP_1) | instskip(NEXT) | instid1(VALU_DEP_1)
	v_add_nc_u32_e32 v42, v208, v42
	v_add_nc_u32_e32 v43, v42, v43
	s_delay_alu instid0(VALU_DEP_1) | instskip(NEXT) | instid1(VALU_DEP_1)
	v_add_nc_u32_e32 v40, v43, v40
	;; [unrolled: 3-line block ×3, first 2 shown]
	v_add_nc_u32_e32 v37, v36, v37
	s_delay_alu instid0(VALU_DEP_1)
	v_add_nc_u32_e32 v38, v37, v38
	ds_store_b32 v69, v39 offset:1056
	ds_store_2addr_b32 v71, v208, v42 offset0:1 offset1:2
	ds_store_2addr_b32 v71, v43, v40 offset0:3 offset1:4
	;; [unrolled: 1-line block ×4, first 2 shown]
	v_mov_b32_e32 v38, 0x1000
	s_waitcnt lgkmcnt(0)
	s_barrier
	buffer_gl0_inv
	ds_load_b32 v39, v152
	ds_load_b32 v40, v156
	ds_load_b32 v42, v160
	ds_load_b32 v43, v164
	ds_load_b32 v152, v168
	ds_load_b32 v173, v173
	ds_load_b32 v176, v176
	ds_load_b32 v180, v180
	ds_load_b32 v184, v184
	ds_load_b32 v188, v188
	ds_load_b32 v192, v192
	ds_load_b32 v196, v196
	ds_load_b32 v36, v200
	ds_load_b32 v37, v204
	ds_load_b32 v41, v207
	ds_load_b32 v148, v148
	ds_load_b32 v156, v69 offset:1056
	s_and_saveexec_b32 s17, s7
	s_cbranch_execz .LBB1879_473
; %bb.472:                              ;   in Loop: Header=BB1879_397 Depth=2
	ds_load_b32 v38, v73 offset:1056
.LBB1879_473:                           ;   in Loop: Header=BB1879_397 Depth=2
	s_or_b32 exec_lo, exec_lo, s17
	s_waitcnt lgkmcnt(0)
	s_barrier
	buffer_gl0_inv
	s_and_saveexec_b32 s17, s2
	s_cbranch_execz .LBB1879_475
; %bb.474:                              ;   in Loop: Header=BB1879_397 Depth=2
	ds_load_b32 v160, v44
	s_waitcnt lgkmcnt(0)
	v_sub_nc_u32_e32 v156, v160, v156
	ds_store_b32 v44, v156
.LBB1879_475:                           ;   in Loop: Header=BB1879_397 Depth=2
	s_or_b32 exec_lo, exec_lo, s17
	v_add_nc_u32_e32 v168, v148, v147
	v_add3_u32 v164, v151, v150, v39
	v_add3_u32 v160, v155, v154, v40
	;; [unrolled: 1-line block ×5, first 2 shown]
	v_lshlrev_b32_e32 v158, 1, v168
	v_add3_u32 v43, v199, v198, v36
	v_lshlrev_b32_e32 v36, 1, v164
	v_add3_u32 v152, v172, v171, v173
	v_add3_u32 v151, v175, v174, v176
	ds_store_b16 v158, v2 offset:1024
	v_lshlrev_b32_e32 v2, 1, v160
	ds_store_b16 v36, v146 offset:1024
	v_lshlrev_b32_e32 v36, 1, v154
	v_add3_u32 v150, v179, v178, v180
	v_add3_u32 v42, v203, v202, v37
	v_lshlrev_b32_e32 v37, 1, v156
	v_add3_u32 v148, v183, v182, v184
	v_lshlrev_b32_e32 v158, 1, v155
	v_add3_u32 v147, v187, v186, v188
	v_add3_u32 v40, v191, v190, v192
	ds_store_b16 v2, v149 offset:1024
	ds_store_b16 v37, v153 offset:1024
	;; [unrolled: 1-line block ×3, first 2 shown]
	v_lshlrev_b32_e32 v2, 1, v152
	ds_store_b16 v36, v161 offset:1024
	v_lshlrev_b32_e32 v36, 1, v151
	v_lshlrev_b32_e32 v37, 1, v150
	;; [unrolled: 1-line block ×3, first 2 shown]
	v_add3_u32 v39, v195, v194, v196
	v_add3_u32 v41, v206, v205, v41
	ds_store_b16 v2, v165 offset:1024
	v_lshlrev_b32_e32 v2, 1, v147
	ds_store_b16 v36, v170 offset:1024
	ds_store_b16 v37, v169 offset:1024
	;; [unrolled: 1-line block ×3, first 2 shown]
	v_lshlrev_b32_e32 v36, 1, v40
	v_cmp_lt_u32_e32 vcc_lo, v1, v145
	v_lshlrev_b32_e32 v37, 1, v43
	ds_store_b16 v2, v181 offset:1024
	v_lshlrev_b32_e32 v2, 1, v39
	ds_store_b16 v36, v185 offset:1024
	v_lshlrev_b32_e32 v36, 1, v41
	v_lshlrev_b32_e32 v146, 1, v42
	ds_store_b16 v2, v189 offset:1024
	ds_store_b16 v37, v193 offset:1024
	;; [unrolled: 1-line block ×4, first 2 shown]
	s_waitcnt lgkmcnt(0)
	s_barrier
	buffer_gl0_inv
	s_and_saveexec_b32 s18, vcc_lo
	s_cbranch_execz .LBB1879_491
; %bb.476:                              ;   in Loop: Header=BB1879_397 Depth=2
	v_add_nc_u32_e32 v2, v72, v78
	ds_load_u16 v146, v2 offset:1024
	s_waitcnt lgkmcnt(0)
	v_cmp_ne_u16_e64 s17, 0x7fff, v146
	s_delay_alu instid0(VALU_DEP_1) | instskip(SKIP_1) | instid1(VALU_DEP_2)
	v_cndmask_b32_e64 v2, 0xffff8000, v146, s17
	v_cmp_lt_i16_e64 s17, -1, v146
	v_and_b32_e32 v2, 0xffff, v2
	s_delay_alu instid0(VALU_DEP_2) | instskip(NEXT) | instid1(VALU_DEP_2)
	v_cndmask_b32_e64 v149, 0xffff8000, -1, s17
	v_lshrrev_b32_e32 v2, s48, v2
	s_delay_alu instid0(VALU_DEP_1) | instskip(NEXT) | instid1(VALU_DEP_1)
	v_and_b32_e32 v2, s55, v2
	v_lshlrev_b32_e32 v2, 2, v2
	ds_load_b32 v2, v2
	s_waitcnt lgkmcnt(0)
	v_add_nc_u32_e32 v2, v2, v1
	s_delay_alu instid0(VALU_DEP_1) | instskip(SKIP_1) | instid1(VALU_DEP_2)
	v_lshlrev_b64 v[36:37], 1, v[2:3]
	v_xor_b32_e32 v2, v149, v146
	v_add_co_u32 v36, s17, s40, v36
	s_delay_alu instid0(VALU_DEP_1) | instskip(SKIP_3) | instid1(VALU_DEP_1)
	v_add_co_ci_u32_e64 v37, s17, s41, v37, s17
	global_store_b16 v[36:37], v2, off
	s_or_b32 exec_lo, exec_lo, s18
	v_cmp_lt_u32_e64 s17, v45, v145
	s_and_saveexec_b32 s19, s17
	s_cbranch_execnz .LBB1879_492
.LBB1879_477:                           ;   in Loop: Header=BB1879_397 Depth=2
	s_or_b32 exec_lo, exec_lo, s19
	v_cmp_lt_u32_e64 s18, v46, v145
	s_delay_alu instid0(VALU_DEP_1)
	s_and_saveexec_b32 s20, s18
	s_cbranch_execz .LBB1879_493
.LBB1879_478:                           ;   in Loop: Header=BB1879_397 Depth=2
	ds_load_u16 v146, v79 offset:1024
	s_waitcnt lgkmcnt(0)
	v_cmp_ne_u16_e64 s19, 0x7fff, v146
	s_delay_alu instid0(VALU_DEP_1) | instskip(SKIP_1) | instid1(VALU_DEP_2)
	v_cndmask_b32_e64 v2, 0xffff8000, v146, s19
	v_cmp_lt_i16_e64 s19, -1, v146
	v_and_b32_e32 v2, 0xffff, v2
	s_delay_alu instid0(VALU_DEP_2) | instskip(NEXT) | instid1(VALU_DEP_2)
	v_cndmask_b32_e64 v149, 0xffff8000, -1, s19
	v_lshrrev_b32_e32 v2, s48, v2
	s_delay_alu instid0(VALU_DEP_1) | instskip(NEXT) | instid1(VALU_DEP_1)
	v_and_b32_e32 v2, s55, v2
	v_lshlrev_b32_e32 v2, 2, v2
	ds_load_b32 v2, v2
	s_waitcnt lgkmcnt(0)
	v_add_nc_u32_e32 v2, v2, v46
	s_delay_alu instid0(VALU_DEP_1) | instskip(SKIP_1) | instid1(VALU_DEP_2)
	v_lshlrev_b64 v[36:37], 1, v[2:3]
	v_xor_b32_e32 v2, v149, v146
	v_add_co_u32 v36, s19, s40, v36
	s_delay_alu instid0(VALU_DEP_1) | instskip(SKIP_3) | instid1(VALU_DEP_1)
	v_add_co_ci_u32_e64 v37, s19, s41, v37, s19
	global_store_b16 v[36:37], v2, off
	s_or_b32 exec_lo, exec_lo, s20
	v_cmp_lt_u32_e64 s19, v47, v145
	s_and_saveexec_b32 s21, s19
	s_cbranch_execnz .LBB1879_494
.LBB1879_479:                           ;   in Loop: Header=BB1879_397 Depth=2
	s_or_b32 exec_lo, exec_lo, s21
	v_cmp_lt_u32_e64 s20, v51, v145
	s_delay_alu instid0(VALU_DEP_1)
	s_and_saveexec_b32 s22, s20
	s_cbranch_execz .LBB1879_495
.LBB1879_480:                           ;   in Loop: Header=BB1879_397 Depth=2
	ds_load_u16 v146, v79 offset:2048
	s_waitcnt lgkmcnt(0)
	v_cmp_ne_u16_e64 s21, 0x7fff, v146
	s_delay_alu instid0(VALU_DEP_1) | instskip(SKIP_1) | instid1(VALU_DEP_2)
	v_cndmask_b32_e64 v2, 0xffff8000, v146, s21
	v_cmp_lt_i16_e64 s21, -1, v146
	v_and_b32_e32 v2, 0xffff, v2
	s_delay_alu instid0(VALU_DEP_2) | instskip(NEXT) | instid1(VALU_DEP_2)
	v_cndmask_b32_e64 v149, 0xffff8000, -1, s21
	v_lshrrev_b32_e32 v2, s48, v2
	s_delay_alu instid0(VALU_DEP_1) | instskip(NEXT) | instid1(VALU_DEP_1)
	v_and_b32_e32 v2, s55, v2
	v_lshlrev_b32_e32 v2, 2, v2
	ds_load_b32 v2, v2
	s_waitcnt lgkmcnt(0)
	v_add_nc_u32_e32 v2, v2, v51
	s_delay_alu instid0(VALU_DEP_1) | instskip(SKIP_1) | instid1(VALU_DEP_2)
	v_lshlrev_b64 v[36:37], 1, v[2:3]
	v_xor_b32_e32 v2, v149, v146
	v_add_co_u32 v36, s21, s40, v36
	s_delay_alu instid0(VALU_DEP_1) | instskip(SKIP_3) | instid1(VALU_DEP_1)
	v_add_co_ci_u32_e64 v37, s21, s41, v37, s21
	global_store_b16 v[36:37], v2, off
	s_or_b32 exec_lo, exec_lo, s22
	v_cmp_lt_u32_e64 s21, v52, v145
	s_and_saveexec_b32 s23, s21
	s_cbranch_execnz .LBB1879_496
.LBB1879_481:                           ;   in Loop: Header=BB1879_397 Depth=2
	s_or_b32 exec_lo, exec_lo, s23
	v_cmp_lt_u32_e64 s22, v53, v145
	s_delay_alu instid0(VALU_DEP_1)
	s_and_saveexec_b32 s24, s22
	s_cbranch_execz .LBB1879_497
.LBB1879_482:                           ;   in Loop: Header=BB1879_397 Depth=2
	ds_load_u16 v146, v79 offset:3072
	s_waitcnt lgkmcnt(0)
	v_cmp_ne_u16_e64 s23, 0x7fff, v146
	s_delay_alu instid0(VALU_DEP_1) | instskip(SKIP_1) | instid1(VALU_DEP_2)
	v_cndmask_b32_e64 v2, 0xffff8000, v146, s23
	v_cmp_lt_i16_e64 s23, -1, v146
	v_and_b32_e32 v2, 0xffff, v2
	s_delay_alu instid0(VALU_DEP_2) | instskip(NEXT) | instid1(VALU_DEP_2)
	v_cndmask_b32_e64 v149, 0xffff8000, -1, s23
	v_lshrrev_b32_e32 v2, s48, v2
	s_delay_alu instid0(VALU_DEP_1) | instskip(NEXT) | instid1(VALU_DEP_1)
	v_and_b32_e32 v2, s55, v2
	v_lshlrev_b32_e32 v2, 2, v2
	ds_load_b32 v2, v2
	s_waitcnt lgkmcnt(0)
	v_add_nc_u32_e32 v2, v2, v53
	s_delay_alu instid0(VALU_DEP_1) | instskip(SKIP_1) | instid1(VALU_DEP_2)
	v_lshlrev_b64 v[36:37], 1, v[2:3]
	v_xor_b32_e32 v2, v149, v146
	v_add_co_u32 v36, s23, s40, v36
	s_delay_alu instid0(VALU_DEP_1) | instskip(SKIP_3) | instid1(VALU_DEP_1)
	v_add_co_ci_u32_e64 v37, s23, s41, v37, s23
	global_store_b16 v[36:37], v2, off
	s_or_b32 exec_lo, exec_lo, s24
	v_cmp_lt_u32_e64 s23, v54, v145
	s_and_saveexec_b32 s25, s23
	s_cbranch_execnz .LBB1879_498
.LBB1879_483:                           ;   in Loop: Header=BB1879_397 Depth=2
	s_or_b32 exec_lo, exec_lo, s25
	v_cmp_lt_u32_e64 s24, v55, v145
	s_delay_alu instid0(VALU_DEP_1)
	s_and_saveexec_b32 s26, s24
	s_cbranch_execz .LBB1879_499
.LBB1879_484:                           ;   in Loop: Header=BB1879_397 Depth=2
	ds_load_u16 v146, v79 offset:4096
	s_waitcnt lgkmcnt(0)
	v_cmp_ne_u16_e64 s25, 0x7fff, v146
	s_delay_alu instid0(VALU_DEP_1) | instskip(SKIP_1) | instid1(VALU_DEP_2)
	v_cndmask_b32_e64 v2, 0xffff8000, v146, s25
	v_cmp_lt_i16_e64 s25, -1, v146
	v_and_b32_e32 v2, 0xffff, v2
	s_delay_alu instid0(VALU_DEP_2) | instskip(NEXT) | instid1(VALU_DEP_2)
	v_cndmask_b32_e64 v149, 0xffff8000, -1, s25
	v_lshrrev_b32_e32 v2, s48, v2
	s_delay_alu instid0(VALU_DEP_1) | instskip(NEXT) | instid1(VALU_DEP_1)
	v_and_b32_e32 v2, s55, v2
	v_lshlrev_b32_e32 v2, 2, v2
	ds_load_b32 v2, v2
	s_waitcnt lgkmcnt(0)
	v_add_nc_u32_e32 v2, v2, v55
	s_delay_alu instid0(VALU_DEP_1) | instskip(SKIP_1) | instid1(VALU_DEP_2)
	v_lshlrev_b64 v[36:37], 1, v[2:3]
	v_xor_b32_e32 v2, v149, v146
	v_add_co_u32 v36, s25, s40, v36
	s_delay_alu instid0(VALU_DEP_1) | instskip(SKIP_3) | instid1(VALU_DEP_1)
	v_add_co_ci_u32_e64 v37, s25, s41, v37, s25
	global_store_b16 v[36:37], v2, off
	s_or_b32 exec_lo, exec_lo, s26
	v_cmp_lt_u32_e64 s25, v56, v145
	s_and_saveexec_b32 s27, s25
	s_cbranch_execnz .LBB1879_500
.LBB1879_485:                           ;   in Loop: Header=BB1879_397 Depth=2
	s_or_b32 exec_lo, exec_lo, s27
	v_cmp_lt_u32_e64 s26, v57, v145
	s_delay_alu instid0(VALU_DEP_1)
	s_and_saveexec_b32 s28, s26
	s_cbranch_execz .LBB1879_501
.LBB1879_486:                           ;   in Loop: Header=BB1879_397 Depth=2
	ds_load_u16 v146, v79 offset:5120
	s_waitcnt lgkmcnt(0)
	v_cmp_ne_u16_e64 s27, 0x7fff, v146
	s_delay_alu instid0(VALU_DEP_1) | instskip(SKIP_1) | instid1(VALU_DEP_2)
	v_cndmask_b32_e64 v2, 0xffff8000, v146, s27
	v_cmp_lt_i16_e64 s27, -1, v146
	v_and_b32_e32 v2, 0xffff, v2
	s_delay_alu instid0(VALU_DEP_2) | instskip(NEXT) | instid1(VALU_DEP_2)
	v_cndmask_b32_e64 v149, 0xffff8000, -1, s27
	v_lshrrev_b32_e32 v2, s48, v2
	s_delay_alu instid0(VALU_DEP_1) | instskip(NEXT) | instid1(VALU_DEP_1)
	v_and_b32_e32 v2, s55, v2
	v_lshlrev_b32_e32 v2, 2, v2
	ds_load_b32 v2, v2
	s_waitcnt lgkmcnt(0)
	v_add_nc_u32_e32 v2, v2, v57
	s_delay_alu instid0(VALU_DEP_1) | instskip(SKIP_1) | instid1(VALU_DEP_2)
	v_lshlrev_b64 v[36:37], 1, v[2:3]
	v_xor_b32_e32 v2, v149, v146
	v_add_co_u32 v36, s27, s40, v36
	s_delay_alu instid0(VALU_DEP_1) | instskip(SKIP_3) | instid1(VALU_DEP_1)
	v_add_co_ci_u32_e64 v37, s27, s41, v37, s27
	global_store_b16 v[36:37], v2, off
	s_or_b32 exec_lo, exec_lo, s28
	v_cmp_lt_u32_e64 s27, v58, v145
	s_and_saveexec_b32 s29, s27
	s_cbranch_execnz .LBB1879_502
.LBB1879_487:                           ;   in Loop: Header=BB1879_397 Depth=2
	s_or_b32 exec_lo, exec_lo, s29
	v_cmp_lt_u32_e64 s28, v59, v145
	s_delay_alu instid0(VALU_DEP_1)
	s_and_saveexec_b32 s30, s28
	s_cbranch_execz .LBB1879_503
.LBB1879_488:                           ;   in Loop: Header=BB1879_397 Depth=2
	ds_load_u16 v146, v79 offset:6144
	s_waitcnt lgkmcnt(0)
	v_cmp_ne_u16_e64 s29, 0x7fff, v146
	s_delay_alu instid0(VALU_DEP_1) | instskip(SKIP_1) | instid1(VALU_DEP_2)
	v_cndmask_b32_e64 v2, 0xffff8000, v146, s29
	v_cmp_lt_i16_e64 s29, -1, v146
	v_and_b32_e32 v2, 0xffff, v2
	s_delay_alu instid0(VALU_DEP_2) | instskip(NEXT) | instid1(VALU_DEP_2)
	v_cndmask_b32_e64 v149, 0xffff8000, -1, s29
	v_lshrrev_b32_e32 v2, s48, v2
	s_delay_alu instid0(VALU_DEP_1) | instskip(NEXT) | instid1(VALU_DEP_1)
	v_and_b32_e32 v2, s55, v2
	v_lshlrev_b32_e32 v2, 2, v2
	ds_load_b32 v2, v2
	s_waitcnt lgkmcnt(0)
	v_add_nc_u32_e32 v2, v2, v59
	s_delay_alu instid0(VALU_DEP_1) | instskip(SKIP_1) | instid1(VALU_DEP_2)
	v_lshlrev_b64 v[36:37], 1, v[2:3]
	v_xor_b32_e32 v2, v149, v146
	v_add_co_u32 v36, s29, s40, v36
	s_delay_alu instid0(VALU_DEP_1) | instskip(SKIP_3) | instid1(VALU_DEP_1)
	v_add_co_ci_u32_e64 v37, s29, s41, v37, s29
	global_store_b16 v[36:37], v2, off
	s_or_b32 exec_lo, exec_lo, s30
	v_cmp_lt_u32_e64 s29, v60, v145
	s_and_saveexec_b32 s31, s29
	s_cbranch_execnz .LBB1879_504
.LBB1879_489:                           ;   in Loop: Header=BB1879_397 Depth=2
	s_or_b32 exec_lo, exec_lo, s31
	v_cmp_lt_u32_e64 s30, v61, v145
	s_delay_alu instid0(VALU_DEP_1)
	s_and_saveexec_b32 s33, s30
	s_cbranch_execz .LBB1879_505
.LBB1879_490:                           ;   in Loop: Header=BB1879_397 Depth=2
	ds_load_u16 v146, v79 offset:7168
	s_waitcnt lgkmcnt(0)
	v_cmp_ne_u16_e64 s31, 0x7fff, v146
	s_delay_alu instid0(VALU_DEP_1) | instskip(SKIP_1) | instid1(VALU_DEP_2)
	v_cndmask_b32_e64 v2, 0xffff8000, v146, s31
	v_cmp_lt_i16_e64 s31, -1, v146
	v_and_b32_e32 v2, 0xffff, v2
	s_delay_alu instid0(VALU_DEP_2) | instskip(NEXT) | instid1(VALU_DEP_2)
	v_cndmask_b32_e64 v149, 0xffff8000, -1, s31
	v_lshrrev_b32_e32 v2, s48, v2
	s_delay_alu instid0(VALU_DEP_1) | instskip(NEXT) | instid1(VALU_DEP_1)
	v_and_b32_e32 v2, s55, v2
	v_lshlrev_b32_e32 v2, 2, v2
	ds_load_b32 v2, v2
	s_waitcnt lgkmcnt(0)
	v_add_nc_u32_e32 v2, v2, v61
	s_delay_alu instid0(VALU_DEP_1) | instskip(SKIP_1) | instid1(VALU_DEP_2)
	v_lshlrev_b64 v[36:37], 1, v[2:3]
	v_xor_b32_e32 v2, v149, v146
	v_add_co_u32 v36, s31, s40, v36
	s_delay_alu instid0(VALU_DEP_1) | instskip(SKIP_3) | instid1(VALU_DEP_1)
	v_add_co_ci_u32_e64 v37, s31, s41, v37, s31
	global_store_b16 v[36:37], v2, off
	s_or_b32 exec_lo, exec_lo, s33
	v_cmp_lt_u32_e64 s31, v63, v145
	s_and_saveexec_b32 s58, s31
	s_cbranch_execnz .LBB1879_506
	s_branch .LBB1879_507
.LBB1879_491:                           ;   in Loop: Header=BB1879_397 Depth=2
	s_or_b32 exec_lo, exec_lo, s18
	v_cmp_lt_u32_e64 s17, v45, v145
	s_delay_alu instid0(VALU_DEP_1)
	s_and_saveexec_b32 s19, s17
	s_cbranch_execz .LBB1879_477
.LBB1879_492:                           ;   in Loop: Header=BB1879_397 Depth=2
	ds_load_u16 v146, v79 offset:512
	s_waitcnt lgkmcnt(0)
	v_cmp_ne_u16_e64 s18, 0x7fff, v146
	s_delay_alu instid0(VALU_DEP_1) | instskip(SKIP_1) | instid1(VALU_DEP_2)
	v_cndmask_b32_e64 v2, 0xffff8000, v146, s18
	v_cmp_lt_i16_e64 s18, -1, v146
	v_and_b32_e32 v2, 0xffff, v2
	s_delay_alu instid0(VALU_DEP_2) | instskip(NEXT) | instid1(VALU_DEP_2)
	v_cndmask_b32_e64 v149, 0xffff8000, -1, s18
	v_lshrrev_b32_e32 v2, s48, v2
	s_delay_alu instid0(VALU_DEP_1) | instskip(NEXT) | instid1(VALU_DEP_1)
	v_and_b32_e32 v2, s55, v2
	v_lshlrev_b32_e32 v2, 2, v2
	ds_load_b32 v2, v2
	s_waitcnt lgkmcnt(0)
	v_add_nc_u32_e32 v2, v2, v45
	s_delay_alu instid0(VALU_DEP_1) | instskip(SKIP_1) | instid1(VALU_DEP_2)
	v_lshlrev_b64 v[36:37], 1, v[2:3]
	v_xor_b32_e32 v2, v149, v146
	v_add_co_u32 v36, s18, s40, v36
	s_delay_alu instid0(VALU_DEP_1) | instskip(SKIP_3) | instid1(VALU_DEP_1)
	v_add_co_ci_u32_e64 v37, s18, s41, v37, s18
	global_store_b16 v[36:37], v2, off
	s_or_b32 exec_lo, exec_lo, s19
	v_cmp_lt_u32_e64 s18, v46, v145
	s_and_saveexec_b32 s20, s18
	s_cbranch_execnz .LBB1879_478
.LBB1879_493:                           ;   in Loop: Header=BB1879_397 Depth=2
	s_or_b32 exec_lo, exec_lo, s20
	v_cmp_lt_u32_e64 s19, v47, v145
	s_delay_alu instid0(VALU_DEP_1)
	s_and_saveexec_b32 s21, s19
	s_cbranch_execz .LBB1879_479
.LBB1879_494:                           ;   in Loop: Header=BB1879_397 Depth=2
	ds_load_u16 v146, v79 offset:1536
	s_waitcnt lgkmcnt(0)
	v_cmp_ne_u16_e64 s20, 0x7fff, v146
	s_delay_alu instid0(VALU_DEP_1) | instskip(SKIP_1) | instid1(VALU_DEP_2)
	v_cndmask_b32_e64 v2, 0xffff8000, v146, s20
	v_cmp_lt_i16_e64 s20, -1, v146
	v_and_b32_e32 v2, 0xffff, v2
	s_delay_alu instid0(VALU_DEP_2) | instskip(NEXT) | instid1(VALU_DEP_2)
	v_cndmask_b32_e64 v149, 0xffff8000, -1, s20
	v_lshrrev_b32_e32 v2, s48, v2
	s_delay_alu instid0(VALU_DEP_1) | instskip(NEXT) | instid1(VALU_DEP_1)
	v_and_b32_e32 v2, s55, v2
	v_lshlrev_b32_e32 v2, 2, v2
	ds_load_b32 v2, v2
	s_waitcnt lgkmcnt(0)
	v_add_nc_u32_e32 v2, v2, v47
	s_delay_alu instid0(VALU_DEP_1) | instskip(SKIP_1) | instid1(VALU_DEP_2)
	v_lshlrev_b64 v[36:37], 1, v[2:3]
	v_xor_b32_e32 v2, v149, v146
	v_add_co_u32 v36, s20, s40, v36
	s_delay_alu instid0(VALU_DEP_1) | instskip(SKIP_3) | instid1(VALU_DEP_1)
	v_add_co_ci_u32_e64 v37, s20, s41, v37, s20
	global_store_b16 v[36:37], v2, off
	s_or_b32 exec_lo, exec_lo, s21
	v_cmp_lt_u32_e64 s20, v51, v145
	s_and_saveexec_b32 s22, s20
	s_cbranch_execnz .LBB1879_480
.LBB1879_495:                           ;   in Loop: Header=BB1879_397 Depth=2
	s_or_b32 exec_lo, exec_lo, s22
	v_cmp_lt_u32_e64 s21, v52, v145
	s_delay_alu instid0(VALU_DEP_1)
	s_and_saveexec_b32 s23, s21
	s_cbranch_execz .LBB1879_481
.LBB1879_496:                           ;   in Loop: Header=BB1879_397 Depth=2
	ds_load_u16 v146, v79 offset:2560
	s_waitcnt lgkmcnt(0)
	v_cmp_ne_u16_e64 s22, 0x7fff, v146
	s_delay_alu instid0(VALU_DEP_1) | instskip(SKIP_1) | instid1(VALU_DEP_2)
	v_cndmask_b32_e64 v2, 0xffff8000, v146, s22
	v_cmp_lt_i16_e64 s22, -1, v146
	v_and_b32_e32 v2, 0xffff, v2
	s_delay_alu instid0(VALU_DEP_2) | instskip(NEXT) | instid1(VALU_DEP_2)
	v_cndmask_b32_e64 v149, 0xffff8000, -1, s22
	v_lshrrev_b32_e32 v2, s48, v2
	s_delay_alu instid0(VALU_DEP_1) | instskip(NEXT) | instid1(VALU_DEP_1)
	v_and_b32_e32 v2, s55, v2
	v_lshlrev_b32_e32 v2, 2, v2
	ds_load_b32 v2, v2
	s_waitcnt lgkmcnt(0)
	v_add_nc_u32_e32 v2, v2, v52
	s_delay_alu instid0(VALU_DEP_1) | instskip(SKIP_1) | instid1(VALU_DEP_2)
	v_lshlrev_b64 v[36:37], 1, v[2:3]
	v_xor_b32_e32 v2, v149, v146
	v_add_co_u32 v36, s22, s40, v36
	s_delay_alu instid0(VALU_DEP_1) | instskip(SKIP_3) | instid1(VALU_DEP_1)
	v_add_co_ci_u32_e64 v37, s22, s41, v37, s22
	global_store_b16 v[36:37], v2, off
	s_or_b32 exec_lo, exec_lo, s23
	v_cmp_lt_u32_e64 s22, v53, v145
	s_and_saveexec_b32 s24, s22
	s_cbranch_execnz .LBB1879_482
.LBB1879_497:                           ;   in Loop: Header=BB1879_397 Depth=2
	s_or_b32 exec_lo, exec_lo, s24
	v_cmp_lt_u32_e64 s23, v54, v145
	s_delay_alu instid0(VALU_DEP_1)
	s_and_saveexec_b32 s25, s23
	s_cbranch_execz .LBB1879_483
.LBB1879_498:                           ;   in Loop: Header=BB1879_397 Depth=2
	ds_load_u16 v146, v79 offset:3584
	s_waitcnt lgkmcnt(0)
	v_cmp_ne_u16_e64 s24, 0x7fff, v146
	s_delay_alu instid0(VALU_DEP_1) | instskip(SKIP_1) | instid1(VALU_DEP_2)
	v_cndmask_b32_e64 v2, 0xffff8000, v146, s24
	v_cmp_lt_i16_e64 s24, -1, v146
	v_and_b32_e32 v2, 0xffff, v2
	s_delay_alu instid0(VALU_DEP_2) | instskip(NEXT) | instid1(VALU_DEP_2)
	v_cndmask_b32_e64 v149, 0xffff8000, -1, s24
	v_lshrrev_b32_e32 v2, s48, v2
	s_delay_alu instid0(VALU_DEP_1) | instskip(NEXT) | instid1(VALU_DEP_1)
	v_and_b32_e32 v2, s55, v2
	v_lshlrev_b32_e32 v2, 2, v2
	ds_load_b32 v2, v2
	s_waitcnt lgkmcnt(0)
	v_add_nc_u32_e32 v2, v2, v54
	s_delay_alu instid0(VALU_DEP_1) | instskip(SKIP_1) | instid1(VALU_DEP_2)
	v_lshlrev_b64 v[36:37], 1, v[2:3]
	v_xor_b32_e32 v2, v149, v146
	v_add_co_u32 v36, s24, s40, v36
	s_delay_alu instid0(VALU_DEP_1) | instskip(SKIP_3) | instid1(VALU_DEP_1)
	v_add_co_ci_u32_e64 v37, s24, s41, v37, s24
	global_store_b16 v[36:37], v2, off
	s_or_b32 exec_lo, exec_lo, s25
	v_cmp_lt_u32_e64 s24, v55, v145
	s_and_saveexec_b32 s26, s24
	s_cbranch_execnz .LBB1879_484
.LBB1879_499:                           ;   in Loop: Header=BB1879_397 Depth=2
	s_or_b32 exec_lo, exec_lo, s26
	v_cmp_lt_u32_e64 s25, v56, v145
	s_delay_alu instid0(VALU_DEP_1)
	s_and_saveexec_b32 s27, s25
	s_cbranch_execz .LBB1879_485
.LBB1879_500:                           ;   in Loop: Header=BB1879_397 Depth=2
	ds_load_u16 v146, v79 offset:4608
	s_waitcnt lgkmcnt(0)
	v_cmp_ne_u16_e64 s26, 0x7fff, v146
	s_delay_alu instid0(VALU_DEP_1) | instskip(SKIP_1) | instid1(VALU_DEP_2)
	v_cndmask_b32_e64 v2, 0xffff8000, v146, s26
	v_cmp_lt_i16_e64 s26, -1, v146
	v_and_b32_e32 v2, 0xffff, v2
	s_delay_alu instid0(VALU_DEP_2) | instskip(NEXT) | instid1(VALU_DEP_2)
	v_cndmask_b32_e64 v149, 0xffff8000, -1, s26
	v_lshrrev_b32_e32 v2, s48, v2
	s_delay_alu instid0(VALU_DEP_1) | instskip(NEXT) | instid1(VALU_DEP_1)
	v_and_b32_e32 v2, s55, v2
	v_lshlrev_b32_e32 v2, 2, v2
	ds_load_b32 v2, v2
	s_waitcnt lgkmcnt(0)
	v_add_nc_u32_e32 v2, v2, v56
	s_delay_alu instid0(VALU_DEP_1) | instskip(SKIP_1) | instid1(VALU_DEP_2)
	v_lshlrev_b64 v[36:37], 1, v[2:3]
	v_xor_b32_e32 v2, v149, v146
	v_add_co_u32 v36, s26, s40, v36
	s_delay_alu instid0(VALU_DEP_1) | instskip(SKIP_3) | instid1(VALU_DEP_1)
	v_add_co_ci_u32_e64 v37, s26, s41, v37, s26
	global_store_b16 v[36:37], v2, off
	s_or_b32 exec_lo, exec_lo, s27
	v_cmp_lt_u32_e64 s26, v57, v145
	s_and_saveexec_b32 s28, s26
	s_cbranch_execnz .LBB1879_486
.LBB1879_501:                           ;   in Loop: Header=BB1879_397 Depth=2
	s_or_b32 exec_lo, exec_lo, s28
	v_cmp_lt_u32_e64 s27, v58, v145
	s_delay_alu instid0(VALU_DEP_1)
	s_and_saveexec_b32 s29, s27
	s_cbranch_execz .LBB1879_487
.LBB1879_502:                           ;   in Loop: Header=BB1879_397 Depth=2
	ds_load_u16 v146, v79 offset:5632
	s_waitcnt lgkmcnt(0)
	v_cmp_ne_u16_e64 s28, 0x7fff, v146
	s_delay_alu instid0(VALU_DEP_1) | instskip(SKIP_1) | instid1(VALU_DEP_2)
	v_cndmask_b32_e64 v2, 0xffff8000, v146, s28
	v_cmp_lt_i16_e64 s28, -1, v146
	v_and_b32_e32 v2, 0xffff, v2
	s_delay_alu instid0(VALU_DEP_2) | instskip(NEXT) | instid1(VALU_DEP_2)
	v_cndmask_b32_e64 v149, 0xffff8000, -1, s28
	v_lshrrev_b32_e32 v2, s48, v2
	s_delay_alu instid0(VALU_DEP_1) | instskip(NEXT) | instid1(VALU_DEP_1)
	v_and_b32_e32 v2, s55, v2
	v_lshlrev_b32_e32 v2, 2, v2
	ds_load_b32 v2, v2
	s_waitcnt lgkmcnt(0)
	v_add_nc_u32_e32 v2, v2, v58
	s_delay_alu instid0(VALU_DEP_1) | instskip(SKIP_1) | instid1(VALU_DEP_2)
	v_lshlrev_b64 v[36:37], 1, v[2:3]
	v_xor_b32_e32 v2, v149, v146
	v_add_co_u32 v36, s28, s40, v36
	s_delay_alu instid0(VALU_DEP_1) | instskip(SKIP_3) | instid1(VALU_DEP_1)
	v_add_co_ci_u32_e64 v37, s28, s41, v37, s28
	global_store_b16 v[36:37], v2, off
	s_or_b32 exec_lo, exec_lo, s29
	v_cmp_lt_u32_e64 s28, v59, v145
	s_and_saveexec_b32 s30, s28
	s_cbranch_execnz .LBB1879_488
.LBB1879_503:                           ;   in Loop: Header=BB1879_397 Depth=2
	s_or_b32 exec_lo, exec_lo, s30
	v_cmp_lt_u32_e64 s29, v60, v145
	s_delay_alu instid0(VALU_DEP_1)
	s_and_saveexec_b32 s31, s29
	s_cbranch_execz .LBB1879_489
.LBB1879_504:                           ;   in Loop: Header=BB1879_397 Depth=2
	ds_load_u16 v146, v79 offset:6656
	s_waitcnt lgkmcnt(0)
	v_cmp_ne_u16_e64 s30, 0x7fff, v146
	s_delay_alu instid0(VALU_DEP_1) | instskip(SKIP_1) | instid1(VALU_DEP_2)
	v_cndmask_b32_e64 v2, 0xffff8000, v146, s30
	v_cmp_lt_i16_e64 s30, -1, v146
	v_and_b32_e32 v2, 0xffff, v2
	s_delay_alu instid0(VALU_DEP_2) | instskip(NEXT) | instid1(VALU_DEP_2)
	v_cndmask_b32_e64 v149, 0xffff8000, -1, s30
	v_lshrrev_b32_e32 v2, s48, v2
	s_delay_alu instid0(VALU_DEP_1) | instskip(NEXT) | instid1(VALU_DEP_1)
	v_and_b32_e32 v2, s55, v2
	v_lshlrev_b32_e32 v2, 2, v2
	ds_load_b32 v2, v2
	s_waitcnt lgkmcnt(0)
	v_add_nc_u32_e32 v2, v2, v60
	s_delay_alu instid0(VALU_DEP_1) | instskip(SKIP_1) | instid1(VALU_DEP_2)
	v_lshlrev_b64 v[36:37], 1, v[2:3]
	v_xor_b32_e32 v2, v149, v146
	v_add_co_u32 v36, s30, s40, v36
	s_delay_alu instid0(VALU_DEP_1) | instskip(SKIP_3) | instid1(VALU_DEP_1)
	v_add_co_ci_u32_e64 v37, s30, s41, v37, s30
	global_store_b16 v[36:37], v2, off
	s_or_b32 exec_lo, exec_lo, s31
	v_cmp_lt_u32_e64 s30, v61, v145
	s_and_saveexec_b32 s33, s30
	s_cbranch_execnz .LBB1879_490
.LBB1879_505:                           ;   in Loop: Header=BB1879_397 Depth=2
	s_or_b32 exec_lo, exec_lo, s33
	v_cmp_lt_u32_e64 s31, v63, v145
	s_delay_alu instid0(VALU_DEP_1)
	s_and_saveexec_b32 s58, s31
	s_cbranch_execz .LBB1879_507
.LBB1879_506:                           ;   in Loop: Header=BB1879_397 Depth=2
	ds_load_u16 v146, v79 offset:7680
	s_waitcnt lgkmcnt(0)
	v_cmp_ne_u16_e64 s33, 0x7fff, v146
	s_delay_alu instid0(VALU_DEP_1) | instskip(SKIP_1) | instid1(VALU_DEP_2)
	v_cndmask_b32_e64 v2, 0xffff8000, v146, s33
	v_cmp_lt_i16_e64 s33, -1, v146
	v_and_b32_e32 v2, 0xffff, v2
	s_delay_alu instid0(VALU_DEP_2) | instskip(NEXT) | instid1(VALU_DEP_2)
	v_cndmask_b32_e64 v149, 0xffff8000, -1, s33
	v_lshrrev_b32_e32 v2, s48, v2
	s_delay_alu instid0(VALU_DEP_1) | instskip(NEXT) | instid1(VALU_DEP_1)
	v_and_b32_e32 v2, s55, v2
	v_lshlrev_b32_e32 v2, 2, v2
	ds_load_b32 v2, v2
	s_waitcnt lgkmcnt(0)
	v_add_nc_u32_e32 v2, v2, v63
	s_delay_alu instid0(VALU_DEP_1) | instskip(SKIP_1) | instid1(VALU_DEP_2)
	v_lshlrev_b64 v[36:37], 1, v[2:3]
	v_xor_b32_e32 v2, v149, v146
	v_add_co_u32 v36, s33, s40, v36
	s_delay_alu instid0(VALU_DEP_1)
	v_add_co_ci_u32_e64 v37, s33, s41, v37, s33
	global_store_b16 v[36:37], v2, off
.LBB1879_507:                           ;   in Loop: Header=BB1879_397 Depth=2
	s_or_b32 exec_lo, exec_lo, s58
	s_lshl_b64 s[58:59], s[34:35], 3
	s_delay_alu instid0(SALU_CYCLE_1) | instskip(NEXT) | instid1(VALU_DEP_1)
	v_add_co_u32 v36, s33, v107, s58
	v_add_co_ci_u32_e64 v37, s33, s59, v108, s33
	v_cmp_lt_u32_e64 s33, v106, v145
	s_delay_alu instid0(VALU_DEP_1) | instskip(NEXT) | instid1(SALU_CYCLE_1)
	s_and_saveexec_b32 s34, s33
	s_xor_b32 s33, exec_lo, s34
	s_cbranch_execz .LBB1879_539
; %bb.508:                              ;   in Loop: Header=BB1879_397 Depth=2
	global_load_b64 v[34:35], v[36:37], off
	s_or_b32 exec_lo, exec_lo, s33
	s_delay_alu instid0(SALU_CYCLE_1)
	s_mov_b32 s34, exec_lo
	v_cmpx_lt_u32_e64 v109, v145
	s_cbranch_execnz .LBB1879_540
.LBB1879_509:                           ;   in Loop: Header=BB1879_397 Depth=2
	s_or_b32 exec_lo, exec_lo, s34
	s_delay_alu instid0(SALU_CYCLE_1)
	s_mov_b32 s34, exec_lo
	v_cmpx_lt_u32_e64 v110, v145
	s_cbranch_execz .LBB1879_541
.LBB1879_510:                           ;   in Loop: Header=BB1879_397 Depth=2
	global_load_b64 v[30:31], v[36:37], off offset:512
	s_or_b32 exec_lo, exec_lo, s34
	s_delay_alu instid0(SALU_CYCLE_1)
	s_mov_b32 s34, exec_lo
	v_cmpx_lt_u32_e64 v111, v145
	s_cbranch_execnz .LBB1879_542
.LBB1879_511:                           ;   in Loop: Header=BB1879_397 Depth=2
	s_or_b32 exec_lo, exec_lo, s34
	s_delay_alu instid0(SALU_CYCLE_1)
	s_mov_b32 s34, exec_lo
	v_cmpx_lt_u32_e64 v112, v145
	s_cbranch_execz .LBB1879_543
.LBB1879_512:                           ;   in Loop: Header=BB1879_397 Depth=2
	global_load_b64 v[26:27], v[36:37], off offset:1024
	s_or_b32 exec_lo, exec_lo, s34
	s_delay_alu instid0(SALU_CYCLE_1)
	s_mov_b32 s34, exec_lo
	v_cmpx_lt_u32_e64 v113, v145
	s_cbranch_execnz .LBB1879_544
.LBB1879_513:                           ;   in Loop: Header=BB1879_397 Depth=2
	s_or_b32 exec_lo, exec_lo, s34
	s_delay_alu instid0(SALU_CYCLE_1)
	s_mov_b32 s34, exec_lo
	v_cmpx_lt_u32_e64 v114, v145
	s_cbranch_execz .LBB1879_545
.LBB1879_514:                           ;   in Loop: Header=BB1879_397 Depth=2
	global_load_b64 v[22:23], v[36:37], off offset:1536
	s_or_b32 exec_lo, exec_lo, s34
	s_delay_alu instid0(SALU_CYCLE_1)
	s_mov_b32 s34, exec_lo
	v_cmpx_lt_u32_e64 v115, v145
	s_cbranch_execnz .LBB1879_546
.LBB1879_515:                           ;   in Loop: Header=BB1879_397 Depth=2
	s_or_b32 exec_lo, exec_lo, s34
	s_delay_alu instid0(SALU_CYCLE_1)
	s_mov_b32 s34, exec_lo
	v_cmpx_lt_u32_e64 v116, v145
	s_cbranch_execz .LBB1879_547
.LBB1879_516:                           ;   in Loop: Header=BB1879_397 Depth=2
	global_load_b64 v[18:19], v[36:37], off offset:2048
	s_or_b32 exec_lo, exec_lo, s34
	s_delay_alu instid0(SALU_CYCLE_1)
	s_mov_b32 s34, exec_lo
	v_cmpx_lt_u32_e64 v117, v145
	s_cbranch_execnz .LBB1879_548
.LBB1879_517:                           ;   in Loop: Header=BB1879_397 Depth=2
	s_or_b32 exec_lo, exec_lo, s34
	s_delay_alu instid0(SALU_CYCLE_1)
	s_mov_b32 s34, exec_lo
	v_cmpx_lt_u32_e64 v118, v145
	s_cbranch_execz .LBB1879_549
.LBB1879_518:                           ;   in Loop: Header=BB1879_397 Depth=2
	global_load_b64 v[14:15], v[36:37], off offset:2560
	s_or_b32 exec_lo, exec_lo, s34
	s_delay_alu instid0(SALU_CYCLE_1)
	s_mov_b32 s34, exec_lo
	v_cmpx_lt_u32_e64 v119, v145
	s_cbranch_execnz .LBB1879_550
.LBB1879_519:                           ;   in Loop: Header=BB1879_397 Depth=2
	s_or_b32 exec_lo, exec_lo, s34
	s_delay_alu instid0(SALU_CYCLE_1)
	s_mov_b32 s34, exec_lo
	v_cmpx_lt_u32_e64 v120, v145
	s_cbranch_execz .LBB1879_551
.LBB1879_520:                           ;   in Loop: Header=BB1879_397 Depth=2
	global_load_b64 v[10:11], v[36:37], off offset:3072
	s_or_b32 exec_lo, exec_lo, s34
	s_delay_alu instid0(SALU_CYCLE_1)
	s_mov_b32 s34, exec_lo
	v_cmpx_lt_u32_e64 v121, v145
	s_cbranch_execnz .LBB1879_552
.LBB1879_521:                           ;   in Loop: Header=BB1879_397 Depth=2
	s_or_b32 exec_lo, exec_lo, s34
	s_delay_alu instid0(SALU_CYCLE_1)
	s_mov_b32 s34, exec_lo
	v_cmpx_lt_u32_e64 v122, v145
	s_cbranch_execz .LBB1879_553
.LBB1879_522:                           ;   in Loop: Header=BB1879_397 Depth=2
	global_load_b64 v[6:7], v[36:37], off offset:3584
	s_or_b32 exec_lo, exec_lo, s34
	s_delay_alu instid0(SALU_CYCLE_1)
	s_mov_b32 s34, exec_lo
	v_cmpx_lt_u32_e64 v123, v145
	s_cbranch_execnz .LBB1879_554
.LBB1879_523:                           ;   in Loop: Header=BB1879_397 Depth=2
	s_or_b32 exec_lo, exec_lo, s34
	s_and_saveexec_b32 s34, vcc_lo
	s_cbranch_execz .LBB1879_555
.LBB1879_524:                           ;   in Loop: Header=BB1879_397 Depth=2
	v_add_nc_u32_e32 v2, v72, v78
	ds_load_u16 v2, v2 offset:1024
	s_waitcnt lgkmcnt(0)
	v_cmp_ne_u16_e64 s33, 0x7fff, v2
	s_delay_alu instid0(VALU_DEP_1) | instskip(NEXT) | instid1(VALU_DEP_1)
	v_cndmask_b32_e64 v2, 0xffff8000, v2, s33
	v_and_b32_e32 v2, 0xffff, v2
	s_delay_alu instid0(VALU_DEP_1) | instskip(NEXT) | instid1(VALU_DEP_1)
	v_lshrrev_b32_e32 v2, s48, v2
	v_and_b32_e32 v144, s55, v2
	s_or_b32 exec_lo, exec_lo, s34
	s_and_saveexec_b32 s34, s17
	s_cbranch_execnz .LBB1879_556
.LBB1879_525:                           ;   in Loop: Header=BB1879_397 Depth=2
	s_or_b32 exec_lo, exec_lo, s34
	s_and_saveexec_b32 s34, s18
	s_cbranch_execz .LBB1879_557
.LBB1879_526:                           ;   in Loop: Header=BB1879_397 Depth=2
	ds_load_u16 v2, v79 offset:1024
	s_waitcnt lgkmcnt(0)
	v_cmp_ne_u16_e64 s33, 0x7fff, v2
	s_delay_alu instid0(VALU_DEP_1) | instskip(NEXT) | instid1(VALU_DEP_1)
	v_cndmask_b32_e64 v2, 0xffff8000, v2, s33
	v_and_b32_e32 v2, 0xffff, v2
	s_delay_alu instid0(VALU_DEP_1) | instskip(NEXT) | instid1(VALU_DEP_1)
	v_lshrrev_b32_e32 v2, s48, v2
	v_and_b32_e32 v142, s55, v2
	s_or_b32 exec_lo, exec_lo, s34
	s_and_saveexec_b32 s34, s19
	s_cbranch_execnz .LBB1879_558
.LBB1879_527:                           ;   in Loop: Header=BB1879_397 Depth=2
	s_or_b32 exec_lo, exec_lo, s34
	s_and_saveexec_b32 s34, s20
	s_cbranch_execz .LBB1879_559
.LBB1879_528:                           ;   in Loop: Header=BB1879_397 Depth=2
	ds_load_u16 v2, v79 offset:2048
	s_waitcnt lgkmcnt(0)
	v_cmp_ne_u16_e64 s33, 0x7fff, v2
	s_delay_alu instid0(VALU_DEP_1) | instskip(NEXT) | instid1(VALU_DEP_1)
	v_cndmask_b32_e64 v2, 0xffff8000, v2, s33
	v_and_b32_e32 v2, 0xffff, v2
	s_delay_alu instid0(VALU_DEP_1) | instskip(NEXT) | instid1(VALU_DEP_1)
	v_lshrrev_b32_e32 v2, s48, v2
	v_and_b32_e32 v140, s55, v2
	s_or_b32 exec_lo, exec_lo, s34
	s_and_saveexec_b32 s34, s21
	s_cbranch_execnz .LBB1879_560
.LBB1879_529:                           ;   in Loop: Header=BB1879_397 Depth=2
	s_or_b32 exec_lo, exec_lo, s34
	s_and_saveexec_b32 s34, s22
	s_cbranch_execz .LBB1879_561
.LBB1879_530:                           ;   in Loop: Header=BB1879_397 Depth=2
	ds_load_u16 v2, v79 offset:3072
	s_waitcnt lgkmcnt(0)
	v_cmp_ne_u16_e64 s33, 0x7fff, v2
	s_delay_alu instid0(VALU_DEP_1) | instskip(NEXT) | instid1(VALU_DEP_1)
	v_cndmask_b32_e64 v2, 0xffff8000, v2, s33
	v_and_b32_e32 v2, 0xffff, v2
	s_delay_alu instid0(VALU_DEP_1) | instskip(NEXT) | instid1(VALU_DEP_1)
	v_lshrrev_b32_e32 v2, s48, v2
	v_and_b32_e32 v138, s55, v2
	s_or_b32 exec_lo, exec_lo, s34
	s_and_saveexec_b32 s34, s23
	s_cbranch_execnz .LBB1879_562
.LBB1879_531:                           ;   in Loop: Header=BB1879_397 Depth=2
	s_or_b32 exec_lo, exec_lo, s34
	s_and_saveexec_b32 s34, s24
	s_cbranch_execz .LBB1879_563
.LBB1879_532:                           ;   in Loop: Header=BB1879_397 Depth=2
	ds_load_u16 v2, v79 offset:4096
	s_waitcnt lgkmcnt(0)
	v_cmp_ne_u16_e64 s33, 0x7fff, v2
	s_delay_alu instid0(VALU_DEP_1) | instskip(NEXT) | instid1(VALU_DEP_1)
	v_cndmask_b32_e64 v2, 0xffff8000, v2, s33
	v_and_b32_e32 v2, 0xffff, v2
	s_delay_alu instid0(VALU_DEP_1) | instskip(NEXT) | instid1(VALU_DEP_1)
	v_lshrrev_b32_e32 v2, s48, v2
	v_and_b32_e32 v136, s55, v2
	s_or_b32 exec_lo, exec_lo, s34
	s_and_saveexec_b32 s34, s25
	s_cbranch_execnz .LBB1879_564
.LBB1879_533:                           ;   in Loop: Header=BB1879_397 Depth=2
	s_or_b32 exec_lo, exec_lo, s34
	s_and_saveexec_b32 s34, s26
	s_cbranch_execz .LBB1879_565
.LBB1879_534:                           ;   in Loop: Header=BB1879_397 Depth=2
	ds_load_u16 v2, v79 offset:5120
	s_waitcnt lgkmcnt(0)
	v_cmp_ne_u16_e64 s33, 0x7fff, v2
	s_delay_alu instid0(VALU_DEP_1) | instskip(NEXT) | instid1(VALU_DEP_1)
	v_cndmask_b32_e64 v2, 0xffff8000, v2, s33
	v_and_b32_e32 v2, 0xffff, v2
	s_delay_alu instid0(VALU_DEP_1) | instskip(NEXT) | instid1(VALU_DEP_1)
	v_lshrrev_b32_e32 v2, s48, v2
	v_and_b32_e32 v134, s55, v2
	s_or_b32 exec_lo, exec_lo, s34
	s_and_saveexec_b32 s34, s27
	s_cbranch_execnz .LBB1879_566
.LBB1879_535:                           ;   in Loop: Header=BB1879_397 Depth=2
	s_or_b32 exec_lo, exec_lo, s34
	s_and_saveexec_b32 s34, s28
	s_cbranch_execz .LBB1879_567
.LBB1879_536:                           ;   in Loop: Header=BB1879_397 Depth=2
	ds_load_u16 v2, v79 offset:6144
	s_waitcnt lgkmcnt(0)
	v_cmp_ne_u16_e64 s33, 0x7fff, v2
	s_delay_alu instid0(VALU_DEP_1) | instskip(NEXT) | instid1(VALU_DEP_1)
	v_cndmask_b32_e64 v2, 0xffff8000, v2, s33
	v_and_b32_e32 v2, 0xffff, v2
	s_delay_alu instid0(VALU_DEP_1) | instskip(NEXT) | instid1(VALU_DEP_1)
	v_lshrrev_b32_e32 v2, s48, v2
	v_and_b32_e32 v132, s55, v2
	s_or_b32 exec_lo, exec_lo, s34
	s_and_saveexec_b32 s34, s29
	s_cbranch_execnz .LBB1879_568
.LBB1879_537:                           ;   in Loop: Header=BB1879_397 Depth=2
	s_or_b32 exec_lo, exec_lo, s34
	s_and_saveexec_b32 s34, s30
	s_cbranch_execz .LBB1879_569
.LBB1879_538:                           ;   in Loop: Header=BB1879_397 Depth=2
	ds_load_u16 v2, v79 offset:7168
	s_waitcnt lgkmcnt(0)
	v_cmp_ne_u16_e64 s33, 0x7fff, v2
	s_delay_alu instid0(VALU_DEP_1) | instskip(NEXT) | instid1(VALU_DEP_1)
	v_cndmask_b32_e64 v2, 0xffff8000, v2, s33
	v_and_b32_e32 v2, 0xffff, v2
	s_delay_alu instid0(VALU_DEP_1) | instskip(NEXT) | instid1(VALU_DEP_1)
	v_lshrrev_b32_e32 v2, s48, v2
	v_and_b32_e32 v130, s55, v2
	s_or_b32 exec_lo, exec_lo, s34
	s_and_saveexec_b32 s34, s31
	s_cbranch_execnz .LBB1879_570
	s_branch .LBB1879_571
.LBB1879_539:                           ;   in Loop: Header=BB1879_397 Depth=2
	s_or_b32 exec_lo, exec_lo, s33
	s_delay_alu instid0(SALU_CYCLE_1)
	s_mov_b32 s34, exec_lo
	v_cmpx_lt_u32_e64 v109, v145
	s_cbranch_execz .LBB1879_509
.LBB1879_540:                           ;   in Loop: Header=BB1879_397 Depth=2
	global_load_b64 v[32:33], v[36:37], off offset:256
	s_or_b32 exec_lo, exec_lo, s34
	s_delay_alu instid0(SALU_CYCLE_1)
	s_mov_b32 s34, exec_lo
	v_cmpx_lt_u32_e64 v110, v145
	s_cbranch_execnz .LBB1879_510
.LBB1879_541:                           ;   in Loop: Header=BB1879_397 Depth=2
	s_or_b32 exec_lo, exec_lo, s34
	s_delay_alu instid0(SALU_CYCLE_1)
	s_mov_b32 s34, exec_lo
	v_cmpx_lt_u32_e64 v111, v145
	s_cbranch_execz .LBB1879_511
.LBB1879_542:                           ;   in Loop: Header=BB1879_397 Depth=2
	global_load_b64 v[28:29], v[36:37], off offset:768
	s_or_b32 exec_lo, exec_lo, s34
	s_delay_alu instid0(SALU_CYCLE_1)
	s_mov_b32 s34, exec_lo
	v_cmpx_lt_u32_e64 v112, v145
	s_cbranch_execnz .LBB1879_512
.LBB1879_543:                           ;   in Loop: Header=BB1879_397 Depth=2
	s_or_b32 exec_lo, exec_lo, s34
	s_delay_alu instid0(SALU_CYCLE_1)
	s_mov_b32 s34, exec_lo
	v_cmpx_lt_u32_e64 v113, v145
	s_cbranch_execz .LBB1879_513
.LBB1879_544:                           ;   in Loop: Header=BB1879_397 Depth=2
	global_load_b64 v[24:25], v[36:37], off offset:1280
	s_or_b32 exec_lo, exec_lo, s34
	s_delay_alu instid0(SALU_CYCLE_1)
	s_mov_b32 s34, exec_lo
	v_cmpx_lt_u32_e64 v114, v145
	s_cbranch_execnz .LBB1879_514
.LBB1879_545:                           ;   in Loop: Header=BB1879_397 Depth=2
	s_or_b32 exec_lo, exec_lo, s34
	s_delay_alu instid0(SALU_CYCLE_1)
	s_mov_b32 s34, exec_lo
	v_cmpx_lt_u32_e64 v115, v145
	s_cbranch_execz .LBB1879_515
.LBB1879_546:                           ;   in Loop: Header=BB1879_397 Depth=2
	global_load_b64 v[20:21], v[36:37], off offset:1792
	s_or_b32 exec_lo, exec_lo, s34
	s_delay_alu instid0(SALU_CYCLE_1)
	s_mov_b32 s34, exec_lo
	v_cmpx_lt_u32_e64 v116, v145
	s_cbranch_execnz .LBB1879_516
.LBB1879_547:                           ;   in Loop: Header=BB1879_397 Depth=2
	s_or_b32 exec_lo, exec_lo, s34
	s_delay_alu instid0(SALU_CYCLE_1)
	s_mov_b32 s34, exec_lo
	v_cmpx_lt_u32_e64 v117, v145
	s_cbranch_execz .LBB1879_517
.LBB1879_548:                           ;   in Loop: Header=BB1879_397 Depth=2
	global_load_b64 v[16:17], v[36:37], off offset:2304
	s_or_b32 exec_lo, exec_lo, s34
	s_delay_alu instid0(SALU_CYCLE_1)
	s_mov_b32 s34, exec_lo
	v_cmpx_lt_u32_e64 v118, v145
	s_cbranch_execnz .LBB1879_518
.LBB1879_549:                           ;   in Loop: Header=BB1879_397 Depth=2
	s_or_b32 exec_lo, exec_lo, s34
	s_delay_alu instid0(SALU_CYCLE_1)
	s_mov_b32 s34, exec_lo
	v_cmpx_lt_u32_e64 v119, v145
	s_cbranch_execz .LBB1879_519
.LBB1879_550:                           ;   in Loop: Header=BB1879_397 Depth=2
	global_load_b64 v[12:13], v[36:37], off offset:2816
	s_or_b32 exec_lo, exec_lo, s34
	s_delay_alu instid0(SALU_CYCLE_1)
	s_mov_b32 s34, exec_lo
	v_cmpx_lt_u32_e64 v120, v145
	s_cbranch_execnz .LBB1879_520
.LBB1879_551:                           ;   in Loop: Header=BB1879_397 Depth=2
	s_or_b32 exec_lo, exec_lo, s34
	s_delay_alu instid0(SALU_CYCLE_1)
	s_mov_b32 s34, exec_lo
	v_cmpx_lt_u32_e64 v121, v145
	s_cbranch_execz .LBB1879_521
.LBB1879_552:                           ;   in Loop: Header=BB1879_397 Depth=2
	global_load_b64 v[8:9], v[36:37], off offset:3328
	s_or_b32 exec_lo, exec_lo, s34
	s_delay_alu instid0(SALU_CYCLE_1)
	s_mov_b32 s34, exec_lo
	v_cmpx_lt_u32_e64 v122, v145
	s_cbranch_execnz .LBB1879_522
.LBB1879_553:                           ;   in Loop: Header=BB1879_397 Depth=2
	s_or_b32 exec_lo, exec_lo, s34
	s_delay_alu instid0(SALU_CYCLE_1)
	s_mov_b32 s34, exec_lo
	v_cmpx_lt_u32_e64 v123, v145
	s_cbranch_execz .LBB1879_523
.LBB1879_554:                           ;   in Loop: Header=BB1879_397 Depth=2
	global_load_b64 v[4:5], v[36:37], off offset:3840
	s_or_b32 exec_lo, exec_lo, s34
	s_and_saveexec_b32 s34, vcc_lo
	s_cbranch_execnz .LBB1879_524
.LBB1879_555:                           ;   in Loop: Header=BB1879_397 Depth=2
	s_or_b32 exec_lo, exec_lo, s34
	s_and_saveexec_b32 s34, s17
	s_cbranch_execz .LBB1879_525
.LBB1879_556:                           ;   in Loop: Header=BB1879_397 Depth=2
	ds_load_u16 v2, v79 offset:512
	s_waitcnt lgkmcnt(0)
	v_cmp_ne_u16_e64 s33, 0x7fff, v2
	s_delay_alu instid0(VALU_DEP_1) | instskip(NEXT) | instid1(VALU_DEP_1)
	v_cndmask_b32_e64 v2, 0xffff8000, v2, s33
	v_and_b32_e32 v2, 0xffff, v2
	s_delay_alu instid0(VALU_DEP_1) | instskip(NEXT) | instid1(VALU_DEP_1)
	v_lshrrev_b32_e32 v2, s48, v2
	v_and_b32_e32 v143, s55, v2
	s_or_b32 exec_lo, exec_lo, s34
	s_and_saveexec_b32 s34, s18
	s_cbranch_execnz .LBB1879_526
.LBB1879_557:                           ;   in Loop: Header=BB1879_397 Depth=2
	s_or_b32 exec_lo, exec_lo, s34
	s_and_saveexec_b32 s34, s19
	s_cbranch_execz .LBB1879_527
.LBB1879_558:                           ;   in Loop: Header=BB1879_397 Depth=2
	ds_load_u16 v2, v79 offset:1536
	s_waitcnt lgkmcnt(0)
	v_cmp_ne_u16_e64 s33, 0x7fff, v2
	s_delay_alu instid0(VALU_DEP_1) | instskip(NEXT) | instid1(VALU_DEP_1)
	v_cndmask_b32_e64 v2, 0xffff8000, v2, s33
	v_and_b32_e32 v2, 0xffff, v2
	s_delay_alu instid0(VALU_DEP_1) | instskip(NEXT) | instid1(VALU_DEP_1)
	v_lshrrev_b32_e32 v2, s48, v2
	v_and_b32_e32 v141, s55, v2
	s_or_b32 exec_lo, exec_lo, s34
	s_and_saveexec_b32 s34, s20
	s_cbranch_execnz .LBB1879_528
.LBB1879_559:                           ;   in Loop: Header=BB1879_397 Depth=2
	s_or_b32 exec_lo, exec_lo, s34
	s_and_saveexec_b32 s34, s21
	s_cbranch_execz .LBB1879_529
.LBB1879_560:                           ;   in Loop: Header=BB1879_397 Depth=2
	ds_load_u16 v2, v79 offset:2560
	s_waitcnt lgkmcnt(0)
	v_cmp_ne_u16_e64 s33, 0x7fff, v2
	s_delay_alu instid0(VALU_DEP_1) | instskip(NEXT) | instid1(VALU_DEP_1)
	v_cndmask_b32_e64 v2, 0xffff8000, v2, s33
	v_and_b32_e32 v2, 0xffff, v2
	s_delay_alu instid0(VALU_DEP_1) | instskip(NEXT) | instid1(VALU_DEP_1)
	v_lshrrev_b32_e32 v2, s48, v2
	v_and_b32_e32 v139, s55, v2
	s_or_b32 exec_lo, exec_lo, s34
	s_and_saveexec_b32 s34, s22
	s_cbranch_execnz .LBB1879_530
.LBB1879_561:                           ;   in Loop: Header=BB1879_397 Depth=2
	s_or_b32 exec_lo, exec_lo, s34
	s_and_saveexec_b32 s34, s23
	s_cbranch_execz .LBB1879_531
.LBB1879_562:                           ;   in Loop: Header=BB1879_397 Depth=2
	ds_load_u16 v2, v79 offset:3584
	s_waitcnt lgkmcnt(0)
	v_cmp_ne_u16_e64 s33, 0x7fff, v2
	s_delay_alu instid0(VALU_DEP_1) | instskip(NEXT) | instid1(VALU_DEP_1)
	v_cndmask_b32_e64 v2, 0xffff8000, v2, s33
	v_and_b32_e32 v2, 0xffff, v2
	s_delay_alu instid0(VALU_DEP_1) | instskip(NEXT) | instid1(VALU_DEP_1)
	v_lshrrev_b32_e32 v2, s48, v2
	v_and_b32_e32 v137, s55, v2
	s_or_b32 exec_lo, exec_lo, s34
	s_and_saveexec_b32 s34, s24
	s_cbranch_execnz .LBB1879_532
.LBB1879_563:                           ;   in Loop: Header=BB1879_397 Depth=2
	s_or_b32 exec_lo, exec_lo, s34
	s_and_saveexec_b32 s34, s25
	s_cbranch_execz .LBB1879_533
.LBB1879_564:                           ;   in Loop: Header=BB1879_397 Depth=2
	ds_load_u16 v2, v79 offset:4608
	s_waitcnt lgkmcnt(0)
	v_cmp_ne_u16_e64 s33, 0x7fff, v2
	s_delay_alu instid0(VALU_DEP_1) | instskip(NEXT) | instid1(VALU_DEP_1)
	v_cndmask_b32_e64 v2, 0xffff8000, v2, s33
	v_and_b32_e32 v2, 0xffff, v2
	s_delay_alu instid0(VALU_DEP_1) | instskip(NEXT) | instid1(VALU_DEP_1)
	v_lshrrev_b32_e32 v2, s48, v2
	v_and_b32_e32 v135, s55, v2
	s_or_b32 exec_lo, exec_lo, s34
	s_and_saveexec_b32 s34, s26
	s_cbranch_execnz .LBB1879_534
.LBB1879_565:                           ;   in Loop: Header=BB1879_397 Depth=2
	s_or_b32 exec_lo, exec_lo, s34
	s_and_saveexec_b32 s34, s27
	s_cbranch_execz .LBB1879_535
.LBB1879_566:                           ;   in Loop: Header=BB1879_397 Depth=2
	ds_load_u16 v2, v79 offset:5632
	s_waitcnt lgkmcnt(0)
	v_cmp_ne_u16_e64 s33, 0x7fff, v2
	s_delay_alu instid0(VALU_DEP_1) | instskip(NEXT) | instid1(VALU_DEP_1)
	v_cndmask_b32_e64 v2, 0xffff8000, v2, s33
	v_and_b32_e32 v2, 0xffff, v2
	s_delay_alu instid0(VALU_DEP_1) | instskip(NEXT) | instid1(VALU_DEP_1)
	v_lshrrev_b32_e32 v2, s48, v2
	v_and_b32_e32 v133, s55, v2
	s_or_b32 exec_lo, exec_lo, s34
	s_and_saveexec_b32 s34, s28
	s_cbranch_execnz .LBB1879_536
.LBB1879_567:                           ;   in Loop: Header=BB1879_397 Depth=2
	s_or_b32 exec_lo, exec_lo, s34
	s_and_saveexec_b32 s34, s29
	s_cbranch_execz .LBB1879_537
.LBB1879_568:                           ;   in Loop: Header=BB1879_397 Depth=2
	ds_load_u16 v2, v79 offset:6656
	s_waitcnt lgkmcnt(0)
	v_cmp_ne_u16_e64 s33, 0x7fff, v2
	s_delay_alu instid0(VALU_DEP_1) | instskip(NEXT) | instid1(VALU_DEP_1)
	v_cndmask_b32_e64 v2, 0xffff8000, v2, s33
	v_and_b32_e32 v2, 0xffff, v2
	s_delay_alu instid0(VALU_DEP_1) | instskip(NEXT) | instid1(VALU_DEP_1)
	v_lshrrev_b32_e32 v2, s48, v2
	v_and_b32_e32 v131, s55, v2
	s_or_b32 exec_lo, exec_lo, s34
	s_and_saveexec_b32 s34, s30
	s_cbranch_execnz .LBB1879_538
.LBB1879_569:                           ;   in Loop: Header=BB1879_397 Depth=2
	s_or_b32 exec_lo, exec_lo, s34
	s_and_saveexec_b32 s34, s31
	s_cbranch_execz .LBB1879_571
.LBB1879_570:                           ;   in Loop: Header=BB1879_397 Depth=2
	ds_load_u16 v2, v79 offset:7680
	s_waitcnt lgkmcnt(0)
	v_cmp_ne_u16_e64 s33, 0x7fff, v2
	s_delay_alu instid0(VALU_DEP_1) | instskip(NEXT) | instid1(VALU_DEP_1)
	v_cndmask_b32_e64 v2, 0xffff8000, v2, s33
	v_and_b32_e32 v2, 0xffff, v2
	s_delay_alu instid0(VALU_DEP_1) | instskip(NEXT) | instid1(VALU_DEP_1)
	v_lshrrev_b32_e32 v2, s48, v2
	v_and_b32_e32 v129, s55, v2
.LBB1879_571:                           ;   in Loop: Header=BB1879_397 Depth=2
	s_or_b32 exec_lo, exec_lo, s34
	v_lshlrev_b32_e32 v2, 3, v168
	v_lshlrev_b32_e32 v36, 3, v164
	s_waitcnt vmcnt(0)
	s_waitcnt_vscnt null, 0x0
	s_barrier
	buffer_gl0_inv
	ds_store_b64 v2, v[34:35] offset:1024
	v_lshlrev_b32_e32 v2, 3, v160
	v_lshlrev_b32_e32 v37, 3, v156
	;; [unrolled: 1-line block ×4, first 2 shown]
	ds_store_b64 v36, v[32:33] offset:1024
	ds_store_b64 v2, v[30:31] offset:1024
	;; [unrolled: 1-line block ×5, first 2 shown]
	v_lshlrev_b32_e32 v2, 3, v152
	v_lshlrev_b32_e32 v36, 3, v151
	;; [unrolled: 1-line block ×5, first 2 shown]
	ds_store_b64 v2, v[22:23] offset:1024
	ds_store_b64 v36, v[20:21] offset:1024
	;; [unrolled: 1-line block ×5, first 2 shown]
	v_lshlrev_b32_e32 v2, 3, v40
	v_lshlrev_b32_e32 v36, 3, v39
	;; [unrolled: 1-line block ×5, first 2 shown]
	ds_store_b64 v2, v[12:13] offset:1024
	ds_store_b64 v36, v[10:11] offset:1024
	;; [unrolled: 1-line block ×5, first 2 shown]
	s_waitcnt lgkmcnt(0)
	s_barrier
	buffer_gl0_inv
	s_and_saveexec_b32 s33, vcc_lo
	s_cbranch_execz .LBB1879_587
; %bb.572:                              ;   in Loop: Header=BB1879_397 Depth=2
	v_lshlrev_b32_e32 v2, 2, v144
	ds_load_b32 v2, v2
	ds_load_b64 v[36:37], v80 offset:1024
	s_waitcnt lgkmcnt(1)
	v_add_nc_u32_e32 v2, v2, v1
	s_delay_alu instid0(VALU_DEP_1) | instskip(NEXT) | instid1(VALU_DEP_1)
	v_lshlrev_b64 v[39:40], 3, v[2:3]
	v_add_co_u32 v39, vcc_lo, s46, v39
	s_delay_alu instid0(VALU_DEP_2)
	v_add_co_ci_u32_e32 v40, vcc_lo, s47, v40, vcc_lo
	s_waitcnt lgkmcnt(0)
	global_store_b64 v[39:40], v[36:37], off
	s_or_b32 exec_lo, exec_lo, s33
	s_and_saveexec_b32 s33, s17
	s_cbranch_execnz .LBB1879_588
.LBB1879_573:                           ;   in Loop: Header=BB1879_397 Depth=2
	s_or_b32 exec_lo, exec_lo, s33
	s_and_saveexec_b32 s17, s18
	s_cbranch_execz .LBB1879_589
.LBB1879_574:                           ;   in Loop: Header=BB1879_397 Depth=2
	v_lshlrev_b32_e32 v2, 2, v142
	v_add_nc_u32_e32 v36, v79, v81
	ds_load_b32 v2, v2
	ds_load_b64 v[36:37], v36 offset:4096
	s_waitcnt lgkmcnt(1)
	v_add_nc_u32_e32 v2, v2, v46
	s_delay_alu instid0(VALU_DEP_1) | instskip(NEXT) | instid1(VALU_DEP_1)
	v_lshlrev_b64 v[39:40], 3, v[2:3]
	v_add_co_u32 v39, vcc_lo, s46, v39
	s_delay_alu instid0(VALU_DEP_2)
	v_add_co_ci_u32_e32 v40, vcc_lo, s47, v40, vcc_lo
	s_waitcnt lgkmcnt(0)
	global_store_b64 v[39:40], v[36:37], off
	s_or_b32 exec_lo, exec_lo, s17
	s_and_saveexec_b32 s17, s19
	s_cbranch_execnz .LBB1879_590
.LBB1879_575:                           ;   in Loop: Header=BB1879_397 Depth=2
	s_or_b32 exec_lo, exec_lo, s17
	s_and_saveexec_b32 s17, s20
	s_cbranch_execz .LBB1879_591
.LBB1879_576:                           ;   in Loop: Header=BB1879_397 Depth=2
	v_lshlrev_b32_e32 v2, 2, v140
	v_add_nc_u32_e32 v36, v79, v81
	ds_load_b32 v2, v2
	ds_load_b64 v[36:37], v36 offset:8192
	s_waitcnt lgkmcnt(1)
	v_add_nc_u32_e32 v2, v2, v51
	s_delay_alu instid0(VALU_DEP_1) | instskip(NEXT) | instid1(VALU_DEP_1)
	v_lshlrev_b64 v[39:40], 3, v[2:3]
	v_add_co_u32 v39, vcc_lo, s46, v39
	s_delay_alu instid0(VALU_DEP_2)
	v_add_co_ci_u32_e32 v40, vcc_lo, s47, v40, vcc_lo
	s_waitcnt lgkmcnt(0)
	global_store_b64 v[39:40], v[36:37], off
	s_or_b32 exec_lo, exec_lo, s17
	s_and_saveexec_b32 s17, s21
	s_cbranch_execnz .LBB1879_592
.LBB1879_577:                           ;   in Loop: Header=BB1879_397 Depth=2
	s_or_b32 exec_lo, exec_lo, s17
	s_and_saveexec_b32 s17, s22
	s_cbranch_execz .LBB1879_593
.LBB1879_578:                           ;   in Loop: Header=BB1879_397 Depth=2
	v_lshlrev_b32_e32 v2, 2, v138
	v_add_nc_u32_e32 v36, v79, v81
	ds_load_b32 v2, v2
	ds_load_b64 v[36:37], v36 offset:12288
	s_waitcnt lgkmcnt(1)
	v_add_nc_u32_e32 v2, v2, v53
	s_delay_alu instid0(VALU_DEP_1) | instskip(NEXT) | instid1(VALU_DEP_1)
	v_lshlrev_b64 v[39:40], 3, v[2:3]
	v_add_co_u32 v39, vcc_lo, s46, v39
	s_delay_alu instid0(VALU_DEP_2)
	v_add_co_ci_u32_e32 v40, vcc_lo, s47, v40, vcc_lo
	s_waitcnt lgkmcnt(0)
	global_store_b64 v[39:40], v[36:37], off
	s_or_b32 exec_lo, exec_lo, s17
	s_and_saveexec_b32 s17, s23
	s_cbranch_execnz .LBB1879_594
.LBB1879_579:                           ;   in Loop: Header=BB1879_397 Depth=2
	s_or_b32 exec_lo, exec_lo, s17
	s_and_saveexec_b32 s17, s24
	s_cbranch_execz .LBB1879_595
.LBB1879_580:                           ;   in Loop: Header=BB1879_397 Depth=2
	v_lshlrev_b32_e32 v2, 2, v136
	v_add_nc_u32_e32 v36, v79, v81
	ds_load_b32 v2, v2
	ds_load_b64 v[36:37], v36 offset:16384
	s_waitcnt lgkmcnt(1)
	v_add_nc_u32_e32 v2, v2, v55
	s_delay_alu instid0(VALU_DEP_1) | instskip(NEXT) | instid1(VALU_DEP_1)
	v_lshlrev_b64 v[39:40], 3, v[2:3]
	v_add_co_u32 v39, vcc_lo, s46, v39
	s_delay_alu instid0(VALU_DEP_2)
	v_add_co_ci_u32_e32 v40, vcc_lo, s47, v40, vcc_lo
	s_waitcnt lgkmcnt(0)
	global_store_b64 v[39:40], v[36:37], off
	s_or_b32 exec_lo, exec_lo, s17
	s_and_saveexec_b32 s17, s25
	s_cbranch_execnz .LBB1879_596
.LBB1879_581:                           ;   in Loop: Header=BB1879_397 Depth=2
	s_or_b32 exec_lo, exec_lo, s17
	s_and_saveexec_b32 s17, s26
	s_cbranch_execz .LBB1879_597
.LBB1879_582:                           ;   in Loop: Header=BB1879_397 Depth=2
	v_lshlrev_b32_e32 v2, 2, v134
	v_add_nc_u32_e32 v36, v79, v81
	ds_load_b32 v2, v2
	ds_load_b64 v[36:37], v36 offset:20480
	s_waitcnt lgkmcnt(1)
	v_add_nc_u32_e32 v2, v2, v57
	s_delay_alu instid0(VALU_DEP_1) | instskip(NEXT) | instid1(VALU_DEP_1)
	v_lshlrev_b64 v[39:40], 3, v[2:3]
	v_add_co_u32 v39, vcc_lo, s46, v39
	s_delay_alu instid0(VALU_DEP_2)
	v_add_co_ci_u32_e32 v40, vcc_lo, s47, v40, vcc_lo
	s_waitcnt lgkmcnt(0)
	global_store_b64 v[39:40], v[36:37], off
	s_or_b32 exec_lo, exec_lo, s17
	s_and_saveexec_b32 s17, s27
	s_cbranch_execnz .LBB1879_598
.LBB1879_583:                           ;   in Loop: Header=BB1879_397 Depth=2
	s_or_b32 exec_lo, exec_lo, s17
	s_and_saveexec_b32 s17, s28
	s_cbranch_execz .LBB1879_599
.LBB1879_584:                           ;   in Loop: Header=BB1879_397 Depth=2
	v_lshlrev_b32_e32 v2, 2, v132
	v_add_nc_u32_e32 v36, v79, v81
	ds_load_b32 v2, v2
	ds_load_b64 v[36:37], v36 offset:24576
	s_waitcnt lgkmcnt(1)
	v_add_nc_u32_e32 v2, v2, v59
	s_delay_alu instid0(VALU_DEP_1) | instskip(NEXT) | instid1(VALU_DEP_1)
	v_lshlrev_b64 v[39:40], 3, v[2:3]
	v_add_co_u32 v39, vcc_lo, s46, v39
	s_delay_alu instid0(VALU_DEP_2)
	v_add_co_ci_u32_e32 v40, vcc_lo, s47, v40, vcc_lo
	s_waitcnt lgkmcnt(0)
	global_store_b64 v[39:40], v[36:37], off
	s_or_b32 exec_lo, exec_lo, s17
	s_and_saveexec_b32 s17, s29
	s_cbranch_execnz .LBB1879_600
.LBB1879_585:                           ;   in Loop: Header=BB1879_397 Depth=2
	s_or_b32 exec_lo, exec_lo, s17
	s_and_saveexec_b32 s17, s30
	s_cbranch_execz .LBB1879_601
.LBB1879_586:                           ;   in Loop: Header=BB1879_397 Depth=2
	v_lshlrev_b32_e32 v2, 2, v130
	v_add_nc_u32_e32 v36, v79, v81
	ds_load_b32 v2, v2
	ds_load_b64 v[36:37], v36 offset:28672
	s_waitcnt lgkmcnt(1)
	v_add_nc_u32_e32 v2, v2, v61
	s_delay_alu instid0(VALU_DEP_1) | instskip(NEXT) | instid1(VALU_DEP_1)
	v_lshlrev_b64 v[39:40], 3, v[2:3]
	v_add_co_u32 v39, vcc_lo, s46, v39
	s_delay_alu instid0(VALU_DEP_2)
	v_add_co_ci_u32_e32 v40, vcc_lo, s47, v40, vcc_lo
	s_waitcnt lgkmcnt(0)
	global_store_b64 v[39:40], v[36:37], off
	s_or_b32 exec_lo, exec_lo, s17
	s_and_saveexec_b32 s17, s31
	s_cbranch_execnz .LBB1879_602
	s_branch .LBB1879_603
.LBB1879_587:                           ;   in Loop: Header=BB1879_397 Depth=2
	s_or_b32 exec_lo, exec_lo, s33
	s_and_saveexec_b32 s33, s17
	s_cbranch_execz .LBB1879_573
.LBB1879_588:                           ;   in Loop: Header=BB1879_397 Depth=2
	v_lshlrev_b32_e32 v2, 2, v143
	v_add_nc_u32_e32 v36, v79, v81
	ds_load_b32 v2, v2
	ds_load_b64 v[36:37], v36 offset:2048
	s_waitcnt lgkmcnt(1)
	v_add_nc_u32_e32 v2, v2, v45
	s_delay_alu instid0(VALU_DEP_1) | instskip(NEXT) | instid1(VALU_DEP_1)
	v_lshlrev_b64 v[39:40], 3, v[2:3]
	v_add_co_u32 v39, vcc_lo, s46, v39
	s_delay_alu instid0(VALU_DEP_2)
	v_add_co_ci_u32_e32 v40, vcc_lo, s47, v40, vcc_lo
	s_waitcnt lgkmcnt(0)
	global_store_b64 v[39:40], v[36:37], off
	s_or_b32 exec_lo, exec_lo, s33
	s_and_saveexec_b32 s17, s18
	s_cbranch_execnz .LBB1879_574
.LBB1879_589:                           ;   in Loop: Header=BB1879_397 Depth=2
	s_or_b32 exec_lo, exec_lo, s17
	s_and_saveexec_b32 s17, s19
	s_cbranch_execz .LBB1879_575
.LBB1879_590:                           ;   in Loop: Header=BB1879_397 Depth=2
	v_lshlrev_b32_e32 v2, 2, v141
	v_add_nc_u32_e32 v36, v79, v81
	ds_load_b32 v2, v2
	ds_load_b64 v[36:37], v36 offset:6144
	s_waitcnt lgkmcnt(1)
	v_add_nc_u32_e32 v2, v2, v47
	s_delay_alu instid0(VALU_DEP_1) | instskip(NEXT) | instid1(VALU_DEP_1)
	v_lshlrev_b64 v[39:40], 3, v[2:3]
	v_add_co_u32 v39, vcc_lo, s46, v39
	s_delay_alu instid0(VALU_DEP_2)
	v_add_co_ci_u32_e32 v40, vcc_lo, s47, v40, vcc_lo
	s_waitcnt lgkmcnt(0)
	global_store_b64 v[39:40], v[36:37], off
	s_or_b32 exec_lo, exec_lo, s17
	s_and_saveexec_b32 s17, s20
	s_cbranch_execnz .LBB1879_576
.LBB1879_591:                           ;   in Loop: Header=BB1879_397 Depth=2
	s_or_b32 exec_lo, exec_lo, s17
	s_and_saveexec_b32 s17, s21
	s_cbranch_execz .LBB1879_577
.LBB1879_592:                           ;   in Loop: Header=BB1879_397 Depth=2
	v_lshlrev_b32_e32 v2, 2, v139
	v_add_nc_u32_e32 v36, v79, v81
	ds_load_b32 v2, v2
	ds_load_b64 v[36:37], v36 offset:10240
	s_waitcnt lgkmcnt(1)
	v_add_nc_u32_e32 v2, v2, v52
	s_delay_alu instid0(VALU_DEP_1) | instskip(NEXT) | instid1(VALU_DEP_1)
	v_lshlrev_b64 v[39:40], 3, v[2:3]
	v_add_co_u32 v39, vcc_lo, s46, v39
	s_delay_alu instid0(VALU_DEP_2)
	v_add_co_ci_u32_e32 v40, vcc_lo, s47, v40, vcc_lo
	s_waitcnt lgkmcnt(0)
	global_store_b64 v[39:40], v[36:37], off
	s_or_b32 exec_lo, exec_lo, s17
	s_and_saveexec_b32 s17, s22
	s_cbranch_execnz .LBB1879_578
.LBB1879_593:                           ;   in Loop: Header=BB1879_397 Depth=2
	s_or_b32 exec_lo, exec_lo, s17
	s_and_saveexec_b32 s17, s23
	s_cbranch_execz .LBB1879_579
.LBB1879_594:                           ;   in Loop: Header=BB1879_397 Depth=2
	v_lshlrev_b32_e32 v2, 2, v137
	v_add_nc_u32_e32 v36, v79, v81
	ds_load_b32 v2, v2
	ds_load_b64 v[36:37], v36 offset:14336
	s_waitcnt lgkmcnt(1)
	v_add_nc_u32_e32 v2, v2, v54
	s_delay_alu instid0(VALU_DEP_1) | instskip(NEXT) | instid1(VALU_DEP_1)
	v_lshlrev_b64 v[39:40], 3, v[2:3]
	v_add_co_u32 v39, vcc_lo, s46, v39
	s_delay_alu instid0(VALU_DEP_2)
	v_add_co_ci_u32_e32 v40, vcc_lo, s47, v40, vcc_lo
	s_waitcnt lgkmcnt(0)
	global_store_b64 v[39:40], v[36:37], off
	s_or_b32 exec_lo, exec_lo, s17
	s_and_saveexec_b32 s17, s24
	s_cbranch_execnz .LBB1879_580
.LBB1879_595:                           ;   in Loop: Header=BB1879_397 Depth=2
	s_or_b32 exec_lo, exec_lo, s17
	s_and_saveexec_b32 s17, s25
	s_cbranch_execz .LBB1879_581
.LBB1879_596:                           ;   in Loop: Header=BB1879_397 Depth=2
	v_lshlrev_b32_e32 v2, 2, v135
	v_add_nc_u32_e32 v36, v79, v81
	ds_load_b32 v2, v2
	ds_load_b64 v[36:37], v36 offset:18432
	s_waitcnt lgkmcnt(1)
	v_add_nc_u32_e32 v2, v2, v56
	s_delay_alu instid0(VALU_DEP_1) | instskip(NEXT) | instid1(VALU_DEP_1)
	v_lshlrev_b64 v[39:40], 3, v[2:3]
	v_add_co_u32 v39, vcc_lo, s46, v39
	s_delay_alu instid0(VALU_DEP_2)
	v_add_co_ci_u32_e32 v40, vcc_lo, s47, v40, vcc_lo
	s_waitcnt lgkmcnt(0)
	global_store_b64 v[39:40], v[36:37], off
	s_or_b32 exec_lo, exec_lo, s17
	s_and_saveexec_b32 s17, s26
	s_cbranch_execnz .LBB1879_582
.LBB1879_597:                           ;   in Loop: Header=BB1879_397 Depth=2
	s_or_b32 exec_lo, exec_lo, s17
	s_and_saveexec_b32 s17, s27
	s_cbranch_execz .LBB1879_583
.LBB1879_598:                           ;   in Loop: Header=BB1879_397 Depth=2
	v_lshlrev_b32_e32 v2, 2, v133
	v_add_nc_u32_e32 v36, v79, v81
	ds_load_b32 v2, v2
	ds_load_b64 v[36:37], v36 offset:22528
	s_waitcnt lgkmcnt(1)
	v_add_nc_u32_e32 v2, v2, v58
	s_delay_alu instid0(VALU_DEP_1) | instskip(NEXT) | instid1(VALU_DEP_1)
	v_lshlrev_b64 v[39:40], 3, v[2:3]
	v_add_co_u32 v39, vcc_lo, s46, v39
	s_delay_alu instid0(VALU_DEP_2)
	v_add_co_ci_u32_e32 v40, vcc_lo, s47, v40, vcc_lo
	s_waitcnt lgkmcnt(0)
	global_store_b64 v[39:40], v[36:37], off
	s_or_b32 exec_lo, exec_lo, s17
	s_and_saveexec_b32 s17, s28
	s_cbranch_execnz .LBB1879_584
.LBB1879_599:                           ;   in Loop: Header=BB1879_397 Depth=2
	s_or_b32 exec_lo, exec_lo, s17
	s_and_saveexec_b32 s17, s29
	s_cbranch_execz .LBB1879_585
.LBB1879_600:                           ;   in Loop: Header=BB1879_397 Depth=2
	v_lshlrev_b32_e32 v2, 2, v131
	v_add_nc_u32_e32 v36, v79, v81
	ds_load_b32 v2, v2
	ds_load_b64 v[36:37], v36 offset:26624
	s_waitcnt lgkmcnt(1)
	v_add_nc_u32_e32 v2, v2, v60
	s_delay_alu instid0(VALU_DEP_1) | instskip(NEXT) | instid1(VALU_DEP_1)
	v_lshlrev_b64 v[39:40], 3, v[2:3]
	v_add_co_u32 v39, vcc_lo, s46, v39
	s_delay_alu instid0(VALU_DEP_2)
	v_add_co_ci_u32_e32 v40, vcc_lo, s47, v40, vcc_lo
	s_waitcnt lgkmcnt(0)
	global_store_b64 v[39:40], v[36:37], off
	s_or_b32 exec_lo, exec_lo, s17
	s_and_saveexec_b32 s17, s30
	s_cbranch_execnz .LBB1879_586
.LBB1879_601:                           ;   in Loop: Header=BB1879_397 Depth=2
	s_or_b32 exec_lo, exec_lo, s17
	s_and_saveexec_b32 s17, s31
	s_cbranch_execz .LBB1879_603
.LBB1879_602:                           ;   in Loop: Header=BB1879_397 Depth=2
	v_lshlrev_b32_e32 v2, 2, v129
	v_add_nc_u32_e32 v36, v79, v81
	ds_load_b32 v2, v2
	ds_load_b64 v[36:37], v36 offset:30720
	s_waitcnt lgkmcnt(1)
	v_add_nc_u32_e32 v2, v2, v63
	s_delay_alu instid0(VALU_DEP_1) | instskip(NEXT) | instid1(VALU_DEP_1)
	v_lshlrev_b64 v[39:40], 3, v[2:3]
	v_add_co_u32 v39, vcc_lo, s46, v39
	s_delay_alu instid0(VALU_DEP_2)
	v_add_co_ci_u32_e32 v40, vcc_lo, s47, v40, vcc_lo
	s_waitcnt lgkmcnt(0)
	global_store_b64 v[39:40], v[36:37], off
.LBB1879_603:                           ;   in Loop: Header=BB1879_397 Depth=2
	s_or_b32 exec_lo, exec_lo, s17
	s_waitcnt_vscnt null, 0x0
	s_barrier
	buffer_gl0_inv
	s_and_saveexec_b32 s17, s2
	s_cbranch_execz .LBB1879_396
; %bb.604:                              ;   in Loop: Header=BB1879_397 Depth=2
	ds_load_b32 v2, v44
	s_waitcnt lgkmcnt(0)
	v_add_nc_u32_e32 v2, v2, v38
	ds_store_b32 v44, v2
	s_branch .LBB1879_396
.LBB1879_605:                           ;   in Loop: Header=BB1879_17 Depth=1
	s_waitcnt lgkmcnt(0)
	s_barrier
.LBB1879_606:                           ;   in Loop: Header=BB1879_17 Depth=1
	s_mov_b32 s0, 0
.LBB1879_607:                           ;   in Loop: Header=BB1879_17 Depth=1
	s_delay_alu instid0(SALU_CYCLE_1)
	s_and_not1_b32 vcc_lo, exec_lo, s0
	s_cbranch_vccnz .LBB1879_16
; %bb.608:                              ;   in Loop: Header=BB1879_17 Depth=1
	s_and_b32 vcc_lo, exec_lo, s51
	s_mov_b32 s0, -1
	s_cbranch_vccz .LBB1879_902
; %bb.609:                              ;   in Loop: Header=BB1879_17 Depth=1
	s_mov_b32 s8, s54
	s_mov_b32 s34, s52
	s_barrier
	buffer_gl0_inv
                                        ; implicit-def: $vgpr20
                                        ; implicit-def: $vgpr2
                                        ; implicit-def: $vgpr6
                                        ; implicit-def: $vgpr7
                                        ; implicit-def: $vgpr8
                                        ; implicit-def: $vgpr9
                                        ; implicit-def: $vgpr10
                                        ; implicit-def: $vgpr11
                                        ; implicit-def: $vgpr12
                                        ; implicit-def: $vgpr13
                                        ; implicit-def: $vgpr14
                                        ; implicit-def: $vgpr15
                                        ; implicit-def: $vgpr16
                                        ; implicit-def: $vgpr17
                                        ; implicit-def: $vgpr18
                                        ; implicit-def: $vgpr19
	s_branch .LBB1879_611
.LBB1879_610:                           ;   in Loop: Header=BB1879_611 Depth=2
	s_or_b32 exec_lo, exec_lo, s0
	s_addk_i32 s8, 0xf000
	s_cmp_ge_u32 s9, s53
	s_mov_b32 s34, s9
	s_cbranch_scc1 .LBB1879_681
.LBB1879_611:                           ;   Parent Loop BB1879_17 Depth=1
                                        ; =>  This Inner Loop Header: Depth=2
	s_add_i32 s9, s34, 0x1000
	s_delay_alu instid0(SALU_CYCLE_1)
	s_cmp_gt_u32 s9, s53
	s_cbranch_scc1 .LBB1879_614
; %bb.612:                              ;   in Loop: Header=BB1879_611 Depth=2
	s_mov_b32 s1, 0
	s_mov_b32 s0, s34
	s_delay_alu instid0(SALU_CYCLE_1) | instskip(NEXT) | instid1(SALU_CYCLE_1)
	s_lshl_b64 s[10:11], s[0:1], 1
	v_add_co_u32 v4, vcc_lo, v88, s10
	v_add_co_ci_u32_e32 v5, vcc_lo, s11, v89, vcc_lo
	s_movk_i32 s11, 0x1000
	s_waitcnt vmcnt(0)
	s_delay_alu instid0(VALU_DEP_2) | instskip(NEXT) | instid1(VALU_DEP_2)
	v_add_co_u32 v36, vcc_lo, 0x1000, v4
	v_add_co_ci_u32_e32 v37, vcc_lo, 0, v5, vcc_lo
	s_clause 0xe
	global_load_u16 v22, v[4:5], off
	global_load_u16 v23, v[4:5], off offset:512
	global_load_u16 v24, v[4:5], off offset:1024
	;; [unrolled: 1-line block ×7, first 2 shown]
	global_load_u16 v30, v[36:37], off
	global_load_u16 v31, v[36:37], off offset:512
	global_load_u16 v32, v[36:37], off offset:1024
	;; [unrolled: 1-line block ×6, first 2 shown]
	v_add_co_u32 v4, vcc_lo, 0x1e00, v4
	v_add_co_ci_u32_e32 v5, vcc_lo, 0, v5, vcc_lo
	s_mov_b32 s10, -1
	s_cbranch_execz .LBB1879_615
; %bb.613:                              ;   in Loop: Header=BB1879_611 Depth=2
                                        ; implicit-def: $vgpr19
                                        ; implicit-def: $vgpr18
                                        ; implicit-def: $vgpr17
                                        ; implicit-def: $vgpr16
                                        ; implicit-def: $vgpr15
                                        ; implicit-def: $vgpr14
                                        ; implicit-def: $vgpr13
                                        ; implicit-def: $vgpr12
                                        ; implicit-def: $vgpr11
                                        ; implicit-def: $vgpr10
                                        ; implicit-def: $vgpr9
                                        ; implicit-def: $vgpr8
                                        ; implicit-def: $vgpr7
                                        ; implicit-def: $vgpr6
                                        ; implicit-def: $vgpr2
                                        ; implicit-def: $vgpr20
	v_mov_b32_e32 v21, s8
	s_and_saveexec_b32 s0, s10
	s_cbranch_execnz .LBB1879_634
	s_branch .LBB1879_635
.LBB1879_614:                           ;   in Loop: Header=BB1879_611 Depth=2
	s_mov_b32 s10, 0
                                        ; implicit-def: $sgpr11
                                        ; implicit-def: $vgpr22
                                        ; implicit-def: $vgpr23
                                        ; implicit-def: $vgpr24
                                        ; implicit-def: $vgpr25
                                        ; implicit-def: $vgpr26
                                        ; implicit-def: $vgpr27
                                        ; implicit-def: $vgpr28
                                        ; implicit-def: $vgpr29
                                        ; implicit-def: $vgpr30
                                        ; implicit-def: $vgpr31
                                        ; implicit-def: $vgpr32
                                        ; implicit-def: $vgpr33
                                        ; implicit-def: $vgpr34
                                        ; implicit-def: $vgpr35
                                        ; implicit-def: $vgpr36
                                        ; implicit-def: $vgpr4_vgpr5
.LBB1879_615:                           ;   in Loop: Header=BB1879_611 Depth=2
	s_lshl_b64 s[0:1], s[34:35], 1
	s_mov_b32 s11, exec_lo
	s_add_u32 s0, s36, s0
	s_addc_u32 s1, s37, s1
	v_cmpx_gt_u32_e64 s8, v1
	s_cbranch_execz .LBB1879_667
; %bb.616:                              ;   in Loop: Header=BB1879_611 Depth=2
	global_load_u16 v19, v95, s[0:1]
	s_or_b32 exec_lo, exec_lo, s11
	s_delay_alu instid0(SALU_CYCLE_1)
	s_mov_b32 s11, exec_lo
	v_cmpx_gt_u32_e64 s8, v45
	s_cbranch_execnz .LBB1879_668
.LBB1879_617:                           ;   in Loop: Header=BB1879_611 Depth=2
	s_or_b32 exec_lo, exec_lo, s11
	s_delay_alu instid0(SALU_CYCLE_1)
	s_mov_b32 s11, exec_lo
	v_cmpx_gt_u32_e64 s8, v46
	s_cbranch_execz .LBB1879_669
.LBB1879_618:                           ;   in Loop: Header=BB1879_611 Depth=2
	global_load_u16 v17, v95, s[0:1] offset:1024
	s_or_b32 exec_lo, exec_lo, s11
	s_delay_alu instid0(SALU_CYCLE_1)
	s_mov_b32 s11, exec_lo
	v_cmpx_gt_u32_e64 s8, v47
	s_cbranch_execnz .LBB1879_670
.LBB1879_619:                           ;   in Loop: Header=BB1879_611 Depth=2
	s_or_b32 exec_lo, exec_lo, s11
	s_delay_alu instid0(SALU_CYCLE_1)
	s_mov_b32 s11, exec_lo
	v_cmpx_gt_u32_e64 s8, v51
	s_cbranch_execz .LBB1879_671
.LBB1879_620:                           ;   in Loop: Header=BB1879_611 Depth=2
	global_load_u16 v15, v95, s[0:1] offset:2048
	s_or_b32 exec_lo, exec_lo, s11
	s_delay_alu instid0(SALU_CYCLE_1)
	s_mov_b32 s11, exec_lo
	v_cmpx_gt_u32_e64 s8, v52
	s_cbranch_execnz .LBB1879_672
.LBB1879_621:                           ;   in Loop: Header=BB1879_611 Depth=2
	s_or_b32 exec_lo, exec_lo, s11
	s_delay_alu instid0(SALU_CYCLE_1)
	s_mov_b32 s11, exec_lo
	v_cmpx_gt_u32_e64 s8, v53
	s_cbranch_execz .LBB1879_673
.LBB1879_622:                           ;   in Loop: Header=BB1879_611 Depth=2
	global_load_u16 v13, v95, s[0:1] offset:3072
	s_or_b32 exec_lo, exec_lo, s11
	s_delay_alu instid0(SALU_CYCLE_1)
	s_mov_b32 s11, exec_lo
	v_cmpx_gt_u32_e64 s8, v54
	s_cbranch_execnz .LBB1879_674
.LBB1879_623:                           ;   in Loop: Header=BB1879_611 Depth=2
	s_or_b32 exec_lo, exec_lo, s11
	s_delay_alu instid0(SALU_CYCLE_1)
	s_mov_b32 s11, exec_lo
	v_cmpx_gt_u32_e64 s8, v55
	s_cbranch_execz .LBB1879_675
.LBB1879_624:                           ;   in Loop: Header=BB1879_611 Depth=2
	global_load_u16 v11, v96, s[0:1]
	s_or_b32 exec_lo, exec_lo, s11
	s_delay_alu instid0(SALU_CYCLE_1)
	s_mov_b32 s11, exec_lo
	v_cmpx_gt_u32_e64 s8, v56
	s_cbranch_execnz .LBB1879_676
.LBB1879_625:                           ;   in Loop: Header=BB1879_611 Depth=2
	s_or_b32 exec_lo, exec_lo, s11
	s_delay_alu instid0(SALU_CYCLE_1)
	s_mov_b32 s11, exec_lo
	v_cmpx_gt_u32_e64 s8, v57
	s_cbranch_execz .LBB1879_677
.LBB1879_626:                           ;   in Loop: Header=BB1879_611 Depth=2
	global_load_u16 v9, v98, s[0:1]
	s_or_b32 exec_lo, exec_lo, s11
	s_delay_alu instid0(SALU_CYCLE_1)
	s_mov_b32 s11, exec_lo
	v_cmpx_gt_u32_e64 s8, v58
	s_cbranch_execnz .LBB1879_678
.LBB1879_627:                           ;   in Loop: Header=BB1879_611 Depth=2
	s_or_b32 exec_lo, exec_lo, s11
	s_delay_alu instid0(SALU_CYCLE_1)
	s_mov_b32 s11, exec_lo
	v_cmpx_gt_u32_e64 s8, v59
	s_cbranch_execz .LBB1879_679
.LBB1879_628:                           ;   in Loop: Header=BB1879_611 Depth=2
	global_load_u16 v7, v100, s[0:1]
	s_or_b32 exec_lo, exec_lo, s11
	s_delay_alu instid0(SALU_CYCLE_1)
	s_mov_b32 s11, exec_lo
	v_cmpx_gt_u32_e64 s8, v60
	s_cbranch_execnz .LBB1879_680
.LBB1879_629:                           ;   in Loop: Header=BB1879_611 Depth=2
	s_or_b32 exec_lo, exec_lo, s11
	s_delay_alu instid0(SALU_CYCLE_1)
	s_mov_b32 s11, exec_lo
	v_cmpx_gt_u32_e64 s8, v61
	s_cbranch_execz .LBB1879_631
.LBB1879_630:                           ;   in Loop: Header=BB1879_611 Depth=2
	global_load_u16 v2, v102, s[0:1]
.LBB1879_631:                           ;   in Loop: Header=BB1879_611 Depth=2
	s_or_b32 exec_lo, exec_lo, s11
	s_delay_alu instid0(SALU_CYCLE_1)
	s_mov_b32 s12, exec_lo
                                        ; implicit-def: $sgpr11
                                        ; implicit-def: $vgpr4_vgpr5
	v_cmpx_gt_u32_e64 s8, v63
; %bb.632:                              ;   in Loop: Header=BB1879_611 Depth=2
	v_add_co_u32 v4, s0, s0, v103
	s_delay_alu instid0(VALU_DEP_1)
	v_add_co_ci_u32_e64 v5, null, s1, 0, s0
	s_sub_i32 s11, s53, s34
	s_or_b32 s10, s10, exec_lo
                                        ; implicit-def: $vgpr20
; %bb.633:                              ;   in Loop: Header=BB1879_611 Depth=2
	s_or_b32 exec_lo, exec_lo, s12
	s_waitcnt vmcnt(0)
	v_dual_mov_b32 v22, v19 :: v_dual_mov_b32 v23, v18
	v_dual_mov_b32 v24, v17 :: v_dual_mov_b32 v25, v16
	;; [unrolled: 1-line block ×8, first 2 shown]
	s_and_saveexec_b32 s0, s10
	s_cbranch_execz .LBB1879_635
.LBB1879_634:                           ;   in Loop: Header=BB1879_611 Depth=2
	global_load_u16 v20, v[4:5], off
	s_waitcnt vmcnt(1)
	v_dual_mov_b32 v21, s11 :: v_dual_mov_b32 v2, v36
	v_dual_mov_b32 v6, v35 :: v_dual_mov_b32 v7, v34
	;; [unrolled: 1-line block ×8, first 2 shown]
.LBB1879_635:                           ;   in Loop: Header=BB1879_611 Depth=2
	s_or_b32 exec_lo, exec_lo, s0
	s_delay_alu instid0(SALU_CYCLE_1)
	s_mov_b32 s0, exec_lo
	v_cmpx_lt_u32_e64 v1, v21
	s_cbranch_execz .LBB1879_651
; %bb.636:                              ;   in Loop: Header=BB1879_611 Depth=2
	v_cmp_lt_i16_e32 vcc_lo, -1, v19
	v_lshlrev_b32_e32 v5, 2, v48
	v_cndmask_b32_e64 v4, -1, 0xffff8000, vcc_lo
	s_delay_alu instid0(VALU_DEP_1) | instskip(NEXT) | instid1(VALU_DEP_1)
	v_xor_b32_e32 v4, v4, v19
	v_cmp_ne_u16_e32 vcc_lo, 0x7fff, v4
	v_cndmask_b32_e32 v4, 0xffff8000, v4, vcc_lo
	s_delay_alu instid0(VALU_DEP_1) | instskip(NEXT) | instid1(VALU_DEP_1)
	v_and_b32_e32 v4, 0xffff, v4
	v_lshrrev_b32_e32 v4, s49, v4
	s_delay_alu instid0(VALU_DEP_1) | instskip(NEXT) | instid1(VALU_DEP_1)
	v_and_b32_e32 v4, s55, v4
	v_lshl_or_b32 v4, v4, 4, v5
	ds_add_u32 v4, v94
	s_or_b32 exec_lo, exec_lo, s0
	s_delay_alu instid0(SALU_CYCLE_1)
	s_mov_b32 s0, exec_lo
	v_cmpx_lt_u32_e64 v45, v21
	s_cbranch_execnz .LBB1879_652
.LBB1879_637:                           ;   in Loop: Header=BB1879_611 Depth=2
	s_or_b32 exec_lo, exec_lo, s0
	s_delay_alu instid0(SALU_CYCLE_1)
	s_mov_b32 s0, exec_lo
	v_cmpx_lt_u32_e64 v46, v21
	s_cbranch_execz .LBB1879_653
.LBB1879_638:                           ;   in Loop: Header=BB1879_611 Depth=2
	v_cmp_lt_i16_e32 vcc_lo, -1, v17
	v_lshlrev_b32_e32 v5, 2, v48
	v_cndmask_b32_e64 v4, -1, 0xffff8000, vcc_lo
	s_delay_alu instid0(VALU_DEP_1) | instskip(NEXT) | instid1(VALU_DEP_1)
	v_xor_b32_e32 v4, v4, v17
	v_cmp_ne_u16_e32 vcc_lo, 0x7fff, v4
	v_cndmask_b32_e32 v4, 0xffff8000, v4, vcc_lo
	s_delay_alu instid0(VALU_DEP_1) | instskip(NEXT) | instid1(VALU_DEP_1)
	v_and_b32_e32 v4, 0xffff, v4
	v_lshrrev_b32_e32 v4, s49, v4
	s_delay_alu instid0(VALU_DEP_1) | instskip(NEXT) | instid1(VALU_DEP_1)
	v_and_b32_e32 v4, s55, v4
	v_lshl_or_b32 v4, v4, 4, v5
	ds_add_u32 v4, v94
	s_or_b32 exec_lo, exec_lo, s0
	s_delay_alu instid0(SALU_CYCLE_1)
	s_mov_b32 s0, exec_lo
	v_cmpx_lt_u32_e64 v47, v21
	s_cbranch_execnz .LBB1879_654
.LBB1879_639:                           ;   in Loop: Header=BB1879_611 Depth=2
	s_or_b32 exec_lo, exec_lo, s0
	s_delay_alu instid0(SALU_CYCLE_1)
	s_mov_b32 s0, exec_lo
	v_cmpx_lt_u32_e64 v51, v21
	s_cbranch_execz .LBB1879_655
.LBB1879_640:                           ;   in Loop: Header=BB1879_611 Depth=2
	v_cmp_lt_i16_e32 vcc_lo, -1, v15
	v_lshlrev_b32_e32 v5, 2, v48
	v_cndmask_b32_e64 v4, -1, 0xffff8000, vcc_lo
	s_delay_alu instid0(VALU_DEP_1) | instskip(NEXT) | instid1(VALU_DEP_1)
	v_xor_b32_e32 v4, v4, v15
	v_cmp_ne_u16_e32 vcc_lo, 0x7fff, v4
	v_cndmask_b32_e32 v4, 0xffff8000, v4, vcc_lo
	s_delay_alu instid0(VALU_DEP_1) | instskip(NEXT) | instid1(VALU_DEP_1)
	v_and_b32_e32 v4, 0xffff, v4
	v_lshrrev_b32_e32 v4, s49, v4
	s_delay_alu instid0(VALU_DEP_1) | instskip(NEXT) | instid1(VALU_DEP_1)
	v_and_b32_e32 v4, s55, v4
	v_lshl_or_b32 v4, v4, 4, v5
	ds_add_u32 v4, v94
	s_or_b32 exec_lo, exec_lo, s0
	s_delay_alu instid0(SALU_CYCLE_1)
	s_mov_b32 s0, exec_lo
	v_cmpx_lt_u32_e64 v52, v21
	s_cbranch_execnz .LBB1879_656
.LBB1879_641:                           ;   in Loop: Header=BB1879_611 Depth=2
	s_or_b32 exec_lo, exec_lo, s0
	s_delay_alu instid0(SALU_CYCLE_1)
	s_mov_b32 s0, exec_lo
	v_cmpx_lt_u32_e64 v53, v21
	s_cbranch_execz .LBB1879_657
.LBB1879_642:                           ;   in Loop: Header=BB1879_611 Depth=2
	v_cmp_lt_i16_e32 vcc_lo, -1, v13
	v_lshlrev_b32_e32 v5, 2, v48
	v_cndmask_b32_e64 v4, -1, 0xffff8000, vcc_lo
	s_delay_alu instid0(VALU_DEP_1) | instskip(NEXT) | instid1(VALU_DEP_1)
	v_xor_b32_e32 v4, v4, v13
	v_cmp_ne_u16_e32 vcc_lo, 0x7fff, v4
	v_cndmask_b32_e32 v4, 0xffff8000, v4, vcc_lo
	s_delay_alu instid0(VALU_DEP_1) | instskip(NEXT) | instid1(VALU_DEP_1)
	v_and_b32_e32 v4, 0xffff, v4
	v_lshrrev_b32_e32 v4, s49, v4
	s_delay_alu instid0(VALU_DEP_1) | instskip(NEXT) | instid1(VALU_DEP_1)
	v_and_b32_e32 v4, s55, v4
	v_lshl_or_b32 v4, v4, 4, v5
	ds_add_u32 v4, v94
	s_or_b32 exec_lo, exec_lo, s0
	s_delay_alu instid0(SALU_CYCLE_1)
	s_mov_b32 s0, exec_lo
	v_cmpx_lt_u32_e64 v54, v21
	s_cbranch_execnz .LBB1879_658
.LBB1879_643:                           ;   in Loop: Header=BB1879_611 Depth=2
	s_or_b32 exec_lo, exec_lo, s0
	s_delay_alu instid0(SALU_CYCLE_1)
	s_mov_b32 s0, exec_lo
	v_cmpx_lt_u32_e64 v55, v21
	s_cbranch_execz .LBB1879_659
.LBB1879_644:                           ;   in Loop: Header=BB1879_611 Depth=2
	v_cmp_lt_i16_e32 vcc_lo, -1, v11
	v_lshlrev_b32_e32 v5, 2, v48
	v_cndmask_b32_e64 v4, -1, 0xffff8000, vcc_lo
	s_delay_alu instid0(VALU_DEP_1) | instskip(NEXT) | instid1(VALU_DEP_1)
	v_xor_b32_e32 v4, v4, v11
	v_cmp_ne_u16_e32 vcc_lo, 0x7fff, v4
	v_cndmask_b32_e32 v4, 0xffff8000, v4, vcc_lo
	s_delay_alu instid0(VALU_DEP_1) | instskip(NEXT) | instid1(VALU_DEP_1)
	v_and_b32_e32 v4, 0xffff, v4
	v_lshrrev_b32_e32 v4, s49, v4
	s_delay_alu instid0(VALU_DEP_1) | instskip(NEXT) | instid1(VALU_DEP_1)
	v_and_b32_e32 v4, s55, v4
	v_lshl_or_b32 v4, v4, 4, v5
	ds_add_u32 v4, v94
	s_or_b32 exec_lo, exec_lo, s0
	s_delay_alu instid0(SALU_CYCLE_1)
	s_mov_b32 s0, exec_lo
	v_cmpx_lt_u32_e64 v56, v21
	s_cbranch_execnz .LBB1879_660
.LBB1879_645:                           ;   in Loop: Header=BB1879_611 Depth=2
	s_or_b32 exec_lo, exec_lo, s0
	s_delay_alu instid0(SALU_CYCLE_1)
	s_mov_b32 s0, exec_lo
	v_cmpx_lt_u32_e64 v57, v21
	s_cbranch_execz .LBB1879_661
.LBB1879_646:                           ;   in Loop: Header=BB1879_611 Depth=2
	v_cmp_lt_i16_e32 vcc_lo, -1, v9
	v_lshlrev_b32_e32 v5, 2, v48
	v_cndmask_b32_e64 v4, -1, 0xffff8000, vcc_lo
	s_delay_alu instid0(VALU_DEP_1) | instskip(NEXT) | instid1(VALU_DEP_1)
	v_xor_b32_e32 v4, v4, v9
	v_cmp_ne_u16_e32 vcc_lo, 0x7fff, v4
	v_cndmask_b32_e32 v4, 0xffff8000, v4, vcc_lo
	s_delay_alu instid0(VALU_DEP_1) | instskip(NEXT) | instid1(VALU_DEP_1)
	v_and_b32_e32 v4, 0xffff, v4
	v_lshrrev_b32_e32 v4, s49, v4
	s_delay_alu instid0(VALU_DEP_1) | instskip(NEXT) | instid1(VALU_DEP_1)
	v_and_b32_e32 v4, s55, v4
	v_lshl_or_b32 v4, v4, 4, v5
	ds_add_u32 v4, v94
	s_or_b32 exec_lo, exec_lo, s0
	s_delay_alu instid0(SALU_CYCLE_1)
	s_mov_b32 s0, exec_lo
	v_cmpx_lt_u32_e64 v58, v21
	s_cbranch_execnz .LBB1879_662
.LBB1879_647:                           ;   in Loop: Header=BB1879_611 Depth=2
	s_or_b32 exec_lo, exec_lo, s0
	s_delay_alu instid0(SALU_CYCLE_1)
	s_mov_b32 s0, exec_lo
	v_cmpx_lt_u32_e64 v59, v21
	s_cbranch_execz .LBB1879_663
.LBB1879_648:                           ;   in Loop: Header=BB1879_611 Depth=2
	v_cmp_lt_i16_e32 vcc_lo, -1, v7
	v_lshlrev_b32_e32 v5, 2, v48
	v_cndmask_b32_e64 v4, -1, 0xffff8000, vcc_lo
	s_delay_alu instid0(VALU_DEP_1) | instskip(NEXT) | instid1(VALU_DEP_1)
	v_xor_b32_e32 v4, v4, v7
	v_cmp_ne_u16_e32 vcc_lo, 0x7fff, v4
	v_cndmask_b32_e32 v4, 0xffff8000, v4, vcc_lo
	s_delay_alu instid0(VALU_DEP_1) | instskip(NEXT) | instid1(VALU_DEP_1)
	v_and_b32_e32 v4, 0xffff, v4
	v_lshrrev_b32_e32 v4, s49, v4
	s_delay_alu instid0(VALU_DEP_1) | instskip(NEXT) | instid1(VALU_DEP_1)
	v_and_b32_e32 v4, s55, v4
	v_lshl_or_b32 v4, v4, 4, v5
	ds_add_u32 v4, v94
	s_or_b32 exec_lo, exec_lo, s0
	s_delay_alu instid0(SALU_CYCLE_1)
	s_mov_b32 s0, exec_lo
	v_cmpx_lt_u32_e64 v60, v21
	s_cbranch_execnz .LBB1879_664
.LBB1879_649:                           ;   in Loop: Header=BB1879_611 Depth=2
	s_or_b32 exec_lo, exec_lo, s0
	s_delay_alu instid0(SALU_CYCLE_1)
	s_mov_b32 s0, exec_lo
	v_cmpx_lt_u32_e64 v61, v21
	s_cbranch_execz .LBB1879_665
.LBB1879_650:                           ;   in Loop: Header=BB1879_611 Depth=2
	v_cmp_lt_i16_e32 vcc_lo, -1, v2
	v_lshlrev_b32_e32 v5, 2, v48
	v_cndmask_b32_e64 v4, -1, 0xffff8000, vcc_lo
	s_delay_alu instid0(VALU_DEP_1) | instskip(NEXT) | instid1(VALU_DEP_1)
	v_xor_b32_e32 v4, v4, v2
	v_cmp_ne_u16_e32 vcc_lo, 0x7fff, v4
	v_cndmask_b32_e32 v4, 0xffff8000, v4, vcc_lo
	s_delay_alu instid0(VALU_DEP_1) | instskip(NEXT) | instid1(VALU_DEP_1)
	v_and_b32_e32 v4, 0xffff, v4
	v_lshrrev_b32_e32 v4, s49, v4
	s_delay_alu instid0(VALU_DEP_1) | instskip(NEXT) | instid1(VALU_DEP_1)
	v_and_b32_e32 v4, s55, v4
	v_lshl_or_b32 v4, v4, 4, v5
	ds_add_u32 v4, v94
	s_or_b32 exec_lo, exec_lo, s0
	s_delay_alu instid0(SALU_CYCLE_1)
	s_mov_b32 s0, exec_lo
	v_cmpx_lt_u32_e64 v63, v21
	s_cbranch_execz .LBB1879_610
	s_branch .LBB1879_666
.LBB1879_651:                           ;   in Loop: Header=BB1879_611 Depth=2
	s_or_b32 exec_lo, exec_lo, s0
	s_delay_alu instid0(SALU_CYCLE_1)
	s_mov_b32 s0, exec_lo
	v_cmpx_lt_u32_e64 v45, v21
	s_cbranch_execz .LBB1879_637
.LBB1879_652:                           ;   in Loop: Header=BB1879_611 Depth=2
	v_cmp_lt_i16_e32 vcc_lo, -1, v18
	v_lshlrev_b32_e32 v5, 2, v48
	v_cndmask_b32_e64 v4, -1, 0xffff8000, vcc_lo
	s_delay_alu instid0(VALU_DEP_1) | instskip(NEXT) | instid1(VALU_DEP_1)
	v_xor_b32_e32 v4, v4, v18
	v_cmp_ne_u16_e32 vcc_lo, 0x7fff, v4
	v_cndmask_b32_e32 v4, 0xffff8000, v4, vcc_lo
	s_delay_alu instid0(VALU_DEP_1) | instskip(NEXT) | instid1(VALU_DEP_1)
	v_and_b32_e32 v4, 0xffff, v4
	v_lshrrev_b32_e32 v4, s49, v4
	s_delay_alu instid0(VALU_DEP_1) | instskip(NEXT) | instid1(VALU_DEP_1)
	v_and_b32_e32 v4, s55, v4
	v_lshl_or_b32 v4, v4, 4, v5
	ds_add_u32 v4, v94
	s_or_b32 exec_lo, exec_lo, s0
	s_delay_alu instid0(SALU_CYCLE_1)
	s_mov_b32 s0, exec_lo
	v_cmpx_lt_u32_e64 v46, v21
	s_cbranch_execnz .LBB1879_638
.LBB1879_653:                           ;   in Loop: Header=BB1879_611 Depth=2
	s_or_b32 exec_lo, exec_lo, s0
	s_delay_alu instid0(SALU_CYCLE_1)
	s_mov_b32 s0, exec_lo
	v_cmpx_lt_u32_e64 v47, v21
	s_cbranch_execz .LBB1879_639
.LBB1879_654:                           ;   in Loop: Header=BB1879_611 Depth=2
	v_cmp_lt_i16_e32 vcc_lo, -1, v16
	v_lshlrev_b32_e32 v5, 2, v48
	v_cndmask_b32_e64 v4, -1, 0xffff8000, vcc_lo
	s_delay_alu instid0(VALU_DEP_1) | instskip(NEXT) | instid1(VALU_DEP_1)
	v_xor_b32_e32 v4, v4, v16
	v_cmp_ne_u16_e32 vcc_lo, 0x7fff, v4
	v_cndmask_b32_e32 v4, 0xffff8000, v4, vcc_lo
	s_delay_alu instid0(VALU_DEP_1) | instskip(NEXT) | instid1(VALU_DEP_1)
	v_and_b32_e32 v4, 0xffff, v4
	v_lshrrev_b32_e32 v4, s49, v4
	s_delay_alu instid0(VALU_DEP_1) | instskip(NEXT) | instid1(VALU_DEP_1)
	v_and_b32_e32 v4, s55, v4
	v_lshl_or_b32 v4, v4, 4, v5
	ds_add_u32 v4, v94
	s_or_b32 exec_lo, exec_lo, s0
	s_delay_alu instid0(SALU_CYCLE_1)
	s_mov_b32 s0, exec_lo
	v_cmpx_lt_u32_e64 v51, v21
	s_cbranch_execnz .LBB1879_640
.LBB1879_655:                           ;   in Loop: Header=BB1879_611 Depth=2
	s_or_b32 exec_lo, exec_lo, s0
	s_delay_alu instid0(SALU_CYCLE_1)
	s_mov_b32 s0, exec_lo
	v_cmpx_lt_u32_e64 v52, v21
	s_cbranch_execz .LBB1879_641
.LBB1879_656:                           ;   in Loop: Header=BB1879_611 Depth=2
	v_cmp_lt_i16_e32 vcc_lo, -1, v14
	v_lshlrev_b32_e32 v5, 2, v48
	v_cndmask_b32_e64 v4, -1, 0xffff8000, vcc_lo
	s_delay_alu instid0(VALU_DEP_1) | instskip(NEXT) | instid1(VALU_DEP_1)
	v_xor_b32_e32 v4, v4, v14
	v_cmp_ne_u16_e32 vcc_lo, 0x7fff, v4
	v_cndmask_b32_e32 v4, 0xffff8000, v4, vcc_lo
	s_delay_alu instid0(VALU_DEP_1) | instskip(NEXT) | instid1(VALU_DEP_1)
	v_and_b32_e32 v4, 0xffff, v4
	v_lshrrev_b32_e32 v4, s49, v4
	s_delay_alu instid0(VALU_DEP_1) | instskip(NEXT) | instid1(VALU_DEP_1)
	v_and_b32_e32 v4, s55, v4
	v_lshl_or_b32 v4, v4, 4, v5
	ds_add_u32 v4, v94
	s_or_b32 exec_lo, exec_lo, s0
	s_delay_alu instid0(SALU_CYCLE_1)
	s_mov_b32 s0, exec_lo
	v_cmpx_lt_u32_e64 v53, v21
	s_cbranch_execnz .LBB1879_642
.LBB1879_657:                           ;   in Loop: Header=BB1879_611 Depth=2
	s_or_b32 exec_lo, exec_lo, s0
	s_delay_alu instid0(SALU_CYCLE_1)
	s_mov_b32 s0, exec_lo
	v_cmpx_lt_u32_e64 v54, v21
	s_cbranch_execz .LBB1879_643
.LBB1879_658:                           ;   in Loop: Header=BB1879_611 Depth=2
	v_cmp_lt_i16_e32 vcc_lo, -1, v12
	v_lshlrev_b32_e32 v5, 2, v48
	v_cndmask_b32_e64 v4, -1, 0xffff8000, vcc_lo
	s_delay_alu instid0(VALU_DEP_1) | instskip(NEXT) | instid1(VALU_DEP_1)
	v_xor_b32_e32 v4, v4, v12
	v_cmp_ne_u16_e32 vcc_lo, 0x7fff, v4
	v_cndmask_b32_e32 v4, 0xffff8000, v4, vcc_lo
	s_delay_alu instid0(VALU_DEP_1) | instskip(NEXT) | instid1(VALU_DEP_1)
	v_and_b32_e32 v4, 0xffff, v4
	v_lshrrev_b32_e32 v4, s49, v4
	s_delay_alu instid0(VALU_DEP_1) | instskip(NEXT) | instid1(VALU_DEP_1)
	v_and_b32_e32 v4, s55, v4
	v_lshl_or_b32 v4, v4, 4, v5
	ds_add_u32 v4, v94
	s_or_b32 exec_lo, exec_lo, s0
	s_delay_alu instid0(SALU_CYCLE_1)
	s_mov_b32 s0, exec_lo
	v_cmpx_lt_u32_e64 v55, v21
	s_cbranch_execnz .LBB1879_644
.LBB1879_659:                           ;   in Loop: Header=BB1879_611 Depth=2
	s_or_b32 exec_lo, exec_lo, s0
	s_delay_alu instid0(SALU_CYCLE_1)
	s_mov_b32 s0, exec_lo
	v_cmpx_lt_u32_e64 v56, v21
	s_cbranch_execz .LBB1879_645
.LBB1879_660:                           ;   in Loop: Header=BB1879_611 Depth=2
	v_cmp_lt_i16_e32 vcc_lo, -1, v10
	v_lshlrev_b32_e32 v5, 2, v48
	v_cndmask_b32_e64 v4, -1, 0xffff8000, vcc_lo
	s_delay_alu instid0(VALU_DEP_1) | instskip(NEXT) | instid1(VALU_DEP_1)
	v_xor_b32_e32 v4, v4, v10
	v_cmp_ne_u16_e32 vcc_lo, 0x7fff, v4
	v_cndmask_b32_e32 v4, 0xffff8000, v4, vcc_lo
	s_delay_alu instid0(VALU_DEP_1) | instskip(NEXT) | instid1(VALU_DEP_1)
	v_and_b32_e32 v4, 0xffff, v4
	v_lshrrev_b32_e32 v4, s49, v4
	s_delay_alu instid0(VALU_DEP_1) | instskip(NEXT) | instid1(VALU_DEP_1)
	v_and_b32_e32 v4, s55, v4
	v_lshl_or_b32 v4, v4, 4, v5
	ds_add_u32 v4, v94
	s_or_b32 exec_lo, exec_lo, s0
	s_delay_alu instid0(SALU_CYCLE_1)
	s_mov_b32 s0, exec_lo
	v_cmpx_lt_u32_e64 v57, v21
	s_cbranch_execnz .LBB1879_646
.LBB1879_661:                           ;   in Loop: Header=BB1879_611 Depth=2
	s_or_b32 exec_lo, exec_lo, s0
	s_delay_alu instid0(SALU_CYCLE_1)
	s_mov_b32 s0, exec_lo
	v_cmpx_lt_u32_e64 v58, v21
	s_cbranch_execz .LBB1879_647
.LBB1879_662:                           ;   in Loop: Header=BB1879_611 Depth=2
	v_cmp_lt_i16_e32 vcc_lo, -1, v8
	v_lshlrev_b32_e32 v5, 2, v48
	v_cndmask_b32_e64 v4, -1, 0xffff8000, vcc_lo
	s_delay_alu instid0(VALU_DEP_1) | instskip(NEXT) | instid1(VALU_DEP_1)
	v_xor_b32_e32 v4, v4, v8
	v_cmp_ne_u16_e32 vcc_lo, 0x7fff, v4
	v_cndmask_b32_e32 v4, 0xffff8000, v4, vcc_lo
	s_delay_alu instid0(VALU_DEP_1) | instskip(NEXT) | instid1(VALU_DEP_1)
	v_and_b32_e32 v4, 0xffff, v4
	v_lshrrev_b32_e32 v4, s49, v4
	s_delay_alu instid0(VALU_DEP_1) | instskip(NEXT) | instid1(VALU_DEP_1)
	v_and_b32_e32 v4, s55, v4
	v_lshl_or_b32 v4, v4, 4, v5
	ds_add_u32 v4, v94
	s_or_b32 exec_lo, exec_lo, s0
	s_delay_alu instid0(SALU_CYCLE_1)
	s_mov_b32 s0, exec_lo
	v_cmpx_lt_u32_e64 v59, v21
	s_cbranch_execnz .LBB1879_648
.LBB1879_663:                           ;   in Loop: Header=BB1879_611 Depth=2
	s_or_b32 exec_lo, exec_lo, s0
	s_delay_alu instid0(SALU_CYCLE_1)
	s_mov_b32 s0, exec_lo
	v_cmpx_lt_u32_e64 v60, v21
	s_cbranch_execz .LBB1879_649
.LBB1879_664:                           ;   in Loop: Header=BB1879_611 Depth=2
	v_cmp_lt_i16_e32 vcc_lo, -1, v6
	v_lshlrev_b32_e32 v5, 2, v48
	v_cndmask_b32_e64 v4, -1, 0xffff8000, vcc_lo
	s_delay_alu instid0(VALU_DEP_1) | instskip(NEXT) | instid1(VALU_DEP_1)
	v_xor_b32_e32 v4, v4, v6
	v_cmp_ne_u16_e32 vcc_lo, 0x7fff, v4
	v_cndmask_b32_e32 v4, 0xffff8000, v4, vcc_lo
	s_delay_alu instid0(VALU_DEP_1) | instskip(NEXT) | instid1(VALU_DEP_1)
	v_and_b32_e32 v4, 0xffff, v4
	v_lshrrev_b32_e32 v4, s49, v4
	s_delay_alu instid0(VALU_DEP_1) | instskip(NEXT) | instid1(VALU_DEP_1)
	v_and_b32_e32 v4, s55, v4
	v_lshl_or_b32 v4, v4, 4, v5
	ds_add_u32 v4, v94
	s_or_b32 exec_lo, exec_lo, s0
	s_delay_alu instid0(SALU_CYCLE_1)
	s_mov_b32 s0, exec_lo
	v_cmpx_lt_u32_e64 v61, v21
	s_cbranch_execnz .LBB1879_650
.LBB1879_665:                           ;   in Loop: Header=BB1879_611 Depth=2
	s_or_b32 exec_lo, exec_lo, s0
	s_delay_alu instid0(SALU_CYCLE_1)
	s_mov_b32 s0, exec_lo
	v_cmpx_lt_u32_e64 v63, v21
	s_cbranch_execz .LBB1879_610
.LBB1879_666:                           ;   in Loop: Header=BB1879_611 Depth=2
	s_waitcnt vmcnt(0)
	v_cmp_lt_i16_e32 vcc_lo, -1, v20
	v_lshlrev_b32_e32 v5, 2, v48
	v_cndmask_b32_e64 v4, -1, 0xffff8000, vcc_lo
	s_delay_alu instid0(VALU_DEP_1) | instskip(NEXT) | instid1(VALU_DEP_1)
	v_xor_b32_e32 v4, v4, v20
	v_cmp_ne_u16_e32 vcc_lo, 0x7fff, v4
	v_cndmask_b32_e32 v4, 0xffff8000, v4, vcc_lo
	s_delay_alu instid0(VALU_DEP_1) | instskip(NEXT) | instid1(VALU_DEP_1)
	v_and_b32_e32 v4, 0xffff, v4
	v_lshrrev_b32_e32 v4, s49, v4
	s_delay_alu instid0(VALU_DEP_1) | instskip(NEXT) | instid1(VALU_DEP_1)
	v_and_b32_e32 v4, s55, v4
	v_lshl_or_b32 v4, v4, 4, v5
	ds_add_u32 v4, v94
	s_branch .LBB1879_610
.LBB1879_667:                           ;   in Loop: Header=BB1879_611 Depth=2
	s_or_b32 exec_lo, exec_lo, s11
	s_delay_alu instid0(SALU_CYCLE_1)
	s_mov_b32 s11, exec_lo
	v_cmpx_gt_u32_e64 s8, v45
	s_cbranch_execz .LBB1879_617
.LBB1879_668:                           ;   in Loop: Header=BB1879_611 Depth=2
	global_load_u16 v18, v95, s[0:1] offset:512
	s_or_b32 exec_lo, exec_lo, s11
	s_delay_alu instid0(SALU_CYCLE_1)
	s_mov_b32 s11, exec_lo
	v_cmpx_gt_u32_e64 s8, v46
	s_cbranch_execnz .LBB1879_618
.LBB1879_669:                           ;   in Loop: Header=BB1879_611 Depth=2
	s_or_b32 exec_lo, exec_lo, s11
	s_delay_alu instid0(SALU_CYCLE_1)
	s_mov_b32 s11, exec_lo
	v_cmpx_gt_u32_e64 s8, v47
	s_cbranch_execz .LBB1879_619
.LBB1879_670:                           ;   in Loop: Header=BB1879_611 Depth=2
	global_load_u16 v16, v95, s[0:1] offset:1536
	s_or_b32 exec_lo, exec_lo, s11
	s_delay_alu instid0(SALU_CYCLE_1)
	s_mov_b32 s11, exec_lo
	v_cmpx_gt_u32_e64 s8, v51
	s_cbranch_execnz .LBB1879_620
.LBB1879_671:                           ;   in Loop: Header=BB1879_611 Depth=2
	s_or_b32 exec_lo, exec_lo, s11
	s_delay_alu instid0(SALU_CYCLE_1)
	s_mov_b32 s11, exec_lo
	v_cmpx_gt_u32_e64 s8, v52
	s_cbranch_execz .LBB1879_621
.LBB1879_672:                           ;   in Loop: Header=BB1879_611 Depth=2
	global_load_u16 v14, v95, s[0:1] offset:2560
	s_or_b32 exec_lo, exec_lo, s11
	s_delay_alu instid0(SALU_CYCLE_1)
	s_mov_b32 s11, exec_lo
	v_cmpx_gt_u32_e64 s8, v53
	s_cbranch_execnz .LBB1879_622
.LBB1879_673:                           ;   in Loop: Header=BB1879_611 Depth=2
	s_or_b32 exec_lo, exec_lo, s11
	s_delay_alu instid0(SALU_CYCLE_1)
	s_mov_b32 s11, exec_lo
	v_cmpx_gt_u32_e64 s8, v54
	s_cbranch_execz .LBB1879_623
.LBB1879_674:                           ;   in Loop: Header=BB1879_611 Depth=2
	global_load_u16 v12, v95, s[0:1] offset:3584
	s_or_b32 exec_lo, exec_lo, s11
	s_delay_alu instid0(SALU_CYCLE_1)
	s_mov_b32 s11, exec_lo
	v_cmpx_gt_u32_e64 s8, v55
	s_cbranch_execnz .LBB1879_624
.LBB1879_675:                           ;   in Loop: Header=BB1879_611 Depth=2
	s_or_b32 exec_lo, exec_lo, s11
	s_delay_alu instid0(SALU_CYCLE_1)
	s_mov_b32 s11, exec_lo
	v_cmpx_gt_u32_e64 s8, v56
	s_cbranch_execz .LBB1879_625
.LBB1879_676:                           ;   in Loop: Header=BB1879_611 Depth=2
	global_load_u16 v10, v97, s[0:1]
	s_or_b32 exec_lo, exec_lo, s11
	s_delay_alu instid0(SALU_CYCLE_1)
	s_mov_b32 s11, exec_lo
	v_cmpx_gt_u32_e64 s8, v57
	s_cbranch_execnz .LBB1879_626
.LBB1879_677:                           ;   in Loop: Header=BB1879_611 Depth=2
	s_or_b32 exec_lo, exec_lo, s11
	s_delay_alu instid0(SALU_CYCLE_1)
	s_mov_b32 s11, exec_lo
	v_cmpx_gt_u32_e64 s8, v58
	s_cbranch_execz .LBB1879_627
.LBB1879_678:                           ;   in Loop: Header=BB1879_611 Depth=2
	global_load_u16 v8, v99, s[0:1]
	s_or_b32 exec_lo, exec_lo, s11
	s_delay_alu instid0(SALU_CYCLE_1)
	s_mov_b32 s11, exec_lo
	v_cmpx_gt_u32_e64 s8, v59
	s_cbranch_execnz .LBB1879_628
.LBB1879_679:                           ;   in Loop: Header=BB1879_611 Depth=2
	s_or_b32 exec_lo, exec_lo, s11
	s_delay_alu instid0(SALU_CYCLE_1)
	s_mov_b32 s11, exec_lo
	v_cmpx_gt_u32_e64 s8, v60
	s_cbranch_execz .LBB1879_629
.LBB1879_680:                           ;   in Loop: Header=BB1879_611 Depth=2
	global_load_u16 v6, v101, s[0:1]
	s_or_b32 exec_lo, exec_lo, s11
	s_delay_alu instid0(SALU_CYCLE_1)
	s_mov_b32 s11, exec_lo
	v_cmpx_gt_u32_e64 s8, v61
	s_cbranch_execz .LBB1879_631
	s_branch .LBB1879_630
.LBB1879_681:                           ;   in Loop: Header=BB1879_17 Depth=1
	v_mov_b32_e32 v2, 0
	s_waitcnt vmcnt(0) lgkmcnt(0)
	s_barrier
	buffer_gl0_inv
	s_and_saveexec_b32 s0, s2
	s_cbranch_execz .LBB1879_683
; %bb.682:                              ;   in Loop: Header=BB1879_17 Depth=1
	ds_load_2addr_b64 v[4:7], v64 offset1:1
	s_waitcnt lgkmcnt(0)
	v_add_nc_u32_e32 v2, v5, v4
	s_delay_alu instid0(VALU_DEP_1)
	v_add3_u32 v2, v2, v6, v7
.LBB1879_683:                           ;   in Loop: Header=BB1879_17 Depth=1
	s_or_b32 exec_lo, exec_lo, s0
	v_and_b32_e32 v4, 15, v104
	s_delay_alu instid0(VALU_DEP_2) | instskip(SKIP_1) | instid1(VALU_DEP_3)
	v_mov_b32_dpp v5, v2 row_shr:1 row_mask:0xf bank_mask:0xf
	v_and_b32_e32 v6, 16, v104
	v_cmp_eq_u32_e64 s0, 0, v4
	v_cmp_lt_u32_e64 s1, 1, v4
	v_cmp_lt_u32_e64 s8, 3, v4
	;; [unrolled: 1-line block ×3, first 2 shown]
	v_cmp_eq_u32_e64 s10, 0, v6
	v_cndmask_b32_e64 v5, v5, 0, s0
	s_delay_alu instid0(VALU_DEP_1) | instskip(NEXT) | instid1(VALU_DEP_1)
	v_add_nc_u32_e32 v2, v5, v2
	v_mov_b32_dpp v5, v2 row_shr:2 row_mask:0xf bank_mask:0xf
	s_delay_alu instid0(VALU_DEP_1) | instskip(NEXT) | instid1(VALU_DEP_1)
	v_cndmask_b32_e64 v5, 0, v5, s1
	v_add_nc_u32_e32 v2, v2, v5
	s_delay_alu instid0(VALU_DEP_1) | instskip(NEXT) | instid1(VALU_DEP_1)
	v_mov_b32_dpp v5, v2 row_shr:4 row_mask:0xf bank_mask:0xf
	v_cndmask_b32_e64 v5, 0, v5, s8
	s_delay_alu instid0(VALU_DEP_1) | instskip(NEXT) | instid1(VALU_DEP_1)
	v_add_nc_u32_e32 v2, v2, v5
	v_mov_b32_dpp v5, v2 row_shr:8 row_mask:0xf bank_mask:0xf
	s_delay_alu instid0(VALU_DEP_1) | instskip(SKIP_1) | instid1(VALU_DEP_2)
	v_cndmask_b32_e64 v4, 0, v5, s9
	v_bfe_i32 v5, v104, 4, 1
	v_add_nc_u32_e32 v2, v2, v4
	ds_swizzle_b32 v4, v2 offset:swizzle(BROADCAST,32,15)
	s_waitcnt lgkmcnt(0)
	v_and_b32_e32 v4, v5, v4
	s_delay_alu instid0(VALU_DEP_1)
	v_add_nc_u32_e32 v4, v2, v4
	s_and_saveexec_b32 s11, s3
	s_cbranch_execz .LBB1879_685
; %bb.684:                              ;   in Loop: Header=BB1879_17 Depth=1
	ds_store_b32 v65, v4
.LBB1879_685:                           ;   in Loop: Header=BB1879_17 Depth=1
	s_or_b32 exec_lo, exec_lo, s11
	v_and_b32_e32 v2, 7, v104
	s_waitcnt lgkmcnt(0)
	s_barrier
	buffer_gl0_inv
	s_and_saveexec_b32 s11, s4
	s_cbranch_execz .LBB1879_687
; %bb.686:                              ;   in Loop: Header=BB1879_17 Depth=1
	ds_load_b32 v5, v66
	v_cmp_ne_u32_e32 vcc_lo, 0, v2
	s_waitcnt lgkmcnt(0)
	v_mov_b32_dpp v6, v5 row_shr:1 row_mask:0xf bank_mask:0xf
	s_delay_alu instid0(VALU_DEP_1) | instskip(SKIP_1) | instid1(VALU_DEP_2)
	v_cndmask_b32_e32 v6, 0, v6, vcc_lo
	v_cmp_lt_u32_e32 vcc_lo, 1, v2
	v_add_nc_u32_e32 v5, v6, v5
	s_delay_alu instid0(VALU_DEP_1) | instskip(NEXT) | instid1(VALU_DEP_1)
	v_mov_b32_dpp v6, v5 row_shr:2 row_mask:0xf bank_mask:0xf
	v_cndmask_b32_e32 v6, 0, v6, vcc_lo
	v_cmp_lt_u32_e32 vcc_lo, 3, v2
	s_delay_alu instid0(VALU_DEP_2) | instskip(NEXT) | instid1(VALU_DEP_1)
	v_add_nc_u32_e32 v5, v5, v6
	v_mov_b32_dpp v6, v5 row_shr:4 row_mask:0xf bank_mask:0xf
	s_delay_alu instid0(VALU_DEP_1) | instskip(NEXT) | instid1(VALU_DEP_1)
	v_cndmask_b32_e32 v6, 0, v6, vcc_lo
	v_add_nc_u32_e32 v5, v5, v6
	ds_store_b32 v66, v5
.LBB1879_687:                           ;   in Loop: Header=BB1879_17 Depth=1
	s_or_b32 exec_lo, exec_lo, s11
	v_mov_b32_e32 v5, 0
	s_waitcnt lgkmcnt(0)
	s_barrier
	buffer_gl0_inv
	s_and_saveexec_b32 s11, s5
	s_cbranch_execz .LBB1879_689
; %bb.688:                              ;   in Loop: Header=BB1879_17 Depth=1
	ds_load_b32 v5, v67
.LBB1879_689:                           ;   in Loop: Header=BB1879_17 Depth=1
	s_or_b32 exec_lo, exec_lo, s11
	v_add_nc_u32_e32 v6, -1, v104
	s_waitcnt lgkmcnt(0)
	v_add_nc_u32_e32 v4, v5, v4
	v_cmp_eq_u32_e64 s11, 0, v104
	s_barrier
	v_cmp_gt_i32_e32 vcc_lo, 0, v6
	buffer_gl0_inv
	v_cndmask_b32_e32 v6, v6, v104, vcc_lo
	s_delay_alu instid0(VALU_DEP_1)
	v_lshlrev_b32_e32 v105, 2, v6
	ds_bpermute_b32 v4, v105, v4
	s_and_saveexec_b32 s12, s2
	s_cbranch_execz .LBB1879_691
; %bb.690:                              ;   in Loop: Header=BB1879_17 Depth=1
	s_waitcnt lgkmcnt(0)
	v_cndmask_b32_e64 v4, v4, v5, s11
	s_delay_alu instid0(VALU_DEP_1)
	v_add_nc_u32_e32 v4, s52, v4
	ds_store_b32 v44, v4
.LBB1879_691:                           ;   in Loop: Header=BB1879_17 Depth=1
	s_or_b32 exec_lo, exec_lo, s12
	s_load_b64 s[12:13], s[42:43], 0x0
	v_lshlrev_b32_e32 v5, 3, v104
	v_or_b32_e32 v106, v104, v68
	s_mov_b32 s56, s54
	s_mov_b32 s34, s52
                                        ; implicit-def: $vgpr8_vgpr9
                                        ; implicit-def: $vgpr10_vgpr11
                                        ; implicit-def: $vgpr12_vgpr13
                                        ; implicit-def: $vgpr14_vgpr15
                                        ; implicit-def: $vgpr16_vgpr17
                                        ; implicit-def: $vgpr18_vgpr19
                                        ; implicit-def: $vgpr20_vgpr21
                                        ; implicit-def: $vgpr22_vgpr23
                                        ; implicit-def: $vgpr24_vgpr25
                                        ; implicit-def: $vgpr26_vgpr27
                                        ; implicit-def: $vgpr28_vgpr29
                                        ; implicit-def: $vgpr30_vgpr31
                                        ; implicit-def: $vgpr32_vgpr33
                                        ; implicit-def: $vgpr34_vgpr35
                                        ; implicit-def: $vgpr129
                                        ; implicit-def: $vgpr130
                                        ; implicit-def: $vgpr131
                                        ; implicit-def: $vgpr132
                                        ; implicit-def: $vgpr133
                                        ; implicit-def: $vgpr134
                                        ; implicit-def: $vgpr135
                                        ; implicit-def: $vgpr136
                                        ; implicit-def: $vgpr137
                                        ; implicit-def: $vgpr138
                                        ; implicit-def: $vgpr139
                                        ; implicit-def: $vgpr140
                                        ; implicit-def: $vgpr141
                                        ; implicit-def: $vgpr142
                                        ; implicit-def: $vgpr143
                                        ; implicit-def: $vgpr144
	s_delay_alu instid0(VALU_DEP_2)
	v_add_co_u32 v107, vcc_lo, v90, v5
	v_add_co_ci_u32_e32 v108, vcc_lo, 0, v91, vcc_lo
	v_or_b32_e32 v109, 32, v106
	v_or_b32_e32 v110, 64, v106
	;; [unrolled: 1-line block ×10, first 2 shown]
	s_waitcnt lgkmcnt(0)
	s_cmp_lt_u32 s15, s13
	v_or_b32_e32 v119, 0x160, v106
	s_cselect_b32 s13, 14, 20
	v_or_b32_e32 v120, 0x180, v106
	s_add_u32 s16, s42, s13
	s_addc_u32 s17, s43, 0
	s_cmp_lt_u32 s14, s12
	global_load_u16 v4, v3, s[16:17]
	s_cselect_b32 s12, 12, 18
	v_or_b32_e32 v121, 0x1a0, v106
	s_add_u32 s12, s42, s12
	s_addc_u32 s13, s43, 0
	v_or_b32_e32 v122, 0x1c0, v106
	global_load_u16 v6, v3, s[12:13]
	v_cmp_eq_u32_e64 s12, 0, v2
	v_cmp_lt_u32_e64 s13, 1, v2
	v_cmp_lt_u32_e64 s16, 3, v2
	v_lshlrev_b32_e32 v2, 1, v104
	v_or_b32_e32 v123, 0x1e0, v106
	s_delay_alu instid0(VALU_DEP_2) | instskip(SKIP_1) | instid1(VALU_DEP_2)
	v_add_co_u32 v124, vcc_lo, v92, v2
	v_add_co_ci_u32_e32 v125, vcc_lo, 0, v93, vcc_lo
	v_add_co_u32 v127, vcc_lo, 0x3c0, v124
	s_delay_alu instid0(VALU_DEP_2) | instskip(SKIP_3) | instid1(VALU_DEP_1)
	v_add_co_ci_u32_e32 v128, vcc_lo, 0, v125, vcc_lo
	s_waitcnt vmcnt(1)
	v_mad_u32_u24 v7, v70, v4, v0
	s_waitcnt vmcnt(0)
	v_mad_u64_u32 v[4:5], null, v7, v6, v[1:2]
                                        ; implicit-def: $vgpr6_vgpr7
	s_delay_alu instid0(VALU_DEP_1)
	v_lshrrev_b32_e32 v126, 5, v4
                                        ; implicit-def: $vgpr4_vgpr5
	s_branch .LBB1879_693
.LBB1879_692:                           ;   in Loop: Header=BB1879_693 Depth=2
	s_or_b32 exec_lo, exec_lo, s17
	s_addk_i32 s56, 0xf000
	s_cmp_lt_u32 s57, s53
	s_mov_b32 s34, s57
	s_cbranch_scc0 .LBB1879_901
.LBB1879_693:                           ;   Parent Loop BB1879_17 Depth=1
                                        ; =>  This Inner Loop Header: Depth=2
	s_add_i32 s57, s34, 0x1000
	s_delay_alu instid0(SALU_CYCLE_1)
	s_cmp_gt_u32 s57, s53
	s_cbranch_scc1 .LBB1879_696
; %bb.694:                              ;   in Loop: Header=BB1879_693 Depth=2
	s_mov_b32 s19, 0
	s_mov_b32 s18, s34
	s_movk_i32 s17, 0x1000
	s_lshl_b64 s[20:21], s[18:19], 1
	s_delay_alu instid0(SALU_CYCLE_1)
	v_add_co_u32 v36, vcc_lo, v124, s20
	v_add_co_ci_u32_e32 v37, vcc_lo, s21, v125, vcc_lo
	s_mov_b32 s20, -1
	s_clause 0xe
	global_load_u16 v2, v[36:37], off
	global_load_u16 v146, v[36:37], off offset:64
	global_load_u16 v149, v[36:37], off offset:128
	;; [unrolled: 1-line block ×14, first 2 shown]
	s_cbranch_execz .LBB1879_697
; %bb.695:                              ;   in Loop: Header=BB1879_693 Depth=2
                                        ; implicit-def: $sgpr21
	v_dual_mov_b32 v36, s21 :: v_dual_mov_b32 v145, s56
	s_and_saveexec_b32 s21, s20
	s_cbranch_execnz .LBB1879_728
	s_branch .LBB1879_729
.LBB1879_696:                           ;   in Loop: Header=BB1879_693 Depth=2
	s_mov_b32 s19, -1
	s_mov_b32 s20, 0
                                        ; implicit-def: $sgpr17
                                        ; implicit-def: $vgpr2
                                        ; implicit-def: $vgpr146
                                        ; implicit-def: $vgpr149
                                        ; implicit-def: $vgpr153
                                        ; implicit-def: $vgpr157
                                        ; implicit-def: $vgpr161
                                        ; implicit-def: $vgpr165
                                        ; implicit-def: $vgpr170
                                        ; implicit-def: $vgpr169
                                        ; implicit-def: $vgpr43
                                        ; implicit-def: $vgpr42
                                        ; implicit-def: $vgpr41
                                        ; implicit-def: $vgpr40
                                        ; implicit-def: $vgpr39
                                        ; implicit-def: $vgpr38
.LBB1879_697:                           ;   in Loop: Header=BB1879_693 Depth=2
	s_lshl_b64 s[18:19], s[34:35], 1
	s_waitcnt vmcnt(13)
	v_mov_b32_e32 v146, 0x7fff
	v_add_co_u32 v36, vcc_lo, v124, s18
	v_add_co_ci_u32_e32 v37, vcc_lo, s19, v125, vcc_lo
	v_mov_b32_e32 v2, 0x7fff
	s_mov_b32 s17, exec_lo
	v_cmpx_gt_u32_e64 s56, v106
	s_cbranch_execz .LBB1879_699
; %bb.698:                              ;   in Loop: Header=BB1879_693 Depth=2
	global_load_u16 v2, v[36:37], off
.LBB1879_699:                           ;   in Loop: Header=BB1879_693 Depth=2
	s_or_b32 exec_lo, exec_lo, s17
	s_delay_alu instid0(SALU_CYCLE_1)
	s_mov_b32 s17, exec_lo
	v_cmpx_gt_u32_e64 s56, v109
	s_cbranch_execz .LBB1879_701
; %bb.700:                              ;   in Loop: Header=BB1879_693 Depth=2
	global_load_u16 v146, v[36:37], off offset:64
.LBB1879_701:                           ;   in Loop: Header=BB1879_693 Depth=2
	s_or_b32 exec_lo, exec_lo, s17
	s_waitcnt vmcnt(11)
	v_mov_b32_e32 v153, 0x7fff
	v_mov_b32_e32 v149, 0x7fff
	s_mov_b32 s17, exec_lo
	v_cmpx_gt_u32_e64 s56, v110
	s_cbranch_execz .LBB1879_703
; %bb.702:                              ;   in Loop: Header=BB1879_693 Depth=2
	global_load_u16 v149, v[36:37], off offset:128
.LBB1879_703:                           ;   in Loop: Header=BB1879_693 Depth=2
	s_or_b32 exec_lo, exec_lo, s17
	s_delay_alu instid0(SALU_CYCLE_1)
	s_mov_b32 s17, exec_lo
	v_cmpx_gt_u32_e64 s56, v111
	s_cbranch_execz .LBB1879_705
; %bb.704:                              ;   in Loop: Header=BB1879_693 Depth=2
	global_load_u16 v153, v[36:37], off offset:192
.LBB1879_705:                           ;   in Loop: Header=BB1879_693 Depth=2
	s_or_b32 exec_lo, exec_lo, s17
	s_waitcnt vmcnt(9)
	v_mov_b32_e32 v161, 0x7fff
	v_mov_b32_e32 v157, 0x7fff
	s_mov_b32 s17, exec_lo
	v_cmpx_gt_u32_e64 s56, v112
	s_cbranch_execz .LBB1879_707
; %bb.706:                              ;   in Loop: Header=BB1879_693 Depth=2
	global_load_u16 v157, v[36:37], off offset:256
.LBB1879_707:                           ;   in Loop: Header=BB1879_693 Depth=2
	s_or_b32 exec_lo, exec_lo, s17
	s_delay_alu instid0(SALU_CYCLE_1)
	s_mov_b32 s17, exec_lo
	v_cmpx_gt_u32_e64 s56, v113
	s_cbranch_execz .LBB1879_709
; %bb.708:                              ;   in Loop: Header=BB1879_693 Depth=2
	global_load_u16 v161, v[36:37], off offset:320
.LBB1879_709:                           ;   in Loop: Header=BB1879_693 Depth=2
	s_or_b32 exec_lo, exec_lo, s17
	s_waitcnt vmcnt(7)
	v_dual_mov_b32 v170, 0x7fff :: v_dual_mov_b32 v165, 0x7fff
	s_mov_b32 s17, exec_lo
	v_cmpx_gt_u32_e64 s56, v114
	s_cbranch_execz .LBB1879_711
; %bb.710:                              ;   in Loop: Header=BB1879_693 Depth=2
	global_load_u16 v165, v[36:37], off offset:384
.LBB1879_711:                           ;   in Loop: Header=BB1879_693 Depth=2
	s_or_b32 exec_lo, exec_lo, s17
	s_delay_alu instid0(SALU_CYCLE_1)
	s_mov_b32 s17, exec_lo
	v_cmpx_gt_u32_e64 s56, v115
	s_cbranch_execz .LBB1879_713
; %bb.712:                              ;   in Loop: Header=BB1879_693 Depth=2
	global_load_u16 v170, v[36:37], off offset:448
.LBB1879_713:                           ;   in Loop: Header=BB1879_693 Depth=2
	s_or_b32 exec_lo, exec_lo, s17
	s_waitcnt vmcnt(5)
	v_mov_b32_e32 v43, 0x7fff
	v_mov_b32_e32 v169, 0x7fff
	s_mov_b32 s17, exec_lo
	v_cmpx_gt_u32_e64 s56, v116
	s_cbranch_execz .LBB1879_715
; %bb.714:                              ;   in Loop: Header=BB1879_693 Depth=2
	global_load_u16 v169, v[36:37], off offset:512
.LBB1879_715:                           ;   in Loop: Header=BB1879_693 Depth=2
	s_or_b32 exec_lo, exec_lo, s17
	s_delay_alu instid0(SALU_CYCLE_1)
	s_mov_b32 s17, exec_lo
	v_cmpx_gt_u32_e64 s56, v117
	s_cbranch_execz .LBB1879_717
; %bb.716:                              ;   in Loop: Header=BB1879_693 Depth=2
	global_load_u16 v43, v[36:37], off offset:576
.LBB1879_717:                           ;   in Loop: Header=BB1879_693 Depth=2
	s_or_b32 exec_lo, exec_lo, s17
	s_waitcnt vmcnt(3)
	v_dual_mov_b32 v41, 0x7fff :: v_dual_mov_b32 v42, 0x7fff
	s_mov_b32 s17, exec_lo
	v_cmpx_gt_u32_e64 s56, v118
	s_cbranch_execz .LBB1879_719
; %bb.718:                              ;   in Loop: Header=BB1879_693 Depth=2
	global_load_u16 v42, v[36:37], off offset:640
.LBB1879_719:                           ;   in Loop: Header=BB1879_693 Depth=2
	s_or_b32 exec_lo, exec_lo, s17
	s_delay_alu instid0(SALU_CYCLE_1)
	s_mov_b32 s17, exec_lo
	v_cmpx_gt_u32_e64 s56, v119
	s_cbranch_execz .LBB1879_721
; %bb.720:                              ;   in Loop: Header=BB1879_693 Depth=2
	global_load_u16 v41, v[36:37], off offset:704
.LBB1879_721:                           ;   in Loop: Header=BB1879_693 Depth=2
	s_or_b32 exec_lo, exec_lo, s17
	s_waitcnt vmcnt(1)
	v_dual_mov_b32 v39, 0x7fff :: v_dual_mov_b32 v40, 0x7fff
	s_mov_b32 s17, exec_lo
	v_cmpx_gt_u32_e64 s56, v120
	s_cbranch_execz .LBB1879_723
; %bb.722:                              ;   in Loop: Header=BB1879_693 Depth=2
	global_load_u16 v40, v[36:37], off offset:768
.LBB1879_723:                           ;   in Loop: Header=BB1879_693 Depth=2
	s_or_b32 exec_lo, exec_lo, s17
	s_delay_alu instid0(SALU_CYCLE_1)
	s_mov_b32 s17, exec_lo
	v_cmpx_gt_u32_e64 s56, v121
	s_cbranch_execz .LBB1879_725
; %bb.724:                              ;   in Loop: Header=BB1879_693 Depth=2
	global_load_u16 v39, v[36:37], off offset:832
.LBB1879_725:                           ;   in Loop: Header=BB1879_693 Depth=2
	s_or_b32 exec_lo, exec_lo, s17
	s_waitcnt vmcnt(0)
	v_mov_b32_e32 v38, 0x7fff
	s_mov_b32 s17, exec_lo
	v_cmpx_gt_u32_e64 s56, v122
	s_cbranch_execz .LBB1879_727
; %bb.726:                              ;   in Loop: Header=BB1879_693 Depth=2
	global_load_u16 v38, v[36:37], off offset:896
.LBB1879_727:                           ;   in Loop: Header=BB1879_693 Depth=2
	s_or_b32 exec_lo, exec_lo, s17
	v_cmp_gt_u32_e64 s20, s56, v123
	s_sub_i32 s17, s53, s34
	s_movk_i32 s21, 0x7fff
	s_mov_b64 s[18:19], s[34:35]
	v_dual_mov_b32 v36, s21 :: v_dual_mov_b32 v145, s56
	s_and_saveexec_b32 s21, s20
	s_cbranch_execz .LBB1879_729
.LBB1879_728:                           ;   in Loop: Header=BB1879_693 Depth=2
	s_lshl_b64 s[18:19], s[18:19], 1
	v_mov_b32_e32 v145, s17
	v_add_co_u32 v36, vcc_lo, v127, s18
	v_add_co_ci_u32_e32 v37, vcc_lo, s19, v128, vcc_lo
	global_load_u16 v36, v[36:37], off
.LBB1879_729:                           ;   in Loop: Header=BB1879_693 Depth=2
	s_or_b32 exec_lo, exec_lo, s21
	s_waitcnt vmcnt(14)
	v_cmp_lt_i16_e32 vcc_lo, -1, v2
	ds_store_b32 v69, v3 offset:1056
	ds_store_2addr_b32 v71, v3, v3 offset0:1 offset1:2
	ds_store_2addr_b32 v71, v3, v3 offset0:3 offset1:4
	;; [unrolled: 1-line block ×4, first 2 shown]
	s_waitcnt vmcnt(0) lgkmcnt(0)
	s_barrier
	v_cndmask_b32_e64 v37, -1, 0xffff8000, vcc_lo
	buffer_gl0_inv
	; wave barrier
	v_xor_b32_e32 v2, v37, v2
	s_delay_alu instid0(VALU_DEP_1) | instskip(SKIP_1) | instid1(VALU_DEP_1)
	v_cmp_ne_u16_e32 vcc_lo, 0x7fff, v2
	v_cndmask_b32_e32 v37, 0xffff8000, v2, vcc_lo
	v_and_b32_e32 v37, 0xffff, v37
	s_delay_alu instid0(VALU_DEP_1) | instskip(NEXT) | instid1(VALU_DEP_1)
	v_lshrrev_b32_e32 v37, s49, v37
	v_and_b32_e32 v148, s55, v37
	s_delay_alu instid0(VALU_DEP_1)
	v_lshlrev_b32_e32 v150, 29, v148
	v_and_b32_e32 v37, 1, v148
	v_lshlrev_b32_e32 v147, 30, v148
	v_lshlrev_b32_e32 v151, 28, v148
	;; [unrolled: 1-line block ×4, first 2 shown]
	v_add_co_u32 v37, s17, v37, -1
	s_delay_alu instid0(VALU_DEP_1)
	v_cndmask_b32_e64 v152, 0, 1, s17
	v_not_b32_e32 v158, v147
	v_cmp_gt_i32_e64 s17, 0, v147
	v_not_b32_e32 v147, v150
	v_lshlrev_b32_e32 v156, 25, v148
	v_cmp_ne_u32_e32 vcc_lo, 0, v152
	v_ashrrev_i32_e32 v158, 31, v158
	v_lshlrev_b32_e32 v152, 24, v148
	v_ashrrev_i32_e32 v147, 31, v147
	v_mad_u32_u24 v148, v148, 9, v126
	v_xor_b32_e32 v37, vcc_lo, v37
	v_cmp_gt_i32_e32 vcc_lo, 0, v150
	v_not_b32_e32 v150, v151
	v_xor_b32_e32 v158, s17, v158
	v_cmp_gt_i32_e64 s17, 0, v151
	v_and_b32_e32 v37, exec_lo, v37
	v_not_b32_e32 v151, v154
	v_ashrrev_i32_e32 v150, 31, v150
	v_xor_b32_e32 v147, vcc_lo, v147
	v_cmp_gt_i32_e32 vcc_lo, 0, v154
	v_and_b32_e32 v37, v37, v158
	v_not_b32_e32 v154, v155
	v_ashrrev_i32_e32 v151, 31, v151
	v_xor_b32_e32 v150, s17, v150
	v_cmp_gt_i32_e64 s17, 0, v155
	v_and_b32_e32 v37, v37, v147
	v_not_b32_e32 v147, v156
	v_ashrrev_i32_e32 v154, 31, v154
	v_xor_b32_e32 v151, vcc_lo, v151
	v_cmp_gt_i32_e32 vcc_lo, 0, v156
	v_and_b32_e32 v37, v37, v150
	v_not_b32_e32 v150, v152
	v_ashrrev_i32_e32 v147, 31, v147
	v_xor_b32_e32 v154, s17, v154
	v_cmp_gt_i32_e64 s17, 0, v152
	v_and_b32_e32 v37, v37, v151
	v_ashrrev_i32_e32 v150, 31, v150
	v_xor_b32_e32 v147, vcc_lo, v147
	v_lshl_add_u32 v148, v148, 2, 0x420
	s_delay_alu instid0(VALU_DEP_4) | instskip(NEXT) | instid1(VALU_DEP_4)
	v_and_b32_e32 v37, v37, v154
	v_xor_b32_e32 v150, s17, v150
	s_delay_alu instid0(VALU_DEP_2) | instskip(NEXT) | instid1(VALU_DEP_1)
	v_and_b32_e32 v37, v37, v147
	v_and_b32_e32 v37, v37, v150
	s_delay_alu instid0(VALU_DEP_1) | instskip(SKIP_1) | instid1(VALU_DEP_2)
	v_mbcnt_lo_u32_b32 v147, v37, 0
	v_cmp_ne_u32_e64 s17, 0, v37
	v_cmp_eq_u32_e32 vcc_lo, 0, v147
	s_delay_alu instid0(VALU_DEP_2) | instskip(NEXT) | instid1(SALU_CYCLE_1)
	s_and_b32 s18, s17, vcc_lo
	s_and_saveexec_b32 s17, s18
	s_cbranch_execz .LBB1879_731
; %bb.730:                              ;   in Loop: Header=BB1879_693 Depth=2
	v_bcnt_u32_b32 v37, v37, 0
	ds_store_b32 v148, v37
.LBB1879_731:                           ;   in Loop: Header=BB1879_693 Depth=2
	s_or_b32 exec_lo, exec_lo, s17
	v_cmp_lt_i16_e64 vcc_lo, -1, v146
	; wave barrier
	s_delay_alu instid0(VALU_DEP_1) | instskip(NEXT) | instid1(VALU_DEP_1)
	v_cndmask_b32_e64 v37, -1, 0xffff8000, vcc_lo
	v_xor_b32_e32 v146, v37, v146
	s_delay_alu instid0(VALU_DEP_1) | instskip(SKIP_1) | instid1(VALU_DEP_1)
	v_cmp_ne_u16_e64 vcc_lo, 0x7fff, v146
	v_cndmask_b32_e32 v37, 0xffff8000, v146, vcc_lo
	v_and_b32_e32 v37, 0xffff, v37
	s_delay_alu instid0(VALU_DEP_1) | instskip(NEXT) | instid1(VALU_DEP_1)
	v_lshrrev_b32_e32 v37, s49, v37
	v_and_b32_e32 v37, s55, v37
	s_delay_alu instid0(VALU_DEP_1)
	v_and_b32_e32 v150, 1, v37
	v_lshlrev_b32_e32 v151, 30, v37
	v_lshlrev_b32_e32 v152, 29, v37
	;; [unrolled: 1-line block ×4, first 2 shown]
	v_add_co_u32 v150, s17, v150, -1
	s_delay_alu instid0(VALU_DEP_1)
	v_cndmask_b32_e64 v155, 0, 1, s17
	v_not_b32_e32 v160, v151
	v_cmp_gt_i32_e64 s17, 0, v151
	v_not_b32_e32 v151, v152
	v_lshlrev_b32_e32 v158, 26, v37
	v_cmp_ne_u32_e32 vcc_lo, 0, v155
	v_ashrrev_i32_e32 v160, 31, v160
	v_lshlrev_b32_e32 v159, 25, v37
	v_ashrrev_i32_e32 v151, 31, v151
	v_lshlrev_b32_e32 v155, 24, v37
	v_xor_b32_e32 v150, vcc_lo, v150
	v_cmp_gt_i32_e32 vcc_lo, 0, v152
	v_not_b32_e32 v152, v154
	v_xor_b32_e32 v160, s17, v160
	v_cmp_gt_i32_e64 s17, 0, v154
	v_and_b32_e32 v150, exec_lo, v150
	v_not_b32_e32 v154, v156
	v_ashrrev_i32_e32 v152, 31, v152
	v_xor_b32_e32 v151, vcc_lo, v151
	v_cmp_gt_i32_e32 vcc_lo, 0, v156
	v_and_b32_e32 v150, v150, v160
	v_not_b32_e32 v156, v158
	v_ashrrev_i32_e32 v154, 31, v154
	v_xor_b32_e32 v152, s17, v152
	v_cmp_gt_i32_e64 s17, 0, v158
	v_and_b32_e32 v150, v150, v151
	v_not_b32_e32 v151, v159
	v_ashrrev_i32_e32 v156, 31, v156
	v_xor_b32_e32 v154, vcc_lo, v154
	v_cmp_gt_i32_e32 vcc_lo, 0, v159
	v_and_b32_e32 v150, v150, v152
	v_not_b32_e32 v152, v155
	v_ashrrev_i32_e32 v151, 31, v151
	v_xor_b32_e32 v156, s17, v156
	v_mul_u32_u24_e32 v37, 9, v37
	v_and_b32_e32 v150, v150, v154
	v_cmp_gt_i32_e64 s17, 0, v155
	v_ashrrev_i32_e32 v152, 31, v152
	v_xor_b32_e32 v151, vcc_lo, v151
	v_add_lshl_u32 v154, v37, v126, 2
	v_and_b32_e32 v150, v150, v156
	s_delay_alu instid0(VALU_DEP_4) | instskip(NEXT) | instid1(VALU_DEP_3)
	v_xor_b32_e32 v37, s17, v152
	v_add_nc_u32_e32 v152, 0x420, v154
	s_delay_alu instid0(VALU_DEP_3) | instskip(SKIP_2) | instid1(VALU_DEP_1)
	v_and_b32_e32 v151, v150, v151
	ds_load_b32 v150, v154 offset:1056
	; wave barrier
	v_and_b32_e32 v37, v151, v37
	v_mbcnt_lo_u32_b32 v151, v37, 0
	v_cmp_ne_u32_e64 s17, 0, v37
	s_delay_alu instid0(VALU_DEP_2) | instskip(NEXT) | instid1(VALU_DEP_2)
	v_cmp_eq_u32_e32 vcc_lo, 0, v151
	s_and_b32 s18, s17, vcc_lo
	s_delay_alu instid0(SALU_CYCLE_1)
	s_and_saveexec_b32 s17, s18
	s_cbranch_execz .LBB1879_733
; %bb.732:                              ;   in Loop: Header=BB1879_693 Depth=2
	s_waitcnt lgkmcnt(0)
	v_bcnt_u32_b32 v37, v37, v150
	ds_store_b32 v152, v37
.LBB1879_733:                           ;   in Loop: Header=BB1879_693 Depth=2
	s_or_b32 exec_lo, exec_lo, s17
	v_cmp_lt_i16_e64 vcc_lo, -1, v149
	; wave barrier
	s_delay_alu instid0(VALU_DEP_1) | instskip(NEXT) | instid1(VALU_DEP_1)
	v_cndmask_b32_e64 v37, -1, 0xffff8000, vcc_lo
	v_xor_b32_e32 v149, v37, v149
	s_delay_alu instid0(VALU_DEP_1) | instskip(SKIP_1) | instid1(VALU_DEP_1)
	v_cmp_ne_u16_e64 vcc_lo, 0x7fff, v149
	v_cndmask_b32_e32 v37, 0xffff8000, v149, vcc_lo
	v_and_b32_e32 v37, 0xffff, v37
	s_delay_alu instid0(VALU_DEP_1) | instskip(NEXT) | instid1(VALU_DEP_1)
	v_lshrrev_b32_e32 v37, s49, v37
	v_and_b32_e32 v37, s55, v37
	s_delay_alu instid0(VALU_DEP_1)
	v_and_b32_e32 v154, 1, v37
	v_lshlrev_b32_e32 v155, 30, v37
	v_lshlrev_b32_e32 v156, 29, v37
	;; [unrolled: 1-line block ×4, first 2 shown]
	v_add_co_u32 v154, s17, v154, -1
	s_delay_alu instid0(VALU_DEP_1)
	v_cndmask_b32_e64 v159, 0, 1, s17
	v_not_b32_e32 v164, v155
	v_cmp_gt_i32_e64 s17, 0, v155
	v_not_b32_e32 v155, v156
	v_lshlrev_b32_e32 v162, 26, v37
	v_cmp_ne_u32_e32 vcc_lo, 0, v159
	v_ashrrev_i32_e32 v164, 31, v164
	v_lshlrev_b32_e32 v163, 25, v37
	v_ashrrev_i32_e32 v155, 31, v155
	v_lshlrev_b32_e32 v159, 24, v37
	v_xor_b32_e32 v154, vcc_lo, v154
	v_cmp_gt_i32_e32 vcc_lo, 0, v156
	v_not_b32_e32 v156, v158
	v_xor_b32_e32 v164, s17, v164
	v_cmp_gt_i32_e64 s17, 0, v158
	v_and_b32_e32 v154, exec_lo, v154
	v_not_b32_e32 v158, v160
	v_ashrrev_i32_e32 v156, 31, v156
	v_xor_b32_e32 v155, vcc_lo, v155
	v_cmp_gt_i32_e32 vcc_lo, 0, v160
	v_and_b32_e32 v154, v154, v164
	v_not_b32_e32 v160, v162
	v_ashrrev_i32_e32 v158, 31, v158
	v_xor_b32_e32 v156, s17, v156
	v_cmp_gt_i32_e64 s17, 0, v162
	v_and_b32_e32 v154, v154, v155
	v_not_b32_e32 v155, v163
	v_ashrrev_i32_e32 v160, 31, v160
	v_xor_b32_e32 v158, vcc_lo, v158
	v_cmp_gt_i32_e32 vcc_lo, 0, v163
	v_and_b32_e32 v154, v154, v156
	v_not_b32_e32 v156, v159
	v_ashrrev_i32_e32 v155, 31, v155
	v_xor_b32_e32 v160, s17, v160
	v_mul_u32_u24_e32 v37, 9, v37
	v_and_b32_e32 v154, v154, v158
	v_cmp_gt_i32_e64 s17, 0, v159
	v_ashrrev_i32_e32 v156, 31, v156
	v_xor_b32_e32 v155, vcc_lo, v155
	v_add_lshl_u32 v158, v37, v126, 2
	v_and_b32_e32 v154, v154, v160
	s_delay_alu instid0(VALU_DEP_4) | instskip(NEXT) | instid1(VALU_DEP_3)
	v_xor_b32_e32 v37, s17, v156
	v_add_nc_u32_e32 v156, 0x420, v158
	s_delay_alu instid0(VALU_DEP_3) | instskip(SKIP_2) | instid1(VALU_DEP_1)
	v_and_b32_e32 v155, v154, v155
	ds_load_b32 v154, v158 offset:1056
	; wave barrier
	v_and_b32_e32 v37, v155, v37
	v_mbcnt_lo_u32_b32 v155, v37, 0
	v_cmp_ne_u32_e64 s17, 0, v37
	s_delay_alu instid0(VALU_DEP_2) | instskip(NEXT) | instid1(VALU_DEP_2)
	v_cmp_eq_u32_e32 vcc_lo, 0, v155
	s_and_b32 s18, s17, vcc_lo
	s_delay_alu instid0(SALU_CYCLE_1)
	s_and_saveexec_b32 s17, s18
	s_cbranch_execz .LBB1879_735
; %bb.734:                              ;   in Loop: Header=BB1879_693 Depth=2
	s_waitcnt lgkmcnt(0)
	v_bcnt_u32_b32 v37, v37, v154
	ds_store_b32 v156, v37
.LBB1879_735:                           ;   in Loop: Header=BB1879_693 Depth=2
	s_or_b32 exec_lo, exec_lo, s17
	v_cmp_lt_i16_e64 vcc_lo, -1, v153
	; wave barrier
	s_delay_alu instid0(VALU_DEP_1) | instskip(NEXT) | instid1(VALU_DEP_1)
	v_cndmask_b32_e64 v37, -1, 0xffff8000, vcc_lo
	v_xor_b32_e32 v153, v37, v153
	s_delay_alu instid0(VALU_DEP_1) | instskip(SKIP_1) | instid1(VALU_DEP_1)
	v_cmp_ne_u16_e64 vcc_lo, 0x7fff, v153
	v_cndmask_b32_e32 v37, 0xffff8000, v153, vcc_lo
	v_and_b32_e32 v37, 0xffff, v37
	s_delay_alu instid0(VALU_DEP_1) | instskip(NEXT) | instid1(VALU_DEP_1)
	v_lshrrev_b32_e32 v37, s49, v37
	v_and_b32_e32 v37, s55, v37
	s_delay_alu instid0(VALU_DEP_1)
	v_and_b32_e32 v158, 1, v37
	v_lshlrev_b32_e32 v159, 30, v37
	v_lshlrev_b32_e32 v160, 29, v37
	;; [unrolled: 1-line block ×4, first 2 shown]
	v_add_co_u32 v158, s17, v158, -1
	s_delay_alu instid0(VALU_DEP_1)
	v_cndmask_b32_e64 v163, 0, 1, s17
	v_not_b32_e32 v168, v159
	v_cmp_gt_i32_e64 s17, 0, v159
	v_not_b32_e32 v159, v160
	v_lshlrev_b32_e32 v166, 26, v37
	v_cmp_ne_u32_e32 vcc_lo, 0, v163
	v_ashrrev_i32_e32 v168, 31, v168
	v_lshlrev_b32_e32 v167, 25, v37
	v_ashrrev_i32_e32 v159, 31, v159
	v_lshlrev_b32_e32 v163, 24, v37
	v_xor_b32_e32 v158, vcc_lo, v158
	v_cmp_gt_i32_e32 vcc_lo, 0, v160
	v_not_b32_e32 v160, v162
	v_xor_b32_e32 v168, s17, v168
	v_cmp_gt_i32_e64 s17, 0, v162
	v_and_b32_e32 v158, exec_lo, v158
	v_not_b32_e32 v162, v164
	v_ashrrev_i32_e32 v160, 31, v160
	v_xor_b32_e32 v159, vcc_lo, v159
	v_cmp_gt_i32_e32 vcc_lo, 0, v164
	v_and_b32_e32 v158, v158, v168
	v_not_b32_e32 v164, v166
	v_ashrrev_i32_e32 v162, 31, v162
	v_xor_b32_e32 v160, s17, v160
	v_cmp_gt_i32_e64 s17, 0, v166
	v_and_b32_e32 v158, v158, v159
	v_not_b32_e32 v159, v167
	v_ashrrev_i32_e32 v164, 31, v164
	v_xor_b32_e32 v162, vcc_lo, v162
	v_cmp_gt_i32_e32 vcc_lo, 0, v167
	v_and_b32_e32 v158, v158, v160
	v_not_b32_e32 v160, v163
	v_ashrrev_i32_e32 v159, 31, v159
	v_xor_b32_e32 v164, s17, v164
	v_mul_u32_u24_e32 v37, 9, v37
	v_and_b32_e32 v158, v158, v162
	v_cmp_gt_i32_e64 s17, 0, v163
	v_ashrrev_i32_e32 v160, 31, v160
	v_xor_b32_e32 v159, vcc_lo, v159
	v_add_lshl_u32 v162, v37, v126, 2
	v_and_b32_e32 v158, v158, v164
	s_delay_alu instid0(VALU_DEP_4) | instskip(NEXT) | instid1(VALU_DEP_3)
	v_xor_b32_e32 v37, s17, v160
	v_add_nc_u32_e32 v160, 0x420, v162
	s_delay_alu instid0(VALU_DEP_3) | instskip(SKIP_2) | instid1(VALU_DEP_1)
	v_and_b32_e32 v159, v158, v159
	ds_load_b32 v158, v162 offset:1056
	; wave barrier
	v_and_b32_e32 v37, v159, v37
	v_mbcnt_lo_u32_b32 v159, v37, 0
	v_cmp_ne_u32_e64 s17, 0, v37
	s_delay_alu instid0(VALU_DEP_2) | instskip(NEXT) | instid1(VALU_DEP_2)
	v_cmp_eq_u32_e32 vcc_lo, 0, v159
	s_and_b32 s18, s17, vcc_lo
	s_delay_alu instid0(SALU_CYCLE_1)
	s_and_saveexec_b32 s17, s18
	s_cbranch_execz .LBB1879_737
; %bb.736:                              ;   in Loop: Header=BB1879_693 Depth=2
	s_waitcnt lgkmcnt(0)
	v_bcnt_u32_b32 v37, v37, v158
	ds_store_b32 v160, v37
.LBB1879_737:                           ;   in Loop: Header=BB1879_693 Depth=2
	s_or_b32 exec_lo, exec_lo, s17
	v_cmp_lt_i16_e64 vcc_lo, -1, v157
	; wave barrier
	s_delay_alu instid0(VALU_DEP_1) | instskip(NEXT) | instid1(VALU_DEP_1)
	v_cndmask_b32_e64 v37, -1, 0xffff8000, vcc_lo
	v_xor_b32_e32 v157, v37, v157
	s_delay_alu instid0(VALU_DEP_1) | instskip(SKIP_1) | instid1(VALU_DEP_1)
	v_cmp_ne_u16_e64 vcc_lo, 0x7fff, v157
	v_cndmask_b32_e32 v37, 0xffff8000, v157, vcc_lo
	v_and_b32_e32 v37, 0xffff, v37
	s_delay_alu instid0(VALU_DEP_1) | instskip(NEXT) | instid1(VALU_DEP_1)
	v_lshrrev_b32_e32 v37, s49, v37
	v_and_b32_e32 v37, s55, v37
	s_delay_alu instid0(VALU_DEP_1)
	v_and_b32_e32 v162, 1, v37
	v_lshlrev_b32_e32 v163, 30, v37
	v_lshlrev_b32_e32 v164, 29, v37
	;; [unrolled: 1-line block ×4, first 2 shown]
	v_add_co_u32 v162, s17, v162, -1
	s_delay_alu instid0(VALU_DEP_1)
	v_cndmask_b32_e64 v167, 0, 1, s17
	v_not_b32_e32 v173, v163
	v_cmp_gt_i32_e64 s17, 0, v163
	v_not_b32_e32 v163, v164
	v_lshlrev_b32_e32 v171, 26, v37
	v_cmp_ne_u32_e32 vcc_lo, 0, v167
	v_ashrrev_i32_e32 v173, 31, v173
	v_lshlrev_b32_e32 v172, 25, v37
	v_ashrrev_i32_e32 v163, 31, v163
	v_lshlrev_b32_e32 v167, 24, v37
	v_xor_b32_e32 v162, vcc_lo, v162
	v_cmp_gt_i32_e32 vcc_lo, 0, v164
	v_not_b32_e32 v164, v166
	v_xor_b32_e32 v173, s17, v173
	v_cmp_gt_i32_e64 s17, 0, v166
	v_and_b32_e32 v162, exec_lo, v162
	v_not_b32_e32 v166, v168
	v_ashrrev_i32_e32 v164, 31, v164
	v_xor_b32_e32 v163, vcc_lo, v163
	v_cmp_gt_i32_e32 vcc_lo, 0, v168
	v_and_b32_e32 v162, v162, v173
	v_not_b32_e32 v168, v171
	v_ashrrev_i32_e32 v166, 31, v166
	v_xor_b32_e32 v164, s17, v164
	v_cmp_gt_i32_e64 s17, 0, v171
	v_and_b32_e32 v162, v162, v163
	v_not_b32_e32 v163, v172
	v_ashrrev_i32_e32 v168, 31, v168
	v_xor_b32_e32 v166, vcc_lo, v166
	v_cmp_gt_i32_e32 vcc_lo, 0, v172
	v_and_b32_e32 v162, v162, v164
	v_not_b32_e32 v164, v167
	v_ashrrev_i32_e32 v163, 31, v163
	v_xor_b32_e32 v168, s17, v168
	v_mul_u32_u24_e32 v37, 9, v37
	v_and_b32_e32 v162, v162, v166
	v_cmp_gt_i32_e64 s17, 0, v167
	v_ashrrev_i32_e32 v164, 31, v164
	v_xor_b32_e32 v163, vcc_lo, v163
	v_add_lshl_u32 v166, v37, v126, 2
	v_and_b32_e32 v162, v162, v168
	s_delay_alu instid0(VALU_DEP_4) | instskip(NEXT) | instid1(VALU_DEP_3)
	v_xor_b32_e32 v37, s17, v164
	v_add_nc_u32_e32 v164, 0x420, v166
	s_delay_alu instid0(VALU_DEP_3) | instskip(SKIP_2) | instid1(VALU_DEP_1)
	v_and_b32_e32 v163, v162, v163
	ds_load_b32 v162, v166 offset:1056
	; wave barrier
	v_and_b32_e32 v37, v163, v37
	v_mbcnt_lo_u32_b32 v163, v37, 0
	v_cmp_ne_u32_e64 s17, 0, v37
	s_delay_alu instid0(VALU_DEP_2) | instskip(NEXT) | instid1(VALU_DEP_2)
	v_cmp_eq_u32_e32 vcc_lo, 0, v163
	s_and_b32 s18, s17, vcc_lo
	s_delay_alu instid0(SALU_CYCLE_1)
	s_and_saveexec_b32 s17, s18
	s_cbranch_execz .LBB1879_739
; %bb.738:                              ;   in Loop: Header=BB1879_693 Depth=2
	s_waitcnt lgkmcnt(0)
	v_bcnt_u32_b32 v37, v37, v162
	ds_store_b32 v164, v37
.LBB1879_739:                           ;   in Loop: Header=BB1879_693 Depth=2
	s_or_b32 exec_lo, exec_lo, s17
	v_cmp_lt_i16_e64 vcc_lo, -1, v161
	; wave barrier
	s_delay_alu instid0(VALU_DEP_1) | instskip(NEXT) | instid1(VALU_DEP_1)
	v_cndmask_b32_e64 v37, -1, 0xffff8000, vcc_lo
	v_xor_b32_e32 v161, v37, v161
	s_delay_alu instid0(VALU_DEP_1) | instskip(SKIP_1) | instid1(VALU_DEP_1)
	v_cmp_ne_u16_e64 vcc_lo, 0x7fff, v161
	v_cndmask_b32_e32 v37, 0xffff8000, v161, vcc_lo
	v_and_b32_e32 v37, 0xffff, v37
	s_delay_alu instid0(VALU_DEP_1) | instskip(NEXT) | instid1(VALU_DEP_1)
	v_lshrrev_b32_e32 v37, s49, v37
	v_and_b32_e32 v37, s55, v37
	s_delay_alu instid0(VALU_DEP_1)
	v_and_b32_e32 v166, 1, v37
	v_lshlrev_b32_e32 v167, 30, v37
	v_lshlrev_b32_e32 v168, 29, v37
	;; [unrolled: 1-line block ×4, first 2 shown]
	v_add_co_u32 v166, s17, v166, -1
	s_delay_alu instid0(VALU_DEP_1)
	v_cndmask_b32_e64 v172, 0, 1, s17
	v_not_b32_e32 v176, v167
	v_cmp_gt_i32_e64 s17, 0, v167
	v_not_b32_e32 v167, v168
	v_lshlrev_b32_e32 v174, 26, v37
	v_cmp_ne_u32_e32 vcc_lo, 0, v172
	v_ashrrev_i32_e32 v176, 31, v176
	v_lshlrev_b32_e32 v175, 25, v37
	v_ashrrev_i32_e32 v167, 31, v167
	v_lshlrev_b32_e32 v172, 24, v37
	v_xor_b32_e32 v166, vcc_lo, v166
	v_cmp_gt_i32_e32 vcc_lo, 0, v168
	v_not_b32_e32 v168, v171
	v_xor_b32_e32 v176, s17, v176
	v_cmp_gt_i32_e64 s17, 0, v171
	v_and_b32_e32 v166, exec_lo, v166
	v_not_b32_e32 v171, v173
	v_ashrrev_i32_e32 v168, 31, v168
	v_xor_b32_e32 v167, vcc_lo, v167
	v_cmp_gt_i32_e32 vcc_lo, 0, v173
	v_and_b32_e32 v166, v166, v176
	v_not_b32_e32 v173, v174
	v_ashrrev_i32_e32 v171, 31, v171
	v_xor_b32_e32 v168, s17, v168
	v_cmp_gt_i32_e64 s17, 0, v174
	v_and_b32_e32 v166, v166, v167
	v_not_b32_e32 v167, v175
	v_ashrrev_i32_e32 v173, 31, v173
	v_xor_b32_e32 v171, vcc_lo, v171
	v_cmp_gt_i32_e32 vcc_lo, 0, v175
	v_and_b32_e32 v166, v166, v168
	v_not_b32_e32 v168, v172
	v_ashrrev_i32_e32 v167, 31, v167
	v_xor_b32_e32 v173, s17, v173
	v_mul_u32_u24_e32 v37, 9, v37
	v_and_b32_e32 v166, v166, v171
	v_cmp_gt_i32_e64 s17, 0, v172
	v_ashrrev_i32_e32 v168, 31, v168
	v_xor_b32_e32 v167, vcc_lo, v167
	v_add_lshl_u32 v171, v37, v126, 2
	v_and_b32_e32 v166, v166, v173
	s_delay_alu instid0(VALU_DEP_4) | instskip(NEXT) | instid1(VALU_DEP_3)
	v_xor_b32_e32 v37, s17, v168
	v_add_nc_u32_e32 v168, 0x420, v171
	s_delay_alu instid0(VALU_DEP_3) | instskip(SKIP_2) | instid1(VALU_DEP_1)
	v_and_b32_e32 v167, v166, v167
	ds_load_b32 v166, v171 offset:1056
	; wave barrier
	v_and_b32_e32 v37, v167, v37
	v_mbcnt_lo_u32_b32 v167, v37, 0
	v_cmp_ne_u32_e64 s17, 0, v37
	s_delay_alu instid0(VALU_DEP_2) | instskip(NEXT) | instid1(VALU_DEP_2)
	v_cmp_eq_u32_e32 vcc_lo, 0, v167
	s_and_b32 s18, s17, vcc_lo
	s_delay_alu instid0(SALU_CYCLE_1)
	s_and_saveexec_b32 s17, s18
	s_cbranch_execz .LBB1879_741
; %bb.740:                              ;   in Loop: Header=BB1879_693 Depth=2
	s_waitcnt lgkmcnt(0)
	v_bcnt_u32_b32 v37, v37, v166
	ds_store_b32 v168, v37
.LBB1879_741:                           ;   in Loop: Header=BB1879_693 Depth=2
	s_or_b32 exec_lo, exec_lo, s17
	v_cmp_lt_i16_e64 vcc_lo, -1, v165
	; wave barrier
	s_delay_alu instid0(VALU_DEP_1) | instskip(NEXT) | instid1(VALU_DEP_1)
	v_cndmask_b32_e64 v37, -1, 0xffff8000, vcc_lo
	v_xor_b32_e32 v165, v37, v165
	s_delay_alu instid0(VALU_DEP_1) | instskip(SKIP_1) | instid1(VALU_DEP_1)
	v_cmp_ne_u16_e64 vcc_lo, 0x7fff, v165
	v_cndmask_b32_e32 v37, 0xffff8000, v165, vcc_lo
	v_and_b32_e32 v37, 0xffff, v37
	s_delay_alu instid0(VALU_DEP_1) | instskip(NEXT) | instid1(VALU_DEP_1)
	v_lshrrev_b32_e32 v37, s49, v37
	v_and_b32_e32 v37, s55, v37
	s_delay_alu instid0(VALU_DEP_1)
	v_and_b32_e32 v171, 1, v37
	v_lshlrev_b32_e32 v172, 30, v37
	v_lshlrev_b32_e32 v173, 29, v37
	;; [unrolled: 1-line block ×4, first 2 shown]
	v_add_co_u32 v171, s17, v171, -1
	s_delay_alu instid0(VALU_DEP_1)
	v_cndmask_b32_e64 v175, 0, 1, s17
	v_not_b32_e32 v179, v172
	v_cmp_gt_i32_e64 s17, 0, v172
	v_not_b32_e32 v172, v173
	v_lshlrev_b32_e32 v177, 26, v37
	v_cmp_ne_u32_e32 vcc_lo, 0, v175
	v_ashrrev_i32_e32 v179, 31, v179
	v_lshlrev_b32_e32 v178, 25, v37
	v_ashrrev_i32_e32 v172, 31, v172
	v_lshlrev_b32_e32 v175, 24, v37
	v_xor_b32_e32 v171, vcc_lo, v171
	v_cmp_gt_i32_e32 vcc_lo, 0, v173
	v_not_b32_e32 v173, v174
	v_xor_b32_e32 v179, s17, v179
	v_cmp_gt_i32_e64 s17, 0, v174
	v_and_b32_e32 v171, exec_lo, v171
	v_not_b32_e32 v174, v176
	v_ashrrev_i32_e32 v173, 31, v173
	v_xor_b32_e32 v172, vcc_lo, v172
	v_cmp_gt_i32_e32 vcc_lo, 0, v176
	v_and_b32_e32 v171, v171, v179
	v_not_b32_e32 v176, v177
	v_ashrrev_i32_e32 v174, 31, v174
	v_xor_b32_e32 v173, s17, v173
	v_cmp_gt_i32_e64 s17, 0, v177
	v_and_b32_e32 v171, v171, v172
	v_not_b32_e32 v172, v178
	v_ashrrev_i32_e32 v176, 31, v176
	v_xor_b32_e32 v174, vcc_lo, v174
	v_cmp_gt_i32_e32 vcc_lo, 0, v178
	v_and_b32_e32 v171, v171, v173
	v_not_b32_e32 v173, v175
	v_ashrrev_i32_e32 v172, 31, v172
	v_xor_b32_e32 v176, s17, v176
	v_mul_u32_u24_e32 v37, 9, v37
	v_and_b32_e32 v171, v171, v174
	v_cmp_gt_i32_e64 s17, 0, v175
	v_ashrrev_i32_e32 v173, 31, v173
	v_xor_b32_e32 v172, vcc_lo, v172
	v_add_lshl_u32 v174, v37, v126, 2
	v_and_b32_e32 v171, v171, v176
	s_delay_alu instid0(VALU_DEP_4) | instskip(NEXT) | instid1(VALU_DEP_3)
	v_xor_b32_e32 v37, s17, v173
	v_add_nc_u32_e32 v173, 0x420, v174
	s_delay_alu instid0(VALU_DEP_3) | instskip(SKIP_2) | instid1(VALU_DEP_1)
	v_and_b32_e32 v172, v171, v172
	ds_load_b32 v171, v174 offset:1056
	; wave barrier
	v_and_b32_e32 v37, v172, v37
	v_mbcnt_lo_u32_b32 v172, v37, 0
	v_cmp_ne_u32_e64 s17, 0, v37
	s_delay_alu instid0(VALU_DEP_2) | instskip(NEXT) | instid1(VALU_DEP_2)
	v_cmp_eq_u32_e32 vcc_lo, 0, v172
	s_and_b32 s18, s17, vcc_lo
	s_delay_alu instid0(SALU_CYCLE_1)
	s_and_saveexec_b32 s17, s18
	s_cbranch_execz .LBB1879_743
; %bb.742:                              ;   in Loop: Header=BB1879_693 Depth=2
	s_waitcnt lgkmcnt(0)
	v_bcnt_u32_b32 v37, v37, v171
	ds_store_b32 v173, v37
.LBB1879_743:                           ;   in Loop: Header=BB1879_693 Depth=2
	s_or_b32 exec_lo, exec_lo, s17
	v_cmp_lt_i16_e64 vcc_lo, -1, v170
	; wave barrier
	s_delay_alu instid0(VALU_DEP_1) | instskip(NEXT) | instid1(VALU_DEP_1)
	v_cndmask_b32_e64 v37, -1, 0xffff8000, vcc_lo
	v_xor_b32_e32 v170, v37, v170
	s_delay_alu instid0(VALU_DEP_1) | instskip(SKIP_1) | instid1(VALU_DEP_1)
	v_cmp_ne_u16_e64 vcc_lo, 0x7fff, v170
	v_cndmask_b32_e32 v37, 0xffff8000, v170, vcc_lo
	v_and_b32_e32 v37, 0xffff, v37
	s_delay_alu instid0(VALU_DEP_1) | instskip(NEXT) | instid1(VALU_DEP_1)
	v_lshrrev_b32_e32 v37, s49, v37
	v_and_b32_e32 v37, s55, v37
	s_delay_alu instid0(VALU_DEP_1)
	v_and_b32_e32 v174, 1, v37
	v_lshlrev_b32_e32 v175, 30, v37
	v_lshlrev_b32_e32 v176, 29, v37
	v_lshlrev_b32_e32 v177, 28, v37
	v_lshlrev_b32_e32 v179, 27, v37
	v_add_co_u32 v174, s17, v174, -1
	s_delay_alu instid0(VALU_DEP_1)
	v_cndmask_b32_e64 v178, 0, 1, s17
	v_not_b32_e32 v182, v175
	v_cmp_gt_i32_e64 s17, 0, v175
	v_not_b32_e32 v175, v176
	v_lshlrev_b32_e32 v180, 26, v37
	v_cmp_ne_u32_e32 vcc_lo, 0, v178
	v_ashrrev_i32_e32 v182, 31, v182
	v_lshlrev_b32_e32 v181, 25, v37
	v_ashrrev_i32_e32 v175, 31, v175
	v_lshlrev_b32_e32 v178, 24, v37
	v_xor_b32_e32 v174, vcc_lo, v174
	v_cmp_gt_i32_e32 vcc_lo, 0, v176
	v_not_b32_e32 v176, v177
	v_xor_b32_e32 v182, s17, v182
	v_cmp_gt_i32_e64 s17, 0, v177
	v_and_b32_e32 v174, exec_lo, v174
	v_not_b32_e32 v177, v179
	v_ashrrev_i32_e32 v176, 31, v176
	v_xor_b32_e32 v175, vcc_lo, v175
	v_cmp_gt_i32_e32 vcc_lo, 0, v179
	v_and_b32_e32 v174, v174, v182
	v_not_b32_e32 v179, v180
	v_ashrrev_i32_e32 v177, 31, v177
	v_xor_b32_e32 v176, s17, v176
	v_cmp_gt_i32_e64 s17, 0, v180
	v_and_b32_e32 v174, v174, v175
	v_not_b32_e32 v175, v181
	v_ashrrev_i32_e32 v179, 31, v179
	v_xor_b32_e32 v177, vcc_lo, v177
	v_cmp_gt_i32_e32 vcc_lo, 0, v181
	v_and_b32_e32 v174, v174, v176
	v_not_b32_e32 v176, v178
	v_ashrrev_i32_e32 v175, 31, v175
	v_xor_b32_e32 v179, s17, v179
	v_mul_u32_u24_e32 v37, 9, v37
	v_and_b32_e32 v174, v174, v177
	v_cmp_gt_i32_e64 s17, 0, v178
	v_ashrrev_i32_e32 v176, 31, v176
	v_xor_b32_e32 v175, vcc_lo, v175
	v_add_lshl_u32 v177, v37, v126, 2
	v_and_b32_e32 v174, v174, v179
	s_delay_alu instid0(VALU_DEP_4) | instskip(NEXT) | instid1(VALU_DEP_3)
	v_xor_b32_e32 v37, s17, v176
	v_add_nc_u32_e32 v176, 0x420, v177
	s_delay_alu instid0(VALU_DEP_3) | instskip(SKIP_2) | instid1(VALU_DEP_1)
	v_and_b32_e32 v175, v174, v175
	ds_load_b32 v174, v177 offset:1056
	; wave barrier
	v_and_b32_e32 v37, v175, v37
	v_mbcnt_lo_u32_b32 v175, v37, 0
	v_cmp_ne_u32_e64 s17, 0, v37
	s_delay_alu instid0(VALU_DEP_2) | instskip(NEXT) | instid1(VALU_DEP_2)
	v_cmp_eq_u32_e32 vcc_lo, 0, v175
	s_and_b32 s18, s17, vcc_lo
	s_delay_alu instid0(SALU_CYCLE_1)
	s_and_saveexec_b32 s17, s18
	s_cbranch_execz .LBB1879_745
; %bb.744:                              ;   in Loop: Header=BB1879_693 Depth=2
	s_waitcnt lgkmcnt(0)
	v_bcnt_u32_b32 v37, v37, v174
	ds_store_b32 v176, v37
.LBB1879_745:                           ;   in Loop: Header=BB1879_693 Depth=2
	s_or_b32 exec_lo, exec_lo, s17
	v_cmp_lt_i16_e64 vcc_lo, -1, v169
	; wave barrier
	s_delay_alu instid0(VALU_DEP_1) | instskip(NEXT) | instid1(VALU_DEP_1)
	v_cndmask_b32_e64 v37, -1, 0xffff8000, vcc_lo
	v_xor_b32_e32 v169, v37, v169
	s_delay_alu instid0(VALU_DEP_1) | instskip(SKIP_1) | instid1(VALU_DEP_1)
	v_cmp_ne_u16_e64 vcc_lo, 0x7fff, v169
	v_cndmask_b32_e32 v37, 0xffff8000, v169, vcc_lo
	v_and_b32_e32 v37, 0xffff, v37
	s_delay_alu instid0(VALU_DEP_1) | instskip(NEXT) | instid1(VALU_DEP_1)
	v_lshrrev_b32_e32 v37, s49, v37
	v_and_b32_e32 v37, s55, v37
	s_delay_alu instid0(VALU_DEP_1)
	v_and_b32_e32 v177, 1, v37
	v_lshlrev_b32_e32 v178, 30, v37
	v_lshlrev_b32_e32 v179, 29, v37
	;; [unrolled: 1-line block ×4, first 2 shown]
	v_add_co_u32 v177, s17, v177, -1
	s_delay_alu instid0(VALU_DEP_1)
	v_cndmask_b32_e64 v181, 0, 1, s17
	v_not_b32_e32 v185, v178
	v_cmp_gt_i32_e64 s17, 0, v178
	v_not_b32_e32 v178, v179
	v_lshlrev_b32_e32 v183, 26, v37
	v_cmp_ne_u32_e32 vcc_lo, 0, v181
	v_ashrrev_i32_e32 v185, 31, v185
	v_lshlrev_b32_e32 v184, 25, v37
	v_ashrrev_i32_e32 v178, 31, v178
	v_lshlrev_b32_e32 v181, 24, v37
	v_xor_b32_e32 v177, vcc_lo, v177
	v_cmp_gt_i32_e32 vcc_lo, 0, v179
	v_not_b32_e32 v179, v180
	v_xor_b32_e32 v185, s17, v185
	v_cmp_gt_i32_e64 s17, 0, v180
	v_and_b32_e32 v177, exec_lo, v177
	v_not_b32_e32 v180, v182
	v_ashrrev_i32_e32 v179, 31, v179
	v_xor_b32_e32 v178, vcc_lo, v178
	v_cmp_gt_i32_e32 vcc_lo, 0, v182
	v_and_b32_e32 v177, v177, v185
	v_not_b32_e32 v182, v183
	v_ashrrev_i32_e32 v180, 31, v180
	v_xor_b32_e32 v179, s17, v179
	v_cmp_gt_i32_e64 s17, 0, v183
	v_and_b32_e32 v177, v177, v178
	v_not_b32_e32 v178, v184
	v_ashrrev_i32_e32 v182, 31, v182
	v_xor_b32_e32 v180, vcc_lo, v180
	v_cmp_gt_i32_e32 vcc_lo, 0, v184
	v_and_b32_e32 v177, v177, v179
	v_not_b32_e32 v179, v181
	v_ashrrev_i32_e32 v178, 31, v178
	v_xor_b32_e32 v182, s17, v182
	v_mul_u32_u24_e32 v37, 9, v37
	v_and_b32_e32 v177, v177, v180
	v_cmp_gt_i32_e64 s17, 0, v181
	v_ashrrev_i32_e32 v179, 31, v179
	v_xor_b32_e32 v178, vcc_lo, v178
	v_add_lshl_u32 v180, v37, v126, 2
	v_and_b32_e32 v177, v177, v182
	s_delay_alu instid0(VALU_DEP_4) | instskip(NEXT) | instid1(VALU_DEP_2)
	v_xor_b32_e32 v37, s17, v179
	v_and_b32_e32 v177, v177, v178
	ds_load_b32 v178, v180 offset:1056
	v_add_nc_u32_e32 v180, 0x420, v180
	; wave barrier
	v_and_b32_e32 v37, v177, v37
	s_delay_alu instid0(VALU_DEP_1) | instskip(SKIP_1) | instid1(VALU_DEP_2)
	v_mbcnt_lo_u32_b32 v179, v37, 0
	v_cmp_ne_u32_e64 s17, 0, v37
	v_cmp_eq_u32_e32 vcc_lo, 0, v179
	s_delay_alu instid0(VALU_DEP_2) | instskip(NEXT) | instid1(SALU_CYCLE_1)
	s_and_b32 s18, s17, vcc_lo
	s_and_saveexec_b32 s17, s18
	s_cbranch_execz .LBB1879_747
; %bb.746:                              ;   in Loop: Header=BB1879_693 Depth=2
	s_waitcnt lgkmcnt(0)
	v_bcnt_u32_b32 v37, v37, v178
	ds_store_b32 v180, v37
.LBB1879_747:                           ;   in Loop: Header=BB1879_693 Depth=2
	s_or_b32 exec_lo, exec_lo, s17
	v_cmp_lt_i16_e32 vcc_lo, -1, v43
	; wave barrier
	v_cndmask_b32_e64 v37, -1, 0xffff8000, vcc_lo
	s_delay_alu instid0(VALU_DEP_1) | instskip(NEXT) | instid1(VALU_DEP_1)
	v_xor_b32_e32 v177, v37, v43
	v_cmp_ne_u16_e64 vcc_lo, 0x7fff, v177
	v_cndmask_b32_e32 v37, 0xffff8000, v177, vcc_lo
	s_delay_alu instid0(VALU_DEP_1) | instskip(NEXT) | instid1(VALU_DEP_1)
	v_and_b32_e32 v37, 0xffff, v37
	v_lshrrev_b32_e32 v37, s49, v37
	s_delay_alu instid0(VALU_DEP_1) | instskip(NEXT) | instid1(VALU_DEP_1)
	v_and_b32_e32 v37, s55, v37
	v_and_b32_e32 v43, 1, v37
	v_lshlrev_b32_e32 v181, 30, v37
	v_lshlrev_b32_e32 v182, 29, v37
	;; [unrolled: 1-line block ×4, first 2 shown]
	v_add_co_u32 v43, s17, v43, -1
	s_delay_alu instid0(VALU_DEP_1)
	v_cndmask_b32_e64 v184, 0, 1, s17
	v_not_b32_e32 v188, v181
	v_cmp_gt_i32_e64 s17, 0, v181
	v_not_b32_e32 v181, v182
	v_lshlrev_b32_e32 v186, 26, v37
	v_cmp_ne_u32_e32 vcc_lo, 0, v184
	v_ashrrev_i32_e32 v188, 31, v188
	v_lshlrev_b32_e32 v187, 25, v37
	v_ashrrev_i32_e32 v181, 31, v181
	v_lshlrev_b32_e32 v184, 24, v37
	v_xor_b32_e32 v43, vcc_lo, v43
	v_cmp_gt_i32_e32 vcc_lo, 0, v182
	v_not_b32_e32 v182, v183
	v_xor_b32_e32 v188, s17, v188
	v_cmp_gt_i32_e64 s17, 0, v183
	v_and_b32_e32 v43, exec_lo, v43
	v_not_b32_e32 v183, v185
	v_ashrrev_i32_e32 v182, 31, v182
	v_xor_b32_e32 v181, vcc_lo, v181
	v_cmp_gt_i32_e32 vcc_lo, 0, v185
	v_and_b32_e32 v43, v43, v188
	v_not_b32_e32 v185, v186
	v_ashrrev_i32_e32 v183, 31, v183
	v_xor_b32_e32 v182, s17, v182
	v_cmp_gt_i32_e64 s17, 0, v186
	v_and_b32_e32 v43, v43, v181
	v_not_b32_e32 v181, v187
	v_ashrrev_i32_e32 v185, 31, v185
	v_xor_b32_e32 v183, vcc_lo, v183
	v_cmp_gt_i32_e32 vcc_lo, 0, v187
	v_and_b32_e32 v43, v43, v182
	v_not_b32_e32 v182, v184
	v_ashrrev_i32_e32 v181, 31, v181
	v_xor_b32_e32 v185, s17, v185
	v_mul_u32_u24_e32 v37, 9, v37
	v_and_b32_e32 v43, v43, v183
	v_cmp_gt_i32_e64 s17, 0, v184
	v_ashrrev_i32_e32 v182, 31, v182
	v_xor_b32_e32 v181, vcc_lo, v181
	v_add_lshl_u32 v184, v37, v126, 2
	v_and_b32_e32 v43, v43, v185
	s_delay_alu instid0(VALU_DEP_4) | instskip(SKIP_3) | instid1(VALU_DEP_2)
	v_xor_b32_e32 v37, s17, v182
	ds_load_b32 v182, v184 offset:1056
	v_and_b32_e32 v43, v43, v181
	v_add_nc_u32_e32 v184, 0x420, v184
	; wave barrier
	v_and_b32_e32 v37, v43, v37
	s_delay_alu instid0(VALU_DEP_1) | instskip(SKIP_1) | instid1(VALU_DEP_2)
	v_mbcnt_lo_u32_b32 v183, v37, 0
	v_cmp_ne_u32_e64 s17, 0, v37
	v_cmp_eq_u32_e32 vcc_lo, 0, v183
	s_delay_alu instid0(VALU_DEP_2) | instskip(NEXT) | instid1(SALU_CYCLE_1)
	s_and_b32 s18, s17, vcc_lo
	s_and_saveexec_b32 s17, s18
	s_cbranch_execz .LBB1879_749
; %bb.748:                              ;   in Loop: Header=BB1879_693 Depth=2
	s_waitcnt lgkmcnt(0)
	v_bcnt_u32_b32 v37, v37, v182
	ds_store_b32 v184, v37
.LBB1879_749:                           ;   in Loop: Header=BB1879_693 Depth=2
	s_or_b32 exec_lo, exec_lo, s17
	v_cmp_lt_i16_e32 vcc_lo, -1, v42
	; wave barrier
	v_cndmask_b32_e64 v37, -1, 0xffff8000, vcc_lo
	s_delay_alu instid0(VALU_DEP_1) | instskip(NEXT) | instid1(VALU_DEP_1)
	v_xor_b32_e32 v181, v37, v42
	v_cmp_ne_u16_e64 vcc_lo, 0x7fff, v181
	v_cndmask_b32_e32 v37, 0xffff8000, v181, vcc_lo
	s_delay_alu instid0(VALU_DEP_1) | instskip(NEXT) | instid1(VALU_DEP_1)
	v_and_b32_e32 v37, 0xffff, v37
	v_lshrrev_b32_e32 v37, s49, v37
	s_delay_alu instid0(VALU_DEP_1) | instskip(NEXT) | instid1(VALU_DEP_1)
	v_and_b32_e32 v37, s55, v37
	v_and_b32_e32 v42, 1, v37
	v_lshlrev_b32_e32 v43, 30, v37
	v_lshlrev_b32_e32 v185, 29, v37
	;; [unrolled: 1-line block ×4, first 2 shown]
	v_add_co_u32 v42, s17, v42, -1
	s_delay_alu instid0(VALU_DEP_1)
	v_cndmask_b32_e64 v187, 0, 1, s17
	v_not_b32_e32 v191, v43
	v_cmp_gt_i32_e64 s17, 0, v43
	v_not_b32_e32 v43, v185
	v_lshlrev_b32_e32 v189, 26, v37
	v_cmp_ne_u32_e32 vcc_lo, 0, v187
	v_ashrrev_i32_e32 v191, 31, v191
	v_lshlrev_b32_e32 v190, 25, v37
	v_ashrrev_i32_e32 v43, 31, v43
	v_lshlrev_b32_e32 v187, 24, v37
	v_xor_b32_e32 v42, vcc_lo, v42
	v_cmp_gt_i32_e32 vcc_lo, 0, v185
	v_not_b32_e32 v185, v186
	v_xor_b32_e32 v191, s17, v191
	v_cmp_gt_i32_e64 s17, 0, v186
	v_and_b32_e32 v42, exec_lo, v42
	v_not_b32_e32 v186, v188
	v_ashrrev_i32_e32 v185, 31, v185
	v_xor_b32_e32 v43, vcc_lo, v43
	v_cmp_gt_i32_e32 vcc_lo, 0, v188
	v_and_b32_e32 v42, v42, v191
	v_not_b32_e32 v188, v189
	v_ashrrev_i32_e32 v186, 31, v186
	v_xor_b32_e32 v185, s17, v185
	v_cmp_gt_i32_e64 s17, 0, v189
	v_and_b32_e32 v42, v42, v43
	v_not_b32_e32 v43, v190
	v_ashrrev_i32_e32 v188, 31, v188
	v_xor_b32_e32 v186, vcc_lo, v186
	v_cmp_gt_i32_e32 vcc_lo, 0, v190
	v_and_b32_e32 v42, v42, v185
	v_not_b32_e32 v185, v187
	v_ashrrev_i32_e32 v43, 31, v43
	v_xor_b32_e32 v188, s17, v188
	v_mul_u32_u24_e32 v37, 9, v37
	v_and_b32_e32 v42, v42, v186
	v_cmp_gt_i32_e64 s17, 0, v187
	v_ashrrev_i32_e32 v185, 31, v185
	v_xor_b32_e32 v43, vcc_lo, v43
	s_delay_alu instid0(VALU_DEP_4) | instskip(SKIP_1) | instid1(VALU_DEP_4)
	v_and_b32_e32 v42, v42, v188
	v_add_lshl_u32 v188, v37, v126, 2
	v_xor_b32_e32 v37, s17, v185
	s_delay_alu instid0(VALU_DEP_3) | instskip(SKIP_3) | instid1(VALU_DEP_1)
	v_and_b32_e32 v42, v42, v43
	ds_load_b32 v186, v188 offset:1056
	v_add_nc_u32_e32 v188, 0x420, v188
	; wave barrier
	v_and_b32_e32 v37, v42, v37
	v_mbcnt_lo_u32_b32 v187, v37, 0
	v_cmp_ne_u32_e64 s17, 0, v37
	s_delay_alu instid0(VALU_DEP_2) | instskip(NEXT) | instid1(VALU_DEP_2)
	v_cmp_eq_u32_e32 vcc_lo, 0, v187
	s_and_b32 s18, s17, vcc_lo
	s_delay_alu instid0(SALU_CYCLE_1)
	s_and_saveexec_b32 s17, s18
	s_cbranch_execz .LBB1879_751
; %bb.750:                              ;   in Loop: Header=BB1879_693 Depth=2
	s_waitcnt lgkmcnt(0)
	v_bcnt_u32_b32 v37, v37, v186
	ds_store_b32 v188, v37
.LBB1879_751:                           ;   in Loop: Header=BB1879_693 Depth=2
	s_or_b32 exec_lo, exec_lo, s17
	v_cmp_lt_i16_e32 vcc_lo, -1, v41
	; wave barrier
	v_cndmask_b32_e64 v37, -1, 0xffff8000, vcc_lo
	s_delay_alu instid0(VALU_DEP_1) | instskip(NEXT) | instid1(VALU_DEP_1)
	v_xor_b32_e32 v185, v37, v41
	v_cmp_ne_u16_e64 vcc_lo, 0x7fff, v185
	v_cndmask_b32_e32 v37, 0xffff8000, v185, vcc_lo
	s_delay_alu instid0(VALU_DEP_1) | instskip(NEXT) | instid1(VALU_DEP_1)
	v_and_b32_e32 v37, 0xffff, v37
	v_lshrrev_b32_e32 v37, s49, v37
	s_delay_alu instid0(VALU_DEP_1) | instskip(NEXT) | instid1(VALU_DEP_1)
	v_and_b32_e32 v37, s55, v37
	v_and_b32_e32 v41, 1, v37
	v_lshlrev_b32_e32 v42, 30, v37
	v_lshlrev_b32_e32 v43, 29, v37
	;; [unrolled: 1-line block ×4, first 2 shown]
	v_add_co_u32 v41, s17, v41, -1
	s_delay_alu instid0(VALU_DEP_1)
	v_cndmask_b32_e64 v190, 0, 1, s17
	v_not_b32_e32 v194, v42
	v_cmp_gt_i32_e64 s17, 0, v42
	v_not_b32_e32 v42, v43
	v_lshlrev_b32_e32 v192, 26, v37
	v_cmp_ne_u32_e32 vcc_lo, 0, v190
	v_ashrrev_i32_e32 v194, 31, v194
	v_lshlrev_b32_e32 v193, 25, v37
	v_ashrrev_i32_e32 v42, 31, v42
	v_lshlrev_b32_e32 v190, 24, v37
	v_xor_b32_e32 v41, vcc_lo, v41
	v_cmp_gt_i32_e32 vcc_lo, 0, v43
	v_not_b32_e32 v43, v189
	v_xor_b32_e32 v194, s17, v194
	v_cmp_gt_i32_e64 s17, 0, v189
	v_and_b32_e32 v41, exec_lo, v41
	v_not_b32_e32 v189, v191
	v_ashrrev_i32_e32 v43, 31, v43
	v_xor_b32_e32 v42, vcc_lo, v42
	v_cmp_gt_i32_e32 vcc_lo, 0, v191
	v_and_b32_e32 v41, v41, v194
	v_not_b32_e32 v191, v192
	v_ashrrev_i32_e32 v189, 31, v189
	v_xor_b32_e32 v43, s17, v43
	v_cmp_gt_i32_e64 s17, 0, v192
	v_and_b32_e32 v41, v41, v42
	v_not_b32_e32 v42, v193
	v_ashrrev_i32_e32 v191, 31, v191
	v_xor_b32_e32 v189, vcc_lo, v189
	v_cmp_gt_i32_e32 vcc_lo, 0, v193
	v_and_b32_e32 v41, v41, v43
	v_not_b32_e32 v43, v190
	v_ashrrev_i32_e32 v42, 31, v42
	v_xor_b32_e32 v191, s17, v191
	v_mul_u32_u24_e32 v37, 9, v37
	v_and_b32_e32 v41, v41, v189
	v_cmp_gt_i32_e64 s17, 0, v190
	v_ashrrev_i32_e32 v43, 31, v43
	v_xor_b32_e32 v42, vcc_lo, v42
	v_add_lshl_u32 v189, v37, v126, 2
	v_and_b32_e32 v41, v41, v191
	s_delay_alu instid0(VALU_DEP_4) | instskip(SKIP_3) | instid1(VALU_DEP_2)
	v_xor_b32_e32 v37, s17, v43
	ds_load_b32 v190, v189 offset:1056
	v_and_b32_e32 v41, v41, v42
	v_add_nc_u32_e32 v192, 0x420, v189
	; wave barrier
	v_and_b32_e32 v37, v41, v37
	s_delay_alu instid0(VALU_DEP_1) | instskip(SKIP_1) | instid1(VALU_DEP_2)
	v_mbcnt_lo_u32_b32 v191, v37, 0
	v_cmp_ne_u32_e64 s17, 0, v37
	v_cmp_eq_u32_e32 vcc_lo, 0, v191
	s_delay_alu instid0(VALU_DEP_2) | instskip(NEXT) | instid1(SALU_CYCLE_1)
	s_and_b32 s18, s17, vcc_lo
	s_and_saveexec_b32 s17, s18
	s_cbranch_execz .LBB1879_753
; %bb.752:                              ;   in Loop: Header=BB1879_693 Depth=2
	s_waitcnt lgkmcnt(0)
	v_bcnt_u32_b32 v37, v37, v190
	ds_store_b32 v192, v37
.LBB1879_753:                           ;   in Loop: Header=BB1879_693 Depth=2
	s_or_b32 exec_lo, exec_lo, s17
	v_cmp_lt_i16_e32 vcc_lo, -1, v40
	; wave barrier
	v_cndmask_b32_e64 v37, -1, 0xffff8000, vcc_lo
	s_delay_alu instid0(VALU_DEP_1) | instskip(NEXT) | instid1(VALU_DEP_1)
	v_xor_b32_e32 v189, v37, v40
	v_cmp_ne_u16_e64 vcc_lo, 0x7fff, v189
	v_cndmask_b32_e32 v37, 0xffff8000, v189, vcc_lo
	s_delay_alu instid0(VALU_DEP_1) | instskip(NEXT) | instid1(VALU_DEP_1)
	v_and_b32_e32 v37, 0xffff, v37
	v_lshrrev_b32_e32 v37, s49, v37
	s_delay_alu instid0(VALU_DEP_1) | instskip(NEXT) | instid1(VALU_DEP_1)
	v_and_b32_e32 v37, s55, v37
	v_and_b32_e32 v40, 1, v37
	v_lshlrev_b32_e32 v41, 30, v37
	v_lshlrev_b32_e32 v42, 29, v37
	;; [unrolled: 1-line block ×4, first 2 shown]
	v_add_co_u32 v40, s17, v40, -1
	s_delay_alu instid0(VALU_DEP_1)
	v_cndmask_b32_e64 v193, 0, 1, s17
	v_not_b32_e32 v197, v41
	v_cmp_gt_i32_e64 s17, 0, v41
	v_not_b32_e32 v41, v42
	v_lshlrev_b32_e32 v195, 26, v37
	v_cmp_ne_u32_e32 vcc_lo, 0, v193
	v_ashrrev_i32_e32 v197, 31, v197
	v_lshlrev_b32_e32 v196, 25, v37
	v_ashrrev_i32_e32 v41, 31, v41
	v_lshlrev_b32_e32 v193, 24, v37
	v_xor_b32_e32 v40, vcc_lo, v40
	v_cmp_gt_i32_e32 vcc_lo, 0, v42
	v_not_b32_e32 v42, v43
	v_xor_b32_e32 v197, s17, v197
	v_cmp_gt_i32_e64 s17, 0, v43
	v_and_b32_e32 v40, exec_lo, v40
	v_not_b32_e32 v43, v194
	v_ashrrev_i32_e32 v42, 31, v42
	v_xor_b32_e32 v41, vcc_lo, v41
	v_cmp_gt_i32_e32 vcc_lo, 0, v194
	v_and_b32_e32 v40, v40, v197
	v_not_b32_e32 v194, v195
	v_ashrrev_i32_e32 v43, 31, v43
	v_xor_b32_e32 v42, s17, v42
	v_cmp_gt_i32_e64 s17, 0, v195
	v_and_b32_e32 v40, v40, v41
	v_not_b32_e32 v41, v196
	v_ashrrev_i32_e32 v194, 31, v194
	v_xor_b32_e32 v43, vcc_lo, v43
	v_cmp_gt_i32_e32 vcc_lo, 0, v196
	v_and_b32_e32 v40, v40, v42
	v_not_b32_e32 v42, v193
	v_ashrrev_i32_e32 v41, 31, v41
	v_xor_b32_e32 v194, s17, v194
	v_mul_u32_u24_e32 v37, 9, v37
	v_and_b32_e32 v40, v40, v43
	v_cmp_gt_i32_e64 s17, 0, v193
	v_ashrrev_i32_e32 v42, 31, v42
	v_xor_b32_e32 v41, vcc_lo, v41
	v_add_lshl_u32 v43, v37, v126, 2
	v_and_b32_e32 v40, v40, v194
	s_delay_alu instid0(VALU_DEP_4) | instskip(SKIP_3) | instid1(VALU_DEP_2)
	v_xor_b32_e32 v37, s17, v42
	ds_load_b32 v194, v43 offset:1056
	v_and_b32_e32 v40, v40, v41
	v_add_nc_u32_e32 v196, 0x420, v43
	; wave barrier
	v_and_b32_e32 v37, v40, v37
	s_delay_alu instid0(VALU_DEP_1) | instskip(SKIP_1) | instid1(VALU_DEP_2)
	v_mbcnt_lo_u32_b32 v195, v37, 0
	v_cmp_ne_u32_e64 s17, 0, v37
	v_cmp_eq_u32_e32 vcc_lo, 0, v195
	s_delay_alu instid0(VALU_DEP_2) | instskip(NEXT) | instid1(SALU_CYCLE_1)
	s_and_b32 s18, s17, vcc_lo
	s_and_saveexec_b32 s17, s18
	s_cbranch_execz .LBB1879_755
; %bb.754:                              ;   in Loop: Header=BB1879_693 Depth=2
	s_waitcnt lgkmcnt(0)
	v_bcnt_u32_b32 v37, v37, v194
	ds_store_b32 v196, v37
.LBB1879_755:                           ;   in Loop: Header=BB1879_693 Depth=2
	s_or_b32 exec_lo, exec_lo, s17
	v_cmp_lt_i16_e32 vcc_lo, -1, v39
	; wave barrier
	v_cndmask_b32_e64 v37, -1, 0xffff8000, vcc_lo
	s_delay_alu instid0(VALU_DEP_1) | instskip(NEXT) | instid1(VALU_DEP_1)
	v_xor_b32_e32 v193, v37, v39
	v_cmp_ne_u16_e64 vcc_lo, 0x7fff, v193
	v_cndmask_b32_e32 v37, 0xffff8000, v193, vcc_lo
	s_delay_alu instid0(VALU_DEP_1) | instskip(NEXT) | instid1(VALU_DEP_1)
	v_and_b32_e32 v37, 0xffff, v37
	v_lshrrev_b32_e32 v37, s49, v37
	s_delay_alu instid0(VALU_DEP_1) | instskip(NEXT) | instid1(VALU_DEP_1)
	v_and_b32_e32 v37, s55, v37
	v_and_b32_e32 v39, 1, v37
	v_lshlrev_b32_e32 v40, 30, v37
	v_lshlrev_b32_e32 v41, 29, v37
	;; [unrolled: 1-line block ×4, first 2 shown]
	v_add_co_u32 v39, s17, v39, -1
	s_delay_alu instid0(VALU_DEP_1)
	v_cndmask_b32_e64 v43, 0, 1, s17
	v_not_b32_e32 v200, v40
	v_cmp_gt_i32_e64 s17, 0, v40
	v_not_b32_e32 v40, v41
	v_lshlrev_b32_e32 v198, 26, v37
	v_cmp_ne_u32_e32 vcc_lo, 0, v43
	v_ashrrev_i32_e32 v200, 31, v200
	v_lshlrev_b32_e32 v199, 25, v37
	v_ashrrev_i32_e32 v40, 31, v40
	v_lshlrev_b32_e32 v43, 24, v37
	v_xor_b32_e32 v39, vcc_lo, v39
	v_cmp_gt_i32_e32 vcc_lo, 0, v41
	v_not_b32_e32 v41, v42
	v_xor_b32_e32 v200, s17, v200
	v_cmp_gt_i32_e64 s17, 0, v42
	v_and_b32_e32 v39, exec_lo, v39
	v_not_b32_e32 v42, v197
	v_ashrrev_i32_e32 v41, 31, v41
	v_xor_b32_e32 v40, vcc_lo, v40
	v_cmp_gt_i32_e32 vcc_lo, 0, v197
	v_and_b32_e32 v39, v39, v200
	v_not_b32_e32 v197, v198
	v_ashrrev_i32_e32 v42, 31, v42
	v_xor_b32_e32 v41, s17, v41
	v_cmp_gt_i32_e64 s17, 0, v198
	v_and_b32_e32 v39, v39, v40
	v_not_b32_e32 v40, v199
	v_ashrrev_i32_e32 v197, 31, v197
	v_xor_b32_e32 v42, vcc_lo, v42
	v_cmp_gt_i32_e32 vcc_lo, 0, v199
	v_and_b32_e32 v39, v39, v41
	v_not_b32_e32 v41, v43
	v_ashrrev_i32_e32 v40, 31, v40
	v_xor_b32_e32 v197, s17, v197
	v_mul_u32_u24_e32 v37, 9, v37
	v_and_b32_e32 v39, v39, v42
	v_cmp_gt_i32_e64 s17, 0, v43
	v_ashrrev_i32_e32 v41, 31, v41
	v_xor_b32_e32 v40, vcc_lo, v40
	v_add_lshl_u32 v42, v37, v126, 2
	v_and_b32_e32 v39, v39, v197
	s_delay_alu instid0(VALU_DEP_4) | instskip(SKIP_3) | instid1(VALU_DEP_2)
	v_xor_b32_e32 v37, s17, v41
	ds_load_b32 v198, v42 offset:1056
	v_and_b32_e32 v39, v39, v40
	v_add_nc_u32_e32 v200, 0x420, v42
	; wave barrier
	v_and_b32_e32 v37, v39, v37
	s_delay_alu instid0(VALU_DEP_1) | instskip(SKIP_1) | instid1(VALU_DEP_2)
	v_mbcnt_lo_u32_b32 v199, v37, 0
	v_cmp_ne_u32_e64 s17, 0, v37
	v_cmp_eq_u32_e32 vcc_lo, 0, v199
	s_delay_alu instid0(VALU_DEP_2) | instskip(NEXT) | instid1(SALU_CYCLE_1)
	s_and_b32 s18, s17, vcc_lo
	s_and_saveexec_b32 s17, s18
	s_cbranch_execz .LBB1879_757
; %bb.756:                              ;   in Loop: Header=BB1879_693 Depth=2
	s_waitcnt lgkmcnt(0)
	v_bcnt_u32_b32 v37, v37, v198
	ds_store_b32 v200, v37
.LBB1879_757:                           ;   in Loop: Header=BB1879_693 Depth=2
	s_or_b32 exec_lo, exec_lo, s17
	v_cmp_lt_i16_e32 vcc_lo, -1, v38
	; wave barrier
	v_cndmask_b32_e64 v37, -1, 0xffff8000, vcc_lo
	s_delay_alu instid0(VALU_DEP_1) | instskip(NEXT) | instid1(VALU_DEP_1)
	v_xor_b32_e32 v197, v37, v38
	v_cmp_ne_u16_e64 vcc_lo, 0x7fff, v197
	v_cndmask_b32_e32 v37, 0xffff8000, v197, vcc_lo
	s_delay_alu instid0(VALU_DEP_1) | instskip(NEXT) | instid1(VALU_DEP_1)
	v_and_b32_e32 v37, 0xffff, v37
	v_lshrrev_b32_e32 v37, s49, v37
	s_delay_alu instid0(VALU_DEP_1) | instskip(NEXT) | instid1(VALU_DEP_1)
	v_and_b32_e32 v37, s55, v37
	v_and_b32_e32 v38, 1, v37
	v_lshlrev_b32_e32 v39, 30, v37
	v_lshlrev_b32_e32 v40, 29, v37
	;; [unrolled: 1-line block ×4, first 2 shown]
	v_add_co_u32 v38, s17, v38, -1
	s_delay_alu instid0(VALU_DEP_1)
	v_cndmask_b32_e64 v42, 0, 1, s17
	v_not_b32_e32 v203, v39
	v_cmp_gt_i32_e64 s17, 0, v39
	v_not_b32_e32 v39, v40
	v_lshlrev_b32_e32 v201, 26, v37
	v_cmp_ne_u32_e32 vcc_lo, 0, v42
	v_ashrrev_i32_e32 v203, 31, v203
	v_lshlrev_b32_e32 v202, 25, v37
	v_ashrrev_i32_e32 v39, 31, v39
	v_lshlrev_b32_e32 v42, 24, v37
	v_xor_b32_e32 v38, vcc_lo, v38
	v_cmp_gt_i32_e32 vcc_lo, 0, v40
	v_not_b32_e32 v40, v41
	v_xor_b32_e32 v203, s17, v203
	v_cmp_gt_i32_e64 s17, 0, v41
	v_and_b32_e32 v38, exec_lo, v38
	v_not_b32_e32 v41, v43
	v_ashrrev_i32_e32 v40, 31, v40
	v_xor_b32_e32 v39, vcc_lo, v39
	v_cmp_gt_i32_e32 vcc_lo, 0, v43
	v_and_b32_e32 v38, v38, v203
	v_not_b32_e32 v43, v201
	v_ashrrev_i32_e32 v41, 31, v41
	v_xor_b32_e32 v40, s17, v40
	v_cmp_gt_i32_e64 s17, 0, v201
	v_and_b32_e32 v38, v38, v39
	v_not_b32_e32 v39, v202
	v_ashrrev_i32_e32 v43, 31, v43
	v_xor_b32_e32 v41, vcc_lo, v41
	v_cmp_gt_i32_e32 vcc_lo, 0, v202
	v_and_b32_e32 v38, v38, v40
	v_not_b32_e32 v40, v42
	v_ashrrev_i32_e32 v39, 31, v39
	v_xor_b32_e32 v43, s17, v43
	v_mul_u32_u24_e32 v37, 9, v37
	v_and_b32_e32 v38, v38, v41
	v_cmp_gt_i32_e64 s17, 0, v42
	v_ashrrev_i32_e32 v40, 31, v40
	v_xor_b32_e32 v39, vcc_lo, v39
	v_add_lshl_u32 v41, v37, v126, 2
	v_and_b32_e32 v38, v38, v43
	s_delay_alu instid0(VALU_DEP_4) | instskip(SKIP_3) | instid1(VALU_DEP_2)
	v_xor_b32_e32 v37, s17, v40
	ds_load_b32 v202, v41 offset:1056
	v_and_b32_e32 v38, v38, v39
	v_add_nc_u32_e32 v204, 0x420, v41
	; wave barrier
	v_and_b32_e32 v37, v38, v37
	s_delay_alu instid0(VALU_DEP_1) | instskip(SKIP_1) | instid1(VALU_DEP_2)
	v_mbcnt_lo_u32_b32 v203, v37, 0
	v_cmp_ne_u32_e64 s17, 0, v37
	v_cmp_eq_u32_e32 vcc_lo, 0, v203
	s_delay_alu instid0(VALU_DEP_2) | instskip(NEXT) | instid1(SALU_CYCLE_1)
	s_and_b32 s18, s17, vcc_lo
	s_and_saveexec_b32 s17, s18
	s_cbranch_execz .LBB1879_759
; %bb.758:                              ;   in Loop: Header=BB1879_693 Depth=2
	s_waitcnt lgkmcnt(0)
	v_bcnt_u32_b32 v37, v37, v202
	ds_store_b32 v204, v37
.LBB1879_759:                           ;   in Loop: Header=BB1879_693 Depth=2
	s_or_b32 exec_lo, exec_lo, s17
	v_cmp_lt_i16_e32 vcc_lo, -1, v36
	; wave barrier
	v_cndmask_b32_e64 v37, -1, 0xffff8000, vcc_lo
	s_delay_alu instid0(VALU_DEP_1) | instskip(NEXT) | instid1(VALU_DEP_1)
	v_xor_b32_e32 v201, v37, v36
	v_cmp_ne_u16_e64 vcc_lo, 0x7fff, v201
	v_cndmask_b32_e32 v36, 0xffff8000, v201, vcc_lo
	s_delay_alu instid0(VALU_DEP_1) | instskip(NEXT) | instid1(VALU_DEP_1)
	v_and_b32_e32 v36, 0xffff, v36
	v_lshrrev_b32_e32 v36, s49, v36
	s_delay_alu instid0(VALU_DEP_1) | instskip(NEXT) | instid1(VALU_DEP_1)
	v_and_b32_e32 v36, s55, v36
	v_and_b32_e32 v37, 1, v36
	v_lshlrev_b32_e32 v38, 30, v36
	v_lshlrev_b32_e32 v39, 29, v36
	;; [unrolled: 1-line block ×4, first 2 shown]
	v_add_co_u32 v37, s17, v37, -1
	s_delay_alu instid0(VALU_DEP_1)
	v_cndmask_b32_e64 v41, 0, 1, s17
	v_not_b32_e32 v206, v38
	v_cmp_gt_i32_e64 s17, 0, v38
	v_not_b32_e32 v38, v39
	v_lshlrev_b32_e32 v43, 26, v36
	v_cmp_ne_u32_e32 vcc_lo, 0, v41
	v_ashrrev_i32_e32 v206, 31, v206
	v_lshlrev_b32_e32 v205, 25, v36
	v_ashrrev_i32_e32 v38, 31, v38
	v_lshlrev_b32_e32 v41, 24, v36
	v_xor_b32_e32 v37, vcc_lo, v37
	v_cmp_gt_i32_e32 vcc_lo, 0, v39
	v_not_b32_e32 v39, v40
	v_xor_b32_e32 v206, s17, v206
	v_cmp_gt_i32_e64 s17, 0, v40
	v_and_b32_e32 v37, exec_lo, v37
	v_not_b32_e32 v40, v42
	v_ashrrev_i32_e32 v39, 31, v39
	v_xor_b32_e32 v38, vcc_lo, v38
	v_cmp_gt_i32_e32 vcc_lo, 0, v42
	v_and_b32_e32 v37, v37, v206
	v_not_b32_e32 v42, v43
	v_ashrrev_i32_e32 v40, 31, v40
	v_xor_b32_e32 v39, s17, v39
	v_cmp_gt_i32_e64 s17, 0, v43
	v_and_b32_e32 v37, v37, v38
	v_not_b32_e32 v38, v205
	v_ashrrev_i32_e32 v42, 31, v42
	v_xor_b32_e32 v40, vcc_lo, v40
	v_cmp_gt_i32_e32 vcc_lo, 0, v205
	v_and_b32_e32 v37, v37, v39
	v_not_b32_e32 v39, v41
	v_ashrrev_i32_e32 v38, 31, v38
	v_xor_b32_e32 v42, s17, v42
	v_mul_u32_u24_e32 v36, 9, v36
	v_and_b32_e32 v37, v37, v40
	v_cmp_gt_i32_e64 s17, 0, v41
	v_ashrrev_i32_e32 v39, 31, v39
	v_xor_b32_e32 v38, vcc_lo, v38
	v_add_lshl_u32 v40, v36, v126, 2
	v_and_b32_e32 v37, v37, v42
	s_delay_alu instid0(VALU_DEP_4) | instskip(SKIP_3) | instid1(VALU_DEP_2)
	v_xor_b32_e32 v36, s17, v39
	ds_load_b32 v205, v40 offset:1056
	v_and_b32_e32 v37, v37, v38
	v_add_nc_u32_e32 v207, 0x420, v40
	; wave barrier
	v_and_b32_e32 v36, v37, v36
	s_delay_alu instid0(VALU_DEP_1) | instskip(SKIP_1) | instid1(VALU_DEP_2)
	v_mbcnt_lo_u32_b32 v206, v36, 0
	v_cmp_ne_u32_e64 s17, 0, v36
	v_cmp_eq_u32_e32 vcc_lo, 0, v206
	s_delay_alu instid0(VALU_DEP_2) | instskip(NEXT) | instid1(SALU_CYCLE_1)
	s_and_b32 s18, s17, vcc_lo
	s_and_saveexec_b32 s17, s18
	s_cbranch_execz .LBB1879_761
; %bb.760:                              ;   in Loop: Header=BB1879_693 Depth=2
	s_waitcnt lgkmcnt(0)
	v_bcnt_u32_b32 v36, v36, v205
	ds_store_b32 v207, v36
.LBB1879_761:                           ;   in Loop: Header=BB1879_693 Depth=2
	s_or_b32 exec_lo, exec_lo, s17
	; wave barrier
	s_waitcnt lgkmcnt(0)
	s_barrier
	buffer_gl0_inv
	ds_load_b32 v208, v69 offset:1056
	ds_load_2addr_b32 v[42:43], v71 offset0:1 offset1:2
	ds_load_2addr_b32 v[40:41], v71 offset0:3 offset1:4
	;; [unrolled: 1-line block ×4, first 2 shown]
	s_waitcnt lgkmcnt(3)
	v_add3_u32 v209, v42, v208, v43
	s_waitcnt lgkmcnt(2)
	s_delay_alu instid0(VALU_DEP_1) | instskip(SKIP_1) | instid1(VALU_DEP_1)
	v_add3_u32 v209, v209, v40, v41
	s_waitcnt lgkmcnt(1)
	v_add3_u32 v209, v209, v36, v37
	s_waitcnt lgkmcnt(0)
	s_delay_alu instid0(VALU_DEP_1) | instskip(NEXT) | instid1(VALU_DEP_1)
	v_add3_u32 v39, v209, v38, v39
	v_mov_b32_dpp v209, v39 row_shr:1 row_mask:0xf bank_mask:0xf
	s_delay_alu instid0(VALU_DEP_1) | instskip(NEXT) | instid1(VALU_DEP_1)
	v_cndmask_b32_e64 v209, v209, 0, s0
	v_add_nc_u32_e32 v39, v209, v39
	s_delay_alu instid0(VALU_DEP_1) | instskip(NEXT) | instid1(VALU_DEP_1)
	v_mov_b32_dpp v209, v39 row_shr:2 row_mask:0xf bank_mask:0xf
	v_cndmask_b32_e64 v209, 0, v209, s1
	s_delay_alu instid0(VALU_DEP_1) | instskip(NEXT) | instid1(VALU_DEP_1)
	v_add_nc_u32_e32 v39, v39, v209
	v_mov_b32_dpp v209, v39 row_shr:4 row_mask:0xf bank_mask:0xf
	s_delay_alu instid0(VALU_DEP_1) | instskip(NEXT) | instid1(VALU_DEP_1)
	v_cndmask_b32_e64 v209, 0, v209, s8
	v_add_nc_u32_e32 v39, v39, v209
	s_delay_alu instid0(VALU_DEP_1) | instskip(NEXT) | instid1(VALU_DEP_1)
	v_mov_b32_dpp v209, v39 row_shr:8 row_mask:0xf bank_mask:0xf
	v_cndmask_b32_e64 v209, 0, v209, s9
	s_delay_alu instid0(VALU_DEP_1) | instskip(SKIP_3) | instid1(VALU_DEP_1)
	v_add_nc_u32_e32 v39, v39, v209
	ds_swizzle_b32 v209, v39 offset:swizzle(BROADCAST,32,15)
	s_waitcnt lgkmcnt(0)
	v_cndmask_b32_e64 v209, v209, 0, s10
	v_add_nc_u32_e32 v39, v39, v209
	s_and_saveexec_b32 s17, s3
	s_cbranch_execz .LBB1879_763
; %bb.762:                              ;   in Loop: Header=BB1879_693 Depth=2
	ds_store_b32 v62, v39 offset:1024
.LBB1879_763:                           ;   in Loop: Header=BB1879_693 Depth=2
	s_or_b32 exec_lo, exec_lo, s17
	s_waitcnt lgkmcnt(0)
	s_barrier
	buffer_gl0_inv
	s_and_saveexec_b32 s17, s4
	s_cbranch_execz .LBB1879_765
; %bb.764:                              ;   in Loop: Header=BB1879_693 Depth=2
	ds_load_b32 v209, v72 offset:1024
	s_waitcnt lgkmcnt(0)
	v_mov_b32_dpp v210, v209 row_shr:1 row_mask:0xf bank_mask:0xf
	s_delay_alu instid0(VALU_DEP_1) | instskip(NEXT) | instid1(VALU_DEP_1)
	v_cndmask_b32_e64 v210, v210, 0, s12
	v_add_nc_u32_e32 v209, v210, v209
	s_delay_alu instid0(VALU_DEP_1) | instskip(NEXT) | instid1(VALU_DEP_1)
	v_mov_b32_dpp v210, v209 row_shr:2 row_mask:0xf bank_mask:0xf
	v_cndmask_b32_e64 v210, 0, v210, s13
	s_delay_alu instid0(VALU_DEP_1) | instskip(NEXT) | instid1(VALU_DEP_1)
	v_add_nc_u32_e32 v209, v209, v210
	v_mov_b32_dpp v210, v209 row_shr:4 row_mask:0xf bank_mask:0xf
	s_delay_alu instid0(VALU_DEP_1) | instskip(NEXT) | instid1(VALU_DEP_1)
	v_cndmask_b32_e64 v210, 0, v210, s16
	v_add_nc_u32_e32 v209, v209, v210
	ds_store_b32 v72, v209 offset:1024
.LBB1879_765:                           ;   in Loop: Header=BB1879_693 Depth=2
	s_or_b32 exec_lo, exec_lo, s17
	v_mov_b32_e32 v209, 0
	s_waitcnt lgkmcnt(0)
	s_barrier
	buffer_gl0_inv
	s_and_saveexec_b32 s17, s5
	s_cbranch_execz .LBB1879_767
; %bb.766:                              ;   in Loop: Header=BB1879_693 Depth=2
	ds_load_b32 v209, v62 offset:1020
.LBB1879_767:                           ;   in Loop: Header=BB1879_693 Depth=2
	s_or_b32 exec_lo, exec_lo, s17
	s_waitcnt lgkmcnt(0)
	v_add_nc_u32_e32 v39, v209, v39
	ds_bpermute_b32 v39, v105, v39
	s_waitcnt lgkmcnt(0)
	v_cndmask_b32_e64 v39, v39, v209, s11
	s_delay_alu instid0(VALU_DEP_1) | instskip(NEXT) | instid1(VALU_DEP_1)
	v_cndmask_b32_e64 v39, v39, 0, s6
	v_add_nc_u32_e32 v208, v39, v208
	s_delay_alu instid0(VALU_DEP_1) | instskip(NEXT) | instid1(VALU_DEP_1)
	v_add_nc_u32_e32 v42, v208, v42
	v_add_nc_u32_e32 v43, v42, v43
	s_delay_alu instid0(VALU_DEP_1) | instskip(NEXT) | instid1(VALU_DEP_1)
	v_add_nc_u32_e32 v40, v43, v40
	v_add_nc_u32_e32 v41, v40, v41
	s_delay_alu instid0(VALU_DEP_1) | instskip(NEXT) | instid1(VALU_DEP_1)
	v_add_nc_u32_e32 v36, v41, v36
	v_add_nc_u32_e32 v37, v36, v37
	s_delay_alu instid0(VALU_DEP_1)
	v_add_nc_u32_e32 v38, v37, v38
	ds_store_b32 v69, v39 offset:1056
	ds_store_2addr_b32 v71, v208, v42 offset0:1 offset1:2
	ds_store_2addr_b32 v71, v43, v40 offset0:3 offset1:4
	;; [unrolled: 1-line block ×4, first 2 shown]
	v_mov_b32_e32 v38, 0x1000
	s_waitcnt lgkmcnt(0)
	s_barrier
	buffer_gl0_inv
	ds_load_b32 v39, v152
	ds_load_b32 v40, v156
	;; [unrolled: 1-line block ×16, first 2 shown]
	ds_load_b32 v156, v69 offset:1056
	s_and_saveexec_b32 s17, s7
	s_cbranch_execz .LBB1879_769
; %bb.768:                              ;   in Loop: Header=BB1879_693 Depth=2
	ds_load_b32 v38, v73 offset:1056
.LBB1879_769:                           ;   in Loop: Header=BB1879_693 Depth=2
	s_or_b32 exec_lo, exec_lo, s17
	s_waitcnt lgkmcnt(0)
	s_barrier
	buffer_gl0_inv
	s_and_saveexec_b32 s17, s2
	s_cbranch_execz .LBB1879_771
; %bb.770:                              ;   in Loop: Header=BB1879_693 Depth=2
	ds_load_b32 v160, v44
	s_waitcnt lgkmcnt(0)
	v_sub_nc_u32_e32 v156, v160, v156
	ds_store_b32 v44, v156
.LBB1879_771:                           ;   in Loop: Header=BB1879_693 Depth=2
	s_or_b32 exec_lo, exec_lo, s17
	v_add_nc_u32_e32 v168, v148, v147
	v_add3_u32 v164, v151, v150, v39
	v_add3_u32 v160, v155, v154, v40
	;; [unrolled: 1-line block ×5, first 2 shown]
	v_lshlrev_b32_e32 v158, 1, v168
	v_add3_u32 v43, v199, v198, v36
	v_lshlrev_b32_e32 v36, 1, v164
	v_add3_u32 v152, v172, v171, v173
	v_add3_u32 v151, v175, v174, v176
	ds_store_b16 v158, v2 offset:1024
	v_lshlrev_b32_e32 v2, 1, v160
	ds_store_b16 v36, v146 offset:1024
	v_lshlrev_b32_e32 v36, 1, v154
	v_add3_u32 v150, v179, v178, v180
	v_add3_u32 v42, v203, v202, v37
	v_lshlrev_b32_e32 v37, 1, v156
	v_add3_u32 v148, v183, v182, v184
	v_lshlrev_b32_e32 v158, 1, v155
	v_add3_u32 v147, v187, v186, v188
	v_add3_u32 v40, v191, v190, v192
	ds_store_b16 v2, v149 offset:1024
	ds_store_b16 v37, v153 offset:1024
	;; [unrolled: 1-line block ×3, first 2 shown]
	v_lshlrev_b32_e32 v2, 1, v152
	ds_store_b16 v36, v161 offset:1024
	v_lshlrev_b32_e32 v36, 1, v151
	v_lshlrev_b32_e32 v37, 1, v150
	;; [unrolled: 1-line block ×3, first 2 shown]
	v_add3_u32 v39, v195, v194, v196
	v_add3_u32 v41, v206, v205, v41
	ds_store_b16 v2, v165 offset:1024
	v_lshlrev_b32_e32 v2, 1, v147
	ds_store_b16 v36, v170 offset:1024
	ds_store_b16 v37, v169 offset:1024
	;; [unrolled: 1-line block ×3, first 2 shown]
	v_lshlrev_b32_e32 v36, 1, v40
	v_cmp_lt_u32_e32 vcc_lo, v1, v145
	v_lshlrev_b32_e32 v37, 1, v43
	ds_store_b16 v2, v181 offset:1024
	v_lshlrev_b32_e32 v2, 1, v39
	ds_store_b16 v36, v185 offset:1024
	v_lshlrev_b32_e32 v36, 1, v41
	v_lshlrev_b32_e32 v146, 1, v42
	ds_store_b16 v2, v189 offset:1024
	ds_store_b16 v37, v193 offset:1024
	;; [unrolled: 1-line block ×4, first 2 shown]
	s_waitcnt lgkmcnt(0)
	s_barrier
	buffer_gl0_inv
	s_and_saveexec_b32 s18, vcc_lo
	s_cbranch_execz .LBB1879_787
; %bb.772:                              ;   in Loop: Header=BB1879_693 Depth=2
	v_add_nc_u32_e32 v2, v72, v78
	ds_load_u16 v146, v2 offset:1024
	s_waitcnt lgkmcnt(0)
	v_cmp_ne_u16_e64 s17, 0x7fff, v146
	s_delay_alu instid0(VALU_DEP_1) | instskip(SKIP_1) | instid1(VALU_DEP_2)
	v_cndmask_b32_e64 v2, 0xffff8000, v146, s17
	v_cmp_lt_i16_e64 s17, -1, v146
	v_and_b32_e32 v2, 0xffff, v2
	s_delay_alu instid0(VALU_DEP_2) | instskip(NEXT) | instid1(VALU_DEP_2)
	v_cndmask_b32_e64 v149, 0xffff8000, -1, s17
	v_lshrrev_b32_e32 v2, s49, v2
	s_delay_alu instid0(VALU_DEP_1) | instskip(NEXT) | instid1(VALU_DEP_1)
	v_and_b32_e32 v2, s55, v2
	v_lshlrev_b32_e32 v2, 2, v2
	ds_load_b32 v2, v2
	s_waitcnt lgkmcnt(0)
	v_add_nc_u32_e32 v2, v2, v1
	s_delay_alu instid0(VALU_DEP_1) | instskip(SKIP_1) | instid1(VALU_DEP_2)
	v_lshlrev_b64 v[36:37], 1, v[2:3]
	v_xor_b32_e32 v2, v149, v146
	v_add_co_u32 v36, s17, s38, v36
	s_delay_alu instid0(VALU_DEP_1) | instskip(SKIP_3) | instid1(VALU_DEP_1)
	v_add_co_ci_u32_e64 v37, s17, s39, v37, s17
	global_store_b16 v[36:37], v2, off
	s_or_b32 exec_lo, exec_lo, s18
	v_cmp_lt_u32_e64 s17, v45, v145
	s_and_saveexec_b32 s19, s17
	s_cbranch_execnz .LBB1879_788
.LBB1879_773:                           ;   in Loop: Header=BB1879_693 Depth=2
	s_or_b32 exec_lo, exec_lo, s19
	v_cmp_lt_u32_e64 s18, v46, v145
	s_delay_alu instid0(VALU_DEP_1)
	s_and_saveexec_b32 s20, s18
	s_cbranch_execz .LBB1879_789
.LBB1879_774:                           ;   in Loop: Header=BB1879_693 Depth=2
	ds_load_u16 v146, v79 offset:1024
	s_waitcnt lgkmcnt(0)
	v_cmp_ne_u16_e64 s19, 0x7fff, v146
	s_delay_alu instid0(VALU_DEP_1) | instskip(SKIP_1) | instid1(VALU_DEP_2)
	v_cndmask_b32_e64 v2, 0xffff8000, v146, s19
	v_cmp_lt_i16_e64 s19, -1, v146
	v_and_b32_e32 v2, 0xffff, v2
	s_delay_alu instid0(VALU_DEP_2) | instskip(NEXT) | instid1(VALU_DEP_2)
	v_cndmask_b32_e64 v149, 0xffff8000, -1, s19
	v_lshrrev_b32_e32 v2, s49, v2
	s_delay_alu instid0(VALU_DEP_1) | instskip(NEXT) | instid1(VALU_DEP_1)
	v_and_b32_e32 v2, s55, v2
	v_lshlrev_b32_e32 v2, 2, v2
	ds_load_b32 v2, v2
	s_waitcnt lgkmcnt(0)
	v_add_nc_u32_e32 v2, v2, v46
	s_delay_alu instid0(VALU_DEP_1) | instskip(SKIP_1) | instid1(VALU_DEP_2)
	v_lshlrev_b64 v[36:37], 1, v[2:3]
	v_xor_b32_e32 v2, v149, v146
	v_add_co_u32 v36, s19, s38, v36
	s_delay_alu instid0(VALU_DEP_1) | instskip(SKIP_3) | instid1(VALU_DEP_1)
	v_add_co_ci_u32_e64 v37, s19, s39, v37, s19
	global_store_b16 v[36:37], v2, off
	s_or_b32 exec_lo, exec_lo, s20
	v_cmp_lt_u32_e64 s19, v47, v145
	s_and_saveexec_b32 s21, s19
	s_cbranch_execnz .LBB1879_790
.LBB1879_775:                           ;   in Loop: Header=BB1879_693 Depth=2
	s_or_b32 exec_lo, exec_lo, s21
	v_cmp_lt_u32_e64 s20, v51, v145
	s_delay_alu instid0(VALU_DEP_1)
	s_and_saveexec_b32 s22, s20
	s_cbranch_execz .LBB1879_791
.LBB1879_776:                           ;   in Loop: Header=BB1879_693 Depth=2
	ds_load_u16 v146, v79 offset:2048
	s_waitcnt lgkmcnt(0)
	v_cmp_ne_u16_e64 s21, 0x7fff, v146
	s_delay_alu instid0(VALU_DEP_1) | instskip(SKIP_1) | instid1(VALU_DEP_2)
	v_cndmask_b32_e64 v2, 0xffff8000, v146, s21
	v_cmp_lt_i16_e64 s21, -1, v146
	v_and_b32_e32 v2, 0xffff, v2
	s_delay_alu instid0(VALU_DEP_2) | instskip(NEXT) | instid1(VALU_DEP_2)
	v_cndmask_b32_e64 v149, 0xffff8000, -1, s21
	v_lshrrev_b32_e32 v2, s49, v2
	s_delay_alu instid0(VALU_DEP_1) | instskip(NEXT) | instid1(VALU_DEP_1)
	v_and_b32_e32 v2, s55, v2
	v_lshlrev_b32_e32 v2, 2, v2
	ds_load_b32 v2, v2
	s_waitcnt lgkmcnt(0)
	v_add_nc_u32_e32 v2, v2, v51
	s_delay_alu instid0(VALU_DEP_1) | instskip(SKIP_1) | instid1(VALU_DEP_2)
	v_lshlrev_b64 v[36:37], 1, v[2:3]
	v_xor_b32_e32 v2, v149, v146
	v_add_co_u32 v36, s21, s38, v36
	s_delay_alu instid0(VALU_DEP_1) | instskip(SKIP_3) | instid1(VALU_DEP_1)
	v_add_co_ci_u32_e64 v37, s21, s39, v37, s21
	global_store_b16 v[36:37], v2, off
	s_or_b32 exec_lo, exec_lo, s22
	v_cmp_lt_u32_e64 s21, v52, v145
	s_and_saveexec_b32 s23, s21
	s_cbranch_execnz .LBB1879_792
.LBB1879_777:                           ;   in Loop: Header=BB1879_693 Depth=2
	s_or_b32 exec_lo, exec_lo, s23
	v_cmp_lt_u32_e64 s22, v53, v145
	s_delay_alu instid0(VALU_DEP_1)
	s_and_saveexec_b32 s24, s22
	s_cbranch_execz .LBB1879_793
.LBB1879_778:                           ;   in Loop: Header=BB1879_693 Depth=2
	ds_load_u16 v146, v79 offset:3072
	s_waitcnt lgkmcnt(0)
	v_cmp_ne_u16_e64 s23, 0x7fff, v146
	s_delay_alu instid0(VALU_DEP_1) | instskip(SKIP_1) | instid1(VALU_DEP_2)
	v_cndmask_b32_e64 v2, 0xffff8000, v146, s23
	v_cmp_lt_i16_e64 s23, -1, v146
	v_and_b32_e32 v2, 0xffff, v2
	s_delay_alu instid0(VALU_DEP_2) | instskip(NEXT) | instid1(VALU_DEP_2)
	v_cndmask_b32_e64 v149, 0xffff8000, -1, s23
	v_lshrrev_b32_e32 v2, s49, v2
	s_delay_alu instid0(VALU_DEP_1) | instskip(NEXT) | instid1(VALU_DEP_1)
	v_and_b32_e32 v2, s55, v2
	v_lshlrev_b32_e32 v2, 2, v2
	ds_load_b32 v2, v2
	s_waitcnt lgkmcnt(0)
	v_add_nc_u32_e32 v2, v2, v53
	s_delay_alu instid0(VALU_DEP_1) | instskip(SKIP_1) | instid1(VALU_DEP_2)
	v_lshlrev_b64 v[36:37], 1, v[2:3]
	v_xor_b32_e32 v2, v149, v146
	v_add_co_u32 v36, s23, s38, v36
	s_delay_alu instid0(VALU_DEP_1) | instskip(SKIP_3) | instid1(VALU_DEP_1)
	v_add_co_ci_u32_e64 v37, s23, s39, v37, s23
	global_store_b16 v[36:37], v2, off
	s_or_b32 exec_lo, exec_lo, s24
	v_cmp_lt_u32_e64 s23, v54, v145
	s_and_saveexec_b32 s25, s23
	s_cbranch_execnz .LBB1879_794
.LBB1879_779:                           ;   in Loop: Header=BB1879_693 Depth=2
	s_or_b32 exec_lo, exec_lo, s25
	v_cmp_lt_u32_e64 s24, v55, v145
	s_delay_alu instid0(VALU_DEP_1)
	s_and_saveexec_b32 s26, s24
	s_cbranch_execz .LBB1879_795
.LBB1879_780:                           ;   in Loop: Header=BB1879_693 Depth=2
	ds_load_u16 v146, v79 offset:4096
	s_waitcnt lgkmcnt(0)
	v_cmp_ne_u16_e64 s25, 0x7fff, v146
	s_delay_alu instid0(VALU_DEP_1) | instskip(SKIP_1) | instid1(VALU_DEP_2)
	v_cndmask_b32_e64 v2, 0xffff8000, v146, s25
	v_cmp_lt_i16_e64 s25, -1, v146
	v_and_b32_e32 v2, 0xffff, v2
	s_delay_alu instid0(VALU_DEP_2) | instskip(NEXT) | instid1(VALU_DEP_2)
	v_cndmask_b32_e64 v149, 0xffff8000, -1, s25
	v_lshrrev_b32_e32 v2, s49, v2
	s_delay_alu instid0(VALU_DEP_1) | instskip(NEXT) | instid1(VALU_DEP_1)
	v_and_b32_e32 v2, s55, v2
	v_lshlrev_b32_e32 v2, 2, v2
	ds_load_b32 v2, v2
	s_waitcnt lgkmcnt(0)
	v_add_nc_u32_e32 v2, v2, v55
	s_delay_alu instid0(VALU_DEP_1) | instskip(SKIP_1) | instid1(VALU_DEP_2)
	v_lshlrev_b64 v[36:37], 1, v[2:3]
	v_xor_b32_e32 v2, v149, v146
	v_add_co_u32 v36, s25, s38, v36
	s_delay_alu instid0(VALU_DEP_1) | instskip(SKIP_3) | instid1(VALU_DEP_1)
	v_add_co_ci_u32_e64 v37, s25, s39, v37, s25
	global_store_b16 v[36:37], v2, off
	s_or_b32 exec_lo, exec_lo, s26
	v_cmp_lt_u32_e64 s25, v56, v145
	s_and_saveexec_b32 s27, s25
	s_cbranch_execnz .LBB1879_796
.LBB1879_781:                           ;   in Loop: Header=BB1879_693 Depth=2
	s_or_b32 exec_lo, exec_lo, s27
	v_cmp_lt_u32_e64 s26, v57, v145
	s_delay_alu instid0(VALU_DEP_1)
	s_and_saveexec_b32 s28, s26
	s_cbranch_execz .LBB1879_797
.LBB1879_782:                           ;   in Loop: Header=BB1879_693 Depth=2
	ds_load_u16 v146, v79 offset:5120
	s_waitcnt lgkmcnt(0)
	v_cmp_ne_u16_e64 s27, 0x7fff, v146
	s_delay_alu instid0(VALU_DEP_1) | instskip(SKIP_1) | instid1(VALU_DEP_2)
	v_cndmask_b32_e64 v2, 0xffff8000, v146, s27
	v_cmp_lt_i16_e64 s27, -1, v146
	v_and_b32_e32 v2, 0xffff, v2
	s_delay_alu instid0(VALU_DEP_2) | instskip(NEXT) | instid1(VALU_DEP_2)
	v_cndmask_b32_e64 v149, 0xffff8000, -1, s27
	v_lshrrev_b32_e32 v2, s49, v2
	s_delay_alu instid0(VALU_DEP_1) | instskip(NEXT) | instid1(VALU_DEP_1)
	v_and_b32_e32 v2, s55, v2
	v_lshlrev_b32_e32 v2, 2, v2
	ds_load_b32 v2, v2
	s_waitcnt lgkmcnt(0)
	v_add_nc_u32_e32 v2, v2, v57
	s_delay_alu instid0(VALU_DEP_1) | instskip(SKIP_1) | instid1(VALU_DEP_2)
	v_lshlrev_b64 v[36:37], 1, v[2:3]
	v_xor_b32_e32 v2, v149, v146
	v_add_co_u32 v36, s27, s38, v36
	s_delay_alu instid0(VALU_DEP_1) | instskip(SKIP_3) | instid1(VALU_DEP_1)
	v_add_co_ci_u32_e64 v37, s27, s39, v37, s27
	global_store_b16 v[36:37], v2, off
	s_or_b32 exec_lo, exec_lo, s28
	v_cmp_lt_u32_e64 s27, v58, v145
	s_and_saveexec_b32 s29, s27
	s_cbranch_execnz .LBB1879_798
.LBB1879_783:                           ;   in Loop: Header=BB1879_693 Depth=2
	s_or_b32 exec_lo, exec_lo, s29
	v_cmp_lt_u32_e64 s28, v59, v145
	s_delay_alu instid0(VALU_DEP_1)
	s_and_saveexec_b32 s30, s28
	s_cbranch_execz .LBB1879_799
.LBB1879_784:                           ;   in Loop: Header=BB1879_693 Depth=2
	ds_load_u16 v146, v79 offset:6144
	s_waitcnt lgkmcnt(0)
	v_cmp_ne_u16_e64 s29, 0x7fff, v146
	s_delay_alu instid0(VALU_DEP_1) | instskip(SKIP_1) | instid1(VALU_DEP_2)
	v_cndmask_b32_e64 v2, 0xffff8000, v146, s29
	v_cmp_lt_i16_e64 s29, -1, v146
	v_and_b32_e32 v2, 0xffff, v2
	s_delay_alu instid0(VALU_DEP_2) | instskip(NEXT) | instid1(VALU_DEP_2)
	v_cndmask_b32_e64 v149, 0xffff8000, -1, s29
	v_lshrrev_b32_e32 v2, s49, v2
	s_delay_alu instid0(VALU_DEP_1) | instskip(NEXT) | instid1(VALU_DEP_1)
	v_and_b32_e32 v2, s55, v2
	v_lshlrev_b32_e32 v2, 2, v2
	ds_load_b32 v2, v2
	s_waitcnt lgkmcnt(0)
	v_add_nc_u32_e32 v2, v2, v59
	s_delay_alu instid0(VALU_DEP_1) | instskip(SKIP_1) | instid1(VALU_DEP_2)
	v_lshlrev_b64 v[36:37], 1, v[2:3]
	v_xor_b32_e32 v2, v149, v146
	v_add_co_u32 v36, s29, s38, v36
	s_delay_alu instid0(VALU_DEP_1) | instskip(SKIP_3) | instid1(VALU_DEP_1)
	v_add_co_ci_u32_e64 v37, s29, s39, v37, s29
	global_store_b16 v[36:37], v2, off
	s_or_b32 exec_lo, exec_lo, s30
	v_cmp_lt_u32_e64 s29, v60, v145
	s_and_saveexec_b32 s31, s29
	s_cbranch_execnz .LBB1879_800
.LBB1879_785:                           ;   in Loop: Header=BB1879_693 Depth=2
	s_or_b32 exec_lo, exec_lo, s31
	v_cmp_lt_u32_e64 s30, v61, v145
	s_delay_alu instid0(VALU_DEP_1)
	s_and_saveexec_b32 s33, s30
	s_cbranch_execz .LBB1879_801
.LBB1879_786:                           ;   in Loop: Header=BB1879_693 Depth=2
	ds_load_u16 v146, v79 offset:7168
	s_waitcnt lgkmcnt(0)
	v_cmp_ne_u16_e64 s31, 0x7fff, v146
	s_delay_alu instid0(VALU_DEP_1) | instskip(SKIP_1) | instid1(VALU_DEP_2)
	v_cndmask_b32_e64 v2, 0xffff8000, v146, s31
	v_cmp_lt_i16_e64 s31, -1, v146
	v_and_b32_e32 v2, 0xffff, v2
	s_delay_alu instid0(VALU_DEP_2) | instskip(NEXT) | instid1(VALU_DEP_2)
	v_cndmask_b32_e64 v149, 0xffff8000, -1, s31
	v_lshrrev_b32_e32 v2, s49, v2
	s_delay_alu instid0(VALU_DEP_1) | instskip(NEXT) | instid1(VALU_DEP_1)
	v_and_b32_e32 v2, s55, v2
	v_lshlrev_b32_e32 v2, 2, v2
	ds_load_b32 v2, v2
	s_waitcnt lgkmcnt(0)
	v_add_nc_u32_e32 v2, v2, v61
	s_delay_alu instid0(VALU_DEP_1) | instskip(SKIP_1) | instid1(VALU_DEP_2)
	v_lshlrev_b64 v[36:37], 1, v[2:3]
	v_xor_b32_e32 v2, v149, v146
	v_add_co_u32 v36, s31, s38, v36
	s_delay_alu instid0(VALU_DEP_1) | instskip(SKIP_3) | instid1(VALU_DEP_1)
	v_add_co_ci_u32_e64 v37, s31, s39, v37, s31
	global_store_b16 v[36:37], v2, off
	s_or_b32 exec_lo, exec_lo, s33
	v_cmp_lt_u32_e64 s31, v63, v145
	s_and_saveexec_b32 s58, s31
	s_cbranch_execnz .LBB1879_802
	s_branch .LBB1879_803
.LBB1879_787:                           ;   in Loop: Header=BB1879_693 Depth=2
	s_or_b32 exec_lo, exec_lo, s18
	v_cmp_lt_u32_e64 s17, v45, v145
	s_delay_alu instid0(VALU_DEP_1)
	s_and_saveexec_b32 s19, s17
	s_cbranch_execz .LBB1879_773
.LBB1879_788:                           ;   in Loop: Header=BB1879_693 Depth=2
	ds_load_u16 v146, v79 offset:512
	s_waitcnt lgkmcnt(0)
	v_cmp_ne_u16_e64 s18, 0x7fff, v146
	s_delay_alu instid0(VALU_DEP_1) | instskip(SKIP_1) | instid1(VALU_DEP_2)
	v_cndmask_b32_e64 v2, 0xffff8000, v146, s18
	v_cmp_lt_i16_e64 s18, -1, v146
	v_and_b32_e32 v2, 0xffff, v2
	s_delay_alu instid0(VALU_DEP_2) | instskip(NEXT) | instid1(VALU_DEP_2)
	v_cndmask_b32_e64 v149, 0xffff8000, -1, s18
	v_lshrrev_b32_e32 v2, s49, v2
	s_delay_alu instid0(VALU_DEP_1) | instskip(NEXT) | instid1(VALU_DEP_1)
	v_and_b32_e32 v2, s55, v2
	v_lshlrev_b32_e32 v2, 2, v2
	ds_load_b32 v2, v2
	s_waitcnt lgkmcnt(0)
	v_add_nc_u32_e32 v2, v2, v45
	s_delay_alu instid0(VALU_DEP_1) | instskip(SKIP_1) | instid1(VALU_DEP_2)
	v_lshlrev_b64 v[36:37], 1, v[2:3]
	v_xor_b32_e32 v2, v149, v146
	v_add_co_u32 v36, s18, s38, v36
	s_delay_alu instid0(VALU_DEP_1) | instskip(SKIP_3) | instid1(VALU_DEP_1)
	v_add_co_ci_u32_e64 v37, s18, s39, v37, s18
	global_store_b16 v[36:37], v2, off
	s_or_b32 exec_lo, exec_lo, s19
	v_cmp_lt_u32_e64 s18, v46, v145
	s_and_saveexec_b32 s20, s18
	s_cbranch_execnz .LBB1879_774
.LBB1879_789:                           ;   in Loop: Header=BB1879_693 Depth=2
	s_or_b32 exec_lo, exec_lo, s20
	v_cmp_lt_u32_e64 s19, v47, v145
	s_delay_alu instid0(VALU_DEP_1)
	s_and_saveexec_b32 s21, s19
	s_cbranch_execz .LBB1879_775
.LBB1879_790:                           ;   in Loop: Header=BB1879_693 Depth=2
	ds_load_u16 v146, v79 offset:1536
	s_waitcnt lgkmcnt(0)
	v_cmp_ne_u16_e64 s20, 0x7fff, v146
	s_delay_alu instid0(VALU_DEP_1) | instskip(SKIP_1) | instid1(VALU_DEP_2)
	v_cndmask_b32_e64 v2, 0xffff8000, v146, s20
	v_cmp_lt_i16_e64 s20, -1, v146
	v_and_b32_e32 v2, 0xffff, v2
	s_delay_alu instid0(VALU_DEP_2) | instskip(NEXT) | instid1(VALU_DEP_2)
	v_cndmask_b32_e64 v149, 0xffff8000, -1, s20
	v_lshrrev_b32_e32 v2, s49, v2
	s_delay_alu instid0(VALU_DEP_1) | instskip(NEXT) | instid1(VALU_DEP_1)
	v_and_b32_e32 v2, s55, v2
	v_lshlrev_b32_e32 v2, 2, v2
	ds_load_b32 v2, v2
	s_waitcnt lgkmcnt(0)
	v_add_nc_u32_e32 v2, v2, v47
	s_delay_alu instid0(VALU_DEP_1) | instskip(SKIP_1) | instid1(VALU_DEP_2)
	v_lshlrev_b64 v[36:37], 1, v[2:3]
	v_xor_b32_e32 v2, v149, v146
	v_add_co_u32 v36, s20, s38, v36
	s_delay_alu instid0(VALU_DEP_1) | instskip(SKIP_3) | instid1(VALU_DEP_1)
	v_add_co_ci_u32_e64 v37, s20, s39, v37, s20
	global_store_b16 v[36:37], v2, off
	s_or_b32 exec_lo, exec_lo, s21
	v_cmp_lt_u32_e64 s20, v51, v145
	s_and_saveexec_b32 s22, s20
	s_cbranch_execnz .LBB1879_776
.LBB1879_791:                           ;   in Loop: Header=BB1879_693 Depth=2
	s_or_b32 exec_lo, exec_lo, s22
	v_cmp_lt_u32_e64 s21, v52, v145
	s_delay_alu instid0(VALU_DEP_1)
	s_and_saveexec_b32 s23, s21
	s_cbranch_execz .LBB1879_777
.LBB1879_792:                           ;   in Loop: Header=BB1879_693 Depth=2
	ds_load_u16 v146, v79 offset:2560
	s_waitcnt lgkmcnt(0)
	v_cmp_ne_u16_e64 s22, 0x7fff, v146
	s_delay_alu instid0(VALU_DEP_1) | instskip(SKIP_1) | instid1(VALU_DEP_2)
	v_cndmask_b32_e64 v2, 0xffff8000, v146, s22
	v_cmp_lt_i16_e64 s22, -1, v146
	v_and_b32_e32 v2, 0xffff, v2
	s_delay_alu instid0(VALU_DEP_2) | instskip(NEXT) | instid1(VALU_DEP_2)
	v_cndmask_b32_e64 v149, 0xffff8000, -1, s22
	v_lshrrev_b32_e32 v2, s49, v2
	s_delay_alu instid0(VALU_DEP_1) | instskip(NEXT) | instid1(VALU_DEP_1)
	v_and_b32_e32 v2, s55, v2
	v_lshlrev_b32_e32 v2, 2, v2
	ds_load_b32 v2, v2
	s_waitcnt lgkmcnt(0)
	v_add_nc_u32_e32 v2, v2, v52
	s_delay_alu instid0(VALU_DEP_1) | instskip(SKIP_1) | instid1(VALU_DEP_2)
	v_lshlrev_b64 v[36:37], 1, v[2:3]
	v_xor_b32_e32 v2, v149, v146
	v_add_co_u32 v36, s22, s38, v36
	s_delay_alu instid0(VALU_DEP_1) | instskip(SKIP_3) | instid1(VALU_DEP_1)
	v_add_co_ci_u32_e64 v37, s22, s39, v37, s22
	global_store_b16 v[36:37], v2, off
	s_or_b32 exec_lo, exec_lo, s23
	v_cmp_lt_u32_e64 s22, v53, v145
	s_and_saveexec_b32 s24, s22
	s_cbranch_execnz .LBB1879_778
.LBB1879_793:                           ;   in Loop: Header=BB1879_693 Depth=2
	s_or_b32 exec_lo, exec_lo, s24
	v_cmp_lt_u32_e64 s23, v54, v145
	s_delay_alu instid0(VALU_DEP_1)
	s_and_saveexec_b32 s25, s23
	s_cbranch_execz .LBB1879_779
.LBB1879_794:                           ;   in Loop: Header=BB1879_693 Depth=2
	ds_load_u16 v146, v79 offset:3584
	s_waitcnt lgkmcnt(0)
	v_cmp_ne_u16_e64 s24, 0x7fff, v146
	s_delay_alu instid0(VALU_DEP_1) | instskip(SKIP_1) | instid1(VALU_DEP_2)
	v_cndmask_b32_e64 v2, 0xffff8000, v146, s24
	v_cmp_lt_i16_e64 s24, -1, v146
	v_and_b32_e32 v2, 0xffff, v2
	s_delay_alu instid0(VALU_DEP_2) | instskip(NEXT) | instid1(VALU_DEP_2)
	v_cndmask_b32_e64 v149, 0xffff8000, -1, s24
	v_lshrrev_b32_e32 v2, s49, v2
	s_delay_alu instid0(VALU_DEP_1) | instskip(NEXT) | instid1(VALU_DEP_1)
	v_and_b32_e32 v2, s55, v2
	v_lshlrev_b32_e32 v2, 2, v2
	ds_load_b32 v2, v2
	s_waitcnt lgkmcnt(0)
	v_add_nc_u32_e32 v2, v2, v54
	s_delay_alu instid0(VALU_DEP_1) | instskip(SKIP_1) | instid1(VALU_DEP_2)
	v_lshlrev_b64 v[36:37], 1, v[2:3]
	v_xor_b32_e32 v2, v149, v146
	v_add_co_u32 v36, s24, s38, v36
	s_delay_alu instid0(VALU_DEP_1) | instskip(SKIP_3) | instid1(VALU_DEP_1)
	v_add_co_ci_u32_e64 v37, s24, s39, v37, s24
	global_store_b16 v[36:37], v2, off
	s_or_b32 exec_lo, exec_lo, s25
	v_cmp_lt_u32_e64 s24, v55, v145
	s_and_saveexec_b32 s26, s24
	s_cbranch_execnz .LBB1879_780
.LBB1879_795:                           ;   in Loop: Header=BB1879_693 Depth=2
	s_or_b32 exec_lo, exec_lo, s26
	v_cmp_lt_u32_e64 s25, v56, v145
	s_delay_alu instid0(VALU_DEP_1)
	s_and_saveexec_b32 s27, s25
	s_cbranch_execz .LBB1879_781
.LBB1879_796:                           ;   in Loop: Header=BB1879_693 Depth=2
	ds_load_u16 v146, v79 offset:4608
	s_waitcnt lgkmcnt(0)
	v_cmp_ne_u16_e64 s26, 0x7fff, v146
	s_delay_alu instid0(VALU_DEP_1) | instskip(SKIP_1) | instid1(VALU_DEP_2)
	v_cndmask_b32_e64 v2, 0xffff8000, v146, s26
	v_cmp_lt_i16_e64 s26, -1, v146
	v_and_b32_e32 v2, 0xffff, v2
	s_delay_alu instid0(VALU_DEP_2) | instskip(NEXT) | instid1(VALU_DEP_2)
	v_cndmask_b32_e64 v149, 0xffff8000, -1, s26
	v_lshrrev_b32_e32 v2, s49, v2
	s_delay_alu instid0(VALU_DEP_1) | instskip(NEXT) | instid1(VALU_DEP_1)
	v_and_b32_e32 v2, s55, v2
	v_lshlrev_b32_e32 v2, 2, v2
	ds_load_b32 v2, v2
	s_waitcnt lgkmcnt(0)
	v_add_nc_u32_e32 v2, v2, v56
	s_delay_alu instid0(VALU_DEP_1) | instskip(SKIP_1) | instid1(VALU_DEP_2)
	v_lshlrev_b64 v[36:37], 1, v[2:3]
	v_xor_b32_e32 v2, v149, v146
	v_add_co_u32 v36, s26, s38, v36
	s_delay_alu instid0(VALU_DEP_1) | instskip(SKIP_3) | instid1(VALU_DEP_1)
	v_add_co_ci_u32_e64 v37, s26, s39, v37, s26
	global_store_b16 v[36:37], v2, off
	s_or_b32 exec_lo, exec_lo, s27
	v_cmp_lt_u32_e64 s26, v57, v145
	s_and_saveexec_b32 s28, s26
	s_cbranch_execnz .LBB1879_782
.LBB1879_797:                           ;   in Loop: Header=BB1879_693 Depth=2
	s_or_b32 exec_lo, exec_lo, s28
	v_cmp_lt_u32_e64 s27, v58, v145
	s_delay_alu instid0(VALU_DEP_1)
	s_and_saveexec_b32 s29, s27
	s_cbranch_execz .LBB1879_783
.LBB1879_798:                           ;   in Loop: Header=BB1879_693 Depth=2
	ds_load_u16 v146, v79 offset:5632
	s_waitcnt lgkmcnt(0)
	v_cmp_ne_u16_e64 s28, 0x7fff, v146
	s_delay_alu instid0(VALU_DEP_1) | instskip(SKIP_1) | instid1(VALU_DEP_2)
	v_cndmask_b32_e64 v2, 0xffff8000, v146, s28
	v_cmp_lt_i16_e64 s28, -1, v146
	v_and_b32_e32 v2, 0xffff, v2
	s_delay_alu instid0(VALU_DEP_2) | instskip(NEXT) | instid1(VALU_DEP_2)
	v_cndmask_b32_e64 v149, 0xffff8000, -1, s28
	v_lshrrev_b32_e32 v2, s49, v2
	s_delay_alu instid0(VALU_DEP_1) | instskip(NEXT) | instid1(VALU_DEP_1)
	v_and_b32_e32 v2, s55, v2
	v_lshlrev_b32_e32 v2, 2, v2
	ds_load_b32 v2, v2
	s_waitcnt lgkmcnt(0)
	v_add_nc_u32_e32 v2, v2, v58
	s_delay_alu instid0(VALU_DEP_1) | instskip(SKIP_1) | instid1(VALU_DEP_2)
	v_lshlrev_b64 v[36:37], 1, v[2:3]
	v_xor_b32_e32 v2, v149, v146
	v_add_co_u32 v36, s28, s38, v36
	s_delay_alu instid0(VALU_DEP_1) | instskip(SKIP_3) | instid1(VALU_DEP_1)
	v_add_co_ci_u32_e64 v37, s28, s39, v37, s28
	global_store_b16 v[36:37], v2, off
	s_or_b32 exec_lo, exec_lo, s29
	v_cmp_lt_u32_e64 s28, v59, v145
	s_and_saveexec_b32 s30, s28
	s_cbranch_execnz .LBB1879_784
.LBB1879_799:                           ;   in Loop: Header=BB1879_693 Depth=2
	s_or_b32 exec_lo, exec_lo, s30
	v_cmp_lt_u32_e64 s29, v60, v145
	s_delay_alu instid0(VALU_DEP_1)
	s_and_saveexec_b32 s31, s29
	s_cbranch_execz .LBB1879_785
.LBB1879_800:                           ;   in Loop: Header=BB1879_693 Depth=2
	ds_load_u16 v146, v79 offset:6656
	s_waitcnt lgkmcnt(0)
	v_cmp_ne_u16_e64 s30, 0x7fff, v146
	s_delay_alu instid0(VALU_DEP_1) | instskip(SKIP_1) | instid1(VALU_DEP_2)
	v_cndmask_b32_e64 v2, 0xffff8000, v146, s30
	v_cmp_lt_i16_e64 s30, -1, v146
	v_and_b32_e32 v2, 0xffff, v2
	s_delay_alu instid0(VALU_DEP_2) | instskip(NEXT) | instid1(VALU_DEP_2)
	v_cndmask_b32_e64 v149, 0xffff8000, -1, s30
	v_lshrrev_b32_e32 v2, s49, v2
	s_delay_alu instid0(VALU_DEP_1) | instskip(NEXT) | instid1(VALU_DEP_1)
	v_and_b32_e32 v2, s55, v2
	v_lshlrev_b32_e32 v2, 2, v2
	ds_load_b32 v2, v2
	s_waitcnt lgkmcnt(0)
	v_add_nc_u32_e32 v2, v2, v60
	s_delay_alu instid0(VALU_DEP_1) | instskip(SKIP_1) | instid1(VALU_DEP_2)
	v_lshlrev_b64 v[36:37], 1, v[2:3]
	v_xor_b32_e32 v2, v149, v146
	v_add_co_u32 v36, s30, s38, v36
	s_delay_alu instid0(VALU_DEP_1) | instskip(SKIP_3) | instid1(VALU_DEP_1)
	v_add_co_ci_u32_e64 v37, s30, s39, v37, s30
	global_store_b16 v[36:37], v2, off
	s_or_b32 exec_lo, exec_lo, s31
	v_cmp_lt_u32_e64 s30, v61, v145
	s_and_saveexec_b32 s33, s30
	s_cbranch_execnz .LBB1879_786
.LBB1879_801:                           ;   in Loop: Header=BB1879_693 Depth=2
	s_or_b32 exec_lo, exec_lo, s33
	v_cmp_lt_u32_e64 s31, v63, v145
	s_delay_alu instid0(VALU_DEP_1)
	s_and_saveexec_b32 s58, s31
	s_cbranch_execz .LBB1879_803
.LBB1879_802:                           ;   in Loop: Header=BB1879_693 Depth=2
	ds_load_u16 v146, v79 offset:7680
	s_waitcnt lgkmcnt(0)
	v_cmp_ne_u16_e64 s33, 0x7fff, v146
	s_delay_alu instid0(VALU_DEP_1) | instskip(SKIP_1) | instid1(VALU_DEP_2)
	v_cndmask_b32_e64 v2, 0xffff8000, v146, s33
	v_cmp_lt_i16_e64 s33, -1, v146
	v_and_b32_e32 v2, 0xffff, v2
	s_delay_alu instid0(VALU_DEP_2) | instskip(NEXT) | instid1(VALU_DEP_2)
	v_cndmask_b32_e64 v149, 0xffff8000, -1, s33
	v_lshrrev_b32_e32 v2, s49, v2
	s_delay_alu instid0(VALU_DEP_1) | instskip(NEXT) | instid1(VALU_DEP_1)
	v_and_b32_e32 v2, s55, v2
	v_lshlrev_b32_e32 v2, 2, v2
	ds_load_b32 v2, v2
	s_waitcnt lgkmcnt(0)
	v_add_nc_u32_e32 v2, v2, v63
	s_delay_alu instid0(VALU_DEP_1) | instskip(SKIP_1) | instid1(VALU_DEP_2)
	v_lshlrev_b64 v[36:37], 1, v[2:3]
	v_xor_b32_e32 v2, v149, v146
	v_add_co_u32 v36, s33, s38, v36
	s_delay_alu instid0(VALU_DEP_1)
	v_add_co_ci_u32_e64 v37, s33, s39, v37, s33
	global_store_b16 v[36:37], v2, off
.LBB1879_803:                           ;   in Loop: Header=BB1879_693 Depth=2
	s_or_b32 exec_lo, exec_lo, s58
	s_lshl_b64 s[58:59], s[34:35], 3
	s_delay_alu instid0(SALU_CYCLE_1) | instskip(NEXT) | instid1(VALU_DEP_1)
	v_add_co_u32 v36, s33, v107, s58
	v_add_co_ci_u32_e64 v37, s33, s59, v108, s33
	v_cmp_lt_u32_e64 s33, v106, v145
	s_delay_alu instid0(VALU_DEP_1) | instskip(NEXT) | instid1(SALU_CYCLE_1)
	s_and_saveexec_b32 s34, s33
	s_xor_b32 s33, exec_lo, s34
	s_cbranch_execz .LBB1879_835
; %bb.804:                              ;   in Loop: Header=BB1879_693 Depth=2
	global_load_b64 v[34:35], v[36:37], off
	s_or_b32 exec_lo, exec_lo, s33
	s_delay_alu instid0(SALU_CYCLE_1)
	s_mov_b32 s34, exec_lo
	v_cmpx_lt_u32_e64 v109, v145
	s_cbranch_execnz .LBB1879_836
.LBB1879_805:                           ;   in Loop: Header=BB1879_693 Depth=2
	s_or_b32 exec_lo, exec_lo, s34
	s_delay_alu instid0(SALU_CYCLE_1)
	s_mov_b32 s34, exec_lo
	v_cmpx_lt_u32_e64 v110, v145
	s_cbranch_execz .LBB1879_837
.LBB1879_806:                           ;   in Loop: Header=BB1879_693 Depth=2
	global_load_b64 v[30:31], v[36:37], off offset:512
	s_or_b32 exec_lo, exec_lo, s34
	s_delay_alu instid0(SALU_CYCLE_1)
	s_mov_b32 s34, exec_lo
	v_cmpx_lt_u32_e64 v111, v145
	s_cbranch_execnz .LBB1879_838
.LBB1879_807:                           ;   in Loop: Header=BB1879_693 Depth=2
	s_or_b32 exec_lo, exec_lo, s34
	s_delay_alu instid0(SALU_CYCLE_1)
	s_mov_b32 s34, exec_lo
	v_cmpx_lt_u32_e64 v112, v145
	s_cbranch_execz .LBB1879_839
.LBB1879_808:                           ;   in Loop: Header=BB1879_693 Depth=2
	global_load_b64 v[26:27], v[36:37], off offset:1024
	s_or_b32 exec_lo, exec_lo, s34
	s_delay_alu instid0(SALU_CYCLE_1)
	s_mov_b32 s34, exec_lo
	v_cmpx_lt_u32_e64 v113, v145
	s_cbranch_execnz .LBB1879_840
.LBB1879_809:                           ;   in Loop: Header=BB1879_693 Depth=2
	s_or_b32 exec_lo, exec_lo, s34
	s_delay_alu instid0(SALU_CYCLE_1)
	s_mov_b32 s34, exec_lo
	v_cmpx_lt_u32_e64 v114, v145
	s_cbranch_execz .LBB1879_841
.LBB1879_810:                           ;   in Loop: Header=BB1879_693 Depth=2
	global_load_b64 v[22:23], v[36:37], off offset:1536
	s_or_b32 exec_lo, exec_lo, s34
	s_delay_alu instid0(SALU_CYCLE_1)
	s_mov_b32 s34, exec_lo
	v_cmpx_lt_u32_e64 v115, v145
	s_cbranch_execnz .LBB1879_842
.LBB1879_811:                           ;   in Loop: Header=BB1879_693 Depth=2
	s_or_b32 exec_lo, exec_lo, s34
	s_delay_alu instid0(SALU_CYCLE_1)
	s_mov_b32 s34, exec_lo
	v_cmpx_lt_u32_e64 v116, v145
	s_cbranch_execz .LBB1879_843
.LBB1879_812:                           ;   in Loop: Header=BB1879_693 Depth=2
	global_load_b64 v[18:19], v[36:37], off offset:2048
	s_or_b32 exec_lo, exec_lo, s34
	s_delay_alu instid0(SALU_CYCLE_1)
	s_mov_b32 s34, exec_lo
	v_cmpx_lt_u32_e64 v117, v145
	s_cbranch_execnz .LBB1879_844
.LBB1879_813:                           ;   in Loop: Header=BB1879_693 Depth=2
	s_or_b32 exec_lo, exec_lo, s34
	s_delay_alu instid0(SALU_CYCLE_1)
	s_mov_b32 s34, exec_lo
	v_cmpx_lt_u32_e64 v118, v145
	s_cbranch_execz .LBB1879_845
.LBB1879_814:                           ;   in Loop: Header=BB1879_693 Depth=2
	global_load_b64 v[14:15], v[36:37], off offset:2560
	s_or_b32 exec_lo, exec_lo, s34
	s_delay_alu instid0(SALU_CYCLE_1)
	s_mov_b32 s34, exec_lo
	v_cmpx_lt_u32_e64 v119, v145
	s_cbranch_execnz .LBB1879_846
.LBB1879_815:                           ;   in Loop: Header=BB1879_693 Depth=2
	s_or_b32 exec_lo, exec_lo, s34
	s_delay_alu instid0(SALU_CYCLE_1)
	s_mov_b32 s34, exec_lo
	v_cmpx_lt_u32_e64 v120, v145
	s_cbranch_execz .LBB1879_847
.LBB1879_816:                           ;   in Loop: Header=BB1879_693 Depth=2
	global_load_b64 v[10:11], v[36:37], off offset:3072
	s_or_b32 exec_lo, exec_lo, s34
	s_delay_alu instid0(SALU_CYCLE_1)
	s_mov_b32 s34, exec_lo
	v_cmpx_lt_u32_e64 v121, v145
	s_cbranch_execnz .LBB1879_848
.LBB1879_817:                           ;   in Loop: Header=BB1879_693 Depth=2
	s_or_b32 exec_lo, exec_lo, s34
	s_delay_alu instid0(SALU_CYCLE_1)
	s_mov_b32 s34, exec_lo
	v_cmpx_lt_u32_e64 v122, v145
	s_cbranch_execz .LBB1879_849
.LBB1879_818:                           ;   in Loop: Header=BB1879_693 Depth=2
	global_load_b64 v[6:7], v[36:37], off offset:3584
	s_or_b32 exec_lo, exec_lo, s34
	s_delay_alu instid0(SALU_CYCLE_1)
	s_mov_b32 s34, exec_lo
	v_cmpx_lt_u32_e64 v123, v145
	s_cbranch_execnz .LBB1879_850
.LBB1879_819:                           ;   in Loop: Header=BB1879_693 Depth=2
	s_or_b32 exec_lo, exec_lo, s34
	s_and_saveexec_b32 s34, vcc_lo
	s_cbranch_execz .LBB1879_851
.LBB1879_820:                           ;   in Loop: Header=BB1879_693 Depth=2
	v_add_nc_u32_e32 v2, v72, v78
	ds_load_u16 v2, v2 offset:1024
	s_waitcnt lgkmcnt(0)
	v_cmp_ne_u16_e64 s33, 0x7fff, v2
	s_delay_alu instid0(VALU_DEP_1) | instskip(NEXT) | instid1(VALU_DEP_1)
	v_cndmask_b32_e64 v2, 0xffff8000, v2, s33
	v_and_b32_e32 v2, 0xffff, v2
	s_delay_alu instid0(VALU_DEP_1) | instskip(NEXT) | instid1(VALU_DEP_1)
	v_lshrrev_b32_e32 v2, s49, v2
	v_and_b32_e32 v144, s55, v2
	s_or_b32 exec_lo, exec_lo, s34
	s_and_saveexec_b32 s34, s17
	s_cbranch_execnz .LBB1879_852
.LBB1879_821:                           ;   in Loop: Header=BB1879_693 Depth=2
	s_or_b32 exec_lo, exec_lo, s34
	s_and_saveexec_b32 s34, s18
	s_cbranch_execz .LBB1879_853
.LBB1879_822:                           ;   in Loop: Header=BB1879_693 Depth=2
	ds_load_u16 v2, v79 offset:1024
	s_waitcnt lgkmcnt(0)
	v_cmp_ne_u16_e64 s33, 0x7fff, v2
	s_delay_alu instid0(VALU_DEP_1) | instskip(NEXT) | instid1(VALU_DEP_1)
	v_cndmask_b32_e64 v2, 0xffff8000, v2, s33
	v_and_b32_e32 v2, 0xffff, v2
	s_delay_alu instid0(VALU_DEP_1) | instskip(NEXT) | instid1(VALU_DEP_1)
	v_lshrrev_b32_e32 v2, s49, v2
	v_and_b32_e32 v142, s55, v2
	s_or_b32 exec_lo, exec_lo, s34
	s_and_saveexec_b32 s34, s19
	s_cbranch_execnz .LBB1879_854
.LBB1879_823:                           ;   in Loop: Header=BB1879_693 Depth=2
	s_or_b32 exec_lo, exec_lo, s34
	s_and_saveexec_b32 s34, s20
	s_cbranch_execz .LBB1879_855
.LBB1879_824:                           ;   in Loop: Header=BB1879_693 Depth=2
	ds_load_u16 v2, v79 offset:2048
	s_waitcnt lgkmcnt(0)
	v_cmp_ne_u16_e64 s33, 0x7fff, v2
	s_delay_alu instid0(VALU_DEP_1) | instskip(NEXT) | instid1(VALU_DEP_1)
	v_cndmask_b32_e64 v2, 0xffff8000, v2, s33
	v_and_b32_e32 v2, 0xffff, v2
	s_delay_alu instid0(VALU_DEP_1) | instskip(NEXT) | instid1(VALU_DEP_1)
	v_lshrrev_b32_e32 v2, s49, v2
	v_and_b32_e32 v140, s55, v2
	s_or_b32 exec_lo, exec_lo, s34
	s_and_saveexec_b32 s34, s21
	s_cbranch_execnz .LBB1879_856
.LBB1879_825:                           ;   in Loop: Header=BB1879_693 Depth=2
	s_or_b32 exec_lo, exec_lo, s34
	s_and_saveexec_b32 s34, s22
	s_cbranch_execz .LBB1879_857
.LBB1879_826:                           ;   in Loop: Header=BB1879_693 Depth=2
	ds_load_u16 v2, v79 offset:3072
	s_waitcnt lgkmcnt(0)
	v_cmp_ne_u16_e64 s33, 0x7fff, v2
	s_delay_alu instid0(VALU_DEP_1) | instskip(NEXT) | instid1(VALU_DEP_1)
	v_cndmask_b32_e64 v2, 0xffff8000, v2, s33
	v_and_b32_e32 v2, 0xffff, v2
	s_delay_alu instid0(VALU_DEP_1) | instskip(NEXT) | instid1(VALU_DEP_1)
	v_lshrrev_b32_e32 v2, s49, v2
	v_and_b32_e32 v138, s55, v2
	s_or_b32 exec_lo, exec_lo, s34
	s_and_saveexec_b32 s34, s23
	s_cbranch_execnz .LBB1879_858
.LBB1879_827:                           ;   in Loop: Header=BB1879_693 Depth=2
	s_or_b32 exec_lo, exec_lo, s34
	s_and_saveexec_b32 s34, s24
	s_cbranch_execz .LBB1879_859
.LBB1879_828:                           ;   in Loop: Header=BB1879_693 Depth=2
	ds_load_u16 v2, v79 offset:4096
	s_waitcnt lgkmcnt(0)
	v_cmp_ne_u16_e64 s33, 0x7fff, v2
	s_delay_alu instid0(VALU_DEP_1) | instskip(NEXT) | instid1(VALU_DEP_1)
	v_cndmask_b32_e64 v2, 0xffff8000, v2, s33
	v_and_b32_e32 v2, 0xffff, v2
	s_delay_alu instid0(VALU_DEP_1) | instskip(NEXT) | instid1(VALU_DEP_1)
	v_lshrrev_b32_e32 v2, s49, v2
	v_and_b32_e32 v136, s55, v2
	s_or_b32 exec_lo, exec_lo, s34
	s_and_saveexec_b32 s34, s25
	s_cbranch_execnz .LBB1879_860
.LBB1879_829:                           ;   in Loop: Header=BB1879_693 Depth=2
	s_or_b32 exec_lo, exec_lo, s34
	s_and_saveexec_b32 s34, s26
	s_cbranch_execz .LBB1879_861
.LBB1879_830:                           ;   in Loop: Header=BB1879_693 Depth=2
	ds_load_u16 v2, v79 offset:5120
	s_waitcnt lgkmcnt(0)
	v_cmp_ne_u16_e64 s33, 0x7fff, v2
	s_delay_alu instid0(VALU_DEP_1) | instskip(NEXT) | instid1(VALU_DEP_1)
	v_cndmask_b32_e64 v2, 0xffff8000, v2, s33
	v_and_b32_e32 v2, 0xffff, v2
	s_delay_alu instid0(VALU_DEP_1) | instskip(NEXT) | instid1(VALU_DEP_1)
	v_lshrrev_b32_e32 v2, s49, v2
	v_and_b32_e32 v134, s55, v2
	s_or_b32 exec_lo, exec_lo, s34
	s_and_saveexec_b32 s34, s27
	s_cbranch_execnz .LBB1879_862
.LBB1879_831:                           ;   in Loop: Header=BB1879_693 Depth=2
	s_or_b32 exec_lo, exec_lo, s34
	s_and_saveexec_b32 s34, s28
	s_cbranch_execz .LBB1879_863
.LBB1879_832:                           ;   in Loop: Header=BB1879_693 Depth=2
	ds_load_u16 v2, v79 offset:6144
	s_waitcnt lgkmcnt(0)
	v_cmp_ne_u16_e64 s33, 0x7fff, v2
	s_delay_alu instid0(VALU_DEP_1) | instskip(NEXT) | instid1(VALU_DEP_1)
	v_cndmask_b32_e64 v2, 0xffff8000, v2, s33
	v_and_b32_e32 v2, 0xffff, v2
	s_delay_alu instid0(VALU_DEP_1) | instskip(NEXT) | instid1(VALU_DEP_1)
	v_lshrrev_b32_e32 v2, s49, v2
	v_and_b32_e32 v132, s55, v2
	s_or_b32 exec_lo, exec_lo, s34
	s_and_saveexec_b32 s34, s29
	s_cbranch_execnz .LBB1879_864
.LBB1879_833:                           ;   in Loop: Header=BB1879_693 Depth=2
	s_or_b32 exec_lo, exec_lo, s34
	s_and_saveexec_b32 s34, s30
	s_cbranch_execz .LBB1879_865
.LBB1879_834:                           ;   in Loop: Header=BB1879_693 Depth=2
	ds_load_u16 v2, v79 offset:7168
	s_waitcnt lgkmcnt(0)
	v_cmp_ne_u16_e64 s33, 0x7fff, v2
	s_delay_alu instid0(VALU_DEP_1) | instskip(NEXT) | instid1(VALU_DEP_1)
	v_cndmask_b32_e64 v2, 0xffff8000, v2, s33
	v_and_b32_e32 v2, 0xffff, v2
	s_delay_alu instid0(VALU_DEP_1) | instskip(NEXT) | instid1(VALU_DEP_1)
	v_lshrrev_b32_e32 v2, s49, v2
	v_and_b32_e32 v130, s55, v2
	s_or_b32 exec_lo, exec_lo, s34
	s_and_saveexec_b32 s34, s31
	s_cbranch_execnz .LBB1879_866
	s_branch .LBB1879_867
.LBB1879_835:                           ;   in Loop: Header=BB1879_693 Depth=2
	s_or_b32 exec_lo, exec_lo, s33
	s_delay_alu instid0(SALU_CYCLE_1)
	s_mov_b32 s34, exec_lo
	v_cmpx_lt_u32_e64 v109, v145
	s_cbranch_execz .LBB1879_805
.LBB1879_836:                           ;   in Loop: Header=BB1879_693 Depth=2
	global_load_b64 v[32:33], v[36:37], off offset:256
	s_or_b32 exec_lo, exec_lo, s34
	s_delay_alu instid0(SALU_CYCLE_1)
	s_mov_b32 s34, exec_lo
	v_cmpx_lt_u32_e64 v110, v145
	s_cbranch_execnz .LBB1879_806
.LBB1879_837:                           ;   in Loop: Header=BB1879_693 Depth=2
	s_or_b32 exec_lo, exec_lo, s34
	s_delay_alu instid0(SALU_CYCLE_1)
	s_mov_b32 s34, exec_lo
	v_cmpx_lt_u32_e64 v111, v145
	s_cbranch_execz .LBB1879_807
.LBB1879_838:                           ;   in Loop: Header=BB1879_693 Depth=2
	global_load_b64 v[28:29], v[36:37], off offset:768
	s_or_b32 exec_lo, exec_lo, s34
	s_delay_alu instid0(SALU_CYCLE_1)
	s_mov_b32 s34, exec_lo
	v_cmpx_lt_u32_e64 v112, v145
	s_cbranch_execnz .LBB1879_808
.LBB1879_839:                           ;   in Loop: Header=BB1879_693 Depth=2
	s_or_b32 exec_lo, exec_lo, s34
	s_delay_alu instid0(SALU_CYCLE_1)
	s_mov_b32 s34, exec_lo
	v_cmpx_lt_u32_e64 v113, v145
	s_cbranch_execz .LBB1879_809
.LBB1879_840:                           ;   in Loop: Header=BB1879_693 Depth=2
	global_load_b64 v[24:25], v[36:37], off offset:1280
	s_or_b32 exec_lo, exec_lo, s34
	s_delay_alu instid0(SALU_CYCLE_1)
	s_mov_b32 s34, exec_lo
	v_cmpx_lt_u32_e64 v114, v145
	s_cbranch_execnz .LBB1879_810
.LBB1879_841:                           ;   in Loop: Header=BB1879_693 Depth=2
	s_or_b32 exec_lo, exec_lo, s34
	s_delay_alu instid0(SALU_CYCLE_1)
	s_mov_b32 s34, exec_lo
	v_cmpx_lt_u32_e64 v115, v145
	s_cbranch_execz .LBB1879_811
.LBB1879_842:                           ;   in Loop: Header=BB1879_693 Depth=2
	global_load_b64 v[20:21], v[36:37], off offset:1792
	s_or_b32 exec_lo, exec_lo, s34
	s_delay_alu instid0(SALU_CYCLE_1)
	s_mov_b32 s34, exec_lo
	v_cmpx_lt_u32_e64 v116, v145
	s_cbranch_execnz .LBB1879_812
.LBB1879_843:                           ;   in Loop: Header=BB1879_693 Depth=2
	s_or_b32 exec_lo, exec_lo, s34
	s_delay_alu instid0(SALU_CYCLE_1)
	s_mov_b32 s34, exec_lo
	v_cmpx_lt_u32_e64 v117, v145
	s_cbranch_execz .LBB1879_813
.LBB1879_844:                           ;   in Loop: Header=BB1879_693 Depth=2
	global_load_b64 v[16:17], v[36:37], off offset:2304
	s_or_b32 exec_lo, exec_lo, s34
	s_delay_alu instid0(SALU_CYCLE_1)
	s_mov_b32 s34, exec_lo
	v_cmpx_lt_u32_e64 v118, v145
	s_cbranch_execnz .LBB1879_814
.LBB1879_845:                           ;   in Loop: Header=BB1879_693 Depth=2
	s_or_b32 exec_lo, exec_lo, s34
	s_delay_alu instid0(SALU_CYCLE_1)
	s_mov_b32 s34, exec_lo
	v_cmpx_lt_u32_e64 v119, v145
	s_cbranch_execz .LBB1879_815
.LBB1879_846:                           ;   in Loop: Header=BB1879_693 Depth=2
	global_load_b64 v[12:13], v[36:37], off offset:2816
	s_or_b32 exec_lo, exec_lo, s34
	s_delay_alu instid0(SALU_CYCLE_1)
	s_mov_b32 s34, exec_lo
	v_cmpx_lt_u32_e64 v120, v145
	s_cbranch_execnz .LBB1879_816
.LBB1879_847:                           ;   in Loop: Header=BB1879_693 Depth=2
	s_or_b32 exec_lo, exec_lo, s34
	s_delay_alu instid0(SALU_CYCLE_1)
	s_mov_b32 s34, exec_lo
	v_cmpx_lt_u32_e64 v121, v145
	s_cbranch_execz .LBB1879_817
.LBB1879_848:                           ;   in Loop: Header=BB1879_693 Depth=2
	global_load_b64 v[8:9], v[36:37], off offset:3328
	s_or_b32 exec_lo, exec_lo, s34
	s_delay_alu instid0(SALU_CYCLE_1)
	s_mov_b32 s34, exec_lo
	v_cmpx_lt_u32_e64 v122, v145
	s_cbranch_execnz .LBB1879_818
.LBB1879_849:                           ;   in Loop: Header=BB1879_693 Depth=2
	s_or_b32 exec_lo, exec_lo, s34
	s_delay_alu instid0(SALU_CYCLE_1)
	s_mov_b32 s34, exec_lo
	v_cmpx_lt_u32_e64 v123, v145
	s_cbranch_execz .LBB1879_819
.LBB1879_850:                           ;   in Loop: Header=BB1879_693 Depth=2
	global_load_b64 v[4:5], v[36:37], off offset:3840
	s_or_b32 exec_lo, exec_lo, s34
	s_and_saveexec_b32 s34, vcc_lo
	s_cbranch_execnz .LBB1879_820
.LBB1879_851:                           ;   in Loop: Header=BB1879_693 Depth=2
	s_or_b32 exec_lo, exec_lo, s34
	s_and_saveexec_b32 s34, s17
	s_cbranch_execz .LBB1879_821
.LBB1879_852:                           ;   in Loop: Header=BB1879_693 Depth=2
	ds_load_u16 v2, v79 offset:512
	s_waitcnt lgkmcnt(0)
	v_cmp_ne_u16_e64 s33, 0x7fff, v2
	s_delay_alu instid0(VALU_DEP_1) | instskip(NEXT) | instid1(VALU_DEP_1)
	v_cndmask_b32_e64 v2, 0xffff8000, v2, s33
	v_and_b32_e32 v2, 0xffff, v2
	s_delay_alu instid0(VALU_DEP_1) | instskip(NEXT) | instid1(VALU_DEP_1)
	v_lshrrev_b32_e32 v2, s49, v2
	v_and_b32_e32 v143, s55, v2
	s_or_b32 exec_lo, exec_lo, s34
	s_and_saveexec_b32 s34, s18
	s_cbranch_execnz .LBB1879_822
.LBB1879_853:                           ;   in Loop: Header=BB1879_693 Depth=2
	s_or_b32 exec_lo, exec_lo, s34
	s_and_saveexec_b32 s34, s19
	s_cbranch_execz .LBB1879_823
.LBB1879_854:                           ;   in Loop: Header=BB1879_693 Depth=2
	ds_load_u16 v2, v79 offset:1536
	s_waitcnt lgkmcnt(0)
	v_cmp_ne_u16_e64 s33, 0x7fff, v2
	s_delay_alu instid0(VALU_DEP_1) | instskip(NEXT) | instid1(VALU_DEP_1)
	v_cndmask_b32_e64 v2, 0xffff8000, v2, s33
	v_and_b32_e32 v2, 0xffff, v2
	s_delay_alu instid0(VALU_DEP_1) | instskip(NEXT) | instid1(VALU_DEP_1)
	v_lshrrev_b32_e32 v2, s49, v2
	v_and_b32_e32 v141, s55, v2
	s_or_b32 exec_lo, exec_lo, s34
	s_and_saveexec_b32 s34, s20
	s_cbranch_execnz .LBB1879_824
.LBB1879_855:                           ;   in Loop: Header=BB1879_693 Depth=2
	s_or_b32 exec_lo, exec_lo, s34
	s_and_saveexec_b32 s34, s21
	s_cbranch_execz .LBB1879_825
.LBB1879_856:                           ;   in Loop: Header=BB1879_693 Depth=2
	ds_load_u16 v2, v79 offset:2560
	s_waitcnt lgkmcnt(0)
	v_cmp_ne_u16_e64 s33, 0x7fff, v2
	s_delay_alu instid0(VALU_DEP_1) | instskip(NEXT) | instid1(VALU_DEP_1)
	v_cndmask_b32_e64 v2, 0xffff8000, v2, s33
	v_and_b32_e32 v2, 0xffff, v2
	s_delay_alu instid0(VALU_DEP_1) | instskip(NEXT) | instid1(VALU_DEP_1)
	v_lshrrev_b32_e32 v2, s49, v2
	v_and_b32_e32 v139, s55, v2
	s_or_b32 exec_lo, exec_lo, s34
	s_and_saveexec_b32 s34, s22
	s_cbranch_execnz .LBB1879_826
.LBB1879_857:                           ;   in Loop: Header=BB1879_693 Depth=2
	s_or_b32 exec_lo, exec_lo, s34
	s_and_saveexec_b32 s34, s23
	s_cbranch_execz .LBB1879_827
.LBB1879_858:                           ;   in Loop: Header=BB1879_693 Depth=2
	ds_load_u16 v2, v79 offset:3584
	s_waitcnt lgkmcnt(0)
	v_cmp_ne_u16_e64 s33, 0x7fff, v2
	s_delay_alu instid0(VALU_DEP_1) | instskip(NEXT) | instid1(VALU_DEP_1)
	v_cndmask_b32_e64 v2, 0xffff8000, v2, s33
	v_and_b32_e32 v2, 0xffff, v2
	s_delay_alu instid0(VALU_DEP_1) | instskip(NEXT) | instid1(VALU_DEP_1)
	v_lshrrev_b32_e32 v2, s49, v2
	v_and_b32_e32 v137, s55, v2
	s_or_b32 exec_lo, exec_lo, s34
	s_and_saveexec_b32 s34, s24
	s_cbranch_execnz .LBB1879_828
.LBB1879_859:                           ;   in Loop: Header=BB1879_693 Depth=2
	s_or_b32 exec_lo, exec_lo, s34
	s_and_saveexec_b32 s34, s25
	s_cbranch_execz .LBB1879_829
.LBB1879_860:                           ;   in Loop: Header=BB1879_693 Depth=2
	ds_load_u16 v2, v79 offset:4608
	s_waitcnt lgkmcnt(0)
	v_cmp_ne_u16_e64 s33, 0x7fff, v2
	s_delay_alu instid0(VALU_DEP_1) | instskip(NEXT) | instid1(VALU_DEP_1)
	v_cndmask_b32_e64 v2, 0xffff8000, v2, s33
	v_and_b32_e32 v2, 0xffff, v2
	s_delay_alu instid0(VALU_DEP_1) | instskip(NEXT) | instid1(VALU_DEP_1)
	v_lshrrev_b32_e32 v2, s49, v2
	v_and_b32_e32 v135, s55, v2
	s_or_b32 exec_lo, exec_lo, s34
	s_and_saveexec_b32 s34, s26
	s_cbranch_execnz .LBB1879_830
.LBB1879_861:                           ;   in Loop: Header=BB1879_693 Depth=2
	s_or_b32 exec_lo, exec_lo, s34
	s_and_saveexec_b32 s34, s27
	s_cbranch_execz .LBB1879_831
.LBB1879_862:                           ;   in Loop: Header=BB1879_693 Depth=2
	ds_load_u16 v2, v79 offset:5632
	s_waitcnt lgkmcnt(0)
	v_cmp_ne_u16_e64 s33, 0x7fff, v2
	s_delay_alu instid0(VALU_DEP_1) | instskip(NEXT) | instid1(VALU_DEP_1)
	v_cndmask_b32_e64 v2, 0xffff8000, v2, s33
	v_and_b32_e32 v2, 0xffff, v2
	s_delay_alu instid0(VALU_DEP_1) | instskip(NEXT) | instid1(VALU_DEP_1)
	v_lshrrev_b32_e32 v2, s49, v2
	v_and_b32_e32 v133, s55, v2
	s_or_b32 exec_lo, exec_lo, s34
	s_and_saveexec_b32 s34, s28
	s_cbranch_execnz .LBB1879_832
.LBB1879_863:                           ;   in Loop: Header=BB1879_693 Depth=2
	s_or_b32 exec_lo, exec_lo, s34
	s_and_saveexec_b32 s34, s29
	s_cbranch_execz .LBB1879_833
.LBB1879_864:                           ;   in Loop: Header=BB1879_693 Depth=2
	ds_load_u16 v2, v79 offset:6656
	s_waitcnt lgkmcnt(0)
	v_cmp_ne_u16_e64 s33, 0x7fff, v2
	s_delay_alu instid0(VALU_DEP_1) | instskip(NEXT) | instid1(VALU_DEP_1)
	v_cndmask_b32_e64 v2, 0xffff8000, v2, s33
	v_and_b32_e32 v2, 0xffff, v2
	s_delay_alu instid0(VALU_DEP_1) | instskip(NEXT) | instid1(VALU_DEP_1)
	v_lshrrev_b32_e32 v2, s49, v2
	v_and_b32_e32 v131, s55, v2
	s_or_b32 exec_lo, exec_lo, s34
	s_and_saveexec_b32 s34, s30
	s_cbranch_execnz .LBB1879_834
.LBB1879_865:                           ;   in Loop: Header=BB1879_693 Depth=2
	s_or_b32 exec_lo, exec_lo, s34
	s_and_saveexec_b32 s34, s31
	s_cbranch_execz .LBB1879_867
.LBB1879_866:                           ;   in Loop: Header=BB1879_693 Depth=2
	ds_load_u16 v2, v79 offset:7680
	s_waitcnt lgkmcnt(0)
	v_cmp_ne_u16_e64 s33, 0x7fff, v2
	s_delay_alu instid0(VALU_DEP_1) | instskip(NEXT) | instid1(VALU_DEP_1)
	v_cndmask_b32_e64 v2, 0xffff8000, v2, s33
	v_and_b32_e32 v2, 0xffff, v2
	s_delay_alu instid0(VALU_DEP_1) | instskip(NEXT) | instid1(VALU_DEP_1)
	v_lshrrev_b32_e32 v2, s49, v2
	v_and_b32_e32 v129, s55, v2
.LBB1879_867:                           ;   in Loop: Header=BB1879_693 Depth=2
	s_or_b32 exec_lo, exec_lo, s34
	v_lshlrev_b32_e32 v2, 3, v168
	v_lshlrev_b32_e32 v36, 3, v164
	s_waitcnt vmcnt(0)
	s_waitcnt_vscnt null, 0x0
	s_barrier
	buffer_gl0_inv
	ds_store_b64 v2, v[34:35] offset:1024
	v_lshlrev_b32_e32 v2, 3, v160
	v_lshlrev_b32_e32 v37, 3, v156
	;; [unrolled: 1-line block ×4, first 2 shown]
	ds_store_b64 v36, v[32:33] offset:1024
	ds_store_b64 v2, v[30:31] offset:1024
	;; [unrolled: 1-line block ×5, first 2 shown]
	v_lshlrev_b32_e32 v2, 3, v152
	v_lshlrev_b32_e32 v36, 3, v151
	;; [unrolled: 1-line block ×5, first 2 shown]
	ds_store_b64 v2, v[22:23] offset:1024
	ds_store_b64 v36, v[20:21] offset:1024
	;; [unrolled: 1-line block ×5, first 2 shown]
	v_lshlrev_b32_e32 v2, 3, v40
	v_lshlrev_b32_e32 v36, 3, v39
	;; [unrolled: 1-line block ×5, first 2 shown]
	ds_store_b64 v2, v[12:13] offset:1024
	ds_store_b64 v36, v[10:11] offset:1024
	;; [unrolled: 1-line block ×5, first 2 shown]
	s_waitcnt lgkmcnt(0)
	s_barrier
	buffer_gl0_inv
	s_and_saveexec_b32 s33, vcc_lo
	s_cbranch_execz .LBB1879_883
; %bb.868:                              ;   in Loop: Header=BB1879_693 Depth=2
	v_lshlrev_b32_e32 v2, 2, v144
	ds_load_b32 v2, v2
	ds_load_b64 v[36:37], v80 offset:1024
	s_waitcnt lgkmcnt(1)
	v_add_nc_u32_e32 v2, v2, v1
	s_delay_alu instid0(VALU_DEP_1) | instskip(NEXT) | instid1(VALU_DEP_1)
	v_lshlrev_b64 v[39:40], 3, v[2:3]
	v_add_co_u32 v39, vcc_lo, s44, v39
	s_delay_alu instid0(VALU_DEP_2)
	v_add_co_ci_u32_e32 v40, vcc_lo, s45, v40, vcc_lo
	s_waitcnt lgkmcnt(0)
	global_store_b64 v[39:40], v[36:37], off
	s_or_b32 exec_lo, exec_lo, s33
	s_and_saveexec_b32 s33, s17
	s_cbranch_execnz .LBB1879_884
.LBB1879_869:                           ;   in Loop: Header=BB1879_693 Depth=2
	s_or_b32 exec_lo, exec_lo, s33
	s_and_saveexec_b32 s17, s18
	s_cbranch_execz .LBB1879_885
.LBB1879_870:                           ;   in Loop: Header=BB1879_693 Depth=2
	v_lshlrev_b32_e32 v2, 2, v142
	v_add_nc_u32_e32 v36, v79, v81
	ds_load_b32 v2, v2
	ds_load_b64 v[36:37], v36 offset:4096
	s_waitcnt lgkmcnt(1)
	v_add_nc_u32_e32 v2, v2, v46
	s_delay_alu instid0(VALU_DEP_1) | instskip(NEXT) | instid1(VALU_DEP_1)
	v_lshlrev_b64 v[39:40], 3, v[2:3]
	v_add_co_u32 v39, vcc_lo, s44, v39
	s_delay_alu instid0(VALU_DEP_2)
	v_add_co_ci_u32_e32 v40, vcc_lo, s45, v40, vcc_lo
	s_waitcnt lgkmcnt(0)
	global_store_b64 v[39:40], v[36:37], off
	s_or_b32 exec_lo, exec_lo, s17
	s_and_saveexec_b32 s17, s19
	s_cbranch_execnz .LBB1879_886
.LBB1879_871:                           ;   in Loop: Header=BB1879_693 Depth=2
	s_or_b32 exec_lo, exec_lo, s17
	s_and_saveexec_b32 s17, s20
	s_cbranch_execz .LBB1879_887
.LBB1879_872:                           ;   in Loop: Header=BB1879_693 Depth=2
	v_lshlrev_b32_e32 v2, 2, v140
	v_add_nc_u32_e32 v36, v79, v81
	ds_load_b32 v2, v2
	ds_load_b64 v[36:37], v36 offset:8192
	s_waitcnt lgkmcnt(1)
	v_add_nc_u32_e32 v2, v2, v51
	s_delay_alu instid0(VALU_DEP_1) | instskip(NEXT) | instid1(VALU_DEP_1)
	v_lshlrev_b64 v[39:40], 3, v[2:3]
	v_add_co_u32 v39, vcc_lo, s44, v39
	s_delay_alu instid0(VALU_DEP_2)
	v_add_co_ci_u32_e32 v40, vcc_lo, s45, v40, vcc_lo
	s_waitcnt lgkmcnt(0)
	global_store_b64 v[39:40], v[36:37], off
	s_or_b32 exec_lo, exec_lo, s17
	s_and_saveexec_b32 s17, s21
	s_cbranch_execnz .LBB1879_888
.LBB1879_873:                           ;   in Loop: Header=BB1879_693 Depth=2
	s_or_b32 exec_lo, exec_lo, s17
	s_and_saveexec_b32 s17, s22
	s_cbranch_execz .LBB1879_889
.LBB1879_874:                           ;   in Loop: Header=BB1879_693 Depth=2
	v_lshlrev_b32_e32 v2, 2, v138
	v_add_nc_u32_e32 v36, v79, v81
	ds_load_b32 v2, v2
	ds_load_b64 v[36:37], v36 offset:12288
	s_waitcnt lgkmcnt(1)
	v_add_nc_u32_e32 v2, v2, v53
	s_delay_alu instid0(VALU_DEP_1) | instskip(NEXT) | instid1(VALU_DEP_1)
	v_lshlrev_b64 v[39:40], 3, v[2:3]
	v_add_co_u32 v39, vcc_lo, s44, v39
	s_delay_alu instid0(VALU_DEP_2)
	v_add_co_ci_u32_e32 v40, vcc_lo, s45, v40, vcc_lo
	s_waitcnt lgkmcnt(0)
	global_store_b64 v[39:40], v[36:37], off
	s_or_b32 exec_lo, exec_lo, s17
	s_and_saveexec_b32 s17, s23
	s_cbranch_execnz .LBB1879_890
.LBB1879_875:                           ;   in Loop: Header=BB1879_693 Depth=2
	s_or_b32 exec_lo, exec_lo, s17
	s_and_saveexec_b32 s17, s24
	s_cbranch_execz .LBB1879_891
.LBB1879_876:                           ;   in Loop: Header=BB1879_693 Depth=2
	v_lshlrev_b32_e32 v2, 2, v136
	v_add_nc_u32_e32 v36, v79, v81
	ds_load_b32 v2, v2
	ds_load_b64 v[36:37], v36 offset:16384
	s_waitcnt lgkmcnt(1)
	v_add_nc_u32_e32 v2, v2, v55
	s_delay_alu instid0(VALU_DEP_1) | instskip(NEXT) | instid1(VALU_DEP_1)
	v_lshlrev_b64 v[39:40], 3, v[2:3]
	v_add_co_u32 v39, vcc_lo, s44, v39
	s_delay_alu instid0(VALU_DEP_2)
	v_add_co_ci_u32_e32 v40, vcc_lo, s45, v40, vcc_lo
	s_waitcnt lgkmcnt(0)
	global_store_b64 v[39:40], v[36:37], off
	s_or_b32 exec_lo, exec_lo, s17
	s_and_saveexec_b32 s17, s25
	s_cbranch_execnz .LBB1879_892
.LBB1879_877:                           ;   in Loop: Header=BB1879_693 Depth=2
	s_or_b32 exec_lo, exec_lo, s17
	s_and_saveexec_b32 s17, s26
	s_cbranch_execz .LBB1879_893
.LBB1879_878:                           ;   in Loop: Header=BB1879_693 Depth=2
	v_lshlrev_b32_e32 v2, 2, v134
	v_add_nc_u32_e32 v36, v79, v81
	ds_load_b32 v2, v2
	ds_load_b64 v[36:37], v36 offset:20480
	s_waitcnt lgkmcnt(1)
	v_add_nc_u32_e32 v2, v2, v57
	s_delay_alu instid0(VALU_DEP_1) | instskip(NEXT) | instid1(VALU_DEP_1)
	v_lshlrev_b64 v[39:40], 3, v[2:3]
	v_add_co_u32 v39, vcc_lo, s44, v39
	s_delay_alu instid0(VALU_DEP_2)
	v_add_co_ci_u32_e32 v40, vcc_lo, s45, v40, vcc_lo
	s_waitcnt lgkmcnt(0)
	global_store_b64 v[39:40], v[36:37], off
	s_or_b32 exec_lo, exec_lo, s17
	s_and_saveexec_b32 s17, s27
	s_cbranch_execnz .LBB1879_894
.LBB1879_879:                           ;   in Loop: Header=BB1879_693 Depth=2
	s_or_b32 exec_lo, exec_lo, s17
	s_and_saveexec_b32 s17, s28
	s_cbranch_execz .LBB1879_895
.LBB1879_880:                           ;   in Loop: Header=BB1879_693 Depth=2
	v_lshlrev_b32_e32 v2, 2, v132
	v_add_nc_u32_e32 v36, v79, v81
	ds_load_b32 v2, v2
	ds_load_b64 v[36:37], v36 offset:24576
	s_waitcnt lgkmcnt(1)
	v_add_nc_u32_e32 v2, v2, v59
	s_delay_alu instid0(VALU_DEP_1) | instskip(NEXT) | instid1(VALU_DEP_1)
	v_lshlrev_b64 v[39:40], 3, v[2:3]
	v_add_co_u32 v39, vcc_lo, s44, v39
	s_delay_alu instid0(VALU_DEP_2)
	v_add_co_ci_u32_e32 v40, vcc_lo, s45, v40, vcc_lo
	s_waitcnt lgkmcnt(0)
	global_store_b64 v[39:40], v[36:37], off
	s_or_b32 exec_lo, exec_lo, s17
	s_and_saveexec_b32 s17, s29
	s_cbranch_execnz .LBB1879_896
.LBB1879_881:                           ;   in Loop: Header=BB1879_693 Depth=2
	s_or_b32 exec_lo, exec_lo, s17
	s_and_saveexec_b32 s17, s30
	s_cbranch_execz .LBB1879_897
.LBB1879_882:                           ;   in Loop: Header=BB1879_693 Depth=2
	v_lshlrev_b32_e32 v2, 2, v130
	v_add_nc_u32_e32 v36, v79, v81
	ds_load_b32 v2, v2
	ds_load_b64 v[36:37], v36 offset:28672
	s_waitcnt lgkmcnt(1)
	v_add_nc_u32_e32 v2, v2, v61
	s_delay_alu instid0(VALU_DEP_1) | instskip(NEXT) | instid1(VALU_DEP_1)
	v_lshlrev_b64 v[39:40], 3, v[2:3]
	v_add_co_u32 v39, vcc_lo, s44, v39
	s_delay_alu instid0(VALU_DEP_2)
	v_add_co_ci_u32_e32 v40, vcc_lo, s45, v40, vcc_lo
	s_waitcnt lgkmcnt(0)
	global_store_b64 v[39:40], v[36:37], off
	s_or_b32 exec_lo, exec_lo, s17
	s_and_saveexec_b32 s17, s31
	s_cbranch_execnz .LBB1879_898
	s_branch .LBB1879_899
.LBB1879_883:                           ;   in Loop: Header=BB1879_693 Depth=2
	s_or_b32 exec_lo, exec_lo, s33
	s_and_saveexec_b32 s33, s17
	s_cbranch_execz .LBB1879_869
.LBB1879_884:                           ;   in Loop: Header=BB1879_693 Depth=2
	v_lshlrev_b32_e32 v2, 2, v143
	v_add_nc_u32_e32 v36, v79, v81
	ds_load_b32 v2, v2
	ds_load_b64 v[36:37], v36 offset:2048
	s_waitcnt lgkmcnt(1)
	v_add_nc_u32_e32 v2, v2, v45
	s_delay_alu instid0(VALU_DEP_1) | instskip(NEXT) | instid1(VALU_DEP_1)
	v_lshlrev_b64 v[39:40], 3, v[2:3]
	v_add_co_u32 v39, vcc_lo, s44, v39
	s_delay_alu instid0(VALU_DEP_2)
	v_add_co_ci_u32_e32 v40, vcc_lo, s45, v40, vcc_lo
	s_waitcnt lgkmcnt(0)
	global_store_b64 v[39:40], v[36:37], off
	s_or_b32 exec_lo, exec_lo, s33
	s_and_saveexec_b32 s17, s18
	s_cbranch_execnz .LBB1879_870
.LBB1879_885:                           ;   in Loop: Header=BB1879_693 Depth=2
	s_or_b32 exec_lo, exec_lo, s17
	s_and_saveexec_b32 s17, s19
	s_cbranch_execz .LBB1879_871
.LBB1879_886:                           ;   in Loop: Header=BB1879_693 Depth=2
	v_lshlrev_b32_e32 v2, 2, v141
	v_add_nc_u32_e32 v36, v79, v81
	ds_load_b32 v2, v2
	ds_load_b64 v[36:37], v36 offset:6144
	s_waitcnt lgkmcnt(1)
	v_add_nc_u32_e32 v2, v2, v47
	s_delay_alu instid0(VALU_DEP_1) | instskip(NEXT) | instid1(VALU_DEP_1)
	v_lshlrev_b64 v[39:40], 3, v[2:3]
	v_add_co_u32 v39, vcc_lo, s44, v39
	s_delay_alu instid0(VALU_DEP_2)
	v_add_co_ci_u32_e32 v40, vcc_lo, s45, v40, vcc_lo
	s_waitcnt lgkmcnt(0)
	global_store_b64 v[39:40], v[36:37], off
	s_or_b32 exec_lo, exec_lo, s17
	s_and_saveexec_b32 s17, s20
	s_cbranch_execnz .LBB1879_872
.LBB1879_887:                           ;   in Loop: Header=BB1879_693 Depth=2
	s_or_b32 exec_lo, exec_lo, s17
	s_and_saveexec_b32 s17, s21
	s_cbranch_execz .LBB1879_873
.LBB1879_888:                           ;   in Loop: Header=BB1879_693 Depth=2
	v_lshlrev_b32_e32 v2, 2, v139
	v_add_nc_u32_e32 v36, v79, v81
	ds_load_b32 v2, v2
	ds_load_b64 v[36:37], v36 offset:10240
	s_waitcnt lgkmcnt(1)
	v_add_nc_u32_e32 v2, v2, v52
	s_delay_alu instid0(VALU_DEP_1) | instskip(NEXT) | instid1(VALU_DEP_1)
	v_lshlrev_b64 v[39:40], 3, v[2:3]
	v_add_co_u32 v39, vcc_lo, s44, v39
	s_delay_alu instid0(VALU_DEP_2)
	v_add_co_ci_u32_e32 v40, vcc_lo, s45, v40, vcc_lo
	s_waitcnt lgkmcnt(0)
	global_store_b64 v[39:40], v[36:37], off
	s_or_b32 exec_lo, exec_lo, s17
	s_and_saveexec_b32 s17, s22
	s_cbranch_execnz .LBB1879_874
.LBB1879_889:                           ;   in Loop: Header=BB1879_693 Depth=2
	s_or_b32 exec_lo, exec_lo, s17
	s_and_saveexec_b32 s17, s23
	s_cbranch_execz .LBB1879_875
.LBB1879_890:                           ;   in Loop: Header=BB1879_693 Depth=2
	v_lshlrev_b32_e32 v2, 2, v137
	v_add_nc_u32_e32 v36, v79, v81
	ds_load_b32 v2, v2
	ds_load_b64 v[36:37], v36 offset:14336
	s_waitcnt lgkmcnt(1)
	v_add_nc_u32_e32 v2, v2, v54
	s_delay_alu instid0(VALU_DEP_1) | instskip(NEXT) | instid1(VALU_DEP_1)
	v_lshlrev_b64 v[39:40], 3, v[2:3]
	v_add_co_u32 v39, vcc_lo, s44, v39
	s_delay_alu instid0(VALU_DEP_2)
	v_add_co_ci_u32_e32 v40, vcc_lo, s45, v40, vcc_lo
	s_waitcnt lgkmcnt(0)
	global_store_b64 v[39:40], v[36:37], off
	s_or_b32 exec_lo, exec_lo, s17
	s_and_saveexec_b32 s17, s24
	s_cbranch_execnz .LBB1879_876
.LBB1879_891:                           ;   in Loop: Header=BB1879_693 Depth=2
	s_or_b32 exec_lo, exec_lo, s17
	s_and_saveexec_b32 s17, s25
	s_cbranch_execz .LBB1879_877
.LBB1879_892:                           ;   in Loop: Header=BB1879_693 Depth=2
	v_lshlrev_b32_e32 v2, 2, v135
	v_add_nc_u32_e32 v36, v79, v81
	ds_load_b32 v2, v2
	ds_load_b64 v[36:37], v36 offset:18432
	s_waitcnt lgkmcnt(1)
	v_add_nc_u32_e32 v2, v2, v56
	s_delay_alu instid0(VALU_DEP_1) | instskip(NEXT) | instid1(VALU_DEP_1)
	v_lshlrev_b64 v[39:40], 3, v[2:3]
	v_add_co_u32 v39, vcc_lo, s44, v39
	s_delay_alu instid0(VALU_DEP_2)
	v_add_co_ci_u32_e32 v40, vcc_lo, s45, v40, vcc_lo
	s_waitcnt lgkmcnt(0)
	global_store_b64 v[39:40], v[36:37], off
	s_or_b32 exec_lo, exec_lo, s17
	s_and_saveexec_b32 s17, s26
	s_cbranch_execnz .LBB1879_878
.LBB1879_893:                           ;   in Loop: Header=BB1879_693 Depth=2
	s_or_b32 exec_lo, exec_lo, s17
	s_and_saveexec_b32 s17, s27
	s_cbranch_execz .LBB1879_879
.LBB1879_894:                           ;   in Loop: Header=BB1879_693 Depth=2
	v_lshlrev_b32_e32 v2, 2, v133
	v_add_nc_u32_e32 v36, v79, v81
	ds_load_b32 v2, v2
	ds_load_b64 v[36:37], v36 offset:22528
	s_waitcnt lgkmcnt(1)
	v_add_nc_u32_e32 v2, v2, v58
	s_delay_alu instid0(VALU_DEP_1) | instskip(NEXT) | instid1(VALU_DEP_1)
	v_lshlrev_b64 v[39:40], 3, v[2:3]
	v_add_co_u32 v39, vcc_lo, s44, v39
	s_delay_alu instid0(VALU_DEP_2)
	v_add_co_ci_u32_e32 v40, vcc_lo, s45, v40, vcc_lo
	s_waitcnt lgkmcnt(0)
	global_store_b64 v[39:40], v[36:37], off
	s_or_b32 exec_lo, exec_lo, s17
	s_and_saveexec_b32 s17, s28
	s_cbranch_execnz .LBB1879_880
.LBB1879_895:                           ;   in Loop: Header=BB1879_693 Depth=2
	s_or_b32 exec_lo, exec_lo, s17
	s_and_saveexec_b32 s17, s29
	s_cbranch_execz .LBB1879_881
.LBB1879_896:                           ;   in Loop: Header=BB1879_693 Depth=2
	v_lshlrev_b32_e32 v2, 2, v131
	v_add_nc_u32_e32 v36, v79, v81
	ds_load_b32 v2, v2
	ds_load_b64 v[36:37], v36 offset:26624
	s_waitcnt lgkmcnt(1)
	v_add_nc_u32_e32 v2, v2, v60
	s_delay_alu instid0(VALU_DEP_1) | instskip(NEXT) | instid1(VALU_DEP_1)
	v_lshlrev_b64 v[39:40], 3, v[2:3]
	v_add_co_u32 v39, vcc_lo, s44, v39
	s_delay_alu instid0(VALU_DEP_2)
	v_add_co_ci_u32_e32 v40, vcc_lo, s45, v40, vcc_lo
	s_waitcnt lgkmcnt(0)
	global_store_b64 v[39:40], v[36:37], off
	s_or_b32 exec_lo, exec_lo, s17
	s_and_saveexec_b32 s17, s30
	s_cbranch_execnz .LBB1879_882
.LBB1879_897:                           ;   in Loop: Header=BB1879_693 Depth=2
	s_or_b32 exec_lo, exec_lo, s17
	s_and_saveexec_b32 s17, s31
	s_cbranch_execz .LBB1879_899
.LBB1879_898:                           ;   in Loop: Header=BB1879_693 Depth=2
	v_lshlrev_b32_e32 v2, 2, v129
	v_add_nc_u32_e32 v36, v79, v81
	ds_load_b32 v2, v2
	ds_load_b64 v[36:37], v36 offset:30720
	s_waitcnt lgkmcnt(1)
	v_add_nc_u32_e32 v2, v2, v63
	s_delay_alu instid0(VALU_DEP_1) | instskip(NEXT) | instid1(VALU_DEP_1)
	v_lshlrev_b64 v[39:40], 3, v[2:3]
	v_add_co_u32 v39, vcc_lo, s44, v39
	s_delay_alu instid0(VALU_DEP_2)
	v_add_co_ci_u32_e32 v40, vcc_lo, s45, v40, vcc_lo
	s_waitcnt lgkmcnt(0)
	global_store_b64 v[39:40], v[36:37], off
.LBB1879_899:                           ;   in Loop: Header=BB1879_693 Depth=2
	s_or_b32 exec_lo, exec_lo, s17
	s_waitcnt_vscnt null, 0x0
	s_barrier
	buffer_gl0_inv
	s_and_saveexec_b32 s17, s2
	s_cbranch_execz .LBB1879_692
; %bb.900:                              ;   in Loop: Header=BB1879_693 Depth=2
	ds_load_b32 v2, v44
	s_waitcnt lgkmcnt(0)
	v_add_nc_u32_e32 v2, v2, v38
	ds_store_b32 v44, v2
	s_branch .LBB1879_692
.LBB1879_901:                           ;   in Loop: Header=BB1879_17 Depth=1
	s_waitcnt lgkmcnt(0)
	s_mov_b32 s0, 0
	s_barrier
.LBB1879_902:                           ;   in Loop: Header=BB1879_17 Depth=1
	s_and_b32 vcc_lo, exec_lo, s0
	s_cbranch_vccz .LBB1879_16
; %bb.903:                              ;   in Loop: Header=BB1879_17 Depth=1
	s_mov_b32 s8, s54
	s_mov_b32 s34, s52
	s_barrier
	buffer_gl0_inv
                                        ; implicit-def: $vgpr20
                                        ; implicit-def: $vgpr2
                                        ; implicit-def: $vgpr6
                                        ; implicit-def: $vgpr7
                                        ; implicit-def: $vgpr8
                                        ; implicit-def: $vgpr9
                                        ; implicit-def: $vgpr10
                                        ; implicit-def: $vgpr11
                                        ; implicit-def: $vgpr12
                                        ; implicit-def: $vgpr13
                                        ; implicit-def: $vgpr14
                                        ; implicit-def: $vgpr15
                                        ; implicit-def: $vgpr16
                                        ; implicit-def: $vgpr17
                                        ; implicit-def: $vgpr18
                                        ; implicit-def: $vgpr19
	s_branch .LBB1879_905
.LBB1879_904:                           ;   in Loop: Header=BB1879_905 Depth=2
	s_or_b32 exec_lo, exec_lo, s0
	s_addk_i32 s8, 0xf000
	s_cmp_ge_u32 s9, s53
	s_mov_b32 s34, s9
	s_cbranch_scc1 .LBB1879_975
.LBB1879_905:                           ;   Parent Loop BB1879_17 Depth=1
                                        ; =>  This Inner Loop Header: Depth=2
	s_add_i32 s9, s34, 0x1000
	s_delay_alu instid0(SALU_CYCLE_1)
	s_cmp_gt_u32 s9, s53
	s_cbranch_scc1 .LBB1879_908
; %bb.906:                              ;   in Loop: Header=BB1879_905 Depth=2
	s_mov_b32 s1, 0
	s_mov_b32 s0, s34
	s_delay_alu instid0(SALU_CYCLE_1) | instskip(NEXT) | instid1(SALU_CYCLE_1)
	s_lshl_b64 s[10:11], s[0:1], 1
	v_add_co_u32 v4, vcc_lo, v88, s10
	v_add_co_ci_u32_e32 v5, vcc_lo, s11, v89, vcc_lo
	s_movk_i32 s11, 0x1000
	s_waitcnt vmcnt(0)
	s_delay_alu instid0(VALU_DEP_2) | instskip(NEXT) | instid1(VALU_DEP_2)
	v_add_co_u32 v36, vcc_lo, 0x1000, v4
	v_add_co_ci_u32_e32 v37, vcc_lo, 0, v5, vcc_lo
	s_clause 0xe
	global_load_u16 v22, v[4:5], off
	global_load_u16 v23, v[4:5], off offset:512
	global_load_u16 v24, v[4:5], off offset:1024
	;; [unrolled: 1-line block ×7, first 2 shown]
	global_load_u16 v30, v[36:37], off
	global_load_u16 v31, v[36:37], off offset:512
	global_load_u16 v32, v[36:37], off offset:1024
	;; [unrolled: 1-line block ×6, first 2 shown]
	v_add_co_u32 v4, vcc_lo, 0x1e00, v4
	v_add_co_ci_u32_e32 v5, vcc_lo, 0, v5, vcc_lo
	s_mov_b32 s10, -1
	s_cbranch_execz .LBB1879_909
; %bb.907:                              ;   in Loop: Header=BB1879_905 Depth=2
                                        ; implicit-def: $vgpr19
                                        ; implicit-def: $vgpr18
                                        ; implicit-def: $vgpr17
                                        ; implicit-def: $vgpr16
                                        ; implicit-def: $vgpr15
                                        ; implicit-def: $vgpr14
                                        ; implicit-def: $vgpr13
                                        ; implicit-def: $vgpr12
                                        ; implicit-def: $vgpr11
                                        ; implicit-def: $vgpr10
                                        ; implicit-def: $vgpr9
                                        ; implicit-def: $vgpr8
                                        ; implicit-def: $vgpr7
                                        ; implicit-def: $vgpr6
                                        ; implicit-def: $vgpr2
                                        ; implicit-def: $vgpr20
	v_mov_b32_e32 v21, s8
	s_and_saveexec_b32 s0, s10
	s_cbranch_execnz .LBB1879_928
	s_branch .LBB1879_929
.LBB1879_908:                           ;   in Loop: Header=BB1879_905 Depth=2
	s_mov_b32 s10, 0
                                        ; implicit-def: $sgpr11
                                        ; implicit-def: $vgpr22
                                        ; implicit-def: $vgpr23
                                        ; implicit-def: $vgpr24
                                        ; implicit-def: $vgpr25
                                        ; implicit-def: $vgpr26
                                        ; implicit-def: $vgpr27
                                        ; implicit-def: $vgpr28
                                        ; implicit-def: $vgpr29
                                        ; implicit-def: $vgpr30
                                        ; implicit-def: $vgpr31
                                        ; implicit-def: $vgpr32
                                        ; implicit-def: $vgpr33
                                        ; implicit-def: $vgpr34
                                        ; implicit-def: $vgpr35
                                        ; implicit-def: $vgpr36
                                        ; implicit-def: $vgpr4_vgpr5
.LBB1879_909:                           ;   in Loop: Header=BB1879_905 Depth=2
	s_lshl_b64 s[0:1], s[34:35], 1
	s_mov_b32 s11, exec_lo
	s_add_u32 s0, s36, s0
	s_addc_u32 s1, s37, s1
	v_cmpx_gt_u32_e64 s8, v1
	s_cbranch_execz .LBB1879_961
; %bb.910:                              ;   in Loop: Header=BB1879_905 Depth=2
	global_load_u16 v19, v95, s[0:1]
	s_or_b32 exec_lo, exec_lo, s11
	s_delay_alu instid0(SALU_CYCLE_1)
	s_mov_b32 s11, exec_lo
	v_cmpx_gt_u32_e64 s8, v45
	s_cbranch_execnz .LBB1879_962
.LBB1879_911:                           ;   in Loop: Header=BB1879_905 Depth=2
	s_or_b32 exec_lo, exec_lo, s11
	s_delay_alu instid0(SALU_CYCLE_1)
	s_mov_b32 s11, exec_lo
	v_cmpx_gt_u32_e64 s8, v46
	s_cbranch_execz .LBB1879_963
.LBB1879_912:                           ;   in Loop: Header=BB1879_905 Depth=2
	global_load_u16 v17, v95, s[0:1] offset:1024
	s_or_b32 exec_lo, exec_lo, s11
	s_delay_alu instid0(SALU_CYCLE_1)
	s_mov_b32 s11, exec_lo
	v_cmpx_gt_u32_e64 s8, v47
	s_cbranch_execnz .LBB1879_964
.LBB1879_913:                           ;   in Loop: Header=BB1879_905 Depth=2
	s_or_b32 exec_lo, exec_lo, s11
	s_delay_alu instid0(SALU_CYCLE_1)
	s_mov_b32 s11, exec_lo
	v_cmpx_gt_u32_e64 s8, v51
	s_cbranch_execz .LBB1879_965
.LBB1879_914:                           ;   in Loop: Header=BB1879_905 Depth=2
	global_load_u16 v15, v95, s[0:1] offset:2048
	s_or_b32 exec_lo, exec_lo, s11
	s_delay_alu instid0(SALU_CYCLE_1)
	s_mov_b32 s11, exec_lo
	v_cmpx_gt_u32_e64 s8, v52
	s_cbranch_execnz .LBB1879_966
.LBB1879_915:                           ;   in Loop: Header=BB1879_905 Depth=2
	s_or_b32 exec_lo, exec_lo, s11
	s_delay_alu instid0(SALU_CYCLE_1)
	s_mov_b32 s11, exec_lo
	v_cmpx_gt_u32_e64 s8, v53
	s_cbranch_execz .LBB1879_967
.LBB1879_916:                           ;   in Loop: Header=BB1879_905 Depth=2
	global_load_u16 v13, v95, s[0:1] offset:3072
	s_or_b32 exec_lo, exec_lo, s11
	s_delay_alu instid0(SALU_CYCLE_1)
	s_mov_b32 s11, exec_lo
	v_cmpx_gt_u32_e64 s8, v54
	s_cbranch_execnz .LBB1879_968
.LBB1879_917:                           ;   in Loop: Header=BB1879_905 Depth=2
	s_or_b32 exec_lo, exec_lo, s11
	s_delay_alu instid0(SALU_CYCLE_1)
	s_mov_b32 s11, exec_lo
	v_cmpx_gt_u32_e64 s8, v55
	s_cbranch_execz .LBB1879_969
.LBB1879_918:                           ;   in Loop: Header=BB1879_905 Depth=2
	global_load_u16 v11, v96, s[0:1]
	s_or_b32 exec_lo, exec_lo, s11
	s_delay_alu instid0(SALU_CYCLE_1)
	s_mov_b32 s11, exec_lo
	v_cmpx_gt_u32_e64 s8, v56
	s_cbranch_execnz .LBB1879_970
.LBB1879_919:                           ;   in Loop: Header=BB1879_905 Depth=2
	s_or_b32 exec_lo, exec_lo, s11
	s_delay_alu instid0(SALU_CYCLE_1)
	s_mov_b32 s11, exec_lo
	v_cmpx_gt_u32_e64 s8, v57
	s_cbranch_execz .LBB1879_971
.LBB1879_920:                           ;   in Loop: Header=BB1879_905 Depth=2
	global_load_u16 v9, v98, s[0:1]
	s_or_b32 exec_lo, exec_lo, s11
	s_delay_alu instid0(SALU_CYCLE_1)
	s_mov_b32 s11, exec_lo
	v_cmpx_gt_u32_e64 s8, v58
	s_cbranch_execnz .LBB1879_972
.LBB1879_921:                           ;   in Loop: Header=BB1879_905 Depth=2
	s_or_b32 exec_lo, exec_lo, s11
	s_delay_alu instid0(SALU_CYCLE_1)
	s_mov_b32 s11, exec_lo
	v_cmpx_gt_u32_e64 s8, v59
	s_cbranch_execz .LBB1879_973
.LBB1879_922:                           ;   in Loop: Header=BB1879_905 Depth=2
	global_load_u16 v7, v100, s[0:1]
	s_or_b32 exec_lo, exec_lo, s11
	s_delay_alu instid0(SALU_CYCLE_1)
	s_mov_b32 s11, exec_lo
	v_cmpx_gt_u32_e64 s8, v60
	s_cbranch_execnz .LBB1879_974
.LBB1879_923:                           ;   in Loop: Header=BB1879_905 Depth=2
	s_or_b32 exec_lo, exec_lo, s11
	s_delay_alu instid0(SALU_CYCLE_1)
	s_mov_b32 s11, exec_lo
	v_cmpx_gt_u32_e64 s8, v61
	s_cbranch_execz .LBB1879_925
.LBB1879_924:                           ;   in Loop: Header=BB1879_905 Depth=2
	global_load_u16 v2, v102, s[0:1]
.LBB1879_925:                           ;   in Loop: Header=BB1879_905 Depth=2
	s_or_b32 exec_lo, exec_lo, s11
	s_delay_alu instid0(SALU_CYCLE_1)
	s_mov_b32 s12, exec_lo
                                        ; implicit-def: $sgpr11
                                        ; implicit-def: $vgpr4_vgpr5
	v_cmpx_gt_u32_e64 s8, v63
; %bb.926:                              ;   in Loop: Header=BB1879_905 Depth=2
	v_add_co_u32 v4, s0, s0, v103
	s_delay_alu instid0(VALU_DEP_1)
	v_add_co_ci_u32_e64 v5, null, s1, 0, s0
	s_sub_i32 s11, s53, s34
	s_or_b32 s10, s10, exec_lo
                                        ; implicit-def: $vgpr20
; %bb.927:                              ;   in Loop: Header=BB1879_905 Depth=2
	s_or_b32 exec_lo, exec_lo, s12
	s_waitcnt vmcnt(0)
	v_dual_mov_b32 v22, v19 :: v_dual_mov_b32 v23, v18
	v_dual_mov_b32 v24, v17 :: v_dual_mov_b32 v25, v16
	;; [unrolled: 1-line block ×8, first 2 shown]
	s_and_saveexec_b32 s0, s10
	s_cbranch_execz .LBB1879_929
.LBB1879_928:                           ;   in Loop: Header=BB1879_905 Depth=2
	global_load_u16 v20, v[4:5], off
	s_waitcnt vmcnt(1)
	v_dual_mov_b32 v21, s11 :: v_dual_mov_b32 v2, v36
	v_dual_mov_b32 v6, v35 :: v_dual_mov_b32 v7, v34
	;; [unrolled: 1-line block ×8, first 2 shown]
.LBB1879_929:                           ;   in Loop: Header=BB1879_905 Depth=2
	s_or_b32 exec_lo, exec_lo, s0
	v_lshlrev_b32_e32 v4, 2, v48
	s_mov_b32 s0, exec_lo
	v_cmpx_lt_u32_e64 v1, v21
	s_cbranch_execz .LBB1879_945
; %bb.930:                              ;   in Loop: Header=BB1879_905 Depth=2
	v_cmp_lt_i16_e32 vcc_lo, -1, v19
	v_cndmask_b32_e64 v5, -1, 0xffff8000, vcc_lo
	s_delay_alu instid0(VALU_DEP_1) | instskip(NEXT) | instid1(VALU_DEP_1)
	v_xor_b32_e32 v5, v5, v19
	v_cmp_ne_u16_e32 vcc_lo, 0x7fff, v5
	v_cndmask_b32_e32 v5, 0xffff8000, v5, vcc_lo
	s_delay_alu instid0(VALU_DEP_1) | instskip(NEXT) | instid1(VALU_DEP_1)
	v_and_b32_e32 v5, 0xffff, v5
	v_lshrrev_b32_e32 v5, s49, v5
	s_delay_alu instid0(VALU_DEP_1) | instskip(NEXT) | instid1(VALU_DEP_1)
	v_and_b32_e32 v5, s55, v5
	v_lshl_or_b32 v5, v5, 4, v4
	ds_add_u32 v5, v94
	s_or_b32 exec_lo, exec_lo, s0
	s_delay_alu instid0(SALU_CYCLE_1)
	s_mov_b32 s0, exec_lo
	v_cmpx_lt_u32_e64 v45, v21
	s_cbranch_execnz .LBB1879_946
.LBB1879_931:                           ;   in Loop: Header=BB1879_905 Depth=2
	s_or_b32 exec_lo, exec_lo, s0
	s_delay_alu instid0(SALU_CYCLE_1)
	s_mov_b32 s0, exec_lo
	v_cmpx_lt_u32_e64 v46, v21
	s_cbranch_execz .LBB1879_947
.LBB1879_932:                           ;   in Loop: Header=BB1879_905 Depth=2
	v_cmp_lt_i16_e32 vcc_lo, -1, v17
	v_cndmask_b32_e64 v5, -1, 0xffff8000, vcc_lo
	s_delay_alu instid0(VALU_DEP_1) | instskip(NEXT) | instid1(VALU_DEP_1)
	v_xor_b32_e32 v5, v5, v17
	v_cmp_ne_u16_e32 vcc_lo, 0x7fff, v5
	v_cndmask_b32_e32 v5, 0xffff8000, v5, vcc_lo
	s_delay_alu instid0(VALU_DEP_1) | instskip(NEXT) | instid1(VALU_DEP_1)
	v_and_b32_e32 v5, 0xffff, v5
	v_lshrrev_b32_e32 v5, s49, v5
	s_delay_alu instid0(VALU_DEP_1) | instskip(NEXT) | instid1(VALU_DEP_1)
	v_and_b32_e32 v5, s55, v5
	v_lshl_or_b32 v5, v5, 4, v4
	ds_add_u32 v5, v94
	s_or_b32 exec_lo, exec_lo, s0
	s_delay_alu instid0(SALU_CYCLE_1)
	s_mov_b32 s0, exec_lo
	v_cmpx_lt_u32_e64 v47, v21
	s_cbranch_execnz .LBB1879_948
.LBB1879_933:                           ;   in Loop: Header=BB1879_905 Depth=2
	s_or_b32 exec_lo, exec_lo, s0
	s_delay_alu instid0(SALU_CYCLE_1)
	s_mov_b32 s0, exec_lo
	v_cmpx_lt_u32_e64 v51, v21
	s_cbranch_execz .LBB1879_949
.LBB1879_934:                           ;   in Loop: Header=BB1879_905 Depth=2
	v_cmp_lt_i16_e32 vcc_lo, -1, v15
	v_cndmask_b32_e64 v5, -1, 0xffff8000, vcc_lo
	s_delay_alu instid0(VALU_DEP_1) | instskip(NEXT) | instid1(VALU_DEP_1)
	v_xor_b32_e32 v5, v5, v15
	v_cmp_ne_u16_e32 vcc_lo, 0x7fff, v5
	v_cndmask_b32_e32 v5, 0xffff8000, v5, vcc_lo
	s_delay_alu instid0(VALU_DEP_1) | instskip(NEXT) | instid1(VALU_DEP_1)
	v_and_b32_e32 v5, 0xffff, v5
	v_lshrrev_b32_e32 v5, s49, v5
	s_delay_alu instid0(VALU_DEP_1) | instskip(NEXT) | instid1(VALU_DEP_1)
	v_and_b32_e32 v5, s55, v5
	v_lshl_or_b32 v5, v5, 4, v4
	ds_add_u32 v5, v94
	s_or_b32 exec_lo, exec_lo, s0
	s_delay_alu instid0(SALU_CYCLE_1)
	s_mov_b32 s0, exec_lo
	v_cmpx_lt_u32_e64 v52, v21
	s_cbranch_execnz .LBB1879_950
.LBB1879_935:                           ;   in Loop: Header=BB1879_905 Depth=2
	s_or_b32 exec_lo, exec_lo, s0
	s_delay_alu instid0(SALU_CYCLE_1)
	s_mov_b32 s0, exec_lo
	v_cmpx_lt_u32_e64 v53, v21
	s_cbranch_execz .LBB1879_951
.LBB1879_936:                           ;   in Loop: Header=BB1879_905 Depth=2
	v_cmp_lt_i16_e32 vcc_lo, -1, v13
	v_cndmask_b32_e64 v5, -1, 0xffff8000, vcc_lo
	s_delay_alu instid0(VALU_DEP_1) | instskip(NEXT) | instid1(VALU_DEP_1)
	v_xor_b32_e32 v5, v5, v13
	v_cmp_ne_u16_e32 vcc_lo, 0x7fff, v5
	v_cndmask_b32_e32 v5, 0xffff8000, v5, vcc_lo
	s_delay_alu instid0(VALU_DEP_1) | instskip(NEXT) | instid1(VALU_DEP_1)
	v_and_b32_e32 v5, 0xffff, v5
	v_lshrrev_b32_e32 v5, s49, v5
	s_delay_alu instid0(VALU_DEP_1) | instskip(NEXT) | instid1(VALU_DEP_1)
	v_and_b32_e32 v5, s55, v5
	v_lshl_or_b32 v5, v5, 4, v4
	ds_add_u32 v5, v94
	s_or_b32 exec_lo, exec_lo, s0
	s_delay_alu instid0(SALU_CYCLE_1)
	s_mov_b32 s0, exec_lo
	v_cmpx_lt_u32_e64 v54, v21
	s_cbranch_execnz .LBB1879_952
.LBB1879_937:                           ;   in Loop: Header=BB1879_905 Depth=2
	s_or_b32 exec_lo, exec_lo, s0
	s_delay_alu instid0(SALU_CYCLE_1)
	s_mov_b32 s0, exec_lo
	v_cmpx_lt_u32_e64 v55, v21
	s_cbranch_execz .LBB1879_953
.LBB1879_938:                           ;   in Loop: Header=BB1879_905 Depth=2
	v_cmp_lt_i16_e32 vcc_lo, -1, v11
	v_cndmask_b32_e64 v5, -1, 0xffff8000, vcc_lo
	s_delay_alu instid0(VALU_DEP_1) | instskip(NEXT) | instid1(VALU_DEP_1)
	v_xor_b32_e32 v5, v5, v11
	v_cmp_ne_u16_e32 vcc_lo, 0x7fff, v5
	v_cndmask_b32_e32 v5, 0xffff8000, v5, vcc_lo
	s_delay_alu instid0(VALU_DEP_1) | instskip(NEXT) | instid1(VALU_DEP_1)
	v_and_b32_e32 v5, 0xffff, v5
	v_lshrrev_b32_e32 v5, s49, v5
	s_delay_alu instid0(VALU_DEP_1) | instskip(NEXT) | instid1(VALU_DEP_1)
	v_and_b32_e32 v5, s55, v5
	v_lshl_or_b32 v5, v5, 4, v4
	ds_add_u32 v5, v94
	s_or_b32 exec_lo, exec_lo, s0
	s_delay_alu instid0(SALU_CYCLE_1)
	s_mov_b32 s0, exec_lo
	v_cmpx_lt_u32_e64 v56, v21
	s_cbranch_execnz .LBB1879_954
.LBB1879_939:                           ;   in Loop: Header=BB1879_905 Depth=2
	s_or_b32 exec_lo, exec_lo, s0
	s_delay_alu instid0(SALU_CYCLE_1)
	s_mov_b32 s0, exec_lo
	v_cmpx_lt_u32_e64 v57, v21
	s_cbranch_execz .LBB1879_955
.LBB1879_940:                           ;   in Loop: Header=BB1879_905 Depth=2
	v_cmp_lt_i16_e32 vcc_lo, -1, v9
	v_cndmask_b32_e64 v5, -1, 0xffff8000, vcc_lo
	s_delay_alu instid0(VALU_DEP_1) | instskip(NEXT) | instid1(VALU_DEP_1)
	v_xor_b32_e32 v5, v5, v9
	v_cmp_ne_u16_e32 vcc_lo, 0x7fff, v5
	v_cndmask_b32_e32 v5, 0xffff8000, v5, vcc_lo
	s_delay_alu instid0(VALU_DEP_1) | instskip(NEXT) | instid1(VALU_DEP_1)
	v_and_b32_e32 v5, 0xffff, v5
	v_lshrrev_b32_e32 v5, s49, v5
	s_delay_alu instid0(VALU_DEP_1) | instskip(NEXT) | instid1(VALU_DEP_1)
	v_and_b32_e32 v5, s55, v5
	v_lshl_or_b32 v5, v5, 4, v4
	ds_add_u32 v5, v94
	s_or_b32 exec_lo, exec_lo, s0
	s_delay_alu instid0(SALU_CYCLE_1)
	s_mov_b32 s0, exec_lo
	v_cmpx_lt_u32_e64 v58, v21
	s_cbranch_execnz .LBB1879_956
.LBB1879_941:                           ;   in Loop: Header=BB1879_905 Depth=2
	s_or_b32 exec_lo, exec_lo, s0
	s_delay_alu instid0(SALU_CYCLE_1)
	s_mov_b32 s0, exec_lo
	v_cmpx_lt_u32_e64 v59, v21
	s_cbranch_execz .LBB1879_957
.LBB1879_942:                           ;   in Loop: Header=BB1879_905 Depth=2
	v_cmp_lt_i16_e32 vcc_lo, -1, v7
	v_cndmask_b32_e64 v5, -1, 0xffff8000, vcc_lo
	s_delay_alu instid0(VALU_DEP_1) | instskip(NEXT) | instid1(VALU_DEP_1)
	v_xor_b32_e32 v5, v5, v7
	v_cmp_ne_u16_e32 vcc_lo, 0x7fff, v5
	v_cndmask_b32_e32 v5, 0xffff8000, v5, vcc_lo
	s_delay_alu instid0(VALU_DEP_1) | instskip(NEXT) | instid1(VALU_DEP_1)
	v_and_b32_e32 v5, 0xffff, v5
	v_lshrrev_b32_e32 v5, s49, v5
	s_delay_alu instid0(VALU_DEP_1) | instskip(NEXT) | instid1(VALU_DEP_1)
	v_and_b32_e32 v5, s55, v5
	v_lshl_or_b32 v5, v5, 4, v4
	ds_add_u32 v5, v94
	s_or_b32 exec_lo, exec_lo, s0
	s_delay_alu instid0(SALU_CYCLE_1)
	s_mov_b32 s0, exec_lo
	v_cmpx_lt_u32_e64 v60, v21
	s_cbranch_execnz .LBB1879_958
.LBB1879_943:                           ;   in Loop: Header=BB1879_905 Depth=2
	s_or_b32 exec_lo, exec_lo, s0
	s_delay_alu instid0(SALU_CYCLE_1)
	s_mov_b32 s0, exec_lo
	v_cmpx_lt_u32_e64 v61, v21
	s_cbranch_execz .LBB1879_959
.LBB1879_944:                           ;   in Loop: Header=BB1879_905 Depth=2
	v_cmp_lt_i16_e32 vcc_lo, -1, v2
	v_cndmask_b32_e64 v5, -1, 0xffff8000, vcc_lo
	s_delay_alu instid0(VALU_DEP_1) | instskip(NEXT) | instid1(VALU_DEP_1)
	v_xor_b32_e32 v5, v5, v2
	v_cmp_ne_u16_e32 vcc_lo, 0x7fff, v5
	v_cndmask_b32_e32 v5, 0xffff8000, v5, vcc_lo
	s_delay_alu instid0(VALU_DEP_1) | instskip(NEXT) | instid1(VALU_DEP_1)
	v_and_b32_e32 v5, 0xffff, v5
	v_lshrrev_b32_e32 v5, s49, v5
	s_delay_alu instid0(VALU_DEP_1) | instskip(NEXT) | instid1(VALU_DEP_1)
	v_and_b32_e32 v5, s55, v5
	v_lshl_or_b32 v5, v5, 4, v4
	ds_add_u32 v5, v94
	s_or_b32 exec_lo, exec_lo, s0
	s_delay_alu instid0(SALU_CYCLE_1)
	s_mov_b32 s0, exec_lo
	v_cmpx_lt_u32_e64 v63, v21
	s_cbranch_execz .LBB1879_904
	s_branch .LBB1879_960
.LBB1879_945:                           ;   in Loop: Header=BB1879_905 Depth=2
	s_or_b32 exec_lo, exec_lo, s0
	s_delay_alu instid0(SALU_CYCLE_1)
	s_mov_b32 s0, exec_lo
	v_cmpx_lt_u32_e64 v45, v21
	s_cbranch_execz .LBB1879_931
.LBB1879_946:                           ;   in Loop: Header=BB1879_905 Depth=2
	v_cmp_lt_i16_e32 vcc_lo, -1, v18
	v_cndmask_b32_e64 v5, -1, 0xffff8000, vcc_lo
	s_delay_alu instid0(VALU_DEP_1) | instskip(NEXT) | instid1(VALU_DEP_1)
	v_xor_b32_e32 v5, v5, v18
	v_cmp_ne_u16_e32 vcc_lo, 0x7fff, v5
	v_cndmask_b32_e32 v5, 0xffff8000, v5, vcc_lo
	s_delay_alu instid0(VALU_DEP_1) | instskip(NEXT) | instid1(VALU_DEP_1)
	v_and_b32_e32 v5, 0xffff, v5
	v_lshrrev_b32_e32 v5, s49, v5
	s_delay_alu instid0(VALU_DEP_1) | instskip(NEXT) | instid1(VALU_DEP_1)
	v_and_b32_e32 v5, s55, v5
	v_lshl_or_b32 v5, v5, 4, v4
	ds_add_u32 v5, v94
	s_or_b32 exec_lo, exec_lo, s0
	s_delay_alu instid0(SALU_CYCLE_1)
	s_mov_b32 s0, exec_lo
	v_cmpx_lt_u32_e64 v46, v21
	s_cbranch_execnz .LBB1879_932
.LBB1879_947:                           ;   in Loop: Header=BB1879_905 Depth=2
	s_or_b32 exec_lo, exec_lo, s0
	s_delay_alu instid0(SALU_CYCLE_1)
	s_mov_b32 s0, exec_lo
	v_cmpx_lt_u32_e64 v47, v21
	s_cbranch_execz .LBB1879_933
.LBB1879_948:                           ;   in Loop: Header=BB1879_905 Depth=2
	v_cmp_lt_i16_e32 vcc_lo, -1, v16
	v_cndmask_b32_e64 v5, -1, 0xffff8000, vcc_lo
	s_delay_alu instid0(VALU_DEP_1) | instskip(NEXT) | instid1(VALU_DEP_1)
	v_xor_b32_e32 v5, v5, v16
	v_cmp_ne_u16_e32 vcc_lo, 0x7fff, v5
	v_cndmask_b32_e32 v5, 0xffff8000, v5, vcc_lo
	s_delay_alu instid0(VALU_DEP_1) | instskip(NEXT) | instid1(VALU_DEP_1)
	v_and_b32_e32 v5, 0xffff, v5
	v_lshrrev_b32_e32 v5, s49, v5
	s_delay_alu instid0(VALU_DEP_1) | instskip(NEXT) | instid1(VALU_DEP_1)
	v_and_b32_e32 v5, s55, v5
	v_lshl_or_b32 v5, v5, 4, v4
	ds_add_u32 v5, v94
	s_or_b32 exec_lo, exec_lo, s0
	s_delay_alu instid0(SALU_CYCLE_1)
	s_mov_b32 s0, exec_lo
	v_cmpx_lt_u32_e64 v51, v21
	s_cbranch_execnz .LBB1879_934
.LBB1879_949:                           ;   in Loop: Header=BB1879_905 Depth=2
	s_or_b32 exec_lo, exec_lo, s0
	s_delay_alu instid0(SALU_CYCLE_1)
	s_mov_b32 s0, exec_lo
	v_cmpx_lt_u32_e64 v52, v21
	s_cbranch_execz .LBB1879_935
.LBB1879_950:                           ;   in Loop: Header=BB1879_905 Depth=2
	v_cmp_lt_i16_e32 vcc_lo, -1, v14
	v_cndmask_b32_e64 v5, -1, 0xffff8000, vcc_lo
	s_delay_alu instid0(VALU_DEP_1) | instskip(NEXT) | instid1(VALU_DEP_1)
	v_xor_b32_e32 v5, v5, v14
	v_cmp_ne_u16_e32 vcc_lo, 0x7fff, v5
	v_cndmask_b32_e32 v5, 0xffff8000, v5, vcc_lo
	s_delay_alu instid0(VALU_DEP_1) | instskip(NEXT) | instid1(VALU_DEP_1)
	v_and_b32_e32 v5, 0xffff, v5
	v_lshrrev_b32_e32 v5, s49, v5
	s_delay_alu instid0(VALU_DEP_1) | instskip(NEXT) | instid1(VALU_DEP_1)
	v_and_b32_e32 v5, s55, v5
	v_lshl_or_b32 v5, v5, 4, v4
	ds_add_u32 v5, v94
	s_or_b32 exec_lo, exec_lo, s0
	s_delay_alu instid0(SALU_CYCLE_1)
	s_mov_b32 s0, exec_lo
	v_cmpx_lt_u32_e64 v53, v21
	s_cbranch_execnz .LBB1879_936
.LBB1879_951:                           ;   in Loop: Header=BB1879_905 Depth=2
	s_or_b32 exec_lo, exec_lo, s0
	s_delay_alu instid0(SALU_CYCLE_1)
	s_mov_b32 s0, exec_lo
	v_cmpx_lt_u32_e64 v54, v21
	s_cbranch_execz .LBB1879_937
.LBB1879_952:                           ;   in Loop: Header=BB1879_905 Depth=2
	v_cmp_lt_i16_e32 vcc_lo, -1, v12
	v_cndmask_b32_e64 v5, -1, 0xffff8000, vcc_lo
	s_delay_alu instid0(VALU_DEP_1) | instskip(NEXT) | instid1(VALU_DEP_1)
	v_xor_b32_e32 v5, v5, v12
	v_cmp_ne_u16_e32 vcc_lo, 0x7fff, v5
	v_cndmask_b32_e32 v5, 0xffff8000, v5, vcc_lo
	s_delay_alu instid0(VALU_DEP_1) | instskip(NEXT) | instid1(VALU_DEP_1)
	v_and_b32_e32 v5, 0xffff, v5
	v_lshrrev_b32_e32 v5, s49, v5
	s_delay_alu instid0(VALU_DEP_1) | instskip(NEXT) | instid1(VALU_DEP_1)
	v_and_b32_e32 v5, s55, v5
	v_lshl_or_b32 v5, v5, 4, v4
	ds_add_u32 v5, v94
	s_or_b32 exec_lo, exec_lo, s0
	s_delay_alu instid0(SALU_CYCLE_1)
	s_mov_b32 s0, exec_lo
	v_cmpx_lt_u32_e64 v55, v21
	s_cbranch_execnz .LBB1879_938
.LBB1879_953:                           ;   in Loop: Header=BB1879_905 Depth=2
	s_or_b32 exec_lo, exec_lo, s0
	s_delay_alu instid0(SALU_CYCLE_1)
	s_mov_b32 s0, exec_lo
	v_cmpx_lt_u32_e64 v56, v21
	s_cbranch_execz .LBB1879_939
.LBB1879_954:                           ;   in Loop: Header=BB1879_905 Depth=2
	v_cmp_lt_i16_e32 vcc_lo, -1, v10
	v_cndmask_b32_e64 v5, -1, 0xffff8000, vcc_lo
	s_delay_alu instid0(VALU_DEP_1) | instskip(NEXT) | instid1(VALU_DEP_1)
	v_xor_b32_e32 v5, v5, v10
	v_cmp_ne_u16_e32 vcc_lo, 0x7fff, v5
	v_cndmask_b32_e32 v5, 0xffff8000, v5, vcc_lo
	s_delay_alu instid0(VALU_DEP_1) | instskip(NEXT) | instid1(VALU_DEP_1)
	v_and_b32_e32 v5, 0xffff, v5
	v_lshrrev_b32_e32 v5, s49, v5
	s_delay_alu instid0(VALU_DEP_1) | instskip(NEXT) | instid1(VALU_DEP_1)
	v_and_b32_e32 v5, s55, v5
	v_lshl_or_b32 v5, v5, 4, v4
	ds_add_u32 v5, v94
	s_or_b32 exec_lo, exec_lo, s0
	s_delay_alu instid0(SALU_CYCLE_1)
	s_mov_b32 s0, exec_lo
	v_cmpx_lt_u32_e64 v57, v21
	s_cbranch_execnz .LBB1879_940
.LBB1879_955:                           ;   in Loop: Header=BB1879_905 Depth=2
	s_or_b32 exec_lo, exec_lo, s0
	s_delay_alu instid0(SALU_CYCLE_1)
	s_mov_b32 s0, exec_lo
	v_cmpx_lt_u32_e64 v58, v21
	s_cbranch_execz .LBB1879_941
.LBB1879_956:                           ;   in Loop: Header=BB1879_905 Depth=2
	v_cmp_lt_i16_e32 vcc_lo, -1, v8
	v_cndmask_b32_e64 v5, -1, 0xffff8000, vcc_lo
	s_delay_alu instid0(VALU_DEP_1) | instskip(NEXT) | instid1(VALU_DEP_1)
	v_xor_b32_e32 v5, v5, v8
	v_cmp_ne_u16_e32 vcc_lo, 0x7fff, v5
	v_cndmask_b32_e32 v5, 0xffff8000, v5, vcc_lo
	s_delay_alu instid0(VALU_DEP_1) | instskip(NEXT) | instid1(VALU_DEP_1)
	v_and_b32_e32 v5, 0xffff, v5
	v_lshrrev_b32_e32 v5, s49, v5
	s_delay_alu instid0(VALU_DEP_1) | instskip(NEXT) | instid1(VALU_DEP_1)
	v_and_b32_e32 v5, s55, v5
	v_lshl_or_b32 v5, v5, 4, v4
	ds_add_u32 v5, v94
	s_or_b32 exec_lo, exec_lo, s0
	s_delay_alu instid0(SALU_CYCLE_1)
	s_mov_b32 s0, exec_lo
	v_cmpx_lt_u32_e64 v59, v21
	s_cbranch_execnz .LBB1879_942
.LBB1879_957:                           ;   in Loop: Header=BB1879_905 Depth=2
	s_or_b32 exec_lo, exec_lo, s0
	s_delay_alu instid0(SALU_CYCLE_1)
	s_mov_b32 s0, exec_lo
	v_cmpx_lt_u32_e64 v60, v21
	s_cbranch_execz .LBB1879_943
.LBB1879_958:                           ;   in Loop: Header=BB1879_905 Depth=2
	v_cmp_lt_i16_e32 vcc_lo, -1, v6
	v_cndmask_b32_e64 v5, -1, 0xffff8000, vcc_lo
	s_delay_alu instid0(VALU_DEP_1) | instskip(NEXT) | instid1(VALU_DEP_1)
	v_xor_b32_e32 v5, v5, v6
	v_cmp_ne_u16_e32 vcc_lo, 0x7fff, v5
	v_cndmask_b32_e32 v5, 0xffff8000, v5, vcc_lo
	s_delay_alu instid0(VALU_DEP_1) | instskip(NEXT) | instid1(VALU_DEP_1)
	v_and_b32_e32 v5, 0xffff, v5
	v_lshrrev_b32_e32 v5, s49, v5
	s_delay_alu instid0(VALU_DEP_1) | instskip(NEXT) | instid1(VALU_DEP_1)
	v_and_b32_e32 v5, s55, v5
	v_lshl_or_b32 v5, v5, 4, v4
	ds_add_u32 v5, v94
	s_or_b32 exec_lo, exec_lo, s0
	s_delay_alu instid0(SALU_CYCLE_1)
	s_mov_b32 s0, exec_lo
	v_cmpx_lt_u32_e64 v61, v21
	s_cbranch_execnz .LBB1879_944
.LBB1879_959:                           ;   in Loop: Header=BB1879_905 Depth=2
	s_or_b32 exec_lo, exec_lo, s0
	s_delay_alu instid0(SALU_CYCLE_1)
	s_mov_b32 s0, exec_lo
	v_cmpx_lt_u32_e64 v63, v21
	s_cbranch_execz .LBB1879_904
.LBB1879_960:                           ;   in Loop: Header=BB1879_905 Depth=2
	s_waitcnt vmcnt(0)
	v_cmp_lt_i16_e32 vcc_lo, -1, v20
	v_cndmask_b32_e64 v5, -1, 0xffff8000, vcc_lo
	s_delay_alu instid0(VALU_DEP_1) | instskip(NEXT) | instid1(VALU_DEP_1)
	v_xor_b32_e32 v5, v5, v20
	v_cmp_ne_u16_e32 vcc_lo, 0x7fff, v5
	v_cndmask_b32_e32 v5, 0xffff8000, v5, vcc_lo
	s_delay_alu instid0(VALU_DEP_1) | instskip(NEXT) | instid1(VALU_DEP_1)
	v_and_b32_e32 v5, 0xffff, v5
	v_lshrrev_b32_e32 v5, s49, v5
	s_delay_alu instid0(VALU_DEP_1) | instskip(NEXT) | instid1(VALU_DEP_1)
	v_and_b32_e32 v5, s55, v5
	v_lshl_or_b32 v4, v5, 4, v4
	ds_add_u32 v4, v94
	s_branch .LBB1879_904
.LBB1879_961:                           ;   in Loop: Header=BB1879_905 Depth=2
	s_or_b32 exec_lo, exec_lo, s11
	s_delay_alu instid0(SALU_CYCLE_1)
	s_mov_b32 s11, exec_lo
	v_cmpx_gt_u32_e64 s8, v45
	s_cbranch_execz .LBB1879_911
.LBB1879_962:                           ;   in Loop: Header=BB1879_905 Depth=2
	global_load_u16 v18, v95, s[0:1] offset:512
	s_or_b32 exec_lo, exec_lo, s11
	s_delay_alu instid0(SALU_CYCLE_1)
	s_mov_b32 s11, exec_lo
	v_cmpx_gt_u32_e64 s8, v46
	s_cbranch_execnz .LBB1879_912
.LBB1879_963:                           ;   in Loop: Header=BB1879_905 Depth=2
	s_or_b32 exec_lo, exec_lo, s11
	s_delay_alu instid0(SALU_CYCLE_1)
	s_mov_b32 s11, exec_lo
	v_cmpx_gt_u32_e64 s8, v47
	s_cbranch_execz .LBB1879_913
.LBB1879_964:                           ;   in Loop: Header=BB1879_905 Depth=2
	global_load_u16 v16, v95, s[0:1] offset:1536
	s_or_b32 exec_lo, exec_lo, s11
	s_delay_alu instid0(SALU_CYCLE_1)
	s_mov_b32 s11, exec_lo
	v_cmpx_gt_u32_e64 s8, v51
	s_cbranch_execnz .LBB1879_914
.LBB1879_965:                           ;   in Loop: Header=BB1879_905 Depth=2
	s_or_b32 exec_lo, exec_lo, s11
	s_delay_alu instid0(SALU_CYCLE_1)
	s_mov_b32 s11, exec_lo
	v_cmpx_gt_u32_e64 s8, v52
	s_cbranch_execz .LBB1879_915
.LBB1879_966:                           ;   in Loop: Header=BB1879_905 Depth=2
	global_load_u16 v14, v95, s[0:1] offset:2560
	s_or_b32 exec_lo, exec_lo, s11
	s_delay_alu instid0(SALU_CYCLE_1)
	s_mov_b32 s11, exec_lo
	v_cmpx_gt_u32_e64 s8, v53
	s_cbranch_execnz .LBB1879_916
.LBB1879_967:                           ;   in Loop: Header=BB1879_905 Depth=2
	s_or_b32 exec_lo, exec_lo, s11
	s_delay_alu instid0(SALU_CYCLE_1)
	s_mov_b32 s11, exec_lo
	v_cmpx_gt_u32_e64 s8, v54
	s_cbranch_execz .LBB1879_917
.LBB1879_968:                           ;   in Loop: Header=BB1879_905 Depth=2
	global_load_u16 v12, v95, s[0:1] offset:3584
	s_or_b32 exec_lo, exec_lo, s11
	s_delay_alu instid0(SALU_CYCLE_1)
	s_mov_b32 s11, exec_lo
	v_cmpx_gt_u32_e64 s8, v55
	s_cbranch_execnz .LBB1879_918
.LBB1879_969:                           ;   in Loop: Header=BB1879_905 Depth=2
	s_or_b32 exec_lo, exec_lo, s11
	s_delay_alu instid0(SALU_CYCLE_1)
	s_mov_b32 s11, exec_lo
	v_cmpx_gt_u32_e64 s8, v56
	s_cbranch_execz .LBB1879_919
.LBB1879_970:                           ;   in Loop: Header=BB1879_905 Depth=2
	global_load_u16 v10, v97, s[0:1]
	s_or_b32 exec_lo, exec_lo, s11
	s_delay_alu instid0(SALU_CYCLE_1)
	s_mov_b32 s11, exec_lo
	v_cmpx_gt_u32_e64 s8, v57
	s_cbranch_execnz .LBB1879_920
.LBB1879_971:                           ;   in Loop: Header=BB1879_905 Depth=2
	s_or_b32 exec_lo, exec_lo, s11
	s_delay_alu instid0(SALU_CYCLE_1)
	s_mov_b32 s11, exec_lo
	v_cmpx_gt_u32_e64 s8, v58
	s_cbranch_execz .LBB1879_921
.LBB1879_972:                           ;   in Loop: Header=BB1879_905 Depth=2
	global_load_u16 v8, v99, s[0:1]
	s_or_b32 exec_lo, exec_lo, s11
	s_delay_alu instid0(SALU_CYCLE_1)
	s_mov_b32 s11, exec_lo
	v_cmpx_gt_u32_e64 s8, v59
	s_cbranch_execnz .LBB1879_922
.LBB1879_973:                           ;   in Loop: Header=BB1879_905 Depth=2
	s_or_b32 exec_lo, exec_lo, s11
	s_delay_alu instid0(SALU_CYCLE_1)
	s_mov_b32 s11, exec_lo
	v_cmpx_gt_u32_e64 s8, v60
	s_cbranch_execz .LBB1879_923
.LBB1879_974:                           ;   in Loop: Header=BB1879_905 Depth=2
	global_load_u16 v6, v101, s[0:1]
	s_or_b32 exec_lo, exec_lo, s11
	s_delay_alu instid0(SALU_CYCLE_1)
	s_mov_b32 s11, exec_lo
	v_cmpx_gt_u32_e64 s8, v61
	s_cbranch_execz .LBB1879_925
	s_branch .LBB1879_924
.LBB1879_975:                           ;   in Loop: Header=BB1879_17 Depth=1
	v_mov_b32_e32 v2, 0
	s_waitcnt vmcnt(0) lgkmcnt(0)
	s_barrier
	buffer_gl0_inv
	s_and_saveexec_b32 s0, s2
	s_cbranch_execz .LBB1879_977
; %bb.976:                              ;   in Loop: Header=BB1879_17 Depth=1
	ds_load_2addr_b64 v[4:7], v64 offset1:1
	s_waitcnt lgkmcnt(0)
	v_add_nc_u32_e32 v2, v5, v4
	s_delay_alu instid0(VALU_DEP_1)
	v_add3_u32 v2, v2, v6, v7
.LBB1879_977:                           ;   in Loop: Header=BB1879_17 Depth=1
	s_or_b32 exec_lo, exec_lo, s0
	v_and_b32_e32 v4, 15, v104
	s_delay_alu instid0(VALU_DEP_2) | instskip(SKIP_1) | instid1(VALU_DEP_3)
	v_mov_b32_dpp v5, v2 row_shr:1 row_mask:0xf bank_mask:0xf
	v_and_b32_e32 v6, 16, v104
	v_cmp_eq_u32_e64 s0, 0, v4
	v_cmp_lt_u32_e64 s1, 1, v4
	v_cmp_lt_u32_e64 s8, 3, v4
	;; [unrolled: 1-line block ×3, first 2 shown]
	v_cmp_eq_u32_e64 s10, 0, v6
	v_cndmask_b32_e64 v5, v5, 0, s0
	s_delay_alu instid0(VALU_DEP_1) | instskip(NEXT) | instid1(VALU_DEP_1)
	v_add_nc_u32_e32 v2, v5, v2
	v_mov_b32_dpp v5, v2 row_shr:2 row_mask:0xf bank_mask:0xf
	s_delay_alu instid0(VALU_DEP_1) | instskip(NEXT) | instid1(VALU_DEP_1)
	v_cndmask_b32_e64 v5, 0, v5, s1
	v_add_nc_u32_e32 v2, v2, v5
	s_delay_alu instid0(VALU_DEP_1) | instskip(NEXT) | instid1(VALU_DEP_1)
	v_mov_b32_dpp v5, v2 row_shr:4 row_mask:0xf bank_mask:0xf
	v_cndmask_b32_e64 v5, 0, v5, s8
	s_delay_alu instid0(VALU_DEP_1) | instskip(NEXT) | instid1(VALU_DEP_1)
	v_add_nc_u32_e32 v2, v2, v5
	v_mov_b32_dpp v5, v2 row_shr:8 row_mask:0xf bank_mask:0xf
	s_delay_alu instid0(VALU_DEP_1) | instskip(SKIP_1) | instid1(VALU_DEP_2)
	v_cndmask_b32_e64 v4, 0, v5, s9
	v_bfe_i32 v5, v104, 4, 1
	v_add_nc_u32_e32 v2, v2, v4
	ds_swizzle_b32 v4, v2 offset:swizzle(BROADCAST,32,15)
	s_waitcnt lgkmcnt(0)
	v_and_b32_e32 v4, v5, v4
	s_delay_alu instid0(VALU_DEP_1)
	v_add_nc_u32_e32 v4, v2, v4
	s_and_saveexec_b32 s11, s3
	s_cbranch_execz .LBB1879_979
; %bb.978:                              ;   in Loop: Header=BB1879_17 Depth=1
	ds_store_b32 v65, v4
.LBB1879_979:                           ;   in Loop: Header=BB1879_17 Depth=1
	s_or_b32 exec_lo, exec_lo, s11
	v_and_b32_e32 v2, 7, v104
	s_waitcnt lgkmcnt(0)
	s_barrier
	buffer_gl0_inv
	s_and_saveexec_b32 s11, s4
	s_cbranch_execz .LBB1879_981
; %bb.980:                              ;   in Loop: Header=BB1879_17 Depth=1
	ds_load_b32 v5, v66
	v_cmp_ne_u32_e32 vcc_lo, 0, v2
	s_waitcnt lgkmcnt(0)
	v_mov_b32_dpp v6, v5 row_shr:1 row_mask:0xf bank_mask:0xf
	s_delay_alu instid0(VALU_DEP_1) | instskip(SKIP_1) | instid1(VALU_DEP_2)
	v_cndmask_b32_e32 v6, 0, v6, vcc_lo
	v_cmp_lt_u32_e32 vcc_lo, 1, v2
	v_add_nc_u32_e32 v5, v6, v5
	s_delay_alu instid0(VALU_DEP_1) | instskip(NEXT) | instid1(VALU_DEP_1)
	v_mov_b32_dpp v6, v5 row_shr:2 row_mask:0xf bank_mask:0xf
	v_cndmask_b32_e32 v6, 0, v6, vcc_lo
	v_cmp_lt_u32_e32 vcc_lo, 3, v2
	s_delay_alu instid0(VALU_DEP_2) | instskip(NEXT) | instid1(VALU_DEP_1)
	v_add_nc_u32_e32 v5, v5, v6
	v_mov_b32_dpp v6, v5 row_shr:4 row_mask:0xf bank_mask:0xf
	s_delay_alu instid0(VALU_DEP_1) | instskip(NEXT) | instid1(VALU_DEP_1)
	v_cndmask_b32_e32 v6, 0, v6, vcc_lo
	v_add_nc_u32_e32 v5, v5, v6
	ds_store_b32 v66, v5
.LBB1879_981:                           ;   in Loop: Header=BB1879_17 Depth=1
	s_or_b32 exec_lo, exec_lo, s11
	v_mov_b32_e32 v5, 0
	s_waitcnt lgkmcnt(0)
	s_barrier
	buffer_gl0_inv
	s_and_saveexec_b32 s11, s5
	s_cbranch_execz .LBB1879_983
; %bb.982:                              ;   in Loop: Header=BB1879_17 Depth=1
	ds_load_b32 v5, v67
.LBB1879_983:                           ;   in Loop: Header=BB1879_17 Depth=1
	s_or_b32 exec_lo, exec_lo, s11
	v_add_nc_u32_e32 v6, -1, v104
	s_waitcnt lgkmcnt(0)
	v_add_nc_u32_e32 v4, v5, v4
	v_cmp_eq_u32_e64 s11, 0, v104
	s_barrier
	v_cmp_gt_i32_e32 vcc_lo, 0, v6
	buffer_gl0_inv
	v_cndmask_b32_e32 v6, v6, v104, vcc_lo
	s_delay_alu instid0(VALU_DEP_1)
	v_lshlrev_b32_e32 v105, 2, v6
	ds_bpermute_b32 v4, v105, v4
	s_and_saveexec_b32 s12, s2
	s_cbranch_execz .LBB1879_985
; %bb.984:                              ;   in Loop: Header=BB1879_17 Depth=1
	s_waitcnt lgkmcnt(0)
	v_cndmask_b32_e64 v4, v4, v5, s11
	s_delay_alu instid0(VALU_DEP_1)
	v_add_nc_u32_e32 v4, s52, v4
	ds_store_b32 v44, v4
.LBB1879_985:                           ;   in Loop: Header=BB1879_17 Depth=1
	s_or_b32 exec_lo, exec_lo, s12
	s_load_b64 s[12:13], s[42:43], 0x0
	v_lshlrev_b32_e32 v5, 3, v104
	v_or_b32_e32 v106, v104, v68
	s_mov_b32 s56, s54
	s_mov_b32 s34, s52
                                        ; implicit-def: $vgpr8_vgpr9
                                        ; implicit-def: $vgpr10_vgpr11
                                        ; implicit-def: $vgpr12_vgpr13
                                        ; implicit-def: $vgpr14_vgpr15
                                        ; implicit-def: $vgpr16_vgpr17
                                        ; implicit-def: $vgpr18_vgpr19
                                        ; implicit-def: $vgpr20_vgpr21
                                        ; implicit-def: $vgpr22_vgpr23
                                        ; implicit-def: $vgpr24_vgpr25
                                        ; implicit-def: $vgpr26_vgpr27
                                        ; implicit-def: $vgpr28_vgpr29
                                        ; implicit-def: $vgpr30_vgpr31
                                        ; implicit-def: $vgpr32_vgpr33
                                        ; implicit-def: $vgpr34_vgpr35
                                        ; implicit-def: $vgpr129
                                        ; implicit-def: $vgpr130
                                        ; implicit-def: $vgpr131
                                        ; implicit-def: $vgpr132
                                        ; implicit-def: $vgpr133
                                        ; implicit-def: $vgpr134
                                        ; implicit-def: $vgpr135
                                        ; implicit-def: $vgpr136
                                        ; implicit-def: $vgpr137
                                        ; implicit-def: $vgpr138
                                        ; implicit-def: $vgpr139
                                        ; implicit-def: $vgpr140
                                        ; implicit-def: $vgpr141
                                        ; implicit-def: $vgpr142
                                        ; implicit-def: $vgpr143
                                        ; implicit-def: $vgpr144
	s_delay_alu instid0(VALU_DEP_2)
	v_add_co_u32 v107, vcc_lo, v90, v5
	v_add_co_ci_u32_e32 v108, vcc_lo, 0, v91, vcc_lo
	v_or_b32_e32 v109, 32, v106
	v_or_b32_e32 v110, 64, v106
	;; [unrolled: 1-line block ×10, first 2 shown]
	s_waitcnt lgkmcnt(0)
	s_cmp_lt_u32 s15, s13
	v_or_b32_e32 v119, 0x160, v106
	s_cselect_b32 s13, 14, 20
	v_or_b32_e32 v120, 0x180, v106
	s_add_u32 s16, s42, s13
	s_addc_u32 s17, s43, 0
	s_cmp_lt_u32 s14, s12
	global_load_u16 v4, v3, s[16:17]
	s_cselect_b32 s12, 12, 18
	v_or_b32_e32 v121, 0x1a0, v106
	s_add_u32 s12, s42, s12
	s_addc_u32 s13, s43, 0
	v_or_b32_e32 v122, 0x1c0, v106
	global_load_u16 v6, v3, s[12:13]
	v_cmp_eq_u32_e64 s12, 0, v2
	v_cmp_lt_u32_e64 s13, 1, v2
	v_cmp_lt_u32_e64 s16, 3, v2
	v_lshlrev_b32_e32 v2, 1, v104
	v_or_b32_e32 v123, 0x1e0, v106
	s_delay_alu instid0(VALU_DEP_2) | instskip(SKIP_1) | instid1(VALU_DEP_2)
	v_add_co_u32 v124, vcc_lo, v92, v2
	v_add_co_ci_u32_e32 v125, vcc_lo, 0, v93, vcc_lo
	v_add_co_u32 v127, vcc_lo, 0x3c0, v124
	s_delay_alu instid0(VALU_DEP_2) | instskip(SKIP_3) | instid1(VALU_DEP_1)
	v_add_co_ci_u32_e32 v128, vcc_lo, 0, v125, vcc_lo
	s_waitcnt vmcnt(1)
	v_mad_u32_u24 v7, v70, v4, v0
	s_waitcnt vmcnt(0)
	v_mad_u64_u32 v[4:5], null, v7, v6, v[1:2]
                                        ; implicit-def: $vgpr6_vgpr7
	s_delay_alu instid0(VALU_DEP_1)
	v_lshrrev_b32_e32 v126, 5, v4
                                        ; implicit-def: $vgpr4_vgpr5
	s_branch .LBB1879_987
.LBB1879_986:                           ;   in Loop: Header=BB1879_987 Depth=2
	s_or_b32 exec_lo, exec_lo, s17
	s_addk_i32 s56, 0xf000
	s_cmp_lt_u32 s57, s53
	s_mov_b32 s34, s57
	s_cbranch_scc0 .LBB1879_15
.LBB1879_987:                           ;   Parent Loop BB1879_17 Depth=1
                                        ; =>  This Inner Loop Header: Depth=2
	s_add_i32 s57, s34, 0x1000
	s_delay_alu instid0(SALU_CYCLE_1)
	s_cmp_gt_u32 s57, s53
	s_cbranch_scc1 .LBB1879_990
; %bb.988:                              ;   in Loop: Header=BB1879_987 Depth=2
	s_mov_b32 s19, 0
	s_mov_b32 s18, s34
	s_movk_i32 s17, 0x1000
	s_lshl_b64 s[20:21], s[18:19], 1
	s_delay_alu instid0(SALU_CYCLE_1)
	v_add_co_u32 v36, vcc_lo, v124, s20
	v_add_co_ci_u32_e32 v37, vcc_lo, s21, v125, vcc_lo
	s_mov_b32 s20, -1
	s_clause 0xe
	global_load_u16 v2, v[36:37], off
	global_load_u16 v147, v[36:37], off offset:64
	global_load_u16 v149, v[36:37], off offset:128
	;; [unrolled: 1-line block ×14, first 2 shown]
	s_cbranch_execz .LBB1879_991
; %bb.989:                              ;   in Loop: Header=BB1879_987 Depth=2
                                        ; implicit-def: $sgpr21
	v_dual_mov_b32 v36, s21 :: v_dual_mov_b32 v145, s56
	s_and_saveexec_b32 s21, s20
	s_cbranch_execnz .LBB1879_1022
	s_branch .LBB1879_1023
.LBB1879_990:                           ;   in Loop: Header=BB1879_987 Depth=2
	s_mov_b32 s19, -1
	s_mov_b32 s20, 0
                                        ; implicit-def: $sgpr17
                                        ; implicit-def: $vgpr2
                                        ; implicit-def: $vgpr147
                                        ; implicit-def: $vgpr149
                                        ; implicit-def: $vgpr153
                                        ; implicit-def: $vgpr157
                                        ; implicit-def: $vgpr161
                                        ; implicit-def: $vgpr165
                                        ; implicit-def: $vgpr170
                                        ; implicit-def: $vgpr169
                                        ; implicit-def: $vgpr43
                                        ; implicit-def: $vgpr42
                                        ; implicit-def: $vgpr41
                                        ; implicit-def: $vgpr40
                                        ; implicit-def: $vgpr39
                                        ; implicit-def: $vgpr38
.LBB1879_991:                           ;   in Loop: Header=BB1879_987 Depth=2
	s_lshl_b64 s[18:19], s[34:35], 1
	s_waitcnt vmcnt(13)
	v_dual_mov_b32 v147, 0x7fff :: v_dual_mov_b32 v2, 0x7fff
	v_add_co_u32 v36, vcc_lo, v124, s18
	v_add_co_ci_u32_e32 v37, vcc_lo, s19, v125, vcc_lo
	s_mov_b32 s17, exec_lo
	v_cmpx_gt_u32_e64 s56, v106
	s_cbranch_execz .LBB1879_993
; %bb.992:                              ;   in Loop: Header=BB1879_987 Depth=2
	global_load_u16 v2, v[36:37], off
.LBB1879_993:                           ;   in Loop: Header=BB1879_987 Depth=2
	s_or_b32 exec_lo, exec_lo, s17
	s_delay_alu instid0(SALU_CYCLE_1)
	s_mov_b32 s17, exec_lo
	v_cmpx_gt_u32_e64 s56, v109
	s_cbranch_execz .LBB1879_995
; %bb.994:                              ;   in Loop: Header=BB1879_987 Depth=2
	global_load_u16 v147, v[36:37], off offset:64
.LBB1879_995:                           ;   in Loop: Header=BB1879_987 Depth=2
	s_or_b32 exec_lo, exec_lo, s17
	s_waitcnt vmcnt(11)
	v_mov_b32_e32 v153, 0x7fff
	v_mov_b32_e32 v149, 0x7fff
	s_mov_b32 s17, exec_lo
	v_cmpx_gt_u32_e64 s56, v110
	s_cbranch_execz .LBB1879_997
; %bb.996:                              ;   in Loop: Header=BB1879_987 Depth=2
	global_load_u16 v149, v[36:37], off offset:128
.LBB1879_997:                           ;   in Loop: Header=BB1879_987 Depth=2
	s_or_b32 exec_lo, exec_lo, s17
	s_delay_alu instid0(SALU_CYCLE_1)
	s_mov_b32 s17, exec_lo
	v_cmpx_gt_u32_e64 s56, v111
	s_cbranch_execz .LBB1879_999
; %bb.998:                              ;   in Loop: Header=BB1879_987 Depth=2
	global_load_u16 v153, v[36:37], off offset:192
.LBB1879_999:                           ;   in Loop: Header=BB1879_987 Depth=2
	s_or_b32 exec_lo, exec_lo, s17
	s_waitcnt vmcnt(9)
	v_mov_b32_e32 v161, 0x7fff
	v_mov_b32_e32 v157, 0x7fff
	s_mov_b32 s17, exec_lo
	v_cmpx_gt_u32_e64 s56, v112
	s_cbranch_execz .LBB1879_1001
; %bb.1000:                             ;   in Loop: Header=BB1879_987 Depth=2
	global_load_u16 v157, v[36:37], off offset:256
.LBB1879_1001:                          ;   in Loop: Header=BB1879_987 Depth=2
	s_or_b32 exec_lo, exec_lo, s17
	s_delay_alu instid0(SALU_CYCLE_1)
	s_mov_b32 s17, exec_lo
	v_cmpx_gt_u32_e64 s56, v113
	s_cbranch_execz .LBB1879_1003
; %bb.1002:                             ;   in Loop: Header=BB1879_987 Depth=2
	global_load_u16 v161, v[36:37], off offset:320
.LBB1879_1003:                          ;   in Loop: Header=BB1879_987 Depth=2
	s_or_b32 exec_lo, exec_lo, s17
	s_waitcnt vmcnt(7)
	v_dual_mov_b32 v170, 0x7fff :: v_dual_mov_b32 v165, 0x7fff
	s_mov_b32 s17, exec_lo
	v_cmpx_gt_u32_e64 s56, v114
	s_cbranch_execz .LBB1879_1005
; %bb.1004:                             ;   in Loop: Header=BB1879_987 Depth=2
	global_load_u16 v165, v[36:37], off offset:384
.LBB1879_1005:                          ;   in Loop: Header=BB1879_987 Depth=2
	s_or_b32 exec_lo, exec_lo, s17
	s_delay_alu instid0(SALU_CYCLE_1)
	s_mov_b32 s17, exec_lo
	v_cmpx_gt_u32_e64 s56, v115
	s_cbranch_execz .LBB1879_1007
; %bb.1006:                             ;   in Loop: Header=BB1879_987 Depth=2
	global_load_u16 v170, v[36:37], off offset:448
.LBB1879_1007:                          ;   in Loop: Header=BB1879_987 Depth=2
	s_or_b32 exec_lo, exec_lo, s17
	s_waitcnt vmcnt(5)
	v_mov_b32_e32 v43, 0x7fff
	v_mov_b32_e32 v169, 0x7fff
	s_mov_b32 s17, exec_lo
	v_cmpx_gt_u32_e64 s56, v116
	s_cbranch_execz .LBB1879_1009
; %bb.1008:                             ;   in Loop: Header=BB1879_987 Depth=2
	global_load_u16 v169, v[36:37], off offset:512
.LBB1879_1009:                          ;   in Loop: Header=BB1879_987 Depth=2
	s_or_b32 exec_lo, exec_lo, s17
	s_delay_alu instid0(SALU_CYCLE_1)
	s_mov_b32 s17, exec_lo
	v_cmpx_gt_u32_e64 s56, v117
	s_cbranch_execz .LBB1879_1011
; %bb.1010:                             ;   in Loop: Header=BB1879_987 Depth=2
	global_load_u16 v43, v[36:37], off offset:576
.LBB1879_1011:                          ;   in Loop: Header=BB1879_987 Depth=2
	s_or_b32 exec_lo, exec_lo, s17
	s_waitcnt vmcnt(3)
	v_dual_mov_b32 v41, 0x7fff :: v_dual_mov_b32 v42, 0x7fff
	s_mov_b32 s17, exec_lo
	v_cmpx_gt_u32_e64 s56, v118
	s_cbranch_execz .LBB1879_1013
; %bb.1012:                             ;   in Loop: Header=BB1879_987 Depth=2
	global_load_u16 v42, v[36:37], off offset:640
.LBB1879_1013:                          ;   in Loop: Header=BB1879_987 Depth=2
	s_or_b32 exec_lo, exec_lo, s17
	s_delay_alu instid0(SALU_CYCLE_1)
	s_mov_b32 s17, exec_lo
	v_cmpx_gt_u32_e64 s56, v119
	s_cbranch_execz .LBB1879_1015
; %bb.1014:                             ;   in Loop: Header=BB1879_987 Depth=2
	global_load_u16 v41, v[36:37], off offset:704
.LBB1879_1015:                          ;   in Loop: Header=BB1879_987 Depth=2
	s_or_b32 exec_lo, exec_lo, s17
	s_waitcnt vmcnt(1)
	v_dual_mov_b32 v39, 0x7fff :: v_dual_mov_b32 v40, 0x7fff
	s_mov_b32 s17, exec_lo
	v_cmpx_gt_u32_e64 s56, v120
	s_cbranch_execz .LBB1879_1017
; %bb.1016:                             ;   in Loop: Header=BB1879_987 Depth=2
	global_load_u16 v40, v[36:37], off offset:768
.LBB1879_1017:                          ;   in Loop: Header=BB1879_987 Depth=2
	s_or_b32 exec_lo, exec_lo, s17
	s_delay_alu instid0(SALU_CYCLE_1)
	s_mov_b32 s17, exec_lo
	v_cmpx_gt_u32_e64 s56, v121
	s_cbranch_execz .LBB1879_1019
; %bb.1018:                             ;   in Loop: Header=BB1879_987 Depth=2
	global_load_u16 v39, v[36:37], off offset:832
.LBB1879_1019:                          ;   in Loop: Header=BB1879_987 Depth=2
	s_or_b32 exec_lo, exec_lo, s17
	s_waitcnt vmcnt(0)
	v_mov_b32_e32 v38, 0x7fff
	s_mov_b32 s17, exec_lo
	v_cmpx_gt_u32_e64 s56, v122
	s_cbranch_execz .LBB1879_1021
; %bb.1020:                             ;   in Loop: Header=BB1879_987 Depth=2
	global_load_u16 v38, v[36:37], off offset:896
.LBB1879_1021:                          ;   in Loop: Header=BB1879_987 Depth=2
	s_or_b32 exec_lo, exec_lo, s17
	v_cmp_gt_u32_e64 s20, s56, v123
	s_sub_i32 s17, s53, s34
	s_movk_i32 s21, 0x7fff
	s_mov_b64 s[18:19], s[34:35]
	v_dual_mov_b32 v36, s21 :: v_dual_mov_b32 v145, s56
	s_and_saveexec_b32 s21, s20
	s_cbranch_execz .LBB1879_1023
.LBB1879_1022:                          ;   in Loop: Header=BB1879_987 Depth=2
	s_lshl_b64 s[18:19], s[18:19], 1
	v_mov_b32_e32 v145, s17
	v_add_co_u32 v36, vcc_lo, v127, s18
	v_add_co_ci_u32_e32 v37, vcc_lo, s19, v128, vcc_lo
	global_load_u16 v36, v[36:37], off
.LBB1879_1023:                          ;   in Loop: Header=BB1879_987 Depth=2
	s_or_b32 exec_lo, exec_lo, s21
	s_waitcnt vmcnt(14)
	v_cmp_lt_i16_e32 vcc_lo, -1, v2
	ds_store_b32 v69, v3 offset:1056
	ds_store_2addr_b32 v71, v3, v3 offset0:1 offset1:2
	ds_store_2addr_b32 v71, v3, v3 offset0:3 offset1:4
	;; [unrolled: 1-line block ×4, first 2 shown]
	s_waitcnt vmcnt(0) lgkmcnt(0)
	s_barrier
	v_cndmask_b32_e64 v37, -1, 0xffff8000, vcc_lo
	buffer_gl0_inv
	; wave barrier
	v_xor_b32_e32 v2, v37, v2
	s_delay_alu instid0(VALU_DEP_1) | instskip(SKIP_1) | instid1(VALU_DEP_1)
	v_cmp_ne_u16_e32 vcc_lo, 0x7fff, v2
	v_cndmask_b32_e32 v37, 0xffff8000, v2, vcc_lo
	v_and_b32_e32 v37, 0xffff, v37
	s_delay_alu instid0(VALU_DEP_1) | instskip(NEXT) | instid1(VALU_DEP_1)
	v_lshrrev_b32_e32 v37, s49, v37
	v_and_b32_e32 v148, s55, v37
	s_delay_alu instid0(VALU_DEP_1)
	v_lshlrev_b32_e32 v146, 30, v148
	v_and_b32_e32 v37, 1, v148
	v_lshlrev_b32_e32 v150, 29, v148
	v_lshlrev_b32_e32 v151, 28, v148
	;; [unrolled: 1-line block ×3, first 2 shown]
	v_not_b32_e32 v158, v146
	v_add_co_u32 v37, s17, v37, -1
	s_delay_alu instid0(VALU_DEP_1)
	v_cndmask_b32_e64 v152, 0, 1, s17
	v_cmp_gt_i32_e64 s17, 0, v146
	v_not_b32_e32 v146, v150
	v_ashrrev_i32_e32 v158, 31, v158
	v_lshlrev_b32_e32 v155, 26, v148
	v_cmp_ne_u32_e32 vcc_lo, 0, v152
	v_lshlrev_b32_e32 v156, 25, v148
	v_ashrrev_i32_e32 v146, 31, v146
	v_xor_b32_e32 v158, s17, v158
	v_cmp_gt_i32_e64 s17, 0, v151
	v_xor_b32_e32 v37, vcc_lo, v37
	v_cmp_gt_i32_e32 vcc_lo, 0, v150
	v_not_b32_e32 v150, v151
	v_not_b32_e32 v151, v154
	v_lshlrev_b32_e32 v152, 24, v148
	v_and_b32_e32 v37, exec_lo, v37
	v_xor_b32_e32 v146, vcc_lo, v146
	v_ashrrev_i32_e32 v150, 31, v150
	v_cmp_gt_i32_e32 vcc_lo, 0, v154
	v_not_b32_e32 v154, v155
	v_and_b32_e32 v37, v37, v158
	v_ashrrev_i32_e32 v151, 31, v151
	v_xor_b32_e32 v150, s17, v150
	v_cmp_gt_i32_e64 s17, 0, v155
	v_ashrrev_i32_e32 v154, 31, v154
	v_and_b32_e32 v37, v37, v146
	v_not_b32_e32 v146, v156
	v_xor_b32_e32 v151, vcc_lo, v151
	v_cmp_gt_i32_e32 vcc_lo, 0, v156
	v_xor_b32_e32 v154, s17, v154
	v_and_b32_e32 v37, v37, v150
	v_not_b32_e32 v150, v152
	v_ashrrev_i32_e32 v146, 31, v146
	v_cmp_gt_i32_e64 s17, 0, v152
	v_mad_u32_u24 v148, v148, 9, v126
	v_and_b32_e32 v37, v37, v151
	v_ashrrev_i32_e32 v150, 31, v150
	v_xor_b32_e32 v146, vcc_lo, v146
	s_delay_alu instid0(VALU_DEP_4) | instskip(NEXT) | instid1(VALU_DEP_4)
	v_lshl_add_u32 v148, v148, 2, 0x420
	v_and_b32_e32 v37, v37, v154
	s_delay_alu instid0(VALU_DEP_4) | instskip(NEXT) | instid1(VALU_DEP_2)
	v_xor_b32_e32 v150, s17, v150
	v_and_b32_e32 v37, v37, v146
	s_delay_alu instid0(VALU_DEP_1) | instskip(NEXT) | instid1(VALU_DEP_1)
	v_and_b32_e32 v37, v37, v150
	v_mbcnt_lo_u32_b32 v146, v37, 0
	v_cmp_ne_u32_e64 s17, 0, v37
	s_delay_alu instid0(VALU_DEP_2) | instskip(NEXT) | instid1(VALU_DEP_2)
	v_cmp_eq_u32_e32 vcc_lo, 0, v146
	s_and_b32 s18, s17, vcc_lo
	s_delay_alu instid0(SALU_CYCLE_1)
	s_and_saveexec_b32 s17, s18
	s_cbranch_execz .LBB1879_1025
; %bb.1024:                             ;   in Loop: Header=BB1879_987 Depth=2
	v_bcnt_u32_b32 v37, v37, 0
	ds_store_b32 v148, v37
.LBB1879_1025:                          ;   in Loop: Header=BB1879_987 Depth=2
	s_or_b32 exec_lo, exec_lo, s17
	v_cmp_lt_i16_e64 vcc_lo, -1, v147
	; wave barrier
	s_delay_alu instid0(VALU_DEP_1) | instskip(NEXT) | instid1(VALU_DEP_1)
	v_cndmask_b32_e64 v37, -1, 0xffff8000, vcc_lo
	v_xor_b32_e32 v147, v37, v147
	s_delay_alu instid0(VALU_DEP_1) | instskip(SKIP_1) | instid1(VALU_DEP_1)
	v_cmp_ne_u16_e64 vcc_lo, 0x7fff, v147
	v_cndmask_b32_e32 v37, 0xffff8000, v147, vcc_lo
	v_and_b32_e32 v37, 0xffff, v37
	s_delay_alu instid0(VALU_DEP_1) | instskip(NEXT) | instid1(VALU_DEP_1)
	v_lshrrev_b32_e32 v37, s49, v37
	v_and_b32_e32 v37, s55, v37
	s_delay_alu instid0(VALU_DEP_1)
	v_and_b32_e32 v150, 1, v37
	v_lshlrev_b32_e32 v151, 30, v37
	v_lshlrev_b32_e32 v152, 29, v37
	;; [unrolled: 1-line block ×4, first 2 shown]
	v_add_co_u32 v150, s17, v150, -1
	s_delay_alu instid0(VALU_DEP_1)
	v_cndmask_b32_e64 v155, 0, 1, s17
	v_not_b32_e32 v160, v151
	v_cmp_gt_i32_e64 s17, 0, v151
	v_not_b32_e32 v151, v152
	v_lshlrev_b32_e32 v158, 26, v37
	v_cmp_ne_u32_e32 vcc_lo, 0, v155
	v_ashrrev_i32_e32 v160, 31, v160
	v_lshlrev_b32_e32 v159, 25, v37
	v_ashrrev_i32_e32 v151, 31, v151
	v_lshlrev_b32_e32 v155, 24, v37
	v_xor_b32_e32 v150, vcc_lo, v150
	v_cmp_gt_i32_e32 vcc_lo, 0, v152
	v_not_b32_e32 v152, v154
	v_xor_b32_e32 v160, s17, v160
	v_cmp_gt_i32_e64 s17, 0, v154
	v_and_b32_e32 v150, exec_lo, v150
	v_not_b32_e32 v154, v156
	v_ashrrev_i32_e32 v152, 31, v152
	v_xor_b32_e32 v151, vcc_lo, v151
	v_cmp_gt_i32_e32 vcc_lo, 0, v156
	v_and_b32_e32 v150, v150, v160
	v_not_b32_e32 v156, v158
	v_ashrrev_i32_e32 v154, 31, v154
	v_xor_b32_e32 v152, s17, v152
	v_cmp_gt_i32_e64 s17, 0, v158
	v_and_b32_e32 v150, v150, v151
	v_not_b32_e32 v151, v159
	v_ashrrev_i32_e32 v156, 31, v156
	v_xor_b32_e32 v154, vcc_lo, v154
	v_cmp_gt_i32_e32 vcc_lo, 0, v159
	v_and_b32_e32 v150, v150, v152
	v_not_b32_e32 v152, v155
	v_ashrrev_i32_e32 v151, 31, v151
	v_xor_b32_e32 v156, s17, v156
	v_mul_u32_u24_e32 v37, 9, v37
	v_and_b32_e32 v150, v150, v154
	v_cmp_gt_i32_e64 s17, 0, v155
	v_ashrrev_i32_e32 v152, 31, v152
	v_xor_b32_e32 v151, vcc_lo, v151
	v_add_lshl_u32 v154, v37, v126, 2
	v_and_b32_e32 v150, v150, v156
	s_delay_alu instid0(VALU_DEP_4) | instskip(NEXT) | instid1(VALU_DEP_3)
	v_xor_b32_e32 v37, s17, v152
	v_add_nc_u32_e32 v152, 0x420, v154
	s_delay_alu instid0(VALU_DEP_3) | instskip(SKIP_2) | instid1(VALU_DEP_1)
	v_and_b32_e32 v151, v150, v151
	ds_load_b32 v150, v154 offset:1056
	; wave barrier
	v_and_b32_e32 v37, v151, v37
	v_mbcnt_lo_u32_b32 v151, v37, 0
	v_cmp_ne_u32_e64 s17, 0, v37
	s_delay_alu instid0(VALU_DEP_2) | instskip(NEXT) | instid1(VALU_DEP_2)
	v_cmp_eq_u32_e32 vcc_lo, 0, v151
	s_and_b32 s18, s17, vcc_lo
	s_delay_alu instid0(SALU_CYCLE_1)
	s_and_saveexec_b32 s17, s18
	s_cbranch_execz .LBB1879_1027
; %bb.1026:                             ;   in Loop: Header=BB1879_987 Depth=2
	s_waitcnt lgkmcnt(0)
	v_bcnt_u32_b32 v37, v37, v150
	ds_store_b32 v152, v37
.LBB1879_1027:                          ;   in Loop: Header=BB1879_987 Depth=2
	s_or_b32 exec_lo, exec_lo, s17
	v_cmp_lt_i16_e64 vcc_lo, -1, v149
	; wave barrier
	s_delay_alu instid0(VALU_DEP_1) | instskip(NEXT) | instid1(VALU_DEP_1)
	v_cndmask_b32_e64 v37, -1, 0xffff8000, vcc_lo
	v_xor_b32_e32 v149, v37, v149
	s_delay_alu instid0(VALU_DEP_1) | instskip(SKIP_1) | instid1(VALU_DEP_1)
	v_cmp_ne_u16_e64 vcc_lo, 0x7fff, v149
	v_cndmask_b32_e32 v37, 0xffff8000, v149, vcc_lo
	v_and_b32_e32 v37, 0xffff, v37
	s_delay_alu instid0(VALU_DEP_1) | instskip(NEXT) | instid1(VALU_DEP_1)
	v_lshrrev_b32_e32 v37, s49, v37
	v_and_b32_e32 v37, s55, v37
	s_delay_alu instid0(VALU_DEP_1)
	v_and_b32_e32 v154, 1, v37
	v_lshlrev_b32_e32 v155, 30, v37
	v_lshlrev_b32_e32 v156, 29, v37
	;; [unrolled: 1-line block ×4, first 2 shown]
	v_add_co_u32 v154, s17, v154, -1
	s_delay_alu instid0(VALU_DEP_1)
	v_cndmask_b32_e64 v159, 0, 1, s17
	v_not_b32_e32 v164, v155
	v_cmp_gt_i32_e64 s17, 0, v155
	v_not_b32_e32 v155, v156
	v_lshlrev_b32_e32 v162, 26, v37
	v_cmp_ne_u32_e32 vcc_lo, 0, v159
	v_ashrrev_i32_e32 v164, 31, v164
	v_lshlrev_b32_e32 v163, 25, v37
	v_ashrrev_i32_e32 v155, 31, v155
	v_lshlrev_b32_e32 v159, 24, v37
	v_xor_b32_e32 v154, vcc_lo, v154
	v_cmp_gt_i32_e32 vcc_lo, 0, v156
	v_not_b32_e32 v156, v158
	v_xor_b32_e32 v164, s17, v164
	v_cmp_gt_i32_e64 s17, 0, v158
	v_and_b32_e32 v154, exec_lo, v154
	v_not_b32_e32 v158, v160
	v_ashrrev_i32_e32 v156, 31, v156
	v_xor_b32_e32 v155, vcc_lo, v155
	v_cmp_gt_i32_e32 vcc_lo, 0, v160
	v_and_b32_e32 v154, v154, v164
	v_not_b32_e32 v160, v162
	v_ashrrev_i32_e32 v158, 31, v158
	v_xor_b32_e32 v156, s17, v156
	v_cmp_gt_i32_e64 s17, 0, v162
	v_and_b32_e32 v154, v154, v155
	v_not_b32_e32 v155, v163
	v_ashrrev_i32_e32 v160, 31, v160
	v_xor_b32_e32 v158, vcc_lo, v158
	v_cmp_gt_i32_e32 vcc_lo, 0, v163
	v_and_b32_e32 v154, v154, v156
	v_not_b32_e32 v156, v159
	v_ashrrev_i32_e32 v155, 31, v155
	v_xor_b32_e32 v160, s17, v160
	v_mul_u32_u24_e32 v37, 9, v37
	v_and_b32_e32 v154, v154, v158
	v_cmp_gt_i32_e64 s17, 0, v159
	v_ashrrev_i32_e32 v156, 31, v156
	v_xor_b32_e32 v155, vcc_lo, v155
	v_add_lshl_u32 v158, v37, v126, 2
	v_and_b32_e32 v154, v154, v160
	s_delay_alu instid0(VALU_DEP_4) | instskip(NEXT) | instid1(VALU_DEP_3)
	v_xor_b32_e32 v37, s17, v156
	v_add_nc_u32_e32 v156, 0x420, v158
	s_delay_alu instid0(VALU_DEP_3) | instskip(SKIP_2) | instid1(VALU_DEP_1)
	v_and_b32_e32 v155, v154, v155
	ds_load_b32 v154, v158 offset:1056
	; wave barrier
	v_and_b32_e32 v37, v155, v37
	v_mbcnt_lo_u32_b32 v155, v37, 0
	v_cmp_ne_u32_e64 s17, 0, v37
	s_delay_alu instid0(VALU_DEP_2) | instskip(NEXT) | instid1(VALU_DEP_2)
	v_cmp_eq_u32_e32 vcc_lo, 0, v155
	s_and_b32 s18, s17, vcc_lo
	s_delay_alu instid0(SALU_CYCLE_1)
	s_and_saveexec_b32 s17, s18
	s_cbranch_execz .LBB1879_1029
; %bb.1028:                             ;   in Loop: Header=BB1879_987 Depth=2
	s_waitcnt lgkmcnt(0)
	v_bcnt_u32_b32 v37, v37, v154
	ds_store_b32 v156, v37
.LBB1879_1029:                          ;   in Loop: Header=BB1879_987 Depth=2
	s_or_b32 exec_lo, exec_lo, s17
	v_cmp_lt_i16_e64 vcc_lo, -1, v153
	; wave barrier
	s_delay_alu instid0(VALU_DEP_1) | instskip(NEXT) | instid1(VALU_DEP_1)
	v_cndmask_b32_e64 v37, -1, 0xffff8000, vcc_lo
	v_xor_b32_e32 v153, v37, v153
	s_delay_alu instid0(VALU_DEP_1) | instskip(SKIP_1) | instid1(VALU_DEP_1)
	v_cmp_ne_u16_e64 vcc_lo, 0x7fff, v153
	v_cndmask_b32_e32 v37, 0xffff8000, v153, vcc_lo
	v_and_b32_e32 v37, 0xffff, v37
	s_delay_alu instid0(VALU_DEP_1) | instskip(NEXT) | instid1(VALU_DEP_1)
	v_lshrrev_b32_e32 v37, s49, v37
	v_and_b32_e32 v37, s55, v37
	s_delay_alu instid0(VALU_DEP_1)
	v_and_b32_e32 v158, 1, v37
	v_lshlrev_b32_e32 v159, 30, v37
	v_lshlrev_b32_e32 v160, 29, v37
	;; [unrolled: 1-line block ×4, first 2 shown]
	v_add_co_u32 v158, s17, v158, -1
	s_delay_alu instid0(VALU_DEP_1)
	v_cndmask_b32_e64 v163, 0, 1, s17
	v_not_b32_e32 v168, v159
	v_cmp_gt_i32_e64 s17, 0, v159
	v_not_b32_e32 v159, v160
	v_lshlrev_b32_e32 v166, 26, v37
	v_cmp_ne_u32_e32 vcc_lo, 0, v163
	v_ashrrev_i32_e32 v168, 31, v168
	v_lshlrev_b32_e32 v167, 25, v37
	v_ashrrev_i32_e32 v159, 31, v159
	v_lshlrev_b32_e32 v163, 24, v37
	v_xor_b32_e32 v158, vcc_lo, v158
	v_cmp_gt_i32_e32 vcc_lo, 0, v160
	v_not_b32_e32 v160, v162
	v_xor_b32_e32 v168, s17, v168
	v_cmp_gt_i32_e64 s17, 0, v162
	v_and_b32_e32 v158, exec_lo, v158
	v_not_b32_e32 v162, v164
	v_ashrrev_i32_e32 v160, 31, v160
	v_xor_b32_e32 v159, vcc_lo, v159
	v_cmp_gt_i32_e32 vcc_lo, 0, v164
	v_and_b32_e32 v158, v158, v168
	v_not_b32_e32 v164, v166
	v_ashrrev_i32_e32 v162, 31, v162
	v_xor_b32_e32 v160, s17, v160
	v_cmp_gt_i32_e64 s17, 0, v166
	v_and_b32_e32 v158, v158, v159
	v_not_b32_e32 v159, v167
	v_ashrrev_i32_e32 v164, 31, v164
	v_xor_b32_e32 v162, vcc_lo, v162
	v_cmp_gt_i32_e32 vcc_lo, 0, v167
	v_and_b32_e32 v158, v158, v160
	v_not_b32_e32 v160, v163
	v_ashrrev_i32_e32 v159, 31, v159
	v_xor_b32_e32 v164, s17, v164
	v_mul_u32_u24_e32 v37, 9, v37
	v_and_b32_e32 v158, v158, v162
	v_cmp_gt_i32_e64 s17, 0, v163
	v_ashrrev_i32_e32 v160, 31, v160
	v_xor_b32_e32 v159, vcc_lo, v159
	v_add_lshl_u32 v162, v37, v126, 2
	v_and_b32_e32 v158, v158, v164
	s_delay_alu instid0(VALU_DEP_4) | instskip(NEXT) | instid1(VALU_DEP_3)
	v_xor_b32_e32 v37, s17, v160
	v_add_nc_u32_e32 v160, 0x420, v162
	s_delay_alu instid0(VALU_DEP_3) | instskip(SKIP_2) | instid1(VALU_DEP_1)
	v_and_b32_e32 v159, v158, v159
	ds_load_b32 v158, v162 offset:1056
	; wave barrier
	v_and_b32_e32 v37, v159, v37
	v_mbcnt_lo_u32_b32 v159, v37, 0
	v_cmp_ne_u32_e64 s17, 0, v37
	s_delay_alu instid0(VALU_DEP_2) | instskip(NEXT) | instid1(VALU_DEP_2)
	v_cmp_eq_u32_e32 vcc_lo, 0, v159
	s_and_b32 s18, s17, vcc_lo
	s_delay_alu instid0(SALU_CYCLE_1)
	s_and_saveexec_b32 s17, s18
	s_cbranch_execz .LBB1879_1031
; %bb.1030:                             ;   in Loop: Header=BB1879_987 Depth=2
	s_waitcnt lgkmcnt(0)
	v_bcnt_u32_b32 v37, v37, v158
	ds_store_b32 v160, v37
.LBB1879_1031:                          ;   in Loop: Header=BB1879_987 Depth=2
	s_or_b32 exec_lo, exec_lo, s17
	v_cmp_lt_i16_e64 vcc_lo, -1, v157
	; wave barrier
	s_delay_alu instid0(VALU_DEP_1) | instskip(NEXT) | instid1(VALU_DEP_1)
	v_cndmask_b32_e64 v37, -1, 0xffff8000, vcc_lo
	v_xor_b32_e32 v157, v37, v157
	s_delay_alu instid0(VALU_DEP_1) | instskip(SKIP_1) | instid1(VALU_DEP_1)
	v_cmp_ne_u16_e64 vcc_lo, 0x7fff, v157
	v_cndmask_b32_e32 v37, 0xffff8000, v157, vcc_lo
	v_and_b32_e32 v37, 0xffff, v37
	s_delay_alu instid0(VALU_DEP_1) | instskip(NEXT) | instid1(VALU_DEP_1)
	v_lshrrev_b32_e32 v37, s49, v37
	v_and_b32_e32 v37, s55, v37
	s_delay_alu instid0(VALU_DEP_1)
	v_and_b32_e32 v162, 1, v37
	v_lshlrev_b32_e32 v163, 30, v37
	v_lshlrev_b32_e32 v164, 29, v37
	;; [unrolled: 1-line block ×4, first 2 shown]
	v_add_co_u32 v162, s17, v162, -1
	s_delay_alu instid0(VALU_DEP_1)
	v_cndmask_b32_e64 v167, 0, 1, s17
	v_not_b32_e32 v173, v163
	v_cmp_gt_i32_e64 s17, 0, v163
	v_not_b32_e32 v163, v164
	v_lshlrev_b32_e32 v171, 26, v37
	v_cmp_ne_u32_e32 vcc_lo, 0, v167
	v_ashrrev_i32_e32 v173, 31, v173
	v_lshlrev_b32_e32 v172, 25, v37
	v_ashrrev_i32_e32 v163, 31, v163
	v_lshlrev_b32_e32 v167, 24, v37
	v_xor_b32_e32 v162, vcc_lo, v162
	v_cmp_gt_i32_e32 vcc_lo, 0, v164
	v_not_b32_e32 v164, v166
	v_xor_b32_e32 v173, s17, v173
	v_cmp_gt_i32_e64 s17, 0, v166
	v_and_b32_e32 v162, exec_lo, v162
	v_not_b32_e32 v166, v168
	v_ashrrev_i32_e32 v164, 31, v164
	v_xor_b32_e32 v163, vcc_lo, v163
	v_cmp_gt_i32_e32 vcc_lo, 0, v168
	v_and_b32_e32 v162, v162, v173
	v_not_b32_e32 v168, v171
	v_ashrrev_i32_e32 v166, 31, v166
	v_xor_b32_e32 v164, s17, v164
	v_cmp_gt_i32_e64 s17, 0, v171
	v_and_b32_e32 v162, v162, v163
	v_not_b32_e32 v163, v172
	v_ashrrev_i32_e32 v168, 31, v168
	v_xor_b32_e32 v166, vcc_lo, v166
	v_cmp_gt_i32_e32 vcc_lo, 0, v172
	v_and_b32_e32 v162, v162, v164
	v_not_b32_e32 v164, v167
	v_ashrrev_i32_e32 v163, 31, v163
	v_xor_b32_e32 v168, s17, v168
	v_mul_u32_u24_e32 v37, 9, v37
	v_and_b32_e32 v162, v162, v166
	v_cmp_gt_i32_e64 s17, 0, v167
	v_ashrrev_i32_e32 v164, 31, v164
	v_xor_b32_e32 v163, vcc_lo, v163
	v_add_lshl_u32 v166, v37, v126, 2
	v_and_b32_e32 v162, v162, v168
	s_delay_alu instid0(VALU_DEP_4) | instskip(NEXT) | instid1(VALU_DEP_3)
	v_xor_b32_e32 v37, s17, v164
	v_add_nc_u32_e32 v164, 0x420, v166
	s_delay_alu instid0(VALU_DEP_3) | instskip(SKIP_2) | instid1(VALU_DEP_1)
	v_and_b32_e32 v163, v162, v163
	ds_load_b32 v162, v166 offset:1056
	; wave barrier
	v_and_b32_e32 v37, v163, v37
	v_mbcnt_lo_u32_b32 v163, v37, 0
	v_cmp_ne_u32_e64 s17, 0, v37
	s_delay_alu instid0(VALU_DEP_2) | instskip(NEXT) | instid1(VALU_DEP_2)
	v_cmp_eq_u32_e32 vcc_lo, 0, v163
	s_and_b32 s18, s17, vcc_lo
	s_delay_alu instid0(SALU_CYCLE_1)
	s_and_saveexec_b32 s17, s18
	s_cbranch_execz .LBB1879_1033
; %bb.1032:                             ;   in Loop: Header=BB1879_987 Depth=2
	s_waitcnt lgkmcnt(0)
	v_bcnt_u32_b32 v37, v37, v162
	ds_store_b32 v164, v37
.LBB1879_1033:                          ;   in Loop: Header=BB1879_987 Depth=2
	s_or_b32 exec_lo, exec_lo, s17
	v_cmp_lt_i16_e64 vcc_lo, -1, v161
	; wave barrier
	s_delay_alu instid0(VALU_DEP_1) | instskip(NEXT) | instid1(VALU_DEP_1)
	v_cndmask_b32_e64 v37, -1, 0xffff8000, vcc_lo
	v_xor_b32_e32 v161, v37, v161
	s_delay_alu instid0(VALU_DEP_1) | instskip(SKIP_1) | instid1(VALU_DEP_1)
	v_cmp_ne_u16_e64 vcc_lo, 0x7fff, v161
	v_cndmask_b32_e32 v37, 0xffff8000, v161, vcc_lo
	v_and_b32_e32 v37, 0xffff, v37
	s_delay_alu instid0(VALU_DEP_1) | instskip(NEXT) | instid1(VALU_DEP_1)
	v_lshrrev_b32_e32 v37, s49, v37
	v_and_b32_e32 v37, s55, v37
	s_delay_alu instid0(VALU_DEP_1)
	v_and_b32_e32 v166, 1, v37
	v_lshlrev_b32_e32 v167, 30, v37
	v_lshlrev_b32_e32 v168, 29, v37
	;; [unrolled: 1-line block ×4, first 2 shown]
	v_add_co_u32 v166, s17, v166, -1
	s_delay_alu instid0(VALU_DEP_1)
	v_cndmask_b32_e64 v172, 0, 1, s17
	v_not_b32_e32 v176, v167
	v_cmp_gt_i32_e64 s17, 0, v167
	v_not_b32_e32 v167, v168
	v_lshlrev_b32_e32 v174, 26, v37
	v_cmp_ne_u32_e32 vcc_lo, 0, v172
	v_ashrrev_i32_e32 v176, 31, v176
	v_lshlrev_b32_e32 v175, 25, v37
	v_ashrrev_i32_e32 v167, 31, v167
	v_lshlrev_b32_e32 v172, 24, v37
	v_xor_b32_e32 v166, vcc_lo, v166
	v_cmp_gt_i32_e32 vcc_lo, 0, v168
	v_not_b32_e32 v168, v171
	v_xor_b32_e32 v176, s17, v176
	v_cmp_gt_i32_e64 s17, 0, v171
	v_and_b32_e32 v166, exec_lo, v166
	v_not_b32_e32 v171, v173
	v_ashrrev_i32_e32 v168, 31, v168
	v_xor_b32_e32 v167, vcc_lo, v167
	v_cmp_gt_i32_e32 vcc_lo, 0, v173
	v_and_b32_e32 v166, v166, v176
	v_not_b32_e32 v173, v174
	v_ashrrev_i32_e32 v171, 31, v171
	v_xor_b32_e32 v168, s17, v168
	v_cmp_gt_i32_e64 s17, 0, v174
	v_and_b32_e32 v166, v166, v167
	v_not_b32_e32 v167, v175
	v_ashrrev_i32_e32 v173, 31, v173
	v_xor_b32_e32 v171, vcc_lo, v171
	v_cmp_gt_i32_e32 vcc_lo, 0, v175
	v_and_b32_e32 v166, v166, v168
	v_not_b32_e32 v168, v172
	v_ashrrev_i32_e32 v167, 31, v167
	v_xor_b32_e32 v173, s17, v173
	v_mul_u32_u24_e32 v37, 9, v37
	v_and_b32_e32 v166, v166, v171
	v_cmp_gt_i32_e64 s17, 0, v172
	v_ashrrev_i32_e32 v168, 31, v168
	v_xor_b32_e32 v167, vcc_lo, v167
	v_add_lshl_u32 v171, v37, v126, 2
	v_and_b32_e32 v166, v166, v173
	s_delay_alu instid0(VALU_DEP_4) | instskip(NEXT) | instid1(VALU_DEP_3)
	v_xor_b32_e32 v37, s17, v168
	v_add_nc_u32_e32 v168, 0x420, v171
	s_delay_alu instid0(VALU_DEP_3) | instskip(SKIP_2) | instid1(VALU_DEP_1)
	v_and_b32_e32 v167, v166, v167
	ds_load_b32 v166, v171 offset:1056
	; wave barrier
	v_and_b32_e32 v37, v167, v37
	v_mbcnt_lo_u32_b32 v167, v37, 0
	v_cmp_ne_u32_e64 s17, 0, v37
	s_delay_alu instid0(VALU_DEP_2) | instskip(NEXT) | instid1(VALU_DEP_2)
	v_cmp_eq_u32_e32 vcc_lo, 0, v167
	s_and_b32 s18, s17, vcc_lo
	s_delay_alu instid0(SALU_CYCLE_1)
	s_and_saveexec_b32 s17, s18
	s_cbranch_execz .LBB1879_1035
; %bb.1034:                             ;   in Loop: Header=BB1879_987 Depth=2
	s_waitcnt lgkmcnt(0)
	v_bcnt_u32_b32 v37, v37, v166
	ds_store_b32 v168, v37
.LBB1879_1035:                          ;   in Loop: Header=BB1879_987 Depth=2
	s_or_b32 exec_lo, exec_lo, s17
	v_cmp_lt_i16_e64 vcc_lo, -1, v165
	; wave barrier
	s_delay_alu instid0(VALU_DEP_1) | instskip(NEXT) | instid1(VALU_DEP_1)
	v_cndmask_b32_e64 v37, -1, 0xffff8000, vcc_lo
	v_xor_b32_e32 v165, v37, v165
	s_delay_alu instid0(VALU_DEP_1) | instskip(SKIP_1) | instid1(VALU_DEP_1)
	v_cmp_ne_u16_e64 vcc_lo, 0x7fff, v165
	v_cndmask_b32_e32 v37, 0xffff8000, v165, vcc_lo
	v_and_b32_e32 v37, 0xffff, v37
	s_delay_alu instid0(VALU_DEP_1) | instskip(NEXT) | instid1(VALU_DEP_1)
	v_lshrrev_b32_e32 v37, s49, v37
	v_and_b32_e32 v37, s55, v37
	s_delay_alu instid0(VALU_DEP_1)
	v_and_b32_e32 v171, 1, v37
	v_lshlrev_b32_e32 v172, 30, v37
	v_lshlrev_b32_e32 v173, 29, v37
	;; [unrolled: 1-line block ×4, first 2 shown]
	v_add_co_u32 v171, s17, v171, -1
	s_delay_alu instid0(VALU_DEP_1)
	v_cndmask_b32_e64 v175, 0, 1, s17
	v_not_b32_e32 v179, v172
	v_cmp_gt_i32_e64 s17, 0, v172
	v_not_b32_e32 v172, v173
	v_lshlrev_b32_e32 v177, 26, v37
	v_cmp_ne_u32_e32 vcc_lo, 0, v175
	v_ashrrev_i32_e32 v179, 31, v179
	v_lshlrev_b32_e32 v178, 25, v37
	v_ashrrev_i32_e32 v172, 31, v172
	v_lshlrev_b32_e32 v175, 24, v37
	v_xor_b32_e32 v171, vcc_lo, v171
	v_cmp_gt_i32_e32 vcc_lo, 0, v173
	v_not_b32_e32 v173, v174
	v_xor_b32_e32 v179, s17, v179
	v_cmp_gt_i32_e64 s17, 0, v174
	v_and_b32_e32 v171, exec_lo, v171
	v_not_b32_e32 v174, v176
	v_ashrrev_i32_e32 v173, 31, v173
	v_xor_b32_e32 v172, vcc_lo, v172
	v_cmp_gt_i32_e32 vcc_lo, 0, v176
	v_and_b32_e32 v171, v171, v179
	v_not_b32_e32 v176, v177
	v_ashrrev_i32_e32 v174, 31, v174
	v_xor_b32_e32 v173, s17, v173
	v_cmp_gt_i32_e64 s17, 0, v177
	v_and_b32_e32 v171, v171, v172
	v_not_b32_e32 v172, v178
	v_ashrrev_i32_e32 v176, 31, v176
	v_xor_b32_e32 v174, vcc_lo, v174
	v_cmp_gt_i32_e32 vcc_lo, 0, v178
	v_and_b32_e32 v171, v171, v173
	v_not_b32_e32 v173, v175
	v_ashrrev_i32_e32 v172, 31, v172
	v_xor_b32_e32 v176, s17, v176
	v_mul_u32_u24_e32 v37, 9, v37
	v_and_b32_e32 v171, v171, v174
	v_cmp_gt_i32_e64 s17, 0, v175
	v_ashrrev_i32_e32 v173, 31, v173
	v_xor_b32_e32 v172, vcc_lo, v172
	v_add_lshl_u32 v174, v37, v126, 2
	v_and_b32_e32 v171, v171, v176
	s_delay_alu instid0(VALU_DEP_4) | instskip(NEXT) | instid1(VALU_DEP_3)
	v_xor_b32_e32 v37, s17, v173
	v_add_nc_u32_e32 v173, 0x420, v174
	s_delay_alu instid0(VALU_DEP_3) | instskip(SKIP_2) | instid1(VALU_DEP_1)
	v_and_b32_e32 v172, v171, v172
	ds_load_b32 v171, v174 offset:1056
	; wave barrier
	v_and_b32_e32 v37, v172, v37
	v_mbcnt_lo_u32_b32 v172, v37, 0
	v_cmp_ne_u32_e64 s17, 0, v37
	s_delay_alu instid0(VALU_DEP_2) | instskip(NEXT) | instid1(VALU_DEP_2)
	v_cmp_eq_u32_e32 vcc_lo, 0, v172
	s_and_b32 s18, s17, vcc_lo
	s_delay_alu instid0(SALU_CYCLE_1)
	s_and_saveexec_b32 s17, s18
	s_cbranch_execz .LBB1879_1037
; %bb.1036:                             ;   in Loop: Header=BB1879_987 Depth=2
	s_waitcnt lgkmcnt(0)
	v_bcnt_u32_b32 v37, v37, v171
	ds_store_b32 v173, v37
.LBB1879_1037:                          ;   in Loop: Header=BB1879_987 Depth=2
	s_or_b32 exec_lo, exec_lo, s17
	v_cmp_lt_i16_e64 vcc_lo, -1, v170
	; wave barrier
	s_delay_alu instid0(VALU_DEP_1) | instskip(NEXT) | instid1(VALU_DEP_1)
	v_cndmask_b32_e64 v37, -1, 0xffff8000, vcc_lo
	v_xor_b32_e32 v170, v37, v170
	s_delay_alu instid0(VALU_DEP_1) | instskip(SKIP_1) | instid1(VALU_DEP_1)
	v_cmp_ne_u16_e64 vcc_lo, 0x7fff, v170
	v_cndmask_b32_e32 v37, 0xffff8000, v170, vcc_lo
	v_and_b32_e32 v37, 0xffff, v37
	s_delay_alu instid0(VALU_DEP_1) | instskip(NEXT) | instid1(VALU_DEP_1)
	v_lshrrev_b32_e32 v37, s49, v37
	v_and_b32_e32 v37, s55, v37
	s_delay_alu instid0(VALU_DEP_1)
	v_and_b32_e32 v174, 1, v37
	v_lshlrev_b32_e32 v175, 30, v37
	v_lshlrev_b32_e32 v176, 29, v37
	;; [unrolled: 1-line block ×4, first 2 shown]
	v_add_co_u32 v174, s17, v174, -1
	s_delay_alu instid0(VALU_DEP_1)
	v_cndmask_b32_e64 v178, 0, 1, s17
	v_not_b32_e32 v182, v175
	v_cmp_gt_i32_e64 s17, 0, v175
	v_not_b32_e32 v175, v176
	v_lshlrev_b32_e32 v180, 26, v37
	v_cmp_ne_u32_e32 vcc_lo, 0, v178
	v_ashrrev_i32_e32 v182, 31, v182
	v_lshlrev_b32_e32 v181, 25, v37
	v_ashrrev_i32_e32 v175, 31, v175
	v_lshlrev_b32_e32 v178, 24, v37
	v_xor_b32_e32 v174, vcc_lo, v174
	v_cmp_gt_i32_e32 vcc_lo, 0, v176
	v_not_b32_e32 v176, v177
	v_xor_b32_e32 v182, s17, v182
	v_cmp_gt_i32_e64 s17, 0, v177
	v_and_b32_e32 v174, exec_lo, v174
	v_not_b32_e32 v177, v179
	v_ashrrev_i32_e32 v176, 31, v176
	v_xor_b32_e32 v175, vcc_lo, v175
	v_cmp_gt_i32_e32 vcc_lo, 0, v179
	v_and_b32_e32 v174, v174, v182
	v_not_b32_e32 v179, v180
	v_ashrrev_i32_e32 v177, 31, v177
	v_xor_b32_e32 v176, s17, v176
	v_cmp_gt_i32_e64 s17, 0, v180
	v_and_b32_e32 v174, v174, v175
	v_not_b32_e32 v175, v181
	v_ashrrev_i32_e32 v179, 31, v179
	v_xor_b32_e32 v177, vcc_lo, v177
	v_cmp_gt_i32_e32 vcc_lo, 0, v181
	v_and_b32_e32 v174, v174, v176
	v_not_b32_e32 v176, v178
	v_ashrrev_i32_e32 v175, 31, v175
	v_xor_b32_e32 v179, s17, v179
	v_mul_u32_u24_e32 v37, 9, v37
	v_and_b32_e32 v174, v174, v177
	v_cmp_gt_i32_e64 s17, 0, v178
	v_ashrrev_i32_e32 v176, 31, v176
	v_xor_b32_e32 v175, vcc_lo, v175
	v_add_lshl_u32 v177, v37, v126, 2
	v_and_b32_e32 v174, v174, v179
	s_delay_alu instid0(VALU_DEP_4) | instskip(NEXT) | instid1(VALU_DEP_3)
	v_xor_b32_e32 v37, s17, v176
	v_add_nc_u32_e32 v176, 0x420, v177
	s_delay_alu instid0(VALU_DEP_3) | instskip(SKIP_2) | instid1(VALU_DEP_1)
	v_and_b32_e32 v175, v174, v175
	ds_load_b32 v174, v177 offset:1056
	; wave barrier
	v_and_b32_e32 v37, v175, v37
	v_mbcnt_lo_u32_b32 v175, v37, 0
	v_cmp_ne_u32_e64 s17, 0, v37
	s_delay_alu instid0(VALU_DEP_2) | instskip(NEXT) | instid1(VALU_DEP_2)
	v_cmp_eq_u32_e32 vcc_lo, 0, v175
	s_and_b32 s18, s17, vcc_lo
	s_delay_alu instid0(SALU_CYCLE_1)
	s_and_saveexec_b32 s17, s18
	s_cbranch_execz .LBB1879_1039
; %bb.1038:                             ;   in Loop: Header=BB1879_987 Depth=2
	s_waitcnt lgkmcnt(0)
	v_bcnt_u32_b32 v37, v37, v174
	ds_store_b32 v176, v37
.LBB1879_1039:                          ;   in Loop: Header=BB1879_987 Depth=2
	s_or_b32 exec_lo, exec_lo, s17
	v_cmp_lt_i16_e64 vcc_lo, -1, v169
	; wave barrier
	s_delay_alu instid0(VALU_DEP_1) | instskip(NEXT) | instid1(VALU_DEP_1)
	v_cndmask_b32_e64 v37, -1, 0xffff8000, vcc_lo
	v_xor_b32_e32 v169, v37, v169
	s_delay_alu instid0(VALU_DEP_1) | instskip(SKIP_1) | instid1(VALU_DEP_1)
	v_cmp_ne_u16_e64 vcc_lo, 0x7fff, v169
	v_cndmask_b32_e32 v37, 0xffff8000, v169, vcc_lo
	v_and_b32_e32 v37, 0xffff, v37
	s_delay_alu instid0(VALU_DEP_1) | instskip(NEXT) | instid1(VALU_DEP_1)
	v_lshrrev_b32_e32 v37, s49, v37
	v_and_b32_e32 v37, s55, v37
	s_delay_alu instid0(VALU_DEP_1)
	v_and_b32_e32 v177, 1, v37
	v_lshlrev_b32_e32 v178, 30, v37
	v_lshlrev_b32_e32 v179, 29, v37
	;; [unrolled: 1-line block ×4, first 2 shown]
	v_add_co_u32 v177, s17, v177, -1
	s_delay_alu instid0(VALU_DEP_1)
	v_cndmask_b32_e64 v181, 0, 1, s17
	v_not_b32_e32 v185, v178
	v_cmp_gt_i32_e64 s17, 0, v178
	v_not_b32_e32 v178, v179
	v_lshlrev_b32_e32 v183, 26, v37
	v_cmp_ne_u32_e32 vcc_lo, 0, v181
	v_ashrrev_i32_e32 v185, 31, v185
	v_lshlrev_b32_e32 v184, 25, v37
	v_ashrrev_i32_e32 v178, 31, v178
	v_lshlrev_b32_e32 v181, 24, v37
	v_xor_b32_e32 v177, vcc_lo, v177
	v_cmp_gt_i32_e32 vcc_lo, 0, v179
	v_not_b32_e32 v179, v180
	v_xor_b32_e32 v185, s17, v185
	v_cmp_gt_i32_e64 s17, 0, v180
	v_and_b32_e32 v177, exec_lo, v177
	v_not_b32_e32 v180, v182
	v_ashrrev_i32_e32 v179, 31, v179
	v_xor_b32_e32 v178, vcc_lo, v178
	v_cmp_gt_i32_e32 vcc_lo, 0, v182
	v_and_b32_e32 v177, v177, v185
	v_not_b32_e32 v182, v183
	v_ashrrev_i32_e32 v180, 31, v180
	v_xor_b32_e32 v179, s17, v179
	v_cmp_gt_i32_e64 s17, 0, v183
	v_and_b32_e32 v177, v177, v178
	v_not_b32_e32 v178, v184
	v_ashrrev_i32_e32 v182, 31, v182
	v_xor_b32_e32 v180, vcc_lo, v180
	v_cmp_gt_i32_e32 vcc_lo, 0, v184
	v_and_b32_e32 v177, v177, v179
	v_not_b32_e32 v179, v181
	v_ashrrev_i32_e32 v178, 31, v178
	v_xor_b32_e32 v182, s17, v182
	v_mul_u32_u24_e32 v37, 9, v37
	v_and_b32_e32 v177, v177, v180
	v_cmp_gt_i32_e64 s17, 0, v181
	v_ashrrev_i32_e32 v179, 31, v179
	v_xor_b32_e32 v178, vcc_lo, v178
	v_add_lshl_u32 v180, v37, v126, 2
	v_and_b32_e32 v177, v177, v182
	s_delay_alu instid0(VALU_DEP_4) | instskip(NEXT) | instid1(VALU_DEP_2)
	v_xor_b32_e32 v37, s17, v179
	v_and_b32_e32 v177, v177, v178
	ds_load_b32 v178, v180 offset:1056
	v_add_nc_u32_e32 v180, 0x420, v180
	; wave barrier
	v_and_b32_e32 v37, v177, v37
	s_delay_alu instid0(VALU_DEP_1) | instskip(SKIP_1) | instid1(VALU_DEP_2)
	v_mbcnt_lo_u32_b32 v179, v37, 0
	v_cmp_ne_u32_e64 s17, 0, v37
	v_cmp_eq_u32_e32 vcc_lo, 0, v179
	s_delay_alu instid0(VALU_DEP_2) | instskip(NEXT) | instid1(SALU_CYCLE_1)
	s_and_b32 s18, s17, vcc_lo
	s_and_saveexec_b32 s17, s18
	s_cbranch_execz .LBB1879_1041
; %bb.1040:                             ;   in Loop: Header=BB1879_987 Depth=2
	s_waitcnt lgkmcnt(0)
	v_bcnt_u32_b32 v37, v37, v178
	ds_store_b32 v180, v37
.LBB1879_1041:                          ;   in Loop: Header=BB1879_987 Depth=2
	s_or_b32 exec_lo, exec_lo, s17
	v_cmp_lt_i16_e32 vcc_lo, -1, v43
	; wave barrier
	v_cndmask_b32_e64 v37, -1, 0xffff8000, vcc_lo
	s_delay_alu instid0(VALU_DEP_1) | instskip(NEXT) | instid1(VALU_DEP_1)
	v_xor_b32_e32 v177, v37, v43
	v_cmp_ne_u16_e64 vcc_lo, 0x7fff, v177
	v_cndmask_b32_e32 v37, 0xffff8000, v177, vcc_lo
	s_delay_alu instid0(VALU_DEP_1) | instskip(NEXT) | instid1(VALU_DEP_1)
	v_and_b32_e32 v37, 0xffff, v37
	v_lshrrev_b32_e32 v37, s49, v37
	s_delay_alu instid0(VALU_DEP_1) | instskip(NEXT) | instid1(VALU_DEP_1)
	v_and_b32_e32 v37, s55, v37
	v_and_b32_e32 v43, 1, v37
	v_lshlrev_b32_e32 v181, 30, v37
	v_lshlrev_b32_e32 v182, 29, v37
	;; [unrolled: 1-line block ×4, first 2 shown]
	v_add_co_u32 v43, s17, v43, -1
	s_delay_alu instid0(VALU_DEP_1)
	v_cndmask_b32_e64 v184, 0, 1, s17
	v_not_b32_e32 v188, v181
	v_cmp_gt_i32_e64 s17, 0, v181
	v_not_b32_e32 v181, v182
	v_lshlrev_b32_e32 v186, 26, v37
	v_cmp_ne_u32_e32 vcc_lo, 0, v184
	v_ashrrev_i32_e32 v188, 31, v188
	v_lshlrev_b32_e32 v187, 25, v37
	v_ashrrev_i32_e32 v181, 31, v181
	v_lshlrev_b32_e32 v184, 24, v37
	v_xor_b32_e32 v43, vcc_lo, v43
	v_cmp_gt_i32_e32 vcc_lo, 0, v182
	v_not_b32_e32 v182, v183
	v_xor_b32_e32 v188, s17, v188
	v_cmp_gt_i32_e64 s17, 0, v183
	v_and_b32_e32 v43, exec_lo, v43
	v_not_b32_e32 v183, v185
	v_ashrrev_i32_e32 v182, 31, v182
	v_xor_b32_e32 v181, vcc_lo, v181
	v_cmp_gt_i32_e32 vcc_lo, 0, v185
	v_and_b32_e32 v43, v43, v188
	v_not_b32_e32 v185, v186
	v_ashrrev_i32_e32 v183, 31, v183
	v_xor_b32_e32 v182, s17, v182
	v_cmp_gt_i32_e64 s17, 0, v186
	v_and_b32_e32 v43, v43, v181
	v_not_b32_e32 v181, v187
	v_ashrrev_i32_e32 v185, 31, v185
	v_xor_b32_e32 v183, vcc_lo, v183
	v_cmp_gt_i32_e32 vcc_lo, 0, v187
	v_and_b32_e32 v43, v43, v182
	v_not_b32_e32 v182, v184
	v_ashrrev_i32_e32 v181, 31, v181
	v_xor_b32_e32 v185, s17, v185
	v_mul_u32_u24_e32 v37, 9, v37
	v_and_b32_e32 v43, v43, v183
	v_cmp_gt_i32_e64 s17, 0, v184
	v_ashrrev_i32_e32 v182, 31, v182
	v_xor_b32_e32 v181, vcc_lo, v181
	v_add_lshl_u32 v184, v37, v126, 2
	v_and_b32_e32 v43, v43, v185
	s_delay_alu instid0(VALU_DEP_4) | instskip(SKIP_3) | instid1(VALU_DEP_2)
	v_xor_b32_e32 v37, s17, v182
	ds_load_b32 v182, v184 offset:1056
	v_and_b32_e32 v43, v43, v181
	v_add_nc_u32_e32 v184, 0x420, v184
	; wave barrier
	v_and_b32_e32 v37, v43, v37
	s_delay_alu instid0(VALU_DEP_1) | instskip(SKIP_1) | instid1(VALU_DEP_2)
	v_mbcnt_lo_u32_b32 v183, v37, 0
	v_cmp_ne_u32_e64 s17, 0, v37
	v_cmp_eq_u32_e32 vcc_lo, 0, v183
	s_delay_alu instid0(VALU_DEP_2) | instskip(NEXT) | instid1(SALU_CYCLE_1)
	s_and_b32 s18, s17, vcc_lo
	s_and_saveexec_b32 s17, s18
	s_cbranch_execz .LBB1879_1043
; %bb.1042:                             ;   in Loop: Header=BB1879_987 Depth=2
	s_waitcnt lgkmcnt(0)
	v_bcnt_u32_b32 v37, v37, v182
	ds_store_b32 v184, v37
.LBB1879_1043:                          ;   in Loop: Header=BB1879_987 Depth=2
	s_or_b32 exec_lo, exec_lo, s17
	v_cmp_lt_i16_e32 vcc_lo, -1, v42
	; wave barrier
	v_cndmask_b32_e64 v37, -1, 0xffff8000, vcc_lo
	s_delay_alu instid0(VALU_DEP_1) | instskip(NEXT) | instid1(VALU_DEP_1)
	v_xor_b32_e32 v181, v37, v42
	v_cmp_ne_u16_e64 vcc_lo, 0x7fff, v181
	v_cndmask_b32_e32 v37, 0xffff8000, v181, vcc_lo
	s_delay_alu instid0(VALU_DEP_1) | instskip(NEXT) | instid1(VALU_DEP_1)
	v_and_b32_e32 v37, 0xffff, v37
	v_lshrrev_b32_e32 v37, s49, v37
	s_delay_alu instid0(VALU_DEP_1) | instskip(NEXT) | instid1(VALU_DEP_1)
	v_and_b32_e32 v37, s55, v37
	v_and_b32_e32 v42, 1, v37
	v_lshlrev_b32_e32 v43, 30, v37
	v_lshlrev_b32_e32 v185, 29, v37
	;; [unrolled: 1-line block ×4, first 2 shown]
	v_add_co_u32 v42, s17, v42, -1
	s_delay_alu instid0(VALU_DEP_1)
	v_cndmask_b32_e64 v187, 0, 1, s17
	v_not_b32_e32 v191, v43
	v_cmp_gt_i32_e64 s17, 0, v43
	v_not_b32_e32 v43, v185
	v_lshlrev_b32_e32 v189, 26, v37
	v_cmp_ne_u32_e32 vcc_lo, 0, v187
	v_ashrrev_i32_e32 v191, 31, v191
	v_lshlrev_b32_e32 v190, 25, v37
	v_ashrrev_i32_e32 v43, 31, v43
	v_lshlrev_b32_e32 v187, 24, v37
	v_xor_b32_e32 v42, vcc_lo, v42
	v_cmp_gt_i32_e32 vcc_lo, 0, v185
	v_not_b32_e32 v185, v186
	v_xor_b32_e32 v191, s17, v191
	v_cmp_gt_i32_e64 s17, 0, v186
	v_and_b32_e32 v42, exec_lo, v42
	v_not_b32_e32 v186, v188
	v_ashrrev_i32_e32 v185, 31, v185
	v_xor_b32_e32 v43, vcc_lo, v43
	v_cmp_gt_i32_e32 vcc_lo, 0, v188
	v_and_b32_e32 v42, v42, v191
	v_not_b32_e32 v188, v189
	v_ashrrev_i32_e32 v186, 31, v186
	v_xor_b32_e32 v185, s17, v185
	v_cmp_gt_i32_e64 s17, 0, v189
	v_and_b32_e32 v42, v42, v43
	v_not_b32_e32 v43, v190
	v_ashrrev_i32_e32 v188, 31, v188
	v_xor_b32_e32 v186, vcc_lo, v186
	v_cmp_gt_i32_e32 vcc_lo, 0, v190
	v_and_b32_e32 v42, v42, v185
	v_not_b32_e32 v185, v187
	v_ashrrev_i32_e32 v43, 31, v43
	v_xor_b32_e32 v188, s17, v188
	v_mul_u32_u24_e32 v37, 9, v37
	v_and_b32_e32 v42, v42, v186
	v_cmp_gt_i32_e64 s17, 0, v187
	v_ashrrev_i32_e32 v185, 31, v185
	v_xor_b32_e32 v43, vcc_lo, v43
	s_delay_alu instid0(VALU_DEP_4) | instskip(SKIP_1) | instid1(VALU_DEP_4)
	v_and_b32_e32 v42, v42, v188
	v_add_lshl_u32 v188, v37, v126, 2
	v_xor_b32_e32 v37, s17, v185
	s_delay_alu instid0(VALU_DEP_3) | instskip(SKIP_3) | instid1(VALU_DEP_1)
	v_and_b32_e32 v42, v42, v43
	ds_load_b32 v186, v188 offset:1056
	v_add_nc_u32_e32 v188, 0x420, v188
	; wave barrier
	v_and_b32_e32 v37, v42, v37
	v_mbcnt_lo_u32_b32 v187, v37, 0
	v_cmp_ne_u32_e64 s17, 0, v37
	s_delay_alu instid0(VALU_DEP_2) | instskip(NEXT) | instid1(VALU_DEP_2)
	v_cmp_eq_u32_e32 vcc_lo, 0, v187
	s_and_b32 s18, s17, vcc_lo
	s_delay_alu instid0(SALU_CYCLE_1)
	s_and_saveexec_b32 s17, s18
	s_cbranch_execz .LBB1879_1045
; %bb.1044:                             ;   in Loop: Header=BB1879_987 Depth=2
	s_waitcnt lgkmcnt(0)
	v_bcnt_u32_b32 v37, v37, v186
	ds_store_b32 v188, v37
.LBB1879_1045:                          ;   in Loop: Header=BB1879_987 Depth=2
	s_or_b32 exec_lo, exec_lo, s17
	v_cmp_lt_i16_e32 vcc_lo, -1, v41
	; wave barrier
	v_cndmask_b32_e64 v37, -1, 0xffff8000, vcc_lo
	s_delay_alu instid0(VALU_DEP_1) | instskip(NEXT) | instid1(VALU_DEP_1)
	v_xor_b32_e32 v185, v37, v41
	v_cmp_ne_u16_e64 vcc_lo, 0x7fff, v185
	v_cndmask_b32_e32 v37, 0xffff8000, v185, vcc_lo
	s_delay_alu instid0(VALU_DEP_1) | instskip(NEXT) | instid1(VALU_DEP_1)
	v_and_b32_e32 v37, 0xffff, v37
	v_lshrrev_b32_e32 v37, s49, v37
	s_delay_alu instid0(VALU_DEP_1) | instskip(NEXT) | instid1(VALU_DEP_1)
	v_and_b32_e32 v37, s55, v37
	v_and_b32_e32 v41, 1, v37
	v_lshlrev_b32_e32 v42, 30, v37
	v_lshlrev_b32_e32 v43, 29, v37
	;; [unrolled: 1-line block ×4, first 2 shown]
	v_add_co_u32 v41, s17, v41, -1
	s_delay_alu instid0(VALU_DEP_1)
	v_cndmask_b32_e64 v190, 0, 1, s17
	v_not_b32_e32 v194, v42
	v_cmp_gt_i32_e64 s17, 0, v42
	v_not_b32_e32 v42, v43
	v_lshlrev_b32_e32 v192, 26, v37
	v_cmp_ne_u32_e32 vcc_lo, 0, v190
	v_ashrrev_i32_e32 v194, 31, v194
	v_lshlrev_b32_e32 v193, 25, v37
	v_ashrrev_i32_e32 v42, 31, v42
	v_lshlrev_b32_e32 v190, 24, v37
	v_xor_b32_e32 v41, vcc_lo, v41
	v_cmp_gt_i32_e32 vcc_lo, 0, v43
	v_not_b32_e32 v43, v189
	v_xor_b32_e32 v194, s17, v194
	v_cmp_gt_i32_e64 s17, 0, v189
	v_and_b32_e32 v41, exec_lo, v41
	v_not_b32_e32 v189, v191
	v_ashrrev_i32_e32 v43, 31, v43
	v_xor_b32_e32 v42, vcc_lo, v42
	v_cmp_gt_i32_e32 vcc_lo, 0, v191
	v_and_b32_e32 v41, v41, v194
	v_not_b32_e32 v191, v192
	v_ashrrev_i32_e32 v189, 31, v189
	v_xor_b32_e32 v43, s17, v43
	v_cmp_gt_i32_e64 s17, 0, v192
	v_and_b32_e32 v41, v41, v42
	v_not_b32_e32 v42, v193
	v_ashrrev_i32_e32 v191, 31, v191
	v_xor_b32_e32 v189, vcc_lo, v189
	v_cmp_gt_i32_e32 vcc_lo, 0, v193
	v_and_b32_e32 v41, v41, v43
	v_not_b32_e32 v43, v190
	v_ashrrev_i32_e32 v42, 31, v42
	v_xor_b32_e32 v191, s17, v191
	v_mul_u32_u24_e32 v37, 9, v37
	v_and_b32_e32 v41, v41, v189
	v_cmp_gt_i32_e64 s17, 0, v190
	v_ashrrev_i32_e32 v43, 31, v43
	v_xor_b32_e32 v42, vcc_lo, v42
	v_add_lshl_u32 v189, v37, v126, 2
	v_and_b32_e32 v41, v41, v191
	s_delay_alu instid0(VALU_DEP_4) | instskip(SKIP_3) | instid1(VALU_DEP_2)
	v_xor_b32_e32 v37, s17, v43
	ds_load_b32 v190, v189 offset:1056
	v_and_b32_e32 v41, v41, v42
	v_add_nc_u32_e32 v192, 0x420, v189
	; wave barrier
	v_and_b32_e32 v37, v41, v37
	s_delay_alu instid0(VALU_DEP_1) | instskip(SKIP_1) | instid1(VALU_DEP_2)
	v_mbcnt_lo_u32_b32 v191, v37, 0
	v_cmp_ne_u32_e64 s17, 0, v37
	v_cmp_eq_u32_e32 vcc_lo, 0, v191
	s_delay_alu instid0(VALU_DEP_2) | instskip(NEXT) | instid1(SALU_CYCLE_1)
	s_and_b32 s18, s17, vcc_lo
	s_and_saveexec_b32 s17, s18
	s_cbranch_execz .LBB1879_1047
; %bb.1046:                             ;   in Loop: Header=BB1879_987 Depth=2
	s_waitcnt lgkmcnt(0)
	v_bcnt_u32_b32 v37, v37, v190
	ds_store_b32 v192, v37
.LBB1879_1047:                          ;   in Loop: Header=BB1879_987 Depth=2
	s_or_b32 exec_lo, exec_lo, s17
	v_cmp_lt_i16_e32 vcc_lo, -1, v40
	; wave barrier
	v_cndmask_b32_e64 v37, -1, 0xffff8000, vcc_lo
	s_delay_alu instid0(VALU_DEP_1) | instskip(NEXT) | instid1(VALU_DEP_1)
	v_xor_b32_e32 v189, v37, v40
	v_cmp_ne_u16_e64 vcc_lo, 0x7fff, v189
	v_cndmask_b32_e32 v37, 0xffff8000, v189, vcc_lo
	s_delay_alu instid0(VALU_DEP_1) | instskip(NEXT) | instid1(VALU_DEP_1)
	v_and_b32_e32 v37, 0xffff, v37
	v_lshrrev_b32_e32 v37, s49, v37
	s_delay_alu instid0(VALU_DEP_1) | instskip(NEXT) | instid1(VALU_DEP_1)
	v_and_b32_e32 v37, s55, v37
	v_and_b32_e32 v40, 1, v37
	v_lshlrev_b32_e32 v41, 30, v37
	v_lshlrev_b32_e32 v42, 29, v37
	;; [unrolled: 1-line block ×4, first 2 shown]
	v_add_co_u32 v40, s17, v40, -1
	s_delay_alu instid0(VALU_DEP_1)
	v_cndmask_b32_e64 v193, 0, 1, s17
	v_not_b32_e32 v197, v41
	v_cmp_gt_i32_e64 s17, 0, v41
	v_not_b32_e32 v41, v42
	v_lshlrev_b32_e32 v195, 26, v37
	v_cmp_ne_u32_e32 vcc_lo, 0, v193
	v_ashrrev_i32_e32 v197, 31, v197
	v_lshlrev_b32_e32 v196, 25, v37
	v_ashrrev_i32_e32 v41, 31, v41
	v_lshlrev_b32_e32 v193, 24, v37
	v_xor_b32_e32 v40, vcc_lo, v40
	v_cmp_gt_i32_e32 vcc_lo, 0, v42
	v_not_b32_e32 v42, v43
	v_xor_b32_e32 v197, s17, v197
	v_cmp_gt_i32_e64 s17, 0, v43
	v_and_b32_e32 v40, exec_lo, v40
	v_not_b32_e32 v43, v194
	v_ashrrev_i32_e32 v42, 31, v42
	v_xor_b32_e32 v41, vcc_lo, v41
	v_cmp_gt_i32_e32 vcc_lo, 0, v194
	v_and_b32_e32 v40, v40, v197
	v_not_b32_e32 v194, v195
	v_ashrrev_i32_e32 v43, 31, v43
	v_xor_b32_e32 v42, s17, v42
	v_cmp_gt_i32_e64 s17, 0, v195
	v_and_b32_e32 v40, v40, v41
	v_not_b32_e32 v41, v196
	v_ashrrev_i32_e32 v194, 31, v194
	v_xor_b32_e32 v43, vcc_lo, v43
	v_cmp_gt_i32_e32 vcc_lo, 0, v196
	v_and_b32_e32 v40, v40, v42
	v_not_b32_e32 v42, v193
	v_ashrrev_i32_e32 v41, 31, v41
	v_xor_b32_e32 v194, s17, v194
	v_mul_u32_u24_e32 v37, 9, v37
	v_and_b32_e32 v40, v40, v43
	v_cmp_gt_i32_e64 s17, 0, v193
	v_ashrrev_i32_e32 v42, 31, v42
	v_xor_b32_e32 v41, vcc_lo, v41
	v_add_lshl_u32 v43, v37, v126, 2
	v_and_b32_e32 v40, v40, v194
	s_delay_alu instid0(VALU_DEP_4) | instskip(SKIP_3) | instid1(VALU_DEP_2)
	v_xor_b32_e32 v37, s17, v42
	ds_load_b32 v194, v43 offset:1056
	v_and_b32_e32 v40, v40, v41
	v_add_nc_u32_e32 v196, 0x420, v43
	; wave barrier
	v_and_b32_e32 v37, v40, v37
	s_delay_alu instid0(VALU_DEP_1) | instskip(SKIP_1) | instid1(VALU_DEP_2)
	v_mbcnt_lo_u32_b32 v195, v37, 0
	v_cmp_ne_u32_e64 s17, 0, v37
	v_cmp_eq_u32_e32 vcc_lo, 0, v195
	s_delay_alu instid0(VALU_DEP_2) | instskip(NEXT) | instid1(SALU_CYCLE_1)
	s_and_b32 s18, s17, vcc_lo
	s_and_saveexec_b32 s17, s18
	s_cbranch_execz .LBB1879_1049
; %bb.1048:                             ;   in Loop: Header=BB1879_987 Depth=2
	s_waitcnt lgkmcnt(0)
	v_bcnt_u32_b32 v37, v37, v194
	ds_store_b32 v196, v37
.LBB1879_1049:                          ;   in Loop: Header=BB1879_987 Depth=2
	s_or_b32 exec_lo, exec_lo, s17
	v_cmp_lt_i16_e32 vcc_lo, -1, v39
	; wave barrier
	v_cndmask_b32_e64 v37, -1, 0xffff8000, vcc_lo
	s_delay_alu instid0(VALU_DEP_1) | instskip(NEXT) | instid1(VALU_DEP_1)
	v_xor_b32_e32 v193, v37, v39
	v_cmp_ne_u16_e64 vcc_lo, 0x7fff, v193
	v_cndmask_b32_e32 v37, 0xffff8000, v193, vcc_lo
	s_delay_alu instid0(VALU_DEP_1) | instskip(NEXT) | instid1(VALU_DEP_1)
	v_and_b32_e32 v37, 0xffff, v37
	v_lshrrev_b32_e32 v37, s49, v37
	s_delay_alu instid0(VALU_DEP_1) | instskip(NEXT) | instid1(VALU_DEP_1)
	v_and_b32_e32 v37, s55, v37
	v_and_b32_e32 v39, 1, v37
	v_lshlrev_b32_e32 v40, 30, v37
	v_lshlrev_b32_e32 v41, 29, v37
	;; [unrolled: 1-line block ×4, first 2 shown]
	v_add_co_u32 v39, s17, v39, -1
	s_delay_alu instid0(VALU_DEP_1)
	v_cndmask_b32_e64 v43, 0, 1, s17
	v_not_b32_e32 v200, v40
	v_cmp_gt_i32_e64 s17, 0, v40
	v_not_b32_e32 v40, v41
	v_lshlrev_b32_e32 v198, 26, v37
	v_cmp_ne_u32_e32 vcc_lo, 0, v43
	v_ashrrev_i32_e32 v200, 31, v200
	v_lshlrev_b32_e32 v199, 25, v37
	v_ashrrev_i32_e32 v40, 31, v40
	v_lshlrev_b32_e32 v43, 24, v37
	v_xor_b32_e32 v39, vcc_lo, v39
	v_cmp_gt_i32_e32 vcc_lo, 0, v41
	v_not_b32_e32 v41, v42
	v_xor_b32_e32 v200, s17, v200
	v_cmp_gt_i32_e64 s17, 0, v42
	v_and_b32_e32 v39, exec_lo, v39
	v_not_b32_e32 v42, v197
	v_ashrrev_i32_e32 v41, 31, v41
	v_xor_b32_e32 v40, vcc_lo, v40
	v_cmp_gt_i32_e32 vcc_lo, 0, v197
	v_and_b32_e32 v39, v39, v200
	v_not_b32_e32 v197, v198
	v_ashrrev_i32_e32 v42, 31, v42
	v_xor_b32_e32 v41, s17, v41
	v_cmp_gt_i32_e64 s17, 0, v198
	v_and_b32_e32 v39, v39, v40
	v_not_b32_e32 v40, v199
	v_ashrrev_i32_e32 v197, 31, v197
	v_xor_b32_e32 v42, vcc_lo, v42
	v_cmp_gt_i32_e32 vcc_lo, 0, v199
	v_and_b32_e32 v39, v39, v41
	v_not_b32_e32 v41, v43
	v_ashrrev_i32_e32 v40, 31, v40
	v_xor_b32_e32 v197, s17, v197
	v_mul_u32_u24_e32 v37, 9, v37
	v_and_b32_e32 v39, v39, v42
	v_cmp_gt_i32_e64 s17, 0, v43
	v_ashrrev_i32_e32 v41, 31, v41
	v_xor_b32_e32 v40, vcc_lo, v40
	v_add_lshl_u32 v42, v37, v126, 2
	v_and_b32_e32 v39, v39, v197
	s_delay_alu instid0(VALU_DEP_4) | instskip(SKIP_3) | instid1(VALU_DEP_2)
	v_xor_b32_e32 v37, s17, v41
	ds_load_b32 v198, v42 offset:1056
	v_and_b32_e32 v39, v39, v40
	v_add_nc_u32_e32 v200, 0x420, v42
	; wave barrier
	v_and_b32_e32 v37, v39, v37
	s_delay_alu instid0(VALU_DEP_1) | instskip(SKIP_1) | instid1(VALU_DEP_2)
	v_mbcnt_lo_u32_b32 v199, v37, 0
	v_cmp_ne_u32_e64 s17, 0, v37
	v_cmp_eq_u32_e32 vcc_lo, 0, v199
	s_delay_alu instid0(VALU_DEP_2) | instskip(NEXT) | instid1(SALU_CYCLE_1)
	s_and_b32 s18, s17, vcc_lo
	s_and_saveexec_b32 s17, s18
	s_cbranch_execz .LBB1879_1051
; %bb.1050:                             ;   in Loop: Header=BB1879_987 Depth=2
	s_waitcnt lgkmcnt(0)
	v_bcnt_u32_b32 v37, v37, v198
	ds_store_b32 v200, v37
.LBB1879_1051:                          ;   in Loop: Header=BB1879_987 Depth=2
	s_or_b32 exec_lo, exec_lo, s17
	v_cmp_lt_i16_e32 vcc_lo, -1, v38
	; wave barrier
	v_cndmask_b32_e64 v37, -1, 0xffff8000, vcc_lo
	s_delay_alu instid0(VALU_DEP_1) | instskip(NEXT) | instid1(VALU_DEP_1)
	v_xor_b32_e32 v197, v37, v38
	v_cmp_ne_u16_e64 vcc_lo, 0x7fff, v197
	v_cndmask_b32_e32 v37, 0xffff8000, v197, vcc_lo
	s_delay_alu instid0(VALU_DEP_1) | instskip(NEXT) | instid1(VALU_DEP_1)
	v_and_b32_e32 v37, 0xffff, v37
	v_lshrrev_b32_e32 v37, s49, v37
	s_delay_alu instid0(VALU_DEP_1) | instskip(NEXT) | instid1(VALU_DEP_1)
	v_and_b32_e32 v37, s55, v37
	v_and_b32_e32 v38, 1, v37
	v_lshlrev_b32_e32 v39, 30, v37
	v_lshlrev_b32_e32 v40, 29, v37
	;; [unrolled: 1-line block ×4, first 2 shown]
	v_add_co_u32 v38, s17, v38, -1
	s_delay_alu instid0(VALU_DEP_1)
	v_cndmask_b32_e64 v42, 0, 1, s17
	v_not_b32_e32 v203, v39
	v_cmp_gt_i32_e64 s17, 0, v39
	v_not_b32_e32 v39, v40
	v_lshlrev_b32_e32 v201, 26, v37
	v_cmp_ne_u32_e32 vcc_lo, 0, v42
	v_ashrrev_i32_e32 v203, 31, v203
	v_lshlrev_b32_e32 v202, 25, v37
	v_ashrrev_i32_e32 v39, 31, v39
	v_lshlrev_b32_e32 v42, 24, v37
	v_xor_b32_e32 v38, vcc_lo, v38
	v_cmp_gt_i32_e32 vcc_lo, 0, v40
	v_not_b32_e32 v40, v41
	v_xor_b32_e32 v203, s17, v203
	v_cmp_gt_i32_e64 s17, 0, v41
	v_and_b32_e32 v38, exec_lo, v38
	v_not_b32_e32 v41, v43
	v_ashrrev_i32_e32 v40, 31, v40
	v_xor_b32_e32 v39, vcc_lo, v39
	v_cmp_gt_i32_e32 vcc_lo, 0, v43
	v_and_b32_e32 v38, v38, v203
	v_not_b32_e32 v43, v201
	v_ashrrev_i32_e32 v41, 31, v41
	v_xor_b32_e32 v40, s17, v40
	v_cmp_gt_i32_e64 s17, 0, v201
	v_and_b32_e32 v38, v38, v39
	v_not_b32_e32 v39, v202
	v_ashrrev_i32_e32 v43, 31, v43
	v_xor_b32_e32 v41, vcc_lo, v41
	v_cmp_gt_i32_e32 vcc_lo, 0, v202
	v_and_b32_e32 v38, v38, v40
	v_not_b32_e32 v40, v42
	v_ashrrev_i32_e32 v39, 31, v39
	v_xor_b32_e32 v43, s17, v43
	v_mul_u32_u24_e32 v37, 9, v37
	v_and_b32_e32 v38, v38, v41
	v_cmp_gt_i32_e64 s17, 0, v42
	v_ashrrev_i32_e32 v40, 31, v40
	v_xor_b32_e32 v39, vcc_lo, v39
	v_add_lshl_u32 v41, v37, v126, 2
	v_and_b32_e32 v38, v38, v43
	s_delay_alu instid0(VALU_DEP_4) | instskip(SKIP_3) | instid1(VALU_DEP_2)
	v_xor_b32_e32 v37, s17, v40
	ds_load_b32 v202, v41 offset:1056
	v_and_b32_e32 v38, v38, v39
	v_add_nc_u32_e32 v204, 0x420, v41
	; wave barrier
	v_and_b32_e32 v37, v38, v37
	s_delay_alu instid0(VALU_DEP_1) | instskip(SKIP_1) | instid1(VALU_DEP_2)
	v_mbcnt_lo_u32_b32 v203, v37, 0
	v_cmp_ne_u32_e64 s17, 0, v37
	v_cmp_eq_u32_e32 vcc_lo, 0, v203
	s_delay_alu instid0(VALU_DEP_2) | instskip(NEXT) | instid1(SALU_CYCLE_1)
	s_and_b32 s18, s17, vcc_lo
	s_and_saveexec_b32 s17, s18
	s_cbranch_execz .LBB1879_1053
; %bb.1052:                             ;   in Loop: Header=BB1879_987 Depth=2
	s_waitcnt lgkmcnt(0)
	v_bcnt_u32_b32 v37, v37, v202
	ds_store_b32 v204, v37
.LBB1879_1053:                          ;   in Loop: Header=BB1879_987 Depth=2
	s_or_b32 exec_lo, exec_lo, s17
	v_cmp_lt_i16_e32 vcc_lo, -1, v36
	; wave barrier
	v_cndmask_b32_e64 v37, -1, 0xffff8000, vcc_lo
	s_delay_alu instid0(VALU_DEP_1) | instskip(NEXT) | instid1(VALU_DEP_1)
	v_xor_b32_e32 v201, v37, v36
	v_cmp_ne_u16_e64 vcc_lo, 0x7fff, v201
	v_cndmask_b32_e32 v36, 0xffff8000, v201, vcc_lo
	s_delay_alu instid0(VALU_DEP_1) | instskip(NEXT) | instid1(VALU_DEP_1)
	v_and_b32_e32 v36, 0xffff, v36
	v_lshrrev_b32_e32 v36, s49, v36
	s_delay_alu instid0(VALU_DEP_1) | instskip(NEXT) | instid1(VALU_DEP_1)
	v_and_b32_e32 v36, s55, v36
	v_and_b32_e32 v37, 1, v36
	v_lshlrev_b32_e32 v38, 30, v36
	v_lshlrev_b32_e32 v39, 29, v36
	v_lshlrev_b32_e32 v40, 28, v36
	v_lshlrev_b32_e32 v42, 27, v36
	v_add_co_u32 v37, s17, v37, -1
	s_delay_alu instid0(VALU_DEP_1)
	v_cndmask_b32_e64 v41, 0, 1, s17
	v_not_b32_e32 v206, v38
	v_cmp_gt_i32_e64 s17, 0, v38
	v_not_b32_e32 v38, v39
	v_lshlrev_b32_e32 v43, 26, v36
	v_cmp_ne_u32_e32 vcc_lo, 0, v41
	v_ashrrev_i32_e32 v206, 31, v206
	v_lshlrev_b32_e32 v205, 25, v36
	v_ashrrev_i32_e32 v38, 31, v38
	v_lshlrev_b32_e32 v41, 24, v36
	v_xor_b32_e32 v37, vcc_lo, v37
	v_cmp_gt_i32_e32 vcc_lo, 0, v39
	v_not_b32_e32 v39, v40
	v_xor_b32_e32 v206, s17, v206
	v_cmp_gt_i32_e64 s17, 0, v40
	v_and_b32_e32 v37, exec_lo, v37
	v_not_b32_e32 v40, v42
	v_ashrrev_i32_e32 v39, 31, v39
	v_xor_b32_e32 v38, vcc_lo, v38
	v_cmp_gt_i32_e32 vcc_lo, 0, v42
	v_and_b32_e32 v37, v37, v206
	v_not_b32_e32 v42, v43
	v_ashrrev_i32_e32 v40, 31, v40
	v_xor_b32_e32 v39, s17, v39
	v_cmp_gt_i32_e64 s17, 0, v43
	v_and_b32_e32 v37, v37, v38
	v_not_b32_e32 v38, v205
	v_ashrrev_i32_e32 v42, 31, v42
	v_xor_b32_e32 v40, vcc_lo, v40
	v_cmp_gt_i32_e32 vcc_lo, 0, v205
	v_and_b32_e32 v37, v37, v39
	v_not_b32_e32 v39, v41
	v_ashrrev_i32_e32 v38, 31, v38
	v_xor_b32_e32 v42, s17, v42
	v_mul_u32_u24_e32 v36, 9, v36
	v_and_b32_e32 v37, v37, v40
	v_cmp_gt_i32_e64 s17, 0, v41
	v_ashrrev_i32_e32 v39, 31, v39
	v_xor_b32_e32 v38, vcc_lo, v38
	v_add_lshl_u32 v40, v36, v126, 2
	v_and_b32_e32 v37, v37, v42
	s_delay_alu instid0(VALU_DEP_4) | instskip(SKIP_3) | instid1(VALU_DEP_2)
	v_xor_b32_e32 v36, s17, v39
	ds_load_b32 v205, v40 offset:1056
	v_and_b32_e32 v37, v37, v38
	v_add_nc_u32_e32 v207, 0x420, v40
	; wave barrier
	v_and_b32_e32 v36, v37, v36
	s_delay_alu instid0(VALU_DEP_1) | instskip(SKIP_1) | instid1(VALU_DEP_2)
	v_mbcnt_lo_u32_b32 v206, v36, 0
	v_cmp_ne_u32_e64 s17, 0, v36
	v_cmp_eq_u32_e32 vcc_lo, 0, v206
	s_delay_alu instid0(VALU_DEP_2) | instskip(NEXT) | instid1(SALU_CYCLE_1)
	s_and_b32 s18, s17, vcc_lo
	s_and_saveexec_b32 s17, s18
	s_cbranch_execz .LBB1879_1055
; %bb.1054:                             ;   in Loop: Header=BB1879_987 Depth=2
	s_waitcnt lgkmcnt(0)
	v_bcnt_u32_b32 v36, v36, v205
	ds_store_b32 v207, v36
.LBB1879_1055:                          ;   in Loop: Header=BB1879_987 Depth=2
	s_or_b32 exec_lo, exec_lo, s17
	; wave barrier
	s_waitcnt lgkmcnt(0)
	s_barrier
	buffer_gl0_inv
	ds_load_b32 v208, v69 offset:1056
	ds_load_2addr_b32 v[42:43], v71 offset0:1 offset1:2
	ds_load_2addr_b32 v[40:41], v71 offset0:3 offset1:4
	;; [unrolled: 1-line block ×4, first 2 shown]
	s_waitcnt lgkmcnt(3)
	v_add3_u32 v209, v42, v208, v43
	s_waitcnt lgkmcnt(2)
	s_delay_alu instid0(VALU_DEP_1) | instskip(SKIP_1) | instid1(VALU_DEP_1)
	v_add3_u32 v209, v209, v40, v41
	s_waitcnt lgkmcnt(1)
	v_add3_u32 v209, v209, v36, v37
	s_waitcnt lgkmcnt(0)
	s_delay_alu instid0(VALU_DEP_1) | instskip(NEXT) | instid1(VALU_DEP_1)
	v_add3_u32 v39, v209, v38, v39
	v_mov_b32_dpp v209, v39 row_shr:1 row_mask:0xf bank_mask:0xf
	s_delay_alu instid0(VALU_DEP_1) | instskip(NEXT) | instid1(VALU_DEP_1)
	v_cndmask_b32_e64 v209, v209, 0, s0
	v_add_nc_u32_e32 v39, v209, v39
	s_delay_alu instid0(VALU_DEP_1) | instskip(NEXT) | instid1(VALU_DEP_1)
	v_mov_b32_dpp v209, v39 row_shr:2 row_mask:0xf bank_mask:0xf
	v_cndmask_b32_e64 v209, 0, v209, s1
	s_delay_alu instid0(VALU_DEP_1) | instskip(NEXT) | instid1(VALU_DEP_1)
	v_add_nc_u32_e32 v39, v39, v209
	v_mov_b32_dpp v209, v39 row_shr:4 row_mask:0xf bank_mask:0xf
	s_delay_alu instid0(VALU_DEP_1) | instskip(NEXT) | instid1(VALU_DEP_1)
	v_cndmask_b32_e64 v209, 0, v209, s8
	v_add_nc_u32_e32 v39, v39, v209
	s_delay_alu instid0(VALU_DEP_1) | instskip(NEXT) | instid1(VALU_DEP_1)
	v_mov_b32_dpp v209, v39 row_shr:8 row_mask:0xf bank_mask:0xf
	v_cndmask_b32_e64 v209, 0, v209, s9
	s_delay_alu instid0(VALU_DEP_1) | instskip(SKIP_3) | instid1(VALU_DEP_1)
	v_add_nc_u32_e32 v39, v39, v209
	ds_swizzle_b32 v209, v39 offset:swizzle(BROADCAST,32,15)
	s_waitcnt lgkmcnt(0)
	v_cndmask_b32_e64 v209, v209, 0, s10
	v_add_nc_u32_e32 v39, v39, v209
	s_and_saveexec_b32 s17, s3
	s_cbranch_execz .LBB1879_1057
; %bb.1056:                             ;   in Loop: Header=BB1879_987 Depth=2
	ds_store_b32 v62, v39 offset:1024
.LBB1879_1057:                          ;   in Loop: Header=BB1879_987 Depth=2
	s_or_b32 exec_lo, exec_lo, s17
	s_waitcnt lgkmcnt(0)
	s_barrier
	buffer_gl0_inv
	s_and_saveexec_b32 s17, s4
	s_cbranch_execz .LBB1879_1059
; %bb.1058:                             ;   in Loop: Header=BB1879_987 Depth=2
	ds_load_b32 v209, v72 offset:1024
	s_waitcnt lgkmcnt(0)
	v_mov_b32_dpp v210, v209 row_shr:1 row_mask:0xf bank_mask:0xf
	s_delay_alu instid0(VALU_DEP_1) | instskip(NEXT) | instid1(VALU_DEP_1)
	v_cndmask_b32_e64 v210, v210, 0, s12
	v_add_nc_u32_e32 v209, v210, v209
	s_delay_alu instid0(VALU_DEP_1) | instskip(NEXT) | instid1(VALU_DEP_1)
	v_mov_b32_dpp v210, v209 row_shr:2 row_mask:0xf bank_mask:0xf
	v_cndmask_b32_e64 v210, 0, v210, s13
	s_delay_alu instid0(VALU_DEP_1) | instskip(NEXT) | instid1(VALU_DEP_1)
	v_add_nc_u32_e32 v209, v209, v210
	v_mov_b32_dpp v210, v209 row_shr:4 row_mask:0xf bank_mask:0xf
	s_delay_alu instid0(VALU_DEP_1) | instskip(NEXT) | instid1(VALU_DEP_1)
	v_cndmask_b32_e64 v210, 0, v210, s16
	v_add_nc_u32_e32 v209, v209, v210
	ds_store_b32 v72, v209 offset:1024
.LBB1879_1059:                          ;   in Loop: Header=BB1879_987 Depth=2
	s_or_b32 exec_lo, exec_lo, s17
	v_mov_b32_e32 v209, 0
	s_waitcnt lgkmcnt(0)
	s_barrier
	buffer_gl0_inv
	s_and_saveexec_b32 s17, s5
	s_cbranch_execz .LBB1879_1061
; %bb.1060:                             ;   in Loop: Header=BB1879_987 Depth=2
	ds_load_b32 v209, v62 offset:1020
.LBB1879_1061:                          ;   in Loop: Header=BB1879_987 Depth=2
	s_or_b32 exec_lo, exec_lo, s17
	s_waitcnt lgkmcnt(0)
	v_add_nc_u32_e32 v39, v209, v39
	ds_bpermute_b32 v39, v105, v39
	s_waitcnt lgkmcnt(0)
	v_cndmask_b32_e64 v39, v39, v209, s11
	s_delay_alu instid0(VALU_DEP_1) | instskip(NEXT) | instid1(VALU_DEP_1)
	v_cndmask_b32_e64 v39, v39, 0, s6
	v_add_nc_u32_e32 v208, v39, v208
	s_delay_alu instid0(VALU_DEP_1) | instskip(NEXT) | instid1(VALU_DEP_1)
	v_add_nc_u32_e32 v42, v208, v42
	v_add_nc_u32_e32 v43, v42, v43
	s_delay_alu instid0(VALU_DEP_1) | instskip(NEXT) | instid1(VALU_DEP_1)
	v_add_nc_u32_e32 v40, v43, v40
	;; [unrolled: 3-line block ×3, first 2 shown]
	v_add_nc_u32_e32 v37, v36, v37
	s_delay_alu instid0(VALU_DEP_1)
	v_add_nc_u32_e32 v38, v37, v38
	ds_store_b32 v69, v39 offset:1056
	ds_store_2addr_b32 v71, v208, v42 offset0:1 offset1:2
	ds_store_2addr_b32 v71, v43, v40 offset0:3 offset1:4
	;; [unrolled: 1-line block ×4, first 2 shown]
	v_mov_b32_e32 v38, 0x1000
	s_waitcnt lgkmcnt(0)
	s_barrier
	buffer_gl0_inv
	ds_load_b32 v39, v152
	ds_load_b32 v40, v156
	;; [unrolled: 1-line block ×16, first 2 shown]
	ds_load_b32 v156, v69 offset:1056
	s_and_saveexec_b32 s17, s7
	s_cbranch_execz .LBB1879_1063
; %bb.1062:                             ;   in Loop: Header=BB1879_987 Depth=2
	ds_load_b32 v38, v73 offset:1056
.LBB1879_1063:                          ;   in Loop: Header=BB1879_987 Depth=2
	s_or_b32 exec_lo, exec_lo, s17
	s_waitcnt lgkmcnt(0)
	s_barrier
	buffer_gl0_inv
	s_and_saveexec_b32 s17, s2
	s_cbranch_execz .LBB1879_1065
; %bb.1064:                             ;   in Loop: Header=BB1879_987 Depth=2
	ds_load_b32 v160, v44
	s_waitcnt lgkmcnt(0)
	v_sub_nc_u32_e32 v156, v160, v156
	ds_store_b32 v44, v156
.LBB1879_1065:                          ;   in Loop: Header=BB1879_987 Depth=2
	s_or_b32 exec_lo, exec_lo, s17
	v_add_nc_u32_e32 v168, v148, v146
	v_add3_u32 v164, v151, v150, v39
	v_add3_u32 v156, v159, v158, v41
	v_add3_u32 v160, v155, v154, v40
	v_add3_u32 v155, v163, v162, v42
	v_lshlrev_b32_e32 v158, 1, v168
	v_add3_u32 v154, v167, v166, v43
	v_add3_u32 v152, v172, v171, v152
	;; [unrolled: 1-line block ×3, first 2 shown]
	v_lshlrev_b32_e32 v36, 1, v164
	ds_store_b16 v158, v2 offset:1024
	v_lshlrev_b32_e32 v2, 1, v156
	v_add3_u32 v151, v175, v174, v173
	v_add3_u32 v41, v206, v205, v37
	v_lshlrev_b32_e32 v37, 1, v160
	v_lshlrev_b32_e32 v158, 1, v155
	v_add3_u32 v150, v179, v178, v176
	v_add3_u32 v146, v187, v186, v184
	ds_store_b16 v36, v147 offset:1024
	ds_store_b16 v37, v149 offset:1024
	v_lshlrev_b32_e32 v36, 1, v154
	ds_store_b16 v2, v153 offset:1024
	ds_store_b16 v158, v157 offset:1024
	v_lshlrev_b32_e32 v2, 1, v152
	v_add3_u32 v148, v183, v182, v180
	v_lshlrev_b32_e32 v37, 1, v151
	v_add3_u32 v42, v191, v190, v188
	v_add3_u32 v39, v199, v198, v196
	ds_store_b16 v36, v161 offset:1024
	v_lshlrev_b32_e32 v36, 1, v150
	ds_store_b16 v2, v165 offset:1024
	ds_store_b16 v37, v170 offset:1024
	v_lshlrev_b32_e32 v2, 1, v146
	v_add3_u32 v40, v195, v194, v192
	v_lshlrev_b32_e32 v147, 1, v148
	ds_store_b16 v36, v169 offset:1024
	ds_store_b16 v147, v177 offset:1024
	v_lshlrev_b32_e32 v36, 1, v42
	ds_store_b16 v2, v181 offset:1024
	v_lshlrev_b32_e32 v2, 1, v39
	v_lshlrev_b32_e32 v37, 1, v40
	v_lshlrev_b32_e32 v147, 1, v43
	ds_store_b16 v36, v185 offset:1024
	ds_store_b16 v37, v189 offset:1024
	v_lshlrev_b32_e32 v36, 1, v41
	ds_store_b16 v2, v193 offset:1024
	ds_store_b16 v147, v197 offset:1024
	v_cmp_lt_u32_e32 vcc_lo, v1, v145
	v_add_nc_u32_e32 v147, v72, v78
	ds_store_b16 v36, v201 offset:1024
	s_waitcnt lgkmcnt(0)
	s_barrier
	buffer_gl0_inv
	s_and_saveexec_b32 s18, vcc_lo
	s_cbranch_execz .LBB1879_1081
; %bb.1066:                             ;   in Loop: Header=BB1879_987 Depth=2
	ds_load_u16 v149, v147 offset:1024
	s_waitcnt lgkmcnt(0)
	v_cmp_ne_u16_e64 s17, 0x7fff, v149
	s_delay_alu instid0(VALU_DEP_1) | instskip(SKIP_1) | instid1(VALU_DEP_2)
	v_cndmask_b32_e64 v2, 0xffff8000, v149, s17
	v_cmp_lt_i16_e64 s17, -1, v149
	v_and_b32_e32 v2, 0xffff, v2
	s_delay_alu instid0(VALU_DEP_2) | instskip(NEXT) | instid1(VALU_DEP_2)
	v_cndmask_b32_e64 v153, 0xffff8000, -1, s17
	v_lshrrev_b32_e32 v2, s49, v2
	s_delay_alu instid0(VALU_DEP_1) | instskip(NEXT) | instid1(VALU_DEP_1)
	v_and_b32_e32 v2, s55, v2
	v_lshlrev_b32_e32 v2, 2, v2
	ds_load_b32 v2, v2
	s_waitcnt lgkmcnt(0)
	v_add_nc_u32_e32 v2, v2, v1
	s_delay_alu instid0(VALU_DEP_1) | instskip(SKIP_1) | instid1(VALU_DEP_2)
	v_lshlrev_b64 v[36:37], 1, v[2:3]
	v_xor_b32_e32 v2, v153, v149
	v_add_co_u32 v36, s17, s40, v36
	s_delay_alu instid0(VALU_DEP_1) | instskip(SKIP_3) | instid1(VALU_DEP_1)
	v_add_co_ci_u32_e64 v37, s17, s41, v37, s17
	global_store_b16 v[36:37], v2, off
	s_or_b32 exec_lo, exec_lo, s18
	v_cmp_lt_u32_e64 s17, v45, v145
	s_and_saveexec_b32 s19, s17
	s_cbranch_execnz .LBB1879_1082
.LBB1879_1067:                          ;   in Loop: Header=BB1879_987 Depth=2
	s_or_b32 exec_lo, exec_lo, s19
	v_cmp_lt_u32_e64 s18, v46, v145
	s_delay_alu instid0(VALU_DEP_1)
	s_and_saveexec_b32 s20, s18
	s_cbranch_execz .LBB1879_1083
.LBB1879_1068:                          ;   in Loop: Header=BB1879_987 Depth=2
	ds_load_u16 v149, v79 offset:1024
	s_waitcnt lgkmcnt(0)
	v_cmp_ne_u16_e64 s19, 0x7fff, v149
	s_delay_alu instid0(VALU_DEP_1) | instskip(SKIP_1) | instid1(VALU_DEP_2)
	v_cndmask_b32_e64 v2, 0xffff8000, v149, s19
	v_cmp_lt_i16_e64 s19, -1, v149
	v_and_b32_e32 v2, 0xffff, v2
	s_delay_alu instid0(VALU_DEP_2) | instskip(NEXT) | instid1(VALU_DEP_2)
	v_cndmask_b32_e64 v153, 0xffff8000, -1, s19
	v_lshrrev_b32_e32 v2, s49, v2
	s_delay_alu instid0(VALU_DEP_1) | instskip(NEXT) | instid1(VALU_DEP_1)
	v_and_b32_e32 v2, s55, v2
	v_lshlrev_b32_e32 v2, 2, v2
	ds_load_b32 v2, v2
	s_waitcnt lgkmcnt(0)
	v_add_nc_u32_e32 v2, v2, v46
	s_delay_alu instid0(VALU_DEP_1) | instskip(SKIP_1) | instid1(VALU_DEP_2)
	v_lshlrev_b64 v[36:37], 1, v[2:3]
	v_xor_b32_e32 v2, v153, v149
	v_add_co_u32 v36, s19, s40, v36
	s_delay_alu instid0(VALU_DEP_1) | instskip(SKIP_3) | instid1(VALU_DEP_1)
	v_add_co_ci_u32_e64 v37, s19, s41, v37, s19
	global_store_b16 v[36:37], v2, off
	s_or_b32 exec_lo, exec_lo, s20
	v_cmp_lt_u32_e64 s19, v47, v145
	s_and_saveexec_b32 s21, s19
	s_cbranch_execnz .LBB1879_1084
.LBB1879_1069:                          ;   in Loop: Header=BB1879_987 Depth=2
	s_or_b32 exec_lo, exec_lo, s21
	v_cmp_lt_u32_e64 s20, v51, v145
	s_delay_alu instid0(VALU_DEP_1)
	s_and_saveexec_b32 s22, s20
	s_cbranch_execz .LBB1879_1085
.LBB1879_1070:                          ;   in Loop: Header=BB1879_987 Depth=2
	ds_load_u16 v149, v79 offset:2048
	s_waitcnt lgkmcnt(0)
	v_cmp_ne_u16_e64 s21, 0x7fff, v149
	s_delay_alu instid0(VALU_DEP_1) | instskip(SKIP_1) | instid1(VALU_DEP_2)
	v_cndmask_b32_e64 v2, 0xffff8000, v149, s21
	v_cmp_lt_i16_e64 s21, -1, v149
	v_and_b32_e32 v2, 0xffff, v2
	s_delay_alu instid0(VALU_DEP_2) | instskip(NEXT) | instid1(VALU_DEP_2)
	v_cndmask_b32_e64 v153, 0xffff8000, -1, s21
	v_lshrrev_b32_e32 v2, s49, v2
	s_delay_alu instid0(VALU_DEP_1) | instskip(NEXT) | instid1(VALU_DEP_1)
	v_and_b32_e32 v2, s55, v2
	v_lshlrev_b32_e32 v2, 2, v2
	ds_load_b32 v2, v2
	s_waitcnt lgkmcnt(0)
	v_add_nc_u32_e32 v2, v2, v51
	s_delay_alu instid0(VALU_DEP_1) | instskip(SKIP_1) | instid1(VALU_DEP_2)
	v_lshlrev_b64 v[36:37], 1, v[2:3]
	v_xor_b32_e32 v2, v153, v149
	v_add_co_u32 v36, s21, s40, v36
	s_delay_alu instid0(VALU_DEP_1) | instskip(SKIP_3) | instid1(VALU_DEP_1)
	v_add_co_ci_u32_e64 v37, s21, s41, v37, s21
	global_store_b16 v[36:37], v2, off
	s_or_b32 exec_lo, exec_lo, s22
	v_cmp_lt_u32_e64 s21, v52, v145
	s_and_saveexec_b32 s23, s21
	s_cbranch_execnz .LBB1879_1086
.LBB1879_1071:                          ;   in Loop: Header=BB1879_987 Depth=2
	s_or_b32 exec_lo, exec_lo, s23
	v_cmp_lt_u32_e64 s22, v53, v145
	s_delay_alu instid0(VALU_DEP_1)
	s_and_saveexec_b32 s24, s22
	s_cbranch_execz .LBB1879_1087
.LBB1879_1072:                          ;   in Loop: Header=BB1879_987 Depth=2
	ds_load_u16 v149, v79 offset:3072
	s_waitcnt lgkmcnt(0)
	v_cmp_ne_u16_e64 s23, 0x7fff, v149
	s_delay_alu instid0(VALU_DEP_1) | instskip(SKIP_1) | instid1(VALU_DEP_2)
	v_cndmask_b32_e64 v2, 0xffff8000, v149, s23
	v_cmp_lt_i16_e64 s23, -1, v149
	v_and_b32_e32 v2, 0xffff, v2
	s_delay_alu instid0(VALU_DEP_2) | instskip(NEXT) | instid1(VALU_DEP_2)
	v_cndmask_b32_e64 v153, 0xffff8000, -1, s23
	v_lshrrev_b32_e32 v2, s49, v2
	s_delay_alu instid0(VALU_DEP_1) | instskip(NEXT) | instid1(VALU_DEP_1)
	v_and_b32_e32 v2, s55, v2
	v_lshlrev_b32_e32 v2, 2, v2
	ds_load_b32 v2, v2
	s_waitcnt lgkmcnt(0)
	v_add_nc_u32_e32 v2, v2, v53
	s_delay_alu instid0(VALU_DEP_1) | instskip(SKIP_1) | instid1(VALU_DEP_2)
	v_lshlrev_b64 v[36:37], 1, v[2:3]
	v_xor_b32_e32 v2, v153, v149
	v_add_co_u32 v36, s23, s40, v36
	s_delay_alu instid0(VALU_DEP_1) | instskip(SKIP_3) | instid1(VALU_DEP_1)
	v_add_co_ci_u32_e64 v37, s23, s41, v37, s23
	global_store_b16 v[36:37], v2, off
	s_or_b32 exec_lo, exec_lo, s24
	v_cmp_lt_u32_e64 s23, v54, v145
	s_and_saveexec_b32 s25, s23
	s_cbranch_execnz .LBB1879_1088
.LBB1879_1073:                          ;   in Loop: Header=BB1879_987 Depth=2
	s_or_b32 exec_lo, exec_lo, s25
	v_cmp_lt_u32_e64 s24, v55, v145
	s_delay_alu instid0(VALU_DEP_1)
	s_and_saveexec_b32 s26, s24
	s_cbranch_execz .LBB1879_1089
.LBB1879_1074:                          ;   in Loop: Header=BB1879_987 Depth=2
	ds_load_u16 v149, v79 offset:4096
	s_waitcnt lgkmcnt(0)
	v_cmp_ne_u16_e64 s25, 0x7fff, v149
	s_delay_alu instid0(VALU_DEP_1) | instskip(SKIP_1) | instid1(VALU_DEP_2)
	v_cndmask_b32_e64 v2, 0xffff8000, v149, s25
	v_cmp_lt_i16_e64 s25, -1, v149
	v_and_b32_e32 v2, 0xffff, v2
	s_delay_alu instid0(VALU_DEP_2) | instskip(NEXT) | instid1(VALU_DEP_2)
	v_cndmask_b32_e64 v153, 0xffff8000, -1, s25
	v_lshrrev_b32_e32 v2, s49, v2
	s_delay_alu instid0(VALU_DEP_1) | instskip(NEXT) | instid1(VALU_DEP_1)
	v_and_b32_e32 v2, s55, v2
	v_lshlrev_b32_e32 v2, 2, v2
	ds_load_b32 v2, v2
	s_waitcnt lgkmcnt(0)
	v_add_nc_u32_e32 v2, v2, v55
	s_delay_alu instid0(VALU_DEP_1) | instskip(SKIP_1) | instid1(VALU_DEP_2)
	v_lshlrev_b64 v[36:37], 1, v[2:3]
	v_xor_b32_e32 v2, v153, v149
	v_add_co_u32 v36, s25, s40, v36
	s_delay_alu instid0(VALU_DEP_1) | instskip(SKIP_3) | instid1(VALU_DEP_1)
	v_add_co_ci_u32_e64 v37, s25, s41, v37, s25
	global_store_b16 v[36:37], v2, off
	s_or_b32 exec_lo, exec_lo, s26
	v_cmp_lt_u32_e64 s25, v56, v145
	s_and_saveexec_b32 s27, s25
	s_cbranch_execnz .LBB1879_1090
.LBB1879_1075:                          ;   in Loop: Header=BB1879_987 Depth=2
	s_or_b32 exec_lo, exec_lo, s27
	v_cmp_lt_u32_e64 s26, v57, v145
	s_delay_alu instid0(VALU_DEP_1)
	s_and_saveexec_b32 s28, s26
	s_cbranch_execz .LBB1879_1091
.LBB1879_1076:                          ;   in Loop: Header=BB1879_987 Depth=2
	ds_load_u16 v149, v79 offset:5120
	s_waitcnt lgkmcnt(0)
	v_cmp_ne_u16_e64 s27, 0x7fff, v149
	s_delay_alu instid0(VALU_DEP_1) | instskip(SKIP_1) | instid1(VALU_DEP_2)
	v_cndmask_b32_e64 v2, 0xffff8000, v149, s27
	v_cmp_lt_i16_e64 s27, -1, v149
	v_and_b32_e32 v2, 0xffff, v2
	s_delay_alu instid0(VALU_DEP_2) | instskip(NEXT) | instid1(VALU_DEP_2)
	v_cndmask_b32_e64 v153, 0xffff8000, -1, s27
	v_lshrrev_b32_e32 v2, s49, v2
	s_delay_alu instid0(VALU_DEP_1) | instskip(NEXT) | instid1(VALU_DEP_1)
	v_and_b32_e32 v2, s55, v2
	v_lshlrev_b32_e32 v2, 2, v2
	ds_load_b32 v2, v2
	s_waitcnt lgkmcnt(0)
	v_add_nc_u32_e32 v2, v2, v57
	s_delay_alu instid0(VALU_DEP_1) | instskip(SKIP_1) | instid1(VALU_DEP_2)
	v_lshlrev_b64 v[36:37], 1, v[2:3]
	v_xor_b32_e32 v2, v153, v149
	v_add_co_u32 v36, s27, s40, v36
	s_delay_alu instid0(VALU_DEP_1) | instskip(SKIP_3) | instid1(VALU_DEP_1)
	v_add_co_ci_u32_e64 v37, s27, s41, v37, s27
	global_store_b16 v[36:37], v2, off
	s_or_b32 exec_lo, exec_lo, s28
	v_cmp_lt_u32_e64 s27, v58, v145
	s_and_saveexec_b32 s29, s27
	s_cbranch_execnz .LBB1879_1092
.LBB1879_1077:                          ;   in Loop: Header=BB1879_987 Depth=2
	s_or_b32 exec_lo, exec_lo, s29
	v_cmp_lt_u32_e64 s28, v59, v145
	s_delay_alu instid0(VALU_DEP_1)
	s_and_saveexec_b32 s30, s28
	s_cbranch_execz .LBB1879_1093
.LBB1879_1078:                          ;   in Loop: Header=BB1879_987 Depth=2
	ds_load_u16 v149, v79 offset:6144
	s_waitcnt lgkmcnt(0)
	v_cmp_ne_u16_e64 s29, 0x7fff, v149
	s_delay_alu instid0(VALU_DEP_1) | instskip(SKIP_1) | instid1(VALU_DEP_2)
	v_cndmask_b32_e64 v2, 0xffff8000, v149, s29
	v_cmp_lt_i16_e64 s29, -1, v149
	v_and_b32_e32 v2, 0xffff, v2
	s_delay_alu instid0(VALU_DEP_2) | instskip(NEXT) | instid1(VALU_DEP_2)
	v_cndmask_b32_e64 v153, 0xffff8000, -1, s29
	v_lshrrev_b32_e32 v2, s49, v2
	s_delay_alu instid0(VALU_DEP_1) | instskip(NEXT) | instid1(VALU_DEP_1)
	v_and_b32_e32 v2, s55, v2
	v_lshlrev_b32_e32 v2, 2, v2
	ds_load_b32 v2, v2
	s_waitcnt lgkmcnt(0)
	v_add_nc_u32_e32 v2, v2, v59
	s_delay_alu instid0(VALU_DEP_1) | instskip(SKIP_1) | instid1(VALU_DEP_2)
	v_lshlrev_b64 v[36:37], 1, v[2:3]
	v_xor_b32_e32 v2, v153, v149
	v_add_co_u32 v36, s29, s40, v36
	s_delay_alu instid0(VALU_DEP_1) | instskip(SKIP_3) | instid1(VALU_DEP_1)
	v_add_co_ci_u32_e64 v37, s29, s41, v37, s29
	global_store_b16 v[36:37], v2, off
	s_or_b32 exec_lo, exec_lo, s30
	v_cmp_lt_u32_e64 s29, v60, v145
	s_and_saveexec_b32 s31, s29
	s_cbranch_execnz .LBB1879_1094
.LBB1879_1079:                          ;   in Loop: Header=BB1879_987 Depth=2
	s_or_b32 exec_lo, exec_lo, s31
	v_cmp_lt_u32_e64 s30, v61, v145
	s_delay_alu instid0(VALU_DEP_1)
	s_and_saveexec_b32 s33, s30
	s_cbranch_execz .LBB1879_1095
.LBB1879_1080:                          ;   in Loop: Header=BB1879_987 Depth=2
	ds_load_u16 v149, v79 offset:7168
	s_waitcnt lgkmcnt(0)
	v_cmp_ne_u16_e64 s31, 0x7fff, v149
	s_delay_alu instid0(VALU_DEP_1) | instskip(SKIP_1) | instid1(VALU_DEP_2)
	v_cndmask_b32_e64 v2, 0xffff8000, v149, s31
	v_cmp_lt_i16_e64 s31, -1, v149
	v_and_b32_e32 v2, 0xffff, v2
	s_delay_alu instid0(VALU_DEP_2) | instskip(NEXT) | instid1(VALU_DEP_2)
	v_cndmask_b32_e64 v153, 0xffff8000, -1, s31
	v_lshrrev_b32_e32 v2, s49, v2
	s_delay_alu instid0(VALU_DEP_1) | instskip(NEXT) | instid1(VALU_DEP_1)
	v_and_b32_e32 v2, s55, v2
	v_lshlrev_b32_e32 v2, 2, v2
	ds_load_b32 v2, v2
	s_waitcnt lgkmcnt(0)
	v_add_nc_u32_e32 v2, v2, v61
	s_delay_alu instid0(VALU_DEP_1) | instskip(SKIP_1) | instid1(VALU_DEP_2)
	v_lshlrev_b64 v[36:37], 1, v[2:3]
	v_xor_b32_e32 v2, v153, v149
	v_add_co_u32 v36, s31, s40, v36
	s_delay_alu instid0(VALU_DEP_1) | instskip(SKIP_3) | instid1(VALU_DEP_1)
	v_add_co_ci_u32_e64 v37, s31, s41, v37, s31
	global_store_b16 v[36:37], v2, off
	s_or_b32 exec_lo, exec_lo, s33
	v_cmp_lt_u32_e64 s31, v63, v145
	s_and_saveexec_b32 s58, s31
	s_cbranch_execnz .LBB1879_1096
	s_branch .LBB1879_1097
.LBB1879_1081:                          ;   in Loop: Header=BB1879_987 Depth=2
	s_or_b32 exec_lo, exec_lo, s18
	v_cmp_lt_u32_e64 s17, v45, v145
	s_delay_alu instid0(VALU_DEP_1)
	s_and_saveexec_b32 s19, s17
	s_cbranch_execz .LBB1879_1067
.LBB1879_1082:                          ;   in Loop: Header=BB1879_987 Depth=2
	ds_load_u16 v149, v79 offset:512
	s_waitcnt lgkmcnt(0)
	v_cmp_ne_u16_e64 s18, 0x7fff, v149
	s_delay_alu instid0(VALU_DEP_1) | instskip(SKIP_1) | instid1(VALU_DEP_2)
	v_cndmask_b32_e64 v2, 0xffff8000, v149, s18
	v_cmp_lt_i16_e64 s18, -1, v149
	v_and_b32_e32 v2, 0xffff, v2
	s_delay_alu instid0(VALU_DEP_2) | instskip(NEXT) | instid1(VALU_DEP_2)
	v_cndmask_b32_e64 v153, 0xffff8000, -1, s18
	v_lshrrev_b32_e32 v2, s49, v2
	s_delay_alu instid0(VALU_DEP_1) | instskip(NEXT) | instid1(VALU_DEP_1)
	v_and_b32_e32 v2, s55, v2
	v_lshlrev_b32_e32 v2, 2, v2
	ds_load_b32 v2, v2
	s_waitcnt lgkmcnt(0)
	v_add_nc_u32_e32 v2, v2, v45
	s_delay_alu instid0(VALU_DEP_1) | instskip(SKIP_1) | instid1(VALU_DEP_2)
	v_lshlrev_b64 v[36:37], 1, v[2:3]
	v_xor_b32_e32 v2, v153, v149
	v_add_co_u32 v36, s18, s40, v36
	s_delay_alu instid0(VALU_DEP_1) | instskip(SKIP_3) | instid1(VALU_DEP_1)
	v_add_co_ci_u32_e64 v37, s18, s41, v37, s18
	global_store_b16 v[36:37], v2, off
	s_or_b32 exec_lo, exec_lo, s19
	v_cmp_lt_u32_e64 s18, v46, v145
	s_and_saveexec_b32 s20, s18
	s_cbranch_execnz .LBB1879_1068
.LBB1879_1083:                          ;   in Loop: Header=BB1879_987 Depth=2
	s_or_b32 exec_lo, exec_lo, s20
	v_cmp_lt_u32_e64 s19, v47, v145
	s_delay_alu instid0(VALU_DEP_1)
	s_and_saveexec_b32 s21, s19
	s_cbranch_execz .LBB1879_1069
.LBB1879_1084:                          ;   in Loop: Header=BB1879_987 Depth=2
	ds_load_u16 v149, v79 offset:1536
	s_waitcnt lgkmcnt(0)
	v_cmp_ne_u16_e64 s20, 0x7fff, v149
	s_delay_alu instid0(VALU_DEP_1) | instskip(SKIP_1) | instid1(VALU_DEP_2)
	v_cndmask_b32_e64 v2, 0xffff8000, v149, s20
	v_cmp_lt_i16_e64 s20, -1, v149
	v_and_b32_e32 v2, 0xffff, v2
	s_delay_alu instid0(VALU_DEP_2) | instskip(NEXT) | instid1(VALU_DEP_2)
	v_cndmask_b32_e64 v153, 0xffff8000, -1, s20
	v_lshrrev_b32_e32 v2, s49, v2
	s_delay_alu instid0(VALU_DEP_1) | instskip(NEXT) | instid1(VALU_DEP_1)
	v_and_b32_e32 v2, s55, v2
	v_lshlrev_b32_e32 v2, 2, v2
	ds_load_b32 v2, v2
	s_waitcnt lgkmcnt(0)
	v_add_nc_u32_e32 v2, v2, v47
	s_delay_alu instid0(VALU_DEP_1) | instskip(SKIP_1) | instid1(VALU_DEP_2)
	v_lshlrev_b64 v[36:37], 1, v[2:3]
	v_xor_b32_e32 v2, v153, v149
	v_add_co_u32 v36, s20, s40, v36
	s_delay_alu instid0(VALU_DEP_1) | instskip(SKIP_3) | instid1(VALU_DEP_1)
	v_add_co_ci_u32_e64 v37, s20, s41, v37, s20
	global_store_b16 v[36:37], v2, off
	s_or_b32 exec_lo, exec_lo, s21
	v_cmp_lt_u32_e64 s20, v51, v145
	s_and_saveexec_b32 s22, s20
	s_cbranch_execnz .LBB1879_1070
.LBB1879_1085:                          ;   in Loop: Header=BB1879_987 Depth=2
	s_or_b32 exec_lo, exec_lo, s22
	v_cmp_lt_u32_e64 s21, v52, v145
	s_delay_alu instid0(VALU_DEP_1)
	s_and_saveexec_b32 s23, s21
	s_cbranch_execz .LBB1879_1071
.LBB1879_1086:                          ;   in Loop: Header=BB1879_987 Depth=2
	ds_load_u16 v149, v79 offset:2560
	s_waitcnt lgkmcnt(0)
	v_cmp_ne_u16_e64 s22, 0x7fff, v149
	s_delay_alu instid0(VALU_DEP_1) | instskip(SKIP_1) | instid1(VALU_DEP_2)
	v_cndmask_b32_e64 v2, 0xffff8000, v149, s22
	v_cmp_lt_i16_e64 s22, -1, v149
	v_and_b32_e32 v2, 0xffff, v2
	s_delay_alu instid0(VALU_DEP_2) | instskip(NEXT) | instid1(VALU_DEP_2)
	v_cndmask_b32_e64 v153, 0xffff8000, -1, s22
	v_lshrrev_b32_e32 v2, s49, v2
	s_delay_alu instid0(VALU_DEP_1) | instskip(NEXT) | instid1(VALU_DEP_1)
	v_and_b32_e32 v2, s55, v2
	v_lshlrev_b32_e32 v2, 2, v2
	ds_load_b32 v2, v2
	s_waitcnt lgkmcnt(0)
	v_add_nc_u32_e32 v2, v2, v52
	s_delay_alu instid0(VALU_DEP_1) | instskip(SKIP_1) | instid1(VALU_DEP_2)
	v_lshlrev_b64 v[36:37], 1, v[2:3]
	v_xor_b32_e32 v2, v153, v149
	v_add_co_u32 v36, s22, s40, v36
	s_delay_alu instid0(VALU_DEP_1) | instskip(SKIP_3) | instid1(VALU_DEP_1)
	v_add_co_ci_u32_e64 v37, s22, s41, v37, s22
	global_store_b16 v[36:37], v2, off
	s_or_b32 exec_lo, exec_lo, s23
	v_cmp_lt_u32_e64 s22, v53, v145
	s_and_saveexec_b32 s24, s22
	s_cbranch_execnz .LBB1879_1072
.LBB1879_1087:                          ;   in Loop: Header=BB1879_987 Depth=2
	s_or_b32 exec_lo, exec_lo, s24
	v_cmp_lt_u32_e64 s23, v54, v145
	s_delay_alu instid0(VALU_DEP_1)
	s_and_saveexec_b32 s25, s23
	s_cbranch_execz .LBB1879_1073
.LBB1879_1088:                          ;   in Loop: Header=BB1879_987 Depth=2
	ds_load_u16 v149, v79 offset:3584
	s_waitcnt lgkmcnt(0)
	v_cmp_ne_u16_e64 s24, 0x7fff, v149
	s_delay_alu instid0(VALU_DEP_1) | instskip(SKIP_1) | instid1(VALU_DEP_2)
	v_cndmask_b32_e64 v2, 0xffff8000, v149, s24
	v_cmp_lt_i16_e64 s24, -1, v149
	v_and_b32_e32 v2, 0xffff, v2
	s_delay_alu instid0(VALU_DEP_2) | instskip(NEXT) | instid1(VALU_DEP_2)
	v_cndmask_b32_e64 v153, 0xffff8000, -1, s24
	v_lshrrev_b32_e32 v2, s49, v2
	s_delay_alu instid0(VALU_DEP_1) | instskip(NEXT) | instid1(VALU_DEP_1)
	v_and_b32_e32 v2, s55, v2
	v_lshlrev_b32_e32 v2, 2, v2
	ds_load_b32 v2, v2
	s_waitcnt lgkmcnt(0)
	v_add_nc_u32_e32 v2, v2, v54
	s_delay_alu instid0(VALU_DEP_1) | instskip(SKIP_1) | instid1(VALU_DEP_2)
	v_lshlrev_b64 v[36:37], 1, v[2:3]
	v_xor_b32_e32 v2, v153, v149
	v_add_co_u32 v36, s24, s40, v36
	s_delay_alu instid0(VALU_DEP_1) | instskip(SKIP_3) | instid1(VALU_DEP_1)
	v_add_co_ci_u32_e64 v37, s24, s41, v37, s24
	global_store_b16 v[36:37], v2, off
	s_or_b32 exec_lo, exec_lo, s25
	v_cmp_lt_u32_e64 s24, v55, v145
	s_and_saveexec_b32 s26, s24
	s_cbranch_execnz .LBB1879_1074
.LBB1879_1089:                          ;   in Loop: Header=BB1879_987 Depth=2
	s_or_b32 exec_lo, exec_lo, s26
	v_cmp_lt_u32_e64 s25, v56, v145
	s_delay_alu instid0(VALU_DEP_1)
	s_and_saveexec_b32 s27, s25
	s_cbranch_execz .LBB1879_1075
.LBB1879_1090:                          ;   in Loop: Header=BB1879_987 Depth=2
	ds_load_u16 v149, v79 offset:4608
	s_waitcnt lgkmcnt(0)
	v_cmp_ne_u16_e64 s26, 0x7fff, v149
	s_delay_alu instid0(VALU_DEP_1) | instskip(SKIP_1) | instid1(VALU_DEP_2)
	v_cndmask_b32_e64 v2, 0xffff8000, v149, s26
	v_cmp_lt_i16_e64 s26, -1, v149
	v_and_b32_e32 v2, 0xffff, v2
	s_delay_alu instid0(VALU_DEP_2) | instskip(NEXT) | instid1(VALU_DEP_2)
	v_cndmask_b32_e64 v153, 0xffff8000, -1, s26
	v_lshrrev_b32_e32 v2, s49, v2
	s_delay_alu instid0(VALU_DEP_1) | instskip(NEXT) | instid1(VALU_DEP_1)
	v_and_b32_e32 v2, s55, v2
	v_lshlrev_b32_e32 v2, 2, v2
	ds_load_b32 v2, v2
	s_waitcnt lgkmcnt(0)
	v_add_nc_u32_e32 v2, v2, v56
	s_delay_alu instid0(VALU_DEP_1) | instskip(SKIP_1) | instid1(VALU_DEP_2)
	v_lshlrev_b64 v[36:37], 1, v[2:3]
	v_xor_b32_e32 v2, v153, v149
	v_add_co_u32 v36, s26, s40, v36
	s_delay_alu instid0(VALU_DEP_1) | instskip(SKIP_3) | instid1(VALU_DEP_1)
	v_add_co_ci_u32_e64 v37, s26, s41, v37, s26
	global_store_b16 v[36:37], v2, off
	s_or_b32 exec_lo, exec_lo, s27
	v_cmp_lt_u32_e64 s26, v57, v145
	s_and_saveexec_b32 s28, s26
	s_cbranch_execnz .LBB1879_1076
.LBB1879_1091:                          ;   in Loop: Header=BB1879_987 Depth=2
	s_or_b32 exec_lo, exec_lo, s28
	v_cmp_lt_u32_e64 s27, v58, v145
	s_delay_alu instid0(VALU_DEP_1)
	s_and_saveexec_b32 s29, s27
	s_cbranch_execz .LBB1879_1077
.LBB1879_1092:                          ;   in Loop: Header=BB1879_987 Depth=2
	ds_load_u16 v149, v79 offset:5632
	s_waitcnt lgkmcnt(0)
	v_cmp_ne_u16_e64 s28, 0x7fff, v149
	s_delay_alu instid0(VALU_DEP_1) | instskip(SKIP_1) | instid1(VALU_DEP_2)
	v_cndmask_b32_e64 v2, 0xffff8000, v149, s28
	v_cmp_lt_i16_e64 s28, -1, v149
	v_and_b32_e32 v2, 0xffff, v2
	s_delay_alu instid0(VALU_DEP_2) | instskip(NEXT) | instid1(VALU_DEP_2)
	v_cndmask_b32_e64 v153, 0xffff8000, -1, s28
	v_lshrrev_b32_e32 v2, s49, v2
	s_delay_alu instid0(VALU_DEP_1) | instskip(NEXT) | instid1(VALU_DEP_1)
	v_and_b32_e32 v2, s55, v2
	v_lshlrev_b32_e32 v2, 2, v2
	ds_load_b32 v2, v2
	s_waitcnt lgkmcnt(0)
	v_add_nc_u32_e32 v2, v2, v58
	s_delay_alu instid0(VALU_DEP_1) | instskip(SKIP_1) | instid1(VALU_DEP_2)
	v_lshlrev_b64 v[36:37], 1, v[2:3]
	v_xor_b32_e32 v2, v153, v149
	v_add_co_u32 v36, s28, s40, v36
	s_delay_alu instid0(VALU_DEP_1) | instskip(SKIP_3) | instid1(VALU_DEP_1)
	v_add_co_ci_u32_e64 v37, s28, s41, v37, s28
	global_store_b16 v[36:37], v2, off
	s_or_b32 exec_lo, exec_lo, s29
	v_cmp_lt_u32_e64 s28, v59, v145
	s_and_saveexec_b32 s30, s28
	s_cbranch_execnz .LBB1879_1078
.LBB1879_1093:                          ;   in Loop: Header=BB1879_987 Depth=2
	s_or_b32 exec_lo, exec_lo, s30
	v_cmp_lt_u32_e64 s29, v60, v145
	s_delay_alu instid0(VALU_DEP_1)
	s_and_saveexec_b32 s31, s29
	s_cbranch_execz .LBB1879_1079
.LBB1879_1094:                          ;   in Loop: Header=BB1879_987 Depth=2
	ds_load_u16 v149, v79 offset:6656
	s_waitcnt lgkmcnt(0)
	v_cmp_ne_u16_e64 s30, 0x7fff, v149
	s_delay_alu instid0(VALU_DEP_1) | instskip(SKIP_1) | instid1(VALU_DEP_2)
	v_cndmask_b32_e64 v2, 0xffff8000, v149, s30
	v_cmp_lt_i16_e64 s30, -1, v149
	v_and_b32_e32 v2, 0xffff, v2
	s_delay_alu instid0(VALU_DEP_2) | instskip(NEXT) | instid1(VALU_DEP_2)
	v_cndmask_b32_e64 v153, 0xffff8000, -1, s30
	v_lshrrev_b32_e32 v2, s49, v2
	s_delay_alu instid0(VALU_DEP_1) | instskip(NEXT) | instid1(VALU_DEP_1)
	v_and_b32_e32 v2, s55, v2
	v_lshlrev_b32_e32 v2, 2, v2
	ds_load_b32 v2, v2
	s_waitcnt lgkmcnt(0)
	v_add_nc_u32_e32 v2, v2, v60
	s_delay_alu instid0(VALU_DEP_1) | instskip(SKIP_1) | instid1(VALU_DEP_2)
	v_lshlrev_b64 v[36:37], 1, v[2:3]
	v_xor_b32_e32 v2, v153, v149
	v_add_co_u32 v36, s30, s40, v36
	s_delay_alu instid0(VALU_DEP_1) | instskip(SKIP_3) | instid1(VALU_DEP_1)
	v_add_co_ci_u32_e64 v37, s30, s41, v37, s30
	global_store_b16 v[36:37], v2, off
	s_or_b32 exec_lo, exec_lo, s31
	v_cmp_lt_u32_e64 s30, v61, v145
	s_and_saveexec_b32 s33, s30
	s_cbranch_execnz .LBB1879_1080
.LBB1879_1095:                          ;   in Loop: Header=BB1879_987 Depth=2
	s_or_b32 exec_lo, exec_lo, s33
	v_cmp_lt_u32_e64 s31, v63, v145
	s_delay_alu instid0(VALU_DEP_1)
	s_and_saveexec_b32 s58, s31
	s_cbranch_execz .LBB1879_1097
.LBB1879_1096:                          ;   in Loop: Header=BB1879_987 Depth=2
	ds_load_u16 v149, v79 offset:7680
	s_waitcnt lgkmcnt(0)
	v_cmp_ne_u16_e64 s33, 0x7fff, v149
	s_delay_alu instid0(VALU_DEP_1) | instskip(SKIP_1) | instid1(VALU_DEP_2)
	v_cndmask_b32_e64 v2, 0xffff8000, v149, s33
	v_cmp_lt_i16_e64 s33, -1, v149
	v_and_b32_e32 v2, 0xffff, v2
	s_delay_alu instid0(VALU_DEP_2) | instskip(NEXT) | instid1(VALU_DEP_2)
	v_cndmask_b32_e64 v153, 0xffff8000, -1, s33
	v_lshrrev_b32_e32 v2, s49, v2
	s_delay_alu instid0(VALU_DEP_1) | instskip(NEXT) | instid1(VALU_DEP_1)
	v_and_b32_e32 v2, s55, v2
	v_lshlrev_b32_e32 v2, 2, v2
	ds_load_b32 v2, v2
	s_waitcnt lgkmcnt(0)
	v_add_nc_u32_e32 v2, v2, v63
	s_delay_alu instid0(VALU_DEP_1) | instskip(SKIP_1) | instid1(VALU_DEP_2)
	v_lshlrev_b64 v[36:37], 1, v[2:3]
	v_xor_b32_e32 v2, v153, v149
	v_add_co_u32 v36, s33, s40, v36
	s_delay_alu instid0(VALU_DEP_1)
	v_add_co_ci_u32_e64 v37, s33, s41, v37, s33
	global_store_b16 v[36:37], v2, off
.LBB1879_1097:                          ;   in Loop: Header=BB1879_987 Depth=2
	s_or_b32 exec_lo, exec_lo, s58
	s_lshl_b64 s[58:59], s[34:35], 3
	s_delay_alu instid0(SALU_CYCLE_1) | instskip(NEXT) | instid1(VALU_DEP_1)
	v_add_co_u32 v36, s33, v107, s58
	v_add_co_ci_u32_e64 v37, s33, s59, v108, s33
	v_cmp_lt_u32_e64 s33, v106, v145
	s_delay_alu instid0(VALU_DEP_1) | instskip(NEXT) | instid1(SALU_CYCLE_1)
	s_and_saveexec_b32 s34, s33
	s_xor_b32 s33, exec_lo, s34
	s_cbranch_execz .LBB1879_1129
; %bb.1098:                             ;   in Loop: Header=BB1879_987 Depth=2
	global_load_b64 v[34:35], v[36:37], off
	s_or_b32 exec_lo, exec_lo, s33
	s_delay_alu instid0(SALU_CYCLE_1)
	s_mov_b32 s34, exec_lo
	v_cmpx_lt_u32_e64 v109, v145
	s_cbranch_execnz .LBB1879_1130
.LBB1879_1099:                          ;   in Loop: Header=BB1879_987 Depth=2
	s_or_b32 exec_lo, exec_lo, s34
	s_delay_alu instid0(SALU_CYCLE_1)
	s_mov_b32 s34, exec_lo
	v_cmpx_lt_u32_e64 v110, v145
	s_cbranch_execz .LBB1879_1131
.LBB1879_1100:                          ;   in Loop: Header=BB1879_987 Depth=2
	global_load_b64 v[30:31], v[36:37], off offset:512
	s_or_b32 exec_lo, exec_lo, s34
	s_delay_alu instid0(SALU_CYCLE_1)
	s_mov_b32 s34, exec_lo
	v_cmpx_lt_u32_e64 v111, v145
	s_cbranch_execnz .LBB1879_1132
.LBB1879_1101:                          ;   in Loop: Header=BB1879_987 Depth=2
	s_or_b32 exec_lo, exec_lo, s34
	s_delay_alu instid0(SALU_CYCLE_1)
	s_mov_b32 s34, exec_lo
	v_cmpx_lt_u32_e64 v112, v145
	s_cbranch_execz .LBB1879_1133
.LBB1879_1102:                          ;   in Loop: Header=BB1879_987 Depth=2
	global_load_b64 v[26:27], v[36:37], off offset:1024
	s_or_b32 exec_lo, exec_lo, s34
	s_delay_alu instid0(SALU_CYCLE_1)
	s_mov_b32 s34, exec_lo
	v_cmpx_lt_u32_e64 v113, v145
	s_cbranch_execnz .LBB1879_1134
.LBB1879_1103:                          ;   in Loop: Header=BB1879_987 Depth=2
	s_or_b32 exec_lo, exec_lo, s34
	s_delay_alu instid0(SALU_CYCLE_1)
	s_mov_b32 s34, exec_lo
	v_cmpx_lt_u32_e64 v114, v145
	s_cbranch_execz .LBB1879_1135
.LBB1879_1104:                          ;   in Loop: Header=BB1879_987 Depth=2
	global_load_b64 v[22:23], v[36:37], off offset:1536
	s_or_b32 exec_lo, exec_lo, s34
	s_delay_alu instid0(SALU_CYCLE_1)
	s_mov_b32 s34, exec_lo
	v_cmpx_lt_u32_e64 v115, v145
	s_cbranch_execnz .LBB1879_1136
.LBB1879_1105:                          ;   in Loop: Header=BB1879_987 Depth=2
	s_or_b32 exec_lo, exec_lo, s34
	s_delay_alu instid0(SALU_CYCLE_1)
	s_mov_b32 s34, exec_lo
	v_cmpx_lt_u32_e64 v116, v145
	s_cbranch_execz .LBB1879_1137
.LBB1879_1106:                          ;   in Loop: Header=BB1879_987 Depth=2
	global_load_b64 v[18:19], v[36:37], off offset:2048
	s_or_b32 exec_lo, exec_lo, s34
	s_delay_alu instid0(SALU_CYCLE_1)
	s_mov_b32 s34, exec_lo
	v_cmpx_lt_u32_e64 v117, v145
	s_cbranch_execnz .LBB1879_1138
.LBB1879_1107:                          ;   in Loop: Header=BB1879_987 Depth=2
	s_or_b32 exec_lo, exec_lo, s34
	s_delay_alu instid0(SALU_CYCLE_1)
	s_mov_b32 s34, exec_lo
	v_cmpx_lt_u32_e64 v118, v145
	s_cbranch_execz .LBB1879_1139
.LBB1879_1108:                          ;   in Loop: Header=BB1879_987 Depth=2
	global_load_b64 v[14:15], v[36:37], off offset:2560
	s_or_b32 exec_lo, exec_lo, s34
	s_delay_alu instid0(SALU_CYCLE_1)
	s_mov_b32 s34, exec_lo
	v_cmpx_lt_u32_e64 v119, v145
	s_cbranch_execnz .LBB1879_1140
.LBB1879_1109:                          ;   in Loop: Header=BB1879_987 Depth=2
	s_or_b32 exec_lo, exec_lo, s34
	s_delay_alu instid0(SALU_CYCLE_1)
	s_mov_b32 s34, exec_lo
	v_cmpx_lt_u32_e64 v120, v145
	s_cbranch_execz .LBB1879_1141
.LBB1879_1110:                          ;   in Loop: Header=BB1879_987 Depth=2
	global_load_b64 v[10:11], v[36:37], off offset:3072
	s_or_b32 exec_lo, exec_lo, s34
	s_delay_alu instid0(SALU_CYCLE_1)
	s_mov_b32 s34, exec_lo
	v_cmpx_lt_u32_e64 v121, v145
	s_cbranch_execnz .LBB1879_1142
.LBB1879_1111:                          ;   in Loop: Header=BB1879_987 Depth=2
	s_or_b32 exec_lo, exec_lo, s34
	s_delay_alu instid0(SALU_CYCLE_1)
	s_mov_b32 s34, exec_lo
	v_cmpx_lt_u32_e64 v122, v145
	s_cbranch_execz .LBB1879_1143
.LBB1879_1112:                          ;   in Loop: Header=BB1879_987 Depth=2
	global_load_b64 v[6:7], v[36:37], off offset:3584
	s_or_b32 exec_lo, exec_lo, s34
	s_delay_alu instid0(SALU_CYCLE_1)
	s_mov_b32 s34, exec_lo
	v_cmpx_lt_u32_e64 v123, v145
	s_cbranch_execnz .LBB1879_1144
.LBB1879_1113:                          ;   in Loop: Header=BB1879_987 Depth=2
	s_or_b32 exec_lo, exec_lo, s34
	s_and_saveexec_b32 s34, vcc_lo
	s_cbranch_execz .LBB1879_1145
.LBB1879_1114:                          ;   in Loop: Header=BB1879_987 Depth=2
	ds_load_u16 v2, v147 offset:1024
	s_waitcnt lgkmcnt(0)
	v_cmp_ne_u16_e64 s33, 0x7fff, v2
	s_delay_alu instid0(VALU_DEP_1) | instskip(NEXT) | instid1(VALU_DEP_1)
	v_cndmask_b32_e64 v2, 0xffff8000, v2, s33
	v_and_b32_e32 v2, 0xffff, v2
	s_delay_alu instid0(VALU_DEP_1) | instskip(NEXT) | instid1(VALU_DEP_1)
	v_lshrrev_b32_e32 v2, s49, v2
	v_and_b32_e32 v144, s55, v2
	s_or_b32 exec_lo, exec_lo, s34
	s_and_saveexec_b32 s34, s17
	s_cbranch_execnz .LBB1879_1146
.LBB1879_1115:                          ;   in Loop: Header=BB1879_987 Depth=2
	s_or_b32 exec_lo, exec_lo, s34
	s_and_saveexec_b32 s34, s18
	s_cbranch_execz .LBB1879_1147
.LBB1879_1116:                          ;   in Loop: Header=BB1879_987 Depth=2
	ds_load_u16 v2, v79 offset:1024
	s_waitcnt lgkmcnt(0)
	v_cmp_ne_u16_e64 s33, 0x7fff, v2
	s_delay_alu instid0(VALU_DEP_1) | instskip(NEXT) | instid1(VALU_DEP_1)
	v_cndmask_b32_e64 v2, 0xffff8000, v2, s33
	v_and_b32_e32 v2, 0xffff, v2
	s_delay_alu instid0(VALU_DEP_1) | instskip(NEXT) | instid1(VALU_DEP_1)
	v_lshrrev_b32_e32 v2, s49, v2
	v_and_b32_e32 v142, s55, v2
	s_or_b32 exec_lo, exec_lo, s34
	s_and_saveexec_b32 s34, s19
	s_cbranch_execnz .LBB1879_1148
.LBB1879_1117:                          ;   in Loop: Header=BB1879_987 Depth=2
	s_or_b32 exec_lo, exec_lo, s34
	s_and_saveexec_b32 s34, s20
	s_cbranch_execz .LBB1879_1149
.LBB1879_1118:                          ;   in Loop: Header=BB1879_987 Depth=2
	ds_load_u16 v2, v79 offset:2048
	s_waitcnt lgkmcnt(0)
	v_cmp_ne_u16_e64 s33, 0x7fff, v2
	s_delay_alu instid0(VALU_DEP_1) | instskip(NEXT) | instid1(VALU_DEP_1)
	v_cndmask_b32_e64 v2, 0xffff8000, v2, s33
	v_and_b32_e32 v2, 0xffff, v2
	s_delay_alu instid0(VALU_DEP_1) | instskip(NEXT) | instid1(VALU_DEP_1)
	v_lshrrev_b32_e32 v2, s49, v2
	v_and_b32_e32 v140, s55, v2
	s_or_b32 exec_lo, exec_lo, s34
	s_and_saveexec_b32 s34, s21
	s_cbranch_execnz .LBB1879_1150
.LBB1879_1119:                          ;   in Loop: Header=BB1879_987 Depth=2
	s_or_b32 exec_lo, exec_lo, s34
	s_and_saveexec_b32 s34, s22
	s_cbranch_execz .LBB1879_1151
.LBB1879_1120:                          ;   in Loop: Header=BB1879_987 Depth=2
	ds_load_u16 v2, v79 offset:3072
	s_waitcnt lgkmcnt(0)
	v_cmp_ne_u16_e64 s33, 0x7fff, v2
	s_delay_alu instid0(VALU_DEP_1) | instskip(NEXT) | instid1(VALU_DEP_1)
	v_cndmask_b32_e64 v2, 0xffff8000, v2, s33
	v_and_b32_e32 v2, 0xffff, v2
	s_delay_alu instid0(VALU_DEP_1) | instskip(NEXT) | instid1(VALU_DEP_1)
	v_lshrrev_b32_e32 v2, s49, v2
	v_and_b32_e32 v138, s55, v2
	s_or_b32 exec_lo, exec_lo, s34
	s_and_saveexec_b32 s34, s23
	s_cbranch_execnz .LBB1879_1152
.LBB1879_1121:                          ;   in Loop: Header=BB1879_987 Depth=2
	s_or_b32 exec_lo, exec_lo, s34
	s_and_saveexec_b32 s34, s24
	s_cbranch_execz .LBB1879_1153
.LBB1879_1122:                          ;   in Loop: Header=BB1879_987 Depth=2
	ds_load_u16 v2, v79 offset:4096
	s_waitcnt lgkmcnt(0)
	v_cmp_ne_u16_e64 s33, 0x7fff, v2
	s_delay_alu instid0(VALU_DEP_1) | instskip(NEXT) | instid1(VALU_DEP_1)
	v_cndmask_b32_e64 v2, 0xffff8000, v2, s33
	v_and_b32_e32 v2, 0xffff, v2
	s_delay_alu instid0(VALU_DEP_1) | instskip(NEXT) | instid1(VALU_DEP_1)
	v_lshrrev_b32_e32 v2, s49, v2
	v_and_b32_e32 v136, s55, v2
	s_or_b32 exec_lo, exec_lo, s34
	s_and_saveexec_b32 s34, s25
	s_cbranch_execnz .LBB1879_1154
.LBB1879_1123:                          ;   in Loop: Header=BB1879_987 Depth=2
	s_or_b32 exec_lo, exec_lo, s34
	s_and_saveexec_b32 s34, s26
	s_cbranch_execz .LBB1879_1155
.LBB1879_1124:                          ;   in Loop: Header=BB1879_987 Depth=2
	ds_load_u16 v2, v79 offset:5120
	s_waitcnt lgkmcnt(0)
	v_cmp_ne_u16_e64 s33, 0x7fff, v2
	s_delay_alu instid0(VALU_DEP_1) | instskip(NEXT) | instid1(VALU_DEP_1)
	v_cndmask_b32_e64 v2, 0xffff8000, v2, s33
	v_and_b32_e32 v2, 0xffff, v2
	s_delay_alu instid0(VALU_DEP_1) | instskip(NEXT) | instid1(VALU_DEP_1)
	v_lshrrev_b32_e32 v2, s49, v2
	v_and_b32_e32 v134, s55, v2
	s_or_b32 exec_lo, exec_lo, s34
	s_and_saveexec_b32 s34, s27
	s_cbranch_execnz .LBB1879_1156
.LBB1879_1125:                          ;   in Loop: Header=BB1879_987 Depth=2
	s_or_b32 exec_lo, exec_lo, s34
	s_and_saveexec_b32 s34, s28
	s_cbranch_execz .LBB1879_1157
.LBB1879_1126:                          ;   in Loop: Header=BB1879_987 Depth=2
	ds_load_u16 v2, v79 offset:6144
	s_waitcnt lgkmcnt(0)
	v_cmp_ne_u16_e64 s33, 0x7fff, v2
	s_delay_alu instid0(VALU_DEP_1) | instskip(NEXT) | instid1(VALU_DEP_1)
	v_cndmask_b32_e64 v2, 0xffff8000, v2, s33
	v_and_b32_e32 v2, 0xffff, v2
	s_delay_alu instid0(VALU_DEP_1) | instskip(NEXT) | instid1(VALU_DEP_1)
	v_lshrrev_b32_e32 v2, s49, v2
	v_and_b32_e32 v132, s55, v2
	s_or_b32 exec_lo, exec_lo, s34
	s_and_saveexec_b32 s34, s29
	s_cbranch_execnz .LBB1879_1158
.LBB1879_1127:                          ;   in Loop: Header=BB1879_987 Depth=2
	s_or_b32 exec_lo, exec_lo, s34
	s_and_saveexec_b32 s34, s30
	s_cbranch_execz .LBB1879_1159
.LBB1879_1128:                          ;   in Loop: Header=BB1879_987 Depth=2
	ds_load_u16 v2, v79 offset:7168
	s_waitcnt lgkmcnt(0)
	v_cmp_ne_u16_e64 s33, 0x7fff, v2
	s_delay_alu instid0(VALU_DEP_1) | instskip(NEXT) | instid1(VALU_DEP_1)
	v_cndmask_b32_e64 v2, 0xffff8000, v2, s33
	v_and_b32_e32 v2, 0xffff, v2
	s_delay_alu instid0(VALU_DEP_1) | instskip(NEXT) | instid1(VALU_DEP_1)
	v_lshrrev_b32_e32 v2, s49, v2
	v_and_b32_e32 v130, s55, v2
	s_or_b32 exec_lo, exec_lo, s34
	s_and_saveexec_b32 s34, s31
	s_cbranch_execnz .LBB1879_1160
	s_branch .LBB1879_1161
.LBB1879_1129:                          ;   in Loop: Header=BB1879_987 Depth=2
	s_or_b32 exec_lo, exec_lo, s33
	s_delay_alu instid0(SALU_CYCLE_1)
	s_mov_b32 s34, exec_lo
	v_cmpx_lt_u32_e64 v109, v145
	s_cbranch_execz .LBB1879_1099
.LBB1879_1130:                          ;   in Loop: Header=BB1879_987 Depth=2
	global_load_b64 v[32:33], v[36:37], off offset:256
	s_or_b32 exec_lo, exec_lo, s34
	s_delay_alu instid0(SALU_CYCLE_1)
	s_mov_b32 s34, exec_lo
	v_cmpx_lt_u32_e64 v110, v145
	s_cbranch_execnz .LBB1879_1100
.LBB1879_1131:                          ;   in Loop: Header=BB1879_987 Depth=2
	s_or_b32 exec_lo, exec_lo, s34
	s_delay_alu instid0(SALU_CYCLE_1)
	s_mov_b32 s34, exec_lo
	v_cmpx_lt_u32_e64 v111, v145
	s_cbranch_execz .LBB1879_1101
.LBB1879_1132:                          ;   in Loop: Header=BB1879_987 Depth=2
	global_load_b64 v[28:29], v[36:37], off offset:768
	s_or_b32 exec_lo, exec_lo, s34
	s_delay_alu instid0(SALU_CYCLE_1)
	s_mov_b32 s34, exec_lo
	v_cmpx_lt_u32_e64 v112, v145
	s_cbranch_execnz .LBB1879_1102
.LBB1879_1133:                          ;   in Loop: Header=BB1879_987 Depth=2
	s_or_b32 exec_lo, exec_lo, s34
	s_delay_alu instid0(SALU_CYCLE_1)
	s_mov_b32 s34, exec_lo
	v_cmpx_lt_u32_e64 v113, v145
	s_cbranch_execz .LBB1879_1103
.LBB1879_1134:                          ;   in Loop: Header=BB1879_987 Depth=2
	global_load_b64 v[24:25], v[36:37], off offset:1280
	s_or_b32 exec_lo, exec_lo, s34
	s_delay_alu instid0(SALU_CYCLE_1)
	s_mov_b32 s34, exec_lo
	v_cmpx_lt_u32_e64 v114, v145
	s_cbranch_execnz .LBB1879_1104
.LBB1879_1135:                          ;   in Loop: Header=BB1879_987 Depth=2
	s_or_b32 exec_lo, exec_lo, s34
	s_delay_alu instid0(SALU_CYCLE_1)
	s_mov_b32 s34, exec_lo
	v_cmpx_lt_u32_e64 v115, v145
	s_cbranch_execz .LBB1879_1105
.LBB1879_1136:                          ;   in Loop: Header=BB1879_987 Depth=2
	global_load_b64 v[20:21], v[36:37], off offset:1792
	s_or_b32 exec_lo, exec_lo, s34
	s_delay_alu instid0(SALU_CYCLE_1)
	s_mov_b32 s34, exec_lo
	v_cmpx_lt_u32_e64 v116, v145
	s_cbranch_execnz .LBB1879_1106
.LBB1879_1137:                          ;   in Loop: Header=BB1879_987 Depth=2
	s_or_b32 exec_lo, exec_lo, s34
	s_delay_alu instid0(SALU_CYCLE_1)
	s_mov_b32 s34, exec_lo
	v_cmpx_lt_u32_e64 v117, v145
	s_cbranch_execz .LBB1879_1107
.LBB1879_1138:                          ;   in Loop: Header=BB1879_987 Depth=2
	global_load_b64 v[16:17], v[36:37], off offset:2304
	s_or_b32 exec_lo, exec_lo, s34
	s_delay_alu instid0(SALU_CYCLE_1)
	s_mov_b32 s34, exec_lo
	v_cmpx_lt_u32_e64 v118, v145
	s_cbranch_execnz .LBB1879_1108
.LBB1879_1139:                          ;   in Loop: Header=BB1879_987 Depth=2
	s_or_b32 exec_lo, exec_lo, s34
	s_delay_alu instid0(SALU_CYCLE_1)
	s_mov_b32 s34, exec_lo
	v_cmpx_lt_u32_e64 v119, v145
	s_cbranch_execz .LBB1879_1109
.LBB1879_1140:                          ;   in Loop: Header=BB1879_987 Depth=2
	global_load_b64 v[12:13], v[36:37], off offset:2816
	s_or_b32 exec_lo, exec_lo, s34
	s_delay_alu instid0(SALU_CYCLE_1)
	s_mov_b32 s34, exec_lo
	v_cmpx_lt_u32_e64 v120, v145
	s_cbranch_execnz .LBB1879_1110
.LBB1879_1141:                          ;   in Loop: Header=BB1879_987 Depth=2
	s_or_b32 exec_lo, exec_lo, s34
	s_delay_alu instid0(SALU_CYCLE_1)
	s_mov_b32 s34, exec_lo
	v_cmpx_lt_u32_e64 v121, v145
	s_cbranch_execz .LBB1879_1111
.LBB1879_1142:                          ;   in Loop: Header=BB1879_987 Depth=2
	global_load_b64 v[8:9], v[36:37], off offset:3328
	s_or_b32 exec_lo, exec_lo, s34
	s_delay_alu instid0(SALU_CYCLE_1)
	s_mov_b32 s34, exec_lo
	v_cmpx_lt_u32_e64 v122, v145
	s_cbranch_execnz .LBB1879_1112
.LBB1879_1143:                          ;   in Loop: Header=BB1879_987 Depth=2
	s_or_b32 exec_lo, exec_lo, s34
	s_delay_alu instid0(SALU_CYCLE_1)
	s_mov_b32 s34, exec_lo
	v_cmpx_lt_u32_e64 v123, v145
	s_cbranch_execz .LBB1879_1113
.LBB1879_1144:                          ;   in Loop: Header=BB1879_987 Depth=2
	global_load_b64 v[4:5], v[36:37], off offset:3840
	s_or_b32 exec_lo, exec_lo, s34
	s_and_saveexec_b32 s34, vcc_lo
	s_cbranch_execnz .LBB1879_1114
.LBB1879_1145:                          ;   in Loop: Header=BB1879_987 Depth=2
	s_or_b32 exec_lo, exec_lo, s34
	s_and_saveexec_b32 s34, s17
	s_cbranch_execz .LBB1879_1115
.LBB1879_1146:                          ;   in Loop: Header=BB1879_987 Depth=2
	ds_load_u16 v2, v79 offset:512
	s_waitcnt lgkmcnt(0)
	v_cmp_ne_u16_e64 s33, 0x7fff, v2
	s_delay_alu instid0(VALU_DEP_1) | instskip(NEXT) | instid1(VALU_DEP_1)
	v_cndmask_b32_e64 v2, 0xffff8000, v2, s33
	v_and_b32_e32 v2, 0xffff, v2
	s_delay_alu instid0(VALU_DEP_1) | instskip(NEXT) | instid1(VALU_DEP_1)
	v_lshrrev_b32_e32 v2, s49, v2
	v_and_b32_e32 v143, s55, v2
	s_or_b32 exec_lo, exec_lo, s34
	s_and_saveexec_b32 s34, s18
	s_cbranch_execnz .LBB1879_1116
.LBB1879_1147:                          ;   in Loop: Header=BB1879_987 Depth=2
	s_or_b32 exec_lo, exec_lo, s34
	s_and_saveexec_b32 s34, s19
	s_cbranch_execz .LBB1879_1117
.LBB1879_1148:                          ;   in Loop: Header=BB1879_987 Depth=2
	ds_load_u16 v2, v79 offset:1536
	s_waitcnt lgkmcnt(0)
	v_cmp_ne_u16_e64 s33, 0x7fff, v2
	s_delay_alu instid0(VALU_DEP_1) | instskip(NEXT) | instid1(VALU_DEP_1)
	v_cndmask_b32_e64 v2, 0xffff8000, v2, s33
	v_and_b32_e32 v2, 0xffff, v2
	s_delay_alu instid0(VALU_DEP_1) | instskip(NEXT) | instid1(VALU_DEP_1)
	v_lshrrev_b32_e32 v2, s49, v2
	v_and_b32_e32 v141, s55, v2
	s_or_b32 exec_lo, exec_lo, s34
	s_and_saveexec_b32 s34, s20
	s_cbranch_execnz .LBB1879_1118
.LBB1879_1149:                          ;   in Loop: Header=BB1879_987 Depth=2
	s_or_b32 exec_lo, exec_lo, s34
	s_and_saveexec_b32 s34, s21
	s_cbranch_execz .LBB1879_1119
.LBB1879_1150:                          ;   in Loop: Header=BB1879_987 Depth=2
	ds_load_u16 v2, v79 offset:2560
	s_waitcnt lgkmcnt(0)
	v_cmp_ne_u16_e64 s33, 0x7fff, v2
	s_delay_alu instid0(VALU_DEP_1) | instskip(NEXT) | instid1(VALU_DEP_1)
	v_cndmask_b32_e64 v2, 0xffff8000, v2, s33
	v_and_b32_e32 v2, 0xffff, v2
	s_delay_alu instid0(VALU_DEP_1) | instskip(NEXT) | instid1(VALU_DEP_1)
	v_lshrrev_b32_e32 v2, s49, v2
	v_and_b32_e32 v139, s55, v2
	s_or_b32 exec_lo, exec_lo, s34
	s_and_saveexec_b32 s34, s22
	s_cbranch_execnz .LBB1879_1120
.LBB1879_1151:                          ;   in Loop: Header=BB1879_987 Depth=2
	s_or_b32 exec_lo, exec_lo, s34
	s_and_saveexec_b32 s34, s23
	s_cbranch_execz .LBB1879_1121
.LBB1879_1152:                          ;   in Loop: Header=BB1879_987 Depth=2
	ds_load_u16 v2, v79 offset:3584
	s_waitcnt lgkmcnt(0)
	v_cmp_ne_u16_e64 s33, 0x7fff, v2
	s_delay_alu instid0(VALU_DEP_1) | instskip(NEXT) | instid1(VALU_DEP_1)
	v_cndmask_b32_e64 v2, 0xffff8000, v2, s33
	v_and_b32_e32 v2, 0xffff, v2
	s_delay_alu instid0(VALU_DEP_1) | instskip(NEXT) | instid1(VALU_DEP_1)
	v_lshrrev_b32_e32 v2, s49, v2
	v_and_b32_e32 v137, s55, v2
	s_or_b32 exec_lo, exec_lo, s34
	s_and_saveexec_b32 s34, s24
	s_cbranch_execnz .LBB1879_1122
.LBB1879_1153:                          ;   in Loop: Header=BB1879_987 Depth=2
	s_or_b32 exec_lo, exec_lo, s34
	s_and_saveexec_b32 s34, s25
	s_cbranch_execz .LBB1879_1123
.LBB1879_1154:                          ;   in Loop: Header=BB1879_987 Depth=2
	ds_load_u16 v2, v79 offset:4608
	s_waitcnt lgkmcnt(0)
	v_cmp_ne_u16_e64 s33, 0x7fff, v2
	s_delay_alu instid0(VALU_DEP_1) | instskip(NEXT) | instid1(VALU_DEP_1)
	v_cndmask_b32_e64 v2, 0xffff8000, v2, s33
	v_and_b32_e32 v2, 0xffff, v2
	s_delay_alu instid0(VALU_DEP_1) | instskip(NEXT) | instid1(VALU_DEP_1)
	v_lshrrev_b32_e32 v2, s49, v2
	v_and_b32_e32 v135, s55, v2
	s_or_b32 exec_lo, exec_lo, s34
	s_and_saveexec_b32 s34, s26
	s_cbranch_execnz .LBB1879_1124
.LBB1879_1155:                          ;   in Loop: Header=BB1879_987 Depth=2
	s_or_b32 exec_lo, exec_lo, s34
	s_and_saveexec_b32 s34, s27
	s_cbranch_execz .LBB1879_1125
.LBB1879_1156:                          ;   in Loop: Header=BB1879_987 Depth=2
	ds_load_u16 v2, v79 offset:5632
	s_waitcnt lgkmcnt(0)
	v_cmp_ne_u16_e64 s33, 0x7fff, v2
	s_delay_alu instid0(VALU_DEP_1) | instskip(NEXT) | instid1(VALU_DEP_1)
	v_cndmask_b32_e64 v2, 0xffff8000, v2, s33
	v_and_b32_e32 v2, 0xffff, v2
	s_delay_alu instid0(VALU_DEP_1) | instskip(NEXT) | instid1(VALU_DEP_1)
	v_lshrrev_b32_e32 v2, s49, v2
	v_and_b32_e32 v133, s55, v2
	s_or_b32 exec_lo, exec_lo, s34
	s_and_saveexec_b32 s34, s28
	s_cbranch_execnz .LBB1879_1126
.LBB1879_1157:                          ;   in Loop: Header=BB1879_987 Depth=2
	s_or_b32 exec_lo, exec_lo, s34
	s_and_saveexec_b32 s34, s29
	s_cbranch_execz .LBB1879_1127
.LBB1879_1158:                          ;   in Loop: Header=BB1879_987 Depth=2
	ds_load_u16 v2, v79 offset:6656
	s_waitcnt lgkmcnt(0)
	v_cmp_ne_u16_e64 s33, 0x7fff, v2
	s_delay_alu instid0(VALU_DEP_1) | instskip(NEXT) | instid1(VALU_DEP_1)
	v_cndmask_b32_e64 v2, 0xffff8000, v2, s33
	v_and_b32_e32 v2, 0xffff, v2
	s_delay_alu instid0(VALU_DEP_1) | instskip(NEXT) | instid1(VALU_DEP_1)
	v_lshrrev_b32_e32 v2, s49, v2
	v_and_b32_e32 v131, s55, v2
	s_or_b32 exec_lo, exec_lo, s34
	s_and_saveexec_b32 s34, s30
	s_cbranch_execnz .LBB1879_1128
.LBB1879_1159:                          ;   in Loop: Header=BB1879_987 Depth=2
	s_or_b32 exec_lo, exec_lo, s34
	s_and_saveexec_b32 s34, s31
	s_cbranch_execz .LBB1879_1161
.LBB1879_1160:                          ;   in Loop: Header=BB1879_987 Depth=2
	ds_load_u16 v2, v79 offset:7680
	s_waitcnt lgkmcnt(0)
	v_cmp_ne_u16_e64 s33, 0x7fff, v2
	s_delay_alu instid0(VALU_DEP_1) | instskip(NEXT) | instid1(VALU_DEP_1)
	v_cndmask_b32_e64 v2, 0xffff8000, v2, s33
	v_and_b32_e32 v2, 0xffff, v2
	s_delay_alu instid0(VALU_DEP_1) | instskip(NEXT) | instid1(VALU_DEP_1)
	v_lshrrev_b32_e32 v2, s49, v2
	v_and_b32_e32 v129, s55, v2
.LBB1879_1161:                          ;   in Loop: Header=BB1879_987 Depth=2
	s_or_b32 exec_lo, exec_lo, s34
	v_lshlrev_b32_e32 v2, 3, v168
	v_lshlrev_b32_e32 v36, 3, v164
	s_waitcnt vmcnt(0)
	s_waitcnt_vscnt null, 0x0
	s_barrier
	buffer_gl0_inv
	ds_store_b64 v2, v[34:35] offset:1024
	v_lshlrev_b32_e32 v2, 3, v160
	v_lshlrev_b32_e32 v37, 3, v156
	v_lshlrev_b32_e32 v145, 3, v155
	v_lshlrev_b32_e32 v147, 3, v154
	ds_store_b64 v36, v[32:33] offset:1024
	ds_store_b64 v2, v[30:31] offset:1024
	;; [unrolled: 1-line block ×5, first 2 shown]
	v_lshlrev_b32_e32 v2, 3, v152
	v_lshlrev_b32_e32 v36, 3, v151
	;; [unrolled: 1-line block ×5, first 2 shown]
	ds_store_b64 v2, v[22:23] offset:1024
	ds_store_b64 v36, v[20:21] offset:1024
	;; [unrolled: 1-line block ×5, first 2 shown]
	v_lshlrev_b32_e32 v2, 3, v42
	v_lshlrev_b32_e32 v36, 3, v40
	;; [unrolled: 1-line block ×5, first 2 shown]
	ds_store_b64 v2, v[12:13] offset:1024
	ds_store_b64 v36, v[10:11] offset:1024
	;; [unrolled: 1-line block ×5, first 2 shown]
	s_waitcnt lgkmcnt(0)
	s_barrier
	buffer_gl0_inv
	s_and_saveexec_b32 s33, vcc_lo
	s_cbranch_execz .LBB1879_1177
; %bb.1162:                             ;   in Loop: Header=BB1879_987 Depth=2
	v_lshlrev_b32_e32 v2, 2, v144
	ds_load_b32 v2, v2
	ds_load_b64 v[36:37], v80 offset:1024
	s_waitcnt lgkmcnt(1)
	v_add_nc_u32_e32 v2, v2, v1
	s_delay_alu instid0(VALU_DEP_1) | instskip(NEXT) | instid1(VALU_DEP_1)
	v_lshlrev_b64 v[39:40], 3, v[2:3]
	v_add_co_u32 v39, vcc_lo, s46, v39
	s_delay_alu instid0(VALU_DEP_2)
	v_add_co_ci_u32_e32 v40, vcc_lo, s47, v40, vcc_lo
	s_waitcnt lgkmcnt(0)
	global_store_b64 v[39:40], v[36:37], off
	s_or_b32 exec_lo, exec_lo, s33
	v_add_nc_u32_e32 v36, v79, v81
	s_and_saveexec_b32 s33, s17
	s_cbranch_execnz .LBB1879_1178
.LBB1879_1163:                          ;   in Loop: Header=BB1879_987 Depth=2
	s_or_b32 exec_lo, exec_lo, s33
	s_and_saveexec_b32 s17, s18
	s_cbranch_execz .LBB1879_1179
.LBB1879_1164:                          ;   in Loop: Header=BB1879_987 Depth=2
	v_lshlrev_b32_e32 v2, 2, v142
	ds_load_b32 v2, v2
	ds_load_b64 v[39:40], v36 offset:4096
	s_waitcnt lgkmcnt(1)
	v_add_nc_u32_e32 v2, v2, v46
	s_delay_alu instid0(VALU_DEP_1) | instskip(NEXT) | instid1(VALU_DEP_1)
	v_lshlrev_b64 v[41:42], 3, v[2:3]
	v_add_co_u32 v41, vcc_lo, s46, v41
	s_delay_alu instid0(VALU_DEP_2)
	v_add_co_ci_u32_e32 v42, vcc_lo, s47, v42, vcc_lo
	s_waitcnt lgkmcnt(0)
	global_store_b64 v[41:42], v[39:40], off
	s_or_b32 exec_lo, exec_lo, s17
	s_and_saveexec_b32 s17, s19
	s_cbranch_execnz .LBB1879_1180
.LBB1879_1165:                          ;   in Loop: Header=BB1879_987 Depth=2
	s_or_b32 exec_lo, exec_lo, s17
	s_and_saveexec_b32 s17, s20
	s_cbranch_execz .LBB1879_1181
.LBB1879_1166:                          ;   in Loop: Header=BB1879_987 Depth=2
	v_lshlrev_b32_e32 v2, 2, v140
	ds_load_b32 v2, v2
	ds_load_b64 v[39:40], v36 offset:8192
	s_waitcnt lgkmcnt(1)
	v_add_nc_u32_e32 v2, v2, v51
	s_delay_alu instid0(VALU_DEP_1) | instskip(NEXT) | instid1(VALU_DEP_1)
	v_lshlrev_b64 v[41:42], 3, v[2:3]
	v_add_co_u32 v41, vcc_lo, s46, v41
	s_delay_alu instid0(VALU_DEP_2)
	v_add_co_ci_u32_e32 v42, vcc_lo, s47, v42, vcc_lo
	s_waitcnt lgkmcnt(0)
	global_store_b64 v[41:42], v[39:40], off
	s_or_b32 exec_lo, exec_lo, s17
	s_and_saveexec_b32 s17, s21
	s_cbranch_execnz .LBB1879_1182
.LBB1879_1167:                          ;   in Loop: Header=BB1879_987 Depth=2
	s_or_b32 exec_lo, exec_lo, s17
	s_and_saveexec_b32 s17, s22
	s_cbranch_execz .LBB1879_1183
.LBB1879_1168:                          ;   in Loop: Header=BB1879_987 Depth=2
	v_lshlrev_b32_e32 v2, 2, v138
	ds_load_b32 v2, v2
	ds_load_b64 v[39:40], v36 offset:12288
	s_waitcnt lgkmcnt(1)
	v_add_nc_u32_e32 v2, v2, v53
	s_delay_alu instid0(VALU_DEP_1) | instskip(NEXT) | instid1(VALU_DEP_1)
	v_lshlrev_b64 v[41:42], 3, v[2:3]
	v_add_co_u32 v41, vcc_lo, s46, v41
	s_delay_alu instid0(VALU_DEP_2)
	v_add_co_ci_u32_e32 v42, vcc_lo, s47, v42, vcc_lo
	s_waitcnt lgkmcnt(0)
	global_store_b64 v[41:42], v[39:40], off
	s_or_b32 exec_lo, exec_lo, s17
	s_and_saveexec_b32 s17, s23
	s_cbranch_execnz .LBB1879_1184
.LBB1879_1169:                          ;   in Loop: Header=BB1879_987 Depth=2
	s_or_b32 exec_lo, exec_lo, s17
	s_and_saveexec_b32 s17, s24
	s_cbranch_execz .LBB1879_1185
.LBB1879_1170:                          ;   in Loop: Header=BB1879_987 Depth=2
	v_lshlrev_b32_e32 v2, 2, v136
	ds_load_b32 v2, v2
	ds_load_b64 v[39:40], v36 offset:16384
	s_waitcnt lgkmcnt(1)
	v_add_nc_u32_e32 v2, v2, v55
	s_delay_alu instid0(VALU_DEP_1) | instskip(NEXT) | instid1(VALU_DEP_1)
	v_lshlrev_b64 v[41:42], 3, v[2:3]
	v_add_co_u32 v41, vcc_lo, s46, v41
	s_delay_alu instid0(VALU_DEP_2)
	v_add_co_ci_u32_e32 v42, vcc_lo, s47, v42, vcc_lo
	s_waitcnt lgkmcnt(0)
	global_store_b64 v[41:42], v[39:40], off
	s_or_b32 exec_lo, exec_lo, s17
	s_and_saveexec_b32 s17, s25
	s_cbranch_execnz .LBB1879_1186
.LBB1879_1171:                          ;   in Loop: Header=BB1879_987 Depth=2
	s_or_b32 exec_lo, exec_lo, s17
	s_and_saveexec_b32 s17, s26
	s_cbranch_execz .LBB1879_1187
.LBB1879_1172:                          ;   in Loop: Header=BB1879_987 Depth=2
	v_lshlrev_b32_e32 v2, 2, v134
	ds_load_b32 v2, v2
	ds_load_b64 v[39:40], v36 offset:20480
	s_waitcnt lgkmcnt(1)
	v_add_nc_u32_e32 v2, v2, v57
	s_delay_alu instid0(VALU_DEP_1) | instskip(NEXT) | instid1(VALU_DEP_1)
	v_lshlrev_b64 v[41:42], 3, v[2:3]
	v_add_co_u32 v41, vcc_lo, s46, v41
	s_delay_alu instid0(VALU_DEP_2)
	v_add_co_ci_u32_e32 v42, vcc_lo, s47, v42, vcc_lo
	s_waitcnt lgkmcnt(0)
	global_store_b64 v[41:42], v[39:40], off
	s_or_b32 exec_lo, exec_lo, s17
	s_and_saveexec_b32 s17, s27
	s_cbranch_execnz .LBB1879_1188
.LBB1879_1173:                          ;   in Loop: Header=BB1879_987 Depth=2
	s_or_b32 exec_lo, exec_lo, s17
	s_and_saveexec_b32 s17, s28
	s_cbranch_execz .LBB1879_1189
.LBB1879_1174:                          ;   in Loop: Header=BB1879_987 Depth=2
	v_lshlrev_b32_e32 v2, 2, v132
	ds_load_b32 v2, v2
	ds_load_b64 v[39:40], v36 offset:24576
	s_waitcnt lgkmcnt(1)
	v_add_nc_u32_e32 v2, v2, v59
	s_delay_alu instid0(VALU_DEP_1) | instskip(NEXT) | instid1(VALU_DEP_1)
	v_lshlrev_b64 v[41:42], 3, v[2:3]
	v_add_co_u32 v41, vcc_lo, s46, v41
	s_delay_alu instid0(VALU_DEP_2)
	v_add_co_ci_u32_e32 v42, vcc_lo, s47, v42, vcc_lo
	s_waitcnt lgkmcnt(0)
	global_store_b64 v[41:42], v[39:40], off
	s_or_b32 exec_lo, exec_lo, s17
	s_and_saveexec_b32 s17, s29
	s_cbranch_execnz .LBB1879_1190
.LBB1879_1175:                          ;   in Loop: Header=BB1879_987 Depth=2
	s_or_b32 exec_lo, exec_lo, s17
	s_and_saveexec_b32 s17, s30
	s_cbranch_execz .LBB1879_1191
.LBB1879_1176:                          ;   in Loop: Header=BB1879_987 Depth=2
	v_lshlrev_b32_e32 v2, 2, v130
	ds_load_b32 v2, v2
	ds_load_b64 v[39:40], v36 offset:28672
	s_waitcnt lgkmcnt(1)
	v_add_nc_u32_e32 v2, v2, v61
	s_delay_alu instid0(VALU_DEP_1) | instskip(NEXT) | instid1(VALU_DEP_1)
	v_lshlrev_b64 v[41:42], 3, v[2:3]
	v_add_co_u32 v41, vcc_lo, s46, v41
	s_delay_alu instid0(VALU_DEP_2)
	v_add_co_ci_u32_e32 v42, vcc_lo, s47, v42, vcc_lo
	s_waitcnt lgkmcnt(0)
	global_store_b64 v[41:42], v[39:40], off
	s_or_b32 exec_lo, exec_lo, s17
	s_and_saveexec_b32 s17, s31
	s_cbranch_execnz .LBB1879_1192
	s_branch .LBB1879_1193
.LBB1879_1177:                          ;   in Loop: Header=BB1879_987 Depth=2
	s_or_b32 exec_lo, exec_lo, s33
	v_add_nc_u32_e32 v36, v79, v81
	s_and_saveexec_b32 s33, s17
	s_cbranch_execz .LBB1879_1163
.LBB1879_1178:                          ;   in Loop: Header=BB1879_987 Depth=2
	v_lshlrev_b32_e32 v2, 2, v143
	ds_load_b32 v2, v2
	ds_load_b64 v[39:40], v36 offset:2048
	s_waitcnt lgkmcnt(1)
	v_add_nc_u32_e32 v2, v2, v45
	s_delay_alu instid0(VALU_DEP_1) | instskip(NEXT) | instid1(VALU_DEP_1)
	v_lshlrev_b64 v[41:42], 3, v[2:3]
	v_add_co_u32 v41, vcc_lo, s46, v41
	s_delay_alu instid0(VALU_DEP_2)
	v_add_co_ci_u32_e32 v42, vcc_lo, s47, v42, vcc_lo
	s_waitcnt lgkmcnt(0)
	global_store_b64 v[41:42], v[39:40], off
	s_or_b32 exec_lo, exec_lo, s33
	s_and_saveexec_b32 s17, s18
	s_cbranch_execnz .LBB1879_1164
.LBB1879_1179:                          ;   in Loop: Header=BB1879_987 Depth=2
	s_or_b32 exec_lo, exec_lo, s17
	s_and_saveexec_b32 s17, s19
	s_cbranch_execz .LBB1879_1165
.LBB1879_1180:                          ;   in Loop: Header=BB1879_987 Depth=2
	v_lshlrev_b32_e32 v2, 2, v141
	ds_load_b32 v2, v2
	ds_load_b64 v[39:40], v36 offset:6144
	s_waitcnt lgkmcnt(1)
	v_add_nc_u32_e32 v2, v2, v47
	s_delay_alu instid0(VALU_DEP_1) | instskip(NEXT) | instid1(VALU_DEP_1)
	v_lshlrev_b64 v[41:42], 3, v[2:3]
	v_add_co_u32 v41, vcc_lo, s46, v41
	s_delay_alu instid0(VALU_DEP_2)
	v_add_co_ci_u32_e32 v42, vcc_lo, s47, v42, vcc_lo
	s_waitcnt lgkmcnt(0)
	global_store_b64 v[41:42], v[39:40], off
	s_or_b32 exec_lo, exec_lo, s17
	s_and_saveexec_b32 s17, s20
	s_cbranch_execnz .LBB1879_1166
.LBB1879_1181:                          ;   in Loop: Header=BB1879_987 Depth=2
	s_or_b32 exec_lo, exec_lo, s17
	s_and_saveexec_b32 s17, s21
	s_cbranch_execz .LBB1879_1167
.LBB1879_1182:                          ;   in Loop: Header=BB1879_987 Depth=2
	v_lshlrev_b32_e32 v2, 2, v139
	ds_load_b32 v2, v2
	ds_load_b64 v[39:40], v36 offset:10240
	s_waitcnt lgkmcnt(1)
	v_add_nc_u32_e32 v2, v2, v52
	s_delay_alu instid0(VALU_DEP_1) | instskip(NEXT) | instid1(VALU_DEP_1)
	v_lshlrev_b64 v[41:42], 3, v[2:3]
	v_add_co_u32 v41, vcc_lo, s46, v41
	s_delay_alu instid0(VALU_DEP_2)
	v_add_co_ci_u32_e32 v42, vcc_lo, s47, v42, vcc_lo
	s_waitcnt lgkmcnt(0)
	global_store_b64 v[41:42], v[39:40], off
	s_or_b32 exec_lo, exec_lo, s17
	s_and_saveexec_b32 s17, s22
	s_cbranch_execnz .LBB1879_1168
.LBB1879_1183:                          ;   in Loop: Header=BB1879_987 Depth=2
	s_or_b32 exec_lo, exec_lo, s17
	s_and_saveexec_b32 s17, s23
	s_cbranch_execz .LBB1879_1169
.LBB1879_1184:                          ;   in Loop: Header=BB1879_987 Depth=2
	v_lshlrev_b32_e32 v2, 2, v137
	ds_load_b32 v2, v2
	ds_load_b64 v[39:40], v36 offset:14336
	s_waitcnt lgkmcnt(1)
	v_add_nc_u32_e32 v2, v2, v54
	s_delay_alu instid0(VALU_DEP_1) | instskip(NEXT) | instid1(VALU_DEP_1)
	v_lshlrev_b64 v[41:42], 3, v[2:3]
	v_add_co_u32 v41, vcc_lo, s46, v41
	s_delay_alu instid0(VALU_DEP_2)
	v_add_co_ci_u32_e32 v42, vcc_lo, s47, v42, vcc_lo
	s_waitcnt lgkmcnt(0)
	global_store_b64 v[41:42], v[39:40], off
	s_or_b32 exec_lo, exec_lo, s17
	s_and_saveexec_b32 s17, s24
	s_cbranch_execnz .LBB1879_1170
.LBB1879_1185:                          ;   in Loop: Header=BB1879_987 Depth=2
	s_or_b32 exec_lo, exec_lo, s17
	s_and_saveexec_b32 s17, s25
	s_cbranch_execz .LBB1879_1171
.LBB1879_1186:                          ;   in Loop: Header=BB1879_987 Depth=2
	v_lshlrev_b32_e32 v2, 2, v135
	ds_load_b32 v2, v2
	ds_load_b64 v[39:40], v36 offset:18432
	s_waitcnt lgkmcnt(1)
	v_add_nc_u32_e32 v2, v2, v56
	s_delay_alu instid0(VALU_DEP_1) | instskip(NEXT) | instid1(VALU_DEP_1)
	v_lshlrev_b64 v[41:42], 3, v[2:3]
	v_add_co_u32 v41, vcc_lo, s46, v41
	s_delay_alu instid0(VALU_DEP_2)
	v_add_co_ci_u32_e32 v42, vcc_lo, s47, v42, vcc_lo
	s_waitcnt lgkmcnt(0)
	global_store_b64 v[41:42], v[39:40], off
	s_or_b32 exec_lo, exec_lo, s17
	s_and_saveexec_b32 s17, s26
	s_cbranch_execnz .LBB1879_1172
.LBB1879_1187:                          ;   in Loop: Header=BB1879_987 Depth=2
	s_or_b32 exec_lo, exec_lo, s17
	s_and_saveexec_b32 s17, s27
	s_cbranch_execz .LBB1879_1173
.LBB1879_1188:                          ;   in Loop: Header=BB1879_987 Depth=2
	v_lshlrev_b32_e32 v2, 2, v133
	ds_load_b32 v2, v2
	ds_load_b64 v[39:40], v36 offset:22528
	s_waitcnt lgkmcnt(1)
	v_add_nc_u32_e32 v2, v2, v58
	s_delay_alu instid0(VALU_DEP_1) | instskip(NEXT) | instid1(VALU_DEP_1)
	v_lshlrev_b64 v[41:42], 3, v[2:3]
	v_add_co_u32 v41, vcc_lo, s46, v41
	s_delay_alu instid0(VALU_DEP_2)
	v_add_co_ci_u32_e32 v42, vcc_lo, s47, v42, vcc_lo
	s_waitcnt lgkmcnt(0)
	global_store_b64 v[41:42], v[39:40], off
	s_or_b32 exec_lo, exec_lo, s17
	s_and_saveexec_b32 s17, s28
	s_cbranch_execnz .LBB1879_1174
.LBB1879_1189:                          ;   in Loop: Header=BB1879_987 Depth=2
	s_or_b32 exec_lo, exec_lo, s17
	s_and_saveexec_b32 s17, s29
	s_cbranch_execz .LBB1879_1175
.LBB1879_1190:                          ;   in Loop: Header=BB1879_987 Depth=2
	v_lshlrev_b32_e32 v2, 2, v131
	ds_load_b32 v2, v2
	ds_load_b64 v[39:40], v36 offset:26624
	s_waitcnt lgkmcnt(1)
	v_add_nc_u32_e32 v2, v2, v60
	s_delay_alu instid0(VALU_DEP_1) | instskip(NEXT) | instid1(VALU_DEP_1)
	v_lshlrev_b64 v[41:42], 3, v[2:3]
	v_add_co_u32 v41, vcc_lo, s46, v41
	s_delay_alu instid0(VALU_DEP_2)
	v_add_co_ci_u32_e32 v42, vcc_lo, s47, v42, vcc_lo
	s_waitcnt lgkmcnt(0)
	global_store_b64 v[41:42], v[39:40], off
	s_or_b32 exec_lo, exec_lo, s17
	s_and_saveexec_b32 s17, s30
	s_cbranch_execnz .LBB1879_1176
.LBB1879_1191:                          ;   in Loop: Header=BB1879_987 Depth=2
	s_or_b32 exec_lo, exec_lo, s17
	s_and_saveexec_b32 s17, s31
	s_cbranch_execz .LBB1879_1193
.LBB1879_1192:                          ;   in Loop: Header=BB1879_987 Depth=2
	v_lshlrev_b32_e32 v2, 2, v129
	ds_load_b32 v2, v2
	ds_load_b64 v[36:37], v36 offset:30720
	s_waitcnt lgkmcnt(1)
	v_add_nc_u32_e32 v2, v2, v63
	s_delay_alu instid0(VALU_DEP_1) | instskip(NEXT) | instid1(VALU_DEP_1)
	v_lshlrev_b64 v[39:40], 3, v[2:3]
	v_add_co_u32 v39, vcc_lo, s46, v39
	s_delay_alu instid0(VALU_DEP_2)
	v_add_co_ci_u32_e32 v40, vcc_lo, s47, v40, vcc_lo
	s_waitcnt lgkmcnt(0)
	global_store_b64 v[39:40], v[36:37], off
.LBB1879_1193:                          ;   in Loop: Header=BB1879_987 Depth=2
	s_or_b32 exec_lo, exec_lo, s17
	s_waitcnt_vscnt null, 0x0
	s_barrier
	buffer_gl0_inv
	s_and_saveexec_b32 s17, s2
	s_cbranch_execz .LBB1879_986
; %bb.1194:                             ;   in Loop: Header=BB1879_987 Depth=2
	ds_load_b32 v2, v44
	s_waitcnt lgkmcnt(0)
	v_add_nc_u32_e32 v2, v2, v38
	ds_store_b32 v44, v2
	s_branch .LBB1879_986
.LBB1879_1195:
	s_endpgm
	.section	.rodata,"a",@progbits
	.p2align	6, 0x0
	.amdhsa_kernel _ZN7rocprim17ROCPRIM_400000_NS6detail17trampoline_kernelINS0_14default_configENS1_36segmented_radix_sort_config_selectorI6__halflEEZNS1_25segmented_radix_sort_implIS3_Lb0EPKS5_PS5_PKlPlN2at6native12_GLOBAL__N_18offset_tEEE10hipError_tPvRmT1_PNSt15iterator_traitsISL_E10value_typeET2_T3_PNSM_ISR_E10value_typeET4_jRbjT5_SX_jjP12ihipStream_tbEUlT_E2_NS1_11comp_targetILNS1_3genE9ELNS1_11target_archE1100ELNS1_3gpuE3ELNS1_3repE0EEENS1_30default_config_static_selectorELNS0_4arch9wavefront6targetE0EEEvSL_
		.amdhsa_group_segment_fixed_size 33824
		.amdhsa_private_segment_fixed_size 220
		.amdhsa_kernarg_size 336
		.amdhsa_user_sgpr_count 14
		.amdhsa_user_sgpr_dispatch_ptr 0
		.amdhsa_user_sgpr_queue_ptr 0
		.amdhsa_user_sgpr_kernarg_segment_ptr 1
		.amdhsa_user_sgpr_dispatch_id 0
		.amdhsa_user_sgpr_private_segment_size 0
		.amdhsa_wavefront_size32 1
		.amdhsa_uses_dynamic_stack 0
		.amdhsa_enable_private_segment 1
		.amdhsa_system_sgpr_workgroup_id_x 1
		.amdhsa_system_sgpr_workgroup_id_y 1
		.amdhsa_system_sgpr_workgroup_id_z 0
		.amdhsa_system_sgpr_workgroup_info 0
		.amdhsa_system_vgpr_workitem_id 2
		.amdhsa_next_free_vgpr 248
		.amdhsa_next_free_sgpr 60
		.amdhsa_reserve_vcc 1
		.amdhsa_float_round_mode_32 0
		.amdhsa_float_round_mode_16_64 0
		.amdhsa_float_denorm_mode_32 3
		.amdhsa_float_denorm_mode_16_64 3
		.amdhsa_dx10_clamp 1
		.amdhsa_ieee_mode 1
		.amdhsa_fp16_overflow 0
		.amdhsa_workgroup_processor_mode 1
		.amdhsa_memory_ordered 1
		.amdhsa_forward_progress 0
		.amdhsa_shared_vgpr_count 0
		.amdhsa_exception_fp_ieee_invalid_op 0
		.amdhsa_exception_fp_denorm_src 0
		.amdhsa_exception_fp_ieee_div_zero 0
		.amdhsa_exception_fp_ieee_overflow 0
		.amdhsa_exception_fp_ieee_underflow 0
		.amdhsa_exception_fp_ieee_inexact 0
		.amdhsa_exception_int_div_zero 0
	.end_amdhsa_kernel
	.section	.text._ZN7rocprim17ROCPRIM_400000_NS6detail17trampoline_kernelINS0_14default_configENS1_36segmented_radix_sort_config_selectorI6__halflEEZNS1_25segmented_radix_sort_implIS3_Lb0EPKS5_PS5_PKlPlN2at6native12_GLOBAL__N_18offset_tEEE10hipError_tPvRmT1_PNSt15iterator_traitsISL_E10value_typeET2_T3_PNSM_ISR_E10value_typeET4_jRbjT5_SX_jjP12ihipStream_tbEUlT_E2_NS1_11comp_targetILNS1_3genE9ELNS1_11target_archE1100ELNS1_3gpuE3ELNS1_3repE0EEENS1_30default_config_static_selectorELNS0_4arch9wavefront6targetE0EEEvSL_,"axG",@progbits,_ZN7rocprim17ROCPRIM_400000_NS6detail17trampoline_kernelINS0_14default_configENS1_36segmented_radix_sort_config_selectorI6__halflEEZNS1_25segmented_radix_sort_implIS3_Lb0EPKS5_PS5_PKlPlN2at6native12_GLOBAL__N_18offset_tEEE10hipError_tPvRmT1_PNSt15iterator_traitsISL_E10value_typeET2_T3_PNSM_ISR_E10value_typeET4_jRbjT5_SX_jjP12ihipStream_tbEUlT_E2_NS1_11comp_targetILNS1_3genE9ELNS1_11target_archE1100ELNS1_3gpuE3ELNS1_3repE0EEENS1_30default_config_static_selectorELNS0_4arch9wavefront6targetE0EEEvSL_,comdat
.Lfunc_end1879:
	.size	_ZN7rocprim17ROCPRIM_400000_NS6detail17trampoline_kernelINS0_14default_configENS1_36segmented_radix_sort_config_selectorI6__halflEEZNS1_25segmented_radix_sort_implIS3_Lb0EPKS5_PS5_PKlPlN2at6native12_GLOBAL__N_18offset_tEEE10hipError_tPvRmT1_PNSt15iterator_traitsISL_E10value_typeET2_T3_PNSM_ISR_E10value_typeET4_jRbjT5_SX_jjP12ihipStream_tbEUlT_E2_NS1_11comp_targetILNS1_3genE9ELNS1_11target_archE1100ELNS1_3gpuE3ELNS1_3repE0EEENS1_30default_config_static_selectorELNS0_4arch9wavefront6targetE0EEEvSL_, .Lfunc_end1879-_ZN7rocprim17ROCPRIM_400000_NS6detail17trampoline_kernelINS0_14default_configENS1_36segmented_radix_sort_config_selectorI6__halflEEZNS1_25segmented_radix_sort_implIS3_Lb0EPKS5_PS5_PKlPlN2at6native12_GLOBAL__N_18offset_tEEE10hipError_tPvRmT1_PNSt15iterator_traitsISL_E10value_typeET2_T3_PNSM_ISR_E10value_typeET4_jRbjT5_SX_jjP12ihipStream_tbEUlT_E2_NS1_11comp_targetILNS1_3genE9ELNS1_11target_archE1100ELNS1_3gpuE3ELNS1_3repE0EEENS1_30default_config_static_selectorELNS0_4arch9wavefront6targetE0EEEvSL_
                                        ; -- End function
	.section	.AMDGPU.csdata,"",@progbits
; Kernel info:
; codeLenInByte = 80008
; NumSgprs: 62
; NumVgprs: 248
; ScratchSize: 220
; MemoryBound: 0
; FloatMode: 240
; IeeeMode: 1
; LDSByteSize: 33824 bytes/workgroup (compile time only)
; SGPRBlocks: 7
; VGPRBlocks: 30
; NumSGPRsForWavesPerEU: 62
; NumVGPRsForWavesPerEU: 248
; Occupancy: 5
; WaveLimiterHint : 1
; COMPUTE_PGM_RSRC2:SCRATCH_EN: 1
; COMPUTE_PGM_RSRC2:USER_SGPR: 14
; COMPUTE_PGM_RSRC2:TRAP_HANDLER: 0
; COMPUTE_PGM_RSRC2:TGID_X_EN: 1
; COMPUTE_PGM_RSRC2:TGID_Y_EN: 1
; COMPUTE_PGM_RSRC2:TGID_Z_EN: 0
; COMPUTE_PGM_RSRC2:TIDIG_COMP_CNT: 2
	.section	.text._ZN7rocprim17ROCPRIM_400000_NS6detail17trampoline_kernelINS0_14default_configENS1_36segmented_radix_sort_config_selectorI6__halflEEZNS1_25segmented_radix_sort_implIS3_Lb0EPKS5_PS5_PKlPlN2at6native12_GLOBAL__N_18offset_tEEE10hipError_tPvRmT1_PNSt15iterator_traitsISL_E10value_typeET2_T3_PNSM_ISR_E10value_typeET4_jRbjT5_SX_jjP12ihipStream_tbEUlT_E2_NS1_11comp_targetILNS1_3genE8ELNS1_11target_archE1030ELNS1_3gpuE2ELNS1_3repE0EEENS1_30default_config_static_selectorELNS0_4arch9wavefront6targetE0EEEvSL_,"axG",@progbits,_ZN7rocprim17ROCPRIM_400000_NS6detail17trampoline_kernelINS0_14default_configENS1_36segmented_radix_sort_config_selectorI6__halflEEZNS1_25segmented_radix_sort_implIS3_Lb0EPKS5_PS5_PKlPlN2at6native12_GLOBAL__N_18offset_tEEE10hipError_tPvRmT1_PNSt15iterator_traitsISL_E10value_typeET2_T3_PNSM_ISR_E10value_typeET4_jRbjT5_SX_jjP12ihipStream_tbEUlT_E2_NS1_11comp_targetILNS1_3genE8ELNS1_11target_archE1030ELNS1_3gpuE2ELNS1_3repE0EEENS1_30default_config_static_selectorELNS0_4arch9wavefront6targetE0EEEvSL_,comdat
	.globl	_ZN7rocprim17ROCPRIM_400000_NS6detail17trampoline_kernelINS0_14default_configENS1_36segmented_radix_sort_config_selectorI6__halflEEZNS1_25segmented_radix_sort_implIS3_Lb0EPKS5_PS5_PKlPlN2at6native12_GLOBAL__N_18offset_tEEE10hipError_tPvRmT1_PNSt15iterator_traitsISL_E10value_typeET2_T3_PNSM_ISR_E10value_typeET4_jRbjT5_SX_jjP12ihipStream_tbEUlT_E2_NS1_11comp_targetILNS1_3genE8ELNS1_11target_archE1030ELNS1_3gpuE2ELNS1_3repE0EEENS1_30default_config_static_selectorELNS0_4arch9wavefront6targetE0EEEvSL_ ; -- Begin function _ZN7rocprim17ROCPRIM_400000_NS6detail17trampoline_kernelINS0_14default_configENS1_36segmented_radix_sort_config_selectorI6__halflEEZNS1_25segmented_radix_sort_implIS3_Lb0EPKS5_PS5_PKlPlN2at6native12_GLOBAL__N_18offset_tEEE10hipError_tPvRmT1_PNSt15iterator_traitsISL_E10value_typeET2_T3_PNSM_ISR_E10value_typeET4_jRbjT5_SX_jjP12ihipStream_tbEUlT_E2_NS1_11comp_targetILNS1_3genE8ELNS1_11target_archE1030ELNS1_3gpuE2ELNS1_3repE0EEENS1_30default_config_static_selectorELNS0_4arch9wavefront6targetE0EEEvSL_
	.p2align	8
	.type	_ZN7rocprim17ROCPRIM_400000_NS6detail17trampoline_kernelINS0_14default_configENS1_36segmented_radix_sort_config_selectorI6__halflEEZNS1_25segmented_radix_sort_implIS3_Lb0EPKS5_PS5_PKlPlN2at6native12_GLOBAL__N_18offset_tEEE10hipError_tPvRmT1_PNSt15iterator_traitsISL_E10value_typeET2_T3_PNSM_ISR_E10value_typeET4_jRbjT5_SX_jjP12ihipStream_tbEUlT_E2_NS1_11comp_targetILNS1_3genE8ELNS1_11target_archE1030ELNS1_3gpuE2ELNS1_3repE0EEENS1_30default_config_static_selectorELNS0_4arch9wavefront6targetE0EEEvSL_,@function
_ZN7rocprim17ROCPRIM_400000_NS6detail17trampoline_kernelINS0_14default_configENS1_36segmented_radix_sort_config_selectorI6__halflEEZNS1_25segmented_radix_sort_implIS3_Lb0EPKS5_PS5_PKlPlN2at6native12_GLOBAL__N_18offset_tEEE10hipError_tPvRmT1_PNSt15iterator_traitsISL_E10value_typeET2_T3_PNSM_ISR_E10value_typeET4_jRbjT5_SX_jjP12ihipStream_tbEUlT_E2_NS1_11comp_targetILNS1_3genE8ELNS1_11target_archE1030ELNS1_3gpuE2ELNS1_3repE0EEENS1_30default_config_static_selectorELNS0_4arch9wavefront6targetE0EEEvSL_: ; @_ZN7rocprim17ROCPRIM_400000_NS6detail17trampoline_kernelINS0_14default_configENS1_36segmented_radix_sort_config_selectorI6__halflEEZNS1_25segmented_radix_sort_implIS3_Lb0EPKS5_PS5_PKlPlN2at6native12_GLOBAL__N_18offset_tEEE10hipError_tPvRmT1_PNSt15iterator_traitsISL_E10value_typeET2_T3_PNSM_ISR_E10value_typeET4_jRbjT5_SX_jjP12ihipStream_tbEUlT_E2_NS1_11comp_targetILNS1_3genE8ELNS1_11target_archE1030ELNS1_3gpuE2ELNS1_3repE0EEENS1_30default_config_static_selectorELNS0_4arch9wavefront6targetE0EEEvSL_
; %bb.0:
	.section	.rodata,"a",@progbits
	.p2align	6, 0x0
	.amdhsa_kernel _ZN7rocprim17ROCPRIM_400000_NS6detail17trampoline_kernelINS0_14default_configENS1_36segmented_radix_sort_config_selectorI6__halflEEZNS1_25segmented_radix_sort_implIS3_Lb0EPKS5_PS5_PKlPlN2at6native12_GLOBAL__N_18offset_tEEE10hipError_tPvRmT1_PNSt15iterator_traitsISL_E10value_typeET2_T3_PNSM_ISR_E10value_typeET4_jRbjT5_SX_jjP12ihipStream_tbEUlT_E2_NS1_11comp_targetILNS1_3genE8ELNS1_11target_archE1030ELNS1_3gpuE2ELNS1_3repE0EEENS1_30default_config_static_selectorELNS0_4arch9wavefront6targetE0EEEvSL_
		.amdhsa_group_segment_fixed_size 0
		.amdhsa_private_segment_fixed_size 0
		.amdhsa_kernarg_size 80
		.amdhsa_user_sgpr_count 15
		.amdhsa_user_sgpr_dispatch_ptr 0
		.amdhsa_user_sgpr_queue_ptr 0
		.amdhsa_user_sgpr_kernarg_segment_ptr 1
		.amdhsa_user_sgpr_dispatch_id 0
		.amdhsa_user_sgpr_private_segment_size 0
		.amdhsa_wavefront_size32 1
		.amdhsa_uses_dynamic_stack 0
		.amdhsa_enable_private_segment 0
		.amdhsa_system_sgpr_workgroup_id_x 1
		.amdhsa_system_sgpr_workgroup_id_y 0
		.amdhsa_system_sgpr_workgroup_id_z 0
		.amdhsa_system_sgpr_workgroup_info 0
		.amdhsa_system_vgpr_workitem_id 0
		.amdhsa_next_free_vgpr 1
		.amdhsa_next_free_sgpr 1
		.amdhsa_reserve_vcc 0
		.amdhsa_float_round_mode_32 0
		.amdhsa_float_round_mode_16_64 0
		.amdhsa_float_denorm_mode_32 3
		.amdhsa_float_denorm_mode_16_64 3
		.amdhsa_dx10_clamp 1
		.amdhsa_ieee_mode 1
		.amdhsa_fp16_overflow 0
		.amdhsa_workgroup_processor_mode 1
		.amdhsa_memory_ordered 1
		.amdhsa_forward_progress 0
		.amdhsa_shared_vgpr_count 0
		.amdhsa_exception_fp_ieee_invalid_op 0
		.amdhsa_exception_fp_denorm_src 0
		.amdhsa_exception_fp_ieee_div_zero 0
		.amdhsa_exception_fp_ieee_overflow 0
		.amdhsa_exception_fp_ieee_underflow 0
		.amdhsa_exception_fp_ieee_inexact 0
		.amdhsa_exception_int_div_zero 0
	.end_amdhsa_kernel
	.section	.text._ZN7rocprim17ROCPRIM_400000_NS6detail17trampoline_kernelINS0_14default_configENS1_36segmented_radix_sort_config_selectorI6__halflEEZNS1_25segmented_radix_sort_implIS3_Lb0EPKS5_PS5_PKlPlN2at6native12_GLOBAL__N_18offset_tEEE10hipError_tPvRmT1_PNSt15iterator_traitsISL_E10value_typeET2_T3_PNSM_ISR_E10value_typeET4_jRbjT5_SX_jjP12ihipStream_tbEUlT_E2_NS1_11comp_targetILNS1_3genE8ELNS1_11target_archE1030ELNS1_3gpuE2ELNS1_3repE0EEENS1_30default_config_static_selectorELNS0_4arch9wavefront6targetE0EEEvSL_,"axG",@progbits,_ZN7rocprim17ROCPRIM_400000_NS6detail17trampoline_kernelINS0_14default_configENS1_36segmented_radix_sort_config_selectorI6__halflEEZNS1_25segmented_radix_sort_implIS3_Lb0EPKS5_PS5_PKlPlN2at6native12_GLOBAL__N_18offset_tEEE10hipError_tPvRmT1_PNSt15iterator_traitsISL_E10value_typeET2_T3_PNSM_ISR_E10value_typeET4_jRbjT5_SX_jjP12ihipStream_tbEUlT_E2_NS1_11comp_targetILNS1_3genE8ELNS1_11target_archE1030ELNS1_3gpuE2ELNS1_3repE0EEENS1_30default_config_static_selectorELNS0_4arch9wavefront6targetE0EEEvSL_,comdat
.Lfunc_end1880:
	.size	_ZN7rocprim17ROCPRIM_400000_NS6detail17trampoline_kernelINS0_14default_configENS1_36segmented_radix_sort_config_selectorI6__halflEEZNS1_25segmented_radix_sort_implIS3_Lb0EPKS5_PS5_PKlPlN2at6native12_GLOBAL__N_18offset_tEEE10hipError_tPvRmT1_PNSt15iterator_traitsISL_E10value_typeET2_T3_PNSM_ISR_E10value_typeET4_jRbjT5_SX_jjP12ihipStream_tbEUlT_E2_NS1_11comp_targetILNS1_3genE8ELNS1_11target_archE1030ELNS1_3gpuE2ELNS1_3repE0EEENS1_30default_config_static_selectorELNS0_4arch9wavefront6targetE0EEEvSL_, .Lfunc_end1880-_ZN7rocprim17ROCPRIM_400000_NS6detail17trampoline_kernelINS0_14default_configENS1_36segmented_radix_sort_config_selectorI6__halflEEZNS1_25segmented_radix_sort_implIS3_Lb0EPKS5_PS5_PKlPlN2at6native12_GLOBAL__N_18offset_tEEE10hipError_tPvRmT1_PNSt15iterator_traitsISL_E10value_typeET2_T3_PNSM_ISR_E10value_typeET4_jRbjT5_SX_jjP12ihipStream_tbEUlT_E2_NS1_11comp_targetILNS1_3genE8ELNS1_11target_archE1030ELNS1_3gpuE2ELNS1_3repE0EEENS1_30default_config_static_selectorELNS0_4arch9wavefront6targetE0EEEvSL_
                                        ; -- End function
	.section	.AMDGPU.csdata,"",@progbits
; Kernel info:
; codeLenInByte = 0
; NumSgprs: 0
; NumVgprs: 0
; ScratchSize: 0
; MemoryBound: 0
; FloatMode: 240
; IeeeMode: 1
; LDSByteSize: 0 bytes/workgroup (compile time only)
; SGPRBlocks: 0
; VGPRBlocks: 0
; NumSGPRsForWavesPerEU: 1
; NumVGPRsForWavesPerEU: 1
; Occupancy: 16
; WaveLimiterHint : 0
; COMPUTE_PGM_RSRC2:SCRATCH_EN: 0
; COMPUTE_PGM_RSRC2:USER_SGPR: 15
; COMPUTE_PGM_RSRC2:TRAP_HANDLER: 0
; COMPUTE_PGM_RSRC2:TGID_X_EN: 1
; COMPUTE_PGM_RSRC2:TGID_Y_EN: 0
; COMPUTE_PGM_RSRC2:TGID_Z_EN: 0
; COMPUTE_PGM_RSRC2:TIDIG_COMP_CNT: 0
	.section	.text._ZN2at6native12_GLOBAL__N_123sort_postprocess_kernelIN3c108BFloat16EEEvPKT_PS5_PlPK15HIP_vector_typeIiLj2EEii,"axG",@progbits,_ZN2at6native12_GLOBAL__N_123sort_postprocess_kernelIN3c108BFloat16EEEvPKT_PS5_PlPK15HIP_vector_typeIiLj2EEii,comdat
	.globl	_ZN2at6native12_GLOBAL__N_123sort_postprocess_kernelIN3c108BFloat16EEEvPKT_PS5_PlPK15HIP_vector_typeIiLj2EEii ; -- Begin function _ZN2at6native12_GLOBAL__N_123sort_postprocess_kernelIN3c108BFloat16EEEvPKT_PS5_PlPK15HIP_vector_typeIiLj2EEii
	.p2align	8
	.type	_ZN2at6native12_GLOBAL__N_123sort_postprocess_kernelIN3c108BFloat16EEEvPKT_PS5_PlPK15HIP_vector_typeIiLj2EEii,@function
_ZN2at6native12_GLOBAL__N_123sort_postprocess_kernelIN3c108BFloat16EEEvPKT_PS5_PlPK15HIP_vector_typeIiLj2EEii: ; @_ZN2at6native12_GLOBAL__N_123sort_postprocess_kernelIN3c108BFloat16EEEvPKT_PS5_PlPK15HIP_vector_typeIiLj2EEii
; %bb.0:
	s_clause 0x1
	s_load_b32 s2, s[0:1], 0x34
	s_load_b64 s[6:7], s[0:1], 0x20
	v_mov_b32_e32 v1, 0
	s_add_u32 s4, s0, 40
	s_addc_u32 s5, s1, 0
	s_waitcnt lgkmcnt(0)
	s_and_b32 s13, s2, 0xffff
	s_mul_i32 s2, s7, s6
	v_mad_u64_u32 v[2:3], null, s13, s15, v[0:1]
	s_ashr_i32 s3, s2, 31
	s_mov_b32 s6, exec_lo
	s_delay_alu instid0(VALU_DEP_1)
	v_cmpx_gt_i64_e64 s[2:3], v[2:3]
	s_cbranch_execz .LBB1881_3
; %bb.1:
	s_abs_i32 s12, s7
	s_load_b32 s14, s[4:5], 0x0
	v_cvt_f32_u32_e32 v0, s12
	s_sub_i32 s4, 0, s12
	s_delay_alu instid0(VALU_DEP_1) | instskip(SKIP_2) | instid1(VALU_DEP_1)
	v_rcp_iflag_f32_e32 v0, v0
	s_waitcnt_depctr 0xfff
	v_mul_f32_e32 v0, 0x4f7ffffe, v0
	v_cvt_u32_f32_e32 v0, v0
	s_delay_alu instid0(VALU_DEP_1) | instskip(SKIP_4) | instid1(VALU_DEP_1)
	v_mul_lo_u32 v1, s4, v0
	s_load_b256 s[4:11], s[0:1], 0x0
	s_waitcnt lgkmcnt(0)
	s_mul_i32 s1, s14, s13
	s_mov_b32 s13, 0
	v_mul_hi_u32 v1, v0, v1
	s_delay_alu instid0(VALU_DEP_1)
	v_add_nc_u32_e32 v0, v0, v1
.LBB1881_2:                             ; =>This Inner Loop Header: Depth=1
	v_sub_nc_u32_e32 v1, 0, v2
	v_ashrrev_i32_e32 v5, 31, v2
	s_delay_alu instid0(VALU_DEP_2) | instskip(NEXT) | instid1(VALU_DEP_1)
	v_max_i32_e32 v1, v2, v1
	v_mul_hi_u32 v4, v1, v0
	s_delay_alu instid0(VALU_DEP_1) | instskip(NEXT) | instid1(VALU_DEP_1)
	v_mul_lo_u32 v4, v4, s12
	v_sub_nc_u32_e32 v1, v1, v4
	s_delay_alu instid0(VALU_DEP_1) | instskip(SKIP_1) | instid1(VALU_DEP_2)
	v_subrev_nc_u32_e32 v4, s12, v1
	v_cmp_le_u32_e32 vcc_lo, s12, v1
	v_dual_cndmask_b32 v1, v1, v4 :: v_dual_add_nc_u32 v6, v2, v5
	s_delay_alu instid0(VALU_DEP_1) | instskip(SKIP_1) | instid1(VALU_DEP_2)
	v_subrev_nc_u32_e32 v4, s12, v1
	v_cmp_le_u32_e32 vcc_lo, s12, v1
	v_cndmask_b32_e32 v1, v1, v4, vcc_lo
	s_delay_alu instid0(VALU_DEP_1) | instskip(NEXT) | instid1(VALU_DEP_1)
	v_xor_b32_e32 v1, v1, v5
	v_sub_nc_u32_e32 v4, v6, v1
	v_sub_nc_u32_e32 v6, v1, v5
	s_delay_alu instid0(VALU_DEP_2) | instskip(NEXT) | instid1(VALU_DEP_2)
	v_ashrrev_i32_e32 v5, 31, v4
	v_ashrrev_i32_e32 v7, 31, v6
	s_delay_alu instid0(VALU_DEP_2) | instskip(NEXT) | instid1(VALU_DEP_2)
	v_lshlrev_b64 v[8:9], 3, v[4:5]
	v_lshlrev_b64 v[10:11], 3, v[6:7]
	;; [unrolled: 1-line block ×4, first 2 shown]
	s_delay_alu instid0(VALU_DEP_4) | instskip(SKIP_2) | instid1(VALU_DEP_3)
	v_add_co_u32 v1, vcc_lo, s10, v8
	v_add_co_ci_u32_e32 v13, vcc_lo, s11, v9, vcc_lo
	v_add_co_u32 v8, s0, s8, v8
	v_add_co_u32 v12, vcc_lo, v1, v10
	s_delay_alu instid0(VALU_DEP_3)
	v_add_co_ci_u32_e32 v13, vcc_lo, v13, v11, vcc_lo
	v_add_co_u32 v1, vcc_lo, s4, v4
	v_add_co_ci_u32_e32 v16, vcc_lo, s5, v5, vcc_lo
	global_load_b32 v12, v[12:13], off offset:4
	v_add_co_ci_u32_e64 v9, s0, s9, v9, s0
	s_waitcnt vmcnt(0)
	v_ashrrev_i32_e32 v13, 31, v12
	s_delay_alu instid0(VALU_DEP_1) | instskip(NEXT) | instid1(VALU_DEP_1)
	v_lshlrev_b64 v[14:15], 1, v[12:13]
	v_add_co_u32 v14, vcc_lo, v1, v14
	s_delay_alu instid0(VALU_DEP_2) | instskip(SKIP_4) | instid1(VALU_DEP_1)
	v_add_co_ci_u32_e32 v15, vcc_lo, v16, v15, vcc_lo
	v_add_co_u32 v2, vcc_lo, v2, s1
	v_add_co_ci_u32_e32 v3, vcc_lo, 0, v3, vcc_lo
	global_load_u16 v1, v[14:15], off
	v_add_co_u32 v14, s0, s6, v4
	v_add_co_ci_u32_e64 v15, s0, s7, v5, s0
	v_add_co_u32 v4, s0, v8, v10
	v_cmp_le_i64_e32 vcc_lo, s[2:3], v[2:3]
	v_add_co_ci_u32_e64 v5, s0, v9, v11, s0
	v_add_co_u32 v6, s0, v14, v6
	s_delay_alu instid0(VALU_DEP_1)
	v_add_co_ci_u32_e64 v7, s0, v15, v7, s0
	s_or_b32 s13, vcc_lo, s13
	global_store_b64 v[4:5], v[12:13], off
	s_waitcnt vmcnt(0)
	global_store_b16 v[6:7], v1, off
	s_and_not1_b32 exec_lo, exec_lo, s13
	s_cbranch_execnz .LBB1881_2
.LBB1881_3:
	s_nop 0
	s_sendmsg sendmsg(MSG_DEALLOC_VGPRS)
	s_endpgm
	.section	.rodata,"a",@progbits
	.p2align	6, 0x0
	.amdhsa_kernel _ZN2at6native12_GLOBAL__N_123sort_postprocess_kernelIN3c108BFloat16EEEvPKT_PS5_PlPK15HIP_vector_typeIiLj2EEii
		.amdhsa_group_segment_fixed_size 0
		.amdhsa_private_segment_fixed_size 0
		.amdhsa_kernarg_size 296
		.amdhsa_user_sgpr_count 15
		.amdhsa_user_sgpr_dispatch_ptr 0
		.amdhsa_user_sgpr_queue_ptr 0
		.amdhsa_user_sgpr_kernarg_segment_ptr 1
		.amdhsa_user_sgpr_dispatch_id 0
		.amdhsa_user_sgpr_private_segment_size 0
		.amdhsa_wavefront_size32 1
		.amdhsa_uses_dynamic_stack 0
		.amdhsa_enable_private_segment 0
		.amdhsa_system_sgpr_workgroup_id_x 1
		.amdhsa_system_sgpr_workgroup_id_y 0
		.amdhsa_system_sgpr_workgroup_id_z 0
		.amdhsa_system_sgpr_workgroup_info 0
		.amdhsa_system_vgpr_workitem_id 0
		.amdhsa_next_free_vgpr 17
		.amdhsa_next_free_sgpr 16
		.amdhsa_reserve_vcc 1
		.amdhsa_float_round_mode_32 0
		.amdhsa_float_round_mode_16_64 0
		.amdhsa_float_denorm_mode_32 3
		.amdhsa_float_denorm_mode_16_64 3
		.amdhsa_dx10_clamp 1
		.amdhsa_ieee_mode 1
		.amdhsa_fp16_overflow 0
		.amdhsa_workgroup_processor_mode 1
		.amdhsa_memory_ordered 1
		.amdhsa_forward_progress 0
		.amdhsa_shared_vgpr_count 0
		.amdhsa_exception_fp_ieee_invalid_op 0
		.amdhsa_exception_fp_denorm_src 0
		.amdhsa_exception_fp_ieee_div_zero 0
		.amdhsa_exception_fp_ieee_overflow 0
		.amdhsa_exception_fp_ieee_underflow 0
		.amdhsa_exception_fp_ieee_inexact 0
		.amdhsa_exception_int_div_zero 0
	.end_amdhsa_kernel
	.section	.text._ZN2at6native12_GLOBAL__N_123sort_postprocess_kernelIN3c108BFloat16EEEvPKT_PS5_PlPK15HIP_vector_typeIiLj2EEii,"axG",@progbits,_ZN2at6native12_GLOBAL__N_123sort_postprocess_kernelIN3c108BFloat16EEEvPKT_PS5_PlPK15HIP_vector_typeIiLj2EEii,comdat
.Lfunc_end1881:
	.size	_ZN2at6native12_GLOBAL__N_123sort_postprocess_kernelIN3c108BFloat16EEEvPKT_PS5_PlPK15HIP_vector_typeIiLj2EEii, .Lfunc_end1881-_ZN2at6native12_GLOBAL__N_123sort_postprocess_kernelIN3c108BFloat16EEEvPKT_PS5_PlPK15HIP_vector_typeIiLj2EEii
                                        ; -- End function
	.section	.AMDGPU.csdata,"",@progbits
; Kernel info:
; codeLenInByte = 536
; NumSgprs: 18
; NumVgprs: 17
; ScratchSize: 0
; MemoryBound: 0
; FloatMode: 240
; IeeeMode: 1
; LDSByteSize: 0 bytes/workgroup (compile time only)
; SGPRBlocks: 2
; VGPRBlocks: 2
; NumSGPRsForWavesPerEU: 18
; NumVGPRsForWavesPerEU: 17
; Occupancy: 16
; WaveLimiterHint : 1
; COMPUTE_PGM_RSRC2:SCRATCH_EN: 0
; COMPUTE_PGM_RSRC2:USER_SGPR: 15
; COMPUTE_PGM_RSRC2:TRAP_HANDLER: 0
; COMPUTE_PGM_RSRC2:TGID_X_EN: 1
; COMPUTE_PGM_RSRC2:TGID_Y_EN: 0
; COMPUTE_PGM_RSRC2:TGID_Z_EN: 0
; COMPUTE_PGM_RSRC2:TIDIG_COMP_CNT: 0
	.section	.text._ZN7rocprim17ROCPRIM_400000_NS6detail17trampoline_kernelINS0_13select_configILj256ELj13ELNS0_17block_load_methodE3ELS4_3ELS4_3ELNS0_20block_scan_algorithmE0ELj4294967295EEENS1_25partition_config_selectorILNS1_17partition_subalgoE4EjNS0_10empty_typeEbEEZZNS1_14partition_implILS8_4ELb0ES6_15HIP_vector_typeIjLj2EENS0_17counting_iteratorIjlEEPS9_SG_NS0_5tupleIJPjSI_NS0_16reverse_iteratorISI_EEEEENSH_IJSG_SG_SG_EEES9_SI_JZNS1_25segmented_radix_sort_implINS0_14default_configELb1EPK12hip_bfloat16PSP_PKlPlN2at6native12_GLOBAL__N_18offset_tEEE10hipError_tPvRmT1_PNSt15iterator_traitsIS13_E10value_typeET2_T3_PNS14_IS19_E10value_typeET4_jRbjT5_S1F_jjP12ihipStream_tbEUljE_ZNSN_ISO_Lb1ESR_SS_SU_SV_SZ_EES10_S11_S12_S13_S17_S18_S19_S1C_S1D_jS1E_jS1F_S1F_jjS1H_bEUljE0_EEES10_S11_S12_S19_S1D_S1F_T6_T7_T9_mT8_S1H_bDpT10_ENKUlT_T0_E_clISt17integral_constantIbLb0EES1V_EEDaS1Q_S1R_EUlS1Q_E_NS1_11comp_targetILNS1_3genE0ELNS1_11target_archE4294967295ELNS1_3gpuE0ELNS1_3repE0EEENS1_30default_config_static_selectorELNS0_4arch9wavefront6targetE0EEEvS13_,"axG",@progbits,_ZN7rocprim17ROCPRIM_400000_NS6detail17trampoline_kernelINS0_13select_configILj256ELj13ELNS0_17block_load_methodE3ELS4_3ELS4_3ELNS0_20block_scan_algorithmE0ELj4294967295EEENS1_25partition_config_selectorILNS1_17partition_subalgoE4EjNS0_10empty_typeEbEEZZNS1_14partition_implILS8_4ELb0ES6_15HIP_vector_typeIjLj2EENS0_17counting_iteratorIjlEEPS9_SG_NS0_5tupleIJPjSI_NS0_16reverse_iteratorISI_EEEEENSH_IJSG_SG_SG_EEES9_SI_JZNS1_25segmented_radix_sort_implINS0_14default_configELb1EPK12hip_bfloat16PSP_PKlPlN2at6native12_GLOBAL__N_18offset_tEEE10hipError_tPvRmT1_PNSt15iterator_traitsIS13_E10value_typeET2_T3_PNS14_IS19_E10value_typeET4_jRbjT5_S1F_jjP12ihipStream_tbEUljE_ZNSN_ISO_Lb1ESR_SS_SU_SV_SZ_EES10_S11_S12_S13_S17_S18_S19_S1C_S1D_jS1E_jS1F_S1F_jjS1H_bEUljE0_EEES10_S11_S12_S19_S1D_S1F_T6_T7_T9_mT8_S1H_bDpT10_ENKUlT_T0_E_clISt17integral_constantIbLb0EES1V_EEDaS1Q_S1R_EUlS1Q_E_NS1_11comp_targetILNS1_3genE0ELNS1_11target_archE4294967295ELNS1_3gpuE0ELNS1_3repE0EEENS1_30default_config_static_selectorELNS0_4arch9wavefront6targetE0EEEvS13_,comdat
	.globl	_ZN7rocprim17ROCPRIM_400000_NS6detail17trampoline_kernelINS0_13select_configILj256ELj13ELNS0_17block_load_methodE3ELS4_3ELS4_3ELNS0_20block_scan_algorithmE0ELj4294967295EEENS1_25partition_config_selectorILNS1_17partition_subalgoE4EjNS0_10empty_typeEbEEZZNS1_14partition_implILS8_4ELb0ES6_15HIP_vector_typeIjLj2EENS0_17counting_iteratorIjlEEPS9_SG_NS0_5tupleIJPjSI_NS0_16reverse_iteratorISI_EEEEENSH_IJSG_SG_SG_EEES9_SI_JZNS1_25segmented_radix_sort_implINS0_14default_configELb1EPK12hip_bfloat16PSP_PKlPlN2at6native12_GLOBAL__N_18offset_tEEE10hipError_tPvRmT1_PNSt15iterator_traitsIS13_E10value_typeET2_T3_PNS14_IS19_E10value_typeET4_jRbjT5_S1F_jjP12ihipStream_tbEUljE_ZNSN_ISO_Lb1ESR_SS_SU_SV_SZ_EES10_S11_S12_S13_S17_S18_S19_S1C_S1D_jS1E_jS1F_S1F_jjS1H_bEUljE0_EEES10_S11_S12_S19_S1D_S1F_T6_T7_T9_mT8_S1H_bDpT10_ENKUlT_T0_E_clISt17integral_constantIbLb0EES1V_EEDaS1Q_S1R_EUlS1Q_E_NS1_11comp_targetILNS1_3genE0ELNS1_11target_archE4294967295ELNS1_3gpuE0ELNS1_3repE0EEENS1_30default_config_static_selectorELNS0_4arch9wavefront6targetE0EEEvS13_ ; -- Begin function _ZN7rocprim17ROCPRIM_400000_NS6detail17trampoline_kernelINS0_13select_configILj256ELj13ELNS0_17block_load_methodE3ELS4_3ELS4_3ELNS0_20block_scan_algorithmE0ELj4294967295EEENS1_25partition_config_selectorILNS1_17partition_subalgoE4EjNS0_10empty_typeEbEEZZNS1_14partition_implILS8_4ELb0ES6_15HIP_vector_typeIjLj2EENS0_17counting_iteratorIjlEEPS9_SG_NS0_5tupleIJPjSI_NS0_16reverse_iteratorISI_EEEEENSH_IJSG_SG_SG_EEES9_SI_JZNS1_25segmented_radix_sort_implINS0_14default_configELb1EPK12hip_bfloat16PSP_PKlPlN2at6native12_GLOBAL__N_18offset_tEEE10hipError_tPvRmT1_PNSt15iterator_traitsIS13_E10value_typeET2_T3_PNS14_IS19_E10value_typeET4_jRbjT5_S1F_jjP12ihipStream_tbEUljE_ZNSN_ISO_Lb1ESR_SS_SU_SV_SZ_EES10_S11_S12_S13_S17_S18_S19_S1C_S1D_jS1E_jS1F_S1F_jjS1H_bEUljE0_EEES10_S11_S12_S19_S1D_S1F_T6_T7_T9_mT8_S1H_bDpT10_ENKUlT_T0_E_clISt17integral_constantIbLb0EES1V_EEDaS1Q_S1R_EUlS1Q_E_NS1_11comp_targetILNS1_3genE0ELNS1_11target_archE4294967295ELNS1_3gpuE0ELNS1_3repE0EEENS1_30default_config_static_selectorELNS0_4arch9wavefront6targetE0EEEvS13_
	.p2align	8
	.type	_ZN7rocprim17ROCPRIM_400000_NS6detail17trampoline_kernelINS0_13select_configILj256ELj13ELNS0_17block_load_methodE3ELS4_3ELS4_3ELNS0_20block_scan_algorithmE0ELj4294967295EEENS1_25partition_config_selectorILNS1_17partition_subalgoE4EjNS0_10empty_typeEbEEZZNS1_14partition_implILS8_4ELb0ES6_15HIP_vector_typeIjLj2EENS0_17counting_iteratorIjlEEPS9_SG_NS0_5tupleIJPjSI_NS0_16reverse_iteratorISI_EEEEENSH_IJSG_SG_SG_EEES9_SI_JZNS1_25segmented_radix_sort_implINS0_14default_configELb1EPK12hip_bfloat16PSP_PKlPlN2at6native12_GLOBAL__N_18offset_tEEE10hipError_tPvRmT1_PNSt15iterator_traitsIS13_E10value_typeET2_T3_PNS14_IS19_E10value_typeET4_jRbjT5_S1F_jjP12ihipStream_tbEUljE_ZNSN_ISO_Lb1ESR_SS_SU_SV_SZ_EES10_S11_S12_S13_S17_S18_S19_S1C_S1D_jS1E_jS1F_S1F_jjS1H_bEUljE0_EEES10_S11_S12_S19_S1D_S1F_T6_T7_T9_mT8_S1H_bDpT10_ENKUlT_T0_E_clISt17integral_constantIbLb0EES1V_EEDaS1Q_S1R_EUlS1Q_E_NS1_11comp_targetILNS1_3genE0ELNS1_11target_archE4294967295ELNS1_3gpuE0ELNS1_3repE0EEENS1_30default_config_static_selectorELNS0_4arch9wavefront6targetE0EEEvS13_,@function
_ZN7rocprim17ROCPRIM_400000_NS6detail17trampoline_kernelINS0_13select_configILj256ELj13ELNS0_17block_load_methodE3ELS4_3ELS4_3ELNS0_20block_scan_algorithmE0ELj4294967295EEENS1_25partition_config_selectorILNS1_17partition_subalgoE4EjNS0_10empty_typeEbEEZZNS1_14partition_implILS8_4ELb0ES6_15HIP_vector_typeIjLj2EENS0_17counting_iteratorIjlEEPS9_SG_NS0_5tupleIJPjSI_NS0_16reverse_iteratorISI_EEEEENSH_IJSG_SG_SG_EEES9_SI_JZNS1_25segmented_radix_sort_implINS0_14default_configELb1EPK12hip_bfloat16PSP_PKlPlN2at6native12_GLOBAL__N_18offset_tEEE10hipError_tPvRmT1_PNSt15iterator_traitsIS13_E10value_typeET2_T3_PNS14_IS19_E10value_typeET4_jRbjT5_S1F_jjP12ihipStream_tbEUljE_ZNSN_ISO_Lb1ESR_SS_SU_SV_SZ_EES10_S11_S12_S13_S17_S18_S19_S1C_S1D_jS1E_jS1F_S1F_jjS1H_bEUljE0_EEES10_S11_S12_S19_S1D_S1F_T6_T7_T9_mT8_S1H_bDpT10_ENKUlT_T0_E_clISt17integral_constantIbLb0EES1V_EEDaS1Q_S1R_EUlS1Q_E_NS1_11comp_targetILNS1_3genE0ELNS1_11target_archE4294967295ELNS1_3gpuE0ELNS1_3repE0EEENS1_30default_config_static_selectorELNS0_4arch9wavefront6targetE0EEEvS13_: ; @_ZN7rocprim17ROCPRIM_400000_NS6detail17trampoline_kernelINS0_13select_configILj256ELj13ELNS0_17block_load_methodE3ELS4_3ELS4_3ELNS0_20block_scan_algorithmE0ELj4294967295EEENS1_25partition_config_selectorILNS1_17partition_subalgoE4EjNS0_10empty_typeEbEEZZNS1_14partition_implILS8_4ELb0ES6_15HIP_vector_typeIjLj2EENS0_17counting_iteratorIjlEEPS9_SG_NS0_5tupleIJPjSI_NS0_16reverse_iteratorISI_EEEEENSH_IJSG_SG_SG_EEES9_SI_JZNS1_25segmented_radix_sort_implINS0_14default_configELb1EPK12hip_bfloat16PSP_PKlPlN2at6native12_GLOBAL__N_18offset_tEEE10hipError_tPvRmT1_PNSt15iterator_traitsIS13_E10value_typeET2_T3_PNS14_IS19_E10value_typeET4_jRbjT5_S1F_jjP12ihipStream_tbEUljE_ZNSN_ISO_Lb1ESR_SS_SU_SV_SZ_EES10_S11_S12_S13_S17_S18_S19_S1C_S1D_jS1E_jS1F_S1F_jjS1H_bEUljE0_EEES10_S11_S12_S19_S1D_S1F_T6_T7_T9_mT8_S1H_bDpT10_ENKUlT_T0_E_clISt17integral_constantIbLb0EES1V_EEDaS1Q_S1R_EUlS1Q_E_NS1_11comp_targetILNS1_3genE0ELNS1_11target_archE4294967295ELNS1_3gpuE0ELNS1_3repE0EEENS1_30default_config_static_selectorELNS0_4arch9wavefront6targetE0EEEvS13_
; %bb.0:
	.section	.rodata,"a",@progbits
	.p2align	6, 0x0
	.amdhsa_kernel _ZN7rocprim17ROCPRIM_400000_NS6detail17trampoline_kernelINS0_13select_configILj256ELj13ELNS0_17block_load_methodE3ELS4_3ELS4_3ELNS0_20block_scan_algorithmE0ELj4294967295EEENS1_25partition_config_selectorILNS1_17partition_subalgoE4EjNS0_10empty_typeEbEEZZNS1_14partition_implILS8_4ELb0ES6_15HIP_vector_typeIjLj2EENS0_17counting_iteratorIjlEEPS9_SG_NS0_5tupleIJPjSI_NS0_16reverse_iteratorISI_EEEEENSH_IJSG_SG_SG_EEES9_SI_JZNS1_25segmented_radix_sort_implINS0_14default_configELb1EPK12hip_bfloat16PSP_PKlPlN2at6native12_GLOBAL__N_18offset_tEEE10hipError_tPvRmT1_PNSt15iterator_traitsIS13_E10value_typeET2_T3_PNS14_IS19_E10value_typeET4_jRbjT5_S1F_jjP12ihipStream_tbEUljE_ZNSN_ISO_Lb1ESR_SS_SU_SV_SZ_EES10_S11_S12_S13_S17_S18_S19_S1C_S1D_jS1E_jS1F_S1F_jjS1H_bEUljE0_EEES10_S11_S12_S19_S1D_S1F_T6_T7_T9_mT8_S1H_bDpT10_ENKUlT_T0_E_clISt17integral_constantIbLb0EES1V_EEDaS1Q_S1R_EUlS1Q_E_NS1_11comp_targetILNS1_3genE0ELNS1_11target_archE4294967295ELNS1_3gpuE0ELNS1_3repE0EEENS1_30default_config_static_selectorELNS0_4arch9wavefront6targetE0EEEvS13_
		.amdhsa_group_segment_fixed_size 0
		.amdhsa_private_segment_fixed_size 0
		.amdhsa_kernarg_size 176
		.amdhsa_user_sgpr_count 15
		.amdhsa_user_sgpr_dispatch_ptr 0
		.amdhsa_user_sgpr_queue_ptr 0
		.amdhsa_user_sgpr_kernarg_segment_ptr 1
		.amdhsa_user_sgpr_dispatch_id 0
		.amdhsa_user_sgpr_private_segment_size 0
		.amdhsa_wavefront_size32 1
		.amdhsa_uses_dynamic_stack 0
		.amdhsa_enable_private_segment 0
		.amdhsa_system_sgpr_workgroup_id_x 1
		.amdhsa_system_sgpr_workgroup_id_y 0
		.amdhsa_system_sgpr_workgroup_id_z 0
		.amdhsa_system_sgpr_workgroup_info 0
		.amdhsa_system_vgpr_workitem_id 0
		.amdhsa_next_free_vgpr 1
		.amdhsa_next_free_sgpr 1
		.amdhsa_reserve_vcc 0
		.amdhsa_float_round_mode_32 0
		.amdhsa_float_round_mode_16_64 0
		.amdhsa_float_denorm_mode_32 3
		.amdhsa_float_denorm_mode_16_64 3
		.amdhsa_dx10_clamp 1
		.amdhsa_ieee_mode 1
		.amdhsa_fp16_overflow 0
		.amdhsa_workgroup_processor_mode 1
		.amdhsa_memory_ordered 1
		.amdhsa_forward_progress 0
		.amdhsa_shared_vgpr_count 0
		.amdhsa_exception_fp_ieee_invalid_op 0
		.amdhsa_exception_fp_denorm_src 0
		.amdhsa_exception_fp_ieee_div_zero 0
		.amdhsa_exception_fp_ieee_overflow 0
		.amdhsa_exception_fp_ieee_underflow 0
		.amdhsa_exception_fp_ieee_inexact 0
		.amdhsa_exception_int_div_zero 0
	.end_amdhsa_kernel
	.section	.text._ZN7rocprim17ROCPRIM_400000_NS6detail17trampoline_kernelINS0_13select_configILj256ELj13ELNS0_17block_load_methodE3ELS4_3ELS4_3ELNS0_20block_scan_algorithmE0ELj4294967295EEENS1_25partition_config_selectorILNS1_17partition_subalgoE4EjNS0_10empty_typeEbEEZZNS1_14partition_implILS8_4ELb0ES6_15HIP_vector_typeIjLj2EENS0_17counting_iteratorIjlEEPS9_SG_NS0_5tupleIJPjSI_NS0_16reverse_iteratorISI_EEEEENSH_IJSG_SG_SG_EEES9_SI_JZNS1_25segmented_radix_sort_implINS0_14default_configELb1EPK12hip_bfloat16PSP_PKlPlN2at6native12_GLOBAL__N_18offset_tEEE10hipError_tPvRmT1_PNSt15iterator_traitsIS13_E10value_typeET2_T3_PNS14_IS19_E10value_typeET4_jRbjT5_S1F_jjP12ihipStream_tbEUljE_ZNSN_ISO_Lb1ESR_SS_SU_SV_SZ_EES10_S11_S12_S13_S17_S18_S19_S1C_S1D_jS1E_jS1F_S1F_jjS1H_bEUljE0_EEES10_S11_S12_S19_S1D_S1F_T6_T7_T9_mT8_S1H_bDpT10_ENKUlT_T0_E_clISt17integral_constantIbLb0EES1V_EEDaS1Q_S1R_EUlS1Q_E_NS1_11comp_targetILNS1_3genE0ELNS1_11target_archE4294967295ELNS1_3gpuE0ELNS1_3repE0EEENS1_30default_config_static_selectorELNS0_4arch9wavefront6targetE0EEEvS13_,"axG",@progbits,_ZN7rocprim17ROCPRIM_400000_NS6detail17trampoline_kernelINS0_13select_configILj256ELj13ELNS0_17block_load_methodE3ELS4_3ELS4_3ELNS0_20block_scan_algorithmE0ELj4294967295EEENS1_25partition_config_selectorILNS1_17partition_subalgoE4EjNS0_10empty_typeEbEEZZNS1_14partition_implILS8_4ELb0ES6_15HIP_vector_typeIjLj2EENS0_17counting_iteratorIjlEEPS9_SG_NS0_5tupleIJPjSI_NS0_16reverse_iteratorISI_EEEEENSH_IJSG_SG_SG_EEES9_SI_JZNS1_25segmented_radix_sort_implINS0_14default_configELb1EPK12hip_bfloat16PSP_PKlPlN2at6native12_GLOBAL__N_18offset_tEEE10hipError_tPvRmT1_PNSt15iterator_traitsIS13_E10value_typeET2_T3_PNS14_IS19_E10value_typeET4_jRbjT5_S1F_jjP12ihipStream_tbEUljE_ZNSN_ISO_Lb1ESR_SS_SU_SV_SZ_EES10_S11_S12_S13_S17_S18_S19_S1C_S1D_jS1E_jS1F_S1F_jjS1H_bEUljE0_EEES10_S11_S12_S19_S1D_S1F_T6_T7_T9_mT8_S1H_bDpT10_ENKUlT_T0_E_clISt17integral_constantIbLb0EES1V_EEDaS1Q_S1R_EUlS1Q_E_NS1_11comp_targetILNS1_3genE0ELNS1_11target_archE4294967295ELNS1_3gpuE0ELNS1_3repE0EEENS1_30default_config_static_selectorELNS0_4arch9wavefront6targetE0EEEvS13_,comdat
.Lfunc_end1882:
	.size	_ZN7rocprim17ROCPRIM_400000_NS6detail17trampoline_kernelINS0_13select_configILj256ELj13ELNS0_17block_load_methodE3ELS4_3ELS4_3ELNS0_20block_scan_algorithmE0ELj4294967295EEENS1_25partition_config_selectorILNS1_17partition_subalgoE4EjNS0_10empty_typeEbEEZZNS1_14partition_implILS8_4ELb0ES6_15HIP_vector_typeIjLj2EENS0_17counting_iteratorIjlEEPS9_SG_NS0_5tupleIJPjSI_NS0_16reverse_iteratorISI_EEEEENSH_IJSG_SG_SG_EEES9_SI_JZNS1_25segmented_radix_sort_implINS0_14default_configELb1EPK12hip_bfloat16PSP_PKlPlN2at6native12_GLOBAL__N_18offset_tEEE10hipError_tPvRmT1_PNSt15iterator_traitsIS13_E10value_typeET2_T3_PNS14_IS19_E10value_typeET4_jRbjT5_S1F_jjP12ihipStream_tbEUljE_ZNSN_ISO_Lb1ESR_SS_SU_SV_SZ_EES10_S11_S12_S13_S17_S18_S19_S1C_S1D_jS1E_jS1F_S1F_jjS1H_bEUljE0_EEES10_S11_S12_S19_S1D_S1F_T6_T7_T9_mT8_S1H_bDpT10_ENKUlT_T0_E_clISt17integral_constantIbLb0EES1V_EEDaS1Q_S1R_EUlS1Q_E_NS1_11comp_targetILNS1_3genE0ELNS1_11target_archE4294967295ELNS1_3gpuE0ELNS1_3repE0EEENS1_30default_config_static_selectorELNS0_4arch9wavefront6targetE0EEEvS13_, .Lfunc_end1882-_ZN7rocprim17ROCPRIM_400000_NS6detail17trampoline_kernelINS0_13select_configILj256ELj13ELNS0_17block_load_methodE3ELS4_3ELS4_3ELNS0_20block_scan_algorithmE0ELj4294967295EEENS1_25partition_config_selectorILNS1_17partition_subalgoE4EjNS0_10empty_typeEbEEZZNS1_14partition_implILS8_4ELb0ES6_15HIP_vector_typeIjLj2EENS0_17counting_iteratorIjlEEPS9_SG_NS0_5tupleIJPjSI_NS0_16reverse_iteratorISI_EEEEENSH_IJSG_SG_SG_EEES9_SI_JZNS1_25segmented_radix_sort_implINS0_14default_configELb1EPK12hip_bfloat16PSP_PKlPlN2at6native12_GLOBAL__N_18offset_tEEE10hipError_tPvRmT1_PNSt15iterator_traitsIS13_E10value_typeET2_T3_PNS14_IS19_E10value_typeET4_jRbjT5_S1F_jjP12ihipStream_tbEUljE_ZNSN_ISO_Lb1ESR_SS_SU_SV_SZ_EES10_S11_S12_S13_S17_S18_S19_S1C_S1D_jS1E_jS1F_S1F_jjS1H_bEUljE0_EEES10_S11_S12_S19_S1D_S1F_T6_T7_T9_mT8_S1H_bDpT10_ENKUlT_T0_E_clISt17integral_constantIbLb0EES1V_EEDaS1Q_S1R_EUlS1Q_E_NS1_11comp_targetILNS1_3genE0ELNS1_11target_archE4294967295ELNS1_3gpuE0ELNS1_3repE0EEENS1_30default_config_static_selectorELNS0_4arch9wavefront6targetE0EEEvS13_
                                        ; -- End function
	.section	.AMDGPU.csdata,"",@progbits
; Kernel info:
; codeLenInByte = 0
; NumSgprs: 0
; NumVgprs: 0
; ScratchSize: 0
; MemoryBound: 0
; FloatMode: 240
; IeeeMode: 1
; LDSByteSize: 0 bytes/workgroup (compile time only)
; SGPRBlocks: 0
; VGPRBlocks: 0
; NumSGPRsForWavesPerEU: 1
; NumVGPRsForWavesPerEU: 1
; Occupancy: 16
; WaveLimiterHint : 0
; COMPUTE_PGM_RSRC2:SCRATCH_EN: 0
; COMPUTE_PGM_RSRC2:USER_SGPR: 15
; COMPUTE_PGM_RSRC2:TRAP_HANDLER: 0
; COMPUTE_PGM_RSRC2:TGID_X_EN: 1
; COMPUTE_PGM_RSRC2:TGID_Y_EN: 0
; COMPUTE_PGM_RSRC2:TGID_Z_EN: 0
; COMPUTE_PGM_RSRC2:TIDIG_COMP_CNT: 0
	.section	.text._ZN7rocprim17ROCPRIM_400000_NS6detail17trampoline_kernelINS0_13select_configILj256ELj13ELNS0_17block_load_methodE3ELS4_3ELS4_3ELNS0_20block_scan_algorithmE0ELj4294967295EEENS1_25partition_config_selectorILNS1_17partition_subalgoE4EjNS0_10empty_typeEbEEZZNS1_14partition_implILS8_4ELb0ES6_15HIP_vector_typeIjLj2EENS0_17counting_iteratorIjlEEPS9_SG_NS0_5tupleIJPjSI_NS0_16reverse_iteratorISI_EEEEENSH_IJSG_SG_SG_EEES9_SI_JZNS1_25segmented_radix_sort_implINS0_14default_configELb1EPK12hip_bfloat16PSP_PKlPlN2at6native12_GLOBAL__N_18offset_tEEE10hipError_tPvRmT1_PNSt15iterator_traitsIS13_E10value_typeET2_T3_PNS14_IS19_E10value_typeET4_jRbjT5_S1F_jjP12ihipStream_tbEUljE_ZNSN_ISO_Lb1ESR_SS_SU_SV_SZ_EES10_S11_S12_S13_S17_S18_S19_S1C_S1D_jS1E_jS1F_S1F_jjS1H_bEUljE0_EEES10_S11_S12_S19_S1D_S1F_T6_T7_T9_mT8_S1H_bDpT10_ENKUlT_T0_E_clISt17integral_constantIbLb0EES1V_EEDaS1Q_S1R_EUlS1Q_E_NS1_11comp_targetILNS1_3genE5ELNS1_11target_archE942ELNS1_3gpuE9ELNS1_3repE0EEENS1_30default_config_static_selectorELNS0_4arch9wavefront6targetE0EEEvS13_,"axG",@progbits,_ZN7rocprim17ROCPRIM_400000_NS6detail17trampoline_kernelINS0_13select_configILj256ELj13ELNS0_17block_load_methodE3ELS4_3ELS4_3ELNS0_20block_scan_algorithmE0ELj4294967295EEENS1_25partition_config_selectorILNS1_17partition_subalgoE4EjNS0_10empty_typeEbEEZZNS1_14partition_implILS8_4ELb0ES6_15HIP_vector_typeIjLj2EENS0_17counting_iteratorIjlEEPS9_SG_NS0_5tupleIJPjSI_NS0_16reverse_iteratorISI_EEEEENSH_IJSG_SG_SG_EEES9_SI_JZNS1_25segmented_radix_sort_implINS0_14default_configELb1EPK12hip_bfloat16PSP_PKlPlN2at6native12_GLOBAL__N_18offset_tEEE10hipError_tPvRmT1_PNSt15iterator_traitsIS13_E10value_typeET2_T3_PNS14_IS19_E10value_typeET4_jRbjT5_S1F_jjP12ihipStream_tbEUljE_ZNSN_ISO_Lb1ESR_SS_SU_SV_SZ_EES10_S11_S12_S13_S17_S18_S19_S1C_S1D_jS1E_jS1F_S1F_jjS1H_bEUljE0_EEES10_S11_S12_S19_S1D_S1F_T6_T7_T9_mT8_S1H_bDpT10_ENKUlT_T0_E_clISt17integral_constantIbLb0EES1V_EEDaS1Q_S1R_EUlS1Q_E_NS1_11comp_targetILNS1_3genE5ELNS1_11target_archE942ELNS1_3gpuE9ELNS1_3repE0EEENS1_30default_config_static_selectorELNS0_4arch9wavefront6targetE0EEEvS13_,comdat
	.globl	_ZN7rocprim17ROCPRIM_400000_NS6detail17trampoline_kernelINS0_13select_configILj256ELj13ELNS0_17block_load_methodE3ELS4_3ELS4_3ELNS0_20block_scan_algorithmE0ELj4294967295EEENS1_25partition_config_selectorILNS1_17partition_subalgoE4EjNS0_10empty_typeEbEEZZNS1_14partition_implILS8_4ELb0ES6_15HIP_vector_typeIjLj2EENS0_17counting_iteratorIjlEEPS9_SG_NS0_5tupleIJPjSI_NS0_16reverse_iteratorISI_EEEEENSH_IJSG_SG_SG_EEES9_SI_JZNS1_25segmented_radix_sort_implINS0_14default_configELb1EPK12hip_bfloat16PSP_PKlPlN2at6native12_GLOBAL__N_18offset_tEEE10hipError_tPvRmT1_PNSt15iterator_traitsIS13_E10value_typeET2_T3_PNS14_IS19_E10value_typeET4_jRbjT5_S1F_jjP12ihipStream_tbEUljE_ZNSN_ISO_Lb1ESR_SS_SU_SV_SZ_EES10_S11_S12_S13_S17_S18_S19_S1C_S1D_jS1E_jS1F_S1F_jjS1H_bEUljE0_EEES10_S11_S12_S19_S1D_S1F_T6_T7_T9_mT8_S1H_bDpT10_ENKUlT_T0_E_clISt17integral_constantIbLb0EES1V_EEDaS1Q_S1R_EUlS1Q_E_NS1_11comp_targetILNS1_3genE5ELNS1_11target_archE942ELNS1_3gpuE9ELNS1_3repE0EEENS1_30default_config_static_selectorELNS0_4arch9wavefront6targetE0EEEvS13_ ; -- Begin function _ZN7rocprim17ROCPRIM_400000_NS6detail17trampoline_kernelINS0_13select_configILj256ELj13ELNS0_17block_load_methodE3ELS4_3ELS4_3ELNS0_20block_scan_algorithmE0ELj4294967295EEENS1_25partition_config_selectorILNS1_17partition_subalgoE4EjNS0_10empty_typeEbEEZZNS1_14partition_implILS8_4ELb0ES6_15HIP_vector_typeIjLj2EENS0_17counting_iteratorIjlEEPS9_SG_NS0_5tupleIJPjSI_NS0_16reverse_iteratorISI_EEEEENSH_IJSG_SG_SG_EEES9_SI_JZNS1_25segmented_radix_sort_implINS0_14default_configELb1EPK12hip_bfloat16PSP_PKlPlN2at6native12_GLOBAL__N_18offset_tEEE10hipError_tPvRmT1_PNSt15iterator_traitsIS13_E10value_typeET2_T3_PNS14_IS19_E10value_typeET4_jRbjT5_S1F_jjP12ihipStream_tbEUljE_ZNSN_ISO_Lb1ESR_SS_SU_SV_SZ_EES10_S11_S12_S13_S17_S18_S19_S1C_S1D_jS1E_jS1F_S1F_jjS1H_bEUljE0_EEES10_S11_S12_S19_S1D_S1F_T6_T7_T9_mT8_S1H_bDpT10_ENKUlT_T0_E_clISt17integral_constantIbLb0EES1V_EEDaS1Q_S1R_EUlS1Q_E_NS1_11comp_targetILNS1_3genE5ELNS1_11target_archE942ELNS1_3gpuE9ELNS1_3repE0EEENS1_30default_config_static_selectorELNS0_4arch9wavefront6targetE0EEEvS13_
	.p2align	8
	.type	_ZN7rocprim17ROCPRIM_400000_NS6detail17trampoline_kernelINS0_13select_configILj256ELj13ELNS0_17block_load_methodE3ELS4_3ELS4_3ELNS0_20block_scan_algorithmE0ELj4294967295EEENS1_25partition_config_selectorILNS1_17partition_subalgoE4EjNS0_10empty_typeEbEEZZNS1_14partition_implILS8_4ELb0ES6_15HIP_vector_typeIjLj2EENS0_17counting_iteratorIjlEEPS9_SG_NS0_5tupleIJPjSI_NS0_16reverse_iteratorISI_EEEEENSH_IJSG_SG_SG_EEES9_SI_JZNS1_25segmented_radix_sort_implINS0_14default_configELb1EPK12hip_bfloat16PSP_PKlPlN2at6native12_GLOBAL__N_18offset_tEEE10hipError_tPvRmT1_PNSt15iterator_traitsIS13_E10value_typeET2_T3_PNS14_IS19_E10value_typeET4_jRbjT5_S1F_jjP12ihipStream_tbEUljE_ZNSN_ISO_Lb1ESR_SS_SU_SV_SZ_EES10_S11_S12_S13_S17_S18_S19_S1C_S1D_jS1E_jS1F_S1F_jjS1H_bEUljE0_EEES10_S11_S12_S19_S1D_S1F_T6_T7_T9_mT8_S1H_bDpT10_ENKUlT_T0_E_clISt17integral_constantIbLb0EES1V_EEDaS1Q_S1R_EUlS1Q_E_NS1_11comp_targetILNS1_3genE5ELNS1_11target_archE942ELNS1_3gpuE9ELNS1_3repE0EEENS1_30default_config_static_selectorELNS0_4arch9wavefront6targetE0EEEvS13_,@function
_ZN7rocprim17ROCPRIM_400000_NS6detail17trampoline_kernelINS0_13select_configILj256ELj13ELNS0_17block_load_methodE3ELS4_3ELS4_3ELNS0_20block_scan_algorithmE0ELj4294967295EEENS1_25partition_config_selectorILNS1_17partition_subalgoE4EjNS0_10empty_typeEbEEZZNS1_14partition_implILS8_4ELb0ES6_15HIP_vector_typeIjLj2EENS0_17counting_iteratorIjlEEPS9_SG_NS0_5tupleIJPjSI_NS0_16reverse_iteratorISI_EEEEENSH_IJSG_SG_SG_EEES9_SI_JZNS1_25segmented_radix_sort_implINS0_14default_configELb1EPK12hip_bfloat16PSP_PKlPlN2at6native12_GLOBAL__N_18offset_tEEE10hipError_tPvRmT1_PNSt15iterator_traitsIS13_E10value_typeET2_T3_PNS14_IS19_E10value_typeET4_jRbjT5_S1F_jjP12ihipStream_tbEUljE_ZNSN_ISO_Lb1ESR_SS_SU_SV_SZ_EES10_S11_S12_S13_S17_S18_S19_S1C_S1D_jS1E_jS1F_S1F_jjS1H_bEUljE0_EEES10_S11_S12_S19_S1D_S1F_T6_T7_T9_mT8_S1H_bDpT10_ENKUlT_T0_E_clISt17integral_constantIbLb0EES1V_EEDaS1Q_S1R_EUlS1Q_E_NS1_11comp_targetILNS1_3genE5ELNS1_11target_archE942ELNS1_3gpuE9ELNS1_3repE0EEENS1_30default_config_static_selectorELNS0_4arch9wavefront6targetE0EEEvS13_: ; @_ZN7rocprim17ROCPRIM_400000_NS6detail17trampoline_kernelINS0_13select_configILj256ELj13ELNS0_17block_load_methodE3ELS4_3ELS4_3ELNS0_20block_scan_algorithmE0ELj4294967295EEENS1_25partition_config_selectorILNS1_17partition_subalgoE4EjNS0_10empty_typeEbEEZZNS1_14partition_implILS8_4ELb0ES6_15HIP_vector_typeIjLj2EENS0_17counting_iteratorIjlEEPS9_SG_NS0_5tupleIJPjSI_NS0_16reverse_iteratorISI_EEEEENSH_IJSG_SG_SG_EEES9_SI_JZNS1_25segmented_radix_sort_implINS0_14default_configELb1EPK12hip_bfloat16PSP_PKlPlN2at6native12_GLOBAL__N_18offset_tEEE10hipError_tPvRmT1_PNSt15iterator_traitsIS13_E10value_typeET2_T3_PNS14_IS19_E10value_typeET4_jRbjT5_S1F_jjP12ihipStream_tbEUljE_ZNSN_ISO_Lb1ESR_SS_SU_SV_SZ_EES10_S11_S12_S13_S17_S18_S19_S1C_S1D_jS1E_jS1F_S1F_jjS1H_bEUljE0_EEES10_S11_S12_S19_S1D_S1F_T6_T7_T9_mT8_S1H_bDpT10_ENKUlT_T0_E_clISt17integral_constantIbLb0EES1V_EEDaS1Q_S1R_EUlS1Q_E_NS1_11comp_targetILNS1_3genE5ELNS1_11target_archE942ELNS1_3gpuE9ELNS1_3repE0EEENS1_30default_config_static_selectorELNS0_4arch9wavefront6targetE0EEEvS13_
; %bb.0:
	.section	.rodata,"a",@progbits
	.p2align	6, 0x0
	.amdhsa_kernel _ZN7rocprim17ROCPRIM_400000_NS6detail17trampoline_kernelINS0_13select_configILj256ELj13ELNS0_17block_load_methodE3ELS4_3ELS4_3ELNS0_20block_scan_algorithmE0ELj4294967295EEENS1_25partition_config_selectorILNS1_17partition_subalgoE4EjNS0_10empty_typeEbEEZZNS1_14partition_implILS8_4ELb0ES6_15HIP_vector_typeIjLj2EENS0_17counting_iteratorIjlEEPS9_SG_NS0_5tupleIJPjSI_NS0_16reverse_iteratorISI_EEEEENSH_IJSG_SG_SG_EEES9_SI_JZNS1_25segmented_radix_sort_implINS0_14default_configELb1EPK12hip_bfloat16PSP_PKlPlN2at6native12_GLOBAL__N_18offset_tEEE10hipError_tPvRmT1_PNSt15iterator_traitsIS13_E10value_typeET2_T3_PNS14_IS19_E10value_typeET4_jRbjT5_S1F_jjP12ihipStream_tbEUljE_ZNSN_ISO_Lb1ESR_SS_SU_SV_SZ_EES10_S11_S12_S13_S17_S18_S19_S1C_S1D_jS1E_jS1F_S1F_jjS1H_bEUljE0_EEES10_S11_S12_S19_S1D_S1F_T6_T7_T9_mT8_S1H_bDpT10_ENKUlT_T0_E_clISt17integral_constantIbLb0EES1V_EEDaS1Q_S1R_EUlS1Q_E_NS1_11comp_targetILNS1_3genE5ELNS1_11target_archE942ELNS1_3gpuE9ELNS1_3repE0EEENS1_30default_config_static_selectorELNS0_4arch9wavefront6targetE0EEEvS13_
		.amdhsa_group_segment_fixed_size 0
		.amdhsa_private_segment_fixed_size 0
		.amdhsa_kernarg_size 176
		.amdhsa_user_sgpr_count 15
		.amdhsa_user_sgpr_dispatch_ptr 0
		.amdhsa_user_sgpr_queue_ptr 0
		.amdhsa_user_sgpr_kernarg_segment_ptr 1
		.amdhsa_user_sgpr_dispatch_id 0
		.amdhsa_user_sgpr_private_segment_size 0
		.amdhsa_wavefront_size32 1
		.amdhsa_uses_dynamic_stack 0
		.amdhsa_enable_private_segment 0
		.amdhsa_system_sgpr_workgroup_id_x 1
		.amdhsa_system_sgpr_workgroup_id_y 0
		.amdhsa_system_sgpr_workgroup_id_z 0
		.amdhsa_system_sgpr_workgroup_info 0
		.amdhsa_system_vgpr_workitem_id 0
		.amdhsa_next_free_vgpr 1
		.amdhsa_next_free_sgpr 1
		.amdhsa_reserve_vcc 0
		.amdhsa_float_round_mode_32 0
		.amdhsa_float_round_mode_16_64 0
		.amdhsa_float_denorm_mode_32 3
		.amdhsa_float_denorm_mode_16_64 3
		.amdhsa_dx10_clamp 1
		.amdhsa_ieee_mode 1
		.amdhsa_fp16_overflow 0
		.amdhsa_workgroup_processor_mode 1
		.amdhsa_memory_ordered 1
		.amdhsa_forward_progress 0
		.amdhsa_shared_vgpr_count 0
		.amdhsa_exception_fp_ieee_invalid_op 0
		.amdhsa_exception_fp_denorm_src 0
		.amdhsa_exception_fp_ieee_div_zero 0
		.amdhsa_exception_fp_ieee_overflow 0
		.amdhsa_exception_fp_ieee_underflow 0
		.amdhsa_exception_fp_ieee_inexact 0
		.amdhsa_exception_int_div_zero 0
	.end_amdhsa_kernel
	.section	.text._ZN7rocprim17ROCPRIM_400000_NS6detail17trampoline_kernelINS0_13select_configILj256ELj13ELNS0_17block_load_methodE3ELS4_3ELS4_3ELNS0_20block_scan_algorithmE0ELj4294967295EEENS1_25partition_config_selectorILNS1_17partition_subalgoE4EjNS0_10empty_typeEbEEZZNS1_14partition_implILS8_4ELb0ES6_15HIP_vector_typeIjLj2EENS0_17counting_iteratorIjlEEPS9_SG_NS0_5tupleIJPjSI_NS0_16reverse_iteratorISI_EEEEENSH_IJSG_SG_SG_EEES9_SI_JZNS1_25segmented_radix_sort_implINS0_14default_configELb1EPK12hip_bfloat16PSP_PKlPlN2at6native12_GLOBAL__N_18offset_tEEE10hipError_tPvRmT1_PNSt15iterator_traitsIS13_E10value_typeET2_T3_PNS14_IS19_E10value_typeET4_jRbjT5_S1F_jjP12ihipStream_tbEUljE_ZNSN_ISO_Lb1ESR_SS_SU_SV_SZ_EES10_S11_S12_S13_S17_S18_S19_S1C_S1D_jS1E_jS1F_S1F_jjS1H_bEUljE0_EEES10_S11_S12_S19_S1D_S1F_T6_T7_T9_mT8_S1H_bDpT10_ENKUlT_T0_E_clISt17integral_constantIbLb0EES1V_EEDaS1Q_S1R_EUlS1Q_E_NS1_11comp_targetILNS1_3genE5ELNS1_11target_archE942ELNS1_3gpuE9ELNS1_3repE0EEENS1_30default_config_static_selectorELNS0_4arch9wavefront6targetE0EEEvS13_,"axG",@progbits,_ZN7rocprim17ROCPRIM_400000_NS6detail17trampoline_kernelINS0_13select_configILj256ELj13ELNS0_17block_load_methodE3ELS4_3ELS4_3ELNS0_20block_scan_algorithmE0ELj4294967295EEENS1_25partition_config_selectorILNS1_17partition_subalgoE4EjNS0_10empty_typeEbEEZZNS1_14partition_implILS8_4ELb0ES6_15HIP_vector_typeIjLj2EENS0_17counting_iteratorIjlEEPS9_SG_NS0_5tupleIJPjSI_NS0_16reverse_iteratorISI_EEEEENSH_IJSG_SG_SG_EEES9_SI_JZNS1_25segmented_radix_sort_implINS0_14default_configELb1EPK12hip_bfloat16PSP_PKlPlN2at6native12_GLOBAL__N_18offset_tEEE10hipError_tPvRmT1_PNSt15iterator_traitsIS13_E10value_typeET2_T3_PNS14_IS19_E10value_typeET4_jRbjT5_S1F_jjP12ihipStream_tbEUljE_ZNSN_ISO_Lb1ESR_SS_SU_SV_SZ_EES10_S11_S12_S13_S17_S18_S19_S1C_S1D_jS1E_jS1F_S1F_jjS1H_bEUljE0_EEES10_S11_S12_S19_S1D_S1F_T6_T7_T9_mT8_S1H_bDpT10_ENKUlT_T0_E_clISt17integral_constantIbLb0EES1V_EEDaS1Q_S1R_EUlS1Q_E_NS1_11comp_targetILNS1_3genE5ELNS1_11target_archE942ELNS1_3gpuE9ELNS1_3repE0EEENS1_30default_config_static_selectorELNS0_4arch9wavefront6targetE0EEEvS13_,comdat
.Lfunc_end1883:
	.size	_ZN7rocprim17ROCPRIM_400000_NS6detail17trampoline_kernelINS0_13select_configILj256ELj13ELNS0_17block_load_methodE3ELS4_3ELS4_3ELNS0_20block_scan_algorithmE0ELj4294967295EEENS1_25partition_config_selectorILNS1_17partition_subalgoE4EjNS0_10empty_typeEbEEZZNS1_14partition_implILS8_4ELb0ES6_15HIP_vector_typeIjLj2EENS0_17counting_iteratorIjlEEPS9_SG_NS0_5tupleIJPjSI_NS0_16reverse_iteratorISI_EEEEENSH_IJSG_SG_SG_EEES9_SI_JZNS1_25segmented_radix_sort_implINS0_14default_configELb1EPK12hip_bfloat16PSP_PKlPlN2at6native12_GLOBAL__N_18offset_tEEE10hipError_tPvRmT1_PNSt15iterator_traitsIS13_E10value_typeET2_T3_PNS14_IS19_E10value_typeET4_jRbjT5_S1F_jjP12ihipStream_tbEUljE_ZNSN_ISO_Lb1ESR_SS_SU_SV_SZ_EES10_S11_S12_S13_S17_S18_S19_S1C_S1D_jS1E_jS1F_S1F_jjS1H_bEUljE0_EEES10_S11_S12_S19_S1D_S1F_T6_T7_T9_mT8_S1H_bDpT10_ENKUlT_T0_E_clISt17integral_constantIbLb0EES1V_EEDaS1Q_S1R_EUlS1Q_E_NS1_11comp_targetILNS1_3genE5ELNS1_11target_archE942ELNS1_3gpuE9ELNS1_3repE0EEENS1_30default_config_static_selectorELNS0_4arch9wavefront6targetE0EEEvS13_, .Lfunc_end1883-_ZN7rocprim17ROCPRIM_400000_NS6detail17trampoline_kernelINS0_13select_configILj256ELj13ELNS0_17block_load_methodE3ELS4_3ELS4_3ELNS0_20block_scan_algorithmE0ELj4294967295EEENS1_25partition_config_selectorILNS1_17partition_subalgoE4EjNS0_10empty_typeEbEEZZNS1_14partition_implILS8_4ELb0ES6_15HIP_vector_typeIjLj2EENS0_17counting_iteratorIjlEEPS9_SG_NS0_5tupleIJPjSI_NS0_16reverse_iteratorISI_EEEEENSH_IJSG_SG_SG_EEES9_SI_JZNS1_25segmented_radix_sort_implINS0_14default_configELb1EPK12hip_bfloat16PSP_PKlPlN2at6native12_GLOBAL__N_18offset_tEEE10hipError_tPvRmT1_PNSt15iterator_traitsIS13_E10value_typeET2_T3_PNS14_IS19_E10value_typeET4_jRbjT5_S1F_jjP12ihipStream_tbEUljE_ZNSN_ISO_Lb1ESR_SS_SU_SV_SZ_EES10_S11_S12_S13_S17_S18_S19_S1C_S1D_jS1E_jS1F_S1F_jjS1H_bEUljE0_EEES10_S11_S12_S19_S1D_S1F_T6_T7_T9_mT8_S1H_bDpT10_ENKUlT_T0_E_clISt17integral_constantIbLb0EES1V_EEDaS1Q_S1R_EUlS1Q_E_NS1_11comp_targetILNS1_3genE5ELNS1_11target_archE942ELNS1_3gpuE9ELNS1_3repE0EEENS1_30default_config_static_selectorELNS0_4arch9wavefront6targetE0EEEvS13_
                                        ; -- End function
	.section	.AMDGPU.csdata,"",@progbits
; Kernel info:
; codeLenInByte = 0
; NumSgprs: 0
; NumVgprs: 0
; ScratchSize: 0
; MemoryBound: 0
; FloatMode: 240
; IeeeMode: 1
; LDSByteSize: 0 bytes/workgroup (compile time only)
; SGPRBlocks: 0
; VGPRBlocks: 0
; NumSGPRsForWavesPerEU: 1
; NumVGPRsForWavesPerEU: 1
; Occupancy: 16
; WaveLimiterHint : 0
; COMPUTE_PGM_RSRC2:SCRATCH_EN: 0
; COMPUTE_PGM_RSRC2:USER_SGPR: 15
; COMPUTE_PGM_RSRC2:TRAP_HANDLER: 0
; COMPUTE_PGM_RSRC2:TGID_X_EN: 1
; COMPUTE_PGM_RSRC2:TGID_Y_EN: 0
; COMPUTE_PGM_RSRC2:TGID_Z_EN: 0
; COMPUTE_PGM_RSRC2:TIDIG_COMP_CNT: 0
	.section	.text._ZN7rocprim17ROCPRIM_400000_NS6detail17trampoline_kernelINS0_13select_configILj256ELj13ELNS0_17block_load_methodE3ELS4_3ELS4_3ELNS0_20block_scan_algorithmE0ELj4294967295EEENS1_25partition_config_selectorILNS1_17partition_subalgoE4EjNS0_10empty_typeEbEEZZNS1_14partition_implILS8_4ELb0ES6_15HIP_vector_typeIjLj2EENS0_17counting_iteratorIjlEEPS9_SG_NS0_5tupleIJPjSI_NS0_16reverse_iteratorISI_EEEEENSH_IJSG_SG_SG_EEES9_SI_JZNS1_25segmented_radix_sort_implINS0_14default_configELb1EPK12hip_bfloat16PSP_PKlPlN2at6native12_GLOBAL__N_18offset_tEEE10hipError_tPvRmT1_PNSt15iterator_traitsIS13_E10value_typeET2_T3_PNS14_IS19_E10value_typeET4_jRbjT5_S1F_jjP12ihipStream_tbEUljE_ZNSN_ISO_Lb1ESR_SS_SU_SV_SZ_EES10_S11_S12_S13_S17_S18_S19_S1C_S1D_jS1E_jS1F_S1F_jjS1H_bEUljE0_EEES10_S11_S12_S19_S1D_S1F_T6_T7_T9_mT8_S1H_bDpT10_ENKUlT_T0_E_clISt17integral_constantIbLb0EES1V_EEDaS1Q_S1R_EUlS1Q_E_NS1_11comp_targetILNS1_3genE4ELNS1_11target_archE910ELNS1_3gpuE8ELNS1_3repE0EEENS1_30default_config_static_selectorELNS0_4arch9wavefront6targetE0EEEvS13_,"axG",@progbits,_ZN7rocprim17ROCPRIM_400000_NS6detail17trampoline_kernelINS0_13select_configILj256ELj13ELNS0_17block_load_methodE3ELS4_3ELS4_3ELNS0_20block_scan_algorithmE0ELj4294967295EEENS1_25partition_config_selectorILNS1_17partition_subalgoE4EjNS0_10empty_typeEbEEZZNS1_14partition_implILS8_4ELb0ES6_15HIP_vector_typeIjLj2EENS0_17counting_iteratorIjlEEPS9_SG_NS0_5tupleIJPjSI_NS0_16reverse_iteratorISI_EEEEENSH_IJSG_SG_SG_EEES9_SI_JZNS1_25segmented_radix_sort_implINS0_14default_configELb1EPK12hip_bfloat16PSP_PKlPlN2at6native12_GLOBAL__N_18offset_tEEE10hipError_tPvRmT1_PNSt15iterator_traitsIS13_E10value_typeET2_T3_PNS14_IS19_E10value_typeET4_jRbjT5_S1F_jjP12ihipStream_tbEUljE_ZNSN_ISO_Lb1ESR_SS_SU_SV_SZ_EES10_S11_S12_S13_S17_S18_S19_S1C_S1D_jS1E_jS1F_S1F_jjS1H_bEUljE0_EEES10_S11_S12_S19_S1D_S1F_T6_T7_T9_mT8_S1H_bDpT10_ENKUlT_T0_E_clISt17integral_constantIbLb0EES1V_EEDaS1Q_S1R_EUlS1Q_E_NS1_11comp_targetILNS1_3genE4ELNS1_11target_archE910ELNS1_3gpuE8ELNS1_3repE0EEENS1_30default_config_static_selectorELNS0_4arch9wavefront6targetE0EEEvS13_,comdat
	.globl	_ZN7rocprim17ROCPRIM_400000_NS6detail17trampoline_kernelINS0_13select_configILj256ELj13ELNS0_17block_load_methodE3ELS4_3ELS4_3ELNS0_20block_scan_algorithmE0ELj4294967295EEENS1_25partition_config_selectorILNS1_17partition_subalgoE4EjNS0_10empty_typeEbEEZZNS1_14partition_implILS8_4ELb0ES6_15HIP_vector_typeIjLj2EENS0_17counting_iteratorIjlEEPS9_SG_NS0_5tupleIJPjSI_NS0_16reverse_iteratorISI_EEEEENSH_IJSG_SG_SG_EEES9_SI_JZNS1_25segmented_radix_sort_implINS0_14default_configELb1EPK12hip_bfloat16PSP_PKlPlN2at6native12_GLOBAL__N_18offset_tEEE10hipError_tPvRmT1_PNSt15iterator_traitsIS13_E10value_typeET2_T3_PNS14_IS19_E10value_typeET4_jRbjT5_S1F_jjP12ihipStream_tbEUljE_ZNSN_ISO_Lb1ESR_SS_SU_SV_SZ_EES10_S11_S12_S13_S17_S18_S19_S1C_S1D_jS1E_jS1F_S1F_jjS1H_bEUljE0_EEES10_S11_S12_S19_S1D_S1F_T6_T7_T9_mT8_S1H_bDpT10_ENKUlT_T0_E_clISt17integral_constantIbLb0EES1V_EEDaS1Q_S1R_EUlS1Q_E_NS1_11comp_targetILNS1_3genE4ELNS1_11target_archE910ELNS1_3gpuE8ELNS1_3repE0EEENS1_30default_config_static_selectorELNS0_4arch9wavefront6targetE0EEEvS13_ ; -- Begin function _ZN7rocprim17ROCPRIM_400000_NS6detail17trampoline_kernelINS0_13select_configILj256ELj13ELNS0_17block_load_methodE3ELS4_3ELS4_3ELNS0_20block_scan_algorithmE0ELj4294967295EEENS1_25partition_config_selectorILNS1_17partition_subalgoE4EjNS0_10empty_typeEbEEZZNS1_14partition_implILS8_4ELb0ES6_15HIP_vector_typeIjLj2EENS0_17counting_iteratorIjlEEPS9_SG_NS0_5tupleIJPjSI_NS0_16reverse_iteratorISI_EEEEENSH_IJSG_SG_SG_EEES9_SI_JZNS1_25segmented_radix_sort_implINS0_14default_configELb1EPK12hip_bfloat16PSP_PKlPlN2at6native12_GLOBAL__N_18offset_tEEE10hipError_tPvRmT1_PNSt15iterator_traitsIS13_E10value_typeET2_T3_PNS14_IS19_E10value_typeET4_jRbjT5_S1F_jjP12ihipStream_tbEUljE_ZNSN_ISO_Lb1ESR_SS_SU_SV_SZ_EES10_S11_S12_S13_S17_S18_S19_S1C_S1D_jS1E_jS1F_S1F_jjS1H_bEUljE0_EEES10_S11_S12_S19_S1D_S1F_T6_T7_T9_mT8_S1H_bDpT10_ENKUlT_T0_E_clISt17integral_constantIbLb0EES1V_EEDaS1Q_S1R_EUlS1Q_E_NS1_11comp_targetILNS1_3genE4ELNS1_11target_archE910ELNS1_3gpuE8ELNS1_3repE0EEENS1_30default_config_static_selectorELNS0_4arch9wavefront6targetE0EEEvS13_
	.p2align	8
	.type	_ZN7rocprim17ROCPRIM_400000_NS6detail17trampoline_kernelINS0_13select_configILj256ELj13ELNS0_17block_load_methodE3ELS4_3ELS4_3ELNS0_20block_scan_algorithmE0ELj4294967295EEENS1_25partition_config_selectorILNS1_17partition_subalgoE4EjNS0_10empty_typeEbEEZZNS1_14partition_implILS8_4ELb0ES6_15HIP_vector_typeIjLj2EENS0_17counting_iteratorIjlEEPS9_SG_NS0_5tupleIJPjSI_NS0_16reverse_iteratorISI_EEEEENSH_IJSG_SG_SG_EEES9_SI_JZNS1_25segmented_radix_sort_implINS0_14default_configELb1EPK12hip_bfloat16PSP_PKlPlN2at6native12_GLOBAL__N_18offset_tEEE10hipError_tPvRmT1_PNSt15iterator_traitsIS13_E10value_typeET2_T3_PNS14_IS19_E10value_typeET4_jRbjT5_S1F_jjP12ihipStream_tbEUljE_ZNSN_ISO_Lb1ESR_SS_SU_SV_SZ_EES10_S11_S12_S13_S17_S18_S19_S1C_S1D_jS1E_jS1F_S1F_jjS1H_bEUljE0_EEES10_S11_S12_S19_S1D_S1F_T6_T7_T9_mT8_S1H_bDpT10_ENKUlT_T0_E_clISt17integral_constantIbLb0EES1V_EEDaS1Q_S1R_EUlS1Q_E_NS1_11comp_targetILNS1_3genE4ELNS1_11target_archE910ELNS1_3gpuE8ELNS1_3repE0EEENS1_30default_config_static_selectorELNS0_4arch9wavefront6targetE0EEEvS13_,@function
_ZN7rocprim17ROCPRIM_400000_NS6detail17trampoline_kernelINS0_13select_configILj256ELj13ELNS0_17block_load_methodE3ELS4_3ELS4_3ELNS0_20block_scan_algorithmE0ELj4294967295EEENS1_25partition_config_selectorILNS1_17partition_subalgoE4EjNS0_10empty_typeEbEEZZNS1_14partition_implILS8_4ELb0ES6_15HIP_vector_typeIjLj2EENS0_17counting_iteratorIjlEEPS9_SG_NS0_5tupleIJPjSI_NS0_16reverse_iteratorISI_EEEEENSH_IJSG_SG_SG_EEES9_SI_JZNS1_25segmented_radix_sort_implINS0_14default_configELb1EPK12hip_bfloat16PSP_PKlPlN2at6native12_GLOBAL__N_18offset_tEEE10hipError_tPvRmT1_PNSt15iterator_traitsIS13_E10value_typeET2_T3_PNS14_IS19_E10value_typeET4_jRbjT5_S1F_jjP12ihipStream_tbEUljE_ZNSN_ISO_Lb1ESR_SS_SU_SV_SZ_EES10_S11_S12_S13_S17_S18_S19_S1C_S1D_jS1E_jS1F_S1F_jjS1H_bEUljE0_EEES10_S11_S12_S19_S1D_S1F_T6_T7_T9_mT8_S1H_bDpT10_ENKUlT_T0_E_clISt17integral_constantIbLb0EES1V_EEDaS1Q_S1R_EUlS1Q_E_NS1_11comp_targetILNS1_3genE4ELNS1_11target_archE910ELNS1_3gpuE8ELNS1_3repE0EEENS1_30default_config_static_selectorELNS0_4arch9wavefront6targetE0EEEvS13_: ; @_ZN7rocprim17ROCPRIM_400000_NS6detail17trampoline_kernelINS0_13select_configILj256ELj13ELNS0_17block_load_methodE3ELS4_3ELS4_3ELNS0_20block_scan_algorithmE0ELj4294967295EEENS1_25partition_config_selectorILNS1_17partition_subalgoE4EjNS0_10empty_typeEbEEZZNS1_14partition_implILS8_4ELb0ES6_15HIP_vector_typeIjLj2EENS0_17counting_iteratorIjlEEPS9_SG_NS0_5tupleIJPjSI_NS0_16reverse_iteratorISI_EEEEENSH_IJSG_SG_SG_EEES9_SI_JZNS1_25segmented_radix_sort_implINS0_14default_configELb1EPK12hip_bfloat16PSP_PKlPlN2at6native12_GLOBAL__N_18offset_tEEE10hipError_tPvRmT1_PNSt15iterator_traitsIS13_E10value_typeET2_T3_PNS14_IS19_E10value_typeET4_jRbjT5_S1F_jjP12ihipStream_tbEUljE_ZNSN_ISO_Lb1ESR_SS_SU_SV_SZ_EES10_S11_S12_S13_S17_S18_S19_S1C_S1D_jS1E_jS1F_S1F_jjS1H_bEUljE0_EEES10_S11_S12_S19_S1D_S1F_T6_T7_T9_mT8_S1H_bDpT10_ENKUlT_T0_E_clISt17integral_constantIbLb0EES1V_EEDaS1Q_S1R_EUlS1Q_E_NS1_11comp_targetILNS1_3genE4ELNS1_11target_archE910ELNS1_3gpuE8ELNS1_3repE0EEENS1_30default_config_static_selectorELNS0_4arch9wavefront6targetE0EEEvS13_
; %bb.0:
	.section	.rodata,"a",@progbits
	.p2align	6, 0x0
	.amdhsa_kernel _ZN7rocprim17ROCPRIM_400000_NS6detail17trampoline_kernelINS0_13select_configILj256ELj13ELNS0_17block_load_methodE3ELS4_3ELS4_3ELNS0_20block_scan_algorithmE0ELj4294967295EEENS1_25partition_config_selectorILNS1_17partition_subalgoE4EjNS0_10empty_typeEbEEZZNS1_14partition_implILS8_4ELb0ES6_15HIP_vector_typeIjLj2EENS0_17counting_iteratorIjlEEPS9_SG_NS0_5tupleIJPjSI_NS0_16reverse_iteratorISI_EEEEENSH_IJSG_SG_SG_EEES9_SI_JZNS1_25segmented_radix_sort_implINS0_14default_configELb1EPK12hip_bfloat16PSP_PKlPlN2at6native12_GLOBAL__N_18offset_tEEE10hipError_tPvRmT1_PNSt15iterator_traitsIS13_E10value_typeET2_T3_PNS14_IS19_E10value_typeET4_jRbjT5_S1F_jjP12ihipStream_tbEUljE_ZNSN_ISO_Lb1ESR_SS_SU_SV_SZ_EES10_S11_S12_S13_S17_S18_S19_S1C_S1D_jS1E_jS1F_S1F_jjS1H_bEUljE0_EEES10_S11_S12_S19_S1D_S1F_T6_T7_T9_mT8_S1H_bDpT10_ENKUlT_T0_E_clISt17integral_constantIbLb0EES1V_EEDaS1Q_S1R_EUlS1Q_E_NS1_11comp_targetILNS1_3genE4ELNS1_11target_archE910ELNS1_3gpuE8ELNS1_3repE0EEENS1_30default_config_static_selectorELNS0_4arch9wavefront6targetE0EEEvS13_
		.amdhsa_group_segment_fixed_size 0
		.amdhsa_private_segment_fixed_size 0
		.amdhsa_kernarg_size 176
		.amdhsa_user_sgpr_count 15
		.amdhsa_user_sgpr_dispatch_ptr 0
		.amdhsa_user_sgpr_queue_ptr 0
		.amdhsa_user_sgpr_kernarg_segment_ptr 1
		.amdhsa_user_sgpr_dispatch_id 0
		.amdhsa_user_sgpr_private_segment_size 0
		.amdhsa_wavefront_size32 1
		.amdhsa_uses_dynamic_stack 0
		.amdhsa_enable_private_segment 0
		.amdhsa_system_sgpr_workgroup_id_x 1
		.amdhsa_system_sgpr_workgroup_id_y 0
		.amdhsa_system_sgpr_workgroup_id_z 0
		.amdhsa_system_sgpr_workgroup_info 0
		.amdhsa_system_vgpr_workitem_id 0
		.amdhsa_next_free_vgpr 1
		.amdhsa_next_free_sgpr 1
		.amdhsa_reserve_vcc 0
		.amdhsa_float_round_mode_32 0
		.amdhsa_float_round_mode_16_64 0
		.amdhsa_float_denorm_mode_32 3
		.amdhsa_float_denorm_mode_16_64 3
		.amdhsa_dx10_clamp 1
		.amdhsa_ieee_mode 1
		.amdhsa_fp16_overflow 0
		.amdhsa_workgroup_processor_mode 1
		.amdhsa_memory_ordered 1
		.amdhsa_forward_progress 0
		.amdhsa_shared_vgpr_count 0
		.amdhsa_exception_fp_ieee_invalid_op 0
		.amdhsa_exception_fp_denorm_src 0
		.amdhsa_exception_fp_ieee_div_zero 0
		.amdhsa_exception_fp_ieee_overflow 0
		.amdhsa_exception_fp_ieee_underflow 0
		.amdhsa_exception_fp_ieee_inexact 0
		.amdhsa_exception_int_div_zero 0
	.end_amdhsa_kernel
	.section	.text._ZN7rocprim17ROCPRIM_400000_NS6detail17trampoline_kernelINS0_13select_configILj256ELj13ELNS0_17block_load_methodE3ELS4_3ELS4_3ELNS0_20block_scan_algorithmE0ELj4294967295EEENS1_25partition_config_selectorILNS1_17partition_subalgoE4EjNS0_10empty_typeEbEEZZNS1_14partition_implILS8_4ELb0ES6_15HIP_vector_typeIjLj2EENS0_17counting_iteratorIjlEEPS9_SG_NS0_5tupleIJPjSI_NS0_16reverse_iteratorISI_EEEEENSH_IJSG_SG_SG_EEES9_SI_JZNS1_25segmented_radix_sort_implINS0_14default_configELb1EPK12hip_bfloat16PSP_PKlPlN2at6native12_GLOBAL__N_18offset_tEEE10hipError_tPvRmT1_PNSt15iterator_traitsIS13_E10value_typeET2_T3_PNS14_IS19_E10value_typeET4_jRbjT5_S1F_jjP12ihipStream_tbEUljE_ZNSN_ISO_Lb1ESR_SS_SU_SV_SZ_EES10_S11_S12_S13_S17_S18_S19_S1C_S1D_jS1E_jS1F_S1F_jjS1H_bEUljE0_EEES10_S11_S12_S19_S1D_S1F_T6_T7_T9_mT8_S1H_bDpT10_ENKUlT_T0_E_clISt17integral_constantIbLb0EES1V_EEDaS1Q_S1R_EUlS1Q_E_NS1_11comp_targetILNS1_3genE4ELNS1_11target_archE910ELNS1_3gpuE8ELNS1_3repE0EEENS1_30default_config_static_selectorELNS0_4arch9wavefront6targetE0EEEvS13_,"axG",@progbits,_ZN7rocprim17ROCPRIM_400000_NS6detail17trampoline_kernelINS0_13select_configILj256ELj13ELNS0_17block_load_methodE3ELS4_3ELS4_3ELNS0_20block_scan_algorithmE0ELj4294967295EEENS1_25partition_config_selectorILNS1_17partition_subalgoE4EjNS0_10empty_typeEbEEZZNS1_14partition_implILS8_4ELb0ES6_15HIP_vector_typeIjLj2EENS0_17counting_iteratorIjlEEPS9_SG_NS0_5tupleIJPjSI_NS0_16reverse_iteratorISI_EEEEENSH_IJSG_SG_SG_EEES9_SI_JZNS1_25segmented_radix_sort_implINS0_14default_configELb1EPK12hip_bfloat16PSP_PKlPlN2at6native12_GLOBAL__N_18offset_tEEE10hipError_tPvRmT1_PNSt15iterator_traitsIS13_E10value_typeET2_T3_PNS14_IS19_E10value_typeET4_jRbjT5_S1F_jjP12ihipStream_tbEUljE_ZNSN_ISO_Lb1ESR_SS_SU_SV_SZ_EES10_S11_S12_S13_S17_S18_S19_S1C_S1D_jS1E_jS1F_S1F_jjS1H_bEUljE0_EEES10_S11_S12_S19_S1D_S1F_T6_T7_T9_mT8_S1H_bDpT10_ENKUlT_T0_E_clISt17integral_constantIbLb0EES1V_EEDaS1Q_S1R_EUlS1Q_E_NS1_11comp_targetILNS1_3genE4ELNS1_11target_archE910ELNS1_3gpuE8ELNS1_3repE0EEENS1_30default_config_static_selectorELNS0_4arch9wavefront6targetE0EEEvS13_,comdat
.Lfunc_end1884:
	.size	_ZN7rocprim17ROCPRIM_400000_NS6detail17trampoline_kernelINS0_13select_configILj256ELj13ELNS0_17block_load_methodE3ELS4_3ELS4_3ELNS0_20block_scan_algorithmE0ELj4294967295EEENS1_25partition_config_selectorILNS1_17partition_subalgoE4EjNS0_10empty_typeEbEEZZNS1_14partition_implILS8_4ELb0ES6_15HIP_vector_typeIjLj2EENS0_17counting_iteratorIjlEEPS9_SG_NS0_5tupleIJPjSI_NS0_16reverse_iteratorISI_EEEEENSH_IJSG_SG_SG_EEES9_SI_JZNS1_25segmented_radix_sort_implINS0_14default_configELb1EPK12hip_bfloat16PSP_PKlPlN2at6native12_GLOBAL__N_18offset_tEEE10hipError_tPvRmT1_PNSt15iterator_traitsIS13_E10value_typeET2_T3_PNS14_IS19_E10value_typeET4_jRbjT5_S1F_jjP12ihipStream_tbEUljE_ZNSN_ISO_Lb1ESR_SS_SU_SV_SZ_EES10_S11_S12_S13_S17_S18_S19_S1C_S1D_jS1E_jS1F_S1F_jjS1H_bEUljE0_EEES10_S11_S12_S19_S1D_S1F_T6_T7_T9_mT8_S1H_bDpT10_ENKUlT_T0_E_clISt17integral_constantIbLb0EES1V_EEDaS1Q_S1R_EUlS1Q_E_NS1_11comp_targetILNS1_3genE4ELNS1_11target_archE910ELNS1_3gpuE8ELNS1_3repE0EEENS1_30default_config_static_selectorELNS0_4arch9wavefront6targetE0EEEvS13_, .Lfunc_end1884-_ZN7rocprim17ROCPRIM_400000_NS6detail17trampoline_kernelINS0_13select_configILj256ELj13ELNS0_17block_load_methodE3ELS4_3ELS4_3ELNS0_20block_scan_algorithmE0ELj4294967295EEENS1_25partition_config_selectorILNS1_17partition_subalgoE4EjNS0_10empty_typeEbEEZZNS1_14partition_implILS8_4ELb0ES6_15HIP_vector_typeIjLj2EENS0_17counting_iteratorIjlEEPS9_SG_NS0_5tupleIJPjSI_NS0_16reverse_iteratorISI_EEEEENSH_IJSG_SG_SG_EEES9_SI_JZNS1_25segmented_radix_sort_implINS0_14default_configELb1EPK12hip_bfloat16PSP_PKlPlN2at6native12_GLOBAL__N_18offset_tEEE10hipError_tPvRmT1_PNSt15iterator_traitsIS13_E10value_typeET2_T3_PNS14_IS19_E10value_typeET4_jRbjT5_S1F_jjP12ihipStream_tbEUljE_ZNSN_ISO_Lb1ESR_SS_SU_SV_SZ_EES10_S11_S12_S13_S17_S18_S19_S1C_S1D_jS1E_jS1F_S1F_jjS1H_bEUljE0_EEES10_S11_S12_S19_S1D_S1F_T6_T7_T9_mT8_S1H_bDpT10_ENKUlT_T0_E_clISt17integral_constantIbLb0EES1V_EEDaS1Q_S1R_EUlS1Q_E_NS1_11comp_targetILNS1_3genE4ELNS1_11target_archE910ELNS1_3gpuE8ELNS1_3repE0EEENS1_30default_config_static_selectorELNS0_4arch9wavefront6targetE0EEEvS13_
                                        ; -- End function
	.section	.AMDGPU.csdata,"",@progbits
; Kernel info:
; codeLenInByte = 0
; NumSgprs: 0
; NumVgprs: 0
; ScratchSize: 0
; MemoryBound: 0
; FloatMode: 240
; IeeeMode: 1
; LDSByteSize: 0 bytes/workgroup (compile time only)
; SGPRBlocks: 0
; VGPRBlocks: 0
; NumSGPRsForWavesPerEU: 1
; NumVGPRsForWavesPerEU: 1
; Occupancy: 16
; WaveLimiterHint : 0
; COMPUTE_PGM_RSRC2:SCRATCH_EN: 0
; COMPUTE_PGM_RSRC2:USER_SGPR: 15
; COMPUTE_PGM_RSRC2:TRAP_HANDLER: 0
; COMPUTE_PGM_RSRC2:TGID_X_EN: 1
; COMPUTE_PGM_RSRC2:TGID_Y_EN: 0
; COMPUTE_PGM_RSRC2:TGID_Z_EN: 0
; COMPUTE_PGM_RSRC2:TIDIG_COMP_CNT: 0
	.section	.text._ZN7rocprim17ROCPRIM_400000_NS6detail17trampoline_kernelINS0_13select_configILj256ELj13ELNS0_17block_load_methodE3ELS4_3ELS4_3ELNS0_20block_scan_algorithmE0ELj4294967295EEENS1_25partition_config_selectorILNS1_17partition_subalgoE4EjNS0_10empty_typeEbEEZZNS1_14partition_implILS8_4ELb0ES6_15HIP_vector_typeIjLj2EENS0_17counting_iteratorIjlEEPS9_SG_NS0_5tupleIJPjSI_NS0_16reverse_iteratorISI_EEEEENSH_IJSG_SG_SG_EEES9_SI_JZNS1_25segmented_radix_sort_implINS0_14default_configELb1EPK12hip_bfloat16PSP_PKlPlN2at6native12_GLOBAL__N_18offset_tEEE10hipError_tPvRmT1_PNSt15iterator_traitsIS13_E10value_typeET2_T3_PNS14_IS19_E10value_typeET4_jRbjT5_S1F_jjP12ihipStream_tbEUljE_ZNSN_ISO_Lb1ESR_SS_SU_SV_SZ_EES10_S11_S12_S13_S17_S18_S19_S1C_S1D_jS1E_jS1F_S1F_jjS1H_bEUljE0_EEES10_S11_S12_S19_S1D_S1F_T6_T7_T9_mT8_S1H_bDpT10_ENKUlT_T0_E_clISt17integral_constantIbLb0EES1V_EEDaS1Q_S1R_EUlS1Q_E_NS1_11comp_targetILNS1_3genE3ELNS1_11target_archE908ELNS1_3gpuE7ELNS1_3repE0EEENS1_30default_config_static_selectorELNS0_4arch9wavefront6targetE0EEEvS13_,"axG",@progbits,_ZN7rocprim17ROCPRIM_400000_NS6detail17trampoline_kernelINS0_13select_configILj256ELj13ELNS0_17block_load_methodE3ELS4_3ELS4_3ELNS0_20block_scan_algorithmE0ELj4294967295EEENS1_25partition_config_selectorILNS1_17partition_subalgoE4EjNS0_10empty_typeEbEEZZNS1_14partition_implILS8_4ELb0ES6_15HIP_vector_typeIjLj2EENS0_17counting_iteratorIjlEEPS9_SG_NS0_5tupleIJPjSI_NS0_16reverse_iteratorISI_EEEEENSH_IJSG_SG_SG_EEES9_SI_JZNS1_25segmented_radix_sort_implINS0_14default_configELb1EPK12hip_bfloat16PSP_PKlPlN2at6native12_GLOBAL__N_18offset_tEEE10hipError_tPvRmT1_PNSt15iterator_traitsIS13_E10value_typeET2_T3_PNS14_IS19_E10value_typeET4_jRbjT5_S1F_jjP12ihipStream_tbEUljE_ZNSN_ISO_Lb1ESR_SS_SU_SV_SZ_EES10_S11_S12_S13_S17_S18_S19_S1C_S1D_jS1E_jS1F_S1F_jjS1H_bEUljE0_EEES10_S11_S12_S19_S1D_S1F_T6_T7_T9_mT8_S1H_bDpT10_ENKUlT_T0_E_clISt17integral_constantIbLb0EES1V_EEDaS1Q_S1R_EUlS1Q_E_NS1_11comp_targetILNS1_3genE3ELNS1_11target_archE908ELNS1_3gpuE7ELNS1_3repE0EEENS1_30default_config_static_selectorELNS0_4arch9wavefront6targetE0EEEvS13_,comdat
	.globl	_ZN7rocprim17ROCPRIM_400000_NS6detail17trampoline_kernelINS0_13select_configILj256ELj13ELNS0_17block_load_methodE3ELS4_3ELS4_3ELNS0_20block_scan_algorithmE0ELj4294967295EEENS1_25partition_config_selectorILNS1_17partition_subalgoE4EjNS0_10empty_typeEbEEZZNS1_14partition_implILS8_4ELb0ES6_15HIP_vector_typeIjLj2EENS0_17counting_iteratorIjlEEPS9_SG_NS0_5tupleIJPjSI_NS0_16reverse_iteratorISI_EEEEENSH_IJSG_SG_SG_EEES9_SI_JZNS1_25segmented_radix_sort_implINS0_14default_configELb1EPK12hip_bfloat16PSP_PKlPlN2at6native12_GLOBAL__N_18offset_tEEE10hipError_tPvRmT1_PNSt15iterator_traitsIS13_E10value_typeET2_T3_PNS14_IS19_E10value_typeET4_jRbjT5_S1F_jjP12ihipStream_tbEUljE_ZNSN_ISO_Lb1ESR_SS_SU_SV_SZ_EES10_S11_S12_S13_S17_S18_S19_S1C_S1D_jS1E_jS1F_S1F_jjS1H_bEUljE0_EEES10_S11_S12_S19_S1D_S1F_T6_T7_T9_mT8_S1H_bDpT10_ENKUlT_T0_E_clISt17integral_constantIbLb0EES1V_EEDaS1Q_S1R_EUlS1Q_E_NS1_11comp_targetILNS1_3genE3ELNS1_11target_archE908ELNS1_3gpuE7ELNS1_3repE0EEENS1_30default_config_static_selectorELNS0_4arch9wavefront6targetE0EEEvS13_ ; -- Begin function _ZN7rocprim17ROCPRIM_400000_NS6detail17trampoline_kernelINS0_13select_configILj256ELj13ELNS0_17block_load_methodE3ELS4_3ELS4_3ELNS0_20block_scan_algorithmE0ELj4294967295EEENS1_25partition_config_selectorILNS1_17partition_subalgoE4EjNS0_10empty_typeEbEEZZNS1_14partition_implILS8_4ELb0ES6_15HIP_vector_typeIjLj2EENS0_17counting_iteratorIjlEEPS9_SG_NS0_5tupleIJPjSI_NS0_16reverse_iteratorISI_EEEEENSH_IJSG_SG_SG_EEES9_SI_JZNS1_25segmented_radix_sort_implINS0_14default_configELb1EPK12hip_bfloat16PSP_PKlPlN2at6native12_GLOBAL__N_18offset_tEEE10hipError_tPvRmT1_PNSt15iterator_traitsIS13_E10value_typeET2_T3_PNS14_IS19_E10value_typeET4_jRbjT5_S1F_jjP12ihipStream_tbEUljE_ZNSN_ISO_Lb1ESR_SS_SU_SV_SZ_EES10_S11_S12_S13_S17_S18_S19_S1C_S1D_jS1E_jS1F_S1F_jjS1H_bEUljE0_EEES10_S11_S12_S19_S1D_S1F_T6_T7_T9_mT8_S1H_bDpT10_ENKUlT_T0_E_clISt17integral_constantIbLb0EES1V_EEDaS1Q_S1R_EUlS1Q_E_NS1_11comp_targetILNS1_3genE3ELNS1_11target_archE908ELNS1_3gpuE7ELNS1_3repE0EEENS1_30default_config_static_selectorELNS0_4arch9wavefront6targetE0EEEvS13_
	.p2align	8
	.type	_ZN7rocprim17ROCPRIM_400000_NS6detail17trampoline_kernelINS0_13select_configILj256ELj13ELNS0_17block_load_methodE3ELS4_3ELS4_3ELNS0_20block_scan_algorithmE0ELj4294967295EEENS1_25partition_config_selectorILNS1_17partition_subalgoE4EjNS0_10empty_typeEbEEZZNS1_14partition_implILS8_4ELb0ES6_15HIP_vector_typeIjLj2EENS0_17counting_iteratorIjlEEPS9_SG_NS0_5tupleIJPjSI_NS0_16reverse_iteratorISI_EEEEENSH_IJSG_SG_SG_EEES9_SI_JZNS1_25segmented_radix_sort_implINS0_14default_configELb1EPK12hip_bfloat16PSP_PKlPlN2at6native12_GLOBAL__N_18offset_tEEE10hipError_tPvRmT1_PNSt15iterator_traitsIS13_E10value_typeET2_T3_PNS14_IS19_E10value_typeET4_jRbjT5_S1F_jjP12ihipStream_tbEUljE_ZNSN_ISO_Lb1ESR_SS_SU_SV_SZ_EES10_S11_S12_S13_S17_S18_S19_S1C_S1D_jS1E_jS1F_S1F_jjS1H_bEUljE0_EEES10_S11_S12_S19_S1D_S1F_T6_T7_T9_mT8_S1H_bDpT10_ENKUlT_T0_E_clISt17integral_constantIbLb0EES1V_EEDaS1Q_S1R_EUlS1Q_E_NS1_11comp_targetILNS1_3genE3ELNS1_11target_archE908ELNS1_3gpuE7ELNS1_3repE0EEENS1_30default_config_static_selectorELNS0_4arch9wavefront6targetE0EEEvS13_,@function
_ZN7rocprim17ROCPRIM_400000_NS6detail17trampoline_kernelINS0_13select_configILj256ELj13ELNS0_17block_load_methodE3ELS4_3ELS4_3ELNS0_20block_scan_algorithmE0ELj4294967295EEENS1_25partition_config_selectorILNS1_17partition_subalgoE4EjNS0_10empty_typeEbEEZZNS1_14partition_implILS8_4ELb0ES6_15HIP_vector_typeIjLj2EENS0_17counting_iteratorIjlEEPS9_SG_NS0_5tupleIJPjSI_NS0_16reverse_iteratorISI_EEEEENSH_IJSG_SG_SG_EEES9_SI_JZNS1_25segmented_radix_sort_implINS0_14default_configELb1EPK12hip_bfloat16PSP_PKlPlN2at6native12_GLOBAL__N_18offset_tEEE10hipError_tPvRmT1_PNSt15iterator_traitsIS13_E10value_typeET2_T3_PNS14_IS19_E10value_typeET4_jRbjT5_S1F_jjP12ihipStream_tbEUljE_ZNSN_ISO_Lb1ESR_SS_SU_SV_SZ_EES10_S11_S12_S13_S17_S18_S19_S1C_S1D_jS1E_jS1F_S1F_jjS1H_bEUljE0_EEES10_S11_S12_S19_S1D_S1F_T6_T7_T9_mT8_S1H_bDpT10_ENKUlT_T0_E_clISt17integral_constantIbLb0EES1V_EEDaS1Q_S1R_EUlS1Q_E_NS1_11comp_targetILNS1_3genE3ELNS1_11target_archE908ELNS1_3gpuE7ELNS1_3repE0EEENS1_30default_config_static_selectorELNS0_4arch9wavefront6targetE0EEEvS13_: ; @_ZN7rocprim17ROCPRIM_400000_NS6detail17trampoline_kernelINS0_13select_configILj256ELj13ELNS0_17block_load_methodE3ELS4_3ELS4_3ELNS0_20block_scan_algorithmE0ELj4294967295EEENS1_25partition_config_selectorILNS1_17partition_subalgoE4EjNS0_10empty_typeEbEEZZNS1_14partition_implILS8_4ELb0ES6_15HIP_vector_typeIjLj2EENS0_17counting_iteratorIjlEEPS9_SG_NS0_5tupleIJPjSI_NS0_16reverse_iteratorISI_EEEEENSH_IJSG_SG_SG_EEES9_SI_JZNS1_25segmented_radix_sort_implINS0_14default_configELb1EPK12hip_bfloat16PSP_PKlPlN2at6native12_GLOBAL__N_18offset_tEEE10hipError_tPvRmT1_PNSt15iterator_traitsIS13_E10value_typeET2_T3_PNS14_IS19_E10value_typeET4_jRbjT5_S1F_jjP12ihipStream_tbEUljE_ZNSN_ISO_Lb1ESR_SS_SU_SV_SZ_EES10_S11_S12_S13_S17_S18_S19_S1C_S1D_jS1E_jS1F_S1F_jjS1H_bEUljE0_EEES10_S11_S12_S19_S1D_S1F_T6_T7_T9_mT8_S1H_bDpT10_ENKUlT_T0_E_clISt17integral_constantIbLb0EES1V_EEDaS1Q_S1R_EUlS1Q_E_NS1_11comp_targetILNS1_3genE3ELNS1_11target_archE908ELNS1_3gpuE7ELNS1_3repE0EEENS1_30default_config_static_selectorELNS0_4arch9wavefront6targetE0EEEvS13_
; %bb.0:
	.section	.rodata,"a",@progbits
	.p2align	6, 0x0
	.amdhsa_kernel _ZN7rocprim17ROCPRIM_400000_NS6detail17trampoline_kernelINS0_13select_configILj256ELj13ELNS0_17block_load_methodE3ELS4_3ELS4_3ELNS0_20block_scan_algorithmE0ELj4294967295EEENS1_25partition_config_selectorILNS1_17partition_subalgoE4EjNS0_10empty_typeEbEEZZNS1_14partition_implILS8_4ELb0ES6_15HIP_vector_typeIjLj2EENS0_17counting_iteratorIjlEEPS9_SG_NS0_5tupleIJPjSI_NS0_16reverse_iteratorISI_EEEEENSH_IJSG_SG_SG_EEES9_SI_JZNS1_25segmented_radix_sort_implINS0_14default_configELb1EPK12hip_bfloat16PSP_PKlPlN2at6native12_GLOBAL__N_18offset_tEEE10hipError_tPvRmT1_PNSt15iterator_traitsIS13_E10value_typeET2_T3_PNS14_IS19_E10value_typeET4_jRbjT5_S1F_jjP12ihipStream_tbEUljE_ZNSN_ISO_Lb1ESR_SS_SU_SV_SZ_EES10_S11_S12_S13_S17_S18_S19_S1C_S1D_jS1E_jS1F_S1F_jjS1H_bEUljE0_EEES10_S11_S12_S19_S1D_S1F_T6_T7_T9_mT8_S1H_bDpT10_ENKUlT_T0_E_clISt17integral_constantIbLb0EES1V_EEDaS1Q_S1R_EUlS1Q_E_NS1_11comp_targetILNS1_3genE3ELNS1_11target_archE908ELNS1_3gpuE7ELNS1_3repE0EEENS1_30default_config_static_selectorELNS0_4arch9wavefront6targetE0EEEvS13_
		.amdhsa_group_segment_fixed_size 0
		.amdhsa_private_segment_fixed_size 0
		.amdhsa_kernarg_size 176
		.amdhsa_user_sgpr_count 15
		.amdhsa_user_sgpr_dispatch_ptr 0
		.amdhsa_user_sgpr_queue_ptr 0
		.amdhsa_user_sgpr_kernarg_segment_ptr 1
		.amdhsa_user_sgpr_dispatch_id 0
		.amdhsa_user_sgpr_private_segment_size 0
		.amdhsa_wavefront_size32 1
		.amdhsa_uses_dynamic_stack 0
		.amdhsa_enable_private_segment 0
		.amdhsa_system_sgpr_workgroup_id_x 1
		.amdhsa_system_sgpr_workgroup_id_y 0
		.amdhsa_system_sgpr_workgroup_id_z 0
		.amdhsa_system_sgpr_workgroup_info 0
		.amdhsa_system_vgpr_workitem_id 0
		.amdhsa_next_free_vgpr 1
		.amdhsa_next_free_sgpr 1
		.amdhsa_reserve_vcc 0
		.amdhsa_float_round_mode_32 0
		.amdhsa_float_round_mode_16_64 0
		.amdhsa_float_denorm_mode_32 3
		.amdhsa_float_denorm_mode_16_64 3
		.amdhsa_dx10_clamp 1
		.amdhsa_ieee_mode 1
		.amdhsa_fp16_overflow 0
		.amdhsa_workgroup_processor_mode 1
		.amdhsa_memory_ordered 1
		.amdhsa_forward_progress 0
		.amdhsa_shared_vgpr_count 0
		.amdhsa_exception_fp_ieee_invalid_op 0
		.amdhsa_exception_fp_denorm_src 0
		.amdhsa_exception_fp_ieee_div_zero 0
		.amdhsa_exception_fp_ieee_overflow 0
		.amdhsa_exception_fp_ieee_underflow 0
		.amdhsa_exception_fp_ieee_inexact 0
		.amdhsa_exception_int_div_zero 0
	.end_amdhsa_kernel
	.section	.text._ZN7rocprim17ROCPRIM_400000_NS6detail17trampoline_kernelINS0_13select_configILj256ELj13ELNS0_17block_load_methodE3ELS4_3ELS4_3ELNS0_20block_scan_algorithmE0ELj4294967295EEENS1_25partition_config_selectorILNS1_17partition_subalgoE4EjNS0_10empty_typeEbEEZZNS1_14partition_implILS8_4ELb0ES6_15HIP_vector_typeIjLj2EENS0_17counting_iteratorIjlEEPS9_SG_NS0_5tupleIJPjSI_NS0_16reverse_iteratorISI_EEEEENSH_IJSG_SG_SG_EEES9_SI_JZNS1_25segmented_radix_sort_implINS0_14default_configELb1EPK12hip_bfloat16PSP_PKlPlN2at6native12_GLOBAL__N_18offset_tEEE10hipError_tPvRmT1_PNSt15iterator_traitsIS13_E10value_typeET2_T3_PNS14_IS19_E10value_typeET4_jRbjT5_S1F_jjP12ihipStream_tbEUljE_ZNSN_ISO_Lb1ESR_SS_SU_SV_SZ_EES10_S11_S12_S13_S17_S18_S19_S1C_S1D_jS1E_jS1F_S1F_jjS1H_bEUljE0_EEES10_S11_S12_S19_S1D_S1F_T6_T7_T9_mT8_S1H_bDpT10_ENKUlT_T0_E_clISt17integral_constantIbLb0EES1V_EEDaS1Q_S1R_EUlS1Q_E_NS1_11comp_targetILNS1_3genE3ELNS1_11target_archE908ELNS1_3gpuE7ELNS1_3repE0EEENS1_30default_config_static_selectorELNS0_4arch9wavefront6targetE0EEEvS13_,"axG",@progbits,_ZN7rocprim17ROCPRIM_400000_NS6detail17trampoline_kernelINS0_13select_configILj256ELj13ELNS0_17block_load_methodE3ELS4_3ELS4_3ELNS0_20block_scan_algorithmE0ELj4294967295EEENS1_25partition_config_selectorILNS1_17partition_subalgoE4EjNS0_10empty_typeEbEEZZNS1_14partition_implILS8_4ELb0ES6_15HIP_vector_typeIjLj2EENS0_17counting_iteratorIjlEEPS9_SG_NS0_5tupleIJPjSI_NS0_16reverse_iteratorISI_EEEEENSH_IJSG_SG_SG_EEES9_SI_JZNS1_25segmented_radix_sort_implINS0_14default_configELb1EPK12hip_bfloat16PSP_PKlPlN2at6native12_GLOBAL__N_18offset_tEEE10hipError_tPvRmT1_PNSt15iterator_traitsIS13_E10value_typeET2_T3_PNS14_IS19_E10value_typeET4_jRbjT5_S1F_jjP12ihipStream_tbEUljE_ZNSN_ISO_Lb1ESR_SS_SU_SV_SZ_EES10_S11_S12_S13_S17_S18_S19_S1C_S1D_jS1E_jS1F_S1F_jjS1H_bEUljE0_EEES10_S11_S12_S19_S1D_S1F_T6_T7_T9_mT8_S1H_bDpT10_ENKUlT_T0_E_clISt17integral_constantIbLb0EES1V_EEDaS1Q_S1R_EUlS1Q_E_NS1_11comp_targetILNS1_3genE3ELNS1_11target_archE908ELNS1_3gpuE7ELNS1_3repE0EEENS1_30default_config_static_selectorELNS0_4arch9wavefront6targetE0EEEvS13_,comdat
.Lfunc_end1885:
	.size	_ZN7rocprim17ROCPRIM_400000_NS6detail17trampoline_kernelINS0_13select_configILj256ELj13ELNS0_17block_load_methodE3ELS4_3ELS4_3ELNS0_20block_scan_algorithmE0ELj4294967295EEENS1_25partition_config_selectorILNS1_17partition_subalgoE4EjNS0_10empty_typeEbEEZZNS1_14partition_implILS8_4ELb0ES6_15HIP_vector_typeIjLj2EENS0_17counting_iteratorIjlEEPS9_SG_NS0_5tupleIJPjSI_NS0_16reverse_iteratorISI_EEEEENSH_IJSG_SG_SG_EEES9_SI_JZNS1_25segmented_radix_sort_implINS0_14default_configELb1EPK12hip_bfloat16PSP_PKlPlN2at6native12_GLOBAL__N_18offset_tEEE10hipError_tPvRmT1_PNSt15iterator_traitsIS13_E10value_typeET2_T3_PNS14_IS19_E10value_typeET4_jRbjT5_S1F_jjP12ihipStream_tbEUljE_ZNSN_ISO_Lb1ESR_SS_SU_SV_SZ_EES10_S11_S12_S13_S17_S18_S19_S1C_S1D_jS1E_jS1F_S1F_jjS1H_bEUljE0_EEES10_S11_S12_S19_S1D_S1F_T6_T7_T9_mT8_S1H_bDpT10_ENKUlT_T0_E_clISt17integral_constantIbLb0EES1V_EEDaS1Q_S1R_EUlS1Q_E_NS1_11comp_targetILNS1_3genE3ELNS1_11target_archE908ELNS1_3gpuE7ELNS1_3repE0EEENS1_30default_config_static_selectorELNS0_4arch9wavefront6targetE0EEEvS13_, .Lfunc_end1885-_ZN7rocprim17ROCPRIM_400000_NS6detail17trampoline_kernelINS0_13select_configILj256ELj13ELNS0_17block_load_methodE3ELS4_3ELS4_3ELNS0_20block_scan_algorithmE0ELj4294967295EEENS1_25partition_config_selectorILNS1_17partition_subalgoE4EjNS0_10empty_typeEbEEZZNS1_14partition_implILS8_4ELb0ES6_15HIP_vector_typeIjLj2EENS0_17counting_iteratorIjlEEPS9_SG_NS0_5tupleIJPjSI_NS0_16reverse_iteratorISI_EEEEENSH_IJSG_SG_SG_EEES9_SI_JZNS1_25segmented_radix_sort_implINS0_14default_configELb1EPK12hip_bfloat16PSP_PKlPlN2at6native12_GLOBAL__N_18offset_tEEE10hipError_tPvRmT1_PNSt15iterator_traitsIS13_E10value_typeET2_T3_PNS14_IS19_E10value_typeET4_jRbjT5_S1F_jjP12ihipStream_tbEUljE_ZNSN_ISO_Lb1ESR_SS_SU_SV_SZ_EES10_S11_S12_S13_S17_S18_S19_S1C_S1D_jS1E_jS1F_S1F_jjS1H_bEUljE0_EEES10_S11_S12_S19_S1D_S1F_T6_T7_T9_mT8_S1H_bDpT10_ENKUlT_T0_E_clISt17integral_constantIbLb0EES1V_EEDaS1Q_S1R_EUlS1Q_E_NS1_11comp_targetILNS1_3genE3ELNS1_11target_archE908ELNS1_3gpuE7ELNS1_3repE0EEENS1_30default_config_static_selectorELNS0_4arch9wavefront6targetE0EEEvS13_
                                        ; -- End function
	.section	.AMDGPU.csdata,"",@progbits
; Kernel info:
; codeLenInByte = 0
; NumSgprs: 0
; NumVgprs: 0
; ScratchSize: 0
; MemoryBound: 0
; FloatMode: 240
; IeeeMode: 1
; LDSByteSize: 0 bytes/workgroup (compile time only)
; SGPRBlocks: 0
; VGPRBlocks: 0
; NumSGPRsForWavesPerEU: 1
; NumVGPRsForWavesPerEU: 1
; Occupancy: 16
; WaveLimiterHint : 0
; COMPUTE_PGM_RSRC2:SCRATCH_EN: 0
; COMPUTE_PGM_RSRC2:USER_SGPR: 15
; COMPUTE_PGM_RSRC2:TRAP_HANDLER: 0
; COMPUTE_PGM_RSRC2:TGID_X_EN: 1
; COMPUTE_PGM_RSRC2:TGID_Y_EN: 0
; COMPUTE_PGM_RSRC2:TGID_Z_EN: 0
; COMPUTE_PGM_RSRC2:TIDIG_COMP_CNT: 0
	.section	.text._ZN7rocprim17ROCPRIM_400000_NS6detail17trampoline_kernelINS0_13select_configILj256ELj13ELNS0_17block_load_methodE3ELS4_3ELS4_3ELNS0_20block_scan_algorithmE0ELj4294967295EEENS1_25partition_config_selectorILNS1_17partition_subalgoE4EjNS0_10empty_typeEbEEZZNS1_14partition_implILS8_4ELb0ES6_15HIP_vector_typeIjLj2EENS0_17counting_iteratorIjlEEPS9_SG_NS0_5tupleIJPjSI_NS0_16reverse_iteratorISI_EEEEENSH_IJSG_SG_SG_EEES9_SI_JZNS1_25segmented_radix_sort_implINS0_14default_configELb1EPK12hip_bfloat16PSP_PKlPlN2at6native12_GLOBAL__N_18offset_tEEE10hipError_tPvRmT1_PNSt15iterator_traitsIS13_E10value_typeET2_T3_PNS14_IS19_E10value_typeET4_jRbjT5_S1F_jjP12ihipStream_tbEUljE_ZNSN_ISO_Lb1ESR_SS_SU_SV_SZ_EES10_S11_S12_S13_S17_S18_S19_S1C_S1D_jS1E_jS1F_S1F_jjS1H_bEUljE0_EEES10_S11_S12_S19_S1D_S1F_T6_T7_T9_mT8_S1H_bDpT10_ENKUlT_T0_E_clISt17integral_constantIbLb0EES1V_EEDaS1Q_S1R_EUlS1Q_E_NS1_11comp_targetILNS1_3genE2ELNS1_11target_archE906ELNS1_3gpuE6ELNS1_3repE0EEENS1_30default_config_static_selectorELNS0_4arch9wavefront6targetE0EEEvS13_,"axG",@progbits,_ZN7rocprim17ROCPRIM_400000_NS6detail17trampoline_kernelINS0_13select_configILj256ELj13ELNS0_17block_load_methodE3ELS4_3ELS4_3ELNS0_20block_scan_algorithmE0ELj4294967295EEENS1_25partition_config_selectorILNS1_17partition_subalgoE4EjNS0_10empty_typeEbEEZZNS1_14partition_implILS8_4ELb0ES6_15HIP_vector_typeIjLj2EENS0_17counting_iteratorIjlEEPS9_SG_NS0_5tupleIJPjSI_NS0_16reverse_iteratorISI_EEEEENSH_IJSG_SG_SG_EEES9_SI_JZNS1_25segmented_radix_sort_implINS0_14default_configELb1EPK12hip_bfloat16PSP_PKlPlN2at6native12_GLOBAL__N_18offset_tEEE10hipError_tPvRmT1_PNSt15iterator_traitsIS13_E10value_typeET2_T3_PNS14_IS19_E10value_typeET4_jRbjT5_S1F_jjP12ihipStream_tbEUljE_ZNSN_ISO_Lb1ESR_SS_SU_SV_SZ_EES10_S11_S12_S13_S17_S18_S19_S1C_S1D_jS1E_jS1F_S1F_jjS1H_bEUljE0_EEES10_S11_S12_S19_S1D_S1F_T6_T7_T9_mT8_S1H_bDpT10_ENKUlT_T0_E_clISt17integral_constantIbLb0EES1V_EEDaS1Q_S1R_EUlS1Q_E_NS1_11comp_targetILNS1_3genE2ELNS1_11target_archE906ELNS1_3gpuE6ELNS1_3repE0EEENS1_30default_config_static_selectorELNS0_4arch9wavefront6targetE0EEEvS13_,comdat
	.globl	_ZN7rocprim17ROCPRIM_400000_NS6detail17trampoline_kernelINS0_13select_configILj256ELj13ELNS0_17block_load_methodE3ELS4_3ELS4_3ELNS0_20block_scan_algorithmE0ELj4294967295EEENS1_25partition_config_selectorILNS1_17partition_subalgoE4EjNS0_10empty_typeEbEEZZNS1_14partition_implILS8_4ELb0ES6_15HIP_vector_typeIjLj2EENS0_17counting_iteratorIjlEEPS9_SG_NS0_5tupleIJPjSI_NS0_16reverse_iteratorISI_EEEEENSH_IJSG_SG_SG_EEES9_SI_JZNS1_25segmented_radix_sort_implINS0_14default_configELb1EPK12hip_bfloat16PSP_PKlPlN2at6native12_GLOBAL__N_18offset_tEEE10hipError_tPvRmT1_PNSt15iterator_traitsIS13_E10value_typeET2_T3_PNS14_IS19_E10value_typeET4_jRbjT5_S1F_jjP12ihipStream_tbEUljE_ZNSN_ISO_Lb1ESR_SS_SU_SV_SZ_EES10_S11_S12_S13_S17_S18_S19_S1C_S1D_jS1E_jS1F_S1F_jjS1H_bEUljE0_EEES10_S11_S12_S19_S1D_S1F_T6_T7_T9_mT8_S1H_bDpT10_ENKUlT_T0_E_clISt17integral_constantIbLb0EES1V_EEDaS1Q_S1R_EUlS1Q_E_NS1_11comp_targetILNS1_3genE2ELNS1_11target_archE906ELNS1_3gpuE6ELNS1_3repE0EEENS1_30default_config_static_selectorELNS0_4arch9wavefront6targetE0EEEvS13_ ; -- Begin function _ZN7rocprim17ROCPRIM_400000_NS6detail17trampoline_kernelINS0_13select_configILj256ELj13ELNS0_17block_load_methodE3ELS4_3ELS4_3ELNS0_20block_scan_algorithmE0ELj4294967295EEENS1_25partition_config_selectorILNS1_17partition_subalgoE4EjNS0_10empty_typeEbEEZZNS1_14partition_implILS8_4ELb0ES6_15HIP_vector_typeIjLj2EENS0_17counting_iteratorIjlEEPS9_SG_NS0_5tupleIJPjSI_NS0_16reverse_iteratorISI_EEEEENSH_IJSG_SG_SG_EEES9_SI_JZNS1_25segmented_radix_sort_implINS0_14default_configELb1EPK12hip_bfloat16PSP_PKlPlN2at6native12_GLOBAL__N_18offset_tEEE10hipError_tPvRmT1_PNSt15iterator_traitsIS13_E10value_typeET2_T3_PNS14_IS19_E10value_typeET4_jRbjT5_S1F_jjP12ihipStream_tbEUljE_ZNSN_ISO_Lb1ESR_SS_SU_SV_SZ_EES10_S11_S12_S13_S17_S18_S19_S1C_S1D_jS1E_jS1F_S1F_jjS1H_bEUljE0_EEES10_S11_S12_S19_S1D_S1F_T6_T7_T9_mT8_S1H_bDpT10_ENKUlT_T0_E_clISt17integral_constantIbLb0EES1V_EEDaS1Q_S1R_EUlS1Q_E_NS1_11comp_targetILNS1_3genE2ELNS1_11target_archE906ELNS1_3gpuE6ELNS1_3repE0EEENS1_30default_config_static_selectorELNS0_4arch9wavefront6targetE0EEEvS13_
	.p2align	8
	.type	_ZN7rocprim17ROCPRIM_400000_NS6detail17trampoline_kernelINS0_13select_configILj256ELj13ELNS0_17block_load_methodE3ELS4_3ELS4_3ELNS0_20block_scan_algorithmE0ELj4294967295EEENS1_25partition_config_selectorILNS1_17partition_subalgoE4EjNS0_10empty_typeEbEEZZNS1_14partition_implILS8_4ELb0ES6_15HIP_vector_typeIjLj2EENS0_17counting_iteratorIjlEEPS9_SG_NS0_5tupleIJPjSI_NS0_16reverse_iteratorISI_EEEEENSH_IJSG_SG_SG_EEES9_SI_JZNS1_25segmented_radix_sort_implINS0_14default_configELb1EPK12hip_bfloat16PSP_PKlPlN2at6native12_GLOBAL__N_18offset_tEEE10hipError_tPvRmT1_PNSt15iterator_traitsIS13_E10value_typeET2_T3_PNS14_IS19_E10value_typeET4_jRbjT5_S1F_jjP12ihipStream_tbEUljE_ZNSN_ISO_Lb1ESR_SS_SU_SV_SZ_EES10_S11_S12_S13_S17_S18_S19_S1C_S1D_jS1E_jS1F_S1F_jjS1H_bEUljE0_EEES10_S11_S12_S19_S1D_S1F_T6_T7_T9_mT8_S1H_bDpT10_ENKUlT_T0_E_clISt17integral_constantIbLb0EES1V_EEDaS1Q_S1R_EUlS1Q_E_NS1_11comp_targetILNS1_3genE2ELNS1_11target_archE906ELNS1_3gpuE6ELNS1_3repE0EEENS1_30default_config_static_selectorELNS0_4arch9wavefront6targetE0EEEvS13_,@function
_ZN7rocprim17ROCPRIM_400000_NS6detail17trampoline_kernelINS0_13select_configILj256ELj13ELNS0_17block_load_methodE3ELS4_3ELS4_3ELNS0_20block_scan_algorithmE0ELj4294967295EEENS1_25partition_config_selectorILNS1_17partition_subalgoE4EjNS0_10empty_typeEbEEZZNS1_14partition_implILS8_4ELb0ES6_15HIP_vector_typeIjLj2EENS0_17counting_iteratorIjlEEPS9_SG_NS0_5tupleIJPjSI_NS0_16reverse_iteratorISI_EEEEENSH_IJSG_SG_SG_EEES9_SI_JZNS1_25segmented_radix_sort_implINS0_14default_configELb1EPK12hip_bfloat16PSP_PKlPlN2at6native12_GLOBAL__N_18offset_tEEE10hipError_tPvRmT1_PNSt15iterator_traitsIS13_E10value_typeET2_T3_PNS14_IS19_E10value_typeET4_jRbjT5_S1F_jjP12ihipStream_tbEUljE_ZNSN_ISO_Lb1ESR_SS_SU_SV_SZ_EES10_S11_S12_S13_S17_S18_S19_S1C_S1D_jS1E_jS1F_S1F_jjS1H_bEUljE0_EEES10_S11_S12_S19_S1D_S1F_T6_T7_T9_mT8_S1H_bDpT10_ENKUlT_T0_E_clISt17integral_constantIbLb0EES1V_EEDaS1Q_S1R_EUlS1Q_E_NS1_11comp_targetILNS1_3genE2ELNS1_11target_archE906ELNS1_3gpuE6ELNS1_3repE0EEENS1_30default_config_static_selectorELNS0_4arch9wavefront6targetE0EEEvS13_: ; @_ZN7rocprim17ROCPRIM_400000_NS6detail17trampoline_kernelINS0_13select_configILj256ELj13ELNS0_17block_load_methodE3ELS4_3ELS4_3ELNS0_20block_scan_algorithmE0ELj4294967295EEENS1_25partition_config_selectorILNS1_17partition_subalgoE4EjNS0_10empty_typeEbEEZZNS1_14partition_implILS8_4ELb0ES6_15HIP_vector_typeIjLj2EENS0_17counting_iteratorIjlEEPS9_SG_NS0_5tupleIJPjSI_NS0_16reverse_iteratorISI_EEEEENSH_IJSG_SG_SG_EEES9_SI_JZNS1_25segmented_radix_sort_implINS0_14default_configELb1EPK12hip_bfloat16PSP_PKlPlN2at6native12_GLOBAL__N_18offset_tEEE10hipError_tPvRmT1_PNSt15iterator_traitsIS13_E10value_typeET2_T3_PNS14_IS19_E10value_typeET4_jRbjT5_S1F_jjP12ihipStream_tbEUljE_ZNSN_ISO_Lb1ESR_SS_SU_SV_SZ_EES10_S11_S12_S13_S17_S18_S19_S1C_S1D_jS1E_jS1F_S1F_jjS1H_bEUljE0_EEES10_S11_S12_S19_S1D_S1F_T6_T7_T9_mT8_S1H_bDpT10_ENKUlT_T0_E_clISt17integral_constantIbLb0EES1V_EEDaS1Q_S1R_EUlS1Q_E_NS1_11comp_targetILNS1_3genE2ELNS1_11target_archE906ELNS1_3gpuE6ELNS1_3repE0EEENS1_30default_config_static_selectorELNS0_4arch9wavefront6targetE0EEEvS13_
; %bb.0:
	.section	.rodata,"a",@progbits
	.p2align	6, 0x0
	.amdhsa_kernel _ZN7rocprim17ROCPRIM_400000_NS6detail17trampoline_kernelINS0_13select_configILj256ELj13ELNS0_17block_load_methodE3ELS4_3ELS4_3ELNS0_20block_scan_algorithmE0ELj4294967295EEENS1_25partition_config_selectorILNS1_17partition_subalgoE4EjNS0_10empty_typeEbEEZZNS1_14partition_implILS8_4ELb0ES6_15HIP_vector_typeIjLj2EENS0_17counting_iteratorIjlEEPS9_SG_NS0_5tupleIJPjSI_NS0_16reverse_iteratorISI_EEEEENSH_IJSG_SG_SG_EEES9_SI_JZNS1_25segmented_radix_sort_implINS0_14default_configELb1EPK12hip_bfloat16PSP_PKlPlN2at6native12_GLOBAL__N_18offset_tEEE10hipError_tPvRmT1_PNSt15iterator_traitsIS13_E10value_typeET2_T3_PNS14_IS19_E10value_typeET4_jRbjT5_S1F_jjP12ihipStream_tbEUljE_ZNSN_ISO_Lb1ESR_SS_SU_SV_SZ_EES10_S11_S12_S13_S17_S18_S19_S1C_S1D_jS1E_jS1F_S1F_jjS1H_bEUljE0_EEES10_S11_S12_S19_S1D_S1F_T6_T7_T9_mT8_S1H_bDpT10_ENKUlT_T0_E_clISt17integral_constantIbLb0EES1V_EEDaS1Q_S1R_EUlS1Q_E_NS1_11comp_targetILNS1_3genE2ELNS1_11target_archE906ELNS1_3gpuE6ELNS1_3repE0EEENS1_30default_config_static_selectorELNS0_4arch9wavefront6targetE0EEEvS13_
		.amdhsa_group_segment_fixed_size 0
		.amdhsa_private_segment_fixed_size 0
		.amdhsa_kernarg_size 176
		.amdhsa_user_sgpr_count 15
		.amdhsa_user_sgpr_dispatch_ptr 0
		.amdhsa_user_sgpr_queue_ptr 0
		.amdhsa_user_sgpr_kernarg_segment_ptr 1
		.amdhsa_user_sgpr_dispatch_id 0
		.amdhsa_user_sgpr_private_segment_size 0
		.amdhsa_wavefront_size32 1
		.amdhsa_uses_dynamic_stack 0
		.amdhsa_enable_private_segment 0
		.amdhsa_system_sgpr_workgroup_id_x 1
		.amdhsa_system_sgpr_workgroup_id_y 0
		.amdhsa_system_sgpr_workgroup_id_z 0
		.amdhsa_system_sgpr_workgroup_info 0
		.amdhsa_system_vgpr_workitem_id 0
		.amdhsa_next_free_vgpr 1
		.amdhsa_next_free_sgpr 1
		.amdhsa_reserve_vcc 0
		.amdhsa_float_round_mode_32 0
		.amdhsa_float_round_mode_16_64 0
		.amdhsa_float_denorm_mode_32 3
		.amdhsa_float_denorm_mode_16_64 3
		.amdhsa_dx10_clamp 1
		.amdhsa_ieee_mode 1
		.amdhsa_fp16_overflow 0
		.amdhsa_workgroup_processor_mode 1
		.amdhsa_memory_ordered 1
		.amdhsa_forward_progress 0
		.amdhsa_shared_vgpr_count 0
		.amdhsa_exception_fp_ieee_invalid_op 0
		.amdhsa_exception_fp_denorm_src 0
		.amdhsa_exception_fp_ieee_div_zero 0
		.amdhsa_exception_fp_ieee_overflow 0
		.amdhsa_exception_fp_ieee_underflow 0
		.amdhsa_exception_fp_ieee_inexact 0
		.amdhsa_exception_int_div_zero 0
	.end_amdhsa_kernel
	.section	.text._ZN7rocprim17ROCPRIM_400000_NS6detail17trampoline_kernelINS0_13select_configILj256ELj13ELNS0_17block_load_methodE3ELS4_3ELS4_3ELNS0_20block_scan_algorithmE0ELj4294967295EEENS1_25partition_config_selectorILNS1_17partition_subalgoE4EjNS0_10empty_typeEbEEZZNS1_14partition_implILS8_4ELb0ES6_15HIP_vector_typeIjLj2EENS0_17counting_iteratorIjlEEPS9_SG_NS0_5tupleIJPjSI_NS0_16reverse_iteratorISI_EEEEENSH_IJSG_SG_SG_EEES9_SI_JZNS1_25segmented_radix_sort_implINS0_14default_configELb1EPK12hip_bfloat16PSP_PKlPlN2at6native12_GLOBAL__N_18offset_tEEE10hipError_tPvRmT1_PNSt15iterator_traitsIS13_E10value_typeET2_T3_PNS14_IS19_E10value_typeET4_jRbjT5_S1F_jjP12ihipStream_tbEUljE_ZNSN_ISO_Lb1ESR_SS_SU_SV_SZ_EES10_S11_S12_S13_S17_S18_S19_S1C_S1D_jS1E_jS1F_S1F_jjS1H_bEUljE0_EEES10_S11_S12_S19_S1D_S1F_T6_T7_T9_mT8_S1H_bDpT10_ENKUlT_T0_E_clISt17integral_constantIbLb0EES1V_EEDaS1Q_S1R_EUlS1Q_E_NS1_11comp_targetILNS1_3genE2ELNS1_11target_archE906ELNS1_3gpuE6ELNS1_3repE0EEENS1_30default_config_static_selectorELNS0_4arch9wavefront6targetE0EEEvS13_,"axG",@progbits,_ZN7rocprim17ROCPRIM_400000_NS6detail17trampoline_kernelINS0_13select_configILj256ELj13ELNS0_17block_load_methodE3ELS4_3ELS4_3ELNS0_20block_scan_algorithmE0ELj4294967295EEENS1_25partition_config_selectorILNS1_17partition_subalgoE4EjNS0_10empty_typeEbEEZZNS1_14partition_implILS8_4ELb0ES6_15HIP_vector_typeIjLj2EENS0_17counting_iteratorIjlEEPS9_SG_NS0_5tupleIJPjSI_NS0_16reverse_iteratorISI_EEEEENSH_IJSG_SG_SG_EEES9_SI_JZNS1_25segmented_radix_sort_implINS0_14default_configELb1EPK12hip_bfloat16PSP_PKlPlN2at6native12_GLOBAL__N_18offset_tEEE10hipError_tPvRmT1_PNSt15iterator_traitsIS13_E10value_typeET2_T3_PNS14_IS19_E10value_typeET4_jRbjT5_S1F_jjP12ihipStream_tbEUljE_ZNSN_ISO_Lb1ESR_SS_SU_SV_SZ_EES10_S11_S12_S13_S17_S18_S19_S1C_S1D_jS1E_jS1F_S1F_jjS1H_bEUljE0_EEES10_S11_S12_S19_S1D_S1F_T6_T7_T9_mT8_S1H_bDpT10_ENKUlT_T0_E_clISt17integral_constantIbLb0EES1V_EEDaS1Q_S1R_EUlS1Q_E_NS1_11comp_targetILNS1_3genE2ELNS1_11target_archE906ELNS1_3gpuE6ELNS1_3repE0EEENS1_30default_config_static_selectorELNS0_4arch9wavefront6targetE0EEEvS13_,comdat
.Lfunc_end1886:
	.size	_ZN7rocprim17ROCPRIM_400000_NS6detail17trampoline_kernelINS0_13select_configILj256ELj13ELNS0_17block_load_methodE3ELS4_3ELS4_3ELNS0_20block_scan_algorithmE0ELj4294967295EEENS1_25partition_config_selectorILNS1_17partition_subalgoE4EjNS0_10empty_typeEbEEZZNS1_14partition_implILS8_4ELb0ES6_15HIP_vector_typeIjLj2EENS0_17counting_iteratorIjlEEPS9_SG_NS0_5tupleIJPjSI_NS0_16reverse_iteratorISI_EEEEENSH_IJSG_SG_SG_EEES9_SI_JZNS1_25segmented_radix_sort_implINS0_14default_configELb1EPK12hip_bfloat16PSP_PKlPlN2at6native12_GLOBAL__N_18offset_tEEE10hipError_tPvRmT1_PNSt15iterator_traitsIS13_E10value_typeET2_T3_PNS14_IS19_E10value_typeET4_jRbjT5_S1F_jjP12ihipStream_tbEUljE_ZNSN_ISO_Lb1ESR_SS_SU_SV_SZ_EES10_S11_S12_S13_S17_S18_S19_S1C_S1D_jS1E_jS1F_S1F_jjS1H_bEUljE0_EEES10_S11_S12_S19_S1D_S1F_T6_T7_T9_mT8_S1H_bDpT10_ENKUlT_T0_E_clISt17integral_constantIbLb0EES1V_EEDaS1Q_S1R_EUlS1Q_E_NS1_11comp_targetILNS1_3genE2ELNS1_11target_archE906ELNS1_3gpuE6ELNS1_3repE0EEENS1_30default_config_static_selectorELNS0_4arch9wavefront6targetE0EEEvS13_, .Lfunc_end1886-_ZN7rocprim17ROCPRIM_400000_NS6detail17trampoline_kernelINS0_13select_configILj256ELj13ELNS0_17block_load_methodE3ELS4_3ELS4_3ELNS0_20block_scan_algorithmE0ELj4294967295EEENS1_25partition_config_selectorILNS1_17partition_subalgoE4EjNS0_10empty_typeEbEEZZNS1_14partition_implILS8_4ELb0ES6_15HIP_vector_typeIjLj2EENS0_17counting_iteratorIjlEEPS9_SG_NS0_5tupleIJPjSI_NS0_16reverse_iteratorISI_EEEEENSH_IJSG_SG_SG_EEES9_SI_JZNS1_25segmented_radix_sort_implINS0_14default_configELb1EPK12hip_bfloat16PSP_PKlPlN2at6native12_GLOBAL__N_18offset_tEEE10hipError_tPvRmT1_PNSt15iterator_traitsIS13_E10value_typeET2_T3_PNS14_IS19_E10value_typeET4_jRbjT5_S1F_jjP12ihipStream_tbEUljE_ZNSN_ISO_Lb1ESR_SS_SU_SV_SZ_EES10_S11_S12_S13_S17_S18_S19_S1C_S1D_jS1E_jS1F_S1F_jjS1H_bEUljE0_EEES10_S11_S12_S19_S1D_S1F_T6_T7_T9_mT8_S1H_bDpT10_ENKUlT_T0_E_clISt17integral_constantIbLb0EES1V_EEDaS1Q_S1R_EUlS1Q_E_NS1_11comp_targetILNS1_3genE2ELNS1_11target_archE906ELNS1_3gpuE6ELNS1_3repE0EEENS1_30default_config_static_selectorELNS0_4arch9wavefront6targetE0EEEvS13_
                                        ; -- End function
	.section	.AMDGPU.csdata,"",@progbits
; Kernel info:
; codeLenInByte = 0
; NumSgprs: 0
; NumVgprs: 0
; ScratchSize: 0
; MemoryBound: 0
; FloatMode: 240
; IeeeMode: 1
; LDSByteSize: 0 bytes/workgroup (compile time only)
; SGPRBlocks: 0
; VGPRBlocks: 0
; NumSGPRsForWavesPerEU: 1
; NumVGPRsForWavesPerEU: 1
; Occupancy: 16
; WaveLimiterHint : 0
; COMPUTE_PGM_RSRC2:SCRATCH_EN: 0
; COMPUTE_PGM_RSRC2:USER_SGPR: 15
; COMPUTE_PGM_RSRC2:TRAP_HANDLER: 0
; COMPUTE_PGM_RSRC2:TGID_X_EN: 1
; COMPUTE_PGM_RSRC2:TGID_Y_EN: 0
; COMPUTE_PGM_RSRC2:TGID_Z_EN: 0
; COMPUTE_PGM_RSRC2:TIDIG_COMP_CNT: 0
	.section	.text._ZN7rocprim17ROCPRIM_400000_NS6detail17trampoline_kernelINS0_13select_configILj256ELj13ELNS0_17block_load_methodE3ELS4_3ELS4_3ELNS0_20block_scan_algorithmE0ELj4294967295EEENS1_25partition_config_selectorILNS1_17partition_subalgoE4EjNS0_10empty_typeEbEEZZNS1_14partition_implILS8_4ELb0ES6_15HIP_vector_typeIjLj2EENS0_17counting_iteratorIjlEEPS9_SG_NS0_5tupleIJPjSI_NS0_16reverse_iteratorISI_EEEEENSH_IJSG_SG_SG_EEES9_SI_JZNS1_25segmented_radix_sort_implINS0_14default_configELb1EPK12hip_bfloat16PSP_PKlPlN2at6native12_GLOBAL__N_18offset_tEEE10hipError_tPvRmT1_PNSt15iterator_traitsIS13_E10value_typeET2_T3_PNS14_IS19_E10value_typeET4_jRbjT5_S1F_jjP12ihipStream_tbEUljE_ZNSN_ISO_Lb1ESR_SS_SU_SV_SZ_EES10_S11_S12_S13_S17_S18_S19_S1C_S1D_jS1E_jS1F_S1F_jjS1H_bEUljE0_EEES10_S11_S12_S19_S1D_S1F_T6_T7_T9_mT8_S1H_bDpT10_ENKUlT_T0_E_clISt17integral_constantIbLb0EES1V_EEDaS1Q_S1R_EUlS1Q_E_NS1_11comp_targetILNS1_3genE10ELNS1_11target_archE1200ELNS1_3gpuE4ELNS1_3repE0EEENS1_30default_config_static_selectorELNS0_4arch9wavefront6targetE0EEEvS13_,"axG",@progbits,_ZN7rocprim17ROCPRIM_400000_NS6detail17trampoline_kernelINS0_13select_configILj256ELj13ELNS0_17block_load_methodE3ELS4_3ELS4_3ELNS0_20block_scan_algorithmE0ELj4294967295EEENS1_25partition_config_selectorILNS1_17partition_subalgoE4EjNS0_10empty_typeEbEEZZNS1_14partition_implILS8_4ELb0ES6_15HIP_vector_typeIjLj2EENS0_17counting_iteratorIjlEEPS9_SG_NS0_5tupleIJPjSI_NS0_16reverse_iteratorISI_EEEEENSH_IJSG_SG_SG_EEES9_SI_JZNS1_25segmented_radix_sort_implINS0_14default_configELb1EPK12hip_bfloat16PSP_PKlPlN2at6native12_GLOBAL__N_18offset_tEEE10hipError_tPvRmT1_PNSt15iterator_traitsIS13_E10value_typeET2_T3_PNS14_IS19_E10value_typeET4_jRbjT5_S1F_jjP12ihipStream_tbEUljE_ZNSN_ISO_Lb1ESR_SS_SU_SV_SZ_EES10_S11_S12_S13_S17_S18_S19_S1C_S1D_jS1E_jS1F_S1F_jjS1H_bEUljE0_EEES10_S11_S12_S19_S1D_S1F_T6_T7_T9_mT8_S1H_bDpT10_ENKUlT_T0_E_clISt17integral_constantIbLb0EES1V_EEDaS1Q_S1R_EUlS1Q_E_NS1_11comp_targetILNS1_3genE10ELNS1_11target_archE1200ELNS1_3gpuE4ELNS1_3repE0EEENS1_30default_config_static_selectorELNS0_4arch9wavefront6targetE0EEEvS13_,comdat
	.globl	_ZN7rocprim17ROCPRIM_400000_NS6detail17trampoline_kernelINS0_13select_configILj256ELj13ELNS0_17block_load_methodE3ELS4_3ELS4_3ELNS0_20block_scan_algorithmE0ELj4294967295EEENS1_25partition_config_selectorILNS1_17partition_subalgoE4EjNS0_10empty_typeEbEEZZNS1_14partition_implILS8_4ELb0ES6_15HIP_vector_typeIjLj2EENS0_17counting_iteratorIjlEEPS9_SG_NS0_5tupleIJPjSI_NS0_16reverse_iteratorISI_EEEEENSH_IJSG_SG_SG_EEES9_SI_JZNS1_25segmented_radix_sort_implINS0_14default_configELb1EPK12hip_bfloat16PSP_PKlPlN2at6native12_GLOBAL__N_18offset_tEEE10hipError_tPvRmT1_PNSt15iterator_traitsIS13_E10value_typeET2_T3_PNS14_IS19_E10value_typeET4_jRbjT5_S1F_jjP12ihipStream_tbEUljE_ZNSN_ISO_Lb1ESR_SS_SU_SV_SZ_EES10_S11_S12_S13_S17_S18_S19_S1C_S1D_jS1E_jS1F_S1F_jjS1H_bEUljE0_EEES10_S11_S12_S19_S1D_S1F_T6_T7_T9_mT8_S1H_bDpT10_ENKUlT_T0_E_clISt17integral_constantIbLb0EES1V_EEDaS1Q_S1R_EUlS1Q_E_NS1_11comp_targetILNS1_3genE10ELNS1_11target_archE1200ELNS1_3gpuE4ELNS1_3repE0EEENS1_30default_config_static_selectorELNS0_4arch9wavefront6targetE0EEEvS13_ ; -- Begin function _ZN7rocprim17ROCPRIM_400000_NS6detail17trampoline_kernelINS0_13select_configILj256ELj13ELNS0_17block_load_methodE3ELS4_3ELS4_3ELNS0_20block_scan_algorithmE0ELj4294967295EEENS1_25partition_config_selectorILNS1_17partition_subalgoE4EjNS0_10empty_typeEbEEZZNS1_14partition_implILS8_4ELb0ES6_15HIP_vector_typeIjLj2EENS0_17counting_iteratorIjlEEPS9_SG_NS0_5tupleIJPjSI_NS0_16reverse_iteratorISI_EEEEENSH_IJSG_SG_SG_EEES9_SI_JZNS1_25segmented_radix_sort_implINS0_14default_configELb1EPK12hip_bfloat16PSP_PKlPlN2at6native12_GLOBAL__N_18offset_tEEE10hipError_tPvRmT1_PNSt15iterator_traitsIS13_E10value_typeET2_T3_PNS14_IS19_E10value_typeET4_jRbjT5_S1F_jjP12ihipStream_tbEUljE_ZNSN_ISO_Lb1ESR_SS_SU_SV_SZ_EES10_S11_S12_S13_S17_S18_S19_S1C_S1D_jS1E_jS1F_S1F_jjS1H_bEUljE0_EEES10_S11_S12_S19_S1D_S1F_T6_T7_T9_mT8_S1H_bDpT10_ENKUlT_T0_E_clISt17integral_constantIbLb0EES1V_EEDaS1Q_S1R_EUlS1Q_E_NS1_11comp_targetILNS1_3genE10ELNS1_11target_archE1200ELNS1_3gpuE4ELNS1_3repE0EEENS1_30default_config_static_selectorELNS0_4arch9wavefront6targetE0EEEvS13_
	.p2align	8
	.type	_ZN7rocprim17ROCPRIM_400000_NS6detail17trampoline_kernelINS0_13select_configILj256ELj13ELNS0_17block_load_methodE3ELS4_3ELS4_3ELNS0_20block_scan_algorithmE0ELj4294967295EEENS1_25partition_config_selectorILNS1_17partition_subalgoE4EjNS0_10empty_typeEbEEZZNS1_14partition_implILS8_4ELb0ES6_15HIP_vector_typeIjLj2EENS0_17counting_iteratorIjlEEPS9_SG_NS0_5tupleIJPjSI_NS0_16reverse_iteratorISI_EEEEENSH_IJSG_SG_SG_EEES9_SI_JZNS1_25segmented_radix_sort_implINS0_14default_configELb1EPK12hip_bfloat16PSP_PKlPlN2at6native12_GLOBAL__N_18offset_tEEE10hipError_tPvRmT1_PNSt15iterator_traitsIS13_E10value_typeET2_T3_PNS14_IS19_E10value_typeET4_jRbjT5_S1F_jjP12ihipStream_tbEUljE_ZNSN_ISO_Lb1ESR_SS_SU_SV_SZ_EES10_S11_S12_S13_S17_S18_S19_S1C_S1D_jS1E_jS1F_S1F_jjS1H_bEUljE0_EEES10_S11_S12_S19_S1D_S1F_T6_T7_T9_mT8_S1H_bDpT10_ENKUlT_T0_E_clISt17integral_constantIbLb0EES1V_EEDaS1Q_S1R_EUlS1Q_E_NS1_11comp_targetILNS1_3genE10ELNS1_11target_archE1200ELNS1_3gpuE4ELNS1_3repE0EEENS1_30default_config_static_selectorELNS0_4arch9wavefront6targetE0EEEvS13_,@function
_ZN7rocprim17ROCPRIM_400000_NS6detail17trampoline_kernelINS0_13select_configILj256ELj13ELNS0_17block_load_methodE3ELS4_3ELS4_3ELNS0_20block_scan_algorithmE0ELj4294967295EEENS1_25partition_config_selectorILNS1_17partition_subalgoE4EjNS0_10empty_typeEbEEZZNS1_14partition_implILS8_4ELb0ES6_15HIP_vector_typeIjLj2EENS0_17counting_iteratorIjlEEPS9_SG_NS0_5tupleIJPjSI_NS0_16reverse_iteratorISI_EEEEENSH_IJSG_SG_SG_EEES9_SI_JZNS1_25segmented_radix_sort_implINS0_14default_configELb1EPK12hip_bfloat16PSP_PKlPlN2at6native12_GLOBAL__N_18offset_tEEE10hipError_tPvRmT1_PNSt15iterator_traitsIS13_E10value_typeET2_T3_PNS14_IS19_E10value_typeET4_jRbjT5_S1F_jjP12ihipStream_tbEUljE_ZNSN_ISO_Lb1ESR_SS_SU_SV_SZ_EES10_S11_S12_S13_S17_S18_S19_S1C_S1D_jS1E_jS1F_S1F_jjS1H_bEUljE0_EEES10_S11_S12_S19_S1D_S1F_T6_T7_T9_mT8_S1H_bDpT10_ENKUlT_T0_E_clISt17integral_constantIbLb0EES1V_EEDaS1Q_S1R_EUlS1Q_E_NS1_11comp_targetILNS1_3genE10ELNS1_11target_archE1200ELNS1_3gpuE4ELNS1_3repE0EEENS1_30default_config_static_selectorELNS0_4arch9wavefront6targetE0EEEvS13_: ; @_ZN7rocprim17ROCPRIM_400000_NS6detail17trampoline_kernelINS0_13select_configILj256ELj13ELNS0_17block_load_methodE3ELS4_3ELS4_3ELNS0_20block_scan_algorithmE0ELj4294967295EEENS1_25partition_config_selectorILNS1_17partition_subalgoE4EjNS0_10empty_typeEbEEZZNS1_14partition_implILS8_4ELb0ES6_15HIP_vector_typeIjLj2EENS0_17counting_iteratorIjlEEPS9_SG_NS0_5tupleIJPjSI_NS0_16reverse_iteratorISI_EEEEENSH_IJSG_SG_SG_EEES9_SI_JZNS1_25segmented_radix_sort_implINS0_14default_configELb1EPK12hip_bfloat16PSP_PKlPlN2at6native12_GLOBAL__N_18offset_tEEE10hipError_tPvRmT1_PNSt15iterator_traitsIS13_E10value_typeET2_T3_PNS14_IS19_E10value_typeET4_jRbjT5_S1F_jjP12ihipStream_tbEUljE_ZNSN_ISO_Lb1ESR_SS_SU_SV_SZ_EES10_S11_S12_S13_S17_S18_S19_S1C_S1D_jS1E_jS1F_S1F_jjS1H_bEUljE0_EEES10_S11_S12_S19_S1D_S1F_T6_T7_T9_mT8_S1H_bDpT10_ENKUlT_T0_E_clISt17integral_constantIbLb0EES1V_EEDaS1Q_S1R_EUlS1Q_E_NS1_11comp_targetILNS1_3genE10ELNS1_11target_archE1200ELNS1_3gpuE4ELNS1_3repE0EEENS1_30default_config_static_selectorELNS0_4arch9wavefront6targetE0EEEvS13_
; %bb.0:
	.section	.rodata,"a",@progbits
	.p2align	6, 0x0
	.amdhsa_kernel _ZN7rocprim17ROCPRIM_400000_NS6detail17trampoline_kernelINS0_13select_configILj256ELj13ELNS0_17block_load_methodE3ELS4_3ELS4_3ELNS0_20block_scan_algorithmE0ELj4294967295EEENS1_25partition_config_selectorILNS1_17partition_subalgoE4EjNS0_10empty_typeEbEEZZNS1_14partition_implILS8_4ELb0ES6_15HIP_vector_typeIjLj2EENS0_17counting_iteratorIjlEEPS9_SG_NS0_5tupleIJPjSI_NS0_16reverse_iteratorISI_EEEEENSH_IJSG_SG_SG_EEES9_SI_JZNS1_25segmented_radix_sort_implINS0_14default_configELb1EPK12hip_bfloat16PSP_PKlPlN2at6native12_GLOBAL__N_18offset_tEEE10hipError_tPvRmT1_PNSt15iterator_traitsIS13_E10value_typeET2_T3_PNS14_IS19_E10value_typeET4_jRbjT5_S1F_jjP12ihipStream_tbEUljE_ZNSN_ISO_Lb1ESR_SS_SU_SV_SZ_EES10_S11_S12_S13_S17_S18_S19_S1C_S1D_jS1E_jS1F_S1F_jjS1H_bEUljE0_EEES10_S11_S12_S19_S1D_S1F_T6_T7_T9_mT8_S1H_bDpT10_ENKUlT_T0_E_clISt17integral_constantIbLb0EES1V_EEDaS1Q_S1R_EUlS1Q_E_NS1_11comp_targetILNS1_3genE10ELNS1_11target_archE1200ELNS1_3gpuE4ELNS1_3repE0EEENS1_30default_config_static_selectorELNS0_4arch9wavefront6targetE0EEEvS13_
		.amdhsa_group_segment_fixed_size 0
		.amdhsa_private_segment_fixed_size 0
		.amdhsa_kernarg_size 176
		.amdhsa_user_sgpr_count 15
		.amdhsa_user_sgpr_dispatch_ptr 0
		.amdhsa_user_sgpr_queue_ptr 0
		.amdhsa_user_sgpr_kernarg_segment_ptr 1
		.amdhsa_user_sgpr_dispatch_id 0
		.amdhsa_user_sgpr_private_segment_size 0
		.amdhsa_wavefront_size32 1
		.amdhsa_uses_dynamic_stack 0
		.amdhsa_enable_private_segment 0
		.amdhsa_system_sgpr_workgroup_id_x 1
		.amdhsa_system_sgpr_workgroup_id_y 0
		.amdhsa_system_sgpr_workgroup_id_z 0
		.amdhsa_system_sgpr_workgroup_info 0
		.amdhsa_system_vgpr_workitem_id 0
		.amdhsa_next_free_vgpr 1
		.amdhsa_next_free_sgpr 1
		.amdhsa_reserve_vcc 0
		.amdhsa_float_round_mode_32 0
		.amdhsa_float_round_mode_16_64 0
		.amdhsa_float_denorm_mode_32 3
		.amdhsa_float_denorm_mode_16_64 3
		.amdhsa_dx10_clamp 1
		.amdhsa_ieee_mode 1
		.amdhsa_fp16_overflow 0
		.amdhsa_workgroup_processor_mode 1
		.amdhsa_memory_ordered 1
		.amdhsa_forward_progress 0
		.amdhsa_shared_vgpr_count 0
		.amdhsa_exception_fp_ieee_invalid_op 0
		.amdhsa_exception_fp_denorm_src 0
		.amdhsa_exception_fp_ieee_div_zero 0
		.amdhsa_exception_fp_ieee_overflow 0
		.amdhsa_exception_fp_ieee_underflow 0
		.amdhsa_exception_fp_ieee_inexact 0
		.amdhsa_exception_int_div_zero 0
	.end_amdhsa_kernel
	.section	.text._ZN7rocprim17ROCPRIM_400000_NS6detail17trampoline_kernelINS0_13select_configILj256ELj13ELNS0_17block_load_methodE3ELS4_3ELS4_3ELNS0_20block_scan_algorithmE0ELj4294967295EEENS1_25partition_config_selectorILNS1_17partition_subalgoE4EjNS0_10empty_typeEbEEZZNS1_14partition_implILS8_4ELb0ES6_15HIP_vector_typeIjLj2EENS0_17counting_iteratorIjlEEPS9_SG_NS0_5tupleIJPjSI_NS0_16reverse_iteratorISI_EEEEENSH_IJSG_SG_SG_EEES9_SI_JZNS1_25segmented_radix_sort_implINS0_14default_configELb1EPK12hip_bfloat16PSP_PKlPlN2at6native12_GLOBAL__N_18offset_tEEE10hipError_tPvRmT1_PNSt15iterator_traitsIS13_E10value_typeET2_T3_PNS14_IS19_E10value_typeET4_jRbjT5_S1F_jjP12ihipStream_tbEUljE_ZNSN_ISO_Lb1ESR_SS_SU_SV_SZ_EES10_S11_S12_S13_S17_S18_S19_S1C_S1D_jS1E_jS1F_S1F_jjS1H_bEUljE0_EEES10_S11_S12_S19_S1D_S1F_T6_T7_T9_mT8_S1H_bDpT10_ENKUlT_T0_E_clISt17integral_constantIbLb0EES1V_EEDaS1Q_S1R_EUlS1Q_E_NS1_11comp_targetILNS1_3genE10ELNS1_11target_archE1200ELNS1_3gpuE4ELNS1_3repE0EEENS1_30default_config_static_selectorELNS0_4arch9wavefront6targetE0EEEvS13_,"axG",@progbits,_ZN7rocprim17ROCPRIM_400000_NS6detail17trampoline_kernelINS0_13select_configILj256ELj13ELNS0_17block_load_methodE3ELS4_3ELS4_3ELNS0_20block_scan_algorithmE0ELj4294967295EEENS1_25partition_config_selectorILNS1_17partition_subalgoE4EjNS0_10empty_typeEbEEZZNS1_14partition_implILS8_4ELb0ES6_15HIP_vector_typeIjLj2EENS0_17counting_iteratorIjlEEPS9_SG_NS0_5tupleIJPjSI_NS0_16reverse_iteratorISI_EEEEENSH_IJSG_SG_SG_EEES9_SI_JZNS1_25segmented_radix_sort_implINS0_14default_configELb1EPK12hip_bfloat16PSP_PKlPlN2at6native12_GLOBAL__N_18offset_tEEE10hipError_tPvRmT1_PNSt15iterator_traitsIS13_E10value_typeET2_T3_PNS14_IS19_E10value_typeET4_jRbjT5_S1F_jjP12ihipStream_tbEUljE_ZNSN_ISO_Lb1ESR_SS_SU_SV_SZ_EES10_S11_S12_S13_S17_S18_S19_S1C_S1D_jS1E_jS1F_S1F_jjS1H_bEUljE0_EEES10_S11_S12_S19_S1D_S1F_T6_T7_T9_mT8_S1H_bDpT10_ENKUlT_T0_E_clISt17integral_constantIbLb0EES1V_EEDaS1Q_S1R_EUlS1Q_E_NS1_11comp_targetILNS1_3genE10ELNS1_11target_archE1200ELNS1_3gpuE4ELNS1_3repE0EEENS1_30default_config_static_selectorELNS0_4arch9wavefront6targetE0EEEvS13_,comdat
.Lfunc_end1887:
	.size	_ZN7rocprim17ROCPRIM_400000_NS6detail17trampoline_kernelINS0_13select_configILj256ELj13ELNS0_17block_load_methodE3ELS4_3ELS4_3ELNS0_20block_scan_algorithmE0ELj4294967295EEENS1_25partition_config_selectorILNS1_17partition_subalgoE4EjNS0_10empty_typeEbEEZZNS1_14partition_implILS8_4ELb0ES6_15HIP_vector_typeIjLj2EENS0_17counting_iteratorIjlEEPS9_SG_NS0_5tupleIJPjSI_NS0_16reverse_iteratorISI_EEEEENSH_IJSG_SG_SG_EEES9_SI_JZNS1_25segmented_radix_sort_implINS0_14default_configELb1EPK12hip_bfloat16PSP_PKlPlN2at6native12_GLOBAL__N_18offset_tEEE10hipError_tPvRmT1_PNSt15iterator_traitsIS13_E10value_typeET2_T3_PNS14_IS19_E10value_typeET4_jRbjT5_S1F_jjP12ihipStream_tbEUljE_ZNSN_ISO_Lb1ESR_SS_SU_SV_SZ_EES10_S11_S12_S13_S17_S18_S19_S1C_S1D_jS1E_jS1F_S1F_jjS1H_bEUljE0_EEES10_S11_S12_S19_S1D_S1F_T6_T7_T9_mT8_S1H_bDpT10_ENKUlT_T0_E_clISt17integral_constantIbLb0EES1V_EEDaS1Q_S1R_EUlS1Q_E_NS1_11comp_targetILNS1_3genE10ELNS1_11target_archE1200ELNS1_3gpuE4ELNS1_3repE0EEENS1_30default_config_static_selectorELNS0_4arch9wavefront6targetE0EEEvS13_, .Lfunc_end1887-_ZN7rocprim17ROCPRIM_400000_NS6detail17trampoline_kernelINS0_13select_configILj256ELj13ELNS0_17block_load_methodE3ELS4_3ELS4_3ELNS0_20block_scan_algorithmE0ELj4294967295EEENS1_25partition_config_selectorILNS1_17partition_subalgoE4EjNS0_10empty_typeEbEEZZNS1_14partition_implILS8_4ELb0ES6_15HIP_vector_typeIjLj2EENS0_17counting_iteratorIjlEEPS9_SG_NS0_5tupleIJPjSI_NS0_16reverse_iteratorISI_EEEEENSH_IJSG_SG_SG_EEES9_SI_JZNS1_25segmented_radix_sort_implINS0_14default_configELb1EPK12hip_bfloat16PSP_PKlPlN2at6native12_GLOBAL__N_18offset_tEEE10hipError_tPvRmT1_PNSt15iterator_traitsIS13_E10value_typeET2_T3_PNS14_IS19_E10value_typeET4_jRbjT5_S1F_jjP12ihipStream_tbEUljE_ZNSN_ISO_Lb1ESR_SS_SU_SV_SZ_EES10_S11_S12_S13_S17_S18_S19_S1C_S1D_jS1E_jS1F_S1F_jjS1H_bEUljE0_EEES10_S11_S12_S19_S1D_S1F_T6_T7_T9_mT8_S1H_bDpT10_ENKUlT_T0_E_clISt17integral_constantIbLb0EES1V_EEDaS1Q_S1R_EUlS1Q_E_NS1_11comp_targetILNS1_3genE10ELNS1_11target_archE1200ELNS1_3gpuE4ELNS1_3repE0EEENS1_30default_config_static_selectorELNS0_4arch9wavefront6targetE0EEEvS13_
                                        ; -- End function
	.section	.AMDGPU.csdata,"",@progbits
; Kernel info:
; codeLenInByte = 0
; NumSgprs: 0
; NumVgprs: 0
; ScratchSize: 0
; MemoryBound: 0
; FloatMode: 240
; IeeeMode: 1
; LDSByteSize: 0 bytes/workgroup (compile time only)
; SGPRBlocks: 0
; VGPRBlocks: 0
; NumSGPRsForWavesPerEU: 1
; NumVGPRsForWavesPerEU: 1
; Occupancy: 16
; WaveLimiterHint : 0
; COMPUTE_PGM_RSRC2:SCRATCH_EN: 0
; COMPUTE_PGM_RSRC2:USER_SGPR: 15
; COMPUTE_PGM_RSRC2:TRAP_HANDLER: 0
; COMPUTE_PGM_RSRC2:TGID_X_EN: 1
; COMPUTE_PGM_RSRC2:TGID_Y_EN: 0
; COMPUTE_PGM_RSRC2:TGID_Z_EN: 0
; COMPUTE_PGM_RSRC2:TIDIG_COMP_CNT: 0
	.section	.text._ZN7rocprim17ROCPRIM_400000_NS6detail17trampoline_kernelINS0_13select_configILj256ELj13ELNS0_17block_load_methodE3ELS4_3ELS4_3ELNS0_20block_scan_algorithmE0ELj4294967295EEENS1_25partition_config_selectorILNS1_17partition_subalgoE4EjNS0_10empty_typeEbEEZZNS1_14partition_implILS8_4ELb0ES6_15HIP_vector_typeIjLj2EENS0_17counting_iteratorIjlEEPS9_SG_NS0_5tupleIJPjSI_NS0_16reverse_iteratorISI_EEEEENSH_IJSG_SG_SG_EEES9_SI_JZNS1_25segmented_radix_sort_implINS0_14default_configELb1EPK12hip_bfloat16PSP_PKlPlN2at6native12_GLOBAL__N_18offset_tEEE10hipError_tPvRmT1_PNSt15iterator_traitsIS13_E10value_typeET2_T3_PNS14_IS19_E10value_typeET4_jRbjT5_S1F_jjP12ihipStream_tbEUljE_ZNSN_ISO_Lb1ESR_SS_SU_SV_SZ_EES10_S11_S12_S13_S17_S18_S19_S1C_S1D_jS1E_jS1F_S1F_jjS1H_bEUljE0_EEES10_S11_S12_S19_S1D_S1F_T6_T7_T9_mT8_S1H_bDpT10_ENKUlT_T0_E_clISt17integral_constantIbLb0EES1V_EEDaS1Q_S1R_EUlS1Q_E_NS1_11comp_targetILNS1_3genE9ELNS1_11target_archE1100ELNS1_3gpuE3ELNS1_3repE0EEENS1_30default_config_static_selectorELNS0_4arch9wavefront6targetE0EEEvS13_,"axG",@progbits,_ZN7rocprim17ROCPRIM_400000_NS6detail17trampoline_kernelINS0_13select_configILj256ELj13ELNS0_17block_load_methodE3ELS4_3ELS4_3ELNS0_20block_scan_algorithmE0ELj4294967295EEENS1_25partition_config_selectorILNS1_17partition_subalgoE4EjNS0_10empty_typeEbEEZZNS1_14partition_implILS8_4ELb0ES6_15HIP_vector_typeIjLj2EENS0_17counting_iteratorIjlEEPS9_SG_NS0_5tupleIJPjSI_NS0_16reverse_iteratorISI_EEEEENSH_IJSG_SG_SG_EEES9_SI_JZNS1_25segmented_radix_sort_implINS0_14default_configELb1EPK12hip_bfloat16PSP_PKlPlN2at6native12_GLOBAL__N_18offset_tEEE10hipError_tPvRmT1_PNSt15iterator_traitsIS13_E10value_typeET2_T3_PNS14_IS19_E10value_typeET4_jRbjT5_S1F_jjP12ihipStream_tbEUljE_ZNSN_ISO_Lb1ESR_SS_SU_SV_SZ_EES10_S11_S12_S13_S17_S18_S19_S1C_S1D_jS1E_jS1F_S1F_jjS1H_bEUljE0_EEES10_S11_S12_S19_S1D_S1F_T6_T7_T9_mT8_S1H_bDpT10_ENKUlT_T0_E_clISt17integral_constantIbLb0EES1V_EEDaS1Q_S1R_EUlS1Q_E_NS1_11comp_targetILNS1_3genE9ELNS1_11target_archE1100ELNS1_3gpuE3ELNS1_3repE0EEENS1_30default_config_static_selectorELNS0_4arch9wavefront6targetE0EEEvS13_,comdat
	.globl	_ZN7rocprim17ROCPRIM_400000_NS6detail17trampoline_kernelINS0_13select_configILj256ELj13ELNS0_17block_load_methodE3ELS4_3ELS4_3ELNS0_20block_scan_algorithmE0ELj4294967295EEENS1_25partition_config_selectorILNS1_17partition_subalgoE4EjNS0_10empty_typeEbEEZZNS1_14partition_implILS8_4ELb0ES6_15HIP_vector_typeIjLj2EENS0_17counting_iteratorIjlEEPS9_SG_NS0_5tupleIJPjSI_NS0_16reverse_iteratorISI_EEEEENSH_IJSG_SG_SG_EEES9_SI_JZNS1_25segmented_radix_sort_implINS0_14default_configELb1EPK12hip_bfloat16PSP_PKlPlN2at6native12_GLOBAL__N_18offset_tEEE10hipError_tPvRmT1_PNSt15iterator_traitsIS13_E10value_typeET2_T3_PNS14_IS19_E10value_typeET4_jRbjT5_S1F_jjP12ihipStream_tbEUljE_ZNSN_ISO_Lb1ESR_SS_SU_SV_SZ_EES10_S11_S12_S13_S17_S18_S19_S1C_S1D_jS1E_jS1F_S1F_jjS1H_bEUljE0_EEES10_S11_S12_S19_S1D_S1F_T6_T7_T9_mT8_S1H_bDpT10_ENKUlT_T0_E_clISt17integral_constantIbLb0EES1V_EEDaS1Q_S1R_EUlS1Q_E_NS1_11comp_targetILNS1_3genE9ELNS1_11target_archE1100ELNS1_3gpuE3ELNS1_3repE0EEENS1_30default_config_static_selectorELNS0_4arch9wavefront6targetE0EEEvS13_ ; -- Begin function _ZN7rocprim17ROCPRIM_400000_NS6detail17trampoline_kernelINS0_13select_configILj256ELj13ELNS0_17block_load_methodE3ELS4_3ELS4_3ELNS0_20block_scan_algorithmE0ELj4294967295EEENS1_25partition_config_selectorILNS1_17partition_subalgoE4EjNS0_10empty_typeEbEEZZNS1_14partition_implILS8_4ELb0ES6_15HIP_vector_typeIjLj2EENS0_17counting_iteratorIjlEEPS9_SG_NS0_5tupleIJPjSI_NS0_16reverse_iteratorISI_EEEEENSH_IJSG_SG_SG_EEES9_SI_JZNS1_25segmented_radix_sort_implINS0_14default_configELb1EPK12hip_bfloat16PSP_PKlPlN2at6native12_GLOBAL__N_18offset_tEEE10hipError_tPvRmT1_PNSt15iterator_traitsIS13_E10value_typeET2_T3_PNS14_IS19_E10value_typeET4_jRbjT5_S1F_jjP12ihipStream_tbEUljE_ZNSN_ISO_Lb1ESR_SS_SU_SV_SZ_EES10_S11_S12_S13_S17_S18_S19_S1C_S1D_jS1E_jS1F_S1F_jjS1H_bEUljE0_EEES10_S11_S12_S19_S1D_S1F_T6_T7_T9_mT8_S1H_bDpT10_ENKUlT_T0_E_clISt17integral_constantIbLb0EES1V_EEDaS1Q_S1R_EUlS1Q_E_NS1_11comp_targetILNS1_3genE9ELNS1_11target_archE1100ELNS1_3gpuE3ELNS1_3repE0EEENS1_30default_config_static_selectorELNS0_4arch9wavefront6targetE0EEEvS13_
	.p2align	8
	.type	_ZN7rocprim17ROCPRIM_400000_NS6detail17trampoline_kernelINS0_13select_configILj256ELj13ELNS0_17block_load_methodE3ELS4_3ELS4_3ELNS0_20block_scan_algorithmE0ELj4294967295EEENS1_25partition_config_selectorILNS1_17partition_subalgoE4EjNS0_10empty_typeEbEEZZNS1_14partition_implILS8_4ELb0ES6_15HIP_vector_typeIjLj2EENS0_17counting_iteratorIjlEEPS9_SG_NS0_5tupleIJPjSI_NS0_16reverse_iteratorISI_EEEEENSH_IJSG_SG_SG_EEES9_SI_JZNS1_25segmented_radix_sort_implINS0_14default_configELb1EPK12hip_bfloat16PSP_PKlPlN2at6native12_GLOBAL__N_18offset_tEEE10hipError_tPvRmT1_PNSt15iterator_traitsIS13_E10value_typeET2_T3_PNS14_IS19_E10value_typeET4_jRbjT5_S1F_jjP12ihipStream_tbEUljE_ZNSN_ISO_Lb1ESR_SS_SU_SV_SZ_EES10_S11_S12_S13_S17_S18_S19_S1C_S1D_jS1E_jS1F_S1F_jjS1H_bEUljE0_EEES10_S11_S12_S19_S1D_S1F_T6_T7_T9_mT8_S1H_bDpT10_ENKUlT_T0_E_clISt17integral_constantIbLb0EES1V_EEDaS1Q_S1R_EUlS1Q_E_NS1_11comp_targetILNS1_3genE9ELNS1_11target_archE1100ELNS1_3gpuE3ELNS1_3repE0EEENS1_30default_config_static_selectorELNS0_4arch9wavefront6targetE0EEEvS13_,@function
_ZN7rocprim17ROCPRIM_400000_NS6detail17trampoline_kernelINS0_13select_configILj256ELj13ELNS0_17block_load_methodE3ELS4_3ELS4_3ELNS0_20block_scan_algorithmE0ELj4294967295EEENS1_25partition_config_selectorILNS1_17partition_subalgoE4EjNS0_10empty_typeEbEEZZNS1_14partition_implILS8_4ELb0ES6_15HIP_vector_typeIjLj2EENS0_17counting_iteratorIjlEEPS9_SG_NS0_5tupleIJPjSI_NS0_16reverse_iteratorISI_EEEEENSH_IJSG_SG_SG_EEES9_SI_JZNS1_25segmented_radix_sort_implINS0_14default_configELb1EPK12hip_bfloat16PSP_PKlPlN2at6native12_GLOBAL__N_18offset_tEEE10hipError_tPvRmT1_PNSt15iterator_traitsIS13_E10value_typeET2_T3_PNS14_IS19_E10value_typeET4_jRbjT5_S1F_jjP12ihipStream_tbEUljE_ZNSN_ISO_Lb1ESR_SS_SU_SV_SZ_EES10_S11_S12_S13_S17_S18_S19_S1C_S1D_jS1E_jS1F_S1F_jjS1H_bEUljE0_EEES10_S11_S12_S19_S1D_S1F_T6_T7_T9_mT8_S1H_bDpT10_ENKUlT_T0_E_clISt17integral_constantIbLb0EES1V_EEDaS1Q_S1R_EUlS1Q_E_NS1_11comp_targetILNS1_3genE9ELNS1_11target_archE1100ELNS1_3gpuE3ELNS1_3repE0EEENS1_30default_config_static_selectorELNS0_4arch9wavefront6targetE0EEEvS13_: ; @_ZN7rocprim17ROCPRIM_400000_NS6detail17trampoline_kernelINS0_13select_configILj256ELj13ELNS0_17block_load_methodE3ELS4_3ELS4_3ELNS0_20block_scan_algorithmE0ELj4294967295EEENS1_25partition_config_selectorILNS1_17partition_subalgoE4EjNS0_10empty_typeEbEEZZNS1_14partition_implILS8_4ELb0ES6_15HIP_vector_typeIjLj2EENS0_17counting_iteratorIjlEEPS9_SG_NS0_5tupleIJPjSI_NS0_16reverse_iteratorISI_EEEEENSH_IJSG_SG_SG_EEES9_SI_JZNS1_25segmented_radix_sort_implINS0_14default_configELb1EPK12hip_bfloat16PSP_PKlPlN2at6native12_GLOBAL__N_18offset_tEEE10hipError_tPvRmT1_PNSt15iterator_traitsIS13_E10value_typeET2_T3_PNS14_IS19_E10value_typeET4_jRbjT5_S1F_jjP12ihipStream_tbEUljE_ZNSN_ISO_Lb1ESR_SS_SU_SV_SZ_EES10_S11_S12_S13_S17_S18_S19_S1C_S1D_jS1E_jS1F_S1F_jjS1H_bEUljE0_EEES10_S11_S12_S19_S1D_S1F_T6_T7_T9_mT8_S1H_bDpT10_ENKUlT_T0_E_clISt17integral_constantIbLb0EES1V_EEDaS1Q_S1R_EUlS1Q_E_NS1_11comp_targetILNS1_3genE9ELNS1_11target_archE1100ELNS1_3gpuE3ELNS1_3repE0EEENS1_30default_config_static_selectorELNS0_4arch9wavefront6targetE0EEEvS13_
; %bb.0:
	s_clause 0x6
	s_load_b32 s5, s[0:1], 0x80
	s_load_b64 s[34:35], s[0:1], 0x10
	s_load_b64 s[2:3], s[0:1], 0x68
	s_load_b32 s8, s[0:1], 0x8
	s_load_b128 s[24:27], s[0:1], 0x58
	s_load_b64 s[40:41], s[0:1], 0xa8
	s_load_b256 s[16:23], s[0:1], 0x88
	s_mul_i32 s33, s15, 0xd00
	s_waitcnt lgkmcnt(0)
	s_mul_i32 s4, s5, 0xd00
	s_add_i32 s5, s5, -1
	s_add_u32 s6, s34, s4
	s_addc_u32 s7, s35, 0
	s_load_b128 s[28:31], s[26:27], 0x0
	s_cmp_eq_u32 s15, s5
	v_cmp_lt_u64_e64 s3, s[6:7], s[2:3]
	s_cselect_b32 s14, -1, 0
	s_cmp_lg_u32 s15, s5
	s_cselect_b32 s5, -1, 0
	s_add_i32 s6, s8, s33
	s_delay_alu instid0(VALU_DEP_1) | instskip(SKIP_4) | instid1(VALU_DEP_1)
	s_or_b32 s3, s5, s3
	s_add_i32 s6, s6, s34
	s_and_b32 vcc_lo, exec_lo, s3
	v_add_nc_u32_e32 v1, s6, v0
	s_mov_b32 s5, -1
	v_add_nc_u32_e32 v2, 0x100, v1
	v_add_nc_u32_e32 v3, 0x200, v1
	;; [unrolled: 1-line block ×12, first 2 shown]
	s_cbranch_vccz .LBB1888_2
; %bb.1:
	v_lshlrev_b32_e32 v14, 2, v0
	s_mov_b32 s5, 0
	ds_store_2addr_stride64_b32 v14, v1, v2 offset1:4
	ds_store_2addr_stride64_b32 v14, v3, v4 offset0:8 offset1:12
	ds_store_2addr_stride64_b32 v14, v5, v6 offset0:16 offset1:20
	;; [unrolled: 1-line block ×5, first 2 shown]
	ds_store_b32 v14, v13 offset:12288
	s_waitcnt lgkmcnt(0)
	s_barrier
.LBB1888_2:
	s_and_not1_b32 vcc_lo, exec_lo, s5
	s_add_i32 s4, s4, s34
	s_cbranch_vccnz .LBB1888_4
; %bb.3:
	v_lshlrev_b32_e32 v14, 2, v0
	ds_store_2addr_stride64_b32 v14, v1, v2 offset1:4
	ds_store_2addr_stride64_b32 v14, v3, v4 offset0:8 offset1:12
	ds_store_2addr_stride64_b32 v14, v5, v6 offset0:16 offset1:20
	ds_store_2addr_stride64_b32 v14, v7, v8 offset0:24 offset1:28
	ds_store_2addr_stride64_b32 v14, v9, v10 offset0:32 offset1:36
	ds_store_2addr_stride64_b32 v14, v11, v12 offset0:40 offset1:44
	ds_store_b32 v14, v13 offset:12288
	s_waitcnt lgkmcnt(0)
	s_barrier
.LBB1888_4:
	v_mul_u32_u24_e32 v28, 13, v0
	s_clause 0x1
	s_load_b128 s[36:39], s[0:1], 0x28
	s_load_b64 s[26:27], s[0:1], 0x38
	s_waitcnt lgkmcnt(0)
	buffer_gl0_inv
	v_cndmask_b32_e64 v26, 0, 1, s3
	s_sub_i32 s44, s2, s4
	v_lshlrev_b32_e32 v1, 2, v28
	s_and_not1_b32 vcc_lo, exec_lo, s3
	ds_load_2addr_b32 v[16:17], v1 offset1:1
	ds_load_2addr_b32 v[14:15], v1 offset0:2 offset1:3
	ds_load_2addr_b32 v[12:13], v1 offset0:4 offset1:5
	;; [unrolled: 1-line block ×5, first 2 shown]
	ds_load_b32 v27, v1 offset:48
	s_waitcnt lgkmcnt(0)
	s_barrier
	buffer_gl0_inv
	s_cbranch_vccnz .LBB1888_32
; %bb.5:
	v_add_nc_u32_e32 v1, s17, v16
	v_add_nc_u32_e32 v2, s19, v16
	s_mov_b32 s46, 0
	s_mov_b32 s45, 0
	s_mov_b32 s3, exec_lo
	v_mul_lo_u32 v1, v1, s16
	v_mul_lo_u32 v2, v2, s18
	s_delay_alu instid0(VALU_DEP_1) | instskip(NEXT) | instid1(VALU_DEP_1)
	v_sub_nc_u32_e32 v1, v1, v2
	v_cmp_lt_u32_e32 vcc_lo, s20, v1
	v_cmpx_ge_u32_e64 s20, v1
; %bb.6:
	v_add_nc_u32_e32 v1, s22, v16
	v_add_nc_u32_e32 v2, s40, v16
	s_delay_alu instid0(VALU_DEP_2) | instskip(NEXT) | instid1(VALU_DEP_2)
	v_mul_lo_u32 v1, v1, s21
	v_mul_lo_u32 v2, v2, s23
	s_delay_alu instid0(VALU_DEP_1) | instskip(NEXT) | instid1(VALU_DEP_1)
	v_sub_nc_u32_e32 v1, v1, v2
	v_cmp_lt_u32_e64 s2, s41, v1
	s_delay_alu instid0(VALU_DEP_1)
	s_and_b32 s45, s2, exec_lo
; %bb.7:
	s_or_b32 exec_lo, exec_lo, s3
	v_add_nc_u32_e32 v1, s17, v17
	v_add_nc_u32_e32 v2, s19, v17
	s_mov_b32 s4, exec_lo
	s_delay_alu instid0(VALU_DEP_2) | instskip(NEXT) | instid1(VALU_DEP_2)
	v_mul_lo_u32 v1, v1, s16
	v_mul_lo_u32 v2, v2, s18
	s_delay_alu instid0(VALU_DEP_1) | instskip(NEXT) | instid1(VALU_DEP_1)
	v_sub_nc_u32_e32 v1, v1, v2
	v_cmp_lt_u32_e64 s2, s20, v1
	v_cmpx_ge_u32_e64 s20, v1
; %bb.8:
	v_add_nc_u32_e32 v1, s22, v17
	v_add_nc_u32_e32 v2, s40, v17
	s_delay_alu instid0(VALU_DEP_2) | instskip(NEXT) | instid1(VALU_DEP_2)
	v_mul_lo_u32 v1, v1, s21
	v_mul_lo_u32 v2, v2, s23
	s_delay_alu instid0(VALU_DEP_1) | instskip(NEXT) | instid1(VALU_DEP_1)
	v_sub_nc_u32_e32 v1, v1, v2
	v_cmp_lt_u32_e64 s3, s41, v1
	s_delay_alu instid0(VALU_DEP_1)
	s_and_b32 s46, s3, exec_lo
; %bb.9:
	s_or_b32 exec_lo, exec_lo, s4
	v_add_nc_u32_e32 v1, s17, v14
	v_add_nc_u32_e32 v2, s19, v14
	s_mov_b32 s48, 0
	s_mov_b32 s47, 0
	s_mov_b32 s5, exec_lo
	v_mul_lo_u32 v1, v1, s16
	v_mul_lo_u32 v2, v2, s18
	s_delay_alu instid0(VALU_DEP_1) | instskip(NEXT) | instid1(VALU_DEP_1)
	v_sub_nc_u32_e32 v1, v1, v2
	v_cmp_lt_u32_e64 s3, s20, v1
	v_cmpx_ge_u32_e64 s20, v1
; %bb.10:
	v_add_nc_u32_e32 v1, s22, v14
	v_add_nc_u32_e32 v2, s40, v14
	s_delay_alu instid0(VALU_DEP_2) | instskip(NEXT) | instid1(VALU_DEP_2)
	v_mul_lo_u32 v1, v1, s21
	v_mul_lo_u32 v2, v2, s23
	s_delay_alu instid0(VALU_DEP_1) | instskip(NEXT) | instid1(VALU_DEP_1)
	v_sub_nc_u32_e32 v1, v1, v2
	v_cmp_lt_u32_e64 s4, s41, v1
	s_delay_alu instid0(VALU_DEP_1)
	s_and_b32 s47, s4, exec_lo
; %bb.11:
	s_or_b32 exec_lo, exec_lo, s5
	v_add_nc_u32_e32 v1, s17, v15
	v_add_nc_u32_e32 v2, s19, v15
	s_mov_b32 s6, exec_lo
	s_delay_alu instid0(VALU_DEP_2) | instskip(NEXT) | instid1(VALU_DEP_2)
	v_mul_lo_u32 v1, v1, s16
	v_mul_lo_u32 v2, v2, s18
	s_delay_alu instid0(VALU_DEP_1) | instskip(NEXT) | instid1(VALU_DEP_1)
	v_sub_nc_u32_e32 v1, v1, v2
	v_cmp_lt_u32_e64 s4, s20, v1
	v_cmpx_ge_u32_e64 s20, v1
; %bb.12:
	v_add_nc_u32_e32 v1, s22, v15
	v_add_nc_u32_e32 v2, s40, v15
	s_delay_alu instid0(VALU_DEP_2) | instskip(NEXT) | instid1(VALU_DEP_2)
	v_mul_lo_u32 v1, v1, s21
	v_mul_lo_u32 v2, v2, s23
	s_delay_alu instid0(VALU_DEP_1) | instskip(NEXT) | instid1(VALU_DEP_1)
	v_sub_nc_u32_e32 v1, v1, v2
	v_cmp_lt_u32_e64 s5, s41, v1
	s_delay_alu instid0(VALU_DEP_1)
	s_and_b32 s48, s5, exec_lo
; %bb.13:
	s_or_b32 exec_lo, exec_lo, s6
	v_add_nc_u32_e32 v1, s17, v12
	v_add_nc_u32_e32 v2, s19, v12
	s_mov_b32 s50, 0
	s_mov_b32 s49, 0
	s_mov_b32 s7, exec_lo
	v_mul_lo_u32 v1, v1, s16
	v_mul_lo_u32 v2, v2, s18
	s_delay_alu instid0(VALU_DEP_1) | instskip(NEXT) | instid1(VALU_DEP_1)
	v_sub_nc_u32_e32 v1, v1, v2
	v_cmp_lt_u32_e64 s5, s20, v1
	;; [unrolled: 47-line block ×5, first 2 shown]
	v_cmpx_ge_u32_e64 s20, v1
; %bb.26:
	v_add_nc_u32_e32 v1, s22, v6
	v_add_nc_u32_e32 v2, s40, v6
	s_delay_alu instid0(VALU_DEP_2) | instskip(NEXT) | instid1(VALU_DEP_2)
	v_mul_lo_u32 v1, v1, s21
	v_mul_lo_u32 v2, v2, s23
	s_delay_alu instid0(VALU_DEP_1) | instskip(NEXT) | instid1(VALU_DEP_1)
	v_sub_nc_u32_e32 v1, v1, v2
	v_cmp_lt_u32_e64 s12, s41, v1
	s_delay_alu instid0(VALU_DEP_1)
	s_and_b32 s57, s12, exec_lo
; %bb.27:
	s_or_b32 exec_lo, exec_lo, s13
	v_add_nc_u32_e32 v1, s17, v7
	v_add_nc_u32_e32 v2, s19, v7
	s_mov_b32 s42, exec_lo
	s_delay_alu instid0(VALU_DEP_2) | instskip(NEXT) | instid1(VALU_DEP_2)
	v_mul_lo_u32 v1, v1, s16
	v_mul_lo_u32 v2, v2, s18
	s_delay_alu instid0(VALU_DEP_1) | instskip(NEXT) | instid1(VALU_DEP_1)
	v_sub_nc_u32_e32 v1, v1, v2
	v_cmp_lt_u32_e64 s12, s20, v1
	v_cmpx_ge_u32_e64 s20, v1
; %bb.28:
	v_add_nc_u32_e32 v1, s22, v7
	v_add_nc_u32_e32 v2, s40, v7
	s_delay_alu instid0(VALU_DEP_2) | instskip(NEXT) | instid1(VALU_DEP_2)
	v_mul_lo_u32 v1, v1, s21
	v_mul_lo_u32 v2, v2, s23
	s_delay_alu instid0(VALU_DEP_1) | instskip(NEXT) | instid1(VALU_DEP_1)
	v_sub_nc_u32_e32 v1, v1, v2
	v_cmp_lt_u32_e64 s13, s41, v1
	s_delay_alu instid0(VALU_DEP_1)
	s_and_b32 s56, s13, exec_lo
; %bb.29:
	s_or_b32 exec_lo, exec_lo, s42
	v_add_nc_u32_e32 v1, s17, v27
	v_add_nc_u32_e32 v2, s19, v27
	s_mov_b32 s42, -1
	s_mov_b32 s53, 0
	s_mov_b32 s43, 0
	v_mul_lo_u32 v1, v1, s16
	v_mul_lo_u32 v2, v2, s18
	s_mov_b32 s58, exec_lo
	s_delay_alu instid0(VALU_DEP_1) | instskip(NEXT) | instid1(VALU_DEP_1)
	v_sub_nc_u32_e32 v1, v1, v2
	v_cmpx_ge_u32_e64 s20, v1
; %bb.30:
	v_add_nc_u32_e32 v1, s22, v27
	v_add_nc_u32_e32 v2, s40, v27
	s_xor_b32 s42, exec_lo, -1
	s_delay_alu instid0(VALU_DEP_2) | instskip(NEXT) | instid1(VALU_DEP_2)
	v_mul_lo_u32 v1, v1, s21
	v_mul_lo_u32 v2, v2, s23
	s_delay_alu instid0(VALU_DEP_1) | instskip(NEXT) | instid1(VALU_DEP_1)
	v_sub_nc_u32_e32 v1, v1, v2
	v_cmp_lt_u32_e64 s13, s41, v1
	s_delay_alu instid0(VALU_DEP_1)
	s_and_b32 s43, s13, exec_lo
; %bb.31:
	s_or_b32 exec_lo, exec_lo, s58
	v_cndmask_b32_e64 v48, 0, 1, s57
	v_cndmask_b32_e64 v51, 0, 1, s12
	;; [unrolled: 1-line block ×22, first 2 shown]
	v_cndmask_b32_e64 v29, 0, 1, vcc_lo
	v_cndmask_b32_e64 v52, 0, 1, s56
	s_load_b64 s[4:5], s[0:1], 0x78
	s_and_b32 vcc_lo, exec_lo, s53
	s_add_i32 s3, s44, 0xd00
	s_cbranch_vccnz .LBB1888_33
	s_branch .LBB1888_86
.LBB1888_32:
                                        ; implicit-def: $sgpr42
                                        ; implicit-def: $sgpr43
                                        ; implicit-def: $vgpr52
                                        ; implicit-def: $vgpr48
                                        ; implicit-def: $vgpr47
                                        ; implicit-def: $vgpr45
                                        ; implicit-def: $vgpr43
                                        ; implicit-def: $vgpr40
                                        ; implicit-def: $vgpr39
                                        ; implicit-def: $vgpr37
                                        ; implicit-def: $vgpr35
                                        ; implicit-def: $vgpr29
                                        ; implicit-def: $vgpr33
                                        ; implicit-def: $vgpr31
                                        ; implicit-def: $vgpr32
                                        ; implicit-def: $vgpr38
                                        ; implicit-def: $vgpr41
                                        ; implicit-def: $vgpr42
                                        ; implicit-def: $vgpr44
                                        ; implicit-def: $vgpr46
                                        ; implicit-def: $vgpr49
                                        ; implicit-def: $vgpr50
                                        ; implicit-def: $vgpr51
                                        ; implicit-def: $vgpr30
                                        ; implicit-def: $vgpr34
                                        ; implicit-def: $vgpr36
	s_load_b64 s[4:5], s[0:1], 0x78
	s_add_i32 s3, s44, 0xd00
	s_cbranch_execz .LBB1888_86
.LBB1888_33:
	v_dual_mov_b32 v30, 0 :: v_dual_mov_b32 v29, 0
	s_mov_b32 s2, 0
	s_mov_b32 s1, exec_lo
	v_cmpx_gt_u32_e64 s3, v28
	s_cbranch_execz .LBB1888_37
; %bb.34:
	v_add_nc_u32_e32 v1, s17, v16
	v_add_nc_u32_e32 v2, s19, v16
	s_mov_b32 s6, exec_lo
	s_delay_alu instid0(VALU_DEP_2) | instskip(NEXT) | instid1(VALU_DEP_2)
	v_mul_lo_u32 v1, v1, s16
	v_mul_lo_u32 v2, v2, s18
	s_delay_alu instid0(VALU_DEP_1) | instskip(NEXT) | instid1(VALU_DEP_1)
	v_sub_nc_u32_e32 v1, v1, v2
	v_cmp_lt_u32_e32 vcc_lo, s20, v1
	v_cmpx_ge_u32_e64 s20, v1
; %bb.35:
	v_add_nc_u32_e32 v1, s22, v16
	v_add_nc_u32_e32 v2, s40, v16
	s_delay_alu instid0(VALU_DEP_2) | instskip(NEXT) | instid1(VALU_DEP_2)
	v_mul_lo_u32 v1, v1, s21
	v_mul_lo_u32 v2, v2, s23
	s_delay_alu instid0(VALU_DEP_1) | instskip(NEXT) | instid1(VALU_DEP_1)
	v_sub_nc_u32_e32 v1, v1, v2
	v_cmp_lt_u32_e64 s0, s41, v1
	s_delay_alu instid0(VALU_DEP_1)
	s_and_b32 s2, s0, exec_lo
; %bb.36:
	s_or_b32 exec_lo, exec_lo, s6
	v_cndmask_b32_e64 v29, 0, 1, vcc_lo
	v_cndmask_b32_e64 v30, 0, 1, s2
.LBB1888_37:
	s_or_b32 exec_lo, exec_lo, s1
	v_dual_mov_b32 v34, 0 :: v_dual_add_nc_u32 v1, 1, v28
	v_mov_b32_e32 v33, 0
	s_mov_b32 s2, 0
	s_mov_b32 s1, exec_lo
	s_delay_alu instid0(VALU_DEP_2)
	v_cmpx_gt_u32_e64 s3, v1
	s_cbranch_execz .LBB1888_41
; %bb.38:
	v_add_nc_u32_e32 v1, s17, v17
	v_add_nc_u32_e32 v2, s19, v17
	s_mov_b32 s6, exec_lo
	s_delay_alu instid0(VALU_DEP_2) | instskip(NEXT) | instid1(VALU_DEP_2)
	v_mul_lo_u32 v1, v1, s16
	v_mul_lo_u32 v2, v2, s18
	s_delay_alu instid0(VALU_DEP_1) | instskip(NEXT) | instid1(VALU_DEP_1)
	v_sub_nc_u32_e32 v1, v1, v2
	v_cmp_lt_u32_e32 vcc_lo, s20, v1
	v_cmpx_ge_u32_e64 s20, v1
; %bb.39:
	v_add_nc_u32_e32 v1, s22, v17
	v_add_nc_u32_e32 v2, s40, v17
	s_delay_alu instid0(VALU_DEP_2) | instskip(NEXT) | instid1(VALU_DEP_2)
	v_mul_lo_u32 v1, v1, s21
	v_mul_lo_u32 v2, v2, s23
	s_delay_alu instid0(VALU_DEP_1) | instskip(NEXT) | instid1(VALU_DEP_1)
	v_sub_nc_u32_e32 v1, v1, v2
	v_cmp_lt_u32_e64 s0, s41, v1
	s_delay_alu instid0(VALU_DEP_1)
	s_and_b32 s2, s0, exec_lo
; %bb.40:
	s_or_b32 exec_lo, exec_lo, s6
	v_cndmask_b32_e64 v33, 0, 1, vcc_lo
	v_cndmask_b32_e64 v34, 0, 1, s2
.LBB1888_41:
	s_or_b32 exec_lo, exec_lo, s1
	v_dual_mov_b32 v36, 0 :: v_dual_add_nc_u32 v1, 2, v28
	v_mov_b32_e32 v31, 0
	s_mov_b32 s2, 0
	s_mov_b32 s1, exec_lo
	s_delay_alu instid0(VALU_DEP_2)
	;; [unrolled: 35-line block ×4, first 2 shown]
	v_cmpx_gt_u32_e64 s3, v1
	s_cbranch_execz .LBB1888_53
; %bb.50:
	v_add_nc_u32_e32 v1, s17, v12
	v_add_nc_u32_e32 v2, s19, v12
	s_mov_b32 s6, exec_lo
	s_delay_alu instid0(VALU_DEP_2) | instskip(NEXT) | instid1(VALU_DEP_2)
	v_mul_lo_u32 v1, v1, s16
	v_mul_lo_u32 v2, v2, s18
	s_delay_alu instid0(VALU_DEP_1) | instskip(NEXT) | instid1(VALU_DEP_1)
	v_sub_nc_u32_e32 v1, v1, v2
	v_cmp_lt_u32_e32 vcc_lo, s20, v1
	v_cmpx_ge_u32_e64 s20, v1
; %bb.51:
	v_add_nc_u32_e32 v1, s22, v12
	v_add_nc_u32_e32 v2, s40, v12
	s_delay_alu instid0(VALU_DEP_2) | instskip(NEXT) | instid1(VALU_DEP_2)
	v_mul_lo_u32 v1, v1, s21
	v_mul_lo_u32 v2, v2, s23
	s_delay_alu instid0(VALU_DEP_1) | instskip(NEXT) | instid1(VALU_DEP_1)
	v_sub_nc_u32_e32 v1, v1, v2
	v_cmp_lt_u32_e64 s0, s41, v1
	s_delay_alu instid0(VALU_DEP_1)
	s_and_b32 s2, s0, exec_lo
; %bb.52:
	s_or_b32 exec_lo, exec_lo, s6
	v_cndmask_b32_e64 v38, 0, 1, vcc_lo
	v_cndmask_b32_e64 v37, 0, 1, s2
.LBB1888_53:
	s_or_b32 exec_lo, exec_lo, s1
	v_add_nc_u32_e32 v1, 5, v28
	v_mov_b32_e32 v39, 0
	v_mov_b32_e32 v41, 0
	s_mov_b32 s2, 0
	s_mov_b32 s1, exec_lo
	v_cmpx_gt_u32_e64 s3, v1
	s_cbranch_execz .LBB1888_57
; %bb.54:
	v_add_nc_u32_e32 v1, s17, v13
	v_add_nc_u32_e32 v2, s19, v13
	s_mov_b32 s6, exec_lo
	s_delay_alu instid0(VALU_DEP_2) | instskip(NEXT) | instid1(VALU_DEP_2)
	v_mul_lo_u32 v1, v1, s16
	v_mul_lo_u32 v2, v2, s18
	s_delay_alu instid0(VALU_DEP_1) | instskip(NEXT) | instid1(VALU_DEP_1)
	v_sub_nc_u32_e32 v1, v1, v2
	v_cmp_lt_u32_e32 vcc_lo, s20, v1
	v_cmpx_ge_u32_e64 s20, v1
; %bb.55:
	v_add_nc_u32_e32 v1, s22, v13
	v_add_nc_u32_e32 v2, s40, v13
	s_delay_alu instid0(VALU_DEP_2) | instskip(NEXT) | instid1(VALU_DEP_2)
	v_mul_lo_u32 v1, v1, s21
	v_mul_lo_u32 v2, v2, s23
	s_delay_alu instid0(VALU_DEP_1) | instskip(NEXT) | instid1(VALU_DEP_1)
	v_sub_nc_u32_e32 v1, v1, v2
	v_cmp_lt_u32_e64 s0, s41, v1
	s_delay_alu instid0(VALU_DEP_1)
	s_and_b32 s2, s0, exec_lo
; %bb.56:
	s_or_b32 exec_lo, exec_lo, s6
	v_cndmask_b32_e64 v41, 0, 1, vcc_lo
	v_cndmask_b32_e64 v39, 0, 1, s2
.LBB1888_57:
	s_or_b32 exec_lo, exec_lo, s1
	v_dual_mov_b32 v40, 0 :: v_dual_add_nc_u32 v1, 6, v28
	v_mov_b32_e32 v42, 0
	s_mov_b32 s2, 0
	s_mov_b32 s1, exec_lo
	s_delay_alu instid0(VALU_DEP_2)
	v_cmpx_gt_u32_e64 s3, v1
	s_cbranch_execz .LBB1888_61
; %bb.58:
	v_add_nc_u32_e32 v1, s17, v10
	v_add_nc_u32_e32 v2, s19, v10
	s_mov_b32 s6, exec_lo
	s_delay_alu instid0(VALU_DEP_2) | instskip(NEXT) | instid1(VALU_DEP_2)
	v_mul_lo_u32 v1, v1, s16
	v_mul_lo_u32 v2, v2, s18
	s_delay_alu instid0(VALU_DEP_1) | instskip(NEXT) | instid1(VALU_DEP_1)
	v_sub_nc_u32_e32 v1, v1, v2
	v_cmp_lt_u32_e32 vcc_lo, s20, v1
	v_cmpx_ge_u32_e64 s20, v1
; %bb.59:
	v_add_nc_u32_e32 v1, s22, v10
	v_add_nc_u32_e32 v2, s40, v10
	s_delay_alu instid0(VALU_DEP_2) | instskip(NEXT) | instid1(VALU_DEP_2)
	v_mul_lo_u32 v1, v1, s21
	v_mul_lo_u32 v2, v2, s23
	s_delay_alu instid0(VALU_DEP_1) | instskip(NEXT) | instid1(VALU_DEP_1)
	v_sub_nc_u32_e32 v1, v1, v2
	v_cmp_lt_u32_e64 s0, s41, v1
	s_delay_alu instid0(VALU_DEP_1)
	s_and_b32 s2, s0, exec_lo
; %bb.60:
	s_or_b32 exec_lo, exec_lo, s6
	v_cndmask_b32_e64 v42, 0, 1, vcc_lo
	v_cndmask_b32_e64 v40, 0, 1, s2
.LBB1888_61:
	s_or_b32 exec_lo, exec_lo, s1
	v_dual_mov_b32 v44, 0 :: v_dual_add_nc_u32 v1, 7, v28
	v_mov_b32_e32 v43, 0
	s_mov_b32 s2, 0
	s_mov_b32 s1, exec_lo
	s_delay_alu instid0(VALU_DEP_2)
	;; [unrolled: 35-line block ×3, first 2 shown]
	v_cmpx_gt_u32_e64 s3, v1
	s_cbranch_execz .LBB1888_69
; %bb.66:
	v_add_nc_u32_e32 v1, s17, v8
	v_add_nc_u32_e32 v2, s19, v8
	s_mov_b32 s6, exec_lo
	s_delay_alu instid0(VALU_DEP_2) | instskip(NEXT) | instid1(VALU_DEP_2)
	v_mul_lo_u32 v1, v1, s16
	v_mul_lo_u32 v2, v2, s18
	s_delay_alu instid0(VALU_DEP_1) | instskip(NEXT) | instid1(VALU_DEP_1)
	v_sub_nc_u32_e32 v1, v1, v2
	v_cmp_lt_u32_e32 vcc_lo, s20, v1
	v_cmpx_ge_u32_e64 s20, v1
; %bb.67:
	v_add_nc_u32_e32 v1, s22, v8
	v_add_nc_u32_e32 v2, s40, v8
	s_delay_alu instid0(VALU_DEP_2) | instskip(NEXT) | instid1(VALU_DEP_2)
	v_mul_lo_u32 v1, v1, s21
	v_mul_lo_u32 v2, v2, s23
	s_delay_alu instid0(VALU_DEP_1) | instskip(NEXT) | instid1(VALU_DEP_1)
	v_sub_nc_u32_e32 v1, v1, v2
	v_cmp_lt_u32_e64 s0, s41, v1
	s_delay_alu instid0(VALU_DEP_1)
	s_and_b32 s2, s0, exec_lo
; %bb.68:
	s_or_b32 exec_lo, exec_lo, s6
	v_cndmask_b32_e64 v46, 0, 1, vcc_lo
	v_cndmask_b32_e64 v45, 0, 1, s2
.LBB1888_69:
	s_or_b32 exec_lo, exec_lo, s1
	v_add_nc_u32_e32 v1, 9, v28
	v_mov_b32_e32 v47, 0
	v_mov_b32_e32 v49, 0
	s_mov_b32 s2, 0
	s_mov_b32 s1, exec_lo
	v_cmpx_gt_u32_e64 s3, v1
	s_cbranch_execz .LBB1888_73
; %bb.70:
	v_add_nc_u32_e32 v1, s17, v9
	v_add_nc_u32_e32 v2, s19, v9
	s_mov_b32 s6, exec_lo
	s_delay_alu instid0(VALU_DEP_2) | instskip(NEXT) | instid1(VALU_DEP_2)
	v_mul_lo_u32 v1, v1, s16
	v_mul_lo_u32 v2, v2, s18
	s_delay_alu instid0(VALU_DEP_1) | instskip(NEXT) | instid1(VALU_DEP_1)
	v_sub_nc_u32_e32 v1, v1, v2
	v_cmp_lt_u32_e32 vcc_lo, s20, v1
	v_cmpx_ge_u32_e64 s20, v1
; %bb.71:
	v_add_nc_u32_e32 v1, s22, v9
	v_add_nc_u32_e32 v2, s40, v9
	s_delay_alu instid0(VALU_DEP_2) | instskip(NEXT) | instid1(VALU_DEP_2)
	v_mul_lo_u32 v1, v1, s21
	v_mul_lo_u32 v2, v2, s23
	s_delay_alu instid0(VALU_DEP_1) | instskip(NEXT) | instid1(VALU_DEP_1)
	v_sub_nc_u32_e32 v1, v1, v2
	v_cmp_lt_u32_e64 s0, s41, v1
	s_delay_alu instid0(VALU_DEP_1)
	s_and_b32 s2, s0, exec_lo
; %bb.72:
	s_or_b32 exec_lo, exec_lo, s6
	v_cndmask_b32_e64 v49, 0, 1, vcc_lo
	v_cndmask_b32_e64 v47, 0, 1, s2
.LBB1888_73:
	s_or_b32 exec_lo, exec_lo, s1
	v_dual_mov_b32 v48, 0 :: v_dual_add_nc_u32 v1, 10, v28
	v_mov_b32_e32 v50, 0
	s_mov_b32 s2, 0
	s_mov_b32 s1, exec_lo
	s_delay_alu instid0(VALU_DEP_2)
	v_cmpx_gt_u32_e64 s3, v1
	s_cbranch_execz .LBB1888_77
; %bb.74:
	v_add_nc_u32_e32 v1, s17, v6
	v_add_nc_u32_e32 v2, s19, v6
	s_mov_b32 s6, exec_lo
	s_delay_alu instid0(VALU_DEP_2) | instskip(NEXT) | instid1(VALU_DEP_2)
	v_mul_lo_u32 v1, v1, s16
	v_mul_lo_u32 v2, v2, s18
	s_delay_alu instid0(VALU_DEP_1) | instskip(NEXT) | instid1(VALU_DEP_1)
	v_sub_nc_u32_e32 v1, v1, v2
	v_cmp_lt_u32_e32 vcc_lo, s20, v1
	v_cmpx_ge_u32_e64 s20, v1
; %bb.75:
	v_add_nc_u32_e32 v1, s22, v6
	v_add_nc_u32_e32 v2, s40, v6
	s_delay_alu instid0(VALU_DEP_2) | instskip(NEXT) | instid1(VALU_DEP_2)
	v_mul_lo_u32 v1, v1, s21
	v_mul_lo_u32 v2, v2, s23
	s_delay_alu instid0(VALU_DEP_1) | instskip(NEXT) | instid1(VALU_DEP_1)
	v_sub_nc_u32_e32 v1, v1, v2
	v_cmp_lt_u32_e64 s0, s41, v1
	s_delay_alu instid0(VALU_DEP_1)
	s_and_b32 s2, s0, exec_lo
; %bb.76:
	s_or_b32 exec_lo, exec_lo, s6
	v_cndmask_b32_e64 v50, 0, 1, vcc_lo
	v_cndmask_b32_e64 v48, 0, 1, s2
.LBB1888_77:
	s_or_b32 exec_lo, exec_lo, s1
	v_dual_mov_b32 v52, 0 :: v_dual_add_nc_u32 v1, 11, v28
	v_mov_b32_e32 v51, 0
	s_mov_b32 s2, 0
	s_mov_b32 s1, exec_lo
	s_delay_alu instid0(VALU_DEP_2)
	v_cmpx_gt_u32_e64 s3, v1
	s_cbranch_execz .LBB1888_81
; %bb.78:
	v_add_nc_u32_e32 v1, s17, v7
	v_add_nc_u32_e32 v2, s19, v7
	s_mov_b32 s6, exec_lo
	s_delay_alu instid0(VALU_DEP_2) | instskip(NEXT) | instid1(VALU_DEP_2)
	v_mul_lo_u32 v1, v1, s16
	v_mul_lo_u32 v2, v2, s18
	s_delay_alu instid0(VALU_DEP_1) | instskip(NEXT) | instid1(VALU_DEP_1)
	v_sub_nc_u32_e32 v1, v1, v2
	v_cmp_lt_u32_e32 vcc_lo, s20, v1
	v_cmpx_ge_u32_e64 s20, v1
; %bb.79:
	v_add_nc_u32_e32 v1, s22, v7
	v_add_nc_u32_e32 v2, s40, v7
	s_delay_alu instid0(VALU_DEP_2) | instskip(NEXT) | instid1(VALU_DEP_2)
	v_mul_lo_u32 v1, v1, s21
	v_mul_lo_u32 v2, v2, s23
	s_delay_alu instid0(VALU_DEP_1) | instskip(NEXT) | instid1(VALU_DEP_1)
	v_sub_nc_u32_e32 v1, v1, v2
	v_cmp_lt_u32_e64 s0, s41, v1
	s_delay_alu instid0(VALU_DEP_1)
	s_and_b32 s2, s0, exec_lo
; %bb.80:
	s_or_b32 exec_lo, exec_lo, s6
	v_cndmask_b32_e64 v51, 0, 1, vcc_lo
	v_cndmask_b32_e64 v52, 0, 1, s2
.LBB1888_81:
	s_or_b32 exec_lo, exec_lo, s1
	v_add_nc_u32_e32 v1, 12, v28
	s_mov_b32 s42, 0
	s_mov_b32 s43, 0
	s_mov_b32 s0, exec_lo
	s_delay_alu instid0(VALU_DEP_1)
	v_cmpx_gt_u32_e64 s3, v1
	s_cbranch_execz .LBB1888_85
; %bb.82:
	v_add_nc_u32_e32 v1, s17, v27
	v_add_nc_u32_e32 v2, s19, v27
	s_mov_b32 s2, -1
	s_mov_b32 s6, 0
	s_mov_b32 s1, exec_lo
	v_mul_lo_u32 v1, v1, s16
	v_mul_lo_u32 v2, v2, s18
	s_delay_alu instid0(VALU_DEP_1) | instskip(NEXT) | instid1(VALU_DEP_1)
	v_sub_nc_u32_e32 v1, v1, v2
	v_cmpx_ge_u32_e64 s20, v1
; %bb.83:
	v_add_nc_u32_e32 v1, s22, v27
	v_add_nc_u32_e32 v2, s40, v27
	s_xor_b32 s2, exec_lo, -1
	s_delay_alu instid0(VALU_DEP_2) | instskip(NEXT) | instid1(VALU_DEP_2)
	v_mul_lo_u32 v1, v1, s21
	v_mul_lo_u32 v2, v2, s23
	s_delay_alu instid0(VALU_DEP_1) | instskip(NEXT) | instid1(VALU_DEP_1)
	v_sub_nc_u32_e32 v1, v1, v2
	v_cmp_lt_u32_e32 vcc_lo, s41, v1
	s_and_b32 s6, vcc_lo, exec_lo
; %bb.84:
	s_or_b32 exec_lo, exec_lo, s1
	s_delay_alu instid0(SALU_CYCLE_1)
	s_and_b32 s43, s6, exec_lo
	s_and_b32 s42, s2, exec_lo
.LBB1888_85:
	s_or_b32 exec_lo, exec_lo, s0
.LBB1888_86:
	v_and_b32_e32 v75, 0xff, v29
	v_and_b32_e32 v76, 0xff, v30
	;; [unrolled: 1-line block ×10, first 2 shown]
	v_add3_u32 v1, v71, v73, v75
	v_add3_u32 v2, v72, v74, v76
	v_and_b32_e32 v65, 0xff, v41
	v_and_b32_e32 v66, 0xff, v39
	v_and_b32_e32 v61, 0xff, v42
	v_and_b32_e32 v62, 0xff, v40
	v_add3_u32 v1, v1, v69, v67
	v_add3_u32 v2, v2, v70, v68
	v_and_b32_e32 v63, 0xff, v44
	v_and_b32_e32 v64, 0xff, v43
	v_and_b32_e32 v59, 0xff, v46
	v_and_b32_e32 v60, 0xff, v45
	;; [unrolled: 6-line block ×3, first 2 shown]
	v_add3_u32 v1, v1, v63, v59
	v_add3_u32 v2, v2, v64, v60
	v_mbcnt_lo_u32_b32 v77, -1, 0
	v_and_b32_e32 v53, 0xff, v51
	v_and_b32_e32 v54, 0xff, v52
	v_cndmask_b32_e64 v3, 0, 1, s43
	v_add3_u32 v1, v1, v57, v55
	v_cndmask_b32_e64 v4, 0, 1, s42
	v_add3_u32 v2, v2, v58, v56
	v_and_b32_e32 v81, 15, v77
	v_and_b32_e32 v80, 16, v77
	v_lshrrev_b32_e32 v78, 5, v0
	v_add3_u32 v82, v1, v53, v4
	v_add3_u32 v83, v2, v54, v3
	v_cmp_eq_u32_e64 s1, 0, v81
	v_cmp_lt_u32_e64 s0, 1, v81
	v_cmp_lt_u32_e64 s2, 3, v81
	v_cmp_lt_u32_e32 vcc_lo, 7, v81
	v_or_b32_e32 v79, 31, v0
	s_cmp_lg_u32 s15, 0
	s_mov_b32 s6, -1
	s_cbranch_scc0 .LBB1888_114
; %bb.87:
	v_mov_b32_dpp v1, v83 row_shr:1 row_mask:0xf bank_mask:0xf
	v_mov_b32_dpp v2, v82 row_shr:1 row_mask:0xf bank_mask:0xf
	s_delay_alu instid0(VALU_DEP_2) | instskip(NEXT) | instid1(VALU_DEP_1)
	v_add_nc_u32_e32 v1, v1, v83
	v_cndmask_b32_e64 v1, v1, v83, s1
	s_delay_alu instid0(VALU_DEP_1) | instskip(NEXT) | instid1(VALU_DEP_1)
	v_mov_b32_dpp v3, v1 row_shr:2 row_mask:0xf bank_mask:0xf
	v_add_nc_u32_e32 v3, v1, v3
	s_delay_alu instid0(VALU_DEP_1) | instskip(NEXT) | instid1(VALU_DEP_1)
	v_cndmask_b32_e64 v1, v1, v3, s0
	v_mov_b32_dpp v3, v1 row_shr:4 row_mask:0xf bank_mask:0xf
	s_delay_alu instid0(VALU_DEP_1) | instskip(NEXT) | instid1(VALU_DEP_1)
	v_add_nc_u32_e32 v3, v1, v3
	v_cndmask_b32_e64 v1, v1, v3, s2
	s_delay_alu instid0(VALU_DEP_1) | instskip(NEXT) | instid1(VALU_DEP_1)
	v_mov_b32_dpp v3, v1 row_shr:8 row_mask:0xf bank_mask:0xf
	v_add_nc_u32_e32 v3, v1, v3
	s_delay_alu instid0(VALU_DEP_1) | instskip(NEXT) | instid1(VALU_DEP_1)
	v_dual_cndmask_b32 v1, v1, v3 :: v_dual_add_nc_u32 v2, v2, v82
	v_cndmask_b32_e64 v2, v2, v82, s1
	s_delay_alu instid0(VALU_DEP_1) | instskip(NEXT) | instid1(VALU_DEP_1)
	v_mov_b32_dpp v4, v2 row_shr:2 row_mask:0xf bank_mask:0xf
	v_add_nc_u32_e32 v4, v2, v4
	s_delay_alu instid0(VALU_DEP_1) | instskip(NEXT) | instid1(VALU_DEP_1)
	v_cndmask_b32_e64 v2, v2, v4, s0
	v_mov_b32_dpp v4, v2 row_shr:4 row_mask:0xf bank_mask:0xf
	s_delay_alu instid0(VALU_DEP_1) | instskip(NEXT) | instid1(VALU_DEP_1)
	v_add_nc_u32_e32 v4, v2, v4
	v_cndmask_b32_e64 v2, v2, v4, s2
	s_mov_b32 s2, exec_lo
	s_delay_alu instid0(VALU_DEP_1) | instskip(NEXT) | instid1(VALU_DEP_1)
	v_mov_b32_dpp v4, v2 row_shr:8 row_mask:0xf bank_mask:0xf
	v_add_nc_u32_e32 v4, v2, v4
	s_delay_alu instid0(VALU_DEP_1)
	v_cndmask_b32_e32 v3, v2, v4, vcc_lo
	ds_swizzle_b32 v2, v1 offset:swizzle(BROADCAST,32,15)
	v_cmp_eq_u32_e32 vcc_lo, 0, v80
	s_waitcnt lgkmcnt(0)
	v_add_nc_u32_e32 v2, v1, v2
	ds_swizzle_b32 v4, v3 offset:swizzle(BROADCAST,32,15)
	v_cndmask_b32_e32 v2, v2, v1, vcc_lo
	s_waitcnt lgkmcnt(0)
	v_add_nc_u32_e32 v4, v3, v4
	s_delay_alu instid0(VALU_DEP_1)
	v_cndmask_b32_e32 v1, v4, v3, vcc_lo
	v_cmpx_eq_u32_e64 v79, v0
	s_cbranch_execz .LBB1888_89
; %bb.88:
	v_lshlrev_b32_e32 v3, 3, v78
	ds_store_b64 v3, v[1:2]
.LBB1888_89:
	s_or_b32 exec_lo, exec_lo, s2
	s_delay_alu instid0(SALU_CYCLE_1)
	s_mov_b32 s2, exec_lo
	s_waitcnt lgkmcnt(0)
	s_barrier
	buffer_gl0_inv
	v_cmpx_gt_u32_e32 8, v0
	s_cbranch_execz .LBB1888_91
; %bb.90:
	v_lshlrev_b32_e32 v5, 3, v0
	ds_load_b64 v[3:4], v5
	s_waitcnt lgkmcnt(0)
	v_mov_b32_dpp v18, v3 row_shr:1 row_mask:0xf bank_mask:0xf
	v_mov_b32_dpp v19, v4 row_shr:1 row_mask:0xf bank_mask:0xf
	s_delay_alu instid0(VALU_DEP_2) | instskip(SKIP_1) | instid1(VALU_DEP_3)
	v_add_nc_u32_e32 v18, v18, v3
	v_and_b32_e32 v20, 7, v77
	v_add_nc_u32_e32 v19, v19, v4
	s_delay_alu instid0(VALU_DEP_2) | instskip(NEXT) | instid1(VALU_DEP_2)
	v_cmp_eq_u32_e32 vcc_lo, 0, v20
	v_dual_cndmask_b32 v4, v19, v4 :: v_dual_cndmask_b32 v3, v18, v3
	v_cmp_lt_u32_e32 vcc_lo, 1, v20
	s_delay_alu instid0(VALU_DEP_2) | instskip(NEXT) | instid1(VALU_DEP_3)
	v_mov_b32_dpp v19, v4 row_shr:2 row_mask:0xf bank_mask:0xf
	v_mov_b32_dpp v18, v3 row_shr:2 row_mask:0xf bank_mask:0xf
	s_delay_alu instid0(VALU_DEP_2) | instskip(NEXT) | instid1(VALU_DEP_2)
	v_add_nc_u32_e32 v19, v4, v19
	v_add_nc_u32_e32 v18, v3, v18
	s_delay_alu instid0(VALU_DEP_1) | instskip(SKIP_1) | instid1(VALU_DEP_2)
	v_dual_cndmask_b32 v4, v4, v19 :: v_dual_cndmask_b32 v3, v3, v18
	v_cmp_lt_u32_e32 vcc_lo, 3, v20
	v_mov_b32_dpp v19, v4 row_shr:4 row_mask:0xf bank_mask:0xf
	s_delay_alu instid0(VALU_DEP_3) | instskip(NEXT) | instid1(VALU_DEP_1)
	v_mov_b32_dpp v18, v3 row_shr:4 row_mask:0xf bank_mask:0xf
	v_dual_cndmask_b32 v19, 0, v19 :: v_dual_cndmask_b32 v18, 0, v18
	s_delay_alu instid0(VALU_DEP_1) | instskip(NEXT) | instid1(VALU_DEP_2)
	v_add_nc_u32_e32 v4, v19, v4
	v_add_nc_u32_e32 v3, v18, v3
	ds_store_b64 v5, v[3:4]
.LBB1888_91:
	s_or_b32 exec_lo, exec_lo, s2
	v_cmp_gt_u32_e32 vcc_lo, 32, v0
	v_cmp_lt_u32_e64 s2, 31, v0
	s_waitcnt lgkmcnt(0)
	s_barrier
	buffer_gl0_inv
                                        ; implicit-def: $vgpr19
	s_and_saveexec_b32 s6, s2
	s_delay_alu instid0(SALU_CYCLE_1)
	s_xor_b32 s2, exec_lo, s6
	s_cbranch_execz .LBB1888_93
; %bb.92:
	v_lshl_add_u32 v3, v78, 3, -8
	ds_load_b64 v[18:19], v3
	s_waitcnt lgkmcnt(0)
	v_add_nc_u32_e32 v2, v19, v2
	v_add_nc_u32_e32 v1, v18, v1
.LBB1888_93:
	s_and_not1_saveexec_b32 s2, s2
; %bb.94:
                                        ; implicit-def: $vgpr18
; %bb.95:
	s_delay_alu instid0(SALU_CYCLE_1) | instskip(SKIP_1) | instid1(VALU_DEP_1)
	s_or_b32 exec_lo, exec_lo, s2
	v_add_nc_u32_e32 v3, -1, v77
	v_cmp_gt_i32_e64 s2, 0, v3
	s_delay_alu instid0(VALU_DEP_1) | instskip(SKIP_1) | instid1(VALU_DEP_2)
	v_cndmask_b32_e64 v3, v3, v77, s2
	v_cmp_eq_u32_e64 s2, 0, v77
	v_lshlrev_b32_e32 v3, 2, v3
	ds_bpermute_b32 v84, v3, v1
	ds_bpermute_b32 v85, v3, v2
	s_and_saveexec_b32 s6, vcc_lo
	s_cbranch_execz .LBB1888_113
; %bb.96:
	v_mov_b32_e32 v4, 0
	ds_load_b64 v[1:2], v4 offset:56
	s_waitcnt lgkmcnt(0)
	v_readfirstlane_b32 s7, v2
	s_and_saveexec_b32 s8, s2
	s_cbranch_execz .LBB1888_98
; %bb.97:
	s_add_i32 s10, s15, 32
	s_mov_b32 s11, 0
	v_mov_b32_e32 v3, 1
	s_lshl_b64 s[12:13], s[10:11], 4
	s_mov_b32 s16, s11
	s_add_u32 s12, s4, s12
	s_addc_u32 s13, s5, s13
	s_and_b32 s17, s7, 0xff000000
	s_and_b32 s19, s7, 0xff0000
	s_mov_b32 s18, s11
	v_dual_mov_b32 v21, s13 :: v_dual_mov_b32 v20, s12
	s_or_b64 s[16:17], s[18:19], s[16:17]
	s_and_b32 s19, s7, 0xff00
	s_delay_alu instid0(SALU_CYCLE_1) | instskip(SKIP_1) | instid1(SALU_CYCLE_1)
	s_or_b64 s[16:17], s[16:17], s[18:19]
	s_and_b32 s19, s7, 0xff
	s_or_b64 s[10:11], s[16:17], s[18:19]
	s_delay_alu instid0(SALU_CYCLE_1)
	v_mov_b32_e32 v2, s11
	;;#ASMSTART
	global_store_dwordx4 v[20:21], v[1:4] off	
s_waitcnt vmcnt(0)
	;;#ASMEND
.LBB1888_98:
	s_or_b32 exec_lo, exec_lo, s8
	v_xad_u32 v20, v77, -1, s15
	s_mov_b32 s9, 0
	s_mov_b32 s8, exec_lo
	s_delay_alu instid0(VALU_DEP_1) | instskip(NEXT) | instid1(VALU_DEP_1)
	v_add_nc_u32_e32 v3, 32, v20
	v_lshlrev_b64 v[2:3], 4, v[3:4]
	s_delay_alu instid0(VALU_DEP_1) | instskip(NEXT) | instid1(VALU_DEP_2)
	v_add_co_u32 v21, vcc_lo, s4, v2
	v_add_co_ci_u32_e32 v22, vcc_lo, s5, v3, vcc_lo
	;;#ASMSTART
	global_load_dwordx4 v[2:5], v[21:22] off glc	
s_waitcnt vmcnt(0)
	;;#ASMEND
	v_and_b32_e32 v5, 0xff, v3
	v_and_b32_e32 v23, 0xff00, v3
	v_or3_b32 v2, v2, 0, 0
	v_and_b32_e32 v24, 0xff000000, v3
	v_and_b32_e32 v3, 0xff0000, v3
	s_delay_alu instid0(VALU_DEP_4) | instskip(SKIP_2) | instid1(VALU_DEP_3)
	v_or3_b32 v5, 0, v5, v23
	v_and_b32_e32 v23, 0xff, v4
	v_or3_b32 v2, v2, 0, 0
	v_or3_b32 v3, v5, v3, v24
	s_delay_alu instid0(VALU_DEP_3)
	v_cmpx_eq_u16_e32 0, v23
	s_cbranch_execz .LBB1888_101
.LBB1888_99:                            ; =>This Inner Loop Header: Depth=1
	;;#ASMSTART
	global_load_dwordx4 v[2:5], v[21:22] off glc	
s_waitcnt vmcnt(0)
	;;#ASMEND
	v_and_b32_e32 v5, 0xff, v4
	s_delay_alu instid0(VALU_DEP_1) | instskip(SKIP_1) | instid1(SALU_CYCLE_1)
	v_cmp_ne_u16_e32 vcc_lo, 0, v5
	s_or_b32 s9, vcc_lo, s9
	s_and_not1_b32 exec_lo, exec_lo, s9
	s_cbranch_execnz .LBB1888_99
; %bb.100:
	s_or_b32 exec_lo, exec_lo, s9
.LBB1888_101:
	s_delay_alu instid0(SALU_CYCLE_1)
	s_or_b32 exec_lo, exec_lo, s8
	v_cmp_ne_u32_e32 vcc_lo, 31, v77
	v_lshlrev_b32_e64 v87, v77, -1
	v_add_nc_u32_e32 v91, 4, v77
	v_add_nc_u32_e32 v93, 8, v77
	;; [unrolled: 1-line block ×3, first 2 shown]
	v_add_co_ci_u32_e32 v5, vcc_lo, 0, v77, vcc_lo
	s_delay_alu instid0(VALU_DEP_1)
	v_lshlrev_b32_e32 v86, 2, v5
	ds_bpermute_b32 v21, v86, v3
	ds_bpermute_b32 v5, v86, v2
	s_waitcnt lgkmcnt(1)
	v_add_nc_u32_e32 v21, v21, v3
	v_and_b32_e32 v22, 0xff, v4
	s_waitcnt lgkmcnt(0)
	v_add_nc_u32_e32 v5, v5, v2
	s_delay_alu instid0(VALU_DEP_2) | instskip(SKIP_2) | instid1(VALU_DEP_2)
	v_cmp_eq_u16_e32 vcc_lo, 2, v22
	v_and_or_b32 v22, vcc_lo, v87, 0x80000000
	v_cmp_gt_u32_e32 vcc_lo, 30, v77
	v_ctz_i32_b32_e32 v22, v22
	v_cndmask_b32_e64 v23, 0, 1, vcc_lo
	s_delay_alu instid0(VALU_DEP_2) | instskip(NEXT) | instid1(VALU_DEP_2)
	v_cmp_lt_u32_e32 vcc_lo, v77, v22
	v_dual_cndmask_b32 v2, v2, v5 :: v_dual_lshlrev_b32 v23, 1, v23
	s_delay_alu instid0(VALU_DEP_1)
	v_add_lshl_u32 v88, v23, v77, 2
	v_cndmask_b32_e32 v3, v3, v21, vcc_lo
	v_cmp_gt_u32_e32 vcc_lo, 28, v77
	ds_bpermute_b32 v5, v88, v2
	ds_bpermute_b32 v21, v88, v3
	v_cndmask_b32_e64 v23, 0, 1, vcc_lo
	s_waitcnt lgkmcnt(1)
	v_add_nc_u32_e32 v5, v2, v5
	v_add_nc_u32_e32 v89, 2, v77
	s_waitcnt lgkmcnt(0)
	v_add_nc_u32_e32 v21, v3, v21
	s_delay_alu instid0(VALU_DEP_2) | instskip(SKIP_1) | instid1(VALU_DEP_3)
	v_cmp_gt_u32_e32 vcc_lo, v89, v22
	v_dual_cndmask_b32 v2, v5, v2 :: v_dual_lshlrev_b32 v23, 2, v23
	v_cndmask_b32_e32 v3, v21, v3, vcc_lo
	v_cmp_gt_u32_e32 vcc_lo, 24, v77
	s_delay_alu instid0(VALU_DEP_3)
	v_add_lshl_u32 v90, v23, v77, 2
	v_cndmask_b32_e64 v23, 0, 1, vcc_lo
	v_cmp_gt_u32_e32 vcc_lo, v91, v22
	ds_bpermute_b32 v5, v90, v2
	ds_bpermute_b32 v21, v90, v3
	v_lshlrev_b32_e32 v23, 3, v23
	s_delay_alu instid0(VALU_DEP_1) | instskip(SKIP_3) | instid1(VALU_DEP_1)
	v_add_lshl_u32 v92, v23, v77, 2
	s_waitcnt lgkmcnt(1)
	v_add_nc_u32_e32 v5, v2, v5
	s_waitcnt lgkmcnt(0)
	v_dual_cndmask_b32 v2, v5, v2 :: v_dual_add_nc_u32 v21, v3, v21
	s_delay_alu instid0(VALU_DEP_1)
	v_cndmask_b32_e32 v3, v21, v3, vcc_lo
	v_cmp_gt_u32_e32 vcc_lo, 16, v77
	ds_bpermute_b32 v5, v92, v2
	ds_bpermute_b32 v21, v92, v3
	v_cndmask_b32_e64 v23, 0, 1, vcc_lo
	v_cmp_gt_u32_e32 vcc_lo, v93, v22
	s_delay_alu instid0(VALU_DEP_2) | instskip(NEXT) | instid1(VALU_DEP_1)
	v_lshlrev_b32_e32 v23, 4, v23
	v_add_lshl_u32 v94, v23, v77, 2
	s_waitcnt lgkmcnt(1)
	v_add_nc_u32_e32 v5, v2, v5
	s_waitcnt lgkmcnt(0)
	s_delay_alu instid0(VALU_DEP_1) | instskip(NEXT) | instid1(VALU_DEP_1)
	v_dual_cndmask_b32 v2, v5, v2 :: v_dual_add_nc_u32 v21, v3, v21
	v_cndmask_b32_e32 v3, v21, v3, vcc_lo
	v_cmp_le_u32_e32 vcc_lo, v95, v22
	ds_bpermute_b32 v5, v94, v2
	ds_bpermute_b32 v21, v94, v3
	s_waitcnt lgkmcnt(1)
	v_cndmask_b32_e32 v5, 0, v5, vcc_lo
	s_waitcnt lgkmcnt(0)
	s_delay_alu instid0(VALU_DEP_1) | instskip(NEXT) | instid1(VALU_DEP_1)
	v_dual_cndmask_b32 v21, 0, v21 :: v_dual_add_nc_u32 v2, v5, v2
	v_add_nc_u32_e32 v3, v21, v3
	v_mov_b32_e32 v21, 0
	s_branch .LBB1888_103
.LBB1888_102:                           ;   in Loop: Header=BB1888_103 Depth=1
	s_or_b32 exec_lo, exec_lo, s8
	ds_bpermute_b32 v5, v86, v2
	ds_bpermute_b32 v24, v86, v3
	v_subrev_nc_u32_e32 v20, 32, v20
	s_waitcnt lgkmcnt(1)
	v_add_nc_u32_e32 v5, v5, v2
	v_and_b32_e32 v25, 0xff, v4
	s_waitcnt lgkmcnt(0)
	v_add_nc_u32_e32 v24, v24, v3
	s_delay_alu instid0(VALU_DEP_2) | instskip(SKIP_1) | instid1(VALU_DEP_1)
	v_cmp_eq_u16_e32 vcc_lo, 2, v25
	v_and_or_b32 v25, vcc_lo, v87, 0x80000000
	v_ctz_i32_b32_e32 v25, v25
	s_delay_alu instid0(VALU_DEP_1)
	v_cmp_lt_u32_e32 vcc_lo, v77, v25
	v_cndmask_b32_e32 v2, v2, v5, vcc_lo
	ds_bpermute_b32 v5, v88, v2
	s_waitcnt lgkmcnt(0)
	v_add_nc_u32_e32 v5, v2, v5
	v_cndmask_b32_e32 v3, v3, v24, vcc_lo
	v_cmp_gt_u32_e32 vcc_lo, v89, v25
	s_delay_alu instid0(VALU_DEP_3)
	v_cndmask_b32_e32 v2, v5, v2, vcc_lo
	ds_bpermute_b32 v24, v88, v3
	ds_bpermute_b32 v5, v90, v2
	s_waitcnt lgkmcnt(1)
	v_add_nc_u32_e32 v24, v3, v24
	s_waitcnt lgkmcnt(0)
	v_add_nc_u32_e32 v5, v2, v5
	s_delay_alu instid0(VALU_DEP_2) | instskip(SKIP_1) | instid1(VALU_DEP_3)
	v_cndmask_b32_e32 v3, v24, v3, vcc_lo
	v_cmp_gt_u32_e32 vcc_lo, v91, v25
	v_cndmask_b32_e32 v2, v5, v2, vcc_lo
	ds_bpermute_b32 v24, v90, v3
	ds_bpermute_b32 v5, v92, v2
	s_waitcnt lgkmcnt(1)
	v_add_nc_u32_e32 v24, v3, v24
	s_waitcnt lgkmcnt(0)
	v_add_nc_u32_e32 v5, v2, v5
	s_delay_alu instid0(VALU_DEP_2) | instskip(SKIP_1) | instid1(VALU_DEP_3)
	v_cndmask_b32_e32 v3, v24, v3, vcc_lo
	v_cmp_gt_u32_e32 vcc_lo, v93, v25
	v_cndmask_b32_e32 v2, v5, v2, vcc_lo
	ds_bpermute_b32 v24, v92, v3
	ds_bpermute_b32 v5, v94, v2
	s_waitcnt lgkmcnt(1)
	v_add_nc_u32_e32 v24, v3, v24
	s_delay_alu instid0(VALU_DEP_1) | instskip(SKIP_4) | instid1(VALU_DEP_1)
	v_cndmask_b32_e32 v3, v24, v3, vcc_lo
	v_cmp_le_u32_e32 vcc_lo, v95, v25
	ds_bpermute_b32 v24, v94, v3
	s_waitcnt lgkmcnt(1)
	v_cndmask_b32_e32 v5, 0, v5, vcc_lo
	v_add3_u32 v2, v2, v22, v5
	s_waitcnt lgkmcnt(0)
	v_cndmask_b32_e32 v24, 0, v24, vcc_lo
	s_delay_alu instid0(VALU_DEP_1)
	v_add3_u32 v3, v3, v23, v24
.LBB1888_103:                           ; =>This Loop Header: Depth=1
                                        ;     Child Loop BB1888_106 Depth 2
	s_delay_alu instid0(VALU_DEP_1) | instskip(SKIP_1) | instid1(VALU_DEP_2)
	v_dual_mov_b32 v23, v3 :: v_dual_and_b32 v4, 0xff, v4
	v_mov_b32_e32 v22, v2
	v_cmp_ne_u16_e32 vcc_lo, 2, v4
	v_cndmask_b32_e64 v4, 0, 1, vcc_lo
	;;#ASMSTART
	;;#ASMEND
	s_delay_alu instid0(VALU_DEP_1)
	v_cmp_ne_u32_e32 vcc_lo, 0, v4
	s_cmp_lg_u32 vcc_lo, exec_lo
	s_cbranch_scc1 .LBB1888_108
; %bb.104:                              ;   in Loop: Header=BB1888_103 Depth=1
	v_lshlrev_b64 v[2:3], 4, v[20:21]
	s_mov_b32 s8, exec_lo
	s_delay_alu instid0(VALU_DEP_1) | instskip(NEXT) | instid1(VALU_DEP_2)
	v_add_co_u32 v24, vcc_lo, s4, v2
	v_add_co_ci_u32_e32 v25, vcc_lo, s5, v3, vcc_lo
	;;#ASMSTART
	global_load_dwordx4 v[2:5], v[24:25] off glc	
s_waitcnt vmcnt(0)
	;;#ASMEND
	v_and_b32_e32 v5, 0xff, v3
	v_and_b32_e32 v96, 0xff00, v3
	v_or3_b32 v2, v2, 0, 0
	v_and_b32_e32 v97, 0xff000000, v3
	v_and_b32_e32 v3, 0xff0000, v3
	s_delay_alu instid0(VALU_DEP_4) | instskip(SKIP_2) | instid1(VALU_DEP_3)
	v_or3_b32 v5, 0, v5, v96
	v_and_b32_e32 v96, 0xff, v4
	v_or3_b32 v2, v2, 0, 0
	v_or3_b32 v3, v5, v3, v97
	s_delay_alu instid0(VALU_DEP_3)
	v_cmpx_eq_u16_e32 0, v96
	s_cbranch_execz .LBB1888_102
; %bb.105:                              ;   in Loop: Header=BB1888_103 Depth=1
	s_mov_b32 s9, 0
.LBB1888_106:                           ;   Parent Loop BB1888_103 Depth=1
                                        ; =>  This Inner Loop Header: Depth=2
	;;#ASMSTART
	global_load_dwordx4 v[2:5], v[24:25] off glc	
s_waitcnt vmcnt(0)
	;;#ASMEND
	v_and_b32_e32 v5, 0xff, v4
	s_delay_alu instid0(VALU_DEP_1) | instskip(SKIP_1) | instid1(SALU_CYCLE_1)
	v_cmp_ne_u16_e32 vcc_lo, 0, v5
	s_or_b32 s9, vcc_lo, s9
	s_and_not1_b32 exec_lo, exec_lo, s9
	s_cbranch_execnz .LBB1888_106
; %bb.107:                              ;   in Loop: Header=BB1888_103 Depth=1
	s_or_b32 exec_lo, exec_lo, s9
	s_branch .LBB1888_102
.LBB1888_108:                           ;   in Loop: Header=BB1888_103 Depth=1
                                        ; implicit-def: $vgpr4
                                        ; implicit-def: $vgpr2_vgpr3
	s_cbranch_execz .LBB1888_103
; %bb.109:
	s_and_saveexec_b32 s8, s2
	s_cbranch_execnz .LBB1888_352
; %bb.110:
	s_or_b32 exec_lo, exec_lo, s8
	s_and_saveexec_b32 s8, s2
	s_cbranch_execnz .LBB1888_353
.LBB1888_111:
	s_or_b32 exec_lo, exec_lo, s8
	v_cmp_eq_u32_e32 vcc_lo, 0, v0
	s_and_b32 exec_lo, exec_lo, vcc_lo
	s_cbranch_execz .LBB1888_113
.LBB1888_112:
	v_mov_b32_e32 v1, 0
	ds_store_b64 v1, v[22:23] offset:56
.LBB1888_113:
	s_or_b32 exec_lo, exec_lo, s6
	v_cmp_eq_u32_e32 vcc_lo, 0, v0
	v_mov_b32_e32 v1, 0
	s_waitcnt lgkmcnt(0)
	s_barrier
	buffer_gl0_inv
	v_add_nc_u32_e64 v3, 0x3400, 0
	ds_load_b64 v[20:21], v1 offset:56
	s_waitcnt lgkmcnt(0)
	s_barrier
	buffer_gl0_inv
	ds_load_2addr_b32 v[1:2], v3 offset1:2
	ds_load_2addr_b32 v[3:4], v3 offset0:4 offset1:6
	v_cndmask_b32_e64 v5, v84, v18, s2
	v_cndmask_b32_e64 v18, v85, v19, s2
	s_delay_alu instid0(VALU_DEP_2) | instskip(NEXT) | instid1(VALU_DEP_1)
	v_add_nc_u32_e32 v19, v20, v5
	v_dual_cndmask_b32 v20, v19, v20 :: v_dual_add_nc_u32 v5, v21, v18
	s_delay_alu instid0(VALU_DEP_1)
	v_cndmask_b32_e32 v5, v5, v21, vcc_lo
	s_branch .LBB1888_124
.LBB1888_114:
                                        ; implicit-def: $vgpr5
                                        ; implicit-def: $vgpr3
                                        ; implicit-def: $vgpr1
                                        ; implicit-def: $vgpr20_vgpr21
	s_and_b32 vcc_lo, exec_lo, s6
	s_cbranch_vccz .LBB1888_124
; %bb.115:
	s_waitcnt lgkmcnt(0)
	v_mov_b32_dpp v2, v83 row_shr:1 row_mask:0xf bank_mask:0xf
	v_cmp_lt_u32_e32 vcc_lo, 3, v81
	v_mov_b32_dpp v1, v82 row_shr:1 row_mask:0xf bank_mask:0xf
	s_delay_alu instid0(VALU_DEP_3) | instskip(NEXT) | instid1(VALU_DEP_1)
	v_add_nc_u32_e32 v2, v2, v83
	v_cndmask_b32_e64 v2, v2, v83, s1
	s_delay_alu instid0(VALU_DEP_1) | instskip(NEXT) | instid1(VALU_DEP_1)
	v_mov_b32_dpp v4, v2 row_shr:2 row_mask:0xf bank_mask:0xf
	v_add_nc_u32_e32 v4, v2, v4
	s_delay_alu instid0(VALU_DEP_1) | instskip(NEXT) | instid1(VALU_DEP_1)
	v_cndmask_b32_e64 v2, v2, v4, s0
	v_mov_b32_dpp v4, v2 row_shr:4 row_mask:0xf bank_mask:0xf
	s_delay_alu instid0(VALU_DEP_1) | instskip(NEXT) | instid1(VALU_DEP_1)
	v_add_nc_u32_e32 v4, v2, v4
	v_dual_cndmask_b32 v2, v2, v4 :: v_dual_add_nc_u32 v1, v1, v82
	s_delay_alu instid0(VALU_DEP_1) | instskip(NEXT) | instid1(VALU_DEP_2)
	v_cndmask_b32_e64 v1, v1, v82, s1
	v_mov_b32_dpp v4, v2 row_shr:8 row_mask:0xf bank_mask:0xf
	s_delay_alu instid0(VALU_DEP_2) | instskip(NEXT) | instid1(VALU_DEP_2)
	v_mov_b32_dpp v3, v1 row_shr:2 row_mask:0xf bank_mask:0xf
	v_add_nc_u32_e32 v4, v2, v4
	s_delay_alu instid0(VALU_DEP_2) | instskip(NEXT) | instid1(VALU_DEP_1)
	v_add_nc_u32_e32 v3, v1, v3
	v_cndmask_b32_e64 v1, v1, v3, s0
	s_mov_b32 s0, exec_lo
	s_delay_alu instid0(VALU_DEP_1) | instskip(NEXT) | instid1(VALU_DEP_1)
	v_mov_b32_dpp v3, v1 row_shr:4 row_mask:0xf bank_mask:0xf
	v_add_nc_u32_e32 v3, v1, v3
	s_delay_alu instid0(VALU_DEP_1) | instskip(SKIP_1) | instid1(VALU_DEP_2)
	v_cndmask_b32_e32 v1, v1, v3, vcc_lo
	v_cmp_lt_u32_e32 vcc_lo, 7, v81
	v_mov_b32_dpp v3, v1 row_shr:8 row_mask:0xf bank_mask:0xf
	s_delay_alu instid0(VALU_DEP_1) | instskip(NEXT) | instid1(VALU_DEP_1)
	v_dual_cndmask_b32 v2, v2, v4 :: v_dual_add_nc_u32 v3, v1, v3
	v_cndmask_b32_e32 v1, v1, v3, vcc_lo
	ds_swizzle_b32 v3, v2 offset:swizzle(BROADCAST,32,15)
	v_cmp_eq_u32_e32 vcc_lo, 0, v80
	ds_swizzle_b32 v4, v1 offset:swizzle(BROADCAST,32,15)
	s_waitcnt lgkmcnt(1)
	v_add_nc_u32_e32 v3, v2, v3
	s_waitcnt lgkmcnt(0)
	v_add_nc_u32_e32 v4, v1, v4
	s_delay_alu instid0(VALU_DEP_1)
	v_dual_cndmask_b32 v2, v3, v2 :: v_dual_cndmask_b32 v1, v4, v1
	v_cmpx_eq_u32_e64 v79, v0
	s_cbranch_execz .LBB1888_117
; %bb.116:
	v_lshlrev_b32_e32 v3, 3, v78
	ds_store_b64 v3, v[1:2]
.LBB1888_117:
	s_or_b32 exec_lo, exec_lo, s0
	s_delay_alu instid0(SALU_CYCLE_1)
	s_mov_b32 s0, exec_lo
	s_waitcnt lgkmcnt(0)
	s_barrier
	buffer_gl0_inv
	v_cmpx_gt_u32_e32 8, v0
	s_cbranch_execz .LBB1888_119
; %bb.118:
	v_lshlrev_b32_e32 v5, 3, v0
	ds_load_b64 v[3:4], v5
	s_waitcnt lgkmcnt(0)
	v_mov_b32_dpp v18, v3 row_shr:1 row_mask:0xf bank_mask:0xf
	v_mov_b32_dpp v19, v4 row_shr:1 row_mask:0xf bank_mask:0xf
	s_delay_alu instid0(VALU_DEP_2) | instskip(SKIP_1) | instid1(VALU_DEP_3)
	v_add_nc_u32_e32 v18, v18, v3
	v_and_b32_e32 v20, 7, v77
	v_add_nc_u32_e32 v19, v19, v4
	s_delay_alu instid0(VALU_DEP_2) | instskip(NEXT) | instid1(VALU_DEP_2)
	v_cmp_eq_u32_e32 vcc_lo, 0, v20
	v_dual_cndmask_b32 v4, v19, v4 :: v_dual_cndmask_b32 v3, v18, v3
	v_cmp_lt_u32_e32 vcc_lo, 1, v20
	s_delay_alu instid0(VALU_DEP_2) | instskip(NEXT) | instid1(VALU_DEP_3)
	v_mov_b32_dpp v19, v4 row_shr:2 row_mask:0xf bank_mask:0xf
	v_mov_b32_dpp v18, v3 row_shr:2 row_mask:0xf bank_mask:0xf
	s_delay_alu instid0(VALU_DEP_2) | instskip(NEXT) | instid1(VALU_DEP_2)
	v_add_nc_u32_e32 v19, v4, v19
	v_add_nc_u32_e32 v18, v3, v18
	s_delay_alu instid0(VALU_DEP_1) | instskip(SKIP_1) | instid1(VALU_DEP_2)
	v_dual_cndmask_b32 v4, v4, v19 :: v_dual_cndmask_b32 v3, v3, v18
	v_cmp_lt_u32_e32 vcc_lo, 3, v20
	v_mov_b32_dpp v19, v4 row_shr:4 row_mask:0xf bank_mask:0xf
	s_delay_alu instid0(VALU_DEP_3) | instskip(NEXT) | instid1(VALU_DEP_1)
	v_mov_b32_dpp v18, v3 row_shr:4 row_mask:0xf bank_mask:0xf
	v_dual_cndmask_b32 v19, 0, v19 :: v_dual_cndmask_b32 v18, 0, v18
	s_delay_alu instid0(VALU_DEP_1) | instskip(NEXT) | instid1(VALU_DEP_2)
	v_add_nc_u32_e32 v4, v19, v4
	v_add_nc_u32_e32 v3, v18, v3
	ds_store_b64 v5, v[3:4]
.LBB1888_119:
	s_or_b32 exec_lo, exec_lo, s0
	v_dual_mov_b32 v3, 0 :: v_dual_mov_b32 v18, 0
	v_mov_b32_e32 v19, 0
	s_mov_b32 s0, exec_lo
	s_waitcnt lgkmcnt(0)
	s_barrier
	buffer_gl0_inv
	v_cmpx_lt_u32_e32 31, v0
	s_cbranch_execz .LBB1888_121
; %bb.120:
	v_lshl_add_u32 v4, v78, 3, -8
	ds_load_b64 v[18:19], v4
.LBB1888_121:
	s_or_b32 exec_lo, exec_lo, s0
	v_add_nc_u32_e32 v4, -1, v77
	s_waitcnt lgkmcnt(0)
	v_add_nc_u32_e32 v20, v19, v2
	v_add_nc_u32_e32 v5, v18, v1
	ds_load_b64 v[1:2], v3 offset:56
	v_cmp_gt_i32_e32 vcc_lo, 0, v4
	v_cndmask_b32_e32 v4, v4, v77, vcc_lo
	v_cmp_eq_u32_e32 vcc_lo, 0, v0
	s_delay_alu instid0(VALU_DEP_2)
	v_lshlrev_b32_e32 v4, 2, v4
	ds_bpermute_b32 v5, v4, v5
	ds_bpermute_b32 v20, v4, v20
	s_waitcnt lgkmcnt(2)
	v_readfirstlane_b32 s1, v2
	s_and_saveexec_b32 s0, vcc_lo
	s_cbranch_execz .LBB1888_123
; %bb.122:
	s_mov_b32 s6, 0
	s_add_u32 s4, s4, 0x200
	s_addc_u32 s5, s5, 0
	s_and_b32 s7, s1, 0xff000000
	s_and_b32 s9, s1, 0xff0000
	s_mov_b32 s8, s6
	v_mov_b32_e32 v22, s5
	s_or_b64 s[8:9], s[8:9], s[6:7]
	s_and_b32 s7, s1, 0xff00
	v_dual_mov_b32 v4, 0 :: v_dual_mov_b32 v21, s4
	s_or_b64 s[8:9], s[8:9], s[6:7]
	s_and_b32 s7, s1, 0xff
	v_mov_b32_e32 v3, 2
	s_or_b64 s[6:7], s[8:9], s[6:7]
	s_delay_alu instid0(SALU_CYCLE_1)
	v_mov_b32_e32 v2, s7
	;;#ASMSTART
	global_store_dwordx4 v[21:22], v[1:4] off	
s_waitcnt vmcnt(0)
	;;#ASMEND
.LBB1888_123:
	s_or_b32 exec_lo, exec_lo, s0
	v_cmp_eq_u32_e64 s0, 0, v77
	v_dual_mov_b32 v3, 0 :: v_dual_mov_b32 v2, s1
	s_waitcnt lgkmcnt(0)
	s_barrier
	s_delay_alu instid0(VALU_DEP_2)
	v_cndmask_b32_e64 v4, v5, v18, s0
	v_cndmask_b32_e64 v5, v20, v19, s0
	buffer_gl0_inv
	v_cndmask_b32_e64 v20, v4, 0, vcc_lo
	v_cndmask_b32_e64 v5, v5, 0, vcc_lo
	v_mov_b32_e32 v4, 0
.LBB1888_124:
	v_and_b32_e32 v30, 1, v30
	v_and_b32_e32 v34, 1, v34
	;; [unrolled: 1-line block ×4, first 2 shown]
	s_waitcnt lgkmcnt(0)
	v_add_co_u32 v18, s0, s28, v3
	v_cmp_eq_u32_e32 vcc_lo, 1, v30
	v_add_nc_u32_e32 v22, v5, v76
	v_sub_nc_u32_e32 v5, v5, v4
	v_add_co_ci_u32_e64 v19, null, s29, 0, s0
	s_mov_b32 s2, -1
	s_delay_alu instid0(VALU_DEP_3) | instskip(SKIP_3) | instid1(VALU_DEP_3)
	v_add_nc_u32_e32 v24, v22, v72
	v_sub_nc_u32_e32 v22, v22, v4
	v_add_nc_u32_e32 v5, v5, v1
	v_sub_co_u32 v72, s0, s30, v1
	v_add_nc_u32_e32 v22, v22, v1
	v_add_nc_u32_e32 v21, v20, v75
	v_sub_nc_u32_e32 v20, v20, v3
	s_delay_alu instid0(VALU_DEP_2)
	v_add_nc_u32_e32 v23, v21, v71
	v_add_nc_u32_e32 v71, v24, v74
	v_lshlrev_b32_e32 v74, 1, v1
	v_sub_nc_u32_e32 v21, v21, v3
	v_add_nc_u32_e32 v75, v20, v5
	v_sub_nc_u32_e32 v24, v24, v4
	s_delay_alu instid0(VALU_DEP_4) | instskip(NEXT) | instid1(VALU_DEP_4)
	v_add3_u32 v28, v74, v2, v28
	v_add_nc_u32_e32 v76, v22, v21
	s_delay_alu instid0(VALU_DEP_3) | instskip(NEXT) | instid1(VALU_DEP_3)
	v_add_nc_u32_e32 v24, v24, v1
	v_sub_nc_u32_e32 v75, v28, v75
	s_delay_alu instid0(VALU_DEP_3) | instskip(NEXT) | instid1(VALU_DEP_1)
	v_sub_nc_u32_e32 v76, v28, v76
	v_dual_cndmask_b32 v5, v75, v5 :: v_dual_add_nc_u32 v30, 1, v76
	v_cmp_eq_u32_e32 vcc_lo, 1, v34
	s_delay_alu instid0(VALU_DEP_2) | instskip(SKIP_1) | instid1(VALU_DEP_4)
	v_cndmask_b32_e32 v22, v30, v22, vcc_lo
	v_cmp_eq_u32_e32 vcc_lo, 1, v29
	v_cndmask_b32_e32 v5, v5, v20, vcc_lo
	v_and_b32_e32 v20, 1, v36
	v_cmp_eq_u32_e32 vcc_lo, 1, v33
	s_delay_alu instid0(VALU_DEP_3) | instskip(SKIP_1) | instid1(VALU_DEP_4)
	v_lshlrev_b32_e32 v5, 2, v5
	v_cndmask_b32_e32 v21, v22, v21, vcc_lo
	v_cmp_eq_u32_e32 vcc_lo, 1, v20
	v_add_nc_u32_e32 v25, v23, v73
	v_sub_nc_u32_e32 v23, v23, v3
	v_and_b32_e32 v22, 1, v31
	v_sub_co_ci_u32_e64 v73, null, s31, 0, s0
	v_and_b32_e32 v31, 1, v32
	s_delay_alu instid0(VALU_DEP_4) | instskip(NEXT) | instid1(VALU_DEP_1)
	v_add_nc_u32_e32 v77, v24, v23
	v_sub_nc_u32_e32 v75, v28, v77
	s_delay_alu instid0(VALU_DEP_1) | instskip(NEXT) | instid1(VALU_DEP_1)
	v_add_nc_u32_e32 v29, 2, v75
	v_cndmask_b32_e32 v20, v29, v24, vcc_lo
	v_sub_nc_u32_e32 v24, v71, v4
	v_cmp_eq_u32_e32 vcc_lo, 1, v22
	v_add_nc_u32_e32 v69, v25, v69
	v_lshlrev_b32_e32 v29, 2, v21
	ds_store_b32 v5, v16
	ds_store_b32 v29, v17
	v_cndmask_b32_e32 v22, v20, v23, vcc_lo
	v_sub_nc_u32_e32 v23, v25, v3
	v_add_nc_u32_e32 v24, v24, v1
	v_add_co_u32 v20, vcc_lo, v72, v4
	s_delay_alu instid0(VALU_DEP_4) | instskip(SKIP_1) | instid1(VALU_DEP_4)
	v_lshlrev_b32_e32 v5, 2, v22
	v_and_b32_e32 v22, 1, v35
	v_add_nc_u32_e32 v25, v23, v24
	v_add_co_ci_u32_e32 v21, vcc_lo, 0, v73, vcc_lo
	ds_store_b32 v5, v14
	v_cmp_eq_u32_e32 vcc_lo, 1, v22
	v_sub_nc_u32_e32 v17, v28, v25
	v_sub_nc_u32_e32 v29, v69, v3
	v_add_nc_u32_e32 v67, v69, v67
	s_delay_alu instid0(VALU_DEP_3) | instskip(NEXT) | instid1(VALU_DEP_2)
	v_add_nc_u32_e32 v17, 3, v17
	v_sub_nc_u32_e32 v30, v67, v3
	s_delay_alu instid0(VALU_DEP_2) | instskip(SKIP_2) | instid1(VALU_DEP_3)
	v_cndmask_b32_e32 v17, v17, v24, vcc_lo
	v_cmp_eq_u32_e32 vcc_lo, 1, v31
	v_and_b32_e32 v24, 1, v39
	v_cndmask_b32_e32 v14, v17, v23, vcc_lo
	v_add_nc_u32_e32 v70, v71, v70
	v_and_b32_e32 v23, 1, v38
	s_delay_alu instid0(VALU_DEP_3) | instskip(NEXT) | instid1(VALU_DEP_3)
	v_lshlrev_b32_e32 v14, 2, v14
	v_add_nc_u32_e32 v68, v70, v68
	v_sub_nc_u32_e32 v16, v70, v4
	ds_store_b32 v14, v15
	v_sub_nc_u32_e32 v25, v68, v4
	v_add_nc_u32_e32 v16, v16, v1
	s_delay_alu instid0(VALU_DEP_2) | instskip(NEXT) | instid1(VALU_DEP_2)
	v_add_nc_u32_e32 v25, v25, v1
	v_add_nc_u32_e32 v32, v29, v16
	s_delay_alu instid0(VALU_DEP_2) | instskip(NEXT) | instid1(VALU_DEP_2)
	v_add_nc_u32_e32 v22, v30, v25
	v_sub_nc_u32_e32 v5, v28, v32
	s_delay_alu instid0(VALU_DEP_2) | instskip(SKIP_1) | instid1(VALU_DEP_3)
	v_sub_nc_u32_e32 v17, v28, v22
	v_and_b32_e32 v22, 1, v37
	v_add_nc_u32_e32 v5, 4, v5
	s_delay_alu instid0(VALU_DEP_3) | instskip(NEXT) | instid1(VALU_DEP_3)
	v_add_nc_u32_e32 v17, 5, v17
	v_cmp_eq_u32_e32 vcc_lo, 1, v22
	s_delay_alu instid0(VALU_DEP_3)
	v_cndmask_b32_e32 v5, v5, v16, vcc_lo
	v_cmp_eq_u32_e32 vcc_lo, 1, v24
	v_and_b32_e32 v16, 1, v41
	v_cndmask_b32_e32 v17, v17, v25, vcc_lo
	v_cmp_eq_u32_e32 vcc_lo, 1, v23
	v_cndmask_b32_e32 v5, v5, v29, vcc_lo
	s_delay_alu instid0(VALU_DEP_4) | instskip(SKIP_1) | instid1(VALU_DEP_3)
	v_cmp_eq_u32_e32 vcc_lo, 1, v16
	v_add_nc_u32_e32 v66, v68, v66
	v_dual_cndmask_b32 v16, v17, v30 :: v_dual_lshlrev_b32 v5, 2, v5
	s_delay_alu instid0(VALU_DEP_2) | instskip(SKIP_1) | instid1(VALU_DEP_3)
	v_sub_nc_u32_e32 v22, v66, v4
	v_add_nc_u32_e32 v62, v66, v62
	v_lshlrev_b32_e32 v16, 2, v16
	ds_store_b32 v5, v12
	ds_store_b32 v16, v13
	v_and_b32_e32 v12, 1, v40
	v_add_nc_u32_e32 v22, v22, v1
	v_add_nc_u32_e32 v64, v62, v64
	v_sub_nc_u32_e32 v17, v62, v4
	v_and_b32_e32 v16, 1, v43
	v_cmp_eq_u32_e32 vcc_lo, 1, v12
	v_add_nc_u32_e32 v65, v67, v65
	v_sub_nc_u32_e32 v15, v64, v4
	v_add_nc_u32_e32 v17, v17, v1
	s_delay_alu instid0(VALU_DEP_3) | instskip(NEXT) | instid1(VALU_DEP_3)
	v_sub_nc_u32_e32 v23, v65, v3
	v_add_nc_u32_e32 v15, v15, v1
	s_delay_alu instid0(VALU_DEP_2) | instskip(NEXT) | instid1(VALU_DEP_1)
	v_add_nc_u32_e32 v24, v23, v22
	v_sub_nc_u32_e32 v14, v28, v24
	v_and_b32_e32 v24, 1, v48
	s_delay_alu instid0(VALU_DEP_2) | instskip(SKIP_1) | instid1(VALU_DEP_2)
	v_add_nc_u32_e32 v13, 6, v14
	v_and_b32_e32 v14, 1, v42
	v_cndmask_b32_e32 v12, v13, v22, vcc_lo
	v_add_nc_u32_e32 v61, v65, v61
	s_delay_alu instid0(VALU_DEP_3) | instskip(SKIP_1) | instid1(VALU_DEP_3)
	v_cmp_eq_u32_e32 vcc_lo, 1, v14
	v_and_b32_e32 v22, 1, v44
	v_sub_nc_u32_e32 v25, v61, v3
	v_add_nc_u32_e32 v63, v61, v63
	v_cndmask_b32_e32 v12, v12, v23, vcc_lo
	v_cmp_eq_u32_e32 vcc_lo, 1, v16
	v_and_b32_e32 v23, 1, v46
	v_add_nc_u32_e32 v5, v25, v17
	v_sub_nc_u32_e32 v13, v63, v3
	v_lshlrev_b32_e32 v12, 2, v12
	v_add_nc_u32_e32 v59, v63, v59
	s_delay_alu instid0(VALU_DEP_4) | instskip(NEXT) | instid1(VALU_DEP_4)
	v_sub_nc_u32_e32 v5, v28, v5
	v_add_nc_u32_e32 v14, v13, v15
	s_delay_alu instid0(VALU_DEP_3) | instskip(NEXT) | instid1(VALU_DEP_3)
	v_add_nc_u32_e32 v57, v59, v57
	v_add_nc_u32_e32 v5, 7, v5
	s_delay_alu instid0(VALU_DEP_3) | instskip(NEXT) | instid1(VALU_DEP_3)
	v_sub_nc_u32_e32 v14, v28, v14
	v_add_nc_u32_e32 v55, v57, v55
	s_delay_alu instid0(VALU_DEP_3)
	v_cndmask_b32_e32 v5, v5, v17, vcc_lo
	v_cmp_eq_u32_e32 vcc_lo, 1, v22
	v_and_b32_e32 v17, 1, v45
	v_add_nc_u32_e32 v14, 8, v14
	v_sub_nc_u32_e32 v22, v59, v3
	v_add_nc_u32_e32 v53, v55, v53
	v_cndmask_b32_e32 v5, v5, v25, vcc_lo
	v_cmp_eq_u32_e32 vcc_lo, 1, v17
	v_sub_nc_u32_e32 v17, v55, v3
	v_and_b32_e32 v25, 1, v52
	s_delay_alu instid0(VALU_DEP_4)
	v_dual_cndmask_b32 v14, v14, v15 :: v_dual_lshlrev_b32 v5, 2, v5
	v_cmp_eq_u32_e32 vcc_lo, 1, v23
	v_add_nc_u32_e32 v60, v64, v60
	ds_store_b32 v12, v10
	ds_store_b32 v5, v11
	v_and_b32_e32 v11, 1, v49
	v_cndmask_b32_e32 v5, v14, v13, vcc_lo
	v_sub_nc_u32_e32 v16, v60, v4
	v_add_nc_u32_e32 v58, v60, v58
	v_and_b32_e32 v13, 1, v47
	s_delay_alu instid0(VALU_DEP_4) | instskip(NEXT) | instid1(VALU_DEP_4)
	v_lshlrev_b32_e32 v5, 2, v5
	v_add_nc_u32_e32 v16, v16, v1
	s_delay_alu instid0(VALU_DEP_4) | instskip(SKIP_2) | instid1(VALU_DEP_4)
	v_add_nc_u32_e32 v56, v58, v56
	v_sub_nc_u32_e32 v12, v58, v4
	v_cmp_eq_u32_e32 vcc_lo, 1, v13
	v_add_nc_u32_e32 v15, v22, v16
	s_delay_alu instid0(VALU_DEP_4) | instskip(NEXT) | instid1(VALU_DEP_4)
	v_sub_nc_u32_e32 v14, v56, v4
	v_add_nc_u32_e32 v12, v12, v1
	v_add_nc_u32_e32 v54, v56, v54
	s_delay_alu instid0(VALU_DEP_4) | instskip(SKIP_2) | instid1(VALU_DEP_4)
	v_sub_nc_u32_e32 v10, v28, v15
	v_sub_nc_u32_e32 v15, v57, v3
	v_add_nc_u32_e32 v14, v14, v1
	v_sub_nc_u32_e32 v23, v54, v4
	v_sub_nc_u32_e32 v3, v53, v3
	v_add_nc_u32_e32 v10, 9, v10
	v_add_nc_u32_e32 v13, v15, v12
	s_delay_alu instid0(VALU_DEP_2) | instskip(SKIP_2) | instid1(VALU_DEP_4)
	v_dual_cndmask_b32 v10, v10, v16 :: v_dual_add_nc_u32 v23, v23, v1
	v_add_nc_u32_e32 v16, v17, v14
	v_cmp_eq_u32_e32 vcc_lo, 1, v11
	v_sub_nc_u32_e32 v11, v28, v13
	v_and_b32_e32 v13, 1, v50
	s_delay_alu instid0(VALU_DEP_4) | instskip(NEXT) | instid1(VALU_DEP_3)
	v_sub_nc_u32_e32 v16, v28, v16
	v_dual_cndmask_b32 v10, v10, v22 :: v_dual_add_nc_u32 v11, 10, v11
	v_cmp_eq_u32_e32 vcc_lo, 1, v24
	v_add_nc_u32_e32 v22, v3, v23
	s_delay_alu instid0(VALU_DEP_4) | instskip(NEXT) | instid1(VALU_DEP_4)
	v_add_nc_u32_e32 v16, 11, v16
	v_dual_cndmask_b32 v11, v11, v12 :: v_dual_lshlrev_b32 v10, 2, v10
	v_cmp_eq_u32_e32 vcc_lo, 1, v25
	s_delay_alu instid0(VALU_DEP_4) | instskip(SKIP_3) | instid1(VALU_DEP_4)
	v_sub_nc_u32_e32 v22, v28, v22
	v_and_b32_e32 v12, 1, v51
	v_cndmask_b32_e32 v14, v16, v14, vcc_lo
	v_cmp_eq_u32_e32 vcc_lo, 1, v13
	v_dual_cndmask_b32 v11, v11, v15 :: v_dual_add_nc_u32 v16, 12, v22
	s_delay_alu instid0(VALU_DEP_4) | instskip(NEXT) | instid1(VALU_DEP_2)
	v_cmp_eq_u32_e32 vcc_lo, 1, v12
	v_cndmask_b32_e64 v13, v16, v23, s43
	s_delay_alu instid0(VALU_DEP_3) | instskip(NEXT) | instid1(VALU_DEP_2)
	v_dual_cndmask_b32 v12, v14, v17 :: v_dual_lshlrev_b32 v11, 2, v11
	v_cndmask_b32_e64 v3, v13, v3, s42
	s_delay_alu instid0(VALU_DEP_2)
	v_lshlrev_b32_e32 v12, 2, v12
	ds_store_b32 v5, v8
	ds_store_b32 v10, v9
	;; [unrolled: 1-line block ×4, first 2 shown]
	v_lshlrev_b32_e32 v3, 2, v3
	v_add_co_u32 v5, s0, v2, v74
	s_delay_alu instid0(VALU_DEP_1) | instskip(SKIP_4) | instid1(VALU_DEP_2)
	v_add_co_ci_u32_e64 v6, null, 0, 0, s0
	ds_store_b32 v3, v27
	v_add_co_u32 v3, vcc_lo, v5, v20
	v_add_co_ci_u32_e32 v5, vcc_lo, v6, v21, vcc_lo
	s_add_u32 s0, s34, s33
	v_add_co_u32 v3, vcc_lo, v3, v18
	s_delay_alu instid0(VALU_DEP_2) | instskip(SKIP_1) | instid1(VALU_DEP_2)
	v_add_co_ci_u32_e32 v5, vcc_lo, v5, v19, vcc_lo
	s_addc_u32 s1, s35, 0
	v_sub_co_u32 v3, vcc_lo, s0, v3
	s_delay_alu instid0(VALU_DEP_2)
	v_sub_co_ci_u32_e32 v9, vcc_lo, s1, v5, vcc_lo
	v_lshlrev_b64 v[5:6], 2, v[20:21]
	v_lshlrev_b64 v[7:8], 2, v[18:19]
	v_add_nc_u32_e32 v10, v1, v2
	s_add_u32 s1, s26, -4
	s_waitcnt lgkmcnt(0)
	s_barrier
	v_add_co_u32 v5, vcc_lo, s38, v5
	v_add_co_ci_u32_e32 v6, vcc_lo, s39, v6, vcc_lo
	v_cmp_ne_u32_e32 vcc_lo, 1, v26
	v_add_co_u32 v7, s0, s36, v7
	s_delay_alu instid0(VALU_DEP_1)
	v_add_co_ci_u32_e64 v8, s0, s37, v8, s0
	s_addc_u32 s0, s27, -1
	buffer_gl0_inv
	s_cbranch_vccz .LBB1888_128
; %bb.125:
	s_and_b32 vcc_lo, exec_lo, s2
	s_cbranch_vccnz .LBB1888_233
.LBB1888_126:
	v_cmp_eq_u32_e32 vcc_lo, 0, v0
	s_and_b32 s0, vcc_lo, s14
	s_delay_alu instid0(SALU_CYCLE_1)
	s_and_saveexec_b32 s1, s0
	s_cbranch_execnz .LBB1888_351
.LBB1888_127:
	s_nop 0
	s_sendmsg sendmsg(MSG_DEALLOC_VGPRS)
	s_endpgm
.LBB1888_128:
	s_mov_b32 s2, exec_lo
	v_cmpx_le_u32_e64 v1, v0
	s_xor_b32 s2, exec_lo, s2
	s_cbranch_execz .LBB1888_134
; %bb.129:
	s_mov_b32 s4, exec_lo
	v_cmpx_le_u32_e64 v10, v0
	s_xor_b32 s4, exec_lo, s4
	s_cbranch_execz .LBB1888_131
; %bb.130:
	v_lshlrev_b32_e32 v11, 2, v0
	ds_load_b32 v13, v11
	v_add_co_u32 v11, vcc_lo, v3, v0
	v_add_co_ci_u32_e32 v12, vcc_lo, 0, v9, vcc_lo
	s_delay_alu instid0(VALU_DEP_1) | instskip(NEXT) | instid1(VALU_DEP_1)
	v_lshlrev_b64 v[11:12], 2, v[11:12]
	v_sub_co_u32 v11, vcc_lo, s26, v11
	s_delay_alu instid0(VALU_DEP_2)
	v_sub_co_ci_u32_e32 v12, vcc_lo, s27, v12, vcc_lo
	s_waitcnt lgkmcnt(0)
	global_store_b32 v[11:12], v13, off offset:-4
.LBB1888_131:
	s_and_not1_saveexec_b32 s4, s4
	s_cbranch_execz .LBB1888_133
; %bb.132:
	v_lshlrev_b32_e32 v11, 2, v0
	v_readfirstlane_b32 s6, v5
	v_readfirstlane_b32 s7, v6
	ds_load_b32 v12, v11
	s_waitcnt lgkmcnt(0)
	global_store_b32 v11, v12, s[6:7]
.LBB1888_133:
	s_or_b32 exec_lo, exec_lo, s4
.LBB1888_134:
	s_and_not1_saveexec_b32 s2, s2
	s_cbranch_execz .LBB1888_136
; %bb.135:
	v_lshlrev_b32_e32 v11, 2, v0
	v_readfirstlane_b32 s4, v7
	v_readfirstlane_b32 s5, v8
	ds_load_b32 v12, v11
	s_waitcnt lgkmcnt(0)
	global_store_b32 v11, v12, s[4:5]
.LBB1888_136:
	s_or_b32 exec_lo, exec_lo, s2
	v_or_b32_e32 v11, 0x100, v0
	s_mov_b32 s2, exec_lo
	s_delay_alu instid0(VALU_DEP_1)
	v_cmpx_le_u32_e64 v1, v11
	s_xor_b32 s2, exec_lo, s2
	s_cbranch_execz .LBB1888_142
; %bb.137:
	s_mov_b32 s4, exec_lo
	v_cmpx_le_u32_e64 v10, v11
	s_xor_b32 s4, exec_lo, s4
	s_cbranch_execz .LBB1888_139
; %bb.138:
	v_lshlrev_b32_e32 v11, 2, v0
	ds_load_b32 v13, v11 offset:1024
	v_add_co_u32 v11, vcc_lo, v3, v0
	v_add_co_ci_u32_e32 v12, vcc_lo, 0, v9, vcc_lo
	s_delay_alu instid0(VALU_DEP_1) | instskip(NEXT) | instid1(VALU_DEP_1)
	v_lshlrev_b64 v[11:12], 2, v[11:12]
	v_sub_co_u32 v11, vcc_lo, s1, v11
	s_delay_alu instid0(VALU_DEP_2)
	v_sub_co_ci_u32_e32 v12, vcc_lo, s0, v12, vcc_lo
	s_waitcnt lgkmcnt(0)
	global_store_b32 v[11:12], v13, off offset:-1024
.LBB1888_139:
	s_and_not1_saveexec_b32 s4, s4
	s_cbranch_execz .LBB1888_141
; %bb.140:
	v_lshlrev_b32_e32 v11, 2, v0
	v_readfirstlane_b32 s6, v5
	v_readfirstlane_b32 s7, v6
	ds_load_b32 v12, v11 offset:1024
	s_waitcnt lgkmcnt(0)
	global_store_b32 v11, v12, s[6:7] offset:1024
.LBB1888_141:
	s_or_b32 exec_lo, exec_lo, s4
.LBB1888_142:
	s_and_not1_saveexec_b32 s2, s2
	s_cbranch_execz .LBB1888_144
; %bb.143:
	v_lshlrev_b32_e32 v11, 2, v0
	v_readfirstlane_b32 s4, v7
	v_readfirstlane_b32 s5, v8
	ds_load_b32 v12, v11 offset:1024
	s_waitcnt lgkmcnt(0)
	global_store_b32 v11, v12, s[4:5] offset:1024
.LBB1888_144:
	s_or_b32 exec_lo, exec_lo, s2
	v_or_b32_e32 v11, 0x200, v0
	s_mov_b32 s2, exec_lo
	s_delay_alu instid0(VALU_DEP_1)
	v_cmpx_le_u32_e64 v1, v11
	s_xor_b32 s2, exec_lo, s2
	s_cbranch_execz .LBB1888_150
; %bb.145:
	s_mov_b32 s4, exec_lo
	v_cmpx_le_u32_e64 v10, v11
	s_xor_b32 s4, exec_lo, s4
	s_cbranch_execz .LBB1888_147
; %bb.146:
	v_lshlrev_b32_e32 v11, 2, v0
	ds_load_b32 v13, v11 offset:2048
	v_add_co_u32 v11, vcc_lo, v3, v0
	v_add_co_ci_u32_e32 v12, vcc_lo, 0, v9, vcc_lo
	s_delay_alu instid0(VALU_DEP_1) | instskip(NEXT) | instid1(VALU_DEP_1)
	v_lshlrev_b64 v[11:12], 2, v[11:12]
	v_sub_co_u32 v11, vcc_lo, s1, v11
	s_delay_alu instid0(VALU_DEP_2)
	v_sub_co_ci_u32_e32 v12, vcc_lo, s0, v12, vcc_lo
	s_waitcnt lgkmcnt(0)
	global_store_b32 v[11:12], v13, off offset:-2048
.LBB1888_147:
	s_and_not1_saveexec_b32 s4, s4
	s_cbranch_execz .LBB1888_149
; %bb.148:
	v_lshlrev_b32_e32 v11, 2, v0
	v_readfirstlane_b32 s6, v5
	v_readfirstlane_b32 s7, v6
	ds_load_b32 v12, v11 offset:2048
	s_waitcnt lgkmcnt(0)
	global_store_b32 v11, v12, s[6:7] offset:2048
.LBB1888_149:
	s_or_b32 exec_lo, exec_lo, s4
.LBB1888_150:
	s_and_not1_saveexec_b32 s2, s2
	s_cbranch_execz .LBB1888_152
; %bb.151:
	v_lshlrev_b32_e32 v11, 2, v0
	v_readfirstlane_b32 s4, v7
	v_readfirstlane_b32 s5, v8
	ds_load_b32 v12, v11 offset:2048
	s_waitcnt lgkmcnt(0)
	global_store_b32 v11, v12, s[4:5] offset:2048
.LBB1888_152:
	;; [unrolled: 47-line block ×3, first 2 shown]
	s_or_b32 exec_lo, exec_lo, s2
	v_or_b32_e32 v11, 0x400, v0
	s_mov_b32 s2, exec_lo
	s_delay_alu instid0(VALU_DEP_1)
	v_cmpx_le_u32_e64 v1, v11
	s_xor_b32 s2, exec_lo, s2
	s_cbranch_execz .LBB1888_166
; %bb.161:
	s_mov_b32 s4, exec_lo
	v_cmpx_le_u32_e64 v10, v11
	s_xor_b32 s4, exec_lo, s4
	s_cbranch_execz .LBB1888_163
; %bb.162:
	v_lshlrev_b32_e32 v11, 2, v0
	ds_load_b32 v13, v11 offset:4096
	v_add_co_u32 v11, vcc_lo, v3, v0
	v_add_co_ci_u32_e32 v12, vcc_lo, 0, v9, vcc_lo
	s_delay_alu instid0(VALU_DEP_1) | instskip(NEXT) | instid1(VALU_DEP_1)
	v_lshlrev_b64 v[11:12], 2, v[11:12]
	v_sub_co_u32 v11, vcc_lo, s1, v11
	s_delay_alu instid0(VALU_DEP_2)
	v_sub_co_ci_u32_e32 v12, vcc_lo, s0, v12, vcc_lo
	s_waitcnt lgkmcnt(0)
	global_store_b32 v[11:12], v13, off offset:-4096
                                        ; implicit-def: $vgpr11
.LBB1888_163:
	s_and_not1_saveexec_b32 s4, s4
	s_cbranch_execz .LBB1888_165
; %bb.164:
	v_lshlrev_b32_e32 v12, 2, v0
	v_lshlrev_b32_e32 v11, 2, v11
	v_readfirstlane_b32 s6, v5
	v_readfirstlane_b32 s7, v6
	ds_load_b32 v12, v12 offset:4096
	s_waitcnt lgkmcnt(0)
	global_store_b32 v11, v12, s[6:7]
.LBB1888_165:
	s_or_b32 exec_lo, exec_lo, s4
                                        ; implicit-def: $vgpr11
.LBB1888_166:
	s_and_not1_saveexec_b32 s2, s2
	s_cbranch_execz .LBB1888_168
; %bb.167:
	v_lshlrev_b32_e32 v12, 2, v0
	v_lshlrev_b32_e32 v11, 2, v11
	v_readfirstlane_b32 s4, v7
	v_readfirstlane_b32 s5, v8
	ds_load_b32 v12, v12 offset:4096
	s_waitcnt lgkmcnt(0)
	global_store_b32 v11, v12, s[4:5]
.LBB1888_168:
	s_or_b32 exec_lo, exec_lo, s2
	v_or_b32_e32 v11, 0x500, v0
	s_mov_b32 s2, exec_lo
	s_delay_alu instid0(VALU_DEP_1)
	v_cmpx_le_u32_e64 v1, v11
	s_xor_b32 s2, exec_lo, s2
	s_cbranch_execz .LBB1888_174
; %bb.169:
	s_mov_b32 s4, exec_lo
	v_cmpx_le_u32_e64 v10, v11
	s_xor_b32 s4, exec_lo, s4
	s_cbranch_execz .LBB1888_171
; %bb.170:
	v_lshlrev_b32_e32 v12, 2, v0
	v_add_co_u32 v11, vcc_lo, v3, v11
	ds_load_b32 v13, v12 offset:5120
	v_add_co_ci_u32_e32 v12, vcc_lo, 0, v9, vcc_lo
	s_delay_alu instid0(VALU_DEP_1) | instskip(NEXT) | instid1(VALU_DEP_1)
	v_lshlrev_b64 v[11:12], 2, v[11:12]
	v_sub_co_u32 v11, vcc_lo, s1, v11
	s_delay_alu instid0(VALU_DEP_2)
	v_sub_co_ci_u32_e32 v12, vcc_lo, s0, v12, vcc_lo
	s_waitcnt lgkmcnt(0)
	global_store_b32 v[11:12], v13, off
                                        ; implicit-def: $vgpr11
.LBB1888_171:
	s_and_not1_saveexec_b32 s4, s4
	s_cbranch_execz .LBB1888_173
; %bb.172:
	v_lshlrev_b32_e32 v12, 2, v0
	v_lshlrev_b32_e32 v11, 2, v11
	v_readfirstlane_b32 s6, v5
	v_readfirstlane_b32 s7, v6
	ds_load_b32 v12, v12 offset:5120
	s_waitcnt lgkmcnt(0)
	global_store_b32 v11, v12, s[6:7]
.LBB1888_173:
	s_or_b32 exec_lo, exec_lo, s4
                                        ; implicit-def: $vgpr11
.LBB1888_174:
	s_and_not1_saveexec_b32 s2, s2
	s_cbranch_execz .LBB1888_176
; %bb.175:
	v_lshlrev_b32_e32 v12, 2, v0
	v_lshlrev_b32_e32 v11, 2, v11
	v_readfirstlane_b32 s4, v7
	v_readfirstlane_b32 s5, v8
	ds_load_b32 v12, v12 offset:5120
	s_waitcnt lgkmcnt(0)
	global_store_b32 v11, v12, s[4:5]
.LBB1888_176:
	s_or_b32 exec_lo, exec_lo, s2
	v_or_b32_e32 v11, 0x600, v0
	s_mov_b32 s2, exec_lo
	s_delay_alu instid0(VALU_DEP_1)
	v_cmpx_le_u32_e64 v1, v11
	s_xor_b32 s2, exec_lo, s2
	s_cbranch_execz .LBB1888_182
; %bb.177:
	s_mov_b32 s4, exec_lo
	v_cmpx_le_u32_e64 v10, v11
	s_xor_b32 s4, exec_lo, s4
	s_cbranch_execz .LBB1888_179
; %bb.178:
	v_lshlrev_b32_e32 v12, 2, v0
	v_add_co_u32 v11, vcc_lo, v3, v11
	ds_load_b32 v13, v12 offset:6144
	v_add_co_ci_u32_e32 v12, vcc_lo, 0, v9, vcc_lo
	s_delay_alu instid0(VALU_DEP_1) | instskip(NEXT) | instid1(VALU_DEP_1)
	v_lshlrev_b64 v[11:12], 2, v[11:12]
	v_sub_co_u32 v11, vcc_lo, s1, v11
	s_delay_alu instid0(VALU_DEP_2)
	v_sub_co_ci_u32_e32 v12, vcc_lo, s0, v12, vcc_lo
	s_waitcnt lgkmcnt(0)
	global_store_b32 v[11:12], v13, off
                                        ; implicit-def: $vgpr11
.LBB1888_179:
	s_and_not1_saveexec_b32 s4, s4
	s_cbranch_execz .LBB1888_181
; %bb.180:
	v_lshlrev_b32_e32 v12, 2, v0
	v_lshlrev_b32_e32 v11, 2, v11
	v_readfirstlane_b32 s6, v5
	v_readfirstlane_b32 s7, v6
	ds_load_b32 v12, v12 offset:6144
	s_waitcnt lgkmcnt(0)
	global_store_b32 v11, v12, s[6:7]
.LBB1888_181:
	s_or_b32 exec_lo, exec_lo, s4
                                        ; implicit-def: $vgpr11
.LBB1888_182:
	;; [unrolled: 51-line block ×8, first 2 shown]
	s_and_not1_saveexec_b32 s2, s2
	s_cbranch_execz .LBB1888_232
; %bb.231:
	v_lshlrev_b32_e32 v12, 2, v0
	v_lshlrev_b32_e32 v11, 2, v11
	v_readfirstlane_b32 s4, v7
	v_readfirstlane_b32 s5, v8
	ds_load_b32 v12, v12 offset:12288
	s_waitcnt lgkmcnt(0)
	global_store_b32 v11, v12, s[4:5]
.LBB1888_232:
	s_or_b32 exec_lo, exec_lo, s2
	s_branch .LBB1888_126
.LBB1888_233:
	s_mov_b32 s2, exec_lo
	v_cmpx_gt_u32_e64 s3, v0
	s_cbranch_execz .LBB1888_242
; %bb.234:
	s_mov_b32 s4, exec_lo
	v_cmpx_le_u32_e64 v1, v0
	s_xor_b32 s4, exec_lo, s4
	s_cbranch_execz .LBB1888_240
; %bb.235:
	s_mov_b32 s5, exec_lo
	v_cmpx_le_u32_e64 v10, v0
	s_xor_b32 s5, exec_lo, s5
	s_cbranch_execz .LBB1888_237
; %bb.236:
	v_lshlrev_b32_e32 v11, 2, v0
	ds_load_b32 v13, v11
	v_add_co_u32 v11, vcc_lo, v3, v0
	v_add_co_ci_u32_e32 v12, vcc_lo, 0, v9, vcc_lo
	s_delay_alu instid0(VALU_DEP_1) | instskip(NEXT) | instid1(VALU_DEP_1)
	v_lshlrev_b64 v[11:12], 2, v[11:12]
	v_sub_co_u32 v11, vcc_lo, s26, v11
	s_delay_alu instid0(VALU_DEP_2)
	v_sub_co_ci_u32_e32 v12, vcc_lo, s27, v12, vcc_lo
	s_waitcnt lgkmcnt(0)
	global_store_b32 v[11:12], v13, off offset:-4
.LBB1888_237:
	s_and_not1_saveexec_b32 s5, s5
	s_cbranch_execz .LBB1888_239
; %bb.238:
	v_lshlrev_b32_e32 v11, 2, v0
	v_readfirstlane_b32 s6, v5
	v_readfirstlane_b32 s7, v6
	ds_load_b32 v12, v11
	s_waitcnt lgkmcnt(0)
	global_store_b32 v11, v12, s[6:7]
.LBB1888_239:
	s_or_b32 exec_lo, exec_lo, s5
.LBB1888_240:
	s_and_not1_saveexec_b32 s4, s4
	s_cbranch_execz .LBB1888_242
; %bb.241:
	v_lshlrev_b32_e32 v11, 2, v0
	v_readfirstlane_b32 s4, v7
	v_readfirstlane_b32 s5, v8
	ds_load_b32 v12, v11
	s_waitcnt lgkmcnt(0)
	global_store_b32 v11, v12, s[4:5]
.LBB1888_242:
	s_or_b32 exec_lo, exec_lo, s2
	v_or_b32_e32 v11, 0x100, v0
	s_mov_b32 s2, exec_lo
	s_delay_alu instid0(VALU_DEP_1)
	v_cmpx_gt_u32_e64 s3, v11
	s_cbranch_execz .LBB1888_251
; %bb.243:
	s_mov_b32 s4, exec_lo
	v_cmpx_le_u32_e64 v1, v11
	s_xor_b32 s4, exec_lo, s4
	s_cbranch_execz .LBB1888_249
; %bb.244:
	s_mov_b32 s5, exec_lo
	v_cmpx_le_u32_e64 v10, v11
	s_xor_b32 s5, exec_lo, s5
	s_cbranch_execz .LBB1888_246
; %bb.245:
	v_lshlrev_b32_e32 v11, 2, v0
	ds_load_b32 v13, v11 offset:1024
	v_add_co_u32 v11, vcc_lo, v3, v0
	v_add_co_ci_u32_e32 v12, vcc_lo, 0, v9, vcc_lo
	s_delay_alu instid0(VALU_DEP_1) | instskip(NEXT) | instid1(VALU_DEP_1)
	v_lshlrev_b64 v[11:12], 2, v[11:12]
	v_sub_co_u32 v11, vcc_lo, s1, v11
	s_delay_alu instid0(VALU_DEP_2)
	v_sub_co_ci_u32_e32 v12, vcc_lo, s0, v12, vcc_lo
	s_waitcnt lgkmcnt(0)
	global_store_b32 v[11:12], v13, off offset:-1024
.LBB1888_246:
	s_and_not1_saveexec_b32 s5, s5
	s_cbranch_execz .LBB1888_248
; %bb.247:
	v_lshlrev_b32_e32 v11, 2, v0
	v_readfirstlane_b32 s6, v5
	v_readfirstlane_b32 s7, v6
	ds_load_b32 v12, v11 offset:1024
	s_waitcnt lgkmcnt(0)
	global_store_b32 v11, v12, s[6:7] offset:1024
.LBB1888_248:
	s_or_b32 exec_lo, exec_lo, s5
.LBB1888_249:
	s_and_not1_saveexec_b32 s4, s4
	s_cbranch_execz .LBB1888_251
; %bb.250:
	v_lshlrev_b32_e32 v11, 2, v0
	v_readfirstlane_b32 s4, v7
	v_readfirstlane_b32 s5, v8
	ds_load_b32 v12, v11 offset:1024
	s_waitcnt lgkmcnt(0)
	global_store_b32 v11, v12, s[4:5] offset:1024
.LBB1888_251:
	s_or_b32 exec_lo, exec_lo, s2
	v_or_b32_e32 v11, 0x200, v0
	s_mov_b32 s2, exec_lo
	s_delay_alu instid0(VALU_DEP_1)
	v_cmpx_gt_u32_e64 s3, v11
	s_cbranch_execz .LBB1888_260
; %bb.252:
	s_mov_b32 s4, exec_lo
	v_cmpx_le_u32_e64 v1, v11
	s_xor_b32 s4, exec_lo, s4
	s_cbranch_execz .LBB1888_258
; %bb.253:
	s_mov_b32 s5, exec_lo
	v_cmpx_le_u32_e64 v10, v11
	s_xor_b32 s5, exec_lo, s5
	s_cbranch_execz .LBB1888_255
; %bb.254:
	v_lshlrev_b32_e32 v11, 2, v0
	ds_load_b32 v13, v11 offset:2048
	v_add_co_u32 v11, vcc_lo, v3, v0
	v_add_co_ci_u32_e32 v12, vcc_lo, 0, v9, vcc_lo
	s_delay_alu instid0(VALU_DEP_1) | instskip(NEXT) | instid1(VALU_DEP_1)
	v_lshlrev_b64 v[11:12], 2, v[11:12]
	v_sub_co_u32 v11, vcc_lo, s1, v11
	s_delay_alu instid0(VALU_DEP_2)
	v_sub_co_ci_u32_e32 v12, vcc_lo, s0, v12, vcc_lo
	s_waitcnt lgkmcnt(0)
	global_store_b32 v[11:12], v13, off offset:-2048
.LBB1888_255:
	s_and_not1_saveexec_b32 s5, s5
	s_cbranch_execz .LBB1888_257
; %bb.256:
	v_lshlrev_b32_e32 v11, 2, v0
	v_readfirstlane_b32 s6, v5
	v_readfirstlane_b32 s7, v6
	ds_load_b32 v12, v11 offset:2048
	s_waitcnt lgkmcnt(0)
	global_store_b32 v11, v12, s[6:7] offset:2048
.LBB1888_257:
	s_or_b32 exec_lo, exec_lo, s5
.LBB1888_258:
	s_and_not1_saveexec_b32 s4, s4
	s_cbranch_execz .LBB1888_260
; %bb.259:
	v_lshlrev_b32_e32 v11, 2, v0
	v_readfirstlane_b32 s4, v7
	v_readfirstlane_b32 s5, v8
	ds_load_b32 v12, v11 offset:2048
	s_waitcnt lgkmcnt(0)
	global_store_b32 v11, v12, s[4:5] offset:2048
.LBB1888_260:
	;; [unrolled: 51-line block ×3, first 2 shown]
	s_or_b32 exec_lo, exec_lo, s2
	v_or_b32_e32 v11, 0x400, v0
	s_mov_b32 s2, exec_lo
	s_delay_alu instid0(VALU_DEP_1)
	v_cmpx_gt_u32_e64 s3, v11
	s_cbranch_execz .LBB1888_278
; %bb.270:
	s_mov_b32 s4, exec_lo
	v_cmpx_le_u32_e64 v1, v11
	s_xor_b32 s4, exec_lo, s4
	s_cbranch_execz .LBB1888_276
; %bb.271:
	s_mov_b32 s5, exec_lo
	v_cmpx_le_u32_e64 v10, v11
	s_xor_b32 s5, exec_lo, s5
	s_cbranch_execz .LBB1888_273
; %bb.272:
	v_lshlrev_b32_e32 v11, 2, v0
	ds_load_b32 v13, v11 offset:4096
	v_add_co_u32 v11, vcc_lo, v3, v0
	v_add_co_ci_u32_e32 v12, vcc_lo, 0, v9, vcc_lo
	s_delay_alu instid0(VALU_DEP_1) | instskip(NEXT) | instid1(VALU_DEP_1)
	v_lshlrev_b64 v[11:12], 2, v[11:12]
	v_sub_co_u32 v11, vcc_lo, s1, v11
	s_delay_alu instid0(VALU_DEP_2)
	v_sub_co_ci_u32_e32 v12, vcc_lo, s0, v12, vcc_lo
	s_waitcnt lgkmcnt(0)
	global_store_b32 v[11:12], v13, off offset:-4096
                                        ; implicit-def: $vgpr11
.LBB1888_273:
	s_and_not1_saveexec_b32 s5, s5
	s_cbranch_execz .LBB1888_275
; %bb.274:
	v_lshlrev_b32_e32 v12, 2, v0
	v_lshlrev_b32_e32 v11, 2, v11
	v_readfirstlane_b32 s6, v5
	v_readfirstlane_b32 s7, v6
	ds_load_b32 v12, v12 offset:4096
	s_waitcnt lgkmcnt(0)
	global_store_b32 v11, v12, s[6:7]
.LBB1888_275:
	s_or_b32 exec_lo, exec_lo, s5
                                        ; implicit-def: $vgpr11
.LBB1888_276:
	s_and_not1_saveexec_b32 s4, s4
	s_cbranch_execz .LBB1888_278
; %bb.277:
	v_lshlrev_b32_e32 v12, 2, v0
	v_lshlrev_b32_e32 v11, 2, v11
	v_readfirstlane_b32 s4, v7
	v_readfirstlane_b32 s5, v8
	ds_load_b32 v12, v12 offset:4096
	s_waitcnt lgkmcnt(0)
	global_store_b32 v11, v12, s[4:5]
.LBB1888_278:
	s_or_b32 exec_lo, exec_lo, s2
	v_or_b32_e32 v11, 0x500, v0
	s_mov_b32 s2, exec_lo
	s_delay_alu instid0(VALU_DEP_1)
	v_cmpx_gt_u32_e64 s3, v11
	s_cbranch_execz .LBB1888_287
; %bb.279:
	s_mov_b32 s4, exec_lo
	v_cmpx_le_u32_e64 v1, v11
	s_xor_b32 s4, exec_lo, s4
	s_cbranch_execz .LBB1888_285
; %bb.280:
	s_mov_b32 s5, exec_lo
	v_cmpx_le_u32_e64 v10, v11
	s_xor_b32 s5, exec_lo, s5
	s_cbranch_execz .LBB1888_282
; %bb.281:
	v_lshlrev_b32_e32 v12, 2, v0
	v_add_co_u32 v11, vcc_lo, v3, v11
	ds_load_b32 v13, v12 offset:5120
	v_add_co_ci_u32_e32 v12, vcc_lo, 0, v9, vcc_lo
	s_delay_alu instid0(VALU_DEP_1) | instskip(NEXT) | instid1(VALU_DEP_1)
	v_lshlrev_b64 v[11:12], 2, v[11:12]
	v_sub_co_u32 v11, vcc_lo, s1, v11
	s_delay_alu instid0(VALU_DEP_2)
	v_sub_co_ci_u32_e32 v12, vcc_lo, s0, v12, vcc_lo
	s_waitcnt lgkmcnt(0)
	global_store_b32 v[11:12], v13, off
                                        ; implicit-def: $vgpr11
.LBB1888_282:
	s_and_not1_saveexec_b32 s5, s5
	s_cbranch_execz .LBB1888_284
; %bb.283:
	v_lshlrev_b32_e32 v12, 2, v0
	v_lshlrev_b32_e32 v11, 2, v11
	v_readfirstlane_b32 s6, v5
	v_readfirstlane_b32 s7, v6
	ds_load_b32 v12, v12 offset:5120
	s_waitcnt lgkmcnt(0)
	global_store_b32 v11, v12, s[6:7]
.LBB1888_284:
	s_or_b32 exec_lo, exec_lo, s5
                                        ; implicit-def: $vgpr11
.LBB1888_285:
	s_and_not1_saveexec_b32 s4, s4
	s_cbranch_execz .LBB1888_287
; %bb.286:
	v_lshlrev_b32_e32 v12, 2, v0
	v_lshlrev_b32_e32 v11, 2, v11
	v_readfirstlane_b32 s4, v7
	v_readfirstlane_b32 s5, v8
	ds_load_b32 v12, v12 offset:5120
	s_waitcnt lgkmcnt(0)
	global_store_b32 v11, v12, s[4:5]
.LBB1888_287:
	s_or_b32 exec_lo, exec_lo, s2
	v_or_b32_e32 v11, 0x600, v0
	s_mov_b32 s2, exec_lo
	s_delay_alu instid0(VALU_DEP_1)
	v_cmpx_gt_u32_e64 s3, v11
	s_cbranch_execz .LBB1888_296
; %bb.288:
	s_mov_b32 s4, exec_lo
	v_cmpx_le_u32_e64 v1, v11
	s_xor_b32 s4, exec_lo, s4
	s_cbranch_execz .LBB1888_294
; %bb.289:
	s_mov_b32 s5, exec_lo
	v_cmpx_le_u32_e64 v10, v11
	s_xor_b32 s5, exec_lo, s5
	s_cbranch_execz .LBB1888_291
; %bb.290:
	v_lshlrev_b32_e32 v12, 2, v0
	v_add_co_u32 v11, vcc_lo, v3, v11
	ds_load_b32 v13, v12 offset:6144
	v_add_co_ci_u32_e32 v12, vcc_lo, 0, v9, vcc_lo
	s_delay_alu instid0(VALU_DEP_1) | instskip(NEXT) | instid1(VALU_DEP_1)
	v_lshlrev_b64 v[11:12], 2, v[11:12]
	v_sub_co_u32 v11, vcc_lo, s1, v11
	s_delay_alu instid0(VALU_DEP_2)
	v_sub_co_ci_u32_e32 v12, vcc_lo, s0, v12, vcc_lo
	s_waitcnt lgkmcnt(0)
	global_store_b32 v[11:12], v13, off
                                        ; implicit-def: $vgpr11
.LBB1888_291:
	s_and_not1_saveexec_b32 s5, s5
	s_cbranch_execz .LBB1888_293
; %bb.292:
	v_lshlrev_b32_e32 v12, 2, v0
	v_lshlrev_b32_e32 v11, 2, v11
	v_readfirstlane_b32 s6, v5
	v_readfirstlane_b32 s7, v6
	ds_load_b32 v12, v12 offset:6144
	s_waitcnt lgkmcnt(0)
	global_store_b32 v11, v12, s[6:7]
.LBB1888_293:
	s_or_b32 exec_lo, exec_lo, s5
                                        ; implicit-def: $vgpr11
.LBB1888_294:
	s_and_not1_saveexec_b32 s4, s4
	s_cbranch_execz .LBB1888_296
; %bb.295:
	v_lshlrev_b32_e32 v12, 2, v0
	v_lshlrev_b32_e32 v11, 2, v11
	v_readfirstlane_b32 s4, v7
	v_readfirstlane_b32 s5, v8
	ds_load_b32 v12, v12 offset:6144
	s_waitcnt lgkmcnt(0)
	global_store_b32 v11, v12, s[4:5]
.LBB1888_296:
	;; [unrolled: 55-line block ×7, first 2 shown]
	s_or_b32 exec_lo, exec_lo, s2
	v_or_b32_e32 v11, 0xc00, v0
	s_mov_b32 s2, exec_lo
	s_delay_alu instid0(VALU_DEP_1)
	v_cmpx_gt_u32_e64 s3, v11
	s_cbranch_execz .LBB1888_350
; %bb.342:
	s_mov_b32 s3, exec_lo
	v_cmpx_le_u32_e64 v1, v11
	s_xor_b32 s3, exec_lo, s3
	s_cbranch_execz .LBB1888_348
; %bb.343:
	s_mov_b32 s4, exec_lo
	v_cmpx_le_u32_e64 v10, v11
	s_xor_b32 s4, exec_lo, s4
	s_cbranch_execz .LBB1888_345
; %bb.344:
	v_lshlrev_b32_e32 v5, 2, v0
	ds_load_b32 v7, v5 offset:12288
	v_add_co_u32 v5, vcc_lo, v3, v11
	v_add_co_ci_u32_e32 v6, vcc_lo, 0, v9, vcc_lo
                                        ; implicit-def: $vgpr11
	s_delay_alu instid0(VALU_DEP_1) | instskip(NEXT) | instid1(VALU_DEP_1)
	v_lshlrev_b64 v[5:6], 2, v[5:6]
	v_sub_co_u32 v5, vcc_lo, s1, v5
	s_delay_alu instid0(VALU_DEP_2)
	v_sub_co_ci_u32_e32 v6, vcc_lo, s0, v6, vcc_lo
	s_waitcnt lgkmcnt(0)
	global_store_b32 v[5:6], v7, off
                                        ; implicit-def: $vgpr5_vgpr6
.LBB1888_345:
	s_and_not1_saveexec_b32 s0, s4
	s_cbranch_execz .LBB1888_347
; %bb.346:
	v_lshlrev_b32_e32 v3, 2, v0
	v_lshlrev_b32_e32 v7, 2, v11
	v_readfirstlane_b32 s4, v5
	v_readfirstlane_b32 s5, v6
	ds_load_b32 v3, v3 offset:12288
	s_waitcnt lgkmcnt(0)
	global_store_b32 v7, v3, s[4:5]
.LBB1888_347:
	s_or_b32 exec_lo, exec_lo, s0
                                        ; implicit-def: $vgpr11
                                        ; implicit-def: $vgpr7_vgpr8
.LBB1888_348:
	s_and_not1_saveexec_b32 s0, s3
	s_cbranch_execz .LBB1888_350
; %bb.349:
	v_lshlrev_b32_e32 v3, 2, v0
	v_lshlrev_b32_e32 v5, 2, v11
	v_readfirstlane_b32 s0, v7
	v_readfirstlane_b32 s1, v8
	ds_load_b32 v3, v3 offset:12288
	s_waitcnt lgkmcnt(0)
	global_store_b32 v5, v3, s[0:1]
.LBB1888_350:
	s_or_b32 exec_lo, exec_lo, s2
	v_cmp_eq_u32_e32 vcc_lo, 0, v0
	s_and_b32 s0, vcc_lo, s14
	s_delay_alu instid0(SALU_CYCLE_1)
	s_and_saveexec_b32 s1, s0
	s_cbranch_execz .LBB1888_127
.LBB1888_351:
	v_add_co_u32 v2, s0, s30, v2
	s_delay_alu instid0(VALU_DEP_1) | instskip(SKIP_2) | instid1(VALU_DEP_4)
	v_add_co_ci_u32_e64 v3, null, s31, 0, s0
	v_add_co_u32 v0, vcc_lo, v18, v1
	v_add_co_ci_u32_e32 v1, vcc_lo, 0, v19, vcc_lo
	v_add_co_u32 v2, vcc_lo, v2, v4
	v_mov_b32_e32 v5, 0
	v_add_co_ci_u32_e32 v3, vcc_lo, 0, v3, vcc_lo
	global_store_b128 v5, v[0:3], s[24:25]
	s_nop 0
	s_sendmsg sendmsg(MSG_DEALLOC_VGPRS)
	s_endpgm
.LBB1888_352:
	v_add_nc_u32_e32 v3, s7, v23
	s_add_i32 s10, s15, 32
	s_mov_b32 s11, 0
	v_dual_mov_b32 v5, 0 :: v_dual_add_nc_u32 v2, v22, v1
	s_lshl_b64 s[10:11], s[10:11], 4
	v_and_b32_e32 v20, 0xff0000, v3
	s_add_u32 s10, s4, s10
	s_addc_u32 s11, s5, s11
	v_and_b32_e32 v4, 0xff000000, v3
	s_delay_alu instid0(VALU_DEP_1) | instskip(SKIP_2) | instid1(VALU_DEP_1)
	v_or_b32_e32 v20, v20, v4
	v_dual_mov_b32 v4, 2 :: v_dual_and_b32 v21, 0xff00, v3
	v_and_b32_e32 v3, 0xff, v3
	v_or3_b32 v3, v20, v21, v3
	v_dual_mov_b32 v21, s11 :: v_dual_mov_b32 v20, s10
	;;#ASMSTART
	global_store_dwordx4 v[20:21], v[2:5] off	
s_waitcnt vmcnt(0)
	;;#ASMEND
	s_or_b32 exec_lo, exec_lo, s8
	s_and_saveexec_b32 s8, s2
	s_cbranch_execz .LBB1888_111
.LBB1888_353:
	v_mov_b32_e32 v2, s7
	v_add_nc_u32_e64 v3, 0x3400, 0
	ds_store_2addr_b32 v3, v1, v2 offset1:2
	ds_store_2addr_b32 v3, v22, v23 offset0:4 offset1:6
	s_or_b32 exec_lo, exec_lo, s8
	v_cmp_eq_u32_e32 vcc_lo, 0, v0
	s_and_b32 exec_lo, exec_lo, vcc_lo
	s_cbranch_execnz .LBB1888_112
	s_branch .LBB1888_113
	.section	.rodata,"a",@progbits
	.p2align	6, 0x0
	.amdhsa_kernel _ZN7rocprim17ROCPRIM_400000_NS6detail17trampoline_kernelINS0_13select_configILj256ELj13ELNS0_17block_load_methodE3ELS4_3ELS4_3ELNS0_20block_scan_algorithmE0ELj4294967295EEENS1_25partition_config_selectorILNS1_17partition_subalgoE4EjNS0_10empty_typeEbEEZZNS1_14partition_implILS8_4ELb0ES6_15HIP_vector_typeIjLj2EENS0_17counting_iteratorIjlEEPS9_SG_NS0_5tupleIJPjSI_NS0_16reverse_iteratorISI_EEEEENSH_IJSG_SG_SG_EEES9_SI_JZNS1_25segmented_radix_sort_implINS0_14default_configELb1EPK12hip_bfloat16PSP_PKlPlN2at6native12_GLOBAL__N_18offset_tEEE10hipError_tPvRmT1_PNSt15iterator_traitsIS13_E10value_typeET2_T3_PNS14_IS19_E10value_typeET4_jRbjT5_S1F_jjP12ihipStream_tbEUljE_ZNSN_ISO_Lb1ESR_SS_SU_SV_SZ_EES10_S11_S12_S13_S17_S18_S19_S1C_S1D_jS1E_jS1F_S1F_jjS1H_bEUljE0_EEES10_S11_S12_S19_S1D_S1F_T6_T7_T9_mT8_S1H_bDpT10_ENKUlT_T0_E_clISt17integral_constantIbLb0EES1V_EEDaS1Q_S1R_EUlS1Q_E_NS1_11comp_targetILNS1_3genE9ELNS1_11target_archE1100ELNS1_3gpuE3ELNS1_3repE0EEENS1_30default_config_static_selectorELNS0_4arch9wavefront6targetE0EEEvS13_
		.amdhsa_group_segment_fixed_size 13340
		.amdhsa_private_segment_fixed_size 0
		.amdhsa_kernarg_size 176
		.amdhsa_user_sgpr_count 15
		.amdhsa_user_sgpr_dispatch_ptr 0
		.amdhsa_user_sgpr_queue_ptr 0
		.amdhsa_user_sgpr_kernarg_segment_ptr 1
		.amdhsa_user_sgpr_dispatch_id 0
		.amdhsa_user_sgpr_private_segment_size 0
		.amdhsa_wavefront_size32 1
		.amdhsa_uses_dynamic_stack 0
		.amdhsa_enable_private_segment 0
		.amdhsa_system_sgpr_workgroup_id_x 1
		.amdhsa_system_sgpr_workgroup_id_y 0
		.amdhsa_system_sgpr_workgroup_id_z 0
		.amdhsa_system_sgpr_workgroup_info 0
		.amdhsa_system_vgpr_workitem_id 0
		.amdhsa_next_free_vgpr 98
		.amdhsa_next_free_sgpr 59
		.amdhsa_reserve_vcc 1
		.amdhsa_float_round_mode_32 0
		.amdhsa_float_round_mode_16_64 0
		.amdhsa_float_denorm_mode_32 3
		.amdhsa_float_denorm_mode_16_64 3
		.amdhsa_dx10_clamp 1
		.amdhsa_ieee_mode 1
		.amdhsa_fp16_overflow 0
		.amdhsa_workgroup_processor_mode 1
		.amdhsa_memory_ordered 1
		.amdhsa_forward_progress 0
		.amdhsa_shared_vgpr_count 0
		.amdhsa_exception_fp_ieee_invalid_op 0
		.amdhsa_exception_fp_denorm_src 0
		.amdhsa_exception_fp_ieee_div_zero 0
		.amdhsa_exception_fp_ieee_overflow 0
		.amdhsa_exception_fp_ieee_underflow 0
		.amdhsa_exception_fp_ieee_inexact 0
		.amdhsa_exception_int_div_zero 0
	.end_amdhsa_kernel
	.section	.text._ZN7rocprim17ROCPRIM_400000_NS6detail17trampoline_kernelINS0_13select_configILj256ELj13ELNS0_17block_load_methodE3ELS4_3ELS4_3ELNS0_20block_scan_algorithmE0ELj4294967295EEENS1_25partition_config_selectorILNS1_17partition_subalgoE4EjNS0_10empty_typeEbEEZZNS1_14partition_implILS8_4ELb0ES6_15HIP_vector_typeIjLj2EENS0_17counting_iteratorIjlEEPS9_SG_NS0_5tupleIJPjSI_NS0_16reverse_iteratorISI_EEEEENSH_IJSG_SG_SG_EEES9_SI_JZNS1_25segmented_radix_sort_implINS0_14default_configELb1EPK12hip_bfloat16PSP_PKlPlN2at6native12_GLOBAL__N_18offset_tEEE10hipError_tPvRmT1_PNSt15iterator_traitsIS13_E10value_typeET2_T3_PNS14_IS19_E10value_typeET4_jRbjT5_S1F_jjP12ihipStream_tbEUljE_ZNSN_ISO_Lb1ESR_SS_SU_SV_SZ_EES10_S11_S12_S13_S17_S18_S19_S1C_S1D_jS1E_jS1F_S1F_jjS1H_bEUljE0_EEES10_S11_S12_S19_S1D_S1F_T6_T7_T9_mT8_S1H_bDpT10_ENKUlT_T0_E_clISt17integral_constantIbLb0EES1V_EEDaS1Q_S1R_EUlS1Q_E_NS1_11comp_targetILNS1_3genE9ELNS1_11target_archE1100ELNS1_3gpuE3ELNS1_3repE0EEENS1_30default_config_static_selectorELNS0_4arch9wavefront6targetE0EEEvS13_,"axG",@progbits,_ZN7rocprim17ROCPRIM_400000_NS6detail17trampoline_kernelINS0_13select_configILj256ELj13ELNS0_17block_load_methodE3ELS4_3ELS4_3ELNS0_20block_scan_algorithmE0ELj4294967295EEENS1_25partition_config_selectorILNS1_17partition_subalgoE4EjNS0_10empty_typeEbEEZZNS1_14partition_implILS8_4ELb0ES6_15HIP_vector_typeIjLj2EENS0_17counting_iteratorIjlEEPS9_SG_NS0_5tupleIJPjSI_NS0_16reverse_iteratorISI_EEEEENSH_IJSG_SG_SG_EEES9_SI_JZNS1_25segmented_radix_sort_implINS0_14default_configELb1EPK12hip_bfloat16PSP_PKlPlN2at6native12_GLOBAL__N_18offset_tEEE10hipError_tPvRmT1_PNSt15iterator_traitsIS13_E10value_typeET2_T3_PNS14_IS19_E10value_typeET4_jRbjT5_S1F_jjP12ihipStream_tbEUljE_ZNSN_ISO_Lb1ESR_SS_SU_SV_SZ_EES10_S11_S12_S13_S17_S18_S19_S1C_S1D_jS1E_jS1F_S1F_jjS1H_bEUljE0_EEES10_S11_S12_S19_S1D_S1F_T6_T7_T9_mT8_S1H_bDpT10_ENKUlT_T0_E_clISt17integral_constantIbLb0EES1V_EEDaS1Q_S1R_EUlS1Q_E_NS1_11comp_targetILNS1_3genE9ELNS1_11target_archE1100ELNS1_3gpuE3ELNS1_3repE0EEENS1_30default_config_static_selectorELNS0_4arch9wavefront6targetE0EEEvS13_,comdat
.Lfunc_end1888:
	.size	_ZN7rocprim17ROCPRIM_400000_NS6detail17trampoline_kernelINS0_13select_configILj256ELj13ELNS0_17block_load_methodE3ELS4_3ELS4_3ELNS0_20block_scan_algorithmE0ELj4294967295EEENS1_25partition_config_selectorILNS1_17partition_subalgoE4EjNS0_10empty_typeEbEEZZNS1_14partition_implILS8_4ELb0ES6_15HIP_vector_typeIjLj2EENS0_17counting_iteratorIjlEEPS9_SG_NS0_5tupleIJPjSI_NS0_16reverse_iteratorISI_EEEEENSH_IJSG_SG_SG_EEES9_SI_JZNS1_25segmented_radix_sort_implINS0_14default_configELb1EPK12hip_bfloat16PSP_PKlPlN2at6native12_GLOBAL__N_18offset_tEEE10hipError_tPvRmT1_PNSt15iterator_traitsIS13_E10value_typeET2_T3_PNS14_IS19_E10value_typeET4_jRbjT5_S1F_jjP12ihipStream_tbEUljE_ZNSN_ISO_Lb1ESR_SS_SU_SV_SZ_EES10_S11_S12_S13_S17_S18_S19_S1C_S1D_jS1E_jS1F_S1F_jjS1H_bEUljE0_EEES10_S11_S12_S19_S1D_S1F_T6_T7_T9_mT8_S1H_bDpT10_ENKUlT_T0_E_clISt17integral_constantIbLb0EES1V_EEDaS1Q_S1R_EUlS1Q_E_NS1_11comp_targetILNS1_3genE9ELNS1_11target_archE1100ELNS1_3gpuE3ELNS1_3repE0EEENS1_30default_config_static_selectorELNS0_4arch9wavefront6targetE0EEEvS13_, .Lfunc_end1888-_ZN7rocprim17ROCPRIM_400000_NS6detail17trampoline_kernelINS0_13select_configILj256ELj13ELNS0_17block_load_methodE3ELS4_3ELS4_3ELNS0_20block_scan_algorithmE0ELj4294967295EEENS1_25partition_config_selectorILNS1_17partition_subalgoE4EjNS0_10empty_typeEbEEZZNS1_14partition_implILS8_4ELb0ES6_15HIP_vector_typeIjLj2EENS0_17counting_iteratorIjlEEPS9_SG_NS0_5tupleIJPjSI_NS0_16reverse_iteratorISI_EEEEENSH_IJSG_SG_SG_EEES9_SI_JZNS1_25segmented_radix_sort_implINS0_14default_configELb1EPK12hip_bfloat16PSP_PKlPlN2at6native12_GLOBAL__N_18offset_tEEE10hipError_tPvRmT1_PNSt15iterator_traitsIS13_E10value_typeET2_T3_PNS14_IS19_E10value_typeET4_jRbjT5_S1F_jjP12ihipStream_tbEUljE_ZNSN_ISO_Lb1ESR_SS_SU_SV_SZ_EES10_S11_S12_S13_S17_S18_S19_S1C_S1D_jS1E_jS1F_S1F_jjS1H_bEUljE0_EEES10_S11_S12_S19_S1D_S1F_T6_T7_T9_mT8_S1H_bDpT10_ENKUlT_T0_E_clISt17integral_constantIbLb0EES1V_EEDaS1Q_S1R_EUlS1Q_E_NS1_11comp_targetILNS1_3genE9ELNS1_11target_archE1100ELNS1_3gpuE3ELNS1_3repE0EEENS1_30default_config_static_selectorELNS0_4arch9wavefront6targetE0EEEvS13_
                                        ; -- End function
	.section	.AMDGPU.csdata,"",@progbits
; Kernel info:
; codeLenInByte = 14984
; NumSgprs: 61
; NumVgprs: 98
; ScratchSize: 0
; MemoryBound: 0
; FloatMode: 240
; IeeeMode: 1
; LDSByteSize: 13340 bytes/workgroup (compile time only)
; SGPRBlocks: 7
; VGPRBlocks: 12
; NumSGPRsForWavesPerEU: 61
; NumVGPRsForWavesPerEU: 98
; Occupancy: 12
; WaveLimiterHint : 1
; COMPUTE_PGM_RSRC2:SCRATCH_EN: 0
; COMPUTE_PGM_RSRC2:USER_SGPR: 15
; COMPUTE_PGM_RSRC2:TRAP_HANDLER: 0
; COMPUTE_PGM_RSRC2:TGID_X_EN: 1
; COMPUTE_PGM_RSRC2:TGID_Y_EN: 0
; COMPUTE_PGM_RSRC2:TGID_Z_EN: 0
; COMPUTE_PGM_RSRC2:TIDIG_COMP_CNT: 0
	.section	.text._ZN7rocprim17ROCPRIM_400000_NS6detail17trampoline_kernelINS0_13select_configILj256ELj13ELNS0_17block_load_methodE3ELS4_3ELS4_3ELNS0_20block_scan_algorithmE0ELj4294967295EEENS1_25partition_config_selectorILNS1_17partition_subalgoE4EjNS0_10empty_typeEbEEZZNS1_14partition_implILS8_4ELb0ES6_15HIP_vector_typeIjLj2EENS0_17counting_iteratorIjlEEPS9_SG_NS0_5tupleIJPjSI_NS0_16reverse_iteratorISI_EEEEENSH_IJSG_SG_SG_EEES9_SI_JZNS1_25segmented_radix_sort_implINS0_14default_configELb1EPK12hip_bfloat16PSP_PKlPlN2at6native12_GLOBAL__N_18offset_tEEE10hipError_tPvRmT1_PNSt15iterator_traitsIS13_E10value_typeET2_T3_PNS14_IS19_E10value_typeET4_jRbjT5_S1F_jjP12ihipStream_tbEUljE_ZNSN_ISO_Lb1ESR_SS_SU_SV_SZ_EES10_S11_S12_S13_S17_S18_S19_S1C_S1D_jS1E_jS1F_S1F_jjS1H_bEUljE0_EEES10_S11_S12_S19_S1D_S1F_T6_T7_T9_mT8_S1H_bDpT10_ENKUlT_T0_E_clISt17integral_constantIbLb0EES1V_EEDaS1Q_S1R_EUlS1Q_E_NS1_11comp_targetILNS1_3genE8ELNS1_11target_archE1030ELNS1_3gpuE2ELNS1_3repE0EEENS1_30default_config_static_selectorELNS0_4arch9wavefront6targetE0EEEvS13_,"axG",@progbits,_ZN7rocprim17ROCPRIM_400000_NS6detail17trampoline_kernelINS0_13select_configILj256ELj13ELNS0_17block_load_methodE3ELS4_3ELS4_3ELNS0_20block_scan_algorithmE0ELj4294967295EEENS1_25partition_config_selectorILNS1_17partition_subalgoE4EjNS0_10empty_typeEbEEZZNS1_14partition_implILS8_4ELb0ES6_15HIP_vector_typeIjLj2EENS0_17counting_iteratorIjlEEPS9_SG_NS0_5tupleIJPjSI_NS0_16reverse_iteratorISI_EEEEENSH_IJSG_SG_SG_EEES9_SI_JZNS1_25segmented_radix_sort_implINS0_14default_configELb1EPK12hip_bfloat16PSP_PKlPlN2at6native12_GLOBAL__N_18offset_tEEE10hipError_tPvRmT1_PNSt15iterator_traitsIS13_E10value_typeET2_T3_PNS14_IS19_E10value_typeET4_jRbjT5_S1F_jjP12ihipStream_tbEUljE_ZNSN_ISO_Lb1ESR_SS_SU_SV_SZ_EES10_S11_S12_S13_S17_S18_S19_S1C_S1D_jS1E_jS1F_S1F_jjS1H_bEUljE0_EEES10_S11_S12_S19_S1D_S1F_T6_T7_T9_mT8_S1H_bDpT10_ENKUlT_T0_E_clISt17integral_constantIbLb0EES1V_EEDaS1Q_S1R_EUlS1Q_E_NS1_11comp_targetILNS1_3genE8ELNS1_11target_archE1030ELNS1_3gpuE2ELNS1_3repE0EEENS1_30default_config_static_selectorELNS0_4arch9wavefront6targetE0EEEvS13_,comdat
	.globl	_ZN7rocprim17ROCPRIM_400000_NS6detail17trampoline_kernelINS0_13select_configILj256ELj13ELNS0_17block_load_methodE3ELS4_3ELS4_3ELNS0_20block_scan_algorithmE0ELj4294967295EEENS1_25partition_config_selectorILNS1_17partition_subalgoE4EjNS0_10empty_typeEbEEZZNS1_14partition_implILS8_4ELb0ES6_15HIP_vector_typeIjLj2EENS0_17counting_iteratorIjlEEPS9_SG_NS0_5tupleIJPjSI_NS0_16reverse_iteratorISI_EEEEENSH_IJSG_SG_SG_EEES9_SI_JZNS1_25segmented_radix_sort_implINS0_14default_configELb1EPK12hip_bfloat16PSP_PKlPlN2at6native12_GLOBAL__N_18offset_tEEE10hipError_tPvRmT1_PNSt15iterator_traitsIS13_E10value_typeET2_T3_PNS14_IS19_E10value_typeET4_jRbjT5_S1F_jjP12ihipStream_tbEUljE_ZNSN_ISO_Lb1ESR_SS_SU_SV_SZ_EES10_S11_S12_S13_S17_S18_S19_S1C_S1D_jS1E_jS1F_S1F_jjS1H_bEUljE0_EEES10_S11_S12_S19_S1D_S1F_T6_T7_T9_mT8_S1H_bDpT10_ENKUlT_T0_E_clISt17integral_constantIbLb0EES1V_EEDaS1Q_S1R_EUlS1Q_E_NS1_11comp_targetILNS1_3genE8ELNS1_11target_archE1030ELNS1_3gpuE2ELNS1_3repE0EEENS1_30default_config_static_selectorELNS0_4arch9wavefront6targetE0EEEvS13_ ; -- Begin function _ZN7rocprim17ROCPRIM_400000_NS6detail17trampoline_kernelINS0_13select_configILj256ELj13ELNS0_17block_load_methodE3ELS4_3ELS4_3ELNS0_20block_scan_algorithmE0ELj4294967295EEENS1_25partition_config_selectorILNS1_17partition_subalgoE4EjNS0_10empty_typeEbEEZZNS1_14partition_implILS8_4ELb0ES6_15HIP_vector_typeIjLj2EENS0_17counting_iteratorIjlEEPS9_SG_NS0_5tupleIJPjSI_NS0_16reverse_iteratorISI_EEEEENSH_IJSG_SG_SG_EEES9_SI_JZNS1_25segmented_radix_sort_implINS0_14default_configELb1EPK12hip_bfloat16PSP_PKlPlN2at6native12_GLOBAL__N_18offset_tEEE10hipError_tPvRmT1_PNSt15iterator_traitsIS13_E10value_typeET2_T3_PNS14_IS19_E10value_typeET4_jRbjT5_S1F_jjP12ihipStream_tbEUljE_ZNSN_ISO_Lb1ESR_SS_SU_SV_SZ_EES10_S11_S12_S13_S17_S18_S19_S1C_S1D_jS1E_jS1F_S1F_jjS1H_bEUljE0_EEES10_S11_S12_S19_S1D_S1F_T6_T7_T9_mT8_S1H_bDpT10_ENKUlT_T0_E_clISt17integral_constantIbLb0EES1V_EEDaS1Q_S1R_EUlS1Q_E_NS1_11comp_targetILNS1_3genE8ELNS1_11target_archE1030ELNS1_3gpuE2ELNS1_3repE0EEENS1_30default_config_static_selectorELNS0_4arch9wavefront6targetE0EEEvS13_
	.p2align	8
	.type	_ZN7rocprim17ROCPRIM_400000_NS6detail17trampoline_kernelINS0_13select_configILj256ELj13ELNS0_17block_load_methodE3ELS4_3ELS4_3ELNS0_20block_scan_algorithmE0ELj4294967295EEENS1_25partition_config_selectorILNS1_17partition_subalgoE4EjNS0_10empty_typeEbEEZZNS1_14partition_implILS8_4ELb0ES6_15HIP_vector_typeIjLj2EENS0_17counting_iteratorIjlEEPS9_SG_NS0_5tupleIJPjSI_NS0_16reverse_iteratorISI_EEEEENSH_IJSG_SG_SG_EEES9_SI_JZNS1_25segmented_radix_sort_implINS0_14default_configELb1EPK12hip_bfloat16PSP_PKlPlN2at6native12_GLOBAL__N_18offset_tEEE10hipError_tPvRmT1_PNSt15iterator_traitsIS13_E10value_typeET2_T3_PNS14_IS19_E10value_typeET4_jRbjT5_S1F_jjP12ihipStream_tbEUljE_ZNSN_ISO_Lb1ESR_SS_SU_SV_SZ_EES10_S11_S12_S13_S17_S18_S19_S1C_S1D_jS1E_jS1F_S1F_jjS1H_bEUljE0_EEES10_S11_S12_S19_S1D_S1F_T6_T7_T9_mT8_S1H_bDpT10_ENKUlT_T0_E_clISt17integral_constantIbLb0EES1V_EEDaS1Q_S1R_EUlS1Q_E_NS1_11comp_targetILNS1_3genE8ELNS1_11target_archE1030ELNS1_3gpuE2ELNS1_3repE0EEENS1_30default_config_static_selectorELNS0_4arch9wavefront6targetE0EEEvS13_,@function
_ZN7rocprim17ROCPRIM_400000_NS6detail17trampoline_kernelINS0_13select_configILj256ELj13ELNS0_17block_load_methodE3ELS4_3ELS4_3ELNS0_20block_scan_algorithmE0ELj4294967295EEENS1_25partition_config_selectorILNS1_17partition_subalgoE4EjNS0_10empty_typeEbEEZZNS1_14partition_implILS8_4ELb0ES6_15HIP_vector_typeIjLj2EENS0_17counting_iteratorIjlEEPS9_SG_NS0_5tupleIJPjSI_NS0_16reverse_iteratorISI_EEEEENSH_IJSG_SG_SG_EEES9_SI_JZNS1_25segmented_radix_sort_implINS0_14default_configELb1EPK12hip_bfloat16PSP_PKlPlN2at6native12_GLOBAL__N_18offset_tEEE10hipError_tPvRmT1_PNSt15iterator_traitsIS13_E10value_typeET2_T3_PNS14_IS19_E10value_typeET4_jRbjT5_S1F_jjP12ihipStream_tbEUljE_ZNSN_ISO_Lb1ESR_SS_SU_SV_SZ_EES10_S11_S12_S13_S17_S18_S19_S1C_S1D_jS1E_jS1F_S1F_jjS1H_bEUljE0_EEES10_S11_S12_S19_S1D_S1F_T6_T7_T9_mT8_S1H_bDpT10_ENKUlT_T0_E_clISt17integral_constantIbLb0EES1V_EEDaS1Q_S1R_EUlS1Q_E_NS1_11comp_targetILNS1_3genE8ELNS1_11target_archE1030ELNS1_3gpuE2ELNS1_3repE0EEENS1_30default_config_static_selectorELNS0_4arch9wavefront6targetE0EEEvS13_: ; @_ZN7rocprim17ROCPRIM_400000_NS6detail17trampoline_kernelINS0_13select_configILj256ELj13ELNS0_17block_load_methodE3ELS4_3ELS4_3ELNS0_20block_scan_algorithmE0ELj4294967295EEENS1_25partition_config_selectorILNS1_17partition_subalgoE4EjNS0_10empty_typeEbEEZZNS1_14partition_implILS8_4ELb0ES6_15HIP_vector_typeIjLj2EENS0_17counting_iteratorIjlEEPS9_SG_NS0_5tupleIJPjSI_NS0_16reverse_iteratorISI_EEEEENSH_IJSG_SG_SG_EEES9_SI_JZNS1_25segmented_radix_sort_implINS0_14default_configELb1EPK12hip_bfloat16PSP_PKlPlN2at6native12_GLOBAL__N_18offset_tEEE10hipError_tPvRmT1_PNSt15iterator_traitsIS13_E10value_typeET2_T3_PNS14_IS19_E10value_typeET4_jRbjT5_S1F_jjP12ihipStream_tbEUljE_ZNSN_ISO_Lb1ESR_SS_SU_SV_SZ_EES10_S11_S12_S13_S17_S18_S19_S1C_S1D_jS1E_jS1F_S1F_jjS1H_bEUljE0_EEES10_S11_S12_S19_S1D_S1F_T6_T7_T9_mT8_S1H_bDpT10_ENKUlT_T0_E_clISt17integral_constantIbLb0EES1V_EEDaS1Q_S1R_EUlS1Q_E_NS1_11comp_targetILNS1_3genE8ELNS1_11target_archE1030ELNS1_3gpuE2ELNS1_3repE0EEENS1_30default_config_static_selectorELNS0_4arch9wavefront6targetE0EEEvS13_
; %bb.0:
	.section	.rodata,"a",@progbits
	.p2align	6, 0x0
	.amdhsa_kernel _ZN7rocprim17ROCPRIM_400000_NS6detail17trampoline_kernelINS0_13select_configILj256ELj13ELNS0_17block_load_methodE3ELS4_3ELS4_3ELNS0_20block_scan_algorithmE0ELj4294967295EEENS1_25partition_config_selectorILNS1_17partition_subalgoE4EjNS0_10empty_typeEbEEZZNS1_14partition_implILS8_4ELb0ES6_15HIP_vector_typeIjLj2EENS0_17counting_iteratorIjlEEPS9_SG_NS0_5tupleIJPjSI_NS0_16reverse_iteratorISI_EEEEENSH_IJSG_SG_SG_EEES9_SI_JZNS1_25segmented_radix_sort_implINS0_14default_configELb1EPK12hip_bfloat16PSP_PKlPlN2at6native12_GLOBAL__N_18offset_tEEE10hipError_tPvRmT1_PNSt15iterator_traitsIS13_E10value_typeET2_T3_PNS14_IS19_E10value_typeET4_jRbjT5_S1F_jjP12ihipStream_tbEUljE_ZNSN_ISO_Lb1ESR_SS_SU_SV_SZ_EES10_S11_S12_S13_S17_S18_S19_S1C_S1D_jS1E_jS1F_S1F_jjS1H_bEUljE0_EEES10_S11_S12_S19_S1D_S1F_T6_T7_T9_mT8_S1H_bDpT10_ENKUlT_T0_E_clISt17integral_constantIbLb0EES1V_EEDaS1Q_S1R_EUlS1Q_E_NS1_11comp_targetILNS1_3genE8ELNS1_11target_archE1030ELNS1_3gpuE2ELNS1_3repE0EEENS1_30default_config_static_selectorELNS0_4arch9wavefront6targetE0EEEvS13_
		.amdhsa_group_segment_fixed_size 0
		.amdhsa_private_segment_fixed_size 0
		.amdhsa_kernarg_size 176
		.amdhsa_user_sgpr_count 15
		.amdhsa_user_sgpr_dispatch_ptr 0
		.amdhsa_user_sgpr_queue_ptr 0
		.amdhsa_user_sgpr_kernarg_segment_ptr 1
		.amdhsa_user_sgpr_dispatch_id 0
		.amdhsa_user_sgpr_private_segment_size 0
		.amdhsa_wavefront_size32 1
		.amdhsa_uses_dynamic_stack 0
		.amdhsa_enable_private_segment 0
		.amdhsa_system_sgpr_workgroup_id_x 1
		.amdhsa_system_sgpr_workgroup_id_y 0
		.amdhsa_system_sgpr_workgroup_id_z 0
		.amdhsa_system_sgpr_workgroup_info 0
		.amdhsa_system_vgpr_workitem_id 0
		.amdhsa_next_free_vgpr 1
		.amdhsa_next_free_sgpr 1
		.amdhsa_reserve_vcc 0
		.amdhsa_float_round_mode_32 0
		.amdhsa_float_round_mode_16_64 0
		.amdhsa_float_denorm_mode_32 3
		.amdhsa_float_denorm_mode_16_64 3
		.amdhsa_dx10_clamp 1
		.amdhsa_ieee_mode 1
		.amdhsa_fp16_overflow 0
		.amdhsa_workgroup_processor_mode 1
		.amdhsa_memory_ordered 1
		.amdhsa_forward_progress 0
		.amdhsa_shared_vgpr_count 0
		.amdhsa_exception_fp_ieee_invalid_op 0
		.amdhsa_exception_fp_denorm_src 0
		.amdhsa_exception_fp_ieee_div_zero 0
		.amdhsa_exception_fp_ieee_overflow 0
		.amdhsa_exception_fp_ieee_underflow 0
		.amdhsa_exception_fp_ieee_inexact 0
		.amdhsa_exception_int_div_zero 0
	.end_amdhsa_kernel
	.section	.text._ZN7rocprim17ROCPRIM_400000_NS6detail17trampoline_kernelINS0_13select_configILj256ELj13ELNS0_17block_load_methodE3ELS4_3ELS4_3ELNS0_20block_scan_algorithmE0ELj4294967295EEENS1_25partition_config_selectorILNS1_17partition_subalgoE4EjNS0_10empty_typeEbEEZZNS1_14partition_implILS8_4ELb0ES6_15HIP_vector_typeIjLj2EENS0_17counting_iteratorIjlEEPS9_SG_NS0_5tupleIJPjSI_NS0_16reverse_iteratorISI_EEEEENSH_IJSG_SG_SG_EEES9_SI_JZNS1_25segmented_radix_sort_implINS0_14default_configELb1EPK12hip_bfloat16PSP_PKlPlN2at6native12_GLOBAL__N_18offset_tEEE10hipError_tPvRmT1_PNSt15iterator_traitsIS13_E10value_typeET2_T3_PNS14_IS19_E10value_typeET4_jRbjT5_S1F_jjP12ihipStream_tbEUljE_ZNSN_ISO_Lb1ESR_SS_SU_SV_SZ_EES10_S11_S12_S13_S17_S18_S19_S1C_S1D_jS1E_jS1F_S1F_jjS1H_bEUljE0_EEES10_S11_S12_S19_S1D_S1F_T6_T7_T9_mT8_S1H_bDpT10_ENKUlT_T0_E_clISt17integral_constantIbLb0EES1V_EEDaS1Q_S1R_EUlS1Q_E_NS1_11comp_targetILNS1_3genE8ELNS1_11target_archE1030ELNS1_3gpuE2ELNS1_3repE0EEENS1_30default_config_static_selectorELNS0_4arch9wavefront6targetE0EEEvS13_,"axG",@progbits,_ZN7rocprim17ROCPRIM_400000_NS6detail17trampoline_kernelINS0_13select_configILj256ELj13ELNS0_17block_load_methodE3ELS4_3ELS4_3ELNS0_20block_scan_algorithmE0ELj4294967295EEENS1_25partition_config_selectorILNS1_17partition_subalgoE4EjNS0_10empty_typeEbEEZZNS1_14partition_implILS8_4ELb0ES6_15HIP_vector_typeIjLj2EENS0_17counting_iteratorIjlEEPS9_SG_NS0_5tupleIJPjSI_NS0_16reverse_iteratorISI_EEEEENSH_IJSG_SG_SG_EEES9_SI_JZNS1_25segmented_radix_sort_implINS0_14default_configELb1EPK12hip_bfloat16PSP_PKlPlN2at6native12_GLOBAL__N_18offset_tEEE10hipError_tPvRmT1_PNSt15iterator_traitsIS13_E10value_typeET2_T3_PNS14_IS19_E10value_typeET4_jRbjT5_S1F_jjP12ihipStream_tbEUljE_ZNSN_ISO_Lb1ESR_SS_SU_SV_SZ_EES10_S11_S12_S13_S17_S18_S19_S1C_S1D_jS1E_jS1F_S1F_jjS1H_bEUljE0_EEES10_S11_S12_S19_S1D_S1F_T6_T7_T9_mT8_S1H_bDpT10_ENKUlT_T0_E_clISt17integral_constantIbLb0EES1V_EEDaS1Q_S1R_EUlS1Q_E_NS1_11comp_targetILNS1_3genE8ELNS1_11target_archE1030ELNS1_3gpuE2ELNS1_3repE0EEENS1_30default_config_static_selectorELNS0_4arch9wavefront6targetE0EEEvS13_,comdat
.Lfunc_end1889:
	.size	_ZN7rocprim17ROCPRIM_400000_NS6detail17trampoline_kernelINS0_13select_configILj256ELj13ELNS0_17block_load_methodE3ELS4_3ELS4_3ELNS0_20block_scan_algorithmE0ELj4294967295EEENS1_25partition_config_selectorILNS1_17partition_subalgoE4EjNS0_10empty_typeEbEEZZNS1_14partition_implILS8_4ELb0ES6_15HIP_vector_typeIjLj2EENS0_17counting_iteratorIjlEEPS9_SG_NS0_5tupleIJPjSI_NS0_16reverse_iteratorISI_EEEEENSH_IJSG_SG_SG_EEES9_SI_JZNS1_25segmented_radix_sort_implINS0_14default_configELb1EPK12hip_bfloat16PSP_PKlPlN2at6native12_GLOBAL__N_18offset_tEEE10hipError_tPvRmT1_PNSt15iterator_traitsIS13_E10value_typeET2_T3_PNS14_IS19_E10value_typeET4_jRbjT5_S1F_jjP12ihipStream_tbEUljE_ZNSN_ISO_Lb1ESR_SS_SU_SV_SZ_EES10_S11_S12_S13_S17_S18_S19_S1C_S1D_jS1E_jS1F_S1F_jjS1H_bEUljE0_EEES10_S11_S12_S19_S1D_S1F_T6_T7_T9_mT8_S1H_bDpT10_ENKUlT_T0_E_clISt17integral_constantIbLb0EES1V_EEDaS1Q_S1R_EUlS1Q_E_NS1_11comp_targetILNS1_3genE8ELNS1_11target_archE1030ELNS1_3gpuE2ELNS1_3repE0EEENS1_30default_config_static_selectorELNS0_4arch9wavefront6targetE0EEEvS13_, .Lfunc_end1889-_ZN7rocprim17ROCPRIM_400000_NS6detail17trampoline_kernelINS0_13select_configILj256ELj13ELNS0_17block_load_methodE3ELS4_3ELS4_3ELNS0_20block_scan_algorithmE0ELj4294967295EEENS1_25partition_config_selectorILNS1_17partition_subalgoE4EjNS0_10empty_typeEbEEZZNS1_14partition_implILS8_4ELb0ES6_15HIP_vector_typeIjLj2EENS0_17counting_iteratorIjlEEPS9_SG_NS0_5tupleIJPjSI_NS0_16reverse_iteratorISI_EEEEENSH_IJSG_SG_SG_EEES9_SI_JZNS1_25segmented_radix_sort_implINS0_14default_configELb1EPK12hip_bfloat16PSP_PKlPlN2at6native12_GLOBAL__N_18offset_tEEE10hipError_tPvRmT1_PNSt15iterator_traitsIS13_E10value_typeET2_T3_PNS14_IS19_E10value_typeET4_jRbjT5_S1F_jjP12ihipStream_tbEUljE_ZNSN_ISO_Lb1ESR_SS_SU_SV_SZ_EES10_S11_S12_S13_S17_S18_S19_S1C_S1D_jS1E_jS1F_S1F_jjS1H_bEUljE0_EEES10_S11_S12_S19_S1D_S1F_T6_T7_T9_mT8_S1H_bDpT10_ENKUlT_T0_E_clISt17integral_constantIbLb0EES1V_EEDaS1Q_S1R_EUlS1Q_E_NS1_11comp_targetILNS1_3genE8ELNS1_11target_archE1030ELNS1_3gpuE2ELNS1_3repE0EEENS1_30default_config_static_selectorELNS0_4arch9wavefront6targetE0EEEvS13_
                                        ; -- End function
	.section	.AMDGPU.csdata,"",@progbits
; Kernel info:
; codeLenInByte = 0
; NumSgprs: 0
; NumVgprs: 0
; ScratchSize: 0
; MemoryBound: 0
; FloatMode: 240
; IeeeMode: 1
; LDSByteSize: 0 bytes/workgroup (compile time only)
; SGPRBlocks: 0
; VGPRBlocks: 0
; NumSGPRsForWavesPerEU: 1
; NumVGPRsForWavesPerEU: 1
; Occupancy: 16
; WaveLimiterHint : 0
; COMPUTE_PGM_RSRC2:SCRATCH_EN: 0
; COMPUTE_PGM_RSRC2:USER_SGPR: 15
; COMPUTE_PGM_RSRC2:TRAP_HANDLER: 0
; COMPUTE_PGM_RSRC2:TGID_X_EN: 1
; COMPUTE_PGM_RSRC2:TGID_Y_EN: 0
; COMPUTE_PGM_RSRC2:TGID_Z_EN: 0
; COMPUTE_PGM_RSRC2:TIDIG_COMP_CNT: 0
	.section	.text._ZN7rocprim17ROCPRIM_400000_NS6detail17trampoline_kernelINS0_13select_configILj256ELj13ELNS0_17block_load_methodE3ELS4_3ELS4_3ELNS0_20block_scan_algorithmE0ELj4294967295EEENS1_25partition_config_selectorILNS1_17partition_subalgoE4EjNS0_10empty_typeEbEEZZNS1_14partition_implILS8_4ELb0ES6_15HIP_vector_typeIjLj2EENS0_17counting_iteratorIjlEEPS9_SG_NS0_5tupleIJPjSI_NS0_16reverse_iteratorISI_EEEEENSH_IJSG_SG_SG_EEES9_SI_JZNS1_25segmented_radix_sort_implINS0_14default_configELb1EPK12hip_bfloat16PSP_PKlPlN2at6native12_GLOBAL__N_18offset_tEEE10hipError_tPvRmT1_PNSt15iterator_traitsIS13_E10value_typeET2_T3_PNS14_IS19_E10value_typeET4_jRbjT5_S1F_jjP12ihipStream_tbEUljE_ZNSN_ISO_Lb1ESR_SS_SU_SV_SZ_EES10_S11_S12_S13_S17_S18_S19_S1C_S1D_jS1E_jS1F_S1F_jjS1H_bEUljE0_EEES10_S11_S12_S19_S1D_S1F_T6_T7_T9_mT8_S1H_bDpT10_ENKUlT_T0_E_clISt17integral_constantIbLb1EES1V_EEDaS1Q_S1R_EUlS1Q_E_NS1_11comp_targetILNS1_3genE0ELNS1_11target_archE4294967295ELNS1_3gpuE0ELNS1_3repE0EEENS1_30default_config_static_selectorELNS0_4arch9wavefront6targetE0EEEvS13_,"axG",@progbits,_ZN7rocprim17ROCPRIM_400000_NS6detail17trampoline_kernelINS0_13select_configILj256ELj13ELNS0_17block_load_methodE3ELS4_3ELS4_3ELNS0_20block_scan_algorithmE0ELj4294967295EEENS1_25partition_config_selectorILNS1_17partition_subalgoE4EjNS0_10empty_typeEbEEZZNS1_14partition_implILS8_4ELb0ES6_15HIP_vector_typeIjLj2EENS0_17counting_iteratorIjlEEPS9_SG_NS0_5tupleIJPjSI_NS0_16reverse_iteratorISI_EEEEENSH_IJSG_SG_SG_EEES9_SI_JZNS1_25segmented_radix_sort_implINS0_14default_configELb1EPK12hip_bfloat16PSP_PKlPlN2at6native12_GLOBAL__N_18offset_tEEE10hipError_tPvRmT1_PNSt15iterator_traitsIS13_E10value_typeET2_T3_PNS14_IS19_E10value_typeET4_jRbjT5_S1F_jjP12ihipStream_tbEUljE_ZNSN_ISO_Lb1ESR_SS_SU_SV_SZ_EES10_S11_S12_S13_S17_S18_S19_S1C_S1D_jS1E_jS1F_S1F_jjS1H_bEUljE0_EEES10_S11_S12_S19_S1D_S1F_T6_T7_T9_mT8_S1H_bDpT10_ENKUlT_T0_E_clISt17integral_constantIbLb1EES1V_EEDaS1Q_S1R_EUlS1Q_E_NS1_11comp_targetILNS1_3genE0ELNS1_11target_archE4294967295ELNS1_3gpuE0ELNS1_3repE0EEENS1_30default_config_static_selectorELNS0_4arch9wavefront6targetE0EEEvS13_,comdat
	.globl	_ZN7rocprim17ROCPRIM_400000_NS6detail17trampoline_kernelINS0_13select_configILj256ELj13ELNS0_17block_load_methodE3ELS4_3ELS4_3ELNS0_20block_scan_algorithmE0ELj4294967295EEENS1_25partition_config_selectorILNS1_17partition_subalgoE4EjNS0_10empty_typeEbEEZZNS1_14partition_implILS8_4ELb0ES6_15HIP_vector_typeIjLj2EENS0_17counting_iteratorIjlEEPS9_SG_NS0_5tupleIJPjSI_NS0_16reverse_iteratorISI_EEEEENSH_IJSG_SG_SG_EEES9_SI_JZNS1_25segmented_radix_sort_implINS0_14default_configELb1EPK12hip_bfloat16PSP_PKlPlN2at6native12_GLOBAL__N_18offset_tEEE10hipError_tPvRmT1_PNSt15iterator_traitsIS13_E10value_typeET2_T3_PNS14_IS19_E10value_typeET4_jRbjT5_S1F_jjP12ihipStream_tbEUljE_ZNSN_ISO_Lb1ESR_SS_SU_SV_SZ_EES10_S11_S12_S13_S17_S18_S19_S1C_S1D_jS1E_jS1F_S1F_jjS1H_bEUljE0_EEES10_S11_S12_S19_S1D_S1F_T6_T7_T9_mT8_S1H_bDpT10_ENKUlT_T0_E_clISt17integral_constantIbLb1EES1V_EEDaS1Q_S1R_EUlS1Q_E_NS1_11comp_targetILNS1_3genE0ELNS1_11target_archE4294967295ELNS1_3gpuE0ELNS1_3repE0EEENS1_30default_config_static_selectorELNS0_4arch9wavefront6targetE0EEEvS13_ ; -- Begin function _ZN7rocprim17ROCPRIM_400000_NS6detail17trampoline_kernelINS0_13select_configILj256ELj13ELNS0_17block_load_methodE3ELS4_3ELS4_3ELNS0_20block_scan_algorithmE0ELj4294967295EEENS1_25partition_config_selectorILNS1_17partition_subalgoE4EjNS0_10empty_typeEbEEZZNS1_14partition_implILS8_4ELb0ES6_15HIP_vector_typeIjLj2EENS0_17counting_iteratorIjlEEPS9_SG_NS0_5tupleIJPjSI_NS0_16reverse_iteratorISI_EEEEENSH_IJSG_SG_SG_EEES9_SI_JZNS1_25segmented_radix_sort_implINS0_14default_configELb1EPK12hip_bfloat16PSP_PKlPlN2at6native12_GLOBAL__N_18offset_tEEE10hipError_tPvRmT1_PNSt15iterator_traitsIS13_E10value_typeET2_T3_PNS14_IS19_E10value_typeET4_jRbjT5_S1F_jjP12ihipStream_tbEUljE_ZNSN_ISO_Lb1ESR_SS_SU_SV_SZ_EES10_S11_S12_S13_S17_S18_S19_S1C_S1D_jS1E_jS1F_S1F_jjS1H_bEUljE0_EEES10_S11_S12_S19_S1D_S1F_T6_T7_T9_mT8_S1H_bDpT10_ENKUlT_T0_E_clISt17integral_constantIbLb1EES1V_EEDaS1Q_S1R_EUlS1Q_E_NS1_11comp_targetILNS1_3genE0ELNS1_11target_archE4294967295ELNS1_3gpuE0ELNS1_3repE0EEENS1_30default_config_static_selectorELNS0_4arch9wavefront6targetE0EEEvS13_
	.p2align	8
	.type	_ZN7rocprim17ROCPRIM_400000_NS6detail17trampoline_kernelINS0_13select_configILj256ELj13ELNS0_17block_load_methodE3ELS4_3ELS4_3ELNS0_20block_scan_algorithmE0ELj4294967295EEENS1_25partition_config_selectorILNS1_17partition_subalgoE4EjNS0_10empty_typeEbEEZZNS1_14partition_implILS8_4ELb0ES6_15HIP_vector_typeIjLj2EENS0_17counting_iteratorIjlEEPS9_SG_NS0_5tupleIJPjSI_NS0_16reverse_iteratorISI_EEEEENSH_IJSG_SG_SG_EEES9_SI_JZNS1_25segmented_radix_sort_implINS0_14default_configELb1EPK12hip_bfloat16PSP_PKlPlN2at6native12_GLOBAL__N_18offset_tEEE10hipError_tPvRmT1_PNSt15iterator_traitsIS13_E10value_typeET2_T3_PNS14_IS19_E10value_typeET4_jRbjT5_S1F_jjP12ihipStream_tbEUljE_ZNSN_ISO_Lb1ESR_SS_SU_SV_SZ_EES10_S11_S12_S13_S17_S18_S19_S1C_S1D_jS1E_jS1F_S1F_jjS1H_bEUljE0_EEES10_S11_S12_S19_S1D_S1F_T6_T7_T9_mT8_S1H_bDpT10_ENKUlT_T0_E_clISt17integral_constantIbLb1EES1V_EEDaS1Q_S1R_EUlS1Q_E_NS1_11comp_targetILNS1_3genE0ELNS1_11target_archE4294967295ELNS1_3gpuE0ELNS1_3repE0EEENS1_30default_config_static_selectorELNS0_4arch9wavefront6targetE0EEEvS13_,@function
_ZN7rocprim17ROCPRIM_400000_NS6detail17trampoline_kernelINS0_13select_configILj256ELj13ELNS0_17block_load_methodE3ELS4_3ELS4_3ELNS0_20block_scan_algorithmE0ELj4294967295EEENS1_25partition_config_selectorILNS1_17partition_subalgoE4EjNS0_10empty_typeEbEEZZNS1_14partition_implILS8_4ELb0ES6_15HIP_vector_typeIjLj2EENS0_17counting_iteratorIjlEEPS9_SG_NS0_5tupleIJPjSI_NS0_16reverse_iteratorISI_EEEEENSH_IJSG_SG_SG_EEES9_SI_JZNS1_25segmented_radix_sort_implINS0_14default_configELb1EPK12hip_bfloat16PSP_PKlPlN2at6native12_GLOBAL__N_18offset_tEEE10hipError_tPvRmT1_PNSt15iterator_traitsIS13_E10value_typeET2_T3_PNS14_IS19_E10value_typeET4_jRbjT5_S1F_jjP12ihipStream_tbEUljE_ZNSN_ISO_Lb1ESR_SS_SU_SV_SZ_EES10_S11_S12_S13_S17_S18_S19_S1C_S1D_jS1E_jS1F_S1F_jjS1H_bEUljE0_EEES10_S11_S12_S19_S1D_S1F_T6_T7_T9_mT8_S1H_bDpT10_ENKUlT_T0_E_clISt17integral_constantIbLb1EES1V_EEDaS1Q_S1R_EUlS1Q_E_NS1_11comp_targetILNS1_3genE0ELNS1_11target_archE4294967295ELNS1_3gpuE0ELNS1_3repE0EEENS1_30default_config_static_selectorELNS0_4arch9wavefront6targetE0EEEvS13_: ; @_ZN7rocprim17ROCPRIM_400000_NS6detail17trampoline_kernelINS0_13select_configILj256ELj13ELNS0_17block_load_methodE3ELS4_3ELS4_3ELNS0_20block_scan_algorithmE0ELj4294967295EEENS1_25partition_config_selectorILNS1_17partition_subalgoE4EjNS0_10empty_typeEbEEZZNS1_14partition_implILS8_4ELb0ES6_15HIP_vector_typeIjLj2EENS0_17counting_iteratorIjlEEPS9_SG_NS0_5tupleIJPjSI_NS0_16reverse_iteratorISI_EEEEENSH_IJSG_SG_SG_EEES9_SI_JZNS1_25segmented_radix_sort_implINS0_14default_configELb1EPK12hip_bfloat16PSP_PKlPlN2at6native12_GLOBAL__N_18offset_tEEE10hipError_tPvRmT1_PNSt15iterator_traitsIS13_E10value_typeET2_T3_PNS14_IS19_E10value_typeET4_jRbjT5_S1F_jjP12ihipStream_tbEUljE_ZNSN_ISO_Lb1ESR_SS_SU_SV_SZ_EES10_S11_S12_S13_S17_S18_S19_S1C_S1D_jS1E_jS1F_S1F_jjS1H_bEUljE0_EEES10_S11_S12_S19_S1D_S1F_T6_T7_T9_mT8_S1H_bDpT10_ENKUlT_T0_E_clISt17integral_constantIbLb1EES1V_EEDaS1Q_S1R_EUlS1Q_E_NS1_11comp_targetILNS1_3genE0ELNS1_11target_archE4294967295ELNS1_3gpuE0ELNS1_3repE0EEENS1_30default_config_static_selectorELNS0_4arch9wavefront6targetE0EEEvS13_
; %bb.0:
	.section	.rodata,"a",@progbits
	.p2align	6, 0x0
	.amdhsa_kernel _ZN7rocprim17ROCPRIM_400000_NS6detail17trampoline_kernelINS0_13select_configILj256ELj13ELNS0_17block_load_methodE3ELS4_3ELS4_3ELNS0_20block_scan_algorithmE0ELj4294967295EEENS1_25partition_config_selectorILNS1_17partition_subalgoE4EjNS0_10empty_typeEbEEZZNS1_14partition_implILS8_4ELb0ES6_15HIP_vector_typeIjLj2EENS0_17counting_iteratorIjlEEPS9_SG_NS0_5tupleIJPjSI_NS0_16reverse_iteratorISI_EEEEENSH_IJSG_SG_SG_EEES9_SI_JZNS1_25segmented_radix_sort_implINS0_14default_configELb1EPK12hip_bfloat16PSP_PKlPlN2at6native12_GLOBAL__N_18offset_tEEE10hipError_tPvRmT1_PNSt15iterator_traitsIS13_E10value_typeET2_T3_PNS14_IS19_E10value_typeET4_jRbjT5_S1F_jjP12ihipStream_tbEUljE_ZNSN_ISO_Lb1ESR_SS_SU_SV_SZ_EES10_S11_S12_S13_S17_S18_S19_S1C_S1D_jS1E_jS1F_S1F_jjS1H_bEUljE0_EEES10_S11_S12_S19_S1D_S1F_T6_T7_T9_mT8_S1H_bDpT10_ENKUlT_T0_E_clISt17integral_constantIbLb1EES1V_EEDaS1Q_S1R_EUlS1Q_E_NS1_11comp_targetILNS1_3genE0ELNS1_11target_archE4294967295ELNS1_3gpuE0ELNS1_3repE0EEENS1_30default_config_static_selectorELNS0_4arch9wavefront6targetE0EEEvS13_
		.amdhsa_group_segment_fixed_size 0
		.amdhsa_private_segment_fixed_size 0
		.amdhsa_kernarg_size 184
		.amdhsa_user_sgpr_count 15
		.amdhsa_user_sgpr_dispatch_ptr 0
		.amdhsa_user_sgpr_queue_ptr 0
		.amdhsa_user_sgpr_kernarg_segment_ptr 1
		.amdhsa_user_sgpr_dispatch_id 0
		.amdhsa_user_sgpr_private_segment_size 0
		.amdhsa_wavefront_size32 1
		.amdhsa_uses_dynamic_stack 0
		.amdhsa_enable_private_segment 0
		.amdhsa_system_sgpr_workgroup_id_x 1
		.amdhsa_system_sgpr_workgroup_id_y 0
		.amdhsa_system_sgpr_workgroup_id_z 0
		.amdhsa_system_sgpr_workgroup_info 0
		.amdhsa_system_vgpr_workitem_id 0
		.amdhsa_next_free_vgpr 1
		.amdhsa_next_free_sgpr 1
		.amdhsa_reserve_vcc 0
		.amdhsa_float_round_mode_32 0
		.amdhsa_float_round_mode_16_64 0
		.amdhsa_float_denorm_mode_32 3
		.amdhsa_float_denorm_mode_16_64 3
		.amdhsa_dx10_clamp 1
		.amdhsa_ieee_mode 1
		.amdhsa_fp16_overflow 0
		.amdhsa_workgroup_processor_mode 1
		.amdhsa_memory_ordered 1
		.amdhsa_forward_progress 0
		.amdhsa_shared_vgpr_count 0
		.amdhsa_exception_fp_ieee_invalid_op 0
		.amdhsa_exception_fp_denorm_src 0
		.amdhsa_exception_fp_ieee_div_zero 0
		.amdhsa_exception_fp_ieee_overflow 0
		.amdhsa_exception_fp_ieee_underflow 0
		.amdhsa_exception_fp_ieee_inexact 0
		.amdhsa_exception_int_div_zero 0
	.end_amdhsa_kernel
	.section	.text._ZN7rocprim17ROCPRIM_400000_NS6detail17trampoline_kernelINS0_13select_configILj256ELj13ELNS0_17block_load_methodE3ELS4_3ELS4_3ELNS0_20block_scan_algorithmE0ELj4294967295EEENS1_25partition_config_selectorILNS1_17partition_subalgoE4EjNS0_10empty_typeEbEEZZNS1_14partition_implILS8_4ELb0ES6_15HIP_vector_typeIjLj2EENS0_17counting_iteratorIjlEEPS9_SG_NS0_5tupleIJPjSI_NS0_16reverse_iteratorISI_EEEEENSH_IJSG_SG_SG_EEES9_SI_JZNS1_25segmented_radix_sort_implINS0_14default_configELb1EPK12hip_bfloat16PSP_PKlPlN2at6native12_GLOBAL__N_18offset_tEEE10hipError_tPvRmT1_PNSt15iterator_traitsIS13_E10value_typeET2_T3_PNS14_IS19_E10value_typeET4_jRbjT5_S1F_jjP12ihipStream_tbEUljE_ZNSN_ISO_Lb1ESR_SS_SU_SV_SZ_EES10_S11_S12_S13_S17_S18_S19_S1C_S1D_jS1E_jS1F_S1F_jjS1H_bEUljE0_EEES10_S11_S12_S19_S1D_S1F_T6_T7_T9_mT8_S1H_bDpT10_ENKUlT_T0_E_clISt17integral_constantIbLb1EES1V_EEDaS1Q_S1R_EUlS1Q_E_NS1_11comp_targetILNS1_3genE0ELNS1_11target_archE4294967295ELNS1_3gpuE0ELNS1_3repE0EEENS1_30default_config_static_selectorELNS0_4arch9wavefront6targetE0EEEvS13_,"axG",@progbits,_ZN7rocprim17ROCPRIM_400000_NS6detail17trampoline_kernelINS0_13select_configILj256ELj13ELNS0_17block_load_methodE3ELS4_3ELS4_3ELNS0_20block_scan_algorithmE0ELj4294967295EEENS1_25partition_config_selectorILNS1_17partition_subalgoE4EjNS0_10empty_typeEbEEZZNS1_14partition_implILS8_4ELb0ES6_15HIP_vector_typeIjLj2EENS0_17counting_iteratorIjlEEPS9_SG_NS0_5tupleIJPjSI_NS0_16reverse_iteratorISI_EEEEENSH_IJSG_SG_SG_EEES9_SI_JZNS1_25segmented_radix_sort_implINS0_14default_configELb1EPK12hip_bfloat16PSP_PKlPlN2at6native12_GLOBAL__N_18offset_tEEE10hipError_tPvRmT1_PNSt15iterator_traitsIS13_E10value_typeET2_T3_PNS14_IS19_E10value_typeET4_jRbjT5_S1F_jjP12ihipStream_tbEUljE_ZNSN_ISO_Lb1ESR_SS_SU_SV_SZ_EES10_S11_S12_S13_S17_S18_S19_S1C_S1D_jS1E_jS1F_S1F_jjS1H_bEUljE0_EEES10_S11_S12_S19_S1D_S1F_T6_T7_T9_mT8_S1H_bDpT10_ENKUlT_T0_E_clISt17integral_constantIbLb1EES1V_EEDaS1Q_S1R_EUlS1Q_E_NS1_11comp_targetILNS1_3genE0ELNS1_11target_archE4294967295ELNS1_3gpuE0ELNS1_3repE0EEENS1_30default_config_static_selectorELNS0_4arch9wavefront6targetE0EEEvS13_,comdat
.Lfunc_end1890:
	.size	_ZN7rocprim17ROCPRIM_400000_NS6detail17trampoline_kernelINS0_13select_configILj256ELj13ELNS0_17block_load_methodE3ELS4_3ELS4_3ELNS0_20block_scan_algorithmE0ELj4294967295EEENS1_25partition_config_selectorILNS1_17partition_subalgoE4EjNS0_10empty_typeEbEEZZNS1_14partition_implILS8_4ELb0ES6_15HIP_vector_typeIjLj2EENS0_17counting_iteratorIjlEEPS9_SG_NS0_5tupleIJPjSI_NS0_16reverse_iteratorISI_EEEEENSH_IJSG_SG_SG_EEES9_SI_JZNS1_25segmented_radix_sort_implINS0_14default_configELb1EPK12hip_bfloat16PSP_PKlPlN2at6native12_GLOBAL__N_18offset_tEEE10hipError_tPvRmT1_PNSt15iterator_traitsIS13_E10value_typeET2_T3_PNS14_IS19_E10value_typeET4_jRbjT5_S1F_jjP12ihipStream_tbEUljE_ZNSN_ISO_Lb1ESR_SS_SU_SV_SZ_EES10_S11_S12_S13_S17_S18_S19_S1C_S1D_jS1E_jS1F_S1F_jjS1H_bEUljE0_EEES10_S11_S12_S19_S1D_S1F_T6_T7_T9_mT8_S1H_bDpT10_ENKUlT_T0_E_clISt17integral_constantIbLb1EES1V_EEDaS1Q_S1R_EUlS1Q_E_NS1_11comp_targetILNS1_3genE0ELNS1_11target_archE4294967295ELNS1_3gpuE0ELNS1_3repE0EEENS1_30default_config_static_selectorELNS0_4arch9wavefront6targetE0EEEvS13_, .Lfunc_end1890-_ZN7rocprim17ROCPRIM_400000_NS6detail17trampoline_kernelINS0_13select_configILj256ELj13ELNS0_17block_load_methodE3ELS4_3ELS4_3ELNS0_20block_scan_algorithmE0ELj4294967295EEENS1_25partition_config_selectorILNS1_17partition_subalgoE4EjNS0_10empty_typeEbEEZZNS1_14partition_implILS8_4ELb0ES6_15HIP_vector_typeIjLj2EENS0_17counting_iteratorIjlEEPS9_SG_NS0_5tupleIJPjSI_NS0_16reverse_iteratorISI_EEEEENSH_IJSG_SG_SG_EEES9_SI_JZNS1_25segmented_radix_sort_implINS0_14default_configELb1EPK12hip_bfloat16PSP_PKlPlN2at6native12_GLOBAL__N_18offset_tEEE10hipError_tPvRmT1_PNSt15iterator_traitsIS13_E10value_typeET2_T3_PNS14_IS19_E10value_typeET4_jRbjT5_S1F_jjP12ihipStream_tbEUljE_ZNSN_ISO_Lb1ESR_SS_SU_SV_SZ_EES10_S11_S12_S13_S17_S18_S19_S1C_S1D_jS1E_jS1F_S1F_jjS1H_bEUljE0_EEES10_S11_S12_S19_S1D_S1F_T6_T7_T9_mT8_S1H_bDpT10_ENKUlT_T0_E_clISt17integral_constantIbLb1EES1V_EEDaS1Q_S1R_EUlS1Q_E_NS1_11comp_targetILNS1_3genE0ELNS1_11target_archE4294967295ELNS1_3gpuE0ELNS1_3repE0EEENS1_30default_config_static_selectorELNS0_4arch9wavefront6targetE0EEEvS13_
                                        ; -- End function
	.section	.AMDGPU.csdata,"",@progbits
; Kernel info:
; codeLenInByte = 0
; NumSgprs: 0
; NumVgprs: 0
; ScratchSize: 0
; MemoryBound: 0
; FloatMode: 240
; IeeeMode: 1
; LDSByteSize: 0 bytes/workgroup (compile time only)
; SGPRBlocks: 0
; VGPRBlocks: 0
; NumSGPRsForWavesPerEU: 1
; NumVGPRsForWavesPerEU: 1
; Occupancy: 16
; WaveLimiterHint : 0
; COMPUTE_PGM_RSRC2:SCRATCH_EN: 0
; COMPUTE_PGM_RSRC2:USER_SGPR: 15
; COMPUTE_PGM_RSRC2:TRAP_HANDLER: 0
; COMPUTE_PGM_RSRC2:TGID_X_EN: 1
; COMPUTE_PGM_RSRC2:TGID_Y_EN: 0
; COMPUTE_PGM_RSRC2:TGID_Z_EN: 0
; COMPUTE_PGM_RSRC2:TIDIG_COMP_CNT: 0
	.section	.text._ZN7rocprim17ROCPRIM_400000_NS6detail17trampoline_kernelINS0_13select_configILj256ELj13ELNS0_17block_load_methodE3ELS4_3ELS4_3ELNS0_20block_scan_algorithmE0ELj4294967295EEENS1_25partition_config_selectorILNS1_17partition_subalgoE4EjNS0_10empty_typeEbEEZZNS1_14partition_implILS8_4ELb0ES6_15HIP_vector_typeIjLj2EENS0_17counting_iteratorIjlEEPS9_SG_NS0_5tupleIJPjSI_NS0_16reverse_iteratorISI_EEEEENSH_IJSG_SG_SG_EEES9_SI_JZNS1_25segmented_radix_sort_implINS0_14default_configELb1EPK12hip_bfloat16PSP_PKlPlN2at6native12_GLOBAL__N_18offset_tEEE10hipError_tPvRmT1_PNSt15iterator_traitsIS13_E10value_typeET2_T3_PNS14_IS19_E10value_typeET4_jRbjT5_S1F_jjP12ihipStream_tbEUljE_ZNSN_ISO_Lb1ESR_SS_SU_SV_SZ_EES10_S11_S12_S13_S17_S18_S19_S1C_S1D_jS1E_jS1F_S1F_jjS1H_bEUljE0_EEES10_S11_S12_S19_S1D_S1F_T6_T7_T9_mT8_S1H_bDpT10_ENKUlT_T0_E_clISt17integral_constantIbLb1EES1V_EEDaS1Q_S1R_EUlS1Q_E_NS1_11comp_targetILNS1_3genE5ELNS1_11target_archE942ELNS1_3gpuE9ELNS1_3repE0EEENS1_30default_config_static_selectorELNS0_4arch9wavefront6targetE0EEEvS13_,"axG",@progbits,_ZN7rocprim17ROCPRIM_400000_NS6detail17trampoline_kernelINS0_13select_configILj256ELj13ELNS0_17block_load_methodE3ELS4_3ELS4_3ELNS0_20block_scan_algorithmE0ELj4294967295EEENS1_25partition_config_selectorILNS1_17partition_subalgoE4EjNS0_10empty_typeEbEEZZNS1_14partition_implILS8_4ELb0ES6_15HIP_vector_typeIjLj2EENS0_17counting_iteratorIjlEEPS9_SG_NS0_5tupleIJPjSI_NS0_16reverse_iteratorISI_EEEEENSH_IJSG_SG_SG_EEES9_SI_JZNS1_25segmented_radix_sort_implINS0_14default_configELb1EPK12hip_bfloat16PSP_PKlPlN2at6native12_GLOBAL__N_18offset_tEEE10hipError_tPvRmT1_PNSt15iterator_traitsIS13_E10value_typeET2_T3_PNS14_IS19_E10value_typeET4_jRbjT5_S1F_jjP12ihipStream_tbEUljE_ZNSN_ISO_Lb1ESR_SS_SU_SV_SZ_EES10_S11_S12_S13_S17_S18_S19_S1C_S1D_jS1E_jS1F_S1F_jjS1H_bEUljE0_EEES10_S11_S12_S19_S1D_S1F_T6_T7_T9_mT8_S1H_bDpT10_ENKUlT_T0_E_clISt17integral_constantIbLb1EES1V_EEDaS1Q_S1R_EUlS1Q_E_NS1_11comp_targetILNS1_3genE5ELNS1_11target_archE942ELNS1_3gpuE9ELNS1_3repE0EEENS1_30default_config_static_selectorELNS0_4arch9wavefront6targetE0EEEvS13_,comdat
	.globl	_ZN7rocprim17ROCPRIM_400000_NS6detail17trampoline_kernelINS0_13select_configILj256ELj13ELNS0_17block_load_methodE3ELS4_3ELS4_3ELNS0_20block_scan_algorithmE0ELj4294967295EEENS1_25partition_config_selectorILNS1_17partition_subalgoE4EjNS0_10empty_typeEbEEZZNS1_14partition_implILS8_4ELb0ES6_15HIP_vector_typeIjLj2EENS0_17counting_iteratorIjlEEPS9_SG_NS0_5tupleIJPjSI_NS0_16reverse_iteratorISI_EEEEENSH_IJSG_SG_SG_EEES9_SI_JZNS1_25segmented_radix_sort_implINS0_14default_configELb1EPK12hip_bfloat16PSP_PKlPlN2at6native12_GLOBAL__N_18offset_tEEE10hipError_tPvRmT1_PNSt15iterator_traitsIS13_E10value_typeET2_T3_PNS14_IS19_E10value_typeET4_jRbjT5_S1F_jjP12ihipStream_tbEUljE_ZNSN_ISO_Lb1ESR_SS_SU_SV_SZ_EES10_S11_S12_S13_S17_S18_S19_S1C_S1D_jS1E_jS1F_S1F_jjS1H_bEUljE0_EEES10_S11_S12_S19_S1D_S1F_T6_T7_T9_mT8_S1H_bDpT10_ENKUlT_T0_E_clISt17integral_constantIbLb1EES1V_EEDaS1Q_S1R_EUlS1Q_E_NS1_11comp_targetILNS1_3genE5ELNS1_11target_archE942ELNS1_3gpuE9ELNS1_3repE0EEENS1_30default_config_static_selectorELNS0_4arch9wavefront6targetE0EEEvS13_ ; -- Begin function _ZN7rocprim17ROCPRIM_400000_NS6detail17trampoline_kernelINS0_13select_configILj256ELj13ELNS0_17block_load_methodE3ELS4_3ELS4_3ELNS0_20block_scan_algorithmE0ELj4294967295EEENS1_25partition_config_selectorILNS1_17partition_subalgoE4EjNS0_10empty_typeEbEEZZNS1_14partition_implILS8_4ELb0ES6_15HIP_vector_typeIjLj2EENS0_17counting_iteratorIjlEEPS9_SG_NS0_5tupleIJPjSI_NS0_16reverse_iteratorISI_EEEEENSH_IJSG_SG_SG_EEES9_SI_JZNS1_25segmented_radix_sort_implINS0_14default_configELb1EPK12hip_bfloat16PSP_PKlPlN2at6native12_GLOBAL__N_18offset_tEEE10hipError_tPvRmT1_PNSt15iterator_traitsIS13_E10value_typeET2_T3_PNS14_IS19_E10value_typeET4_jRbjT5_S1F_jjP12ihipStream_tbEUljE_ZNSN_ISO_Lb1ESR_SS_SU_SV_SZ_EES10_S11_S12_S13_S17_S18_S19_S1C_S1D_jS1E_jS1F_S1F_jjS1H_bEUljE0_EEES10_S11_S12_S19_S1D_S1F_T6_T7_T9_mT8_S1H_bDpT10_ENKUlT_T0_E_clISt17integral_constantIbLb1EES1V_EEDaS1Q_S1R_EUlS1Q_E_NS1_11comp_targetILNS1_3genE5ELNS1_11target_archE942ELNS1_3gpuE9ELNS1_3repE0EEENS1_30default_config_static_selectorELNS0_4arch9wavefront6targetE0EEEvS13_
	.p2align	8
	.type	_ZN7rocprim17ROCPRIM_400000_NS6detail17trampoline_kernelINS0_13select_configILj256ELj13ELNS0_17block_load_methodE3ELS4_3ELS4_3ELNS0_20block_scan_algorithmE0ELj4294967295EEENS1_25partition_config_selectorILNS1_17partition_subalgoE4EjNS0_10empty_typeEbEEZZNS1_14partition_implILS8_4ELb0ES6_15HIP_vector_typeIjLj2EENS0_17counting_iteratorIjlEEPS9_SG_NS0_5tupleIJPjSI_NS0_16reverse_iteratorISI_EEEEENSH_IJSG_SG_SG_EEES9_SI_JZNS1_25segmented_radix_sort_implINS0_14default_configELb1EPK12hip_bfloat16PSP_PKlPlN2at6native12_GLOBAL__N_18offset_tEEE10hipError_tPvRmT1_PNSt15iterator_traitsIS13_E10value_typeET2_T3_PNS14_IS19_E10value_typeET4_jRbjT5_S1F_jjP12ihipStream_tbEUljE_ZNSN_ISO_Lb1ESR_SS_SU_SV_SZ_EES10_S11_S12_S13_S17_S18_S19_S1C_S1D_jS1E_jS1F_S1F_jjS1H_bEUljE0_EEES10_S11_S12_S19_S1D_S1F_T6_T7_T9_mT8_S1H_bDpT10_ENKUlT_T0_E_clISt17integral_constantIbLb1EES1V_EEDaS1Q_S1R_EUlS1Q_E_NS1_11comp_targetILNS1_3genE5ELNS1_11target_archE942ELNS1_3gpuE9ELNS1_3repE0EEENS1_30default_config_static_selectorELNS0_4arch9wavefront6targetE0EEEvS13_,@function
_ZN7rocprim17ROCPRIM_400000_NS6detail17trampoline_kernelINS0_13select_configILj256ELj13ELNS0_17block_load_methodE3ELS4_3ELS4_3ELNS0_20block_scan_algorithmE0ELj4294967295EEENS1_25partition_config_selectorILNS1_17partition_subalgoE4EjNS0_10empty_typeEbEEZZNS1_14partition_implILS8_4ELb0ES6_15HIP_vector_typeIjLj2EENS0_17counting_iteratorIjlEEPS9_SG_NS0_5tupleIJPjSI_NS0_16reverse_iteratorISI_EEEEENSH_IJSG_SG_SG_EEES9_SI_JZNS1_25segmented_radix_sort_implINS0_14default_configELb1EPK12hip_bfloat16PSP_PKlPlN2at6native12_GLOBAL__N_18offset_tEEE10hipError_tPvRmT1_PNSt15iterator_traitsIS13_E10value_typeET2_T3_PNS14_IS19_E10value_typeET4_jRbjT5_S1F_jjP12ihipStream_tbEUljE_ZNSN_ISO_Lb1ESR_SS_SU_SV_SZ_EES10_S11_S12_S13_S17_S18_S19_S1C_S1D_jS1E_jS1F_S1F_jjS1H_bEUljE0_EEES10_S11_S12_S19_S1D_S1F_T6_T7_T9_mT8_S1H_bDpT10_ENKUlT_T0_E_clISt17integral_constantIbLb1EES1V_EEDaS1Q_S1R_EUlS1Q_E_NS1_11comp_targetILNS1_3genE5ELNS1_11target_archE942ELNS1_3gpuE9ELNS1_3repE0EEENS1_30default_config_static_selectorELNS0_4arch9wavefront6targetE0EEEvS13_: ; @_ZN7rocprim17ROCPRIM_400000_NS6detail17trampoline_kernelINS0_13select_configILj256ELj13ELNS0_17block_load_methodE3ELS4_3ELS4_3ELNS0_20block_scan_algorithmE0ELj4294967295EEENS1_25partition_config_selectorILNS1_17partition_subalgoE4EjNS0_10empty_typeEbEEZZNS1_14partition_implILS8_4ELb0ES6_15HIP_vector_typeIjLj2EENS0_17counting_iteratorIjlEEPS9_SG_NS0_5tupleIJPjSI_NS0_16reverse_iteratorISI_EEEEENSH_IJSG_SG_SG_EEES9_SI_JZNS1_25segmented_radix_sort_implINS0_14default_configELb1EPK12hip_bfloat16PSP_PKlPlN2at6native12_GLOBAL__N_18offset_tEEE10hipError_tPvRmT1_PNSt15iterator_traitsIS13_E10value_typeET2_T3_PNS14_IS19_E10value_typeET4_jRbjT5_S1F_jjP12ihipStream_tbEUljE_ZNSN_ISO_Lb1ESR_SS_SU_SV_SZ_EES10_S11_S12_S13_S17_S18_S19_S1C_S1D_jS1E_jS1F_S1F_jjS1H_bEUljE0_EEES10_S11_S12_S19_S1D_S1F_T6_T7_T9_mT8_S1H_bDpT10_ENKUlT_T0_E_clISt17integral_constantIbLb1EES1V_EEDaS1Q_S1R_EUlS1Q_E_NS1_11comp_targetILNS1_3genE5ELNS1_11target_archE942ELNS1_3gpuE9ELNS1_3repE0EEENS1_30default_config_static_selectorELNS0_4arch9wavefront6targetE0EEEvS13_
; %bb.0:
	.section	.rodata,"a",@progbits
	.p2align	6, 0x0
	.amdhsa_kernel _ZN7rocprim17ROCPRIM_400000_NS6detail17trampoline_kernelINS0_13select_configILj256ELj13ELNS0_17block_load_methodE3ELS4_3ELS4_3ELNS0_20block_scan_algorithmE0ELj4294967295EEENS1_25partition_config_selectorILNS1_17partition_subalgoE4EjNS0_10empty_typeEbEEZZNS1_14partition_implILS8_4ELb0ES6_15HIP_vector_typeIjLj2EENS0_17counting_iteratorIjlEEPS9_SG_NS0_5tupleIJPjSI_NS0_16reverse_iteratorISI_EEEEENSH_IJSG_SG_SG_EEES9_SI_JZNS1_25segmented_radix_sort_implINS0_14default_configELb1EPK12hip_bfloat16PSP_PKlPlN2at6native12_GLOBAL__N_18offset_tEEE10hipError_tPvRmT1_PNSt15iterator_traitsIS13_E10value_typeET2_T3_PNS14_IS19_E10value_typeET4_jRbjT5_S1F_jjP12ihipStream_tbEUljE_ZNSN_ISO_Lb1ESR_SS_SU_SV_SZ_EES10_S11_S12_S13_S17_S18_S19_S1C_S1D_jS1E_jS1F_S1F_jjS1H_bEUljE0_EEES10_S11_S12_S19_S1D_S1F_T6_T7_T9_mT8_S1H_bDpT10_ENKUlT_T0_E_clISt17integral_constantIbLb1EES1V_EEDaS1Q_S1R_EUlS1Q_E_NS1_11comp_targetILNS1_3genE5ELNS1_11target_archE942ELNS1_3gpuE9ELNS1_3repE0EEENS1_30default_config_static_selectorELNS0_4arch9wavefront6targetE0EEEvS13_
		.amdhsa_group_segment_fixed_size 0
		.amdhsa_private_segment_fixed_size 0
		.amdhsa_kernarg_size 184
		.amdhsa_user_sgpr_count 15
		.amdhsa_user_sgpr_dispatch_ptr 0
		.amdhsa_user_sgpr_queue_ptr 0
		.amdhsa_user_sgpr_kernarg_segment_ptr 1
		.amdhsa_user_sgpr_dispatch_id 0
		.amdhsa_user_sgpr_private_segment_size 0
		.amdhsa_wavefront_size32 1
		.amdhsa_uses_dynamic_stack 0
		.amdhsa_enable_private_segment 0
		.amdhsa_system_sgpr_workgroup_id_x 1
		.amdhsa_system_sgpr_workgroup_id_y 0
		.amdhsa_system_sgpr_workgroup_id_z 0
		.amdhsa_system_sgpr_workgroup_info 0
		.amdhsa_system_vgpr_workitem_id 0
		.amdhsa_next_free_vgpr 1
		.amdhsa_next_free_sgpr 1
		.amdhsa_reserve_vcc 0
		.amdhsa_float_round_mode_32 0
		.amdhsa_float_round_mode_16_64 0
		.amdhsa_float_denorm_mode_32 3
		.amdhsa_float_denorm_mode_16_64 3
		.amdhsa_dx10_clamp 1
		.amdhsa_ieee_mode 1
		.amdhsa_fp16_overflow 0
		.amdhsa_workgroup_processor_mode 1
		.amdhsa_memory_ordered 1
		.amdhsa_forward_progress 0
		.amdhsa_shared_vgpr_count 0
		.amdhsa_exception_fp_ieee_invalid_op 0
		.amdhsa_exception_fp_denorm_src 0
		.amdhsa_exception_fp_ieee_div_zero 0
		.amdhsa_exception_fp_ieee_overflow 0
		.amdhsa_exception_fp_ieee_underflow 0
		.amdhsa_exception_fp_ieee_inexact 0
		.amdhsa_exception_int_div_zero 0
	.end_amdhsa_kernel
	.section	.text._ZN7rocprim17ROCPRIM_400000_NS6detail17trampoline_kernelINS0_13select_configILj256ELj13ELNS0_17block_load_methodE3ELS4_3ELS4_3ELNS0_20block_scan_algorithmE0ELj4294967295EEENS1_25partition_config_selectorILNS1_17partition_subalgoE4EjNS0_10empty_typeEbEEZZNS1_14partition_implILS8_4ELb0ES6_15HIP_vector_typeIjLj2EENS0_17counting_iteratorIjlEEPS9_SG_NS0_5tupleIJPjSI_NS0_16reverse_iteratorISI_EEEEENSH_IJSG_SG_SG_EEES9_SI_JZNS1_25segmented_radix_sort_implINS0_14default_configELb1EPK12hip_bfloat16PSP_PKlPlN2at6native12_GLOBAL__N_18offset_tEEE10hipError_tPvRmT1_PNSt15iterator_traitsIS13_E10value_typeET2_T3_PNS14_IS19_E10value_typeET4_jRbjT5_S1F_jjP12ihipStream_tbEUljE_ZNSN_ISO_Lb1ESR_SS_SU_SV_SZ_EES10_S11_S12_S13_S17_S18_S19_S1C_S1D_jS1E_jS1F_S1F_jjS1H_bEUljE0_EEES10_S11_S12_S19_S1D_S1F_T6_T7_T9_mT8_S1H_bDpT10_ENKUlT_T0_E_clISt17integral_constantIbLb1EES1V_EEDaS1Q_S1R_EUlS1Q_E_NS1_11comp_targetILNS1_3genE5ELNS1_11target_archE942ELNS1_3gpuE9ELNS1_3repE0EEENS1_30default_config_static_selectorELNS0_4arch9wavefront6targetE0EEEvS13_,"axG",@progbits,_ZN7rocprim17ROCPRIM_400000_NS6detail17trampoline_kernelINS0_13select_configILj256ELj13ELNS0_17block_load_methodE3ELS4_3ELS4_3ELNS0_20block_scan_algorithmE0ELj4294967295EEENS1_25partition_config_selectorILNS1_17partition_subalgoE4EjNS0_10empty_typeEbEEZZNS1_14partition_implILS8_4ELb0ES6_15HIP_vector_typeIjLj2EENS0_17counting_iteratorIjlEEPS9_SG_NS0_5tupleIJPjSI_NS0_16reverse_iteratorISI_EEEEENSH_IJSG_SG_SG_EEES9_SI_JZNS1_25segmented_radix_sort_implINS0_14default_configELb1EPK12hip_bfloat16PSP_PKlPlN2at6native12_GLOBAL__N_18offset_tEEE10hipError_tPvRmT1_PNSt15iterator_traitsIS13_E10value_typeET2_T3_PNS14_IS19_E10value_typeET4_jRbjT5_S1F_jjP12ihipStream_tbEUljE_ZNSN_ISO_Lb1ESR_SS_SU_SV_SZ_EES10_S11_S12_S13_S17_S18_S19_S1C_S1D_jS1E_jS1F_S1F_jjS1H_bEUljE0_EEES10_S11_S12_S19_S1D_S1F_T6_T7_T9_mT8_S1H_bDpT10_ENKUlT_T0_E_clISt17integral_constantIbLb1EES1V_EEDaS1Q_S1R_EUlS1Q_E_NS1_11comp_targetILNS1_3genE5ELNS1_11target_archE942ELNS1_3gpuE9ELNS1_3repE0EEENS1_30default_config_static_selectorELNS0_4arch9wavefront6targetE0EEEvS13_,comdat
.Lfunc_end1891:
	.size	_ZN7rocprim17ROCPRIM_400000_NS6detail17trampoline_kernelINS0_13select_configILj256ELj13ELNS0_17block_load_methodE3ELS4_3ELS4_3ELNS0_20block_scan_algorithmE0ELj4294967295EEENS1_25partition_config_selectorILNS1_17partition_subalgoE4EjNS0_10empty_typeEbEEZZNS1_14partition_implILS8_4ELb0ES6_15HIP_vector_typeIjLj2EENS0_17counting_iteratorIjlEEPS9_SG_NS0_5tupleIJPjSI_NS0_16reverse_iteratorISI_EEEEENSH_IJSG_SG_SG_EEES9_SI_JZNS1_25segmented_radix_sort_implINS0_14default_configELb1EPK12hip_bfloat16PSP_PKlPlN2at6native12_GLOBAL__N_18offset_tEEE10hipError_tPvRmT1_PNSt15iterator_traitsIS13_E10value_typeET2_T3_PNS14_IS19_E10value_typeET4_jRbjT5_S1F_jjP12ihipStream_tbEUljE_ZNSN_ISO_Lb1ESR_SS_SU_SV_SZ_EES10_S11_S12_S13_S17_S18_S19_S1C_S1D_jS1E_jS1F_S1F_jjS1H_bEUljE0_EEES10_S11_S12_S19_S1D_S1F_T6_T7_T9_mT8_S1H_bDpT10_ENKUlT_T0_E_clISt17integral_constantIbLb1EES1V_EEDaS1Q_S1R_EUlS1Q_E_NS1_11comp_targetILNS1_3genE5ELNS1_11target_archE942ELNS1_3gpuE9ELNS1_3repE0EEENS1_30default_config_static_selectorELNS0_4arch9wavefront6targetE0EEEvS13_, .Lfunc_end1891-_ZN7rocprim17ROCPRIM_400000_NS6detail17trampoline_kernelINS0_13select_configILj256ELj13ELNS0_17block_load_methodE3ELS4_3ELS4_3ELNS0_20block_scan_algorithmE0ELj4294967295EEENS1_25partition_config_selectorILNS1_17partition_subalgoE4EjNS0_10empty_typeEbEEZZNS1_14partition_implILS8_4ELb0ES6_15HIP_vector_typeIjLj2EENS0_17counting_iteratorIjlEEPS9_SG_NS0_5tupleIJPjSI_NS0_16reverse_iteratorISI_EEEEENSH_IJSG_SG_SG_EEES9_SI_JZNS1_25segmented_radix_sort_implINS0_14default_configELb1EPK12hip_bfloat16PSP_PKlPlN2at6native12_GLOBAL__N_18offset_tEEE10hipError_tPvRmT1_PNSt15iterator_traitsIS13_E10value_typeET2_T3_PNS14_IS19_E10value_typeET4_jRbjT5_S1F_jjP12ihipStream_tbEUljE_ZNSN_ISO_Lb1ESR_SS_SU_SV_SZ_EES10_S11_S12_S13_S17_S18_S19_S1C_S1D_jS1E_jS1F_S1F_jjS1H_bEUljE0_EEES10_S11_S12_S19_S1D_S1F_T6_T7_T9_mT8_S1H_bDpT10_ENKUlT_T0_E_clISt17integral_constantIbLb1EES1V_EEDaS1Q_S1R_EUlS1Q_E_NS1_11comp_targetILNS1_3genE5ELNS1_11target_archE942ELNS1_3gpuE9ELNS1_3repE0EEENS1_30default_config_static_selectorELNS0_4arch9wavefront6targetE0EEEvS13_
                                        ; -- End function
	.section	.AMDGPU.csdata,"",@progbits
; Kernel info:
; codeLenInByte = 0
; NumSgprs: 0
; NumVgprs: 0
; ScratchSize: 0
; MemoryBound: 0
; FloatMode: 240
; IeeeMode: 1
; LDSByteSize: 0 bytes/workgroup (compile time only)
; SGPRBlocks: 0
; VGPRBlocks: 0
; NumSGPRsForWavesPerEU: 1
; NumVGPRsForWavesPerEU: 1
; Occupancy: 16
; WaveLimiterHint : 0
; COMPUTE_PGM_RSRC2:SCRATCH_EN: 0
; COMPUTE_PGM_RSRC2:USER_SGPR: 15
; COMPUTE_PGM_RSRC2:TRAP_HANDLER: 0
; COMPUTE_PGM_RSRC2:TGID_X_EN: 1
; COMPUTE_PGM_RSRC2:TGID_Y_EN: 0
; COMPUTE_PGM_RSRC2:TGID_Z_EN: 0
; COMPUTE_PGM_RSRC2:TIDIG_COMP_CNT: 0
	.section	.text._ZN7rocprim17ROCPRIM_400000_NS6detail17trampoline_kernelINS0_13select_configILj256ELj13ELNS0_17block_load_methodE3ELS4_3ELS4_3ELNS0_20block_scan_algorithmE0ELj4294967295EEENS1_25partition_config_selectorILNS1_17partition_subalgoE4EjNS0_10empty_typeEbEEZZNS1_14partition_implILS8_4ELb0ES6_15HIP_vector_typeIjLj2EENS0_17counting_iteratorIjlEEPS9_SG_NS0_5tupleIJPjSI_NS0_16reverse_iteratorISI_EEEEENSH_IJSG_SG_SG_EEES9_SI_JZNS1_25segmented_radix_sort_implINS0_14default_configELb1EPK12hip_bfloat16PSP_PKlPlN2at6native12_GLOBAL__N_18offset_tEEE10hipError_tPvRmT1_PNSt15iterator_traitsIS13_E10value_typeET2_T3_PNS14_IS19_E10value_typeET4_jRbjT5_S1F_jjP12ihipStream_tbEUljE_ZNSN_ISO_Lb1ESR_SS_SU_SV_SZ_EES10_S11_S12_S13_S17_S18_S19_S1C_S1D_jS1E_jS1F_S1F_jjS1H_bEUljE0_EEES10_S11_S12_S19_S1D_S1F_T6_T7_T9_mT8_S1H_bDpT10_ENKUlT_T0_E_clISt17integral_constantIbLb1EES1V_EEDaS1Q_S1R_EUlS1Q_E_NS1_11comp_targetILNS1_3genE4ELNS1_11target_archE910ELNS1_3gpuE8ELNS1_3repE0EEENS1_30default_config_static_selectorELNS0_4arch9wavefront6targetE0EEEvS13_,"axG",@progbits,_ZN7rocprim17ROCPRIM_400000_NS6detail17trampoline_kernelINS0_13select_configILj256ELj13ELNS0_17block_load_methodE3ELS4_3ELS4_3ELNS0_20block_scan_algorithmE0ELj4294967295EEENS1_25partition_config_selectorILNS1_17partition_subalgoE4EjNS0_10empty_typeEbEEZZNS1_14partition_implILS8_4ELb0ES6_15HIP_vector_typeIjLj2EENS0_17counting_iteratorIjlEEPS9_SG_NS0_5tupleIJPjSI_NS0_16reverse_iteratorISI_EEEEENSH_IJSG_SG_SG_EEES9_SI_JZNS1_25segmented_radix_sort_implINS0_14default_configELb1EPK12hip_bfloat16PSP_PKlPlN2at6native12_GLOBAL__N_18offset_tEEE10hipError_tPvRmT1_PNSt15iterator_traitsIS13_E10value_typeET2_T3_PNS14_IS19_E10value_typeET4_jRbjT5_S1F_jjP12ihipStream_tbEUljE_ZNSN_ISO_Lb1ESR_SS_SU_SV_SZ_EES10_S11_S12_S13_S17_S18_S19_S1C_S1D_jS1E_jS1F_S1F_jjS1H_bEUljE0_EEES10_S11_S12_S19_S1D_S1F_T6_T7_T9_mT8_S1H_bDpT10_ENKUlT_T0_E_clISt17integral_constantIbLb1EES1V_EEDaS1Q_S1R_EUlS1Q_E_NS1_11comp_targetILNS1_3genE4ELNS1_11target_archE910ELNS1_3gpuE8ELNS1_3repE0EEENS1_30default_config_static_selectorELNS0_4arch9wavefront6targetE0EEEvS13_,comdat
	.globl	_ZN7rocprim17ROCPRIM_400000_NS6detail17trampoline_kernelINS0_13select_configILj256ELj13ELNS0_17block_load_methodE3ELS4_3ELS4_3ELNS0_20block_scan_algorithmE0ELj4294967295EEENS1_25partition_config_selectorILNS1_17partition_subalgoE4EjNS0_10empty_typeEbEEZZNS1_14partition_implILS8_4ELb0ES6_15HIP_vector_typeIjLj2EENS0_17counting_iteratorIjlEEPS9_SG_NS0_5tupleIJPjSI_NS0_16reverse_iteratorISI_EEEEENSH_IJSG_SG_SG_EEES9_SI_JZNS1_25segmented_radix_sort_implINS0_14default_configELb1EPK12hip_bfloat16PSP_PKlPlN2at6native12_GLOBAL__N_18offset_tEEE10hipError_tPvRmT1_PNSt15iterator_traitsIS13_E10value_typeET2_T3_PNS14_IS19_E10value_typeET4_jRbjT5_S1F_jjP12ihipStream_tbEUljE_ZNSN_ISO_Lb1ESR_SS_SU_SV_SZ_EES10_S11_S12_S13_S17_S18_S19_S1C_S1D_jS1E_jS1F_S1F_jjS1H_bEUljE0_EEES10_S11_S12_S19_S1D_S1F_T6_T7_T9_mT8_S1H_bDpT10_ENKUlT_T0_E_clISt17integral_constantIbLb1EES1V_EEDaS1Q_S1R_EUlS1Q_E_NS1_11comp_targetILNS1_3genE4ELNS1_11target_archE910ELNS1_3gpuE8ELNS1_3repE0EEENS1_30default_config_static_selectorELNS0_4arch9wavefront6targetE0EEEvS13_ ; -- Begin function _ZN7rocprim17ROCPRIM_400000_NS6detail17trampoline_kernelINS0_13select_configILj256ELj13ELNS0_17block_load_methodE3ELS4_3ELS4_3ELNS0_20block_scan_algorithmE0ELj4294967295EEENS1_25partition_config_selectorILNS1_17partition_subalgoE4EjNS0_10empty_typeEbEEZZNS1_14partition_implILS8_4ELb0ES6_15HIP_vector_typeIjLj2EENS0_17counting_iteratorIjlEEPS9_SG_NS0_5tupleIJPjSI_NS0_16reverse_iteratorISI_EEEEENSH_IJSG_SG_SG_EEES9_SI_JZNS1_25segmented_radix_sort_implINS0_14default_configELb1EPK12hip_bfloat16PSP_PKlPlN2at6native12_GLOBAL__N_18offset_tEEE10hipError_tPvRmT1_PNSt15iterator_traitsIS13_E10value_typeET2_T3_PNS14_IS19_E10value_typeET4_jRbjT5_S1F_jjP12ihipStream_tbEUljE_ZNSN_ISO_Lb1ESR_SS_SU_SV_SZ_EES10_S11_S12_S13_S17_S18_S19_S1C_S1D_jS1E_jS1F_S1F_jjS1H_bEUljE0_EEES10_S11_S12_S19_S1D_S1F_T6_T7_T9_mT8_S1H_bDpT10_ENKUlT_T0_E_clISt17integral_constantIbLb1EES1V_EEDaS1Q_S1R_EUlS1Q_E_NS1_11comp_targetILNS1_3genE4ELNS1_11target_archE910ELNS1_3gpuE8ELNS1_3repE0EEENS1_30default_config_static_selectorELNS0_4arch9wavefront6targetE0EEEvS13_
	.p2align	8
	.type	_ZN7rocprim17ROCPRIM_400000_NS6detail17trampoline_kernelINS0_13select_configILj256ELj13ELNS0_17block_load_methodE3ELS4_3ELS4_3ELNS0_20block_scan_algorithmE0ELj4294967295EEENS1_25partition_config_selectorILNS1_17partition_subalgoE4EjNS0_10empty_typeEbEEZZNS1_14partition_implILS8_4ELb0ES6_15HIP_vector_typeIjLj2EENS0_17counting_iteratorIjlEEPS9_SG_NS0_5tupleIJPjSI_NS0_16reverse_iteratorISI_EEEEENSH_IJSG_SG_SG_EEES9_SI_JZNS1_25segmented_radix_sort_implINS0_14default_configELb1EPK12hip_bfloat16PSP_PKlPlN2at6native12_GLOBAL__N_18offset_tEEE10hipError_tPvRmT1_PNSt15iterator_traitsIS13_E10value_typeET2_T3_PNS14_IS19_E10value_typeET4_jRbjT5_S1F_jjP12ihipStream_tbEUljE_ZNSN_ISO_Lb1ESR_SS_SU_SV_SZ_EES10_S11_S12_S13_S17_S18_S19_S1C_S1D_jS1E_jS1F_S1F_jjS1H_bEUljE0_EEES10_S11_S12_S19_S1D_S1F_T6_T7_T9_mT8_S1H_bDpT10_ENKUlT_T0_E_clISt17integral_constantIbLb1EES1V_EEDaS1Q_S1R_EUlS1Q_E_NS1_11comp_targetILNS1_3genE4ELNS1_11target_archE910ELNS1_3gpuE8ELNS1_3repE0EEENS1_30default_config_static_selectorELNS0_4arch9wavefront6targetE0EEEvS13_,@function
_ZN7rocprim17ROCPRIM_400000_NS6detail17trampoline_kernelINS0_13select_configILj256ELj13ELNS0_17block_load_methodE3ELS4_3ELS4_3ELNS0_20block_scan_algorithmE0ELj4294967295EEENS1_25partition_config_selectorILNS1_17partition_subalgoE4EjNS0_10empty_typeEbEEZZNS1_14partition_implILS8_4ELb0ES6_15HIP_vector_typeIjLj2EENS0_17counting_iteratorIjlEEPS9_SG_NS0_5tupleIJPjSI_NS0_16reverse_iteratorISI_EEEEENSH_IJSG_SG_SG_EEES9_SI_JZNS1_25segmented_radix_sort_implINS0_14default_configELb1EPK12hip_bfloat16PSP_PKlPlN2at6native12_GLOBAL__N_18offset_tEEE10hipError_tPvRmT1_PNSt15iterator_traitsIS13_E10value_typeET2_T3_PNS14_IS19_E10value_typeET4_jRbjT5_S1F_jjP12ihipStream_tbEUljE_ZNSN_ISO_Lb1ESR_SS_SU_SV_SZ_EES10_S11_S12_S13_S17_S18_S19_S1C_S1D_jS1E_jS1F_S1F_jjS1H_bEUljE0_EEES10_S11_S12_S19_S1D_S1F_T6_T7_T9_mT8_S1H_bDpT10_ENKUlT_T0_E_clISt17integral_constantIbLb1EES1V_EEDaS1Q_S1R_EUlS1Q_E_NS1_11comp_targetILNS1_3genE4ELNS1_11target_archE910ELNS1_3gpuE8ELNS1_3repE0EEENS1_30default_config_static_selectorELNS0_4arch9wavefront6targetE0EEEvS13_: ; @_ZN7rocprim17ROCPRIM_400000_NS6detail17trampoline_kernelINS0_13select_configILj256ELj13ELNS0_17block_load_methodE3ELS4_3ELS4_3ELNS0_20block_scan_algorithmE0ELj4294967295EEENS1_25partition_config_selectorILNS1_17partition_subalgoE4EjNS0_10empty_typeEbEEZZNS1_14partition_implILS8_4ELb0ES6_15HIP_vector_typeIjLj2EENS0_17counting_iteratorIjlEEPS9_SG_NS0_5tupleIJPjSI_NS0_16reverse_iteratorISI_EEEEENSH_IJSG_SG_SG_EEES9_SI_JZNS1_25segmented_radix_sort_implINS0_14default_configELb1EPK12hip_bfloat16PSP_PKlPlN2at6native12_GLOBAL__N_18offset_tEEE10hipError_tPvRmT1_PNSt15iterator_traitsIS13_E10value_typeET2_T3_PNS14_IS19_E10value_typeET4_jRbjT5_S1F_jjP12ihipStream_tbEUljE_ZNSN_ISO_Lb1ESR_SS_SU_SV_SZ_EES10_S11_S12_S13_S17_S18_S19_S1C_S1D_jS1E_jS1F_S1F_jjS1H_bEUljE0_EEES10_S11_S12_S19_S1D_S1F_T6_T7_T9_mT8_S1H_bDpT10_ENKUlT_T0_E_clISt17integral_constantIbLb1EES1V_EEDaS1Q_S1R_EUlS1Q_E_NS1_11comp_targetILNS1_3genE4ELNS1_11target_archE910ELNS1_3gpuE8ELNS1_3repE0EEENS1_30default_config_static_selectorELNS0_4arch9wavefront6targetE0EEEvS13_
; %bb.0:
	.section	.rodata,"a",@progbits
	.p2align	6, 0x0
	.amdhsa_kernel _ZN7rocprim17ROCPRIM_400000_NS6detail17trampoline_kernelINS0_13select_configILj256ELj13ELNS0_17block_load_methodE3ELS4_3ELS4_3ELNS0_20block_scan_algorithmE0ELj4294967295EEENS1_25partition_config_selectorILNS1_17partition_subalgoE4EjNS0_10empty_typeEbEEZZNS1_14partition_implILS8_4ELb0ES6_15HIP_vector_typeIjLj2EENS0_17counting_iteratorIjlEEPS9_SG_NS0_5tupleIJPjSI_NS0_16reverse_iteratorISI_EEEEENSH_IJSG_SG_SG_EEES9_SI_JZNS1_25segmented_radix_sort_implINS0_14default_configELb1EPK12hip_bfloat16PSP_PKlPlN2at6native12_GLOBAL__N_18offset_tEEE10hipError_tPvRmT1_PNSt15iterator_traitsIS13_E10value_typeET2_T3_PNS14_IS19_E10value_typeET4_jRbjT5_S1F_jjP12ihipStream_tbEUljE_ZNSN_ISO_Lb1ESR_SS_SU_SV_SZ_EES10_S11_S12_S13_S17_S18_S19_S1C_S1D_jS1E_jS1F_S1F_jjS1H_bEUljE0_EEES10_S11_S12_S19_S1D_S1F_T6_T7_T9_mT8_S1H_bDpT10_ENKUlT_T0_E_clISt17integral_constantIbLb1EES1V_EEDaS1Q_S1R_EUlS1Q_E_NS1_11comp_targetILNS1_3genE4ELNS1_11target_archE910ELNS1_3gpuE8ELNS1_3repE0EEENS1_30default_config_static_selectorELNS0_4arch9wavefront6targetE0EEEvS13_
		.amdhsa_group_segment_fixed_size 0
		.amdhsa_private_segment_fixed_size 0
		.amdhsa_kernarg_size 184
		.amdhsa_user_sgpr_count 15
		.amdhsa_user_sgpr_dispatch_ptr 0
		.amdhsa_user_sgpr_queue_ptr 0
		.amdhsa_user_sgpr_kernarg_segment_ptr 1
		.amdhsa_user_sgpr_dispatch_id 0
		.amdhsa_user_sgpr_private_segment_size 0
		.amdhsa_wavefront_size32 1
		.amdhsa_uses_dynamic_stack 0
		.amdhsa_enable_private_segment 0
		.amdhsa_system_sgpr_workgroup_id_x 1
		.amdhsa_system_sgpr_workgroup_id_y 0
		.amdhsa_system_sgpr_workgroup_id_z 0
		.amdhsa_system_sgpr_workgroup_info 0
		.amdhsa_system_vgpr_workitem_id 0
		.amdhsa_next_free_vgpr 1
		.amdhsa_next_free_sgpr 1
		.amdhsa_reserve_vcc 0
		.amdhsa_float_round_mode_32 0
		.amdhsa_float_round_mode_16_64 0
		.amdhsa_float_denorm_mode_32 3
		.amdhsa_float_denorm_mode_16_64 3
		.amdhsa_dx10_clamp 1
		.amdhsa_ieee_mode 1
		.amdhsa_fp16_overflow 0
		.amdhsa_workgroup_processor_mode 1
		.amdhsa_memory_ordered 1
		.amdhsa_forward_progress 0
		.amdhsa_shared_vgpr_count 0
		.amdhsa_exception_fp_ieee_invalid_op 0
		.amdhsa_exception_fp_denorm_src 0
		.amdhsa_exception_fp_ieee_div_zero 0
		.amdhsa_exception_fp_ieee_overflow 0
		.amdhsa_exception_fp_ieee_underflow 0
		.amdhsa_exception_fp_ieee_inexact 0
		.amdhsa_exception_int_div_zero 0
	.end_amdhsa_kernel
	.section	.text._ZN7rocprim17ROCPRIM_400000_NS6detail17trampoline_kernelINS0_13select_configILj256ELj13ELNS0_17block_load_methodE3ELS4_3ELS4_3ELNS0_20block_scan_algorithmE0ELj4294967295EEENS1_25partition_config_selectorILNS1_17partition_subalgoE4EjNS0_10empty_typeEbEEZZNS1_14partition_implILS8_4ELb0ES6_15HIP_vector_typeIjLj2EENS0_17counting_iteratorIjlEEPS9_SG_NS0_5tupleIJPjSI_NS0_16reverse_iteratorISI_EEEEENSH_IJSG_SG_SG_EEES9_SI_JZNS1_25segmented_radix_sort_implINS0_14default_configELb1EPK12hip_bfloat16PSP_PKlPlN2at6native12_GLOBAL__N_18offset_tEEE10hipError_tPvRmT1_PNSt15iterator_traitsIS13_E10value_typeET2_T3_PNS14_IS19_E10value_typeET4_jRbjT5_S1F_jjP12ihipStream_tbEUljE_ZNSN_ISO_Lb1ESR_SS_SU_SV_SZ_EES10_S11_S12_S13_S17_S18_S19_S1C_S1D_jS1E_jS1F_S1F_jjS1H_bEUljE0_EEES10_S11_S12_S19_S1D_S1F_T6_T7_T9_mT8_S1H_bDpT10_ENKUlT_T0_E_clISt17integral_constantIbLb1EES1V_EEDaS1Q_S1R_EUlS1Q_E_NS1_11comp_targetILNS1_3genE4ELNS1_11target_archE910ELNS1_3gpuE8ELNS1_3repE0EEENS1_30default_config_static_selectorELNS0_4arch9wavefront6targetE0EEEvS13_,"axG",@progbits,_ZN7rocprim17ROCPRIM_400000_NS6detail17trampoline_kernelINS0_13select_configILj256ELj13ELNS0_17block_load_methodE3ELS4_3ELS4_3ELNS0_20block_scan_algorithmE0ELj4294967295EEENS1_25partition_config_selectorILNS1_17partition_subalgoE4EjNS0_10empty_typeEbEEZZNS1_14partition_implILS8_4ELb0ES6_15HIP_vector_typeIjLj2EENS0_17counting_iteratorIjlEEPS9_SG_NS0_5tupleIJPjSI_NS0_16reverse_iteratorISI_EEEEENSH_IJSG_SG_SG_EEES9_SI_JZNS1_25segmented_radix_sort_implINS0_14default_configELb1EPK12hip_bfloat16PSP_PKlPlN2at6native12_GLOBAL__N_18offset_tEEE10hipError_tPvRmT1_PNSt15iterator_traitsIS13_E10value_typeET2_T3_PNS14_IS19_E10value_typeET4_jRbjT5_S1F_jjP12ihipStream_tbEUljE_ZNSN_ISO_Lb1ESR_SS_SU_SV_SZ_EES10_S11_S12_S13_S17_S18_S19_S1C_S1D_jS1E_jS1F_S1F_jjS1H_bEUljE0_EEES10_S11_S12_S19_S1D_S1F_T6_T7_T9_mT8_S1H_bDpT10_ENKUlT_T0_E_clISt17integral_constantIbLb1EES1V_EEDaS1Q_S1R_EUlS1Q_E_NS1_11comp_targetILNS1_3genE4ELNS1_11target_archE910ELNS1_3gpuE8ELNS1_3repE0EEENS1_30default_config_static_selectorELNS0_4arch9wavefront6targetE0EEEvS13_,comdat
.Lfunc_end1892:
	.size	_ZN7rocprim17ROCPRIM_400000_NS6detail17trampoline_kernelINS0_13select_configILj256ELj13ELNS0_17block_load_methodE3ELS4_3ELS4_3ELNS0_20block_scan_algorithmE0ELj4294967295EEENS1_25partition_config_selectorILNS1_17partition_subalgoE4EjNS0_10empty_typeEbEEZZNS1_14partition_implILS8_4ELb0ES6_15HIP_vector_typeIjLj2EENS0_17counting_iteratorIjlEEPS9_SG_NS0_5tupleIJPjSI_NS0_16reverse_iteratorISI_EEEEENSH_IJSG_SG_SG_EEES9_SI_JZNS1_25segmented_radix_sort_implINS0_14default_configELb1EPK12hip_bfloat16PSP_PKlPlN2at6native12_GLOBAL__N_18offset_tEEE10hipError_tPvRmT1_PNSt15iterator_traitsIS13_E10value_typeET2_T3_PNS14_IS19_E10value_typeET4_jRbjT5_S1F_jjP12ihipStream_tbEUljE_ZNSN_ISO_Lb1ESR_SS_SU_SV_SZ_EES10_S11_S12_S13_S17_S18_S19_S1C_S1D_jS1E_jS1F_S1F_jjS1H_bEUljE0_EEES10_S11_S12_S19_S1D_S1F_T6_T7_T9_mT8_S1H_bDpT10_ENKUlT_T0_E_clISt17integral_constantIbLb1EES1V_EEDaS1Q_S1R_EUlS1Q_E_NS1_11comp_targetILNS1_3genE4ELNS1_11target_archE910ELNS1_3gpuE8ELNS1_3repE0EEENS1_30default_config_static_selectorELNS0_4arch9wavefront6targetE0EEEvS13_, .Lfunc_end1892-_ZN7rocprim17ROCPRIM_400000_NS6detail17trampoline_kernelINS0_13select_configILj256ELj13ELNS0_17block_load_methodE3ELS4_3ELS4_3ELNS0_20block_scan_algorithmE0ELj4294967295EEENS1_25partition_config_selectorILNS1_17partition_subalgoE4EjNS0_10empty_typeEbEEZZNS1_14partition_implILS8_4ELb0ES6_15HIP_vector_typeIjLj2EENS0_17counting_iteratorIjlEEPS9_SG_NS0_5tupleIJPjSI_NS0_16reverse_iteratorISI_EEEEENSH_IJSG_SG_SG_EEES9_SI_JZNS1_25segmented_radix_sort_implINS0_14default_configELb1EPK12hip_bfloat16PSP_PKlPlN2at6native12_GLOBAL__N_18offset_tEEE10hipError_tPvRmT1_PNSt15iterator_traitsIS13_E10value_typeET2_T3_PNS14_IS19_E10value_typeET4_jRbjT5_S1F_jjP12ihipStream_tbEUljE_ZNSN_ISO_Lb1ESR_SS_SU_SV_SZ_EES10_S11_S12_S13_S17_S18_S19_S1C_S1D_jS1E_jS1F_S1F_jjS1H_bEUljE0_EEES10_S11_S12_S19_S1D_S1F_T6_T7_T9_mT8_S1H_bDpT10_ENKUlT_T0_E_clISt17integral_constantIbLb1EES1V_EEDaS1Q_S1R_EUlS1Q_E_NS1_11comp_targetILNS1_3genE4ELNS1_11target_archE910ELNS1_3gpuE8ELNS1_3repE0EEENS1_30default_config_static_selectorELNS0_4arch9wavefront6targetE0EEEvS13_
                                        ; -- End function
	.section	.AMDGPU.csdata,"",@progbits
; Kernel info:
; codeLenInByte = 0
; NumSgprs: 0
; NumVgprs: 0
; ScratchSize: 0
; MemoryBound: 0
; FloatMode: 240
; IeeeMode: 1
; LDSByteSize: 0 bytes/workgroup (compile time only)
; SGPRBlocks: 0
; VGPRBlocks: 0
; NumSGPRsForWavesPerEU: 1
; NumVGPRsForWavesPerEU: 1
; Occupancy: 16
; WaveLimiterHint : 0
; COMPUTE_PGM_RSRC2:SCRATCH_EN: 0
; COMPUTE_PGM_RSRC2:USER_SGPR: 15
; COMPUTE_PGM_RSRC2:TRAP_HANDLER: 0
; COMPUTE_PGM_RSRC2:TGID_X_EN: 1
; COMPUTE_PGM_RSRC2:TGID_Y_EN: 0
; COMPUTE_PGM_RSRC2:TGID_Z_EN: 0
; COMPUTE_PGM_RSRC2:TIDIG_COMP_CNT: 0
	.section	.text._ZN7rocprim17ROCPRIM_400000_NS6detail17trampoline_kernelINS0_13select_configILj256ELj13ELNS0_17block_load_methodE3ELS4_3ELS4_3ELNS0_20block_scan_algorithmE0ELj4294967295EEENS1_25partition_config_selectorILNS1_17partition_subalgoE4EjNS0_10empty_typeEbEEZZNS1_14partition_implILS8_4ELb0ES6_15HIP_vector_typeIjLj2EENS0_17counting_iteratorIjlEEPS9_SG_NS0_5tupleIJPjSI_NS0_16reverse_iteratorISI_EEEEENSH_IJSG_SG_SG_EEES9_SI_JZNS1_25segmented_radix_sort_implINS0_14default_configELb1EPK12hip_bfloat16PSP_PKlPlN2at6native12_GLOBAL__N_18offset_tEEE10hipError_tPvRmT1_PNSt15iterator_traitsIS13_E10value_typeET2_T3_PNS14_IS19_E10value_typeET4_jRbjT5_S1F_jjP12ihipStream_tbEUljE_ZNSN_ISO_Lb1ESR_SS_SU_SV_SZ_EES10_S11_S12_S13_S17_S18_S19_S1C_S1D_jS1E_jS1F_S1F_jjS1H_bEUljE0_EEES10_S11_S12_S19_S1D_S1F_T6_T7_T9_mT8_S1H_bDpT10_ENKUlT_T0_E_clISt17integral_constantIbLb1EES1V_EEDaS1Q_S1R_EUlS1Q_E_NS1_11comp_targetILNS1_3genE3ELNS1_11target_archE908ELNS1_3gpuE7ELNS1_3repE0EEENS1_30default_config_static_selectorELNS0_4arch9wavefront6targetE0EEEvS13_,"axG",@progbits,_ZN7rocprim17ROCPRIM_400000_NS6detail17trampoline_kernelINS0_13select_configILj256ELj13ELNS0_17block_load_methodE3ELS4_3ELS4_3ELNS0_20block_scan_algorithmE0ELj4294967295EEENS1_25partition_config_selectorILNS1_17partition_subalgoE4EjNS0_10empty_typeEbEEZZNS1_14partition_implILS8_4ELb0ES6_15HIP_vector_typeIjLj2EENS0_17counting_iteratorIjlEEPS9_SG_NS0_5tupleIJPjSI_NS0_16reverse_iteratorISI_EEEEENSH_IJSG_SG_SG_EEES9_SI_JZNS1_25segmented_radix_sort_implINS0_14default_configELb1EPK12hip_bfloat16PSP_PKlPlN2at6native12_GLOBAL__N_18offset_tEEE10hipError_tPvRmT1_PNSt15iterator_traitsIS13_E10value_typeET2_T3_PNS14_IS19_E10value_typeET4_jRbjT5_S1F_jjP12ihipStream_tbEUljE_ZNSN_ISO_Lb1ESR_SS_SU_SV_SZ_EES10_S11_S12_S13_S17_S18_S19_S1C_S1D_jS1E_jS1F_S1F_jjS1H_bEUljE0_EEES10_S11_S12_S19_S1D_S1F_T6_T7_T9_mT8_S1H_bDpT10_ENKUlT_T0_E_clISt17integral_constantIbLb1EES1V_EEDaS1Q_S1R_EUlS1Q_E_NS1_11comp_targetILNS1_3genE3ELNS1_11target_archE908ELNS1_3gpuE7ELNS1_3repE0EEENS1_30default_config_static_selectorELNS0_4arch9wavefront6targetE0EEEvS13_,comdat
	.globl	_ZN7rocprim17ROCPRIM_400000_NS6detail17trampoline_kernelINS0_13select_configILj256ELj13ELNS0_17block_load_methodE3ELS4_3ELS4_3ELNS0_20block_scan_algorithmE0ELj4294967295EEENS1_25partition_config_selectorILNS1_17partition_subalgoE4EjNS0_10empty_typeEbEEZZNS1_14partition_implILS8_4ELb0ES6_15HIP_vector_typeIjLj2EENS0_17counting_iteratorIjlEEPS9_SG_NS0_5tupleIJPjSI_NS0_16reverse_iteratorISI_EEEEENSH_IJSG_SG_SG_EEES9_SI_JZNS1_25segmented_radix_sort_implINS0_14default_configELb1EPK12hip_bfloat16PSP_PKlPlN2at6native12_GLOBAL__N_18offset_tEEE10hipError_tPvRmT1_PNSt15iterator_traitsIS13_E10value_typeET2_T3_PNS14_IS19_E10value_typeET4_jRbjT5_S1F_jjP12ihipStream_tbEUljE_ZNSN_ISO_Lb1ESR_SS_SU_SV_SZ_EES10_S11_S12_S13_S17_S18_S19_S1C_S1D_jS1E_jS1F_S1F_jjS1H_bEUljE0_EEES10_S11_S12_S19_S1D_S1F_T6_T7_T9_mT8_S1H_bDpT10_ENKUlT_T0_E_clISt17integral_constantIbLb1EES1V_EEDaS1Q_S1R_EUlS1Q_E_NS1_11comp_targetILNS1_3genE3ELNS1_11target_archE908ELNS1_3gpuE7ELNS1_3repE0EEENS1_30default_config_static_selectorELNS0_4arch9wavefront6targetE0EEEvS13_ ; -- Begin function _ZN7rocprim17ROCPRIM_400000_NS6detail17trampoline_kernelINS0_13select_configILj256ELj13ELNS0_17block_load_methodE3ELS4_3ELS4_3ELNS0_20block_scan_algorithmE0ELj4294967295EEENS1_25partition_config_selectorILNS1_17partition_subalgoE4EjNS0_10empty_typeEbEEZZNS1_14partition_implILS8_4ELb0ES6_15HIP_vector_typeIjLj2EENS0_17counting_iteratorIjlEEPS9_SG_NS0_5tupleIJPjSI_NS0_16reverse_iteratorISI_EEEEENSH_IJSG_SG_SG_EEES9_SI_JZNS1_25segmented_radix_sort_implINS0_14default_configELb1EPK12hip_bfloat16PSP_PKlPlN2at6native12_GLOBAL__N_18offset_tEEE10hipError_tPvRmT1_PNSt15iterator_traitsIS13_E10value_typeET2_T3_PNS14_IS19_E10value_typeET4_jRbjT5_S1F_jjP12ihipStream_tbEUljE_ZNSN_ISO_Lb1ESR_SS_SU_SV_SZ_EES10_S11_S12_S13_S17_S18_S19_S1C_S1D_jS1E_jS1F_S1F_jjS1H_bEUljE0_EEES10_S11_S12_S19_S1D_S1F_T6_T7_T9_mT8_S1H_bDpT10_ENKUlT_T0_E_clISt17integral_constantIbLb1EES1V_EEDaS1Q_S1R_EUlS1Q_E_NS1_11comp_targetILNS1_3genE3ELNS1_11target_archE908ELNS1_3gpuE7ELNS1_3repE0EEENS1_30default_config_static_selectorELNS0_4arch9wavefront6targetE0EEEvS13_
	.p2align	8
	.type	_ZN7rocprim17ROCPRIM_400000_NS6detail17trampoline_kernelINS0_13select_configILj256ELj13ELNS0_17block_load_methodE3ELS4_3ELS4_3ELNS0_20block_scan_algorithmE0ELj4294967295EEENS1_25partition_config_selectorILNS1_17partition_subalgoE4EjNS0_10empty_typeEbEEZZNS1_14partition_implILS8_4ELb0ES6_15HIP_vector_typeIjLj2EENS0_17counting_iteratorIjlEEPS9_SG_NS0_5tupleIJPjSI_NS0_16reverse_iteratorISI_EEEEENSH_IJSG_SG_SG_EEES9_SI_JZNS1_25segmented_radix_sort_implINS0_14default_configELb1EPK12hip_bfloat16PSP_PKlPlN2at6native12_GLOBAL__N_18offset_tEEE10hipError_tPvRmT1_PNSt15iterator_traitsIS13_E10value_typeET2_T3_PNS14_IS19_E10value_typeET4_jRbjT5_S1F_jjP12ihipStream_tbEUljE_ZNSN_ISO_Lb1ESR_SS_SU_SV_SZ_EES10_S11_S12_S13_S17_S18_S19_S1C_S1D_jS1E_jS1F_S1F_jjS1H_bEUljE0_EEES10_S11_S12_S19_S1D_S1F_T6_T7_T9_mT8_S1H_bDpT10_ENKUlT_T0_E_clISt17integral_constantIbLb1EES1V_EEDaS1Q_S1R_EUlS1Q_E_NS1_11comp_targetILNS1_3genE3ELNS1_11target_archE908ELNS1_3gpuE7ELNS1_3repE0EEENS1_30default_config_static_selectorELNS0_4arch9wavefront6targetE0EEEvS13_,@function
_ZN7rocprim17ROCPRIM_400000_NS6detail17trampoline_kernelINS0_13select_configILj256ELj13ELNS0_17block_load_methodE3ELS4_3ELS4_3ELNS0_20block_scan_algorithmE0ELj4294967295EEENS1_25partition_config_selectorILNS1_17partition_subalgoE4EjNS0_10empty_typeEbEEZZNS1_14partition_implILS8_4ELb0ES6_15HIP_vector_typeIjLj2EENS0_17counting_iteratorIjlEEPS9_SG_NS0_5tupleIJPjSI_NS0_16reverse_iteratorISI_EEEEENSH_IJSG_SG_SG_EEES9_SI_JZNS1_25segmented_radix_sort_implINS0_14default_configELb1EPK12hip_bfloat16PSP_PKlPlN2at6native12_GLOBAL__N_18offset_tEEE10hipError_tPvRmT1_PNSt15iterator_traitsIS13_E10value_typeET2_T3_PNS14_IS19_E10value_typeET4_jRbjT5_S1F_jjP12ihipStream_tbEUljE_ZNSN_ISO_Lb1ESR_SS_SU_SV_SZ_EES10_S11_S12_S13_S17_S18_S19_S1C_S1D_jS1E_jS1F_S1F_jjS1H_bEUljE0_EEES10_S11_S12_S19_S1D_S1F_T6_T7_T9_mT8_S1H_bDpT10_ENKUlT_T0_E_clISt17integral_constantIbLb1EES1V_EEDaS1Q_S1R_EUlS1Q_E_NS1_11comp_targetILNS1_3genE3ELNS1_11target_archE908ELNS1_3gpuE7ELNS1_3repE0EEENS1_30default_config_static_selectorELNS0_4arch9wavefront6targetE0EEEvS13_: ; @_ZN7rocprim17ROCPRIM_400000_NS6detail17trampoline_kernelINS0_13select_configILj256ELj13ELNS0_17block_load_methodE3ELS4_3ELS4_3ELNS0_20block_scan_algorithmE0ELj4294967295EEENS1_25partition_config_selectorILNS1_17partition_subalgoE4EjNS0_10empty_typeEbEEZZNS1_14partition_implILS8_4ELb0ES6_15HIP_vector_typeIjLj2EENS0_17counting_iteratorIjlEEPS9_SG_NS0_5tupleIJPjSI_NS0_16reverse_iteratorISI_EEEEENSH_IJSG_SG_SG_EEES9_SI_JZNS1_25segmented_radix_sort_implINS0_14default_configELb1EPK12hip_bfloat16PSP_PKlPlN2at6native12_GLOBAL__N_18offset_tEEE10hipError_tPvRmT1_PNSt15iterator_traitsIS13_E10value_typeET2_T3_PNS14_IS19_E10value_typeET4_jRbjT5_S1F_jjP12ihipStream_tbEUljE_ZNSN_ISO_Lb1ESR_SS_SU_SV_SZ_EES10_S11_S12_S13_S17_S18_S19_S1C_S1D_jS1E_jS1F_S1F_jjS1H_bEUljE0_EEES10_S11_S12_S19_S1D_S1F_T6_T7_T9_mT8_S1H_bDpT10_ENKUlT_T0_E_clISt17integral_constantIbLb1EES1V_EEDaS1Q_S1R_EUlS1Q_E_NS1_11comp_targetILNS1_3genE3ELNS1_11target_archE908ELNS1_3gpuE7ELNS1_3repE0EEENS1_30default_config_static_selectorELNS0_4arch9wavefront6targetE0EEEvS13_
; %bb.0:
	.section	.rodata,"a",@progbits
	.p2align	6, 0x0
	.amdhsa_kernel _ZN7rocprim17ROCPRIM_400000_NS6detail17trampoline_kernelINS0_13select_configILj256ELj13ELNS0_17block_load_methodE3ELS4_3ELS4_3ELNS0_20block_scan_algorithmE0ELj4294967295EEENS1_25partition_config_selectorILNS1_17partition_subalgoE4EjNS0_10empty_typeEbEEZZNS1_14partition_implILS8_4ELb0ES6_15HIP_vector_typeIjLj2EENS0_17counting_iteratorIjlEEPS9_SG_NS0_5tupleIJPjSI_NS0_16reverse_iteratorISI_EEEEENSH_IJSG_SG_SG_EEES9_SI_JZNS1_25segmented_radix_sort_implINS0_14default_configELb1EPK12hip_bfloat16PSP_PKlPlN2at6native12_GLOBAL__N_18offset_tEEE10hipError_tPvRmT1_PNSt15iterator_traitsIS13_E10value_typeET2_T3_PNS14_IS19_E10value_typeET4_jRbjT5_S1F_jjP12ihipStream_tbEUljE_ZNSN_ISO_Lb1ESR_SS_SU_SV_SZ_EES10_S11_S12_S13_S17_S18_S19_S1C_S1D_jS1E_jS1F_S1F_jjS1H_bEUljE0_EEES10_S11_S12_S19_S1D_S1F_T6_T7_T9_mT8_S1H_bDpT10_ENKUlT_T0_E_clISt17integral_constantIbLb1EES1V_EEDaS1Q_S1R_EUlS1Q_E_NS1_11comp_targetILNS1_3genE3ELNS1_11target_archE908ELNS1_3gpuE7ELNS1_3repE0EEENS1_30default_config_static_selectorELNS0_4arch9wavefront6targetE0EEEvS13_
		.amdhsa_group_segment_fixed_size 0
		.amdhsa_private_segment_fixed_size 0
		.amdhsa_kernarg_size 184
		.amdhsa_user_sgpr_count 15
		.amdhsa_user_sgpr_dispatch_ptr 0
		.amdhsa_user_sgpr_queue_ptr 0
		.amdhsa_user_sgpr_kernarg_segment_ptr 1
		.amdhsa_user_sgpr_dispatch_id 0
		.amdhsa_user_sgpr_private_segment_size 0
		.amdhsa_wavefront_size32 1
		.amdhsa_uses_dynamic_stack 0
		.amdhsa_enable_private_segment 0
		.amdhsa_system_sgpr_workgroup_id_x 1
		.amdhsa_system_sgpr_workgroup_id_y 0
		.amdhsa_system_sgpr_workgroup_id_z 0
		.amdhsa_system_sgpr_workgroup_info 0
		.amdhsa_system_vgpr_workitem_id 0
		.amdhsa_next_free_vgpr 1
		.amdhsa_next_free_sgpr 1
		.amdhsa_reserve_vcc 0
		.amdhsa_float_round_mode_32 0
		.amdhsa_float_round_mode_16_64 0
		.amdhsa_float_denorm_mode_32 3
		.amdhsa_float_denorm_mode_16_64 3
		.amdhsa_dx10_clamp 1
		.amdhsa_ieee_mode 1
		.amdhsa_fp16_overflow 0
		.amdhsa_workgroup_processor_mode 1
		.amdhsa_memory_ordered 1
		.amdhsa_forward_progress 0
		.amdhsa_shared_vgpr_count 0
		.amdhsa_exception_fp_ieee_invalid_op 0
		.amdhsa_exception_fp_denorm_src 0
		.amdhsa_exception_fp_ieee_div_zero 0
		.amdhsa_exception_fp_ieee_overflow 0
		.amdhsa_exception_fp_ieee_underflow 0
		.amdhsa_exception_fp_ieee_inexact 0
		.amdhsa_exception_int_div_zero 0
	.end_amdhsa_kernel
	.section	.text._ZN7rocprim17ROCPRIM_400000_NS6detail17trampoline_kernelINS0_13select_configILj256ELj13ELNS0_17block_load_methodE3ELS4_3ELS4_3ELNS0_20block_scan_algorithmE0ELj4294967295EEENS1_25partition_config_selectorILNS1_17partition_subalgoE4EjNS0_10empty_typeEbEEZZNS1_14partition_implILS8_4ELb0ES6_15HIP_vector_typeIjLj2EENS0_17counting_iteratorIjlEEPS9_SG_NS0_5tupleIJPjSI_NS0_16reverse_iteratorISI_EEEEENSH_IJSG_SG_SG_EEES9_SI_JZNS1_25segmented_radix_sort_implINS0_14default_configELb1EPK12hip_bfloat16PSP_PKlPlN2at6native12_GLOBAL__N_18offset_tEEE10hipError_tPvRmT1_PNSt15iterator_traitsIS13_E10value_typeET2_T3_PNS14_IS19_E10value_typeET4_jRbjT5_S1F_jjP12ihipStream_tbEUljE_ZNSN_ISO_Lb1ESR_SS_SU_SV_SZ_EES10_S11_S12_S13_S17_S18_S19_S1C_S1D_jS1E_jS1F_S1F_jjS1H_bEUljE0_EEES10_S11_S12_S19_S1D_S1F_T6_T7_T9_mT8_S1H_bDpT10_ENKUlT_T0_E_clISt17integral_constantIbLb1EES1V_EEDaS1Q_S1R_EUlS1Q_E_NS1_11comp_targetILNS1_3genE3ELNS1_11target_archE908ELNS1_3gpuE7ELNS1_3repE0EEENS1_30default_config_static_selectorELNS0_4arch9wavefront6targetE0EEEvS13_,"axG",@progbits,_ZN7rocprim17ROCPRIM_400000_NS6detail17trampoline_kernelINS0_13select_configILj256ELj13ELNS0_17block_load_methodE3ELS4_3ELS4_3ELNS0_20block_scan_algorithmE0ELj4294967295EEENS1_25partition_config_selectorILNS1_17partition_subalgoE4EjNS0_10empty_typeEbEEZZNS1_14partition_implILS8_4ELb0ES6_15HIP_vector_typeIjLj2EENS0_17counting_iteratorIjlEEPS9_SG_NS0_5tupleIJPjSI_NS0_16reverse_iteratorISI_EEEEENSH_IJSG_SG_SG_EEES9_SI_JZNS1_25segmented_radix_sort_implINS0_14default_configELb1EPK12hip_bfloat16PSP_PKlPlN2at6native12_GLOBAL__N_18offset_tEEE10hipError_tPvRmT1_PNSt15iterator_traitsIS13_E10value_typeET2_T3_PNS14_IS19_E10value_typeET4_jRbjT5_S1F_jjP12ihipStream_tbEUljE_ZNSN_ISO_Lb1ESR_SS_SU_SV_SZ_EES10_S11_S12_S13_S17_S18_S19_S1C_S1D_jS1E_jS1F_S1F_jjS1H_bEUljE0_EEES10_S11_S12_S19_S1D_S1F_T6_T7_T9_mT8_S1H_bDpT10_ENKUlT_T0_E_clISt17integral_constantIbLb1EES1V_EEDaS1Q_S1R_EUlS1Q_E_NS1_11comp_targetILNS1_3genE3ELNS1_11target_archE908ELNS1_3gpuE7ELNS1_3repE0EEENS1_30default_config_static_selectorELNS0_4arch9wavefront6targetE0EEEvS13_,comdat
.Lfunc_end1893:
	.size	_ZN7rocprim17ROCPRIM_400000_NS6detail17trampoline_kernelINS0_13select_configILj256ELj13ELNS0_17block_load_methodE3ELS4_3ELS4_3ELNS0_20block_scan_algorithmE0ELj4294967295EEENS1_25partition_config_selectorILNS1_17partition_subalgoE4EjNS0_10empty_typeEbEEZZNS1_14partition_implILS8_4ELb0ES6_15HIP_vector_typeIjLj2EENS0_17counting_iteratorIjlEEPS9_SG_NS0_5tupleIJPjSI_NS0_16reverse_iteratorISI_EEEEENSH_IJSG_SG_SG_EEES9_SI_JZNS1_25segmented_radix_sort_implINS0_14default_configELb1EPK12hip_bfloat16PSP_PKlPlN2at6native12_GLOBAL__N_18offset_tEEE10hipError_tPvRmT1_PNSt15iterator_traitsIS13_E10value_typeET2_T3_PNS14_IS19_E10value_typeET4_jRbjT5_S1F_jjP12ihipStream_tbEUljE_ZNSN_ISO_Lb1ESR_SS_SU_SV_SZ_EES10_S11_S12_S13_S17_S18_S19_S1C_S1D_jS1E_jS1F_S1F_jjS1H_bEUljE0_EEES10_S11_S12_S19_S1D_S1F_T6_T7_T9_mT8_S1H_bDpT10_ENKUlT_T0_E_clISt17integral_constantIbLb1EES1V_EEDaS1Q_S1R_EUlS1Q_E_NS1_11comp_targetILNS1_3genE3ELNS1_11target_archE908ELNS1_3gpuE7ELNS1_3repE0EEENS1_30default_config_static_selectorELNS0_4arch9wavefront6targetE0EEEvS13_, .Lfunc_end1893-_ZN7rocprim17ROCPRIM_400000_NS6detail17trampoline_kernelINS0_13select_configILj256ELj13ELNS0_17block_load_methodE3ELS4_3ELS4_3ELNS0_20block_scan_algorithmE0ELj4294967295EEENS1_25partition_config_selectorILNS1_17partition_subalgoE4EjNS0_10empty_typeEbEEZZNS1_14partition_implILS8_4ELb0ES6_15HIP_vector_typeIjLj2EENS0_17counting_iteratorIjlEEPS9_SG_NS0_5tupleIJPjSI_NS0_16reverse_iteratorISI_EEEEENSH_IJSG_SG_SG_EEES9_SI_JZNS1_25segmented_radix_sort_implINS0_14default_configELb1EPK12hip_bfloat16PSP_PKlPlN2at6native12_GLOBAL__N_18offset_tEEE10hipError_tPvRmT1_PNSt15iterator_traitsIS13_E10value_typeET2_T3_PNS14_IS19_E10value_typeET4_jRbjT5_S1F_jjP12ihipStream_tbEUljE_ZNSN_ISO_Lb1ESR_SS_SU_SV_SZ_EES10_S11_S12_S13_S17_S18_S19_S1C_S1D_jS1E_jS1F_S1F_jjS1H_bEUljE0_EEES10_S11_S12_S19_S1D_S1F_T6_T7_T9_mT8_S1H_bDpT10_ENKUlT_T0_E_clISt17integral_constantIbLb1EES1V_EEDaS1Q_S1R_EUlS1Q_E_NS1_11comp_targetILNS1_3genE3ELNS1_11target_archE908ELNS1_3gpuE7ELNS1_3repE0EEENS1_30default_config_static_selectorELNS0_4arch9wavefront6targetE0EEEvS13_
                                        ; -- End function
	.section	.AMDGPU.csdata,"",@progbits
; Kernel info:
; codeLenInByte = 0
; NumSgprs: 0
; NumVgprs: 0
; ScratchSize: 0
; MemoryBound: 0
; FloatMode: 240
; IeeeMode: 1
; LDSByteSize: 0 bytes/workgroup (compile time only)
; SGPRBlocks: 0
; VGPRBlocks: 0
; NumSGPRsForWavesPerEU: 1
; NumVGPRsForWavesPerEU: 1
; Occupancy: 16
; WaveLimiterHint : 0
; COMPUTE_PGM_RSRC2:SCRATCH_EN: 0
; COMPUTE_PGM_RSRC2:USER_SGPR: 15
; COMPUTE_PGM_RSRC2:TRAP_HANDLER: 0
; COMPUTE_PGM_RSRC2:TGID_X_EN: 1
; COMPUTE_PGM_RSRC2:TGID_Y_EN: 0
; COMPUTE_PGM_RSRC2:TGID_Z_EN: 0
; COMPUTE_PGM_RSRC2:TIDIG_COMP_CNT: 0
	.section	.text._ZN7rocprim17ROCPRIM_400000_NS6detail17trampoline_kernelINS0_13select_configILj256ELj13ELNS0_17block_load_methodE3ELS4_3ELS4_3ELNS0_20block_scan_algorithmE0ELj4294967295EEENS1_25partition_config_selectorILNS1_17partition_subalgoE4EjNS0_10empty_typeEbEEZZNS1_14partition_implILS8_4ELb0ES6_15HIP_vector_typeIjLj2EENS0_17counting_iteratorIjlEEPS9_SG_NS0_5tupleIJPjSI_NS0_16reverse_iteratorISI_EEEEENSH_IJSG_SG_SG_EEES9_SI_JZNS1_25segmented_radix_sort_implINS0_14default_configELb1EPK12hip_bfloat16PSP_PKlPlN2at6native12_GLOBAL__N_18offset_tEEE10hipError_tPvRmT1_PNSt15iterator_traitsIS13_E10value_typeET2_T3_PNS14_IS19_E10value_typeET4_jRbjT5_S1F_jjP12ihipStream_tbEUljE_ZNSN_ISO_Lb1ESR_SS_SU_SV_SZ_EES10_S11_S12_S13_S17_S18_S19_S1C_S1D_jS1E_jS1F_S1F_jjS1H_bEUljE0_EEES10_S11_S12_S19_S1D_S1F_T6_T7_T9_mT8_S1H_bDpT10_ENKUlT_T0_E_clISt17integral_constantIbLb1EES1V_EEDaS1Q_S1R_EUlS1Q_E_NS1_11comp_targetILNS1_3genE2ELNS1_11target_archE906ELNS1_3gpuE6ELNS1_3repE0EEENS1_30default_config_static_selectorELNS0_4arch9wavefront6targetE0EEEvS13_,"axG",@progbits,_ZN7rocprim17ROCPRIM_400000_NS6detail17trampoline_kernelINS0_13select_configILj256ELj13ELNS0_17block_load_methodE3ELS4_3ELS4_3ELNS0_20block_scan_algorithmE0ELj4294967295EEENS1_25partition_config_selectorILNS1_17partition_subalgoE4EjNS0_10empty_typeEbEEZZNS1_14partition_implILS8_4ELb0ES6_15HIP_vector_typeIjLj2EENS0_17counting_iteratorIjlEEPS9_SG_NS0_5tupleIJPjSI_NS0_16reverse_iteratorISI_EEEEENSH_IJSG_SG_SG_EEES9_SI_JZNS1_25segmented_radix_sort_implINS0_14default_configELb1EPK12hip_bfloat16PSP_PKlPlN2at6native12_GLOBAL__N_18offset_tEEE10hipError_tPvRmT1_PNSt15iterator_traitsIS13_E10value_typeET2_T3_PNS14_IS19_E10value_typeET4_jRbjT5_S1F_jjP12ihipStream_tbEUljE_ZNSN_ISO_Lb1ESR_SS_SU_SV_SZ_EES10_S11_S12_S13_S17_S18_S19_S1C_S1D_jS1E_jS1F_S1F_jjS1H_bEUljE0_EEES10_S11_S12_S19_S1D_S1F_T6_T7_T9_mT8_S1H_bDpT10_ENKUlT_T0_E_clISt17integral_constantIbLb1EES1V_EEDaS1Q_S1R_EUlS1Q_E_NS1_11comp_targetILNS1_3genE2ELNS1_11target_archE906ELNS1_3gpuE6ELNS1_3repE0EEENS1_30default_config_static_selectorELNS0_4arch9wavefront6targetE0EEEvS13_,comdat
	.globl	_ZN7rocprim17ROCPRIM_400000_NS6detail17trampoline_kernelINS0_13select_configILj256ELj13ELNS0_17block_load_methodE3ELS4_3ELS4_3ELNS0_20block_scan_algorithmE0ELj4294967295EEENS1_25partition_config_selectorILNS1_17partition_subalgoE4EjNS0_10empty_typeEbEEZZNS1_14partition_implILS8_4ELb0ES6_15HIP_vector_typeIjLj2EENS0_17counting_iteratorIjlEEPS9_SG_NS0_5tupleIJPjSI_NS0_16reverse_iteratorISI_EEEEENSH_IJSG_SG_SG_EEES9_SI_JZNS1_25segmented_radix_sort_implINS0_14default_configELb1EPK12hip_bfloat16PSP_PKlPlN2at6native12_GLOBAL__N_18offset_tEEE10hipError_tPvRmT1_PNSt15iterator_traitsIS13_E10value_typeET2_T3_PNS14_IS19_E10value_typeET4_jRbjT5_S1F_jjP12ihipStream_tbEUljE_ZNSN_ISO_Lb1ESR_SS_SU_SV_SZ_EES10_S11_S12_S13_S17_S18_S19_S1C_S1D_jS1E_jS1F_S1F_jjS1H_bEUljE0_EEES10_S11_S12_S19_S1D_S1F_T6_T7_T9_mT8_S1H_bDpT10_ENKUlT_T0_E_clISt17integral_constantIbLb1EES1V_EEDaS1Q_S1R_EUlS1Q_E_NS1_11comp_targetILNS1_3genE2ELNS1_11target_archE906ELNS1_3gpuE6ELNS1_3repE0EEENS1_30default_config_static_selectorELNS0_4arch9wavefront6targetE0EEEvS13_ ; -- Begin function _ZN7rocprim17ROCPRIM_400000_NS6detail17trampoline_kernelINS0_13select_configILj256ELj13ELNS0_17block_load_methodE3ELS4_3ELS4_3ELNS0_20block_scan_algorithmE0ELj4294967295EEENS1_25partition_config_selectorILNS1_17partition_subalgoE4EjNS0_10empty_typeEbEEZZNS1_14partition_implILS8_4ELb0ES6_15HIP_vector_typeIjLj2EENS0_17counting_iteratorIjlEEPS9_SG_NS0_5tupleIJPjSI_NS0_16reverse_iteratorISI_EEEEENSH_IJSG_SG_SG_EEES9_SI_JZNS1_25segmented_radix_sort_implINS0_14default_configELb1EPK12hip_bfloat16PSP_PKlPlN2at6native12_GLOBAL__N_18offset_tEEE10hipError_tPvRmT1_PNSt15iterator_traitsIS13_E10value_typeET2_T3_PNS14_IS19_E10value_typeET4_jRbjT5_S1F_jjP12ihipStream_tbEUljE_ZNSN_ISO_Lb1ESR_SS_SU_SV_SZ_EES10_S11_S12_S13_S17_S18_S19_S1C_S1D_jS1E_jS1F_S1F_jjS1H_bEUljE0_EEES10_S11_S12_S19_S1D_S1F_T6_T7_T9_mT8_S1H_bDpT10_ENKUlT_T0_E_clISt17integral_constantIbLb1EES1V_EEDaS1Q_S1R_EUlS1Q_E_NS1_11comp_targetILNS1_3genE2ELNS1_11target_archE906ELNS1_3gpuE6ELNS1_3repE0EEENS1_30default_config_static_selectorELNS0_4arch9wavefront6targetE0EEEvS13_
	.p2align	8
	.type	_ZN7rocprim17ROCPRIM_400000_NS6detail17trampoline_kernelINS0_13select_configILj256ELj13ELNS0_17block_load_methodE3ELS4_3ELS4_3ELNS0_20block_scan_algorithmE0ELj4294967295EEENS1_25partition_config_selectorILNS1_17partition_subalgoE4EjNS0_10empty_typeEbEEZZNS1_14partition_implILS8_4ELb0ES6_15HIP_vector_typeIjLj2EENS0_17counting_iteratorIjlEEPS9_SG_NS0_5tupleIJPjSI_NS0_16reverse_iteratorISI_EEEEENSH_IJSG_SG_SG_EEES9_SI_JZNS1_25segmented_radix_sort_implINS0_14default_configELb1EPK12hip_bfloat16PSP_PKlPlN2at6native12_GLOBAL__N_18offset_tEEE10hipError_tPvRmT1_PNSt15iterator_traitsIS13_E10value_typeET2_T3_PNS14_IS19_E10value_typeET4_jRbjT5_S1F_jjP12ihipStream_tbEUljE_ZNSN_ISO_Lb1ESR_SS_SU_SV_SZ_EES10_S11_S12_S13_S17_S18_S19_S1C_S1D_jS1E_jS1F_S1F_jjS1H_bEUljE0_EEES10_S11_S12_S19_S1D_S1F_T6_T7_T9_mT8_S1H_bDpT10_ENKUlT_T0_E_clISt17integral_constantIbLb1EES1V_EEDaS1Q_S1R_EUlS1Q_E_NS1_11comp_targetILNS1_3genE2ELNS1_11target_archE906ELNS1_3gpuE6ELNS1_3repE0EEENS1_30default_config_static_selectorELNS0_4arch9wavefront6targetE0EEEvS13_,@function
_ZN7rocprim17ROCPRIM_400000_NS6detail17trampoline_kernelINS0_13select_configILj256ELj13ELNS0_17block_load_methodE3ELS4_3ELS4_3ELNS0_20block_scan_algorithmE0ELj4294967295EEENS1_25partition_config_selectorILNS1_17partition_subalgoE4EjNS0_10empty_typeEbEEZZNS1_14partition_implILS8_4ELb0ES6_15HIP_vector_typeIjLj2EENS0_17counting_iteratorIjlEEPS9_SG_NS0_5tupleIJPjSI_NS0_16reverse_iteratorISI_EEEEENSH_IJSG_SG_SG_EEES9_SI_JZNS1_25segmented_radix_sort_implINS0_14default_configELb1EPK12hip_bfloat16PSP_PKlPlN2at6native12_GLOBAL__N_18offset_tEEE10hipError_tPvRmT1_PNSt15iterator_traitsIS13_E10value_typeET2_T3_PNS14_IS19_E10value_typeET4_jRbjT5_S1F_jjP12ihipStream_tbEUljE_ZNSN_ISO_Lb1ESR_SS_SU_SV_SZ_EES10_S11_S12_S13_S17_S18_S19_S1C_S1D_jS1E_jS1F_S1F_jjS1H_bEUljE0_EEES10_S11_S12_S19_S1D_S1F_T6_T7_T9_mT8_S1H_bDpT10_ENKUlT_T0_E_clISt17integral_constantIbLb1EES1V_EEDaS1Q_S1R_EUlS1Q_E_NS1_11comp_targetILNS1_3genE2ELNS1_11target_archE906ELNS1_3gpuE6ELNS1_3repE0EEENS1_30default_config_static_selectorELNS0_4arch9wavefront6targetE0EEEvS13_: ; @_ZN7rocprim17ROCPRIM_400000_NS6detail17trampoline_kernelINS0_13select_configILj256ELj13ELNS0_17block_load_methodE3ELS4_3ELS4_3ELNS0_20block_scan_algorithmE0ELj4294967295EEENS1_25partition_config_selectorILNS1_17partition_subalgoE4EjNS0_10empty_typeEbEEZZNS1_14partition_implILS8_4ELb0ES6_15HIP_vector_typeIjLj2EENS0_17counting_iteratorIjlEEPS9_SG_NS0_5tupleIJPjSI_NS0_16reverse_iteratorISI_EEEEENSH_IJSG_SG_SG_EEES9_SI_JZNS1_25segmented_radix_sort_implINS0_14default_configELb1EPK12hip_bfloat16PSP_PKlPlN2at6native12_GLOBAL__N_18offset_tEEE10hipError_tPvRmT1_PNSt15iterator_traitsIS13_E10value_typeET2_T3_PNS14_IS19_E10value_typeET4_jRbjT5_S1F_jjP12ihipStream_tbEUljE_ZNSN_ISO_Lb1ESR_SS_SU_SV_SZ_EES10_S11_S12_S13_S17_S18_S19_S1C_S1D_jS1E_jS1F_S1F_jjS1H_bEUljE0_EEES10_S11_S12_S19_S1D_S1F_T6_T7_T9_mT8_S1H_bDpT10_ENKUlT_T0_E_clISt17integral_constantIbLb1EES1V_EEDaS1Q_S1R_EUlS1Q_E_NS1_11comp_targetILNS1_3genE2ELNS1_11target_archE906ELNS1_3gpuE6ELNS1_3repE0EEENS1_30default_config_static_selectorELNS0_4arch9wavefront6targetE0EEEvS13_
; %bb.0:
	.section	.rodata,"a",@progbits
	.p2align	6, 0x0
	.amdhsa_kernel _ZN7rocprim17ROCPRIM_400000_NS6detail17trampoline_kernelINS0_13select_configILj256ELj13ELNS0_17block_load_methodE3ELS4_3ELS4_3ELNS0_20block_scan_algorithmE0ELj4294967295EEENS1_25partition_config_selectorILNS1_17partition_subalgoE4EjNS0_10empty_typeEbEEZZNS1_14partition_implILS8_4ELb0ES6_15HIP_vector_typeIjLj2EENS0_17counting_iteratorIjlEEPS9_SG_NS0_5tupleIJPjSI_NS0_16reverse_iteratorISI_EEEEENSH_IJSG_SG_SG_EEES9_SI_JZNS1_25segmented_radix_sort_implINS0_14default_configELb1EPK12hip_bfloat16PSP_PKlPlN2at6native12_GLOBAL__N_18offset_tEEE10hipError_tPvRmT1_PNSt15iterator_traitsIS13_E10value_typeET2_T3_PNS14_IS19_E10value_typeET4_jRbjT5_S1F_jjP12ihipStream_tbEUljE_ZNSN_ISO_Lb1ESR_SS_SU_SV_SZ_EES10_S11_S12_S13_S17_S18_S19_S1C_S1D_jS1E_jS1F_S1F_jjS1H_bEUljE0_EEES10_S11_S12_S19_S1D_S1F_T6_T7_T9_mT8_S1H_bDpT10_ENKUlT_T0_E_clISt17integral_constantIbLb1EES1V_EEDaS1Q_S1R_EUlS1Q_E_NS1_11comp_targetILNS1_3genE2ELNS1_11target_archE906ELNS1_3gpuE6ELNS1_3repE0EEENS1_30default_config_static_selectorELNS0_4arch9wavefront6targetE0EEEvS13_
		.amdhsa_group_segment_fixed_size 0
		.amdhsa_private_segment_fixed_size 0
		.amdhsa_kernarg_size 184
		.amdhsa_user_sgpr_count 15
		.amdhsa_user_sgpr_dispatch_ptr 0
		.amdhsa_user_sgpr_queue_ptr 0
		.amdhsa_user_sgpr_kernarg_segment_ptr 1
		.amdhsa_user_sgpr_dispatch_id 0
		.amdhsa_user_sgpr_private_segment_size 0
		.amdhsa_wavefront_size32 1
		.amdhsa_uses_dynamic_stack 0
		.amdhsa_enable_private_segment 0
		.amdhsa_system_sgpr_workgroup_id_x 1
		.amdhsa_system_sgpr_workgroup_id_y 0
		.amdhsa_system_sgpr_workgroup_id_z 0
		.amdhsa_system_sgpr_workgroup_info 0
		.amdhsa_system_vgpr_workitem_id 0
		.amdhsa_next_free_vgpr 1
		.amdhsa_next_free_sgpr 1
		.amdhsa_reserve_vcc 0
		.amdhsa_float_round_mode_32 0
		.amdhsa_float_round_mode_16_64 0
		.amdhsa_float_denorm_mode_32 3
		.amdhsa_float_denorm_mode_16_64 3
		.amdhsa_dx10_clamp 1
		.amdhsa_ieee_mode 1
		.amdhsa_fp16_overflow 0
		.amdhsa_workgroup_processor_mode 1
		.amdhsa_memory_ordered 1
		.amdhsa_forward_progress 0
		.amdhsa_shared_vgpr_count 0
		.amdhsa_exception_fp_ieee_invalid_op 0
		.amdhsa_exception_fp_denorm_src 0
		.amdhsa_exception_fp_ieee_div_zero 0
		.amdhsa_exception_fp_ieee_overflow 0
		.amdhsa_exception_fp_ieee_underflow 0
		.amdhsa_exception_fp_ieee_inexact 0
		.amdhsa_exception_int_div_zero 0
	.end_amdhsa_kernel
	.section	.text._ZN7rocprim17ROCPRIM_400000_NS6detail17trampoline_kernelINS0_13select_configILj256ELj13ELNS0_17block_load_methodE3ELS4_3ELS4_3ELNS0_20block_scan_algorithmE0ELj4294967295EEENS1_25partition_config_selectorILNS1_17partition_subalgoE4EjNS0_10empty_typeEbEEZZNS1_14partition_implILS8_4ELb0ES6_15HIP_vector_typeIjLj2EENS0_17counting_iteratorIjlEEPS9_SG_NS0_5tupleIJPjSI_NS0_16reverse_iteratorISI_EEEEENSH_IJSG_SG_SG_EEES9_SI_JZNS1_25segmented_radix_sort_implINS0_14default_configELb1EPK12hip_bfloat16PSP_PKlPlN2at6native12_GLOBAL__N_18offset_tEEE10hipError_tPvRmT1_PNSt15iterator_traitsIS13_E10value_typeET2_T3_PNS14_IS19_E10value_typeET4_jRbjT5_S1F_jjP12ihipStream_tbEUljE_ZNSN_ISO_Lb1ESR_SS_SU_SV_SZ_EES10_S11_S12_S13_S17_S18_S19_S1C_S1D_jS1E_jS1F_S1F_jjS1H_bEUljE0_EEES10_S11_S12_S19_S1D_S1F_T6_T7_T9_mT8_S1H_bDpT10_ENKUlT_T0_E_clISt17integral_constantIbLb1EES1V_EEDaS1Q_S1R_EUlS1Q_E_NS1_11comp_targetILNS1_3genE2ELNS1_11target_archE906ELNS1_3gpuE6ELNS1_3repE0EEENS1_30default_config_static_selectorELNS0_4arch9wavefront6targetE0EEEvS13_,"axG",@progbits,_ZN7rocprim17ROCPRIM_400000_NS6detail17trampoline_kernelINS0_13select_configILj256ELj13ELNS0_17block_load_methodE3ELS4_3ELS4_3ELNS0_20block_scan_algorithmE0ELj4294967295EEENS1_25partition_config_selectorILNS1_17partition_subalgoE4EjNS0_10empty_typeEbEEZZNS1_14partition_implILS8_4ELb0ES6_15HIP_vector_typeIjLj2EENS0_17counting_iteratorIjlEEPS9_SG_NS0_5tupleIJPjSI_NS0_16reverse_iteratorISI_EEEEENSH_IJSG_SG_SG_EEES9_SI_JZNS1_25segmented_radix_sort_implINS0_14default_configELb1EPK12hip_bfloat16PSP_PKlPlN2at6native12_GLOBAL__N_18offset_tEEE10hipError_tPvRmT1_PNSt15iterator_traitsIS13_E10value_typeET2_T3_PNS14_IS19_E10value_typeET4_jRbjT5_S1F_jjP12ihipStream_tbEUljE_ZNSN_ISO_Lb1ESR_SS_SU_SV_SZ_EES10_S11_S12_S13_S17_S18_S19_S1C_S1D_jS1E_jS1F_S1F_jjS1H_bEUljE0_EEES10_S11_S12_S19_S1D_S1F_T6_T7_T9_mT8_S1H_bDpT10_ENKUlT_T0_E_clISt17integral_constantIbLb1EES1V_EEDaS1Q_S1R_EUlS1Q_E_NS1_11comp_targetILNS1_3genE2ELNS1_11target_archE906ELNS1_3gpuE6ELNS1_3repE0EEENS1_30default_config_static_selectorELNS0_4arch9wavefront6targetE0EEEvS13_,comdat
.Lfunc_end1894:
	.size	_ZN7rocprim17ROCPRIM_400000_NS6detail17trampoline_kernelINS0_13select_configILj256ELj13ELNS0_17block_load_methodE3ELS4_3ELS4_3ELNS0_20block_scan_algorithmE0ELj4294967295EEENS1_25partition_config_selectorILNS1_17partition_subalgoE4EjNS0_10empty_typeEbEEZZNS1_14partition_implILS8_4ELb0ES6_15HIP_vector_typeIjLj2EENS0_17counting_iteratorIjlEEPS9_SG_NS0_5tupleIJPjSI_NS0_16reverse_iteratorISI_EEEEENSH_IJSG_SG_SG_EEES9_SI_JZNS1_25segmented_radix_sort_implINS0_14default_configELb1EPK12hip_bfloat16PSP_PKlPlN2at6native12_GLOBAL__N_18offset_tEEE10hipError_tPvRmT1_PNSt15iterator_traitsIS13_E10value_typeET2_T3_PNS14_IS19_E10value_typeET4_jRbjT5_S1F_jjP12ihipStream_tbEUljE_ZNSN_ISO_Lb1ESR_SS_SU_SV_SZ_EES10_S11_S12_S13_S17_S18_S19_S1C_S1D_jS1E_jS1F_S1F_jjS1H_bEUljE0_EEES10_S11_S12_S19_S1D_S1F_T6_T7_T9_mT8_S1H_bDpT10_ENKUlT_T0_E_clISt17integral_constantIbLb1EES1V_EEDaS1Q_S1R_EUlS1Q_E_NS1_11comp_targetILNS1_3genE2ELNS1_11target_archE906ELNS1_3gpuE6ELNS1_3repE0EEENS1_30default_config_static_selectorELNS0_4arch9wavefront6targetE0EEEvS13_, .Lfunc_end1894-_ZN7rocprim17ROCPRIM_400000_NS6detail17trampoline_kernelINS0_13select_configILj256ELj13ELNS0_17block_load_methodE3ELS4_3ELS4_3ELNS0_20block_scan_algorithmE0ELj4294967295EEENS1_25partition_config_selectorILNS1_17partition_subalgoE4EjNS0_10empty_typeEbEEZZNS1_14partition_implILS8_4ELb0ES6_15HIP_vector_typeIjLj2EENS0_17counting_iteratorIjlEEPS9_SG_NS0_5tupleIJPjSI_NS0_16reverse_iteratorISI_EEEEENSH_IJSG_SG_SG_EEES9_SI_JZNS1_25segmented_radix_sort_implINS0_14default_configELb1EPK12hip_bfloat16PSP_PKlPlN2at6native12_GLOBAL__N_18offset_tEEE10hipError_tPvRmT1_PNSt15iterator_traitsIS13_E10value_typeET2_T3_PNS14_IS19_E10value_typeET4_jRbjT5_S1F_jjP12ihipStream_tbEUljE_ZNSN_ISO_Lb1ESR_SS_SU_SV_SZ_EES10_S11_S12_S13_S17_S18_S19_S1C_S1D_jS1E_jS1F_S1F_jjS1H_bEUljE0_EEES10_S11_S12_S19_S1D_S1F_T6_T7_T9_mT8_S1H_bDpT10_ENKUlT_T0_E_clISt17integral_constantIbLb1EES1V_EEDaS1Q_S1R_EUlS1Q_E_NS1_11comp_targetILNS1_3genE2ELNS1_11target_archE906ELNS1_3gpuE6ELNS1_3repE0EEENS1_30default_config_static_selectorELNS0_4arch9wavefront6targetE0EEEvS13_
                                        ; -- End function
	.section	.AMDGPU.csdata,"",@progbits
; Kernel info:
; codeLenInByte = 0
; NumSgprs: 0
; NumVgprs: 0
; ScratchSize: 0
; MemoryBound: 0
; FloatMode: 240
; IeeeMode: 1
; LDSByteSize: 0 bytes/workgroup (compile time only)
; SGPRBlocks: 0
; VGPRBlocks: 0
; NumSGPRsForWavesPerEU: 1
; NumVGPRsForWavesPerEU: 1
; Occupancy: 16
; WaveLimiterHint : 0
; COMPUTE_PGM_RSRC2:SCRATCH_EN: 0
; COMPUTE_PGM_RSRC2:USER_SGPR: 15
; COMPUTE_PGM_RSRC2:TRAP_HANDLER: 0
; COMPUTE_PGM_RSRC2:TGID_X_EN: 1
; COMPUTE_PGM_RSRC2:TGID_Y_EN: 0
; COMPUTE_PGM_RSRC2:TGID_Z_EN: 0
; COMPUTE_PGM_RSRC2:TIDIG_COMP_CNT: 0
	.section	.text._ZN7rocprim17ROCPRIM_400000_NS6detail17trampoline_kernelINS0_13select_configILj256ELj13ELNS0_17block_load_methodE3ELS4_3ELS4_3ELNS0_20block_scan_algorithmE0ELj4294967295EEENS1_25partition_config_selectorILNS1_17partition_subalgoE4EjNS0_10empty_typeEbEEZZNS1_14partition_implILS8_4ELb0ES6_15HIP_vector_typeIjLj2EENS0_17counting_iteratorIjlEEPS9_SG_NS0_5tupleIJPjSI_NS0_16reverse_iteratorISI_EEEEENSH_IJSG_SG_SG_EEES9_SI_JZNS1_25segmented_radix_sort_implINS0_14default_configELb1EPK12hip_bfloat16PSP_PKlPlN2at6native12_GLOBAL__N_18offset_tEEE10hipError_tPvRmT1_PNSt15iterator_traitsIS13_E10value_typeET2_T3_PNS14_IS19_E10value_typeET4_jRbjT5_S1F_jjP12ihipStream_tbEUljE_ZNSN_ISO_Lb1ESR_SS_SU_SV_SZ_EES10_S11_S12_S13_S17_S18_S19_S1C_S1D_jS1E_jS1F_S1F_jjS1H_bEUljE0_EEES10_S11_S12_S19_S1D_S1F_T6_T7_T9_mT8_S1H_bDpT10_ENKUlT_T0_E_clISt17integral_constantIbLb1EES1V_EEDaS1Q_S1R_EUlS1Q_E_NS1_11comp_targetILNS1_3genE10ELNS1_11target_archE1200ELNS1_3gpuE4ELNS1_3repE0EEENS1_30default_config_static_selectorELNS0_4arch9wavefront6targetE0EEEvS13_,"axG",@progbits,_ZN7rocprim17ROCPRIM_400000_NS6detail17trampoline_kernelINS0_13select_configILj256ELj13ELNS0_17block_load_methodE3ELS4_3ELS4_3ELNS0_20block_scan_algorithmE0ELj4294967295EEENS1_25partition_config_selectorILNS1_17partition_subalgoE4EjNS0_10empty_typeEbEEZZNS1_14partition_implILS8_4ELb0ES6_15HIP_vector_typeIjLj2EENS0_17counting_iteratorIjlEEPS9_SG_NS0_5tupleIJPjSI_NS0_16reverse_iteratorISI_EEEEENSH_IJSG_SG_SG_EEES9_SI_JZNS1_25segmented_radix_sort_implINS0_14default_configELb1EPK12hip_bfloat16PSP_PKlPlN2at6native12_GLOBAL__N_18offset_tEEE10hipError_tPvRmT1_PNSt15iterator_traitsIS13_E10value_typeET2_T3_PNS14_IS19_E10value_typeET4_jRbjT5_S1F_jjP12ihipStream_tbEUljE_ZNSN_ISO_Lb1ESR_SS_SU_SV_SZ_EES10_S11_S12_S13_S17_S18_S19_S1C_S1D_jS1E_jS1F_S1F_jjS1H_bEUljE0_EEES10_S11_S12_S19_S1D_S1F_T6_T7_T9_mT8_S1H_bDpT10_ENKUlT_T0_E_clISt17integral_constantIbLb1EES1V_EEDaS1Q_S1R_EUlS1Q_E_NS1_11comp_targetILNS1_3genE10ELNS1_11target_archE1200ELNS1_3gpuE4ELNS1_3repE0EEENS1_30default_config_static_selectorELNS0_4arch9wavefront6targetE0EEEvS13_,comdat
	.globl	_ZN7rocprim17ROCPRIM_400000_NS6detail17trampoline_kernelINS0_13select_configILj256ELj13ELNS0_17block_load_methodE3ELS4_3ELS4_3ELNS0_20block_scan_algorithmE0ELj4294967295EEENS1_25partition_config_selectorILNS1_17partition_subalgoE4EjNS0_10empty_typeEbEEZZNS1_14partition_implILS8_4ELb0ES6_15HIP_vector_typeIjLj2EENS0_17counting_iteratorIjlEEPS9_SG_NS0_5tupleIJPjSI_NS0_16reverse_iteratorISI_EEEEENSH_IJSG_SG_SG_EEES9_SI_JZNS1_25segmented_radix_sort_implINS0_14default_configELb1EPK12hip_bfloat16PSP_PKlPlN2at6native12_GLOBAL__N_18offset_tEEE10hipError_tPvRmT1_PNSt15iterator_traitsIS13_E10value_typeET2_T3_PNS14_IS19_E10value_typeET4_jRbjT5_S1F_jjP12ihipStream_tbEUljE_ZNSN_ISO_Lb1ESR_SS_SU_SV_SZ_EES10_S11_S12_S13_S17_S18_S19_S1C_S1D_jS1E_jS1F_S1F_jjS1H_bEUljE0_EEES10_S11_S12_S19_S1D_S1F_T6_T7_T9_mT8_S1H_bDpT10_ENKUlT_T0_E_clISt17integral_constantIbLb1EES1V_EEDaS1Q_S1R_EUlS1Q_E_NS1_11comp_targetILNS1_3genE10ELNS1_11target_archE1200ELNS1_3gpuE4ELNS1_3repE0EEENS1_30default_config_static_selectorELNS0_4arch9wavefront6targetE0EEEvS13_ ; -- Begin function _ZN7rocprim17ROCPRIM_400000_NS6detail17trampoline_kernelINS0_13select_configILj256ELj13ELNS0_17block_load_methodE3ELS4_3ELS4_3ELNS0_20block_scan_algorithmE0ELj4294967295EEENS1_25partition_config_selectorILNS1_17partition_subalgoE4EjNS0_10empty_typeEbEEZZNS1_14partition_implILS8_4ELb0ES6_15HIP_vector_typeIjLj2EENS0_17counting_iteratorIjlEEPS9_SG_NS0_5tupleIJPjSI_NS0_16reverse_iteratorISI_EEEEENSH_IJSG_SG_SG_EEES9_SI_JZNS1_25segmented_radix_sort_implINS0_14default_configELb1EPK12hip_bfloat16PSP_PKlPlN2at6native12_GLOBAL__N_18offset_tEEE10hipError_tPvRmT1_PNSt15iterator_traitsIS13_E10value_typeET2_T3_PNS14_IS19_E10value_typeET4_jRbjT5_S1F_jjP12ihipStream_tbEUljE_ZNSN_ISO_Lb1ESR_SS_SU_SV_SZ_EES10_S11_S12_S13_S17_S18_S19_S1C_S1D_jS1E_jS1F_S1F_jjS1H_bEUljE0_EEES10_S11_S12_S19_S1D_S1F_T6_T7_T9_mT8_S1H_bDpT10_ENKUlT_T0_E_clISt17integral_constantIbLb1EES1V_EEDaS1Q_S1R_EUlS1Q_E_NS1_11comp_targetILNS1_3genE10ELNS1_11target_archE1200ELNS1_3gpuE4ELNS1_3repE0EEENS1_30default_config_static_selectorELNS0_4arch9wavefront6targetE0EEEvS13_
	.p2align	8
	.type	_ZN7rocprim17ROCPRIM_400000_NS6detail17trampoline_kernelINS0_13select_configILj256ELj13ELNS0_17block_load_methodE3ELS4_3ELS4_3ELNS0_20block_scan_algorithmE0ELj4294967295EEENS1_25partition_config_selectorILNS1_17partition_subalgoE4EjNS0_10empty_typeEbEEZZNS1_14partition_implILS8_4ELb0ES6_15HIP_vector_typeIjLj2EENS0_17counting_iteratorIjlEEPS9_SG_NS0_5tupleIJPjSI_NS0_16reverse_iteratorISI_EEEEENSH_IJSG_SG_SG_EEES9_SI_JZNS1_25segmented_radix_sort_implINS0_14default_configELb1EPK12hip_bfloat16PSP_PKlPlN2at6native12_GLOBAL__N_18offset_tEEE10hipError_tPvRmT1_PNSt15iterator_traitsIS13_E10value_typeET2_T3_PNS14_IS19_E10value_typeET4_jRbjT5_S1F_jjP12ihipStream_tbEUljE_ZNSN_ISO_Lb1ESR_SS_SU_SV_SZ_EES10_S11_S12_S13_S17_S18_S19_S1C_S1D_jS1E_jS1F_S1F_jjS1H_bEUljE0_EEES10_S11_S12_S19_S1D_S1F_T6_T7_T9_mT8_S1H_bDpT10_ENKUlT_T0_E_clISt17integral_constantIbLb1EES1V_EEDaS1Q_S1R_EUlS1Q_E_NS1_11comp_targetILNS1_3genE10ELNS1_11target_archE1200ELNS1_3gpuE4ELNS1_3repE0EEENS1_30default_config_static_selectorELNS0_4arch9wavefront6targetE0EEEvS13_,@function
_ZN7rocprim17ROCPRIM_400000_NS6detail17trampoline_kernelINS0_13select_configILj256ELj13ELNS0_17block_load_methodE3ELS4_3ELS4_3ELNS0_20block_scan_algorithmE0ELj4294967295EEENS1_25partition_config_selectorILNS1_17partition_subalgoE4EjNS0_10empty_typeEbEEZZNS1_14partition_implILS8_4ELb0ES6_15HIP_vector_typeIjLj2EENS0_17counting_iteratorIjlEEPS9_SG_NS0_5tupleIJPjSI_NS0_16reverse_iteratorISI_EEEEENSH_IJSG_SG_SG_EEES9_SI_JZNS1_25segmented_radix_sort_implINS0_14default_configELb1EPK12hip_bfloat16PSP_PKlPlN2at6native12_GLOBAL__N_18offset_tEEE10hipError_tPvRmT1_PNSt15iterator_traitsIS13_E10value_typeET2_T3_PNS14_IS19_E10value_typeET4_jRbjT5_S1F_jjP12ihipStream_tbEUljE_ZNSN_ISO_Lb1ESR_SS_SU_SV_SZ_EES10_S11_S12_S13_S17_S18_S19_S1C_S1D_jS1E_jS1F_S1F_jjS1H_bEUljE0_EEES10_S11_S12_S19_S1D_S1F_T6_T7_T9_mT8_S1H_bDpT10_ENKUlT_T0_E_clISt17integral_constantIbLb1EES1V_EEDaS1Q_S1R_EUlS1Q_E_NS1_11comp_targetILNS1_3genE10ELNS1_11target_archE1200ELNS1_3gpuE4ELNS1_3repE0EEENS1_30default_config_static_selectorELNS0_4arch9wavefront6targetE0EEEvS13_: ; @_ZN7rocprim17ROCPRIM_400000_NS6detail17trampoline_kernelINS0_13select_configILj256ELj13ELNS0_17block_load_methodE3ELS4_3ELS4_3ELNS0_20block_scan_algorithmE0ELj4294967295EEENS1_25partition_config_selectorILNS1_17partition_subalgoE4EjNS0_10empty_typeEbEEZZNS1_14partition_implILS8_4ELb0ES6_15HIP_vector_typeIjLj2EENS0_17counting_iteratorIjlEEPS9_SG_NS0_5tupleIJPjSI_NS0_16reverse_iteratorISI_EEEEENSH_IJSG_SG_SG_EEES9_SI_JZNS1_25segmented_radix_sort_implINS0_14default_configELb1EPK12hip_bfloat16PSP_PKlPlN2at6native12_GLOBAL__N_18offset_tEEE10hipError_tPvRmT1_PNSt15iterator_traitsIS13_E10value_typeET2_T3_PNS14_IS19_E10value_typeET4_jRbjT5_S1F_jjP12ihipStream_tbEUljE_ZNSN_ISO_Lb1ESR_SS_SU_SV_SZ_EES10_S11_S12_S13_S17_S18_S19_S1C_S1D_jS1E_jS1F_S1F_jjS1H_bEUljE0_EEES10_S11_S12_S19_S1D_S1F_T6_T7_T9_mT8_S1H_bDpT10_ENKUlT_T0_E_clISt17integral_constantIbLb1EES1V_EEDaS1Q_S1R_EUlS1Q_E_NS1_11comp_targetILNS1_3genE10ELNS1_11target_archE1200ELNS1_3gpuE4ELNS1_3repE0EEENS1_30default_config_static_selectorELNS0_4arch9wavefront6targetE0EEEvS13_
; %bb.0:
	.section	.rodata,"a",@progbits
	.p2align	6, 0x0
	.amdhsa_kernel _ZN7rocprim17ROCPRIM_400000_NS6detail17trampoline_kernelINS0_13select_configILj256ELj13ELNS0_17block_load_methodE3ELS4_3ELS4_3ELNS0_20block_scan_algorithmE0ELj4294967295EEENS1_25partition_config_selectorILNS1_17partition_subalgoE4EjNS0_10empty_typeEbEEZZNS1_14partition_implILS8_4ELb0ES6_15HIP_vector_typeIjLj2EENS0_17counting_iteratorIjlEEPS9_SG_NS0_5tupleIJPjSI_NS0_16reverse_iteratorISI_EEEEENSH_IJSG_SG_SG_EEES9_SI_JZNS1_25segmented_radix_sort_implINS0_14default_configELb1EPK12hip_bfloat16PSP_PKlPlN2at6native12_GLOBAL__N_18offset_tEEE10hipError_tPvRmT1_PNSt15iterator_traitsIS13_E10value_typeET2_T3_PNS14_IS19_E10value_typeET4_jRbjT5_S1F_jjP12ihipStream_tbEUljE_ZNSN_ISO_Lb1ESR_SS_SU_SV_SZ_EES10_S11_S12_S13_S17_S18_S19_S1C_S1D_jS1E_jS1F_S1F_jjS1H_bEUljE0_EEES10_S11_S12_S19_S1D_S1F_T6_T7_T9_mT8_S1H_bDpT10_ENKUlT_T0_E_clISt17integral_constantIbLb1EES1V_EEDaS1Q_S1R_EUlS1Q_E_NS1_11comp_targetILNS1_3genE10ELNS1_11target_archE1200ELNS1_3gpuE4ELNS1_3repE0EEENS1_30default_config_static_selectorELNS0_4arch9wavefront6targetE0EEEvS13_
		.amdhsa_group_segment_fixed_size 0
		.amdhsa_private_segment_fixed_size 0
		.amdhsa_kernarg_size 184
		.amdhsa_user_sgpr_count 15
		.amdhsa_user_sgpr_dispatch_ptr 0
		.amdhsa_user_sgpr_queue_ptr 0
		.amdhsa_user_sgpr_kernarg_segment_ptr 1
		.amdhsa_user_sgpr_dispatch_id 0
		.amdhsa_user_sgpr_private_segment_size 0
		.amdhsa_wavefront_size32 1
		.amdhsa_uses_dynamic_stack 0
		.amdhsa_enable_private_segment 0
		.amdhsa_system_sgpr_workgroup_id_x 1
		.amdhsa_system_sgpr_workgroup_id_y 0
		.amdhsa_system_sgpr_workgroup_id_z 0
		.amdhsa_system_sgpr_workgroup_info 0
		.amdhsa_system_vgpr_workitem_id 0
		.amdhsa_next_free_vgpr 1
		.amdhsa_next_free_sgpr 1
		.amdhsa_reserve_vcc 0
		.amdhsa_float_round_mode_32 0
		.amdhsa_float_round_mode_16_64 0
		.amdhsa_float_denorm_mode_32 3
		.amdhsa_float_denorm_mode_16_64 3
		.amdhsa_dx10_clamp 1
		.amdhsa_ieee_mode 1
		.amdhsa_fp16_overflow 0
		.amdhsa_workgroup_processor_mode 1
		.amdhsa_memory_ordered 1
		.amdhsa_forward_progress 0
		.amdhsa_shared_vgpr_count 0
		.amdhsa_exception_fp_ieee_invalid_op 0
		.amdhsa_exception_fp_denorm_src 0
		.amdhsa_exception_fp_ieee_div_zero 0
		.amdhsa_exception_fp_ieee_overflow 0
		.amdhsa_exception_fp_ieee_underflow 0
		.amdhsa_exception_fp_ieee_inexact 0
		.amdhsa_exception_int_div_zero 0
	.end_amdhsa_kernel
	.section	.text._ZN7rocprim17ROCPRIM_400000_NS6detail17trampoline_kernelINS0_13select_configILj256ELj13ELNS0_17block_load_methodE3ELS4_3ELS4_3ELNS0_20block_scan_algorithmE0ELj4294967295EEENS1_25partition_config_selectorILNS1_17partition_subalgoE4EjNS0_10empty_typeEbEEZZNS1_14partition_implILS8_4ELb0ES6_15HIP_vector_typeIjLj2EENS0_17counting_iteratorIjlEEPS9_SG_NS0_5tupleIJPjSI_NS0_16reverse_iteratorISI_EEEEENSH_IJSG_SG_SG_EEES9_SI_JZNS1_25segmented_radix_sort_implINS0_14default_configELb1EPK12hip_bfloat16PSP_PKlPlN2at6native12_GLOBAL__N_18offset_tEEE10hipError_tPvRmT1_PNSt15iterator_traitsIS13_E10value_typeET2_T3_PNS14_IS19_E10value_typeET4_jRbjT5_S1F_jjP12ihipStream_tbEUljE_ZNSN_ISO_Lb1ESR_SS_SU_SV_SZ_EES10_S11_S12_S13_S17_S18_S19_S1C_S1D_jS1E_jS1F_S1F_jjS1H_bEUljE0_EEES10_S11_S12_S19_S1D_S1F_T6_T7_T9_mT8_S1H_bDpT10_ENKUlT_T0_E_clISt17integral_constantIbLb1EES1V_EEDaS1Q_S1R_EUlS1Q_E_NS1_11comp_targetILNS1_3genE10ELNS1_11target_archE1200ELNS1_3gpuE4ELNS1_3repE0EEENS1_30default_config_static_selectorELNS0_4arch9wavefront6targetE0EEEvS13_,"axG",@progbits,_ZN7rocprim17ROCPRIM_400000_NS6detail17trampoline_kernelINS0_13select_configILj256ELj13ELNS0_17block_load_methodE3ELS4_3ELS4_3ELNS0_20block_scan_algorithmE0ELj4294967295EEENS1_25partition_config_selectorILNS1_17partition_subalgoE4EjNS0_10empty_typeEbEEZZNS1_14partition_implILS8_4ELb0ES6_15HIP_vector_typeIjLj2EENS0_17counting_iteratorIjlEEPS9_SG_NS0_5tupleIJPjSI_NS0_16reverse_iteratorISI_EEEEENSH_IJSG_SG_SG_EEES9_SI_JZNS1_25segmented_radix_sort_implINS0_14default_configELb1EPK12hip_bfloat16PSP_PKlPlN2at6native12_GLOBAL__N_18offset_tEEE10hipError_tPvRmT1_PNSt15iterator_traitsIS13_E10value_typeET2_T3_PNS14_IS19_E10value_typeET4_jRbjT5_S1F_jjP12ihipStream_tbEUljE_ZNSN_ISO_Lb1ESR_SS_SU_SV_SZ_EES10_S11_S12_S13_S17_S18_S19_S1C_S1D_jS1E_jS1F_S1F_jjS1H_bEUljE0_EEES10_S11_S12_S19_S1D_S1F_T6_T7_T9_mT8_S1H_bDpT10_ENKUlT_T0_E_clISt17integral_constantIbLb1EES1V_EEDaS1Q_S1R_EUlS1Q_E_NS1_11comp_targetILNS1_3genE10ELNS1_11target_archE1200ELNS1_3gpuE4ELNS1_3repE0EEENS1_30default_config_static_selectorELNS0_4arch9wavefront6targetE0EEEvS13_,comdat
.Lfunc_end1895:
	.size	_ZN7rocprim17ROCPRIM_400000_NS6detail17trampoline_kernelINS0_13select_configILj256ELj13ELNS0_17block_load_methodE3ELS4_3ELS4_3ELNS0_20block_scan_algorithmE0ELj4294967295EEENS1_25partition_config_selectorILNS1_17partition_subalgoE4EjNS0_10empty_typeEbEEZZNS1_14partition_implILS8_4ELb0ES6_15HIP_vector_typeIjLj2EENS0_17counting_iteratorIjlEEPS9_SG_NS0_5tupleIJPjSI_NS0_16reverse_iteratorISI_EEEEENSH_IJSG_SG_SG_EEES9_SI_JZNS1_25segmented_radix_sort_implINS0_14default_configELb1EPK12hip_bfloat16PSP_PKlPlN2at6native12_GLOBAL__N_18offset_tEEE10hipError_tPvRmT1_PNSt15iterator_traitsIS13_E10value_typeET2_T3_PNS14_IS19_E10value_typeET4_jRbjT5_S1F_jjP12ihipStream_tbEUljE_ZNSN_ISO_Lb1ESR_SS_SU_SV_SZ_EES10_S11_S12_S13_S17_S18_S19_S1C_S1D_jS1E_jS1F_S1F_jjS1H_bEUljE0_EEES10_S11_S12_S19_S1D_S1F_T6_T7_T9_mT8_S1H_bDpT10_ENKUlT_T0_E_clISt17integral_constantIbLb1EES1V_EEDaS1Q_S1R_EUlS1Q_E_NS1_11comp_targetILNS1_3genE10ELNS1_11target_archE1200ELNS1_3gpuE4ELNS1_3repE0EEENS1_30default_config_static_selectorELNS0_4arch9wavefront6targetE0EEEvS13_, .Lfunc_end1895-_ZN7rocprim17ROCPRIM_400000_NS6detail17trampoline_kernelINS0_13select_configILj256ELj13ELNS0_17block_load_methodE3ELS4_3ELS4_3ELNS0_20block_scan_algorithmE0ELj4294967295EEENS1_25partition_config_selectorILNS1_17partition_subalgoE4EjNS0_10empty_typeEbEEZZNS1_14partition_implILS8_4ELb0ES6_15HIP_vector_typeIjLj2EENS0_17counting_iteratorIjlEEPS9_SG_NS0_5tupleIJPjSI_NS0_16reverse_iteratorISI_EEEEENSH_IJSG_SG_SG_EEES9_SI_JZNS1_25segmented_radix_sort_implINS0_14default_configELb1EPK12hip_bfloat16PSP_PKlPlN2at6native12_GLOBAL__N_18offset_tEEE10hipError_tPvRmT1_PNSt15iterator_traitsIS13_E10value_typeET2_T3_PNS14_IS19_E10value_typeET4_jRbjT5_S1F_jjP12ihipStream_tbEUljE_ZNSN_ISO_Lb1ESR_SS_SU_SV_SZ_EES10_S11_S12_S13_S17_S18_S19_S1C_S1D_jS1E_jS1F_S1F_jjS1H_bEUljE0_EEES10_S11_S12_S19_S1D_S1F_T6_T7_T9_mT8_S1H_bDpT10_ENKUlT_T0_E_clISt17integral_constantIbLb1EES1V_EEDaS1Q_S1R_EUlS1Q_E_NS1_11comp_targetILNS1_3genE10ELNS1_11target_archE1200ELNS1_3gpuE4ELNS1_3repE0EEENS1_30default_config_static_selectorELNS0_4arch9wavefront6targetE0EEEvS13_
                                        ; -- End function
	.section	.AMDGPU.csdata,"",@progbits
; Kernel info:
; codeLenInByte = 0
; NumSgprs: 0
; NumVgprs: 0
; ScratchSize: 0
; MemoryBound: 0
; FloatMode: 240
; IeeeMode: 1
; LDSByteSize: 0 bytes/workgroup (compile time only)
; SGPRBlocks: 0
; VGPRBlocks: 0
; NumSGPRsForWavesPerEU: 1
; NumVGPRsForWavesPerEU: 1
; Occupancy: 16
; WaveLimiterHint : 0
; COMPUTE_PGM_RSRC2:SCRATCH_EN: 0
; COMPUTE_PGM_RSRC2:USER_SGPR: 15
; COMPUTE_PGM_RSRC2:TRAP_HANDLER: 0
; COMPUTE_PGM_RSRC2:TGID_X_EN: 1
; COMPUTE_PGM_RSRC2:TGID_Y_EN: 0
; COMPUTE_PGM_RSRC2:TGID_Z_EN: 0
; COMPUTE_PGM_RSRC2:TIDIG_COMP_CNT: 0
	.section	.text._ZN7rocprim17ROCPRIM_400000_NS6detail17trampoline_kernelINS0_13select_configILj256ELj13ELNS0_17block_load_methodE3ELS4_3ELS4_3ELNS0_20block_scan_algorithmE0ELj4294967295EEENS1_25partition_config_selectorILNS1_17partition_subalgoE4EjNS0_10empty_typeEbEEZZNS1_14partition_implILS8_4ELb0ES6_15HIP_vector_typeIjLj2EENS0_17counting_iteratorIjlEEPS9_SG_NS0_5tupleIJPjSI_NS0_16reverse_iteratorISI_EEEEENSH_IJSG_SG_SG_EEES9_SI_JZNS1_25segmented_radix_sort_implINS0_14default_configELb1EPK12hip_bfloat16PSP_PKlPlN2at6native12_GLOBAL__N_18offset_tEEE10hipError_tPvRmT1_PNSt15iterator_traitsIS13_E10value_typeET2_T3_PNS14_IS19_E10value_typeET4_jRbjT5_S1F_jjP12ihipStream_tbEUljE_ZNSN_ISO_Lb1ESR_SS_SU_SV_SZ_EES10_S11_S12_S13_S17_S18_S19_S1C_S1D_jS1E_jS1F_S1F_jjS1H_bEUljE0_EEES10_S11_S12_S19_S1D_S1F_T6_T7_T9_mT8_S1H_bDpT10_ENKUlT_T0_E_clISt17integral_constantIbLb1EES1V_EEDaS1Q_S1R_EUlS1Q_E_NS1_11comp_targetILNS1_3genE9ELNS1_11target_archE1100ELNS1_3gpuE3ELNS1_3repE0EEENS1_30default_config_static_selectorELNS0_4arch9wavefront6targetE0EEEvS13_,"axG",@progbits,_ZN7rocprim17ROCPRIM_400000_NS6detail17trampoline_kernelINS0_13select_configILj256ELj13ELNS0_17block_load_methodE3ELS4_3ELS4_3ELNS0_20block_scan_algorithmE0ELj4294967295EEENS1_25partition_config_selectorILNS1_17partition_subalgoE4EjNS0_10empty_typeEbEEZZNS1_14partition_implILS8_4ELb0ES6_15HIP_vector_typeIjLj2EENS0_17counting_iteratorIjlEEPS9_SG_NS0_5tupleIJPjSI_NS0_16reverse_iteratorISI_EEEEENSH_IJSG_SG_SG_EEES9_SI_JZNS1_25segmented_radix_sort_implINS0_14default_configELb1EPK12hip_bfloat16PSP_PKlPlN2at6native12_GLOBAL__N_18offset_tEEE10hipError_tPvRmT1_PNSt15iterator_traitsIS13_E10value_typeET2_T3_PNS14_IS19_E10value_typeET4_jRbjT5_S1F_jjP12ihipStream_tbEUljE_ZNSN_ISO_Lb1ESR_SS_SU_SV_SZ_EES10_S11_S12_S13_S17_S18_S19_S1C_S1D_jS1E_jS1F_S1F_jjS1H_bEUljE0_EEES10_S11_S12_S19_S1D_S1F_T6_T7_T9_mT8_S1H_bDpT10_ENKUlT_T0_E_clISt17integral_constantIbLb1EES1V_EEDaS1Q_S1R_EUlS1Q_E_NS1_11comp_targetILNS1_3genE9ELNS1_11target_archE1100ELNS1_3gpuE3ELNS1_3repE0EEENS1_30default_config_static_selectorELNS0_4arch9wavefront6targetE0EEEvS13_,comdat
	.globl	_ZN7rocprim17ROCPRIM_400000_NS6detail17trampoline_kernelINS0_13select_configILj256ELj13ELNS0_17block_load_methodE3ELS4_3ELS4_3ELNS0_20block_scan_algorithmE0ELj4294967295EEENS1_25partition_config_selectorILNS1_17partition_subalgoE4EjNS0_10empty_typeEbEEZZNS1_14partition_implILS8_4ELb0ES6_15HIP_vector_typeIjLj2EENS0_17counting_iteratorIjlEEPS9_SG_NS0_5tupleIJPjSI_NS0_16reverse_iteratorISI_EEEEENSH_IJSG_SG_SG_EEES9_SI_JZNS1_25segmented_radix_sort_implINS0_14default_configELb1EPK12hip_bfloat16PSP_PKlPlN2at6native12_GLOBAL__N_18offset_tEEE10hipError_tPvRmT1_PNSt15iterator_traitsIS13_E10value_typeET2_T3_PNS14_IS19_E10value_typeET4_jRbjT5_S1F_jjP12ihipStream_tbEUljE_ZNSN_ISO_Lb1ESR_SS_SU_SV_SZ_EES10_S11_S12_S13_S17_S18_S19_S1C_S1D_jS1E_jS1F_S1F_jjS1H_bEUljE0_EEES10_S11_S12_S19_S1D_S1F_T6_T7_T9_mT8_S1H_bDpT10_ENKUlT_T0_E_clISt17integral_constantIbLb1EES1V_EEDaS1Q_S1R_EUlS1Q_E_NS1_11comp_targetILNS1_3genE9ELNS1_11target_archE1100ELNS1_3gpuE3ELNS1_3repE0EEENS1_30default_config_static_selectorELNS0_4arch9wavefront6targetE0EEEvS13_ ; -- Begin function _ZN7rocprim17ROCPRIM_400000_NS6detail17trampoline_kernelINS0_13select_configILj256ELj13ELNS0_17block_load_methodE3ELS4_3ELS4_3ELNS0_20block_scan_algorithmE0ELj4294967295EEENS1_25partition_config_selectorILNS1_17partition_subalgoE4EjNS0_10empty_typeEbEEZZNS1_14partition_implILS8_4ELb0ES6_15HIP_vector_typeIjLj2EENS0_17counting_iteratorIjlEEPS9_SG_NS0_5tupleIJPjSI_NS0_16reverse_iteratorISI_EEEEENSH_IJSG_SG_SG_EEES9_SI_JZNS1_25segmented_radix_sort_implINS0_14default_configELb1EPK12hip_bfloat16PSP_PKlPlN2at6native12_GLOBAL__N_18offset_tEEE10hipError_tPvRmT1_PNSt15iterator_traitsIS13_E10value_typeET2_T3_PNS14_IS19_E10value_typeET4_jRbjT5_S1F_jjP12ihipStream_tbEUljE_ZNSN_ISO_Lb1ESR_SS_SU_SV_SZ_EES10_S11_S12_S13_S17_S18_S19_S1C_S1D_jS1E_jS1F_S1F_jjS1H_bEUljE0_EEES10_S11_S12_S19_S1D_S1F_T6_T7_T9_mT8_S1H_bDpT10_ENKUlT_T0_E_clISt17integral_constantIbLb1EES1V_EEDaS1Q_S1R_EUlS1Q_E_NS1_11comp_targetILNS1_3genE9ELNS1_11target_archE1100ELNS1_3gpuE3ELNS1_3repE0EEENS1_30default_config_static_selectorELNS0_4arch9wavefront6targetE0EEEvS13_
	.p2align	8
	.type	_ZN7rocprim17ROCPRIM_400000_NS6detail17trampoline_kernelINS0_13select_configILj256ELj13ELNS0_17block_load_methodE3ELS4_3ELS4_3ELNS0_20block_scan_algorithmE0ELj4294967295EEENS1_25partition_config_selectorILNS1_17partition_subalgoE4EjNS0_10empty_typeEbEEZZNS1_14partition_implILS8_4ELb0ES6_15HIP_vector_typeIjLj2EENS0_17counting_iteratorIjlEEPS9_SG_NS0_5tupleIJPjSI_NS0_16reverse_iteratorISI_EEEEENSH_IJSG_SG_SG_EEES9_SI_JZNS1_25segmented_radix_sort_implINS0_14default_configELb1EPK12hip_bfloat16PSP_PKlPlN2at6native12_GLOBAL__N_18offset_tEEE10hipError_tPvRmT1_PNSt15iterator_traitsIS13_E10value_typeET2_T3_PNS14_IS19_E10value_typeET4_jRbjT5_S1F_jjP12ihipStream_tbEUljE_ZNSN_ISO_Lb1ESR_SS_SU_SV_SZ_EES10_S11_S12_S13_S17_S18_S19_S1C_S1D_jS1E_jS1F_S1F_jjS1H_bEUljE0_EEES10_S11_S12_S19_S1D_S1F_T6_T7_T9_mT8_S1H_bDpT10_ENKUlT_T0_E_clISt17integral_constantIbLb1EES1V_EEDaS1Q_S1R_EUlS1Q_E_NS1_11comp_targetILNS1_3genE9ELNS1_11target_archE1100ELNS1_3gpuE3ELNS1_3repE0EEENS1_30default_config_static_selectorELNS0_4arch9wavefront6targetE0EEEvS13_,@function
_ZN7rocprim17ROCPRIM_400000_NS6detail17trampoline_kernelINS0_13select_configILj256ELj13ELNS0_17block_load_methodE3ELS4_3ELS4_3ELNS0_20block_scan_algorithmE0ELj4294967295EEENS1_25partition_config_selectorILNS1_17partition_subalgoE4EjNS0_10empty_typeEbEEZZNS1_14partition_implILS8_4ELb0ES6_15HIP_vector_typeIjLj2EENS0_17counting_iteratorIjlEEPS9_SG_NS0_5tupleIJPjSI_NS0_16reverse_iteratorISI_EEEEENSH_IJSG_SG_SG_EEES9_SI_JZNS1_25segmented_radix_sort_implINS0_14default_configELb1EPK12hip_bfloat16PSP_PKlPlN2at6native12_GLOBAL__N_18offset_tEEE10hipError_tPvRmT1_PNSt15iterator_traitsIS13_E10value_typeET2_T3_PNS14_IS19_E10value_typeET4_jRbjT5_S1F_jjP12ihipStream_tbEUljE_ZNSN_ISO_Lb1ESR_SS_SU_SV_SZ_EES10_S11_S12_S13_S17_S18_S19_S1C_S1D_jS1E_jS1F_S1F_jjS1H_bEUljE0_EEES10_S11_S12_S19_S1D_S1F_T6_T7_T9_mT8_S1H_bDpT10_ENKUlT_T0_E_clISt17integral_constantIbLb1EES1V_EEDaS1Q_S1R_EUlS1Q_E_NS1_11comp_targetILNS1_3genE9ELNS1_11target_archE1100ELNS1_3gpuE3ELNS1_3repE0EEENS1_30default_config_static_selectorELNS0_4arch9wavefront6targetE0EEEvS13_: ; @_ZN7rocprim17ROCPRIM_400000_NS6detail17trampoline_kernelINS0_13select_configILj256ELj13ELNS0_17block_load_methodE3ELS4_3ELS4_3ELNS0_20block_scan_algorithmE0ELj4294967295EEENS1_25partition_config_selectorILNS1_17partition_subalgoE4EjNS0_10empty_typeEbEEZZNS1_14partition_implILS8_4ELb0ES6_15HIP_vector_typeIjLj2EENS0_17counting_iteratorIjlEEPS9_SG_NS0_5tupleIJPjSI_NS0_16reverse_iteratorISI_EEEEENSH_IJSG_SG_SG_EEES9_SI_JZNS1_25segmented_radix_sort_implINS0_14default_configELb1EPK12hip_bfloat16PSP_PKlPlN2at6native12_GLOBAL__N_18offset_tEEE10hipError_tPvRmT1_PNSt15iterator_traitsIS13_E10value_typeET2_T3_PNS14_IS19_E10value_typeET4_jRbjT5_S1F_jjP12ihipStream_tbEUljE_ZNSN_ISO_Lb1ESR_SS_SU_SV_SZ_EES10_S11_S12_S13_S17_S18_S19_S1C_S1D_jS1E_jS1F_S1F_jjS1H_bEUljE0_EEES10_S11_S12_S19_S1D_S1F_T6_T7_T9_mT8_S1H_bDpT10_ENKUlT_T0_E_clISt17integral_constantIbLb1EES1V_EEDaS1Q_S1R_EUlS1Q_E_NS1_11comp_targetILNS1_3genE9ELNS1_11target_archE1100ELNS1_3gpuE3ELNS1_3repE0EEENS1_30default_config_static_selectorELNS0_4arch9wavefront6targetE0EEEvS13_
; %bb.0:
	s_clause 0x7
	s_load_b64 s[34:35], s[0:1], 0x10
	s_load_b128 s[28:31], s[0:1], 0x28
	s_load_b64 s[14:15], s[0:1], 0x38
	s_load_b128 s[24:27], s[0:1], 0x58
	s_load_b64 s[4:5], s[0:1], 0x68
	s_load_b64 s[36:37], s[0:1], 0x78
	;; [unrolled: 1-line block ×3, first 2 shown]
	s_load_b256 s[16:23], s[0:1], 0x90
	v_cmp_eq_u32_e64 s2, 0, v0
	s_delay_alu instid0(VALU_DEP_1)
	s_and_saveexec_b32 s3, s2
	s_cbranch_execz .LBB1896_4
; %bb.1:
	s_mov_b32 s7, exec_lo
	s_mov_b32 s6, exec_lo
	v_mbcnt_lo_u32_b32 v1, s7, 0
                                        ; implicit-def: $vgpr2
	s_delay_alu instid0(VALU_DEP_1)
	v_cmpx_eq_u32_e32 0, v1
	s_cbranch_execz .LBB1896_3
; %bb.2:
	s_load_b64 s[8:9], s[0:1], 0x88
	s_bcnt1_i32_b32 s7, s7
	s_delay_alu instid0(SALU_CYCLE_1)
	v_dual_mov_b32 v2, 0 :: v_dual_mov_b32 v3, s7
	s_waitcnt lgkmcnt(0)
	global_atomic_add_u32 v2, v2, v3, s[8:9] glc
.LBB1896_3:
	s_or_b32 exec_lo, exec_lo, s6
	s_waitcnt vmcnt(0)
	v_readfirstlane_b32 s6, v2
	s_delay_alu instid0(VALU_DEP_1)
	v_dual_mov_b32 v2, 0 :: v_dual_add_nc_u32 v1, s6, v1
	ds_store_b32 v2, v1
.LBB1896_4:
	s_or_b32 exec_lo, exec_lo, s3
	v_mov_b32_e32 v1, 0
	s_clause 0x1
	s_load_b32 s3, s[0:1], 0x8
	s_load_b32 s0, s[0:1], 0x80
	s_waitcnt lgkmcnt(0)
	s_barrier
	buffer_gl0_inv
	ds_load_b32 v5, v1
	s_waitcnt lgkmcnt(0)
	s_barrier
	buffer_gl0_inv
	global_load_b128 v[1:4], v1, s[26:27]
	s_add_i32 s3, s3, s34
	s_mul_i32 s1, s0, 0xd00
	s_add_i32 s0, s0, -1
	s_add_u32 s6, s34, s1
	s_addc_u32 s7, s35, 0
	v_mul_lo_u32 v30, 0xd00, v5
	v_readfirstlane_b32 s26, v5
	v_cmp_lt_u64_e64 s5, s[6:7], s[4:5]
	v_cmp_ne_u32_e32 vcc_lo, s0, v5
	s_delay_alu instid0(VALU_DEP_3) | instskip(SKIP_1) | instid1(VALU_DEP_4)
	s_cmp_eq_u32 s26, s0
	s_cselect_b32 s13, -1, 0
	v_add3_u32 v5, v30, s3, v0
	s_delay_alu instid0(VALU_DEP_3) | instskip(SKIP_2) | instid1(VALU_DEP_1)
	s_or_b32 s0, s5, vcc_lo
	s_mov_b32 s3, -1
	s_and_b32 vcc_lo, exec_lo, s0
	v_add_nc_u32_e32 v6, 0x100, v5
	v_add_nc_u32_e32 v7, 0x200, v5
	v_add_nc_u32_e32 v8, 0x300, v5
	v_add_nc_u32_e32 v9, 0x400, v5
	v_add_nc_u32_e32 v10, 0x500, v5
	v_add_nc_u32_e32 v11, 0x600, v5
	v_add_nc_u32_e32 v12, 0x700, v5
	v_add_nc_u32_e32 v13, 0x800, v5
	v_add_nc_u32_e32 v14, 0x900, v5
	v_add_nc_u32_e32 v15, 0xa00, v5
	v_add_nc_u32_e32 v16, 0xb00, v5
	v_add_nc_u32_e32 v17, 0xc00, v5
	s_cbranch_vccz .LBB1896_6
; %bb.5:
	v_lshlrev_b32_e32 v18, 2, v0
	s_mov_b32 s3, 0
	ds_store_2addr_stride64_b32 v18, v5, v6 offset1:4
	ds_store_2addr_stride64_b32 v18, v7, v8 offset0:8 offset1:12
	ds_store_2addr_stride64_b32 v18, v9, v10 offset0:16 offset1:20
	ds_store_2addr_stride64_b32 v18, v11, v12 offset0:24 offset1:28
	ds_store_2addr_stride64_b32 v18, v13, v14 offset0:32 offset1:36
	ds_store_2addr_stride64_b32 v18, v15, v16 offset0:40 offset1:44
	ds_store_b32 v18, v17 offset:12288
	s_waitcnt vmcnt(0) lgkmcnt(0)
	s_barrier
.LBB1896_6:
	s_and_not1_b32 vcc_lo, exec_lo, s3
	s_add_i32 s1, s1, s34
	s_cbranch_vccnz .LBB1896_8
; %bb.7:
	v_lshlrev_b32_e32 v18, 2, v0
	ds_store_2addr_stride64_b32 v18, v5, v6 offset1:4
	ds_store_2addr_stride64_b32 v18, v7, v8 offset0:8 offset1:12
	ds_store_2addr_stride64_b32 v18, v9, v10 offset0:16 offset1:20
	;; [unrolled: 1-line block ×5, first 2 shown]
	ds_store_b32 v18, v17 offset:12288
	s_waitcnt vmcnt(0) lgkmcnt(0)
	s_barrier
.LBB1896_8:
	v_mul_u32_u24_e32 v33, 13, v0
	s_waitcnt vmcnt(0)
	buffer_gl0_inv
	v_cndmask_b32_e64 v31, 0, 1, s0
	s_sub_i32 s40, s4, s1
	s_and_not1_b32 vcc_lo, exec_lo, s0
	v_lshlrev_b32_e32 v5, 2, v33
	ds_load_2addr_b32 v[20:21], v5 offset1:1
	ds_load_2addr_b32 v[18:19], v5 offset0:2 offset1:3
	ds_load_2addr_b32 v[16:17], v5 offset0:4 offset1:5
	;; [unrolled: 1-line block ×5, first 2 shown]
	ds_load_b32 v32, v5 offset:48
	s_waitcnt lgkmcnt(0)
	s_barrier
	buffer_gl0_inv
	s_cbranch_vccnz .LBB1896_36
; %bb.9:
	v_add_nc_u32_e32 v5, s17, v20
	v_add_nc_u32_e32 v6, s19, v20
	s_mov_b32 s42, 0
	s_mov_b32 s41, 0
	s_mov_b32 s1, exec_lo
	v_mul_lo_u32 v5, v5, s16
	v_mul_lo_u32 v6, v6, s18
	s_delay_alu instid0(VALU_DEP_1) | instskip(NEXT) | instid1(VALU_DEP_1)
	v_sub_nc_u32_e32 v5, v5, v6
	v_cmp_lt_u32_e32 vcc_lo, s20, v5
	v_cmpx_ge_u32_e64 s20, v5
; %bb.10:
	v_add_nc_u32_e32 v5, s22, v20
	v_add_nc_u32_e32 v6, s38, v20
	s_delay_alu instid0(VALU_DEP_2) | instskip(NEXT) | instid1(VALU_DEP_2)
	v_mul_lo_u32 v5, v5, s21
	v_mul_lo_u32 v6, v6, s23
	s_delay_alu instid0(VALU_DEP_1) | instskip(NEXT) | instid1(VALU_DEP_1)
	v_sub_nc_u32_e32 v5, v5, v6
	v_cmp_lt_u32_e64 s0, s39, v5
	s_delay_alu instid0(VALU_DEP_1)
	s_and_b32 s41, s0, exec_lo
; %bb.11:
	s_or_b32 exec_lo, exec_lo, s1
	v_add_nc_u32_e32 v5, s17, v21
	v_add_nc_u32_e32 v6, s19, v21
	s_mov_b32 s3, exec_lo
	s_delay_alu instid0(VALU_DEP_2) | instskip(NEXT) | instid1(VALU_DEP_2)
	v_mul_lo_u32 v5, v5, s16
	v_mul_lo_u32 v6, v6, s18
	s_delay_alu instid0(VALU_DEP_1) | instskip(NEXT) | instid1(VALU_DEP_1)
	v_sub_nc_u32_e32 v5, v5, v6
	v_cmp_lt_u32_e64 s0, s20, v5
	v_cmpx_ge_u32_e64 s20, v5
; %bb.12:
	v_add_nc_u32_e32 v5, s22, v21
	v_add_nc_u32_e32 v6, s38, v21
	s_delay_alu instid0(VALU_DEP_2) | instskip(NEXT) | instid1(VALU_DEP_2)
	v_mul_lo_u32 v5, v5, s21
	v_mul_lo_u32 v6, v6, s23
	s_delay_alu instid0(VALU_DEP_1) | instskip(NEXT) | instid1(VALU_DEP_1)
	v_sub_nc_u32_e32 v5, v5, v6
	v_cmp_lt_u32_e64 s1, s39, v5
	s_delay_alu instid0(VALU_DEP_1)
	s_and_b32 s42, s1, exec_lo
; %bb.13:
	s_or_b32 exec_lo, exec_lo, s3
	v_add_nc_u32_e32 v5, s17, v18
	v_add_nc_u32_e32 v6, s19, v18
	s_mov_b32 s44, 0
	s_mov_b32 s43, 0
	s_mov_b32 s4, exec_lo
	v_mul_lo_u32 v5, v5, s16
	v_mul_lo_u32 v6, v6, s18
	s_delay_alu instid0(VALU_DEP_1) | instskip(NEXT) | instid1(VALU_DEP_1)
	v_sub_nc_u32_e32 v5, v5, v6
	v_cmp_lt_u32_e64 s1, s20, v5
	v_cmpx_ge_u32_e64 s20, v5
; %bb.14:
	v_add_nc_u32_e32 v5, s22, v18
	v_add_nc_u32_e32 v6, s38, v18
	s_delay_alu instid0(VALU_DEP_2) | instskip(NEXT) | instid1(VALU_DEP_2)
	v_mul_lo_u32 v5, v5, s21
	v_mul_lo_u32 v6, v6, s23
	s_delay_alu instid0(VALU_DEP_1) | instskip(NEXT) | instid1(VALU_DEP_1)
	v_sub_nc_u32_e32 v5, v5, v6
	v_cmp_lt_u32_e64 s3, s39, v5
	s_delay_alu instid0(VALU_DEP_1)
	s_and_b32 s43, s3, exec_lo
; %bb.15:
	s_or_b32 exec_lo, exec_lo, s4
	v_add_nc_u32_e32 v5, s17, v19
	v_add_nc_u32_e32 v6, s19, v19
	s_mov_b32 s5, exec_lo
	s_delay_alu instid0(VALU_DEP_2) | instskip(NEXT) | instid1(VALU_DEP_2)
	v_mul_lo_u32 v5, v5, s16
	v_mul_lo_u32 v6, v6, s18
	s_delay_alu instid0(VALU_DEP_1) | instskip(NEXT) | instid1(VALU_DEP_1)
	v_sub_nc_u32_e32 v5, v5, v6
	v_cmp_lt_u32_e64 s3, s20, v5
	v_cmpx_ge_u32_e64 s20, v5
; %bb.16:
	v_add_nc_u32_e32 v5, s22, v19
	v_add_nc_u32_e32 v6, s38, v19
	s_delay_alu instid0(VALU_DEP_2) | instskip(NEXT) | instid1(VALU_DEP_2)
	v_mul_lo_u32 v5, v5, s21
	v_mul_lo_u32 v6, v6, s23
	s_delay_alu instid0(VALU_DEP_1) | instskip(NEXT) | instid1(VALU_DEP_1)
	v_sub_nc_u32_e32 v5, v5, v6
	v_cmp_lt_u32_e64 s4, s39, v5
	s_delay_alu instid0(VALU_DEP_1)
	s_and_b32 s44, s4, exec_lo
; %bb.17:
	s_or_b32 exec_lo, exec_lo, s5
	v_add_nc_u32_e32 v5, s17, v16
	v_add_nc_u32_e32 v6, s19, v16
	s_mov_b32 s46, 0
	s_mov_b32 s45, 0
	s_mov_b32 s6, exec_lo
	v_mul_lo_u32 v5, v5, s16
	v_mul_lo_u32 v6, v6, s18
	s_delay_alu instid0(VALU_DEP_1) | instskip(NEXT) | instid1(VALU_DEP_1)
	v_sub_nc_u32_e32 v5, v5, v6
	v_cmp_lt_u32_e64 s4, s20, v5
	;; [unrolled: 47-line block ×5, first 2 shown]
	v_cmpx_ge_u32_e64 s20, v5
; %bb.30:
	v_add_nc_u32_e32 v5, s22, v10
	v_add_nc_u32_e32 v6, s38, v10
	s_delay_alu instid0(VALU_DEP_2) | instskip(NEXT) | instid1(VALU_DEP_2)
	v_mul_lo_u32 v5, v5, s21
	v_mul_lo_u32 v6, v6, s23
	s_delay_alu instid0(VALU_DEP_1) | instskip(NEXT) | instid1(VALU_DEP_1)
	v_sub_nc_u32_e32 v5, v5, v6
	v_cmp_lt_u32_e64 s11, s39, v5
	s_delay_alu instid0(VALU_DEP_1)
	s_and_b32 s53, s11, exec_lo
; %bb.31:
	s_or_b32 exec_lo, exec_lo, s12
	v_add_nc_u32_e32 v5, s17, v11
	v_add_nc_u32_e32 v6, s19, v11
	s_mov_b32 s27, exec_lo
	s_delay_alu instid0(VALU_DEP_2) | instskip(NEXT) | instid1(VALU_DEP_2)
	v_mul_lo_u32 v5, v5, s16
	v_mul_lo_u32 v6, v6, s18
	s_delay_alu instid0(VALU_DEP_1) | instskip(NEXT) | instid1(VALU_DEP_1)
	v_sub_nc_u32_e32 v5, v5, v6
	v_cmp_lt_u32_e64 s11, s20, v5
	v_cmpx_ge_u32_e64 s20, v5
; %bb.32:
	v_add_nc_u32_e32 v5, s22, v11
	v_add_nc_u32_e32 v6, s38, v11
	s_delay_alu instid0(VALU_DEP_2) | instskip(NEXT) | instid1(VALU_DEP_2)
	v_mul_lo_u32 v5, v5, s21
	v_mul_lo_u32 v6, v6, s23
	s_delay_alu instid0(VALU_DEP_1) | instskip(NEXT) | instid1(VALU_DEP_1)
	v_sub_nc_u32_e32 v5, v5, v6
	v_cmp_lt_u32_e64 s12, s39, v5
	s_delay_alu instid0(VALU_DEP_1)
	s_and_b32 s52, s12, exec_lo
; %bb.33:
	s_or_b32 exec_lo, exec_lo, s27
	v_add_nc_u32_e32 v5, s17, v32
	v_add_nc_u32_e32 v6, s19, v32
	s_mov_b32 s27, -1
	s_mov_b32 s49, 0
	s_mov_b32 s33, 0
	v_mul_lo_u32 v5, v5, s16
	v_mul_lo_u32 v6, v6, s18
	s_mov_b32 s54, exec_lo
	s_delay_alu instid0(VALU_DEP_1) | instskip(NEXT) | instid1(VALU_DEP_1)
	v_sub_nc_u32_e32 v5, v5, v6
	v_cmpx_ge_u32_e64 s20, v5
; %bb.34:
	v_add_nc_u32_e32 v5, s22, v32
	v_add_nc_u32_e32 v6, s38, v32
	s_xor_b32 s27, exec_lo, -1
	s_delay_alu instid0(VALU_DEP_2) | instskip(NEXT) | instid1(VALU_DEP_2)
	v_mul_lo_u32 v5, v5, s21
	v_mul_lo_u32 v6, v6, s23
	s_delay_alu instid0(VALU_DEP_1) | instskip(NEXT) | instid1(VALU_DEP_1)
	v_sub_nc_u32_e32 v5, v5, v6
	v_cmp_lt_u32_e64 s12, s39, v5
	s_delay_alu instid0(VALU_DEP_1)
	s_and_b32 s33, s12, exec_lo
; %bb.35:
	s_or_b32 exec_lo, exec_lo, s54
	v_cndmask_b32_e64 v53, 0, 1, s53
	v_cndmask_b32_e64 v56, 0, 1, s11
	;; [unrolled: 1-line block ×22, first 2 shown]
	v_cndmask_b32_e64 v34, 0, 1, vcc_lo
	v_cndmask_b32_e64 v57, 0, 1, s52
	s_and_b32 vcc_lo, exec_lo, s49
	s_add_i32 s4, s40, 0xd00
	s_cbranch_vccnz .LBB1896_37
	s_branch .LBB1896_90
.LBB1896_36:
                                        ; implicit-def: $sgpr27
                                        ; implicit-def: $sgpr33
                                        ; implicit-def: $vgpr57
                                        ; implicit-def: $vgpr53
                                        ; implicit-def: $vgpr52
                                        ; implicit-def: $vgpr50
                                        ; implicit-def: $vgpr48
                                        ; implicit-def: $vgpr46
                                        ; implicit-def: $vgpr44
                                        ; implicit-def: $vgpr42
                                        ; implicit-def: $vgpr39
                                        ; implicit-def: $vgpr34
                                        ; implicit-def: $vgpr37
                                        ; implicit-def: $vgpr36
                                        ; implicit-def: $vgpr41
                                        ; implicit-def: $vgpr43
                                        ; implicit-def: $vgpr45
                                        ; implicit-def: $vgpr47
                                        ; implicit-def: $vgpr49
                                        ; implicit-def: $vgpr51
                                        ; implicit-def: $vgpr54
                                        ; implicit-def: $vgpr55
                                        ; implicit-def: $vgpr56
                                        ; implicit-def: $vgpr35
                                        ; implicit-def: $vgpr40
                                        ; implicit-def: $vgpr38
	s_add_i32 s4, s40, 0xd00
	s_cbranch_execz .LBB1896_90
.LBB1896_37:
	v_dual_mov_b32 v35, 0 :: v_dual_mov_b32 v34, 0
	s_mov_b32 s3, 0
	s_mov_b32 s1, exec_lo
	v_cmpx_gt_u32_e64 s4, v33
	s_cbranch_execz .LBB1896_41
; %bb.38:
	v_add_nc_u32_e32 v5, s17, v20
	v_add_nc_u32_e32 v6, s19, v20
	s_mov_b32 s5, exec_lo
	s_delay_alu instid0(VALU_DEP_2) | instskip(NEXT) | instid1(VALU_DEP_2)
	v_mul_lo_u32 v5, v5, s16
	v_mul_lo_u32 v6, v6, s18
	s_delay_alu instid0(VALU_DEP_1) | instskip(NEXT) | instid1(VALU_DEP_1)
	v_sub_nc_u32_e32 v5, v5, v6
	v_cmp_lt_u32_e32 vcc_lo, s20, v5
	v_cmpx_ge_u32_e64 s20, v5
; %bb.39:
	v_add_nc_u32_e32 v5, s22, v20
	v_add_nc_u32_e32 v6, s38, v20
	s_delay_alu instid0(VALU_DEP_2) | instskip(NEXT) | instid1(VALU_DEP_2)
	v_mul_lo_u32 v5, v5, s21
	v_mul_lo_u32 v6, v6, s23
	s_delay_alu instid0(VALU_DEP_1) | instskip(NEXT) | instid1(VALU_DEP_1)
	v_sub_nc_u32_e32 v5, v5, v6
	v_cmp_lt_u32_e64 s0, s39, v5
	s_delay_alu instid0(VALU_DEP_1)
	s_and_b32 s3, s0, exec_lo
; %bb.40:
	s_or_b32 exec_lo, exec_lo, s5
	v_cndmask_b32_e64 v34, 0, 1, vcc_lo
	v_cndmask_b32_e64 v35, 0, 1, s3
.LBB1896_41:
	s_or_b32 exec_lo, exec_lo, s1
	v_dual_mov_b32 v40, 0 :: v_dual_add_nc_u32 v5, 1, v33
	v_mov_b32_e32 v37, 0
	s_mov_b32 s3, 0
	s_mov_b32 s1, exec_lo
	s_delay_alu instid0(VALU_DEP_2)
	v_cmpx_gt_u32_e64 s4, v5
	s_cbranch_execz .LBB1896_45
; %bb.42:
	v_add_nc_u32_e32 v5, s17, v21
	v_add_nc_u32_e32 v6, s19, v21
	s_mov_b32 s5, exec_lo
	s_delay_alu instid0(VALU_DEP_2) | instskip(NEXT) | instid1(VALU_DEP_2)
	v_mul_lo_u32 v5, v5, s16
	v_mul_lo_u32 v6, v6, s18
	s_delay_alu instid0(VALU_DEP_1) | instskip(NEXT) | instid1(VALU_DEP_1)
	v_sub_nc_u32_e32 v5, v5, v6
	v_cmp_lt_u32_e32 vcc_lo, s20, v5
	v_cmpx_ge_u32_e64 s20, v5
; %bb.43:
	v_add_nc_u32_e32 v5, s22, v21
	v_add_nc_u32_e32 v6, s38, v21
	s_delay_alu instid0(VALU_DEP_2) | instskip(NEXT) | instid1(VALU_DEP_2)
	v_mul_lo_u32 v5, v5, s21
	v_mul_lo_u32 v6, v6, s23
	s_delay_alu instid0(VALU_DEP_1) | instskip(NEXT) | instid1(VALU_DEP_1)
	v_sub_nc_u32_e32 v5, v5, v6
	v_cmp_lt_u32_e64 s0, s39, v5
	s_delay_alu instid0(VALU_DEP_1)
	s_and_b32 s3, s0, exec_lo
; %bb.44:
	s_or_b32 exec_lo, exec_lo, s5
	v_cndmask_b32_e64 v37, 0, 1, vcc_lo
	v_cndmask_b32_e64 v40, 0, 1, s3
.LBB1896_45:
	s_or_b32 exec_lo, exec_lo, s1
	v_dual_mov_b32 v36, 0 :: v_dual_add_nc_u32 v5, 2, v33
	v_mov_b32_e32 v38, 0
	s_mov_b32 s3, 0
	s_mov_b32 s1, exec_lo
	s_delay_alu instid0(VALU_DEP_2)
	v_cmpx_gt_u32_e64 s4, v5
	s_cbranch_execz .LBB1896_49
; %bb.46:
	v_add_nc_u32_e32 v5, s17, v18
	v_add_nc_u32_e32 v6, s19, v18
	s_mov_b32 s5, exec_lo
	s_delay_alu instid0(VALU_DEP_2) | instskip(NEXT) | instid1(VALU_DEP_2)
	v_mul_lo_u32 v5, v5, s16
	v_mul_lo_u32 v6, v6, s18
	s_delay_alu instid0(VALU_DEP_1) | instskip(NEXT) | instid1(VALU_DEP_1)
	v_sub_nc_u32_e32 v5, v5, v6
	v_cmp_lt_u32_e32 vcc_lo, s20, v5
	v_cmpx_ge_u32_e64 s20, v5
; %bb.47:
	v_add_nc_u32_e32 v5, s22, v18
	v_add_nc_u32_e32 v6, s38, v18
	s_delay_alu instid0(VALU_DEP_2) | instskip(NEXT) | instid1(VALU_DEP_2)
	v_mul_lo_u32 v5, v5, s21
	v_mul_lo_u32 v6, v6, s23
	s_delay_alu instid0(VALU_DEP_1) | instskip(NEXT) | instid1(VALU_DEP_1)
	v_sub_nc_u32_e32 v5, v5, v6
	v_cmp_lt_u32_e64 s0, s39, v5
	s_delay_alu instid0(VALU_DEP_1)
	s_and_b32 s3, s0, exec_lo
; %bb.48:
	s_or_b32 exec_lo, exec_lo, s5
	v_cndmask_b32_e64 v36, 0, 1, vcc_lo
	v_cndmask_b32_e64 v38, 0, 1, s3
.LBB1896_49:
	s_or_b32 exec_lo, exec_lo, s1
	v_add_nc_u32_e32 v5, 3, v33
	v_mov_b32_e32 v39, 0
	v_mov_b32_e32 v41, 0
	s_mov_b32 s3, 0
	s_mov_b32 s1, exec_lo
	v_cmpx_gt_u32_e64 s4, v5
	s_cbranch_execz .LBB1896_53
; %bb.50:
	v_add_nc_u32_e32 v5, s17, v19
	v_add_nc_u32_e32 v6, s19, v19
	s_mov_b32 s5, exec_lo
	s_delay_alu instid0(VALU_DEP_2) | instskip(NEXT) | instid1(VALU_DEP_2)
	v_mul_lo_u32 v5, v5, s16
	v_mul_lo_u32 v6, v6, s18
	s_delay_alu instid0(VALU_DEP_1) | instskip(NEXT) | instid1(VALU_DEP_1)
	v_sub_nc_u32_e32 v5, v5, v6
	v_cmp_lt_u32_e32 vcc_lo, s20, v5
	v_cmpx_ge_u32_e64 s20, v5
; %bb.51:
	v_add_nc_u32_e32 v5, s22, v19
	v_add_nc_u32_e32 v6, s38, v19
	s_delay_alu instid0(VALU_DEP_2) | instskip(NEXT) | instid1(VALU_DEP_2)
	v_mul_lo_u32 v5, v5, s21
	v_mul_lo_u32 v6, v6, s23
	s_delay_alu instid0(VALU_DEP_1) | instskip(NEXT) | instid1(VALU_DEP_1)
	v_sub_nc_u32_e32 v5, v5, v6
	v_cmp_lt_u32_e64 s0, s39, v5
	s_delay_alu instid0(VALU_DEP_1)
	s_and_b32 s3, s0, exec_lo
; %bb.52:
	s_or_b32 exec_lo, exec_lo, s5
	v_cndmask_b32_e64 v41, 0, 1, vcc_lo
	v_cndmask_b32_e64 v39, 0, 1, s3
.LBB1896_53:
	s_or_b32 exec_lo, exec_lo, s1
	v_dual_mov_b32 v42, 0 :: v_dual_add_nc_u32 v5, 4, v33
	v_mov_b32_e32 v43, 0
	s_mov_b32 s3, 0
	s_mov_b32 s1, exec_lo
	s_delay_alu instid0(VALU_DEP_2)
	v_cmpx_gt_u32_e64 s4, v5
	s_cbranch_execz .LBB1896_57
; %bb.54:
	v_add_nc_u32_e32 v5, s17, v16
	v_add_nc_u32_e32 v6, s19, v16
	s_mov_b32 s5, exec_lo
	s_delay_alu instid0(VALU_DEP_2) | instskip(NEXT) | instid1(VALU_DEP_2)
	v_mul_lo_u32 v5, v5, s16
	v_mul_lo_u32 v6, v6, s18
	s_delay_alu instid0(VALU_DEP_1) | instskip(NEXT) | instid1(VALU_DEP_1)
	v_sub_nc_u32_e32 v5, v5, v6
	v_cmp_lt_u32_e32 vcc_lo, s20, v5
	v_cmpx_ge_u32_e64 s20, v5
; %bb.55:
	v_add_nc_u32_e32 v5, s22, v16
	v_add_nc_u32_e32 v6, s38, v16
	s_delay_alu instid0(VALU_DEP_2) | instskip(NEXT) | instid1(VALU_DEP_2)
	v_mul_lo_u32 v5, v5, s21
	v_mul_lo_u32 v6, v6, s23
	s_delay_alu instid0(VALU_DEP_1) | instskip(NEXT) | instid1(VALU_DEP_1)
	v_sub_nc_u32_e32 v5, v5, v6
	v_cmp_lt_u32_e64 s0, s39, v5
	s_delay_alu instid0(VALU_DEP_1)
	s_and_b32 s3, s0, exec_lo
; %bb.56:
	s_or_b32 exec_lo, exec_lo, s5
	v_cndmask_b32_e64 v43, 0, 1, vcc_lo
	v_cndmask_b32_e64 v42, 0, 1, s3
.LBB1896_57:
	s_or_b32 exec_lo, exec_lo, s1
	v_dual_mov_b32 v44, 0 :: v_dual_add_nc_u32 v5, 5, v33
	v_mov_b32_e32 v45, 0
	s_mov_b32 s3, 0
	s_mov_b32 s1, exec_lo
	s_delay_alu instid0(VALU_DEP_2)
	;; [unrolled: 35-line block ×6, first 2 shown]
	v_cmpx_gt_u32_e64 s4, v5
	s_cbranch_execz .LBB1896_77
; %bb.74:
	v_add_nc_u32_e32 v5, s17, v13
	v_add_nc_u32_e32 v6, s19, v13
	s_mov_b32 s5, exec_lo
	s_delay_alu instid0(VALU_DEP_2) | instskip(NEXT) | instid1(VALU_DEP_2)
	v_mul_lo_u32 v5, v5, s16
	v_mul_lo_u32 v6, v6, s18
	s_delay_alu instid0(VALU_DEP_1) | instskip(NEXT) | instid1(VALU_DEP_1)
	v_sub_nc_u32_e32 v5, v5, v6
	v_cmp_lt_u32_e32 vcc_lo, s20, v5
	v_cmpx_ge_u32_e64 s20, v5
; %bb.75:
	v_add_nc_u32_e32 v5, s22, v13
	v_add_nc_u32_e32 v6, s38, v13
	s_delay_alu instid0(VALU_DEP_2) | instskip(NEXT) | instid1(VALU_DEP_2)
	v_mul_lo_u32 v5, v5, s21
	v_mul_lo_u32 v6, v6, s23
	s_delay_alu instid0(VALU_DEP_1) | instskip(NEXT) | instid1(VALU_DEP_1)
	v_sub_nc_u32_e32 v5, v5, v6
	v_cmp_lt_u32_e64 s0, s39, v5
	s_delay_alu instid0(VALU_DEP_1)
	s_and_b32 s3, s0, exec_lo
; %bb.76:
	s_or_b32 exec_lo, exec_lo, s5
	v_cndmask_b32_e64 v54, 0, 1, vcc_lo
	v_cndmask_b32_e64 v52, 0, 1, s3
.LBB1896_77:
	s_or_b32 exec_lo, exec_lo, s1
	v_add_nc_u32_e32 v5, 10, v33
	v_mov_b32_e32 v53, 0
	v_mov_b32_e32 v55, 0
	s_mov_b32 s3, 0
	s_mov_b32 s1, exec_lo
	v_cmpx_gt_u32_e64 s4, v5
	s_cbranch_execz .LBB1896_81
; %bb.78:
	v_add_nc_u32_e32 v5, s17, v10
	v_add_nc_u32_e32 v6, s19, v10
	s_mov_b32 s5, exec_lo
	s_delay_alu instid0(VALU_DEP_2) | instskip(NEXT) | instid1(VALU_DEP_2)
	v_mul_lo_u32 v5, v5, s16
	v_mul_lo_u32 v6, v6, s18
	s_delay_alu instid0(VALU_DEP_1) | instskip(NEXT) | instid1(VALU_DEP_1)
	v_sub_nc_u32_e32 v5, v5, v6
	v_cmp_lt_u32_e32 vcc_lo, s20, v5
	v_cmpx_ge_u32_e64 s20, v5
; %bb.79:
	v_add_nc_u32_e32 v5, s22, v10
	v_add_nc_u32_e32 v6, s38, v10
	s_delay_alu instid0(VALU_DEP_2) | instskip(NEXT) | instid1(VALU_DEP_2)
	v_mul_lo_u32 v5, v5, s21
	v_mul_lo_u32 v6, v6, s23
	s_delay_alu instid0(VALU_DEP_1) | instskip(NEXT) | instid1(VALU_DEP_1)
	v_sub_nc_u32_e32 v5, v5, v6
	v_cmp_lt_u32_e64 s0, s39, v5
	s_delay_alu instid0(VALU_DEP_1)
	s_and_b32 s3, s0, exec_lo
; %bb.80:
	s_or_b32 exec_lo, exec_lo, s5
	v_cndmask_b32_e64 v55, 0, 1, vcc_lo
	v_cndmask_b32_e64 v53, 0, 1, s3
.LBB1896_81:
	s_or_b32 exec_lo, exec_lo, s1
	v_dual_mov_b32 v56, 0 :: v_dual_add_nc_u32 v5, 11, v33
	v_mov_b32_e32 v57, 0
	s_mov_b32 s3, 0
	s_mov_b32 s1, exec_lo
	s_delay_alu instid0(VALU_DEP_2)
	v_cmpx_gt_u32_e64 s4, v5
	s_cbranch_execz .LBB1896_85
; %bb.82:
	v_add_nc_u32_e32 v5, s17, v11
	v_add_nc_u32_e32 v6, s19, v11
	s_mov_b32 s5, exec_lo
	s_delay_alu instid0(VALU_DEP_2) | instskip(NEXT) | instid1(VALU_DEP_2)
	v_mul_lo_u32 v5, v5, s16
	v_mul_lo_u32 v6, v6, s18
	s_delay_alu instid0(VALU_DEP_1) | instskip(NEXT) | instid1(VALU_DEP_1)
	v_sub_nc_u32_e32 v5, v5, v6
	v_cmp_lt_u32_e32 vcc_lo, s20, v5
	v_cmpx_ge_u32_e64 s20, v5
; %bb.83:
	v_add_nc_u32_e32 v5, s22, v11
	v_add_nc_u32_e32 v6, s38, v11
	s_delay_alu instid0(VALU_DEP_2) | instskip(NEXT) | instid1(VALU_DEP_2)
	v_mul_lo_u32 v5, v5, s21
	v_mul_lo_u32 v6, v6, s23
	s_delay_alu instid0(VALU_DEP_1) | instskip(NEXT) | instid1(VALU_DEP_1)
	v_sub_nc_u32_e32 v5, v5, v6
	v_cmp_lt_u32_e64 s0, s39, v5
	s_delay_alu instid0(VALU_DEP_1)
	s_and_b32 s3, s0, exec_lo
; %bb.84:
	s_or_b32 exec_lo, exec_lo, s5
	v_cndmask_b32_e64 v56, 0, 1, vcc_lo
	v_cndmask_b32_e64 v57, 0, 1, s3
.LBB1896_85:
	s_or_b32 exec_lo, exec_lo, s1
	v_add_nc_u32_e32 v5, 12, v33
	s_mov_b32 s27, 0
	s_mov_b32 s33, 0
	s_mov_b32 s0, exec_lo
	s_delay_alu instid0(VALU_DEP_1)
	v_cmpx_gt_u32_e64 s4, v5
	s_cbranch_execz .LBB1896_89
; %bb.86:
	v_add_nc_u32_e32 v5, s17, v32
	v_add_nc_u32_e32 v6, s19, v32
	s_mov_b32 s3, -1
	s_mov_b32 s5, 0
	s_mov_b32 s1, exec_lo
	v_mul_lo_u32 v5, v5, s16
	v_mul_lo_u32 v6, v6, s18
	s_delay_alu instid0(VALU_DEP_1) | instskip(NEXT) | instid1(VALU_DEP_1)
	v_sub_nc_u32_e32 v5, v5, v6
	v_cmpx_ge_u32_e64 s20, v5
; %bb.87:
	v_add_nc_u32_e32 v5, s22, v32
	v_add_nc_u32_e32 v6, s38, v32
	s_xor_b32 s3, exec_lo, -1
	s_delay_alu instid0(VALU_DEP_2) | instskip(NEXT) | instid1(VALU_DEP_2)
	v_mul_lo_u32 v5, v5, s21
	v_mul_lo_u32 v6, v6, s23
	s_delay_alu instid0(VALU_DEP_1) | instskip(NEXT) | instid1(VALU_DEP_1)
	v_sub_nc_u32_e32 v5, v5, v6
	v_cmp_lt_u32_e32 vcc_lo, s39, v5
	s_and_b32 s5, vcc_lo, exec_lo
; %bb.88:
	s_or_b32 exec_lo, exec_lo, s1
	s_delay_alu instid0(SALU_CYCLE_1)
	s_and_b32 s33, s5, exec_lo
	s_and_b32 s27, s3, exec_lo
.LBB1896_89:
	s_or_b32 exec_lo, exec_lo, s0
.LBB1896_90:
	v_and_b32_e32 v80, 0xff, v34
	v_and_b32_e32 v81, 0xff, v35
	;; [unrolled: 1-line block ×10, first 2 shown]
	v_add3_u32 v5, v76, v78, v80
	v_add3_u32 v6, v77, v79, v81
	v_and_b32_e32 v70, 0xff, v45
	v_and_b32_e32 v71, 0xff, v44
	v_and_b32_e32 v64, 0xff, v47
	v_and_b32_e32 v65, 0xff, v46
	v_add3_u32 v5, v5, v74, v72
	v_add3_u32 v6, v6, v75, v73
	v_and_b32_e32 v68, 0xff, v49
	v_and_b32_e32 v69, 0xff, v48
	v_and_b32_e32 v66, 0xff, v51
	v_and_b32_e32 v67, 0xff, v50
	;; [unrolled: 6-line block ×3, first 2 shown]
	v_add3_u32 v5, v5, v68, v66
	v_add3_u32 v6, v6, v69, v67
	v_mbcnt_lo_u32_b32 v82, -1, 0
	v_and_b32_e32 v58, 0xff, v56
	v_and_b32_e32 v59, 0xff, v57
	v_cndmask_b32_e64 v7, 0, 1, s33
	v_add3_u32 v5, v5, v61, v60
	v_cndmask_b32_e64 v8, 0, 1, s27
	v_add3_u32 v6, v6, v62, v63
	v_and_b32_e32 v86, 15, v82
	v_and_b32_e32 v85, 16, v82
	v_lshrrev_b32_e32 v83, 5, v0
	v_add3_u32 v87, v5, v58, v8
	v_add3_u32 v88, v6, v59, v7
	v_cmp_eq_u32_e64 s1, 0, v86
	v_cmp_lt_u32_e64 s0, 1, v86
	v_cmp_lt_u32_e64 s3, 3, v86
	v_cmp_lt_u32_e32 vcc_lo, 7, v86
	v_or_b32_e32 v84, 31, v0
	s_cmp_lg_u32 s26, 0
	s_mov_b32 s5, -1
	s_cbranch_scc0 .LBB1896_123
; %bb.91:
	v_mov_b32_dpp v5, v88 row_shr:1 row_mask:0xf bank_mask:0xf
	v_mov_b32_dpp v6, v87 row_shr:1 row_mask:0xf bank_mask:0xf
	s_delay_alu instid0(VALU_DEP_2) | instskip(NEXT) | instid1(VALU_DEP_2)
	v_add_nc_u32_e32 v5, v5, v88
	v_add_nc_u32_e32 v6, v6, v87
	s_delay_alu instid0(VALU_DEP_2) | instskip(NEXT) | instid1(VALU_DEP_2)
	v_cndmask_b32_e64 v5, v5, v88, s1
	v_cndmask_b32_e64 v6, v6, v87, s1
	s_delay_alu instid0(VALU_DEP_2) | instskip(NEXT) | instid1(VALU_DEP_2)
	v_mov_b32_dpp v7, v5 row_shr:2 row_mask:0xf bank_mask:0xf
	v_mov_b32_dpp v8, v6 row_shr:2 row_mask:0xf bank_mask:0xf
	s_delay_alu instid0(VALU_DEP_2) | instskip(NEXT) | instid1(VALU_DEP_1)
	v_add_nc_u32_e32 v7, v5, v7
	v_cndmask_b32_e64 v5, v5, v7, s0
	s_delay_alu instid0(VALU_DEP_1) | instskip(NEXT) | instid1(VALU_DEP_1)
	v_mov_b32_dpp v7, v5 row_shr:4 row_mask:0xf bank_mask:0xf
	v_add_nc_u32_e32 v7, v5, v7
	s_delay_alu instid0(VALU_DEP_1) | instskip(NEXT) | instid1(VALU_DEP_1)
	v_cndmask_b32_e64 v5, v5, v7, s3
	v_mov_b32_dpp v7, v5 row_shr:8 row_mask:0xf bank_mask:0xf
	s_delay_alu instid0(VALU_DEP_1) | instskip(NEXT) | instid1(VALU_DEP_1)
	v_add_nc_u32_e32 v7, v5, v7
	v_dual_cndmask_b32 v5, v5, v7 :: v_dual_add_nc_u32 v8, v6, v8
	s_delay_alu instid0(VALU_DEP_1) | instskip(NEXT) | instid1(VALU_DEP_1)
	v_cndmask_b32_e64 v6, v6, v8, s0
	v_mov_b32_dpp v8, v6 row_shr:4 row_mask:0xf bank_mask:0xf
	s_delay_alu instid0(VALU_DEP_1) | instskip(NEXT) | instid1(VALU_DEP_1)
	v_add_nc_u32_e32 v8, v6, v8
	v_cndmask_b32_e64 v6, v6, v8, s3
	s_mov_b32 s3, exec_lo
	s_delay_alu instid0(VALU_DEP_1) | instskip(NEXT) | instid1(VALU_DEP_1)
	v_mov_b32_dpp v8, v6 row_shr:8 row_mask:0xf bank_mask:0xf
	v_add_nc_u32_e32 v8, v6, v8
	s_delay_alu instid0(VALU_DEP_1)
	v_cndmask_b32_e32 v7, v6, v8, vcc_lo
	ds_swizzle_b32 v6, v5 offset:swizzle(BROADCAST,32,15)
	v_cmp_eq_u32_e32 vcc_lo, 0, v85
	s_waitcnt lgkmcnt(0)
	v_add_nc_u32_e32 v6, v5, v6
	ds_swizzle_b32 v8, v7 offset:swizzle(BROADCAST,32,15)
	v_cndmask_b32_e32 v6, v6, v5, vcc_lo
	s_waitcnt lgkmcnt(0)
	v_add_nc_u32_e32 v8, v7, v8
	s_delay_alu instid0(VALU_DEP_1)
	v_cndmask_b32_e32 v5, v8, v7, vcc_lo
	v_cmpx_eq_u32_e64 v84, v0
	s_cbranch_execz .LBB1896_93
; %bb.92:
	v_lshlrev_b32_e32 v7, 3, v83
	ds_store_b64 v7, v[5:6]
.LBB1896_93:
	s_or_b32 exec_lo, exec_lo, s3
	s_delay_alu instid0(SALU_CYCLE_1)
	s_mov_b32 s3, exec_lo
	s_waitcnt lgkmcnt(0)
	s_barrier
	buffer_gl0_inv
	v_cmpx_gt_u32_e32 8, v0
	s_cbranch_execz .LBB1896_95
; %bb.94:
	v_lshlrev_b32_e32 v9, 3, v0
	ds_load_b64 v[7:8], v9
	s_waitcnt lgkmcnt(0)
	v_mov_b32_dpp v22, v7 row_shr:1 row_mask:0xf bank_mask:0xf
	v_mov_b32_dpp v23, v8 row_shr:1 row_mask:0xf bank_mask:0xf
	s_delay_alu instid0(VALU_DEP_2) | instskip(SKIP_1) | instid1(VALU_DEP_3)
	v_add_nc_u32_e32 v22, v22, v7
	v_and_b32_e32 v24, 7, v82
	v_add_nc_u32_e32 v23, v23, v8
	s_delay_alu instid0(VALU_DEP_2) | instskip(NEXT) | instid1(VALU_DEP_2)
	v_cmp_eq_u32_e32 vcc_lo, 0, v24
	v_dual_cndmask_b32 v8, v23, v8 :: v_dual_cndmask_b32 v7, v22, v7
	v_cmp_lt_u32_e32 vcc_lo, 1, v24
	s_delay_alu instid0(VALU_DEP_2) | instskip(NEXT) | instid1(VALU_DEP_3)
	v_mov_b32_dpp v23, v8 row_shr:2 row_mask:0xf bank_mask:0xf
	v_mov_b32_dpp v22, v7 row_shr:2 row_mask:0xf bank_mask:0xf
	s_delay_alu instid0(VALU_DEP_2) | instskip(NEXT) | instid1(VALU_DEP_2)
	v_add_nc_u32_e32 v23, v8, v23
	v_add_nc_u32_e32 v22, v7, v22
	s_delay_alu instid0(VALU_DEP_1) | instskip(SKIP_1) | instid1(VALU_DEP_2)
	v_dual_cndmask_b32 v8, v8, v23 :: v_dual_cndmask_b32 v7, v7, v22
	v_cmp_lt_u32_e32 vcc_lo, 3, v24
	v_mov_b32_dpp v23, v8 row_shr:4 row_mask:0xf bank_mask:0xf
	s_delay_alu instid0(VALU_DEP_3) | instskip(NEXT) | instid1(VALU_DEP_1)
	v_mov_b32_dpp v22, v7 row_shr:4 row_mask:0xf bank_mask:0xf
	v_dual_cndmask_b32 v23, 0, v23 :: v_dual_cndmask_b32 v22, 0, v22
	s_delay_alu instid0(VALU_DEP_1) | instskip(NEXT) | instid1(VALU_DEP_2)
	v_add_nc_u32_e32 v8, v23, v8
	v_add_nc_u32_e32 v7, v22, v7
	ds_store_b64 v9, v[7:8]
.LBB1896_95:
	s_or_b32 exec_lo, exec_lo, s3
	v_cmp_gt_u32_e32 vcc_lo, 32, v0
	v_cmp_lt_u32_e64 s3, 31, v0
	s_waitcnt lgkmcnt(0)
	s_barrier
	buffer_gl0_inv
                                        ; implicit-def: $vgpr23
	s_and_saveexec_b32 s5, s3
	s_delay_alu instid0(SALU_CYCLE_1)
	s_xor_b32 s3, exec_lo, s5
	s_cbranch_execz .LBB1896_97
; %bb.96:
	v_lshl_add_u32 v7, v83, 3, -8
	ds_load_b64 v[22:23], v7
	s_waitcnt lgkmcnt(0)
	v_add_nc_u32_e32 v6, v23, v6
	v_add_nc_u32_e32 v5, v22, v5
.LBB1896_97:
	s_and_not1_saveexec_b32 s3, s3
; %bb.98:
                                        ; implicit-def: $vgpr22
; %bb.99:
	s_delay_alu instid0(SALU_CYCLE_1) | instskip(SKIP_1) | instid1(VALU_DEP_1)
	s_or_b32 exec_lo, exec_lo, s3
	v_add_nc_u32_e32 v7, -1, v82
	v_cmp_gt_i32_e64 s3, 0, v7
	s_delay_alu instid0(VALU_DEP_1) | instskip(SKIP_1) | instid1(VALU_DEP_2)
	v_cndmask_b32_e64 v7, v7, v82, s3
	v_cmp_eq_u32_e64 s3, 0, v82
	v_lshlrev_b32_e32 v7, 2, v7
	ds_bpermute_b32 v89, v7, v5
	ds_bpermute_b32 v90, v7, v6
	s_and_saveexec_b32 s5, vcc_lo
	s_cbranch_execz .LBB1896_122
; %bb.100:
	v_mov_b32_e32 v8, 0
	ds_load_b64 v[5:6], v8 offset:56
	s_waitcnt lgkmcnt(0)
	v_readfirstlane_b32 s6, v6
	s_and_saveexec_b32 s7, s3
	s_cbranch_execz .LBB1896_102
; %bb.101:
	s_add_i32 s8, s26, 32
	s_mov_b32 s9, 0
	v_mov_b32_e32 v7, 1
	s_lshl_b64 s[10:11], s[8:9], 4
	s_mov_b32 s16, s9
	s_add_u32 s10, s36, s10
	s_addc_u32 s11, s37, s11
	s_and_b32 s17, s6, 0xff000000
	s_and_b32 s19, s6, 0xff0000
	s_mov_b32 s18, s9
	v_dual_mov_b32 v25, s11 :: v_dual_mov_b32 v24, s10
	s_or_b64 s[16:17], s[18:19], s[16:17]
	s_and_b32 s19, s6, 0xff00
	s_delay_alu instid0(SALU_CYCLE_1) | instskip(SKIP_1) | instid1(SALU_CYCLE_1)
	s_or_b64 s[16:17], s[16:17], s[18:19]
	s_and_b32 s19, s6, 0xff
	s_or_b64 s[8:9], s[16:17], s[18:19]
	s_delay_alu instid0(SALU_CYCLE_1)
	v_mov_b32_e32 v6, s9
	;;#ASMSTART
	global_store_dwordx4 v[24:25], v[5:8] off	
s_waitcnt vmcnt(0)
	;;#ASMEND
.LBB1896_102:
	s_or_b32 exec_lo, exec_lo, s7
	v_xad_u32 v24, v82, -1, s26
	s_mov_b32 s8, 0
	s_mov_b32 s7, exec_lo
	s_delay_alu instid0(VALU_DEP_1) | instskip(NEXT) | instid1(VALU_DEP_1)
	v_add_nc_u32_e32 v7, 32, v24
	v_lshlrev_b64 v[6:7], 4, v[7:8]
	s_delay_alu instid0(VALU_DEP_1) | instskip(NEXT) | instid1(VALU_DEP_2)
	v_add_co_u32 v25, vcc_lo, s36, v6
	v_add_co_ci_u32_e32 v26, vcc_lo, s37, v7, vcc_lo
	;;#ASMSTART
	global_load_dwordx4 v[6:9], v[25:26] off glc	
s_waitcnt vmcnt(0)
	;;#ASMEND
	v_and_b32_e32 v9, 0xff, v7
	v_and_b32_e32 v27, 0xff00, v7
	v_or3_b32 v6, v6, 0, 0
	v_and_b32_e32 v28, 0xff000000, v7
	v_and_b32_e32 v7, 0xff0000, v7
	s_delay_alu instid0(VALU_DEP_4) | instskip(SKIP_2) | instid1(VALU_DEP_3)
	v_or3_b32 v9, 0, v9, v27
	v_and_b32_e32 v27, 0xff, v8
	v_or3_b32 v6, v6, 0, 0
	v_or3_b32 v7, v9, v7, v28
	s_delay_alu instid0(VALU_DEP_3)
	v_cmpx_eq_u16_e32 0, v27
	s_cbranch_execz .LBB1896_108
; %bb.103:
	s_mov_b32 s9, 1
	.p2align	6
.LBB1896_104:                           ; =>This Loop Header: Depth=1
                                        ;     Child Loop BB1896_105 Depth 2
	s_delay_alu instid0(SALU_CYCLE_1)
	s_max_u32 s10, s9, 1
.LBB1896_105:                           ;   Parent Loop BB1896_104 Depth=1
                                        ; =>  This Inner Loop Header: Depth=2
	s_delay_alu instid0(SALU_CYCLE_1)
	s_add_i32 s10, s10, -1
	s_sleep 1
	s_cmp_eq_u32 s10, 0
	s_cbranch_scc0 .LBB1896_105
; %bb.106:                              ;   in Loop: Header=BB1896_104 Depth=1
	;;#ASMSTART
	global_load_dwordx4 v[6:9], v[25:26] off glc	
s_waitcnt vmcnt(0)
	;;#ASMEND
	v_and_b32_e32 v9, 0xff, v8
	s_cmp_lt_u32 s9, 32
	s_cselect_b32 s10, -1, 0
	s_delay_alu instid0(SALU_CYCLE_1) | instskip(NEXT) | instid1(VALU_DEP_1)
	s_cmp_lg_u32 s10, 0
	v_cmp_ne_u16_e32 vcc_lo, 0, v9
	s_addc_u32 s9, s9, 0
	s_or_b32 s8, vcc_lo, s8
	s_delay_alu instid0(SALU_CYCLE_1)
	s_and_not1_b32 exec_lo, exec_lo, s8
	s_cbranch_execnz .LBB1896_104
; %bb.107:
	s_or_b32 exec_lo, exec_lo, s8
.LBB1896_108:
	s_delay_alu instid0(SALU_CYCLE_1) | instskip(SKIP_3) | instid1(VALU_DEP_1)
	s_or_b32 exec_lo, exec_lo, s7
	v_cmp_ne_u32_e32 vcc_lo, 31, v82
	v_lshlrev_b32_e64 v92, v82, -1
	v_add_co_ci_u32_e32 v9, vcc_lo, 0, v82, vcc_lo
	v_lshlrev_b32_e32 v91, 2, v9
	ds_bpermute_b32 v25, v91, v7
	ds_bpermute_b32 v9, v91, v6
	s_waitcnt lgkmcnt(1)
	v_add_nc_u32_e32 v25, v25, v7
	v_and_b32_e32 v26, 0xff, v8
	s_waitcnt lgkmcnt(0)
	v_add_nc_u32_e32 v9, v9, v6
	s_delay_alu instid0(VALU_DEP_2) | instskip(SKIP_2) | instid1(VALU_DEP_2)
	v_cmp_eq_u16_e32 vcc_lo, 2, v26
	v_and_or_b32 v26, vcc_lo, v92, 0x80000000
	v_cmp_gt_u32_e32 vcc_lo, 30, v82
	v_ctz_i32_b32_e32 v26, v26
	v_cndmask_b32_e64 v27, 0, 1, vcc_lo
	s_delay_alu instid0(VALU_DEP_2) | instskip(NEXT) | instid1(VALU_DEP_2)
	v_cmp_lt_u32_e32 vcc_lo, v82, v26
	v_dual_cndmask_b32 v6, v6, v9 :: v_dual_lshlrev_b32 v27, 1, v27
	s_delay_alu instid0(VALU_DEP_1)
	v_add_lshl_u32 v93, v27, v82, 2
	v_cndmask_b32_e32 v7, v7, v25, vcc_lo
	v_cmp_gt_u32_e32 vcc_lo, 28, v82
	ds_bpermute_b32 v9, v93, v6
	ds_bpermute_b32 v25, v93, v7
	v_cndmask_b32_e64 v27, 0, 1, vcc_lo
	s_waitcnt lgkmcnt(1)
	v_add_nc_u32_e32 v9, v6, v9
	s_waitcnt lgkmcnt(0)
	v_add_nc_u32_e32 v25, v7, v25
	v_add_nc_u32_e32 v94, 2, v82
	s_delay_alu instid0(VALU_DEP_1) | instskip(NEXT) | instid1(VALU_DEP_3)
	v_cmp_gt_u32_e32 vcc_lo, v94, v26
	v_cndmask_b32_e32 v7, v25, v7, vcc_lo
	v_dual_cndmask_b32 v6, v9, v6 :: v_dual_lshlrev_b32 v27, 2, v27
	v_cmp_gt_u32_e32 vcc_lo, 24, v82
	s_delay_alu instid0(VALU_DEP_2) | instskip(SKIP_4) | instid1(VALU_DEP_1)
	v_add_lshl_u32 v95, v27, v82, 2
	v_cndmask_b32_e64 v27, 0, 1, vcc_lo
	ds_bpermute_b32 v25, v95, v7
	ds_bpermute_b32 v9, v95, v6
	v_lshlrev_b32_e32 v27, 3, v27
	v_add_lshl_u32 v97, v27, v82, 2
	s_waitcnt lgkmcnt(1)
	v_add_nc_u32_e32 v25, v7, v25
	v_add_nc_u32_e32 v96, 4, v82
	s_waitcnt lgkmcnt(0)
	v_add_nc_u32_e32 v9, v6, v9
	s_delay_alu instid0(VALU_DEP_2) | instskip(SKIP_1) | instid1(VALU_DEP_3)
	v_cmp_gt_u32_e32 vcc_lo, v96, v26
	v_cndmask_b32_e32 v7, v25, v7, vcc_lo
	v_cndmask_b32_e32 v6, v9, v6, vcc_lo
	v_cmp_gt_u32_e32 vcc_lo, 16, v82
	ds_bpermute_b32 v25, v97, v7
	ds_bpermute_b32 v9, v97, v6
	v_cndmask_b32_e64 v27, 0, 1, vcc_lo
	s_delay_alu instid0(VALU_DEP_1) | instskip(NEXT) | instid1(VALU_DEP_1)
	v_lshlrev_b32_e32 v27, 4, v27
	v_add_lshl_u32 v99, v27, v82, 2
	s_waitcnt lgkmcnt(1)
	v_add_nc_u32_e32 v25, v7, v25
	v_add_nc_u32_e32 v98, 8, v82
	s_waitcnt lgkmcnt(0)
	v_add_nc_u32_e32 v9, v6, v9
	s_delay_alu instid0(VALU_DEP_2) | instskip(SKIP_1) | instid1(VALU_DEP_3)
	v_cmp_gt_u32_e32 vcc_lo, v98, v26
	v_cndmask_b32_e32 v7, v25, v7, vcc_lo
	v_cndmask_b32_e32 v6, v9, v6, vcc_lo
	ds_bpermute_b32 v25, v99, v7
	ds_bpermute_b32 v9, v99, v6
	v_add_nc_u32_e32 v100, 16, v82
	s_delay_alu instid0(VALU_DEP_1) | instskip(SKIP_2) | instid1(VALU_DEP_1)
	v_cmp_le_u32_e32 vcc_lo, v100, v26
	s_waitcnt lgkmcnt(0)
	v_cndmask_b32_e32 v9, 0, v9, vcc_lo
	v_dual_cndmask_b32 v25, 0, v25 :: v_dual_add_nc_u32 v6, v9, v6
	s_delay_alu instid0(VALU_DEP_1)
	v_add_nc_u32_e32 v7, v25, v7
	v_mov_b32_e32 v25, 0
	s_branch .LBB1896_110
.LBB1896_109:                           ;   in Loop: Header=BB1896_110 Depth=1
	s_or_b32 exec_lo, exec_lo, s7
	ds_bpermute_b32 v9, v91, v6
	ds_bpermute_b32 v28, v91, v7
	v_subrev_nc_u32_e32 v24, 32, v24
	s_waitcnt lgkmcnt(1)
	v_add_nc_u32_e32 v9, v9, v6
	v_and_b32_e32 v29, 0xff, v8
	s_waitcnt lgkmcnt(0)
	v_add_nc_u32_e32 v28, v28, v7
	s_delay_alu instid0(VALU_DEP_2) | instskip(SKIP_1) | instid1(VALU_DEP_1)
	v_cmp_eq_u16_e32 vcc_lo, 2, v29
	v_and_or_b32 v29, vcc_lo, v92, 0x80000000
	v_ctz_i32_b32_e32 v29, v29
	s_delay_alu instid0(VALU_DEP_1)
	v_cmp_lt_u32_e32 vcc_lo, v82, v29
	v_cndmask_b32_e32 v6, v6, v9, vcc_lo
	ds_bpermute_b32 v9, v93, v6
	s_waitcnt lgkmcnt(0)
	v_add_nc_u32_e32 v9, v6, v9
	v_cndmask_b32_e32 v7, v7, v28, vcc_lo
	v_cmp_gt_u32_e32 vcc_lo, v94, v29
	s_delay_alu instid0(VALU_DEP_3)
	v_cndmask_b32_e32 v6, v9, v6, vcc_lo
	ds_bpermute_b32 v28, v93, v7
	ds_bpermute_b32 v9, v95, v6
	s_waitcnt lgkmcnt(1)
	v_add_nc_u32_e32 v28, v7, v28
	s_waitcnt lgkmcnt(0)
	v_add_nc_u32_e32 v9, v6, v9
	s_delay_alu instid0(VALU_DEP_2) | instskip(SKIP_1) | instid1(VALU_DEP_3)
	v_cndmask_b32_e32 v7, v28, v7, vcc_lo
	v_cmp_gt_u32_e32 vcc_lo, v96, v29
	v_cndmask_b32_e32 v6, v9, v6, vcc_lo
	ds_bpermute_b32 v28, v95, v7
	ds_bpermute_b32 v9, v97, v6
	s_waitcnt lgkmcnt(1)
	v_add_nc_u32_e32 v28, v7, v28
	s_waitcnt lgkmcnt(0)
	v_add_nc_u32_e32 v9, v6, v9
	s_delay_alu instid0(VALU_DEP_2) | instskip(SKIP_1) | instid1(VALU_DEP_3)
	v_cndmask_b32_e32 v7, v28, v7, vcc_lo
	v_cmp_gt_u32_e32 vcc_lo, v98, v29
	v_cndmask_b32_e32 v6, v9, v6, vcc_lo
	ds_bpermute_b32 v28, v97, v7
	ds_bpermute_b32 v9, v99, v6
	s_waitcnt lgkmcnt(1)
	v_add_nc_u32_e32 v28, v7, v28
	s_delay_alu instid0(VALU_DEP_1) | instskip(SKIP_4) | instid1(VALU_DEP_1)
	v_cndmask_b32_e32 v7, v28, v7, vcc_lo
	v_cmp_le_u32_e32 vcc_lo, v100, v29
	ds_bpermute_b32 v28, v99, v7
	s_waitcnt lgkmcnt(1)
	v_cndmask_b32_e32 v9, 0, v9, vcc_lo
	v_add3_u32 v6, v6, v26, v9
	s_waitcnt lgkmcnt(0)
	v_cndmask_b32_e32 v28, 0, v28, vcc_lo
	s_delay_alu instid0(VALU_DEP_1)
	v_add3_u32 v7, v7, v27, v28
.LBB1896_110:                           ; =>This Loop Header: Depth=1
                                        ;     Child Loop BB1896_113 Depth 2
                                        ;       Child Loop BB1896_114 Depth 3
	s_delay_alu instid0(VALU_DEP_1) | instskip(SKIP_1) | instid1(VALU_DEP_2)
	v_dual_mov_b32 v27, v7 :: v_dual_and_b32 v8, 0xff, v8
	v_mov_b32_e32 v26, v6
	v_cmp_ne_u16_e32 vcc_lo, 2, v8
	v_cndmask_b32_e64 v8, 0, 1, vcc_lo
	;;#ASMSTART
	;;#ASMEND
	s_delay_alu instid0(VALU_DEP_1)
	v_cmp_ne_u32_e32 vcc_lo, 0, v8
	s_cmp_lg_u32 vcc_lo, exec_lo
	s_cbranch_scc1 .LBB1896_117
; %bb.111:                              ;   in Loop: Header=BB1896_110 Depth=1
	v_lshlrev_b64 v[6:7], 4, v[24:25]
	s_mov_b32 s7, exec_lo
	s_delay_alu instid0(VALU_DEP_1) | instskip(NEXT) | instid1(VALU_DEP_2)
	v_add_co_u32 v28, vcc_lo, s36, v6
	v_add_co_ci_u32_e32 v29, vcc_lo, s37, v7, vcc_lo
	;;#ASMSTART
	global_load_dwordx4 v[6:9], v[28:29] off glc	
s_waitcnt vmcnt(0)
	;;#ASMEND
	v_and_b32_e32 v9, 0xff, v7
	v_and_b32_e32 v101, 0xff00, v7
	v_or3_b32 v6, v6, 0, 0
	v_and_b32_e32 v102, 0xff000000, v7
	v_and_b32_e32 v7, 0xff0000, v7
	s_delay_alu instid0(VALU_DEP_4) | instskip(SKIP_2) | instid1(VALU_DEP_3)
	v_or3_b32 v9, 0, v9, v101
	v_and_b32_e32 v101, 0xff, v8
	v_or3_b32 v6, v6, 0, 0
	v_or3_b32 v7, v9, v7, v102
	s_delay_alu instid0(VALU_DEP_3)
	v_cmpx_eq_u16_e32 0, v101
	s_cbranch_execz .LBB1896_109
; %bb.112:                              ;   in Loop: Header=BB1896_110 Depth=1
	s_mov_b32 s9, 1
	s_mov_b32 s8, 0
	.p2align	6
.LBB1896_113:                           ;   Parent Loop BB1896_110 Depth=1
                                        ; =>  This Loop Header: Depth=2
                                        ;       Child Loop BB1896_114 Depth 3
	s_max_u32 s10, s9, 1
.LBB1896_114:                           ;   Parent Loop BB1896_110 Depth=1
                                        ;     Parent Loop BB1896_113 Depth=2
                                        ; =>    This Inner Loop Header: Depth=3
	s_delay_alu instid0(SALU_CYCLE_1)
	s_add_i32 s10, s10, -1
	s_sleep 1
	s_cmp_eq_u32 s10, 0
	s_cbranch_scc0 .LBB1896_114
; %bb.115:                              ;   in Loop: Header=BB1896_113 Depth=2
	;;#ASMSTART
	global_load_dwordx4 v[6:9], v[28:29] off glc	
s_waitcnt vmcnt(0)
	;;#ASMEND
	v_and_b32_e32 v9, 0xff, v8
	s_cmp_lt_u32 s9, 32
	s_cselect_b32 s10, -1, 0
	s_delay_alu instid0(SALU_CYCLE_1) | instskip(NEXT) | instid1(VALU_DEP_1)
	s_cmp_lg_u32 s10, 0
	v_cmp_ne_u16_e32 vcc_lo, 0, v9
	s_addc_u32 s9, s9, 0
	s_or_b32 s8, vcc_lo, s8
	s_delay_alu instid0(SALU_CYCLE_1)
	s_and_not1_b32 exec_lo, exec_lo, s8
	s_cbranch_execnz .LBB1896_113
; %bb.116:                              ;   in Loop: Header=BB1896_110 Depth=1
	s_or_b32 exec_lo, exec_lo, s8
	s_branch .LBB1896_109
.LBB1896_117:                           ;   in Loop: Header=BB1896_110 Depth=1
                                        ; implicit-def: $vgpr8
                                        ; implicit-def: $vgpr6_vgpr7
	s_cbranch_execz .LBB1896_110
; %bb.118:
	s_and_saveexec_b32 s7, s3
	s_cbranch_execnz .LBB1896_361
; %bb.119:
	s_or_b32 exec_lo, exec_lo, s7
	s_and_saveexec_b32 s7, s3
	s_cbranch_execnz .LBB1896_362
.LBB1896_120:
	s_or_b32 exec_lo, exec_lo, s7
	s_delay_alu instid0(SALU_CYCLE_1)
	s_and_b32 exec_lo, exec_lo, s2
	s_cbranch_execz .LBB1896_122
.LBB1896_121:
	v_mov_b32_e32 v5, 0
	ds_store_b64 v5, v[26:27] offset:56
.LBB1896_122:
	s_or_b32 exec_lo, exec_lo, s5
	s_waitcnt lgkmcnt(1)
	v_cndmask_b32_e64 v22, v89, v22, s3
	v_mov_b32_e32 v5, 0
	s_waitcnt lgkmcnt(0)
	s_barrier
	buffer_gl0_inv
	v_add_nc_u32_e64 v7, 0x3400, 0
	ds_load_b64 v[24:25], v5 offset:56
	s_waitcnt lgkmcnt(0)
	s_barrier
	buffer_gl0_inv
	ds_load_2addr_b32 v[5:6], v7 offset1:2
	ds_load_2addr_b32 v[7:8], v7 offset0:4 offset1:6
	v_cndmask_b32_e64 v9, v90, v23, s3
	v_add_nc_u32_e32 v22, v24, v22
	s_delay_alu instid0(VALU_DEP_2) | instskip(NEXT) | instid1(VALU_DEP_2)
	v_add_nc_u32_e32 v9, v25, v9
	v_cndmask_b32_e64 v22, v22, v24, s2
	s_delay_alu instid0(VALU_DEP_2)
	v_cndmask_b32_e64 v9, v9, v25, s2
	s_branch .LBB1896_133
.LBB1896_123:
                                        ; implicit-def: $vgpr9
                                        ; implicit-def: $vgpr7
                                        ; implicit-def: $vgpr5
                                        ; implicit-def: $vgpr22_vgpr23
	s_and_b32 vcc_lo, exec_lo, s5
	s_cbranch_vccz .LBB1896_133
; %bb.124:
	s_waitcnt lgkmcnt(1)
	v_mov_b32_dpp v6, v88 row_shr:1 row_mask:0xf bank_mask:0xf
	v_cmp_lt_u32_e32 vcc_lo, 3, v86
	v_mov_b32_dpp v5, v87 row_shr:1 row_mask:0xf bank_mask:0xf
	s_delay_alu instid0(VALU_DEP_3) | instskip(NEXT) | instid1(VALU_DEP_1)
	v_add_nc_u32_e32 v6, v6, v88
	v_cndmask_b32_e64 v6, v6, v88, s1
	s_waitcnt lgkmcnt(0)
	s_delay_alu instid0(VALU_DEP_1) | instskip(NEXT) | instid1(VALU_DEP_1)
	v_mov_b32_dpp v8, v6 row_shr:2 row_mask:0xf bank_mask:0xf
	v_add_nc_u32_e32 v8, v6, v8
	s_delay_alu instid0(VALU_DEP_1) | instskip(NEXT) | instid1(VALU_DEP_1)
	v_cndmask_b32_e64 v6, v6, v8, s0
	v_mov_b32_dpp v8, v6 row_shr:4 row_mask:0xf bank_mask:0xf
	s_delay_alu instid0(VALU_DEP_1) | instskip(NEXT) | instid1(VALU_DEP_1)
	v_add_nc_u32_e32 v8, v6, v8
	v_dual_cndmask_b32 v6, v6, v8 :: v_dual_add_nc_u32 v5, v5, v87
	s_delay_alu instid0(VALU_DEP_1) | instskip(NEXT) | instid1(VALU_DEP_2)
	v_cndmask_b32_e64 v5, v5, v87, s1
	v_mov_b32_dpp v8, v6 row_shr:8 row_mask:0xf bank_mask:0xf
	s_delay_alu instid0(VALU_DEP_2) | instskip(NEXT) | instid1(VALU_DEP_2)
	v_mov_b32_dpp v7, v5 row_shr:2 row_mask:0xf bank_mask:0xf
	v_add_nc_u32_e32 v8, v6, v8
	s_delay_alu instid0(VALU_DEP_2) | instskip(NEXT) | instid1(VALU_DEP_1)
	v_add_nc_u32_e32 v7, v5, v7
	v_cndmask_b32_e64 v5, v5, v7, s0
	s_mov_b32 s0, exec_lo
	s_delay_alu instid0(VALU_DEP_1) | instskip(NEXT) | instid1(VALU_DEP_1)
	v_mov_b32_dpp v7, v5 row_shr:4 row_mask:0xf bank_mask:0xf
	v_add_nc_u32_e32 v7, v5, v7
	s_delay_alu instid0(VALU_DEP_1) | instskip(SKIP_1) | instid1(VALU_DEP_2)
	v_cndmask_b32_e32 v5, v5, v7, vcc_lo
	v_cmp_lt_u32_e32 vcc_lo, 7, v86
	v_mov_b32_dpp v7, v5 row_shr:8 row_mask:0xf bank_mask:0xf
	s_delay_alu instid0(VALU_DEP_1) | instskip(NEXT) | instid1(VALU_DEP_1)
	v_dual_cndmask_b32 v6, v6, v8 :: v_dual_add_nc_u32 v7, v5, v7
	v_cndmask_b32_e32 v5, v5, v7, vcc_lo
	ds_swizzle_b32 v7, v6 offset:swizzle(BROADCAST,32,15)
	v_cmp_eq_u32_e32 vcc_lo, 0, v85
	ds_swizzle_b32 v8, v5 offset:swizzle(BROADCAST,32,15)
	s_waitcnt lgkmcnt(1)
	v_add_nc_u32_e32 v7, v6, v7
	s_waitcnt lgkmcnt(0)
	v_add_nc_u32_e32 v8, v5, v8
	s_delay_alu instid0(VALU_DEP_1)
	v_dual_cndmask_b32 v6, v7, v6 :: v_dual_cndmask_b32 v5, v8, v5
	v_cmpx_eq_u32_e64 v84, v0
	s_cbranch_execz .LBB1896_126
; %bb.125:
	v_lshlrev_b32_e32 v7, 3, v83
	ds_store_b64 v7, v[5:6]
.LBB1896_126:
	s_or_b32 exec_lo, exec_lo, s0
	s_delay_alu instid0(SALU_CYCLE_1)
	s_mov_b32 s0, exec_lo
	s_waitcnt lgkmcnt(0)
	s_barrier
	buffer_gl0_inv
	v_cmpx_gt_u32_e32 8, v0
	s_cbranch_execz .LBB1896_128
; %bb.127:
	v_lshlrev_b32_e32 v9, 3, v0
	ds_load_b64 v[7:8], v9
	s_waitcnt lgkmcnt(0)
	v_mov_b32_dpp v22, v7 row_shr:1 row_mask:0xf bank_mask:0xf
	v_mov_b32_dpp v23, v8 row_shr:1 row_mask:0xf bank_mask:0xf
	s_delay_alu instid0(VALU_DEP_2) | instskip(SKIP_1) | instid1(VALU_DEP_3)
	v_add_nc_u32_e32 v22, v22, v7
	v_and_b32_e32 v24, 7, v82
	v_add_nc_u32_e32 v23, v23, v8
	s_delay_alu instid0(VALU_DEP_2) | instskip(NEXT) | instid1(VALU_DEP_2)
	v_cmp_eq_u32_e32 vcc_lo, 0, v24
	v_dual_cndmask_b32 v8, v23, v8 :: v_dual_cndmask_b32 v7, v22, v7
	v_cmp_lt_u32_e32 vcc_lo, 1, v24
	s_delay_alu instid0(VALU_DEP_2) | instskip(NEXT) | instid1(VALU_DEP_3)
	v_mov_b32_dpp v23, v8 row_shr:2 row_mask:0xf bank_mask:0xf
	v_mov_b32_dpp v22, v7 row_shr:2 row_mask:0xf bank_mask:0xf
	s_delay_alu instid0(VALU_DEP_2) | instskip(NEXT) | instid1(VALU_DEP_2)
	v_add_nc_u32_e32 v23, v8, v23
	v_add_nc_u32_e32 v22, v7, v22
	s_delay_alu instid0(VALU_DEP_1) | instskip(SKIP_1) | instid1(VALU_DEP_2)
	v_dual_cndmask_b32 v8, v8, v23 :: v_dual_cndmask_b32 v7, v7, v22
	v_cmp_lt_u32_e32 vcc_lo, 3, v24
	v_mov_b32_dpp v23, v8 row_shr:4 row_mask:0xf bank_mask:0xf
	s_delay_alu instid0(VALU_DEP_3) | instskip(NEXT) | instid1(VALU_DEP_1)
	v_mov_b32_dpp v22, v7 row_shr:4 row_mask:0xf bank_mask:0xf
	v_dual_cndmask_b32 v23, 0, v23 :: v_dual_cndmask_b32 v22, 0, v22
	s_delay_alu instid0(VALU_DEP_1) | instskip(NEXT) | instid1(VALU_DEP_2)
	v_add_nc_u32_e32 v8, v23, v8
	v_add_nc_u32_e32 v7, v22, v7
	ds_store_b64 v9, v[7:8]
.LBB1896_128:
	s_or_b32 exec_lo, exec_lo, s0
	v_dual_mov_b32 v7, 0 :: v_dual_mov_b32 v22, 0
	v_mov_b32_e32 v23, 0
	s_mov_b32 s0, exec_lo
	s_waitcnt lgkmcnt(0)
	s_barrier
	buffer_gl0_inv
	v_cmpx_lt_u32_e32 31, v0
	s_cbranch_execz .LBB1896_130
; %bb.129:
	v_lshl_add_u32 v8, v83, 3, -8
	ds_load_b64 v[22:23], v8
.LBB1896_130:
	s_or_b32 exec_lo, exec_lo, s0
	v_add_nc_u32_e32 v8, -1, v82
	s_waitcnt lgkmcnt(0)
	v_add_nc_u32_e32 v24, v23, v6
	v_add_nc_u32_e32 v9, v22, v5
	ds_load_b64 v[5:6], v7 offset:56
	v_cmp_gt_i32_e32 vcc_lo, 0, v8
	v_cndmask_b32_e32 v8, v8, v82, vcc_lo
	s_delay_alu instid0(VALU_DEP_1)
	v_lshlrev_b32_e32 v8, 2, v8
	ds_bpermute_b32 v9, v8, v9
	ds_bpermute_b32 v24, v8, v24
	s_waitcnt lgkmcnt(2)
	v_readfirstlane_b32 s0, v6
	s_and_saveexec_b32 s1, s2
	s_cbranch_execz .LBB1896_132
; %bb.131:
	s_mov_b32 s8, 0
	s_add_u32 s6, s36, 0x200
	s_addc_u32 s7, s37, 0
	s_and_b32 s9, s0, 0xff000000
	s_and_b32 s11, s0, 0xff0000
	s_mov_b32 s10, s8
	v_mov_b32_e32 v26, s7
	s_or_b64 s[10:11], s[10:11], s[8:9]
	s_and_b32 s9, s0, 0xff00
	v_dual_mov_b32 v8, 0 :: v_dual_mov_b32 v25, s6
	s_or_b64 s[10:11], s[10:11], s[8:9]
	s_and_b32 s9, s0, 0xff
	v_mov_b32_e32 v7, 2
	s_or_b64 s[8:9], s[10:11], s[8:9]
	s_delay_alu instid0(SALU_CYCLE_1)
	v_mov_b32_e32 v6, s9
	;;#ASMSTART
	global_store_dwordx4 v[25:26], v[5:8] off	
s_waitcnt vmcnt(0)
	;;#ASMEND
.LBB1896_132:
	s_or_b32 exec_lo, exec_lo, s1
	v_cmp_eq_u32_e32 vcc_lo, 0, v82
	v_dual_mov_b32 v7, 0 :: v_dual_mov_b32 v6, s0
	s_waitcnt lgkmcnt(0)
	s_barrier
	v_dual_cndmask_b32 v8, v9, v22 :: v_dual_cndmask_b32 v9, v24, v23
	buffer_gl0_inv
	v_cndmask_b32_e64 v22, v8, 0, s2
	v_cndmask_b32_e64 v9, v9, 0, s2
	v_mov_b32_e32 v8, 0
.LBB1896_133:
	s_delay_alu instid0(VALU_DEP_1) | instskip(SKIP_1) | instid1(VALU_DEP_2)
	v_add_nc_u32_e32 v24, v9, v81
	s_waitcnt lgkmcnt(0)
	v_sub_nc_u32_e32 v9, v9, v8
	v_add_co_u32 v1, vcc_lo, v1, v7
	v_and_b32_e32 v35, 1, v35
	v_add_nc_u32_e32 v26, v24, v77
	v_sub_nc_u32_e32 v24, v24, v8
	v_lshlrev_b32_e32 v77, 1, v5
	v_add_nc_u32_e32 v9, v9, v5
	v_add_co_ci_u32_e32 v2, vcc_lo, 0, v2, vcc_lo
	v_add_nc_u32_e32 v28, v26, v79
	s_delay_alu instid0(VALU_DEP_4)
	v_add3_u32 v33, v77, v6, v33
	v_and_b32_e32 v40, 1, v40
	v_and_b32_e32 v37, 1, v37
	;; [unrolled: 1-line block ×3, first 2 shown]
	v_add_nc_u32_e32 v29, v28, v75
	v_sub_nc_u32_e32 v28, v28, v8
	v_sub_co_u32 v75, vcc_lo, v3, v5
	s_add_u32 s1, s14, -4
	s_delay_alu instid0(VALU_DEP_3) | instskip(SKIP_4) | instid1(VALU_DEP_3)
	v_add_nc_u32_e32 v73, v29, v73
	v_sub_nc_u32_e32 v29, v29, v8
	v_add_nc_u32_e32 v28, v28, v5
	v_add_nc_u32_e32 v24, v24, v5
	s_mov_b32 s3, -1
	v_add_nc_u32_e32 v29, v29, v5
	v_add_nc_u32_e32 v23, v22, v80
	v_sub_nc_u32_e32 v22, v22, v7
	s_delay_alu instid0(VALU_DEP_2) | instskip(SKIP_3) | instid1(VALU_DEP_3)
	v_add_nc_u32_e32 v25, v23, v76
	v_sub_nc_u32_e32 v23, v23, v7
	v_subrev_co_ci_u32_e32 v76, vcc_lo, 0, v4, vcc_lo
	v_cmp_eq_u32_e32 vcc_lo, 1, v35
	v_add_nc_u32_e32 v79, v24, v23
	s_delay_alu instid0(VALU_DEP_1) | instskip(NEXT) | instid1(VALU_DEP_1)
	v_sub_nc_u32_e32 v79, v33, v79
	v_add_nc_u32_e32 v79, 1, v79
	v_add_nc_u32_e32 v27, v25, v78
	;; [unrolled: 1-line block ×3, first 2 shown]
	s_delay_alu instid0(VALU_DEP_1) | instskip(NEXT) | instid1(VALU_DEP_1)
	v_sub_nc_u32_e32 v78, v33, v78
	v_dual_cndmask_b32 v9, v78, v9 :: v_dual_and_b32 v34, 1, v34
	v_cmp_eq_u32_e32 vcc_lo, 1, v40
	v_cndmask_b32_e32 v24, v79, v24, vcc_lo
	s_delay_alu instid0(VALU_DEP_3) | instskip(NEXT) | instid1(VALU_DEP_4)
	v_cmp_eq_u32_e32 vcc_lo, 1, v34
	v_cndmask_b32_e32 v9, v9, v22, vcc_lo
	v_sub_nc_u32_e32 v26, v26, v8
	v_cmp_eq_u32_e32 vcc_lo, 1, v37
	v_and_b32_e32 v37, 1, v38
	s_delay_alu instid0(VALU_DEP_4) | instskip(NEXT) | instid1(VALU_DEP_4)
	v_lshlrev_b32_e32 v9, 2, v9
	v_add_nc_u32_e32 v26, v26, v5
	v_cndmask_b32_e32 v24, v24, v23, vcc_lo
	v_sub_nc_u32_e32 v25, v25, v7
	v_add_co_u32 v22, vcc_lo, v75, v8
	v_add_co_ci_u32_e32 v23, vcc_lo, 0, v76, vcc_lo
	s_delay_alu instid0(VALU_DEP_3)
	v_add_nc_u32_e32 v34, v26, v25
	v_cmp_eq_u32_e32 vcc_lo, 1, v37
	v_lshlrev_b32_e32 v24, 2, v24
	ds_store_b32 v9, v20
	v_sub_nc_u32_e32 v34, v33, v34
	ds_store_b32 v24, v21
	v_and_b32_e32 v24, 1, v39
	v_add_nc_u32_e32 v34, 2, v34
	s_delay_alu instid0(VALU_DEP_1) | instskip(SKIP_3) | instid1(VALU_DEP_4)
	v_cndmask_b32_e32 v26, v34, v26, vcc_lo
	v_cmp_eq_u32_e32 vcc_lo, 1, v36
	v_add_nc_u32_e32 v74, v27, v74
	v_sub_nc_u32_e32 v27, v27, v7
	v_cndmask_b32_e32 v25, v26, v25, vcc_lo
	s_delay_alu instid0(VALU_DEP_3) | instskip(NEXT) | instid1(VALU_DEP_3)
	v_sub_nc_u32_e32 v37, v74, v7
	v_add_nc_u32_e32 v34, v27, v28
	v_cmp_eq_u32_e32 vcc_lo, 1, v24
	v_sub_nc_u32_e32 v26, v73, v8
	v_lshlrev_b32_e32 v21, 2, v25
	v_and_b32_e32 v25, 1, v41
	v_sub_nc_u32_e32 v9, v33, v34
	v_add_nc_u32_e32 v20, v37, v29
	v_and_b32_e32 v24, 1, v42
	v_add_nc_u32_e32 v26, v26, v5
	ds_store_b32 v21, v18
	v_add_nc_u32_e32 v9, 3, v9
	v_sub_nc_u32_e32 v20, v33, v20
	s_delay_alu instid0(VALU_DEP_2) | instskip(SKIP_2) | instid1(VALU_DEP_4)
	v_cndmask_b32_e32 v9, v9, v28, vcc_lo
	v_cmp_eq_u32_e32 vcc_lo, 1, v25
	v_add_nc_u32_e32 v72, v74, v72
	v_add_nc_u32_e32 v20, 4, v20
	v_and_b32_e32 v25, 1, v43
	v_cndmask_b32_e32 v9, v9, v27, vcc_lo
	s_delay_alu instid0(VALU_DEP_4)
	v_sub_nc_u32_e32 v28, v72, v7
	v_cmp_eq_u32_e32 vcc_lo, 1, v24
	v_and_b32_e32 v24, 1, v44
	v_add_nc_u32_e32 v70, v72, v70
	v_lshlrev_b32_e32 v9, 2, v9
	v_add_nc_u32_e32 v27, v28, v26
	v_cndmask_b32_e32 v20, v20, v29, vcc_lo
	v_cmp_eq_u32_e32 vcc_lo, 1, v25
	v_and_b32_e32 v25, 1, v45
	v_add_nc_u32_e32 v64, v70, v64
	v_sub_nc_u32_e32 v18, v33, v27
	v_sub_nc_u32_e32 v27, v70, v7
	v_cndmask_b32_e32 v20, v20, v37, vcc_lo
	v_cmp_eq_u32_e32 vcc_lo, 1, v24
	ds_store_b32 v9, v19
	v_add_nc_u32_e32 v18, 5, v18
	v_and_b32_e32 v19, 1, v46
	v_lshlrev_b32_e32 v20, 2, v20
	v_add_nc_u32_e32 v68, v64, v68
	s_delay_alu instid0(VALU_DEP_4)
	v_cndmask_b32_e32 v18, v18, v26, vcc_lo
	v_cmp_eq_u32_e32 vcc_lo, 1, v25
	v_sub_nc_u32_e32 v25, v64, v7
	ds_store_b32 v20, v16
	v_and_b32_e32 v20, 1, v49
	v_add_nc_u32_e32 v66, v68, v66
	v_dual_cndmask_b32 v18, v18, v28 :: v_dual_add_nc_u32 v71, v73, v71
	v_cmp_eq_u32_e32 vcc_lo, 1, v19
	v_and_b32_e32 v19, 1, v48
	s_delay_alu instid0(VALU_DEP_4) | instskip(NEXT) | instid1(VALU_DEP_4)
	v_add_nc_u32_e32 v61, v66, v61
	v_lshlrev_b32_e32 v18, 2, v18
	v_add_nc_u32_e32 v65, v71, v65
	v_sub_nc_u32_e32 v21, v71, v8
	s_delay_alu instid0(VALU_DEP_4)
	v_add_nc_u32_e32 v60, v61, v60
	ds_store_b32 v18, v17
	v_sub_nc_u32_e32 v24, v65, v8
	v_add_nc_u32_e32 v21, v21, v5
	v_add_nc_u32_e32 v69, v65, v69
	v_and_b32_e32 v17, 1, v47
	s_delay_alu instid0(VALU_DEP_4) | instskip(NEXT) | instid1(VALU_DEP_4)
	v_add_nc_u32_e32 v24, v24, v5
	v_add_nc_u32_e32 v26, v27, v21
	s_delay_alu instid0(VALU_DEP_4) | instskip(NEXT) | instid1(VALU_DEP_3)
	v_sub_nc_u32_e32 v18, v69, v8
	v_add_nc_u32_e32 v16, v25, v24
	s_delay_alu instid0(VALU_DEP_3) | instskip(NEXT) | instid1(VALU_DEP_3)
	v_sub_nc_u32_e32 v9, v33, v26
	v_add_nc_u32_e32 v18, v18, v5
	v_sub_nc_u32_e32 v26, v60, v7
	s_delay_alu instid0(VALU_DEP_4) | instskip(NEXT) | instid1(VALU_DEP_4)
	v_sub_nc_u32_e32 v16, v33, v16
	v_add_nc_u32_e32 v9, 6, v9
	s_delay_alu instid0(VALU_DEP_1) | instskip(SKIP_2) | instid1(VALU_DEP_3)
	v_dual_cndmask_b32 v9, v9, v21 :: v_dual_add_nc_u32 v16, 7, v16
	v_cmp_eq_u32_e32 vcc_lo, 1, v19
	v_sub_nc_u32_e32 v21, v68, v7
	v_cndmask_b32_e32 v16, v16, v24, vcc_lo
	v_cmp_eq_u32_e32 vcc_lo, 1, v17
	s_delay_alu instid0(VALU_DEP_3) | instskip(SKIP_3) | instid1(VALU_DEP_4)
	v_add_nc_u32_e32 v17, v21, v18
	v_cndmask_b32_e32 v9, v9, v27, vcc_lo
	v_cmp_eq_u32_e32 vcc_lo, 1, v20
	v_add_nc_u32_e32 v67, v69, v67
	v_sub_nc_u32_e32 v17, v33, v17
	v_sub_nc_u32_e32 v20, v66, v7
	v_lshlrev_b32_e32 v9, 2, v9
	v_cndmask_b32_e32 v16, v16, v25, vcc_lo
	v_sub_nc_u32_e32 v19, v67, v8
	v_add_nc_u32_e32 v62, v67, v62
	v_sub_nc_u32_e32 v25, v61, v7
	ds_store_b32 v9, v14
	v_and_b32_e32 v9, 1, v50
	v_add_nc_u32_e32 v19, v19, v5
	v_add_nc_u32_e32 v14, 8, v17
	v_lshlrev_b32_e32 v16, 2, v16
	v_add_nc_u32_e32 v63, v62, v63
	v_cmp_eq_u32_e32 vcc_lo, 1, v9
	v_add_nc_u32_e32 v17, v20, v19
	ds_store_b32 v16, v15
	v_and_b32_e32 v15, 1, v51
	v_cndmask_b32_e32 v9, v14, v18, vcc_lo
	v_sub_nc_u32_e32 v14, v33, v17
	v_and_b32_e32 v18, 1, v52
	v_sub_nc_u32_e32 v17, v62, v8
	v_and_b32_e32 v16, 1, v54
	v_sub_nc_u32_e32 v24, v63, v8
	v_add_nc_u32_e32 v14, 9, v14
	v_cmp_eq_u32_e32 vcc_lo, 1, v18
	v_add_nc_u32_e32 v17, v17, v5
	v_add_nc_u32_e32 v35, v63, v59
	;; [unrolled: 1-line block ×3, first 2 shown]
	v_cndmask_b32_e32 v14, v14, v19, vcc_lo
	v_cmp_eq_u32_e32 vcc_lo, 1, v15
	v_add_nc_u32_e32 v15, v25, v17
	s_delay_alu instid0(VALU_DEP_4)
	v_add_nc_u32_e32 v18, v26, v24
	v_and_b32_e32 v19, 1, v55
	v_cndmask_b32_e32 v9, v9, v21, vcc_lo
	v_cmp_eq_u32_e32 vcc_lo, 1, v16
	v_sub_nc_u32_e32 v15, v33, v15
	v_sub_nc_u32_e32 v18, v33, v18
	v_and_b32_e32 v21, 1, v57
	v_sub_nc_u32_e32 v16, v35, v8
	v_cndmask_b32_e32 v14, v14, v20, vcc_lo
	v_and_b32_e32 v20, 1, v53
	v_add_nc_u32_e32 v15, 10, v15
	v_add_nc_u32_e32 v18, 11, v18
	;; [unrolled: 1-line block ×3, first 2 shown]
	v_lshlrev_b32_e32 v9, 2, v9
	v_cmp_eq_u32_e32 vcc_lo, 1, v20
	v_dual_cndmask_b32 v15, v15, v17 :: v_dual_lshlrev_b32 v14, 2, v14
	v_cmp_eq_u32_e32 vcc_lo, 1, v21
	v_and_b32_e32 v17, 1, v56
	v_cndmask_b32_e32 v18, v18, v24, vcc_lo
	v_cmp_eq_u32_e32 vcc_lo, 1, v19
	v_cndmask_b32_e32 v15, v15, v25, vcc_lo
	s_delay_alu instid0(VALU_DEP_4) | instskip(NEXT) | instid1(VALU_DEP_2)
	v_cmp_eq_u32_e32 vcc_lo, 1, v17
	v_lshlrev_b32_e32 v15, 2, v15
	v_cndmask_b32_e32 v17, v18, v26, vcc_lo
	v_add_nc_u32_e32 v40, v60, v58
	s_delay_alu instid0(VALU_DEP_2) | instskip(NEXT) | instid1(VALU_DEP_2)
	v_lshlrev_b32_e32 v17, 2, v17
	v_sub_nc_u32_e32 v7, v40, v7
	ds_store_b32 v9, v12
	ds_store_b32 v14, v13
	;; [unrolled: 1-line block ×4, first 2 shown]
	v_add_co_u32 v9, s0, v6, v77
	s_delay_alu instid0(VALU_DEP_1) | instskip(SKIP_1) | instid1(VALU_DEP_3)
	v_add_co_ci_u32_e64 v10, null, 0, 0, s0
	v_add_nc_u32_e32 v27, v7, v16
	v_add_co_u32 v9, vcc_lo, v9, v22
	s_delay_alu instid0(VALU_DEP_3) | instskip(NEXT) | instid1(VALU_DEP_3)
	v_add_co_ci_u32_e32 v10, vcc_lo, v10, v23, vcc_lo
	v_sub_nc_u32_e32 v20, v33, v27
	v_add_co_u32 v11, s0, s34, v30
	s_delay_alu instid0(VALU_DEP_4) | instskip(NEXT) | instid1(VALU_DEP_3)
	v_add_co_u32 v9, vcc_lo, v9, v1
	v_add_nc_u32_e32 v18, 12, v20
	v_add_co_ci_u32_e64 v12, null, s35, 0, s0
	v_add_co_ci_u32_e32 v10, vcc_lo, v10, v2, vcc_lo
	s_delay_alu instid0(VALU_DEP_3) | instskip(SKIP_1) | instid1(VALU_DEP_2)
	v_cndmask_b32_e64 v16, v18, v16, s33
	v_add_nc_u32_e32 v14, v5, v6
	v_cndmask_b32_e64 v7, v16, v7, s27
	s_delay_alu instid0(VALU_DEP_1)
	v_lshlrev_b32_e32 v7, 2, v7
	ds_store_b32 v7, v32
	v_sub_co_u32 v7, vcc_lo, v11, v9
	v_sub_co_ci_u32_e32 v13, vcc_lo, v12, v10, vcc_lo
	v_lshlrev_b64 v[9:10], 2, v[22:23]
	v_lshlrev_b64 v[11:12], 2, v[1:2]
	s_waitcnt lgkmcnt(0)
	s_barrier
	buffer_gl0_inv
	v_add_co_u32 v9, vcc_lo, s30, v9
	v_add_co_ci_u32_e32 v10, vcc_lo, s31, v10, vcc_lo
	v_cmp_ne_u32_e32 vcc_lo, 1, v31
	v_add_co_u32 v11, s0, s28, v11
	s_delay_alu instid0(VALU_DEP_1)
	v_add_co_ci_u32_e64 v12, s0, s29, v12, s0
	s_addc_u32 s0, s15, -1
	s_cbranch_vccz .LBB1896_137
; %bb.134:
	s_and_b32 vcc_lo, exec_lo, s3
	s_cbranch_vccnz .LBB1896_242
.LBB1896_135:
	s_and_b32 s0, s2, s13
	s_delay_alu instid0(SALU_CYCLE_1)
	s_and_saveexec_b32 s1, s0
	s_cbranch_execnz .LBB1896_360
.LBB1896_136:
	s_nop 0
	s_sendmsg sendmsg(MSG_DEALLOC_VGPRS)
	s_endpgm
.LBB1896_137:
	s_mov_b32 s3, exec_lo
	v_cmpx_le_u32_e64 v5, v0
	s_xor_b32 s3, exec_lo, s3
	s_cbranch_execz .LBB1896_143
; %bb.138:
	s_mov_b32 s5, exec_lo
	v_cmpx_le_u32_e64 v14, v0
	s_xor_b32 s5, exec_lo, s5
	s_cbranch_execz .LBB1896_140
; %bb.139:
	v_lshlrev_b32_e32 v15, 2, v0
	ds_load_b32 v17, v15
	v_add_co_u32 v15, vcc_lo, v7, v0
	v_add_co_ci_u32_e32 v16, vcc_lo, 0, v13, vcc_lo
	s_delay_alu instid0(VALU_DEP_1) | instskip(NEXT) | instid1(VALU_DEP_1)
	v_lshlrev_b64 v[15:16], 2, v[15:16]
	v_sub_co_u32 v15, vcc_lo, s14, v15
	s_delay_alu instid0(VALU_DEP_2)
	v_sub_co_ci_u32_e32 v16, vcc_lo, s15, v16, vcc_lo
	s_waitcnt lgkmcnt(0)
	global_store_b32 v[15:16], v17, off offset:-4
.LBB1896_140:
	s_and_not1_saveexec_b32 s5, s5
	s_cbranch_execz .LBB1896_142
; %bb.141:
	v_lshlrev_b32_e32 v15, 2, v0
	v_readfirstlane_b32 s6, v9
	v_readfirstlane_b32 s7, v10
	ds_load_b32 v16, v15
	s_waitcnt lgkmcnt(0)
	global_store_b32 v15, v16, s[6:7]
.LBB1896_142:
	s_or_b32 exec_lo, exec_lo, s5
.LBB1896_143:
	s_and_not1_saveexec_b32 s3, s3
	s_cbranch_execz .LBB1896_145
; %bb.144:
	v_lshlrev_b32_e32 v15, 2, v0
	v_readfirstlane_b32 s6, v11
	v_readfirstlane_b32 s7, v12
	ds_load_b32 v16, v15
	s_waitcnt lgkmcnt(0)
	global_store_b32 v15, v16, s[6:7]
.LBB1896_145:
	s_or_b32 exec_lo, exec_lo, s3
	v_or_b32_e32 v15, 0x100, v0
	s_mov_b32 s3, exec_lo
	s_delay_alu instid0(VALU_DEP_1)
	v_cmpx_le_u32_e64 v5, v15
	s_xor_b32 s3, exec_lo, s3
	s_cbranch_execz .LBB1896_151
; %bb.146:
	s_mov_b32 s5, exec_lo
	v_cmpx_le_u32_e64 v14, v15
	s_xor_b32 s5, exec_lo, s5
	s_cbranch_execz .LBB1896_148
; %bb.147:
	v_lshlrev_b32_e32 v15, 2, v0
	ds_load_b32 v17, v15 offset:1024
	v_add_co_u32 v15, vcc_lo, v7, v0
	v_add_co_ci_u32_e32 v16, vcc_lo, 0, v13, vcc_lo
	s_delay_alu instid0(VALU_DEP_1) | instskip(NEXT) | instid1(VALU_DEP_1)
	v_lshlrev_b64 v[15:16], 2, v[15:16]
	v_sub_co_u32 v15, vcc_lo, s1, v15
	s_delay_alu instid0(VALU_DEP_2)
	v_sub_co_ci_u32_e32 v16, vcc_lo, s0, v16, vcc_lo
	s_waitcnt lgkmcnt(0)
	global_store_b32 v[15:16], v17, off offset:-1024
.LBB1896_148:
	s_and_not1_saveexec_b32 s5, s5
	s_cbranch_execz .LBB1896_150
; %bb.149:
	v_lshlrev_b32_e32 v15, 2, v0
	v_readfirstlane_b32 s6, v9
	v_readfirstlane_b32 s7, v10
	ds_load_b32 v16, v15 offset:1024
	s_waitcnt lgkmcnt(0)
	global_store_b32 v15, v16, s[6:7] offset:1024
.LBB1896_150:
	s_or_b32 exec_lo, exec_lo, s5
.LBB1896_151:
	s_and_not1_saveexec_b32 s3, s3
	s_cbranch_execz .LBB1896_153
; %bb.152:
	v_lshlrev_b32_e32 v15, 2, v0
	v_readfirstlane_b32 s6, v11
	v_readfirstlane_b32 s7, v12
	ds_load_b32 v16, v15 offset:1024
	s_waitcnt lgkmcnt(0)
	global_store_b32 v15, v16, s[6:7] offset:1024
.LBB1896_153:
	s_or_b32 exec_lo, exec_lo, s3
	v_or_b32_e32 v15, 0x200, v0
	s_mov_b32 s3, exec_lo
	s_delay_alu instid0(VALU_DEP_1)
	v_cmpx_le_u32_e64 v5, v15
	s_xor_b32 s3, exec_lo, s3
	s_cbranch_execz .LBB1896_159
; %bb.154:
	s_mov_b32 s5, exec_lo
	v_cmpx_le_u32_e64 v14, v15
	s_xor_b32 s5, exec_lo, s5
	s_cbranch_execz .LBB1896_156
; %bb.155:
	v_lshlrev_b32_e32 v15, 2, v0
	ds_load_b32 v17, v15 offset:2048
	v_add_co_u32 v15, vcc_lo, v7, v0
	v_add_co_ci_u32_e32 v16, vcc_lo, 0, v13, vcc_lo
	s_delay_alu instid0(VALU_DEP_1) | instskip(NEXT) | instid1(VALU_DEP_1)
	v_lshlrev_b64 v[15:16], 2, v[15:16]
	v_sub_co_u32 v15, vcc_lo, s1, v15
	s_delay_alu instid0(VALU_DEP_2)
	v_sub_co_ci_u32_e32 v16, vcc_lo, s0, v16, vcc_lo
	s_waitcnt lgkmcnt(0)
	global_store_b32 v[15:16], v17, off offset:-2048
.LBB1896_156:
	s_and_not1_saveexec_b32 s5, s5
	s_cbranch_execz .LBB1896_158
; %bb.157:
	v_lshlrev_b32_e32 v15, 2, v0
	v_readfirstlane_b32 s6, v9
	v_readfirstlane_b32 s7, v10
	ds_load_b32 v16, v15 offset:2048
	s_waitcnt lgkmcnt(0)
	global_store_b32 v15, v16, s[6:7] offset:2048
.LBB1896_158:
	s_or_b32 exec_lo, exec_lo, s5
.LBB1896_159:
	s_and_not1_saveexec_b32 s3, s3
	s_cbranch_execz .LBB1896_161
; %bb.160:
	v_lshlrev_b32_e32 v15, 2, v0
	v_readfirstlane_b32 s6, v11
	v_readfirstlane_b32 s7, v12
	ds_load_b32 v16, v15 offset:2048
	s_waitcnt lgkmcnt(0)
	global_store_b32 v15, v16, s[6:7] offset:2048
.LBB1896_161:
	;; [unrolled: 47-line block ×3, first 2 shown]
	s_or_b32 exec_lo, exec_lo, s3
	v_or_b32_e32 v15, 0x400, v0
	s_mov_b32 s3, exec_lo
	s_delay_alu instid0(VALU_DEP_1)
	v_cmpx_le_u32_e64 v5, v15
	s_xor_b32 s3, exec_lo, s3
	s_cbranch_execz .LBB1896_175
; %bb.170:
	s_mov_b32 s5, exec_lo
	v_cmpx_le_u32_e64 v14, v15
	s_xor_b32 s5, exec_lo, s5
	s_cbranch_execz .LBB1896_172
; %bb.171:
	v_lshlrev_b32_e32 v15, 2, v0
	ds_load_b32 v17, v15 offset:4096
	v_add_co_u32 v15, vcc_lo, v7, v0
	v_add_co_ci_u32_e32 v16, vcc_lo, 0, v13, vcc_lo
	s_delay_alu instid0(VALU_DEP_1) | instskip(NEXT) | instid1(VALU_DEP_1)
	v_lshlrev_b64 v[15:16], 2, v[15:16]
	v_sub_co_u32 v15, vcc_lo, s1, v15
	s_delay_alu instid0(VALU_DEP_2)
	v_sub_co_ci_u32_e32 v16, vcc_lo, s0, v16, vcc_lo
	s_waitcnt lgkmcnt(0)
	global_store_b32 v[15:16], v17, off offset:-4096
                                        ; implicit-def: $vgpr15
.LBB1896_172:
	s_and_not1_saveexec_b32 s5, s5
	s_cbranch_execz .LBB1896_174
; %bb.173:
	v_lshlrev_b32_e32 v16, 2, v0
	v_lshlrev_b32_e32 v15, 2, v15
	v_readfirstlane_b32 s6, v9
	v_readfirstlane_b32 s7, v10
	ds_load_b32 v16, v16 offset:4096
	s_waitcnt lgkmcnt(0)
	global_store_b32 v15, v16, s[6:7]
.LBB1896_174:
	s_or_b32 exec_lo, exec_lo, s5
                                        ; implicit-def: $vgpr15
.LBB1896_175:
	s_and_not1_saveexec_b32 s3, s3
	s_cbranch_execz .LBB1896_177
; %bb.176:
	v_lshlrev_b32_e32 v16, 2, v0
	v_lshlrev_b32_e32 v15, 2, v15
	v_readfirstlane_b32 s6, v11
	v_readfirstlane_b32 s7, v12
	ds_load_b32 v16, v16 offset:4096
	s_waitcnt lgkmcnt(0)
	global_store_b32 v15, v16, s[6:7]
.LBB1896_177:
	s_or_b32 exec_lo, exec_lo, s3
	v_or_b32_e32 v15, 0x500, v0
	s_mov_b32 s3, exec_lo
	s_delay_alu instid0(VALU_DEP_1)
	v_cmpx_le_u32_e64 v5, v15
	s_xor_b32 s3, exec_lo, s3
	s_cbranch_execz .LBB1896_183
; %bb.178:
	s_mov_b32 s5, exec_lo
	v_cmpx_le_u32_e64 v14, v15
	s_xor_b32 s5, exec_lo, s5
	s_cbranch_execz .LBB1896_180
; %bb.179:
	v_lshlrev_b32_e32 v16, 2, v0
	v_add_co_u32 v15, vcc_lo, v7, v15
	ds_load_b32 v17, v16 offset:5120
	v_add_co_ci_u32_e32 v16, vcc_lo, 0, v13, vcc_lo
	s_delay_alu instid0(VALU_DEP_1) | instskip(NEXT) | instid1(VALU_DEP_1)
	v_lshlrev_b64 v[15:16], 2, v[15:16]
	v_sub_co_u32 v15, vcc_lo, s1, v15
	s_delay_alu instid0(VALU_DEP_2)
	v_sub_co_ci_u32_e32 v16, vcc_lo, s0, v16, vcc_lo
	s_waitcnt lgkmcnt(0)
	global_store_b32 v[15:16], v17, off
                                        ; implicit-def: $vgpr15
.LBB1896_180:
	s_and_not1_saveexec_b32 s5, s5
	s_cbranch_execz .LBB1896_182
; %bb.181:
	v_lshlrev_b32_e32 v16, 2, v0
	v_lshlrev_b32_e32 v15, 2, v15
	v_readfirstlane_b32 s6, v9
	v_readfirstlane_b32 s7, v10
	ds_load_b32 v16, v16 offset:5120
	s_waitcnt lgkmcnt(0)
	global_store_b32 v15, v16, s[6:7]
.LBB1896_182:
	s_or_b32 exec_lo, exec_lo, s5
                                        ; implicit-def: $vgpr15
.LBB1896_183:
	s_and_not1_saveexec_b32 s3, s3
	s_cbranch_execz .LBB1896_185
; %bb.184:
	v_lshlrev_b32_e32 v16, 2, v0
	v_lshlrev_b32_e32 v15, 2, v15
	v_readfirstlane_b32 s6, v11
	v_readfirstlane_b32 s7, v12
	ds_load_b32 v16, v16 offset:5120
	s_waitcnt lgkmcnt(0)
	global_store_b32 v15, v16, s[6:7]
.LBB1896_185:
	s_or_b32 exec_lo, exec_lo, s3
	v_or_b32_e32 v15, 0x600, v0
	s_mov_b32 s3, exec_lo
	s_delay_alu instid0(VALU_DEP_1)
	v_cmpx_le_u32_e64 v5, v15
	s_xor_b32 s3, exec_lo, s3
	s_cbranch_execz .LBB1896_191
; %bb.186:
	s_mov_b32 s5, exec_lo
	v_cmpx_le_u32_e64 v14, v15
	s_xor_b32 s5, exec_lo, s5
	s_cbranch_execz .LBB1896_188
; %bb.187:
	v_lshlrev_b32_e32 v16, 2, v0
	v_add_co_u32 v15, vcc_lo, v7, v15
	ds_load_b32 v17, v16 offset:6144
	v_add_co_ci_u32_e32 v16, vcc_lo, 0, v13, vcc_lo
	s_delay_alu instid0(VALU_DEP_1) | instskip(NEXT) | instid1(VALU_DEP_1)
	v_lshlrev_b64 v[15:16], 2, v[15:16]
	v_sub_co_u32 v15, vcc_lo, s1, v15
	s_delay_alu instid0(VALU_DEP_2)
	v_sub_co_ci_u32_e32 v16, vcc_lo, s0, v16, vcc_lo
	s_waitcnt lgkmcnt(0)
	global_store_b32 v[15:16], v17, off
                                        ; implicit-def: $vgpr15
.LBB1896_188:
	s_and_not1_saveexec_b32 s5, s5
	s_cbranch_execz .LBB1896_190
; %bb.189:
	v_lshlrev_b32_e32 v16, 2, v0
	v_lshlrev_b32_e32 v15, 2, v15
	v_readfirstlane_b32 s6, v9
	v_readfirstlane_b32 s7, v10
	ds_load_b32 v16, v16 offset:6144
	s_waitcnt lgkmcnt(0)
	global_store_b32 v15, v16, s[6:7]
.LBB1896_190:
	s_or_b32 exec_lo, exec_lo, s5
                                        ; implicit-def: $vgpr15
.LBB1896_191:
	;; [unrolled: 51-line block ×8, first 2 shown]
	s_and_not1_saveexec_b32 s3, s3
	s_cbranch_execz .LBB1896_241
; %bb.240:
	v_lshlrev_b32_e32 v16, 2, v0
	v_lshlrev_b32_e32 v15, 2, v15
	v_readfirstlane_b32 s6, v11
	v_readfirstlane_b32 s7, v12
	ds_load_b32 v16, v16 offset:12288
	s_waitcnt lgkmcnt(0)
	global_store_b32 v15, v16, s[6:7]
.LBB1896_241:
	s_or_b32 exec_lo, exec_lo, s3
	s_branch .LBB1896_135
.LBB1896_242:
	s_mov_b32 s3, exec_lo
	v_cmpx_gt_u32_e64 s4, v0
	s_cbranch_execz .LBB1896_251
; %bb.243:
	s_mov_b32 s5, exec_lo
	v_cmpx_le_u32_e64 v5, v0
	s_xor_b32 s5, exec_lo, s5
	s_cbranch_execz .LBB1896_249
; %bb.244:
	s_mov_b32 s6, exec_lo
	v_cmpx_le_u32_e64 v14, v0
	s_xor_b32 s6, exec_lo, s6
	s_cbranch_execz .LBB1896_246
; %bb.245:
	v_lshlrev_b32_e32 v15, 2, v0
	ds_load_b32 v17, v15
	v_add_co_u32 v15, vcc_lo, v7, v0
	v_add_co_ci_u32_e32 v16, vcc_lo, 0, v13, vcc_lo
	s_delay_alu instid0(VALU_DEP_1) | instskip(NEXT) | instid1(VALU_DEP_1)
	v_lshlrev_b64 v[15:16], 2, v[15:16]
	v_sub_co_u32 v15, vcc_lo, s14, v15
	s_delay_alu instid0(VALU_DEP_2)
	v_sub_co_ci_u32_e32 v16, vcc_lo, s15, v16, vcc_lo
	s_waitcnt lgkmcnt(0)
	global_store_b32 v[15:16], v17, off offset:-4
.LBB1896_246:
	s_and_not1_saveexec_b32 s6, s6
	s_cbranch_execz .LBB1896_248
; %bb.247:
	v_lshlrev_b32_e32 v15, 2, v0
	v_readfirstlane_b32 s8, v9
	v_readfirstlane_b32 s9, v10
	ds_load_b32 v16, v15
	s_waitcnt lgkmcnt(0)
	global_store_b32 v15, v16, s[8:9]
.LBB1896_248:
	s_or_b32 exec_lo, exec_lo, s6
.LBB1896_249:
	s_and_not1_saveexec_b32 s5, s5
	s_cbranch_execz .LBB1896_251
; %bb.250:
	v_lshlrev_b32_e32 v15, 2, v0
	v_readfirstlane_b32 s6, v11
	v_readfirstlane_b32 s7, v12
	ds_load_b32 v16, v15
	s_waitcnt lgkmcnt(0)
	global_store_b32 v15, v16, s[6:7]
.LBB1896_251:
	s_or_b32 exec_lo, exec_lo, s3
	v_or_b32_e32 v15, 0x100, v0
	s_mov_b32 s3, exec_lo
	s_delay_alu instid0(VALU_DEP_1)
	v_cmpx_gt_u32_e64 s4, v15
	s_cbranch_execz .LBB1896_260
; %bb.252:
	s_mov_b32 s5, exec_lo
	v_cmpx_le_u32_e64 v5, v15
	s_xor_b32 s5, exec_lo, s5
	s_cbranch_execz .LBB1896_258
; %bb.253:
	s_mov_b32 s6, exec_lo
	v_cmpx_le_u32_e64 v14, v15
	s_xor_b32 s6, exec_lo, s6
	s_cbranch_execz .LBB1896_255
; %bb.254:
	v_lshlrev_b32_e32 v15, 2, v0
	ds_load_b32 v17, v15 offset:1024
	v_add_co_u32 v15, vcc_lo, v7, v0
	v_add_co_ci_u32_e32 v16, vcc_lo, 0, v13, vcc_lo
	s_delay_alu instid0(VALU_DEP_1) | instskip(NEXT) | instid1(VALU_DEP_1)
	v_lshlrev_b64 v[15:16], 2, v[15:16]
	v_sub_co_u32 v15, vcc_lo, s1, v15
	s_delay_alu instid0(VALU_DEP_2)
	v_sub_co_ci_u32_e32 v16, vcc_lo, s0, v16, vcc_lo
	s_waitcnt lgkmcnt(0)
	global_store_b32 v[15:16], v17, off offset:-1024
.LBB1896_255:
	s_and_not1_saveexec_b32 s6, s6
	s_cbranch_execz .LBB1896_257
; %bb.256:
	v_lshlrev_b32_e32 v15, 2, v0
	v_readfirstlane_b32 s8, v9
	v_readfirstlane_b32 s9, v10
	ds_load_b32 v16, v15 offset:1024
	s_waitcnt lgkmcnt(0)
	global_store_b32 v15, v16, s[8:9] offset:1024
.LBB1896_257:
	s_or_b32 exec_lo, exec_lo, s6
.LBB1896_258:
	s_and_not1_saveexec_b32 s5, s5
	s_cbranch_execz .LBB1896_260
; %bb.259:
	v_lshlrev_b32_e32 v15, 2, v0
	v_readfirstlane_b32 s6, v11
	v_readfirstlane_b32 s7, v12
	ds_load_b32 v16, v15 offset:1024
	s_waitcnt lgkmcnt(0)
	global_store_b32 v15, v16, s[6:7] offset:1024
.LBB1896_260:
	s_or_b32 exec_lo, exec_lo, s3
	v_or_b32_e32 v15, 0x200, v0
	s_mov_b32 s3, exec_lo
	s_delay_alu instid0(VALU_DEP_1)
	v_cmpx_gt_u32_e64 s4, v15
	s_cbranch_execz .LBB1896_269
; %bb.261:
	s_mov_b32 s5, exec_lo
	v_cmpx_le_u32_e64 v5, v15
	s_xor_b32 s5, exec_lo, s5
	s_cbranch_execz .LBB1896_267
; %bb.262:
	s_mov_b32 s6, exec_lo
	v_cmpx_le_u32_e64 v14, v15
	s_xor_b32 s6, exec_lo, s6
	s_cbranch_execz .LBB1896_264
; %bb.263:
	v_lshlrev_b32_e32 v15, 2, v0
	ds_load_b32 v17, v15 offset:2048
	v_add_co_u32 v15, vcc_lo, v7, v0
	v_add_co_ci_u32_e32 v16, vcc_lo, 0, v13, vcc_lo
	s_delay_alu instid0(VALU_DEP_1) | instskip(NEXT) | instid1(VALU_DEP_1)
	v_lshlrev_b64 v[15:16], 2, v[15:16]
	v_sub_co_u32 v15, vcc_lo, s1, v15
	s_delay_alu instid0(VALU_DEP_2)
	v_sub_co_ci_u32_e32 v16, vcc_lo, s0, v16, vcc_lo
	s_waitcnt lgkmcnt(0)
	global_store_b32 v[15:16], v17, off offset:-2048
.LBB1896_264:
	s_and_not1_saveexec_b32 s6, s6
	s_cbranch_execz .LBB1896_266
; %bb.265:
	v_lshlrev_b32_e32 v15, 2, v0
	v_readfirstlane_b32 s8, v9
	v_readfirstlane_b32 s9, v10
	ds_load_b32 v16, v15 offset:2048
	s_waitcnt lgkmcnt(0)
	global_store_b32 v15, v16, s[8:9] offset:2048
.LBB1896_266:
	s_or_b32 exec_lo, exec_lo, s6
.LBB1896_267:
	s_and_not1_saveexec_b32 s5, s5
	s_cbranch_execz .LBB1896_269
; %bb.268:
	v_lshlrev_b32_e32 v15, 2, v0
	v_readfirstlane_b32 s6, v11
	v_readfirstlane_b32 s7, v12
	ds_load_b32 v16, v15 offset:2048
	s_waitcnt lgkmcnt(0)
	global_store_b32 v15, v16, s[6:7] offset:2048
.LBB1896_269:
	;; [unrolled: 51-line block ×3, first 2 shown]
	s_or_b32 exec_lo, exec_lo, s3
	v_or_b32_e32 v15, 0x400, v0
	s_mov_b32 s3, exec_lo
	s_delay_alu instid0(VALU_DEP_1)
	v_cmpx_gt_u32_e64 s4, v15
	s_cbranch_execz .LBB1896_287
; %bb.279:
	s_mov_b32 s5, exec_lo
	v_cmpx_le_u32_e64 v5, v15
	s_xor_b32 s5, exec_lo, s5
	s_cbranch_execz .LBB1896_285
; %bb.280:
	s_mov_b32 s6, exec_lo
	v_cmpx_le_u32_e64 v14, v15
	s_xor_b32 s6, exec_lo, s6
	s_cbranch_execz .LBB1896_282
; %bb.281:
	v_lshlrev_b32_e32 v15, 2, v0
	ds_load_b32 v17, v15 offset:4096
	v_add_co_u32 v15, vcc_lo, v7, v0
	v_add_co_ci_u32_e32 v16, vcc_lo, 0, v13, vcc_lo
	s_delay_alu instid0(VALU_DEP_1) | instskip(NEXT) | instid1(VALU_DEP_1)
	v_lshlrev_b64 v[15:16], 2, v[15:16]
	v_sub_co_u32 v15, vcc_lo, s1, v15
	s_delay_alu instid0(VALU_DEP_2)
	v_sub_co_ci_u32_e32 v16, vcc_lo, s0, v16, vcc_lo
	s_waitcnt lgkmcnt(0)
	global_store_b32 v[15:16], v17, off offset:-4096
                                        ; implicit-def: $vgpr15
.LBB1896_282:
	s_and_not1_saveexec_b32 s6, s6
	s_cbranch_execz .LBB1896_284
; %bb.283:
	v_lshlrev_b32_e32 v16, 2, v0
	v_lshlrev_b32_e32 v15, 2, v15
	v_readfirstlane_b32 s8, v9
	v_readfirstlane_b32 s9, v10
	ds_load_b32 v16, v16 offset:4096
	s_waitcnt lgkmcnt(0)
	global_store_b32 v15, v16, s[8:9]
.LBB1896_284:
	s_or_b32 exec_lo, exec_lo, s6
                                        ; implicit-def: $vgpr15
.LBB1896_285:
	s_and_not1_saveexec_b32 s5, s5
	s_cbranch_execz .LBB1896_287
; %bb.286:
	v_lshlrev_b32_e32 v16, 2, v0
	v_lshlrev_b32_e32 v15, 2, v15
	v_readfirstlane_b32 s6, v11
	v_readfirstlane_b32 s7, v12
	ds_load_b32 v16, v16 offset:4096
	s_waitcnt lgkmcnt(0)
	global_store_b32 v15, v16, s[6:7]
.LBB1896_287:
	s_or_b32 exec_lo, exec_lo, s3
	v_or_b32_e32 v15, 0x500, v0
	s_mov_b32 s3, exec_lo
	s_delay_alu instid0(VALU_DEP_1)
	v_cmpx_gt_u32_e64 s4, v15
	s_cbranch_execz .LBB1896_296
; %bb.288:
	s_mov_b32 s5, exec_lo
	v_cmpx_le_u32_e64 v5, v15
	s_xor_b32 s5, exec_lo, s5
	s_cbranch_execz .LBB1896_294
; %bb.289:
	s_mov_b32 s6, exec_lo
	v_cmpx_le_u32_e64 v14, v15
	s_xor_b32 s6, exec_lo, s6
	s_cbranch_execz .LBB1896_291
; %bb.290:
	v_lshlrev_b32_e32 v16, 2, v0
	v_add_co_u32 v15, vcc_lo, v7, v15
	ds_load_b32 v17, v16 offset:5120
	v_add_co_ci_u32_e32 v16, vcc_lo, 0, v13, vcc_lo
	s_delay_alu instid0(VALU_DEP_1) | instskip(NEXT) | instid1(VALU_DEP_1)
	v_lshlrev_b64 v[15:16], 2, v[15:16]
	v_sub_co_u32 v15, vcc_lo, s1, v15
	s_delay_alu instid0(VALU_DEP_2)
	v_sub_co_ci_u32_e32 v16, vcc_lo, s0, v16, vcc_lo
	s_waitcnt lgkmcnt(0)
	global_store_b32 v[15:16], v17, off
                                        ; implicit-def: $vgpr15
.LBB1896_291:
	s_and_not1_saveexec_b32 s6, s6
	s_cbranch_execz .LBB1896_293
; %bb.292:
	v_lshlrev_b32_e32 v16, 2, v0
	v_lshlrev_b32_e32 v15, 2, v15
	v_readfirstlane_b32 s8, v9
	v_readfirstlane_b32 s9, v10
	ds_load_b32 v16, v16 offset:5120
	s_waitcnt lgkmcnt(0)
	global_store_b32 v15, v16, s[8:9]
.LBB1896_293:
	s_or_b32 exec_lo, exec_lo, s6
                                        ; implicit-def: $vgpr15
.LBB1896_294:
	s_and_not1_saveexec_b32 s5, s5
	s_cbranch_execz .LBB1896_296
; %bb.295:
	v_lshlrev_b32_e32 v16, 2, v0
	v_lshlrev_b32_e32 v15, 2, v15
	v_readfirstlane_b32 s6, v11
	v_readfirstlane_b32 s7, v12
	ds_load_b32 v16, v16 offset:5120
	s_waitcnt lgkmcnt(0)
	global_store_b32 v15, v16, s[6:7]
.LBB1896_296:
	s_or_b32 exec_lo, exec_lo, s3
	v_or_b32_e32 v15, 0x600, v0
	s_mov_b32 s3, exec_lo
	s_delay_alu instid0(VALU_DEP_1)
	v_cmpx_gt_u32_e64 s4, v15
	s_cbranch_execz .LBB1896_305
; %bb.297:
	s_mov_b32 s5, exec_lo
	v_cmpx_le_u32_e64 v5, v15
	s_xor_b32 s5, exec_lo, s5
	s_cbranch_execz .LBB1896_303
; %bb.298:
	s_mov_b32 s6, exec_lo
	v_cmpx_le_u32_e64 v14, v15
	s_xor_b32 s6, exec_lo, s6
	s_cbranch_execz .LBB1896_300
; %bb.299:
	v_lshlrev_b32_e32 v16, 2, v0
	v_add_co_u32 v15, vcc_lo, v7, v15
	ds_load_b32 v17, v16 offset:6144
	v_add_co_ci_u32_e32 v16, vcc_lo, 0, v13, vcc_lo
	s_delay_alu instid0(VALU_DEP_1) | instskip(NEXT) | instid1(VALU_DEP_1)
	v_lshlrev_b64 v[15:16], 2, v[15:16]
	v_sub_co_u32 v15, vcc_lo, s1, v15
	s_delay_alu instid0(VALU_DEP_2)
	v_sub_co_ci_u32_e32 v16, vcc_lo, s0, v16, vcc_lo
	s_waitcnt lgkmcnt(0)
	global_store_b32 v[15:16], v17, off
                                        ; implicit-def: $vgpr15
.LBB1896_300:
	s_and_not1_saveexec_b32 s6, s6
	s_cbranch_execz .LBB1896_302
; %bb.301:
	v_lshlrev_b32_e32 v16, 2, v0
	v_lshlrev_b32_e32 v15, 2, v15
	v_readfirstlane_b32 s8, v9
	v_readfirstlane_b32 s9, v10
	ds_load_b32 v16, v16 offset:6144
	s_waitcnt lgkmcnt(0)
	global_store_b32 v15, v16, s[8:9]
.LBB1896_302:
	s_or_b32 exec_lo, exec_lo, s6
                                        ; implicit-def: $vgpr15
.LBB1896_303:
	s_and_not1_saveexec_b32 s5, s5
	s_cbranch_execz .LBB1896_305
; %bb.304:
	v_lshlrev_b32_e32 v16, 2, v0
	v_lshlrev_b32_e32 v15, 2, v15
	v_readfirstlane_b32 s6, v11
	v_readfirstlane_b32 s7, v12
	ds_load_b32 v16, v16 offset:6144
	s_waitcnt lgkmcnt(0)
	global_store_b32 v15, v16, s[6:7]
.LBB1896_305:
	;; [unrolled: 55-line block ×7, first 2 shown]
	s_or_b32 exec_lo, exec_lo, s3
	v_or_b32_e32 v15, 0xc00, v0
	s_mov_b32 s3, exec_lo
	s_delay_alu instid0(VALU_DEP_1)
	v_cmpx_gt_u32_e64 s4, v15
	s_cbranch_execz .LBB1896_359
; %bb.351:
	s_mov_b32 s4, exec_lo
	v_cmpx_le_u32_e64 v5, v15
	s_xor_b32 s4, exec_lo, s4
	s_cbranch_execz .LBB1896_357
; %bb.352:
	s_mov_b32 s5, exec_lo
	v_cmpx_le_u32_e64 v14, v15
	s_xor_b32 s5, exec_lo, s5
	s_cbranch_execz .LBB1896_354
; %bb.353:
	v_lshlrev_b32_e32 v0, 2, v0
	v_add_co_u32 v9, vcc_lo, v7, v15
	v_add_co_ci_u32_e32 v10, vcc_lo, 0, v13, vcc_lo
	ds_load_b32 v0, v0 offset:12288
                                        ; implicit-def: $vgpr15
	v_lshlrev_b64 v[9:10], 2, v[9:10]
	s_delay_alu instid0(VALU_DEP_1) | instskip(NEXT) | instid1(VALU_DEP_2)
	v_sub_co_u32 v9, vcc_lo, s1, v9
	v_sub_co_ci_u32_e32 v10, vcc_lo, s0, v10, vcc_lo
	s_waitcnt lgkmcnt(0)
	global_store_b32 v[9:10], v0, off
                                        ; implicit-def: $vgpr0
                                        ; implicit-def: $vgpr9_vgpr10
.LBB1896_354:
	s_and_not1_saveexec_b32 s0, s5
	s_cbranch_execz .LBB1896_356
; %bb.355:
	v_lshlrev_b32_e32 v0, 2, v0
	v_lshlrev_b32_e32 v7, 2, v15
	v_readfirstlane_b32 s6, v9
	v_readfirstlane_b32 s7, v10
	ds_load_b32 v0, v0 offset:12288
	s_waitcnt lgkmcnt(0)
	global_store_b32 v7, v0, s[6:7]
.LBB1896_356:
	s_or_b32 exec_lo, exec_lo, s0
                                        ; implicit-def: $vgpr0
                                        ; implicit-def: $vgpr15
                                        ; implicit-def: $vgpr11_vgpr12
.LBB1896_357:
	s_and_not1_saveexec_b32 s0, s4
	s_cbranch_execz .LBB1896_359
; %bb.358:
	v_lshlrev_b32_e32 v0, 2, v0
	v_lshlrev_b32_e32 v7, 2, v15
	v_readfirstlane_b32 s0, v11
	v_readfirstlane_b32 s1, v12
	ds_load_b32 v0, v0 offset:12288
	s_waitcnt lgkmcnt(0)
	global_store_b32 v7, v0, s[0:1]
.LBB1896_359:
	s_or_b32 exec_lo, exec_lo, s3
	s_and_b32 s0, s2, s13
	s_delay_alu instid0(SALU_CYCLE_1)
	s_and_saveexec_b32 s1, s0
	s_cbranch_execz .LBB1896_136
.LBB1896_360:
	v_add_co_u32 v3, vcc_lo, v3, v6
	v_add_co_ci_u32_e32 v4, vcc_lo, 0, v4, vcc_lo
	v_add_co_u32 v0, vcc_lo, v1, v5
	v_add_co_ci_u32_e32 v1, vcc_lo, 0, v2, vcc_lo
	s_delay_alu instid0(VALU_DEP_4)
	v_add_co_u32 v2, vcc_lo, v3, v8
	v_mov_b32_e32 v7, 0
	v_add_co_ci_u32_e32 v3, vcc_lo, 0, v4, vcc_lo
	global_store_b128 v7, v[0:3], s[24:25]
	s_nop 0
	s_sendmsg sendmsg(MSG_DEALLOC_VGPRS)
	s_endpgm
.LBB1896_361:
	v_add_nc_u32_e32 v7, s6, v27
	s_add_i32 s8, s26, 32
	s_mov_b32 s9, 0
	v_dual_mov_b32 v9, 0 :: v_dual_add_nc_u32 v6, v26, v5
	s_lshl_b64 s[8:9], s[8:9], 4
	v_and_b32_e32 v24, 0xff0000, v7
	s_add_u32 s8, s36, s8
	s_addc_u32 s9, s37, s9
	v_and_b32_e32 v8, 0xff000000, v7
	s_delay_alu instid0(VALU_DEP_1) | instskip(SKIP_2) | instid1(VALU_DEP_1)
	v_or_b32_e32 v24, v24, v8
	v_dual_mov_b32 v8, 2 :: v_dual_and_b32 v25, 0xff00, v7
	v_and_b32_e32 v7, 0xff, v7
	v_or3_b32 v7, v24, v25, v7
	v_dual_mov_b32 v25, s9 :: v_dual_mov_b32 v24, s8
	;;#ASMSTART
	global_store_dwordx4 v[24:25], v[6:9] off	
s_waitcnt vmcnt(0)
	;;#ASMEND
	s_or_b32 exec_lo, exec_lo, s7
	s_and_saveexec_b32 s7, s3
	s_cbranch_execz .LBB1896_120
.LBB1896_362:
	v_mov_b32_e32 v6, s6
	v_add_nc_u32_e64 v7, 0x3400, 0
	ds_store_2addr_b32 v7, v5, v6 offset1:2
	ds_store_2addr_b32 v7, v26, v27 offset0:4 offset1:6
	s_or_b32 exec_lo, exec_lo, s7
	s_delay_alu instid0(SALU_CYCLE_1)
	s_and_b32 exec_lo, exec_lo, s2
	s_cbranch_execnz .LBB1896_121
	s_branch .LBB1896_122
	.section	.rodata,"a",@progbits
	.p2align	6, 0x0
	.amdhsa_kernel _ZN7rocprim17ROCPRIM_400000_NS6detail17trampoline_kernelINS0_13select_configILj256ELj13ELNS0_17block_load_methodE3ELS4_3ELS4_3ELNS0_20block_scan_algorithmE0ELj4294967295EEENS1_25partition_config_selectorILNS1_17partition_subalgoE4EjNS0_10empty_typeEbEEZZNS1_14partition_implILS8_4ELb0ES6_15HIP_vector_typeIjLj2EENS0_17counting_iteratorIjlEEPS9_SG_NS0_5tupleIJPjSI_NS0_16reverse_iteratorISI_EEEEENSH_IJSG_SG_SG_EEES9_SI_JZNS1_25segmented_radix_sort_implINS0_14default_configELb1EPK12hip_bfloat16PSP_PKlPlN2at6native12_GLOBAL__N_18offset_tEEE10hipError_tPvRmT1_PNSt15iterator_traitsIS13_E10value_typeET2_T3_PNS14_IS19_E10value_typeET4_jRbjT5_S1F_jjP12ihipStream_tbEUljE_ZNSN_ISO_Lb1ESR_SS_SU_SV_SZ_EES10_S11_S12_S13_S17_S18_S19_S1C_S1D_jS1E_jS1F_S1F_jjS1H_bEUljE0_EEES10_S11_S12_S19_S1D_S1F_T6_T7_T9_mT8_S1H_bDpT10_ENKUlT_T0_E_clISt17integral_constantIbLb1EES1V_EEDaS1Q_S1R_EUlS1Q_E_NS1_11comp_targetILNS1_3genE9ELNS1_11target_archE1100ELNS1_3gpuE3ELNS1_3repE0EEENS1_30default_config_static_selectorELNS0_4arch9wavefront6targetE0EEEvS13_
		.amdhsa_group_segment_fixed_size 13340
		.amdhsa_private_segment_fixed_size 0
		.amdhsa_kernarg_size 184
		.amdhsa_user_sgpr_count 15
		.amdhsa_user_sgpr_dispatch_ptr 0
		.amdhsa_user_sgpr_queue_ptr 0
		.amdhsa_user_sgpr_kernarg_segment_ptr 1
		.amdhsa_user_sgpr_dispatch_id 0
		.amdhsa_user_sgpr_private_segment_size 0
		.amdhsa_wavefront_size32 1
		.amdhsa_uses_dynamic_stack 0
		.amdhsa_enable_private_segment 0
		.amdhsa_system_sgpr_workgroup_id_x 1
		.amdhsa_system_sgpr_workgroup_id_y 0
		.amdhsa_system_sgpr_workgroup_id_z 0
		.amdhsa_system_sgpr_workgroup_info 0
		.amdhsa_system_vgpr_workitem_id 0
		.amdhsa_next_free_vgpr 103
		.amdhsa_next_free_sgpr 55
		.amdhsa_reserve_vcc 1
		.amdhsa_float_round_mode_32 0
		.amdhsa_float_round_mode_16_64 0
		.amdhsa_float_denorm_mode_32 3
		.amdhsa_float_denorm_mode_16_64 3
		.amdhsa_dx10_clamp 1
		.amdhsa_ieee_mode 1
		.amdhsa_fp16_overflow 0
		.amdhsa_workgroup_processor_mode 1
		.amdhsa_memory_ordered 1
		.amdhsa_forward_progress 0
		.amdhsa_shared_vgpr_count 0
		.amdhsa_exception_fp_ieee_invalid_op 0
		.amdhsa_exception_fp_denorm_src 0
		.amdhsa_exception_fp_ieee_div_zero 0
		.amdhsa_exception_fp_ieee_overflow 0
		.amdhsa_exception_fp_ieee_underflow 0
		.amdhsa_exception_fp_ieee_inexact 0
		.amdhsa_exception_int_div_zero 0
	.end_amdhsa_kernel
	.section	.text._ZN7rocprim17ROCPRIM_400000_NS6detail17trampoline_kernelINS0_13select_configILj256ELj13ELNS0_17block_load_methodE3ELS4_3ELS4_3ELNS0_20block_scan_algorithmE0ELj4294967295EEENS1_25partition_config_selectorILNS1_17partition_subalgoE4EjNS0_10empty_typeEbEEZZNS1_14partition_implILS8_4ELb0ES6_15HIP_vector_typeIjLj2EENS0_17counting_iteratorIjlEEPS9_SG_NS0_5tupleIJPjSI_NS0_16reverse_iteratorISI_EEEEENSH_IJSG_SG_SG_EEES9_SI_JZNS1_25segmented_radix_sort_implINS0_14default_configELb1EPK12hip_bfloat16PSP_PKlPlN2at6native12_GLOBAL__N_18offset_tEEE10hipError_tPvRmT1_PNSt15iterator_traitsIS13_E10value_typeET2_T3_PNS14_IS19_E10value_typeET4_jRbjT5_S1F_jjP12ihipStream_tbEUljE_ZNSN_ISO_Lb1ESR_SS_SU_SV_SZ_EES10_S11_S12_S13_S17_S18_S19_S1C_S1D_jS1E_jS1F_S1F_jjS1H_bEUljE0_EEES10_S11_S12_S19_S1D_S1F_T6_T7_T9_mT8_S1H_bDpT10_ENKUlT_T0_E_clISt17integral_constantIbLb1EES1V_EEDaS1Q_S1R_EUlS1Q_E_NS1_11comp_targetILNS1_3genE9ELNS1_11target_archE1100ELNS1_3gpuE3ELNS1_3repE0EEENS1_30default_config_static_selectorELNS0_4arch9wavefront6targetE0EEEvS13_,"axG",@progbits,_ZN7rocprim17ROCPRIM_400000_NS6detail17trampoline_kernelINS0_13select_configILj256ELj13ELNS0_17block_load_methodE3ELS4_3ELS4_3ELNS0_20block_scan_algorithmE0ELj4294967295EEENS1_25partition_config_selectorILNS1_17partition_subalgoE4EjNS0_10empty_typeEbEEZZNS1_14partition_implILS8_4ELb0ES6_15HIP_vector_typeIjLj2EENS0_17counting_iteratorIjlEEPS9_SG_NS0_5tupleIJPjSI_NS0_16reverse_iteratorISI_EEEEENSH_IJSG_SG_SG_EEES9_SI_JZNS1_25segmented_radix_sort_implINS0_14default_configELb1EPK12hip_bfloat16PSP_PKlPlN2at6native12_GLOBAL__N_18offset_tEEE10hipError_tPvRmT1_PNSt15iterator_traitsIS13_E10value_typeET2_T3_PNS14_IS19_E10value_typeET4_jRbjT5_S1F_jjP12ihipStream_tbEUljE_ZNSN_ISO_Lb1ESR_SS_SU_SV_SZ_EES10_S11_S12_S13_S17_S18_S19_S1C_S1D_jS1E_jS1F_S1F_jjS1H_bEUljE0_EEES10_S11_S12_S19_S1D_S1F_T6_T7_T9_mT8_S1H_bDpT10_ENKUlT_T0_E_clISt17integral_constantIbLb1EES1V_EEDaS1Q_S1R_EUlS1Q_E_NS1_11comp_targetILNS1_3genE9ELNS1_11target_archE1100ELNS1_3gpuE3ELNS1_3repE0EEENS1_30default_config_static_selectorELNS0_4arch9wavefront6targetE0EEEvS13_,comdat
.Lfunc_end1896:
	.size	_ZN7rocprim17ROCPRIM_400000_NS6detail17trampoline_kernelINS0_13select_configILj256ELj13ELNS0_17block_load_methodE3ELS4_3ELS4_3ELNS0_20block_scan_algorithmE0ELj4294967295EEENS1_25partition_config_selectorILNS1_17partition_subalgoE4EjNS0_10empty_typeEbEEZZNS1_14partition_implILS8_4ELb0ES6_15HIP_vector_typeIjLj2EENS0_17counting_iteratorIjlEEPS9_SG_NS0_5tupleIJPjSI_NS0_16reverse_iteratorISI_EEEEENSH_IJSG_SG_SG_EEES9_SI_JZNS1_25segmented_radix_sort_implINS0_14default_configELb1EPK12hip_bfloat16PSP_PKlPlN2at6native12_GLOBAL__N_18offset_tEEE10hipError_tPvRmT1_PNSt15iterator_traitsIS13_E10value_typeET2_T3_PNS14_IS19_E10value_typeET4_jRbjT5_S1F_jjP12ihipStream_tbEUljE_ZNSN_ISO_Lb1ESR_SS_SU_SV_SZ_EES10_S11_S12_S13_S17_S18_S19_S1C_S1D_jS1E_jS1F_S1F_jjS1H_bEUljE0_EEES10_S11_S12_S19_S1D_S1F_T6_T7_T9_mT8_S1H_bDpT10_ENKUlT_T0_E_clISt17integral_constantIbLb1EES1V_EEDaS1Q_S1R_EUlS1Q_E_NS1_11comp_targetILNS1_3genE9ELNS1_11target_archE1100ELNS1_3gpuE3ELNS1_3repE0EEENS1_30default_config_static_selectorELNS0_4arch9wavefront6targetE0EEEvS13_, .Lfunc_end1896-_ZN7rocprim17ROCPRIM_400000_NS6detail17trampoline_kernelINS0_13select_configILj256ELj13ELNS0_17block_load_methodE3ELS4_3ELS4_3ELNS0_20block_scan_algorithmE0ELj4294967295EEENS1_25partition_config_selectorILNS1_17partition_subalgoE4EjNS0_10empty_typeEbEEZZNS1_14partition_implILS8_4ELb0ES6_15HIP_vector_typeIjLj2EENS0_17counting_iteratorIjlEEPS9_SG_NS0_5tupleIJPjSI_NS0_16reverse_iteratorISI_EEEEENSH_IJSG_SG_SG_EEES9_SI_JZNS1_25segmented_radix_sort_implINS0_14default_configELb1EPK12hip_bfloat16PSP_PKlPlN2at6native12_GLOBAL__N_18offset_tEEE10hipError_tPvRmT1_PNSt15iterator_traitsIS13_E10value_typeET2_T3_PNS14_IS19_E10value_typeET4_jRbjT5_S1F_jjP12ihipStream_tbEUljE_ZNSN_ISO_Lb1ESR_SS_SU_SV_SZ_EES10_S11_S12_S13_S17_S18_S19_S1C_S1D_jS1E_jS1F_S1F_jjS1H_bEUljE0_EEES10_S11_S12_S19_S1D_S1F_T6_T7_T9_mT8_S1H_bDpT10_ENKUlT_T0_E_clISt17integral_constantIbLb1EES1V_EEDaS1Q_S1R_EUlS1Q_E_NS1_11comp_targetILNS1_3genE9ELNS1_11target_archE1100ELNS1_3gpuE3ELNS1_3repE0EEENS1_30default_config_static_selectorELNS0_4arch9wavefront6targetE0EEEvS13_
                                        ; -- End function
	.section	.AMDGPU.csdata,"",@progbits
; Kernel info:
; codeLenInByte = 15160
; NumSgprs: 57
; NumVgprs: 103
; ScratchSize: 0
; MemoryBound: 0
; FloatMode: 240
; IeeeMode: 1
; LDSByteSize: 13340 bytes/workgroup (compile time only)
; SGPRBlocks: 7
; VGPRBlocks: 12
; NumSGPRsForWavesPerEU: 57
; NumVGPRsForWavesPerEU: 103
; Occupancy: 12
; WaveLimiterHint : 1
; COMPUTE_PGM_RSRC2:SCRATCH_EN: 0
; COMPUTE_PGM_RSRC2:USER_SGPR: 15
; COMPUTE_PGM_RSRC2:TRAP_HANDLER: 0
; COMPUTE_PGM_RSRC2:TGID_X_EN: 1
; COMPUTE_PGM_RSRC2:TGID_Y_EN: 0
; COMPUTE_PGM_RSRC2:TGID_Z_EN: 0
; COMPUTE_PGM_RSRC2:TIDIG_COMP_CNT: 0
	.section	.text._ZN7rocprim17ROCPRIM_400000_NS6detail17trampoline_kernelINS0_13select_configILj256ELj13ELNS0_17block_load_methodE3ELS4_3ELS4_3ELNS0_20block_scan_algorithmE0ELj4294967295EEENS1_25partition_config_selectorILNS1_17partition_subalgoE4EjNS0_10empty_typeEbEEZZNS1_14partition_implILS8_4ELb0ES6_15HIP_vector_typeIjLj2EENS0_17counting_iteratorIjlEEPS9_SG_NS0_5tupleIJPjSI_NS0_16reverse_iteratorISI_EEEEENSH_IJSG_SG_SG_EEES9_SI_JZNS1_25segmented_radix_sort_implINS0_14default_configELb1EPK12hip_bfloat16PSP_PKlPlN2at6native12_GLOBAL__N_18offset_tEEE10hipError_tPvRmT1_PNSt15iterator_traitsIS13_E10value_typeET2_T3_PNS14_IS19_E10value_typeET4_jRbjT5_S1F_jjP12ihipStream_tbEUljE_ZNSN_ISO_Lb1ESR_SS_SU_SV_SZ_EES10_S11_S12_S13_S17_S18_S19_S1C_S1D_jS1E_jS1F_S1F_jjS1H_bEUljE0_EEES10_S11_S12_S19_S1D_S1F_T6_T7_T9_mT8_S1H_bDpT10_ENKUlT_T0_E_clISt17integral_constantIbLb1EES1V_EEDaS1Q_S1R_EUlS1Q_E_NS1_11comp_targetILNS1_3genE8ELNS1_11target_archE1030ELNS1_3gpuE2ELNS1_3repE0EEENS1_30default_config_static_selectorELNS0_4arch9wavefront6targetE0EEEvS13_,"axG",@progbits,_ZN7rocprim17ROCPRIM_400000_NS6detail17trampoline_kernelINS0_13select_configILj256ELj13ELNS0_17block_load_methodE3ELS4_3ELS4_3ELNS0_20block_scan_algorithmE0ELj4294967295EEENS1_25partition_config_selectorILNS1_17partition_subalgoE4EjNS0_10empty_typeEbEEZZNS1_14partition_implILS8_4ELb0ES6_15HIP_vector_typeIjLj2EENS0_17counting_iteratorIjlEEPS9_SG_NS0_5tupleIJPjSI_NS0_16reverse_iteratorISI_EEEEENSH_IJSG_SG_SG_EEES9_SI_JZNS1_25segmented_radix_sort_implINS0_14default_configELb1EPK12hip_bfloat16PSP_PKlPlN2at6native12_GLOBAL__N_18offset_tEEE10hipError_tPvRmT1_PNSt15iterator_traitsIS13_E10value_typeET2_T3_PNS14_IS19_E10value_typeET4_jRbjT5_S1F_jjP12ihipStream_tbEUljE_ZNSN_ISO_Lb1ESR_SS_SU_SV_SZ_EES10_S11_S12_S13_S17_S18_S19_S1C_S1D_jS1E_jS1F_S1F_jjS1H_bEUljE0_EEES10_S11_S12_S19_S1D_S1F_T6_T7_T9_mT8_S1H_bDpT10_ENKUlT_T0_E_clISt17integral_constantIbLb1EES1V_EEDaS1Q_S1R_EUlS1Q_E_NS1_11comp_targetILNS1_3genE8ELNS1_11target_archE1030ELNS1_3gpuE2ELNS1_3repE0EEENS1_30default_config_static_selectorELNS0_4arch9wavefront6targetE0EEEvS13_,comdat
	.globl	_ZN7rocprim17ROCPRIM_400000_NS6detail17trampoline_kernelINS0_13select_configILj256ELj13ELNS0_17block_load_methodE3ELS4_3ELS4_3ELNS0_20block_scan_algorithmE0ELj4294967295EEENS1_25partition_config_selectorILNS1_17partition_subalgoE4EjNS0_10empty_typeEbEEZZNS1_14partition_implILS8_4ELb0ES6_15HIP_vector_typeIjLj2EENS0_17counting_iteratorIjlEEPS9_SG_NS0_5tupleIJPjSI_NS0_16reverse_iteratorISI_EEEEENSH_IJSG_SG_SG_EEES9_SI_JZNS1_25segmented_radix_sort_implINS0_14default_configELb1EPK12hip_bfloat16PSP_PKlPlN2at6native12_GLOBAL__N_18offset_tEEE10hipError_tPvRmT1_PNSt15iterator_traitsIS13_E10value_typeET2_T3_PNS14_IS19_E10value_typeET4_jRbjT5_S1F_jjP12ihipStream_tbEUljE_ZNSN_ISO_Lb1ESR_SS_SU_SV_SZ_EES10_S11_S12_S13_S17_S18_S19_S1C_S1D_jS1E_jS1F_S1F_jjS1H_bEUljE0_EEES10_S11_S12_S19_S1D_S1F_T6_T7_T9_mT8_S1H_bDpT10_ENKUlT_T0_E_clISt17integral_constantIbLb1EES1V_EEDaS1Q_S1R_EUlS1Q_E_NS1_11comp_targetILNS1_3genE8ELNS1_11target_archE1030ELNS1_3gpuE2ELNS1_3repE0EEENS1_30default_config_static_selectorELNS0_4arch9wavefront6targetE0EEEvS13_ ; -- Begin function _ZN7rocprim17ROCPRIM_400000_NS6detail17trampoline_kernelINS0_13select_configILj256ELj13ELNS0_17block_load_methodE3ELS4_3ELS4_3ELNS0_20block_scan_algorithmE0ELj4294967295EEENS1_25partition_config_selectorILNS1_17partition_subalgoE4EjNS0_10empty_typeEbEEZZNS1_14partition_implILS8_4ELb0ES6_15HIP_vector_typeIjLj2EENS0_17counting_iteratorIjlEEPS9_SG_NS0_5tupleIJPjSI_NS0_16reverse_iteratorISI_EEEEENSH_IJSG_SG_SG_EEES9_SI_JZNS1_25segmented_radix_sort_implINS0_14default_configELb1EPK12hip_bfloat16PSP_PKlPlN2at6native12_GLOBAL__N_18offset_tEEE10hipError_tPvRmT1_PNSt15iterator_traitsIS13_E10value_typeET2_T3_PNS14_IS19_E10value_typeET4_jRbjT5_S1F_jjP12ihipStream_tbEUljE_ZNSN_ISO_Lb1ESR_SS_SU_SV_SZ_EES10_S11_S12_S13_S17_S18_S19_S1C_S1D_jS1E_jS1F_S1F_jjS1H_bEUljE0_EEES10_S11_S12_S19_S1D_S1F_T6_T7_T9_mT8_S1H_bDpT10_ENKUlT_T0_E_clISt17integral_constantIbLb1EES1V_EEDaS1Q_S1R_EUlS1Q_E_NS1_11comp_targetILNS1_3genE8ELNS1_11target_archE1030ELNS1_3gpuE2ELNS1_3repE0EEENS1_30default_config_static_selectorELNS0_4arch9wavefront6targetE0EEEvS13_
	.p2align	8
	.type	_ZN7rocprim17ROCPRIM_400000_NS6detail17trampoline_kernelINS0_13select_configILj256ELj13ELNS0_17block_load_methodE3ELS4_3ELS4_3ELNS0_20block_scan_algorithmE0ELj4294967295EEENS1_25partition_config_selectorILNS1_17partition_subalgoE4EjNS0_10empty_typeEbEEZZNS1_14partition_implILS8_4ELb0ES6_15HIP_vector_typeIjLj2EENS0_17counting_iteratorIjlEEPS9_SG_NS0_5tupleIJPjSI_NS0_16reverse_iteratorISI_EEEEENSH_IJSG_SG_SG_EEES9_SI_JZNS1_25segmented_radix_sort_implINS0_14default_configELb1EPK12hip_bfloat16PSP_PKlPlN2at6native12_GLOBAL__N_18offset_tEEE10hipError_tPvRmT1_PNSt15iterator_traitsIS13_E10value_typeET2_T3_PNS14_IS19_E10value_typeET4_jRbjT5_S1F_jjP12ihipStream_tbEUljE_ZNSN_ISO_Lb1ESR_SS_SU_SV_SZ_EES10_S11_S12_S13_S17_S18_S19_S1C_S1D_jS1E_jS1F_S1F_jjS1H_bEUljE0_EEES10_S11_S12_S19_S1D_S1F_T6_T7_T9_mT8_S1H_bDpT10_ENKUlT_T0_E_clISt17integral_constantIbLb1EES1V_EEDaS1Q_S1R_EUlS1Q_E_NS1_11comp_targetILNS1_3genE8ELNS1_11target_archE1030ELNS1_3gpuE2ELNS1_3repE0EEENS1_30default_config_static_selectorELNS0_4arch9wavefront6targetE0EEEvS13_,@function
_ZN7rocprim17ROCPRIM_400000_NS6detail17trampoline_kernelINS0_13select_configILj256ELj13ELNS0_17block_load_methodE3ELS4_3ELS4_3ELNS0_20block_scan_algorithmE0ELj4294967295EEENS1_25partition_config_selectorILNS1_17partition_subalgoE4EjNS0_10empty_typeEbEEZZNS1_14partition_implILS8_4ELb0ES6_15HIP_vector_typeIjLj2EENS0_17counting_iteratorIjlEEPS9_SG_NS0_5tupleIJPjSI_NS0_16reverse_iteratorISI_EEEEENSH_IJSG_SG_SG_EEES9_SI_JZNS1_25segmented_radix_sort_implINS0_14default_configELb1EPK12hip_bfloat16PSP_PKlPlN2at6native12_GLOBAL__N_18offset_tEEE10hipError_tPvRmT1_PNSt15iterator_traitsIS13_E10value_typeET2_T3_PNS14_IS19_E10value_typeET4_jRbjT5_S1F_jjP12ihipStream_tbEUljE_ZNSN_ISO_Lb1ESR_SS_SU_SV_SZ_EES10_S11_S12_S13_S17_S18_S19_S1C_S1D_jS1E_jS1F_S1F_jjS1H_bEUljE0_EEES10_S11_S12_S19_S1D_S1F_T6_T7_T9_mT8_S1H_bDpT10_ENKUlT_T0_E_clISt17integral_constantIbLb1EES1V_EEDaS1Q_S1R_EUlS1Q_E_NS1_11comp_targetILNS1_3genE8ELNS1_11target_archE1030ELNS1_3gpuE2ELNS1_3repE0EEENS1_30default_config_static_selectorELNS0_4arch9wavefront6targetE0EEEvS13_: ; @_ZN7rocprim17ROCPRIM_400000_NS6detail17trampoline_kernelINS0_13select_configILj256ELj13ELNS0_17block_load_methodE3ELS4_3ELS4_3ELNS0_20block_scan_algorithmE0ELj4294967295EEENS1_25partition_config_selectorILNS1_17partition_subalgoE4EjNS0_10empty_typeEbEEZZNS1_14partition_implILS8_4ELb0ES6_15HIP_vector_typeIjLj2EENS0_17counting_iteratorIjlEEPS9_SG_NS0_5tupleIJPjSI_NS0_16reverse_iteratorISI_EEEEENSH_IJSG_SG_SG_EEES9_SI_JZNS1_25segmented_radix_sort_implINS0_14default_configELb1EPK12hip_bfloat16PSP_PKlPlN2at6native12_GLOBAL__N_18offset_tEEE10hipError_tPvRmT1_PNSt15iterator_traitsIS13_E10value_typeET2_T3_PNS14_IS19_E10value_typeET4_jRbjT5_S1F_jjP12ihipStream_tbEUljE_ZNSN_ISO_Lb1ESR_SS_SU_SV_SZ_EES10_S11_S12_S13_S17_S18_S19_S1C_S1D_jS1E_jS1F_S1F_jjS1H_bEUljE0_EEES10_S11_S12_S19_S1D_S1F_T6_T7_T9_mT8_S1H_bDpT10_ENKUlT_T0_E_clISt17integral_constantIbLb1EES1V_EEDaS1Q_S1R_EUlS1Q_E_NS1_11comp_targetILNS1_3genE8ELNS1_11target_archE1030ELNS1_3gpuE2ELNS1_3repE0EEENS1_30default_config_static_selectorELNS0_4arch9wavefront6targetE0EEEvS13_
; %bb.0:
	.section	.rodata,"a",@progbits
	.p2align	6, 0x0
	.amdhsa_kernel _ZN7rocprim17ROCPRIM_400000_NS6detail17trampoline_kernelINS0_13select_configILj256ELj13ELNS0_17block_load_methodE3ELS4_3ELS4_3ELNS0_20block_scan_algorithmE0ELj4294967295EEENS1_25partition_config_selectorILNS1_17partition_subalgoE4EjNS0_10empty_typeEbEEZZNS1_14partition_implILS8_4ELb0ES6_15HIP_vector_typeIjLj2EENS0_17counting_iteratorIjlEEPS9_SG_NS0_5tupleIJPjSI_NS0_16reverse_iteratorISI_EEEEENSH_IJSG_SG_SG_EEES9_SI_JZNS1_25segmented_radix_sort_implINS0_14default_configELb1EPK12hip_bfloat16PSP_PKlPlN2at6native12_GLOBAL__N_18offset_tEEE10hipError_tPvRmT1_PNSt15iterator_traitsIS13_E10value_typeET2_T3_PNS14_IS19_E10value_typeET4_jRbjT5_S1F_jjP12ihipStream_tbEUljE_ZNSN_ISO_Lb1ESR_SS_SU_SV_SZ_EES10_S11_S12_S13_S17_S18_S19_S1C_S1D_jS1E_jS1F_S1F_jjS1H_bEUljE0_EEES10_S11_S12_S19_S1D_S1F_T6_T7_T9_mT8_S1H_bDpT10_ENKUlT_T0_E_clISt17integral_constantIbLb1EES1V_EEDaS1Q_S1R_EUlS1Q_E_NS1_11comp_targetILNS1_3genE8ELNS1_11target_archE1030ELNS1_3gpuE2ELNS1_3repE0EEENS1_30default_config_static_selectorELNS0_4arch9wavefront6targetE0EEEvS13_
		.amdhsa_group_segment_fixed_size 0
		.amdhsa_private_segment_fixed_size 0
		.amdhsa_kernarg_size 184
		.amdhsa_user_sgpr_count 15
		.amdhsa_user_sgpr_dispatch_ptr 0
		.amdhsa_user_sgpr_queue_ptr 0
		.amdhsa_user_sgpr_kernarg_segment_ptr 1
		.amdhsa_user_sgpr_dispatch_id 0
		.amdhsa_user_sgpr_private_segment_size 0
		.amdhsa_wavefront_size32 1
		.amdhsa_uses_dynamic_stack 0
		.amdhsa_enable_private_segment 0
		.amdhsa_system_sgpr_workgroup_id_x 1
		.amdhsa_system_sgpr_workgroup_id_y 0
		.amdhsa_system_sgpr_workgroup_id_z 0
		.amdhsa_system_sgpr_workgroup_info 0
		.amdhsa_system_vgpr_workitem_id 0
		.amdhsa_next_free_vgpr 1
		.amdhsa_next_free_sgpr 1
		.amdhsa_reserve_vcc 0
		.amdhsa_float_round_mode_32 0
		.amdhsa_float_round_mode_16_64 0
		.amdhsa_float_denorm_mode_32 3
		.amdhsa_float_denorm_mode_16_64 3
		.amdhsa_dx10_clamp 1
		.amdhsa_ieee_mode 1
		.amdhsa_fp16_overflow 0
		.amdhsa_workgroup_processor_mode 1
		.amdhsa_memory_ordered 1
		.amdhsa_forward_progress 0
		.amdhsa_shared_vgpr_count 0
		.amdhsa_exception_fp_ieee_invalid_op 0
		.amdhsa_exception_fp_denorm_src 0
		.amdhsa_exception_fp_ieee_div_zero 0
		.amdhsa_exception_fp_ieee_overflow 0
		.amdhsa_exception_fp_ieee_underflow 0
		.amdhsa_exception_fp_ieee_inexact 0
		.amdhsa_exception_int_div_zero 0
	.end_amdhsa_kernel
	.section	.text._ZN7rocprim17ROCPRIM_400000_NS6detail17trampoline_kernelINS0_13select_configILj256ELj13ELNS0_17block_load_methodE3ELS4_3ELS4_3ELNS0_20block_scan_algorithmE0ELj4294967295EEENS1_25partition_config_selectorILNS1_17partition_subalgoE4EjNS0_10empty_typeEbEEZZNS1_14partition_implILS8_4ELb0ES6_15HIP_vector_typeIjLj2EENS0_17counting_iteratorIjlEEPS9_SG_NS0_5tupleIJPjSI_NS0_16reverse_iteratorISI_EEEEENSH_IJSG_SG_SG_EEES9_SI_JZNS1_25segmented_radix_sort_implINS0_14default_configELb1EPK12hip_bfloat16PSP_PKlPlN2at6native12_GLOBAL__N_18offset_tEEE10hipError_tPvRmT1_PNSt15iterator_traitsIS13_E10value_typeET2_T3_PNS14_IS19_E10value_typeET4_jRbjT5_S1F_jjP12ihipStream_tbEUljE_ZNSN_ISO_Lb1ESR_SS_SU_SV_SZ_EES10_S11_S12_S13_S17_S18_S19_S1C_S1D_jS1E_jS1F_S1F_jjS1H_bEUljE0_EEES10_S11_S12_S19_S1D_S1F_T6_T7_T9_mT8_S1H_bDpT10_ENKUlT_T0_E_clISt17integral_constantIbLb1EES1V_EEDaS1Q_S1R_EUlS1Q_E_NS1_11comp_targetILNS1_3genE8ELNS1_11target_archE1030ELNS1_3gpuE2ELNS1_3repE0EEENS1_30default_config_static_selectorELNS0_4arch9wavefront6targetE0EEEvS13_,"axG",@progbits,_ZN7rocprim17ROCPRIM_400000_NS6detail17trampoline_kernelINS0_13select_configILj256ELj13ELNS0_17block_load_methodE3ELS4_3ELS4_3ELNS0_20block_scan_algorithmE0ELj4294967295EEENS1_25partition_config_selectorILNS1_17partition_subalgoE4EjNS0_10empty_typeEbEEZZNS1_14partition_implILS8_4ELb0ES6_15HIP_vector_typeIjLj2EENS0_17counting_iteratorIjlEEPS9_SG_NS0_5tupleIJPjSI_NS0_16reverse_iteratorISI_EEEEENSH_IJSG_SG_SG_EEES9_SI_JZNS1_25segmented_radix_sort_implINS0_14default_configELb1EPK12hip_bfloat16PSP_PKlPlN2at6native12_GLOBAL__N_18offset_tEEE10hipError_tPvRmT1_PNSt15iterator_traitsIS13_E10value_typeET2_T3_PNS14_IS19_E10value_typeET4_jRbjT5_S1F_jjP12ihipStream_tbEUljE_ZNSN_ISO_Lb1ESR_SS_SU_SV_SZ_EES10_S11_S12_S13_S17_S18_S19_S1C_S1D_jS1E_jS1F_S1F_jjS1H_bEUljE0_EEES10_S11_S12_S19_S1D_S1F_T6_T7_T9_mT8_S1H_bDpT10_ENKUlT_T0_E_clISt17integral_constantIbLb1EES1V_EEDaS1Q_S1R_EUlS1Q_E_NS1_11comp_targetILNS1_3genE8ELNS1_11target_archE1030ELNS1_3gpuE2ELNS1_3repE0EEENS1_30default_config_static_selectorELNS0_4arch9wavefront6targetE0EEEvS13_,comdat
.Lfunc_end1897:
	.size	_ZN7rocprim17ROCPRIM_400000_NS6detail17trampoline_kernelINS0_13select_configILj256ELj13ELNS0_17block_load_methodE3ELS4_3ELS4_3ELNS0_20block_scan_algorithmE0ELj4294967295EEENS1_25partition_config_selectorILNS1_17partition_subalgoE4EjNS0_10empty_typeEbEEZZNS1_14partition_implILS8_4ELb0ES6_15HIP_vector_typeIjLj2EENS0_17counting_iteratorIjlEEPS9_SG_NS0_5tupleIJPjSI_NS0_16reverse_iteratorISI_EEEEENSH_IJSG_SG_SG_EEES9_SI_JZNS1_25segmented_radix_sort_implINS0_14default_configELb1EPK12hip_bfloat16PSP_PKlPlN2at6native12_GLOBAL__N_18offset_tEEE10hipError_tPvRmT1_PNSt15iterator_traitsIS13_E10value_typeET2_T3_PNS14_IS19_E10value_typeET4_jRbjT5_S1F_jjP12ihipStream_tbEUljE_ZNSN_ISO_Lb1ESR_SS_SU_SV_SZ_EES10_S11_S12_S13_S17_S18_S19_S1C_S1D_jS1E_jS1F_S1F_jjS1H_bEUljE0_EEES10_S11_S12_S19_S1D_S1F_T6_T7_T9_mT8_S1H_bDpT10_ENKUlT_T0_E_clISt17integral_constantIbLb1EES1V_EEDaS1Q_S1R_EUlS1Q_E_NS1_11comp_targetILNS1_3genE8ELNS1_11target_archE1030ELNS1_3gpuE2ELNS1_3repE0EEENS1_30default_config_static_selectorELNS0_4arch9wavefront6targetE0EEEvS13_, .Lfunc_end1897-_ZN7rocprim17ROCPRIM_400000_NS6detail17trampoline_kernelINS0_13select_configILj256ELj13ELNS0_17block_load_methodE3ELS4_3ELS4_3ELNS0_20block_scan_algorithmE0ELj4294967295EEENS1_25partition_config_selectorILNS1_17partition_subalgoE4EjNS0_10empty_typeEbEEZZNS1_14partition_implILS8_4ELb0ES6_15HIP_vector_typeIjLj2EENS0_17counting_iteratorIjlEEPS9_SG_NS0_5tupleIJPjSI_NS0_16reverse_iteratorISI_EEEEENSH_IJSG_SG_SG_EEES9_SI_JZNS1_25segmented_radix_sort_implINS0_14default_configELb1EPK12hip_bfloat16PSP_PKlPlN2at6native12_GLOBAL__N_18offset_tEEE10hipError_tPvRmT1_PNSt15iterator_traitsIS13_E10value_typeET2_T3_PNS14_IS19_E10value_typeET4_jRbjT5_S1F_jjP12ihipStream_tbEUljE_ZNSN_ISO_Lb1ESR_SS_SU_SV_SZ_EES10_S11_S12_S13_S17_S18_S19_S1C_S1D_jS1E_jS1F_S1F_jjS1H_bEUljE0_EEES10_S11_S12_S19_S1D_S1F_T6_T7_T9_mT8_S1H_bDpT10_ENKUlT_T0_E_clISt17integral_constantIbLb1EES1V_EEDaS1Q_S1R_EUlS1Q_E_NS1_11comp_targetILNS1_3genE8ELNS1_11target_archE1030ELNS1_3gpuE2ELNS1_3repE0EEENS1_30default_config_static_selectorELNS0_4arch9wavefront6targetE0EEEvS13_
                                        ; -- End function
	.section	.AMDGPU.csdata,"",@progbits
; Kernel info:
; codeLenInByte = 0
; NumSgprs: 0
; NumVgprs: 0
; ScratchSize: 0
; MemoryBound: 0
; FloatMode: 240
; IeeeMode: 1
; LDSByteSize: 0 bytes/workgroup (compile time only)
; SGPRBlocks: 0
; VGPRBlocks: 0
; NumSGPRsForWavesPerEU: 1
; NumVGPRsForWavesPerEU: 1
; Occupancy: 16
; WaveLimiterHint : 0
; COMPUTE_PGM_RSRC2:SCRATCH_EN: 0
; COMPUTE_PGM_RSRC2:USER_SGPR: 15
; COMPUTE_PGM_RSRC2:TRAP_HANDLER: 0
; COMPUTE_PGM_RSRC2:TGID_X_EN: 1
; COMPUTE_PGM_RSRC2:TGID_Y_EN: 0
; COMPUTE_PGM_RSRC2:TGID_Z_EN: 0
; COMPUTE_PGM_RSRC2:TIDIG_COMP_CNT: 0
	.section	.text._ZN7rocprim17ROCPRIM_400000_NS6detail17trampoline_kernelINS0_13select_configILj256ELj13ELNS0_17block_load_methodE3ELS4_3ELS4_3ELNS0_20block_scan_algorithmE0ELj4294967295EEENS1_25partition_config_selectorILNS1_17partition_subalgoE4EjNS0_10empty_typeEbEEZZNS1_14partition_implILS8_4ELb0ES6_15HIP_vector_typeIjLj2EENS0_17counting_iteratorIjlEEPS9_SG_NS0_5tupleIJPjSI_NS0_16reverse_iteratorISI_EEEEENSH_IJSG_SG_SG_EEES9_SI_JZNS1_25segmented_radix_sort_implINS0_14default_configELb1EPK12hip_bfloat16PSP_PKlPlN2at6native12_GLOBAL__N_18offset_tEEE10hipError_tPvRmT1_PNSt15iterator_traitsIS13_E10value_typeET2_T3_PNS14_IS19_E10value_typeET4_jRbjT5_S1F_jjP12ihipStream_tbEUljE_ZNSN_ISO_Lb1ESR_SS_SU_SV_SZ_EES10_S11_S12_S13_S17_S18_S19_S1C_S1D_jS1E_jS1F_S1F_jjS1H_bEUljE0_EEES10_S11_S12_S19_S1D_S1F_T6_T7_T9_mT8_S1H_bDpT10_ENKUlT_T0_E_clISt17integral_constantIbLb1EES1U_IbLb0EEEEDaS1Q_S1R_EUlS1Q_E_NS1_11comp_targetILNS1_3genE0ELNS1_11target_archE4294967295ELNS1_3gpuE0ELNS1_3repE0EEENS1_30default_config_static_selectorELNS0_4arch9wavefront6targetE0EEEvS13_,"axG",@progbits,_ZN7rocprim17ROCPRIM_400000_NS6detail17trampoline_kernelINS0_13select_configILj256ELj13ELNS0_17block_load_methodE3ELS4_3ELS4_3ELNS0_20block_scan_algorithmE0ELj4294967295EEENS1_25partition_config_selectorILNS1_17partition_subalgoE4EjNS0_10empty_typeEbEEZZNS1_14partition_implILS8_4ELb0ES6_15HIP_vector_typeIjLj2EENS0_17counting_iteratorIjlEEPS9_SG_NS0_5tupleIJPjSI_NS0_16reverse_iteratorISI_EEEEENSH_IJSG_SG_SG_EEES9_SI_JZNS1_25segmented_radix_sort_implINS0_14default_configELb1EPK12hip_bfloat16PSP_PKlPlN2at6native12_GLOBAL__N_18offset_tEEE10hipError_tPvRmT1_PNSt15iterator_traitsIS13_E10value_typeET2_T3_PNS14_IS19_E10value_typeET4_jRbjT5_S1F_jjP12ihipStream_tbEUljE_ZNSN_ISO_Lb1ESR_SS_SU_SV_SZ_EES10_S11_S12_S13_S17_S18_S19_S1C_S1D_jS1E_jS1F_S1F_jjS1H_bEUljE0_EEES10_S11_S12_S19_S1D_S1F_T6_T7_T9_mT8_S1H_bDpT10_ENKUlT_T0_E_clISt17integral_constantIbLb1EES1U_IbLb0EEEEDaS1Q_S1R_EUlS1Q_E_NS1_11comp_targetILNS1_3genE0ELNS1_11target_archE4294967295ELNS1_3gpuE0ELNS1_3repE0EEENS1_30default_config_static_selectorELNS0_4arch9wavefront6targetE0EEEvS13_,comdat
	.globl	_ZN7rocprim17ROCPRIM_400000_NS6detail17trampoline_kernelINS0_13select_configILj256ELj13ELNS0_17block_load_methodE3ELS4_3ELS4_3ELNS0_20block_scan_algorithmE0ELj4294967295EEENS1_25partition_config_selectorILNS1_17partition_subalgoE4EjNS0_10empty_typeEbEEZZNS1_14partition_implILS8_4ELb0ES6_15HIP_vector_typeIjLj2EENS0_17counting_iteratorIjlEEPS9_SG_NS0_5tupleIJPjSI_NS0_16reverse_iteratorISI_EEEEENSH_IJSG_SG_SG_EEES9_SI_JZNS1_25segmented_radix_sort_implINS0_14default_configELb1EPK12hip_bfloat16PSP_PKlPlN2at6native12_GLOBAL__N_18offset_tEEE10hipError_tPvRmT1_PNSt15iterator_traitsIS13_E10value_typeET2_T3_PNS14_IS19_E10value_typeET4_jRbjT5_S1F_jjP12ihipStream_tbEUljE_ZNSN_ISO_Lb1ESR_SS_SU_SV_SZ_EES10_S11_S12_S13_S17_S18_S19_S1C_S1D_jS1E_jS1F_S1F_jjS1H_bEUljE0_EEES10_S11_S12_S19_S1D_S1F_T6_T7_T9_mT8_S1H_bDpT10_ENKUlT_T0_E_clISt17integral_constantIbLb1EES1U_IbLb0EEEEDaS1Q_S1R_EUlS1Q_E_NS1_11comp_targetILNS1_3genE0ELNS1_11target_archE4294967295ELNS1_3gpuE0ELNS1_3repE0EEENS1_30default_config_static_selectorELNS0_4arch9wavefront6targetE0EEEvS13_ ; -- Begin function _ZN7rocprim17ROCPRIM_400000_NS6detail17trampoline_kernelINS0_13select_configILj256ELj13ELNS0_17block_load_methodE3ELS4_3ELS4_3ELNS0_20block_scan_algorithmE0ELj4294967295EEENS1_25partition_config_selectorILNS1_17partition_subalgoE4EjNS0_10empty_typeEbEEZZNS1_14partition_implILS8_4ELb0ES6_15HIP_vector_typeIjLj2EENS0_17counting_iteratorIjlEEPS9_SG_NS0_5tupleIJPjSI_NS0_16reverse_iteratorISI_EEEEENSH_IJSG_SG_SG_EEES9_SI_JZNS1_25segmented_radix_sort_implINS0_14default_configELb1EPK12hip_bfloat16PSP_PKlPlN2at6native12_GLOBAL__N_18offset_tEEE10hipError_tPvRmT1_PNSt15iterator_traitsIS13_E10value_typeET2_T3_PNS14_IS19_E10value_typeET4_jRbjT5_S1F_jjP12ihipStream_tbEUljE_ZNSN_ISO_Lb1ESR_SS_SU_SV_SZ_EES10_S11_S12_S13_S17_S18_S19_S1C_S1D_jS1E_jS1F_S1F_jjS1H_bEUljE0_EEES10_S11_S12_S19_S1D_S1F_T6_T7_T9_mT8_S1H_bDpT10_ENKUlT_T0_E_clISt17integral_constantIbLb1EES1U_IbLb0EEEEDaS1Q_S1R_EUlS1Q_E_NS1_11comp_targetILNS1_3genE0ELNS1_11target_archE4294967295ELNS1_3gpuE0ELNS1_3repE0EEENS1_30default_config_static_selectorELNS0_4arch9wavefront6targetE0EEEvS13_
	.p2align	8
	.type	_ZN7rocprim17ROCPRIM_400000_NS6detail17trampoline_kernelINS0_13select_configILj256ELj13ELNS0_17block_load_methodE3ELS4_3ELS4_3ELNS0_20block_scan_algorithmE0ELj4294967295EEENS1_25partition_config_selectorILNS1_17partition_subalgoE4EjNS0_10empty_typeEbEEZZNS1_14partition_implILS8_4ELb0ES6_15HIP_vector_typeIjLj2EENS0_17counting_iteratorIjlEEPS9_SG_NS0_5tupleIJPjSI_NS0_16reverse_iteratorISI_EEEEENSH_IJSG_SG_SG_EEES9_SI_JZNS1_25segmented_radix_sort_implINS0_14default_configELb1EPK12hip_bfloat16PSP_PKlPlN2at6native12_GLOBAL__N_18offset_tEEE10hipError_tPvRmT1_PNSt15iterator_traitsIS13_E10value_typeET2_T3_PNS14_IS19_E10value_typeET4_jRbjT5_S1F_jjP12ihipStream_tbEUljE_ZNSN_ISO_Lb1ESR_SS_SU_SV_SZ_EES10_S11_S12_S13_S17_S18_S19_S1C_S1D_jS1E_jS1F_S1F_jjS1H_bEUljE0_EEES10_S11_S12_S19_S1D_S1F_T6_T7_T9_mT8_S1H_bDpT10_ENKUlT_T0_E_clISt17integral_constantIbLb1EES1U_IbLb0EEEEDaS1Q_S1R_EUlS1Q_E_NS1_11comp_targetILNS1_3genE0ELNS1_11target_archE4294967295ELNS1_3gpuE0ELNS1_3repE0EEENS1_30default_config_static_selectorELNS0_4arch9wavefront6targetE0EEEvS13_,@function
_ZN7rocprim17ROCPRIM_400000_NS6detail17trampoline_kernelINS0_13select_configILj256ELj13ELNS0_17block_load_methodE3ELS4_3ELS4_3ELNS0_20block_scan_algorithmE0ELj4294967295EEENS1_25partition_config_selectorILNS1_17partition_subalgoE4EjNS0_10empty_typeEbEEZZNS1_14partition_implILS8_4ELb0ES6_15HIP_vector_typeIjLj2EENS0_17counting_iteratorIjlEEPS9_SG_NS0_5tupleIJPjSI_NS0_16reverse_iteratorISI_EEEEENSH_IJSG_SG_SG_EEES9_SI_JZNS1_25segmented_radix_sort_implINS0_14default_configELb1EPK12hip_bfloat16PSP_PKlPlN2at6native12_GLOBAL__N_18offset_tEEE10hipError_tPvRmT1_PNSt15iterator_traitsIS13_E10value_typeET2_T3_PNS14_IS19_E10value_typeET4_jRbjT5_S1F_jjP12ihipStream_tbEUljE_ZNSN_ISO_Lb1ESR_SS_SU_SV_SZ_EES10_S11_S12_S13_S17_S18_S19_S1C_S1D_jS1E_jS1F_S1F_jjS1H_bEUljE0_EEES10_S11_S12_S19_S1D_S1F_T6_T7_T9_mT8_S1H_bDpT10_ENKUlT_T0_E_clISt17integral_constantIbLb1EES1U_IbLb0EEEEDaS1Q_S1R_EUlS1Q_E_NS1_11comp_targetILNS1_3genE0ELNS1_11target_archE4294967295ELNS1_3gpuE0ELNS1_3repE0EEENS1_30default_config_static_selectorELNS0_4arch9wavefront6targetE0EEEvS13_: ; @_ZN7rocprim17ROCPRIM_400000_NS6detail17trampoline_kernelINS0_13select_configILj256ELj13ELNS0_17block_load_methodE3ELS4_3ELS4_3ELNS0_20block_scan_algorithmE0ELj4294967295EEENS1_25partition_config_selectorILNS1_17partition_subalgoE4EjNS0_10empty_typeEbEEZZNS1_14partition_implILS8_4ELb0ES6_15HIP_vector_typeIjLj2EENS0_17counting_iteratorIjlEEPS9_SG_NS0_5tupleIJPjSI_NS0_16reverse_iteratorISI_EEEEENSH_IJSG_SG_SG_EEES9_SI_JZNS1_25segmented_radix_sort_implINS0_14default_configELb1EPK12hip_bfloat16PSP_PKlPlN2at6native12_GLOBAL__N_18offset_tEEE10hipError_tPvRmT1_PNSt15iterator_traitsIS13_E10value_typeET2_T3_PNS14_IS19_E10value_typeET4_jRbjT5_S1F_jjP12ihipStream_tbEUljE_ZNSN_ISO_Lb1ESR_SS_SU_SV_SZ_EES10_S11_S12_S13_S17_S18_S19_S1C_S1D_jS1E_jS1F_S1F_jjS1H_bEUljE0_EEES10_S11_S12_S19_S1D_S1F_T6_T7_T9_mT8_S1H_bDpT10_ENKUlT_T0_E_clISt17integral_constantIbLb1EES1U_IbLb0EEEEDaS1Q_S1R_EUlS1Q_E_NS1_11comp_targetILNS1_3genE0ELNS1_11target_archE4294967295ELNS1_3gpuE0ELNS1_3repE0EEENS1_30default_config_static_selectorELNS0_4arch9wavefront6targetE0EEEvS13_
; %bb.0:
	.section	.rodata,"a",@progbits
	.p2align	6, 0x0
	.amdhsa_kernel _ZN7rocprim17ROCPRIM_400000_NS6detail17trampoline_kernelINS0_13select_configILj256ELj13ELNS0_17block_load_methodE3ELS4_3ELS4_3ELNS0_20block_scan_algorithmE0ELj4294967295EEENS1_25partition_config_selectorILNS1_17partition_subalgoE4EjNS0_10empty_typeEbEEZZNS1_14partition_implILS8_4ELb0ES6_15HIP_vector_typeIjLj2EENS0_17counting_iteratorIjlEEPS9_SG_NS0_5tupleIJPjSI_NS0_16reverse_iteratorISI_EEEEENSH_IJSG_SG_SG_EEES9_SI_JZNS1_25segmented_radix_sort_implINS0_14default_configELb1EPK12hip_bfloat16PSP_PKlPlN2at6native12_GLOBAL__N_18offset_tEEE10hipError_tPvRmT1_PNSt15iterator_traitsIS13_E10value_typeET2_T3_PNS14_IS19_E10value_typeET4_jRbjT5_S1F_jjP12ihipStream_tbEUljE_ZNSN_ISO_Lb1ESR_SS_SU_SV_SZ_EES10_S11_S12_S13_S17_S18_S19_S1C_S1D_jS1E_jS1F_S1F_jjS1H_bEUljE0_EEES10_S11_S12_S19_S1D_S1F_T6_T7_T9_mT8_S1H_bDpT10_ENKUlT_T0_E_clISt17integral_constantIbLb1EES1U_IbLb0EEEEDaS1Q_S1R_EUlS1Q_E_NS1_11comp_targetILNS1_3genE0ELNS1_11target_archE4294967295ELNS1_3gpuE0ELNS1_3repE0EEENS1_30default_config_static_selectorELNS0_4arch9wavefront6targetE0EEEvS13_
		.amdhsa_group_segment_fixed_size 0
		.amdhsa_private_segment_fixed_size 0
		.amdhsa_kernarg_size 176
		.amdhsa_user_sgpr_count 15
		.amdhsa_user_sgpr_dispatch_ptr 0
		.amdhsa_user_sgpr_queue_ptr 0
		.amdhsa_user_sgpr_kernarg_segment_ptr 1
		.amdhsa_user_sgpr_dispatch_id 0
		.amdhsa_user_sgpr_private_segment_size 0
		.amdhsa_wavefront_size32 1
		.amdhsa_uses_dynamic_stack 0
		.amdhsa_enable_private_segment 0
		.amdhsa_system_sgpr_workgroup_id_x 1
		.amdhsa_system_sgpr_workgroup_id_y 0
		.amdhsa_system_sgpr_workgroup_id_z 0
		.amdhsa_system_sgpr_workgroup_info 0
		.amdhsa_system_vgpr_workitem_id 0
		.amdhsa_next_free_vgpr 1
		.amdhsa_next_free_sgpr 1
		.amdhsa_reserve_vcc 0
		.amdhsa_float_round_mode_32 0
		.amdhsa_float_round_mode_16_64 0
		.amdhsa_float_denorm_mode_32 3
		.amdhsa_float_denorm_mode_16_64 3
		.amdhsa_dx10_clamp 1
		.amdhsa_ieee_mode 1
		.amdhsa_fp16_overflow 0
		.amdhsa_workgroup_processor_mode 1
		.amdhsa_memory_ordered 1
		.amdhsa_forward_progress 0
		.amdhsa_shared_vgpr_count 0
		.amdhsa_exception_fp_ieee_invalid_op 0
		.amdhsa_exception_fp_denorm_src 0
		.amdhsa_exception_fp_ieee_div_zero 0
		.amdhsa_exception_fp_ieee_overflow 0
		.amdhsa_exception_fp_ieee_underflow 0
		.amdhsa_exception_fp_ieee_inexact 0
		.amdhsa_exception_int_div_zero 0
	.end_amdhsa_kernel
	.section	.text._ZN7rocprim17ROCPRIM_400000_NS6detail17trampoline_kernelINS0_13select_configILj256ELj13ELNS0_17block_load_methodE3ELS4_3ELS4_3ELNS0_20block_scan_algorithmE0ELj4294967295EEENS1_25partition_config_selectorILNS1_17partition_subalgoE4EjNS0_10empty_typeEbEEZZNS1_14partition_implILS8_4ELb0ES6_15HIP_vector_typeIjLj2EENS0_17counting_iteratorIjlEEPS9_SG_NS0_5tupleIJPjSI_NS0_16reverse_iteratorISI_EEEEENSH_IJSG_SG_SG_EEES9_SI_JZNS1_25segmented_radix_sort_implINS0_14default_configELb1EPK12hip_bfloat16PSP_PKlPlN2at6native12_GLOBAL__N_18offset_tEEE10hipError_tPvRmT1_PNSt15iterator_traitsIS13_E10value_typeET2_T3_PNS14_IS19_E10value_typeET4_jRbjT5_S1F_jjP12ihipStream_tbEUljE_ZNSN_ISO_Lb1ESR_SS_SU_SV_SZ_EES10_S11_S12_S13_S17_S18_S19_S1C_S1D_jS1E_jS1F_S1F_jjS1H_bEUljE0_EEES10_S11_S12_S19_S1D_S1F_T6_T7_T9_mT8_S1H_bDpT10_ENKUlT_T0_E_clISt17integral_constantIbLb1EES1U_IbLb0EEEEDaS1Q_S1R_EUlS1Q_E_NS1_11comp_targetILNS1_3genE0ELNS1_11target_archE4294967295ELNS1_3gpuE0ELNS1_3repE0EEENS1_30default_config_static_selectorELNS0_4arch9wavefront6targetE0EEEvS13_,"axG",@progbits,_ZN7rocprim17ROCPRIM_400000_NS6detail17trampoline_kernelINS0_13select_configILj256ELj13ELNS0_17block_load_methodE3ELS4_3ELS4_3ELNS0_20block_scan_algorithmE0ELj4294967295EEENS1_25partition_config_selectorILNS1_17partition_subalgoE4EjNS0_10empty_typeEbEEZZNS1_14partition_implILS8_4ELb0ES6_15HIP_vector_typeIjLj2EENS0_17counting_iteratorIjlEEPS9_SG_NS0_5tupleIJPjSI_NS0_16reverse_iteratorISI_EEEEENSH_IJSG_SG_SG_EEES9_SI_JZNS1_25segmented_radix_sort_implINS0_14default_configELb1EPK12hip_bfloat16PSP_PKlPlN2at6native12_GLOBAL__N_18offset_tEEE10hipError_tPvRmT1_PNSt15iterator_traitsIS13_E10value_typeET2_T3_PNS14_IS19_E10value_typeET4_jRbjT5_S1F_jjP12ihipStream_tbEUljE_ZNSN_ISO_Lb1ESR_SS_SU_SV_SZ_EES10_S11_S12_S13_S17_S18_S19_S1C_S1D_jS1E_jS1F_S1F_jjS1H_bEUljE0_EEES10_S11_S12_S19_S1D_S1F_T6_T7_T9_mT8_S1H_bDpT10_ENKUlT_T0_E_clISt17integral_constantIbLb1EES1U_IbLb0EEEEDaS1Q_S1R_EUlS1Q_E_NS1_11comp_targetILNS1_3genE0ELNS1_11target_archE4294967295ELNS1_3gpuE0ELNS1_3repE0EEENS1_30default_config_static_selectorELNS0_4arch9wavefront6targetE0EEEvS13_,comdat
.Lfunc_end1898:
	.size	_ZN7rocprim17ROCPRIM_400000_NS6detail17trampoline_kernelINS0_13select_configILj256ELj13ELNS0_17block_load_methodE3ELS4_3ELS4_3ELNS0_20block_scan_algorithmE0ELj4294967295EEENS1_25partition_config_selectorILNS1_17partition_subalgoE4EjNS0_10empty_typeEbEEZZNS1_14partition_implILS8_4ELb0ES6_15HIP_vector_typeIjLj2EENS0_17counting_iteratorIjlEEPS9_SG_NS0_5tupleIJPjSI_NS0_16reverse_iteratorISI_EEEEENSH_IJSG_SG_SG_EEES9_SI_JZNS1_25segmented_radix_sort_implINS0_14default_configELb1EPK12hip_bfloat16PSP_PKlPlN2at6native12_GLOBAL__N_18offset_tEEE10hipError_tPvRmT1_PNSt15iterator_traitsIS13_E10value_typeET2_T3_PNS14_IS19_E10value_typeET4_jRbjT5_S1F_jjP12ihipStream_tbEUljE_ZNSN_ISO_Lb1ESR_SS_SU_SV_SZ_EES10_S11_S12_S13_S17_S18_S19_S1C_S1D_jS1E_jS1F_S1F_jjS1H_bEUljE0_EEES10_S11_S12_S19_S1D_S1F_T6_T7_T9_mT8_S1H_bDpT10_ENKUlT_T0_E_clISt17integral_constantIbLb1EES1U_IbLb0EEEEDaS1Q_S1R_EUlS1Q_E_NS1_11comp_targetILNS1_3genE0ELNS1_11target_archE4294967295ELNS1_3gpuE0ELNS1_3repE0EEENS1_30default_config_static_selectorELNS0_4arch9wavefront6targetE0EEEvS13_, .Lfunc_end1898-_ZN7rocprim17ROCPRIM_400000_NS6detail17trampoline_kernelINS0_13select_configILj256ELj13ELNS0_17block_load_methodE3ELS4_3ELS4_3ELNS0_20block_scan_algorithmE0ELj4294967295EEENS1_25partition_config_selectorILNS1_17partition_subalgoE4EjNS0_10empty_typeEbEEZZNS1_14partition_implILS8_4ELb0ES6_15HIP_vector_typeIjLj2EENS0_17counting_iteratorIjlEEPS9_SG_NS0_5tupleIJPjSI_NS0_16reverse_iteratorISI_EEEEENSH_IJSG_SG_SG_EEES9_SI_JZNS1_25segmented_radix_sort_implINS0_14default_configELb1EPK12hip_bfloat16PSP_PKlPlN2at6native12_GLOBAL__N_18offset_tEEE10hipError_tPvRmT1_PNSt15iterator_traitsIS13_E10value_typeET2_T3_PNS14_IS19_E10value_typeET4_jRbjT5_S1F_jjP12ihipStream_tbEUljE_ZNSN_ISO_Lb1ESR_SS_SU_SV_SZ_EES10_S11_S12_S13_S17_S18_S19_S1C_S1D_jS1E_jS1F_S1F_jjS1H_bEUljE0_EEES10_S11_S12_S19_S1D_S1F_T6_T7_T9_mT8_S1H_bDpT10_ENKUlT_T0_E_clISt17integral_constantIbLb1EES1U_IbLb0EEEEDaS1Q_S1R_EUlS1Q_E_NS1_11comp_targetILNS1_3genE0ELNS1_11target_archE4294967295ELNS1_3gpuE0ELNS1_3repE0EEENS1_30default_config_static_selectorELNS0_4arch9wavefront6targetE0EEEvS13_
                                        ; -- End function
	.section	.AMDGPU.csdata,"",@progbits
; Kernel info:
; codeLenInByte = 0
; NumSgprs: 0
; NumVgprs: 0
; ScratchSize: 0
; MemoryBound: 0
; FloatMode: 240
; IeeeMode: 1
; LDSByteSize: 0 bytes/workgroup (compile time only)
; SGPRBlocks: 0
; VGPRBlocks: 0
; NumSGPRsForWavesPerEU: 1
; NumVGPRsForWavesPerEU: 1
; Occupancy: 16
; WaveLimiterHint : 0
; COMPUTE_PGM_RSRC2:SCRATCH_EN: 0
; COMPUTE_PGM_RSRC2:USER_SGPR: 15
; COMPUTE_PGM_RSRC2:TRAP_HANDLER: 0
; COMPUTE_PGM_RSRC2:TGID_X_EN: 1
; COMPUTE_PGM_RSRC2:TGID_Y_EN: 0
; COMPUTE_PGM_RSRC2:TGID_Z_EN: 0
; COMPUTE_PGM_RSRC2:TIDIG_COMP_CNT: 0
	.section	.text._ZN7rocprim17ROCPRIM_400000_NS6detail17trampoline_kernelINS0_13select_configILj256ELj13ELNS0_17block_load_methodE3ELS4_3ELS4_3ELNS0_20block_scan_algorithmE0ELj4294967295EEENS1_25partition_config_selectorILNS1_17partition_subalgoE4EjNS0_10empty_typeEbEEZZNS1_14partition_implILS8_4ELb0ES6_15HIP_vector_typeIjLj2EENS0_17counting_iteratorIjlEEPS9_SG_NS0_5tupleIJPjSI_NS0_16reverse_iteratorISI_EEEEENSH_IJSG_SG_SG_EEES9_SI_JZNS1_25segmented_radix_sort_implINS0_14default_configELb1EPK12hip_bfloat16PSP_PKlPlN2at6native12_GLOBAL__N_18offset_tEEE10hipError_tPvRmT1_PNSt15iterator_traitsIS13_E10value_typeET2_T3_PNS14_IS19_E10value_typeET4_jRbjT5_S1F_jjP12ihipStream_tbEUljE_ZNSN_ISO_Lb1ESR_SS_SU_SV_SZ_EES10_S11_S12_S13_S17_S18_S19_S1C_S1D_jS1E_jS1F_S1F_jjS1H_bEUljE0_EEES10_S11_S12_S19_S1D_S1F_T6_T7_T9_mT8_S1H_bDpT10_ENKUlT_T0_E_clISt17integral_constantIbLb1EES1U_IbLb0EEEEDaS1Q_S1R_EUlS1Q_E_NS1_11comp_targetILNS1_3genE5ELNS1_11target_archE942ELNS1_3gpuE9ELNS1_3repE0EEENS1_30default_config_static_selectorELNS0_4arch9wavefront6targetE0EEEvS13_,"axG",@progbits,_ZN7rocprim17ROCPRIM_400000_NS6detail17trampoline_kernelINS0_13select_configILj256ELj13ELNS0_17block_load_methodE3ELS4_3ELS4_3ELNS0_20block_scan_algorithmE0ELj4294967295EEENS1_25partition_config_selectorILNS1_17partition_subalgoE4EjNS0_10empty_typeEbEEZZNS1_14partition_implILS8_4ELb0ES6_15HIP_vector_typeIjLj2EENS0_17counting_iteratorIjlEEPS9_SG_NS0_5tupleIJPjSI_NS0_16reverse_iteratorISI_EEEEENSH_IJSG_SG_SG_EEES9_SI_JZNS1_25segmented_radix_sort_implINS0_14default_configELb1EPK12hip_bfloat16PSP_PKlPlN2at6native12_GLOBAL__N_18offset_tEEE10hipError_tPvRmT1_PNSt15iterator_traitsIS13_E10value_typeET2_T3_PNS14_IS19_E10value_typeET4_jRbjT5_S1F_jjP12ihipStream_tbEUljE_ZNSN_ISO_Lb1ESR_SS_SU_SV_SZ_EES10_S11_S12_S13_S17_S18_S19_S1C_S1D_jS1E_jS1F_S1F_jjS1H_bEUljE0_EEES10_S11_S12_S19_S1D_S1F_T6_T7_T9_mT8_S1H_bDpT10_ENKUlT_T0_E_clISt17integral_constantIbLb1EES1U_IbLb0EEEEDaS1Q_S1R_EUlS1Q_E_NS1_11comp_targetILNS1_3genE5ELNS1_11target_archE942ELNS1_3gpuE9ELNS1_3repE0EEENS1_30default_config_static_selectorELNS0_4arch9wavefront6targetE0EEEvS13_,comdat
	.globl	_ZN7rocprim17ROCPRIM_400000_NS6detail17trampoline_kernelINS0_13select_configILj256ELj13ELNS0_17block_load_methodE3ELS4_3ELS4_3ELNS0_20block_scan_algorithmE0ELj4294967295EEENS1_25partition_config_selectorILNS1_17partition_subalgoE4EjNS0_10empty_typeEbEEZZNS1_14partition_implILS8_4ELb0ES6_15HIP_vector_typeIjLj2EENS0_17counting_iteratorIjlEEPS9_SG_NS0_5tupleIJPjSI_NS0_16reverse_iteratorISI_EEEEENSH_IJSG_SG_SG_EEES9_SI_JZNS1_25segmented_radix_sort_implINS0_14default_configELb1EPK12hip_bfloat16PSP_PKlPlN2at6native12_GLOBAL__N_18offset_tEEE10hipError_tPvRmT1_PNSt15iterator_traitsIS13_E10value_typeET2_T3_PNS14_IS19_E10value_typeET4_jRbjT5_S1F_jjP12ihipStream_tbEUljE_ZNSN_ISO_Lb1ESR_SS_SU_SV_SZ_EES10_S11_S12_S13_S17_S18_S19_S1C_S1D_jS1E_jS1F_S1F_jjS1H_bEUljE0_EEES10_S11_S12_S19_S1D_S1F_T6_T7_T9_mT8_S1H_bDpT10_ENKUlT_T0_E_clISt17integral_constantIbLb1EES1U_IbLb0EEEEDaS1Q_S1R_EUlS1Q_E_NS1_11comp_targetILNS1_3genE5ELNS1_11target_archE942ELNS1_3gpuE9ELNS1_3repE0EEENS1_30default_config_static_selectorELNS0_4arch9wavefront6targetE0EEEvS13_ ; -- Begin function _ZN7rocprim17ROCPRIM_400000_NS6detail17trampoline_kernelINS0_13select_configILj256ELj13ELNS0_17block_load_methodE3ELS4_3ELS4_3ELNS0_20block_scan_algorithmE0ELj4294967295EEENS1_25partition_config_selectorILNS1_17partition_subalgoE4EjNS0_10empty_typeEbEEZZNS1_14partition_implILS8_4ELb0ES6_15HIP_vector_typeIjLj2EENS0_17counting_iteratorIjlEEPS9_SG_NS0_5tupleIJPjSI_NS0_16reverse_iteratorISI_EEEEENSH_IJSG_SG_SG_EEES9_SI_JZNS1_25segmented_radix_sort_implINS0_14default_configELb1EPK12hip_bfloat16PSP_PKlPlN2at6native12_GLOBAL__N_18offset_tEEE10hipError_tPvRmT1_PNSt15iterator_traitsIS13_E10value_typeET2_T3_PNS14_IS19_E10value_typeET4_jRbjT5_S1F_jjP12ihipStream_tbEUljE_ZNSN_ISO_Lb1ESR_SS_SU_SV_SZ_EES10_S11_S12_S13_S17_S18_S19_S1C_S1D_jS1E_jS1F_S1F_jjS1H_bEUljE0_EEES10_S11_S12_S19_S1D_S1F_T6_T7_T9_mT8_S1H_bDpT10_ENKUlT_T0_E_clISt17integral_constantIbLb1EES1U_IbLb0EEEEDaS1Q_S1R_EUlS1Q_E_NS1_11comp_targetILNS1_3genE5ELNS1_11target_archE942ELNS1_3gpuE9ELNS1_3repE0EEENS1_30default_config_static_selectorELNS0_4arch9wavefront6targetE0EEEvS13_
	.p2align	8
	.type	_ZN7rocprim17ROCPRIM_400000_NS6detail17trampoline_kernelINS0_13select_configILj256ELj13ELNS0_17block_load_methodE3ELS4_3ELS4_3ELNS0_20block_scan_algorithmE0ELj4294967295EEENS1_25partition_config_selectorILNS1_17partition_subalgoE4EjNS0_10empty_typeEbEEZZNS1_14partition_implILS8_4ELb0ES6_15HIP_vector_typeIjLj2EENS0_17counting_iteratorIjlEEPS9_SG_NS0_5tupleIJPjSI_NS0_16reverse_iteratorISI_EEEEENSH_IJSG_SG_SG_EEES9_SI_JZNS1_25segmented_radix_sort_implINS0_14default_configELb1EPK12hip_bfloat16PSP_PKlPlN2at6native12_GLOBAL__N_18offset_tEEE10hipError_tPvRmT1_PNSt15iterator_traitsIS13_E10value_typeET2_T3_PNS14_IS19_E10value_typeET4_jRbjT5_S1F_jjP12ihipStream_tbEUljE_ZNSN_ISO_Lb1ESR_SS_SU_SV_SZ_EES10_S11_S12_S13_S17_S18_S19_S1C_S1D_jS1E_jS1F_S1F_jjS1H_bEUljE0_EEES10_S11_S12_S19_S1D_S1F_T6_T7_T9_mT8_S1H_bDpT10_ENKUlT_T0_E_clISt17integral_constantIbLb1EES1U_IbLb0EEEEDaS1Q_S1R_EUlS1Q_E_NS1_11comp_targetILNS1_3genE5ELNS1_11target_archE942ELNS1_3gpuE9ELNS1_3repE0EEENS1_30default_config_static_selectorELNS0_4arch9wavefront6targetE0EEEvS13_,@function
_ZN7rocprim17ROCPRIM_400000_NS6detail17trampoline_kernelINS0_13select_configILj256ELj13ELNS0_17block_load_methodE3ELS4_3ELS4_3ELNS0_20block_scan_algorithmE0ELj4294967295EEENS1_25partition_config_selectorILNS1_17partition_subalgoE4EjNS0_10empty_typeEbEEZZNS1_14partition_implILS8_4ELb0ES6_15HIP_vector_typeIjLj2EENS0_17counting_iteratorIjlEEPS9_SG_NS0_5tupleIJPjSI_NS0_16reverse_iteratorISI_EEEEENSH_IJSG_SG_SG_EEES9_SI_JZNS1_25segmented_radix_sort_implINS0_14default_configELb1EPK12hip_bfloat16PSP_PKlPlN2at6native12_GLOBAL__N_18offset_tEEE10hipError_tPvRmT1_PNSt15iterator_traitsIS13_E10value_typeET2_T3_PNS14_IS19_E10value_typeET4_jRbjT5_S1F_jjP12ihipStream_tbEUljE_ZNSN_ISO_Lb1ESR_SS_SU_SV_SZ_EES10_S11_S12_S13_S17_S18_S19_S1C_S1D_jS1E_jS1F_S1F_jjS1H_bEUljE0_EEES10_S11_S12_S19_S1D_S1F_T6_T7_T9_mT8_S1H_bDpT10_ENKUlT_T0_E_clISt17integral_constantIbLb1EES1U_IbLb0EEEEDaS1Q_S1R_EUlS1Q_E_NS1_11comp_targetILNS1_3genE5ELNS1_11target_archE942ELNS1_3gpuE9ELNS1_3repE0EEENS1_30default_config_static_selectorELNS0_4arch9wavefront6targetE0EEEvS13_: ; @_ZN7rocprim17ROCPRIM_400000_NS6detail17trampoline_kernelINS0_13select_configILj256ELj13ELNS0_17block_load_methodE3ELS4_3ELS4_3ELNS0_20block_scan_algorithmE0ELj4294967295EEENS1_25partition_config_selectorILNS1_17partition_subalgoE4EjNS0_10empty_typeEbEEZZNS1_14partition_implILS8_4ELb0ES6_15HIP_vector_typeIjLj2EENS0_17counting_iteratorIjlEEPS9_SG_NS0_5tupleIJPjSI_NS0_16reverse_iteratorISI_EEEEENSH_IJSG_SG_SG_EEES9_SI_JZNS1_25segmented_radix_sort_implINS0_14default_configELb1EPK12hip_bfloat16PSP_PKlPlN2at6native12_GLOBAL__N_18offset_tEEE10hipError_tPvRmT1_PNSt15iterator_traitsIS13_E10value_typeET2_T3_PNS14_IS19_E10value_typeET4_jRbjT5_S1F_jjP12ihipStream_tbEUljE_ZNSN_ISO_Lb1ESR_SS_SU_SV_SZ_EES10_S11_S12_S13_S17_S18_S19_S1C_S1D_jS1E_jS1F_S1F_jjS1H_bEUljE0_EEES10_S11_S12_S19_S1D_S1F_T6_T7_T9_mT8_S1H_bDpT10_ENKUlT_T0_E_clISt17integral_constantIbLb1EES1U_IbLb0EEEEDaS1Q_S1R_EUlS1Q_E_NS1_11comp_targetILNS1_3genE5ELNS1_11target_archE942ELNS1_3gpuE9ELNS1_3repE0EEENS1_30default_config_static_selectorELNS0_4arch9wavefront6targetE0EEEvS13_
; %bb.0:
	.section	.rodata,"a",@progbits
	.p2align	6, 0x0
	.amdhsa_kernel _ZN7rocprim17ROCPRIM_400000_NS6detail17trampoline_kernelINS0_13select_configILj256ELj13ELNS0_17block_load_methodE3ELS4_3ELS4_3ELNS0_20block_scan_algorithmE0ELj4294967295EEENS1_25partition_config_selectorILNS1_17partition_subalgoE4EjNS0_10empty_typeEbEEZZNS1_14partition_implILS8_4ELb0ES6_15HIP_vector_typeIjLj2EENS0_17counting_iteratorIjlEEPS9_SG_NS0_5tupleIJPjSI_NS0_16reverse_iteratorISI_EEEEENSH_IJSG_SG_SG_EEES9_SI_JZNS1_25segmented_radix_sort_implINS0_14default_configELb1EPK12hip_bfloat16PSP_PKlPlN2at6native12_GLOBAL__N_18offset_tEEE10hipError_tPvRmT1_PNSt15iterator_traitsIS13_E10value_typeET2_T3_PNS14_IS19_E10value_typeET4_jRbjT5_S1F_jjP12ihipStream_tbEUljE_ZNSN_ISO_Lb1ESR_SS_SU_SV_SZ_EES10_S11_S12_S13_S17_S18_S19_S1C_S1D_jS1E_jS1F_S1F_jjS1H_bEUljE0_EEES10_S11_S12_S19_S1D_S1F_T6_T7_T9_mT8_S1H_bDpT10_ENKUlT_T0_E_clISt17integral_constantIbLb1EES1U_IbLb0EEEEDaS1Q_S1R_EUlS1Q_E_NS1_11comp_targetILNS1_3genE5ELNS1_11target_archE942ELNS1_3gpuE9ELNS1_3repE0EEENS1_30default_config_static_selectorELNS0_4arch9wavefront6targetE0EEEvS13_
		.amdhsa_group_segment_fixed_size 0
		.amdhsa_private_segment_fixed_size 0
		.amdhsa_kernarg_size 176
		.amdhsa_user_sgpr_count 15
		.amdhsa_user_sgpr_dispatch_ptr 0
		.amdhsa_user_sgpr_queue_ptr 0
		.amdhsa_user_sgpr_kernarg_segment_ptr 1
		.amdhsa_user_sgpr_dispatch_id 0
		.amdhsa_user_sgpr_private_segment_size 0
		.amdhsa_wavefront_size32 1
		.amdhsa_uses_dynamic_stack 0
		.amdhsa_enable_private_segment 0
		.amdhsa_system_sgpr_workgroup_id_x 1
		.amdhsa_system_sgpr_workgroup_id_y 0
		.amdhsa_system_sgpr_workgroup_id_z 0
		.amdhsa_system_sgpr_workgroup_info 0
		.amdhsa_system_vgpr_workitem_id 0
		.amdhsa_next_free_vgpr 1
		.amdhsa_next_free_sgpr 1
		.amdhsa_reserve_vcc 0
		.amdhsa_float_round_mode_32 0
		.amdhsa_float_round_mode_16_64 0
		.amdhsa_float_denorm_mode_32 3
		.amdhsa_float_denorm_mode_16_64 3
		.amdhsa_dx10_clamp 1
		.amdhsa_ieee_mode 1
		.amdhsa_fp16_overflow 0
		.amdhsa_workgroup_processor_mode 1
		.amdhsa_memory_ordered 1
		.amdhsa_forward_progress 0
		.amdhsa_shared_vgpr_count 0
		.amdhsa_exception_fp_ieee_invalid_op 0
		.amdhsa_exception_fp_denorm_src 0
		.amdhsa_exception_fp_ieee_div_zero 0
		.amdhsa_exception_fp_ieee_overflow 0
		.amdhsa_exception_fp_ieee_underflow 0
		.amdhsa_exception_fp_ieee_inexact 0
		.amdhsa_exception_int_div_zero 0
	.end_amdhsa_kernel
	.section	.text._ZN7rocprim17ROCPRIM_400000_NS6detail17trampoline_kernelINS0_13select_configILj256ELj13ELNS0_17block_load_methodE3ELS4_3ELS4_3ELNS0_20block_scan_algorithmE0ELj4294967295EEENS1_25partition_config_selectorILNS1_17partition_subalgoE4EjNS0_10empty_typeEbEEZZNS1_14partition_implILS8_4ELb0ES6_15HIP_vector_typeIjLj2EENS0_17counting_iteratorIjlEEPS9_SG_NS0_5tupleIJPjSI_NS0_16reverse_iteratorISI_EEEEENSH_IJSG_SG_SG_EEES9_SI_JZNS1_25segmented_radix_sort_implINS0_14default_configELb1EPK12hip_bfloat16PSP_PKlPlN2at6native12_GLOBAL__N_18offset_tEEE10hipError_tPvRmT1_PNSt15iterator_traitsIS13_E10value_typeET2_T3_PNS14_IS19_E10value_typeET4_jRbjT5_S1F_jjP12ihipStream_tbEUljE_ZNSN_ISO_Lb1ESR_SS_SU_SV_SZ_EES10_S11_S12_S13_S17_S18_S19_S1C_S1D_jS1E_jS1F_S1F_jjS1H_bEUljE0_EEES10_S11_S12_S19_S1D_S1F_T6_T7_T9_mT8_S1H_bDpT10_ENKUlT_T0_E_clISt17integral_constantIbLb1EES1U_IbLb0EEEEDaS1Q_S1R_EUlS1Q_E_NS1_11comp_targetILNS1_3genE5ELNS1_11target_archE942ELNS1_3gpuE9ELNS1_3repE0EEENS1_30default_config_static_selectorELNS0_4arch9wavefront6targetE0EEEvS13_,"axG",@progbits,_ZN7rocprim17ROCPRIM_400000_NS6detail17trampoline_kernelINS0_13select_configILj256ELj13ELNS0_17block_load_methodE3ELS4_3ELS4_3ELNS0_20block_scan_algorithmE0ELj4294967295EEENS1_25partition_config_selectorILNS1_17partition_subalgoE4EjNS0_10empty_typeEbEEZZNS1_14partition_implILS8_4ELb0ES6_15HIP_vector_typeIjLj2EENS0_17counting_iteratorIjlEEPS9_SG_NS0_5tupleIJPjSI_NS0_16reverse_iteratorISI_EEEEENSH_IJSG_SG_SG_EEES9_SI_JZNS1_25segmented_radix_sort_implINS0_14default_configELb1EPK12hip_bfloat16PSP_PKlPlN2at6native12_GLOBAL__N_18offset_tEEE10hipError_tPvRmT1_PNSt15iterator_traitsIS13_E10value_typeET2_T3_PNS14_IS19_E10value_typeET4_jRbjT5_S1F_jjP12ihipStream_tbEUljE_ZNSN_ISO_Lb1ESR_SS_SU_SV_SZ_EES10_S11_S12_S13_S17_S18_S19_S1C_S1D_jS1E_jS1F_S1F_jjS1H_bEUljE0_EEES10_S11_S12_S19_S1D_S1F_T6_T7_T9_mT8_S1H_bDpT10_ENKUlT_T0_E_clISt17integral_constantIbLb1EES1U_IbLb0EEEEDaS1Q_S1R_EUlS1Q_E_NS1_11comp_targetILNS1_3genE5ELNS1_11target_archE942ELNS1_3gpuE9ELNS1_3repE0EEENS1_30default_config_static_selectorELNS0_4arch9wavefront6targetE0EEEvS13_,comdat
.Lfunc_end1899:
	.size	_ZN7rocprim17ROCPRIM_400000_NS6detail17trampoline_kernelINS0_13select_configILj256ELj13ELNS0_17block_load_methodE3ELS4_3ELS4_3ELNS0_20block_scan_algorithmE0ELj4294967295EEENS1_25partition_config_selectorILNS1_17partition_subalgoE4EjNS0_10empty_typeEbEEZZNS1_14partition_implILS8_4ELb0ES6_15HIP_vector_typeIjLj2EENS0_17counting_iteratorIjlEEPS9_SG_NS0_5tupleIJPjSI_NS0_16reverse_iteratorISI_EEEEENSH_IJSG_SG_SG_EEES9_SI_JZNS1_25segmented_radix_sort_implINS0_14default_configELb1EPK12hip_bfloat16PSP_PKlPlN2at6native12_GLOBAL__N_18offset_tEEE10hipError_tPvRmT1_PNSt15iterator_traitsIS13_E10value_typeET2_T3_PNS14_IS19_E10value_typeET4_jRbjT5_S1F_jjP12ihipStream_tbEUljE_ZNSN_ISO_Lb1ESR_SS_SU_SV_SZ_EES10_S11_S12_S13_S17_S18_S19_S1C_S1D_jS1E_jS1F_S1F_jjS1H_bEUljE0_EEES10_S11_S12_S19_S1D_S1F_T6_T7_T9_mT8_S1H_bDpT10_ENKUlT_T0_E_clISt17integral_constantIbLb1EES1U_IbLb0EEEEDaS1Q_S1R_EUlS1Q_E_NS1_11comp_targetILNS1_3genE5ELNS1_11target_archE942ELNS1_3gpuE9ELNS1_3repE0EEENS1_30default_config_static_selectorELNS0_4arch9wavefront6targetE0EEEvS13_, .Lfunc_end1899-_ZN7rocprim17ROCPRIM_400000_NS6detail17trampoline_kernelINS0_13select_configILj256ELj13ELNS0_17block_load_methodE3ELS4_3ELS4_3ELNS0_20block_scan_algorithmE0ELj4294967295EEENS1_25partition_config_selectorILNS1_17partition_subalgoE4EjNS0_10empty_typeEbEEZZNS1_14partition_implILS8_4ELb0ES6_15HIP_vector_typeIjLj2EENS0_17counting_iteratorIjlEEPS9_SG_NS0_5tupleIJPjSI_NS0_16reverse_iteratorISI_EEEEENSH_IJSG_SG_SG_EEES9_SI_JZNS1_25segmented_radix_sort_implINS0_14default_configELb1EPK12hip_bfloat16PSP_PKlPlN2at6native12_GLOBAL__N_18offset_tEEE10hipError_tPvRmT1_PNSt15iterator_traitsIS13_E10value_typeET2_T3_PNS14_IS19_E10value_typeET4_jRbjT5_S1F_jjP12ihipStream_tbEUljE_ZNSN_ISO_Lb1ESR_SS_SU_SV_SZ_EES10_S11_S12_S13_S17_S18_S19_S1C_S1D_jS1E_jS1F_S1F_jjS1H_bEUljE0_EEES10_S11_S12_S19_S1D_S1F_T6_T7_T9_mT8_S1H_bDpT10_ENKUlT_T0_E_clISt17integral_constantIbLb1EES1U_IbLb0EEEEDaS1Q_S1R_EUlS1Q_E_NS1_11comp_targetILNS1_3genE5ELNS1_11target_archE942ELNS1_3gpuE9ELNS1_3repE0EEENS1_30default_config_static_selectorELNS0_4arch9wavefront6targetE0EEEvS13_
                                        ; -- End function
	.section	.AMDGPU.csdata,"",@progbits
; Kernel info:
; codeLenInByte = 0
; NumSgprs: 0
; NumVgprs: 0
; ScratchSize: 0
; MemoryBound: 0
; FloatMode: 240
; IeeeMode: 1
; LDSByteSize: 0 bytes/workgroup (compile time only)
; SGPRBlocks: 0
; VGPRBlocks: 0
; NumSGPRsForWavesPerEU: 1
; NumVGPRsForWavesPerEU: 1
; Occupancy: 16
; WaveLimiterHint : 0
; COMPUTE_PGM_RSRC2:SCRATCH_EN: 0
; COMPUTE_PGM_RSRC2:USER_SGPR: 15
; COMPUTE_PGM_RSRC2:TRAP_HANDLER: 0
; COMPUTE_PGM_RSRC2:TGID_X_EN: 1
; COMPUTE_PGM_RSRC2:TGID_Y_EN: 0
; COMPUTE_PGM_RSRC2:TGID_Z_EN: 0
; COMPUTE_PGM_RSRC2:TIDIG_COMP_CNT: 0
	.section	.text._ZN7rocprim17ROCPRIM_400000_NS6detail17trampoline_kernelINS0_13select_configILj256ELj13ELNS0_17block_load_methodE3ELS4_3ELS4_3ELNS0_20block_scan_algorithmE0ELj4294967295EEENS1_25partition_config_selectorILNS1_17partition_subalgoE4EjNS0_10empty_typeEbEEZZNS1_14partition_implILS8_4ELb0ES6_15HIP_vector_typeIjLj2EENS0_17counting_iteratorIjlEEPS9_SG_NS0_5tupleIJPjSI_NS0_16reverse_iteratorISI_EEEEENSH_IJSG_SG_SG_EEES9_SI_JZNS1_25segmented_radix_sort_implINS0_14default_configELb1EPK12hip_bfloat16PSP_PKlPlN2at6native12_GLOBAL__N_18offset_tEEE10hipError_tPvRmT1_PNSt15iterator_traitsIS13_E10value_typeET2_T3_PNS14_IS19_E10value_typeET4_jRbjT5_S1F_jjP12ihipStream_tbEUljE_ZNSN_ISO_Lb1ESR_SS_SU_SV_SZ_EES10_S11_S12_S13_S17_S18_S19_S1C_S1D_jS1E_jS1F_S1F_jjS1H_bEUljE0_EEES10_S11_S12_S19_S1D_S1F_T6_T7_T9_mT8_S1H_bDpT10_ENKUlT_T0_E_clISt17integral_constantIbLb1EES1U_IbLb0EEEEDaS1Q_S1R_EUlS1Q_E_NS1_11comp_targetILNS1_3genE4ELNS1_11target_archE910ELNS1_3gpuE8ELNS1_3repE0EEENS1_30default_config_static_selectorELNS0_4arch9wavefront6targetE0EEEvS13_,"axG",@progbits,_ZN7rocprim17ROCPRIM_400000_NS6detail17trampoline_kernelINS0_13select_configILj256ELj13ELNS0_17block_load_methodE3ELS4_3ELS4_3ELNS0_20block_scan_algorithmE0ELj4294967295EEENS1_25partition_config_selectorILNS1_17partition_subalgoE4EjNS0_10empty_typeEbEEZZNS1_14partition_implILS8_4ELb0ES6_15HIP_vector_typeIjLj2EENS0_17counting_iteratorIjlEEPS9_SG_NS0_5tupleIJPjSI_NS0_16reverse_iteratorISI_EEEEENSH_IJSG_SG_SG_EEES9_SI_JZNS1_25segmented_radix_sort_implINS0_14default_configELb1EPK12hip_bfloat16PSP_PKlPlN2at6native12_GLOBAL__N_18offset_tEEE10hipError_tPvRmT1_PNSt15iterator_traitsIS13_E10value_typeET2_T3_PNS14_IS19_E10value_typeET4_jRbjT5_S1F_jjP12ihipStream_tbEUljE_ZNSN_ISO_Lb1ESR_SS_SU_SV_SZ_EES10_S11_S12_S13_S17_S18_S19_S1C_S1D_jS1E_jS1F_S1F_jjS1H_bEUljE0_EEES10_S11_S12_S19_S1D_S1F_T6_T7_T9_mT8_S1H_bDpT10_ENKUlT_T0_E_clISt17integral_constantIbLb1EES1U_IbLb0EEEEDaS1Q_S1R_EUlS1Q_E_NS1_11comp_targetILNS1_3genE4ELNS1_11target_archE910ELNS1_3gpuE8ELNS1_3repE0EEENS1_30default_config_static_selectorELNS0_4arch9wavefront6targetE0EEEvS13_,comdat
	.globl	_ZN7rocprim17ROCPRIM_400000_NS6detail17trampoline_kernelINS0_13select_configILj256ELj13ELNS0_17block_load_methodE3ELS4_3ELS4_3ELNS0_20block_scan_algorithmE0ELj4294967295EEENS1_25partition_config_selectorILNS1_17partition_subalgoE4EjNS0_10empty_typeEbEEZZNS1_14partition_implILS8_4ELb0ES6_15HIP_vector_typeIjLj2EENS0_17counting_iteratorIjlEEPS9_SG_NS0_5tupleIJPjSI_NS0_16reverse_iteratorISI_EEEEENSH_IJSG_SG_SG_EEES9_SI_JZNS1_25segmented_radix_sort_implINS0_14default_configELb1EPK12hip_bfloat16PSP_PKlPlN2at6native12_GLOBAL__N_18offset_tEEE10hipError_tPvRmT1_PNSt15iterator_traitsIS13_E10value_typeET2_T3_PNS14_IS19_E10value_typeET4_jRbjT5_S1F_jjP12ihipStream_tbEUljE_ZNSN_ISO_Lb1ESR_SS_SU_SV_SZ_EES10_S11_S12_S13_S17_S18_S19_S1C_S1D_jS1E_jS1F_S1F_jjS1H_bEUljE0_EEES10_S11_S12_S19_S1D_S1F_T6_T7_T9_mT8_S1H_bDpT10_ENKUlT_T0_E_clISt17integral_constantIbLb1EES1U_IbLb0EEEEDaS1Q_S1R_EUlS1Q_E_NS1_11comp_targetILNS1_3genE4ELNS1_11target_archE910ELNS1_3gpuE8ELNS1_3repE0EEENS1_30default_config_static_selectorELNS0_4arch9wavefront6targetE0EEEvS13_ ; -- Begin function _ZN7rocprim17ROCPRIM_400000_NS6detail17trampoline_kernelINS0_13select_configILj256ELj13ELNS0_17block_load_methodE3ELS4_3ELS4_3ELNS0_20block_scan_algorithmE0ELj4294967295EEENS1_25partition_config_selectorILNS1_17partition_subalgoE4EjNS0_10empty_typeEbEEZZNS1_14partition_implILS8_4ELb0ES6_15HIP_vector_typeIjLj2EENS0_17counting_iteratorIjlEEPS9_SG_NS0_5tupleIJPjSI_NS0_16reverse_iteratorISI_EEEEENSH_IJSG_SG_SG_EEES9_SI_JZNS1_25segmented_radix_sort_implINS0_14default_configELb1EPK12hip_bfloat16PSP_PKlPlN2at6native12_GLOBAL__N_18offset_tEEE10hipError_tPvRmT1_PNSt15iterator_traitsIS13_E10value_typeET2_T3_PNS14_IS19_E10value_typeET4_jRbjT5_S1F_jjP12ihipStream_tbEUljE_ZNSN_ISO_Lb1ESR_SS_SU_SV_SZ_EES10_S11_S12_S13_S17_S18_S19_S1C_S1D_jS1E_jS1F_S1F_jjS1H_bEUljE0_EEES10_S11_S12_S19_S1D_S1F_T6_T7_T9_mT8_S1H_bDpT10_ENKUlT_T0_E_clISt17integral_constantIbLb1EES1U_IbLb0EEEEDaS1Q_S1R_EUlS1Q_E_NS1_11comp_targetILNS1_3genE4ELNS1_11target_archE910ELNS1_3gpuE8ELNS1_3repE0EEENS1_30default_config_static_selectorELNS0_4arch9wavefront6targetE0EEEvS13_
	.p2align	8
	.type	_ZN7rocprim17ROCPRIM_400000_NS6detail17trampoline_kernelINS0_13select_configILj256ELj13ELNS0_17block_load_methodE3ELS4_3ELS4_3ELNS0_20block_scan_algorithmE0ELj4294967295EEENS1_25partition_config_selectorILNS1_17partition_subalgoE4EjNS0_10empty_typeEbEEZZNS1_14partition_implILS8_4ELb0ES6_15HIP_vector_typeIjLj2EENS0_17counting_iteratorIjlEEPS9_SG_NS0_5tupleIJPjSI_NS0_16reverse_iteratorISI_EEEEENSH_IJSG_SG_SG_EEES9_SI_JZNS1_25segmented_radix_sort_implINS0_14default_configELb1EPK12hip_bfloat16PSP_PKlPlN2at6native12_GLOBAL__N_18offset_tEEE10hipError_tPvRmT1_PNSt15iterator_traitsIS13_E10value_typeET2_T3_PNS14_IS19_E10value_typeET4_jRbjT5_S1F_jjP12ihipStream_tbEUljE_ZNSN_ISO_Lb1ESR_SS_SU_SV_SZ_EES10_S11_S12_S13_S17_S18_S19_S1C_S1D_jS1E_jS1F_S1F_jjS1H_bEUljE0_EEES10_S11_S12_S19_S1D_S1F_T6_T7_T9_mT8_S1H_bDpT10_ENKUlT_T0_E_clISt17integral_constantIbLb1EES1U_IbLb0EEEEDaS1Q_S1R_EUlS1Q_E_NS1_11comp_targetILNS1_3genE4ELNS1_11target_archE910ELNS1_3gpuE8ELNS1_3repE0EEENS1_30default_config_static_selectorELNS0_4arch9wavefront6targetE0EEEvS13_,@function
_ZN7rocprim17ROCPRIM_400000_NS6detail17trampoline_kernelINS0_13select_configILj256ELj13ELNS0_17block_load_methodE3ELS4_3ELS4_3ELNS0_20block_scan_algorithmE0ELj4294967295EEENS1_25partition_config_selectorILNS1_17partition_subalgoE4EjNS0_10empty_typeEbEEZZNS1_14partition_implILS8_4ELb0ES6_15HIP_vector_typeIjLj2EENS0_17counting_iteratorIjlEEPS9_SG_NS0_5tupleIJPjSI_NS0_16reverse_iteratorISI_EEEEENSH_IJSG_SG_SG_EEES9_SI_JZNS1_25segmented_radix_sort_implINS0_14default_configELb1EPK12hip_bfloat16PSP_PKlPlN2at6native12_GLOBAL__N_18offset_tEEE10hipError_tPvRmT1_PNSt15iterator_traitsIS13_E10value_typeET2_T3_PNS14_IS19_E10value_typeET4_jRbjT5_S1F_jjP12ihipStream_tbEUljE_ZNSN_ISO_Lb1ESR_SS_SU_SV_SZ_EES10_S11_S12_S13_S17_S18_S19_S1C_S1D_jS1E_jS1F_S1F_jjS1H_bEUljE0_EEES10_S11_S12_S19_S1D_S1F_T6_T7_T9_mT8_S1H_bDpT10_ENKUlT_T0_E_clISt17integral_constantIbLb1EES1U_IbLb0EEEEDaS1Q_S1R_EUlS1Q_E_NS1_11comp_targetILNS1_3genE4ELNS1_11target_archE910ELNS1_3gpuE8ELNS1_3repE0EEENS1_30default_config_static_selectorELNS0_4arch9wavefront6targetE0EEEvS13_: ; @_ZN7rocprim17ROCPRIM_400000_NS6detail17trampoline_kernelINS0_13select_configILj256ELj13ELNS0_17block_load_methodE3ELS4_3ELS4_3ELNS0_20block_scan_algorithmE0ELj4294967295EEENS1_25partition_config_selectorILNS1_17partition_subalgoE4EjNS0_10empty_typeEbEEZZNS1_14partition_implILS8_4ELb0ES6_15HIP_vector_typeIjLj2EENS0_17counting_iteratorIjlEEPS9_SG_NS0_5tupleIJPjSI_NS0_16reverse_iteratorISI_EEEEENSH_IJSG_SG_SG_EEES9_SI_JZNS1_25segmented_radix_sort_implINS0_14default_configELb1EPK12hip_bfloat16PSP_PKlPlN2at6native12_GLOBAL__N_18offset_tEEE10hipError_tPvRmT1_PNSt15iterator_traitsIS13_E10value_typeET2_T3_PNS14_IS19_E10value_typeET4_jRbjT5_S1F_jjP12ihipStream_tbEUljE_ZNSN_ISO_Lb1ESR_SS_SU_SV_SZ_EES10_S11_S12_S13_S17_S18_S19_S1C_S1D_jS1E_jS1F_S1F_jjS1H_bEUljE0_EEES10_S11_S12_S19_S1D_S1F_T6_T7_T9_mT8_S1H_bDpT10_ENKUlT_T0_E_clISt17integral_constantIbLb1EES1U_IbLb0EEEEDaS1Q_S1R_EUlS1Q_E_NS1_11comp_targetILNS1_3genE4ELNS1_11target_archE910ELNS1_3gpuE8ELNS1_3repE0EEENS1_30default_config_static_selectorELNS0_4arch9wavefront6targetE0EEEvS13_
; %bb.0:
	.section	.rodata,"a",@progbits
	.p2align	6, 0x0
	.amdhsa_kernel _ZN7rocprim17ROCPRIM_400000_NS6detail17trampoline_kernelINS0_13select_configILj256ELj13ELNS0_17block_load_methodE3ELS4_3ELS4_3ELNS0_20block_scan_algorithmE0ELj4294967295EEENS1_25partition_config_selectorILNS1_17partition_subalgoE4EjNS0_10empty_typeEbEEZZNS1_14partition_implILS8_4ELb0ES6_15HIP_vector_typeIjLj2EENS0_17counting_iteratorIjlEEPS9_SG_NS0_5tupleIJPjSI_NS0_16reverse_iteratorISI_EEEEENSH_IJSG_SG_SG_EEES9_SI_JZNS1_25segmented_radix_sort_implINS0_14default_configELb1EPK12hip_bfloat16PSP_PKlPlN2at6native12_GLOBAL__N_18offset_tEEE10hipError_tPvRmT1_PNSt15iterator_traitsIS13_E10value_typeET2_T3_PNS14_IS19_E10value_typeET4_jRbjT5_S1F_jjP12ihipStream_tbEUljE_ZNSN_ISO_Lb1ESR_SS_SU_SV_SZ_EES10_S11_S12_S13_S17_S18_S19_S1C_S1D_jS1E_jS1F_S1F_jjS1H_bEUljE0_EEES10_S11_S12_S19_S1D_S1F_T6_T7_T9_mT8_S1H_bDpT10_ENKUlT_T0_E_clISt17integral_constantIbLb1EES1U_IbLb0EEEEDaS1Q_S1R_EUlS1Q_E_NS1_11comp_targetILNS1_3genE4ELNS1_11target_archE910ELNS1_3gpuE8ELNS1_3repE0EEENS1_30default_config_static_selectorELNS0_4arch9wavefront6targetE0EEEvS13_
		.amdhsa_group_segment_fixed_size 0
		.amdhsa_private_segment_fixed_size 0
		.amdhsa_kernarg_size 176
		.amdhsa_user_sgpr_count 15
		.amdhsa_user_sgpr_dispatch_ptr 0
		.amdhsa_user_sgpr_queue_ptr 0
		.amdhsa_user_sgpr_kernarg_segment_ptr 1
		.amdhsa_user_sgpr_dispatch_id 0
		.amdhsa_user_sgpr_private_segment_size 0
		.amdhsa_wavefront_size32 1
		.amdhsa_uses_dynamic_stack 0
		.amdhsa_enable_private_segment 0
		.amdhsa_system_sgpr_workgroup_id_x 1
		.amdhsa_system_sgpr_workgroup_id_y 0
		.amdhsa_system_sgpr_workgroup_id_z 0
		.amdhsa_system_sgpr_workgroup_info 0
		.amdhsa_system_vgpr_workitem_id 0
		.amdhsa_next_free_vgpr 1
		.amdhsa_next_free_sgpr 1
		.amdhsa_reserve_vcc 0
		.amdhsa_float_round_mode_32 0
		.amdhsa_float_round_mode_16_64 0
		.amdhsa_float_denorm_mode_32 3
		.amdhsa_float_denorm_mode_16_64 3
		.amdhsa_dx10_clamp 1
		.amdhsa_ieee_mode 1
		.amdhsa_fp16_overflow 0
		.amdhsa_workgroup_processor_mode 1
		.amdhsa_memory_ordered 1
		.amdhsa_forward_progress 0
		.amdhsa_shared_vgpr_count 0
		.amdhsa_exception_fp_ieee_invalid_op 0
		.amdhsa_exception_fp_denorm_src 0
		.amdhsa_exception_fp_ieee_div_zero 0
		.amdhsa_exception_fp_ieee_overflow 0
		.amdhsa_exception_fp_ieee_underflow 0
		.amdhsa_exception_fp_ieee_inexact 0
		.amdhsa_exception_int_div_zero 0
	.end_amdhsa_kernel
	.section	.text._ZN7rocprim17ROCPRIM_400000_NS6detail17trampoline_kernelINS0_13select_configILj256ELj13ELNS0_17block_load_methodE3ELS4_3ELS4_3ELNS0_20block_scan_algorithmE0ELj4294967295EEENS1_25partition_config_selectorILNS1_17partition_subalgoE4EjNS0_10empty_typeEbEEZZNS1_14partition_implILS8_4ELb0ES6_15HIP_vector_typeIjLj2EENS0_17counting_iteratorIjlEEPS9_SG_NS0_5tupleIJPjSI_NS0_16reverse_iteratorISI_EEEEENSH_IJSG_SG_SG_EEES9_SI_JZNS1_25segmented_radix_sort_implINS0_14default_configELb1EPK12hip_bfloat16PSP_PKlPlN2at6native12_GLOBAL__N_18offset_tEEE10hipError_tPvRmT1_PNSt15iterator_traitsIS13_E10value_typeET2_T3_PNS14_IS19_E10value_typeET4_jRbjT5_S1F_jjP12ihipStream_tbEUljE_ZNSN_ISO_Lb1ESR_SS_SU_SV_SZ_EES10_S11_S12_S13_S17_S18_S19_S1C_S1D_jS1E_jS1F_S1F_jjS1H_bEUljE0_EEES10_S11_S12_S19_S1D_S1F_T6_T7_T9_mT8_S1H_bDpT10_ENKUlT_T0_E_clISt17integral_constantIbLb1EES1U_IbLb0EEEEDaS1Q_S1R_EUlS1Q_E_NS1_11comp_targetILNS1_3genE4ELNS1_11target_archE910ELNS1_3gpuE8ELNS1_3repE0EEENS1_30default_config_static_selectorELNS0_4arch9wavefront6targetE0EEEvS13_,"axG",@progbits,_ZN7rocprim17ROCPRIM_400000_NS6detail17trampoline_kernelINS0_13select_configILj256ELj13ELNS0_17block_load_methodE3ELS4_3ELS4_3ELNS0_20block_scan_algorithmE0ELj4294967295EEENS1_25partition_config_selectorILNS1_17partition_subalgoE4EjNS0_10empty_typeEbEEZZNS1_14partition_implILS8_4ELb0ES6_15HIP_vector_typeIjLj2EENS0_17counting_iteratorIjlEEPS9_SG_NS0_5tupleIJPjSI_NS0_16reverse_iteratorISI_EEEEENSH_IJSG_SG_SG_EEES9_SI_JZNS1_25segmented_radix_sort_implINS0_14default_configELb1EPK12hip_bfloat16PSP_PKlPlN2at6native12_GLOBAL__N_18offset_tEEE10hipError_tPvRmT1_PNSt15iterator_traitsIS13_E10value_typeET2_T3_PNS14_IS19_E10value_typeET4_jRbjT5_S1F_jjP12ihipStream_tbEUljE_ZNSN_ISO_Lb1ESR_SS_SU_SV_SZ_EES10_S11_S12_S13_S17_S18_S19_S1C_S1D_jS1E_jS1F_S1F_jjS1H_bEUljE0_EEES10_S11_S12_S19_S1D_S1F_T6_T7_T9_mT8_S1H_bDpT10_ENKUlT_T0_E_clISt17integral_constantIbLb1EES1U_IbLb0EEEEDaS1Q_S1R_EUlS1Q_E_NS1_11comp_targetILNS1_3genE4ELNS1_11target_archE910ELNS1_3gpuE8ELNS1_3repE0EEENS1_30default_config_static_selectorELNS0_4arch9wavefront6targetE0EEEvS13_,comdat
.Lfunc_end1900:
	.size	_ZN7rocprim17ROCPRIM_400000_NS6detail17trampoline_kernelINS0_13select_configILj256ELj13ELNS0_17block_load_methodE3ELS4_3ELS4_3ELNS0_20block_scan_algorithmE0ELj4294967295EEENS1_25partition_config_selectorILNS1_17partition_subalgoE4EjNS0_10empty_typeEbEEZZNS1_14partition_implILS8_4ELb0ES6_15HIP_vector_typeIjLj2EENS0_17counting_iteratorIjlEEPS9_SG_NS0_5tupleIJPjSI_NS0_16reverse_iteratorISI_EEEEENSH_IJSG_SG_SG_EEES9_SI_JZNS1_25segmented_radix_sort_implINS0_14default_configELb1EPK12hip_bfloat16PSP_PKlPlN2at6native12_GLOBAL__N_18offset_tEEE10hipError_tPvRmT1_PNSt15iterator_traitsIS13_E10value_typeET2_T3_PNS14_IS19_E10value_typeET4_jRbjT5_S1F_jjP12ihipStream_tbEUljE_ZNSN_ISO_Lb1ESR_SS_SU_SV_SZ_EES10_S11_S12_S13_S17_S18_S19_S1C_S1D_jS1E_jS1F_S1F_jjS1H_bEUljE0_EEES10_S11_S12_S19_S1D_S1F_T6_T7_T9_mT8_S1H_bDpT10_ENKUlT_T0_E_clISt17integral_constantIbLb1EES1U_IbLb0EEEEDaS1Q_S1R_EUlS1Q_E_NS1_11comp_targetILNS1_3genE4ELNS1_11target_archE910ELNS1_3gpuE8ELNS1_3repE0EEENS1_30default_config_static_selectorELNS0_4arch9wavefront6targetE0EEEvS13_, .Lfunc_end1900-_ZN7rocprim17ROCPRIM_400000_NS6detail17trampoline_kernelINS0_13select_configILj256ELj13ELNS0_17block_load_methodE3ELS4_3ELS4_3ELNS0_20block_scan_algorithmE0ELj4294967295EEENS1_25partition_config_selectorILNS1_17partition_subalgoE4EjNS0_10empty_typeEbEEZZNS1_14partition_implILS8_4ELb0ES6_15HIP_vector_typeIjLj2EENS0_17counting_iteratorIjlEEPS9_SG_NS0_5tupleIJPjSI_NS0_16reverse_iteratorISI_EEEEENSH_IJSG_SG_SG_EEES9_SI_JZNS1_25segmented_radix_sort_implINS0_14default_configELb1EPK12hip_bfloat16PSP_PKlPlN2at6native12_GLOBAL__N_18offset_tEEE10hipError_tPvRmT1_PNSt15iterator_traitsIS13_E10value_typeET2_T3_PNS14_IS19_E10value_typeET4_jRbjT5_S1F_jjP12ihipStream_tbEUljE_ZNSN_ISO_Lb1ESR_SS_SU_SV_SZ_EES10_S11_S12_S13_S17_S18_S19_S1C_S1D_jS1E_jS1F_S1F_jjS1H_bEUljE0_EEES10_S11_S12_S19_S1D_S1F_T6_T7_T9_mT8_S1H_bDpT10_ENKUlT_T0_E_clISt17integral_constantIbLb1EES1U_IbLb0EEEEDaS1Q_S1R_EUlS1Q_E_NS1_11comp_targetILNS1_3genE4ELNS1_11target_archE910ELNS1_3gpuE8ELNS1_3repE0EEENS1_30default_config_static_selectorELNS0_4arch9wavefront6targetE0EEEvS13_
                                        ; -- End function
	.section	.AMDGPU.csdata,"",@progbits
; Kernel info:
; codeLenInByte = 0
; NumSgprs: 0
; NumVgprs: 0
; ScratchSize: 0
; MemoryBound: 0
; FloatMode: 240
; IeeeMode: 1
; LDSByteSize: 0 bytes/workgroup (compile time only)
; SGPRBlocks: 0
; VGPRBlocks: 0
; NumSGPRsForWavesPerEU: 1
; NumVGPRsForWavesPerEU: 1
; Occupancy: 16
; WaveLimiterHint : 0
; COMPUTE_PGM_RSRC2:SCRATCH_EN: 0
; COMPUTE_PGM_RSRC2:USER_SGPR: 15
; COMPUTE_PGM_RSRC2:TRAP_HANDLER: 0
; COMPUTE_PGM_RSRC2:TGID_X_EN: 1
; COMPUTE_PGM_RSRC2:TGID_Y_EN: 0
; COMPUTE_PGM_RSRC2:TGID_Z_EN: 0
; COMPUTE_PGM_RSRC2:TIDIG_COMP_CNT: 0
	.section	.text._ZN7rocprim17ROCPRIM_400000_NS6detail17trampoline_kernelINS0_13select_configILj256ELj13ELNS0_17block_load_methodE3ELS4_3ELS4_3ELNS0_20block_scan_algorithmE0ELj4294967295EEENS1_25partition_config_selectorILNS1_17partition_subalgoE4EjNS0_10empty_typeEbEEZZNS1_14partition_implILS8_4ELb0ES6_15HIP_vector_typeIjLj2EENS0_17counting_iteratorIjlEEPS9_SG_NS0_5tupleIJPjSI_NS0_16reverse_iteratorISI_EEEEENSH_IJSG_SG_SG_EEES9_SI_JZNS1_25segmented_radix_sort_implINS0_14default_configELb1EPK12hip_bfloat16PSP_PKlPlN2at6native12_GLOBAL__N_18offset_tEEE10hipError_tPvRmT1_PNSt15iterator_traitsIS13_E10value_typeET2_T3_PNS14_IS19_E10value_typeET4_jRbjT5_S1F_jjP12ihipStream_tbEUljE_ZNSN_ISO_Lb1ESR_SS_SU_SV_SZ_EES10_S11_S12_S13_S17_S18_S19_S1C_S1D_jS1E_jS1F_S1F_jjS1H_bEUljE0_EEES10_S11_S12_S19_S1D_S1F_T6_T7_T9_mT8_S1H_bDpT10_ENKUlT_T0_E_clISt17integral_constantIbLb1EES1U_IbLb0EEEEDaS1Q_S1R_EUlS1Q_E_NS1_11comp_targetILNS1_3genE3ELNS1_11target_archE908ELNS1_3gpuE7ELNS1_3repE0EEENS1_30default_config_static_selectorELNS0_4arch9wavefront6targetE0EEEvS13_,"axG",@progbits,_ZN7rocprim17ROCPRIM_400000_NS6detail17trampoline_kernelINS0_13select_configILj256ELj13ELNS0_17block_load_methodE3ELS4_3ELS4_3ELNS0_20block_scan_algorithmE0ELj4294967295EEENS1_25partition_config_selectorILNS1_17partition_subalgoE4EjNS0_10empty_typeEbEEZZNS1_14partition_implILS8_4ELb0ES6_15HIP_vector_typeIjLj2EENS0_17counting_iteratorIjlEEPS9_SG_NS0_5tupleIJPjSI_NS0_16reverse_iteratorISI_EEEEENSH_IJSG_SG_SG_EEES9_SI_JZNS1_25segmented_radix_sort_implINS0_14default_configELb1EPK12hip_bfloat16PSP_PKlPlN2at6native12_GLOBAL__N_18offset_tEEE10hipError_tPvRmT1_PNSt15iterator_traitsIS13_E10value_typeET2_T3_PNS14_IS19_E10value_typeET4_jRbjT5_S1F_jjP12ihipStream_tbEUljE_ZNSN_ISO_Lb1ESR_SS_SU_SV_SZ_EES10_S11_S12_S13_S17_S18_S19_S1C_S1D_jS1E_jS1F_S1F_jjS1H_bEUljE0_EEES10_S11_S12_S19_S1D_S1F_T6_T7_T9_mT8_S1H_bDpT10_ENKUlT_T0_E_clISt17integral_constantIbLb1EES1U_IbLb0EEEEDaS1Q_S1R_EUlS1Q_E_NS1_11comp_targetILNS1_3genE3ELNS1_11target_archE908ELNS1_3gpuE7ELNS1_3repE0EEENS1_30default_config_static_selectorELNS0_4arch9wavefront6targetE0EEEvS13_,comdat
	.globl	_ZN7rocprim17ROCPRIM_400000_NS6detail17trampoline_kernelINS0_13select_configILj256ELj13ELNS0_17block_load_methodE3ELS4_3ELS4_3ELNS0_20block_scan_algorithmE0ELj4294967295EEENS1_25partition_config_selectorILNS1_17partition_subalgoE4EjNS0_10empty_typeEbEEZZNS1_14partition_implILS8_4ELb0ES6_15HIP_vector_typeIjLj2EENS0_17counting_iteratorIjlEEPS9_SG_NS0_5tupleIJPjSI_NS0_16reverse_iteratorISI_EEEEENSH_IJSG_SG_SG_EEES9_SI_JZNS1_25segmented_radix_sort_implINS0_14default_configELb1EPK12hip_bfloat16PSP_PKlPlN2at6native12_GLOBAL__N_18offset_tEEE10hipError_tPvRmT1_PNSt15iterator_traitsIS13_E10value_typeET2_T3_PNS14_IS19_E10value_typeET4_jRbjT5_S1F_jjP12ihipStream_tbEUljE_ZNSN_ISO_Lb1ESR_SS_SU_SV_SZ_EES10_S11_S12_S13_S17_S18_S19_S1C_S1D_jS1E_jS1F_S1F_jjS1H_bEUljE0_EEES10_S11_S12_S19_S1D_S1F_T6_T7_T9_mT8_S1H_bDpT10_ENKUlT_T0_E_clISt17integral_constantIbLb1EES1U_IbLb0EEEEDaS1Q_S1R_EUlS1Q_E_NS1_11comp_targetILNS1_3genE3ELNS1_11target_archE908ELNS1_3gpuE7ELNS1_3repE0EEENS1_30default_config_static_selectorELNS0_4arch9wavefront6targetE0EEEvS13_ ; -- Begin function _ZN7rocprim17ROCPRIM_400000_NS6detail17trampoline_kernelINS0_13select_configILj256ELj13ELNS0_17block_load_methodE3ELS4_3ELS4_3ELNS0_20block_scan_algorithmE0ELj4294967295EEENS1_25partition_config_selectorILNS1_17partition_subalgoE4EjNS0_10empty_typeEbEEZZNS1_14partition_implILS8_4ELb0ES6_15HIP_vector_typeIjLj2EENS0_17counting_iteratorIjlEEPS9_SG_NS0_5tupleIJPjSI_NS0_16reverse_iteratorISI_EEEEENSH_IJSG_SG_SG_EEES9_SI_JZNS1_25segmented_radix_sort_implINS0_14default_configELb1EPK12hip_bfloat16PSP_PKlPlN2at6native12_GLOBAL__N_18offset_tEEE10hipError_tPvRmT1_PNSt15iterator_traitsIS13_E10value_typeET2_T3_PNS14_IS19_E10value_typeET4_jRbjT5_S1F_jjP12ihipStream_tbEUljE_ZNSN_ISO_Lb1ESR_SS_SU_SV_SZ_EES10_S11_S12_S13_S17_S18_S19_S1C_S1D_jS1E_jS1F_S1F_jjS1H_bEUljE0_EEES10_S11_S12_S19_S1D_S1F_T6_T7_T9_mT8_S1H_bDpT10_ENKUlT_T0_E_clISt17integral_constantIbLb1EES1U_IbLb0EEEEDaS1Q_S1R_EUlS1Q_E_NS1_11comp_targetILNS1_3genE3ELNS1_11target_archE908ELNS1_3gpuE7ELNS1_3repE0EEENS1_30default_config_static_selectorELNS0_4arch9wavefront6targetE0EEEvS13_
	.p2align	8
	.type	_ZN7rocprim17ROCPRIM_400000_NS6detail17trampoline_kernelINS0_13select_configILj256ELj13ELNS0_17block_load_methodE3ELS4_3ELS4_3ELNS0_20block_scan_algorithmE0ELj4294967295EEENS1_25partition_config_selectorILNS1_17partition_subalgoE4EjNS0_10empty_typeEbEEZZNS1_14partition_implILS8_4ELb0ES6_15HIP_vector_typeIjLj2EENS0_17counting_iteratorIjlEEPS9_SG_NS0_5tupleIJPjSI_NS0_16reverse_iteratorISI_EEEEENSH_IJSG_SG_SG_EEES9_SI_JZNS1_25segmented_radix_sort_implINS0_14default_configELb1EPK12hip_bfloat16PSP_PKlPlN2at6native12_GLOBAL__N_18offset_tEEE10hipError_tPvRmT1_PNSt15iterator_traitsIS13_E10value_typeET2_T3_PNS14_IS19_E10value_typeET4_jRbjT5_S1F_jjP12ihipStream_tbEUljE_ZNSN_ISO_Lb1ESR_SS_SU_SV_SZ_EES10_S11_S12_S13_S17_S18_S19_S1C_S1D_jS1E_jS1F_S1F_jjS1H_bEUljE0_EEES10_S11_S12_S19_S1D_S1F_T6_T7_T9_mT8_S1H_bDpT10_ENKUlT_T0_E_clISt17integral_constantIbLb1EES1U_IbLb0EEEEDaS1Q_S1R_EUlS1Q_E_NS1_11comp_targetILNS1_3genE3ELNS1_11target_archE908ELNS1_3gpuE7ELNS1_3repE0EEENS1_30default_config_static_selectorELNS0_4arch9wavefront6targetE0EEEvS13_,@function
_ZN7rocprim17ROCPRIM_400000_NS6detail17trampoline_kernelINS0_13select_configILj256ELj13ELNS0_17block_load_methodE3ELS4_3ELS4_3ELNS0_20block_scan_algorithmE0ELj4294967295EEENS1_25partition_config_selectorILNS1_17partition_subalgoE4EjNS0_10empty_typeEbEEZZNS1_14partition_implILS8_4ELb0ES6_15HIP_vector_typeIjLj2EENS0_17counting_iteratorIjlEEPS9_SG_NS0_5tupleIJPjSI_NS0_16reverse_iteratorISI_EEEEENSH_IJSG_SG_SG_EEES9_SI_JZNS1_25segmented_radix_sort_implINS0_14default_configELb1EPK12hip_bfloat16PSP_PKlPlN2at6native12_GLOBAL__N_18offset_tEEE10hipError_tPvRmT1_PNSt15iterator_traitsIS13_E10value_typeET2_T3_PNS14_IS19_E10value_typeET4_jRbjT5_S1F_jjP12ihipStream_tbEUljE_ZNSN_ISO_Lb1ESR_SS_SU_SV_SZ_EES10_S11_S12_S13_S17_S18_S19_S1C_S1D_jS1E_jS1F_S1F_jjS1H_bEUljE0_EEES10_S11_S12_S19_S1D_S1F_T6_T7_T9_mT8_S1H_bDpT10_ENKUlT_T0_E_clISt17integral_constantIbLb1EES1U_IbLb0EEEEDaS1Q_S1R_EUlS1Q_E_NS1_11comp_targetILNS1_3genE3ELNS1_11target_archE908ELNS1_3gpuE7ELNS1_3repE0EEENS1_30default_config_static_selectorELNS0_4arch9wavefront6targetE0EEEvS13_: ; @_ZN7rocprim17ROCPRIM_400000_NS6detail17trampoline_kernelINS0_13select_configILj256ELj13ELNS0_17block_load_methodE3ELS4_3ELS4_3ELNS0_20block_scan_algorithmE0ELj4294967295EEENS1_25partition_config_selectorILNS1_17partition_subalgoE4EjNS0_10empty_typeEbEEZZNS1_14partition_implILS8_4ELb0ES6_15HIP_vector_typeIjLj2EENS0_17counting_iteratorIjlEEPS9_SG_NS0_5tupleIJPjSI_NS0_16reverse_iteratorISI_EEEEENSH_IJSG_SG_SG_EEES9_SI_JZNS1_25segmented_radix_sort_implINS0_14default_configELb1EPK12hip_bfloat16PSP_PKlPlN2at6native12_GLOBAL__N_18offset_tEEE10hipError_tPvRmT1_PNSt15iterator_traitsIS13_E10value_typeET2_T3_PNS14_IS19_E10value_typeET4_jRbjT5_S1F_jjP12ihipStream_tbEUljE_ZNSN_ISO_Lb1ESR_SS_SU_SV_SZ_EES10_S11_S12_S13_S17_S18_S19_S1C_S1D_jS1E_jS1F_S1F_jjS1H_bEUljE0_EEES10_S11_S12_S19_S1D_S1F_T6_T7_T9_mT8_S1H_bDpT10_ENKUlT_T0_E_clISt17integral_constantIbLb1EES1U_IbLb0EEEEDaS1Q_S1R_EUlS1Q_E_NS1_11comp_targetILNS1_3genE3ELNS1_11target_archE908ELNS1_3gpuE7ELNS1_3repE0EEENS1_30default_config_static_selectorELNS0_4arch9wavefront6targetE0EEEvS13_
; %bb.0:
	.section	.rodata,"a",@progbits
	.p2align	6, 0x0
	.amdhsa_kernel _ZN7rocprim17ROCPRIM_400000_NS6detail17trampoline_kernelINS0_13select_configILj256ELj13ELNS0_17block_load_methodE3ELS4_3ELS4_3ELNS0_20block_scan_algorithmE0ELj4294967295EEENS1_25partition_config_selectorILNS1_17partition_subalgoE4EjNS0_10empty_typeEbEEZZNS1_14partition_implILS8_4ELb0ES6_15HIP_vector_typeIjLj2EENS0_17counting_iteratorIjlEEPS9_SG_NS0_5tupleIJPjSI_NS0_16reverse_iteratorISI_EEEEENSH_IJSG_SG_SG_EEES9_SI_JZNS1_25segmented_radix_sort_implINS0_14default_configELb1EPK12hip_bfloat16PSP_PKlPlN2at6native12_GLOBAL__N_18offset_tEEE10hipError_tPvRmT1_PNSt15iterator_traitsIS13_E10value_typeET2_T3_PNS14_IS19_E10value_typeET4_jRbjT5_S1F_jjP12ihipStream_tbEUljE_ZNSN_ISO_Lb1ESR_SS_SU_SV_SZ_EES10_S11_S12_S13_S17_S18_S19_S1C_S1D_jS1E_jS1F_S1F_jjS1H_bEUljE0_EEES10_S11_S12_S19_S1D_S1F_T6_T7_T9_mT8_S1H_bDpT10_ENKUlT_T0_E_clISt17integral_constantIbLb1EES1U_IbLb0EEEEDaS1Q_S1R_EUlS1Q_E_NS1_11comp_targetILNS1_3genE3ELNS1_11target_archE908ELNS1_3gpuE7ELNS1_3repE0EEENS1_30default_config_static_selectorELNS0_4arch9wavefront6targetE0EEEvS13_
		.amdhsa_group_segment_fixed_size 0
		.amdhsa_private_segment_fixed_size 0
		.amdhsa_kernarg_size 176
		.amdhsa_user_sgpr_count 15
		.amdhsa_user_sgpr_dispatch_ptr 0
		.amdhsa_user_sgpr_queue_ptr 0
		.amdhsa_user_sgpr_kernarg_segment_ptr 1
		.amdhsa_user_sgpr_dispatch_id 0
		.amdhsa_user_sgpr_private_segment_size 0
		.amdhsa_wavefront_size32 1
		.amdhsa_uses_dynamic_stack 0
		.amdhsa_enable_private_segment 0
		.amdhsa_system_sgpr_workgroup_id_x 1
		.amdhsa_system_sgpr_workgroup_id_y 0
		.amdhsa_system_sgpr_workgroup_id_z 0
		.amdhsa_system_sgpr_workgroup_info 0
		.amdhsa_system_vgpr_workitem_id 0
		.amdhsa_next_free_vgpr 1
		.amdhsa_next_free_sgpr 1
		.amdhsa_reserve_vcc 0
		.amdhsa_float_round_mode_32 0
		.amdhsa_float_round_mode_16_64 0
		.amdhsa_float_denorm_mode_32 3
		.amdhsa_float_denorm_mode_16_64 3
		.amdhsa_dx10_clamp 1
		.amdhsa_ieee_mode 1
		.amdhsa_fp16_overflow 0
		.amdhsa_workgroup_processor_mode 1
		.amdhsa_memory_ordered 1
		.amdhsa_forward_progress 0
		.amdhsa_shared_vgpr_count 0
		.amdhsa_exception_fp_ieee_invalid_op 0
		.amdhsa_exception_fp_denorm_src 0
		.amdhsa_exception_fp_ieee_div_zero 0
		.amdhsa_exception_fp_ieee_overflow 0
		.amdhsa_exception_fp_ieee_underflow 0
		.amdhsa_exception_fp_ieee_inexact 0
		.amdhsa_exception_int_div_zero 0
	.end_amdhsa_kernel
	.section	.text._ZN7rocprim17ROCPRIM_400000_NS6detail17trampoline_kernelINS0_13select_configILj256ELj13ELNS0_17block_load_methodE3ELS4_3ELS4_3ELNS0_20block_scan_algorithmE0ELj4294967295EEENS1_25partition_config_selectorILNS1_17partition_subalgoE4EjNS0_10empty_typeEbEEZZNS1_14partition_implILS8_4ELb0ES6_15HIP_vector_typeIjLj2EENS0_17counting_iteratorIjlEEPS9_SG_NS0_5tupleIJPjSI_NS0_16reverse_iteratorISI_EEEEENSH_IJSG_SG_SG_EEES9_SI_JZNS1_25segmented_radix_sort_implINS0_14default_configELb1EPK12hip_bfloat16PSP_PKlPlN2at6native12_GLOBAL__N_18offset_tEEE10hipError_tPvRmT1_PNSt15iterator_traitsIS13_E10value_typeET2_T3_PNS14_IS19_E10value_typeET4_jRbjT5_S1F_jjP12ihipStream_tbEUljE_ZNSN_ISO_Lb1ESR_SS_SU_SV_SZ_EES10_S11_S12_S13_S17_S18_S19_S1C_S1D_jS1E_jS1F_S1F_jjS1H_bEUljE0_EEES10_S11_S12_S19_S1D_S1F_T6_T7_T9_mT8_S1H_bDpT10_ENKUlT_T0_E_clISt17integral_constantIbLb1EES1U_IbLb0EEEEDaS1Q_S1R_EUlS1Q_E_NS1_11comp_targetILNS1_3genE3ELNS1_11target_archE908ELNS1_3gpuE7ELNS1_3repE0EEENS1_30default_config_static_selectorELNS0_4arch9wavefront6targetE0EEEvS13_,"axG",@progbits,_ZN7rocprim17ROCPRIM_400000_NS6detail17trampoline_kernelINS0_13select_configILj256ELj13ELNS0_17block_load_methodE3ELS4_3ELS4_3ELNS0_20block_scan_algorithmE0ELj4294967295EEENS1_25partition_config_selectorILNS1_17partition_subalgoE4EjNS0_10empty_typeEbEEZZNS1_14partition_implILS8_4ELb0ES6_15HIP_vector_typeIjLj2EENS0_17counting_iteratorIjlEEPS9_SG_NS0_5tupleIJPjSI_NS0_16reverse_iteratorISI_EEEEENSH_IJSG_SG_SG_EEES9_SI_JZNS1_25segmented_radix_sort_implINS0_14default_configELb1EPK12hip_bfloat16PSP_PKlPlN2at6native12_GLOBAL__N_18offset_tEEE10hipError_tPvRmT1_PNSt15iterator_traitsIS13_E10value_typeET2_T3_PNS14_IS19_E10value_typeET4_jRbjT5_S1F_jjP12ihipStream_tbEUljE_ZNSN_ISO_Lb1ESR_SS_SU_SV_SZ_EES10_S11_S12_S13_S17_S18_S19_S1C_S1D_jS1E_jS1F_S1F_jjS1H_bEUljE0_EEES10_S11_S12_S19_S1D_S1F_T6_T7_T9_mT8_S1H_bDpT10_ENKUlT_T0_E_clISt17integral_constantIbLb1EES1U_IbLb0EEEEDaS1Q_S1R_EUlS1Q_E_NS1_11comp_targetILNS1_3genE3ELNS1_11target_archE908ELNS1_3gpuE7ELNS1_3repE0EEENS1_30default_config_static_selectorELNS0_4arch9wavefront6targetE0EEEvS13_,comdat
.Lfunc_end1901:
	.size	_ZN7rocprim17ROCPRIM_400000_NS6detail17trampoline_kernelINS0_13select_configILj256ELj13ELNS0_17block_load_methodE3ELS4_3ELS4_3ELNS0_20block_scan_algorithmE0ELj4294967295EEENS1_25partition_config_selectorILNS1_17partition_subalgoE4EjNS0_10empty_typeEbEEZZNS1_14partition_implILS8_4ELb0ES6_15HIP_vector_typeIjLj2EENS0_17counting_iteratorIjlEEPS9_SG_NS0_5tupleIJPjSI_NS0_16reverse_iteratorISI_EEEEENSH_IJSG_SG_SG_EEES9_SI_JZNS1_25segmented_radix_sort_implINS0_14default_configELb1EPK12hip_bfloat16PSP_PKlPlN2at6native12_GLOBAL__N_18offset_tEEE10hipError_tPvRmT1_PNSt15iterator_traitsIS13_E10value_typeET2_T3_PNS14_IS19_E10value_typeET4_jRbjT5_S1F_jjP12ihipStream_tbEUljE_ZNSN_ISO_Lb1ESR_SS_SU_SV_SZ_EES10_S11_S12_S13_S17_S18_S19_S1C_S1D_jS1E_jS1F_S1F_jjS1H_bEUljE0_EEES10_S11_S12_S19_S1D_S1F_T6_T7_T9_mT8_S1H_bDpT10_ENKUlT_T0_E_clISt17integral_constantIbLb1EES1U_IbLb0EEEEDaS1Q_S1R_EUlS1Q_E_NS1_11comp_targetILNS1_3genE3ELNS1_11target_archE908ELNS1_3gpuE7ELNS1_3repE0EEENS1_30default_config_static_selectorELNS0_4arch9wavefront6targetE0EEEvS13_, .Lfunc_end1901-_ZN7rocprim17ROCPRIM_400000_NS6detail17trampoline_kernelINS0_13select_configILj256ELj13ELNS0_17block_load_methodE3ELS4_3ELS4_3ELNS0_20block_scan_algorithmE0ELj4294967295EEENS1_25partition_config_selectorILNS1_17partition_subalgoE4EjNS0_10empty_typeEbEEZZNS1_14partition_implILS8_4ELb0ES6_15HIP_vector_typeIjLj2EENS0_17counting_iteratorIjlEEPS9_SG_NS0_5tupleIJPjSI_NS0_16reverse_iteratorISI_EEEEENSH_IJSG_SG_SG_EEES9_SI_JZNS1_25segmented_radix_sort_implINS0_14default_configELb1EPK12hip_bfloat16PSP_PKlPlN2at6native12_GLOBAL__N_18offset_tEEE10hipError_tPvRmT1_PNSt15iterator_traitsIS13_E10value_typeET2_T3_PNS14_IS19_E10value_typeET4_jRbjT5_S1F_jjP12ihipStream_tbEUljE_ZNSN_ISO_Lb1ESR_SS_SU_SV_SZ_EES10_S11_S12_S13_S17_S18_S19_S1C_S1D_jS1E_jS1F_S1F_jjS1H_bEUljE0_EEES10_S11_S12_S19_S1D_S1F_T6_T7_T9_mT8_S1H_bDpT10_ENKUlT_T0_E_clISt17integral_constantIbLb1EES1U_IbLb0EEEEDaS1Q_S1R_EUlS1Q_E_NS1_11comp_targetILNS1_3genE3ELNS1_11target_archE908ELNS1_3gpuE7ELNS1_3repE0EEENS1_30default_config_static_selectorELNS0_4arch9wavefront6targetE0EEEvS13_
                                        ; -- End function
	.section	.AMDGPU.csdata,"",@progbits
; Kernel info:
; codeLenInByte = 0
; NumSgprs: 0
; NumVgprs: 0
; ScratchSize: 0
; MemoryBound: 0
; FloatMode: 240
; IeeeMode: 1
; LDSByteSize: 0 bytes/workgroup (compile time only)
; SGPRBlocks: 0
; VGPRBlocks: 0
; NumSGPRsForWavesPerEU: 1
; NumVGPRsForWavesPerEU: 1
; Occupancy: 16
; WaveLimiterHint : 0
; COMPUTE_PGM_RSRC2:SCRATCH_EN: 0
; COMPUTE_PGM_RSRC2:USER_SGPR: 15
; COMPUTE_PGM_RSRC2:TRAP_HANDLER: 0
; COMPUTE_PGM_RSRC2:TGID_X_EN: 1
; COMPUTE_PGM_RSRC2:TGID_Y_EN: 0
; COMPUTE_PGM_RSRC2:TGID_Z_EN: 0
; COMPUTE_PGM_RSRC2:TIDIG_COMP_CNT: 0
	.section	.text._ZN7rocprim17ROCPRIM_400000_NS6detail17trampoline_kernelINS0_13select_configILj256ELj13ELNS0_17block_load_methodE3ELS4_3ELS4_3ELNS0_20block_scan_algorithmE0ELj4294967295EEENS1_25partition_config_selectorILNS1_17partition_subalgoE4EjNS0_10empty_typeEbEEZZNS1_14partition_implILS8_4ELb0ES6_15HIP_vector_typeIjLj2EENS0_17counting_iteratorIjlEEPS9_SG_NS0_5tupleIJPjSI_NS0_16reverse_iteratorISI_EEEEENSH_IJSG_SG_SG_EEES9_SI_JZNS1_25segmented_radix_sort_implINS0_14default_configELb1EPK12hip_bfloat16PSP_PKlPlN2at6native12_GLOBAL__N_18offset_tEEE10hipError_tPvRmT1_PNSt15iterator_traitsIS13_E10value_typeET2_T3_PNS14_IS19_E10value_typeET4_jRbjT5_S1F_jjP12ihipStream_tbEUljE_ZNSN_ISO_Lb1ESR_SS_SU_SV_SZ_EES10_S11_S12_S13_S17_S18_S19_S1C_S1D_jS1E_jS1F_S1F_jjS1H_bEUljE0_EEES10_S11_S12_S19_S1D_S1F_T6_T7_T9_mT8_S1H_bDpT10_ENKUlT_T0_E_clISt17integral_constantIbLb1EES1U_IbLb0EEEEDaS1Q_S1R_EUlS1Q_E_NS1_11comp_targetILNS1_3genE2ELNS1_11target_archE906ELNS1_3gpuE6ELNS1_3repE0EEENS1_30default_config_static_selectorELNS0_4arch9wavefront6targetE0EEEvS13_,"axG",@progbits,_ZN7rocprim17ROCPRIM_400000_NS6detail17trampoline_kernelINS0_13select_configILj256ELj13ELNS0_17block_load_methodE3ELS4_3ELS4_3ELNS0_20block_scan_algorithmE0ELj4294967295EEENS1_25partition_config_selectorILNS1_17partition_subalgoE4EjNS0_10empty_typeEbEEZZNS1_14partition_implILS8_4ELb0ES6_15HIP_vector_typeIjLj2EENS0_17counting_iteratorIjlEEPS9_SG_NS0_5tupleIJPjSI_NS0_16reverse_iteratorISI_EEEEENSH_IJSG_SG_SG_EEES9_SI_JZNS1_25segmented_radix_sort_implINS0_14default_configELb1EPK12hip_bfloat16PSP_PKlPlN2at6native12_GLOBAL__N_18offset_tEEE10hipError_tPvRmT1_PNSt15iterator_traitsIS13_E10value_typeET2_T3_PNS14_IS19_E10value_typeET4_jRbjT5_S1F_jjP12ihipStream_tbEUljE_ZNSN_ISO_Lb1ESR_SS_SU_SV_SZ_EES10_S11_S12_S13_S17_S18_S19_S1C_S1D_jS1E_jS1F_S1F_jjS1H_bEUljE0_EEES10_S11_S12_S19_S1D_S1F_T6_T7_T9_mT8_S1H_bDpT10_ENKUlT_T0_E_clISt17integral_constantIbLb1EES1U_IbLb0EEEEDaS1Q_S1R_EUlS1Q_E_NS1_11comp_targetILNS1_3genE2ELNS1_11target_archE906ELNS1_3gpuE6ELNS1_3repE0EEENS1_30default_config_static_selectorELNS0_4arch9wavefront6targetE0EEEvS13_,comdat
	.globl	_ZN7rocprim17ROCPRIM_400000_NS6detail17trampoline_kernelINS0_13select_configILj256ELj13ELNS0_17block_load_methodE3ELS4_3ELS4_3ELNS0_20block_scan_algorithmE0ELj4294967295EEENS1_25partition_config_selectorILNS1_17partition_subalgoE4EjNS0_10empty_typeEbEEZZNS1_14partition_implILS8_4ELb0ES6_15HIP_vector_typeIjLj2EENS0_17counting_iteratorIjlEEPS9_SG_NS0_5tupleIJPjSI_NS0_16reverse_iteratorISI_EEEEENSH_IJSG_SG_SG_EEES9_SI_JZNS1_25segmented_radix_sort_implINS0_14default_configELb1EPK12hip_bfloat16PSP_PKlPlN2at6native12_GLOBAL__N_18offset_tEEE10hipError_tPvRmT1_PNSt15iterator_traitsIS13_E10value_typeET2_T3_PNS14_IS19_E10value_typeET4_jRbjT5_S1F_jjP12ihipStream_tbEUljE_ZNSN_ISO_Lb1ESR_SS_SU_SV_SZ_EES10_S11_S12_S13_S17_S18_S19_S1C_S1D_jS1E_jS1F_S1F_jjS1H_bEUljE0_EEES10_S11_S12_S19_S1D_S1F_T6_T7_T9_mT8_S1H_bDpT10_ENKUlT_T0_E_clISt17integral_constantIbLb1EES1U_IbLb0EEEEDaS1Q_S1R_EUlS1Q_E_NS1_11comp_targetILNS1_3genE2ELNS1_11target_archE906ELNS1_3gpuE6ELNS1_3repE0EEENS1_30default_config_static_selectorELNS0_4arch9wavefront6targetE0EEEvS13_ ; -- Begin function _ZN7rocprim17ROCPRIM_400000_NS6detail17trampoline_kernelINS0_13select_configILj256ELj13ELNS0_17block_load_methodE3ELS4_3ELS4_3ELNS0_20block_scan_algorithmE0ELj4294967295EEENS1_25partition_config_selectorILNS1_17partition_subalgoE4EjNS0_10empty_typeEbEEZZNS1_14partition_implILS8_4ELb0ES6_15HIP_vector_typeIjLj2EENS0_17counting_iteratorIjlEEPS9_SG_NS0_5tupleIJPjSI_NS0_16reverse_iteratorISI_EEEEENSH_IJSG_SG_SG_EEES9_SI_JZNS1_25segmented_radix_sort_implINS0_14default_configELb1EPK12hip_bfloat16PSP_PKlPlN2at6native12_GLOBAL__N_18offset_tEEE10hipError_tPvRmT1_PNSt15iterator_traitsIS13_E10value_typeET2_T3_PNS14_IS19_E10value_typeET4_jRbjT5_S1F_jjP12ihipStream_tbEUljE_ZNSN_ISO_Lb1ESR_SS_SU_SV_SZ_EES10_S11_S12_S13_S17_S18_S19_S1C_S1D_jS1E_jS1F_S1F_jjS1H_bEUljE0_EEES10_S11_S12_S19_S1D_S1F_T6_T7_T9_mT8_S1H_bDpT10_ENKUlT_T0_E_clISt17integral_constantIbLb1EES1U_IbLb0EEEEDaS1Q_S1R_EUlS1Q_E_NS1_11comp_targetILNS1_3genE2ELNS1_11target_archE906ELNS1_3gpuE6ELNS1_3repE0EEENS1_30default_config_static_selectorELNS0_4arch9wavefront6targetE0EEEvS13_
	.p2align	8
	.type	_ZN7rocprim17ROCPRIM_400000_NS6detail17trampoline_kernelINS0_13select_configILj256ELj13ELNS0_17block_load_methodE3ELS4_3ELS4_3ELNS0_20block_scan_algorithmE0ELj4294967295EEENS1_25partition_config_selectorILNS1_17partition_subalgoE4EjNS0_10empty_typeEbEEZZNS1_14partition_implILS8_4ELb0ES6_15HIP_vector_typeIjLj2EENS0_17counting_iteratorIjlEEPS9_SG_NS0_5tupleIJPjSI_NS0_16reverse_iteratorISI_EEEEENSH_IJSG_SG_SG_EEES9_SI_JZNS1_25segmented_radix_sort_implINS0_14default_configELb1EPK12hip_bfloat16PSP_PKlPlN2at6native12_GLOBAL__N_18offset_tEEE10hipError_tPvRmT1_PNSt15iterator_traitsIS13_E10value_typeET2_T3_PNS14_IS19_E10value_typeET4_jRbjT5_S1F_jjP12ihipStream_tbEUljE_ZNSN_ISO_Lb1ESR_SS_SU_SV_SZ_EES10_S11_S12_S13_S17_S18_S19_S1C_S1D_jS1E_jS1F_S1F_jjS1H_bEUljE0_EEES10_S11_S12_S19_S1D_S1F_T6_T7_T9_mT8_S1H_bDpT10_ENKUlT_T0_E_clISt17integral_constantIbLb1EES1U_IbLb0EEEEDaS1Q_S1R_EUlS1Q_E_NS1_11comp_targetILNS1_3genE2ELNS1_11target_archE906ELNS1_3gpuE6ELNS1_3repE0EEENS1_30default_config_static_selectorELNS0_4arch9wavefront6targetE0EEEvS13_,@function
_ZN7rocprim17ROCPRIM_400000_NS6detail17trampoline_kernelINS0_13select_configILj256ELj13ELNS0_17block_load_methodE3ELS4_3ELS4_3ELNS0_20block_scan_algorithmE0ELj4294967295EEENS1_25partition_config_selectorILNS1_17partition_subalgoE4EjNS0_10empty_typeEbEEZZNS1_14partition_implILS8_4ELb0ES6_15HIP_vector_typeIjLj2EENS0_17counting_iteratorIjlEEPS9_SG_NS0_5tupleIJPjSI_NS0_16reverse_iteratorISI_EEEEENSH_IJSG_SG_SG_EEES9_SI_JZNS1_25segmented_radix_sort_implINS0_14default_configELb1EPK12hip_bfloat16PSP_PKlPlN2at6native12_GLOBAL__N_18offset_tEEE10hipError_tPvRmT1_PNSt15iterator_traitsIS13_E10value_typeET2_T3_PNS14_IS19_E10value_typeET4_jRbjT5_S1F_jjP12ihipStream_tbEUljE_ZNSN_ISO_Lb1ESR_SS_SU_SV_SZ_EES10_S11_S12_S13_S17_S18_S19_S1C_S1D_jS1E_jS1F_S1F_jjS1H_bEUljE0_EEES10_S11_S12_S19_S1D_S1F_T6_T7_T9_mT8_S1H_bDpT10_ENKUlT_T0_E_clISt17integral_constantIbLb1EES1U_IbLb0EEEEDaS1Q_S1R_EUlS1Q_E_NS1_11comp_targetILNS1_3genE2ELNS1_11target_archE906ELNS1_3gpuE6ELNS1_3repE0EEENS1_30default_config_static_selectorELNS0_4arch9wavefront6targetE0EEEvS13_: ; @_ZN7rocprim17ROCPRIM_400000_NS6detail17trampoline_kernelINS0_13select_configILj256ELj13ELNS0_17block_load_methodE3ELS4_3ELS4_3ELNS0_20block_scan_algorithmE0ELj4294967295EEENS1_25partition_config_selectorILNS1_17partition_subalgoE4EjNS0_10empty_typeEbEEZZNS1_14partition_implILS8_4ELb0ES6_15HIP_vector_typeIjLj2EENS0_17counting_iteratorIjlEEPS9_SG_NS0_5tupleIJPjSI_NS0_16reverse_iteratorISI_EEEEENSH_IJSG_SG_SG_EEES9_SI_JZNS1_25segmented_radix_sort_implINS0_14default_configELb1EPK12hip_bfloat16PSP_PKlPlN2at6native12_GLOBAL__N_18offset_tEEE10hipError_tPvRmT1_PNSt15iterator_traitsIS13_E10value_typeET2_T3_PNS14_IS19_E10value_typeET4_jRbjT5_S1F_jjP12ihipStream_tbEUljE_ZNSN_ISO_Lb1ESR_SS_SU_SV_SZ_EES10_S11_S12_S13_S17_S18_S19_S1C_S1D_jS1E_jS1F_S1F_jjS1H_bEUljE0_EEES10_S11_S12_S19_S1D_S1F_T6_T7_T9_mT8_S1H_bDpT10_ENKUlT_T0_E_clISt17integral_constantIbLb1EES1U_IbLb0EEEEDaS1Q_S1R_EUlS1Q_E_NS1_11comp_targetILNS1_3genE2ELNS1_11target_archE906ELNS1_3gpuE6ELNS1_3repE0EEENS1_30default_config_static_selectorELNS0_4arch9wavefront6targetE0EEEvS13_
; %bb.0:
	.section	.rodata,"a",@progbits
	.p2align	6, 0x0
	.amdhsa_kernel _ZN7rocprim17ROCPRIM_400000_NS6detail17trampoline_kernelINS0_13select_configILj256ELj13ELNS0_17block_load_methodE3ELS4_3ELS4_3ELNS0_20block_scan_algorithmE0ELj4294967295EEENS1_25partition_config_selectorILNS1_17partition_subalgoE4EjNS0_10empty_typeEbEEZZNS1_14partition_implILS8_4ELb0ES6_15HIP_vector_typeIjLj2EENS0_17counting_iteratorIjlEEPS9_SG_NS0_5tupleIJPjSI_NS0_16reverse_iteratorISI_EEEEENSH_IJSG_SG_SG_EEES9_SI_JZNS1_25segmented_radix_sort_implINS0_14default_configELb1EPK12hip_bfloat16PSP_PKlPlN2at6native12_GLOBAL__N_18offset_tEEE10hipError_tPvRmT1_PNSt15iterator_traitsIS13_E10value_typeET2_T3_PNS14_IS19_E10value_typeET4_jRbjT5_S1F_jjP12ihipStream_tbEUljE_ZNSN_ISO_Lb1ESR_SS_SU_SV_SZ_EES10_S11_S12_S13_S17_S18_S19_S1C_S1D_jS1E_jS1F_S1F_jjS1H_bEUljE0_EEES10_S11_S12_S19_S1D_S1F_T6_T7_T9_mT8_S1H_bDpT10_ENKUlT_T0_E_clISt17integral_constantIbLb1EES1U_IbLb0EEEEDaS1Q_S1R_EUlS1Q_E_NS1_11comp_targetILNS1_3genE2ELNS1_11target_archE906ELNS1_3gpuE6ELNS1_3repE0EEENS1_30default_config_static_selectorELNS0_4arch9wavefront6targetE0EEEvS13_
		.amdhsa_group_segment_fixed_size 0
		.amdhsa_private_segment_fixed_size 0
		.amdhsa_kernarg_size 176
		.amdhsa_user_sgpr_count 15
		.amdhsa_user_sgpr_dispatch_ptr 0
		.amdhsa_user_sgpr_queue_ptr 0
		.amdhsa_user_sgpr_kernarg_segment_ptr 1
		.amdhsa_user_sgpr_dispatch_id 0
		.amdhsa_user_sgpr_private_segment_size 0
		.amdhsa_wavefront_size32 1
		.amdhsa_uses_dynamic_stack 0
		.amdhsa_enable_private_segment 0
		.amdhsa_system_sgpr_workgroup_id_x 1
		.amdhsa_system_sgpr_workgroup_id_y 0
		.amdhsa_system_sgpr_workgroup_id_z 0
		.amdhsa_system_sgpr_workgroup_info 0
		.amdhsa_system_vgpr_workitem_id 0
		.amdhsa_next_free_vgpr 1
		.amdhsa_next_free_sgpr 1
		.amdhsa_reserve_vcc 0
		.amdhsa_float_round_mode_32 0
		.amdhsa_float_round_mode_16_64 0
		.amdhsa_float_denorm_mode_32 3
		.amdhsa_float_denorm_mode_16_64 3
		.amdhsa_dx10_clamp 1
		.amdhsa_ieee_mode 1
		.amdhsa_fp16_overflow 0
		.amdhsa_workgroup_processor_mode 1
		.amdhsa_memory_ordered 1
		.amdhsa_forward_progress 0
		.amdhsa_shared_vgpr_count 0
		.amdhsa_exception_fp_ieee_invalid_op 0
		.amdhsa_exception_fp_denorm_src 0
		.amdhsa_exception_fp_ieee_div_zero 0
		.amdhsa_exception_fp_ieee_overflow 0
		.amdhsa_exception_fp_ieee_underflow 0
		.amdhsa_exception_fp_ieee_inexact 0
		.amdhsa_exception_int_div_zero 0
	.end_amdhsa_kernel
	.section	.text._ZN7rocprim17ROCPRIM_400000_NS6detail17trampoline_kernelINS0_13select_configILj256ELj13ELNS0_17block_load_methodE3ELS4_3ELS4_3ELNS0_20block_scan_algorithmE0ELj4294967295EEENS1_25partition_config_selectorILNS1_17partition_subalgoE4EjNS0_10empty_typeEbEEZZNS1_14partition_implILS8_4ELb0ES6_15HIP_vector_typeIjLj2EENS0_17counting_iteratorIjlEEPS9_SG_NS0_5tupleIJPjSI_NS0_16reverse_iteratorISI_EEEEENSH_IJSG_SG_SG_EEES9_SI_JZNS1_25segmented_radix_sort_implINS0_14default_configELb1EPK12hip_bfloat16PSP_PKlPlN2at6native12_GLOBAL__N_18offset_tEEE10hipError_tPvRmT1_PNSt15iterator_traitsIS13_E10value_typeET2_T3_PNS14_IS19_E10value_typeET4_jRbjT5_S1F_jjP12ihipStream_tbEUljE_ZNSN_ISO_Lb1ESR_SS_SU_SV_SZ_EES10_S11_S12_S13_S17_S18_S19_S1C_S1D_jS1E_jS1F_S1F_jjS1H_bEUljE0_EEES10_S11_S12_S19_S1D_S1F_T6_T7_T9_mT8_S1H_bDpT10_ENKUlT_T0_E_clISt17integral_constantIbLb1EES1U_IbLb0EEEEDaS1Q_S1R_EUlS1Q_E_NS1_11comp_targetILNS1_3genE2ELNS1_11target_archE906ELNS1_3gpuE6ELNS1_3repE0EEENS1_30default_config_static_selectorELNS0_4arch9wavefront6targetE0EEEvS13_,"axG",@progbits,_ZN7rocprim17ROCPRIM_400000_NS6detail17trampoline_kernelINS0_13select_configILj256ELj13ELNS0_17block_load_methodE3ELS4_3ELS4_3ELNS0_20block_scan_algorithmE0ELj4294967295EEENS1_25partition_config_selectorILNS1_17partition_subalgoE4EjNS0_10empty_typeEbEEZZNS1_14partition_implILS8_4ELb0ES6_15HIP_vector_typeIjLj2EENS0_17counting_iteratorIjlEEPS9_SG_NS0_5tupleIJPjSI_NS0_16reverse_iteratorISI_EEEEENSH_IJSG_SG_SG_EEES9_SI_JZNS1_25segmented_radix_sort_implINS0_14default_configELb1EPK12hip_bfloat16PSP_PKlPlN2at6native12_GLOBAL__N_18offset_tEEE10hipError_tPvRmT1_PNSt15iterator_traitsIS13_E10value_typeET2_T3_PNS14_IS19_E10value_typeET4_jRbjT5_S1F_jjP12ihipStream_tbEUljE_ZNSN_ISO_Lb1ESR_SS_SU_SV_SZ_EES10_S11_S12_S13_S17_S18_S19_S1C_S1D_jS1E_jS1F_S1F_jjS1H_bEUljE0_EEES10_S11_S12_S19_S1D_S1F_T6_T7_T9_mT8_S1H_bDpT10_ENKUlT_T0_E_clISt17integral_constantIbLb1EES1U_IbLb0EEEEDaS1Q_S1R_EUlS1Q_E_NS1_11comp_targetILNS1_3genE2ELNS1_11target_archE906ELNS1_3gpuE6ELNS1_3repE0EEENS1_30default_config_static_selectorELNS0_4arch9wavefront6targetE0EEEvS13_,comdat
.Lfunc_end1902:
	.size	_ZN7rocprim17ROCPRIM_400000_NS6detail17trampoline_kernelINS0_13select_configILj256ELj13ELNS0_17block_load_methodE3ELS4_3ELS4_3ELNS0_20block_scan_algorithmE0ELj4294967295EEENS1_25partition_config_selectorILNS1_17partition_subalgoE4EjNS0_10empty_typeEbEEZZNS1_14partition_implILS8_4ELb0ES6_15HIP_vector_typeIjLj2EENS0_17counting_iteratorIjlEEPS9_SG_NS0_5tupleIJPjSI_NS0_16reverse_iteratorISI_EEEEENSH_IJSG_SG_SG_EEES9_SI_JZNS1_25segmented_radix_sort_implINS0_14default_configELb1EPK12hip_bfloat16PSP_PKlPlN2at6native12_GLOBAL__N_18offset_tEEE10hipError_tPvRmT1_PNSt15iterator_traitsIS13_E10value_typeET2_T3_PNS14_IS19_E10value_typeET4_jRbjT5_S1F_jjP12ihipStream_tbEUljE_ZNSN_ISO_Lb1ESR_SS_SU_SV_SZ_EES10_S11_S12_S13_S17_S18_S19_S1C_S1D_jS1E_jS1F_S1F_jjS1H_bEUljE0_EEES10_S11_S12_S19_S1D_S1F_T6_T7_T9_mT8_S1H_bDpT10_ENKUlT_T0_E_clISt17integral_constantIbLb1EES1U_IbLb0EEEEDaS1Q_S1R_EUlS1Q_E_NS1_11comp_targetILNS1_3genE2ELNS1_11target_archE906ELNS1_3gpuE6ELNS1_3repE0EEENS1_30default_config_static_selectorELNS0_4arch9wavefront6targetE0EEEvS13_, .Lfunc_end1902-_ZN7rocprim17ROCPRIM_400000_NS6detail17trampoline_kernelINS0_13select_configILj256ELj13ELNS0_17block_load_methodE3ELS4_3ELS4_3ELNS0_20block_scan_algorithmE0ELj4294967295EEENS1_25partition_config_selectorILNS1_17partition_subalgoE4EjNS0_10empty_typeEbEEZZNS1_14partition_implILS8_4ELb0ES6_15HIP_vector_typeIjLj2EENS0_17counting_iteratorIjlEEPS9_SG_NS0_5tupleIJPjSI_NS0_16reverse_iteratorISI_EEEEENSH_IJSG_SG_SG_EEES9_SI_JZNS1_25segmented_radix_sort_implINS0_14default_configELb1EPK12hip_bfloat16PSP_PKlPlN2at6native12_GLOBAL__N_18offset_tEEE10hipError_tPvRmT1_PNSt15iterator_traitsIS13_E10value_typeET2_T3_PNS14_IS19_E10value_typeET4_jRbjT5_S1F_jjP12ihipStream_tbEUljE_ZNSN_ISO_Lb1ESR_SS_SU_SV_SZ_EES10_S11_S12_S13_S17_S18_S19_S1C_S1D_jS1E_jS1F_S1F_jjS1H_bEUljE0_EEES10_S11_S12_S19_S1D_S1F_T6_T7_T9_mT8_S1H_bDpT10_ENKUlT_T0_E_clISt17integral_constantIbLb1EES1U_IbLb0EEEEDaS1Q_S1R_EUlS1Q_E_NS1_11comp_targetILNS1_3genE2ELNS1_11target_archE906ELNS1_3gpuE6ELNS1_3repE0EEENS1_30default_config_static_selectorELNS0_4arch9wavefront6targetE0EEEvS13_
                                        ; -- End function
	.section	.AMDGPU.csdata,"",@progbits
; Kernel info:
; codeLenInByte = 0
; NumSgprs: 0
; NumVgprs: 0
; ScratchSize: 0
; MemoryBound: 0
; FloatMode: 240
; IeeeMode: 1
; LDSByteSize: 0 bytes/workgroup (compile time only)
; SGPRBlocks: 0
; VGPRBlocks: 0
; NumSGPRsForWavesPerEU: 1
; NumVGPRsForWavesPerEU: 1
; Occupancy: 16
; WaveLimiterHint : 0
; COMPUTE_PGM_RSRC2:SCRATCH_EN: 0
; COMPUTE_PGM_RSRC2:USER_SGPR: 15
; COMPUTE_PGM_RSRC2:TRAP_HANDLER: 0
; COMPUTE_PGM_RSRC2:TGID_X_EN: 1
; COMPUTE_PGM_RSRC2:TGID_Y_EN: 0
; COMPUTE_PGM_RSRC2:TGID_Z_EN: 0
; COMPUTE_PGM_RSRC2:TIDIG_COMP_CNT: 0
	.section	.text._ZN7rocprim17ROCPRIM_400000_NS6detail17trampoline_kernelINS0_13select_configILj256ELj13ELNS0_17block_load_methodE3ELS4_3ELS4_3ELNS0_20block_scan_algorithmE0ELj4294967295EEENS1_25partition_config_selectorILNS1_17partition_subalgoE4EjNS0_10empty_typeEbEEZZNS1_14partition_implILS8_4ELb0ES6_15HIP_vector_typeIjLj2EENS0_17counting_iteratorIjlEEPS9_SG_NS0_5tupleIJPjSI_NS0_16reverse_iteratorISI_EEEEENSH_IJSG_SG_SG_EEES9_SI_JZNS1_25segmented_radix_sort_implINS0_14default_configELb1EPK12hip_bfloat16PSP_PKlPlN2at6native12_GLOBAL__N_18offset_tEEE10hipError_tPvRmT1_PNSt15iterator_traitsIS13_E10value_typeET2_T3_PNS14_IS19_E10value_typeET4_jRbjT5_S1F_jjP12ihipStream_tbEUljE_ZNSN_ISO_Lb1ESR_SS_SU_SV_SZ_EES10_S11_S12_S13_S17_S18_S19_S1C_S1D_jS1E_jS1F_S1F_jjS1H_bEUljE0_EEES10_S11_S12_S19_S1D_S1F_T6_T7_T9_mT8_S1H_bDpT10_ENKUlT_T0_E_clISt17integral_constantIbLb1EES1U_IbLb0EEEEDaS1Q_S1R_EUlS1Q_E_NS1_11comp_targetILNS1_3genE10ELNS1_11target_archE1200ELNS1_3gpuE4ELNS1_3repE0EEENS1_30default_config_static_selectorELNS0_4arch9wavefront6targetE0EEEvS13_,"axG",@progbits,_ZN7rocprim17ROCPRIM_400000_NS6detail17trampoline_kernelINS0_13select_configILj256ELj13ELNS0_17block_load_methodE3ELS4_3ELS4_3ELNS0_20block_scan_algorithmE0ELj4294967295EEENS1_25partition_config_selectorILNS1_17partition_subalgoE4EjNS0_10empty_typeEbEEZZNS1_14partition_implILS8_4ELb0ES6_15HIP_vector_typeIjLj2EENS0_17counting_iteratorIjlEEPS9_SG_NS0_5tupleIJPjSI_NS0_16reverse_iteratorISI_EEEEENSH_IJSG_SG_SG_EEES9_SI_JZNS1_25segmented_radix_sort_implINS0_14default_configELb1EPK12hip_bfloat16PSP_PKlPlN2at6native12_GLOBAL__N_18offset_tEEE10hipError_tPvRmT1_PNSt15iterator_traitsIS13_E10value_typeET2_T3_PNS14_IS19_E10value_typeET4_jRbjT5_S1F_jjP12ihipStream_tbEUljE_ZNSN_ISO_Lb1ESR_SS_SU_SV_SZ_EES10_S11_S12_S13_S17_S18_S19_S1C_S1D_jS1E_jS1F_S1F_jjS1H_bEUljE0_EEES10_S11_S12_S19_S1D_S1F_T6_T7_T9_mT8_S1H_bDpT10_ENKUlT_T0_E_clISt17integral_constantIbLb1EES1U_IbLb0EEEEDaS1Q_S1R_EUlS1Q_E_NS1_11comp_targetILNS1_3genE10ELNS1_11target_archE1200ELNS1_3gpuE4ELNS1_3repE0EEENS1_30default_config_static_selectorELNS0_4arch9wavefront6targetE0EEEvS13_,comdat
	.globl	_ZN7rocprim17ROCPRIM_400000_NS6detail17trampoline_kernelINS0_13select_configILj256ELj13ELNS0_17block_load_methodE3ELS4_3ELS4_3ELNS0_20block_scan_algorithmE0ELj4294967295EEENS1_25partition_config_selectorILNS1_17partition_subalgoE4EjNS0_10empty_typeEbEEZZNS1_14partition_implILS8_4ELb0ES6_15HIP_vector_typeIjLj2EENS0_17counting_iteratorIjlEEPS9_SG_NS0_5tupleIJPjSI_NS0_16reverse_iteratorISI_EEEEENSH_IJSG_SG_SG_EEES9_SI_JZNS1_25segmented_radix_sort_implINS0_14default_configELb1EPK12hip_bfloat16PSP_PKlPlN2at6native12_GLOBAL__N_18offset_tEEE10hipError_tPvRmT1_PNSt15iterator_traitsIS13_E10value_typeET2_T3_PNS14_IS19_E10value_typeET4_jRbjT5_S1F_jjP12ihipStream_tbEUljE_ZNSN_ISO_Lb1ESR_SS_SU_SV_SZ_EES10_S11_S12_S13_S17_S18_S19_S1C_S1D_jS1E_jS1F_S1F_jjS1H_bEUljE0_EEES10_S11_S12_S19_S1D_S1F_T6_T7_T9_mT8_S1H_bDpT10_ENKUlT_T0_E_clISt17integral_constantIbLb1EES1U_IbLb0EEEEDaS1Q_S1R_EUlS1Q_E_NS1_11comp_targetILNS1_3genE10ELNS1_11target_archE1200ELNS1_3gpuE4ELNS1_3repE0EEENS1_30default_config_static_selectorELNS0_4arch9wavefront6targetE0EEEvS13_ ; -- Begin function _ZN7rocprim17ROCPRIM_400000_NS6detail17trampoline_kernelINS0_13select_configILj256ELj13ELNS0_17block_load_methodE3ELS4_3ELS4_3ELNS0_20block_scan_algorithmE0ELj4294967295EEENS1_25partition_config_selectorILNS1_17partition_subalgoE4EjNS0_10empty_typeEbEEZZNS1_14partition_implILS8_4ELb0ES6_15HIP_vector_typeIjLj2EENS0_17counting_iteratorIjlEEPS9_SG_NS0_5tupleIJPjSI_NS0_16reverse_iteratorISI_EEEEENSH_IJSG_SG_SG_EEES9_SI_JZNS1_25segmented_radix_sort_implINS0_14default_configELb1EPK12hip_bfloat16PSP_PKlPlN2at6native12_GLOBAL__N_18offset_tEEE10hipError_tPvRmT1_PNSt15iterator_traitsIS13_E10value_typeET2_T3_PNS14_IS19_E10value_typeET4_jRbjT5_S1F_jjP12ihipStream_tbEUljE_ZNSN_ISO_Lb1ESR_SS_SU_SV_SZ_EES10_S11_S12_S13_S17_S18_S19_S1C_S1D_jS1E_jS1F_S1F_jjS1H_bEUljE0_EEES10_S11_S12_S19_S1D_S1F_T6_T7_T9_mT8_S1H_bDpT10_ENKUlT_T0_E_clISt17integral_constantIbLb1EES1U_IbLb0EEEEDaS1Q_S1R_EUlS1Q_E_NS1_11comp_targetILNS1_3genE10ELNS1_11target_archE1200ELNS1_3gpuE4ELNS1_3repE0EEENS1_30default_config_static_selectorELNS0_4arch9wavefront6targetE0EEEvS13_
	.p2align	8
	.type	_ZN7rocprim17ROCPRIM_400000_NS6detail17trampoline_kernelINS0_13select_configILj256ELj13ELNS0_17block_load_methodE3ELS4_3ELS4_3ELNS0_20block_scan_algorithmE0ELj4294967295EEENS1_25partition_config_selectorILNS1_17partition_subalgoE4EjNS0_10empty_typeEbEEZZNS1_14partition_implILS8_4ELb0ES6_15HIP_vector_typeIjLj2EENS0_17counting_iteratorIjlEEPS9_SG_NS0_5tupleIJPjSI_NS0_16reverse_iteratorISI_EEEEENSH_IJSG_SG_SG_EEES9_SI_JZNS1_25segmented_radix_sort_implINS0_14default_configELb1EPK12hip_bfloat16PSP_PKlPlN2at6native12_GLOBAL__N_18offset_tEEE10hipError_tPvRmT1_PNSt15iterator_traitsIS13_E10value_typeET2_T3_PNS14_IS19_E10value_typeET4_jRbjT5_S1F_jjP12ihipStream_tbEUljE_ZNSN_ISO_Lb1ESR_SS_SU_SV_SZ_EES10_S11_S12_S13_S17_S18_S19_S1C_S1D_jS1E_jS1F_S1F_jjS1H_bEUljE0_EEES10_S11_S12_S19_S1D_S1F_T6_T7_T9_mT8_S1H_bDpT10_ENKUlT_T0_E_clISt17integral_constantIbLb1EES1U_IbLb0EEEEDaS1Q_S1R_EUlS1Q_E_NS1_11comp_targetILNS1_3genE10ELNS1_11target_archE1200ELNS1_3gpuE4ELNS1_3repE0EEENS1_30default_config_static_selectorELNS0_4arch9wavefront6targetE0EEEvS13_,@function
_ZN7rocprim17ROCPRIM_400000_NS6detail17trampoline_kernelINS0_13select_configILj256ELj13ELNS0_17block_load_methodE3ELS4_3ELS4_3ELNS0_20block_scan_algorithmE0ELj4294967295EEENS1_25partition_config_selectorILNS1_17partition_subalgoE4EjNS0_10empty_typeEbEEZZNS1_14partition_implILS8_4ELb0ES6_15HIP_vector_typeIjLj2EENS0_17counting_iteratorIjlEEPS9_SG_NS0_5tupleIJPjSI_NS0_16reverse_iteratorISI_EEEEENSH_IJSG_SG_SG_EEES9_SI_JZNS1_25segmented_radix_sort_implINS0_14default_configELb1EPK12hip_bfloat16PSP_PKlPlN2at6native12_GLOBAL__N_18offset_tEEE10hipError_tPvRmT1_PNSt15iterator_traitsIS13_E10value_typeET2_T3_PNS14_IS19_E10value_typeET4_jRbjT5_S1F_jjP12ihipStream_tbEUljE_ZNSN_ISO_Lb1ESR_SS_SU_SV_SZ_EES10_S11_S12_S13_S17_S18_S19_S1C_S1D_jS1E_jS1F_S1F_jjS1H_bEUljE0_EEES10_S11_S12_S19_S1D_S1F_T6_T7_T9_mT8_S1H_bDpT10_ENKUlT_T0_E_clISt17integral_constantIbLb1EES1U_IbLb0EEEEDaS1Q_S1R_EUlS1Q_E_NS1_11comp_targetILNS1_3genE10ELNS1_11target_archE1200ELNS1_3gpuE4ELNS1_3repE0EEENS1_30default_config_static_selectorELNS0_4arch9wavefront6targetE0EEEvS13_: ; @_ZN7rocprim17ROCPRIM_400000_NS6detail17trampoline_kernelINS0_13select_configILj256ELj13ELNS0_17block_load_methodE3ELS4_3ELS4_3ELNS0_20block_scan_algorithmE0ELj4294967295EEENS1_25partition_config_selectorILNS1_17partition_subalgoE4EjNS0_10empty_typeEbEEZZNS1_14partition_implILS8_4ELb0ES6_15HIP_vector_typeIjLj2EENS0_17counting_iteratorIjlEEPS9_SG_NS0_5tupleIJPjSI_NS0_16reverse_iteratorISI_EEEEENSH_IJSG_SG_SG_EEES9_SI_JZNS1_25segmented_radix_sort_implINS0_14default_configELb1EPK12hip_bfloat16PSP_PKlPlN2at6native12_GLOBAL__N_18offset_tEEE10hipError_tPvRmT1_PNSt15iterator_traitsIS13_E10value_typeET2_T3_PNS14_IS19_E10value_typeET4_jRbjT5_S1F_jjP12ihipStream_tbEUljE_ZNSN_ISO_Lb1ESR_SS_SU_SV_SZ_EES10_S11_S12_S13_S17_S18_S19_S1C_S1D_jS1E_jS1F_S1F_jjS1H_bEUljE0_EEES10_S11_S12_S19_S1D_S1F_T6_T7_T9_mT8_S1H_bDpT10_ENKUlT_T0_E_clISt17integral_constantIbLb1EES1U_IbLb0EEEEDaS1Q_S1R_EUlS1Q_E_NS1_11comp_targetILNS1_3genE10ELNS1_11target_archE1200ELNS1_3gpuE4ELNS1_3repE0EEENS1_30default_config_static_selectorELNS0_4arch9wavefront6targetE0EEEvS13_
; %bb.0:
	.section	.rodata,"a",@progbits
	.p2align	6, 0x0
	.amdhsa_kernel _ZN7rocprim17ROCPRIM_400000_NS6detail17trampoline_kernelINS0_13select_configILj256ELj13ELNS0_17block_load_methodE3ELS4_3ELS4_3ELNS0_20block_scan_algorithmE0ELj4294967295EEENS1_25partition_config_selectorILNS1_17partition_subalgoE4EjNS0_10empty_typeEbEEZZNS1_14partition_implILS8_4ELb0ES6_15HIP_vector_typeIjLj2EENS0_17counting_iteratorIjlEEPS9_SG_NS0_5tupleIJPjSI_NS0_16reverse_iteratorISI_EEEEENSH_IJSG_SG_SG_EEES9_SI_JZNS1_25segmented_radix_sort_implINS0_14default_configELb1EPK12hip_bfloat16PSP_PKlPlN2at6native12_GLOBAL__N_18offset_tEEE10hipError_tPvRmT1_PNSt15iterator_traitsIS13_E10value_typeET2_T3_PNS14_IS19_E10value_typeET4_jRbjT5_S1F_jjP12ihipStream_tbEUljE_ZNSN_ISO_Lb1ESR_SS_SU_SV_SZ_EES10_S11_S12_S13_S17_S18_S19_S1C_S1D_jS1E_jS1F_S1F_jjS1H_bEUljE0_EEES10_S11_S12_S19_S1D_S1F_T6_T7_T9_mT8_S1H_bDpT10_ENKUlT_T0_E_clISt17integral_constantIbLb1EES1U_IbLb0EEEEDaS1Q_S1R_EUlS1Q_E_NS1_11comp_targetILNS1_3genE10ELNS1_11target_archE1200ELNS1_3gpuE4ELNS1_3repE0EEENS1_30default_config_static_selectorELNS0_4arch9wavefront6targetE0EEEvS13_
		.amdhsa_group_segment_fixed_size 0
		.amdhsa_private_segment_fixed_size 0
		.amdhsa_kernarg_size 176
		.amdhsa_user_sgpr_count 15
		.amdhsa_user_sgpr_dispatch_ptr 0
		.amdhsa_user_sgpr_queue_ptr 0
		.amdhsa_user_sgpr_kernarg_segment_ptr 1
		.amdhsa_user_sgpr_dispatch_id 0
		.amdhsa_user_sgpr_private_segment_size 0
		.amdhsa_wavefront_size32 1
		.amdhsa_uses_dynamic_stack 0
		.amdhsa_enable_private_segment 0
		.amdhsa_system_sgpr_workgroup_id_x 1
		.amdhsa_system_sgpr_workgroup_id_y 0
		.amdhsa_system_sgpr_workgroup_id_z 0
		.amdhsa_system_sgpr_workgroup_info 0
		.amdhsa_system_vgpr_workitem_id 0
		.amdhsa_next_free_vgpr 1
		.amdhsa_next_free_sgpr 1
		.amdhsa_reserve_vcc 0
		.amdhsa_float_round_mode_32 0
		.amdhsa_float_round_mode_16_64 0
		.amdhsa_float_denorm_mode_32 3
		.amdhsa_float_denorm_mode_16_64 3
		.amdhsa_dx10_clamp 1
		.amdhsa_ieee_mode 1
		.amdhsa_fp16_overflow 0
		.amdhsa_workgroup_processor_mode 1
		.amdhsa_memory_ordered 1
		.amdhsa_forward_progress 0
		.amdhsa_shared_vgpr_count 0
		.amdhsa_exception_fp_ieee_invalid_op 0
		.amdhsa_exception_fp_denorm_src 0
		.amdhsa_exception_fp_ieee_div_zero 0
		.amdhsa_exception_fp_ieee_overflow 0
		.amdhsa_exception_fp_ieee_underflow 0
		.amdhsa_exception_fp_ieee_inexact 0
		.amdhsa_exception_int_div_zero 0
	.end_amdhsa_kernel
	.section	.text._ZN7rocprim17ROCPRIM_400000_NS6detail17trampoline_kernelINS0_13select_configILj256ELj13ELNS0_17block_load_methodE3ELS4_3ELS4_3ELNS0_20block_scan_algorithmE0ELj4294967295EEENS1_25partition_config_selectorILNS1_17partition_subalgoE4EjNS0_10empty_typeEbEEZZNS1_14partition_implILS8_4ELb0ES6_15HIP_vector_typeIjLj2EENS0_17counting_iteratorIjlEEPS9_SG_NS0_5tupleIJPjSI_NS0_16reverse_iteratorISI_EEEEENSH_IJSG_SG_SG_EEES9_SI_JZNS1_25segmented_radix_sort_implINS0_14default_configELb1EPK12hip_bfloat16PSP_PKlPlN2at6native12_GLOBAL__N_18offset_tEEE10hipError_tPvRmT1_PNSt15iterator_traitsIS13_E10value_typeET2_T3_PNS14_IS19_E10value_typeET4_jRbjT5_S1F_jjP12ihipStream_tbEUljE_ZNSN_ISO_Lb1ESR_SS_SU_SV_SZ_EES10_S11_S12_S13_S17_S18_S19_S1C_S1D_jS1E_jS1F_S1F_jjS1H_bEUljE0_EEES10_S11_S12_S19_S1D_S1F_T6_T7_T9_mT8_S1H_bDpT10_ENKUlT_T0_E_clISt17integral_constantIbLb1EES1U_IbLb0EEEEDaS1Q_S1R_EUlS1Q_E_NS1_11comp_targetILNS1_3genE10ELNS1_11target_archE1200ELNS1_3gpuE4ELNS1_3repE0EEENS1_30default_config_static_selectorELNS0_4arch9wavefront6targetE0EEEvS13_,"axG",@progbits,_ZN7rocprim17ROCPRIM_400000_NS6detail17trampoline_kernelINS0_13select_configILj256ELj13ELNS0_17block_load_methodE3ELS4_3ELS4_3ELNS0_20block_scan_algorithmE0ELj4294967295EEENS1_25partition_config_selectorILNS1_17partition_subalgoE4EjNS0_10empty_typeEbEEZZNS1_14partition_implILS8_4ELb0ES6_15HIP_vector_typeIjLj2EENS0_17counting_iteratorIjlEEPS9_SG_NS0_5tupleIJPjSI_NS0_16reverse_iteratorISI_EEEEENSH_IJSG_SG_SG_EEES9_SI_JZNS1_25segmented_radix_sort_implINS0_14default_configELb1EPK12hip_bfloat16PSP_PKlPlN2at6native12_GLOBAL__N_18offset_tEEE10hipError_tPvRmT1_PNSt15iterator_traitsIS13_E10value_typeET2_T3_PNS14_IS19_E10value_typeET4_jRbjT5_S1F_jjP12ihipStream_tbEUljE_ZNSN_ISO_Lb1ESR_SS_SU_SV_SZ_EES10_S11_S12_S13_S17_S18_S19_S1C_S1D_jS1E_jS1F_S1F_jjS1H_bEUljE0_EEES10_S11_S12_S19_S1D_S1F_T6_T7_T9_mT8_S1H_bDpT10_ENKUlT_T0_E_clISt17integral_constantIbLb1EES1U_IbLb0EEEEDaS1Q_S1R_EUlS1Q_E_NS1_11comp_targetILNS1_3genE10ELNS1_11target_archE1200ELNS1_3gpuE4ELNS1_3repE0EEENS1_30default_config_static_selectorELNS0_4arch9wavefront6targetE0EEEvS13_,comdat
.Lfunc_end1903:
	.size	_ZN7rocprim17ROCPRIM_400000_NS6detail17trampoline_kernelINS0_13select_configILj256ELj13ELNS0_17block_load_methodE3ELS4_3ELS4_3ELNS0_20block_scan_algorithmE0ELj4294967295EEENS1_25partition_config_selectorILNS1_17partition_subalgoE4EjNS0_10empty_typeEbEEZZNS1_14partition_implILS8_4ELb0ES6_15HIP_vector_typeIjLj2EENS0_17counting_iteratorIjlEEPS9_SG_NS0_5tupleIJPjSI_NS0_16reverse_iteratorISI_EEEEENSH_IJSG_SG_SG_EEES9_SI_JZNS1_25segmented_radix_sort_implINS0_14default_configELb1EPK12hip_bfloat16PSP_PKlPlN2at6native12_GLOBAL__N_18offset_tEEE10hipError_tPvRmT1_PNSt15iterator_traitsIS13_E10value_typeET2_T3_PNS14_IS19_E10value_typeET4_jRbjT5_S1F_jjP12ihipStream_tbEUljE_ZNSN_ISO_Lb1ESR_SS_SU_SV_SZ_EES10_S11_S12_S13_S17_S18_S19_S1C_S1D_jS1E_jS1F_S1F_jjS1H_bEUljE0_EEES10_S11_S12_S19_S1D_S1F_T6_T7_T9_mT8_S1H_bDpT10_ENKUlT_T0_E_clISt17integral_constantIbLb1EES1U_IbLb0EEEEDaS1Q_S1R_EUlS1Q_E_NS1_11comp_targetILNS1_3genE10ELNS1_11target_archE1200ELNS1_3gpuE4ELNS1_3repE0EEENS1_30default_config_static_selectorELNS0_4arch9wavefront6targetE0EEEvS13_, .Lfunc_end1903-_ZN7rocprim17ROCPRIM_400000_NS6detail17trampoline_kernelINS0_13select_configILj256ELj13ELNS0_17block_load_methodE3ELS4_3ELS4_3ELNS0_20block_scan_algorithmE0ELj4294967295EEENS1_25partition_config_selectorILNS1_17partition_subalgoE4EjNS0_10empty_typeEbEEZZNS1_14partition_implILS8_4ELb0ES6_15HIP_vector_typeIjLj2EENS0_17counting_iteratorIjlEEPS9_SG_NS0_5tupleIJPjSI_NS0_16reverse_iteratorISI_EEEEENSH_IJSG_SG_SG_EEES9_SI_JZNS1_25segmented_radix_sort_implINS0_14default_configELb1EPK12hip_bfloat16PSP_PKlPlN2at6native12_GLOBAL__N_18offset_tEEE10hipError_tPvRmT1_PNSt15iterator_traitsIS13_E10value_typeET2_T3_PNS14_IS19_E10value_typeET4_jRbjT5_S1F_jjP12ihipStream_tbEUljE_ZNSN_ISO_Lb1ESR_SS_SU_SV_SZ_EES10_S11_S12_S13_S17_S18_S19_S1C_S1D_jS1E_jS1F_S1F_jjS1H_bEUljE0_EEES10_S11_S12_S19_S1D_S1F_T6_T7_T9_mT8_S1H_bDpT10_ENKUlT_T0_E_clISt17integral_constantIbLb1EES1U_IbLb0EEEEDaS1Q_S1R_EUlS1Q_E_NS1_11comp_targetILNS1_3genE10ELNS1_11target_archE1200ELNS1_3gpuE4ELNS1_3repE0EEENS1_30default_config_static_selectorELNS0_4arch9wavefront6targetE0EEEvS13_
                                        ; -- End function
	.section	.AMDGPU.csdata,"",@progbits
; Kernel info:
; codeLenInByte = 0
; NumSgprs: 0
; NumVgprs: 0
; ScratchSize: 0
; MemoryBound: 0
; FloatMode: 240
; IeeeMode: 1
; LDSByteSize: 0 bytes/workgroup (compile time only)
; SGPRBlocks: 0
; VGPRBlocks: 0
; NumSGPRsForWavesPerEU: 1
; NumVGPRsForWavesPerEU: 1
; Occupancy: 16
; WaveLimiterHint : 0
; COMPUTE_PGM_RSRC2:SCRATCH_EN: 0
; COMPUTE_PGM_RSRC2:USER_SGPR: 15
; COMPUTE_PGM_RSRC2:TRAP_HANDLER: 0
; COMPUTE_PGM_RSRC2:TGID_X_EN: 1
; COMPUTE_PGM_RSRC2:TGID_Y_EN: 0
; COMPUTE_PGM_RSRC2:TGID_Z_EN: 0
; COMPUTE_PGM_RSRC2:TIDIG_COMP_CNT: 0
	.section	.text._ZN7rocprim17ROCPRIM_400000_NS6detail17trampoline_kernelINS0_13select_configILj256ELj13ELNS0_17block_load_methodE3ELS4_3ELS4_3ELNS0_20block_scan_algorithmE0ELj4294967295EEENS1_25partition_config_selectorILNS1_17partition_subalgoE4EjNS0_10empty_typeEbEEZZNS1_14partition_implILS8_4ELb0ES6_15HIP_vector_typeIjLj2EENS0_17counting_iteratorIjlEEPS9_SG_NS0_5tupleIJPjSI_NS0_16reverse_iteratorISI_EEEEENSH_IJSG_SG_SG_EEES9_SI_JZNS1_25segmented_radix_sort_implINS0_14default_configELb1EPK12hip_bfloat16PSP_PKlPlN2at6native12_GLOBAL__N_18offset_tEEE10hipError_tPvRmT1_PNSt15iterator_traitsIS13_E10value_typeET2_T3_PNS14_IS19_E10value_typeET4_jRbjT5_S1F_jjP12ihipStream_tbEUljE_ZNSN_ISO_Lb1ESR_SS_SU_SV_SZ_EES10_S11_S12_S13_S17_S18_S19_S1C_S1D_jS1E_jS1F_S1F_jjS1H_bEUljE0_EEES10_S11_S12_S19_S1D_S1F_T6_T7_T9_mT8_S1H_bDpT10_ENKUlT_T0_E_clISt17integral_constantIbLb1EES1U_IbLb0EEEEDaS1Q_S1R_EUlS1Q_E_NS1_11comp_targetILNS1_3genE9ELNS1_11target_archE1100ELNS1_3gpuE3ELNS1_3repE0EEENS1_30default_config_static_selectorELNS0_4arch9wavefront6targetE0EEEvS13_,"axG",@progbits,_ZN7rocprim17ROCPRIM_400000_NS6detail17trampoline_kernelINS0_13select_configILj256ELj13ELNS0_17block_load_methodE3ELS4_3ELS4_3ELNS0_20block_scan_algorithmE0ELj4294967295EEENS1_25partition_config_selectorILNS1_17partition_subalgoE4EjNS0_10empty_typeEbEEZZNS1_14partition_implILS8_4ELb0ES6_15HIP_vector_typeIjLj2EENS0_17counting_iteratorIjlEEPS9_SG_NS0_5tupleIJPjSI_NS0_16reverse_iteratorISI_EEEEENSH_IJSG_SG_SG_EEES9_SI_JZNS1_25segmented_radix_sort_implINS0_14default_configELb1EPK12hip_bfloat16PSP_PKlPlN2at6native12_GLOBAL__N_18offset_tEEE10hipError_tPvRmT1_PNSt15iterator_traitsIS13_E10value_typeET2_T3_PNS14_IS19_E10value_typeET4_jRbjT5_S1F_jjP12ihipStream_tbEUljE_ZNSN_ISO_Lb1ESR_SS_SU_SV_SZ_EES10_S11_S12_S13_S17_S18_S19_S1C_S1D_jS1E_jS1F_S1F_jjS1H_bEUljE0_EEES10_S11_S12_S19_S1D_S1F_T6_T7_T9_mT8_S1H_bDpT10_ENKUlT_T0_E_clISt17integral_constantIbLb1EES1U_IbLb0EEEEDaS1Q_S1R_EUlS1Q_E_NS1_11comp_targetILNS1_3genE9ELNS1_11target_archE1100ELNS1_3gpuE3ELNS1_3repE0EEENS1_30default_config_static_selectorELNS0_4arch9wavefront6targetE0EEEvS13_,comdat
	.globl	_ZN7rocprim17ROCPRIM_400000_NS6detail17trampoline_kernelINS0_13select_configILj256ELj13ELNS0_17block_load_methodE3ELS4_3ELS4_3ELNS0_20block_scan_algorithmE0ELj4294967295EEENS1_25partition_config_selectorILNS1_17partition_subalgoE4EjNS0_10empty_typeEbEEZZNS1_14partition_implILS8_4ELb0ES6_15HIP_vector_typeIjLj2EENS0_17counting_iteratorIjlEEPS9_SG_NS0_5tupleIJPjSI_NS0_16reverse_iteratorISI_EEEEENSH_IJSG_SG_SG_EEES9_SI_JZNS1_25segmented_radix_sort_implINS0_14default_configELb1EPK12hip_bfloat16PSP_PKlPlN2at6native12_GLOBAL__N_18offset_tEEE10hipError_tPvRmT1_PNSt15iterator_traitsIS13_E10value_typeET2_T3_PNS14_IS19_E10value_typeET4_jRbjT5_S1F_jjP12ihipStream_tbEUljE_ZNSN_ISO_Lb1ESR_SS_SU_SV_SZ_EES10_S11_S12_S13_S17_S18_S19_S1C_S1D_jS1E_jS1F_S1F_jjS1H_bEUljE0_EEES10_S11_S12_S19_S1D_S1F_T6_T7_T9_mT8_S1H_bDpT10_ENKUlT_T0_E_clISt17integral_constantIbLb1EES1U_IbLb0EEEEDaS1Q_S1R_EUlS1Q_E_NS1_11comp_targetILNS1_3genE9ELNS1_11target_archE1100ELNS1_3gpuE3ELNS1_3repE0EEENS1_30default_config_static_selectorELNS0_4arch9wavefront6targetE0EEEvS13_ ; -- Begin function _ZN7rocprim17ROCPRIM_400000_NS6detail17trampoline_kernelINS0_13select_configILj256ELj13ELNS0_17block_load_methodE3ELS4_3ELS4_3ELNS0_20block_scan_algorithmE0ELj4294967295EEENS1_25partition_config_selectorILNS1_17partition_subalgoE4EjNS0_10empty_typeEbEEZZNS1_14partition_implILS8_4ELb0ES6_15HIP_vector_typeIjLj2EENS0_17counting_iteratorIjlEEPS9_SG_NS0_5tupleIJPjSI_NS0_16reverse_iteratorISI_EEEEENSH_IJSG_SG_SG_EEES9_SI_JZNS1_25segmented_radix_sort_implINS0_14default_configELb1EPK12hip_bfloat16PSP_PKlPlN2at6native12_GLOBAL__N_18offset_tEEE10hipError_tPvRmT1_PNSt15iterator_traitsIS13_E10value_typeET2_T3_PNS14_IS19_E10value_typeET4_jRbjT5_S1F_jjP12ihipStream_tbEUljE_ZNSN_ISO_Lb1ESR_SS_SU_SV_SZ_EES10_S11_S12_S13_S17_S18_S19_S1C_S1D_jS1E_jS1F_S1F_jjS1H_bEUljE0_EEES10_S11_S12_S19_S1D_S1F_T6_T7_T9_mT8_S1H_bDpT10_ENKUlT_T0_E_clISt17integral_constantIbLb1EES1U_IbLb0EEEEDaS1Q_S1R_EUlS1Q_E_NS1_11comp_targetILNS1_3genE9ELNS1_11target_archE1100ELNS1_3gpuE3ELNS1_3repE0EEENS1_30default_config_static_selectorELNS0_4arch9wavefront6targetE0EEEvS13_
	.p2align	8
	.type	_ZN7rocprim17ROCPRIM_400000_NS6detail17trampoline_kernelINS0_13select_configILj256ELj13ELNS0_17block_load_methodE3ELS4_3ELS4_3ELNS0_20block_scan_algorithmE0ELj4294967295EEENS1_25partition_config_selectorILNS1_17partition_subalgoE4EjNS0_10empty_typeEbEEZZNS1_14partition_implILS8_4ELb0ES6_15HIP_vector_typeIjLj2EENS0_17counting_iteratorIjlEEPS9_SG_NS0_5tupleIJPjSI_NS0_16reverse_iteratorISI_EEEEENSH_IJSG_SG_SG_EEES9_SI_JZNS1_25segmented_radix_sort_implINS0_14default_configELb1EPK12hip_bfloat16PSP_PKlPlN2at6native12_GLOBAL__N_18offset_tEEE10hipError_tPvRmT1_PNSt15iterator_traitsIS13_E10value_typeET2_T3_PNS14_IS19_E10value_typeET4_jRbjT5_S1F_jjP12ihipStream_tbEUljE_ZNSN_ISO_Lb1ESR_SS_SU_SV_SZ_EES10_S11_S12_S13_S17_S18_S19_S1C_S1D_jS1E_jS1F_S1F_jjS1H_bEUljE0_EEES10_S11_S12_S19_S1D_S1F_T6_T7_T9_mT8_S1H_bDpT10_ENKUlT_T0_E_clISt17integral_constantIbLb1EES1U_IbLb0EEEEDaS1Q_S1R_EUlS1Q_E_NS1_11comp_targetILNS1_3genE9ELNS1_11target_archE1100ELNS1_3gpuE3ELNS1_3repE0EEENS1_30default_config_static_selectorELNS0_4arch9wavefront6targetE0EEEvS13_,@function
_ZN7rocprim17ROCPRIM_400000_NS6detail17trampoline_kernelINS0_13select_configILj256ELj13ELNS0_17block_load_methodE3ELS4_3ELS4_3ELNS0_20block_scan_algorithmE0ELj4294967295EEENS1_25partition_config_selectorILNS1_17partition_subalgoE4EjNS0_10empty_typeEbEEZZNS1_14partition_implILS8_4ELb0ES6_15HIP_vector_typeIjLj2EENS0_17counting_iteratorIjlEEPS9_SG_NS0_5tupleIJPjSI_NS0_16reverse_iteratorISI_EEEEENSH_IJSG_SG_SG_EEES9_SI_JZNS1_25segmented_radix_sort_implINS0_14default_configELb1EPK12hip_bfloat16PSP_PKlPlN2at6native12_GLOBAL__N_18offset_tEEE10hipError_tPvRmT1_PNSt15iterator_traitsIS13_E10value_typeET2_T3_PNS14_IS19_E10value_typeET4_jRbjT5_S1F_jjP12ihipStream_tbEUljE_ZNSN_ISO_Lb1ESR_SS_SU_SV_SZ_EES10_S11_S12_S13_S17_S18_S19_S1C_S1D_jS1E_jS1F_S1F_jjS1H_bEUljE0_EEES10_S11_S12_S19_S1D_S1F_T6_T7_T9_mT8_S1H_bDpT10_ENKUlT_T0_E_clISt17integral_constantIbLb1EES1U_IbLb0EEEEDaS1Q_S1R_EUlS1Q_E_NS1_11comp_targetILNS1_3genE9ELNS1_11target_archE1100ELNS1_3gpuE3ELNS1_3repE0EEENS1_30default_config_static_selectorELNS0_4arch9wavefront6targetE0EEEvS13_: ; @_ZN7rocprim17ROCPRIM_400000_NS6detail17trampoline_kernelINS0_13select_configILj256ELj13ELNS0_17block_load_methodE3ELS4_3ELS4_3ELNS0_20block_scan_algorithmE0ELj4294967295EEENS1_25partition_config_selectorILNS1_17partition_subalgoE4EjNS0_10empty_typeEbEEZZNS1_14partition_implILS8_4ELb0ES6_15HIP_vector_typeIjLj2EENS0_17counting_iteratorIjlEEPS9_SG_NS0_5tupleIJPjSI_NS0_16reverse_iteratorISI_EEEEENSH_IJSG_SG_SG_EEES9_SI_JZNS1_25segmented_radix_sort_implINS0_14default_configELb1EPK12hip_bfloat16PSP_PKlPlN2at6native12_GLOBAL__N_18offset_tEEE10hipError_tPvRmT1_PNSt15iterator_traitsIS13_E10value_typeET2_T3_PNS14_IS19_E10value_typeET4_jRbjT5_S1F_jjP12ihipStream_tbEUljE_ZNSN_ISO_Lb1ESR_SS_SU_SV_SZ_EES10_S11_S12_S13_S17_S18_S19_S1C_S1D_jS1E_jS1F_S1F_jjS1H_bEUljE0_EEES10_S11_S12_S19_S1D_S1F_T6_T7_T9_mT8_S1H_bDpT10_ENKUlT_T0_E_clISt17integral_constantIbLb1EES1U_IbLb0EEEEDaS1Q_S1R_EUlS1Q_E_NS1_11comp_targetILNS1_3genE9ELNS1_11target_archE1100ELNS1_3gpuE3ELNS1_3repE0EEENS1_30default_config_static_selectorELNS0_4arch9wavefront6targetE0EEEvS13_
; %bb.0:
	s_clause 0x6
	s_load_b32 s5, s[0:1], 0x80
	s_load_b64 s[34:35], s[0:1], 0x10
	s_load_b64 s[2:3], s[0:1], 0x68
	s_load_b32 s8, s[0:1], 0x8
	s_load_b128 s[24:27], s[0:1], 0x58
	s_load_b64 s[40:41], s[0:1], 0xa8
	s_load_b256 s[16:23], s[0:1], 0x88
	s_mul_i32 s33, s15, 0xd00
	s_waitcnt lgkmcnt(0)
	s_mul_i32 s4, s5, 0xd00
	s_add_i32 s5, s5, -1
	s_add_u32 s6, s34, s4
	s_addc_u32 s7, s35, 0
	s_load_b128 s[28:31], s[26:27], 0x0
	s_cmp_eq_u32 s15, s5
	v_cmp_lt_u64_e64 s3, s[6:7], s[2:3]
	s_cselect_b32 s14, -1, 0
	s_cmp_lg_u32 s15, s5
	s_cselect_b32 s5, -1, 0
	s_add_i32 s6, s8, s33
	s_delay_alu instid0(VALU_DEP_1) | instskip(SKIP_4) | instid1(VALU_DEP_1)
	s_or_b32 s3, s5, s3
	s_add_i32 s6, s6, s34
	s_and_b32 vcc_lo, exec_lo, s3
	v_add_nc_u32_e32 v1, s6, v0
	s_mov_b32 s5, -1
	v_add_nc_u32_e32 v2, 0x100, v1
	v_add_nc_u32_e32 v3, 0x200, v1
	v_add_nc_u32_e32 v4, 0x300, v1
	v_add_nc_u32_e32 v5, 0x400, v1
	v_add_nc_u32_e32 v6, 0x500, v1
	v_add_nc_u32_e32 v7, 0x600, v1
	v_add_nc_u32_e32 v8, 0x700, v1
	v_add_nc_u32_e32 v9, 0x800, v1
	v_add_nc_u32_e32 v10, 0x900, v1
	v_add_nc_u32_e32 v11, 0xa00, v1
	v_add_nc_u32_e32 v12, 0xb00, v1
	v_add_nc_u32_e32 v13, 0xc00, v1
	s_cbranch_vccz .LBB1904_2
; %bb.1:
	v_lshlrev_b32_e32 v14, 2, v0
	s_mov_b32 s5, 0
	ds_store_2addr_stride64_b32 v14, v1, v2 offset1:4
	ds_store_2addr_stride64_b32 v14, v3, v4 offset0:8 offset1:12
	ds_store_2addr_stride64_b32 v14, v5, v6 offset0:16 offset1:20
	;; [unrolled: 1-line block ×5, first 2 shown]
	ds_store_b32 v14, v13 offset:12288
	s_waitcnt lgkmcnt(0)
	s_barrier
.LBB1904_2:
	s_and_not1_b32 vcc_lo, exec_lo, s5
	s_add_i32 s4, s4, s34
	s_cbranch_vccnz .LBB1904_4
; %bb.3:
	v_lshlrev_b32_e32 v14, 2, v0
	ds_store_2addr_stride64_b32 v14, v1, v2 offset1:4
	ds_store_2addr_stride64_b32 v14, v3, v4 offset0:8 offset1:12
	ds_store_2addr_stride64_b32 v14, v5, v6 offset0:16 offset1:20
	;; [unrolled: 1-line block ×5, first 2 shown]
	ds_store_b32 v14, v13 offset:12288
	s_waitcnt lgkmcnt(0)
	s_barrier
.LBB1904_4:
	v_mul_u32_u24_e32 v28, 13, v0
	s_clause 0x1
	s_load_b128 s[36:39], s[0:1], 0x28
	s_load_b64 s[26:27], s[0:1], 0x38
	s_waitcnt lgkmcnt(0)
	buffer_gl0_inv
	v_cndmask_b32_e64 v26, 0, 1, s3
	s_sub_i32 s44, s2, s4
	v_lshlrev_b32_e32 v1, 2, v28
	s_and_not1_b32 vcc_lo, exec_lo, s3
	ds_load_2addr_b32 v[16:17], v1 offset1:1
	ds_load_2addr_b32 v[14:15], v1 offset0:2 offset1:3
	ds_load_2addr_b32 v[12:13], v1 offset0:4 offset1:5
	;; [unrolled: 1-line block ×5, first 2 shown]
	ds_load_b32 v27, v1 offset:48
	s_waitcnt lgkmcnt(0)
	s_barrier
	buffer_gl0_inv
	s_cbranch_vccnz .LBB1904_32
; %bb.5:
	v_add_nc_u32_e32 v1, s17, v16
	v_add_nc_u32_e32 v2, s19, v16
	s_mov_b32 s46, 0
	s_mov_b32 s45, 0
	s_mov_b32 s3, exec_lo
	v_mul_lo_u32 v1, v1, s16
	v_mul_lo_u32 v2, v2, s18
	s_delay_alu instid0(VALU_DEP_1) | instskip(NEXT) | instid1(VALU_DEP_1)
	v_sub_nc_u32_e32 v1, v1, v2
	v_cmp_lt_u32_e32 vcc_lo, s20, v1
	v_cmpx_ge_u32_e64 s20, v1
; %bb.6:
	v_add_nc_u32_e32 v1, s22, v16
	v_add_nc_u32_e32 v2, s40, v16
	s_delay_alu instid0(VALU_DEP_2) | instskip(NEXT) | instid1(VALU_DEP_2)
	v_mul_lo_u32 v1, v1, s21
	v_mul_lo_u32 v2, v2, s23
	s_delay_alu instid0(VALU_DEP_1) | instskip(NEXT) | instid1(VALU_DEP_1)
	v_sub_nc_u32_e32 v1, v1, v2
	v_cmp_lt_u32_e64 s2, s41, v1
	s_delay_alu instid0(VALU_DEP_1)
	s_and_b32 s45, s2, exec_lo
; %bb.7:
	s_or_b32 exec_lo, exec_lo, s3
	v_add_nc_u32_e32 v1, s17, v17
	v_add_nc_u32_e32 v2, s19, v17
	s_mov_b32 s4, exec_lo
	s_delay_alu instid0(VALU_DEP_2) | instskip(NEXT) | instid1(VALU_DEP_2)
	v_mul_lo_u32 v1, v1, s16
	v_mul_lo_u32 v2, v2, s18
	s_delay_alu instid0(VALU_DEP_1) | instskip(NEXT) | instid1(VALU_DEP_1)
	v_sub_nc_u32_e32 v1, v1, v2
	v_cmp_lt_u32_e64 s2, s20, v1
	v_cmpx_ge_u32_e64 s20, v1
; %bb.8:
	v_add_nc_u32_e32 v1, s22, v17
	v_add_nc_u32_e32 v2, s40, v17
	s_delay_alu instid0(VALU_DEP_2) | instskip(NEXT) | instid1(VALU_DEP_2)
	v_mul_lo_u32 v1, v1, s21
	v_mul_lo_u32 v2, v2, s23
	s_delay_alu instid0(VALU_DEP_1) | instskip(NEXT) | instid1(VALU_DEP_1)
	v_sub_nc_u32_e32 v1, v1, v2
	v_cmp_lt_u32_e64 s3, s41, v1
	s_delay_alu instid0(VALU_DEP_1)
	s_and_b32 s46, s3, exec_lo
; %bb.9:
	s_or_b32 exec_lo, exec_lo, s4
	v_add_nc_u32_e32 v1, s17, v14
	v_add_nc_u32_e32 v2, s19, v14
	s_mov_b32 s48, 0
	s_mov_b32 s47, 0
	s_mov_b32 s5, exec_lo
	v_mul_lo_u32 v1, v1, s16
	v_mul_lo_u32 v2, v2, s18
	s_delay_alu instid0(VALU_DEP_1) | instskip(NEXT) | instid1(VALU_DEP_1)
	v_sub_nc_u32_e32 v1, v1, v2
	v_cmp_lt_u32_e64 s3, s20, v1
	v_cmpx_ge_u32_e64 s20, v1
; %bb.10:
	v_add_nc_u32_e32 v1, s22, v14
	v_add_nc_u32_e32 v2, s40, v14
	s_delay_alu instid0(VALU_DEP_2) | instskip(NEXT) | instid1(VALU_DEP_2)
	v_mul_lo_u32 v1, v1, s21
	v_mul_lo_u32 v2, v2, s23
	s_delay_alu instid0(VALU_DEP_1) | instskip(NEXT) | instid1(VALU_DEP_1)
	v_sub_nc_u32_e32 v1, v1, v2
	v_cmp_lt_u32_e64 s4, s41, v1
	s_delay_alu instid0(VALU_DEP_1)
	s_and_b32 s47, s4, exec_lo
; %bb.11:
	s_or_b32 exec_lo, exec_lo, s5
	v_add_nc_u32_e32 v1, s17, v15
	v_add_nc_u32_e32 v2, s19, v15
	s_mov_b32 s6, exec_lo
	s_delay_alu instid0(VALU_DEP_2) | instskip(NEXT) | instid1(VALU_DEP_2)
	v_mul_lo_u32 v1, v1, s16
	v_mul_lo_u32 v2, v2, s18
	s_delay_alu instid0(VALU_DEP_1) | instskip(NEXT) | instid1(VALU_DEP_1)
	v_sub_nc_u32_e32 v1, v1, v2
	v_cmp_lt_u32_e64 s4, s20, v1
	v_cmpx_ge_u32_e64 s20, v1
; %bb.12:
	v_add_nc_u32_e32 v1, s22, v15
	v_add_nc_u32_e32 v2, s40, v15
	s_delay_alu instid0(VALU_DEP_2) | instskip(NEXT) | instid1(VALU_DEP_2)
	v_mul_lo_u32 v1, v1, s21
	v_mul_lo_u32 v2, v2, s23
	s_delay_alu instid0(VALU_DEP_1) | instskip(NEXT) | instid1(VALU_DEP_1)
	v_sub_nc_u32_e32 v1, v1, v2
	v_cmp_lt_u32_e64 s5, s41, v1
	s_delay_alu instid0(VALU_DEP_1)
	s_and_b32 s48, s5, exec_lo
; %bb.13:
	s_or_b32 exec_lo, exec_lo, s6
	v_add_nc_u32_e32 v1, s17, v12
	v_add_nc_u32_e32 v2, s19, v12
	s_mov_b32 s50, 0
	s_mov_b32 s49, 0
	s_mov_b32 s7, exec_lo
	v_mul_lo_u32 v1, v1, s16
	v_mul_lo_u32 v2, v2, s18
	s_delay_alu instid0(VALU_DEP_1) | instskip(NEXT) | instid1(VALU_DEP_1)
	v_sub_nc_u32_e32 v1, v1, v2
	v_cmp_lt_u32_e64 s5, s20, v1
	;; [unrolled: 47-line block ×5, first 2 shown]
	v_cmpx_ge_u32_e64 s20, v1
; %bb.26:
	v_add_nc_u32_e32 v1, s22, v6
	v_add_nc_u32_e32 v2, s40, v6
	s_delay_alu instid0(VALU_DEP_2) | instskip(NEXT) | instid1(VALU_DEP_2)
	v_mul_lo_u32 v1, v1, s21
	v_mul_lo_u32 v2, v2, s23
	s_delay_alu instid0(VALU_DEP_1) | instskip(NEXT) | instid1(VALU_DEP_1)
	v_sub_nc_u32_e32 v1, v1, v2
	v_cmp_lt_u32_e64 s12, s41, v1
	s_delay_alu instid0(VALU_DEP_1)
	s_and_b32 s57, s12, exec_lo
; %bb.27:
	s_or_b32 exec_lo, exec_lo, s13
	v_add_nc_u32_e32 v1, s17, v7
	v_add_nc_u32_e32 v2, s19, v7
	s_mov_b32 s42, exec_lo
	s_delay_alu instid0(VALU_DEP_2) | instskip(NEXT) | instid1(VALU_DEP_2)
	v_mul_lo_u32 v1, v1, s16
	v_mul_lo_u32 v2, v2, s18
	s_delay_alu instid0(VALU_DEP_1) | instskip(NEXT) | instid1(VALU_DEP_1)
	v_sub_nc_u32_e32 v1, v1, v2
	v_cmp_lt_u32_e64 s12, s20, v1
	v_cmpx_ge_u32_e64 s20, v1
; %bb.28:
	v_add_nc_u32_e32 v1, s22, v7
	v_add_nc_u32_e32 v2, s40, v7
	s_delay_alu instid0(VALU_DEP_2) | instskip(NEXT) | instid1(VALU_DEP_2)
	v_mul_lo_u32 v1, v1, s21
	v_mul_lo_u32 v2, v2, s23
	s_delay_alu instid0(VALU_DEP_1) | instskip(NEXT) | instid1(VALU_DEP_1)
	v_sub_nc_u32_e32 v1, v1, v2
	v_cmp_lt_u32_e64 s13, s41, v1
	s_delay_alu instid0(VALU_DEP_1)
	s_and_b32 s56, s13, exec_lo
; %bb.29:
	s_or_b32 exec_lo, exec_lo, s42
	v_add_nc_u32_e32 v1, s17, v27
	v_add_nc_u32_e32 v2, s19, v27
	s_mov_b32 s42, -1
	s_mov_b32 s53, 0
	s_mov_b32 s43, 0
	v_mul_lo_u32 v1, v1, s16
	v_mul_lo_u32 v2, v2, s18
	s_mov_b32 s58, exec_lo
	s_delay_alu instid0(VALU_DEP_1) | instskip(NEXT) | instid1(VALU_DEP_1)
	v_sub_nc_u32_e32 v1, v1, v2
	v_cmpx_ge_u32_e64 s20, v1
; %bb.30:
	v_add_nc_u32_e32 v1, s22, v27
	v_add_nc_u32_e32 v2, s40, v27
	s_xor_b32 s42, exec_lo, -1
	s_delay_alu instid0(VALU_DEP_2) | instskip(NEXT) | instid1(VALU_DEP_2)
	v_mul_lo_u32 v1, v1, s21
	v_mul_lo_u32 v2, v2, s23
	s_delay_alu instid0(VALU_DEP_1) | instskip(NEXT) | instid1(VALU_DEP_1)
	v_sub_nc_u32_e32 v1, v1, v2
	v_cmp_lt_u32_e64 s13, s41, v1
	s_delay_alu instid0(VALU_DEP_1)
	s_and_b32 s43, s13, exec_lo
; %bb.31:
	s_or_b32 exec_lo, exec_lo, s58
	v_cndmask_b32_e64 v48, 0, 1, s57
	v_cndmask_b32_e64 v51, 0, 1, s12
	;; [unrolled: 1-line block ×22, first 2 shown]
	v_cndmask_b32_e64 v29, 0, 1, vcc_lo
	v_cndmask_b32_e64 v52, 0, 1, s56
	s_load_b64 s[4:5], s[0:1], 0x78
	s_and_b32 vcc_lo, exec_lo, s53
	s_add_i32 s3, s44, 0xd00
	s_cbranch_vccnz .LBB1904_33
	s_branch .LBB1904_86
.LBB1904_32:
                                        ; implicit-def: $sgpr42
                                        ; implicit-def: $sgpr43
                                        ; implicit-def: $vgpr52
                                        ; implicit-def: $vgpr48
                                        ; implicit-def: $vgpr47
                                        ; implicit-def: $vgpr45
                                        ; implicit-def: $vgpr43
                                        ; implicit-def: $vgpr40
                                        ; implicit-def: $vgpr39
                                        ; implicit-def: $vgpr37
                                        ; implicit-def: $vgpr35
                                        ; implicit-def: $vgpr29
                                        ; implicit-def: $vgpr33
                                        ; implicit-def: $vgpr31
                                        ; implicit-def: $vgpr32
                                        ; implicit-def: $vgpr38
                                        ; implicit-def: $vgpr41
                                        ; implicit-def: $vgpr42
                                        ; implicit-def: $vgpr44
                                        ; implicit-def: $vgpr46
                                        ; implicit-def: $vgpr49
                                        ; implicit-def: $vgpr50
                                        ; implicit-def: $vgpr51
                                        ; implicit-def: $vgpr30
                                        ; implicit-def: $vgpr34
                                        ; implicit-def: $vgpr36
	s_load_b64 s[4:5], s[0:1], 0x78
	s_add_i32 s3, s44, 0xd00
	s_cbranch_execz .LBB1904_86
.LBB1904_33:
	v_dual_mov_b32 v30, 0 :: v_dual_mov_b32 v29, 0
	s_mov_b32 s2, 0
	s_mov_b32 s1, exec_lo
	v_cmpx_gt_u32_e64 s3, v28
	s_cbranch_execz .LBB1904_37
; %bb.34:
	v_add_nc_u32_e32 v1, s17, v16
	v_add_nc_u32_e32 v2, s19, v16
	s_mov_b32 s6, exec_lo
	s_delay_alu instid0(VALU_DEP_2) | instskip(NEXT) | instid1(VALU_DEP_2)
	v_mul_lo_u32 v1, v1, s16
	v_mul_lo_u32 v2, v2, s18
	s_delay_alu instid0(VALU_DEP_1) | instskip(NEXT) | instid1(VALU_DEP_1)
	v_sub_nc_u32_e32 v1, v1, v2
	v_cmp_lt_u32_e32 vcc_lo, s20, v1
	v_cmpx_ge_u32_e64 s20, v1
; %bb.35:
	v_add_nc_u32_e32 v1, s22, v16
	v_add_nc_u32_e32 v2, s40, v16
	s_delay_alu instid0(VALU_DEP_2) | instskip(NEXT) | instid1(VALU_DEP_2)
	v_mul_lo_u32 v1, v1, s21
	v_mul_lo_u32 v2, v2, s23
	s_delay_alu instid0(VALU_DEP_1) | instskip(NEXT) | instid1(VALU_DEP_1)
	v_sub_nc_u32_e32 v1, v1, v2
	v_cmp_lt_u32_e64 s0, s41, v1
	s_delay_alu instid0(VALU_DEP_1)
	s_and_b32 s2, s0, exec_lo
; %bb.36:
	s_or_b32 exec_lo, exec_lo, s6
	v_cndmask_b32_e64 v29, 0, 1, vcc_lo
	v_cndmask_b32_e64 v30, 0, 1, s2
.LBB1904_37:
	s_or_b32 exec_lo, exec_lo, s1
	v_dual_mov_b32 v34, 0 :: v_dual_add_nc_u32 v1, 1, v28
	v_mov_b32_e32 v33, 0
	s_mov_b32 s2, 0
	s_mov_b32 s1, exec_lo
	s_delay_alu instid0(VALU_DEP_2)
	v_cmpx_gt_u32_e64 s3, v1
	s_cbranch_execz .LBB1904_41
; %bb.38:
	v_add_nc_u32_e32 v1, s17, v17
	v_add_nc_u32_e32 v2, s19, v17
	s_mov_b32 s6, exec_lo
	s_delay_alu instid0(VALU_DEP_2) | instskip(NEXT) | instid1(VALU_DEP_2)
	v_mul_lo_u32 v1, v1, s16
	v_mul_lo_u32 v2, v2, s18
	s_delay_alu instid0(VALU_DEP_1) | instskip(NEXT) | instid1(VALU_DEP_1)
	v_sub_nc_u32_e32 v1, v1, v2
	v_cmp_lt_u32_e32 vcc_lo, s20, v1
	v_cmpx_ge_u32_e64 s20, v1
; %bb.39:
	v_add_nc_u32_e32 v1, s22, v17
	v_add_nc_u32_e32 v2, s40, v17
	s_delay_alu instid0(VALU_DEP_2) | instskip(NEXT) | instid1(VALU_DEP_2)
	v_mul_lo_u32 v1, v1, s21
	v_mul_lo_u32 v2, v2, s23
	s_delay_alu instid0(VALU_DEP_1) | instskip(NEXT) | instid1(VALU_DEP_1)
	v_sub_nc_u32_e32 v1, v1, v2
	v_cmp_lt_u32_e64 s0, s41, v1
	s_delay_alu instid0(VALU_DEP_1)
	s_and_b32 s2, s0, exec_lo
; %bb.40:
	s_or_b32 exec_lo, exec_lo, s6
	v_cndmask_b32_e64 v33, 0, 1, vcc_lo
	v_cndmask_b32_e64 v34, 0, 1, s2
.LBB1904_41:
	s_or_b32 exec_lo, exec_lo, s1
	v_dual_mov_b32 v36, 0 :: v_dual_add_nc_u32 v1, 2, v28
	v_mov_b32_e32 v31, 0
	s_mov_b32 s2, 0
	s_mov_b32 s1, exec_lo
	s_delay_alu instid0(VALU_DEP_2)
	;; [unrolled: 35-line block ×4, first 2 shown]
	v_cmpx_gt_u32_e64 s3, v1
	s_cbranch_execz .LBB1904_53
; %bb.50:
	v_add_nc_u32_e32 v1, s17, v12
	v_add_nc_u32_e32 v2, s19, v12
	s_mov_b32 s6, exec_lo
	s_delay_alu instid0(VALU_DEP_2) | instskip(NEXT) | instid1(VALU_DEP_2)
	v_mul_lo_u32 v1, v1, s16
	v_mul_lo_u32 v2, v2, s18
	s_delay_alu instid0(VALU_DEP_1) | instskip(NEXT) | instid1(VALU_DEP_1)
	v_sub_nc_u32_e32 v1, v1, v2
	v_cmp_lt_u32_e32 vcc_lo, s20, v1
	v_cmpx_ge_u32_e64 s20, v1
; %bb.51:
	v_add_nc_u32_e32 v1, s22, v12
	v_add_nc_u32_e32 v2, s40, v12
	s_delay_alu instid0(VALU_DEP_2) | instskip(NEXT) | instid1(VALU_DEP_2)
	v_mul_lo_u32 v1, v1, s21
	v_mul_lo_u32 v2, v2, s23
	s_delay_alu instid0(VALU_DEP_1) | instskip(NEXT) | instid1(VALU_DEP_1)
	v_sub_nc_u32_e32 v1, v1, v2
	v_cmp_lt_u32_e64 s0, s41, v1
	s_delay_alu instid0(VALU_DEP_1)
	s_and_b32 s2, s0, exec_lo
; %bb.52:
	s_or_b32 exec_lo, exec_lo, s6
	v_cndmask_b32_e64 v38, 0, 1, vcc_lo
	v_cndmask_b32_e64 v37, 0, 1, s2
.LBB1904_53:
	s_or_b32 exec_lo, exec_lo, s1
	v_add_nc_u32_e32 v1, 5, v28
	v_mov_b32_e32 v39, 0
	v_mov_b32_e32 v41, 0
	s_mov_b32 s2, 0
	s_mov_b32 s1, exec_lo
	v_cmpx_gt_u32_e64 s3, v1
	s_cbranch_execz .LBB1904_57
; %bb.54:
	v_add_nc_u32_e32 v1, s17, v13
	v_add_nc_u32_e32 v2, s19, v13
	s_mov_b32 s6, exec_lo
	s_delay_alu instid0(VALU_DEP_2) | instskip(NEXT) | instid1(VALU_DEP_2)
	v_mul_lo_u32 v1, v1, s16
	v_mul_lo_u32 v2, v2, s18
	s_delay_alu instid0(VALU_DEP_1) | instskip(NEXT) | instid1(VALU_DEP_1)
	v_sub_nc_u32_e32 v1, v1, v2
	v_cmp_lt_u32_e32 vcc_lo, s20, v1
	v_cmpx_ge_u32_e64 s20, v1
; %bb.55:
	v_add_nc_u32_e32 v1, s22, v13
	v_add_nc_u32_e32 v2, s40, v13
	s_delay_alu instid0(VALU_DEP_2) | instskip(NEXT) | instid1(VALU_DEP_2)
	v_mul_lo_u32 v1, v1, s21
	v_mul_lo_u32 v2, v2, s23
	s_delay_alu instid0(VALU_DEP_1) | instskip(NEXT) | instid1(VALU_DEP_1)
	v_sub_nc_u32_e32 v1, v1, v2
	v_cmp_lt_u32_e64 s0, s41, v1
	s_delay_alu instid0(VALU_DEP_1)
	s_and_b32 s2, s0, exec_lo
; %bb.56:
	s_or_b32 exec_lo, exec_lo, s6
	v_cndmask_b32_e64 v41, 0, 1, vcc_lo
	v_cndmask_b32_e64 v39, 0, 1, s2
.LBB1904_57:
	s_or_b32 exec_lo, exec_lo, s1
	v_dual_mov_b32 v40, 0 :: v_dual_add_nc_u32 v1, 6, v28
	v_mov_b32_e32 v42, 0
	s_mov_b32 s2, 0
	s_mov_b32 s1, exec_lo
	s_delay_alu instid0(VALU_DEP_2)
	v_cmpx_gt_u32_e64 s3, v1
	s_cbranch_execz .LBB1904_61
; %bb.58:
	v_add_nc_u32_e32 v1, s17, v10
	v_add_nc_u32_e32 v2, s19, v10
	s_mov_b32 s6, exec_lo
	s_delay_alu instid0(VALU_DEP_2) | instskip(NEXT) | instid1(VALU_DEP_2)
	v_mul_lo_u32 v1, v1, s16
	v_mul_lo_u32 v2, v2, s18
	s_delay_alu instid0(VALU_DEP_1) | instskip(NEXT) | instid1(VALU_DEP_1)
	v_sub_nc_u32_e32 v1, v1, v2
	v_cmp_lt_u32_e32 vcc_lo, s20, v1
	v_cmpx_ge_u32_e64 s20, v1
; %bb.59:
	v_add_nc_u32_e32 v1, s22, v10
	v_add_nc_u32_e32 v2, s40, v10
	s_delay_alu instid0(VALU_DEP_2) | instskip(NEXT) | instid1(VALU_DEP_2)
	v_mul_lo_u32 v1, v1, s21
	v_mul_lo_u32 v2, v2, s23
	s_delay_alu instid0(VALU_DEP_1) | instskip(NEXT) | instid1(VALU_DEP_1)
	v_sub_nc_u32_e32 v1, v1, v2
	v_cmp_lt_u32_e64 s0, s41, v1
	s_delay_alu instid0(VALU_DEP_1)
	s_and_b32 s2, s0, exec_lo
; %bb.60:
	s_or_b32 exec_lo, exec_lo, s6
	v_cndmask_b32_e64 v42, 0, 1, vcc_lo
	v_cndmask_b32_e64 v40, 0, 1, s2
.LBB1904_61:
	s_or_b32 exec_lo, exec_lo, s1
	v_dual_mov_b32 v44, 0 :: v_dual_add_nc_u32 v1, 7, v28
	v_mov_b32_e32 v43, 0
	s_mov_b32 s2, 0
	s_mov_b32 s1, exec_lo
	s_delay_alu instid0(VALU_DEP_2)
	v_cmpx_gt_u32_e64 s3, v1
	s_cbranch_execz .LBB1904_65
; %bb.62:
	v_add_nc_u32_e32 v1, s17, v11
	v_add_nc_u32_e32 v2, s19, v11
	s_mov_b32 s6, exec_lo
	s_delay_alu instid0(VALU_DEP_2) | instskip(NEXT) | instid1(VALU_DEP_2)
	v_mul_lo_u32 v1, v1, s16
	v_mul_lo_u32 v2, v2, s18
	s_delay_alu instid0(VALU_DEP_1) | instskip(NEXT) | instid1(VALU_DEP_1)
	v_sub_nc_u32_e32 v1, v1, v2
	v_cmp_lt_u32_e32 vcc_lo, s20, v1
	v_cmpx_ge_u32_e64 s20, v1
; %bb.63:
	v_add_nc_u32_e32 v1, s22, v11
	v_add_nc_u32_e32 v2, s40, v11
	s_delay_alu instid0(VALU_DEP_2) | instskip(NEXT) | instid1(VALU_DEP_2)
	v_mul_lo_u32 v1, v1, s21
	v_mul_lo_u32 v2, v2, s23
	s_delay_alu instid0(VALU_DEP_1) | instskip(NEXT) | instid1(VALU_DEP_1)
	v_sub_nc_u32_e32 v1, v1, v2
	v_cmp_lt_u32_e64 s0, s41, v1
	s_delay_alu instid0(VALU_DEP_1)
	s_and_b32 s2, s0, exec_lo
; %bb.64:
	s_or_b32 exec_lo, exec_lo, s6
	v_cndmask_b32_e64 v44, 0, 1, vcc_lo
	v_cndmask_b32_e64 v43, 0, 1, s2
.LBB1904_65:
	s_or_b32 exec_lo, exec_lo, s1
	v_dual_mov_b32 v46, 0 :: v_dual_add_nc_u32 v1, 8, v28
	v_mov_b32_e32 v45, 0
	s_mov_b32 s2, 0
	s_mov_b32 s1, exec_lo
	s_delay_alu instid0(VALU_DEP_2)
	v_cmpx_gt_u32_e64 s3, v1
	s_cbranch_execz .LBB1904_69
; %bb.66:
	v_add_nc_u32_e32 v1, s17, v8
	v_add_nc_u32_e32 v2, s19, v8
	s_mov_b32 s6, exec_lo
	s_delay_alu instid0(VALU_DEP_2) | instskip(NEXT) | instid1(VALU_DEP_2)
	v_mul_lo_u32 v1, v1, s16
	v_mul_lo_u32 v2, v2, s18
	s_delay_alu instid0(VALU_DEP_1) | instskip(NEXT) | instid1(VALU_DEP_1)
	v_sub_nc_u32_e32 v1, v1, v2
	v_cmp_lt_u32_e32 vcc_lo, s20, v1
	v_cmpx_ge_u32_e64 s20, v1
; %bb.67:
	v_add_nc_u32_e32 v1, s22, v8
	v_add_nc_u32_e32 v2, s40, v8
	s_delay_alu instid0(VALU_DEP_2) | instskip(NEXT) | instid1(VALU_DEP_2)
	v_mul_lo_u32 v1, v1, s21
	v_mul_lo_u32 v2, v2, s23
	s_delay_alu instid0(VALU_DEP_1) | instskip(NEXT) | instid1(VALU_DEP_1)
	v_sub_nc_u32_e32 v1, v1, v2
	v_cmp_lt_u32_e64 s0, s41, v1
	s_delay_alu instid0(VALU_DEP_1)
	s_and_b32 s2, s0, exec_lo
; %bb.68:
	s_or_b32 exec_lo, exec_lo, s6
	v_cndmask_b32_e64 v46, 0, 1, vcc_lo
	v_cndmask_b32_e64 v45, 0, 1, s2
.LBB1904_69:
	s_or_b32 exec_lo, exec_lo, s1
	v_add_nc_u32_e32 v1, 9, v28
	v_mov_b32_e32 v47, 0
	v_mov_b32_e32 v49, 0
	s_mov_b32 s2, 0
	s_mov_b32 s1, exec_lo
	v_cmpx_gt_u32_e64 s3, v1
	s_cbranch_execz .LBB1904_73
; %bb.70:
	v_add_nc_u32_e32 v1, s17, v9
	v_add_nc_u32_e32 v2, s19, v9
	s_mov_b32 s6, exec_lo
	s_delay_alu instid0(VALU_DEP_2) | instskip(NEXT) | instid1(VALU_DEP_2)
	v_mul_lo_u32 v1, v1, s16
	v_mul_lo_u32 v2, v2, s18
	s_delay_alu instid0(VALU_DEP_1) | instskip(NEXT) | instid1(VALU_DEP_1)
	v_sub_nc_u32_e32 v1, v1, v2
	v_cmp_lt_u32_e32 vcc_lo, s20, v1
	v_cmpx_ge_u32_e64 s20, v1
; %bb.71:
	v_add_nc_u32_e32 v1, s22, v9
	v_add_nc_u32_e32 v2, s40, v9
	s_delay_alu instid0(VALU_DEP_2) | instskip(NEXT) | instid1(VALU_DEP_2)
	v_mul_lo_u32 v1, v1, s21
	v_mul_lo_u32 v2, v2, s23
	s_delay_alu instid0(VALU_DEP_1) | instskip(NEXT) | instid1(VALU_DEP_1)
	v_sub_nc_u32_e32 v1, v1, v2
	v_cmp_lt_u32_e64 s0, s41, v1
	s_delay_alu instid0(VALU_DEP_1)
	s_and_b32 s2, s0, exec_lo
; %bb.72:
	s_or_b32 exec_lo, exec_lo, s6
	v_cndmask_b32_e64 v49, 0, 1, vcc_lo
	v_cndmask_b32_e64 v47, 0, 1, s2
.LBB1904_73:
	s_or_b32 exec_lo, exec_lo, s1
	v_dual_mov_b32 v48, 0 :: v_dual_add_nc_u32 v1, 10, v28
	v_mov_b32_e32 v50, 0
	s_mov_b32 s2, 0
	s_mov_b32 s1, exec_lo
	s_delay_alu instid0(VALU_DEP_2)
	v_cmpx_gt_u32_e64 s3, v1
	s_cbranch_execz .LBB1904_77
; %bb.74:
	v_add_nc_u32_e32 v1, s17, v6
	v_add_nc_u32_e32 v2, s19, v6
	s_mov_b32 s6, exec_lo
	s_delay_alu instid0(VALU_DEP_2) | instskip(NEXT) | instid1(VALU_DEP_2)
	v_mul_lo_u32 v1, v1, s16
	v_mul_lo_u32 v2, v2, s18
	s_delay_alu instid0(VALU_DEP_1) | instskip(NEXT) | instid1(VALU_DEP_1)
	v_sub_nc_u32_e32 v1, v1, v2
	v_cmp_lt_u32_e32 vcc_lo, s20, v1
	v_cmpx_ge_u32_e64 s20, v1
; %bb.75:
	v_add_nc_u32_e32 v1, s22, v6
	v_add_nc_u32_e32 v2, s40, v6
	s_delay_alu instid0(VALU_DEP_2) | instskip(NEXT) | instid1(VALU_DEP_2)
	v_mul_lo_u32 v1, v1, s21
	v_mul_lo_u32 v2, v2, s23
	s_delay_alu instid0(VALU_DEP_1) | instskip(NEXT) | instid1(VALU_DEP_1)
	v_sub_nc_u32_e32 v1, v1, v2
	v_cmp_lt_u32_e64 s0, s41, v1
	s_delay_alu instid0(VALU_DEP_1)
	s_and_b32 s2, s0, exec_lo
; %bb.76:
	s_or_b32 exec_lo, exec_lo, s6
	v_cndmask_b32_e64 v50, 0, 1, vcc_lo
	v_cndmask_b32_e64 v48, 0, 1, s2
.LBB1904_77:
	s_or_b32 exec_lo, exec_lo, s1
	v_dual_mov_b32 v52, 0 :: v_dual_add_nc_u32 v1, 11, v28
	v_mov_b32_e32 v51, 0
	s_mov_b32 s2, 0
	s_mov_b32 s1, exec_lo
	s_delay_alu instid0(VALU_DEP_2)
	v_cmpx_gt_u32_e64 s3, v1
	s_cbranch_execz .LBB1904_81
; %bb.78:
	v_add_nc_u32_e32 v1, s17, v7
	v_add_nc_u32_e32 v2, s19, v7
	s_mov_b32 s6, exec_lo
	s_delay_alu instid0(VALU_DEP_2) | instskip(NEXT) | instid1(VALU_DEP_2)
	v_mul_lo_u32 v1, v1, s16
	v_mul_lo_u32 v2, v2, s18
	s_delay_alu instid0(VALU_DEP_1) | instskip(NEXT) | instid1(VALU_DEP_1)
	v_sub_nc_u32_e32 v1, v1, v2
	v_cmp_lt_u32_e32 vcc_lo, s20, v1
	v_cmpx_ge_u32_e64 s20, v1
; %bb.79:
	v_add_nc_u32_e32 v1, s22, v7
	v_add_nc_u32_e32 v2, s40, v7
	s_delay_alu instid0(VALU_DEP_2) | instskip(NEXT) | instid1(VALU_DEP_2)
	v_mul_lo_u32 v1, v1, s21
	v_mul_lo_u32 v2, v2, s23
	s_delay_alu instid0(VALU_DEP_1) | instskip(NEXT) | instid1(VALU_DEP_1)
	v_sub_nc_u32_e32 v1, v1, v2
	v_cmp_lt_u32_e64 s0, s41, v1
	s_delay_alu instid0(VALU_DEP_1)
	s_and_b32 s2, s0, exec_lo
; %bb.80:
	s_or_b32 exec_lo, exec_lo, s6
	v_cndmask_b32_e64 v51, 0, 1, vcc_lo
	v_cndmask_b32_e64 v52, 0, 1, s2
.LBB1904_81:
	s_or_b32 exec_lo, exec_lo, s1
	v_add_nc_u32_e32 v1, 12, v28
	s_mov_b32 s42, 0
	s_mov_b32 s43, 0
	s_mov_b32 s0, exec_lo
	s_delay_alu instid0(VALU_DEP_1)
	v_cmpx_gt_u32_e64 s3, v1
	s_cbranch_execz .LBB1904_85
; %bb.82:
	v_add_nc_u32_e32 v1, s17, v27
	v_add_nc_u32_e32 v2, s19, v27
	s_mov_b32 s2, -1
	s_mov_b32 s6, 0
	s_mov_b32 s1, exec_lo
	v_mul_lo_u32 v1, v1, s16
	v_mul_lo_u32 v2, v2, s18
	s_delay_alu instid0(VALU_DEP_1) | instskip(NEXT) | instid1(VALU_DEP_1)
	v_sub_nc_u32_e32 v1, v1, v2
	v_cmpx_ge_u32_e64 s20, v1
; %bb.83:
	v_add_nc_u32_e32 v1, s22, v27
	v_add_nc_u32_e32 v2, s40, v27
	s_xor_b32 s2, exec_lo, -1
	s_delay_alu instid0(VALU_DEP_2) | instskip(NEXT) | instid1(VALU_DEP_2)
	v_mul_lo_u32 v1, v1, s21
	v_mul_lo_u32 v2, v2, s23
	s_delay_alu instid0(VALU_DEP_1) | instskip(NEXT) | instid1(VALU_DEP_1)
	v_sub_nc_u32_e32 v1, v1, v2
	v_cmp_lt_u32_e32 vcc_lo, s41, v1
	s_and_b32 s6, vcc_lo, exec_lo
; %bb.84:
	s_or_b32 exec_lo, exec_lo, s1
	s_delay_alu instid0(SALU_CYCLE_1)
	s_and_b32 s43, s6, exec_lo
	s_and_b32 s42, s2, exec_lo
.LBB1904_85:
	s_or_b32 exec_lo, exec_lo, s0
.LBB1904_86:
	v_and_b32_e32 v75, 0xff, v29
	v_and_b32_e32 v76, 0xff, v30
	;; [unrolled: 1-line block ×10, first 2 shown]
	v_add3_u32 v1, v71, v73, v75
	v_add3_u32 v2, v72, v74, v76
	v_and_b32_e32 v65, 0xff, v41
	v_and_b32_e32 v66, 0xff, v39
	v_and_b32_e32 v61, 0xff, v42
	v_and_b32_e32 v62, 0xff, v40
	v_add3_u32 v1, v1, v69, v67
	v_add3_u32 v2, v2, v70, v68
	v_and_b32_e32 v63, 0xff, v44
	v_and_b32_e32 v64, 0xff, v43
	v_and_b32_e32 v59, 0xff, v46
	v_and_b32_e32 v60, 0xff, v45
	;; [unrolled: 6-line block ×3, first 2 shown]
	v_add3_u32 v1, v1, v63, v59
	v_add3_u32 v2, v2, v64, v60
	v_mbcnt_lo_u32_b32 v77, -1, 0
	v_and_b32_e32 v53, 0xff, v51
	v_and_b32_e32 v54, 0xff, v52
	v_cndmask_b32_e64 v3, 0, 1, s43
	v_add3_u32 v1, v1, v57, v55
	v_cndmask_b32_e64 v4, 0, 1, s42
	v_add3_u32 v2, v2, v58, v56
	v_and_b32_e32 v81, 15, v77
	v_and_b32_e32 v80, 16, v77
	v_lshrrev_b32_e32 v78, 5, v0
	v_add3_u32 v82, v1, v53, v4
	v_add3_u32 v83, v2, v54, v3
	v_cmp_eq_u32_e64 s1, 0, v81
	v_cmp_lt_u32_e64 s0, 1, v81
	v_cmp_lt_u32_e64 s2, 3, v81
	v_cmp_lt_u32_e32 vcc_lo, 7, v81
	v_or_b32_e32 v79, 31, v0
	s_cmp_lg_u32 s15, 0
	s_mov_b32 s6, -1
	s_cbranch_scc0 .LBB1904_119
; %bb.87:
	v_mov_b32_dpp v1, v83 row_shr:1 row_mask:0xf bank_mask:0xf
	v_mov_b32_dpp v2, v82 row_shr:1 row_mask:0xf bank_mask:0xf
	s_delay_alu instid0(VALU_DEP_2) | instskip(NEXT) | instid1(VALU_DEP_1)
	v_add_nc_u32_e32 v1, v1, v83
	v_cndmask_b32_e64 v1, v1, v83, s1
	s_delay_alu instid0(VALU_DEP_1) | instskip(NEXT) | instid1(VALU_DEP_1)
	v_mov_b32_dpp v3, v1 row_shr:2 row_mask:0xf bank_mask:0xf
	v_add_nc_u32_e32 v3, v1, v3
	s_delay_alu instid0(VALU_DEP_1) | instskip(NEXT) | instid1(VALU_DEP_1)
	v_cndmask_b32_e64 v1, v1, v3, s0
	v_mov_b32_dpp v3, v1 row_shr:4 row_mask:0xf bank_mask:0xf
	s_delay_alu instid0(VALU_DEP_1) | instskip(NEXT) | instid1(VALU_DEP_1)
	v_add_nc_u32_e32 v3, v1, v3
	v_cndmask_b32_e64 v1, v1, v3, s2
	s_delay_alu instid0(VALU_DEP_1) | instskip(NEXT) | instid1(VALU_DEP_1)
	v_mov_b32_dpp v3, v1 row_shr:8 row_mask:0xf bank_mask:0xf
	v_add_nc_u32_e32 v3, v1, v3
	s_delay_alu instid0(VALU_DEP_1) | instskip(NEXT) | instid1(VALU_DEP_1)
	v_dual_cndmask_b32 v1, v1, v3 :: v_dual_add_nc_u32 v2, v2, v82
	v_cndmask_b32_e64 v2, v2, v82, s1
	s_delay_alu instid0(VALU_DEP_1) | instskip(NEXT) | instid1(VALU_DEP_1)
	v_mov_b32_dpp v4, v2 row_shr:2 row_mask:0xf bank_mask:0xf
	v_add_nc_u32_e32 v4, v2, v4
	s_delay_alu instid0(VALU_DEP_1) | instskip(NEXT) | instid1(VALU_DEP_1)
	v_cndmask_b32_e64 v2, v2, v4, s0
	v_mov_b32_dpp v4, v2 row_shr:4 row_mask:0xf bank_mask:0xf
	s_delay_alu instid0(VALU_DEP_1) | instskip(NEXT) | instid1(VALU_DEP_1)
	v_add_nc_u32_e32 v4, v2, v4
	v_cndmask_b32_e64 v2, v2, v4, s2
	s_mov_b32 s2, exec_lo
	s_delay_alu instid0(VALU_DEP_1) | instskip(NEXT) | instid1(VALU_DEP_1)
	v_mov_b32_dpp v4, v2 row_shr:8 row_mask:0xf bank_mask:0xf
	v_add_nc_u32_e32 v4, v2, v4
	s_delay_alu instid0(VALU_DEP_1)
	v_cndmask_b32_e32 v3, v2, v4, vcc_lo
	ds_swizzle_b32 v2, v1 offset:swizzle(BROADCAST,32,15)
	v_cmp_eq_u32_e32 vcc_lo, 0, v80
	s_waitcnt lgkmcnt(0)
	v_add_nc_u32_e32 v2, v1, v2
	ds_swizzle_b32 v4, v3 offset:swizzle(BROADCAST,32,15)
	v_cndmask_b32_e32 v2, v2, v1, vcc_lo
	s_waitcnt lgkmcnt(0)
	v_add_nc_u32_e32 v4, v3, v4
	s_delay_alu instid0(VALU_DEP_1)
	v_cndmask_b32_e32 v1, v4, v3, vcc_lo
	v_cmpx_eq_u32_e64 v79, v0
	s_cbranch_execz .LBB1904_89
; %bb.88:
	v_lshlrev_b32_e32 v3, 3, v78
	ds_store_b64 v3, v[1:2]
.LBB1904_89:
	s_or_b32 exec_lo, exec_lo, s2
	s_delay_alu instid0(SALU_CYCLE_1)
	s_mov_b32 s2, exec_lo
	s_waitcnt lgkmcnt(0)
	s_barrier
	buffer_gl0_inv
	v_cmpx_gt_u32_e32 8, v0
	s_cbranch_execz .LBB1904_91
; %bb.90:
	v_lshlrev_b32_e32 v5, 3, v0
	ds_load_b64 v[3:4], v5
	s_waitcnt lgkmcnt(0)
	v_mov_b32_dpp v18, v3 row_shr:1 row_mask:0xf bank_mask:0xf
	v_mov_b32_dpp v19, v4 row_shr:1 row_mask:0xf bank_mask:0xf
	s_delay_alu instid0(VALU_DEP_2) | instskip(SKIP_1) | instid1(VALU_DEP_3)
	v_add_nc_u32_e32 v18, v18, v3
	v_and_b32_e32 v20, 7, v77
	v_add_nc_u32_e32 v19, v19, v4
	s_delay_alu instid0(VALU_DEP_2) | instskip(NEXT) | instid1(VALU_DEP_2)
	v_cmp_eq_u32_e32 vcc_lo, 0, v20
	v_dual_cndmask_b32 v4, v19, v4 :: v_dual_cndmask_b32 v3, v18, v3
	v_cmp_lt_u32_e32 vcc_lo, 1, v20
	s_delay_alu instid0(VALU_DEP_2) | instskip(NEXT) | instid1(VALU_DEP_3)
	v_mov_b32_dpp v19, v4 row_shr:2 row_mask:0xf bank_mask:0xf
	v_mov_b32_dpp v18, v3 row_shr:2 row_mask:0xf bank_mask:0xf
	s_delay_alu instid0(VALU_DEP_2) | instskip(NEXT) | instid1(VALU_DEP_2)
	v_add_nc_u32_e32 v19, v4, v19
	v_add_nc_u32_e32 v18, v3, v18
	s_delay_alu instid0(VALU_DEP_1) | instskip(SKIP_1) | instid1(VALU_DEP_2)
	v_dual_cndmask_b32 v4, v4, v19 :: v_dual_cndmask_b32 v3, v3, v18
	v_cmp_lt_u32_e32 vcc_lo, 3, v20
	v_mov_b32_dpp v19, v4 row_shr:4 row_mask:0xf bank_mask:0xf
	s_delay_alu instid0(VALU_DEP_3) | instskip(NEXT) | instid1(VALU_DEP_1)
	v_mov_b32_dpp v18, v3 row_shr:4 row_mask:0xf bank_mask:0xf
	v_dual_cndmask_b32 v19, 0, v19 :: v_dual_cndmask_b32 v18, 0, v18
	s_delay_alu instid0(VALU_DEP_1) | instskip(NEXT) | instid1(VALU_DEP_2)
	v_add_nc_u32_e32 v4, v19, v4
	v_add_nc_u32_e32 v3, v18, v3
	ds_store_b64 v5, v[3:4]
.LBB1904_91:
	s_or_b32 exec_lo, exec_lo, s2
	v_cmp_gt_u32_e32 vcc_lo, 32, v0
	v_cmp_lt_u32_e64 s2, 31, v0
	s_waitcnt lgkmcnt(0)
	s_barrier
	buffer_gl0_inv
                                        ; implicit-def: $vgpr19
	s_and_saveexec_b32 s6, s2
	s_delay_alu instid0(SALU_CYCLE_1)
	s_xor_b32 s2, exec_lo, s6
	s_cbranch_execz .LBB1904_93
; %bb.92:
	v_lshl_add_u32 v3, v78, 3, -8
	ds_load_b64 v[18:19], v3
	s_waitcnt lgkmcnt(0)
	v_add_nc_u32_e32 v2, v19, v2
	v_add_nc_u32_e32 v1, v18, v1
.LBB1904_93:
	s_and_not1_saveexec_b32 s2, s2
; %bb.94:
                                        ; implicit-def: $vgpr18
; %bb.95:
	s_delay_alu instid0(SALU_CYCLE_1) | instskip(SKIP_1) | instid1(VALU_DEP_1)
	s_or_b32 exec_lo, exec_lo, s2
	v_add_nc_u32_e32 v3, -1, v77
	v_cmp_gt_i32_e64 s2, 0, v3
	s_delay_alu instid0(VALU_DEP_1) | instskip(SKIP_1) | instid1(VALU_DEP_2)
	v_cndmask_b32_e64 v3, v3, v77, s2
	v_cmp_eq_u32_e64 s2, 0, v77
	v_lshlrev_b32_e32 v3, 2, v3
	ds_bpermute_b32 v84, v3, v1
	ds_bpermute_b32 v85, v3, v2
	s_and_saveexec_b32 s6, vcc_lo
	s_cbranch_execz .LBB1904_118
; %bb.96:
	v_mov_b32_e32 v4, 0
	ds_load_b64 v[1:2], v4 offset:56
	s_waitcnt lgkmcnt(0)
	v_readfirstlane_b32 s7, v2
	s_and_saveexec_b32 s8, s2
	s_cbranch_execz .LBB1904_98
; %bb.97:
	s_add_i32 s10, s15, 32
	s_mov_b32 s11, 0
	v_mov_b32_e32 v3, 1
	s_lshl_b64 s[12:13], s[10:11], 4
	s_mov_b32 s16, s11
	s_add_u32 s12, s4, s12
	s_addc_u32 s13, s5, s13
	s_and_b32 s17, s7, 0xff000000
	s_and_b32 s19, s7, 0xff0000
	s_mov_b32 s18, s11
	v_dual_mov_b32 v21, s13 :: v_dual_mov_b32 v20, s12
	s_or_b64 s[16:17], s[18:19], s[16:17]
	s_and_b32 s19, s7, 0xff00
	s_delay_alu instid0(SALU_CYCLE_1) | instskip(SKIP_1) | instid1(SALU_CYCLE_1)
	s_or_b64 s[16:17], s[16:17], s[18:19]
	s_and_b32 s19, s7, 0xff
	s_or_b64 s[10:11], s[16:17], s[18:19]
	s_delay_alu instid0(SALU_CYCLE_1)
	v_mov_b32_e32 v2, s11
	;;#ASMSTART
	global_store_dwordx4 v[20:21], v[1:4] off	
s_waitcnt vmcnt(0)
	;;#ASMEND
.LBB1904_98:
	s_or_b32 exec_lo, exec_lo, s8
	v_xad_u32 v20, v77, -1, s15
	s_mov_b32 s9, 0
	s_mov_b32 s8, exec_lo
	s_delay_alu instid0(VALU_DEP_1) | instskip(NEXT) | instid1(VALU_DEP_1)
	v_add_nc_u32_e32 v3, 32, v20
	v_lshlrev_b64 v[2:3], 4, v[3:4]
	s_delay_alu instid0(VALU_DEP_1) | instskip(NEXT) | instid1(VALU_DEP_2)
	v_add_co_u32 v21, vcc_lo, s4, v2
	v_add_co_ci_u32_e32 v22, vcc_lo, s5, v3, vcc_lo
	;;#ASMSTART
	global_load_dwordx4 v[2:5], v[21:22] off glc	
s_waitcnt vmcnt(0)
	;;#ASMEND
	v_and_b32_e32 v5, 0xff, v3
	v_and_b32_e32 v23, 0xff00, v3
	v_or3_b32 v2, v2, 0, 0
	v_and_b32_e32 v24, 0xff000000, v3
	v_and_b32_e32 v3, 0xff0000, v3
	s_delay_alu instid0(VALU_DEP_4) | instskip(SKIP_2) | instid1(VALU_DEP_3)
	v_or3_b32 v5, 0, v5, v23
	v_and_b32_e32 v23, 0xff, v4
	v_or3_b32 v2, v2, 0, 0
	v_or3_b32 v3, v5, v3, v24
	s_delay_alu instid0(VALU_DEP_3)
	v_cmpx_eq_u16_e32 0, v23
	s_cbranch_execz .LBB1904_104
; %bb.99:
	s_mov_b32 s10, 1
	.p2align	6
.LBB1904_100:                           ; =>This Loop Header: Depth=1
                                        ;     Child Loop BB1904_101 Depth 2
	s_delay_alu instid0(SALU_CYCLE_1)
	s_max_u32 s11, s10, 1
.LBB1904_101:                           ;   Parent Loop BB1904_100 Depth=1
                                        ; =>  This Inner Loop Header: Depth=2
	s_delay_alu instid0(SALU_CYCLE_1)
	s_add_i32 s11, s11, -1
	s_sleep 1
	s_cmp_eq_u32 s11, 0
	s_cbranch_scc0 .LBB1904_101
; %bb.102:                              ;   in Loop: Header=BB1904_100 Depth=1
	;;#ASMSTART
	global_load_dwordx4 v[2:5], v[21:22] off glc	
s_waitcnt vmcnt(0)
	;;#ASMEND
	v_and_b32_e32 v5, 0xff, v4
	s_cmp_lt_u32 s10, 32
	s_cselect_b32 s11, -1, 0
	s_delay_alu instid0(SALU_CYCLE_1) | instskip(NEXT) | instid1(VALU_DEP_1)
	s_cmp_lg_u32 s11, 0
	v_cmp_ne_u16_e32 vcc_lo, 0, v5
	s_addc_u32 s10, s10, 0
	s_or_b32 s9, vcc_lo, s9
	s_delay_alu instid0(SALU_CYCLE_1)
	s_and_not1_b32 exec_lo, exec_lo, s9
	s_cbranch_execnz .LBB1904_100
; %bb.103:
	s_or_b32 exec_lo, exec_lo, s9
.LBB1904_104:
	s_delay_alu instid0(SALU_CYCLE_1)
	s_or_b32 exec_lo, exec_lo, s8
	v_cmp_ne_u32_e32 vcc_lo, 31, v77
	v_lshlrev_b32_e64 v87, v77, -1
	v_add_nc_u32_e32 v91, 4, v77
	v_add_nc_u32_e32 v93, 8, v77
	;; [unrolled: 1-line block ×3, first 2 shown]
	v_add_co_ci_u32_e32 v5, vcc_lo, 0, v77, vcc_lo
	s_delay_alu instid0(VALU_DEP_1)
	v_lshlrev_b32_e32 v86, 2, v5
	ds_bpermute_b32 v21, v86, v3
	ds_bpermute_b32 v5, v86, v2
	s_waitcnt lgkmcnt(1)
	v_add_nc_u32_e32 v21, v21, v3
	v_and_b32_e32 v22, 0xff, v4
	s_waitcnt lgkmcnt(0)
	v_add_nc_u32_e32 v5, v5, v2
	s_delay_alu instid0(VALU_DEP_2) | instskip(SKIP_2) | instid1(VALU_DEP_2)
	v_cmp_eq_u16_e32 vcc_lo, 2, v22
	v_and_or_b32 v22, vcc_lo, v87, 0x80000000
	v_cmp_gt_u32_e32 vcc_lo, 30, v77
	v_ctz_i32_b32_e32 v22, v22
	v_cndmask_b32_e64 v23, 0, 1, vcc_lo
	s_delay_alu instid0(VALU_DEP_2) | instskip(NEXT) | instid1(VALU_DEP_2)
	v_cmp_lt_u32_e32 vcc_lo, v77, v22
	v_dual_cndmask_b32 v2, v2, v5 :: v_dual_lshlrev_b32 v23, 1, v23
	s_delay_alu instid0(VALU_DEP_1)
	v_add_lshl_u32 v88, v23, v77, 2
	v_cndmask_b32_e32 v3, v3, v21, vcc_lo
	v_cmp_gt_u32_e32 vcc_lo, 28, v77
	ds_bpermute_b32 v5, v88, v2
	ds_bpermute_b32 v21, v88, v3
	v_cndmask_b32_e64 v23, 0, 1, vcc_lo
	s_waitcnt lgkmcnt(1)
	v_add_nc_u32_e32 v5, v2, v5
	v_add_nc_u32_e32 v89, 2, v77
	s_waitcnt lgkmcnt(0)
	v_add_nc_u32_e32 v21, v3, v21
	s_delay_alu instid0(VALU_DEP_2) | instskip(SKIP_1) | instid1(VALU_DEP_3)
	v_cmp_gt_u32_e32 vcc_lo, v89, v22
	v_dual_cndmask_b32 v2, v5, v2 :: v_dual_lshlrev_b32 v23, 2, v23
	v_cndmask_b32_e32 v3, v21, v3, vcc_lo
	v_cmp_gt_u32_e32 vcc_lo, 24, v77
	s_delay_alu instid0(VALU_DEP_3)
	v_add_lshl_u32 v90, v23, v77, 2
	v_cndmask_b32_e64 v23, 0, 1, vcc_lo
	v_cmp_gt_u32_e32 vcc_lo, v91, v22
	ds_bpermute_b32 v5, v90, v2
	ds_bpermute_b32 v21, v90, v3
	v_lshlrev_b32_e32 v23, 3, v23
	s_delay_alu instid0(VALU_DEP_1) | instskip(SKIP_3) | instid1(VALU_DEP_1)
	v_add_lshl_u32 v92, v23, v77, 2
	s_waitcnt lgkmcnt(1)
	v_add_nc_u32_e32 v5, v2, v5
	s_waitcnt lgkmcnt(0)
	v_dual_cndmask_b32 v2, v5, v2 :: v_dual_add_nc_u32 v21, v3, v21
	s_delay_alu instid0(VALU_DEP_1)
	v_cndmask_b32_e32 v3, v21, v3, vcc_lo
	v_cmp_gt_u32_e32 vcc_lo, 16, v77
	ds_bpermute_b32 v5, v92, v2
	ds_bpermute_b32 v21, v92, v3
	v_cndmask_b32_e64 v23, 0, 1, vcc_lo
	v_cmp_gt_u32_e32 vcc_lo, v93, v22
	s_delay_alu instid0(VALU_DEP_2) | instskip(NEXT) | instid1(VALU_DEP_1)
	v_lshlrev_b32_e32 v23, 4, v23
	v_add_lshl_u32 v94, v23, v77, 2
	s_waitcnt lgkmcnt(1)
	v_add_nc_u32_e32 v5, v2, v5
	s_waitcnt lgkmcnt(0)
	s_delay_alu instid0(VALU_DEP_1) | instskip(NEXT) | instid1(VALU_DEP_1)
	v_dual_cndmask_b32 v2, v5, v2 :: v_dual_add_nc_u32 v21, v3, v21
	v_cndmask_b32_e32 v3, v21, v3, vcc_lo
	v_cmp_le_u32_e32 vcc_lo, v95, v22
	ds_bpermute_b32 v5, v94, v2
	ds_bpermute_b32 v21, v94, v3
	s_waitcnt lgkmcnt(1)
	v_cndmask_b32_e32 v5, 0, v5, vcc_lo
	s_waitcnt lgkmcnt(0)
	s_delay_alu instid0(VALU_DEP_1) | instskip(NEXT) | instid1(VALU_DEP_1)
	v_dual_cndmask_b32 v21, 0, v21 :: v_dual_add_nc_u32 v2, v5, v2
	v_add_nc_u32_e32 v3, v21, v3
	v_mov_b32_e32 v21, 0
	s_branch .LBB1904_106
.LBB1904_105:                           ;   in Loop: Header=BB1904_106 Depth=1
	s_or_b32 exec_lo, exec_lo, s8
	ds_bpermute_b32 v5, v86, v2
	ds_bpermute_b32 v24, v86, v3
	v_subrev_nc_u32_e32 v20, 32, v20
	s_waitcnt lgkmcnt(1)
	v_add_nc_u32_e32 v5, v5, v2
	v_and_b32_e32 v25, 0xff, v4
	s_waitcnt lgkmcnt(0)
	v_add_nc_u32_e32 v24, v24, v3
	s_delay_alu instid0(VALU_DEP_2) | instskip(SKIP_1) | instid1(VALU_DEP_1)
	v_cmp_eq_u16_e32 vcc_lo, 2, v25
	v_and_or_b32 v25, vcc_lo, v87, 0x80000000
	v_ctz_i32_b32_e32 v25, v25
	s_delay_alu instid0(VALU_DEP_1)
	v_cmp_lt_u32_e32 vcc_lo, v77, v25
	v_cndmask_b32_e32 v2, v2, v5, vcc_lo
	ds_bpermute_b32 v5, v88, v2
	s_waitcnt lgkmcnt(0)
	v_add_nc_u32_e32 v5, v2, v5
	v_cndmask_b32_e32 v3, v3, v24, vcc_lo
	v_cmp_gt_u32_e32 vcc_lo, v89, v25
	s_delay_alu instid0(VALU_DEP_3)
	v_cndmask_b32_e32 v2, v5, v2, vcc_lo
	ds_bpermute_b32 v24, v88, v3
	ds_bpermute_b32 v5, v90, v2
	s_waitcnt lgkmcnt(1)
	v_add_nc_u32_e32 v24, v3, v24
	s_waitcnt lgkmcnt(0)
	v_add_nc_u32_e32 v5, v2, v5
	s_delay_alu instid0(VALU_DEP_2) | instskip(SKIP_1) | instid1(VALU_DEP_3)
	v_cndmask_b32_e32 v3, v24, v3, vcc_lo
	v_cmp_gt_u32_e32 vcc_lo, v91, v25
	v_cndmask_b32_e32 v2, v5, v2, vcc_lo
	ds_bpermute_b32 v24, v90, v3
	ds_bpermute_b32 v5, v92, v2
	s_waitcnt lgkmcnt(1)
	v_add_nc_u32_e32 v24, v3, v24
	s_waitcnt lgkmcnt(0)
	v_add_nc_u32_e32 v5, v2, v5
	s_delay_alu instid0(VALU_DEP_2) | instskip(SKIP_1) | instid1(VALU_DEP_3)
	v_cndmask_b32_e32 v3, v24, v3, vcc_lo
	v_cmp_gt_u32_e32 vcc_lo, v93, v25
	v_cndmask_b32_e32 v2, v5, v2, vcc_lo
	ds_bpermute_b32 v24, v92, v3
	ds_bpermute_b32 v5, v94, v2
	s_waitcnt lgkmcnt(1)
	v_add_nc_u32_e32 v24, v3, v24
	s_delay_alu instid0(VALU_DEP_1) | instskip(SKIP_4) | instid1(VALU_DEP_1)
	v_cndmask_b32_e32 v3, v24, v3, vcc_lo
	v_cmp_le_u32_e32 vcc_lo, v95, v25
	ds_bpermute_b32 v24, v94, v3
	s_waitcnt lgkmcnt(1)
	v_cndmask_b32_e32 v5, 0, v5, vcc_lo
	v_add3_u32 v2, v2, v22, v5
	s_waitcnt lgkmcnt(0)
	v_cndmask_b32_e32 v24, 0, v24, vcc_lo
	s_delay_alu instid0(VALU_DEP_1)
	v_add3_u32 v3, v3, v23, v24
.LBB1904_106:                           ; =>This Loop Header: Depth=1
                                        ;     Child Loop BB1904_109 Depth 2
                                        ;       Child Loop BB1904_110 Depth 3
	s_delay_alu instid0(VALU_DEP_1) | instskip(SKIP_1) | instid1(VALU_DEP_2)
	v_dual_mov_b32 v23, v3 :: v_dual_and_b32 v4, 0xff, v4
	v_mov_b32_e32 v22, v2
	v_cmp_ne_u16_e32 vcc_lo, 2, v4
	v_cndmask_b32_e64 v4, 0, 1, vcc_lo
	;;#ASMSTART
	;;#ASMEND
	s_delay_alu instid0(VALU_DEP_1)
	v_cmp_ne_u32_e32 vcc_lo, 0, v4
	s_cmp_lg_u32 vcc_lo, exec_lo
	s_cbranch_scc1 .LBB1904_113
; %bb.107:                              ;   in Loop: Header=BB1904_106 Depth=1
	v_lshlrev_b64 v[2:3], 4, v[20:21]
	s_mov_b32 s8, exec_lo
	s_delay_alu instid0(VALU_DEP_1) | instskip(NEXT) | instid1(VALU_DEP_2)
	v_add_co_u32 v24, vcc_lo, s4, v2
	v_add_co_ci_u32_e32 v25, vcc_lo, s5, v3, vcc_lo
	;;#ASMSTART
	global_load_dwordx4 v[2:5], v[24:25] off glc	
s_waitcnt vmcnt(0)
	;;#ASMEND
	v_and_b32_e32 v5, 0xff, v3
	v_and_b32_e32 v96, 0xff00, v3
	v_or3_b32 v2, v2, 0, 0
	v_and_b32_e32 v97, 0xff000000, v3
	v_and_b32_e32 v3, 0xff0000, v3
	s_delay_alu instid0(VALU_DEP_4) | instskip(SKIP_2) | instid1(VALU_DEP_3)
	v_or3_b32 v5, 0, v5, v96
	v_and_b32_e32 v96, 0xff, v4
	v_or3_b32 v2, v2, 0, 0
	v_or3_b32 v3, v5, v3, v97
	s_delay_alu instid0(VALU_DEP_3)
	v_cmpx_eq_u16_e32 0, v96
	s_cbranch_execz .LBB1904_105
; %bb.108:                              ;   in Loop: Header=BB1904_106 Depth=1
	s_mov_b32 s10, 1
	s_mov_b32 s9, 0
	.p2align	6
.LBB1904_109:                           ;   Parent Loop BB1904_106 Depth=1
                                        ; =>  This Loop Header: Depth=2
                                        ;       Child Loop BB1904_110 Depth 3
	s_max_u32 s11, s10, 1
.LBB1904_110:                           ;   Parent Loop BB1904_106 Depth=1
                                        ;     Parent Loop BB1904_109 Depth=2
                                        ; =>    This Inner Loop Header: Depth=3
	s_delay_alu instid0(SALU_CYCLE_1)
	s_add_i32 s11, s11, -1
	s_sleep 1
	s_cmp_eq_u32 s11, 0
	s_cbranch_scc0 .LBB1904_110
; %bb.111:                              ;   in Loop: Header=BB1904_109 Depth=2
	;;#ASMSTART
	global_load_dwordx4 v[2:5], v[24:25] off glc	
s_waitcnt vmcnt(0)
	;;#ASMEND
	v_and_b32_e32 v5, 0xff, v4
	s_cmp_lt_u32 s10, 32
	s_cselect_b32 s11, -1, 0
	s_delay_alu instid0(SALU_CYCLE_1) | instskip(NEXT) | instid1(VALU_DEP_1)
	s_cmp_lg_u32 s11, 0
	v_cmp_ne_u16_e32 vcc_lo, 0, v5
	s_addc_u32 s10, s10, 0
	s_or_b32 s9, vcc_lo, s9
	s_delay_alu instid0(SALU_CYCLE_1)
	s_and_not1_b32 exec_lo, exec_lo, s9
	s_cbranch_execnz .LBB1904_109
; %bb.112:                              ;   in Loop: Header=BB1904_106 Depth=1
	s_or_b32 exec_lo, exec_lo, s9
	s_branch .LBB1904_105
.LBB1904_113:                           ;   in Loop: Header=BB1904_106 Depth=1
                                        ; implicit-def: $vgpr4
                                        ; implicit-def: $vgpr2_vgpr3
	s_cbranch_execz .LBB1904_106
; %bb.114:
	s_and_saveexec_b32 s8, s2
	s_cbranch_execnz .LBB1904_357
; %bb.115:
	s_or_b32 exec_lo, exec_lo, s8
	s_and_saveexec_b32 s8, s2
	s_cbranch_execnz .LBB1904_358
.LBB1904_116:
	s_or_b32 exec_lo, exec_lo, s8
	v_cmp_eq_u32_e32 vcc_lo, 0, v0
	s_and_b32 exec_lo, exec_lo, vcc_lo
	s_cbranch_execz .LBB1904_118
.LBB1904_117:
	v_mov_b32_e32 v1, 0
	ds_store_b64 v1, v[22:23] offset:56
.LBB1904_118:
	s_or_b32 exec_lo, exec_lo, s6
	v_cmp_eq_u32_e32 vcc_lo, 0, v0
	v_mov_b32_e32 v1, 0
	s_waitcnt lgkmcnt(0)
	s_barrier
	buffer_gl0_inv
	v_add_nc_u32_e64 v3, 0x3400, 0
	ds_load_b64 v[20:21], v1 offset:56
	s_waitcnt lgkmcnt(0)
	s_barrier
	buffer_gl0_inv
	ds_load_2addr_b32 v[1:2], v3 offset1:2
	ds_load_2addr_b32 v[3:4], v3 offset0:4 offset1:6
	v_cndmask_b32_e64 v5, v84, v18, s2
	v_cndmask_b32_e64 v18, v85, v19, s2
	s_delay_alu instid0(VALU_DEP_2) | instskip(NEXT) | instid1(VALU_DEP_1)
	v_add_nc_u32_e32 v19, v20, v5
	v_dual_cndmask_b32 v20, v19, v20 :: v_dual_add_nc_u32 v5, v21, v18
	s_delay_alu instid0(VALU_DEP_1)
	v_cndmask_b32_e32 v5, v5, v21, vcc_lo
	s_branch .LBB1904_129
.LBB1904_119:
                                        ; implicit-def: $vgpr5
                                        ; implicit-def: $vgpr3
                                        ; implicit-def: $vgpr1
                                        ; implicit-def: $vgpr20_vgpr21
	s_and_b32 vcc_lo, exec_lo, s6
	s_cbranch_vccz .LBB1904_129
; %bb.120:
	s_waitcnt lgkmcnt(0)
	v_mov_b32_dpp v2, v83 row_shr:1 row_mask:0xf bank_mask:0xf
	v_cmp_lt_u32_e32 vcc_lo, 3, v81
	v_mov_b32_dpp v1, v82 row_shr:1 row_mask:0xf bank_mask:0xf
	s_delay_alu instid0(VALU_DEP_3) | instskip(NEXT) | instid1(VALU_DEP_1)
	v_add_nc_u32_e32 v2, v2, v83
	v_cndmask_b32_e64 v2, v2, v83, s1
	s_delay_alu instid0(VALU_DEP_1) | instskip(NEXT) | instid1(VALU_DEP_1)
	v_mov_b32_dpp v4, v2 row_shr:2 row_mask:0xf bank_mask:0xf
	v_add_nc_u32_e32 v4, v2, v4
	s_delay_alu instid0(VALU_DEP_1) | instskip(NEXT) | instid1(VALU_DEP_1)
	v_cndmask_b32_e64 v2, v2, v4, s0
	v_mov_b32_dpp v4, v2 row_shr:4 row_mask:0xf bank_mask:0xf
	s_delay_alu instid0(VALU_DEP_1) | instskip(NEXT) | instid1(VALU_DEP_1)
	v_add_nc_u32_e32 v4, v2, v4
	v_dual_cndmask_b32 v2, v2, v4 :: v_dual_add_nc_u32 v1, v1, v82
	s_delay_alu instid0(VALU_DEP_1) | instskip(NEXT) | instid1(VALU_DEP_2)
	v_cndmask_b32_e64 v1, v1, v82, s1
	v_mov_b32_dpp v4, v2 row_shr:8 row_mask:0xf bank_mask:0xf
	s_delay_alu instid0(VALU_DEP_2) | instskip(NEXT) | instid1(VALU_DEP_2)
	v_mov_b32_dpp v3, v1 row_shr:2 row_mask:0xf bank_mask:0xf
	v_add_nc_u32_e32 v4, v2, v4
	s_delay_alu instid0(VALU_DEP_2) | instskip(NEXT) | instid1(VALU_DEP_1)
	v_add_nc_u32_e32 v3, v1, v3
	v_cndmask_b32_e64 v1, v1, v3, s0
	s_mov_b32 s0, exec_lo
	s_delay_alu instid0(VALU_DEP_1) | instskip(NEXT) | instid1(VALU_DEP_1)
	v_mov_b32_dpp v3, v1 row_shr:4 row_mask:0xf bank_mask:0xf
	v_add_nc_u32_e32 v3, v1, v3
	s_delay_alu instid0(VALU_DEP_1) | instskip(SKIP_1) | instid1(VALU_DEP_2)
	v_cndmask_b32_e32 v1, v1, v3, vcc_lo
	v_cmp_lt_u32_e32 vcc_lo, 7, v81
	v_mov_b32_dpp v3, v1 row_shr:8 row_mask:0xf bank_mask:0xf
	s_delay_alu instid0(VALU_DEP_1) | instskip(NEXT) | instid1(VALU_DEP_1)
	v_dual_cndmask_b32 v2, v2, v4 :: v_dual_add_nc_u32 v3, v1, v3
	v_cndmask_b32_e32 v1, v1, v3, vcc_lo
	ds_swizzle_b32 v3, v2 offset:swizzle(BROADCAST,32,15)
	v_cmp_eq_u32_e32 vcc_lo, 0, v80
	ds_swizzle_b32 v4, v1 offset:swizzle(BROADCAST,32,15)
	s_waitcnt lgkmcnt(1)
	v_add_nc_u32_e32 v3, v2, v3
	s_waitcnt lgkmcnt(0)
	v_add_nc_u32_e32 v4, v1, v4
	s_delay_alu instid0(VALU_DEP_1)
	v_dual_cndmask_b32 v2, v3, v2 :: v_dual_cndmask_b32 v1, v4, v1
	v_cmpx_eq_u32_e64 v79, v0
	s_cbranch_execz .LBB1904_122
; %bb.121:
	v_lshlrev_b32_e32 v3, 3, v78
	ds_store_b64 v3, v[1:2]
.LBB1904_122:
	s_or_b32 exec_lo, exec_lo, s0
	s_delay_alu instid0(SALU_CYCLE_1)
	s_mov_b32 s0, exec_lo
	s_waitcnt lgkmcnt(0)
	s_barrier
	buffer_gl0_inv
	v_cmpx_gt_u32_e32 8, v0
	s_cbranch_execz .LBB1904_124
; %bb.123:
	v_lshlrev_b32_e32 v5, 3, v0
	ds_load_b64 v[3:4], v5
	s_waitcnt lgkmcnt(0)
	v_mov_b32_dpp v18, v3 row_shr:1 row_mask:0xf bank_mask:0xf
	v_mov_b32_dpp v19, v4 row_shr:1 row_mask:0xf bank_mask:0xf
	s_delay_alu instid0(VALU_DEP_2) | instskip(SKIP_1) | instid1(VALU_DEP_3)
	v_add_nc_u32_e32 v18, v18, v3
	v_and_b32_e32 v20, 7, v77
	v_add_nc_u32_e32 v19, v19, v4
	s_delay_alu instid0(VALU_DEP_2) | instskip(NEXT) | instid1(VALU_DEP_2)
	v_cmp_eq_u32_e32 vcc_lo, 0, v20
	v_dual_cndmask_b32 v4, v19, v4 :: v_dual_cndmask_b32 v3, v18, v3
	v_cmp_lt_u32_e32 vcc_lo, 1, v20
	s_delay_alu instid0(VALU_DEP_2) | instskip(NEXT) | instid1(VALU_DEP_3)
	v_mov_b32_dpp v19, v4 row_shr:2 row_mask:0xf bank_mask:0xf
	v_mov_b32_dpp v18, v3 row_shr:2 row_mask:0xf bank_mask:0xf
	s_delay_alu instid0(VALU_DEP_2) | instskip(NEXT) | instid1(VALU_DEP_2)
	v_add_nc_u32_e32 v19, v4, v19
	v_add_nc_u32_e32 v18, v3, v18
	s_delay_alu instid0(VALU_DEP_1) | instskip(SKIP_1) | instid1(VALU_DEP_2)
	v_dual_cndmask_b32 v4, v4, v19 :: v_dual_cndmask_b32 v3, v3, v18
	v_cmp_lt_u32_e32 vcc_lo, 3, v20
	v_mov_b32_dpp v19, v4 row_shr:4 row_mask:0xf bank_mask:0xf
	s_delay_alu instid0(VALU_DEP_3) | instskip(NEXT) | instid1(VALU_DEP_1)
	v_mov_b32_dpp v18, v3 row_shr:4 row_mask:0xf bank_mask:0xf
	v_dual_cndmask_b32 v19, 0, v19 :: v_dual_cndmask_b32 v18, 0, v18
	s_delay_alu instid0(VALU_DEP_1) | instskip(NEXT) | instid1(VALU_DEP_2)
	v_add_nc_u32_e32 v4, v19, v4
	v_add_nc_u32_e32 v3, v18, v3
	ds_store_b64 v5, v[3:4]
.LBB1904_124:
	s_or_b32 exec_lo, exec_lo, s0
	v_dual_mov_b32 v3, 0 :: v_dual_mov_b32 v18, 0
	v_mov_b32_e32 v19, 0
	s_mov_b32 s0, exec_lo
	s_waitcnt lgkmcnt(0)
	s_barrier
	buffer_gl0_inv
	v_cmpx_lt_u32_e32 31, v0
	s_cbranch_execz .LBB1904_126
; %bb.125:
	v_lshl_add_u32 v4, v78, 3, -8
	ds_load_b64 v[18:19], v4
.LBB1904_126:
	s_or_b32 exec_lo, exec_lo, s0
	v_add_nc_u32_e32 v4, -1, v77
	s_waitcnt lgkmcnt(0)
	v_add_nc_u32_e32 v20, v19, v2
	v_add_nc_u32_e32 v5, v18, v1
	ds_load_b64 v[1:2], v3 offset:56
	v_cmp_gt_i32_e32 vcc_lo, 0, v4
	v_cndmask_b32_e32 v4, v4, v77, vcc_lo
	v_cmp_eq_u32_e32 vcc_lo, 0, v0
	s_delay_alu instid0(VALU_DEP_2)
	v_lshlrev_b32_e32 v4, 2, v4
	ds_bpermute_b32 v5, v4, v5
	ds_bpermute_b32 v20, v4, v20
	s_waitcnt lgkmcnt(2)
	v_readfirstlane_b32 s1, v2
	s_and_saveexec_b32 s0, vcc_lo
	s_cbranch_execz .LBB1904_128
; %bb.127:
	s_mov_b32 s6, 0
	s_add_u32 s4, s4, 0x200
	s_addc_u32 s5, s5, 0
	s_and_b32 s7, s1, 0xff000000
	s_and_b32 s9, s1, 0xff0000
	s_mov_b32 s8, s6
	v_mov_b32_e32 v22, s5
	s_or_b64 s[8:9], s[8:9], s[6:7]
	s_and_b32 s7, s1, 0xff00
	v_dual_mov_b32 v4, 0 :: v_dual_mov_b32 v21, s4
	s_or_b64 s[8:9], s[8:9], s[6:7]
	s_and_b32 s7, s1, 0xff
	v_mov_b32_e32 v3, 2
	s_or_b64 s[6:7], s[8:9], s[6:7]
	s_delay_alu instid0(SALU_CYCLE_1)
	v_mov_b32_e32 v2, s7
	;;#ASMSTART
	global_store_dwordx4 v[21:22], v[1:4] off	
s_waitcnt vmcnt(0)
	;;#ASMEND
.LBB1904_128:
	s_or_b32 exec_lo, exec_lo, s0
	v_cmp_eq_u32_e64 s0, 0, v77
	v_dual_mov_b32 v3, 0 :: v_dual_mov_b32 v2, s1
	s_waitcnt lgkmcnt(0)
	s_barrier
	s_delay_alu instid0(VALU_DEP_2)
	v_cndmask_b32_e64 v4, v5, v18, s0
	v_cndmask_b32_e64 v5, v20, v19, s0
	buffer_gl0_inv
	v_cndmask_b32_e64 v20, v4, 0, vcc_lo
	v_cndmask_b32_e64 v5, v5, 0, vcc_lo
	v_mov_b32_e32 v4, 0
.LBB1904_129:
	v_and_b32_e32 v30, 1, v30
	v_and_b32_e32 v34, 1, v34
	;; [unrolled: 1-line block ×4, first 2 shown]
	s_waitcnt lgkmcnt(0)
	v_add_co_u32 v18, s0, s28, v3
	v_cmp_eq_u32_e32 vcc_lo, 1, v30
	v_add_nc_u32_e32 v22, v5, v76
	v_sub_nc_u32_e32 v5, v5, v4
	v_add_co_ci_u32_e64 v19, null, s29, 0, s0
	s_mov_b32 s2, -1
	s_delay_alu instid0(VALU_DEP_3) | instskip(SKIP_3) | instid1(VALU_DEP_3)
	v_add_nc_u32_e32 v24, v22, v72
	v_sub_nc_u32_e32 v22, v22, v4
	v_add_nc_u32_e32 v5, v5, v1
	v_sub_co_u32 v72, s0, s30, v1
	v_add_nc_u32_e32 v22, v22, v1
	v_add_nc_u32_e32 v21, v20, v75
	v_sub_nc_u32_e32 v20, v20, v3
	s_delay_alu instid0(VALU_DEP_2)
	v_add_nc_u32_e32 v23, v21, v71
	v_add_nc_u32_e32 v71, v24, v74
	v_lshlrev_b32_e32 v74, 1, v1
	v_sub_nc_u32_e32 v21, v21, v3
	v_add_nc_u32_e32 v75, v20, v5
	v_sub_nc_u32_e32 v24, v24, v4
	s_delay_alu instid0(VALU_DEP_4) | instskip(NEXT) | instid1(VALU_DEP_4)
	v_add3_u32 v28, v74, v2, v28
	v_add_nc_u32_e32 v76, v22, v21
	s_delay_alu instid0(VALU_DEP_3) | instskip(NEXT) | instid1(VALU_DEP_3)
	v_add_nc_u32_e32 v24, v24, v1
	v_sub_nc_u32_e32 v75, v28, v75
	s_delay_alu instid0(VALU_DEP_3) | instskip(NEXT) | instid1(VALU_DEP_1)
	v_sub_nc_u32_e32 v76, v28, v76
	v_dual_cndmask_b32 v5, v75, v5 :: v_dual_add_nc_u32 v30, 1, v76
	v_cmp_eq_u32_e32 vcc_lo, 1, v34
	s_delay_alu instid0(VALU_DEP_2) | instskip(SKIP_1) | instid1(VALU_DEP_4)
	v_cndmask_b32_e32 v22, v30, v22, vcc_lo
	v_cmp_eq_u32_e32 vcc_lo, 1, v29
	v_cndmask_b32_e32 v5, v5, v20, vcc_lo
	v_and_b32_e32 v20, 1, v36
	v_cmp_eq_u32_e32 vcc_lo, 1, v33
	s_delay_alu instid0(VALU_DEP_3) | instskip(SKIP_1) | instid1(VALU_DEP_4)
	v_lshlrev_b32_e32 v5, 2, v5
	v_cndmask_b32_e32 v21, v22, v21, vcc_lo
	v_cmp_eq_u32_e32 vcc_lo, 1, v20
	v_add_nc_u32_e32 v25, v23, v73
	v_sub_nc_u32_e32 v23, v23, v3
	v_and_b32_e32 v22, 1, v31
	v_sub_co_ci_u32_e64 v73, null, s31, 0, s0
	v_and_b32_e32 v31, 1, v32
	s_delay_alu instid0(VALU_DEP_4) | instskip(NEXT) | instid1(VALU_DEP_1)
	v_add_nc_u32_e32 v77, v24, v23
	v_sub_nc_u32_e32 v75, v28, v77
	s_delay_alu instid0(VALU_DEP_1) | instskip(NEXT) | instid1(VALU_DEP_1)
	v_add_nc_u32_e32 v29, 2, v75
	v_cndmask_b32_e32 v20, v29, v24, vcc_lo
	v_sub_nc_u32_e32 v24, v71, v4
	v_cmp_eq_u32_e32 vcc_lo, 1, v22
	v_add_nc_u32_e32 v69, v25, v69
	v_lshlrev_b32_e32 v29, 2, v21
	ds_store_b32 v5, v16
	ds_store_b32 v29, v17
	v_cndmask_b32_e32 v22, v20, v23, vcc_lo
	v_sub_nc_u32_e32 v23, v25, v3
	v_add_nc_u32_e32 v24, v24, v1
	v_add_co_u32 v20, vcc_lo, v72, v4
	s_delay_alu instid0(VALU_DEP_4) | instskip(SKIP_1) | instid1(VALU_DEP_4)
	v_lshlrev_b32_e32 v5, 2, v22
	v_and_b32_e32 v22, 1, v35
	v_add_nc_u32_e32 v25, v23, v24
	v_add_co_ci_u32_e32 v21, vcc_lo, 0, v73, vcc_lo
	ds_store_b32 v5, v14
	v_cmp_eq_u32_e32 vcc_lo, 1, v22
	v_sub_nc_u32_e32 v17, v28, v25
	v_sub_nc_u32_e32 v29, v69, v3
	v_add_nc_u32_e32 v67, v69, v67
	s_delay_alu instid0(VALU_DEP_3) | instskip(NEXT) | instid1(VALU_DEP_2)
	v_add_nc_u32_e32 v17, 3, v17
	v_sub_nc_u32_e32 v30, v67, v3
	s_delay_alu instid0(VALU_DEP_2) | instskip(SKIP_2) | instid1(VALU_DEP_3)
	v_cndmask_b32_e32 v17, v17, v24, vcc_lo
	v_cmp_eq_u32_e32 vcc_lo, 1, v31
	v_and_b32_e32 v24, 1, v39
	v_cndmask_b32_e32 v14, v17, v23, vcc_lo
	v_add_nc_u32_e32 v70, v71, v70
	v_and_b32_e32 v23, 1, v38
	s_delay_alu instid0(VALU_DEP_3) | instskip(NEXT) | instid1(VALU_DEP_3)
	v_lshlrev_b32_e32 v14, 2, v14
	v_add_nc_u32_e32 v68, v70, v68
	v_sub_nc_u32_e32 v16, v70, v4
	ds_store_b32 v14, v15
	v_sub_nc_u32_e32 v25, v68, v4
	v_add_nc_u32_e32 v16, v16, v1
	s_delay_alu instid0(VALU_DEP_2) | instskip(NEXT) | instid1(VALU_DEP_2)
	v_add_nc_u32_e32 v25, v25, v1
	v_add_nc_u32_e32 v32, v29, v16
	s_delay_alu instid0(VALU_DEP_2) | instskip(NEXT) | instid1(VALU_DEP_2)
	v_add_nc_u32_e32 v22, v30, v25
	v_sub_nc_u32_e32 v5, v28, v32
	s_delay_alu instid0(VALU_DEP_2) | instskip(SKIP_1) | instid1(VALU_DEP_3)
	v_sub_nc_u32_e32 v17, v28, v22
	v_and_b32_e32 v22, 1, v37
	v_add_nc_u32_e32 v5, 4, v5
	s_delay_alu instid0(VALU_DEP_3) | instskip(NEXT) | instid1(VALU_DEP_3)
	v_add_nc_u32_e32 v17, 5, v17
	v_cmp_eq_u32_e32 vcc_lo, 1, v22
	s_delay_alu instid0(VALU_DEP_3)
	v_cndmask_b32_e32 v5, v5, v16, vcc_lo
	v_cmp_eq_u32_e32 vcc_lo, 1, v24
	v_and_b32_e32 v16, 1, v41
	v_cndmask_b32_e32 v17, v17, v25, vcc_lo
	v_cmp_eq_u32_e32 vcc_lo, 1, v23
	v_cndmask_b32_e32 v5, v5, v29, vcc_lo
	s_delay_alu instid0(VALU_DEP_4) | instskip(SKIP_1) | instid1(VALU_DEP_3)
	v_cmp_eq_u32_e32 vcc_lo, 1, v16
	v_add_nc_u32_e32 v66, v68, v66
	v_dual_cndmask_b32 v16, v17, v30 :: v_dual_lshlrev_b32 v5, 2, v5
	s_delay_alu instid0(VALU_DEP_2) | instskip(SKIP_1) | instid1(VALU_DEP_3)
	v_sub_nc_u32_e32 v22, v66, v4
	v_add_nc_u32_e32 v62, v66, v62
	v_lshlrev_b32_e32 v16, 2, v16
	ds_store_b32 v5, v12
	ds_store_b32 v16, v13
	v_and_b32_e32 v12, 1, v40
	v_add_nc_u32_e32 v22, v22, v1
	v_add_nc_u32_e32 v64, v62, v64
	v_sub_nc_u32_e32 v17, v62, v4
	v_and_b32_e32 v16, 1, v43
	v_cmp_eq_u32_e32 vcc_lo, 1, v12
	v_add_nc_u32_e32 v65, v67, v65
	v_sub_nc_u32_e32 v15, v64, v4
	v_add_nc_u32_e32 v17, v17, v1
	s_delay_alu instid0(VALU_DEP_3) | instskip(NEXT) | instid1(VALU_DEP_3)
	v_sub_nc_u32_e32 v23, v65, v3
	v_add_nc_u32_e32 v15, v15, v1
	s_delay_alu instid0(VALU_DEP_2) | instskip(NEXT) | instid1(VALU_DEP_1)
	v_add_nc_u32_e32 v24, v23, v22
	v_sub_nc_u32_e32 v14, v28, v24
	v_and_b32_e32 v24, 1, v48
	s_delay_alu instid0(VALU_DEP_2) | instskip(SKIP_1) | instid1(VALU_DEP_2)
	v_add_nc_u32_e32 v13, 6, v14
	v_and_b32_e32 v14, 1, v42
	v_cndmask_b32_e32 v12, v13, v22, vcc_lo
	v_add_nc_u32_e32 v61, v65, v61
	s_delay_alu instid0(VALU_DEP_3) | instskip(SKIP_1) | instid1(VALU_DEP_3)
	v_cmp_eq_u32_e32 vcc_lo, 1, v14
	v_and_b32_e32 v22, 1, v44
	v_sub_nc_u32_e32 v25, v61, v3
	v_add_nc_u32_e32 v63, v61, v63
	v_cndmask_b32_e32 v12, v12, v23, vcc_lo
	v_cmp_eq_u32_e32 vcc_lo, 1, v16
	v_and_b32_e32 v23, 1, v46
	v_add_nc_u32_e32 v5, v25, v17
	v_sub_nc_u32_e32 v13, v63, v3
	v_lshlrev_b32_e32 v12, 2, v12
	v_add_nc_u32_e32 v59, v63, v59
	s_delay_alu instid0(VALU_DEP_4) | instskip(NEXT) | instid1(VALU_DEP_4)
	v_sub_nc_u32_e32 v5, v28, v5
	v_add_nc_u32_e32 v14, v13, v15
	s_delay_alu instid0(VALU_DEP_3) | instskip(NEXT) | instid1(VALU_DEP_3)
	v_add_nc_u32_e32 v57, v59, v57
	v_add_nc_u32_e32 v5, 7, v5
	s_delay_alu instid0(VALU_DEP_3) | instskip(NEXT) | instid1(VALU_DEP_3)
	v_sub_nc_u32_e32 v14, v28, v14
	v_add_nc_u32_e32 v55, v57, v55
	s_delay_alu instid0(VALU_DEP_3)
	v_cndmask_b32_e32 v5, v5, v17, vcc_lo
	v_cmp_eq_u32_e32 vcc_lo, 1, v22
	v_and_b32_e32 v17, 1, v45
	v_add_nc_u32_e32 v14, 8, v14
	v_sub_nc_u32_e32 v22, v59, v3
	v_add_nc_u32_e32 v53, v55, v53
	v_cndmask_b32_e32 v5, v5, v25, vcc_lo
	v_cmp_eq_u32_e32 vcc_lo, 1, v17
	v_sub_nc_u32_e32 v17, v55, v3
	v_and_b32_e32 v25, 1, v52
	s_delay_alu instid0(VALU_DEP_4)
	v_dual_cndmask_b32 v14, v14, v15 :: v_dual_lshlrev_b32 v5, 2, v5
	v_cmp_eq_u32_e32 vcc_lo, 1, v23
	v_add_nc_u32_e32 v60, v64, v60
	ds_store_b32 v12, v10
	ds_store_b32 v5, v11
	v_and_b32_e32 v11, 1, v49
	v_cndmask_b32_e32 v5, v14, v13, vcc_lo
	v_sub_nc_u32_e32 v16, v60, v4
	v_add_nc_u32_e32 v58, v60, v58
	v_and_b32_e32 v13, 1, v47
	s_delay_alu instid0(VALU_DEP_4) | instskip(NEXT) | instid1(VALU_DEP_4)
	v_lshlrev_b32_e32 v5, 2, v5
	v_add_nc_u32_e32 v16, v16, v1
	s_delay_alu instid0(VALU_DEP_4) | instskip(SKIP_2) | instid1(VALU_DEP_4)
	v_add_nc_u32_e32 v56, v58, v56
	v_sub_nc_u32_e32 v12, v58, v4
	v_cmp_eq_u32_e32 vcc_lo, 1, v13
	v_add_nc_u32_e32 v15, v22, v16
	s_delay_alu instid0(VALU_DEP_4) | instskip(NEXT) | instid1(VALU_DEP_4)
	v_sub_nc_u32_e32 v14, v56, v4
	v_add_nc_u32_e32 v12, v12, v1
	v_add_nc_u32_e32 v54, v56, v54
	s_delay_alu instid0(VALU_DEP_4) | instskip(SKIP_2) | instid1(VALU_DEP_4)
	v_sub_nc_u32_e32 v10, v28, v15
	v_sub_nc_u32_e32 v15, v57, v3
	v_add_nc_u32_e32 v14, v14, v1
	v_sub_nc_u32_e32 v23, v54, v4
	v_sub_nc_u32_e32 v3, v53, v3
	v_add_nc_u32_e32 v10, 9, v10
	v_add_nc_u32_e32 v13, v15, v12
	s_delay_alu instid0(VALU_DEP_2) | instskip(SKIP_2) | instid1(VALU_DEP_4)
	v_dual_cndmask_b32 v10, v10, v16 :: v_dual_add_nc_u32 v23, v23, v1
	v_add_nc_u32_e32 v16, v17, v14
	v_cmp_eq_u32_e32 vcc_lo, 1, v11
	v_sub_nc_u32_e32 v11, v28, v13
	v_and_b32_e32 v13, 1, v50
	s_delay_alu instid0(VALU_DEP_4) | instskip(NEXT) | instid1(VALU_DEP_3)
	v_sub_nc_u32_e32 v16, v28, v16
	v_dual_cndmask_b32 v10, v10, v22 :: v_dual_add_nc_u32 v11, 10, v11
	v_cmp_eq_u32_e32 vcc_lo, 1, v24
	v_add_nc_u32_e32 v22, v3, v23
	s_delay_alu instid0(VALU_DEP_4) | instskip(NEXT) | instid1(VALU_DEP_4)
	v_add_nc_u32_e32 v16, 11, v16
	v_dual_cndmask_b32 v11, v11, v12 :: v_dual_lshlrev_b32 v10, 2, v10
	v_cmp_eq_u32_e32 vcc_lo, 1, v25
	s_delay_alu instid0(VALU_DEP_4) | instskip(SKIP_3) | instid1(VALU_DEP_4)
	v_sub_nc_u32_e32 v22, v28, v22
	v_and_b32_e32 v12, 1, v51
	v_cndmask_b32_e32 v14, v16, v14, vcc_lo
	v_cmp_eq_u32_e32 vcc_lo, 1, v13
	v_dual_cndmask_b32 v11, v11, v15 :: v_dual_add_nc_u32 v16, 12, v22
	s_delay_alu instid0(VALU_DEP_4) | instskip(NEXT) | instid1(VALU_DEP_2)
	v_cmp_eq_u32_e32 vcc_lo, 1, v12
	v_cndmask_b32_e64 v13, v16, v23, s43
	s_delay_alu instid0(VALU_DEP_3) | instskip(NEXT) | instid1(VALU_DEP_2)
	v_dual_cndmask_b32 v12, v14, v17 :: v_dual_lshlrev_b32 v11, 2, v11
	v_cndmask_b32_e64 v3, v13, v3, s42
	s_delay_alu instid0(VALU_DEP_2)
	v_lshlrev_b32_e32 v12, 2, v12
	ds_store_b32 v5, v8
	ds_store_b32 v10, v9
	;; [unrolled: 1-line block ×4, first 2 shown]
	v_lshlrev_b32_e32 v3, 2, v3
	v_add_co_u32 v5, s0, v2, v74
	s_delay_alu instid0(VALU_DEP_1) | instskip(SKIP_4) | instid1(VALU_DEP_2)
	v_add_co_ci_u32_e64 v6, null, 0, 0, s0
	ds_store_b32 v3, v27
	v_add_co_u32 v3, vcc_lo, v5, v20
	v_add_co_ci_u32_e32 v5, vcc_lo, v6, v21, vcc_lo
	s_add_u32 s0, s34, s33
	v_add_co_u32 v3, vcc_lo, v3, v18
	s_delay_alu instid0(VALU_DEP_2) | instskip(SKIP_1) | instid1(VALU_DEP_2)
	v_add_co_ci_u32_e32 v5, vcc_lo, v5, v19, vcc_lo
	s_addc_u32 s1, s35, 0
	v_sub_co_u32 v3, vcc_lo, s0, v3
	s_delay_alu instid0(VALU_DEP_2)
	v_sub_co_ci_u32_e32 v9, vcc_lo, s1, v5, vcc_lo
	v_lshlrev_b64 v[5:6], 2, v[20:21]
	v_lshlrev_b64 v[7:8], 2, v[18:19]
	v_add_nc_u32_e32 v10, v1, v2
	s_add_u32 s1, s26, -4
	s_waitcnt lgkmcnt(0)
	s_barrier
	v_add_co_u32 v5, vcc_lo, s38, v5
	v_add_co_ci_u32_e32 v6, vcc_lo, s39, v6, vcc_lo
	v_cmp_ne_u32_e32 vcc_lo, 1, v26
	v_add_co_u32 v7, s0, s36, v7
	s_delay_alu instid0(VALU_DEP_1)
	v_add_co_ci_u32_e64 v8, s0, s37, v8, s0
	s_addc_u32 s0, s27, -1
	buffer_gl0_inv
	s_cbranch_vccz .LBB1904_133
; %bb.130:
	s_and_b32 vcc_lo, exec_lo, s2
	s_cbranch_vccnz .LBB1904_238
.LBB1904_131:
	v_cmp_eq_u32_e32 vcc_lo, 0, v0
	s_and_b32 s0, vcc_lo, s14
	s_delay_alu instid0(SALU_CYCLE_1)
	s_and_saveexec_b32 s1, s0
	s_cbranch_execnz .LBB1904_356
.LBB1904_132:
	s_nop 0
	s_sendmsg sendmsg(MSG_DEALLOC_VGPRS)
	s_endpgm
.LBB1904_133:
	s_mov_b32 s2, exec_lo
	v_cmpx_le_u32_e64 v1, v0
	s_xor_b32 s2, exec_lo, s2
	s_cbranch_execz .LBB1904_139
; %bb.134:
	s_mov_b32 s4, exec_lo
	v_cmpx_le_u32_e64 v10, v0
	s_xor_b32 s4, exec_lo, s4
	s_cbranch_execz .LBB1904_136
; %bb.135:
	v_lshlrev_b32_e32 v11, 2, v0
	ds_load_b32 v13, v11
	v_add_co_u32 v11, vcc_lo, v3, v0
	v_add_co_ci_u32_e32 v12, vcc_lo, 0, v9, vcc_lo
	s_delay_alu instid0(VALU_DEP_1) | instskip(NEXT) | instid1(VALU_DEP_1)
	v_lshlrev_b64 v[11:12], 2, v[11:12]
	v_sub_co_u32 v11, vcc_lo, s26, v11
	s_delay_alu instid0(VALU_DEP_2)
	v_sub_co_ci_u32_e32 v12, vcc_lo, s27, v12, vcc_lo
	s_waitcnt lgkmcnt(0)
	global_store_b32 v[11:12], v13, off offset:-4
.LBB1904_136:
	s_and_not1_saveexec_b32 s4, s4
	s_cbranch_execz .LBB1904_138
; %bb.137:
	v_lshlrev_b32_e32 v11, 2, v0
	v_readfirstlane_b32 s6, v5
	v_readfirstlane_b32 s7, v6
	ds_load_b32 v12, v11
	s_waitcnt lgkmcnt(0)
	global_store_b32 v11, v12, s[6:7]
.LBB1904_138:
	s_or_b32 exec_lo, exec_lo, s4
.LBB1904_139:
	s_and_not1_saveexec_b32 s2, s2
	s_cbranch_execz .LBB1904_141
; %bb.140:
	v_lshlrev_b32_e32 v11, 2, v0
	v_readfirstlane_b32 s4, v7
	v_readfirstlane_b32 s5, v8
	ds_load_b32 v12, v11
	s_waitcnt lgkmcnt(0)
	global_store_b32 v11, v12, s[4:5]
.LBB1904_141:
	s_or_b32 exec_lo, exec_lo, s2
	v_or_b32_e32 v11, 0x100, v0
	s_mov_b32 s2, exec_lo
	s_delay_alu instid0(VALU_DEP_1)
	v_cmpx_le_u32_e64 v1, v11
	s_xor_b32 s2, exec_lo, s2
	s_cbranch_execz .LBB1904_147
; %bb.142:
	s_mov_b32 s4, exec_lo
	v_cmpx_le_u32_e64 v10, v11
	s_xor_b32 s4, exec_lo, s4
	s_cbranch_execz .LBB1904_144
; %bb.143:
	v_lshlrev_b32_e32 v11, 2, v0
	ds_load_b32 v13, v11 offset:1024
	v_add_co_u32 v11, vcc_lo, v3, v0
	v_add_co_ci_u32_e32 v12, vcc_lo, 0, v9, vcc_lo
	s_delay_alu instid0(VALU_DEP_1) | instskip(NEXT) | instid1(VALU_DEP_1)
	v_lshlrev_b64 v[11:12], 2, v[11:12]
	v_sub_co_u32 v11, vcc_lo, s1, v11
	s_delay_alu instid0(VALU_DEP_2)
	v_sub_co_ci_u32_e32 v12, vcc_lo, s0, v12, vcc_lo
	s_waitcnt lgkmcnt(0)
	global_store_b32 v[11:12], v13, off offset:-1024
.LBB1904_144:
	s_and_not1_saveexec_b32 s4, s4
	s_cbranch_execz .LBB1904_146
; %bb.145:
	v_lshlrev_b32_e32 v11, 2, v0
	v_readfirstlane_b32 s6, v5
	v_readfirstlane_b32 s7, v6
	ds_load_b32 v12, v11 offset:1024
	s_waitcnt lgkmcnt(0)
	global_store_b32 v11, v12, s[6:7] offset:1024
.LBB1904_146:
	s_or_b32 exec_lo, exec_lo, s4
.LBB1904_147:
	s_and_not1_saveexec_b32 s2, s2
	s_cbranch_execz .LBB1904_149
; %bb.148:
	v_lshlrev_b32_e32 v11, 2, v0
	v_readfirstlane_b32 s4, v7
	v_readfirstlane_b32 s5, v8
	ds_load_b32 v12, v11 offset:1024
	s_waitcnt lgkmcnt(0)
	global_store_b32 v11, v12, s[4:5] offset:1024
.LBB1904_149:
	s_or_b32 exec_lo, exec_lo, s2
	v_or_b32_e32 v11, 0x200, v0
	s_mov_b32 s2, exec_lo
	s_delay_alu instid0(VALU_DEP_1)
	v_cmpx_le_u32_e64 v1, v11
	s_xor_b32 s2, exec_lo, s2
	s_cbranch_execz .LBB1904_155
; %bb.150:
	s_mov_b32 s4, exec_lo
	v_cmpx_le_u32_e64 v10, v11
	s_xor_b32 s4, exec_lo, s4
	s_cbranch_execz .LBB1904_152
; %bb.151:
	v_lshlrev_b32_e32 v11, 2, v0
	ds_load_b32 v13, v11 offset:2048
	v_add_co_u32 v11, vcc_lo, v3, v0
	v_add_co_ci_u32_e32 v12, vcc_lo, 0, v9, vcc_lo
	s_delay_alu instid0(VALU_DEP_1) | instskip(NEXT) | instid1(VALU_DEP_1)
	v_lshlrev_b64 v[11:12], 2, v[11:12]
	v_sub_co_u32 v11, vcc_lo, s1, v11
	s_delay_alu instid0(VALU_DEP_2)
	v_sub_co_ci_u32_e32 v12, vcc_lo, s0, v12, vcc_lo
	s_waitcnt lgkmcnt(0)
	global_store_b32 v[11:12], v13, off offset:-2048
.LBB1904_152:
	s_and_not1_saveexec_b32 s4, s4
	s_cbranch_execz .LBB1904_154
; %bb.153:
	v_lshlrev_b32_e32 v11, 2, v0
	v_readfirstlane_b32 s6, v5
	v_readfirstlane_b32 s7, v6
	ds_load_b32 v12, v11 offset:2048
	s_waitcnt lgkmcnt(0)
	global_store_b32 v11, v12, s[6:7] offset:2048
.LBB1904_154:
	s_or_b32 exec_lo, exec_lo, s4
.LBB1904_155:
	s_and_not1_saveexec_b32 s2, s2
	s_cbranch_execz .LBB1904_157
; %bb.156:
	v_lshlrev_b32_e32 v11, 2, v0
	v_readfirstlane_b32 s4, v7
	v_readfirstlane_b32 s5, v8
	ds_load_b32 v12, v11 offset:2048
	s_waitcnt lgkmcnt(0)
	global_store_b32 v11, v12, s[4:5] offset:2048
.LBB1904_157:
	s_or_b32 exec_lo, exec_lo, s2
	v_or_b32_e32 v11, 0x300, v0
	s_mov_b32 s2, exec_lo
	s_delay_alu instid0(VALU_DEP_1)
	v_cmpx_le_u32_e64 v1, v11
	s_xor_b32 s2, exec_lo, s2
	s_cbranch_execz .LBB1904_163
; %bb.158:
	s_mov_b32 s4, exec_lo
	v_cmpx_le_u32_e64 v10, v11
	s_xor_b32 s4, exec_lo, s4
	s_cbranch_execz .LBB1904_160
; %bb.159:
	v_lshlrev_b32_e32 v11, 2, v0
	ds_load_b32 v13, v11 offset:3072
	v_add_co_u32 v11, vcc_lo, v3, v0
	v_add_co_ci_u32_e32 v12, vcc_lo, 0, v9, vcc_lo
	s_delay_alu instid0(VALU_DEP_1) | instskip(NEXT) | instid1(VALU_DEP_1)
	v_lshlrev_b64 v[11:12], 2, v[11:12]
	v_sub_co_u32 v11, vcc_lo, s1, v11
	s_delay_alu instid0(VALU_DEP_2)
	v_sub_co_ci_u32_e32 v12, vcc_lo, s0, v12, vcc_lo
	s_waitcnt lgkmcnt(0)
	global_store_b32 v[11:12], v13, off offset:-3072
.LBB1904_160:
	s_and_not1_saveexec_b32 s4, s4
	s_cbranch_execz .LBB1904_162
; %bb.161:
	v_lshlrev_b32_e32 v11, 2, v0
	v_readfirstlane_b32 s6, v5
	v_readfirstlane_b32 s7, v6
	ds_load_b32 v12, v11 offset:3072
	s_waitcnt lgkmcnt(0)
	global_store_b32 v11, v12, s[6:7] offset:3072
.LBB1904_162:
	s_or_b32 exec_lo, exec_lo, s4
.LBB1904_163:
	s_and_not1_saveexec_b32 s2, s2
	s_cbranch_execz .LBB1904_165
; %bb.164:
	v_lshlrev_b32_e32 v11, 2, v0
	v_readfirstlane_b32 s4, v7
	v_readfirstlane_b32 s5, v8
	ds_load_b32 v12, v11 offset:3072
	s_waitcnt lgkmcnt(0)
	global_store_b32 v11, v12, s[4:5] offset:3072
.LBB1904_165:
	s_or_b32 exec_lo, exec_lo, s2
	v_or_b32_e32 v11, 0x400, v0
	s_mov_b32 s2, exec_lo
	s_delay_alu instid0(VALU_DEP_1)
	v_cmpx_le_u32_e64 v1, v11
	s_xor_b32 s2, exec_lo, s2
	s_cbranch_execz .LBB1904_171
; %bb.166:
	s_mov_b32 s4, exec_lo
	v_cmpx_le_u32_e64 v10, v11
	s_xor_b32 s4, exec_lo, s4
	s_cbranch_execz .LBB1904_168
; %bb.167:
	v_lshlrev_b32_e32 v11, 2, v0
	ds_load_b32 v13, v11 offset:4096
	v_add_co_u32 v11, vcc_lo, v3, v0
	v_add_co_ci_u32_e32 v12, vcc_lo, 0, v9, vcc_lo
	s_delay_alu instid0(VALU_DEP_1) | instskip(NEXT) | instid1(VALU_DEP_1)
	v_lshlrev_b64 v[11:12], 2, v[11:12]
	v_sub_co_u32 v11, vcc_lo, s1, v11
	s_delay_alu instid0(VALU_DEP_2)
	v_sub_co_ci_u32_e32 v12, vcc_lo, s0, v12, vcc_lo
	s_waitcnt lgkmcnt(0)
	global_store_b32 v[11:12], v13, off offset:-4096
                                        ; implicit-def: $vgpr11
.LBB1904_168:
	s_and_not1_saveexec_b32 s4, s4
	s_cbranch_execz .LBB1904_170
; %bb.169:
	v_lshlrev_b32_e32 v12, 2, v0
	v_lshlrev_b32_e32 v11, 2, v11
	v_readfirstlane_b32 s6, v5
	v_readfirstlane_b32 s7, v6
	ds_load_b32 v12, v12 offset:4096
	s_waitcnt lgkmcnt(0)
	global_store_b32 v11, v12, s[6:7]
.LBB1904_170:
	s_or_b32 exec_lo, exec_lo, s4
                                        ; implicit-def: $vgpr11
.LBB1904_171:
	s_and_not1_saveexec_b32 s2, s2
	s_cbranch_execz .LBB1904_173
; %bb.172:
	v_lshlrev_b32_e32 v12, 2, v0
	v_lshlrev_b32_e32 v11, 2, v11
	v_readfirstlane_b32 s4, v7
	v_readfirstlane_b32 s5, v8
	ds_load_b32 v12, v12 offset:4096
	s_waitcnt lgkmcnt(0)
	global_store_b32 v11, v12, s[4:5]
.LBB1904_173:
	s_or_b32 exec_lo, exec_lo, s2
	v_or_b32_e32 v11, 0x500, v0
	s_mov_b32 s2, exec_lo
	s_delay_alu instid0(VALU_DEP_1)
	v_cmpx_le_u32_e64 v1, v11
	s_xor_b32 s2, exec_lo, s2
	s_cbranch_execz .LBB1904_179
; %bb.174:
	s_mov_b32 s4, exec_lo
	v_cmpx_le_u32_e64 v10, v11
	s_xor_b32 s4, exec_lo, s4
	s_cbranch_execz .LBB1904_176
; %bb.175:
	v_lshlrev_b32_e32 v12, 2, v0
	v_add_co_u32 v11, vcc_lo, v3, v11
	ds_load_b32 v13, v12 offset:5120
	v_add_co_ci_u32_e32 v12, vcc_lo, 0, v9, vcc_lo
	s_delay_alu instid0(VALU_DEP_1) | instskip(NEXT) | instid1(VALU_DEP_1)
	v_lshlrev_b64 v[11:12], 2, v[11:12]
	v_sub_co_u32 v11, vcc_lo, s1, v11
	s_delay_alu instid0(VALU_DEP_2)
	v_sub_co_ci_u32_e32 v12, vcc_lo, s0, v12, vcc_lo
	s_waitcnt lgkmcnt(0)
	global_store_b32 v[11:12], v13, off
                                        ; implicit-def: $vgpr11
.LBB1904_176:
	s_and_not1_saveexec_b32 s4, s4
	s_cbranch_execz .LBB1904_178
; %bb.177:
	v_lshlrev_b32_e32 v12, 2, v0
	v_lshlrev_b32_e32 v11, 2, v11
	v_readfirstlane_b32 s6, v5
	v_readfirstlane_b32 s7, v6
	ds_load_b32 v12, v12 offset:5120
	s_waitcnt lgkmcnt(0)
	global_store_b32 v11, v12, s[6:7]
.LBB1904_178:
	s_or_b32 exec_lo, exec_lo, s4
                                        ; implicit-def: $vgpr11
.LBB1904_179:
	s_and_not1_saveexec_b32 s2, s2
	s_cbranch_execz .LBB1904_181
; %bb.180:
	v_lshlrev_b32_e32 v12, 2, v0
	v_lshlrev_b32_e32 v11, 2, v11
	v_readfirstlane_b32 s4, v7
	v_readfirstlane_b32 s5, v8
	ds_load_b32 v12, v12 offset:5120
	s_waitcnt lgkmcnt(0)
	global_store_b32 v11, v12, s[4:5]
.LBB1904_181:
	s_or_b32 exec_lo, exec_lo, s2
	v_or_b32_e32 v11, 0x600, v0
	s_mov_b32 s2, exec_lo
	s_delay_alu instid0(VALU_DEP_1)
	v_cmpx_le_u32_e64 v1, v11
	s_xor_b32 s2, exec_lo, s2
	s_cbranch_execz .LBB1904_187
; %bb.182:
	s_mov_b32 s4, exec_lo
	v_cmpx_le_u32_e64 v10, v11
	s_xor_b32 s4, exec_lo, s4
	s_cbranch_execz .LBB1904_184
; %bb.183:
	v_lshlrev_b32_e32 v12, 2, v0
	v_add_co_u32 v11, vcc_lo, v3, v11
	ds_load_b32 v13, v12 offset:6144
	v_add_co_ci_u32_e32 v12, vcc_lo, 0, v9, vcc_lo
	s_delay_alu instid0(VALU_DEP_1) | instskip(NEXT) | instid1(VALU_DEP_1)
	v_lshlrev_b64 v[11:12], 2, v[11:12]
	v_sub_co_u32 v11, vcc_lo, s1, v11
	s_delay_alu instid0(VALU_DEP_2)
	v_sub_co_ci_u32_e32 v12, vcc_lo, s0, v12, vcc_lo
	s_waitcnt lgkmcnt(0)
	global_store_b32 v[11:12], v13, off
                                        ; implicit-def: $vgpr11
.LBB1904_184:
	s_and_not1_saveexec_b32 s4, s4
	s_cbranch_execz .LBB1904_186
; %bb.185:
	v_lshlrev_b32_e32 v12, 2, v0
	v_lshlrev_b32_e32 v11, 2, v11
	v_readfirstlane_b32 s6, v5
	v_readfirstlane_b32 s7, v6
	ds_load_b32 v12, v12 offset:6144
	s_waitcnt lgkmcnt(0)
	global_store_b32 v11, v12, s[6:7]
.LBB1904_186:
	s_or_b32 exec_lo, exec_lo, s4
                                        ; implicit-def: $vgpr11
.LBB1904_187:
	;; [unrolled: 51-line block ×8, first 2 shown]
	s_and_not1_saveexec_b32 s2, s2
	s_cbranch_execz .LBB1904_237
; %bb.236:
	v_lshlrev_b32_e32 v12, 2, v0
	v_lshlrev_b32_e32 v11, 2, v11
	v_readfirstlane_b32 s4, v7
	v_readfirstlane_b32 s5, v8
	ds_load_b32 v12, v12 offset:12288
	s_waitcnt lgkmcnt(0)
	global_store_b32 v11, v12, s[4:5]
.LBB1904_237:
	s_or_b32 exec_lo, exec_lo, s2
	s_branch .LBB1904_131
.LBB1904_238:
	s_mov_b32 s2, exec_lo
	v_cmpx_gt_u32_e64 s3, v0
	s_cbranch_execz .LBB1904_247
; %bb.239:
	s_mov_b32 s4, exec_lo
	v_cmpx_le_u32_e64 v1, v0
	s_xor_b32 s4, exec_lo, s4
	s_cbranch_execz .LBB1904_245
; %bb.240:
	s_mov_b32 s5, exec_lo
	v_cmpx_le_u32_e64 v10, v0
	s_xor_b32 s5, exec_lo, s5
	s_cbranch_execz .LBB1904_242
; %bb.241:
	v_lshlrev_b32_e32 v11, 2, v0
	ds_load_b32 v13, v11
	v_add_co_u32 v11, vcc_lo, v3, v0
	v_add_co_ci_u32_e32 v12, vcc_lo, 0, v9, vcc_lo
	s_delay_alu instid0(VALU_DEP_1) | instskip(NEXT) | instid1(VALU_DEP_1)
	v_lshlrev_b64 v[11:12], 2, v[11:12]
	v_sub_co_u32 v11, vcc_lo, s26, v11
	s_delay_alu instid0(VALU_DEP_2)
	v_sub_co_ci_u32_e32 v12, vcc_lo, s27, v12, vcc_lo
	s_waitcnt lgkmcnt(0)
	global_store_b32 v[11:12], v13, off offset:-4
.LBB1904_242:
	s_and_not1_saveexec_b32 s5, s5
	s_cbranch_execz .LBB1904_244
; %bb.243:
	v_lshlrev_b32_e32 v11, 2, v0
	v_readfirstlane_b32 s6, v5
	v_readfirstlane_b32 s7, v6
	ds_load_b32 v12, v11
	s_waitcnt lgkmcnt(0)
	global_store_b32 v11, v12, s[6:7]
.LBB1904_244:
	s_or_b32 exec_lo, exec_lo, s5
.LBB1904_245:
	s_and_not1_saveexec_b32 s4, s4
	s_cbranch_execz .LBB1904_247
; %bb.246:
	v_lshlrev_b32_e32 v11, 2, v0
	v_readfirstlane_b32 s4, v7
	v_readfirstlane_b32 s5, v8
	ds_load_b32 v12, v11
	s_waitcnt lgkmcnt(0)
	global_store_b32 v11, v12, s[4:5]
.LBB1904_247:
	s_or_b32 exec_lo, exec_lo, s2
	v_or_b32_e32 v11, 0x100, v0
	s_mov_b32 s2, exec_lo
	s_delay_alu instid0(VALU_DEP_1)
	v_cmpx_gt_u32_e64 s3, v11
	s_cbranch_execz .LBB1904_256
; %bb.248:
	s_mov_b32 s4, exec_lo
	v_cmpx_le_u32_e64 v1, v11
	s_xor_b32 s4, exec_lo, s4
	s_cbranch_execz .LBB1904_254
; %bb.249:
	s_mov_b32 s5, exec_lo
	v_cmpx_le_u32_e64 v10, v11
	s_xor_b32 s5, exec_lo, s5
	s_cbranch_execz .LBB1904_251
; %bb.250:
	v_lshlrev_b32_e32 v11, 2, v0
	ds_load_b32 v13, v11 offset:1024
	v_add_co_u32 v11, vcc_lo, v3, v0
	v_add_co_ci_u32_e32 v12, vcc_lo, 0, v9, vcc_lo
	s_delay_alu instid0(VALU_DEP_1) | instskip(NEXT) | instid1(VALU_DEP_1)
	v_lshlrev_b64 v[11:12], 2, v[11:12]
	v_sub_co_u32 v11, vcc_lo, s1, v11
	s_delay_alu instid0(VALU_DEP_2)
	v_sub_co_ci_u32_e32 v12, vcc_lo, s0, v12, vcc_lo
	s_waitcnt lgkmcnt(0)
	global_store_b32 v[11:12], v13, off offset:-1024
.LBB1904_251:
	s_and_not1_saveexec_b32 s5, s5
	s_cbranch_execz .LBB1904_253
; %bb.252:
	v_lshlrev_b32_e32 v11, 2, v0
	v_readfirstlane_b32 s6, v5
	v_readfirstlane_b32 s7, v6
	ds_load_b32 v12, v11 offset:1024
	s_waitcnt lgkmcnt(0)
	global_store_b32 v11, v12, s[6:7] offset:1024
.LBB1904_253:
	s_or_b32 exec_lo, exec_lo, s5
.LBB1904_254:
	s_and_not1_saveexec_b32 s4, s4
	s_cbranch_execz .LBB1904_256
; %bb.255:
	v_lshlrev_b32_e32 v11, 2, v0
	v_readfirstlane_b32 s4, v7
	v_readfirstlane_b32 s5, v8
	ds_load_b32 v12, v11 offset:1024
	s_waitcnt lgkmcnt(0)
	global_store_b32 v11, v12, s[4:5] offset:1024
.LBB1904_256:
	s_or_b32 exec_lo, exec_lo, s2
	v_or_b32_e32 v11, 0x200, v0
	s_mov_b32 s2, exec_lo
	s_delay_alu instid0(VALU_DEP_1)
	v_cmpx_gt_u32_e64 s3, v11
	s_cbranch_execz .LBB1904_265
; %bb.257:
	s_mov_b32 s4, exec_lo
	v_cmpx_le_u32_e64 v1, v11
	s_xor_b32 s4, exec_lo, s4
	s_cbranch_execz .LBB1904_263
; %bb.258:
	s_mov_b32 s5, exec_lo
	v_cmpx_le_u32_e64 v10, v11
	s_xor_b32 s5, exec_lo, s5
	s_cbranch_execz .LBB1904_260
; %bb.259:
	v_lshlrev_b32_e32 v11, 2, v0
	ds_load_b32 v13, v11 offset:2048
	v_add_co_u32 v11, vcc_lo, v3, v0
	v_add_co_ci_u32_e32 v12, vcc_lo, 0, v9, vcc_lo
	s_delay_alu instid0(VALU_DEP_1) | instskip(NEXT) | instid1(VALU_DEP_1)
	v_lshlrev_b64 v[11:12], 2, v[11:12]
	v_sub_co_u32 v11, vcc_lo, s1, v11
	s_delay_alu instid0(VALU_DEP_2)
	v_sub_co_ci_u32_e32 v12, vcc_lo, s0, v12, vcc_lo
	s_waitcnt lgkmcnt(0)
	global_store_b32 v[11:12], v13, off offset:-2048
.LBB1904_260:
	s_and_not1_saveexec_b32 s5, s5
	s_cbranch_execz .LBB1904_262
; %bb.261:
	v_lshlrev_b32_e32 v11, 2, v0
	v_readfirstlane_b32 s6, v5
	v_readfirstlane_b32 s7, v6
	ds_load_b32 v12, v11 offset:2048
	s_waitcnt lgkmcnt(0)
	global_store_b32 v11, v12, s[6:7] offset:2048
.LBB1904_262:
	s_or_b32 exec_lo, exec_lo, s5
.LBB1904_263:
	s_and_not1_saveexec_b32 s4, s4
	s_cbranch_execz .LBB1904_265
; %bb.264:
	v_lshlrev_b32_e32 v11, 2, v0
	v_readfirstlane_b32 s4, v7
	v_readfirstlane_b32 s5, v8
	ds_load_b32 v12, v11 offset:2048
	s_waitcnt lgkmcnt(0)
	global_store_b32 v11, v12, s[4:5] offset:2048
.LBB1904_265:
	;; [unrolled: 51-line block ×3, first 2 shown]
	s_or_b32 exec_lo, exec_lo, s2
	v_or_b32_e32 v11, 0x400, v0
	s_mov_b32 s2, exec_lo
	s_delay_alu instid0(VALU_DEP_1)
	v_cmpx_gt_u32_e64 s3, v11
	s_cbranch_execz .LBB1904_283
; %bb.275:
	s_mov_b32 s4, exec_lo
	v_cmpx_le_u32_e64 v1, v11
	s_xor_b32 s4, exec_lo, s4
	s_cbranch_execz .LBB1904_281
; %bb.276:
	s_mov_b32 s5, exec_lo
	v_cmpx_le_u32_e64 v10, v11
	s_xor_b32 s5, exec_lo, s5
	s_cbranch_execz .LBB1904_278
; %bb.277:
	v_lshlrev_b32_e32 v11, 2, v0
	ds_load_b32 v13, v11 offset:4096
	v_add_co_u32 v11, vcc_lo, v3, v0
	v_add_co_ci_u32_e32 v12, vcc_lo, 0, v9, vcc_lo
	s_delay_alu instid0(VALU_DEP_1) | instskip(NEXT) | instid1(VALU_DEP_1)
	v_lshlrev_b64 v[11:12], 2, v[11:12]
	v_sub_co_u32 v11, vcc_lo, s1, v11
	s_delay_alu instid0(VALU_DEP_2)
	v_sub_co_ci_u32_e32 v12, vcc_lo, s0, v12, vcc_lo
	s_waitcnt lgkmcnt(0)
	global_store_b32 v[11:12], v13, off offset:-4096
                                        ; implicit-def: $vgpr11
.LBB1904_278:
	s_and_not1_saveexec_b32 s5, s5
	s_cbranch_execz .LBB1904_280
; %bb.279:
	v_lshlrev_b32_e32 v12, 2, v0
	v_lshlrev_b32_e32 v11, 2, v11
	v_readfirstlane_b32 s6, v5
	v_readfirstlane_b32 s7, v6
	ds_load_b32 v12, v12 offset:4096
	s_waitcnt lgkmcnt(0)
	global_store_b32 v11, v12, s[6:7]
.LBB1904_280:
	s_or_b32 exec_lo, exec_lo, s5
                                        ; implicit-def: $vgpr11
.LBB1904_281:
	s_and_not1_saveexec_b32 s4, s4
	s_cbranch_execz .LBB1904_283
; %bb.282:
	v_lshlrev_b32_e32 v12, 2, v0
	v_lshlrev_b32_e32 v11, 2, v11
	v_readfirstlane_b32 s4, v7
	v_readfirstlane_b32 s5, v8
	ds_load_b32 v12, v12 offset:4096
	s_waitcnt lgkmcnt(0)
	global_store_b32 v11, v12, s[4:5]
.LBB1904_283:
	s_or_b32 exec_lo, exec_lo, s2
	v_or_b32_e32 v11, 0x500, v0
	s_mov_b32 s2, exec_lo
	s_delay_alu instid0(VALU_DEP_1)
	v_cmpx_gt_u32_e64 s3, v11
	s_cbranch_execz .LBB1904_292
; %bb.284:
	s_mov_b32 s4, exec_lo
	v_cmpx_le_u32_e64 v1, v11
	s_xor_b32 s4, exec_lo, s4
	s_cbranch_execz .LBB1904_290
; %bb.285:
	s_mov_b32 s5, exec_lo
	v_cmpx_le_u32_e64 v10, v11
	s_xor_b32 s5, exec_lo, s5
	s_cbranch_execz .LBB1904_287
; %bb.286:
	v_lshlrev_b32_e32 v12, 2, v0
	v_add_co_u32 v11, vcc_lo, v3, v11
	ds_load_b32 v13, v12 offset:5120
	v_add_co_ci_u32_e32 v12, vcc_lo, 0, v9, vcc_lo
	s_delay_alu instid0(VALU_DEP_1) | instskip(NEXT) | instid1(VALU_DEP_1)
	v_lshlrev_b64 v[11:12], 2, v[11:12]
	v_sub_co_u32 v11, vcc_lo, s1, v11
	s_delay_alu instid0(VALU_DEP_2)
	v_sub_co_ci_u32_e32 v12, vcc_lo, s0, v12, vcc_lo
	s_waitcnt lgkmcnt(0)
	global_store_b32 v[11:12], v13, off
                                        ; implicit-def: $vgpr11
.LBB1904_287:
	s_and_not1_saveexec_b32 s5, s5
	s_cbranch_execz .LBB1904_289
; %bb.288:
	v_lshlrev_b32_e32 v12, 2, v0
	v_lshlrev_b32_e32 v11, 2, v11
	v_readfirstlane_b32 s6, v5
	v_readfirstlane_b32 s7, v6
	ds_load_b32 v12, v12 offset:5120
	s_waitcnt lgkmcnt(0)
	global_store_b32 v11, v12, s[6:7]
.LBB1904_289:
	s_or_b32 exec_lo, exec_lo, s5
                                        ; implicit-def: $vgpr11
.LBB1904_290:
	s_and_not1_saveexec_b32 s4, s4
	s_cbranch_execz .LBB1904_292
; %bb.291:
	v_lshlrev_b32_e32 v12, 2, v0
	v_lshlrev_b32_e32 v11, 2, v11
	v_readfirstlane_b32 s4, v7
	v_readfirstlane_b32 s5, v8
	ds_load_b32 v12, v12 offset:5120
	s_waitcnt lgkmcnt(0)
	global_store_b32 v11, v12, s[4:5]
.LBB1904_292:
	s_or_b32 exec_lo, exec_lo, s2
	v_or_b32_e32 v11, 0x600, v0
	s_mov_b32 s2, exec_lo
	s_delay_alu instid0(VALU_DEP_1)
	v_cmpx_gt_u32_e64 s3, v11
	s_cbranch_execz .LBB1904_301
; %bb.293:
	s_mov_b32 s4, exec_lo
	v_cmpx_le_u32_e64 v1, v11
	s_xor_b32 s4, exec_lo, s4
	s_cbranch_execz .LBB1904_299
; %bb.294:
	s_mov_b32 s5, exec_lo
	v_cmpx_le_u32_e64 v10, v11
	s_xor_b32 s5, exec_lo, s5
	s_cbranch_execz .LBB1904_296
; %bb.295:
	v_lshlrev_b32_e32 v12, 2, v0
	v_add_co_u32 v11, vcc_lo, v3, v11
	ds_load_b32 v13, v12 offset:6144
	v_add_co_ci_u32_e32 v12, vcc_lo, 0, v9, vcc_lo
	s_delay_alu instid0(VALU_DEP_1) | instskip(NEXT) | instid1(VALU_DEP_1)
	v_lshlrev_b64 v[11:12], 2, v[11:12]
	v_sub_co_u32 v11, vcc_lo, s1, v11
	s_delay_alu instid0(VALU_DEP_2)
	v_sub_co_ci_u32_e32 v12, vcc_lo, s0, v12, vcc_lo
	s_waitcnt lgkmcnt(0)
	global_store_b32 v[11:12], v13, off
                                        ; implicit-def: $vgpr11
.LBB1904_296:
	s_and_not1_saveexec_b32 s5, s5
	s_cbranch_execz .LBB1904_298
; %bb.297:
	v_lshlrev_b32_e32 v12, 2, v0
	v_lshlrev_b32_e32 v11, 2, v11
	v_readfirstlane_b32 s6, v5
	v_readfirstlane_b32 s7, v6
	ds_load_b32 v12, v12 offset:6144
	s_waitcnt lgkmcnt(0)
	global_store_b32 v11, v12, s[6:7]
.LBB1904_298:
	s_or_b32 exec_lo, exec_lo, s5
                                        ; implicit-def: $vgpr11
.LBB1904_299:
	s_and_not1_saveexec_b32 s4, s4
	s_cbranch_execz .LBB1904_301
; %bb.300:
	v_lshlrev_b32_e32 v12, 2, v0
	v_lshlrev_b32_e32 v11, 2, v11
	v_readfirstlane_b32 s4, v7
	v_readfirstlane_b32 s5, v8
	ds_load_b32 v12, v12 offset:6144
	s_waitcnt lgkmcnt(0)
	global_store_b32 v11, v12, s[4:5]
.LBB1904_301:
	;; [unrolled: 55-line block ×7, first 2 shown]
	s_or_b32 exec_lo, exec_lo, s2
	v_or_b32_e32 v11, 0xc00, v0
	s_mov_b32 s2, exec_lo
	s_delay_alu instid0(VALU_DEP_1)
	v_cmpx_gt_u32_e64 s3, v11
	s_cbranch_execz .LBB1904_355
; %bb.347:
	s_mov_b32 s3, exec_lo
	v_cmpx_le_u32_e64 v1, v11
	s_xor_b32 s3, exec_lo, s3
	s_cbranch_execz .LBB1904_353
; %bb.348:
	s_mov_b32 s4, exec_lo
	v_cmpx_le_u32_e64 v10, v11
	s_xor_b32 s4, exec_lo, s4
	s_cbranch_execz .LBB1904_350
; %bb.349:
	v_lshlrev_b32_e32 v5, 2, v0
	ds_load_b32 v7, v5 offset:12288
	v_add_co_u32 v5, vcc_lo, v3, v11
	v_add_co_ci_u32_e32 v6, vcc_lo, 0, v9, vcc_lo
                                        ; implicit-def: $vgpr11
	s_delay_alu instid0(VALU_DEP_1) | instskip(NEXT) | instid1(VALU_DEP_1)
	v_lshlrev_b64 v[5:6], 2, v[5:6]
	v_sub_co_u32 v5, vcc_lo, s1, v5
	s_delay_alu instid0(VALU_DEP_2)
	v_sub_co_ci_u32_e32 v6, vcc_lo, s0, v6, vcc_lo
	s_waitcnt lgkmcnt(0)
	global_store_b32 v[5:6], v7, off
                                        ; implicit-def: $vgpr5_vgpr6
.LBB1904_350:
	s_and_not1_saveexec_b32 s0, s4
	s_cbranch_execz .LBB1904_352
; %bb.351:
	v_lshlrev_b32_e32 v3, 2, v0
	v_lshlrev_b32_e32 v7, 2, v11
	v_readfirstlane_b32 s4, v5
	v_readfirstlane_b32 s5, v6
	ds_load_b32 v3, v3 offset:12288
	s_waitcnt lgkmcnt(0)
	global_store_b32 v7, v3, s[4:5]
.LBB1904_352:
	s_or_b32 exec_lo, exec_lo, s0
                                        ; implicit-def: $vgpr11
                                        ; implicit-def: $vgpr7_vgpr8
.LBB1904_353:
	s_and_not1_saveexec_b32 s0, s3
	s_cbranch_execz .LBB1904_355
; %bb.354:
	v_lshlrev_b32_e32 v3, 2, v0
	v_lshlrev_b32_e32 v5, 2, v11
	v_readfirstlane_b32 s0, v7
	v_readfirstlane_b32 s1, v8
	ds_load_b32 v3, v3 offset:12288
	s_waitcnt lgkmcnt(0)
	global_store_b32 v5, v3, s[0:1]
.LBB1904_355:
	s_or_b32 exec_lo, exec_lo, s2
	v_cmp_eq_u32_e32 vcc_lo, 0, v0
	s_and_b32 s0, vcc_lo, s14
	s_delay_alu instid0(SALU_CYCLE_1)
	s_and_saveexec_b32 s1, s0
	s_cbranch_execz .LBB1904_132
.LBB1904_356:
	v_add_co_u32 v2, s0, s30, v2
	s_delay_alu instid0(VALU_DEP_1) | instskip(SKIP_2) | instid1(VALU_DEP_4)
	v_add_co_ci_u32_e64 v3, null, s31, 0, s0
	v_add_co_u32 v0, vcc_lo, v18, v1
	v_add_co_ci_u32_e32 v1, vcc_lo, 0, v19, vcc_lo
	v_add_co_u32 v2, vcc_lo, v2, v4
	v_mov_b32_e32 v5, 0
	v_add_co_ci_u32_e32 v3, vcc_lo, 0, v3, vcc_lo
	global_store_b128 v5, v[0:3], s[24:25]
	s_nop 0
	s_sendmsg sendmsg(MSG_DEALLOC_VGPRS)
	s_endpgm
.LBB1904_357:
	v_add_nc_u32_e32 v3, s7, v23
	s_add_i32 s10, s15, 32
	s_mov_b32 s11, 0
	v_dual_mov_b32 v5, 0 :: v_dual_add_nc_u32 v2, v22, v1
	s_lshl_b64 s[10:11], s[10:11], 4
	v_and_b32_e32 v20, 0xff0000, v3
	s_add_u32 s10, s4, s10
	s_addc_u32 s11, s5, s11
	v_and_b32_e32 v4, 0xff000000, v3
	s_delay_alu instid0(VALU_DEP_1) | instskip(SKIP_2) | instid1(VALU_DEP_1)
	v_or_b32_e32 v20, v20, v4
	v_dual_mov_b32 v4, 2 :: v_dual_and_b32 v21, 0xff00, v3
	v_and_b32_e32 v3, 0xff, v3
	v_or3_b32 v3, v20, v21, v3
	v_dual_mov_b32 v21, s11 :: v_dual_mov_b32 v20, s10
	;;#ASMSTART
	global_store_dwordx4 v[20:21], v[2:5] off	
s_waitcnt vmcnt(0)
	;;#ASMEND
	s_or_b32 exec_lo, exec_lo, s8
	s_and_saveexec_b32 s8, s2
	s_cbranch_execz .LBB1904_116
.LBB1904_358:
	v_mov_b32_e32 v2, s7
	v_add_nc_u32_e64 v3, 0x3400, 0
	ds_store_2addr_b32 v3, v1, v2 offset1:2
	ds_store_2addr_b32 v3, v22, v23 offset0:4 offset1:6
	s_or_b32 exec_lo, exec_lo, s8
	v_cmp_eq_u32_e32 vcc_lo, 0, v0
	s_and_b32 exec_lo, exec_lo, vcc_lo
	s_cbranch_execnz .LBB1904_117
	s_branch .LBB1904_118
	.section	.rodata,"a",@progbits
	.p2align	6, 0x0
	.amdhsa_kernel _ZN7rocprim17ROCPRIM_400000_NS6detail17trampoline_kernelINS0_13select_configILj256ELj13ELNS0_17block_load_methodE3ELS4_3ELS4_3ELNS0_20block_scan_algorithmE0ELj4294967295EEENS1_25partition_config_selectorILNS1_17partition_subalgoE4EjNS0_10empty_typeEbEEZZNS1_14partition_implILS8_4ELb0ES6_15HIP_vector_typeIjLj2EENS0_17counting_iteratorIjlEEPS9_SG_NS0_5tupleIJPjSI_NS0_16reverse_iteratorISI_EEEEENSH_IJSG_SG_SG_EEES9_SI_JZNS1_25segmented_radix_sort_implINS0_14default_configELb1EPK12hip_bfloat16PSP_PKlPlN2at6native12_GLOBAL__N_18offset_tEEE10hipError_tPvRmT1_PNSt15iterator_traitsIS13_E10value_typeET2_T3_PNS14_IS19_E10value_typeET4_jRbjT5_S1F_jjP12ihipStream_tbEUljE_ZNSN_ISO_Lb1ESR_SS_SU_SV_SZ_EES10_S11_S12_S13_S17_S18_S19_S1C_S1D_jS1E_jS1F_S1F_jjS1H_bEUljE0_EEES10_S11_S12_S19_S1D_S1F_T6_T7_T9_mT8_S1H_bDpT10_ENKUlT_T0_E_clISt17integral_constantIbLb1EES1U_IbLb0EEEEDaS1Q_S1R_EUlS1Q_E_NS1_11comp_targetILNS1_3genE9ELNS1_11target_archE1100ELNS1_3gpuE3ELNS1_3repE0EEENS1_30default_config_static_selectorELNS0_4arch9wavefront6targetE0EEEvS13_
		.amdhsa_group_segment_fixed_size 13340
		.amdhsa_private_segment_fixed_size 0
		.amdhsa_kernarg_size 176
		.amdhsa_user_sgpr_count 15
		.amdhsa_user_sgpr_dispatch_ptr 0
		.amdhsa_user_sgpr_queue_ptr 0
		.amdhsa_user_sgpr_kernarg_segment_ptr 1
		.amdhsa_user_sgpr_dispatch_id 0
		.amdhsa_user_sgpr_private_segment_size 0
		.amdhsa_wavefront_size32 1
		.amdhsa_uses_dynamic_stack 0
		.amdhsa_enable_private_segment 0
		.amdhsa_system_sgpr_workgroup_id_x 1
		.amdhsa_system_sgpr_workgroup_id_y 0
		.amdhsa_system_sgpr_workgroup_id_z 0
		.amdhsa_system_sgpr_workgroup_info 0
		.amdhsa_system_vgpr_workitem_id 0
		.amdhsa_next_free_vgpr 98
		.amdhsa_next_free_sgpr 59
		.amdhsa_reserve_vcc 1
		.amdhsa_float_round_mode_32 0
		.amdhsa_float_round_mode_16_64 0
		.amdhsa_float_denorm_mode_32 3
		.amdhsa_float_denorm_mode_16_64 3
		.amdhsa_dx10_clamp 1
		.amdhsa_ieee_mode 1
		.amdhsa_fp16_overflow 0
		.amdhsa_workgroup_processor_mode 1
		.amdhsa_memory_ordered 1
		.amdhsa_forward_progress 0
		.amdhsa_shared_vgpr_count 0
		.amdhsa_exception_fp_ieee_invalid_op 0
		.amdhsa_exception_fp_denorm_src 0
		.amdhsa_exception_fp_ieee_div_zero 0
		.amdhsa_exception_fp_ieee_overflow 0
		.amdhsa_exception_fp_ieee_underflow 0
		.amdhsa_exception_fp_ieee_inexact 0
		.amdhsa_exception_int_div_zero 0
	.end_amdhsa_kernel
	.section	.text._ZN7rocprim17ROCPRIM_400000_NS6detail17trampoline_kernelINS0_13select_configILj256ELj13ELNS0_17block_load_methodE3ELS4_3ELS4_3ELNS0_20block_scan_algorithmE0ELj4294967295EEENS1_25partition_config_selectorILNS1_17partition_subalgoE4EjNS0_10empty_typeEbEEZZNS1_14partition_implILS8_4ELb0ES6_15HIP_vector_typeIjLj2EENS0_17counting_iteratorIjlEEPS9_SG_NS0_5tupleIJPjSI_NS0_16reverse_iteratorISI_EEEEENSH_IJSG_SG_SG_EEES9_SI_JZNS1_25segmented_radix_sort_implINS0_14default_configELb1EPK12hip_bfloat16PSP_PKlPlN2at6native12_GLOBAL__N_18offset_tEEE10hipError_tPvRmT1_PNSt15iterator_traitsIS13_E10value_typeET2_T3_PNS14_IS19_E10value_typeET4_jRbjT5_S1F_jjP12ihipStream_tbEUljE_ZNSN_ISO_Lb1ESR_SS_SU_SV_SZ_EES10_S11_S12_S13_S17_S18_S19_S1C_S1D_jS1E_jS1F_S1F_jjS1H_bEUljE0_EEES10_S11_S12_S19_S1D_S1F_T6_T7_T9_mT8_S1H_bDpT10_ENKUlT_T0_E_clISt17integral_constantIbLb1EES1U_IbLb0EEEEDaS1Q_S1R_EUlS1Q_E_NS1_11comp_targetILNS1_3genE9ELNS1_11target_archE1100ELNS1_3gpuE3ELNS1_3repE0EEENS1_30default_config_static_selectorELNS0_4arch9wavefront6targetE0EEEvS13_,"axG",@progbits,_ZN7rocprim17ROCPRIM_400000_NS6detail17trampoline_kernelINS0_13select_configILj256ELj13ELNS0_17block_load_methodE3ELS4_3ELS4_3ELNS0_20block_scan_algorithmE0ELj4294967295EEENS1_25partition_config_selectorILNS1_17partition_subalgoE4EjNS0_10empty_typeEbEEZZNS1_14partition_implILS8_4ELb0ES6_15HIP_vector_typeIjLj2EENS0_17counting_iteratorIjlEEPS9_SG_NS0_5tupleIJPjSI_NS0_16reverse_iteratorISI_EEEEENSH_IJSG_SG_SG_EEES9_SI_JZNS1_25segmented_radix_sort_implINS0_14default_configELb1EPK12hip_bfloat16PSP_PKlPlN2at6native12_GLOBAL__N_18offset_tEEE10hipError_tPvRmT1_PNSt15iterator_traitsIS13_E10value_typeET2_T3_PNS14_IS19_E10value_typeET4_jRbjT5_S1F_jjP12ihipStream_tbEUljE_ZNSN_ISO_Lb1ESR_SS_SU_SV_SZ_EES10_S11_S12_S13_S17_S18_S19_S1C_S1D_jS1E_jS1F_S1F_jjS1H_bEUljE0_EEES10_S11_S12_S19_S1D_S1F_T6_T7_T9_mT8_S1H_bDpT10_ENKUlT_T0_E_clISt17integral_constantIbLb1EES1U_IbLb0EEEEDaS1Q_S1R_EUlS1Q_E_NS1_11comp_targetILNS1_3genE9ELNS1_11target_archE1100ELNS1_3gpuE3ELNS1_3repE0EEENS1_30default_config_static_selectorELNS0_4arch9wavefront6targetE0EEEvS13_,comdat
.Lfunc_end1904:
	.size	_ZN7rocprim17ROCPRIM_400000_NS6detail17trampoline_kernelINS0_13select_configILj256ELj13ELNS0_17block_load_methodE3ELS4_3ELS4_3ELNS0_20block_scan_algorithmE0ELj4294967295EEENS1_25partition_config_selectorILNS1_17partition_subalgoE4EjNS0_10empty_typeEbEEZZNS1_14partition_implILS8_4ELb0ES6_15HIP_vector_typeIjLj2EENS0_17counting_iteratorIjlEEPS9_SG_NS0_5tupleIJPjSI_NS0_16reverse_iteratorISI_EEEEENSH_IJSG_SG_SG_EEES9_SI_JZNS1_25segmented_radix_sort_implINS0_14default_configELb1EPK12hip_bfloat16PSP_PKlPlN2at6native12_GLOBAL__N_18offset_tEEE10hipError_tPvRmT1_PNSt15iterator_traitsIS13_E10value_typeET2_T3_PNS14_IS19_E10value_typeET4_jRbjT5_S1F_jjP12ihipStream_tbEUljE_ZNSN_ISO_Lb1ESR_SS_SU_SV_SZ_EES10_S11_S12_S13_S17_S18_S19_S1C_S1D_jS1E_jS1F_S1F_jjS1H_bEUljE0_EEES10_S11_S12_S19_S1D_S1F_T6_T7_T9_mT8_S1H_bDpT10_ENKUlT_T0_E_clISt17integral_constantIbLb1EES1U_IbLb0EEEEDaS1Q_S1R_EUlS1Q_E_NS1_11comp_targetILNS1_3genE9ELNS1_11target_archE1100ELNS1_3gpuE3ELNS1_3repE0EEENS1_30default_config_static_selectorELNS0_4arch9wavefront6targetE0EEEvS13_, .Lfunc_end1904-_ZN7rocprim17ROCPRIM_400000_NS6detail17trampoline_kernelINS0_13select_configILj256ELj13ELNS0_17block_load_methodE3ELS4_3ELS4_3ELNS0_20block_scan_algorithmE0ELj4294967295EEENS1_25partition_config_selectorILNS1_17partition_subalgoE4EjNS0_10empty_typeEbEEZZNS1_14partition_implILS8_4ELb0ES6_15HIP_vector_typeIjLj2EENS0_17counting_iteratorIjlEEPS9_SG_NS0_5tupleIJPjSI_NS0_16reverse_iteratorISI_EEEEENSH_IJSG_SG_SG_EEES9_SI_JZNS1_25segmented_radix_sort_implINS0_14default_configELb1EPK12hip_bfloat16PSP_PKlPlN2at6native12_GLOBAL__N_18offset_tEEE10hipError_tPvRmT1_PNSt15iterator_traitsIS13_E10value_typeET2_T3_PNS14_IS19_E10value_typeET4_jRbjT5_S1F_jjP12ihipStream_tbEUljE_ZNSN_ISO_Lb1ESR_SS_SU_SV_SZ_EES10_S11_S12_S13_S17_S18_S19_S1C_S1D_jS1E_jS1F_S1F_jjS1H_bEUljE0_EEES10_S11_S12_S19_S1D_S1F_T6_T7_T9_mT8_S1H_bDpT10_ENKUlT_T0_E_clISt17integral_constantIbLb1EES1U_IbLb0EEEEDaS1Q_S1R_EUlS1Q_E_NS1_11comp_targetILNS1_3genE9ELNS1_11target_archE1100ELNS1_3gpuE3ELNS1_3repE0EEENS1_30default_config_static_selectorELNS0_4arch9wavefront6targetE0EEEvS13_
                                        ; -- End function
	.section	.AMDGPU.csdata,"",@progbits
; Kernel info:
; codeLenInByte = 15084
; NumSgprs: 61
; NumVgprs: 98
; ScratchSize: 0
; MemoryBound: 0
; FloatMode: 240
; IeeeMode: 1
; LDSByteSize: 13340 bytes/workgroup (compile time only)
; SGPRBlocks: 7
; VGPRBlocks: 12
; NumSGPRsForWavesPerEU: 61
; NumVGPRsForWavesPerEU: 98
; Occupancy: 12
; WaveLimiterHint : 1
; COMPUTE_PGM_RSRC2:SCRATCH_EN: 0
; COMPUTE_PGM_RSRC2:USER_SGPR: 15
; COMPUTE_PGM_RSRC2:TRAP_HANDLER: 0
; COMPUTE_PGM_RSRC2:TGID_X_EN: 1
; COMPUTE_PGM_RSRC2:TGID_Y_EN: 0
; COMPUTE_PGM_RSRC2:TGID_Z_EN: 0
; COMPUTE_PGM_RSRC2:TIDIG_COMP_CNT: 0
	.section	.text._ZN7rocprim17ROCPRIM_400000_NS6detail17trampoline_kernelINS0_13select_configILj256ELj13ELNS0_17block_load_methodE3ELS4_3ELS4_3ELNS0_20block_scan_algorithmE0ELj4294967295EEENS1_25partition_config_selectorILNS1_17partition_subalgoE4EjNS0_10empty_typeEbEEZZNS1_14partition_implILS8_4ELb0ES6_15HIP_vector_typeIjLj2EENS0_17counting_iteratorIjlEEPS9_SG_NS0_5tupleIJPjSI_NS0_16reverse_iteratorISI_EEEEENSH_IJSG_SG_SG_EEES9_SI_JZNS1_25segmented_radix_sort_implINS0_14default_configELb1EPK12hip_bfloat16PSP_PKlPlN2at6native12_GLOBAL__N_18offset_tEEE10hipError_tPvRmT1_PNSt15iterator_traitsIS13_E10value_typeET2_T3_PNS14_IS19_E10value_typeET4_jRbjT5_S1F_jjP12ihipStream_tbEUljE_ZNSN_ISO_Lb1ESR_SS_SU_SV_SZ_EES10_S11_S12_S13_S17_S18_S19_S1C_S1D_jS1E_jS1F_S1F_jjS1H_bEUljE0_EEES10_S11_S12_S19_S1D_S1F_T6_T7_T9_mT8_S1H_bDpT10_ENKUlT_T0_E_clISt17integral_constantIbLb1EES1U_IbLb0EEEEDaS1Q_S1R_EUlS1Q_E_NS1_11comp_targetILNS1_3genE8ELNS1_11target_archE1030ELNS1_3gpuE2ELNS1_3repE0EEENS1_30default_config_static_selectorELNS0_4arch9wavefront6targetE0EEEvS13_,"axG",@progbits,_ZN7rocprim17ROCPRIM_400000_NS6detail17trampoline_kernelINS0_13select_configILj256ELj13ELNS0_17block_load_methodE3ELS4_3ELS4_3ELNS0_20block_scan_algorithmE0ELj4294967295EEENS1_25partition_config_selectorILNS1_17partition_subalgoE4EjNS0_10empty_typeEbEEZZNS1_14partition_implILS8_4ELb0ES6_15HIP_vector_typeIjLj2EENS0_17counting_iteratorIjlEEPS9_SG_NS0_5tupleIJPjSI_NS0_16reverse_iteratorISI_EEEEENSH_IJSG_SG_SG_EEES9_SI_JZNS1_25segmented_radix_sort_implINS0_14default_configELb1EPK12hip_bfloat16PSP_PKlPlN2at6native12_GLOBAL__N_18offset_tEEE10hipError_tPvRmT1_PNSt15iterator_traitsIS13_E10value_typeET2_T3_PNS14_IS19_E10value_typeET4_jRbjT5_S1F_jjP12ihipStream_tbEUljE_ZNSN_ISO_Lb1ESR_SS_SU_SV_SZ_EES10_S11_S12_S13_S17_S18_S19_S1C_S1D_jS1E_jS1F_S1F_jjS1H_bEUljE0_EEES10_S11_S12_S19_S1D_S1F_T6_T7_T9_mT8_S1H_bDpT10_ENKUlT_T0_E_clISt17integral_constantIbLb1EES1U_IbLb0EEEEDaS1Q_S1R_EUlS1Q_E_NS1_11comp_targetILNS1_3genE8ELNS1_11target_archE1030ELNS1_3gpuE2ELNS1_3repE0EEENS1_30default_config_static_selectorELNS0_4arch9wavefront6targetE0EEEvS13_,comdat
	.globl	_ZN7rocprim17ROCPRIM_400000_NS6detail17trampoline_kernelINS0_13select_configILj256ELj13ELNS0_17block_load_methodE3ELS4_3ELS4_3ELNS0_20block_scan_algorithmE0ELj4294967295EEENS1_25partition_config_selectorILNS1_17partition_subalgoE4EjNS0_10empty_typeEbEEZZNS1_14partition_implILS8_4ELb0ES6_15HIP_vector_typeIjLj2EENS0_17counting_iteratorIjlEEPS9_SG_NS0_5tupleIJPjSI_NS0_16reverse_iteratorISI_EEEEENSH_IJSG_SG_SG_EEES9_SI_JZNS1_25segmented_radix_sort_implINS0_14default_configELb1EPK12hip_bfloat16PSP_PKlPlN2at6native12_GLOBAL__N_18offset_tEEE10hipError_tPvRmT1_PNSt15iterator_traitsIS13_E10value_typeET2_T3_PNS14_IS19_E10value_typeET4_jRbjT5_S1F_jjP12ihipStream_tbEUljE_ZNSN_ISO_Lb1ESR_SS_SU_SV_SZ_EES10_S11_S12_S13_S17_S18_S19_S1C_S1D_jS1E_jS1F_S1F_jjS1H_bEUljE0_EEES10_S11_S12_S19_S1D_S1F_T6_T7_T9_mT8_S1H_bDpT10_ENKUlT_T0_E_clISt17integral_constantIbLb1EES1U_IbLb0EEEEDaS1Q_S1R_EUlS1Q_E_NS1_11comp_targetILNS1_3genE8ELNS1_11target_archE1030ELNS1_3gpuE2ELNS1_3repE0EEENS1_30default_config_static_selectorELNS0_4arch9wavefront6targetE0EEEvS13_ ; -- Begin function _ZN7rocprim17ROCPRIM_400000_NS6detail17trampoline_kernelINS0_13select_configILj256ELj13ELNS0_17block_load_methodE3ELS4_3ELS4_3ELNS0_20block_scan_algorithmE0ELj4294967295EEENS1_25partition_config_selectorILNS1_17partition_subalgoE4EjNS0_10empty_typeEbEEZZNS1_14partition_implILS8_4ELb0ES6_15HIP_vector_typeIjLj2EENS0_17counting_iteratorIjlEEPS9_SG_NS0_5tupleIJPjSI_NS0_16reverse_iteratorISI_EEEEENSH_IJSG_SG_SG_EEES9_SI_JZNS1_25segmented_radix_sort_implINS0_14default_configELb1EPK12hip_bfloat16PSP_PKlPlN2at6native12_GLOBAL__N_18offset_tEEE10hipError_tPvRmT1_PNSt15iterator_traitsIS13_E10value_typeET2_T3_PNS14_IS19_E10value_typeET4_jRbjT5_S1F_jjP12ihipStream_tbEUljE_ZNSN_ISO_Lb1ESR_SS_SU_SV_SZ_EES10_S11_S12_S13_S17_S18_S19_S1C_S1D_jS1E_jS1F_S1F_jjS1H_bEUljE0_EEES10_S11_S12_S19_S1D_S1F_T6_T7_T9_mT8_S1H_bDpT10_ENKUlT_T0_E_clISt17integral_constantIbLb1EES1U_IbLb0EEEEDaS1Q_S1R_EUlS1Q_E_NS1_11comp_targetILNS1_3genE8ELNS1_11target_archE1030ELNS1_3gpuE2ELNS1_3repE0EEENS1_30default_config_static_selectorELNS0_4arch9wavefront6targetE0EEEvS13_
	.p2align	8
	.type	_ZN7rocprim17ROCPRIM_400000_NS6detail17trampoline_kernelINS0_13select_configILj256ELj13ELNS0_17block_load_methodE3ELS4_3ELS4_3ELNS0_20block_scan_algorithmE0ELj4294967295EEENS1_25partition_config_selectorILNS1_17partition_subalgoE4EjNS0_10empty_typeEbEEZZNS1_14partition_implILS8_4ELb0ES6_15HIP_vector_typeIjLj2EENS0_17counting_iteratorIjlEEPS9_SG_NS0_5tupleIJPjSI_NS0_16reverse_iteratorISI_EEEEENSH_IJSG_SG_SG_EEES9_SI_JZNS1_25segmented_radix_sort_implINS0_14default_configELb1EPK12hip_bfloat16PSP_PKlPlN2at6native12_GLOBAL__N_18offset_tEEE10hipError_tPvRmT1_PNSt15iterator_traitsIS13_E10value_typeET2_T3_PNS14_IS19_E10value_typeET4_jRbjT5_S1F_jjP12ihipStream_tbEUljE_ZNSN_ISO_Lb1ESR_SS_SU_SV_SZ_EES10_S11_S12_S13_S17_S18_S19_S1C_S1D_jS1E_jS1F_S1F_jjS1H_bEUljE0_EEES10_S11_S12_S19_S1D_S1F_T6_T7_T9_mT8_S1H_bDpT10_ENKUlT_T0_E_clISt17integral_constantIbLb1EES1U_IbLb0EEEEDaS1Q_S1R_EUlS1Q_E_NS1_11comp_targetILNS1_3genE8ELNS1_11target_archE1030ELNS1_3gpuE2ELNS1_3repE0EEENS1_30default_config_static_selectorELNS0_4arch9wavefront6targetE0EEEvS13_,@function
_ZN7rocprim17ROCPRIM_400000_NS6detail17trampoline_kernelINS0_13select_configILj256ELj13ELNS0_17block_load_methodE3ELS4_3ELS4_3ELNS0_20block_scan_algorithmE0ELj4294967295EEENS1_25partition_config_selectorILNS1_17partition_subalgoE4EjNS0_10empty_typeEbEEZZNS1_14partition_implILS8_4ELb0ES6_15HIP_vector_typeIjLj2EENS0_17counting_iteratorIjlEEPS9_SG_NS0_5tupleIJPjSI_NS0_16reverse_iteratorISI_EEEEENSH_IJSG_SG_SG_EEES9_SI_JZNS1_25segmented_radix_sort_implINS0_14default_configELb1EPK12hip_bfloat16PSP_PKlPlN2at6native12_GLOBAL__N_18offset_tEEE10hipError_tPvRmT1_PNSt15iterator_traitsIS13_E10value_typeET2_T3_PNS14_IS19_E10value_typeET4_jRbjT5_S1F_jjP12ihipStream_tbEUljE_ZNSN_ISO_Lb1ESR_SS_SU_SV_SZ_EES10_S11_S12_S13_S17_S18_S19_S1C_S1D_jS1E_jS1F_S1F_jjS1H_bEUljE0_EEES10_S11_S12_S19_S1D_S1F_T6_T7_T9_mT8_S1H_bDpT10_ENKUlT_T0_E_clISt17integral_constantIbLb1EES1U_IbLb0EEEEDaS1Q_S1R_EUlS1Q_E_NS1_11comp_targetILNS1_3genE8ELNS1_11target_archE1030ELNS1_3gpuE2ELNS1_3repE0EEENS1_30default_config_static_selectorELNS0_4arch9wavefront6targetE0EEEvS13_: ; @_ZN7rocprim17ROCPRIM_400000_NS6detail17trampoline_kernelINS0_13select_configILj256ELj13ELNS0_17block_load_methodE3ELS4_3ELS4_3ELNS0_20block_scan_algorithmE0ELj4294967295EEENS1_25partition_config_selectorILNS1_17partition_subalgoE4EjNS0_10empty_typeEbEEZZNS1_14partition_implILS8_4ELb0ES6_15HIP_vector_typeIjLj2EENS0_17counting_iteratorIjlEEPS9_SG_NS0_5tupleIJPjSI_NS0_16reverse_iteratorISI_EEEEENSH_IJSG_SG_SG_EEES9_SI_JZNS1_25segmented_radix_sort_implINS0_14default_configELb1EPK12hip_bfloat16PSP_PKlPlN2at6native12_GLOBAL__N_18offset_tEEE10hipError_tPvRmT1_PNSt15iterator_traitsIS13_E10value_typeET2_T3_PNS14_IS19_E10value_typeET4_jRbjT5_S1F_jjP12ihipStream_tbEUljE_ZNSN_ISO_Lb1ESR_SS_SU_SV_SZ_EES10_S11_S12_S13_S17_S18_S19_S1C_S1D_jS1E_jS1F_S1F_jjS1H_bEUljE0_EEES10_S11_S12_S19_S1D_S1F_T6_T7_T9_mT8_S1H_bDpT10_ENKUlT_T0_E_clISt17integral_constantIbLb1EES1U_IbLb0EEEEDaS1Q_S1R_EUlS1Q_E_NS1_11comp_targetILNS1_3genE8ELNS1_11target_archE1030ELNS1_3gpuE2ELNS1_3repE0EEENS1_30default_config_static_selectorELNS0_4arch9wavefront6targetE0EEEvS13_
; %bb.0:
	.section	.rodata,"a",@progbits
	.p2align	6, 0x0
	.amdhsa_kernel _ZN7rocprim17ROCPRIM_400000_NS6detail17trampoline_kernelINS0_13select_configILj256ELj13ELNS0_17block_load_methodE3ELS4_3ELS4_3ELNS0_20block_scan_algorithmE0ELj4294967295EEENS1_25partition_config_selectorILNS1_17partition_subalgoE4EjNS0_10empty_typeEbEEZZNS1_14partition_implILS8_4ELb0ES6_15HIP_vector_typeIjLj2EENS0_17counting_iteratorIjlEEPS9_SG_NS0_5tupleIJPjSI_NS0_16reverse_iteratorISI_EEEEENSH_IJSG_SG_SG_EEES9_SI_JZNS1_25segmented_radix_sort_implINS0_14default_configELb1EPK12hip_bfloat16PSP_PKlPlN2at6native12_GLOBAL__N_18offset_tEEE10hipError_tPvRmT1_PNSt15iterator_traitsIS13_E10value_typeET2_T3_PNS14_IS19_E10value_typeET4_jRbjT5_S1F_jjP12ihipStream_tbEUljE_ZNSN_ISO_Lb1ESR_SS_SU_SV_SZ_EES10_S11_S12_S13_S17_S18_S19_S1C_S1D_jS1E_jS1F_S1F_jjS1H_bEUljE0_EEES10_S11_S12_S19_S1D_S1F_T6_T7_T9_mT8_S1H_bDpT10_ENKUlT_T0_E_clISt17integral_constantIbLb1EES1U_IbLb0EEEEDaS1Q_S1R_EUlS1Q_E_NS1_11comp_targetILNS1_3genE8ELNS1_11target_archE1030ELNS1_3gpuE2ELNS1_3repE0EEENS1_30default_config_static_selectorELNS0_4arch9wavefront6targetE0EEEvS13_
		.amdhsa_group_segment_fixed_size 0
		.amdhsa_private_segment_fixed_size 0
		.amdhsa_kernarg_size 176
		.amdhsa_user_sgpr_count 15
		.amdhsa_user_sgpr_dispatch_ptr 0
		.amdhsa_user_sgpr_queue_ptr 0
		.amdhsa_user_sgpr_kernarg_segment_ptr 1
		.amdhsa_user_sgpr_dispatch_id 0
		.amdhsa_user_sgpr_private_segment_size 0
		.amdhsa_wavefront_size32 1
		.amdhsa_uses_dynamic_stack 0
		.amdhsa_enable_private_segment 0
		.amdhsa_system_sgpr_workgroup_id_x 1
		.amdhsa_system_sgpr_workgroup_id_y 0
		.amdhsa_system_sgpr_workgroup_id_z 0
		.amdhsa_system_sgpr_workgroup_info 0
		.amdhsa_system_vgpr_workitem_id 0
		.amdhsa_next_free_vgpr 1
		.amdhsa_next_free_sgpr 1
		.amdhsa_reserve_vcc 0
		.amdhsa_float_round_mode_32 0
		.amdhsa_float_round_mode_16_64 0
		.amdhsa_float_denorm_mode_32 3
		.amdhsa_float_denorm_mode_16_64 3
		.amdhsa_dx10_clamp 1
		.amdhsa_ieee_mode 1
		.amdhsa_fp16_overflow 0
		.amdhsa_workgroup_processor_mode 1
		.amdhsa_memory_ordered 1
		.amdhsa_forward_progress 0
		.amdhsa_shared_vgpr_count 0
		.amdhsa_exception_fp_ieee_invalid_op 0
		.amdhsa_exception_fp_denorm_src 0
		.amdhsa_exception_fp_ieee_div_zero 0
		.amdhsa_exception_fp_ieee_overflow 0
		.amdhsa_exception_fp_ieee_underflow 0
		.amdhsa_exception_fp_ieee_inexact 0
		.amdhsa_exception_int_div_zero 0
	.end_amdhsa_kernel
	.section	.text._ZN7rocprim17ROCPRIM_400000_NS6detail17trampoline_kernelINS0_13select_configILj256ELj13ELNS0_17block_load_methodE3ELS4_3ELS4_3ELNS0_20block_scan_algorithmE0ELj4294967295EEENS1_25partition_config_selectorILNS1_17partition_subalgoE4EjNS0_10empty_typeEbEEZZNS1_14partition_implILS8_4ELb0ES6_15HIP_vector_typeIjLj2EENS0_17counting_iteratorIjlEEPS9_SG_NS0_5tupleIJPjSI_NS0_16reverse_iteratorISI_EEEEENSH_IJSG_SG_SG_EEES9_SI_JZNS1_25segmented_radix_sort_implINS0_14default_configELb1EPK12hip_bfloat16PSP_PKlPlN2at6native12_GLOBAL__N_18offset_tEEE10hipError_tPvRmT1_PNSt15iterator_traitsIS13_E10value_typeET2_T3_PNS14_IS19_E10value_typeET4_jRbjT5_S1F_jjP12ihipStream_tbEUljE_ZNSN_ISO_Lb1ESR_SS_SU_SV_SZ_EES10_S11_S12_S13_S17_S18_S19_S1C_S1D_jS1E_jS1F_S1F_jjS1H_bEUljE0_EEES10_S11_S12_S19_S1D_S1F_T6_T7_T9_mT8_S1H_bDpT10_ENKUlT_T0_E_clISt17integral_constantIbLb1EES1U_IbLb0EEEEDaS1Q_S1R_EUlS1Q_E_NS1_11comp_targetILNS1_3genE8ELNS1_11target_archE1030ELNS1_3gpuE2ELNS1_3repE0EEENS1_30default_config_static_selectorELNS0_4arch9wavefront6targetE0EEEvS13_,"axG",@progbits,_ZN7rocprim17ROCPRIM_400000_NS6detail17trampoline_kernelINS0_13select_configILj256ELj13ELNS0_17block_load_methodE3ELS4_3ELS4_3ELNS0_20block_scan_algorithmE0ELj4294967295EEENS1_25partition_config_selectorILNS1_17partition_subalgoE4EjNS0_10empty_typeEbEEZZNS1_14partition_implILS8_4ELb0ES6_15HIP_vector_typeIjLj2EENS0_17counting_iteratorIjlEEPS9_SG_NS0_5tupleIJPjSI_NS0_16reverse_iteratorISI_EEEEENSH_IJSG_SG_SG_EEES9_SI_JZNS1_25segmented_radix_sort_implINS0_14default_configELb1EPK12hip_bfloat16PSP_PKlPlN2at6native12_GLOBAL__N_18offset_tEEE10hipError_tPvRmT1_PNSt15iterator_traitsIS13_E10value_typeET2_T3_PNS14_IS19_E10value_typeET4_jRbjT5_S1F_jjP12ihipStream_tbEUljE_ZNSN_ISO_Lb1ESR_SS_SU_SV_SZ_EES10_S11_S12_S13_S17_S18_S19_S1C_S1D_jS1E_jS1F_S1F_jjS1H_bEUljE0_EEES10_S11_S12_S19_S1D_S1F_T6_T7_T9_mT8_S1H_bDpT10_ENKUlT_T0_E_clISt17integral_constantIbLb1EES1U_IbLb0EEEEDaS1Q_S1R_EUlS1Q_E_NS1_11comp_targetILNS1_3genE8ELNS1_11target_archE1030ELNS1_3gpuE2ELNS1_3repE0EEENS1_30default_config_static_selectorELNS0_4arch9wavefront6targetE0EEEvS13_,comdat
.Lfunc_end1905:
	.size	_ZN7rocprim17ROCPRIM_400000_NS6detail17trampoline_kernelINS0_13select_configILj256ELj13ELNS0_17block_load_methodE3ELS4_3ELS4_3ELNS0_20block_scan_algorithmE0ELj4294967295EEENS1_25partition_config_selectorILNS1_17partition_subalgoE4EjNS0_10empty_typeEbEEZZNS1_14partition_implILS8_4ELb0ES6_15HIP_vector_typeIjLj2EENS0_17counting_iteratorIjlEEPS9_SG_NS0_5tupleIJPjSI_NS0_16reverse_iteratorISI_EEEEENSH_IJSG_SG_SG_EEES9_SI_JZNS1_25segmented_radix_sort_implINS0_14default_configELb1EPK12hip_bfloat16PSP_PKlPlN2at6native12_GLOBAL__N_18offset_tEEE10hipError_tPvRmT1_PNSt15iterator_traitsIS13_E10value_typeET2_T3_PNS14_IS19_E10value_typeET4_jRbjT5_S1F_jjP12ihipStream_tbEUljE_ZNSN_ISO_Lb1ESR_SS_SU_SV_SZ_EES10_S11_S12_S13_S17_S18_S19_S1C_S1D_jS1E_jS1F_S1F_jjS1H_bEUljE0_EEES10_S11_S12_S19_S1D_S1F_T6_T7_T9_mT8_S1H_bDpT10_ENKUlT_T0_E_clISt17integral_constantIbLb1EES1U_IbLb0EEEEDaS1Q_S1R_EUlS1Q_E_NS1_11comp_targetILNS1_3genE8ELNS1_11target_archE1030ELNS1_3gpuE2ELNS1_3repE0EEENS1_30default_config_static_selectorELNS0_4arch9wavefront6targetE0EEEvS13_, .Lfunc_end1905-_ZN7rocprim17ROCPRIM_400000_NS6detail17trampoline_kernelINS0_13select_configILj256ELj13ELNS0_17block_load_methodE3ELS4_3ELS4_3ELNS0_20block_scan_algorithmE0ELj4294967295EEENS1_25partition_config_selectorILNS1_17partition_subalgoE4EjNS0_10empty_typeEbEEZZNS1_14partition_implILS8_4ELb0ES6_15HIP_vector_typeIjLj2EENS0_17counting_iteratorIjlEEPS9_SG_NS0_5tupleIJPjSI_NS0_16reverse_iteratorISI_EEEEENSH_IJSG_SG_SG_EEES9_SI_JZNS1_25segmented_radix_sort_implINS0_14default_configELb1EPK12hip_bfloat16PSP_PKlPlN2at6native12_GLOBAL__N_18offset_tEEE10hipError_tPvRmT1_PNSt15iterator_traitsIS13_E10value_typeET2_T3_PNS14_IS19_E10value_typeET4_jRbjT5_S1F_jjP12ihipStream_tbEUljE_ZNSN_ISO_Lb1ESR_SS_SU_SV_SZ_EES10_S11_S12_S13_S17_S18_S19_S1C_S1D_jS1E_jS1F_S1F_jjS1H_bEUljE0_EEES10_S11_S12_S19_S1D_S1F_T6_T7_T9_mT8_S1H_bDpT10_ENKUlT_T0_E_clISt17integral_constantIbLb1EES1U_IbLb0EEEEDaS1Q_S1R_EUlS1Q_E_NS1_11comp_targetILNS1_3genE8ELNS1_11target_archE1030ELNS1_3gpuE2ELNS1_3repE0EEENS1_30default_config_static_selectorELNS0_4arch9wavefront6targetE0EEEvS13_
                                        ; -- End function
	.section	.AMDGPU.csdata,"",@progbits
; Kernel info:
; codeLenInByte = 0
; NumSgprs: 0
; NumVgprs: 0
; ScratchSize: 0
; MemoryBound: 0
; FloatMode: 240
; IeeeMode: 1
; LDSByteSize: 0 bytes/workgroup (compile time only)
; SGPRBlocks: 0
; VGPRBlocks: 0
; NumSGPRsForWavesPerEU: 1
; NumVGPRsForWavesPerEU: 1
; Occupancy: 16
; WaveLimiterHint : 0
; COMPUTE_PGM_RSRC2:SCRATCH_EN: 0
; COMPUTE_PGM_RSRC2:USER_SGPR: 15
; COMPUTE_PGM_RSRC2:TRAP_HANDLER: 0
; COMPUTE_PGM_RSRC2:TGID_X_EN: 1
; COMPUTE_PGM_RSRC2:TGID_Y_EN: 0
; COMPUTE_PGM_RSRC2:TGID_Z_EN: 0
; COMPUTE_PGM_RSRC2:TIDIG_COMP_CNT: 0
	.section	.text._ZN7rocprim17ROCPRIM_400000_NS6detail17trampoline_kernelINS0_13select_configILj256ELj13ELNS0_17block_load_methodE3ELS4_3ELS4_3ELNS0_20block_scan_algorithmE0ELj4294967295EEENS1_25partition_config_selectorILNS1_17partition_subalgoE4EjNS0_10empty_typeEbEEZZNS1_14partition_implILS8_4ELb0ES6_15HIP_vector_typeIjLj2EENS0_17counting_iteratorIjlEEPS9_SG_NS0_5tupleIJPjSI_NS0_16reverse_iteratorISI_EEEEENSH_IJSG_SG_SG_EEES9_SI_JZNS1_25segmented_radix_sort_implINS0_14default_configELb1EPK12hip_bfloat16PSP_PKlPlN2at6native12_GLOBAL__N_18offset_tEEE10hipError_tPvRmT1_PNSt15iterator_traitsIS13_E10value_typeET2_T3_PNS14_IS19_E10value_typeET4_jRbjT5_S1F_jjP12ihipStream_tbEUljE_ZNSN_ISO_Lb1ESR_SS_SU_SV_SZ_EES10_S11_S12_S13_S17_S18_S19_S1C_S1D_jS1E_jS1F_S1F_jjS1H_bEUljE0_EEES10_S11_S12_S19_S1D_S1F_T6_T7_T9_mT8_S1H_bDpT10_ENKUlT_T0_E_clISt17integral_constantIbLb0EES1U_IbLb1EEEEDaS1Q_S1R_EUlS1Q_E_NS1_11comp_targetILNS1_3genE0ELNS1_11target_archE4294967295ELNS1_3gpuE0ELNS1_3repE0EEENS1_30default_config_static_selectorELNS0_4arch9wavefront6targetE0EEEvS13_,"axG",@progbits,_ZN7rocprim17ROCPRIM_400000_NS6detail17trampoline_kernelINS0_13select_configILj256ELj13ELNS0_17block_load_methodE3ELS4_3ELS4_3ELNS0_20block_scan_algorithmE0ELj4294967295EEENS1_25partition_config_selectorILNS1_17partition_subalgoE4EjNS0_10empty_typeEbEEZZNS1_14partition_implILS8_4ELb0ES6_15HIP_vector_typeIjLj2EENS0_17counting_iteratorIjlEEPS9_SG_NS0_5tupleIJPjSI_NS0_16reverse_iteratorISI_EEEEENSH_IJSG_SG_SG_EEES9_SI_JZNS1_25segmented_radix_sort_implINS0_14default_configELb1EPK12hip_bfloat16PSP_PKlPlN2at6native12_GLOBAL__N_18offset_tEEE10hipError_tPvRmT1_PNSt15iterator_traitsIS13_E10value_typeET2_T3_PNS14_IS19_E10value_typeET4_jRbjT5_S1F_jjP12ihipStream_tbEUljE_ZNSN_ISO_Lb1ESR_SS_SU_SV_SZ_EES10_S11_S12_S13_S17_S18_S19_S1C_S1D_jS1E_jS1F_S1F_jjS1H_bEUljE0_EEES10_S11_S12_S19_S1D_S1F_T6_T7_T9_mT8_S1H_bDpT10_ENKUlT_T0_E_clISt17integral_constantIbLb0EES1U_IbLb1EEEEDaS1Q_S1R_EUlS1Q_E_NS1_11comp_targetILNS1_3genE0ELNS1_11target_archE4294967295ELNS1_3gpuE0ELNS1_3repE0EEENS1_30default_config_static_selectorELNS0_4arch9wavefront6targetE0EEEvS13_,comdat
	.globl	_ZN7rocprim17ROCPRIM_400000_NS6detail17trampoline_kernelINS0_13select_configILj256ELj13ELNS0_17block_load_methodE3ELS4_3ELS4_3ELNS0_20block_scan_algorithmE0ELj4294967295EEENS1_25partition_config_selectorILNS1_17partition_subalgoE4EjNS0_10empty_typeEbEEZZNS1_14partition_implILS8_4ELb0ES6_15HIP_vector_typeIjLj2EENS0_17counting_iteratorIjlEEPS9_SG_NS0_5tupleIJPjSI_NS0_16reverse_iteratorISI_EEEEENSH_IJSG_SG_SG_EEES9_SI_JZNS1_25segmented_radix_sort_implINS0_14default_configELb1EPK12hip_bfloat16PSP_PKlPlN2at6native12_GLOBAL__N_18offset_tEEE10hipError_tPvRmT1_PNSt15iterator_traitsIS13_E10value_typeET2_T3_PNS14_IS19_E10value_typeET4_jRbjT5_S1F_jjP12ihipStream_tbEUljE_ZNSN_ISO_Lb1ESR_SS_SU_SV_SZ_EES10_S11_S12_S13_S17_S18_S19_S1C_S1D_jS1E_jS1F_S1F_jjS1H_bEUljE0_EEES10_S11_S12_S19_S1D_S1F_T6_T7_T9_mT8_S1H_bDpT10_ENKUlT_T0_E_clISt17integral_constantIbLb0EES1U_IbLb1EEEEDaS1Q_S1R_EUlS1Q_E_NS1_11comp_targetILNS1_3genE0ELNS1_11target_archE4294967295ELNS1_3gpuE0ELNS1_3repE0EEENS1_30default_config_static_selectorELNS0_4arch9wavefront6targetE0EEEvS13_ ; -- Begin function _ZN7rocprim17ROCPRIM_400000_NS6detail17trampoline_kernelINS0_13select_configILj256ELj13ELNS0_17block_load_methodE3ELS4_3ELS4_3ELNS0_20block_scan_algorithmE0ELj4294967295EEENS1_25partition_config_selectorILNS1_17partition_subalgoE4EjNS0_10empty_typeEbEEZZNS1_14partition_implILS8_4ELb0ES6_15HIP_vector_typeIjLj2EENS0_17counting_iteratorIjlEEPS9_SG_NS0_5tupleIJPjSI_NS0_16reverse_iteratorISI_EEEEENSH_IJSG_SG_SG_EEES9_SI_JZNS1_25segmented_radix_sort_implINS0_14default_configELb1EPK12hip_bfloat16PSP_PKlPlN2at6native12_GLOBAL__N_18offset_tEEE10hipError_tPvRmT1_PNSt15iterator_traitsIS13_E10value_typeET2_T3_PNS14_IS19_E10value_typeET4_jRbjT5_S1F_jjP12ihipStream_tbEUljE_ZNSN_ISO_Lb1ESR_SS_SU_SV_SZ_EES10_S11_S12_S13_S17_S18_S19_S1C_S1D_jS1E_jS1F_S1F_jjS1H_bEUljE0_EEES10_S11_S12_S19_S1D_S1F_T6_T7_T9_mT8_S1H_bDpT10_ENKUlT_T0_E_clISt17integral_constantIbLb0EES1U_IbLb1EEEEDaS1Q_S1R_EUlS1Q_E_NS1_11comp_targetILNS1_3genE0ELNS1_11target_archE4294967295ELNS1_3gpuE0ELNS1_3repE0EEENS1_30default_config_static_selectorELNS0_4arch9wavefront6targetE0EEEvS13_
	.p2align	8
	.type	_ZN7rocprim17ROCPRIM_400000_NS6detail17trampoline_kernelINS0_13select_configILj256ELj13ELNS0_17block_load_methodE3ELS4_3ELS4_3ELNS0_20block_scan_algorithmE0ELj4294967295EEENS1_25partition_config_selectorILNS1_17partition_subalgoE4EjNS0_10empty_typeEbEEZZNS1_14partition_implILS8_4ELb0ES6_15HIP_vector_typeIjLj2EENS0_17counting_iteratorIjlEEPS9_SG_NS0_5tupleIJPjSI_NS0_16reverse_iteratorISI_EEEEENSH_IJSG_SG_SG_EEES9_SI_JZNS1_25segmented_radix_sort_implINS0_14default_configELb1EPK12hip_bfloat16PSP_PKlPlN2at6native12_GLOBAL__N_18offset_tEEE10hipError_tPvRmT1_PNSt15iterator_traitsIS13_E10value_typeET2_T3_PNS14_IS19_E10value_typeET4_jRbjT5_S1F_jjP12ihipStream_tbEUljE_ZNSN_ISO_Lb1ESR_SS_SU_SV_SZ_EES10_S11_S12_S13_S17_S18_S19_S1C_S1D_jS1E_jS1F_S1F_jjS1H_bEUljE0_EEES10_S11_S12_S19_S1D_S1F_T6_T7_T9_mT8_S1H_bDpT10_ENKUlT_T0_E_clISt17integral_constantIbLb0EES1U_IbLb1EEEEDaS1Q_S1R_EUlS1Q_E_NS1_11comp_targetILNS1_3genE0ELNS1_11target_archE4294967295ELNS1_3gpuE0ELNS1_3repE0EEENS1_30default_config_static_selectorELNS0_4arch9wavefront6targetE0EEEvS13_,@function
_ZN7rocprim17ROCPRIM_400000_NS6detail17trampoline_kernelINS0_13select_configILj256ELj13ELNS0_17block_load_methodE3ELS4_3ELS4_3ELNS0_20block_scan_algorithmE0ELj4294967295EEENS1_25partition_config_selectorILNS1_17partition_subalgoE4EjNS0_10empty_typeEbEEZZNS1_14partition_implILS8_4ELb0ES6_15HIP_vector_typeIjLj2EENS0_17counting_iteratorIjlEEPS9_SG_NS0_5tupleIJPjSI_NS0_16reverse_iteratorISI_EEEEENSH_IJSG_SG_SG_EEES9_SI_JZNS1_25segmented_radix_sort_implINS0_14default_configELb1EPK12hip_bfloat16PSP_PKlPlN2at6native12_GLOBAL__N_18offset_tEEE10hipError_tPvRmT1_PNSt15iterator_traitsIS13_E10value_typeET2_T3_PNS14_IS19_E10value_typeET4_jRbjT5_S1F_jjP12ihipStream_tbEUljE_ZNSN_ISO_Lb1ESR_SS_SU_SV_SZ_EES10_S11_S12_S13_S17_S18_S19_S1C_S1D_jS1E_jS1F_S1F_jjS1H_bEUljE0_EEES10_S11_S12_S19_S1D_S1F_T6_T7_T9_mT8_S1H_bDpT10_ENKUlT_T0_E_clISt17integral_constantIbLb0EES1U_IbLb1EEEEDaS1Q_S1R_EUlS1Q_E_NS1_11comp_targetILNS1_3genE0ELNS1_11target_archE4294967295ELNS1_3gpuE0ELNS1_3repE0EEENS1_30default_config_static_selectorELNS0_4arch9wavefront6targetE0EEEvS13_: ; @_ZN7rocprim17ROCPRIM_400000_NS6detail17trampoline_kernelINS0_13select_configILj256ELj13ELNS0_17block_load_methodE3ELS4_3ELS4_3ELNS0_20block_scan_algorithmE0ELj4294967295EEENS1_25partition_config_selectorILNS1_17partition_subalgoE4EjNS0_10empty_typeEbEEZZNS1_14partition_implILS8_4ELb0ES6_15HIP_vector_typeIjLj2EENS0_17counting_iteratorIjlEEPS9_SG_NS0_5tupleIJPjSI_NS0_16reverse_iteratorISI_EEEEENSH_IJSG_SG_SG_EEES9_SI_JZNS1_25segmented_radix_sort_implINS0_14default_configELb1EPK12hip_bfloat16PSP_PKlPlN2at6native12_GLOBAL__N_18offset_tEEE10hipError_tPvRmT1_PNSt15iterator_traitsIS13_E10value_typeET2_T3_PNS14_IS19_E10value_typeET4_jRbjT5_S1F_jjP12ihipStream_tbEUljE_ZNSN_ISO_Lb1ESR_SS_SU_SV_SZ_EES10_S11_S12_S13_S17_S18_S19_S1C_S1D_jS1E_jS1F_S1F_jjS1H_bEUljE0_EEES10_S11_S12_S19_S1D_S1F_T6_T7_T9_mT8_S1H_bDpT10_ENKUlT_T0_E_clISt17integral_constantIbLb0EES1U_IbLb1EEEEDaS1Q_S1R_EUlS1Q_E_NS1_11comp_targetILNS1_3genE0ELNS1_11target_archE4294967295ELNS1_3gpuE0ELNS1_3repE0EEENS1_30default_config_static_selectorELNS0_4arch9wavefront6targetE0EEEvS13_
; %bb.0:
	.section	.rodata,"a",@progbits
	.p2align	6, 0x0
	.amdhsa_kernel _ZN7rocprim17ROCPRIM_400000_NS6detail17trampoline_kernelINS0_13select_configILj256ELj13ELNS0_17block_load_methodE3ELS4_3ELS4_3ELNS0_20block_scan_algorithmE0ELj4294967295EEENS1_25partition_config_selectorILNS1_17partition_subalgoE4EjNS0_10empty_typeEbEEZZNS1_14partition_implILS8_4ELb0ES6_15HIP_vector_typeIjLj2EENS0_17counting_iteratorIjlEEPS9_SG_NS0_5tupleIJPjSI_NS0_16reverse_iteratorISI_EEEEENSH_IJSG_SG_SG_EEES9_SI_JZNS1_25segmented_radix_sort_implINS0_14default_configELb1EPK12hip_bfloat16PSP_PKlPlN2at6native12_GLOBAL__N_18offset_tEEE10hipError_tPvRmT1_PNSt15iterator_traitsIS13_E10value_typeET2_T3_PNS14_IS19_E10value_typeET4_jRbjT5_S1F_jjP12ihipStream_tbEUljE_ZNSN_ISO_Lb1ESR_SS_SU_SV_SZ_EES10_S11_S12_S13_S17_S18_S19_S1C_S1D_jS1E_jS1F_S1F_jjS1H_bEUljE0_EEES10_S11_S12_S19_S1D_S1F_T6_T7_T9_mT8_S1H_bDpT10_ENKUlT_T0_E_clISt17integral_constantIbLb0EES1U_IbLb1EEEEDaS1Q_S1R_EUlS1Q_E_NS1_11comp_targetILNS1_3genE0ELNS1_11target_archE4294967295ELNS1_3gpuE0ELNS1_3repE0EEENS1_30default_config_static_selectorELNS0_4arch9wavefront6targetE0EEEvS13_
		.amdhsa_group_segment_fixed_size 0
		.amdhsa_private_segment_fixed_size 0
		.amdhsa_kernarg_size 184
		.amdhsa_user_sgpr_count 15
		.amdhsa_user_sgpr_dispatch_ptr 0
		.amdhsa_user_sgpr_queue_ptr 0
		.amdhsa_user_sgpr_kernarg_segment_ptr 1
		.amdhsa_user_sgpr_dispatch_id 0
		.amdhsa_user_sgpr_private_segment_size 0
		.amdhsa_wavefront_size32 1
		.amdhsa_uses_dynamic_stack 0
		.amdhsa_enable_private_segment 0
		.amdhsa_system_sgpr_workgroup_id_x 1
		.amdhsa_system_sgpr_workgroup_id_y 0
		.amdhsa_system_sgpr_workgroup_id_z 0
		.amdhsa_system_sgpr_workgroup_info 0
		.amdhsa_system_vgpr_workitem_id 0
		.amdhsa_next_free_vgpr 1
		.amdhsa_next_free_sgpr 1
		.amdhsa_reserve_vcc 0
		.amdhsa_float_round_mode_32 0
		.amdhsa_float_round_mode_16_64 0
		.amdhsa_float_denorm_mode_32 3
		.amdhsa_float_denorm_mode_16_64 3
		.amdhsa_dx10_clamp 1
		.amdhsa_ieee_mode 1
		.amdhsa_fp16_overflow 0
		.amdhsa_workgroup_processor_mode 1
		.amdhsa_memory_ordered 1
		.amdhsa_forward_progress 0
		.amdhsa_shared_vgpr_count 0
		.amdhsa_exception_fp_ieee_invalid_op 0
		.amdhsa_exception_fp_denorm_src 0
		.amdhsa_exception_fp_ieee_div_zero 0
		.amdhsa_exception_fp_ieee_overflow 0
		.amdhsa_exception_fp_ieee_underflow 0
		.amdhsa_exception_fp_ieee_inexact 0
		.amdhsa_exception_int_div_zero 0
	.end_amdhsa_kernel
	.section	.text._ZN7rocprim17ROCPRIM_400000_NS6detail17trampoline_kernelINS0_13select_configILj256ELj13ELNS0_17block_load_methodE3ELS4_3ELS4_3ELNS0_20block_scan_algorithmE0ELj4294967295EEENS1_25partition_config_selectorILNS1_17partition_subalgoE4EjNS0_10empty_typeEbEEZZNS1_14partition_implILS8_4ELb0ES6_15HIP_vector_typeIjLj2EENS0_17counting_iteratorIjlEEPS9_SG_NS0_5tupleIJPjSI_NS0_16reverse_iteratorISI_EEEEENSH_IJSG_SG_SG_EEES9_SI_JZNS1_25segmented_radix_sort_implINS0_14default_configELb1EPK12hip_bfloat16PSP_PKlPlN2at6native12_GLOBAL__N_18offset_tEEE10hipError_tPvRmT1_PNSt15iterator_traitsIS13_E10value_typeET2_T3_PNS14_IS19_E10value_typeET4_jRbjT5_S1F_jjP12ihipStream_tbEUljE_ZNSN_ISO_Lb1ESR_SS_SU_SV_SZ_EES10_S11_S12_S13_S17_S18_S19_S1C_S1D_jS1E_jS1F_S1F_jjS1H_bEUljE0_EEES10_S11_S12_S19_S1D_S1F_T6_T7_T9_mT8_S1H_bDpT10_ENKUlT_T0_E_clISt17integral_constantIbLb0EES1U_IbLb1EEEEDaS1Q_S1R_EUlS1Q_E_NS1_11comp_targetILNS1_3genE0ELNS1_11target_archE4294967295ELNS1_3gpuE0ELNS1_3repE0EEENS1_30default_config_static_selectorELNS0_4arch9wavefront6targetE0EEEvS13_,"axG",@progbits,_ZN7rocprim17ROCPRIM_400000_NS6detail17trampoline_kernelINS0_13select_configILj256ELj13ELNS0_17block_load_methodE3ELS4_3ELS4_3ELNS0_20block_scan_algorithmE0ELj4294967295EEENS1_25partition_config_selectorILNS1_17partition_subalgoE4EjNS0_10empty_typeEbEEZZNS1_14partition_implILS8_4ELb0ES6_15HIP_vector_typeIjLj2EENS0_17counting_iteratorIjlEEPS9_SG_NS0_5tupleIJPjSI_NS0_16reverse_iteratorISI_EEEEENSH_IJSG_SG_SG_EEES9_SI_JZNS1_25segmented_radix_sort_implINS0_14default_configELb1EPK12hip_bfloat16PSP_PKlPlN2at6native12_GLOBAL__N_18offset_tEEE10hipError_tPvRmT1_PNSt15iterator_traitsIS13_E10value_typeET2_T3_PNS14_IS19_E10value_typeET4_jRbjT5_S1F_jjP12ihipStream_tbEUljE_ZNSN_ISO_Lb1ESR_SS_SU_SV_SZ_EES10_S11_S12_S13_S17_S18_S19_S1C_S1D_jS1E_jS1F_S1F_jjS1H_bEUljE0_EEES10_S11_S12_S19_S1D_S1F_T6_T7_T9_mT8_S1H_bDpT10_ENKUlT_T0_E_clISt17integral_constantIbLb0EES1U_IbLb1EEEEDaS1Q_S1R_EUlS1Q_E_NS1_11comp_targetILNS1_3genE0ELNS1_11target_archE4294967295ELNS1_3gpuE0ELNS1_3repE0EEENS1_30default_config_static_selectorELNS0_4arch9wavefront6targetE0EEEvS13_,comdat
.Lfunc_end1906:
	.size	_ZN7rocprim17ROCPRIM_400000_NS6detail17trampoline_kernelINS0_13select_configILj256ELj13ELNS0_17block_load_methodE3ELS4_3ELS4_3ELNS0_20block_scan_algorithmE0ELj4294967295EEENS1_25partition_config_selectorILNS1_17partition_subalgoE4EjNS0_10empty_typeEbEEZZNS1_14partition_implILS8_4ELb0ES6_15HIP_vector_typeIjLj2EENS0_17counting_iteratorIjlEEPS9_SG_NS0_5tupleIJPjSI_NS0_16reverse_iteratorISI_EEEEENSH_IJSG_SG_SG_EEES9_SI_JZNS1_25segmented_radix_sort_implINS0_14default_configELb1EPK12hip_bfloat16PSP_PKlPlN2at6native12_GLOBAL__N_18offset_tEEE10hipError_tPvRmT1_PNSt15iterator_traitsIS13_E10value_typeET2_T3_PNS14_IS19_E10value_typeET4_jRbjT5_S1F_jjP12ihipStream_tbEUljE_ZNSN_ISO_Lb1ESR_SS_SU_SV_SZ_EES10_S11_S12_S13_S17_S18_S19_S1C_S1D_jS1E_jS1F_S1F_jjS1H_bEUljE0_EEES10_S11_S12_S19_S1D_S1F_T6_T7_T9_mT8_S1H_bDpT10_ENKUlT_T0_E_clISt17integral_constantIbLb0EES1U_IbLb1EEEEDaS1Q_S1R_EUlS1Q_E_NS1_11comp_targetILNS1_3genE0ELNS1_11target_archE4294967295ELNS1_3gpuE0ELNS1_3repE0EEENS1_30default_config_static_selectorELNS0_4arch9wavefront6targetE0EEEvS13_, .Lfunc_end1906-_ZN7rocprim17ROCPRIM_400000_NS6detail17trampoline_kernelINS0_13select_configILj256ELj13ELNS0_17block_load_methodE3ELS4_3ELS4_3ELNS0_20block_scan_algorithmE0ELj4294967295EEENS1_25partition_config_selectorILNS1_17partition_subalgoE4EjNS0_10empty_typeEbEEZZNS1_14partition_implILS8_4ELb0ES6_15HIP_vector_typeIjLj2EENS0_17counting_iteratorIjlEEPS9_SG_NS0_5tupleIJPjSI_NS0_16reverse_iteratorISI_EEEEENSH_IJSG_SG_SG_EEES9_SI_JZNS1_25segmented_radix_sort_implINS0_14default_configELb1EPK12hip_bfloat16PSP_PKlPlN2at6native12_GLOBAL__N_18offset_tEEE10hipError_tPvRmT1_PNSt15iterator_traitsIS13_E10value_typeET2_T3_PNS14_IS19_E10value_typeET4_jRbjT5_S1F_jjP12ihipStream_tbEUljE_ZNSN_ISO_Lb1ESR_SS_SU_SV_SZ_EES10_S11_S12_S13_S17_S18_S19_S1C_S1D_jS1E_jS1F_S1F_jjS1H_bEUljE0_EEES10_S11_S12_S19_S1D_S1F_T6_T7_T9_mT8_S1H_bDpT10_ENKUlT_T0_E_clISt17integral_constantIbLb0EES1U_IbLb1EEEEDaS1Q_S1R_EUlS1Q_E_NS1_11comp_targetILNS1_3genE0ELNS1_11target_archE4294967295ELNS1_3gpuE0ELNS1_3repE0EEENS1_30default_config_static_selectorELNS0_4arch9wavefront6targetE0EEEvS13_
                                        ; -- End function
	.section	.AMDGPU.csdata,"",@progbits
; Kernel info:
; codeLenInByte = 0
; NumSgprs: 0
; NumVgprs: 0
; ScratchSize: 0
; MemoryBound: 0
; FloatMode: 240
; IeeeMode: 1
; LDSByteSize: 0 bytes/workgroup (compile time only)
; SGPRBlocks: 0
; VGPRBlocks: 0
; NumSGPRsForWavesPerEU: 1
; NumVGPRsForWavesPerEU: 1
; Occupancy: 16
; WaveLimiterHint : 0
; COMPUTE_PGM_RSRC2:SCRATCH_EN: 0
; COMPUTE_PGM_RSRC2:USER_SGPR: 15
; COMPUTE_PGM_RSRC2:TRAP_HANDLER: 0
; COMPUTE_PGM_RSRC2:TGID_X_EN: 1
; COMPUTE_PGM_RSRC2:TGID_Y_EN: 0
; COMPUTE_PGM_RSRC2:TGID_Z_EN: 0
; COMPUTE_PGM_RSRC2:TIDIG_COMP_CNT: 0
	.section	.text._ZN7rocprim17ROCPRIM_400000_NS6detail17trampoline_kernelINS0_13select_configILj256ELj13ELNS0_17block_load_methodE3ELS4_3ELS4_3ELNS0_20block_scan_algorithmE0ELj4294967295EEENS1_25partition_config_selectorILNS1_17partition_subalgoE4EjNS0_10empty_typeEbEEZZNS1_14partition_implILS8_4ELb0ES6_15HIP_vector_typeIjLj2EENS0_17counting_iteratorIjlEEPS9_SG_NS0_5tupleIJPjSI_NS0_16reverse_iteratorISI_EEEEENSH_IJSG_SG_SG_EEES9_SI_JZNS1_25segmented_radix_sort_implINS0_14default_configELb1EPK12hip_bfloat16PSP_PKlPlN2at6native12_GLOBAL__N_18offset_tEEE10hipError_tPvRmT1_PNSt15iterator_traitsIS13_E10value_typeET2_T3_PNS14_IS19_E10value_typeET4_jRbjT5_S1F_jjP12ihipStream_tbEUljE_ZNSN_ISO_Lb1ESR_SS_SU_SV_SZ_EES10_S11_S12_S13_S17_S18_S19_S1C_S1D_jS1E_jS1F_S1F_jjS1H_bEUljE0_EEES10_S11_S12_S19_S1D_S1F_T6_T7_T9_mT8_S1H_bDpT10_ENKUlT_T0_E_clISt17integral_constantIbLb0EES1U_IbLb1EEEEDaS1Q_S1R_EUlS1Q_E_NS1_11comp_targetILNS1_3genE5ELNS1_11target_archE942ELNS1_3gpuE9ELNS1_3repE0EEENS1_30default_config_static_selectorELNS0_4arch9wavefront6targetE0EEEvS13_,"axG",@progbits,_ZN7rocprim17ROCPRIM_400000_NS6detail17trampoline_kernelINS0_13select_configILj256ELj13ELNS0_17block_load_methodE3ELS4_3ELS4_3ELNS0_20block_scan_algorithmE0ELj4294967295EEENS1_25partition_config_selectorILNS1_17partition_subalgoE4EjNS0_10empty_typeEbEEZZNS1_14partition_implILS8_4ELb0ES6_15HIP_vector_typeIjLj2EENS0_17counting_iteratorIjlEEPS9_SG_NS0_5tupleIJPjSI_NS0_16reverse_iteratorISI_EEEEENSH_IJSG_SG_SG_EEES9_SI_JZNS1_25segmented_radix_sort_implINS0_14default_configELb1EPK12hip_bfloat16PSP_PKlPlN2at6native12_GLOBAL__N_18offset_tEEE10hipError_tPvRmT1_PNSt15iterator_traitsIS13_E10value_typeET2_T3_PNS14_IS19_E10value_typeET4_jRbjT5_S1F_jjP12ihipStream_tbEUljE_ZNSN_ISO_Lb1ESR_SS_SU_SV_SZ_EES10_S11_S12_S13_S17_S18_S19_S1C_S1D_jS1E_jS1F_S1F_jjS1H_bEUljE0_EEES10_S11_S12_S19_S1D_S1F_T6_T7_T9_mT8_S1H_bDpT10_ENKUlT_T0_E_clISt17integral_constantIbLb0EES1U_IbLb1EEEEDaS1Q_S1R_EUlS1Q_E_NS1_11comp_targetILNS1_3genE5ELNS1_11target_archE942ELNS1_3gpuE9ELNS1_3repE0EEENS1_30default_config_static_selectorELNS0_4arch9wavefront6targetE0EEEvS13_,comdat
	.globl	_ZN7rocprim17ROCPRIM_400000_NS6detail17trampoline_kernelINS0_13select_configILj256ELj13ELNS0_17block_load_methodE3ELS4_3ELS4_3ELNS0_20block_scan_algorithmE0ELj4294967295EEENS1_25partition_config_selectorILNS1_17partition_subalgoE4EjNS0_10empty_typeEbEEZZNS1_14partition_implILS8_4ELb0ES6_15HIP_vector_typeIjLj2EENS0_17counting_iteratorIjlEEPS9_SG_NS0_5tupleIJPjSI_NS0_16reverse_iteratorISI_EEEEENSH_IJSG_SG_SG_EEES9_SI_JZNS1_25segmented_radix_sort_implINS0_14default_configELb1EPK12hip_bfloat16PSP_PKlPlN2at6native12_GLOBAL__N_18offset_tEEE10hipError_tPvRmT1_PNSt15iterator_traitsIS13_E10value_typeET2_T3_PNS14_IS19_E10value_typeET4_jRbjT5_S1F_jjP12ihipStream_tbEUljE_ZNSN_ISO_Lb1ESR_SS_SU_SV_SZ_EES10_S11_S12_S13_S17_S18_S19_S1C_S1D_jS1E_jS1F_S1F_jjS1H_bEUljE0_EEES10_S11_S12_S19_S1D_S1F_T6_T7_T9_mT8_S1H_bDpT10_ENKUlT_T0_E_clISt17integral_constantIbLb0EES1U_IbLb1EEEEDaS1Q_S1R_EUlS1Q_E_NS1_11comp_targetILNS1_3genE5ELNS1_11target_archE942ELNS1_3gpuE9ELNS1_3repE0EEENS1_30default_config_static_selectorELNS0_4arch9wavefront6targetE0EEEvS13_ ; -- Begin function _ZN7rocprim17ROCPRIM_400000_NS6detail17trampoline_kernelINS0_13select_configILj256ELj13ELNS0_17block_load_methodE3ELS4_3ELS4_3ELNS0_20block_scan_algorithmE0ELj4294967295EEENS1_25partition_config_selectorILNS1_17partition_subalgoE4EjNS0_10empty_typeEbEEZZNS1_14partition_implILS8_4ELb0ES6_15HIP_vector_typeIjLj2EENS0_17counting_iteratorIjlEEPS9_SG_NS0_5tupleIJPjSI_NS0_16reverse_iteratorISI_EEEEENSH_IJSG_SG_SG_EEES9_SI_JZNS1_25segmented_radix_sort_implINS0_14default_configELb1EPK12hip_bfloat16PSP_PKlPlN2at6native12_GLOBAL__N_18offset_tEEE10hipError_tPvRmT1_PNSt15iterator_traitsIS13_E10value_typeET2_T3_PNS14_IS19_E10value_typeET4_jRbjT5_S1F_jjP12ihipStream_tbEUljE_ZNSN_ISO_Lb1ESR_SS_SU_SV_SZ_EES10_S11_S12_S13_S17_S18_S19_S1C_S1D_jS1E_jS1F_S1F_jjS1H_bEUljE0_EEES10_S11_S12_S19_S1D_S1F_T6_T7_T9_mT8_S1H_bDpT10_ENKUlT_T0_E_clISt17integral_constantIbLb0EES1U_IbLb1EEEEDaS1Q_S1R_EUlS1Q_E_NS1_11comp_targetILNS1_3genE5ELNS1_11target_archE942ELNS1_3gpuE9ELNS1_3repE0EEENS1_30default_config_static_selectorELNS0_4arch9wavefront6targetE0EEEvS13_
	.p2align	8
	.type	_ZN7rocprim17ROCPRIM_400000_NS6detail17trampoline_kernelINS0_13select_configILj256ELj13ELNS0_17block_load_methodE3ELS4_3ELS4_3ELNS0_20block_scan_algorithmE0ELj4294967295EEENS1_25partition_config_selectorILNS1_17partition_subalgoE4EjNS0_10empty_typeEbEEZZNS1_14partition_implILS8_4ELb0ES6_15HIP_vector_typeIjLj2EENS0_17counting_iteratorIjlEEPS9_SG_NS0_5tupleIJPjSI_NS0_16reverse_iteratorISI_EEEEENSH_IJSG_SG_SG_EEES9_SI_JZNS1_25segmented_radix_sort_implINS0_14default_configELb1EPK12hip_bfloat16PSP_PKlPlN2at6native12_GLOBAL__N_18offset_tEEE10hipError_tPvRmT1_PNSt15iterator_traitsIS13_E10value_typeET2_T3_PNS14_IS19_E10value_typeET4_jRbjT5_S1F_jjP12ihipStream_tbEUljE_ZNSN_ISO_Lb1ESR_SS_SU_SV_SZ_EES10_S11_S12_S13_S17_S18_S19_S1C_S1D_jS1E_jS1F_S1F_jjS1H_bEUljE0_EEES10_S11_S12_S19_S1D_S1F_T6_T7_T9_mT8_S1H_bDpT10_ENKUlT_T0_E_clISt17integral_constantIbLb0EES1U_IbLb1EEEEDaS1Q_S1R_EUlS1Q_E_NS1_11comp_targetILNS1_3genE5ELNS1_11target_archE942ELNS1_3gpuE9ELNS1_3repE0EEENS1_30default_config_static_selectorELNS0_4arch9wavefront6targetE0EEEvS13_,@function
_ZN7rocprim17ROCPRIM_400000_NS6detail17trampoline_kernelINS0_13select_configILj256ELj13ELNS0_17block_load_methodE3ELS4_3ELS4_3ELNS0_20block_scan_algorithmE0ELj4294967295EEENS1_25partition_config_selectorILNS1_17partition_subalgoE4EjNS0_10empty_typeEbEEZZNS1_14partition_implILS8_4ELb0ES6_15HIP_vector_typeIjLj2EENS0_17counting_iteratorIjlEEPS9_SG_NS0_5tupleIJPjSI_NS0_16reverse_iteratorISI_EEEEENSH_IJSG_SG_SG_EEES9_SI_JZNS1_25segmented_radix_sort_implINS0_14default_configELb1EPK12hip_bfloat16PSP_PKlPlN2at6native12_GLOBAL__N_18offset_tEEE10hipError_tPvRmT1_PNSt15iterator_traitsIS13_E10value_typeET2_T3_PNS14_IS19_E10value_typeET4_jRbjT5_S1F_jjP12ihipStream_tbEUljE_ZNSN_ISO_Lb1ESR_SS_SU_SV_SZ_EES10_S11_S12_S13_S17_S18_S19_S1C_S1D_jS1E_jS1F_S1F_jjS1H_bEUljE0_EEES10_S11_S12_S19_S1D_S1F_T6_T7_T9_mT8_S1H_bDpT10_ENKUlT_T0_E_clISt17integral_constantIbLb0EES1U_IbLb1EEEEDaS1Q_S1R_EUlS1Q_E_NS1_11comp_targetILNS1_3genE5ELNS1_11target_archE942ELNS1_3gpuE9ELNS1_3repE0EEENS1_30default_config_static_selectorELNS0_4arch9wavefront6targetE0EEEvS13_: ; @_ZN7rocprim17ROCPRIM_400000_NS6detail17trampoline_kernelINS0_13select_configILj256ELj13ELNS0_17block_load_methodE3ELS4_3ELS4_3ELNS0_20block_scan_algorithmE0ELj4294967295EEENS1_25partition_config_selectorILNS1_17partition_subalgoE4EjNS0_10empty_typeEbEEZZNS1_14partition_implILS8_4ELb0ES6_15HIP_vector_typeIjLj2EENS0_17counting_iteratorIjlEEPS9_SG_NS0_5tupleIJPjSI_NS0_16reverse_iteratorISI_EEEEENSH_IJSG_SG_SG_EEES9_SI_JZNS1_25segmented_radix_sort_implINS0_14default_configELb1EPK12hip_bfloat16PSP_PKlPlN2at6native12_GLOBAL__N_18offset_tEEE10hipError_tPvRmT1_PNSt15iterator_traitsIS13_E10value_typeET2_T3_PNS14_IS19_E10value_typeET4_jRbjT5_S1F_jjP12ihipStream_tbEUljE_ZNSN_ISO_Lb1ESR_SS_SU_SV_SZ_EES10_S11_S12_S13_S17_S18_S19_S1C_S1D_jS1E_jS1F_S1F_jjS1H_bEUljE0_EEES10_S11_S12_S19_S1D_S1F_T6_T7_T9_mT8_S1H_bDpT10_ENKUlT_T0_E_clISt17integral_constantIbLb0EES1U_IbLb1EEEEDaS1Q_S1R_EUlS1Q_E_NS1_11comp_targetILNS1_3genE5ELNS1_11target_archE942ELNS1_3gpuE9ELNS1_3repE0EEENS1_30default_config_static_selectorELNS0_4arch9wavefront6targetE0EEEvS13_
; %bb.0:
	.section	.rodata,"a",@progbits
	.p2align	6, 0x0
	.amdhsa_kernel _ZN7rocprim17ROCPRIM_400000_NS6detail17trampoline_kernelINS0_13select_configILj256ELj13ELNS0_17block_load_methodE3ELS4_3ELS4_3ELNS0_20block_scan_algorithmE0ELj4294967295EEENS1_25partition_config_selectorILNS1_17partition_subalgoE4EjNS0_10empty_typeEbEEZZNS1_14partition_implILS8_4ELb0ES6_15HIP_vector_typeIjLj2EENS0_17counting_iteratorIjlEEPS9_SG_NS0_5tupleIJPjSI_NS0_16reverse_iteratorISI_EEEEENSH_IJSG_SG_SG_EEES9_SI_JZNS1_25segmented_radix_sort_implINS0_14default_configELb1EPK12hip_bfloat16PSP_PKlPlN2at6native12_GLOBAL__N_18offset_tEEE10hipError_tPvRmT1_PNSt15iterator_traitsIS13_E10value_typeET2_T3_PNS14_IS19_E10value_typeET4_jRbjT5_S1F_jjP12ihipStream_tbEUljE_ZNSN_ISO_Lb1ESR_SS_SU_SV_SZ_EES10_S11_S12_S13_S17_S18_S19_S1C_S1D_jS1E_jS1F_S1F_jjS1H_bEUljE0_EEES10_S11_S12_S19_S1D_S1F_T6_T7_T9_mT8_S1H_bDpT10_ENKUlT_T0_E_clISt17integral_constantIbLb0EES1U_IbLb1EEEEDaS1Q_S1R_EUlS1Q_E_NS1_11comp_targetILNS1_3genE5ELNS1_11target_archE942ELNS1_3gpuE9ELNS1_3repE0EEENS1_30default_config_static_selectorELNS0_4arch9wavefront6targetE0EEEvS13_
		.amdhsa_group_segment_fixed_size 0
		.amdhsa_private_segment_fixed_size 0
		.amdhsa_kernarg_size 184
		.amdhsa_user_sgpr_count 15
		.amdhsa_user_sgpr_dispatch_ptr 0
		.amdhsa_user_sgpr_queue_ptr 0
		.amdhsa_user_sgpr_kernarg_segment_ptr 1
		.amdhsa_user_sgpr_dispatch_id 0
		.amdhsa_user_sgpr_private_segment_size 0
		.amdhsa_wavefront_size32 1
		.amdhsa_uses_dynamic_stack 0
		.amdhsa_enable_private_segment 0
		.amdhsa_system_sgpr_workgroup_id_x 1
		.amdhsa_system_sgpr_workgroup_id_y 0
		.amdhsa_system_sgpr_workgroup_id_z 0
		.amdhsa_system_sgpr_workgroup_info 0
		.amdhsa_system_vgpr_workitem_id 0
		.amdhsa_next_free_vgpr 1
		.amdhsa_next_free_sgpr 1
		.amdhsa_reserve_vcc 0
		.amdhsa_float_round_mode_32 0
		.amdhsa_float_round_mode_16_64 0
		.amdhsa_float_denorm_mode_32 3
		.amdhsa_float_denorm_mode_16_64 3
		.amdhsa_dx10_clamp 1
		.amdhsa_ieee_mode 1
		.amdhsa_fp16_overflow 0
		.amdhsa_workgroup_processor_mode 1
		.amdhsa_memory_ordered 1
		.amdhsa_forward_progress 0
		.amdhsa_shared_vgpr_count 0
		.amdhsa_exception_fp_ieee_invalid_op 0
		.amdhsa_exception_fp_denorm_src 0
		.amdhsa_exception_fp_ieee_div_zero 0
		.amdhsa_exception_fp_ieee_overflow 0
		.amdhsa_exception_fp_ieee_underflow 0
		.amdhsa_exception_fp_ieee_inexact 0
		.amdhsa_exception_int_div_zero 0
	.end_amdhsa_kernel
	.section	.text._ZN7rocprim17ROCPRIM_400000_NS6detail17trampoline_kernelINS0_13select_configILj256ELj13ELNS0_17block_load_methodE3ELS4_3ELS4_3ELNS0_20block_scan_algorithmE0ELj4294967295EEENS1_25partition_config_selectorILNS1_17partition_subalgoE4EjNS0_10empty_typeEbEEZZNS1_14partition_implILS8_4ELb0ES6_15HIP_vector_typeIjLj2EENS0_17counting_iteratorIjlEEPS9_SG_NS0_5tupleIJPjSI_NS0_16reverse_iteratorISI_EEEEENSH_IJSG_SG_SG_EEES9_SI_JZNS1_25segmented_radix_sort_implINS0_14default_configELb1EPK12hip_bfloat16PSP_PKlPlN2at6native12_GLOBAL__N_18offset_tEEE10hipError_tPvRmT1_PNSt15iterator_traitsIS13_E10value_typeET2_T3_PNS14_IS19_E10value_typeET4_jRbjT5_S1F_jjP12ihipStream_tbEUljE_ZNSN_ISO_Lb1ESR_SS_SU_SV_SZ_EES10_S11_S12_S13_S17_S18_S19_S1C_S1D_jS1E_jS1F_S1F_jjS1H_bEUljE0_EEES10_S11_S12_S19_S1D_S1F_T6_T7_T9_mT8_S1H_bDpT10_ENKUlT_T0_E_clISt17integral_constantIbLb0EES1U_IbLb1EEEEDaS1Q_S1R_EUlS1Q_E_NS1_11comp_targetILNS1_3genE5ELNS1_11target_archE942ELNS1_3gpuE9ELNS1_3repE0EEENS1_30default_config_static_selectorELNS0_4arch9wavefront6targetE0EEEvS13_,"axG",@progbits,_ZN7rocprim17ROCPRIM_400000_NS6detail17trampoline_kernelINS0_13select_configILj256ELj13ELNS0_17block_load_methodE3ELS4_3ELS4_3ELNS0_20block_scan_algorithmE0ELj4294967295EEENS1_25partition_config_selectorILNS1_17partition_subalgoE4EjNS0_10empty_typeEbEEZZNS1_14partition_implILS8_4ELb0ES6_15HIP_vector_typeIjLj2EENS0_17counting_iteratorIjlEEPS9_SG_NS0_5tupleIJPjSI_NS0_16reverse_iteratorISI_EEEEENSH_IJSG_SG_SG_EEES9_SI_JZNS1_25segmented_radix_sort_implINS0_14default_configELb1EPK12hip_bfloat16PSP_PKlPlN2at6native12_GLOBAL__N_18offset_tEEE10hipError_tPvRmT1_PNSt15iterator_traitsIS13_E10value_typeET2_T3_PNS14_IS19_E10value_typeET4_jRbjT5_S1F_jjP12ihipStream_tbEUljE_ZNSN_ISO_Lb1ESR_SS_SU_SV_SZ_EES10_S11_S12_S13_S17_S18_S19_S1C_S1D_jS1E_jS1F_S1F_jjS1H_bEUljE0_EEES10_S11_S12_S19_S1D_S1F_T6_T7_T9_mT8_S1H_bDpT10_ENKUlT_T0_E_clISt17integral_constantIbLb0EES1U_IbLb1EEEEDaS1Q_S1R_EUlS1Q_E_NS1_11comp_targetILNS1_3genE5ELNS1_11target_archE942ELNS1_3gpuE9ELNS1_3repE0EEENS1_30default_config_static_selectorELNS0_4arch9wavefront6targetE0EEEvS13_,comdat
.Lfunc_end1907:
	.size	_ZN7rocprim17ROCPRIM_400000_NS6detail17trampoline_kernelINS0_13select_configILj256ELj13ELNS0_17block_load_methodE3ELS4_3ELS4_3ELNS0_20block_scan_algorithmE0ELj4294967295EEENS1_25partition_config_selectorILNS1_17partition_subalgoE4EjNS0_10empty_typeEbEEZZNS1_14partition_implILS8_4ELb0ES6_15HIP_vector_typeIjLj2EENS0_17counting_iteratorIjlEEPS9_SG_NS0_5tupleIJPjSI_NS0_16reverse_iteratorISI_EEEEENSH_IJSG_SG_SG_EEES9_SI_JZNS1_25segmented_radix_sort_implINS0_14default_configELb1EPK12hip_bfloat16PSP_PKlPlN2at6native12_GLOBAL__N_18offset_tEEE10hipError_tPvRmT1_PNSt15iterator_traitsIS13_E10value_typeET2_T3_PNS14_IS19_E10value_typeET4_jRbjT5_S1F_jjP12ihipStream_tbEUljE_ZNSN_ISO_Lb1ESR_SS_SU_SV_SZ_EES10_S11_S12_S13_S17_S18_S19_S1C_S1D_jS1E_jS1F_S1F_jjS1H_bEUljE0_EEES10_S11_S12_S19_S1D_S1F_T6_T7_T9_mT8_S1H_bDpT10_ENKUlT_T0_E_clISt17integral_constantIbLb0EES1U_IbLb1EEEEDaS1Q_S1R_EUlS1Q_E_NS1_11comp_targetILNS1_3genE5ELNS1_11target_archE942ELNS1_3gpuE9ELNS1_3repE0EEENS1_30default_config_static_selectorELNS0_4arch9wavefront6targetE0EEEvS13_, .Lfunc_end1907-_ZN7rocprim17ROCPRIM_400000_NS6detail17trampoline_kernelINS0_13select_configILj256ELj13ELNS0_17block_load_methodE3ELS4_3ELS4_3ELNS0_20block_scan_algorithmE0ELj4294967295EEENS1_25partition_config_selectorILNS1_17partition_subalgoE4EjNS0_10empty_typeEbEEZZNS1_14partition_implILS8_4ELb0ES6_15HIP_vector_typeIjLj2EENS0_17counting_iteratorIjlEEPS9_SG_NS0_5tupleIJPjSI_NS0_16reverse_iteratorISI_EEEEENSH_IJSG_SG_SG_EEES9_SI_JZNS1_25segmented_radix_sort_implINS0_14default_configELb1EPK12hip_bfloat16PSP_PKlPlN2at6native12_GLOBAL__N_18offset_tEEE10hipError_tPvRmT1_PNSt15iterator_traitsIS13_E10value_typeET2_T3_PNS14_IS19_E10value_typeET4_jRbjT5_S1F_jjP12ihipStream_tbEUljE_ZNSN_ISO_Lb1ESR_SS_SU_SV_SZ_EES10_S11_S12_S13_S17_S18_S19_S1C_S1D_jS1E_jS1F_S1F_jjS1H_bEUljE0_EEES10_S11_S12_S19_S1D_S1F_T6_T7_T9_mT8_S1H_bDpT10_ENKUlT_T0_E_clISt17integral_constantIbLb0EES1U_IbLb1EEEEDaS1Q_S1R_EUlS1Q_E_NS1_11comp_targetILNS1_3genE5ELNS1_11target_archE942ELNS1_3gpuE9ELNS1_3repE0EEENS1_30default_config_static_selectorELNS0_4arch9wavefront6targetE0EEEvS13_
                                        ; -- End function
	.section	.AMDGPU.csdata,"",@progbits
; Kernel info:
; codeLenInByte = 0
; NumSgprs: 0
; NumVgprs: 0
; ScratchSize: 0
; MemoryBound: 0
; FloatMode: 240
; IeeeMode: 1
; LDSByteSize: 0 bytes/workgroup (compile time only)
; SGPRBlocks: 0
; VGPRBlocks: 0
; NumSGPRsForWavesPerEU: 1
; NumVGPRsForWavesPerEU: 1
; Occupancy: 16
; WaveLimiterHint : 0
; COMPUTE_PGM_RSRC2:SCRATCH_EN: 0
; COMPUTE_PGM_RSRC2:USER_SGPR: 15
; COMPUTE_PGM_RSRC2:TRAP_HANDLER: 0
; COMPUTE_PGM_RSRC2:TGID_X_EN: 1
; COMPUTE_PGM_RSRC2:TGID_Y_EN: 0
; COMPUTE_PGM_RSRC2:TGID_Z_EN: 0
; COMPUTE_PGM_RSRC2:TIDIG_COMP_CNT: 0
	.section	.text._ZN7rocprim17ROCPRIM_400000_NS6detail17trampoline_kernelINS0_13select_configILj256ELj13ELNS0_17block_load_methodE3ELS4_3ELS4_3ELNS0_20block_scan_algorithmE0ELj4294967295EEENS1_25partition_config_selectorILNS1_17partition_subalgoE4EjNS0_10empty_typeEbEEZZNS1_14partition_implILS8_4ELb0ES6_15HIP_vector_typeIjLj2EENS0_17counting_iteratorIjlEEPS9_SG_NS0_5tupleIJPjSI_NS0_16reverse_iteratorISI_EEEEENSH_IJSG_SG_SG_EEES9_SI_JZNS1_25segmented_radix_sort_implINS0_14default_configELb1EPK12hip_bfloat16PSP_PKlPlN2at6native12_GLOBAL__N_18offset_tEEE10hipError_tPvRmT1_PNSt15iterator_traitsIS13_E10value_typeET2_T3_PNS14_IS19_E10value_typeET4_jRbjT5_S1F_jjP12ihipStream_tbEUljE_ZNSN_ISO_Lb1ESR_SS_SU_SV_SZ_EES10_S11_S12_S13_S17_S18_S19_S1C_S1D_jS1E_jS1F_S1F_jjS1H_bEUljE0_EEES10_S11_S12_S19_S1D_S1F_T6_T7_T9_mT8_S1H_bDpT10_ENKUlT_T0_E_clISt17integral_constantIbLb0EES1U_IbLb1EEEEDaS1Q_S1R_EUlS1Q_E_NS1_11comp_targetILNS1_3genE4ELNS1_11target_archE910ELNS1_3gpuE8ELNS1_3repE0EEENS1_30default_config_static_selectorELNS0_4arch9wavefront6targetE0EEEvS13_,"axG",@progbits,_ZN7rocprim17ROCPRIM_400000_NS6detail17trampoline_kernelINS0_13select_configILj256ELj13ELNS0_17block_load_methodE3ELS4_3ELS4_3ELNS0_20block_scan_algorithmE0ELj4294967295EEENS1_25partition_config_selectorILNS1_17partition_subalgoE4EjNS0_10empty_typeEbEEZZNS1_14partition_implILS8_4ELb0ES6_15HIP_vector_typeIjLj2EENS0_17counting_iteratorIjlEEPS9_SG_NS0_5tupleIJPjSI_NS0_16reverse_iteratorISI_EEEEENSH_IJSG_SG_SG_EEES9_SI_JZNS1_25segmented_radix_sort_implINS0_14default_configELb1EPK12hip_bfloat16PSP_PKlPlN2at6native12_GLOBAL__N_18offset_tEEE10hipError_tPvRmT1_PNSt15iterator_traitsIS13_E10value_typeET2_T3_PNS14_IS19_E10value_typeET4_jRbjT5_S1F_jjP12ihipStream_tbEUljE_ZNSN_ISO_Lb1ESR_SS_SU_SV_SZ_EES10_S11_S12_S13_S17_S18_S19_S1C_S1D_jS1E_jS1F_S1F_jjS1H_bEUljE0_EEES10_S11_S12_S19_S1D_S1F_T6_T7_T9_mT8_S1H_bDpT10_ENKUlT_T0_E_clISt17integral_constantIbLb0EES1U_IbLb1EEEEDaS1Q_S1R_EUlS1Q_E_NS1_11comp_targetILNS1_3genE4ELNS1_11target_archE910ELNS1_3gpuE8ELNS1_3repE0EEENS1_30default_config_static_selectorELNS0_4arch9wavefront6targetE0EEEvS13_,comdat
	.globl	_ZN7rocprim17ROCPRIM_400000_NS6detail17trampoline_kernelINS0_13select_configILj256ELj13ELNS0_17block_load_methodE3ELS4_3ELS4_3ELNS0_20block_scan_algorithmE0ELj4294967295EEENS1_25partition_config_selectorILNS1_17partition_subalgoE4EjNS0_10empty_typeEbEEZZNS1_14partition_implILS8_4ELb0ES6_15HIP_vector_typeIjLj2EENS0_17counting_iteratorIjlEEPS9_SG_NS0_5tupleIJPjSI_NS0_16reverse_iteratorISI_EEEEENSH_IJSG_SG_SG_EEES9_SI_JZNS1_25segmented_radix_sort_implINS0_14default_configELb1EPK12hip_bfloat16PSP_PKlPlN2at6native12_GLOBAL__N_18offset_tEEE10hipError_tPvRmT1_PNSt15iterator_traitsIS13_E10value_typeET2_T3_PNS14_IS19_E10value_typeET4_jRbjT5_S1F_jjP12ihipStream_tbEUljE_ZNSN_ISO_Lb1ESR_SS_SU_SV_SZ_EES10_S11_S12_S13_S17_S18_S19_S1C_S1D_jS1E_jS1F_S1F_jjS1H_bEUljE0_EEES10_S11_S12_S19_S1D_S1F_T6_T7_T9_mT8_S1H_bDpT10_ENKUlT_T0_E_clISt17integral_constantIbLb0EES1U_IbLb1EEEEDaS1Q_S1R_EUlS1Q_E_NS1_11comp_targetILNS1_3genE4ELNS1_11target_archE910ELNS1_3gpuE8ELNS1_3repE0EEENS1_30default_config_static_selectorELNS0_4arch9wavefront6targetE0EEEvS13_ ; -- Begin function _ZN7rocprim17ROCPRIM_400000_NS6detail17trampoline_kernelINS0_13select_configILj256ELj13ELNS0_17block_load_methodE3ELS4_3ELS4_3ELNS0_20block_scan_algorithmE0ELj4294967295EEENS1_25partition_config_selectorILNS1_17partition_subalgoE4EjNS0_10empty_typeEbEEZZNS1_14partition_implILS8_4ELb0ES6_15HIP_vector_typeIjLj2EENS0_17counting_iteratorIjlEEPS9_SG_NS0_5tupleIJPjSI_NS0_16reverse_iteratorISI_EEEEENSH_IJSG_SG_SG_EEES9_SI_JZNS1_25segmented_radix_sort_implINS0_14default_configELb1EPK12hip_bfloat16PSP_PKlPlN2at6native12_GLOBAL__N_18offset_tEEE10hipError_tPvRmT1_PNSt15iterator_traitsIS13_E10value_typeET2_T3_PNS14_IS19_E10value_typeET4_jRbjT5_S1F_jjP12ihipStream_tbEUljE_ZNSN_ISO_Lb1ESR_SS_SU_SV_SZ_EES10_S11_S12_S13_S17_S18_S19_S1C_S1D_jS1E_jS1F_S1F_jjS1H_bEUljE0_EEES10_S11_S12_S19_S1D_S1F_T6_T7_T9_mT8_S1H_bDpT10_ENKUlT_T0_E_clISt17integral_constantIbLb0EES1U_IbLb1EEEEDaS1Q_S1R_EUlS1Q_E_NS1_11comp_targetILNS1_3genE4ELNS1_11target_archE910ELNS1_3gpuE8ELNS1_3repE0EEENS1_30default_config_static_selectorELNS0_4arch9wavefront6targetE0EEEvS13_
	.p2align	8
	.type	_ZN7rocprim17ROCPRIM_400000_NS6detail17trampoline_kernelINS0_13select_configILj256ELj13ELNS0_17block_load_methodE3ELS4_3ELS4_3ELNS0_20block_scan_algorithmE0ELj4294967295EEENS1_25partition_config_selectorILNS1_17partition_subalgoE4EjNS0_10empty_typeEbEEZZNS1_14partition_implILS8_4ELb0ES6_15HIP_vector_typeIjLj2EENS0_17counting_iteratorIjlEEPS9_SG_NS0_5tupleIJPjSI_NS0_16reverse_iteratorISI_EEEEENSH_IJSG_SG_SG_EEES9_SI_JZNS1_25segmented_radix_sort_implINS0_14default_configELb1EPK12hip_bfloat16PSP_PKlPlN2at6native12_GLOBAL__N_18offset_tEEE10hipError_tPvRmT1_PNSt15iterator_traitsIS13_E10value_typeET2_T3_PNS14_IS19_E10value_typeET4_jRbjT5_S1F_jjP12ihipStream_tbEUljE_ZNSN_ISO_Lb1ESR_SS_SU_SV_SZ_EES10_S11_S12_S13_S17_S18_S19_S1C_S1D_jS1E_jS1F_S1F_jjS1H_bEUljE0_EEES10_S11_S12_S19_S1D_S1F_T6_T7_T9_mT8_S1H_bDpT10_ENKUlT_T0_E_clISt17integral_constantIbLb0EES1U_IbLb1EEEEDaS1Q_S1R_EUlS1Q_E_NS1_11comp_targetILNS1_3genE4ELNS1_11target_archE910ELNS1_3gpuE8ELNS1_3repE0EEENS1_30default_config_static_selectorELNS0_4arch9wavefront6targetE0EEEvS13_,@function
_ZN7rocprim17ROCPRIM_400000_NS6detail17trampoline_kernelINS0_13select_configILj256ELj13ELNS0_17block_load_methodE3ELS4_3ELS4_3ELNS0_20block_scan_algorithmE0ELj4294967295EEENS1_25partition_config_selectorILNS1_17partition_subalgoE4EjNS0_10empty_typeEbEEZZNS1_14partition_implILS8_4ELb0ES6_15HIP_vector_typeIjLj2EENS0_17counting_iteratorIjlEEPS9_SG_NS0_5tupleIJPjSI_NS0_16reverse_iteratorISI_EEEEENSH_IJSG_SG_SG_EEES9_SI_JZNS1_25segmented_radix_sort_implINS0_14default_configELb1EPK12hip_bfloat16PSP_PKlPlN2at6native12_GLOBAL__N_18offset_tEEE10hipError_tPvRmT1_PNSt15iterator_traitsIS13_E10value_typeET2_T3_PNS14_IS19_E10value_typeET4_jRbjT5_S1F_jjP12ihipStream_tbEUljE_ZNSN_ISO_Lb1ESR_SS_SU_SV_SZ_EES10_S11_S12_S13_S17_S18_S19_S1C_S1D_jS1E_jS1F_S1F_jjS1H_bEUljE0_EEES10_S11_S12_S19_S1D_S1F_T6_T7_T9_mT8_S1H_bDpT10_ENKUlT_T0_E_clISt17integral_constantIbLb0EES1U_IbLb1EEEEDaS1Q_S1R_EUlS1Q_E_NS1_11comp_targetILNS1_3genE4ELNS1_11target_archE910ELNS1_3gpuE8ELNS1_3repE0EEENS1_30default_config_static_selectorELNS0_4arch9wavefront6targetE0EEEvS13_: ; @_ZN7rocprim17ROCPRIM_400000_NS6detail17trampoline_kernelINS0_13select_configILj256ELj13ELNS0_17block_load_methodE3ELS4_3ELS4_3ELNS0_20block_scan_algorithmE0ELj4294967295EEENS1_25partition_config_selectorILNS1_17partition_subalgoE4EjNS0_10empty_typeEbEEZZNS1_14partition_implILS8_4ELb0ES6_15HIP_vector_typeIjLj2EENS0_17counting_iteratorIjlEEPS9_SG_NS0_5tupleIJPjSI_NS0_16reverse_iteratorISI_EEEEENSH_IJSG_SG_SG_EEES9_SI_JZNS1_25segmented_radix_sort_implINS0_14default_configELb1EPK12hip_bfloat16PSP_PKlPlN2at6native12_GLOBAL__N_18offset_tEEE10hipError_tPvRmT1_PNSt15iterator_traitsIS13_E10value_typeET2_T3_PNS14_IS19_E10value_typeET4_jRbjT5_S1F_jjP12ihipStream_tbEUljE_ZNSN_ISO_Lb1ESR_SS_SU_SV_SZ_EES10_S11_S12_S13_S17_S18_S19_S1C_S1D_jS1E_jS1F_S1F_jjS1H_bEUljE0_EEES10_S11_S12_S19_S1D_S1F_T6_T7_T9_mT8_S1H_bDpT10_ENKUlT_T0_E_clISt17integral_constantIbLb0EES1U_IbLb1EEEEDaS1Q_S1R_EUlS1Q_E_NS1_11comp_targetILNS1_3genE4ELNS1_11target_archE910ELNS1_3gpuE8ELNS1_3repE0EEENS1_30default_config_static_selectorELNS0_4arch9wavefront6targetE0EEEvS13_
; %bb.0:
	.section	.rodata,"a",@progbits
	.p2align	6, 0x0
	.amdhsa_kernel _ZN7rocprim17ROCPRIM_400000_NS6detail17trampoline_kernelINS0_13select_configILj256ELj13ELNS0_17block_load_methodE3ELS4_3ELS4_3ELNS0_20block_scan_algorithmE0ELj4294967295EEENS1_25partition_config_selectorILNS1_17partition_subalgoE4EjNS0_10empty_typeEbEEZZNS1_14partition_implILS8_4ELb0ES6_15HIP_vector_typeIjLj2EENS0_17counting_iteratorIjlEEPS9_SG_NS0_5tupleIJPjSI_NS0_16reverse_iteratorISI_EEEEENSH_IJSG_SG_SG_EEES9_SI_JZNS1_25segmented_radix_sort_implINS0_14default_configELb1EPK12hip_bfloat16PSP_PKlPlN2at6native12_GLOBAL__N_18offset_tEEE10hipError_tPvRmT1_PNSt15iterator_traitsIS13_E10value_typeET2_T3_PNS14_IS19_E10value_typeET4_jRbjT5_S1F_jjP12ihipStream_tbEUljE_ZNSN_ISO_Lb1ESR_SS_SU_SV_SZ_EES10_S11_S12_S13_S17_S18_S19_S1C_S1D_jS1E_jS1F_S1F_jjS1H_bEUljE0_EEES10_S11_S12_S19_S1D_S1F_T6_T7_T9_mT8_S1H_bDpT10_ENKUlT_T0_E_clISt17integral_constantIbLb0EES1U_IbLb1EEEEDaS1Q_S1R_EUlS1Q_E_NS1_11comp_targetILNS1_3genE4ELNS1_11target_archE910ELNS1_3gpuE8ELNS1_3repE0EEENS1_30default_config_static_selectorELNS0_4arch9wavefront6targetE0EEEvS13_
		.amdhsa_group_segment_fixed_size 0
		.amdhsa_private_segment_fixed_size 0
		.amdhsa_kernarg_size 184
		.amdhsa_user_sgpr_count 15
		.amdhsa_user_sgpr_dispatch_ptr 0
		.amdhsa_user_sgpr_queue_ptr 0
		.amdhsa_user_sgpr_kernarg_segment_ptr 1
		.amdhsa_user_sgpr_dispatch_id 0
		.amdhsa_user_sgpr_private_segment_size 0
		.amdhsa_wavefront_size32 1
		.amdhsa_uses_dynamic_stack 0
		.amdhsa_enable_private_segment 0
		.amdhsa_system_sgpr_workgroup_id_x 1
		.amdhsa_system_sgpr_workgroup_id_y 0
		.amdhsa_system_sgpr_workgroup_id_z 0
		.amdhsa_system_sgpr_workgroup_info 0
		.amdhsa_system_vgpr_workitem_id 0
		.amdhsa_next_free_vgpr 1
		.amdhsa_next_free_sgpr 1
		.amdhsa_reserve_vcc 0
		.amdhsa_float_round_mode_32 0
		.amdhsa_float_round_mode_16_64 0
		.amdhsa_float_denorm_mode_32 3
		.amdhsa_float_denorm_mode_16_64 3
		.amdhsa_dx10_clamp 1
		.amdhsa_ieee_mode 1
		.amdhsa_fp16_overflow 0
		.amdhsa_workgroup_processor_mode 1
		.amdhsa_memory_ordered 1
		.amdhsa_forward_progress 0
		.amdhsa_shared_vgpr_count 0
		.amdhsa_exception_fp_ieee_invalid_op 0
		.amdhsa_exception_fp_denorm_src 0
		.amdhsa_exception_fp_ieee_div_zero 0
		.amdhsa_exception_fp_ieee_overflow 0
		.amdhsa_exception_fp_ieee_underflow 0
		.amdhsa_exception_fp_ieee_inexact 0
		.amdhsa_exception_int_div_zero 0
	.end_amdhsa_kernel
	.section	.text._ZN7rocprim17ROCPRIM_400000_NS6detail17trampoline_kernelINS0_13select_configILj256ELj13ELNS0_17block_load_methodE3ELS4_3ELS4_3ELNS0_20block_scan_algorithmE0ELj4294967295EEENS1_25partition_config_selectorILNS1_17partition_subalgoE4EjNS0_10empty_typeEbEEZZNS1_14partition_implILS8_4ELb0ES6_15HIP_vector_typeIjLj2EENS0_17counting_iteratorIjlEEPS9_SG_NS0_5tupleIJPjSI_NS0_16reverse_iteratorISI_EEEEENSH_IJSG_SG_SG_EEES9_SI_JZNS1_25segmented_radix_sort_implINS0_14default_configELb1EPK12hip_bfloat16PSP_PKlPlN2at6native12_GLOBAL__N_18offset_tEEE10hipError_tPvRmT1_PNSt15iterator_traitsIS13_E10value_typeET2_T3_PNS14_IS19_E10value_typeET4_jRbjT5_S1F_jjP12ihipStream_tbEUljE_ZNSN_ISO_Lb1ESR_SS_SU_SV_SZ_EES10_S11_S12_S13_S17_S18_S19_S1C_S1D_jS1E_jS1F_S1F_jjS1H_bEUljE0_EEES10_S11_S12_S19_S1D_S1F_T6_T7_T9_mT8_S1H_bDpT10_ENKUlT_T0_E_clISt17integral_constantIbLb0EES1U_IbLb1EEEEDaS1Q_S1R_EUlS1Q_E_NS1_11comp_targetILNS1_3genE4ELNS1_11target_archE910ELNS1_3gpuE8ELNS1_3repE0EEENS1_30default_config_static_selectorELNS0_4arch9wavefront6targetE0EEEvS13_,"axG",@progbits,_ZN7rocprim17ROCPRIM_400000_NS6detail17trampoline_kernelINS0_13select_configILj256ELj13ELNS0_17block_load_methodE3ELS4_3ELS4_3ELNS0_20block_scan_algorithmE0ELj4294967295EEENS1_25partition_config_selectorILNS1_17partition_subalgoE4EjNS0_10empty_typeEbEEZZNS1_14partition_implILS8_4ELb0ES6_15HIP_vector_typeIjLj2EENS0_17counting_iteratorIjlEEPS9_SG_NS0_5tupleIJPjSI_NS0_16reverse_iteratorISI_EEEEENSH_IJSG_SG_SG_EEES9_SI_JZNS1_25segmented_radix_sort_implINS0_14default_configELb1EPK12hip_bfloat16PSP_PKlPlN2at6native12_GLOBAL__N_18offset_tEEE10hipError_tPvRmT1_PNSt15iterator_traitsIS13_E10value_typeET2_T3_PNS14_IS19_E10value_typeET4_jRbjT5_S1F_jjP12ihipStream_tbEUljE_ZNSN_ISO_Lb1ESR_SS_SU_SV_SZ_EES10_S11_S12_S13_S17_S18_S19_S1C_S1D_jS1E_jS1F_S1F_jjS1H_bEUljE0_EEES10_S11_S12_S19_S1D_S1F_T6_T7_T9_mT8_S1H_bDpT10_ENKUlT_T0_E_clISt17integral_constantIbLb0EES1U_IbLb1EEEEDaS1Q_S1R_EUlS1Q_E_NS1_11comp_targetILNS1_3genE4ELNS1_11target_archE910ELNS1_3gpuE8ELNS1_3repE0EEENS1_30default_config_static_selectorELNS0_4arch9wavefront6targetE0EEEvS13_,comdat
.Lfunc_end1908:
	.size	_ZN7rocprim17ROCPRIM_400000_NS6detail17trampoline_kernelINS0_13select_configILj256ELj13ELNS0_17block_load_methodE3ELS4_3ELS4_3ELNS0_20block_scan_algorithmE0ELj4294967295EEENS1_25partition_config_selectorILNS1_17partition_subalgoE4EjNS0_10empty_typeEbEEZZNS1_14partition_implILS8_4ELb0ES6_15HIP_vector_typeIjLj2EENS0_17counting_iteratorIjlEEPS9_SG_NS0_5tupleIJPjSI_NS0_16reverse_iteratorISI_EEEEENSH_IJSG_SG_SG_EEES9_SI_JZNS1_25segmented_radix_sort_implINS0_14default_configELb1EPK12hip_bfloat16PSP_PKlPlN2at6native12_GLOBAL__N_18offset_tEEE10hipError_tPvRmT1_PNSt15iterator_traitsIS13_E10value_typeET2_T3_PNS14_IS19_E10value_typeET4_jRbjT5_S1F_jjP12ihipStream_tbEUljE_ZNSN_ISO_Lb1ESR_SS_SU_SV_SZ_EES10_S11_S12_S13_S17_S18_S19_S1C_S1D_jS1E_jS1F_S1F_jjS1H_bEUljE0_EEES10_S11_S12_S19_S1D_S1F_T6_T7_T9_mT8_S1H_bDpT10_ENKUlT_T0_E_clISt17integral_constantIbLb0EES1U_IbLb1EEEEDaS1Q_S1R_EUlS1Q_E_NS1_11comp_targetILNS1_3genE4ELNS1_11target_archE910ELNS1_3gpuE8ELNS1_3repE0EEENS1_30default_config_static_selectorELNS0_4arch9wavefront6targetE0EEEvS13_, .Lfunc_end1908-_ZN7rocprim17ROCPRIM_400000_NS6detail17trampoline_kernelINS0_13select_configILj256ELj13ELNS0_17block_load_methodE3ELS4_3ELS4_3ELNS0_20block_scan_algorithmE0ELj4294967295EEENS1_25partition_config_selectorILNS1_17partition_subalgoE4EjNS0_10empty_typeEbEEZZNS1_14partition_implILS8_4ELb0ES6_15HIP_vector_typeIjLj2EENS0_17counting_iteratorIjlEEPS9_SG_NS0_5tupleIJPjSI_NS0_16reverse_iteratorISI_EEEEENSH_IJSG_SG_SG_EEES9_SI_JZNS1_25segmented_radix_sort_implINS0_14default_configELb1EPK12hip_bfloat16PSP_PKlPlN2at6native12_GLOBAL__N_18offset_tEEE10hipError_tPvRmT1_PNSt15iterator_traitsIS13_E10value_typeET2_T3_PNS14_IS19_E10value_typeET4_jRbjT5_S1F_jjP12ihipStream_tbEUljE_ZNSN_ISO_Lb1ESR_SS_SU_SV_SZ_EES10_S11_S12_S13_S17_S18_S19_S1C_S1D_jS1E_jS1F_S1F_jjS1H_bEUljE0_EEES10_S11_S12_S19_S1D_S1F_T6_T7_T9_mT8_S1H_bDpT10_ENKUlT_T0_E_clISt17integral_constantIbLb0EES1U_IbLb1EEEEDaS1Q_S1R_EUlS1Q_E_NS1_11comp_targetILNS1_3genE4ELNS1_11target_archE910ELNS1_3gpuE8ELNS1_3repE0EEENS1_30default_config_static_selectorELNS0_4arch9wavefront6targetE0EEEvS13_
                                        ; -- End function
	.section	.AMDGPU.csdata,"",@progbits
; Kernel info:
; codeLenInByte = 0
; NumSgprs: 0
; NumVgprs: 0
; ScratchSize: 0
; MemoryBound: 0
; FloatMode: 240
; IeeeMode: 1
; LDSByteSize: 0 bytes/workgroup (compile time only)
; SGPRBlocks: 0
; VGPRBlocks: 0
; NumSGPRsForWavesPerEU: 1
; NumVGPRsForWavesPerEU: 1
; Occupancy: 16
; WaveLimiterHint : 0
; COMPUTE_PGM_RSRC2:SCRATCH_EN: 0
; COMPUTE_PGM_RSRC2:USER_SGPR: 15
; COMPUTE_PGM_RSRC2:TRAP_HANDLER: 0
; COMPUTE_PGM_RSRC2:TGID_X_EN: 1
; COMPUTE_PGM_RSRC2:TGID_Y_EN: 0
; COMPUTE_PGM_RSRC2:TGID_Z_EN: 0
; COMPUTE_PGM_RSRC2:TIDIG_COMP_CNT: 0
	.section	.text._ZN7rocprim17ROCPRIM_400000_NS6detail17trampoline_kernelINS0_13select_configILj256ELj13ELNS0_17block_load_methodE3ELS4_3ELS4_3ELNS0_20block_scan_algorithmE0ELj4294967295EEENS1_25partition_config_selectorILNS1_17partition_subalgoE4EjNS0_10empty_typeEbEEZZNS1_14partition_implILS8_4ELb0ES6_15HIP_vector_typeIjLj2EENS0_17counting_iteratorIjlEEPS9_SG_NS0_5tupleIJPjSI_NS0_16reverse_iteratorISI_EEEEENSH_IJSG_SG_SG_EEES9_SI_JZNS1_25segmented_radix_sort_implINS0_14default_configELb1EPK12hip_bfloat16PSP_PKlPlN2at6native12_GLOBAL__N_18offset_tEEE10hipError_tPvRmT1_PNSt15iterator_traitsIS13_E10value_typeET2_T3_PNS14_IS19_E10value_typeET4_jRbjT5_S1F_jjP12ihipStream_tbEUljE_ZNSN_ISO_Lb1ESR_SS_SU_SV_SZ_EES10_S11_S12_S13_S17_S18_S19_S1C_S1D_jS1E_jS1F_S1F_jjS1H_bEUljE0_EEES10_S11_S12_S19_S1D_S1F_T6_T7_T9_mT8_S1H_bDpT10_ENKUlT_T0_E_clISt17integral_constantIbLb0EES1U_IbLb1EEEEDaS1Q_S1R_EUlS1Q_E_NS1_11comp_targetILNS1_3genE3ELNS1_11target_archE908ELNS1_3gpuE7ELNS1_3repE0EEENS1_30default_config_static_selectorELNS0_4arch9wavefront6targetE0EEEvS13_,"axG",@progbits,_ZN7rocprim17ROCPRIM_400000_NS6detail17trampoline_kernelINS0_13select_configILj256ELj13ELNS0_17block_load_methodE3ELS4_3ELS4_3ELNS0_20block_scan_algorithmE0ELj4294967295EEENS1_25partition_config_selectorILNS1_17partition_subalgoE4EjNS0_10empty_typeEbEEZZNS1_14partition_implILS8_4ELb0ES6_15HIP_vector_typeIjLj2EENS0_17counting_iteratorIjlEEPS9_SG_NS0_5tupleIJPjSI_NS0_16reverse_iteratorISI_EEEEENSH_IJSG_SG_SG_EEES9_SI_JZNS1_25segmented_radix_sort_implINS0_14default_configELb1EPK12hip_bfloat16PSP_PKlPlN2at6native12_GLOBAL__N_18offset_tEEE10hipError_tPvRmT1_PNSt15iterator_traitsIS13_E10value_typeET2_T3_PNS14_IS19_E10value_typeET4_jRbjT5_S1F_jjP12ihipStream_tbEUljE_ZNSN_ISO_Lb1ESR_SS_SU_SV_SZ_EES10_S11_S12_S13_S17_S18_S19_S1C_S1D_jS1E_jS1F_S1F_jjS1H_bEUljE0_EEES10_S11_S12_S19_S1D_S1F_T6_T7_T9_mT8_S1H_bDpT10_ENKUlT_T0_E_clISt17integral_constantIbLb0EES1U_IbLb1EEEEDaS1Q_S1R_EUlS1Q_E_NS1_11comp_targetILNS1_3genE3ELNS1_11target_archE908ELNS1_3gpuE7ELNS1_3repE0EEENS1_30default_config_static_selectorELNS0_4arch9wavefront6targetE0EEEvS13_,comdat
	.globl	_ZN7rocprim17ROCPRIM_400000_NS6detail17trampoline_kernelINS0_13select_configILj256ELj13ELNS0_17block_load_methodE3ELS4_3ELS4_3ELNS0_20block_scan_algorithmE0ELj4294967295EEENS1_25partition_config_selectorILNS1_17partition_subalgoE4EjNS0_10empty_typeEbEEZZNS1_14partition_implILS8_4ELb0ES6_15HIP_vector_typeIjLj2EENS0_17counting_iteratorIjlEEPS9_SG_NS0_5tupleIJPjSI_NS0_16reverse_iteratorISI_EEEEENSH_IJSG_SG_SG_EEES9_SI_JZNS1_25segmented_radix_sort_implINS0_14default_configELb1EPK12hip_bfloat16PSP_PKlPlN2at6native12_GLOBAL__N_18offset_tEEE10hipError_tPvRmT1_PNSt15iterator_traitsIS13_E10value_typeET2_T3_PNS14_IS19_E10value_typeET4_jRbjT5_S1F_jjP12ihipStream_tbEUljE_ZNSN_ISO_Lb1ESR_SS_SU_SV_SZ_EES10_S11_S12_S13_S17_S18_S19_S1C_S1D_jS1E_jS1F_S1F_jjS1H_bEUljE0_EEES10_S11_S12_S19_S1D_S1F_T6_T7_T9_mT8_S1H_bDpT10_ENKUlT_T0_E_clISt17integral_constantIbLb0EES1U_IbLb1EEEEDaS1Q_S1R_EUlS1Q_E_NS1_11comp_targetILNS1_3genE3ELNS1_11target_archE908ELNS1_3gpuE7ELNS1_3repE0EEENS1_30default_config_static_selectorELNS0_4arch9wavefront6targetE0EEEvS13_ ; -- Begin function _ZN7rocprim17ROCPRIM_400000_NS6detail17trampoline_kernelINS0_13select_configILj256ELj13ELNS0_17block_load_methodE3ELS4_3ELS4_3ELNS0_20block_scan_algorithmE0ELj4294967295EEENS1_25partition_config_selectorILNS1_17partition_subalgoE4EjNS0_10empty_typeEbEEZZNS1_14partition_implILS8_4ELb0ES6_15HIP_vector_typeIjLj2EENS0_17counting_iteratorIjlEEPS9_SG_NS0_5tupleIJPjSI_NS0_16reverse_iteratorISI_EEEEENSH_IJSG_SG_SG_EEES9_SI_JZNS1_25segmented_radix_sort_implINS0_14default_configELb1EPK12hip_bfloat16PSP_PKlPlN2at6native12_GLOBAL__N_18offset_tEEE10hipError_tPvRmT1_PNSt15iterator_traitsIS13_E10value_typeET2_T3_PNS14_IS19_E10value_typeET4_jRbjT5_S1F_jjP12ihipStream_tbEUljE_ZNSN_ISO_Lb1ESR_SS_SU_SV_SZ_EES10_S11_S12_S13_S17_S18_S19_S1C_S1D_jS1E_jS1F_S1F_jjS1H_bEUljE0_EEES10_S11_S12_S19_S1D_S1F_T6_T7_T9_mT8_S1H_bDpT10_ENKUlT_T0_E_clISt17integral_constantIbLb0EES1U_IbLb1EEEEDaS1Q_S1R_EUlS1Q_E_NS1_11comp_targetILNS1_3genE3ELNS1_11target_archE908ELNS1_3gpuE7ELNS1_3repE0EEENS1_30default_config_static_selectorELNS0_4arch9wavefront6targetE0EEEvS13_
	.p2align	8
	.type	_ZN7rocprim17ROCPRIM_400000_NS6detail17trampoline_kernelINS0_13select_configILj256ELj13ELNS0_17block_load_methodE3ELS4_3ELS4_3ELNS0_20block_scan_algorithmE0ELj4294967295EEENS1_25partition_config_selectorILNS1_17partition_subalgoE4EjNS0_10empty_typeEbEEZZNS1_14partition_implILS8_4ELb0ES6_15HIP_vector_typeIjLj2EENS0_17counting_iteratorIjlEEPS9_SG_NS0_5tupleIJPjSI_NS0_16reverse_iteratorISI_EEEEENSH_IJSG_SG_SG_EEES9_SI_JZNS1_25segmented_radix_sort_implINS0_14default_configELb1EPK12hip_bfloat16PSP_PKlPlN2at6native12_GLOBAL__N_18offset_tEEE10hipError_tPvRmT1_PNSt15iterator_traitsIS13_E10value_typeET2_T3_PNS14_IS19_E10value_typeET4_jRbjT5_S1F_jjP12ihipStream_tbEUljE_ZNSN_ISO_Lb1ESR_SS_SU_SV_SZ_EES10_S11_S12_S13_S17_S18_S19_S1C_S1D_jS1E_jS1F_S1F_jjS1H_bEUljE0_EEES10_S11_S12_S19_S1D_S1F_T6_T7_T9_mT8_S1H_bDpT10_ENKUlT_T0_E_clISt17integral_constantIbLb0EES1U_IbLb1EEEEDaS1Q_S1R_EUlS1Q_E_NS1_11comp_targetILNS1_3genE3ELNS1_11target_archE908ELNS1_3gpuE7ELNS1_3repE0EEENS1_30default_config_static_selectorELNS0_4arch9wavefront6targetE0EEEvS13_,@function
_ZN7rocprim17ROCPRIM_400000_NS6detail17trampoline_kernelINS0_13select_configILj256ELj13ELNS0_17block_load_methodE3ELS4_3ELS4_3ELNS0_20block_scan_algorithmE0ELj4294967295EEENS1_25partition_config_selectorILNS1_17partition_subalgoE4EjNS0_10empty_typeEbEEZZNS1_14partition_implILS8_4ELb0ES6_15HIP_vector_typeIjLj2EENS0_17counting_iteratorIjlEEPS9_SG_NS0_5tupleIJPjSI_NS0_16reverse_iteratorISI_EEEEENSH_IJSG_SG_SG_EEES9_SI_JZNS1_25segmented_radix_sort_implINS0_14default_configELb1EPK12hip_bfloat16PSP_PKlPlN2at6native12_GLOBAL__N_18offset_tEEE10hipError_tPvRmT1_PNSt15iterator_traitsIS13_E10value_typeET2_T3_PNS14_IS19_E10value_typeET4_jRbjT5_S1F_jjP12ihipStream_tbEUljE_ZNSN_ISO_Lb1ESR_SS_SU_SV_SZ_EES10_S11_S12_S13_S17_S18_S19_S1C_S1D_jS1E_jS1F_S1F_jjS1H_bEUljE0_EEES10_S11_S12_S19_S1D_S1F_T6_T7_T9_mT8_S1H_bDpT10_ENKUlT_T0_E_clISt17integral_constantIbLb0EES1U_IbLb1EEEEDaS1Q_S1R_EUlS1Q_E_NS1_11comp_targetILNS1_3genE3ELNS1_11target_archE908ELNS1_3gpuE7ELNS1_3repE0EEENS1_30default_config_static_selectorELNS0_4arch9wavefront6targetE0EEEvS13_: ; @_ZN7rocprim17ROCPRIM_400000_NS6detail17trampoline_kernelINS0_13select_configILj256ELj13ELNS0_17block_load_methodE3ELS4_3ELS4_3ELNS0_20block_scan_algorithmE0ELj4294967295EEENS1_25partition_config_selectorILNS1_17partition_subalgoE4EjNS0_10empty_typeEbEEZZNS1_14partition_implILS8_4ELb0ES6_15HIP_vector_typeIjLj2EENS0_17counting_iteratorIjlEEPS9_SG_NS0_5tupleIJPjSI_NS0_16reverse_iteratorISI_EEEEENSH_IJSG_SG_SG_EEES9_SI_JZNS1_25segmented_radix_sort_implINS0_14default_configELb1EPK12hip_bfloat16PSP_PKlPlN2at6native12_GLOBAL__N_18offset_tEEE10hipError_tPvRmT1_PNSt15iterator_traitsIS13_E10value_typeET2_T3_PNS14_IS19_E10value_typeET4_jRbjT5_S1F_jjP12ihipStream_tbEUljE_ZNSN_ISO_Lb1ESR_SS_SU_SV_SZ_EES10_S11_S12_S13_S17_S18_S19_S1C_S1D_jS1E_jS1F_S1F_jjS1H_bEUljE0_EEES10_S11_S12_S19_S1D_S1F_T6_T7_T9_mT8_S1H_bDpT10_ENKUlT_T0_E_clISt17integral_constantIbLb0EES1U_IbLb1EEEEDaS1Q_S1R_EUlS1Q_E_NS1_11comp_targetILNS1_3genE3ELNS1_11target_archE908ELNS1_3gpuE7ELNS1_3repE0EEENS1_30default_config_static_selectorELNS0_4arch9wavefront6targetE0EEEvS13_
; %bb.0:
	.section	.rodata,"a",@progbits
	.p2align	6, 0x0
	.amdhsa_kernel _ZN7rocprim17ROCPRIM_400000_NS6detail17trampoline_kernelINS0_13select_configILj256ELj13ELNS0_17block_load_methodE3ELS4_3ELS4_3ELNS0_20block_scan_algorithmE0ELj4294967295EEENS1_25partition_config_selectorILNS1_17partition_subalgoE4EjNS0_10empty_typeEbEEZZNS1_14partition_implILS8_4ELb0ES6_15HIP_vector_typeIjLj2EENS0_17counting_iteratorIjlEEPS9_SG_NS0_5tupleIJPjSI_NS0_16reverse_iteratorISI_EEEEENSH_IJSG_SG_SG_EEES9_SI_JZNS1_25segmented_radix_sort_implINS0_14default_configELb1EPK12hip_bfloat16PSP_PKlPlN2at6native12_GLOBAL__N_18offset_tEEE10hipError_tPvRmT1_PNSt15iterator_traitsIS13_E10value_typeET2_T3_PNS14_IS19_E10value_typeET4_jRbjT5_S1F_jjP12ihipStream_tbEUljE_ZNSN_ISO_Lb1ESR_SS_SU_SV_SZ_EES10_S11_S12_S13_S17_S18_S19_S1C_S1D_jS1E_jS1F_S1F_jjS1H_bEUljE0_EEES10_S11_S12_S19_S1D_S1F_T6_T7_T9_mT8_S1H_bDpT10_ENKUlT_T0_E_clISt17integral_constantIbLb0EES1U_IbLb1EEEEDaS1Q_S1R_EUlS1Q_E_NS1_11comp_targetILNS1_3genE3ELNS1_11target_archE908ELNS1_3gpuE7ELNS1_3repE0EEENS1_30default_config_static_selectorELNS0_4arch9wavefront6targetE0EEEvS13_
		.amdhsa_group_segment_fixed_size 0
		.amdhsa_private_segment_fixed_size 0
		.amdhsa_kernarg_size 184
		.amdhsa_user_sgpr_count 15
		.amdhsa_user_sgpr_dispatch_ptr 0
		.amdhsa_user_sgpr_queue_ptr 0
		.amdhsa_user_sgpr_kernarg_segment_ptr 1
		.amdhsa_user_sgpr_dispatch_id 0
		.amdhsa_user_sgpr_private_segment_size 0
		.amdhsa_wavefront_size32 1
		.amdhsa_uses_dynamic_stack 0
		.amdhsa_enable_private_segment 0
		.amdhsa_system_sgpr_workgroup_id_x 1
		.amdhsa_system_sgpr_workgroup_id_y 0
		.amdhsa_system_sgpr_workgroup_id_z 0
		.amdhsa_system_sgpr_workgroup_info 0
		.amdhsa_system_vgpr_workitem_id 0
		.amdhsa_next_free_vgpr 1
		.amdhsa_next_free_sgpr 1
		.amdhsa_reserve_vcc 0
		.amdhsa_float_round_mode_32 0
		.amdhsa_float_round_mode_16_64 0
		.amdhsa_float_denorm_mode_32 3
		.amdhsa_float_denorm_mode_16_64 3
		.amdhsa_dx10_clamp 1
		.amdhsa_ieee_mode 1
		.amdhsa_fp16_overflow 0
		.amdhsa_workgroup_processor_mode 1
		.amdhsa_memory_ordered 1
		.amdhsa_forward_progress 0
		.amdhsa_shared_vgpr_count 0
		.amdhsa_exception_fp_ieee_invalid_op 0
		.amdhsa_exception_fp_denorm_src 0
		.amdhsa_exception_fp_ieee_div_zero 0
		.amdhsa_exception_fp_ieee_overflow 0
		.amdhsa_exception_fp_ieee_underflow 0
		.amdhsa_exception_fp_ieee_inexact 0
		.amdhsa_exception_int_div_zero 0
	.end_amdhsa_kernel
	.section	.text._ZN7rocprim17ROCPRIM_400000_NS6detail17trampoline_kernelINS0_13select_configILj256ELj13ELNS0_17block_load_methodE3ELS4_3ELS4_3ELNS0_20block_scan_algorithmE0ELj4294967295EEENS1_25partition_config_selectorILNS1_17partition_subalgoE4EjNS0_10empty_typeEbEEZZNS1_14partition_implILS8_4ELb0ES6_15HIP_vector_typeIjLj2EENS0_17counting_iteratorIjlEEPS9_SG_NS0_5tupleIJPjSI_NS0_16reverse_iteratorISI_EEEEENSH_IJSG_SG_SG_EEES9_SI_JZNS1_25segmented_radix_sort_implINS0_14default_configELb1EPK12hip_bfloat16PSP_PKlPlN2at6native12_GLOBAL__N_18offset_tEEE10hipError_tPvRmT1_PNSt15iterator_traitsIS13_E10value_typeET2_T3_PNS14_IS19_E10value_typeET4_jRbjT5_S1F_jjP12ihipStream_tbEUljE_ZNSN_ISO_Lb1ESR_SS_SU_SV_SZ_EES10_S11_S12_S13_S17_S18_S19_S1C_S1D_jS1E_jS1F_S1F_jjS1H_bEUljE0_EEES10_S11_S12_S19_S1D_S1F_T6_T7_T9_mT8_S1H_bDpT10_ENKUlT_T0_E_clISt17integral_constantIbLb0EES1U_IbLb1EEEEDaS1Q_S1R_EUlS1Q_E_NS1_11comp_targetILNS1_3genE3ELNS1_11target_archE908ELNS1_3gpuE7ELNS1_3repE0EEENS1_30default_config_static_selectorELNS0_4arch9wavefront6targetE0EEEvS13_,"axG",@progbits,_ZN7rocprim17ROCPRIM_400000_NS6detail17trampoline_kernelINS0_13select_configILj256ELj13ELNS0_17block_load_methodE3ELS4_3ELS4_3ELNS0_20block_scan_algorithmE0ELj4294967295EEENS1_25partition_config_selectorILNS1_17partition_subalgoE4EjNS0_10empty_typeEbEEZZNS1_14partition_implILS8_4ELb0ES6_15HIP_vector_typeIjLj2EENS0_17counting_iteratorIjlEEPS9_SG_NS0_5tupleIJPjSI_NS0_16reverse_iteratorISI_EEEEENSH_IJSG_SG_SG_EEES9_SI_JZNS1_25segmented_radix_sort_implINS0_14default_configELb1EPK12hip_bfloat16PSP_PKlPlN2at6native12_GLOBAL__N_18offset_tEEE10hipError_tPvRmT1_PNSt15iterator_traitsIS13_E10value_typeET2_T3_PNS14_IS19_E10value_typeET4_jRbjT5_S1F_jjP12ihipStream_tbEUljE_ZNSN_ISO_Lb1ESR_SS_SU_SV_SZ_EES10_S11_S12_S13_S17_S18_S19_S1C_S1D_jS1E_jS1F_S1F_jjS1H_bEUljE0_EEES10_S11_S12_S19_S1D_S1F_T6_T7_T9_mT8_S1H_bDpT10_ENKUlT_T0_E_clISt17integral_constantIbLb0EES1U_IbLb1EEEEDaS1Q_S1R_EUlS1Q_E_NS1_11comp_targetILNS1_3genE3ELNS1_11target_archE908ELNS1_3gpuE7ELNS1_3repE0EEENS1_30default_config_static_selectorELNS0_4arch9wavefront6targetE0EEEvS13_,comdat
.Lfunc_end1909:
	.size	_ZN7rocprim17ROCPRIM_400000_NS6detail17trampoline_kernelINS0_13select_configILj256ELj13ELNS0_17block_load_methodE3ELS4_3ELS4_3ELNS0_20block_scan_algorithmE0ELj4294967295EEENS1_25partition_config_selectorILNS1_17partition_subalgoE4EjNS0_10empty_typeEbEEZZNS1_14partition_implILS8_4ELb0ES6_15HIP_vector_typeIjLj2EENS0_17counting_iteratorIjlEEPS9_SG_NS0_5tupleIJPjSI_NS0_16reverse_iteratorISI_EEEEENSH_IJSG_SG_SG_EEES9_SI_JZNS1_25segmented_radix_sort_implINS0_14default_configELb1EPK12hip_bfloat16PSP_PKlPlN2at6native12_GLOBAL__N_18offset_tEEE10hipError_tPvRmT1_PNSt15iterator_traitsIS13_E10value_typeET2_T3_PNS14_IS19_E10value_typeET4_jRbjT5_S1F_jjP12ihipStream_tbEUljE_ZNSN_ISO_Lb1ESR_SS_SU_SV_SZ_EES10_S11_S12_S13_S17_S18_S19_S1C_S1D_jS1E_jS1F_S1F_jjS1H_bEUljE0_EEES10_S11_S12_S19_S1D_S1F_T6_T7_T9_mT8_S1H_bDpT10_ENKUlT_T0_E_clISt17integral_constantIbLb0EES1U_IbLb1EEEEDaS1Q_S1R_EUlS1Q_E_NS1_11comp_targetILNS1_3genE3ELNS1_11target_archE908ELNS1_3gpuE7ELNS1_3repE0EEENS1_30default_config_static_selectorELNS0_4arch9wavefront6targetE0EEEvS13_, .Lfunc_end1909-_ZN7rocprim17ROCPRIM_400000_NS6detail17trampoline_kernelINS0_13select_configILj256ELj13ELNS0_17block_load_methodE3ELS4_3ELS4_3ELNS0_20block_scan_algorithmE0ELj4294967295EEENS1_25partition_config_selectorILNS1_17partition_subalgoE4EjNS0_10empty_typeEbEEZZNS1_14partition_implILS8_4ELb0ES6_15HIP_vector_typeIjLj2EENS0_17counting_iteratorIjlEEPS9_SG_NS0_5tupleIJPjSI_NS0_16reverse_iteratorISI_EEEEENSH_IJSG_SG_SG_EEES9_SI_JZNS1_25segmented_radix_sort_implINS0_14default_configELb1EPK12hip_bfloat16PSP_PKlPlN2at6native12_GLOBAL__N_18offset_tEEE10hipError_tPvRmT1_PNSt15iterator_traitsIS13_E10value_typeET2_T3_PNS14_IS19_E10value_typeET4_jRbjT5_S1F_jjP12ihipStream_tbEUljE_ZNSN_ISO_Lb1ESR_SS_SU_SV_SZ_EES10_S11_S12_S13_S17_S18_S19_S1C_S1D_jS1E_jS1F_S1F_jjS1H_bEUljE0_EEES10_S11_S12_S19_S1D_S1F_T6_T7_T9_mT8_S1H_bDpT10_ENKUlT_T0_E_clISt17integral_constantIbLb0EES1U_IbLb1EEEEDaS1Q_S1R_EUlS1Q_E_NS1_11comp_targetILNS1_3genE3ELNS1_11target_archE908ELNS1_3gpuE7ELNS1_3repE0EEENS1_30default_config_static_selectorELNS0_4arch9wavefront6targetE0EEEvS13_
                                        ; -- End function
	.section	.AMDGPU.csdata,"",@progbits
; Kernel info:
; codeLenInByte = 0
; NumSgprs: 0
; NumVgprs: 0
; ScratchSize: 0
; MemoryBound: 0
; FloatMode: 240
; IeeeMode: 1
; LDSByteSize: 0 bytes/workgroup (compile time only)
; SGPRBlocks: 0
; VGPRBlocks: 0
; NumSGPRsForWavesPerEU: 1
; NumVGPRsForWavesPerEU: 1
; Occupancy: 16
; WaveLimiterHint : 0
; COMPUTE_PGM_RSRC2:SCRATCH_EN: 0
; COMPUTE_PGM_RSRC2:USER_SGPR: 15
; COMPUTE_PGM_RSRC2:TRAP_HANDLER: 0
; COMPUTE_PGM_RSRC2:TGID_X_EN: 1
; COMPUTE_PGM_RSRC2:TGID_Y_EN: 0
; COMPUTE_PGM_RSRC2:TGID_Z_EN: 0
; COMPUTE_PGM_RSRC2:TIDIG_COMP_CNT: 0
	.section	.text._ZN7rocprim17ROCPRIM_400000_NS6detail17trampoline_kernelINS0_13select_configILj256ELj13ELNS0_17block_load_methodE3ELS4_3ELS4_3ELNS0_20block_scan_algorithmE0ELj4294967295EEENS1_25partition_config_selectorILNS1_17partition_subalgoE4EjNS0_10empty_typeEbEEZZNS1_14partition_implILS8_4ELb0ES6_15HIP_vector_typeIjLj2EENS0_17counting_iteratorIjlEEPS9_SG_NS0_5tupleIJPjSI_NS0_16reverse_iteratorISI_EEEEENSH_IJSG_SG_SG_EEES9_SI_JZNS1_25segmented_radix_sort_implINS0_14default_configELb1EPK12hip_bfloat16PSP_PKlPlN2at6native12_GLOBAL__N_18offset_tEEE10hipError_tPvRmT1_PNSt15iterator_traitsIS13_E10value_typeET2_T3_PNS14_IS19_E10value_typeET4_jRbjT5_S1F_jjP12ihipStream_tbEUljE_ZNSN_ISO_Lb1ESR_SS_SU_SV_SZ_EES10_S11_S12_S13_S17_S18_S19_S1C_S1D_jS1E_jS1F_S1F_jjS1H_bEUljE0_EEES10_S11_S12_S19_S1D_S1F_T6_T7_T9_mT8_S1H_bDpT10_ENKUlT_T0_E_clISt17integral_constantIbLb0EES1U_IbLb1EEEEDaS1Q_S1R_EUlS1Q_E_NS1_11comp_targetILNS1_3genE2ELNS1_11target_archE906ELNS1_3gpuE6ELNS1_3repE0EEENS1_30default_config_static_selectorELNS0_4arch9wavefront6targetE0EEEvS13_,"axG",@progbits,_ZN7rocprim17ROCPRIM_400000_NS6detail17trampoline_kernelINS0_13select_configILj256ELj13ELNS0_17block_load_methodE3ELS4_3ELS4_3ELNS0_20block_scan_algorithmE0ELj4294967295EEENS1_25partition_config_selectorILNS1_17partition_subalgoE4EjNS0_10empty_typeEbEEZZNS1_14partition_implILS8_4ELb0ES6_15HIP_vector_typeIjLj2EENS0_17counting_iteratorIjlEEPS9_SG_NS0_5tupleIJPjSI_NS0_16reverse_iteratorISI_EEEEENSH_IJSG_SG_SG_EEES9_SI_JZNS1_25segmented_radix_sort_implINS0_14default_configELb1EPK12hip_bfloat16PSP_PKlPlN2at6native12_GLOBAL__N_18offset_tEEE10hipError_tPvRmT1_PNSt15iterator_traitsIS13_E10value_typeET2_T3_PNS14_IS19_E10value_typeET4_jRbjT5_S1F_jjP12ihipStream_tbEUljE_ZNSN_ISO_Lb1ESR_SS_SU_SV_SZ_EES10_S11_S12_S13_S17_S18_S19_S1C_S1D_jS1E_jS1F_S1F_jjS1H_bEUljE0_EEES10_S11_S12_S19_S1D_S1F_T6_T7_T9_mT8_S1H_bDpT10_ENKUlT_T0_E_clISt17integral_constantIbLb0EES1U_IbLb1EEEEDaS1Q_S1R_EUlS1Q_E_NS1_11comp_targetILNS1_3genE2ELNS1_11target_archE906ELNS1_3gpuE6ELNS1_3repE0EEENS1_30default_config_static_selectorELNS0_4arch9wavefront6targetE0EEEvS13_,comdat
	.globl	_ZN7rocprim17ROCPRIM_400000_NS6detail17trampoline_kernelINS0_13select_configILj256ELj13ELNS0_17block_load_methodE3ELS4_3ELS4_3ELNS0_20block_scan_algorithmE0ELj4294967295EEENS1_25partition_config_selectorILNS1_17partition_subalgoE4EjNS0_10empty_typeEbEEZZNS1_14partition_implILS8_4ELb0ES6_15HIP_vector_typeIjLj2EENS0_17counting_iteratorIjlEEPS9_SG_NS0_5tupleIJPjSI_NS0_16reverse_iteratorISI_EEEEENSH_IJSG_SG_SG_EEES9_SI_JZNS1_25segmented_radix_sort_implINS0_14default_configELb1EPK12hip_bfloat16PSP_PKlPlN2at6native12_GLOBAL__N_18offset_tEEE10hipError_tPvRmT1_PNSt15iterator_traitsIS13_E10value_typeET2_T3_PNS14_IS19_E10value_typeET4_jRbjT5_S1F_jjP12ihipStream_tbEUljE_ZNSN_ISO_Lb1ESR_SS_SU_SV_SZ_EES10_S11_S12_S13_S17_S18_S19_S1C_S1D_jS1E_jS1F_S1F_jjS1H_bEUljE0_EEES10_S11_S12_S19_S1D_S1F_T6_T7_T9_mT8_S1H_bDpT10_ENKUlT_T0_E_clISt17integral_constantIbLb0EES1U_IbLb1EEEEDaS1Q_S1R_EUlS1Q_E_NS1_11comp_targetILNS1_3genE2ELNS1_11target_archE906ELNS1_3gpuE6ELNS1_3repE0EEENS1_30default_config_static_selectorELNS0_4arch9wavefront6targetE0EEEvS13_ ; -- Begin function _ZN7rocprim17ROCPRIM_400000_NS6detail17trampoline_kernelINS0_13select_configILj256ELj13ELNS0_17block_load_methodE3ELS4_3ELS4_3ELNS0_20block_scan_algorithmE0ELj4294967295EEENS1_25partition_config_selectorILNS1_17partition_subalgoE4EjNS0_10empty_typeEbEEZZNS1_14partition_implILS8_4ELb0ES6_15HIP_vector_typeIjLj2EENS0_17counting_iteratorIjlEEPS9_SG_NS0_5tupleIJPjSI_NS0_16reverse_iteratorISI_EEEEENSH_IJSG_SG_SG_EEES9_SI_JZNS1_25segmented_radix_sort_implINS0_14default_configELb1EPK12hip_bfloat16PSP_PKlPlN2at6native12_GLOBAL__N_18offset_tEEE10hipError_tPvRmT1_PNSt15iterator_traitsIS13_E10value_typeET2_T3_PNS14_IS19_E10value_typeET4_jRbjT5_S1F_jjP12ihipStream_tbEUljE_ZNSN_ISO_Lb1ESR_SS_SU_SV_SZ_EES10_S11_S12_S13_S17_S18_S19_S1C_S1D_jS1E_jS1F_S1F_jjS1H_bEUljE0_EEES10_S11_S12_S19_S1D_S1F_T6_T7_T9_mT8_S1H_bDpT10_ENKUlT_T0_E_clISt17integral_constantIbLb0EES1U_IbLb1EEEEDaS1Q_S1R_EUlS1Q_E_NS1_11comp_targetILNS1_3genE2ELNS1_11target_archE906ELNS1_3gpuE6ELNS1_3repE0EEENS1_30default_config_static_selectorELNS0_4arch9wavefront6targetE0EEEvS13_
	.p2align	8
	.type	_ZN7rocprim17ROCPRIM_400000_NS6detail17trampoline_kernelINS0_13select_configILj256ELj13ELNS0_17block_load_methodE3ELS4_3ELS4_3ELNS0_20block_scan_algorithmE0ELj4294967295EEENS1_25partition_config_selectorILNS1_17partition_subalgoE4EjNS0_10empty_typeEbEEZZNS1_14partition_implILS8_4ELb0ES6_15HIP_vector_typeIjLj2EENS0_17counting_iteratorIjlEEPS9_SG_NS0_5tupleIJPjSI_NS0_16reverse_iteratorISI_EEEEENSH_IJSG_SG_SG_EEES9_SI_JZNS1_25segmented_radix_sort_implINS0_14default_configELb1EPK12hip_bfloat16PSP_PKlPlN2at6native12_GLOBAL__N_18offset_tEEE10hipError_tPvRmT1_PNSt15iterator_traitsIS13_E10value_typeET2_T3_PNS14_IS19_E10value_typeET4_jRbjT5_S1F_jjP12ihipStream_tbEUljE_ZNSN_ISO_Lb1ESR_SS_SU_SV_SZ_EES10_S11_S12_S13_S17_S18_S19_S1C_S1D_jS1E_jS1F_S1F_jjS1H_bEUljE0_EEES10_S11_S12_S19_S1D_S1F_T6_T7_T9_mT8_S1H_bDpT10_ENKUlT_T0_E_clISt17integral_constantIbLb0EES1U_IbLb1EEEEDaS1Q_S1R_EUlS1Q_E_NS1_11comp_targetILNS1_3genE2ELNS1_11target_archE906ELNS1_3gpuE6ELNS1_3repE0EEENS1_30default_config_static_selectorELNS0_4arch9wavefront6targetE0EEEvS13_,@function
_ZN7rocprim17ROCPRIM_400000_NS6detail17trampoline_kernelINS0_13select_configILj256ELj13ELNS0_17block_load_methodE3ELS4_3ELS4_3ELNS0_20block_scan_algorithmE0ELj4294967295EEENS1_25partition_config_selectorILNS1_17partition_subalgoE4EjNS0_10empty_typeEbEEZZNS1_14partition_implILS8_4ELb0ES6_15HIP_vector_typeIjLj2EENS0_17counting_iteratorIjlEEPS9_SG_NS0_5tupleIJPjSI_NS0_16reverse_iteratorISI_EEEEENSH_IJSG_SG_SG_EEES9_SI_JZNS1_25segmented_radix_sort_implINS0_14default_configELb1EPK12hip_bfloat16PSP_PKlPlN2at6native12_GLOBAL__N_18offset_tEEE10hipError_tPvRmT1_PNSt15iterator_traitsIS13_E10value_typeET2_T3_PNS14_IS19_E10value_typeET4_jRbjT5_S1F_jjP12ihipStream_tbEUljE_ZNSN_ISO_Lb1ESR_SS_SU_SV_SZ_EES10_S11_S12_S13_S17_S18_S19_S1C_S1D_jS1E_jS1F_S1F_jjS1H_bEUljE0_EEES10_S11_S12_S19_S1D_S1F_T6_T7_T9_mT8_S1H_bDpT10_ENKUlT_T0_E_clISt17integral_constantIbLb0EES1U_IbLb1EEEEDaS1Q_S1R_EUlS1Q_E_NS1_11comp_targetILNS1_3genE2ELNS1_11target_archE906ELNS1_3gpuE6ELNS1_3repE0EEENS1_30default_config_static_selectorELNS0_4arch9wavefront6targetE0EEEvS13_: ; @_ZN7rocprim17ROCPRIM_400000_NS6detail17trampoline_kernelINS0_13select_configILj256ELj13ELNS0_17block_load_methodE3ELS4_3ELS4_3ELNS0_20block_scan_algorithmE0ELj4294967295EEENS1_25partition_config_selectorILNS1_17partition_subalgoE4EjNS0_10empty_typeEbEEZZNS1_14partition_implILS8_4ELb0ES6_15HIP_vector_typeIjLj2EENS0_17counting_iteratorIjlEEPS9_SG_NS0_5tupleIJPjSI_NS0_16reverse_iteratorISI_EEEEENSH_IJSG_SG_SG_EEES9_SI_JZNS1_25segmented_radix_sort_implINS0_14default_configELb1EPK12hip_bfloat16PSP_PKlPlN2at6native12_GLOBAL__N_18offset_tEEE10hipError_tPvRmT1_PNSt15iterator_traitsIS13_E10value_typeET2_T3_PNS14_IS19_E10value_typeET4_jRbjT5_S1F_jjP12ihipStream_tbEUljE_ZNSN_ISO_Lb1ESR_SS_SU_SV_SZ_EES10_S11_S12_S13_S17_S18_S19_S1C_S1D_jS1E_jS1F_S1F_jjS1H_bEUljE0_EEES10_S11_S12_S19_S1D_S1F_T6_T7_T9_mT8_S1H_bDpT10_ENKUlT_T0_E_clISt17integral_constantIbLb0EES1U_IbLb1EEEEDaS1Q_S1R_EUlS1Q_E_NS1_11comp_targetILNS1_3genE2ELNS1_11target_archE906ELNS1_3gpuE6ELNS1_3repE0EEENS1_30default_config_static_selectorELNS0_4arch9wavefront6targetE0EEEvS13_
; %bb.0:
	.section	.rodata,"a",@progbits
	.p2align	6, 0x0
	.amdhsa_kernel _ZN7rocprim17ROCPRIM_400000_NS6detail17trampoline_kernelINS0_13select_configILj256ELj13ELNS0_17block_load_methodE3ELS4_3ELS4_3ELNS0_20block_scan_algorithmE0ELj4294967295EEENS1_25partition_config_selectorILNS1_17partition_subalgoE4EjNS0_10empty_typeEbEEZZNS1_14partition_implILS8_4ELb0ES6_15HIP_vector_typeIjLj2EENS0_17counting_iteratorIjlEEPS9_SG_NS0_5tupleIJPjSI_NS0_16reverse_iteratorISI_EEEEENSH_IJSG_SG_SG_EEES9_SI_JZNS1_25segmented_radix_sort_implINS0_14default_configELb1EPK12hip_bfloat16PSP_PKlPlN2at6native12_GLOBAL__N_18offset_tEEE10hipError_tPvRmT1_PNSt15iterator_traitsIS13_E10value_typeET2_T3_PNS14_IS19_E10value_typeET4_jRbjT5_S1F_jjP12ihipStream_tbEUljE_ZNSN_ISO_Lb1ESR_SS_SU_SV_SZ_EES10_S11_S12_S13_S17_S18_S19_S1C_S1D_jS1E_jS1F_S1F_jjS1H_bEUljE0_EEES10_S11_S12_S19_S1D_S1F_T6_T7_T9_mT8_S1H_bDpT10_ENKUlT_T0_E_clISt17integral_constantIbLb0EES1U_IbLb1EEEEDaS1Q_S1R_EUlS1Q_E_NS1_11comp_targetILNS1_3genE2ELNS1_11target_archE906ELNS1_3gpuE6ELNS1_3repE0EEENS1_30default_config_static_selectorELNS0_4arch9wavefront6targetE0EEEvS13_
		.amdhsa_group_segment_fixed_size 0
		.amdhsa_private_segment_fixed_size 0
		.amdhsa_kernarg_size 184
		.amdhsa_user_sgpr_count 15
		.amdhsa_user_sgpr_dispatch_ptr 0
		.amdhsa_user_sgpr_queue_ptr 0
		.amdhsa_user_sgpr_kernarg_segment_ptr 1
		.amdhsa_user_sgpr_dispatch_id 0
		.amdhsa_user_sgpr_private_segment_size 0
		.amdhsa_wavefront_size32 1
		.amdhsa_uses_dynamic_stack 0
		.amdhsa_enable_private_segment 0
		.amdhsa_system_sgpr_workgroup_id_x 1
		.amdhsa_system_sgpr_workgroup_id_y 0
		.amdhsa_system_sgpr_workgroup_id_z 0
		.amdhsa_system_sgpr_workgroup_info 0
		.amdhsa_system_vgpr_workitem_id 0
		.amdhsa_next_free_vgpr 1
		.amdhsa_next_free_sgpr 1
		.amdhsa_reserve_vcc 0
		.amdhsa_float_round_mode_32 0
		.amdhsa_float_round_mode_16_64 0
		.amdhsa_float_denorm_mode_32 3
		.amdhsa_float_denorm_mode_16_64 3
		.amdhsa_dx10_clamp 1
		.amdhsa_ieee_mode 1
		.amdhsa_fp16_overflow 0
		.amdhsa_workgroup_processor_mode 1
		.amdhsa_memory_ordered 1
		.amdhsa_forward_progress 0
		.amdhsa_shared_vgpr_count 0
		.amdhsa_exception_fp_ieee_invalid_op 0
		.amdhsa_exception_fp_denorm_src 0
		.amdhsa_exception_fp_ieee_div_zero 0
		.amdhsa_exception_fp_ieee_overflow 0
		.amdhsa_exception_fp_ieee_underflow 0
		.amdhsa_exception_fp_ieee_inexact 0
		.amdhsa_exception_int_div_zero 0
	.end_amdhsa_kernel
	.section	.text._ZN7rocprim17ROCPRIM_400000_NS6detail17trampoline_kernelINS0_13select_configILj256ELj13ELNS0_17block_load_methodE3ELS4_3ELS4_3ELNS0_20block_scan_algorithmE0ELj4294967295EEENS1_25partition_config_selectorILNS1_17partition_subalgoE4EjNS0_10empty_typeEbEEZZNS1_14partition_implILS8_4ELb0ES6_15HIP_vector_typeIjLj2EENS0_17counting_iteratorIjlEEPS9_SG_NS0_5tupleIJPjSI_NS0_16reverse_iteratorISI_EEEEENSH_IJSG_SG_SG_EEES9_SI_JZNS1_25segmented_radix_sort_implINS0_14default_configELb1EPK12hip_bfloat16PSP_PKlPlN2at6native12_GLOBAL__N_18offset_tEEE10hipError_tPvRmT1_PNSt15iterator_traitsIS13_E10value_typeET2_T3_PNS14_IS19_E10value_typeET4_jRbjT5_S1F_jjP12ihipStream_tbEUljE_ZNSN_ISO_Lb1ESR_SS_SU_SV_SZ_EES10_S11_S12_S13_S17_S18_S19_S1C_S1D_jS1E_jS1F_S1F_jjS1H_bEUljE0_EEES10_S11_S12_S19_S1D_S1F_T6_T7_T9_mT8_S1H_bDpT10_ENKUlT_T0_E_clISt17integral_constantIbLb0EES1U_IbLb1EEEEDaS1Q_S1R_EUlS1Q_E_NS1_11comp_targetILNS1_3genE2ELNS1_11target_archE906ELNS1_3gpuE6ELNS1_3repE0EEENS1_30default_config_static_selectorELNS0_4arch9wavefront6targetE0EEEvS13_,"axG",@progbits,_ZN7rocprim17ROCPRIM_400000_NS6detail17trampoline_kernelINS0_13select_configILj256ELj13ELNS0_17block_load_methodE3ELS4_3ELS4_3ELNS0_20block_scan_algorithmE0ELj4294967295EEENS1_25partition_config_selectorILNS1_17partition_subalgoE4EjNS0_10empty_typeEbEEZZNS1_14partition_implILS8_4ELb0ES6_15HIP_vector_typeIjLj2EENS0_17counting_iteratorIjlEEPS9_SG_NS0_5tupleIJPjSI_NS0_16reverse_iteratorISI_EEEEENSH_IJSG_SG_SG_EEES9_SI_JZNS1_25segmented_radix_sort_implINS0_14default_configELb1EPK12hip_bfloat16PSP_PKlPlN2at6native12_GLOBAL__N_18offset_tEEE10hipError_tPvRmT1_PNSt15iterator_traitsIS13_E10value_typeET2_T3_PNS14_IS19_E10value_typeET4_jRbjT5_S1F_jjP12ihipStream_tbEUljE_ZNSN_ISO_Lb1ESR_SS_SU_SV_SZ_EES10_S11_S12_S13_S17_S18_S19_S1C_S1D_jS1E_jS1F_S1F_jjS1H_bEUljE0_EEES10_S11_S12_S19_S1D_S1F_T6_T7_T9_mT8_S1H_bDpT10_ENKUlT_T0_E_clISt17integral_constantIbLb0EES1U_IbLb1EEEEDaS1Q_S1R_EUlS1Q_E_NS1_11comp_targetILNS1_3genE2ELNS1_11target_archE906ELNS1_3gpuE6ELNS1_3repE0EEENS1_30default_config_static_selectorELNS0_4arch9wavefront6targetE0EEEvS13_,comdat
.Lfunc_end1910:
	.size	_ZN7rocprim17ROCPRIM_400000_NS6detail17trampoline_kernelINS0_13select_configILj256ELj13ELNS0_17block_load_methodE3ELS4_3ELS4_3ELNS0_20block_scan_algorithmE0ELj4294967295EEENS1_25partition_config_selectorILNS1_17partition_subalgoE4EjNS0_10empty_typeEbEEZZNS1_14partition_implILS8_4ELb0ES6_15HIP_vector_typeIjLj2EENS0_17counting_iteratorIjlEEPS9_SG_NS0_5tupleIJPjSI_NS0_16reverse_iteratorISI_EEEEENSH_IJSG_SG_SG_EEES9_SI_JZNS1_25segmented_radix_sort_implINS0_14default_configELb1EPK12hip_bfloat16PSP_PKlPlN2at6native12_GLOBAL__N_18offset_tEEE10hipError_tPvRmT1_PNSt15iterator_traitsIS13_E10value_typeET2_T3_PNS14_IS19_E10value_typeET4_jRbjT5_S1F_jjP12ihipStream_tbEUljE_ZNSN_ISO_Lb1ESR_SS_SU_SV_SZ_EES10_S11_S12_S13_S17_S18_S19_S1C_S1D_jS1E_jS1F_S1F_jjS1H_bEUljE0_EEES10_S11_S12_S19_S1D_S1F_T6_T7_T9_mT8_S1H_bDpT10_ENKUlT_T0_E_clISt17integral_constantIbLb0EES1U_IbLb1EEEEDaS1Q_S1R_EUlS1Q_E_NS1_11comp_targetILNS1_3genE2ELNS1_11target_archE906ELNS1_3gpuE6ELNS1_3repE0EEENS1_30default_config_static_selectorELNS0_4arch9wavefront6targetE0EEEvS13_, .Lfunc_end1910-_ZN7rocprim17ROCPRIM_400000_NS6detail17trampoline_kernelINS0_13select_configILj256ELj13ELNS0_17block_load_methodE3ELS4_3ELS4_3ELNS0_20block_scan_algorithmE0ELj4294967295EEENS1_25partition_config_selectorILNS1_17partition_subalgoE4EjNS0_10empty_typeEbEEZZNS1_14partition_implILS8_4ELb0ES6_15HIP_vector_typeIjLj2EENS0_17counting_iteratorIjlEEPS9_SG_NS0_5tupleIJPjSI_NS0_16reverse_iteratorISI_EEEEENSH_IJSG_SG_SG_EEES9_SI_JZNS1_25segmented_radix_sort_implINS0_14default_configELb1EPK12hip_bfloat16PSP_PKlPlN2at6native12_GLOBAL__N_18offset_tEEE10hipError_tPvRmT1_PNSt15iterator_traitsIS13_E10value_typeET2_T3_PNS14_IS19_E10value_typeET4_jRbjT5_S1F_jjP12ihipStream_tbEUljE_ZNSN_ISO_Lb1ESR_SS_SU_SV_SZ_EES10_S11_S12_S13_S17_S18_S19_S1C_S1D_jS1E_jS1F_S1F_jjS1H_bEUljE0_EEES10_S11_S12_S19_S1D_S1F_T6_T7_T9_mT8_S1H_bDpT10_ENKUlT_T0_E_clISt17integral_constantIbLb0EES1U_IbLb1EEEEDaS1Q_S1R_EUlS1Q_E_NS1_11comp_targetILNS1_3genE2ELNS1_11target_archE906ELNS1_3gpuE6ELNS1_3repE0EEENS1_30default_config_static_selectorELNS0_4arch9wavefront6targetE0EEEvS13_
                                        ; -- End function
	.section	.AMDGPU.csdata,"",@progbits
; Kernel info:
; codeLenInByte = 0
; NumSgprs: 0
; NumVgprs: 0
; ScratchSize: 0
; MemoryBound: 0
; FloatMode: 240
; IeeeMode: 1
; LDSByteSize: 0 bytes/workgroup (compile time only)
; SGPRBlocks: 0
; VGPRBlocks: 0
; NumSGPRsForWavesPerEU: 1
; NumVGPRsForWavesPerEU: 1
; Occupancy: 16
; WaveLimiterHint : 0
; COMPUTE_PGM_RSRC2:SCRATCH_EN: 0
; COMPUTE_PGM_RSRC2:USER_SGPR: 15
; COMPUTE_PGM_RSRC2:TRAP_HANDLER: 0
; COMPUTE_PGM_RSRC2:TGID_X_EN: 1
; COMPUTE_PGM_RSRC2:TGID_Y_EN: 0
; COMPUTE_PGM_RSRC2:TGID_Z_EN: 0
; COMPUTE_PGM_RSRC2:TIDIG_COMP_CNT: 0
	.section	.text._ZN7rocprim17ROCPRIM_400000_NS6detail17trampoline_kernelINS0_13select_configILj256ELj13ELNS0_17block_load_methodE3ELS4_3ELS4_3ELNS0_20block_scan_algorithmE0ELj4294967295EEENS1_25partition_config_selectorILNS1_17partition_subalgoE4EjNS0_10empty_typeEbEEZZNS1_14partition_implILS8_4ELb0ES6_15HIP_vector_typeIjLj2EENS0_17counting_iteratorIjlEEPS9_SG_NS0_5tupleIJPjSI_NS0_16reverse_iteratorISI_EEEEENSH_IJSG_SG_SG_EEES9_SI_JZNS1_25segmented_radix_sort_implINS0_14default_configELb1EPK12hip_bfloat16PSP_PKlPlN2at6native12_GLOBAL__N_18offset_tEEE10hipError_tPvRmT1_PNSt15iterator_traitsIS13_E10value_typeET2_T3_PNS14_IS19_E10value_typeET4_jRbjT5_S1F_jjP12ihipStream_tbEUljE_ZNSN_ISO_Lb1ESR_SS_SU_SV_SZ_EES10_S11_S12_S13_S17_S18_S19_S1C_S1D_jS1E_jS1F_S1F_jjS1H_bEUljE0_EEES10_S11_S12_S19_S1D_S1F_T6_T7_T9_mT8_S1H_bDpT10_ENKUlT_T0_E_clISt17integral_constantIbLb0EES1U_IbLb1EEEEDaS1Q_S1R_EUlS1Q_E_NS1_11comp_targetILNS1_3genE10ELNS1_11target_archE1200ELNS1_3gpuE4ELNS1_3repE0EEENS1_30default_config_static_selectorELNS0_4arch9wavefront6targetE0EEEvS13_,"axG",@progbits,_ZN7rocprim17ROCPRIM_400000_NS6detail17trampoline_kernelINS0_13select_configILj256ELj13ELNS0_17block_load_methodE3ELS4_3ELS4_3ELNS0_20block_scan_algorithmE0ELj4294967295EEENS1_25partition_config_selectorILNS1_17partition_subalgoE4EjNS0_10empty_typeEbEEZZNS1_14partition_implILS8_4ELb0ES6_15HIP_vector_typeIjLj2EENS0_17counting_iteratorIjlEEPS9_SG_NS0_5tupleIJPjSI_NS0_16reverse_iteratorISI_EEEEENSH_IJSG_SG_SG_EEES9_SI_JZNS1_25segmented_radix_sort_implINS0_14default_configELb1EPK12hip_bfloat16PSP_PKlPlN2at6native12_GLOBAL__N_18offset_tEEE10hipError_tPvRmT1_PNSt15iterator_traitsIS13_E10value_typeET2_T3_PNS14_IS19_E10value_typeET4_jRbjT5_S1F_jjP12ihipStream_tbEUljE_ZNSN_ISO_Lb1ESR_SS_SU_SV_SZ_EES10_S11_S12_S13_S17_S18_S19_S1C_S1D_jS1E_jS1F_S1F_jjS1H_bEUljE0_EEES10_S11_S12_S19_S1D_S1F_T6_T7_T9_mT8_S1H_bDpT10_ENKUlT_T0_E_clISt17integral_constantIbLb0EES1U_IbLb1EEEEDaS1Q_S1R_EUlS1Q_E_NS1_11comp_targetILNS1_3genE10ELNS1_11target_archE1200ELNS1_3gpuE4ELNS1_3repE0EEENS1_30default_config_static_selectorELNS0_4arch9wavefront6targetE0EEEvS13_,comdat
	.globl	_ZN7rocprim17ROCPRIM_400000_NS6detail17trampoline_kernelINS0_13select_configILj256ELj13ELNS0_17block_load_methodE3ELS4_3ELS4_3ELNS0_20block_scan_algorithmE0ELj4294967295EEENS1_25partition_config_selectorILNS1_17partition_subalgoE4EjNS0_10empty_typeEbEEZZNS1_14partition_implILS8_4ELb0ES6_15HIP_vector_typeIjLj2EENS0_17counting_iteratorIjlEEPS9_SG_NS0_5tupleIJPjSI_NS0_16reverse_iteratorISI_EEEEENSH_IJSG_SG_SG_EEES9_SI_JZNS1_25segmented_radix_sort_implINS0_14default_configELb1EPK12hip_bfloat16PSP_PKlPlN2at6native12_GLOBAL__N_18offset_tEEE10hipError_tPvRmT1_PNSt15iterator_traitsIS13_E10value_typeET2_T3_PNS14_IS19_E10value_typeET4_jRbjT5_S1F_jjP12ihipStream_tbEUljE_ZNSN_ISO_Lb1ESR_SS_SU_SV_SZ_EES10_S11_S12_S13_S17_S18_S19_S1C_S1D_jS1E_jS1F_S1F_jjS1H_bEUljE0_EEES10_S11_S12_S19_S1D_S1F_T6_T7_T9_mT8_S1H_bDpT10_ENKUlT_T0_E_clISt17integral_constantIbLb0EES1U_IbLb1EEEEDaS1Q_S1R_EUlS1Q_E_NS1_11comp_targetILNS1_3genE10ELNS1_11target_archE1200ELNS1_3gpuE4ELNS1_3repE0EEENS1_30default_config_static_selectorELNS0_4arch9wavefront6targetE0EEEvS13_ ; -- Begin function _ZN7rocprim17ROCPRIM_400000_NS6detail17trampoline_kernelINS0_13select_configILj256ELj13ELNS0_17block_load_methodE3ELS4_3ELS4_3ELNS0_20block_scan_algorithmE0ELj4294967295EEENS1_25partition_config_selectorILNS1_17partition_subalgoE4EjNS0_10empty_typeEbEEZZNS1_14partition_implILS8_4ELb0ES6_15HIP_vector_typeIjLj2EENS0_17counting_iteratorIjlEEPS9_SG_NS0_5tupleIJPjSI_NS0_16reverse_iteratorISI_EEEEENSH_IJSG_SG_SG_EEES9_SI_JZNS1_25segmented_radix_sort_implINS0_14default_configELb1EPK12hip_bfloat16PSP_PKlPlN2at6native12_GLOBAL__N_18offset_tEEE10hipError_tPvRmT1_PNSt15iterator_traitsIS13_E10value_typeET2_T3_PNS14_IS19_E10value_typeET4_jRbjT5_S1F_jjP12ihipStream_tbEUljE_ZNSN_ISO_Lb1ESR_SS_SU_SV_SZ_EES10_S11_S12_S13_S17_S18_S19_S1C_S1D_jS1E_jS1F_S1F_jjS1H_bEUljE0_EEES10_S11_S12_S19_S1D_S1F_T6_T7_T9_mT8_S1H_bDpT10_ENKUlT_T0_E_clISt17integral_constantIbLb0EES1U_IbLb1EEEEDaS1Q_S1R_EUlS1Q_E_NS1_11comp_targetILNS1_3genE10ELNS1_11target_archE1200ELNS1_3gpuE4ELNS1_3repE0EEENS1_30default_config_static_selectorELNS0_4arch9wavefront6targetE0EEEvS13_
	.p2align	8
	.type	_ZN7rocprim17ROCPRIM_400000_NS6detail17trampoline_kernelINS0_13select_configILj256ELj13ELNS0_17block_load_methodE3ELS4_3ELS4_3ELNS0_20block_scan_algorithmE0ELj4294967295EEENS1_25partition_config_selectorILNS1_17partition_subalgoE4EjNS0_10empty_typeEbEEZZNS1_14partition_implILS8_4ELb0ES6_15HIP_vector_typeIjLj2EENS0_17counting_iteratorIjlEEPS9_SG_NS0_5tupleIJPjSI_NS0_16reverse_iteratorISI_EEEEENSH_IJSG_SG_SG_EEES9_SI_JZNS1_25segmented_radix_sort_implINS0_14default_configELb1EPK12hip_bfloat16PSP_PKlPlN2at6native12_GLOBAL__N_18offset_tEEE10hipError_tPvRmT1_PNSt15iterator_traitsIS13_E10value_typeET2_T3_PNS14_IS19_E10value_typeET4_jRbjT5_S1F_jjP12ihipStream_tbEUljE_ZNSN_ISO_Lb1ESR_SS_SU_SV_SZ_EES10_S11_S12_S13_S17_S18_S19_S1C_S1D_jS1E_jS1F_S1F_jjS1H_bEUljE0_EEES10_S11_S12_S19_S1D_S1F_T6_T7_T9_mT8_S1H_bDpT10_ENKUlT_T0_E_clISt17integral_constantIbLb0EES1U_IbLb1EEEEDaS1Q_S1R_EUlS1Q_E_NS1_11comp_targetILNS1_3genE10ELNS1_11target_archE1200ELNS1_3gpuE4ELNS1_3repE0EEENS1_30default_config_static_selectorELNS0_4arch9wavefront6targetE0EEEvS13_,@function
_ZN7rocprim17ROCPRIM_400000_NS6detail17trampoline_kernelINS0_13select_configILj256ELj13ELNS0_17block_load_methodE3ELS4_3ELS4_3ELNS0_20block_scan_algorithmE0ELj4294967295EEENS1_25partition_config_selectorILNS1_17partition_subalgoE4EjNS0_10empty_typeEbEEZZNS1_14partition_implILS8_4ELb0ES6_15HIP_vector_typeIjLj2EENS0_17counting_iteratorIjlEEPS9_SG_NS0_5tupleIJPjSI_NS0_16reverse_iteratorISI_EEEEENSH_IJSG_SG_SG_EEES9_SI_JZNS1_25segmented_radix_sort_implINS0_14default_configELb1EPK12hip_bfloat16PSP_PKlPlN2at6native12_GLOBAL__N_18offset_tEEE10hipError_tPvRmT1_PNSt15iterator_traitsIS13_E10value_typeET2_T3_PNS14_IS19_E10value_typeET4_jRbjT5_S1F_jjP12ihipStream_tbEUljE_ZNSN_ISO_Lb1ESR_SS_SU_SV_SZ_EES10_S11_S12_S13_S17_S18_S19_S1C_S1D_jS1E_jS1F_S1F_jjS1H_bEUljE0_EEES10_S11_S12_S19_S1D_S1F_T6_T7_T9_mT8_S1H_bDpT10_ENKUlT_T0_E_clISt17integral_constantIbLb0EES1U_IbLb1EEEEDaS1Q_S1R_EUlS1Q_E_NS1_11comp_targetILNS1_3genE10ELNS1_11target_archE1200ELNS1_3gpuE4ELNS1_3repE0EEENS1_30default_config_static_selectorELNS0_4arch9wavefront6targetE0EEEvS13_: ; @_ZN7rocprim17ROCPRIM_400000_NS6detail17trampoline_kernelINS0_13select_configILj256ELj13ELNS0_17block_load_methodE3ELS4_3ELS4_3ELNS0_20block_scan_algorithmE0ELj4294967295EEENS1_25partition_config_selectorILNS1_17partition_subalgoE4EjNS0_10empty_typeEbEEZZNS1_14partition_implILS8_4ELb0ES6_15HIP_vector_typeIjLj2EENS0_17counting_iteratorIjlEEPS9_SG_NS0_5tupleIJPjSI_NS0_16reverse_iteratorISI_EEEEENSH_IJSG_SG_SG_EEES9_SI_JZNS1_25segmented_radix_sort_implINS0_14default_configELb1EPK12hip_bfloat16PSP_PKlPlN2at6native12_GLOBAL__N_18offset_tEEE10hipError_tPvRmT1_PNSt15iterator_traitsIS13_E10value_typeET2_T3_PNS14_IS19_E10value_typeET4_jRbjT5_S1F_jjP12ihipStream_tbEUljE_ZNSN_ISO_Lb1ESR_SS_SU_SV_SZ_EES10_S11_S12_S13_S17_S18_S19_S1C_S1D_jS1E_jS1F_S1F_jjS1H_bEUljE0_EEES10_S11_S12_S19_S1D_S1F_T6_T7_T9_mT8_S1H_bDpT10_ENKUlT_T0_E_clISt17integral_constantIbLb0EES1U_IbLb1EEEEDaS1Q_S1R_EUlS1Q_E_NS1_11comp_targetILNS1_3genE10ELNS1_11target_archE1200ELNS1_3gpuE4ELNS1_3repE0EEENS1_30default_config_static_selectorELNS0_4arch9wavefront6targetE0EEEvS13_
; %bb.0:
	.section	.rodata,"a",@progbits
	.p2align	6, 0x0
	.amdhsa_kernel _ZN7rocprim17ROCPRIM_400000_NS6detail17trampoline_kernelINS0_13select_configILj256ELj13ELNS0_17block_load_methodE3ELS4_3ELS4_3ELNS0_20block_scan_algorithmE0ELj4294967295EEENS1_25partition_config_selectorILNS1_17partition_subalgoE4EjNS0_10empty_typeEbEEZZNS1_14partition_implILS8_4ELb0ES6_15HIP_vector_typeIjLj2EENS0_17counting_iteratorIjlEEPS9_SG_NS0_5tupleIJPjSI_NS0_16reverse_iteratorISI_EEEEENSH_IJSG_SG_SG_EEES9_SI_JZNS1_25segmented_radix_sort_implINS0_14default_configELb1EPK12hip_bfloat16PSP_PKlPlN2at6native12_GLOBAL__N_18offset_tEEE10hipError_tPvRmT1_PNSt15iterator_traitsIS13_E10value_typeET2_T3_PNS14_IS19_E10value_typeET4_jRbjT5_S1F_jjP12ihipStream_tbEUljE_ZNSN_ISO_Lb1ESR_SS_SU_SV_SZ_EES10_S11_S12_S13_S17_S18_S19_S1C_S1D_jS1E_jS1F_S1F_jjS1H_bEUljE0_EEES10_S11_S12_S19_S1D_S1F_T6_T7_T9_mT8_S1H_bDpT10_ENKUlT_T0_E_clISt17integral_constantIbLb0EES1U_IbLb1EEEEDaS1Q_S1R_EUlS1Q_E_NS1_11comp_targetILNS1_3genE10ELNS1_11target_archE1200ELNS1_3gpuE4ELNS1_3repE0EEENS1_30default_config_static_selectorELNS0_4arch9wavefront6targetE0EEEvS13_
		.amdhsa_group_segment_fixed_size 0
		.amdhsa_private_segment_fixed_size 0
		.amdhsa_kernarg_size 184
		.amdhsa_user_sgpr_count 15
		.amdhsa_user_sgpr_dispatch_ptr 0
		.amdhsa_user_sgpr_queue_ptr 0
		.amdhsa_user_sgpr_kernarg_segment_ptr 1
		.amdhsa_user_sgpr_dispatch_id 0
		.amdhsa_user_sgpr_private_segment_size 0
		.amdhsa_wavefront_size32 1
		.amdhsa_uses_dynamic_stack 0
		.amdhsa_enable_private_segment 0
		.amdhsa_system_sgpr_workgroup_id_x 1
		.amdhsa_system_sgpr_workgroup_id_y 0
		.amdhsa_system_sgpr_workgroup_id_z 0
		.amdhsa_system_sgpr_workgroup_info 0
		.amdhsa_system_vgpr_workitem_id 0
		.amdhsa_next_free_vgpr 1
		.amdhsa_next_free_sgpr 1
		.amdhsa_reserve_vcc 0
		.amdhsa_float_round_mode_32 0
		.amdhsa_float_round_mode_16_64 0
		.amdhsa_float_denorm_mode_32 3
		.amdhsa_float_denorm_mode_16_64 3
		.amdhsa_dx10_clamp 1
		.amdhsa_ieee_mode 1
		.amdhsa_fp16_overflow 0
		.amdhsa_workgroup_processor_mode 1
		.amdhsa_memory_ordered 1
		.amdhsa_forward_progress 0
		.amdhsa_shared_vgpr_count 0
		.amdhsa_exception_fp_ieee_invalid_op 0
		.amdhsa_exception_fp_denorm_src 0
		.amdhsa_exception_fp_ieee_div_zero 0
		.amdhsa_exception_fp_ieee_overflow 0
		.amdhsa_exception_fp_ieee_underflow 0
		.amdhsa_exception_fp_ieee_inexact 0
		.amdhsa_exception_int_div_zero 0
	.end_amdhsa_kernel
	.section	.text._ZN7rocprim17ROCPRIM_400000_NS6detail17trampoline_kernelINS0_13select_configILj256ELj13ELNS0_17block_load_methodE3ELS4_3ELS4_3ELNS0_20block_scan_algorithmE0ELj4294967295EEENS1_25partition_config_selectorILNS1_17partition_subalgoE4EjNS0_10empty_typeEbEEZZNS1_14partition_implILS8_4ELb0ES6_15HIP_vector_typeIjLj2EENS0_17counting_iteratorIjlEEPS9_SG_NS0_5tupleIJPjSI_NS0_16reverse_iteratorISI_EEEEENSH_IJSG_SG_SG_EEES9_SI_JZNS1_25segmented_radix_sort_implINS0_14default_configELb1EPK12hip_bfloat16PSP_PKlPlN2at6native12_GLOBAL__N_18offset_tEEE10hipError_tPvRmT1_PNSt15iterator_traitsIS13_E10value_typeET2_T3_PNS14_IS19_E10value_typeET4_jRbjT5_S1F_jjP12ihipStream_tbEUljE_ZNSN_ISO_Lb1ESR_SS_SU_SV_SZ_EES10_S11_S12_S13_S17_S18_S19_S1C_S1D_jS1E_jS1F_S1F_jjS1H_bEUljE0_EEES10_S11_S12_S19_S1D_S1F_T6_T7_T9_mT8_S1H_bDpT10_ENKUlT_T0_E_clISt17integral_constantIbLb0EES1U_IbLb1EEEEDaS1Q_S1R_EUlS1Q_E_NS1_11comp_targetILNS1_3genE10ELNS1_11target_archE1200ELNS1_3gpuE4ELNS1_3repE0EEENS1_30default_config_static_selectorELNS0_4arch9wavefront6targetE0EEEvS13_,"axG",@progbits,_ZN7rocprim17ROCPRIM_400000_NS6detail17trampoline_kernelINS0_13select_configILj256ELj13ELNS0_17block_load_methodE3ELS4_3ELS4_3ELNS0_20block_scan_algorithmE0ELj4294967295EEENS1_25partition_config_selectorILNS1_17partition_subalgoE4EjNS0_10empty_typeEbEEZZNS1_14partition_implILS8_4ELb0ES6_15HIP_vector_typeIjLj2EENS0_17counting_iteratorIjlEEPS9_SG_NS0_5tupleIJPjSI_NS0_16reverse_iteratorISI_EEEEENSH_IJSG_SG_SG_EEES9_SI_JZNS1_25segmented_radix_sort_implINS0_14default_configELb1EPK12hip_bfloat16PSP_PKlPlN2at6native12_GLOBAL__N_18offset_tEEE10hipError_tPvRmT1_PNSt15iterator_traitsIS13_E10value_typeET2_T3_PNS14_IS19_E10value_typeET4_jRbjT5_S1F_jjP12ihipStream_tbEUljE_ZNSN_ISO_Lb1ESR_SS_SU_SV_SZ_EES10_S11_S12_S13_S17_S18_S19_S1C_S1D_jS1E_jS1F_S1F_jjS1H_bEUljE0_EEES10_S11_S12_S19_S1D_S1F_T6_T7_T9_mT8_S1H_bDpT10_ENKUlT_T0_E_clISt17integral_constantIbLb0EES1U_IbLb1EEEEDaS1Q_S1R_EUlS1Q_E_NS1_11comp_targetILNS1_3genE10ELNS1_11target_archE1200ELNS1_3gpuE4ELNS1_3repE0EEENS1_30default_config_static_selectorELNS0_4arch9wavefront6targetE0EEEvS13_,comdat
.Lfunc_end1911:
	.size	_ZN7rocprim17ROCPRIM_400000_NS6detail17trampoline_kernelINS0_13select_configILj256ELj13ELNS0_17block_load_methodE3ELS4_3ELS4_3ELNS0_20block_scan_algorithmE0ELj4294967295EEENS1_25partition_config_selectorILNS1_17partition_subalgoE4EjNS0_10empty_typeEbEEZZNS1_14partition_implILS8_4ELb0ES6_15HIP_vector_typeIjLj2EENS0_17counting_iteratorIjlEEPS9_SG_NS0_5tupleIJPjSI_NS0_16reverse_iteratorISI_EEEEENSH_IJSG_SG_SG_EEES9_SI_JZNS1_25segmented_radix_sort_implINS0_14default_configELb1EPK12hip_bfloat16PSP_PKlPlN2at6native12_GLOBAL__N_18offset_tEEE10hipError_tPvRmT1_PNSt15iterator_traitsIS13_E10value_typeET2_T3_PNS14_IS19_E10value_typeET4_jRbjT5_S1F_jjP12ihipStream_tbEUljE_ZNSN_ISO_Lb1ESR_SS_SU_SV_SZ_EES10_S11_S12_S13_S17_S18_S19_S1C_S1D_jS1E_jS1F_S1F_jjS1H_bEUljE0_EEES10_S11_S12_S19_S1D_S1F_T6_T7_T9_mT8_S1H_bDpT10_ENKUlT_T0_E_clISt17integral_constantIbLb0EES1U_IbLb1EEEEDaS1Q_S1R_EUlS1Q_E_NS1_11comp_targetILNS1_3genE10ELNS1_11target_archE1200ELNS1_3gpuE4ELNS1_3repE0EEENS1_30default_config_static_selectorELNS0_4arch9wavefront6targetE0EEEvS13_, .Lfunc_end1911-_ZN7rocprim17ROCPRIM_400000_NS6detail17trampoline_kernelINS0_13select_configILj256ELj13ELNS0_17block_load_methodE3ELS4_3ELS4_3ELNS0_20block_scan_algorithmE0ELj4294967295EEENS1_25partition_config_selectorILNS1_17partition_subalgoE4EjNS0_10empty_typeEbEEZZNS1_14partition_implILS8_4ELb0ES6_15HIP_vector_typeIjLj2EENS0_17counting_iteratorIjlEEPS9_SG_NS0_5tupleIJPjSI_NS0_16reverse_iteratorISI_EEEEENSH_IJSG_SG_SG_EEES9_SI_JZNS1_25segmented_radix_sort_implINS0_14default_configELb1EPK12hip_bfloat16PSP_PKlPlN2at6native12_GLOBAL__N_18offset_tEEE10hipError_tPvRmT1_PNSt15iterator_traitsIS13_E10value_typeET2_T3_PNS14_IS19_E10value_typeET4_jRbjT5_S1F_jjP12ihipStream_tbEUljE_ZNSN_ISO_Lb1ESR_SS_SU_SV_SZ_EES10_S11_S12_S13_S17_S18_S19_S1C_S1D_jS1E_jS1F_S1F_jjS1H_bEUljE0_EEES10_S11_S12_S19_S1D_S1F_T6_T7_T9_mT8_S1H_bDpT10_ENKUlT_T0_E_clISt17integral_constantIbLb0EES1U_IbLb1EEEEDaS1Q_S1R_EUlS1Q_E_NS1_11comp_targetILNS1_3genE10ELNS1_11target_archE1200ELNS1_3gpuE4ELNS1_3repE0EEENS1_30default_config_static_selectorELNS0_4arch9wavefront6targetE0EEEvS13_
                                        ; -- End function
	.section	.AMDGPU.csdata,"",@progbits
; Kernel info:
; codeLenInByte = 0
; NumSgprs: 0
; NumVgprs: 0
; ScratchSize: 0
; MemoryBound: 0
; FloatMode: 240
; IeeeMode: 1
; LDSByteSize: 0 bytes/workgroup (compile time only)
; SGPRBlocks: 0
; VGPRBlocks: 0
; NumSGPRsForWavesPerEU: 1
; NumVGPRsForWavesPerEU: 1
; Occupancy: 16
; WaveLimiterHint : 0
; COMPUTE_PGM_RSRC2:SCRATCH_EN: 0
; COMPUTE_PGM_RSRC2:USER_SGPR: 15
; COMPUTE_PGM_RSRC2:TRAP_HANDLER: 0
; COMPUTE_PGM_RSRC2:TGID_X_EN: 1
; COMPUTE_PGM_RSRC2:TGID_Y_EN: 0
; COMPUTE_PGM_RSRC2:TGID_Z_EN: 0
; COMPUTE_PGM_RSRC2:TIDIG_COMP_CNT: 0
	.section	.text._ZN7rocprim17ROCPRIM_400000_NS6detail17trampoline_kernelINS0_13select_configILj256ELj13ELNS0_17block_load_methodE3ELS4_3ELS4_3ELNS0_20block_scan_algorithmE0ELj4294967295EEENS1_25partition_config_selectorILNS1_17partition_subalgoE4EjNS0_10empty_typeEbEEZZNS1_14partition_implILS8_4ELb0ES6_15HIP_vector_typeIjLj2EENS0_17counting_iteratorIjlEEPS9_SG_NS0_5tupleIJPjSI_NS0_16reverse_iteratorISI_EEEEENSH_IJSG_SG_SG_EEES9_SI_JZNS1_25segmented_radix_sort_implINS0_14default_configELb1EPK12hip_bfloat16PSP_PKlPlN2at6native12_GLOBAL__N_18offset_tEEE10hipError_tPvRmT1_PNSt15iterator_traitsIS13_E10value_typeET2_T3_PNS14_IS19_E10value_typeET4_jRbjT5_S1F_jjP12ihipStream_tbEUljE_ZNSN_ISO_Lb1ESR_SS_SU_SV_SZ_EES10_S11_S12_S13_S17_S18_S19_S1C_S1D_jS1E_jS1F_S1F_jjS1H_bEUljE0_EEES10_S11_S12_S19_S1D_S1F_T6_T7_T9_mT8_S1H_bDpT10_ENKUlT_T0_E_clISt17integral_constantIbLb0EES1U_IbLb1EEEEDaS1Q_S1R_EUlS1Q_E_NS1_11comp_targetILNS1_3genE9ELNS1_11target_archE1100ELNS1_3gpuE3ELNS1_3repE0EEENS1_30default_config_static_selectorELNS0_4arch9wavefront6targetE0EEEvS13_,"axG",@progbits,_ZN7rocprim17ROCPRIM_400000_NS6detail17trampoline_kernelINS0_13select_configILj256ELj13ELNS0_17block_load_methodE3ELS4_3ELS4_3ELNS0_20block_scan_algorithmE0ELj4294967295EEENS1_25partition_config_selectorILNS1_17partition_subalgoE4EjNS0_10empty_typeEbEEZZNS1_14partition_implILS8_4ELb0ES6_15HIP_vector_typeIjLj2EENS0_17counting_iteratorIjlEEPS9_SG_NS0_5tupleIJPjSI_NS0_16reverse_iteratorISI_EEEEENSH_IJSG_SG_SG_EEES9_SI_JZNS1_25segmented_radix_sort_implINS0_14default_configELb1EPK12hip_bfloat16PSP_PKlPlN2at6native12_GLOBAL__N_18offset_tEEE10hipError_tPvRmT1_PNSt15iterator_traitsIS13_E10value_typeET2_T3_PNS14_IS19_E10value_typeET4_jRbjT5_S1F_jjP12ihipStream_tbEUljE_ZNSN_ISO_Lb1ESR_SS_SU_SV_SZ_EES10_S11_S12_S13_S17_S18_S19_S1C_S1D_jS1E_jS1F_S1F_jjS1H_bEUljE0_EEES10_S11_S12_S19_S1D_S1F_T6_T7_T9_mT8_S1H_bDpT10_ENKUlT_T0_E_clISt17integral_constantIbLb0EES1U_IbLb1EEEEDaS1Q_S1R_EUlS1Q_E_NS1_11comp_targetILNS1_3genE9ELNS1_11target_archE1100ELNS1_3gpuE3ELNS1_3repE0EEENS1_30default_config_static_selectorELNS0_4arch9wavefront6targetE0EEEvS13_,comdat
	.globl	_ZN7rocprim17ROCPRIM_400000_NS6detail17trampoline_kernelINS0_13select_configILj256ELj13ELNS0_17block_load_methodE3ELS4_3ELS4_3ELNS0_20block_scan_algorithmE0ELj4294967295EEENS1_25partition_config_selectorILNS1_17partition_subalgoE4EjNS0_10empty_typeEbEEZZNS1_14partition_implILS8_4ELb0ES6_15HIP_vector_typeIjLj2EENS0_17counting_iteratorIjlEEPS9_SG_NS0_5tupleIJPjSI_NS0_16reverse_iteratorISI_EEEEENSH_IJSG_SG_SG_EEES9_SI_JZNS1_25segmented_radix_sort_implINS0_14default_configELb1EPK12hip_bfloat16PSP_PKlPlN2at6native12_GLOBAL__N_18offset_tEEE10hipError_tPvRmT1_PNSt15iterator_traitsIS13_E10value_typeET2_T3_PNS14_IS19_E10value_typeET4_jRbjT5_S1F_jjP12ihipStream_tbEUljE_ZNSN_ISO_Lb1ESR_SS_SU_SV_SZ_EES10_S11_S12_S13_S17_S18_S19_S1C_S1D_jS1E_jS1F_S1F_jjS1H_bEUljE0_EEES10_S11_S12_S19_S1D_S1F_T6_T7_T9_mT8_S1H_bDpT10_ENKUlT_T0_E_clISt17integral_constantIbLb0EES1U_IbLb1EEEEDaS1Q_S1R_EUlS1Q_E_NS1_11comp_targetILNS1_3genE9ELNS1_11target_archE1100ELNS1_3gpuE3ELNS1_3repE0EEENS1_30default_config_static_selectorELNS0_4arch9wavefront6targetE0EEEvS13_ ; -- Begin function _ZN7rocprim17ROCPRIM_400000_NS6detail17trampoline_kernelINS0_13select_configILj256ELj13ELNS0_17block_load_methodE3ELS4_3ELS4_3ELNS0_20block_scan_algorithmE0ELj4294967295EEENS1_25partition_config_selectorILNS1_17partition_subalgoE4EjNS0_10empty_typeEbEEZZNS1_14partition_implILS8_4ELb0ES6_15HIP_vector_typeIjLj2EENS0_17counting_iteratorIjlEEPS9_SG_NS0_5tupleIJPjSI_NS0_16reverse_iteratorISI_EEEEENSH_IJSG_SG_SG_EEES9_SI_JZNS1_25segmented_radix_sort_implINS0_14default_configELb1EPK12hip_bfloat16PSP_PKlPlN2at6native12_GLOBAL__N_18offset_tEEE10hipError_tPvRmT1_PNSt15iterator_traitsIS13_E10value_typeET2_T3_PNS14_IS19_E10value_typeET4_jRbjT5_S1F_jjP12ihipStream_tbEUljE_ZNSN_ISO_Lb1ESR_SS_SU_SV_SZ_EES10_S11_S12_S13_S17_S18_S19_S1C_S1D_jS1E_jS1F_S1F_jjS1H_bEUljE0_EEES10_S11_S12_S19_S1D_S1F_T6_T7_T9_mT8_S1H_bDpT10_ENKUlT_T0_E_clISt17integral_constantIbLb0EES1U_IbLb1EEEEDaS1Q_S1R_EUlS1Q_E_NS1_11comp_targetILNS1_3genE9ELNS1_11target_archE1100ELNS1_3gpuE3ELNS1_3repE0EEENS1_30default_config_static_selectorELNS0_4arch9wavefront6targetE0EEEvS13_
	.p2align	8
	.type	_ZN7rocprim17ROCPRIM_400000_NS6detail17trampoline_kernelINS0_13select_configILj256ELj13ELNS0_17block_load_methodE3ELS4_3ELS4_3ELNS0_20block_scan_algorithmE0ELj4294967295EEENS1_25partition_config_selectorILNS1_17partition_subalgoE4EjNS0_10empty_typeEbEEZZNS1_14partition_implILS8_4ELb0ES6_15HIP_vector_typeIjLj2EENS0_17counting_iteratorIjlEEPS9_SG_NS0_5tupleIJPjSI_NS0_16reverse_iteratorISI_EEEEENSH_IJSG_SG_SG_EEES9_SI_JZNS1_25segmented_radix_sort_implINS0_14default_configELb1EPK12hip_bfloat16PSP_PKlPlN2at6native12_GLOBAL__N_18offset_tEEE10hipError_tPvRmT1_PNSt15iterator_traitsIS13_E10value_typeET2_T3_PNS14_IS19_E10value_typeET4_jRbjT5_S1F_jjP12ihipStream_tbEUljE_ZNSN_ISO_Lb1ESR_SS_SU_SV_SZ_EES10_S11_S12_S13_S17_S18_S19_S1C_S1D_jS1E_jS1F_S1F_jjS1H_bEUljE0_EEES10_S11_S12_S19_S1D_S1F_T6_T7_T9_mT8_S1H_bDpT10_ENKUlT_T0_E_clISt17integral_constantIbLb0EES1U_IbLb1EEEEDaS1Q_S1R_EUlS1Q_E_NS1_11comp_targetILNS1_3genE9ELNS1_11target_archE1100ELNS1_3gpuE3ELNS1_3repE0EEENS1_30default_config_static_selectorELNS0_4arch9wavefront6targetE0EEEvS13_,@function
_ZN7rocprim17ROCPRIM_400000_NS6detail17trampoline_kernelINS0_13select_configILj256ELj13ELNS0_17block_load_methodE3ELS4_3ELS4_3ELNS0_20block_scan_algorithmE0ELj4294967295EEENS1_25partition_config_selectorILNS1_17partition_subalgoE4EjNS0_10empty_typeEbEEZZNS1_14partition_implILS8_4ELb0ES6_15HIP_vector_typeIjLj2EENS0_17counting_iteratorIjlEEPS9_SG_NS0_5tupleIJPjSI_NS0_16reverse_iteratorISI_EEEEENSH_IJSG_SG_SG_EEES9_SI_JZNS1_25segmented_radix_sort_implINS0_14default_configELb1EPK12hip_bfloat16PSP_PKlPlN2at6native12_GLOBAL__N_18offset_tEEE10hipError_tPvRmT1_PNSt15iterator_traitsIS13_E10value_typeET2_T3_PNS14_IS19_E10value_typeET4_jRbjT5_S1F_jjP12ihipStream_tbEUljE_ZNSN_ISO_Lb1ESR_SS_SU_SV_SZ_EES10_S11_S12_S13_S17_S18_S19_S1C_S1D_jS1E_jS1F_S1F_jjS1H_bEUljE0_EEES10_S11_S12_S19_S1D_S1F_T6_T7_T9_mT8_S1H_bDpT10_ENKUlT_T0_E_clISt17integral_constantIbLb0EES1U_IbLb1EEEEDaS1Q_S1R_EUlS1Q_E_NS1_11comp_targetILNS1_3genE9ELNS1_11target_archE1100ELNS1_3gpuE3ELNS1_3repE0EEENS1_30default_config_static_selectorELNS0_4arch9wavefront6targetE0EEEvS13_: ; @_ZN7rocprim17ROCPRIM_400000_NS6detail17trampoline_kernelINS0_13select_configILj256ELj13ELNS0_17block_load_methodE3ELS4_3ELS4_3ELNS0_20block_scan_algorithmE0ELj4294967295EEENS1_25partition_config_selectorILNS1_17partition_subalgoE4EjNS0_10empty_typeEbEEZZNS1_14partition_implILS8_4ELb0ES6_15HIP_vector_typeIjLj2EENS0_17counting_iteratorIjlEEPS9_SG_NS0_5tupleIJPjSI_NS0_16reverse_iteratorISI_EEEEENSH_IJSG_SG_SG_EEES9_SI_JZNS1_25segmented_radix_sort_implINS0_14default_configELb1EPK12hip_bfloat16PSP_PKlPlN2at6native12_GLOBAL__N_18offset_tEEE10hipError_tPvRmT1_PNSt15iterator_traitsIS13_E10value_typeET2_T3_PNS14_IS19_E10value_typeET4_jRbjT5_S1F_jjP12ihipStream_tbEUljE_ZNSN_ISO_Lb1ESR_SS_SU_SV_SZ_EES10_S11_S12_S13_S17_S18_S19_S1C_S1D_jS1E_jS1F_S1F_jjS1H_bEUljE0_EEES10_S11_S12_S19_S1D_S1F_T6_T7_T9_mT8_S1H_bDpT10_ENKUlT_T0_E_clISt17integral_constantIbLb0EES1U_IbLb1EEEEDaS1Q_S1R_EUlS1Q_E_NS1_11comp_targetILNS1_3genE9ELNS1_11target_archE1100ELNS1_3gpuE3ELNS1_3repE0EEENS1_30default_config_static_selectorELNS0_4arch9wavefront6targetE0EEEvS13_
; %bb.0:
	s_clause 0x7
	s_load_b64 s[34:35], s[0:1], 0x10
	s_load_b128 s[28:31], s[0:1], 0x28
	s_load_b64 s[14:15], s[0:1], 0x38
	s_load_b128 s[24:27], s[0:1], 0x58
	s_load_b64 s[4:5], s[0:1], 0x68
	s_load_b64 s[36:37], s[0:1], 0x78
	;; [unrolled: 1-line block ×3, first 2 shown]
	s_load_b256 s[16:23], s[0:1], 0x90
	v_cmp_eq_u32_e64 s2, 0, v0
	s_delay_alu instid0(VALU_DEP_1)
	s_and_saveexec_b32 s3, s2
	s_cbranch_execz .LBB1912_4
; %bb.1:
	s_mov_b32 s7, exec_lo
	s_mov_b32 s6, exec_lo
	v_mbcnt_lo_u32_b32 v1, s7, 0
                                        ; implicit-def: $vgpr2
	s_delay_alu instid0(VALU_DEP_1)
	v_cmpx_eq_u32_e32 0, v1
	s_cbranch_execz .LBB1912_3
; %bb.2:
	s_load_b64 s[8:9], s[0:1], 0x88
	s_bcnt1_i32_b32 s7, s7
	s_delay_alu instid0(SALU_CYCLE_1)
	v_dual_mov_b32 v2, 0 :: v_dual_mov_b32 v3, s7
	s_waitcnt lgkmcnt(0)
	global_atomic_add_u32 v2, v2, v3, s[8:9] glc
.LBB1912_3:
	s_or_b32 exec_lo, exec_lo, s6
	s_waitcnt vmcnt(0)
	v_readfirstlane_b32 s6, v2
	s_delay_alu instid0(VALU_DEP_1)
	v_dual_mov_b32 v2, 0 :: v_dual_add_nc_u32 v1, s6, v1
	ds_store_b32 v2, v1
.LBB1912_4:
	s_or_b32 exec_lo, exec_lo, s3
	v_mov_b32_e32 v1, 0
	s_clause 0x1
	s_load_b32 s3, s[0:1], 0x8
	s_load_b32 s0, s[0:1], 0x80
	s_waitcnt lgkmcnt(0)
	s_barrier
	buffer_gl0_inv
	ds_load_b32 v5, v1
	s_waitcnt lgkmcnt(0)
	s_barrier
	buffer_gl0_inv
	global_load_b128 v[1:4], v1, s[26:27]
	s_add_i32 s3, s3, s34
	s_mul_i32 s1, s0, 0xd00
	s_add_i32 s0, s0, -1
	s_add_u32 s6, s34, s1
	s_addc_u32 s7, s35, 0
	v_mul_lo_u32 v30, 0xd00, v5
	v_readfirstlane_b32 s26, v5
	v_cmp_lt_u64_e64 s5, s[6:7], s[4:5]
	v_cmp_ne_u32_e32 vcc_lo, s0, v5
	s_delay_alu instid0(VALU_DEP_3) | instskip(SKIP_1) | instid1(VALU_DEP_4)
	s_cmp_eq_u32 s26, s0
	s_cselect_b32 s13, -1, 0
	v_add3_u32 v5, v30, s3, v0
	s_delay_alu instid0(VALU_DEP_3) | instskip(SKIP_2) | instid1(VALU_DEP_1)
	s_or_b32 s0, s5, vcc_lo
	s_mov_b32 s3, -1
	s_and_b32 vcc_lo, exec_lo, s0
	v_add_nc_u32_e32 v6, 0x100, v5
	v_add_nc_u32_e32 v7, 0x200, v5
	;; [unrolled: 1-line block ×12, first 2 shown]
	s_cbranch_vccz .LBB1912_6
; %bb.5:
	v_lshlrev_b32_e32 v18, 2, v0
	s_mov_b32 s3, 0
	ds_store_2addr_stride64_b32 v18, v5, v6 offset1:4
	ds_store_2addr_stride64_b32 v18, v7, v8 offset0:8 offset1:12
	ds_store_2addr_stride64_b32 v18, v9, v10 offset0:16 offset1:20
	;; [unrolled: 1-line block ×5, first 2 shown]
	ds_store_b32 v18, v17 offset:12288
	s_waitcnt vmcnt(0) lgkmcnt(0)
	s_barrier
.LBB1912_6:
	s_and_not1_b32 vcc_lo, exec_lo, s3
	s_add_i32 s1, s1, s34
	s_cbranch_vccnz .LBB1912_8
; %bb.7:
	v_lshlrev_b32_e32 v18, 2, v0
	ds_store_2addr_stride64_b32 v18, v5, v6 offset1:4
	ds_store_2addr_stride64_b32 v18, v7, v8 offset0:8 offset1:12
	ds_store_2addr_stride64_b32 v18, v9, v10 offset0:16 offset1:20
	;; [unrolled: 1-line block ×5, first 2 shown]
	ds_store_b32 v18, v17 offset:12288
	s_waitcnt vmcnt(0) lgkmcnt(0)
	s_barrier
.LBB1912_8:
	v_mul_u32_u24_e32 v33, 13, v0
	s_waitcnt vmcnt(0)
	buffer_gl0_inv
	v_cndmask_b32_e64 v31, 0, 1, s0
	s_sub_i32 s40, s4, s1
	s_and_not1_b32 vcc_lo, exec_lo, s0
	v_lshlrev_b32_e32 v5, 2, v33
	ds_load_2addr_b32 v[20:21], v5 offset1:1
	ds_load_2addr_b32 v[18:19], v5 offset0:2 offset1:3
	ds_load_2addr_b32 v[16:17], v5 offset0:4 offset1:5
	;; [unrolled: 1-line block ×5, first 2 shown]
	ds_load_b32 v32, v5 offset:48
	s_waitcnt lgkmcnt(0)
	s_barrier
	buffer_gl0_inv
	s_cbranch_vccnz .LBB1912_36
; %bb.9:
	v_add_nc_u32_e32 v5, s17, v20
	v_add_nc_u32_e32 v6, s19, v20
	s_mov_b32 s42, 0
	s_mov_b32 s41, 0
	s_mov_b32 s1, exec_lo
	v_mul_lo_u32 v5, v5, s16
	v_mul_lo_u32 v6, v6, s18
	s_delay_alu instid0(VALU_DEP_1) | instskip(NEXT) | instid1(VALU_DEP_1)
	v_sub_nc_u32_e32 v5, v5, v6
	v_cmp_lt_u32_e32 vcc_lo, s20, v5
	v_cmpx_ge_u32_e64 s20, v5
; %bb.10:
	v_add_nc_u32_e32 v5, s22, v20
	v_add_nc_u32_e32 v6, s38, v20
	s_delay_alu instid0(VALU_DEP_2) | instskip(NEXT) | instid1(VALU_DEP_2)
	v_mul_lo_u32 v5, v5, s21
	v_mul_lo_u32 v6, v6, s23
	s_delay_alu instid0(VALU_DEP_1) | instskip(NEXT) | instid1(VALU_DEP_1)
	v_sub_nc_u32_e32 v5, v5, v6
	v_cmp_lt_u32_e64 s0, s39, v5
	s_delay_alu instid0(VALU_DEP_1)
	s_and_b32 s41, s0, exec_lo
; %bb.11:
	s_or_b32 exec_lo, exec_lo, s1
	v_add_nc_u32_e32 v5, s17, v21
	v_add_nc_u32_e32 v6, s19, v21
	s_mov_b32 s3, exec_lo
	s_delay_alu instid0(VALU_DEP_2) | instskip(NEXT) | instid1(VALU_DEP_2)
	v_mul_lo_u32 v5, v5, s16
	v_mul_lo_u32 v6, v6, s18
	s_delay_alu instid0(VALU_DEP_1) | instskip(NEXT) | instid1(VALU_DEP_1)
	v_sub_nc_u32_e32 v5, v5, v6
	v_cmp_lt_u32_e64 s0, s20, v5
	v_cmpx_ge_u32_e64 s20, v5
; %bb.12:
	v_add_nc_u32_e32 v5, s22, v21
	v_add_nc_u32_e32 v6, s38, v21
	s_delay_alu instid0(VALU_DEP_2) | instskip(NEXT) | instid1(VALU_DEP_2)
	v_mul_lo_u32 v5, v5, s21
	v_mul_lo_u32 v6, v6, s23
	s_delay_alu instid0(VALU_DEP_1) | instskip(NEXT) | instid1(VALU_DEP_1)
	v_sub_nc_u32_e32 v5, v5, v6
	v_cmp_lt_u32_e64 s1, s39, v5
	s_delay_alu instid0(VALU_DEP_1)
	s_and_b32 s42, s1, exec_lo
; %bb.13:
	s_or_b32 exec_lo, exec_lo, s3
	v_add_nc_u32_e32 v5, s17, v18
	v_add_nc_u32_e32 v6, s19, v18
	s_mov_b32 s44, 0
	s_mov_b32 s43, 0
	s_mov_b32 s4, exec_lo
	v_mul_lo_u32 v5, v5, s16
	v_mul_lo_u32 v6, v6, s18
	s_delay_alu instid0(VALU_DEP_1) | instskip(NEXT) | instid1(VALU_DEP_1)
	v_sub_nc_u32_e32 v5, v5, v6
	v_cmp_lt_u32_e64 s1, s20, v5
	v_cmpx_ge_u32_e64 s20, v5
; %bb.14:
	v_add_nc_u32_e32 v5, s22, v18
	v_add_nc_u32_e32 v6, s38, v18
	s_delay_alu instid0(VALU_DEP_2) | instskip(NEXT) | instid1(VALU_DEP_2)
	v_mul_lo_u32 v5, v5, s21
	v_mul_lo_u32 v6, v6, s23
	s_delay_alu instid0(VALU_DEP_1) | instskip(NEXT) | instid1(VALU_DEP_1)
	v_sub_nc_u32_e32 v5, v5, v6
	v_cmp_lt_u32_e64 s3, s39, v5
	s_delay_alu instid0(VALU_DEP_1)
	s_and_b32 s43, s3, exec_lo
; %bb.15:
	s_or_b32 exec_lo, exec_lo, s4
	v_add_nc_u32_e32 v5, s17, v19
	v_add_nc_u32_e32 v6, s19, v19
	s_mov_b32 s5, exec_lo
	s_delay_alu instid0(VALU_DEP_2) | instskip(NEXT) | instid1(VALU_DEP_2)
	v_mul_lo_u32 v5, v5, s16
	v_mul_lo_u32 v6, v6, s18
	s_delay_alu instid0(VALU_DEP_1) | instskip(NEXT) | instid1(VALU_DEP_1)
	v_sub_nc_u32_e32 v5, v5, v6
	v_cmp_lt_u32_e64 s3, s20, v5
	v_cmpx_ge_u32_e64 s20, v5
; %bb.16:
	v_add_nc_u32_e32 v5, s22, v19
	v_add_nc_u32_e32 v6, s38, v19
	s_delay_alu instid0(VALU_DEP_2) | instskip(NEXT) | instid1(VALU_DEP_2)
	v_mul_lo_u32 v5, v5, s21
	v_mul_lo_u32 v6, v6, s23
	s_delay_alu instid0(VALU_DEP_1) | instskip(NEXT) | instid1(VALU_DEP_1)
	v_sub_nc_u32_e32 v5, v5, v6
	v_cmp_lt_u32_e64 s4, s39, v5
	s_delay_alu instid0(VALU_DEP_1)
	s_and_b32 s44, s4, exec_lo
; %bb.17:
	s_or_b32 exec_lo, exec_lo, s5
	v_add_nc_u32_e32 v5, s17, v16
	v_add_nc_u32_e32 v6, s19, v16
	s_mov_b32 s46, 0
	s_mov_b32 s45, 0
	s_mov_b32 s6, exec_lo
	v_mul_lo_u32 v5, v5, s16
	v_mul_lo_u32 v6, v6, s18
	s_delay_alu instid0(VALU_DEP_1) | instskip(NEXT) | instid1(VALU_DEP_1)
	v_sub_nc_u32_e32 v5, v5, v6
	v_cmp_lt_u32_e64 s4, s20, v5
	;; [unrolled: 47-line block ×5, first 2 shown]
	v_cmpx_ge_u32_e64 s20, v5
; %bb.30:
	v_add_nc_u32_e32 v5, s22, v10
	v_add_nc_u32_e32 v6, s38, v10
	s_delay_alu instid0(VALU_DEP_2) | instskip(NEXT) | instid1(VALU_DEP_2)
	v_mul_lo_u32 v5, v5, s21
	v_mul_lo_u32 v6, v6, s23
	s_delay_alu instid0(VALU_DEP_1) | instskip(NEXT) | instid1(VALU_DEP_1)
	v_sub_nc_u32_e32 v5, v5, v6
	v_cmp_lt_u32_e64 s11, s39, v5
	s_delay_alu instid0(VALU_DEP_1)
	s_and_b32 s53, s11, exec_lo
; %bb.31:
	s_or_b32 exec_lo, exec_lo, s12
	v_add_nc_u32_e32 v5, s17, v11
	v_add_nc_u32_e32 v6, s19, v11
	s_mov_b32 s27, exec_lo
	s_delay_alu instid0(VALU_DEP_2) | instskip(NEXT) | instid1(VALU_DEP_2)
	v_mul_lo_u32 v5, v5, s16
	v_mul_lo_u32 v6, v6, s18
	s_delay_alu instid0(VALU_DEP_1) | instskip(NEXT) | instid1(VALU_DEP_1)
	v_sub_nc_u32_e32 v5, v5, v6
	v_cmp_lt_u32_e64 s11, s20, v5
	v_cmpx_ge_u32_e64 s20, v5
; %bb.32:
	v_add_nc_u32_e32 v5, s22, v11
	v_add_nc_u32_e32 v6, s38, v11
	s_delay_alu instid0(VALU_DEP_2) | instskip(NEXT) | instid1(VALU_DEP_2)
	v_mul_lo_u32 v5, v5, s21
	v_mul_lo_u32 v6, v6, s23
	s_delay_alu instid0(VALU_DEP_1) | instskip(NEXT) | instid1(VALU_DEP_1)
	v_sub_nc_u32_e32 v5, v5, v6
	v_cmp_lt_u32_e64 s12, s39, v5
	s_delay_alu instid0(VALU_DEP_1)
	s_and_b32 s52, s12, exec_lo
; %bb.33:
	s_or_b32 exec_lo, exec_lo, s27
	v_add_nc_u32_e32 v5, s17, v32
	v_add_nc_u32_e32 v6, s19, v32
	s_mov_b32 s27, -1
	s_mov_b32 s49, 0
	s_mov_b32 s33, 0
	v_mul_lo_u32 v5, v5, s16
	v_mul_lo_u32 v6, v6, s18
	s_mov_b32 s54, exec_lo
	s_delay_alu instid0(VALU_DEP_1) | instskip(NEXT) | instid1(VALU_DEP_1)
	v_sub_nc_u32_e32 v5, v5, v6
	v_cmpx_ge_u32_e64 s20, v5
; %bb.34:
	v_add_nc_u32_e32 v5, s22, v32
	v_add_nc_u32_e32 v6, s38, v32
	s_xor_b32 s27, exec_lo, -1
	s_delay_alu instid0(VALU_DEP_2) | instskip(NEXT) | instid1(VALU_DEP_2)
	v_mul_lo_u32 v5, v5, s21
	v_mul_lo_u32 v6, v6, s23
	s_delay_alu instid0(VALU_DEP_1) | instskip(NEXT) | instid1(VALU_DEP_1)
	v_sub_nc_u32_e32 v5, v5, v6
	v_cmp_lt_u32_e64 s12, s39, v5
	s_delay_alu instid0(VALU_DEP_1)
	s_and_b32 s33, s12, exec_lo
; %bb.35:
	s_or_b32 exec_lo, exec_lo, s54
	v_cndmask_b32_e64 v53, 0, 1, s53
	v_cndmask_b32_e64 v56, 0, 1, s11
	;; [unrolled: 1-line block ×22, first 2 shown]
	v_cndmask_b32_e64 v34, 0, 1, vcc_lo
	v_cndmask_b32_e64 v57, 0, 1, s52
	s_and_b32 vcc_lo, exec_lo, s49
	s_add_i32 s4, s40, 0xd00
	s_cbranch_vccnz .LBB1912_37
	s_branch .LBB1912_90
.LBB1912_36:
                                        ; implicit-def: $sgpr27
                                        ; implicit-def: $sgpr33
                                        ; implicit-def: $vgpr57
                                        ; implicit-def: $vgpr53
                                        ; implicit-def: $vgpr52
                                        ; implicit-def: $vgpr50
                                        ; implicit-def: $vgpr48
                                        ; implicit-def: $vgpr46
                                        ; implicit-def: $vgpr44
                                        ; implicit-def: $vgpr42
                                        ; implicit-def: $vgpr39
                                        ; implicit-def: $vgpr34
                                        ; implicit-def: $vgpr37
                                        ; implicit-def: $vgpr36
                                        ; implicit-def: $vgpr41
                                        ; implicit-def: $vgpr43
                                        ; implicit-def: $vgpr45
                                        ; implicit-def: $vgpr47
                                        ; implicit-def: $vgpr49
                                        ; implicit-def: $vgpr51
                                        ; implicit-def: $vgpr54
                                        ; implicit-def: $vgpr55
                                        ; implicit-def: $vgpr56
                                        ; implicit-def: $vgpr35
                                        ; implicit-def: $vgpr40
                                        ; implicit-def: $vgpr38
	s_add_i32 s4, s40, 0xd00
	s_cbranch_execz .LBB1912_90
.LBB1912_37:
	v_dual_mov_b32 v35, 0 :: v_dual_mov_b32 v34, 0
	s_mov_b32 s3, 0
	s_mov_b32 s1, exec_lo
	v_cmpx_gt_u32_e64 s4, v33
	s_cbranch_execz .LBB1912_41
; %bb.38:
	v_add_nc_u32_e32 v5, s17, v20
	v_add_nc_u32_e32 v6, s19, v20
	s_mov_b32 s5, exec_lo
	s_delay_alu instid0(VALU_DEP_2) | instskip(NEXT) | instid1(VALU_DEP_2)
	v_mul_lo_u32 v5, v5, s16
	v_mul_lo_u32 v6, v6, s18
	s_delay_alu instid0(VALU_DEP_1) | instskip(NEXT) | instid1(VALU_DEP_1)
	v_sub_nc_u32_e32 v5, v5, v6
	v_cmp_lt_u32_e32 vcc_lo, s20, v5
	v_cmpx_ge_u32_e64 s20, v5
; %bb.39:
	v_add_nc_u32_e32 v5, s22, v20
	v_add_nc_u32_e32 v6, s38, v20
	s_delay_alu instid0(VALU_DEP_2) | instskip(NEXT) | instid1(VALU_DEP_2)
	v_mul_lo_u32 v5, v5, s21
	v_mul_lo_u32 v6, v6, s23
	s_delay_alu instid0(VALU_DEP_1) | instskip(NEXT) | instid1(VALU_DEP_1)
	v_sub_nc_u32_e32 v5, v5, v6
	v_cmp_lt_u32_e64 s0, s39, v5
	s_delay_alu instid0(VALU_DEP_1)
	s_and_b32 s3, s0, exec_lo
; %bb.40:
	s_or_b32 exec_lo, exec_lo, s5
	v_cndmask_b32_e64 v34, 0, 1, vcc_lo
	v_cndmask_b32_e64 v35, 0, 1, s3
.LBB1912_41:
	s_or_b32 exec_lo, exec_lo, s1
	v_dual_mov_b32 v40, 0 :: v_dual_add_nc_u32 v5, 1, v33
	v_mov_b32_e32 v37, 0
	s_mov_b32 s3, 0
	s_mov_b32 s1, exec_lo
	s_delay_alu instid0(VALU_DEP_2)
	v_cmpx_gt_u32_e64 s4, v5
	s_cbranch_execz .LBB1912_45
; %bb.42:
	v_add_nc_u32_e32 v5, s17, v21
	v_add_nc_u32_e32 v6, s19, v21
	s_mov_b32 s5, exec_lo
	s_delay_alu instid0(VALU_DEP_2) | instskip(NEXT) | instid1(VALU_DEP_2)
	v_mul_lo_u32 v5, v5, s16
	v_mul_lo_u32 v6, v6, s18
	s_delay_alu instid0(VALU_DEP_1) | instskip(NEXT) | instid1(VALU_DEP_1)
	v_sub_nc_u32_e32 v5, v5, v6
	v_cmp_lt_u32_e32 vcc_lo, s20, v5
	v_cmpx_ge_u32_e64 s20, v5
; %bb.43:
	v_add_nc_u32_e32 v5, s22, v21
	v_add_nc_u32_e32 v6, s38, v21
	s_delay_alu instid0(VALU_DEP_2) | instskip(NEXT) | instid1(VALU_DEP_2)
	v_mul_lo_u32 v5, v5, s21
	v_mul_lo_u32 v6, v6, s23
	s_delay_alu instid0(VALU_DEP_1) | instskip(NEXT) | instid1(VALU_DEP_1)
	v_sub_nc_u32_e32 v5, v5, v6
	v_cmp_lt_u32_e64 s0, s39, v5
	s_delay_alu instid0(VALU_DEP_1)
	s_and_b32 s3, s0, exec_lo
; %bb.44:
	s_or_b32 exec_lo, exec_lo, s5
	v_cndmask_b32_e64 v37, 0, 1, vcc_lo
	v_cndmask_b32_e64 v40, 0, 1, s3
.LBB1912_45:
	s_or_b32 exec_lo, exec_lo, s1
	v_dual_mov_b32 v36, 0 :: v_dual_add_nc_u32 v5, 2, v33
	v_mov_b32_e32 v38, 0
	s_mov_b32 s3, 0
	s_mov_b32 s1, exec_lo
	s_delay_alu instid0(VALU_DEP_2)
	v_cmpx_gt_u32_e64 s4, v5
	s_cbranch_execz .LBB1912_49
; %bb.46:
	v_add_nc_u32_e32 v5, s17, v18
	v_add_nc_u32_e32 v6, s19, v18
	s_mov_b32 s5, exec_lo
	s_delay_alu instid0(VALU_DEP_2) | instskip(NEXT) | instid1(VALU_DEP_2)
	v_mul_lo_u32 v5, v5, s16
	v_mul_lo_u32 v6, v6, s18
	s_delay_alu instid0(VALU_DEP_1) | instskip(NEXT) | instid1(VALU_DEP_1)
	v_sub_nc_u32_e32 v5, v5, v6
	v_cmp_lt_u32_e32 vcc_lo, s20, v5
	v_cmpx_ge_u32_e64 s20, v5
; %bb.47:
	v_add_nc_u32_e32 v5, s22, v18
	v_add_nc_u32_e32 v6, s38, v18
	s_delay_alu instid0(VALU_DEP_2) | instskip(NEXT) | instid1(VALU_DEP_2)
	v_mul_lo_u32 v5, v5, s21
	v_mul_lo_u32 v6, v6, s23
	s_delay_alu instid0(VALU_DEP_1) | instskip(NEXT) | instid1(VALU_DEP_1)
	v_sub_nc_u32_e32 v5, v5, v6
	v_cmp_lt_u32_e64 s0, s39, v5
	s_delay_alu instid0(VALU_DEP_1)
	s_and_b32 s3, s0, exec_lo
; %bb.48:
	s_or_b32 exec_lo, exec_lo, s5
	v_cndmask_b32_e64 v36, 0, 1, vcc_lo
	v_cndmask_b32_e64 v38, 0, 1, s3
.LBB1912_49:
	s_or_b32 exec_lo, exec_lo, s1
	v_add_nc_u32_e32 v5, 3, v33
	v_mov_b32_e32 v39, 0
	v_mov_b32_e32 v41, 0
	s_mov_b32 s3, 0
	s_mov_b32 s1, exec_lo
	v_cmpx_gt_u32_e64 s4, v5
	s_cbranch_execz .LBB1912_53
; %bb.50:
	v_add_nc_u32_e32 v5, s17, v19
	v_add_nc_u32_e32 v6, s19, v19
	s_mov_b32 s5, exec_lo
	s_delay_alu instid0(VALU_DEP_2) | instskip(NEXT) | instid1(VALU_DEP_2)
	v_mul_lo_u32 v5, v5, s16
	v_mul_lo_u32 v6, v6, s18
	s_delay_alu instid0(VALU_DEP_1) | instskip(NEXT) | instid1(VALU_DEP_1)
	v_sub_nc_u32_e32 v5, v5, v6
	v_cmp_lt_u32_e32 vcc_lo, s20, v5
	v_cmpx_ge_u32_e64 s20, v5
; %bb.51:
	v_add_nc_u32_e32 v5, s22, v19
	v_add_nc_u32_e32 v6, s38, v19
	s_delay_alu instid0(VALU_DEP_2) | instskip(NEXT) | instid1(VALU_DEP_2)
	v_mul_lo_u32 v5, v5, s21
	v_mul_lo_u32 v6, v6, s23
	s_delay_alu instid0(VALU_DEP_1) | instskip(NEXT) | instid1(VALU_DEP_1)
	v_sub_nc_u32_e32 v5, v5, v6
	v_cmp_lt_u32_e64 s0, s39, v5
	s_delay_alu instid0(VALU_DEP_1)
	s_and_b32 s3, s0, exec_lo
; %bb.52:
	s_or_b32 exec_lo, exec_lo, s5
	v_cndmask_b32_e64 v41, 0, 1, vcc_lo
	v_cndmask_b32_e64 v39, 0, 1, s3
.LBB1912_53:
	s_or_b32 exec_lo, exec_lo, s1
	v_dual_mov_b32 v42, 0 :: v_dual_add_nc_u32 v5, 4, v33
	v_mov_b32_e32 v43, 0
	s_mov_b32 s3, 0
	s_mov_b32 s1, exec_lo
	s_delay_alu instid0(VALU_DEP_2)
	v_cmpx_gt_u32_e64 s4, v5
	s_cbranch_execz .LBB1912_57
; %bb.54:
	v_add_nc_u32_e32 v5, s17, v16
	v_add_nc_u32_e32 v6, s19, v16
	s_mov_b32 s5, exec_lo
	s_delay_alu instid0(VALU_DEP_2) | instskip(NEXT) | instid1(VALU_DEP_2)
	v_mul_lo_u32 v5, v5, s16
	v_mul_lo_u32 v6, v6, s18
	s_delay_alu instid0(VALU_DEP_1) | instskip(NEXT) | instid1(VALU_DEP_1)
	v_sub_nc_u32_e32 v5, v5, v6
	v_cmp_lt_u32_e32 vcc_lo, s20, v5
	v_cmpx_ge_u32_e64 s20, v5
; %bb.55:
	v_add_nc_u32_e32 v5, s22, v16
	v_add_nc_u32_e32 v6, s38, v16
	s_delay_alu instid0(VALU_DEP_2) | instskip(NEXT) | instid1(VALU_DEP_2)
	v_mul_lo_u32 v5, v5, s21
	v_mul_lo_u32 v6, v6, s23
	s_delay_alu instid0(VALU_DEP_1) | instskip(NEXT) | instid1(VALU_DEP_1)
	v_sub_nc_u32_e32 v5, v5, v6
	v_cmp_lt_u32_e64 s0, s39, v5
	s_delay_alu instid0(VALU_DEP_1)
	s_and_b32 s3, s0, exec_lo
; %bb.56:
	s_or_b32 exec_lo, exec_lo, s5
	v_cndmask_b32_e64 v43, 0, 1, vcc_lo
	v_cndmask_b32_e64 v42, 0, 1, s3
.LBB1912_57:
	s_or_b32 exec_lo, exec_lo, s1
	v_dual_mov_b32 v44, 0 :: v_dual_add_nc_u32 v5, 5, v33
	v_mov_b32_e32 v45, 0
	s_mov_b32 s3, 0
	s_mov_b32 s1, exec_lo
	s_delay_alu instid0(VALU_DEP_2)
	;; [unrolled: 35-line block ×6, first 2 shown]
	v_cmpx_gt_u32_e64 s4, v5
	s_cbranch_execz .LBB1912_77
; %bb.74:
	v_add_nc_u32_e32 v5, s17, v13
	v_add_nc_u32_e32 v6, s19, v13
	s_mov_b32 s5, exec_lo
	s_delay_alu instid0(VALU_DEP_2) | instskip(NEXT) | instid1(VALU_DEP_2)
	v_mul_lo_u32 v5, v5, s16
	v_mul_lo_u32 v6, v6, s18
	s_delay_alu instid0(VALU_DEP_1) | instskip(NEXT) | instid1(VALU_DEP_1)
	v_sub_nc_u32_e32 v5, v5, v6
	v_cmp_lt_u32_e32 vcc_lo, s20, v5
	v_cmpx_ge_u32_e64 s20, v5
; %bb.75:
	v_add_nc_u32_e32 v5, s22, v13
	v_add_nc_u32_e32 v6, s38, v13
	s_delay_alu instid0(VALU_DEP_2) | instskip(NEXT) | instid1(VALU_DEP_2)
	v_mul_lo_u32 v5, v5, s21
	v_mul_lo_u32 v6, v6, s23
	s_delay_alu instid0(VALU_DEP_1) | instskip(NEXT) | instid1(VALU_DEP_1)
	v_sub_nc_u32_e32 v5, v5, v6
	v_cmp_lt_u32_e64 s0, s39, v5
	s_delay_alu instid0(VALU_DEP_1)
	s_and_b32 s3, s0, exec_lo
; %bb.76:
	s_or_b32 exec_lo, exec_lo, s5
	v_cndmask_b32_e64 v54, 0, 1, vcc_lo
	v_cndmask_b32_e64 v52, 0, 1, s3
.LBB1912_77:
	s_or_b32 exec_lo, exec_lo, s1
	v_add_nc_u32_e32 v5, 10, v33
	v_mov_b32_e32 v53, 0
	v_mov_b32_e32 v55, 0
	s_mov_b32 s3, 0
	s_mov_b32 s1, exec_lo
	v_cmpx_gt_u32_e64 s4, v5
	s_cbranch_execz .LBB1912_81
; %bb.78:
	v_add_nc_u32_e32 v5, s17, v10
	v_add_nc_u32_e32 v6, s19, v10
	s_mov_b32 s5, exec_lo
	s_delay_alu instid0(VALU_DEP_2) | instskip(NEXT) | instid1(VALU_DEP_2)
	v_mul_lo_u32 v5, v5, s16
	v_mul_lo_u32 v6, v6, s18
	s_delay_alu instid0(VALU_DEP_1) | instskip(NEXT) | instid1(VALU_DEP_1)
	v_sub_nc_u32_e32 v5, v5, v6
	v_cmp_lt_u32_e32 vcc_lo, s20, v5
	v_cmpx_ge_u32_e64 s20, v5
; %bb.79:
	v_add_nc_u32_e32 v5, s22, v10
	v_add_nc_u32_e32 v6, s38, v10
	s_delay_alu instid0(VALU_DEP_2) | instskip(NEXT) | instid1(VALU_DEP_2)
	v_mul_lo_u32 v5, v5, s21
	v_mul_lo_u32 v6, v6, s23
	s_delay_alu instid0(VALU_DEP_1) | instskip(NEXT) | instid1(VALU_DEP_1)
	v_sub_nc_u32_e32 v5, v5, v6
	v_cmp_lt_u32_e64 s0, s39, v5
	s_delay_alu instid0(VALU_DEP_1)
	s_and_b32 s3, s0, exec_lo
; %bb.80:
	s_or_b32 exec_lo, exec_lo, s5
	v_cndmask_b32_e64 v55, 0, 1, vcc_lo
	v_cndmask_b32_e64 v53, 0, 1, s3
.LBB1912_81:
	s_or_b32 exec_lo, exec_lo, s1
	v_dual_mov_b32 v56, 0 :: v_dual_add_nc_u32 v5, 11, v33
	v_mov_b32_e32 v57, 0
	s_mov_b32 s3, 0
	s_mov_b32 s1, exec_lo
	s_delay_alu instid0(VALU_DEP_2)
	v_cmpx_gt_u32_e64 s4, v5
	s_cbranch_execz .LBB1912_85
; %bb.82:
	v_add_nc_u32_e32 v5, s17, v11
	v_add_nc_u32_e32 v6, s19, v11
	s_mov_b32 s5, exec_lo
	s_delay_alu instid0(VALU_DEP_2) | instskip(NEXT) | instid1(VALU_DEP_2)
	v_mul_lo_u32 v5, v5, s16
	v_mul_lo_u32 v6, v6, s18
	s_delay_alu instid0(VALU_DEP_1) | instskip(NEXT) | instid1(VALU_DEP_1)
	v_sub_nc_u32_e32 v5, v5, v6
	v_cmp_lt_u32_e32 vcc_lo, s20, v5
	v_cmpx_ge_u32_e64 s20, v5
; %bb.83:
	v_add_nc_u32_e32 v5, s22, v11
	v_add_nc_u32_e32 v6, s38, v11
	s_delay_alu instid0(VALU_DEP_2) | instskip(NEXT) | instid1(VALU_DEP_2)
	v_mul_lo_u32 v5, v5, s21
	v_mul_lo_u32 v6, v6, s23
	s_delay_alu instid0(VALU_DEP_1) | instskip(NEXT) | instid1(VALU_DEP_1)
	v_sub_nc_u32_e32 v5, v5, v6
	v_cmp_lt_u32_e64 s0, s39, v5
	s_delay_alu instid0(VALU_DEP_1)
	s_and_b32 s3, s0, exec_lo
; %bb.84:
	s_or_b32 exec_lo, exec_lo, s5
	v_cndmask_b32_e64 v56, 0, 1, vcc_lo
	v_cndmask_b32_e64 v57, 0, 1, s3
.LBB1912_85:
	s_or_b32 exec_lo, exec_lo, s1
	v_add_nc_u32_e32 v5, 12, v33
	s_mov_b32 s27, 0
	s_mov_b32 s33, 0
	s_mov_b32 s0, exec_lo
	s_delay_alu instid0(VALU_DEP_1)
	v_cmpx_gt_u32_e64 s4, v5
	s_cbranch_execz .LBB1912_89
; %bb.86:
	v_add_nc_u32_e32 v5, s17, v32
	v_add_nc_u32_e32 v6, s19, v32
	s_mov_b32 s3, -1
	s_mov_b32 s5, 0
	s_mov_b32 s1, exec_lo
	v_mul_lo_u32 v5, v5, s16
	v_mul_lo_u32 v6, v6, s18
	s_delay_alu instid0(VALU_DEP_1) | instskip(NEXT) | instid1(VALU_DEP_1)
	v_sub_nc_u32_e32 v5, v5, v6
	v_cmpx_ge_u32_e64 s20, v5
; %bb.87:
	v_add_nc_u32_e32 v5, s22, v32
	v_add_nc_u32_e32 v6, s38, v32
	s_xor_b32 s3, exec_lo, -1
	s_delay_alu instid0(VALU_DEP_2) | instskip(NEXT) | instid1(VALU_DEP_2)
	v_mul_lo_u32 v5, v5, s21
	v_mul_lo_u32 v6, v6, s23
	s_delay_alu instid0(VALU_DEP_1) | instskip(NEXT) | instid1(VALU_DEP_1)
	v_sub_nc_u32_e32 v5, v5, v6
	v_cmp_lt_u32_e32 vcc_lo, s39, v5
	s_and_b32 s5, vcc_lo, exec_lo
; %bb.88:
	s_or_b32 exec_lo, exec_lo, s1
	s_delay_alu instid0(SALU_CYCLE_1)
	s_and_b32 s33, s5, exec_lo
	s_and_b32 s27, s3, exec_lo
.LBB1912_89:
	s_or_b32 exec_lo, exec_lo, s0
.LBB1912_90:
	v_and_b32_e32 v80, 0xff, v34
	v_and_b32_e32 v81, 0xff, v35
	;; [unrolled: 1-line block ×10, first 2 shown]
	v_add3_u32 v5, v76, v78, v80
	v_add3_u32 v6, v77, v79, v81
	v_and_b32_e32 v70, 0xff, v45
	v_and_b32_e32 v71, 0xff, v44
	v_and_b32_e32 v64, 0xff, v47
	v_and_b32_e32 v65, 0xff, v46
	v_add3_u32 v5, v5, v74, v72
	v_add3_u32 v6, v6, v75, v73
	v_and_b32_e32 v68, 0xff, v49
	v_and_b32_e32 v69, 0xff, v48
	v_and_b32_e32 v66, 0xff, v51
	v_and_b32_e32 v67, 0xff, v50
	;; [unrolled: 6-line block ×3, first 2 shown]
	v_add3_u32 v5, v5, v68, v66
	v_add3_u32 v6, v6, v69, v67
	v_mbcnt_lo_u32_b32 v82, -1, 0
	v_and_b32_e32 v58, 0xff, v56
	v_and_b32_e32 v59, 0xff, v57
	v_cndmask_b32_e64 v7, 0, 1, s33
	v_add3_u32 v5, v5, v61, v60
	v_cndmask_b32_e64 v8, 0, 1, s27
	v_add3_u32 v6, v6, v62, v63
	v_and_b32_e32 v86, 15, v82
	v_and_b32_e32 v85, 16, v82
	v_lshrrev_b32_e32 v83, 5, v0
	v_add3_u32 v87, v5, v58, v8
	v_add3_u32 v88, v6, v59, v7
	v_cmp_eq_u32_e64 s1, 0, v86
	v_cmp_lt_u32_e64 s0, 1, v86
	v_cmp_lt_u32_e64 s3, 3, v86
	v_cmp_lt_u32_e32 vcc_lo, 7, v86
	v_or_b32_e32 v84, 31, v0
	s_cmp_lg_u32 s26, 0
	s_mov_b32 s5, -1
	s_cbranch_scc0 .LBB1912_118
; %bb.91:
	v_mov_b32_dpp v5, v88 row_shr:1 row_mask:0xf bank_mask:0xf
	v_mov_b32_dpp v6, v87 row_shr:1 row_mask:0xf bank_mask:0xf
	s_delay_alu instid0(VALU_DEP_2) | instskip(NEXT) | instid1(VALU_DEP_2)
	v_add_nc_u32_e32 v5, v5, v88
	v_add_nc_u32_e32 v6, v6, v87
	s_delay_alu instid0(VALU_DEP_2) | instskip(NEXT) | instid1(VALU_DEP_2)
	v_cndmask_b32_e64 v5, v5, v88, s1
	v_cndmask_b32_e64 v6, v6, v87, s1
	s_delay_alu instid0(VALU_DEP_2) | instskip(NEXT) | instid1(VALU_DEP_2)
	v_mov_b32_dpp v7, v5 row_shr:2 row_mask:0xf bank_mask:0xf
	v_mov_b32_dpp v8, v6 row_shr:2 row_mask:0xf bank_mask:0xf
	s_delay_alu instid0(VALU_DEP_2) | instskip(NEXT) | instid1(VALU_DEP_1)
	v_add_nc_u32_e32 v7, v5, v7
	v_cndmask_b32_e64 v5, v5, v7, s0
	s_delay_alu instid0(VALU_DEP_1) | instskip(NEXT) | instid1(VALU_DEP_1)
	v_mov_b32_dpp v7, v5 row_shr:4 row_mask:0xf bank_mask:0xf
	v_add_nc_u32_e32 v7, v5, v7
	s_delay_alu instid0(VALU_DEP_1) | instskip(NEXT) | instid1(VALU_DEP_1)
	v_cndmask_b32_e64 v5, v5, v7, s3
	v_mov_b32_dpp v7, v5 row_shr:8 row_mask:0xf bank_mask:0xf
	s_delay_alu instid0(VALU_DEP_1) | instskip(NEXT) | instid1(VALU_DEP_1)
	v_add_nc_u32_e32 v7, v5, v7
	v_dual_cndmask_b32 v5, v5, v7 :: v_dual_add_nc_u32 v8, v6, v8
	s_delay_alu instid0(VALU_DEP_1) | instskip(NEXT) | instid1(VALU_DEP_1)
	v_cndmask_b32_e64 v6, v6, v8, s0
	v_mov_b32_dpp v8, v6 row_shr:4 row_mask:0xf bank_mask:0xf
	s_delay_alu instid0(VALU_DEP_1) | instskip(NEXT) | instid1(VALU_DEP_1)
	v_add_nc_u32_e32 v8, v6, v8
	v_cndmask_b32_e64 v6, v6, v8, s3
	s_mov_b32 s3, exec_lo
	s_delay_alu instid0(VALU_DEP_1) | instskip(NEXT) | instid1(VALU_DEP_1)
	v_mov_b32_dpp v8, v6 row_shr:8 row_mask:0xf bank_mask:0xf
	v_add_nc_u32_e32 v8, v6, v8
	s_delay_alu instid0(VALU_DEP_1)
	v_cndmask_b32_e32 v7, v6, v8, vcc_lo
	ds_swizzle_b32 v6, v5 offset:swizzle(BROADCAST,32,15)
	v_cmp_eq_u32_e32 vcc_lo, 0, v85
	s_waitcnt lgkmcnt(0)
	v_add_nc_u32_e32 v6, v5, v6
	ds_swizzle_b32 v8, v7 offset:swizzle(BROADCAST,32,15)
	v_cndmask_b32_e32 v6, v6, v5, vcc_lo
	s_waitcnt lgkmcnt(0)
	v_add_nc_u32_e32 v8, v7, v8
	s_delay_alu instid0(VALU_DEP_1)
	v_cndmask_b32_e32 v5, v8, v7, vcc_lo
	v_cmpx_eq_u32_e64 v84, v0
	s_cbranch_execz .LBB1912_93
; %bb.92:
	v_lshlrev_b32_e32 v7, 3, v83
	ds_store_b64 v7, v[5:6]
.LBB1912_93:
	s_or_b32 exec_lo, exec_lo, s3
	s_delay_alu instid0(SALU_CYCLE_1)
	s_mov_b32 s3, exec_lo
	s_waitcnt lgkmcnt(0)
	s_barrier
	buffer_gl0_inv
	v_cmpx_gt_u32_e32 8, v0
	s_cbranch_execz .LBB1912_95
; %bb.94:
	v_lshlrev_b32_e32 v9, 3, v0
	ds_load_b64 v[7:8], v9
	s_waitcnt lgkmcnt(0)
	v_mov_b32_dpp v22, v7 row_shr:1 row_mask:0xf bank_mask:0xf
	v_mov_b32_dpp v23, v8 row_shr:1 row_mask:0xf bank_mask:0xf
	s_delay_alu instid0(VALU_DEP_2) | instskip(SKIP_1) | instid1(VALU_DEP_3)
	v_add_nc_u32_e32 v22, v22, v7
	v_and_b32_e32 v24, 7, v82
	v_add_nc_u32_e32 v23, v23, v8
	s_delay_alu instid0(VALU_DEP_2) | instskip(NEXT) | instid1(VALU_DEP_2)
	v_cmp_eq_u32_e32 vcc_lo, 0, v24
	v_dual_cndmask_b32 v8, v23, v8 :: v_dual_cndmask_b32 v7, v22, v7
	v_cmp_lt_u32_e32 vcc_lo, 1, v24
	s_delay_alu instid0(VALU_DEP_2) | instskip(NEXT) | instid1(VALU_DEP_3)
	v_mov_b32_dpp v23, v8 row_shr:2 row_mask:0xf bank_mask:0xf
	v_mov_b32_dpp v22, v7 row_shr:2 row_mask:0xf bank_mask:0xf
	s_delay_alu instid0(VALU_DEP_2) | instskip(NEXT) | instid1(VALU_DEP_2)
	v_add_nc_u32_e32 v23, v8, v23
	v_add_nc_u32_e32 v22, v7, v22
	s_delay_alu instid0(VALU_DEP_1) | instskip(SKIP_1) | instid1(VALU_DEP_2)
	v_dual_cndmask_b32 v8, v8, v23 :: v_dual_cndmask_b32 v7, v7, v22
	v_cmp_lt_u32_e32 vcc_lo, 3, v24
	v_mov_b32_dpp v23, v8 row_shr:4 row_mask:0xf bank_mask:0xf
	s_delay_alu instid0(VALU_DEP_3) | instskip(NEXT) | instid1(VALU_DEP_1)
	v_mov_b32_dpp v22, v7 row_shr:4 row_mask:0xf bank_mask:0xf
	v_dual_cndmask_b32 v23, 0, v23 :: v_dual_cndmask_b32 v22, 0, v22
	s_delay_alu instid0(VALU_DEP_1) | instskip(NEXT) | instid1(VALU_DEP_2)
	v_add_nc_u32_e32 v8, v23, v8
	v_add_nc_u32_e32 v7, v22, v7
	ds_store_b64 v9, v[7:8]
.LBB1912_95:
	s_or_b32 exec_lo, exec_lo, s3
	v_cmp_gt_u32_e32 vcc_lo, 32, v0
	v_cmp_lt_u32_e64 s3, 31, v0
	s_waitcnt lgkmcnt(0)
	s_barrier
	buffer_gl0_inv
                                        ; implicit-def: $vgpr23
	s_and_saveexec_b32 s5, s3
	s_delay_alu instid0(SALU_CYCLE_1)
	s_xor_b32 s3, exec_lo, s5
	s_cbranch_execz .LBB1912_97
; %bb.96:
	v_lshl_add_u32 v7, v83, 3, -8
	ds_load_b64 v[22:23], v7
	s_waitcnt lgkmcnt(0)
	v_add_nc_u32_e32 v6, v23, v6
	v_add_nc_u32_e32 v5, v22, v5
.LBB1912_97:
	s_and_not1_saveexec_b32 s3, s3
; %bb.98:
                                        ; implicit-def: $vgpr22
; %bb.99:
	s_delay_alu instid0(SALU_CYCLE_1) | instskip(SKIP_1) | instid1(VALU_DEP_1)
	s_or_b32 exec_lo, exec_lo, s3
	v_add_nc_u32_e32 v7, -1, v82
	v_cmp_gt_i32_e64 s3, 0, v7
	s_delay_alu instid0(VALU_DEP_1) | instskip(SKIP_1) | instid1(VALU_DEP_2)
	v_cndmask_b32_e64 v7, v7, v82, s3
	v_cmp_eq_u32_e64 s3, 0, v82
	v_lshlrev_b32_e32 v7, 2, v7
	ds_bpermute_b32 v89, v7, v5
	ds_bpermute_b32 v90, v7, v6
	s_and_saveexec_b32 s5, vcc_lo
	s_cbranch_execz .LBB1912_117
; %bb.100:
	v_mov_b32_e32 v8, 0
	ds_load_b64 v[5:6], v8 offset:56
	s_waitcnt lgkmcnt(0)
	v_readfirstlane_b32 s6, v6
	s_and_saveexec_b32 s7, s3
	s_cbranch_execz .LBB1912_102
; %bb.101:
	s_add_i32 s8, s26, 32
	s_mov_b32 s9, 0
	v_mov_b32_e32 v7, 1
	s_lshl_b64 s[10:11], s[8:9], 4
	s_mov_b32 s16, s9
	s_add_u32 s10, s36, s10
	s_addc_u32 s11, s37, s11
	s_and_b32 s17, s6, 0xff000000
	s_and_b32 s19, s6, 0xff0000
	s_mov_b32 s18, s9
	v_dual_mov_b32 v25, s11 :: v_dual_mov_b32 v24, s10
	s_or_b64 s[16:17], s[18:19], s[16:17]
	s_and_b32 s19, s6, 0xff00
	s_delay_alu instid0(SALU_CYCLE_1) | instskip(SKIP_1) | instid1(SALU_CYCLE_1)
	s_or_b64 s[16:17], s[16:17], s[18:19]
	s_and_b32 s19, s6, 0xff
	s_or_b64 s[8:9], s[16:17], s[18:19]
	s_delay_alu instid0(SALU_CYCLE_1)
	v_mov_b32_e32 v6, s9
	;;#ASMSTART
	global_store_dwordx4 v[24:25], v[5:8] off	
s_waitcnt vmcnt(0)
	;;#ASMEND
.LBB1912_102:
	s_or_b32 exec_lo, exec_lo, s7
	v_xad_u32 v24, v82, -1, s26
	s_mov_b32 s8, 0
	s_mov_b32 s7, exec_lo
	s_delay_alu instid0(VALU_DEP_1) | instskip(NEXT) | instid1(VALU_DEP_1)
	v_add_nc_u32_e32 v7, 32, v24
	v_lshlrev_b64 v[6:7], 4, v[7:8]
	s_delay_alu instid0(VALU_DEP_1) | instskip(NEXT) | instid1(VALU_DEP_2)
	v_add_co_u32 v25, vcc_lo, s36, v6
	v_add_co_ci_u32_e32 v26, vcc_lo, s37, v7, vcc_lo
	;;#ASMSTART
	global_load_dwordx4 v[6:9], v[25:26] off glc	
s_waitcnt vmcnt(0)
	;;#ASMEND
	v_and_b32_e32 v9, 0xff, v7
	v_and_b32_e32 v27, 0xff00, v7
	v_or3_b32 v6, v6, 0, 0
	v_and_b32_e32 v28, 0xff000000, v7
	v_and_b32_e32 v7, 0xff0000, v7
	s_delay_alu instid0(VALU_DEP_4) | instskip(SKIP_2) | instid1(VALU_DEP_3)
	v_or3_b32 v9, 0, v9, v27
	v_and_b32_e32 v27, 0xff, v8
	v_or3_b32 v6, v6, 0, 0
	v_or3_b32 v7, v9, v7, v28
	s_delay_alu instid0(VALU_DEP_3)
	v_cmpx_eq_u16_e32 0, v27
	s_cbranch_execz .LBB1912_105
.LBB1912_103:                           ; =>This Inner Loop Header: Depth=1
	;;#ASMSTART
	global_load_dwordx4 v[6:9], v[25:26] off glc	
s_waitcnt vmcnt(0)
	;;#ASMEND
	v_and_b32_e32 v9, 0xff, v8
	s_delay_alu instid0(VALU_DEP_1) | instskip(SKIP_1) | instid1(SALU_CYCLE_1)
	v_cmp_ne_u16_e32 vcc_lo, 0, v9
	s_or_b32 s8, vcc_lo, s8
	s_and_not1_b32 exec_lo, exec_lo, s8
	s_cbranch_execnz .LBB1912_103
; %bb.104:
	s_or_b32 exec_lo, exec_lo, s8
.LBB1912_105:
	s_delay_alu instid0(SALU_CYCLE_1) | instskip(SKIP_3) | instid1(VALU_DEP_1)
	s_or_b32 exec_lo, exec_lo, s7
	v_cmp_ne_u32_e32 vcc_lo, 31, v82
	v_lshlrev_b32_e64 v92, v82, -1
	v_add_co_ci_u32_e32 v9, vcc_lo, 0, v82, vcc_lo
	v_lshlrev_b32_e32 v91, 2, v9
	ds_bpermute_b32 v25, v91, v7
	ds_bpermute_b32 v9, v91, v6
	s_waitcnt lgkmcnt(1)
	v_add_nc_u32_e32 v25, v25, v7
	v_and_b32_e32 v26, 0xff, v8
	s_waitcnt lgkmcnt(0)
	v_add_nc_u32_e32 v9, v9, v6
	s_delay_alu instid0(VALU_DEP_2) | instskip(SKIP_2) | instid1(VALU_DEP_2)
	v_cmp_eq_u16_e32 vcc_lo, 2, v26
	v_and_or_b32 v26, vcc_lo, v92, 0x80000000
	v_cmp_gt_u32_e32 vcc_lo, 30, v82
	v_ctz_i32_b32_e32 v26, v26
	v_cndmask_b32_e64 v27, 0, 1, vcc_lo
	s_delay_alu instid0(VALU_DEP_2) | instskip(NEXT) | instid1(VALU_DEP_2)
	v_cmp_lt_u32_e32 vcc_lo, v82, v26
	v_dual_cndmask_b32 v6, v6, v9 :: v_dual_lshlrev_b32 v27, 1, v27
	s_delay_alu instid0(VALU_DEP_1)
	v_add_lshl_u32 v93, v27, v82, 2
	v_cndmask_b32_e32 v7, v7, v25, vcc_lo
	v_cmp_gt_u32_e32 vcc_lo, 28, v82
	ds_bpermute_b32 v9, v93, v6
	ds_bpermute_b32 v25, v93, v7
	v_cndmask_b32_e64 v27, 0, 1, vcc_lo
	s_waitcnt lgkmcnt(1)
	v_add_nc_u32_e32 v9, v6, v9
	s_waitcnt lgkmcnt(0)
	v_add_nc_u32_e32 v25, v7, v25
	v_add_nc_u32_e32 v94, 2, v82
	s_delay_alu instid0(VALU_DEP_1) | instskip(NEXT) | instid1(VALU_DEP_3)
	v_cmp_gt_u32_e32 vcc_lo, v94, v26
	v_cndmask_b32_e32 v7, v25, v7, vcc_lo
	v_dual_cndmask_b32 v6, v9, v6 :: v_dual_lshlrev_b32 v27, 2, v27
	v_cmp_gt_u32_e32 vcc_lo, 24, v82
	s_delay_alu instid0(VALU_DEP_2) | instskip(SKIP_4) | instid1(VALU_DEP_1)
	v_add_lshl_u32 v95, v27, v82, 2
	v_cndmask_b32_e64 v27, 0, 1, vcc_lo
	ds_bpermute_b32 v25, v95, v7
	ds_bpermute_b32 v9, v95, v6
	v_lshlrev_b32_e32 v27, 3, v27
	v_add_lshl_u32 v97, v27, v82, 2
	s_waitcnt lgkmcnt(1)
	v_add_nc_u32_e32 v25, v7, v25
	v_add_nc_u32_e32 v96, 4, v82
	s_waitcnt lgkmcnt(0)
	v_add_nc_u32_e32 v9, v6, v9
	s_delay_alu instid0(VALU_DEP_2) | instskip(SKIP_1) | instid1(VALU_DEP_3)
	v_cmp_gt_u32_e32 vcc_lo, v96, v26
	v_cndmask_b32_e32 v7, v25, v7, vcc_lo
	v_cndmask_b32_e32 v6, v9, v6, vcc_lo
	v_cmp_gt_u32_e32 vcc_lo, 16, v82
	ds_bpermute_b32 v25, v97, v7
	ds_bpermute_b32 v9, v97, v6
	v_cndmask_b32_e64 v27, 0, 1, vcc_lo
	s_delay_alu instid0(VALU_DEP_1) | instskip(NEXT) | instid1(VALU_DEP_1)
	v_lshlrev_b32_e32 v27, 4, v27
	v_add_lshl_u32 v99, v27, v82, 2
	s_waitcnt lgkmcnt(1)
	v_add_nc_u32_e32 v25, v7, v25
	v_add_nc_u32_e32 v98, 8, v82
	s_waitcnt lgkmcnt(0)
	v_add_nc_u32_e32 v9, v6, v9
	s_delay_alu instid0(VALU_DEP_2) | instskip(SKIP_1) | instid1(VALU_DEP_3)
	v_cmp_gt_u32_e32 vcc_lo, v98, v26
	v_cndmask_b32_e32 v7, v25, v7, vcc_lo
	v_cndmask_b32_e32 v6, v9, v6, vcc_lo
	ds_bpermute_b32 v25, v99, v7
	ds_bpermute_b32 v9, v99, v6
	v_add_nc_u32_e32 v100, 16, v82
	s_delay_alu instid0(VALU_DEP_1) | instskip(SKIP_2) | instid1(VALU_DEP_1)
	v_cmp_le_u32_e32 vcc_lo, v100, v26
	s_waitcnt lgkmcnt(0)
	v_cndmask_b32_e32 v9, 0, v9, vcc_lo
	v_dual_cndmask_b32 v25, 0, v25 :: v_dual_add_nc_u32 v6, v9, v6
	s_delay_alu instid0(VALU_DEP_1)
	v_add_nc_u32_e32 v7, v25, v7
	v_mov_b32_e32 v25, 0
	s_branch .LBB1912_107
.LBB1912_106:                           ;   in Loop: Header=BB1912_107 Depth=1
	s_or_b32 exec_lo, exec_lo, s7
	ds_bpermute_b32 v9, v91, v6
	ds_bpermute_b32 v28, v91, v7
	v_subrev_nc_u32_e32 v24, 32, v24
	s_waitcnt lgkmcnt(1)
	v_add_nc_u32_e32 v9, v9, v6
	v_and_b32_e32 v29, 0xff, v8
	s_waitcnt lgkmcnt(0)
	v_add_nc_u32_e32 v28, v28, v7
	s_delay_alu instid0(VALU_DEP_2) | instskip(SKIP_1) | instid1(VALU_DEP_1)
	v_cmp_eq_u16_e32 vcc_lo, 2, v29
	v_and_or_b32 v29, vcc_lo, v92, 0x80000000
	v_ctz_i32_b32_e32 v29, v29
	s_delay_alu instid0(VALU_DEP_1)
	v_cmp_lt_u32_e32 vcc_lo, v82, v29
	v_cndmask_b32_e32 v6, v6, v9, vcc_lo
	ds_bpermute_b32 v9, v93, v6
	s_waitcnt lgkmcnt(0)
	v_add_nc_u32_e32 v9, v6, v9
	v_cndmask_b32_e32 v7, v7, v28, vcc_lo
	v_cmp_gt_u32_e32 vcc_lo, v94, v29
	s_delay_alu instid0(VALU_DEP_3)
	v_cndmask_b32_e32 v6, v9, v6, vcc_lo
	ds_bpermute_b32 v28, v93, v7
	ds_bpermute_b32 v9, v95, v6
	s_waitcnt lgkmcnt(1)
	v_add_nc_u32_e32 v28, v7, v28
	s_waitcnt lgkmcnt(0)
	v_add_nc_u32_e32 v9, v6, v9
	s_delay_alu instid0(VALU_DEP_2) | instskip(SKIP_1) | instid1(VALU_DEP_3)
	v_cndmask_b32_e32 v7, v28, v7, vcc_lo
	v_cmp_gt_u32_e32 vcc_lo, v96, v29
	v_cndmask_b32_e32 v6, v9, v6, vcc_lo
	ds_bpermute_b32 v28, v95, v7
	ds_bpermute_b32 v9, v97, v6
	s_waitcnt lgkmcnt(1)
	v_add_nc_u32_e32 v28, v7, v28
	s_waitcnt lgkmcnt(0)
	v_add_nc_u32_e32 v9, v6, v9
	s_delay_alu instid0(VALU_DEP_2) | instskip(SKIP_1) | instid1(VALU_DEP_3)
	v_cndmask_b32_e32 v7, v28, v7, vcc_lo
	v_cmp_gt_u32_e32 vcc_lo, v98, v29
	v_cndmask_b32_e32 v6, v9, v6, vcc_lo
	ds_bpermute_b32 v28, v97, v7
	ds_bpermute_b32 v9, v99, v6
	s_waitcnt lgkmcnt(1)
	v_add_nc_u32_e32 v28, v7, v28
	s_delay_alu instid0(VALU_DEP_1) | instskip(SKIP_4) | instid1(VALU_DEP_1)
	v_cndmask_b32_e32 v7, v28, v7, vcc_lo
	v_cmp_le_u32_e32 vcc_lo, v100, v29
	ds_bpermute_b32 v28, v99, v7
	s_waitcnt lgkmcnt(1)
	v_cndmask_b32_e32 v9, 0, v9, vcc_lo
	v_add3_u32 v6, v6, v26, v9
	s_waitcnt lgkmcnt(0)
	v_cndmask_b32_e32 v28, 0, v28, vcc_lo
	s_delay_alu instid0(VALU_DEP_1)
	v_add3_u32 v7, v7, v27, v28
.LBB1912_107:                           ; =>This Loop Header: Depth=1
                                        ;     Child Loop BB1912_110 Depth 2
	s_delay_alu instid0(VALU_DEP_1) | instskip(SKIP_1) | instid1(VALU_DEP_2)
	v_dual_mov_b32 v27, v7 :: v_dual_and_b32 v8, 0xff, v8
	v_mov_b32_e32 v26, v6
	v_cmp_ne_u16_e32 vcc_lo, 2, v8
	v_cndmask_b32_e64 v8, 0, 1, vcc_lo
	;;#ASMSTART
	;;#ASMEND
	s_delay_alu instid0(VALU_DEP_1)
	v_cmp_ne_u32_e32 vcc_lo, 0, v8
	s_cmp_lg_u32 vcc_lo, exec_lo
	s_cbranch_scc1 .LBB1912_112
; %bb.108:                              ;   in Loop: Header=BB1912_107 Depth=1
	v_lshlrev_b64 v[6:7], 4, v[24:25]
	s_mov_b32 s7, exec_lo
	s_delay_alu instid0(VALU_DEP_1) | instskip(NEXT) | instid1(VALU_DEP_2)
	v_add_co_u32 v28, vcc_lo, s36, v6
	v_add_co_ci_u32_e32 v29, vcc_lo, s37, v7, vcc_lo
	;;#ASMSTART
	global_load_dwordx4 v[6:9], v[28:29] off glc	
s_waitcnt vmcnt(0)
	;;#ASMEND
	v_and_b32_e32 v9, 0xff, v7
	v_and_b32_e32 v101, 0xff00, v7
	v_or3_b32 v6, v6, 0, 0
	v_and_b32_e32 v102, 0xff000000, v7
	v_and_b32_e32 v7, 0xff0000, v7
	s_delay_alu instid0(VALU_DEP_4) | instskip(SKIP_2) | instid1(VALU_DEP_3)
	v_or3_b32 v9, 0, v9, v101
	v_and_b32_e32 v101, 0xff, v8
	v_or3_b32 v6, v6, 0, 0
	v_or3_b32 v7, v9, v7, v102
	s_delay_alu instid0(VALU_DEP_3)
	v_cmpx_eq_u16_e32 0, v101
	s_cbranch_execz .LBB1912_106
; %bb.109:                              ;   in Loop: Header=BB1912_107 Depth=1
	s_mov_b32 s8, 0
.LBB1912_110:                           ;   Parent Loop BB1912_107 Depth=1
                                        ; =>  This Inner Loop Header: Depth=2
	;;#ASMSTART
	global_load_dwordx4 v[6:9], v[28:29] off glc	
s_waitcnt vmcnt(0)
	;;#ASMEND
	v_and_b32_e32 v9, 0xff, v8
	s_delay_alu instid0(VALU_DEP_1) | instskip(SKIP_1) | instid1(SALU_CYCLE_1)
	v_cmp_ne_u16_e32 vcc_lo, 0, v9
	s_or_b32 s8, vcc_lo, s8
	s_and_not1_b32 exec_lo, exec_lo, s8
	s_cbranch_execnz .LBB1912_110
; %bb.111:                              ;   in Loop: Header=BB1912_107 Depth=1
	s_or_b32 exec_lo, exec_lo, s8
	s_branch .LBB1912_106
.LBB1912_112:                           ;   in Loop: Header=BB1912_107 Depth=1
                                        ; implicit-def: $vgpr8
                                        ; implicit-def: $vgpr6_vgpr7
	s_cbranch_execz .LBB1912_107
; %bb.113:
	s_and_saveexec_b32 s7, s3
	s_cbranch_execnz .LBB1912_356
; %bb.114:
	s_or_b32 exec_lo, exec_lo, s7
	s_and_saveexec_b32 s7, s3
	s_cbranch_execnz .LBB1912_357
.LBB1912_115:
	s_or_b32 exec_lo, exec_lo, s7
	s_delay_alu instid0(SALU_CYCLE_1)
	s_and_b32 exec_lo, exec_lo, s2
	s_cbranch_execz .LBB1912_117
.LBB1912_116:
	v_mov_b32_e32 v5, 0
	ds_store_b64 v5, v[26:27] offset:56
.LBB1912_117:
	s_or_b32 exec_lo, exec_lo, s5
	s_waitcnt lgkmcnt(1)
	v_cndmask_b32_e64 v22, v89, v22, s3
	v_mov_b32_e32 v5, 0
	s_waitcnt lgkmcnt(0)
	s_barrier
	buffer_gl0_inv
	v_add_nc_u32_e64 v7, 0x3400, 0
	ds_load_b64 v[24:25], v5 offset:56
	s_waitcnt lgkmcnt(0)
	s_barrier
	buffer_gl0_inv
	ds_load_2addr_b32 v[5:6], v7 offset1:2
	ds_load_2addr_b32 v[7:8], v7 offset0:4 offset1:6
	v_cndmask_b32_e64 v9, v90, v23, s3
	v_add_nc_u32_e32 v22, v24, v22
	s_delay_alu instid0(VALU_DEP_2) | instskip(NEXT) | instid1(VALU_DEP_2)
	v_add_nc_u32_e32 v9, v25, v9
	v_cndmask_b32_e64 v22, v22, v24, s2
	s_delay_alu instid0(VALU_DEP_2)
	v_cndmask_b32_e64 v9, v9, v25, s2
	s_branch .LBB1912_128
.LBB1912_118:
                                        ; implicit-def: $vgpr9
                                        ; implicit-def: $vgpr7
                                        ; implicit-def: $vgpr5
                                        ; implicit-def: $vgpr22_vgpr23
	s_and_b32 vcc_lo, exec_lo, s5
	s_cbranch_vccz .LBB1912_128
; %bb.119:
	s_waitcnt lgkmcnt(1)
	v_mov_b32_dpp v6, v88 row_shr:1 row_mask:0xf bank_mask:0xf
	v_cmp_lt_u32_e32 vcc_lo, 3, v86
	v_mov_b32_dpp v5, v87 row_shr:1 row_mask:0xf bank_mask:0xf
	s_delay_alu instid0(VALU_DEP_3) | instskip(NEXT) | instid1(VALU_DEP_1)
	v_add_nc_u32_e32 v6, v6, v88
	v_cndmask_b32_e64 v6, v6, v88, s1
	s_waitcnt lgkmcnt(0)
	s_delay_alu instid0(VALU_DEP_1) | instskip(NEXT) | instid1(VALU_DEP_1)
	v_mov_b32_dpp v8, v6 row_shr:2 row_mask:0xf bank_mask:0xf
	v_add_nc_u32_e32 v8, v6, v8
	s_delay_alu instid0(VALU_DEP_1) | instskip(NEXT) | instid1(VALU_DEP_1)
	v_cndmask_b32_e64 v6, v6, v8, s0
	v_mov_b32_dpp v8, v6 row_shr:4 row_mask:0xf bank_mask:0xf
	s_delay_alu instid0(VALU_DEP_1) | instskip(NEXT) | instid1(VALU_DEP_1)
	v_add_nc_u32_e32 v8, v6, v8
	v_dual_cndmask_b32 v6, v6, v8 :: v_dual_add_nc_u32 v5, v5, v87
	s_delay_alu instid0(VALU_DEP_1) | instskip(NEXT) | instid1(VALU_DEP_2)
	v_cndmask_b32_e64 v5, v5, v87, s1
	v_mov_b32_dpp v8, v6 row_shr:8 row_mask:0xf bank_mask:0xf
	s_delay_alu instid0(VALU_DEP_2) | instskip(NEXT) | instid1(VALU_DEP_2)
	v_mov_b32_dpp v7, v5 row_shr:2 row_mask:0xf bank_mask:0xf
	v_add_nc_u32_e32 v8, v6, v8
	s_delay_alu instid0(VALU_DEP_2) | instskip(NEXT) | instid1(VALU_DEP_1)
	v_add_nc_u32_e32 v7, v5, v7
	v_cndmask_b32_e64 v5, v5, v7, s0
	s_mov_b32 s0, exec_lo
	s_delay_alu instid0(VALU_DEP_1) | instskip(NEXT) | instid1(VALU_DEP_1)
	v_mov_b32_dpp v7, v5 row_shr:4 row_mask:0xf bank_mask:0xf
	v_add_nc_u32_e32 v7, v5, v7
	s_delay_alu instid0(VALU_DEP_1) | instskip(SKIP_1) | instid1(VALU_DEP_2)
	v_cndmask_b32_e32 v5, v5, v7, vcc_lo
	v_cmp_lt_u32_e32 vcc_lo, 7, v86
	v_mov_b32_dpp v7, v5 row_shr:8 row_mask:0xf bank_mask:0xf
	s_delay_alu instid0(VALU_DEP_1) | instskip(NEXT) | instid1(VALU_DEP_1)
	v_dual_cndmask_b32 v6, v6, v8 :: v_dual_add_nc_u32 v7, v5, v7
	v_cndmask_b32_e32 v5, v5, v7, vcc_lo
	ds_swizzle_b32 v7, v6 offset:swizzle(BROADCAST,32,15)
	v_cmp_eq_u32_e32 vcc_lo, 0, v85
	ds_swizzle_b32 v8, v5 offset:swizzle(BROADCAST,32,15)
	s_waitcnt lgkmcnt(1)
	v_add_nc_u32_e32 v7, v6, v7
	s_waitcnt lgkmcnt(0)
	v_add_nc_u32_e32 v8, v5, v8
	s_delay_alu instid0(VALU_DEP_1)
	v_dual_cndmask_b32 v6, v7, v6 :: v_dual_cndmask_b32 v5, v8, v5
	v_cmpx_eq_u32_e64 v84, v0
	s_cbranch_execz .LBB1912_121
; %bb.120:
	v_lshlrev_b32_e32 v7, 3, v83
	ds_store_b64 v7, v[5:6]
.LBB1912_121:
	s_or_b32 exec_lo, exec_lo, s0
	s_delay_alu instid0(SALU_CYCLE_1)
	s_mov_b32 s0, exec_lo
	s_waitcnt lgkmcnt(0)
	s_barrier
	buffer_gl0_inv
	v_cmpx_gt_u32_e32 8, v0
	s_cbranch_execz .LBB1912_123
; %bb.122:
	v_lshlrev_b32_e32 v9, 3, v0
	ds_load_b64 v[7:8], v9
	s_waitcnt lgkmcnt(0)
	v_mov_b32_dpp v22, v7 row_shr:1 row_mask:0xf bank_mask:0xf
	v_mov_b32_dpp v23, v8 row_shr:1 row_mask:0xf bank_mask:0xf
	s_delay_alu instid0(VALU_DEP_2) | instskip(SKIP_1) | instid1(VALU_DEP_3)
	v_add_nc_u32_e32 v22, v22, v7
	v_and_b32_e32 v24, 7, v82
	v_add_nc_u32_e32 v23, v23, v8
	s_delay_alu instid0(VALU_DEP_2) | instskip(NEXT) | instid1(VALU_DEP_2)
	v_cmp_eq_u32_e32 vcc_lo, 0, v24
	v_dual_cndmask_b32 v8, v23, v8 :: v_dual_cndmask_b32 v7, v22, v7
	v_cmp_lt_u32_e32 vcc_lo, 1, v24
	s_delay_alu instid0(VALU_DEP_2) | instskip(NEXT) | instid1(VALU_DEP_3)
	v_mov_b32_dpp v23, v8 row_shr:2 row_mask:0xf bank_mask:0xf
	v_mov_b32_dpp v22, v7 row_shr:2 row_mask:0xf bank_mask:0xf
	s_delay_alu instid0(VALU_DEP_2) | instskip(NEXT) | instid1(VALU_DEP_2)
	v_add_nc_u32_e32 v23, v8, v23
	v_add_nc_u32_e32 v22, v7, v22
	s_delay_alu instid0(VALU_DEP_1) | instskip(SKIP_1) | instid1(VALU_DEP_2)
	v_dual_cndmask_b32 v8, v8, v23 :: v_dual_cndmask_b32 v7, v7, v22
	v_cmp_lt_u32_e32 vcc_lo, 3, v24
	v_mov_b32_dpp v23, v8 row_shr:4 row_mask:0xf bank_mask:0xf
	s_delay_alu instid0(VALU_DEP_3) | instskip(NEXT) | instid1(VALU_DEP_1)
	v_mov_b32_dpp v22, v7 row_shr:4 row_mask:0xf bank_mask:0xf
	v_dual_cndmask_b32 v23, 0, v23 :: v_dual_cndmask_b32 v22, 0, v22
	s_delay_alu instid0(VALU_DEP_1) | instskip(NEXT) | instid1(VALU_DEP_2)
	v_add_nc_u32_e32 v8, v23, v8
	v_add_nc_u32_e32 v7, v22, v7
	ds_store_b64 v9, v[7:8]
.LBB1912_123:
	s_or_b32 exec_lo, exec_lo, s0
	v_dual_mov_b32 v7, 0 :: v_dual_mov_b32 v22, 0
	v_mov_b32_e32 v23, 0
	s_mov_b32 s0, exec_lo
	s_waitcnt lgkmcnt(0)
	s_barrier
	buffer_gl0_inv
	v_cmpx_lt_u32_e32 31, v0
	s_cbranch_execz .LBB1912_125
; %bb.124:
	v_lshl_add_u32 v8, v83, 3, -8
	ds_load_b64 v[22:23], v8
.LBB1912_125:
	s_or_b32 exec_lo, exec_lo, s0
	v_add_nc_u32_e32 v8, -1, v82
	s_waitcnt lgkmcnt(0)
	v_add_nc_u32_e32 v24, v23, v6
	v_add_nc_u32_e32 v9, v22, v5
	ds_load_b64 v[5:6], v7 offset:56
	v_cmp_gt_i32_e32 vcc_lo, 0, v8
	v_cndmask_b32_e32 v8, v8, v82, vcc_lo
	s_delay_alu instid0(VALU_DEP_1)
	v_lshlrev_b32_e32 v8, 2, v8
	ds_bpermute_b32 v9, v8, v9
	ds_bpermute_b32 v24, v8, v24
	s_waitcnt lgkmcnt(2)
	v_readfirstlane_b32 s0, v6
	s_and_saveexec_b32 s1, s2
	s_cbranch_execz .LBB1912_127
; %bb.126:
	s_mov_b32 s8, 0
	s_add_u32 s6, s36, 0x200
	s_addc_u32 s7, s37, 0
	s_and_b32 s9, s0, 0xff000000
	s_and_b32 s11, s0, 0xff0000
	s_mov_b32 s10, s8
	v_mov_b32_e32 v26, s7
	s_or_b64 s[10:11], s[10:11], s[8:9]
	s_and_b32 s9, s0, 0xff00
	v_dual_mov_b32 v8, 0 :: v_dual_mov_b32 v25, s6
	s_or_b64 s[10:11], s[10:11], s[8:9]
	s_and_b32 s9, s0, 0xff
	v_mov_b32_e32 v7, 2
	s_or_b64 s[8:9], s[10:11], s[8:9]
	s_delay_alu instid0(SALU_CYCLE_1)
	v_mov_b32_e32 v6, s9
	;;#ASMSTART
	global_store_dwordx4 v[25:26], v[5:8] off	
s_waitcnt vmcnt(0)
	;;#ASMEND
.LBB1912_127:
	s_or_b32 exec_lo, exec_lo, s1
	v_cmp_eq_u32_e32 vcc_lo, 0, v82
	v_dual_mov_b32 v7, 0 :: v_dual_mov_b32 v6, s0
	s_waitcnt lgkmcnt(0)
	s_barrier
	v_dual_cndmask_b32 v8, v9, v22 :: v_dual_cndmask_b32 v9, v24, v23
	buffer_gl0_inv
	v_cndmask_b32_e64 v22, v8, 0, s2
	v_cndmask_b32_e64 v9, v9, 0, s2
	v_mov_b32_e32 v8, 0
.LBB1912_128:
	s_delay_alu instid0(VALU_DEP_1) | instskip(SKIP_1) | instid1(VALU_DEP_2)
	v_add_nc_u32_e32 v24, v9, v81
	s_waitcnt lgkmcnt(0)
	v_sub_nc_u32_e32 v9, v9, v8
	v_add_co_u32 v1, vcc_lo, v1, v7
	v_and_b32_e32 v35, 1, v35
	v_add_nc_u32_e32 v26, v24, v77
	v_sub_nc_u32_e32 v24, v24, v8
	v_lshlrev_b32_e32 v77, 1, v5
	v_add_nc_u32_e32 v9, v9, v5
	v_add_co_ci_u32_e32 v2, vcc_lo, 0, v2, vcc_lo
	v_add_nc_u32_e32 v28, v26, v79
	s_delay_alu instid0(VALU_DEP_4)
	v_add3_u32 v33, v77, v6, v33
	v_and_b32_e32 v40, 1, v40
	v_and_b32_e32 v37, 1, v37
	;; [unrolled: 1-line block ×3, first 2 shown]
	v_add_nc_u32_e32 v29, v28, v75
	v_sub_nc_u32_e32 v28, v28, v8
	v_sub_co_u32 v75, vcc_lo, v3, v5
	s_add_u32 s1, s14, -4
	s_delay_alu instid0(VALU_DEP_3) | instskip(SKIP_4) | instid1(VALU_DEP_3)
	v_add_nc_u32_e32 v73, v29, v73
	v_sub_nc_u32_e32 v29, v29, v8
	v_add_nc_u32_e32 v28, v28, v5
	v_add_nc_u32_e32 v24, v24, v5
	s_mov_b32 s3, -1
	v_add_nc_u32_e32 v29, v29, v5
	v_add_nc_u32_e32 v23, v22, v80
	v_sub_nc_u32_e32 v22, v22, v7
	s_delay_alu instid0(VALU_DEP_2) | instskip(SKIP_3) | instid1(VALU_DEP_3)
	v_add_nc_u32_e32 v25, v23, v76
	v_sub_nc_u32_e32 v23, v23, v7
	v_subrev_co_ci_u32_e32 v76, vcc_lo, 0, v4, vcc_lo
	v_cmp_eq_u32_e32 vcc_lo, 1, v35
	v_add_nc_u32_e32 v79, v24, v23
	s_delay_alu instid0(VALU_DEP_1) | instskip(NEXT) | instid1(VALU_DEP_1)
	v_sub_nc_u32_e32 v79, v33, v79
	v_add_nc_u32_e32 v79, 1, v79
	v_add_nc_u32_e32 v27, v25, v78
	;; [unrolled: 1-line block ×3, first 2 shown]
	s_delay_alu instid0(VALU_DEP_1) | instskip(NEXT) | instid1(VALU_DEP_1)
	v_sub_nc_u32_e32 v78, v33, v78
	v_dual_cndmask_b32 v9, v78, v9 :: v_dual_and_b32 v34, 1, v34
	v_cmp_eq_u32_e32 vcc_lo, 1, v40
	v_cndmask_b32_e32 v24, v79, v24, vcc_lo
	s_delay_alu instid0(VALU_DEP_3) | instskip(NEXT) | instid1(VALU_DEP_4)
	v_cmp_eq_u32_e32 vcc_lo, 1, v34
	v_cndmask_b32_e32 v9, v9, v22, vcc_lo
	v_sub_nc_u32_e32 v26, v26, v8
	v_cmp_eq_u32_e32 vcc_lo, 1, v37
	v_and_b32_e32 v37, 1, v38
	s_delay_alu instid0(VALU_DEP_4) | instskip(NEXT) | instid1(VALU_DEP_4)
	v_lshlrev_b32_e32 v9, 2, v9
	v_add_nc_u32_e32 v26, v26, v5
	v_cndmask_b32_e32 v24, v24, v23, vcc_lo
	v_sub_nc_u32_e32 v25, v25, v7
	v_add_co_u32 v22, vcc_lo, v75, v8
	v_add_co_ci_u32_e32 v23, vcc_lo, 0, v76, vcc_lo
	s_delay_alu instid0(VALU_DEP_3)
	v_add_nc_u32_e32 v34, v26, v25
	v_cmp_eq_u32_e32 vcc_lo, 1, v37
	v_lshlrev_b32_e32 v24, 2, v24
	ds_store_b32 v9, v20
	v_sub_nc_u32_e32 v34, v33, v34
	ds_store_b32 v24, v21
	v_and_b32_e32 v24, 1, v39
	v_add_nc_u32_e32 v34, 2, v34
	s_delay_alu instid0(VALU_DEP_1) | instskip(SKIP_3) | instid1(VALU_DEP_4)
	v_cndmask_b32_e32 v26, v34, v26, vcc_lo
	v_cmp_eq_u32_e32 vcc_lo, 1, v36
	v_add_nc_u32_e32 v74, v27, v74
	v_sub_nc_u32_e32 v27, v27, v7
	v_cndmask_b32_e32 v25, v26, v25, vcc_lo
	s_delay_alu instid0(VALU_DEP_3) | instskip(NEXT) | instid1(VALU_DEP_3)
	v_sub_nc_u32_e32 v37, v74, v7
	v_add_nc_u32_e32 v34, v27, v28
	v_cmp_eq_u32_e32 vcc_lo, 1, v24
	v_sub_nc_u32_e32 v26, v73, v8
	v_lshlrev_b32_e32 v21, 2, v25
	v_and_b32_e32 v25, 1, v41
	v_sub_nc_u32_e32 v9, v33, v34
	v_add_nc_u32_e32 v20, v37, v29
	v_and_b32_e32 v24, 1, v42
	v_add_nc_u32_e32 v26, v26, v5
	ds_store_b32 v21, v18
	v_add_nc_u32_e32 v9, 3, v9
	v_sub_nc_u32_e32 v20, v33, v20
	s_delay_alu instid0(VALU_DEP_2) | instskip(SKIP_2) | instid1(VALU_DEP_4)
	v_cndmask_b32_e32 v9, v9, v28, vcc_lo
	v_cmp_eq_u32_e32 vcc_lo, 1, v25
	v_add_nc_u32_e32 v72, v74, v72
	v_add_nc_u32_e32 v20, 4, v20
	v_and_b32_e32 v25, 1, v43
	v_cndmask_b32_e32 v9, v9, v27, vcc_lo
	s_delay_alu instid0(VALU_DEP_4)
	v_sub_nc_u32_e32 v28, v72, v7
	v_cmp_eq_u32_e32 vcc_lo, 1, v24
	v_and_b32_e32 v24, 1, v44
	v_add_nc_u32_e32 v70, v72, v70
	v_lshlrev_b32_e32 v9, 2, v9
	v_add_nc_u32_e32 v27, v28, v26
	v_cndmask_b32_e32 v20, v20, v29, vcc_lo
	v_cmp_eq_u32_e32 vcc_lo, 1, v25
	v_and_b32_e32 v25, 1, v45
	v_add_nc_u32_e32 v64, v70, v64
	v_sub_nc_u32_e32 v18, v33, v27
	v_sub_nc_u32_e32 v27, v70, v7
	v_cndmask_b32_e32 v20, v20, v37, vcc_lo
	v_cmp_eq_u32_e32 vcc_lo, 1, v24
	ds_store_b32 v9, v19
	v_add_nc_u32_e32 v18, 5, v18
	v_and_b32_e32 v19, 1, v46
	v_lshlrev_b32_e32 v20, 2, v20
	v_add_nc_u32_e32 v68, v64, v68
	s_delay_alu instid0(VALU_DEP_4)
	v_cndmask_b32_e32 v18, v18, v26, vcc_lo
	v_cmp_eq_u32_e32 vcc_lo, 1, v25
	v_sub_nc_u32_e32 v25, v64, v7
	ds_store_b32 v20, v16
	v_and_b32_e32 v20, 1, v49
	v_add_nc_u32_e32 v66, v68, v66
	v_dual_cndmask_b32 v18, v18, v28 :: v_dual_add_nc_u32 v71, v73, v71
	v_cmp_eq_u32_e32 vcc_lo, 1, v19
	v_and_b32_e32 v19, 1, v48
	s_delay_alu instid0(VALU_DEP_4) | instskip(NEXT) | instid1(VALU_DEP_4)
	v_add_nc_u32_e32 v61, v66, v61
	v_lshlrev_b32_e32 v18, 2, v18
	v_add_nc_u32_e32 v65, v71, v65
	v_sub_nc_u32_e32 v21, v71, v8
	s_delay_alu instid0(VALU_DEP_4)
	v_add_nc_u32_e32 v60, v61, v60
	ds_store_b32 v18, v17
	v_sub_nc_u32_e32 v24, v65, v8
	v_add_nc_u32_e32 v21, v21, v5
	v_add_nc_u32_e32 v69, v65, v69
	v_and_b32_e32 v17, 1, v47
	s_delay_alu instid0(VALU_DEP_4) | instskip(NEXT) | instid1(VALU_DEP_4)
	v_add_nc_u32_e32 v24, v24, v5
	v_add_nc_u32_e32 v26, v27, v21
	s_delay_alu instid0(VALU_DEP_4) | instskip(NEXT) | instid1(VALU_DEP_3)
	v_sub_nc_u32_e32 v18, v69, v8
	v_add_nc_u32_e32 v16, v25, v24
	s_delay_alu instid0(VALU_DEP_3) | instskip(NEXT) | instid1(VALU_DEP_3)
	v_sub_nc_u32_e32 v9, v33, v26
	v_add_nc_u32_e32 v18, v18, v5
	v_sub_nc_u32_e32 v26, v60, v7
	s_delay_alu instid0(VALU_DEP_4) | instskip(NEXT) | instid1(VALU_DEP_4)
	v_sub_nc_u32_e32 v16, v33, v16
	v_add_nc_u32_e32 v9, 6, v9
	s_delay_alu instid0(VALU_DEP_1) | instskip(SKIP_2) | instid1(VALU_DEP_3)
	v_dual_cndmask_b32 v9, v9, v21 :: v_dual_add_nc_u32 v16, 7, v16
	v_cmp_eq_u32_e32 vcc_lo, 1, v19
	v_sub_nc_u32_e32 v21, v68, v7
	v_cndmask_b32_e32 v16, v16, v24, vcc_lo
	v_cmp_eq_u32_e32 vcc_lo, 1, v17
	s_delay_alu instid0(VALU_DEP_3) | instskip(SKIP_3) | instid1(VALU_DEP_4)
	v_add_nc_u32_e32 v17, v21, v18
	v_cndmask_b32_e32 v9, v9, v27, vcc_lo
	v_cmp_eq_u32_e32 vcc_lo, 1, v20
	v_add_nc_u32_e32 v67, v69, v67
	v_sub_nc_u32_e32 v17, v33, v17
	v_sub_nc_u32_e32 v20, v66, v7
	v_lshlrev_b32_e32 v9, 2, v9
	v_cndmask_b32_e32 v16, v16, v25, vcc_lo
	v_sub_nc_u32_e32 v19, v67, v8
	v_add_nc_u32_e32 v62, v67, v62
	v_sub_nc_u32_e32 v25, v61, v7
	ds_store_b32 v9, v14
	v_and_b32_e32 v9, 1, v50
	v_add_nc_u32_e32 v19, v19, v5
	v_add_nc_u32_e32 v14, 8, v17
	v_lshlrev_b32_e32 v16, 2, v16
	v_add_nc_u32_e32 v63, v62, v63
	v_cmp_eq_u32_e32 vcc_lo, 1, v9
	v_add_nc_u32_e32 v17, v20, v19
	ds_store_b32 v16, v15
	v_and_b32_e32 v15, 1, v51
	v_cndmask_b32_e32 v9, v14, v18, vcc_lo
	v_sub_nc_u32_e32 v14, v33, v17
	v_and_b32_e32 v18, 1, v52
	v_sub_nc_u32_e32 v17, v62, v8
	v_and_b32_e32 v16, 1, v54
	v_sub_nc_u32_e32 v24, v63, v8
	v_add_nc_u32_e32 v14, 9, v14
	v_cmp_eq_u32_e32 vcc_lo, 1, v18
	v_add_nc_u32_e32 v17, v17, v5
	v_add_nc_u32_e32 v35, v63, v59
	v_add_nc_u32_e32 v24, v24, v5
	v_cndmask_b32_e32 v14, v14, v19, vcc_lo
	v_cmp_eq_u32_e32 vcc_lo, 1, v15
	v_add_nc_u32_e32 v15, v25, v17
	s_delay_alu instid0(VALU_DEP_4)
	v_add_nc_u32_e32 v18, v26, v24
	v_and_b32_e32 v19, 1, v55
	v_cndmask_b32_e32 v9, v9, v21, vcc_lo
	v_cmp_eq_u32_e32 vcc_lo, 1, v16
	v_sub_nc_u32_e32 v15, v33, v15
	v_sub_nc_u32_e32 v18, v33, v18
	v_and_b32_e32 v21, 1, v57
	v_sub_nc_u32_e32 v16, v35, v8
	v_cndmask_b32_e32 v14, v14, v20, vcc_lo
	v_and_b32_e32 v20, 1, v53
	v_add_nc_u32_e32 v15, 10, v15
	v_add_nc_u32_e32 v18, 11, v18
	;; [unrolled: 1-line block ×3, first 2 shown]
	v_lshlrev_b32_e32 v9, 2, v9
	v_cmp_eq_u32_e32 vcc_lo, 1, v20
	v_dual_cndmask_b32 v15, v15, v17 :: v_dual_lshlrev_b32 v14, 2, v14
	v_cmp_eq_u32_e32 vcc_lo, 1, v21
	v_and_b32_e32 v17, 1, v56
	v_cndmask_b32_e32 v18, v18, v24, vcc_lo
	v_cmp_eq_u32_e32 vcc_lo, 1, v19
	v_cndmask_b32_e32 v15, v15, v25, vcc_lo
	s_delay_alu instid0(VALU_DEP_4) | instskip(NEXT) | instid1(VALU_DEP_2)
	v_cmp_eq_u32_e32 vcc_lo, 1, v17
	v_lshlrev_b32_e32 v15, 2, v15
	v_cndmask_b32_e32 v17, v18, v26, vcc_lo
	v_add_nc_u32_e32 v40, v60, v58
	s_delay_alu instid0(VALU_DEP_2) | instskip(NEXT) | instid1(VALU_DEP_2)
	v_lshlrev_b32_e32 v17, 2, v17
	v_sub_nc_u32_e32 v7, v40, v7
	ds_store_b32 v9, v12
	ds_store_b32 v14, v13
	;; [unrolled: 1-line block ×4, first 2 shown]
	v_add_co_u32 v9, s0, v6, v77
	s_delay_alu instid0(VALU_DEP_1) | instskip(SKIP_1) | instid1(VALU_DEP_3)
	v_add_co_ci_u32_e64 v10, null, 0, 0, s0
	v_add_nc_u32_e32 v27, v7, v16
	v_add_co_u32 v9, vcc_lo, v9, v22
	s_delay_alu instid0(VALU_DEP_3) | instskip(NEXT) | instid1(VALU_DEP_3)
	v_add_co_ci_u32_e32 v10, vcc_lo, v10, v23, vcc_lo
	v_sub_nc_u32_e32 v20, v33, v27
	v_add_co_u32 v11, s0, s34, v30
	s_delay_alu instid0(VALU_DEP_4) | instskip(NEXT) | instid1(VALU_DEP_3)
	v_add_co_u32 v9, vcc_lo, v9, v1
	v_add_nc_u32_e32 v18, 12, v20
	v_add_co_ci_u32_e64 v12, null, s35, 0, s0
	v_add_co_ci_u32_e32 v10, vcc_lo, v10, v2, vcc_lo
	s_delay_alu instid0(VALU_DEP_3) | instskip(SKIP_1) | instid1(VALU_DEP_2)
	v_cndmask_b32_e64 v16, v18, v16, s33
	v_add_nc_u32_e32 v14, v5, v6
	v_cndmask_b32_e64 v7, v16, v7, s27
	s_delay_alu instid0(VALU_DEP_1)
	v_lshlrev_b32_e32 v7, 2, v7
	ds_store_b32 v7, v32
	v_sub_co_u32 v7, vcc_lo, v11, v9
	v_sub_co_ci_u32_e32 v13, vcc_lo, v12, v10, vcc_lo
	v_lshlrev_b64 v[9:10], 2, v[22:23]
	v_lshlrev_b64 v[11:12], 2, v[1:2]
	s_waitcnt lgkmcnt(0)
	s_barrier
	buffer_gl0_inv
	v_add_co_u32 v9, vcc_lo, s30, v9
	v_add_co_ci_u32_e32 v10, vcc_lo, s31, v10, vcc_lo
	v_cmp_ne_u32_e32 vcc_lo, 1, v31
	v_add_co_u32 v11, s0, s28, v11
	s_delay_alu instid0(VALU_DEP_1)
	v_add_co_ci_u32_e64 v12, s0, s29, v12, s0
	s_addc_u32 s0, s15, -1
	s_cbranch_vccz .LBB1912_132
; %bb.129:
	s_and_b32 vcc_lo, exec_lo, s3
	s_cbranch_vccnz .LBB1912_237
.LBB1912_130:
	s_and_b32 s0, s2, s13
	s_delay_alu instid0(SALU_CYCLE_1)
	s_and_saveexec_b32 s1, s0
	s_cbranch_execnz .LBB1912_355
.LBB1912_131:
	s_nop 0
	s_sendmsg sendmsg(MSG_DEALLOC_VGPRS)
	s_endpgm
.LBB1912_132:
	s_mov_b32 s3, exec_lo
	v_cmpx_le_u32_e64 v5, v0
	s_xor_b32 s3, exec_lo, s3
	s_cbranch_execz .LBB1912_138
; %bb.133:
	s_mov_b32 s5, exec_lo
	v_cmpx_le_u32_e64 v14, v0
	s_xor_b32 s5, exec_lo, s5
	s_cbranch_execz .LBB1912_135
; %bb.134:
	v_lshlrev_b32_e32 v15, 2, v0
	ds_load_b32 v17, v15
	v_add_co_u32 v15, vcc_lo, v7, v0
	v_add_co_ci_u32_e32 v16, vcc_lo, 0, v13, vcc_lo
	s_delay_alu instid0(VALU_DEP_1) | instskip(NEXT) | instid1(VALU_DEP_1)
	v_lshlrev_b64 v[15:16], 2, v[15:16]
	v_sub_co_u32 v15, vcc_lo, s14, v15
	s_delay_alu instid0(VALU_DEP_2)
	v_sub_co_ci_u32_e32 v16, vcc_lo, s15, v16, vcc_lo
	s_waitcnt lgkmcnt(0)
	global_store_b32 v[15:16], v17, off offset:-4
.LBB1912_135:
	s_and_not1_saveexec_b32 s5, s5
	s_cbranch_execz .LBB1912_137
; %bb.136:
	v_lshlrev_b32_e32 v15, 2, v0
	v_readfirstlane_b32 s6, v9
	v_readfirstlane_b32 s7, v10
	ds_load_b32 v16, v15
	s_waitcnt lgkmcnt(0)
	global_store_b32 v15, v16, s[6:7]
.LBB1912_137:
	s_or_b32 exec_lo, exec_lo, s5
.LBB1912_138:
	s_and_not1_saveexec_b32 s3, s3
	s_cbranch_execz .LBB1912_140
; %bb.139:
	v_lshlrev_b32_e32 v15, 2, v0
	v_readfirstlane_b32 s6, v11
	v_readfirstlane_b32 s7, v12
	ds_load_b32 v16, v15
	s_waitcnt lgkmcnt(0)
	global_store_b32 v15, v16, s[6:7]
.LBB1912_140:
	s_or_b32 exec_lo, exec_lo, s3
	v_or_b32_e32 v15, 0x100, v0
	s_mov_b32 s3, exec_lo
	s_delay_alu instid0(VALU_DEP_1)
	v_cmpx_le_u32_e64 v5, v15
	s_xor_b32 s3, exec_lo, s3
	s_cbranch_execz .LBB1912_146
; %bb.141:
	s_mov_b32 s5, exec_lo
	v_cmpx_le_u32_e64 v14, v15
	s_xor_b32 s5, exec_lo, s5
	s_cbranch_execz .LBB1912_143
; %bb.142:
	v_lshlrev_b32_e32 v15, 2, v0
	ds_load_b32 v17, v15 offset:1024
	v_add_co_u32 v15, vcc_lo, v7, v0
	v_add_co_ci_u32_e32 v16, vcc_lo, 0, v13, vcc_lo
	s_delay_alu instid0(VALU_DEP_1) | instskip(NEXT) | instid1(VALU_DEP_1)
	v_lshlrev_b64 v[15:16], 2, v[15:16]
	v_sub_co_u32 v15, vcc_lo, s1, v15
	s_delay_alu instid0(VALU_DEP_2)
	v_sub_co_ci_u32_e32 v16, vcc_lo, s0, v16, vcc_lo
	s_waitcnt lgkmcnt(0)
	global_store_b32 v[15:16], v17, off offset:-1024
.LBB1912_143:
	s_and_not1_saveexec_b32 s5, s5
	s_cbranch_execz .LBB1912_145
; %bb.144:
	v_lshlrev_b32_e32 v15, 2, v0
	v_readfirstlane_b32 s6, v9
	v_readfirstlane_b32 s7, v10
	ds_load_b32 v16, v15 offset:1024
	s_waitcnt lgkmcnt(0)
	global_store_b32 v15, v16, s[6:7] offset:1024
.LBB1912_145:
	s_or_b32 exec_lo, exec_lo, s5
.LBB1912_146:
	s_and_not1_saveexec_b32 s3, s3
	s_cbranch_execz .LBB1912_148
; %bb.147:
	v_lshlrev_b32_e32 v15, 2, v0
	v_readfirstlane_b32 s6, v11
	v_readfirstlane_b32 s7, v12
	ds_load_b32 v16, v15 offset:1024
	s_waitcnt lgkmcnt(0)
	global_store_b32 v15, v16, s[6:7] offset:1024
.LBB1912_148:
	s_or_b32 exec_lo, exec_lo, s3
	v_or_b32_e32 v15, 0x200, v0
	s_mov_b32 s3, exec_lo
	s_delay_alu instid0(VALU_DEP_1)
	v_cmpx_le_u32_e64 v5, v15
	s_xor_b32 s3, exec_lo, s3
	s_cbranch_execz .LBB1912_154
; %bb.149:
	s_mov_b32 s5, exec_lo
	v_cmpx_le_u32_e64 v14, v15
	s_xor_b32 s5, exec_lo, s5
	s_cbranch_execz .LBB1912_151
; %bb.150:
	v_lshlrev_b32_e32 v15, 2, v0
	ds_load_b32 v17, v15 offset:2048
	v_add_co_u32 v15, vcc_lo, v7, v0
	v_add_co_ci_u32_e32 v16, vcc_lo, 0, v13, vcc_lo
	s_delay_alu instid0(VALU_DEP_1) | instskip(NEXT) | instid1(VALU_DEP_1)
	v_lshlrev_b64 v[15:16], 2, v[15:16]
	v_sub_co_u32 v15, vcc_lo, s1, v15
	s_delay_alu instid0(VALU_DEP_2)
	v_sub_co_ci_u32_e32 v16, vcc_lo, s0, v16, vcc_lo
	s_waitcnt lgkmcnt(0)
	global_store_b32 v[15:16], v17, off offset:-2048
.LBB1912_151:
	s_and_not1_saveexec_b32 s5, s5
	s_cbranch_execz .LBB1912_153
; %bb.152:
	v_lshlrev_b32_e32 v15, 2, v0
	v_readfirstlane_b32 s6, v9
	v_readfirstlane_b32 s7, v10
	ds_load_b32 v16, v15 offset:2048
	s_waitcnt lgkmcnt(0)
	global_store_b32 v15, v16, s[6:7] offset:2048
.LBB1912_153:
	s_or_b32 exec_lo, exec_lo, s5
.LBB1912_154:
	s_and_not1_saveexec_b32 s3, s3
	s_cbranch_execz .LBB1912_156
; %bb.155:
	v_lshlrev_b32_e32 v15, 2, v0
	v_readfirstlane_b32 s6, v11
	v_readfirstlane_b32 s7, v12
	ds_load_b32 v16, v15 offset:2048
	s_waitcnt lgkmcnt(0)
	global_store_b32 v15, v16, s[6:7] offset:2048
.LBB1912_156:
	;; [unrolled: 47-line block ×3, first 2 shown]
	s_or_b32 exec_lo, exec_lo, s3
	v_or_b32_e32 v15, 0x400, v0
	s_mov_b32 s3, exec_lo
	s_delay_alu instid0(VALU_DEP_1)
	v_cmpx_le_u32_e64 v5, v15
	s_xor_b32 s3, exec_lo, s3
	s_cbranch_execz .LBB1912_170
; %bb.165:
	s_mov_b32 s5, exec_lo
	v_cmpx_le_u32_e64 v14, v15
	s_xor_b32 s5, exec_lo, s5
	s_cbranch_execz .LBB1912_167
; %bb.166:
	v_lshlrev_b32_e32 v15, 2, v0
	ds_load_b32 v17, v15 offset:4096
	v_add_co_u32 v15, vcc_lo, v7, v0
	v_add_co_ci_u32_e32 v16, vcc_lo, 0, v13, vcc_lo
	s_delay_alu instid0(VALU_DEP_1) | instskip(NEXT) | instid1(VALU_DEP_1)
	v_lshlrev_b64 v[15:16], 2, v[15:16]
	v_sub_co_u32 v15, vcc_lo, s1, v15
	s_delay_alu instid0(VALU_DEP_2)
	v_sub_co_ci_u32_e32 v16, vcc_lo, s0, v16, vcc_lo
	s_waitcnt lgkmcnt(0)
	global_store_b32 v[15:16], v17, off offset:-4096
                                        ; implicit-def: $vgpr15
.LBB1912_167:
	s_and_not1_saveexec_b32 s5, s5
	s_cbranch_execz .LBB1912_169
; %bb.168:
	v_lshlrev_b32_e32 v16, 2, v0
	v_lshlrev_b32_e32 v15, 2, v15
	v_readfirstlane_b32 s6, v9
	v_readfirstlane_b32 s7, v10
	ds_load_b32 v16, v16 offset:4096
	s_waitcnt lgkmcnt(0)
	global_store_b32 v15, v16, s[6:7]
.LBB1912_169:
	s_or_b32 exec_lo, exec_lo, s5
                                        ; implicit-def: $vgpr15
.LBB1912_170:
	s_and_not1_saveexec_b32 s3, s3
	s_cbranch_execz .LBB1912_172
; %bb.171:
	v_lshlrev_b32_e32 v16, 2, v0
	v_lshlrev_b32_e32 v15, 2, v15
	v_readfirstlane_b32 s6, v11
	v_readfirstlane_b32 s7, v12
	ds_load_b32 v16, v16 offset:4096
	s_waitcnt lgkmcnt(0)
	global_store_b32 v15, v16, s[6:7]
.LBB1912_172:
	s_or_b32 exec_lo, exec_lo, s3
	v_or_b32_e32 v15, 0x500, v0
	s_mov_b32 s3, exec_lo
	s_delay_alu instid0(VALU_DEP_1)
	v_cmpx_le_u32_e64 v5, v15
	s_xor_b32 s3, exec_lo, s3
	s_cbranch_execz .LBB1912_178
; %bb.173:
	s_mov_b32 s5, exec_lo
	v_cmpx_le_u32_e64 v14, v15
	s_xor_b32 s5, exec_lo, s5
	s_cbranch_execz .LBB1912_175
; %bb.174:
	v_lshlrev_b32_e32 v16, 2, v0
	v_add_co_u32 v15, vcc_lo, v7, v15
	ds_load_b32 v17, v16 offset:5120
	v_add_co_ci_u32_e32 v16, vcc_lo, 0, v13, vcc_lo
	s_delay_alu instid0(VALU_DEP_1) | instskip(NEXT) | instid1(VALU_DEP_1)
	v_lshlrev_b64 v[15:16], 2, v[15:16]
	v_sub_co_u32 v15, vcc_lo, s1, v15
	s_delay_alu instid0(VALU_DEP_2)
	v_sub_co_ci_u32_e32 v16, vcc_lo, s0, v16, vcc_lo
	s_waitcnt lgkmcnt(0)
	global_store_b32 v[15:16], v17, off
                                        ; implicit-def: $vgpr15
.LBB1912_175:
	s_and_not1_saveexec_b32 s5, s5
	s_cbranch_execz .LBB1912_177
; %bb.176:
	v_lshlrev_b32_e32 v16, 2, v0
	v_lshlrev_b32_e32 v15, 2, v15
	v_readfirstlane_b32 s6, v9
	v_readfirstlane_b32 s7, v10
	ds_load_b32 v16, v16 offset:5120
	s_waitcnt lgkmcnt(0)
	global_store_b32 v15, v16, s[6:7]
.LBB1912_177:
	s_or_b32 exec_lo, exec_lo, s5
                                        ; implicit-def: $vgpr15
.LBB1912_178:
	s_and_not1_saveexec_b32 s3, s3
	s_cbranch_execz .LBB1912_180
; %bb.179:
	v_lshlrev_b32_e32 v16, 2, v0
	v_lshlrev_b32_e32 v15, 2, v15
	v_readfirstlane_b32 s6, v11
	v_readfirstlane_b32 s7, v12
	ds_load_b32 v16, v16 offset:5120
	s_waitcnt lgkmcnt(0)
	global_store_b32 v15, v16, s[6:7]
.LBB1912_180:
	s_or_b32 exec_lo, exec_lo, s3
	v_or_b32_e32 v15, 0x600, v0
	s_mov_b32 s3, exec_lo
	s_delay_alu instid0(VALU_DEP_1)
	v_cmpx_le_u32_e64 v5, v15
	s_xor_b32 s3, exec_lo, s3
	s_cbranch_execz .LBB1912_186
; %bb.181:
	s_mov_b32 s5, exec_lo
	v_cmpx_le_u32_e64 v14, v15
	s_xor_b32 s5, exec_lo, s5
	s_cbranch_execz .LBB1912_183
; %bb.182:
	v_lshlrev_b32_e32 v16, 2, v0
	v_add_co_u32 v15, vcc_lo, v7, v15
	ds_load_b32 v17, v16 offset:6144
	v_add_co_ci_u32_e32 v16, vcc_lo, 0, v13, vcc_lo
	s_delay_alu instid0(VALU_DEP_1) | instskip(NEXT) | instid1(VALU_DEP_1)
	v_lshlrev_b64 v[15:16], 2, v[15:16]
	v_sub_co_u32 v15, vcc_lo, s1, v15
	s_delay_alu instid0(VALU_DEP_2)
	v_sub_co_ci_u32_e32 v16, vcc_lo, s0, v16, vcc_lo
	s_waitcnt lgkmcnt(0)
	global_store_b32 v[15:16], v17, off
                                        ; implicit-def: $vgpr15
.LBB1912_183:
	s_and_not1_saveexec_b32 s5, s5
	s_cbranch_execz .LBB1912_185
; %bb.184:
	v_lshlrev_b32_e32 v16, 2, v0
	v_lshlrev_b32_e32 v15, 2, v15
	v_readfirstlane_b32 s6, v9
	v_readfirstlane_b32 s7, v10
	ds_load_b32 v16, v16 offset:6144
	s_waitcnt lgkmcnt(0)
	global_store_b32 v15, v16, s[6:7]
.LBB1912_185:
	s_or_b32 exec_lo, exec_lo, s5
                                        ; implicit-def: $vgpr15
.LBB1912_186:
	;; [unrolled: 51-line block ×8, first 2 shown]
	s_and_not1_saveexec_b32 s3, s3
	s_cbranch_execz .LBB1912_236
; %bb.235:
	v_lshlrev_b32_e32 v16, 2, v0
	v_lshlrev_b32_e32 v15, 2, v15
	v_readfirstlane_b32 s6, v11
	v_readfirstlane_b32 s7, v12
	ds_load_b32 v16, v16 offset:12288
	s_waitcnt lgkmcnt(0)
	global_store_b32 v15, v16, s[6:7]
.LBB1912_236:
	s_or_b32 exec_lo, exec_lo, s3
	s_branch .LBB1912_130
.LBB1912_237:
	s_mov_b32 s3, exec_lo
	v_cmpx_gt_u32_e64 s4, v0
	s_cbranch_execz .LBB1912_246
; %bb.238:
	s_mov_b32 s5, exec_lo
	v_cmpx_le_u32_e64 v5, v0
	s_xor_b32 s5, exec_lo, s5
	s_cbranch_execz .LBB1912_244
; %bb.239:
	s_mov_b32 s6, exec_lo
	v_cmpx_le_u32_e64 v14, v0
	s_xor_b32 s6, exec_lo, s6
	s_cbranch_execz .LBB1912_241
; %bb.240:
	v_lshlrev_b32_e32 v15, 2, v0
	ds_load_b32 v17, v15
	v_add_co_u32 v15, vcc_lo, v7, v0
	v_add_co_ci_u32_e32 v16, vcc_lo, 0, v13, vcc_lo
	s_delay_alu instid0(VALU_DEP_1) | instskip(NEXT) | instid1(VALU_DEP_1)
	v_lshlrev_b64 v[15:16], 2, v[15:16]
	v_sub_co_u32 v15, vcc_lo, s14, v15
	s_delay_alu instid0(VALU_DEP_2)
	v_sub_co_ci_u32_e32 v16, vcc_lo, s15, v16, vcc_lo
	s_waitcnt lgkmcnt(0)
	global_store_b32 v[15:16], v17, off offset:-4
.LBB1912_241:
	s_and_not1_saveexec_b32 s6, s6
	s_cbranch_execz .LBB1912_243
; %bb.242:
	v_lshlrev_b32_e32 v15, 2, v0
	v_readfirstlane_b32 s8, v9
	v_readfirstlane_b32 s9, v10
	ds_load_b32 v16, v15
	s_waitcnt lgkmcnt(0)
	global_store_b32 v15, v16, s[8:9]
.LBB1912_243:
	s_or_b32 exec_lo, exec_lo, s6
.LBB1912_244:
	s_and_not1_saveexec_b32 s5, s5
	s_cbranch_execz .LBB1912_246
; %bb.245:
	v_lshlrev_b32_e32 v15, 2, v0
	v_readfirstlane_b32 s6, v11
	v_readfirstlane_b32 s7, v12
	ds_load_b32 v16, v15
	s_waitcnt lgkmcnt(0)
	global_store_b32 v15, v16, s[6:7]
.LBB1912_246:
	s_or_b32 exec_lo, exec_lo, s3
	v_or_b32_e32 v15, 0x100, v0
	s_mov_b32 s3, exec_lo
	s_delay_alu instid0(VALU_DEP_1)
	v_cmpx_gt_u32_e64 s4, v15
	s_cbranch_execz .LBB1912_255
; %bb.247:
	s_mov_b32 s5, exec_lo
	v_cmpx_le_u32_e64 v5, v15
	s_xor_b32 s5, exec_lo, s5
	s_cbranch_execz .LBB1912_253
; %bb.248:
	s_mov_b32 s6, exec_lo
	v_cmpx_le_u32_e64 v14, v15
	s_xor_b32 s6, exec_lo, s6
	s_cbranch_execz .LBB1912_250
; %bb.249:
	v_lshlrev_b32_e32 v15, 2, v0
	ds_load_b32 v17, v15 offset:1024
	v_add_co_u32 v15, vcc_lo, v7, v0
	v_add_co_ci_u32_e32 v16, vcc_lo, 0, v13, vcc_lo
	s_delay_alu instid0(VALU_DEP_1) | instskip(NEXT) | instid1(VALU_DEP_1)
	v_lshlrev_b64 v[15:16], 2, v[15:16]
	v_sub_co_u32 v15, vcc_lo, s1, v15
	s_delay_alu instid0(VALU_DEP_2)
	v_sub_co_ci_u32_e32 v16, vcc_lo, s0, v16, vcc_lo
	s_waitcnt lgkmcnt(0)
	global_store_b32 v[15:16], v17, off offset:-1024
.LBB1912_250:
	s_and_not1_saveexec_b32 s6, s6
	s_cbranch_execz .LBB1912_252
; %bb.251:
	v_lshlrev_b32_e32 v15, 2, v0
	v_readfirstlane_b32 s8, v9
	v_readfirstlane_b32 s9, v10
	ds_load_b32 v16, v15 offset:1024
	s_waitcnt lgkmcnt(0)
	global_store_b32 v15, v16, s[8:9] offset:1024
.LBB1912_252:
	s_or_b32 exec_lo, exec_lo, s6
.LBB1912_253:
	s_and_not1_saveexec_b32 s5, s5
	s_cbranch_execz .LBB1912_255
; %bb.254:
	v_lshlrev_b32_e32 v15, 2, v0
	v_readfirstlane_b32 s6, v11
	v_readfirstlane_b32 s7, v12
	ds_load_b32 v16, v15 offset:1024
	s_waitcnt lgkmcnt(0)
	global_store_b32 v15, v16, s[6:7] offset:1024
.LBB1912_255:
	s_or_b32 exec_lo, exec_lo, s3
	v_or_b32_e32 v15, 0x200, v0
	s_mov_b32 s3, exec_lo
	s_delay_alu instid0(VALU_DEP_1)
	v_cmpx_gt_u32_e64 s4, v15
	s_cbranch_execz .LBB1912_264
; %bb.256:
	s_mov_b32 s5, exec_lo
	v_cmpx_le_u32_e64 v5, v15
	s_xor_b32 s5, exec_lo, s5
	s_cbranch_execz .LBB1912_262
; %bb.257:
	s_mov_b32 s6, exec_lo
	v_cmpx_le_u32_e64 v14, v15
	s_xor_b32 s6, exec_lo, s6
	s_cbranch_execz .LBB1912_259
; %bb.258:
	v_lshlrev_b32_e32 v15, 2, v0
	ds_load_b32 v17, v15 offset:2048
	v_add_co_u32 v15, vcc_lo, v7, v0
	v_add_co_ci_u32_e32 v16, vcc_lo, 0, v13, vcc_lo
	s_delay_alu instid0(VALU_DEP_1) | instskip(NEXT) | instid1(VALU_DEP_1)
	v_lshlrev_b64 v[15:16], 2, v[15:16]
	v_sub_co_u32 v15, vcc_lo, s1, v15
	s_delay_alu instid0(VALU_DEP_2)
	v_sub_co_ci_u32_e32 v16, vcc_lo, s0, v16, vcc_lo
	s_waitcnt lgkmcnt(0)
	global_store_b32 v[15:16], v17, off offset:-2048
.LBB1912_259:
	s_and_not1_saveexec_b32 s6, s6
	s_cbranch_execz .LBB1912_261
; %bb.260:
	v_lshlrev_b32_e32 v15, 2, v0
	v_readfirstlane_b32 s8, v9
	v_readfirstlane_b32 s9, v10
	ds_load_b32 v16, v15 offset:2048
	s_waitcnt lgkmcnt(0)
	global_store_b32 v15, v16, s[8:9] offset:2048
.LBB1912_261:
	s_or_b32 exec_lo, exec_lo, s6
.LBB1912_262:
	s_and_not1_saveexec_b32 s5, s5
	s_cbranch_execz .LBB1912_264
; %bb.263:
	v_lshlrev_b32_e32 v15, 2, v0
	v_readfirstlane_b32 s6, v11
	v_readfirstlane_b32 s7, v12
	ds_load_b32 v16, v15 offset:2048
	s_waitcnt lgkmcnt(0)
	global_store_b32 v15, v16, s[6:7] offset:2048
.LBB1912_264:
	;; [unrolled: 51-line block ×3, first 2 shown]
	s_or_b32 exec_lo, exec_lo, s3
	v_or_b32_e32 v15, 0x400, v0
	s_mov_b32 s3, exec_lo
	s_delay_alu instid0(VALU_DEP_1)
	v_cmpx_gt_u32_e64 s4, v15
	s_cbranch_execz .LBB1912_282
; %bb.274:
	s_mov_b32 s5, exec_lo
	v_cmpx_le_u32_e64 v5, v15
	s_xor_b32 s5, exec_lo, s5
	s_cbranch_execz .LBB1912_280
; %bb.275:
	s_mov_b32 s6, exec_lo
	v_cmpx_le_u32_e64 v14, v15
	s_xor_b32 s6, exec_lo, s6
	s_cbranch_execz .LBB1912_277
; %bb.276:
	v_lshlrev_b32_e32 v15, 2, v0
	ds_load_b32 v17, v15 offset:4096
	v_add_co_u32 v15, vcc_lo, v7, v0
	v_add_co_ci_u32_e32 v16, vcc_lo, 0, v13, vcc_lo
	s_delay_alu instid0(VALU_DEP_1) | instskip(NEXT) | instid1(VALU_DEP_1)
	v_lshlrev_b64 v[15:16], 2, v[15:16]
	v_sub_co_u32 v15, vcc_lo, s1, v15
	s_delay_alu instid0(VALU_DEP_2)
	v_sub_co_ci_u32_e32 v16, vcc_lo, s0, v16, vcc_lo
	s_waitcnt lgkmcnt(0)
	global_store_b32 v[15:16], v17, off offset:-4096
                                        ; implicit-def: $vgpr15
.LBB1912_277:
	s_and_not1_saveexec_b32 s6, s6
	s_cbranch_execz .LBB1912_279
; %bb.278:
	v_lshlrev_b32_e32 v16, 2, v0
	v_lshlrev_b32_e32 v15, 2, v15
	v_readfirstlane_b32 s8, v9
	v_readfirstlane_b32 s9, v10
	ds_load_b32 v16, v16 offset:4096
	s_waitcnt lgkmcnt(0)
	global_store_b32 v15, v16, s[8:9]
.LBB1912_279:
	s_or_b32 exec_lo, exec_lo, s6
                                        ; implicit-def: $vgpr15
.LBB1912_280:
	s_and_not1_saveexec_b32 s5, s5
	s_cbranch_execz .LBB1912_282
; %bb.281:
	v_lshlrev_b32_e32 v16, 2, v0
	v_lshlrev_b32_e32 v15, 2, v15
	v_readfirstlane_b32 s6, v11
	v_readfirstlane_b32 s7, v12
	ds_load_b32 v16, v16 offset:4096
	s_waitcnt lgkmcnt(0)
	global_store_b32 v15, v16, s[6:7]
.LBB1912_282:
	s_or_b32 exec_lo, exec_lo, s3
	v_or_b32_e32 v15, 0x500, v0
	s_mov_b32 s3, exec_lo
	s_delay_alu instid0(VALU_DEP_1)
	v_cmpx_gt_u32_e64 s4, v15
	s_cbranch_execz .LBB1912_291
; %bb.283:
	s_mov_b32 s5, exec_lo
	v_cmpx_le_u32_e64 v5, v15
	s_xor_b32 s5, exec_lo, s5
	s_cbranch_execz .LBB1912_289
; %bb.284:
	s_mov_b32 s6, exec_lo
	v_cmpx_le_u32_e64 v14, v15
	s_xor_b32 s6, exec_lo, s6
	s_cbranch_execz .LBB1912_286
; %bb.285:
	v_lshlrev_b32_e32 v16, 2, v0
	v_add_co_u32 v15, vcc_lo, v7, v15
	ds_load_b32 v17, v16 offset:5120
	v_add_co_ci_u32_e32 v16, vcc_lo, 0, v13, vcc_lo
	s_delay_alu instid0(VALU_DEP_1) | instskip(NEXT) | instid1(VALU_DEP_1)
	v_lshlrev_b64 v[15:16], 2, v[15:16]
	v_sub_co_u32 v15, vcc_lo, s1, v15
	s_delay_alu instid0(VALU_DEP_2)
	v_sub_co_ci_u32_e32 v16, vcc_lo, s0, v16, vcc_lo
	s_waitcnt lgkmcnt(0)
	global_store_b32 v[15:16], v17, off
                                        ; implicit-def: $vgpr15
.LBB1912_286:
	s_and_not1_saveexec_b32 s6, s6
	s_cbranch_execz .LBB1912_288
; %bb.287:
	v_lshlrev_b32_e32 v16, 2, v0
	v_lshlrev_b32_e32 v15, 2, v15
	v_readfirstlane_b32 s8, v9
	v_readfirstlane_b32 s9, v10
	ds_load_b32 v16, v16 offset:5120
	s_waitcnt lgkmcnt(0)
	global_store_b32 v15, v16, s[8:9]
.LBB1912_288:
	s_or_b32 exec_lo, exec_lo, s6
                                        ; implicit-def: $vgpr15
.LBB1912_289:
	s_and_not1_saveexec_b32 s5, s5
	s_cbranch_execz .LBB1912_291
; %bb.290:
	v_lshlrev_b32_e32 v16, 2, v0
	v_lshlrev_b32_e32 v15, 2, v15
	v_readfirstlane_b32 s6, v11
	v_readfirstlane_b32 s7, v12
	ds_load_b32 v16, v16 offset:5120
	s_waitcnt lgkmcnt(0)
	global_store_b32 v15, v16, s[6:7]
.LBB1912_291:
	s_or_b32 exec_lo, exec_lo, s3
	v_or_b32_e32 v15, 0x600, v0
	s_mov_b32 s3, exec_lo
	s_delay_alu instid0(VALU_DEP_1)
	v_cmpx_gt_u32_e64 s4, v15
	s_cbranch_execz .LBB1912_300
; %bb.292:
	s_mov_b32 s5, exec_lo
	v_cmpx_le_u32_e64 v5, v15
	s_xor_b32 s5, exec_lo, s5
	s_cbranch_execz .LBB1912_298
; %bb.293:
	s_mov_b32 s6, exec_lo
	v_cmpx_le_u32_e64 v14, v15
	s_xor_b32 s6, exec_lo, s6
	s_cbranch_execz .LBB1912_295
; %bb.294:
	v_lshlrev_b32_e32 v16, 2, v0
	v_add_co_u32 v15, vcc_lo, v7, v15
	ds_load_b32 v17, v16 offset:6144
	v_add_co_ci_u32_e32 v16, vcc_lo, 0, v13, vcc_lo
	s_delay_alu instid0(VALU_DEP_1) | instskip(NEXT) | instid1(VALU_DEP_1)
	v_lshlrev_b64 v[15:16], 2, v[15:16]
	v_sub_co_u32 v15, vcc_lo, s1, v15
	s_delay_alu instid0(VALU_DEP_2)
	v_sub_co_ci_u32_e32 v16, vcc_lo, s0, v16, vcc_lo
	s_waitcnt lgkmcnt(0)
	global_store_b32 v[15:16], v17, off
                                        ; implicit-def: $vgpr15
.LBB1912_295:
	s_and_not1_saveexec_b32 s6, s6
	s_cbranch_execz .LBB1912_297
; %bb.296:
	v_lshlrev_b32_e32 v16, 2, v0
	v_lshlrev_b32_e32 v15, 2, v15
	v_readfirstlane_b32 s8, v9
	v_readfirstlane_b32 s9, v10
	ds_load_b32 v16, v16 offset:6144
	s_waitcnt lgkmcnt(0)
	global_store_b32 v15, v16, s[8:9]
.LBB1912_297:
	s_or_b32 exec_lo, exec_lo, s6
                                        ; implicit-def: $vgpr15
.LBB1912_298:
	s_and_not1_saveexec_b32 s5, s5
	s_cbranch_execz .LBB1912_300
; %bb.299:
	v_lshlrev_b32_e32 v16, 2, v0
	v_lshlrev_b32_e32 v15, 2, v15
	v_readfirstlane_b32 s6, v11
	v_readfirstlane_b32 s7, v12
	ds_load_b32 v16, v16 offset:6144
	s_waitcnt lgkmcnt(0)
	global_store_b32 v15, v16, s[6:7]
.LBB1912_300:
	s_or_b32 exec_lo, exec_lo, s3
	v_or_b32_e32 v15, 0x700, v0
	s_mov_b32 s3, exec_lo
	s_delay_alu instid0(VALU_DEP_1)
	v_cmpx_gt_u32_e64 s4, v15
	s_cbranch_execz .LBB1912_309
; %bb.301:
	s_mov_b32 s5, exec_lo
	v_cmpx_le_u32_e64 v5, v15
	s_xor_b32 s5, exec_lo, s5
	s_cbranch_execz .LBB1912_307
; %bb.302:
	s_mov_b32 s6, exec_lo
	v_cmpx_le_u32_e64 v14, v15
	s_xor_b32 s6, exec_lo, s6
	s_cbranch_execz .LBB1912_304
; %bb.303:
	v_lshlrev_b32_e32 v16, 2, v0
	v_add_co_u32 v15, vcc_lo, v7, v15
	ds_load_b32 v17, v16 offset:7168
	v_add_co_ci_u32_e32 v16, vcc_lo, 0, v13, vcc_lo
	s_delay_alu instid0(VALU_DEP_1) | instskip(NEXT) | instid1(VALU_DEP_1)
	v_lshlrev_b64 v[15:16], 2, v[15:16]
	v_sub_co_u32 v15, vcc_lo, s1, v15
	s_delay_alu instid0(VALU_DEP_2)
	v_sub_co_ci_u32_e32 v16, vcc_lo, s0, v16, vcc_lo
	s_waitcnt lgkmcnt(0)
	global_store_b32 v[15:16], v17, off
                                        ; implicit-def: $vgpr15
.LBB1912_304:
	s_and_not1_saveexec_b32 s6, s6
	s_cbranch_execz .LBB1912_306
; %bb.305:
	v_lshlrev_b32_e32 v16, 2, v0
	v_lshlrev_b32_e32 v15, 2, v15
	v_readfirstlane_b32 s8, v9
	v_readfirstlane_b32 s9, v10
	ds_load_b32 v16, v16 offset:7168
	s_waitcnt lgkmcnt(0)
	global_store_b32 v15, v16, s[8:9]
.LBB1912_306:
	s_or_b32 exec_lo, exec_lo, s6
                                        ; implicit-def: $vgpr15
.LBB1912_307:
	s_and_not1_saveexec_b32 s5, s5
	s_cbranch_execz .LBB1912_309
; %bb.308:
	v_lshlrev_b32_e32 v16, 2, v0
	v_lshlrev_b32_e32 v15, 2, v15
	v_readfirstlane_b32 s6, v11
	v_readfirstlane_b32 s7, v12
	ds_load_b32 v16, v16 offset:7168
	s_waitcnt lgkmcnt(0)
	global_store_b32 v15, v16, s[6:7]
.LBB1912_309:
	s_or_b32 exec_lo, exec_lo, s3
	v_or_b32_e32 v15, 0x800, v0
	s_mov_b32 s3, exec_lo
	s_delay_alu instid0(VALU_DEP_1)
	v_cmpx_gt_u32_e64 s4, v15
	s_cbranch_execz .LBB1912_318
; %bb.310:
	s_mov_b32 s5, exec_lo
	v_cmpx_le_u32_e64 v5, v15
	s_xor_b32 s5, exec_lo, s5
	s_cbranch_execz .LBB1912_316
; %bb.311:
	s_mov_b32 s6, exec_lo
	v_cmpx_le_u32_e64 v14, v15
	s_xor_b32 s6, exec_lo, s6
	s_cbranch_execz .LBB1912_313
; %bb.312:
	v_lshlrev_b32_e32 v16, 2, v0
	v_add_co_u32 v15, vcc_lo, v7, v15
	ds_load_b32 v17, v16 offset:8192
	v_add_co_ci_u32_e32 v16, vcc_lo, 0, v13, vcc_lo
	s_delay_alu instid0(VALU_DEP_1) | instskip(NEXT) | instid1(VALU_DEP_1)
	v_lshlrev_b64 v[15:16], 2, v[15:16]
	v_sub_co_u32 v15, vcc_lo, s1, v15
	s_delay_alu instid0(VALU_DEP_2)
	v_sub_co_ci_u32_e32 v16, vcc_lo, s0, v16, vcc_lo
	s_waitcnt lgkmcnt(0)
	global_store_b32 v[15:16], v17, off
                                        ; implicit-def: $vgpr15
.LBB1912_313:
	s_and_not1_saveexec_b32 s6, s6
	s_cbranch_execz .LBB1912_315
; %bb.314:
	v_lshlrev_b32_e32 v16, 2, v0
	v_lshlrev_b32_e32 v15, 2, v15
	v_readfirstlane_b32 s8, v9
	v_readfirstlane_b32 s9, v10
	ds_load_b32 v16, v16 offset:8192
	s_waitcnt lgkmcnt(0)
	global_store_b32 v15, v16, s[8:9]
.LBB1912_315:
	s_or_b32 exec_lo, exec_lo, s6
                                        ; implicit-def: $vgpr15
.LBB1912_316:
	s_and_not1_saveexec_b32 s5, s5
	s_cbranch_execz .LBB1912_318
; %bb.317:
	v_lshlrev_b32_e32 v16, 2, v0
	v_lshlrev_b32_e32 v15, 2, v15
	v_readfirstlane_b32 s6, v11
	v_readfirstlane_b32 s7, v12
	ds_load_b32 v16, v16 offset:8192
	s_waitcnt lgkmcnt(0)
	global_store_b32 v15, v16, s[6:7]
.LBB1912_318:
	s_or_b32 exec_lo, exec_lo, s3
	v_or_b32_e32 v15, 0x900, v0
	s_mov_b32 s3, exec_lo
	s_delay_alu instid0(VALU_DEP_1)
	v_cmpx_gt_u32_e64 s4, v15
	s_cbranch_execz .LBB1912_327
; %bb.319:
	s_mov_b32 s5, exec_lo
	v_cmpx_le_u32_e64 v5, v15
	s_xor_b32 s5, exec_lo, s5
	s_cbranch_execz .LBB1912_325
; %bb.320:
	s_mov_b32 s6, exec_lo
	v_cmpx_le_u32_e64 v14, v15
	s_xor_b32 s6, exec_lo, s6
	s_cbranch_execz .LBB1912_322
; %bb.321:
	v_lshlrev_b32_e32 v16, 2, v0
	v_add_co_u32 v15, vcc_lo, v7, v15
	ds_load_b32 v17, v16 offset:9216
	v_add_co_ci_u32_e32 v16, vcc_lo, 0, v13, vcc_lo
	s_delay_alu instid0(VALU_DEP_1) | instskip(NEXT) | instid1(VALU_DEP_1)
	v_lshlrev_b64 v[15:16], 2, v[15:16]
	v_sub_co_u32 v15, vcc_lo, s1, v15
	s_delay_alu instid0(VALU_DEP_2)
	v_sub_co_ci_u32_e32 v16, vcc_lo, s0, v16, vcc_lo
	s_waitcnt lgkmcnt(0)
	global_store_b32 v[15:16], v17, off
                                        ; implicit-def: $vgpr15
.LBB1912_322:
	s_and_not1_saveexec_b32 s6, s6
	s_cbranch_execz .LBB1912_324
; %bb.323:
	v_lshlrev_b32_e32 v16, 2, v0
	v_lshlrev_b32_e32 v15, 2, v15
	v_readfirstlane_b32 s8, v9
	v_readfirstlane_b32 s9, v10
	ds_load_b32 v16, v16 offset:9216
	s_waitcnt lgkmcnt(0)
	global_store_b32 v15, v16, s[8:9]
.LBB1912_324:
	s_or_b32 exec_lo, exec_lo, s6
                                        ; implicit-def: $vgpr15
.LBB1912_325:
	s_and_not1_saveexec_b32 s5, s5
	s_cbranch_execz .LBB1912_327
; %bb.326:
	v_lshlrev_b32_e32 v16, 2, v0
	v_lshlrev_b32_e32 v15, 2, v15
	v_readfirstlane_b32 s6, v11
	v_readfirstlane_b32 s7, v12
	ds_load_b32 v16, v16 offset:9216
	s_waitcnt lgkmcnt(0)
	global_store_b32 v15, v16, s[6:7]
.LBB1912_327:
	s_or_b32 exec_lo, exec_lo, s3
	v_or_b32_e32 v15, 0xa00, v0
	s_mov_b32 s3, exec_lo
	s_delay_alu instid0(VALU_DEP_1)
	v_cmpx_gt_u32_e64 s4, v15
	s_cbranch_execz .LBB1912_336
; %bb.328:
	s_mov_b32 s5, exec_lo
	v_cmpx_le_u32_e64 v5, v15
	s_xor_b32 s5, exec_lo, s5
	s_cbranch_execz .LBB1912_334
; %bb.329:
	s_mov_b32 s6, exec_lo
	v_cmpx_le_u32_e64 v14, v15
	s_xor_b32 s6, exec_lo, s6
	s_cbranch_execz .LBB1912_331
; %bb.330:
	v_lshlrev_b32_e32 v16, 2, v0
	v_add_co_u32 v15, vcc_lo, v7, v15
	ds_load_b32 v17, v16 offset:10240
	v_add_co_ci_u32_e32 v16, vcc_lo, 0, v13, vcc_lo
	s_delay_alu instid0(VALU_DEP_1) | instskip(NEXT) | instid1(VALU_DEP_1)
	v_lshlrev_b64 v[15:16], 2, v[15:16]
	v_sub_co_u32 v15, vcc_lo, s1, v15
	s_delay_alu instid0(VALU_DEP_2)
	v_sub_co_ci_u32_e32 v16, vcc_lo, s0, v16, vcc_lo
	s_waitcnt lgkmcnt(0)
	global_store_b32 v[15:16], v17, off
                                        ; implicit-def: $vgpr15
.LBB1912_331:
	s_and_not1_saveexec_b32 s6, s6
	s_cbranch_execz .LBB1912_333
; %bb.332:
	v_lshlrev_b32_e32 v16, 2, v0
	v_lshlrev_b32_e32 v15, 2, v15
	v_readfirstlane_b32 s8, v9
	v_readfirstlane_b32 s9, v10
	ds_load_b32 v16, v16 offset:10240
	s_waitcnt lgkmcnt(0)
	global_store_b32 v15, v16, s[8:9]
.LBB1912_333:
	s_or_b32 exec_lo, exec_lo, s6
                                        ; implicit-def: $vgpr15
.LBB1912_334:
	s_and_not1_saveexec_b32 s5, s5
	s_cbranch_execz .LBB1912_336
; %bb.335:
	v_lshlrev_b32_e32 v16, 2, v0
	v_lshlrev_b32_e32 v15, 2, v15
	v_readfirstlane_b32 s6, v11
	v_readfirstlane_b32 s7, v12
	ds_load_b32 v16, v16 offset:10240
	s_waitcnt lgkmcnt(0)
	global_store_b32 v15, v16, s[6:7]
.LBB1912_336:
	s_or_b32 exec_lo, exec_lo, s3
	v_or_b32_e32 v15, 0xb00, v0
	s_mov_b32 s3, exec_lo
	s_delay_alu instid0(VALU_DEP_1)
	v_cmpx_gt_u32_e64 s4, v15
	s_cbranch_execz .LBB1912_345
; %bb.337:
	s_mov_b32 s5, exec_lo
	v_cmpx_le_u32_e64 v5, v15
	s_xor_b32 s5, exec_lo, s5
	s_cbranch_execz .LBB1912_343
; %bb.338:
	s_mov_b32 s6, exec_lo
	v_cmpx_le_u32_e64 v14, v15
	s_xor_b32 s6, exec_lo, s6
	s_cbranch_execz .LBB1912_340
; %bb.339:
	v_lshlrev_b32_e32 v16, 2, v0
	v_add_co_u32 v15, vcc_lo, v7, v15
	ds_load_b32 v17, v16 offset:11264
	v_add_co_ci_u32_e32 v16, vcc_lo, 0, v13, vcc_lo
	s_delay_alu instid0(VALU_DEP_1) | instskip(NEXT) | instid1(VALU_DEP_1)
	v_lshlrev_b64 v[15:16], 2, v[15:16]
	v_sub_co_u32 v15, vcc_lo, s1, v15
	s_delay_alu instid0(VALU_DEP_2)
	v_sub_co_ci_u32_e32 v16, vcc_lo, s0, v16, vcc_lo
	s_waitcnt lgkmcnt(0)
	global_store_b32 v[15:16], v17, off
                                        ; implicit-def: $vgpr15
.LBB1912_340:
	s_and_not1_saveexec_b32 s6, s6
	s_cbranch_execz .LBB1912_342
; %bb.341:
	v_lshlrev_b32_e32 v16, 2, v0
	v_lshlrev_b32_e32 v15, 2, v15
	v_readfirstlane_b32 s8, v9
	v_readfirstlane_b32 s9, v10
	ds_load_b32 v16, v16 offset:11264
	s_waitcnt lgkmcnt(0)
	global_store_b32 v15, v16, s[8:9]
.LBB1912_342:
	s_or_b32 exec_lo, exec_lo, s6
                                        ; implicit-def: $vgpr15
.LBB1912_343:
	s_and_not1_saveexec_b32 s5, s5
	s_cbranch_execz .LBB1912_345
; %bb.344:
	v_lshlrev_b32_e32 v16, 2, v0
	v_lshlrev_b32_e32 v15, 2, v15
	v_readfirstlane_b32 s6, v11
	v_readfirstlane_b32 s7, v12
	ds_load_b32 v16, v16 offset:11264
	s_waitcnt lgkmcnt(0)
	global_store_b32 v15, v16, s[6:7]
.LBB1912_345:
	s_or_b32 exec_lo, exec_lo, s3
	v_or_b32_e32 v15, 0xc00, v0
	s_mov_b32 s3, exec_lo
	s_delay_alu instid0(VALU_DEP_1)
	v_cmpx_gt_u32_e64 s4, v15
	s_cbranch_execz .LBB1912_354
; %bb.346:
	s_mov_b32 s4, exec_lo
	v_cmpx_le_u32_e64 v5, v15
	s_xor_b32 s4, exec_lo, s4
	s_cbranch_execz .LBB1912_352
; %bb.347:
	s_mov_b32 s5, exec_lo
	v_cmpx_le_u32_e64 v14, v15
	s_xor_b32 s5, exec_lo, s5
	s_cbranch_execz .LBB1912_349
; %bb.348:
	v_lshlrev_b32_e32 v0, 2, v0
	v_add_co_u32 v9, vcc_lo, v7, v15
	v_add_co_ci_u32_e32 v10, vcc_lo, 0, v13, vcc_lo
	ds_load_b32 v0, v0 offset:12288
                                        ; implicit-def: $vgpr15
	v_lshlrev_b64 v[9:10], 2, v[9:10]
	s_delay_alu instid0(VALU_DEP_1) | instskip(NEXT) | instid1(VALU_DEP_2)
	v_sub_co_u32 v9, vcc_lo, s1, v9
	v_sub_co_ci_u32_e32 v10, vcc_lo, s0, v10, vcc_lo
	s_waitcnt lgkmcnt(0)
	global_store_b32 v[9:10], v0, off
                                        ; implicit-def: $vgpr0
                                        ; implicit-def: $vgpr9_vgpr10
.LBB1912_349:
	s_and_not1_saveexec_b32 s0, s5
	s_cbranch_execz .LBB1912_351
; %bb.350:
	v_lshlrev_b32_e32 v0, 2, v0
	v_lshlrev_b32_e32 v7, 2, v15
	v_readfirstlane_b32 s6, v9
	v_readfirstlane_b32 s7, v10
	ds_load_b32 v0, v0 offset:12288
	s_waitcnt lgkmcnt(0)
	global_store_b32 v7, v0, s[6:7]
.LBB1912_351:
	s_or_b32 exec_lo, exec_lo, s0
                                        ; implicit-def: $vgpr0
                                        ; implicit-def: $vgpr15
                                        ; implicit-def: $vgpr11_vgpr12
.LBB1912_352:
	s_and_not1_saveexec_b32 s0, s4
	s_cbranch_execz .LBB1912_354
; %bb.353:
	v_lshlrev_b32_e32 v0, 2, v0
	v_lshlrev_b32_e32 v7, 2, v15
	v_readfirstlane_b32 s0, v11
	v_readfirstlane_b32 s1, v12
	ds_load_b32 v0, v0 offset:12288
	s_waitcnt lgkmcnt(0)
	global_store_b32 v7, v0, s[0:1]
.LBB1912_354:
	s_or_b32 exec_lo, exec_lo, s3
	s_and_b32 s0, s2, s13
	s_delay_alu instid0(SALU_CYCLE_1)
	s_and_saveexec_b32 s1, s0
	s_cbranch_execz .LBB1912_131
.LBB1912_355:
	v_add_co_u32 v3, vcc_lo, v3, v6
	v_add_co_ci_u32_e32 v4, vcc_lo, 0, v4, vcc_lo
	v_add_co_u32 v0, vcc_lo, v1, v5
	v_add_co_ci_u32_e32 v1, vcc_lo, 0, v2, vcc_lo
	s_delay_alu instid0(VALU_DEP_4)
	v_add_co_u32 v2, vcc_lo, v3, v8
	v_mov_b32_e32 v7, 0
	v_add_co_ci_u32_e32 v3, vcc_lo, 0, v4, vcc_lo
	global_store_b128 v7, v[0:3], s[24:25]
	s_nop 0
	s_sendmsg sendmsg(MSG_DEALLOC_VGPRS)
	s_endpgm
.LBB1912_356:
	v_add_nc_u32_e32 v7, s6, v27
	s_add_i32 s8, s26, 32
	s_mov_b32 s9, 0
	v_dual_mov_b32 v9, 0 :: v_dual_add_nc_u32 v6, v26, v5
	s_lshl_b64 s[8:9], s[8:9], 4
	v_and_b32_e32 v24, 0xff0000, v7
	s_add_u32 s8, s36, s8
	s_addc_u32 s9, s37, s9
	v_and_b32_e32 v8, 0xff000000, v7
	s_delay_alu instid0(VALU_DEP_1) | instskip(SKIP_2) | instid1(VALU_DEP_1)
	v_or_b32_e32 v24, v24, v8
	v_dual_mov_b32 v8, 2 :: v_dual_and_b32 v25, 0xff00, v7
	v_and_b32_e32 v7, 0xff, v7
	v_or3_b32 v7, v24, v25, v7
	v_dual_mov_b32 v25, s9 :: v_dual_mov_b32 v24, s8
	;;#ASMSTART
	global_store_dwordx4 v[24:25], v[6:9] off	
s_waitcnt vmcnt(0)
	;;#ASMEND
	s_or_b32 exec_lo, exec_lo, s7
	s_and_saveexec_b32 s7, s3
	s_cbranch_execz .LBB1912_115
.LBB1912_357:
	v_mov_b32_e32 v6, s6
	v_add_nc_u32_e64 v7, 0x3400, 0
	ds_store_2addr_b32 v7, v5, v6 offset1:2
	ds_store_2addr_b32 v7, v26, v27 offset0:4 offset1:6
	s_or_b32 exec_lo, exec_lo, s7
	s_delay_alu instid0(SALU_CYCLE_1)
	s_and_b32 exec_lo, exec_lo, s2
	s_cbranch_execnz .LBB1912_116
	s_branch .LBB1912_117
	.section	.rodata,"a",@progbits
	.p2align	6, 0x0
	.amdhsa_kernel _ZN7rocprim17ROCPRIM_400000_NS6detail17trampoline_kernelINS0_13select_configILj256ELj13ELNS0_17block_load_methodE3ELS4_3ELS4_3ELNS0_20block_scan_algorithmE0ELj4294967295EEENS1_25partition_config_selectorILNS1_17partition_subalgoE4EjNS0_10empty_typeEbEEZZNS1_14partition_implILS8_4ELb0ES6_15HIP_vector_typeIjLj2EENS0_17counting_iteratorIjlEEPS9_SG_NS0_5tupleIJPjSI_NS0_16reverse_iteratorISI_EEEEENSH_IJSG_SG_SG_EEES9_SI_JZNS1_25segmented_radix_sort_implINS0_14default_configELb1EPK12hip_bfloat16PSP_PKlPlN2at6native12_GLOBAL__N_18offset_tEEE10hipError_tPvRmT1_PNSt15iterator_traitsIS13_E10value_typeET2_T3_PNS14_IS19_E10value_typeET4_jRbjT5_S1F_jjP12ihipStream_tbEUljE_ZNSN_ISO_Lb1ESR_SS_SU_SV_SZ_EES10_S11_S12_S13_S17_S18_S19_S1C_S1D_jS1E_jS1F_S1F_jjS1H_bEUljE0_EEES10_S11_S12_S19_S1D_S1F_T6_T7_T9_mT8_S1H_bDpT10_ENKUlT_T0_E_clISt17integral_constantIbLb0EES1U_IbLb1EEEEDaS1Q_S1R_EUlS1Q_E_NS1_11comp_targetILNS1_3genE9ELNS1_11target_archE1100ELNS1_3gpuE3ELNS1_3repE0EEENS1_30default_config_static_selectorELNS0_4arch9wavefront6targetE0EEEvS13_
		.amdhsa_group_segment_fixed_size 13340
		.amdhsa_private_segment_fixed_size 0
		.amdhsa_kernarg_size 184
		.amdhsa_user_sgpr_count 15
		.amdhsa_user_sgpr_dispatch_ptr 0
		.amdhsa_user_sgpr_queue_ptr 0
		.amdhsa_user_sgpr_kernarg_segment_ptr 1
		.amdhsa_user_sgpr_dispatch_id 0
		.amdhsa_user_sgpr_private_segment_size 0
		.amdhsa_wavefront_size32 1
		.amdhsa_uses_dynamic_stack 0
		.amdhsa_enable_private_segment 0
		.amdhsa_system_sgpr_workgroup_id_x 1
		.amdhsa_system_sgpr_workgroup_id_y 0
		.amdhsa_system_sgpr_workgroup_id_z 0
		.amdhsa_system_sgpr_workgroup_info 0
		.amdhsa_system_vgpr_workitem_id 0
		.amdhsa_next_free_vgpr 103
		.amdhsa_next_free_sgpr 55
		.amdhsa_reserve_vcc 1
		.amdhsa_float_round_mode_32 0
		.amdhsa_float_round_mode_16_64 0
		.amdhsa_float_denorm_mode_32 3
		.amdhsa_float_denorm_mode_16_64 3
		.amdhsa_dx10_clamp 1
		.amdhsa_ieee_mode 1
		.amdhsa_fp16_overflow 0
		.amdhsa_workgroup_processor_mode 1
		.amdhsa_memory_ordered 1
		.amdhsa_forward_progress 0
		.amdhsa_shared_vgpr_count 0
		.amdhsa_exception_fp_ieee_invalid_op 0
		.amdhsa_exception_fp_denorm_src 0
		.amdhsa_exception_fp_ieee_div_zero 0
		.amdhsa_exception_fp_ieee_overflow 0
		.amdhsa_exception_fp_ieee_underflow 0
		.amdhsa_exception_fp_ieee_inexact 0
		.amdhsa_exception_int_div_zero 0
	.end_amdhsa_kernel
	.section	.text._ZN7rocprim17ROCPRIM_400000_NS6detail17trampoline_kernelINS0_13select_configILj256ELj13ELNS0_17block_load_methodE3ELS4_3ELS4_3ELNS0_20block_scan_algorithmE0ELj4294967295EEENS1_25partition_config_selectorILNS1_17partition_subalgoE4EjNS0_10empty_typeEbEEZZNS1_14partition_implILS8_4ELb0ES6_15HIP_vector_typeIjLj2EENS0_17counting_iteratorIjlEEPS9_SG_NS0_5tupleIJPjSI_NS0_16reverse_iteratorISI_EEEEENSH_IJSG_SG_SG_EEES9_SI_JZNS1_25segmented_radix_sort_implINS0_14default_configELb1EPK12hip_bfloat16PSP_PKlPlN2at6native12_GLOBAL__N_18offset_tEEE10hipError_tPvRmT1_PNSt15iterator_traitsIS13_E10value_typeET2_T3_PNS14_IS19_E10value_typeET4_jRbjT5_S1F_jjP12ihipStream_tbEUljE_ZNSN_ISO_Lb1ESR_SS_SU_SV_SZ_EES10_S11_S12_S13_S17_S18_S19_S1C_S1D_jS1E_jS1F_S1F_jjS1H_bEUljE0_EEES10_S11_S12_S19_S1D_S1F_T6_T7_T9_mT8_S1H_bDpT10_ENKUlT_T0_E_clISt17integral_constantIbLb0EES1U_IbLb1EEEEDaS1Q_S1R_EUlS1Q_E_NS1_11comp_targetILNS1_3genE9ELNS1_11target_archE1100ELNS1_3gpuE3ELNS1_3repE0EEENS1_30default_config_static_selectorELNS0_4arch9wavefront6targetE0EEEvS13_,"axG",@progbits,_ZN7rocprim17ROCPRIM_400000_NS6detail17trampoline_kernelINS0_13select_configILj256ELj13ELNS0_17block_load_methodE3ELS4_3ELS4_3ELNS0_20block_scan_algorithmE0ELj4294967295EEENS1_25partition_config_selectorILNS1_17partition_subalgoE4EjNS0_10empty_typeEbEEZZNS1_14partition_implILS8_4ELb0ES6_15HIP_vector_typeIjLj2EENS0_17counting_iteratorIjlEEPS9_SG_NS0_5tupleIJPjSI_NS0_16reverse_iteratorISI_EEEEENSH_IJSG_SG_SG_EEES9_SI_JZNS1_25segmented_radix_sort_implINS0_14default_configELb1EPK12hip_bfloat16PSP_PKlPlN2at6native12_GLOBAL__N_18offset_tEEE10hipError_tPvRmT1_PNSt15iterator_traitsIS13_E10value_typeET2_T3_PNS14_IS19_E10value_typeET4_jRbjT5_S1F_jjP12ihipStream_tbEUljE_ZNSN_ISO_Lb1ESR_SS_SU_SV_SZ_EES10_S11_S12_S13_S17_S18_S19_S1C_S1D_jS1E_jS1F_S1F_jjS1H_bEUljE0_EEES10_S11_S12_S19_S1D_S1F_T6_T7_T9_mT8_S1H_bDpT10_ENKUlT_T0_E_clISt17integral_constantIbLb0EES1U_IbLb1EEEEDaS1Q_S1R_EUlS1Q_E_NS1_11comp_targetILNS1_3genE9ELNS1_11target_archE1100ELNS1_3gpuE3ELNS1_3repE0EEENS1_30default_config_static_selectorELNS0_4arch9wavefront6targetE0EEEvS13_,comdat
.Lfunc_end1912:
	.size	_ZN7rocprim17ROCPRIM_400000_NS6detail17trampoline_kernelINS0_13select_configILj256ELj13ELNS0_17block_load_methodE3ELS4_3ELS4_3ELNS0_20block_scan_algorithmE0ELj4294967295EEENS1_25partition_config_selectorILNS1_17partition_subalgoE4EjNS0_10empty_typeEbEEZZNS1_14partition_implILS8_4ELb0ES6_15HIP_vector_typeIjLj2EENS0_17counting_iteratorIjlEEPS9_SG_NS0_5tupleIJPjSI_NS0_16reverse_iteratorISI_EEEEENSH_IJSG_SG_SG_EEES9_SI_JZNS1_25segmented_radix_sort_implINS0_14default_configELb1EPK12hip_bfloat16PSP_PKlPlN2at6native12_GLOBAL__N_18offset_tEEE10hipError_tPvRmT1_PNSt15iterator_traitsIS13_E10value_typeET2_T3_PNS14_IS19_E10value_typeET4_jRbjT5_S1F_jjP12ihipStream_tbEUljE_ZNSN_ISO_Lb1ESR_SS_SU_SV_SZ_EES10_S11_S12_S13_S17_S18_S19_S1C_S1D_jS1E_jS1F_S1F_jjS1H_bEUljE0_EEES10_S11_S12_S19_S1D_S1F_T6_T7_T9_mT8_S1H_bDpT10_ENKUlT_T0_E_clISt17integral_constantIbLb0EES1U_IbLb1EEEEDaS1Q_S1R_EUlS1Q_E_NS1_11comp_targetILNS1_3genE9ELNS1_11target_archE1100ELNS1_3gpuE3ELNS1_3repE0EEENS1_30default_config_static_selectorELNS0_4arch9wavefront6targetE0EEEvS13_, .Lfunc_end1912-_ZN7rocprim17ROCPRIM_400000_NS6detail17trampoline_kernelINS0_13select_configILj256ELj13ELNS0_17block_load_methodE3ELS4_3ELS4_3ELNS0_20block_scan_algorithmE0ELj4294967295EEENS1_25partition_config_selectorILNS1_17partition_subalgoE4EjNS0_10empty_typeEbEEZZNS1_14partition_implILS8_4ELb0ES6_15HIP_vector_typeIjLj2EENS0_17counting_iteratorIjlEEPS9_SG_NS0_5tupleIJPjSI_NS0_16reverse_iteratorISI_EEEEENSH_IJSG_SG_SG_EEES9_SI_JZNS1_25segmented_radix_sort_implINS0_14default_configELb1EPK12hip_bfloat16PSP_PKlPlN2at6native12_GLOBAL__N_18offset_tEEE10hipError_tPvRmT1_PNSt15iterator_traitsIS13_E10value_typeET2_T3_PNS14_IS19_E10value_typeET4_jRbjT5_S1F_jjP12ihipStream_tbEUljE_ZNSN_ISO_Lb1ESR_SS_SU_SV_SZ_EES10_S11_S12_S13_S17_S18_S19_S1C_S1D_jS1E_jS1F_S1F_jjS1H_bEUljE0_EEES10_S11_S12_S19_S1D_S1F_T6_T7_T9_mT8_S1H_bDpT10_ENKUlT_T0_E_clISt17integral_constantIbLb0EES1U_IbLb1EEEEDaS1Q_S1R_EUlS1Q_E_NS1_11comp_targetILNS1_3genE9ELNS1_11target_archE1100ELNS1_3gpuE3ELNS1_3repE0EEENS1_30default_config_static_selectorELNS0_4arch9wavefront6targetE0EEEvS13_
                                        ; -- End function
	.section	.AMDGPU.csdata,"",@progbits
; Kernel info:
; codeLenInByte = 15060
; NumSgprs: 57
; NumVgprs: 103
; ScratchSize: 0
; MemoryBound: 0
; FloatMode: 240
; IeeeMode: 1
; LDSByteSize: 13340 bytes/workgroup (compile time only)
; SGPRBlocks: 7
; VGPRBlocks: 12
; NumSGPRsForWavesPerEU: 57
; NumVGPRsForWavesPerEU: 103
; Occupancy: 12
; WaveLimiterHint : 1
; COMPUTE_PGM_RSRC2:SCRATCH_EN: 0
; COMPUTE_PGM_RSRC2:USER_SGPR: 15
; COMPUTE_PGM_RSRC2:TRAP_HANDLER: 0
; COMPUTE_PGM_RSRC2:TGID_X_EN: 1
; COMPUTE_PGM_RSRC2:TGID_Y_EN: 0
; COMPUTE_PGM_RSRC2:TGID_Z_EN: 0
; COMPUTE_PGM_RSRC2:TIDIG_COMP_CNT: 0
	.section	.text._ZN7rocprim17ROCPRIM_400000_NS6detail17trampoline_kernelINS0_13select_configILj256ELj13ELNS0_17block_load_methodE3ELS4_3ELS4_3ELNS0_20block_scan_algorithmE0ELj4294967295EEENS1_25partition_config_selectorILNS1_17partition_subalgoE4EjNS0_10empty_typeEbEEZZNS1_14partition_implILS8_4ELb0ES6_15HIP_vector_typeIjLj2EENS0_17counting_iteratorIjlEEPS9_SG_NS0_5tupleIJPjSI_NS0_16reverse_iteratorISI_EEEEENSH_IJSG_SG_SG_EEES9_SI_JZNS1_25segmented_radix_sort_implINS0_14default_configELb1EPK12hip_bfloat16PSP_PKlPlN2at6native12_GLOBAL__N_18offset_tEEE10hipError_tPvRmT1_PNSt15iterator_traitsIS13_E10value_typeET2_T3_PNS14_IS19_E10value_typeET4_jRbjT5_S1F_jjP12ihipStream_tbEUljE_ZNSN_ISO_Lb1ESR_SS_SU_SV_SZ_EES10_S11_S12_S13_S17_S18_S19_S1C_S1D_jS1E_jS1F_S1F_jjS1H_bEUljE0_EEES10_S11_S12_S19_S1D_S1F_T6_T7_T9_mT8_S1H_bDpT10_ENKUlT_T0_E_clISt17integral_constantIbLb0EES1U_IbLb1EEEEDaS1Q_S1R_EUlS1Q_E_NS1_11comp_targetILNS1_3genE8ELNS1_11target_archE1030ELNS1_3gpuE2ELNS1_3repE0EEENS1_30default_config_static_selectorELNS0_4arch9wavefront6targetE0EEEvS13_,"axG",@progbits,_ZN7rocprim17ROCPRIM_400000_NS6detail17trampoline_kernelINS0_13select_configILj256ELj13ELNS0_17block_load_methodE3ELS4_3ELS4_3ELNS0_20block_scan_algorithmE0ELj4294967295EEENS1_25partition_config_selectorILNS1_17partition_subalgoE4EjNS0_10empty_typeEbEEZZNS1_14partition_implILS8_4ELb0ES6_15HIP_vector_typeIjLj2EENS0_17counting_iteratorIjlEEPS9_SG_NS0_5tupleIJPjSI_NS0_16reverse_iteratorISI_EEEEENSH_IJSG_SG_SG_EEES9_SI_JZNS1_25segmented_radix_sort_implINS0_14default_configELb1EPK12hip_bfloat16PSP_PKlPlN2at6native12_GLOBAL__N_18offset_tEEE10hipError_tPvRmT1_PNSt15iterator_traitsIS13_E10value_typeET2_T3_PNS14_IS19_E10value_typeET4_jRbjT5_S1F_jjP12ihipStream_tbEUljE_ZNSN_ISO_Lb1ESR_SS_SU_SV_SZ_EES10_S11_S12_S13_S17_S18_S19_S1C_S1D_jS1E_jS1F_S1F_jjS1H_bEUljE0_EEES10_S11_S12_S19_S1D_S1F_T6_T7_T9_mT8_S1H_bDpT10_ENKUlT_T0_E_clISt17integral_constantIbLb0EES1U_IbLb1EEEEDaS1Q_S1R_EUlS1Q_E_NS1_11comp_targetILNS1_3genE8ELNS1_11target_archE1030ELNS1_3gpuE2ELNS1_3repE0EEENS1_30default_config_static_selectorELNS0_4arch9wavefront6targetE0EEEvS13_,comdat
	.globl	_ZN7rocprim17ROCPRIM_400000_NS6detail17trampoline_kernelINS0_13select_configILj256ELj13ELNS0_17block_load_methodE3ELS4_3ELS4_3ELNS0_20block_scan_algorithmE0ELj4294967295EEENS1_25partition_config_selectorILNS1_17partition_subalgoE4EjNS0_10empty_typeEbEEZZNS1_14partition_implILS8_4ELb0ES6_15HIP_vector_typeIjLj2EENS0_17counting_iteratorIjlEEPS9_SG_NS0_5tupleIJPjSI_NS0_16reverse_iteratorISI_EEEEENSH_IJSG_SG_SG_EEES9_SI_JZNS1_25segmented_radix_sort_implINS0_14default_configELb1EPK12hip_bfloat16PSP_PKlPlN2at6native12_GLOBAL__N_18offset_tEEE10hipError_tPvRmT1_PNSt15iterator_traitsIS13_E10value_typeET2_T3_PNS14_IS19_E10value_typeET4_jRbjT5_S1F_jjP12ihipStream_tbEUljE_ZNSN_ISO_Lb1ESR_SS_SU_SV_SZ_EES10_S11_S12_S13_S17_S18_S19_S1C_S1D_jS1E_jS1F_S1F_jjS1H_bEUljE0_EEES10_S11_S12_S19_S1D_S1F_T6_T7_T9_mT8_S1H_bDpT10_ENKUlT_T0_E_clISt17integral_constantIbLb0EES1U_IbLb1EEEEDaS1Q_S1R_EUlS1Q_E_NS1_11comp_targetILNS1_3genE8ELNS1_11target_archE1030ELNS1_3gpuE2ELNS1_3repE0EEENS1_30default_config_static_selectorELNS0_4arch9wavefront6targetE0EEEvS13_ ; -- Begin function _ZN7rocprim17ROCPRIM_400000_NS6detail17trampoline_kernelINS0_13select_configILj256ELj13ELNS0_17block_load_methodE3ELS4_3ELS4_3ELNS0_20block_scan_algorithmE0ELj4294967295EEENS1_25partition_config_selectorILNS1_17partition_subalgoE4EjNS0_10empty_typeEbEEZZNS1_14partition_implILS8_4ELb0ES6_15HIP_vector_typeIjLj2EENS0_17counting_iteratorIjlEEPS9_SG_NS0_5tupleIJPjSI_NS0_16reverse_iteratorISI_EEEEENSH_IJSG_SG_SG_EEES9_SI_JZNS1_25segmented_radix_sort_implINS0_14default_configELb1EPK12hip_bfloat16PSP_PKlPlN2at6native12_GLOBAL__N_18offset_tEEE10hipError_tPvRmT1_PNSt15iterator_traitsIS13_E10value_typeET2_T3_PNS14_IS19_E10value_typeET4_jRbjT5_S1F_jjP12ihipStream_tbEUljE_ZNSN_ISO_Lb1ESR_SS_SU_SV_SZ_EES10_S11_S12_S13_S17_S18_S19_S1C_S1D_jS1E_jS1F_S1F_jjS1H_bEUljE0_EEES10_S11_S12_S19_S1D_S1F_T6_T7_T9_mT8_S1H_bDpT10_ENKUlT_T0_E_clISt17integral_constantIbLb0EES1U_IbLb1EEEEDaS1Q_S1R_EUlS1Q_E_NS1_11comp_targetILNS1_3genE8ELNS1_11target_archE1030ELNS1_3gpuE2ELNS1_3repE0EEENS1_30default_config_static_selectorELNS0_4arch9wavefront6targetE0EEEvS13_
	.p2align	8
	.type	_ZN7rocprim17ROCPRIM_400000_NS6detail17trampoline_kernelINS0_13select_configILj256ELj13ELNS0_17block_load_methodE3ELS4_3ELS4_3ELNS0_20block_scan_algorithmE0ELj4294967295EEENS1_25partition_config_selectorILNS1_17partition_subalgoE4EjNS0_10empty_typeEbEEZZNS1_14partition_implILS8_4ELb0ES6_15HIP_vector_typeIjLj2EENS0_17counting_iteratorIjlEEPS9_SG_NS0_5tupleIJPjSI_NS0_16reverse_iteratorISI_EEEEENSH_IJSG_SG_SG_EEES9_SI_JZNS1_25segmented_radix_sort_implINS0_14default_configELb1EPK12hip_bfloat16PSP_PKlPlN2at6native12_GLOBAL__N_18offset_tEEE10hipError_tPvRmT1_PNSt15iterator_traitsIS13_E10value_typeET2_T3_PNS14_IS19_E10value_typeET4_jRbjT5_S1F_jjP12ihipStream_tbEUljE_ZNSN_ISO_Lb1ESR_SS_SU_SV_SZ_EES10_S11_S12_S13_S17_S18_S19_S1C_S1D_jS1E_jS1F_S1F_jjS1H_bEUljE0_EEES10_S11_S12_S19_S1D_S1F_T6_T7_T9_mT8_S1H_bDpT10_ENKUlT_T0_E_clISt17integral_constantIbLb0EES1U_IbLb1EEEEDaS1Q_S1R_EUlS1Q_E_NS1_11comp_targetILNS1_3genE8ELNS1_11target_archE1030ELNS1_3gpuE2ELNS1_3repE0EEENS1_30default_config_static_selectorELNS0_4arch9wavefront6targetE0EEEvS13_,@function
_ZN7rocprim17ROCPRIM_400000_NS6detail17trampoline_kernelINS0_13select_configILj256ELj13ELNS0_17block_load_methodE3ELS4_3ELS4_3ELNS0_20block_scan_algorithmE0ELj4294967295EEENS1_25partition_config_selectorILNS1_17partition_subalgoE4EjNS0_10empty_typeEbEEZZNS1_14partition_implILS8_4ELb0ES6_15HIP_vector_typeIjLj2EENS0_17counting_iteratorIjlEEPS9_SG_NS0_5tupleIJPjSI_NS0_16reverse_iteratorISI_EEEEENSH_IJSG_SG_SG_EEES9_SI_JZNS1_25segmented_radix_sort_implINS0_14default_configELb1EPK12hip_bfloat16PSP_PKlPlN2at6native12_GLOBAL__N_18offset_tEEE10hipError_tPvRmT1_PNSt15iterator_traitsIS13_E10value_typeET2_T3_PNS14_IS19_E10value_typeET4_jRbjT5_S1F_jjP12ihipStream_tbEUljE_ZNSN_ISO_Lb1ESR_SS_SU_SV_SZ_EES10_S11_S12_S13_S17_S18_S19_S1C_S1D_jS1E_jS1F_S1F_jjS1H_bEUljE0_EEES10_S11_S12_S19_S1D_S1F_T6_T7_T9_mT8_S1H_bDpT10_ENKUlT_T0_E_clISt17integral_constantIbLb0EES1U_IbLb1EEEEDaS1Q_S1R_EUlS1Q_E_NS1_11comp_targetILNS1_3genE8ELNS1_11target_archE1030ELNS1_3gpuE2ELNS1_3repE0EEENS1_30default_config_static_selectorELNS0_4arch9wavefront6targetE0EEEvS13_: ; @_ZN7rocprim17ROCPRIM_400000_NS6detail17trampoline_kernelINS0_13select_configILj256ELj13ELNS0_17block_load_methodE3ELS4_3ELS4_3ELNS0_20block_scan_algorithmE0ELj4294967295EEENS1_25partition_config_selectorILNS1_17partition_subalgoE4EjNS0_10empty_typeEbEEZZNS1_14partition_implILS8_4ELb0ES6_15HIP_vector_typeIjLj2EENS0_17counting_iteratorIjlEEPS9_SG_NS0_5tupleIJPjSI_NS0_16reverse_iteratorISI_EEEEENSH_IJSG_SG_SG_EEES9_SI_JZNS1_25segmented_radix_sort_implINS0_14default_configELb1EPK12hip_bfloat16PSP_PKlPlN2at6native12_GLOBAL__N_18offset_tEEE10hipError_tPvRmT1_PNSt15iterator_traitsIS13_E10value_typeET2_T3_PNS14_IS19_E10value_typeET4_jRbjT5_S1F_jjP12ihipStream_tbEUljE_ZNSN_ISO_Lb1ESR_SS_SU_SV_SZ_EES10_S11_S12_S13_S17_S18_S19_S1C_S1D_jS1E_jS1F_S1F_jjS1H_bEUljE0_EEES10_S11_S12_S19_S1D_S1F_T6_T7_T9_mT8_S1H_bDpT10_ENKUlT_T0_E_clISt17integral_constantIbLb0EES1U_IbLb1EEEEDaS1Q_S1R_EUlS1Q_E_NS1_11comp_targetILNS1_3genE8ELNS1_11target_archE1030ELNS1_3gpuE2ELNS1_3repE0EEENS1_30default_config_static_selectorELNS0_4arch9wavefront6targetE0EEEvS13_
; %bb.0:
	.section	.rodata,"a",@progbits
	.p2align	6, 0x0
	.amdhsa_kernel _ZN7rocprim17ROCPRIM_400000_NS6detail17trampoline_kernelINS0_13select_configILj256ELj13ELNS0_17block_load_methodE3ELS4_3ELS4_3ELNS0_20block_scan_algorithmE0ELj4294967295EEENS1_25partition_config_selectorILNS1_17partition_subalgoE4EjNS0_10empty_typeEbEEZZNS1_14partition_implILS8_4ELb0ES6_15HIP_vector_typeIjLj2EENS0_17counting_iteratorIjlEEPS9_SG_NS0_5tupleIJPjSI_NS0_16reverse_iteratorISI_EEEEENSH_IJSG_SG_SG_EEES9_SI_JZNS1_25segmented_radix_sort_implINS0_14default_configELb1EPK12hip_bfloat16PSP_PKlPlN2at6native12_GLOBAL__N_18offset_tEEE10hipError_tPvRmT1_PNSt15iterator_traitsIS13_E10value_typeET2_T3_PNS14_IS19_E10value_typeET4_jRbjT5_S1F_jjP12ihipStream_tbEUljE_ZNSN_ISO_Lb1ESR_SS_SU_SV_SZ_EES10_S11_S12_S13_S17_S18_S19_S1C_S1D_jS1E_jS1F_S1F_jjS1H_bEUljE0_EEES10_S11_S12_S19_S1D_S1F_T6_T7_T9_mT8_S1H_bDpT10_ENKUlT_T0_E_clISt17integral_constantIbLb0EES1U_IbLb1EEEEDaS1Q_S1R_EUlS1Q_E_NS1_11comp_targetILNS1_3genE8ELNS1_11target_archE1030ELNS1_3gpuE2ELNS1_3repE0EEENS1_30default_config_static_selectorELNS0_4arch9wavefront6targetE0EEEvS13_
		.amdhsa_group_segment_fixed_size 0
		.amdhsa_private_segment_fixed_size 0
		.amdhsa_kernarg_size 184
		.amdhsa_user_sgpr_count 15
		.amdhsa_user_sgpr_dispatch_ptr 0
		.amdhsa_user_sgpr_queue_ptr 0
		.amdhsa_user_sgpr_kernarg_segment_ptr 1
		.amdhsa_user_sgpr_dispatch_id 0
		.amdhsa_user_sgpr_private_segment_size 0
		.amdhsa_wavefront_size32 1
		.amdhsa_uses_dynamic_stack 0
		.amdhsa_enable_private_segment 0
		.amdhsa_system_sgpr_workgroup_id_x 1
		.amdhsa_system_sgpr_workgroup_id_y 0
		.amdhsa_system_sgpr_workgroup_id_z 0
		.amdhsa_system_sgpr_workgroup_info 0
		.amdhsa_system_vgpr_workitem_id 0
		.amdhsa_next_free_vgpr 1
		.amdhsa_next_free_sgpr 1
		.amdhsa_reserve_vcc 0
		.amdhsa_float_round_mode_32 0
		.amdhsa_float_round_mode_16_64 0
		.amdhsa_float_denorm_mode_32 3
		.amdhsa_float_denorm_mode_16_64 3
		.amdhsa_dx10_clamp 1
		.amdhsa_ieee_mode 1
		.amdhsa_fp16_overflow 0
		.amdhsa_workgroup_processor_mode 1
		.amdhsa_memory_ordered 1
		.amdhsa_forward_progress 0
		.amdhsa_shared_vgpr_count 0
		.amdhsa_exception_fp_ieee_invalid_op 0
		.amdhsa_exception_fp_denorm_src 0
		.amdhsa_exception_fp_ieee_div_zero 0
		.amdhsa_exception_fp_ieee_overflow 0
		.amdhsa_exception_fp_ieee_underflow 0
		.amdhsa_exception_fp_ieee_inexact 0
		.amdhsa_exception_int_div_zero 0
	.end_amdhsa_kernel
	.section	.text._ZN7rocprim17ROCPRIM_400000_NS6detail17trampoline_kernelINS0_13select_configILj256ELj13ELNS0_17block_load_methodE3ELS4_3ELS4_3ELNS0_20block_scan_algorithmE0ELj4294967295EEENS1_25partition_config_selectorILNS1_17partition_subalgoE4EjNS0_10empty_typeEbEEZZNS1_14partition_implILS8_4ELb0ES6_15HIP_vector_typeIjLj2EENS0_17counting_iteratorIjlEEPS9_SG_NS0_5tupleIJPjSI_NS0_16reverse_iteratorISI_EEEEENSH_IJSG_SG_SG_EEES9_SI_JZNS1_25segmented_radix_sort_implINS0_14default_configELb1EPK12hip_bfloat16PSP_PKlPlN2at6native12_GLOBAL__N_18offset_tEEE10hipError_tPvRmT1_PNSt15iterator_traitsIS13_E10value_typeET2_T3_PNS14_IS19_E10value_typeET4_jRbjT5_S1F_jjP12ihipStream_tbEUljE_ZNSN_ISO_Lb1ESR_SS_SU_SV_SZ_EES10_S11_S12_S13_S17_S18_S19_S1C_S1D_jS1E_jS1F_S1F_jjS1H_bEUljE0_EEES10_S11_S12_S19_S1D_S1F_T6_T7_T9_mT8_S1H_bDpT10_ENKUlT_T0_E_clISt17integral_constantIbLb0EES1U_IbLb1EEEEDaS1Q_S1R_EUlS1Q_E_NS1_11comp_targetILNS1_3genE8ELNS1_11target_archE1030ELNS1_3gpuE2ELNS1_3repE0EEENS1_30default_config_static_selectorELNS0_4arch9wavefront6targetE0EEEvS13_,"axG",@progbits,_ZN7rocprim17ROCPRIM_400000_NS6detail17trampoline_kernelINS0_13select_configILj256ELj13ELNS0_17block_load_methodE3ELS4_3ELS4_3ELNS0_20block_scan_algorithmE0ELj4294967295EEENS1_25partition_config_selectorILNS1_17partition_subalgoE4EjNS0_10empty_typeEbEEZZNS1_14partition_implILS8_4ELb0ES6_15HIP_vector_typeIjLj2EENS0_17counting_iteratorIjlEEPS9_SG_NS0_5tupleIJPjSI_NS0_16reverse_iteratorISI_EEEEENSH_IJSG_SG_SG_EEES9_SI_JZNS1_25segmented_radix_sort_implINS0_14default_configELb1EPK12hip_bfloat16PSP_PKlPlN2at6native12_GLOBAL__N_18offset_tEEE10hipError_tPvRmT1_PNSt15iterator_traitsIS13_E10value_typeET2_T3_PNS14_IS19_E10value_typeET4_jRbjT5_S1F_jjP12ihipStream_tbEUljE_ZNSN_ISO_Lb1ESR_SS_SU_SV_SZ_EES10_S11_S12_S13_S17_S18_S19_S1C_S1D_jS1E_jS1F_S1F_jjS1H_bEUljE0_EEES10_S11_S12_S19_S1D_S1F_T6_T7_T9_mT8_S1H_bDpT10_ENKUlT_T0_E_clISt17integral_constantIbLb0EES1U_IbLb1EEEEDaS1Q_S1R_EUlS1Q_E_NS1_11comp_targetILNS1_3genE8ELNS1_11target_archE1030ELNS1_3gpuE2ELNS1_3repE0EEENS1_30default_config_static_selectorELNS0_4arch9wavefront6targetE0EEEvS13_,comdat
.Lfunc_end1913:
	.size	_ZN7rocprim17ROCPRIM_400000_NS6detail17trampoline_kernelINS0_13select_configILj256ELj13ELNS0_17block_load_methodE3ELS4_3ELS4_3ELNS0_20block_scan_algorithmE0ELj4294967295EEENS1_25partition_config_selectorILNS1_17partition_subalgoE4EjNS0_10empty_typeEbEEZZNS1_14partition_implILS8_4ELb0ES6_15HIP_vector_typeIjLj2EENS0_17counting_iteratorIjlEEPS9_SG_NS0_5tupleIJPjSI_NS0_16reverse_iteratorISI_EEEEENSH_IJSG_SG_SG_EEES9_SI_JZNS1_25segmented_radix_sort_implINS0_14default_configELb1EPK12hip_bfloat16PSP_PKlPlN2at6native12_GLOBAL__N_18offset_tEEE10hipError_tPvRmT1_PNSt15iterator_traitsIS13_E10value_typeET2_T3_PNS14_IS19_E10value_typeET4_jRbjT5_S1F_jjP12ihipStream_tbEUljE_ZNSN_ISO_Lb1ESR_SS_SU_SV_SZ_EES10_S11_S12_S13_S17_S18_S19_S1C_S1D_jS1E_jS1F_S1F_jjS1H_bEUljE0_EEES10_S11_S12_S19_S1D_S1F_T6_T7_T9_mT8_S1H_bDpT10_ENKUlT_T0_E_clISt17integral_constantIbLb0EES1U_IbLb1EEEEDaS1Q_S1R_EUlS1Q_E_NS1_11comp_targetILNS1_3genE8ELNS1_11target_archE1030ELNS1_3gpuE2ELNS1_3repE0EEENS1_30default_config_static_selectorELNS0_4arch9wavefront6targetE0EEEvS13_, .Lfunc_end1913-_ZN7rocprim17ROCPRIM_400000_NS6detail17trampoline_kernelINS0_13select_configILj256ELj13ELNS0_17block_load_methodE3ELS4_3ELS4_3ELNS0_20block_scan_algorithmE0ELj4294967295EEENS1_25partition_config_selectorILNS1_17partition_subalgoE4EjNS0_10empty_typeEbEEZZNS1_14partition_implILS8_4ELb0ES6_15HIP_vector_typeIjLj2EENS0_17counting_iteratorIjlEEPS9_SG_NS0_5tupleIJPjSI_NS0_16reverse_iteratorISI_EEEEENSH_IJSG_SG_SG_EEES9_SI_JZNS1_25segmented_radix_sort_implINS0_14default_configELb1EPK12hip_bfloat16PSP_PKlPlN2at6native12_GLOBAL__N_18offset_tEEE10hipError_tPvRmT1_PNSt15iterator_traitsIS13_E10value_typeET2_T3_PNS14_IS19_E10value_typeET4_jRbjT5_S1F_jjP12ihipStream_tbEUljE_ZNSN_ISO_Lb1ESR_SS_SU_SV_SZ_EES10_S11_S12_S13_S17_S18_S19_S1C_S1D_jS1E_jS1F_S1F_jjS1H_bEUljE0_EEES10_S11_S12_S19_S1D_S1F_T6_T7_T9_mT8_S1H_bDpT10_ENKUlT_T0_E_clISt17integral_constantIbLb0EES1U_IbLb1EEEEDaS1Q_S1R_EUlS1Q_E_NS1_11comp_targetILNS1_3genE8ELNS1_11target_archE1030ELNS1_3gpuE2ELNS1_3repE0EEENS1_30default_config_static_selectorELNS0_4arch9wavefront6targetE0EEEvS13_
                                        ; -- End function
	.section	.AMDGPU.csdata,"",@progbits
; Kernel info:
; codeLenInByte = 0
; NumSgprs: 0
; NumVgprs: 0
; ScratchSize: 0
; MemoryBound: 0
; FloatMode: 240
; IeeeMode: 1
; LDSByteSize: 0 bytes/workgroup (compile time only)
; SGPRBlocks: 0
; VGPRBlocks: 0
; NumSGPRsForWavesPerEU: 1
; NumVGPRsForWavesPerEU: 1
; Occupancy: 16
; WaveLimiterHint : 0
; COMPUTE_PGM_RSRC2:SCRATCH_EN: 0
; COMPUTE_PGM_RSRC2:USER_SGPR: 15
; COMPUTE_PGM_RSRC2:TRAP_HANDLER: 0
; COMPUTE_PGM_RSRC2:TGID_X_EN: 1
; COMPUTE_PGM_RSRC2:TGID_Y_EN: 0
; COMPUTE_PGM_RSRC2:TGID_Z_EN: 0
; COMPUTE_PGM_RSRC2:TIDIG_COMP_CNT: 0
	.section	.text._ZN7rocprim17ROCPRIM_400000_NS6detail17trampoline_kernelINS0_13select_configILj256ELj13ELNS0_17block_load_methodE3ELS4_3ELS4_3ELNS0_20block_scan_algorithmE0ELj4294967295EEENS1_25partition_config_selectorILNS1_17partition_subalgoE3EjNS0_10empty_typeEbEEZZNS1_14partition_implILS8_3ELb0ES6_jNS0_17counting_iteratorIjlEEPS9_SE_NS0_5tupleIJPjSE_EEENSF_IJSE_SE_EEES9_SG_JZNS1_25segmented_radix_sort_implINS0_14default_configELb1EPK12hip_bfloat16PSL_PKlPlN2at6native12_GLOBAL__N_18offset_tEEE10hipError_tPvRmT1_PNSt15iterator_traitsISZ_E10value_typeET2_T3_PNS10_IS15_E10value_typeET4_jRbjT5_S1B_jjP12ihipStream_tbEUljE_EEESW_SX_SY_S15_S19_S1B_T6_T7_T9_mT8_S1D_bDpT10_ENKUlT_T0_E_clISt17integral_constantIbLb0EES1Q_EEDaS1L_S1M_EUlS1L_E_NS1_11comp_targetILNS1_3genE0ELNS1_11target_archE4294967295ELNS1_3gpuE0ELNS1_3repE0EEENS1_30default_config_static_selectorELNS0_4arch9wavefront6targetE0EEEvSZ_,"axG",@progbits,_ZN7rocprim17ROCPRIM_400000_NS6detail17trampoline_kernelINS0_13select_configILj256ELj13ELNS0_17block_load_methodE3ELS4_3ELS4_3ELNS0_20block_scan_algorithmE0ELj4294967295EEENS1_25partition_config_selectorILNS1_17partition_subalgoE3EjNS0_10empty_typeEbEEZZNS1_14partition_implILS8_3ELb0ES6_jNS0_17counting_iteratorIjlEEPS9_SE_NS0_5tupleIJPjSE_EEENSF_IJSE_SE_EEES9_SG_JZNS1_25segmented_radix_sort_implINS0_14default_configELb1EPK12hip_bfloat16PSL_PKlPlN2at6native12_GLOBAL__N_18offset_tEEE10hipError_tPvRmT1_PNSt15iterator_traitsISZ_E10value_typeET2_T3_PNS10_IS15_E10value_typeET4_jRbjT5_S1B_jjP12ihipStream_tbEUljE_EEESW_SX_SY_S15_S19_S1B_T6_T7_T9_mT8_S1D_bDpT10_ENKUlT_T0_E_clISt17integral_constantIbLb0EES1Q_EEDaS1L_S1M_EUlS1L_E_NS1_11comp_targetILNS1_3genE0ELNS1_11target_archE4294967295ELNS1_3gpuE0ELNS1_3repE0EEENS1_30default_config_static_selectorELNS0_4arch9wavefront6targetE0EEEvSZ_,comdat
	.globl	_ZN7rocprim17ROCPRIM_400000_NS6detail17trampoline_kernelINS0_13select_configILj256ELj13ELNS0_17block_load_methodE3ELS4_3ELS4_3ELNS0_20block_scan_algorithmE0ELj4294967295EEENS1_25partition_config_selectorILNS1_17partition_subalgoE3EjNS0_10empty_typeEbEEZZNS1_14partition_implILS8_3ELb0ES6_jNS0_17counting_iteratorIjlEEPS9_SE_NS0_5tupleIJPjSE_EEENSF_IJSE_SE_EEES9_SG_JZNS1_25segmented_radix_sort_implINS0_14default_configELb1EPK12hip_bfloat16PSL_PKlPlN2at6native12_GLOBAL__N_18offset_tEEE10hipError_tPvRmT1_PNSt15iterator_traitsISZ_E10value_typeET2_T3_PNS10_IS15_E10value_typeET4_jRbjT5_S1B_jjP12ihipStream_tbEUljE_EEESW_SX_SY_S15_S19_S1B_T6_T7_T9_mT8_S1D_bDpT10_ENKUlT_T0_E_clISt17integral_constantIbLb0EES1Q_EEDaS1L_S1M_EUlS1L_E_NS1_11comp_targetILNS1_3genE0ELNS1_11target_archE4294967295ELNS1_3gpuE0ELNS1_3repE0EEENS1_30default_config_static_selectorELNS0_4arch9wavefront6targetE0EEEvSZ_ ; -- Begin function _ZN7rocprim17ROCPRIM_400000_NS6detail17trampoline_kernelINS0_13select_configILj256ELj13ELNS0_17block_load_methodE3ELS4_3ELS4_3ELNS0_20block_scan_algorithmE0ELj4294967295EEENS1_25partition_config_selectorILNS1_17partition_subalgoE3EjNS0_10empty_typeEbEEZZNS1_14partition_implILS8_3ELb0ES6_jNS0_17counting_iteratorIjlEEPS9_SE_NS0_5tupleIJPjSE_EEENSF_IJSE_SE_EEES9_SG_JZNS1_25segmented_radix_sort_implINS0_14default_configELb1EPK12hip_bfloat16PSL_PKlPlN2at6native12_GLOBAL__N_18offset_tEEE10hipError_tPvRmT1_PNSt15iterator_traitsISZ_E10value_typeET2_T3_PNS10_IS15_E10value_typeET4_jRbjT5_S1B_jjP12ihipStream_tbEUljE_EEESW_SX_SY_S15_S19_S1B_T6_T7_T9_mT8_S1D_bDpT10_ENKUlT_T0_E_clISt17integral_constantIbLb0EES1Q_EEDaS1L_S1M_EUlS1L_E_NS1_11comp_targetILNS1_3genE0ELNS1_11target_archE4294967295ELNS1_3gpuE0ELNS1_3repE0EEENS1_30default_config_static_selectorELNS0_4arch9wavefront6targetE0EEEvSZ_
	.p2align	8
	.type	_ZN7rocprim17ROCPRIM_400000_NS6detail17trampoline_kernelINS0_13select_configILj256ELj13ELNS0_17block_load_methodE3ELS4_3ELS4_3ELNS0_20block_scan_algorithmE0ELj4294967295EEENS1_25partition_config_selectorILNS1_17partition_subalgoE3EjNS0_10empty_typeEbEEZZNS1_14partition_implILS8_3ELb0ES6_jNS0_17counting_iteratorIjlEEPS9_SE_NS0_5tupleIJPjSE_EEENSF_IJSE_SE_EEES9_SG_JZNS1_25segmented_radix_sort_implINS0_14default_configELb1EPK12hip_bfloat16PSL_PKlPlN2at6native12_GLOBAL__N_18offset_tEEE10hipError_tPvRmT1_PNSt15iterator_traitsISZ_E10value_typeET2_T3_PNS10_IS15_E10value_typeET4_jRbjT5_S1B_jjP12ihipStream_tbEUljE_EEESW_SX_SY_S15_S19_S1B_T6_T7_T9_mT8_S1D_bDpT10_ENKUlT_T0_E_clISt17integral_constantIbLb0EES1Q_EEDaS1L_S1M_EUlS1L_E_NS1_11comp_targetILNS1_3genE0ELNS1_11target_archE4294967295ELNS1_3gpuE0ELNS1_3repE0EEENS1_30default_config_static_selectorELNS0_4arch9wavefront6targetE0EEEvSZ_,@function
_ZN7rocprim17ROCPRIM_400000_NS6detail17trampoline_kernelINS0_13select_configILj256ELj13ELNS0_17block_load_methodE3ELS4_3ELS4_3ELNS0_20block_scan_algorithmE0ELj4294967295EEENS1_25partition_config_selectorILNS1_17partition_subalgoE3EjNS0_10empty_typeEbEEZZNS1_14partition_implILS8_3ELb0ES6_jNS0_17counting_iteratorIjlEEPS9_SE_NS0_5tupleIJPjSE_EEENSF_IJSE_SE_EEES9_SG_JZNS1_25segmented_radix_sort_implINS0_14default_configELb1EPK12hip_bfloat16PSL_PKlPlN2at6native12_GLOBAL__N_18offset_tEEE10hipError_tPvRmT1_PNSt15iterator_traitsISZ_E10value_typeET2_T3_PNS10_IS15_E10value_typeET4_jRbjT5_S1B_jjP12ihipStream_tbEUljE_EEESW_SX_SY_S15_S19_S1B_T6_T7_T9_mT8_S1D_bDpT10_ENKUlT_T0_E_clISt17integral_constantIbLb0EES1Q_EEDaS1L_S1M_EUlS1L_E_NS1_11comp_targetILNS1_3genE0ELNS1_11target_archE4294967295ELNS1_3gpuE0ELNS1_3repE0EEENS1_30default_config_static_selectorELNS0_4arch9wavefront6targetE0EEEvSZ_: ; @_ZN7rocprim17ROCPRIM_400000_NS6detail17trampoline_kernelINS0_13select_configILj256ELj13ELNS0_17block_load_methodE3ELS4_3ELS4_3ELNS0_20block_scan_algorithmE0ELj4294967295EEENS1_25partition_config_selectorILNS1_17partition_subalgoE3EjNS0_10empty_typeEbEEZZNS1_14partition_implILS8_3ELb0ES6_jNS0_17counting_iteratorIjlEEPS9_SE_NS0_5tupleIJPjSE_EEENSF_IJSE_SE_EEES9_SG_JZNS1_25segmented_radix_sort_implINS0_14default_configELb1EPK12hip_bfloat16PSL_PKlPlN2at6native12_GLOBAL__N_18offset_tEEE10hipError_tPvRmT1_PNSt15iterator_traitsISZ_E10value_typeET2_T3_PNS10_IS15_E10value_typeET4_jRbjT5_S1B_jjP12ihipStream_tbEUljE_EEESW_SX_SY_S15_S19_S1B_T6_T7_T9_mT8_S1D_bDpT10_ENKUlT_T0_E_clISt17integral_constantIbLb0EES1Q_EEDaS1L_S1M_EUlS1L_E_NS1_11comp_targetILNS1_3genE0ELNS1_11target_archE4294967295ELNS1_3gpuE0ELNS1_3repE0EEENS1_30default_config_static_selectorELNS0_4arch9wavefront6targetE0EEEvSZ_
; %bb.0:
	.section	.rodata,"a",@progbits
	.p2align	6, 0x0
	.amdhsa_kernel _ZN7rocprim17ROCPRIM_400000_NS6detail17trampoline_kernelINS0_13select_configILj256ELj13ELNS0_17block_load_methodE3ELS4_3ELS4_3ELNS0_20block_scan_algorithmE0ELj4294967295EEENS1_25partition_config_selectorILNS1_17partition_subalgoE3EjNS0_10empty_typeEbEEZZNS1_14partition_implILS8_3ELb0ES6_jNS0_17counting_iteratorIjlEEPS9_SE_NS0_5tupleIJPjSE_EEENSF_IJSE_SE_EEES9_SG_JZNS1_25segmented_radix_sort_implINS0_14default_configELb1EPK12hip_bfloat16PSL_PKlPlN2at6native12_GLOBAL__N_18offset_tEEE10hipError_tPvRmT1_PNSt15iterator_traitsISZ_E10value_typeET2_T3_PNS10_IS15_E10value_typeET4_jRbjT5_S1B_jjP12ihipStream_tbEUljE_EEESW_SX_SY_S15_S19_S1B_T6_T7_T9_mT8_S1D_bDpT10_ENKUlT_T0_E_clISt17integral_constantIbLb0EES1Q_EEDaS1L_S1M_EUlS1L_E_NS1_11comp_targetILNS1_3genE0ELNS1_11target_archE4294967295ELNS1_3gpuE0ELNS1_3repE0EEENS1_30default_config_static_selectorELNS0_4arch9wavefront6targetE0EEEvSZ_
		.amdhsa_group_segment_fixed_size 0
		.amdhsa_private_segment_fixed_size 0
		.amdhsa_kernarg_size 144
		.amdhsa_user_sgpr_count 15
		.amdhsa_user_sgpr_dispatch_ptr 0
		.amdhsa_user_sgpr_queue_ptr 0
		.amdhsa_user_sgpr_kernarg_segment_ptr 1
		.amdhsa_user_sgpr_dispatch_id 0
		.amdhsa_user_sgpr_private_segment_size 0
		.amdhsa_wavefront_size32 1
		.amdhsa_uses_dynamic_stack 0
		.amdhsa_enable_private_segment 0
		.amdhsa_system_sgpr_workgroup_id_x 1
		.amdhsa_system_sgpr_workgroup_id_y 0
		.amdhsa_system_sgpr_workgroup_id_z 0
		.amdhsa_system_sgpr_workgroup_info 0
		.amdhsa_system_vgpr_workitem_id 0
		.amdhsa_next_free_vgpr 1
		.amdhsa_next_free_sgpr 1
		.amdhsa_reserve_vcc 0
		.amdhsa_float_round_mode_32 0
		.amdhsa_float_round_mode_16_64 0
		.amdhsa_float_denorm_mode_32 3
		.amdhsa_float_denorm_mode_16_64 3
		.amdhsa_dx10_clamp 1
		.amdhsa_ieee_mode 1
		.amdhsa_fp16_overflow 0
		.amdhsa_workgroup_processor_mode 1
		.amdhsa_memory_ordered 1
		.amdhsa_forward_progress 0
		.amdhsa_shared_vgpr_count 0
		.amdhsa_exception_fp_ieee_invalid_op 0
		.amdhsa_exception_fp_denorm_src 0
		.amdhsa_exception_fp_ieee_div_zero 0
		.amdhsa_exception_fp_ieee_overflow 0
		.amdhsa_exception_fp_ieee_underflow 0
		.amdhsa_exception_fp_ieee_inexact 0
		.amdhsa_exception_int_div_zero 0
	.end_amdhsa_kernel
	.section	.text._ZN7rocprim17ROCPRIM_400000_NS6detail17trampoline_kernelINS0_13select_configILj256ELj13ELNS0_17block_load_methodE3ELS4_3ELS4_3ELNS0_20block_scan_algorithmE0ELj4294967295EEENS1_25partition_config_selectorILNS1_17partition_subalgoE3EjNS0_10empty_typeEbEEZZNS1_14partition_implILS8_3ELb0ES6_jNS0_17counting_iteratorIjlEEPS9_SE_NS0_5tupleIJPjSE_EEENSF_IJSE_SE_EEES9_SG_JZNS1_25segmented_radix_sort_implINS0_14default_configELb1EPK12hip_bfloat16PSL_PKlPlN2at6native12_GLOBAL__N_18offset_tEEE10hipError_tPvRmT1_PNSt15iterator_traitsISZ_E10value_typeET2_T3_PNS10_IS15_E10value_typeET4_jRbjT5_S1B_jjP12ihipStream_tbEUljE_EEESW_SX_SY_S15_S19_S1B_T6_T7_T9_mT8_S1D_bDpT10_ENKUlT_T0_E_clISt17integral_constantIbLb0EES1Q_EEDaS1L_S1M_EUlS1L_E_NS1_11comp_targetILNS1_3genE0ELNS1_11target_archE4294967295ELNS1_3gpuE0ELNS1_3repE0EEENS1_30default_config_static_selectorELNS0_4arch9wavefront6targetE0EEEvSZ_,"axG",@progbits,_ZN7rocprim17ROCPRIM_400000_NS6detail17trampoline_kernelINS0_13select_configILj256ELj13ELNS0_17block_load_methodE3ELS4_3ELS4_3ELNS0_20block_scan_algorithmE0ELj4294967295EEENS1_25partition_config_selectorILNS1_17partition_subalgoE3EjNS0_10empty_typeEbEEZZNS1_14partition_implILS8_3ELb0ES6_jNS0_17counting_iteratorIjlEEPS9_SE_NS0_5tupleIJPjSE_EEENSF_IJSE_SE_EEES9_SG_JZNS1_25segmented_radix_sort_implINS0_14default_configELb1EPK12hip_bfloat16PSL_PKlPlN2at6native12_GLOBAL__N_18offset_tEEE10hipError_tPvRmT1_PNSt15iterator_traitsISZ_E10value_typeET2_T3_PNS10_IS15_E10value_typeET4_jRbjT5_S1B_jjP12ihipStream_tbEUljE_EEESW_SX_SY_S15_S19_S1B_T6_T7_T9_mT8_S1D_bDpT10_ENKUlT_T0_E_clISt17integral_constantIbLb0EES1Q_EEDaS1L_S1M_EUlS1L_E_NS1_11comp_targetILNS1_3genE0ELNS1_11target_archE4294967295ELNS1_3gpuE0ELNS1_3repE0EEENS1_30default_config_static_selectorELNS0_4arch9wavefront6targetE0EEEvSZ_,comdat
.Lfunc_end1914:
	.size	_ZN7rocprim17ROCPRIM_400000_NS6detail17trampoline_kernelINS0_13select_configILj256ELj13ELNS0_17block_load_methodE3ELS4_3ELS4_3ELNS0_20block_scan_algorithmE0ELj4294967295EEENS1_25partition_config_selectorILNS1_17partition_subalgoE3EjNS0_10empty_typeEbEEZZNS1_14partition_implILS8_3ELb0ES6_jNS0_17counting_iteratorIjlEEPS9_SE_NS0_5tupleIJPjSE_EEENSF_IJSE_SE_EEES9_SG_JZNS1_25segmented_radix_sort_implINS0_14default_configELb1EPK12hip_bfloat16PSL_PKlPlN2at6native12_GLOBAL__N_18offset_tEEE10hipError_tPvRmT1_PNSt15iterator_traitsISZ_E10value_typeET2_T3_PNS10_IS15_E10value_typeET4_jRbjT5_S1B_jjP12ihipStream_tbEUljE_EEESW_SX_SY_S15_S19_S1B_T6_T7_T9_mT8_S1D_bDpT10_ENKUlT_T0_E_clISt17integral_constantIbLb0EES1Q_EEDaS1L_S1M_EUlS1L_E_NS1_11comp_targetILNS1_3genE0ELNS1_11target_archE4294967295ELNS1_3gpuE0ELNS1_3repE0EEENS1_30default_config_static_selectorELNS0_4arch9wavefront6targetE0EEEvSZ_, .Lfunc_end1914-_ZN7rocprim17ROCPRIM_400000_NS6detail17trampoline_kernelINS0_13select_configILj256ELj13ELNS0_17block_load_methodE3ELS4_3ELS4_3ELNS0_20block_scan_algorithmE0ELj4294967295EEENS1_25partition_config_selectorILNS1_17partition_subalgoE3EjNS0_10empty_typeEbEEZZNS1_14partition_implILS8_3ELb0ES6_jNS0_17counting_iteratorIjlEEPS9_SE_NS0_5tupleIJPjSE_EEENSF_IJSE_SE_EEES9_SG_JZNS1_25segmented_radix_sort_implINS0_14default_configELb1EPK12hip_bfloat16PSL_PKlPlN2at6native12_GLOBAL__N_18offset_tEEE10hipError_tPvRmT1_PNSt15iterator_traitsISZ_E10value_typeET2_T3_PNS10_IS15_E10value_typeET4_jRbjT5_S1B_jjP12ihipStream_tbEUljE_EEESW_SX_SY_S15_S19_S1B_T6_T7_T9_mT8_S1D_bDpT10_ENKUlT_T0_E_clISt17integral_constantIbLb0EES1Q_EEDaS1L_S1M_EUlS1L_E_NS1_11comp_targetILNS1_3genE0ELNS1_11target_archE4294967295ELNS1_3gpuE0ELNS1_3repE0EEENS1_30default_config_static_selectorELNS0_4arch9wavefront6targetE0EEEvSZ_
                                        ; -- End function
	.section	.AMDGPU.csdata,"",@progbits
; Kernel info:
; codeLenInByte = 0
; NumSgprs: 0
; NumVgprs: 0
; ScratchSize: 0
; MemoryBound: 0
; FloatMode: 240
; IeeeMode: 1
; LDSByteSize: 0 bytes/workgroup (compile time only)
; SGPRBlocks: 0
; VGPRBlocks: 0
; NumSGPRsForWavesPerEU: 1
; NumVGPRsForWavesPerEU: 1
; Occupancy: 16
; WaveLimiterHint : 0
; COMPUTE_PGM_RSRC2:SCRATCH_EN: 0
; COMPUTE_PGM_RSRC2:USER_SGPR: 15
; COMPUTE_PGM_RSRC2:TRAP_HANDLER: 0
; COMPUTE_PGM_RSRC2:TGID_X_EN: 1
; COMPUTE_PGM_RSRC2:TGID_Y_EN: 0
; COMPUTE_PGM_RSRC2:TGID_Z_EN: 0
; COMPUTE_PGM_RSRC2:TIDIG_COMP_CNT: 0
	.section	.text._ZN7rocprim17ROCPRIM_400000_NS6detail17trampoline_kernelINS0_13select_configILj256ELj13ELNS0_17block_load_methodE3ELS4_3ELS4_3ELNS0_20block_scan_algorithmE0ELj4294967295EEENS1_25partition_config_selectorILNS1_17partition_subalgoE3EjNS0_10empty_typeEbEEZZNS1_14partition_implILS8_3ELb0ES6_jNS0_17counting_iteratorIjlEEPS9_SE_NS0_5tupleIJPjSE_EEENSF_IJSE_SE_EEES9_SG_JZNS1_25segmented_radix_sort_implINS0_14default_configELb1EPK12hip_bfloat16PSL_PKlPlN2at6native12_GLOBAL__N_18offset_tEEE10hipError_tPvRmT1_PNSt15iterator_traitsISZ_E10value_typeET2_T3_PNS10_IS15_E10value_typeET4_jRbjT5_S1B_jjP12ihipStream_tbEUljE_EEESW_SX_SY_S15_S19_S1B_T6_T7_T9_mT8_S1D_bDpT10_ENKUlT_T0_E_clISt17integral_constantIbLb0EES1Q_EEDaS1L_S1M_EUlS1L_E_NS1_11comp_targetILNS1_3genE5ELNS1_11target_archE942ELNS1_3gpuE9ELNS1_3repE0EEENS1_30default_config_static_selectorELNS0_4arch9wavefront6targetE0EEEvSZ_,"axG",@progbits,_ZN7rocprim17ROCPRIM_400000_NS6detail17trampoline_kernelINS0_13select_configILj256ELj13ELNS0_17block_load_methodE3ELS4_3ELS4_3ELNS0_20block_scan_algorithmE0ELj4294967295EEENS1_25partition_config_selectorILNS1_17partition_subalgoE3EjNS0_10empty_typeEbEEZZNS1_14partition_implILS8_3ELb0ES6_jNS0_17counting_iteratorIjlEEPS9_SE_NS0_5tupleIJPjSE_EEENSF_IJSE_SE_EEES9_SG_JZNS1_25segmented_radix_sort_implINS0_14default_configELb1EPK12hip_bfloat16PSL_PKlPlN2at6native12_GLOBAL__N_18offset_tEEE10hipError_tPvRmT1_PNSt15iterator_traitsISZ_E10value_typeET2_T3_PNS10_IS15_E10value_typeET4_jRbjT5_S1B_jjP12ihipStream_tbEUljE_EEESW_SX_SY_S15_S19_S1B_T6_T7_T9_mT8_S1D_bDpT10_ENKUlT_T0_E_clISt17integral_constantIbLb0EES1Q_EEDaS1L_S1M_EUlS1L_E_NS1_11comp_targetILNS1_3genE5ELNS1_11target_archE942ELNS1_3gpuE9ELNS1_3repE0EEENS1_30default_config_static_selectorELNS0_4arch9wavefront6targetE0EEEvSZ_,comdat
	.globl	_ZN7rocprim17ROCPRIM_400000_NS6detail17trampoline_kernelINS0_13select_configILj256ELj13ELNS0_17block_load_methodE3ELS4_3ELS4_3ELNS0_20block_scan_algorithmE0ELj4294967295EEENS1_25partition_config_selectorILNS1_17partition_subalgoE3EjNS0_10empty_typeEbEEZZNS1_14partition_implILS8_3ELb0ES6_jNS0_17counting_iteratorIjlEEPS9_SE_NS0_5tupleIJPjSE_EEENSF_IJSE_SE_EEES9_SG_JZNS1_25segmented_radix_sort_implINS0_14default_configELb1EPK12hip_bfloat16PSL_PKlPlN2at6native12_GLOBAL__N_18offset_tEEE10hipError_tPvRmT1_PNSt15iterator_traitsISZ_E10value_typeET2_T3_PNS10_IS15_E10value_typeET4_jRbjT5_S1B_jjP12ihipStream_tbEUljE_EEESW_SX_SY_S15_S19_S1B_T6_T7_T9_mT8_S1D_bDpT10_ENKUlT_T0_E_clISt17integral_constantIbLb0EES1Q_EEDaS1L_S1M_EUlS1L_E_NS1_11comp_targetILNS1_3genE5ELNS1_11target_archE942ELNS1_3gpuE9ELNS1_3repE0EEENS1_30default_config_static_selectorELNS0_4arch9wavefront6targetE0EEEvSZ_ ; -- Begin function _ZN7rocprim17ROCPRIM_400000_NS6detail17trampoline_kernelINS0_13select_configILj256ELj13ELNS0_17block_load_methodE3ELS4_3ELS4_3ELNS0_20block_scan_algorithmE0ELj4294967295EEENS1_25partition_config_selectorILNS1_17partition_subalgoE3EjNS0_10empty_typeEbEEZZNS1_14partition_implILS8_3ELb0ES6_jNS0_17counting_iteratorIjlEEPS9_SE_NS0_5tupleIJPjSE_EEENSF_IJSE_SE_EEES9_SG_JZNS1_25segmented_radix_sort_implINS0_14default_configELb1EPK12hip_bfloat16PSL_PKlPlN2at6native12_GLOBAL__N_18offset_tEEE10hipError_tPvRmT1_PNSt15iterator_traitsISZ_E10value_typeET2_T3_PNS10_IS15_E10value_typeET4_jRbjT5_S1B_jjP12ihipStream_tbEUljE_EEESW_SX_SY_S15_S19_S1B_T6_T7_T9_mT8_S1D_bDpT10_ENKUlT_T0_E_clISt17integral_constantIbLb0EES1Q_EEDaS1L_S1M_EUlS1L_E_NS1_11comp_targetILNS1_3genE5ELNS1_11target_archE942ELNS1_3gpuE9ELNS1_3repE0EEENS1_30default_config_static_selectorELNS0_4arch9wavefront6targetE0EEEvSZ_
	.p2align	8
	.type	_ZN7rocprim17ROCPRIM_400000_NS6detail17trampoline_kernelINS0_13select_configILj256ELj13ELNS0_17block_load_methodE3ELS4_3ELS4_3ELNS0_20block_scan_algorithmE0ELj4294967295EEENS1_25partition_config_selectorILNS1_17partition_subalgoE3EjNS0_10empty_typeEbEEZZNS1_14partition_implILS8_3ELb0ES6_jNS0_17counting_iteratorIjlEEPS9_SE_NS0_5tupleIJPjSE_EEENSF_IJSE_SE_EEES9_SG_JZNS1_25segmented_radix_sort_implINS0_14default_configELb1EPK12hip_bfloat16PSL_PKlPlN2at6native12_GLOBAL__N_18offset_tEEE10hipError_tPvRmT1_PNSt15iterator_traitsISZ_E10value_typeET2_T3_PNS10_IS15_E10value_typeET4_jRbjT5_S1B_jjP12ihipStream_tbEUljE_EEESW_SX_SY_S15_S19_S1B_T6_T7_T9_mT8_S1D_bDpT10_ENKUlT_T0_E_clISt17integral_constantIbLb0EES1Q_EEDaS1L_S1M_EUlS1L_E_NS1_11comp_targetILNS1_3genE5ELNS1_11target_archE942ELNS1_3gpuE9ELNS1_3repE0EEENS1_30default_config_static_selectorELNS0_4arch9wavefront6targetE0EEEvSZ_,@function
_ZN7rocprim17ROCPRIM_400000_NS6detail17trampoline_kernelINS0_13select_configILj256ELj13ELNS0_17block_load_methodE3ELS4_3ELS4_3ELNS0_20block_scan_algorithmE0ELj4294967295EEENS1_25partition_config_selectorILNS1_17partition_subalgoE3EjNS0_10empty_typeEbEEZZNS1_14partition_implILS8_3ELb0ES6_jNS0_17counting_iteratorIjlEEPS9_SE_NS0_5tupleIJPjSE_EEENSF_IJSE_SE_EEES9_SG_JZNS1_25segmented_radix_sort_implINS0_14default_configELb1EPK12hip_bfloat16PSL_PKlPlN2at6native12_GLOBAL__N_18offset_tEEE10hipError_tPvRmT1_PNSt15iterator_traitsISZ_E10value_typeET2_T3_PNS10_IS15_E10value_typeET4_jRbjT5_S1B_jjP12ihipStream_tbEUljE_EEESW_SX_SY_S15_S19_S1B_T6_T7_T9_mT8_S1D_bDpT10_ENKUlT_T0_E_clISt17integral_constantIbLb0EES1Q_EEDaS1L_S1M_EUlS1L_E_NS1_11comp_targetILNS1_3genE5ELNS1_11target_archE942ELNS1_3gpuE9ELNS1_3repE0EEENS1_30default_config_static_selectorELNS0_4arch9wavefront6targetE0EEEvSZ_: ; @_ZN7rocprim17ROCPRIM_400000_NS6detail17trampoline_kernelINS0_13select_configILj256ELj13ELNS0_17block_load_methodE3ELS4_3ELS4_3ELNS0_20block_scan_algorithmE0ELj4294967295EEENS1_25partition_config_selectorILNS1_17partition_subalgoE3EjNS0_10empty_typeEbEEZZNS1_14partition_implILS8_3ELb0ES6_jNS0_17counting_iteratorIjlEEPS9_SE_NS0_5tupleIJPjSE_EEENSF_IJSE_SE_EEES9_SG_JZNS1_25segmented_radix_sort_implINS0_14default_configELb1EPK12hip_bfloat16PSL_PKlPlN2at6native12_GLOBAL__N_18offset_tEEE10hipError_tPvRmT1_PNSt15iterator_traitsISZ_E10value_typeET2_T3_PNS10_IS15_E10value_typeET4_jRbjT5_S1B_jjP12ihipStream_tbEUljE_EEESW_SX_SY_S15_S19_S1B_T6_T7_T9_mT8_S1D_bDpT10_ENKUlT_T0_E_clISt17integral_constantIbLb0EES1Q_EEDaS1L_S1M_EUlS1L_E_NS1_11comp_targetILNS1_3genE5ELNS1_11target_archE942ELNS1_3gpuE9ELNS1_3repE0EEENS1_30default_config_static_selectorELNS0_4arch9wavefront6targetE0EEEvSZ_
; %bb.0:
	.section	.rodata,"a",@progbits
	.p2align	6, 0x0
	.amdhsa_kernel _ZN7rocprim17ROCPRIM_400000_NS6detail17trampoline_kernelINS0_13select_configILj256ELj13ELNS0_17block_load_methodE3ELS4_3ELS4_3ELNS0_20block_scan_algorithmE0ELj4294967295EEENS1_25partition_config_selectorILNS1_17partition_subalgoE3EjNS0_10empty_typeEbEEZZNS1_14partition_implILS8_3ELb0ES6_jNS0_17counting_iteratorIjlEEPS9_SE_NS0_5tupleIJPjSE_EEENSF_IJSE_SE_EEES9_SG_JZNS1_25segmented_radix_sort_implINS0_14default_configELb1EPK12hip_bfloat16PSL_PKlPlN2at6native12_GLOBAL__N_18offset_tEEE10hipError_tPvRmT1_PNSt15iterator_traitsISZ_E10value_typeET2_T3_PNS10_IS15_E10value_typeET4_jRbjT5_S1B_jjP12ihipStream_tbEUljE_EEESW_SX_SY_S15_S19_S1B_T6_T7_T9_mT8_S1D_bDpT10_ENKUlT_T0_E_clISt17integral_constantIbLb0EES1Q_EEDaS1L_S1M_EUlS1L_E_NS1_11comp_targetILNS1_3genE5ELNS1_11target_archE942ELNS1_3gpuE9ELNS1_3repE0EEENS1_30default_config_static_selectorELNS0_4arch9wavefront6targetE0EEEvSZ_
		.amdhsa_group_segment_fixed_size 0
		.amdhsa_private_segment_fixed_size 0
		.amdhsa_kernarg_size 144
		.amdhsa_user_sgpr_count 15
		.amdhsa_user_sgpr_dispatch_ptr 0
		.amdhsa_user_sgpr_queue_ptr 0
		.amdhsa_user_sgpr_kernarg_segment_ptr 1
		.amdhsa_user_sgpr_dispatch_id 0
		.amdhsa_user_sgpr_private_segment_size 0
		.amdhsa_wavefront_size32 1
		.amdhsa_uses_dynamic_stack 0
		.amdhsa_enable_private_segment 0
		.amdhsa_system_sgpr_workgroup_id_x 1
		.amdhsa_system_sgpr_workgroup_id_y 0
		.amdhsa_system_sgpr_workgroup_id_z 0
		.amdhsa_system_sgpr_workgroup_info 0
		.amdhsa_system_vgpr_workitem_id 0
		.amdhsa_next_free_vgpr 1
		.amdhsa_next_free_sgpr 1
		.amdhsa_reserve_vcc 0
		.amdhsa_float_round_mode_32 0
		.amdhsa_float_round_mode_16_64 0
		.amdhsa_float_denorm_mode_32 3
		.amdhsa_float_denorm_mode_16_64 3
		.amdhsa_dx10_clamp 1
		.amdhsa_ieee_mode 1
		.amdhsa_fp16_overflow 0
		.amdhsa_workgroup_processor_mode 1
		.amdhsa_memory_ordered 1
		.amdhsa_forward_progress 0
		.amdhsa_shared_vgpr_count 0
		.amdhsa_exception_fp_ieee_invalid_op 0
		.amdhsa_exception_fp_denorm_src 0
		.amdhsa_exception_fp_ieee_div_zero 0
		.amdhsa_exception_fp_ieee_overflow 0
		.amdhsa_exception_fp_ieee_underflow 0
		.amdhsa_exception_fp_ieee_inexact 0
		.amdhsa_exception_int_div_zero 0
	.end_amdhsa_kernel
	.section	.text._ZN7rocprim17ROCPRIM_400000_NS6detail17trampoline_kernelINS0_13select_configILj256ELj13ELNS0_17block_load_methodE3ELS4_3ELS4_3ELNS0_20block_scan_algorithmE0ELj4294967295EEENS1_25partition_config_selectorILNS1_17partition_subalgoE3EjNS0_10empty_typeEbEEZZNS1_14partition_implILS8_3ELb0ES6_jNS0_17counting_iteratorIjlEEPS9_SE_NS0_5tupleIJPjSE_EEENSF_IJSE_SE_EEES9_SG_JZNS1_25segmented_radix_sort_implINS0_14default_configELb1EPK12hip_bfloat16PSL_PKlPlN2at6native12_GLOBAL__N_18offset_tEEE10hipError_tPvRmT1_PNSt15iterator_traitsISZ_E10value_typeET2_T3_PNS10_IS15_E10value_typeET4_jRbjT5_S1B_jjP12ihipStream_tbEUljE_EEESW_SX_SY_S15_S19_S1B_T6_T7_T9_mT8_S1D_bDpT10_ENKUlT_T0_E_clISt17integral_constantIbLb0EES1Q_EEDaS1L_S1M_EUlS1L_E_NS1_11comp_targetILNS1_3genE5ELNS1_11target_archE942ELNS1_3gpuE9ELNS1_3repE0EEENS1_30default_config_static_selectorELNS0_4arch9wavefront6targetE0EEEvSZ_,"axG",@progbits,_ZN7rocprim17ROCPRIM_400000_NS6detail17trampoline_kernelINS0_13select_configILj256ELj13ELNS0_17block_load_methodE3ELS4_3ELS4_3ELNS0_20block_scan_algorithmE0ELj4294967295EEENS1_25partition_config_selectorILNS1_17partition_subalgoE3EjNS0_10empty_typeEbEEZZNS1_14partition_implILS8_3ELb0ES6_jNS0_17counting_iteratorIjlEEPS9_SE_NS0_5tupleIJPjSE_EEENSF_IJSE_SE_EEES9_SG_JZNS1_25segmented_radix_sort_implINS0_14default_configELb1EPK12hip_bfloat16PSL_PKlPlN2at6native12_GLOBAL__N_18offset_tEEE10hipError_tPvRmT1_PNSt15iterator_traitsISZ_E10value_typeET2_T3_PNS10_IS15_E10value_typeET4_jRbjT5_S1B_jjP12ihipStream_tbEUljE_EEESW_SX_SY_S15_S19_S1B_T6_T7_T9_mT8_S1D_bDpT10_ENKUlT_T0_E_clISt17integral_constantIbLb0EES1Q_EEDaS1L_S1M_EUlS1L_E_NS1_11comp_targetILNS1_3genE5ELNS1_11target_archE942ELNS1_3gpuE9ELNS1_3repE0EEENS1_30default_config_static_selectorELNS0_4arch9wavefront6targetE0EEEvSZ_,comdat
.Lfunc_end1915:
	.size	_ZN7rocprim17ROCPRIM_400000_NS6detail17trampoline_kernelINS0_13select_configILj256ELj13ELNS0_17block_load_methodE3ELS4_3ELS4_3ELNS0_20block_scan_algorithmE0ELj4294967295EEENS1_25partition_config_selectorILNS1_17partition_subalgoE3EjNS0_10empty_typeEbEEZZNS1_14partition_implILS8_3ELb0ES6_jNS0_17counting_iteratorIjlEEPS9_SE_NS0_5tupleIJPjSE_EEENSF_IJSE_SE_EEES9_SG_JZNS1_25segmented_radix_sort_implINS0_14default_configELb1EPK12hip_bfloat16PSL_PKlPlN2at6native12_GLOBAL__N_18offset_tEEE10hipError_tPvRmT1_PNSt15iterator_traitsISZ_E10value_typeET2_T3_PNS10_IS15_E10value_typeET4_jRbjT5_S1B_jjP12ihipStream_tbEUljE_EEESW_SX_SY_S15_S19_S1B_T6_T7_T9_mT8_S1D_bDpT10_ENKUlT_T0_E_clISt17integral_constantIbLb0EES1Q_EEDaS1L_S1M_EUlS1L_E_NS1_11comp_targetILNS1_3genE5ELNS1_11target_archE942ELNS1_3gpuE9ELNS1_3repE0EEENS1_30default_config_static_selectorELNS0_4arch9wavefront6targetE0EEEvSZ_, .Lfunc_end1915-_ZN7rocprim17ROCPRIM_400000_NS6detail17trampoline_kernelINS0_13select_configILj256ELj13ELNS0_17block_load_methodE3ELS4_3ELS4_3ELNS0_20block_scan_algorithmE0ELj4294967295EEENS1_25partition_config_selectorILNS1_17partition_subalgoE3EjNS0_10empty_typeEbEEZZNS1_14partition_implILS8_3ELb0ES6_jNS0_17counting_iteratorIjlEEPS9_SE_NS0_5tupleIJPjSE_EEENSF_IJSE_SE_EEES9_SG_JZNS1_25segmented_radix_sort_implINS0_14default_configELb1EPK12hip_bfloat16PSL_PKlPlN2at6native12_GLOBAL__N_18offset_tEEE10hipError_tPvRmT1_PNSt15iterator_traitsISZ_E10value_typeET2_T3_PNS10_IS15_E10value_typeET4_jRbjT5_S1B_jjP12ihipStream_tbEUljE_EEESW_SX_SY_S15_S19_S1B_T6_T7_T9_mT8_S1D_bDpT10_ENKUlT_T0_E_clISt17integral_constantIbLb0EES1Q_EEDaS1L_S1M_EUlS1L_E_NS1_11comp_targetILNS1_3genE5ELNS1_11target_archE942ELNS1_3gpuE9ELNS1_3repE0EEENS1_30default_config_static_selectorELNS0_4arch9wavefront6targetE0EEEvSZ_
                                        ; -- End function
	.section	.AMDGPU.csdata,"",@progbits
; Kernel info:
; codeLenInByte = 0
; NumSgprs: 0
; NumVgprs: 0
; ScratchSize: 0
; MemoryBound: 0
; FloatMode: 240
; IeeeMode: 1
; LDSByteSize: 0 bytes/workgroup (compile time only)
; SGPRBlocks: 0
; VGPRBlocks: 0
; NumSGPRsForWavesPerEU: 1
; NumVGPRsForWavesPerEU: 1
; Occupancy: 16
; WaveLimiterHint : 0
; COMPUTE_PGM_RSRC2:SCRATCH_EN: 0
; COMPUTE_PGM_RSRC2:USER_SGPR: 15
; COMPUTE_PGM_RSRC2:TRAP_HANDLER: 0
; COMPUTE_PGM_RSRC2:TGID_X_EN: 1
; COMPUTE_PGM_RSRC2:TGID_Y_EN: 0
; COMPUTE_PGM_RSRC2:TGID_Z_EN: 0
; COMPUTE_PGM_RSRC2:TIDIG_COMP_CNT: 0
	.section	.text._ZN7rocprim17ROCPRIM_400000_NS6detail17trampoline_kernelINS0_13select_configILj256ELj13ELNS0_17block_load_methodE3ELS4_3ELS4_3ELNS0_20block_scan_algorithmE0ELj4294967295EEENS1_25partition_config_selectorILNS1_17partition_subalgoE3EjNS0_10empty_typeEbEEZZNS1_14partition_implILS8_3ELb0ES6_jNS0_17counting_iteratorIjlEEPS9_SE_NS0_5tupleIJPjSE_EEENSF_IJSE_SE_EEES9_SG_JZNS1_25segmented_radix_sort_implINS0_14default_configELb1EPK12hip_bfloat16PSL_PKlPlN2at6native12_GLOBAL__N_18offset_tEEE10hipError_tPvRmT1_PNSt15iterator_traitsISZ_E10value_typeET2_T3_PNS10_IS15_E10value_typeET4_jRbjT5_S1B_jjP12ihipStream_tbEUljE_EEESW_SX_SY_S15_S19_S1B_T6_T7_T9_mT8_S1D_bDpT10_ENKUlT_T0_E_clISt17integral_constantIbLb0EES1Q_EEDaS1L_S1M_EUlS1L_E_NS1_11comp_targetILNS1_3genE4ELNS1_11target_archE910ELNS1_3gpuE8ELNS1_3repE0EEENS1_30default_config_static_selectorELNS0_4arch9wavefront6targetE0EEEvSZ_,"axG",@progbits,_ZN7rocprim17ROCPRIM_400000_NS6detail17trampoline_kernelINS0_13select_configILj256ELj13ELNS0_17block_load_methodE3ELS4_3ELS4_3ELNS0_20block_scan_algorithmE0ELj4294967295EEENS1_25partition_config_selectorILNS1_17partition_subalgoE3EjNS0_10empty_typeEbEEZZNS1_14partition_implILS8_3ELb0ES6_jNS0_17counting_iteratorIjlEEPS9_SE_NS0_5tupleIJPjSE_EEENSF_IJSE_SE_EEES9_SG_JZNS1_25segmented_radix_sort_implINS0_14default_configELb1EPK12hip_bfloat16PSL_PKlPlN2at6native12_GLOBAL__N_18offset_tEEE10hipError_tPvRmT1_PNSt15iterator_traitsISZ_E10value_typeET2_T3_PNS10_IS15_E10value_typeET4_jRbjT5_S1B_jjP12ihipStream_tbEUljE_EEESW_SX_SY_S15_S19_S1B_T6_T7_T9_mT8_S1D_bDpT10_ENKUlT_T0_E_clISt17integral_constantIbLb0EES1Q_EEDaS1L_S1M_EUlS1L_E_NS1_11comp_targetILNS1_3genE4ELNS1_11target_archE910ELNS1_3gpuE8ELNS1_3repE0EEENS1_30default_config_static_selectorELNS0_4arch9wavefront6targetE0EEEvSZ_,comdat
	.globl	_ZN7rocprim17ROCPRIM_400000_NS6detail17trampoline_kernelINS0_13select_configILj256ELj13ELNS0_17block_load_methodE3ELS4_3ELS4_3ELNS0_20block_scan_algorithmE0ELj4294967295EEENS1_25partition_config_selectorILNS1_17partition_subalgoE3EjNS0_10empty_typeEbEEZZNS1_14partition_implILS8_3ELb0ES6_jNS0_17counting_iteratorIjlEEPS9_SE_NS0_5tupleIJPjSE_EEENSF_IJSE_SE_EEES9_SG_JZNS1_25segmented_radix_sort_implINS0_14default_configELb1EPK12hip_bfloat16PSL_PKlPlN2at6native12_GLOBAL__N_18offset_tEEE10hipError_tPvRmT1_PNSt15iterator_traitsISZ_E10value_typeET2_T3_PNS10_IS15_E10value_typeET4_jRbjT5_S1B_jjP12ihipStream_tbEUljE_EEESW_SX_SY_S15_S19_S1B_T6_T7_T9_mT8_S1D_bDpT10_ENKUlT_T0_E_clISt17integral_constantIbLb0EES1Q_EEDaS1L_S1M_EUlS1L_E_NS1_11comp_targetILNS1_3genE4ELNS1_11target_archE910ELNS1_3gpuE8ELNS1_3repE0EEENS1_30default_config_static_selectorELNS0_4arch9wavefront6targetE0EEEvSZ_ ; -- Begin function _ZN7rocprim17ROCPRIM_400000_NS6detail17trampoline_kernelINS0_13select_configILj256ELj13ELNS0_17block_load_methodE3ELS4_3ELS4_3ELNS0_20block_scan_algorithmE0ELj4294967295EEENS1_25partition_config_selectorILNS1_17partition_subalgoE3EjNS0_10empty_typeEbEEZZNS1_14partition_implILS8_3ELb0ES6_jNS0_17counting_iteratorIjlEEPS9_SE_NS0_5tupleIJPjSE_EEENSF_IJSE_SE_EEES9_SG_JZNS1_25segmented_radix_sort_implINS0_14default_configELb1EPK12hip_bfloat16PSL_PKlPlN2at6native12_GLOBAL__N_18offset_tEEE10hipError_tPvRmT1_PNSt15iterator_traitsISZ_E10value_typeET2_T3_PNS10_IS15_E10value_typeET4_jRbjT5_S1B_jjP12ihipStream_tbEUljE_EEESW_SX_SY_S15_S19_S1B_T6_T7_T9_mT8_S1D_bDpT10_ENKUlT_T0_E_clISt17integral_constantIbLb0EES1Q_EEDaS1L_S1M_EUlS1L_E_NS1_11comp_targetILNS1_3genE4ELNS1_11target_archE910ELNS1_3gpuE8ELNS1_3repE0EEENS1_30default_config_static_selectorELNS0_4arch9wavefront6targetE0EEEvSZ_
	.p2align	8
	.type	_ZN7rocprim17ROCPRIM_400000_NS6detail17trampoline_kernelINS0_13select_configILj256ELj13ELNS0_17block_load_methodE3ELS4_3ELS4_3ELNS0_20block_scan_algorithmE0ELj4294967295EEENS1_25partition_config_selectorILNS1_17partition_subalgoE3EjNS0_10empty_typeEbEEZZNS1_14partition_implILS8_3ELb0ES6_jNS0_17counting_iteratorIjlEEPS9_SE_NS0_5tupleIJPjSE_EEENSF_IJSE_SE_EEES9_SG_JZNS1_25segmented_radix_sort_implINS0_14default_configELb1EPK12hip_bfloat16PSL_PKlPlN2at6native12_GLOBAL__N_18offset_tEEE10hipError_tPvRmT1_PNSt15iterator_traitsISZ_E10value_typeET2_T3_PNS10_IS15_E10value_typeET4_jRbjT5_S1B_jjP12ihipStream_tbEUljE_EEESW_SX_SY_S15_S19_S1B_T6_T7_T9_mT8_S1D_bDpT10_ENKUlT_T0_E_clISt17integral_constantIbLb0EES1Q_EEDaS1L_S1M_EUlS1L_E_NS1_11comp_targetILNS1_3genE4ELNS1_11target_archE910ELNS1_3gpuE8ELNS1_3repE0EEENS1_30default_config_static_selectorELNS0_4arch9wavefront6targetE0EEEvSZ_,@function
_ZN7rocprim17ROCPRIM_400000_NS6detail17trampoline_kernelINS0_13select_configILj256ELj13ELNS0_17block_load_methodE3ELS4_3ELS4_3ELNS0_20block_scan_algorithmE0ELj4294967295EEENS1_25partition_config_selectorILNS1_17partition_subalgoE3EjNS0_10empty_typeEbEEZZNS1_14partition_implILS8_3ELb0ES6_jNS0_17counting_iteratorIjlEEPS9_SE_NS0_5tupleIJPjSE_EEENSF_IJSE_SE_EEES9_SG_JZNS1_25segmented_radix_sort_implINS0_14default_configELb1EPK12hip_bfloat16PSL_PKlPlN2at6native12_GLOBAL__N_18offset_tEEE10hipError_tPvRmT1_PNSt15iterator_traitsISZ_E10value_typeET2_T3_PNS10_IS15_E10value_typeET4_jRbjT5_S1B_jjP12ihipStream_tbEUljE_EEESW_SX_SY_S15_S19_S1B_T6_T7_T9_mT8_S1D_bDpT10_ENKUlT_T0_E_clISt17integral_constantIbLb0EES1Q_EEDaS1L_S1M_EUlS1L_E_NS1_11comp_targetILNS1_3genE4ELNS1_11target_archE910ELNS1_3gpuE8ELNS1_3repE0EEENS1_30default_config_static_selectorELNS0_4arch9wavefront6targetE0EEEvSZ_: ; @_ZN7rocprim17ROCPRIM_400000_NS6detail17trampoline_kernelINS0_13select_configILj256ELj13ELNS0_17block_load_methodE3ELS4_3ELS4_3ELNS0_20block_scan_algorithmE0ELj4294967295EEENS1_25partition_config_selectorILNS1_17partition_subalgoE3EjNS0_10empty_typeEbEEZZNS1_14partition_implILS8_3ELb0ES6_jNS0_17counting_iteratorIjlEEPS9_SE_NS0_5tupleIJPjSE_EEENSF_IJSE_SE_EEES9_SG_JZNS1_25segmented_radix_sort_implINS0_14default_configELb1EPK12hip_bfloat16PSL_PKlPlN2at6native12_GLOBAL__N_18offset_tEEE10hipError_tPvRmT1_PNSt15iterator_traitsISZ_E10value_typeET2_T3_PNS10_IS15_E10value_typeET4_jRbjT5_S1B_jjP12ihipStream_tbEUljE_EEESW_SX_SY_S15_S19_S1B_T6_T7_T9_mT8_S1D_bDpT10_ENKUlT_T0_E_clISt17integral_constantIbLb0EES1Q_EEDaS1L_S1M_EUlS1L_E_NS1_11comp_targetILNS1_3genE4ELNS1_11target_archE910ELNS1_3gpuE8ELNS1_3repE0EEENS1_30default_config_static_selectorELNS0_4arch9wavefront6targetE0EEEvSZ_
; %bb.0:
	.section	.rodata,"a",@progbits
	.p2align	6, 0x0
	.amdhsa_kernel _ZN7rocprim17ROCPRIM_400000_NS6detail17trampoline_kernelINS0_13select_configILj256ELj13ELNS0_17block_load_methodE3ELS4_3ELS4_3ELNS0_20block_scan_algorithmE0ELj4294967295EEENS1_25partition_config_selectorILNS1_17partition_subalgoE3EjNS0_10empty_typeEbEEZZNS1_14partition_implILS8_3ELb0ES6_jNS0_17counting_iteratorIjlEEPS9_SE_NS0_5tupleIJPjSE_EEENSF_IJSE_SE_EEES9_SG_JZNS1_25segmented_radix_sort_implINS0_14default_configELb1EPK12hip_bfloat16PSL_PKlPlN2at6native12_GLOBAL__N_18offset_tEEE10hipError_tPvRmT1_PNSt15iterator_traitsISZ_E10value_typeET2_T3_PNS10_IS15_E10value_typeET4_jRbjT5_S1B_jjP12ihipStream_tbEUljE_EEESW_SX_SY_S15_S19_S1B_T6_T7_T9_mT8_S1D_bDpT10_ENKUlT_T0_E_clISt17integral_constantIbLb0EES1Q_EEDaS1L_S1M_EUlS1L_E_NS1_11comp_targetILNS1_3genE4ELNS1_11target_archE910ELNS1_3gpuE8ELNS1_3repE0EEENS1_30default_config_static_selectorELNS0_4arch9wavefront6targetE0EEEvSZ_
		.amdhsa_group_segment_fixed_size 0
		.amdhsa_private_segment_fixed_size 0
		.amdhsa_kernarg_size 144
		.amdhsa_user_sgpr_count 15
		.amdhsa_user_sgpr_dispatch_ptr 0
		.amdhsa_user_sgpr_queue_ptr 0
		.amdhsa_user_sgpr_kernarg_segment_ptr 1
		.amdhsa_user_sgpr_dispatch_id 0
		.amdhsa_user_sgpr_private_segment_size 0
		.amdhsa_wavefront_size32 1
		.amdhsa_uses_dynamic_stack 0
		.amdhsa_enable_private_segment 0
		.amdhsa_system_sgpr_workgroup_id_x 1
		.amdhsa_system_sgpr_workgroup_id_y 0
		.amdhsa_system_sgpr_workgroup_id_z 0
		.amdhsa_system_sgpr_workgroup_info 0
		.amdhsa_system_vgpr_workitem_id 0
		.amdhsa_next_free_vgpr 1
		.amdhsa_next_free_sgpr 1
		.amdhsa_reserve_vcc 0
		.amdhsa_float_round_mode_32 0
		.amdhsa_float_round_mode_16_64 0
		.amdhsa_float_denorm_mode_32 3
		.amdhsa_float_denorm_mode_16_64 3
		.amdhsa_dx10_clamp 1
		.amdhsa_ieee_mode 1
		.amdhsa_fp16_overflow 0
		.amdhsa_workgroup_processor_mode 1
		.amdhsa_memory_ordered 1
		.amdhsa_forward_progress 0
		.amdhsa_shared_vgpr_count 0
		.amdhsa_exception_fp_ieee_invalid_op 0
		.amdhsa_exception_fp_denorm_src 0
		.amdhsa_exception_fp_ieee_div_zero 0
		.amdhsa_exception_fp_ieee_overflow 0
		.amdhsa_exception_fp_ieee_underflow 0
		.amdhsa_exception_fp_ieee_inexact 0
		.amdhsa_exception_int_div_zero 0
	.end_amdhsa_kernel
	.section	.text._ZN7rocprim17ROCPRIM_400000_NS6detail17trampoline_kernelINS0_13select_configILj256ELj13ELNS0_17block_load_methodE3ELS4_3ELS4_3ELNS0_20block_scan_algorithmE0ELj4294967295EEENS1_25partition_config_selectorILNS1_17partition_subalgoE3EjNS0_10empty_typeEbEEZZNS1_14partition_implILS8_3ELb0ES6_jNS0_17counting_iteratorIjlEEPS9_SE_NS0_5tupleIJPjSE_EEENSF_IJSE_SE_EEES9_SG_JZNS1_25segmented_radix_sort_implINS0_14default_configELb1EPK12hip_bfloat16PSL_PKlPlN2at6native12_GLOBAL__N_18offset_tEEE10hipError_tPvRmT1_PNSt15iterator_traitsISZ_E10value_typeET2_T3_PNS10_IS15_E10value_typeET4_jRbjT5_S1B_jjP12ihipStream_tbEUljE_EEESW_SX_SY_S15_S19_S1B_T6_T7_T9_mT8_S1D_bDpT10_ENKUlT_T0_E_clISt17integral_constantIbLb0EES1Q_EEDaS1L_S1M_EUlS1L_E_NS1_11comp_targetILNS1_3genE4ELNS1_11target_archE910ELNS1_3gpuE8ELNS1_3repE0EEENS1_30default_config_static_selectorELNS0_4arch9wavefront6targetE0EEEvSZ_,"axG",@progbits,_ZN7rocprim17ROCPRIM_400000_NS6detail17trampoline_kernelINS0_13select_configILj256ELj13ELNS0_17block_load_methodE3ELS4_3ELS4_3ELNS0_20block_scan_algorithmE0ELj4294967295EEENS1_25partition_config_selectorILNS1_17partition_subalgoE3EjNS0_10empty_typeEbEEZZNS1_14partition_implILS8_3ELb0ES6_jNS0_17counting_iteratorIjlEEPS9_SE_NS0_5tupleIJPjSE_EEENSF_IJSE_SE_EEES9_SG_JZNS1_25segmented_radix_sort_implINS0_14default_configELb1EPK12hip_bfloat16PSL_PKlPlN2at6native12_GLOBAL__N_18offset_tEEE10hipError_tPvRmT1_PNSt15iterator_traitsISZ_E10value_typeET2_T3_PNS10_IS15_E10value_typeET4_jRbjT5_S1B_jjP12ihipStream_tbEUljE_EEESW_SX_SY_S15_S19_S1B_T6_T7_T9_mT8_S1D_bDpT10_ENKUlT_T0_E_clISt17integral_constantIbLb0EES1Q_EEDaS1L_S1M_EUlS1L_E_NS1_11comp_targetILNS1_3genE4ELNS1_11target_archE910ELNS1_3gpuE8ELNS1_3repE0EEENS1_30default_config_static_selectorELNS0_4arch9wavefront6targetE0EEEvSZ_,comdat
.Lfunc_end1916:
	.size	_ZN7rocprim17ROCPRIM_400000_NS6detail17trampoline_kernelINS0_13select_configILj256ELj13ELNS0_17block_load_methodE3ELS4_3ELS4_3ELNS0_20block_scan_algorithmE0ELj4294967295EEENS1_25partition_config_selectorILNS1_17partition_subalgoE3EjNS0_10empty_typeEbEEZZNS1_14partition_implILS8_3ELb0ES6_jNS0_17counting_iteratorIjlEEPS9_SE_NS0_5tupleIJPjSE_EEENSF_IJSE_SE_EEES9_SG_JZNS1_25segmented_radix_sort_implINS0_14default_configELb1EPK12hip_bfloat16PSL_PKlPlN2at6native12_GLOBAL__N_18offset_tEEE10hipError_tPvRmT1_PNSt15iterator_traitsISZ_E10value_typeET2_T3_PNS10_IS15_E10value_typeET4_jRbjT5_S1B_jjP12ihipStream_tbEUljE_EEESW_SX_SY_S15_S19_S1B_T6_T7_T9_mT8_S1D_bDpT10_ENKUlT_T0_E_clISt17integral_constantIbLb0EES1Q_EEDaS1L_S1M_EUlS1L_E_NS1_11comp_targetILNS1_3genE4ELNS1_11target_archE910ELNS1_3gpuE8ELNS1_3repE0EEENS1_30default_config_static_selectorELNS0_4arch9wavefront6targetE0EEEvSZ_, .Lfunc_end1916-_ZN7rocprim17ROCPRIM_400000_NS6detail17trampoline_kernelINS0_13select_configILj256ELj13ELNS0_17block_load_methodE3ELS4_3ELS4_3ELNS0_20block_scan_algorithmE0ELj4294967295EEENS1_25partition_config_selectorILNS1_17partition_subalgoE3EjNS0_10empty_typeEbEEZZNS1_14partition_implILS8_3ELb0ES6_jNS0_17counting_iteratorIjlEEPS9_SE_NS0_5tupleIJPjSE_EEENSF_IJSE_SE_EEES9_SG_JZNS1_25segmented_radix_sort_implINS0_14default_configELb1EPK12hip_bfloat16PSL_PKlPlN2at6native12_GLOBAL__N_18offset_tEEE10hipError_tPvRmT1_PNSt15iterator_traitsISZ_E10value_typeET2_T3_PNS10_IS15_E10value_typeET4_jRbjT5_S1B_jjP12ihipStream_tbEUljE_EEESW_SX_SY_S15_S19_S1B_T6_T7_T9_mT8_S1D_bDpT10_ENKUlT_T0_E_clISt17integral_constantIbLb0EES1Q_EEDaS1L_S1M_EUlS1L_E_NS1_11comp_targetILNS1_3genE4ELNS1_11target_archE910ELNS1_3gpuE8ELNS1_3repE0EEENS1_30default_config_static_selectorELNS0_4arch9wavefront6targetE0EEEvSZ_
                                        ; -- End function
	.section	.AMDGPU.csdata,"",@progbits
; Kernel info:
; codeLenInByte = 0
; NumSgprs: 0
; NumVgprs: 0
; ScratchSize: 0
; MemoryBound: 0
; FloatMode: 240
; IeeeMode: 1
; LDSByteSize: 0 bytes/workgroup (compile time only)
; SGPRBlocks: 0
; VGPRBlocks: 0
; NumSGPRsForWavesPerEU: 1
; NumVGPRsForWavesPerEU: 1
; Occupancy: 16
; WaveLimiterHint : 0
; COMPUTE_PGM_RSRC2:SCRATCH_EN: 0
; COMPUTE_PGM_RSRC2:USER_SGPR: 15
; COMPUTE_PGM_RSRC2:TRAP_HANDLER: 0
; COMPUTE_PGM_RSRC2:TGID_X_EN: 1
; COMPUTE_PGM_RSRC2:TGID_Y_EN: 0
; COMPUTE_PGM_RSRC2:TGID_Z_EN: 0
; COMPUTE_PGM_RSRC2:TIDIG_COMP_CNT: 0
	.section	.text._ZN7rocprim17ROCPRIM_400000_NS6detail17trampoline_kernelINS0_13select_configILj256ELj13ELNS0_17block_load_methodE3ELS4_3ELS4_3ELNS0_20block_scan_algorithmE0ELj4294967295EEENS1_25partition_config_selectorILNS1_17partition_subalgoE3EjNS0_10empty_typeEbEEZZNS1_14partition_implILS8_3ELb0ES6_jNS0_17counting_iteratorIjlEEPS9_SE_NS0_5tupleIJPjSE_EEENSF_IJSE_SE_EEES9_SG_JZNS1_25segmented_radix_sort_implINS0_14default_configELb1EPK12hip_bfloat16PSL_PKlPlN2at6native12_GLOBAL__N_18offset_tEEE10hipError_tPvRmT1_PNSt15iterator_traitsISZ_E10value_typeET2_T3_PNS10_IS15_E10value_typeET4_jRbjT5_S1B_jjP12ihipStream_tbEUljE_EEESW_SX_SY_S15_S19_S1B_T6_T7_T9_mT8_S1D_bDpT10_ENKUlT_T0_E_clISt17integral_constantIbLb0EES1Q_EEDaS1L_S1M_EUlS1L_E_NS1_11comp_targetILNS1_3genE3ELNS1_11target_archE908ELNS1_3gpuE7ELNS1_3repE0EEENS1_30default_config_static_selectorELNS0_4arch9wavefront6targetE0EEEvSZ_,"axG",@progbits,_ZN7rocprim17ROCPRIM_400000_NS6detail17trampoline_kernelINS0_13select_configILj256ELj13ELNS0_17block_load_methodE3ELS4_3ELS4_3ELNS0_20block_scan_algorithmE0ELj4294967295EEENS1_25partition_config_selectorILNS1_17partition_subalgoE3EjNS0_10empty_typeEbEEZZNS1_14partition_implILS8_3ELb0ES6_jNS0_17counting_iteratorIjlEEPS9_SE_NS0_5tupleIJPjSE_EEENSF_IJSE_SE_EEES9_SG_JZNS1_25segmented_radix_sort_implINS0_14default_configELb1EPK12hip_bfloat16PSL_PKlPlN2at6native12_GLOBAL__N_18offset_tEEE10hipError_tPvRmT1_PNSt15iterator_traitsISZ_E10value_typeET2_T3_PNS10_IS15_E10value_typeET4_jRbjT5_S1B_jjP12ihipStream_tbEUljE_EEESW_SX_SY_S15_S19_S1B_T6_T7_T9_mT8_S1D_bDpT10_ENKUlT_T0_E_clISt17integral_constantIbLb0EES1Q_EEDaS1L_S1M_EUlS1L_E_NS1_11comp_targetILNS1_3genE3ELNS1_11target_archE908ELNS1_3gpuE7ELNS1_3repE0EEENS1_30default_config_static_selectorELNS0_4arch9wavefront6targetE0EEEvSZ_,comdat
	.globl	_ZN7rocprim17ROCPRIM_400000_NS6detail17trampoline_kernelINS0_13select_configILj256ELj13ELNS0_17block_load_methodE3ELS4_3ELS4_3ELNS0_20block_scan_algorithmE0ELj4294967295EEENS1_25partition_config_selectorILNS1_17partition_subalgoE3EjNS0_10empty_typeEbEEZZNS1_14partition_implILS8_3ELb0ES6_jNS0_17counting_iteratorIjlEEPS9_SE_NS0_5tupleIJPjSE_EEENSF_IJSE_SE_EEES9_SG_JZNS1_25segmented_radix_sort_implINS0_14default_configELb1EPK12hip_bfloat16PSL_PKlPlN2at6native12_GLOBAL__N_18offset_tEEE10hipError_tPvRmT1_PNSt15iterator_traitsISZ_E10value_typeET2_T3_PNS10_IS15_E10value_typeET4_jRbjT5_S1B_jjP12ihipStream_tbEUljE_EEESW_SX_SY_S15_S19_S1B_T6_T7_T9_mT8_S1D_bDpT10_ENKUlT_T0_E_clISt17integral_constantIbLb0EES1Q_EEDaS1L_S1M_EUlS1L_E_NS1_11comp_targetILNS1_3genE3ELNS1_11target_archE908ELNS1_3gpuE7ELNS1_3repE0EEENS1_30default_config_static_selectorELNS0_4arch9wavefront6targetE0EEEvSZ_ ; -- Begin function _ZN7rocprim17ROCPRIM_400000_NS6detail17trampoline_kernelINS0_13select_configILj256ELj13ELNS0_17block_load_methodE3ELS4_3ELS4_3ELNS0_20block_scan_algorithmE0ELj4294967295EEENS1_25partition_config_selectorILNS1_17partition_subalgoE3EjNS0_10empty_typeEbEEZZNS1_14partition_implILS8_3ELb0ES6_jNS0_17counting_iteratorIjlEEPS9_SE_NS0_5tupleIJPjSE_EEENSF_IJSE_SE_EEES9_SG_JZNS1_25segmented_radix_sort_implINS0_14default_configELb1EPK12hip_bfloat16PSL_PKlPlN2at6native12_GLOBAL__N_18offset_tEEE10hipError_tPvRmT1_PNSt15iterator_traitsISZ_E10value_typeET2_T3_PNS10_IS15_E10value_typeET4_jRbjT5_S1B_jjP12ihipStream_tbEUljE_EEESW_SX_SY_S15_S19_S1B_T6_T7_T9_mT8_S1D_bDpT10_ENKUlT_T0_E_clISt17integral_constantIbLb0EES1Q_EEDaS1L_S1M_EUlS1L_E_NS1_11comp_targetILNS1_3genE3ELNS1_11target_archE908ELNS1_3gpuE7ELNS1_3repE0EEENS1_30default_config_static_selectorELNS0_4arch9wavefront6targetE0EEEvSZ_
	.p2align	8
	.type	_ZN7rocprim17ROCPRIM_400000_NS6detail17trampoline_kernelINS0_13select_configILj256ELj13ELNS0_17block_load_methodE3ELS4_3ELS4_3ELNS0_20block_scan_algorithmE0ELj4294967295EEENS1_25partition_config_selectorILNS1_17partition_subalgoE3EjNS0_10empty_typeEbEEZZNS1_14partition_implILS8_3ELb0ES6_jNS0_17counting_iteratorIjlEEPS9_SE_NS0_5tupleIJPjSE_EEENSF_IJSE_SE_EEES9_SG_JZNS1_25segmented_radix_sort_implINS0_14default_configELb1EPK12hip_bfloat16PSL_PKlPlN2at6native12_GLOBAL__N_18offset_tEEE10hipError_tPvRmT1_PNSt15iterator_traitsISZ_E10value_typeET2_T3_PNS10_IS15_E10value_typeET4_jRbjT5_S1B_jjP12ihipStream_tbEUljE_EEESW_SX_SY_S15_S19_S1B_T6_T7_T9_mT8_S1D_bDpT10_ENKUlT_T0_E_clISt17integral_constantIbLb0EES1Q_EEDaS1L_S1M_EUlS1L_E_NS1_11comp_targetILNS1_3genE3ELNS1_11target_archE908ELNS1_3gpuE7ELNS1_3repE0EEENS1_30default_config_static_selectorELNS0_4arch9wavefront6targetE0EEEvSZ_,@function
_ZN7rocprim17ROCPRIM_400000_NS6detail17trampoline_kernelINS0_13select_configILj256ELj13ELNS0_17block_load_methodE3ELS4_3ELS4_3ELNS0_20block_scan_algorithmE0ELj4294967295EEENS1_25partition_config_selectorILNS1_17partition_subalgoE3EjNS0_10empty_typeEbEEZZNS1_14partition_implILS8_3ELb0ES6_jNS0_17counting_iteratorIjlEEPS9_SE_NS0_5tupleIJPjSE_EEENSF_IJSE_SE_EEES9_SG_JZNS1_25segmented_radix_sort_implINS0_14default_configELb1EPK12hip_bfloat16PSL_PKlPlN2at6native12_GLOBAL__N_18offset_tEEE10hipError_tPvRmT1_PNSt15iterator_traitsISZ_E10value_typeET2_T3_PNS10_IS15_E10value_typeET4_jRbjT5_S1B_jjP12ihipStream_tbEUljE_EEESW_SX_SY_S15_S19_S1B_T6_T7_T9_mT8_S1D_bDpT10_ENKUlT_T0_E_clISt17integral_constantIbLb0EES1Q_EEDaS1L_S1M_EUlS1L_E_NS1_11comp_targetILNS1_3genE3ELNS1_11target_archE908ELNS1_3gpuE7ELNS1_3repE0EEENS1_30default_config_static_selectorELNS0_4arch9wavefront6targetE0EEEvSZ_: ; @_ZN7rocprim17ROCPRIM_400000_NS6detail17trampoline_kernelINS0_13select_configILj256ELj13ELNS0_17block_load_methodE3ELS4_3ELS4_3ELNS0_20block_scan_algorithmE0ELj4294967295EEENS1_25partition_config_selectorILNS1_17partition_subalgoE3EjNS0_10empty_typeEbEEZZNS1_14partition_implILS8_3ELb0ES6_jNS0_17counting_iteratorIjlEEPS9_SE_NS0_5tupleIJPjSE_EEENSF_IJSE_SE_EEES9_SG_JZNS1_25segmented_radix_sort_implINS0_14default_configELb1EPK12hip_bfloat16PSL_PKlPlN2at6native12_GLOBAL__N_18offset_tEEE10hipError_tPvRmT1_PNSt15iterator_traitsISZ_E10value_typeET2_T3_PNS10_IS15_E10value_typeET4_jRbjT5_S1B_jjP12ihipStream_tbEUljE_EEESW_SX_SY_S15_S19_S1B_T6_T7_T9_mT8_S1D_bDpT10_ENKUlT_T0_E_clISt17integral_constantIbLb0EES1Q_EEDaS1L_S1M_EUlS1L_E_NS1_11comp_targetILNS1_3genE3ELNS1_11target_archE908ELNS1_3gpuE7ELNS1_3repE0EEENS1_30default_config_static_selectorELNS0_4arch9wavefront6targetE0EEEvSZ_
; %bb.0:
	.section	.rodata,"a",@progbits
	.p2align	6, 0x0
	.amdhsa_kernel _ZN7rocprim17ROCPRIM_400000_NS6detail17trampoline_kernelINS0_13select_configILj256ELj13ELNS0_17block_load_methodE3ELS4_3ELS4_3ELNS0_20block_scan_algorithmE0ELj4294967295EEENS1_25partition_config_selectorILNS1_17partition_subalgoE3EjNS0_10empty_typeEbEEZZNS1_14partition_implILS8_3ELb0ES6_jNS0_17counting_iteratorIjlEEPS9_SE_NS0_5tupleIJPjSE_EEENSF_IJSE_SE_EEES9_SG_JZNS1_25segmented_radix_sort_implINS0_14default_configELb1EPK12hip_bfloat16PSL_PKlPlN2at6native12_GLOBAL__N_18offset_tEEE10hipError_tPvRmT1_PNSt15iterator_traitsISZ_E10value_typeET2_T3_PNS10_IS15_E10value_typeET4_jRbjT5_S1B_jjP12ihipStream_tbEUljE_EEESW_SX_SY_S15_S19_S1B_T6_T7_T9_mT8_S1D_bDpT10_ENKUlT_T0_E_clISt17integral_constantIbLb0EES1Q_EEDaS1L_S1M_EUlS1L_E_NS1_11comp_targetILNS1_3genE3ELNS1_11target_archE908ELNS1_3gpuE7ELNS1_3repE0EEENS1_30default_config_static_selectorELNS0_4arch9wavefront6targetE0EEEvSZ_
		.amdhsa_group_segment_fixed_size 0
		.amdhsa_private_segment_fixed_size 0
		.amdhsa_kernarg_size 144
		.amdhsa_user_sgpr_count 15
		.amdhsa_user_sgpr_dispatch_ptr 0
		.amdhsa_user_sgpr_queue_ptr 0
		.amdhsa_user_sgpr_kernarg_segment_ptr 1
		.amdhsa_user_sgpr_dispatch_id 0
		.amdhsa_user_sgpr_private_segment_size 0
		.amdhsa_wavefront_size32 1
		.amdhsa_uses_dynamic_stack 0
		.amdhsa_enable_private_segment 0
		.amdhsa_system_sgpr_workgroup_id_x 1
		.amdhsa_system_sgpr_workgroup_id_y 0
		.amdhsa_system_sgpr_workgroup_id_z 0
		.amdhsa_system_sgpr_workgroup_info 0
		.amdhsa_system_vgpr_workitem_id 0
		.amdhsa_next_free_vgpr 1
		.amdhsa_next_free_sgpr 1
		.amdhsa_reserve_vcc 0
		.amdhsa_float_round_mode_32 0
		.amdhsa_float_round_mode_16_64 0
		.amdhsa_float_denorm_mode_32 3
		.amdhsa_float_denorm_mode_16_64 3
		.amdhsa_dx10_clamp 1
		.amdhsa_ieee_mode 1
		.amdhsa_fp16_overflow 0
		.amdhsa_workgroup_processor_mode 1
		.amdhsa_memory_ordered 1
		.amdhsa_forward_progress 0
		.amdhsa_shared_vgpr_count 0
		.amdhsa_exception_fp_ieee_invalid_op 0
		.amdhsa_exception_fp_denorm_src 0
		.amdhsa_exception_fp_ieee_div_zero 0
		.amdhsa_exception_fp_ieee_overflow 0
		.amdhsa_exception_fp_ieee_underflow 0
		.amdhsa_exception_fp_ieee_inexact 0
		.amdhsa_exception_int_div_zero 0
	.end_amdhsa_kernel
	.section	.text._ZN7rocprim17ROCPRIM_400000_NS6detail17trampoline_kernelINS0_13select_configILj256ELj13ELNS0_17block_load_methodE3ELS4_3ELS4_3ELNS0_20block_scan_algorithmE0ELj4294967295EEENS1_25partition_config_selectorILNS1_17partition_subalgoE3EjNS0_10empty_typeEbEEZZNS1_14partition_implILS8_3ELb0ES6_jNS0_17counting_iteratorIjlEEPS9_SE_NS0_5tupleIJPjSE_EEENSF_IJSE_SE_EEES9_SG_JZNS1_25segmented_radix_sort_implINS0_14default_configELb1EPK12hip_bfloat16PSL_PKlPlN2at6native12_GLOBAL__N_18offset_tEEE10hipError_tPvRmT1_PNSt15iterator_traitsISZ_E10value_typeET2_T3_PNS10_IS15_E10value_typeET4_jRbjT5_S1B_jjP12ihipStream_tbEUljE_EEESW_SX_SY_S15_S19_S1B_T6_T7_T9_mT8_S1D_bDpT10_ENKUlT_T0_E_clISt17integral_constantIbLb0EES1Q_EEDaS1L_S1M_EUlS1L_E_NS1_11comp_targetILNS1_3genE3ELNS1_11target_archE908ELNS1_3gpuE7ELNS1_3repE0EEENS1_30default_config_static_selectorELNS0_4arch9wavefront6targetE0EEEvSZ_,"axG",@progbits,_ZN7rocprim17ROCPRIM_400000_NS6detail17trampoline_kernelINS0_13select_configILj256ELj13ELNS0_17block_load_methodE3ELS4_3ELS4_3ELNS0_20block_scan_algorithmE0ELj4294967295EEENS1_25partition_config_selectorILNS1_17partition_subalgoE3EjNS0_10empty_typeEbEEZZNS1_14partition_implILS8_3ELb0ES6_jNS0_17counting_iteratorIjlEEPS9_SE_NS0_5tupleIJPjSE_EEENSF_IJSE_SE_EEES9_SG_JZNS1_25segmented_radix_sort_implINS0_14default_configELb1EPK12hip_bfloat16PSL_PKlPlN2at6native12_GLOBAL__N_18offset_tEEE10hipError_tPvRmT1_PNSt15iterator_traitsISZ_E10value_typeET2_T3_PNS10_IS15_E10value_typeET4_jRbjT5_S1B_jjP12ihipStream_tbEUljE_EEESW_SX_SY_S15_S19_S1B_T6_T7_T9_mT8_S1D_bDpT10_ENKUlT_T0_E_clISt17integral_constantIbLb0EES1Q_EEDaS1L_S1M_EUlS1L_E_NS1_11comp_targetILNS1_3genE3ELNS1_11target_archE908ELNS1_3gpuE7ELNS1_3repE0EEENS1_30default_config_static_selectorELNS0_4arch9wavefront6targetE0EEEvSZ_,comdat
.Lfunc_end1917:
	.size	_ZN7rocprim17ROCPRIM_400000_NS6detail17trampoline_kernelINS0_13select_configILj256ELj13ELNS0_17block_load_methodE3ELS4_3ELS4_3ELNS0_20block_scan_algorithmE0ELj4294967295EEENS1_25partition_config_selectorILNS1_17partition_subalgoE3EjNS0_10empty_typeEbEEZZNS1_14partition_implILS8_3ELb0ES6_jNS0_17counting_iteratorIjlEEPS9_SE_NS0_5tupleIJPjSE_EEENSF_IJSE_SE_EEES9_SG_JZNS1_25segmented_radix_sort_implINS0_14default_configELb1EPK12hip_bfloat16PSL_PKlPlN2at6native12_GLOBAL__N_18offset_tEEE10hipError_tPvRmT1_PNSt15iterator_traitsISZ_E10value_typeET2_T3_PNS10_IS15_E10value_typeET4_jRbjT5_S1B_jjP12ihipStream_tbEUljE_EEESW_SX_SY_S15_S19_S1B_T6_T7_T9_mT8_S1D_bDpT10_ENKUlT_T0_E_clISt17integral_constantIbLb0EES1Q_EEDaS1L_S1M_EUlS1L_E_NS1_11comp_targetILNS1_3genE3ELNS1_11target_archE908ELNS1_3gpuE7ELNS1_3repE0EEENS1_30default_config_static_selectorELNS0_4arch9wavefront6targetE0EEEvSZ_, .Lfunc_end1917-_ZN7rocprim17ROCPRIM_400000_NS6detail17trampoline_kernelINS0_13select_configILj256ELj13ELNS0_17block_load_methodE3ELS4_3ELS4_3ELNS0_20block_scan_algorithmE0ELj4294967295EEENS1_25partition_config_selectorILNS1_17partition_subalgoE3EjNS0_10empty_typeEbEEZZNS1_14partition_implILS8_3ELb0ES6_jNS0_17counting_iteratorIjlEEPS9_SE_NS0_5tupleIJPjSE_EEENSF_IJSE_SE_EEES9_SG_JZNS1_25segmented_radix_sort_implINS0_14default_configELb1EPK12hip_bfloat16PSL_PKlPlN2at6native12_GLOBAL__N_18offset_tEEE10hipError_tPvRmT1_PNSt15iterator_traitsISZ_E10value_typeET2_T3_PNS10_IS15_E10value_typeET4_jRbjT5_S1B_jjP12ihipStream_tbEUljE_EEESW_SX_SY_S15_S19_S1B_T6_T7_T9_mT8_S1D_bDpT10_ENKUlT_T0_E_clISt17integral_constantIbLb0EES1Q_EEDaS1L_S1M_EUlS1L_E_NS1_11comp_targetILNS1_3genE3ELNS1_11target_archE908ELNS1_3gpuE7ELNS1_3repE0EEENS1_30default_config_static_selectorELNS0_4arch9wavefront6targetE0EEEvSZ_
                                        ; -- End function
	.section	.AMDGPU.csdata,"",@progbits
; Kernel info:
; codeLenInByte = 0
; NumSgprs: 0
; NumVgprs: 0
; ScratchSize: 0
; MemoryBound: 0
; FloatMode: 240
; IeeeMode: 1
; LDSByteSize: 0 bytes/workgroup (compile time only)
; SGPRBlocks: 0
; VGPRBlocks: 0
; NumSGPRsForWavesPerEU: 1
; NumVGPRsForWavesPerEU: 1
; Occupancy: 16
; WaveLimiterHint : 0
; COMPUTE_PGM_RSRC2:SCRATCH_EN: 0
; COMPUTE_PGM_RSRC2:USER_SGPR: 15
; COMPUTE_PGM_RSRC2:TRAP_HANDLER: 0
; COMPUTE_PGM_RSRC2:TGID_X_EN: 1
; COMPUTE_PGM_RSRC2:TGID_Y_EN: 0
; COMPUTE_PGM_RSRC2:TGID_Z_EN: 0
; COMPUTE_PGM_RSRC2:TIDIG_COMP_CNT: 0
	.section	.text._ZN7rocprim17ROCPRIM_400000_NS6detail17trampoline_kernelINS0_13select_configILj256ELj13ELNS0_17block_load_methodE3ELS4_3ELS4_3ELNS0_20block_scan_algorithmE0ELj4294967295EEENS1_25partition_config_selectorILNS1_17partition_subalgoE3EjNS0_10empty_typeEbEEZZNS1_14partition_implILS8_3ELb0ES6_jNS0_17counting_iteratorIjlEEPS9_SE_NS0_5tupleIJPjSE_EEENSF_IJSE_SE_EEES9_SG_JZNS1_25segmented_radix_sort_implINS0_14default_configELb1EPK12hip_bfloat16PSL_PKlPlN2at6native12_GLOBAL__N_18offset_tEEE10hipError_tPvRmT1_PNSt15iterator_traitsISZ_E10value_typeET2_T3_PNS10_IS15_E10value_typeET4_jRbjT5_S1B_jjP12ihipStream_tbEUljE_EEESW_SX_SY_S15_S19_S1B_T6_T7_T9_mT8_S1D_bDpT10_ENKUlT_T0_E_clISt17integral_constantIbLb0EES1Q_EEDaS1L_S1M_EUlS1L_E_NS1_11comp_targetILNS1_3genE2ELNS1_11target_archE906ELNS1_3gpuE6ELNS1_3repE0EEENS1_30default_config_static_selectorELNS0_4arch9wavefront6targetE0EEEvSZ_,"axG",@progbits,_ZN7rocprim17ROCPRIM_400000_NS6detail17trampoline_kernelINS0_13select_configILj256ELj13ELNS0_17block_load_methodE3ELS4_3ELS4_3ELNS0_20block_scan_algorithmE0ELj4294967295EEENS1_25partition_config_selectorILNS1_17partition_subalgoE3EjNS0_10empty_typeEbEEZZNS1_14partition_implILS8_3ELb0ES6_jNS0_17counting_iteratorIjlEEPS9_SE_NS0_5tupleIJPjSE_EEENSF_IJSE_SE_EEES9_SG_JZNS1_25segmented_radix_sort_implINS0_14default_configELb1EPK12hip_bfloat16PSL_PKlPlN2at6native12_GLOBAL__N_18offset_tEEE10hipError_tPvRmT1_PNSt15iterator_traitsISZ_E10value_typeET2_T3_PNS10_IS15_E10value_typeET4_jRbjT5_S1B_jjP12ihipStream_tbEUljE_EEESW_SX_SY_S15_S19_S1B_T6_T7_T9_mT8_S1D_bDpT10_ENKUlT_T0_E_clISt17integral_constantIbLb0EES1Q_EEDaS1L_S1M_EUlS1L_E_NS1_11comp_targetILNS1_3genE2ELNS1_11target_archE906ELNS1_3gpuE6ELNS1_3repE0EEENS1_30default_config_static_selectorELNS0_4arch9wavefront6targetE0EEEvSZ_,comdat
	.globl	_ZN7rocprim17ROCPRIM_400000_NS6detail17trampoline_kernelINS0_13select_configILj256ELj13ELNS0_17block_load_methodE3ELS4_3ELS4_3ELNS0_20block_scan_algorithmE0ELj4294967295EEENS1_25partition_config_selectorILNS1_17partition_subalgoE3EjNS0_10empty_typeEbEEZZNS1_14partition_implILS8_3ELb0ES6_jNS0_17counting_iteratorIjlEEPS9_SE_NS0_5tupleIJPjSE_EEENSF_IJSE_SE_EEES9_SG_JZNS1_25segmented_radix_sort_implINS0_14default_configELb1EPK12hip_bfloat16PSL_PKlPlN2at6native12_GLOBAL__N_18offset_tEEE10hipError_tPvRmT1_PNSt15iterator_traitsISZ_E10value_typeET2_T3_PNS10_IS15_E10value_typeET4_jRbjT5_S1B_jjP12ihipStream_tbEUljE_EEESW_SX_SY_S15_S19_S1B_T6_T7_T9_mT8_S1D_bDpT10_ENKUlT_T0_E_clISt17integral_constantIbLb0EES1Q_EEDaS1L_S1M_EUlS1L_E_NS1_11comp_targetILNS1_3genE2ELNS1_11target_archE906ELNS1_3gpuE6ELNS1_3repE0EEENS1_30default_config_static_selectorELNS0_4arch9wavefront6targetE0EEEvSZ_ ; -- Begin function _ZN7rocprim17ROCPRIM_400000_NS6detail17trampoline_kernelINS0_13select_configILj256ELj13ELNS0_17block_load_methodE3ELS4_3ELS4_3ELNS0_20block_scan_algorithmE0ELj4294967295EEENS1_25partition_config_selectorILNS1_17partition_subalgoE3EjNS0_10empty_typeEbEEZZNS1_14partition_implILS8_3ELb0ES6_jNS0_17counting_iteratorIjlEEPS9_SE_NS0_5tupleIJPjSE_EEENSF_IJSE_SE_EEES9_SG_JZNS1_25segmented_radix_sort_implINS0_14default_configELb1EPK12hip_bfloat16PSL_PKlPlN2at6native12_GLOBAL__N_18offset_tEEE10hipError_tPvRmT1_PNSt15iterator_traitsISZ_E10value_typeET2_T3_PNS10_IS15_E10value_typeET4_jRbjT5_S1B_jjP12ihipStream_tbEUljE_EEESW_SX_SY_S15_S19_S1B_T6_T7_T9_mT8_S1D_bDpT10_ENKUlT_T0_E_clISt17integral_constantIbLb0EES1Q_EEDaS1L_S1M_EUlS1L_E_NS1_11comp_targetILNS1_3genE2ELNS1_11target_archE906ELNS1_3gpuE6ELNS1_3repE0EEENS1_30default_config_static_selectorELNS0_4arch9wavefront6targetE0EEEvSZ_
	.p2align	8
	.type	_ZN7rocprim17ROCPRIM_400000_NS6detail17trampoline_kernelINS0_13select_configILj256ELj13ELNS0_17block_load_methodE3ELS4_3ELS4_3ELNS0_20block_scan_algorithmE0ELj4294967295EEENS1_25partition_config_selectorILNS1_17partition_subalgoE3EjNS0_10empty_typeEbEEZZNS1_14partition_implILS8_3ELb0ES6_jNS0_17counting_iteratorIjlEEPS9_SE_NS0_5tupleIJPjSE_EEENSF_IJSE_SE_EEES9_SG_JZNS1_25segmented_radix_sort_implINS0_14default_configELb1EPK12hip_bfloat16PSL_PKlPlN2at6native12_GLOBAL__N_18offset_tEEE10hipError_tPvRmT1_PNSt15iterator_traitsISZ_E10value_typeET2_T3_PNS10_IS15_E10value_typeET4_jRbjT5_S1B_jjP12ihipStream_tbEUljE_EEESW_SX_SY_S15_S19_S1B_T6_T7_T9_mT8_S1D_bDpT10_ENKUlT_T0_E_clISt17integral_constantIbLb0EES1Q_EEDaS1L_S1M_EUlS1L_E_NS1_11comp_targetILNS1_3genE2ELNS1_11target_archE906ELNS1_3gpuE6ELNS1_3repE0EEENS1_30default_config_static_selectorELNS0_4arch9wavefront6targetE0EEEvSZ_,@function
_ZN7rocprim17ROCPRIM_400000_NS6detail17trampoline_kernelINS0_13select_configILj256ELj13ELNS0_17block_load_methodE3ELS4_3ELS4_3ELNS0_20block_scan_algorithmE0ELj4294967295EEENS1_25partition_config_selectorILNS1_17partition_subalgoE3EjNS0_10empty_typeEbEEZZNS1_14partition_implILS8_3ELb0ES6_jNS0_17counting_iteratorIjlEEPS9_SE_NS0_5tupleIJPjSE_EEENSF_IJSE_SE_EEES9_SG_JZNS1_25segmented_radix_sort_implINS0_14default_configELb1EPK12hip_bfloat16PSL_PKlPlN2at6native12_GLOBAL__N_18offset_tEEE10hipError_tPvRmT1_PNSt15iterator_traitsISZ_E10value_typeET2_T3_PNS10_IS15_E10value_typeET4_jRbjT5_S1B_jjP12ihipStream_tbEUljE_EEESW_SX_SY_S15_S19_S1B_T6_T7_T9_mT8_S1D_bDpT10_ENKUlT_T0_E_clISt17integral_constantIbLb0EES1Q_EEDaS1L_S1M_EUlS1L_E_NS1_11comp_targetILNS1_3genE2ELNS1_11target_archE906ELNS1_3gpuE6ELNS1_3repE0EEENS1_30default_config_static_selectorELNS0_4arch9wavefront6targetE0EEEvSZ_: ; @_ZN7rocprim17ROCPRIM_400000_NS6detail17trampoline_kernelINS0_13select_configILj256ELj13ELNS0_17block_load_methodE3ELS4_3ELS4_3ELNS0_20block_scan_algorithmE0ELj4294967295EEENS1_25partition_config_selectorILNS1_17partition_subalgoE3EjNS0_10empty_typeEbEEZZNS1_14partition_implILS8_3ELb0ES6_jNS0_17counting_iteratorIjlEEPS9_SE_NS0_5tupleIJPjSE_EEENSF_IJSE_SE_EEES9_SG_JZNS1_25segmented_radix_sort_implINS0_14default_configELb1EPK12hip_bfloat16PSL_PKlPlN2at6native12_GLOBAL__N_18offset_tEEE10hipError_tPvRmT1_PNSt15iterator_traitsISZ_E10value_typeET2_T3_PNS10_IS15_E10value_typeET4_jRbjT5_S1B_jjP12ihipStream_tbEUljE_EEESW_SX_SY_S15_S19_S1B_T6_T7_T9_mT8_S1D_bDpT10_ENKUlT_T0_E_clISt17integral_constantIbLb0EES1Q_EEDaS1L_S1M_EUlS1L_E_NS1_11comp_targetILNS1_3genE2ELNS1_11target_archE906ELNS1_3gpuE6ELNS1_3repE0EEENS1_30default_config_static_selectorELNS0_4arch9wavefront6targetE0EEEvSZ_
; %bb.0:
	.section	.rodata,"a",@progbits
	.p2align	6, 0x0
	.amdhsa_kernel _ZN7rocprim17ROCPRIM_400000_NS6detail17trampoline_kernelINS0_13select_configILj256ELj13ELNS0_17block_load_methodE3ELS4_3ELS4_3ELNS0_20block_scan_algorithmE0ELj4294967295EEENS1_25partition_config_selectorILNS1_17partition_subalgoE3EjNS0_10empty_typeEbEEZZNS1_14partition_implILS8_3ELb0ES6_jNS0_17counting_iteratorIjlEEPS9_SE_NS0_5tupleIJPjSE_EEENSF_IJSE_SE_EEES9_SG_JZNS1_25segmented_radix_sort_implINS0_14default_configELb1EPK12hip_bfloat16PSL_PKlPlN2at6native12_GLOBAL__N_18offset_tEEE10hipError_tPvRmT1_PNSt15iterator_traitsISZ_E10value_typeET2_T3_PNS10_IS15_E10value_typeET4_jRbjT5_S1B_jjP12ihipStream_tbEUljE_EEESW_SX_SY_S15_S19_S1B_T6_T7_T9_mT8_S1D_bDpT10_ENKUlT_T0_E_clISt17integral_constantIbLb0EES1Q_EEDaS1L_S1M_EUlS1L_E_NS1_11comp_targetILNS1_3genE2ELNS1_11target_archE906ELNS1_3gpuE6ELNS1_3repE0EEENS1_30default_config_static_selectorELNS0_4arch9wavefront6targetE0EEEvSZ_
		.amdhsa_group_segment_fixed_size 0
		.amdhsa_private_segment_fixed_size 0
		.amdhsa_kernarg_size 144
		.amdhsa_user_sgpr_count 15
		.amdhsa_user_sgpr_dispatch_ptr 0
		.amdhsa_user_sgpr_queue_ptr 0
		.amdhsa_user_sgpr_kernarg_segment_ptr 1
		.amdhsa_user_sgpr_dispatch_id 0
		.amdhsa_user_sgpr_private_segment_size 0
		.amdhsa_wavefront_size32 1
		.amdhsa_uses_dynamic_stack 0
		.amdhsa_enable_private_segment 0
		.amdhsa_system_sgpr_workgroup_id_x 1
		.amdhsa_system_sgpr_workgroup_id_y 0
		.amdhsa_system_sgpr_workgroup_id_z 0
		.amdhsa_system_sgpr_workgroup_info 0
		.amdhsa_system_vgpr_workitem_id 0
		.amdhsa_next_free_vgpr 1
		.amdhsa_next_free_sgpr 1
		.amdhsa_reserve_vcc 0
		.amdhsa_float_round_mode_32 0
		.amdhsa_float_round_mode_16_64 0
		.amdhsa_float_denorm_mode_32 3
		.amdhsa_float_denorm_mode_16_64 3
		.amdhsa_dx10_clamp 1
		.amdhsa_ieee_mode 1
		.amdhsa_fp16_overflow 0
		.amdhsa_workgroup_processor_mode 1
		.amdhsa_memory_ordered 1
		.amdhsa_forward_progress 0
		.amdhsa_shared_vgpr_count 0
		.amdhsa_exception_fp_ieee_invalid_op 0
		.amdhsa_exception_fp_denorm_src 0
		.amdhsa_exception_fp_ieee_div_zero 0
		.amdhsa_exception_fp_ieee_overflow 0
		.amdhsa_exception_fp_ieee_underflow 0
		.amdhsa_exception_fp_ieee_inexact 0
		.amdhsa_exception_int_div_zero 0
	.end_amdhsa_kernel
	.section	.text._ZN7rocprim17ROCPRIM_400000_NS6detail17trampoline_kernelINS0_13select_configILj256ELj13ELNS0_17block_load_methodE3ELS4_3ELS4_3ELNS0_20block_scan_algorithmE0ELj4294967295EEENS1_25partition_config_selectorILNS1_17partition_subalgoE3EjNS0_10empty_typeEbEEZZNS1_14partition_implILS8_3ELb0ES6_jNS0_17counting_iteratorIjlEEPS9_SE_NS0_5tupleIJPjSE_EEENSF_IJSE_SE_EEES9_SG_JZNS1_25segmented_radix_sort_implINS0_14default_configELb1EPK12hip_bfloat16PSL_PKlPlN2at6native12_GLOBAL__N_18offset_tEEE10hipError_tPvRmT1_PNSt15iterator_traitsISZ_E10value_typeET2_T3_PNS10_IS15_E10value_typeET4_jRbjT5_S1B_jjP12ihipStream_tbEUljE_EEESW_SX_SY_S15_S19_S1B_T6_T7_T9_mT8_S1D_bDpT10_ENKUlT_T0_E_clISt17integral_constantIbLb0EES1Q_EEDaS1L_S1M_EUlS1L_E_NS1_11comp_targetILNS1_3genE2ELNS1_11target_archE906ELNS1_3gpuE6ELNS1_3repE0EEENS1_30default_config_static_selectorELNS0_4arch9wavefront6targetE0EEEvSZ_,"axG",@progbits,_ZN7rocprim17ROCPRIM_400000_NS6detail17trampoline_kernelINS0_13select_configILj256ELj13ELNS0_17block_load_methodE3ELS4_3ELS4_3ELNS0_20block_scan_algorithmE0ELj4294967295EEENS1_25partition_config_selectorILNS1_17partition_subalgoE3EjNS0_10empty_typeEbEEZZNS1_14partition_implILS8_3ELb0ES6_jNS0_17counting_iteratorIjlEEPS9_SE_NS0_5tupleIJPjSE_EEENSF_IJSE_SE_EEES9_SG_JZNS1_25segmented_radix_sort_implINS0_14default_configELb1EPK12hip_bfloat16PSL_PKlPlN2at6native12_GLOBAL__N_18offset_tEEE10hipError_tPvRmT1_PNSt15iterator_traitsISZ_E10value_typeET2_T3_PNS10_IS15_E10value_typeET4_jRbjT5_S1B_jjP12ihipStream_tbEUljE_EEESW_SX_SY_S15_S19_S1B_T6_T7_T9_mT8_S1D_bDpT10_ENKUlT_T0_E_clISt17integral_constantIbLb0EES1Q_EEDaS1L_S1M_EUlS1L_E_NS1_11comp_targetILNS1_3genE2ELNS1_11target_archE906ELNS1_3gpuE6ELNS1_3repE0EEENS1_30default_config_static_selectorELNS0_4arch9wavefront6targetE0EEEvSZ_,comdat
.Lfunc_end1918:
	.size	_ZN7rocprim17ROCPRIM_400000_NS6detail17trampoline_kernelINS0_13select_configILj256ELj13ELNS0_17block_load_methodE3ELS4_3ELS4_3ELNS0_20block_scan_algorithmE0ELj4294967295EEENS1_25partition_config_selectorILNS1_17partition_subalgoE3EjNS0_10empty_typeEbEEZZNS1_14partition_implILS8_3ELb0ES6_jNS0_17counting_iteratorIjlEEPS9_SE_NS0_5tupleIJPjSE_EEENSF_IJSE_SE_EEES9_SG_JZNS1_25segmented_radix_sort_implINS0_14default_configELb1EPK12hip_bfloat16PSL_PKlPlN2at6native12_GLOBAL__N_18offset_tEEE10hipError_tPvRmT1_PNSt15iterator_traitsISZ_E10value_typeET2_T3_PNS10_IS15_E10value_typeET4_jRbjT5_S1B_jjP12ihipStream_tbEUljE_EEESW_SX_SY_S15_S19_S1B_T6_T7_T9_mT8_S1D_bDpT10_ENKUlT_T0_E_clISt17integral_constantIbLb0EES1Q_EEDaS1L_S1M_EUlS1L_E_NS1_11comp_targetILNS1_3genE2ELNS1_11target_archE906ELNS1_3gpuE6ELNS1_3repE0EEENS1_30default_config_static_selectorELNS0_4arch9wavefront6targetE0EEEvSZ_, .Lfunc_end1918-_ZN7rocprim17ROCPRIM_400000_NS6detail17trampoline_kernelINS0_13select_configILj256ELj13ELNS0_17block_load_methodE3ELS4_3ELS4_3ELNS0_20block_scan_algorithmE0ELj4294967295EEENS1_25partition_config_selectorILNS1_17partition_subalgoE3EjNS0_10empty_typeEbEEZZNS1_14partition_implILS8_3ELb0ES6_jNS0_17counting_iteratorIjlEEPS9_SE_NS0_5tupleIJPjSE_EEENSF_IJSE_SE_EEES9_SG_JZNS1_25segmented_radix_sort_implINS0_14default_configELb1EPK12hip_bfloat16PSL_PKlPlN2at6native12_GLOBAL__N_18offset_tEEE10hipError_tPvRmT1_PNSt15iterator_traitsISZ_E10value_typeET2_T3_PNS10_IS15_E10value_typeET4_jRbjT5_S1B_jjP12ihipStream_tbEUljE_EEESW_SX_SY_S15_S19_S1B_T6_T7_T9_mT8_S1D_bDpT10_ENKUlT_T0_E_clISt17integral_constantIbLb0EES1Q_EEDaS1L_S1M_EUlS1L_E_NS1_11comp_targetILNS1_3genE2ELNS1_11target_archE906ELNS1_3gpuE6ELNS1_3repE0EEENS1_30default_config_static_selectorELNS0_4arch9wavefront6targetE0EEEvSZ_
                                        ; -- End function
	.section	.AMDGPU.csdata,"",@progbits
; Kernel info:
; codeLenInByte = 0
; NumSgprs: 0
; NumVgprs: 0
; ScratchSize: 0
; MemoryBound: 0
; FloatMode: 240
; IeeeMode: 1
; LDSByteSize: 0 bytes/workgroup (compile time only)
; SGPRBlocks: 0
; VGPRBlocks: 0
; NumSGPRsForWavesPerEU: 1
; NumVGPRsForWavesPerEU: 1
; Occupancy: 16
; WaveLimiterHint : 0
; COMPUTE_PGM_RSRC2:SCRATCH_EN: 0
; COMPUTE_PGM_RSRC2:USER_SGPR: 15
; COMPUTE_PGM_RSRC2:TRAP_HANDLER: 0
; COMPUTE_PGM_RSRC2:TGID_X_EN: 1
; COMPUTE_PGM_RSRC2:TGID_Y_EN: 0
; COMPUTE_PGM_RSRC2:TGID_Z_EN: 0
; COMPUTE_PGM_RSRC2:TIDIG_COMP_CNT: 0
	.section	.text._ZN7rocprim17ROCPRIM_400000_NS6detail17trampoline_kernelINS0_13select_configILj256ELj13ELNS0_17block_load_methodE3ELS4_3ELS4_3ELNS0_20block_scan_algorithmE0ELj4294967295EEENS1_25partition_config_selectorILNS1_17partition_subalgoE3EjNS0_10empty_typeEbEEZZNS1_14partition_implILS8_3ELb0ES6_jNS0_17counting_iteratorIjlEEPS9_SE_NS0_5tupleIJPjSE_EEENSF_IJSE_SE_EEES9_SG_JZNS1_25segmented_radix_sort_implINS0_14default_configELb1EPK12hip_bfloat16PSL_PKlPlN2at6native12_GLOBAL__N_18offset_tEEE10hipError_tPvRmT1_PNSt15iterator_traitsISZ_E10value_typeET2_T3_PNS10_IS15_E10value_typeET4_jRbjT5_S1B_jjP12ihipStream_tbEUljE_EEESW_SX_SY_S15_S19_S1B_T6_T7_T9_mT8_S1D_bDpT10_ENKUlT_T0_E_clISt17integral_constantIbLb0EES1Q_EEDaS1L_S1M_EUlS1L_E_NS1_11comp_targetILNS1_3genE10ELNS1_11target_archE1200ELNS1_3gpuE4ELNS1_3repE0EEENS1_30default_config_static_selectorELNS0_4arch9wavefront6targetE0EEEvSZ_,"axG",@progbits,_ZN7rocprim17ROCPRIM_400000_NS6detail17trampoline_kernelINS0_13select_configILj256ELj13ELNS0_17block_load_methodE3ELS4_3ELS4_3ELNS0_20block_scan_algorithmE0ELj4294967295EEENS1_25partition_config_selectorILNS1_17partition_subalgoE3EjNS0_10empty_typeEbEEZZNS1_14partition_implILS8_3ELb0ES6_jNS0_17counting_iteratorIjlEEPS9_SE_NS0_5tupleIJPjSE_EEENSF_IJSE_SE_EEES9_SG_JZNS1_25segmented_radix_sort_implINS0_14default_configELb1EPK12hip_bfloat16PSL_PKlPlN2at6native12_GLOBAL__N_18offset_tEEE10hipError_tPvRmT1_PNSt15iterator_traitsISZ_E10value_typeET2_T3_PNS10_IS15_E10value_typeET4_jRbjT5_S1B_jjP12ihipStream_tbEUljE_EEESW_SX_SY_S15_S19_S1B_T6_T7_T9_mT8_S1D_bDpT10_ENKUlT_T0_E_clISt17integral_constantIbLb0EES1Q_EEDaS1L_S1M_EUlS1L_E_NS1_11comp_targetILNS1_3genE10ELNS1_11target_archE1200ELNS1_3gpuE4ELNS1_3repE0EEENS1_30default_config_static_selectorELNS0_4arch9wavefront6targetE0EEEvSZ_,comdat
	.globl	_ZN7rocprim17ROCPRIM_400000_NS6detail17trampoline_kernelINS0_13select_configILj256ELj13ELNS0_17block_load_methodE3ELS4_3ELS4_3ELNS0_20block_scan_algorithmE0ELj4294967295EEENS1_25partition_config_selectorILNS1_17partition_subalgoE3EjNS0_10empty_typeEbEEZZNS1_14partition_implILS8_3ELb0ES6_jNS0_17counting_iteratorIjlEEPS9_SE_NS0_5tupleIJPjSE_EEENSF_IJSE_SE_EEES9_SG_JZNS1_25segmented_radix_sort_implINS0_14default_configELb1EPK12hip_bfloat16PSL_PKlPlN2at6native12_GLOBAL__N_18offset_tEEE10hipError_tPvRmT1_PNSt15iterator_traitsISZ_E10value_typeET2_T3_PNS10_IS15_E10value_typeET4_jRbjT5_S1B_jjP12ihipStream_tbEUljE_EEESW_SX_SY_S15_S19_S1B_T6_T7_T9_mT8_S1D_bDpT10_ENKUlT_T0_E_clISt17integral_constantIbLb0EES1Q_EEDaS1L_S1M_EUlS1L_E_NS1_11comp_targetILNS1_3genE10ELNS1_11target_archE1200ELNS1_3gpuE4ELNS1_3repE0EEENS1_30default_config_static_selectorELNS0_4arch9wavefront6targetE0EEEvSZ_ ; -- Begin function _ZN7rocprim17ROCPRIM_400000_NS6detail17trampoline_kernelINS0_13select_configILj256ELj13ELNS0_17block_load_methodE3ELS4_3ELS4_3ELNS0_20block_scan_algorithmE0ELj4294967295EEENS1_25partition_config_selectorILNS1_17partition_subalgoE3EjNS0_10empty_typeEbEEZZNS1_14partition_implILS8_3ELb0ES6_jNS0_17counting_iteratorIjlEEPS9_SE_NS0_5tupleIJPjSE_EEENSF_IJSE_SE_EEES9_SG_JZNS1_25segmented_radix_sort_implINS0_14default_configELb1EPK12hip_bfloat16PSL_PKlPlN2at6native12_GLOBAL__N_18offset_tEEE10hipError_tPvRmT1_PNSt15iterator_traitsISZ_E10value_typeET2_T3_PNS10_IS15_E10value_typeET4_jRbjT5_S1B_jjP12ihipStream_tbEUljE_EEESW_SX_SY_S15_S19_S1B_T6_T7_T9_mT8_S1D_bDpT10_ENKUlT_T0_E_clISt17integral_constantIbLb0EES1Q_EEDaS1L_S1M_EUlS1L_E_NS1_11comp_targetILNS1_3genE10ELNS1_11target_archE1200ELNS1_3gpuE4ELNS1_3repE0EEENS1_30default_config_static_selectorELNS0_4arch9wavefront6targetE0EEEvSZ_
	.p2align	8
	.type	_ZN7rocprim17ROCPRIM_400000_NS6detail17trampoline_kernelINS0_13select_configILj256ELj13ELNS0_17block_load_methodE3ELS4_3ELS4_3ELNS0_20block_scan_algorithmE0ELj4294967295EEENS1_25partition_config_selectorILNS1_17partition_subalgoE3EjNS0_10empty_typeEbEEZZNS1_14partition_implILS8_3ELb0ES6_jNS0_17counting_iteratorIjlEEPS9_SE_NS0_5tupleIJPjSE_EEENSF_IJSE_SE_EEES9_SG_JZNS1_25segmented_radix_sort_implINS0_14default_configELb1EPK12hip_bfloat16PSL_PKlPlN2at6native12_GLOBAL__N_18offset_tEEE10hipError_tPvRmT1_PNSt15iterator_traitsISZ_E10value_typeET2_T3_PNS10_IS15_E10value_typeET4_jRbjT5_S1B_jjP12ihipStream_tbEUljE_EEESW_SX_SY_S15_S19_S1B_T6_T7_T9_mT8_S1D_bDpT10_ENKUlT_T0_E_clISt17integral_constantIbLb0EES1Q_EEDaS1L_S1M_EUlS1L_E_NS1_11comp_targetILNS1_3genE10ELNS1_11target_archE1200ELNS1_3gpuE4ELNS1_3repE0EEENS1_30default_config_static_selectorELNS0_4arch9wavefront6targetE0EEEvSZ_,@function
_ZN7rocprim17ROCPRIM_400000_NS6detail17trampoline_kernelINS0_13select_configILj256ELj13ELNS0_17block_load_methodE3ELS4_3ELS4_3ELNS0_20block_scan_algorithmE0ELj4294967295EEENS1_25partition_config_selectorILNS1_17partition_subalgoE3EjNS0_10empty_typeEbEEZZNS1_14partition_implILS8_3ELb0ES6_jNS0_17counting_iteratorIjlEEPS9_SE_NS0_5tupleIJPjSE_EEENSF_IJSE_SE_EEES9_SG_JZNS1_25segmented_radix_sort_implINS0_14default_configELb1EPK12hip_bfloat16PSL_PKlPlN2at6native12_GLOBAL__N_18offset_tEEE10hipError_tPvRmT1_PNSt15iterator_traitsISZ_E10value_typeET2_T3_PNS10_IS15_E10value_typeET4_jRbjT5_S1B_jjP12ihipStream_tbEUljE_EEESW_SX_SY_S15_S19_S1B_T6_T7_T9_mT8_S1D_bDpT10_ENKUlT_T0_E_clISt17integral_constantIbLb0EES1Q_EEDaS1L_S1M_EUlS1L_E_NS1_11comp_targetILNS1_3genE10ELNS1_11target_archE1200ELNS1_3gpuE4ELNS1_3repE0EEENS1_30default_config_static_selectorELNS0_4arch9wavefront6targetE0EEEvSZ_: ; @_ZN7rocprim17ROCPRIM_400000_NS6detail17trampoline_kernelINS0_13select_configILj256ELj13ELNS0_17block_load_methodE3ELS4_3ELS4_3ELNS0_20block_scan_algorithmE0ELj4294967295EEENS1_25partition_config_selectorILNS1_17partition_subalgoE3EjNS0_10empty_typeEbEEZZNS1_14partition_implILS8_3ELb0ES6_jNS0_17counting_iteratorIjlEEPS9_SE_NS0_5tupleIJPjSE_EEENSF_IJSE_SE_EEES9_SG_JZNS1_25segmented_radix_sort_implINS0_14default_configELb1EPK12hip_bfloat16PSL_PKlPlN2at6native12_GLOBAL__N_18offset_tEEE10hipError_tPvRmT1_PNSt15iterator_traitsISZ_E10value_typeET2_T3_PNS10_IS15_E10value_typeET4_jRbjT5_S1B_jjP12ihipStream_tbEUljE_EEESW_SX_SY_S15_S19_S1B_T6_T7_T9_mT8_S1D_bDpT10_ENKUlT_T0_E_clISt17integral_constantIbLb0EES1Q_EEDaS1L_S1M_EUlS1L_E_NS1_11comp_targetILNS1_3genE10ELNS1_11target_archE1200ELNS1_3gpuE4ELNS1_3repE0EEENS1_30default_config_static_selectorELNS0_4arch9wavefront6targetE0EEEvSZ_
; %bb.0:
	.section	.rodata,"a",@progbits
	.p2align	6, 0x0
	.amdhsa_kernel _ZN7rocprim17ROCPRIM_400000_NS6detail17trampoline_kernelINS0_13select_configILj256ELj13ELNS0_17block_load_methodE3ELS4_3ELS4_3ELNS0_20block_scan_algorithmE0ELj4294967295EEENS1_25partition_config_selectorILNS1_17partition_subalgoE3EjNS0_10empty_typeEbEEZZNS1_14partition_implILS8_3ELb0ES6_jNS0_17counting_iteratorIjlEEPS9_SE_NS0_5tupleIJPjSE_EEENSF_IJSE_SE_EEES9_SG_JZNS1_25segmented_radix_sort_implINS0_14default_configELb1EPK12hip_bfloat16PSL_PKlPlN2at6native12_GLOBAL__N_18offset_tEEE10hipError_tPvRmT1_PNSt15iterator_traitsISZ_E10value_typeET2_T3_PNS10_IS15_E10value_typeET4_jRbjT5_S1B_jjP12ihipStream_tbEUljE_EEESW_SX_SY_S15_S19_S1B_T6_T7_T9_mT8_S1D_bDpT10_ENKUlT_T0_E_clISt17integral_constantIbLb0EES1Q_EEDaS1L_S1M_EUlS1L_E_NS1_11comp_targetILNS1_3genE10ELNS1_11target_archE1200ELNS1_3gpuE4ELNS1_3repE0EEENS1_30default_config_static_selectorELNS0_4arch9wavefront6targetE0EEEvSZ_
		.amdhsa_group_segment_fixed_size 0
		.amdhsa_private_segment_fixed_size 0
		.amdhsa_kernarg_size 144
		.amdhsa_user_sgpr_count 15
		.amdhsa_user_sgpr_dispatch_ptr 0
		.amdhsa_user_sgpr_queue_ptr 0
		.amdhsa_user_sgpr_kernarg_segment_ptr 1
		.amdhsa_user_sgpr_dispatch_id 0
		.amdhsa_user_sgpr_private_segment_size 0
		.amdhsa_wavefront_size32 1
		.amdhsa_uses_dynamic_stack 0
		.amdhsa_enable_private_segment 0
		.amdhsa_system_sgpr_workgroup_id_x 1
		.amdhsa_system_sgpr_workgroup_id_y 0
		.amdhsa_system_sgpr_workgroup_id_z 0
		.amdhsa_system_sgpr_workgroup_info 0
		.amdhsa_system_vgpr_workitem_id 0
		.amdhsa_next_free_vgpr 1
		.amdhsa_next_free_sgpr 1
		.amdhsa_reserve_vcc 0
		.amdhsa_float_round_mode_32 0
		.amdhsa_float_round_mode_16_64 0
		.amdhsa_float_denorm_mode_32 3
		.amdhsa_float_denorm_mode_16_64 3
		.amdhsa_dx10_clamp 1
		.amdhsa_ieee_mode 1
		.amdhsa_fp16_overflow 0
		.amdhsa_workgroup_processor_mode 1
		.amdhsa_memory_ordered 1
		.amdhsa_forward_progress 0
		.amdhsa_shared_vgpr_count 0
		.amdhsa_exception_fp_ieee_invalid_op 0
		.amdhsa_exception_fp_denorm_src 0
		.amdhsa_exception_fp_ieee_div_zero 0
		.amdhsa_exception_fp_ieee_overflow 0
		.amdhsa_exception_fp_ieee_underflow 0
		.amdhsa_exception_fp_ieee_inexact 0
		.amdhsa_exception_int_div_zero 0
	.end_amdhsa_kernel
	.section	.text._ZN7rocprim17ROCPRIM_400000_NS6detail17trampoline_kernelINS0_13select_configILj256ELj13ELNS0_17block_load_methodE3ELS4_3ELS4_3ELNS0_20block_scan_algorithmE0ELj4294967295EEENS1_25partition_config_selectorILNS1_17partition_subalgoE3EjNS0_10empty_typeEbEEZZNS1_14partition_implILS8_3ELb0ES6_jNS0_17counting_iteratorIjlEEPS9_SE_NS0_5tupleIJPjSE_EEENSF_IJSE_SE_EEES9_SG_JZNS1_25segmented_radix_sort_implINS0_14default_configELb1EPK12hip_bfloat16PSL_PKlPlN2at6native12_GLOBAL__N_18offset_tEEE10hipError_tPvRmT1_PNSt15iterator_traitsISZ_E10value_typeET2_T3_PNS10_IS15_E10value_typeET4_jRbjT5_S1B_jjP12ihipStream_tbEUljE_EEESW_SX_SY_S15_S19_S1B_T6_T7_T9_mT8_S1D_bDpT10_ENKUlT_T0_E_clISt17integral_constantIbLb0EES1Q_EEDaS1L_S1M_EUlS1L_E_NS1_11comp_targetILNS1_3genE10ELNS1_11target_archE1200ELNS1_3gpuE4ELNS1_3repE0EEENS1_30default_config_static_selectorELNS0_4arch9wavefront6targetE0EEEvSZ_,"axG",@progbits,_ZN7rocprim17ROCPRIM_400000_NS6detail17trampoline_kernelINS0_13select_configILj256ELj13ELNS0_17block_load_methodE3ELS4_3ELS4_3ELNS0_20block_scan_algorithmE0ELj4294967295EEENS1_25partition_config_selectorILNS1_17partition_subalgoE3EjNS0_10empty_typeEbEEZZNS1_14partition_implILS8_3ELb0ES6_jNS0_17counting_iteratorIjlEEPS9_SE_NS0_5tupleIJPjSE_EEENSF_IJSE_SE_EEES9_SG_JZNS1_25segmented_radix_sort_implINS0_14default_configELb1EPK12hip_bfloat16PSL_PKlPlN2at6native12_GLOBAL__N_18offset_tEEE10hipError_tPvRmT1_PNSt15iterator_traitsISZ_E10value_typeET2_T3_PNS10_IS15_E10value_typeET4_jRbjT5_S1B_jjP12ihipStream_tbEUljE_EEESW_SX_SY_S15_S19_S1B_T6_T7_T9_mT8_S1D_bDpT10_ENKUlT_T0_E_clISt17integral_constantIbLb0EES1Q_EEDaS1L_S1M_EUlS1L_E_NS1_11comp_targetILNS1_3genE10ELNS1_11target_archE1200ELNS1_3gpuE4ELNS1_3repE0EEENS1_30default_config_static_selectorELNS0_4arch9wavefront6targetE0EEEvSZ_,comdat
.Lfunc_end1919:
	.size	_ZN7rocprim17ROCPRIM_400000_NS6detail17trampoline_kernelINS0_13select_configILj256ELj13ELNS0_17block_load_methodE3ELS4_3ELS4_3ELNS0_20block_scan_algorithmE0ELj4294967295EEENS1_25partition_config_selectorILNS1_17partition_subalgoE3EjNS0_10empty_typeEbEEZZNS1_14partition_implILS8_3ELb0ES6_jNS0_17counting_iteratorIjlEEPS9_SE_NS0_5tupleIJPjSE_EEENSF_IJSE_SE_EEES9_SG_JZNS1_25segmented_radix_sort_implINS0_14default_configELb1EPK12hip_bfloat16PSL_PKlPlN2at6native12_GLOBAL__N_18offset_tEEE10hipError_tPvRmT1_PNSt15iterator_traitsISZ_E10value_typeET2_T3_PNS10_IS15_E10value_typeET4_jRbjT5_S1B_jjP12ihipStream_tbEUljE_EEESW_SX_SY_S15_S19_S1B_T6_T7_T9_mT8_S1D_bDpT10_ENKUlT_T0_E_clISt17integral_constantIbLb0EES1Q_EEDaS1L_S1M_EUlS1L_E_NS1_11comp_targetILNS1_3genE10ELNS1_11target_archE1200ELNS1_3gpuE4ELNS1_3repE0EEENS1_30default_config_static_selectorELNS0_4arch9wavefront6targetE0EEEvSZ_, .Lfunc_end1919-_ZN7rocprim17ROCPRIM_400000_NS6detail17trampoline_kernelINS0_13select_configILj256ELj13ELNS0_17block_load_methodE3ELS4_3ELS4_3ELNS0_20block_scan_algorithmE0ELj4294967295EEENS1_25partition_config_selectorILNS1_17partition_subalgoE3EjNS0_10empty_typeEbEEZZNS1_14partition_implILS8_3ELb0ES6_jNS0_17counting_iteratorIjlEEPS9_SE_NS0_5tupleIJPjSE_EEENSF_IJSE_SE_EEES9_SG_JZNS1_25segmented_radix_sort_implINS0_14default_configELb1EPK12hip_bfloat16PSL_PKlPlN2at6native12_GLOBAL__N_18offset_tEEE10hipError_tPvRmT1_PNSt15iterator_traitsISZ_E10value_typeET2_T3_PNS10_IS15_E10value_typeET4_jRbjT5_S1B_jjP12ihipStream_tbEUljE_EEESW_SX_SY_S15_S19_S1B_T6_T7_T9_mT8_S1D_bDpT10_ENKUlT_T0_E_clISt17integral_constantIbLb0EES1Q_EEDaS1L_S1M_EUlS1L_E_NS1_11comp_targetILNS1_3genE10ELNS1_11target_archE1200ELNS1_3gpuE4ELNS1_3repE0EEENS1_30default_config_static_selectorELNS0_4arch9wavefront6targetE0EEEvSZ_
                                        ; -- End function
	.section	.AMDGPU.csdata,"",@progbits
; Kernel info:
; codeLenInByte = 0
; NumSgprs: 0
; NumVgprs: 0
; ScratchSize: 0
; MemoryBound: 0
; FloatMode: 240
; IeeeMode: 1
; LDSByteSize: 0 bytes/workgroup (compile time only)
; SGPRBlocks: 0
; VGPRBlocks: 0
; NumSGPRsForWavesPerEU: 1
; NumVGPRsForWavesPerEU: 1
; Occupancy: 16
; WaveLimiterHint : 0
; COMPUTE_PGM_RSRC2:SCRATCH_EN: 0
; COMPUTE_PGM_RSRC2:USER_SGPR: 15
; COMPUTE_PGM_RSRC2:TRAP_HANDLER: 0
; COMPUTE_PGM_RSRC2:TGID_X_EN: 1
; COMPUTE_PGM_RSRC2:TGID_Y_EN: 0
; COMPUTE_PGM_RSRC2:TGID_Z_EN: 0
; COMPUTE_PGM_RSRC2:TIDIG_COMP_CNT: 0
	.section	.text._ZN7rocprim17ROCPRIM_400000_NS6detail17trampoline_kernelINS0_13select_configILj256ELj13ELNS0_17block_load_methodE3ELS4_3ELS4_3ELNS0_20block_scan_algorithmE0ELj4294967295EEENS1_25partition_config_selectorILNS1_17partition_subalgoE3EjNS0_10empty_typeEbEEZZNS1_14partition_implILS8_3ELb0ES6_jNS0_17counting_iteratorIjlEEPS9_SE_NS0_5tupleIJPjSE_EEENSF_IJSE_SE_EEES9_SG_JZNS1_25segmented_radix_sort_implINS0_14default_configELb1EPK12hip_bfloat16PSL_PKlPlN2at6native12_GLOBAL__N_18offset_tEEE10hipError_tPvRmT1_PNSt15iterator_traitsISZ_E10value_typeET2_T3_PNS10_IS15_E10value_typeET4_jRbjT5_S1B_jjP12ihipStream_tbEUljE_EEESW_SX_SY_S15_S19_S1B_T6_T7_T9_mT8_S1D_bDpT10_ENKUlT_T0_E_clISt17integral_constantIbLb0EES1Q_EEDaS1L_S1M_EUlS1L_E_NS1_11comp_targetILNS1_3genE9ELNS1_11target_archE1100ELNS1_3gpuE3ELNS1_3repE0EEENS1_30default_config_static_selectorELNS0_4arch9wavefront6targetE0EEEvSZ_,"axG",@progbits,_ZN7rocprim17ROCPRIM_400000_NS6detail17trampoline_kernelINS0_13select_configILj256ELj13ELNS0_17block_load_methodE3ELS4_3ELS4_3ELNS0_20block_scan_algorithmE0ELj4294967295EEENS1_25partition_config_selectorILNS1_17partition_subalgoE3EjNS0_10empty_typeEbEEZZNS1_14partition_implILS8_3ELb0ES6_jNS0_17counting_iteratorIjlEEPS9_SE_NS0_5tupleIJPjSE_EEENSF_IJSE_SE_EEES9_SG_JZNS1_25segmented_radix_sort_implINS0_14default_configELb1EPK12hip_bfloat16PSL_PKlPlN2at6native12_GLOBAL__N_18offset_tEEE10hipError_tPvRmT1_PNSt15iterator_traitsISZ_E10value_typeET2_T3_PNS10_IS15_E10value_typeET4_jRbjT5_S1B_jjP12ihipStream_tbEUljE_EEESW_SX_SY_S15_S19_S1B_T6_T7_T9_mT8_S1D_bDpT10_ENKUlT_T0_E_clISt17integral_constantIbLb0EES1Q_EEDaS1L_S1M_EUlS1L_E_NS1_11comp_targetILNS1_3genE9ELNS1_11target_archE1100ELNS1_3gpuE3ELNS1_3repE0EEENS1_30default_config_static_selectorELNS0_4arch9wavefront6targetE0EEEvSZ_,comdat
	.globl	_ZN7rocprim17ROCPRIM_400000_NS6detail17trampoline_kernelINS0_13select_configILj256ELj13ELNS0_17block_load_methodE3ELS4_3ELS4_3ELNS0_20block_scan_algorithmE0ELj4294967295EEENS1_25partition_config_selectorILNS1_17partition_subalgoE3EjNS0_10empty_typeEbEEZZNS1_14partition_implILS8_3ELb0ES6_jNS0_17counting_iteratorIjlEEPS9_SE_NS0_5tupleIJPjSE_EEENSF_IJSE_SE_EEES9_SG_JZNS1_25segmented_radix_sort_implINS0_14default_configELb1EPK12hip_bfloat16PSL_PKlPlN2at6native12_GLOBAL__N_18offset_tEEE10hipError_tPvRmT1_PNSt15iterator_traitsISZ_E10value_typeET2_T3_PNS10_IS15_E10value_typeET4_jRbjT5_S1B_jjP12ihipStream_tbEUljE_EEESW_SX_SY_S15_S19_S1B_T6_T7_T9_mT8_S1D_bDpT10_ENKUlT_T0_E_clISt17integral_constantIbLb0EES1Q_EEDaS1L_S1M_EUlS1L_E_NS1_11comp_targetILNS1_3genE9ELNS1_11target_archE1100ELNS1_3gpuE3ELNS1_3repE0EEENS1_30default_config_static_selectorELNS0_4arch9wavefront6targetE0EEEvSZ_ ; -- Begin function _ZN7rocprim17ROCPRIM_400000_NS6detail17trampoline_kernelINS0_13select_configILj256ELj13ELNS0_17block_load_methodE3ELS4_3ELS4_3ELNS0_20block_scan_algorithmE0ELj4294967295EEENS1_25partition_config_selectorILNS1_17partition_subalgoE3EjNS0_10empty_typeEbEEZZNS1_14partition_implILS8_3ELb0ES6_jNS0_17counting_iteratorIjlEEPS9_SE_NS0_5tupleIJPjSE_EEENSF_IJSE_SE_EEES9_SG_JZNS1_25segmented_radix_sort_implINS0_14default_configELb1EPK12hip_bfloat16PSL_PKlPlN2at6native12_GLOBAL__N_18offset_tEEE10hipError_tPvRmT1_PNSt15iterator_traitsISZ_E10value_typeET2_T3_PNS10_IS15_E10value_typeET4_jRbjT5_S1B_jjP12ihipStream_tbEUljE_EEESW_SX_SY_S15_S19_S1B_T6_T7_T9_mT8_S1D_bDpT10_ENKUlT_T0_E_clISt17integral_constantIbLb0EES1Q_EEDaS1L_S1M_EUlS1L_E_NS1_11comp_targetILNS1_3genE9ELNS1_11target_archE1100ELNS1_3gpuE3ELNS1_3repE0EEENS1_30default_config_static_selectorELNS0_4arch9wavefront6targetE0EEEvSZ_
	.p2align	8
	.type	_ZN7rocprim17ROCPRIM_400000_NS6detail17trampoline_kernelINS0_13select_configILj256ELj13ELNS0_17block_load_methodE3ELS4_3ELS4_3ELNS0_20block_scan_algorithmE0ELj4294967295EEENS1_25partition_config_selectorILNS1_17partition_subalgoE3EjNS0_10empty_typeEbEEZZNS1_14partition_implILS8_3ELb0ES6_jNS0_17counting_iteratorIjlEEPS9_SE_NS0_5tupleIJPjSE_EEENSF_IJSE_SE_EEES9_SG_JZNS1_25segmented_radix_sort_implINS0_14default_configELb1EPK12hip_bfloat16PSL_PKlPlN2at6native12_GLOBAL__N_18offset_tEEE10hipError_tPvRmT1_PNSt15iterator_traitsISZ_E10value_typeET2_T3_PNS10_IS15_E10value_typeET4_jRbjT5_S1B_jjP12ihipStream_tbEUljE_EEESW_SX_SY_S15_S19_S1B_T6_T7_T9_mT8_S1D_bDpT10_ENKUlT_T0_E_clISt17integral_constantIbLb0EES1Q_EEDaS1L_S1M_EUlS1L_E_NS1_11comp_targetILNS1_3genE9ELNS1_11target_archE1100ELNS1_3gpuE3ELNS1_3repE0EEENS1_30default_config_static_selectorELNS0_4arch9wavefront6targetE0EEEvSZ_,@function
_ZN7rocprim17ROCPRIM_400000_NS6detail17trampoline_kernelINS0_13select_configILj256ELj13ELNS0_17block_load_methodE3ELS4_3ELS4_3ELNS0_20block_scan_algorithmE0ELj4294967295EEENS1_25partition_config_selectorILNS1_17partition_subalgoE3EjNS0_10empty_typeEbEEZZNS1_14partition_implILS8_3ELb0ES6_jNS0_17counting_iteratorIjlEEPS9_SE_NS0_5tupleIJPjSE_EEENSF_IJSE_SE_EEES9_SG_JZNS1_25segmented_radix_sort_implINS0_14default_configELb1EPK12hip_bfloat16PSL_PKlPlN2at6native12_GLOBAL__N_18offset_tEEE10hipError_tPvRmT1_PNSt15iterator_traitsISZ_E10value_typeET2_T3_PNS10_IS15_E10value_typeET4_jRbjT5_S1B_jjP12ihipStream_tbEUljE_EEESW_SX_SY_S15_S19_S1B_T6_T7_T9_mT8_S1D_bDpT10_ENKUlT_T0_E_clISt17integral_constantIbLb0EES1Q_EEDaS1L_S1M_EUlS1L_E_NS1_11comp_targetILNS1_3genE9ELNS1_11target_archE1100ELNS1_3gpuE3ELNS1_3repE0EEENS1_30default_config_static_selectorELNS0_4arch9wavefront6targetE0EEEvSZ_: ; @_ZN7rocprim17ROCPRIM_400000_NS6detail17trampoline_kernelINS0_13select_configILj256ELj13ELNS0_17block_load_methodE3ELS4_3ELS4_3ELNS0_20block_scan_algorithmE0ELj4294967295EEENS1_25partition_config_selectorILNS1_17partition_subalgoE3EjNS0_10empty_typeEbEEZZNS1_14partition_implILS8_3ELb0ES6_jNS0_17counting_iteratorIjlEEPS9_SE_NS0_5tupleIJPjSE_EEENSF_IJSE_SE_EEES9_SG_JZNS1_25segmented_radix_sort_implINS0_14default_configELb1EPK12hip_bfloat16PSL_PKlPlN2at6native12_GLOBAL__N_18offset_tEEE10hipError_tPvRmT1_PNSt15iterator_traitsISZ_E10value_typeET2_T3_PNS10_IS15_E10value_typeET4_jRbjT5_S1B_jjP12ihipStream_tbEUljE_EEESW_SX_SY_S15_S19_S1B_T6_T7_T9_mT8_S1D_bDpT10_ENKUlT_T0_E_clISt17integral_constantIbLb0EES1Q_EEDaS1L_S1M_EUlS1L_E_NS1_11comp_targetILNS1_3genE9ELNS1_11target_archE1100ELNS1_3gpuE3ELNS1_3repE0EEENS1_30default_config_static_selectorELNS0_4arch9wavefront6targetE0EEEvSZ_
; %bb.0:
	s_clause 0x5
	s_load_b32 s2, s[0:1], 0x70
	s_load_b64 s[16:17], s[0:1], 0x10
	s_load_b64 s[12:13], s[0:1], 0x58
	s_load_b32 s18, s[0:1], 0x8
	s_load_b128 s[8:11], s[0:1], 0x48
	s_load_b128 s[4:7], s[0:1], 0x78
	s_mul_i32 s23, s15, 0xd00
	v_lshlrev_b32_e32 v30, 2, v0
	s_waitcnt lgkmcnt(0)
	s_mul_i32 s20, s2, 0xd00
	s_add_i32 s19, s2, -1
	s_add_u32 s2, s16, s20
	s_addc_u32 s3, s17, 0
	s_cmp_eq_u32 s15, s19
	v_cmp_lt_u64_e64 s3, s[2:3], s[12:13]
	s_cselect_b32 s14, -1, 0
	s_cmp_lg_u32 s15, s19
	s_cselect_b32 s21, -1, 0
	s_add_i32 s2, s18, s23
	s_delay_alu instid0(VALU_DEP_1)
	s_or_b32 s3, s21, s3
	s_add_i32 s18, s2, s16
	s_load_b32 s2, s[0:1], 0x88
	v_add_nc_u32_e32 v1, s18, v0
	s_load_b64 s[18:19], s[10:11], 0x0
	s_and_b32 vcc_lo, exec_lo, s3
	s_mov_b32 s10, -1
	s_delay_alu instid0(VALU_DEP_1)
	v_add_nc_u32_e32 v2, 0x100, v1
	v_add_nc_u32_e32 v3, 0x200, v1
	;; [unrolled: 1-line block ×12, first 2 shown]
	s_cbranch_vccz .LBB1920_2
; %bb.1:
	ds_store_2addr_stride64_b32 v30, v1, v2 offset1:4
	ds_store_2addr_stride64_b32 v30, v3, v4 offset0:8 offset1:12
	ds_store_2addr_stride64_b32 v30, v5, v6 offset0:16 offset1:20
	;; [unrolled: 1-line block ×5, first 2 shown]
	ds_store_b32 v30, v13 offset:12288
	s_waitcnt lgkmcnt(0)
	s_mov_b32 s10, 0
	s_barrier
.LBB1920_2:
	s_and_not1_b32 vcc_lo, exec_lo, s10
	s_add_i32 s20, s20, s16
	s_cbranch_vccnz .LBB1920_4
; %bb.3:
	ds_store_2addr_stride64_b32 v30, v1, v2 offset1:4
	ds_store_2addr_stride64_b32 v30, v3, v4 offset0:8 offset1:12
	ds_store_2addr_stride64_b32 v30, v5, v6 offset0:16 offset1:20
	;; [unrolled: 1-line block ×5, first 2 shown]
	ds_store_b32 v30, v13 offset:12288
	s_waitcnt lgkmcnt(0)
	s_barrier
.LBB1920_4:
	v_mul_u32_u24_e32 v33, 13, v0
	s_waitcnt lgkmcnt(0)
	buffer_gl0_inv
	v_cndmask_b32_e64 v31, 0, 1, s3
	s_sub_i32 s22, s12, s20
	s_and_not1_b32 vcc_lo, exec_lo, s3
	v_lshlrev_b32_e32 v1, 2, v33
	ds_load_2addr_b32 v[28:29], v1 offset1:1
	ds_load_2addr_b32 v[26:27], v1 offset0:2 offset1:3
	ds_load_2addr_b32 v[24:25], v1 offset0:4 offset1:5
	;; [unrolled: 1-line block ×5, first 2 shown]
	ds_load_b32 v32, v1 offset:48
	s_waitcnt lgkmcnt(0)
	s_barrier
	buffer_gl0_inv
	s_cbranch_vccnz .LBB1920_6
; %bb.5:
	v_add_nc_u32_e32 v1, s5, v28
	v_add_nc_u32_e32 v2, s7, v28
	;; [unrolled: 1-line block ×5, first 2 shown]
	v_mul_lo_u32 v1, v1, s4
	v_mul_lo_u32 v2, v2, s6
	;; [unrolled: 1-line block ×4, first 2 shown]
	v_add_nc_u32_e32 v6, s7, v26
	v_add_nc_u32_e32 v7, s5, v27
	;; [unrolled: 1-line block ×3, first 2 shown]
	v_mul_lo_u32 v5, v5, s4
	v_add_nc_u32_e32 v9, s5, v22
	v_sub_nc_u32_e32 v1, v1, v2
	v_mul_lo_u32 v2, v6, s6
	v_sub_nc_u32_e32 v3, v3, v4
	v_mul_lo_u32 v4, v7, s4
	v_mul_lo_u32 v6, v8, s6
	v_add_nc_u32_e32 v7, s5, v24
	v_cmp_lt_u32_e32 vcc_lo, s2, v1
	v_add_nc_u32_e32 v8, s5, v25
	v_add_nc_u32_e32 v10, s7, v22
	v_sub_nc_u32_e32 v2, v5, v2
	v_add_nc_u32_e32 v5, s7, v24
	v_cndmask_b32_e64 v1, 0, 1, vcc_lo
	v_sub_nc_u32_e32 v4, v4, v6
	v_mul_lo_u32 v6, v7, s4
	v_add_nc_u32_e32 v7, s7, v25
	v_cmp_lt_u32_e32 vcc_lo, s2, v3
	v_mul_lo_u32 v5, v5, s6
	v_mul_lo_u32 v8, v8, s4
	;; [unrolled: 1-line block ×4, first 2 shown]
	v_cndmask_b32_e64 v3, 0, 1, vcc_lo
	v_cmp_lt_u32_e32 vcc_lo, s2, v2
	v_mul_lo_u32 v10, v10, s6
	v_add_nc_u32_e32 v11, s5, v20
	v_sub_nc_u32_e32 v5, v6, v5
	v_add_nc_u32_e32 v12, s7, v20
	v_cndmask_b32_e64 v2, 0, 1, vcc_lo
	v_sub_nc_u32_e32 v6, v8, v7
	v_add_nc_u32_e32 v7, s5, v23
	v_add_nc_u32_e32 v8, s7, v23
	v_cmp_lt_u32_e32 vcc_lo, s2, v4
	v_sub_nc_u32_e32 v9, v9, v10
	v_mul_lo_u32 v10, v11, s4
	v_mul_lo_u32 v7, v7, s4
	v_mul_lo_u32 v8, v8, s6
	v_mul_lo_u32 v11, v12, s6
	v_cndmask_b32_e64 v4, 0, 1, vcc_lo
	v_cmp_lt_u32_e32 vcc_lo, s2, v5
	v_add_nc_u32_e32 v12, s5, v21
	v_add_nc_u32_e32 v13, s7, v18
	;; [unrolled: 1-line block ×4, first 2 shown]
	v_cndmask_b32_e64 v5, 0, 1, vcc_lo
	v_cmp_lt_u32_e32 vcc_lo, s2, v6
	v_sub_nc_u32_e32 v7, v7, v8
	v_sub_nc_u32_e32 v8, v10, v11
	v_add_nc_u32_e32 v11, s7, v21
	v_mul_lo_u32 v10, v12, s4
	v_cndmask_b32_e64 v6, 0, 1, vcc_lo
	v_cmp_lt_u32_e32 vcc_lo, s2, v9
	v_add_nc_u32_e32 v12, s5, v18
	v_mul_lo_u32 v11, v11, s6
	v_mul_lo_u32 v13, v13, s6
	;; [unrolled: 1-line block ×3, first 2 shown]
	v_cndmask_b32_e64 v9, 0, 1, vcc_lo
	v_cmp_lt_u32_e32 vcc_lo, s2, v7
	v_mul_lo_u32 v12, v12, s4
	v_mul_lo_u32 v15, v15, s6
	v_lshlrev_b16 v3, 8, v3
	v_sub_nc_u32_e32 v10, v10, v11
	v_cndmask_b32_e64 v7, 0, 1, vcc_lo
	v_cmp_lt_u32_e32 vcc_lo, s2, v8
	v_add_nc_u32_e32 v11, s5, v32
	v_or_b32_e32 v1, v1, v3
	v_sub_nc_u32_e32 v12, v12, v13
	v_sub_nc_u32_e32 v13, v14, v15
	v_cndmask_b32_e64 v8, 0, 1, vcc_lo
	v_cmp_lt_u32_e32 vcc_lo, s2, v10
	v_add_nc_u32_e32 v16, s7, v32
	v_mul_lo_u32 v11, v11, s4
	v_lshlrev_b16 v4, 8, v4
	v_lshlrev_b16 v6, 8, v6
	v_cndmask_b32_e64 v10, 0, 1, vcc_lo
	v_cmp_lt_u32_e32 vcc_lo, s2, v12
	v_mul_lo_u32 v14, v16, s6
	v_lshlrev_b16 v7, 8, v7
	v_or_b32_e32 v2, v2, v4
	v_lshlrev_b16 v10, 8, v10
	v_cndmask_b32_e64 v3, 0, 1, vcc_lo
	v_cmp_lt_u32_e32 vcc_lo, s2, v13
	v_or_b32_e32 v4, v5, v6
	v_or_b32_e32 v5, v9, v7
	v_sub_nc_u32_e32 v11, v11, v14
	v_or_b32_e32 v6, v8, v10
	v_cndmask_b32_e64 v12, 0, 1, vcc_lo
	v_and_b32_e32 v1, 0xffff, v1
	v_lshlrev_b32_e32 v2, 16, v2
	v_and_b32_e32 v4, 0xffff, v4
	v_lshlrev_b32_e32 v5, 16, v5
	v_lshlrev_b16 v12, 8, v12
	v_and_b32_e32 v6, 0xffff, v6
	v_cmp_lt_u32_e32 vcc_lo, s2, v11
	v_or_b32_e32 v39, v1, v2
	v_or_b32_e32 v37, v4, v5
	;; [unrolled: 1-line block ×3, first 2 shown]
	s_mov_b32 s3, 0
	v_cndmask_b32_e64 v34, 0, 1, vcc_lo
	s_delay_alu instid0(VALU_DEP_2) | instskip(NEXT) | instid1(VALU_DEP_1)
	v_lshlrev_b32_e32 v3, 16, v3
	v_or_b32_e32 v35, v6, v3
	s_branch .LBB1920_7
.LBB1920_6:
	s_mov_b32 s3, -1
                                        ; implicit-def: $vgpr34
                                        ; implicit-def: $vgpr35
                                        ; implicit-def: $vgpr37
                                        ; implicit-def: $vgpr39
.LBB1920_7:
	s_clause 0x1
	s_load_b64 s[10:11], s[0:1], 0x28
	s_load_b64 s[20:21], s[0:1], 0x68
	s_and_not1_b32 vcc_lo, exec_lo, s3
	s_addk_i32 s22, 0xd00
	s_cbranch_vccnz .LBB1920_35
; %bb.8:
	v_dual_mov_b32 v2, 0 :: v_dual_mov_b32 v1, 0
	s_mov_b32 s0, exec_lo
	v_cmpx_gt_u32_e64 s22, v33
; %bb.9:
	v_add_nc_u32_e32 v1, s5, v28
	v_add_nc_u32_e32 v3, s7, v28
	s_delay_alu instid0(VALU_DEP_2) | instskip(NEXT) | instid1(VALU_DEP_2)
	v_mul_lo_u32 v1, v1, s4
	v_mul_lo_u32 v3, v3, s6
	s_delay_alu instid0(VALU_DEP_1) | instskip(NEXT) | instid1(VALU_DEP_1)
	v_sub_nc_u32_e32 v1, v1, v3
	v_cmp_lt_u32_e32 vcc_lo, s2, v1
	v_cndmask_b32_e64 v1, 0, 1, vcc_lo
; %bb.10:
	s_or_b32 exec_lo, exec_lo, s0
	v_add_nc_u32_e32 v3, 1, v33
	s_mov_b32 s0, exec_lo
	s_delay_alu instid0(VALU_DEP_1)
	v_cmpx_gt_u32_e64 s22, v3
; %bb.11:
	v_add_nc_u32_e32 v2, s5, v29
	v_add_nc_u32_e32 v3, s7, v29
	s_delay_alu instid0(VALU_DEP_2) | instskip(NEXT) | instid1(VALU_DEP_2)
	v_mul_lo_u32 v2, v2, s4
	v_mul_lo_u32 v3, v3, s6
	s_delay_alu instid0(VALU_DEP_1) | instskip(NEXT) | instid1(VALU_DEP_1)
	v_sub_nc_u32_e32 v2, v2, v3
	v_cmp_lt_u32_e32 vcc_lo, s2, v2
	v_cndmask_b32_e64 v2, 0, 1, vcc_lo
; %bb.12:
	s_or_b32 exec_lo, exec_lo, s0
	v_dual_mov_b32 v4, 0 :: v_dual_add_nc_u32 v3, 2, v33
	s_delay_alu instid0(VALU_DEP_1)
	v_cmp_gt_u32_e32 vcc_lo, s22, v3
	v_mov_b32_e32 v3, 0
	s_and_saveexec_b32 s0, vcc_lo
; %bb.13:
	v_add_nc_u32_e32 v3, s5, v26
	v_add_nc_u32_e32 v5, s7, v26
	s_delay_alu instid0(VALU_DEP_2) | instskip(NEXT) | instid1(VALU_DEP_2)
	v_mul_lo_u32 v3, v3, s4
	v_mul_lo_u32 v5, v5, s6
	s_delay_alu instid0(VALU_DEP_1) | instskip(NEXT) | instid1(VALU_DEP_1)
	v_sub_nc_u32_e32 v3, v3, v5
	v_cmp_lt_u32_e32 vcc_lo, s2, v3
	v_cndmask_b32_e64 v3, 0, 1, vcc_lo
; %bb.14:
	s_or_b32 exec_lo, exec_lo, s0
	v_add_nc_u32_e32 v5, 3, v33
	s_mov_b32 s0, exec_lo
	s_delay_alu instid0(VALU_DEP_1)
	v_cmpx_gt_u32_e64 s22, v5
; %bb.15:
	v_add_nc_u32_e32 v4, s5, v27
	v_add_nc_u32_e32 v5, s7, v27
	s_delay_alu instid0(VALU_DEP_2) | instskip(NEXT) | instid1(VALU_DEP_2)
	v_mul_lo_u32 v4, v4, s4
	v_mul_lo_u32 v5, v5, s6
	s_delay_alu instid0(VALU_DEP_1) | instskip(NEXT) | instid1(VALU_DEP_1)
	v_sub_nc_u32_e32 v4, v4, v5
	v_cmp_lt_u32_e32 vcc_lo, s2, v4
	v_cndmask_b32_e64 v4, 0, 1, vcc_lo
; %bb.16:
	s_or_b32 exec_lo, exec_lo, s0
	v_dual_mov_b32 v6, 0 :: v_dual_add_nc_u32 v5, 4, v33
	s_delay_alu instid0(VALU_DEP_1)
	v_cmp_gt_u32_e32 vcc_lo, s22, v5
	v_mov_b32_e32 v5, 0
	s_and_saveexec_b32 s0, vcc_lo
	;; [unrolled: 33-line block ×5, first 2 shown]
; %bb.29:
	v_add_nc_u32_e32 v11, s5, v18
	v_add_nc_u32_e32 v13, s7, v18
	s_delay_alu instid0(VALU_DEP_2) | instskip(NEXT) | instid1(VALU_DEP_2)
	v_mul_lo_u32 v11, v11, s4
	v_mul_lo_u32 v13, v13, s6
	s_delay_alu instid0(VALU_DEP_1) | instskip(NEXT) | instid1(VALU_DEP_1)
	v_sub_nc_u32_e32 v11, v11, v13
	v_cmp_lt_u32_e32 vcc_lo, s2, v11
	v_cndmask_b32_e64 v11, 0, 1, vcc_lo
; %bb.30:
	s_or_b32 exec_lo, exec_lo, s0
	v_add_nc_u32_e32 v13, 11, v33
	s_mov_b32 s0, exec_lo
	s_delay_alu instid0(VALU_DEP_1)
	v_cmpx_gt_u32_e64 s22, v13
; %bb.31:
	v_add_nc_u32_e32 v12, s5, v19
	v_add_nc_u32_e32 v13, s7, v19
	s_delay_alu instid0(VALU_DEP_2) | instskip(NEXT) | instid1(VALU_DEP_2)
	v_mul_lo_u32 v12, v12, s4
	v_mul_lo_u32 v13, v13, s6
	s_delay_alu instid0(VALU_DEP_1) | instskip(NEXT) | instid1(VALU_DEP_1)
	v_sub_nc_u32_e32 v12, v12, v13
	v_cmp_lt_u32_e32 vcc_lo, s2, v12
	v_cndmask_b32_e64 v12, 0, 1, vcc_lo
; %bb.32:
	s_or_b32 exec_lo, exec_lo, s0
	v_dual_mov_b32 v34, 0 :: v_dual_add_nc_u32 v13, 12, v33
	s_mov_b32 s0, exec_lo
	s_delay_alu instid0(VALU_DEP_1)
	v_cmpx_gt_u32_e64 s22, v13
; %bb.33:
	v_add_nc_u32_e32 v13, s5, v32
	v_add_nc_u32_e32 v14, s7, v32
	s_delay_alu instid0(VALU_DEP_2) | instskip(NEXT) | instid1(VALU_DEP_2)
	v_mul_lo_u32 v13, v13, s4
	v_mul_lo_u32 v14, v14, s6
	s_delay_alu instid0(VALU_DEP_1) | instskip(NEXT) | instid1(VALU_DEP_1)
	v_sub_nc_u32_e32 v13, v13, v14
	v_cmp_lt_u32_e32 vcc_lo, s2, v13
	v_cndmask_b32_e64 v34, 0, 1, vcc_lo
; %bb.34:
	s_or_b32 exec_lo, exec_lo, s0
	v_lshlrev_b16 v2, 8, v2
	v_lshlrev_b16 v4, 8, v4
	;; [unrolled: 1-line block ×5, first 2 shown]
	v_or_b32_e32 v1, v1, v2
	v_lshlrev_b16 v2, 8, v12
	v_or_b32_e32 v3, v3, v4
	v_or_b32_e32 v4, v5, v6
	;; [unrolled: 1-line block ×5, first 2 shown]
	v_and_b32_e32 v1, 0xffff, v1
	v_lshlrev_b32_e32 v3, 16, v3
	v_and_b32_e32 v4, 0xffff, v4
	v_lshlrev_b32_e32 v5, 16, v5
	;; [unrolled: 2-line block ×3, first 2 shown]
	v_or_b32_e32 v39, v1, v3
	s_delay_alu instid0(VALU_DEP_4) | instskip(NEXT) | instid1(VALU_DEP_3)
	v_or_b32_e32 v37, v4, v5
	v_or_b32_e32 v35, v6, v2
.LBB1920_35:
	s_delay_alu instid0(VALU_DEP_3)
	v_and_b32_e32 v41, 0xff, v39
	v_bfe_u32 v42, v39, 8, 8
	v_bfe_u32 v43, v39, 16, 8
	v_lshrrev_b32_e32 v40, 24, v39
	v_and_b32_e32 v44, 0xff, v37
	v_bfe_u32 v45, v37, 8, 8
	v_bfe_u32 v46, v37, 16, 8
	v_add3_u32 v1, v42, v41, v43
	v_lshrrev_b32_e32 v38, 24, v37
	v_and_b32_e32 v47, 0xff, v35
	v_bfe_u32 v48, v35, 8, 8
	v_mbcnt_lo_u32_b32 v50, -1, 0
	v_add3_u32 v1, v1, v40, v44
	v_bfe_u32 v49, v35, 16, 8
	v_lshrrev_b32_e32 v36, 24, v35
	v_and_b32_e32 v2, 0xff, v34
	v_and_b32_e32 v3, 15, v50
	v_add3_u32 v1, v1, v45, v46
	v_or_b32_e32 v4, 31, v0
	v_and_b32_e32 v5, 16, v50
	v_lshrrev_b32_e32 v51, 5, v0
	v_cmp_eq_u32_e64 s5, 0, v3
	v_add3_u32 v1, v1, v38, v47
	v_cmp_lt_u32_e64 s4, 1, v3
	v_cmp_lt_u32_e64 s3, 3, v3
	;; [unrolled: 1-line block ×3, first 2 shown]
	v_cmp_eq_u32_e64 s1, 0, v5
	v_add3_u32 v1, v1, v48, v49
	v_cmp_eq_u32_e64 s0, v4, v0
	s_cmp_lg_u32 s15, 0
	s_mov_b32 s6, -1
	s_delay_alu instid0(VALU_DEP_2)
	v_add3_u32 v52, v1, v36, v2
	s_cbranch_scc0 .LBB1920_61
; %bb.36:
	s_delay_alu instid0(VALU_DEP_1) | instskip(NEXT) | instid1(VALU_DEP_1)
	v_mov_b32_dpp v1, v52 row_shr:1 row_mask:0xf bank_mask:0xf
	v_cndmask_b32_e64 v1, v1, 0, s5
	s_delay_alu instid0(VALU_DEP_1) | instskip(NEXT) | instid1(VALU_DEP_1)
	v_add_nc_u32_e32 v1, v1, v52
	v_mov_b32_dpp v2, v1 row_shr:2 row_mask:0xf bank_mask:0xf
	s_delay_alu instid0(VALU_DEP_1) | instskip(NEXT) | instid1(VALU_DEP_1)
	v_cndmask_b32_e64 v2, 0, v2, s4
	v_add_nc_u32_e32 v1, v1, v2
	s_delay_alu instid0(VALU_DEP_1) | instskip(NEXT) | instid1(VALU_DEP_1)
	v_mov_b32_dpp v2, v1 row_shr:4 row_mask:0xf bank_mask:0xf
	v_cndmask_b32_e64 v2, 0, v2, s3
	s_delay_alu instid0(VALU_DEP_1) | instskip(NEXT) | instid1(VALU_DEP_1)
	v_add_nc_u32_e32 v1, v1, v2
	v_mov_b32_dpp v2, v1 row_shr:8 row_mask:0xf bank_mask:0xf
	s_delay_alu instid0(VALU_DEP_1) | instskip(NEXT) | instid1(VALU_DEP_1)
	v_cndmask_b32_e64 v2, 0, v2, s2
	v_add_nc_u32_e32 v1, v1, v2
	ds_swizzle_b32 v2, v1 offset:swizzle(BROADCAST,32,15)
	s_waitcnt lgkmcnt(0)
	v_cndmask_b32_e64 v2, v2, 0, s1
	s_delay_alu instid0(VALU_DEP_1)
	v_add_nc_u32_e32 v1, v1, v2
	s_and_saveexec_b32 s6, s0
	s_cbranch_execz .LBB1920_38
; %bb.37:
	v_lshlrev_b32_e32 v2, 2, v51
	ds_store_b32 v2, v1
.LBB1920_38:
	s_or_b32 exec_lo, exec_lo, s6
	s_delay_alu instid0(SALU_CYCLE_1)
	s_mov_b32 s6, exec_lo
	s_waitcnt lgkmcnt(0)
	s_barrier
	buffer_gl0_inv
	v_cmpx_gt_u32_e32 8, v0
	s_cbranch_execz .LBB1920_40
; %bb.39:
	ds_load_b32 v2, v30
	s_waitcnt lgkmcnt(0)
	v_mov_b32_dpp v4, v2 row_shr:1 row_mask:0xf bank_mask:0xf
	v_and_b32_e32 v3, 7, v50
	s_delay_alu instid0(VALU_DEP_1) | instskip(NEXT) | instid1(VALU_DEP_3)
	v_cmp_ne_u32_e32 vcc_lo, 0, v3
	v_cndmask_b32_e32 v4, 0, v4, vcc_lo
	v_cmp_lt_u32_e32 vcc_lo, 1, v3
	s_delay_alu instid0(VALU_DEP_2) | instskip(NEXT) | instid1(VALU_DEP_1)
	v_add_nc_u32_e32 v2, v4, v2
	v_mov_b32_dpp v4, v2 row_shr:2 row_mask:0xf bank_mask:0xf
	s_delay_alu instid0(VALU_DEP_1) | instskip(SKIP_1) | instid1(VALU_DEP_2)
	v_cndmask_b32_e32 v4, 0, v4, vcc_lo
	v_cmp_lt_u32_e32 vcc_lo, 3, v3
	v_add_nc_u32_e32 v2, v2, v4
	s_delay_alu instid0(VALU_DEP_1) | instskip(NEXT) | instid1(VALU_DEP_1)
	v_mov_b32_dpp v4, v2 row_shr:4 row_mask:0xf bank_mask:0xf
	v_cndmask_b32_e32 v3, 0, v4, vcc_lo
	s_delay_alu instid0(VALU_DEP_1)
	v_add_nc_u32_e32 v2, v2, v3
	ds_store_b32 v30, v2
.LBB1920_40:
	s_or_b32 exec_lo, exec_lo, s6
	v_cmp_gt_u32_e32 vcc_lo, 32, v0
	s_mov_b32 s7, exec_lo
	s_waitcnt lgkmcnt(0)
	s_barrier
	buffer_gl0_inv
                                        ; implicit-def: $vgpr8
	v_cmpx_lt_u32_e32 31, v0
	s_cbranch_execz .LBB1920_42
; %bb.41:
	v_lshl_add_u32 v2, v51, 2, -4
	ds_load_b32 v8, v2
	s_waitcnt lgkmcnt(0)
	v_add_nc_u32_e32 v1, v8, v1
.LBB1920_42:
	s_or_b32 exec_lo, exec_lo, s7
	v_add_nc_u32_e32 v2, -1, v50
	s_delay_alu instid0(VALU_DEP_1) | instskip(NEXT) | instid1(VALU_DEP_1)
	v_cmp_gt_i32_e64 s6, 0, v2
	v_cndmask_b32_e64 v2, v2, v50, s6
	v_cmp_eq_u32_e64 s6, 0, v50
	s_delay_alu instid0(VALU_DEP_2)
	v_lshlrev_b32_e32 v2, 2, v2
	ds_bpermute_b32 v9, v2, v1
	s_and_saveexec_b32 s7, vcc_lo
	s_cbranch_execz .LBB1920_60
; %bb.43:
	v_mov_b32_e32 v4, 0
	ds_load_b32 v1, v4 offset:28
	s_and_saveexec_b32 s24, s6
	s_cbranch_execz .LBB1920_45
; %bb.44:
	s_add_i32 s26, s15, 32
	s_mov_b32 s27, 0
	v_mov_b32_e32 v2, 1
	s_lshl_b64 s[26:27], s[26:27], 3
	s_delay_alu instid0(SALU_CYCLE_1)
	s_add_u32 s26, s20, s26
	s_addc_u32 s27, s21, s27
	s_waitcnt lgkmcnt(0)
	global_store_b64 v4, v[1:2], s[26:27]
.LBB1920_45:
	s_or_b32 exec_lo, exec_lo, s24
	v_xad_u32 v2, v50, -1, s15
	s_mov_b32 s25, 0
	s_mov_b32 s24, exec_lo
	s_delay_alu instid0(VALU_DEP_1) | instskip(NEXT) | instid1(VALU_DEP_1)
	v_add_nc_u32_e32 v3, 32, v2
	v_lshlrev_b64 v[3:4], 3, v[3:4]
	s_delay_alu instid0(VALU_DEP_1) | instskip(NEXT) | instid1(VALU_DEP_2)
	v_add_co_u32 v6, vcc_lo, s20, v3
	v_add_co_ci_u32_e32 v7, vcc_lo, s21, v4, vcc_lo
	global_load_b64 v[4:5], v[6:7], off glc
	s_waitcnt vmcnt(0)
	v_and_b32_e32 v3, 0xff, v5
	s_delay_alu instid0(VALU_DEP_1)
	v_cmpx_eq_u16_e32 0, v3
	s_cbranch_execz .LBB1920_48
.LBB1920_46:                            ; =>This Inner Loop Header: Depth=1
	global_load_b64 v[4:5], v[6:7], off glc
	s_waitcnt vmcnt(0)
	v_and_b32_e32 v3, 0xff, v5
	s_delay_alu instid0(VALU_DEP_1) | instskip(SKIP_1) | instid1(SALU_CYCLE_1)
	v_cmp_ne_u16_e32 vcc_lo, 0, v3
	s_or_b32 s25, vcc_lo, s25
	s_and_not1_b32 exec_lo, exec_lo, s25
	s_cbranch_execnz .LBB1920_46
; %bb.47:
	s_or_b32 exec_lo, exec_lo, s25
.LBB1920_48:
	s_delay_alu instid0(SALU_CYCLE_1)
	s_or_b32 exec_lo, exec_lo, s24
	v_cmp_ne_u32_e32 vcc_lo, 31, v50
	v_lshlrev_b32_e64 v11, v50, -1
	v_add_nc_u32_e32 v13, 2, v50
	v_add_nc_u32_e32 v16, 4, v50
	;; [unrolled: 1-line block ×3, first 2 shown]
	v_add_co_ci_u32_e32 v3, vcc_lo, 0, v50, vcc_lo
	v_add_nc_u32_e32 v55, 16, v50
	s_delay_alu instid0(VALU_DEP_2) | instskip(SKIP_2) | instid1(VALU_DEP_1)
	v_lshlrev_b32_e32 v10, 2, v3
	ds_bpermute_b32 v6, v10, v4
	v_and_b32_e32 v3, 0xff, v5
	v_cmp_eq_u16_e32 vcc_lo, 2, v3
	v_and_or_b32 v3, vcc_lo, v11, 0x80000000
	v_cmp_gt_u32_e32 vcc_lo, 30, v50
	s_delay_alu instid0(VALU_DEP_2) | instskip(SKIP_1) | instid1(VALU_DEP_2)
	v_ctz_i32_b32_e32 v3, v3
	v_cndmask_b32_e64 v7, 0, 1, vcc_lo
	v_cmp_lt_u32_e32 vcc_lo, v50, v3
	s_waitcnt lgkmcnt(0)
	s_delay_alu instid0(VALU_DEP_2) | instskip(NEXT) | instid1(VALU_DEP_1)
	v_dual_cndmask_b32 v6, 0, v6 :: v_dual_lshlrev_b32 v7, 1, v7
	v_add_lshl_u32 v12, v7, v50, 2
	v_cmp_gt_u32_e32 vcc_lo, 28, v50
	s_delay_alu instid0(VALU_DEP_3) | instskip(SKIP_4) | instid1(VALU_DEP_1)
	v_add_nc_u32_e32 v4, v6, v4
	v_cndmask_b32_e64 v7, 0, 1, vcc_lo
	v_cmp_le_u32_e32 vcc_lo, v13, v3
	ds_bpermute_b32 v6, v12, v4
	v_lshlrev_b32_e32 v7, 2, v7
	v_add_lshl_u32 v14, v7, v50, 2
	s_waitcnt lgkmcnt(0)
	v_cndmask_b32_e32 v6, 0, v6, vcc_lo
	v_cmp_gt_u32_e32 vcc_lo, 24, v50
	s_delay_alu instid0(VALU_DEP_2) | instskip(SKIP_4) | instid1(VALU_DEP_1)
	v_add_nc_u32_e32 v4, v4, v6
	v_cndmask_b32_e64 v7, 0, 1, vcc_lo
	v_cmp_le_u32_e32 vcc_lo, v16, v3
	ds_bpermute_b32 v6, v14, v4
	v_lshlrev_b32_e32 v7, 3, v7
	v_add_lshl_u32 v17, v7, v50, 2
	s_waitcnt lgkmcnt(0)
	v_cndmask_b32_e32 v6, 0, v6, vcc_lo
	v_cmp_gt_u32_e32 vcc_lo, 16, v50
	s_delay_alu instid0(VALU_DEP_2) | instskip(SKIP_4) | instid1(VALU_DEP_1)
	v_add_nc_u32_e32 v4, v4, v6
	v_cndmask_b32_e64 v7, 0, 1, vcc_lo
	v_cmp_le_u32_e32 vcc_lo, v53, v3
	ds_bpermute_b32 v6, v17, v4
	v_lshlrev_b32_e32 v7, 4, v7
	v_add_lshl_u32 v54, v7, v50, 2
	s_waitcnt lgkmcnt(0)
	v_cndmask_b32_e32 v6, 0, v6, vcc_lo
	v_cmp_le_u32_e32 vcc_lo, v55, v3
	s_delay_alu instid0(VALU_DEP_2) | instskip(SKIP_3) | instid1(VALU_DEP_1)
	v_add_nc_u32_e32 v4, v4, v6
	ds_bpermute_b32 v6, v54, v4
	s_waitcnt lgkmcnt(0)
	v_cndmask_b32_e32 v3, 0, v6, vcc_lo
	v_dual_mov_b32 v3, 0 :: v_dual_add_nc_u32 v4, v4, v3
	s_branch .LBB1920_50
.LBB1920_49:                            ;   in Loop: Header=BB1920_50 Depth=1
	s_or_b32 exec_lo, exec_lo, s24
	ds_bpermute_b32 v7, v10, v4
	v_and_b32_e32 v6, 0xff, v5
	v_subrev_nc_u32_e32 v2, 32, v2
	s_delay_alu instid0(VALU_DEP_2) | instskip(SKIP_1) | instid1(VALU_DEP_1)
	v_cmp_eq_u16_e32 vcc_lo, 2, v6
	v_and_or_b32 v6, vcc_lo, v11, 0x80000000
	v_ctz_i32_b32_e32 v6, v6
	s_delay_alu instid0(VALU_DEP_1) | instskip(SKIP_3) | instid1(VALU_DEP_2)
	v_cmp_lt_u32_e32 vcc_lo, v50, v6
	s_waitcnt lgkmcnt(0)
	v_cndmask_b32_e32 v7, 0, v7, vcc_lo
	v_cmp_le_u32_e32 vcc_lo, v13, v6
	v_add_nc_u32_e32 v4, v7, v4
	ds_bpermute_b32 v7, v12, v4
	s_waitcnt lgkmcnt(0)
	v_cndmask_b32_e32 v7, 0, v7, vcc_lo
	v_cmp_le_u32_e32 vcc_lo, v16, v6
	s_delay_alu instid0(VALU_DEP_2) | instskip(SKIP_4) | instid1(VALU_DEP_2)
	v_add_nc_u32_e32 v4, v4, v7
	ds_bpermute_b32 v7, v14, v4
	s_waitcnt lgkmcnt(0)
	v_cndmask_b32_e32 v7, 0, v7, vcc_lo
	v_cmp_le_u32_e32 vcc_lo, v53, v6
	v_add_nc_u32_e32 v4, v4, v7
	ds_bpermute_b32 v7, v17, v4
	s_waitcnt lgkmcnt(0)
	v_cndmask_b32_e32 v7, 0, v7, vcc_lo
	v_cmp_le_u32_e32 vcc_lo, v55, v6
	s_delay_alu instid0(VALU_DEP_2) | instskip(SKIP_3) | instid1(VALU_DEP_1)
	v_add_nc_u32_e32 v4, v4, v7
	ds_bpermute_b32 v7, v54, v4
	s_waitcnt lgkmcnt(0)
	v_cndmask_b32_e32 v6, 0, v7, vcc_lo
	v_add3_u32 v4, v6, v15, v4
.LBB1920_50:                            ; =>This Loop Header: Depth=1
                                        ;     Child Loop BB1920_53 Depth 2
	v_and_b32_e32 v5, 0xff, v5
	s_delay_alu instid0(VALU_DEP_2) | instskip(NEXT) | instid1(VALU_DEP_2)
	v_mov_b32_e32 v15, v4
	v_cmp_ne_u16_e32 vcc_lo, 2, v5
	v_cndmask_b32_e64 v5, 0, 1, vcc_lo
	;;#ASMSTART
	;;#ASMEND
	s_delay_alu instid0(VALU_DEP_1)
	v_cmp_ne_u32_e32 vcc_lo, 0, v5
	s_cmp_lg_u32 vcc_lo, exec_lo
	s_cbranch_scc1 .LBB1920_55
; %bb.51:                               ;   in Loop: Header=BB1920_50 Depth=1
	v_lshlrev_b64 v[4:5], 3, v[2:3]
	s_mov_b32 s24, exec_lo
	s_delay_alu instid0(VALU_DEP_1) | instskip(NEXT) | instid1(VALU_DEP_2)
	v_add_co_u32 v6, vcc_lo, s20, v4
	v_add_co_ci_u32_e32 v7, vcc_lo, s21, v5, vcc_lo
	global_load_b64 v[4:5], v[6:7], off glc
	s_waitcnt vmcnt(0)
	v_and_b32_e32 v56, 0xff, v5
	s_delay_alu instid0(VALU_DEP_1)
	v_cmpx_eq_u16_e32 0, v56
	s_cbranch_execz .LBB1920_49
; %bb.52:                               ;   in Loop: Header=BB1920_50 Depth=1
	s_mov_b32 s25, 0
.LBB1920_53:                            ;   Parent Loop BB1920_50 Depth=1
                                        ; =>  This Inner Loop Header: Depth=2
	global_load_b64 v[4:5], v[6:7], off glc
	s_waitcnt vmcnt(0)
	v_and_b32_e32 v56, 0xff, v5
	s_delay_alu instid0(VALU_DEP_1) | instskip(SKIP_1) | instid1(SALU_CYCLE_1)
	v_cmp_ne_u16_e32 vcc_lo, 0, v56
	s_or_b32 s25, vcc_lo, s25
	s_and_not1_b32 exec_lo, exec_lo, s25
	s_cbranch_execnz .LBB1920_53
; %bb.54:                               ;   in Loop: Header=BB1920_50 Depth=1
	s_or_b32 exec_lo, exec_lo, s25
	s_branch .LBB1920_49
.LBB1920_55:                            ;   in Loop: Header=BB1920_50 Depth=1
                                        ; implicit-def: $vgpr4
                                        ; implicit-def: $vgpr5
	s_cbranch_execz .LBB1920_50
; %bb.56:
	s_and_saveexec_b32 s24, s6
	s_cbranch_execz .LBB1920_58
; %bb.57:
	s_add_i32 s26, s15, 32
	s_mov_b32 s27, 0
	v_dual_mov_b32 v3, 2 :: v_dual_add_nc_u32 v2, v15, v1
	s_lshl_b64 s[26:27], s[26:27], 3
	v_mov_b32_e32 v4, 0
	v_add_nc_u32_e64 v5, 0x3400, 0
	s_add_u32 s26, s20, s26
	s_addc_u32 s27, s21, s27
	global_store_b64 v4, v[2:3], s[26:27]
	ds_store_2addr_b32 v5, v1, v15 offset1:2
.LBB1920_58:
	s_or_b32 exec_lo, exec_lo, s24
	v_cmp_eq_u32_e32 vcc_lo, 0, v0
	s_and_b32 exec_lo, exec_lo, vcc_lo
	s_cbranch_execz .LBB1920_60
; %bb.59:
	v_mov_b32_e32 v1, 0
	ds_store_b32 v1, v15 offset:28
.LBB1920_60:
	s_or_b32 exec_lo, exec_lo, s7
	s_waitcnt lgkmcnt(0)
	v_cndmask_b32_e64 v2, v9, v8, s6
	v_cmp_ne_u32_e32 vcc_lo, 0, v0
	v_mov_b32_e32 v1, 0
	s_waitcnt_vscnt null, 0x0
	s_barrier
	buffer_gl0_inv
	v_cndmask_b32_e32 v2, 0, v2, vcc_lo
	ds_load_b32 v1, v1 offset:28
	v_add_nc_u32_e64 v11, 0x3400, 0
	s_waitcnt lgkmcnt(0)
	s_barrier
	buffer_gl0_inv
	ds_load_2addr_b32 v[16:17], v11 offset1:2
	v_add_nc_u32_e32 v1, v1, v2
	s_delay_alu instid0(VALU_DEP_1) | instskip(NEXT) | instid1(VALU_DEP_1)
	v_add_nc_u32_e32 v2, v1, v41
	v_add_nc_u32_e32 v3, v2, v42
	s_delay_alu instid0(VALU_DEP_1) | instskip(NEXT) | instid1(VALU_DEP_1)
	v_add_nc_u32_e32 v4, v3, v43
	;; [unrolled: 3-line block ×6, first 2 shown]
	v_add_nc_u32_e32 v13, v12, v36
	s_branch .LBB1920_71
.LBB1920_61:
                                        ; implicit-def: $vgpr17
                                        ; implicit-def: $vgpr1_vgpr2_vgpr3_vgpr4_vgpr5_vgpr6_vgpr7_vgpr8_vgpr9_vgpr10_vgpr11_vgpr12_vgpr13_vgpr14_vgpr15_vgpr16
	s_and_b32 vcc_lo, exec_lo, s6
	s_cbranch_vccz .LBB1920_71
; %bb.62:
	s_delay_alu instid0(VALU_DEP_1) | instskip(NEXT) | instid1(VALU_DEP_1)
	v_mov_b32_dpp v1, v52 row_shr:1 row_mask:0xf bank_mask:0xf
	v_cndmask_b32_e64 v1, v1, 0, s5
	s_delay_alu instid0(VALU_DEP_1) | instskip(NEXT) | instid1(VALU_DEP_1)
	v_add_nc_u32_e32 v1, v1, v52
	v_mov_b32_dpp v2, v1 row_shr:2 row_mask:0xf bank_mask:0xf
	s_delay_alu instid0(VALU_DEP_1) | instskip(NEXT) | instid1(VALU_DEP_1)
	v_cndmask_b32_e64 v2, 0, v2, s4
	v_add_nc_u32_e32 v1, v1, v2
	s_delay_alu instid0(VALU_DEP_1) | instskip(NEXT) | instid1(VALU_DEP_1)
	v_mov_b32_dpp v2, v1 row_shr:4 row_mask:0xf bank_mask:0xf
	v_cndmask_b32_e64 v2, 0, v2, s3
	s_delay_alu instid0(VALU_DEP_1) | instskip(NEXT) | instid1(VALU_DEP_1)
	v_add_nc_u32_e32 v1, v1, v2
	v_mov_b32_dpp v2, v1 row_shr:8 row_mask:0xf bank_mask:0xf
	s_delay_alu instid0(VALU_DEP_1) | instskip(NEXT) | instid1(VALU_DEP_1)
	v_cndmask_b32_e64 v2, 0, v2, s2
	v_add_nc_u32_e32 v1, v1, v2
	ds_swizzle_b32 v2, v1 offset:swizzle(BROADCAST,32,15)
	s_waitcnt lgkmcnt(0)
	v_cndmask_b32_e64 v2, v2, 0, s1
	s_delay_alu instid0(VALU_DEP_1)
	v_add_nc_u32_e32 v1, v1, v2
	s_and_saveexec_b32 s1, s0
	s_cbranch_execz .LBB1920_64
; %bb.63:
	v_lshlrev_b32_e32 v2, 2, v51
	ds_store_b32 v2, v1
.LBB1920_64:
	s_or_b32 exec_lo, exec_lo, s1
	s_delay_alu instid0(SALU_CYCLE_1)
	s_mov_b32 s0, exec_lo
	s_waitcnt lgkmcnt(0)
	s_barrier
	buffer_gl0_inv
	v_cmpx_gt_u32_e32 8, v0
	s_cbranch_execz .LBB1920_66
; %bb.65:
	ds_load_b32 v2, v30
	s_waitcnt lgkmcnt(0)
	v_mov_b32_dpp v4, v2 row_shr:1 row_mask:0xf bank_mask:0xf
	v_and_b32_e32 v3, 7, v50
	s_delay_alu instid0(VALU_DEP_1) | instskip(NEXT) | instid1(VALU_DEP_3)
	v_cmp_ne_u32_e32 vcc_lo, 0, v3
	v_cndmask_b32_e32 v4, 0, v4, vcc_lo
	v_cmp_lt_u32_e32 vcc_lo, 1, v3
	s_delay_alu instid0(VALU_DEP_2) | instskip(NEXT) | instid1(VALU_DEP_1)
	v_add_nc_u32_e32 v2, v4, v2
	v_mov_b32_dpp v4, v2 row_shr:2 row_mask:0xf bank_mask:0xf
	s_delay_alu instid0(VALU_DEP_1) | instskip(SKIP_1) | instid1(VALU_DEP_2)
	v_cndmask_b32_e32 v4, 0, v4, vcc_lo
	v_cmp_lt_u32_e32 vcc_lo, 3, v3
	v_add_nc_u32_e32 v2, v2, v4
	s_delay_alu instid0(VALU_DEP_1) | instskip(NEXT) | instid1(VALU_DEP_1)
	v_mov_b32_dpp v4, v2 row_shr:4 row_mask:0xf bank_mask:0xf
	v_cndmask_b32_e32 v3, 0, v4, vcc_lo
	s_delay_alu instid0(VALU_DEP_1)
	v_add_nc_u32_e32 v2, v2, v3
	ds_store_b32 v30, v2
.LBB1920_66:
	s_or_b32 exec_lo, exec_lo, s0
	v_dual_mov_b32 v3, 0 :: v_dual_mov_b32 v2, 0
	s_mov_b32 s0, exec_lo
	s_waitcnt lgkmcnt(0)
	s_barrier
	buffer_gl0_inv
	v_cmpx_lt_u32_e32 31, v0
	s_cbranch_execz .LBB1920_68
; %bb.67:
	v_lshl_add_u32 v2, v51, 2, -4
	ds_load_b32 v2, v2
.LBB1920_68:
	s_or_b32 exec_lo, exec_lo, s0
	v_add_nc_u32_e32 v4, -1, v50
	ds_load_b32 v16, v3 offset:28
	s_waitcnt lgkmcnt(1)
	v_add_nc_u32_e32 v1, v2, v1
	v_cmp_gt_i32_e32 vcc_lo, 0, v4
	v_cndmask_b32_e32 v4, v4, v50, vcc_lo
	v_cmp_eq_u32_e32 vcc_lo, 0, v0
	s_delay_alu instid0(VALU_DEP_2)
	v_lshlrev_b32_e32 v4, 2, v4
	ds_bpermute_b32 v1, v4, v1
	s_and_saveexec_b32 s0, vcc_lo
	s_cbranch_execz .LBB1920_70
; %bb.69:
	v_mov_b32_e32 v3, 0
	v_mov_b32_e32 v17, 2
	s_waitcnt lgkmcnt(1)
	global_store_b64 v3, v[16:17], s[20:21] offset:256
.LBB1920_70:
	s_or_b32 exec_lo, exec_lo, s0
	v_cmp_eq_u32_e64 s0, 0, v50
	s_waitcnt lgkmcnt(0)
	s_waitcnt_vscnt null, 0x0
	s_barrier
	buffer_gl0_inv
	v_mov_b32_e32 v17, 0
	v_cndmask_b32_e64 v1, v1, v2, s0
	s_delay_alu instid0(VALU_DEP_1) | instskip(NEXT) | instid1(VALU_DEP_1)
	v_cndmask_b32_e64 v1, v1, 0, vcc_lo
	v_add_nc_u32_e32 v2, v1, v41
	s_delay_alu instid0(VALU_DEP_1) | instskip(NEXT) | instid1(VALU_DEP_1)
	v_add_nc_u32_e32 v3, v2, v42
	v_add_nc_u32_e32 v4, v3, v43
	s_delay_alu instid0(VALU_DEP_1) | instskip(NEXT) | instid1(VALU_DEP_1)
	v_add_nc_u32_e32 v5, v4, v40
	;; [unrolled: 3-line block ×5, first 2 shown]
	v_add_nc_u32_e32 v12, v11, v49
	s_delay_alu instid0(VALU_DEP_1)
	v_add_nc_u32_e32 v13, v12, v36
.LBB1920_71:
	v_lshrrev_b32_e32 v44, 8, v39
	v_lshrrev_b32_e32 v43, 16, v39
	s_waitcnt lgkmcnt(0)
	v_sub_nc_u32_e32 v1, v1, v17
	v_and_b32_e32 v39, 1, v39
	v_sub_nc_u32_e32 v3, v3, v17
	v_add_nc_u32_e32 v33, v16, v33
	v_sub_nc_u32_e32 v2, v2, v17
	v_sub_nc_u32_e32 v4, v4, v17
	v_cmp_eq_u32_e32 vcc_lo, 1, v39
	v_and_b32_e32 v39, 1, v43
	v_sub_nc_u32_e32 v45, v33, v1
	v_and_b32_e32 v44, 1, v44
	v_sub_nc_u32_e32 v43, v33, v2
	v_lshrrev_b32_e32 v42, 8, v37
	v_lshrrev_b32_e32 v41, 16, v37
	v_cndmask_b32_e32 v1, v45, v1, vcc_lo
	v_sub_nc_u32_e32 v45, v33, v3
	v_add_nc_u32_e32 v43, 1, v43
	v_cmp_eq_u32_e32 vcc_lo, 1, v44
	v_and_b32_e32 v40, 1, v40
	v_lshlrev_b32_e32 v1, 2, v1
	v_add_nc_u32_e32 v45, 2, v45
	v_lshrrev_b32_e32 v15, 8, v35
	v_lshrrev_b32_e32 v14, 16, v35
	ds_store_b32 v1, v28
	v_cndmask_b32_e32 v1, v43, v2, vcc_lo
	v_cmp_eq_u32_e32 vcc_lo, 1, v39
	v_or_b32_e32 v28, 0x500, v0
	s_delay_alu instid0(VALU_DEP_3)
	v_dual_cndmask_b32 v2, v45, v3 :: v_dual_lshlrev_b32 v1, 2, v1
	v_sub_nc_u32_e32 v46, v33, v4
	v_cmp_eq_u32_e32 vcc_lo, 1, v40
	ds_store_b32 v1, v29
	v_lshlrev_b32_e32 v2, 2, v2
	v_add_nc_u32_e32 v46, 3, v46
	v_or_b32_e32 v29, 0x400, v0
	s_delay_alu instid0(VALU_DEP_2) | instskip(SKIP_2) | instid1(VALU_DEP_3)
	v_cndmask_b32_e32 v3, v46, v4, vcc_lo
	v_sub_nc_u32_e32 v4, v5, v17
	v_sub_nc_u32_e32 v5, v6, v17
	v_lshlrev_b32_e32 v3, 2, v3
	s_delay_alu instid0(VALU_DEP_3) | instskip(NEXT) | instid1(VALU_DEP_3)
	v_sub_nc_u32_e32 v1, v33, v4
	v_sub_nc_u32_e32 v6, v33, v5
	ds_store_b32 v2, v26
	ds_store_b32 v3, v27
	v_and_b32_e32 v2, 1, v37
	v_add_nc_u32_e32 v1, 4, v1
	v_add_nc_u32_e32 v3, 5, v6
	v_sub_nc_u32_e32 v6, v7, v17
	v_and_b32_e32 v7, 1, v42
	v_cmp_eq_u32_e32 vcc_lo, 1, v2
	v_sub_nc_u32_e32 v2, v8, v17
	v_and_b32_e32 v8, 1, v38
	v_or_b32_e32 v27, 0x600, v0
	v_or_b32_e32 v26, 0x700, v0
	v_cndmask_b32_e32 v1, v1, v4, vcc_lo
	v_sub_nc_u32_e32 v4, v33, v6
	v_cmp_eq_u32_e32 vcc_lo, 1, v7
	v_and_b32_e32 v7, 1, v41
	s_delay_alu instid0(VALU_DEP_4) | instskip(NEXT) | instid1(VALU_DEP_4)
	v_lshlrev_b32_e32 v1, 2, v1
	v_dual_cndmask_b32 v3, v3, v5 :: v_dual_add_nc_u32 v4, 6, v4
	v_sub_nc_u32_e32 v5, v33, v2
	s_delay_alu instid0(VALU_DEP_4) | instskip(SKIP_1) | instid1(VALU_DEP_4)
	v_cmp_eq_u32_e32 vcc_lo, 1, v7
	v_sub_nc_u32_e32 v7, v13, v17
	v_lshlrev_b32_e32 v3, 2, v3
	s_delay_alu instid0(VALU_DEP_4)
	v_dual_cndmask_b32 v4, v4, v6 :: v_dual_add_nc_u32 v5, 7, v5
	v_cmp_eq_u32_e32 vcc_lo, 1, v8
	v_sub_nc_u32_e32 v6, v9, v17
	ds_store_b32 v1, v24
	ds_store_b32 v3, v25
	v_or_b32_e32 v25, 0x800, v0
	v_dual_cndmask_b32 v2, v5, v2 :: v_dual_lshlrev_b32 v3, 2, v4
	v_and_b32_e32 v5, 1, v35
	v_sub_nc_u32_e32 v1, v33, v6
	v_sub_nc_u32_e32 v4, v10, v17
	v_and_b32_e32 v10, 1, v36
	v_or_b32_e32 v24, 0x900, v0
	v_cmp_eq_u32_e32 vcc_lo, 1, v5
	v_sub_nc_u32_e32 v5, v12, v17
	v_add_nc_u32_e32 v1, 8, v1
	s_delay_alu instid0(VALU_DEP_2) | instskip(NEXT) | instid1(VALU_DEP_2)
	v_sub_nc_u32_e32 v9, v33, v5
	v_dual_cndmask_b32 v1, v1, v6 :: v_dual_and_b32 v6, 1, v15
	v_add_co_u32 v15, s0, s18, v17
	s_delay_alu instid0(VALU_DEP_3)
	v_add_nc_u32_e32 v9, 11, v9
	v_lshlrev_b32_e32 v2, 2, v2
	ds_store_b32 v3, v22
	ds_store_b32 v2, v23
	v_sub_nc_u32_e32 v3, v11, v17
	v_sub_nc_u32_e32 v2, v33, v4
	v_cmp_eq_u32_e32 vcc_lo, 1, v6
	v_and_b32_e32 v11, 1, v34
	v_lshlrev_b32_e32 v1, 2, v1
	v_sub_nc_u32_e32 v8, v33, v3
	v_add_nc_u32_e32 v2, 9, v2
	v_add_co_ci_u32_e64 v17, null, s19, 0, s0
	s_add_u32 s0, s16, s23
	s_delay_alu instid0(VALU_DEP_3)
	v_add_nc_u32_e32 v6, 10, v8
	v_and_b32_e32 v8, 1, v14
	v_cndmask_b32_e32 v2, v2, v4, vcc_lo
	v_sub_nc_u32_e32 v4, v33, v7
	s_addc_u32 s1, s17, 0
	s_sub_u32 s0, s12, s0
	v_cmp_eq_u32_e32 vcc_lo, 1, v8
	v_lshlrev_b32_e32 v2, 2, v2
	v_add_nc_u32_e32 v4, 12, v4
	s_subb_u32 s1, s13, s1
	v_add_co_u32 v13, s0, s0, v16
	v_cndmask_b32_e32 v3, v6, v3, vcc_lo
	v_cmp_eq_u32_e32 vcc_lo, 1, v10
	v_add_co_ci_u32_e64 v14, null, s1, 0, s0
	v_or_b32_e32 v34, 0x100, v0
	s_delay_alu instid0(VALU_DEP_4)
	v_lshlrev_b32_e32 v3, 2, v3
	v_cndmask_b32_e32 v5, v9, v5, vcc_lo
	v_cmp_eq_u32_e32 vcc_lo, 1, v11
	v_or_b32_e32 v33, 0x200, v0
	v_or_b32_e32 v23, 0xa00, v0
	;; [unrolled: 1-line block ×3, first 2 shown]
	v_dual_cndmask_b32 v4, v4, v7 :: v_dual_lshlrev_b32 v5, 2, v5
	v_cmp_ne_u32_e32 vcc_lo, 1, v31
	s_delay_alu instid0(VALU_DEP_2)
	v_lshlrev_b32_e32 v4, 2, v4
	ds_store_b32 v1, v20
	ds_store_b32 v2, v21
	;; [unrolled: 1-line block ×5, first 2 shown]
	s_waitcnt lgkmcnt(0)
	s_barrier
	buffer_gl0_inv
	ds_load_2addr_stride64_b32 v[11:12], v30 offset1:4
	ds_load_2addr_stride64_b32 v[9:10], v30 offset0:8 offset1:12
	ds_load_2addr_stride64_b32 v[7:8], v30 offset0:16 offset1:20
	;; [unrolled: 1-line block ×5, first 2 shown]
	ds_load_b32 v18, v30 offset:12288
	v_add_co_u32 v20, s0, v13, v15
	v_or_b32_e32 v32, 0x300, v0
	v_or_b32_e32 v19, 0xc00, v0
	v_add_co_ci_u32_e64 v21, s0, v14, v17, s0
	s_mov_b32 s0, 0
	s_cbranch_vccnz .LBB1920_125
; %bb.72:
	s_mov_b32 s0, exec_lo
                                        ; implicit-def: $vgpr13_vgpr14
	v_cmpx_ge_u32_e64 v0, v16
	s_xor_b32 s0, exec_lo, s0
; %bb.73:
	v_not_b32_e32 v13, v0
	s_delay_alu instid0(VALU_DEP_1) | instskip(SKIP_1) | instid1(VALU_DEP_2)
	v_ashrrev_i32_e32 v14, 31, v13
	v_add_co_u32 v13, vcc_lo, v20, v13
	v_add_co_ci_u32_e32 v14, vcc_lo, v21, v14, vcc_lo
; %bb.74:
	s_and_not1_saveexec_b32 s0, s0
; %bb.75:
	v_add_co_u32 v13, vcc_lo, v15, v0
	v_add_co_ci_u32_e32 v14, vcc_lo, 0, v17, vcc_lo
; %bb.76:
	s_or_b32 exec_lo, exec_lo, s0
	s_delay_alu instid0(VALU_DEP_1) | instskip(SKIP_1) | instid1(VALU_DEP_1)
	v_lshlrev_b64 v[13:14], 2, v[13:14]
	s_mov_b32 s0, exec_lo
	v_add_co_u32 v13, vcc_lo, s10, v13
	s_delay_alu instid0(VALU_DEP_2)
	v_add_co_ci_u32_e32 v14, vcc_lo, s11, v14, vcc_lo
	s_waitcnt lgkmcnt(6)
	global_store_b32 v[13:14], v11, off
                                        ; implicit-def: $vgpr13_vgpr14
	v_cmpx_ge_u32_e64 v34, v16
	s_xor_b32 s0, exec_lo, s0
; %bb.77:
	v_xor_b32_e32 v13, 0xfffffeff, v0
	s_delay_alu instid0(VALU_DEP_1) | instskip(SKIP_1) | instid1(VALU_DEP_2)
	v_ashrrev_i32_e32 v14, 31, v13
	v_add_co_u32 v13, vcc_lo, v20, v13
	v_add_co_ci_u32_e32 v14, vcc_lo, v21, v14, vcc_lo
; %bb.78:
	s_and_not1_saveexec_b32 s0, s0
; %bb.79:
	v_add_co_u32 v13, vcc_lo, v15, v34
	v_add_co_ci_u32_e32 v14, vcc_lo, 0, v17, vcc_lo
; %bb.80:
	s_or_b32 exec_lo, exec_lo, s0
	s_delay_alu instid0(VALU_DEP_1) | instskip(SKIP_1) | instid1(VALU_DEP_1)
	v_lshlrev_b64 v[13:14], 2, v[13:14]
	s_mov_b32 s0, exec_lo
	v_add_co_u32 v13, vcc_lo, s10, v13
	s_delay_alu instid0(VALU_DEP_2)
	v_add_co_ci_u32_e32 v14, vcc_lo, s11, v14, vcc_lo
	global_store_b32 v[13:14], v12, off
                                        ; implicit-def: $vgpr13_vgpr14
	v_cmpx_ge_u32_e64 v33, v16
	s_xor_b32 s0, exec_lo, s0
; %bb.81:
	v_xor_b32_e32 v13, 0xfffffdff, v0
	s_delay_alu instid0(VALU_DEP_1) | instskip(SKIP_1) | instid1(VALU_DEP_2)
	v_ashrrev_i32_e32 v14, 31, v13
	v_add_co_u32 v13, vcc_lo, v20, v13
	v_add_co_ci_u32_e32 v14, vcc_lo, v21, v14, vcc_lo
; %bb.82:
	s_and_not1_saveexec_b32 s0, s0
; %bb.83:
	v_add_co_u32 v13, vcc_lo, v15, v33
	v_add_co_ci_u32_e32 v14, vcc_lo, 0, v17, vcc_lo
; %bb.84:
	s_or_b32 exec_lo, exec_lo, s0
	s_delay_alu instid0(VALU_DEP_1) | instskip(SKIP_1) | instid1(VALU_DEP_1)
	v_lshlrev_b64 v[13:14], 2, v[13:14]
	s_mov_b32 s0, exec_lo
	v_add_co_u32 v13, vcc_lo, s10, v13
	s_delay_alu instid0(VALU_DEP_2)
	v_add_co_ci_u32_e32 v14, vcc_lo, s11, v14, vcc_lo
	s_waitcnt lgkmcnt(5)
	global_store_b32 v[13:14], v9, off
                                        ; implicit-def: $vgpr13_vgpr14
	v_cmpx_ge_u32_e64 v32, v16
	s_xor_b32 s0, exec_lo, s0
; %bb.85:
	v_xor_b32_e32 v13, 0xfffffcff, v0
	s_delay_alu instid0(VALU_DEP_1) | instskip(SKIP_1) | instid1(VALU_DEP_2)
	v_ashrrev_i32_e32 v14, 31, v13
	v_add_co_u32 v13, vcc_lo, v20, v13
	v_add_co_ci_u32_e32 v14, vcc_lo, v21, v14, vcc_lo
; %bb.86:
	s_and_not1_saveexec_b32 s0, s0
; %bb.87:
	v_add_co_u32 v13, vcc_lo, v15, v32
	v_add_co_ci_u32_e32 v14, vcc_lo, 0, v17, vcc_lo
; %bb.88:
	s_or_b32 exec_lo, exec_lo, s0
	s_delay_alu instid0(VALU_DEP_1) | instskip(SKIP_1) | instid1(VALU_DEP_1)
	v_lshlrev_b64 v[13:14], 2, v[13:14]
	s_mov_b32 s0, exec_lo
	v_add_co_u32 v13, vcc_lo, s10, v13
	s_delay_alu instid0(VALU_DEP_2)
	v_add_co_ci_u32_e32 v14, vcc_lo, s11, v14, vcc_lo
	global_store_b32 v[13:14], v10, off
                                        ; implicit-def: $vgpr13_vgpr14
	v_cmpx_ge_u32_e64 v29, v16
	s_xor_b32 s0, exec_lo, s0
; %bb.89:
	v_xor_b32_e32 v13, 0xfffffbff, v0
	;; [unrolled: 47-line block ×6, first 2 shown]
	s_delay_alu instid0(VALU_DEP_1) | instskip(SKIP_1) | instid1(VALU_DEP_2)
	v_ashrrev_i32_e32 v14, 31, v13
	v_add_co_u32 v13, vcc_lo, v20, v13
	v_add_co_ci_u32_e32 v14, vcc_lo, v21, v14, vcc_lo
; %bb.122:
	s_and_not1_saveexec_b32 s0, s0
; %bb.123:
	v_add_co_u32 v13, vcc_lo, v15, v19
	v_add_co_ci_u32_e32 v14, vcc_lo, 0, v17, vcc_lo
; %bb.124:
	s_or_b32 exec_lo, exec_lo, s0
	s_mov_b32 s0, -1
	s_branch .LBB1920_205
.LBB1920_125:
                                        ; implicit-def: $vgpr13_vgpr14
	s_cbranch_execz .LBB1920_205
; %bb.126:
	s_mov_b32 s1, exec_lo
	v_cmpx_gt_u32_e64 s22, v0
	s_cbranch_execz .LBB1920_162
; %bb.127:
	s_mov_b32 s2, exec_lo
                                        ; implicit-def: $vgpr13_vgpr14
	v_cmpx_ge_u32_e64 v0, v16
	s_xor_b32 s2, exec_lo, s2
; %bb.128:
	v_not_b32_e32 v13, v0
	s_delay_alu instid0(VALU_DEP_1) | instskip(SKIP_1) | instid1(VALU_DEP_2)
	v_ashrrev_i32_e32 v14, 31, v13
	v_add_co_u32 v13, vcc_lo, v20, v13
	v_add_co_ci_u32_e32 v14, vcc_lo, v21, v14, vcc_lo
; %bb.129:
	s_and_not1_saveexec_b32 s2, s2
; %bb.130:
	v_add_co_u32 v13, vcc_lo, v15, v0
	v_add_co_ci_u32_e32 v14, vcc_lo, 0, v17, vcc_lo
; %bb.131:
	s_or_b32 exec_lo, exec_lo, s2
	s_delay_alu instid0(VALU_DEP_1) | instskip(NEXT) | instid1(VALU_DEP_1)
	v_lshlrev_b64 v[13:14], 2, v[13:14]
	v_add_co_u32 v13, vcc_lo, s10, v13
	s_delay_alu instid0(VALU_DEP_2) | instskip(SKIP_3) | instid1(SALU_CYCLE_1)
	v_add_co_ci_u32_e32 v14, vcc_lo, s11, v14, vcc_lo
	s_waitcnt lgkmcnt(6)
	global_store_b32 v[13:14], v11, off
	s_or_b32 exec_lo, exec_lo, s1
	s_mov_b32 s1, exec_lo
	v_cmpx_gt_u32_e64 s22, v34
	s_cbranch_execnz .LBB1920_163
.LBB1920_132:
	s_or_b32 exec_lo, exec_lo, s1
	s_delay_alu instid0(SALU_CYCLE_1)
	s_mov_b32 s1, exec_lo
	v_cmpx_gt_u32_e64 s22, v33
	s_cbranch_execz .LBB1920_168
.LBB1920_133:
	s_mov_b32 s2, exec_lo
                                        ; implicit-def: $vgpr11_vgpr12
	v_cmpx_ge_u32_e64 v33, v16
	s_xor_b32 s2, exec_lo, s2
	s_cbranch_execz .LBB1920_135
; %bb.134:
	s_waitcnt lgkmcnt(6)
	v_xor_b32_e32 v11, 0xfffffdff, v0
                                        ; implicit-def: $vgpr33
	s_delay_alu instid0(VALU_DEP_1) | instskip(SKIP_1) | instid1(VALU_DEP_2)
	v_ashrrev_i32_e32 v12, 31, v11
	v_add_co_u32 v11, vcc_lo, v20, v11
	v_add_co_ci_u32_e32 v12, vcc_lo, v21, v12, vcc_lo
.LBB1920_135:
	s_and_not1_saveexec_b32 s2, s2
	s_cbranch_execz .LBB1920_137
; %bb.136:
	s_waitcnt lgkmcnt(6)
	v_add_co_u32 v11, vcc_lo, v15, v33
	v_add_co_ci_u32_e32 v12, vcc_lo, 0, v17, vcc_lo
.LBB1920_137:
	s_or_b32 exec_lo, exec_lo, s2
	s_waitcnt lgkmcnt(6)
	s_delay_alu instid0(VALU_DEP_1) | instskip(NEXT) | instid1(VALU_DEP_1)
	v_lshlrev_b64 v[11:12], 2, v[11:12]
	v_add_co_u32 v11, vcc_lo, s10, v11
	s_delay_alu instid0(VALU_DEP_2) | instskip(SKIP_3) | instid1(SALU_CYCLE_1)
	v_add_co_ci_u32_e32 v12, vcc_lo, s11, v12, vcc_lo
	s_waitcnt lgkmcnt(5)
	global_store_b32 v[11:12], v9, off
	s_or_b32 exec_lo, exec_lo, s1
	s_mov_b32 s1, exec_lo
	v_cmpx_gt_u32_e64 s22, v32
	s_cbranch_execnz .LBB1920_169
.LBB1920_138:
	s_or_b32 exec_lo, exec_lo, s1
	s_delay_alu instid0(SALU_CYCLE_1)
	s_mov_b32 s1, exec_lo
	v_cmpx_gt_u32_e64 s22, v29
	s_cbranch_execz .LBB1920_174
.LBB1920_139:
	s_mov_b32 s2, exec_lo
                                        ; implicit-def: $vgpr9_vgpr10
	v_cmpx_ge_u32_e64 v29, v16
	s_xor_b32 s2, exec_lo, s2
	s_cbranch_execz .LBB1920_141
; %bb.140:
	s_waitcnt lgkmcnt(5)
	v_xor_b32_e32 v9, 0xfffffbff, v0
                                        ; implicit-def: $vgpr29
	s_delay_alu instid0(VALU_DEP_1) | instskip(SKIP_1) | instid1(VALU_DEP_2)
	v_ashrrev_i32_e32 v10, 31, v9
	v_add_co_u32 v9, vcc_lo, v20, v9
	v_add_co_ci_u32_e32 v10, vcc_lo, v21, v10, vcc_lo
.LBB1920_141:
	s_and_not1_saveexec_b32 s2, s2
	s_cbranch_execz .LBB1920_143
; %bb.142:
	s_waitcnt lgkmcnt(5)
	v_add_co_u32 v9, vcc_lo, v15, v29
	v_add_co_ci_u32_e32 v10, vcc_lo, 0, v17, vcc_lo
.LBB1920_143:
	s_or_b32 exec_lo, exec_lo, s2
	s_waitcnt lgkmcnt(5)
	s_delay_alu instid0(VALU_DEP_1) | instskip(NEXT) | instid1(VALU_DEP_1)
	v_lshlrev_b64 v[9:10], 2, v[9:10]
	v_add_co_u32 v9, vcc_lo, s10, v9
	s_delay_alu instid0(VALU_DEP_2) | instskip(SKIP_3) | instid1(SALU_CYCLE_1)
	v_add_co_ci_u32_e32 v10, vcc_lo, s11, v10, vcc_lo
	s_waitcnt lgkmcnt(4)
	global_store_b32 v[9:10], v7, off
	s_or_b32 exec_lo, exec_lo, s1
	s_mov_b32 s1, exec_lo
	v_cmpx_gt_u32_e64 s22, v28
	s_cbranch_execnz .LBB1920_175
.LBB1920_144:
	s_or_b32 exec_lo, exec_lo, s1
	s_delay_alu instid0(SALU_CYCLE_1)
	s_mov_b32 s1, exec_lo
	v_cmpx_gt_u32_e64 s22, v27
	s_cbranch_execz .LBB1920_180
.LBB1920_145:
	s_mov_b32 s2, exec_lo
                                        ; implicit-def: $vgpr7_vgpr8
	v_cmpx_ge_u32_e64 v27, v16
	s_xor_b32 s2, exec_lo, s2
	s_cbranch_execz .LBB1920_147
; %bb.146:
	s_waitcnt lgkmcnt(4)
	v_xor_b32_e32 v7, 0xfffff9ff, v0
                                        ; implicit-def: $vgpr27
	s_delay_alu instid0(VALU_DEP_1) | instskip(SKIP_1) | instid1(VALU_DEP_2)
	v_ashrrev_i32_e32 v8, 31, v7
	v_add_co_u32 v7, vcc_lo, v20, v7
	v_add_co_ci_u32_e32 v8, vcc_lo, v21, v8, vcc_lo
.LBB1920_147:
	s_and_not1_saveexec_b32 s2, s2
	s_cbranch_execz .LBB1920_149
; %bb.148:
	s_waitcnt lgkmcnt(4)
	v_add_co_u32 v7, vcc_lo, v15, v27
	v_add_co_ci_u32_e32 v8, vcc_lo, 0, v17, vcc_lo
.LBB1920_149:
	s_or_b32 exec_lo, exec_lo, s2
	s_waitcnt lgkmcnt(4)
	s_delay_alu instid0(VALU_DEP_1) | instskip(NEXT) | instid1(VALU_DEP_1)
	v_lshlrev_b64 v[7:8], 2, v[7:8]
	v_add_co_u32 v7, vcc_lo, s10, v7
	s_delay_alu instid0(VALU_DEP_2) | instskip(SKIP_3) | instid1(SALU_CYCLE_1)
	v_add_co_ci_u32_e32 v8, vcc_lo, s11, v8, vcc_lo
	s_waitcnt lgkmcnt(3)
	global_store_b32 v[7:8], v5, off
	s_or_b32 exec_lo, exec_lo, s1
	s_mov_b32 s1, exec_lo
	v_cmpx_gt_u32_e64 s22, v26
	s_cbranch_execnz .LBB1920_181
.LBB1920_150:
	s_or_b32 exec_lo, exec_lo, s1
	s_delay_alu instid0(SALU_CYCLE_1)
	s_mov_b32 s1, exec_lo
	v_cmpx_gt_u32_e64 s22, v25
	s_cbranch_execz .LBB1920_186
.LBB1920_151:
	s_mov_b32 s2, exec_lo
                                        ; implicit-def: $vgpr5_vgpr6
	v_cmpx_ge_u32_e64 v25, v16
	s_xor_b32 s2, exec_lo, s2
	s_cbranch_execz .LBB1920_153
; %bb.152:
	s_waitcnt lgkmcnt(3)
	v_xor_b32_e32 v5, 0xfffff7ff, v0
                                        ; implicit-def: $vgpr25
	s_delay_alu instid0(VALU_DEP_1) | instskip(SKIP_1) | instid1(VALU_DEP_2)
	v_ashrrev_i32_e32 v6, 31, v5
	v_add_co_u32 v5, vcc_lo, v20, v5
	v_add_co_ci_u32_e32 v6, vcc_lo, v21, v6, vcc_lo
.LBB1920_153:
	s_and_not1_saveexec_b32 s2, s2
	s_cbranch_execz .LBB1920_155
; %bb.154:
	s_waitcnt lgkmcnt(3)
	v_add_co_u32 v5, vcc_lo, v15, v25
	v_add_co_ci_u32_e32 v6, vcc_lo, 0, v17, vcc_lo
.LBB1920_155:
	s_or_b32 exec_lo, exec_lo, s2
	s_waitcnt lgkmcnt(3)
	s_delay_alu instid0(VALU_DEP_1) | instskip(NEXT) | instid1(VALU_DEP_1)
	v_lshlrev_b64 v[5:6], 2, v[5:6]
	v_add_co_u32 v5, vcc_lo, s10, v5
	s_delay_alu instid0(VALU_DEP_2) | instskip(SKIP_3) | instid1(SALU_CYCLE_1)
	v_add_co_ci_u32_e32 v6, vcc_lo, s11, v6, vcc_lo
	s_waitcnt lgkmcnt(2)
	global_store_b32 v[5:6], v3, off
	s_or_b32 exec_lo, exec_lo, s1
	s_mov_b32 s1, exec_lo
	v_cmpx_gt_u32_e64 s22, v24
	s_cbranch_execnz .LBB1920_187
.LBB1920_156:
	s_or_b32 exec_lo, exec_lo, s1
	s_delay_alu instid0(SALU_CYCLE_1)
	s_mov_b32 s1, exec_lo
	v_cmpx_gt_u32_e64 s22, v23
	s_cbranch_execz .LBB1920_192
.LBB1920_157:
	s_mov_b32 s2, exec_lo
                                        ; implicit-def: $vgpr3_vgpr4
	v_cmpx_ge_u32_e64 v23, v16
	s_xor_b32 s2, exec_lo, s2
	s_cbranch_execz .LBB1920_159
; %bb.158:
	s_waitcnt lgkmcnt(2)
	v_xor_b32_e32 v3, 0xfffff5ff, v0
                                        ; implicit-def: $vgpr23
	s_delay_alu instid0(VALU_DEP_1) | instskip(SKIP_1) | instid1(VALU_DEP_2)
	v_ashrrev_i32_e32 v4, 31, v3
	v_add_co_u32 v3, vcc_lo, v20, v3
	v_add_co_ci_u32_e32 v4, vcc_lo, v21, v4, vcc_lo
.LBB1920_159:
	s_and_not1_saveexec_b32 s2, s2
	s_cbranch_execz .LBB1920_161
; %bb.160:
	s_waitcnt lgkmcnt(2)
	v_add_co_u32 v3, vcc_lo, v15, v23
	v_add_co_ci_u32_e32 v4, vcc_lo, 0, v17, vcc_lo
.LBB1920_161:
	s_or_b32 exec_lo, exec_lo, s2
	s_waitcnt lgkmcnt(2)
	s_delay_alu instid0(VALU_DEP_1) | instskip(NEXT) | instid1(VALU_DEP_1)
	v_lshlrev_b64 v[3:4], 2, v[3:4]
	v_add_co_u32 v3, vcc_lo, s10, v3
	s_delay_alu instid0(VALU_DEP_2) | instskip(SKIP_3) | instid1(SALU_CYCLE_1)
	v_add_co_ci_u32_e32 v4, vcc_lo, s11, v4, vcc_lo
	s_waitcnt lgkmcnt(1)
	global_store_b32 v[3:4], v1, off
	s_or_b32 exec_lo, exec_lo, s1
	s_mov_b32 s1, exec_lo
	v_cmpx_gt_u32_e64 s22, v22
	s_cbranch_execz .LBB1920_198
	s_branch .LBB1920_193
.LBB1920_162:
	s_or_b32 exec_lo, exec_lo, s1
	s_delay_alu instid0(SALU_CYCLE_1)
	s_mov_b32 s1, exec_lo
	v_cmpx_gt_u32_e64 s22, v34
	s_cbranch_execz .LBB1920_132
.LBB1920_163:
	s_mov_b32 s2, exec_lo
                                        ; implicit-def: $vgpr13_vgpr14
	v_cmpx_ge_u32_e64 v34, v16
	s_xor_b32 s2, exec_lo, s2
	s_cbranch_execz .LBB1920_165
; %bb.164:
	s_waitcnt lgkmcnt(6)
	v_xor_b32_e32 v11, 0xfffffeff, v0
                                        ; implicit-def: $vgpr34
	s_delay_alu instid0(VALU_DEP_1) | instskip(SKIP_1) | instid1(VALU_DEP_2)
	v_ashrrev_i32_e32 v14, 31, v11
	v_add_co_u32 v13, vcc_lo, v20, v11
	v_add_co_ci_u32_e32 v14, vcc_lo, v21, v14, vcc_lo
.LBB1920_165:
	s_and_not1_saveexec_b32 s2, s2
; %bb.166:
	v_add_co_u32 v13, vcc_lo, v15, v34
	v_add_co_ci_u32_e32 v14, vcc_lo, 0, v17, vcc_lo
; %bb.167:
	s_or_b32 exec_lo, exec_lo, s2
	s_delay_alu instid0(VALU_DEP_1) | instskip(NEXT) | instid1(VALU_DEP_1)
	v_lshlrev_b64 v[13:14], 2, v[13:14]
	v_add_co_u32 v13, vcc_lo, s10, v13
	s_delay_alu instid0(VALU_DEP_2) | instskip(SKIP_3) | instid1(SALU_CYCLE_1)
	v_add_co_ci_u32_e32 v14, vcc_lo, s11, v14, vcc_lo
	s_waitcnt lgkmcnt(6)
	global_store_b32 v[13:14], v12, off
	s_or_b32 exec_lo, exec_lo, s1
	s_mov_b32 s1, exec_lo
	v_cmpx_gt_u32_e64 s22, v33
	s_cbranch_execnz .LBB1920_133
.LBB1920_168:
	s_or_b32 exec_lo, exec_lo, s1
	s_delay_alu instid0(SALU_CYCLE_1)
	s_mov_b32 s1, exec_lo
	v_cmpx_gt_u32_e64 s22, v32
	s_cbranch_execz .LBB1920_138
.LBB1920_169:
	s_mov_b32 s2, exec_lo
                                        ; implicit-def: $vgpr11_vgpr12
	v_cmpx_ge_u32_e64 v32, v16
	s_xor_b32 s2, exec_lo, s2
	s_cbranch_execz .LBB1920_171
; %bb.170:
	s_waitcnt lgkmcnt(5)
	v_xor_b32_e32 v9, 0xfffffcff, v0
                                        ; implicit-def: $vgpr32
	s_delay_alu instid0(VALU_DEP_1) | instskip(SKIP_1) | instid1(VALU_DEP_2)
	v_ashrrev_i32_e32 v12, 31, v9
	v_add_co_u32 v11, vcc_lo, v20, v9
	v_add_co_ci_u32_e32 v12, vcc_lo, v21, v12, vcc_lo
.LBB1920_171:
	s_and_not1_saveexec_b32 s2, s2
	s_cbranch_execz .LBB1920_173
; %bb.172:
	s_waitcnt lgkmcnt(6)
	v_add_co_u32 v11, vcc_lo, v15, v32
	v_add_co_ci_u32_e32 v12, vcc_lo, 0, v17, vcc_lo
.LBB1920_173:
	s_or_b32 exec_lo, exec_lo, s2
	s_waitcnt lgkmcnt(6)
	s_delay_alu instid0(VALU_DEP_1) | instskip(NEXT) | instid1(VALU_DEP_1)
	v_lshlrev_b64 v[11:12], 2, v[11:12]
	v_add_co_u32 v11, vcc_lo, s10, v11
	s_delay_alu instid0(VALU_DEP_2) | instskip(SKIP_3) | instid1(SALU_CYCLE_1)
	v_add_co_ci_u32_e32 v12, vcc_lo, s11, v12, vcc_lo
	s_waitcnt lgkmcnt(5)
	global_store_b32 v[11:12], v10, off
	s_or_b32 exec_lo, exec_lo, s1
	s_mov_b32 s1, exec_lo
	v_cmpx_gt_u32_e64 s22, v29
	s_cbranch_execnz .LBB1920_139
.LBB1920_174:
	s_or_b32 exec_lo, exec_lo, s1
	s_delay_alu instid0(SALU_CYCLE_1)
	s_mov_b32 s1, exec_lo
	v_cmpx_gt_u32_e64 s22, v28
	s_cbranch_execz .LBB1920_144
.LBB1920_175:
	s_mov_b32 s2, exec_lo
                                        ; implicit-def: $vgpr9_vgpr10
	v_cmpx_ge_u32_e64 v28, v16
	s_xor_b32 s2, exec_lo, s2
	s_cbranch_execz .LBB1920_177
; %bb.176:
	s_waitcnt lgkmcnt(4)
	v_xor_b32_e32 v7, 0xfffffaff, v0
                                        ; implicit-def: $vgpr28
	s_delay_alu instid0(VALU_DEP_1) | instskip(SKIP_1) | instid1(VALU_DEP_2)
	v_ashrrev_i32_e32 v10, 31, v7
	v_add_co_u32 v9, vcc_lo, v20, v7
	v_add_co_ci_u32_e32 v10, vcc_lo, v21, v10, vcc_lo
.LBB1920_177:
	s_and_not1_saveexec_b32 s2, s2
	s_cbranch_execz .LBB1920_179
; %bb.178:
	s_waitcnt lgkmcnt(5)
	v_add_co_u32 v9, vcc_lo, v15, v28
	v_add_co_ci_u32_e32 v10, vcc_lo, 0, v17, vcc_lo
.LBB1920_179:
	s_or_b32 exec_lo, exec_lo, s2
	s_waitcnt lgkmcnt(5)
	s_delay_alu instid0(VALU_DEP_1) | instskip(NEXT) | instid1(VALU_DEP_1)
	v_lshlrev_b64 v[9:10], 2, v[9:10]
	v_add_co_u32 v9, vcc_lo, s10, v9
	s_delay_alu instid0(VALU_DEP_2) | instskip(SKIP_3) | instid1(SALU_CYCLE_1)
	v_add_co_ci_u32_e32 v10, vcc_lo, s11, v10, vcc_lo
	s_waitcnt lgkmcnt(4)
	global_store_b32 v[9:10], v8, off
	s_or_b32 exec_lo, exec_lo, s1
	s_mov_b32 s1, exec_lo
	v_cmpx_gt_u32_e64 s22, v27
	s_cbranch_execnz .LBB1920_145
.LBB1920_180:
	s_or_b32 exec_lo, exec_lo, s1
	s_delay_alu instid0(SALU_CYCLE_1)
	s_mov_b32 s1, exec_lo
	v_cmpx_gt_u32_e64 s22, v26
	s_cbranch_execz .LBB1920_150
.LBB1920_181:
	s_mov_b32 s2, exec_lo
                                        ; implicit-def: $vgpr7_vgpr8
	v_cmpx_ge_u32_e64 v26, v16
	s_xor_b32 s2, exec_lo, s2
	s_cbranch_execz .LBB1920_183
; %bb.182:
	s_waitcnt lgkmcnt(3)
	v_xor_b32_e32 v5, 0xfffff8ff, v0
                                        ; implicit-def: $vgpr26
	s_delay_alu instid0(VALU_DEP_1) | instskip(SKIP_1) | instid1(VALU_DEP_2)
	v_ashrrev_i32_e32 v8, 31, v5
	v_add_co_u32 v7, vcc_lo, v20, v5
	v_add_co_ci_u32_e32 v8, vcc_lo, v21, v8, vcc_lo
.LBB1920_183:
	s_and_not1_saveexec_b32 s2, s2
	s_cbranch_execz .LBB1920_185
; %bb.184:
	s_waitcnt lgkmcnt(4)
	v_add_co_u32 v7, vcc_lo, v15, v26
	v_add_co_ci_u32_e32 v8, vcc_lo, 0, v17, vcc_lo
.LBB1920_185:
	s_or_b32 exec_lo, exec_lo, s2
	s_waitcnt lgkmcnt(4)
	s_delay_alu instid0(VALU_DEP_1) | instskip(NEXT) | instid1(VALU_DEP_1)
	v_lshlrev_b64 v[7:8], 2, v[7:8]
	v_add_co_u32 v7, vcc_lo, s10, v7
	s_delay_alu instid0(VALU_DEP_2) | instskip(SKIP_3) | instid1(SALU_CYCLE_1)
	v_add_co_ci_u32_e32 v8, vcc_lo, s11, v8, vcc_lo
	s_waitcnt lgkmcnt(3)
	global_store_b32 v[7:8], v6, off
	s_or_b32 exec_lo, exec_lo, s1
	s_mov_b32 s1, exec_lo
	v_cmpx_gt_u32_e64 s22, v25
	s_cbranch_execnz .LBB1920_151
.LBB1920_186:
	s_or_b32 exec_lo, exec_lo, s1
	s_delay_alu instid0(SALU_CYCLE_1)
	s_mov_b32 s1, exec_lo
	v_cmpx_gt_u32_e64 s22, v24
	s_cbranch_execz .LBB1920_156
.LBB1920_187:
	s_mov_b32 s2, exec_lo
                                        ; implicit-def: $vgpr5_vgpr6
	v_cmpx_ge_u32_e64 v24, v16
	s_xor_b32 s2, exec_lo, s2
	s_cbranch_execz .LBB1920_189
; %bb.188:
	s_waitcnt lgkmcnt(2)
	v_xor_b32_e32 v3, 0xfffff6ff, v0
                                        ; implicit-def: $vgpr24
	s_delay_alu instid0(VALU_DEP_1) | instskip(SKIP_1) | instid1(VALU_DEP_2)
	v_ashrrev_i32_e32 v6, 31, v3
	v_add_co_u32 v5, vcc_lo, v20, v3
	v_add_co_ci_u32_e32 v6, vcc_lo, v21, v6, vcc_lo
.LBB1920_189:
	s_and_not1_saveexec_b32 s2, s2
	s_cbranch_execz .LBB1920_191
; %bb.190:
	s_waitcnt lgkmcnt(3)
	v_add_co_u32 v5, vcc_lo, v15, v24
	v_add_co_ci_u32_e32 v6, vcc_lo, 0, v17, vcc_lo
.LBB1920_191:
	s_or_b32 exec_lo, exec_lo, s2
	s_waitcnt lgkmcnt(3)
	s_delay_alu instid0(VALU_DEP_1) | instskip(NEXT) | instid1(VALU_DEP_1)
	v_lshlrev_b64 v[5:6], 2, v[5:6]
	v_add_co_u32 v5, vcc_lo, s10, v5
	s_delay_alu instid0(VALU_DEP_2) | instskip(SKIP_3) | instid1(SALU_CYCLE_1)
	v_add_co_ci_u32_e32 v6, vcc_lo, s11, v6, vcc_lo
	s_waitcnt lgkmcnt(2)
	global_store_b32 v[5:6], v4, off
	s_or_b32 exec_lo, exec_lo, s1
	s_mov_b32 s1, exec_lo
	v_cmpx_gt_u32_e64 s22, v23
	s_cbranch_execnz .LBB1920_157
.LBB1920_192:
	s_or_b32 exec_lo, exec_lo, s1
	s_delay_alu instid0(SALU_CYCLE_1)
	s_mov_b32 s1, exec_lo
	v_cmpx_gt_u32_e64 s22, v22
	s_cbranch_execz .LBB1920_198
.LBB1920_193:
	s_mov_b32 s2, exec_lo
                                        ; implicit-def: $vgpr3_vgpr4
	v_cmpx_ge_u32_e64 v22, v16
	s_xor_b32 s2, exec_lo, s2
	s_cbranch_execz .LBB1920_195
; %bb.194:
	s_waitcnt lgkmcnt(1)
	v_xor_b32_e32 v1, 0xfffff4ff, v0
                                        ; implicit-def: $vgpr22
	s_delay_alu instid0(VALU_DEP_1) | instskip(SKIP_1) | instid1(VALU_DEP_2)
	v_ashrrev_i32_e32 v4, 31, v1
	v_add_co_u32 v3, vcc_lo, v20, v1
	v_add_co_ci_u32_e32 v4, vcc_lo, v21, v4, vcc_lo
.LBB1920_195:
	s_and_not1_saveexec_b32 s2, s2
	s_cbranch_execz .LBB1920_197
; %bb.196:
	s_waitcnt lgkmcnt(2)
	v_add_co_u32 v3, vcc_lo, v15, v22
	v_add_co_ci_u32_e32 v4, vcc_lo, 0, v17, vcc_lo
.LBB1920_197:
	s_or_b32 exec_lo, exec_lo, s2
	s_waitcnt lgkmcnt(2)
	s_delay_alu instid0(VALU_DEP_1) | instskip(NEXT) | instid1(VALU_DEP_1)
	v_lshlrev_b64 v[3:4], 2, v[3:4]
	v_add_co_u32 v3, vcc_lo, s10, v3
	s_delay_alu instid0(VALU_DEP_2)
	v_add_co_ci_u32_e32 v4, vcc_lo, s11, v4, vcc_lo
	s_waitcnt lgkmcnt(1)
	global_store_b32 v[3:4], v2, off
.LBB1920_198:
	s_or_b32 exec_lo, exec_lo, s1
	s_delay_alu instid0(SALU_CYCLE_1)
	s_mov_b32 s1, exec_lo
                                        ; implicit-def: $vgpr13_vgpr14
	v_cmpx_gt_u32_e64 s22, v19
	s_cbranch_execz .LBB1920_204
; %bb.199:
	s_mov_b32 s2, exec_lo
                                        ; implicit-def: $vgpr13_vgpr14
	v_cmpx_ge_u32_e64 v19, v16
	s_xor_b32 s2, exec_lo, s2
	s_cbranch_execz .LBB1920_201
; %bb.200:
	s_waitcnt lgkmcnt(1)
	v_xor_b32_e32 v1, 0xfffff3ff, v0
                                        ; implicit-def: $vgpr19
	s_delay_alu instid0(VALU_DEP_1) | instskip(SKIP_1) | instid1(VALU_DEP_2)
	v_ashrrev_i32_e32 v2, 31, v1
	v_add_co_u32 v13, vcc_lo, v20, v1
	v_add_co_ci_u32_e32 v14, vcc_lo, v21, v2, vcc_lo
.LBB1920_201:
	s_and_not1_saveexec_b32 s2, s2
; %bb.202:
	v_add_co_u32 v13, vcc_lo, v15, v19
	v_add_co_ci_u32_e32 v14, vcc_lo, 0, v17, vcc_lo
; %bb.203:
	s_or_b32 exec_lo, exec_lo, s2
	s_delay_alu instid0(SALU_CYCLE_1)
	s_or_b32 s0, s0, exec_lo
.LBB1920_204:
	s_or_b32 exec_lo, exec_lo, s1
.LBB1920_205:
	s_and_saveexec_b32 s1, s0
	s_cbranch_execz .LBB1920_207
; %bb.206:
	s_waitcnt lgkmcnt(1)
	v_lshlrev_b64 v[1:2], 2, v[13:14]
	s_delay_alu instid0(VALU_DEP_1) | instskip(NEXT) | instid1(VALU_DEP_2)
	v_add_co_u32 v1, vcc_lo, s10, v1
	v_add_co_ci_u32_e32 v2, vcc_lo, s11, v2, vcc_lo
	s_waitcnt lgkmcnt(0)
	global_store_b32 v[1:2], v18, off
.LBB1920_207:
	s_or_b32 exec_lo, exec_lo, s1
	v_cmp_eq_u32_e32 vcc_lo, 0, v0
	s_and_b32 s0, vcc_lo, s14
	s_delay_alu instid0(SALU_CYCLE_1)
	s_and_saveexec_b32 s1, s0
	s_cbranch_execz .LBB1920_209
; %bb.208:
	v_add_co_u32 v0, vcc_lo, v15, v16
	s_waitcnt lgkmcnt(1)
	v_mov_b32_e32 v2, 0
	v_add_co_ci_u32_e32 v1, vcc_lo, 0, v17, vcc_lo
	global_store_b64 v2, v[0:1], s[8:9]
.LBB1920_209:
	s_nop 0
	s_sendmsg sendmsg(MSG_DEALLOC_VGPRS)
	s_endpgm
	.section	.rodata,"a",@progbits
	.p2align	6, 0x0
	.amdhsa_kernel _ZN7rocprim17ROCPRIM_400000_NS6detail17trampoline_kernelINS0_13select_configILj256ELj13ELNS0_17block_load_methodE3ELS4_3ELS4_3ELNS0_20block_scan_algorithmE0ELj4294967295EEENS1_25partition_config_selectorILNS1_17partition_subalgoE3EjNS0_10empty_typeEbEEZZNS1_14partition_implILS8_3ELb0ES6_jNS0_17counting_iteratorIjlEEPS9_SE_NS0_5tupleIJPjSE_EEENSF_IJSE_SE_EEES9_SG_JZNS1_25segmented_radix_sort_implINS0_14default_configELb1EPK12hip_bfloat16PSL_PKlPlN2at6native12_GLOBAL__N_18offset_tEEE10hipError_tPvRmT1_PNSt15iterator_traitsISZ_E10value_typeET2_T3_PNS10_IS15_E10value_typeET4_jRbjT5_S1B_jjP12ihipStream_tbEUljE_EEESW_SX_SY_S15_S19_S1B_T6_T7_T9_mT8_S1D_bDpT10_ENKUlT_T0_E_clISt17integral_constantIbLb0EES1Q_EEDaS1L_S1M_EUlS1L_E_NS1_11comp_targetILNS1_3genE9ELNS1_11target_archE1100ELNS1_3gpuE3ELNS1_3repE0EEENS1_30default_config_static_selectorELNS0_4arch9wavefront6targetE0EEEvSZ_
		.amdhsa_group_segment_fixed_size 13324
		.amdhsa_private_segment_fixed_size 0
		.amdhsa_kernarg_size 144
		.amdhsa_user_sgpr_count 15
		.amdhsa_user_sgpr_dispatch_ptr 0
		.amdhsa_user_sgpr_queue_ptr 0
		.amdhsa_user_sgpr_kernarg_segment_ptr 1
		.amdhsa_user_sgpr_dispatch_id 0
		.amdhsa_user_sgpr_private_segment_size 0
		.amdhsa_wavefront_size32 1
		.amdhsa_uses_dynamic_stack 0
		.amdhsa_enable_private_segment 0
		.amdhsa_system_sgpr_workgroup_id_x 1
		.amdhsa_system_sgpr_workgroup_id_y 0
		.amdhsa_system_sgpr_workgroup_id_z 0
		.amdhsa_system_sgpr_workgroup_info 0
		.amdhsa_system_vgpr_workitem_id 0
		.amdhsa_next_free_vgpr 57
		.amdhsa_next_free_sgpr 28
		.amdhsa_reserve_vcc 1
		.amdhsa_float_round_mode_32 0
		.amdhsa_float_round_mode_16_64 0
		.amdhsa_float_denorm_mode_32 3
		.amdhsa_float_denorm_mode_16_64 3
		.amdhsa_dx10_clamp 1
		.amdhsa_ieee_mode 1
		.amdhsa_fp16_overflow 0
		.amdhsa_workgroup_processor_mode 1
		.amdhsa_memory_ordered 1
		.amdhsa_forward_progress 0
		.amdhsa_shared_vgpr_count 0
		.amdhsa_exception_fp_ieee_invalid_op 0
		.amdhsa_exception_fp_denorm_src 0
		.amdhsa_exception_fp_ieee_div_zero 0
		.amdhsa_exception_fp_ieee_overflow 0
		.amdhsa_exception_fp_ieee_underflow 0
		.amdhsa_exception_fp_ieee_inexact 0
		.amdhsa_exception_int_div_zero 0
	.end_amdhsa_kernel
	.section	.text._ZN7rocprim17ROCPRIM_400000_NS6detail17trampoline_kernelINS0_13select_configILj256ELj13ELNS0_17block_load_methodE3ELS4_3ELS4_3ELNS0_20block_scan_algorithmE0ELj4294967295EEENS1_25partition_config_selectorILNS1_17partition_subalgoE3EjNS0_10empty_typeEbEEZZNS1_14partition_implILS8_3ELb0ES6_jNS0_17counting_iteratorIjlEEPS9_SE_NS0_5tupleIJPjSE_EEENSF_IJSE_SE_EEES9_SG_JZNS1_25segmented_radix_sort_implINS0_14default_configELb1EPK12hip_bfloat16PSL_PKlPlN2at6native12_GLOBAL__N_18offset_tEEE10hipError_tPvRmT1_PNSt15iterator_traitsISZ_E10value_typeET2_T3_PNS10_IS15_E10value_typeET4_jRbjT5_S1B_jjP12ihipStream_tbEUljE_EEESW_SX_SY_S15_S19_S1B_T6_T7_T9_mT8_S1D_bDpT10_ENKUlT_T0_E_clISt17integral_constantIbLb0EES1Q_EEDaS1L_S1M_EUlS1L_E_NS1_11comp_targetILNS1_3genE9ELNS1_11target_archE1100ELNS1_3gpuE3ELNS1_3repE0EEENS1_30default_config_static_selectorELNS0_4arch9wavefront6targetE0EEEvSZ_,"axG",@progbits,_ZN7rocprim17ROCPRIM_400000_NS6detail17trampoline_kernelINS0_13select_configILj256ELj13ELNS0_17block_load_methodE3ELS4_3ELS4_3ELNS0_20block_scan_algorithmE0ELj4294967295EEENS1_25partition_config_selectorILNS1_17partition_subalgoE3EjNS0_10empty_typeEbEEZZNS1_14partition_implILS8_3ELb0ES6_jNS0_17counting_iteratorIjlEEPS9_SE_NS0_5tupleIJPjSE_EEENSF_IJSE_SE_EEES9_SG_JZNS1_25segmented_radix_sort_implINS0_14default_configELb1EPK12hip_bfloat16PSL_PKlPlN2at6native12_GLOBAL__N_18offset_tEEE10hipError_tPvRmT1_PNSt15iterator_traitsISZ_E10value_typeET2_T3_PNS10_IS15_E10value_typeET4_jRbjT5_S1B_jjP12ihipStream_tbEUljE_EEESW_SX_SY_S15_S19_S1B_T6_T7_T9_mT8_S1D_bDpT10_ENKUlT_T0_E_clISt17integral_constantIbLb0EES1Q_EEDaS1L_S1M_EUlS1L_E_NS1_11comp_targetILNS1_3genE9ELNS1_11target_archE1100ELNS1_3gpuE3ELNS1_3repE0EEENS1_30default_config_static_selectorELNS0_4arch9wavefront6targetE0EEEvSZ_,comdat
.Lfunc_end1920:
	.size	_ZN7rocprim17ROCPRIM_400000_NS6detail17trampoline_kernelINS0_13select_configILj256ELj13ELNS0_17block_load_methodE3ELS4_3ELS4_3ELNS0_20block_scan_algorithmE0ELj4294967295EEENS1_25partition_config_selectorILNS1_17partition_subalgoE3EjNS0_10empty_typeEbEEZZNS1_14partition_implILS8_3ELb0ES6_jNS0_17counting_iteratorIjlEEPS9_SE_NS0_5tupleIJPjSE_EEENSF_IJSE_SE_EEES9_SG_JZNS1_25segmented_radix_sort_implINS0_14default_configELb1EPK12hip_bfloat16PSL_PKlPlN2at6native12_GLOBAL__N_18offset_tEEE10hipError_tPvRmT1_PNSt15iterator_traitsISZ_E10value_typeET2_T3_PNS10_IS15_E10value_typeET4_jRbjT5_S1B_jjP12ihipStream_tbEUljE_EEESW_SX_SY_S15_S19_S1B_T6_T7_T9_mT8_S1D_bDpT10_ENKUlT_T0_E_clISt17integral_constantIbLb0EES1Q_EEDaS1L_S1M_EUlS1L_E_NS1_11comp_targetILNS1_3genE9ELNS1_11target_archE1100ELNS1_3gpuE3ELNS1_3repE0EEENS1_30default_config_static_selectorELNS0_4arch9wavefront6targetE0EEEvSZ_, .Lfunc_end1920-_ZN7rocprim17ROCPRIM_400000_NS6detail17trampoline_kernelINS0_13select_configILj256ELj13ELNS0_17block_load_methodE3ELS4_3ELS4_3ELNS0_20block_scan_algorithmE0ELj4294967295EEENS1_25partition_config_selectorILNS1_17partition_subalgoE3EjNS0_10empty_typeEbEEZZNS1_14partition_implILS8_3ELb0ES6_jNS0_17counting_iteratorIjlEEPS9_SE_NS0_5tupleIJPjSE_EEENSF_IJSE_SE_EEES9_SG_JZNS1_25segmented_radix_sort_implINS0_14default_configELb1EPK12hip_bfloat16PSL_PKlPlN2at6native12_GLOBAL__N_18offset_tEEE10hipError_tPvRmT1_PNSt15iterator_traitsISZ_E10value_typeET2_T3_PNS10_IS15_E10value_typeET4_jRbjT5_S1B_jjP12ihipStream_tbEUljE_EEESW_SX_SY_S15_S19_S1B_T6_T7_T9_mT8_S1D_bDpT10_ENKUlT_T0_E_clISt17integral_constantIbLb0EES1Q_EEDaS1L_S1M_EUlS1L_E_NS1_11comp_targetILNS1_3genE9ELNS1_11target_archE1100ELNS1_3gpuE3ELNS1_3repE0EEENS1_30default_config_static_selectorELNS0_4arch9wavefront6targetE0EEEvSZ_
                                        ; -- End function
	.section	.AMDGPU.csdata,"",@progbits
; Kernel info:
; codeLenInByte = 8864
; NumSgprs: 30
; NumVgprs: 57
; ScratchSize: 0
; MemoryBound: 0
; FloatMode: 240
; IeeeMode: 1
; LDSByteSize: 13324 bytes/workgroup (compile time only)
; SGPRBlocks: 3
; VGPRBlocks: 7
; NumSGPRsForWavesPerEU: 30
; NumVGPRsForWavesPerEU: 57
; Occupancy: 16
; WaveLimiterHint : 0
; COMPUTE_PGM_RSRC2:SCRATCH_EN: 0
; COMPUTE_PGM_RSRC2:USER_SGPR: 15
; COMPUTE_PGM_RSRC2:TRAP_HANDLER: 0
; COMPUTE_PGM_RSRC2:TGID_X_EN: 1
; COMPUTE_PGM_RSRC2:TGID_Y_EN: 0
; COMPUTE_PGM_RSRC2:TGID_Z_EN: 0
; COMPUTE_PGM_RSRC2:TIDIG_COMP_CNT: 0
	.section	.text._ZN7rocprim17ROCPRIM_400000_NS6detail17trampoline_kernelINS0_13select_configILj256ELj13ELNS0_17block_load_methodE3ELS4_3ELS4_3ELNS0_20block_scan_algorithmE0ELj4294967295EEENS1_25partition_config_selectorILNS1_17partition_subalgoE3EjNS0_10empty_typeEbEEZZNS1_14partition_implILS8_3ELb0ES6_jNS0_17counting_iteratorIjlEEPS9_SE_NS0_5tupleIJPjSE_EEENSF_IJSE_SE_EEES9_SG_JZNS1_25segmented_radix_sort_implINS0_14default_configELb1EPK12hip_bfloat16PSL_PKlPlN2at6native12_GLOBAL__N_18offset_tEEE10hipError_tPvRmT1_PNSt15iterator_traitsISZ_E10value_typeET2_T3_PNS10_IS15_E10value_typeET4_jRbjT5_S1B_jjP12ihipStream_tbEUljE_EEESW_SX_SY_S15_S19_S1B_T6_T7_T9_mT8_S1D_bDpT10_ENKUlT_T0_E_clISt17integral_constantIbLb0EES1Q_EEDaS1L_S1M_EUlS1L_E_NS1_11comp_targetILNS1_3genE8ELNS1_11target_archE1030ELNS1_3gpuE2ELNS1_3repE0EEENS1_30default_config_static_selectorELNS0_4arch9wavefront6targetE0EEEvSZ_,"axG",@progbits,_ZN7rocprim17ROCPRIM_400000_NS6detail17trampoline_kernelINS0_13select_configILj256ELj13ELNS0_17block_load_methodE3ELS4_3ELS4_3ELNS0_20block_scan_algorithmE0ELj4294967295EEENS1_25partition_config_selectorILNS1_17partition_subalgoE3EjNS0_10empty_typeEbEEZZNS1_14partition_implILS8_3ELb0ES6_jNS0_17counting_iteratorIjlEEPS9_SE_NS0_5tupleIJPjSE_EEENSF_IJSE_SE_EEES9_SG_JZNS1_25segmented_radix_sort_implINS0_14default_configELb1EPK12hip_bfloat16PSL_PKlPlN2at6native12_GLOBAL__N_18offset_tEEE10hipError_tPvRmT1_PNSt15iterator_traitsISZ_E10value_typeET2_T3_PNS10_IS15_E10value_typeET4_jRbjT5_S1B_jjP12ihipStream_tbEUljE_EEESW_SX_SY_S15_S19_S1B_T6_T7_T9_mT8_S1D_bDpT10_ENKUlT_T0_E_clISt17integral_constantIbLb0EES1Q_EEDaS1L_S1M_EUlS1L_E_NS1_11comp_targetILNS1_3genE8ELNS1_11target_archE1030ELNS1_3gpuE2ELNS1_3repE0EEENS1_30default_config_static_selectorELNS0_4arch9wavefront6targetE0EEEvSZ_,comdat
	.globl	_ZN7rocprim17ROCPRIM_400000_NS6detail17trampoline_kernelINS0_13select_configILj256ELj13ELNS0_17block_load_methodE3ELS4_3ELS4_3ELNS0_20block_scan_algorithmE0ELj4294967295EEENS1_25partition_config_selectorILNS1_17partition_subalgoE3EjNS0_10empty_typeEbEEZZNS1_14partition_implILS8_3ELb0ES6_jNS0_17counting_iteratorIjlEEPS9_SE_NS0_5tupleIJPjSE_EEENSF_IJSE_SE_EEES9_SG_JZNS1_25segmented_radix_sort_implINS0_14default_configELb1EPK12hip_bfloat16PSL_PKlPlN2at6native12_GLOBAL__N_18offset_tEEE10hipError_tPvRmT1_PNSt15iterator_traitsISZ_E10value_typeET2_T3_PNS10_IS15_E10value_typeET4_jRbjT5_S1B_jjP12ihipStream_tbEUljE_EEESW_SX_SY_S15_S19_S1B_T6_T7_T9_mT8_S1D_bDpT10_ENKUlT_T0_E_clISt17integral_constantIbLb0EES1Q_EEDaS1L_S1M_EUlS1L_E_NS1_11comp_targetILNS1_3genE8ELNS1_11target_archE1030ELNS1_3gpuE2ELNS1_3repE0EEENS1_30default_config_static_selectorELNS0_4arch9wavefront6targetE0EEEvSZ_ ; -- Begin function _ZN7rocprim17ROCPRIM_400000_NS6detail17trampoline_kernelINS0_13select_configILj256ELj13ELNS0_17block_load_methodE3ELS4_3ELS4_3ELNS0_20block_scan_algorithmE0ELj4294967295EEENS1_25partition_config_selectorILNS1_17partition_subalgoE3EjNS0_10empty_typeEbEEZZNS1_14partition_implILS8_3ELb0ES6_jNS0_17counting_iteratorIjlEEPS9_SE_NS0_5tupleIJPjSE_EEENSF_IJSE_SE_EEES9_SG_JZNS1_25segmented_radix_sort_implINS0_14default_configELb1EPK12hip_bfloat16PSL_PKlPlN2at6native12_GLOBAL__N_18offset_tEEE10hipError_tPvRmT1_PNSt15iterator_traitsISZ_E10value_typeET2_T3_PNS10_IS15_E10value_typeET4_jRbjT5_S1B_jjP12ihipStream_tbEUljE_EEESW_SX_SY_S15_S19_S1B_T6_T7_T9_mT8_S1D_bDpT10_ENKUlT_T0_E_clISt17integral_constantIbLb0EES1Q_EEDaS1L_S1M_EUlS1L_E_NS1_11comp_targetILNS1_3genE8ELNS1_11target_archE1030ELNS1_3gpuE2ELNS1_3repE0EEENS1_30default_config_static_selectorELNS0_4arch9wavefront6targetE0EEEvSZ_
	.p2align	8
	.type	_ZN7rocprim17ROCPRIM_400000_NS6detail17trampoline_kernelINS0_13select_configILj256ELj13ELNS0_17block_load_methodE3ELS4_3ELS4_3ELNS0_20block_scan_algorithmE0ELj4294967295EEENS1_25partition_config_selectorILNS1_17partition_subalgoE3EjNS0_10empty_typeEbEEZZNS1_14partition_implILS8_3ELb0ES6_jNS0_17counting_iteratorIjlEEPS9_SE_NS0_5tupleIJPjSE_EEENSF_IJSE_SE_EEES9_SG_JZNS1_25segmented_radix_sort_implINS0_14default_configELb1EPK12hip_bfloat16PSL_PKlPlN2at6native12_GLOBAL__N_18offset_tEEE10hipError_tPvRmT1_PNSt15iterator_traitsISZ_E10value_typeET2_T3_PNS10_IS15_E10value_typeET4_jRbjT5_S1B_jjP12ihipStream_tbEUljE_EEESW_SX_SY_S15_S19_S1B_T6_T7_T9_mT8_S1D_bDpT10_ENKUlT_T0_E_clISt17integral_constantIbLb0EES1Q_EEDaS1L_S1M_EUlS1L_E_NS1_11comp_targetILNS1_3genE8ELNS1_11target_archE1030ELNS1_3gpuE2ELNS1_3repE0EEENS1_30default_config_static_selectorELNS0_4arch9wavefront6targetE0EEEvSZ_,@function
_ZN7rocprim17ROCPRIM_400000_NS6detail17trampoline_kernelINS0_13select_configILj256ELj13ELNS0_17block_load_methodE3ELS4_3ELS4_3ELNS0_20block_scan_algorithmE0ELj4294967295EEENS1_25partition_config_selectorILNS1_17partition_subalgoE3EjNS0_10empty_typeEbEEZZNS1_14partition_implILS8_3ELb0ES6_jNS0_17counting_iteratorIjlEEPS9_SE_NS0_5tupleIJPjSE_EEENSF_IJSE_SE_EEES9_SG_JZNS1_25segmented_radix_sort_implINS0_14default_configELb1EPK12hip_bfloat16PSL_PKlPlN2at6native12_GLOBAL__N_18offset_tEEE10hipError_tPvRmT1_PNSt15iterator_traitsISZ_E10value_typeET2_T3_PNS10_IS15_E10value_typeET4_jRbjT5_S1B_jjP12ihipStream_tbEUljE_EEESW_SX_SY_S15_S19_S1B_T6_T7_T9_mT8_S1D_bDpT10_ENKUlT_T0_E_clISt17integral_constantIbLb0EES1Q_EEDaS1L_S1M_EUlS1L_E_NS1_11comp_targetILNS1_3genE8ELNS1_11target_archE1030ELNS1_3gpuE2ELNS1_3repE0EEENS1_30default_config_static_selectorELNS0_4arch9wavefront6targetE0EEEvSZ_: ; @_ZN7rocprim17ROCPRIM_400000_NS6detail17trampoline_kernelINS0_13select_configILj256ELj13ELNS0_17block_load_methodE3ELS4_3ELS4_3ELNS0_20block_scan_algorithmE0ELj4294967295EEENS1_25partition_config_selectorILNS1_17partition_subalgoE3EjNS0_10empty_typeEbEEZZNS1_14partition_implILS8_3ELb0ES6_jNS0_17counting_iteratorIjlEEPS9_SE_NS0_5tupleIJPjSE_EEENSF_IJSE_SE_EEES9_SG_JZNS1_25segmented_radix_sort_implINS0_14default_configELb1EPK12hip_bfloat16PSL_PKlPlN2at6native12_GLOBAL__N_18offset_tEEE10hipError_tPvRmT1_PNSt15iterator_traitsISZ_E10value_typeET2_T3_PNS10_IS15_E10value_typeET4_jRbjT5_S1B_jjP12ihipStream_tbEUljE_EEESW_SX_SY_S15_S19_S1B_T6_T7_T9_mT8_S1D_bDpT10_ENKUlT_T0_E_clISt17integral_constantIbLb0EES1Q_EEDaS1L_S1M_EUlS1L_E_NS1_11comp_targetILNS1_3genE8ELNS1_11target_archE1030ELNS1_3gpuE2ELNS1_3repE0EEENS1_30default_config_static_selectorELNS0_4arch9wavefront6targetE0EEEvSZ_
; %bb.0:
	.section	.rodata,"a",@progbits
	.p2align	6, 0x0
	.amdhsa_kernel _ZN7rocprim17ROCPRIM_400000_NS6detail17trampoline_kernelINS0_13select_configILj256ELj13ELNS0_17block_load_methodE3ELS4_3ELS4_3ELNS0_20block_scan_algorithmE0ELj4294967295EEENS1_25partition_config_selectorILNS1_17partition_subalgoE3EjNS0_10empty_typeEbEEZZNS1_14partition_implILS8_3ELb0ES6_jNS0_17counting_iteratorIjlEEPS9_SE_NS0_5tupleIJPjSE_EEENSF_IJSE_SE_EEES9_SG_JZNS1_25segmented_radix_sort_implINS0_14default_configELb1EPK12hip_bfloat16PSL_PKlPlN2at6native12_GLOBAL__N_18offset_tEEE10hipError_tPvRmT1_PNSt15iterator_traitsISZ_E10value_typeET2_T3_PNS10_IS15_E10value_typeET4_jRbjT5_S1B_jjP12ihipStream_tbEUljE_EEESW_SX_SY_S15_S19_S1B_T6_T7_T9_mT8_S1D_bDpT10_ENKUlT_T0_E_clISt17integral_constantIbLb0EES1Q_EEDaS1L_S1M_EUlS1L_E_NS1_11comp_targetILNS1_3genE8ELNS1_11target_archE1030ELNS1_3gpuE2ELNS1_3repE0EEENS1_30default_config_static_selectorELNS0_4arch9wavefront6targetE0EEEvSZ_
		.amdhsa_group_segment_fixed_size 0
		.amdhsa_private_segment_fixed_size 0
		.amdhsa_kernarg_size 144
		.amdhsa_user_sgpr_count 15
		.amdhsa_user_sgpr_dispatch_ptr 0
		.amdhsa_user_sgpr_queue_ptr 0
		.amdhsa_user_sgpr_kernarg_segment_ptr 1
		.amdhsa_user_sgpr_dispatch_id 0
		.amdhsa_user_sgpr_private_segment_size 0
		.amdhsa_wavefront_size32 1
		.amdhsa_uses_dynamic_stack 0
		.amdhsa_enable_private_segment 0
		.amdhsa_system_sgpr_workgroup_id_x 1
		.amdhsa_system_sgpr_workgroup_id_y 0
		.amdhsa_system_sgpr_workgroup_id_z 0
		.amdhsa_system_sgpr_workgroup_info 0
		.amdhsa_system_vgpr_workitem_id 0
		.amdhsa_next_free_vgpr 1
		.amdhsa_next_free_sgpr 1
		.amdhsa_reserve_vcc 0
		.amdhsa_float_round_mode_32 0
		.amdhsa_float_round_mode_16_64 0
		.amdhsa_float_denorm_mode_32 3
		.amdhsa_float_denorm_mode_16_64 3
		.amdhsa_dx10_clamp 1
		.amdhsa_ieee_mode 1
		.amdhsa_fp16_overflow 0
		.amdhsa_workgroup_processor_mode 1
		.amdhsa_memory_ordered 1
		.amdhsa_forward_progress 0
		.amdhsa_shared_vgpr_count 0
		.amdhsa_exception_fp_ieee_invalid_op 0
		.amdhsa_exception_fp_denorm_src 0
		.amdhsa_exception_fp_ieee_div_zero 0
		.amdhsa_exception_fp_ieee_overflow 0
		.amdhsa_exception_fp_ieee_underflow 0
		.amdhsa_exception_fp_ieee_inexact 0
		.amdhsa_exception_int_div_zero 0
	.end_amdhsa_kernel
	.section	.text._ZN7rocprim17ROCPRIM_400000_NS6detail17trampoline_kernelINS0_13select_configILj256ELj13ELNS0_17block_load_methodE3ELS4_3ELS4_3ELNS0_20block_scan_algorithmE0ELj4294967295EEENS1_25partition_config_selectorILNS1_17partition_subalgoE3EjNS0_10empty_typeEbEEZZNS1_14partition_implILS8_3ELb0ES6_jNS0_17counting_iteratorIjlEEPS9_SE_NS0_5tupleIJPjSE_EEENSF_IJSE_SE_EEES9_SG_JZNS1_25segmented_radix_sort_implINS0_14default_configELb1EPK12hip_bfloat16PSL_PKlPlN2at6native12_GLOBAL__N_18offset_tEEE10hipError_tPvRmT1_PNSt15iterator_traitsISZ_E10value_typeET2_T3_PNS10_IS15_E10value_typeET4_jRbjT5_S1B_jjP12ihipStream_tbEUljE_EEESW_SX_SY_S15_S19_S1B_T6_T7_T9_mT8_S1D_bDpT10_ENKUlT_T0_E_clISt17integral_constantIbLb0EES1Q_EEDaS1L_S1M_EUlS1L_E_NS1_11comp_targetILNS1_3genE8ELNS1_11target_archE1030ELNS1_3gpuE2ELNS1_3repE0EEENS1_30default_config_static_selectorELNS0_4arch9wavefront6targetE0EEEvSZ_,"axG",@progbits,_ZN7rocprim17ROCPRIM_400000_NS6detail17trampoline_kernelINS0_13select_configILj256ELj13ELNS0_17block_load_methodE3ELS4_3ELS4_3ELNS0_20block_scan_algorithmE0ELj4294967295EEENS1_25partition_config_selectorILNS1_17partition_subalgoE3EjNS0_10empty_typeEbEEZZNS1_14partition_implILS8_3ELb0ES6_jNS0_17counting_iteratorIjlEEPS9_SE_NS0_5tupleIJPjSE_EEENSF_IJSE_SE_EEES9_SG_JZNS1_25segmented_radix_sort_implINS0_14default_configELb1EPK12hip_bfloat16PSL_PKlPlN2at6native12_GLOBAL__N_18offset_tEEE10hipError_tPvRmT1_PNSt15iterator_traitsISZ_E10value_typeET2_T3_PNS10_IS15_E10value_typeET4_jRbjT5_S1B_jjP12ihipStream_tbEUljE_EEESW_SX_SY_S15_S19_S1B_T6_T7_T9_mT8_S1D_bDpT10_ENKUlT_T0_E_clISt17integral_constantIbLb0EES1Q_EEDaS1L_S1M_EUlS1L_E_NS1_11comp_targetILNS1_3genE8ELNS1_11target_archE1030ELNS1_3gpuE2ELNS1_3repE0EEENS1_30default_config_static_selectorELNS0_4arch9wavefront6targetE0EEEvSZ_,comdat
.Lfunc_end1921:
	.size	_ZN7rocprim17ROCPRIM_400000_NS6detail17trampoline_kernelINS0_13select_configILj256ELj13ELNS0_17block_load_methodE3ELS4_3ELS4_3ELNS0_20block_scan_algorithmE0ELj4294967295EEENS1_25partition_config_selectorILNS1_17partition_subalgoE3EjNS0_10empty_typeEbEEZZNS1_14partition_implILS8_3ELb0ES6_jNS0_17counting_iteratorIjlEEPS9_SE_NS0_5tupleIJPjSE_EEENSF_IJSE_SE_EEES9_SG_JZNS1_25segmented_radix_sort_implINS0_14default_configELb1EPK12hip_bfloat16PSL_PKlPlN2at6native12_GLOBAL__N_18offset_tEEE10hipError_tPvRmT1_PNSt15iterator_traitsISZ_E10value_typeET2_T3_PNS10_IS15_E10value_typeET4_jRbjT5_S1B_jjP12ihipStream_tbEUljE_EEESW_SX_SY_S15_S19_S1B_T6_T7_T9_mT8_S1D_bDpT10_ENKUlT_T0_E_clISt17integral_constantIbLb0EES1Q_EEDaS1L_S1M_EUlS1L_E_NS1_11comp_targetILNS1_3genE8ELNS1_11target_archE1030ELNS1_3gpuE2ELNS1_3repE0EEENS1_30default_config_static_selectorELNS0_4arch9wavefront6targetE0EEEvSZ_, .Lfunc_end1921-_ZN7rocprim17ROCPRIM_400000_NS6detail17trampoline_kernelINS0_13select_configILj256ELj13ELNS0_17block_load_methodE3ELS4_3ELS4_3ELNS0_20block_scan_algorithmE0ELj4294967295EEENS1_25partition_config_selectorILNS1_17partition_subalgoE3EjNS0_10empty_typeEbEEZZNS1_14partition_implILS8_3ELb0ES6_jNS0_17counting_iteratorIjlEEPS9_SE_NS0_5tupleIJPjSE_EEENSF_IJSE_SE_EEES9_SG_JZNS1_25segmented_radix_sort_implINS0_14default_configELb1EPK12hip_bfloat16PSL_PKlPlN2at6native12_GLOBAL__N_18offset_tEEE10hipError_tPvRmT1_PNSt15iterator_traitsISZ_E10value_typeET2_T3_PNS10_IS15_E10value_typeET4_jRbjT5_S1B_jjP12ihipStream_tbEUljE_EEESW_SX_SY_S15_S19_S1B_T6_T7_T9_mT8_S1D_bDpT10_ENKUlT_T0_E_clISt17integral_constantIbLb0EES1Q_EEDaS1L_S1M_EUlS1L_E_NS1_11comp_targetILNS1_3genE8ELNS1_11target_archE1030ELNS1_3gpuE2ELNS1_3repE0EEENS1_30default_config_static_selectorELNS0_4arch9wavefront6targetE0EEEvSZ_
                                        ; -- End function
	.section	.AMDGPU.csdata,"",@progbits
; Kernel info:
; codeLenInByte = 0
; NumSgprs: 0
; NumVgprs: 0
; ScratchSize: 0
; MemoryBound: 0
; FloatMode: 240
; IeeeMode: 1
; LDSByteSize: 0 bytes/workgroup (compile time only)
; SGPRBlocks: 0
; VGPRBlocks: 0
; NumSGPRsForWavesPerEU: 1
; NumVGPRsForWavesPerEU: 1
; Occupancy: 16
; WaveLimiterHint : 0
; COMPUTE_PGM_RSRC2:SCRATCH_EN: 0
; COMPUTE_PGM_RSRC2:USER_SGPR: 15
; COMPUTE_PGM_RSRC2:TRAP_HANDLER: 0
; COMPUTE_PGM_RSRC2:TGID_X_EN: 1
; COMPUTE_PGM_RSRC2:TGID_Y_EN: 0
; COMPUTE_PGM_RSRC2:TGID_Z_EN: 0
; COMPUTE_PGM_RSRC2:TIDIG_COMP_CNT: 0
	.section	.text._ZN7rocprim17ROCPRIM_400000_NS6detail17trampoline_kernelINS0_13select_configILj256ELj13ELNS0_17block_load_methodE3ELS4_3ELS4_3ELNS0_20block_scan_algorithmE0ELj4294967295EEENS1_25partition_config_selectorILNS1_17partition_subalgoE3EjNS0_10empty_typeEbEEZZNS1_14partition_implILS8_3ELb0ES6_jNS0_17counting_iteratorIjlEEPS9_SE_NS0_5tupleIJPjSE_EEENSF_IJSE_SE_EEES9_SG_JZNS1_25segmented_radix_sort_implINS0_14default_configELb1EPK12hip_bfloat16PSL_PKlPlN2at6native12_GLOBAL__N_18offset_tEEE10hipError_tPvRmT1_PNSt15iterator_traitsISZ_E10value_typeET2_T3_PNS10_IS15_E10value_typeET4_jRbjT5_S1B_jjP12ihipStream_tbEUljE_EEESW_SX_SY_S15_S19_S1B_T6_T7_T9_mT8_S1D_bDpT10_ENKUlT_T0_E_clISt17integral_constantIbLb1EES1Q_EEDaS1L_S1M_EUlS1L_E_NS1_11comp_targetILNS1_3genE0ELNS1_11target_archE4294967295ELNS1_3gpuE0ELNS1_3repE0EEENS1_30default_config_static_selectorELNS0_4arch9wavefront6targetE0EEEvSZ_,"axG",@progbits,_ZN7rocprim17ROCPRIM_400000_NS6detail17trampoline_kernelINS0_13select_configILj256ELj13ELNS0_17block_load_methodE3ELS4_3ELS4_3ELNS0_20block_scan_algorithmE0ELj4294967295EEENS1_25partition_config_selectorILNS1_17partition_subalgoE3EjNS0_10empty_typeEbEEZZNS1_14partition_implILS8_3ELb0ES6_jNS0_17counting_iteratorIjlEEPS9_SE_NS0_5tupleIJPjSE_EEENSF_IJSE_SE_EEES9_SG_JZNS1_25segmented_radix_sort_implINS0_14default_configELb1EPK12hip_bfloat16PSL_PKlPlN2at6native12_GLOBAL__N_18offset_tEEE10hipError_tPvRmT1_PNSt15iterator_traitsISZ_E10value_typeET2_T3_PNS10_IS15_E10value_typeET4_jRbjT5_S1B_jjP12ihipStream_tbEUljE_EEESW_SX_SY_S15_S19_S1B_T6_T7_T9_mT8_S1D_bDpT10_ENKUlT_T0_E_clISt17integral_constantIbLb1EES1Q_EEDaS1L_S1M_EUlS1L_E_NS1_11comp_targetILNS1_3genE0ELNS1_11target_archE4294967295ELNS1_3gpuE0ELNS1_3repE0EEENS1_30default_config_static_selectorELNS0_4arch9wavefront6targetE0EEEvSZ_,comdat
	.globl	_ZN7rocprim17ROCPRIM_400000_NS6detail17trampoline_kernelINS0_13select_configILj256ELj13ELNS0_17block_load_methodE3ELS4_3ELS4_3ELNS0_20block_scan_algorithmE0ELj4294967295EEENS1_25partition_config_selectorILNS1_17partition_subalgoE3EjNS0_10empty_typeEbEEZZNS1_14partition_implILS8_3ELb0ES6_jNS0_17counting_iteratorIjlEEPS9_SE_NS0_5tupleIJPjSE_EEENSF_IJSE_SE_EEES9_SG_JZNS1_25segmented_radix_sort_implINS0_14default_configELb1EPK12hip_bfloat16PSL_PKlPlN2at6native12_GLOBAL__N_18offset_tEEE10hipError_tPvRmT1_PNSt15iterator_traitsISZ_E10value_typeET2_T3_PNS10_IS15_E10value_typeET4_jRbjT5_S1B_jjP12ihipStream_tbEUljE_EEESW_SX_SY_S15_S19_S1B_T6_T7_T9_mT8_S1D_bDpT10_ENKUlT_T0_E_clISt17integral_constantIbLb1EES1Q_EEDaS1L_S1M_EUlS1L_E_NS1_11comp_targetILNS1_3genE0ELNS1_11target_archE4294967295ELNS1_3gpuE0ELNS1_3repE0EEENS1_30default_config_static_selectorELNS0_4arch9wavefront6targetE0EEEvSZ_ ; -- Begin function _ZN7rocprim17ROCPRIM_400000_NS6detail17trampoline_kernelINS0_13select_configILj256ELj13ELNS0_17block_load_methodE3ELS4_3ELS4_3ELNS0_20block_scan_algorithmE0ELj4294967295EEENS1_25partition_config_selectorILNS1_17partition_subalgoE3EjNS0_10empty_typeEbEEZZNS1_14partition_implILS8_3ELb0ES6_jNS0_17counting_iteratorIjlEEPS9_SE_NS0_5tupleIJPjSE_EEENSF_IJSE_SE_EEES9_SG_JZNS1_25segmented_radix_sort_implINS0_14default_configELb1EPK12hip_bfloat16PSL_PKlPlN2at6native12_GLOBAL__N_18offset_tEEE10hipError_tPvRmT1_PNSt15iterator_traitsISZ_E10value_typeET2_T3_PNS10_IS15_E10value_typeET4_jRbjT5_S1B_jjP12ihipStream_tbEUljE_EEESW_SX_SY_S15_S19_S1B_T6_T7_T9_mT8_S1D_bDpT10_ENKUlT_T0_E_clISt17integral_constantIbLb1EES1Q_EEDaS1L_S1M_EUlS1L_E_NS1_11comp_targetILNS1_3genE0ELNS1_11target_archE4294967295ELNS1_3gpuE0ELNS1_3repE0EEENS1_30default_config_static_selectorELNS0_4arch9wavefront6targetE0EEEvSZ_
	.p2align	8
	.type	_ZN7rocprim17ROCPRIM_400000_NS6detail17trampoline_kernelINS0_13select_configILj256ELj13ELNS0_17block_load_methodE3ELS4_3ELS4_3ELNS0_20block_scan_algorithmE0ELj4294967295EEENS1_25partition_config_selectorILNS1_17partition_subalgoE3EjNS0_10empty_typeEbEEZZNS1_14partition_implILS8_3ELb0ES6_jNS0_17counting_iteratorIjlEEPS9_SE_NS0_5tupleIJPjSE_EEENSF_IJSE_SE_EEES9_SG_JZNS1_25segmented_radix_sort_implINS0_14default_configELb1EPK12hip_bfloat16PSL_PKlPlN2at6native12_GLOBAL__N_18offset_tEEE10hipError_tPvRmT1_PNSt15iterator_traitsISZ_E10value_typeET2_T3_PNS10_IS15_E10value_typeET4_jRbjT5_S1B_jjP12ihipStream_tbEUljE_EEESW_SX_SY_S15_S19_S1B_T6_T7_T9_mT8_S1D_bDpT10_ENKUlT_T0_E_clISt17integral_constantIbLb1EES1Q_EEDaS1L_S1M_EUlS1L_E_NS1_11comp_targetILNS1_3genE0ELNS1_11target_archE4294967295ELNS1_3gpuE0ELNS1_3repE0EEENS1_30default_config_static_selectorELNS0_4arch9wavefront6targetE0EEEvSZ_,@function
_ZN7rocprim17ROCPRIM_400000_NS6detail17trampoline_kernelINS0_13select_configILj256ELj13ELNS0_17block_load_methodE3ELS4_3ELS4_3ELNS0_20block_scan_algorithmE0ELj4294967295EEENS1_25partition_config_selectorILNS1_17partition_subalgoE3EjNS0_10empty_typeEbEEZZNS1_14partition_implILS8_3ELb0ES6_jNS0_17counting_iteratorIjlEEPS9_SE_NS0_5tupleIJPjSE_EEENSF_IJSE_SE_EEES9_SG_JZNS1_25segmented_radix_sort_implINS0_14default_configELb1EPK12hip_bfloat16PSL_PKlPlN2at6native12_GLOBAL__N_18offset_tEEE10hipError_tPvRmT1_PNSt15iterator_traitsISZ_E10value_typeET2_T3_PNS10_IS15_E10value_typeET4_jRbjT5_S1B_jjP12ihipStream_tbEUljE_EEESW_SX_SY_S15_S19_S1B_T6_T7_T9_mT8_S1D_bDpT10_ENKUlT_T0_E_clISt17integral_constantIbLb1EES1Q_EEDaS1L_S1M_EUlS1L_E_NS1_11comp_targetILNS1_3genE0ELNS1_11target_archE4294967295ELNS1_3gpuE0ELNS1_3repE0EEENS1_30default_config_static_selectorELNS0_4arch9wavefront6targetE0EEEvSZ_: ; @_ZN7rocprim17ROCPRIM_400000_NS6detail17trampoline_kernelINS0_13select_configILj256ELj13ELNS0_17block_load_methodE3ELS4_3ELS4_3ELNS0_20block_scan_algorithmE0ELj4294967295EEENS1_25partition_config_selectorILNS1_17partition_subalgoE3EjNS0_10empty_typeEbEEZZNS1_14partition_implILS8_3ELb0ES6_jNS0_17counting_iteratorIjlEEPS9_SE_NS0_5tupleIJPjSE_EEENSF_IJSE_SE_EEES9_SG_JZNS1_25segmented_radix_sort_implINS0_14default_configELb1EPK12hip_bfloat16PSL_PKlPlN2at6native12_GLOBAL__N_18offset_tEEE10hipError_tPvRmT1_PNSt15iterator_traitsISZ_E10value_typeET2_T3_PNS10_IS15_E10value_typeET4_jRbjT5_S1B_jjP12ihipStream_tbEUljE_EEESW_SX_SY_S15_S19_S1B_T6_T7_T9_mT8_S1D_bDpT10_ENKUlT_T0_E_clISt17integral_constantIbLb1EES1Q_EEDaS1L_S1M_EUlS1L_E_NS1_11comp_targetILNS1_3genE0ELNS1_11target_archE4294967295ELNS1_3gpuE0ELNS1_3repE0EEENS1_30default_config_static_selectorELNS0_4arch9wavefront6targetE0EEEvSZ_
; %bb.0:
	.section	.rodata,"a",@progbits
	.p2align	6, 0x0
	.amdhsa_kernel _ZN7rocprim17ROCPRIM_400000_NS6detail17trampoline_kernelINS0_13select_configILj256ELj13ELNS0_17block_load_methodE3ELS4_3ELS4_3ELNS0_20block_scan_algorithmE0ELj4294967295EEENS1_25partition_config_selectorILNS1_17partition_subalgoE3EjNS0_10empty_typeEbEEZZNS1_14partition_implILS8_3ELb0ES6_jNS0_17counting_iteratorIjlEEPS9_SE_NS0_5tupleIJPjSE_EEENSF_IJSE_SE_EEES9_SG_JZNS1_25segmented_radix_sort_implINS0_14default_configELb1EPK12hip_bfloat16PSL_PKlPlN2at6native12_GLOBAL__N_18offset_tEEE10hipError_tPvRmT1_PNSt15iterator_traitsISZ_E10value_typeET2_T3_PNS10_IS15_E10value_typeET4_jRbjT5_S1B_jjP12ihipStream_tbEUljE_EEESW_SX_SY_S15_S19_S1B_T6_T7_T9_mT8_S1D_bDpT10_ENKUlT_T0_E_clISt17integral_constantIbLb1EES1Q_EEDaS1L_S1M_EUlS1L_E_NS1_11comp_targetILNS1_3genE0ELNS1_11target_archE4294967295ELNS1_3gpuE0ELNS1_3repE0EEENS1_30default_config_static_selectorELNS0_4arch9wavefront6targetE0EEEvSZ_
		.amdhsa_group_segment_fixed_size 0
		.amdhsa_private_segment_fixed_size 0
		.amdhsa_kernarg_size 152
		.amdhsa_user_sgpr_count 15
		.amdhsa_user_sgpr_dispatch_ptr 0
		.amdhsa_user_sgpr_queue_ptr 0
		.amdhsa_user_sgpr_kernarg_segment_ptr 1
		.amdhsa_user_sgpr_dispatch_id 0
		.amdhsa_user_sgpr_private_segment_size 0
		.amdhsa_wavefront_size32 1
		.amdhsa_uses_dynamic_stack 0
		.amdhsa_enable_private_segment 0
		.amdhsa_system_sgpr_workgroup_id_x 1
		.amdhsa_system_sgpr_workgroup_id_y 0
		.amdhsa_system_sgpr_workgroup_id_z 0
		.amdhsa_system_sgpr_workgroup_info 0
		.amdhsa_system_vgpr_workitem_id 0
		.amdhsa_next_free_vgpr 1
		.amdhsa_next_free_sgpr 1
		.amdhsa_reserve_vcc 0
		.amdhsa_float_round_mode_32 0
		.amdhsa_float_round_mode_16_64 0
		.amdhsa_float_denorm_mode_32 3
		.amdhsa_float_denorm_mode_16_64 3
		.amdhsa_dx10_clamp 1
		.amdhsa_ieee_mode 1
		.amdhsa_fp16_overflow 0
		.amdhsa_workgroup_processor_mode 1
		.amdhsa_memory_ordered 1
		.amdhsa_forward_progress 0
		.amdhsa_shared_vgpr_count 0
		.amdhsa_exception_fp_ieee_invalid_op 0
		.amdhsa_exception_fp_denorm_src 0
		.amdhsa_exception_fp_ieee_div_zero 0
		.amdhsa_exception_fp_ieee_overflow 0
		.amdhsa_exception_fp_ieee_underflow 0
		.amdhsa_exception_fp_ieee_inexact 0
		.amdhsa_exception_int_div_zero 0
	.end_amdhsa_kernel
	.section	.text._ZN7rocprim17ROCPRIM_400000_NS6detail17trampoline_kernelINS0_13select_configILj256ELj13ELNS0_17block_load_methodE3ELS4_3ELS4_3ELNS0_20block_scan_algorithmE0ELj4294967295EEENS1_25partition_config_selectorILNS1_17partition_subalgoE3EjNS0_10empty_typeEbEEZZNS1_14partition_implILS8_3ELb0ES6_jNS0_17counting_iteratorIjlEEPS9_SE_NS0_5tupleIJPjSE_EEENSF_IJSE_SE_EEES9_SG_JZNS1_25segmented_radix_sort_implINS0_14default_configELb1EPK12hip_bfloat16PSL_PKlPlN2at6native12_GLOBAL__N_18offset_tEEE10hipError_tPvRmT1_PNSt15iterator_traitsISZ_E10value_typeET2_T3_PNS10_IS15_E10value_typeET4_jRbjT5_S1B_jjP12ihipStream_tbEUljE_EEESW_SX_SY_S15_S19_S1B_T6_T7_T9_mT8_S1D_bDpT10_ENKUlT_T0_E_clISt17integral_constantIbLb1EES1Q_EEDaS1L_S1M_EUlS1L_E_NS1_11comp_targetILNS1_3genE0ELNS1_11target_archE4294967295ELNS1_3gpuE0ELNS1_3repE0EEENS1_30default_config_static_selectorELNS0_4arch9wavefront6targetE0EEEvSZ_,"axG",@progbits,_ZN7rocprim17ROCPRIM_400000_NS6detail17trampoline_kernelINS0_13select_configILj256ELj13ELNS0_17block_load_methodE3ELS4_3ELS4_3ELNS0_20block_scan_algorithmE0ELj4294967295EEENS1_25partition_config_selectorILNS1_17partition_subalgoE3EjNS0_10empty_typeEbEEZZNS1_14partition_implILS8_3ELb0ES6_jNS0_17counting_iteratorIjlEEPS9_SE_NS0_5tupleIJPjSE_EEENSF_IJSE_SE_EEES9_SG_JZNS1_25segmented_radix_sort_implINS0_14default_configELb1EPK12hip_bfloat16PSL_PKlPlN2at6native12_GLOBAL__N_18offset_tEEE10hipError_tPvRmT1_PNSt15iterator_traitsISZ_E10value_typeET2_T3_PNS10_IS15_E10value_typeET4_jRbjT5_S1B_jjP12ihipStream_tbEUljE_EEESW_SX_SY_S15_S19_S1B_T6_T7_T9_mT8_S1D_bDpT10_ENKUlT_T0_E_clISt17integral_constantIbLb1EES1Q_EEDaS1L_S1M_EUlS1L_E_NS1_11comp_targetILNS1_3genE0ELNS1_11target_archE4294967295ELNS1_3gpuE0ELNS1_3repE0EEENS1_30default_config_static_selectorELNS0_4arch9wavefront6targetE0EEEvSZ_,comdat
.Lfunc_end1922:
	.size	_ZN7rocprim17ROCPRIM_400000_NS6detail17trampoline_kernelINS0_13select_configILj256ELj13ELNS0_17block_load_methodE3ELS4_3ELS4_3ELNS0_20block_scan_algorithmE0ELj4294967295EEENS1_25partition_config_selectorILNS1_17partition_subalgoE3EjNS0_10empty_typeEbEEZZNS1_14partition_implILS8_3ELb0ES6_jNS0_17counting_iteratorIjlEEPS9_SE_NS0_5tupleIJPjSE_EEENSF_IJSE_SE_EEES9_SG_JZNS1_25segmented_radix_sort_implINS0_14default_configELb1EPK12hip_bfloat16PSL_PKlPlN2at6native12_GLOBAL__N_18offset_tEEE10hipError_tPvRmT1_PNSt15iterator_traitsISZ_E10value_typeET2_T3_PNS10_IS15_E10value_typeET4_jRbjT5_S1B_jjP12ihipStream_tbEUljE_EEESW_SX_SY_S15_S19_S1B_T6_T7_T9_mT8_S1D_bDpT10_ENKUlT_T0_E_clISt17integral_constantIbLb1EES1Q_EEDaS1L_S1M_EUlS1L_E_NS1_11comp_targetILNS1_3genE0ELNS1_11target_archE4294967295ELNS1_3gpuE0ELNS1_3repE0EEENS1_30default_config_static_selectorELNS0_4arch9wavefront6targetE0EEEvSZ_, .Lfunc_end1922-_ZN7rocprim17ROCPRIM_400000_NS6detail17trampoline_kernelINS0_13select_configILj256ELj13ELNS0_17block_load_methodE3ELS4_3ELS4_3ELNS0_20block_scan_algorithmE0ELj4294967295EEENS1_25partition_config_selectorILNS1_17partition_subalgoE3EjNS0_10empty_typeEbEEZZNS1_14partition_implILS8_3ELb0ES6_jNS0_17counting_iteratorIjlEEPS9_SE_NS0_5tupleIJPjSE_EEENSF_IJSE_SE_EEES9_SG_JZNS1_25segmented_radix_sort_implINS0_14default_configELb1EPK12hip_bfloat16PSL_PKlPlN2at6native12_GLOBAL__N_18offset_tEEE10hipError_tPvRmT1_PNSt15iterator_traitsISZ_E10value_typeET2_T3_PNS10_IS15_E10value_typeET4_jRbjT5_S1B_jjP12ihipStream_tbEUljE_EEESW_SX_SY_S15_S19_S1B_T6_T7_T9_mT8_S1D_bDpT10_ENKUlT_T0_E_clISt17integral_constantIbLb1EES1Q_EEDaS1L_S1M_EUlS1L_E_NS1_11comp_targetILNS1_3genE0ELNS1_11target_archE4294967295ELNS1_3gpuE0ELNS1_3repE0EEENS1_30default_config_static_selectorELNS0_4arch9wavefront6targetE0EEEvSZ_
                                        ; -- End function
	.section	.AMDGPU.csdata,"",@progbits
; Kernel info:
; codeLenInByte = 0
; NumSgprs: 0
; NumVgprs: 0
; ScratchSize: 0
; MemoryBound: 0
; FloatMode: 240
; IeeeMode: 1
; LDSByteSize: 0 bytes/workgroup (compile time only)
; SGPRBlocks: 0
; VGPRBlocks: 0
; NumSGPRsForWavesPerEU: 1
; NumVGPRsForWavesPerEU: 1
; Occupancy: 16
; WaveLimiterHint : 0
; COMPUTE_PGM_RSRC2:SCRATCH_EN: 0
; COMPUTE_PGM_RSRC2:USER_SGPR: 15
; COMPUTE_PGM_RSRC2:TRAP_HANDLER: 0
; COMPUTE_PGM_RSRC2:TGID_X_EN: 1
; COMPUTE_PGM_RSRC2:TGID_Y_EN: 0
; COMPUTE_PGM_RSRC2:TGID_Z_EN: 0
; COMPUTE_PGM_RSRC2:TIDIG_COMP_CNT: 0
	.section	.text._ZN7rocprim17ROCPRIM_400000_NS6detail17trampoline_kernelINS0_13select_configILj256ELj13ELNS0_17block_load_methodE3ELS4_3ELS4_3ELNS0_20block_scan_algorithmE0ELj4294967295EEENS1_25partition_config_selectorILNS1_17partition_subalgoE3EjNS0_10empty_typeEbEEZZNS1_14partition_implILS8_3ELb0ES6_jNS0_17counting_iteratorIjlEEPS9_SE_NS0_5tupleIJPjSE_EEENSF_IJSE_SE_EEES9_SG_JZNS1_25segmented_radix_sort_implINS0_14default_configELb1EPK12hip_bfloat16PSL_PKlPlN2at6native12_GLOBAL__N_18offset_tEEE10hipError_tPvRmT1_PNSt15iterator_traitsISZ_E10value_typeET2_T3_PNS10_IS15_E10value_typeET4_jRbjT5_S1B_jjP12ihipStream_tbEUljE_EEESW_SX_SY_S15_S19_S1B_T6_T7_T9_mT8_S1D_bDpT10_ENKUlT_T0_E_clISt17integral_constantIbLb1EES1Q_EEDaS1L_S1M_EUlS1L_E_NS1_11comp_targetILNS1_3genE5ELNS1_11target_archE942ELNS1_3gpuE9ELNS1_3repE0EEENS1_30default_config_static_selectorELNS0_4arch9wavefront6targetE0EEEvSZ_,"axG",@progbits,_ZN7rocprim17ROCPRIM_400000_NS6detail17trampoline_kernelINS0_13select_configILj256ELj13ELNS0_17block_load_methodE3ELS4_3ELS4_3ELNS0_20block_scan_algorithmE0ELj4294967295EEENS1_25partition_config_selectorILNS1_17partition_subalgoE3EjNS0_10empty_typeEbEEZZNS1_14partition_implILS8_3ELb0ES6_jNS0_17counting_iteratorIjlEEPS9_SE_NS0_5tupleIJPjSE_EEENSF_IJSE_SE_EEES9_SG_JZNS1_25segmented_radix_sort_implINS0_14default_configELb1EPK12hip_bfloat16PSL_PKlPlN2at6native12_GLOBAL__N_18offset_tEEE10hipError_tPvRmT1_PNSt15iterator_traitsISZ_E10value_typeET2_T3_PNS10_IS15_E10value_typeET4_jRbjT5_S1B_jjP12ihipStream_tbEUljE_EEESW_SX_SY_S15_S19_S1B_T6_T7_T9_mT8_S1D_bDpT10_ENKUlT_T0_E_clISt17integral_constantIbLb1EES1Q_EEDaS1L_S1M_EUlS1L_E_NS1_11comp_targetILNS1_3genE5ELNS1_11target_archE942ELNS1_3gpuE9ELNS1_3repE0EEENS1_30default_config_static_selectorELNS0_4arch9wavefront6targetE0EEEvSZ_,comdat
	.globl	_ZN7rocprim17ROCPRIM_400000_NS6detail17trampoline_kernelINS0_13select_configILj256ELj13ELNS0_17block_load_methodE3ELS4_3ELS4_3ELNS0_20block_scan_algorithmE0ELj4294967295EEENS1_25partition_config_selectorILNS1_17partition_subalgoE3EjNS0_10empty_typeEbEEZZNS1_14partition_implILS8_3ELb0ES6_jNS0_17counting_iteratorIjlEEPS9_SE_NS0_5tupleIJPjSE_EEENSF_IJSE_SE_EEES9_SG_JZNS1_25segmented_radix_sort_implINS0_14default_configELb1EPK12hip_bfloat16PSL_PKlPlN2at6native12_GLOBAL__N_18offset_tEEE10hipError_tPvRmT1_PNSt15iterator_traitsISZ_E10value_typeET2_T3_PNS10_IS15_E10value_typeET4_jRbjT5_S1B_jjP12ihipStream_tbEUljE_EEESW_SX_SY_S15_S19_S1B_T6_T7_T9_mT8_S1D_bDpT10_ENKUlT_T0_E_clISt17integral_constantIbLb1EES1Q_EEDaS1L_S1M_EUlS1L_E_NS1_11comp_targetILNS1_3genE5ELNS1_11target_archE942ELNS1_3gpuE9ELNS1_3repE0EEENS1_30default_config_static_selectorELNS0_4arch9wavefront6targetE0EEEvSZ_ ; -- Begin function _ZN7rocprim17ROCPRIM_400000_NS6detail17trampoline_kernelINS0_13select_configILj256ELj13ELNS0_17block_load_methodE3ELS4_3ELS4_3ELNS0_20block_scan_algorithmE0ELj4294967295EEENS1_25partition_config_selectorILNS1_17partition_subalgoE3EjNS0_10empty_typeEbEEZZNS1_14partition_implILS8_3ELb0ES6_jNS0_17counting_iteratorIjlEEPS9_SE_NS0_5tupleIJPjSE_EEENSF_IJSE_SE_EEES9_SG_JZNS1_25segmented_radix_sort_implINS0_14default_configELb1EPK12hip_bfloat16PSL_PKlPlN2at6native12_GLOBAL__N_18offset_tEEE10hipError_tPvRmT1_PNSt15iterator_traitsISZ_E10value_typeET2_T3_PNS10_IS15_E10value_typeET4_jRbjT5_S1B_jjP12ihipStream_tbEUljE_EEESW_SX_SY_S15_S19_S1B_T6_T7_T9_mT8_S1D_bDpT10_ENKUlT_T0_E_clISt17integral_constantIbLb1EES1Q_EEDaS1L_S1M_EUlS1L_E_NS1_11comp_targetILNS1_3genE5ELNS1_11target_archE942ELNS1_3gpuE9ELNS1_3repE0EEENS1_30default_config_static_selectorELNS0_4arch9wavefront6targetE0EEEvSZ_
	.p2align	8
	.type	_ZN7rocprim17ROCPRIM_400000_NS6detail17trampoline_kernelINS0_13select_configILj256ELj13ELNS0_17block_load_methodE3ELS4_3ELS4_3ELNS0_20block_scan_algorithmE0ELj4294967295EEENS1_25partition_config_selectorILNS1_17partition_subalgoE3EjNS0_10empty_typeEbEEZZNS1_14partition_implILS8_3ELb0ES6_jNS0_17counting_iteratorIjlEEPS9_SE_NS0_5tupleIJPjSE_EEENSF_IJSE_SE_EEES9_SG_JZNS1_25segmented_radix_sort_implINS0_14default_configELb1EPK12hip_bfloat16PSL_PKlPlN2at6native12_GLOBAL__N_18offset_tEEE10hipError_tPvRmT1_PNSt15iterator_traitsISZ_E10value_typeET2_T3_PNS10_IS15_E10value_typeET4_jRbjT5_S1B_jjP12ihipStream_tbEUljE_EEESW_SX_SY_S15_S19_S1B_T6_T7_T9_mT8_S1D_bDpT10_ENKUlT_T0_E_clISt17integral_constantIbLb1EES1Q_EEDaS1L_S1M_EUlS1L_E_NS1_11comp_targetILNS1_3genE5ELNS1_11target_archE942ELNS1_3gpuE9ELNS1_3repE0EEENS1_30default_config_static_selectorELNS0_4arch9wavefront6targetE0EEEvSZ_,@function
_ZN7rocprim17ROCPRIM_400000_NS6detail17trampoline_kernelINS0_13select_configILj256ELj13ELNS0_17block_load_methodE3ELS4_3ELS4_3ELNS0_20block_scan_algorithmE0ELj4294967295EEENS1_25partition_config_selectorILNS1_17partition_subalgoE3EjNS0_10empty_typeEbEEZZNS1_14partition_implILS8_3ELb0ES6_jNS0_17counting_iteratorIjlEEPS9_SE_NS0_5tupleIJPjSE_EEENSF_IJSE_SE_EEES9_SG_JZNS1_25segmented_radix_sort_implINS0_14default_configELb1EPK12hip_bfloat16PSL_PKlPlN2at6native12_GLOBAL__N_18offset_tEEE10hipError_tPvRmT1_PNSt15iterator_traitsISZ_E10value_typeET2_T3_PNS10_IS15_E10value_typeET4_jRbjT5_S1B_jjP12ihipStream_tbEUljE_EEESW_SX_SY_S15_S19_S1B_T6_T7_T9_mT8_S1D_bDpT10_ENKUlT_T0_E_clISt17integral_constantIbLb1EES1Q_EEDaS1L_S1M_EUlS1L_E_NS1_11comp_targetILNS1_3genE5ELNS1_11target_archE942ELNS1_3gpuE9ELNS1_3repE0EEENS1_30default_config_static_selectorELNS0_4arch9wavefront6targetE0EEEvSZ_: ; @_ZN7rocprim17ROCPRIM_400000_NS6detail17trampoline_kernelINS0_13select_configILj256ELj13ELNS0_17block_load_methodE3ELS4_3ELS4_3ELNS0_20block_scan_algorithmE0ELj4294967295EEENS1_25partition_config_selectorILNS1_17partition_subalgoE3EjNS0_10empty_typeEbEEZZNS1_14partition_implILS8_3ELb0ES6_jNS0_17counting_iteratorIjlEEPS9_SE_NS0_5tupleIJPjSE_EEENSF_IJSE_SE_EEES9_SG_JZNS1_25segmented_radix_sort_implINS0_14default_configELb1EPK12hip_bfloat16PSL_PKlPlN2at6native12_GLOBAL__N_18offset_tEEE10hipError_tPvRmT1_PNSt15iterator_traitsISZ_E10value_typeET2_T3_PNS10_IS15_E10value_typeET4_jRbjT5_S1B_jjP12ihipStream_tbEUljE_EEESW_SX_SY_S15_S19_S1B_T6_T7_T9_mT8_S1D_bDpT10_ENKUlT_T0_E_clISt17integral_constantIbLb1EES1Q_EEDaS1L_S1M_EUlS1L_E_NS1_11comp_targetILNS1_3genE5ELNS1_11target_archE942ELNS1_3gpuE9ELNS1_3repE0EEENS1_30default_config_static_selectorELNS0_4arch9wavefront6targetE0EEEvSZ_
; %bb.0:
	.section	.rodata,"a",@progbits
	.p2align	6, 0x0
	.amdhsa_kernel _ZN7rocprim17ROCPRIM_400000_NS6detail17trampoline_kernelINS0_13select_configILj256ELj13ELNS0_17block_load_methodE3ELS4_3ELS4_3ELNS0_20block_scan_algorithmE0ELj4294967295EEENS1_25partition_config_selectorILNS1_17partition_subalgoE3EjNS0_10empty_typeEbEEZZNS1_14partition_implILS8_3ELb0ES6_jNS0_17counting_iteratorIjlEEPS9_SE_NS0_5tupleIJPjSE_EEENSF_IJSE_SE_EEES9_SG_JZNS1_25segmented_radix_sort_implINS0_14default_configELb1EPK12hip_bfloat16PSL_PKlPlN2at6native12_GLOBAL__N_18offset_tEEE10hipError_tPvRmT1_PNSt15iterator_traitsISZ_E10value_typeET2_T3_PNS10_IS15_E10value_typeET4_jRbjT5_S1B_jjP12ihipStream_tbEUljE_EEESW_SX_SY_S15_S19_S1B_T6_T7_T9_mT8_S1D_bDpT10_ENKUlT_T0_E_clISt17integral_constantIbLb1EES1Q_EEDaS1L_S1M_EUlS1L_E_NS1_11comp_targetILNS1_3genE5ELNS1_11target_archE942ELNS1_3gpuE9ELNS1_3repE0EEENS1_30default_config_static_selectorELNS0_4arch9wavefront6targetE0EEEvSZ_
		.amdhsa_group_segment_fixed_size 0
		.amdhsa_private_segment_fixed_size 0
		.amdhsa_kernarg_size 152
		.amdhsa_user_sgpr_count 15
		.amdhsa_user_sgpr_dispatch_ptr 0
		.amdhsa_user_sgpr_queue_ptr 0
		.amdhsa_user_sgpr_kernarg_segment_ptr 1
		.amdhsa_user_sgpr_dispatch_id 0
		.amdhsa_user_sgpr_private_segment_size 0
		.amdhsa_wavefront_size32 1
		.amdhsa_uses_dynamic_stack 0
		.amdhsa_enable_private_segment 0
		.amdhsa_system_sgpr_workgroup_id_x 1
		.amdhsa_system_sgpr_workgroup_id_y 0
		.amdhsa_system_sgpr_workgroup_id_z 0
		.amdhsa_system_sgpr_workgroup_info 0
		.amdhsa_system_vgpr_workitem_id 0
		.amdhsa_next_free_vgpr 1
		.amdhsa_next_free_sgpr 1
		.amdhsa_reserve_vcc 0
		.amdhsa_float_round_mode_32 0
		.amdhsa_float_round_mode_16_64 0
		.amdhsa_float_denorm_mode_32 3
		.amdhsa_float_denorm_mode_16_64 3
		.amdhsa_dx10_clamp 1
		.amdhsa_ieee_mode 1
		.amdhsa_fp16_overflow 0
		.amdhsa_workgroup_processor_mode 1
		.amdhsa_memory_ordered 1
		.amdhsa_forward_progress 0
		.amdhsa_shared_vgpr_count 0
		.amdhsa_exception_fp_ieee_invalid_op 0
		.amdhsa_exception_fp_denorm_src 0
		.amdhsa_exception_fp_ieee_div_zero 0
		.amdhsa_exception_fp_ieee_overflow 0
		.amdhsa_exception_fp_ieee_underflow 0
		.amdhsa_exception_fp_ieee_inexact 0
		.amdhsa_exception_int_div_zero 0
	.end_amdhsa_kernel
	.section	.text._ZN7rocprim17ROCPRIM_400000_NS6detail17trampoline_kernelINS0_13select_configILj256ELj13ELNS0_17block_load_methodE3ELS4_3ELS4_3ELNS0_20block_scan_algorithmE0ELj4294967295EEENS1_25partition_config_selectorILNS1_17partition_subalgoE3EjNS0_10empty_typeEbEEZZNS1_14partition_implILS8_3ELb0ES6_jNS0_17counting_iteratorIjlEEPS9_SE_NS0_5tupleIJPjSE_EEENSF_IJSE_SE_EEES9_SG_JZNS1_25segmented_radix_sort_implINS0_14default_configELb1EPK12hip_bfloat16PSL_PKlPlN2at6native12_GLOBAL__N_18offset_tEEE10hipError_tPvRmT1_PNSt15iterator_traitsISZ_E10value_typeET2_T3_PNS10_IS15_E10value_typeET4_jRbjT5_S1B_jjP12ihipStream_tbEUljE_EEESW_SX_SY_S15_S19_S1B_T6_T7_T9_mT8_S1D_bDpT10_ENKUlT_T0_E_clISt17integral_constantIbLb1EES1Q_EEDaS1L_S1M_EUlS1L_E_NS1_11comp_targetILNS1_3genE5ELNS1_11target_archE942ELNS1_3gpuE9ELNS1_3repE0EEENS1_30default_config_static_selectorELNS0_4arch9wavefront6targetE0EEEvSZ_,"axG",@progbits,_ZN7rocprim17ROCPRIM_400000_NS6detail17trampoline_kernelINS0_13select_configILj256ELj13ELNS0_17block_load_methodE3ELS4_3ELS4_3ELNS0_20block_scan_algorithmE0ELj4294967295EEENS1_25partition_config_selectorILNS1_17partition_subalgoE3EjNS0_10empty_typeEbEEZZNS1_14partition_implILS8_3ELb0ES6_jNS0_17counting_iteratorIjlEEPS9_SE_NS0_5tupleIJPjSE_EEENSF_IJSE_SE_EEES9_SG_JZNS1_25segmented_radix_sort_implINS0_14default_configELb1EPK12hip_bfloat16PSL_PKlPlN2at6native12_GLOBAL__N_18offset_tEEE10hipError_tPvRmT1_PNSt15iterator_traitsISZ_E10value_typeET2_T3_PNS10_IS15_E10value_typeET4_jRbjT5_S1B_jjP12ihipStream_tbEUljE_EEESW_SX_SY_S15_S19_S1B_T6_T7_T9_mT8_S1D_bDpT10_ENKUlT_T0_E_clISt17integral_constantIbLb1EES1Q_EEDaS1L_S1M_EUlS1L_E_NS1_11comp_targetILNS1_3genE5ELNS1_11target_archE942ELNS1_3gpuE9ELNS1_3repE0EEENS1_30default_config_static_selectorELNS0_4arch9wavefront6targetE0EEEvSZ_,comdat
.Lfunc_end1923:
	.size	_ZN7rocprim17ROCPRIM_400000_NS6detail17trampoline_kernelINS0_13select_configILj256ELj13ELNS0_17block_load_methodE3ELS4_3ELS4_3ELNS0_20block_scan_algorithmE0ELj4294967295EEENS1_25partition_config_selectorILNS1_17partition_subalgoE3EjNS0_10empty_typeEbEEZZNS1_14partition_implILS8_3ELb0ES6_jNS0_17counting_iteratorIjlEEPS9_SE_NS0_5tupleIJPjSE_EEENSF_IJSE_SE_EEES9_SG_JZNS1_25segmented_radix_sort_implINS0_14default_configELb1EPK12hip_bfloat16PSL_PKlPlN2at6native12_GLOBAL__N_18offset_tEEE10hipError_tPvRmT1_PNSt15iterator_traitsISZ_E10value_typeET2_T3_PNS10_IS15_E10value_typeET4_jRbjT5_S1B_jjP12ihipStream_tbEUljE_EEESW_SX_SY_S15_S19_S1B_T6_T7_T9_mT8_S1D_bDpT10_ENKUlT_T0_E_clISt17integral_constantIbLb1EES1Q_EEDaS1L_S1M_EUlS1L_E_NS1_11comp_targetILNS1_3genE5ELNS1_11target_archE942ELNS1_3gpuE9ELNS1_3repE0EEENS1_30default_config_static_selectorELNS0_4arch9wavefront6targetE0EEEvSZ_, .Lfunc_end1923-_ZN7rocprim17ROCPRIM_400000_NS6detail17trampoline_kernelINS0_13select_configILj256ELj13ELNS0_17block_load_methodE3ELS4_3ELS4_3ELNS0_20block_scan_algorithmE0ELj4294967295EEENS1_25partition_config_selectorILNS1_17partition_subalgoE3EjNS0_10empty_typeEbEEZZNS1_14partition_implILS8_3ELb0ES6_jNS0_17counting_iteratorIjlEEPS9_SE_NS0_5tupleIJPjSE_EEENSF_IJSE_SE_EEES9_SG_JZNS1_25segmented_radix_sort_implINS0_14default_configELb1EPK12hip_bfloat16PSL_PKlPlN2at6native12_GLOBAL__N_18offset_tEEE10hipError_tPvRmT1_PNSt15iterator_traitsISZ_E10value_typeET2_T3_PNS10_IS15_E10value_typeET4_jRbjT5_S1B_jjP12ihipStream_tbEUljE_EEESW_SX_SY_S15_S19_S1B_T6_T7_T9_mT8_S1D_bDpT10_ENKUlT_T0_E_clISt17integral_constantIbLb1EES1Q_EEDaS1L_S1M_EUlS1L_E_NS1_11comp_targetILNS1_3genE5ELNS1_11target_archE942ELNS1_3gpuE9ELNS1_3repE0EEENS1_30default_config_static_selectorELNS0_4arch9wavefront6targetE0EEEvSZ_
                                        ; -- End function
	.section	.AMDGPU.csdata,"",@progbits
; Kernel info:
; codeLenInByte = 0
; NumSgprs: 0
; NumVgprs: 0
; ScratchSize: 0
; MemoryBound: 0
; FloatMode: 240
; IeeeMode: 1
; LDSByteSize: 0 bytes/workgroup (compile time only)
; SGPRBlocks: 0
; VGPRBlocks: 0
; NumSGPRsForWavesPerEU: 1
; NumVGPRsForWavesPerEU: 1
; Occupancy: 16
; WaveLimiterHint : 0
; COMPUTE_PGM_RSRC2:SCRATCH_EN: 0
; COMPUTE_PGM_RSRC2:USER_SGPR: 15
; COMPUTE_PGM_RSRC2:TRAP_HANDLER: 0
; COMPUTE_PGM_RSRC2:TGID_X_EN: 1
; COMPUTE_PGM_RSRC2:TGID_Y_EN: 0
; COMPUTE_PGM_RSRC2:TGID_Z_EN: 0
; COMPUTE_PGM_RSRC2:TIDIG_COMP_CNT: 0
	.section	.text._ZN7rocprim17ROCPRIM_400000_NS6detail17trampoline_kernelINS0_13select_configILj256ELj13ELNS0_17block_load_methodE3ELS4_3ELS4_3ELNS0_20block_scan_algorithmE0ELj4294967295EEENS1_25partition_config_selectorILNS1_17partition_subalgoE3EjNS0_10empty_typeEbEEZZNS1_14partition_implILS8_3ELb0ES6_jNS0_17counting_iteratorIjlEEPS9_SE_NS0_5tupleIJPjSE_EEENSF_IJSE_SE_EEES9_SG_JZNS1_25segmented_radix_sort_implINS0_14default_configELb1EPK12hip_bfloat16PSL_PKlPlN2at6native12_GLOBAL__N_18offset_tEEE10hipError_tPvRmT1_PNSt15iterator_traitsISZ_E10value_typeET2_T3_PNS10_IS15_E10value_typeET4_jRbjT5_S1B_jjP12ihipStream_tbEUljE_EEESW_SX_SY_S15_S19_S1B_T6_T7_T9_mT8_S1D_bDpT10_ENKUlT_T0_E_clISt17integral_constantIbLb1EES1Q_EEDaS1L_S1M_EUlS1L_E_NS1_11comp_targetILNS1_3genE4ELNS1_11target_archE910ELNS1_3gpuE8ELNS1_3repE0EEENS1_30default_config_static_selectorELNS0_4arch9wavefront6targetE0EEEvSZ_,"axG",@progbits,_ZN7rocprim17ROCPRIM_400000_NS6detail17trampoline_kernelINS0_13select_configILj256ELj13ELNS0_17block_load_methodE3ELS4_3ELS4_3ELNS0_20block_scan_algorithmE0ELj4294967295EEENS1_25partition_config_selectorILNS1_17partition_subalgoE3EjNS0_10empty_typeEbEEZZNS1_14partition_implILS8_3ELb0ES6_jNS0_17counting_iteratorIjlEEPS9_SE_NS0_5tupleIJPjSE_EEENSF_IJSE_SE_EEES9_SG_JZNS1_25segmented_radix_sort_implINS0_14default_configELb1EPK12hip_bfloat16PSL_PKlPlN2at6native12_GLOBAL__N_18offset_tEEE10hipError_tPvRmT1_PNSt15iterator_traitsISZ_E10value_typeET2_T3_PNS10_IS15_E10value_typeET4_jRbjT5_S1B_jjP12ihipStream_tbEUljE_EEESW_SX_SY_S15_S19_S1B_T6_T7_T9_mT8_S1D_bDpT10_ENKUlT_T0_E_clISt17integral_constantIbLb1EES1Q_EEDaS1L_S1M_EUlS1L_E_NS1_11comp_targetILNS1_3genE4ELNS1_11target_archE910ELNS1_3gpuE8ELNS1_3repE0EEENS1_30default_config_static_selectorELNS0_4arch9wavefront6targetE0EEEvSZ_,comdat
	.globl	_ZN7rocprim17ROCPRIM_400000_NS6detail17trampoline_kernelINS0_13select_configILj256ELj13ELNS0_17block_load_methodE3ELS4_3ELS4_3ELNS0_20block_scan_algorithmE0ELj4294967295EEENS1_25partition_config_selectorILNS1_17partition_subalgoE3EjNS0_10empty_typeEbEEZZNS1_14partition_implILS8_3ELb0ES6_jNS0_17counting_iteratorIjlEEPS9_SE_NS0_5tupleIJPjSE_EEENSF_IJSE_SE_EEES9_SG_JZNS1_25segmented_radix_sort_implINS0_14default_configELb1EPK12hip_bfloat16PSL_PKlPlN2at6native12_GLOBAL__N_18offset_tEEE10hipError_tPvRmT1_PNSt15iterator_traitsISZ_E10value_typeET2_T3_PNS10_IS15_E10value_typeET4_jRbjT5_S1B_jjP12ihipStream_tbEUljE_EEESW_SX_SY_S15_S19_S1B_T6_T7_T9_mT8_S1D_bDpT10_ENKUlT_T0_E_clISt17integral_constantIbLb1EES1Q_EEDaS1L_S1M_EUlS1L_E_NS1_11comp_targetILNS1_3genE4ELNS1_11target_archE910ELNS1_3gpuE8ELNS1_3repE0EEENS1_30default_config_static_selectorELNS0_4arch9wavefront6targetE0EEEvSZ_ ; -- Begin function _ZN7rocprim17ROCPRIM_400000_NS6detail17trampoline_kernelINS0_13select_configILj256ELj13ELNS0_17block_load_methodE3ELS4_3ELS4_3ELNS0_20block_scan_algorithmE0ELj4294967295EEENS1_25partition_config_selectorILNS1_17partition_subalgoE3EjNS0_10empty_typeEbEEZZNS1_14partition_implILS8_3ELb0ES6_jNS0_17counting_iteratorIjlEEPS9_SE_NS0_5tupleIJPjSE_EEENSF_IJSE_SE_EEES9_SG_JZNS1_25segmented_radix_sort_implINS0_14default_configELb1EPK12hip_bfloat16PSL_PKlPlN2at6native12_GLOBAL__N_18offset_tEEE10hipError_tPvRmT1_PNSt15iterator_traitsISZ_E10value_typeET2_T3_PNS10_IS15_E10value_typeET4_jRbjT5_S1B_jjP12ihipStream_tbEUljE_EEESW_SX_SY_S15_S19_S1B_T6_T7_T9_mT8_S1D_bDpT10_ENKUlT_T0_E_clISt17integral_constantIbLb1EES1Q_EEDaS1L_S1M_EUlS1L_E_NS1_11comp_targetILNS1_3genE4ELNS1_11target_archE910ELNS1_3gpuE8ELNS1_3repE0EEENS1_30default_config_static_selectorELNS0_4arch9wavefront6targetE0EEEvSZ_
	.p2align	8
	.type	_ZN7rocprim17ROCPRIM_400000_NS6detail17trampoline_kernelINS0_13select_configILj256ELj13ELNS0_17block_load_methodE3ELS4_3ELS4_3ELNS0_20block_scan_algorithmE0ELj4294967295EEENS1_25partition_config_selectorILNS1_17partition_subalgoE3EjNS0_10empty_typeEbEEZZNS1_14partition_implILS8_3ELb0ES6_jNS0_17counting_iteratorIjlEEPS9_SE_NS0_5tupleIJPjSE_EEENSF_IJSE_SE_EEES9_SG_JZNS1_25segmented_radix_sort_implINS0_14default_configELb1EPK12hip_bfloat16PSL_PKlPlN2at6native12_GLOBAL__N_18offset_tEEE10hipError_tPvRmT1_PNSt15iterator_traitsISZ_E10value_typeET2_T3_PNS10_IS15_E10value_typeET4_jRbjT5_S1B_jjP12ihipStream_tbEUljE_EEESW_SX_SY_S15_S19_S1B_T6_T7_T9_mT8_S1D_bDpT10_ENKUlT_T0_E_clISt17integral_constantIbLb1EES1Q_EEDaS1L_S1M_EUlS1L_E_NS1_11comp_targetILNS1_3genE4ELNS1_11target_archE910ELNS1_3gpuE8ELNS1_3repE0EEENS1_30default_config_static_selectorELNS0_4arch9wavefront6targetE0EEEvSZ_,@function
_ZN7rocprim17ROCPRIM_400000_NS6detail17trampoline_kernelINS0_13select_configILj256ELj13ELNS0_17block_load_methodE3ELS4_3ELS4_3ELNS0_20block_scan_algorithmE0ELj4294967295EEENS1_25partition_config_selectorILNS1_17partition_subalgoE3EjNS0_10empty_typeEbEEZZNS1_14partition_implILS8_3ELb0ES6_jNS0_17counting_iteratorIjlEEPS9_SE_NS0_5tupleIJPjSE_EEENSF_IJSE_SE_EEES9_SG_JZNS1_25segmented_radix_sort_implINS0_14default_configELb1EPK12hip_bfloat16PSL_PKlPlN2at6native12_GLOBAL__N_18offset_tEEE10hipError_tPvRmT1_PNSt15iterator_traitsISZ_E10value_typeET2_T3_PNS10_IS15_E10value_typeET4_jRbjT5_S1B_jjP12ihipStream_tbEUljE_EEESW_SX_SY_S15_S19_S1B_T6_T7_T9_mT8_S1D_bDpT10_ENKUlT_T0_E_clISt17integral_constantIbLb1EES1Q_EEDaS1L_S1M_EUlS1L_E_NS1_11comp_targetILNS1_3genE4ELNS1_11target_archE910ELNS1_3gpuE8ELNS1_3repE0EEENS1_30default_config_static_selectorELNS0_4arch9wavefront6targetE0EEEvSZ_: ; @_ZN7rocprim17ROCPRIM_400000_NS6detail17trampoline_kernelINS0_13select_configILj256ELj13ELNS0_17block_load_methodE3ELS4_3ELS4_3ELNS0_20block_scan_algorithmE0ELj4294967295EEENS1_25partition_config_selectorILNS1_17partition_subalgoE3EjNS0_10empty_typeEbEEZZNS1_14partition_implILS8_3ELb0ES6_jNS0_17counting_iteratorIjlEEPS9_SE_NS0_5tupleIJPjSE_EEENSF_IJSE_SE_EEES9_SG_JZNS1_25segmented_radix_sort_implINS0_14default_configELb1EPK12hip_bfloat16PSL_PKlPlN2at6native12_GLOBAL__N_18offset_tEEE10hipError_tPvRmT1_PNSt15iterator_traitsISZ_E10value_typeET2_T3_PNS10_IS15_E10value_typeET4_jRbjT5_S1B_jjP12ihipStream_tbEUljE_EEESW_SX_SY_S15_S19_S1B_T6_T7_T9_mT8_S1D_bDpT10_ENKUlT_T0_E_clISt17integral_constantIbLb1EES1Q_EEDaS1L_S1M_EUlS1L_E_NS1_11comp_targetILNS1_3genE4ELNS1_11target_archE910ELNS1_3gpuE8ELNS1_3repE0EEENS1_30default_config_static_selectorELNS0_4arch9wavefront6targetE0EEEvSZ_
; %bb.0:
	.section	.rodata,"a",@progbits
	.p2align	6, 0x0
	.amdhsa_kernel _ZN7rocprim17ROCPRIM_400000_NS6detail17trampoline_kernelINS0_13select_configILj256ELj13ELNS0_17block_load_methodE3ELS4_3ELS4_3ELNS0_20block_scan_algorithmE0ELj4294967295EEENS1_25partition_config_selectorILNS1_17partition_subalgoE3EjNS0_10empty_typeEbEEZZNS1_14partition_implILS8_3ELb0ES6_jNS0_17counting_iteratorIjlEEPS9_SE_NS0_5tupleIJPjSE_EEENSF_IJSE_SE_EEES9_SG_JZNS1_25segmented_radix_sort_implINS0_14default_configELb1EPK12hip_bfloat16PSL_PKlPlN2at6native12_GLOBAL__N_18offset_tEEE10hipError_tPvRmT1_PNSt15iterator_traitsISZ_E10value_typeET2_T3_PNS10_IS15_E10value_typeET4_jRbjT5_S1B_jjP12ihipStream_tbEUljE_EEESW_SX_SY_S15_S19_S1B_T6_T7_T9_mT8_S1D_bDpT10_ENKUlT_T0_E_clISt17integral_constantIbLb1EES1Q_EEDaS1L_S1M_EUlS1L_E_NS1_11comp_targetILNS1_3genE4ELNS1_11target_archE910ELNS1_3gpuE8ELNS1_3repE0EEENS1_30default_config_static_selectorELNS0_4arch9wavefront6targetE0EEEvSZ_
		.amdhsa_group_segment_fixed_size 0
		.amdhsa_private_segment_fixed_size 0
		.amdhsa_kernarg_size 152
		.amdhsa_user_sgpr_count 15
		.amdhsa_user_sgpr_dispatch_ptr 0
		.amdhsa_user_sgpr_queue_ptr 0
		.amdhsa_user_sgpr_kernarg_segment_ptr 1
		.amdhsa_user_sgpr_dispatch_id 0
		.amdhsa_user_sgpr_private_segment_size 0
		.amdhsa_wavefront_size32 1
		.amdhsa_uses_dynamic_stack 0
		.amdhsa_enable_private_segment 0
		.amdhsa_system_sgpr_workgroup_id_x 1
		.amdhsa_system_sgpr_workgroup_id_y 0
		.amdhsa_system_sgpr_workgroup_id_z 0
		.amdhsa_system_sgpr_workgroup_info 0
		.amdhsa_system_vgpr_workitem_id 0
		.amdhsa_next_free_vgpr 1
		.amdhsa_next_free_sgpr 1
		.amdhsa_reserve_vcc 0
		.amdhsa_float_round_mode_32 0
		.amdhsa_float_round_mode_16_64 0
		.amdhsa_float_denorm_mode_32 3
		.amdhsa_float_denorm_mode_16_64 3
		.amdhsa_dx10_clamp 1
		.amdhsa_ieee_mode 1
		.amdhsa_fp16_overflow 0
		.amdhsa_workgroup_processor_mode 1
		.amdhsa_memory_ordered 1
		.amdhsa_forward_progress 0
		.amdhsa_shared_vgpr_count 0
		.amdhsa_exception_fp_ieee_invalid_op 0
		.amdhsa_exception_fp_denorm_src 0
		.amdhsa_exception_fp_ieee_div_zero 0
		.amdhsa_exception_fp_ieee_overflow 0
		.amdhsa_exception_fp_ieee_underflow 0
		.amdhsa_exception_fp_ieee_inexact 0
		.amdhsa_exception_int_div_zero 0
	.end_amdhsa_kernel
	.section	.text._ZN7rocprim17ROCPRIM_400000_NS6detail17trampoline_kernelINS0_13select_configILj256ELj13ELNS0_17block_load_methodE3ELS4_3ELS4_3ELNS0_20block_scan_algorithmE0ELj4294967295EEENS1_25partition_config_selectorILNS1_17partition_subalgoE3EjNS0_10empty_typeEbEEZZNS1_14partition_implILS8_3ELb0ES6_jNS0_17counting_iteratorIjlEEPS9_SE_NS0_5tupleIJPjSE_EEENSF_IJSE_SE_EEES9_SG_JZNS1_25segmented_radix_sort_implINS0_14default_configELb1EPK12hip_bfloat16PSL_PKlPlN2at6native12_GLOBAL__N_18offset_tEEE10hipError_tPvRmT1_PNSt15iterator_traitsISZ_E10value_typeET2_T3_PNS10_IS15_E10value_typeET4_jRbjT5_S1B_jjP12ihipStream_tbEUljE_EEESW_SX_SY_S15_S19_S1B_T6_T7_T9_mT8_S1D_bDpT10_ENKUlT_T0_E_clISt17integral_constantIbLb1EES1Q_EEDaS1L_S1M_EUlS1L_E_NS1_11comp_targetILNS1_3genE4ELNS1_11target_archE910ELNS1_3gpuE8ELNS1_3repE0EEENS1_30default_config_static_selectorELNS0_4arch9wavefront6targetE0EEEvSZ_,"axG",@progbits,_ZN7rocprim17ROCPRIM_400000_NS6detail17trampoline_kernelINS0_13select_configILj256ELj13ELNS0_17block_load_methodE3ELS4_3ELS4_3ELNS0_20block_scan_algorithmE0ELj4294967295EEENS1_25partition_config_selectorILNS1_17partition_subalgoE3EjNS0_10empty_typeEbEEZZNS1_14partition_implILS8_3ELb0ES6_jNS0_17counting_iteratorIjlEEPS9_SE_NS0_5tupleIJPjSE_EEENSF_IJSE_SE_EEES9_SG_JZNS1_25segmented_radix_sort_implINS0_14default_configELb1EPK12hip_bfloat16PSL_PKlPlN2at6native12_GLOBAL__N_18offset_tEEE10hipError_tPvRmT1_PNSt15iterator_traitsISZ_E10value_typeET2_T3_PNS10_IS15_E10value_typeET4_jRbjT5_S1B_jjP12ihipStream_tbEUljE_EEESW_SX_SY_S15_S19_S1B_T6_T7_T9_mT8_S1D_bDpT10_ENKUlT_T0_E_clISt17integral_constantIbLb1EES1Q_EEDaS1L_S1M_EUlS1L_E_NS1_11comp_targetILNS1_3genE4ELNS1_11target_archE910ELNS1_3gpuE8ELNS1_3repE0EEENS1_30default_config_static_selectorELNS0_4arch9wavefront6targetE0EEEvSZ_,comdat
.Lfunc_end1924:
	.size	_ZN7rocprim17ROCPRIM_400000_NS6detail17trampoline_kernelINS0_13select_configILj256ELj13ELNS0_17block_load_methodE3ELS4_3ELS4_3ELNS0_20block_scan_algorithmE0ELj4294967295EEENS1_25partition_config_selectorILNS1_17partition_subalgoE3EjNS0_10empty_typeEbEEZZNS1_14partition_implILS8_3ELb0ES6_jNS0_17counting_iteratorIjlEEPS9_SE_NS0_5tupleIJPjSE_EEENSF_IJSE_SE_EEES9_SG_JZNS1_25segmented_radix_sort_implINS0_14default_configELb1EPK12hip_bfloat16PSL_PKlPlN2at6native12_GLOBAL__N_18offset_tEEE10hipError_tPvRmT1_PNSt15iterator_traitsISZ_E10value_typeET2_T3_PNS10_IS15_E10value_typeET4_jRbjT5_S1B_jjP12ihipStream_tbEUljE_EEESW_SX_SY_S15_S19_S1B_T6_T7_T9_mT8_S1D_bDpT10_ENKUlT_T0_E_clISt17integral_constantIbLb1EES1Q_EEDaS1L_S1M_EUlS1L_E_NS1_11comp_targetILNS1_3genE4ELNS1_11target_archE910ELNS1_3gpuE8ELNS1_3repE0EEENS1_30default_config_static_selectorELNS0_4arch9wavefront6targetE0EEEvSZ_, .Lfunc_end1924-_ZN7rocprim17ROCPRIM_400000_NS6detail17trampoline_kernelINS0_13select_configILj256ELj13ELNS0_17block_load_methodE3ELS4_3ELS4_3ELNS0_20block_scan_algorithmE0ELj4294967295EEENS1_25partition_config_selectorILNS1_17partition_subalgoE3EjNS0_10empty_typeEbEEZZNS1_14partition_implILS8_3ELb0ES6_jNS0_17counting_iteratorIjlEEPS9_SE_NS0_5tupleIJPjSE_EEENSF_IJSE_SE_EEES9_SG_JZNS1_25segmented_radix_sort_implINS0_14default_configELb1EPK12hip_bfloat16PSL_PKlPlN2at6native12_GLOBAL__N_18offset_tEEE10hipError_tPvRmT1_PNSt15iterator_traitsISZ_E10value_typeET2_T3_PNS10_IS15_E10value_typeET4_jRbjT5_S1B_jjP12ihipStream_tbEUljE_EEESW_SX_SY_S15_S19_S1B_T6_T7_T9_mT8_S1D_bDpT10_ENKUlT_T0_E_clISt17integral_constantIbLb1EES1Q_EEDaS1L_S1M_EUlS1L_E_NS1_11comp_targetILNS1_3genE4ELNS1_11target_archE910ELNS1_3gpuE8ELNS1_3repE0EEENS1_30default_config_static_selectorELNS0_4arch9wavefront6targetE0EEEvSZ_
                                        ; -- End function
	.section	.AMDGPU.csdata,"",@progbits
; Kernel info:
; codeLenInByte = 0
; NumSgprs: 0
; NumVgprs: 0
; ScratchSize: 0
; MemoryBound: 0
; FloatMode: 240
; IeeeMode: 1
; LDSByteSize: 0 bytes/workgroup (compile time only)
; SGPRBlocks: 0
; VGPRBlocks: 0
; NumSGPRsForWavesPerEU: 1
; NumVGPRsForWavesPerEU: 1
; Occupancy: 16
; WaveLimiterHint : 0
; COMPUTE_PGM_RSRC2:SCRATCH_EN: 0
; COMPUTE_PGM_RSRC2:USER_SGPR: 15
; COMPUTE_PGM_RSRC2:TRAP_HANDLER: 0
; COMPUTE_PGM_RSRC2:TGID_X_EN: 1
; COMPUTE_PGM_RSRC2:TGID_Y_EN: 0
; COMPUTE_PGM_RSRC2:TGID_Z_EN: 0
; COMPUTE_PGM_RSRC2:TIDIG_COMP_CNT: 0
	.section	.text._ZN7rocprim17ROCPRIM_400000_NS6detail17trampoline_kernelINS0_13select_configILj256ELj13ELNS0_17block_load_methodE3ELS4_3ELS4_3ELNS0_20block_scan_algorithmE0ELj4294967295EEENS1_25partition_config_selectorILNS1_17partition_subalgoE3EjNS0_10empty_typeEbEEZZNS1_14partition_implILS8_3ELb0ES6_jNS0_17counting_iteratorIjlEEPS9_SE_NS0_5tupleIJPjSE_EEENSF_IJSE_SE_EEES9_SG_JZNS1_25segmented_radix_sort_implINS0_14default_configELb1EPK12hip_bfloat16PSL_PKlPlN2at6native12_GLOBAL__N_18offset_tEEE10hipError_tPvRmT1_PNSt15iterator_traitsISZ_E10value_typeET2_T3_PNS10_IS15_E10value_typeET4_jRbjT5_S1B_jjP12ihipStream_tbEUljE_EEESW_SX_SY_S15_S19_S1B_T6_T7_T9_mT8_S1D_bDpT10_ENKUlT_T0_E_clISt17integral_constantIbLb1EES1Q_EEDaS1L_S1M_EUlS1L_E_NS1_11comp_targetILNS1_3genE3ELNS1_11target_archE908ELNS1_3gpuE7ELNS1_3repE0EEENS1_30default_config_static_selectorELNS0_4arch9wavefront6targetE0EEEvSZ_,"axG",@progbits,_ZN7rocprim17ROCPRIM_400000_NS6detail17trampoline_kernelINS0_13select_configILj256ELj13ELNS0_17block_load_methodE3ELS4_3ELS4_3ELNS0_20block_scan_algorithmE0ELj4294967295EEENS1_25partition_config_selectorILNS1_17partition_subalgoE3EjNS0_10empty_typeEbEEZZNS1_14partition_implILS8_3ELb0ES6_jNS0_17counting_iteratorIjlEEPS9_SE_NS0_5tupleIJPjSE_EEENSF_IJSE_SE_EEES9_SG_JZNS1_25segmented_radix_sort_implINS0_14default_configELb1EPK12hip_bfloat16PSL_PKlPlN2at6native12_GLOBAL__N_18offset_tEEE10hipError_tPvRmT1_PNSt15iterator_traitsISZ_E10value_typeET2_T3_PNS10_IS15_E10value_typeET4_jRbjT5_S1B_jjP12ihipStream_tbEUljE_EEESW_SX_SY_S15_S19_S1B_T6_T7_T9_mT8_S1D_bDpT10_ENKUlT_T0_E_clISt17integral_constantIbLb1EES1Q_EEDaS1L_S1M_EUlS1L_E_NS1_11comp_targetILNS1_3genE3ELNS1_11target_archE908ELNS1_3gpuE7ELNS1_3repE0EEENS1_30default_config_static_selectorELNS0_4arch9wavefront6targetE0EEEvSZ_,comdat
	.globl	_ZN7rocprim17ROCPRIM_400000_NS6detail17trampoline_kernelINS0_13select_configILj256ELj13ELNS0_17block_load_methodE3ELS4_3ELS4_3ELNS0_20block_scan_algorithmE0ELj4294967295EEENS1_25partition_config_selectorILNS1_17partition_subalgoE3EjNS0_10empty_typeEbEEZZNS1_14partition_implILS8_3ELb0ES6_jNS0_17counting_iteratorIjlEEPS9_SE_NS0_5tupleIJPjSE_EEENSF_IJSE_SE_EEES9_SG_JZNS1_25segmented_radix_sort_implINS0_14default_configELb1EPK12hip_bfloat16PSL_PKlPlN2at6native12_GLOBAL__N_18offset_tEEE10hipError_tPvRmT1_PNSt15iterator_traitsISZ_E10value_typeET2_T3_PNS10_IS15_E10value_typeET4_jRbjT5_S1B_jjP12ihipStream_tbEUljE_EEESW_SX_SY_S15_S19_S1B_T6_T7_T9_mT8_S1D_bDpT10_ENKUlT_T0_E_clISt17integral_constantIbLb1EES1Q_EEDaS1L_S1M_EUlS1L_E_NS1_11comp_targetILNS1_3genE3ELNS1_11target_archE908ELNS1_3gpuE7ELNS1_3repE0EEENS1_30default_config_static_selectorELNS0_4arch9wavefront6targetE0EEEvSZ_ ; -- Begin function _ZN7rocprim17ROCPRIM_400000_NS6detail17trampoline_kernelINS0_13select_configILj256ELj13ELNS0_17block_load_methodE3ELS4_3ELS4_3ELNS0_20block_scan_algorithmE0ELj4294967295EEENS1_25partition_config_selectorILNS1_17partition_subalgoE3EjNS0_10empty_typeEbEEZZNS1_14partition_implILS8_3ELb0ES6_jNS0_17counting_iteratorIjlEEPS9_SE_NS0_5tupleIJPjSE_EEENSF_IJSE_SE_EEES9_SG_JZNS1_25segmented_radix_sort_implINS0_14default_configELb1EPK12hip_bfloat16PSL_PKlPlN2at6native12_GLOBAL__N_18offset_tEEE10hipError_tPvRmT1_PNSt15iterator_traitsISZ_E10value_typeET2_T3_PNS10_IS15_E10value_typeET4_jRbjT5_S1B_jjP12ihipStream_tbEUljE_EEESW_SX_SY_S15_S19_S1B_T6_T7_T9_mT8_S1D_bDpT10_ENKUlT_T0_E_clISt17integral_constantIbLb1EES1Q_EEDaS1L_S1M_EUlS1L_E_NS1_11comp_targetILNS1_3genE3ELNS1_11target_archE908ELNS1_3gpuE7ELNS1_3repE0EEENS1_30default_config_static_selectorELNS0_4arch9wavefront6targetE0EEEvSZ_
	.p2align	8
	.type	_ZN7rocprim17ROCPRIM_400000_NS6detail17trampoline_kernelINS0_13select_configILj256ELj13ELNS0_17block_load_methodE3ELS4_3ELS4_3ELNS0_20block_scan_algorithmE0ELj4294967295EEENS1_25partition_config_selectorILNS1_17partition_subalgoE3EjNS0_10empty_typeEbEEZZNS1_14partition_implILS8_3ELb0ES6_jNS0_17counting_iteratorIjlEEPS9_SE_NS0_5tupleIJPjSE_EEENSF_IJSE_SE_EEES9_SG_JZNS1_25segmented_radix_sort_implINS0_14default_configELb1EPK12hip_bfloat16PSL_PKlPlN2at6native12_GLOBAL__N_18offset_tEEE10hipError_tPvRmT1_PNSt15iterator_traitsISZ_E10value_typeET2_T3_PNS10_IS15_E10value_typeET4_jRbjT5_S1B_jjP12ihipStream_tbEUljE_EEESW_SX_SY_S15_S19_S1B_T6_T7_T9_mT8_S1D_bDpT10_ENKUlT_T0_E_clISt17integral_constantIbLb1EES1Q_EEDaS1L_S1M_EUlS1L_E_NS1_11comp_targetILNS1_3genE3ELNS1_11target_archE908ELNS1_3gpuE7ELNS1_3repE0EEENS1_30default_config_static_selectorELNS0_4arch9wavefront6targetE0EEEvSZ_,@function
_ZN7rocprim17ROCPRIM_400000_NS6detail17trampoline_kernelINS0_13select_configILj256ELj13ELNS0_17block_load_methodE3ELS4_3ELS4_3ELNS0_20block_scan_algorithmE0ELj4294967295EEENS1_25partition_config_selectorILNS1_17partition_subalgoE3EjNS0_10empty_typeEbEEZZNS1_14partition_implILS8_3ELb0ES6_jNS0_17counting_iteratorIjlEEPS9_SE_NS0_5tupleIJPjSE_EEENSF_IJSE_SE_EEES9_SG_JZNS1_25segmented_radix_sort_implINS0_14default_configELb1EPK12hip_bfloat16PSL_PKlPlN2at6native12_GLOBAL__N_18offset_tEEE10hipError_tPvRmT1_PNSt15iterator_traitsISZ_E10value_typeET2_T3_PNS10_IS15_E10value_typeET4_jRbjT5_S1B_jjP12ihipStream_tbEUljE_EEESW_SX_SY_S15_S19_S1B_T6_T7_T9_mT8_S1D_bDpT10_ENKUlT_T0_E_clISt17integral_constantIbLb1EES1Q_EEDaS1L_S1M_EUlS1L_E_NS1_11comp_targetILNS1_3genE3ELNS1_11target_archE908ELNS1_3gpuE7ELNS1_3repE0EEENS1_30default_config_static_selectorELNS0_4arch9wavefront6targetE0EEEvSZ_: ; @_ZN7rocprim17ROCPRIM_400000_NS6detail17trampoline_kernelINS0_13select_configILj256ELj13ELNS0_17block_load_methodE3ELS4_3ELS4_3ELNS0_20block_scan_algorithmE0ELj4294967295EEENS1_25partition_config_selectorILNS1_17partition_subalgoE3EjNS0_10empty_typeEbEEZZNS1_14partition_implILS8_3ELb0ES6_jNS0_17counting_iteratorIjlEEPS9_SE_NS0_5tupleIJPjSE_EEENSF_IJSE_SE_EEES9_SG_JZNS1_25segmented_radix_sort_implINS0_14default_configELb1EPK12hip_bfloat16PSL_PKlPlN2at6native12_GLOBAL__N_18offset_tEEE10hipError_tPvRmT1_PNSt15iterator_traitsISZ_E10value_typeET2_T3_PNS10_IS15_E10value_typeET4_jRbjT5_S1B_jjP12ihipStream_tbEUljE_EEESW_SX_SY_S15_S19_S1B_T6_T7_T9_mT8_S1D_bDpT10_ENKUlT_T0_E_clISt17integral_constantIbLb1EES1Q_EEDaS1L_S1M_EUlS1L_E_NS1_11comp_targetILNS1_3genE3ELNS1_11target_archE908ELNS1_3gpuE7ELNS1_3repE0EEENS1_30default_config_static_selectorELNS0_4arch9wavefront6targetE0EEEvSZ_
; %bb.0:
	.section	.rodata,"a",@progbits
	.p2align	6, 0x0
	.amdhsa_kernel _ZN7rocprim17ROCPRIM_400000_NS6detail17trampoline_kernelINS0_13select_configILj256ELj13ELNS0_17block_load_methodE3ELS4_3ELS4_3ELNS0_20block_scan_algorithmE0ELj4294967295EEENS1_25partition_config_selectorILNS1_17partition_subalgoE3EjNS0_10empty_typeEbEEZZNS1_14partition_implILS8_3ELb0ES6_jNS0_17counting_iteratorIjlEEPS9_SE_NS0_5tupleIJPjSE_EEENSF_IJSE_SE_EEES9_SG_JZNS1_25segmented_radix_sort_implINS0_14default_configELb1EPK12hip_bfloat16PSL_PKlPlN2at6native12_GLOBAL__N_18offset_tEEE10hipError_tPvRmT1_PNSt15iterator_traitsISZ_E10value_typeET2_T3_PNS10_IS15_E10value_typeET4_jRbjT5_S1B_jjP12ihipStream_tbEUljE_EEESW_SX_SY_S15_S19_S1B_T6_T7_T9_mT8_S1D_bDpT10_ENKUlT_T0_E_clISt17integral_constantIbLb1EES1Q_EEDaS1L_S1M_EUlS1L_E_NS1_11comp_targetILNS1_3genE3ELNS1_11target_archE908ELNS1_3gpuE7ELNS1_3repE0EEENS1_30default_config_static_selectorELNS0_4arch9wavefront6targetE0EEEvSZ_
		.amdhsa_group_segment_fixed_size 0
		.amdhsa_private_segment_fixed_size 0
		.amdhsa_kernarg_size 152
		.amdhsa_user_sgpr_count 15
		.amdhsa_user_sgpr_dispatch_ptr 0
		.amdhsa_user_sgpr_queue_ptr 0
		.amdhsa_user_sgpr_kernarg_segment_ptr 1
		.amdhsa_user_sgpr_dispatch_id 0
		.amdhsa_user_sgpr_private_segment_size 0
		.amdhsa_wavefront_size32 1
		.amdhsa_uses_dynamic_stack 0
		.amdhsa_enable_private_segment 0
		.amdhsa_system_sgpr_workgroup_id_x 1
		.amdhsa_system_sgpr_workgroup_id_y 0
		.amdhsa_system_sgpr_workgroup_id_z 0
		.amdhsa_system_sgpr_workgroup_info 0
		.amdhsa_system_vgpr_workitem_id 0
		.amdhsa_next_free_vgpr 1
		.amdhsa_next_free_sgpr 1
		.amdhsa_reserve_vcc 0
		.amdhsa_float_round_mode_32 0
		.amdhsa_float_round_mode_16_64 0
		.amdhsa_float_denorm_mode_32 3
		.amdhsa_float_denorm_mode_16_64 3
		.amdhsa_dx10_clamp 1
		.amdhsa_ieee_mode 1
		.amdhsa_fp16_overflow 0
		.amdhsa_workgroup_processor_mode 1
		.amdhsa_memory_ordered 1
		.amdhsa_forward_progress 0
		.amdhsa_shared_vgpr_count 0
		.amdhsa_exception_fp_ieee_invalid_op 0
		.amdhsa_exception_fp_denorm_src 0
		.amdhsa_exception_fp_ieee_div_zero 0
		.amdhsa_exception_fp_ieee_overflow 0
		.amdhsa_exception_fp_ieee_underflow 0
		.amdhsa_exception_fp_ieee_inexact 0
		.amdhsa_exception_int_div_zero 0
	.end_amdhsa_kernel
	.section	.text._ZN7rocprim17ROCPRIM_400000_NS6detail17trampoline_kernelINS0_13select_configILj256ELj13ELNS0_17block_load_methodE3ELS4_3ELS4_3ELNS0_20block_scan_algorithmE0ELj4294967295EEENS1_25partition_config_selectorILNS1_17partition_subalgoE3EjNS0_10empty_typeEbEEZZNS1_14partition_implILS8_3ELb0ES6_jNS0_17counting_iteratorIjlEEPS9_SE_NS0_5tupleIJPjSE_EEENSF_IJSE_SE_EEES9_SG_JZNS1_25segmented_radix_sort_implINS0_14default_configELb1EPK12hip_bfloat16PSL_PKlPlN2at6native12_GLOBAL__N_18offset_tEEE10hipError_tPvRmT1_PNSt15iterator_traitsISZ_E10value_typeET2_T3_PNS10_IS15_E10value_typeET4_jRbjT5_S1B_jjP12ihipStream_tbEUljE_EEESW_SX_SY_S15_S19_S1B_T6_T7_T9_mT8_S1D_bDpT10_ENKUlT_T0_E_clISt17integral_constantIbLb1EES1Q_EEDaS1L_S1M_EUlS1L_E_NS1_11comp_targetILNS1_3genE3ELNS1_11target_archE908ELNS1_3gpuE7ELNS1_3repE0EEENS1_30default_config_static_selectorELNS0_4arch9wavefront6targetE0EEEvSZ_,"axG",@progbits,_ZN7rocprim17ROCPRIM_400000_NS6detail17trampoline_kernelINS0_13select_configILj256ELj13ELNS0_17block_load_methodE3ELS4_3ELS4_3ELNS0_20block_scan_algorithmE0ELj4294967295EEENS1_25partition_config_selectorILNS1_17partition_subalgoE3EjNS0_10empty_typeEbEEZZNS1_14partition_implILS8_3ELb0ES6_jNS0_17counting_iteratorIjlEEPS9_SE_NS0_5tupleIJPjSE_EEENSF_IJSE_SE_EEES9_SG_JZNS1_25segmented_radix_sort_implINS0_14default_configELb1EPK12hip_bfloat16PSL_PKlPlN2at6native12_GLOBAL__N_18offset_tEEE10hipError_tPvRmT1_PNSt15iterator_traitsISZ_E10value_typeET2_T3_PNS10_IS15_E10value_typeET4_jRbjT5_S1B_jjP12ihipStream_tbEUljE_EEESW_SX_SY_S15_S19_S1B_T6_T7_T9_mT8_S1D_bDpT10_ENKUlT_T0_E_clISt17integral_constantIbLb1EES1Q_EEDaS1L_S1M_EUlS1L_E_NS1_11comp_targetILNS1_3genE3ELNS1_11target_archE908ELNS1_3gpuE7ELNS1_3repE0EEENS1_30default_config_static_selectorELNS0_4arch9wavefront6targetE0EEEvSZ_,comdat
.Lfunc_end1925:
	.size	_ZN7rocprim17ROCPRIM_400000_NS6detail17trampoline_kernelINS0_13select_configILj256ELj13ELNS0_17block_load_methodE3ELS4_3ELS4_3ELNS0_20block_scan_algorithmE0ELj4294967295EEENS1_25partition_config_selectorILNS1_17partition_subalgoE3EjNS0_10empty_typeEbEEZZNS1_14partition_implILS8_3ELb0ES6_jNS0_17counting_iteratorIjlEEPS9_SE_NS0_5tupleIJPjSE_EEENSF_IJSE_SE_EEES9_SG_JZNS1_25segmented_radix_sort_implINS0_14default_configELb1EPK12hip_bfloat16PSL_PKlPlN2at6native12_GLOBAL__N_18offset_tEEE10hipError_tPvRmT1_PNSt15iterator_traitsISZ_E10value_typeET2_T3_PNS10_IS15_E10value_typeET4_jRbjT5_S1B_jjP12ihipStream_tbEUljE_EEESW_SX_SY_S15_S19_S1B_T6_T7_T9_mT8_S1D_bDpT10_ENKUlT_T0_E_clISt17integral_constantIbLb1EES1Q_EEDaS1L_S1M_EUlS1L_E_NS1_11comp_targetILNS1_3genE3ELNS1_11target_archE908ELNS1_3gpuE7ELNS1_3repE0EEENS1_30default_config_static_selectorELNS0_4arch9wavefront6targetE0EEEvSZ_, .Lfunc_end1925-_ZN7rocprim17ROCPRIM_400000_NS6detail17trampoline_kernelINS0_13select_configILj256ELj13ELNS0_17block_load_methodE3ELS4_3ELS4_3ELNS0_20block_scan_algorithmE0ELj4294967295EEENS1_25partition_config_selectorILNS1_17partition_subalgoE3EjNS0_10empty_typeEbEEZZNS1_14partition_implILS8_3ELb0ES6_jNS0_17counting_iteratorIjlEEPS9_SE_NS0_5tupleIJPjSE_EEENSF_IJSE_SE_EEES9_SG_JZNS1_25segmented_radix_sort_implINS0_14default_configELb1EPK12hip_bfloat16PSL_PKlPlN2at6native12_GLOBAL__N_18offset_tEEE10hipError_tPvRmT1_PNSt15iterator_traitsISZ_E10value_typeET2_T3_PNS10_IS15_E10value_typeET4_jRbjT5_S1B_jjP12ihipStream_tbEUljE_EEESW_SX_SY_S15_S19_S1B_T6_T7_T9_mT8_S1D_bDpT10_ENKUlT_T0_E_clISt17integral_constantIbLb1EES1Q_EEDaS1L_S1M_EUlS1L_E_NS1_11comp_targetILNS1_3genE3ELNS1_11target_archE908ELNS1_3gpuE7ELNS1_3repE0EEENS1_30default_config_static_selectorELNS0_4arch9wavefront6targetE0EEEvSZ_
                                        ; -- End function
	.section	.AMDGPU.csdata,"",@progbits
; Kernel info:
; codeLenInByte = 0
; NumSgprs: 0
; NumVgprs: 0
; ScratchSize: 0
; MemoryBound: 0
; FloatMode: 240
; IeeeMode: 1
; LDSByteSize: 0 bytes/workgroup (compile time only)
; SGPRBlocks: 0
; VGPRBlocks: 0
; NumSGPRsForWavesPerEU: 1
; NumVGPRsForWavesPerEU: 1
; Occupancy: 16
; WaveLimiterHint : 0
; COMPUTE_PGM_RSRC2:SCRATCH_EN: 0
; COMPUTE_PGM_RSRC2:USER_SGPR: 15
; COMPUTE_PGM_RSRC2:TRAP_HANDLER: 0
; COMPUTE_PGM_RSRC2:TGID_X_EN: 1
; COMPUTE_PGM_RSRC2:TGID_Y_EN: 0
; COMPUTE_PGM_RSRC2:TGID_Z_EN: 0
; COMPUTE_PGM_RSRC2:TIDIG_COMP_CNT: 0
	.section	.text._ZN7rocprim17ROCPRIM_400000_NS6detail17trampoline_kernelINS0_13select_configILj256ELj13ELNS0_17block_load_methodE3ELS4_3ELS4_3ELNS0_20block_scan_algorithmE0ELj4294967295EEENS1_25partition_config_selectorILNS1_17partition_subalgoE3EjNS0_10empty_typeEbEEZZNS1_14partition_implILS8_3ELb0ES6_jNS0_17counting_iteratorIjlEEPS9_SE_NS0_5tupleIJPjSE_EEENSF_IJSE_SE_EEES9_SG_JZNS1_25segmented_radix_sort_implINS0_14default_configELb1EPK12hip_bfloat16PSL_PKlPlN2at6native12_GLOBAL__N_18offset_tEEE10hipError_tPvRmT1_PNSt15iterator_traitsISZ_E10value_typeET2_T3_PNS10_IS15_E10value_typeET4_jRbjT5_S1B_jjP12ihipStream_tbEUljE_EEESW_SX_SY_S15_S19_S1B_T6_T7_T9_mT8_S1D_bDpT10_ENKUlT_T0_E_clISt17integral_constantIbLb1EES1Q_EEDaS1L_S1M_EUlS1L_E_NS1_11comp_targetILNS1_3genE2ELNS1_11target_archE906ELNS1_3gpuE6ELNS1_3repE0EEENS1_30default_config_static_selectorELNS0_4arch9wavefront6targetE0EEEvSZ_,"axG",@progbits,_ZN7rocprim17ROCPRIM_400000_NS6detail17trampoline_kernelINS0_13select_configILj256ELj13ELNS0_17block_load_methodE3ELS4_3ELS4_3ELNS0_20block_scan_algorithmE0ELj4294967295EEENS1_25partition_config_selectorILNS1_17partition_subalgoE3EjNS0_10empty_typeEbEEZZNS1_14partition_implILS8_3ELb0ES6_jNS0_17counting_iteratorIjlEEPS9_SE_NS0_5tupleIJPjSE_EEENSF_IJSE_SE_EEES9_SG_JZNS1_25segmented_radix_sort_implINS0_14default_configELb1EPK12hip_bfloat16PSL_PKlPlN2at6native12_GLOBAL__N_18offset_tEEE10hipError_tPvRmT1_PNSt15iterator_traitsISZ_E10value_typeET2_T3_PNS10_IS15_E10value_typeET4_jRbjT5_S1B_jjP12ihipStream_tbEUljE_EEESW_SX_SY_S15_S19_S1B_T6_T7_T9_mT8_S1D_bDpT10_ENKUlT_T0_E_clISt17integral_constantIbLb1EES1Q_EEDaS1L_S1M_EUlS1L_E_NS1_11comp_targetILNS1_3genE2ELNS1_11target_archE906ELNS1_3gpuE6ELNS1_3repE0EEENS1_30default_config_static_selectorELNS0_4arch9wavefront6targetE0EEEvSZ_,comdat
	.globl	_ZN7rocprim17ROCPRIM_400000_NS6detail17trampoline_kernelINS0_13select_configILj256ELj13ELNS0_17block_load_methodE3ELS4_3ELS4_3ELNS0_20block_scan_algorithmE0ELj4294967295EEENS1_25partition_config_selectorILNS1_17partition_subalgoE3EjNS0_10empty_typeEbEEZZNS1_14partition_implILS8_3ELb0ES6_jNS0_17counting_iteratorIjlEEPS9_SE_NS0_5tupleIJPjSE_EEENSF_IJSE_SE_EEES9_SG_JZNS1_25segmented_radix_sort_implINS0_14default_configELb1EPK12hip_bfloat16PSL_PKlPlN2at6native12_GLOBAL__N_18offset_tEEE10hipError_tPvRmT1_PNSt15iterator_traitsISZ_E10value_typeET2_T3_PNS10_IS15_E10value_typeET4_jRbjT5_S1B_jjP12ihipStream_tbEUljE_EEESW_SX_SY_S15_S19_S1B_T6_T7_T9_mT8_S1D_bDpT10_ENKUlT_T0_E_clISt17integral_constantIbLb1EES1Q_EEDaS1L_S1M_EUlS1L_E_NS1_11comp_targetILNS1_3genE2ELNS1_11target_archE906ELNS1_3gpuE6ELNS1_3repE0EEENS1_30default_config_static_selectorELNS0_4arch9wavefront6targetE0EEEvSZ_ ; -- Begin function _ZN7rocprim17ROCPRIM_400000_NS6detail17trampoline_kernelINS0_13select_configILj256ELj13ELNS0_17block_load_methodE3ELS4_3ELS4_3ELNS0_20block_scan_algorithmE0ELj4294967295EEENS1_25partition_config_selectorILNS1_17partition_subalgoE3EjNS0_10empty_typeEbEEZZNS1_14partition_implILS8_3ELb0ES6_jNS0_17counting_iteratorIjlEEPS9_SE_NS0_5tupleIJPjSE_EEENSF_IJSE_SE_EEES9_SG_JZNS1_25segmented_radix_sort_implINS0_14default_configELb1EPK12hip_bfloat16PSL_PKlPlN2at6native12_GLOBAL__N_18offset_tEEE10hipError_tPvRmT1_PNSt15iterator_traitsISZ_E10value_typeET2_T3_PNS10_IS15_E10value_typeET4_jRbjT5_S1B_jjP12ihipStream_tbEUljE_EEESW_SX_SY_S15_S19_S1B_T6_T7_T9_mT8_S1D_bDpT10_ENKUlT_T0_E_clISt17integral_constantIbLb1EES1Q_EEDaS1L_S1M_EUlS1L_E_NS1_11comp_targetILNS1_3genE2ELNS1_11target_archE906ELNS1_3gpuE6ELNS1_3repE0EEENS1_30default_config_static_selectorELNS0_4arch9wavefront6targetE0EEEvSZ_
	.p2align	8
	.type	_ZN7rocprim17ROCPRIM_400000_NS6detail17trampoline_kernelINS0_13select_configILj256ELj13ELNS0_17block_load_methodE3ELS4_3ELS4_3ELNS0_20block_scan_algorithmE0ELj4294967295EEENS1_25partition_config_selectorILNS1_17partition_subalgoE3EjNS0_10empty_typeEbEEZZNS1_14partition_implILS8_3ELb0ES6_jNS0_17counting_iteratorIjlEEPS9_SE_NS0_5tupleIJPjSE_EEENSF_IJSE_SE_EEES9_SG_JZNS1_25segmented_radix_sort_implINS0_14default_configELb1EPK12hip_bfloat16PSL_PKlPlN2at6native12_GLOBAL__N_18offset_tEEE10hipError_tPvRmT1_PNSt15iterator_traitsISZ_E10value_typeET2_T3_PNS10_IS15_E10value_typeET4_jRbjT5_S1B_jjP12ihipStream_tbEUljE_EEESW_SX_SY_S15_S19_S1B_T6_T7_T9_mT8_S1D_bDpT10_ENKUlT_T0_E_clISt17integral_constantIbLb1EES1Q_EEDaS1L_S1M_EUlS1L_E_NS1_11comp_targetILNS1_3genE2ELNS1_11target_archE906ELNS1_3gpuE6ELNS1_3repE0EEENS1_30default_config_static_selectorELNS0_4arch9wavefront6targetE0EEEvSZ_,@function
_ZN7rocprim17ROCPRIM_400000_NS6detail17trampoline_kernelINS0_13select_configILj256ELj13ELNS0_17block_load_methodE3ELS4_3ELS4_3ELNS0_20block_scan_algorithmE0ELj4294967295EEENS1_25partition_config_selectorILNS1_17partition_subalgoE3EjNS0_10empty_typeEbEEZZNS1_14partition_implILS8_3ELb0ES6_jNS0_17counting_iteratorIjlEEPS9_SE_NS0_5tupleIJPjSE_EEENSF_IJSE_SE_EEES9_SG_JZNS1_25segmented_radix_sort_implINS0_14default_configELb1EPK12hip_bfloat16PSL_PKlPlN2at6native12_GLOBAL__N_18offset_tEEE10hipError_tPvRmT1_PNSt15iterator_traitsISZ_E10value_typeET2_T3_PNS10_IS15_E10value_typeET4_jRbjT5_S1B_jjP12ihipStream_tbEUljE_EEESW_SX_SY_S15_S19_S1B_T6_T7_T9_mT8_S1D_bDpT10_ENKUlT_T0_E_clISt17integral_constantIbLb1EES1Q_EEDaS1L_S1M_EUlS1L_E_NS1_11comp_targetILNS1_3genE2ELNS1_11target_archE906ELNS1_3gpuE6ELNS1_3repE0EEENS1_30default_config_static_selectorELNS0_4arch9wavefront6targetE0EEEvSZ_: ; @_ZN7rocprim17ROCPRIM_400000_NS6detail17trampoline_kernelINS0_13select_configILj256ELj13ELNS0_17block_load_methodE3ELS4_3ELS4_3ELNS0_20block_scan_algorithmE0ELj4294967295EEENS1_25partition_config_selectorILNS1_17partition_subalgoE3EjNS0_10empty_typeEbEEZZNS1_14partition_implILS8_3ELb0ES6_jNS0_17counting_iteratorIjlEEPS9_SE_NS0_5tupleIJPjSE_EEENSF_IJSE_SE_EEES9_SG_JZNS1_25segmented_radix_sort_implINS0_14default_configELb1EPK12hip_bfloat16PSL_PKlPlN2at6native12_GLOBAL__N_18offset_tEEE10hipError_tPvRmT1_PNSt15iterator_traitsISZ_E10value_typeET2_T3_PNS10_IS15_E10value_typeET4_jRbjT5_S1B_jjP12ihipStream_tbEUljE_EEESW_SX_SY_S15_S19_S1B_T6_T7_T9_mT8_S1D_bDpT10_ENKUlT_T0_E_clISt17integral_constantIbLb1EES1Q_EEDaS1L_S1M_EUlS1L_E_NS1_11comp_targetILNS1_3genE2ELNS1_11target_archE906ELNS1_3gpuE6ELNS1_3repE0EEENS1_30default_config_static_selectorELNS0_4arch9wavefront6targetE0EEEvSZ_
; %bb.0:
	.section	.rodata,"a",@progbits
	.p2align	6, 0x0
	.amdhsa_kernel _ZN7rocprim17ROCPRIM_400000_NS6detail17trampoline_kernelINS0_13select_configILj256ELj13ELNS0_17block_load_methodE3ELS4_3ELS4_3ELNS0_20block_scan_algorithmE0ELj4294967295EEENS1_25partition_config_selectorILNS1_17partition_subalgoE3EjNS0_10empty_typeEbEEZZNS1_14partition_implILS8_3ELb0ES6_jNS0_17counting_iteratorIjlEEPS9_SE_NS0_5tupleIJPjSE_EEENSF_IJSE_SE_EEES9_SG_JZNS1_25segmented_radix_sort_implINS0_14default_configELb1EPK12hip_bfloat16PSL_PKlPlN2at6native12_GLOBAL__N_18offset_tEEE10hipError_tPvRmT1_PNSt15iterator_traitsISZ_E10value_typeET2_T3_PNS10_IS15_E10value_typeET4_jRbjT5_S1B_jjP12ihipStream_tbEUljE_EEESW_SX_SY_S15_S19_S1B_T6_T7_T9_mT8_S1D_bDpT10_ENKUlT_T0_E_clISt17integral_constantIbLb1EES1Q_EEDaS1L_S1M_EUlS1L_E_NS1_11comp_targetILNS1_3genE2ELNS1_11target_archE906ELNS1_3gpuE6ELNS1_3repE0EEENS1_30default_config_static_selectorELNS0_4arch9wavefront6targetE0EEEvSZ_
		.amdhsa_group_segment_fixed_size 0
		.amdhsa_private_segment_fixed_size 0
		.amdhsa_kernarg_size 152
		.amdhsa_user_sgpr_count 15
		.amdhsa_user_sgpr_dispatch_ptr 0
		.amdhsa_user_sgpr_queue_ptr 0
		.amdhsa_user_sgpr_kernarg_segment_ptr 1
		.amdhsa_user_sgpr_dispatch_id 0
		.amdhsa_user_sgpr_private_segment_size 0
		.amdhsa_wavefront_size32 1
		.amdhsa_uses_dynamic_stack 0
		.amdhsa_enable_private_segment 0
		.amdhsa_system_sgpr_workgroup_id_x 1
		.amdhsa_system_sgpr_workgroup_id_y 0
		.amdhsa_system_sgpr_workgroup_id_z 0
		.amdhsa_system_sgpr_workgroup_info 0
		.amdhsa_system_vgpr_workitem_id 0
		.amdhsa_next_free_vgpr 1
		.amdhsa_next_free_sgpr 1
		.amdhsa_reserve_vcc 0
		.amdhsa_float_round_mode_32 0
		.amdhsa_float_round_mode_16_64 0
		.amdhsa_float_denorm_mode_32 3
		.amdhsa_float_denorm_mode_16_64 3
		.amdhsa_dx10_clamp 1
		.amdhsa_ieee_mode 1
		.amdhsa_fp16_overflow 0
		.amdhsa_workgroup_processor_mode 1
		.amdhsa_memory_ordered 1
		.amdhsa_forward_progress 0
		.amdhsa_shared_vgpr_count 0
		.amdhsa_exception_fp_ieee_invalid_op 0
		.amdhsa_exception_fp_denorm_src 0
		.amdhsa_exception_fp_ieee_div_zero 0
		.amdhsa_exception_fp_ieee_overflow 0
		.amdhsa_exception_fp_ieee_underflow 0
		.amdhsa_exception_fp_ieee_inexact 0
		.amdhsa_exception_int_div_zero 0
	.end_amdhsa_kernel
	.section	.text._ZN7rocprim17ROCPRIM_400000_NS6detail17trampoline_kernelINS0_13select_configILj256ELj13ELNS0_17block_load_methodE3ELS4_3ELS4_3ELNS0_20block_scan_algorithmE0ELj4294967295EEENS1_25partition_config_selectorILNS1_17partition_subalgoE3EjNS0_10empty_typeEbEEZZNS1_14partition_implILS8_3ELb0ES6_jNS0_17counting_iteratorIjlEEPS9_SE_NS0_5tupleIJPjSE_EEENSF_IJSE_SE_EEES9_SG_JZNS1_25segmented_radix_sort_implINS0_14default_configELb1EPK12hip_bfloat16PSL_PKlPlN2at6native12_GLOBAL__N_18offset_tEEE10hipError_tPvRmT1_PNSt15iterator_traitsISZ_E10value_typeET2_T3_PNS10_IS15_E10value_typeET4_jRbjT5_S1B_jjP12ihipStream_tbEUljE_EEESW_SX_SY_S15_S19_S1B_T6_T7_T9_mT8_S1D_bDpT10_ENKUlT_T0_E_clISt17integral_constantIbLb1EES1Q_EEDaS1L_S1M_EUlS1L_E_NS1_11comp_targetILNS1_3genE2ELNS1_11target_archE906ELNS1_3gpuE6ELNS1_3repE0EEENS1_30default_config_static_selectorELNS0_4arch9wavefront6targetE0EEEvSZ_,"axG",@progbits,_ZN7rocprim17ROCPRIM_400000_NS6detail17trampoline_kernelINS0_13select_configILj256ELj13ELNS0_17block_load_methodE3ELS4_3ELS4_3ELNS0_20block_scan_algorithmE0ELj4294967295EEENS1_25partition_config_selectorILNS1_17partition_subalgoE3EjNS0_10empty_typeEbEEZZNS1_14partition_implILS8_3ELb0ES6_jNS0_17counting_iteratorIjlEEPS9_SE_NS0_5tupleIJPjSE_EEENSF_IJSE_SE_EEES9_SG_JZNS1_25segmented_radix_sort_implINS0_14default_configELb1EPK12hip_bfloat16PSL_PKlPlN2at6native12_GLOBAL__N_18offset_tEEE10hipError_tPvRmT1_PNSt15iterator_traitsISZ_E10value_typeET2_T3_PNS10_IS15_E10value_typeET4_jRbjT5_S1B_jjP12ihipStream_tbEUljE_EEESW_SX_SY_S15_S19_S1B_T6_T7_T9_mT8_S1D_bDpT10_ENKUlT_T0_E_clISt17integral_constantIbLb1EES1Q_EEDaS1L_S1M_EUlS1L_E_NS1_11comp_targetILNS1_3genE2ELNS1_11target_archE906ELNS1_3gpuE6ELNS1_3repE0EEENS1_30default_config_static_selectorELNS0_4arch9wavefront6targetE0EEEvSZ_,comdat
.Lfunc_end1926:
	.size	_ZN7rocprim17ROCPRIM_400000_NS6detail17trampoline_kernelINS0_13select_configILj256ELj13ELNS0_17block_load_methodE3ELS4_3ELS4_3ELNS0_20block_scan_algorithmE0ELj4294967295EEENS1_25partition_config_selectorILNS1_17partition_subalgoE3EjNS0_10empty_typeEbEEZZNS1_14partition_implILS8_3ELb0ES6_jNS0_17counting_iteratorIjlEEPS9_SE_NS0_5tupleIJPjSE_EEENSF_IJSE_SE_EEES9_SG_JZNS1_25segmented_radix_sort_implINS0_14default_configELb1EPK12hip_bfloat16PSL_PKlPlN2at6native12_GLOBAL__N_18offset_tEEE10hipError_tPvRmT1_PNSt15iterator_traitsISZ_E10value_typeET2_T3_PNS10_IS15_E10value_typeET4_jRbjT5_S1B_jjP12ihipStream_tbEUljE_EEESW_SX_SY_S15_S19_S1B_T6_T7_T9_mT8_S1D_bDpT10_ENKUlT_T0_E_clISt17integral_constantIbLb1EES1Q_EEDaS1L_S1M_EUlS1L_E_NS1_11comp_targetILNS1_3genE2ELNS1_11target_archE906ELNS1_3gpuE6ELNS1_3repE0EEENS1_30default_config_static_selectorELNS0_4arch9wavefront6targetE0EEEvSZ_, .Lfunc_end1926-_ZN7rocprim17ROCPRIM_400000_NS6detail17trampoline_kernelINS0_13select_configILj256ELj13ELNS0_17block_load_methodE3ELS4_3ELS4_3ELNS0_20block_scan_algorithmE0ELj4294967295EEENS1_25partition_config_selectorILNS1_17partition_subalgoE3EjNS0_10empty_typeEbEEZZNS1_14partition_implILS8_3ELb0ES6_jNS0_17counting_iteratorIjlEEPS9_SE_NS0_5tupleIJPjSE_EEENSF_IJSE_SE_EEES9_SG_JZNS1_25segmented_radix_sort_implINS0_14default_configELb1EPK12hip_bfloat16PSL_PKlPlN2at6native12_GLOBAL__N_18offset_tEEE10hipError_tPvRmT1_PNSt15iterator_traitsISZ_E10value_typeET2_T3_PNS10_IS15_E10value_typeET4_jRbjT5_S1B_jjP12ihipStream_tbEUljE_EEESW_SX_SY_S15_S19_S1B_T6_T7_T9_mT8_S1D_bDpT10_ENKUlT_T0_E_clISt17integral_constantIbLb1EES1Q_EEDaS1L_S1M_EUlS1L_E_NS1_11comp_targetILNS1_3genE2ELNS1_11target_archE906ELNS1_3gpuE6ELNS1_3repE0EEENS1_30default_config_static_selectorELNS0_4arch9wavefront6targetE0EEEvSZ_
                                        ; -- End function
	.section	.AMDGPU.csdata,"",@progbits
; Kernel info:
; codeLenInByte = 0
; NumSgprs: 0
; NumVgprs: 0
; ScratchSize: 0
; MemoryBound: 0
; FloatMode: 240
; IeeeMode: 1
; LDSByteSize: 0 bytes/workgroup (compile time only)
; SGPRBlocks: 0
; VGPRBlocks: 0
; NumSGPRsForWavesPerEU: 1
; NumVGPRsForWavesPerEU: 1
; Occupancy: 16
; WaveLimiterHint : 0
; COMPUTE_PGM_RSRC2:SCRATCH_EN: 0
; COMPUTE_PGM_RSRC2:USER_SGPR: 15
; COMPUTE_PGM_RSRC2:TRAP_HANDLER: 0
; COMPUTE_PGM_RSRC2:TGID_X_EN: 1
; COMPUTE_PGM_RSRC2:TGID_Y_EN: 0
; COMPUTE_PGM_RSRC2:TGID_Z_EN: 0
; COMPUTE_PGM_RSRC2:TIDIG_COMP_CNT: 0
	.section	.text._ZN7rocprim17ROCPRIM_400000_NS6detail17trampoline_kernelINS0_13select_configILj256ELj13ELNS0_17block_load_methodE3ELS4_3ELS4_3ELNS0_20block_scan_algorithmE0ELj4294967295EEENS1_25partition_config_selectorILNS1_17partition_subalgoE3EjNS0_10empty_typeEbEEZZNS1_14partition_implILS8_3ELb0ES6_jNS0_17counting_iteratorIjlEEPS9_SE_NS0_5tupleIJPjSE_EEENSF_IJSE_SE_EEES9_SG_JZNS1_25segmented_radix_sort_implINS0_14default_configELb1EPK12hip_bfloat16PSL_PKlPlN2at6native12_GLOBAL__N_18offset_tEEE10hipError_tPvRmT1_PNSt15iterator_traitsISZ_E10value_typeET2_T3_PNS10_IS15_E10value_typeET4_jRbjT5_S1B_jjP12ihipStream_tbEUljE_EEESW_SX_SY_S15_S19_S1B_T6_T7_T9_mT8_S1D_bDpT10_ENKUlT_T0_E_clISt17integral_constantIbLb1EES1Q_EEDaS1L_S1M_EUlS1L_E_NS1_11comp_targetILNS1_3genE10ELNS1_11target_archE1200ELNS1_3gpuE4ELNS1_3repE0EEENS1_30default_config_static_selectorELNS0_4arch9wavefront6targetE0EEEvSZ_,"axG",@progbits,_ZN7rocprim17ROCPRIM_400000_NS6detail17trampoline_kernelINS0_13select_configILj256ELj13ELNS0_17block_load_methodE3ELS4_3ELS4_3ELNS0_20block_scan_algorithmE0ELj4294967295EEENS1_25partition_config_selectorILNS1_17partition_subalgoE3EjNS0_10empty_typeEbEEZZNS1_14partition_implILS8_3ELb0ES6_jNS0_17counting_iteratorIjlEEPS9_SE_NS0_5tupleIJPjSE_EEENSF_IJSE_SE_EEES9_SG_JZNS1_25segmented_radix_sort_implINS0_14default_configELb1EPK12hip_bfloat16PSL_PKlPlN2at6native12_GLOBAL__N_18offset_tEEE10hipError_tPvRmT1_PNSt15iterator_traitsISZ_E10value_typeET2_T3_PNS10_IS15_E10value_typeET4_jRbjT5_S1B_jjP12ihipStream_tbEUljE_EEESW_SX_SY_S15_S19_S1B_T6_T7_T9_mT8_S1D_bDpT10_ENKUlT_T0_E_clISt17integral_constantIbLb1EES1Q_EEDaS1L_S1M_EUlS1L_E_NS1_11comp_targetILNS1_3genE10ELNS1_11target_archE1200ELNS1_3gpuE4ELNS1_3repE0EEENS1_30default_config_static_selectorELNS0_4arch9wavefront6targetE0EEEvSZ_,comdat
	.globl	_ZN7rocprim17ROCPRIM_400000_NS6detail17trampoline_kernelINS0_13select_configILj256ELj13ELNS0_17block_load_methodE3ELS4_3ELS4_3ELNS0_20block_scan_algorithmE0ELj4294967295EEENS1_25partition_config_selectorILNS1_17partition_subalgoE3EjNS0_10empty_typeEbEEZZNS1_14partition_implILS8_3ELb0ES6_jNS0_17counting_iteratorIjlEEPS9_SE_NS0_5tupleIJPjSE_EEENSF_IJSE_SE_EEES9_SG_JZNS1_25segmented_radix_sort_implINS0_14default_configELb1EPK12hip_bfloat16PSL_PKlPlN2at6native12_GLOBAL__N_18offset_tEEE10hipError_tPvRmT1_PNSt15iterator_traitsISZ_E10value_typeET2_T3_PNS10_IS15_E10value_typeET4_jRbjT5_S1B_jjP12ihipStream_tbEUljE_EEESW_SX_SY_S15_S19_S1B_T6_T7_T9_mT8_S1D_bDpT10_ENKUlT_T0_E_clISt17integral_constantIbLb1EES1Q_EEDaS1L_S1M_EUlS1L_E_NS1_11comp_targetILNS1_3genE10ELNS1_11target_archE1200ELNS1_3gpuE4ELNS1_3repE0EEENS1_30default_config_static_selectorELNS0_4arch9wavefront6targetE0EEEvSZ_ ; -- Begin function _ZN7rocprim17ROCPRIM_400000_NS6detail17trampoline_kernelINS0_13select_configILj256ELj13ELNS0_17block_load_methodE3ELS4_3ELS4_3ELNS0_20block_scan_algorithmE0ELj4294967295EEENS1_25partition_config_selectorILNS1_17partition_subalgoE3EjNS0_10empty_typeEbEEZZNS1_14partition_implILS8_3ELb0ES6_jNS0_17counting_iteratorIjlEEPS9_SE_NS0_5tupleIJPjSE_EEENSF_IJSE_SE_EEES9_SG_JZNS1_25segmented_radix_sort_implINS0_14default_configELb1EPK12hip_bfloat16PSL_PKlPlN2at6native12_GLOBAL__N_18offset_tEEE10hipError_tPvRmT1_PNSt15iterator_traitsISZ_E10value_typeET2_T3_PNS10_IS15_E10value_typeET4_jRbjT5_S1B_jjP12ihipStream_tbEUljE_EEESW_SX_SY_S15_S19_S1B_T6_T7_T9_mT8_S1D_bDpT10_ENKUlT_T0_E_clISt17integral_constantIbLb1EES1Q_EEDaS1L_S1M_EUlS1L_E_NS1_11comp_targetILNS1_3genE10ELNS1_11target_archE1200ELNS1_3gpuE4ELNS1_3repE0EEENS1_30default_config_static_selectorELNS0_4arch9wavefront6targetE0EEEvSZ_
	.p2align	8
	.type	_ZN7rocprim17ROCPRIM_400000_NS6detail17trampoline_kernelINS0_13select_configILj256ELj13ELNS0_17block_load_methodE3ELS4_3ELS4_3ELNS0_20block_scan_algorithmE0ELj4294967295EEENS1_25partition_config_selectorILNS1_17partition_subalgoE3EjNS0_10empty_typeEbEEZZNS1_14partition_implILS8_3ELb0ES6_jNS0_17counting_iteratorIjlEEPS9_SE_NS0_5tupleIJPjSE_EEENSF_IJSE_SE_EEES9_SG_JZNS1_25segmented_radix_sort_implINS0_14default_configELb1EPK12hip_bfloat16PSL_PKlPlN2at6native12_GLOBAL__N_18offset_tEEE10hipError_tPvRmT1_PNSt15iterator_traitsISZ_E10value_typeET2_T3_PNS10_IS15_E10value_typeET4_jRbjT5_S1B_jjP12ihipStream_tbEUljE_EEESW_SX_SY_S15_S19_S1B_T6_T7_T9_mT8_S1D_bDpT10_ENKUlT_T0_E_clISt17integral_constantIbLb1EES1Q_EEDaS1L_S1M_EUlS1L_E_NS1_11comp_targetILNS1_3genE10ELNS1_11target_archE1200ELNS1_3gpuE4ELNS1_3repE0EEENS1_30default_config_static_selectorELNS0_4arch9wavefront6targetE0EEEvSZ_,@function
_ZN7rocprim17ROCPRIM_400000_NS6detail17trampoline_kernelINS0_13select_configILj256ELj13ELNS0_17block_load_methodE3ELS4_3ELS4_3ELNS0_20block_scan_algorithmE0ELj4294967295EEENS1_25partition_config_selectorILNS1_17partition_subalgoE3EjNS0_10empty_typeEbEEZZNS1_14partition_implILS8_3ELb0ES6_jNS0_17counting_iteratorIjlEEPS9_SE_NS0_5tupleIJPjSE_EEENSF_IJSE_SE_EEES9_SG_JZNS1_25segmented_radix_sort_implINS0_14default_configELb1EPK12hip_bfloat16PSL_PKlPlN2at6native12_GLOBAL__N_18offset_tEEE10hipError_tPvRmT1_PNSt15iterator_traitsISZ_E10value_typeET2_T3_PNS10_IS15_E10value_typeET4_jRbjT5_S1B_jjP12ihipStream_tbEUljE_EEESW_SX_SY_S15_S19_S1B_T6_T7_T9_mT8_S1D_bDpT10_ENKUlT_T0_E_clISt17integral_constantIbLb1EES1Q_EEDaS1L_S1M_EUlS1L_E_NS1_11comp_targetILNS1_3genE10ELNS1_11target_archE1200ELNS1_3gpuE4ELNS1_3repE0EEENS1_30default_config_static_selectorELNS0_4arch9wavefront6targetE0EEEvSZ_: ; @_ZN7rocprim17ROCPRIM_400000_NS6detail17trampoline_kernelINS0_13select_configILj256ELj13ELNS0_17block_load_methodE3ELS4_3ELS4_3ELNS0_20block_scan_algorithmE0ELj4294967295EEENS1_25partition_config_selectorILNS1_17partition_subalgoE3EjNS0_10empty_typeEbEEZZNS1_14partition_implILS8_3ELb0ES6_jNS0_17counting_iteratorIjlEEPS9_SE_NS0_5tupleIJPjSE_EEENSF_IJSE_SE_EEES9_SG_JZNS1_25segmented_radix_sort_implINS0_14default_configELb1EPK12hip_bfloat16PSL_PKlPlN2at6native12_GLOBAL__N_18offset_tEEE10hipError_tPvRmT1_PNSt15iterator_traitsISZ_E10value_typeET2_T3_PNS10_IS15_E10value_typeET4_jRbjT5_S1B_jjP12ihipStream_tbEUljE_EEESW_SX_SY_S15_S19_S1B_T6_T7_T9_mT8_S1D_bDpT10_ENKUlT_T0_E_clISt17integral_constantIbLb1EES1Q_EEDaS1L_S1M_EUlS1L_E_NS1_11comp_targetILNS1_3genE10ELNS1_11target_archE1200ELNS1_3gpuE4ELNS1_3repE0EEENS1_30default_config_static_selectorELNS0_4arch9wavefront6targetE0EEEvSZ_
; %bb.0:
	.section	.rodata,"a",@progbits
	.p2align	6, 0x0
	.amdhsa_kernel _ZN7rocprim17ROCPRIM_400000_NS6detail17trampoline_kernelINS0_13select_configILj256ELj13ELNS0_17block_load_methodE3ELS4_3ELS4_3ELNS0_20block_scan_algorithmE0ELj4294967295EEENS1_25partition_config_selectorILNS1_17partition_subalgoE3EjNS0_10empty_typeEbEEZZNS1_14partition_implILS8_3ELb0ES6_jNS0_17counting_iteratorIjlEEPS9_SE_NS0_5tupleIJPjSE_EEENSF_IJSE_SE_EEES9_SG_JZNS1_25segmented_radix_sort_implINS0_14default_configELb1EPK12hip_bfloat16PSL_PKlPlN2at6native12_GLOBAL__N_18offset_tEEE10hipError_tPvRmT1_PNSt15iterator_traitsISZ_E10value_typeET2_T3_PNS10_IS15_E10value_typeET4_jRbjT5_S1B_jjP12ihipStream_tbEUljE_EEESW_SX_SY_S15_S19_S1B_T6_T7_T9_mT8_S1D_bDpT10_ENKUlT_T0_E_clISt17integral_constantIbLb1EES1Q_EEDaS1L_S1M_EUlS1L_E_NS1_11comp_targetILNS1_3genE10ELNS1_11target_archE1200ELNS1_3gpuE4ELNS1_3repE0EEENS1_30default_config_static_selectorELNS0_4arch9wavefront6targetE0EEEvSZ_
		.amdhsa_group_segment_fixed_size 0
		.amdhsa_private_segment_fixed_size 0
		.amdhsa_kernarg_size 152
		.amdhsa_user_sgpr_count 15
		.amdhsa_user_sgpr_dispatch_ptr 0
		.amdhsa_user_sgpr_queue_ptr 0
		.amdhsa_user_sgpr_kernarg_segment_ptr 1
		.amdhsa_user_sgpr_dispatch_id 0
		.amdhsa_user_sgpr_private_segment_size 0
		.amdhsa_wavefront_size32 1
		.amdhsa_uses_dynamic_stack 0
		.amdhsa_enable_private_segment 0
		.amdhsa_system_sgpr_workgroup_id_x 1
		.amdhsa_system_sgpr_workgroup_id_y 0
		.amdhsa_system_sgpr_workgroup_id_z 0
		.amdhsa_system_sgpr_workgroup_info 0
		.amdhsa_system_vgpr_workitem_id 0
		.amdhsa_next_free_vgpr 1
		.amdhsa_next_free_sgpr 1
		.amdhsa_reserve_vcc 0
		.amdhsa_float_round_mode_32 0
		.amdhsa_float_round_mode_16_64 0
		.amdhsa_float_denorm_mode_32 3
		.amdhsa_float_denorm_mode_16_64 3
		.amdhsa_dx10_clamp 1
		.amdhsa_ieee_mode 1
		.amdhsa_fp16_overflow 0
		.amdhsa_workgroup_processor_mode 1
		.amdhsa_memory_ordered 1
		.amdhsa_forward_progress 0
		.amdhsa_shared_vgpr_count 0
		.amdhsa_exception_fp_ieee_invalid_op 0
		.amdhsa_exception_fp_denorm_src 0
		.amdhsa_exception_fp_ieee_div_zero 0
		.amdhsa_exception_fp_ieee_overflow 0
		.amdhsa_exception_fp_ieee_underflow 0
		.amdhsa_exception_fp_ieee_inexact 0
		.amdhsa_exception_int_div_zero 0
	.end_amdhsa_kernel
	.section	.text._ZN7rocprim17ROCPRIM_400000_NS6detail17trampoline_kernelINS0_13select_configILj256ELj13ELNS0_17block_load_methodE3ELS4_3ELS4_3ELNS0_20block_scan_algorithmE0ELj4294967295EEENS1_25partition_config_selectorILNS1_17partition_subalgoE3EjNS0_10empty_typeEbEEZZNS1_14partition_implILS8_3ELb0ES6_jNS0_17counting_iteratorIjlEEPS9_SE_NS0_5tupleIJPjSE_EEENSF_IJSE_SE_EEES9_SG_JZNS1_25segmented_radix_sort_implINS0_14default_configELb1EPK12hip_bfloat16PSL_PKlPlN2at6native12_GLOBAL__N_18offset_tEEE10hipError_tPvRmT1_PNSt15iterator_traitsISZ_E10value_typeET2_T3_PNS10_IS15_E10value_typeET4_jRbjT5_S1B_jjP12ihipStream_tbEUljE_EEESW_SX_SY_S15_S19_S1B_T6_T7_T9_mT8_S1D_bDpT10_ENKUlT_T0_E_clISt17integral_constantIbLb1EES1Q_EEDaS1L_S1M_EUlS1L_E_NS1_11comp_targetILNS1_3genE10ELNS1_11target_archE1200ELNS1_3gpuE4ELNS1_3repE0EEENS1_30default_config_static_selectorELNS0_4arch9wavefront6targetE0EEEvSZ_,"axG",@progbits,_ZN7rocprim17ROCPRIM_400000_NS6detail17trampoline_kernelINS0_13select_configILj256ELj13ELNS0_17block_load_methodE3ELS4_3ELS4_3ELNS0_20block_scan_algorithmE0ELj4294967295EEENS1_25partition_config_selectorILNS1_17partition_subalgoE3EjNS0_10empty_typeEbEEZZNS1_14partition_implILS8_3ELb0ES6_jNS0_17counting_iteratorIjlEEPS9_SE_NS0_5tupleIJPjSE_EEENSF_IJSE_SE_EEES9_SG_JZNS1_25segmented_radix_sort_implINS0_14default_configELb1EPK12hip_bfloat16PSL_PKlPlN2at6native12_GLOBAL__N_18offset_tEEE10hipError_tPvRmT1_PNSt15iterator_traitsISZ_E10value_typeET2_T3_PNS10_IS15_E10value_typeET4_jRbjT5_S1B_jjP12ihipStream_tbEUljE_EEESW_SX_SY_S15_S19_S1B_T6_T7_T9_mT8_S1D_bDpT10_ENKUlT_T0_E_clISt17integral_constantIbLb1EES1Q_EEDaS1L_S1M_EUlS1L_E_NS1_11comp_targetILNS1_3genE10ELNS1_11target_archE1200ELNS1_3gpuE4ELNS1_3repE0EEENS1_30default_config_static_selectorELNS0_4arch9wavefront6targetE0EEEvSZ_,comdat
.Lfunc_end1927:
	.size	_ZN7rocprim17ROCPRIM_400000_NS6detail17trampoline_kernelINS0_13select_configILj256ELj13ELNS0_17block_load_methodE3ELS4_3ELS4_3ELNS0_20block_scan_algorithmE0ELj4294967295EEENS1_25partition_config_selectorILNS1_17partition_subalgoE3EjNS0_10empty_typeEbEEZZNS1_14partition_implILS8_3ELb0ES6_jNS0_17counting_iteratorIjlEEPS9_SE_NS0_5tupleIJPjSE_EEENSF_IJSE_SE_EEES9_SG_JZNS1_25segmented_radix_sort_implINS0_14default_configELb1EPK12hip_bfloat16PSL_PKlPlN2at6native12_GLOBAL__N_18offset_tEEE10hipError_tPvRmT1_PNSt15iterator_traitsISZ_E10value_typeET2_T3_PNS10_IS15_E10value_typeET4_jRbjT5_S1B_jjP12ihipStream_tbEUljE_EEESW_SX_SY_S15_S19_S1B_T6_T7_T9_mT8_S1D_bDpT10_ENKUlT_T0_E_clISt17integral_constantIbLb1EES1Q_EEDaS1L_S1M_EUlS1L_E_NS1_11comp_targetILNS1_3genE10ELNS1_11target_archE1200ELNS1_3gpuE4ELNS1_3repE0EEENS1_30default_config_static_selectorELNS0_4arch9wavefront6targetE0EEEvSZ_, .Lfunc_end1927-_ZN7rocprim17ROCPRIM_400000_NS6detail17trampoline_kernelINS0_13select_configILj256ELj13ELNS0_17block_load_methodE3ELS4_3ELS4_3ELNS0_20block_scan_algorithmE0ELj4294967295EEENS1_25partition_config_selectorILNS1_17partition_subalgoE3EjNS0_10empty_typeEbEEZZNS1_14partition_implILS8_3ELb0ES6_jNS0_17counting_iteratorIjlEEPS9_SE_NS0_5tupleIJPjSE_EEENSF_IJSE_SE_EEES9_SG_JZNS1_25segmented_radix_sort_implINS0_14default_configELb1EPK12hip_bfloat16PSL_PKlPlN2at6native12_GLOBAL__N_18offset_tEEE10hipError_tPvRmT1_PNSt15iterator_traitsISZ_E10value_typeET2_T3_PNS10_IS15_E10value_typeET4_jRbjT5_S1B_jjP12ihipStream_tbEUljE_EEESW_SX_SY_S15_S19_S1B_T6_T7_T9_mT8_S1D_bDpT10_ENKUlT_T0_E_clISt17integral_constantIbLb1EES1Q_EEDaS1L_S1M_EUlS1L_E_NS1_11comp_targetILNS1_3genE10ELNS1_11target_archE1200ELNS1_3gpuE4ELNS1_3repE0EEENS1_30default_config_static_selectorELNS0_4arch9wavefront6targetE0EEEvSZ_
                                        ; -- End function
	.section	.AMDGPU.csdata,"",@progbits
; Kernel info:
; codeLenInByte = 0
; NumSgprs: 0
; NumVgprs: 0
; ScratchSize: 0
; MemoryBound: 0
; FloatMode: 240
; IeeeMode: 1
; LDSByteSize: 0 bytes/workgroup (compile time only)
; SGPRBlocks: 0
; VGPRBlocks: 0
; NumSGPRsForWavesPerEU: 1
; NumVGPRsForWavesPerEU: 1
; Occupancy: 16
; WaveLimiterHint : 0
; COMPUTE_PGM_RSRC2:SCRATCH_EN: 0
; COMPUTE_PGM_RSRC2:USER_SGPR: 15
; COMPUTE_PGM_RSRC2:TRAP_HANDLER: 0
; COMPUTE_PGM_RSRC2:TGID_X_EN: 1
; COMPUTE_PGM_RSRC2:TGID_Y_EN: 0
; COMPUTE_PGM_RSRC2:TGID_Z_EN: 0
; COMPUTE_PGM_RSRC2:TIDIG_COMP_CNT: 0
	.section	.text._ZN7rocprim17ROCPRIM_400000_NS6detail17trampoline_kernelINS0_13select_configILj256ELj13ELNS0_17block_load_methodE3ELS4_3ELS4_3ELNS0_20block_scan_algorithmE0ELj4294967295EEENS1_25partition_config_selectorILNS1_17partition_subalgoE3EjNS0_10empty_typeEbEEZZNS1_14partition_implILS8_3ELb0ES6_jNS0_17counting_iteratorIjlEEPS9_SE_NS0_5tupleIJPjSE_EEENSF_IJSE_SE_EEES9_SG_JZNS1_25segmented_radix_sort_implINS0_14default_configELb1EPK12hip_bfloat16PSL_PKlPlN2at6native12_GLOBAL__N_18offset_tEEE10hipError_tPvRmT1_PNSt15iterator_traitsISZ_E10value_typeET2_T3_PNS10_IS15_E10value_typeET4_jRbjT5_S1B_jjP12ihipStream_tbEUljE_EEESW_SX_SY_S15_S19_S1B_T6_T7_T9_mT8_S1D_bDpT10_ENKUlT_T0_E_clISt17integral_constantIbLb1EES1Q_EEDaS1L_S1M_EUlS1L_E_NS1_11comp_targetILNS1_3genE9ELNS1_11target_archE1100ELNS1_3gpuE3ELNS1_3repE0EEENS1_30default_config_static_selectorELNS0_4arch9wavefront6targetE0EEEvSZ_,"axG",@progbits,_ZN7rocprim17ROCPRIM_400000_NS6detail17trampoline_kernelINS0_13select_configILj256ELj13ELNS0_17block_load_methodE3ELS4_3ELS4_3ELNS0_20block_scan_algorithmE0ELj4294967295EEENS1_25partition_config_selectorILNS1_17partition_subalgoE3EjNS0_10empty_typeEbEEZZNS1_14partition_implILS8_3ELb0ES6_jNS0_17counting_iteratorIjlEEPS9_SE_NS0_5tupleIJPjSE_EEENSF_IJSE_SE_EEES9_SG_JZNS1_25segmented_radix_sort_implINS0_14default_configELb1EPK12hip_bfloat16PSL_PKlPlN2at6native12_GLOBAL__N_18offset_tEEE10hipError_tPvRmT1_PNSt15iterator_traitsISZ_E10value_typeET2_T3_PNS10_IS15_E10value_typeET4_jRbjT5_S1B_jjP12ihipStream_tbEUljE_EEESW_SX_SY_S15_S19_S1B_T6_T7_T9_mT8_S1D_bDpT10_ENKUlT_T0_E_clISt17integral_constantIbLb1EES1Q_EEDaS1L_S1M_EUlS1L_E_NS1_11comp_targetILNS1_3genE9ELNS1_11target_archE1100ELNS1_3gpuE3ELNS1_3repE0EEENS1_30default_config_static_selectorELNS0_4arch9wavefront6targetE0EEEvSZ_,comdat
	.globl	_ZN7rocprim17ROCPRIM_400000_NS6detail17trampoline_kernelINS0_13select_configILj256ELj13ELNS0_17block_load_methodE3ELS4_3ELS4_3ELNS0_20block_scan_algorithmE0ELj4294967295EEENS1_25partition_config_selectorILNS1_17partition_subalgoE3EjNS0_10empty_typeEbEEZZNS1_14partition_implILS8_3ELb0ES6_jNS0_17counting_iteratorIjlEEPS9_SE_NS0_5tupleIJPjSE_EEENSF_IJSE_SE_EEES9_SG_JZNS1_25segmented_radix_sort_implINS0_14default_configELb1EPK12hip_bfloat16PSL_PKlPlN2at6native12_GLOBAL__N_18offset_tEEE10hipError_tPvRmT1_PNSt15iterator_traitsISZ_E10value_typeET2_T3_PNS10_IS15_E10value_typeET4_jRbjT5_S1B_jjP12ihipStream_tbEUljE_EEESW_SX_SY_S15_S19_S1B_T6_T7_T9_mT8_S1D_bDpT10_ENKUlT_T0_E_clISt17integral_constantIbLb1EES1Q_EEDaS1L_S1M_EUlS1L_E_NS1_11comp_targetILNS1_3genE9ELNS1_11target_archE1100ELNS1_3gpuE3ELNS1_3repE0EEENS1_30default_config_static_selectorELNS0_4arch9wavefront6targetE0EEEvSZ_ ; -- Begin function _ZN7rocprim17ROCPRIM_400000_NS6detail17trampoline_kernelINS0_13select_configILj256ELj13ELNS0_17block_load_methodE3ELS4_3ELS4_3ELNS0_20block_scan_algorithmE0ELj4294967295EEENS1_25partition_config_selectorILNS1_17partition_subalgoE3EjNS0_10empty_typeEbEEZZNS1_14partition_implILS8_3ELb0ES6_jNS0_17counting_iteratorIjlEEPS9_SE_NS0_5tupleIJPjSE_EEENSF_IJSE_SE_EEES9_SG_JZNS1_25segmented_radix_sort_implINS0_14default_configELb1EPK12hip_bfloat16PSL_PKlPlN2at6native12_GLOBAL__N_18offset_tEEE10hipError_tPvRmT1_PNSt15iterator_traitsISZ_E10value_typeET2_T3_PNS10_IS15_E10value_typeET4_jRbjT5_S1B_jjP12ihipStream_tbEUljE_EEESW_SX_SY_S15_S19_S1B_T6_T7_T9_mT8_S1D_bDpT10_ENKUlT_T0_E_clISt17integral_constantIbLb1EES1Q_EEDaS1L_S1M_EUlS1L_E_NS1_11comp_targetILNS1_3genE9ELNS1_11target_archE1100ELNS1_3gpuE3ELNS1_3repE0EEENS1_30default_config_static_selectorELNS0_4arch9wavefront6targetE0EEEvSZ_
	.p2align	8
	.type	_ZN7rocprim17ROCPRIM_400000_NS6detail17trampoline_kernelINS0_13select_configILj256ELj13ELNS0_17block_load_methodE3ELS4_3ELS4_3ELNS0_20block_scan_algorithmE0ELj4294967295EEENS1_25partition_config_selectorILNS1_17partition_subalgoE3EjNS0_10empty_typeEbEEZZNS1_14partition_implILS8_3ELb0ES6_jNS0_17counting_iteratorIjlEEPS9_SE_NS0_5tupleIJPjSE_EEENSF_IJSE_SE_EEES9_SG_JZNS1_25segmented_radix_sort_implINS0_14default_configELb1EPK12hip_bfloat16PSL_PKlPlN2at6native12_GLOBAL__N_18offset_tEEE10hipError_tPvRmT1_PNSt15iterator_traitsISZ_E10value_typeET2_T3_PNS10_IS15_E10value_typeET4_jRbjT5_S1B_jjP12ihipStream_tbEUljE_EEESW_SX_SY_S15_S19_S1B_T6_T7_T9_mT8_S1D_bDpT10_ENKUlT_T0_E_clISt17integral_constantIbLb1EES1Q_EEDaS1L_S1M_EUlS1L_E_NS1_11comp_targetILNS1_3genE9ELNS1_11target_archE1100ELNS1_3gpuE3ELNS1_3repE0EEENS1_30default_config_static_selectorELNS0_4arch9wavefront6targetE0EEEvSZ_,@function
_ZN7rocprim17ROCPRIM_400000_NS6detail17trampoline_kernelINS0_13select_configILj256ELj13ELNS0_17block_load_methodE3ELS4_3ELS4_3ELNS0_20block_scan_algorithmE0ELj4294967295EEENS1_25partition_config_selectorILNS1_17partition_subalgoE3EjNS0_10empty_typeEbEEZZNS1_14partition_implILS8_3ELb0ES6_jNS0_17counting_iteratorIjlEEPS9_SE_NS0_5tupleIJPjSE_EEENSF_IJSE_SE_EEES9_SG_JZNS1_25segmented_radix_sort_implINS0_14default_configELb1EPK12hip_bfloat16PSL_PKlPlN2at6native12_GLOBAL__N_18offset_tEEE10hipError_tPvRmT1_PNSt15iterator_traitsISZ_E10value_typeET2_T3_PNS10_IS15_E10value_typeET4_jRbjT5_S1B_jjP12ihipStream_tbEUljE_EEESW_SX_SY_S15_S19_S1B_T6_T7_T9_mT8_S1D_bDpT10_ENKUlT_T0_E_clISt17integral_constantIbLb1EES1Q_EEDaS1L_S1M_EUlS1L_E_NS1_11comp_targetILNS1_3genE9ELNS1_11target_archE1100ELNS1_3gpuE3ELNS1_3repE0EEENS1_30default_config_static_selectorELNS0_4arch9wavefront6targetE0EEEvSZ_: ; @_ZN7rocprim17ROCPRIM_400000_NS6detail17trampoline_kernelINS0_13select_configILj256ELj13ELNS0_17block_load_methodE3ELS4_3ELS4_3ELNS0_20block_scan_algorithmE0ELj4294967295EEENS1_25partition_config_selectorILNS1_17partition_subalgoE3EjNS0_10empty_typeEbEEZZNS1_14partition_implILS8_3ELb0ES6_jNS0_17counting_iteratorIjlEEPS9_SE_NS0_5tupleIJPjSE_EEENSF_IJSE_SE_EEES9_SG_JZNS1_25segmented_radix_sort_implINS0_14default_configELb1EPK12hip_bfloat16PSL_PKlPlN2at6native12_GLOBAL__N_18offset_tEEE10hipError_tPvRmT1_PNSt15iterator_traitsISZ_E10value_typeET2_T3_PNS10_IS15_E10value_typeET4_jRbjT5_S1B_jjP12ihipStream_tbEUljE_EEESW_SX_SY_S15_S19_S1B_T6_T7_T9_mT8_S1D_bDpT10_ENKUlT_T0_E_clISt17integral_constantIbLb1EES1Q_EEDaS1L_S1M_EUlS1L_E_NS1_11comp_targetILNS1_3genE9ELNS1_11target_archE1100ELNS1_3gpuE3ELNS1_3repE0EEENS1_30default_config_static_selectorELNS0_4arch9wavefront6targetE0EEEvSZ_
; %bb.0:
	s_clause 0x6
	s_load_b64 s[16:17], s[0:1], 0x10
	s_load_b64 s[12:13], s[0:1], 0x28
	;; [unrolled: 1-line block ×3, first 2 shown]
	s_load_b128 s[8:11], s[0:1], 0x48
	s_load_b32 s3, s[0:1], 0x90
	s_load_b64 s[18:19], s[0:1], 0x68
	s_load_b128 s[4:7], s[0:1], 0x80
	v_cmp_eq_u32_e64 s2, 0, v0
	s_delay_alu instid0(VALU_DEP_1)
	s_and_saveexec_b32 s20, s2
	s_cbranch_execz .LBB1928_4
; %bb.1:
	s_mov_b32 s22, exec_lo
	s_mov_b32 s21, exec_lo
	v_mbcnt_lo_u32_b32 v1, s22, 0
                                        ; implicit-def: $vgpr2
	s_delay_alu instid0(VALU_DEP_1)
	v_cmpx_eq_u32_e32 0, v1
	s_cbranch_execz .LBB1928_3
; %bb.2:
	s_load_b64 s[24:25], s[0:1], 0x78
	s_bcnt1_i32_b32 s22, s22
	s_delay_alu instid0(SALU_CYCLE_1)
	v_dual_mov_b32 v2, 0 :: v_dual_mov_b32 v3, s22
	s_waitcnt lgkmcnt(0)
	global_atomic_add_u32 v2, v2, v3, s[24:25] glc
.LBB1928_3:
	s_or_b32 exec_lo, exec_lo, s21
	s_waitcnt vmcnt(0)
	v_readfirstlane_b32 s21, v2
	s_delay_alu instid0(VALU_DEP_1)
	v_dual_mov_b32 v2, 0 :: v_dual_add_nc_u32 v1, s21, v1
	ds_store_b32 v2, v1
.LBB1928_4:
	s_or_b32 exec_lo, exec_lo, s20
	v_mov_b32_e32 v1, 0
	s_clause 0x1
	s_load_b32 s20, s[0:1], 0x8
	s_load_b32 s0, s[0:1], 0x70
	s_waitcnt lgkmcnt(0)
	s_barrier
	buffer_gl0_inv
	ds_load_b32 v2, v1
	s_waitcnt lgkmcnt(0)
	s_barrier
	buffer_gl0_inv
	global_load_b64 v[18:19], v1, s[10:11]
	v_lshlrev_b32_e32 v33, 2, v0
	s_add_i32 s21, s20, s16
	s_mul_i32 s1, s0, 0xd00
	s_add_i32 s0, s0, -1
	s_add_u32 s10, s16, s1
	s_addc_u32 s11, s17, 0
	v_mul_lo_u32 v32, 0xd00, v2
	v_readfirstlane_b32 s20, v2
	v_cmp_lt_u64_e64 s11, s[10:11], s[14:15]
	v_cmp_ne_u32_e32 vcc_lo, s0, v2
	s_delay_alu instid0(VALU_DEP_3) | instskip(SKIP_1) | instid1(VALU_DEP_4)
	s_cmp_eq_u32 s20, s0
	s_cselect_b32 s10, -1, 0
	v_add3_u32 v1, v32, s21, v0
	s_delay_alu instid0(VALU_DEP_3) | instskip(SKIP_2) | instid1(VALU_DEP_1)
	s_or_b32 s0, s11, vcc_lo
	s_mov_b32 s11, -1
	s_and_b32 vcc_lo, exec_lo, s0
	v_add_nc_u32_e32 v2, 0x100, v1
	v_add_nc_u32_e32 v3, 0x200, v1
	;; [unrolled: 1-line block ×12, first 2 shown]
	s_cbranch_vccz .LBB1928_6
; %bb.5:
	ds_store_2addr_stride64_b32 v33, v1, v2 offset1:4
	ds_store_2addr_stride64_b32 v33, v3, v4 offset0:8 offset1:12
	ds_store_2addr_stride64_b32 v33, v5, v6 offset0:16 offset1:20
	;; [unrolled: 1-line block ×5, first 2 shown]
	ds_store_b32 v33, v13 offset:12288
	s_waitcnt vmcnt(0) lgkmcnt(0)
	s_mov_b32 s11, 0
	s_barrier
.LBB1928_6:
	s_and_not1_b32 vcc_lo, exec_lo, s11
	s_add_i32 s1, s1, s16
	s_cbranch_vccnz .LBB1928_8
; %bb.7:
	ds_store_2addr_stride64_b32 v33, v1, v2 offset1:4
	ds_store_2addr_stride64_b32 v33, v3, v4 offset0:8 offset1:12
	ds_store_2addr_stride64_b32 v33, v5, v6 offset0:16 offset1:20
	;; [unrolled: 1-line block ×5, first 2 shown]
	ds_store_b32 v33, v13 offset:12288
	s_waitcnt vmcnt(0) lgkmcnt(0)
	s_barrier
.LBB1928_8:
	v_mul_u32_u24_e32 v36, 13, v0
	s_waitcnt vmcnt(0)
	buffer_gl0_inv
	v_cndmask_b32_e64 v34, 0, 1, s0
	s_sub_i32 s11, s14, s1
	s_and_not1_b32 vcc_lo, exec_lo, s0
	v_lshlrev_b32_e32 v1, 2, v36
	ds_load_2addr_b32 v[30:31], v1 offset1:1
	ds_load_2addr_b32 v[28:29], v1 offset0:2 offset1:3
	ds_load_2addr_b32 v[26:27], v1 offset0:4 offset1:5
	;; [unrolled: 1-line block ×5, first 2 shown]
	ds_load_b32 v35, v1 offset:48
	s_waitcnt lgkmcnt(0)
	s_barrier
	buffer_gl0_inv
	s_cbranch_vccnz .LBB1928_10
; %bb.9:
	v_add_nc_u32_e32 v1, s5, v30
	v_add_nc_u32_e32 v2, s7, v30
	v_add_nc_u32_e32 v3, s5, v31
	v_add_nc_u32_e32 v4, s7, v31
	v_add_nc_u32_e32 v5, s5, v28
	v_mul_lo_u32 v1, v1, s4
	v_mul_lo_u32 v2, v2, s6
	;; [unrolled: 1-line block ×4, first 2 shown]
	v_add_nc_u32_e32 v6, s7, v28
	v_add_nc_u32_e32 v7, s5, v29
	;; [unrolled: 1-line block ×3, first 2 shown]
	v_mul_lo_u32 v5, v5, s4
	v_add_nc_u32_e32 v9, s5, v24
	v_sub_nc_u32_e32 v1, v1, v2
	v_mul_lo_u32 v2, v6, s6
	v_sub_nc_u32_e32 v3, v3, v4
	v_mul_lo_u32 v4, v7, s4
	v_mul_lo_u32 v6, v8, s6
	v_add_nc_u32_e32 v7, s5, v26
	v_cmp_lt_u32_e32 vcc_lo, s3, v1
	v_add_nc_u32_e32 v8, s5, v27
	v_add_nc_u32_e32 v10, s7, v24
	v_sub_nc_u32_e32 v2, v5, v2
	v_add_nc_u32_e32 v5, s7, v26
	v_cndmask_b32_e64 v1, 0, 1, vcc_lo
	v_sub_nc_u32_e32 v4, v4, v6
	v_mul_lo_u32 v6, v7, s4
	v_add_nc_u32_e32 v7, s7, v27
	v_cmp_lt_u32_e32 vcc_lo, s3, v3
	v_mul_lo_u32 v5, v5, s6
	v_mul_lo_u32 v8, v8, s4
	;; [unrolled: 1-line block ×4, first 2 shown]
	v_cndmask_b32_e64 v3, 0, 1, vcc_lo
	v_cmp_lt_u32_e32 vcc_lo, s3, v2
	v_mul_lo_u32 v10, v10, s6
	v_add_nc_u32_e32 v11, s5, v22
	v_sub_nc_u32_e32 v5, v6, v5
	v_add_nc_u32_e32 v12, s7, v22
	v_cndmask_b32_e64 v2, 0, 1, vcc_lo
	v_sub_nc_u32_e32 v6, v8, v7
	v_add_nc_u32_e32 v7, s5, v25
	v_add_nc_u32_e32 v8, s7, v25
	v_cmp_lt_u32_e32 vcc_lo, s3, v4
	v_sub_nc_u32_e32 v9, v9, v10
	v_mul_lo_u32 v10, v11, s4
	v_mul_lo_u32 v7, v7, s4
	;; [unrolled: 1-line block ×4, first 2 shown]
	v_cndmask_b32_e64 v4, 0, 1, vcc_lo
	v_cmp_lt_u32_e32 vcc_lo, s3, v5
	v_add_nc_u32_e32 v12, s5, v23
	v_add_nc_u32_e32 v13, s7, v20
	;; [unrolled: 1-line block ×4, first 2 shown]
	v_cndmask_b32_e64 v5, 0, 1, vcc_lo
	v_cmp_lt_u32_e32 vcc_lo, s3, v6
	v_sub_nc_u32_e32 v7, v7, v8
	v_sub_nc_u32_e32 v8, v10, v11
	v_add_nc_u32_e32 v11, s7, v23
	v_mul_lo_u32 v10, v12, s4
	v_cndmask_b32_e64 v6, 0, 1, vcc_lo
	v_cmp_lt_u32_e32 vcc_lo, s3, v9
	v_add_nc_u32_e32 v12, s5, v20
	v_mul_lo_u32 v11, v11, s6
	v_mul_lo_u32 v13, v13, s6
	;; [unrolled: 1-line block ×3, first 2 shown]
	v_cndmask_b32_e64 v9, 0, 1, vcc_lo
	v_cmp_lt_u32_e32 vcc_lo, s3, v7
	v_mul_lo_u32 v12, v12, s4
	v_mul_lo_u32 v15, v15, s6
	v_lshlrev_b16 v3, 8, v3
	v_sub_nc_u32_e32 v10, v10, v11
	v_cndmask_b32_e64 v7, 0, 1, vcc_lo
	v_cmp_lt_u32_e32 vcc_lo, s3, v8
	v_add_nc_u32_e32 v11, s5, v35
	v_or_b32_e32 v1, v1, v3
	v_sub_nc_u32_e32 v12, v12, v13
	v_sub_nc_u32_e32 v13, v14, v15
	v_cndmask_b32_e64 v8, 0, 1, vcc_lo
	v_cmp_lt_u32_e32 vcc_lo, s3, v10
	v_add_nc_u32_e32 v16, s7, v35
	v_mul_lo_u32 v11, v11, s4
	v_lshlrev_b16 v4, 8, v4
	v_lshlrev_b16 v6, 8, v6
	v_cndmask_b32_e64 v10, 0, 1, vcc_lo
	v_cmp_lt_u32_e32 vcc_lo, s3, v12
	v_mul_lo_u32 v14, v16, s6
	v_lshlrev_b16 v7, 8, v7
	v_or_b32_e32 v2, v2, v4
	v_lshlrev_b16 v10, 8, v10
	v_cndmask_b32_e64 v3, 0, 1, vcc_lo
	v_cmp_lt_u32_e32 vcc_lo, s3, v13
	v_or_b32_e32 v4, v5, v6
	v_or_b32_e32 v5, v9, v7
	v_sub_nc_u32_e32 v11, v11, v14
	v_or_b32_e32 v6, v8, v10
	v_cndmask_b32_e64 v12, 0, 1, vcc_lo
	v_and_b32_e32 v1, 0xffff, v1
	v_lshlrev_b32_e32 v2, 16, v2
	v_and_b32_e32 v4, 0xffff, v4
	v_lshlrev_b32_e32 v5, 16, v5
	v_lshlrev_b16 v12, 8, v12
	v_and_b32_e32 v6, 0xffff, v6
	v_cmp_lt_u32_e32 vcc_lo, s3, v11
	v_or_b32_e32 v42, v1, v2
	v_or_b32_e32 v40, v4, v5
	;; [unrolled: 1-line block ×3, first 2 shown]
	v_cndmask_b32_e64 v37, 0, 1, vcc_lo
	s_delay_alu instid0(VALU_DEP_2) | instskip(NEXT) | instid1(VALU_DEP_1)
	v_lshlrev_b32_e32 v3, 16, v3
	v_or_b32_e32 v38, v6, v3
	s_addk_i32 s11, 0xd00
	s_cbranch_execz .LBB1928_11
	s_branch .LBB1928_38
.LBB1928_10:
                                        ; implicit-def: $vgpr37
                                        ; implicit-def: $vgpr38
                                        ; implicit-def: $vgpr40
                                        ; implicit-def: $vgpr42
	s_addk_i32 s11, 0xd00
.LBB1928_11:
	v_dual_mov_b32 v2, 0 :: v_dual_mov_b32 v1, 0
	s_mov_b32 s0, exec_lo
	v_cmpx_gt_u32_e64 s11, v36
; %bb.12:
	v_add_nc_u32_e32 v1, s5, v30
	v_add_nc_u32_e32 v3, s7, v30
	s_delay_alu instid0(VALU_DEP_2) | instskip(NEXT) | instid1(VALU_DEP_2)
	v_mul_lo_u32 v1, v1, s4
	v_mul_lo_u32 v3, v3, s6
	s_delay_alu instid0(VALU_DEP_1) | instskip(NEXT) | instid1(VALU_DEP_1)
	v_sub_nc_u32_e32 v1, v1, v3
	v_cmp_lt_u32_e32 vcc_lo, s3, v1
	v_cndmask_b32_e64 v1, 0, 1, vcc_lo
; %bb.13:
	s_or_b32 exec_lo, exec_lo, s0
	v_add_nc_u32_e32 v3, 1, v36
	s_mov_b32 s0, exec_lo
	s_delay_alu instid0(VALU_DEP_1)
	v_cmpx_gt_u32_e64 s11, v3
; %bb.14:
	v_add_nc_u32_e32 v2, s5, v31
	v_add_nc_u32_e32 v3, s7, v31
	s_delay_alu instid0(VALU_DEP_2) | instskip(NEXT) | instid1(VALU_DEP_2)
	v_mul_lo_u32 v2, v2, s4
	v_mul_lo_u32 v3, v3, s6
	s_delay_alu instid0(VALU_DEP_1) | instskip(NEXT) | instid1(VALU_DEP_1)
	v_sub_nc_u32_e32 v2, v2, v3
	v_cmp_lt_u32_e32 vcc_lo, s3, v2
	v_cndmask_b32_e64 v2, 0, 1, vcc_lo
; %bb.15:
	s_or_b32 exec_lo, exec_lo, s0
	v_dual_mov_b32 v4, 0 :: v_dual_add_nc_u32 v3, 2, v36
	s_delay_alu instid0(VALU_DEP_1)
	v_cmp_gt_u32_e32 vcc_lo, s11, v3
	v_mov_b32_e32 v3, 0
	s_and_saveexec_b32 s0, vcc_lo
; %bb.16:
	v_add_nc_u32_e32 v3, s5, v28
	v_add_nc_u32_e32 v5, s7, v28
	s_delay_alu instid0(VALU_DEP_2) | instskip(NEXT) | instid1(VALU_DEP_2)
	v_mul_lo_u32 v3, v3, s4
	v_mul_lo_u32 v5, v5, s6
	s_delay_alu instid0(VALU_DEP_1) | instskip(NEXT) | instid1(VALU_DEP_1)
	v_sub_nc_u32_e32 v3, v3, v5
	v_cmp_lt_u32_e32 vcc_lo, s3, v3
	v_cndmask_b32_e64 v3, 0, 1, vcc_lo
; %bb.17:
	s_or_b32 exec_lo, exec_lo, s0
	v_add_nc_u32_e32 v5, 3, v36
	s_mov_b32 s0, exec_lo
	s_delay_alu instid0(VALU_DEP_1)
	v_cmpx_gt_u32_e64 s11, v5
; %bb.18:
	v_add_nc_u32_e32 v4, s5, v29
	v_add_nc_u32_e32 v5, s7, v29
	s_delay_alu instid0(VALU_DEP_2) | instskip(NEXT) | instid1(VALU_DEP_2)
	v_mul_lo_u32 v4, v4, s4
	v_mul_lo_u32 v5, v5, s6
	s_delay_alu instid0(VALU_DEP_1) | instskip(NEXT) | instid1(VALU_DEP_1)
	v_sub_nc_u32_e32 v4, v4, v5
	v_cmp_lt_u32_e32 vcc_lo, s3, v4
	v_cndmask_b32_e64 v4, 0, 1, vcc_lo
; %bb.19:
	s_or_b32 exec_lo, exec_lo, s0
	v_dual_mov_b32 v6, 0 :: v_dual_add_nc_u32 v5, 4, v36
	s_delay_alu instid0(VALU_DEP_1)
	v_cmp_gt_u32_e32 vcc_lo, s11, v5
	v_mov_b32_e32 v5, 0
	s_and_saveexec_b32 s0, vcc_lo
	;; [unrolled: 33-line block ×5, first 2 shown]
; %bb.32:
	v_add_nc_u32_e32 v11, s5, v20
	v_add_nc_u32_e32 v13, s7, v20
	s_delay_alu instid0(VALU_DEP_2) | instskip(NEXT) | instid1(VALU_DEP_2)
	v_mul_lo_u32 v11, v11, s4
	v_mul_lo_u32 v13, v13, s6
	s_delay_alu instid0(VALU_DEP_1) | instskip(NEXT) | instid1(VALU_DEP_1)
	v_sub_nc_u32_e32 v11, v11, v13
	v_cmp_lt_u32_e32 vcc_lo, s3, v11
	v_cndmask_b32_e64 v11, 0, 1, vcc_lo
; %bb.33:
	s_or_b32 exec_lo, exec_lo, s0
	v_add_nc_u32_e32 v13, 11, v36
	s_mov_b32 s0, exec_lo
	s_delay_alu instid0(VALU_DEP_1)
	v_cmpx_gt_u32_e64 s11, v13
; %bb.34:
	v_add_nc_u32_e32 v12, s5, v21
	v_add_nc_u32_e32 v13, s7, v21
	s_delay_alu instid0(VALU_DEP_2) | instskip(NEXT) | instid1(VALU_DEP_2)
	v_mul_lo_u32 v12, v12, s4
	v_mul_lo_u32 v13, v13, s6
	s_delay_alu instid0(VALU_DEP_1) | instskip(NEXT) | instid1(VALU_DEP_1)
	v_sub_nc_u32_e32 v12, v12, v13
	v_cmp_lt_u32_e32 vcc_lo, s3, v12
	v_cndmask_b32_e64 v12, 0, 1, vcc_lo
; %bb.35:
	s_or_b32 exec_lo, exec_lo, s0
	v_add_nc_u32_e32 v13, 12, v36
	v_mov_b32_e32 v37, 0
	s_mov_b32 s0, exec_lo
	s_delay_alu instid0(VALU_DEP_2)
	v_cmpx_gt_u32_e64 s11, v13
; %bb.36:
	v_add_nc_u32_e32 v13, s5, v35
	v_add_nc_u32_e32 v14, s7, v35
	s_delay_alu instid0(VALU_DEP_2) | instskip(NEXT) | instid1(VALU_DEP_2)
	v_mul_lo_u32 v13, v13, s4
	v_mul_lo_u32 v14, v14, s6
	s_delay_alu instid0(VALU_DEP_1) | instskip(NEXT) | instid1(VALU_DEP_1)
	v_sub_nc_u32_e32 v13, v13, v14
	v_cmp_lt_u32_e32 vcc_lo, s3, v13
	v_cndmask_b32_e64 v37, 0, 1, vcc_lo
; %bb.37:
	s_or_b32 exec_lo, exec_lo, s0
	v_lshlrev_b16 v2, 8, v2
	v_lshlrev_b16 v4, 8, v4
	v_lshlrev_b16 v6, 8, v6
	v_lshlrev_b16 v8, 8, v8
	v_lshlrev_b16 v10, 8, v10
	v_or_b32_e32 v1, v1, v2
	v_lshlrev_b16 v2, 8, v12
	v_or_b32_e32 v3, v3, v4
	v_or_b32_e32 v4, v5, v6
	;; [unrolled: 1-line block ×5, first 2 shown]
	v_and_b32_e32 v1, 0xffff, v1
	v_lshlrev_b32_e32 v3, 16, v3
	v_and_b32_e32 v4, 0xffff, v4
	v_lshlrev_b32_e32 v5, 16, v5
	;; [unrolled: 2-line block ×3, first 2 shown]
	v_or_b32_e32 v42, v1, v3
	s_delay_alu instid0(VALU_DEP_4) | instskip(NEXT) | instid1(VALU_DEP_3)
	v_or_b32_e32 v40, v4, v5
	v_or_b32_e32 v38, v6, v2
.LBB1928_38:
	s_delay_alu instid0(VALU_DEP_3)
	v_and_b32_e32 v44, 0xff, v42
	v_bfe_u32 v45, v42, 8, 8
	v_bfe_u32 v46, v42, 16, 8
	v_lshrrev_b32_e32 v43, 24, v42
	v_and_b32_e32 v47, 0xff, v40
	v_bfe_u32 v48, v40, 8, 8
	v_bfe_u32 v49, v40, 16, 8
	v_add3_u32 v1, v45, v44, v46
	v_lshrrev_b32_e32 v41, 24, v40
	v_and_b32_e32 v50, 0xff, v38
	v_bfe_u32 v51, v38, 8, 8
	v_mbcnt_lo_u32_b32 v53, -1, 0
	v_add3_u32 v1, v1, v43, v47
	v_bfe_u32 v52, v38, 16, 8
	v_lshrrev_b32_e32 v39, 24, v38
	v_and_b32_e32 v2, 0xff, v37
	v_and_b32_e32 v3, 15, v53
	v_add3_u32 v1, v1, v48, v49
	v_or_b32_e32 v4, 31, v0
	v_and_b32_e32 v5, 16, v53
	v_lshrrev_b32_e32 v54, 5, v0
	v_cmp_eq_u32_e64 s6, 0, v3
	v_add3_u32 v1, v1, v41, v50
	v_cmp_lt_u32_e64 s5, 1, v3
	v_cmp_lt_u32_e64 s4, 3, v3
	;; [unrolled: 1-line block ×3, first 2 shown]
	v_cmp_eq_u32_e64 s1, 0, v5
	v_add3_u32 v1, v1, v51, v52
	v_cmp_eq_u32_e64 s0, v4, v0
	s_cmp_lg_u32 s20, 0
	s_mov_b32 s7, -1
	s_delay_alu instid0(VALU_DEP_2)
	v_add3_u32 v55, v1, v39, v2
	s_cbranch_scc0 .LBB1928_69
; %bb.39:
	s_delay_alu instid0(VALU_DEP_1) | instskip(NEXT) | instid1(VALU_DEP_1)
	v_mov_b32_dpp v1, v55 row_shr:1 row_mask:0xf bank_mask:0xf
	v_cndmask_b32_e64 v1, v1, 0, s6
	s_delay_alu instid0(VALU_DEP_1) | instskip(NEXT) | instid1(VALU_DEP_1)
	v_add_nc_u32_e32 v1, v1, v55
	v_mov_b32_dpp v2, v1 row_shr:2 row_mask:0xf bank_mask:0xf
	s_delay_alu instid0(VALU_DEP_1) | instskip(NEXT) | instid1(VALU_DEP_1)
	v_cndmask_b32_e64 v2, 0, v2, s5
	v_add_nc_u32_e32 v1, v1, v2
	s_delay_alu instid0(VALU_DEP_1) | instskip(NEXT) | instid1(VALU_DEP_1)
	v_mov_b32_dpp v2, v1 row_shr:4 row_mask:0xf bank_mask:0xf
	v_cndmask_b32_e64 v2, 0, v2, s4
	s_delay_alu instid0(VALU_DEP_1) | instskip(NEXT) | instid1(VALU_DEP_1)
	v_add_nc_u32_e32 v1, v1, v2
	v_mov_b32_dpp v2, v1 row_shr:8 row_mask:0xf bank_mask:0xf
	s_delay_alu instid0(VALU_DEP_1) | instskip(NEXT) | instid1(VALU_DEP_1)
	v_cndmask_b32_e64 v2, 0, v2, s3
	v_add_nc_u32_e32 v1, v1, v2
	ds_swizzle_b32 v2, v1 offset:swizzle(BROADCAST,32,15)
	s_waitcnt lgkmcnt(0)
	v_cndmask_b32_e64 v2, v2, 0, s1
	s_delay_alu instid0(VALU_DEP_1)
	v_add_nc_u32_e32 v1, v1, v2
	s_and_saveexec_b32 s7, s0
	s_cbranch_execz .LBB1928_41
; %bb.40:
	v_lshlrev_b32_e32 v2, 2, v54
	ds_store_b32 v2, v1
.LBB1928_41:
	s_or_b32 exec_lo, exec_lo, s7
	s_delay_alu instid0(SALU_CYCLE_1)
	s_mov_b32 s7, exec_lo
	s_waitcnt lgkmcnt(0)
	s_barrier
	buffer_gl0_inv
	v_cmpx_gt_u32_e32 8, v0
	s_cbranch_execz .LBB1928_43
; %bb.42:
	ds_load_b32 v2, v33
	s_waitcnt lgkmcnt(0)
	v_mov_b32_dpp v4, v2 row_shr:1 row_mask:0xf bank_mask:0xf
	v_and_b32_e32 v3, 7, v53
	s_delay_alu instid0(VALU_DEP_1) | instskip(NEXT) | instid1(VALU_DEP_3)
	v_cmp_ne_u32_e32 vcc_lo, 0, v3
	v_cndmask_b32_e32 v4, 0, v4, vcc_lo
	v_cmp_lt_u32_e32 vcc_lo, 1, v3
	s_delay_alu instid0(VALU_DEP_2) | instskip(NEXT) | instid1(VALU_DEP_1)
	v_add_nc_u32_e32 v2, v4, v2
	v_mov_b32_dpp v4, v2 row_shr:2 row_mask:0xf bank_mask:0xf
	s_delay_alu instid0(VALU_DEP_1) | instskip(SKIP_1) | instid1(VALU_DEP_2)
	v_cndmask_b32_e32 v4, 0, v4, vcc_lo
	v_cmp_lt_u32_e32 vcc_lo, 3, v3
	v_add_nc_u32_e32 v2, v2, v4
	s_delay_alu instid0(VALU_DEP_1) | instskip(NEXT) | instid1(VALU_DEP_1)
	v_mov_b32_dpp v4, v2 row_shr:4 row_mask:0xf bank_mask:0xf
	v_cndmask_b32_e32 v3, 0, v4, vcc_lo
	s_delay_alu instid0(VALU_DEP_1)
	v_add_nc_u32_e32 v2, v2, v3
	ds_store_b32 v33, v2
.LBB1928_43:
	s_or_b32 exec_lo, exec_lo, s7
	v_cmp_gt_u32_e32 vcc_lo, 32, v0
	s_mov_b32 s21, exec_lo
	s_waitcnt lgkmcnt(0)
	s_barrier
	buffer_gl0_inv
                                        ; implicit-def: $vgpr8
	v_cmpx_lt_u32_e32 31, v0
	s_cbranch_execz .LBB1928_45
; %bb.44:
	v_lshl_add_u32 v2, v54, 2, -4
	ds_load_b32 v8, v2
	s_waitcnt lgkmcnt(0)
	v_add_nc_u32_e32 v1, v8, v1
.LBB1928_45:
	s_or_b32 exec_lo, exec_lo, s21
	v_add_nc_u32_e32 v2, -1, v53
	s_delay_alu instid0(VALU_DEP_1) | instskip(NEXT) | instid1(VALU_DEP_1)
	v_cmp_gt_i32_e64 s7, 0, v2
	v_cndmask_b32_e64 v2, v2, v53, s7
	v_cmp_eq_u32_e64 s7, 0, v53
	s_delay_alu instid0(VALU_DEP_2)
	v_lshlrev_b32_e32 v2, 2, v2
	ds_bpermute_b32 v9, v2, v1
	s_and_saveexec_b32 s21, vcc_lo
	s_cbranch_execz .LBB1928_68
; %bb.46:
	v_mov_b32_e32 v4, 0
	ds_load_b32 v1, v4 offset:28
	s_and_saveexec_b32 s22, s7
	s_cbranch_execz .LBB1928_48
; %bb.47:
	s_add_i32 s24, s20, 32
	s_mov_b32 s25, 0
	v_mov_b32_e32 v2, 1
	s_lshl_b64 s[24:25], s[24:25], 3
	s_delay_alu instid0(SALU_CYCLE_1)
	s_add_u32 s24, s18, s24
	s_addc_u32 s25, s19, s25
	s_waitcnt lgkmcnt(0)
	global_store_b64 v4, v[1:2], s[24:25]
.LBB1928_48:
	s_or_b32 exec_lo, exec_lo, s22
	v_xad_u32 v2, v53, -1, s20
	s_mov_b32 s23, 0
	s_mov_b32 s22, exec_lo
	s_delay_alu instid0(VALU_DEP_1) | instskip(NEXT) | instid1(VALU_DEP_1)
	v_add_nc_u32_e32 v3, 32, v2
	v_lshlrev_b64 v[3:4], 3, v[3:4]
	s_delay_alu instid0(VALU_DEP_1) | instskip(NEXT) | instid1(VALU_DEP_2)
	v_add_co_u32 v6, vcc_lo, s18, v3
	v_add_co_ci_u32_e32 v7, vcc_lo, s19, v4, vcc_lo
	global_load_b64 v[4:5], v[6:7], off glc
	s_waitcnt vmcnt(0)
	v_and_b32_e32 v3, 0xff, v5
	s_delay_alu instid0(VALU_DEP_1)
	v_cmpx_eq_u16_e32 0, v3
	s_cbranch_execz .LBB1928_54
; %bb.49:
	s_mov_b32 s24, 1
	.p2align	6
.LBB1928_50:                            ; =>This Loop Header: Depth=1
                                        ;     Child Loop BB1928_51 Depth 2
	s_delay_alu instid0(SALU_CYCLE_1)
	s_max_u32 s25, s24, 1
.LBB1928_51:                            ;   Parent Loop BB1928_50 Depth=1
                                        ; =>  This Inner Loop Header: Depth=2
	s_delay_alu instid0(SALU_CYCLE_1)
	s_add_i32 s25, s25, -1
	s_sleep 1
	s_cmp_eq_u32 s25, 0
	s_cbranch_scc0 .LBB1928_51
; %bb.52:                               ;   in Loop: Header=BB1928_50 Depth=1
	global_load_b64 v[4:5], v[6:7], off glc
	s_cmp_lt_u32 s24, 32
	s_cselect_b32 s25, -1, 0
	s_delay_alu instid0(SALU_CYCLE_1) | instskip(SKIP_3) | instid1(VALU_DEP_1)
	s_cmp_lg_u32 s25, 0
	s_addc_u32 s24, s24, 0
	s_waitcnt vmcnt(0)
	v_and_b32_e32 v3, 0xff, v5
	v_cmp_ne_u16_e32 vcc_lo, 0, v3
	s_or_b32 s23, vcc_lo, s23
	s_delay_alu instid0(SALU_CYCLE_1)
	s_and_not1_b32 exec_lo, exec_lo, s23
	s_cbranch_execnz .LBB1928_50
; %bb.53:
	s_or_b32 exec_lo, exec_lo, s23
.LBB1928_54:
	s_delay_alu instid0(SALU_CYCLE_1)
	s_or_b32 exec_lo, exec_lo, s22
	v_cmp_ne_u32_e32 vcc_lo, 31, v53
	v_lshlrev_b32_e64 v11, v53, -1
	v_add_nc_u32_e32 v13, 2, v53
	v_add_nc_u32_e32 v15, 4, v53
	;; [unrolled: 1-line block ×3, first 2 shown]
	v_add_co_ci_u32_e32 v3, vcc_lo, 0, v53, vcc_lo
	v_add_nc_u32_e32 v58, 16, v53
	s_delay_alu instid0(VALU_DEP_2) | instskip(SKIP_2) | instid1(VALU_DEP_1)
	v_lshlrev_b32_e32 v10, 2, v3
	ds_bpermute_b32 v6, v10, v4
	v_and_b32_e32 v3, 0xff, v5
	v_cmp_eq_u16_e32 vcc_lo, 2, v3
	v_and_or_b32 v3, vcc_lo, v11, 0x80000000
	v_cmp_gt_u32_e32 vcc_lo, 30, v53
	s_delay_alu instid0(VALU_DEP_2) | instskip(SKIP_1) | instid1(VALU_DEP_2)
	v_ctz_i32_b32_e32 v3, v3
	v_cndmask_b32_e64 v7, 0, 1, vcc_lo
	v_cmp_lt_u32_e32 vcc_lo, v53, v3
	s_waitcnt lgkmcnt(0)
	s_delay_alu instid0(VALU_DEP_2) | instskip(NEXT) | instid1(VALU_DEP_1)
	v_dual_cndmask_b32 v6, 0, v6 :: v_dual_lshlrev_b32 v7, 1, v7
	v_add_lshl_u32 v12, v7, v53, 2
	v_cmp_gt_u32_e32 vcc_lo, 28, v53
	s_delay_alu instid0(VALU_DEP_3) | instskip(SKIP_4) | instid1(VALU_DEP_1)
	v_add_nc_u32_e32 v4, v6, v4
	v_cndmask_b32_e64 v7, 0, 1, vcc_lo
	v_cmp_le_u32_e32 vcc_lo, v13, v3
	ds_bpermute_b32 v6, v12, v4
	v_lshlrev_b32_e32 v7, 2, v7
	v_add_lshl_u32 v14, v7, v53, 2
	s_waitcnt lgkmcnt(0)
	v_cndmask_b32_e32 v6, 0, v6, vcc_lo
	v_cmp_gt_u32_e32 vcc_lo, 24, v53
	s_delay_alu instid0(VALU_DEP_2) | instskip(SKIP_4) | instid1(VALU_DEP_1)
	v_add_nc_u32_e32 v4, v4, v6
	v_cndmask_b32_e64 v7, 0, 1, vcc_lo
	v_cmp_le_u32_e32 vcc_lo, v15, v3
	ds_bpermute_b32 v6, v14, v4
	v_lshlrev_b32_e32 v7, 3, v7
	v_add_lshl_u32 v17, v7, v53, 2
	s_waitcnt lgkmcnt(0)
	v_cndmask_b32_e32 v6, 0, v6, vcc_lo
	v_cmp_gt_u32_e32 vcc_lo, 16, v53
	s_delay_alu instid0(VALU_DEP_2) | instskip(SKIP_4) | instid1(VALU_DEP_1)
	v_add_nc_u32_e32 v4, v4, v6
	v_cndmask_b32_e64 v7, 0, 1, vcc_lo
	v_cmp_le_u32_e32 vcc_lo, v56, v3
	ds_bpermute_b32 v6, v17, v4
	v_lshlrev_b32_e32 v7, 4, v7
	v_add_lshl_u32 v57, v7, v53, 2
	s_waitcnt lgkmcnt(0)
	v_cndmask_b32_e32 v6, 0, v6, vcc_lo
	v_cmp_le_u32_e32 vcc_lo, v58, v3
	s_delay_alu instid0(VALU_DEP_2) | instskip(SKIP_3) | instid1(VALU_DEP_1)
	v_add_nc_u32_e32 v4, v4, v6
	ds_bpermute_b32 v6, v57, v4
	s_waitcnt lgkmcnt(0)
	v_cndmask_b32_e32 v3, 0, v6, vcc_lo
	v_dual_mov_b32 v3, 0 :: v_dual_add_nc_u32 v4, v4, v3
	s_branch .LBB1928_56
.LBB1928_55:                            ;   in Loop: Header=BB1928_56 Depth=1
	s_or_b32 exec_lo, exec_lo, s22
	ds_bpermute_b32 v7, v10, v4
	v_and_b32_e32 v6, 0xff, v5
	v_subrev_nc_u32_e32 v2, 32, v2
	s_delay_alu instid0(VALU_DEP_2) | instskip(SKIP_1) | instid1(VALU_DEP_1)
	v_cmp_eq_u16_e32 vcc_lo, 2, v6
	v_and_or_b32 v6, vcc_lo, v11, 0x80000000
	v_ctz_i32_b32_e32 v6, v6
	s_delay_alu instid0(VALU_DEP_1) | instskip(SKIP_3) | instid1(VALU_DEP_2)
	v_cmp_lt_u32_e32 vcc_lo, v53, v6
	s_waitcnt lgkmcnt(0)
	v_cndmask_b32_e32 v7, 0, v7, vcc_lo
	v_cmp_le_u32_e32 vcc_lo, v13, v6
	v_add_nc_u32_e32 v4, v7, v4
	ds_bpermute_b32 v7, v12, v4
	s_waitcnt lgkmcnt(0)
	v_cndmask_b32_e32 v7, 0, v7, vcc_lo
	v_cmp_le_u32_e32 vcc_lo, v15, v6
	s_delay_alu instid0(VALU_DEP_2) | instskip(SKIP_4) | instid1(VALU_DEP_2)
	v_add_nc_u32_e32 v4, v4, v7
	ds_bpermute_b32 v7, v14, v4
	s_waitcnt lgkmcnt(0)
	v_cndmask_b32_e32 v7, 0, v7, vcc_lo
	v_cmp_le_u32_e32 vcc_lo, v56, v6
	v_add_nc_u32_e32 v4, v4, v7
	ds_bpermute_b32 v7, v17, v4
	s_waitcnt lgkmcnt(0)
	v_cndmask_b32_e32 v7, 0, v7, vcc_lo
	v_cmp_le_u32_e32 vcc_lo, v58, v6
	s_delay_alu instid0(VALU_DEP_2) | instskip(SKIP_3) | instid1(VALU_DEP_1)
	v_add_nc_u32_e32 v4, v4, v7
	ds_bpermute_b32 v7, v57, v4
	s_waitcnt lgkmcnt(0)
	v_cndmask_b32_e32 v6, 0, v7, vcc_lo
	v_add3_u32 v4, v6, v16, v4
.LBB1928_56:                            ; =>This Loop Header: Depth=1
                                        ;     Child Loop BB1928_59 Depth 2
                                        ;       Child Loop BB1928_60 Depth 3
	s_delay_alu instid0(VALU_DEP_1) | instskip(NEXT) | instid1(VALU_DEP_1)
	v_dual_mov_b32 v16, v4 :: v_dual_and_b32 v5, 0xff, v5
	v_cmp_ne_u16_e32 vcc_lo, 2, v5
	v_cndmask_b32_e64 v5, 0, 1, vcc_lo
	;;#ASMSTART
	;;#ASMEND
	s_delay_alu instid0(VALU_DEP_1)
	v_cmp_ne_u32_e32 vcc_lo, 0, v5
	s_cmp_lg_u32 vcc_lo, exec_lo
	s_cbranch_scc1 .LBB1928_63
; %bb.57:                               ;   in Loop: Header=BB1928_56 Depth=1
	v_lshlrev_b64 v[4:5], 3, v[2:3]
	s_mov_b32 s22, exec_lo
	s_delay_alu instid0(VALU_DEP_1) | instskip(NEXT) | instid1(VALU_DEP_2)
	v_add_co_u32 v6, vcc_lo, s18, v4
	v_add_co_ci_u32_e32 v7, vcc_lo, s19, v5, vcc_lo
	global_load_b64 v[4:5], v[6:7], off glc
	s_waitcnt vmcnt(0)
	v_and_b32_e32 v59, 0xff, v5
	s_delay_alu instid0(VALU_DEP_1)
	v_cmpx_eq_u16_e32 0, v59
	s_cbranch_execz .LBB1928_55
; %bb.58:                               ;   in Loop: Header=BB1928_56 Depth=1
	s_mov_b32 s24, 1
	s_mov_b32 s23, 0
	.p2align	6
.LBB1928_59:                            ;   Parent Loop BB1928_56 Depth=1
                                        ; =>  This Loop Header: Depth=2
                                        ;       Child Loop BB1928_60 Depth 3
	s_max_u32 s25, s24, 1
.LBB1928_60:                            ;   Parent Loop BB1928_56 Depth=1
                                        ;     Parent Loop BB1928_59 Depth=2
                                        ; =>    This Inner Loop Header: Depth=3
	s_delay_alu instid0(SALU_CYCLE_1)
	s_add_i32 s25, s25, -1
	s_sleep 1
	s_cmp_eq_u32 s25, 0
	s_cbranch_scc0 .LBB1928_60
; %bb.61:                               ;   in Loop: Header=BB1928_59 Depth=2
	global_load_b64 v[4:5], v[6:7], off glc
	s_cmp_lt_u32 s24, 32
	s_cselect_b32 s25, -1, 0
	s_delay_alu instid0(SALU_CYCLE_1) | instskip(SKIP_3) | instid1(VALU_DEP_1)
	s_cmp_lg_u32 s25, 0
	s_addc_u32 s24, s24, 0
	s_waitcnt vmcnt(0)
	v_and_b32_e32 v59, 0xff, v5
	v_cmp_ne_u16_e32 vcc_lo, 0, v59
	s_or_b32 s23, vcc_lo, s23
	s_delay_alu instid0(SALU_CYCLE_1)
	s_and_not1_b32 exec_lo, exec_lo, s23
	s_cbranch_execnz .LBB1928_59
; %bb.62:                               ;   in Loop: Header=BB1928_56 Depth=1
	s_or_b32 exec_lo, exec_lo, s23
	s_branch .LBB1928_55
.LBB1928_63:                            ;   in Loop: Header=BB1928_56 Depth=1
                                        ; implicit-def: $vgpr4
                                        ; implicit-def: $vgpr5
	s_cbranch_execz .LBB1928_56
; %bb.64:
	s_and_saveexec_b32 s22, s7
	s_cbranch_execz .LBB1928_66
; %bb.65:
	s_add_i32 s24, s20, 32
	s_mov_b32 s25, 0
	v_dual_mov_b32 v3, 2 :: v_dual_add_nc_u32 v2, v16, v1
	s_lshl_b64 s[24:25], s[24:25], 3
	v_mov_b32_e32 v4, 0
	v_add_nc_u32_e64 v5, 0x3400, 0
	s_add_u32 s24, s18, s24
	s_addc_u32 s25, s19, s25
	global_store_b64 v4, v[2:3], s[24:25]
	ds_store_2addr_b32 v5, v1, v16 offset1:2
.LBB1928_66:
	s_or_b32 exec_lo, exec_lo, s22
	s_delay_alu instid0(SALU_CYCLE_1)
	s_and_b32 exec_lo, exec_lo, s2
	s_cbranch_execz .LBB1928_68
; %bb.67:
	v_mov_b32_e32 v1, 0
	ds_store_b32 v1, v16 offset:28
.LBB1928_68:
	s_or_b32 exec_lo, exec_lo, s21
	v_mov_b32_e32 v1, 0
	s_waitcnt lgkmcnt(0)
	s_waitcnt_vscnt null, 0x0
	s_barrier
	buffer_gl0_inv
	v_cndmask_b32_e64 v2, v9, v8, s7
	ds_load_b32 v1, v1 offset:28
	v_add_nc_u32_e64 v11, 0x3400, 0
	s_waitcnt lgkmcnt(0)
	s_barrier
	v_cndmask_b32_e64 v2, v2, 0, s2
	buffer_gl0_inv
	ds_load_2addr_b32 v[16:17], v11 offset1:2
	v_add_nc_u32_e32 v1, v1, v2
	s_delay_alu instid0(VALU_DEP_1) | instskip(NEXT) | instid1(VALU_DEP_1)
	v_add_nc_u32_e32 v2, v1, v44
	v_add_nc_u32_e32 v3, v2, v45
	s_delay_alu instid0(VALU_DEP_1) | instskip(NEXT) | instid1(VALU_DEP_1)
	v_add_nc_u32_e32 v4, v3, v46
	;; [unrolled: 3-line block ×6, first 2 shown]
	v_add_nc_u32_e32 v13, v12, v39
	s_branch .LBB1928_79
.LBB1928_69:
                                        ; implicit-def: $vgpr17
                                        ; implicit-def: $vgpr1_vgpr2_vgpr3_vgpr4_vgpr5_vgpr6_vgpr7_vgpr8_vgpr9_vgpr10_vgpr11_vgpr12_vgpr13_vgpr14_vgpr15_vgpr16
	s_and_b32 vcc_lo, exec_lo, s7
	s_cbranch_vccz .LBB1928_79
; %bb.70:
	s_delay_alu instid0(VALU_DEP_1) | instskip(NEXT) | instid1(VALU_DEP_1)
	v_mov_b32_dpp v1, v55 row_shr:1 row_mask:0xf bank_mask:0xf
	v_cndmask_b32_e64 v1, v1, 0, s6
	s_delay_alu instid0(VALU_DEP_1) | instskip(NEXT) | instid1(VALU_DEP_1)
	v_add_nc_u32_e32 v1, v1, v55
	v_mov_b32_dpp v2, v1 row_shr:2 row_mask:0xf bank_mask:0xf
	s_delay_alu instid0(VALU_DEP_1) | instskip(NEXT) | instid1(VALU_DEP_1)
	v_cndmask_b32_e64 v2, 0, v2, s5
	v_add_nc_u32_e32 v1, v1, v2
	s_delay_alu instid0(VALU_DEP_1) | instskip(NEXT) | instid1(VALU_DEP_1)
	v_mov_b32_dpp v2, v1 row_shr:4 row_mask:0xf bank_mask:0xf
	v_cndmask_b32_e64 v2, 0, v2, s4
	s_delay_alu instid0(VALU_DEP_1) | instskip(NEXT) | instid1(VALU_DEP_1)
	v_add_nc_u32_e32 v1, v1, v2
	v_mov_b32_dpp v2, v1 row_shr:8 row_mask:0xf bank_mask:0xf
	s_delay_alu instid0(VALU_DEP_1) | instskip(NEXT) | instid1(VALU_DEP_1)
	v_cndmask_b32_e64 v2, 0, v2, s3
	v_add_nc_u32_e32 v1, v1, v2
	ds_swizzle_b32 v2, v1 offset:swizzle(BROADCAST,32,15)
	s_waitcnt lgkmcnt(0)
	v_cndmask_b32_e64 v2, v2, 0, s1
	s_delay_alu instid0(VALU_DEP_1)
	v_add_nc_u32_e32 v1, v1, v2
	s_and_saveexec_b32 s1, s0
	s_cbranch_execz .LBB1928_72
; %bb.71:
	v_lshlrev_b32_e32 v2, 2, v54
	ds_store_b32 v2, v1
.LBB1928_72:
	s_or_b32 exec_lo, exec_lo, s1
	s_delay_alu instid0(SALU_CYCLE_1)
	s_mov_b32 s0, exec_lo
	s_waitcnt lgkmcnt(0)
	s_barrier
	buffer_gl0_inv
	v_cmpx_gt_u32_e32 8, v0
	s_cbranch_execz .LBB1928_74
; %bb.73:
	ds_load_b32 v2, v33
	s_waitcnt lgkmcnt(0)
	v_mov_b32_dpp v4, v2 row_shr:1 row_mask:0xf bank_mask:0xf
	v_and_b32_e32 v3, 7, v53
	s_delay_alu instid0(VALU_DEP_1) | instskip(NEXT) | instid1(VALU_DEP_3)
	v_cmp_ne_u32_e32 vcc_lo, 0, v3
	v_cndmask_b32_e32 v4, 0, v4, vcc_lo
	v_cmp_lt_u32_e32 vcc_lo, 1, v3
	s_delay_alu instid0(VALU_DEP_2) | instskip(NEXT) | instid1(VALU_DEP_1)
	v_add_nc_u32_e32 v2, v4, v2
	v_mov_b32_dpp v4, v2 row_shr:2 row_mask:0xf bank_mask:0xf
	s_delay_alu instid0(VALU_DEP_1) | instskip(SKIP_1) | instid1(VALU_DEP_2)
	v_cndmask_b32_e32 v4, 0, v4, vcc_lo
	v_cmp_lt_u32_e32 vcc_lo, 3, v3
	v_add_nc_u32_e32 v2, v2, v4
	s_delay_alu instid0(VALU_DEP_1) | instskip(NEXT) | instid1(VALU_DEP_1)
	v_mov_b32_dpp v4, v2 row_shr:4 row_mask:0xf bank_mask:0xf
	v_cndmask_b32_e32 v3, 0, v4, vcc_lo
	s_delay_alu instid0(VALU_DEP_1)
	v_add_nc_u32_e32 v2, v2, v3
	ds_store_b32 v33, v2
.LBB1928_74:
	s_or_b32 exec_lo, exec_lo, s0
	v_dual_mov_b32 v3, 0 :: v_dual_mov_b32 v2, 0
	s_mov_b32 s0, exec_lo
	s_waitcnt lgkmcnt(0)
	s_barrier
	buffer_gl0_inv
	v_cmpx_lt_u32_e32 31, v0
	s_cbranch_execz .LBB1928_76
; %bb.75:
	v_lshl_add_u32 v2, v54, 2, -4
	ds_load_b32 v2, v2
.LBB1928_76:
	s_or_b32 exec_lo, exec_lo, s0
	v_add_nc_u32_e32 v4, -1, v53
	s_waitcnt lgkmcnt(0)
	v_add_nc_u32_e32 v1, v2, v1
	ds_load_b32 v16, v3 offset:28
	v_cmp_gt_i32_e32 vcc_lo, 0, v4
	v_cndmask_b32_e32 v4, v4, v53, vcc_lo
	s_delay_alu instid0(VALU_DEP_1)
	v_lshlrev_b32_e32 v4, 2, v4
	ds_bpermute_b32 v1, v4, v1
	s_and_saveexec_b32 s0, s2
	s_cbranch_execz .LBB1928_78
; %bb.77:
	v_mov_b32_e32 v3, 0
	v_mov_b32_e32 v17, 2
	s_waitcnt lgkmcnt(1)
	global_store_b64 v3, v[16:17], s[18:19] offset:256
.LBB1928_78:
	s_or_b32 exec_lo, exec_lo, s0
	v_cmp_eq_u32_e32 vcc_lo, 0, v53
	s_waitcnt lgkmcnt(0)
	s_waitcnt_vscnt null, 0x0
	s_barrier
	buffer_gl0_inv
	v_mov_b32_e32 v17, 0
	v_cndmask_b32_e32 v1, v1, v2, vcc_lo
	s_delay_alu instid0(VALU_DEP_1) | instskip(NEXT) | instid1(VALU_DEP_1)
	v_cndmask_b32_e64 v1, v1, 0, s2
	v_add_nc_u32_e32 v2, v1, v44
	s_delay_alu instid0(VALU_DEP_1) | instskip(NEXT) | instid1(VALU_DEP_1)
	v_add_nc_u32_e32 v3, v2, v45
	v_add_nc_u32_e32 v4, v3, v46
	s_delay_alu instid0(VALU_DEP_1) | instskip(NEXT) | instid1(VALU_DEP_1)
	v_add_nc_u32_e32 v5, v4, v43
	;; [unrolled: 3-line block ×5, first 2 shown]
	v_add_nc_u32_e32 v12, v11, v52
	s_delay_alu instid0(VALU_DEP_1)
	v_add_nc_u32_e32 v13, v12, v39
.LBB1928_79:
	s_waitcnt lgkmcnt(0)
	v_sub_nc_u32_e32 v1, v1, v17
	v_sub_nc_u32_e32 v2, v2, v17
	v_add_nc_u32_e32 v36, v16, v36
	v_lshrrev_b32_e32 v47, 8, v42
	v_lshrrev_b32_e32 v46, 16, v42
	v_sub_nc_u32_e32 v4, v4, v17
	v_sub_nc_u32_e32 v3, v3, v17
	;; [unrolled: 1-line block ×3, first 2 shown]
	v_and_b32_e32 v42, 1, v42
	v_and_b32_e32 v47, 1, v47
	;; [unrolled: 1-line block ×3, first 2 shown]
	v_lshrrev_b32_e32 v45, 8, v40
	v_lshrrev_b32_e32 v44, 16, v40
	v_cmp_eq_u32_e32 vcc_lo, 1, v42
	v_and_b32_e32 v42, 1, v46
	v_sub_nc_u32_e32 v46, v36, v2
	v_lshrrev_b32_e32 v15, 8, v38
	v_lshrrev_b32_e32 v14, 16, v38
	v_cndmask_b32_e32 v1, v48, v1, vcc_lo
	v_cmp_eq_u32_e32 vcc_lo, 1, v47
	v_add_nc_u32_e32 v46, 1, v46
	s_delay_alu instid0(VALU_DEP_3)
	v_lshlrev_b32_e32 v1, 2, v1
	ds_store_b32 v1, v30
	v_cndmask_b32_e32 v1, v46, v2, vcc_lo
	v_sub_nc_u32_e32 v48, v36, v3
	v_sub_nc_u32_e32 v49, v36, v4
	v_cmp_eq_u32_e32 vcc_lo, 1, v42
	v_or_b32_e32 v30, 0x300, v0
	v_lshlrev_b32_e32 v1, 2, v1
	v_add_nc_u32_e32 v48, 2, v48
	v_add_nc_u32_e32 v49, 3, v49
	ds_store_b32 v1, v31
	v_cndmask_b32_e32 v2, v48, v3, vcc_lo
	v_cmp_eq_u32_e32 vcc_lo, 1, v43
	v_or_b32_e32 v31, 0x200, v0
	s_delay_alu instid0(VALU_DEP_3) | instskip(SKIP_2) | instid1(VALU_DEP_3)
	v_dual_cndmask_b32 v3, v49, v4 :: v_dual_lshlrev_b32 v2, 2, v2
	v_sub_nc_u32_e32 v4, v5, v17
	v_sub_nc_u32_e32 v5, v6, v17
	v_lshlrev_b32_e32 v3, 2, v3
	s_delay_alu instid0(VALU_DEP_3) | instskip(NEXT) | instid1(VALU_DEP_3)
	v_sub_nc_u32_e32 v1, v36, v4
	v_sub_nc_u32_e32 v6, v36, v5
	ds_store_b32 v2, v28
	ds_store_b32 v3, v29
	v_and_b32_e32 v2, 1, v40
	v_add_nc_u32_e32 v1, 4, v1
	v_add_nc_u32_e32 v3, 5, v6
	v_sub_nc_u32_e32 v6, v7, v17
	v_and_b32_e32 v7, 1, v45
	v_cmp_eq_u32_e32 vcc_lo, 1, v2
	v_sub_nc_u32_e32 v2, v8, v17
	v_and_b32_e32 v8, 1, v41
	v_or_b32_e32 v29, 0x400, v0
	v_or_b32_e32 v28, 0x500, v0
	v_cndmask_b32_e32 v1, v1, v4, vcc_lo
	v_sub_nc_u32_e32 v4, v36, v6
	v_cmp_eq_u32_e32 vcc_lo, 1, v7
	v_and_b32_e32 v7, 1, v44
	s_delay_alu instid0(VALU_DEP_4) | instskip(NEXT) | instid1(VALU_DEP_4)
	v_lshlrev_b32_e32 v1, 2, v1
	v_dual_cndmask_b32 v3, v3, v5 :: v_dual_add_nc_u32 v4, 6, v4
	v_sub_nc_u32_e32 v5, v36, v2
	s_delay_alu instid0(VALU_DEP_4) | instskip(SKIP_2) | instid1(VALU_DEP_4)
	v_cmp_eq_u32_e32 vcc_lo, 1, v7
	v_sub_nc_u32_e32 v7, v13, v17
	v_add_co_u32 v13, s0, s16, v32
	v_dual_cndmask_b32 v4, v4, v6 :: v_dual_add_nc_u32 v5, 7, v5
	v_cmp_eq_u32_e32 vcc_lo, 1, v8
	v_sub_nc_u32_e32 v6, v9, v17
	v_lshlrev_b32_e32 v3, 2, v3
	ds_store_b32 v1, v26
	ds_store_b32 v3, v27
	v_cndmask_b32_e32 v2, v5, v2, vcc_lo
	v_sub_nc_u32_e32 v1, v36, v6
	v_lshlrev_b32_e32 v3, 2, v4
	v_and_b32_e32 v5, 1, v38
	v_sub_nc_u32_e32 v4, v10, v17
	v_lshlrev_b32_e32 v2, 2, v2
	v_add_nc_u32_e32 v1, 8, v1
	ds_store_b32 v3, v24
	ds_store_b32 v2, v25
	v_cmp_eq_u32_e32 vcc_lo, 1, v5
	v_sub_nc_u32_e32 v3, v11, v17
	v_sub_nc_u32_e32 v2, v36, v4
	;; [unrolled: 1-line block ×3, first 2 shown]
	v_dual_cndmask_b32 v1, v1, v6 :: v_dual_and_b32 v10, 1, v39
	v_and_b32_e32 v6, 1, v15
	v_sub_nc_u32_e32 v8, v36, v3
	v_add_nc_u32_e32 v2, 9, v2
	v_sub_nc_u32_e32 v9, v36, v5
	v_and_b32_e32 v11, 1, v37
	v_cmp_eq_u32_e32 vcc_lo, 1, v6
	v_add_nc_u32_e32 v6, 10, v8
	v_and_b32_e32 v8, 1, v14
	v_add_nc_u32_e32 v9, 11, v9
	v_dual_cndmask_b32 v2, v2, v4 :: v_dual_lshlrev_b32 v1, 2, v1
	v_sub_nc_u32_e32 v4, v36, v7
	s_delay_alu instid0(VALU_DEP_4) | instskip(SKIP_1) | instid1(VALU_DEP_4)
	v_cmp_eq_u32_e32 vcc_lo, 1, v8
	v_add_co_ci_u32_e64 v14, null, s17, 0, s0
	v_lshlrev_b32_e32 v2, 2, v2
	s_delay_alu instid0(VALU_DEP_4)
	v_dual_cndmask_b32 v3, v6, v3 :: v_dual_add_nc_u32 v4, 12, v4
	v_cmp_eq_u32_e32 vcc_lo, 1, v10
	v_or_b32_e32 v27, 0x600, v0
	v_or_b32_e32 v26, 0x700, v0
	;; [unrolled: 1-line block ×3, first 2 shown]
	v_lshlrev_b32_e32 v3, 2, v3
	v_cndmask_b32_e32 v5, v9, v5, vcc_lo
	v_cmp_eq_u32_e32 vcc_lo, 1, v11
	v_or_b32_e32 v24, 0x900, v0
	s_delay_alu instid0(VALU_DEP_3) | instskip(SKIP_2) | instid1(VALU_DEP_3)
	v_dual_cndmask_b32 v4, v4, v7 :: v_dual_lshlrev_b32 v5, 2, v5
	v_sub_co_u32 v13, vcc_lo, s14, v13
	v_sub_co_ci_u32_e32 v14, vcc_lo, s15, v14, vcc_lo
	v_lshlrev_b32_e32 v4, 2, v4
	ds_store_b32 v1, v22
	ds_store_b32 v2, v23
	;; [unrolled: 1-line block ×5, first 2 shown]
	s_waitcnt lgkmcnt(0)
	s_barrier
	buffer_gl0_inv
	ds_load_2addr_stride64_b32 v[11:12], v33 offset1:4
	ds_load_2addr_stride64_b32 v[9:10], v33 offset0:8 offset1:12
	ds_load_2addr_stride64_b32 v[7:8], v33 offset0:16 offset1:20
	;; [unrolled: 1-line block ×5, first 2 shown]
	ds_load_b32 v20, v33 offset:12288
	v_add_co_u32 v15, vcc_lo, v18, v17
	v_add_co_ci_u32_e32 v17, vcc_lo, 0, v19, vcc_lo
	v_add_co_u32 v13, vcc_lo, v13, v16
	v_add_co_ci_u32_e32 v14, vcc_lo, 0, v14, vcc_lo
	v_cmp_ne_u32_e32 vcc_lo, 1, v34
	s_delay_alu instid0(VALU_DEP_3)
	v_add_co_u32 v18, s0, v13, v15
	v_or_b32_e32 v35, 0x100, v0
	v_or_b32_e32 v23, 0xa00, v0
	;; [unrolled: 1-line block ×4, first 2 shown]
	v_add_co_ci_u32_e64 v19, s0, v14, v17, s0
	s_mov_b32 s0, 0
	s_cbranch_vccnz .LBB1928_136
; %bb.80:
	s_mov_b32 s0, exec_lo
                                        ; implicit-def: $vgpr13_vgpr14
	v_cmpx_ge_u32_e64 v0, v16
	s_xor_b32 s0, exec_lo, s0
; %bb.81:
	v_not_b32_e32 v13, v0
	s_delay_alu instid0(VALU_DEP_1) | instskip(SKIP_1) | instid1(VALU_DEP_2)
	v_ashrrev_i32_e32 v14, 31, v13
	v_add_co_u32 v13, vcc_lo, v18, v13
	v_add_co_ci_u32_e32 v14, vcc_lo, v19, v14, vcc_lo
; %bb.82:
	s_and_not1_saveexec_b32 s0, s0
; %bb.83:
	v_add_co_u32 v13, vcc_lo, v15, v0
	v_add_co_ci_u32_e32 v14, vcc_lo, 0, v17, vcc_lo
; %bb.84:
	s_or_b32 exec_lo, exec_lo, s0
	s_delay_alu instid0(VALU_DEP_1) | instskip(SKIP_1) | instid1(VALU_DEP_1)
	v_lshlrev_b64 v[13:14], 2, v[13:14]
	s_mov_b32 s0, exec_lo
	v_add_co_u32 v13, vcc_lo, s12, v13
	s_delay_alu instid0(VALU_DEP_2)
	v_add_co_ci_u32_e32 v14, vcc_lo, s13, v14, vcc_lo
	s_waitcnt lgkmcnt(6)
	global_store_b32 v[13:14], v11, off
                                        ; implicit-def: $vgpr13_vgpr14
	v_cmpx_ge_u32_e64 v35, v16
	s_xor_b32 s0, exec_lo, s0
; %bb.85:
	v_xor_b32_e32 v13, 0xfffffeff, v0
	s_delay_alu instid0(VALU_DEP_1) | instskip(SKIP_1) | instid1(VALU_DEP_2)
	v_ashrrev_i32_e32 v14, 31, v13
	v_add_co_u32 v13, vcc_lo, v18, v13
	v_add_co_ci_u32_e32 v14, vcc_lo, v19, v14, vcc_lo
; %bb.86:
	s_and_not1_saveexec_b32 s0, s0
; %bb.87:
	v_add_co_u32 v13, vcc_lo, v15, v35
	v_add_co_ci_u32_e32 v14, vcc_lo, 0, v17, vcc_lo
; %bb.88:
	s_or_b32 exec_lo, exec_lo, s0
	s_delay_alu instid0(VALU_DEP_1) | instskip(SKIP_1) | instid1(VALU_DEP_1)
	v_lshlrev_b64 v[13:14], 2, v[13:14]
	s_mov_b32 s0, exec_lo
	v_add_co_u32 v13, vcc_lo, s12, v13
	s_delay_alu instid0(VALU_DEP_2)
	v_add_co_ci_u32_e32 v14, vcc_lo, s13, v14, vcc_lo
	global_store_b32 v[13:14], v12, off
                                        ; implicit-def: $vgpr13_vgpr14
	v_cmpx_ge_u32_e64 v31, v16
	s_xor_b32 s0, exec_lo, s0
; %bb.89:
	v_xor_b32_e32 v13, 0xfffffdff, v0
	s_delay_alu instid0(VALU_DEP_1) | instskip(SKIP_1) | instid1(VALU_DEP_2)
	v_ashrrev_i32_e32 v14, 31, v13
	v_add_co_u32 v13, vcc_lo, v18, v13
	v_add_co_ci_u32_e32 v14, vcc_lo, v19, v14, vcc_lo
; %bb.90:
	s_and_not1_saveexec_b32 s0, s0
; %bb.91:
	v_add_co_u32 v13, vcc_lo, v15, v31
	v_add_co_ci_u32_e32 v14, vcc_lo, 0, v17, vcc_lo
; %bb.92:
	s_or_b32 exec_lo, exec_lo, s0
	s_delay_alu instid0(VALU_DEP_1) | instskip(SKIP_1) | instid1(VALU_DEP_1)
	v_lshlrev_b64 v[13:14], 2, v[13:14]
	s_mov_b32 s0, exec_lo
	v_add_co_u32 v13, vcc_lo, s12, v13
	s_delay_alu instid0(VALU_DEP_2)
	v_add_co_ci_u32_e32 v14, vcc_lo, s13, v14, vcc_lo
	s_waitcnt lgkmcnt(5)
	global_store_b32 v[13:14], v9, off
                                        ; implicit-def: $vgpr13_vgpr14
	v_cmpx_ge_u32_e64 v30, v16
	s_xor_b32 s0, exec_lo, s0
; %bb.93:
	v_xor_b32_e32 v13, 0xfffffcff, v0
	s_delay_alu instid0(VALU_DEP_1) | instskip(SKIP_1) | instid1(VALU_DEP_2)
	v_ashrrev_i32_e32 v14, 31, v13
	v_add_co_u32 v13, vcc_lo, v18, v13
	v_add_co_ci_u32_e32 v14, vcc_lo, v19, v14, vcc_lo
; %bb.94:
	s_and_not1_saveexec_b32 s0, s0
; %bb.95:
	v_add_co_u32 v13, vcc_lo, v15, v30
	v_add_co_ci_u32_e32 v14, vcc_lo, 0, v17, vcc_lo
; %bb.96:
	s_or_b32 exec_lo, exec_lo, s0
	s_delay_alu instid0(VALU_DEP_1) | instskip(SKIP_1) | instid1(VALU_DEP_1)
	v_lshlrev_b64 v[13:14], 2, v[13:14]
	s_mov_b32 s0, exec_lo
	v_add_co_u32 v13, vcc_lo, s12, v13
	s_delay_alu instid0(VALU_DEP_2)
	v_add_co_ci_u32_e32 v14, vcc_lo, s13, v14, vcc_lo
	global_store_b32 v[13:14], v10, off
                                        ; implicit-def: $vgpr13_vgpr14
	v_cmpx_ge_u32_e64 v29, v16
	s_xor_b32 s0, exec_lo, s0
; %bb.97:
	v_xor_b32_e32 v13, 0xfffffbff, v0
	;; [unrolled: 47-line block ×6, first 2 shown]
	s_delay_alu instid0(VALU_DEP_1) | instskip(SKIP_1) | instid1(VALU_DEP_2)
	v_ashrrev_i32_e32 v14, 31, v13
	v_add_co_u32 v13, vcc_lo, v18, v13
	v_add_co_ci_u32_e32 v14, vcc_lo, v19, v14, vcc_lo
; %bb.130:
	s_and_not1_saveexec_b32 s0, s0
; %bb.131:
	v_add_co_u32 v13, vcc_lo, v15, v21
	v_add_co_ci_u32_e32 v14, vcc_lo, 0, v17, vcc_lo
; %bb.132:
	s_or_b32 exec_lo, exec_lo, s0
	s_mov_b32 s0, -1
.LBB1928_133:
	s_delay_alu instid0(SALU_CYCLE_1)
	s_and_saveexec_b32 s1, s0
	s_cbranch_execz .LBB1928_216
.LBB1928_134:
	s_waitcnt lgkmcnt(1)
	v_lshlrev_b64 v[0:1], 2, v[13:14]
	s_delay_alu instid0(VALU_DEP_1) | instskip(NEXT) | instid1(VALU_DEP_2)
	v_add_co_u32 v0, vcc_lo, s12, v0
	v_add_co_ci_u32_e32 v1, vcc_lo, s13, v1, vcc_lo
	s_waitcnt lgkmcnt(0)
	global_store_b32 v[0:1], v20, off
	s_or_b32 exec_lo, exec_lo, s1
	s_and_b32 s0, s2, s10
	s_delay_alu instid0(SALU_CYCLE_1)
	s_and_saveexec_b32 s1, s0
	s_cbranch_execnz .LBB1928_217
.LBB1928_135:
	s_nop 0
	s_sendmsg sendmsg(MSG_DEALLOC_VGPRS)
	s_endpgm
.LBB1928_136:
                                        ; implicit-def: $vgpr13_vgpr14
	s_cbranch_execz .LBB1928_133
; %bb.137:
	s_mov_b32 s1, exec_lo
	v_cmpx_gt_u32_e64 s11, v0
	s_cbranch_execz .LBB1928_173
; %bb.138:
	s_mov_b32 s3, exec_lo
                                        ; implicit-def: $vgpr13_vgpr14
	v_cmpx_ge_u32_e64 v0, v16
	s_xor_b32 s3, exec_lo, s3
; %bb.139:
	v_not_b32_e32 v13, v0
	s_delay_alu instid0(VALU_DEP_1) | instskip(SKIP_1) | instid1(VALU_DEP_2)
	v_ashrrev_i32_e32 v14, 31, v13
	v_add_co_u32 v13, vcc_lo, v18, v13
	v_add_co_ci_u32_e32 v14, vcc_lo, v19, v14, vcc_lo
; %bb.140:
	s_and_not1_saveexec_b32 s3, s3
; %bb.141:
	v_add_co_u32 v13, vcc_lo, v15, v0
	v_add_co_ci_u32_e32 v14, vcc_lo, 0, v17, vcc_lo
; %bb.142:
	s_or_b32 exec_lo, exec_lo, s3
	s_delay_alu instid0(VALU_DEP_1) | instskip(NEXT) | instid1(VALU_DEP_1)
	v_lshlrev_b64 v[13:14], 2, v[13:14]
	v_add_co_u32 v13, vcc_lo, s12, v13
	s_delay_alu instid0(VALU_DEP_2) | instskip(SKIP_3) | instid1(SALU_CYCLE_1)
	v_add_co_ci_u32_e32 v14, vcc_lo, s13, v14, vcc_lo
	s_waitcnt lgkmcnt(6)
	global_store_b32 v[13:14], v11, off
	s_or_b32 exec_lo, exec_lo, s1
	s_mov_b32 s1, exec_lo
	v_cmpx_gt_u32_e64 s11, v35
	s_cbranch_execnz .LBB1928_174
.LBB1928_143:
	s_or_b32 exec_lo, exec_lo, s1
	s_delay_alu instid0(SALU_CYCLE_1)
	s_mov_b32 s1, exec_lo
	v_cmpx_gt_u32_e64 s11, v31
	s_cbranch_execz .LBB1928_179
.LBB1928_144:
	s_mov_b32 s3, exec_lo
                                        ; implicit-def: $vgpr11_vgpr12
	v_cmpx_ge_u32_e64 v31, v16
	s_xor_b32 s3, exec_lo, s3
	s_cbranch_execz .LBB1928_146
; %bb.145:
	s_waitcnt lgkmcnt(6)
	v_xor_b32_e32 v11, 0xfffffdff, v0
                                        ; implicit-def: $vgpr31
	s_delay_alu instid0(VALU_DEP_1) | instskip(SKIP_1) | instid1(VALU_DEP_2)
	v_ashrrev_i32_e32 v12, 31, v11
	v_add_co_u32 v11, vcc_lo, v18, v11
	v_add_co_ci_u32_e32 v12, vcc_lo, v19, v12, vcc_lo
.LBB1928_146:
	s_and_not1_saveexec_b32 s3, s3
	s_cbranch_execz .LBB1928_148
; %bb.147:
	s_waitcnt lgkmcnt(6)
	v_add_co_u32 v11, vcc_lo, v15, v31
	v_add_co_ci_u32_e32 v12, vcc_lo, 0, v17, vcc_lo
.LBB1928_148:
	s_or_b32 exec_lo, exec_lo, s3
	s_waitcnt lgkmcnt(6)
	s_delay_alu instid0(VALU_DEP_1) | instskip(NEXT) | instid1(VALU_DEP_1)
	v_lshlrev_b64 v[11:12], 2, v[11:12]
	v_add_co_u32 v11, vcc_lo, s12, v11
	s_delay_alu instid0(VALU_DEP_2) | instskip(SKIP_3) | instid1(SALU_CYCLE_1)
	v_add_co_ci_u32_e32 v12, vcc_lo, s13, v12, vcc_lo
	s_waitcnt lgkmcnt(5)
	global_store_b32 v[11:12], v9, off
	s_or_b32 exec_lo, exec_lo, s1
	s_mov_b32 s1, exec_lo
	v_cmpx_gt_u32_e64 s11, v30
	s_cbranch_execnz .LBB1928_180
.LBB1928_149:
	s_or_b32 exec_lo, exec_lo, s1
	s_delay_alu instid0(SALU_CYCLE_1)
	s_mov_b32 s1, exec_lo
	v_cmpx_gt_u32_e64 s11, v29
	s_cbranch_execz .LBB1928_185
.LBB1928_150:
	s_mov_b32 s3, exec_lo
                                        ; implicit-def: $vgpr9_vgpr10
	v_cmpx_ge_u32_e64 v29, v16
	s_xor_b32 s3, exec_lo, s3
	s_cbranch_execz .LBB1928_152
; %bb.151:
	s_waitcnt lgkmcnt(5)
	v_xor_b32_e32 v9, 0xfffffbff, v0
                                        ; implicit-def: $vgpr29
	s_delay_alu instid0(VALU_DEP_1) | instskip(SKIP_1) | instid1(VALU_DEP_2)
	v_ashrrev_i32_e32 v10, 31, v9
	v_add_co_u32 v9, vcc_lo, v18, v9
	v_add_co_ci_u32_e32 v10, vcc_lo, v19, v10, vcc_lo
.LBB1928_152:
	s_and_not1_saveexec_b32 s3, s3
	s_cbranch_execz .LBB1928_154
; %bb.153:
	s_waitcnt lgkmcnt(5)
	v_add_co_u32 v9, vcc_lo, v15, v29
	v_add_co_ci_u32_e32 v10, vcc_lo, 0, v17, vcc_lo
.LBB1928_154:
	s_or_b32 exec_lo, exec_lo, s3
	s_waitcnt lgkmcnt(5)
	s_delay_alu instid0(VALU_DEP_1) | instskip(NEXT) | instid1(VALU_DEP_1)
	v_lshlrev_b64 v[9:10], 2, v[9:10]
	v_add_co_u32 v9, vcc_lo, s12, v9
	s_delay_alu instid0(VALU_DEP_2) | instskip(SKIP_3) | instid1(SALU_CYCLE_1)
	v_add_co_ci_u32_e32 v10, vcc_lo, s13, v10, vcc_lo
	s_waitcnt lgkmcnt(4)
	global_store_b32 v[9:10], v7, off
	s_or_b32 exec_lo, exec_lo, s1
	s_mov_b32 s1, exec_lo
	v_cmpx_gt_u32_e64 s11, v28
	s_cbranch_execnz .LBB1928_186
.LBB1928_155:
	s_or_b32 exec_lo, exec_lo, s1
	s_delay_alu instid0(SALU_CYCLE_1)
	s_mov_b32 s1, exec_lo
	v_cmpx_gt_u32_e64 s11, v27
	s_cbranch_execz .LBB1928_191
.LBB1928_156:
	s_mov_b32 s3, exec_lo
                                        ; implicit-def: $vgpr7_vgpr8
	v_cmpx_ge_u32_e64 v27, v16
	s_xor_b32 s3, exec_lo, s3
	s_cbranch_execz .LBB1928_158
; %bb.157:
	s_waitcnt lgkmcnt(4)
	v_xor_b32_e32 v7, 0xfffff9ff, v0
                                        ; implicit-def: $vgpr27
	s_delay_alu instid0(VALU_DEP_1) | instskip(SKIP_1) | instid1(VALU_DEP_2)
	v_ashrrev_i32_e32 v8, 31, v7
	v_add_co_u32 v7, vcc_lo, v18, v7
	v_add_co_ci_u32_e32 v8, vcc_lo, v19, v8, vcc_lo
.LBB1928_158:
	s_and_not1_saveexec_b32 s3, s3
	s_cbranch_execz .LBB1928_160
; %bb.159:
	s_waitcnt lgkmcnt(4)
	v_add_co_u32 v7, vcc_lo, v15, v27
	v_add_co_ci_u32_e32 v8, vcc_lo, 0, v17, vcc_lo
.LBB1928_160:
	s_or_b32 exec_lo, exec_lo, s3
	s_waitcnt lgkmcnt(4)
	s_delay_alu instid0(VALU_DEP_1) | instskip(NEXT) | instid1(VALU_DEP_1)
	v_lshlrev_b64 v[7:8], 2, v[7:8]
	v_add_co_u32 v7, vcc_lo, s12, v7
	s_delay_alu instid0(VALU_DEP_2) | instskip(SKIP_3) | instid1(SALU_CYCLE_1)
	v_add_co_ci_u32_e32 v8, vcc_lo, s13, v8, vcc_lo
	s_waitcnt lgkmcnt(3)
	global_store_b32 v[7:8], v5, off
	s_or_b32 exec_lo, exec_lo, s1
	s_mov_b32 s1, exec_lo
	v_cmpx_gt_u32_e64 s11, v26
	s_cbranch_execnz .LBB1928_192
.LBB1928_161:
	s_or_b32 exec_lo, exec_lo, s1
	s_delay_alu instid0(SALU_CYCLE_1)
	s_mov_b32 s1, exec_lo
	v_cmpx_gt_u32_e64 s11, v25
	s_cbranch_execz .LBB1928_197
.LBB1928_162:
	s_mov_b32 s3, exec_lo
                                        ; implicit-def: $vgpr5_vgpr6
	v_cmpx_ge_u32_e64 v25, v16
	s_xor_b32 s3, exec_lo, s3
	s_cbranch_execz .LBB1928_164
; %bb.163:
	s_waitcnt lgkmcnt(3)
	v_xor_b32_e32 v5, 0xfffff7ff, v0
                                        ; implicit-def: $vgpr25
	s_delay_alu instid0(VALU_DEP_1) | instskip(SKIP_1) | instid1(VALU_DEP_2)
	v_ashrrev_i32_e32 v6, 31, v5
	v_add_co_u32 v5, vcc_lo, v18, v5
	v_add_co_ci_u32_e32 v6, vcc_lo, v19, v6, vcc_lo
.LBB1928_164:
	s_and_not1_saveexec_b32 s3, s3
	s_cbranch_execz .LBB1928_166
; %bb.165:
	s_waitcnt lgkmcnt(3)
	v_add_co_u32 v5, vcc_lo, v15, v25
	v_add_co_ci_u32_e32 v6, vcc_lo, 0, v17, vcc_lo
.LBB1928_166:
	s_or_b32 exec_lo, exec_lo, s3
	s_waitcnt lgkmcnt(3)
	s_delay_alu instid0(VALU_DEP_1) | instskip(NEXT) | instid1(VALU_DEP_1)
	v_lshlrev_b64 v[5:6], 2, v[5:6]
	v_add_co_u32 v5, vcc_lo, s12, v5
	s_delay_alu instid0(VALU_DEP_2) | instskip(SKIP_3) | instid1(SALU_CYCLE_1)
	v_add_co_ci_u32_e32 v6, vcc_lo, s13, v6, vcc_lo
	s_waitcnt lgkmcnt(2)
	global_store_b32 v[5:6], v3, off
	s_or_b32 exec_lo, exec_lo, s1
	s_mov_b32 s1, exec_lo
	v_cmpx_gt_u32_e64 s11, v24
	s_cbranch_execnz .LBB1928_198
.LBB1928_167:
	s_or_b32 exec_lo, exec_lo, s1
	s_delay_alu instid0(SALU_CYCLE_1)
	s_mov_b32 s1, exec_lo
	v_cmpx_gt_u32_e64 s11, v23
	s_cbranch_execz .LBB1928_203
.LBB1928_168:
	s_mov_b32 s3, exec_lo
                                        ; implicit-def: $vgpr3_vgpr4
	v_cmpx_ge_u32_e64 v23, v16
	s_xor_b32 s3, exec_lo, s3
	s_cbranch_execz .LBB1928_170
; %bb.169:
	s_waitcnt lgkmcnt(2)
	v_xor_b32_e32 v3, 0xfffff5ff, v0
                                        ; implicit-def: $vgpr23
	s_delay_alu instid0(VALU_DEP_1) | instskip(SKIP_1) | instid1(VALU_DEP_2)
	v_ashrrev_i32_e32 v4, 31, v3
	v_add_co_u32 v3, vcc_lo, v18, v3
	v_add_co_ci_u32_e32 v4, vcc_lo, v19, v4, vcc_lo
.LBB1928_170:
	s_and_not1_saveexec_b32 s3, s3
	s_cbranch_execz .LBB1928_172
; %bb.171:
	s_waitcnt lgkmcnt(2)
	v_add_co_u32 v3, vcc_lo, v15, v23
	v_add_co_ci_u32_e32 v4, vcc_lo, 0, v17, vcc_lo
.LBB1928_172:
	s_or_b32 exec_lo, exec_lo, s3
	s_waitcnt lgkmcnt(2)
	s_delay_alu instid0(VALU_DEP_1) | instskip(NEXT) | instid1(VALU_DEP_1)
	v_lshlrev_b64 v[3:4], 2, v[3:4]
	v_add_co_u32 v3, vcc_lo, s12, v3
	s_delay_alu instid0(VALU_DEP_2) | instskip(SKIP_3) | instid1(SALU_CYCLE_1)
	v_add_co_ci_u32_e32 v4, vcc_lo, s13, v4, vcc_lo
	s_waitcnt lgkmcnt(1)
	global_store_b32 v[3:4], v1, off
	s_or_b32 exec_lo, exec_lo, s1
	s_mov_b32 s1, exec_lo
	v_cmpx_gt_u32_e64 s11, v22
	s_cbranch_execz .LBB1928_209
	s_branch .LBB1928_204
.LBB1928_173:
	s_or_b32 exec_lo, exec_lo, s1
	s_delay_alu instid0(SALU_CYCLE_1)
	s_mov_b32 s1, exec_lo
	v_cmpx_gt_u32_e64 s11, v35
	s_cbranch_execz .LBB1928_143
.LBB1928_174:
	s_mov_b32 s3, exec_lo
                                        ; implicit-def: $vgpr13_vgpr14
	v_cmpx_ge_u32_e64 v35, v16
	s_xor_b32 s3, exec_lo, s3
	s_cbranch_execz .LBB1928_176
; %bb.175:
	s_waitcnt lgkmcnt(6)
	v_xor_b32_e32 v11, 0xfffffeff, v0
                                        ; implicit-def: $vgpr35
	s_delay_alu instid0(VALU_DEP_1) | instskip(SKIP_1) | instid1(VALU_DEP_2)
	v_ashrrev_i32_e32 v14, 31, v11
	v_add_co_u32 v13, vcc_lo, v18, v11
	v_add_co_ci_u32_e32 v14, vcc_lo, v19, v14, vcc_lo
.LBB1928_176:
	s_and_not1_saveexec_b32 s3, s3
; %bb.177:
	v_add_co_u32 v13, vcc_lo, v15, v35
	v_add_co_ci_u32_e32 v14, vcc_lo, 0, v17, vcc_lo
; %bb.178:
	s_or_b32 exec_lo, exec_lo, s3
	s_delay_alu instid0(VALU_DEP_1) | instskip(NEXT) | instid1(VALU_DEP_1)
	v_lshlrev_b64 v[13:14], 2, v[13:14]
	v_add_co_u32 v13, vcc_lo, s12, v13
	s_delay_alu instid0(VALU_DEP_2) | instskip(SKIP_3) | instid1(SALU_CYCLE_1)
	v_add_co_ci_u32_e32 v14, vcc_lo, s13, v14, vcc_lo
	s_waitcnt lgkmcnt(6)
	global_store_b32 v[13:14], v12, off
	s_or_b32 exec_lo, exec_lo, s1
	s_mov_b32 s1, exec_lo
	v_cmpx_gt_u32_e64 s11, v31
	s_cbranch_execnz .LBB1928_144
.LBB1928_179:
	s_or_b32 exec_lo, exec_lo, s1
	s_delay_alu instid0(SALU_CYCLE_1)
	s_mov_b32 s1, exec_lo
	v_cmpx_gt_u32_e64 s11, v30
	s_cbranch_execz .LBB1928_149
.LBB1928_180:
	s_mov_b32 s3, exec_lo
                                        ; implicit-def: $vgpr11_vgpr12
	v_cmpx_ge_u32_e64 v30, v16
	s_xor_b32 s3, exec_lo, s3
	s_cbranch_execz .LBB1928_182
; %bb.181:
	s_waitcnt lgkmcnt(5)
	v_xor_b32_e32 v9, 0xfffffcff, v0
                                        ; implicit-def: $vgpr30
	s_delay_alu instid0(VALU_DEP_1) | instskip(SKIP_1) | instid1(VALU_DEP_2)
	v_ashrrev_i32_e32 v12, 31, v9
	v_add_co_u32 v11, vcc_lo, v18, v9
	v_add_co_ci_u32_e32 v12, vcc_lo, v19, v12, vcc_lo
.LBB1928_182:
	s_and_not1_saveexec_b32 s3, s3
	s_cbranch_execz .LBB1928_184
; %bb.183:
	s_waitcnt lgkmcnt(6)
	v_add_co_u32 v11, vcc_lo, v15, v30
	v_add_co_ci_u32_e32 v12, vcc_lo, 0, v17, vcc_lo
.LBB1928_184:
	s_or_b32 exec_lo, exec_lo, s3
	s_waitcnt lgkmcnt(6)
	s_delay_alu instid0(VALU_DEP_1) | instskip(NEXT) | instid1(VALU_DEP_1)
	v_lshlrev_b64 v[11:12], 2, v[11:12]
	v_add_co_u32 v11, vcc_lo, s12, v11
	s_delay_alu instid0(VALU_DEP_2) | instskip(SKIP_3) | instid1(SALU_CYCLE_1)
	v_add_co_ci_u32_e32 v12, vcc_lo, s13, v12, vcc_lo
	s_waitcnt lgkmcnt(5)
	global_store_b32 v[11:12], v10, off
	s_or_b32 exec_lo, exec_lo, s1
	s_mov_b32 s1, exec_lo
	v_cmpx_gt_u32_e64 s11, v29
	s_cbranch_execnz .LBB1928_150
.LBB1928_185:
	s_or_b32 exec_lo, exec_lo, s1
	s_delay_alu instid0(SALU_CYCLE_1)
	s_mov_b32 s1, exec_lo
	v_cmpx_gt_u32_e64 s11, v28
	s_cbranch_execz .LBB1928_155
.LBB1928_186:
	s_mov_b32 s3, exec_lo
                                        ; implicit-def: $vgpr9_vgpr10
	v_cmpx_ge_u32_e64 v28, v16
	s_xor_b32 s3, exec_lo, s3
	s_cbranch_execz .LBB1928_188
; %bb.187:
	s_waitcnt lgkmcnt(4)
	v_xor_b32_e32 v7, 0xfffffaff, v0
                                        ; implicit-def: $vgpr28
	s_delay_alu instid0(VALU_DEP_1) | instskip(SKIP_1) | instid1(VALU_DEP_2)
	v_ashrrev_i32_e32 v10, 31, v7
	v_add_co_u32 v9, vcc_lo, v18, v7
	v_add_co_ci_u32_e32 v10, vcc_lo, v19, v10, vcc_lo
.LBB1928_188:
	s_and_not1_saveexec_b32 s3, s3
	s_cbranch_execz .LBB1928_190
; %bb.189:
	s_waitcnt lgkmcnt(5)
	v_add_co_u32 v9, vcc_lo, v15, v28
	v_add_co_ci_u32_e32 v10, vcc_lo, 0, v17, vcc_lo
.LBB1928_190:
	s_or_b32 exec_lo, exec_lo, s3
	s_waitcnt lgkmcnt(5)
	s_delay_alu instid0(VALU_DEP_1) | instskip(NEXT) | instid1(VALU_DEP_1)
	v_lshlrev_b64 v[9:10], 2, v[9:10]
	v_add_co_u32 v9, vcc_lo, s12, v9
	s_delay_alu instid0(VALU_DEP_2) | instskip(SKIP_3) | instid1(SALU_CYCLE_1)
	v_add_co_ci_u32_e32 v10, vcc_lo, s13, v10, vcc_lo
	s_waitcnt lgkmcnt(4)
	global_store_b32 v[9:10], v8, off
	s_or_b32 exec_lo, exec_lo, s1
	s_mov_b32 s1, exec_lo
	v_cmpx_gt_u32_e64 s11, v27
	s_cbranch_execnz .LBB1928_156
.LBB1928_191:
	s_or_b32 exec_lo, exec_lo, s1
	s_delay_alu instid0(SALU_CYCLE_1)
	s_mov_b32 s1, exec_lo
	v_cmpx_gt_u32_e64 s11, v26
	s_cbranch_execz .LBB1928_161
.LBB1928_192:
	s_mov_b32 s3, exec_lo
                                        ; implicit-def: $vgpr7_vgpr8
	v_cmpx_ge_u32_e64 v26, v16
	s_xor_b32 s3, exec_lo, s3
	s_cbranch_execz .LBB1928_194
; %bb.193:
	s_waitcnt lgkmcnt(3)
	v_xor_b32_e32 v5, 0xfffff8ff, v0
                                        ; implicit-def: $vgpr26
	s_delay_alu instid0(VALU_DEP_1) | instskip(SKIP_1) | instid1(VALU_DEP_2)
	v_ashrrev_i32_e32 v8, 31, v5
	v_add_co_u32 v7, vcc_lo, v18, v5
	v_add_co_ci_u32_e32 v8, vcc_lo, v19, v8, vcc_lo
.LBB1928_194:
	s_and_not1_saveexec_b32 s3, s3
	s_cbranch_execz .LBB1928_196
; %bb.195:
	s_waitcnt lgkmcnt(4)
	v_add_co_u32 v7, vcc_lo, v15, v26
	v_add_co_ci_u32_e32 v8, vcc_lo, 0, v17, vcc_lo
.LBB1928_196:
	s_or_b32 exec_lo, exec_lo, s3
	s_waitcnt lgkmcnt(4)
	s_delay_alu instid0(VALU_DEP_1) | instskip(NEXT) | instid1(VALU_DEP_1)
	v_lshlrev_b64 v[7:8], 2, v[7:8]
	v_add_co_u32 v7, vcc_lo, s12, v7
	s_delay_alu instid0(VALU_DEP_2) | instskip(SKIP_3) | instid1(SALU_CYCLE_1)
	v_add_co_ci_u32_e32 v8, vcc_lo, s13, v8, vcc_lo
	s_waitcnt lgkmcnt(3)
	global_store_b32 v[7:8], v6, off
	s_or_b32 exec_lo, exec_lo, s1
	s_mov_b32 s1, exec_lo
	v_cmpx_gt_u32_e64 s11, v25
	s_cbranch_execnz .LBB1928_162
.LBB1928_197:
	s_or_b32 exec_lo, exec_lo, s1
	s_delay_alu instid0(SALU_CYCLE_1)
	s_mov_b32 s1, exec_lo
	v_cmpx_gt_u32_e64 s11, v24
	s_cbranch_execz .LBB1928_167
.LBB1928_198:
	s_mov_b32 s3, exec_lo
                                        ; implicit-def: $vgpr5_vgpr6
	v_cmpx_ge_u32_e64 v24, v16
	s_xor_b32 s3, exec_lo, s3
	s_cbranch_execz .LBB1928_200
; %bb.199:
	s_waitcnt lgkmcnt(2)
	v_xor_b32_e32 v3, 0xfffff6ff, v0
                                        ; implicit-def: $vgpr24
	s_delay_alu instid0(VALU_DEP_1) | instskip(SKIP_1) | instid1(VALU_DEP_2)
	v_ashrrev_i32_e32 v6, 31, v3
	v_add_co_u32 v5, vcc_lo, v18, v3
	v_add_co_ci_u32_e32 v6, vcc_lo, v19, v6, vcc_lo
.LBB1928_200:
	s_and_not1_saveexec_b32 s3, s3
	s_cbranch_execz .LBB1928_202
; %bb.201:
	s_waitcnt lgkmcnt(3)
	v_add_co_u32 v5, vcc_lo, v15, v24
	v_add_co_ci_u32_e32 v6, vcc_lo, 0, v17, vcc_lo
.LBB1928_202:
	s_or_b32 exec_lo, exec_lo, s3
	s_waitcnt lgkmcnt(3)
	s_delay_alu instid0(VALU_DEP_1) | instskip(NEXT) | instid1(VALU_DEP_1)
	v_lshlrev_b64 v[5:6], 2, v[5:6]
	v_add_co_u32 v5, vcc_lo, s12, v5
	s_delay_alu instid0(VALU_DEP_2) | instskip(SKIP_3) | instid1(SALU_CYCLE_1)
	v_add_co_ci_u32_e32 v6, vcc_lo, s13, v6, vcc_lo
	s_waitcnt lgkmcnt(2)
	global_store_b32 v[5:6], v4, off
	s_or_b32 exec_lo, exec_lo, s1
	s_mov_b32 s1, exec_lo
	v_cmpx_gt_u32_e64 s11, v23
	s_cbranch_execnz .LBB1928_168
.LBB1928_203:
	s_or_b32 exec_lo, exec_lo, s1
	s_delay_alu instid0(SALU_CYCLE_1)
	s_mov_b32 s1, exec_lo
	v_cmpx_gt_u32_e64 s11, v22
	s_cbranch_execz .LBB1928_209
.LBB1928_204:
	s_mov_b32 s3, exec_lo
                                        ; implicit-def: $vgpr3_vgpr4
	v_cmpx_ge_u32_e64 v22, v16
	s_xor_b32 s3, exec_lo, s3
	s_cbranch_execz .LBB1928_206
; %bb.205:
	s_waitcnt lgkmcnt(1)
	v_xor_b32_e32 v1, 0xfffff4ff, v0
                                        ; implicit-def: $vgpr22
	s_delay_alu instid0(VALU_DEP_1) | instskip(SKIP_1) | instid1(VALU_DEP_2)
	v_ashrrev_i32_e32 v4, 31, v1
	v_add_co_u32 v3, vcc_lo, v18, v1
	v_add_co_ci_u32_e32 v4, vcc_lo, v19, v4, vcc_lo
.LBB1928_206:
	s_and_not1_saveexec_b32 s3, s3
	s_cbranch_execz .LBB1928_208
; %bb.207:
	s_waitcnt lgkmcnt(2)
	v_add_co_u32 v3, vcc_lo, v15, v22
	v_add_co_ci_u32_e32 v4, vcc_lo, 0, v17, vcc_lo
.LBB1928_208:
	s_or_b32 exec_lo, exec_lo, s3
	s_waitcnt lgkmcnt(2)
	s_delay_alu instid0(VALU_DEP_1) | instskip(NEXT) | instid1(VALU_DEP_1)
	v_lshlrev_b64 v[3:4], 2, v[3:4]
	v_add_co_u32 v3, vcc_lo, s12, v3
	s_delay_alu instid0(VALU_DEP_2)
	v_add_co_ci_u32_e32 v4, vcc_lo, s13, v4, vcc_lo
	s_waitcnt lgkmcnt(1)
	global_store_b32 v[3:4], v2, off
.LBB1928_209:
	s_or_b32 exec_lo, exec_lo, s1
	s_delay_alu instid0(SALU_CYCLE_1)
	s_mov_b32 s1, exec_lo
                                        ; implicit-def: $vgpr13_vgpr14
	v_cmpx_gt_u32_e64 s11, v21
	s_cbranch_execz .LBB1928_215
; %bb.210:
	s_mov_b32 s3, exec_lo
                                        ; implicit-def: $vgpr13_vgpr14
	v_cmpx_ge_u32_e64 v21, v16
	s_xor_b32 s3, exec_lo, s3
	s_cbranch_execz .LBB1928_212
; %bb.211:
	v_xor_b32_e32 v0, 0xfffff3ff, v0
                                        ; implicit-def: $vgpr21
	s_waitcnt lgkmcnt(1)
	s_delay_alu instid0(VALU_DEP_1) | instskip(SKIP_1) | instid1(VALU_DEP_2)
	v_ashrrev_i32_e32 v1, 31, v0
	v_add_co_u32 v13, vcc_lo, v18, v0
	v_add_co_ci_u32_e32 v14, vcc_lo, v19, v1, vcc_lo
.LBB1928_212:
	s_and_not1_saveexec_b32 s3, s3
; %bb.213:
	v_add_co_u32 v13, vcc_lo, v15, v21
	v_add_co_ci_u32_e32 v14, vcc_lo, 0, v17, vcc_lo
; %bb.214:
	s_or_b32 exec_lo, exec_lo, s3
	s_delay_alu instid0(SALU_CYCLE_1)
	s_or_b32 s0, s0, exec_lo
.LBB1928_215:
	s_or_b32 exec_lo, exec_lo, s1
	s_and_saveexec_b32 s1, s0
	s_cbranch_execnz .LBB1928_134
.LBB1928_216:
	s_or_b32 exec_lo, exec_lo, s1
	s_and_b32 s0, s2, s10
	s_delay_alu instid0(SALU_CYCLE_1)
	s_and_saveexec_b32 s1, s0
	s_cbranch_execz .LBB1928_135
.LBB1928_217:
	v_add_co_u32 v0, vcc_lo, v15, v16
	s_waitcnt lgkmcnt(1)
	v_mov_b32_e32 v2, 0
	v_add_co_ci_u32_e32 v1, vcc_lo, 0, v17, vcc_lo
	global_store_b64 v2, v[0:1], s[8:9]
	s_nop 0
	s_sendmsg sendmsg(MSG_DEALLOC_VGPRS)
	s_endpgm
	.section	.rodata,"a",@progbits
	.p2align	6, 0x0
	.amdhsa_kernel _ZN7rocprim17ROCPRIM_400000_NS6detail17trampoline_kernelINS0_13select_configILj256ELj13ELNS0_17block_load_methodE3ELS4_3ELS4_3ELNS0_20block_scan_algorithmE0ELj4294967295EEENS1_25partition_config_selectorILNS1_17partition_subalgoE3EjNS0_10empty_typeEbEEZZNS1_14partition_implILS8_3ELb0ES6_jNS0_17counting_iteratorIjlEEPS9_SE_NS0_5tupleIJPjSE_EEENSF_IJSE_SE_EEES9_SG_JZNS1_25segmented_radix_sort_implINS0_14default_configELb1EPK12hip_bfloat16PSL_PKlPlN2at6native12_GLOBAL__N_18offset_tEEE10hipError_tPvRmT1_PNSt15iterator_traitsISZ_E10value_typeET2_T3_PNS10_IS15_E10value_typeET4_jRbjT5_S1B_jjP12ihipStream_tbEUljE_EEESW_SX_SY_S15_S19_S1B_T6_T7_T9_mT8_S1D_bDpT10_ENKUlT_T0_E_clISt17integral_constantIbLb1EES1Q_EEDaS1L_S1M_EUlS1L_E_NS1_11comp_targetILNS1_3genE9ELNS1_11target_archE1100ELNS1_3gpuE3ELNS1_3repE0EEENS1_30default_config_static_selectorELNS0_4arch9wavefront6targetE0EEEvSZ_
		.amdhsa_group_segment_fixed_size 13324
		.amdhsa_private_segment_fixed_size 0
		.amdhsa_kernarg_size 152
		.amdhsa_user_sgpr_count 15
		.amdhsa_user_sgpr_dispatch_ptr 0
		.amdhsa_user_sgpr_queue_ptr 0
		.amdhsa_user_sgpr_kernarg_segment_ptr 1
		.amdhsa_user_sgpr_dispatch_id 0
		.amdhsa_user_sgpr_private_segment_size 0
		.amdhsa_wavefront_size32 1
		.amdhsa_uses_dynamic_stack 0
		.amdhsa_enable_private_segment 0
		.amdhsa_system_sgpr_workgroup_id_x 1
		.amdhsa_system_sgpr_workgroup_id_y 0
		.amdhsa_system_sgpr_workgroup_id_z 0
		.amdhsa_system_sgpr_workgroup_info 0
		.amdhsa_system_vgpr_workitem_id 0
		.amdhsa_next_free_vgpr 60
		.amdhsa_next_free_sgpr 26
		.amdhsa_reserve_vcc 1
		.amdhsa_float_round_mode_32 0
		.amdhsa_float_round_mode_16_64 0
		.amdhsa_float_denorm_mode_32 3
		.amdhsa_float_denorm_mode_16_64 3
		.amdhsa_dx10_clamp 1
		.amdhsa_ieee_mode 1
		.amdhsa_fp16_overflow 0
		.amdhsa_workgroup_processor_mode 1
		.amdhsa_memory_ordered 1
		.amdhsa_forward_progress 0
		.amdhsa_shared_vgpr_count 0
		.amdhsa_exception_fp_ieee_invalid_op 0
		.amdhsa_exception_fp_denorm_src 0
		.amdhsa_exception_fp_ieee_div_zero 0
		.amdhsa_exception_fp_ieee_overflow 0
		.amdhsa_exception_fp_ieee_underflow 0
		.amdhsa_exception_fp_ieee_inexact 0
		.amdhsa_exception_int_div_zero 0
	.end_amdhsa_kernel
	.section	.text._ZN7rocprim17ROCPRIM_400000_NS6detail17trampoline_kernelINS0_13select_configILj256ELj13ELNS0_17block_load_methodE3ELS4_3ELS4_3ELNS0_20block_scan_algorithmE0ELj4294967295EEENS1_25partition_config_selectorILNS1_17partition_subalgoE3EjNS0_10empty_typeEbEEZZNS1_14partition_implILS8_3ELb0ES6_jNS0_17counting_iteratorIjlEEPS9_SE_NS0_5tupleIJPjSE_EEENSF_IJSE_SE_EEES9_SG_JZNS1_25segmented_radix_sort_implINS0_14default_configELb1EPK12hip_bfloat16PSL_PKlPlN2at6native12_GLOBAL__N_18offset_tEEE10hipError_tPvRmT1_PNSt15iterator_traitsISZ_E10value_typeET2_T3_PNS10_IS15_E10value_typeET4_jRbjT5_S1B_jjP12ihipStream_tbEUljE_EEESW_SX_SY_S15_S19_S1B_T6_T7_T9_mT8_S1D_bDpT10_ENKUlT_T0_E_clISt17integral_constantIbLb1EES1Q_EEDaS1L_S1M_EUlS1L_E_NS1_11comp_targetILNS1_3genE9ELNS1_11target_archE1100ELNS1_3gpuE3ELNS1_3repE0EEENS1_30default_config_static_selectorELNS0_4arch9wavefront6targetE0EEEvSZ_,"axG",@progbits,_ZN7rocprim17ROCPRIM_400000_NS6detail17trampoline_kernelINS0_13select_configILj256ELj13ELNS0_17block_load_methodE3ELS4_3ELS4_3ELNS0_20block_scan_algorithmE0ELj4294967295EEENS1_25partition_config_selectorILNS1_17partition_subalgoE3EjNS0_10empty_typeEbEEZZNS1_14partition_implILS8_3ELb0ES6_jNS0_17counting_iteratorIjlEEPS9_SE_NS0_5tupleIJPjSE_EEENSF_IJSE_SE_EEES9_SG_JZNS1_25segmented_radix_sort_implINS0_14default_configELb1EPK12hip_bfloat16PSL_PKlPlN2at6native12_GLOBAL__N_18offset_tEEE10hipError_tPvRmT1_PNSt15iterator_traitsISZ_E10value_typeET2_T3_PNS10_IS15_E10value_typeET4_jRbjT5_S1B_jjP12ihipStream_tbEUljE_EEESW_SX_SY_S15_S19_S1B_T6_T7_T9_mT8_S1D_bDpT10_ENKUlT_T0_E_clISt17integral_constantIbLb1EES1Q_EEDaS1L_S1M_EUlS1L_E_NS1_11comp_targetILNS1_3genE9ELNS1_11target_archE1100ELNS1_3gpuE3ELNS1_3repE0EEENS1_30default_config_static_selectorELNS0_4arch9wavefront6targetE0EEEvSZ_,comdat
.Lfunc_end1928:
	.size	_ZN7rocprim17ROCPRIM_400000_NS6detail17trampoline_kernelINS0_13select_configILj256ELj13ELNS0_17block_load_methodE3ELS4_3ELS4_3ELNS0_20block_scan_algorithmE0ELj4294967295EEENS1_25partition_config_selectorILNS1_17partition_subalgoE3EjNS0_10empty_typeEbEEZZNS1_14partition_implILS8_3ELb0ES6_jNS0_17counting_iteratorIjlEEPS9_SE_NS0_5tupleIJPjSE_EEENSF_IJSE_SE_EEES9_SG_JZNS1_25segmented_radix_sort_implINS0_14default_configELb1EPK12hip_bfloat16PSL_PKlPlN2at6native12_GLOBAL__N_18offset_tEEE10hipError_tPvRmT1_PNSt15iterator_traitsISZ_E10value_typeET2_T3_PNS10_IS15_E10value_typeET4_jRbjT5_S1B_jjP12ihipStream_tbEUljE_EEESW_SX_SY_S15_S19_S1B_T6_T7_T9_mT8_S1D_bDpT10_ENKUlT_T0_E_clISt17integral_constantIbLb1EES1Q_EEDaS1L_S1M_EUlS1L_E_NS1_11comp_targetILNS1_3genE9ELNS1_11target_archE1100ELNS1_3gpuE3ELNS1_3repE0EEENS1_30default_config_static_selectorELNS0_4arch9wavefront6targetE0EEEvSZ_, .Lfunc_end1928-_ZN7rocprim17ROCPRIM_400000_NS6detail17trampoline_kernelINS0_13select_configILj256ELj13ELNS0_17block_load_methodE3ELS4_3ELS4_3ELNS0_20block_scan_algorithmE0ELj4294967295EEENS1_25partition_config_selectorILNS1_17partition_subalgoE3EjNS0_10empty_typeEbEEZZNS1_14partition_implILS8_3ELb0ES6_jNS0_17counting_iteratorIjlEEPS9_SE_NS0_5tupleIJPjSE_EEENSF_IJSE_SE_EEES9_SG_JZNS1_25segmented_radix_sort_implINS0_14default_configELb1EPK12hip_bfloat16PSL_PKlPlN2at6native12_GLOBAL__N_18offset_tEEE10hipError_tPvRmT1_PNSt15iterator_traitsISZ_E10value_typeET2_T3_PNS10_IS15_E10value_typeET4_jRbjT5_S1B_jjP12ihipStream_tbEUljE_EEESW_SX_SY_S15_S19_S1B_T6_T7_T9_mT8_S1D_bDpT10_ENKUlT_T0_E_clISt17integral_constantIbLb1EES1Q_EEDaS1L_S1M_EUlS1L_E_NS1_11comp_targetILNS1_3genE9ELNS1_11target_archE1100ELNS1_3gpuE3ELNS1_3repE0EEENS1_30default_config_static_selectorELNS0_4arch9wavefront6targetE0EEEvSZ_
                                        ; -- End function
	.section	.AMDGPU.csdata,"",@progbits
; Kernel info:
; codeLenInByte = 9140
; NumSgprs: 28
; NumVgprs: 60
; ScratchSize: 0
; MemoryBound: 0
; FloatMode: 240
; IeeeMode: 1
; LDSByteSize: 13324 bytes/workgroup (compile time only)
; SGPRBlocks: 3
; VGPRBlocks: 7
; NumSGPRsForWavesPerEU: 28
; NumVGPRsForWavesPerEU: 60
; Occupancy: 16
; WaveLimiterHint : 0
; COMPUTE_PGM_RSRC2:SCRATCH_EN: 0
; COMPUTE_PGM_RSRC2:USER_SGPR: 15
; COMPUTE_PGM_RSRC2:TRAP_HANDLER: 0
; COMPUTE_PGM_RSRC2:TGID_X_EN: 1
; COMPUTE_PGM_RSRC2:TGID_Y_EN: 0
; COMPUTE_PGM_RSRC2:TGID_Z_EN: 0
; COMPUTE_PGM_RSRC2:TIDIG_COMP_CNT: 0
	.section	.text._ZN7rocprim17ROCPRIM_400000_NS6detail17trampoline_kernelINS0_13select_configILj256ELj13ELNS0_17block_load_methodE3ELS4_3ELS4_3ELNS0_20block_scan_algorithmE0ELj4294967295EEENS1_25partition_config_selectorILNS1_17partition_subalgoE3EjNS0_10empty_typeEbEEZZNS1_14partition_implILS8_3ELb0ES6_jNS0_17counting_iteratorIjlEEPS9_SE_NS0_5tupleIJPjSE_EEENSF_IJSE_SE_EEES9_SG_JZNS1_25segmented_radix_sort_implINS0_14default_configELb1EPK12hip_bfloat16PSL_PKlPlN2at6native12_GLOBAL__N_18offset_tEEE10hipError_tPvRmT1_PNSt15iterator_traitsISZ_E10value_typeET2_T3_PNS10_IS15_E10value_typeET4_jRbjT5_S1B_jjP12ihipStream_tbEUljE_EEESW_SX_SY_S15_S19_S1B_T6_T7_T9_mT8_S1D_bDpT10_ENKUlT_T0_E_clISt17integral_constantIbLb1EES1Q_EEDaS1L_S1M_EUlS1L_E_NS1_11comp_targetILNS1_3genE8ELNS1_11target_archE1030ELNS1_3gpuE2ELNS1_3repE0EEENS1_30default_config_static_selectorELNS0_4arch9wavefront6targetE0EEEvSZ_,"axG",@progbits,_ZN7rocprim17ROCPRIM_400000_NS6detail17trampoline_kernelINS0_13select_configILj256ELj13ELNS0_17block_load_methodE3ELS4_3ELS4_3ELNS0_20block_scan_algorithmE0ELj4294967295EEENS1_25partition_config_selectorILNS1_17partition_subalgoE3EjNS0_10empty_typeEbEEZZNS1_14partition_implILS8_3ELb0ES6_jNS0_17counting_iteratorIjlEEPS9_SE_NS0_5tupleIJPjSE_EEENSF_IJSE_SE_EEES9_SG_JZNS1_25segmented_radix_sort_implINS0_14default_configELb1EPK12hip_bfloat16PSL_PKlPlN2at6native12_GLOBAL__N_18offset_tEEE10hipError_tPvRmT1_PNSt15iterator_traitsISZ_E10value_typeET2_T3_PNS10_IS15_E10value_typeET4_jRbjT5_S1B_jjP12ihipStream_tbEUljE_EEESW_SX_SY_S15_S19_S1B_T6_T7_T9_mT8_S1D_bDpT10_ENKUlT_T0_E_clISt17integral_constantIbLb1EES1Q_EEDaS1L_S1M_EUlS1L_E_NS1_11comp_targetILNS1_3genE8ELNS1_11target_archE1030ELNS1_3gpuE2ELNS1_3repE0EEENS1_30default_config_static_selectorELNS0_4arch9wavefront6targetE0EEEvSZ_,comdat
	.globl	_ZN7rocprim17ROCPRIM_400000_NS6detail17trampoline_kernelINS0_13select_configILj256ELj13ELNS0_17block_load_methodE3ELS4_3ELS4_3ELNS0_20block_scan_algorithmE0ELj4294967295EEENS1_25partition_config_selectorILNS1_17partition_subalgoE3EjNS0_10empty_typeEbEEZZNS1_14partition_implILS8_3ELb0ES6_jNS0_17counting_iteratorIjlEEPS9_SE_NS0_5tupleIJPjSE_EEENSF_IJSE_SE_EEES9_SG_JZNS1_25segmented_radix_sort_implINS0_14default_configELb1EPK12hip_bfloat16PSL_PKlPlN2at6native12_GLOBAL__N_18offset_tEEE10hipError_tPvRmT1_PNSt15iterator_traitsISZ_E10value_typeET2_T3_PNS10_IS15_E10value_typeET4_jRbjT5_S1B_jjP12ihipStream_tbEUljE_EEESW_SX_SY_S15_S19_S1B_T6_T7_T9_mT8_S1D_bDpT10_ENKUlT_T0_E_clISt17integral_constantIbLb1EES1Q_EEDaS1L_S1M_EUlS1L_E_NS1_11comp_targetILNS1_3genE8ELNS1_11target_archE1030ELNS1_3gpuE2ELNS1_3repE0EEENS1_30default_config_static_selectorELNS0_4arch9wavefront6targetE0EEEvSZ_ ; -- Begin function _ZN7rocprim17ROCPRIM_400000_NS6detail17trampoline_kernelINS0_13select_configILj256ELj13ELNS0_17block_load_methodE3ELS4_3ELS4_3ELNS0_20block_scan_algorithmE0ELj4294967295EEENS1_25partition_config_selectorILNS1_17partition_subalgoE3EjNS0_10empty_typeEbEEZZNS1_14partition_implILS8_3ELb0ES6_jNS0_17counting_iteratorIjlEEPS9_SE_NS0_5tupleIJPjSE_EEENSF_IJSE_SE_EEES9_SG_JZNS1_25segmented_radix_sort_implINS0_14default_configELb1EPK12hip_bfloat16PSL_PKlPlN2at6native12_GLOBAL__N_18offset_tEEE10hipError_tPvRmT1_PNSt15iterator_traitsISZ_E10value_typeET2_T3_PNS10_IS15_E10value_typeET4_jRbjT5_S1B_jjP12ihipStream_tbEUljE_EEESW_SX_SY_S15_S19_S1B_T6_T7_T9_mT8_S1D_bDpT10_ENKUlT_T0_E_clISt17integral_constantIbLb1EES1Q_EEDaS1L_S1M_EUlS1L_E_NS1_11comp_targetILNS1_3genE8ELNS1_11target_archE1030ELNS1_3gpuE2ELNS1_3repE0EEENS1_30default_config_static_selectorELNS0_4arch9wavefront6targetE0EEEvSZ_
	.p2align	8
	.type	_ZN7rocprim17ROCPRIM_400000_NS6detail17trampoline_kernelINS0_13select_configILj256ELj13ELNS0_17block_load_methodE3ELS4_3ELS4_3ELNS0_20block_scan_algorithmE0ELj4294967295EEENS1_25partition_config_selectorILNS1_17partition_subalgoE3EjNS0_10empty_typeEbEEZZNS1_14partition_implILS8_3ELb0ES6_jNS0_17counting_iteratorIjlEEPS9_SE_NS0_5tupleIJPjSE_EEENSF_IJSE_SE_EEES9_SG_JZNS1_25segmented_radix_sort_implINS0_14default_configELb1EPK12hip_bfloat16PSL_PKlPlN2at6native12_GLOBAL__N_18offset_tEEE10hipError_tPvRmT1_PNSt15iterator_traitsISZ_E10value_typeET2_T3_PNS10_IS15_E10value_typeET4_jRbjT5_S1B_jjP12ihipStream_tbEUljE_EEESW_SX_SY_S15_S19_S1B_T6_T7_T9_mT8_S1D_bDpT10_ENKUlT_T0_E_clISt17integral_constantIbLb1EES1Q_EEDaS1L_S1M_EUlS1L_E_NS1_11comp_targetILNS1_3genE8ELNS1_11target_archE1030ELNS1_3gpuE2ELNS1_3repE0EEENS1_30default_config_static_selectorELNS0_4arch9wavefront6targetE0EEEvSZ_,@function
_ZN7rocprim17ROCPRIM_400000_NS6detail17trampoline_kernelINS0_13select_configILj256ELj13ELNS0_17block_load_methodE3ELS4_3ELS4_3ELNS0_20block_scan_algorithmE0ELj4294967295EEENS1_25partition_config_selectorILNS1_17partition_subalgoE3EjNS0_10empty_typeEbEEZZNS1_14partition_implILS8_3ELb0ES6_jNS0_17counting_iteratorIjlEEPS9_SE_NS0_5tupleIJPjSE_EEENSF_IJSE_SE_EEES9_SG_JZNS1_25segmented_radix_sort_implINS0_14default_configELb1EPK12hip_bfloat16PSL_PKlPlN2at6native12_GLOBAL__N_18offset_tEEE10hipError_tPvRmT1_PNSt15iterator_traitsISZ_E10value_typeET2_T3_PNS10_IS15_E10value_typeET4_jRbjT5_S1B_jjP12ihipStream_tbEUljE_EEESW_SX_SY_S15_S19_S1B_T6_T7_T9_mT8_S1D_bDpT10_ENKUlT_T0_E_clISt17integral_constantIbLb1EES1Q_EEDaS1L_S1M_EUlS1L_E_NS1_11comp_targetILNS1_3genE8ELNS1_11target_archE1030ELNS1_3gpuE2ELNS1_3repE0EEENS1_30default_config_static_selectorELNS0_4arch9wavefront6targetE0EEEvSZ_: ; @_ZN7rocprim17ROCPRIM_400000_NS6detail17trampoline_kernelINS0_13select_configILj256ELj13ELNS0_17block_load_methodE3ELS4_3ELS4_3ELNS0_20block_scan_algorithmE0ELj4294967295EEENS1_25partition_config_selectorILNS1_17partition_subalgoE3EjNS0_10empty_typeEbEEZZNS1_14partition_implILS8_3ELb0ES6_jNS0_17counting_iteratorIjlEEPS9_SE_NS0_5tupleIJPjSE_EEENSF_IJSE_SE_EEES9_SG_JZNS1_25segmented_radix_sort_implINS0_14default_configELb1EPK12hip_bfloat16PSL_PKlPlN2at6native12_GLOBAL__N_18offset_tEEE10hipError_tPvRmT1_PNSt15iterator_traitsISZ_E10value_typeET2_T3_PNS10_IS15_E10value_typeET4_jRbjT5_S1B_jjP12ihipStream_tbEUljE_EEESW_SX_SY_S15_S19_S1B_T6_T7_T9_mT8_S1D_bDpT10_ENKUlT_T0_E_clISt17integral_constantIbLb1EES1Q_EEDaS1L_S1M_EUlS1L_E_NS1_11comp_targetILNS1_3genE8ELNS1_11target_archE1030ELNS1_3gpuE2ELNS1_3repE0EEENS1_30default_config_static_selectorELNS0_4arch9wavefront6targetE0EEEvSZ_
; %bb.0:
	.section	.rodata,"a",@progbits
	.p2align	6, 0x0
	.amdhsa_kernel _ZN7rocprim17ROCPRIM_400000_NS6detail17trampoline_kernelINS0_13select_configILj256ELj13ELNS0_17block_load_methodE3ELS4_3ELS4_3ELNS0_20block_scan_algorithmE0ELj4294967295EEENS1_25partition_config_selectorILNS1_17partition_subalgoE3EjNS0_10empty_typeEbEEZZNS1_14partition_implILS8_3ELb0ES6_jNS0_17counting_iteratorIjlEEPS9_SE_NS0_5tupleIJPjSE_EEENSF_IJSE_SE_EEES9_SG_JZNS1_25segmented_radix_sort_implINS0_14default_configELb1EPK12hip_bfloat16PSL_PKlPlN2at6native12_GLOBAL__N_18offset_tEEE10hipError_tPvRmT1_PNSt15iterator_traitsISZ_E10value_typeET2_T3_PNS10_IS15_E10value_typeET4_jRbjT5_S1B_jjP12ihipStream_tbEUljE_EEESW_SX_SY_S15_S19_S1B_T6_T7_T9_mT8_S1D_bDpT10_ENKUlT_T0_E_clISt17integral_constantIbLb1EES1Q_EEDaS1L_S1M_EUlS1L_E_NS1_11comp_targetILNS1_3genE8ELNS1_11target_archE1030ELNS1_3gpuE2ELNS1_3repE0EEENS1_30default_config_static_selectorELNS0_4arch9wavefront6targetE0EEEvSZ_
		.amdhsa_group_segment_fixed_size 0
		.amdhsa_private_segment_fixed_size 0
		.amdhsa_kernarg_size 152
		.amdhsa_user_sgpr_count 15
		.amdhsa_user_sgpr_dispatch_ptr 0
		.amdhsa_user_sgpr_queue_ptr 0
		.amdhsa_user_sgpr_kernarg_segment_ptr 1
		.amdhsa_user_sgpr_dispatch_id 0
		.amdhsa_user_sgpr_private_segment_size 0
		.amdhsa_wavefront_size32 1
		.amdhsa_uses_dynamic_stack 0
		.amdhsa_enable_private_segment 0
		.amdhsa_system_sgpr_workgroup_id_x 1
		.amdhsa_system_sgpr_workgroup_id_y 0
		.amdhsa_system_sgpr_workgroup_id_z 0
		.amdhsa_system_sgpr_workgroup_info 0
		.amdhsa_system_vgpr_workitem_id 0
		.amdhsa_next_free_vgpr 1
		.amdhsa_next_free_sgpr 1
		.amdhsa_reserve_vcc 0
		.amdhsa_float_round_mode_32 0
		.amdhsa_float_round_mode_16_64 0
		.amdhsa_float_denorm_mode_32 3
		.amdhsa_float_denorm_mode_16_64 3
		.amdhsa_dx10_clamp 1
		.amdhsa_ieee_mode 1
		.amdhsa_fp16_overflow 0
		.amdhsa_workgroup_processor_mode 1
		.amdhsa_memory_ordered 1
		.amdhsa_forward_progress 0
		.amdhsa_shared_vgpr_count 0
		.amdhsa_exception_fp_ieee_invalid_op 0
		.amdhsa_exception_fp_denorm_src 0
		.amdhsa_exception_fp_ieee_div_zero 0
		.amdhsa_exception_fp_ieee_overflow 0
		.amdhsa_exception_fp_ieee_underflow 0
		.amdhsa_exception_fp_ieee_inexact 0
		.amdhsa_exception_int_div_zero 0
	.end_amdhsa_kernel
	.section	.text._ZN7rocprim17ROCPRIM_400000_NS6detail17trampoline_kernelINS0_13select_configILj256ELj13ELNS0_17block_load_methodE3ELS4_3ELS4_3ELNS0_20block_scan_algorithmE0ELj4294967295EEENS1_25partition_config_selectorILNS1_17partition_subalgoE3EjNS0_10empty_typeEbEEZZNS1_14partition_implILS8_3ELb0ES6_jNS0_17counting_iteratorIjlEEPS9_SE_NS0_5tupleIJPjSE_EEENSF_IJSE_SE_EEES9_SG_JZNS1_25segmented_radix_sort_implINS0_14default_configELb1EPK12hip_bfloat16PSL_PKlPlN2at6native12_GLOBAL__N_18offset_tEEE10hipError_tPvRmT1_PNSt15iterator_traitsISZ_E10value_typeET2_T3_PNS10_IS15_E10value_typeET4_jRbjT5_S1B_jjP12ihipStream_tbEUljE_EEESW_SX_SY_S15_S19_S1B_T6_T7_T9_mT8_S1D_bDpT10_ENKUlT_T0_E_clISt17integral_constantIbLb1EES1Q_EEDaS1L_S1M_EUlS1L_E_NS1_11comp_targetILNS1_3genE8ELNS1_11target_archE1030ELNS1_3gpuE2ELNS1_3repE0EEENS1_30default_config_static_selectorELNS0_4arch9wavefront6targetE0EEEvSZ_,"axG",@progbits,_ZN7rocprim17ROCPRIM_400000_NS6detail17trampoline_kernelINS0_13select_configILj256ELj13ELNS0_17block_load_methodE3ELS4_3ELS4_3ELNS0_20block_scan_algorithmE0ELj4294967295EEENS1_25partition_config_selectorILNS1_17partition_subalgoE3EjNS0_10empty_typeEbEEZZNS1_14partition_implILS8_3ELb0ES6_jNS0_17counting_iteratorIjlEEPS9_SE_NS0_5tupleIJPjSE_EEENSF_IJSE_SE_EEES9_SG_JZNS1_25segmented_radix_sort_implINS0_14default_configELb1EPK12hip_bfloat16PSL_PKlPlN2at6native12_GLOBAL__N_18offset_tEEE10hipError_tPvRmT1_PNSt15iterator_traitsISZ_E10value_typeET2_T3_PNS10_IS15_E10value_typeET4_jRbjT5_S1B_jjP12ihipStream_tbEUljE_EEESW_SX_SY_S15_S19_S1B_T6_T7_T9_mT8_S1D_bDpT10_ENKUlT_T0_E_clISt17integral_constantIbLb1EES1Q_EEDaS1L_S1M_EUlS1L_E_NS1_11comp_targetILNS1_3genE8ELNS1_11target_archE1030ELNS1_3gpuE2ELNS1_3repE0EEENS1_30default_config_static_selectorELNS0_4arch9wavefront6targetE0EEEvSZ_,comdat
.Lfunc_end1929:
	.size	_ZN7rocprim17ROCPRIM_400000_NS6detail17trampoline_kernelINS0_13select_configILj256ELj13ELNS0_17block_load_methodE3ELS4_3ELS4_3ELNS0_20block_scan_algorithmE0ELj4294967295EEENS1_25partition_config_selectorILNS1_17partition_subalgoE3EjNS0_10empty_typeEbEEZZNS1_14partition_implILS8_3ELb0ES6_jNS0_17counting_iteratorIjlEEPS9_SE_NS0_5tupleIJPjSE_EEENSF_IJSE_SE_EEES9_SG_JZNS1_25segmented_radix_sort_implINS0_14default_configELb1EPK12hip_bfloat16PSL_PKlPlN2at6native12_GLOBAL__N_18offset_tEEE10hipError_tPvRmT1_PNSt15iterator_traitsISZ_E10value_typeET2_T3_PNS10_IS15_E10value_typeET4_jRbjT5_S1B_jjP12ihipStream_tbEUljE_EEESW_SX_SY_S15_S19_S1B_T6_T7_T9_mT8_S1D_bDpT10_ENKUlT_T0_E_clISt17integral_constantIbLb1EES1Q_EEDaS1L_S1M_EUlS1L_E_NS1_11comp_targetILNS1_3genE8ELNS1_11target_archE1030ELNS1_3gpuE2ELNS1_3repE0EEENS1_30default_config_static_selectorELNS0_4arch9wavefront6targetE0EEEvSZ_, .Lfunc_end1929-_ZN7rocprim17ROCPRIM_400000_NS6detail17trampoline_kernelINS0_13select_configILj256ELj13ELNS0_17block_load_methodE3ELS4_3ELS4_3ELNS0_20block_scan_algorithmE0ELj4294967295EEENS1_25partition_config_selectorILNS1_17partition_subalgoE3EjNS0_10empty_typeEbEEZZNS1_14partition_implILS8_3ELb0ES6_jNS0_17counting_iteratorIjlEEPS9_SE_NS0_5tupleIJPjSE_EEENSF_IJSE_SE_EEES9_SG_JZNS1_25segmented_radix_sort_implINS0_14default_configELb1EPK12hip_bfloat16PSL_PKlPlN2at6native12_GLOBAL__N_18offset_tEEE10hipError_tPvRmT1_PNSt15iterator_traitsISZ_E10value_typeET2_T3_PNS10_IS15_E10value_typeET4_jRbjT5_S1B_jjP12ihipStream_tbEUljE_EEESW_SX_SY_S15_S19_S1B_T6_T7_T9_mT8_S1D_bDpT10_ENKUlT_T0_E_clISt17integral_constantIbLb1EES1Q_EEDaS1L_S1M_EUlS1L_E_NS1_11comp_targetILNS1_3genE8ELNS1_11target_archE1030ELNS1_3gpuE2ELNS1_3repE0EEENS1_30default_config_static_selectorELNS0_4arch9wavefront6targetE0EEEvSZ_
                                        ; -- End function
	.section	.AMDGPU.csdata,"",@progbits
; Kernel info:
; codeLenInByte = 0
; NumSgprs: 0
; NumVgprs: 0
; ScratchSize: 0
; MemoryBound: 0
; FloatMode: 240
; IeeeMode: 1
; LDSByteSize: 0 bytes/workgroup (compile time only)
; SGPRBlocks: 0
; VGPRBlocks: 0
; NumSGPRsForWavesPerEU: 1
; NumVGPRsForWavesPerEU: 1
; Occupancy: 16
; WaveLimiterHint : 0
; COMPUTE_PGM_RSRC2:SCRATCH_EN: 0
; COMPUTE_PGM_RSRC2:USER_SGPR: 15
; COMPUTE_PGM_RSRC2:TRAP_HANDLER: 0
; COMPUTE_PGM_RSRC2:TGID_X_EN: 1
; COMPUTE_PGM_RSRC2:TGID_Y_EN: 0
; COMPUTE_PGM_RSRC2:TGID_Z_EN: 0
; COMPUTE_PGM_RSRC2:TIDIG_COMP_CNT: 0
	.section	.text._ZN7rocprim17ROCPRIM_400000_NS6detail17trampoline_kernelINS0_13select_configILj256ELj13ELNS0_17block_load_methodE3ELS4_3ELS4_3ELNS0_20block_scan_algorithmE0ELj4294967295EEENS1_25partition_config_selectorILNS1_17partition_subalgoE3EjNS0_10empty_typeEbEEZZNS1_14partition_implILS8_3ELb0ES6_jNS0_17counting_iteratorIjlEEPS9_SE_NS0_5tupleIJPjSE_EEENSF_IJSE_SE_EEES9_SG_JZNS1_25segmented_radix_sort_implINS0_14default_configELb1EPK12hip_bfloat16PSL_PKlPlN2at6native12_GLOBAL__N_18offset_tEEE10hipError_tPvRmT1_PNSt15iterator_traitsISZ_E10value_typeET2_T3_PNS10_IS15_E10value_typeET4_jRbjT5_S1B_jjP12ihipStream_tbEUljE_EEESW_SX_SY_S15_S19_S1B_T6_T7_T9_mT8_S1D_bDpT10_ENKUlT_T0_E_clISt17integral_constantIbLb1EES1P_IbLb0EEEEDaS1L_S1M_EUlS1L_E_NS1_11comp_targetILNS1_3genE0ELNS1_11target_archE4294967295ELNS1_3gpuE0ELNS1_3repE0EEENS1_30default_config_static_selectorELNS0_4arch9wavefront6targetE0EEEvSZ_,"axG",@progbits,_ZN7rocprim17ROCPRIM_400000_NS6detail17trampoline_kernelINS0_13select_configILj256ELj13ELNS0_17block_load_methodE3ELS4_3ELS4_3ELNS0_20block_scan_algorithmE0ELj4294967295EEENS1_25partition_config_selectorILNS1_17partition_subalgoE3EjNS0_10empty_typeEbEEZZNS1_14partition_implILS8_3ELb0ES6_jNS0_17counting_iteratorIjlEEPS9_SE_NS0_5tupleIJPjSE_EEENSF_IJSE_SE_EEES9_SG_JZNS1_25segmented_radix_sort_implINS0_14default_configELb1EPK12hip_bfloat16PSL_PKlPlN2at6native12_GLOBAL__N_18offset_tEEE10hipError_tPvRmT1_PNSt15iterator_traitsISZ_E10value_typeET2_T3_PNS10_IS15_E10value_typeET4_jRbjT5_S1B_jjP12ihipStream_tbEUljE_EEESW_SX_SY_S15_S19_S1B_T6_T7_T9_mT8_S1D_bDpT10_ENKUlT_T0_E_clISt17integral_constantIbLb1EES1P_IbLb0EEEEDaS1L_S1M_EUlS1L_E_NS1_11comp_targetILNS1_3genE0ELNS1_11target_archE4294967295ELNS1_3gpuE0ELNS1_3repE0EEENS1_30default_config_static_selectorELNS0_4arch9wavefront6targetE0EEEvSZ_,comdat
	.globl	_ZN7rocprim17ROCPRIM_400000_NS6detail17trampoline_kernelINS0_13select_configILj256ELj13ELNS0_17block_load_methodE3ELS4_3ELS4_3ELNS0_20block_scan_algorithmE0ELj4294967295EEENS1_25partition_config_selectorILNS1_17partition_subalgoE3EjNS0_10empty_typeEbEEZZNS1_14partition_implILS8_3ELb0ES6_jNS0_17counting_iteratorIjlEEPS9_SE_NS0_5tupleIJPjSE_EEENSF_IJSE_SE_EEES9_SG_JZNS1_25segmented_radix_sort_implINS0_14default_configELb1EPK12hip_bfloat16PSL_PKlPlN2at6native12_GLOBAL__N_18offset_tEEE10hipError_tPvRmT1_PNSt15iterator_traitsISZ_E10value_typeET2_T3_PNS10_IS15_E10value_typeET4_jRbjT5_S1B_jjP12ihipStream_tbEUljE_EEESW_SX_SY_S15_S19_S1B_T6_T7_T9_mT8_S1D_bDpT10_ENKUlT_T0_E_clISt17integral_constantIbLb1EES1P_IbLb0EEEEDaS1L_S1M_EUlS1L_E_NS1_11comp_targetILNS1_3genE0ELNS1_11target_archE4294967295ELNS1_3gpuE0ELNS1_3repE0EEENS1_30default_config_static_selectorELNS0_4arch9wavefront6targetE0EEEvSZ_ ; -- Begin function _ZN7rocprim17ROCPRIM_400000_NS6detail17trampoline_kernelINS0_13select_configILj256ELj13ELNS0_17block_load_methodE3ELS4_3ELS4_3ELNS0_20block_scan_algorithmE0ELj4294967295EEENS1_25partition_config_selectorILNS1_17partition_subalgoE3EjNS0_10empty_typeEbEEZZNS1_14partition_implILS8_3ELb0ES6_jNS0_17counting_iteratorIjlEEPS9_SE_NS0_5tupleIJPjSE_EEENSF_IJSE_SE_EEES9_SG_JZNS1_25segmented_radix_sort_implINS0_14default_configELb1EPK12hip_bfloat16PSL_PKlPlN2at6native12_GLOBAL__N_18offset_tEEE10hipError_tPvRmT1_PNSt15iterator_traitsISZ_E10value_typeET2_T3_PNS10_IS15_E10value_typeET4_jRbjT5_S1B_jjP12ihipStream_tbEUljE_EEESW_SX_SY_S15_S19_S1B_T6_T7_T9_mT8_S1D_bDpT10_ENKUlT_T0_E_clISt17integral_constantIbLb1EES1P_IbLb0EEEEDaS1L_S1M_EUlS1L_E_NS1_11comp_targetILNS1_3genE0ELNS1_11target_archE4294967295ELNS1_3gpuE0ELNS1_3repE0EEENS1_30default_config_static_selectorELNS0_4arch9wavefront6targetE0EEEvSZ_
	.p2align	8
	.type	_ZN7rocprim17ROCPRIM_400000_NS6detail17trampoline_kernelINS0_13select_configILj256ELj13ELNS0_17block_load_methodE3ELS4_3ELS4_3ELNS0_20block_scan_algorithmE0ELj4294967295EEENS1_25partition_config_selectorILNS1_17partition_subalgoE3EjNS0_10empty_typeEbEEZZNS1_14partition_implILS8_3ELb0ES6_jNS0_17counting_iteratorIjlEEPS9_SE_NS0_5tupleIJPjSE_EEENSF_IJSE_SE_EEES9_SG_JZNS1_25segmented_radix_sort_implINS0_14default_configELb1EPK12hip_bfloat16PSL_PKlPlN2at6native12_GLOBAL__N_18offset_tEEE10hipError_tPvRmT1_PNSt15iterator_traitsISZ_E10value_typeET2_T3_PNS10_IS15_E10value_typeET4_jRbjT5_S1B_jjP12ihipStream_tbEUljE_EEESW_SX_SY_S15_S19_S1B_T6_T7_T9_mT8_S1D_bDpT10_ENKUlT_T0_E_clISt17integral_constantIbLb1EES1P_IbLb0EEEEDaS1L_S1M_EUlS1L_E_NS1_11comp_targetILNS1_3genE0ELNS1_11target_archE4294967295ELNS1_3gpuE0ELNS1_3repE0EEENS1_30default_config_static_selectorELNS0_4arch9wavefront6targetE0EEEvSZ_,@function
_ZN7rocprim17ROCPRIM_400000_NS6detail17trampoline_kernelINS0_13select_configILj256ELj13ELNS0_17block_load_methodE3ELS4_3ELS4_3ELNS0_20block_scan_algorithmE0ELj4294967295EEENS1_25partition_config_selectorILNS1_17partition_subalgoE3EjNS0_10empty_typeEbEEZZNS1_14partition_implILS8_3ELb0ES6_jNS0_17counting_iteratorIjlEEPS9_SE_NS0_5tupleIJPjSE_EEENSF_IJSE_SE_EEES9_SG_JZNS1_25segmented_radix_sort_implINS0_14default_configELb1EPK12hip_bfloat16PSL_PKlPlN2at6native12_GLOBAL__N_18offset_tEEE10hipError_tPvRmT1_PNSt15iterator_traitsISZ_E10value_typeET2_T3_PNS10_IS15_E10value_typeET4_jRbjT5_S1B_jjP12ihipStream_tbEUljE_EEESW_SX_SY_S15_S19_S1B_T6_T7_T9_mT8_S1D_bDpT10_ENKUlT_T0_E_clISt17integral_constantIbLb1EES1P_IbLb0EEEEDaS1L_S1M_EUlS1L_E_NS1_11comp_targetILNS1_3genE0ELNS1_11target_archE4294967295ELNS1_3gpuE0ELNS1_3repE0EEENS1_30default_config_static_selectorELNS0_4arch9wavefront6targetE0EEEvSZ_: ; @_ZN7rocprim17ROCPRIM_400000_NS6detail17trampoline_kernelINS0_13select_configILj256ELj13ELNS0_17block_load_methodE3ELS4_3ELS4_3ELNS0_20block_scan_algorithmE0ELj4294967295EEENS1_25partition_config_selectorILNS1_17partition_subalgoE3EjNS0_10empty_typeEbEEZZNS1_14partition_implILS8_3ELb0ES6_jNS0_17counting_iteratorIjlEEPS9_SE_NS0_5tupleIJPjSE_EEENSF_IJSE_SE_EEES9_SG_JZNS1_25segmented_radix_sort_implINS0_14default_configELb1EPK12hip_bfloat16PSL_PKlPlN2at6native12_GLOBAL__N_18offset_tEEE10hipError_tPvRmT1_PNSt15iterator_traitsISZ_E10value_typeET2_T3_PNS10_IS15_E10value_typeET4_jRbjT5_S1B_jjP12ihipStream_tbEUljE_EEESW_SX_SY_S15_S19_S1B_T6_T7_T9_mT8_S1D_bDpT10_ENKUlT_T0_E_clISt17integral_constantIbLb1EES1P_IbLb0EEEEDaS1L_S1M_EUlS1L_E_NS1_11comp_targetILNS1_3genE0ELNS1_11target_archE4294967295ELNS1_3gpuE0ELNS1_3repE0EEENS1_30default_config_static_selectorELNS0_4arch9wavefront6targetE0EEEvSZ_
; %bb.0:
	.section	.rodata,"a",@progbits
	.p2align	6, 0x0
	.amdhsa_kernel _ZN7rocprim17ROCPRIM_400000_NS6detail17trampoline_kernelINS0_13select_configILj256ELj13ELNS0_17block_load_methodE3ELS4_3ELS4_3ELNS0_20block_scan_algorithmE0ELj4294967295EEENS1_25partition_config_selectorILNS1_17partition_subalgoE3EjNS0_10empty_typeEbEEZZNS1_14partition_implILS8_3ELb0ES6_jNS0_17counting_iteratorIjlEEPS9_SE_NS0_5tupleIJPjSE_EEENSF_IJSE_SE_EEES9_SG_JZNS1_25segmented_radix_sort_implINS0_14default_configELb1EPK12hip_bfloat16PSL_PKlPlN2at6native12_GLOBAL__N_18offset_tEEE10hipError_tPvRmT1_PNSt15iterator_traitsISZ_E10value_typeET2_T3_PNS10_IS15_E10value_typeET4_jRbjT5_S1B_jjP12ihipStream_tbEUljE_EEESW_SX_SY_S15_S19_S1B_T6_T7_T9_mT8_S1D_bDpT10_ENKUlT_T0_E_clISt17integral_constantIbLb1EES1P_IbLb0EEEEDaS1L_S1M_EUlS1L_E_NS1_11comp_targetILNS1_3genE0ELNS1_11target_archE4294967295ELNS1_3gpuE0ELNS1_3repE0EEENS1_30default_config_static_selectorELNS0_4arch9wavefront6targetE0EEEvSZ_
		.amdhsa_group_segment_fixed_size 0
		.amdhsa_private_segment_fixed_size 0
		.amdhsa_kernarg_size 144
		.amdhsa_user_sgpr_count 15
		.amdhsa_user_sgpr_dispatch_ptr 0
		.amdhsa_user_sgpr_queue_ptr 0
		.amdhsa_user_sgpr_kernarg_segment_ptr 1
		.amdhsa_user_sgpr_dispatch_id 0
		.amdhsa_user_sgpr_private_segment_size 0
		.amdhsa_wavefront_size32 1
		.amdhsa_uses_dynamic_stack 0
		.amdhsa_enable_private_segment 0
		.amdhsa_system_sgpr_workgroup_id_x 1
		.amdhsa_system_sgpr_workgroup_id_y 0
		.amdhsa_system_sgpr_workgroup_id_z 0
		.amdhsa_system_sgpr_workgroup_info 0
		.amdhsa_system_vgpr_workitem_id 0
		.amdhsa_next_free_vgpr 1
		.amdhsa_next_free_sgpr 1
		.amdhsa_reserve_vcc 0
		.amdhsa_float_round_mode_32 0
		.amdhsa_float_round_mode_16_64 0
		.amdhsa_float_denorm_mode_32 3
		.amdhsa_float_denorm_mode_16_64 3
		.amdhsa_dx10_clamp 1
		.amdhsa_ieee_mode 1
		.amdhsa_fp16_overflow 0
		.amdhsa_workgroup_processor_mode 1
		.amdhsa_memory_ordered 1
		.amdhsa_forward_progress 0
		.amdhsa_shared_vgpr_count 0
		.amdhsa_exception_fp_ieee_invalid_op 0
		.amdhsa_exception_fp_denorm_src 0
		.amdhsa_exception_fp_ieee_div_zero 0
		.amdhsa_exception_fp_ieee_overflow 0
		.amdhsa_exception_fp_ieee_underflow 0
		.amdhsa_exception_fp_ieee_inexact 0
		.amdhsa_exception_int_div_zero 0
	.end_amdhsa_kernel
	.section	.text._ZN7rocprim17ROCPRIM_400000_NS6detail17trampoline_kernelINS0_13select_configILj256ELj13ELNS0_17block_load_methodE3ELS4_3ELS4_3ELNS0_20block_scan_algorithmE0ELj4294967295EEENS1_25partition_config_selectorILNS1_17partition_subalgoE3EjNS0_10empty_typeEbEEZZNS1_14partition_implILS8_3ELb0ES6_jNS0_17counting_iteratorIjlEEPS9_SE_NS0_5tupleIJPjSE_EEENSF_IJSE_SE_EEES9_SG_JZNS1_25segmented_radix_sort_implINS0_14default_configELb1EPK12hip_bfloat16PSL_PKlPlN2at6native12_GLOBAL__N_18offset_tEEE10hipError_tPvRmT1_PNSt15iterator_traitsISZ_E10value_typeET2_T3_PNS10_IS15_E10value_typeET4_jRbjT5_S1B_jjP12ihipStream_tbEUljE_EEESW_SX_SY_S15_S19_S1B_T6_T7_T9_mT8_S1D_bDpT10_ENKUlT_T0_E_clISt17integral_constantIbLb1EES1P_IbLb0EEEEDaS1L_S1M_EUlS1L_E_NS1_11comp_targetILNS1_3genE0ELNS1_11target_archE4294967295ELNS1_3gpuE0ELNS1_3repE0EEENS1_30default_config_static_selectorELNS0_4arch9wavefront6targetE0EEEvSZ_,"axG",@progbits,_ZN7rocprim17ROCPRIM_400000_NS6detail17trampoline_kernelINS0_13select_configILj256ELj13ELNS0_17block_load_methodE3ELS4_3ELS4_3ELNS0_20block_scan_algorithmE0ELj4294967295EEENS1_25partition_config_selectorILNS1_17partition_subalgoE3EjNS0_10empty_typeEbEEZZNS1_14partition_implILS8_3ELb0ES6_jNS0_17counting_iteratorIjlEEPS9_SE_NS0_5tupleIJPjSE_EEENSF_IJSE_SE_EEES9_SG_JZNS1_25segmented_radix_sort_implINS0_14default_configELb1EPK12hip_bfloat16PSL_PKlPlN2at6native12_GLOBAL__N_18offset_tEEE10hipError_tPvRmT1_PNSt15iterator_traitsISZ_E10value_typeET2_T3_PNS10_IS15_E10value_typeET4_jRbjT5_S1B_jjP12ihipStream_tbEUljE_EEESW_SX_SY_S15_S19_S1B_T6_T7_T9_mT8_S1D_bDpT10_ENKUlT_T0_E_clISt17integral_constantIbLb1EES1P_IbLb0EEEEDaS1L_S1M_EUlS1L_E_NS1_11comp_targetILNS1_3genE0ELNS1_11target_archE4294967295ELNS1_3gpuE0ELNS1_3repE0EEENS1_30default_config_static_selectorELNS0_4arch9wavefront6targetE0EEEvSZ_,comdat
.Lfunc_end1930:
	.size	_ZN7rocprim17ROCPRIM_400000_NS6detail17trampoline_kernelINS0_13select_configILj256ELj13ELNS0_17block_load_methodE3ELS4_3ELS4_3ELNS0_20block_scan_algorithmE0ELj4294967295EEENS1_25partition_config_selectorILNS1_17partition_subalgoE3EjNS0_10empty_typeEbEEZZNS1_14partition_implILS8_3ELb0ES6_jNS0_17counting_iteratorIjlEEPS9_SE_NS0_5tupleIJPjSE_EEENSF_IJSE_SE_EEES9_SG_JZNS1_25segmented_radix_sort_implINS0_14default_configELb1EPK12hip_bfloat16PSL_PKlPlN2at6native12_GLOBAL__N_18offset_tEEE10hipError_tPvRmT1_PNSt15iterator_traitsISZ_E10value_typeET2_T3_PNS10_IS15_E10value_typeET4_jRbjT5_S1B_jjP12ihipStream_tbEUljE_EEESW_SX_SY_S15_S19_S1B_T6_T7_T9_mT8_S1D_bDpT10_ENKUlT_T0_E_clISt17integral_constantIbLb1EES1P_IbLb0EEEEDaS1L_S1M_EUlS1L_E_NS1_11comp_targetILNS1_3genE0ELNS1_11target_archE4294967295ELNS1_3gpuE0ELNS1_3repE0EEENS1_30default_config_static_selectorELNS0_4arch9wavefront6targetE0EEEvSZ_, .Lfunc_end1930-_ZN7rocprim17ROCPRIM_400000_NS6detail17trampoline_kernelINS0_13select_configILj256ELj13ELNS0_17block_load_methodE3ELS4_3ELS4_3ELNS0_20block_scan_algorithmE0ELj4294967295EEENS1_25partition_config_selectorILNS1_17partition_subalgoE3EjNS0_10empty_typeEbEEZZNS1_14partition_implILS8_3ELb0ES6_jNS0_17counting_iteratorIjlEEPS9_SE_NS0_5tupleIJPjSE_EEENSF_IJSE_SE_EEES9_SG_JZNS1_25segmented_radix_sort_implINS0_14default_configELb1EPK12hip_bfloat16PSL_PKlPlN2at6native12_GLOBAL__N_18offset_tEEE10hipError_tPvRmT1_PNSt15iterator_traitsISZ_E10value_typeET2_T3_PNS10_IS15_E10value_typeET4_jRbjT5_S1B_jjP12ihipStream_tbEUljE_EEESW_SX_SY_S15_S19_S1B_T6_T7_T9_mT8_S1D_bDpT10_ENKUlT_T0_E_clISt17integral_constantIbLb1EES1P_IbLb0EEEEDaS1L_S1M_EUlS1L_E_NS1_11comp_targetILNS1_3genE0ELNS1_11target_archE4294967295ELNS1_3gpuE0ELNS1_3repE0EEENS1_30default_config_static_selectorELNS0_4arch9wavefront6targetE0EEEvSZ_
                                        ; -- End function
	.section	.AMDGPU.csdata,"",@progbits
; Kernel info:
; codeLenInByte = 0
; NumSgprs: 0
; NumVgprs: 0
; ScratchSize: 0
; MemoryBound: 0
; FloatMode: 240
; IeeeMode: 1
; LDSByteSize: 0 bytes/workgroup (compile time only)
; SGPRBlocks: 0
; VGPRBlocks: 0
; NumSGPRsForWavesPerEU: 1
; NumVGPRsForWavesPerEU: 1
; Occupancy: 16
; WaveLimiterHint : 0
; COMPUTE_PGM_RSRC2:SCRATCH_EN: 0
; COMPUTE_PGM_RSRC2:USER_SGPR: 15
; COMPUTE_PGM_RSRC2:TRAP_HANDLER: 0
; COMPUTE_PGM_RSRC2:TGID_X_EN: 1
; COMPUTE_PGM_RSRC2:TGID_Y_EN: 0
; COMPUTE_PGM_RSRC2:TGID_Z_EN: 0
; COMPUTE_PGM_RSRC2:TIDIG_COMP_CNT: 0
	.section	.text._ZN7rocprim17ROCPRIM_400000_NS6detail17trampoline_kernelINS0_13select_configILj256ELj13ELNS0_17block_load_methodE3ELS4_3ELS4_3ELNS0_20block_scan_algorithmE0ELj4294967295EEENS1_25partition_config_selectorILNS1_17partition_subalgoE3EjNS0_10empty_typeEbEEZZNS1_14partition_implILS8_3ELb0ES6_jNS0_17counting_iteratorIjlEEPS9_SE_NS0_5tupleIJPjSE_EEENSF_IJSE_SE_EEES9_SG_JZNS1_25segmented_radix_sort_implINS0_14default_configELb1EPK12hip_bfloat16PSL_PKlPlN2at6native12_GLOBAL__N_18offset_tEEE10hipError_tPvRmT1_PNSt15iterator_traitsISZ_E10value_typeET2_T3_PNS10_IS15_E10value_typeET4_jRbjT5_S1B_jjP12ihipStream_tbEUljE_EEESW_SX_SY_S15_S19_S1B_T6_T7_T9_mT8_S1D_bDpT10_ENKUlT_T0_E_clISt17integral_constantIbLb1EES1P_IbLb0EEEEDaS1L_S1M_EUlS1L_E_NS1_11comp_targetILNS1_3genE5ELNS1_11target_archE942ELNS1_3gpuE9ELNS1_3repE0EEENS1_30default_config_static_selectorELNS0_4arch9wavefront6targetE0EEEvSZ_,"axG",@progbits,_ZN7rocprim17ROCPRIM_400000_NS6detail17trampoline_kernelINS0_13select_configILj256ELj13ELNS0_17block_load_methodE3ELS4_3ELS4_3ELNS0_20block_scan_algorithmE0ELj4294967295EEENS1_25partition_config_selectorILNS1_17partition_subalgoE3EjNS0_10empty_typeEbEEZZNS1_14partition_implILS8_3ELb0ES6_jNS0_17counting_iteratorIjlEEPS9_SE_NS0_5tupleIJPjSE_EEENSF_IJSE_SE_EEES9_SG_JZNS1_25segmented_radix_sort_implINS0_14default_configELb1EPK12hip_bfloat16PSL_PKlPlN2at6native12_GLOBAL__N_18offset_tEEE10hipError_tPvRmT1_PNSt15iterator_traitsISZ_E10value_typeET2_T3_PNS10_IS15_E10value_typeET4_jRbjT5_S1B_jjP12ihipStream_tbEUljE_EEESW_SX_SY_S15_S19_S1B_T6_T7_T9_mT8_S1D_bDpT10_ENKUlT_T0_E_clISt17integral_constantIbLb1EES1P_IbLb0EEEEDaS1L_S1M_EUlS1L_E_NS1_11comp_targetILNS1_3genE5ELNS1_11target_archE942ELNS1_3gpuE9ELNS1_3repE0EEENS1_30default_config_static_selectorELNS0_4arch9wavefront6targetE0EEEvSZ_,comdat
	.globl	_ZN7rocprim17ROCPRIM_400000_NS6detail17trampoline_kernelINS0_13select_configILj256ELj13ELNS0_17block_load_methodE3ELS4_3ELS4_3ELNS0_20block_scan_algorithmE0ELj4294967295EEENS1_25partition_config_selectorILNS1_17partition_subalgoE3EjNS0_10empty_typeEbEEZZNS1_14partition_implILS8_3ELb0ES6_jNS0_17counting_iteratorIjlEEPS9_SE_NS0_5tupleIJPjSE_EEENSF_IJSE_SE_EEES9_SG_JZNS1_25segmented_radix_sort_implINS0_14default_configELb1EPK12hip_bfloat16PSL_PKlPlN2at6native12_GLOBAL__N_18offset_tEEE10hipError_tPvRmT1_PNSt15iterator_traitsISZ_E10value_typeET2_T3_PNS10_IS15_E10value_typeET4_jRbjT5_S1B_jjP12ihipStream_tbEUljE_EEESW_SX_SY_S15_S19_S1B_T6_T7_T9_mT8_S1D_bDpT10_ENKUlT_T0_E_clISt17integral_constantIbLb1EES1P_IbLb0EEEEDaS1L_S1M_EUlS1L_E_NS1_11comp_targetILNS1_3genE5ELNS1_11target_archE942ELNS1_3gpuE9ELNS1_3repE0EEENS1_30default_config_static_selectorELNS0_4arch9wavefront6targetE0EEEvSZ_ ; -- Begin function _ZN7rocprim17ROCPRIM_400000_NS6detail17trampoline_kernelINS0_13select_configILj256ELj13ELNS0_17block_load_methodE3ELS4_3ELS4_3ELNS0_20block_scan_algorithmE0ELj4294967295EEENS1_25partition_config_selectorILNS1_17partition_subalgoE3EjNS0_10empty_typeEbEEZZNS1_14partition_implILS8_3ELb0ES6_jNS0_17counting_iteratorIjlEEPS9_SE_NS0_5tupleIJPjSE_EEENSF_IJSE_SE_EEES9_SG_JZNS1_25segmented_radix_sort_implINS0_14default_configELb1EPK12hip_bfloat16PSL_PKlPlN2at6native12_GLOBAL__N_18offset_tEEE10hipError_tPvRmT1_PNSt15iterator_traitsISZ_E10value_typeET2_T3_PNS10_IS15_E10value_typeET4_jRbjT5_S1B_jjP12ihipStream_tbEUljE_EEESW_SX_SY_S15_S19_S1B_T6_T7_T9_mT8_S1D_bDpT10_ENKUlT_T0_E_clISt17integral_constantIbLb1EES1P_IbLb0EEEEDaS1L_S1M_EUlS1L_E_NS1_11comp_targetILNS1_3genE5ELNS1_11target_archE942ELNS1_3gpuE9ELNS1_3repE0EEENS1_30default_config_static_selectorELNS0_4arch9wavefront6targetE0EEEvSZ_
	.p2align	8
	.type	_ZN7rocprim17ROCPRIM_400000_NS6detail17trampoline_kernelINS0_13select_configILj256ELj13ELNS0_17block_load_methodE3ELS4_3ELS4_3ELNS0_20block_scan_algorithmE0ELj4294967295EEENS1_25partition_config_selectorILNS1_17partition_subalgoE3EjNS0_10empty_typeEbEEZZNS1_14partition_implILS8_3ELb0ES6_jNS0_17counting_iteratorIjlEEPS9_SE_NS0_5tupleIJPjSE_EEENSF_IJSE_SE_EEES9_SG_JZNS1_25segmented_radix_sort_implINS0_14default_configELb1EPK12hip_bfloat16PSL_PKlPlN2at6native12_GLOBAL__N_18offset_tEEE10hipError_tPvRmT1_PNSt15iterator_traitsISZ_E10value_typeET2_T3_PNS10_IS15_E10value_typeET4_jRbjT5_S1B_jjP12ihipStream_tbEUljE_EEESW_SX_SY_S15_S19_S1B_T6_T7_T9_mT8_S1D_bDpT10_ENKUlT_T0_E_clISt17integral_constantIbLb1EES1P_IbLb0EEEEDaS1L_S1M_EUlS1L_E_NS1_11comp_targetILNS1_3genE5ELNS1_11target_archE942ELNS1_3gpuE9ELNS1_3repE0EEENS1_30default_config_static_selectorELNS0_4arch9wavefront6targetE0EEEvSZ_,@function
_ZN7rocprim17ROCPRIM_400000_NS6detail17trampoline_kernelINS0_13select_configILj256ELj13ELNS0_17block_load_methodE3ELS4_3ELS4_3ELNS0_20block_scan_algorithmE0ELj4294967295EEENS1_25partition_config_selectorILNS1_17partition_subalgoE3EjNS0_10empty_typeEbEEZZNS1_14partition_implILS8_3ELb0ES6_jNS0_17counting_iteratorIjlEEPS9_SE_NS0_5tupleIJPjSE_EEENSF_IJSE_SE_EEES9_SG_JZNS1_25segmented_radix_sort_implINS0_14default_configELb1EPK12hip_bfloat16PSL_PKlPlN2at6native12_GLOBAL__N_18offset_tEEE10hipError_tPvRmT1_PNSt15iterator_traitsISZ_E10value_typeET2_T3_PNS10_IS15_E10value_typeET4_jRbjT5_S1B_jjP12ihipStream_tbEUljE_EEESW_SX_SY_S15_S19_S1B_T6_T7_T9_mT8_S1D_bDpT10_ENKUlT_T0_E_clISt17integral_constantIbLb1EES1P_IbLb0EEEEDaS1L_S1M_EUlS1L_E_NS1_11comp_targetILNS1_3genE5ELNS1_11target_archE942ELNS1_3gpuE9ELNS1_3repE0EEENS1_30default_config_static_selectorELNS0_4arch9wavefront6targetE0EEEvSZ_: ; @_ZN7rocprim17ROCPRIM_400000_NS6detail17trampoline_kernelINS0_13select_configILj256ELj13ELNS0_17block_load_methodE3ELS4_3ELS4_3ELNS0_20block_scan_algorithmE0ELj4294967295EEENS1_25partition_config_selectorILNS1_17partition_subalgoE3EjNS0_10empty_typeEbEEZZNS1_14partition_implILS8_3ELb0ES6_jNS0_17counting_iteratorIjlEEPS9_SE_NS0_5tupleIJPjSE_EEENSF_IJSE_SE_EEES9_SG_JZNS1_25segmented_radix_sort_implINS0_14default_configELb1EPK12hip_bfloat16PSL_PKlPlN2at6native12_GLOBAL__N_18offset_tEEE10hipError_tPvRmT1_PNSt15iterator_traitsISZ_E10value_typeET2_T3_PNS10_IS15_E10value_typeET4_jRbjT5_S1B_jjP12ihipStream_tbEUljE_EEESW_SX_SY_S15_S19_S1B_T6_T7_T9_mT8_S1D_bDpT10_ENKUlT_T0_E_clISt17integral_constantIbLb1EES1P_IbLb0EEEEDaS1L_S1M_EUlS1L_E_NS1_11comp_targetILNS1_3genE5ELNS1_11target_archE942ELNS1_3gpuE9ELNS1_3repE0EEENS1_30default_config_static_selectorELNS0_4arch9wavefront6targetE0EEEvSZ_
; %bb.0:
	.section	.rodata,"a",@progbits
	.p2align	6, 0x0
	.amdhsa_kernel _ZN7rocprim17ROCPRIM_400000_NS6detail17trampoline_kernelINS0_13select_configILj256ELj13ELNS0_17block_load_methodE3ELS4_3ELS4_3ELNS0_20block_scan_algorithmE0ELj4294967295EEENS1_25partition_config_selectorILNS1_17partition_subalgoE3EjNS0_10empty_typeEbEEZZNS1_14partition_implILS8_3ELb0ES6_jNS0_17counting_iteratorIjlEEPS9_SE_NS0_5tupleIJPjSE_EEENSF_IJSE_SE_EEES9_SG_JZNS1_25segmented_radix_sort_implINS0_14default_configELb1EPK12hip_bfloat16PSL_PKlPlN2at6native12_GLOBAL__N_18offset_tEEE10hipError_tPvRmT1_PNSt15iterator_traitsISZ_E10value_typeET2_T3_PNS10_IS15_E10value_typeET4_jRbjT5_S1B_jjP12ihipStream_tbEUljE_EEESW_SX_SY_S15_S19_S1B_T6_T7_T9_mT8_S1D_bDpT10_ENKUlT_T0_E_clISt17integral_constantIbLb1EES1P_IbLb0EEEEDaS1L_S1M_EUlS1L_E_NS1_11comp_targetILNS1_3genE5ELNS1_11target_archE942ELNS1_3gpuE9ELNS1_3repE0EEENS1_30default_config_static_selectorELNS0_4arch9wavefront6targetE0EEEvSZ_
		.amdhsa_group_segment_fixed_size 0
		.amdhsa_private_segment_fixed_size 0
		.amdhsa_kernarg_size 144
		.amdhsa_user_sgpr_count 15
		.amdhsa_user_sgpr_dispatch_ptr 0
		.amdhsa_user_sgpr_queue_ptr 0
		.amdhsa_user_sgpr_kernarg_segment_ptr 1
		.amdhsa_user_sgpr_dispatch_id 0
		.amdhsa_user_sgpr_private_segment_size 0
		.amdhsa_wavefront_size32 1
		.amdhsa_uses_dynamic_stack 0
		.amdhsa_enable_private_segment 0
		.amdhsa_system_sgpr_workgroup_id_x 1
		.amdhsa_system_sgpr_workgroup_id_y 0
		.amdhsa_system_sgpr_workgroup_id_z 0
		.amdhsa_system_sgpr_workgroup_info 0
		.amdhsa_system_vgpr_workitem_id 0
		.amdhsa_next_free_vgpr 1
		.amdhsa_next_free_sgpr 1
		.amdhsa_reserve_vcc 0
		.amdhsa_float_round_mode_32 0
		.amdhsa_float_round_mode_16_64 0
		.amdhsa_float_denorm_mode_32 3
		.amdhsa_float_denorm_mode_16_64 3
		.amdhsa_dx10_clamp 1
		.amdhsa_ieee_mode 1
		.amdhsa_fp16_overflow 0
		.amdhsa_workgroup_processor_mode 1
		.amdhsa_memory_ordered 1
		.amdhsa_forward_progress 0
		.amdhsa_shared_vgpr_count 0
		.amdhsa_exception_fp_ieee_invalid_op 0
		.amdhsa_exception_fp_denorm_src 0
		.amdhsa_exception_fp_ieee_div_zero 0
		.amdhsa_exception_fp_ieee_overflow 0
		.amdhsa_exception_fp_ieee_underflow 0
		.amdhsa_exception_fp_ieee_inexact 0
		.amdhsa_exception_int_div_zero 0
	.end_amdhsa_kernel
	.section	.text._ZN7rocprim17ROCPRIM_400000_NS6detail17trampoline_kernelINS0_13select_configILj256ELj13ELNS0_17block_load_methodE3ELS4_3ELS4_3ELNS0_20block_scan_algorithmE0ELj4294967295EEENS1_25partition_config_selectorILNS1_17partition_subalgoE3EjNS0_10empty_typeEbEEZZNS1_14partition_implILS8_3ELb0ES6_jNS0_17counting_iteratorIjlEEPS9_SE_NS0_5tupleIJPjSE_EEENSF_IJSE_SE_EEES9_SG_JZNS1_25segmented_radix_sort_implINS0_14default_configELb1EPK12hip_bfloat16PSL_PKlPlN2at6native12_GLOBAL__N_18offset_tEEE10hipError_tPvRmT1_PNSt15iterator_traitsISZ_E10value_typeET2_T3_PNS10_IS15_E10value_typeET4_jRbjT5_S1B_jjP12ihipStream_tbEUljE_EEESW_SX_SY_S15_S19_S1B_T6_T7_T9_mT8_S1D_bDpT10_ENKUlT_T0_E_clISt17integral_constantIbLb1EES1P_IbLb0EEEEDaS1L_S1M_EUlS1L_E_NS1_11comp_targetILNS1_3genE5ELNS1_11target_archE942ELNS1_3gpuE9ELNS1_3repE0EEENS1_30default_config_static_selectorELNS0_4arch9wavefront6targetE0EEEvSZ_,"axG",@progbits,_ZN7rocprim17ROCPRIM_400000_NS6detail17trampoline_kernelINS0_13select_configILj256ELj13ELNS0_17block_load_methodE3ELS4_3ELS4_3ELNS0_20block_scan_algorithmE0ELj4294967295EEENS1_25partition_config_selectorILNS1_17partition_subalgoE3EjNS0_10empty_typeEbEEZZNS1_14partition_implILS8_3ELb0ES6_jNS0_17counting_iteratorIjlEEPS9_SE_NS0_5tupleIJPjSE_EEENSF_IJSE_SE_EEES9_SG_JZNS1_25segmented_radix_sort_implINS0_14default_configELb1EPK12hip_bfloat16PSL_PKlPlN2at6native12_GLOBAL__N_18offset_tEEE10hipError_tPvRmT1_PNSt15iterator_traitsISZ_E10value_typeET2_T3_PNS10_IS15_E10value_typeET4_jRbjT5_S1B_jjP12ihipStream_tbEUljE_EEESW_SX_SY_S15_S19_S1B_T6_T7_T9_mT8_S1D_bDpT10_ENKUlT_T0_E_clISt17integral_constantIbLb1EES1P_IbLb0EEEEDaS1L_S1M_EUlS1L_E_NS1_11comp_targetILNS1_3genE5ELNS1_11target_archE942ELNS1_3gpuE9ELNS1_3repE0EEENS1_30default_config_static_selectorELNS0_4arch9wavefront6targetE0EEEvSZ_,comdat
.Lfunc_end1931:
	.size	_ZN7rocprim17ROCPRIM_400000_NS6detail17trampoline_kernelINS0_13select_configILj256ELj13ELNS0_17block_load_methodE3ELS4_3ELS4_3ELNS0_20block_scan_algorithmE0ELj4294967295EEENS1_25partition_config_selectorILNS1_17partition_subalgoE3EjNS0_10empty_typeEbEEZZNS1_14partition_implILS8_3ELb0ES6_jNS0_17counting_iteratorIjlEEPS9_SE_NS0_5tupleIJPjSE_EEENSF_IJSE_SE_EEES9_SG_JZNS1_25segmented_radix_sort_implINS0_14default_configELb1EPK12hip_bfloat16PSL_PKlPlN2at6native12_GLOBAL__N_18offset_tEEE10hipError_tPvRmT1_PNSt15iterator_traitsISZ_E10value_typeET2_T3_PNS10_IS15_E10value_typeET4_jRbjT5_S1B_jjP12ihipStream_tbEUljE_EEESW_SX_SY_S15_S19_S1B_T6_T7_T9_mT8_S1D_bDpT10_ENKUlT_T0_E_clISt17integral_constantIbLb1EES1P_IbLb0EEEEDaS1L_S1M_EUlS1L_E_NS1_11comp_targetILNS1_3genE5ELNS1_11target_archE942ELNS1_3gpuE9ELNS1_3repE0EEENS1_30default_config_static_selectorELNS0_4arch9wavefront6targetE0EEEvSZ_, .Lfunc_end1931-_ZN7rocprim17ROCPRIM_400000_NS6detail17trampoline_kernelINS0_13select_configILj256ELj13ELNS0_17block_load_methodE3ELS4_3ELS4_3ELNS0_20block_scan_algorithmE0ELj4294967295EEENS1_25partition_config_selectorILNS1_17partition_subalgoE3EjNS0_10empty_typeEbEEZZNS1_14partition_implILS8_3ELb0ES6_jNS0_17counting_iteratorIjlEEPS9_SE_NS0_5tupleIJPjSE_EEENSF_IJSE_SE_EEES9_SG_JZNS1_25segmented_radix_sort_implINS0_14default_configELb1EPK12hip_bfloat16PSL_PKlPlN2at6native12_GLOBAL__N_18offset_tEEE10hipError_tPvRmT1_PNSt15iterator_traitsISZ_E10value_typeET2_T3_PNS10_IS15_E10value_typeET4_jRbjT5_S1B_jjP12ihipStream_tbEUljE_EEESW_SX_SY_S15_S19_S1B_T6_T7_T9_mT8_S1D_bDpT10_ENKUlT_T0_E_clISt17integral_constantIbLb1EES1P_IbLb0EEEEDaS1L_S1M_EUlS1L_E_NS1_11comp_targetILNS1_3genE5ELNS1_11target_archE942ELNS1_3gpuE9ELNS1_3repE0EEENS1_30default_config_static_selectorELNS0_4arch9wavefront6targetE0EEEvSZ_
                                        ; -- End function
	.section	.AMDGPU.csdata,"",@progbits
; Kernel info:
; codeLenInByte = 0
; NumSgprs: 0
; NumVgprs: 0
; ScratchSize: 0
; MemoryBound: 0
; FloatMode: 240
; IeeeMode: 1
; LDSByteSize: 0 bytes/workgroup (compile time only)
; SGPRBlocks: 0
; VGPRBlocks: 0
; NumSGPRsForWavesPerEU: 1
; NumVGPRsForWavesPerEU: 1
; Occupancy: 16
; WaveLimiterHint : 0
; COMPUTE_PGM_RSRC2:SCRATCH_EN: 0
; COMPUTE_PGM_RSRC2:USER_SGPR: 15
; COMPUTE_PGM_RSRC2:TRAP_HANDLER: 0
; COMPUTE_PGM_RSRC2:TGID_X_EN: 1
; COMPUTE_PGM_RSRC2:TGID_Y_EN: 0
; COMPUTE_PGM_RSRC2:TGID_Z_EN: 0
; COMPUTE_PGM_RSRC2:TIDIG_COMP_CNT: 0
	.section	.text._ZN7rocprim17ROCPRIM_400000_NS6detail17trampoline_kernelINS0_13select_configILj256ELj13ELNS0_17block_load_methodE3ELS4_3ELS4_3ELNS0_20block_scan_algorithmE0ELj4294967295EEENS1_25partition_config_selectorILNS1_17partition_subalgoE3EjNS0_10empty_typeEbEEZZNS1_14partition_implILS8_3ELb0ES6_jNS0_17counting_iteratorIjlEEPS9_SE_NS0_5tupleIJPjSE_EEENSF_IJSE_SE_EEES9_SG_JZNS1_25segmented_radix_sort_implINS0_14default_configELb1EPK12hip_bfloat16PSL_PKlPlN2at6native12_GLOBAL__N_18offset_tEEE10hipError_tPvRmT1_PNSt15iterator_traitsISZ_E10value_typeET2_T3_PNS10_IS15_E10value_typeET4_jRbjT5_S1B_jjP12ihipStream_tbEUljE_EEESW_SX_SY_S15_S19_S1B_T6_T7_T9_mT8_S1D_bDpT10_ENKUlT_T0_E_clISt17integral_constantIbLb1EES1P_IbLb0EEEEDaS1L_S1M_EUlS1L_E_NS1_11comp_targetILNS1_3genE4ELNS1_11target_archE910ELNS1_3gpuE8ELNS1_3repE0EEENS1_30default_config_static_selectorELNS0_4arch9wavefront6targetE0EEEvSZ_,"axG",@progbits,_ZN7rocprim17ROCPRIM_400000_NS6detail17trampoline_kernelINS0_13select_configILj256ELj13ELNS0_17block_load_methodE3ELS4_3ELS4_3ELNS0_20block_scan_algorithmE0ELj4294967295EEENS1_25partition_config_selectorILNS1_17partition_subalgoE3EjNS0_10empty_typeEbEEZZNS1_14partition_implILS8_3ELb0ES6_jNS0_17counting_iteratorIjlEEPS9_SE_NS0_5tupleIJPjSE_EEENSF_IJSE_SE_EEES9_SG_JZNS1_25segmented_radix_sort_implINS0_14default_configELb1EPK12hip_bfloat16PSL_PKlPlN2at6native12_GLOBAL__N_18offset_tEEE10hipError_tPvRmT1_PNSt15iterator_traitsISZ_E10value_typeET2_T3_PNS10_IS15_E10value_typeET4_jRbjT5_S1B_jjP12ihipStream_tbEUljE_EEESW_SX_SY_S15_S19_S1B_T6_T7_T9_mT8_S1D_bDpT10_ENKUlT_T0_E_clISt17integral_constantIbLb1EES1P_IbLb0EEEEDaS1L_S1M_EUlS1L_E_NS1_11comp_targetILNS1_3genE4ELNS1_11target_archE910ELNS1_3gpuE8ELNS1_3repE0EEENS1_30default_config_static_selectorELNS0_4arch9wavefront6targetE0EEEvSZ_,comdat
	.globl	_ZN7rocprim17ROCPRIM_400000_NS6detail17trampoline_kernelINS0_13select_configILj256ELj13ELNS0_17block_load_methodE3ELS4_3ELS4_3ELNS0_20block_scan_algorithmE0ELj4294967295EEENS1_25partition_config_selectorILNS1_17partition_subalgoE3EjNS0_10empty_typeEbEEZZNS1_14partition_implILS8_3ELb0ES6_jNS0_17counting_iteratorIjlEEPS9_SE_NS0_5tupleIJPjSE_EEENSF_IJSE_SE_EEES9_SG_JZNS1_25segmented_radix_sort_implINS0_14default_configELb1EPK12hip_bfloat16PSL_PKlPlN2at6native12_GLOBAL__N_18offset_tEEE10hipError_tPvRmT1_PNSt15iterator_traitsISZ_E10value_typeET2_T3_PNS10_IS15_E10value_typeET4_jRbjT5_S1B_jjP12ihipStream_tbEUljE_EEESW_SX_SY_S15_S19_S1B_T6_T7_T9_mT8_S1D_bDpT10_ENKUlT_T0_E_clISt17integral_constantIbLb1EES1P_IbLb0EEEEDaS1L_S1M_EUlS1L_E_NS1_11comp_targetILNS1_3genE4ELNS1_11target_archE910ELNS1_3gpuE8ELNS1_3repE0EEENS1_30default_config_static_selectorELNS0_4arch9wavefront6targetE0EEEvSZ_ ; -- Begin function _ZN7rocprim17ROCPRIM_400000_NS6detail17trampoline_kernelINS0_13select_configILj256ELj13ELNS0_17block_load_methodE3ELS4_3ELS4_3ELNS0_20block_scan_algorithmE0ELj4294967295EEENS1_25partition_config_selectorILNS1_17partition_subalgoE3EjNS0_10empty_typeEbEEZZNS1_14partition_implILS8_3ELb0ES6_jNS0_17counting_iteratorIjlEEPS9_SE_NS0_5tupleIJPjSE_EEENSF_IJSE_SE_EEES9_SG_JZNS1_25segmented_radix_sort_implINS0_14default_configELb1EPK12hip_bfloat16PSL_PKlPlN2at6native12_GLOBAL__N_18offset_tEEE10hipError_tPvRmT1_PNSt15iterator_traitsISZ_E10value_typeET2_T3_PNS10_IS15_E10value_typeET4_jRbjT5_S1B_jjP12ihipStream_tbEUljE_EEESW_SX_SY_S15_S19_S1B_T6_T7_T9_mT8_S1D_bDpT10_ENKUlT_T0_E_clISt17integral_constantIbLb1EES1P_IbLb0EEEEDaS1L_S1M_EUlS1L_E_NS1_11comp_targetILNS1_3genE4ELNS1_11target_archE910ELNS1_3gpuE8ELNS1_3repE0EEENS1_30default_config_static_selectorELNS0_4arch9wavefront6targetE0EEEvSZ_
	.p2align	8
	.type	_ZN7rocprim17ROCPRIM_400000_NS6detail17trampoline_kernelINS0_13select_configILj256ELj13ELNS0_17block_load_methodE3ELS4_3ELS4_3ELNS0_20block_scan_algorithmE0ELj4294967295EEENS1_25partition_config_selectorILNS1_17partition_subalgoE3EjNS0_10empty_typeEbEEZZNS1_14partition_implILS8_3ELb0ES6_jNS0_17counting_iteratorIjlEEPS9_SE_NS0_5tupleIJPjSE_EEENSF_IJSE_SE_EEES9_SG_JZNS1_25segmented_radix_sort_implINS0_14default_configELb1EPK12hip_bfloat16PSL_PKlPlN2at6native12_GLOBAL__N_18offset_tEEE10hipError_tPvRmT1_PNSt15iterator_traitsISZ_E10value_typeET2_T3_PNS10_IS15_E10value_typeET4_jRbjT5_S1B_jjP12ihipStream_tbEUljE_EEESW_SX_SY_S15_S19_S1B_T6_T7_T9_mT8_S1D_bDpT10_ENKUlT_T0_E_clISt17integral_constantIbLb1EES1P_IbLb0EEEEDaS1L_S1M_EUlS1L_E_NS1_11comp_targetILNS1_3genE4ELNS1_11target_archE910ELNS1_3gpuE8ELNS1_3repE0EEENS1_30default_config_static_selectorELNS0_4arch9wavefront6targetE0EEEvSZ_,@function
_ZN7rocprim17ROCPRIM_400000_NS6detail17trampoline_kernelINS0_13select_configILj256ELj13ELNS0_17block_load_methodE3ELS4_3ELS4_3ELNS0_20block_scan_algorithmE0ELj4294967295EEENS1_25partition_config_selectorILNS1_17partition_subalgoE3EjNS0_10empty_typeEbEEZZNS1_14partition_implILS8_3ELb0ES6_jNS0_17counting_iteratorIjlEEPS9_SE_NS0_5tupleIJPjSE_EEENSF_IJSE_SE_EEES9_SG_JZNS1_25segmented_radix_sort_implINS0_14default_configELb1EPK12hip_bfloat16PSL_PKlPlN2at6native12_GLOBAL__N_18offset_tEEE10hipError_tPvRmT1_PNSt15iterator_traitsISZ_E10value_typeET2_T3_PNS10_IS15_E10value_typeET4_jRbjT5_S1B_jjP12ihipStream_tbEUljE_EEESW_SX_SY_S15_S19_S1B_T6_T7_T9_mT8_S1D_bDpT10_ENKUlT_T0_E_clISt17integral_constantIbLb1EES1P_IbLb0EEEEDaS1L_S1M_EUlS1L_E_NS1_11comp_targetILNS1_3genE4ELNS1_11target_archE910ELNS1_3gpuE8ELNS1_3repE0EEENS1_30default_config_static_selectorELNS0_4arch9wavefront6targetE0EEEvSZ_: ; @_ZN7rocprim17ROCPRIM_400000_NS6detail17trampoline_kernelINS0_13select_configILj256ELj13ELNS0_17block_load_methodE3ELS4_3ELS4_3ELNS0_20block_scan_algorithmE0ELj4294967295EEENS1_25partition_config_selectorILNS1_17partition_subalgoE3EjNS0_10empty_typeEbEEZZNS1_14partition_implILS8_3ELb0ES6_jNS0_17counting_iteratorIjlEEPS9_SE_NS0_5tupleIJPjSE_EEENSF_IJSE_SE_EEES9_SG_JZNS1_25segmented_radix_sort_implINS0_14default_configELb1EPK12hip_bfloat16PSL_PKlPlN2at6native12_GLOBAL__N_18offset_tEEE10hipError_tPvRmT1_PNSt15iterator_traitsISZ_E10value_typeET2_T3_PNS10_IS15_E10value_typeET4_jRbjT5_S1B_jjP12ihipStream_tbEUljE_EEESW_SX_SY_S15_S19_S1B_T6_T7_T9_mT8_S1D_bDpT10_ENKUlT_T0_E_clISt17integral_constantIbLb1EES1P_IbLb0EEEEDaS1L_S1M_EUlS1L_E_NS1_11comp_targetILNS1_3genE4ELNS1_11target_archE910ELNS1_3gpuE8ELNS1_3repE0EEENS1_30default_config_static_selectorELNS0_4arch9wavefront6targetE0EEEvSZ_
; %bb.0:
	.section	.rodata,"a",@progbits
	.p2align	6, 0x0
	.amdhsa_kernel _ZN7rocprim17ROCPRIM_400000_NS6detail17trampoline_kernelINS0_13select_configILj256ELj13ELNS0_17block_load_methodE3ELS4_3ELS4_3ELNS0_20block_scan_algorithmE0ELj4294967295EEENS1_25partition_config_selectorILNS1_17partition_subalgoE3EjNS0_10empty_typeEbEEZZNS1_14partition_implILS8_3ELb0ES6_jNS0_17counting_iteratorIjlEEPS9_SE_NS0_5tupleIJPjSE_EEENSF_IJSE_SE_EEES9_SG_JZNS1_25segmented_radix_sort_implINS0_14default_configELb1EPK12hip_bfloat16PSL_PKlPlN2at6native12_GLOBAL__N_18offset_tEEE10hipError_tPvRmT1_PNSt15iterator_traitsISZ_E10value_typeET2_T3_PNS10_IS15_E10value_typeET4_jRbjT5_S1B_jjP12ihipStream_tbEUljE_EEESW_SX_SY_S15_S19_S1B_T6_T7_T9_mT8_S1D_bDpT10_ENKUlT_T0_E_clISt17integral_constantIbLb1EES1P_IbLb0EEEEDaS1L_S1M_EUlS1L_E_NS1_11comp_targetILNS1_3genE4ELNS1_11target_archE910ELNS1_3gpuE8ELNS1_3repE0EEENS1_30default_config_static_selectorELNS0_4arch9wavefront6targetE0EEEvSZ_
		.amdhsa_group_segment_fixed_size 0
		.amdhsa_private_segment_fixed_size 0
		.amdhsa_kernarg_size 144
		.amdhsa_user_sgpr_count 15
		.amdhsa_user_sgpr_dispatch_ptr 0
		.amdhsa_user_sgpr_queue_ptr 0
		.amdhsa_user_sgpr_kernarg_segment_ptr 1
		.amdhsa_user_sgpr_dispatch_id 0
		.amdhsa_user_sgpr_private_segment_size 0
		.amdhsa_wavefront_size32 1
		.amdhsa_uses_dynamic_stack 0
		.amdhsa_enable_private_segment 0
		.amdhsa_system_sgpr_workgroup_id_x 1
		.amdhsa_system_sgpr_workgroup_id_y 0
		.amdhsa_system_sgpr_workgroup_id_z 0
		.amdhsa_system_sgpr_workgroup_info 0
		.amdhsa_system_vgpr_workitem_id 0
		.amdhsa_next_free_vgpr 1
		.amdhsa_next_free_sgpr 1
		.amdhsa_reserve_vcc 0
		.amdhsa_float_round_mode_32 0
		.amdhsa_float_round_mode_16_64 0
		.amdhsa_float_denorm_mode_32 3
		.amdhsa_float_denorm_mode_16_64 3
		.amdhsa_dx10_clamp 1
		.amdhsa_ieee_mode 1
		.amdhsa_fp16_overflow 0
		.amdhsa_workgroup_processor_mode 1
		.amdhsa_memory_ordered 1
		.amdhsa_forward_progress 0
		.amdhsa_shared_vgpr_count 0
		.amdhsa_exception_fp_ieee_invalid_op 0
		.amdhsa_exception_fp_denorm_src 0
		.amdhsa_exception_fp_ieee_div_zero 0
		.amdhsa_exception_fp_ieee_overflow 0
		.amdhsa_exception_fp_ieee_underflow 0
		.amdhsa_exception_fp_ieee_inexact 0
		.amdhsa_exception_int_div_zero 0
	.end_amdhsa_kernel
	.section	.text._ZN7rocprim17ROCPRIM_400000_NS6detail17trampoline_kernelINS0_13select_configILj256ELj13ELNS0_17block_load_methodE3ELS4_3ELS4_3ELNS0_20block_scan_algorithmE0ELj4294967295EEENS1_25partition_config_selectorILNS1_17partition_subalgoE3EjNS0_10empty_typeEbEEZZNS1_14partition_implILS8_3ELb0ES6_jNS0_17counting_iteratorIjlEEPS9_SE_NS0_5tupleIJPjSE_EEENSF_IJSE_SE_EEES9_SG_JZNS1_25segmented_radix_sort_implINS0_14default_configELb1EPK12hip_bfloat16PSL_PKlPlN2at6native12_GLOBAL__N_18offset_tEEE10hipError_tPvRmT1_PNSt15iterator_traitsISZ_E10value_typeET2_T3_PNS10_IS15_E10value_typeET4_jRbjT5_S1B_jjP12ihipStream_tbEUljE_EEESW_SX_SY_S15_S19_S1B_T6_T7_T9_mT8_S1D_bDpT10_ENKUlT_T0_E_clISt17integral_constantIbLb1EES1P_IbLb0EEEEDaS1L_S1M_EUlS1L_E_NS1_11comp_targetILNS1_3genE4ELNS1_11target_archE910ELNS1_3gpuE8ELNS1_3repE0EEENS1_30default_config_static_selectorELNS0_4arch9wavefront6targetE0EEEvSZ_,"axG",@progbits,_ZN7rocprim17ROCPRIM_400000_NS6detail17trampoline_kernelINS0_13select_configILj256ELj13ELNS0_17block_load_methodE3ELS4_3ELS4_3ELNS0_20block_scan_algorithmE0ELj4294967295EEENS1_25partition_config_selectorILNS1_17partition_subalgoE3EjNS0_10empty_typeEbEEZZNS1_14partition_implILS8_3ELb0ES6_jNS0_17counting_iteratorIjlEEPS9_SE_NS0_5tupleIJPjSE_EEENSF_IJSE_SE_EEES9_SG_JZNS1_25segmented_radix_sort_implINS0_14default_configELb1EPK12hip_bfloat16PSL_PKlPlN2at6native12_GLOBAL__N_18offset_tEEE10hipError_tPvRmT1_PNSt15iterator_traitsISZ_E10value_typeET2_T3_PNS10_IS15_E10value_typeET4_jRbjT5_S1B_jjP12ihipStream_tbEUljE_EEESW_SX_SY_S15_S19_S1B_T6_T7_T9_mT8_S1D_bDpT10_ENKUlT_T0_E_clISt17integral_constantIbLb1EES1P_IbLb0EEEEDaS1L_S1M_EUlS1L_E_NS1_11comp_targetILNS1_3genE4ELNS1_11target_archE910ELNS1_3gpuE8ELNS1_3repE0EEENS1_30default_config_static_selectorELNS0_4arch9wavefront6targetE0EEEvSZ_,comdat
.Lfunc_end1932:
	.size	_ZN7rocprim17ROCPRIM_400000_NS6detail17trampoline_kernelINS0_13select_configILj256ELj13ELNS0_17block_load_methodE3ELS4_3ELS4_3ELNS0_20block_scan_algorithmE0ELj4294967295EEENS1_25partition_config_selectorILNS1_17partition_subalgoE3EjNS0_10empty_typeEbEEZZNS1_14partition_implILS8_3ELb0ES6_jNS0_17counting_iteratorIjlEEPS9_SE_NS0_5tupleIJPjSE_EEENSF_IJSE_SE_EEES9_SG_JZNS1_25segmented_radix_sort_implINS0_14default_configELb1EPK12hip_bfloat16PSL_PKlPlN2at6native12_GLOBAL__N_18offset_tEEE10hipError_tPvRmT1_PNSt15iterator_traitsISZ_E10value_typeET2_T3_PNS10_IS15_E10value_typeET4_jRbjT5_S1B_jjP12ihipStream_tbEUljE_EEESW_SX_SY_S15_S19_S1B_T6_T7_T9_mT8_S1D_bDpT10_ENKUlT_T0_E_clISt17integral_constantIbLb1EES1P_IbLb0EEEEDaS1L_S1M_EUlS1L_E_NS1_11comp_targetILNS1_3genE4ELNS1_11target_archE910ELNS1_3gpuE8ELNS1_3repE0EEENS1_30default_config_static_selectorELNS0_4arch9wavefront6targetE0EEEvSZ_, .Lfunc_end1932-_ZN7rocprim17ROCPRIM_400000_NS6detail17trampoline_kernelINS0_13select_configILj256ELj13ELNS0_17block_load_methodE3ELS4_3ELS4_3ELNS0_20block_scan_algorithmE0ELj4294967295EEENS1_25partition_config_selectorILNS1_17partition_subalgoE3EjNS0_10empty_typeEbEEZZNS1_14partition_implILS8_3ELb0ES6_jNS0_17counting_iteratorIjlEEPS9_SE_NS0_5tupleIJPjSE_EEENSF_IJSE_SE_EEES9_SG_JZNS1_25segmented_radix_sort_implINS0_14default_configELb1EPK12hip_bfloat16PSL_PKlPlN2at6native12_GLOBAL__N_18offset_tEEE10hipError_tPvRmT1_PNSt15iterator_traitsISZ_E10value_typeET2_T3_PNS10_IS15_E10value_typeET4_jRbjT5_S1B_jjP12ihipStream_tbEUljE_EEESW_SX_SY_S15_S19_S1B_T6_T7_T9_mT8_S1D_bDpT10_ENKUlT_T0_E_clISt17integral_constantIbLb1EES1P_IbLb0EEEEDaS1L_S1M_EUlS1L_E_NS1_11comp_targetILNS1_3genE4ELNS1_11target_archE910ELNS1_3gpuE8ELNS1_3repE0EEENS1_30default_config_static_selectorELNS0_4arch9wavefront6targetE0EEEvSZ_
                                        ; -- End function
	.section	.AMDGPU.csdata,"",@progbits
; Kernel info:
; codeLenInByte = 0
; NumSgprs: 0
; NumVgprs: 0
; ScratchSize: 0
; MemoryBound: 0
; FloatMode: 240
; IeeeMode: 1
; LDSByteSize: 0 bytes/workgroup (compile time only)
; SGPRBlocks: 0
; VGPRBlocks: 0
; NumSGPRsForWavesPerEU: 1
; NumVGPRsForWavesPerEU: 1
; Occupancy: 16
; WaveLimiterHint : 0
; COMPUTE_PGM_RSRC2:SCRATCH_EN: 0
; COMPUTE_PGM_RSRC2:USER_SGPR: 15
; COMPUTE_PGM_RSRC2:TRAP_HANDLER: 0
; COMPUTE_PGM_RSRC2:TGID_X_EN: 1
; COMPUTE_PGM_RSRC2:TGID_Y_EN: 0
; COMPUTE_PGM_RSRC2:TGID_Z_EN: 0
; COMPUTE_PGM_RSRC2:TIDIG_COMP_CNT: 0
	.section	.text._ZN7rocprim17ROCPRIM_400000_NS6detail17trampoline_kernelINS0_13select_configILj256ELj13ELNS0_17block_load_methodE3ELS4_3ELS4_3ELNS0_20block_scan_algorithmE0ELj4294967295EEENS1_25partition_config_selectorILNS1_17partition_subalgoE3EjNS0_10empty_typeEbEEZZNS1_14partition_implILS8_3ELb0ES6_jNS0_17counting_iteratorIjlEEPS9_SE_NS0_5tupleIJPjSE_EEENSF_IJSE_SE_EEES9_SG_JZNS1_25segmented_radix_sort_implINS0_14default_configELb1EPK12hip_bfloat16PSL_PKlPlN2at6native12_GLOBAL__N_18offset_tEEE10hipError_tPvRmT1_PNSt15iterator_traitsISZ_E10value_typeET2_T3_PNS10_IS15_E10value_typeET4_jRbjT5_S1B_jjP12ihipStream_tbEUljE_EEESW_SX_SY_S15_S19_S1B_T6_T7_T9_mT8_S1D_bDpT10_ENKUlT_T0_E_clISt17integral_constantIbLb1EES1P_IbLb0EEEEDaS1L_S1M_EUlS1L_E_NS1_11comp_targetILNS1_3genE3ELNS1_11target_archE908ELNS1_3gpuE7ELNS1_3repE0EEENS1_30default_config_static_selectorELNS0_4arch9wavefront6targetE0EEEvSZ_,"axG",@progbits,_ZN7rocprim17ROCPRIM_400000_NS6detail17trampoline_kernelINS0_13select_configILj256ELj13ELNS0_17block_load_methodE3ELS4_3ELS4_3ELNS0_20block_scan_algorithmE0ELj4294967295EEENS1_25partition_config_selectorILNS1_17partition_subalgoE3EjNS0_10empty_typeEbEEZZNS1_14partition_implILS8_3ELb0ES6_jNS0_17counting_iteratorIjlEEPS9_SE_NS0_5tupleIJPjSE_EEENSF_IJSE_SE_EEES9_SG_JZNS1_25segmented_radix_sort_implINS0_14default_configELb1EPK12hip_bfloat16PSL_PKlPlN2at6native12_GLOBAL__N_18offset_tEEE10hipError_tPvRmT1_PNSt15iterator_traitsISZ_E10value_typeET2_T3_PNS10_IS15_E10value_typeET4_jRbjT5_S1B_jjP12ihipStream_tbEUljE_EEESW_SX_SY_S15_S19_S1B_T6_T7_T9_mT8_S1D_bDpT10_ENKUlT_T0_E_clISt17integral_constantIbLb1EES1P_IbLb0EEEEDaS1L_S1M_EUlS1L_E_NS1_11comp_targetILNS1_3genE3ELNS1_11target_archE908ELNS1_3gpuE7ELNS1_3repE0EEENS1_30default_config_static_selectorELNS0_4arch9wavefront6targetE0EEEvSZ_,comdat
	.globl	_ZN7rocprim17ROCPRIM_400000_NS6detail17trampoline_kernelINS0_13select_configILj256ELj13ELNS0_17block_load_methodE3ELS4_3ELS4_3ELNS0_20block_scan_algorithmE0ELj4294967295EEENS1_25partition_config_selectorILNS1_17partition_subalgoE3EjNS0_10empty_typeEbEEZZNS1_14partition_implILS8_3ELb0ES6_jNS0_17counting_iteratorIjlEEPS9_SE_NS0_5tupleIJPjSE_EEENSF_IJSE_SE_EEES9_SG_JZNS1_25segmented_radix_sort_implINS0_14default_configELb1EPK12hip_bfloat16PSL_PKlPlN2at6native12_GLOBAL__N_18offset_tEEE10hipError_tPvRmT1_PNSt15iterator_traitsISZ_E10value_typeET2_T3_PNS10_IS15_E10value_typeET4_jRbjT5_S1B_jjP12ihipStream_tbEUljE_EEESW_SX_SY_S15_S19_S1B_T6_T7_T9_mT8_S1D_bDpT10_ENKUlT_T0_E_clISt17integral_constantIbLb1EES1P_IbLb0EEEEDaS1L_S1M_EUlS1L_E_NS1_11comp_targetILNS1_3genE3ELNS1_11target_archE908ELNS1_3gpuE7ELNS1_3repE0EEENS1_30default_config_static_selectorELNS0_4arch9wavefront6targetE0EEEvSZ_ ; -- Begin function _ZN7rocprim17ROCPRIM_400000_NS6detail17trampoline_kernelINS0_13select_configILj256ELj13ELNS0_17block_load_methodE3ELS4_3ELS4_3ELNS0_20block_scan_algorithmE0ELj4294967295EEENS1_25partition_config_selectorILNS1_17partition_subalgoE3EjNS0_10empty_typeEbEEZZNS1_14partition_implILS8_3ELb0ES6_jNS0_17counting_iteratorIjlEEPS9_SE_NS0_5tupleIJPjSE_EEENSF_IJSE_SE_EEES9_SG_JZNS1_25segmented_radix_sort_implINS0_14default_configELb1EPK12hip_bfloat16PSL_PKlPlN2at6native12_GLOBAL__N_18offset_tEEE10hipError_tPvRmT1_PNSt15iterator_traitsISZ_E10value_typeET2_T3_PNS10_IS15_E10value_typeET4_jRbjT5_S1B_jjP12ihipStream_tbEUljE_EEESW_SX_SY_S15_S19_S1B_T6_T7_T9_mT8_S1D_bDpT10_ENKUlT_T0_E_clISt17integral_constantIbLb1EES1P_IbLb0EEEEDaS1L_S1M_EUlS1L_E_NS1_11comp_targetILNS1_3genE3ELNS1_11target_archE908ELNS1_3gpuE7ELNS1_3repE0EEENS1_30default_config_static_selectorELNS0_4arch9wavefront6targetE0EEEvSZ_
	.p2align	8
	.type	_ZN7rocprim17ROCPRIM_400000_NS6detail17trampoline_kernelINS0_13select_configILj256ELj13ELNS0_17block_load_methodE3ELS4_3ELS4_3ELNS0_20block_scan_algorithmE0ELj4294967295EEENS1_25partition_config_selectorILNS1_17partition_subalgoE3EjNS0_10empty_typeEbEEZZNS1_14partition_implILS8_3ELb0ES6_jNS0_17counting_iteratorIjlEEPS9_SE_NS0_5tupleIJPjSE_EEENSF_IJSE_SE_EEES9_SG_JZNS1_25segmented_radix_sort_implINS0_14default_configELb1EPK12hip_bfloat16PSL_PKlPlN2at6native12_GLOBAL__N_18offset_tEEE10hipError_tPvRmT1_PNSt15iterator_traitsISZ_E10value_typeET2_T3_PNS10_IS15_E10value_typeET4_jRbjT5_S1B_jjP12ihipStream_tbEUljE_EEESW_SX_SY_S15_S19_S1B_T6_T7_T9_mT8_S1D_bDpT10_ENKUlT_T0_E_clISt17integral_constantIbLb1EES1P_IbLb0EEEEDaS1L_S1M_EUlS1L_E_NS1_11comp_targetILNS1_3genE3ELNS1_11target_archE908ELNS1_3gpuE7ELNS1_3repE0EEENS1_30default_config_static_selectorELNS0_4arch9wavefront6targetE0EEEvSZ_,@function
_ZN7rocprim17ROCPRIM_400000_NS6detail17trampoline_kernelINS0_13select_configILj256ELj13ELNS0_17block_load_methodE3ELS4_3ELS4_3ELNS0_20block_scan_algorithmE0ELj4294967295EEENS1_25partition_config_selectorILNS1_17partition_subalgoE3EjNS0_10empty_typeEbEEZZNS1_14partition_implILS8_3ELb0ES6_jNS0_17counting_iteratorIjlEEPS9_SE_NS0_5tupleIJPjSE_EEENSF_IJSE_SE_EEES9_SG_JZNS1_25segmented_radix_sort_implINS0_14default_configELb1EPK12hip_bfloat16PSL_PKlPlN2at6native12_GLOBAL__N_18offset_tEEE10hipError_tPvRmT1_PNSt15iterator_traitsISZ_E10value_typeET2_T3_PNS10_IS15_E10value_typeET4_jRbjT5_S1B_jjP12ihipStream_tbEUljE_EEESW_SX_SY_S15_S19_S1B_T6_T7_T9_mT8_S1D_bDpT10_ENKUlT_T0_E_clISt17integral_constantIbLb1EES1P_IbLb0EEEEDaS1L_S1M_EUlS1L_E_NS1_11comp_targetILNS1_3genE3ELNS1_11target_archE908ELNS1_3gpuE7ELNS1_3repE0EEENS1_30default_config_static_selectorELNS0_4arch9wavefront6targetE0EEEvSZ_: ; @_ZN7rocprim17ROCPRIM_400000_NS6detail17trampoline_kernelINS0_13select_configILj256ELj13ELNS0_17block_load_methodE3ELS4_3ELS4_3ELNS0_20block_scan_algorithmE0ELj4294967295EEENS1_25partition_config_selectorILNS1_17partition_subalgoE3EjNS0_10empty_typeEbEEZZNS1_14partition_implILS8_3ELb0ES6_jNS0_17counting_iteratorIjlEEPS9_SE_NS0_5tupleIJPjSE_EEENSF_IJSE_SE_EEES9_SG_JZNS1_25segmented_radix_sort_implINS0_14default_configELb1EPK12hip_bfloat16PSL_PKlPlN2at6native12_GLOBAL__N_18offset_tEEE10hipError_tPvRmT1_PNSt15iterator_traitsISZ_E10value_typeET2_T3_PNS10_IS15_E10value_typeET4_jRbjT5_S1B_jjP12ihipStream_tbEUljE_EEESW_SX_SY_S15_S19_S1B_T6_T7_T9_mT8_S1D_bDpT10_ENKUlT_T0_E_clISt17integral_constantIbLb1EES1P_IbLb0EEEEDaS1L_S1M_EUlS1L_E_NS1_11comp_targetILNS1_3genE3ELNS1_11target_archE908ELNS1_3gpuE7ELNS1_3repE0EEENS1_30default_config_static_selectorELNS0_4arch9wavefront6targetE0EEEvSZ_
; %bb.0:
	.section	.rodata,"a",@progbits
	.p2align	6, 0x0
	.amdhsa_kernel _ZN7rocprim17ROCPRIM_400000_NS6detail17trampoline_kernelINS0_13select_configILj256ELj13ELNS0_17block_load_methodE3ELS4_3ELS4_3ELNS0_20block_scan_algorithmE0ELj4294967295EEENS1_25partition_config_selectorILNS1_17partition_subalgoE3EjNS0_10empty_typeEbEEZZNS1_14partition_implILS8_3ELb0ES6_jNS0_17counting_iteratorIjlEEPS9_SE_NS0_5tupleIJPjSE_EEENSF_IJSE_SE_EEES9_SG_JZNS1_25segmented_radix_sort_implINS0_14default_configELb1EPK12hip_bfloat16PSL_PKlPlN2at6native12_GLOBAL__N_18offset_tEEE10hipError_tPvRmT1_PNSt15iterator_traitsISZ_E10value_typeET2_T3_PNS10_IS15_E10value_typeET4_jRbjT5_S1B_jjP12ihipStream_tbEUljE_EEESW_SX_SY_S15_S19_S1B_T6_T7_T9_mT8_S1D_bDpT10_ENKUlT_T0_E_clISt17integral_constantIbLb1EES1P_IbLb0EEEEDaS1L_S1M_EUlS1L_E_NS1_11comp_targetILNS1_3genE3ELNS1_11target_archE908ELNS1_3gpuE7ELNS1_3repE0EEENS1_30default_config_static_selectorELNS0_4arch9wavefront6targetE0EEEvSZ_
		.amdhsa_group_segment_fixed_size 0
		.amdhsa_private_segment_fixed_size 0
		.amdhsa_kernarg_size 144
		.amdhsa_user_sgpr_count 15
		.amdhsa_user_sgpr_dispatch_ptr 0
		.amdhsa_user_sgpr_queue_ptr 0
		.amdhsa_user_sgpr_kernarg_segment_ptr 1
		.amdhsa_user_sgpr_dispatch_id 0
		.amdhsa_user_sgpr_private_segment_size 0
		.amdhsa_wavefront_size32 1
		.amdhsa_uses_dynamic_stack 0
		.amdhsa_enable_private_segment 0
		.amdhsa_system_sgpr_workgroup_id_x 1
		.amdhsa_system_sgpr_workgroup_id_y 0
		.amdhsa_system_sgpr_workgroup_id_z 0
		.amdhsa_system_sgpr_workgroup_info 0
		.amdhsa_system_vgpr_workitem_id 0
		.amdhsa_next_free_vgpr 1
		.amdhsa_next_free_sgpr 1
		.amdhsa_reserve_vcc 0
		.amdhsa_float_round_mode_32 0
		.amdhsa_float_round_mode_16_64 0
		.amdhsa_float_denorm_mode_32 3
		.amdhsa_float_denorm_mode_16_64 3
		.amdhsa_dx10_clamp 1
		.amdhsa_ieee_mode 1
		.amdhsa_fp16_overflow 0
		.amdhsa_workgroup_processor_mode 1
		.amdhsa_memory_ordered 1
		.amdhsa_forward_progress 0
		.amdhsa_shared_vgpr_count 0
		.amdhsa_exception_fp_ieee_invalid_op 0
		.amdhsa_exception_fp_denorm_src 0
		.amdhsa_exception_fp_ieee_div_zero 0
		.amdhsa_exception_fp_ieee_overflow 0
		.amdhsa_exception_fp_ieee_underflow 0
		.amdhsa_exception_fp_ieee_inexact 0
		.amdhsa_exception_int_div_zero 0
	.end_amdhsa_kernel
	.section	.text._ZN7rocprim17ROCPRIM_400000_NS6detail17trampoline_kernelINS0_13select_configILj256ELj13ELNS0_17block_load_methodE3ELS4_3ELS4_3ELNS0_20block_scan_algorithmE0ELj4294967295EEENS1_25partition_config_selectorILNS1_17partition_subalgoE3EjNS0_10empty_typeEbEEZZNS1_14partition_implILS8_3ELb0ES6_jNS0_17counting_iteratorIjlEEPS9_SE_NS0_5tupleIJPjSE_EEENSF_IJSE_SE_EEES9_SG_JZNS1_25segmented_radix_sort_implINS0_14default_configELb1EPK12hip_bfloat16PSL_PKlPlN2at6native12_GLOBAL__N_18offset_tEEE10hipError_tPvRmT1_PNSt15iterator_traitsISZ_E10value_typeET2_T3_PNS10_IS15_E10value_typeET4_jRbjT5_S1B_jjP12ihipStream_tbEUljE_EEESW_SX_SY_S15_S19_S1B_T6_T7_T9_mT8_S1D_bDpT10_ENKUlT_T0_E_clISt17integral_constantIbLb1EES1P_IbLb0EEEEDaS1L_S1M_EUlS1L_E_NS1_11comp_targetILNS1_3genE3ELNS1_11target_archE908ELNS1_3gpuE7ELNS1_3repE0EEENS1_30default_config_static_selectorELNS0_4arch9wavefront6targetE0EEEvSZ_,"axG",@progbits,_ZN7rocprim17ROCPRIM_400000_NS6detail17trampoline_kernelINS0_13select_configILj256ELj13ELNS0_17block_load_methodE3ELS4_3ELS4_3ELNS0_20block_scan_algorithmE0ELj4294967295EEENS1_25partition_config_selectorILNS1_17partition_subalgoE3EjNS0_10empty_typeEbEEZZNS1_14partition_implILS8_3ELb0ES6_jNS0_17counting_iteratorIjlEEPS9_SE_NS0_5tupleIJPjSE_EEENSF_IJSE_SE_EEES9_SG_JZNS1_25segmented_radix_sort_implINS0_14default_configELb1EPK12hip_bfloat16PSL_PKlPlN2at6native12_GLOBAL__N_18offset_tEEE10hipError_tPvRmT1_PNSt15iterator_traitsISZ_E10value_typeET2_T3_PNS10_IS15_E10value_typeET4_jRbjT5_S1B_jjP12ihipStream_tbEUljE_EEESW_SX_SY_S15_S19_S1B_T6_T7_T9_mT8_S1D_bDpT10_ENKUlT_T0_E_clISt17integral_constantIbLb1EES1P_IbLb0EEEEDaS1L_S1M_EUlS1L_E_NS1_11comp_targetILNS1_3genE3ELNS1_11target_archE908ELNS1_3gpuE7ELNS1_3repE0EEENS1_30default_config_static_selectorELNS0_4arch9wavefront6targetE0EEEvSZ_,comdat
.Lfunc_end1933:
	.size	_ZN7rocprim17ROCPRIM_400000_NS6detail17trampoline_kernelINS0_13select_configILj256ELj13ELNS0_17block_load_methodE3ELS4_3ELS4_3ELNS0_20block_scan_algorithmE0ELj4294967295EEENS1_25partition_config_selectorILNS1_17partition_subalgoE3EjNS0_10empty_typeEbEEZZNS1_14partition_implILS8_3ELb0ES6_jNS0_17counting_iteratorIjlEEPS9_SE_NS0_5tupleIJPjSE_EEENSF_IJSE_SE_EEES9_SG_JZNS1_25segmented_radix_sort_implINS0_14default_configELb1EPK12hip_bfloat16PSL_PKlPlN2at6native12_GLOBAL__N_18offset_tEEE10hipError_tPvRmT1_PNSt15iterator_traitsISZ_E10value_typeET2_T3_PNS10_IS15_E10value_typeET4_jRbjT5_S1B_jjP12ihipStream_tbEUljE_EEESW_SX_SY_S15_S19_S1B_T6_T7_T9_mT8_S1D_bDpT10_ENKUlT_T0_E_clISt17integral_constantIbLb1EES1P_IbLb0EEEEDaS1L_S1M_EUlS1L_E_NS1_11comp_targetILNS1_3genE3ELNS1_11target_archE908ELNS1_3gpuE7ELNS1_3repE0EEENS1_30default_config_static_selectorELNS0_4arch9wavefront6targetE0EEEvSZ_, .Lfunc_end1933-_ZN7rocprim17ROCPRIM_400000_NS6detail17trampoline_kernelINS0_13select_configILj256ELj13ELNS0_17block_load_methodE3ELS4_3ELS4_3ELNS0_20block_scan_algorithmE0ELj4294967295EEENS1_25partition_config_selectorILNS1_17partition_subalgoE3EjNS0_10empty_typeEbEEZZNS1_14partition_implILS8_3ELb0ES6_jNS0_17counting_iteratorIjlEEPS9_SE_NS0_5tupleIJPjSE_EEENSF_IJSE_SE_EEES9_SG_JZNS1_25segmented_radix_sort_implINS0_14default_configELb1EPK12hip_bfloat16PSL_PKlPlN2at6native12_GLOBAL__N_18offset_tEEE10hipError_tPvRmT1_PNSt15iterator_traitsISZ_E10value_typeET2_T3_PNS10_IS15_E10value_typeET4_jRbjT5_S1B_jjP12ihipStream_tbEUljE_EEESW_SX_SY_S15_S19_S1B_T6_T7_T9_mT8_S1D_bDpT10_ENKUlT_T0_E_clISt17integral_constantIbLb1EES1P_IbLb0EEEEDaS1L_S1M_EUlS1L_E_NS1_11comp_targetILNS1_3genE3ELNS1_11target_archE908ELNS1_3gpuE7ELNS1_3repE0EEENS1_30default_config_static_selectorELNS0_4arch9wavefront6targetE0EEEvSZ_
                                        ; -- End function
	.section	.AMDGPU.csdata,"",@progbits
; Kernel info:
; codeLenInByte = 0
; NumSgprs: 0
; NumVgprs: 0
; ScratchSize: 0
; MemoryBound: 0
; FloatMode: 240
; IeeeMode: 1
; LDSByteSize: 0 bytes/workgroup (compile time only)
; SGPRBlocks: 0
; VGPRBlocks: 0
; NumSGPRsForWavesPerEU: 1
; NumVGPRsForWavesPerEU: 1
; Occupancy: 16
; WaveLimiterHint : 0
; COMPUTE_PGM_RSRC2:SCRATCH_EN: 0
; COMPUTE_PGM_RSRC2:USER_SGPR: 15
; COMPUTE_PGM_RSRC2:TRAP_HANDLER: 0
; COMPUTE_PGM_RSRC2:TGID_X_EN: 1
; COMPUTE_PGM_RSRC2:TGID_Y_EN: 0
; COMPUTE_PGM_RSRC2:TGID_Z_EN: 0
; COMPUTE_PGM_RSRC2:TIDIG_COMP_CNT: 0
	.section	.text._ZN7rocprim17ROCPRIM_400000_NS6detail17trampoline_kernelINS0_13select_configILj256ELj13ELNS0_17block_load_methodE3ELS4_3ELS4_3ELNS0_20block_scan_algorithmE0ELj4294967295EEENS1_25partition_config_selectorILNS1_17partition_subalgoE3EjNS0_10empty_typeEbEEZZNS1_14partition_implILS8_3ELb0ES6_jNS0_17counting_iteratorIjlEEPS9_SE_NS0_5tupleIJPjSE_EEENSF_IJSE_SE_EEES9_SG_JZNS1_25segmented_radix_sort_implINS0_14default_configELb1EPK12hip_bfloat16PSL_PKlPlN2at6native12_GLOBAL__N_18offset_tEEE10hipError_tPvRmT1_PNSt15iterator_traitsISZ_E10value_typeET2_T3_PNS10_IS15_E10value_typeET4_jRbjT5_S1B_jjP12ihipStream_tbEUljE_EEESW_SX_SY_S15_S19_S1B_T6_T7_T9_mT8_S1D_bDpT10_ENKUlT_T0_E_clISt17integral_constantIbLb1EES1P_IbLb0EEEEDaS1L_S1M_EUlS1L_E_NS1_11comp_targetILNS1_3genE2ELNS1_11target_archE906ELNS1_3gpuE6ELNS1_3repE0EEENS1_30default_config_static_selectorELNS0_4arch9wavefront6targetE0EEEvSZ_,"axG",@progbits,_ZN7rocprim17ROCPRIM_400000_NS6detail17trampoline_kernelINS0_13select_configILj256ELj13ELNS0_17block_load_methodE3ELS4_3ELS4_3ELNS0_20block_scan_algorithmE0ELj4294967295EEENS1_25partition_config_selectorILNS1_17partition_subalgoE3EjNS0_10empty_typeEbEEZZNS1_14partition_implILS8_3ELb0ES6_jNS0_17counting_iteratorIjlEEPS9_SE_NS0_5tupleIJPjSE_EEENSF_IJSE_SE_EEES9_SG_JZNS1_25segmented_radix_sort_implINS0_14default_configELb1EPK12hip_bfloat16PSL_PKlPlN2at6native12_GLOBAL__N_18offset_tEEE10hipError_tPvRmT1_PNSt15iterator_traitsISZ_E10value_typeET2_T3_PNS10_IS15_E10value_typeET4_jRbjT5_S1B_jjP12ihipStream_tbEUljE_EEESW_SX_SY_S15_S19_S1B_T6_T7_T9_mT8_S1D_bDpT10_ENKUlT_T0_E_clISt17integral_constantIbLb1EES1P_IbLb0EEEEDaS1L_S1M_EUlS1L_E_NS1_11comp_targetILNS1_3genE2ELNS1_11target_archE906ELNS1_3gpuE6ELNS1_3repE0EEENS1_30default_config_static_selectorELNS0_4arch9wavefront6targetE0EEEvSZ_,comdat
	.globl	_ZN7rocprim17ROCPRIM_400000_NS6detail17trampoline_kernelINS0_13select_configILj256ELj13ELNS0_17block_load_methodE3ELS4_3ELS4_3ELNS0_20block_scan_algorithmE0ELj4294967295EEENS1_25partition_config_selectorILNS1_17partition_subalgoE3EjNS0_10empty_typeEbEEZZNS1_14partition_implILS8_3ELb0ES6_jNS0_17counting_iteratorIjlEEPS9_SE_NS0_5tupleIJPjSE_EEENSF_IJSE_SE_EEES9_SG_JZNS1_25segmented_radix_sort_implINS0_14default_configELb1EPK12hip_bfloat16PSL_PKlPlN2at6native12_GLOBAL__N_18offset_tEEE10hipError_tPvRmT1_PNSt15iterator_traitsISZ_E10value_typeET2_T3_PNS10_IS15_E10value_typeET4_jRbjT5_S1B_jjP12ihipStream_tbEUljE_EEESW_SX_SY_S15_S19_S1B_T6_T7_T9_mT8_S1D_bDpT10_ENKUlT_T0_E_clISt17integral_constantIbLb1EES1P_IbLb0EEEEDaS1L_S1M_EUlS1L_E_NS1_11comp_targetILNS1_3genE2ELNS1_11target_archE906ELNS1_3gpuE6ELNS1_3repE0EEENS1_30default_config_static_selectorELNS0_4arch9wavefront6targetE0EEEvSZ_ ; -- Begin function _ZN7rocprim17ROCPRIM_400000_NS6detail17trampoline_kernelINS0_13select_configILj256ELj13ELNS0_17block_load_methodE3ELS4_3ELS4_3ELNS0_20block_scan_algorithmE0ELj4294967295EEENS1_25partition_config_selectorILNS1_17partition_subalgoE3EjNS0_10empty_typeEbEEZZNS1_14partition_implILS8_3ELb0ES6_jNS0_17counting_iteratorIjlEEPS9_SE_NS0_5tupleIJPjSE_EEENSF_IJSE_SE_EEES9_SG_JZNS1_25segmented_radix_sort_implINS0_14default_configELb1EPK12hip_bfloat16PSL_PKlPlN2at6native12_GLOBAL__N_18offset_tEEE10hipError_tPvRmT1_PNSt15iterator_traitsISZ_E10value_typeET2_T3_PNS10_IS15_E10value_typeET4_jRbjT5_S1B_jjP12ihipStream_tbEUljE_EEESW_SX_SY_S15_S19_S1B_T6_T7_T9_mT8_S1D_bDpT10_ENKUlT_T0_E_clISt17integral_constantIbLb1EES1P_IbLb0EEEEDaS1L_S1M_EUlS1L_E_NS1_11comp_targetILNS1_3genE2ELNS1_11target_archE906ELNS1_3gpuE6ELNS1_3repE0EEENS1_30default_config_static_selectorELNS0_4arch9wavefront6targetE0EEEvSZ_
	.p2align	8
	.type	_ZN7rocprim17ROCPRIM_400000_NS6detail17trampoline_kernelINS0_13select_configILj256ELj13ELNS0_17block_load_methodE3ELS4_3ELS4_3ELNS0_20block_scan_algorithmE0ELj4294967295EEENS1_25partition_config_selectorILNS1_17partition_subalgoE3EjNS0_10empty_typeEbEEZZNS1_14partition_implILS8_3ELb0ES6_jNS0_17counting_iteratorIjlEEPS9_SE_NS0_5tupleIJPjSE_EEENSF_IJSE_SE_EEES9_SG_JZNS1_25segmented_radix_sort_implINS0_14default_configELb1EPK12hip_bfloat16PSL_PKlPlN2at6native12_GLOBAL__N_18offset_tEEE10hipError_tPvRmT1_PNSt15iterator_traitsISZ_E10value_typeET2_T3_PNS10_IS15_E10value_typeET4_jRbjT5_S1B_jjP12ihipStream_tbEUljE_EEESW_SX_SY_S15_S19_S1B_T6_T7_T9_mT8_S1D_bDpT10_ENKUlT_T0_E_clISt17integral_constantIbLb1EES1P_IbLb0EEEEDaS1L_S1M_EUlS1L_E_NS1_11comp_targetILNS1_3genE2ELNS1_11target_archE906ELNS1_3gpuE6ELNS1_3repE0EEENS1_30default_config_static_selectorELNS0_4arch9wavefront6targetE0EEEvSZ_,@function
_ZN7rocprim17ROCPRIM_400000_NS6detail17trampoline_kernelINS0_13select_configILj256ELj13ELNS0_17block_load_methodE3ELS4_3ELS4_3ELNS0_20block_scan_algorithmE0ELj4294967295EEENS1_25partition_config_selectorILNS1_17partition_subalgoE3EjNS0_10empty_typeEbEEZZNS1_14partition_implILS8_3ELb0ES6_jNS0_17counting_iteratorIjlEEPS9_SE_NS0_5tupleIJPjSE_EEENSF_IJSE_SE_EEES9_SG_JZNS1_25segmented_radix_sort_implINS0_14default_configELb1EPK12hip_bfloat16PSL_PKlPlN2at6native12_GLOBAL__N_18offset_tEEE10hipError_tPvRmT1_PNSt15iterator_traitsISZ_E10value_typeET2_T3_PNS10_IS15_E10value_typeET4_jRbjT5_S1B_jjP12ihipStream_tbEUljE_EEESW_SX_SY_S15_S19_S1B_T6_T7_T9_mT8_S1D_bDpT10_ENKUlT_T0_E_clISt17integral_constantIbLb1EES1P_IbLb0EEEEDaS1L_S1M_EUlS1L_E_NS1_11comp_targetILNS1_3genE2ELNS1_11target_archE906ELNS1_3gpuE6ELNS1_3repE0EEENS1_30default_config_static_selectorELNS0_4arch9wavefront6targetE0EEEvSZ_: ; @_ZN7rocprim17ROCPRIM_400000_NS6detail17trampoline_kernelINS0_13select_configILj256ELj13ELNS0_17block_load_methodE3ELS4_3ELS4_3ELNS0_20block_scan_algorithmE0ELj4294967295EEENS1_25partition_config_selectorILNS1_17partition_subalgoE3EjNS0_10empty_typeEbEEZZNS1_14partition_implILS8_3ELb0ES6_jNS0_17counting_iteratorIjlEEPS9_SE_NS0_5tupleIJPjSE_EEENSF_IJSE_SE_EEES9_SG_JZNS1_25segmented_radix_sort_implINS0_14default_configELb1EPK12hip_bfloat16PSL_PKlPlN2at6native12_GLOBAL__N_18offset_tEEE10hipError_tPvRmT1_PNSt15iterator_traitsISZ_E10value_typeET2_T3_PNS10_IS15_E10value_typeET4_jRbjT5_S1B_jjP12ihipStream_tbEUljE_EEESW_SX_SY_S15_S19_S1B_T6_T7_T9_mT8_S1D_bDpT10_ENKUlT_T0_E_clISt17integral_constantIbLb1EES1P_IbLb0EEEEDaS1L_S1M_EUlS1L_E_NS1_11comp_targetILNS1_3genE2ELNS1_11target_archE906ELNS1_3gpuE6ELNS1_3repE0EEENS1_30default_config_static_selectorELNS0_4arch9wavefront6targetE0EEEvSZ_
; %bb.0:
	.section	.rodata,"a",@progbits
	.p2align	6, 0x0
	.amdhsa_kernel _ZN7rocprim17ROCPRIM_400000_NS6detail17trampoline_kernelINS0_13select_configILj256ELj13ELNS0_17block_load_methodE3ELS4_3ELS4_3ELNS0_20block_scan_algorithmE0ELj4294967295EEENS1_25partition_config_selectorILNS1_17partition_subalgoE3EjNS0_10empty_typeEbEEZZNS1_14partition_implILS8_3ELb0ES6_jNS0_17counting_iteratorIjlEEPS9_SE_NS0_5tupleIJPjSE_EEENSF_IJSE_SE_EEES9_SG_JZNS1_25segmented_radix_sort_implINS0_14default_configELb1EPK12hip_bfloat16PSL_PKlPlN2at6native12_GLOBAL__N_18offset_tEEE10hipError_tPvRmT1_PNSt15iterator_traitsISZ_E10value_typeET2_T3_PNS10_IS15_E10value_typeET4_jRbjT5_S1B_jjP12ihipStream_tbEUljE_EEESW_SX_SY_S15_S19_S1B_T6_T7_T9_mT8_S1D_bDpT10_ENKUlT_T0_E_clISt17integral_constantIbLb1EES1P_IbLb0EEEEDaS1L_S1M_EUlS1L_E_NS1_11comp_targetILNS1_3genE2ELNS1_11target_archE906ELNS1_3gpuE6ELNS1_3repE0EEENS1_30default_config_static_selectorELNS0_4arch9wavefront6targetE0EEEvSZ_
		.amdhsa_group_segment_fixed_size 0
		.amdhsa_private_segment_fixed_size 0
		.amdhsa_kernarg_size 144
		.amdhsa_user_sgpr_count 15
		.amdhsa_user_sgpr_dispatch_ptr 0
		.amdhsa_user_sgpr_queue_ptr 0
		.amdhsa_user_sgpr_kernarg_segment_ptr 1
		.amdhsa_user_sgpr_dispatch_id 0
		.amdhsa_user_sgpr_private_segment_size 0
		.amdhsa_wavefront_size32 1
		.amdhsa_uses_dynamic_stack 0
		.amdhsa_enable_private_segment 0
		.amdhsa_system_sgpr_workgroup_id_x 1
		.amdhsa_system_sgpr_workgroup_id_y 0
		.amdhsa_system_sgpr_workgroup_id_z 0
		.amdhsa_system_sgpr_workgroup_info 0
		.amdhsa_system_vgpr_workitem_id 0
		.amdhsa_next_free_vgpr 1
		.amdhsa_next_free_sgpr 1
		.amdhsa_reserve_vcc 0
		.amdhsa_float_round_mode_32 0
		.amdhsa_float_round_mode_16_64 0
		.amdhsa_float_denorm_mode_32 3
		.amdhsa_float_denorm_mode_16_64 3
		.amdhsa_dx10_clamp 1
		.amdhsa_ieee_mode 1
		.amdhsa_fp16_overflow 0
		.amdhsa_workgroup_processor_mode 1
		.amdhsa_memory_ordered 1
		.amdhsa_forward_progress 0
		.amdhsa_shared_vgpr_count 0
		.amdhsa_exception_fp_ieee_invalid_op 0
		.amdhsa_exception_fp_denorm_src 0
		.amdhsa_exception_fp_ieee_div_zero 0
		.amdhsa_exception_fp_ieee_overflow 0
		.amdhsa_exception_fp_ieee_underflow 0
		.amdhsa_exception_fp_ieee_inexact 0
		.amdhsa_exception_int_div_zero 0
	.end_amdhsa_kernel
	.section	.text._ZN7rocprim17ROCPRIM_400000_NS6detail17trampoline_kernelINS0_13select_configILj256ELj13ELNS0_17block_load_methodE3ELS4_3ELS4_3ELNS0_20block_scan_algorithmE0ELj4294967295EEENS1_25partition_config_selectorILNS1_17partition_subalgoE3EjNS0_10empty_typeEbEEZZNS1_14partition_implILS8_3ELb0ES6_jNS0_17counting_iteratorIjlEEPS9_SE_NS0_5tupleIJPjSE_EEENSF_IJSE_SE_EEES9_SG_JZNS1_25segmented_radix_sort_implINS0_14default_configELb1EPK12hip_bfloat16PSL_PKlPlN2at6native12_GLOBAL__N_18offset_tEEE10hipError_tPvRmT1_PNSt15iterator_traitsISZ_E10value_typeET2_T3_PNS10_IS15_E10value_typeET4_jRbjT5_S1B_jjP12ihipStream_tbEUljE_EEESW_SX_SY_S15_S19_S1B_T6_T7_T9_mT8_S1D_bDpT10_ENKUlT_T0_E_clISt17integral_constantIbLb1EES1P_IbLb0EEEEDaS1L_S1M_EUlS1L_E_NS1_11comp_targetILNS1_3genE2ELNS1_11target_archE906ELNS1_3gpuE6ELNS1_3repE0EEENS1_30default_config_static_selectorELNS0_4arch9wavefront6targetE0EEEvSZ_,"axG",@progbits,_ZN7rocprim17ROCPRIM_400000_NS6detail17trampoline_kernelINS0_13select_configILj256ELj13ELNS0_17block_load_methodE3ELS4_3ELS4_3ELNS0_20block_scan_algorithmE0ELj4294967295EEENS1_25partition_config_selectorILNS1_17partition_subalgoE3EjNS0_10empty_typeEbEEZZNS1_14partition_implILS8_3ELb0ES6_jNS0_17counting_iteratorIjlEEPS9_SE_NS0_5tupleIJPjSE_EEENSF_IJSE_SE_EEES9_SG_JZNS1_25segmented_radix_sort_implINS0_14default_configELb1EPK12hip_bfloat16PSL_PKlPlN2at6native12_GLOBAL__N_18offset_tEEE10hipError_tPvRmT1_PNSt15iterator_traitsISZ_E10value_typeET2_T3_PNS10_IS15_E10value_typeET4_jRbjT5_S1B_jjP12ihipStream_tbEUljE_EEESW_SX_SY_S15_S19_S1B_T6_T7_T9_mT8_S1D_bDpT10_ENKUlT_T0_E_clISt17integral_constantIbLb1EES1P_IbLb0EEEEDaS1L_S1M_EUlS1L_E_NS1_11comp_targetILNS1_3genE2ELNS1_11target_archE906ELNS1_3gpuE6ELNS1_3repE0EEENS1_30default_config_static_selectorELNS0_4arch9wavefront6targetE0EEEvSZ_,comdat
.Lfunc_end1934:
	.size	_ZN7rocprim17ROCPRIM_400000_NS6detail17trampoline_kernelINS0_13select_configILj256ELj13ELNS0_17block_load_methodE3ELS4_3ELS4_3ELNS0_20block_scan_algorithmE0ELj4294967295EEENS1_25partition_config_selectorILNS1_17partition_subalgoE3EjNS0_10empty_typeEbEEZZNS1_14partition_implILS8_3ELb0ES6_jNS0_17counting_iteratorIjlEEPS9_SE_NS0_5tupleIJPjSE_EEENSF_IJSE_SE_EEES9_SG_JZNS1_25segmented_radix_sort_implINS0_14default_configELb1EPK12hip_bfloat16PSL_PKlPlN2at6native12_GLOBAL__N_18offset_tEEE10hipError_tPvRmT1_PNSt15iterator_traitsISZ_E10value_typeET2_T3_PNS10_IS15_E10value_typeET4_jRbjT5_S1B_jjP12ihipStream_tbEUljE_EEESW_SX_SY_S15_S19_S1B_T6_T7_T9_mT8_S1D_bDpT10_ENKUlT_T0_E_clISt17integral_constantIbLb1EES1P_IbLb0EEEEDaS1L_S1M_EUlS1L_E_NS1_11comp_targetILNS1_3genE2ELNS1_11target_archE906ELNS1_3gpuE6ELNS1_3repE0EEENS1_30default_config_static_selectorELNS0_4arch9wavefront6targetE0EEEvSZ_, .Lfunc_end1934-_ZN7rocprim17ROCPRIM_400000_NS6detail17trampoline_kernelINS0_13select_configILj256ELj13ELNS0_17block_load_methodE3ELS4_3ELS4_3ELNS0_20block_scan_algorithmE0ELj4294967295EEENS1_25partition_config_selectorILNS1_17partition_subalgoE3EjNS0_10empty_typeEbEEZZNS1_14partition_implILS8_3ELb0ES6_jNS0_17counting_iteratorIjlEEPS9_SE_NS0_5tupleIJPjSE_EEENSF_IJSE_SE_EEES9_SG_JZNS1_25segmented_radix_sort_implINS0_14default_configELb1EPK12hip_bfloat16PSL_PKlPlN2at6native12_GLOBAL__N_18offset_tEEE10hipError_tPvRmT1_PNSt15iterator_traitsISZ_E10value_typeET2_T3_PNS10_IS15_E10value_typeET4_jRbjT5_S1B_jjP12ihipStream_tbEUljE_EEESW_SX_SY_S15_S19_S1B_T6_T7_T9_mT8_S1D_bDpT10_ENKUlT_T0_E_clISt17integral_constantIbLb1EES1P_IbLb0EEEEDaS1L_S1M_EUlS1L_E_NS1_11comp_targetILNS1_3genE2ELNS1_11target_archE906ELNS1_3gpuE6ELNS1_3repE0EEENS1_30default_config_static_selectorELNS0_4arch9wavefront6targetE0EEEvSZ_
                                        ; -- End function
	.section	.AMDGPU.csdata,"",@progbits
; Kernel info:
; codeLenInByte = 0
; NumSgprs: 0
; NumVgprs: 0
; ScratchSize: 0
; MemoryBound: 0
; FloatMode: 240
; IeeeMode: 1
; LDSByteSize: 0 bytes/workgroup (compile time only)
; SGPRBlocks: 0
; VGPRBlocks: 0
; NumSGPRsForWavesPerEU: 1
; NumVGPRsForWavesPerEU: 1
; Occupancy: 16
; WaveLimiterHint : 0
; COMPUTE_PGM_RSRC2:SCRATCH_EN: 0
; COMPUTE_PGM_RSRC2:USER_SGPR: 15
; COMPUTE_PGM_RSRC2:TRAP_HANDLER: 0
; COMPUTE_PGM_RSRC2:TGID_X_EN: 1
; COMPUTE_PGM_RSRC2:TGID_Y_EN: 0
; COMPUTE_PGM_RSRC2:TGID_Z_EN: 0
; COMPUTE_PGM_RSRC2:TIDIG_COMP_CNT: 0
	.section	.text._ZN7rocprim17ROCPRIM_400000_NS6detail17trampoline_kernelINS0_13select_configILj256ELj13ELNS0_17block_load_methodE3ELS4_3ELS4_3ELNS0_20block_scan_algorithmE0ELj4294967295EEENS1_25partition_config_selectorILNS1_17partition_subalgoE3EjNS0_10empty_typeEbEEZZNS1_14partition_implILS8_3ELb0ES6_jNS0_17counting_iteratorIjlEEPS9_SE_NS0_5tupleIJPjSE_EEENSF_IJSE_SE_EEES9_SG_JZNS1_25segmented_radix_sort_implINS0_14default_configELb1EPK12hip_bfloat16PSL_PKlPlN2at6native12_GLOBAL__N_18offset_tEEE10hipError_tPvRmT1_PNSt15iterator_traitsISZ_E10value_typeET2_T3_PNS10_IS15_E10value_typeET4_jRbjT5_S1B_jjP12ihipStream_tbEUljE_EEESW_SX_SY_S15_S19_S1B_T6_T7_T9_mT8_S1D_bDpT10_ENKUlT_T0_E_clISt17integral_constantIbLb1EES1P_IbLb0EEEEDaS1L_S1M_EUlS1L_E_NS1_11comp_targetILNS1_3genE10ELNS1_11target_archE1200ELNS1_3gpuE4ELNS1_3repE0EEENS1_30default_config_static_selectorELNS0_4arch9wavefront6targetE0EEEvSZ_,"axG",@progbits,_ZN7rocprim17ROCPRIM_400000_NS6detail17trampoline_kernelINS0_13select_configILj256ELj13ELNS0_17block_load_methodE3ELS4_3ELS4_3ELNS0_20block_scan_algorithmE0ELj4294967295EEENS1_25partition_config_selectorILNS1_17partition_subalgoE3EjNS0_10empty_typeEbEEZZNS1_14partition_implILS8_3ELb0ES6_jNS0_17counting_iteratorIjlEEPS9_SE_NS0_5tupleIJPjSE_EEENSF_IJSE_SE_EEES9_SG_JZNS1_25segmented_radix_sort_implINS0_14default_configELb1EPK12hip_bfloat16PSL_PKlPlN2at6native12_GLOBAL__N_18offset_tEEE10hipError_tPvRmT1_PNSt15iterator_traitsISZ_E10value_typeET2_T3_PNS10_IS15_E10value_typeET4_jRbjT5_S1B_jjP12ihipStream_tbEUljE_EEESW_SX_SY_S15_S19_S1B_T6_T7_T9_mT8_S1D_bDpT10_ENKUlT_T0_E_clISt17integral_constantIbLb1EES1P_IbLb0EEEEDaS1L_S1M_EUlS1L_E_NS1_11comp_targetILNS1_3genE10ELNS1_11target_archE1200ELNS1_3gpuE4ELNS1_3repE0EEENS1_30default_config_static_selectorELNS0_4arch9wavefront6targetE0EEEvSZ_,comdat
	.globl	_ZN7rocprim17ROCPRIM_400000_NS6detail17trampoline_kernelINS0_13select_configILj256ELj13ELNS0_17block_load_methodE3ELS4_3ELS4_3ELNS0_20block_scan_algorithmE0ELj4294967295EEENS1_25partition_config_selectorILNS1_17partition_subalgoE3EjNS0_10empty_typeEbEEZZNS1_14partition_implILS8_3ELb0ES6_jNS0_17counting_iteratorIjlEEPS9_SE_NS0_5tupleIJPjSE_EEENSF_IJSE_SE_EEES9_SG_JZNS1_25segmented_radix_sort_implINS0_14default_configELb1EPK12hip_bfloat16PSL_PKlPlN2at6native12_GLOBAL__N_18offset_tEEE10hipError_tPvRmT1_PNSt15iterator_traitsISZ_E10value_typeET2_T3_PNS10_IS15_E10value_typeET4_jRbjT5_S1B_jjP12ihipStream_tbEUljE_EEESW_SX_SY_S15_S19_S1B_T6_T7_T9_mT8_S1D_bDpT10_ENKUlT_T0_E_clISt17integral_constantIbLb1EES1P_IbLb0EEEEDaS1L_S1M_EUlS1L_E_NS1_11comp_targetILNS1_3genE10ELNS1_11target_archE1200ELNS1_3gpuE4ELNS1_3repE0EEENS1_30default_config_static_selectorELNS0_4arch9wavefront6targetE0EEEvSZ_ ; -- Begin function _ZN7rocprim17ROCPRIM_400000_NS6detail17trampoline_kernelINS0_13select_configILj256ELj13ELNS0_17block_load_methodE3ELS4_3ELS4_3ELNS0_20block_scan_algorithmE0ELj4294967295EEENS1_25partition_config_selectorILNS1_17partition_subalgoE3EjNS0_10empty_typeEbEEZZNS1_14partition_implILS8_3ELb0ES6_jNS0_17counting_iteratorIjlEEPS9_SE_NS0_5tupleIJPjSE_EEENSF_IJSE_SE_EEES9_SG_JZNS1_25segmented_radix_sort_implINS0_14default_configELb1EPK12hip_bfloat16PSL_PKlPlN2at6native12_GLOBAL__N_18offset_tEEE10hipError_tPvRmT1_PNSt15iterator_traitsISZ_E10value_typeET2_T3_PNS10_IS15_E10value_typeET4_jRbjT5_S1B_jjP12ihipStream_tbEUljE_EEESW_SX_SY_S15_S19_S1B_T6_T7_T9_mT8_S1D_bDpT10_ENKUlT_T0_E_clISt17integral_constantIbLb1EES1P_IbLb0EEEEDaS1L_S1M_EUlS1L_E_NS1_11comp_targetILNS1_3genE10ELNS1_11target_archE1200ELNS1_3gpuE4ELNS1_3repE0EEENS1_30default_config_static_selectorELNS0_4arch9wavefront6targetE0EEEvSZ_
	.p2align	8
	.type	_ZN7rocprim17ROCPRIM_400000_NS6detail17trampoline_kernelINS0_13select_configILj256ELj13ELNS0_17block_load_methodE3ELS4_3ELS4_3ELNS0_20block_scan_algorithmE0ELj4294967295EEENS1_25partition_config_selectorILNS1_17partition_subalgoE3EjNS0_10empty_typeEbEEZZNS1_14partition_implILS8_3ELb0ES6_jNS0_17counting_iteratorIjlEEPS9_SE_NS0_5tupleIJPjSE_EEENSF_IJSE_SE_EEES9_SG_JZNS1_25segmented_radix_sort_implINS0_14default_configELb1EPK12hip_bfloat16PSL_PKlPlN2at6native12_GLOBAL__N_18offset_tEEE10hipError_tPvRmT1_PNSt15iterator_traitsISZ_E10value_typeET2_T3_PNS10_IS15_E10value_typeET4_jRbjT5_S1B_jjP12ihipStream_tbEUljE_EEESW_SX_SY_S15_S19_S1B_T6_T7_T9_mT8_S1D_bDpT10_ENKUlT_T0_E_clISt17integral_constantIbLb1EES1P_IbLb0EEEEDaS1L_S1M_EUlS1L_E_NS1_11comp_targetILNS1_3genE10ELNS1_11target_archE1200ELNS1_3gpuE4ELNS1_3repE0EEENS1_30default_config_static_selectorELNS0_4arch9wavefront6targetE0EEEvSZ_,@function
_ZN7rocprim17ROCPRIM_400000_NS6detail17trampoline_kernelINS0_13select_configILj256ELj13ELNS0_17block_load_methodE3ELS4_3ELS4_3ELNS0_20block_scan_algorithmE0ELj4294967295EEENS1_25partition_config_selectorILNS1_17partition_subalgoE3EjNS0_10empty_typeEbEEZZNS1_14partition_implILS8_3ELb0ES6_jNS0_17counting_iteratorIjlEEPS9_SE_NS0_5tupleIJPjSE_EEENSF_IJSE_SE_EEES9_SG_JZNS1_25segmented_radix_sort_implINS0_14default_configELb1EPK12hip_bfloat16PSL_PKlPlN2at6native12_GLOBAL__N_18offset_tEEE10hipError_tPvRmT1_PNSt15iterator_traitsISZ_E10value_typeET2_T3_PNS10_IS15_E10value_typeET4_jRbjT5_S1B_jjP12ihipStream_tbEUljE_EEESW_SX_SY_S15_S19_S1B_T6_T7_T9_mT8_S1D_bDpT10_ENKUlT_T0_E_clISt17integral_constantIbLb1EES1P_IbLb0EEEEDaS1L_S1M_EUlS1L_E_NS1_11comp_targetILNS1_3genE10ELNS1_11target_archE1200ELNS1_3gpuE4ELNS1_3repE0EEENS1_30default_config_static_selectorELNS0_4arch9wavefront6targetE0EEEvSZ_: ; @_ZN7rocprim17ROCPRIM_400000_NS6detail17trampoline_kernelINS0_13select_configILj256ELj13ELNS0_17block_load_methodE3ELS4_3ELS4_3ELNS0_20block_scan_algorithmE0ELj4294967295EEENS1_25partition_config_selectorILNS1_17partition_subalgoE3EjNS0_10empty_typeEbEEZZNS1_14partition_implILS8_3ELb0ES6_jNS0_17counting_iteratorIjlEEPS9_SE_NS0_5tupleIJPjSE_EEENSF_IJSE_SE_EEES9_SG_JZNS1_25segmented_radix_sort_implINS0_14default_configELb1EPK12hip_bfloat16PSL_PKlPlN2at6native12_GLOBAL__N_18offset_tEEE10hipError_tPvRmT1_PNSt15iterator_traitsISZ_E10value_typeET2_T3_PNS10_IS15_E10value_typeET4_jRbjT5_S1B_jjP12ihipStream_tbEUljE_EEESW_SX_SY_S15_S19_S1B_T6_T7_T9_mT8_S1D_bDpT10_ENKUlT_T0_E_clISt17integral_constantIbLb1EES1P_IbLb0EEEEDaS1L_S1M_EUlS1L_E_NS1_11comp_targetILNS1_3genE10ELNS1_11target_archE1200ELNS1_3gpuE4ELNS1_3repE0EEENS1_30default_config_static_selectorELNS0_4arch9wavefront6targetE0EEEvSZ_
; %bb.0:
	.section	.rodata,"a",@progbits
	.p2align	6, 0x0
	.amdhsa_kernel _ZN7rocprim17ROCPRIM_400000_NS6detail17trampoline_kernelINS0_13select_configILj256ELj13ELNS0_17block_load_methodE3ELS4_3ELS4_3ELNS0_20block_scan_algorithmE0ELj4294967295EEENS1_25partition_config_selectorILNS1_17partition_subalgoE3EjNS0_10empty_typeEbEEZZNS1_14partition_implILS8_3ELb0ES6_jNS0_17counting_iteratorIjlEEPS9_SE_NS0_5tupleIJPjSE_EEENSF_IJSE_SE_EEES9_SG_JZNS1_25segmented_radix_sort_implINS0_14default_configELb1EPK12hip_bfloat16PSL_PKlPlN2at6native12_GLOBAL__N_18offset_tEEE10hipError_tPvRmT1_PNSt15iterator_traitsISZ_E10value_typeET2_T3_PNS10_IS15_E10value_typeET4_jRbjT5_S1B_jjP12ihipStream_tbEUljE_EEESW_SX_SY_S15_S19_S1B_T6_T7_T9_mT8_S1D_bDpT10_ENKUlT_T0_E_clISt17integral_constantIbLb1EES1P_IbLb0EEEEDaS1L_S1M_EUlS1L_E_NS1_11comp_targetILNS1_3genE10ELNS1_11target_archE1200ELNS1_3gpuE4ELNS1_3repE0EEENS1_30default_config_static_selectorELNS0_4arch9wavefront6targetE0EEEvSZ_
		.amdhsa_group_segment_fixed_size 0
		.amdhsa_private_segment_fixed_size 0
		.amdhsa_kernarg_size 144
		.amdhsa_user_sgpr_count 15
		.amdhsa_user_sgpr_dispatch_ptr 0
		.amdhsa_user_sgpr_queue_ptr 0
		.amdhsa_user_sgpr_kernarg_segment_ptr 1
		.amdhsa_user_sgpr_dispatch_id 0
		.amdhsa_user_sgpr_private_segment_size 0
		.amdhsa_wavefront_size32 1
		.amdhsa_uses_dynamic_stack 0
		.amdhsa_enable_private_segment 0
		.amdhsa_system_sgpr_workgroup_id_x 1
		.amdhsa_system_sgpr_workgroup_id_y 0
		.amdhsa_system_sgpr_workgroup_id_z 0
		.amdhsa_system_sgpr_workgroup_info 0
		.amdhsa_system_vgpr_workitem_id 0
		.amdhsa_next_free_vgpr 1
		.amdhsa_next_free_sgpr 1
		.amdhsa_reserve_vcc 0
		.amdhsa_float_round_mode_32 0
		.amdhsa_float_round_mode_16_64 0
		.amdhsa_float_denorm_mode_32 3
		.amdhsa_float_denorm_mode_16_64 3
		.amdhsa_dx10_clamp 1
		.amdhsa_ieee_mode 1
		.amdhsa_fp16_overflow 0
		.amdhsa_workgroup_processor_mode 1
		.amdhsa_memory_ordered 1
		.amdhsa_forward_progress 0
		.amdhsa_shared_vgpr_count 0
		.amdhsa_exception_fp_ieee_invalid_op 0
		.amdhsa_exception_fp_denorm_src 0
		.amdhsa_exception_fp_ieee_div_zero 0
		.amdhsa_exception_fp_ieee_overflow 0
		.amdhsa_exception_fp_ieee_underflow 0
		.amdhsa_exception_fp_ieee_inexact 0
		.amdhsa_exception_int_div_zero 0
	.end_amdhsa_kernel
	.section	.text._ZN7rocprim17ROCPRIM_400000_NS6detail17trampoline_kernelINS0_13select_configILj256ELj13ELNS0_17block_load_methodE3ELS4_3ELS4_3ELNS0_20block_scan_algorithmE0ELj4294967295EEENS1_25partition_config_selectorILNS1_17partition_subalgoE3EjNS0_10empty_typeEbEEZZNS1_14partition_implILS8_3ELb0ES6_jNS0_17counting_iteratorIjlEEPS9_SE_NS0_5tupleIJPjSE_EEENSF_IJSE_SE_EEES9_SG_JZNS1_25segmented_radix_sort_implINS0_14default_configELb1EPK12hip_bfloat16PSL_PKlPlN2at6native12_GLOBAL__N_18offset_tEEE10hipError_tPvRmT1_PNSt15iterator_traitsISZ_E10value_typeET2_T3_PNS10_IS15_E10value_typeET4_jRbjT5_S1B_jjP12ihipStream_tbEUljE_EEESW_SX_SY_S15_S19_S1B_T6_T7_T9_mT8_S1D_bDpT10_ENKUlT_T0_E_clISt17integral_constantIbLb1EES1P_IbLb0EEEEDaS1L_S1M_EUlS1L_E_NS1_11comp_targetILNS1_3genE10ELNS1_11target_archE1200ELNS1_3gpuE4ELNS1_3repE0EEENS1_30default_config_static_selectorELNS0_4arch9wavefront6targetE0EEEvSZ_,"axG",@progbits,_ZN7rocprim17ROCPRIM_400000_NS6detail17trampoline_kernelINS0_13select_configILj256ELj13ELNS0_17block_load_methodE3ELS4_3ELS4_3ELNS0_20block_scan_algorithmE0ELj4294967295EEENS1_25partition_config_selectorILNS1_17partition_subalgoE3EjNS0_10empty_typeEbEEZZNS1_14partition_implILS8_3ELb0ES6_jNS0_17counting_iteratorIjlEEPS9_SE_NS0_5tupleIJPjSE_EEENSF_IJSE_SE_EEES9_SG_JZNS1_25segmented_radix_sort_implINS0_14default_configELb1EPK12hip_bfloat16PSL_PKlPlN2at6native12_GLOBAL__N_18offset_tEEE10hipError_tPvRmT1_PNSt15iterator_traitsISZ_E10value_typeET2_T3_PNS10_IS15_E10value_typeET4_jRbjT5_S1B_jjP12ihipStream_tbEUljE_EEESW_SX_SY_S15_S19_S1B_T6_T7_T9_mT8_S1D_bDpT10_ENKUlT_T0_E_clISt17integral_constantIbLb1EES1P_IbLb0EEEEDaS1L_S1M_EUlS1L_E_NS1_11comp_targetILNS1_3genE10ELNS1_11target_archE1200ELNS1_3gpuE4ELNS1_3repE0EEENS1_30default_config_static_selectorELNS0_4arch9wavefront6targetE0EEEvSZ_,comdat
.Lfunc_end1935:
	.size	_ZN7rocprim17ROCPRIM_400000_NS6detail17trampoline_kernelINS0_13select_configILj256ELj13ELNS0_17block_load_methodE3ELS4_3ELS4_3ELNS0_20block_scan_algorithmE0ELj4294967295EEENS1_25partition_config_selectorILNS1_17partition_subalgoE3EjNS0_10empty_typeEbEEZZNS1_14partition_implILS8_3ELb0ES6_jNS0_17counting_iteratorIjlEEPS9_SE_NS0_5tupleIJPjSE_EEENSF_IJSE_SE_EEES9_SG_JZNS1_25segmented_radix_sort_implINS0_14default_configELb1EPK12hip_bfloat16PSL_PKlPlN2at6native12_GLOBAL__N_18offset_tEEE10hipError_tPvRmT1_PNSt15iterator_traitsISZ_E10value_typeET2_T3_PNS10_IS15_E10value_typeET4_jRbjT5_S1B_jjP12ihipStream_tbEUljE_EEESW_SX_SY_S15_S19_S1B_T6_T7_T9_mT8_S1D_bDpT10_ENKUlT_T0_E_clISt17integral_constantIbLb1EES1P_IbLb0EEEEDaS1L_S1M_EUlS1L_E_NS1_11comp_targetILNS1_3genE10ELNS1_11target_archE1200ELNS1_3gpuE4ELNS1_3repE0EEENS1_30default_config_static_selectorELNS0_4arch9wavefront6targetE0EEEvSZ_, .Lfunc_end1935-_ZN7rocprim17ROCPRIM_400000_NS6detail17trampoline_kernelINS0_13select_configILj256ELj13ELNS0_17block_load_methodE3ELS4_3ELS4_3ELNS0_20block_scan_algorithmE0ELj4294967295EEENS1_25partition_config_selectorILNS1_17partition_subalgoE3EjNS0_10empty_typeEbEEZZNS1_14partition_implILS8_3ELb0ES6_jNS0_17counting_iteratorIjlEEPS9_SE_NS0_5tupleIJPjSE_EEENSF_IJSE_SE_EEES9_SG_JZNS1_25segmented_radix_sort_implINS0_14default_configELb1EPK12hip_bfloat16PSL_PKlPlN2at6native12_GLOBAL__N_18offset_tEEE10hipError_tPvRmT1_PNSt15iterator_traitsISZ_E10value_typeET2_T3_PNS10_IS15_E10value_typeET4_jRbjT5_S1B_jjP12ihipStream_tbEUljE_EEESW_SX_SY_S15_S19_S1B_T6_T7_T9_mT8_S1D_bDpT10_ENKUlT_T0_E_clISt17integral_constantIbLb1EES1P_IbLb0EEEEDaS1L_S1M_EUlS1L_E_NS1_11comp_targetILNS1_3genE10ELNS1_11target_archE1200ELNS1_3gpuE4ELNS1_3repE0EEENS1_30default_config_static_selectorELNS0_4arch9wavefront6targetE0EEEvSZ_
                                        ; -- End function
	.section	.AMDGPU.csdata,"",@progbits
; Kernel info:
; codeLenInByte = 0
; NumSgprs: 0
; NumVgprs: 0
; ScratchSize: 0
; MemoryBound: 0
; FloatMode: 240
; IeeeMode: 1
; LDSByteSize: 0 bytes/workgroup (compile time only)
; SGPRBlocks: 0
; VGPRBlocks: 0
; NumSGPRsForWavesPerEU: 1
; NumVGPRsForWavesPerEU: 1
; Occupancy: 16
; WaveLimiterHint : 0
; COMPUTE_PGM_RSRC2:SCRATCH_EN: 0
; COMPUTE_PGM_RSRC2:USER_SGPR: 15
; COMPUTE_PGM_RSRC2:TRAP_HANDLER: 0
; COMPUTE_PGM_RSRC2:TGID_X_EN: 1
; COMPUTE_PGM_RSRC2:TGID_Y_EN: 0
; COMPUTE_PGM_RSRC2:TGID_Z_EN: 0
; COMPUTE_PGM_RSRC2:TIDIG_COMP_CNT: 0
	.section	.text._ZN7rocprim17ROCPRIM_400000_NS6detail17trampoline_kernelINS0_13select_configILj256ELj13ELNS0_17block_load_methodE3ELS4_3ELS4_3ELNS0_20block_scan_algorithmE0ELj4294967295EEENS1_25partition_config_selectorILNS1_17partition_subalgoE3EjNS0_10empty_typeEbEEZZNS1_14partition_implILS8_3ELb0ES6_jNS0_17counting_iteratorIjlEEPS9_SE_NS0_5tupleIJPjSE_EEENSF_IJSE_SE_EEES9_SG_JZNS1_25segmented_radix_sort_implINS0_14default_configELb1EPK12hip_bfloat16PSL_PKlPlN2at6native12_GLOBAL__N_18offset_tEEE10hipError_tPvRmT1_PNSt15iterator_traitsISZ_E10value_typeET2_T3_PNS10_IS15_E10value_typeET4_jRbjT5_S1B_jjP12ihipStream_tbEUljE_EEESW_SX_SY_S15_S19_S1B_T6_T7_T9_mT8_S1D_bDpT10_ENKUlT_T0_E_clISt17integral_constantIbLb1EES1P_IbLb0EEEEDaS1L_S1M_EUlS1L_E_NS1_11comp_targetILNS1_3genE9ELNS1_11target_archE1100ELNS1_3gpuE3ELNS1_3repE0EEENS1_30default_config_static_selectorELNS0_4arch9wavefront6targetE0EEEvSZ_,"axG",@progbits,_ZN7rocprim17ROCPRIM_400000_NS6detail17trampoline_kernelINS0_13select_configILj256ELj13ELNS0_17block_load_methodE3ELS4_3ELS4_3ELNS0_20block_scan_algorithmE0ELj4294967295EEENS1_25partition_config_selectorILNS1_17partition_subalgoE3EjNS0_10empty_typeEbEEZZNS1_14partition_implILS8_3ELb0ES6_jNS0_17counting_iteratorIjlEEPS9_SE_NS0_5tupleIJPjSE_EEENSF_IJSE_SE_EEES9_SG_JZNS1_25segmented_radix_sort_implINS0_14default_configELb1EPK12hip_bfloat16PSL_PKlPlN2at6native12_GLOBAL__N_18offset_tEEE10hipError_tPvRmT1_PNSt15iterator_traitsISZ_E10value_typeET2_T3_PNS10_IS15_E10value_typeET4_jRbjT5_S1B_jjP12ihipStream_tbEUljE_EEESW_SX_SY_S15_S19_S1B_T6_T7_T9_mT8_S1D_bDpT10_ENKUlT_T0_E_clISt17integral_constantIbLb1EES1P_IbLb0EEEEDaS1L_S1M_EUlS1L_E_NS1_11comp_targetILNS1_3genE9ELNS1_11target_archE1100ELNS1_3gpuE3ELNS1_3repE0EEENS1_30default_config_static_selectorELNS0_4arch9wavefront6targetE0EEEvSZ_,comdat
	.globl	_ZN7rocprim17ROCPRIM_400000_NS6detail17trampoline_kernelINS0_13select_configILj256ELj13ELNS0_17block_load_methodE3ELS4_3ELS4_3ELNS0_20block_scan_algorithmE0ELj4294967295EEENS1_25partition_config_selectorILNS1_17partition_subalgoE3EjNS0_10empty_typeEbEEZZNS1_14partition_implILS8_3ELb0ES6_jNS0_17counting_iteratorIjlEEPS9_SE_NS0_5tupleIJPjSE_EEENSF_IJSE_SE_EEES9_SG_JZNS1_25segmented_radix_sort_implINS0_14default_configELb1EPK12hip_bfloat16PSL_PKlPlN2at6native12_GLOBAL__N_18offset_tEEE10hipError_tPvRmT1_PNSt15iterator_traitsISZ_E10value_typeET2_T3_PNS10_IS15_E10value_typeET4_jRbjT5_S1B_jjP12ihipStream_tbEUljE_EEESW_SX_SY_S15_S19_S1B_T6_T7_T9_mT8_S1D_bDpT10_ENKUlT_T0_E_clISt17integral_constantIbLb1EES1P_IbLb0EEEEDaS1L_S1M_EUlS1L_E_NS1_11comp_targetILNS1_3genE9ELNS1_11target_archE1100ELNS1_3gpuE3ELNS1_3repE0EEENS1_30default_config_static_selectorELNS0_4arch9wavefront6targetE0EEEvSZ_ ; -- Begin function _ZN7rocprim17ROCPRIM_400000_NS6detail17trampoline_kernelINS0_13select_configILj256ELj13ELNS0_17block_load_methodE3ELS4_3ELS4_3ELNS0_20block_scan_algorithmE0ELj4294967295EEENS1_25partition_config_selectorILNS1_17partition_subalgoE3EjNS0_10empty_typeEbEEZZNS1_14partition_implILS8_3ELb0ES6_jNS0_17counting_iteratorIjlEEPS9_SE_NS0_5tupleIJPjSE_EEENSF_IJSE_SE_EEES9_SG_JZNS1_25segmented_radix_sort_implINS0_14default_configELb1EPK12hip_bfloat16PSL_PKlPlN2at6native12_GLOBAL__N_18offset_tEEE10hipError_tPvRmT1_PNSt15iterator_traitsISZ_E10value_typeET2_T3_PNS10_IS15_E10value_typeET4_jRbjT5_S1B_jjP12ihipStream_tbEUljE_EEESW_SX_SY_S15_S19_S1B_T6_T7_T9_mT8_S1D_bDpT10_ENKUlT_T0_E_clISt17integral_constantIbLb1EES1P_IbLb0EEEEDaS1L_S1M_EUlS1L_E_NS1_11comp_targetILNS1_3genE9ELNS1_11target_archE1100ELNS1_3gpuE3ELNS1_3repE0EEENS1_30default_config_static_selectorELNS0_4arch9wavefront6targetE0EEEvSZ_
	.p2align	8
	.type	_ZN7rocprim17ROCPRIM_400000_NS6detail17trampoline_kernelINS0_13select_configILj256ELj13ELNS0_17block_load_methodE3ELS4_3ELS4_3ELNS0_20block_scan_algorithmE0ELj4294967295EEENS1_25partition_config_selectorILNS1_17partition_subalgoE3EjNS0_10empty_typeEbEEZZNS1_14partition_implILS8_3ELb0ES6_jNS0_17counting_iteratorIjlEEPS9_SE_NS0_5tupleIJPjSE_EEENSF_IJSE_SE_EEES9_SG_JZNS1_25segmented_radix_sort_implINS0_14default_configELb1EPK12hip_bfloat16PSL_PKlPlN2at6native12_GLOBAL__N_18offset_tEEE10hipError_tPvRmT1_PNSt15iterator_traitsISZ_E10value_typeET2_T3_PNS10_IS15_E10value_typeET4_jRbjT5_S1B_jjP12ihipStream_tbEUljE_EEESW_SX_SY_S15_S19_S1B_T6_T7_T9_mT8_S1D_bDpT10_ENKUlT_T0_E_clISt17integral_constantIbLb1EES1P_IbLb0EEEEDaS1L_S1M_EUlS1L_E_NS1_11comp_targetILNS1_3genE9ELNS1_11target_archE1100ELNS1_3gpuE3ELNS1_3repE0EEENS1_30default_config_static_selectorELNS0_4arch9wavefront6targetE0EEEvSZ_,@function
_ZN7rocprim17ROCPRIM_400000_NS6detail17trampoline_kernelINS0_13select_configILj256ELj13ELNS0_17block_load_methodE3ELS4_3ELS4_3ELNS0_20block_scan_algorithmE0ELj4294967295EEENS1_25partition_config_selectorILNS1_17partition_subalgoE3EjNS0_10empty_typeEbEEZZNS1_14partition_implILS8_3ELb0ES6_jNS0_17counting_iteratorIjlEEPS9_SE_NS0_5tupleIJPjSE_EEENSF_IJSE_SE_EEES9_SG_JZNS1_25segmented_radix_sort_implINS0_14default_configELb1EPK12hip_bfloat16PSL_PKlPlN2at6native12_GLOBAL__N_18offset_tEEE10hipError_tPvRmT1_PNSt15iterator_traitsISZ_E10value_typeET2_T3_PNS10_IS15_E10value_typeET4_jRbjT5_S1B_jjP12ihipStream_tbEUljE_EEESW_SX_SY_S15_S19_S1B_T6_T7_T9_mT8_S1D_bDpT10_ENKUlT_T0_E_clISt17integral_constantIbLb1EES1P_IbLb0EEEEDaS1L_S1M_EUlS1L_E_NS1_11comp_targetILNS1_3genE9ELNS1_11target_archE1100ELNS1_3gpuE3ELNS1_3repE0EEENS1_30default_config_static_selectorELNS0_4arch9wavefront6targetE0EEEvSZ_: ; @_ZN7rocprim17ROCPRIM_400000_NS6detail17trampoline_kernelINS0_13select_configILj256ELj13ELNS0_17block_load_methodE3ELS4_3ELS4_3ELNS0_20block_scan_algorithmE0ELj4294967295EEENS1_25partition_config_selectorILNS1_17partition_subalgoE3EjNS0_10empty_typeEbEEZZNS1_14partition_implILS8_3ELb0ES6_jNS0_17counting_iteratorIjlEEPS9_SE_NS0_5tupleIJPjSE_EEENSF_IJSE_SE_EEES9_SG_JZNS1_25segmented_radix_sort_implINS0_14default_configELb1EPK12hip_bfloat16PSL_PKlPlN2at6native12_GLOBAL__N_18offset_tEEE10hipError_tPvRmT1_PNSt15iterator_traitsISZ_E10value_typeET2_T3_PNS10_IS15_E10value_typeET4_jRbjT5_S1B_jjP12ihipStream_tbEUljE_EEESW_SX_SY_S15_S19_S1B_T6_T7_T9_mT8_S1D_bDpT10_ENKUlT_T0_E_clISt17integral_constantIbLb1EES1P_IbLb0EEEEDaS1L_S1M_EUlS1L_E_NS1_11comp_targetILNS1_3genE9ELNS1_11target_archE1100ELNS1_3gpuE3ELNS1_3repE0EEENS1_30default_config_static_selectorELNS0_4arch9wavefront6targetE0EEEvSZ_
; %bb.0:
	s_clause 0x5
	s_load_b32 s2, s[0:1], 0x70
	s_load_b64 s[16:17], s[0:1], 0x10
	s_load_b64 s[12:13], s[0:1], 0x58
	s_load_b32 s18, s[0:1], 0x8
	s_load_b128 s[8:11], s[0:1], 0x48
	s_load_b128 s[4:7], s[0:1], 0x78
	s_mul_i32 s23, s15, 0xd00
	v_lshlrev_b32_e32 v30, 2, v0
	s_waitcnt lgkmcnt(0)
	s_mul_i32 s20, s2, 0xd00
	s_add_i32 s19, s2, -1
	s_add_u32 s2, s16, s20
	s_addc_u32 s3, s17, 0
	s_cmp_eq_u32 s15, s19
	v_cmp_lt_u64_e64 s3, s[2:3], s[12:13]
	s_cselect_b32 s14, -1, 0
	s_cmp_lg_u32 s15, s19
	s_cselect_b32 s21, -1, 0
	s_add_i32 s2, s18, s23
	s_delay_alu instid0(VALU_DEP_1)
	s_or_b32 s3, s21, s3
	s_add_i32 s18, s2, s16
	s_load_b32 s2, s[0:1], 0x88
	v_add_nc_u32_e32 v1, s18, v0
	s_load_b64 s[18:19], s[10:11], 0x0
	s_and_b32 vcc_lo, exec_lo, s3
	s_mov_b32 s10, -1
	s_delay_alu instid0(VALU_DEP_1)
	v_add_nc_u32_e32 v2, 0x100, v1
	v_add_nc_u32_e32 v3, 0x200, v1
	;; [unrolled: 1-line block ×12, first 2 shown]
	s_cbranch_vccz .LBB1936_2
; %bb.1:
	ds_store_2addr_stride64_b32 v30, v1, v2 offset1:4
	ds_store_2addr_stride64_b32 v30, v3, v4 offset0:8 offset1:12
	ds_store_2addr_stride64_b32 v30, v5, v6 offset0:16 offset1:20
	;; [unrolled: 1-line block ×5, first 2 shown]
	ds_store_b32 v30, v13 offset:12288
	s_waitcnt lgkmcnt(0)
	s_mov_b32 s10, 0
	s_barrier
.LBB1936_2:
	s_and_not1_b32 vcc_lo, exec_lo, s10
	s_add_i32 s20, s20, s16
	s_cbranch_vccnz .LBB1936_4
; %bb.3:
	ds_store_2addr_stride64_b32 v30, v1, v2 offset1:4
	ds_store_2addr_stride64_b32 v30, v3, v4 offset0:8 offset1:12
	ds_store_2addr_stride64_b32 v30, v5, v6 offset0:16 offset1:20
	;; [unrolled: 1-line block ×5, first 2 shown]
	ds_store_b32 v30, v13 offset:12288
	s_waitcnt lgkmcnt(0)
	s_barrier
.LBB1936_4:
	v_mul_u32_u24_e32 v33, 13, v0
	s_waitcnt lgkmcnt(0)
	buffer_gl0_inv
	v_cndmask_b32_e64 v31, 0, 1, s3
	s_sub_i32 s22, s12, s20
	s_and_not1_b32 vcc_lo, exec_lo, s3
	v_lshlrev_b32_e32 v1, 2, v33
	ds_load_2addr_b32 v[28:29], v1 offset1:1
	ds_load_2addr_b32 v[26:27], v1 offset0:2 offset1:3
	ds_load_2addr_b32 v[24:25], v1 offset0:4 offset1:5
	;; [unrolled: 1-line block ×5, first 2 shown]
	ds_load_b32 v32, v1 offset:48
	s_waitcnt lgkmcnt(0)
	s_barrier
	buffer_gl0_inv
	s_cbranch_vccnz .LBB1936_6
; %bb.5:
	v_add_nc_u32_e32 v1, s5, v28
	v_add_nc_u32_e32 v2, s7, v28
	;; [unrolled: 1-line block ×5, first 2 shown]
	v_mul_lo_u32 v1, v1, s4
	v_mul_lo_u32 v2, v2, s6
	;; [unrolled: 1-line block ×4, first 2 shown]
	v_add_nc_u32_e32 v6, s7, v26
	v_add_nc_u32_e32 v7, s5, v27
	;; [unrolled: 1-line block ×3, first 2 shown]
	v_mul_lo_u32 v5, v5, s4
	v_add_nc_u32_e32 v9, s5, v22
	v_sub_nc_u32_e32 v1, v1, v2
	v_mul_lo_u32 v2, v6, s6
	v_sub_nc_u32_e32 v3, v3, v4
	v_mul_lo_u32 v4, v7, s4
	v_mul_lo_u32 v6, v8, s6
	v_add_nc_u32_e32 v7, s5, v24
	v_cmp_lt_u32_e32 vcc_lo, s2, v1
	v_add_nc_u32_e32 v8, s5, v25
	v_add_nc_u32_e32 v10, s7, v22
	v_sub_nc_u32_e32 v2, v5, v2
	v_add_nc_u32_e32 v5, s7, v24
	v_cndmask_b32_e64 v1, 0, 1, vcc_lo
	v_sub_nc_u32_e32 v4, v4, v6
	v_mul_lo_u32 v6, v7, s4
	v_add_nc_u32_e32 v7, s7, v25
	v_cmp_lt_u32_e32 vcc_lo, s2, v3
	v_mul_lo_u32 v5, v5, s6
	v_mul_lo_u32 v8, v8, s4
	;; [unrolled: 1-line block ×4, first 2 shown]
	v_cndmask_b32_e64 v3, 0, 1, vcc_lo
	v_cmp_lt_u32_e32 vcc_lo, s2, v2
	v_mul_lo_u32 v10, v10, s6
	v_add_nc_u32_e32 v11, s5, v20
	v_sub_nc_u32_e32 v5, v6, v5
	v_add_nc_u32_e32 v12, s7, v20
	v_cndmask_b32_e64 v2, 0, 1, vcc_lo
	v_sub_nc_u32_e32 v6, v8, v7
	v_add_nc_u32_e32 v7, s5, v23
	v_add_nc_u32_e32 v8, s7, v23
	v_cmp_lt_u32_e32 vcc_lo, s2, v4
	v_sub_nc_u32_e32 v9, v9, v10
	v_mul_lo_u32 v10, v11, s4
	v_mul_lo_u32 v7, v7, s4
	;; [unrolled: 1-line block ×4, first 2 shown]
	v_cndmask_b32_e64 v4, 0, 1, vcc_lo
	v_cmp_lt_u32_e32 vcc_lo, s2, v5
	v_add_nc_u32_e32 v12, s5, v21
	v_add_nc_u32_e32 v13, s7, v18
	;; [unrolled: 1-line block ×4, first 2 shown]
	v_cndmask_b32_e64 v5, 0, 1, vcc_lo
	v_cmp_lt_u32_e32 vcc_lo, s2, v6
	v_sub_nc_u32_e32 v7, v7, v8
	v_sub_nc_u32_e32 v8, v10, v11
	v_add_nc_u32_e32 v11, s7, v21
	v_mul_lo_u32 v10, v12, s4
	v_cndmask_b32_e64 v6, 0, 1, vcc_lo
	v_cmp_lt_u32_e32 vcc_lo, s2, v9
	v_add_nc_u32_e32 v12, s5, v18
	v_mul_lo_u32 v11, v11, s6
	v_mul_lo_u32 v13, v13, s6
	;; [unrolled: 1-line block ×3, first 2 shown]
	v_cndmask_b32_e64 v9, 0, 1, vcc_lo
	v_cmp_lt_u32_e32 vcc_lo, s2, v7
	v_mul_lo_u32 v12, v12, s4
	v_mul_lo_u32 v15, v15, s6
	v_lshlrev_b16 v3, 8, v3
	v_sub_nc_u32_e32 v10, v10, v11
	v_cndmask_b32_e64 v7, 0, 1, vcc_lo
	v_cmp_lt_u32_e32 vcc_lo, s2, v8
	v_add_nc_u32_e32 v11, s5, v32
	v_or_b32_e32 v1, v1, v3
	v_sub_nc_u32_e32 v12, v12, v13
	v_sub_nc_u32_e32 v13, v14, v15
	v_cndmask_b32_e64 v8, 0, 1, vcc_lo
	v_cmp_lt_u32_e32 vcc_lo, s2, v10
	v_add_nc_u32_e32 v16, s7, v32
	v_mul_lo_u32 v11, v11, s4
	v_lshlrev_b16 v4, 8, v4
	v_lshlrev_b16 v6, 8, v6
	v_cndmask_b32_e64 v10, 0, 1, vcc_lo
	v_cmp_lt_u32_e32 vcc_lo, s2, v12
	v_mul_lo_u32 v14, v16, s6
	v_lshlrev_b16 v7, 8, v7
	v_or_b32_e32 v2, v2, v4
	v_lshlrev_b16 v10, 8, v10
	v_cndmask_b32_e64 v3, 0, 1, vcc_lo
	v_cmp_lt_u32_e32 vcc_lo, s2, v13
	v_or_b32_e32 v4, v5, v6
	v_or_b32_e32 v5, v9, v7
	v_sub_nc_u32_e32 v11, v11, v14
	v_or_b32_e32 v6, v8, v10
	v_cndmask_b32_e64 v12, 0, 1, vcc_lo
	v_and_b32_e32 v1, 0xffff, v1
	v_lshlrev_b32_e32 v2, 16, v2
	v_and_b32_e32 v4, 0xffff, v4
	v_lshlrev_b32_e32 v5, 16, v5
	v_lshlrev_b16 v12, 8, v12
	v_and_b32_e32 v6, 0xffff, v6
	v_cmp_lt_u32_e32 vcc_lo, s2, v11
	v_or_b32_e32 v39, v1, v2
	v_or_b32_e32 v37, v4, v5
	;; [unrolled: 1-line block ×3, first 2 shown]
	s_mov_b32 s3, 0
	v_cndmask_b32_e64 v34, 0, 1, vcc_lo
	s_delay_alu instid0(VALU_DEP_2) | instskip(NEXT) | instid1(VALU_DEP_1)
	v_lshlrev_b32_e32 v3, 16, v3
	v_or_b32_e32 v35, v6, v3
	s_branch .LBB1936_7
.LBB1936_6:
	s_mov_b32 s3, -1
                                        ; implicit-def: $vgpr34
                                        ; implicit-def: $vgpr35
                                        ; implicit-def: $vgpr37
                                        ; implicit-def: $vgpr39
.LBB1936_7:
	s_clause 0x1
	s_load_b64 s[10:11], s[0:1], 0x28
	s_load_b64 s[20:21], s[0:1], 0x68
	s_and_not1_b32 vcc_lo, exec_lo, s3
	s_addk_i32 s22, 0xd00
	s_cbranch_vccnz .LBB1936_35
; %bb.8:
	v_dual_mov_b32 v2, 0 :: v_dual_mov_b32 v1, 0
	s_mov_b32 s0, exec_lo
	v_cmpx_gt_u32_e64 s22, v33
; %bb.9:
	v_add_nc_u32_e32 v1, s5, v28
	v_add_nc_u32_e32 v3, s7, v28
	s_delay_alu instid0(VALU_DEP_2) | instskip(NEXT) | instid1(VALU_DEP_2)
	v_mul_lo_u32 v1, v1, s4
	v_mul_lo_u32 v3, v3, s6
	s_delay_alu instid0(VALU_DEP_1) | instskip(NEXT) | instid1(VALU_DEP_1)
	v_sub_nc_u32_e32 v1, v1, v3
	v_cmp_lt_u32_e32 vcc_lo, s2, v1
	v_cndmask_b32_e64 v1, 0, 1, vcc_lo
; %bb.10:
	s_or_b32 exec_lo, exec_lo, s0
	v_add_nc_u32_e32 v3, 1, v33
	s_mov_b32 s0, exec_lo
	s_delay_alu instid0(VALU_DEP_1)
	v_cmpx_gt_u32_e64 s22, v3
; %bb.11:
	v_add_nc_u32_e32 v2, s5, v29
	v_add_nc_u32_e32 v3, s7, v29
	s_delay_alu instid0(VALU_DEP_2) | instskip(NEXT) | instid1(VALU_DEP_2)
	v_mul_lo_u32 v2, v2, s4
	v_mul_lo_u32 v3, v3, s6
	s_delay_alu instid0(VALU_DEP_1) | instskip(NEXT) | instid1(VALU_DEP_1)
	v_sub_nc_u32_e32 v2, v2, v3
	v_cmp_lt_u32_e32 vcc_lo, s2, v2
	v_cndmask_b32_e64 v2, 0, 1, vcc_lo
; %bb.12:
	s_or_b32 exec_lo, exec_lo, s0
	v_dual_mov_b32 v4, 0 :: v_dual_add_nc_u32 v3, 2, v33
	s_delay_alu instid0(VALU_DEP_1)
	v_cmp_gt_u32_e32 vcc_lo, s22, v3
	v_mov_b32_e32 v3, 0
	s_and_saveexec_b32 s0, vcc_lo
; %bb.13:
	v_add_nc_u32_e32 v3, s5, v26
	v_add_nc_u32_e32 v5, s7, v26
	s_delay_alu instid0(VALU_DEP_2) | instskip(NEXT) | instid1(VALU_DEP_2)
	v_mul_lo_u32 v3, v3, s4
	v_mul_lo_u32 v5, v5, s6
	s_delay_alu instid0(VALU_DEP_1) | instskip(NEXT) | instid1(VALU_DEP_1)
	v_sub_nc_u32_e32 v3, v3, v5
	v_cmp_lt_u32_e32 vcc_lo, s2, v3
	v_cndmask_b32_e64 v3, 0, 1, vcc_lo
; %bb.14:
	s_or_b32 exec_lo, exec_lo, s0
	v_add_nc_u32_e32 v5, 3, v33
	s_mov_b32 s0, exec_lo
	s_delay_alu instid0(VALU_DEP_1)
	v_cmpx_gt_u32_e64 s22, v5
; %bb.15:
	v_add_nc_u32_e32 v4, s5, v27
	v_add_nc_u32_e32 v5, s7, v27
	s_delay_alu instid0(VALU_DEP_2) | instskip(NEXT) | instid1(VALU_DEP_2)
	v_mul_lo_u32 v4, v4, s4
	v_mul_lo_u32 v5, v5, s6
	s_delay_alu instid0(VALU_DEP_1) | instskip(NEXT) | instid1(VALU_DEP_1)
	v_sub_nc_u32_e32 v4, v4, v5
	v_cmp_lt_u32_e32 vcc_lo, s2, v4
	v_cndmask_b32_e64 v4, 0, 1, vcc_lo
; %bb.16:
	s_or_b32 exec_lo, exec_lo, s0
	v_dual_mov_b32 v6, 0 :: v_dual_add_nc_u32 v5, 4, v33
	s_delay_alu instid0(VALU_DEP_1)
	v_cmp_gt_u32_e32 vcc_lo, s22, v5
	v_mov_b32_e32 v5, 0
	s_and_saveexec_b32 s0, vcc_lo
	;; [unrolled: 33-line block ×5, first 2 shown]
; %bb.29:
	v_add_nc_u32_e32 v11, s5, v18
	v_add_nc_u32_e32 v13, s7, v18
	s_delay_alu instid0(VALU_DEP_2) | instskip(NEXT) | instid1(VALU_DEP_2)
	v_mul_lo_u32 v11, v11, s4
	v_mul_lo_u32 v13, v13, s6
	s_delay_alu instid0(VALU_DEP_1) | instskip(NEXT) | instid1(VALU_DEP_1)
	v_sub_nc_u32_e32 v11, v11, v13
	v_cmp_lt_u32_e32 vcc_lo, s2, v11
	v_cndmask_b32_e64 v11, 0, 1, vcc_lo
; %bb.30:
	s_or_b32 exec_lo, exec_lo, s0
	v_add_nc_u32_e32 v13, 11, v33
	s_mov_b32 s0, exec_lo
	s_delay_alu instid0(VALU_DEP_1)
	v_cmpx_gt_u32_e64 s22, v13
; %bb.31:
	v_add_nc_u32_e32 v12, s5, v19
	v_add_nc_u32_e32 v13, s7, v19
	s_delay_alu instid0(VALU_DEP_2) | instskip(NEXT) | instid1(VALU_DEP_2)
	v_mul_lo_u32 v12, v12, s4
	v_mul_lo_u32 v13, v13, s6
	s_delay_alu instid0(VALU_DEP_1) | instskip(NEXT) | instid1(VALU_DEP_1)
	v_sub_nc_u32_e32 v12, v12, v13
	v_cmp_lt_u32_e32 vcc_lo, s2, v12
	v_cndmask_b32_e64 v12, 0, 1, vcc_lo
; %bb.32:
	s_or_b32 exec_lo, exec_lo, s0
	v_dual_mov_b32 v34, 0 :: v_dual_add_nc_u32 v13, 12, v33
	s_mov_b32 s0, exec_lo
	s_delay_alu instid0(VALU_DEP_1)
	v_cmpx_gt_u32_e64 s22, v13
; %bb.33:
	v_add_nc_u32_e32 v13, s5, v32
	v_add_nc_u32_e32 v14, s7, v32
	s_delay_alu instid0(VALU_DEP_2) | instskip(NEXT) | instid1(VALU_DEP_2)
	v_mul_lo_u32 v13, v13, s4
	v_mul_lo_u32 v14, v14, s6
	s_delay_alu instid0(VALU_DEP_1) | instskip(NEXT) | instid1(VALU_DEP_1)
	v_sub_nc_u32_e32 v13, v13, v14
	v_cmp_lt_u32_e32 vcc_lo, s2, v13
	v_cndmask_b32_e64 v34, 0, 1, vcc_lo
; %bb.34:
	s_or_b32 exec_lo, exec_lo, s0
	v_lshlrev_b16 v2, 8, v2
	v_lshlrev_b16 v4, 8, v4
	v_lshlrev_b16 v6, 8, v6
	v_lshlrev_b16 v8, 8, v8
	v_lshlrev_b16 v10, 8, v10
	v_or_b32_e32 v1, v1, v2
	v_lshlrev_b16 v2, 8, v12
	v_or_b32_e32 v3, v3, v4
	v_or_b32_e32 v4, v5, v6
	;; [unrolled: 1-line block ×5, first 2 shown]
	v_and_b32_e32 v1, 0xffff, v1
	v_lshlrev_b32_e32 v3, 16, v3
	v_and_b32_e32 v4, 0xffff, v4
	v_lshlrev_b32_e32 v5, 16, v5
	;; [unrolled: 2-line block ×3, first 2 shown]
	v_or_b32_e32 v39, v1, v3
	s_delay_alu instid0(VALU_DEP_4) | instskip(NEXT) | instid1(VALU_DEP_3)
	v_or_b32_e32 v37, v4, v5
	v_or_b32_e32 v35, v6, v2
.LBB1936_35:
	s_delay_alu instid0(VALU_DEP_3)
	v_and_b32_e32 v41, 0xff, v39
	v_bfe_u32 v42, v39, 8, 8
	v_bfe_u32 v43, v39, 16, 8
	v_lshrrev_b32_e32 v40, 24, v39
	v_and_b32_e32 v44, 0xff, v37
	v_bfe_u32 v45, v37, 8, 8
	v_bfe_u32 v46, v37, 16, 8
	v_add3_u32 v1, v42, v41, v43
	v_lshrrev_b32_e32 v38, 24, v37
	v_and_b32_e32 v47, 0xff, v35
	v_bfe_u32 v48, v35, 8, 8
	v_mbcnt_lo_u32_b32 v50, -1, 0
	v_add3_u32 v1, v1, v40, v44
	v_bfe_u32 v49, v35, 16, 8
	v_lshrrev_b32_e32 v36, 24, v35
	v_and_b32_e32 v2, 0xff, v34
	v_and_b32_e32 v3, 15, v50
	v_add3_u32 v1, v1, v45, v46
	v_or_b32_e32 v4, 31, v0
	v_and_b32_e32 v5, 16, v50
	v_lshrrev_b32_e32 v51, 5, v0
	v_cmp_eq_u32_e64 s5, 0, v3
	v_add3_u32 v1, v1, v38, v47
	v_cmp_lt_u32_e64 s4, 1, v3
	v_cmp_lt_u32_e64 s3, 3, v3
	;; [unrolled: 1-line block ×3, first 2 shown]
	v_cmp_eq_u32_e64 s1, 0, v5
	v_add3_u32 v1, v1, v48, v49
	v_cmp_eq_u32_e64 s0, v4, v0
	s_cmp_lg_u32 s15, 0
	s_mov_b32 s6, -1
	s_delay_alu instid0(VALU_DEP_2)
	v_add3_u32 v52, v1, v36, v2
	s_cbranch_scc0 .LBB1936_66
; %bb.36:
	s_delay_alu instid0(VALU_DEP_1) | instskip(NEXT) | instid1(VALU_DEP_1)
	v_mov_b32_dpp v1, v52 row_shr:1 row_mask:0xf bank_mask:0xf
	v_cndmask_b32_e64 v1, v1, 0, s5
	s_delay_alu instid0(VALU_DEP_1) | instskip(NEXT) | instid1(VALU_DEP_1)
	v_add_nc_u32_e32 v1, v1, v52
	v_mov_b32_dpp v2, v1 row_shr:2 row_mask:0xf bank_mask:0xf
	s_delay_alu instid0(VALU_DEP_1) | instskip(NEXT) | instid1(VALU_DEP_1)
	v_cndmask_b32_e64 v2, 0, v2, s4
	v_add_nc_u32_e32 v1, v1, v2
	s_delay_alu instid0(VALU_DEP_1) | instskip(NEXT) | instid1(VALU_DEP_1)
	v_mov_b32_dpp v2, v1 row_shr:4 row_mask:0xf bank_mask:0xf
	v_cndmask_b32_e64 v2, 0, v2, s3
	s_delay_alu instid0(VALU_DEP_1) | instskip(NEXT) | instid1(VALU_DEP_1)
	v_add_nc_u32_e32 v1, v1, v2
	v_mov_b32_dpp v2, v1 row_shr:8 row_mask:0xf bank_mask:0xf
	s_delay_alu instid0(VALU_DEP_1) | instskip(NEXT) | instid1(VALU_DEP_1)
	v_cndmask_b32_e64 v2, 0, v2, s2
	v_add_nc_u32_e32 v1, v1, v2
	ds_swizzle_b32 v2, v1 offset:swizzle(BROADCAST,32,15)
	s_waitcnt lgkmcnt(0)
	v_cndmask_b32_e64 v2, v2, 0, s1
	s_delay_alu instid0(VALU_DEP_1)
	v_add_nc_u32_e32 v1, v1, v2
	s_and_saveexec_b32 s6, s0
	s_cbranch_execz .LBB1936_38
; %bb.37:
	v_lshlrev_b32_e32 v2, 2, v51
	ds_store_b32 v2, v1
.LBB1936_38:
	s_or_b32 exec_lo, exec_lo, s6
	s_delay_alu instid0(SALU_CYCLE_1)
	s_mov_b32 s6, exec_lo
	s_waitcnt lgkmcnt(0)
	s_barrier
	buffer_gl0_inv
	v_cmpx_gt_u32_e32 8, v0
	s_cbranch_execz .LBB1936_40
; %bb.39:
	ds_load_b32 v2, v30
	s_waitcnt lgkmcnt(0)
	v_mov_b32_dpp v4, v2 row_shr:1 row_mask:0xf bank_mask:0xf
	v_and_b32_e32 v3, 7, v50
	s_delay_alu instid0(VALU_DEP_1) | instskip(NEXT) | instid1(VALU_DEP_3)
	v_cmp_ne_u32_e32 vcc_lo, 0, v3
	v_cndmask_b32_e32 v4, 0, v4, vcc_lo
	v_cmp_lt_u32_e32 vcc_lo, 1, v3
	s_delay_alu instid0(VALU_DEP_2) | instskip(NEXT) | instid1(VALU_DEP_1)
	v_add_nc_u32_e32 v2, v4, v2
	v_mov_b32_dpp v4, v2 row_shr:2 row_mask:0xf bank_mask:0xf
	s_delay_alu instid0(VALU_DEP_1) | instskip(SKIP_1) | instid1(VALU_DEP_2)
	v_cndmask_b32_e32 v4, 0, v4, vcc_lo
	v_cmp_lt_u32_e32 vcc_lo, 3, v3
	v_add_nc_u32_e32 v2, v2, v4
	s_delay_alu instid0(VALU_DEP_1) | instskip(NEXT) | instid1(VALU_DEP_1)
	v_mov_b32_dpp v4, v2 row_shr:4 row_mask:0xf bank_mask:0xf
	v_cndmask_b32_e32 v3, 0, v4, vcc_lo
	s_delay_alu instid0(VALU_DEP_1)
	v_add_nc_u32_e32 v2, v2, v3
	ds_store_b32 v30, v2
.LBB1936_40:
	s_or_b32 exec_lo, exec_lo, s6
	v_cmp_gt_u32_e32 vcc_lo, 32, v0
	s_mov_b32 s7, exec_lo
	s_waitcnt lgkmcnt(0)
	s_barrier
	buffer_gl0_inv
                                        ; implicit-def: $vgpr8
	v_cmpx_lt_u32_e32 31, v0
	s_cbranch_execz .LBB1936_42
; %bb.41:
	v_lshl_add_u32 v2, v51, 2, -4
	ds_load_b32 v8, v2
	s_waitcnt lgkmcnt(0)
	v_add_nc_u32_e32 v1, v8, v1
.LBB1936_42:
	s_or_b32 exec_lo, exec_lo, s7
	v_add_nc_u32_e32 v2, -1, v50
	s_delay_alu instid0(VALU_DEP_1) | instskip(NEXT) | instid1(VALU_DEP_1)
	v_cmp_gt_i32_e64 s6, 0, v2
	v_cndmask_b32_e64 v2, v2, v50, s6
	v_cmp_eq_u32_e64 s6, 0, v50
	s_delay_alu instid0(VALU_DEP_2)
	v_lshlrev_b32_e32 v2, 2, v2
	ds_bpermute_b32 v9, v2, v1
	s_and_saveexec_b32 s7, vcc_lo
	s_cbranch_execz .LBB1936_65
; %bb.43:
	v_mov_b32_e32 v4, 0
	ds_load_b32 v1, v4 offset:28
	s_and_saveexec_b32 s24, s6
	s_cbranch_execz .LBB1936_45
; %bb.44:
	s_add_i32 s26, s15, 32
	s_mov_b32 s27, 0
	v_mov_b32_e32 v2, 1
	s_lshl_b64 s[26:27], s[26:27], 3
	s_delay_alu instid0(SALU_CYCLE_1)
	s_add_u32 s26, s20, s26
	s_addc_u32 s27, s21, s27
	s_waitcnt lgkmcnt(0)
	global_store_b64 v4, v[1:2], s[26:27]
.LBB1936_45:
	s_or_b32 exec_lo, exec_lo, s24
	v_xad_u32 v2, v50, -1, s15
	s_mov_b32 s25, 0
	s_mov_b32 s24, exec_lo
	s_delay_alu instid0(VALU_DEP_1) | instskip(NEXT) | instid1(VALU_DEP_1)
	v_add_nc_u32_e32 v3, 32, v2
	v_lshlrev_b64 v[3:4], 3, v[3:4]
	s_delay_alu instid0(VALU_DEP_1) | instskip(NEXT) | instid1(VALU_DEP_2)
	v_add_co_u32 v6, vcc_lo, s20, v3
	v_add_co_ci_u32_e32 v7, vcc_lo, s21, v4, vcc_lo
	global_load_b64 v[4:5], v[6:7], off glc
	s_waitcnt vmcnt(0)
	v_and_b32_e32 v3, 0xff, v5
	s_delay_alu instid0(VALU_DEP_1)
	v_cmpx_eq_u16_e32 0, v3
	s_cbranch_execz .LBB1936_51
; %bb.46:
	s_mov_b32 s26, 1
	.p2align	6
.LBB1936_47:                            ; =>This Loop Header: Depth=1
                                        ;     Child Loop BB1936_48 Depth 2
	s_delay_alu instid0(SALU_CYCLE_1)
	s_max_u32 s27, s26, 1
.LBB1936_48:                            ;   Parent Loop BB1936_47 Depth=1
                                        ; =>  This Inner Loop Header: Depth=2
	s_delay_alu instid0(SALU_CYCLE_1)
	s_add_i32 s27, s27, -1
	s_sleep 1
	s_cmp_eq_u32 s27, 0
	s_cbranch_scc0 .LBB1936_48
; %bb.49:                               ;   in Loop: Header=BB1936_47 Depth=1
	global_load_b64 v[4:5], v[6:7], off glc
	s_cmp_lt_u32 s26, 32
	s_cselect_b32 s27, -1, 0
	s_delay_alu instid0(SALU_CYCLE_1) | instskip(SKIP_3) | instid1(VALU_DEP_1)
	s_cmp_lg_u32 s27, 0
	s_addc_u32 s26, s26, 0
	s_waitcnt vmcnt(0)
	v_and_b32_e32 v3, 0xff, v5
	v_cmp_ne_u16_e32 vcc_lo, 0, v3
	s_or_b32 s25, vcc_lo, s25
	s_delay_alu instid0(SALU_CYCLE_1)
	s_and_not1_b32 exec_lo, exec_lo, s25
	s_cbranch_execnz .LBB1936_47
; %bb.50:
	s_or_b32 exec_lo, exec_lo, s25
.LBB1936_51:
	s_delay_alu instid0(SALU_CYCLE_1)
	s_or_b32 exec_lo, exec_lo, s24
	v_cmp_ne_u32_e32 vcc_lo, 31, v50
	v_lshlrev_b32_e64 v11, v50, -1
	v_add_nc_u32_e32 v13, 2, v50
	v_add_nc_u32_e32 v16, 4, v50
	;; [unrolled: 1-line block ×3, first 2 shown]
	v_add_co_ci_u32_e32 v3, vcc_lo, 0, v50, vcc_lo
	v_add_nc_u32_e32 v55, 16, v50
	s_delay_alu instid0(VALU_DEP_2) | instskip(SKIP_2) | instid1(VALU_DEP_1)
	v_lshlrev_b32_e32 v10, 2, v3
	ds_bpermute_b32 v6, v10, v4
	v_and_b32_e32 v3, 0xff, v5
	v_cmp_eq_u16_e32 vcc_lo, 2, v3
	v_and_or_b32 v3, vcc_lo, v11, 0x80000000
	v_cmp_gt_u32_e32 vcc_lo, 30, v50
	s_delay_alu instid0(VALU_DEP_2) | instskip(SKIP_1) | instid1(VALU_DEP_2)
	v_ctz_i32_b32_e32 v3, v3
	v_cndmask_b32_e64 v7, 0, 1, vcc_lo
	v_cmp_lt_u32_e32 vcc_lo, v50, v3
	s_waitcnt lgkmcnt(0)
	s_delay_alu instid0(VALU_DEP_2) | instskip(NEXT) | instid1(VALU_DEP_1)
	v_dual_cndmask_b32 v6, 0, v6 :: v_dual_lshlrev_b32 v7, 1, v7
	v_add_lshl_u32 v12, v7, v50, 2
	v_cmp_gt_u32_e32 vcc_lo, 28, v50
	s_delay_alu instid0(VALU_DEP_3) | instskip(SKIP_4) | instid1(VALU_DEP_1)
	v_add_nc_u32_e32 v4, v6, v4
	v_cndmask_b32_e64 v7, 0, 1, vcc_lo
	v_cmp_le_u32_e32 vcc_lo, v13, v3
	ds_bpermute_b32 v6, v12, v4
	v_lshlrev_b32_e32 v7, 2, v7
	v_add_lshl_u32 v14, v7, v50, 2
	s_waitcnt lgkmcnt(0)
	v_cndmask_b32_e32 v6, 0, v6, vcc_lo
	v_cmp_gt_u32_e32 vcc_lo, 24, v50
	s_delay_alu instid0(VALU_DEP_2) | instskip(SKIP_4) | instid1(VALU_DEP_1)
	v_add_nc_u32_e32 v4, v4, v6
	v_cndmask_b32_e64 v7, 0, 1, vcc_lo
	v_cmp_le_u32_e32 vcc_lo, v16, v3
	ds_bpermute_b32 v6, v14, v4
	v_lshlrev_b32_e32 v7, 3, v7
	v_add_lshl_u32 v17, v7, v50, 2
	s_waitcnt lgkmcnt(0)
	v_cndmask_b32_e32 v6, 0, v6, vcc_lo
	v_cmp_gt_u32_e32 vcc_lo, 16, v50
	s_delay_alu instid0(VALU_DEP_2) | instskip(SKIP_4) | instid1(VALU_DEP_1)
	v_add_nc_u32_e32 v4, v4, v6
	v_cndmask_b32_e64 v7, 0, 1, vcc_lo
	v_cmp_le_u32_e32 vcc_lo, v53, v3
	ds_bpermute_b32 v6, v17, v4
	v_lshlrev_b32_e32 v7, 4, v7
	v_add_lshl_u32 v54, v7, v50, 2
	s_waitcnt lgkmcnt(0)
	v_cndmask_b32_e32 v6, 0, v6, vcc_lo
	v_cmp_le_u32_e32 vcc_lo, v55, v3
	s_delay_alu instid0(VALU_DEP_2) | instskip(SKIP_3) | instid1(VALU_DEP_1)
	v_add_nc_u32_e32 v4, v4, v6
	ds_bpermute_b32 v6, v54, v4
	s_waitcnt lgkmcnt(0)
	v_cndmask_b32_e32 v3, 0, v6, vcc_lo
	v_dual_mov_b32 v3, 0 :: v_dual_add_nc_u32 v4, v4, v3
	s_branch .LBB1936_53
.LBB1936_52:                            ;   in Loop: Header=BB1936_53 Depth=1
	s_or_b32 exec_lo, exec_lo, s24
	ds_bpermute_b32 v7, v10, v4
	v_and_b32_e32 v6, 0xff, v5
	v_subrev_nc_u32_e32 v2, 32, v2
	s_delay_alu instid0(VALU_DEP_2) | instskip(SKIP_1) | instid1(VALU_DEP_1)
	v_cmp_eq_u16_e32 vcc_lo, 2, v6
	v_and_or_b32 v6, vcc_lo, v11, 0x80000000
	v_ctz_i32_b32_e32 v6, v6
	s_delay_alu instid0(VALU_DEP_1) | instskip(SKIP_3) | instid1(VALU_DEP_2)
	v_cmp_lt_u32_e32 vcc_lo, v50, v6
	s_waitcnt lgkmcnt(0)
	v_cndmask_b32_e32 v7, 0, v7, vcc_lo
	v_cmp_le_u32_e32 vcc_lo, v13, v6
	v_add_nc_u32_e32 v4, v7, v4
	ds_bpermute_b32 v7, v12, v4
	s_waitcnt lgkmcnt(0)
	v_cndmask_b32_e32 v7, 0, v7, vcc_lo
	v_cmp_le_u32_e32 vcc_lo, v16, v6
	s_delay_alu instid0(VALU_DEP_2) | instskip(SKIP_4) | instid1(VALU_DEP_2)
	v_add_nc_u32_e32 v4, v4, v7
	ds_bpermute_b32 v7, v14, v4
	s_waitcnt lgkmcnt(0)
	v_cndmask_b32_e32 v7, 0, v7, vcc_lo
	v_cmp_le_u32_e32 vcc_lo, v53, v6
	v_add_nc_u32_e32 v4, v4, v7
	ds_bpermute_b32 v7, v17, v4
	s_waitcnt lgkmcnt(0)
	v_cndmask_b32_e32 v7, 0, v7, vcc_lo
	v_cmp_le_u32_e32 vcc_lo, v55, v6
	s_delay_alu instid0(VALU_DEP_2) | instskip(SKIP_3) | instid1(VALU_DEP_1)
	v_add_nc_u32_e32 v4, v4, v7
	ds_bpermute_b32 v7, v54, v4
	s_waitcnt lgkmcnt(0)
	v_cndmask_b32_e32 v6, 0, v7, vcc_lo
	v_add3_u32 v4, v6, v15, v4
.LBB1936_53:                            ; =>This Loop Header: Depth=1
                                        ;     Child Loop BB1936_56 Depth 2
                                        ;       Child Loop BB1936_57 Depth 3
	v_and_b32_e32 v5, 0xff, v5
	s_delay_alu instid0(VALU_DEP_2) | instskip(NEXT) | instid1(VALU_DEP_2)
	v_mov_b32_e32 v15, v4
	v_cmp_ne_u16_e32 vcc_lo, 2, v5
	v_cndmask_b32_e64 v5, 0, 1, vcc_lo
	;;#ASMSTART
	;;#ASMEND
	s_delay_alu instid0(VALU_DEP_1)
	v_cmp_ne_u32_e32 vcc_lo, 0, v5
	s_cmp_lg_u32 vcc_lo, exec_lo
	s_cbranch_scc1 .LBB1936_60
; %bb.54:                               ;   in Loop: Header=BB1936_53 Depth=1
	v_lshlrev_b64 v[4:5], 3, v[2:3]
	s_mov_b32 s24, exec_lo
	s_delay_alu instid0(VALU_DEP_1) | instskip(NEXT) | instid1(VALU_DEP_2)
	v_add_co_u32 v6, vcc_lo, s20, v4
	v_add_co_ci_u32_e32 v7, vcc_lo, s21, v5, vcc_lo
	global_load_b64 v[4:5], v[6:7], off glc
	s_waitcnt vmcnt(0)
	v_and_b32_e32 v56, 0xff, v5
	s_delay_alu instid0(VALU_DEP_1)
	v_cmpx_eq_u16_e32 0, v56
	s_cbranch_execz .LBB1936_52
; %bb.55:                               ;   in Loop: Header=BB1936_53 Depth=1
	s_mov_b32 s26, 1
	s_mov_b32 s25, 0
	.p2align	6
.LBB1936_56:                            ;   Parent Loop BB1936_53 Depth=1
                                        ; =>  This Loop Header: Depth=2
                                        ;       Child Loop BB1936_57 Depth 3
	s_max_u32 s27, s26, 1
.LBB1936_57:                            ;   Parent Loop BB1936_53 Depth=1
                                        ;     Parent Loop BB1936_56 Depth=2
                                        ; =>    This Inner Loop Header: Depth=3
	s_delay_alu instid0(SALU_CYCLE_1)
	s_add_i32 s27, s27, -1
	s_sleep 1
	s_cmp_eq_u32 s27, 0
	s_cbranch_scc0 .LBB1936_57
; %bb.58:                               ;   in Loop: Header=BB1936_56 Depth=2
	global_load_b64 v[4:5], v[6:7], off glc
	s_cmp_lt_u32 s26, 32
	s_cselect_b32 s27, -1, 0
	s_delay_alu instid0(SALU_CYCLE_1) | instskip(SKIP_3) | instid1(VALU_DEP_1)
	s_cmp_lg_u32 s27, 0
	s_addc_u32 s26, s26, 0
	s_waitcnt vmcnt(0)
	v_and_b32_e32 v56, 0xff, v5
	v_cmp_ne_u16_e32 vcc_lo, 0, v56
	s_or_b32 s25, vcc_lo, s25
	s_delay_alu instid0(SALU_CYCLE_1)
	s_and_not1_b32 exec_lo, exec_lo, s25
	s_cbranch_execnz .LBB1936_56
; %bb.59:                               ;   in Loop: Header=BB1936_53 Depth=1
	s_or_b32 exec_lo, exec_lo, s25
	s_branch .LBB1936_52
.LBB1936_60:                            ;   in Loop: Header=BB1936_53 Depth=1
                                        ; implicit-def: $vgpr4
                                        ; implicit-def: $vgpr5
	s_cbranch_execz .LBB1936_53
; %bb.61:
	s_and_saveexec_b32 s24, s6
	s_cbranch_execz .LBB1936_63
; %bb.62:
	s_add_i32 s26, s15, 32
	s_mov_b32 s27, 0
	v_dual_mov_b32 v3, 2 :: v_dual_add_nc_u32 v2, v15, v1
	s_lshl_b64 s[26:27], s[26:27], 3
	v_mov_b32_e32 v4, 0
	v_add_nc_u32_e64 v5, 0x3400, 0
	s_add_u32 s26, s20, s26
	s_addc_u32 s27, s21, s27
	global_store_b64 v4, v[2:3], s[26:27]
	ds_store_2addr_b32 v5, v1, v15 offset1:2
.LBB1936_63:
	s_or_b32 exec_lo, exec_lo, s24
	v_cmp_eq_u32_e32 vcc_lo, 0, v0
	s_and_b32 exec_lo, exec_lo, vcc_lo
	s_cbranch_execz .LBB1936_65
; %bb.64:
	v_mov_b32_e32 v1, 0
	ds_store_b32 v1, v15 offset:28
.LBB1936_65:
	s_or_b32 exec_lo, exec_lo, s7
	s_waitcnt lgkmcnt(0)
	v_cndmask_b32_e64 v2, v9, v8, s6
	v_cmp_ne_u32_e32 vcc_lo, 0, v0
	v_mov_b32_e32 v1, 0
	s_waitcnt_vscnt null, 0x0
	s_barrier
	buffer_gl0_inv
	v_cndmask_b32_e32 v2, 0, v2, vcc_lo
	ds_load_b32 v1, v1 offset:28
	v_add_nc_u32_e64 v11, 0x3400, 0
	s_waitcnt lgkmcnt(0)
	s_barrier
	buffer_gl0_inv
	ds_load_2addr_b32 v[16:17], v11 offset1:2
	v_add_nc_u32_e32 v1, v1, v2
	s_delay_alu instid0(VALU_DEP_1) | instskip(NEXT) | instid1(VALU_DEP_1)
	v_add_nc_u32_e32 v2, v1, v41
	v_add_nc_u32_e32 v3, v2, v42
	s_delay_alu instid0(VALU_DEP_1) | instskip(NEXT) | instid1(VALU_DEP_1)
	v_add_nc_u32_e32 v4, v3, v43
	;; [unrolled: 3-line block ×6, first 2 shown]
	v_add_nc_u32_e32 v13, v12, v36
	s_branch .LBB1936_76
.LBB1936_66:
                                        ; implicit-def: $vgpr17
                                        ; implicit-def: $vgpr1_vgpr2_vgpr3_vgpr4_vgpr5_vgpr6_vgpr7_vgpr8_vgpr9_vgpr10_vgpr11_vgpr12_vgpr13_vgpr14_vgpr15_vgpr16
	s_and_b32 vcc_lo, exec_lo, s6
	s_cbranch_vccz .LBB1936_76
; %bb.67:
	s_delay_alu instid0(VALU_DEP_1) | instskip(NEXT) | instid1(VALU_DEP_1)
	v_mov_b32_dpp v1, v52 row_shr:1 row_mask:0xf bank_mask:0xf
	v_cndmask_b32_e64 v1, v1, 0, s5
	s_delay_alu instid0(VALU_DEP_1) | instskip(NEXT) | instid1(VALU_DEP_1)
	v_add_nc_u32_e32 v1, v1, v52
	v_mov_b32_dpp v2, v1 row_shr:2 row_mask:0xf bank_mask:0xf
	s_delay_alu instid0(VALU_DEP_1) | instskip(NEXT) | instid1(VALU_DEP_1)
	v_cndmask_b32_e64 v2, 0, v2, s4
	v_add_nc_u32_e32 v1, v1, v2
	s_delay_alu instid0(VALU_DEP_1) | instskip(NEXT) | instid1(VALU_DEP_1)
	v_mov_b32_dpp v2, v1 row_shr:4 row_mask:0xf bank_mask:0xf
	v_cndmask_b32_e64 v2, 0, v2, s3
	s_delay_alu instid0(VALU_DEP_1) | instskip(NEXT) | instid1(VALU_DEP_1)
	v_add_nc_u32_e32 v1, v1, v2
	v_mov_b32_dpp v2, v1 row_shr:8 row_mask:0xf bank_mask:0xf
	s_delay_alu instid0(VALU_DEP_1) | instskip(NEXT) | instid1(VALU_DEP_1)
	v_cndmask_b32_e64 v2, 0, v2, s2
	v_add_nc_u32_e32 v1, v1, v2
	ds_swizzle_b32 v2, v1 offset:swizzle(BROADCAST,32,15)
	s_waitcnt lgkmcnt(0)
	v_cndmask_b32_e64 v2, v2, 0, s1
	s_delay_alu instid0(VALU_DEP_1)
	v_add_nc_u32_e32 v1, v1, v2
	s_and_saveexec_b32 s1, s0
	s_cbranch_execz .LBB1936_69
; %bb.68:
	v_lshlrev_b32_e32 v2, 2, v51
	ds_store_b32 v2, v1
.LBB1936_69:
	s_or_b32 exec_lo, exec_lo, s1
	s_delay_alu instid0(SALU_CYCLE_1)
	s_mov_b32 s0, exec_lo
	s_waitcnt lgkmcnt(0)
	s_barrier
	buffer_gl0_inv
	v_cmpx_gt_u32_e32 8, v0
	s_cbranch_execz .LBB1936_71
; %bb.70:
	ds_load_b32 v2, v30
	s_waitcnt lgkmcnt(0)
	v_mov_b32_dpp v4, v2 row_shr:1 row_mask:0xf bank_mask:0xf
	v_and_b32_e32 v3, 7, v50
	s_delay_alu instid0(VALU_DEP_1) | instskip(NEXT) | instid1(VALU_DEP_3)
	v_cmp_ne_u32_e32 vcc_lo, 0, v3
	v_cndmask_b32_e32 v4, 0, v4, vcc_lo
	v_cmp_lt_u32_e32 vcc_lo, 1, v3
	s_delay_alu instid0(VALU_DEP_2) | instskip(NEXT) | instid1(VALU_DEP_1)
	v_add_nc_u32_e32 v2, v4, v2
	v_mov_b32_dpp v4, v2 row_shr:2 row_mask:0xf bank_mask:0xf
	s_delay_alu instid0(VALU_DEP_1) | instskip(SKIP_1) | instid1(VALU_DEP_2)
	v_cndmask_b32_e32 v4, 0, v4, vcc_lo
	v_cmp_lt_u32_e32 vcc_lo, 3, v3
	v_add_nc_u32_e32 v2, v2, v4
	s_delay_alu instid0(VALU_DEP_1) | instskip(NEXT) | instid1(VALU_DEP_1)
	v_mov_b32_dpp v4, v2 row_shr:4 row_mask:0xf bank_mask:0xf
	v_cndmask_b32_e32 v3, 0, v4, vcc_lo
	s_delay_alu instid0(VALU_DEP_1)
	v_add_nc_u32_e32 v2, v2, v3
	ds_store_b32 v30, v2
.LBB1936_71:
	s_or_b32 exec_lo, exec_lo, s0
	v_dual_mov_b32 v3, 0 :: v_dual_mov_b32 v2, 0
	s_mov_b32 s0, exec_lo
	s_waitcnt lgkmcnt(0)
	s_barrier
	buffer_gl0_inv
	v_cmpx_lt_u32_e32 31, v0
	s_cbranch_execz .LBB1936_73
; %bb.72:
	v_lshl_add_u32 v2, v51, 2, -4
	ds_load_b32 v2, v2
.LBB1936_73:
	s_or_b32 exec_lo, exec_lo, s0
	v_add_nc_u32_e32 v4, -1, v50
	ds_load_b32 v16, v3 offset:28
	s_waitcnt lgkmcnt(1)
	v_add_nc_u32_e32 v1, v2, v1
	v_cmp_gt_i32_e32 vcc_lo, 0, v4
	v_cndmask_b32_e32 v4, v4, v50, vcc_lo
	v_cmp_eq_u32_e32 vcc_lo, 0, v0
	s_delay_alu instid0(VALU_DEP_2)
	v_lshlrev_b32_e32 v4, 2, v4
	ds_bpermute_b32 v1, v4, v1
	s_and_saveexec_b32 s0, vcc_lo
	s_cbranch_execz .LBB1936_75
; %bb.74:
	v_mov_b32_e32 v3, 0
	v_mov_b32_e32 v17, 2
	s_waitcnt lgkmcnt(1)
	global_store_b64 v3, v[16:17], s[20:21] offset:256
.LBB1936_75:
	s_or_b32 exec_lo, exec_lo, s0
	v_cmp_eq_u32_e64 s0, 0, v50
	s_waitcnt lgkmcnt(0)
	s_waitcnt_vscnt null, 0x0
	s_barrier
	buffer_gl0_inv
	v_mov_b32_e32 v17, 0
	v_cndmask_b32_e64 v1, v1, v2, s0
	s_delay_alu instid0(VALU_DEP_1) | instskip(NEXT) | instid1(VALU_DEP_1)
	v_cndmask_b32_e64 v1, v1, 0, vcc_lo
	v_add_nc_u32_e32 v2, v1, v41
	s_delay_alu instid0(VALU_DEP_1) | instskip(NEXT) | instid1(VALU_DEP_1)
	v_add_nc_u32_e32 v3, v2, v42
	v_add_nc_u32_e32 v4, v3, v43
	s_delay_alu instid0(VALU_DEP_1) | instskip(NEXT) | instid1(VALU_DEP_1)
	v_add_nc_u32_e32 v5, v4, v40
	;; [unrolled: 3-line block ×5, first 2 shown]
	v_add_nc_u32_e32 v12, v11, v49
	s_delay_alu instid0(VALU_DEP_1)
	v_add_nc_u32_e32 v13, v12, v36
.LBB1936_76:
	v_lshrrev_b32_e32 v44, 8, v39
	v_lshrrev_b32_e32 v43, 16, v39
	s_waitcnt lgkmcnt(0)
	v_sub_nc_u32_e32 v1, v1, v17
	v_and_b32_e32 v39, 1, v39
	v_sub_nc_u32_e32 v3, v3, v17
	v_add_nc_u32_e32 v33, v16, v33
	v_sub_nc_u32_e32 v2, v2, v17
	v_sub_nc_u32_e32 v4, v4, v17
	v_cmp_eq_u32_e32 vcc_lo, 1, v39
	v_and_b32_e32 v39, 1, v43
	v_sub_nc_u32_e32 v45, v33, v1
	v_and_b32_e32 v44, 1, v44
	v_sub_nc_u32_e32 v43, v33, v2
	v_lshrrev_b32_e32 v42, 8, v37
	v_lshrrev_b32_e32 v41, 16, v37
	v_cndmask_b32_e32 v1, v45, v1, vcc_lo
	v_sub_nc_u32_e32 v45, v33, v3
	v_add_nc_u32_e32 v43, 1, v43
	v_cmp_eq_u32_e32 vcc_lo, 1, v44
	v_and_b32_e32 v40, 1, v40
	v_lshlrev_b32_e32 v1, 2, v1
	v_add_nc_u32_e32 v45, 2, v45
	v_lshrrev_b32_e32 v15, 8, v35
	v_lshrrev_b32_e32 v14, 16, v35
	ds_store_b32 v1, v28
	v_cndmask_b32_e32 v1, v43, v2, vcc_lo
	v_cmp_eq_u32_e32 vcc_lo, 1, v39
	v_or_b32_e32 v28, 0x500, v0
	s_delay_alu instid0(VALU_DEP_3)
	v_dual_cndmask_b32 v2, v45, v3 :: v_dual_lshlrev_b32 v1, 2, v1
	v_sub_nc_u32_e32 v46, v33, v4
	v_cmp_eq_u32_e32 vcc_lo, 1, v40
	ds_store_b32 v1, v29
	v_lshlrev_b32_e32 v2, 2, v2
	v_add_nc_u32_e32 v46, 3, v46
	v_or_b32_e32 v29, 0x400, v0
	s_delay_alu instid0(VALU_DEP_2) | instskip(SKIP_2) | instid1(VALU_DEP_3)
	v_cndmask_b32_e32 v3, v46, v4, vcc_lo
	v_sub_nc_u32_e32 v4, v5, v17
	v_sub_nc_u32_e32 v5, v6, v17
	v_lshlrev_b32_e32 v3, 2, v3
	s_delay_alu instid0(VALU_DEP_3) | instskip(NEXT) | instid1(VALU_DEP_3)
	v_sub_nc_u32_e32 v1, v33, v4
	v_sub_nc_u32_e32 v6, v33, v5
	ds_store_b32 v2, v26
	ds_store_b32 v3, v27
	v_and_b32_e32 v2, 1, v37
	v_add_nc_u32_e32 v1, 4, v1
	v_add_nc_u32_e32 v3, 5, v6
	v_sub_nc_u32_e32 v6, v7, v17
	v_and_b32_e32 v7, 1, v42
	v_cmp_eq_u32_e32 vcc_lo, 1, v2
	v_sub_nc_u32_e32 v2, v8, v17
	v_and_b32_e32 v8, 1, v38
	v_or_b32_e32 v27, 0x600, v0
	v_or_b32_e32 v26, 0x700, v0
	v_cndmask_b32_e32 v1, v1, v4, vcc_lo
	v_sub_nc_u32_e32 v4, v33, v6
	v_cmp_eq_u32_e32 vcc_lo, 1, v7
	v_and_b32_e32 v7, 1, v41
	s_delay_alu instid0(VALU_DEP_4) | instskip(NEXT) | instid1(VALU_DEP_4)
	v_lshlrev_b32_e32 v1, 2, v1
	v_dual_cndmask_b32 v3, v3, v5 :: v_dual_add_nc_u32 v4, 6, v4
	v_sub_nc_u32_e32 v5, v33, v2
	s_delay_alu instid0(VALU_DEP_4) | instskip(SKIP_1) | instid1(VALU_DEP_4)
	v_cmp_eq_u32_e32 vcc_lo, 1, v7
	v_sub_nc_u32_e32 v7, v13, v17
	v_lshlrev_b32_e32 v3, 2, v3
	s_delay_alu instid0(VALU_DEP_4)
	v_dual_cndmask_b32 v4, v4, v6 :: v_dual_add_nc_u32 v5, 7, v5
	v_cmp_eq_u32_e32 vcc_lo, 1, v8
	v_sub_nc_u32_e32 v6, v9, v17
	ds_store_b32 v1, v24
	ds_store_b32 v3, v25
	v_or_b32_e32 v25, 0x800, v0
	v_dual_cndmask_b32 v2, v5, v2 :: v_dual_lshlrev_b32 v3, 2, v4
	v_and_b32_e32 v5, 1, v35
	v_sub_nc_u32_e32 v1, v33, v6
	v_sub_nc_u32_e32 v4, v10, v17
	v_and_b32_e32 v10, 1, v36
	v_or_b32_e32 v24, 0x900, v0
	v_cmp_eq_u32_e32 vcc_lo, 1, v5
	v_sub_nc_u32_e32 v5, v12, v17
	v_add_nc_u32_e32 v1, 8, v1
	s_delay_alu instid0(VALU_DEP_2) | instskip(NEXT) | instid1(VALU_DEP_2)
	v_sub_nc_u32_e32 v9, v33, v5
	v_dual_cndmask_b32 v1, v1, v6 :: v_dual_and_b32 v6, 1, v15
	v_add_co_u32 v15, s0, s18, v17
	s_delay_alu instid0(VALU_DEP_3)
	v_add_nc_u32_e32 v9, 11, v9
	v_lshlrev_b32_e32 v2, 2, v2
	ds_store_b32 v3, v22
	ds_store_b32 v2, v23
	v_sub_nc_u32_e32 v3, v11, v17
	v_sub_nc_u32_e32 v2, v33, v4
	v_cmp_eq_u32_e32 vcc_lo, 1, v6
	v_and_b32_e32 v11, 1, v34
	v_lshlrev_b32_e32 v1, 2, v1
	v_sub_nc_u32_e32 v8, v33, v3
	v_add_nc_u32_e32 v2, 9, v2
	v_add_co_ci_u32_e64 v17, null, s19, 0, s0
	s_add_u32 s0, s16, s23
	s_delay_alu instid0(VALU_DEP_3)
	v_add_nc_u32_e32 v6, 10, v8
	v_and_b32_e32 v8, 1, v14
	v_cndmask_b32_e32 v2, v2, v4, vcc_lo
	v_sub_nc_u32_e32 v4, v33, v7
	s_addc_u32 s1, s17, 0
	s_sub_u32 s0, s12, s0
	v_cmp_eq_u32_e32 vcc_lo, 1, v8
	v_lshlrev_b32_e32 v2, 2, v2
	v_add_nc_u32_e32 v4, 12, v4
	s_subb_u32 s1, s13, s1
	v_add_co_u32 v13, s0, s0, v16
	v_cndmask_b32_e32 v3, v6, v3, vcc_lo
	v_cmp_eq_u32_e32 vcc_lo, 1, v10
	v_add_co_ci_u32_e64 v14, null, s1, 0, s0
	v_or_b32_e32 v34, 0x100, v0
	s_delay_alu instid0(VALU_DEP_4)
	v_lshlrev_b32_e32 v3, 2, v3
	v_cndmask_b32_e32 v5, v9, v5, vcc_lo
	v_cmp_eq_u32_e32 vcc_lo, 1, v11
	v_or_b32_e32 v33, 0x200, v0
	v_or_b32_e32 v23, 0xa00, v0
	;; [unrolled: 1-line block ×3, first 2 shown]
	v_dual_cndmask_b32 v4, v4, v7 :: v_dual_lshlrev_b32 v5, 2, v5
	v_cmp_ne_u32_e32 vcc_lo, 1, v31
	s_delay_alu instid0(VALU_DEP_2)
	v_lshlrev_b32_e32 v4, 2, v4
	ds_store_b32 v1, v20
	ds_store_b32 v2, v21
	;; [unrolled: 1-line block ×5, first 2 shown]
	s_waitcnt lgkmcnt(0)
	s_barrier
	buffer_gl0_inv
	ds_load_2addr_stride64_b32 v[11:12], v30 offset1:4
	ds_load_2addr_stride64_b32 v[9:10], v30 offset0:8 offset1:12
	ds_load_2addr_stride64_b32 v[7:8], v30 offset0:16 offset1:20
	;; [unrolled: 1-line block ×5, first 2 shown]
	ds_load_b32 v18, v30 offset:12288
	v_add_co_u32 v20, s0, v13, v15
	v_or_b32_e32 v32, 0x300, v0
	v_or_b32_e32 v19, 0xc00, v0
	v_add_co_ci_u32_e64 v21, s0, v14, v17, s0
	s_mov_b32 s0, 0
	s_cbranch_vccnz .LBB1936_130
; %bb.77:
	s_mov_b32 s0, exec_lo
                                        ; implicit-def: $vgpr13_vgpr14
	v_cmpx_ge_u32_e64 v0, v16
	s_xor_b32 s0, exec_lo, s0
; %bb.78:
	v_not_b32_e32 v13, v0
	s_delay_alu instid0(VALU_DEP_1) | instskip(SKIP_1) | instid1(VALU_DEP_2)
	v_ashrrev_i32_e32 v14, 31, v13
	v_add_co_u32 v13, vcc_lo, v20, v13
	v_add_co_ci_u32_e32 v14, vcc_lo, v21, v14, vcc_lo
; %bb.79:
	s_and_not1_saveexec_b32 s0, s0
; %bb.80:
	v_add_co_u32 v13, vcc_lo, v15, v0
	v_add_co_ci_u32_e32 v14, vcc_lo, 0, v17, vcc_lo
; %bb.81:
	s_or_b32 exec_lo, exec_lo, s0
	s_delay_alu instid0(VALU_DEP_1) | instskip(SKIP_1) | instid1(VALU_DEP_1)
	v_lshlrev_b64 v[13:14], 2, v[13:14]
	s_mov_b32 s0, exec_lo
	v_add_co_u32 v13, vcc_lo, s10, v13
	s_delay_alu instid0(VALU_DEP_2)
	v_add_co_ci_u32_e32 v14, vcc_lo, s11, v14, vcc_lo
	s_waitcnt lgkmcnt(6)
	global_store_b32 v[13:14], v11, off
                                        ; implicit-def: $vgpr13_vgpr14
	v_cmpx_ge_u32_e64 v34, v16
	s_xor_b32 s0, exec_lo, s0
; %bb.82:
	v_xor_b32_e32 v13, 0xfffffeff, v0
	s_delay_alu instid0(VALU_DEP_1) | instskip(SKIP_1) | instid1(VALU_DEP_2)
	v_ashrrev_i32_e32 v14, 31, v13
	v_add_co_u32 v13, vcc_lo, v20, v13
	v_add_co_ci_u32_e32 v14, vcc_lo, v21, v14, vcc_lo
; %bb.83:
	s_and_not1_saveexec_b32 s0, s0
; %bb.84:
	v_add_co_u32 v13, vcc_lo, v15, v34
	v_add_co_ci_u32_e32 v14, vcc_lo, 0, v17, vcc_lo
; %bb.85:
	s_or_b32 exec_lo, exec_lo, s0
	s_delay_alu instid0(VALU_DEP_1) | instskip(SKIP_1) | instid1(VALU_DEP_1)
	v_lshlrev_b64 v[13:14], 2, v[13:14]
	s_mov_b32 s0, exec_lo
	v_add_co_u32 v13, vcc_lo, s10, v13
	s_delay_alu instid0(VALU_DEP_2)
	v_add_co_ci_u32_e32 v14, vcc_lo, s11, v14, vcc_lo
	global_store_b32 v[13:14], v12, off
                                        ; implicit-def: $vgpr13_vgpr14
	v_cmpx_ge_u32_e64 v33, v16
	s_xor_b32 s0, exec_lo, s0
; %bb.86:
	v_xor_b32_e32 v13, 0xfffffdff, v0
	s_delay_alu instid0(VALU_DEP_1) | instskip(SKIP_1) | instid1(VALU_DEP_2)
	v_ashrrev_i32_e32 v14, 31, v13
	v_add_co_u32 v13, vcc_lo, v20, v13
	v_add_co_ci_u32_e32 v14, vcc_lo, v21, v14, vcc_lo
; %bb.87:
	s_and_not1_saveexec_b32 s0, s0
; %bb.88:
	v_add_co_u32 v13, vcc_lo, v15, v33
	v_add_co_ci_u32_e32 v14, vcc_lo, 0, v17, vcc_lo
; %bb.89:
	s_or_b32 exec_lo, exec_lo, s0
	s_delay_alu instid0(VALU_DEP_1) | instskip(SKIP_1) | instid1(VALU_DEP_1)
	v_lshlrev_b64 v[13:14], 2, v[13:14]
	s_mov_b32 s0, exec_lo
	v_add_co_u32 v13, vcc_lo, s10, v13
	s_delay_alu instid0(VALU_DEP_2)
	v_add_co_ci_u32_e32 v14, vcc_lo, s11, v14, vcc_lo
	s_waitcnt lgkmcnt(5)
	global_store_b32 v[13:14], v9, off
                                        ; implicit-def: $vgpr13_vgpr14
	v_cmpx_ge_u32_e64 v32, v16
	s_xor_b32 s0, exec_lo, s0
; %bb.90:
	v_xor_b32_e32 v13, 0xfffffcff, v0
	s_delay_alu instid0(VALU_DEP_1) | instskip(SKIP_1) | instid1(VALU_DEP_2)
	v_ashrrev_i32_e32 v14, 31, v13
	v_add_co_u32 v13, vcc_lo, v20, v13
	v_add_co_ci_u32_e32 v14, vcc_lo, v21, v14, vcc_lo
; %bb.91:
	s_and_not1_saveexec_b32 s0, s0
; %bb.92:
	v_add_co_u32 v13, vcc_lo, v15, v32
	v_add_co_ci_u32_e32 v14, vcc_lo, 0, v17, vcc_lo
; %bb.93:
	s_or_b32 exec_lo, exec_lo, s0
	s_delay_alu instid0(VALU_DEP_1) | instskip(SKIP_1) | instid1(VALU_DEP_1)
	v_lshlrev_b64 v[13:14], 2, v[13:14]
	s_mov_b32 s0, exec_lo
	v_add_co_u32 v13, vcc_lo, s10, v13
	s_delay_alu instid0(VALU_DEP_2)
	v_add_co_ci_u32_e32 v14, vcc_lo, s11, v14, vcc_lo
	global_store_b32 v[13:14], v10, off
                                        ; implicit-def: $vgpr13_vgpr14
	v_cmpx_ge_u32_e64 v29, v16
	s_xor_b32 s0, exec_lo, s0
; %bb.94:
	v_xor_b32_e32 v13, 0xfffffbff, v0
	s_delay_alu instid0(VALU_DEP_1) | instskip(SKIP_1) | instid1(VALU_DEP_2)
	v_ashrrev_i32_e32 v14, 31, v13
	v_add_co_u32 v13, vcc_lo, v20, v13
	v_add_co_ci_u32_e32 v14, vcc_lo, v21, v14, vcc_lo
; %bb.95:
	s_and_not1_saveexec_b32 s0, s0
; %bb.96:
	v_add_co_u32 v13, vcc_lo, v15, v29
	v_add_co_ci_u32_e32 v14, vcc_lo, 0, v17, vcc_lo
; %bb.97:
	s_or_b32 exec_lo, exec_lo, s0
	s_delay_alu instid0(VALU_DEP_1) | instskip(SKIP_1) | instid1(VALU_DEP_1)
	v_lshlrev_b64 v[13:14], 2, v[13:14]
	s_mov_b32 s0, exec_lo
	v_add_co_u32 v13, vcc_lo, s10, v13
	s_delay_alu instid0(VALU_DEP_2)
	v_add_co_ci_u32_e32 v14, vcc_lo, s11, v14, vcc_lo
	s_waitcnt lgkmcnt(4)
	global_store_b32 v[13:14], v7, off
                                        ; implicit-def: $vgpr13_vgpr14
	v_cmpx_ge_u32_e64 v28, v16
	s_xor_b32 s0, exec_lo, s0
; %bb.98:
	v_xor_b32_e32 v13, 0xfffffaff, v0
	s_delay_alu instid0(VALU_DEP_1) | instskip(SKIP_1) | instid1(VALU_DEP_2)
	v_ashrrev_i32_e32 v14, 31, v13
	v_add_co_u32 v13, vcc_lo, v20, v13
	v_add_co_ci_u32_e32 v14, vcc_lo, v21, v14, vcc_lo
; %bb.99:
	s_and_not1_saveexec_b32 s0, s0
; %bb.100:
	v_add_co_u32 v13, vcc_lo, v15, v28
	v_add_co_ci_u32_e32 v14, vcc_lo, 0, v17, vcc_lo
; %bb.101:
	s_or_b32 exec_lo, exec_lo, s0
	s_delay_alu instid0(VALU_DEP_1) | instskip(SKIP_1) | instid1(VALU_DEP_1)
	v_lshlrev_b64 v[13:14], 2, v[13:14]
	s_mov_b32 s0, exec_lo
	v_add_co_u32 v13, vcc_lo, s10, v13
	s_delay_alu instid0(VALU_DEP_2)
	v_add_co_ci_u32_e32 v14, vcc_lo, s11, v14, vcc_lo
	global_store_b32 v[13:14], v8, off
                                        ; implicit-def: $vgpr13_vgpr14
	v_cmpx_ge_u32_e64 v27, v16
	s_xor_b32 s0, exec_lo, s0
; %bb.102:
	v_xor_b32_e32 v13, 0xfffff9ff, v0
	s_delay_alu instid0(VALU_DEP_1) | instskip(SKIP_1) | instid1(VALU_DEP_2)
	v_ashrrev_i32_e32 v14, 31, v13
	v_add_co_u32 v13, vcc_lo, v20, v13
	v_add_co_ci_u32_e32 v14, vcc_lo, v21, v14, vcc_lo
; %bb.103:
	s_and_not1_saveexec_b32 s0, s0
; %bb.104:
	v_add_co_u32 v13, vcc_lo, v15, v27
	v_add_co_ci_u32_e32 v14, vcc_lo, 0, v17, vcc_lo
; %bb.105:
	s_or_b32 exec_lo, exec_lo, s0
	s_delay_alu instid0(VALU_DEP_1) | instskip(SKIP_1) | instid1(VALU_DEP_1)
	v_lshlrev_b64 v[13:14], 2, v[13:14]
	s_mov_b32 s0, exec_lo
	v_add_co_u32 v13, vcc_lo, s10, v13
	s_delay_alu instid0(VALU_DEP_2)
	v_add_co_ci_u32_e32 v14, vcc_lo, s11, v14, vcc_lo
	s_waitcnt lgkmcnt(3)
	global_store_b32 v[13:14], v5, off
                                        ; implicit-def: $vgpr13_vgpr14
	v_cmpx_ge_u32_e64 v26, v16
	s_xor_b32 s0, exec_lo, s0
; %bb.106:
	v_xor_b32_e32 v13, 0xfffff8ff, v0
	s_delay_alu instid0(VALU_DEP_1) | instskip(SKIP_1) | instid1(VALU_DEP_2)
	v_ashrrev_i32_e32 v14, 31, v13
	v_add_co_u32 v13, vcc_lo, v20, v13
	v_add_co_ci_u32_e32 v14, vcc_lo, v21, v14, vcc_lo
; %bb.107:
	s_and_not1_saveexec_b32 s0, s0
; %bb.108:
	v_add_co_u32 v13, vcc_lo, v15, v26
	v_add_co_ci_u32_e32 v14, vcc_lo, 0, v17, vcc_lo
; %bb.109:
	s_or_b32 exec_lo, exec_lo, s0
	s_delay_alu instid0(VALU_DEP_1) | instskip(SKIP_1) | instid1(VALU_DEP_1)
	v_lshlrev_b64 v[13:14], 2, v[13:14]
	s_mov_b32 s0, exec_lo
	v_add_co_u32 v13, vcc_lo, s10, v13
	s_delay_alu instid0(VALU_DEP_2)
	v_add_co_ci_u32_e32 v14, vcc_lo, s11, v14, vcc_lo
	global_store_b32 v[13:14], v6, off
                                        ; implicit-def: $vgpr13_vgpr14
	v_cmpx_ge_u32_e64 v25, v16
	s_xor_b32 s0, exec_lo, s0
; %bb.110:
	v_xor_b32_e32 v13, 0xfffff7ff, v0
	s_delay_alu instid0(VALU_DEP_1) | instskip(SKIP_1) | instid1(VALU_DEP_2)
	v_ashrrev_i32_e32 v14, 31, v13
	v_add_co_u32 v13, vcc_lo, v20, v13
	v_add_co_ci_u32_e32 v14, vcc_lo, v21, v14, vcc_lo
; %bb.111:
	s_and_not1_saveexec_b32 s0, s0
; %bb.112:
	v_add_co_u32 v13, vcc_lo, v15, v25
	v_add_co_ci_u32_e32 v14, vcc_lo, 0, v17, vcc_lo
; %bb.113:
	s_or_b32 exec_lo, exec_lo, s0
	s_delay_alu instid0(VALU_DEP_1) | instskip(SKIP_1) | instid1(VALU_DEP_1)
	v_lshlrev_b64 v[13:14], 2, v[13:14]
	s_mov_b32 s0, exec_lo
	v_add_co_u32 v13, vcc_lo, s10, v13
	s_delay_alu instid0(VALU_DEP_2)
	v_add_co_ci_u32_e32 v14, vcc_lo, s11, v14, vcc_lo
	s_waitcnt lgkmcnt(2)
	global_store_b32 v[13:14], v3, off
                                        ; implicit-def: $vgpr13_vgpr14
	v_cmpx_ge_u32_e64 v24, v16
	s_xor_b32 s0, exec_lo, s0
; %bb.114:
	v_xor_b32_e32 v13, 0xfffff6ff, v0
	s_delay_alu instid0(VALU_DEP_1) | instskip(SKIP_1) | instid1(VALU_DEP_2)
	v_ashrrev_i32_e32 v14, 31, v13
	v_add_co_u32 v13, vcc_lo, v20, v13
	v_add_co_ci_u32_e32 v14, vcc_lo, v21, v14, vcc_lo
; %bb.115:
	s_and_not1_saveexec_b32 s0, s0
; %bb.116:
	v_add_co_u32 v13, vcc_lo, v15, v24
	v_add_co_ci_u32_e32 v14, vcc_lo, 0, v17, vcc_lo
; %bb.117:
	s_or_b32 exec_lo, exec_lo, s0
	s_delay_alu instid0(VALU_DEP_1) | instskip(SKIP_1) | instid1(VALU_DEP_1)
	v_lshlrev_b64 v[13:14], 2, v[13:14]
	s_mov_b32 s0, exec_lo
	v_add_co_u32 v13, vcc_lo, s10, v13
	s_delay_alu instid0(VALU_DEP_2)
	v_add_co_ci_u32_e32 v14, vcc_lo, s11, v14, vcc_lo
	global_store_b32 v[13:14], v4, off
                                        ; implicit-def: $vgpr13_vgpr14
	v_cmpx_ge_u32_e64 v23, v16
	s_xor_b32 s0, exec_lo, s0
; %bb.118:
	v_xor_b32_e32 v13, 0xfffff5ff, v0
	s_delay_alu instid0(VALU_DEP_1) | instskip(SKIP_1) | instid1(VALU_DEP_2)
	v_ashrrev_i32_e32 v14, 31, v13
	v_add_co_u32 v13, vcc_lo, v20, v13
	v_add_co_ci_u32_e32 v14, vcc_lo, v21, v14, vcc_lo
; %bb.119:
	s_and_not1_saveexec_b32 s0, s0
; %bb.120:
	v_add_co_u32 v13, vcc_lo, v15, v23
	v_add_co_ci_u32_e32 v14, vcc_lo, 0, v17, vcc_lo
; %bb.121:
	s_or_b32 exec_lo, exec_lo, s0
	s_delay_alu instid0(VALU_DEP_1) | instskip(SKIP_1) | instid1(VALU_DEP_1)
	v_lshlrev_b64 v[13:14], 2, v[13:14]
	s_mov_b32 s0, exec_lo
	v_add_co_u32 v13, vcc_lo, s10, v13
	s_delay_alu instid0(VALU_DEP_2)
	v_add_co_ci_u32_e32 v14, vcc_lo, s11, v14, vcc_lo
	s_waitcnt lgkmcnt(1)
	global_store_b32 v[13:14], v1, off
                                        ; implicit-def: $vgpr13_vgpr14
	v_cmpx_ge_u32_e64 v22, v16
	s_xor_b32 s0, exec_lo, s0
; %bb.122:
	v_xor_b32_e32 v13, 0xfffff4ff, v0
	s_delay_alu instid0(VALU_DEP_1) | instskip(SKIP_1) | instid1(VALU_DEP_2)
	v_ashrrev_i32_e32 v14, 31, v13
	v_add_co_u32 v13, vcc_lo, v20, v13
	v_add_co_ci_u32_e32 v14, vcc_lo, v21, v14, vcc_lo
; %bb.123:
	s_and_not1_saveexec_b32 s0, s0
; %bb.124:
	v_add_co_u32 v13, vcc_lo, v15, v22
	v_add_co_ci_u32_e32 v14, vcc_lo, 0, v17, vcc_lo
; %bb.125:
	s_or_b32 exec_lo, exec_lo, s0
	s_delay_alu instid0(VALU_DEP_1) | instskip(SKIP_1) | instid1(VALU_DEP_1)
	v_lshlrev_b64 v[13:14], 2, v[13:14]
	s_mov_b32 s0, exec_lo
	v_add_co_u32 v13, vcc_lo, s10, v13
	s_delay_alu instid0(VALU_DEP_2)
	v_add_co_ci_u32_e32 v14, vcc_lo, s11, v14, vcc_lo
	global_store_b32 v[13:14], v2, off
                                        ; implicit-def: $vgpr13_vgpr14
	v_cmpx_ge_u32_e64 v19, v16
	s_xor_b32 s0, exec_lo, s0
; %bb.126:
	v_xor_b32_e32 v13, 0xfffff3ff, v0
	s_delay_alu instid0(VALU_DEP_1) | instskip(SKIP_1) | instid1(VALU_DEP_2)
	v_ashrrev_i32_e32 v14, 31, v13
	v_add_co_u32 v13, vcc_lo, v20, v13
	v_add_co_ci_u32_e32 v14, vcc_lo, v21, v14, vcc_lo
; %bb.127:
	s_and_not1_saveexec_b32 s0, s0
; %bb.128:
	v_add_co_u32 v13, vcc_lo, v15, v19
	v_add_co_ci_u32_e32 v14, vcc_lo, 0, v17, vcc_lo
; %bb.129:
	s_or_b32 exec_lo, exec_lo, s0
	s_mov_b32 s0, -1
	s_branch .LBB1936_210
.LBB1936_130:
                                        ; implicit-def: $vgpr13_vgpr14
	s_cbranch_execz .LBB1936_210
; %bb.131:
	s_mov_b32 s1, exec_lo
	v_cmpx_gt_u32_e64 s22, v0
	s_cbranch_execz .LBB1936_167
; %bb.132:
	s_mov_b32 s2, exec_lo
                                        ; implicit-def: $vgpr13_vgpr14
	v_cmpx_ge_u32_e64 v0, v16
	s_xor_b32 s2, exec_lo, s2
; %bb.133:
	v_not_b32_e32 v13, v0
	s_delay_alu instid0(VALU_DEP_1) | instskip(SKIP_1) | instid1(VALU_DEP_2)
	v_ashrrev_i32_e32 v14, 31, v13
	v_add_co_u32 v13, vcc_lo, v20, v13
	v_add_co_ci_u32_e32 v14, vcc_lo, v21, v14, vcc_lo
; %bb.134:
	s_and_not1_saveexec_b32 s2, s2
; %bb.135:
	v_add_co_u32 v13, vcc_lo, v15, v0
	v_add_co_ci_u32_e32 v14, vcc_lo, 0, v17, vcc_lo
; %bb.136:
	s_or_b32 exec_lo, exec_lo, s2
	s_delay_alu instid0(VALU_DEP_1) | instskip(NEXT) | instid1(VALU_DEP_1)
	v_lshlrev_b64 v[13:14], 2, v[13:14]
	v_add_co_u32 v13, vcc_lo, s10, v13
	s_delay_alu instid0(VALU_DEP_2) | instskip(SKIP_3) | instid1(SALU_CYCLE_1)
	v_add_co_ci_u32_e32 v14, vcc_lo, s11, v14, vcc_lo
	s_waitcnt lgkmcnt(6)
	global_store_b32 v[13:14], v11, off
	s_or_b32 exec_lo, exec_lo, s1
	s_mov_b32 s1, exec_lo
	v_cmpx_gt_u32_e64 s22, v34
	s_cbranch_execnz .LBB1936_168
.LBB1936_137:
	s_or_b32 exec_lo, exec_lo, s1
	s_delay_alu instid0(SALU_CYCLE_1)
	s_mov_b32 s1, exec_lo
	v_cmpx_gt_u32_e64 s22, v33
	s_cbranch_execz .LBB1936_173
.LBB1936_138:
	s_mov_b32 s2, exec_lo
                                        ; implicit-def: $vgpr11_vgpr12
	v_cmpx_ge_u32_e64 v33, v16
	s_xor_b32 s2, exec_lo, s2
	s_cbranch_execz .LBB1936_140
; %bb.139:
	s_waitcnt lgkmcnt(6)
	v_xor_b32_e32 v11, 0xfffffdff, v0
                                        ; implicit-def: $vgpr33
	s_delay_alu instid0(VALU_DEP_1) | instskip(SKIP_1) | instid1(VALU_DEP_2)
	v_ashrrev_i32_e32 v12, 31, v11
	v_add_co_u32 v11, vcc_lo, v20, v11
	v_add_co_ci_u32_e32 v12, vcc_lo, v21, v12, vcc_lo
.LBB1936_140:
	s_and_not1_saveexec_b32 s2, s2
	s_cbranch_execz .LBB1936_142
; %bb.141:
	s_waitcnt lgkmcnt(6)
	v_add_co_u32 v11, vcc_lo, v15, v33
	v_add_co_ci_u32_e32 v12, vcc_lo, 0, v17, vcc_lo
.LBB1936_142:
	s_or_b32 exec_lo, exec_lo, s2
	s_waitcnt lgkmcnt(6)
	s_delay_alu instid0(VALU_DEP_1) | instskip(NEXT) | instid1(VALU_DEP_1)
	v_lshlrev_b64 v[11:12], 2, v[11:12]
	v_add_co_u32 v11, vcc_lo, s10, v11
	s_delay_alu instid0(VALU_DEP_2) | instskip(SKIP_3) | instid1(SALU_CYCLE_1)
	v_add_co_ci_u32_e32 v12, vcc_lo, s11, v12, vcc_lo
	s_waitcnt lgkmcnt(5)
	global_store_b32 v[11:12], v9, off
	s_or_b32 exec_lo, exec_lo, s1
	s_mov_b32 s1, exec_lo
	v_cmpx_gt_u32_e64 s22, v32
	s_cbranch_execnz .LBB1936_174
.LBB1936_143:
	s_or_b32 exec_lo, exec_lo, s1
	s_delay_alu instid0(SALU_CYCLE_1)
	s_mov_b32 s1, exec_lo
	v_cmpx_gt_u32_e64 s22, v29
	s_cbranch_execz .LBB1936_179
.LBB1936_144:
	s_mov_b32 s2, exec_lo
                                        ; implicit-def: $vgpr9_vgpr10
	v_cmpx_ge_u32_e64 v29, v16
	s_xor_b32 s2, exec_lo, s2
	s_cbranch_execz .LBB1936_146
; %bb.145:
	s_waitcnt lgkmcnt(5)
	v_xor_b32_e32 v9, 0xfffffbff, v0
                                        ; implicit-def: $vgpr29
	s_delay_alu instid0(VALU_DEP_1) | instskip(SKIP_1) | instid1(VALU_DEP_2)
	v_ashrrev_i32_e32 v10, 31, v9
	v_add_co_u32 v9, vcc_lo, v20, v9
	v_add_co_ci_u32_e32 v10, vcc_lo, v21, v10, vcc_lo
.LBB1936_146:
	s_and_not1_saveexec_b32 s2, s2
	s_cbranch_execz .LBB1936_148
; %bb.147:
	s_waitcnt lgkmcnt(5)
	v_add_co_u32 v9, vcc_lo, v15, v29
	v_add_co_ci_u32_e32 v10, vcc_lo, 0, v17, vcc_lo
.LBB1936_148:
	s_or_b32 exec_lo, exec_lo, s2
	s_waitcnt lgkmcnt(5)
	s_delay_alu instid0(VALU_DEP_1) | instskip(NEXT) | instid1(VALU_DEP_1)
	v_lshlrev_b64 v[9:10], 2, v[9:10]
	v_add_co_u32 v9, vcc_lo, s10, v9
	s_delay_alu instid0(VALU_DEP_2) | instskip(SKIP_3) | instid1(SALU_CYCLE_1)
	v_add_co_ci_u32_e32 v10, vcc_lo, s11, v10, vcc_lo
	s_waitcnt lgkmcnt(4)
	global_store_b32 v[9:10], v7, off
	s_or_b32 exec_lo, exec_lo, s1
	s_mov_b32 s1, exec_lo
	v_cmpx_gt_u32_e64 s22, v28
	s_cbranch_execnz .LBB1936_180
.LBB1936_149:
	s_or_b32 exec_lo, exec_lo, s1
	s_delay_alu instid0(SALU_CYCLE_1)
	s_mov_b32 s1, exec_lo
	v_cmpx_gt_u32_e64 s22, v27
	s_cbranch_execz .LBB1936_185
.LBB1936_150:
	s_mov_b32 s2, exec_lo
                                        ; implicit-def: $vgpr7_vgpr8
	v_cmpx_ge_u32_e64 v27, v16
	s_xor_b32 s2, exec_lo, s2
	s_cbranch_execz .LBB1936_152
; %bb.151:
	s_waitcnt lgkmcnt(4)
	v_xor_b32_e32 v7, 0xfffff9ff, v0
                                        ; implicit-def: $vgpr27
	s_delay_alu instid0(VALU_DEP_1) | instskip(SKIP_1) | instid1(VALU_DEP_2)
	v_ashrrev_i32_e32 v8, 31, v7
	v_add_co_u32 v7, vcc_lo, v20, v7
	v_add_co_ci_u32_e32 v8, vcc_lo, v21, v8, vcc_lo
.LBB1936_152:
	s_and_not1_saveexec_b32 s2, s2
	s_cbranch_execz .LBB1936_154
; %bb.153:
	s_waitcnt lgkmcnt(4)
	v_add_co_u32 v7, vcc_lo, v15, v27
	v_add_co_ci_u32_e32 v8, vcc_lo, 0, v17, vcc_lo
.LBB1936_154:
	s_or_b32 exec_lo, exec_lo, s2
	s_waitcnt lgkmcnt(4)
	s_delay_alu instid0(VALU_DEP_1) | instskip(NEXT) | instid1(VALU_DEP_1)
	v_lshlrev_b64 v[7:8], 2, v[7:8]
	v_add_co_u32 v7, vcc_lo, s10, v7
	s_delay_alu instid0(VALU_DEP_2) | instskip(SKIP_3) | instid1(SALU_CYCLE_1)
	v_add_co_ci_u32_e32 v8, vcc_lo, s11, v8, vcc_lo
	s_waitcnt lgkmcnt(3)
	global_store_b32 v[7:8], v5, off
	s_or_b32 exec_lo, exec_lo, s1
	s_mov_b32 s1, exec_lo
	v_cmpx_gt_u32_e64 s22, v26
	s_cbranch_execnz .LBB1936_186
.LBB1936_155:
	s_or_b32 exec_lo, exec_lo, s1
	s_delay_alu instid0(SALU_CYCLE_1)
	s_mov_b32 s1, exec_lo
	v_cmpx_gt_u32_e64 s22, v25
	s_cbranch_execz .LBB1936_191
.LBB1936_156:
	s_mov_b32 s2, exec_lo
                                        ; implicit-def: $vgpr5_vgpr6
	v_cmpx_ge_u32_e64 v25, v16
	s_xor_b32 s2, exec_lo, s2
	s_cbranch_execz .LBB1936_158
; %bb.157:
	s_waitcnt lgkmcnt(3)
	v_xor_b32_e32 v5, 0xfffff7ff, v0
                                        ; implicit-def: $vgpr25
	s_delay_alu instid0(VALU_DEP_1) | instskip(SKIP_1) | instid1(VALU_DEP_2)
	v_ashrrev_i32_e32 v6, 31, v5
	v_add_co_u32 v5, vcc_lo, v20, v5
	v_add_co_ci_u32_e32 v6, vcc_lo, v21, v6, vcc_lo
.LBB1936_158:
	s_and_not1_saveexec_b32 s2, s2
	s_cbranch_execz .LBB1936_160
; %bb.159:
	s_waitcnt lgkmcnt(3)
	v_add_co_u32 v5, vcc_lo, v15, v25
	v_add_co_ci_u32_e32 v6, vcc_lo, 0, v17, vcc_lo
.LBB1936_160:
	s_or_b32 exec_lo, exec_lo, s2
	s_waitcnt lgkmcnt(3)
	s_delay_alu instid0(VALU_DEP_1) | instskip(NEXT) | instid1(VALU_DEP_1)
	v_lshlrev_b64 v[5:6], 2, v[5:6]
	v_add_co_u32 v5, vcc_lo, s10, v5
	s_delay_alu instid0(VALU_DEP_2) | instskip(SKIP_3) | instid1(SALU_CYCLE_1)
	v_add_co_ci_u32_e32 v6, vcc_lo, s11, v6, vcc_lo
	s_waitcnt lgkmcnt(2)
	global_store_b32 v[5:6], v3, off
	s_or_b32 exec_lo, exec_lo, s1
	s_mov_b32 s1, exec_lo
	v_cmpx_gt_u32_e64 s22, v24
	s_cbranch_execnz .LBB1936_192
.LBB1936_161:
	s_or_b32 exec_lo, exec_lo, s1
	s_delay_alu instid0(SALU_CYCLE_1)
	s_mov_b32 s1, exec_lo
	v_cmpx_gt_u32_e64 s22, v23
	s_cbranch_execz .LBB1936_197
.LBB1936_162:
	s_mov_b32 s2, exec_lo
                                        ; implicit-def: $vgpr3_vgpr4
	v_cmpx_ge_u32_e64 v23, v16
	s_xor_b32 s2, exec_lo, s2
	s_cbranch_execz .LBB1936_164
; %bb.163:
	s_waitcnt lgkmcnt(2)
	v_xor_b32_e32 v3, 0xfffff5ff, v0
                                        ; implicit-def: $vgpr23
	s_delay_alu instid0(VALU_DEP_1) | instskip(SKIP_1) | instid1(VALU_DEP_2)
	v_ashrrev_i32_e32 v4, 31, v3
	v_add_co_u32 v3, vcc_lo, v20, v3
	v_add_co_ci_u32_e32 v4, vcc_lo, v21, v4, vcc_lo
.LBB1936_164:
	s_and_not1_saveexec_b32 s2, s2
	s_cbranch_execz .LBB1936_166
; %bb.165:
	s_waitcnt lgkmcnt(2)
	v_add_co_u32 v3, vcc_lo, v15, v23
	v_add_co_ci_u32_e32 v4, vcc_lo, 0, v17, vcc_lo
.LBB1936_166:
	s_or_b32 exec_lo, exec_lo, s2
	s_waitcnt lgkmcnt(2)
	s_delay_alu instid0(VALU_DEP_1) | instskip(NEXT) | instid1(VALU_DEP_1)
	v_lshlrev_b64 v[3:4], 2, v[3:4]
	v_add_co_u32 v3, vcc_lo, s10, v3
	s_delay_alu instid0(VALU_DEP_2) | instskip(SKIP_3) | instid1(SALU_CYCLE_1)
	v_add_co_ci_u32_e32 v4, vcc_lo, s11, v4, vcc_lo
	s_waitcnt lgkmcnt(1)
	global_store_b32 v[3:4], v1, off
	s_or_b32 exec_lo, exec_lo, s1
	s_mov_b32 s1, exec_lo
	v_cmpx_gt_u32_e64 s22, v22
	s_cbranch_execz .LBB1936_203
	s_branch .LBB1936_198
.LBB1936_167:
	s_or_b32 exec_lo, exec_lo, s1
	s_delay_alu instid0(SALU_CYCLE_1)
	s_mov_b32 s1, exec_lo
	v_cmpx_gt_u32_e64 s22, v34
	s_cbranch_execz .LBB1936_137
.LBB1936_168:
	s_mov_b32 s2, exec_lo
                                        ; implicit-def: $vgpr13_vgpr14
	v_cmpx_ge_u32_e64 v34, v16
	s_xor_b32 s2, exec_lo, s2
	s_cbranch_execz .LBB1936_170
; %bb.169:
	s_waitcnt lgkmcnt(6)
	v_xor_b32_e32 v11, 0xfffffeff, v0
                                        ; implicit-def: $vgpr34
	s_delay_alu instid0(VALU_DEP_1) | instskip(SKIP_1) | instid1(VALU_DEP_2)
	v_ashrrev_i32_e32 v14, 31, v11
	v_add_co_u32 v13, vcc_lo, v20, v11
	v_add_co_ci_u32_e32 v14, vcc_lo, v21, v14, vcc_lo
.LBB1936_170:
	s_and_not1_saveexec_b32 s2, s2
; %bb.171:
	v_add_co_u32 v13, vcc_lo, v15, v34
	v_add_co_ci_u32_e32 v14, vcc_lo, 0, v17, vcc_lo
; %bb.172:
	s_or_b32 exec_lo, exec_lo, s2
	s_delay_alu instid0(VALU_DEP_1) | instskip(NEXT) | instid1(VALU_DEP_1)
	v_lshlrev_b64 v[13:14], 2, v[13:14]
	v_add_co_u32 v13, vcc_lo, s10, v13
	s_delay_alu instid0(VALU_DEP_2) | instskip(SKIP_3) | instid1(SALU_CYCLE_1)
	v_add_co_ci_u32_e32 v14, vcc_lo, s11, v14, vcc_lo
	s_waitcnt lgkmcnt(6)
	global_store_b32 v[13:14], v12, off
	s_or_b32 exec_lo, exec_lo, s1
	s_mov_b32 s1, exec_lo
	v_cmpx_gt_u32_e64 s22, v33
	s_cbranch_execnz .LBB1936_138
.LBB1936_173:
	s_or_b32 exec_lo, exec_lo, s1
	s_delay_alu instid0(SALU_CYCLE_1)
	s_mov_b32 s1, exec_lo
	v_cmpx_gt_u32_e64 s22, v32
	s_cbranch_execz .LBB1936_143
.LBB1936_174:
	s_mov_b32 s2, exec_lo
                                        ; implicit-def: $vgpr11_vgpr12
	v_cmpx_ge_u32_e64 v32, v16
	s_xor_b32 s2, exec_lo, s2
	s_cbranch_execz .LBB1936_176
; %bb.175:
	s_waitcnt lgkmcnt(5)
	v_xor_b32_e32 v9, 0xfffffcff, v0
                                        ; implicit-def: $vgpr32
	s_delay_alu instid0(VALU_DEP_1) | instskip(SKIP_1) | instid1(VALU_DEP_2)
	v_ashrrev_i32_e32 v12, 31, v9
	v_add_co_u32 v11, vcc_lo, v20, v9
	v_add_co_ci_u32_e32 v12, vcc_lo, v21, v12, vcc_lo
.LBB1936_176:
	s_and_not1_saveexec_b32 s2, s2
	s_cbranch_execz .LBB1936_178
; %bb.177:
	s_waitcnt lgkmcnt(6)
	v_add_co_u32 v11, vcc_lo, v15, v32
	v_add_co_ci_u32_e32 v12, vcc_lo, 0, v17, vcc_lo
.LBB1936_178:
	s_or_b32 exec_lo, exec_lo, s2
	s_waitcnt lgkmcnt(6)
	s_delay_alu instid0(VALU_DEP_1) | instskip(NEXT) | instid1(VALU_DEP_1)
	v_lshlrev_b64 v[11:12], 2, v[11:12]
	v_add_co_u32 v11, vcc_lo, s10, v11
	s_delay_alu instid0(VALU_DEP_2) | instskip(SKIP_3) | instid1(SALU_CYCLE_1)
	v_add_co_ci_u32_e32 v12, vcc_lo, s11, v12, vcc_lo
	s_waitcnt lgkmcnt(5)
	global_store_b32 v[11:12], v10, off
	s_or_b32 exec_lo, exec_lo, s1
	s_mov_b32 s1, exec_lo
	v_cmpx_gt_u32_e64 s22, v29
	s_cbranch_execnz .LBB1936_144
.LBB1936_179:
	s_or_b32 exec_lo, exec_lo, s1
	s_delay_alu instid0(SALU_CYCLE_1)
	s_mov_b32 s1, exec_lo
	v_cmpx_gt_u32_e64 s22, v28
	s_cbranch_execz .LBB1936_149
.LBB1936_180:
	s_mov_b32 s2, exec_lo
                                        ; implicit-def: $vgpr9_vgpr10
	v_cmpx_ge_u32_e64 v28, v16
	s_xor_b32 s2, exec_lo, s2
	s_cbranch_execz .LBB1936_182
; %bb.181:
	s_waitcnt lgkmcnt(4)
	v_xor_b32_e32 v7, 0xfffffaff, v0
                                        ; implicit-def: $vgpr28
	s_delay_alu instid0(VALU_DEP_1) | instskip(SKIP_1) | instid1(VALU_DEP_2)
	v_ashrrev_i32_e32 v10, 31, v7
	v_add_co_u32 v9, vcc_lo, v20, v7
	v_add_co_ci_u32_e32 v10, vcc_lo, v21, v10, vcc_lo
.LBB1936_182:
	s_and_not1_saveexec_b32 s2, s2
	s_cbranch_execz .LBB1936_184
; %bb.183:
	s_waitcnt lgkmcnt(5)
	v_add_co_u32 v9, vcc_lo, v15, v28
	v_add_co_ci_u32_e32 v10, vcc_lo, 0, v17, vcc_lo
.LBB1936_184:
	s_or_b32 exec_lo, exec_lo, s2
	s_waitcnt lgkmcnt(5)
	s_delay_alu instid0(VALU_DEP_1) | instskip(NEXT) | instid1(VALU_DEP_1)
	v_lshlrev_b64 v[9:10], 2, v[9:10]
	v_add_co_u32 v9, vcc_lo, s10, v9
	s_delay_alu instid0(VALU_DEP_2) | instskip(SKIP_3) | instid1(SALU_CYCLE_1)
	v_add_co_ci_u32_e32 v10, vcc_lo, s11, v10, vcc_lo
	s_waitcnt lgkmcnt(4)
	global_store_b32 v[9:10], v8, off
	s_or_b32 exec_lo, exec_lo, s1
	s_mov_b32 s1, exec_lo
	v_cmpx_gt_u32_e64 s22, v27
	s_cbranch_execnz .LBB1936_150
.LBB1936_185:
	s_or_b32 exec_lo, exec_lo, s1
	s_delay_alu instid0(SALU_CYCLE_1)
	s_mov_b32 s1, exec_lo
	v_cmpx_gt_u32_e64 s22, v26
	s_cbranch_execz .LBB1936_155
.LBB1936_186:
	s_mov_b32 s2, exec_lo
                                        ; implicit-def: $vgpr7_vgpr8
	v_cmpx_ge_u32_e64 v26, v16
	s_xor_b32 s2, exec_lo, s2
	s_cbranch_execz .LBB1936_188
; %bb.187:
	s_waitcnt lgkmcnt(3)
	v_xor_b32_e32 v5, 0xfffff8ff, v0
                                        ; implicit-def: $vgpr26
	s_delay_alu instid0(VALU_DEP_1) | instskip(SKIP_1) | instid1(VALU_DEP_2)
	v_ashrrev_i32_e32 v8, 31, v5
	v_add_co_u32 v7, vcc_lo, v20, v5
	v_add_co_ci_u32_e32 v8, vcc_lo, v21, v8, vcc_lo
.LBB1936_188:
	s_and_not1_saveexec_b32 s2, s2
	s_cbranch_execz .LBB1936_190
; %bb.189:
	s_waitcnt lgkmcnt(4)
	v_add_co_u32 v7, vcc_lo, v15, v26
	v_add_co_ci_u32_e32 v8, vcc_lo, 0, v17, vcc_lo
.LBB1936_190:
	s_or_b32 exec_lo, exec_lo, s2
	s_waitcnt lgkmcnt(4)
	s_delay_alu instid0(VALU_DEP_1) | instskip(NEXT) | instid1(VALU_DEP_1)
	v_lshlrev_b64 v[7:8], 2, v[7:8]
	v_add_co_u32 v7, vcc_lo, s10, v7
	s_delay_alu instid0(VALU_DEP_2) | instskip(SKIP_3) | instid1(SALU_CYCLE_1)
	v_add_co_ci_u32_e32 v8, vcc_lo, s11, v8, vcc_lo
	s_waitcnt lgkmcnt(3)
	global_store_b32 v[7:8], v6, off
	s_or_b32 exec_lo, exec_lo, s1
	s_mov_b32 s1, exec_lo
	v_cmpx_gt_u32_e64 s22, v25
	s_cbranch_execnz .LBB1936_156
.LBB1936_191:
	s_or_b32 exec_lo, exec_lo, s1
	s_delay_alu instid0(SALU_CYCLE_1)
	s_mov_b32 s1, exec_lo
	v_cmpx_gt_u32_e64 s22, v24
	s_cbranch_execz .LBB1936_161
.LBB1936_192:
	s_mov_b32 s2, exec_lo
                                        ; implicit-def: $vgpr5_vgpr6
	v_cmpx_ge_u32_e64 v24, v16
	s_xor_b32 s2, exec_lo, s2
	s_cbranch_execz .LBB1936_194
; %bb.193:
	s_waitcnt lgkmcnt(2)
	v_xor_b32_e32 v3, 0xfffff6ff, v0
                                        ; implicit-def: $vgpr24
	s_delay_alu instid0(VALU_DEP_1) | instskip(SKIP_1) | instid1(VALU_DEP_2)
	v_ashrrev_i32_e32 v6, 31, v3
	v_add_co_u32 v5, vcc_lo, v20, v3
	v_add_co_ci_u32_e32 v6, vcc_lo, v21, v6, vcc_lo
.LBB1936_194:
	s_and_not1_saveexec_b32 s2, s2
	s_cbranch_execz .LBB1936_196
; %bb.195:
	s_waitcnt lgkmcnt(3)
	v_add_co_u32 v5, vcc_lo, v15, v24
	v_add_co_ci_u32_e32 v6, vcc_lo, 0, v17, vcc_lo
.LBB1936_196:
	s_or_b32 exec_lo, exec_lo, s2
	s_waitcnt lgkmcnt(3)
	s_delay_alu instid0(VALU_DEP_1) | instskip(NEXT) | instid1(VALU_DEP_1)
	v_lshlrev_b64 v[5:6], 2, v[5:6]
	v_add_co_u32 v5, vcc_lo, s10, v5
	s_delay_alu instid0(VALU_DEP_2) | instskip(SKIP_3) | instid1(SALU_CYCLE_1)
	v_add_co_ci_u32_e32 v6, vcc_lo, s11, v6, vcc_lo
	s_waitcnt lgkmcnt(2)
	global_store_b32 v[5:6], v4, off
	s_or_b32 exec_lo, exec_lo, s1
	s_mov_b32 s1, exec_lo
	v_cmpx_gt_u32_e64 s22, v23
	s_cbranch_execnz .LBB1936_162
.LBB1936_197:
	s_or_b32 exec_lo, exec_lo, s1
	s_delay_alu instid0(SALU_CYCLE_1)
	s_mov_b32 s1, exec_lo
	v_cmpx_gt_u32_e64 s22, v22
	s_cbranch_execz .LBB1936_203
.LBB1936_198:
	s_mov_b32 s2, exec_lo
                                        ; implicit-def: $vgpr3_vgpr4
	v_cmpx_ge_u32_e64 v22, v16
	s_xor_b32 s2, exec_lo, s2
	s_cbranch_execz .LBB1936_200
; %bb.199:
	s_waitcnt lgkmcnt(1)
	v_xor_b32_e32 v1, 0xfffff4ff, v0
                                        ; implicit-def: $vgpr22
	s_delay_alu instid0(VALU_DEP_1) | instskip(SKIP_1) | instid1(VALU_DEP_2)
	v_ashrrev_i32_e32 v4, 31, v1
	v_add_co_u32 v3, vcc_lo, v20, v1
	v_add_co_ci_u32_e32 v4, vcc_lo, v21, v4, vcc_lo
.LBB1936_200:
	s_and_not1_saveexec_b32 s2, s2
	s_cbranch_execz .LBB1936_202
; %bb.201:
	s_waitcnt lgkmcnt(2)
	v_add_co_u32 v3, vcc_lo, v15, v22
	v_add_co_ci_u32_e32 v4, vcc_lo, 0, v17, vcc_lo
.LBB1936_202:
	s_or_b32 exec_lo, exec_lo, s2
	s_waitcnt lgkmcnt(2)
	s_delay_alu instid0(VALU_DEP_1) | instskip(NEXT) | instid1(VALU_DEP_1)
	v_lshlrev_b64 v[3:4], 2, v[3:4]
	v_add_co_u32 v3, vcc_lo, s10, v3
	s_delay_alu instid0(VALU_DEP_2)
	v_add_co_ci_u32_e32 v4, vcc_lo, s11, v4, vcc_lo
	s_waitcnt lgkmcnt(1)
	global_store_b32 v[3:4], v2, off
.LBB1936_203:
	s_or_b32 exec_lo, exec_lo, s1
	s_delay_alu instid0(SALU_CYCLE_1)
	s_mov_b32 s1, exec_lo
                                        ; implicit-def: $vgpr13_vgpr14
	v_cmpx_gt_u32_e64 s22, v19
	s_cbranch_execz .LBB1936_209
; %bb.204:
	s_mov_b32 s2, exec_lo
                                        ; implicit-def: $vgpr13_vgpr14
	v_cmpx_ge_u32_e64 v19, v16
	s_xor_b32 s2, exec_lo, s2
	s_cbranch_execz .LBB1936_206
; %bb.205:
	s_waitcnt lgkmcnt(1)
	v_xor_b32_e32 v1, 0xfffff3ff, v0
                                        ; implicit-def: $vgpr19
	s_delay_alu instid0(VALU_DEP_1) | instskip(SKIP_1) | instid1(VALU_DEP_2)
	v_ashrrev_i32_e32 v2, 31, v1
	v_add_co_u32 v13, vcc_lo, v20, v1
	v_add_co_ci_u32_e32 v14, vcc_lo, v21, v2, vcc_lo
.LBB1936_206:
	s_and_not1_saveexec_b32 s2, s2
; %bb.207:
	v_add_co_u32 v13, vcc_lo, v15, v19
	v_add_co_ci_u32_e32 v14, vcc_lo, 0, v17, vcc_lo
; %bb.208:
	s_or_b32 exec_lo, exec_lo, s2
	s_delay_alu instid0(SALU_CYCLE_1)
	s_or_b32 s0, s0, exec_lo
.LBB1936_209:
	s_or_b32 exec_lo, exec_lo, s1
.LBB1936_210:
	s_and_saveexec_b32 s1, s0
	s_cbranch_execz .LBB1936_212
; %bb.211:
	s_waitcnt lgkmcnt(1)
	v_lshlrev_b64 v[1:2], 2, v[13:14]
	s_delay_alu instid0(VALU_DEP_1) | instskip(NEXT) | instid1(VALU_DEP_2)
	v_add_co_u32 v1, vcc_lo, s10, v1
	v_add_co_ci_u32_e32 v2, vcc_lo, s11, v2, vcc_lo
	s_waitcnt lgkmcnt(0)
	global_store_b32 v[1:2], v18, off
.LBB1936_212:
	s_or_b32 exec_lo, exec_lo, s1
	v_cmp_eq_u32_e32 vcc_lo, 0, v0
	s_and_b32 s0, vcc_lo, s14
	s_delay_alu instid0(SALU_CYCLE_1)
	s_and_saveexec_b32 s1, s0
	s_cbranch_execz .LBB1936_214
; %bb.213:
	v_add_co_u32 v0, vcc_lo, v15, v16
	s_waitcnt lgkmcnt(1)
	v_mov_b32_e32 v2, 0
	v_add_co_ci_u32_e32 v1, vcc_lo, 0, v17, vcc_lo
	global_store_b64 v2, v[0:1], s[8:9]
.LBB1936_214:
	s_nop 0
	s_sendmsg sendmsg(MSG_DEALLOC_VGPRS)
	s_endpgm
	.section	.rodata,"a",@progbits
	.p2align	6, 0x0
	.amdhsa_kernel _ZN7rocprim17ROCPRIM_400000_NS6detail17trampoline_kernelINS0_13select_configILj256ELj13ELNS0_17block_load_methodE3ELS4_3ELS4_3ELNS0_20block_scan_algorithmE0ELj4294967295EEENS1_25partition_config_selectorILNS1_17partition_subalgoE3EjNS0_10empty_typeEbEEZZNS1_14partition_implILS8_3ELb0ES6_jNS0_17counting_iteratorIjlEEPS9_SE_NS0_5tupleIJPjSE_EEENSF_IJSE_SE_EEES9_SG_JZNS1_25segmented_radix_sort_implINS0_14default_configELb1EPK12hip_bfloat16PSL_PKlPlN2at6native12_GLOBAL__N_18offset_tEEE10hipError_tPvRmT1_PNSt15iterator_traitsISZ_E10value_typeET2_T3_PNS10_IS15_E10value_typeET4_jRbjT5_S1B_jjP12ihipStream_tbEUljE_EEESW_SX_SY_S15_S19_S1B_T6_T7_T9_mT8_S1D_bDpT10_ENKUlT_T0_E_clISt17integral_constantIbLb1EES1P_IbLb0EEEEDaS1L_S1M_EUlS1L_E_NS1_11comp_targetILNS1_3genE9ELNS1_11target_archE1100ELNS1_3gpuE3ELNS1_3repE0EEENS1_30default_config_static_selectorELNS0_4arch9wavefront6targetE0EEEvSZ_
		.amdhsa_group_segment_fixed_size 13324
		.amdhsa_private_segment_fixed_size 0
		.amdhsa_kernarg_size 144
		.amdhsa_user_sgpr_count 15
		.amdhsa_user_sgpr_dispatch_ptr 0
		.amdhsa_user_sgpr_queue_ptr 0
		.amdhsa_user_sgpr_kernarg_segment_ptr 1
		.amdhsa_user_sgpr_dispatch_id 0
		.amdhsa_user_sgpr_private_segment_size 0
		.amdhsa_wavefront_size32 1
		.amdhsa_uses_dynamic_stack 0
		.amdhsa_enable_private_segment 0
		.amdhsa_system_sgpr_workgroup_id_x 1
		.amdhsa_system_sgpr_workgroup_id_y 0
		.amdhsa_system_sgpr_workgroup_id_z 0
		.amdhsa_system_sgpr_workgroup_info 0
		.amdhsa_system_vgpr_workitem_id 0
		.amdhsa_next_free_vgpr 57
		.amdhsa_next_free_sgpr 28
		.amdhsa_reserve_vcc 1
		.amdhsa_float_round_mode_32 0
		.amdhsa_float_round_mode_16_64 0
		.amdhsa_float_denorm_mode_32 3
		.amdhsa_float_denorm_mode_16_64 3
		.amdhsa_dx10_clamp 1
		.amdhsa_ieee_mode 1
		.amdhsa_fp16_overflow 0
		.amdhsa_workgroup_processor_mode 1
		.amdhsa_memory_ordered 1
		.amdhsa_forward_progress 0
		.amdhsa_shared_vgpr_count 0
		.amdhsa_exception_fp_ieee_invalid_op 0
		.amdhsa_exception_fp_denorm_src 0
		.amdhsa_exception_fp_ieee_div_zero 0
		.amdhsa_exception_fp_ieee_overflow 0
		.amdhsa_exception_fp_ieee_underflow 0
		.amdhsa_exception_fp_ieee_inexact 0
		.amdhsa_exception_int_div_zero 0
	.end_amdhsa_kernel
	.section	.text._ZN7rocprim17ROCPRIM_400000_NS6detail17trampoline_kernelINS0_13select_configILj256ELj13ELNS0_17block_load_methodE3ELS4_3ELS4_3ELNS0_20block_scan_algorithmE0ELj4294967295EEENS1_25partition_config_selectorILNS1_17partition_subalgoE3EjNS0_10empty_typeEbEEZZNS1_14partition_implILS8_3ELb0ES6_jNS0_17counting_iteratorIjlEEPS9_SE_NS0_5tupleIJPjSE_EEENSF_IJSE_SE_EEES9_SG_JZNS1_25segmented_radix_sort_implINS0_14default_configELb1EPK12hip_bfloat16PSL_PKlPlN2at6native12_GLOBAL__N_18offset_tEEE10hipError_tPvRmT1_PNSt15iterator_traitsISZ_E10value_typeET2_T3_PNS10_IS15_E10value_typeET4_jRbjT5_S1B_jjP12ihipStream_tbEUljE_EEESW_SX_SY_S15_S19_S1B_T6_T7_T9_mT8_S1D_bDpT10_ENKUlT_T0_E_clISt17integral_constantIbLb1EES1P_IbLb0EEEEDaS1L_S1M_EUlS1L_E_NS1_11comp_targetILNS1_3genE9ELNS1_11target_archE1100ELNS1_3gpuE3ELNS1_3repE0EEENS1_30default_config_static_selectorELNS0_4arch9wavefront6targetE0EEEvSZ_,"axG",@progbits,_ZN7rocprim17ROCPRIM_400000_NS6detail17trampoline_kernelINS0_13select_configILj256ELj13ELNS0_17block_load_methodE3ELS4_3ELS4_3ELNS0_20block_scan_algorithmE0ELj4294967295EEENS1_25partition_config_selectorILNS1_17partition_subalgoE3EjNS0_10empty_typeEbEEZZNS1_14partition_implILS8_3ELb0ES6_jNS0_17counting_iteratorIjlEEPS9_SE_NS0_5tupleIJPjSE_EEENSF_IJSE_SE_EEES9_SG_JZNS1_25segmented_radix_sort_implINS0_14default_configELb1EPK12hip_bfloat16PSL_PKlPlN2at6native12_GLOBAL__N_18offset_tEEE10hipError_tPvRmT1_PNSt15iterator_traitsISZ_E10value_typeET2_T3_PNS10_IS15_E10value_typeET4_jRbjT5_S1B_jjP12ihipStream_tbEUljE_EEESW_SX_SY_S15_S19_S1B_T6_T7_T9_mT8_S1D_bDpT10_ENKUlT_T0_E_clISt17integral_constantIbLb1EES1P_IbLb0EEEEDaS1L_S1M_EUlS1L_E_NS1_11comp_targetILNS1_3genE9ELNS1_11target_archE1100ELNS1_3gpuE3ELNS1_3repE0EEENS1_30default_config_static_selectorELNS0_4arch9wavefront6targetE0EEEvSZ_,comdat
.Lfunc_end1936:
	.size	_ZN7rocprim17ROCPRIM_400000_NS6detail17trampoline_kernelINS0_13select_configILj256ELj13ELNS0_17block_load_methodE3ELS4_3ELS4_3ELNS0_20block_scan_algorithmE0ELj4294967295EEENS1_25partition_config_selectorILNS1_17partition_subalgoE3EjNS0_10empty_typeEbEEZZNS1_14partition_implILS8_3ELb0ES6_jNS0_17counting_iteratorIjlEEPS9_SE_NS0_5tupleIJPjSE_EEENSF_IJSE_SE_EEES9_SG_JZNS1_25segmented_radix_sort_implINS0_14default_configELb1EPK12hip_bfloat16PSL_PKlPlN2at6native12_GLOBAL__N_18offset_tEEE10hipError_tPvRmT1_PNSt15iterator_traitsISZ_E10value_typeET2_T3_PNS10_IS15_E10value_typeET4_jRbjT5_S1B_jjP12ihipStream_tbEUljE_EEESW_SX_SY_S15_S19_S1B_T6_T7_T9_mT8_S1D_bDpT10_ENKUlT_T0_E_clISt17integral_constantIbLb1EES1P_IbLb0EEEEDaS1L_S1M_EUlS1L_E_NS1_11comp_targetILNS1_3genE9ELNS1_11target_archE1100ELNS1_3gpuE3ELNS1_3repE0EEENS1_30default_config_static_selectorELNS0_4arch9wavefront6targetE0EEEvSZ_, .Lfunc_end1936-_ZN7rocprim17ROCPRIM_400000_NS6detail17trampoline_kernelINS0_13select_configILj256ELj13ELNS0_17block_load_methodE3ELS4_3ELS4_3ELNS0_20block_scan_algorithmE0ELj4294967295EEENS1_25partition_config_selectorILNS1_17partition_subalgoE3EjNS0_10empty_typeEbEEZZNS1_14partition_implILS8_3ELb0ES6_jNS0_17counting_iteratorIjlEEPS9_SE_NS0_5tupleIJPjSE_EEENSF_IJSE_SE_EEES9_SG_JZNS1_25segmented_radix_sort_implINS0_14default_configELb1EPK12hip_bfloat16PSL_PKlPlN2at6native12_GLOBAL__N_18offset_tEEE10hipError_tPvRmT1_PNSt15iterator_traitsISZ_E10value_typeET2_T3_PNS10_IS15_E10value_typeET4_jRbjT5_S1B_jjP12ihipStream_tbEUljE_EEESW_SX_SY_S15_S19_S1B_T6_T7_T9_mT8_S1D_bDpT10_ENKUlT_T0_E_clISt17integral_constantIbLb1EES1P_IbLb0EEEEDaS1L_S1M_EUlS1L_E_NS1_11comp_targetILNS1_3genE9ELNS1_11target_archE1100ELNS1_3gpuE3ELNS1_3repE0EEENS1_30default_config_static_selectorELNS0_4arch9wavefront6targetE0EEEvSZ_
                                        ; -- End function
	.section	.AMDGPU.csdata,"",@progbits
; Kernel info:
; codeLenInByte = 8964
; NumSgprs: 30
; NumVgprs: 57
; ScratchSize: 0
; MemoryBound: 0
; FloatMode: 240
; IeeeMode: 1
; LDSByteSize: 13324 bytes/workgroup (compile time only)
; SGPRBlocks: 3
; VGPRBlocks: 7
; NumSGPRsForWavesPerEU: 30
; NumVGPRsForWavesPerEU: 57
; Occupancy: 16
; WaveLimiterHint : 0
; COMPUTE_PGM_RSRC2:SCRATCH_EN: 0
; COMPUTE_PGM_RSRC2:USER_SGPR: 15
; COMPUTE_PGM_RSRC2:TRAP_HANDLER: 0
; COMPUTE_PGM_RSRC2:TGID_X_EN: 1
; COMPUTE_PGM_RSRC2:TGID_Y_EN: 0
; COMPUTE_PGM_RSRC2:TGID_Z_EN: 0
; COMPUTE_PGM_RSRC2:TIDIG_COMP_CNT: 0
	.section	.text._ZN7rocprim17ROCPRIM_400000_NS6detail17trampoline_kernelINS0_13select_configILj256ELj13ELNS0_17block_load_methodE3ELS4_3ELS4_3ELNS0_20block_scan_algorithmE0ELj4294967295EEENS1_25partition_config_selectorILNS1_17partition_subalgoE3EjNS0_10empty_typeEbEEZZNS1_14partition_implILS8_3ELb0ES6_jNS0_17counting_iteratorIjlEEPS9_SE_NS0_5tupleIJPjSE_EEENSF_IJSE_SE_EEES9_SG_JZNS1_25segmented_radix_sort_implINS0_14default_configELb1EPK12hip_bfloat16PSL_PKlPlN2at6native12_GLOBAL__N_18offset_tEEE10hipError_tPvRmT1_PNSt15iterator_traitsISZ_E10value_typeET2_T3_PNS10_IS15_E10value_typeET4_jRbjT5_S1B_jjP12ihipStream_tbEUljE_EEESW_SX_SY_S15_S19_S1B_T6_T7_T9_mT8_S1D_bDpT10_ENKUlT_T0_E_clISt17integral_constantIbLb1EES1P_IbLb0EEEEDaS1L_S1M_EUlS1L_E_NS1_11comp_targetILNS1_3genE8ELNS1_11target_archE1030ELNS1_3gpuE2ELNS1_3repE0EEENS1_30default_config_static_selectorELNS0_4arch9wavefront6targetE0EEEvSZ_,"axG",@progbits,_ZN7rocprim17ROCPRIM_400000_NS6detail17trampoline_kernelINS0_13select_configILj256ELj13ELNS0_17block_load_methodE3ELS4_3ELS4_3ELNS0_20block_scan_algorithmE0ELj4294967295EEENS1_25partition_config_selectorILNS1_17partition_subalgoE3EjNS0_10empty_typeEbEEZZNS1_14partition_implILS8_3ELb0ES6_jNS0_17counting_iteratorIjlEEPS9_SE_NS0_5tupleIJPjSE_EEENSF_IJSE_SE_EEES9_SG_JZNS1_25segmented_radix_sort_implINS0_14default_configELb1EPK12hip_bfloat16PSL_PKlPlN2at6native12_GLOBAL__N_18offset_tEEE10hipError_tPvRmT1_PNSt15iterator_traitsISZ_E10value_typeET2_T3_PNS10_IS15_E10value_typeET4_jRbjT5_S1B_jjP12ihipStream_tbEUljE_EEESW_SX_SY_S15_S19_S1B_T6_T7_T9_mT8_S1D_bDpT10_ENKUlT_T0_E_clISt17integral_constantIbLb1EES1P_IbLb0EEEEDaS1L_S1M_EUlS1L_E_NS1_11comp_targetILNS1_3genE8ELNS1_11target_archE1030ELNS1_3gpuE2ELNS1_3repE0EEENS1_30default_config_static_selectorELNS0_4arch9wavefront6targetE0EEEvSZ_,comdat
	.globl	_ZN7rocprim17ROCPRIM_400000_NS6detail17trampoline_kernelINS0_13select_configILj256ELj13ELNS0_17block_load_methodE3ELS4_3ELS4_3ELNS0_20block_scan_algorithmE0ELj4294967295EEENS1_25partition_config_selectorILNS1_17partition_subalgoE3EjNS0_10empty_typeEbEEZZNS1_14partition_implILS8_3ELb0ES6_jNS0_17counting_iteratorIjlEEPS9_SE_NS0_5tupleIJPjSE_EEENSF_IJSE_SE_EEES9_SG_JZNS1_25segmented_radix_sort_implINS0_14default_configELb1EPK12hip_bfloat16PSL_PKlPlN2at6native12_GLOBAL__N_18offset_tEEE10hipError_tPvRmT1_PNSt15iterator_traitsISZ_E10value_typeET2_T3_PNS10_IS15_E10value_typeET4_jRbjT5_S1B_jjP12ihipStream_tbEUljE_EEESW_SX_SY_S15_S19_S1B_T6_T7_T9_mT8_S1D_bDpT10_ENKUlT_T0_E_clISt17integral_constantIbLb1EES1P_IbLb0EEEEDaS1L_S1M_EUlS1L_E_NS1_11comp_targetILNS1_3genE8ELNS1_11target_archE1030ELNS1_3gpuE2ELNS1_3repE0EEENS1_30default_config_static_selectorELNS0_4arch9wavefront6targetE0EEEvSZ_ ; -- Begin function _ZN7rocprim17ROCPRIM_400000_NS6detail17trampoline_kernelINS0_13select_configILj256ELj13ELNS0_17block_load_methodE3ELS4_3ELS4_3ELNS0_20block_scan_algorithmE0ELj4294967295EEENS1_25partition_config_selectorILNS1_17partition_subalgoE3EjNS0_10empty_typeEbEEZZNS1_14partition_implILS8_3ELb0ES6_jNS0_17counting_iteratorIjlEEPS9_SE_NS0_5tupleIJPjSE_EEENSF_IJSE_SE_EEES9_SG_JZNS1_25segmented_radix_sort_implINS0_14default_configELb1EPK12hip_bfloat16PSL_PKlPlN2at6native12_GLOBAL__N_18offset_tEEE10hipError_tPvRmT1_PNSt15iterator_traitsISZ_E10value_typeET2_T3_PNS10_IS15_E10value_typeET4_jRbjT5_S1B_jjP12ihipStream_tbEUljE_EEESW_SX_SY_S15_S19_S1B_T6_T7_T9_mT8_S1D_bDpT10_ENKUlT_T0_E_clISt17integral_constantIbLb1EES1P_IbLb0EEEEDaS1L_S1M_EUlS1L_E_NS1_11comp_targetILNS1_3genE8ELNS1_11target_archE1030ELNS1_3gpuE2ELNS1_3repE0EEENS1_30default_config_static_selectorELNS0_4arch9wavefront6targetE0EEEvSZ_
	.p2align	8
	.type	_ZN7rocprim17ROCPRIM_400000_NS6detail17trampoline_kernelINS0_13select_configILj256ELj13ELNS0_17block_load_methodE3ELS4_3ELS4_3ELNS0_20block_scan_algorithmE0ELj4294967295EEENS1_25partition_config_selectorILNS1_17partition_subalgoE3EjNS0_10empty_typeEbEEZZNS1_14partition_implILS8_3ELb0ES6_jNS0_17counting_iteratorIjlEEPS9_SE_NS0_5tupleIJPjSE_EEENSF_IJSE_SE_EEES9_SG_JZNS1_25segmented_radix_sort_implINS0_14default_configELb1EPK12hip_bfloat16PSL_PKlPlN2at6native12_GLOBAL__N_18offset_tEEE10hipError_tPvRmT1_PNSt15iterator_traitsISZ_E10value_typeET2_T3_PNS10_IS15_E10value_typeET4_jRbjT5_S1B_jjP12ihipStream_tbEUljE_EEESW_SX_SY_S15_S19_S1B_T6_T7_T9_mT8_S1D_bDpT10_ENKUlT_T0_E_clISt17integral_constantIbLb1EES1P_IbLb0EEEEDaS1L_S1M_EUlS1L_E_NS1_11comp_targetILNS1_3genE8ELNS1_11target_archE1030ELNS1_3gpuE2ELNS1_3repE0EEENS1_30default_config_static_selectorELNS0_4arch9wavefront6targetE0EEEvSZ_,@function
_ZN7rocprim17ROCPRIM_400000_NS6detail17trampoline_kernelINS0_13select_configILj256ELj13ELNS0_17block_load_methodE3ELS4_3ELS4_3ELNS0_20block_scan_algorithmE0ELj4294967295EEENS1_25partition_config_selectorILNS1_17partition_subalgoE3EjNS0_10empty_typeEbEEZZNS1_14partition_implILS8_3ELb0ES6_jNS0_17counting_iteratorIjlEEPS9_SE_NS0_5tupleIJPjSE_EEENSF_IJSE_SE_EEES9_SG_JZNS1_25segmented_radix_sort_implINS0_14default_configELb1EPK12hip_bfloat16PSL_PKlPlN2at6native12_GLOBAL__N_18offset_tEEE10hipError_tPvRmT1_PNSt15iterator_traitsISZ_E10value_typeET2_T3_PNS10_IS15_E10value_typeET4_jRbjT5_S1B_jjP12ihipStream_tbEUljE_EEESW_SX_SY_S15_S19_S1B_T6_T7_T9_mT8_S1D_bDpT10_ENKUlT_T0_E_clISt17integral_constantIbLb1EES1P_IbLb0EEEEDaS1L_S1M_EUlS1L_E_NS1_11comp_targetILNS1_3genE8ELNS1_11target_archE1030ELNS1_3gpuE2ELNS1_3repE0EEENS1_30default_config_static_selectorELNS0_4arch9wavefront6targetE0EEEvSZ_: ; @_ZN7rocprim17ROCPRIM_400000_NS6detail17trampoline_kernelINS0_13select_configILj256ELj13ELNS0_17block_load_methodE3ELS4_3ELS4_3ELNS0_20block_scan_algorithmE0ELj4294967295EEENS1_25partition_config_selectorILNS1_17partition_subalgoE3EjNS0_10empty_typeEbEEZZNS1_14partition_implILS8_3ELb0ES6_jNS0_17counting_iteratorIjlEEPS9_SE_NS0_5tupleIJPjSE_EEENSF_IJSE_SE_EEES9_SG_JZNS1_25segmented_radix_sort_implINS0_14default_configELb1EPK12hip_bfloat16PSL_PKlPlN2at6native12_GLOBAL__N_18offset_tEEE10hipError_tPvRmT1_PNSt15iterator_traitsISZ_E10value_typeET2_T3_PNS10_IS15_E10value_typeET4_jRbjT5_S1B_jjP12ihipStream_tbEUljE_EEESW_SX_SY_S15_S19_S1B_T6_T7_T9_mT8_S1D_bDpT10_ENKUlT_T0_E_clISt17integral_constantIbLb1EES1P_IbLb0EEEEDaS1L_S1M_EUlS1L_E_NS1_11comp_targetILNS1_3genE8ELNS1_11target_archE1030ELNS1_3gpuE2ELNS1_3repE0EEENS1_30default_config_static_selectorELNS0_4arch9wavefront6targetE0EEEvSZ_
; %bb.0:
	.section	.rodata,"a",@progbits
	.p2align	6, 0x0
	.amdhsa_kernel _ZN7rocprim17ROCPRIM_400000_NS6detail17trampoline_kernelINS0_13select_configILj256ELj13ELNS0_17block_load_methodE3ELS4_3ELS4_3ELNS0_20block_scan_algorithmE0ELj4294967295EEENS1_25partition_config_selectorILNS1_17partition_subalgoE3EjNS0_10empty_typeEbEEZZNS1_14partition_implILS8_3ELb0ES6_jNS0_17counting_iteratorIjlEEPS9_SE_NS0_5tupleIJPjSE_EEENSF_IJSE_SE_EEES9_SG_JZNS1_25segmented_radix_sort_implINS0_14default_configELb1EPK12hip_bfloat16PSL_PKlPlN2at6native12_GLOBAL__N_18offset_tEEE10hipError_tPvRmT1_PNSt15iterator_traitsISZ_E10value_typeET2_T3_PNS10_IS15_E10value_typeET4_jRbjT5_S1B_jjP12ihipStream_tbEUljE_EEESW_SX_SY_S15_S19_S1B_T6_T7_T9_mT8_S1D_bDpT10_ENKUlT_T0_E_clISt17integral_constantIbLb1EES1P_IbLb0EEEEDaS1L_S1M_EUlS1L_E_NS1_11comp_targetILNS1_3genE8ELNS1_11target_archE1030ELNS1_3gpuE2ELNS1_3repE0EEENS1_30default_config_static_selectorELNS0_4arch9wavefront6targetE0EEEvSZ_
		.amdhsa_group_segment_fixed_size 0
		.amdhsa_private_segment_fixed_size 0
		.amdhsa_kernarg_size 144
		.amdhsa_user_sgpr_count 15
		.amdhsa_user_sgpr_dispatch_ptr 0
		.amdhsa_user_sgpr_queue_ptr 0
		.amdhsa_user_sgpr_kernarg_segment_ptr 1
		.amdhsa_user_sgpr_dispatch_id 0
		.amdhsa_user_sgpr_private_segment_size 0
		.amdhsa_wavefront_size32 1
		.amdhsa_uses_dynamic_stack 0
		.amdhsa_enable_private_segment 0
		.amdhsa_system_sgpr_workgroup_id_x 1
		.amdhsa_system_sgpr_workgroup_id_y 0
		.amdhsa_system_sgpr_workgroup_id_z 0
		.amdhsa_system_sgpr_workgroup_info 0
		.amdhsa_system_vgpr_workitem_id 0
		.amdhsa_next_free_vgpr 1
		.amdhsa_next_free_sgpr 1
		.amdhsa_reserve_vcc 0
		.amdhsa_float_round_mode_32 0
		.amdhsa_float_round_mode_16_64 0
		.amdhsa_float_denorm_mode_32 3
		.amdhsa_float_denorm_mode_16_64 3
		.amdhsa_dx10_clamp 1
		.amdhsa_ieee_mode 1
		.amdhsa_fp16_overflow 0
		.amdhsa_workgroup_processor_mode 1
		.amdhsa_memory_ordered 1
		.amdhsa_forward_progress 0
		.amdhsa_shared_vgpr_count 0
		.amdhsa_exception_fp_ieee_invalid_op 0
		.amdhsa_exception_fp_denorm_src 0
		.amdhsa_exception_fp_ieee_div_zero 0
		.amdhsa_exception_fp_ieee_overflow 0
		.amdhsa_exception_fp_ieee_underflow 0
		.amdhsa_exception_fp_ieee_inexact 0
		.amdhsa_exception_int_div_zero 0
	.end_amdhsa_kernel
	.section	.text._ZN7rocprim17ROCPRIM_400000_NS6detail17trampoline_kernelINS0_13select_configILj256ELj13ELNS0_17block_load_methodE3ELS4_3ELS4_3ELNS0_20block_scan_algorithmE0ELj4294967295EEENS1_25partition_config_selectorILNS1_17partition_subalgoE3EjNS0_10empty_typeEbEEZZNS1_14partition_implILS8_3ELb0ES6_jNS0_17counting_iteratorIjlEEPS9_SE_NS0_5tupleIJPjSE_EEENSF_IJSE_SE_EEES9_SG_JZNS1_25segmented_radix_sort_implINS0_14default_configELb1EPK12hip_bfloat16PSL_PKlPlN2at6native12_GLOBAL__N_18offset_tEEE10hipError_tPvRmT1_PNSt15iterator_traitsISZ_E10value_typeET2_T3_PNS10_IS15_E10value_typeET4_jRbjT5_S1B_jjP12ihipStream_tbEUljE_EEESW_SX_SY_S15_S19_S1B_T6_T7_T9_mT8_S1D_bDpT10_ENKUlT_T0_E_clISt17integral_constantIbLb1EES1P_IbLb0EEEEDaS1L_S1M_EUlS1L_E_NS1_11comp_targetILNS1_3genE8ELNS1_11target_archE1030ELNS1_3gpuE2ELNS1_3repE0EEENS1_30default_config_static_selectorELNS0_4arch9wavefront6targetE0EEEvSZ_,"axG",@progbits,_ZN7rocprim17ROCPRIM_400000_NS6detail17trampoline_kernelINS0_13select_configILj256ELj13ELNS0_17block_load_methodE3ELS4_3ELS4_3ELNS0_20block_scan_algorithmE0ELj4294967295EEENS1_25partition_config_selectorILNS1_17partition_subalgoE3EjNS0_10empty_typeEbEEZZNS1_14partition_implILS8_3ELb0ES6_jNS0_17counting_iteratorIjlEEPS9_SE_NS0_5tupleIJPjSE_EEENSF_IJSE_SE_EEES9_SG_JZNS1_25segmented_radix_sort_implINS0_14default_configELb1EPK12hip_bfloat16PSL_PKlPlN2at6native12_GLOBAL__N_18offset_tEEE10hipError_tPvRmT1_PNSt15iterator_traitsISZ_E10value_typeET2_T3_PNS10_IS15_E10value_typeET4_jRbjT5_S1B_jjP12ihipStream_tbEUljE_EEESW_SX_SY_S15_S19_S1B_T6_T7_T9_mT8_S1D_bDpT10_ENKUlT_T0_E_clISt17integral_constantIbLb1EES1P_IbLb0EEEEDaS1L_S1M_EUlS1L_E_NS1_11comp_targetILNS1_3genE8ELNS1_11target_archE1030ELNS1_3gpuE2ELNS1_3repE0EEENS1_30default_config_static_selectorELNS0_4arch9wavefront6targetE0EEEvSZ_,comdat
.Lfunc_end1937:
	.size	_ZN7rocprim17ROCPRIM_400000_NS6detail17trampoline_kernelINS0_13select_configILj256ELj13ELNS0_17block_load_methodE3ELS4_3ELS4_3ELNS0_20block_scan_algorithmE0ELj4294967295EEENS1_25partition_config_selectorILNS1_17partition_subalgoE3EjNS0_10empty_typeEbEEZZNS1_14partition_implILS8_3ELb0ES6_jNS0_17counting_iteratorIjlEEPS9_SE_NS0_5tupleIJPjSE_EEENSF_IJSE_SE_EEES9_SG_JZNS1_25segmented_radix_sort_implINS0_14default_configELb1EPK12hip_bfloat16PSL_PKlPlN2at6native12_GLOBAL__N_18offset_tEEE10hipError_tPvRmT1_PNSt15iterator_traitsISZ_E10value_typeET2_T3_PNS10_IS15_E10value_typeET4_jRbjT5_S1B_jjP12ihipStream_tbEUljE_EEESW_SX_SY_S15_S19_S1B_T6_T7_T9_mT8_S1D_bDpT10_ENKUlT_T0_E_clISt17integral_constantIbLb1EES1P_IbLb0EEEEDaS1L_S1M_EUlS1L_E_NS1_11comp_targetILNS1_3genE8ELNS1_11target_archE1030ELNS1_3gpuE2ELNS1_3repE0EEENS1_30default_config_static_selectorELNS0_4arch9wavefront6targetE0EEEvSZ_, .Lfunc_end1937-_ZN7rocprim17ROCPRIM_400000_NS6detail17trampoline_kernelINS0_13select_configILj256ELj13ELNS0_17block_load_methodE3ELS4_3ELS4_3ELNS0_20block_scan_algorithmE0ELj4294967295EEENS1_25partition_config_selectorILNS1_17partition_subalgoE3EjNS0_10empty_typeEbEEZZNS1_14partition_implILS8_3ELb0ES6_jNS0_17counting_iteratorIjlEEPS9_SE_NS0_5tupleIJPjSE_EEENSF_IJSE_SE_EEES9_SG_JZNS1_25segmented_radix_sort_implINS0_14default_configELb1EPK12hip_bfloat16PSL_PKlPlN2at6native12_GLOBAL__N_18offset_tEEE10hipError_tPvRmT1_PNSt15iterator_traitsISZ_E10value_typeET2_T3_PNS10_IS15_E10value_typeET4_jRbjT5_S1B_jjP12ihipStream_tbEUljE_EEESW_SX_SY_S15_S19_S1B_T6_T7_T9_mT8_S1D_bDpT10_ENKUlT_T0_E_clISt17integral_constantIbLb1EES1P_IbLb0EEEEDaS1L_S1M_EUlS1L_E_NS1_11comp_targetILNS1_3genE8ELNS1_11target_archE1030ELNS1_3gpuE2ELNS1_3repE0EEENS1_30default_config_static_selectorELNS0_4arch9wavefront6targetE0EEEvSZ_
                                        ; -- End function
	.section	.AMDGPU.csdata,"",@progbits
; Kernel info:
; codeLenInByte = 0
; NumSgprs: 0
; NumVgprs: 0
; ScratchSize: 0
; MemoryBound: 0
; FloatMode: 240
; IeeeMode: 1
; LDSByteSize: 0 bytes/workgroup (compile time only)
; SGPRBlocks: 0
; VGPRBlocks: 0
; NumSGPRsForWavesPerEU: 1
; NumVGPRsForWavesPerEU: 1
; Occupancy: 16
; WaveLimiterHint : 0
; COMPUTE_PGM_RSRC2:SCRATCH_EN: 0
; COMPUTE_PGM_RSRC2:USER_SGPR: 15
; COMPUTE_PGM_RSRC2:TRAP_HANDLER: 0
; COMPUTE_PGM_RSRC2:TGID_X_EN: 1
; COMPUTE_PGM_RSRC2:TGID_Y_EN: 0
; COMPUTE_PGM_RSRC2:TGID_Z_EN: 0
; COMPUTE_PGM_RSRC2:TIDIG_COMP_CNT: 0
	.section	.text._ZN7rocprim17ROCPRIM_400000_NS6detail17trampoline_kernelINS0_13select_configILj256ELj13ELNS0_17block_load_methodE3ELS4_3ELS4_3ELNS0_20block_scan_algorithmE0ELj4294967295EEENS1_25partition_config_selectorILNS1_17partition_subalgoE3EjNS0_10empty_typeEbEEZZNS1_14partition_implILS8_3ELb0ES6_jNS0_17counting_iteratorIjlEEPS9_SE_NS0_5tupleIJPjSE_EEENSF_IJSE_SE_EEES9_SG_JZNS1_25segmented_radix_sort_implINS0_14default_configELb1EPK12hip_bfloat16PSL_PKlPlN2at6native12_GLOBAL__N_18offset_tEEE10hipError_tPvRmT1_PNSt15iterator_traitsISZ_E10value_typeET2_T3_PNS10_IS15_E10value_typeET4_jRbjT5_S1B_jjP12ihipStream_tbEUljE_EEESW_SX_SY_S15_S19_S1B_T6_T7_T9_mT8_S1D_bDpT10_ENKUlT_T0_E_clISt17integral_constantIbLb0EES1P_IbLb1EEEEDaS1L_S1M_EUlS1L_E_NS1_11comp_targetILNS1_3genE0ELNS1_11target_archE4294967295ELNS1_3gpuE0ELNS1_3repE0EEENS1_30default_config_static_selectorELNS0_4arch9wavefront6targetE0EEEvSZ_,"axG",@progbits,_ZN7rocprim17ROCPRIM_400000_NS6detail17trampoline_kernelINS0_13select_configILj256ELj13ELNS0_17block_load_methodE3ELS4_3ELS4_3ELNS0_20block_scan_algorithmE0ELj4294967295EEENS1_25partition_config_selectorILNS1_17partition_subalgoE3EjNS0_10empty_typeEbEEZZNS1_14partition_implILS8_3ELb0ES6_jNS0_17counting_iteratorIjlEEPS9_SE_NS0_5tupleIJPjSE_EEENSF_IJSE_SE_EEES9_SG_JZNS1_25segmented_radix_sort_implINS0_14default_configELb1EPK12hip_bfloat16PSL_PKlPlN2at6native12_GLOBAL__N_18offset_tEEE10hipError_tPvRmT1_PNSt15iterator_traitsISZ_E10value_typeET2_T3_PNS10_IS15_E10value_typeET4_jRbjT5_S1B_jjP12ihipStream_tbEUljE_EEESW_SX_SY_S15_S19_S1B_T6_T7_T9_mT8_S1D_bDpT10_ENKUlT_T0_E_clISt17integral_constantIbLb0EES1P_IbLb1EEEEDaS1L_S1M_EUlS1L_E_NS1_11comp_targetILNS1_3genE0ELNS1_11target_archE4294967295ELNS1_3gpuE0ELNS1_3repE0EEENS1_30default_config_static_selectorELNS0_4arch9wavefront6targetE0EEEvSZ_,comdat
	.globl	_ZN7rocprim17ROCPRIM_400000_NS6detail17trampoline_kernelINS0_13select_configILj256ELj13ELNS0_17block_load_methodE3ELS4_3ELS4_3ELNS0_20block_scan_algorithmE0ELj4294967295EEENS1_25partition_config_selectorILNS1_17partition_subalgoE3EjNS0_10empty_typeEbEEZZNS1_14partition_implILS8_3ELb0ES6_jNS0_17counting_iteratorIjlEEPS9_SE_NS0_5tupleIJPjSE_EEENSF_IJSE_SE_EEES9_SG_JZNS1_25segmented_radix_sort_implINS0_14default_configELb1EPK12hip_bfloat16PSL_PKlPlN2at6native12_GLOBAL__N_18offset_tEEE10hipError_tPvRmT1_PNSt15iterator_traitsISZ_E10value_typeET2_T3_PNS10_IS15_E10value_typeET4_jRbjT5_S1B_jjP12ihipStream_tbEUljE_EEESW_SX_SY_S15_S19_S1B_T6_T7_T9_mT8_S1D_bDpT10_ENKUlT_T0_E_clISt17integral_constantIbLb0EES1P_IbLb1EEEEDaS1L_S1M_EUlS1L_E_NS1_11comp_targetILNS1_3genE0ELNS1_11target_archE4294967295ELNS1_3gpuE0ELNS1_3repE0EEENS1_30default_config_static_selectorELNS0_4arch9wavefront6targetE0EEEvSZ_ ; -- Begin function _ZN7rocprim17ROCPRIM_400000_NS6detail17trampoline_kernelINS0_13select_configILj256ELj13ELNS0_17block_load_methodE3ELS4_3ELS4_3ELNS0_20block_scan_algorithmE0ELj4294967295EEENS1_25partition_config_selectorILNS1_17partition_subalgoE3EjNS0_10empty_typeEbEEZZNS1_14partition_implILS8_3ELb0ES6_jNS0_17counting_iteratorIjlEEPS9_SE_NS0_5tupleIJPjSE_EEENSF_IJSE_SE_EEES9_SG_JZNS1_25segmented_radix_sort_implINS0_14default_configELb1EPK12hip_bfloat16PSL_PKlPlN2at6native12_GLOBAL__N_18offset_tEEE10hipError_tPvRmT1_PNSt15iterator_traitsISZ_E10value_typeET2_T3_PNS10_IS15_E10value_typeET4_jRbjT5_S1B_jjP12ihipStream_tbEUljE_EEESW_SX_SY_S15_S19_S1B_T6_T7_T9_mT8_S1D_bDpT10_ENKUlT_T0_E_clISt17integral_constantIbLb0EES1P_IbLb1EEEEDaS1L_S1M_EUlS1L_E_NS1_11comp_targetILNS1_3genE0ELNS1_11target_archE4294967295ELNS1_3gpuE0ELNS1_3repE0EEENS1_30default_config_static_selectorELNS0_4arch9wavefront6targetE0EEEvSZ_
	.p2align	8
	.type	_ZN7rocprim17ROCPRIM_400000_NS6detail17trampoline_kernelINS0_13select_configILj256ELj13ELNS0_17block_load_methodE3ELS4_3ELS4_3ELNS0_20block_scan_algorithmE0ELj4294967295EEENS1_25partition_config_selectorILNS1_17partition_subalgoE3EjNS0_10empty_typeEbEEZZNS1_14partition_implILS8_3ELb0ES6_jNS0_17counting_iteratorIjlEEPS9_SE_NS0_5tupleIJPjSE_EEENSF_IJSE_SE_EEES9_SG_JZNS1_25segmented_radix_sort_implINS0_14default_configELb1EPK12hip_bfloat16PSL_PKlPlN2at6native12_GLOBAL__N_18offset_tEEE10hipError_tPvRmT1_PNSt15iterator_traitsISZ_E10value_typeET2_T3_PNS10_IS15_E10value_typeET4_jRbjT5_S1B_jjP12ihipStream_tbEUljE_EEESW_SX_SY_S15_S19_S1B_T6_T7_T9_mT8_S1D_bDpT10_ENKUlT_T0_E_clISt17integral_constantIbLb0EES1P_IbLb1EEEEDaS1L_S1M_EUlS1L_E_NS1_11comp_targetILNS1_3genE0ELNS1_11target_archE4294967295ELNS1_3gpuE0ELNS1_3repE0EEENS1_30default_config_static_selectorELNS0_4arch9wavefront6targetE0EEEvSZ_,@function
_ZN7rocprim17ROCPRIM_400000_NS6detail17trampoline_kernelINS0_13select_configILj256ELj13ELNS0_17block_load_methodE3ELS4_3ELS4_3ELNS0_20block_scan_algorithmE0ELj4294967295EEENS1_25partition_config_selectorILNS1_17partition_subalgoE3EjNS0_10empty_typeEbEEZZNS1_14partition_implILS8_3ELb0ES6_jNS0_17counting_iteratorIjlEEPS9_SE_NS0_5tupleIJPjSE_EEENSF_IJSE_SE_EEES9_SG_JZNS1_25segmented_radix_sort_implINS0_14default_configELb1EPK12hip_bfloat16PSL_PKlPlN2at6native12_GLOBAL__N_18offset_tEEE10hipError_tPvRmT1_PNSt15iterator_traitsISZ_E10value_typeET2_T3_PNS10_IS15_E10value_typeET4_jRbjT5_S1B_jjP12ihipStream_tbEUljE_EEESW_SX_SY_S15_S19_S1B_T6_T7_T9_mT8_S1D_bDpT10_ENKUlT_T0_E_clISt17integral_constantIbLb0EES1P_IbLb1EEEEDaS1L_S1M_EUlS1L_E_NS1_11comp_targetILNS1_3genE0ELNS1_11target_archE4294967295ELNS1_3gpuE0ELNS1_3repE0EEENS1_30default_config_static_selectorELNS0_4arch9wavefront6targetE0EEEvSZ_: ; @_ZN7rocprim17ROCPRIM_400000_NS6detail17trampoline_kernelINS0_13select_configILj256ELj13ELNS0_17block_load_methodE3ELS4_3ELS4_3ELNS0_20block_scan_algorithmE0ELj4294967295EEENS1_25partition_config_selectorILNS1_17partition_subalgoE3EjNS0_10empty_typeEbEEZZNS1_14partition_implILS8_3ELb0ES6_jNS0_17counting_iteratorIjlEEPS9_SE_NS0_5tupleIJPjSE_EEENSF_IJSE_SE_EEES9_SG_JZNS1_25segmented_radix_sort_implINS0_14default_configELb1EPK12hip_bfloat16PSL_PKlPlN2at6native12_GLOBAL__N_18offset_tEEE10hipError_tPvRmT1_PNSt15iterator_traitsISZ_E10value_typeET2_T3_PNS10_IS15_E10value_typeET4_jRbjT5_S1B_jjP12ihipStream_tbEUljE_EEESW_SX_SY_S15_S19_S1B_T6_T7_T9_mT8_S1D_bDpT10_ENKUlT_T0_E_clISt17integral_constantIbLb0EES1P_IbLb1EEEEDaS1L_S1M_EUlS1L_E_NS1_11comp_targetILNS1_3genE0ELNS1_11target_archE4294967295ELNS1_3gpuE0ELNS1_3repE0EEENS1_30default_config_static_selectorELNS0_4arch9wavefront6targetE0EEEvSZ_
; %bb.0:
	.section	.rodata,"a",@progbits
	.p2align	6, 0x0
	.amdhsa_kernel _ZN7rocprim17ROCPRIM_400000_NS6detail17trampoline_kernelINS0_13select_configILj256ELj13ELNS0_17block_load_methodE3ELS4_3ELS4_3ELNS0_20block_scan_algorithmE0ELj4294967295EEENS1_25partition_config_selectorILNS1_17partition_subalgoE3EjNS0_10empty_typeEbEEZZNS1_14partition_implILS8_3ELb0ES6_jNS0_17counting_iteratorIjlEEPS9_SE_NS0_5tupleIJPjSE_EEENSF_IJSE_SE_EEES9_SG_JZNS1_25segmented_radix_sort_implINS0_14default_configELb1EPK12hip_bfloat16PSL_PKlPlN2at6native12_GLOBAL__N_18offset_tEEE10hipError_tPvRmT1_PNSt15iterator_traitsISZ_E10value_typeET2_T3_PNS10_IS15_E10value_typeET4_jRbjT5_S1B_jjP12ihipStream_tbEUljE_EEESW_SX_SY_S15_S19_S1B_T6_T7_T9_mT8_S1D_bDpT10_ENKUlT_T0_E_clISt17integral_constantIbLb0EES1P_IbLb1EEEEDaS1L_S1M_EUlS1L_E_NS1_11comp_targetILNS1_3genE0ELNS1_11target_archE4294967295ELNS1_3gpuE0ELNS1_3repE0EEENS1_30default_config_static_selectorELNS0_4arch9wavefront6targetE0EEEvSZ_
		.amdhsa_group_segment_fixed_size 0
		.amdhsa_private_segment_fixed_size 0
		.amdhsa_kernarg_size 152
		.amdhsa_user_sgpr_count 15
		.amdhsa_user_sgpr_dispatch_ptr 0
		.amdhsa_user_sgpr_queue_ptr 0
		.amdhsa_user_sgpr_kernarg_segment_ptr 1
		.amdhsa_user_sgpr_dispatch_id 0
		.amdhsa_user_sgpr_private_segment_size 0
		.amdhsa_wavefront_size32 1
		.amdhsa_uses_dynamic_stack 0
		.amdhsa_enable_private_segment 0
		.amdhsa_system_sgpr_workgroup_id_x 1
		.amdhsa_system_sgpr_workgroup_id_y 0
		.amdhsa_system_sgpr_workgroup_id_z 0
		.amdhsa_system_sgpr_workgroup_info 0
		.amdhsa_system_vgpr_workitem_id 0
		.amdhsa_next_free_vgpr 1
		.amdhsa_next_free_sgpr 1
		.amdhsa_reserve_vcc 0
		.amdhsa_float_round_mode_32 0
		.amdhsa_float_round_mode_16_64 0
		.amdhsa_float_denorm_mode_32 3
		.amdhsa_float_denorm_mode_16_64 3
		.amdhsa_dx10_clamp 1
		.amdhsa_ieee_mode 1
		.amdhsa_fp16_overflow 0
		.amdhsa_workgroup_processor_mode 1
		.amdhsa_memory_ordered 1
		.amdhsa_forward_progress 0
		.amdhsa_shared_vgpr_count 0
		.amdhsa_exception_fp_ieee_invalid_op 0
		.amdhsa_exception_fp_denorm_src 0
		.amdhsa_exception_fp_ieee_div_zero 0
		.amdhsa_exception_fp_ieee_overflow 0
		.amdhsa_exception_fp_ieee_underflow 0
		.amdhsa_exception_fp_ieee_inexact 0
		.amdhsa_exception_int_div_zero 0
	.end_amdhsa_kernel
	.section	.text._ZN7rocprim17ROCPRIM_400000_NS6detail17trampoline_kernelINS0_13select_configILj256ELj13ELNS0_17block_load_methodE3ELS4_3ELS4_3ELNS0_20block_scan_algorithmE0ELj4294967295EEENS1_25partition_config_selectorILNS1_17partition_subalgoE3EjNS0_10empty_typeEbEEZZNS1_14partition_implILS8_3ELb0ES6_jNS0_17counting_iteratorIjlEEPS9_SE_NS0_5tupleIJPjSE_EEENSF_IJSE_SE_EEES9_SG_JZNS1_25segmented_radix_sort_implINS0_14default_configELb1EPK12hip_bfloat16PSL_PKlPlN2at6native12_GLOBAL__N_18offset_tEEE10hipError_tPvRmT1_PNSt15iterator_traitsISZ_E10value_typeET2_T3_PNS10_IS15_E10value_typeET4_jRbjT5_S1B_jjP12ihipStream_tbEUljE_EEESW_SX_SY_S15_S19_S1B_T6_T7_T9_mT8_S1D_bDpT10_ENKUlT_T0_E_clISt17integral_constantIbLb0EES1P_IbLb1EEEEDaS1L_S1M_EUlS1L_E_NS1_11comp_targetILNS1_3genE0ELNS1_11target_archE4294967295ELNS1_3gpuE0ELNS1_3repE0EEENS1_30default_config_static_selectorELNS0_4arch9wavefront6targetE0EEEvSZ_,"axG",@progbits,_ZN7rocprim17ROCPRIM_400000_NS6detail17trampoline_kernelINS0_13select_configILj256ELj13ELNS0_17block_load_methodE3ELS4_3ELS4_3ELNS0_20block_scan_algorithmE0ELj4294967295EEENS1_25partition_config_selectorILNS1_17partition_subalgoE3EjNS0_10empty_typeEbEEZZNS1_14partition_implILS8_3ELb0ES6_jNS0_17counting_iteratorIjlEEPS9_SE_NS0_5tupleIJPjSE_EEENSF_IJSE_SE_EEES9_SG_JZNS1_25segmented_radix_sort_implINS0_14default_configELb1EPK12hip_bfloat16PSL_PKlPlN2at6native12_GLOBAL__N_18offset_tEEE10hipError_tPvRmT1_PNSt15iterator_traitsISZ_E10value_typeET2_T3_PNS10_IS15_E10value_typeET4_jRbjT5_S1B_jjP12ihipStream_tbEUljE_EEESW_SX_SY_S15_S19_S1B_T6_T7_T9_mT8_S1D_bDpT10_ENKUlT_T0_E_clISt17integral_constantIbLb0EES1P_IbLb1EEEEDaS1L_S1M_EUlS1L_E_NS1_11comp_targetILNS1_3genE0ELNS1_11target_archE4294967295ELNS1_3gpuE0ELNS1_3repE0EEENS1_30default_config_static_selectorELNS0_4arch9wavefront6targetE0EEEvSZ_,comdat
.Lfunc_end1938:
	.size	_ZN7rocprim17ROCPRIM_400000_NS6detail17trampoline_kernelINS0_13select_configILj256ELj13ELNS0_17block_load_methodE3ELS4_3ELS4_3ELNS0_20block_scan_algorithmE0ELj4294967295EEENS1_25partition_config_selectorILNS1_17partition_subalgoE3EjNS0_10empty_typeEbEEZZNS1_14partition_implILS8_3ELb0ES6_jNS0_17counting_iteratorIjlEEPS9_SE_NS0_5tupleIJPjSE_EEENSF_IJSE_SE_EEES9_SG_JZNS1_25segmented_radix_sort_implINS0_14default_configELb1EPK12hip_bfloat16PSL_PKlPlN2at6native12_GLOBAL__N_18offset_tEEE10hipError_tPvRmT1_PNSt15iterator_traitsISZ_E10value_typeET2_T3_PNS10_IS15_E10value_typeET4_jRbjT5_S1B_jjP12ihipStream_tbEUljE_EEESW_SX_SY_S15_S19_S1B_T6_T7_T9_mT8_S1D_bDpT10_ENKUlT_T0_E_clISt17integral_constantIbLb0EES1P_IbLb1EEEEDaS1L_S1M_EUlS1L_E_NS1_11comp_targetILNS1_3genE0ELNS1_11target_archE4294967295ELNS1_3gpuE0ELNS1_3repE0EEENS1_30default_config_static_selectorELNS0_4arch9wavefront6targetE0EEEvSZ_, .Lfunc_end1938-_ZN7rocprim17ROCPRIM_400000_NS6detail17trampoline_kernelINS0_13select_configILj256ELj13ELNS0_17block_load_methodE3ELS4_3ELS4_3ELNS0_20block_scan_algorithmE0ELj4294967295EEENS1_25partition_config_selectorILNS1_17partition_subalgoE3EjNS0_10empty_typeEbEEZZNS1_14partition_implILS8_3ELb0ES6_jNS0_17counting_iteratorIjlEEPS9_SE_NS0_5tupleIJPjSE_EEENSF_IJSE_SE_EEES9_SG_JZNS1_25segmented_radix_sort_implINS0_14default_configELb1EPK12hip_bfloat16PSL_PKlPlN2at6native12_GLOBAL__N_18offset_tEEE10hipError_tPvRmT1_PNSt15iterator_traitsISZ_E10value_typeET2_T3_PNS10_IS15_E10value_typeET4_jRbjT5_S1B_jjP12ihipStream_tbEUljE_EEESW_SX_SY_S15_S19_S1B_T6_T7_T9_mT8_S1D_bDpT10_ENKUlT_T0_E_clISt17integral_constantIbLb0EES1P_IbLb1EEEEDaS1L_S1M_EUlS1L_E_NS1_11comp_targetILNS1_3genE0ELNS1_11target_archE4294967295ELNS1_3gpuE0ELNS1_3repE0EEENS1_30default_config_static_selectorELNS0_4arch9wavefront6targetE0EEEvSZ_
                                        ; -- End function
	.section	.AMDGPU.csdata,"",@progbits
; Kernel info:
; codeLenInByte = 0
; NumSgprs: 0
; NumVgprs: 0
; ScratchSize: 0
; MemoryBound: 0
; FloatMode: 240
; IeeeMode: 1
; LDSByteSize: 0 bytes/workgroup (compile time only)
; SGPRBlocks: 0
; VGPRBlocks: 0
; NumSGPRsForWavesPerEU: 1
; NumVGPRsForWavesPerEU: 1
; Occupancy: 16
; WaveLimiterHint : 0
; COMPUTE_PGM_RSRC2:SCRATCH_EN: 0
; COMPUTE_PGM_RSRC2:USER_SGPR: 15
; COMPUTE_PGM_RSRC2:TRAP_HANDLER: 0
; COMPUTE_PGM_RSRC2:TGID_X_EN: 1
; COMPUTE_PGM_RSRC2:TGID_Y_EN: 0
; COMPUTE_PGM_RSRC2:TGID_Z_EN: 0
; COMPUTE_PGM_RSRC2:TIDIG_COMP_CNT: 0
	.section	.text._ZN7rocprim17ROCPRIM_400000_NS6detail17trampoline_kernelINS0_13select_configILj256ELj13ELNS0_17block_load_methodE3ELS4_3ELS4_3ELNS0_20block_scan_algorithmE0ELj4294967295EEENS1_25partition_config_selectorILNS1_17partition_subalgoE3EjNS0_10empty_typeEbEEZZNS1_14partition_implILS8_3ELb0ES6_jNS0_17counting_iteratorIjlEEPS9_SE_NS0_5tupleIJPjSE_EEENSF_IJSE_SE_EEES9_SG_JZNS1_25segmented_radix_sort_implINS0_14default_configELb1EPK12hip_bfloat16PSL_PKlPlN2at6native12_GLOBAL__N_18offset_tEEE10hipError_tPvRmT1_PNSt15iterator_traitsISZ_E10value_typeET2_T3_PNS10_IS15_E10value_typeET4_jRbjT5_S1B_jjP12ihipStream_tbEUljE_EEESW_SX_SY_S15_S19_S1B_T6_T7_T9_mT8_S1D_bDpT10_ENKUlT_T0_E_clISt17integral_constantIbLb0EES1P_IbLb1EEEEDaS1L_S1M_EUlS1L_E_NS1_11comp_targetILNS1_3genE5ELNS1_11target_archE942ELNS1_3gpuE9ELNS1_3repE0EEENS1_30default_config_static_selectorELNS0_4arch9wavefront6targetE0EEEvSZ_,"axG",@progbits,_ZN7rocprim17ROCPRIM_400000_NS6detail17trampoline_kernelINS0_13select_configILj256ELj13ELNS0_17block_load_methodE3ELS4_3ELS4_3ELNS0_20block_scan_algorithmE0ELj4294967295EEENS1_25partition_config_selectorILNS1_17partition_subalgoE3EjNS0_10empty_typeEbEEZZNS1_14partition_implILS8_3ELb0ES6_jNS0_17counting_iteratorIjlEEPS9_SE_NS0_5tupleIJPjSE_EEENSF_IJSE_SE_EEES9_SG_JZNS1_25segmented_radix_sort_implINS0_14default_configELb1EPK12hip_bfloat16PSL_PKlPlN2at6native12_GLOBAL__N_18offset_tEEE10hipError_tPvRmT1_PNSt15iterator_traitsISZ_E10value_typeET2_T3_PNS10_IS15_E10value_typeET4_jRbjT5_S1B_jjP12ihipStream_tbEUljE_EEESW_SX_SY_S15_S19_S1B_T6_T7_T9_mT8_S1D_bDpT10_ENKUlT_T0_E_clISt17integral_constantIbLb0EES1P_IbLb1EEEEDaS1L_S1M_EUlS1L_E_NS1_11comp_targetILNS1_3genE5ELNS1_11target_archE942ELNS1_3gpuE9ELNS1_3repE0EEENS1_30default_config_static_selectorELNS0_4arch9wavefront6targetE0EEEvSZ_,comdat
	.globl	_ZN7rocprim17ROCPRIM_400000_NS6detail17trampoline_kernelINS0_13select_configILj256ELj13ELNS0_17block_load_methodE3ELS4_3ELS4_3ELNS0_20block_scan_algorithmE0ELj4294967295EEENS1_25partition_config_selectorILNS1_17partition_subalgoE3EjNS0_10empty_typeEbEEZZNS1_14partition_implILS8_3ELb0ES6_jNS0_17counting_iteratorIjlEEPS9_SE_NS0_5tupleIJPjSE_EEENSF_IJSE_SE_EEES9_SG_JZNS1_25segmented_radix_sort_implINS0_14default_configELb1EPK12hip_bfloat16PSL_PKlPlN2at6native12_GLOBAL__N_18offset_tEEE10hipError_tPvRmT1_PNSt15iterator_traitsISZ_E10value_typeET2_T3_PNS10_IS15_E10value_typeET4_jRbjT5_S1B_jjP12ihipStream_tbEUljE_EEESW_SX_SY_S15_S19_S1B_T6_T7_T9_mT8_S1D_bDpT10_ENKUlT_T0_E_clISt17integral_constantIbLb0EES1P_IbLb1EEEEDaS1L_S1M_EUlS1L_E_NS1_11comp_targetILNS1_3genE5ELNS1_11target_archE942ELNS1_3gpuE9ELNS1_3repE0EEENS1_30default_config_static_selectorELNS0_4arch9wavefront6targetE0EEEvSZ_ ; -- Begin function _ZN7rocprim17ROCPRIM_400000_NS6detail17trampoline_kernelINS0_13select_configILj256ELj13ELNS0_17block_load_methodE3ELS4_3ELS4_3ELNS0_20block_scan_algorithmE0ELj4294967295EEENS1_25partition_config_selectorILNS1_17partition_subalgoE3EjNS0_10empty_typeEbEEZZNS1_14partition_implILS8_3ELb0ES6_jNS0_17counting_iteratorIjlEEPS9_SE_NS0_5tupleIJPjSE_EEENSF_IJSE_SE_EEES9_SG_JZNS1_25segmented_radix_sort_implINS0_14default_configELb1EPK12hip_bfloat16PSL_PKlPlN2at6native12_GLOBAL__N_18offset_tEEE10hipError_tPvRmT1_PNSt15iterator_traitsISZ_E10value_typeET2_T3_PNS10_IS15_E10value_typeET4_jRbjT5_S1B_jjP12ihipStream_tbEUljE_EEESW_SX_SY_S15_S19_S1B_T6_T7_T9_mT8_S1D_bDpT10_ENKUlT_T0_E_clISt17integral_constantIbLb0EES1P_IbLb1EEEEDaS1L_S1M_EUlS1L_E_NS1_11comp_targetILNS1_3genE5ELNS1_11target_archE942ELNS1_3gpuE9ELNS1_3repE0EEENS1_30default_config_static_selectorELNS0_4arch9wavefront6targetE0EEEvSZ_
	.p2align	8
	.type	_ZN7rocprim17ROCPRIM_400000_NS6detail17trampoline_kernelINS0_13select_configILj256ELj13ELNS0_17block_load_methodE3ELS4_3ELS4_3ELNS0_20block_scan_algorithmE0ELj4294967295EEENS1_25partition_config_selectorILNS1_17partition_subalgoE3EjNS0_10empty_typeEbEEZZNS1_14partition_implILS8_3ELb0ES6_jNS0_17counting_iteratorIjlEEPS9_SE_NS0_5tupleIJPjSE_EEENSF_IJSE_SE_EEES9_SG_JZNS1_25segmented_radix_sort_implINS0_14default_configELb1EPK12hip_bfloat16PSL_PKlPlN2at6native12_GLOBAL__N_18offset_tEEE10hipError_tPvRmT1_PNSt15iterator_traitsISZ_E10value_typeET2_T3_PNS10_IS15_E10value_typeET4_jRbjT5_S1B_jjP12ihipStream_tbEUljE_EEESW_SX_SY_S15_S19_S1B_T6_T7_T9_mT8_S1D_bDpT10_ENKUlT_T0_E_clISt17integral_constantIbLb0EES1P_IbLb1EEEEDaS1L_S1M_EUlS1L_E_NS1_11comp_targetILNS1_3genE5ELNS1_11target_archE942ELNS1_3gpuE9ELNS1_3repE0EEENS1_30default_config_static_selectorELNS0_4arch9wavefront6targetE0EEEvSZ_,@function
_ZN7rocprim17ROCPRIM_400000_NS6detail17trampoline_kernelINS0_13select_configILj256ELj13ELNS0_17block_load_methodE3ELS4_3ELS4_3ELNS0_20block_scan_algorithmE0ELj4294967295EEENS1_25partition_config_selectorILNS1_17partition_subalgoE3EjNS0_10empty_typeEbEEZZNS1_14partition_implILS8_3ELb0ES6_jNS0_17counting_iteratorIjlEEPS9_SE_NS0_5tupleIJPjSE_EEENSF_IJSE_SE_EEES9_SG_JZNS1_25segmented_radix_sort_implINS0_14default_configELb1EPK12hip_bfloat16PSL_PKlPlN2at6native12_GLOBAL__N_18offset_tEEE10hipError_tPvRmT1_PNSt15iterator_traitsISZ_E10value_typeET2_T3_PNS10_IS15_E10value_typeET4_jRbjT5_S1B_jjP12ihipStream_tbEUljE_EEESW_SX_SY_S15_S19_S1B_T6_T7_T9_mT8_S1D_bDpT10_ENKUlT_T0_E_clISt17integral_constantIbLb0EES1P_IbLb1EEEEDaS1L_S1M_EUlS1L_E_NS1_11comp_targetILNS1_3genE5ELNS1_11target_archE942ELNS1_3gpuE9ELNS1_3repE0EEENS1_30default_config_static_selectorELNS0_4arch9wavefront6targetE0EEEvSZ_: ; @_ZN7rocprim17ROCPRIM_400000_NS6detail17trampoline_kernelINS0_13select_configILj256ELj13ELNS0_17block_load_methodE3ELS4_3ELS4_3ELNS0_20block_scan_algorithmE0ELj4294967295EEENS1_25partition_config_selectorILNS1_17partition_subalgoE3EjNS0_10empty_typeEbEEZZNS1_14partition_implILS8_3ELb0ES6_jNS0_17counting_iteratorIjlEEPS9_SE_NS0_5tupleIJPjSE_EEENSF_IJSE_SE_EEES9_SG_JZNS1_25segmented_radix_sort_implINS0_14default_configELb1EPK12hip_bfloat16PSL_PKlPlN2at6native12_GLOBAL__N_18offset_tEEE10hipError_tPvRmT1_PNSt15iterator_traitsISZ_E10value_typeET2_T3_PNS10_IS15_E10value_typeET4_jRbjT5_S1B_jjP12ihipStream_tbEUljE_EEESW_SX_SY_S15_S19_S1B_T6_T7_T9_mT8_S1D_bDpT10_ENKUlT_T0_E_clISt17integral_constantIbLb0EES1P_IbLb1EEEEDaS1L_S1M_EUlS1L_E_NS1_11comp_targetILNS1_3genE5ELNS1_11target_archE942ELNS1_3gpuE9ELNS1_3repE0EEENS1_30default_config_static_selectorELNS0_4arch9wavefront6targetE0EEEvSZ_
; %bb.0:
	.section	.rodata,"a",@progbits
	.p2align	6, 0x0
	.amdhsa_kernel _ZN7rocprim17ROCPRIM_400000_NS6detail17trampoline_kernelINS0_13select_configILj256ELj13ELNS0_17block_load_methodE3ELS4_3ELS4_3ELNS0_20block_scan_algorithmE0ELj4294967295EEENS1_25partition_config_selectorILNS1_17partition_subalgoE3EjNS0_10empty_typeEbEEZZNS1_14partition_implILS8_3ELb0ES6_jNS0_17counting_iteratorIjlEEPS9_SE_NS0_5tupleIJPjSE_EEENSF_IJSE_SE_EEES9_SG_JZNS1_25segmented_radix_sort_implINS0_14default_configELb1EPK12hip_bfloat16PSL_PKlPlN2at6native12_GLOBAL__N_18offset_tEEE10hipError_tPvRmT1_PNSt15iterator_traitsISZ_E10value_typeET2_T3_PNS10_IS15_E10value_typeET4_jRbjT5_S1B_jjP12ihipStream_tbEUljE_EEESW_SX_SY_S15_S19_S1B_T6_T7_T9_mT8_S1D_bDpT10_ENKUlT_T0_E_clISt17integral_constantIbLb0EES1P_IbLb1EEEEDaS1L_S1M_EUlS1L_E_NS1_11comp_targetILNS1_3genE5ELNS1_11target_archE942ELNS1_3gpuE9ELNS1_3repE0EEENS1_30default_config_static_selectorELNS0_4arch9wavefront6targetE0EEEvSZ_
		.amdhsa_group_segment_fixed_size 0
		.amdhsa_private_segment_fixed_size 0
		.amdhsa_kernarg_size 152
		.amdhsa_user_sgpr_count 15
		.amdhsa_user_sgpr_dispatch_ptr 0
		.amdhsa_user_sgpr_queue_ptr 0
		.amdhsa_user_sgpr_kernarg_segment_ptr 1
		.amdhsa_user_sgpr_dispatch_id 0
		.amdhsa_user_sgpr_private_segment_size 0
		.amdhsa_wavefront_size32 1
		.amdhsa_uses_dynamic_stack 0
		.amdhsa_enable_private_segment 0
		.amdhsa_system_sgpr_workgroup_id_x 1
		.amdhsa_system_sgpr_workgroup_id_y 0
		.amdhsa_system_sgpr_workgroup_id_z 0
		.amdhsa_system_sgpr_workgroup_info 0
		.amdhsa_system_vgpr_workitem_id 0
		.amdhsa_next_free_vgpr 1
		.amdhsa_next_free_sgpr 1
		.amdhsa_reserve_vcc 0
		.amdhsa_float_round_mode_32 0
		.amdhsa_float_round_mode_16_64 0
		.amdhsa_float_denorm_mode_32 3
		.amdhsa_float_denorm_mode_16_64 3
		.amdhsa_dx10_clamp 1
		.amdhsa_ieee_mode 1
		.amdhsa_fp16_overflow 0
		.amdhsa_workgroup_processor_mode 1
		.amdhsa_memory_ordered 1
		.amdhsa_forward_progress 0
		.amdhsa_shared_vgpr_count 0
		.amdhsa_exception_fp_ieee_invalid_op 0
		.amdhsa_exception_fp_denorm_src 0
		.amdhsa_exception_fp_ieee_div_zero 0
		.amdhsa_exception_fp_ieee_overflow 0
		.amdhsa_exception_fp_ieee_underflow 0
		.amdhsa_exception_fp_ieee_inexact 0
		.amdhsa_exception_int_div_zero 0
	.end_amdhsa_kernel
	.section	.text._ZN7rocprim17ROCPRIM_400000_NS6detail17trampoline_kernelINS0_13select_configILj256ELj13ELNS0_17block_load_methodE3ELS4_3ELS4_3ELNS0_20block_scan_algorithmE0ELj4294967295EEENS1_25partition_config_selectorILNS1_17partition_subalgoE3EjNS0_10empty_typeEbEEZZNS1_14partition_implILS8_3ELb0ES6_jNS0_17counting_iteratorIjlEEPS9_SE_NS0_5tupleIJPjSE_EEENSF_IJSE_SE_EEES9_SG_JZNS1_25segmented_radix_sort_implINS0_14default_configELb1EPK12hip_bfloat16PSL_PKlPlN2at6native12_GLOBAL__N_18offset_tEEE10hipError_tPvRmT1_PNSt15iterator_traitsISZ_E10value_typeET2_T3_PNS10_IS15_E10value_typeET4_jRbjT5_S1B_jjP12ihipStream_tbEUljE_EEESW_SX_SY_S15_S19_S1B_T6_T7_T9_mT8_S1D_bDpT10_ENKUlT_T0_E_clISt17integral_constantIbLb0EES1P_IbLb1EEEEDaS1L_S1M_EUlS1L_E_NS1_11comp_targetILNS1_3genE5ELNS1_11target_archE942ELNS1_3gpuE9ELNS1_3repE0EEENS1_30default_config_static_selectorELNS0_4arch9wavefront6targetE0EEEvSZ_,"axG",@progbits,_ZN7rocprim17ROCPRIM_400000_NS6detail17trampoline_kernelINS0_13select_configILj256ELj13ELNS0_17block_load_methodE3ELS4_3ELS4_3ELNS0_20block_scan_algorithmE0ELj4294967295EEENS1_25partition_config_selectorILNS1_17partition_subalgoE3EjNS0_10empty_typeEbEEZZNS1_14partition_implILS8_3ELb0ES6_jNS0_17counting_iteratorIjlEEPS9_SE_NS0_5tupleIJPjSE_EEENSF_IJSE_SE_EEES9_SG_JZNS1_25segmented_radix_sort_implINS0_14default_configELb1EPK12hip_bfloat16PSL_PKlPlN2at6native12_GLOBAL__N_18offset_tEEE10hipError_tPvRmT1_PNSt15iterator_traitsISZ_E10value_typeET2_T3_PNS10_IS15_E10value_typeET4_jRbjT5_S1B_jjP12ihipStream_tbEUljE_EEESW_SX_SY_S15_S19_S1B_T6_T7_T9_mT8_S1D_bDpT10_ENKUlT_T0_E_clISt17integral_constantIbLb0EES1P_IbLb1EEEEDaS1L_S1M_EUlS1L_E_NS1_11comp_targetILNS1_3genE5ELNS1_11target_archE942ELNS1_3gpuE9ELNS1_3repE0EEENS1_30default_config_static_selectorELNS0_4arch9wavefront6targetE0EEEvSZ_,comdat
.Lfunc_end1939:
	.size	_ZN7rocprim17ROCPRIM_400000_NS6detail17trampoline_kernelINS0_13select_configILj256ELj13ELNS0_17block_load_methodE3ELS4_3ELS4_3ELNS0_20block_scan_algorithmE0ELj4294967295EEENS1_25partition_config_selectorILNS1_17partition_subalgoE3EjNS0_10empty_typeEbEEZZNS1_14partition_implILS8_3ELb0ES6_jNS0_17counting_iteratorIjlEEPS9_SE_NS0_5tupleIJPjSE_EEENSF_IJSE_SE_EEES9_SG_JZNS1_25segmented_radix_sort_implINS0_14default_configELb1EPK12hip_bfloat16PSL_PKlPlN2at6native12_GLOBAL__N_18offset_tEEE10hipError_tPvRmT1_PNSt15iterator_traitsISZ_E10value_typeET2_T3_PNS10_IS15_E10value_typeET4_jRbjT5_S1B_jjP12ihipStream_tbEUljE_EEESW_SX_SY_S15_S19_S1B_T6_T7_T9_mT8_S1D_bDpT10_ENKUlT_T0_E_clISt17integral_constantIbLb0EES1P_IbLb1EEEEDaS1L_S1M_EUlS1L_E_NS1_11comp_targetILNS1_3genE5ELNS1_11target_archE942ELNS1_3gpuE9ELNS1_3repE0EEENS1_30default_config_static_selectorELNS0_4arch9wavefront6targetE0EEEvSZ_, .Lfunc_end1939-_ZN7rocprim17ROCPRIM_400000_NS6detail17trampoline_kernelINS0_13select_configILj256ELj13ELNS0_17block_load_methodE3ELS4_3ELS4_3ELNS0_20block_scan_algorithmE0ELj4294967295EEENS1_25partition_config_selectorILNS1_17partition_subalgoE3EjNS0_10empty_typeEbEEZZNS1_14partition_implILS8_3ELb0ES6_jNS0_17counting_iteratorIjlEEPS9_SE_NS0_5tupleIJPjSE_EEENSF_IJSE_SE_EEES9_SG_JZNS1_25segmented_radix_sort_implINS0_14default_configELb1EPK12hip_bfloat16PSL_PKlPlN2at6native12_GLOBAL__N_18offset_tEEE10hipError_tPvRmT1_PNSt15iterator_traitsISZ_E10value_typeET2_T3_PNS10_IS15_E10value_typeET4_jRbjT5_S1B_jjP12ihipStream_tbEUljE_EEESW_SX_SY_S15_S19_S1B_T6_T7_T9_mT8_S1D_bDpT10_ENKUlT_T0_E_clISt17integral_constantIbLb0EES1P_IbLb1EEEEDaS1L_S1M_EUlS1L_E_NS1_11comp_targetILNS1_3genE5ELNS1_11target_archE942ELNS1_3gpuE9ELNS1_3repE0EEENS1_30default_config_static_selectorELNS0_4arch9wavefront6targetE0EEEvSZ_
                                        ; -- End function
	.section	.AMDGPU.csdata,"",@progbits
; Kernel info:
; codeLenInByte = 0
; NumSgprs: 0
; NumVgprs: 0
; ScratchSize: 0
; MemoryBound: 0
; FloatMode: 240
; IeeeMode: 1
; LDSByteSize: 0 bytes/workgroup (compile time only)
; SGPRBlocks: 0
; VGPRBlocks: 0
; NumSGPRsForWavesPerEU: 1
; NumVGPRsForWavesPerEU: 1
; Occupancy: 16
; WaveLimiterHint : 0
; COMPUTE_PGM_RSRC2:SCRATCH_EN: 0
; COMPUTE_PGM_RSRC2:USER_SGPR: 15
; COMPUTE_PGM_RSRC2:TRAP_HANDLER: 0
; COMPUTE_PGM_RSRC2:TGID_X_EN: 1
; COMPUTE_PGM_RSRC2:TGID_Y_EN: 0
; COMPUTE_PGM_RSRC2:TGID_Z_EN: 0
; COMPUTE_PGM_RSRC2:TIDIG_COMP_CNT: 0
	.section	.text._ZN7rocprim17ROCPRIM_400000_NS6detail17trampoline_kernelINS0_13select_configILj256ELj13ELNS0_17block_load_methodE3ELS4_3ELS4_3ELNS0_20block_scan_algorithmE0ELj4294967295EEENS1_25partition_config_selectorILNS1_17partition_subalgoE3EjNS0_10empty_typeEbEEZZNS1_14partition_implILS8_3ELb0ES6_jNS0_17counting_iteratorIjlEEPS9_SE_NS0_5tupleIJPjSE_EEENSF_IJSE_SE_EEES9_SG_JZNS1_25segmented_radix_sort_implINS0_14default_configELb1EPK12hip_bfloat16PSL_PKlPlN2at6native12_GLOBAL__N_18offset_tEEE10hipError_tPvRmT1_PNSt15iterator_traitsISZ_E10value_typeET2_T3_PNS10_IS15_E10value_typeET4_jRbjT5_S1B_jjP12ihipStream_tbEUljE_EEESW_SX_SY_S15_S19_S1B_T6_T7_T9_mT8_S1D_bDpT10_ENKUlT_T0_E_clISt17integral_constantIbLb0EES1P_IbLb1EEEEDaS1L_S1M_EUlS1L_E_NS1_11comp_targetILNS1_3genE4ELNS1_11target_archE910ELNS1_3gpuE8ELNS1_3repE0EEENS1_30default_config_static_selectorELNS0_4arch9wavefront6targetE0EEEvSZ_,"axG",@progbits,_ZN7rocprim17ROCPRIM_400000_NS6detail17trampoline_kernelINS0_13select_configILj256ELj13ELNS0_17block_load_methodE3ELS4_3ELS4_3ELNS0_20block_scan_algorithmE0ELj4294967295EEENS1_25partition_config_selectorILNS1_17partition_subalgoE3EjNS0_10empty_typeEbEEZZNS1_14partition_implILS8_3ELb0ES6_jNS0_17counting_iteratorIjlEEPS9_SE_NS0_5tupleIJPjSE_EEENSF_IJSE_SE_EEES9_SG_JZNS1_25segmented_radix_sort_implINS0_14default_configELb1EPK12hip_bfloat16PSL_PKlPlN2at6native12_GLOBAL__N_18offset_tEEE10hipError_tPvRmT1_PNSt15iterator_traitsISZ_E10value_typeET2_T3_PNS10_IS15_E10value_typeET4_jRbjT5_S1B_jjP12ihipStream_tbEUljE_EEESW_SX_SY_S15_S19_S1B_T6_T7_T9_mT8_S1D_bDpT10_ENKUlT_T0_E_clISt17integral_constantIbLb0EES1P_IbLb1EEEEDaS1L_S1M_EUlS1L_E_NS1_11comp_targetILNS1_3genE4ELNS1_11target_archE910ELNS1_3gpuE8ELNS1_3repE0EEENS1_30default_config_static_selectorELNS0_4arch9wavefront6targetE0EEEvSZ_,comdat
	.globl	_ZN7rocprim17ROCPRIM_400000_NS6detail17trampoline_kernelINS0_13select_configILj256ELj13ELNS0_17block_load_methodE3ELS4_3ELS4_3ELNS0_20block_scan_algorithmE0ELj4294967295EEENS1_25partition_config_selectorILNS1_17partition_subalgoE3EjNS0_10empty_typeEbEEZZNS1_14partition_implILS8_3ELb0ES6_jNS0_17counting_iteratorIjlEEPS9_SE_NS0_5tupleIJPjSE_EEENSF_IJSE_SE_EEES9_SG_JZNS1_25segmented_radix_sort_implINS0_14default_configELb1EPK12hip_bfloat16PSL_PKlPlN2at6native12_GLOBAL__N_18offset_tEEE10hipError_tPvRmT1_PNSt15iterator_traitsISZ_E10value_typeET2_T3_PNS10_IS15_E10value_typeET4_jRbjT5_S1B_jjP12ihipStream_tbEUljE_EEESW_SX_SY_S15_S19_S1B_T6_T7_T9_mT8_S1D_bDpT10_ENKUlT_T0_E_clISt17integral_constantIbLb0EES1P_IbLb1EEEEDaS1L_S1M_EUlS1L_E_NS1_11comp_targetILNS1_3genE4ELNS1_11target_archE910ELNS1_3gpuE8ELNS1_3repE0EEENS1_30default_config_static_selectorELNS0_4arch9wavefront6targetE0EEEvSZ_ ; -- Begin function _ZN7rocprim17ROCPRIM_400000_NS6detail17trampoline_kernelINS0_13select_configILj256ELj13ELNS0_17block_load_methodE3ELS4_3ELS4_3ELNS0_20block_scan_algorithmE0ELj4294967295EEENS1_25partition_config_selectorILNS1_17partition_subalgoE3EjNS0_10empty_typeEbEEZZNS1_14partition_implILS8_3ELb0ES6_jNS0_17counting_iteratorIjlEEPS9_SE_NS0_5tupleIJPjSE_EEENSF_IJSE_SE_EEES9_SG_JZNS1_25segmented_radix_sort_implINS0_14default_configELb1EPK12hip_bfloat16PSL_PKlPlN2at6native12_GLOBAL__N_18offset_tEEE10hipError_tPvRmT1_PNSt15iterator_traitsISZ_E10value_typeET2_T3_PNS10_IS15_E10value_typeET4_jRbjT5_S1B_jjP12ihipStream_tbEUljE_EEESW_SX_SY_S15_S19_S1B_T6_T7_T9_mT8_S1D_bDpT10_ENKUlT_T0_E_clISt17integral_constantIbLb0EES1P_IbLb1EEEEDaS1L_S1M_EUlS1L_E_NS1_11comp_targetILNS1_3genE4ELNS1_11target_archE910ELNS1_3gpuE8ELNS1_3repE0EEENS1_30default_config_static_selectorELNS0_4arch9wavefront6targetE0EEEvSZ_
	.p2align	8
	.type	_ZN7rocprim17ROCPRIM_400000_NS6detail17trampoline_kernelINS0_13select_configILj256ELj13ELNS0_17block_load_methodE3ELS4_3ELS4_3ELNS0_20block_scan_algorithmE0ELj4294967295EEENS1_25partition_config_selectorILNS1_17partition_subalgoE3EjNS0_10empty_typeEbEEZZNS1_14partition_implILS8_3ELb0ES6_jNS0_17counting_iteratorIjlEEPS9_SE_NS0_5tupleIJPjSE_EEENSF_IJSE_SE_EEES9_SG_JZNS1_25segmented_radix_sort_implINS0_14default_configELb1EPK12hip_bfloat16PSL_PKlPlN2at6native12_GLOBAL__N_18offset_tEEE10hipError_tPvRmT1_PNSt15iterator_traitsISZ_E10value_typeET2_T3_PNS10_IS15_E10value_typeET4_jRbjT5_S1B_jjP12ihipStream_tbEUljE_EEESW_SX_SY_S15_S19_S1B_T6_T7_T9_mT8_S1D_bDpT10_ENKUlT_T0_E_clISt17integral_constantIbLb0EES1P_IbLb1EEEEDaS1L_S1M_EUlS1L_E_NS1_11comp_targetILNS1_3genE4ELNS1_11target_archE910ELNS1_3gpuE8ELNS1_3repE0EEENS1_30default_config_static_selectorELNS0_4arch9wavefront6targetE0EEEvSZ_,@function
_ZN7rocprim17ROCPRIM_400000_NS6detail17trampoline_kernelINS0_13select_configILj256ELj13ELNS0_17block_load_methodE3ELS4_3ELS4_3ELNS0_20block_scan_algorithmE0ELj4294967295EEENS1_25partition_config_selectorILNS1_17partition_subalgoE3EjNS0_10empty_typeEbEEZZNS1_14partition_implILS8_3ELb0ES6_jNS0_17counting_iteratorIjlEEPS9_SE_NS0_5tupleIJPjSE_EEENSF_IJSE_SE_EEES9_SG_JZNS1_25segmented_radix_sort_implINS0_14default_configELb1EPK12hip_bfloat16PSL_PKlPlN2at6native12_GLOBAL__N_18offset_tEEE10hipError_tPvRmT1_PNSt15iterator_traitsISZ_E10value_typeET2_T3_PNS10_IS15_E10value_typeET4_jRbjT5_S1B_jjP12ihipStream_tbEUljE_EEESW_SX_SY_S15_S19_S1B_T6_T7_T9_mT8_S1D_bDpT10_ENKUlT_T0_E_clISt17integral_constantIbLb0EES1P_IbLb1EEEEDaS1L_S1M_EUlS1L_E_NS1_11comp_targetILNS1_3genE4ELNS1_11target_archE910ELNS1_3gpuE8ELNS1_3repE0EEENS1_30default_config_static_selectorELNS0_4arch9wavefront6targetE0EEEvSZ_: ; @_ZN7rocprim17ROCPRIM_400000_NS6detail17trampoline_kernelINS0_13select_configILj256ELj13ELNS0_17block_load_methodE3ELS4_3ELS4_3ELNS0_20block_scan_algorithmE0ELj4294967295EEENS1_25partition_config_selectorILNS1_17partition_subalgoE3EjNS0_10empty_typeEbEEZZNS1_14partition_implILS8_3ELb0ES6_jNS0_17counting_iteratorIjlEEPS9_SE_NS0_5tupleIJPjSE_EEENSF_IJSE_SE_EEES9_SG_JZNS1_25segmented_radix_sort_implINS0_14default_configELb1EPK12hip_bfloat16PSL_PKlPlN2at6native12_GLOBAL__N_18offset_tEEE10hipError_tPvRmT1_PNSt15iterator_traitsISZ_E10value_typeET2_T3_PNS10_IS15_E10value_typeET4_jRbjT5_S1B_jjP12ihipStream_tbEUljE_EEESW_SX_SY_S15_S19_S1B_T6_T7_T9_mT8_S1D_bDpT10_ENKUlT_T0_E_clISt17integral_constantIbLb0EES1P_IbLb1EEEEDaS1L_S1M_EUlS1L_E_NS1_11comp_targetILNS1_3genE4ELNS1_11target_archE910ELNS1_3gpuE8ELNS1_3repE0EEENS1_30default_config_static_selectorELNS0_4arch9wavefront6targetE0EEEvSZ_
; %bb.0:
	.section	.rodata,"a",@progbits
	.p2align	6, 0x0
	.amdhsa_kernel _ZN7rocprim17ROCPRIM_400000_NS6detail17trampoline_kernelINS0_13select_configILj256ELj13ELNS0_17block_load_methodE3ELS4_3ELS4_3ELNS0_20block_scan_algorithmE0ELj4294967295EEENS1_25partition_config_selectorILNS1_17partition_subalgoE3EjNS0_10empty_typeEbEEZZNS1_14partition_implILS8_3ELb0ES6_jNS0_17counting_iteratorIjlEEPS9_SE_NS0_5tupleIJPjSE_EEENSF_IJSE_SE_EEES9_SG_JZNS1_25segmented_radix_sort_implINS0_14default_configELb1EPK12hip_bfloat16PSL_PKlPlN2at6native12_GLOBAL__N_18offset_tEEE10hipError_tPvRmT1_PNSt15iterator_traitsISZ_E10value_typeET2_T3_PNS10_IS15_E10value_typeET4_jRbjT5_S1B_jjP12ihipStream_tbEUljE_EEESW_SX_SY_S15_S19_S1B_T6_T7_T9_mT8_S1D_bDpT10_ENKUlT_T0_E_clISt17integral_constantIbLb0EES1P_IbLb1EEEEDaS1L_S1M_EUlS1L_E_NS1_11comp_targetILNS1_3genE4ELNS1_11target_archE910ELNS1_3gpuE8ELNS1_3repE0EEENS1_30default_config_static_selectorELNS0_4arch9wavefront6targetE0EEEvSZ_
		.amdhsa_group_segment_fixed_size 0
		.amdhsa_private_segment_fixed_size 0
		.amdhsa_kernarg_size 152
		.amdhsa_user_sgpr_count 15
		.amdhsa_user_sgpr_dispatch_ptr 0
		.amdhsa_user_sgpr_queue_ptr 0
		.amdhsa_user_sgpr_kernarg_segment_ptr 1
		.amdhsa_user_sgpr_dispatch_id 0
		.amdhsa_user_sgpr_private_segment_size 0
		.amdhsa_wavefront_size32 1
		.amdhsa_uses_dynamic_stack 0
		.amdhsa_enable_private_segment 0
		.amdhsa_system_sgpr_workgroup_id_x 1
		.amdhsa_system_sgpr_workgroup_id_y 0
		.amdhsa_system_sgpr_workgroup_id_z 0
		.amdhsa_system_sgpr_workgroup_info 0
		.amdhsa_system_vgpr_workitem_id 0
		.amdhsa_next_free_vgpr 1
		.amdhsa_next_free_sgpr 1
		.amdhsa_reserve_vcc 0
		.amdhsa_float_round_mode_32 0
		.amdhsa_float_round_mode_16_64 0
		.amdhsa_float_denorm_mode_32 3
		.amdhsa_float_denorm_mode_16_64 3
		.amdhsa_dx10_clamp 1
		.amdhsa_ieee_mode 1
		.amdhsa_fp16_overflow 0
		.amdhsa_workgroup_processor_mode 1
		.amdhsa_memory_ordered 1
		.amdhsa_forward_progress 0
		.amdhsa_shared_vgpr_count 0
		.amdhsa_exception_fp_ieee_invalid_op 0
		.amdhsa_exception_fp_denorm_src 0
		.amdhsa_exception_fp_ieee_div_zero 0
		.amdhsa_exception_fp_ieee_overflow 0
		.amdhsa_exception_fp_ieee_underflow 0
		.amdhsa_exception_fp_ieee_inexact 0
		.amdhsa_exception_int_div_zero 0
	.end_amdhsa_kernel
	.section	.text._ZN7rocprim17ROCPRIM_400000_NS6detail17trampoline_kernelINS0_13select_configILj256ELj13ELNS0_17block_load_methodE3ELS4_3ELS4_3ELNS0_20block_scan_algorithmE0ELj4294967295EEENS1_25partition_config_selectorILNS1_17partition_subalgoE3EjNS0_10empty_typeEbEEZZNS1_14partition_implILS8_3ELb0ES6_jNS0_17counting_iteratorIjlEEPS9_SE_NS0_5tupleIJPjSE_EEENSF_IJSE_SE_EEES9_SG_JZNS1_25segmented_radix_sort_implINS0_14default_configELb1EPK12hip_bfloat16PSL_PKlPlN2at6native12_GLOBAL__N_18offset_tEEE10hipError_tPvRmT1_PNSt15iterator_traitsISZ_E10value_typeET2_T3_PNS10_IS15_E10value_typeET4_jRbjT5_S1B_jjP12ihipStream_tbEUljE_EEESW_SX_SY_S15_S19_S1B_T6_T7_T9_mT8_S1D_bDpT10_ENKUlT_T0_E_clISt17integral_constantIbLb0EES1P_IbLb1EEEEDaS1L_S1M_EUlS1L_E_NS1_11comp_targetILNS1_3genE4ELNS1_11target_archE910ELNS1_3gpuE8ELNS1_3repE0EEENS1_30default_config_static_selectorELNS0_4arch9wavefront6targetE0EEEvSZ_,"axG",@progbits,_ZN7rocprim17ROCPRIM_400000_NS6detail17trampoline_kernelINS0_13select_configILj256ELj13ELNS0_17block_load_methodE3ELS4_3ELS4_3ELNS0_20block_scan_algorithmE0ELj4294967295EEENS1_25partition_config_selectorILNS1_17partition_subalgoE3EjNS0_10empty_typeEbEEZZNS1_14partition_implILS8_3ELb0ES6_jNS0_17counting_iteratorIjlEEPS9_SE_NS0_5tupleIJPjSE_EEENSF_IJSE_SE_EEES9_SG_JZNS1_25segmented_radix_sort_implINS0_14default_configELb1EPK12hip_bfloat16PSL_PKlPlN2at6native12_GLOBAL__N_18offset_tEEE10hipError_tPvRmT1_PNSt15iterator_traitsISZ_E10value_typeET2_T3_PNS10_IS15_E10value_typeET4_jRbjT5_S1B_jjP12ihipStream_tbEUljE_EEESW_SX_SY_S15_S19_S1B_T6_T7_T9_mT8_S1D_bDpT10_ENKUlT_T0_E_clISt17integral_constantIbLb0EES1P_IbLb1EEEEDaS1L_S1M_EUlS1L_E_NS1_11comp_targetILNS1_3genE4ELNS1_11target_archE910ELNS1_3gpuE8ELNS1_3repE0EEENS1_30default_config_static_selectorELNS0_4arch9wavefront6targetE0EEEvSZ_,comdat
.Lfunc_end1940:
	.size	_ZN7rocprim17ROCPRIM_400000_NS6detail17trampoline_kernelINS0_13select_configILj256ELj13ELNS0_17block_load_methodE3ELS4_3ELS4_3ELNS0_20block_scan_algorithmE0ELj4294967295EEENS1_25partition_config_selectorILNS1_17partition_subalgoE3EjNS0_10empty_typeEbEEZZNS1_14partition_implILS8_3ELb0ES6_jNS0_17counting_iteratorIjlEEPS9_SE_NS0_5tupleIJPjSE_EEENSF_IJSE_SE_EEES9_SG_JZNS1_25segmented_radix_sort_implINS0_14default_configELb1EPK12hip_bfloat16PSL_PKlPlN2at6native12_GLOBAL__N_18offset_tEEE10hipError_tPvRmT1_PNSt15iterator_traitsISZ_E10value_typeET2_T3_PNS10_IS15_E10value_typeET4_jRbjT5_S1B_jjP12ihipStream_tbEUljE_EEESW_SX_SY_S15_S19_S1B_T6_T7_T9_mT8_S1D_bDpT10_ENKUlT_T0_E_clISt17integral_constantIbLb0EES1P_IbLb1EEEEDaS1L_S1M_EUlS1L_E_NS1_11comp_targetILNS1_3genE4ELNS1_11target_archE910ELNS1_3gpuE8ELNS1_3repE0EEENS1_30default_config_static_selectorELNS0_4arch9wavefront6targetE0EEEvSZ_, .Lfunc_end1940-_ZN7rocprim17ROCPRIM_400000_NS6detail17trampoline_kernelINS0_13select_configILj256ELj13ELNS0_17block_load_methodE3ELS4_3ELS4_3ELNS0_20block_scan_algorithmE0ELj4294967295EEENS1_25partition_config_selectorILNS1_17partition_subalgoE3EjNS0_10empty_typeEbEEZZNS1_14partition_implILS8_3ELb0ES6_jNS0_17counting_iteratorIjlEEPS9_SE_NS0_5tupleIJPjSE_EEENSF_IJSE_SE_EEES9_SG_JZNS1_25segmented_radix_sort_implINS0_14default_configELb1EPK12hip_bfloat16PSL_PKlPlN2at6native12_GLOBAL__N_18offset_tEEE10hipError_tPvRmT1_PNSt15iterator_traitsISZ_E10value_typeET2_T3_PNS10_IS15_E10value_typeET4_jRbjT5_S1B_jjP12ihipStream_tbEUljE_EEESW_SX_SY_S15_S19_S1B_T6_T7_T9_mT8_S1D_bDpT10_ENKUlT_T0_E_clISt17integral_constantIbLb0EES1P_IbLb1EEEEDaS1L_S1M_EUlS1L_E_NS1_11comp_targetILNS1_3genE4ELNS1_11target_archE910ELNS1_3gpuE8ELNS1_3repE0EEENS1_30default_config_static_selectorELNS0_4arch9wavefront6targetE0EEEvSZ_
                                        ; -- End function
	.section	.AMDGPU.csdata,"",@progbits
; Kernel info:
; codeLenInByte = 0
; NumSgprs: 0
; NumVgprs: 0
; ScratchSize: 0
; MemoryBound: 0
; FloatMode: 240
; IeeeMode: 1
; LDSByteSize: 0 bytes/workgroup (compile time only)
; SGPRBlocks: 0
; VGPRBlocks: 0
; NumSGPRsForWavesPerEU: 1
; NumVGPRsForWavesPerEU: 1
; Occupancy: 16
; WaveLimiterHint : 0
; COMPUTE_PGM_RSRC2:SCRATCH_EN: 0
; COMPUTE_PGM_RSRC2:USER_SGPR: 15
; COMPUTE_PGM_RSRC2:TRAP_HANDLER: 0
; COMPUTE_PGM_RSRC2:TGID_X_EN: 1
; COMPUTE_PGM_RSRC2:TGID_Y_EN: 0
; COMPUTE_PGM_RSRC2:TGID_Z_EN: 0
; COMPUTE_PGM_RSRC2:TIDIG_COMP_CNT: 0
	.section	.text._ZN7rocprim17ROCPRIM_400000_NS6detail17trampoline_kernelINS0_13select_configILj256ELj13ELNS0_17block_load_methodE3ELS4_3ELS4_3ELNS0_20block_scan_algorithmE0ELj4294967295EEENS1_25partition_config_selectorILNS1_17partition_subalgoE3EjNS0_10empty_typeEbEEZZNS1_14partition_implILS8_3ELb0ES6_jNS0_17counting_iteratorIjlEEPS9_SE_NS0_5tupleIJPjSE_EEENSF_IJSE_SE_EEES9_SG_JZNS1_25segmented_radix_sort_implINS0_14default_configELb1EPK12hip_bfloat16PSL_PKlPlN2at6native12_GLOBAL__N_18offset_tEEE10hipError_tPvRmT1_PNSt15iterator_traitsISZ_E10value_typeET2_T3_PNS10_IS15_E10value_typeET4_jRbjT5_S1B_jjP12ihipStream_tbEUljE_EEESW_SX_SY_S15_S19_S1B_T6_T7_T9_mT8_S1D_bDpT10_ENKUlT_T0_E_clISt17integral_constantIbLb0EES1P_IbLb1EEEEDaS1L_S1M_EUlS1L_E_NS1_11comp_targetILNS1_3genE3ELNS1_11target_archE908ELNS1_3gpuE7ELNS1_3repE0EEENS1_30default_config_static_selectorELNS0_4arch9wavefront6targetE0EEEvSZ_,"axG",@progbits,_ZN7rocprim17ROCPRIM_400000_NS6detail17trampoline_kernelINS0_13select_configILj256ELj13ELNS0_17block_load_methodE3ELS4_3ELS4_3ELNS0_20block_scan_algorithmE0ELj4294967295EEENS1_25partition_config_selectorILNS1_17partition_subalgoE3EjNS0_10empty_typeEbEEZZNS1_14partition_implILS8_3ELb0ES6_jNS0_17counting_iteratorIjlEEPS9_SE_NS0_5tupleIJPjSE_EEENSF_IJSE_SE_EEES9_SG_JZNS1_25segmented_radix_sort_implINS0_14default_configELb1EPK12hip_bfloat16PSL_PKlPlN2at6native12_GLOBAL__N_18offset_tEEE10hipError_tPvRmT1_PNSt15iterator_traitsISZ_E10value_typeET2_T3_PNS10_IS15_E10value_typeET4_jRbjT5_S1B_jjP12ihipStream_tbEUljE_EEESW_SX_SY_S15_S19_S1B_T6_T7_T9_mT8_S1D_bDpT10_ENKUlT_T0_E_clISt17integral_constantIbLb0EES1P_IbLb1EEEEDaS1L_S1M_EUlS1L_E_NS1_11comp_targetILNS1_3genE3ELNS1_11target_archE908ELNS1_3gpuE7ELNS1_3repE0EEENS1_30default_config_static_selectorELNS0_4arch9wavefront6targetE0EEEvSZ_,comdat
	.globl	_ZN7rocprim17ROCPRIM_400000_NS6detail17trampoline_kernelINS0_13select_configILj256ELj13ELNS0_17block_load_methodE3ELS4_3ELS4_3ELNS0_20block_scan_algorithmE0ELj4294967295EEENS1_25partition_config_selectorILNS1_17partition_subalgoE3EjNS0_10empty_typeEbEEZZNS1_14partition_implILS8_3ELb0ES6_jNS0_17counting_iteratorIjlEEPS9_SE_NS0_5tupleIJPjSE_EEENSF_IJSE_SE_EEES9_SG_JZNS1_25segmented_radix_sort_implINS0_14default_configELb1EPK12hip_bfloat16PSL_PKlPlN2at6native12_GLOBAL__N_18offset_tEEE10hipError_tPvRmT1_PNSt15iterator_traitsISZ_E10value_typeET2_T3_PNS10_IS15_E10value_typeET4_jRbjT5_S1B_jjP12ihipStream_tbEUljE_EEESW_SX_SY_S15_S19_S1B_T6_T7_T9_mT8_S1D_bDpT10_ENKUlT_T0_E_clISt17integral_constantIbLb0EES1P_IbLb1EEEEDaS1L_S1M_EUlS1L_E_NS1_11comp_targetILNS1_3genE3ELNS1_11target_archE908ELNS1_3gpuE7ELNS1_3repE0EEENS1_30default_config_static_selectorELNS0_4arch9wavefront6targetE0EEEvSZ_ ; -- Begin function _ZN7rocprim17ROCPRIM_400000_NS6detail17trampoline_kernelINS0_13select_configILj256ELj13ELNS0_17block_load_methodE3ELS4_3ELS4_3ELNS0_20block_scan_algorithmE0ELj4294967295EEENS1_25partition_config_selectorILNS1_17partition_subalgoE3EjNS0_10empty_typeEbEEZZNS1_14partition_implILS8_3ELb0ES6_jNS0_17counting_iteratorIjlEEPS9_SE_NS0_5tupleIJPjSE_EEENSF_IJSE_SE_EEES9_SG_JZNS1_25segmented_radix_sort_implINS0_14default_configELb1EPK12hip_bfloat16PSL_PKlPlN2at6native12_GLOBAL__N_18offset_tEEE10hipError_tPvRmT1_PNSt15iterator_traitsISZ_E10value_typeET2_T3_PNS10_IS15_E10value_typeET4_jRbjT5_S1B_jjP12ihipStream_tbEUljE_EEESW_SX_SY_S15_S19_S1B_T6_T7_T9_mT8_S1D_bDpT10_ENKUlT_T0_E_clISt17integral_constantIbLb0EES1P_IbLb1EEEEDaS1L_S1M_EUlS1L_E_NS1_11comp_targetILNS1_3genE3ELNS1_11target_archE908ELNS1_3gpuE7ELNS1_3repE0EEENS1_30default_config_static_selectorELNS0_4arch9wavefront6targetE0EEEvSZ_
	.p2align	8
	.type	_ZN7rocprim17ROCPRIM_400000_NS6detail17trampoline_kernelINS0_13select_configILj256ELj13ELNS0_17block_load_methodE3ELS4_3ELS4_3ELNS0_20block_scan_algorithmE0ELj4294967295EEENS1_25partition_config_selectorILNS1_17partition_subalgoE3EjNS0_10empty_typeEbEEZZNS1_14partition_implILS8_3ELb0ES6_jNS0_17counting_iteratorIjlEEPS9_SE_NS0_5tupleIJPjSE_EEENSF_IJSE_SE_EEES9_SG_JZNS1_25segmented_radix_sort_implINS0_14default_configELb1EPK12hip_bfloat16PSL_PKlPlN2at6native12_GLOBAL__N_18offset_tEEE10hipError_tPvRmT1_PNSt15iterator_traitsISZ_E10value_typeET2_T3_PNS10_IS15_E10value_typeET4_jRbjT5_S1B_jjP12ihipStream_tbEUljE_EEESW_SX_SY_S15_S19_S1B_T6_T7_T9_mT8_S1D_bDpT10_ENKUlT_T0_E_clISt17integral_constantIbLb0EES1P_IbLb1EEEEDaS1L_S1M_EUlS1L_E_NS1_11comp_targetILNS1_3genE3ELNS1_11target_archE908ELNS1_3gpuE7ELNS1_3repE0EEENS1_30default_config_static_selectorELNS0_4arch9wavefront6targetE0EEEvSZ_,@function
_ZN7rocprim17ROCPRIM_400000_NS6detail17trampoline_kernelINS0_13select_configILj256ELj13ELNS0_17block_load_methodE3ELS4_3ELS4_3ELNS0_20block_scan_algorithmE0ELj4294967295EEENS1_25partition_config_selectorILNS1_17partition_subalgoE3EjNS0_10empty_typeEbEEZZNS1_14partition_implILS8_3ELb0ES6_jNS0_17counting_iteratorIjlEEPS9_SE_NS0_5tupleIJPjSE_EEENSF_IJSE_SE_EEES9_SG_JZNS1_25segmented_radix_sort_implINS0_14default_configELb1EPK12hip_bfloat16PSL_PKlPlN2at6native12_GLOBAL__N_18offset_tEEE10hipError_tPvRmT1_PNSt15iterator_traitsISZ_E10value_typeET2_T3_PNS10_IS15_E10value_typeET4_jRbjT5_S1B_jjP12ihipStream_tbEUljE_EEESW_SX_SY_S15_S19_S1B_T6_T7_T9_mT8_S1D_bDpT10_ENKUlT_T0_E_clISt17integral_constantIbLb0EES1P_IbLb1EEEEDaS1L_S1M_EUlS1L_E_NS1_11comp_targetILNS1_3genE3ELNS1_11target_archE908ELNS1_3gpuE7ELNS1_3repE0EEENS1_30default_config_static_selectorELNS0_4arch9wavefront6targetE0EEEvSZ_: ; @_ZN7rocprim17ROCPRIM_400000_NS6detail17trampoline_kernelINS0_13select_configILj256ELj13ELNS0_17block_load_methodE3ELS4_3ELS4_3ELNS0_20block_scan_algorithmE0ELj4294967295EEENS1_25partition_config_selectorILNS1_17partition_subalgoE3EjNS0_10empty_typeEbEEZZNS1_14partition_implILS8_3ELb0ES6_jNS0_17counting_iteratorIjlEEPS9_SE_NS0_5tupleIJPjSE_EEENSF_IJSE_SE_EEES9_SG_JZNS1_25segmented_radix_sort_implINS0_14default_configELb1EPK12hip_bfloat16PSL_PKlPlN2at6native12_GLOBAL__N_18offset_tEEE10hipError_tPvRmT1_PNSt15iterator_traitsISZ_E10value_typeET2_T3_PNS10_IS15_E10value_typeET4_jRbjT5_S1B_jjP12ihipStream_tbEUljE_EEESW_SX_SY_S15_S19_S1B_T6_T7_T9_mT8_S1D_bDpT10_ENKUlT_T0_E_clISt17integral_constantIbLb0EES1P_IbLb1EEEEDaS1L_S1M_EUlS1L_E_NS1_11comp_targetILNS1_3genE3ELNS1_11target_archE908ELNS1_3gpuE7ELNS1_3repE0EEENS1_30default_config_static_selectorELNS0_4arch9wavefront6targetE0EEEvSZ_
; %bb.0:
	.section	.rodata,"a",@progbits
	.p2align	6, 0x0
	.amdhsa_kernel _ZN7rocprim17ROCPRIM_400000_NS6detail17trampoline_kernelINS0_13select_configILj256ELj13ELNS0_17block_load_methodE3ELS4_3ELS4_3ELNS0_20block_scan_algorithmE0ELj4294967295EEENS1_25partition_config_selectorILNS1_17partition_subalgoE3EjNS0_10empty_typeEbEEZZNS1_14partition_implILS8_3ELb0ES6_jNS0_17counting_iteratorIjlEEPS9_SE_NS0_5tupleIJPjSE_EEENSF_IJSE_SE_EEES9_SG_JZNS1_25segmented_radix_sort_implINS0_14default_configELb1EPK12hip_bfloat16PSL_PKlPlN2at6native12_GLOBAL__N_18offset_tEEE10hipError_tPvRmT1_PNSt15iterator_traitsISZ_E10value_typeET2_T3_PNS10_IS15_E10value_typeET4_jRbjT5_S1B_jjP12ihipStream_tbEUljE_EEESW_SX_SY_S15_S19_S1B_T6_T7_T9_mT8_S1D_bDpT10_ENKUlT_T0_E_clISt17integral_constantIbLb0EES1P_IbLb1EEEEDaS1L_S1M_EUlS1L_E_NS1_11comp_targetILNS1_3genE3ELNS1_11target_archE908ELNS1_3gpuE7ELNS1_3repE0EEENS1_30default_config_static_selectorELNS0_4arch9wavefront6targetE0EEEvSZ_
		.amdhsa_group_segment_fixed_size 0
		.amdhsa_private_segment_fixed_size 0
		.amdhsa_kernarg_size 152
		.amdhsa_user_sgpr_count 15
		.amdhsa_user_sgpr_dispatch_ptr 0
		.amdhsa_user_sgpr_queue_ptr 0
		.amdhsa_user_sgpr_kernarg_segment_ptr 1
		.amdhsa_user_sgpr_dispatch_id 0
		.amdhsa_user_sgpr_private_segment_size 0
		.amdhsa_wavefront_size32 1
		.amdhsa_uses_dynamic_stack 0
		.amdhsa_enable_private_segment 0
		.amdhsa_system_sgpr_workgroup_id_x 1
		.amdhsa_system_sgpr_workgroup_id_y 0
		.amdhsa_system_sgpr_workgroup_id_z 0
		.amdhsa_system_sgpr_workgroup_info 0
		.amdhsa_system_vgpr_workitem_id 0
		.amdhsa_next_free_vgpr 1
		.amdhsa_next_free_sgpr 1
		.amdhsa_reserve_vcc 0
		.amdhsa_float_round_mode_32 0
		.amdhsa_float_round_mode_16_64 0
		.amdhsa_float_denorm_mode_32 3
		.amdhsa_float_denorm_mode_16_64 3
		.amdhsa_dx10_clamp 1
		.amdhsa_ieee_mode 1
		.amdhsa_fp16_overflow 0
		.amdhsa_workgroup_processor_mode 1
		.amdhsa_memory_ordered 1
		.amdhsa_forward_progress 0
		.amdhsa_shared_vgpr_count 0
		.amdhsa_exception_fp_ieee_invalid_op 0
		.amdhsa_exception_fp_denorm_src 0
		.amdhsa_exception_fp_ieee_div_zero 0
		.amdhsa_exception_fp_ieee_overflow 0
		.amdhsa_exception_fp_ieee_underflow 0
		.amdhsa_exception_fp_ieee_inexact 0
		.amdhsa_exception_int_div_zero 0
	.end_amdhsa_kernel
	.section	.text._ZN7rocprim17ROCPRIM_400000_NS6detail17trampoline_kernelINS0_13select_configILj256ELj13ELNS0_17block_load_methodE3ELS4_3ELS4_3ELNS0_20block_scan_algorithmE0ELj4294967295EEENS1_25partition_config_selectorILNS1_17partition_subalgoE3EjNS0_10empty_typeEbEEZZNS1_14partition_implILS8_3ELb0ES6_jNS0_17counting_iteratorIjlEEPS9_SE_NS0_5tupleIJPjSE_EEENSF_IJSE_SE_EEES9_SG_JZNS1_25segmented_radix_sort_implINS0_14default_configELb1EPK12hip_bfloat16PSL_PKlPlN2at6native12_GLOBAL__N_18offset_tEEE10hipError_tPvRmT1_PNSt15iterator_traitsISZ_E10value_typeET2_T3_PNS10_IS15_E10value_typeET4_jRbjT5_S1B_jjP12ihipStream_tbEUljE_EEESW_SX_SY_S15_S19_S1B_T6_T7_T9_mT8_S1D_bDpT10_ENKUlT_T0_E_clISt17integral_constantIbLb0EES1P_IbLb1EEEEDaS1L_S1M_EUlS1L_E_NS1_11comp_targetILNS1_3genE3ELNS1_11target_archE908ELNS1_3gpuE7ELNS1_3repE0EEENS1_30default_config_static_selectorELNS0_4arch9wavefront6targetE0EEEvSZ_,"axG",@progbits,_ZN7rocprim17ROCPRIM_400000_NS6detail17trampoline_kernelINS0_13select_configILj256ELj13ELNS0_17block_load_methodE3ELS4_3ELS4_3ELNS0_20block_scan_algorithmE0ELj4294967295EEENS1_25partition_config_selectorILNS1_17partition_subalgoE3EjNS0_10empty_typeEbEEZZNS1_14partition_implILS8_3ELb0ES6_jNS0_17counting_iteratorIjlEEPS9_SE_NS0_5tupleIJPjSE_EEENSF_IJSE_SE_EEES9_SG_JZNS1_25segmented_radix_sort_implINS0_14default_configELb1EPK12hip_bfloat16PSL_PKlPlN2at6native12_GLOBAL__N_18offset_tEEE10hipError_tPvRmT1_PNSt15iterator_traitsISZ_E10value_typeET2_T3_PNS10_IS15_E10value_typeET4_jRbjT5_S1B_jjP12ihipStream_tbEUljE_EEESW_SX_SY_S15_S19_S1B_T6_T7_T9_mT8_S1D_bDpT10_ENKUlT_T0_E_clISt17integral_constantIbLb0EES1P_IbLb1EEEEDaS1L_S1M_EUlS1L_E_NS1_11comp_targetILNS1_3genE3ELNS1_11target_archE908ELNS1_3gpuE7ELNS1_3repE0EEENS1_30default_config_static_selectorELNS0_4arch9wavefront6targetE0EEEvSZ_,comdat
.Lfunc_end1941:
	.size	_ZN7rocprim17ROCPRIM_400000_NS6detail17trampoline_kernelINS0_13select_configILj256ELj13ELNS0_17block_load_methodE3ELS4_3ELS4_3ELNS0_20block_scan_algorithmE0ELj4294967295EEENS1_25partition_config_selectorILNS1_17partition_subalgoE3EjNS0_10empty_typeEbEEZZNS1_14partition_implILS8_3ELb0ES6_jNS0_17counting_iteratorIjlEEPS9_SE_NS0_5tupleIJPjSE_EEENSF_IJSE_SE_EEES9_SG_JZNS1_25segmented_radix_sort_implINS0_14default_configELb1EPK12hip_bfloat16PSL_PKlPlN2at6native12_GLOBAL__N_18offset_tEEE10hipError_tPvRmT1_PNSt15iterator_traitsISZ_E10value_typeET2_T3_PNS10_IS15_E10value_typeET4_jRbjT5_S1B_jjP12ihipStream_tbEUljE_EEESW_SX_SY_S15_S19_S1B_T6_T7_T9_mT8_S1D_bDpT10_ENKUlT_T0_E_clISt17integral_constantIbLb0EES1P_IbLb1EEEEDaS1L_S1M_EUlS1L_E_NS1_11comp_targetILNS1_3genE3ELNS1_11target_archE908ELNS1_3gpuE7ELNS1_3repE0EEENS1_30default_config_static_selectorELNS0_4arch9wavefront6targetE0EEEvSZ_, .Lfunc_end1941-_ZN7rocprim17ROCPRIM_400000_NS6detail17trampoline_kernelINS0_13select_configILj256ELj13ELNS0_17block_load_methodE3ELS4_3ELS4_3ELNS0_20block_scan_algorithmE0ELj4294967295EEENS1_25partition_config_selectorILNS1_17partition_subalgoE3EjNS0_10empty_typeEbEEZZNS1_14partition_implILS8_3ELb0ES6_jNS0_17counting_iteratorIjlEEPS9_SE_NS0_5tupleIJPjSE_EEENSF_IJSE_SE_EEES9_SG_JZNS1_25segmented_radix_sort_implINS0_14default_configELb1EPK12hip_bfloat16PSL_PKlPlN2at6native12_GLOBAL__N_18offset_tEEE10hipError_tPvRmT1_PNSt15iterator_traitsISZ_E10value_typeET2_T3_PNS10_IS15_E10value_typeET4_jRbjT5_S1B_jjP12ihipStream_tbEUljE_EEESW_SX_SY_S15_S19_S1B_T6_T7_T9_mT8_S1D_bDpT10_ENKUlT_T0_E_clISt17integral_constantIbLb0EES1P_IbLb1EEEEDaS1L_S1M_EUlS1L_E_NS1_11comp_targetILNS1_3genE3ELNS1_11target_archE908ELNS1_3gpuE7ELNS1_3repE0EEENS1_30default_config_static_selectorELNS0_4arch9wavefront6targetE0EEEvSZ_
                                        ; -- End function
	.section	.AMDGPU.csdata,"",@progbits
; Kernel info:
; codeLenInByte = 0
; NumSgprs: 0
; NumVgprs: 0
; ScratchSize: 0
; MemoryBound: 0
; FloatMode: 240
; IeeeMode: 1
; LDSByteSize: 0 bytes/workgroup (compile time only)
; SGPRBlocks: 0
; VGPRBlocks: 0
; NumSGPRsForWavesPerEU: 1
; NumVGPRsForWavesPerEU: 1
; Occupancy: 16
; WaveLimiterHint : 0
; COMPUTE_PGM_RSRC2:SCRATCH_EN: 0
; COMPUTE_PGM_RSRC2:USER_SGPR: 15
; COMPUTE_PGM_RSRC2:TRAP_HANDLER: 0
; COMPUTE_PGM_RSRC2:TGID_X_EN: 1
; COMPUTE_PGM_RSRC2:TGID_Y_EN: 0
; COMPUTE_PGM_RSRC2:TGID_Z_EN: 0
; COMPUTE_PGM_RSRC2:TIDIG_COMP_CNT: 0
	.section	.text._ZN7rocprim17ROCPRIM_400000_NS6detail17trampoline_kernelINS0_13select_configILj256ELj13ELNS0_17block_load_methodE3ELS4_3ELS4_3ELNS0_20block_scan_algorithmE0ELj4294967295EEENS1_25partition_config_selectorILNS1_17partition_subalgoE3EjNS0_10empty_typeEbEEZZNS1_14partition_implILS8_3ELb0ES6_jNS0_17counting_iteratorIjlEEPS9_SE_NS0_5tupleIJPjSE_EEENSF_IJSE_SE_EEES9_SG_JZNS1_25segmented_radix_sort_implINS0_14default_configELb1EPK12hip_bfloat16PSL_PKlPlN2at6native12_GLOBAL__N_18offset_tEEE10hipError_tPvRmT1_PNSt15iterator_traitsISZ_E10value_typeET2_T3_PNS10_IS15_E10value_typeET4_jRbjT5_S1B_jjP12ihipStream_tbEUljE_EEESW_SX_SY_S15_S19_S1B_T6_T7_T9_mT8_S1D_bDpT10_ENKUlT_T0_E_clISt17integral_constantIbLb0EES1P_IbLb1EEEEDaS1L_S1M_EUlS1L_E_NS1_11comp_targetILNS1_3genE2ELNS1_11target_archE906ELNS1_3gpuE6ELNS1_3repE0EEENS1_30default_config_static_selectorELNS0_4arch9wavefront6targetE0EEEvSZ_,"axG",@progbits,_ZN7rocprim17ROCPRIM_400000_NS6detail17trampoline_kernelINS0_13select_configILj256ELj13ELNS0_17block_load_methodE3ELS4_3ELS4_3ELNS0_20block_scan_algorithmE0ELj4294967295EEENS1_25partition_config_selectorILNS1_17partition_subalgoE3EjNS0_10empty_typeEbEEZZNS1_14partition_implILS8_3ELb0ES6_jNS0_17counting_iteratorIjlEEPS9_SE_NS0_5tupleIJPjSE_EEENSF_IJSE_SE_EEES9_SG_JZNS1_25segmented_radix_sort_implINS0_14default_configELb1EPK12hip_bfloat16PSL_PKlPlN2at6native12_GLOBAL__N_18offset_tEEE10hipError_tPvRmT1_PNSt15iterator_traitsISZ_E10value_typeET2_T3_PNS10_IS15_E10value_typeET4_jRbjT5_S1B_jjP12ihipStream_tbEUljE_EEESW_SX_SY_S15_S19_S1B_T6_T7_T9_mT8_S1D_bDpT10_ENKUlT_T0_E_clISt17integral_constantIbLb0EES1P_IbLb1EEEEDaS1L_S1M_EUlS1L_E_NS1_11comp_targetILNS1_3genE2ELNS1_11target_archE906ELNS1_3gpuE6ELNS1_3repE0EEENS1_30default_config_static_selectorELNS0_4arch9wavefront6targetE0EEEvSZ_,comdat
	.globl	_ZN7rocprim17ROCPRIM_400000_NS6detail17trampoline_kernelINS0_13select_configILj256ELj13ELNS0_17block_load_methodE3ELS4_3ELS4_3ELNS0_20block_scan_algorithmE0ELj4294967295EEENS1_25partition_config_selectorILNS1_17partition_subalgoE3EjNS0_10empty_typeEbEEZZNS1_14partition_implILS8_3ELb0ES6_jNS0_17counting_iteratorIjlEEPS9_SE_NS0_5tupleIJPjSE_EEENSF_IJSE_SE_EEES9_SG_JZNS1_25segmented_radix_sort_implINS0_14default_configELb1EPK12hip_bfloat16PSL_PKlPlN2at6native12_GLOBAL__N_18offset_tEEE10hipError_tPvRmT1_PNSt15iterator_traitsISZ_E10value_typeET2_T3_PNS10_IS15_E10value_typeET4_jRbjT5_S1B_jjP12ihipStream_tbEUljE_EEESW_SX_SY_S15_S19_S1B_T6_T7_T9_mT8_S1D_bDpT10_ENKUlT_T0_E_clISt17integral_constantIbLb0EES1P_IbLb1EEEEDaS1L_S1M_EUlS1L_E_NS1_11comp_targetILNS1_3genE2ELNS1_11target_archE906ELNS1_3gpuE6ELNS1_3repE0EEENS1_30default_config_static_selectorELNS0_4arch9wavefront6targetE0EEEvSZ_ ; -- Begin function _ZN7rocprim17ROCPRIM_400000_NS6detail17trampoline_kernelINS0_13select_configILj256ELj13ELNS0_17block_load_methodE3ELS4_3ELS4_3ELNS0_20block_scan_algorithmE0ELj4294967295EEENS1_25partition_config_selectorILNS1_17partition_subalgoE3EjNS0_10empty_typeEbEEZZNS1_14partition_implILS8_3ELb0ES6_jNS0_17counting_iteratorIjlEEPS9_SE_NS0_5tupleIJPjSE_EEENSF_IJSE_SE_EEES9_SG_JZNS1_25segmented_radix_sort_implINS0_14default_configELb1EPK12hip_bfloat16PSL_PKlPlN2at6native12_GLOBAL__N_18offset_tEEE10hipError_tPvRmT1_PNSt15iterator_traitsISZ_E10value_typeET2_T3_PNS10_IS15_E10value_typeET4_jRbjT5_S1B_jjP12ihipStream_tbEUljE_EEESW_SX_SY_S15_S19_S1B_T6_T7_T9_mT8_S1D_bDpT10_ENKUlT_T0_E_clISt17integral_constantIbLb0EES1P_IbLb1EEEEDaS1L_S1M_EUlS1L_E_NS1_11comp_targetILNS1_3genE2ELNS1_11target_archE906ELNS1_3gpuE6ELNS1_3repE0EEENS1_30default_config_static_selectorELNS0_4arch9wavefront6targetE0EEEvSZ_
	.p2align	8
	.type	_ZN7rocprim17ROCPRIM_400000_NS6detail17trampoline_kernelINS0_13select_configILj256ELj13ELNS0_17block_load_methodE3ELS4_3ELS4_3ELNS0_20block_scan_algorithmE0ELj4294967295EEENS1_25partition_config_selectorILNS1_17partition_subalgoE3EjNS0_10empty_typeEbEEZZNS1_14partition_implILS8_3ELb0ES6_jNS0_17counting_iteratorIjlEEPS9_SE_NS0_5tupleIJPjSE_EEENSF_IJSE_SE_EEES9_SG_JZNS1_25segmented_radix_sort_implINS0_14default_configELb1EPK12hip_bfloat16PSL_PKlPlN2at6native12_GLOBAL__N_18offset_tEEE10hipError_tPvRmT1_PNSt15iterator_traitsISZ_E10value_typeET2_T3_PNS10_IS15_E10value_typeET4_jRbjT5_S1B_jjP12ihipStream_tbEUljE_EEESW_SX_SY_S15_S19_S1B_T6_T7_T9_mT8_S1D_bDpT10_ENKUlT_T0_E_clISt17integral_constantIbLb0EES1P_IbLb1EEEEDaS1L_S1M_EUlS1L_E_NS1_11comp_targetILNS1_3genE2ELNS1_11target_archE906ELNS1_3gpuE6ELNS1_3repE0EEENS1_30default_config_static_selectorELNS0_4arch9wavefront6targetE0EEEvSZ_,@function
_ZN7rocprim17ROCPRIM_400000_NS6detail17trampoline_kernelINS0_13select_configILj256ELj13ELNS0_17block_load_methodE3ELS4_3ELS4_3ELNS0_20block_scan_algorithmE0ELj4294967295EEENS1_25partition_config_selectorILNS1_17partition_subalgoE3EjNS0_10empty_typeEbEEZZNS1_14partition_implILS8_3ELb0ES6_jNS0_17counting_iteratorIjlEEPS9_SE_NS0_5tupleIJPjSE_EEENSF_IJSE_SE_EEES9_SG_JZNS1_25segmented_radix_sort_implINS0_14default_configELb1EPK12hip_bfloat16PSL_PKlPlN2at6native12_GLOBAL__N_18offset_tEEE10hipError_tPvRmT1_PNSt15iterator_traitsISZ_E10value_typeET2_T3_PNS10_IS15_E10value_typeET4_jRbjT5_S1B_jjP12ihipStream_tbEUljE_EEESW_SX_SY_S15_S19_S1B_T6_T7_T9_mT8_S1D_bDpT10_ENKUlT_T0_E_clISt17integral_constantIbLb0EES1P_IbLb1EEEEDaS1L_S1M_EUlS1L_E_NS1_11comp_targetILNS1_3genE2ELNS1_11target_archE906ELNS1_3gpuE6ELNS1_3repE0EEENS1_30default_config_static_selectorELNS0_4arch9wavefront6targetE0EEEvSZ_: ; @_ZN7rocprim17ROCPRIM_400000_NS6detail17trampoline_kernelINS0_13select_configILj256ELj13ELNS0_17block_load_methodE3ELS4_3ELS4_3ELNS0_20block_scan_algorithmE0ELj4294967295EEENS1_25partition_config_selectorILNS1_17partition_subalgoE3EjNS0_10empty_typeEbEEZZNS1_14partition_implILS8_3ELb0ES6_jNS0_17counting_iteratorIjlEEPS9_SE_NS0_5tupleIJPjSE_EEENSF_IJSE_SE_EEES9_SG_JZNS1_25segmented_radix_sort_implINS0_14default_configELb1EPK12hip_bfloat16PSL_PKlPlN2at6native12_GLOBAL__N_18offset_tEEE10hipError_tPvRmT1_PNSt15iterator_traitsISZ_E10value_typeET2_T3_PNS10_IS15_E10value_typeET4_jRbjT5_S1B_jjP12ihipStream_tbEUljE_EEESW_SX_SY_S15_S19_S1B_T6_T7_T9_mT8_S1D_bDpT10_ENKUlT_T0_E_clISt17integral_constantIbLb0EES1P_IbLb1EEEEDaS1L_S1M_EUlS1L_E_NS1_11comp_targetILNS1_3genE2ELNS1_11target_archE906ELNS1_3gpuE6ELNS1_3repE0EEENS1_30default_config_static_selectorELNS0_4arch9wavefront6targetE0EEEvSZ_
; %bb.0:
	.section	.rodata,"a",@progbits
	.p2align	6, 0x0
	.amdhsa_kernel _ZN7rocprim17ROCPRIM_400000_NS6detail17trampoline_kernelINS0_13select_configILj256ELj13ELNS0_17block_load_methodE3ELS4_3ELS4_3ELNS0_20block_scan_algorithmE0ELj4294967295EEENS1_25partition_config_selectorILNS1_17partition_subalgoE3EjNS0_10empty_typeEbEEZZNS1_14partition_implILS8_3ELb0ES6_jNS0_17counting_iteratorIjlEEPS9_SE_NS0_5tupleIJPjSE_EEENSF_IJSE_SE_EEES9_SG_JZNS1_25segmented_radix_sort_implINS0_14default_configELb1EPK12hip_bfloat16PSL_PKlPlN2at6native12_GLOBAL__N_18offset_tEEE10hipError_tPvRmT1_PNSt15iterator_traitsISZ_E10value_typeET2_T3_PNS10_IS15_E10value_typeET4_jRbjT5_S1B_jjP12ihipStream_tbEUljE_EEESW_SX_SY_S15_S19_S1B_T6_T7_T9_mT8_S1D_bDpT10_ENKUlT_T0_E_clISt17integral_constantIbLb0EES1P_IbLb1EEEEDaS1L_S1M_EUlS1L_E_NS1_11comp_targetILNS1_3genE2ELNS1_11target_archE906ELNS1_3gpuE6ELNS1_3repE0EEENS1_30default_config_static_selectorELNS0_4arch9wavefront6targetE0EEEvSZ_
		.amdhsa_group_segment_fixed_size 0
		.amdhsa_private_segment_fixed_size 0
		.amdhsa_kernarg_size 152
		.amdhsa_user_sgpr_count 15
		.amdhsa_user_sgpr_dispatch_ptr 0
		.amdhsa_user_sgpr_queue_ptr 0
		.amdhsa_user_sgpr_kernarg_segment_ptr 1
		.amdhsa_user_sgpr_dispatch_id 0
		.amdhsa_user_sgpr_private_segment_size 0
		.amdhsa_wavefront_size32 1
		.amdhsa_uses_dynamic_stack 0
		.amdhsa_enable_private_segment 0
		.amdhsa_system_sgpr_workgroup_id_x 1
		.amdhsa_system_sgpr_workgroup_id_y 0
		.amdhsa_system_sgpr_workgroup_id_z 0
		.amdhsa_system_sgpr_workgroup_info 0
		.amdhsa_system_vgpr_workitem_id 0
		.amdhsa_next_free_vgpr 1
		.amdhsa_next_free_sgpr 1
		.amdhsa_reserve_vcc 0
		.amdhsa_float_round_mode_32 0
		.amdhsa_float_round_mode_16_64 0
		.amdhsa_float_denorm_mode_32 3
		.amdhsa_float_denorm_mode_16_64 3
		.amdhsa_dx10_clamp 1
		.amdhsa_ieee_mode 1
		.amdhsa_fp16_overflow 0
		.amdhsa_workgroup_processor_mode 1
		.amdhsa_memory_ordered 1
		.amdhsa_forward_progress 0
		.amdhsa_shared_vgpr_count 0
		.amdhsa_exception_fp_ieee_invalid_op 0
		.amdhsa_exception_fp_denorm_src 0
		.amdhsa_exception_fp_ieee_div_zero 0
		.amdhsa_exception_fp_ieee_overflow 0
		.amdhsa_exception_fp_ieee_underflow 0
		.amdhsa_exception_fp_ieee_inexact 0
		.amdhsa_exception_int_div_zero 0
	.end_amdhsa_kernel
	.section	.text._ZN7rocprim17ROCPRIM_400000_NS6detail17trampoline_kernelINS0_13select_configILj256ELj13ELNS0_17block_load_methodE3ELS4_3ELS4_3ELNS0_20block_scan_algorithmE0ELj4294967295EEENS1_25partition_config_selectorILNS1_17partition_subalgoE3EjNS0_10empty_typeEbEEZZNS1_14partition_implILS8_3ELb0ES6_jNS0_17counting_iteratorIjlEEPS9_SE_NS0_5tupleIJPjSE_EEENSF_IJSE_SE_EEES9_SG_JZNS1_25segmented_radix_sort_implINS0_14default_configELb1EPK12hip_bfloat16PSL_PKlPlN2at6native12_GLOBAL__N_18offset_tEEE10hipError_tPvRmT1_PNSt15iterator_traitsISZ_E10value_typeET2_T3_PNS10_IS15_E10value_typeET4_jRbjT5_S1B_jjP12ihipStream_tbEUljE_EEESW_SX_SY_S15_S19_S1B_T6_T7_T9_mT8_S1D_bDpT10_ENKUlT_T0_E_clISt17integral_constantIbLb0EES1P_IbLb1EEEEDaS1L_S1M_EUlS1L_E_NS1_11comp_targetILNS1_3genE2ELNS1_11target_archE906ELNS1_3gpuE6ELNS1_3repE0EEENS1_30default_config_static_selectorELNS0_4arch9wavefront6targetE0EEEvSZ_,"axG",@progbits,_ZN7rocprim17ROCPRIM_400000_NS6detail17trampoline_kernelINS0_13select_configILj256ELj13ELNS0_17block_load_methodE3ELS4_3ELS4_3ELNS0_20block_scan_algorithmE0ELj4294967295EEENS1_25partition_config_selectorILNS1_17partition_subalgoE3EjNS0_10empty_typeEbEEZZNS1_14partition_implILS8_3ELb0ES6_jNS0_17counting_iteratorIjlEEPS9_SE_NS0_5tupleIJPjSE_EEENSF_IJSE_SE_EEES9_SG_JZNS1_25segmented_radix_sort_implINS0_14default_configELb1EPK12hip_bfloat16PSL_PKlPlN2at6native12_GLOBAL__N_18offset_tEEE10hipError_tPvRmT1_PNSt15iterator_traitsISZ_E10value_typeET2_T3_PNS10_IS15_E10value_typeET4_jRbjT5_S1B_jjP12ihipStream_tbEUljE_EEESW_SX_SY_S15_S19_S1B_T6_T7_T9_mT8_S1D_bDpT10_ENKUlT_T0_E_clISt17integral_constantIbLb0EES1P_IbLb1EEEEDaS1L_S1M_EUlS1L_E_NS1_11comp_targetILNS1_3genE2ELNS1_11target_archE906ELNS1_3gpuE6ELNS1_3repE0EEENS1_30default_config_static_selectorELNS0_4arch9wavefront6targetE0EEEvSZ_,comdat
.Lfunc_end1942:
	.size	_ZN7rocprim17ROCPRIM_400000_NS6detail17trampoline_kernelINS0_13select_configILj256ELj13ELNS0_17block_load_methodE3ELS4_3ELS4_3ELNS0_20block_scan_algorithmE0ELj4294967295EEENS1_25partition_config_selectorILNS1_17partition_subalgoE3EjNS0_10empty_typeEbEEZZNS1_14partition_implILS8_3ELb0ES6_jNS0_17counting_iteratorIjlEEPS9_SE_NS0_5tupleIJPjSE_EEENSF_IJSE_SE_EEES9_SG_JZNS1_25segmented_radix_sort_implINS0_14default_configELb1EPK12hip_bfloat16PSL_PKlPlN2at6native12_GLOBAL__N_18offset_tEEE10hipError_tPvRmT1_PNSt15iterator_traitsISZ_E10value_typeET2_T3_PNS10_IS15_E10value_typeET4_jRbjT5_S1B_jjP12ihipStream_tbEUljE_EEESW_SX_SY_S15_S19_S1B_T6_T7_T9_mT8_S1D_bDpT10_ENKUlT_T0_E_clISt17integral_constantIbLb0EES1P_IbLb1EEEEDaS1L_S1M_EUlS1L_E_NS1_11comp_targetILNS1_3genE2ELNS1_11target_archE906ELNS1_3gpuE6ELNS1_3repE0EEENS1_30default_config_static_selectorELNS0_4arch9wavefront6targetE0EEEvSZ_, .Lfunc_end1942-_ZN7rocprim17ROCPRIM_400000_NS6detail17trampoline_kernelINS0_13select_configILj256ELj13ELNS0_17block_load_methodE3ELS4_3ELS4_3ELNS0_20block_scan_algorithmE0ELj4294967295EEENS1_25partition_config_selectorILNS1_17partition_subalgoE3EjNS0_10empty_typeEbEEZZNS1_14partition_implILS8_3ELb0ES6_jNS0_17counting_iteratorIjlEEPS9_SE_NS0_5tupleIJPjSE_EEENSF_IJSE_SE_EEES9_SG_JZNS1_25segmented_radix_sort_implINS0_14default_configELb1EPK12hip_bfloat16PSL_PKlPlN2at6native12_GLOBAL__N_18offset_tEEE10hipError_tPvRmT1_PNSt15iterator_traitsISZ_E10value_typeET2_T3_PNS10_IS15_E10value_typeET4_jRbjT5_S1B_jjP12ihipStream_tbEUljE_EEESW_SX_SY_S15_S19_S1B_T6_T7_T9_mT8_S1D_bDpT10_ENKUlT_T0_E_clISt17integral_constantIbLb0EES1P_IbLb1EEEEDaS1L_S1M_EUlS1L_E_NS1_11comp_targetILNS1_3genE2ELNS1_11target_archE906ELNS1_3gpuE6ELNS1_3repE0EEENS1_30default_config_static_selectorELNS0_4arch9wavefront6targetE0EEEvSZ_
                                        ; -- End function
	.section	.AMDGPU.csdata,"",@progbits
; Kernel info:
; codeLenInByte = 0
; NumSgprs: 0
; NumVgprs: 0
; ScratchSize: 0
; MemoryBound: 0
; FloatMode: 240
; IeeeMode: 1
; LDSByteSize: 0 bytes/workgroup (compile time only)
; SGPRBlocks: 0
; VGPRBlocks: 0
; NumSGPRsForWavesPerEU: 1
; NumVGPRsForWavesPerEU: 1
; Occupancy: 16
; WaveLimiterHint : 0
; COMPUTE_PGM_RSRC2:SCRATCH_EN: 0
; COMPUTE_PGM_RSRC2:USER_SGPR: 15
; COMPUTE_PGM_RSRC2:TRAP_HANDLER: 0
; COMPUTE_PGM_RSRC2:TGID_X_EN: 1
; COMPUTE_PGM_RSRC2:TGID_Y_EN: 0
; COMPUTE_PGM_RSRC2:TGID_Z_EN: 0
; COMPUTE_PGM_RSRC2:TIDIG_COMP_CNT: 0
	.section	.text._ZN7rocprim17ROCPRIM_400000_NS6detail17trampoline_kernelINS0_13select_configILj256ELj13ELNS0_17block_load_methodE3ELS4_3ELS4_3ELNS0_20block_scan_algorithmE0ELj4294967295EEENS1_25partition_config_selectorILNS1_17partition_subalgoE3EjNS0_10empty_typeEbEEZZNS1_14partition_implILS8_3ELb0ES6_jNS0_17counting_iteratorIjlEEPS9_SE_NS0_5tupleIJPjSE_EEENSF_IJSE_SE_EEES9_SG_JZNS1_25segmented_radix_sort_implINS0_14default_configELb1EPK12hip_bfloat16PSL_PKlPlN2at6native12_GLOBAL__N_18offset_tEEE10hipError_tPvRmT1_PNSt15iterator_traitsISZ_E10value_typeET2_T3_PNS10_IS15_E10value_typeET4_jRbjT5_S1B_jjP12ihipStream_tbEUljE_EEESW_SX_SY_S15_S19_S1B_T6_T7_T9_mT8_S1D_bDpT10_ENKUlT_T0_E_clISt17integral_constantIbLb0EES1P_IbLb1EEEEDaS1L_S1M_EUlS1L_E_NS1_11comp_targetILNS1_3genE10ELNS1_11target_archE1200ELNS1_3gpuE4ELNS1_3repE0EEENS1_30default_config_static_selectorELNS0_4arch9wavefront6targetE0EEEvSZ_,"axG",@progbits,_ZN7rocprim17ROCPRIM_400000_NS6detail17trampoline_kernelINS0_13select_configILj256ELj13ELNS0_17block_load_methodE3ELS4_3ELS4_3ELNS0_20block_scan_algorithmE0ELj4294967295EEENS1_25partition_config_selectorILNS1_17partition_subalgoE3EjNS0_10empty_typeEbEEZZNS1_14partition_implILS8_3ELb0ES6_jNS0_17counting_iteratorIjlEEPS9_SE_NS0_5tupleIJPjSE_EEENSF_IJSE_SE_EEES9_SG_JZNS1_25segmented_radix_sort_implINS0_14default_configELb1EPK12hip_bfloat16PSL_PKlPlN2at6native12_GLOBAL__N_18offset_tEEE10hipError_tPvRmT1_PNSt15iterator_traitsISZ_E10value_typeET2_T3_PNS10_IS15_E10value_typeET4_jRbjT5_S1B_jjP12ihipStream_tbEUljE_EEESW_SX_SY_S15_S19_S1B_T6_T7_T9_mT8_S1D_bDpT10_ENKUlT_T0_E_clISt17integral_constantIbLb0EES1P_IbLb1EEEEDaS1L_S1M_EUlS1L_E_NS1_11comp_targetILNS1_3genE10ELNS1_11target_archE1200ELNS1_3gpuE4ELNS1_3repE0EEENS1_30default_config_static_selectorELNS0_4arch9wavefront6targetE0EEEvSZ_,comdat
	.globl	_ZN7rocprim17ROCPRIM_400000_NS6detail17trampoline_kernelINS0_13select_configILj256ELj13ELNS0_17block_load_methodE3ELS4_3ELS4_3ELNS0_20block_scan_algorithmE0ELj4294967295EEENS1_25partition_config_selectorILNS1_17partition_subalgoE3EjNS0_10empty_typeEbEEZZNS1_14partition_implILS8_3ELb0ES6_jNS0_17counting_iteratorIjlEEPS9_SE_NS0_5tupleIJPjSE_EEENSF_IJSE_SE_EEES9_SG_JZNS1_25segmented_radix_sort_implINS0_14default_configELb1EPK12hip_bfloat16PSL_PKlPlN2at6native12_GLOBAL__N_18offset_tEEE10hipError_tPvRmT1_PNSt15iterator_traitsISZ_E10value_typeET2_T3_PNS10_IS15_E10value_typeET4_jRbjT5_S1B_jjP12ihipStream_tbEUljE_EEESW_SX_SY_S15_S19_S1B_T6_T7_T9_mT8_S1D_bDpT10_ENKUlT_T0_E_clISt17integral_constantIbLb0EES1P_IbLb1EEEEDaS1L_S1M_EUlS1L_E_NS1_11comp_targetILNS1_3genE10ELNS1_11target_archE1200ELNS1_3gpuE4ELNS1_3repE0EEENS1_30default_config_static_selectorELNS0_4arch9wavefront6targetE0EEEvSZ_ ; -- Begin function _ZN7rocprim17ROCPRIM_400000_NS6detail17trampoline_kernelINS0_13select_configILj256ELj13ELNS0_17block_load_methodE3ELS4_3ELS4_3ELNS0_20block_scan_algorithmE0ELj4294967295EEENS1_25partition_config_selectorILNS1_17partition_subalgoE3EjNS0_10empty_typeEbEEZZNS1_14partition_implILS8_3ELb0ES6_jNS0_17counting_iteratorIjlEEPS9_SE_NS0_5tupleIJPjSE_EEENSF_IJSE_SE_EEES9_SG_JZNS1_25segmented_radix_sort_implINS0_14default_configELb1EPK12hip_bfloat16PSL_PKlPlN2at6native12_GLOBAL__N_18offset_tEEE10hipError_tPvRmT1_PNSt15iterator_traitsISZ_E10value_typeET2_T3_PNS10_IS15_E10value_typeET4_jRbjT5_S1B_jjP12ihipStream_tbEUljE_EEESW_SX_SY_S15_S19_S1B_T6_T7_T9_mT8_S1D_bDpT10_ENKUlT_T0_E_clISt17integral_constantIbLb0EES1P_IbLb1EEEEDaS1L_S1M_EUlS1L_E_NS1_11comp_targetILNS1_3genE10ELNS1_11target_archE1200ELNS1_3gpuE4ELNS1_3repE0EEENS1_30default_config_static_selectorELNS0_4arch9wavefront6targetE0EEEvSZ_
	.p2align	8
	.type	_ZN7rocprim17ROCPRIM_400000_NS6detail17trampoline_kernelINS0_13select_configILj256ELj13ELNS0_17block_load_methodE3ELS4_3ELS4_3ELNS0_20block_scan_algorithmE0ELj4294967295EEENS1_25partition_config_selectorILNS1_17partition_subalgoE3EjNS0_10empty_typeEbEEZZNS1_14partition_implILS8_3ELb0ES6_jNS0_17counting_iteratorIjlEEPS9_SE_NS0_5tupleIJPjSE_EEENSF_IJSE_SE_EEES9_SG_JZNS1_25segmented_radix_sort_implINS0_14default_configELb1EPK12hip_bfloat16PSL_PKlPlN2at6native12_GLOBAL__N_18offset_tEEE10hipError_tPvRmT1_PNSt15iterator_traitsISZ_E10value_typeET2_T3_PNS10_IS15_E10value_typeET4_jRbjT5_S1B_jjP12ihipStream_tbEUljE_EEESW_SX_SY_S15_S19_S1B_T6_T7_T9_mT8_S1D_bDpT10_ENKUlT_T0_E_clISt17integral_constantIbLb0EES1P_IbLb1EEEEDaS1L_S1M_EUlS1L_E_NS1_11comp_targetILNS1_3genE10ELNS1_11target_archE1200ELNS1_3gpuE4ELNS1_3repE0EEENS1_30default_config_static_selectorELNS0_4arch9wavefront6targetE0EEEvSZ_,@function
_ZN7rocprim17ROCPRIM_400000_NS6detail17trampoline_kernelINS0_13select_configILj256ELj13ELNS0_17block_load_methodE3ELS4_3ELS4_3ELNS0_20block_scan_algorithmE0ELj4294967295EEENS1_25partition_config_selectorILNS1_17partition_subalgoE3EjNS0_10empty_typeEbEEZZNS1_14partition_implILS8_3ELb0ES6_jNS0_17counting_iteratorIjlEEPS9_SE_NS0_5tupleIJPjSE_EEENSF_IJSE_SE_EEES9_SG_JZNS1_25segmented_radix_sort_implINS0_14default_configELb1EPK12hip_bfloat16PSL_PKlPlN2at6native12_GLOBAL__N_18offset_tEEE10hipError_tPvRmT1_PNSt15iterator_traitsISZ_E10value_typeET2_T3_PNS10_IS15_E10value_typeET4_jRbjT5_S1B_jjP12ihipStream_tbEUljE_EEESW_SX_SY_S15_S19_S1B_T6_T7_T9_mT8_S1D_bDpT10_ENKUlT_T0_E_clISt17integral_constantIbLb0EES1P_IbLb1EEEEDaS1L_S1M_EUlS1L_E_NS1_11comp_targetILNS1_3genE10ELNS1_11target_archE1200ELNS1_3gpuE4ELNS1_3repE0EEENS1_30default_config_static_selectorELNS0_4arch9wavefront6targetE0EEEvSZ_: ; @_ZN7rocprim17ROCPRIM_400000_NS6detail17trampoline_kernelINS0_13select_configILj256ELj13ELNS0_17block_load_methodE3ELS4_3ELS4_3ELNS0_20block_scan_algorithmE0ELj4294967295EEENS1_25partition_config_selectorILNS1_17partition_subalgoE3EjNS0_10empty_typeEbEEZZNS1_14partition_implILS8_3ELb0ES6_jNS0_17counting_iteratorIjlEEPS9_SE_NS0_5tupleIJPjSE_EEENSF_IJSE_SE_EEES9_SG_JZNS1_25segmented_radix_sort_implINS0_14default_configELb1EPK12hip_bfloat16PSL_PKlPlN2at6native12_GLOBAL__N_18offset_tEEE10hipError_tPvRmT1_PNSt15iterator_traitsISZ_E10value_typeET2_T3_PNS10_IS15_E10value_typeET4_jRbjT5_S1B_jjP12ihipStream_tbEUljE_EEESW_SX_SY_S15_S19_S1B_T6_T7_T9_mT8_S1D_bDpT10_ENKUlT_T0_E_clISt17integral_constantIbLb0EES1P_IbLb1EEEEDaS1L_S1M_EUlS1L_E_NS1_11comp_targetILNS1_3genE10ELNS1_11target_archE1200ELNS1_3gpuE4ELNS1_3repE0EEENS1_30default_config_static_selectorELNS0_4arch9wavefront6targetE0EEEvSZ_
; %bb.0:
	.section	.rodata,"a",@progbits
	.p2align	6, 0x0
	.amdhsa_kernel _ZN7rocprim17ROCPRIM_400000_NS6detail17trampoline_kernelINS0_13select_configILj256ELj13ELNS0_17block_load_methodE3ELS4_3ELS4_3ELNS0_20block_scan_algorithmE0ELj4294967295EEENS1_25partition_config_selectorILNS1_17partition_subalgoE3EjNS0_10empty_typeEbEEZZNS1_14partition_implILS8_3ELb0ES6_jNS0_17counting_iteratorIjlEEPS9_SE_NS0_5tupleIJPjSE_EEENSF_IJSE_SE_EEES9_SG_JZNS1_25segmented_radix_sort_implINS0_14default_configELb1EPK12hip_bfloat16PSL_PKlPlN2at6native12_GLOBAL__N_18offset_tEEE10hipError_tPvRmT1_PNSt15iterator_traitsISZ_E10value_typeET2_T3_PNS10_IS15_E10value_typeET4_jRbjT5_S1B_jjP12ihipStream_tbEUljE_EEESW_SX_SY_S15_S19_S1B_T6_T7_T9_mT8_S1D_bDpT10_ENKUlT_T0_E_clISt17integral_constantIbLb0EES1P_IbLb1EEEEDaS1L_S1M_EUlS1L_E_NS1_11comp_targetILNS1_3genE10ELNS1_11target_archE1200ELNS1_3gpuE4ELNS1_3repE0EEENS1_30default_config_static_selectorELNS0_4arch9wavefront6targetE0EEEvSZ_
		.amdhsa_group_segment_fixed_size 0
		.amdhsa_private_segment_fixed_size 0
		.amdhsa_kernarg_size 152
		.amdhsa_user_sgpr_count 15
		.amdhsa_user_sgpr_dispatch_ptr 0
		.amdhsa_user_sgpr_queue_ptr 0
		.amdhsa_user_sgpr_kernarg_segment_ptr 1
		.amdhsa_user_sgpr_dispatch_id 0
		.amdhsa_user_sgpr_private_segment_size 0
		.amdhsa_wavefront_size32 1
		.amdhsa_uses_dynamic_stack 0
		.amdhsa_enable_private_segment 0
		.amdhsa_system_sgpr_workgroup_id_x 1
		.amdhsa_system_sgpr_workgroup_id_y 0
		.amdhsa_system_sgpr_workgroup_id_z 0
		.amdhsa_system_sgpr_workgroup_info 0
		.amdhsa_system_vgpr_workitem_id 0
		.amdhsa_next_free_vgpr 1
		.amdhsa_next_free_sgpr 1
		.amdhsa_reserve_vcc 0
		.amdhsa_float_round_mode_32 0
		.amdhsa_float_round_mode_16_64 0
		.amdhsa_float_denorm_mode_32 3
		.amdhsa_float_denorm_mode_16_64 3
		.amdhsa_dx10_clamp 1
		.amdhsa_ieee_mode 1
		.amdhsa_fp16_overflow 0
		.amdhsa_workgroup_processor_mode 1
		.amdhsa_memory_ordered 1
		.amdhsa_forward_progress 0
		.amdhsa_shared_vgpr_count 0
		.amdhsa_exception_fp_ieee_invalid_op 0
		.amdhsa_exception_fp_denorm_src 0
		.amdhsa_exception_fp_ieee_div_zero 0
		.amdhsa_exception_fp_ieee_overflow 0
		.amdhsa_exception_fp_ieee_underflow 0
		.amdhsa_exception_fp_ieee_inexact 0
		.amdhsa_exception_int_div_zero 0
	.end_amdhsa_kernel
	.section	.text._ZN7rocprim17ROCPRIM_400000_NS6detail17trampoline_kernelINS0_13select_configILj256ELj13ELNS0_17block_load_methodE3ELS4_3ELS4_3ELNS0_20block_scan_algorithmE0ELj4294967295EEENS1_25partition_config_selectorILNS1_17partition_subalgoE3EjNS0_10empty_typeEbEEZZNS1_14partition_implILS8_3ELb0ES6_jNS0_17counting_iteratorIjlEEPS9_SE_NS0_5tupleIJPjSE_EEENSF_IJSE_SE_EEES9_SG_JZNS1_25segmented_radix_sort_implINS0_14default_configELb1EPK12hip_bfloat16PSL_PKlPlN2at6native12_GLOBAL__N_18offset_tEEE10hipError_tPvRmT1_PNSt15iterator_traitsISZ_E10value_typeET2_T3_PNS10_IS15_E10value_typeET4_jRbjT5_S1B_jjP12ihipStream_tbEUljE_EEESW_SX_SY_S15_S19_S1B_T6_T7_T9_mT8_S1D_bDpT10_ENKUlT_T0_E_clISt17integral_constantIbLb0EES1P_IbLb1EEEEDaS1L_S1M_EUlS1L_E_NS1_11comp_targetILNS1_3genE10ELNS1_11target_archE1200ELNS1_3gpuE4ELNS1_3repE0EEENS1_30default_config_static_selectorELNS0_4arch9wavefront6targetE0EEEvSZ_,"axG",@progbits,_ZN7rocprim17ROCPRIM_400000_NS6detail17trampoline_kernelINS0_13select_configILj256ELj13ELNS0_17block_load_methodE3ELS4_3ELS4_3ELNS0_20block_scan_algorithmE0ELj4294967295EEENS1_25partition_config_selectorILNS1_17partition_subalgoE3EjNS0_10empty_typeEbEEZZNS1_14partition_implILS8_3ELb0ES6_jNS0_17counting_iteratorIjlEEPS9_SE_NS0_5tupleIJPjSE_EEENSF_IJSE_SE_EEES9_SG_JZNS1_25segmented_radix_sort_implINS0_14default_configELb1EPK12hip_bfloat16PSL_PKlPlN2at6native12_GLOBAL__N_18offset_tEEE10hipError_tPvRmT1_PNSt15iterator_traitsISZ_E10value_typeET2_T3_PNS10_IS15_E10value_typeET4_jRbjT5_S1B_jjP12ihipStream_tbEUljE_EEESW_SX_SY_S15_S19_S1B_T6_T7_T9_mT8_S1D_bDpT10_ENKUlT_T0_E_clISt17integral_constantIbLb0EES1P_IbLb1EEEEDaS1L_S1M_EUlS1L_E_NS1_11comp_targetILNS1_3genE10ELNS1_11target_archE1200ELNS1_3gpuE4ELNS1_3repE0EEENS1_30default_config_static_selectorELNS0_4arch9wavefront6targetE0EEEvSZ_,comdat
.Lfunc_end1943:
	.size	_ZN7rocprim17ROCPRIM_400000_NS6detail17trampoline_kernelINS0_13select_configILj256ELj13ELNS0_17block_load_methodE3ELS4_3ELS4_3ELNS0_20block_scan_algorithmE0ELj4294967295EEENS1_25partition_config_selectorILNS1_17partition_subalgoE3EjNS0_10empty_typeEbEEZZNS1_14partition_implILS8_3ELb0ES6_jNS0_17counting_iteratorIjlEEPS9_SE_NS0_5tupleIJPjSE_EEENSF_IJSE_SE_EEES9_SG_JZNS1_25segmented_radix_sort_implINS0_14default_configELb1EPK12hip_bfloat16PSL_PKlPlN2at6native12_GLOBAL__N_18offset_tEEE10hipError_tPvRmT1_PNSt15iterator_traitsISZ_E10value_typeET2_T3_PNS10_IS15_E10value_typeET4_jRbjT5_S1B_jjP12ihipStream_tbEUljE_EEESW_SX_SY_S15_S19_S1B_T6_T7_T9_mT8_S1D_bDpT10_ENKUlT_T0_E_clISt17integral_constantIbLb0EES1P_IbLb1EEEEDaS1L_S1M_EUlS1L_E_NS1_11comp_targetILNS1_3genE10ELNS1_11target_archE1200ELNS1_3gpuE4ELNS1_3repE0EEENS1_30default_config_static_selectorELNS0_4arch9wavefront6targetE0EEEvSZ_, .Lfunc_end1943-_ZN7rocprim17ROCPRIM_400000_NS6detail17trampoline_kernelINS0_13select_configILj256ELj13ELNS0_17block_load_methodE3ELS4_3ELS4_3ELNS0_20block_scan_algorithmE0ELj4294967295EEENS1_25partition_config_selectorILNS1_17partition_subalgoE3EjNS0_10empty_typeEbEEZZNS1_14partition_implILS8_3ELb0ES6_jNS0_17counting_iteratorIjlEEPS9_SE_NS0_5tupleIJPjSE_EEENSF_IJSE_SE_EEES9_SG_JZNS1_25segmented_radix_sort_implINS0_14default_configELb1EPK12hip_bfloat16PSL_PKlPlN2at6native12_GLOBAL__N_18offset_tEEE10hipError_tPvRmT1_PNSt15iterator_traitsISZ_E10value_typeET2_T3_PNS10_IS15_E10value_typeET4_jRbjT5_S1B_jjP12ihipStream_tbEUljE_EEESW_SX_SY_S15_S19_S1B_T6_T7_T9_mT8_S1D_bDpT10_ENKUlT_T0_E_clISt17integral_constantIbLb0EES1P_IbLb1EEEEDaS1L_S1M_EUlS1L_E_NS1_11comp_targetILNS1_3genE10ELNS1_11target_archE1200ELNS1_3gpuE4ELNS1_3repE0EEENS1_30default_config_static_selectorELNS0_4arch9wavefront6targetE0EEEvSZ_
                                        ; -- End function
	.section	.AMDGPU.csdata,"",@progbits
; Kernel info:
; codeLenInByte = 0
; NumSgprs: 0
; NumVgprs: 0
; ScratchSize: 0
; MemoryBound: 0
; FloatMode: 240
; IeeeMode: 1
; LDSByteSize: 0 bytes/workgroup (compile time only)
; SGPRBlocks: 0
; VGPRBlocks: 0
; NumSGPRsForWavesPerEU: 1
; NumVGPRsForWavesPerEU: 1
; Occupancy: 16
; WaveLimiterHint : 0
; COMPUTE_PGM_RSRC2:SCRATCH_EN: 0
; COMPUTE_PGM_RSRC2:USER_SGPR: 15
; COMPUTE_PGM_RSRC2:TRAP_HANDLER: 0
; COMPUTE_PGM_RSRC2:TGID_X_EN: 1
; COMPUTE_PGM_RSRC2:TGID_Y_EN: 0
; COMPUTE_PGM_RSRC2:TGID_Z_EN: 0
; COMPUTE_PGM_RSRC2:TIDIG_COMP_CNT: 0
	.section	.text._ZN7rocprim17ROCPRIM_400000_NS6detail17trampoline_kernelINS0_13select_configILj256ELj13ELNS0_17block_load_methodE3ELS4_3ELS4_3ELNS0_20block_scan_algorithmE0ELj4294967295EEENS1_25partition_config_selectorILNS1_17partition_subalgoE3EjNS0_10empty_typeEbEEZZNS1_14partition_implILS8_3ELb0ES6_jNS0_17counting_iteratorIjlEEPS9_SE_NS0_5tupleIJPjSE_EEENSF_IJSE_SE_EEES9_SG_JZNS1_25segmented_radix_sort_implINS0_14default_configELb1EPK12hip_bfloat16PSL_PKlPlN2at6native12_GLOBAL__N_18offset_tEEE10hipError_tPvRmT1_PNSt15iterator_traitsISZ_E10value_typeET2_T3_PNS10_IS15_E10value_typeET4_jRbjT5_S1B_jjP12ihipStream_tbEUljE_EEESW_SX_SY_S15_S19_S1B_T6_T7_T9_mT8_S1D_bDpT10_ENKUlT_T0_E_clISt17integral_constantIbLb0EES1P_IbLb1EEEEDaS1L_S1M_EUlS1L_E_NS1_11comp_targetILNS1_3genE9ELNS1_11target_archE1100ELNS1_3gpuE3ELNS1_3repE0EEENS1_30default_config_static_selectorELNS0_4arch9wavefront6targetE0EEEvSZ_,"axG",@progbits,_ZN7rocprim17ROCPRIM_400000_NS6detail17trampoline_kernelINS0_13select_configILj256ELj13ELNS0_17block_load_methodE3ELS4_3ELS4_3ELNS0_20block_scan_algorithmE0ELj4294967295EEENS1_25partition_config_selectorILNS1_17partition_subalgoE3EjNS0_10empty_typeEbEEZZNS1_14partition_implILS8_3ELb0ES6_jNS0_17counting_iteratorIjlEEPS9_SE_NS0_5tupleIJPjSE_EEENSF_IJSE_SE_EEES9_SG_JZNS1_25segmented_radix_sort_implINS0_14default_configELb1EPK12hip_bfloat16PSL_PKlPlN2at6native12_GLOBAL__N_18offset_tEEE10hipError_tPvRmT1_PNSt15iterator_traitsISZ_E10value_typeET2_T3_PNS10_IS15_E10value_typeET4_jRbjT5_S1B_jjP12ihipStream_tbEUljE_EEESW_SX_SY_S15_S19_S1B_T6_T7_T9_mT8_S1D_bDpT10_ENKUlT_T0_E_clISt17integral_constantIbLb0EES1P_IbLb1EEEEDaS1L_S1M_EUlS1L_E_NS1_11comp_targetILNS1_3genE9ELNS1_11target_archE1100ELNS1_3gpuE3ELNS1_3repE0EEENS1_30default_config_static_selectorELNS0_4arch9wavefront6targetE0EEEvSZ_,comdat
	.globl	_ZN7rocprim17ROCPRIM_400000_NS6detail17trampoline_kernelINS0_13select_configILj256ELj13ELNS0_17block_load_methodE3ELS4_3ELS4_3ELNS0_20block_scan_algorithmE0ELj4294967295EEENS1_25partition_config_selectorILNS1_17partition_subalgoE3EjNS0_10empty_typeEbEEZZNS1_14partition_implILS8_3ELb0ES6_jNS0_17counting_iteratorIjlEEPS9_SE_NS0_5tupleIJPjSE_EEENSF_IJSE_SE_EEES9_SG_JZNS1_25segmented_radix_sort_implINS0_14default_configELb1EPK12hip_bfloat16PSL_PKlPlN2at6native12_GLOBAL__N_18offset_tEEE10hipError_tPvRmT1_PNSt15iterator_traitsISZ_E10value_typeET2_T3_PNS10_IS15_E10value_typeET4_jRbjT5_S1B_jjP12ihipStream_tbEUljE_EEESW_SX_SY_S15_S19_S1B_T6_T7_T9_mT8_S1D_bDpT10_ENKUlT_T0_E_clISt17integral_constantIbLb0EES1P_IbLb1EEEEDaS1L_S1M_EUlS1L_E_NS1_11comp_targetILNS1_3genE9ELNS1_11target_archE1100ELNS1_3gpuE3ELNS1_3repE0EEENS1_30default_config_static_selectorELNS0_4arch9wavefront6targetE0EEEvSZ_ ; -- Begin function _ZN7rocprim17ROCPRIM_400000_NS6detail17trampoline_kernelINS0_13select_configILj256ELj13ELNS0_17block_load_methodE3ELS4_3ELS4_3ELNS0_20block_scan_algorithmE0ELj4294967295EEENS1_25partition_config_selectorILNS1_17partition_subalgoE3EjNS0_10empty_typeEbEEZZNS1_14partition_implILS8_3ELb0ES6_jNS0_17counting_iteratorIjlEEPS9_SE_NS0_5tupleIJPjSE_EEENSF_IJSE_SE_EEES9_SG_JZNS1_25segmented_radix_sort_implINS0_14default_configELb1EPK12hip_bfloat16PSL_PKlPlN2at6native12_GLOBAL__N_18offset_tEEE10hipError_tPvRmT1_PNSt15iterator_traitsISZ_E10value_typeET2_T3_PNS10_IS15_E10value_typeET4_jRbjT5_S1B_jjP12ihipStream_tbEUljE_EEESW_SX_SY_S15_S19_S1B_T6_T7_T9_mT8_S1D_bDpT10_ENKUlT_T0_E_clISt17integral_constantIbLb0EES1P_IbLb1EEEEDaS1L_S1M_EUlS1L_E_NS1_11comp_targetILNS1_3genE9ELNS1_11target_archE1100ELNS1_3gpuE3ELNS1_3repE0EEENS1_30default_config_static_selectorELNS0_4arch9wavefront6targetE0EEEvSZ_
	.p2align	8
	.type	_ZN7rocprim17ROCPRIM_400000_NS6detail17trampoline_kernelINS0_13select_configILj256ELj13ELNS0_17block_load_methodE3ELS4_3ELS4_3ELNS0_20block_scan_algorithmE0ELj4294967295EEENS1_25partition_config_selectorILNS1_17partition_subalgoE3EjNS0_10empty_typeEbEEZZNS1_14partition_implILS8_3ELb0ES6_jNS0_17counting_iteratorIjlEEPS9_SE_NS0_5tupleIJPjSE_EEENSF_IJSE_SE_EEES9_SG_JZNS1_25segmented_radix_sort_implINS0_14default_configELb1EPK12hip_bfloat16PSL_PKlPlN2at6native12_GLOBAL__N_18offset_tEEE10hipError_tPvRmT1_PNSt15iterator_traitsISZ_E10value_typeET2_T3_PNS10_IS15_E10value_typeET4_jRbjT5_S1B_jjP12ihipStream_tbEUljE_EEESW_SX_SY_S15_S19_S1B_T6_T7_T9_mT8_S1D_bDpT10_ENKUlT_T0_E_clISt17integral_constantIbLb0EES1P_IbLb1EEEEDaS1L_S1M_EUlS1L_E_NS1_11comp_targetILNS1_3genE9ELNS1_11target_archE1100ELNS1_3gpuE3ELNS1_3repE0EEENS1_30default_config_static_selectorELNS0_4arch9wavefront6targetE0EEEvSZ_,@function
_ZN7rocprim17ROCPRIM_400000_NS6detail17trampoline_kernelINS0_13select_configILj256ELj13ELNS0_17block_load_methodE3ELS4_3ELS4_3ELNS0_20block_scan_algorithmE0ELj4294967295EEENS1_25partition_config_selectorILNS1_17partition_subalgoE3EjNS0_10empty_typeEbEEZZNS1_14partition_implILS8_3ELb0ES6_jNS0_17counting_iteratorIjlEEPS9_SE_NS0_5tupleIJPjSE_EEENSF_IJSE_SE_EEES9_SG_JZNS1_25segmented_radix_sort_implINS0_14default_configELb1EPK12hip_bfloat16PSL_PKlPlN2at6native12_GLOBAL__N_18offset_tEEE10hipError_tPvRmT1_PNSt15iterator_traitsISZ_E10value_typeET2_T3_PNS10_IS15_E10value_typeET4_jRbjT5_S1B_jjP12ihipStream_tbEUljE_EEESW_SX_SY_S15_S19_S1B_T6_T7_T9_mT8_S1D_bDpT10_ENKUlT_T0_E_clISt17integral_constantIbLb0EES1P_IbLb1EEEEDaS1L_S1M_EUlS1L_E_NS1_11comp_targetILNS1_3genE9ELNS1_11target_archE1100ELNS1_3gpuE3ELNS1_3repE0EEENS1_30default_config_static_selectorELNS0_4arch9wavefront6targetE0EEEvSZ_: ; @_ZN7rocprim17ROCPRIM_400000_NS6detail17trampoline_kernelINS0_13select_configILj256ELj13ELNS0_17block_load_methodE3ELS4_3ELS4_3ELNS0_20block_scan_algorithmE0ELj4294967295EEENS1_25partition_config_selectorILNS1_17partition_subalgoE3EjNS0_10empty_typeEbEEZZNS1_14partition_implILS8_3ELb0ES6_jNS0_17counting_iteratorIjlEEPS9_SE_NS0_5tupleIJPjSE_EEENSF_IJSE_SE_EEES9_SG_JZNS1_25segmented_radix_sort_implINS0_14default_configELb1EPK12hip_bfloat16PSL_PKlPlN2at6native12_GLOBAL__N_18offset_tEEE10hipError_tPvRmT1_PNSt15iterator_traitsISZ_E10value_typeET2_T3_PNS10_IS15_E10value_typeET4_jRbjT5_S1B_jjP12ihipStream_tbEUljE_EEESW_SX_SY_S15_S19_S1B_T6_T7_T9_mT8_S1D_bDpT10_ENKUlT_T0_E_clISt17integral_constantIbLb0EES1P_IbLb1EEEEDaS1L_S1M_EUlS1L_E_NS1_11comp_targetILNS1_3genE9ELNS1_11target_archE1100ELNS1_3gpuE3ELNS1_3repE0EEENS1_30default_config_static_selectorELNS0_4arch9wavefront6targetE0EEEvSZ_
; %bb.0:
	s_clause 0x6
	s_load_b64 s[16:17], s[0:1], 0x10
	s_load_b64 s[12:13], s[0:1], 0x28
	;; [unrolled: 1-line block ×3, first 2 shown]
	s_load_b128 s[8:11], s[0:1], 0x48
	s_load_b32 s3, s[0:1], 0x90
	s_load_b64 s[18:19], s[0:1], 0x68
	s_load_b128 s[4:7], s[0:1], 0x80
	v_cmp_eq_u32_e64 s2, 0, v0
	s_delay_alu instid0(VALU_DEP_1)
	s_and_saveexec_b32 s20, s2
	s_cbranch_execz .LBB1944_4
; %bb.1:
	s_mov_b32 s22, exec_lo
	s_mov_b32 s21, exec_lo
	v_mbcnt_lo_u32_b32 v1, s22, 0
                                        ; implicit-def: $vgpr2
	s_delay_alu instid0(VALU_DEP_1)
	v_cmpx_eq_u32_e32 0, v1
	s_cbranch_execz .LBB1944_3
; %bb.2:
	s_load_b64 s[24:25], s[0:1], 0x78
	s_bcnt1_i32_b32 s22, s22
	s_delay_alu instid0(SALU_CYCLE_1)
	v_dual_mov_b32 v2, 0 :: v_dual_mov_b32 v3, s22
	s_waitcnt lgkmcnt(0)
	global_atomic_add_u32 v2, v2, v3, s[24:25] glc
.LBB1944_3:
	s_or_b32 exec_lo, exec_lo, s21
	s_waitcnt vmcnt(0)
	v_readfirstlane_b32 s21, v2
	s_delay_alu instid0(VALU_DEP_1)
	v_dual_mov_b32 v2, 0 :: v_dual_add_nc_u32 v1, s21, v1
	ds_store_b32 v2, v1
.LBB1944_4:
	s_or_b32 exec_lo, exec_lo, s20
	v_mov_b32_e32 v1, 0
	s_clause 0x1
	s_load_b32 s20, s[0:1], 0x8
	s_load_b32 s0, s[0:1], 0x70
	s_waitcnt lgkmcnt(0)
	s_barrier
	buffer_gl0_inv
	ds_load_b32 v2, v1
	s_waitcnt lgkmcnt(0)
	s_barrier
	buffer_gl0_inv
	global_load_b64 v[18:19], v1, s[10:11]
	v_lshlrev_b32_e32 v33, 2, v0
	s_add_i32 s21, s20, s16
	s_mul_i32 s1, s0, 0xd00
	s_add_i32 s0, s0, -1
	s_add_u32 s10, s16, s1
	s_addc_u32 s11, s17, 0
	v_mul_lo_u32 v32, 0xd00, v2
	v_readfirstlane_b32 s20, v2
	v_cmp_lt_u64_e64 s11, s[10:11], s[14:15]
	v_cmp_ne_u32_e32 vcc_lo, s0, v2
	s_delay_alu instid0(VALU_DEP_3) | instskip(SKIP_1) | instid1(VALU_DEP_4)
	s_cmp_eq_u32 s20, s0
	s_cselect_b32 s10, -1, 0
	v_add3_u32 v1, v32, s21, v0
	s_delay_alu instid0(VALU_DEP_3) | instskip(SKIP_2) | instid1(VALU_DEP_1)
	s_or_b32 s0, s11, vcc_lo
	s_mov_b32 s11, -1
	s_and_b32 vcc_lo, exec_lo, s0
	v_add_nc_u32_e32 v2, 0x100, v1
	v_add_nc_u32_e32 v3, 0x200, v1
	;; [unrolled: 1-line block ×12, first 2 shown]
	s_cbranch_vccz .LBB1944_6
; %bb.5:
	ds_store_2addr_stride64_b32 v33, v1, v2 offset1:4
	ds_store_2addr_stride64_b32 v33, v3, v4 offset0:8 offset1:12
	ds_store_2addr_stride64_b32 v33, v5, v6 offset0:16 offset1:20
	;; [unrolled: 1-line block ×5, first 2 shown]
	ds_store_b32 v33, v13 offset:12288
	s_waitcnt vmcnt(0) lgkmcnt(0)
	s_mov_b32 s11, 0
	s_barrier
.LBB1944_6:
	s_and_not1_b32 vcc_lo, exec_lo, s11
	s_add_i32 s1, s1, s16
	s_cbranch_vccnz .LBB1944_8
; %bb.7:
	ds_store_2addr_stride64_b32 v33, v1, v2 offset1:4
	ds_store_2addr_stride64_b32 v33, v3, v4 offset0:8 offset1:12
	ds_store_2addr_stride64_b32 v33, v5, v6 offset0:16 offset1:20
	;; [unrolled: 1-line block ×5, first 2 shown]
	ds_store_b32 v33, v13 offset:12288
	s_waitcnt vmcnt(0) lgkmcnt(0)
	s_barrier
.LBB1944_8:
	v_mul_u32_u24_e32 v36, 13, v0
	s_waitcnt vmcnt(0)
	buffer_gl0_inv
	v_cndmask_b32_e64 v34, 0, 1, s0
	s_sub_i32 s11, s14, s1
	s_and_not1_b32 vcc_lo, exec_lo, s0
	v_lshlrev_b32_e32 v1, 2, v36
	ds_load_2addr_b32 v[30:31], v1 offset1:1
	ds_load_2addr_b32 v[28:29], v1 offset0:2 offset1:3
	ds_load_2addr_b32 v[26:27], v1 offset0:4 offset1:5
	ds_load_2addr_b32 v[24:25], v1 offset0:6 offset1:7
	ds_load_2addr_b32 v[22:23], v1 offset0:8 offset1:9
	ds_load_2addr_b32 v[20:21], v1 offset0:10 offset1:11
	ds_load_b32 v35, v1 offset:48
	s_waitcnt lgkmcnt(0)
	s_barrier
	buffer_gl0_inv
	s_cbranch_vccnz .LBB1944_10
; %bb.9:
	v_add_nc_u32_e32 v1, s5, v30
	v_add_nc_u32_e32 v2, s7, v30
	;; [unrolled: 1-line block ×5, first 2 shown]
	v_mul_lo_u32 v1, v1, s4
	v_mul_lo_u32 v2, v2, s6
	;; [unrolled: 1-line block ×4, first 2 shown]
	v_add_nc_u32_e32 v6, s7, v28
	v_add_nc_u32_e32 v7, s5, v29
	;; [unrolled: 1-line block ×3, first 2 shown]
	v_mul_lo_u32 v5, v5, s4
	v_add_nc_u32_e32 v9, s5, v24
	v_sub_nc_u32_e32 v1, v1, v2
	v_mul_lo_u32 v2, v6, s6
	v_sub_nc_u32_e32 v3, v3, v4
	v_mul_lo_u32 v4, v7, s4
	v_mul_lo_u32 v6, v8, s6
	v_add_nc_u32_e32 v7, s5, v26
	v_cmp_lt_u32_e32 vcc_lo, s3, v1
	v_add_nc_u32_e32 v8, s5, v27
	v_add_nc_u32_e32 v10, s7, v24
	v_sub_nc_u32_e32 v2, v5, v2
	v_add_nc_u32_e32 v5, s7, v26
	v_cndmask_b32_e64 v1, 0, 1, vcc_lo
	v_sub_nc_u32_e32 v4, v4, v6
	v_mul_lo_u32 v6, v7, s4
	v_add_nc_u32_e32 v7, s7, v27
	v_cmp_lt_u32_e32 vcc_lo, s3, v3
	v_mul_lo_u32 v5, v5, s6
	v_mul_lo_u32 v8, v8, s4
	;; [unrolled: 1-line block ×4, first 2 shown]
	v_cndmask_b32_e64 v3, 0, 1, vcc_lo
	v_cmp_lt_u32_e32 vcc_lo, s3, v2
	v_mul_lo_u32 v10, v10, s6
	v_add_nc_u32_e32 v11, s5, v22
	v_sub_nc_u32_e32 v5, v6, v5
	v_add_nc_u32_e32 v12, s7, v22
	v_cndmask_b32_e64 v2, 0, 1, vcc_lo
	v_sub_nc_u32_e32 v6, v8, v7
	v_add_nc_u32_e32 v7, s5, v25
	v_add_nc_u32_e32 v8, s7, v25
	v_cmp_lt_u32_e32 vcc_lo, s3, v4
	v_sub_nc_u32_e32 v9, v9, v10
	v_mul_lo_u32 v10, v11, s4
	v_mul_lo_u32 v7, v7, s4
	;; [unrolled: 1-line block ×4, first 2 shown]
	v_cndmask_b32_e64 v4, 0, 1, vcc_lo
	v_cmp_lt_u32_e32 vcc_lo, s3, v5
	v_add_nc_u32_e32 v12, s5, v23
	v_add_nc_u32_e32 v13, s7, v20
	;; [unrolled: 1-line block ×4, first 2 shown]
	v_cndmask_b32_e64 v5, 0, 1, vcc_lo
	v_cmp_lt_u32_e32 vcc_lo, s3, v6
	v_sub_nc_u32_e32 v7, v7, v8
	v_sub_nc_u32_e32 v8, v10, v11
	v_add_nc_u32_e32 v11, s7, v23
	v_mul_lo_u32 v10, v12, s4
	v_cndmask_b32_e64 v6, 0, 1, vcc_lo
	v_cmp_lt_u32_e32 vcc_lo, s3, v9
	v_add_nc_u32_e32 v12, s5, v20
	v_mul_lo_u32 v11, v11, s6
	v_mul_lo_u32 v13, v13, s6
	;; [unrolled: 1-line block ×3, first 2 shown]
	v_cndmask_b32_e64 v9, 0, 1, vcc_lo
	v_cmp_lt_u32_e32 vcc_lo, s3, v7
	v_mul_lo_u32 v12, v12, s4
	v_mul_lo_u32 v15, v15, s6
	v_lshlrev_b16 v3, 8, v3
	v_sub_nc_u32_e32 v10, v10, v11
	v_cndmask_b32_e64 v7, 0, 1, vcc_lo
	v_cmp_lt_u32_e32 vcc_lo, s3, v8
	v_add_nc_u32_e32 v11, s5, v35
	v_or_b32_e32 v1, v1, v3
	v_sub_nc_u32_e32 v12, v12, v13
	v_sub_nc_u32_e32 v13, v14, v15
	v_cndmask_b32_e64 v8, 0, 1, vcc_lo
	v_cmp_lt_u32_e32 vcc_lo, s3, v10
	v_add_nc_u32_e32 v16, s7, v35
	v_mul_lo_u32 v11, v11, s4
	v_lshlrev_b16 v4, 8, v4
	v_lshlrev_b16 v6, 8, v6
	v_cndmask_b32_e64 v10, 0, 1, vcc_lo
	v_cmp_lt_u32_e32 vcc_lo, s3, v12
	v_mul_lo_u32 v14, v16, s6
	v_lshlrev_b16 v7, 8, v7
	v_or_b32_e32 v2, v2, v4
	v_lshlrev_b16 v10, 8, v10
	v_cndmask_b32_e64 v3, 0, 1, vcc_lo
	v_cmp_lt_u32_e32 vcc_lo, s3, v13
	v_or_b32_e32 v4, v5, v6
	v_or_b32_e32 v5, v9, v7
	v_sub_nc_u32_e32 v11, v11, v14
	v_or_b32_e32 v6, v8, v10
	v_cndmask_b32_e64 v12, 0, 1, vcc_lo
	v_and_b32_e32 v1, 0xffff, v1
	v_lshlrev_b32_e32 v2, 16, v2
	v_and_b32_e32 v4, 0xffff, v4
	v_lshlrev_b32_e32 v5, 16, v5
	v_lshlrev_b16 v12, 8, v12
	v_and_b32_e32 v6, 0xffff, v6
	v_cmp_lt_u32_e32 vcc_lo, s3, v11
	v_or_b32_e32 v42, v1, v2
	v_or_b32_e32 v40, v4, v5
	;; [unrolled: 1-line block ×3, first 2 shown]
	v_cndmask_b32_e64 v37, 0, 1, vcc_lo
	s_delay_alu instid0(VALU_DEP_2) | instskip(NEXT) | instid1(VALU_DEP_1)
	v_lshlrev_b32_e32 v3, 16, v3
	v_or_b32_e32 v38, v6, v3
	s_addk_i32 s11, 0xd00
	s_cbranch_execz .LBB1944_11
	s_branch .LBB1944_38
.LBB1944_10:
                                        ; implicit-def: $vgpr37
                                        ; implicit-def: $vgpr38
                                        ; implicit-def: $vgpr40
                                        ; implicit-def: $vgpr42
	s_addk_i32 s11, 0xd00
.LBB1944_11:
	v_dual_mov_b32 v2, 0 :: v_dual_mov_b32 v1, 0
	s_mov_b32 s0, exec_lo
	v_cmpx_gt_u32_e64 s11, v36
; %bb.12:
	v_add_nc_u32_e32 v1, s5, v30
	v_add_nc_u32_e32 v3, s7, v30
	s_delay_alu instid0(VALU_DEP_2) | instskip(NEXT) | instid1(VALU_DEP_2)
	v_mul_lo_u32 v1, v1, s4
	v_mul_lo_u32 v3, v3, s6
	s_delay_alu instid0(VALU_DEP_1) | instskip(NEXT) | instid1(VALU_DEP_1)
	v_sub_nc_u32_e32 v1, v1, v3
	v_cmp_lt_u32_e32 vcc_lo, s3, v1
	v_cndmask_b32_e64 v1, 0, 1, vcc_lo
; %bb.13:
	s_or_b32 exec_lo, exec_lo, s0
	v_add_nc_u32_e32 v3, 1, v36
	s_mov_b32 s0, exec_lo
	s_delay_alu instid0(VALU_DEP_1)
	v_cmpx_gt_u32_e64 s11, v3
; %bb.14:
	v_add_nc_u32_e32 v2, s5, v31
	v_add_nc_u32_e32 v3, s7, v31
	s_delay_alu instid0(VALU_DEP_2) | instskip(NEXT) | instid1(VALU_DEP_2)
	v_mul_lo_u32 v2, v2, s4
	v_mul_lo_u32 v3, v3, s6
	s_delay_alu instid0(VALU_DEP_1) | instskip(NEXT) | instid1(VALU_DEP_1)
	v_sub_nc_u32_e32 v2, v2, v3
	v_cmp_lt_u32_e32 vcc_lo, s3, v2
	v_cndmask_b32_e64 v2, 0, 1, vcc_lo
; %bb.15:
	s_or_b32 exec_lo, exec_lo, s0
	v_dual_mov_b32 v4, 0 :: v_dual_add_nc_u32 v3, 2, v36
	s_delay_alu instid0(VALU_DEP_1)
	v_cmp_gt_u32_e32 vcc_lo, s11, v3
	v_mov_b32_e32 v3, 0
	s_and_saveexec_b32 s0, vcc_lo
; %bb.16:
	v_add_nc_u32_e32 v3, s5, v28
	v_add_nc_u32_e32 v5, s7, v28
	s_delay_alu instid0(VALU_DEP_2) | instskip(NEXT) | instid1(VALU_DEP_2)
	v_mul_lo_u32 v3, v3, s4
	v_mul_lo_u32 v5, v5, s6
	s_delay_alu instid0(VALU_DEP_1) | instskip(NEXT) | instid1(VALU_DEP_1)
	v_sub_nc_u32_e32 v3, v3, v5
	v_cmp_lt_u32_e32 vcc_lo, s3, v3
	v_cndmask_b32_e64 v3, 0, 1, vcc_lo
; %bb.17:
	s_or_b32 exec_lo, exec_lo, s0
	v_add_nc_u32_e32 v5, 3, v36
	s_mov_b32 s0, exec_lo
	s_delay_alu instid0(VALU_DEP_1)
	v_cmpx_gt_u32_e64 s11, v5
; %bb.18:
	v_add_nc_u32_e32 v4, s5, v29
	v_add_nc_u32_e32 v5, s7, v29
	s_delay_alu instid0(VALU_DEP_2) | instskip(NEXT) | instid1(VALU_DEP_2)
	v_mul_lo_u32 v4, v4, s4
	v_mul_lo_u32 v5, v5, s6
	s_delay_alu instid0(VALU_DEP_1) | instskip(NEXT) | instid1(VALU_DEP_1)
	v_sub_nc_u32_e32 v4, v4, v5
	v_cmp_lt_u32_e32 vcc_lo, s3, v4
	v_cndmask_b32_e64 v4, 0, 1, vcc_lo
; %bb.19:
	s_or_b32 exec_lo, exec_lo, s0
	v_dual_mov_b32 v6, 0 :: v_dual_add_nc_u32 v5, 4, v36
	s_delay_alu instid0(VALU_DEP_1)
	v_cmp_gt_u32_e32 vcc_lo, s11, v5
	v_mov_b32_e32 v5, 0
	s_and_saveexec_b32 s0, vcc_lo
	;; [unrolled: 33-line block ×5, first 2 shown]
; %bb.32:
	v_add_nc_u32_e32 v11, s5, v20
	v_add_nc_u32_e32 v13, s7, v20
	s_delay_alu instid0(VALU_DEP_2) | instskip(NEXT) | instid1(VALU_DEP_2)
	v_mul_lo_u32 v11, v11, s4
	v_mul_lo_u32 v13, v13, s6
	s_delay_alu instid0(VALU_DEP_1) | instskip(NEXT) | instid1(VALU_DEP_1)
	v_sub_nc_u32_e32 v11, v11, v13
	v_cmp_lt_u32_e32 vcc_lo, s3, v11
	v_cndmask_b32_e64 v11, 0, 1, vcc_lo
; %bb.33:
	s_or_b32 exec_lo, exec_lo, s0
	v_add_nc_u32_e32 v13, 11, v36
	s_mov_b32 s0, exec_lo
	s_delay_alu instid0(VALU_DEP_1)
	v_cmpx_gt_u32_e64 s11, v13
; %bb.34:
	v_add_nc_u32_e32 v12, s5, v21
	v_add_nc_u32_e32 v13, s7, v21
	s_delay_alu instid0(VALU_DEP_2) | instskip(NEXT) | instid1(VALU_DEP_2)
	v_mul_lo_u32 v12, v12, s4
	v_mul_lo_u32 v13, v13, s6
	s_delay_alu instid0(VALU_DEP_1) | instskip(NEXT) | instid1(VALU_DEP_1)
	v_sub_nc_u32_e32 v12, v12, v13
	v_cmp_lt_u32_e32 vcc_lo, s3, v12
	v_cndmask_b32_e64 v12, 0, 1, vcc_lo
; %bb.35:
	s_or_b32 exec_lo, exec_lo, s0
	v_add_nc_u32_e32 v13, 12, v36
	v_mov_b32_e32 v37, 0
	s_mov_b32 s0, exec_lo
	s_delay_alu instid0(VALU_DEP_2)
	v_cmpx_gt_u32_e64 s11, v13
; %bb.36:
	v_add_nc_u32_e32 v13, s5, v35
	v_add_nc_u32_e32 v14, s7, v35
	s_delay_alu instid0(VALU_DEP_2) | instskip(NEXT) | instid1(VALU_DEP_2)
	v_mul_lo_u32 v13, v13, s4
	v_mul_lo_u32 v14, v14, s6
	s_delay_alu instid0(VALU_DEP_1) | instskip(NEXT) | instid1(VALU_DEP_1)
	v_sub_nc_u32_e32 v13, v13, v14
	v_cmp_lt_u32_e32 vcc_lo, s3, v13
	v_cndmask_b32_e64 v37, 0, 1, vcc_lo
; %bb.37:
	s_or_b32 exec_lo, exec_lo, s0
	v_lshlrev_b16 v2, 8, v2
	v_lshlrev_b16 v4, 8, v4
	;; [unrolled: 1-line block ×5, first 2 shown]
	v_or_b32_e32 v1, v1, v2
	v_lshlrev_b16 v2, 8, v12
	v_or_b32_e32 v3, v3, v4
	v_or_b32_e32 v4, v5, v6
	;; [unrolled: 1-line block ×5, first 2 shown]
	v_and_b32_e32 v1, 0xffff, v1
	v_lshlrev_b32_e32 v3, 16, v3
	v_and_b32_e32 v4, 0xffff, v4
	v_lshlrev_b32_e32 v5, 16, v5
	;; [unrolled: 2-line block ×3, first 2 shown]
	v_or_b32_e32 v42, v1, v3
	s_delay_alu instid0(VALU_DEP_4) | instskip(NEXT) | instid1(VALU_DEP_3)
	v_or_b32_e32 v40, v4, v5
	v_or_b32_e32 v38, v6, v2
.LBB1944_38:
	s_delay_alu instid0(VALU_DEP_3)
	v_and_b32_e32 v44, 0xff, v42
	v_bfe_u32 v45, v42, 8, 8
	v_bfe_u32 v46, v42, 16, 8
	v_lshrrev_b32_e32 v43, 24, v42
	v_and_b32_e32 v47, 0xff, v40
	v_bfe_u32 v48, v40, 8, 8
	v_bfe_u32 v49, v40, 16, 8
	v_add3_u32 v1, v45, v44, v46
	v_lshrrev_b32_e32 v41, 24, v40
	v_and_b32_e32 v50, 0xff, v38
	v_bfe_u32 v51, v38, 8, 8
	v_mbcnt_lo_u32_b32 v53, -1, 0
	v_add3_u32 v1, v1, v43, v47
	v_bfe_u32 v52, v38, 16, 8
	v_lshrrev_b32_e32 v39, 24, v38
	v_and_b32_e32 v2, 0xff, v37
	v_and_b32_e32 v3, 15, v53
	v_add3_u32 v1, v1, v48, v49
	v_or_b32_e32 v4, 31, v0
	v_and_b32_e32 v5, 16, v53
	v_lshrrev_b32_e32 v54, 5, v0
	v_cmp_eq_u32_e64 s6, 0, v3
	v_add3_u32 v1, v1, v41, v50
	v_cmp_lt_u32_e64 s5, 1, v3
	v_cmp_lt_u32_e64 s4, 3, v3
	;; [unrolled: 1-line block ×3, first 2 shown]
	v_cmp_eq_u32_e64 s1, 0, v5
	v_add3_u32 v1, v1, v51, v52
	v_cmp_eq_u32_e64 s0, v4, v0
	s_cmp_lg_u32 s20, 0
	s_mov_b32 s7, -1
	s_delay_alu instid0(VALU_DEP_2)
	v_add3_u32 v55, v1, v39, v2
	s_cbranch_scc0 .LBB1944_64
; %bb.39:
	s_delay_alu instid0(VALU_DEP_1) | instskip(NEXT) | instid1(VALU_DEP_1)
	v_mov_b32_dpp v1, v55 row_shr:1 row_mask:0xf bank_mask:0xf
	v_cndmask_b32_e64 v1, v1, 0, s6
	s_delay_alu instid0(VALU_DEP_1) | instskip(NEXT) | instid1(VALU_DEP_1)
	v_add_nc_u32_e32 v1, v1, v55
	v_mov_b32_dpp v2, v1 row_shr:2 row_mask:0xf bank_mask:0xf
	s_delay_alu instid0(VALU_DEP_1) | instskip(NEXT) | instid1(VALU_DEP_1)
	v_cndmask_b32_e64 v2, 0, v2, s5
	v_add_nc_u32_e32 v1, v1, v2
	s_delay_alu instid0(VALU_DEP_1) | instskip(NEXT) | instid1(VALU_DEP_1)
	v_mov_b32_dpp v2, v1 row_shr:4 row_mask:0xf bank_mask:0xf
	v_cndmask_b32_e64 v2, 0, v2, s4
	s_delay_alu instid0(VALU_DEP_1) | instskip(NEXT) | instid1(VALU_DEP_1)
	v_add_nc_u32_e32 v1, v1, v2
	v_mov_b32_dpp v2, v1 row_shr:8 row_mask:0xf bank_mask:0xf
	s_delay_alu instid0(VALU_DEP_1) | instskip(NEXT) | instid1(VALU_DEP_1)
	v_cndmask_b32_e64 v2, 0, v2, s3
	v_add_nc_u32_e32 v1, v1, v2
	ds_swizzle_b32 v2, v1 offset:swizzle(BROADCAST,32,15)
	s_waitcnt lgkmcnt(0)
	v_cndmask_b32_e64 v2, v2, 0, s1
	s_delay_alu instid0(VALU_DEP_1)
	v_add_nc_u32_e32 v1, v1, v2
	s_and_saveexec_b32 s7, s0
	s_cbranch_execz .LBB1944_41
; %bb.40:
	v_lshlrev_b32_e32 v2, 2, v54
	ds_store_b32 v2, v1
.LBB1944_41:
	s_or_b32 exec_lo, exec_lo, s7
	s_delay_alu instid0(SALU_CYCLE_1)
	s_mov_b32 s7, exec_lo
	s_waitcnt lgkmcnt(0)
	s_barrier
	buffer_gl0_inv
	v_cmpx_gt_u32_e32 8, v0
	s_cbranch_execz .LBB1944_43
; %bb.42:
	ds_load_b32 v2, v33
	s_waitcnt lgkmcnt(0)
	v_mov_b32_dpp v4, v2 row_shr:1 row_mask:0xf bank_mask:0xf
	v_and_b32_e32 v3, 7, v53
	s_delay_alu instid0(VALU_DEP_1) | instskip(NEXT) | instid1(VALU_DEP_3)
	v_cmp_ne_u32_e32 vcc_lo, 0, v3
	v_cndmask_b32_e32 v4, 0, v4, vcc_lo
	v_cmp_lt_u32_e32 vcc_lo, 1, v3
	s_delay_alu instid0(VALU_DEP_2) | instskip(NEXT) | instid1(VALU_DEP_1)
	v_add_nc_u32_e32 v2, v4, v2
	v_mov_b32_dpp v4, v2 row_shr:2 row_mask:0xf bank_mask:0xf
	s_delay_alu instid0(VALU_DEP_1) | instskip(SKIP_1) | instid1(VALU_DEP_2)
	v_cndmask_b32_e32 v4, 0, v4, vcc_lo
	v_cmp_lt_u32_e32 vcc_lo, 3, v3
	v_add_nc_u32_e32 v2, v2, v4
	s_delay_alu instid0(VALU_DEP_1) | instskip(NEXT) | instid1(VALU_DEP_1)
	v_mov_b32_dpp v4, v2 row_shr:4 row_mask:0xf bank_mask:0xf
	v_cndmask_b32_e32 v3, 0, v4, vcc_lo
	s_delay_alu instid0(VALU_DEP_1)
	v_add_nc_u32_e32 v2, v2, v3
	ds_store_b32 v33, v2
.LBB1944_43:
	s_or_b32 exec_lo, exec_lo, s7
	v_cmp_gt_u32_e32 vcc_lo, 32, v0
	s_mov_b32 s21, exec_lo
	s_waitcnt lgkmcnt(0)
	s_barrier
	buffer_gl0_inv
                                        ; implicit-def: $vgpr8
	v_cmpx_lt_u32_e32 31, v0
	s_cbranch_execz .LBB1944_45
; %bb.44:
	v_lshl_add_u32 v2, v54, 2, -4
	ds_load_b32 v8, v2
	s_waitcnt lgkmcnt(0)
	v_add_nc_u32_e32 v1, v8, v1
.LBB1944_45:
	s_or_b32 exec_lo, exec_lo, s21
	v_add_nc_u32_e32 v2, -1, v53
	s_delay_alu instid0(VALU_DEP_1) | instskip(NEXT) | instid1(VALU_DEP_1)
	v_cmp_gt_i32_e64 s7, 0, v2
	v_cndmask_b32_e64 v2, v2, v53, s7
	v_cmp_eq_u32_e64 s7, 0, v53
	s_delay_alu instid0(VALU_DEP_2)
	v_lshlrev_b32_e32 v2, 2, v2
	ds_bpermute_b32 v9, v2, v1
	s_and_saveexec_b32 s21, vcc_lo
	s_cbranch_execz .LBB1944_63
; %bb.46:
	v_mov_b32_e32 v4, 0
	ds_load_b32 v1, v4 offset:28
	s_and_saveexec_b32 s22, s7
	s_cbranch_execz .LBB1944_48
; %bb.47:
	s_add_i32 s24, s20, 32
	s_mov_b32 s25, 0
	v_mov_b32_e32 v2, 1
	s_lshl_b64 s[24:25], s[24:25], 3
	s_delay_alu instid0(SALU_CYCLE_1)
	s_add_u32 s24, s18, s24
	s_addc_u32 s25, s19, s25
	s_waitcnt lgkmcnt(0)
	global_store_b64 v4, v[1:2], s[24:25]
.LBB1944_48:
	s_or_b32 exec_lo, exec_lo, s22
	v_xad_u32 v2, v53, -1, s20
	s_mov_b32 s23, 0
	s_mov_b32 s22, exec_lo
	s_delay_alu instid0(VALU_DEP_1) | instskip(NEXT) | instid1(VALU_DEP_1)
	v_add_nc_u32_e32 v3, 32, v2
	v_lshlrev_b64 v[3:4], 3, v[3:4]
	s_delay_alu instid0(VALU_DEP_1) | instskip(NEXT) | instid1(VALU_DEP_2)
	v_add_co_u32 v6, vcc_lo, s18, v3
	v_add_co_ci_u32_e32 v7, vcc_lo, s19, v4, vcc_lo
	global_load_b64 v[4:5], v[6:7], off glc
	s_waitcnt vmcnt(0)
	v_and_b32_e32 v3, 0xff, v5
	s_delay_alu instid0(VALU_DEP_1)
	v_cmpx_eq_u16_e32 0, v3
	s_cbranch_execz .LBB1944_51
.LBB1944_49:                            ; =>This Inner Loop Header: Depth=1
	global_load_b64 v[4:5], v[6:7], off glc
	s_waitcnt vmcnt(0)
	v_and_b32_e32 v3, 0xff, v5
	s_delay_alu instid0(VALU_DEP_1) | instskip(SKIP_1) | instid1(SALU_CYCLE_1)
	v_cmp_ne_u16_e32 vcc_lo, 0, v3
	s_or_b32 s23, vcc_lo, s23
	s_and_not1_b32 exec_lo, exec_lo, s23
	s_cbranch_execnz .LBB1944_49
; %bb.50:
	s_or_b32 exec_lo, exec_lo, s23
.LBB1944_51:
	s_delay_alu instid0(SALU_CYCLE_1)
	s_or_b32 exec_lo, exec_lo, s22
	v_cmp_ne_u32_e32 vcc_lo, 31, v53
	v_lshlrev_b32_e64 v11, v53, -1
	v_add_nc_u32_e32 v13, 2, v53
	v_add_nc_u32_e32 v15, 4, v53
	;; [unrolled: 1-line block ×3, first 2 shown]
	v_add_co_ci_u32_e32 v3, vcc_lo, 0, v53, vcc_lo
	v_add_nc_u32_e32 v58, 16, v53
	s_delay_alu instid0(VALU_DEP_2) | instskip(SKIP_2) | instid1(VALU_DEP_1)
	v_lshlrev_b32_e32 v10, 2, v3
	ds_bpermute_b32 v6, v10, v4
	v_and_b32_e32 v3, 0xff, v5
	v_cmp_eq_u16_e32 vcc_lo, 2, v3
	v_and_or_b32 v3, vcc_lo, v11, 0x80000000
	v_cmp_gt_u32_e32 vcc_lo, 30, v53
	s_delay_alu instid0(VALU_DEP_2) | instskip(SKIP_1) | instid1(VALU_DEP_2)
	v_ctz_i32_b32_e32 v3, v3
	v_cndmask_b32_e64 v7, 0, 1, vcc_lo
	v_cmp_lt_u32_e32 vcc_lo, v53, v3
	s_waitcnt lgkmcnt(0)
	s_delay_alu instid0(VALU_DEP_2) | instskip(NEXT) | instid1(VALU_DEP_1)
	v_dual_cndmask_b32 v6, 0, v6 :: v_dual_lshlrev_b32 v7, 1, v7
	v_add_lshl_u32 v12, v7, v53, 2
	v_cmp_gt_u32_e32 vcc_lo, 28, v53
	s_delay_alu instid0(VALU_DEP_3) | instskip(SKIP_4) | instid1(VALU_DEP_1)
	v_add_nc_u32_e32 v4, v6, v4
	v_cndmask_b32_e64 v7, 0, 1, vcc_lo
	v_cmp_le_u32_e32 vcc_lo, v13, v3
	ds_bpermute_b32 v6, v12, v4
	v_lshlrev_b32_e32 v7, 2, v7
	v_add_lshl_u32 v14, v7, v53, 2
	s_waitcnt lgkmcnt(0)
	v_cndmask_b32_e32 v6, 0, v6, vcc_lo
	v_cmp_gt_u32_e32 vcc_lo, 24, v53
	s_delay_alu instid0(VALU_DEP_2) | instskip(SKIP_4) | instid1(VALU_DEP_1)
	v_add_nc_u32_e32 v4, v4, v6
	v_cndmask_b32_e64 v7, 0, 1, vcc_lo
	v_cmp_le_u32_e32 vcc_lo, v15, v3
	ds_bpermute_b32 v6, v14, v4
	v_lshlrev_b32_e32 v7, 3, v7
	v_add_lshl_u32 v17, v7, v53, 2
	s_waitcnt lgkmcnt(0)
	v_cndmask_b32_e32 v6, 0, v6, vcc_lo
	v_cmp_gt_u32_e32 vcc_lo, 16, v53
	s_delay_alu instid0(VALU_DEP_2) | instskip(SKIP_4) | instid1(VALU_DEP_1)
	v_add_nc_u32_e32 v4, v4, v6
	v_cndmask_b32_e64 v7, 0, 1, vcc_lo
	v_cmp_le_u32_e32 vcc_lo, v56, v3
	ds_bpermute_b32 v6, v17, v4
	v_lshlrev_b32_e32 v7, 4, v7
	v_add_lshl_u32 v57, v7, v53, 2
	s_waitcnt lgkmcnt(0)
	v_cndmask_b32_e32 v6, 0, v6, vcc_lo
	v_cmp_le_u32_e32 vcc_lo, v58, v3
	s_delay_alu instid0(VALU_DEP_2) | instskip(SKIP_3) | instid1(VALU_DEP_1)
	v_add_nc_u32_e32 v4, v4, v6
	ds_bpermute_b32 v6, v57, v4
	s_waitcnt lgkmcnt(0)
	v_cndmask_b32_e32 v3, 0, v6, vcc_lo
	v_dual_mov_b32 v3, 0 :: v_dual_add_nc_u32 v4, v4, v3
	s_branch .LBB1944_53
.LBB1944_52:                            ;   in Loop: Header=BB1944_53 Depth=1
	s_or_b32 exec_lo, exec_lo, s22
	ds_bpermute_b32 v7, v10, v4
	v_and_b32_e32 v6, 0xff, v5
	v_subrev_nc_u32_e32 v2, 32, v2
	s_delay_alu instid0(VALU_DEP_2) | instskip(SKIP_1) | instid1(VALU_DEP_1)
	v_cmp_eq_u16_e32 vcc_lo, 2, v6
	v_and_or_b32 v6, vcc_lo, v11, 0x80000000
	v_ctz_i32_b32_e32 v6, v6
	s_delay_alu instid0(VALU_DEP_1) | instskip(SKIP_3) | instid1(VALU_DEP_2)
	v_cmp_lt_u32_e32 vcc_lo, v53, v6
	s_waitcnt lgkmcnt(0)
	v_cndmask_b32_e32 v7, 0, v7, vcc_lo
	v_cmp_le_u32_e32 vcc_lo, v13, v6
	v_add_nc_u32_e32 v4, v7, v4
	ds_bpermute_b32 v7, v12, v4
	s_waitcnt lgkmcnt(0)
	v_cndmask_b32_e32 v7, 0, v7, vcc_lo
	v_cmp_le_u32_e32 vcc_lo, v15, v6
	s_delay_alu instid0(VALU_DEP_2) | instskip(SKIP_4) | instid1(VALU_DEP_2)
	v_add_nc_u32_e32 v4, v4, v7
	ds_bpermute_b32 v7, v14, v4
	s_waitcnt lgkmcnt(0)
	v_cndmask_b32_e32 v7, 0, v7, vcc_lo
	v_cmp_le_u32_e32 vcc_lo, v56, v6
	v_add_nc_u32_e32 v4, v4, v7
	ds_bpermute_b32 v7, v17, v4
	s_waitcnt lgkmcnt(0)
	v_cndmask_b32_e32 v7, 0, v7, vcc_lo
	v_cmp_le_u32_e32 vcc_lo, v58, v6
	s_delay_alu instid0(VALU_DEP_2) | instskip(SKIP_3) | instid1(VALU_DEP_1)
	v_add_nc_u32_e32 v4, v4, v7
	ds_bpermute_b32 v7, v57, v4
	s_waitcnt lgkmcnt(0)
	v_cndmask_b32_e32 v6, 0, v7, vcc_lo
	v_add3_u32 v4, v6, v16, v4
.LBB1944_53:                            ; =>This Loop Header: Depth=1
                                        ;     Child Loop BB1944_56 Depth 2
	s_delay_alu instid0(VALU_DEP_1) | instskip(NEXT) | instid1(VALU_DEP_1)
	v_dual_mov_b32 v16, v4 :: v_dual_and_b32 v5, 0xff, v5
	v_cmp_ne_u16_e32 vcc_lo, 2, v5
	v_cndmask_b32_e64 v5, 0, 1, vcc_lo
	;;#ASMSTART
	;;#ASMEND
	s_delay_alu instid0(VALU_DEP_1)
	v_cmp_ne_u32_e32 vcc_lo, 0, v5
	s_cmp_lg_u32 vcc_lo, exec_lo
	s_cbranch_scc1 .LBB1944_58
; %bb.54:                               ;   in Loop: Header=BB1944_53 Depth=1
	v_lshlrev_b64 v[4:5], 3, v[2:3]
	s_mov_b32 s22, exec_lo
	s_delay_alu instid0(VALU_DEP_1) | instskip(NEXT) | instid1(VALU_DEP_2)
	v_add_co_u32 v6, vcc_lo, s18, v4
	v_add_co_ci_u32_e32 v7, vcc_lo, s19, v5, vcc_lo
	global_load_b64 v[4:5], v[6:7], off glc
	s_waitcnt vmcnt(0)
	v_and_b32_e32 v59, 0xff, v5
	s_delay_alu instid0(VALU_DEP_1)
	v_cmpx_eq_u16_e32 0, v59
	s_cbranch_execz .LBB1944_52
; %bb.55:                               ;   in Loop: Header=BB1944_53 Depth=1
	s_mov_b32 s23, 0
.LBB1944_56:                            ;   Parent Loop BB1944_53 Depth=1
                                        ; =>  This Inner Loop Header: Depth=2
	global_load_b64 v[4:5], v[6:7], off glc
	s_waitcnt vmcnt(0)
	v_and_b32_e32 v59, 0xff, v5
	s_delay_alu instid0(VALU_DEP_1) | instskip(SKIP_1) | instid1(SALU_CYCLE_1)
	v_cmp_ne_u16_e32 vcc_lo, 0, v59
	s_or_b32 s23, vcc_lo, s23
	s_and_not1_b32 exec_lo, exec_lo, s23
	s_cbranch_execnz .LBB1944_56
; %bb.57:                               ;   in Loop: Header=BB1944_53 Depth=1
	s_or_b32 exec_lo, exec_lo, s23
	s_branch .LBB1944_52
.LBB1944_58:                            ;   in Loop: Header=BB1944_53 Depth=1
                                        ; implicit-def: $vgpr4
                                        ; implicit-def: $vgpr5
	s_cbranch_execz .LBB1944_53
; %bb.59:
	s_and_saveexec_b32 s22, s7
	s_cbranch_execz .LBB1944_61
; %bb.60:
	s_add_i32 s24, s20, 32
	s_mov_b32 s25, 0
	v_dual_mov_b32 v3, 2 :: v_dual_add_nc_u32 v2, v16, v1
	s_lshl_b64 s[24:25], s[24:25], 3
	v_mov_b32_e32 v4, 0
	v_add_nc_u32_e64 v5, 0x3400, 0
	s_add_u32 s24, s18, s24
	s_addc_u32 s25, s19, s25
	global_store_b64 v4, v[2:3], s[24:25]
	ds_store_2addr_b32 v5, v1, v16 offset1:2
.LBB1944_61:
	s_or_b32 exec_lo, exec_lo, s22
	s_delay_alu instid0(SALU_CYCLE_1)
	s_and_b32 exec_lo, exec_lo, s2
	s_cbranch_execz .LBB1944_63
; %bb.62:
	v_mov_b32_e32 v1, 0
	ds_store_b32 v1, v16 offset:28
.LBB1944_63:
	s_or_b32 exec_lo, exec_lo, s21
	v_mov_b32_e32 v1, 0
	s_waitcnt lgkmcnt(0)
	s_waitcnt_vscnt null, 0x0
	s_barrier
	buffer_gl0_inv
	v_cndmask_b32_e64 v2, v9, v8, s7
	ds_load_b32 v1, v1 offset:28
	v_add_nc_u32_e64 v11, 0x3400, 0
	s_waitcnt lgkmcnt(0)
	s_barrier
	v_cndmask_b32_e64 v2, v2, 0, s2
	buffer_gl0_inv
	ds_load_2addr_b32 v[16:17], v11 offset1:2
	v_add_nc_u32_e32 v1, v1, v2
	s_delay_alu instid0(VALU_DEP_1) | instskip(NEXT) | instid1(VALU_DEP_1)
	v_add_nc_u32_e32 v2, v1, v44
	v_add_nc_u32_e32 v3, v2, v45
	s_delay_alu instid0(VALU_DEP_1) | instskip(NEXT) | instid1(VALU_DEP_1)
	v_add_nc_u32_e32 v4, v3, v46
	v_add_nc_u32_e32 v5, v4, v43
	s_delay_alu instid0(VALU_DEP_1) | instskip(NEXT) | instid1(VALU_DEP_1)
	v_add_nc_u32_e32 v6, v5, v47
	v_add_nc_u32_e32 v7, v6, v48
	s_delay_alu instid0(VALU_DEP_1) | instskip(NEXT) | instid1(VALU_DEP_1)
	v_add_nc_u32_e32 v8, v7, v49
	v_add_nc_u32_e32 v9, v8, v41
	s_delay_alu instid0(VALU_DEP_1) | instskip(NEXT) | instid1(VALU_DEP_1)
	v_add_nc_u32_e32 v10, v9, v50
	v_add_nc_u32_e32 v11, v10, v51
	s_delay_alu instid0(VALU_DEP_1) | instskip(NEXT) | instid1(VALU_DEP_1)
	v_add_nc_u32_e32 v12, v11, v52
	v_add_nc_u32_e32 v13, v12, v39
	s_branch .LBB1944_74
.LBB1944_64:
                                        ; implicit-def: $vgpr17
                                        ; implicit-def: $vgpr1_vgpr2_vgpr3_vgpr4_vgpr5_vgpr6_vgpr7_vgpr8_vgpr9_vgpr10_vgpr11_vgpr12_vgpr13_vgpr14_vgpr15_vgpr16
	s_and_b32 vcc_lo, exec_lo, s7
	s_cbranch_vccz .LBB1944_74
; %bb.65:
	s_delay_alu instid0(VALU_DEP_1) | instskip(NEXT) | instid1(VALU_DEP_1)
	v_mov_b32_dpp v1, v55 row_shr:1 row_mask:0xf bank_mask:0xf
	v_cndmask_b32_e64 v1, v1, 0, s6
	s_delay_alu instid0(VALU_DEP_1) | instskip(NEXT) | instid1(VALU_DEP_1)
	v_add_nc_u32_e32 v1, v1, v55
	v_mov_b32_dpp v2, v1 row_shr:2 row_mask:0xf bank_mask:0xf
	s_delay_alu instid0(VALU_DEP_1) | instskip(NEXT) | instid1(VALU_DEP_1)
	v_cndmask_b32_e64 v2, 0, v2, s5
	v_add_nc_u32_e32 v1, v1, v2
	s_delay_alu instid0(VALU_DEP_1) | instskip(NEXT) | instid1(VALU_DEP_1)
	v_mov_b32_dpp v2, v1 row_shr:4 row_mask:0xf bank_mask:0xf
	v_cndmask_b32_e64 v2, 0, v2, s4
	s_delay_alu instid0(VALU_DEP_1) | instskip(NEXT) | instid1(VALU_DEP_1)
	v_add_nc_u32_e32 v1, v1, v2
	v_mov_b32_dpp v2, v1 row_shr:8 row_mask:0xf bank_mask:0xf
	s_delay_alu instid0(VALU_DEP_1) | instskip(NEXT) | instid1(VALU_DEP_1)
	v_cndmask_b32_e64 v2, 0, v2, s3
	v_add_nc_u32_e32 v1, v1, v2
	ds_swizzle_b32 v2, v1 offset:swizzle(BROADCAST,32,15)
	s_waitcnt lgkmcnt(0)
	v_cndmask_b32_e64 v2, v2, 0, s1
	s_delay_alu instid0(VALU_DEP_1)
	v_add_nc_u32_e32 v1, v1, v2
	s_and_saveexec_b32 s1, s0
	s_cbranch_execz .LBB1944_67
; %bb.66:
	v_lshlrev_b32_e32 v2, 2, v54
	ds_store_b32 v2, v1
.LBB1944_67:
	s_or_b32 exec_lo, exec_lo, s1
	s_delay_alu instid0(SALU_CYCLE_1)
	s_mov_b32 s0, exec_lo
	s_waitcnt lgkmcnt(0)
	s_barrier
	buffer_gl0_inv
	v_cmpx_gt_u32_e32 8, v0
	s_cbranch_execz .LBB1944_69
; %bb.68:
	ds_load_b32 v2, v33
	s_waitcnt lgkmcnt(0)
	v_mov_b32_dpp v4, v2 row_shr:1 row_mask:0xf bank_mask:0xf
	v_and_b32_e32 v3, 7, v53
	s_delay_alu instid0(VALU_DEP_1) | instskip(NEXT) | instid1(VALU_DEP_3)
	v_cmp_ne_u32_e32 vcc_lo, 0, v3
	v_cndmask_b32_e32 v4, 0, v4, vcc_lo
	v_cmp_lt_u32_e32 vcc_lo, 1, v3
	s_delay_alu instid0(VALU_DEP_2) | instskip(NEXT) | instid1(VALU_DEP_1)
	v_add_nc_u32_e32 v2, v4, v2
	v_mov_b32_dpp v4, v2 row_shr:2 row_mask:0xf bank_mask:0xf
	s_delay_alu instid0(VALU_DEP_1) | instskip(SKIP_1) | instid1(VALU_DEP_2)
	v_cndmask_b32_e32 v4, 0, v4, vcc_lo
	v_cmp_lt_u32_e32 vcc_lo, 3, v3
	v_add_nc_u32_e32 v2, v2, v4
	s_delay_alu instid0(VALU_DEP_1) | instskip(NEXT) | instid1(VALU_DEP_1)
	v_mov_b32_dpp v4, v2 row_shr:4 row_mask:0xf bank_mask:0xf
	v_cndmask_b32_e32 v3, 0, v4, vcc_lo
	s_delay_alu instid0(VALU_DEP_1)
	v_add_nc_u32_e32 v2, v2, v3
	ds_store_b32 v33, v2
.LBB1944_69:
	s_or_b32 exec_lo, exec_lo, s0
	v_dual_mov_b32 v3, 0 :: v_dual_mov_b32 v2, 0
	s_mov_b32 s0, exec_lo
	s_waitcnt lgkmcnt(0)
	s_barrier
	buffer_gl0_inv
	v_cmpx_lt_u32_e32 31, v0
	s_cbranch_execz .LBB1944_71
; %bb.70:
	v_lshl_add_u32 v2, v54, 2, -4
	ds_load_b32 v2, v2
.LBB1944_71:
	s_or_b32 exec_lo, exec_lo, s0
	v_add_nc_u32_e32 v4, -1, v53
	s_waitcnt lgkmcnt(0)
	v_add_nc_u32_e32 v1, v2, v1
	ds_load_b32 v16, v3 offset:28
	v_cmp_gt_i32_e32 vcc_lo, 0, v4
	v_cndmask_b32_e32 v4, v4, v53, vcc_lo
	s_delay_alu instid0(VALU_DEP_1)
	v_lshlrev_b32_e32 v4, 2, v4
	ds_bpermute_b32 v1, v4, v1
	s_and_saveexec_b32 s0, s2
	s_cbranch_execz .LBB1944_73
; %bb.72:
	v_mov_b32_e32 v3, 0
	v_mov_b32_e32 v17, 2
	s_waitcnt lgkmcnt(1)
	global_store_b64 v3, v[16:17], s[18:19] offset:256
.LBB1944_73:
	s_or_b32 exec_lo, exec_lo, s0
	v_cmp_eq_u32_e32 vcc_lo, 0, v53
	s_waitcnt lgkmcnt(0)
	s_waitcnt_vscnt null, 0x0
	s_barrier
	buffer_gl0_inv
	v_mov_b32_e32 v17, 0
	v_cndmask_b32_e32 v1, v1, v2, vcc_lo
	s_delay_alu instid0(VALU_DEP_1) | instskip(NEXT) | instid1(VALU_DEP_1)
	v_cndmask_b32_e64 v1, v1, 0, s2
	v_add_nc_u32_e32 v2, v1, v44
	s_delay_alu instid0(VALU_DEP_1) | instskip(NEXT) | instid1(VALU_DEP_1)
	v_add_nc_u32_e32 v3, v2, v45
	v_add_nc_u32_e32 v4, v3, v46
	s_delay_alu instid0(VALU_DEP_1) | instskip(NEXT) | instid1(VALU_DEP_1)
	v_add_nc_u32_e32 v5, v4, v43
	;; [unrolled: 3-line block ×5, first 2 shown]
	v_add_nc_u32_e32 v12, v11, v52
	s_delay_alu instid0(VALU_DEP_1)
	v_add_nc_u32_e32 v13, v12, v39
.LBB1944_74:
	s_waitcnt lgkmcnt(0)
	v_sub_nc_u32_e32 v1, v1, v17
	v_sub_nc_u32_e32 v2, v2, v17
	v_add_nc_u32_e32 v36, v16, v36
	v_lshrrev_b32_e32 v47, 8, v42
	v_lshrrev_b32_e32 v46, 16, v42
	v_sub_nc_u32_e32 v4, v4, v17
	v_sub_nc_u32_e32 v3, v3, v17
	;; [unrolled: 1-line block ×3, first 2 shown]
	v_and_b32_e32 v42, 1, v42
	v_and_b32_e32 v47, 1, v47
	;; [unrolled: 1-line block ×3, first 2 shown]
	v_lshrrev_b32_e32 v45, 8, v40
	v_lshrrev_b32_e32 v44, 16, v40
	v_cmp_eq_u32_e32 vcc_lo, 1, v42
	v_and_b32_e32 v42, 1, v46
	v_sub_nc_u32_e32 v46, v36, v2
	v_lshrrev_b32_e32 v15, 8, v38
	v_lshrrev_b32_e32 v14, 16, v38
	v_cndmask_b32_e32 v1, v48, v1, vcc_lo
	v_cmp_eq_u32_e32 vcc_lo, 1, v47
	v_add_nc_u32_e32 v46, 1, v46
	s_delay_alu instid0(VALU_DEP_3)
	v_lshlrev_b32_e32 v1, 2, v1
	ds_store_b32 v1, v30
	v_cndmask_b32_e32 v1, v46, v2, vcc_lo
	v_sub_nc_u32_e32 v48, v36, v3
	v_sub_nc_u32_e32 v49, v36, v4
	v_cmp_eq_u32_e32 vcc_lo, 1, v42
	v_or_b32_e32 v30, 0x300, v0
	v_lshlrev_b32_e32 v1, 2, v1
	v_add_nc_u32_e32 v48, 2, v48
	v_add_nc_u32_e32 v49, 3, v49
	ds_store_b32 v1, v31
	v_cndmask_b32_e32 v2, v48, v3, vcc_lo
	v_cmp_eq_u32_e32 vcc_lo, 1, v43
	v_or_b32_e32 v31, 0x200, v0
	s_delay_alu instid0(VALU_DEP_3) | instskip(SKIP_2) | instid1(VALU_DEP_3)
	v_dual_cndmask_b32 v3, v49, v4 :: v_dual_lshlrev_b32 v2, 2, v2
	v_sub_nc_u32_e32 v4, v5, v17
	v_sub_nc_u32_e32 v5, v6, v17
	v_lshlrev_b32_e32 v3, 2, v3
	s_delay_alu instid0(VALU_DEP_3) | instskip(NEXT) | instid1(VALU_DEP_3)
	v_sub_nc_u32_e32 v1, v36, v4
	v_sub_nc_u32_e32 v6, v36, v5
	ds_store_b32 v2, v28
	ds_store_b32 v3, v29
	v_and_b32_e32 v2, 1, v40
	v_add_nc_u32_e32 v1, 4, v1
	v_add_nc_u32_e32 v3, 5, v6
	v_sub_nc_u32_e32 v6, v7, v17
	v_and_b32_e32 v7, 1, v45
	v_cmp_eq_u32_e32 vcc_lo, 1, v2
	v_sub_nc_u32_e32 v2, v8, v17
	v_and_b32_e32 v8, 1, v41
	v_or_b32_e32 v29, 0x400, v0
	v_or_b32_e32 v28, 0x500, v0
	v_cndmask_b32_e32 v1, v1, v4, vcc_lo
	v_sub_nc_u32_e32 v4, v36, v6
	v_cmp_eq_u32_e32 vcc_lo, 1, v7
	v_and_b32_e32 v7, 1, v44
	s_delay_alu instid0(VALU_DEP_4) | instskip(NEXT) | instid1(VALU_DEP_4)
	v_lshlrev_b32_e32 v1, 2, v1
	v_dual_cndmask_b32 v3, v3, v5 :: v_dual_add_nc_u32 v4, 6, v4
	v_sub_nc_u32_e32 v5, v36, v2
	s_delay_alu instid0(VALU_DEP_4) | instskip(SKIP_2) | instid1(VALU_DEP_4)
	v_cmp_eq_u32_e32 vcc_lo, 1, v7
	v_sub_nc_u32_e32 v7, v13, v17
	v_add_co_u32 v13, s0, s16, v32
	v_dual_cndmask_b32 v4, v4, v6 :: v_dual_add_nc_u32 v5, 7, v5
	v_cmp_eq_u32_e32 vcc_lo, 1, v8
	v_sub_nc_u32_e32 v6, v9, v17
	v_lshlrev_b32_e32 v3, 2, v3
	ds_store_b32 v1, v26
	ds_store_b32 v3, v27
	v_cndmask_b32_e32 v2, v5, v2, vcc_lo
	v_sub_nc_u32_e32 v1, v36, v6
	v_lshlrev_b32_e32 v3, 2, v4
	v_and_b32_e32 v5, 1, v38
	v_sub_nc_u32_e32 v4, v10, v17
	v_lshlrev_b32_e32 v2, 2, v2
	v_add_nc_u32_e32 v1, 8, v1
	ds_store_b32 v3, v24
	ds_store_b32 v2, v25
	v_cmp_eq_u32_e32 vcc_lo, 1, v5
	v_sub_nc_u32_e32 v3, v11, v17
	v_sub_nc_u32_e32 v2, v36, v4
	;; [unrolled: 1-line block ×3, first 2 shown]
	v_dual_cndmask_b32 v1, v1, v6 :: v_dual_and_b32 v10, 1, v39
	v_and_b32_e32 v6, 1, v15
	v_sub_nc_u32_e32 v8, v36, v3
	v_add_nc_u32_e32 v2, 9, v2
	v_sub_nc_u32_e32 v9, v36, v5
	v_and_b32_e32 v11, 1, v37
	v_cmp_eq_u32_e32 vcc_lo, 1, v6
	v_add_nc_u32_e32 v6, 10, v8
	v_and_b32_e32 v8, 1, v14
	v_add_nc_u32_e32 v9, 11, v9
	v_dual_cndmask_b32 v2, v2, v4 :: v_dual_lshlrev_b32 v1, 2, v1
	v_sub_nc_u32_e32 v4, v36, v7
	s_delay_alu instid0(VALU_DEP_4) | instskip(SKIP_1) | instid1(VALU_DEP_4)
	v_cmp_eq_u32_e32 vcc_lo, 1, v8
	v_add_co_ci_u32_e64 v14, null, s17, 0, s0
	v_lshlrev_b32_e32 v2, 2, v2
	s_delay_alu instid0(VALU_DEP_4)
	v_dual_cndmask_b32 v3, v6, v3 :: v_dual_add_nc_u32 v4, 12, v4
	v_cmp_eq_u32_e32 vcc_lo, 1, v10
	v_or_b32_e32 v27, 0x600, v0
	v_or_b32_e32 v26, 0x700, v0
	;; [unrolled: 1-line block ×3, first 2 shown]
	v_lshlrev_b32_e32 v3, 2, v3
	v_cndmask_b32_e32 v5, v9, v5, vcc_lo
	v_cmp_eq_u32_e32 vcc_lo, 1, v11
	v_or_b32_e32 v24, 0x900, v0
	s_delay_alu instid0(VALU_DEP_3) | instskip(SKIP_2) | instid1(VALU_DEP_3)
	v_dual_cndmask_b32 v4, v4, v7 :: v_dual_lshlrev_b32 v5, 2, v5
	v_sub_co_u32 v13, vcc_lo, s14, v13
	v_sub_co_ci_u32_e32 v14, vcc_lo, s15, v14, vcc_lo
	v_lshlrev_b32_e32 v4, 2, v4
	ds_store_b32 v1, v22
	ds_store_b32 v2, v23
	;; [unrolled: 1-line block ×5, first 2 shown]
	s_waitcnt lgkmcnt(0)
	s_barrier
	buffer_gl0_inv
	ds_load_2addr_stride64_b32 v[11:12], v33 offset1:4
	ds_load_2addr_stride64_b32 v[9:10], v33 offset0:8 offset1:12
	ds_load_2addr_stride64_b32 v[7:8], v33 offset0:16 offset1:20
	;; [unrolled: 1-line block ×5, first 2 shown]
	ds_load_b32 v20, v33 offset:12288
	v_add_co_u32 v15, vcc_lo, v18, v17
	v_add_co_ci_u32_e32 v17, vcc_lo, 0, v19, vcc_lo
	v_add_co_u32 v13, vcc_lo, v13, v16
	v_add_co_ci_u32_e32 v14, vcc_lo, 0, v14, vcc_lo
	v_cmp_ne_u32_e32 vcc_lo, 1, v34
	s_delay_alu instid0(VALU_DEP_3)
	v_add_co_u32 v18, s0, v13, v15
	v_or_b32_e32 v35, 0x100, v0
	v_or_b32_e32 v23, 0xa00, v0
	;; [unrolled: 1-line block ×4, first 2 shown]
	v_add_co_ci_u32_e64 v19, s0, v14, v17, s0
	s_mov_b32 s0, 0
	s_cbranch_vccnz .LBB1944_131
; %bb.75:
	s_mov_b32 s0, exec_lo
                                        ; implicit-def: $vgpr13_vgpr14
	v_cmpx_ge_u32_e64 v0, v16
	s_xor_b32 s0, exec_lo, s0
; %bb.76:
	v_not_b32_e32 v13, v0
	s_delay_alu instid0(VALU_DEP_1) | instskip(SKIP_1) | instid1(VALU_DEP_2)
	v_ashrrev_i32_e32 v14, 31, v13
	v_add_co_u32 v13, vcc_lo, v18, v13
	v_add_co_ci_u32_e32 v14, vcc_lo, v19, v14, vcc_lo
; %bb.77:
	s_and_not1_saveexec_b32 s0, s0
; %bb.78:
	v_add_co_u32 v13, vcc_lo, v15, v0
	v_add_co_ci_u32_e32 v14, vcc_lo, 0, v17, vcc_lo
; %bb.79:
	s_or_b32 exec_lo, exec_lo, s0
	s_delay_alu instid0(VALU_DEP_1) | instskip(SKIP_1) | instid1(VALU_DEP_1)
	v_lshlrev_b64 v[13:14], 2, v[13:14]
	s_mov_b32 s0, exec_lo
	v_add_co_u32 v13, vcc_lo, s12, v13
	s_delay_alu instid0(VALU_DEP_2)
	v_add_co_ci_u32_e32 v14, vcc_lo, s13, v14, vcc_lo
	s_waitcnt lgkmcnt(6)
	global_store_b32 v[13:14], v11, off
                                        ; implicit-def: $vgpr13_vgpr14
	v_cmpx_ge_u32_e64 v35, v16
	s_xor_b32 s0, exec_lo, s0
; %bb.80:
	v_xor_b32_e32 v13, 0xfffffeff, v0
	s_delay_alu instid0(VALU_DEP_1) | instskip(SKIP_1) | instid1(VALU_DEP_2)
	v_ashrrev_i32_e32 v14, 31, v13
	v_add_co_u32 v13, vcc_lo, v18, v13
	v_add_co_ci_u32_e32 v14, vcc_lo, v19, v14, vcc_lo
; %bb.81:
	s_and_not1_saveexec_b32 s0, s0
; %bb.82:
	v_add_co_u32 v13, vcc_lo, v15, v35
	v_add_co_ci_u32_e32 v14, vcc_lo, 0, v17, vcc_lo
; %bb.83:
	s_or_b32 exec_lo, exec_lo, s0
	s_delay_alu instid0(VALU_DEP_1) | instskip(SKIP_1) | instid1(VALU_DEP_1)
	v_lshlrev_b64 v[13:14], 2, v[13:14]
	s_mov_b32 s0, exec_lo
	v_add_co_u32 v13, vcc_lo, s12, v13
	s_delay_alu instid0(VALU_DEP_2)
	v_add_co_ci_u32_e32 v14, vcc_lo, s13, v14, vcc_lo
	global_store_b32 v[13:14], v12, off
                                        ; implicit-def: $vgpr13_vgpr14
	v_cmpx_ge_u32_e64 v31, v16
	s_xor_b32 s0, exec_lo, s0
; %bb.84:
	v_xor_b32_e32 v13, 0xfffffdff, v0
	s_delay_alu instid0(VALU_DEP_1) | instskip(SKIP_1) | instid1(VALU_DEP_2)
	v_ashrrev_i32_e32 v14, 31, v13
	v_add_co_u32 v13, vcc_lo, v18, v13
	v_add_co_ci_u32_e32 v14, vcc_lo, v19, v14, vcc_lo
; %bb.85:
	s_and_not1_saveexec_b32 s0, s0
; %bb.86:
	v_add_co_u32 v13, vcc_lo, v15, v31
	v_add_co_ci_u32_e32 v14, vcc_lo, 0, v17, vcc_lo
; %bb.87:
	s_or_b32 exec_lo, exec_lo, s0
	s_delay_alu instid0(VALU_DEP_1) | instskip(SKIP_1) | instid1(VALU_DEP_1)
	v_lshlrev_b64 v[13:14], 2, v[13:14]
	s_mov_b32 s0, exec_lo
	v_add_co_u32 v13, vcc_lo, s12, v13
	s_delay_alu instid0(VALU_DEP_2)
	v_add_co_ci_u32_e32 v14, vcc_lo, s13, v14, vcc_lo
	s_waitcnt lgkmcnt(5)
	global_store_b32 v[13:14], v9, off
                                        ; implicit-def: $vgpr13_vgpr14
	v_cmpx_ge_u32_e64 v30, v16
	s_xor_b32 s0, exec_lo, s0
; %bb.88:
	v_xor_b32_e32 v13, 0xfffffcff, v0
	s_delay_alu instid0(VALU_DEP_1) | instskip(SKIP_1) | instid1(VALU_DEP_2)
	v_ashrrev_i32_e32 v14, 31, v13
	v_add_co_u32 v13, vcc_lo, v18, v13
	v_add_co_ci_u32_e32 v14, vcc_lo, v19, v14, vcc_lo
; %bb.89:
	s_and_not1_saveexec_b32 s0, s0
; %bb.90:
	v_add_co_u32 v13, vcc_lo, v15, v30
	v_add_co_ci_u32_e32 v14, vcc_lo, 0, v17, vcc_lo
; %bb.91:
	s_or_b32 exec_lo, exec_lo, s0
	s_delay_alu instid0(VALU_DEP_1) | instskip(SKIP_1) | instid1(VALU_DEP_1)
	v_lshlrev_b64 v[13:14], 2, v[13:14]
	s_mov_b32 s0, exec_lo
	v_add_co_u32 v13, vcc_lo, s12, v13
	s_delay_alu instid0(VALU_DEP_2)
	v_add_co_ci_u32_e32 v14, vcc_lo, s13, v14, vcc_lo
	global_store_b32 v[13:14], v10, off
                                        ; implicit-def: $vgpr13_vgpr14
	v_cmpx_ge_u32_e64 v29, v16
	s_xor_b32 s0, exec_lo, s0
; %bb.92:
	v_xor_b32_e32 v13, 0xfffffbff, v0
	s_delay_alu instid0(VALU_DEP_1) | instskip(SKIP_1) | instid1(VALU_DEP_2)
	v_ashrrev_i32_e32 v14, 31, v13
	v_add_co_u32 v13, vcc_lo, v18, v13
	v_add_co_ci_u32_e32 v14, vcc_lo, v19, v14, vcc_lo
; %bb.93:
	s_and_not1_saveexec_b32 s0, s0
; %bb.94:
	v_add_co_u32 v13, vcc_lo, v15, v29
	v_add_co_ci_u32_e32 v14, vcc_lo, 0, v17, vcc_lo
; %bb.95:
	s_or_b32 exec_lo, exec_lo, s0
	s_delay_alu instid0(VALU_DEP_1) | instskip(SKIP_1) | instid1(VALU_DEP_1)
	v_lshlrev_b64 v[13:14], 2, v[13:14]
	s_mov_b32 s0, exec_lo
	v_add_co_u32 v13, vcc_lo, s12, v13
	s_delay_alu instid0(VALU_DEP_2)
	v_add_co_ci_u32_e32 v14, vcc_lo, s13, v14, vcc_lo
	s_waitcnt lgkmcnt(4)
	global_store_b32 v[13:14], v7, off
                                        ; implicit-def: $vgpr13_vgpr14
	v_cmpx_ge_u32_e64 v28, v16
	s_xor_b32 s0, exec_lo, s0
; %bb.96:
	v_xor_b32_e32 v13, 0xfffffaff, v0
	s_delay_alu instid0(VALU_DEP_1) | instskip(SKIP_1) | instid1(VALU_DEP_2)
	v_ashrrev_i32_e32 v14, 31, v13
	v_add_co_u32 v13, vcc_lo, v18, v13
	v_add_co_ci_u32_e32 v14, vcc_lo, v19, v14, vcc_lo
; %bb.97:
	s_and_not1_saveexec_b32 s0, s0
; %bb.98:
	v_add_co_u32 v13, vcc_lo, v15, v28
	v_add_co_ci_u32_e32 v14, vcc_lo, 0, v17, vcc_lo
; %bb.99:
	s_or_b32 exec_lo, exec_lo, s0
	s_delay_alu instid0(VALU_DEP_1) | instskip(SKIP_1) | instid1(VALU_DEP_1)
	v_lshlrev_b64 v[13:14], 2, v[13:14]
	s_mov_b32 s0, exec_lo
	v_add_co_u32 v13, vcc_lo, s12, v13
	s_delay_alu instid0(VALU_DEP_2)
	v_add_co_ci_u32_e32 v14, vcc_lo, s13, v14, vcc_lo
	global_store_b32 v[13:14], v8, off
                                        ; implicit-def: $vgpr13_vgpr14
	v_cmpx_ge_u32_e64 v27, v16
	s_xor_b32 s0, exec_lo, s0
; %bb.100:
	v_xor_b32_e32 v13, 0xfffff9ff, v0
	s_delay_alu instid0(VALU_DEP_1) | instskip(SKIP_1) | instid1(VALU_DEP_2)
	v_ashrrev_i32_e32 v14, 31, v13
	v_add_co_u32 v13, vcc_lo, v18, v13
	v_add_co_ci_u32_e32 v14, vcc_lo, v19, v14, vcc_lo
; %bb.101:
	s_and_not1_saveexec_b32 s0, s0
; %bb.102:
	v_add_co_u32 v13, vcc_lo, v15, v27
	v_add_co_ci_u32_e32 v14, vcc_lo, 0, v17, vcc_lo
; %bb.103:
	s_or_b32 exec_lo, exec_lo, s0
	s_delay_alu instid0(VALU_DEP_1) | instskip(SKIP_1) | instid1(VALU_DEP_1)
	v_lshlrev_b64 v[13:14], 2, v[13:14]
	s_mov_b32 s0, exec_lo
	v_add_co_u32 v13, vcc_lo, s12, v13
	s_delay_alu instid0(VALU_DEP_2)
	v_add_co_ci_u32_e32 v14, vcc_lo, s13, v14, vcc_lo
	s_waitcnt lgkmcnt(3)
	global_store_b32 v[13:14], v5, off
                                        ; implicit-def: $vgpr13_vgpr14
	v_cmpx_ge_u32_e64 v26, v16
	s_xor_b32 s0, exec_lo, s0
; %bb.104:
	v_xor_b32_e32 v13, 0xfffff8ff, v0
	s_delay_alu instid0(VALU_DEP_1) | instskip(SKIP_1) | instid1(VALU_DEP_2)
	v_ashrrev_i32_e32 v14, 31, v13
	v_add_co_u32 v13, vcc_lo, v18, v13
	v_add_co_ci_u32_e32 v14, vcc_lo, v19, v14, vcc_lo
; %bb.105:
	s_and_not1_saveexec_b32 s0, s0
; %bb.106:
	v_add_co_u32 v13, vcc_lo, v15, v26
	v_add_co_ci_u32_e32 v14, vcc_lo, 0, v17, vcc_lo
; %bb.107:
	s_or_b32 exec_lo, exec_lo, s0
	s_delay_alu instid0(VALU_DEP_1) | instskip(SKIP_1) | instid1(VALU_DEP_1)
	v_lshlrev_b64 v[13:14], 2, v[13:14]
	s_mov_b32 s0, exec_lo
	v_add_co_u32 v13, vcc_lo, s12, v13
	s_delay_alu instid0(VALU_DEP_2)
	v_add_co_ci_u32_e32 v14, vcc_lo, s13, v14, vcc_lo
	global_store_b32 v[13:14], v6, off
                                        ; implicit-def: $vgpr13_vgpr14
	v_cmpx_ge_u32_e64 v25, v16
	s_xor_b32 s0, exec_lo, s0
; %bb.108:
	v_xor_b32_e32 v13, 0xfffff7ff, v0
	s_delay_alu instid0(VALU_DEP_1) | instskip(SKIP_1) | instid1(VALU_DEP_2)
	v_ashrrev_i32_e32 v14, 31, v13
	v_add_co_u32 v13, vcc_lo, v18, v13
	v_add_co_ci_u32_e32 v14, vcc_lo, v19, v14, vcc_lo
; %bb.109:
	s_and_not1_saveexec_b32 s0, s0
; %bb.110:
	v_add_co_u32 v13, vcc_lo, v15, v25
	v_add_co_ci_u32_e32 v14, vcc_lo, 0, v17, vcc_lo
; %bb.111:
	s_or_b32 exec_lo, exec_lo, s0
	s_delay_alu instid0(VALU_DEP_1) | instskip(SKIP_1) | instid1(VALU_DEP_1)
	v_lshlrev_b64 v[13:14], 2, v[13:14]
	s_mov_b32 s0, exec_lo
	v_add_co_u32 v13, vcc_lo, s12, v13
	s_delay_alu instid0(VALU_DEP_2)
	v_add_co_ci_u32_e32 v14, vcc_lo, s13, v14, vcc_lo
	s_waitcnt lgkmcnt(2)
	global_store_b32 v[13:14], v3, off
                                        ; implicit-def: $vgpr13_vgpr14
	v_cmpx_ge_u32_e64 v24, v16
	s_xor_b32 s0, exec_lo, s0
; %bb.112:
	v_xor_b32_e32 v13, 0xfffff6ff, v0
	s_delay_alu instid0(VALU_DEP_1) | instskip(SKIP_1) | instid1(VALU_DEP_2)
	v_ashrrev_i32_e32 v14, 31, v13
	v_add_co_u32 v13, vcc_lo, v18, v13
	v_add_co_ci_u32_e32 v14, vcc_lo, v19, v14, vcc_lo
; %bb.113:
	s_and_not1_saveexec_b32 s0, s0
; %bb.114:
	v_add_co_u32 v13, vcc_lo, v15, v24
	v_add_co_ci_u32_e32 v14, vcc_lo, 0, v17, vcc_lo
; %bb.115:
	s_or_b32 exec_lo, exec_lo, s0
	s_delay_alu instid0(VALU_DEP_1) | instskip(SKIP_1) | instid1(VALU_DEP_1)
	v_lshlrev_b64 v[13:14], 2, v[13:14]
	s_mov_b32 s0, exec_lo
	v_add_co_u32 v13, vcc_lo, s12, v13
	s_delay_alu instid0(VALU_DEP_2)
	v_add_co_ci_u32_e32 v14, vcc_lo, s13, v14, vcc_lo
	global_store_b32 v[13:14], v4, off
                                        ; implicit-def: $vgpr13_vgpr14
	v_cmpx_ge_u32_e64 v23, v16
	s_xor_b32 s0, exec_lo, s0
; %bb.116:
	v_xor_b32_e32 v13, 0xfffff5ff, v0
	s_delay_alu instid0(VALU_DEP_1) | instskip(SKIP_1) | instid1(VALU_DEP_2)
	v_ashrrev_i32_e32 v14, 31, v13
	v_add_co_u32 v13, vcc_lo, v18, v13
	v_add_co_ci_u32_e32 v14, vcc_lo, v19, v14, vcc_lo
; %bb.117:
	s_and_not1_saveexec_b32 s0, s0
; %bb.118:
	v_add_co_u32 v13, vcc_lo, v15, v23
	v_add_co_ci_u32_e32 v14, vcc_lo, 0, v17, vcc_lo
; %bb.119:
	s_or_b32 exec_lo, exec_lo, s0
	s_delay_alu instid0(VALU_DEP_1) | instskip(SKIP_1) | instid1(VALU_DEP_1)
	v_lshlrev_b64 v[13:14], 2, v[13:14]
	s_mov_b32 s0, exec_lo
	v_add_co_u32 v13, vcc_lo, s12, v13
	s_delay_alu instid0(VALU_DEP_2)
	v_add_co_ci_u32_e32 v14, vcc_lo, s13, v14, vcc_lo
	s_waitcnt lgkmcnt(1)
	global_store_b32 v[13:14], v1, off
                                        ; implicit-def: $vgpr13_vgpr14
	v_cmpx_ge_u32_e64 v22, v16
	s_xor_b32 s0, exec_lo, s0
; %bb.120:
	v_xor_b32_e32 v13, 0xfffff4ff, v0
	s_delay_alu instid0(VALU_DEP_1) | instskip(SKIP_1) | instid1(VALU_DEP_2)
	v_ashrrev_i32_e32 v14, 31, v13
	v_add_co_u32 v13, vcc_lo, v18, v13
	v_add_co_ci_u32_e32 v14, vcc_lo, v19, v14, vcc_lo
; %bb.121:
	s_and_not1_saveexec_b32 s0, s0
; %bb.122:
	v_add_co_u32 v13, vcc_lo, v15, v22
	v_add_co_ci_u32_e32 v14, vcc_lo, 0, v17, vcc_lo
; %bb.123:
	s_or_b32 exec_lo, exec_lo, s0
	s_delay_alu instid0(VALU_DEP_1) | instskip(SKIP_1) | instid1(VALU_DEP_1)
	v_lshlrev_b64 v[13:14], 2, v[13:14]
	s_mov_b32 s0, exec_lo
	v_add_co_u32 v13, vcc_lo, s12, v13
	s_delay_alu instid0(VALU_DEP_2)
	v_add_co_ci_u32_e32 v14, vcc_lo, s13, v14, vcc_lo
	global_store_b32 v[13:14], v2, off
                                        ; implicit-def: $vgpr13_vgpr14
	v_cmpx_ge_u32_e64 v21, v16
	s_xor_b32 s0, exec_lo, s0
; %bb.124:
	v_xor_b32_e32 v13, 0xfffff3ff, v0
	s_delay_alu instid0(VALU_DEP_1) | instskip(SKIP_1) | instid1(VALU_DEP_2)
	v_ashrrev_i32_e32 v14, 31, v13
	v_add_co_u32 v13, vcc_lo, v18, v13
	v_add_co_ci_u32_e32 v14, vcc_lo, v19, v14, vcc_lo
; %bb.125:
	s_and_not1_saveexec_b32 s0, s0
; %bb.126:
	v_add_co_u32 v13, vcc_lo, v15, v21
	v_add_co_ci_u32_e32 v14, vcc_lo, 0, v17, vcc_lo
; %bb.127:
	s_or_b32 exec_lo, exec_lo, s0
	s_mov_b32 s0, -1
.LBB1944_128:
	s_delay_alu instid0(SALU_CYCLE_1)
	s_and_saveexec_b32 s1, s0
	s_cbranch_execz .LBB1944_211
.LBB1944_129:
	s_waitcnt lgkmcnt(1)
	v_lshlrev_b64 v[0:1], 2, v[13:14]
	s_delay_alu instid0(VALU_DEP_1) | instskip(NEXT) | instid1(VALU_DEP_2)
	v_add_co_u32 v0, vcc_lo, s12, v0
	v_add_co_ci_u32_e32 v1, vcc_lo, s13, v1, vcc_lo
	s_waitcnt lgkmcnt(0)
	global_store_b32 v[0:1], v20, off
	s_or_b32 exec_lo, exec_lo, s1
	s_and_b32 s0, s2, s10
	s_delay_alu instid0(SALU_CYCLE_1)
	s_and_saveexec_b32 s1, s0
	s_cbranch_execnz .LBB1944_212
.LBB1944_130:
	s_nop 0
	s_sendmsg sendmsg(MSG_DEALLOC_VGPRS)
	s_endpgm
.LBB1944_131:
                                        ; implicit-def: $vgpr13_vgpr14
	s_cbranch_execz .LBB1944_128
; %bb.132:
	s_mov_b32 s1, exec_lo
	v_cmpx_gt_u32_e64 s11, v0
	s_cbranch_execz .LBB1944_168
; %bb.133:
	s_mov_b32 s3, exec_lo
                                        ; implicit-def: $vgpr13_vgpr14
	v_cmpx_ge_u32_e64 v0, v16
	s_xor_b32 s3, exec_lo, s3
; %bb.134:
	v_not_b32_e32 v13, v0
	s_delay_alu instid0(VALU_DEP_1) | instskip(SKIP_1) | instid1(VALU_DEP_2)
	v_ashrrev_i32_e32 v14, 31, v13
	v_add_co_u32 v13, vcc_lo, v18, v13
	v_add_co_ci_u32_e32 v14, vcc_lo, v19, v14, vcc_lo
; %bb.135:
	s_and_not1_saveexec_b32 s3, s3
; %bb.136:
	v_add_co_u32 v13, vcc_lo, v15, v0
	v_add_co_ci_u32_e32 v14, vcc_lo, 0, v17, vcc_lo
; %bb.137:
	s_or_b32 exec_lo, exec_lo, s3
	s_delay_alu instid0(VALU_DEP_1) | instskip(NEXT) | instid1(VALU_DEP_1)
	v_lshlrev_b64 v[13:14], 2, v[13:14]
	v_add_co_u32 v13, vcc_lo, s12, v13
	s_delay_alu instid0(VALU_DEP_2) | instskip(SKIP_3) | instid1(SALU_CYCLE_1)
	v_add_co_ci_u32_e32 v14, vcc_lo, s13, v14, vcc_lo
	s_waitcnt lgkmcnt(6)
	global_store_b32 v[13:14], v11, off
	s_or_b32 exec_lo, exec_lo, s1
	s_mov_b32 s1, exec_lo
	v_cmpx_gt_u32_e64 s11, v35
	s_cbranch_execnz .LBB1944_169
.LBB1944_138:
	s_or_b32 exec_lo, exec_lo, s1
	s_delay_alu instid0(SALU_CYCLE_1)
	s_mov_b32 s1, exec_lo
	v_cmpx_gt_u32_e64 s11, v31
	s_cbranch_execz .LBB1944_174
.LBB1944_139:
	s_mov_b32 s3, exec_lo
                                        ; implicit-def: $vgpr11_vgpr12
	v_cmpx_ge_u32_e64 v31, v16
	s_xor_b32 s3, exec_lo, s3
	s_cbranch_execz .LBB1944_141
; %bb.140:
	s_waitcnt lgkmcnt(6)
	v_xor_b32_e32 v11, 0xfffffdff, v0
                                        ; implicit-def: $vgpr31
	s_delay_alu instid0(VALU_DEP_1) | instskip(SKIP_1) | instid1(VALU_DEP_2)
	v_ashrrev_i32_e32 v12, 31, v11
	v_add_co_u32 v11, vcc_lo, v18, v11
	v_add_co_ci_u32_e32 v12, vcc_lo, v19, v12, vcc_lo
.LBB1944_141:
	s_and_not1_saveexec_b32 s3, s3
	s_cbranch_execz .LBB1944_143
; %bb.142:
	s_waitcnt lgkmcnt(6)
	v_add_co_u32 v11, vcc_lo, v15, v31
	v_add_co_ci_u32_e32 v12, vcc_lo, 0, v17, vcc_lo
.LBB1944_143:
	s_or_b32 exec_lo, exec_lo, s3
	s_waitcnt lgkmcnt(6)
	s_delay_alu instid0(VALU_DEP_1) | instskip(NEXT) | instid1(VALU_DEP_1)
	v_lshlrev_b64 v[11:12], 2, v[11:12]
	v_add_co_u32 v11, vcc_lo, s12, v11
	s_delay_alu instid0(VALU_DEP_2) | instskip(SKIP_3) | instid1(SALU_CYCLE_1)
	v_add_co_ci_u32_e32 v12, vcc_lo, s13, v12, vcc_lo
	s_waitcnt lgkmcnt(5)
	global_store_b32 v[11:12], v9, off
	s_or_b32 exec_lo, exec_lo, s1
	s_mov_b32 s1, exec_lo
	v_cmpx_gt_u32_e64 s11, v30
	s_cbranch_execnz .LBB1944_175
.LBB1944_144:
	s_or_b32 exec_lo, exec_lo, s1
	s_delay_alu instid0(SALU_CYCLE_1)
	s_mov_b32 s1, exec_lo
	v_cmpx_gt_u32_e64 s11, v29
	s_cbranch_execz .LBB1944_180
.LBB1944_145:
	s_mov_b32 s3, exec_lo
                                        ; implicit-def: $vgpr9_vgpr10
	v_cmpx_ge_u32_e64 v29, v16
	s_xor_b32 s3, exec_lo, s3
	s_cbranch_execz .LBB1944_147
; %bb.146:
	s_waitcnt lgkmcnt(5)
	v_xor_b32_e32 v9, 0xfffffbff, v0
                                        ; implicit-def: $vgpr29
	s_delay_alu instid0(VALU_DEP_1) | instskip(SKIP_1) | instid1(VALU_DEP_2)
	v_ashrrev_i32_e32 v10, 31, v9
	v_add_co_u32 v9, vcc_lo, v18, v9
	v_add_co_ci_u32_e32 v10, vcc_lo, v19, v10, vcc_lo
.LBB1944_147:
	s_and_not1_saveexec_b32 s3, s3
	s_cbranch_execz .LBB1944_149
; %bb.148:
	s_waitcnt lgkmcnt(5)
	v_add_co_u32 v9, vcc_lo, v15, v29
	v_add_co_ci_u32_e32 v10, vcc_lo, 0, v17, vcc_lo
.LBB1944_149:
	s_or_b32 exec_lo, exec_lo, s3
	s_waitcnt lgkmcnt(5)
	s_delay_alu instid0(VALU_DEP_1) | instskip(NEXT) | instid1(VALU_DEP_1)
	v_lshlrev_b64 v[9:10], 2, v[9:10]
	v_add_co_u32 v9, vcc_lo, s12, v9
	s_delay_alu instid0(VALU_DEP_2) | instskip(SKIP_3) | instid1(SALU_CYCLE_1)
	v_add_co_ci_u32_e32 v10, vcc_lo, s13, v10, vcc_lo
	s_waitcnt lgkmcnt(4)
	global_store_b32 v[9:10], v7, off
	s_or_b32 exec_lo, exec_lo, s1
	s_mov_b32 s1, exec_lo
	v_cmpx_gt_u32_e64 s11, v28
	s_cbranch_execnz .LBB1944_181
.LBB1944_150:
	s_or_b32 exec_lo, exec_lo, s1
	s_delay_alu instid0(SALU_CYCLE_1)
	s_mov_b32 s1, exec_lo
	v_cmpx_gt_u32_e64 s11, v27
	s_cbranch_execz .LBB1944_186
.LBB1944_151:
	s_mov_b32 s3, exec_lo
                                        ; implicit-def: $vgpr7_vgpr8
	v_cmpx_ge_u32_e64 v27, v16
	s_xor_b32 s3, exec_lo, s3
	s_cbranch_execz .LBB1944_153
; %bb.152:
	s_waitcnt lgkmcnt(4)
	v_xor_b32_e32 v7, 0xfffff9ff, v0
                                        ; implicit-def: $vgpr27
	s_delay_alu instid0(VALU_DEP_1) | instskip(SKIP_1) | instid1(VALU_DEP_2)
	v_ashrrev_i32_e32 v8, 31, v7
	v_add_co_u32 v7, vcc_lo, v18, v7
	v_add_co_ci_u32_e32 v8, vcc_lo, v19, v8, vcc_lo
.LBB1944_153:
	s_and_not1_saveexec_b32 s3, s3
	s_cbranch_execz .LBB1944_155
; %bb.154:
	s_waitcnt lgkmcnt(4)
	v_add_co_u32 v7, vcc_lo, v15, v27
	v_add_co_ci_u32_e32 v8, vcc_lo, 0, v17, vcc_lo
.LBB1944_155:
	s_or_b32 exec_lo, exec_lo, s3
	s_waitcnt lgkmcnt(4)
	s_delay_alu instid0(VALU_DEP_1) | instskip(NEXT) | instid1(VALU_DEP_1)
	v_lshlrev_b64 v[7:8], 2, v[7:8]
	v_add_co_u32 v7, vcc_lo, s12, v7
	s_delay_alu instid0(VALU_DEP_2) | instskip(SKIP_3) | instid1(SALU_CYCLE_1)
	v_add_co_ci_u32_e32 v8, vcc_lo, s13, v8, vcc_lo
	s_waitcnt lgkmcnt(3)
	global_store_b32 v[7:8], v5, off
	s_or_b32 exec_lo, exec_lo, s1
	s_mov_b32 s1, exec_lo
	v_cmpx_gt_u32_e64 s11, v26
	s_cbranch_execnz .LBB1944_187
.LBB1944_156:
	s_or_b32 exec_lo, exec_lo, s1
	s_delay_alu instid0(SALU_CYCLE_1)
	s_mov_b32 s1, exec_lo
	v_cmpx_gt_u32_e64 s11, v25
	s_cbranch_execz .LBB1944_192
.LBB1944_157:
	s_mov_b32 s3, exec_lo
                                        ; implicit-def: $vgpr5_vgpr6
	v_cmpx_ge_u32_e64 v25, v16
	s_xor_b32 s3, exec_lo, s3
	s_cbranch_execz .LBB1944_159
; %bb.158:
	s_waitcnt lgkmcnt(3)
	v_xor_b32_e32 v5, 0xfffff7ff, v0
                                        ; implicit-def: $vgpr25
	s_delay_alu instid0(VALU_DEP_1) | instskip(SKIP_1) | instid1(VALU_DEP_2)
	v_ashrrev_i32_e32 v6, 31, v5
	v_add_co_u32 v5, vcc_lo, v18, v5
	v_add_co_ci_u32_e32 v6, vcc_lo, v19, v6, vcc_lo
.LBB1944_159:
	s_and_not1_saveexec_b32 s3, s3
	s_cbranch_execz .LBB1944_161
; %bb.160:
	s_waitcnt lgkmcnt(3)
	v_add_co_u32 v5, vcc_lo, v15, v25
	v_add_co_ci_u32_e32 v6, vcc_lo, 0, v17, vcc_lo
.LBB1944_161:
	s_or_b32 exec_lo, exec_lo, s3
	s_waitcnt lgkmcnt(3)
	s_delay_alu instid0(VALU_DEP_1) | instskip(NEXT) | instid1(VALU_DEP_1)
	v_lshlrev_b64 v[5:6], 2, v[5:6]
	v_add_co_u32 v5, vcc_lo, s12, v5
	s_delay_alu instid0(VALU_DEP_2) | instskip(SKIP_3) | instid1(SALU_CYCLE_1)
	v_add_co_ci_u32_e32 v6, vcc_lo, s13, v6, vcc_lo
	s_waitcnt lgkmcnt(2)
	global_store_b32 v[5:6], v3, off
	s_or_b32 exec_lo, exec_lo, s1
	s_mov_b32 s1, exec_lo
	v_cmpx_gt_u32_e64 s11, v24
	s_cbranch_execnz .LBB1944_193
.LBB1944_162:
	s_or_b32 exec_lo, exec_lo, s1
	s_delay_alu instid0(SALU_CYCLE_1)
	s_mov_b32 s1, exec_lo
	v_cmpx_gt_u32_e64 s11, v23
	s_cbranch_execz .LBB1944_198
.LBB1944_163:
	s_mov_b32 s3, exec_lo
                                        ; implicit-def: $vgpr3_vgpr4
	v_cmpx_ge_u32_e64 v23, v16
	s_xor_b32 s3, exec_lo, s3
	s_cbranch_execz .LBB1944_165
; %bb.164:
	s_waitcnt lgkmcnt(2)
	v_xor_b32_e32 v3, 0xfffff5ff, v0
                                        ; implicit-def: $vgpr23
	s_delay_alu instid0(VALU_DEP_1) | instskip(SKIP_1) | instid1(VALU_DEP_2)
	v_ashrrev_i32_e32 v4, 31, v3
	v_add_co_u32 v3, vcc_lo, v18, v3
	v_add_co_ci_u32_e32 v4, vcc_lo, v19, v4, vcc_lo
.LBB1944_165:
	s_and_not1_saveexec_b32 s3, s3
	s_cbranch_execz .LBB1944_167
; %bb.166:
	s_waitcnt lgkmcnt(2)
	v_add_co_u32 v3, vcc_lo, v15, v23
	v_add_co_ci_u32_e32 v4, vcc_lo, 0, v17, vcc_lo
.LBB1944_167:
	s_or_b32 exec_lo, exec_lo, s3
	s_waitcnt lgkmcnt(2)
	s_delay_alu instid0(VALU_DEP_1) | instskip(NEXT) | instid1(VALU_DEP_1)
	v_lshlrev_b64 v[3:4], 2, v[3:4]
	v_add_co_u32 v3, vcc_lo, s12, v3
	s_delay_alu instid0(VALU_DEP_2) | instskip(SKIP_3) | instid1(SALU_CYCLE_1)
	v_add_co_ci_u32_e32 v4, vcc_lo, s13, v4, vcc_lo
	s_waitcnt lgkmcnt(1)
	global_store_b32 v[3:4], v1, off
	s_or_b32 exec_lo, exec_lo, s1
	s_mov_b32 s1, exec_lo
	v_cmpx_gt_u32_e64 s11, v22
	s_cbranch_execz .LBB1944_204
	s_branch .LBB1944_199
.LBB1944_168:
	s_or_b32 exec_lo, exec_lo, s1
	s_delay_alu instid0(SALU_CYCLE_1)
	s_mov_b32 s1, exec_lo
	v_cmpx_gt_u32_e64 s11, v35
	s_cbranch_execz .LBB1944_138
.LBB1944_169:
	s_mov_b32 s3, exec_lo
                                        ; implicit-def: $vgpr13_vgpr14
	v_cmpx_ge_u32_e64 v35, v16
	s_xor_b32 s3, exec_lo, s3
	s_cbranch_execz .LBB1944_171
; %bb.170:
	s_waitcnt lgkmcnt(6)
	v_xor_b32_e32 v11, 0xfffffeff, v0
                                        ; implicit-def: $vgpr35
	s_delay_alu instid0(VALU_DEP_1) | instskip(SKIP_1) | instid1(VALU_DEP_2)
	v_ashrrev_i32_e32 v14, 31, v11
	v_add_co_u32 v13, vcc_lo, v18, v11
	v_add_co_ci_u32_e32 v14, vcc_lo, v19, v14, vcc_lo
.LBB1944_171:
	s_and_not1_saveexec_b32 s3, s3
; %bb.172:
	v_add_co_u32 v13, vcc_lo, v15, v35
	v_add_co_ci_u32_e32 v14, vcc_lo, 0, v17, vcc_lo
; %bb.173:
	s_or_b32 exec_lo, exec_lo, s3
	s_delay_alu instid0(VALU_DEP_1) | instskip(NEXT) | instid1(VALU_DEP_1)
	v_lshlrev_b64 v[13:14], 2, v[13:14]
	v_add_co_u32 v13, vcc_lo, s12, v13
	s_delay_alu instid0(VALU_DEP_2) | instskip(SKIP_3) | instid1(SALU_CYCLE_1)
	v_add_co_ci_u32_e32 v14, vcc_lo, s13, v14, vcc_lo
	s_waitcnt lgkmcnt(6)
	global_store_b32 v[13:14], v12, off
	s_or_b32 exec_lo, exec_lo, s1
	s_mov_b32 s1, exec_lo
	v_cmpx_gt_u32_e64 s11, v31
	s_cbranch_execnz .LBB1944_139
.LBB1944_174:
	s_or_b32 exec_lo, exec_lo, s1
	s_delay_alu instid0(SALU_CYCLE_1)
	s_mov_b32 s1, exec_lo
	v_cmpx_gt_u32_e64 s11, v30
	s_cbranch_execz .LBB1944_144
.LBB1944_175:
	s_mov_b32 s3, exec_lo
                                        ; implicit-def: $vgpr11_vgpr12
	v_cmpx_ge_u32_e64 v30, v16
	s_xor_b32 s3, exec_lo, s3
	s_cbranch_execz .LBB1944_177
; %bb.176:
	s_waitcnt lgkmcnt(5)
	v_xor_b32_e32 v9, 0xfffffcff, v0
                                        ; implicit-def: $vgpr30
	s_delay_alu instid0(VALU_DEP_1) | instskip(SKIP_1) | instid1(VALU_DEP_2)
	v_ashrrev_i32_e32 v12, 31, v9
	v_add_co_u32 v11, vcc_lo, v18, v9
	v_add_co_ci_u32_e32 v12, vcc_lo, v19, v12, vcc_lo
.LBB1944_177:
	s_and_not1_saveexec_b32 s3, s3
	s_cbranch_execz .LBB1944_179
; %bb.178:
	s_waitcnt lgkmcnt(6)
	v_add_co_u32 v11, vcc_lo, v15, v30
	v_add_co_ci_u32_e32 v12, vcc_lo, 0, v17, vcc_lo
.LBB1944_179:
	s_or_b32 exec_lo, exec_lo, s3
	s_waitcnt lgkmcnt(6)
	s_delay_alu instid0(VALU_DEP_1) | instskip(NEXT) | instid1(VALU_DEP_1)
	v_lshlrev_b64 v[11:12], 2, v[11:12]
	v_add_co_u32 v11, vcc_lo, s12, v11
	s_delay_alu instid0(VALU_DEP_2) | instskip(SKIP_3) | instid1(SALU_CYCLE_1)
	v_add_co_ci_u32_e32 v12, vcc_lo, s13, v12, vcc_lo
	s_waitcnt lgkmcnt(5)
	global_store_b32 v[11:12], v10, off
	s_or_b32 exec_lo, exec_lo, s1
	s_mov_b32 s1, exec_lo
	v_cmpx_gt_u32_e64 s11, v29
	s_cbranch_execnz .LBB1944_145
.LBB1944_180:
	s_or_b32 exec_lo, exec_lo, s1
	s_delay_alu instid0(SALU_CYCLE_1)
	s_mov_b32 s1, exec_lo
	v_cmpx_gt_u32_e64 s11, v28
	s_cbranch_execz .LBB1944_150
.LBB1944_181:
	s_mov_b32 s3, exec_lo
                                        ; implicit-def: $vgpr9_vgpr10
	v_cmpx_ge_u32_e64 v28, v16
	s_xor_b32 s3, exec_lo, s3
	s_cbranch_execz .LBB1944_183
; %bb.182:
	s_waitcnt lgkmcnt(4)
	v_xor_b32_e32 v7, 0xfffffaff, v0
                                        ; implicit-def: $vgpr28
	s_delay_alu instid0(VALU_DEP_1) | instskip(SKIP_1) | instid1(VALU_DEP_2)
	v_ashrrev_i32_e32 v10, 31, v7
	v_add_co_u32 v9, vcc_lo, v18, v7
	v_add_co_ci_u32_e32 v10, vcc_lo, v19, v10, vcc_lo
.LBB1944_183:
	s_and_not1_saveexec_b32 s3, s3
	s_cbranch_execz .LBB1944_185
; %bb.184:
	s_waitcnt lgkmcnt(5)
	v_add_co_u32 v9, vcc_lo, v15, v28
	v_add_co_ci_u32_e32 v10, vcc_lo, 0, v17, vcc_lo
.LBB1944_185:
	s_or_b32 exec_lo, exec_lo, s3
	s_waitcnt lgkmcnt(5)
	s_delay_alu instid0(VALU_DEP_1) | instskip(NEXT) | instid1(VALU_DEP_1)
	v_lshlrev_b64 v[9:10], 2, v[9:10]
	v_add_co_u32 v9, vcc_lo, s12, v9
	s_delay_alu instid0(VALU_DEP_2) | instskip(SKIP_3) | instid1(SALU_CYCLE_1)
	v_add_co_ci_u32_e32 v10, vcc_lo, s13, v10, vcc_lo
	s_waitcnt lgkmcnt(4)
	global_store_b32 v[9:10], v8, off
	s_or_b32 exec_lo, exec_lo, s1
	s_mov_b32 s1, exec_lo
	v_cmpx_gt_u32_e64 s11, v27
	s_cbranch_execnz .LBB1944_151
.LBB1944_186:
	s_or_b32 exec_lo, exec_lo, s1
	s_delay_alu instid0(SALU_CYCLE_1)
	s_mov_b32 s1, exec_lo
	v_cmpx_gt_u32_e64 s11, v26
	s_cbranch_execz .LBB1944_156
.LBB1944_187:
	s_mov_b32 s3, exec_lo
                                        ; implicit-def: $vgpr7_vgpr8
	v_cmpx_ge_u32_e64 v26, v16
	s_xor_b32 s3, exec_lo, s3
	s_cbranch_execz .LBB1944_189
; %bb.188:
	s_waitcnt lgkmcnt(3)
	v_xor_b32_e32 v5, 0xfffff8ff, v0
                                        ; implicit-def: $vgpr26
	s_delay_alu instid0(VALU_DEP_1) | instskip(SKIP_1) | instid1(VALU_DEP_2)
	v_ashrrev_i32_e32 v8, 31, v5
	v_add_co_u32 v7, vcc_lo, v18, v5
	v_add_co_ci_u32_e32 v8, vcc_lo, v19, v8, vcc_lo
.LBB1944_189:
	s_and_not1_saveexec_b32 s3, s3
	s_cbranch_execz .LBB1944_191
; %bb.190:
	s_waitcnt lgkmcnt(4)
	v_add_co_u32 v7, vcc_lo, v15, v26
	v_add_co_ci_u32_e32 v8, vcc_lo, 0, v17, vcc_lo
.LBB1944_191:
	s_or_b32 exec_lo, exec_lo, s3
	s_waitcnt lgkmcnt(4)
	s_delay_alu instid0(VALU_DEP_1) | instskip(NEXT) | instid1(VALU_DEP_1)
	v_lshlrev_b64 v[7:8], 2, v[7:8]
	v_add_co_u32 v7, vcc_lo, s12, v7
	s_delay_alu instid0(VALU_DEP_2) | instskip(SKIP_3) | instid1(SALU_CYCLE_1)
	v_add_co_ci_u32_e32 v8, vcc_lo, s13, v8, vcc_lo
	s_waitcnt lgkmcnt(3)
	global_store_b32 v[7:8], v6, off
	s_or_b32 exec_lo, exec_lo, s1
	s_mov_b32 s1, exec_lo
	v_cmpx_gt_u32_e64 s11, v25
	s_cbranch_execnz .LBB1944_157
.LBB1944_192:
	s_or_b32 exec_lo, exec_lo, s1
	s_delay_alu instid0(SALU_CYCLE_1)
	s_mov_b32 s1, exec_lo
	v_cmpx_gt_u32_e64 s11, v24
	s_cbranch_execz .LBB1944_162
.LBB1944_193:
	s_mov_b32 s3, exec_lo
                                        ; implicit-def: $vgpr5_vgpr6
	v_cmpx_ge_u32_e64 v24, v16
	s_xor_b32 s3, exec_lo, s3
	s_cbranch_execz .LBB1944_195
; %bb.194:
	s_waitcnt lgkmcnt(2)
	v_xor_b32_e32 v3, 0xfffff6ff, v0
                                        ; implicit-def: $vgpr24
	s_delay_alu instid0(VALU_DEP_1) | instskip(SKIP_1) | instid1(VALU_DEP_2)
	v_ashrrev_i32_e32 v6, 31, v3
	v_add_co_u32 v5, vcc_lo, v18, v3
	v_add_co_ci_u32_e32 v6, vcc_lo, v19, v6, vcc_lo
.LBB1944_195:
	s_and_not1_saveexec_b32 s3, s3
	s_cbranch_execz .LBB1944_197
; %bb.196:
	s_waitcnt lgkmcnt(3)
	v_add_co_u32 v5, vcc_lo, v15, v24
	v_add_co_ci_u32_e32 v6, vcc_lo, 0, v17, vcc_lo
.LBB1944_197:
	s_or_b32 exec_lo, exec_lo, s3
	s_waitcnt lgkmcnt(3)
	s_delay_alu instid0(VALU_DEP_1) | instskip(NEXT) | instid1(VALU_DEP_1)
	v_lshlrev_b64 v[5:6], 2, v[5:6]
	v_add_co_u32 v5, vcc_lo, s12, v5
	s_delay_alu instid0(VALU_DEP_2) | instskip(SKIP_3) | instid1(SALU_CYCLE_1)
	v_add_co_ci_u32_e32 v6, vcc_lo, s13, v6, vcc_lo
	s_waitcnt lgkmcnt(2)
	global_store_b32 v[5:6], v4, off
	s_or_b32 exec_lo, exec_lo, s1
	s_mov_b32 s1, exec_lo
	v_cmpx_gt_u32_e64 s11, v23
	s_cbranch_execnz .LBB1944_163
.LBB1944_198:
	s_or_b32 exec_lo, exec_lo, s1
	s_delay_alu instid0(SALU_CYCLE_1)
	s_mov_b32 s1, exec_lo
	v_cmpx_gt_u32_e64 s11, v22
	s_cbranch_execz .LBB1944_204
.LBB1944_199:
	s_mov_b32 s3, exec_lo
                                        ; implicit-def: $vgpr3_vgpr4
	v_cmpx_ge_u32_e64 v22, v16
	s_xor_b32 s3, exec_lo, s3
	s_cbranch_execz .LBB1944_201
; %bb.200:
	s_waitcnt lgkmcnt(1)
	v_xor_b32_e32 v1, 0xfffff4ff, v0
                                        ; implicit-def: $vgpr22
	s_delay_alu instid0(VALU_DEP_1) | instskip(SKIP_1) | instid1(VALU_DEP_2)
	v_ashrrev_i32_e32 v4, 31, v1
	v_add_co_u32 v3, vcc_lo, v18, v1
	v_add_co_ci_u32_e32 v4, vcc_lo, v19, v4, vcc_lo
.LBB1944_201:
	s_and_not1_saveexec_b32 s3, s3
	s_cbranch_execz .LBB1944_203
; %bb.202:
	s_waitcnt lgkmcnt(2)
	v_add_co_u32 v3, vcc_lo, v15, v22
	v_add_co_ci_u32_e32 v4, vcc_lo, 0, v17, vcc_lo
.LBB1944_203:
	s_or_b32 exec_lo, exec_lo, s3
	s_waitcnt lgkmcnt(2)
	s_delay_alu instid0(VALU_DEP_1) | instskip(NEXT) | instid1(VALU_DEP_1)
	v_lshlrev_b64 v[3:4], 2, v[3:4]
	v_add_co_u32 v3, vcc_lo, s12, v3
	s_delay_alu instid0(VALU_DEP_2)
	v_add_co_ci_u32_e32 v4, vcc_lo, s13, v4, vcc_lo
	s_waitcnt lgkmcnt(1)
	global_store_b32 v[3:4], v2, off
.LBB1944_204:
	s_or_b32 exec_lo, exec_lo, s1
	s_delay_alu instid0(SALU_CYCLE_1)
	s_mov_b32 s1, exec_lo
                                        ; implicit-def: $vgpr13_vgpr14
	v_cmpx_gt_u32_e64 s11, v21
	s_cbranch_execz .LBB1944_210
; %bb.205:
	s_mov_b32 s3, exec_lo
                                        ; implicit-def: $vgpr13_vgpr14
	v_cmpx_ge_u32_e64 v21, v16
	s_xor_b32 s3, exec_lo, s3
	s_cbranch_execz .LBB1944_207
; %bb.206:
	v_xor_b32_e32 v0, 0xfffff3ff, v0
                                        ; implicit-def: $vgpr21
	s_waitcnt lgkmcnt(1)
	s_delay_alu instid0(VALU_DEP_1) | instskip(SKIP_1) | instid1(VALU_DEP_2)
	v_ashrrev_i32_e32 v1, 31, v0
	v_add_co_u32 v13, vcc_lo, v18, v0
	v_add_co_ci_u32_e32 v14, vcc_lo, v19, v1, vcc_lo
.LBB1944_207:
	s_and_not1_saveexec_b32 s3, s3
; %bb.208:
	v_add_co_u32 v13, vcc_lo, v15, v21
	v_add_co_ci_u32_e32 v14, vcc_lo, 0, v17, vcc_lo
; %bb.209:
	s_or_b32 exec_lo, exec_lo, s3
	s_delay_alu instid0(SALU_CYCLE_1)
	s_or_b32 s0, s0, exec_lo
.LBB1944_210:
	s_or_b32 exec_lo, exec_lo, s1
	s_and_saveexec_b32 s1, s0
	s_cbranch_execnz .LBB1944_129
.LBB1944_211:
	s_or_b32 exec_lo, exec_lo, s1
	s_and_b32 s0, s2, s10
	s_delay_alu instid0(SALU_CYCLE_1)
	s_and_saveexec_b32 s1, s0
	s_cbranch_execz .LBB1944_130
.LBB1944_212:
	v_add_co_u32 v0, vcc_lo, v15, v16
	s_waitcnt lgkmcnt(1)
	v_mov_b32_e32 v2, 0
	v_add_co_ci_u32_e32 v1, vcc_lo, 0, v17, vcc_lo
	global_store_b64 v2, v[0:1], s[8:9]
	s_nop 0
	s_sendmsg sendmsg(MSG_DEALLOC_VGPRS)
	s_endpgm
	.section	.rodata,"a",@progbits
	.p2align	6, 0x0
	.amdhsa_kernel _ZN7rocprim17ROCPRIM_400000_NS6detail17trampoline_kernelINS0_13select_configILj256ELj13ELNS0_17block_load_methodE3ELS4_3ELS4_3ELNS0_20block_scan_algorithmE0ELj4294967295EEENS1_25partition_config_selectorILNS1_17partition_subalgoE3EjNS0_10empty_typeEbEEZZNS1_14partition_implILS8_3ELb0ES6_jNS0_17counting_iteratorIjlEEPS9_SE_NS0_5tupleIJPjSE_EEENSF_IJSE_SE_EEES9_SG_JZNS1_25segmented_radix_sort_implINS0_14default_configELb1EPK12hip_bfloat16PSL_PKlPlN2at6native12_GLOBAL__N_18offset_tEEE10hipError_tPvRmT1_PNSt15iterator_traitsISZ_E10value_typeET2_T3_PNS10_IS15_E10value_typeET4_jRbjT5_S1B_jjP12ihipStream_tbEUljE_EEESW_SX_SY_S15_S19_S1B_T6_T7_T9_mT8_S1D_bDpT10_ENKUlT_T0_E_clISt17integral_constantIbLb0EES1P_IbLb1EEEEDaS1L_S1M_EUlS1L_E_NS1_11comp_targetILNS1_3genE9ELNS1_11target_archE1100ELNS1_3gpuE3ELNS1_3repE0EEENS1_30default_config_static_selectorELNS0_4arch9wavefront6targetE0EEEvSZ_
		.amdhsa_group_segment_fixed_size 13324
		.amdhsa_private_segment_fixed_size 0
		.amdhsa_kernarg_size 152
		.amdhsa_user_sgpr_count 15
		.amdhsa_user_sgpr_dispatch_ptr 0
		.amdhsa_user_sgpr_queue_ptr 0
		.amdhsa_user_sgpr_kernarg_segment_ptr 1
		.amdhsa_user_sgpr_dispatch_id 0
		.amdhsa_user_sgpr_private_segment_size 0
		.amdhsa_wavefront_size32 1
		.amdhsa_uses_dynamic_stack 0
		.amdhsa_enable_private_segment 0
		.amdhsa_system_sgpr_workgroup_id_x 1
		.amdhsa_system_sgpr_workgroup_id_y 0
		.amdhsa_system_sgpr_workgroup_id_z 0
		.amdhsa_system_sgpr_workgroup_info 0
		.amdhsa_system_vgpr_workitem_id 0
		.amdhsa_next_free_vgpr 60
		.amdhsa_next_free_sgpr 26
		.amdhsa_reserve_vcc 1
		.amdhsa_float_round_mode_32 0
		.amdhsa_float_round_mode_16_64 0
		.amdhsa_float_denorm_mode_32 3
		.amdhsa_float_denorm_mode_16_64 3
		.amdhsa_dx10_clamp 1
		.amdhsa_ieee_mode 1
		.amdhsa_fp16_overflow 0
		.amdhsa_workgroup_processor_mode 1
		.amdhsa_memory_ordered 1
		.amdhsa_forward_progress 0
		.amdhsa_shared_vgpr_count 0
		.amdhsa_exception_fp_ieee_invalid_op 0
		.amdhsa_exception_fp_denorm_src 0
		.amdhsa_exception_fp_ieee_div_zero 0
		.amdhsa_exception_fp_ieee_overflow 0
		.amdhsa_exception_fp_ieee_underflow 0
		.amdhsa_exception_fp_ieee_inexact 0
		.amdhsa_exception_int_div_zero 0
	.end_amdhsa_kernel
	.section	.text._ZN7rocprim17ROCPRIM_400000_NS6detail17trampoline_kernelINS0_13select_configILj256ELj13ELNS0_17block_load_methodE3ELS4_3ELS4_3ELNS0_20block_scan_algorithmE0ELj4294967295EEENS1_25partition_config_selectorILNS1_17partition_subalgoE3EjNS0_10empty_typeEbEEZZNS1_14partition_implILS8_3ELb0ES6_jNS0_17counting_iteratorIjlEEPS9_SE_NS0_5tupleIJPjSE_EEENSF_IJSE_SE_EEES9_SG_JZNS1_25segmented_radix_sort_implINS0_14default_configELb1EPK12hip_bfloat16PSL_PKlPlN2at6native12_GLOBAL__N_18offset_tEEE10hipError_tPvRmT1_PNSt15iterator_traitsISZ_E10value_typeET2_T3_PNS10_IS15_E10value_typeET4_jRbjT5_S1B_jjP12ihipStream_tbEUljE_EEESW_SX_SY_S15_S19_S1B_T6_T7_T9_mT8_S1D_bDpT10_ENKUlT_T0_E_clISt17integral_constantIbLb0EES1P_IbLb1EEEEDaS1L_S1M_EUlS1L_E_NS1_11comp_targetILNS1_3genE9ELNS1_11target_archE1100ELNS1_3gpuE3ELNS1_3repE0EEENS1_30default_config_static_selectorELNS0_4arch9wavefront6targetE0EEEvSZ_,"axG",@progbits,_ZN7rocprim17ROCPRIM_400000_NS6detail17trampoline_kernelINS0_13select_configILj256ELj13ELNS0_17block_load_methodE3ELS4_3ELS4_3ELNS0_20block_scan_algorithmE0ELj4294967295EEENS1_25partition_config_selectorILNS1_17partition_subalgoE3EjNS0_10empty_typeEbEEZZNS1_14partition_implILS8_3ELb0ES6_jNS0_17counting_iteratorIjlEEPS9_SE_NS0_5tupleIJPjSE_EEENSF_IJSE_SE_EEES9_SG_JZNS1_25segmented_radix_sort_implINS0_14default_configELb1EPK12hip_bfloat16PSL_PKlPlN2at6native12_GLOBAL__N_18offset_tEEE10hipError_tPvRmT1_PNSt15iterator_traitsISZ_E10value_typeET2_T3_PNS10_IS15_E10value_typeET4_jRbjT5_S1B_jjP12ihipStream_tbEUljE_EEESW_SX_SY_S15_S19_S1B_T6_T7_T9_mT8_S1D_bDpT10_ENKUlT_T0_E_clISt17integral_constantIbLb0EES1P_IbLb1EEEEDaS1L_S1M_EUlS1L_E_NS1_11comp_targetILNS1_3genE9ELNS1_11target_archE1100ELNS1_3gpuE3ELNS1_3repE0EEENS1_30default_config_static_selectorELNS0_4arch9wavefront6targetE0EEEvSZ_,comdat
.Lfunc_end1944:
	.size	_ZN7rocprim17ROCPRIM_400000_NS6detail17trampoline_kernelINS0_13select_configILj256ELj13ELNS0_17block_load_methodE3ELS4_3ELS4_3ELNS0_20block_scan_algorithmE0ELj4294967295EEENS1_25partition_config_selectorILNS1_17partition_subalgoE3EjNS0_10empty_typeEbEEZZNS1_14partition_implILS8_3ELb0ES6_jNS0_17counting_iteratorIjlEEPS9_SE_NS0_5tupleIJPjSE_EEENSF_IJSE_SE_EEES9_SG_JZNS1_25segmented_radix_sort_implINS0_14default_configELb1EPK12hip_bfloat16PSL_PKlPlN2at6native12_GLOBAL__N_18offset_tEEE10hipError_tPvRmT1_PNSt15iterator_traitsISZ_E10value_typeET2_T3_PNS10_IS15_E10value_typeET4_jRbjT5_S1B_jjP12ihipStream_tbEUljE_EEESW_SX_SY_S15_S19_S1B_T6_T7_T9_mT8_S1D_bDpT10_ENKUlT_T0_E_clISt17integral_constantIbLb0EES1P_IbLb1EEEEDaS1L_S1M_EUlS1L_E_NS1_11comp_targetILNS1_3genE9ELNS1_11target_archE1100ELNS1_3gpuE3ELNS1_3repE0EEENS1_30default_config_static_selectorELNS0_4arch9wavefront6targetE0EEEvSZ_, .Lfunc_end1944-_ZN7rocprim17ROCPRIM_400000_NS6detail17trampoline_kernelINS0_13select_configILj256ELj13ELNS0_17block_load_methodE3ELS4_3ELS4_3ELNS0_20block_scan_algorithmE0ELj4294967295EEENS1_25partition_config_selectorILNS1_17partition_subalgoE3EjNS0_10empty_typeEbEEZZNS1_14partition_implILS8_3ELb0ES6_jNS0_17counting_iteratorIjlEEPS9_SE_NS0_5tupleIJPjSE_EEENSF_IJSE_SE_EEES9_SG_JZNS1_25segmented_radix_sort_implINS0_14default_configELb1EPK12hip_bfloat16PSL_PKlPlN2at6native12_GLOBAL__N_18offset_tEEE10hipError_tPvRmT1_PNSt15iterator_traitsISZ_E10value_typeET2_T3_PNS10_IS15_E10value_typeET4_jRbjT5_S1B_jjP12ihipStream_tbEUljE_EEESW_SX_SY_S15_S19_S1B_T6_T7_T9_mT8_S1D_bDpT10_ENKUlT_T0_E_clISt17integral_constantIbLb0EES1P_IbLb1EEEEDaS1L_S1M_EUlS1L_E_NS1_11comp_targetILNS1_3genE9ELNS1_11target_archE1100ELNS1_3gpuE3ELNS1_3repE0EEENS1_30default_config_static_selectorELNS0_4arch9wavefront6targetE0EEEvSZ_
                                        ; -- End function
	.section	.AMDGPU.csdata,"",@progbits
; Kernel info:
; codeLenInByte = 9040
; NumSgprs: 28
; NumVgprs: 60
; ScratchSize: 0
; MemoryBound: 0
; FloatMode: 240
; IeeeMode: 1
; LDSByteSize: 13324 bytes/workgroup (compile time only)
; SGPRBlocks: 3
; VGPRBlocks: 7
; NumSGPRsForWavesPerEU: 28
; NumVGPRsForWavesPerEU: 60
; Occupancy: 16
; WaveLimiterHint : 0
; COMPUTE_PGM_RSRC2:SCRATCH_EN: 0
; COMPUTE_PGM_RSRC2:USER_SGPR: 15
; COMPUTE_PGM_RSRC2:TRAP_HANDLER: 0
; COMPUTE_PGM_RSRC2:TGID_X_EN: 1
; COMPUTE_PGM_RSRC2:TGID_Y_EN: 0
; COMPUTE_PGM_RSRC2:TGID_Z_EN: 0
; COMPUTE_PGM_RSRC2:TIDIG_COMP_CNT: 0
	.section	.text._ZN7rocprim17ROCPRIM_400000_NS6detail17trampoline_kernelINS0_13select_configILj256ELj13ELNS0_17block_load_methodE3ELS4_3ELS4_3ELNS0_20block_scan_algorithmE0ELj4294967295EEENS1_25partition_config_selectorILNS1_17partition_subalgoE3EjNS0_10empty_typeEbEEZZNS1_14partition_implILS8_3ELb0ES6_jNS0_17counting_iteratorIjlEEPS9_SE_NS0_5tupleIJPjSE_EEENSF_IJSE_SE_EEES9_SG_JZNS1_25segmented_radix_sort_implINS0_14default_configELb1EPK12hip_bfloat16PSL_PKlPlN2at6native12_GLOBAL__N_18offset_tEEE10hipError_tPvRmT1_PNSt15iterator_traitsISZ_E10value_typeET2_T3_PNS10_IS15_E10value_typeET4_jRbjT5_S1B_jjP12ihipStream_tbEUljE_EEESW_SX_SY_S15_S19_S1B_T6_T7_T9_mT8_S1D_bDpT10_ENKUlT_T0_E_clISt17integral_constantIbLb0EES1P_IbLb1EEEEDaS1L_S1M_EUlS1L_E_NS1_11comp_targetILNS1_3genE8ELNS1_11target_archE1030ELNS1_3gpuE2ELNS1_3repE0EEENS1_30default_config_static_selectorELNS0_4arch9wavefront6targetE0EEEvSZ_,"axG",@progbits,_ZN7rocprim17ROCPRIM_400000_NS6detail17trampoline_kernelINS0_13select_configILj256ELj13ELNS0_17block_load_methodE3ELS4_3ELS4_3ELNS0_20block_scan_algorithmE0ELj4294967295EEENS1_25partition_config_selectorILNS1_17partition_subalgoE3EjNS0_10empty_typeEbEEZZNS1_14partition_implILS8_3ELb0ES6_jNS0_17counting_iteratorIjlEEPS9_SE_NS0_5tupleIJPjSE_EEENSF_IJSE_SE_EEES9_SG_JZNS1_25segmented_radix_sort_implINS0_14default_configELb1EPK12hip_bfloat16PSL_PKlPlN2at6native12_GLOBAL__N_18offset_tEEE10hipError_tPvRmT1_PNSt15iterator_traitsISZ_E10value_typeET2_T3_PNS10_IS15_E10value_typeET4_jRbjT5_S1B_jjP12ihipStream_tbEUljE_EEESW_SX_SY_S15_S19_S1B_T6_T7_T9_mT8_S1D_bDpT10_ENKUlT_T0_E_clISt17integral_constantIbLb0EES1P_IbLb1EEEEDaS1L_S1M_EUlS1L_E_NS1_11comp_targetILNS1_3genE8ELNS1_11target_archE1030ELNS1_3gpuE2ELNS1_3repE0EEENS1_30default_config_static_selectorELNS0_4arch9wavefront6targetE0EEEvSZ_,comdat
	.globl	_ZN7rocprim17ROCPRIM_400000_NS6detail17trampoline_kernelINS0_13select_configILj256ELj13ELNS0_17block_load_methodE3ELS4_3ELS4_3ELNS0_20block_scan_algorithmE0ELj4294967295EEENS1_25partition_config_selectorILNS1_17partition_subalgoE3EjNS0_10empty_typeEbEEZZNS1_14partition_implILS8_3ELb0ES6_jNS0_17counting_iteratorIjlEEPS9_SE_NS0_5tupleIJPjSE_EEENSF_IJSE_SE_EEES9_SG_JZNS1_25segmented_radix_sort_implINS0_14default_configELb1EPK12hip_bfloat16PSL_PKlPlN2at6native12_GLOBAL__N_18offset_tEEE10hipError_tPvRmT1_PNSt15iterator_traitsISZ_E10value_typeET2_T3_PNS10_IS15_E10value_typeET4_jRbjT5_S1B_jjP12ihipStream_tbEUljE_EEESW_SX_SY_S15_S19_S1B_T6_T7_T9_mT8_S1D_bDpT10_ENKUlT_T0_E_clISt17integral_constantIbLb0EES1P_IbLb1EEEEDaS1L_S1M_EUlS1L_E_NS1_11comp_targetILNS1_3genE8ELNS1_11target_archE1030ELNS1_3gpuE2ELNS1_3repE0EEENS1_30default_config_static_selectorELNS0_4arch9wavefront6targetE0EEEvSZ_ ; -- Begin function _ZN7rocprim17ROCPRIM_400000_NS6detail17trampoline_kernelINS0_13select_configILj256ELj13ELNS0_17block_load_methodE3ELS4_3ELS4_3ELNS0_20block_scan_algorithmE0ELj4294967295EEENS1_25partition_config_selectorILNS1_17partition_subalgoE3EjNS0_10empty_typeEbEEZZNS1_14partition_implILS8_3ELb0ES6_jNS0_17counting_iteratorIjlEEPS9_SE_NS0_5tupleIJPjSE_EEENSF_IJSE_SE_EEES9_SG_JZNS1_25segmented_radix_sort_implINS0_14default_configELb1EPK12hip_bfloat16PSL_PKlPlN2at6native12_GLOBAL__N_18offset_tEEE10hipError_tPvRmT1_PNSt15iterator_traitsISZ_E10value_typeET2_T3_PNS10_IS15_E10value_typeET4_jRbjT5_S1B_jjP12ihipStream_tbEUljE_EEESW_SX_SY_S15_S19_S1B_T6_T7_T9_mT8_S1D_bDpT10_ENKUlT_T0_E_clISt17integral_constantIbLb0EES1P_IbLb1EEEEDaS1L_S1M_EUlS1L_E_NS1_11comp_targetILNS1_3genE8ELNS1_11target_archE1030ELNS1_3gpuE2ELNS1_3repE0EEENS1_30default_config_static_selectorELNS0_4arch9wavefront6targetE0EEEvSZ_
	.p2align	8
	.type	_ZN7rocprim17ROCPRIM_400000_NS6detail17trampoline_kernelINS0_13select_configILj256ELj13ELNS0_17block_load_methodE3ELS4_3ELS4_3ELNS0_20block_scan_algorithmE0ELj4294967295EEENS1_25partition_config_selectorILNS1_17partition_subalgoE3EjNS0_10empty_typeEbEEZZNS1_14partition_implILS8_3ELb0ES6_jNS0_17counting_iteratorIjlEEPS9_SE_NS0_5tupleIJPjSE_EEENSF_IJSE_SE_EEES9_SG_JZNS1_25segmented_radix_sort_implINS0_14default_configELb1EPK12hip_bfloat16PSL_PKlPlN2at6native12_GLOBAL__N_18offset_tEEE10hipError_tPvRmT1_PNSt15iterator_traitsISZ_E10value_typeET2_T3_PNS10_IS15_E10value_typeET4_jRbjT5_S1B_jjP12ihipStream_tbEUljE_EEESW_SX_SY_S15_S19_S1B_T6_T7_T9_mT8_S1D_bDpT10_ENKUlT_T0_E_clISt17integral_constantIbLb0EES1P_IbLb1EEEEDaS1L_S1M_EUlS1L_E_NS1_11comp_targetILNS1_3genE8ELNS1_11target_archE1030ELNS1_3gpuE2ELNS1_3repE0EEENS1_30default_config_static_selectorELNS0_4arch9wavefront6targetE0EEEvSZ_,@function
_ZN7rocprim17ROCPRIM_400000_NS6detail17trampoline_kernelINS0_13select_configILj256ELj13ELNS0_17block_load_methodE3ELS4_3ELS4_3ELNS0_20block_scan_algorithmE0ELj4294967295EEENS1_25partition_config_selectorILNS1_17partition_subalgoE3EjNS0_10empty_typeEbEEZZNS1_14partition_implILS8_3ELb0ES6_jNS0_17counting_iteratorIjlEEPS9_SE_NS0_5tupleIJPjSE_EEENSF_IJSE_SE_EEES9_SG_JZNS1_25segmented_radix_sort_implINS0_14default_configELb1EPK12hip_bfloat16PSL_PKlPlN2at6native12_GLOBAL__N_18offset_tEEE10hipError_tPvRmT1_PNSt15iterator_traitsISZ_E10value_typeET2_T3_PNS10_IS15_E10value_typeET4_jRbjT5_S1B_jjP12ihipStream_tbEUljE_EEESW_SX_SY_S15_S19_S1B_T6_T7_T9_mT8_S1D_bDpT10_ENKUlT_T0_E_clISt17integral_constantIbLb0EES1P_IbLb1EEEEDaS1L_S1M_EUlS1L_E_NS1_11comp_targetILNS1_3genE8ELNS1_11target_archE1030ELNS1_3gpuE2ELNS1_3repE0EEENS1_30default_config_static_selectorELNS0_4arch9wavefront6targetE0EEEvSZ_: ; @_ZN7rocprim17ROCPRIM_400000_NS6detail17trampoline_kernelINS0_13select_configILj256ELj13ELNS0_17block_load_methodE3ELS4_3ELS4_3ELNS0_20block_scan_algorithmE0ELj4294967295EEENS1_25partition_config_selectorILNS1_17partition_subalgoE3EjNS0_10empty_typeEbEEZZNS1_14partition_implILS8_3ELb0ES6_jNS0_17counting_iteratorIjlEEPS9_SE_NS0_5tupleIJPjSE_EEENSF_IJSE_SE_EEES9_SG_JZNS1_25segmented_radix_sort_implINS0_14default_configELb1EPK12hip_bfloat16PSL_PKlPlN2at6native12_GLOBAL__N_18offset_tEEE10hipError_tPvRmT1_PNSt15iterator_traitsISZ_E10value_typeET2_T3_PNS10_IS15_E10value_typeET4_jRbjT5_S1B_jjP12ihipStream_tbEUljE_EEESW_SX_SY_S15_S19_S1B_T6_T7_T9_mT8_S1D_bDpT10_ENKUlT_T0_E_clISt17integral_constantIbLb0EES1P_IbLb1EEEEDaS1L_S1M_EUlS1L_E_NS1_11comp_targetILNS1_3genE8ELNS1_11target_archE1030ELNS1_3gpuE2ELNS1_3repE0EEENS1_30default_config_static_selectorELNS0_4arch9wavefront6targetE0EEEvSZ_
; %bb.0:
	.section	.rodata,"a",@progbits
	.p2align	6, 0x0
	.amdhsa_kernel _ZN7rocprim17ROCPRIM_400000_NS6detail17trampoline_kernelINS0_13select_configILj256ELj13ELNS0_17block_load_methodE3ELS4_3ELS4_3ELNS0_20block_scan_algorithmE0ELj4294967295EEENS1_25partition_config_selectorILNS1_17partition_subalgoE3EjNS0_10empty_typeEbEEZZNS1_14partition_implILS8_3ELb0ES6_jNS0_17counting_iteratorIjlEEPS9_SE_NS0_5tupleIJPjSE_EEENSF_IJSE_SE_EEES9_SG_JZNS1_25segmented_radix_sort_implINS0_14default_configELb1EPK12hip_bfloat16PSL_PKlPlN2at6native12_GLOBAL__N_18offset_tEEE10hipError_tPvRmT1_PNSt15iterator_traitsISZ_E10value_typeET2_T3_PNS10_IS15_E10value_typeET4_jRbjT5_S1B_jjP12ihipStream_tbEUljE_EEESW_SX_SY_S15_S19_S1B_T6_T7_T9_mT8_S1D_bDpT10_ENKUlT_T0_E_clISt17integral_constantIbLb0EES1P_IbLb1EEEEDaS1L_S1M_EUlS1L_E_NS1_11comp_targetILNS1_3genE8ELNS1_11target_archE1030ELNS1_3gpuE2ELNS1_3repE0EEENS1_30default_config_static_selectorELNS0_4arch9wavefront6targetE0EEEvSZ_
		.amdhsa_group_segment_fixed_size 0
		.amdhsa_private_segment_fixed_size 0
		.amdhsa_kernarg_size 152
		.amdhsa_user_sgpr_count 15
		.amdhsa_user_sgpr_dispatch_ptr 0
		.amdhsa_user_sgpr_queue_ptr 0
		.amdhsa_user_sgpr_kernarg_segment_ptr 1
		.amdhsa_user_sgpr_dispatch_id 0
		.amdhsa_user_sgpr_private_segment_size 0
		.amdhsa_wavefront_size32 1
		.amdhsa_uses_dynamic_stack 0
		.amdhsa_enable_private_segment 0
		.amdhsa_system_sgpr_workgroup_id_x 1
		.amdhsa_system_sgpr_workgroup_id_y 0
		.amdhsa_system_sgpr_workgroup_id_z 0
		.amdhsa_system_sgpr_workgroup_info 0
		.amdhsa_system_vgpr_workitem_id 0
		.amdhsa_next_free_vgpr 1
		.amdhsa_next_free_sgpr 1
		.amdhsa_reserve_vcc 0
		.amdhsa_float_round_mode_32 0
		.amdhsa_float_round_mode_16_64 0
		.amdhsa_float_denorm_mode_32 3
		.amdhsa_float_denorm_mode_16_64 3
		.amdhsa_dx10_clamp 1
		.amdhsa_ieee_mode 1
		.amdhsa_fp16_overflow 0
		.amdhsa_workgroup_processor_mode 1
		.amdhsa_memory_ordered 1
		.amdhsa_forward_progress 0
		.amdhsa_shared_vgpr_count 0
		.amdhsa_exception_fp_ieee_invalid_op 0
		.amdhsa_exception_fp_denorm_src 0
		.amdhsa_exception_fp_ieee_div_zero 0
		.amdhsa_exception_fp_ieee_overflow 0
		.amdhsa_exception_fp_ieee_underflow 0
		.amdhsa_exception_fp_ieee_inexact 0
		.amdhsa_exception_int_div_zero 0
	.end_amdhsa_kernel
	.section	.text._ZN7rocprim17ROCPRIM_400000_NS6detail17trampoline_kernelINS0_13select_configILj256ELj13ELNS0_17block_load_methodE3ELS4_3ELS4_3ELNS0_20block_scan_algorithmE0ELj4294967295EEENS1_25partition_config_selectorILNS1_17partition_subalgoE3EjNS0_10empty_typeEbEEZZNS1_14partition_implILS8_3ELb0ES6_jNS0_17counting_iteratorIjlEEPS9_SE_NS0_5tupleIJPjSE_EEENSF_IJSE_SE_EEES9_SG_JZNS1_25segmented_radix_sort_implINS0_14default_configELb1EPK12hip_bfloat16PSL_PKlPlN2at6native12_GLOBAL__N_18offset_tEEE10hipError_tPvRmT1_PNSt15iterator_traitsISZ_E10value_typeET2_T3_PNS10_IS15_E10value_typeET4_jRbjT5_S1B_jjP12ihipStream_tbEUljE_EEESW_SX_SY_S15_S19_S1B_T6_T7_T9_mT8_S1D_bDpT10_ENKUlT_T0_E_clISt17integral_constantIbLb0EES1P_IbLb1EEEEDaS1L_S1M_EUlS1L_E_NS1_11comp_targetILNS1_3genE8ELNS1_11target_archE1030ELNS1_3gpuE2ELNS1_3repE0EEENS1_30default_config_static_selectorELNS0_4arch9wavefront6targetE0EEEvSZ_,"axG",@progbits,_ZN7rocprim17ROCPRIM_400000_NS6detail17trampoline_kernelINS0_13select_configILj256ELj13ELNS0_17block_load_methodE3ELS4_3ELS4_3ELNS0_20block_scan_algorithmE0ELj4294967295EEENS1_25partition_config_selectorILNS1_17partition_subalgoE3EjNS0_10empty_typeEbEEZZNS1_14partition_implILS8_3ELb0ES6_jNS0_17counting_iteratorIjlEEPS9_SE_NS0_5tupleIJPjSE_EEENSF_IJSE_SE_EEES9_SG_JZNS1_25segmented_radix_sort_implINS0_14default_configELb1EPK12hip_bfloat16PSL_PKlPlN2at6native12_GLOBAL__N_18offset_tEEE10hipError_tPvRmT1_PNSt15iterator_traitsISZ_E10value_typeET2_T3_PNS10_IS15_E10value_typeET4_jRbjT5_S1B_jjP12ihipStream_tbEUljE_EEESW_SX_SY_S15_S19_S1B_T6_T7_T9_mT8_S1D_bDpT10_ENKUlT_T0_E_clISt17integral_constantIbLb0EES1P_IbLb1EEEEDaS1L_S1M_EUlS1L_E_NS1_11comp_targetILNS1_3genE8ELNS1_11target_archE1030ELNS1_3gpuE2ELNS1_3repE0EEENS1_30default_config_static_selectorELNS0_4arch9wavefront6targetE0EEEvSZ_,comdat
.Lfunc_end1945:
	.size	_ZN7rocprim17ROCPRIM_400000_NS6detail17trampoline_kernelINS0_13select_configILj256ELj13ELNS0_17block_load_methodE3ELS4_3ELS4_3ELNS0_20block_scan_algorithmE0ELj4294967295EEENS1_25partition_config_selectorILNS1_17partition_subalgoE3EjNS0_10empty_typeEbEEZZNS1_14partition_implILS8_3ELb0ES6_jNS0_17counting_iteratorIjlEEPS9_SE_NS0_5tupleIJPjSE_EEENSF_IJSE_SE_EEES9_SG_JZNS1_25segmented_radix_sort_implINS0_14default_configELb1EPK12hip_bfloat16PSL_PKlPlN2at6native12_GLOBAL__N_18offset_tEEE10hipError_tPvRmT1_PNSt15iterator_traitsISZ_E10value_typeET2_T3_PNS10_IS15_E10value_typeET4_jRbjT5_S1B_jjP12ihipStream_tbEUljE_EEESW_SX_SY_S15_S19_S1B_T6_T7_T9_mT8_S1D_bDpT10_ENKUlT_T0_E_clISt17integral_constantIbLb0EES1P_IbLb1EEEEDaS1L_S1M_EUlS1L_E_NS1_11comp_targetILNS1_3genE8ELNS1_11target_archE1030ELNS1_3gpuE2ELNS1_3repE0EEENS1_30default_config_static_selectorELNS0_4arch9wavefront6targetE0EEEvSZ_, .Lfunc_end1945-_ZN7rocprim17ROCPRIM_400000_NS6detail17trampoline_kernelINS0_13select_configILj256ELj13ELNS0_17block_load_methodE3ELS4_3ELS4_3ELNS0_20block_scan_algorithmE0ELj4294967295EEENS1_25partition_config_selectorILNS1_17partition_subalgoE3EjNS0_10empty_typeEbEEZZNS1_14partition_implILS8_3ELb0ES6_jNS0_17counting_iteratorIjlEEPS9_SE_NS0_5tupleIJPjSE_EEENSF_IJSE_SE_EEES9_SG_JZNS1_25segmented_radix_sort_implINS0_14default_configELb1EPK12hip_bfloat16PSL_PKlPlN2at6native12_GLOBAL__N_18offset_tEEE10hipError_tPvRmT1_PNSt15iterator_traitsISZ_E10value_typeET2_T3_PNS10_IS15_E10value_typeET4_jRbjT5_S1B_jjP12ihipStream_tbEUljE_EEESW_SX_SY_S15_S19_S1B_T6_T7_T9_mT8_S1D_bDpT10_ENKUlT_T0_E_clISt17integral_constantIbLb0EES1P_IbLb1EEEEDaS1L_S1M_EUlS1L_E_NS1_11comp_targetILNS1_3genE8ELNS1_11target_archE1030ELNS1_3gpuE2ELNS1_3repE0EEENS1_30default_config_static_selectorELNS0_4arch9wavefront6targetE0EEEvSZ_
                                        ; -- End function
	.section	.AMDGPU.csdata,"",@progbits
; Kernel info:
; codeLenInByte = 0
; NumSgprs: 0
; NumVgprs: 0
; ScratchSize: 0
; MemoryBound: 0
; FloatMode: 240
; IeeeMode: 1
; LDSByteSize: 0 bytes/workgroup (compile time only)
; SGPRBlocks: 0
; VGPRBlocks: 0
; NumSGPRsForWavesPerEU: 1
; NumVGPRsForWavesPerEU: 1
; Occupancy: 16
; WaveLimiterHint : 0
; COMPUTE_PGM_RSRC2:SCRATCH_EN: 0
; COMPUTE_PGM_RSRC2:USER_SGPR: 15
; COMPUTE_PGM_RSRC2:TRAP_HANDLER: 0
; COMPUTE_PGM_RSRC2:TGID_X_EN: 1
; COMPUTE_PGM_RSRC2:TGID_Y_EN: 0
; COMPUTE_PGM_RSRC2:TGID_Z_EN: 0
; COMPUTE_PGM_RSRC2:TIDIG_COMP_CNT: 0
	.section	.text._ZN7rocprim17ROCPRIM_400000_NS6detail17trampoline_kernelINS0_14default_configENS1_36segmented_radix_sort_config_selectorI12hip_bfloat16lEEZNS1_25segmented_radix_sort_implIS3_Lb1EPKS5_PS5_PKlPlN2at6native12_GLOBAL__N_18offset_tEEE10hipError_tPvRmT1_PNSt15iterator_traitsISL_E10value_typeET2_T3_PNSM_ISR_E10value_typeET4_jRbjT5_SX_jjP12ihipStream_tbEUlT_E_NS1_11comp_targetILNS1_3genE0ELNS1_11target_archE4294967295ELNS1_3gpuE0ELNS1_3repE0EEENS1_30default_config_static_selectorELNS0_4arch9wavefront6targetE0EEEvSL_,"axG",@progbits,_ZN7rocprim17ROCPRIM_400000_NS6detail17trampoline_kernelINS0_14default_configENS1_36segmented_radix_sort_config_selectorI12hip_bfloat16lEEZNS1_25segmented_radix_sort_implIS3_Lb1EPKS5_PS5_PKlPlN2at6native12_GLOBAL__N_18offset_tEEE10hipError_tPvRmT1_PNSt15iterator_traitsISL_E10value_typeET2_T3_PNSM_ISR_E10value_typeET4_jRbjT5_SX_jjP12ihipStream_tbEUlT_E_NS1_11comp_targetILNS1_3genE0ELNS1_11target_archE4294967295ELNS1_3gpuE0ELNS1_3repE0EEENS1_30default_config_static_selectorELNS0_4arch9wavefront6targetE0EEEvSL_,comdat
	.globl	_ZN7rocprim17ROCPRIM_400000_NS6detail17trampoline_kernelINS0_14default_configENS1_36segmented_radix_sort_config_selectorI12hip_bfloat16lEEZNS1_25segmented_radix_sort_implIS3_Lb1EPKS5_PS5_PKlPlN2at6native12_GLOBAL__N_18offset_tEEE10hipError_tPvRmT1_PNSt15iterator_traitsISL_E10value_typeET2_T3_PNSM_ISR_E10value_typeET4_jRbjT5_SX_jjP12ihipStream_tbEUlT_E_NS1_11comp_targetILNS1_3genE0ELNS1_11target_archE4294967295ELNS1_3gpuE0ELNS1_3repE0EEENS1_30default_config_static_selectorELNS0_4arch9wavefront6targetE0EEEvSL_ ; -- Begin function _ZN7rocprim17ROCPRIM_400000_NS6detail17trampoline_kernelINS0_14default_configENS1_36segmented_radix_sort_config_selectorI12hip_bfloat16lEEZNS1_25segmented_radix_sort_implIS3_Lb1EPKS5_PS5_PKlPlN2at6native12_GLOBAL__N_18offset_tEEE10hipError_tPvRmT1_PNSt15iterator_traitsISL_E10value_typeET2_T3_PNSM_ISR_E10value_typeET4_jRbjT5_SX_jjP12ihipStream_tbEUlT_E_NS1_11comp_targetILNS1_3genE0ELNS1_11target_archE4294967295ELNS1_3gpuE0ELNS1_3repE0EEENS1_30default_config_static_selectorELNS0_4arch9wavefront6targetE0EEEvSL_
	.p2align	8
	.type	_ZN7rocprim17ROCPRIM_400000_NS6detail17trampoline_kernelINS0_14default_configENS1_36segmented_radix_sort_config_selectorI12hip_bfloat16lEEZNS1_25segmented_radix_sort_implIS3_Lb1EPKS5_PS5_PKlPlN2at6native12_GLOBAL__N_18offset_tEEE10hipError_tPvRmT1_PNSt15iterator_traitsISL_E10value_typeET2_T3_PNSM_ISR_E10value_typeET4_jRbjT5_SX_jjP12ihipStream_tbEUlT_E_NS1_11comp_targetILNS1_3genE0ELNS1_11target_archE4294967295ELNS1_3gpuE0ELNS1_3repE0EEENS1_30default_config_static_selectorELNS0_4arch9wavefront6targetE0EEEvSL_,@function
_ZN7rocprim17ROCPRIM_400000_NS6detail17trampoline_kernelINS0_14default_configENS1_36segmented_radix_sort_config_selectorI12hip_bfloat16lEEZNS1_25segmented_radix_sort_implIS3_Lb1EPKS5_PS5_PKlPlN2at6native12_GLOBAL__N_18offset_tEEE10hipError_tPvRmT1_PNSt15iterator_traitsISL_E10value_typeET2_T3_PNSM_ISR_E10value_typeET4_jRbjT5_SX_jjP12ihipStream_tbEUlT_E_NS1_11comp_targetILNS1_3genE0ELNS1_11target_archE4294967295ELNS1_3gpuE0ELNS1_3repE0EEENS1_30default_config_static_selectorELNS0_4arch9wavefront6targetE0EEEvSL_: ; @_ZN7rocprim17ROCPRIM_400000_NS6detail17trampoline_kernelINS0_14default_configENS1_36segmented_radix_sort_config_selectorI12hip_bfloat16lEEZNS1_25segmented_radix_sort_implIS3_Lb1EPKS5_PS5_PKlPlN2at6native12_GLOBAL__N_18offset_tEEE10hipError_tPvRmT1_PNSt15iterator_traitsISL_E10value_typeET2_T3_PNSM_ISR_E10value_typeET4_jRbjT5_SX_jjP12ihipStream_tbEUlT_E_NS1_11comp_targetILNS1_3genE0ELNS1_11target_archE4294967295ELNS1_3gpuE0ELNS1_3repE0EEENS1_30default_config_static_selectorELNS0_4arch9wavefront6targetE0EEEvSL_
; %bb.0:
	.section	.rodata,"a",@progbits
	.p2align	6, 0x0
	.amdhsa_kernel _ZN7rocprim17ROCPRIM_400000_NS6detail17trampoline_kernelINS0_14default_configENS1_36segmented_radix_sort_config_selectorI12hip_bfloat16lEEZNS1_25segmented_radix_sort_implIS3_Lb1EPKS5_PS5_PKlPlN2at6native12_GLOBAL__N_18offset_tEEE10hipError_tPvRmT1_PNSt15iterator_traitsISL_E10value_typeET2_T3_PNSM_ISR_E10value_typeET4_jRbjT5_SX_jjP12ihipStream_tbEUlT_E_NS1_11comp_targetILNS1_3genE0ELNS1_11target_archE4294967295ELNS1_3gpuE0ELNS1_3repE0EEENS1_30default_config_static_selectorELNS0_4arch9wavefront6targetE0EEEvSL_
		.amdhsa_group_segment_fixed_size 0
		.amdhsa_private_segment_fixed_size 0
		.amdhsa_kernarg_size 96
		.amdhsa_user_sgpr_count 15
		.amdhsa_user_sgpr_dispatch_ptr 0
		.amdhsa_user_sgpr_queue_ptr 0
		.amdhsa_user_sgpr_kernarg_segment_ptr 1
		.amdhsa_user_sgpr_dispatch_id 0
		.amdhsa_user_sgpr_private_segment_size 0
		.amdhsa_wavefront_size32 1
		.amdhsa_uses_dynamic_stack 0
		.amdhsa_enable_private_segment 0
		.amdhsa_system_sgpr_workgroup_id_x 1
		.amdhsa_system_sgpr_workgroup_id_y 0
		.amdhsa_system_sgpr_workgroup_id_z 0
		.amdhsa_system_sgpr_workgroup_info 0
		.amdhsa_system_vgpr_workitem_id 0
		.amdhsa_next_free_vgpr 1
		.amdhsa_next_free_sgpr 1
		.amdhsa_reserve_vcc 0
		.amdhsa_float_round_mode_32 0
		.amdhsa_float_round_mode_16_64 0
		.amdhsa_float_denorm_mode_32 3
		.amdhsa_float_denorm_mode_16_64 3
		.amdhsa_dx10_clamp 1
		.amdhsa_ieee_mode 1
		.amdhsa_fp16_overflow 0
		.amdhsa_workgroup_processor_mode 1
		.amdhsa_memory_ordered 1
		.amdhsa_forward_progress 0
		.amdhsa_shared_vgpr_count 0
		.amdhsa_exception_fp_ieee_invalid_op 0
		.amdhsa_exception_fp_denorm_src 0
		.amdhsa_exception_fp_ieee_div_zero 0
		.amdhsa_exception_fp_ieee_overflow 0
		.amdhsa_exception_fp_ieee_underflow 0
		.amdhsa_exception_fp_ieee_inexact 0
		.amdhsa_exception_int_div_zero 0
	.end_amdhsa_kernel
	.section	.text._ZN7rocprim17ROCPRIM_400000_NS6detail17trampoline_kernelINS0_14default_configENS1_36segmented_radix_sort_config_selectorI12hip_bfloat16lEEZNS1_25segmented_radix_sort_implIS3_Lb1EPKS5_PS5_PKlPlN2at6native12_GLOBAL__N_18offset_tEEE10hipError_tPvRmT1_PNSt15iterator_traitsISL_E10value_typeET2_T3_PNSM_ISR_E10value_typeET4_jRbjT5_SX_jjP12ihipStream_tbEUlT_E_NS1_11comp_targetILNS1_3genE0ELNS1_11target_archE4294967295ELNS1_3gpuE0ELNS1_3repE0EEENS1_30default_config_static_selectorELNS0_4arch9wavefront6targetE0EEEvSL_,"axG",@progbits,_ZN7rocprim17ROCPRIM_400000_NS6detail17trampoline_kernelINS0_14default_configENS1_36segmented_radix_sort_config_selectorI12hip_bfloat16lEEZNS1_25segmented_radix_sort_implIS3_Lb1EPKS5_PS5_PKlPlN2at6native12_GLOBAL__N_18offset_tEEE10hipError_tPvRmT1_PNSt15iterator_traitsISL_E10value_typeET2_T3_PNSM_ISR_E10value_typeET4_jRbjT5_SX_jjP12ihipStream_tbEUlT_E_NS1_11comp_targetILNS1_3genE0ELNS1_11target_archE4294967295ELNS1_3gpuE0ELNS1_3repE0EEENS1_30default_config_static_selectorELNS0_4arch9wavefront6targetE0EEEvSL_,comdat
.Lfunc_end1946:
	.size	_ZN7rocprim17ROCPRIM_400000_NS6detail17trampoline_kernelINS0_14default_configENS1_36segmented_radix_sort_config_selectorI12hip_bfloat16lEEZNS1_25segmented_radix_sort_implIS3_Lb1EPKS5_PS5_PKlPlN2at6native12_GLOBAL__N_18offset_tEEE10hipError_tPvRmT1_PNSt15iterator_traitsISL_E10value_typeET2_T3_PNSM_ISR_E10value_typeET4_jRbjT5_SX_jjP12ihipStream_tbEUlT_E_NS1_11comp_targetILNS1_3genE0ELNS1_11target_archE4294967295ELNS1_3gpuE0ELNS1_3repE0EEENS1_30default_config_static_selectorELNS0_4arch9wavefront6targetE0EEEvSL_, .Lfunc_end1946-_ZN7rocprim17ROCPRIM_400000_NS6detail17trampoline_kernelINS0_14default_configENS1_36segmented_radix_sort_config_selectorI12hip_bfloat16lEEZNS1_25segmented_radix_sort_implIS3_Lb1EPKS5_PS5_PKlPlN2at6native12_GLOBAL__N_18offset_tEEE10hipError_tPvRmT1_PNSt15iterator_traitsISL_E10value_typeET2_T3_PNSM_ISR_E10value_typeET4_jRbjT5_SX_jjP12ihipStream_tbEUlT_E_NS1_11comp_targetILNS1_3genE0ELNS1_11target_archE4294967295ELNS1_3gpuE0ELNS1_3repE0EEENS1_30default_config_static_selectorELNS0_4arch9wavefront6targetE0EEEvSL_
                                        ; -- End function
	.section	.AMDGPU.csdata,"",@progbits
; Kernel info:
; codeLenInByte = 0
; NumSgprs: 0
; NumVgprs: 0
; ScratchSize: 0
; MemoryBound: 0
; FloatMode: 240
; IeeeMode: 1
; LDSByteSize: 0 bytes/workgroup (compile time only)
; SGPRBlocks: 0
; VGPRBlocks: 0
; NumSGPRsForWavesPerEU: 1
; NumVGPRsForWavesPerEU: 1
; Occupancy: 16
; WaveLimiterHint : 0
; COMPUTE_PGM_RSRC2:SCRATCH_EN: 0
; COMPUTE_PGM_RSRC2:USER_SGPR: 15
; COMPUTE_PGM_RSRC2:TRAP_HANDLER: 0
; COMPUTE_PGM_RSRC2:TGID_X_EN: 1
; COMPUTE_PGM_RSRC2:TGID_Y_EN: 0
; COMPUTE_PGM_RSRC2:TGID_Z_EN: 0
; COMPUTE_PGM_RSRC2:TIDIG_COMP_CNT: 0
	.section	.text._ZN7rocprim17ROCPRIM_400000_NS6detail17trampoline_kernelINS0_14default_configENS1_36segmented_radix_sort_config_selectorI12hip_bfloat16lEEZNS1_25segmented_radix_sort_implIS3_Lb1EPKS5_PS5_PKlPlN2at6native12_GLOBAL__N_18offset_tEEE10hipError_tPvRmT1_PNSt15iterator_traitsISL_E10value_typeET2_T3_PNSM_ISR_E10value_typeET4_jRbjT5_SX_jjP12ihipStream_tbEUlT_E_NS1_11comp_targetILNS1_3genE5ELNS1_11target_archE942ELNS1_3gpuE9ELNS1_3repE0EEENS1_30default_config_static_selectorELNS0_4arch9wavefront6targetE0EEEvSL_,"axG",@progbits,_ZN7rocprim17ROCPRIM_400000_NS6detail17trampoline_kernelINS0_14default_configENS1_36segmented_radix_sort_config_selectorI12hip_bfloat16lEEZNS1_25segmented_radix_sort_implIS3_Lb1EPKS5_PS5_PKlPlN2at6native12_GLOBAL__N_18offset_tEEE10hipError_tPvRmT1_PNSt15iterator_traitsISL_E10value_typeET2_T3_PNSM_ISR_E10value_typeET4_jRbjT5_SX_jjP12ihipStream_tbEUlT_E_NS1_11comp_targetILNS1_3genE5ELNS1_11target_archE942ELNS1_3gpuE9ELNS1_3repE0EEENS1_30default_config_static_selectorELNS0_4arch9wavefront6targetE0EEEvSL_,comdat
	.globl	_ZN7rocprim17ROCPRIM_400000_NS6detail17trampoline_kernelINS0_14default_configENS1_36segmented_radix_sort_config_selectorI12hip_bfloat16lEEZNS1_25segmented_radix_sort_implIS3_Lb1EPKS5_PS5_PKlPlN2at6native12_GLOBAL__N_18offset_tEEE10hipError_tPvRmT1_PNSt15iterator_traitsISL_E10value_typeET2_T3_PNSM_ISR_E10value_typeET4_jRbjT5_SX_jjP12ihipStream_tbEUlT_E_NS1_11comp_targetILNS1_3genE5ELNS1_11target_archE942ELNS1_3gpuE9ELNS1_3repE0EEENS1_30default_config_static_selectorELNS0_4arch9wavefront6targetE0EEEvSL_ ; -- Begin function _ZN7rocprim17ROCPRIM_400000_NS6detail17trampoline_kernelINS0_14default_configENS1_36segmented_radix_sort_config_selectorI12hip_bfloat16lEEZNS1_25segmented_radix_sort_implIS3_Lb1EPKS5_PS5_PKlPlN2at6native12_GLOBAL__N_18offset_tEEE10hipError_tPvRmT1_PNSt15iterator_traitsISL_E10value_typeET2_T3_PNSM_ISR_E10value_typeET4_jRbjT5_SX_jjP12ihipStream_tbEUlT_E_NS1_11comp_targetILNS1_3genE5ELNS1_11target_archE942ELNS1_3gpuE9ELNS1_3repE0EEENS1_30default_config_static_selectorELNS0_4arch9wavefront6targetE0EEEvSL_
	.p2align	8
	.type	_ZN7rocprim17ROCPRIM_400000_NS6detail17trampoline_kernelINS0_14default_configENS1_36segmented_radix_sort_config_selectorI12hip_bfloat16lEEZNS1_25segmented_radix_sort_implIS3_Lb1EPKS5_PS5_PKlPlN2at6native12_GLOBAL__N_18offset_tEEE10hipError_tPvRmT1_PNSt15iterator_traitsISL_E10value_typeET2_T3_PNSM_ISR_E10value_typeET4_jRbjT5_SX_jjP12ihipStream_tbEUlT_E_NS1_11comp_targetILNS1_3genE5ELNS1_11target_archE942ELNS1_3gpuE9ELNS1_3repE0EEENS1_30default_config_static_selectorELNS0_4arch9wavefront6targetE0EEEvSL_,@function
_ZN7rocprim17ROCPRIM_400000_NS6detail17trampoline_kernelINS0_14default_configENS1_36segmented_radix_sort_config_selectorI12hip_bfloat16lEEZNS1_25segmented_radix_sort_implIS3_Lb1EPKS5_PS5_PKlPlN2at6native12_GLOBAL__N_18offset_tEEE10hipError_tPvRmT1_PNSt15iterator_traitsISL_E10value_typeET2_T3_PNSM_ISR_E10value_typeET4_jRbjT5_SX_jjP12ihipStream_tbEUlT_E_NS1_11comp_targetILNS1_3genE5ELNS1_11target_archE942ELNS1_3gpuE9ELNS1_3repE0EEENS1_30default_config_static_selectorELNS0_4arch9wavefront6targetE0EEEvSL_: ; @_ZN7rocprim17ROCPRIM_400000_NS6detail17trampoline_kernelINS0_14default_configENS1_36segmented_radix_sort_config_selectorI12hip_bfloat16lEEZNS1_25segmented_radix_sort_implIS3_Lb1EPKS5_PS5_PKlPlN2at6native12_GLOBAL__N_18offset_tEEE10hipError_tPvRmT1_PNSt15iterator_traitsISL_E10value_typeET2_T3_PNSM_ISR_E10value_typeET4_jRbjT5_SX_jjP12ihipStream_tbEUlT_E_NS1_11comp_targetILNS1_3genE5ELNS1_11target_archE942ELNS1_3gpuE9ELNS1_3repE0EEENS1_30default_config_static_selectorELNS0_4arch9wavefront6targetE0EEEvSL_
; %bb.0:
	.section	.rodata,"a",@progbits
	.p2align	6, 0x0
	.amdhsa_kernel _ZN7rocprim17ROCPRIM_400000_NS6detail17trampoline_kernelINS0_14default_configENS1_36segmented_radix_sort_config_selectorI12hip_bfloat16lEEZNS1_25segmented_radix_sort_implIS3_Lb1EPKS5_PS5_PKlPlN2at6native12_GLOBAL__N_18offset_tEEE10hipError_tPvRmT1_PNSt15iterator_traitsISL_E10value_typeET2_T3_PNSM_ISR_E10value_typeET4_jRbjT5_SX_jjP12ihipStream_tbEUlT_E_NS1_11comp_targetILNS1_3genE5ELNS1_11target_archE942ELNS1_3gpuE9ELNS1_3repE0EEENS1_30default_config_static_selectorELNS0_4arch9wavefront6targetE0EEEvSL_
		.amdhsa_group_segment_fixed_size 0
		.amdhsa_private_segment_fixed_size 0
		.amdhsa_kernarg_size 96
		.amdhsa_user_sgpr_count 15
		.amdhsa_user_sgpr_dispatch_ptr 0
		.amdhsa_user_sgpr_queue_ptr 0
		.amdhsa_user_sgpr_kernarg_segment_ptr 1
		.amdhsa_user_sgpr_dispatch_id 0
		.amdhsa_user_sgpr_private_segment_size 0
		.amdhsa_wavefront_size32 1
		.amdhsa_uses_dynamic_stack 0
		.amdhsa_enable_private_segment 0
		.amdhsa_system_sgpr_workgroup_id_x 1
		.amdhsa_system_sgpr_workgroup_id_y 0
		.amdhsa_system_sgpr_workgroup_id_z 0
		.amdhsa_system_sgpr_workgroup_info 0
		.amdhsa_system_vgpr_workitem_id 0
		.amdhsa_next_free_vgpr 1
		.amdhsa_next_free_sgpr 1
		.amdhsa_reserve_vcc 0
		.amdhsa_float_round_mode_32 0
		.amdhsa_float_round_mode_16_64 0
		.amdhsa_float_denorm_mode_32 3
		.amdhsa_float_denorm_mode_16_64 3
		.amdhsa_dx10_clamp 1
		.amdhsa_ieee_mode 1
		.amdhsa_fp16_overflow 0
		.amdhsa_workgroup_processor_mode 1
		.amdhsa_memory_ordered 1
		.amdhsa_forward_progress 0
		.amdhsa_shared_vgpr_count 0
		.amdhsa_exception_fp_ieee_invalid_op 0
		.amdhsa_exception_fp_denorm_src 0
		.amdhsa_exception_fp_ieee_div_zero 0
		.amdhsa_exception_fp_ieee_overflow 0
		.amdhsa_exception_fp_ieee_underflow 0
		.amdhsa_exception_fp_ieee_inexact 0
		.amdhsa_exception_int_div_zero 0
	.end_amdhsa_kernel
	.section	.text._ZN7rocprim17ROCPRIM_400000_NS6detail17trampoline_kernelINS0_14default_configENS1_36segmented_radix_sort_config_selectorI12hip_bfloat16lEEZNS1_25segmented_radix_sort_implIS3_Lb1EPKS5_PS5_PKlPlN2at6native12_GLOBAL__N_18offset_tEEE10hipError_tPvRmT1_PNSt15iterator_traitsISL_E10value_typeET2_T3_PNSM_ISR_E10value_typeET4_jRbjT5_SX_jjP12ihipStream_tbEUlT_E_NS1_11comp_targetILNS1_3genE5ELNS1_11target_archE942ELNS1_3gpuE9ELNS1_3repE0EEENS1_30default_config_static_selectorELNS0_4arch9wavefront6targetE0EEEvSL_,"axG",@progbits,_ZN7rocprim17ROCPRIM_400000_NS6detail17trampoline_kernelINS0_14default_configENS1_36segmented_radix_sort_config_selectorI12hip_bfloat16lEEZNS1_25segmented_radix_sort_implIS3_Lb1EPKS5_PS5_PKlPlN2at6native12_GLOBAL__N_18offset_tEEE10hipError_tPvRmT1_PNSt15iterator_traitsISL_E10value_typeET2_T3_PNSM_ISR_E10value_typeET4_jRbjT5_SX_jjP12ihipStream_tbEUlT_E_NS1_11comp_targetILNS1_3genE5ELNS1_11target_archE942ELNS1_3gpuE9ELNS1_3repE0EEENS1_30default_config_static_selectorELNS0_4arch9wavefront6targetE0EEEvSL_,comdat
.Lfunc_end1947:
	.size	_ZN7rocprim17ROCPRIM_400000_NS6detail17trampoline_kernelINS0_14default_configENS1_36segmented_radix_sort_config_selectorI12hip_bfloat16lEEZNS1_25segmented_radix_sort_implIS3_Lb1EPKS5_PS5_PKlPlN2at6native12_GLOBAL__N_18offset_tEEE10hipError_tPvRmT1_PNSt15iterator_traitsISL_E10value_typeET2_T3_PNSM_ISR_E10value_typeET4_jRbjT5_SX_jjP12ihipStream_tbEUlT_E_NS1_11comp_targetILNS1_3genE5ELNS1_11target_archE942ELNS1_3gpuE9ELNS1_3repE0EEENS1_30default_config_static_selectorELNS0_4arch9wavefront6targetE0EEEvSL_, .Lfunc_end1947-_ZN7rocprim17ROCPRIM_400000_NS6detail17trampoline_kernelINS0_14default_configENS1_36segmented_radix_sort_config_selectorI12hip_bfloat16lEEZNS1_25segmented_radix_sort_implIS3_Lb1EPKS5_PS5_PKlPlN2at6native12_GLOBAL__N_18offset_tEEE10hipError_tPvRmT1_PNSt15iterator_traitsISL_E10value_typeET2_T3_PNSM_ISR_E10value_typeET4_jRbjT5_SX_jjP12ihipStream_tbEUlT_E_NS1_11comp_targetILNS1_3genE5ELNS1_11target_archE942ELNS1_3gpuE9ELNS1_3repE0EEENS1_30default_config_static_selectorELNS0_4arch9wavefront6targetE0EEEvSL_
                                        ; -- End function
	.section	.AMDGPU.csdata,"",@progbits
; Kernel info:
; codeLenInByte = 0
; NumSgprs: 0
; NumVgprs: 0
; ScratchSize: 0
; MemoryBound: 0
; FloatMode: 240
; IeeeMode: 1
; LDSByteSize: 0 bytes/workgroup (compile time only)
; SGPRBlocks: 0
; VGPRBlocks: 0
; NumSGPRsForWavesPerEU: 1
; NumVGPRsForWavesPerEU: 1
; Occupancy: 16
; WaveLimiterHint : 0
; COMPUTE_PGM_RSRC2:SCRATCH_EN: 0
; COMPUTE_PGM_RSRC2:USER_SGPR: 15
; COMPUTE_PGM_RSRC2:TRAP_HANDLER: 0
; COMPUTE_PGM_RSRC2:TGID_X_EN: 1
; COMPUTE_PGM_RSRC2:TGID_Y_EN: 0
; COMPUTE_PGM_RSRC2:TGID_Z_EN: 0
; COMPUTE_PGM_RSRC2:TIDIG_COMP_CNT: 0
	.section	.text._ZN7rocprim17ROCPRIM_400000_NS6detail17trampoline_kernelINS0_14default_configENS1_36segmented_radix_sort_config_selectorI12hip_bfloat16lEEZNS1_25segmented_radix_sort_implIS3_Lb1EPKS5_PS5_PKlPlN2at6native12_GLOBAL__N_18offset_tEEE10hipError_tPvRmT1_PNSt15iterator_traitsISL_E10value_typeET2_T3_PNSM_ISR_E10value_typeET4_jRbjT5_SX_jjP12ihipStream_tbEUlT_E_NS1_11comp_targetILNS1_3genE4ELNS1_11target_archE910ELNS1_3gpuE8ELNS1_3repE0EEENS1_30default_config_static_selectorELNS0_4arch9wavefront6targetE0EEEvSL_,"axG",@progbits,_ZN7rocprim17ROCPRIM_400000_NS6detail17trampoline_kernelINS0_14default_configENS1_36segmented_radix_sort_config_selectorI12hip_bfloat16lEEZNS1_25segmented_radix_sort_implIS3_Lb1EPKS5_PS5_PKlPlN2at6native12_GLOBAL__N_18offset_tEEE10hipError_tPvRmT1_PNSt15iterator_traitsISL_E10value_typeET2_T3_PNSM_ISR_E10value_typeET4_jRbjT5_SX_jjP12ihipStream_tbEUlT_E_NS1_11comp_targetILNS1_3genE4ELNS1_11target_archE910ELNS1_3gpuE8ELNS1_3repE0EEENS1_30default_config_static_selectorELNS0_4arch9wavefront6targetE0EEEvSL_,comdat
	.globl	_ZN7rocprim17ROCPRIM_400000_NS6detail17trampoline_kernelINS0_14default_configENS1_36segmented_radix_sort_config_selectorI12hip_bfloat16lEEZNS1_25segmented_radix_sort_implIS3_Lb1EPKS5_PS5_PKlPlN2at6native12_GLOBAL__N_18offset_tEEE10hipError_tPvRmT1_PNSt15iterator_traitsISL_E10value_typeET2_T3_PNSM_ISR_E10value_typeET4_jRbjT5_SX_jjP12ihipStream_tbEUlT_E_NS1_11comp_targetILNS1_3genE4ELNS1_11target_archE910ELNS1_3gpuE8ELNS1_3repE0EEENS1_30default_config_static_selectorELNS0_4arch9wavefront6targetE0EEEvSL_ ; -- Begin function _ZN7rocprim17ROCPRIM_400000_NS6detail17trampoline_kernelINS0_14default_configENS1_36segmented_radix_sort_config_selectorI12hip_bfloat16lEEZNS1_25segmented_radix_sort_implIS3_Lb1EPKS5_PS5_PKlPlN2at6native12_GLOBAL__N_18offset_tEEE10hipError_tPvRmT1_PNSt15iterator_traitsISL_E10value_typeET2_T3_PNSM_ISR_E10value_typeET4_jRbjT5_SX_jjP12ihipStream_tbEUlT_E_NS1_11comp_targetILNS1_3genE4ELNS1_11target_archE910ELNS1_3gpuE8ELNS1_3repE0EEENS1_30default_config_static_selectorELNS0_4arch9wavefront6targetE0EEEvSL_
	.p2align	8
	.type	_ZN7rocprim17ROCPRIM_400000_NS6detail17trampoline_kernelINS0_14default_configENS1_36segmented_radix_sort_config_selectorI12hip_bfloat16lEEZNS1_25segmented_radix_sort_implIS3_Lb1EPKS5_PS5_PKlPlN2at6native12_GLOBAL__N_18offset_tEEE10hipError_tPvRmT1_PNSt15iterator_traitsISL_E10value_typeET2_T3_PNSM_ISR_E10value_typeET4_jRbjT5_SX_jjP12ihipStream_tbEUlT_E_NS1_11comp_targetILNS1_3genE4ELNS1_11target_archE910ELNS1_3gpuE8ELNS1_3repE0EEENS1_30default_config_static_selectorELNS0_4arch9wavefront6targetE0EEEvSL_,@function
_ZN7rocprim17ROCPRIM_400000_NS6detail17trampoline_kernelINS0_14default_configENS1_36segmented_radix_sort_config_selectorI12hip_bfloat16lEEZNS1_25segmented_radix_sort_implIS3_Lb1EPKS5_PS5_PKlPlN2at6native12_GLOBAL__N_18offset_tEEE10hipError_tPvRmT1_PNSt15iterator_traitsISL_E10value_typeET2_T3_PNSM_ISR_E10value_typeET4_jRbjT5_SX_jjP12ihipStream_tbEUlT_E_NS1_11comp_targetILNS1_3genE4ELNS1_11target_archE910ELNS1_3gpuE8ELNS1_3repE0EEENS1_30default_config_static_selectorELNS0_4arch9wavefront6targetE0EEEvSL_: ; @_ZN7rocprim17ROCPRIM_400000_NS6detail17trampoline_kernelINS0_14default_configENS1_36segmented_radix_sort_config_selectorI12hip_bfloat16lEEZNS1_25segmented_radix_sort_implIS3_Lb1EPKS5_PS5_PKlPlN2at6native12_GLOBAL__N_18offset_tEEE10hipError_tPvRmT1_PNSt15iterator_traitsISL_E10value_typeET2_T3_PNSM_ISR_E10value_typeET4_jRbjT5_SX_jjP12ihipStream_tbEUlT_E_NS1_11comp_targetILNS1_3genE4ELNS1_11target_archE910ELNS1_3gpuE8ELNS1_3repE0EEENS1_30default_config_static_selectorELNS0_4arch9wavefront6targetE0EEEvSL_
; %bb.0:
	.section	.rodata,"a",@progbits
	.p2align	6, 0x0
	.amdhsa_kernel _ZN7rocprim17ROCPRIM_400000_NS6detail17trampoline_kernelINS0_14default_configENS1_36segmented_radix_sort_config_selectorI12hip_bfloat16lEEZNS1_25segmented_radix_sort_implIS3_Lb1EPKS5_PS5_PKlPlN2at6native12_GLOBAL__N_18offset_tEEE10hipError_tPvRmT1_PNSt15iterator_traitsISL_E10value_typeET2_T3_PNSM_ISR_E10value_typeET4_jRbjT5_SX_jjP12ihipStream_tbEUlT_E_NS1_11comp_targetILNS1_3genE4ELNS1_11target_archE910ELNS1_3gpuE8ELNS1_3repE0EEENS1_30default_config_static_selectorELNS0_4arch9wavefront6targetE0EEEvSL_
		.amdhsa_group_segment_fixed_size 0
		.amdhsa_private_segment_fixed_size 0
		.amdhsa_kernarg_size 96
		.amdhsa_user_sgpr_count 15
		.amdhsa_user_sgpr_dispatch_ptr 0
		.amdhsa_user_sgpr_queue_ptr 0
		.amdhsa_user_sgpr_kernarg_segment_ptr 1
		.amdhsa_user_sgpr_dispatch_id 0
		.amdhsa_user_sgpr_private_segment_size 0
		.amdhsa_wavefront_size32 1
		.amdhsa_uses_dynamic_stack 0
		.amdhsa_enable_private_segment 0
		.amdhsa_system_sgpr_workgroup_id_x 1
		.amdhsa_system_sgpr_workgroup_id_y 0
		.amdhsa_system_sgpr_workgroup_id_z 0
		.amdhsa_system_sgpr_workgroup_info 0
		.amdhsa_system_vgpr_workitem_id 0
		.amdhsa_next_free_vgpr 1
		.amdhsa_next_free_sgpr 1
		.amdhsa_reserve_vcc 0
		.amdhsa_float_round_mode_32 0
		.amdhsa_float_round_mode_16_64 0
		.amdhsa_float_denorm_mode_32 3
		.amdhsa_float_denorm_mode_16_64 3
		.amdhsa_dx10_clamp 1
		.amdhsa_ieee_mode 1
		.amdhsa_fp16_overflow 0
		.amdhsa_workgroup_processor_mode 1
		.amdhsa_memory_ordered 1
		.amdhsa_forward_progress 0
		.amdhsa_shared_vgpr_count 0
		.amdhsa_exception_fp_ieee_invalid_op 0
		.amdhsa_exception_fp_denorm_src 0
		.amdhsa_exception_fp_ieee_div_zero 0
		.amdhsa_exception_fp_ieee_overflow 0
		.amdhsa_exception_fp_ieee_underflow 0
		.amdhsa_exception_fp_ieee_inexact 0
		.amdhsa_exception_int_div_zero 0
	.end_amdhsa_kernel
	.section	.text._ZN7rocprim17ROCPRIM_400000_NS6detail17trampoline_kernelINS0_14default_configENS1_36segmented_radix_sort_config_selectorI12hip_bfloat16lEEZNS1_25segmented_radix_sort_implIS3_Lb1EPKS5_PS5_PKlPlN2at6native12_GLOBAL__N_18offset_tEEE10hipError_tPvRmT1_PNSt15iterator_traitsISL_E10value_typeET2_T3_PNSM_ISR_E10value_typeET4_jRbjT5_SX_jjP12ihipStream_tbEUlT_E_NS1_11comp_targetILNS1_3genE4ELNS1_11target_archE910ELNS1_3gpuE8ELNS1_3repE0EEENS1_30default_config_static_selectorELNS0_4arch9wavefront6targetE0EEEvSL_,"axG",@progbits,_ZN7rocprim17ROCPRIM_400000_NS6detail17trampoline_kernelINS0_14default_configENS1_36segmented_radix_sort_config_selectorI12hip_bfloat16lEEZNS1_25segmented_radix_sort_implIS3_Lb1EPKS5_PS5_PKlPlN2at6native12_GLOBAL__N_18offset_tEEE10hipError_tPvRmT1_PNSt15iterator_traitsISL_E10value_typeET2_T3_PNSM_ISR_E10value_typeET4_jRbjT5_SX_jjP12ihipStream_tbEUlT_E_NS1_11comp_targetILNS1_3genE4ELNS1_11target_archE910ELNS1_3gpuE8ELNS1_3repE0EEENS1_30default_config_static_selectorELNS0_4arch9wavefront6targetE0EEEvSL_,comdat
.Lfunc_end1948:
	.size	_ZN7rocprim17ROCPRIM_400000_NS6detail17trampoline_kernelINS0_14default_configENS1_36segmented_radix_sort_config_selectorI12hip_bfloat16lEEZNS1_25segmented_radix_sort_implIS3_Lb1EPKS5_PS5_PKlPlN2at6native12_GLOBAL__N_18offset_tEEE10hipError_tPvRmT1_PNSt15iterator_traitsISL_E10value_typeET2_T3_PNSM_ISR_E10value_typeET4_jRbjT5_SX_jjP12ihipStream_tbEUlT_E_NS1_11comp_targetILNS1_3genE4ELNS1_11target_archE910ELNS1_3gpuE8ELNS1_3repE0EEENS1_30default_config_static_selectorELNS0_4arch9wavefront6targetE0EEEvSL_, .Lfunc_end1948-_ZN7rocprim17ROCPRIM_400000_NS6detail17trampoline_kernelINS0_14default_configENS1_36segmented_radix_sort_config_selectorI12hip_bfloat16lEEZNS1_25segmented_radix_sort_implIS3_Lb1EPKS5_PS5_PKlPlN2at6native12_GLOBAL__N_18offset_tEEE10hipError_tPvRmT1_PNSt15iterator_traitsISL_E10value_typeET2_T3_PNSM_ISR_E10value_typeET4_jRbjT5_SX_jjP12ihipStream_tbEUlT_E_NS1_11comp_targetILNS1_3genE4ELNS1_11target_archE910ELNS1_3gpuE8ELNS1_3repE0EEENS1_30default_config_static_selectorELNS0_4arch9wavefront6targetE0EEEvSL_
                                        ; -- End function
	.section	.AMDGPU.csdata,"",@progbits
; Kernel info:
; codeLenInByte = 0
; NumSgprs: 0
; NumVgprs: 0
; ScratchSize: 0
; MemoryBound: 0
; FloatMode: 240
; IeeeMode: 1
; LDSByteSize: 0 bytes/workgroup (compile time only)
; SGPRBlocks: 0
; VGPRBlocks: 0
; NumSGPRsForWavesPerEU: 1
; NumVGPRsForWavesPerEU: 1
; Occupancy: 16
; WaveLimiterHint : 0
; COMPUTE_PGM_RSRC2:SCRATCH_EN: 0
; COMPUTE_PGM_RSRC2:USER_SGPR: 15
; COMPUTE_PGM_RSRC2:TRAP_HANDLER: 0
; COMPUTE_PGM_RSRC2:TGID_X_EN: 1
; COMPUTE_PGM_RSRC2:TGID_Y_EN: 0
; COMPUTE_PGM_RSRC2:TGID_Z_EN: 0
; COMPUTE_PGM_RSRC2:TIDIG_COMP_CNT: 0
	.section	.text._ZN7rocprim17ROCPRIM_400000_NS6detail17trampoline_kernelINS0_14default_configENS1_36segmented_radix_sort_config_selectorI12hip_bfloat16lEEZNS1_25segmented_radix_sort_implIS3_Lb1EPKS5_PS5_PKlPlN2at6native12_GLOBAL__N_18offset_tEEE10hipError_tPvRmT1_PNSt15iterator_traitsISL_E10value_typeET2_T3_PNSM_ISR_E10value_typeET4_jRbjT5_SX_jjP12ihipStream_tbEUlT_E_NS1_11comp_targetILNS1_3genE3ELNS1_11target_archE908ELNS1_3gpuE7ELNS1_3repE0EEENS1_30default_config_static_selectorELNS0_4arch9wavefront6targetE0EEEvSL_,"axG",@progbits,_ZN7rocprim17ROCPRIM_400000_NS6detail17trampoline_kernelINS0_14default_configENS1_36segmented_radix_sort_config_selectorI12hip_bfloat16lEEZNS1_25segmented_radix_sort_implIS3_Lb1EPKS5_PS5_PKlPlN2at6native12_GLOBAL__N_18offset_tEEE10hipError_tPvRmT1_PNSt15iterator_traitsISL_E10value_typeET2_T3_PNSM_ISR_E10value_typeET4_jRbjT5_SX_jjP12ihipStream_tbEUlT_E_NS1_11comp_targetILNS1_3genE3ELNS1_11target_archE908ELNS1_3gpuE7ELNS1_3repE0EEENS1_30default_config_static_selectorELNS0_4arch9wavefront6targetE0EEEvSL_,comdat
	.globl	_ZN7rocprim17ROCPRIM_400000_NS6detail17trampoline_kernelINS0_14default_configENS1_36segmented_radix_sort_config_selectorI12hip_bfloat16lEEZNS1_25segmented_radix_sort_implIS3_Lb1EPKS5_PS5_PKlPlN2at6native12_GLOBAL__N_18offset_tEEE10hipError_tPvRmT1_PNSt15iterator_traitsISL_E10value_typeET2_T3_PNSM_ISR_E10value_typeET4_jRbjT5_SX_jjP12ihipStream_tbEUlT_E_NS1_11comp_targetILNS1_3genE3ELNS1_11target_archE908ELNS1_3gpuE7ELNS1_3repE0EEENS1_30default_config_static_selectorELNS0_4arch9wavefront6targetE0EEEvSL_ ; -- Begin function _ZN7rocprim17ROCPRIM_400000_NS6detail17trampoline_kernelINS0_14default_configENS1_36segmented_radix_sort_config_selectorI12hip_bfloat16lEEZNS1_25segmented_radix_sort_implIS3_Lb1EPKS5_PS5_PKlPlN2at6native12_GLOBAL__N_18offset_tEEE10hipError_tPvRmT1_PNSt15iterator_traitsISL_E10value_typeET2_T3_PNSM_ISR_E10value_typeET4_jRbjT5_SX_jjP12ihipStream_tbEUlT_E_NS1_11comp_targetILNS1_3genE3ELNS1_11target_archE908ELNS1_3gpuE7ELNS1_3repE0EEENS1_30default_config_static_selectorELNS0_4arch9wavefront6targetE0EEEvSL_
	.p2align	8
	.type	_ZN7rocprim17ROCPRIM_400000_NS6detail17trampoline_kernelINS0_14default_configENS1_36segmented_radix_sort_config_selectorI12hip_bfloat16lEEZNS1_25segmented_radix_sort_implIS3_Lb1EPKS5_PS5_PKlPlN2at6native12_GLOBAL__N_18offset_tEEE10hipError_tPvRmT1_PNSt15iterator_traitsISL_E10value_typeET2_T3_PNSM_ISR_E10value_typeET4_jRbjT5_SX_jjP12ihipStream_tbEUlT_E_NS1_11comp_targetILNS1_3genE3ELNS1_11target_archE908ELNS1_3gpuE7ELNS1_3repE0EEENS1_30default_config_static_selectorELNS0_4arch9wavefront6targetE0EEEvSL_,@function
_ZN7rocprim17ROCPRIM_400000_NS6detail17trampoline_kernelINS0_14default_configENS1_36segmented_radix_sort_config_selectorI12hip_bfloat16lEEZNS1_25segmented_radix_sort_implIS3_Lb1EPKS5_PS5_PKlPlN2at6native12_GLOBAL__N_18offset_tEEE10hipError_tPvRmT1_PNSt15iterator_traitsISL_E10value_typeET2_T3_PNSM_ISR_E10value_typeET4_jRbjT5_SX_jjP12ihipStream_tbEUlT_E_NS1_11comp_targetILNS1_3genE3ELNS1_11target_archE908ELNS1_3gpuE7ELNS1_3repE0EEENS1_30default_config_static_selectorELNS0_4arch9wavefront6targetE0EEEvSL_: ; @_ZN7rocprim17ROCPRIM_400000_NS6detail17trampoline_kernelINS0_14default_configENS1_36segmented_radix_sort_config_selectorI12hip_bfloat16lEEZNS1_25segmented_radix_sort_implIS3_Lb1EPKS5_PS5_PKlPlN2at6native12_GLOBAL__N_18offset_tEEE10hipError_tPvRmT1_PNSt15iterator_traitsISL_E10value_typeET2_T3_PNSM_ISR_E10value_typeET4_jRbjT5_SX_jjP12ihipStream_tbEUlT_E_NS1_11comp_targetILNS1_3genE3ELNS1_11target_archE908ELNS1_3gpuE7ELNS1_3repE0EEENS1_30default_config_static_selectorELNS0_4arch9wavefront6targetE0EEEvSL_
; %bb.0:
	.section	.rodata,"a",@progbits
	.p2align	6, 0x0
	.amdhsa_kernel _ZN7rocprim17ROCPRIM_400000_NS6detail17trampoline_kernelINS0_14default_configENS1_36segmented_radix_sort_config_selectorI12hip_bfloat16lEEZNS1_25segmented_radix_sort_implIS3_Lb1EPKS5_PS5_PKlPlN2at6native12_GLOBAL__N_18offset_tEEE10hipError_tPvRmT1_PNSt15iterator_traitsISL_E10value_typeET2_T3_PNSM_ISR_E10value_typeET4_jRbjT5_SX_jjP12ihipStream_tbEUlT_E_NS1_11comp_targetILNS1_3genE3ELNS1_11target_archE908ELNS1_3gpuE7ELNS1_3repE0EEENS1_30default_config_static_selectorELNS0_4arch9wavefront6targetE0EEEvSL_
		.amdhsa_group_segment_fixed_size 0
		.amdhsa_private_segment_fixed_size 0
		.amdhsa_kernarg_size 96
		.amdhsa_user_sgpr_count 15
		.amdhsa_user_sgpr_dispatch_ptr 0
		.amdhsa_user_sgpr_queue_ptr 0
		.amdhsa_user_sgpr_kernarg_segment_ptr 1
		.amdhsa_user_sgpr_dispatch_id 0
		.amdhsa_user_sgpr_private_segment_size 0
		.amdhsa_wavefront_size32 1
		.amdhsa_uses_dynamic_stack 0
		.amdhsa_enable_private_segment 0
		.amdhsa_system_sgpr_workgroup_id_x 1
		.amdhsa_system_sgpr_workgroup_id_y 0
		.amdhsa_system_sgpr_workgroup_id_z 0
		.amdhsa_system_sgpr_workgroup_info 0
		.amdhsa_system_vgpr_workitem_id 0
		.amdhsa_next_free_vgpr 1
		.amdhsa_next_free_sgpr 1
		.amdhsa_reserve_vcc 0
		.amdhsa_float_round_mode_32 0
		.amdhsa_float_round_mode_16_64 0
		.amdhsa_float_denorm_mode_32 3
		.amdhsa_float_denorm_mode_16_64 3
		.amdhsa_dx10_clamp 1
		.amdhsa_ieee_mode 1
		.amdhsa_fp16_overflow 0
		.amdhsa_workgroup_processor_mode 1
		.amdhsa_memory_ordered 1
		.amdhsa_forward_progress 0
		.amdhsa_shared_vgpr_count 0
		.amdhsa_exception_fp_ieee_invalid_op 0
		.amdhsa_exception_fp_denorm_src 0
		.amdhsa_exception_fp_ieee_div_zero 0
		.amdhsa_exception_fp_ieee_overflow 0
		.amdhsa_exception_fp_ieee_underflow 0
		.amdhsa_exception_fp_ieee_inexact 0
		.amdhsa_exception_int_div_zero 0
	.end_amdhsa_kernel
	.section	.text._ZN7rocprim17ROCPRIM_400000_NS6detail17trampoline_kernelINS0_14default_configENS1_36segmented_radix_sort_config_selectorI12hip_bfloat16lEEZNS1_25segmented_radix_sort_implIS3_Lb1EPKS5_PS5_PKlPlN2at6native12_GLOBAL__N_18offset_tEEE10hipError_tPvRmT1_PNSt15iterator_traitsISL_E10value_typeET2_T3_PNSM_ISR_E10value_typeET4_jRbjT5_SX_jjP12ihipStream_tbEUlT_E_NS1_11comp_targetILNS1_3genE3ELNS1_11target_archE908ELNS1_3gpuE7ELNS1_3repE0EEENS1_30default_config_static_selectorELNS0_4arch9wavefront6targetE0EEEvSL_,"axG",@progbits,_ZN7rocprim17ROCPRIM_400000_NS6detail17trampoline_kernelINS0_14default_configENS1_36segmented_radix_sort_config_selectorI12hip_bfloat16lEEZNS1_25segmented_radix_sort_implIS3_Lb1EPKS5_PS5_PKlPlN2at6native12_GLOBAL__N_18offset_tEEE10hipError_tPvRmT1_PNSt15iterator_traitsISL_E10value_typeET2_T3_PNSM_ISR_E10value_typeET4_jRbjT5_SX_jjP12ihipStream_tbEUlT_E_NS1_11comp_targetILNS1_3genE3ELNS1_11target_archE908ELNS1_3gpuE7ELNS1_3repE0EEENS1_30default_config_static_selectorELNS0_4arch9wavefront6targetE0EEEvSL_,comdat
.Lfunc_end1949:
	.size	_ZN7rocprim17ROCPRIM_400000_NS6detail17trampoline_kernelINS0_14default_configENS1_36segmented_radix_sort_config_selectorI12hip_bfloat16lEEZNS1_25segmented_radix_sort_implIS3_Lb1EPKS5_PS5_PKlPlN2at6native12_GLOBAL__N_18offset_tEEE10hipError_tPvRmT1_PNSt15iterator_traitsISL_E10value_typeET2_T3_PNSM_ISR_E10value_typeET4_jRbjT5_SX_jjP12ihipStream_tbEUlT_E_NS1_11comp_targetILNS1_3genE3ELNS1_11target_archE908ELNS1_3gpuE7ELNS1_3repE0EEENS1_30default_config_static_selectorELNS0_4arch9wavefront6targetE0EEEvSL_, .Lfunc_end1949-_ZN7rocprim17ROCPRIM_400000_NS6detail17trampoline_kernelINS0_14default_configENS1_36segmented_radix_sort_config_selectorI12hip_bfloat16lEEZNS1_25segmented_radix_sort_implIS3_Lb1EPKS5_PS5_PKlPlN2at6native12_GLOBAL__N_18offset_tEEE10hipError_tPvRmT1_PNSt15iterator_traitsISL_E10value_typeET2_T3_PNSM_ISR_E10value_typeET4_jRbjT5_SX_jjP12ihipStream_tbEUlT_E_NS1_11comp_targetILNS1_3genE3ELNS1_11target_archE908ELNS1_3gpuE7ELNS1_3repE0EEENS1_30default_config_static_selectorELNS0_4arch9wavefront6targetE0EEEvSL_
                                        ; -- End function
	.section	.AMDGPU.csdata,"",@progbits
; Kernel info:
; codeLenInByte = 0
; NumSgprs: 0
; NumVgprs: 0
; ScratchSize: 0
; MemoryBound: 0
; FloatMode: 240
; IeeeMode: 1
; LDSByteSize: 0 bytes/workgroup (compile time only)
; SGPRBlocks: 0
; VGPRBlocks: 0
; NumSGPRsForWavesPerEU: 1
; NumVGPRsForWavesPerEU: 1
; Occupancy: 16
; WaveLimiterHint : 0
; COMPUTE_PGM_RSRC2:SCRATCH_EN: 0
; COMPUTE_PGM_RSRC2:USER_SGPR: 15
; COMPUTE_PGM_RSRC2:TRAP_HANDLER: 0
; COMPUTE_PGM_RSRC2:TGID_X_EN: 1
; COMPUTE_PGM_RSRC2:TGID_Y_EN: 0
; COMPUTE_PGM_RSRC2:TGID_Z_EN: 0
; COMPUTE_PGM_RSRC2:TIDIG_COMP_CNT: 0
	.section	.text._ZN7rocprim17ROCPRIM_400000_NS6detail17trampoline_kernelINS0_14default_configENS1_36segmented_radix_sort_config_selectorI12hip_bfloat16lEEZNS1_25segmented_radix_sort_implIS3_Lb1EPKS5_PS5_PKlPlN2at6native12_GLOBAL__N_18offset_tEEE10hipError_tPvRmT1_PNSt15iterator_traitsISL_E10value_typeET2_T3_PNSM_ISR_E10value_typeET4_jRbjT5_SX_jjP12ihipStream_tbEUlT_E_NS1_11comp_targetILNS1_3genE2ELNS1_11target_archE906ELNS1_3gpuE6ELNS1_3repE0EEENS1_30default_config_static_selectorELNS0_4arch9wavefront6targetE0EEEvSL_,"axG",@progbits,_ZN7rocprim17ROCPRIM_400000_NS6detail17trampoline_kernelINS0_14default_configENS1_36segmented_radix_sort_config_selectorI12hip_bfloat16lEEZNS1_25segmented_radix_sort_implIS3_Lb1EPKS5_PS5_PKlPlN2at6native12_GLOBAL__N_18offset_tEEE10hipError_tPvRmT1_PNSt15iterator_traitsISL_E10value_typeET2_T3_PNSM_ISR_E10value_typeET4_jRbjT5_SX_jjP12ihipStream_tbEUlT_E_NS1_11comp_targetILNS1_3genE2ELNS1_11target_archE906ELNS1_3gpuE6ELNS1_3repE0EEENS1_30default_config_static_selectorELNS0_4arch9wavefront6targetE0EEEvSL_,comdat
	.globl	_ZN7rocprim17ROCPRIM_400000_NS6detail17trampoline_kernelINS0_14default_configENS1_36segmented_radix_sort_config_selectorI12hip_bfloat16lEEZNS1_25segmented_radix_sort_implIS3_Lb1EPKS5_PS5_PKlPlN2at6native12_GLOBAL__N_18offset_tEEE10hipError_tPvRmT1_PNSt15iterator_traitsISL_E10value_typeET2_T3_PNSM_ISR_E10value_typeET4_jRbjT5_SX_jjP12ihipStream_tbEUlT_E_NS1_11comp_targetILNS1_3genE2ELNS1_11target_archE906ELNS1_3gpuE6ELNS1_3repE0EEENS1_30default_config_static_selectorELNS0_4arch9wavefront6targetE0EEEvSL_ ; -- Begin function _ZN7rocprim17ROCPRIM_400000_NS6detail17trampoline_kernelINS0_14default_configENS1_36segmented_radix_sort_config_selectorI12hip_bfloat16lEEZNS1_25segmented_radix_sort_implIS3_Lb1EPKS5_PS5_PKlPlN2at6native12_GLOBAL__N_18offset_tEEE10hipError_tPvRmT1_PNSt15iterator_traitsISL_E10value_typeET2_T3_PNSM_ISR_E10value_typeET4_jRbjT5_SX_jjP12ihipStream_tbEUlT_E_NS1_11comp_targetILNS1_3genE2ELNS1_11target_archE906ELNS1_3gpuE6ELNS1_3repE0EEENS1_30default_config_static_selectorELNS0_4arch9wavefront6targetE0EEEvSL_
	.p2align	8
	.type	_ZN7rocprim17ROCPRIM_400000_NS6detail17trampoline_kernelINS0_14default_configENS1_36segmented_radix_sort_config_selectorI12hip_bfloat16lEEZNS1_25segmented_radix_sort_implIS3_Lb1EPKS5_PS5_PKlPlN2at6native12_GLOBAL__N_18offset_tEEE10hipError_tPvRmT1_PNSt15iterator_traitsISL_E10value_typeET2_T3_PNSM_ISR_E10value_typeET4_jRbjT5_SX_jjP12ihipStream_tbEUlT_E_NS1_11comp_targetILNS1_3genE2ELNS1_11target_archE906ELNS1_3gpuE6ELNS1_3repE0EEENS1_30default_config_static_selectorELNS0_4arch9wavefront6targetE0EEEvSL_,@function
_ZN7rocprim17ROCPRIM_400000_NS6detail17trampoline_kernelINS0_14default_configENS1_36segmented_radix_sort_config_selectorI12hip_bfloat16lEEZNS1_25segmented_radix_sort_implIS3_Lb1EPKS5_PS5_PKlPlN2at6native12_GLOBAL__N_18offset_tEEE10hipError_tPvRmT1_PNSt15iterator_traitsISL_E10value_typeET2_T3_PNSM_ISR_E10value_typeET4_jRbjT5_SX_jjP12ihipStream_tbEUlT_E_NS1_11comp_targetILNS1_3genE2ELNS1_11target_archE906ELNS1_3gpuE6ELNS1_3repE0EEENS1_30default_config_static_selectorELNS0_4arch9wavefront6targetE0EEEvSL_: ; @_ZN7rocprim17ROCPRIM_400000_NS6detail17trampoline_kernelINS0_14default_configENS1_36segmented_radix_sort_config_selectorI12hip_bfloat16lEEZNS1_25segmented_radix_sort_implIS3_Lb1EPKS5_PS5_PKlPlN2at6native12_GLOBAL__N_18offset_tEEE10hipError_tPvRmT1_PNSt15iterator_traitsISL_E10value_typeET2_T3_PNSM_ISR_E10value_typeET4_jRbjT5_SX_jjP12ihipStream_tbEUlT_E_NS1_11comp_targetILNS1_3genE2ELNS1_11target_archE906ELNS1_3gpuE6ELNS1_3repE0EEENS1_30default_config_static_selectorELNS0_4arch9wavefront6targetE0EEEvSL_
; %bb.0:
	.section	.rodata,"a",@progbits
	.p2align	6, 0x0
	.amdhsa_kernel _ZN7rocprim17ROCPRIM_400000_NS6detail17trampoline_kernelINS0_14default_configENS1_36segmented_radix_sort_config_selectorI12hip_bfloat16lEEZNS1_25segmented_radix_sort_implIS3_Lb1EPKS5_PS5_PKlPlN2at6native12_GLOBAL__N_18offset_tEEE10hipError_tPvRmT1_PNSt15iterator_traitsISL_E10value_typeET2_T3_PNSM_ISR_E10value_typeET4_jRbjT5_SX_jjP12ihipStream_tbEUlT_E_NS1_11comp_targetILNS1_3genE2ELNS1_11target_archE906ELNS1_3gpuE6ELNS1_3repE0EEENS1_30default_config_static_selectorELNS0_4arch9wavefront6targetE0EEEvSL_
		.amdhsa_group_segment_fixed_size 0
		.amdhsa_private_segment_fixed_size 0
		.amdhsa_kernarg_size 96
		.amdhsa_user_sgpr_count 15
		.amdhsa_user_sgpr_dispatch_ptr 0
		.amdhsa_user_sgpr_queue_ptr 0
		.amdhsa_user_sgpr_kernarg_segment_ptr 1
		.amdhsa_user_sgpr_dispatch_id 0
		.amdhsa_user_sgpr_private_segment_size 0
		.amdhsa_wavefront_size32 1
		.amdhsa_uses_dynamic_stack 0
		.amdhsa_enable_private_segment 0
		.amdhsa_system_sgpr_workgroup_id_x 1
		.amdhsa_system_sgpr_workgroup_id_y 0
		.amdhsa_system_sgpr_workgroup_id_z 0
		.amdhsa_system_sgpr_workgroup_info 0
		.amdhsa_system_vgpr_workitem_id 0
		.amdhsa_next_free_vgpr 1
		.amdhsa_next_free_sgpr 1
		.amdhsa_reserve_vcc 0
		.amdhsa_float_round_mode_32 0
		.amdhsa_float_round_mode_16_64 0
		.amdhsa_float_denorm_mode_32 3
		.amdhsa_float_denorm_mode_16_64 3
		.amdhsa_dx10_clamp 1
		.amdhsa_ieee_mode 1
		.amdhsa_fp16_overflow 0
		.amdhsa_workgroup_processor_mode 1
		.amdhsa_memory_ordered 1
		.amdhsa_forward_progress 0
		.amdhsa_shared_vgpr_count 0
		.amdhsa_exception_fp_ieee_invalid_op 0
		.amdhsa_exception_fp_denorm_src 0
		.amdhsa_exception_fp_ieee_div_zero 0
		.amdhsa_exception_fp_ieee_overflow 0
		.amdhsa_exception_fp_ieee_underflow 0
		.amdhsa_exception_fp_ieee_inexact 0
		.amdhsa_exception_int_div_zero 0
	.end_amdhsa_kernel
	.section	.text._ZN7rocprim17ROCPRIM_400000_NS6detail17trampoline_kernelINS0_14default_configENS1_36segmented_radix_sort_config_selectorI12hip_bfloat16lEEZNS1_25segmented_radix_sort_implIS3_Lb1EPKS5_PS5_PKlPlN2at6native12_GLOBAL__N_18offset_tEEE10hipError_tPvRmT1_PNSt15iterator_traitsISL_E10value_typeET2_T3_PNSM_ISR_E10value_typeET4_jRbjT5_SX_jjP12ihipStream_tbEUlT_E_NS1_11comp_targetILNS1_3genE2ELNS1_11target_archE906ELNS1_3gpuE6ELNS1_3repE0EEENS1_30default_config_static_selectorELNS0_4arch9wavefront6targetE0EEEvSL_,"axG",@progbits,_ZN7rocprim17ROCPRIM_400000_NS6detail17trampoline_kernelINS0_14default_configENS1_36segmented_radix_sort_config_selectorI12hip_bfloat16lEEZNS1_25segmented_radix_sort_implIS3_Lb1EPKS5_PS5_PKlPlN2at6native12_GLOBAL__N_18offset_tEEE10hipError_tPvRmT1_PNSt15iterator_traitsISL_E10value_typeET2_T3_PNSM_ISR_E10value_typeET4_jRbjT5_SX_jjP12ihipStream_tbEUlT_E_NS1_11comp_targetILNS1_3genE2ELNS1_11target_archE906ELNS1_3gpuE6ELNS1_3repE0EEENS1_30default_config_static_selectorELNS0_4arch9wavefront6targetE0EEEvSL_,comdat
.Lfunc_end1950:
	.size	_ZN7rocprim17ROCPRIM_400000_NS6detail17trampoline_kernelINS0_14default_configENS1_36segmented_radix_sort_config_selectorI12hip_bfloat16lEEZNS1_25segmented_radix_sort_implIS3_Lb1EPKS5_PS5_PKlPlN2at6native12_GLOBAL__N_18offset_tEEE10hipError_tPvRmT1_PNSt15iterator_traitsISL_E10value_typeET2_T3_PNSM_ISR_E10value_typeET4_jRbjT5_SX_jjP12ihipStream_tbEUlT_E_NS1_11comp_targetILNS1_3genE2ELNS1_11target_archE906ELNS1_3gpuE6ELNS1_3repE0EEENS1_30default_config_static_selectorELNS0_4arch9wavefront6targetE0EEEvSL_, .Lfunc_end1950-_ZN7rocprim17ROCPRIM_400000_NS6detail17trampoline_kernelINS0_14default_configENS1_36segmented_radix_sort_config_selectorI12hip_bfloat16lEEZNS1_25segmented_radix_sort_implIS3_Lb1EPKS5_PS5_PKlPlN2at6native12_GLOBAL__N_18offset_tEEE10hipError_tPvRmT1_PNSt15iterator_traitsISL_E10value_typeET2_T3_PNSM_ISR_E10value_typeET4_jRbjT5_SX_jjP12ihipStream_tbEUlT_E_NS1_11comp_targetILNS1_3genE2ELNS1_11target_archE906ELNS1_3gpuE6ELNS1_3repE0EEENS1_30default_config_static_selectorELNS0_4arch9wavefront6targetE0EEEvSL_
                                        ; -- End function
	.section	.AMDGPU.csdata,"",@progbits
; Kernel info:
; codeLenInByte = 0
; NumSgprs: 0
; NumVgprs: 0
; ScratchSize: 0
; MemoryBound: 0
; FloatMode: 240
; IeeeMode: 1
; LDSByteSize: 0 bytes/workgroup (compile time only)
; SGPRBlocks: 0
; VGPRBlocks: 0
; NumSGPRsForWavesPerEU: 1
; NumVGPRsForWavesPerEU: 1
; Occupancy: 16
; WaveLimiterHint : 0
; COMPUTE_PGM_RSRC2:SCRATCH_EN: 0
; COMPUTE_PGM_RSRC2:USER_SGPR: 15
; COMPUTE_PGM_RSRC2:TRAP_HANDLER: 0
; COMPUTE_PGM_RSRC2:TGID_X_EN: 1
; COMPUTE_PGM_RSRC2:TGID_Y_EN: 0
; COMPUTE_PGM_RSRC2:TGID_Z_EN: 0
; COMPUTE_PGM_RSRC2:TIDIG_COMP_CNT: 0
	.section	.text._ZN7rocprim17ROCPRIM_400000_NS6detail17trampoline_kernelINS0_14default_configENS1_36segmented_radix_sort_config_selectorI12hip_bfloat16lEEZNS1_25segmented_radix_sort_implIS3_Lb1EPKS5_PS5_PKlPlN2at6native12_GLOBAL__N_18offset_tEEE10hipError_tPvRmT1_PNSt15iterator_traitsISL_E10value_typeET2_T3_PNSM_ISR_E10value_typeET4_jRbjT5_SX_jjP12ihipStream_tbEUlT_E_NS1_11comp_targetILNS1_3genE10ELNS1_11target_archE1201ELNS1_3gpuE5ELNS1_3repE0EEENS1_30default_config_static_selectorELNS0_4arch9wavefront6targetE0EEEvSL_,"axG",@progbits,_ZN7rocprim17ROCPRIM_400000_NS6detail17trampoline_kernelINS0_14default_configENS1_36segmented_radix_sort_config_selectorI12hip_bfloat16lEEZNS1_25segmented_radix_sort_implIS3_Lb1EPKS5_PS5_PKlPlN2at6native12_GLOBAL__N_18offset_tEEE10hipError_tPvRmT1_PNSt15iterator_traitsISL_E10value_typeET2_T3_PNSM_ISR_E10value_typeET4_jRbjT5_SX_jjP12ihipStream_tbEUlT_E_NS1_11comp_targetILNS1_3genE10ELNS1_11target_archE1201ELNS1_3gpuE5ELNS1_3repE0EEENS1_30default_config_static_selectorELNS0_4arch9wavefront6targetE0EEEvSL_,comdat
	.globl	_ZN7rocprim17ROCPRIM_400000_NS6detail17trampoline_kernelINS0_14default_configENS1_36segmented_radix_sort_config_selectorI12hip_bfloat16lEEZNS1_25segmented_radix_sort_implIS3_Lb1EPKS5_PS5_PKlPlN2at6native12_GLOBAL__N_18offset_tEEE10hipError_tPvRmT1_PNSt15iterator_traitsISL_E10value_typeET2_T3_PNSM_ISR_E10value_typeET4_jRbjT5_SX_jjP12ihipStream_tbEUlT_E_NS1_11comp_targetILNS1_3genE10ELNS1_11target_archE1201ELNS1_3gpuE5ELNS1_3repE0EEENS1_30default_config_static_selectorELNS0_4arch9wavefront6targetE0EEEvSL_ ; -- Begin function _ZN7rocprim17ROCPRIM_400000_NS6detail17trampoline_kernelINS0_14default_configENS1_36segmented_radix_sort_config_selectorI12hip_bfloat16lEEZNS1_25segmented_radix_sort_implIS3_Lb1EPKS5_PS5_PKlPlN2at6native12_GLOBAL__N_18offset_tEEE10hipError_tPvRmT1_PNSt15iterator_traitsISL_E10value_typeET2_T3_PNSM_ISR_E10value_typeET4_jRbjT5_SX_jjP12ihipStream_tbEUlT_E_NS1_11comp_targetILNS1_3genE10ELNS1_11target_archE1201ELNS1_3gpuE5ELNS1_3repE0EEENS1_30default_config_static_selectorELNS0_4arch9wavefront6targetE0EEEvSL_
	.p2align	8
	.type	_ZN7rocprim17ROCPRIM_400000_NS6detail17trampoline_kernelINS0_14default_configENS1_36segmented_radix_sort_config_selectorI12hip_bfloat16lEEZNS1_25segmented_radix_sort_implIS3_Lb1EPKS5_PS5_PKlPlN2at6native12_GLOBAL__N_18offset_tEEE10hipError_tPvRmT1_PNSt15iterator_traitsISL_E10value_typeET2_T3_PNSM_ISR_E10value_typeET4_jRbjT5_SX_jjP12ihipStream_tbEUlT_E_NS1_11comp_targetILNS1_3genE10ELNS1_11target_archE1201ELNS1_3gpuE5ELNS1_3repE0EEENS1_30default_config_static_selectorELNS0_4arch9wavefront6targetE0EEEvSL_,@function
_ZN7rocprim17ROCPRIM_400000_NS6detail17trampoline_kernelINS0_14default_configENS1_36segmented_radix_sort_config_selectorI12hip_bfloat16lEEZNS1_25segmented_radix_sort_implIS3_Lb1EPKS5_PS5_PKlPlN2at6native12_GLOBAL__N_18offset_tEEE10hipError_tPvRmT1_PNSt15iterator_traitsISL_E10value_typeET2_T3_PNSM_ISR_E10value_typeET4_jRbjT5_SX_jjP12ihipStream_tbEUlT_E_NS1_11comp_targetILNS1_3genE10ELNS1_11target_archE1201ELNS1_3gpuE5ELNS1_3repE0EEENS1_30default_config_static_selectorELNS0_4arch9wavefront6targetE0EEEvSL_: ; @_ZN7rocprim17ROCPRIM_400000_NS6detail17trampoline_kernelINS0_14default_configENS1_36segmented_radix_sort_config_selectorI12hip_bfloat16lEEZNS1_25segmented_radix_sort_implIS3_Lb1EPKS5_PS5_PKlPlN2at6native12_GLOBAL__N_18offset_tEEE10hipError_tPvRmT1_PNSt15iterator_traitsISL_E10value_typeET2_T3_PNSM_ISR_E10value_typeET4_jRbjT5_SX_jjP12ihipStream_tbEUlT_E_NS1_11comp_targetILNS1_3genE10ELNS1_11target_archE1201ELNS1_3gpuE5ELNS1_3repE0EEENS1_30default_config_static_selectorELNS0_4arch9wavefront6targetE0EEEvSL_
; %bb.0:
	.section	.rodata,"a",@progbits
	.p2align	6, 0x0
	.amdhsa_kernel _ZN7rocprim17ROCPRIM_400000_NS6detail17trampoline_kernelINS0_14default_configENS1_36segmented_radix_sort_config_selectorI12hip_bfloat16lEEZNS1_25segmented_radix_sort_implIS3_Lb1EPKS5_PS5_PKlPlN2at6native12_GLOBAL__N_18offset_tEEE10hipError_tPvRmT1_PNSt15iterator_traitsISL_E10value_typeET2_T3_PNSM_ISR_E10value_typeET4_jRbjT5_SX_jjP12ihipStream_tbEUlT_E_NS1_11comp_targetILNS1_3genE10ELNS1_11target_archE1201ELNS1_3gpuE5ELNS1_3repE0EEENS1_30default_config_static_selectorELNS0_4arch9wavefront6targetE0EEEvSL_
		.amdhsa_group_segment_fixed_size 0
		.amdhsa_private_segment_fixed_size 0
		.amdhsa_kernarg_size 96
		.amdhsa_user_sgpr_count 15
		.amdhsa_user_sgpr_dispatch_ptr 0
		.amdhsa_user_sgpr_queue_ptr 0
		.amdhsa_user_sgpr_kernarg_segment_ptr 1
		.amdhsa_user_sgpr_dispatch_id 0
		.amdhsa_user_sgpr_private_segment_size 0
		.amdhsa_wavefront_size32 1
		.amdhsa_uses_dynamic_stack 0
		.amdhsa_enable_private_segment 0
		.amdhsa_system_sgpr_workgroup_id_x 1
		.amdhsa_system_sgpr_workgroup_id_y 0
		.amdhsa_system_sgpr_workgroup_id_z 0
		.amdhsa_system_sgpr_workgroup_info 0
		.amdhsa_system_vgpr_workitem_id 0
		.amdhsa_next_free_vgpr 1
		.amdhsa_next_free_sgpr 1
		.amdhsa_reserve_vcc 0
		.amdhsa_float_round_mode_32 0
		.amdhsa_float_round_mode_16_64 0
		.amdhsa_float_denorm_mode_32 3
		.amdhsa_float_denorm_mode_16_64 3
		.amdhsa_dx10_clamp 1
		.amdhsa_ieee_mode 1
		.amdhsa_fp16_overflow 0
		.amdhsa_workgroup_processor_mode 1
		.amdhsa_memory_ordered 1
		.amdhsa_forward_progress 0
		.amdhsa_shared_vgpr_count 0
		.amdhsa_exception_fp_ieee_invalid_op 0
		.amdhsa_exception_fp_denorm_src 0
		.amdhsa_exception_fp_ieee_div_zero 0
		.amdhsa_exception_fp_ieee_overflow 0
		.amdhsa_exception_fp_ieee_underflow 0
		.amdhsa_exception_fp_ieee_inexact 0
		.amdhsa_exception_int_div_zero 0
	.end_amdhsa_kernel
	.section	.text._ZN7rocprim17ROCPRIM_400000_NS6detail17trampoline_kernelINS0_14default_configENS1_36segmented_radix_sort_config_selectorI12hip_bfloat16lEEZNS1_25segmented_radix_sort_implIS3_Lb1EPKS5_PS5_PKlPlN2at6native12_GLOBAL__N_18offset_tEEE10hipError_tPvRmT1_PNSt15iterator_traitsISL_E10value_typeET2_T3_PNSM_ISR_E10value_typeET4_jRbjT5_SX_jjP12ihipStream_tbEUlT_E_NS1_11comp_targetILNS1_3genE10ELNS1_11target_archE1201ELNS1_3gpuE5ELNS1_3repE0EEENS1_30default_config_static_selectorELNS0_4arch9wavefront6targetE0EEEvSL_,"axG",@progbits,_ZN7rocprim17ROCPRIM_400000_NS6detail17trampoline_kernelINS0_14default_configENS1_36segmented_radix_sort_config_selectorI12hip_bfloat16lEEZNS1_25segmented_radix_sort_implIS3_Lb1EPKS5_PS5_PKlPlN2at6native12_GLOBAL__N_18offset_tEEE10hipError_tPvRmT1_PNSt15iterator_traitsISL_E10value_typeET2_T3_PNSM_ISR_E10value_typeET4_jRbjT5_SX_jjP12ihipStream_tbEUlT_E_NS1_11comp_targetILNS1_3genE10ELNS1_11target_archE1201ELNS1_3gpuE5ELNS1_3repE0EEENS1_30default_config_static_selectorELNS0_4arch9wavefront6targetE0EEEvSL_,comdat
.Lfunc_end1951:
	.size	_ZN7rocprim17ROCPRIM_400000_NS6detail17trampoline_kernelINS0_14default_configENS1_36segmented_radix_sort_config_selectorI12hip_bfloat16lEEZNS1_25segmented_radix_sort_implIS3_Lb1EPKS5_PS5_PKlPlN2at6native12_GLOBAL__N_18offset_tEEE10hipError_tPvRmT1_PNSt15iterator_traitsISL_E10value_typeET2_T3_PNSM_ISR_E10value_typeET4_jRbjT5_SX_jjP12ihipStream_tbEUlT_E_NS1_11comp_targetILNS1_3genE10ELNS1_11target_archE1201ELNS1_3gpuE5ELNS1_3repE0EEENS1_30default_config_static_selectorELNS0_4arch9wavefront6targetE0EEEvSL_, .Lfunc_end1951-_ZN7rocprim17ROCPRIM_400000_NS6detail17trampoline_kernelINS0_14default_configENS1_36segmented_radix_sort_config_selectorI12hip_bfloat16lEEZNS1_25segmented_radix_sort_implIS3_Lb1EPKS5_PS5_PKlPlN2at6native12_GLOBAL__N_18offset_tEEE10hipError_tPvRmT1_PNSt15iterator_traitsISL_E10value_typeET2_T3_PNSM_ISR_E10value_typeET4_jRbjT5_SX_jjP12ihipStream_tbEUlT_E_NS1_11comp_targetILNS1_3genE10ELNS1_11target_archE1201ELNS1_3gpuE5ELNS1_3repE0EEENS1_30default_config_static_selectorELNS0_4arch9wavefront6targetE0EEEvSL_
                                        ; -- End function
	.section	.AMDGPU.csdata,"",@progbits
; Kernel info:
; codeLenInByte = 0
; NumSgprs: 0
; NumVgprs: 0
; ScratchSize: 0
; MemoryBound: 0
; FloatMode: 240
; IeeeMode: 1
; LDSByteSize: 0 bytes/workgroup (compile time only)
; SGPRBlocks: 0
; VGPRBlocks: 0
; NumSGPRsForWavesPerEU: 1
; NumVGPRsForWavesPerEU: 1
; Occupancy: 16
; WaveLimiterHint : 0
; COMPUTE_PGM_RSRC2:SCRATCH_EN: 0
; COMPUTE_PGM_RSRC2:USER_SGPR: 15
; COMPUTE_PGM_RSRC2:TRAP_HANDLER: 0
; COMPUTE_PGM_RSRC2:TGID_X_EN: 1
; COMPUTE_PGM_RSRC2:TGID_Y_EN: 0
; COMPUTE_PGM_RSRC2:TGID_Z_EN: 0
; COMPUTE_PGM_RSRC2:TIDIG_COMP_CNT: 0
	.section	.text._ZN7rocprim17ROCPRIM_400000_NS6detail17trampoline_kernelINS0_14default_configENS1_36segmented_radix_sort_config_selectorI12hip_bfloat16lEEZNS1_25segmented_radix_sort_implIS3_Lb1EPKS5_PS5_PKlPlN2at6native12_GLOBAL__N_18offset_tEEE10hipError_tPvRmT1_PNSt15iterator_traitsISL_E10value_typeET2_T3_PNSM_ISR_E10value_typeET4_jRbjT5_SX_jjP12ihipStream_tbEUlT_E_NS1_11comp_targetILNS1_3genE10ELNS1_11target_archE1200ELNS1_3gpuE4ELNS1_3repE0EEENS1_30default_config_static_selectorELNS0_4arch9wavefront6targetE0EEEvSL_,"axG",@progbits,_ZN7rocprim17ROCPRIM_400000_NS6detail17trampoline_kernelINS0_14default_configENS1_36segmented_radix_sort_config_selectorI12hip_bfloat16lEEZNS1_25segmented_radix_sort_implIS3_Lb1EPKS5_PS5_PKlPlN2at6native12_GLOBAL__N_18offset_tEEE10hipError_tPvRmT1_PNSt15iterator_traitsISL_E10value_typeET2_T3_PNSM_ISR_E10value_typeET4_jRbjT5_SX_jjP12ihipStream_tbEUlT_E_NS1_11comp_targetILNS1_3genE10ELNS1_11target_archE1200ELNS1_3gpuE4ELNS1_3repE0EEENS1_30default_config_static_selectorELNS0_4arch9wavefront6targetE0EEEvSL_,comdat
	.globl	_ZN7rocprim17ROCPRIM_400000_NS6detail17trampoline_kernelINS0_14default_configENS1_36segmented_radix_sort_config_selectorI12hip_bfloat16lEEZNS1_25segmented_radix_sort_implIS3_Lb1EPKS5_PS5_PKlPlN2at6native12_GLOBAL__N_18offset_tEEE10hipError_tPvRmT1_PNSt15iterator_traitsISL_E10value_typeET2_T3_PNSM_ISR_E10value_typeET4_jRbjT5_SX_jjP12ihipStream_tbEUlT_E_NS1_11comp_targetILNS1_3genE10ELNS1_11target_archE1200ELNS1_3gpuE4ELNS1_3repE0EEENS1_30default_config_static_selectorELNS0_4arch9wavefront6targetE0EEEvSL_ ; -- Begin function _ZN7rocprim17ROCPRIM_400000_NS6detail17trampoline_kernelINS0_14default_configENS1_36segmented_radix_sort_config_selectorI12hip_bfloat16lEEZNS1_25segmented_radix_sort_implIS3_Lb1EPKS5_PS5_PKlPlN2at6native12_GLOBAL__N_18offset_tEEE10hipError_tPvRmT1_PNSt15iterator_traitsISL_E10value_typeET2_T3_PNSM_ISR_E10value_typeET4_jRbjT5_SX_jjP12ihipStream_tbEUlT_E_NS1_11comp_targetILNS1_3genE10ELNS1_11target_archE1200ELNS1_3gpuE4ELNS1_3repE0EEENS1_30default_config_static_selectorELNS0_4arch9wavefront6targetE0EEEvSL_
	.p2align	8
	.type	_ZN7rocprim17ROCPRIM_400000_NS6detail17trampoline_kernelINS0_14default_configENS1_36segmented_radix_sort_config_selectorI12hip_bfloat16lEEZNS1_25segmented_radix_sort_implIS3_Lb1EPKS5_PS5_PKlPlN2at6native12_GLOBAL__N_18offset_tEEE10hipError_tPvRmT1_PNSt15iterator_traitsISL_E10value_typeET2_T3_PNSM_ISR_E10value_typeET4_jRbjT5_SX_jjP12ihipStream_tbEUlT_E_NS1_11comp_targetILNS1_3genE10ELNS1_11target_archE1200ELNS1_3gpuE4ELNS1_3repE0EEENS1_30default_config_static_selectorELNS0_4arch9wavefront6targetE0EEEvSL_,@function
_ZN7rocprim17ROCPRIM_400000_NS6detail17trampoline_kernelINS0_14default_configENS1_36segmented_radix_sort_config_selectorI12hip_bfloat16lEEZNS1_25segmented_radix_sort_implIS3_Lb1EPKS5_PS5_PKlPlN2at6native12_GLOBAL__N_18offset_tEEE10hipError_tPvRmT1_PNSt15iterator_traitsISL_E10value_typeET2_T3_PNSM_ISR_E10value_typeET4_jRbjT5_SX_jjP12ihipStream_tbEUlT_E_NS1_11comp_targetILNS1_3genE10ELNS1_11target_archE1200ELNS1_3gpuE4ELNS1_3repE0EEENS1_30default_config_static_selectorELNS0_4arch9wavefront6targetE0EEEvSL_: ; @_ZN7rocprim17ROCPRIM_400000_NS6detail17trampoline_kernelINS0_14default_configENS1_36segmented_radix_sort_config_selectorI12hip_bfloat16lEEZNS1_25segmented_radix_sort_implIS3_Lb1EPKS5_PS5_PKlPlN2at6native12_GLOBAL__N_18offset_tEEE10hipError_tPvRmT1_PNSt15iterator_traitsISL_E10value_typeET2_T3_PNSM_ISR_E10value_typeET4_jRbjT5_SX_jjP12ihipStream_tbEUlT_E_NS1_11comp_targetILNS1_3genE10ELNS1_11target_archE1200ELNS1_3gpuE4ELNS1_3repE0EEENS1_30default_config_static_selectorELNS0_4arch9wavefront6targetE0EEEvSL_
; %bb.0:
	.section	.rodata,"a",@progbits
	.p2align	6, 0x0
	.amdhsa_kernel _ZN7rocprim17ROCPRIM_400000_NS6detail17trampoline_kernelINS0_14default_configENS1_36segmented_radix_sort_config_selectorI12hip_bfloat16lEEZNS1_25segmented_radix_sort_implIS3_Lb1EPKS5_PS5_PKlPlN2at6native12_GLOBAL__N_18offset_tEEE10hipError_tPvRmT1_PNSt15iterator_traitsISL_E10value_typeET2_T3_PNSM_ISR_E10value_typeET4_jRbjT5_SX_jjP12ihipStream_tbEUlT_E_NS1_11comp_targetILNS1_3genE10ELNS1_11target_archE1200ELNS1_3gpuE4ELNS1_3repE0EEENS1_30default_config_static_selectorELNS0_4arch9wavefront6targetE0EEEvSL_
		.amdhsa_group_segment_fixed_size 0
		.amdhsa_private_segment_fixed_size 0
		.amdhsa_kernarg_size 96
		.amdhsa_user_sgpr_count 15
		.amdhsa_user_sgpr_dispatch_ptr 0
		.amdhsa_user_sgpr_queue_ptr 0
		.amdhsa_user_sgpr_kernarg_segment_ptr 1
		.amdhsa_user_sgpr_dispatch_id 0
		.amdhsa_user_sgpr_private_segment_size 0
		.amdhsa_wavefront_size32 1
		.amdhsa_uses_dynamic_stack 0
		.amdhsa_enable_private_segment 0
		.amdhsa_system_sgpr_workgroup_id_x 1
		.amdhsa_system_sgpr_workgroup_id_y 0
		.amdhsa_system_sgpr_workgroup_id_z 0
		.amdhsa_system_sgpr_workgroup_info 0
		.amdhsa_system_vgpr_workitem_id 0
		.amdhsa_next_free_vgpr 1
		.amdhsa_next_free_sgpr 1
		.amdhsa_reserve_vcc 0
		.amdhsa_float_round_mode_32 0
		.amdhsa_float_round_mode_16_64 0
		.amdhsa_float_denorm_mode_32 3
		.amdhsa_float_denorm_mode_16_64 3
		.amdhsa_dx10_clamp 1
		.amdhsa_ieee_mode 1
		.amdhsa_fp16_overflow 0
		.amdhsa_workgroup_processor_mode 1
		.amdhsa_memory_ordered 1
		.amdhsa_forward_progress 0
		.amdhsa_shared_vgpr_count 0
		.amdhsa_exception_fp_ieee_invalid_op 0
		.amdhsa_exception_fp_denorm_src 0
		.amdhsa_exception_fp_ieee_div_zero 0
		.amdhsa_exception_fp_ieee_overflow 0
		.amdhsa_exception_fp_ieee_underflow 0
		.amdhsa_exception_fp_ieee_inexact 0
		.amdhsa_exception_int_div_zero 0
	.end_amdhsa_kernel
	.section	.text._ZN7rocprim17ROCPRIM_400000_NS6detail17trampoline_kernelINS0_14default_configENS1_36segmented_radix_sort_config_selectorI12hip_bfloat16lEEZNS1_25segmented_radix_sort_implIS3_Lb1EPKS5_PS5_PKlPlN2at6native12_GLOBAL__N_18offset_tEEE10hipError_tPvRmT1_PNSt15iterator_traitsISL_E10value_typeET2_T3_PNSM_ISR_E10value_typeET4_jRbjT5_SX_jjP12ihipStream_tbEUlT_E_NS1_11comp_targetILNS1_3genE10ELNS1_11target_archE1200ELNS1_3gpuE4ELNS1_3repE0EEENS1_30default_config_static_selectorELNS0_4arch9wavefront6targetE0EEEvSL_,"axG",@progbits,_ZN7rocprim17ROCPRIM_400000_NS6detail17trampoline_kernelINS0_14default_configENS1_36segmented_radix_sort_config_selectorI12hip_bfloat16lEEZNS1_25segmented_radix_sort_implIS3_Lb1EPKS5_PS5_PKlPlN2at6native12_GLOBAL__N_18offset_tEEE10hipError_tPvRmT1_PNSt15iterator_traitsISL_E10value_typeET2_T3_PNSM_ISR_E10value_typeET4_jRbjT5_SX_jjP12ihipStream_tbEUlT_E_NS1_11comp_targetILNS1_3genE10ELNS1_11target_archE1200ELNS1_3gpuE4ELNS1_3repE0EEENS1_30default_config_static_selectorELNS0_4arch9wavefront6targetE0EEEvSL_,comdat
.Lfunc_end1952:
	.size	_ZN7rocprim17ROCPRIM_400000_NS6detail17trampoline_kernelINS0_14default_configENS1_36segmented_radix_sort_config_selectorI12hip_bfloat16lEEZNS1_25segmented_radix_sort_implIS3_Lb1EPKS5_PS5_PKlPlN2at6native12_GLOBAL__N_18offset_tEEE10hipError_tPvRmT1_PNSt15iterator_traitsISL_E10value_typeET2_T3_PNSM_ISR_E10value_typeET4_jRbjT5_SX_jjP12ihipStream_tbEUlT_E_NS1_11comp_targetILNS1_3genE10ELNS1_11target_archE1200ELNS1_3gpuE4ELNS1_3repE0EEENS1_30default_config_static_selectorELNS0_4arch9wavefront6targetE0EEEvSL_, .Lfunc_end1952-_ZN7rocprim17ROCPRIM_400000_NS6detail17trampoline_kernelINS0_14default_configENS1_36segmented_radix_sort_config_selectorI12hip_bfloat16lEEZNS1_25segmented_radix_sort_implIS3_Lb1EPKS5_PS5_PKlPlN2at6native12_GLOBAL__N_18offset_tEEE10hipError_tPvRmT1_PNSt15iterator_traitsISL_E10value_typeET2_T3_PNSM_ISR_E10value_typeET4_jRbjT5_SX_jjP12ihipStream_tbEUlT_E_NS1_11comp_targetILNS1_3genE10ELNS1_11target_archE1200ELNS1_3gpuE4ELNS1_3repE0EEENS1_30default_config_static_selectorELNS0_4arch9wavefront6targetE0EEEvSL_
                                        ; -- End function
	.section	.AMDGPU.csdata,"",@progbits
; Kernel info:
; codeLenInByte = 0
; NumSgprs: 0
; NumVgprs: 0
; ScratchSize: 0
; MemoryBound: 0
; FloatMode: 240
; IeeeMode: 1
; LDSByteSize: 0 bytes/workgroup (compile time only)
; SGPRBlocks: 0
; VGPRBlocks: 0
; NumSGPRsForWavesPerEU: 1
; NumVGPRsForWavesPerEU: 1
; Occupancy: 16
; WaveLimiterHint : 0
; COMPUTE_PGM_RSRC2:SCRATCH_EN: 0
; COMPUTE_PGM_RSRC2:USER_SGPR: 15
; COMPUTE_PGM_RSRC2:TRAP_HANDLER: 0
; COMPUTE_PGM_RSRC2:TGID_X_EN: 1
; COMPUTE_PGM_RSRC2:TGID_Y_EN: 0
; COMPUTE_PGM_RSRC2:TGID_Z_EN: 0
; COMPUTE_PGM_RSRC2:TIDIG_COMP_CNT: 0
	.text
	.p2align	2                               ; -- Begin function _ZN7rocprim17ROCPRIM_400000_NS6detail40segmented_radix_sort_single_block_helperI12hip_bfloat16lLj256ELj16ELb1EE4sortIPKS3_PS3_PKlPlEEbT_T0_T1_T2_jjjjRNS4_12storage_typeE
	.type	_ZN7rocprim17ROCPRIM_400000_NS6detail40segmented_radix_sort_single_block_helperI12hip_bfloat16lLj256ELj16ELb1EE4sortIPKS3_PS3_PKlPlEEbT_T0_T1_T2_jjjjRNS4_12storage_typeE,@function
_ZN7rocprim17ROCPRIM_400000_NS6detail40segmented_radix_sort_single_block_helperI12hip_bfloat16lLj256ELj16ELb1EE4sortIPKS3_PS3_PKlPlEEbT_T0_T1_T2_jjjjRNS4_12storage_typeE: ; @_ZN7rocprim17ROCPRIM_400000_NS6detail40segmented_radix_sort_single_block_helperI12hip_bfloat16lLj256ELj16ELb1EE4sortIPKS3_PS3_PKlPlEEbT_T0_T1_T2_jjjjRNS4_12storage_typeE
; %bb.0:
	s_waitcnt vmcnt(0) expcnt(0) lgkmcnt(0)
	s_clause 0x1f
	scratch_store_b32 off, v40, s32 offset:212
	; meta instruction
	scratch_store_b32 off, v41, s32 offset:208
	; meta instruction
	;; [unrolled: 2-line block ×31, first 2 shown]
	scratch_store_b32 off, v95, s32 offset:88
	s_clause 0x15
	scratch_store_b32 off, v104, s32 offset:84
	; meta instruction
	scratch_store_b32 off, v105, s32 offset:80
	; meta instruction
	;; [unrolled: 2-line block ×21, first 2 shown]
	scratch_store_b32 off, v141, s32
	v_sub_nc_u32_e32 v47, v9, v8
	s_mov_b32 s24, exec_lo
	s_delay_alu instid0(VALU_DEP_1)
	v_cmpx_gt_u32_e32 0x1001, v47
	s_cbranch_execz .LBB1953_372
; %bb.1:
	v_bfe_u32 v14, v31, 10, 10
	v_bfe_u32 v15, v31, 20, 10
	v_and_b32_e32 v34, 0x3ff, v31
	v_mbcnt_lo_u32_b32 v16, -1, 0
	s_mov_b32 s0, exec_lo
	v_cmpx_lt_u32_e32 0x800, v47
	s_xor_b32 s25, exec_lo, s0
	s_cbranch_execz .LBB1953_143
; %bb.2:
	s_load_b64 s[0:1], s[8:9], 0x0
	v_mov_b32_e32 v9, 0
	v_lshlrev_b32_e32 v19, 1, v16
	s_waitcnt lgkmcnt(0)
	s_cmp_lt_u32 s13, s1
	s_cselect_b32 s1, 14, 20
	s_delay_alu instid0(SALU_CYCLE_1) | instskip(SKIP_4) | instid1(SALU_CYCLE_1)
	s_add_u32 s2, s8, s1
	s_addc_u32 s3, s9, 0
	s_cmp_lt_u32 s12, s0
	global_load_u16 v17, v9, s[2:3]
	s_cselect_b32 s0, 12, 18
	s_add_u32 s0, s8, s0
	s_addc_u32 s1, s9, 0
	global_load_u16 v18, v9, s[0:1]
	s_waitcnt vmcnt(1)
	v_mad_u32_u24 v14, v15, v17, v14
	s_waitcnt vmcnt(0)
	s_delay_alu instid0(VALU_DEP_1) | instskip(NEXT) | instid1(VALU_DEP_1)
	v_mad_u64_u32 v[26:27], null, v14, v18, v[34:35]
	v_dual_mov_b32 v27, -1 :: v_dual_lshlrev_b32 v14, 4, v26
	v_lshlrev_b64 v[28:29], 1, v[8:9]
	v_mov_b32_e32 v17, -1
	s_delay_alu instid0(VALU_DEP_3) | instskip(NEXT) | instid1(VALU_DEP_3)
	v_dual_mov_b32 v15, v9 :: v_dual_and_b32 v14, 0xfffffe00, v14
	v_add_co_u32 v20, vcc_lo, v0, v28
	s_delay_alu instid0(VALU_DEP_4) | instskip(NEXT) | instid1(VALU_DEP_3)
	v_add_co_ci_u32_e32 v21, vcc_lo, v1, v29, vcc_lo
	v_lshlrev_b64 v[0:1], 1, v[14:15]
	s_delay_alu instid0(VALU_DEP_3) | instskip(SKIP_1) | instid1(VALU_DEP_4)
	v_add_co_u32 v19, vcc_lo, v20, v19
	v_or_b32_e32 v18, v14, v16
	v_add_co_ci_u32_e32 v20, vcc_lo, 0, v21, vcc_lo
	s_delay_alu instid0(VALU_DEP_3) | instskip(NEXT) | instid1(VALU_DEP_3)
	v_add_co_u32 v0, s0, v19, v0
	v_cmp_lt_u32_e32 vcc_lo, v18, v47
	s_delay_alu instid0(VALU_DEP_3)
	v_add_co_ci_u32_e64 v1, s0, v20, v1, s0
	s_and_saveexec_b32 s0, vcc_lo
	s_cbranch_execz .LBB1953_4
; %bb.3:
	flat_load_u16 v27, v[0:1]
.LBB1953_4:
	s_or_b32 exec_lo, exec_lo, s0
	v_or_b32_e32 v19, 32, v18
	s_delay_alu instid0(VALU_DEP_1) | instskip(NEXT) | instid1(VALU_DEP_1)
	v_cmp_lt_u32_e64 s0, v19, v47
	s_and_saveexec_b32 s1, s0
	s_cbranch_execz .LBB1953_6
; %bb.5:
	flat_load_u16 v17, v[0:1] offset:64
.LBB1953_6:
	s_or_b32 exec_lo, exec_lo, s1
	v_or_b32_e32 v19, 64, v18
	v_dual_mov_b32 v30, -1 :: v_dual_mov_b32 v31, -1
	s_delay_alu instid0(VALU_DEP_2) | instskip(NEXT) | instid1(VALU_DEP_1)
	v_cmp_lt_u32_e64 s1, v19, v47
	s_and_saveexec_b32 s2, s1
	s_cbranch_execz .LBB1953_8
; %bb.7:
	flat_load_u16 v31, v[0:1] offset:128
.LBB1953_8:
	s_or_b32 exec_lo, exec_lo, s2
	v_or_b32_e32 v19, 0x60, v18
	s_delay_alu instid0(VALU_DEP_1) | instskip(NEXT) | instid1(VALU_DEP_1)
	v_cmp_lt_u32_e64 s2, v19, v47
	s_and_saveexec_b32 s3, s2
	s_cbranch_execz .LBB1953_10
; %bb.9:
	flat_load_u16 v30, v[0:1] offset:192
.LBB1953_10:
	s_or_b32 exec_lo, exec_lo, s3
	v_or_b32_e32 v19, 0x80, v18
	v_dual_mov_b32 v32, -1 :: v_dual_mov_b32 v33, -1
	s_delay_alu instid0(VALU_DEP_2) | instskip(NEXT) | instid1(VALU_DEP_1)
	v_cmp_lt_u32_e64 s3, v19, v47
	s_and_saveexec_b32 s4, s3
	s_cbranch_execz .LBB1953_12
; %bb.11:
	flat_load_u16 v33, v[0:1] offset:256
.LBB1953_12:
	;; [unrolled: 19-line block ×7, first 2 shown]
	s_or_b32 exec_lo, exec_lo, s18
	v_or_b32_e32 v18, 0x1e0, v18
	s_delay_alu instid0(VALU_DEP_1) | instskip(NEXT) | instid1(VALU_DEP_1)
	v_cmp_lt_u32_e64 s18, v18, v47
	s_and_saveexec_b32 s19, s18
	s_cbranch_execz .LBB1953_34
; %bb.33:
	flat_load_u16 v51, v[0:1] offset:960
.LBB1953_34:
	s_or_b32 exec_lo, exec_lo, s19
	v_lshlrev_b64 v[0:1], 3, v[8:9]
	v_lshlrev_b32_e32 v8, 3, v16
                                        ; implicit-def: $vgpr22_vgpr23
	s_delay_alu instid0(VALU_DEP_2) | instskip(NEXT) | instid1(VALU_DEP_1)
	v_add_co_u32 v9, s19, v4, v0
	v_add_co_ci_u32_e64 v18, s19, v5, v1, s19
	v_lshlrev_b64 v[4:5], 3, v[14:15]
	s_delay_alu instid0(VALU_DEP_3) | instskip(NEXT) | instid1(VALU_DEP_1)
	v_add_co_u32 v8, s19, v9, v8
	v_add_co_ci_u32_e64 v9, s19, 0, v18, s19
	s_delay_alu instid0(VALU_DEP_2) | instskip(NEXT) | instid1(VALU_DEP_1)
	v_add_co_u32 v4, s19, v8, v4
	v_add_co_ci_u32_e64 v5, s19, v9, v5, s19
	s_and_saveexec_b32 s19, vcc_lo
	s_cbranch_execnz .LBB1953_196
; %bb.35:
	s_or_b32 exec_lo, exec_lo, s19
                                        ; implicit-def: $vgpr18_vgpr19
	s_and_saveexec_b32 s19, s0
	s_cbranch_execnz .LBB1953_197
.LBB1953_36:
	s_or_b32 exec_lo, exec_lo, s19
                                        ; implicit-def: $vgpr20_vgpr21
	s_and_saveexec_b32 s0, s1
	s_cbranch_execnz .LBB1953_198
.LBB1953_37:
	s_or_b32 exec_lo, exec_lo, s0
                                        ; implicit-def: $vgpr24_vgpr25
	s_and_saveexec_b32 s0, s2
	s_cbranch_execnz .LBB1953_199
.LBB1953_38:
	s_or_b32 exec_lo, exec_lo, s0
                                        ; implicit-def: $vgpr116_vgpr117
	s_and_saveexec_b32 s0, s3
	s_cbranch_execnz .LBB1953_200
.LBB1953_39:
	s_or_b32 exec_lo, exec_lo, s0
                                        ; implicit-def: $vgpr134_vgpr135
	s_and_saveexec_b32 s0, s4
	s_cbranch_execnz .LBB1953_201
.LBB1953_40:
	s_or_b32 exec_lo, exec_lo, s0
                                        ; implicit-def: $vgpr176_vgpr177
	s_and_saveexec_b32 s0, s5
	s_cbranch_execnz .LBB1953_202
.LBB1953_41:
	s_or_b32 exec_lo, exec_lo, s0
                                        ; implicit-def: $vgpr192_vgpr193
	s_and_saveexec_b32 s0, s6
	s_cbranch_execnz .LBB1953_203
.LBB1953_42:
	s_or_b32 exec_lo, exec_lo, s0
                                        ; implicit-def: $vgpr194_vgpr195
	s_and_saveexec_b32 s0, s7
	s_cbranch_execnz .LBB1953_204
.LBB1953_43:
	s_or_b32 exec_lo, exec_lo, s0
                                        ; implicit-def: $vgpr196_vgpr197
	s_and_saveexec_b32 s0, s10
	s_cbranch_execnz .LBB1953_205
.LBB1953_44:
	s_or_b32 exec_lo, exec_lo, s0
                                        ; implicit-def: $vgpr198_vgpr199
	s_and_saveexec_b32 s0, s11
	s_cbranch_execnz .LBB1953_206
.LBB1953_45:
	s_or_b32 exec_lo, exec_lo, s0
                                        ; implicit-def: $vgpr208_vgpr209
	s_and_saveexec_b32 s0, s14
	s_cbranch_execnz .LBB1953_207
.LBB1953_46:
	s_or_b32 exec_lo, exec_lo, s0
                                        ; implicit-def: $vgpr210_vgpr211
	s_and_saveexec_b32 s0, s15
	s_cbranch_execnz .LBB1953_208
.LBB1953_47:
	s_or_b32 exec_lo, exec_lo, s0
                                        ; implicit-def: $vgpr212_vgpr213
	s_and_saveexec_b32 s0, s16
	s_cbranch_execnz .LBB1953_209
.LBB1953_48:
	s_or_b32 exec_lo, exec_lo, s0
                                        ; implicit-def: $vgpr214_vgpr215
	s_and_saveexec_b32 s0, s17
	s_cbranch_execnz .LBB1953_210
.LBB1953_49:
	s_or_b32 exec_lo, exec_lo, s0
                                        ; implicit-def: $vgpr224_vgpr225
	s_and_saveexec_b32 s0, s18
	s_cbranch_execz .LBB1953_51
.LBB1953_50:
	flat_load_b64 v[224:225], v[4:5] offset:3840
.LBB1953_51:
	s_or_b32 exec_lo, exec_lo, s0
	s_waitcnt vmcnt(0) lgkmcnt(0)
	v_cmp_gt_i16_e32 vcc_lo, 0, v27
	s_mov_b32 s20, 0
	s_getpc_b64 s[0:1]
	s_add_u32 s0, s0, _ZN7rocprim17ROCPRIM_400000_NS16block_radix_sortI12hip_bfloat16Lj256ELj16ElLj1ELj1ELj8ELNS0_26block_radix_rank_algorithmE2ELNS0_18block_padding_hintE2ELNS0_4arch9wavefront6targetE0EE19radix_bits_per_passE@rel32@lo+4
	s_addc_u32 s1, s1, _ZN7rocprim17ROCPRIM_400000_NS16block_radix_sortI12hip_bfloat16Lj256ELj16ElLj1ELj1ELj8ELNS0_26block_radix_rank_algorithmE2ELNS0_18block_padding_hintE2ELNS0_4arch9wavefront6targetE0EE19radix_bits_per_passE@rel32@hi+12
	s_mov_b32 s21, s20
	s_mov_b32 s22, s20
	v_cndmask_b32_e64 v4, 0x7fff, 0, vcc_lo
	v_cmp_gt_i16_e32 vcc_lo, 0, v17
	s_mov_b32 s23, s20
	s_load_b32 s19, s[0:1], 0x0
	v_cmp_eq_u32_e64 s7, 0, v16
	v_xor_b32_e32 v141, v4, v27
	v_cndmask_b32_e64 v5, 0x7fff, 0, vcc_lo
	v_cmp_gt_i16_e32 vcc_lo, 0, v31
	v_and_b32_e32 v15, 7, v16
	v_lshrrev_b32_e32 v75, 5, v26
	v_cmp_gt_u32_e64 s5, 8, v34
	v_xor_b32_e32 v139, v5, v17
	v_cndmask_b32_e64 v4, 0x7fff, 0, vcc_lo
	v_cmp_gt_i16_e32 vcc_lo, 0, v30
	v_cmp_lt_u32_e64 s14, 1, v15
	v_cmp_lt_u32_e64 s15, 3, v15
	;; [unrolled: 1-line block ×3, first 2 shown]
	v_xor_b32_e32 v140, v4, v31
	v_cndmask_b32_e64 v5, 0x7fff, 0, vcc_lo
	v_cmp_gt_i16_e32 vcc_lo, 0, v33
	v_cmp_eq_u32_e64 s10, 0, v34
	v_sub_nc_u32_e32 v77, v11, v10
	s_waitcnt lgkmcnt(0)
	s_waitcnt_vscnt null, 0x0
	v_xor_b32_e32 v121, v5, v30
	v_cndmask_b32_e64 v8, 0x7fff, 0, vcc_lo
	v_cmp_gt_i16_e32 vcc_lo, 0, v32
	s_barrier
	buffer_gl0_inv
	v_xor_b32_e32 v120, v8, v33
	v_cndmask_b32_e64 v9, 0x7fff, 0, vcc_lo
	v_cmp_gt_i16_e32 vcc_lo, 0, v36
	s_delay_alu instid0(VALU_DEP_2) | instskip(SKIP_2) | instid1(VALU_DEP_2)
	v_xor_b32_e32 v111, v9, v32
	v_cndmask_b32_e64 v14, 0x7fff, 0, vcc_lo
	v_cmp_gt_i16_e32 vcc_lo, 0, v35
	v_xor_b32_e32 v110, v14, v36
	v_cndmask_b32_e64 v4, 0x7fff, 0, vcc_lo
	v_cmp_gt_i16_e32 vcc_lo, 0, v38
	s_delay_alu instid0(VALU_DEP_2) | instskip(SKIP_2) | instid1(VALU_DEP_2)
	v_xor_b32_e32 v122, v4, v35
	v_cndmask_b32_e64 v5, 0x7fff, 0, vcc_lo
	v_cmp_gt_i16_e32 vcc_lo, 0, v37
	;; [unrolled: 7-line block ×3, first 2 shown]
	v_xor_b32_e32 v125, v9, v48
	v_cndmask_b32_e64 v14, 0x7fff, 0, vcc_lo
	v_cmp_gt_i16_e32 vcc_lo, 0, v50
	s_delay_alu instid0(VALU_DEP_2) | instskip(SKIP_3) | instid1(VALU_DEP_3)
	v_xor_b32_e32 v126, v14, v39
	v_cndmask_b32_e64 v4, 0x7fff, 0, vcc_lo
	v_cmp_gt_i16_e32 vcc_lo, 0, v49
	v_add_nc_u32_e32 v14, -1, v16
	v_xor_b32_e32 v127, v4, v50
	v_cndmask_b32_e64 v5, 0x7fff, 0, vcc_lo
	v_cmp_gt_i16_e32 vcc_lo, 0, v52
	v_lshlrev_b32_e32 v4, 5, v34
	v_cmp_gt_i32_e64 s4, 0, v14
	s_delay_alu instid0(VALU_DEP_4) | instskip(SKIP_3) | instid1(VALU_DEP_2)
	v_xor_b32_e32 v136, v5, v49
	v_mov_b32_e32 v5, 0
	v_cndmask_b32_e64 v8, 0x7fff, 0, vcc_lo
	v_cmp_gt_i16_e32 vcc_lo, 0, v51
	v_xor_b32_e32 v137, v8, v52
	v_cndmask_b32_e64 v9, 0x7fff, 0, vcc_lo
	v_add_co_u32 v27, vcc_lo, v12, 32
	v_add_co_ci_u32_e32 v74, vcc_lo, 0, v13, vcc_lo
	s_delay_alu instid0(VALU_DEP_3)
	v_xor_b32_e32 v138, v9, v51
	v_and_b32_e32 v9, 0x3e0, v34
	v_add_co_u32 v48, vcc_lo, v12, v4
	v_and_b32_e32 v8, 15, v16
	v_add_co_ci_u32_e32 v49, vcc_lo, 0, v13, vcc_lo
	v_add_co_u32 v66, vcc_lo, v27, v4
	v_min_u32_e32 v4, 0xe0, v9
	v_and_b32_e32 v9, 16, v16
	v_add_co_ci_u32_e32 v67, vcc_lo, 0, v74, vcc_lo
	v_cmp_eq_u32_e32 vcc_lo, 0, v8
	v_cmp_lt_u32_e64 s0, 1, v8
	v_cmp_lt_u32_e64 s1, 3, v8
	;; [unrolled: 1-line block ×3, first 2 shown]
	v_cndmask_b32_e64 v8, v14, v16, s4
	v_lshlrev_b32_e32 v14, 4, v34
	v_or_b32_e32 v4, 31, v4
	v_cmp_eq_u32_e64 s3, 0, v9
	v_lshrrev_b32_e32 v9, 5, v34
	v_lshlrev_b32_e32 v76, 2, v8
	v_and_or_b32 v14, 0x3e00, v14, v16
	v_cmp_eq_u32_e64 s4, v4, v34
	v_lshlrev_b32_e32 v8, 2, v34
	v_lshlrev_b32_e32 v4, 2, v9
	s_delay_alu instid0(VALU_DEP_4) | instskip(NEXT) | instid1(VALU_DEP_2)
	v_lshlrev_b32_e32 v16, 1, v14
	v_add_co_u32 v98, s11, v12, v4
	v_add_nc_u32_e32 v4, -1, v9
	s_delay_alu instid0(VALU_DEP_3) | instskip(SKIP_2) | instid1(VALU_DEP_4)
	v_add_co_u32 v102, s16, v12, v16
	v_add_co_ci_u32_e64 v99, s11, 0, v13, s11
	v_add_co_u32 v100, s11, v12, v8
	v_lshlrev_b64 v[8:9], 2, v[4:5]
	v_add_co_ci_u32_e64 v103, s16, 0, v13, s16
	v_add_co_ci_u32_e64 v101, s11, 0, v13, s11
	v_cmp_eq_u32_e64 s11, 0, v15
	s_delay_alu instid0(VALU_DEP_3)
	v_mad_u64_u32 v[114:115], null, v14, 6, v[102:103]
	v_add_co_u32 v112, s16, v12, v8
	v_mov_b32_e32 v14, s20
	v_mov_b32_e32 v16, s22
	v_add_co_ci_u32_e64 v113, s16, v13, v9, s16
	v_mov_b32_e32 v15, s21
	v_mov_b32_e32 v17, s23
	s_branch .LBB1953_53
.LBB1953_52:                            ;   in Loop: Header=BB1953_53 Depth=1
	s_or_b32 exec_lo, exec_lo, s17
	s_delay_alu instid0(SALU_CYCLE_1) | instskip(NEXT) | instid1(SALU_CYCLE_1)
	s_and_b32 s16, exec_lo, s18
	s_or_b32 s20, s16, s20
	s_delay_alu instid0(SALU_CYCLE_1)
	s_and_not1_b32 exec_lo, exec_lo, s20
	s_cbranch_execz .LBB1953_93
.LBB1953_53:                            ; =>This Inner Loop Header: Depth=1
	v_dual_mov_b32 v78, v141 :: v_dual_mov_b32 v83, v23
	v_min_u32_e32 v4, s19, v77
	v_dual_mov_b32 v82, v22 :: v_dual_mov_b32 v97, v19
	s_delay_alu instid0(VALU_DEP_3) | instskip(SKIP_1) | instid1(VALU_DEP_4)
	v_cmp_ne_u16_e64 s16, 0x8000, v78
	v_mov_b32_e32 v70, v134
	v_lshlrev_b32_e64 v4, v4, -1
	v_dual_mov_b32 v96, v18 :: v_dual_mov_b32 v87, v21
	s_delay_alu instid0(VALU_DEP_4) | instskip(SKIP_1) | instid1(VALU_DEP_4)
	v_cndmask_b32_e64 v8, 0x7fff, v78, s16
	v_dual_mov_b32 v30, v212 :: v_dual_mov_b32 v79, v139
	v_not_b32_e32 v18, v4
	v_dual_mov_b32 v86, v20 :: v_dual_mov_b32 v85, v25
	s_delay_alu instid0(VALU_DEP_4) | instskip(SKIP_3) | instid1(VALU_DEP_4)
	v_dual_mov_b32 v71, v135 :: v_dual_and_b32 v8, 0xffff, v8
	v_mov_b32_e32 v84, v24
	v_mov_b32_e32 v80, v116
	;; [unrolled: 1-line block ×3, first 2 shown]
	v_lshrrev_b32_e32 v4, v10, v8
	v_dual_mov_b32 v8, v214 :: v_dual_mov_b32 v81, v117
	v_dual_mov_b32 v68, v176 :: v_dual_mov_b32 v31, v213
	s_delay_alu instid0(VALU_DEP_3) | instskip(SKIP_3) | instid1(VALU_DEP_4)
	v_and_b32_e32 v4, v4, v18
	v_mov_b32_e32 v32, v210
	v_mov_b32_e32 v38, v225
	v_dual_mov_b32 v88, v140 :: v_dual_mov_b32 v89, v121
	v_and_b32_e32 v19, 1, v4
	v_lshlrev_b32_e32 v20, 30, v4
	v_dual_mov_b32 v91, v111 :: v_dual_lshlrev_b32 v22, 29, v4
	v_lshlrev_b32_e32 v23, 28, v4
	s_delay_alu instid0(VALU_DEP_4) | instskip(NEXT) | instid1(VALU_DEP_1)
	v_add_co_u32 v19, s16, v19, -1
	v_cndmask_b32_e64 v21, 0, 1, s16
	v_not_b32_e32 v24, v20
	v_cmp_gt_i32_e64 s17, 0, v20
	v_not_b32_e32 v20, v22
	v_mov_b32_e32 v105, v127
	v_cmp_ne_u32_e64 s16, 0, v21
	v_ashrrev_i32_e32 v24, 31, v24
	v_lshlrev_b32_e32 v21, 27, v4
	v_ashrrev_i32_e32 v20, 31, v20
	v_mov_b32_e32 v64, v192
	v_xor_b32_e32 v19, s16, v19
	v_cmp_gt_i32_e64 s16, 0, v22
	v_not_b32_e32 v22, v23
	v_xor_b32_e32 v24, s17, v24
	v_cmp_gt_i32_e64 s17, 0, v23
	v_dual_mov_b32 v90, v120 :: v_dual_and_b32 v19, exec_lo, v19
	v_not_b32_e32 v23, v21
	v_ashrrev_i32_e32 v22, 31, v22
	v_xor_b32_e32 v20, s16, v20
	s_delay_alu instid0(VALU_DEP_4)
	v_dual_mov_b32 v104, v110 :: v_dual_and_b32 v19, v19, v24
	v_dual_mov_b32 v95, v122 :: v_dual_lshlrev_b32 v24, 26, v4
	v_cmp_gt_i32_e64 s16, 0, v21
	v_ashrrev_i32_e32 v21, 31, v23
	v_xor_b32_e32 v22, s17, v22
	v_dual_mov_b32 v94, v124 :: v_dual_and_b32 v19, v19, v20
	v_not_b32_e32 v20, v24
	v_dual_mov_b32 v108, v123 :: v_dual_lshlrev_b32 v23, 25, v4
	v_cmp_gt_i32_e64 s17, 0, v24
	v_xor_b32_e32 v21, s16, v21
	v_dual_mov_b32 v106, v126 :: v_dual_and_b32 v19, v19, v22
	v_ashrrev_i32_e32 v20, 31, v20
	v_not_b32_e32 v22, v23
	v_dual_mov_b32 v107, v125 :: v_dual_lshlrev_b32 v24, 24, v4
	s_delay_alu instid0(VALU_DEP_4) | instskip(NEXT) | instid1(VALU_DEP_4)
	v_dual_mov_b32 v92, v138 :: v_dual_and_b32 v19, v19, v21
	v_xor_b32_e32 v20, s17, v20
	v_cmp_gt_i32_e64 s16, 0, v23
	v_ashrrev_i32_e32 v21, 31, v22
	v_not_b32_e32 v22, v24
	s_delay_alu instid0(VALU_DEP_4) | instskip(SKIP_1) | instid1(VALU_DEP_4)
	v_dual_mov_b32 v54, v194 :: v_dual_and_b32 v19, v19, v20
	v_dual_mov_b32 v52, v196 :: v_dual_mov_b32 v33, v211
	v_xor_b32_e32 v20, s16, v21
	v_cmp_gt_i32_e64 s16, 0, v24
	v_ashrrev_i32_e32 v21, 31, v22
	v_dual_mov_b32 v50, v198 :: v_dual_mov_b32 v35, v208
	s_delay_alu instid0(VALU_DEP_4) | instskip(SKIP_1) | instid1(VALU_DEP_4)
	v_and_b32_e32 v19, v19, v20
	v_mov_b32_e32 v69, v177
	v_xor_b32_e32 v20, s16, v21
	v_mov_b32_e32 v65, v193
	v_mov_b32_e32 v55, v195
	;; [unrolled: 1-line block ×4, first 2 shown]
	v_and_b32_e32 v19, v19, v20
	v_lshlrev_b32_e32 v20, 3, v4
	v_dual_mov_b32 v36, v209 :: v_dual_mov_b32 v9, v215
	v_mov_b32_e32 v109, v136
	s_delay_alu instid0(VALU_DEP_4) | instskip(NEXT) | instid1(VALU_DEP_4)
	v_mbcnt_lo_u32_b32 v4, v19, 0
	v_add_lshl_u32 v20, v20, v75, 2
	v_cmp_ne_u32_e64 s17, 0, v19
	v_mov_b32_e32 v93, v137
	s_clause 0x1
	flat_store_b128 v[48:49], v[14:17] offset:32
	flat_store_b128 v[66:67], v[14:17] offset:16
	v_cmp_eq_u32_e64 s16, 0, v4
	v_add_co_u32 v116, s18, v27, v20
	s_delay_alu instid0(VALU_DEP_1) | instskip(NEXT) | instid1(VALU_DEP_3)
	v_add_co_ci_u32_e64 v117, s18, 0, v74, s18
	s_and_b32 s17, s17, s16
	s_waitcnt lgkmcnt(0)
	s_waitcnt_vscnt null, 0x0
	s_barrier
	buffer_gl0_inv
	; wave barrier
	s_and_saveexec_b32 s16, s17
	s_cbranch_execz .LBB1953_55
; %bb.54:                               ;   in Loop: Header=BB1953_53 Depth=1
	v_bcnt_u32_b32 v19, v19, 0
	flat_store_b32 v[116:117], v19
.LBB1953_55:                            ;   in Loop: Header=BB1953_53 Depth=1
	s_or_b32 exec_lo, exec_lo, s16
	v_cmp_ne_u16_e64 s16, 0x8000, v79
	; wave barrier
	s_delay_alu instid0(VALU_DEP_1) | instskip(NEXT) | instid1(VALU_DEP_1)
	v_cndmask_b32_e64 v19, 0x7fff, v79, s16
	v_and_b32_e32 v19, 0xffff, v19
	s_delay_alu instid0(VALU_DEP_1) | instskip(NEXT) | instid1(VALU_DEP_1)
	v_lshrrev_b32_e32 v19, v10, v19
	v_and_b32_e32 v19, v19, v18
	s_delay_alu instid0(VALU_DEP_1) | instskip(SKIP_3) | instid1(VALU_DEP_4)
	v_lshlrev_b32_e32 v20, 3, v19
	v_lshlrev_b32_e32 v22, 30, v19
	v_lshlrev_b32_e32 v23, 29, v19
	v_lshlrev_b32_e32 v24, 28, v19
	v_add_lshl_u32 v20, v20, v75, 2
	s_delay_alu instid0(VALU_DEP_1) | instskip(NEXT) | instid1(VALU_DEP_1)
	v_add_co_u32 v118, s16, v27, v20
	v_add_co_ci_u32_e64 v119, s16, 0, v74, s16
	v_and_b32_e32 v20, 1, v19
	flat_load_b32 v39, v[118:119]
	v_add_co_u32 v20, s16, v20, -1
	s_delay_alu instid0(VALU_DEP_1) | instskip(NEXT) | instid1(VALU_DEP_1)
	v_cndmask_b32_e64 v21, 0, 1, s16
	; wave barrier
	v_cmp_ne_u32_e64 s16, 0, v21
	v_not_b32_e32 v21, v22
	s_delay_alu instid0(VALU_DEP_2) | instskip(SKIP_1) | instid1(VALU_DEP_3)
	v_xor_b32_e32 v20, s16, v20
	v_cmp_gt_i32_e64 s16, 0, v22
	v_ashrrev_i32_e32 v21, 31, v21
	v_not_b32_e32 v22, v23
	s_delay_alu instid0(VALU_DEP_4) | instskip(NEXT) | instid1(VALU_DEP_3)
	v_and_b32_e32 v20, exec_lo, v20
	v_xor_b32_e32 v21, s16, v21
	v_cmp_gt_i32_e64 s16, 0, v23
	s_delay_alu instid0(VALU_DEP_4) | instskip(SKIP_1) | instid1(VALU_DEP_4)
	v_ashrrev_i32_e32 v22, 31, v22
	v_not_b32_e32 v23, v24
	v_and_b32_e32 v20, v20, v21
	v_lshlrev_b32_e32 v21, 27, v19
	s_delay_alu instid0(VALU_DEP_4) | instskip(SKIP_2) | instid1(VALU_DEP_4)
	v_xor_b32_e32 v22, s16, v22
	v_cmp_gt_i32_e64 s16, 0, v24
	v_ashrrev_i32_e32 v23, 31, v23
	v_not_b32_e32 v24, v21
	s_delay_alu instid0(VALU_DEP_4) | instskip(SKIP_1) | instid1(VALU_DEP_4)
	v_and_b32_e32 v20, v20, v22
	v_lshlrev_b32_e32 v22, 26, v19
	v_xor_b32_e32 v23, s16, v23
	v_cmp_gt_i32_e64 s16, 0, v21
	v_ashrrev_i32_e32 v21, 31, v24
	s_delay_alu instid0(VALU_DEP_4) | instskip(NEXT) | instid1(VALU_DEP_4)
	v_not_b32_e32 v24, v22
	v_and_b32_e32 v20, v20, v23
	v_lshlrev_b32_e32 v23, 25, v19
	s_delay_alu instid0(VALU_DEP_4)
	v_xor_b32_e32 v21, s16, v21
	v_cmp_gt_i32_e64 s16, 0, v22
	v_ashrrev_i32_e32 v22, 31, v24
	v_lshlrev_b32_e32 v19, 24, v19
	v_not_b32_e32 v24, v23
	v_and_b32_e32 v20, v20, v21
	s_delay_alu instid0(VALU_DEP_4) | instskip(SKIP_1) | instid1(VALU_DEP_4)
	v_xor_b32_e32 v21, s16, v22
	v_cmp_gt_i32_e64 s16, 0, v23
	v_ashrrev_i32_e32 v22, 31, v24
	v_not_b32_e32 v23, v19
	s_delay_alu instid0(VALU_DEP_4) | instskip(NEXT) | instid1(VALU_DEP_3)
	v_and_b32_e32 v20, v20, v21
	v_xor_b32_e32 v21, s16, v22
	v_cmp_gt_i32_e64 s16, 0, v19
	s_delay_alu instid0(VALU_DEP_4) | instskip(NEXT) | instid1(VALU_DEP_3)
	v_ashrrev_i32_e32 v19, 31, v23
	v_and_b32_e32 v20, v20, v21
	s_delay_alu instid0(VALU_DEP_2) | instskip(NEXT) | instid1(VALU_DEP_1)
	v_xor_b32_e32 v19, s16, v19
	v_and_b32_e32 v19, v20, v19
	s_delay_alu instid0(VALU_DEP_1) | instskip(SKIP_1) | instid1(VALU_DEP_2)
	v_mbcnt_lo_u32_b32 v180, v19, 0
	v_cmp_ne_u32_e64 s17, 0, v19
	v_cmp_eq_u32_e64 s16, 0, v180
	s_delay_alu instid0(VALU_DEP_1) | instskip(NEXT) | instid1(SALU_CYCLE_1)
	s_and_b32 s17, s17, s16
	s_and_saveexec_b32 s16, s17
	s_cbranch_execz .LBB1953_57
; %bb.56:                               ;   in Loop: Header=BB1953_53 Depth=1
	s_waitcnt vmcnt(0) lgkmcnt(0)
	v_bcnt_u32_b32 v19, v19, v39
	flat_store_b32 v[118:119], v19
.LBB1953_57:                            ;   in Loop: Header=BB1953_53 Depth=1
	s_or_b32 exec_lo, exec_lo, s16
	v_cmp_ne_u16_e64 s16, 0x8000, v88
	; wave barrier
	s_delay_alu instid0(VALU_DEP_1) | instskip(NEXT) | instid1(VALU_DEP_1)
	v_cndmask_b32_e64 v19, 0x7fff, v88, s16
	v_and_b32_e32 v19, 0xffff, v19
	s_delay_alu instid0(VALU_DEP_1) | instskip(NEXT) | instid1(VALU_DEP_1)
	v_lshrrev_b32_e32 v19, v10, v19
	v_and_b32_e32 v19, v19, v18
	s_delay_alu instid0(VALU_DEP_1) | instskip(SKIP_3) | instid1(VALU_DEP_4)
	v_lshlrev_b32_e32 v20, 3, v19
	v_lshlrev_b32_e32 v22, 30, v19
	;; [unrolled: 1-line block ×4, first 2 shown]
	v_add_lshl_u32 v20, v20, v75, 2
	s_delay_alu instid0(VALU_DEP_1) | instskip(NEXT) | instid1(VALU_DEP_1)
	v_add_co_u32 v128, s16, v27, v20
	v_add_co_ci_u32_e64 v129, s16, 0, v74, s16
	v_and_b32_e32 v20, 1, v19
	flat_load_b32 v192, v[128:129]
	v_add_co_u32 v20, s16, v20, -1
	s_delay_alu instid0(VALU_DEP_1) | instskip(NEXT) | instid1(VALU_DEP_1)
	v_cndmask_b32_e64 v21, 0, 1, s16
	; wave barrier
	v_cmp_ne_u32_e64 s16, 0, v21
	v_not_b32_e32 v21, v22
	s_delay_alu instid0(VALU_DEP_2) | instskip(SKIP_1) | instid1(VALU_DEP_3)
	v_xor_b32_e32 v20, s16, v20
	v_cmp_gt_i32_e64 s16, 0, v22
	v_ashrrev_i32_e32 v21, 31, v21
	v_not_b32_e32 v22, v23
	s_delay_alu instid0(VALU_DEP_4) | instskip(NEXT) | instid1(VALU_DEP_3)
	v_and_b32_e32 v20, exec_lo, v20
	v_xor_b32_e32 v21, s16, v21
	v_cmp_gt_i32_e64 s16, 0, v23
	s_delay_alu instid0(VALU_DEP_4) | instskip(SKIP_1) | instid1(VALU_DEP_4)
	v_ashrrev_i32_e32 v22, 31, v22
	v_not_b32_e32 v23, v24
	v_and_b32_e32 v20, v20, v21
	v_lshlrev_b32_e32 v21, 27, v19
	s_delay_alu instid0(VALU_DEP_4) | instskip(SKIP_2) | instid1(VALU_DEP_4)
	v_xor_b32_e32 v22, s16, v22
	v_cmp_gt_i32_e64 s16, 0, v24
	v_ashrrev_i32_e32 v23, 31, v23
	v_not_b32_e32 v24, v21
	s_delay_alu instid0(VALU_DEP_4) | instskip(SKIP_1) | instid1(VALU_DEP_4)
	v_and_b32_e32 v20, v20, v22
	v_lshlrev_b32_e32 v22, 26, v19
	v_xor_b32_e32 v23, s16, v23
	v_cmp_gt_i32_e64 s16, 0, v21
	v_ashrrev_i32_e32 v21, 31, v24
	s_delay_alu instid0(VALU_DEP_4) | instskip(NEXT) | instid1(VALU_DEP_4)
	v_not_b32_e32 v24, v22
	v_and_b32_e32 v20, v20, v23
	v_lshlrev_b32_e32 v23, 25, v19
	s_delay_alu instid0(VALU_DEP_4)
	v_xor_b32_e32 v21, s16, v21
	v_cmp_gt_i32_e64 s16, 0, v22
	v_ashrrev_i32_e32 v22, 31, v24
	v_lshlrev_b32_e32 v19, 24, v19
	v_not_b32_e32 v24, v23
	v_and_b32_e32 v20, v20, v21
	s_delay_alu instid0(VALU_DEP_4) | instskip(SKIP_1) | instid1(VALU_DEP_4)
	v_xor_b32_e32 v21, s16, v22
	v_cmp_gt_i32_e64 s16, 0, v23
	v_ashrrev_i32_e32 v22, 31, v24
	v_not_b32_e32 v23, v19
	s_delay_alu instid0(VALU_DEP_4) | instskip(NEXT) | instid1(VALU_DEP_3)
	v_and_b32_e32 v20, v20, v21
	v_xor_b32_e32 v21, s16, v22
	v_cmp_gt_i32_e64 s16, 0, v19
	s_delay_alu instid0(VALU_DEP_4) | instskip(NEXT) | instid1(VALU_DEP_3)
	v_ashrrev_i32_e32 v19, 31, v23
	v_and_b32_e32 v20, v20, v21
	s_delay_alu instid0(VALU_DEP_2) | instskip(NEXT) | instid1(VALU_DEP_1)
	v_xor_b32_e32 v19, s16, v19
	v_and_b32_e32 v19, v20, v19
	s_delay_alu instid0(VALU_DEP_1) | instskip(SKIP_1) | instid1(VALU_DEP_2)
	v_mbcnt_lo_u32_b32 v193, v19, 0
	v_cmp_ne_u32_e64 s17, 0, v19
	v_cmp_eq_u32_e64 s16, 0, v193
	s_delay_alu instid0(VALU_DEP_1) | instskip(NEXT) | instid1(SALU_CYCLE_1)
	s_and_b32 s17, s17, s16
	s_and_saveexec_b32 s16, s17
	s_cbranch_execz .LBB1953_59
; %bb.58:                               ;   in Loop: Header=BB1953_53 Depth=1
	s_waitcnt vmcnt(0) lgkmcnt(0)
	v_bcnt_u32_b32 v19, v19, v192
	flat_store_b32 v[128:129], v19
.LBB1953_59:                            ;   in Loop: Header=BB1953_53 Depth=1
	s_or_b32 exec_lo, exec_lo, s16
	v_cmp_ne_u16_e64 s16, 0x8000, v89
	; wave barrier
	s_delay_alu instid0(VALU_DEP_1) | instskip(NEXT) | instid1(VALU_DEP_1)
	v_cndmask_b32_e64 v19, 0x7fff, v89, s16
	v_and_b32_e32 v19, 0xffff, v19
	s_delay_alu instid0(VALU_DEP_1) | instskip(NEXT) | instid1(VALU_DEP_1)
	v_lshrrev_b32_e32 v19, v10, v19
	v_and_b32_e32 v19, v19, v18
	s_delay_alu instid0(VALU_DEP_1) | instskip(SKIP_3) | instid1(VALU_DEP_4)
	v_lshlrev_b32_e32 v20, 3, v19
	v_lshlrev_b32_e32 v22, 30, v19
	;; [unrolled: 1-line block ×4, first 2 shown]
	v_add_lshl_u32 v20, v20, v75, 2
	s_delay_alu instid0(VALU_DEP_1) | instskip(NEXT) | instid1(VALU_DEP_1)
	v_add_co_u32 v130, s16, v27, v20
	v_add_co_ci_u32_e64 v131, s16, 0, v74, s16
	v_and_b32_e32 v20, 1, v19
	flat_load_b32 v194, v[130:131]
	v_add_co_u32 v20, s16, v20, -1
	s_delay_alu instid0(VALU_DEP_1) | instskip(NEXT) | instid1(VALU_DEP_1)
	v_cndmask_b32_e64 v21, 0, 1, s16
	; wave barrier
	v_cmp_ne_u32_e64 s16, 0, v21
	v_not_b32_e32 v21, v22
	s_delay_alu instid0(VALU_DEP_2) | instskip(SKIP_1) | instid1(VALU_DEP_3)
	v_xor_b32_e32 v20, s16, v20
	v_cmp_gt_i32_e64 s16, 0, v22
	v_ashrrev_i32_e32 v21, 31, v21
	v_not_b32_e32 v22, v23
	s_delay_alu instid0(VALU_DEP_4) | instskip(NEXT) | instid1(VALU_DEP_3)
	v_and_b32_e32 v20, exec_lo, v20
	v_xor_b32_e32 v21, s16, v21
	v_cmp_gt_i32_e64 s16, 0, v23
	s_delay_alu instid0(VALU_DEP_4) | instskip(SKIP_1) | instid1(VALU_DEP_4)
	v_ashrrev_i32_e32 v22, 31, v22
	v_not_b32_e32 v23, v24
	v_and_b32_e32 v20, v20, v21
	v_lshlrev_b32_e32 v21, 27, v19
	s_delay_alu instid0(VALU_DEP_4) | instskip(SKIP_2) | instid1(VALU_DEP_4)
	v_xor_b32_e32 v22, s16, v22
	v_cmp_gt_i32_e64 s16, 0, v24
	v_ashrrev_i32_e32 v23, 31, v23
	v_not_b32_e32 v24, v21
	s_delay_alu instid0(VALU_DEP_4) | instskip(SKIP_1) | instid1(VALU_DEP_4)
	v_and_b32_e32 v20, v20, v22
	v_lshlrev_b32_e32 v22, 26, v19
	v_xor_b32_e32 v23, s16, v23
	v_cmp_gt_i32_e64 s16, 0, v21
	v_ashrrev_i32_e32 v21, 31, v24
	s_delay_alu instid0(VALU_DEP_4) | instskip(NEXT) | instid1(VALU_DEP_4)
	v_not_b32_e32 v24, v22
	v_and_b32_e32 v20, v20, v23
	v_lshlrev_b32_e32 v23, 25, v19
	s_delay_alu instid0(VALU_DEP_4)
	v_xor_b32_e32 v21, s16, v21
	v_cmp_gt_i32_e64 s16, 0, v22
	v_ashrrev_i32_e32 v22, 31, v24
	v_lshlrev_b32_e32 v19, 24, v19
	v_not_b32_e32 v24, v23
	v_and_b32_e32 v20, v20, v21
	s_delay_alu instid0(VALU_DEP_4) | instskip(SKIP_1) | instid1(VALU_DEP_4)
	v_xor_b32_e32 v21, s16, v22
	v_cmp_gt_i32_e64 s16, 0, v23
	v_ashrrev_i32_e32 v22, 31, v24
	v_not_b32_e32 v23, v19
	s_delay_alu instid0(VALU_DEP_4) | instskip(NEXT) | instid1(VALU_DEP_3)
	v_and_b32_e32 v20, v20, v21
	v_xor_b32_e32 v21, s16, v22
	v_cmp_gt_i32_e64 s16, 0, v19
	s_delay_alu instid0(VALU_DEP_4) | instskip(NEXT) | instid1(VALU_DEP_3)
	v_ashrrev_i32_e32 v19, 31, v23
	v_and_b32_e32 v20, v20, v21
	s_delay_alu instid0(VALU_DEP_2) | instskip(NEXT) | instid1(VALU_DEP_1)
	v_xor_b32_e32 v19, s16, v19
	v_and_b32_e32 v19, v20, v19
	s_delay_alu instid0(VALU_DEP_1) | instskip(SKIP_1) | instid1(VALU_DEP_2)
	v_mbcnt_lo_u32_b32 v195, v19, 0
	v_cmp_ne_u32_e64 s17, 0, v19
	v_cmp_eq_u32_e64 s16, 0, v195
	s_delay_alu instid0(VALU_DEP_1) | instskip(NEXT) | instid1(SALU_CYCLE_1)
	s_and_b32 s17, s17, s16
	s_and_saveexec_b32 s16, s17
	s_cbranch_execz .LBB1953_61
; %bb.60:                               ;   in Loop: Header=BB1953_53 Depth=1
	s_waitcnt vmcnt(0) lgkmcnt(0)
	v_bcnt_u32_b32 v19, v19, v194
	flat_store_b32 v[130:131], v19
.LBB1953_61:                            ;   in Loop: Header=BB1953_53 Depth=1
	s_or_b32 exec_lo, exec_lo, s16
	v_cmp_ne_u16_e64 s16, 0x8000, v90
	; wave barrier
	s_delay_alu instid0(VALU_DEP_1) | instskip(NEXT) | instid1(VALU_DEP_1)
	v_cndmask_b32_e64 v19, 0x7fff, v90, s16
	v_and_b32_e32 v19, 0xffff, v19
	s_delay_alu instid0(VALU_DEP_1) | instskip(NEXT) | instid1(VALU_DEP_1)
	v_lshrrev_b32_e32 v19, v10, v19
	v_and_b32_e32 v19, v19, v18
	s_delay_alu instid0(VALU_DEP_1) | instskip(SKIP_3) | instid1(VALU_DEP_4)
	v_lshlrev_b32_e32 v20, 3, v19
	v_lshlrev_b32_e32 v22, 30, v19
	;; [unrolled: 1-line block ×4, first 2 shown]
	v_add_lshl_u32 v20, v20, v75, 2
	s_delay_alu instid0(VALU_DEP_1) | instskip(NEXT) | instid1(VALU_DEP_1)
	v_add_co_u32 v132, s16, v27, v20
	v_add_co_ci_u32_e64 v133, s16, 0, v74, s16
	v_and_b32_e32 v20, 1, v19
	flat_load_b32 v196, v[132:133]
	v_add_co_u32 v20, s16, v20, -1
	s_delay_alu instid0(VALU_DEP_1) | instskip(NEXT) | instid1(VALU_DEP_1)
	v_cndmask_b32_e64 v21, 0, 1, s16
	; wave barrier
	v_cmp_ne_u32_e64 s16, 0, v21
	v_not_b32_e32 v21, v22
	s_delay_alu instid0(VALU_DEP_2) | instskip(SKIP_1) | instid1(VALU_DEP_3)
	v_xor_b32_e32 v20, s16, v20
	v_cmp_gt_i32_e64 s16, 0, v22
	v_ashrrev_i32_e32 v21, 31, v21
	v_not_b32_e32 v22, v23
	s_delay_alu instid0(VALU_DEP_4) | instskip(NEXT) | instid1(VALU_DEP_3)
	v_and_b32_e32 v20, exec_lo, v20
	v_xor_b32_e32 v21, s16, v21
	v_cmp_gt_i32_e64 s16, 0, v23
	s_delay_alu instid0(VALU_DEP_4) | instskip(SKIP_1) | instid1(VALU_DEP_4)
	v_ashrrev_i32_e32 v22, 31, v22
	v_not_b32_e32 v23, v24
	v_and_b32_e32 v20, v20, v21
	v_lshlrev_b32_e32 v21, 27, v19
	s_delay_alu instid0(VALU_DEP_4) | instskip(SKIP_2) | instid1(VALU_DEP_4)
	v_xor_b32_e32 v22, s16, v22
	v_cmp_gt_i32_e64 s16, 0, v24
	v_ashrrev_i32_e32 v23, 31, v23
	v_not_b32_e32 v24, v21
	s_delay_alu instid0(VALU_DEP_4) | instskip(SKIP_1) | instid1(VALU_DEP_4)
	v_and_b32_e32 v20, v20, v22
	v_lshlrev_b32_e32 v22, 26, v19
	v_xor_b32_e32 v23, s16, v23
	v_cmp_gt_i32_e64 s16, 0, v21
	v_ashrrev_i32_e32 v21, 31, v24
	s_delay_alu instid0(VALU_DEP_4) | instskip(NEXT) | instid1(VALU_DEP_4)
	v_not_b32_e32 v24, v22
	v_and_b32_e32 v20, v20, v23
	v_lshlrev_b32_e32 v23, 25, v19
	s_delay_alu instid0(VALU_DEP_4)
	v_xor_b32_e32 v21, s16, v21
	v_cmp_gt_i32_e64 s16, 0, v22
	v_ashrrev_i32_e32 v22, 31, v24
	v_lshlrev_b32_e32 v19, 24, v19
	v_not_b32_e32 v24, v23
	v_and_b32_e32 v20, v20, v21
	s_delay_alu instid0(VALU_DEP_4) | instskip(SKIP_1) | instid1(VALU_DEP_4)
	v_xor_b32_e32 v21, s16, v22
	v_cmp_gt_i32_e64 s16, 0, v23
	v_ashrrev_i32_e32 v22, 31, v24
	v_not_b32_e32 v23, v19
	s_delay_alu instid0(VALU_DEP_4) | instskip(NEXT) | instid1(VALU_DEP_3)
	v_and_b32_e32 v20, v20, v21
	v_xor_b32_e32 v21, s16, v22
	v_cmp_gt_i32_e64 s16, 0, v19
	s_delay_alu instid0(VALU_DEP_4) | instskip(NEXT) | instid1(VALU_DEP_3)
	v_ashrrev_i32_e32 v19, 31, v23
	v_and_b32_e32 v20, v20, v21
	s_delay_alu instid0(VALU_DEP_2) | instskip(NEXT) | instid1(VALU_DEP_1)
	v_xor_b32_e32 v19, s16, v19
	v_and_b32_e32 v19, v20, v19
	s_delay_alu instid0(VALU_DEP_1) | instskip(SKIP_1) | instid1(VALU_DEP_2)
	v_mbcnt_lo_u32_b32 v197, v19, 0
	v_cmp_ne_u32_e64 s17, 0, v19
	v_cmp_eq_u32_e64 s16, 0, v197
	s_delay_alu instid0(VALU_DEP_1) | instskip(NEXT) | instid1(SALU_CYCLE_1)
	s_and_b32 s17, s17, s16
	s_and_saveexec_b32 s16, s17
	s_cbranch_execz .LBB1953_63
; %bb.62:                               ;   in Loop: Header=BB1953_53 Depth=1
	s_waitcnt vmcnt(0) lgkmcnt(0)
	v_bcnt_u32_b32 v19, v19, v196
	flat_store_b32 v[132:133], v19
.LBB1953_63:                            ;   in Loop: Header=BB1953_53 Depth=1
	s_or_b32 exec_lo, exec_lo, s16
	v_cmp_ne_u16_e64 s16, 0x8000, v91
	; wave barrier
	s_delay_alu instid0(VALU_DEP_1) | instskip(NEXT) | instid1(VALU_DEP_1)
	v_cndmask_b32_e64 v19, 0x7fff, v91, s16
	v_and_b32_e32 v19, 0xffff, v19
	s_delay_alu instid0(VALU_DEP_1) | instskip(NEXT) | instid1(VALU_DEP_1)
	v_lshrrev_b32_e32 v19, v10, v19
	v_and_b32_e32 v19, v19, v18
	s_delay_alu instid0(VALU_DEP_1) | instskip(SKIP_3) | instid1(VALU_DEP_4)
	v_lshlrev_b32_e32 v20, 3, v19
	v_lshlrev_b32_e32 v22, 30, v19
	;; [unrolled: 1-line block ×4, first 2 shown]
	v_add_lshl_u32 v20, v20, v75, 2
	s_delay_alu instid0(VALU_DEP_1) | instskip(NEXT) | instid1(VALU_DEP_1)
	v_add_co_u32 v134, s16, v27, v20
	v_add_co_ci_u32_e64 v135, s16, 0, v74, s16
	v_and_b32_e32 v20, 1, v19
	flat_load_b32 v198, v[134:135]
	v_add_co_u32 v20, s16, v20, -1
	s_delay_alu instid0(VALU_DEP_1) | instskip(NEXT) | instid1(VALU_DEP_1)
	v_cndmask_b32_e64 v21, 0, 1, s16
	; wave barrier
	v_cmp_ne_u32_e64 s16, 0, v21
	v_not_b32_e32 v21, v22
	s_delay_alu instid0(VALU_DEP_2) | instskip(SKIP_1) | instid1(VALU_DEP_3)
	v_xor_b32_e32 v20, s16, v20
	v_cmp_gt_i32_e64 s16, 0, v22
	v_ashrrev_i32_e32 v21, 31, v21
	v_not_b32_e32 v22, v23
	s_delay_alu instid0(VALU_DEP_4) | instskip(NEXT) | instid1(VALU_DEP_3)
	v_and_b32_e32 v20, exec_lo, v20
	v_xor_b32_e32 v21, s16, v21
	v_cmp_gt_i32_e64 s16, 0, v23
	s_delay_alu instid0(VALU_DEP_4) | instskip(SKIP_1) | instid1(VALU_DEP_4)
	v_ashrrev_i32_e32 v22, 31, v22
	v_not_b32_e32 v23, v24
	v_and_b32_e32 v20, v20, v21
	v_lshlrev_b32_e32 v21, 27, v19
	s_delay_alu instid0(VALU_DEP_4) | instskip(SKIP_2) | instid1(VALU_DEP_4)
	v_xor_b32_e32 v22, s16, v22
	v_cmp_gt_i32_e64 s16, 0, v24
	v_ashrrev_i32_e32 v23, 31, v23
	v_not_b32_e32 v24, v21
	s_delay_alu instid0(VALU_DEP_4) | instskip(SKIP_1) | instid1(VALU_DEP_4)
	v_and_b32_e32 v20, v20, v22
	v_lshlrev_b32_e32 v22, 26, v19
	v_xor_b32_e32 v23, s16, v23
	v_cmp_gt_i32_e64 s16, 0, v21
	v_ashrrev_i32_e32 v21, 31, v24
	s_delay_alu instid0(VALU_DEP_4) | instskip(NEXT) | instid1(VALU_DEP_4)
	v_not_b32_e32 v24, v22
	v_and_b32_e32 v20, v20, v23
	v_lshlrev_b32_e32 v23, 25, v19
	s_delay_alu instid0(VALU_DEP_4)
	v_xor_b32_e32 v21, s16, v21
	v_cmp_gt_i32_e64 s16, 0, v22
	v_ashrrev_i32_e32 v22, 31, v24
	v_lshlrev_b32_e32 v19, 24, v19
	v_not_b32_e32 v24, v23
	v_and_b32_e32 v20, v20, v21
	s_delay_alu instid0(VALU_DEP_4) | instskip(SKIP_1) | instid1(VALU_DEP_4)
	v_xor_b32_e32 v21, s16, v22
	v_cmp_gt_i32_e64 s16, 0, v23
	v_ashrrev_i32_e32 v22, 31, v24
	v_not_b32_e32 v23, v19
	s_delay_alu instid0(VALU_DEP_4) | instskip(NEXT) | instid1(VALU_DEP_3)
	v_and_b32_e32 v20, v20, v21
	v_xor_b32_e32 v21, s16, v22
	v_cmp_gt_i32_e64 s16, 0, v19
	s_delay_alu instid0(VALU_DEP_4) | instskip(NEXT) | instid1(VALU_DEP_3)
	v_ashrrev_i32_e32 v19, 31, v23
	v_and_b32_e32 v20, v20, v21
	s_delay_alu instid0(VALU_DEP_2) | instskip(NEXT) | instid1(VALU_DEP_1)
	v_xor_b32_e32 v19, s16, v19
	v_and_b32_e32 v19, v20, v19
	s_delay_alu instid0(VALU_DEP_1) | instskip(SKIP_1) | instid1(VALU_DEP_2)
	v_mbcnt_lo_u32_b32 v199, v19, 0
	v_cmp_ne_u32_e64 s17, 0, v19
	v_cmp_eq_u32_e64 s16, 0, v199
	s_delay_alu instid0(VALU_DEP_1) | instskip(NEXT) | instid1(SALU_CYCLE_1)
	s_and_b32 s17, s17, s16
	s_and_saveexec_b32 s16, s17
	s_cbranch_execz .LBB1953_65
; %bb.64:                               ;   in Loop: Header=BB1953_53 Depth=1
	s_waitcnt vmcnt(0) lgkmcnt(0)
	v_bcnt_u32_b32 v19, v19, v198
	flat_store_b32 v[134:135], v19
.LBB1953_65:                            ;   in Loop: Header=BB1953_53 Depth=1
	s_or_b32 exec_lo, exec_lo, s16
	v_cmp_ne_u16_e64 s16, 0x8000, v104
	; wave barrier
	s_delay_alu instid0(VALU_DEP_1) | instskip(NEXT) | instid1(VALU_DEP_1)
	v_cndmask_b32_e64 v19, 0x7fff, v104, s16
	v_and_b32_e32 v19, 0xffff, v19
	s_delay_alu instid0(VALU_DEP_1) | instskip(NEXT) | instid1(VALU_DEP_1)
	v_lshrrev_b32_e32 v19, v10, v19
	v_and_b32_e32 v19, v19, v18
	s_delay_alu instid0(VALU_DEP_1) | instskip(SKIP_3) | instid1(VALU_DEP_4)
	v_lshlrev_b32_e32 v20, 3, v19
	v_lshlrev_b32_e32 v22, 30, v19
	v_lshlrev_b32_e32 v23, 29, v19
	v_lshlrev_b32_e32 v24, 28, v19
	v_add_lshl_u32 v20, v20, v75, 2
	s_delay_alu instid0(VALU_DEP_1) | instskip(NEXT) | instid1(VALU_DEP_1)
	v_add_co_u32 v144, s16, v27, v20
	v_add_co_ci_u32_e64 v145, s16, 0, v74, s16
	v_and_b32_e32 v20, 1, v19
	flat_load_b32 v208, v[144:145]
	v_add_co_u32 v20, s16, v20, -1
	s_delay_alu instid0(VALU_DEP_1) | instskip(NEXT) | instid1(VALU_DEP_1)
	v_cndmask_b32_e64 v21, 0, 1, s16
	; wave barrier
	v_cmp_ne_u32_e64 s16, 0, v21
	v_not_b32_e32 v21, v22
	s_delay_alu instid0(VALU_DEP_2) | instskip(SKIP_1) | instid1(VALU_DEP_3)
	v_xor_b32_e32 v20, s16, v20
	v_cmp_gt_i32_e64 s16, 0, v22
	v_ashrrev_i32_e32 v21, 31, v21
	v_not_b32_e32 v22, v23
	s_delay_alu instid0(VALU_DEP_4) | instskip(NEXT) | instid1(VALU_DEP_3)
	v_and_b32_e32 v20, exec_lo, v20
	v_xor_b32_e32 v21, s16, v21
	v_cmp_gt_i32_e64 s16, 0, v23
	s_delay_alu instid0(VALU_DEP_4) | instskip(SKIP_1) | instid1(VALU_DEP_4)
	v_ashrrev_i32_e32 v22, 31, v22
	v_not_b32_e32 v23, v24
	v_and_b32_e32 v20, v20, v21
	v_lshlrev_b32_e32 v21, 27, v19
	s_delay_alu instid0(VALU_DEP_4) | instskip(SKIP_2) | instid1(VALU_DEP_4)
	v_xor_b32_e32 v22, s16, v22
	v_cmp_gt_i32_e64 s16, 0, v24
	v_ashrrev_i32_e32 v23, 31, v23
	v_not_b32_e32 v24, v21
	s_delay_alu instid0(VALU_DEP_4) | instskip(SKIP_1) | instid1(VALU_DEP_4)
	v_and_b32_e32 v20, v20, v22
	v_lshlrev_b32_e32 v22, 26, v19
	v_xor_b32_e32 v23, s16, v23
	v_cmp_gt_i32_e64 s16, 0, v21
	v_ashrrev_i32_e32 v21, 31, v24
	s_delay_alu instid0(VALU_DEP_4) | instskip(NEXT) | instid1(VALU_DEP_4)
	v_not_b32_e32 v24, v22
	v_and_b32_e32 v20, v20, v23
	v_lshlrev_b32_e32 v23, 25, v19
	s_delay_alu instid0(VALU_DEP_4)
	v_xor_b32_e32 v21, s16, v21
	v_cmp_gt_i32_e64 s16, 0, v22
	v_ashrrev_i32_e32 v22, 31, v24
	v_lshlrev_b32_e32 v19, 24, v19
	v_not_b32_e32 v24, v23
	v_and_b32_e32 v20, v20, v21
	s_delay_alu instid0(VALU_DEP_4) | instskip(SKIP_1) | instid1(VALU_DEP_4)
	v_xor_b32_e32 v21, s16, v22
	v_cmp_gt_i32_e64 s16, 0, v23
	v_ashrrev_i32_e32 v22, 31, v24
	v_not_b32_e32 v23, v19
	s_delay_alu instid0(VALU_DEP_4) | instskip(NEXT) | instid1(VALU_DEP_3)
	v_and_b32_e32 v20, v20, v21
	v_xor_b32_e32 v21, s16, v22
	v_cmp_gt_i32_e64 s16, 0, v19
	s_delay_alu instid0(VALU_DEP_4) | instskip(NEXT) | instid1(VALU_DEP_3)
	v_ashrrev_i32_e32 v19, 31, v23
	v_and_b32_e32 v20, v20, v21
	s_delay_alu instid0(VALU_DEP_2) | instskip(NEXT) | instid1(VALU_DEP_1)
	v_xor_b32_e32 v19, s16, v19
	v_and_b32_e32 v19, v20, v19
	s_delay_alu instid0(VALU_DEP_1) | instskip(SKIP_1) | instid1(VALU_DEP_2)
	v_mbcnt_lo_u32_b32 v209, v19, 0
	v_cmp_ne_u32_e64 s17, 0, v19
	v_cmp_eq_u32_e64 s16, 0, v209
	s_delay_alu instid0(VALU_DEP_1) | instskip(NEXT) | instid1(SALU_CYCLE_1)
	s_and_b32 s17, s17, s16
	s_and_saveexec_b32 s16, s17
	s_cbranch_execz .LBB1953_67
; %bb.66:                               ;   in Loop: Header=BB1953_53 Depth=1
	s_waitcnt vmcnt(0) lgkmcnt(0)
	v_bcnt_u32_b32 v19, v19, v208
	flat_store_b32 v[144:145], v19
.LBB1953_67:                            ;   in Loop: Header=BB1953_53 Depth=1
	s_or_b32 exec_lo, exec_lo, s16
	v_cmp_ne_u16_e64 s16, 0x8000, v95
	; wave barrier
	s_delay_alu instid0(VALU_DEP_1) | instskip(NEXT) | instid1(VALU_DEP_1)
	v_cndmask_b32_e64 v19, 0x7fff, v95, s16
	v_and_b32_e32 v19, 0xffff, v19
	s_delay_alu instid0(VALU_DEP_1) | instskip(NEXT) | instid1(VALU_DEP_1)
	v_lshrrev_b32_e32 v19, v10, v19
	v_and_b32_e32 v19, v19, v18
	s_delay_alu instid0(VALU_DEP_1) | instskip(SKIP_3) | instid1(VALU_DEP_4)
	v_lshlrev_b32_e32 v20, 3, v19
	v_lshlrev_b32_e32 v22, 30, v19
	;; [unrolled: 1-line block ×4, first 2 shown]
	v_add_lshl_u32 v20, v20, v75, 2
	s_delay_alu instid0(VALU_DEP_1) | instskip(NEXT) | instid1(VALU_DEP_1)
	v_add_co_u32 v146, s16, v27, v20
	v_add_co_ci_u32_e64 v147, s16, 0, v74, s16
	v_and_b32_e32 v20, 1, v19
	flat_load_b32 v210, v[146:147]
	v_add_co_u32 v20, s16, v20, -1
	s_delay_alu instid0(VALU_DEP_1) | instskip(NEXT) | instid1(VALU_DEP_1)
	v_cndmask_b32_e64 v21, 0, 1, s16
	; wave barrier
	v_cmp_ne_u32_e64 s16, 0, v21
	v_not_b32_e32 v21, v22
	s_delay_alu instid0(VALU_DEP_2) | instskip(SKIP_1) | instid1(VALU_DEP_3)
	v_xor_b32_e32 v20, s16, v20
	v_cmp_gt_i32_e64 s16, 0, v22
	v_ashrrev_i32_e32 v21, 31, v21
	v_not_b32_e32 v22, v23
	s_delay_alu instid0(VALU_DEP_4) | instskip(NEXT) | instid1(VALU_DEP_3)
	v_and_b32_e32 v20, exec_lo, v20
	v_xor_b32_e32 v21, s16, v21
	v_cmp_gt_i32_e64 s16, 0, v23
	s_delay_alu instid0(VALU_DEP_4) | instskip(SKIP_1) | instid1(VALU_DEP_4)
	v_ashrrev_i32_e32 v22, 31, v22
	v_not_b32_e32 v23, v24
	v_and_b32_e32 v20, v20, v21
	v_lshlrev_b32_e32 v21, 27, v19
	s_delay_alu instid0(VALU_DEP_4) | instskip(SKIP_2) | instid1(VALU_DEP_4)
	v_xor_b32_e32 v22, s16, v22
	v_cmp_gt_i32_e64 s16, 0, v24
	v_ashrrev_i32_e32 v23, 31, v23
	v_not_b32_e32 v24, v21
	s_delay_alu instid0(VALU_DEP_4) | instskip(SKIP_1) | instid1(VALU_DEP_4)
	v_and_b32_e32 v20, v20, v22
	v_lshlrev_b32_e32 v22, 26, v19
	v_xor_b32_e32 v23, s16, v23
	v_cmp_gt_i32_e64 s16, 0, v21
	v_ashrrev_i32_e32 v21, 31, v24
	s_delay_alu instid0(VALU_DEP_4) | instskip(NEXT) | instid1(VALU_DEP_4)
	v_not_b32_e32 v24, v22
	v_and_b32_e32 v20, v20, v23
	v_lshlrev_b32_e32 v23, 25, v19
	s_delay_alu instid0(VALU_DEP_4)
	v_xor_b32_e32 v21, s16, v21
	v_cmp_gt_i32_e64 s16, 0, v22
	v_ashrrev_i32_e32 v22, 31, v24
	v_lshlrev_b32_e32 v19, 24, v19
	v_not_b32_e32 v24, v23
	v_and_b32_e32 v20, v20, v21
	s_delay_alu instid0(VALU_DEP_4) | instskip(SKIP_1) | instid1(VALU_DEP_4)
	v_xor_b32_e32 v21, s16, v22
	v_cmp_gt_i32_e64 s16, 0, v23
	v_ashrrev_i32_e32 v22, 31, v24
	v_not_b32_e32 v23, v19
	s_delay_alu instid0(VALU_DEP_4) | instskip(NEXT) | instid1(VALU_DEP_3)
	v_and_b32_e32 v20, v20, v21
	v_xor_b32_e32 v21, s16, v22
	v_cmp_gt_i32_e64 s16, 0, v19
	s_delay_alu instid0(VALU_DEP_4) | instskip(NEXT) | instid1(VALU_DEP_3)
	v_ashrrev_i32_e32 v19, 31, v23
	v_and_b32_e32 v20, v20, v21
	s_delay_alu instid0(VALU_DEP_2) | instskip(NEXT) | instid1(VALU_DEP_1)
	v_xor_b32_e32 v19, s16, v19
	v_and_b32_e32 v19, v20, v19
	s_delay_alu instid0(VALU_DEP_1) | instskip(SKIP_1) | instid1(VALU_DEP_2)
	v_mbcnt_lo_u32_b32 v211, v19, 0
	v_cmp_ne_u32_e64 s17, 0, v19
	v_cmp_eq_u32_e64 s16, 0, v211
	s_delay_alu instid0(VALU_DEP_1) | instskip(NEXT) | instid1(SALU_CYCLE_1)
	s_and_b32 s17, s17, s16
	s_and_saveexec_b32 s16, s17
	s_cbranch_execz .LBB1953_69
; %bb.68:                               ;   in Loop: Header=BB1953_53 Depth=1
	s_waitcnt vmcnt(0) lgkmcnt(0)
	v_bcnt_u32_b32 v19, v19, v210
	flat_store_b32 v[146:147], v19
.LBB1953_69:                            ;   in Loop: Header=BB1953_53 Depth=1
	s_or_b32 exec_lo, exec_lo, s16
	v_cmp_ne_u16_e64 s16, 0x8000, v94
	; wave barrier
	s_delay_alu instid0(VALU_DEP_1) | instskip(NEXT) | instid1(VALU_DEP_1)
	v_cndmask_b32_e64 v19, 0x7fff, v94, s16
	v_and_b32_e32 v19, 0xffff, v19
	s_delay_alu instid0(VALU_DEP_1) | instskip(NEXT) | instid1(VALU_DEP_1)
	v_lshrrev_b32_e32 v19, v10, v19
	v_and_b32_e32 v19, v19, v18
	s_delay_alu instid0(VALU_DEP_1) | instskip(SKIP_3) | instid1(VALU_DEP_4)
	v_lshlrev_b32_e32 v20, 3, v19
	v_lshlrev_b32_e32 v22, 30, v19
	;; [unrolled: 1-line block ×4, first 2 shown]
	v_add_lshl_u32 v20, v20, v75, 2
	s_delay_alu instid0(VALU_DEP_1) | instskip(NEXT) | instid1(VALU_DEP_1)
	v_add_co_u32 v148, s16, v27, v20
	v_add_co_ci_u32_e64 v149, s16, 0, v74, s16
	v_and_b32_e32 v20, 1, v19
	flat_load_b32 v212, v[148:149]
	v_add_co_u32 v20, s16, v20, -1
	s_delay_alu instid0(VALU_DEP_1) | instskip(NEXT) | instid1(VALU_DEP_1)
	v_cndmask_b32_e64 v21, 0, 1, s16
	; wave barrier
	v_cmp_ne_u32_e64 s16, 0, v21
	v_not_b32_e32 v21, v22
	s_delay_alu instid0(VALU_DEP_2) | instskip(SKIP_1) | instid1(VALU_DEP_3)
	v_xor_b32_e32 v20, s16, v20
	v_cmp_gt_i32_e64 s16, 0, v22
	v_ashrrev_i32_e32 v21, 31, v21
	v_not_b32_e32 v22, v23
	s_delay_alu instid0(VALU_DEP_4) | instskip(NEXT) | instid1(VALU_DEP_3)
	v_and_b32_e32 v20, exec_lo, v20
	v_xor_b32_e32 v21, s16, v21
	v_cmp_gt_i32_e64 s16, 0, v23
	s_delay_alu instid0(VALU_DEP_4) | instskip(SKIP_1) | instid1(VALU_DEP_4)
	v_ashrrev_i32_e32 v22, 31, v22
	v_not_b32_e32 v23, v24
	v_and_b32_e32 v20, v20, v21
	v_lshlrev_b32_e32 v21, 27, v19
	s_delay_alu instid0(VALU_DEP_4) | instskip(SKIP_2) | instid1(VALU_DEP_4)
	v_xor_b32_e32 v22, s16, v22
	v_cmp_gt_i32_e64 s16, 0, v24
	v_ashrrev_i32_e32 v23, 31, v23
	v_not_b32_e32 v24, v21
	s_delay_alu instid0(VALU_DEP_4) | instskip(SKIP_1) | instid1(VALU_DEP_4)
	v_and_b32_e32 v20, v20, v22
	v_lshlrev_b32_e32 v22, 26, v19
	v_xor_b32_e32 v23, s16, v23
	v_cmp_gt_i32_e64 s16, 0, v21
	v_ashrrev_i32_e32 v21, 31, v24
	s_delay_alu instid0(VALU_DEP_4) | instskip(NEXT) | instid1(VALU_DEP_4)
	v_not_b32_e32 v24, v22
	v_and_b32_e32 v20, v20, v23
	v_lshlrev_b32_e32 v23, 25, v19
	s_delay_alu instid0(VALU_DEP_4)
	v_xor_b32_e32 v21, s16, v21
	v_cmp_gt_i32_e64 s16, 0, v22
	v_ashrrev_i32_e32 v22, 31, v24
	v_lshlrev_b32_e32 v19, 24, v19
	v_not_b32_e32 v24, v23
	v_and_b32_e32 v20, v20, v21
	s_delay_alu instid0(VALU_DEP_4) | instskip(SKIP_1) | instid1(VALU_DEP_4)
	v_xor_b32_e32 v21, s16, v22
	v_cmp_gt_i32_e64 s16, 0, v23
	v_ashrrev_i32_e32 v22, 31, v24
	v_not_b32_e32 v23, v19
	s_delay_alu instid0(VALU_DEP_4) | instskip(NEXT) | instid1(VALU_DEP_3)
	v_and_b32_e32 v20, v20, v21
	v_xor_b32_e32 v21, s16, v22
	v_cmp_gt_i32_e64 s16, 0, v19
	s_delay_alu instid0(VALU_DEP_4) | instskip(NEXT) | instid1(VALU_DEP_3)
	v_ashrrev_i32_e32 v19, 31, v23
	v_and_b32_e32 v20, v20, v21
	s_delay_alu instid0(VALU_DEP_2) | instskip(NEXT) | instid1(VALU_DEP_1)
	v_xor_b32_e32 v19, s16, v19
	v_and_b32_e32 v19, v20, v19
	s_delay_alu instid0(VALU_DEP_1) | instskip(SKIP_1) | instid1(VALU_DEP_2)
	v_mbcnt_lo_u32_b32 v213, v19, 0
	v_cmp_ne_u32_e64 s17, 0, v19
	v_cmp_eq_u32_e64 s16, 0, v213
	s_delay_alu instid0(VALU_DEP_1) | instskip(NEXT) | instid1(SALU_CYCLE_1)
	s_and_b32 s17, s17, s16
	s_and_saveexec_b32 s16, s17
	s_cbranch_execz .LBB1953_71
; %bb.70:                               ;   in Loop: Header=BB1953_53 Depth=1
	s_waitcnt vmcnt(0) lgkmcnt(0)
	v_bcnt_u32_b32 v19, v19, v212
	flat_store_b32 v[148:149], v19
.LBB1953_71:                            ;   in Loop: Header=BB1953_53 Depth=1
	s_or_b32 exec_lo, exec_lo, s16
	v_cmp_ne_u16_e64 s16, 0x8000, v108
	; wave barrier
	s_delay_alu instid0(VALU_DEP_1) | instskip(NEXT) | instid1(VALU_DEP_1)
	v_cndmask_b32_e64 v19, 0x7fff, v108, s16
	v_and_b32_e32 v19, 0xffff, v19
	s_delay_alu instid0(VALU_DEP_1) | instskip(NEXT) | instid1(VALU_DEP_1)
	v_lshrrev_b32_e32 v19, v10, v19
	v_and_b32_e32 v19, v19, v18
	s_delay_alu instid0(VALU_DEP_1) | instskip(SKIP_3) | instid1(VALU_DEP_4)
	v_lshlrev_b32_e32 v20, 3, v19
	v_lshlrev_b32_e32 v22, 30, v19
	;; [unrolled: 1-line block ×4, first 2 shown]
	v_add_lshl_u32 v20, v20, v75, 2
	s_delay_alu instid0(VALU_DEP_1) | instskip(NEXT) | instid1(VALU_DEP_1)
	v_add_co_u32 v150, s16, v27, v20
	v_add_co_ci_u32_e64 v151, s16, 0, v74, s16
	v_and_b32_e32 v20, 1, v19
	flat_load_b32 v214, v[150:151]
	v_add_co_u32 v20, s16, v20, -1
	s_delay_alu instid0(VALU_DEP_1) | instskip(NEXT) | instid1(VALU_DEP_1)
	v_cndmask_b32_e64 v21, 0, 1, s16
	; wave barrier
	v_cmp_ne_u32_e64 s16, 0, v21
	v_not_b32_e32 v21, v22
	s_delay_alu instid0(VALU_DEP_2) | instskip(SKIP_1) | instid1(VALU_DEP_3)
	v_xor_b32_e32 v20, s16, v20
	v_cmp_gt_i32_e64 s16, 0, v22
	v_ashrrev_i32_e32 v21, 31, v21
	v_not_b32_e32 v22, v23
	s_delay_alu instid0(VALU_DEP_4) | instskip(NEXT) | instid1(VALU_DEP_3)
	v_and_b32_e32 v20, exec_lo, v20
	v_xor_b32_e32 v21, s16, v21
	v_cmp_gt_i32_e64 s16, 0, v23
	s_delay_alu instid0(VALU_DEP_4) | instskip(SKIP_1) | instid1(VALU_DEP_4)
	v_ashrrev_i32_e32 v22, 31, v22
	v_not_b32_e32 v23, v24
	v_and_b32_e32 v20, v20, v21
	v_lshlrev_b32_e32 v21, 27, v19
	s_delay_alu instid0(VALU_DEP_4) | instskip(SKIP_2) | instid1(VALU_DEP_4)
	v_xor_b32_e32 v22, s16, v22
	v_cmp_gt_i32_e64 s16, 0, v24
	v_ashrrev_i32_e32 v23, 31, v23
	v_not_b32_e32 v24, v21
	s_delay_alu instid0(VALU_DEP_4) | instskip(SKIP_1) | instid1(VALU_DEP_4)
	v_and_b32_e32 v20, v20, v22
	v_lshlrev_b32_e32 v22, 26, v19
	v_xor_b32_e32 v23, s16, v23
	v_cmp_gt_i32_e64 s16, 0, v21
	v_ashrrev_i32_e32 v21, 31, v24
	s_delay_alu instid0(VALU_DEP_4) | instskip(NEXT) | instid1(VALU_DEP_4)
	v_not_b32_e32 v24, v22
	v_and_b32_e32 v20, v20, v23
	v_lshlrev_b32_e32 v23, 25, v19
	s_delay_alu instid0(VALU_DEP_4)
	v_xor_b32_e32 v21, s16, v21
	v_cmp_gt_i32_e64 s16, 0, v22
	v_ashrrev_i32_e32 v22, 31, v24
	v_lshlrev_b32_e32 v19, 24, v19
	v_not_b32_e32 v24, v23
	v_and_b32_e32 v20, v20, v21
	s_delay_alu instid0(VALU_DEP_4) | instskip(SKIP_1) | instid1(VALU_DEP_4)
	v_xor_b32_e32 v21, s16, v22
	v_cmp_gt_i32_e64 s16, 0, v23
	v_ashrrev_i32_e32 v22, 31, v24
	v_not_b32_e32 v23, v19
	s_delay_alu instid0(VALU_DEP_4) | instskip(NEXT) | instid1(VALU_DEP_3)
	v_and_b32_e32 v20, v20, v21
	v_xor_b32_e32 v21, s16, v22
	v_cmp_gt_i32_e64 s16, 0, v19
	s_delay_alu instid0(VALU_DEP_4) | instskip(NEXT) | instid1(VALU_DEP_3)
	v_ashrrev_i32_e32 v19, 31, v23
	v_and_b32_e32 v20, v20, v21
	s_delay_alu instid0(VALU_DEP_2) | instskip(NEXT) | instid1(VALU_DEP_1)
	v_xor_b32_e32 v19, s16, v19
	v_and_b32_e32 v19, v20, v19
	s_delay_alu instid0(VALU_DEP_1) | instskip(SKIP_1) | instid1(VALU_DEP_2)
	v_mbcnt_lo_u32_b32 v215, v19, 0
	v_cmp_ne_u32_e64 s17, 0, v19
	v_cmp_eq_u32_e64 s16, 0, v215
	s_delay_alu instid0(VALU_DEP_1) | instskip(NEXT) | instid1(SALU_CYCLE_1)
	s_and_b32 s17, s17, s16
	s_and_saveexec_b32 s16, s17
	s_cbranch_execz .LBB1953_73
; %bb.72:                               ;   in Loop: Header=BB1953_53 Depth=1
	s_waitcnt vmcnt(0) lgkmcnt(0)
	v_bcnt_u32_b32 v19, v19, v214
	flat_store_b32 v[150:151], v19
.LBB1953_73:                            ;   in Loop: Header=BB1953_53 Depth=1
	s_or_b32 exec_lo, exec_lo, s16
	v_cmp_ne_u16_e64 s16, 0x8000, v107
	; wave barrier
	s_delay_alu instid0(VALU_DEP_1) | instskip(NEXT) | instid1(VALU_DEP_1)
	v_cndmask_b32_e64 v19, 0x7fff, v107, s16
	v_and_b32_e32 v19, 0xffff, v19
	s_delay_alu instid0(VALU_DEP_1) | instskip(NEXT) | instid1(VALU_DEP_1)
	v_lshrrev_b32_e32 v19, v10, v19
	v_and_b32_e32 v19, v19, v18
	s_delay_alu instid0(VALU_DEP_1) | instskip(SKIP_3) | instid1(VALU_DEP_4)
	v_lshlrev_b32_e32 v20, 3, v19
	v_lshlrev_b32_e32 v22, 30, v19
	;; [unrolled: 1-line block ×4, first 2 shown]
	v_add_lshl_u32 v20, v20, v75, 2
	s_delay_alu instid0(VALU_DEP_1) | instskip(NEXT) | instid1(VALU_DEP_1)
	v_add_co_u32 v160, s16, v27, v20
	v_add_co_ci_u32_e64 v161, s16, 0, v74, s16
	v_and_b32_e32 v20, 1, v19
	flat_load_b32 v224, v[160:161]
	v_add_co_u32 v20, s16, v20, -1
	s_delay_alu instid0(VALU_DEP_1) | instskip(NEXT) | instid1(VALU_DEP_1)
	v_cndmask_b32_e64 v21, 0, 1, s16
	; wave barrier
	v_cmp_ne_u32_e64 s16, 0, v21
	v_not_b32_e32 v21, v22
	s_delay_alu instid0(VALU_DEP_2) | instskip(SKIP_1) | instid1(VALU_DEP_3)
	v_xor_b32_e32 v20, s16, v20
	v_cmp_gt_i32_e64 s16, 0, v22
	v_ashrrev_i32_e32 v21, 31, v21
	v_not_b32_e32 v22, v23
	s_delay_alu instid0(VALU_DEP_4) | instskip(NEXT) | instid1(VALU_DEP_3)
	v_and_b32_e32 v20, exec_lo, v20
	v_xor_b32_e32 v21, s16, v21
	v_cmp_gt_i32_e64 s16, 0, v23
	s_delay_alu instid0(VALU_DEP_4) | instskip(SKIP_1) | instid1(VALU_DEP_4)
	v_ashrrev_i32_e32 v22, 31, v22
	v_not_b32_e32 v23, v24
	v_and_b32_e32 v20, v20, v21
	v_lshlrev_b32_e32 v21, 27, v19
	s_delay_alu instid0(VALU_DEP_4) | instskip(SKIP_2) | instid1(VALU_DEP_4)
	v_xor_b32_e32 v22, s16, v22
	v_cmp_gt_i32_e64 s16, 0, v24
	v_ashrrev_i32_e32 v23, 31, v23
	v_not_b32_e32 v24, v21
	s_delay_alu instid0(VALU_DEP_4) | instskip(SKIP_1) | instid1(VALU_DEP_4)
	v_and_b32_e32 v20, v20, v22
	v_lshlrev_b32_e32 v22, 26, v19
	v_xor_b32_e32 v23, s16, v23
	v_cmp_gt_i32_e64 s16, 0, v21
	v_ashrrev_i32_e32 v21, 31, v24
	s_delay_alu instid0(VALU_DEP_4) | instskip(NEXT) | instid1(VALU_DEP_4)
	v_not_b32_e32 v24, v22
	v_and_b32_e32 v20, v20, v23
	v_lshlrev_b32_e32 v23, 25, v19
	s_delay_alu instid0(VALU_DEP_4)
	v_xor_b32_e32 v21, s16, v21
	v_cmp_gt_i32_e64 s16, 0, v22
	v_ashrrev_i32_e32 v22, 31, v24
	v_lshlrev_b32_e32 v19, 24, v19
	v_not_b32_e32 v24, v23
	v_and_b32_e32 v20, v20, v21
	s_delay_alu instid0(VALU_DEP_4) | instskip(SKIP_1) | instid1(VALU_DEP_4)
	v_xor_b32_e32 v21, s16, v22
	v_cmp_gt_i32_e64 s16, 0, v23
	v_ashrrev_i32_e32 v22, 31, v24
	v_not_b32_e32 v23, v19
	s_delay_alu instid0(VALU_DEP_4) | instskip(NEXT) | instid1(VALU_DEP_3)
	v_and_b32_e32 v20, v20, v21
	v_xor_b32_e32 v21, s16, v22
	v_cmp_gt_i32_e64 s16, 0, v19
	s_delay_alu instid0(VALU_DEP_4) | instskip(NEXT) | instid1(VALU_DEP_3)
	v_ashrrev_i32_e32 v19, 31, v23
	v_and_b32_e32 v20, v20, v21
	s_delay_alu instid0(VALU_DEP_2) | instskip(NEXT) | instid1(VALU_DEP_1)
	v_xor_b32_e32 v19, s16, v19
	v_and_b32_e32 v19, v20, v19
	s_delay_alu instid0(VALU_DEP_1) | instskip(SKIP_1) | instid1(VALU_DEP_2)
	v_mbcnt_lo_u32_b32 v225, v19, 0
	v_cmp_ne_u32_e64 s17, 0, v19
	v_cmp_eq_u32_e64 s16, 0, v225
	s_delay_alu instid0(VALU_DEP_1) | instskip(NEXT) | instid1(SALU_CYCLE_1)
	s_and_b32 s17, s17, s16
	s_and_saveexec_b32 s16, s17
	s_cbranch_execz .LBB1953_75
; %bb.74:                               ;   in Loop: Header=BB1953_53 Depth=1
	s_waitcnt vmcnt(0) lgkmcnt(0)
	v_bcnt_u32_b32 v19, v19, v224
	flat_store_b32 v[160:161], v19
.LBB1953_75:                            ;   in Loop: Header=BB1953_53 Depth=1
	s_or_b32 exec_lo, exec_lo, s16
	v_cmp_ne_u16_e64 s16, 0x8000, v106
	; wave barrier
	s_delay_alu instid0(VALU_DEP_1) | instskip(NEXT) | instid1(VALU_DEP_1)
	v_cndmask_b32_e64 v19, 0x7fff, v106, s16
	v_and_b32_e32 v19, 0xffff, v19
	s_delay_alu instid0(VALU_DEP_1) | instskip(NEXT) | instid1(VALU_DEP_1)
	v_lshrrev_b32_e32 v19, v10, v19
	v_and_b32_e32 v19, v19, v18
	s_delay_alu instid0(VALU_DEP_1) | instskip(SKIP_3) | instid1(VALU_DEP_4)
	v_lshlrev_b32_e32 v20, 3, v19
	v_lshlrev_b32_e32 v22, 30, v19
	;; [unrolled: 1-line block ×4, first 2 shown]
	v_add_lshl_u32 v20, v20, v75, 2
	s_delay_alu instid0(VALU_DEP_1) | instskip(NEXT) | instid1(VALU_DEP_1)
	v_add_co_u32 v162, s16, v27, v20
	v_add_co_ci_u32_e64 v163, s16, 0, v74, s16
	v_and_b32_e32 v20, 1, v19
	flat_load_b32 v226, v[162:163]
	v_add_co_u32 v20, s16, v20, -1
	s_delay_alu instid0(VALU_DEP_1) | instskip(NEXT) | instid1(VALU_DEP_1)
	v_cndmask_b32_e64 v21, 0, 1, s16
	; wave barrier
	v_cmp_ne_u32_e64 s16, 0, v21
	v_not_b32_e32 v21, v22
	s_delay_alu instid0(VALU_DEP_2) | instskip(SKIP_1) | instid1(VALU_DEP_3)
	v_xor_b32_e32 v20, s16, v20
	v_cmp_gt_i32_e64 s16, 0, v22
	v_ashrrev_i32_e32 v21, 31, v21
	v_not_b32_e32 v22, v23
	s_delay_alu instid0(VALU_DEP_4) | instskip(NEXT) | instid1(VALU_DEP_3)
	v_and_b32_e32 v20, exec_lo, v20
	v_xor_b32_e32 v21, s16, v21
	v_cmp_gt_i32_e64 s16, 0, v23
	s_delay_alu instid0(VALU_DEP_4) | instskip(SKIP_1) | instid1(VALU_DEP_4)
	v_ashrrev_i32_e32 v22, 31, v22
	v_not_b32_e32 v23, v24
	v_and_b32_e32 v20, v20, v21
	v_lshlrev_b32_e32 v21, 27, v19
	s_delay_alu instid0(VALU_DEP_4) | instskip(SKIP_2) | instid1(VALU_DEP_4)
	v_xor_b32_e32 v22, s16, v22
	v_cmp_gt_i32_e64 s16, 0, v24
	v_ashrrev_i32_e32 v23, 31, v23
	v_not_b32_e32 v24, v21
	s_delay_alu instid0(VALU_DEP_4) | instskip(SKIP_1) | instid1(VALU_DEP_4)
	v_and_b32_e32 v20, v20, v22
	v_lshlrev_b32_e32 v22, 26, v19
	v_xor_b32_e32 v23, s16, v23
	v_cmp_gt_i32_e64 s16, 0, v21
	v_ashrrev_i32_e32 v21, 31, v24
	s_delay_alu instid0(VALU_DEP_4) | instskip(NEXT) | instid1(VALU_DEP_4)
	v_not_b32_e32 v24, v22
	v_and_b32_e32 v20, v20, v23
	v_lshlrev_b32_e32 v23, 25, v19
	s_delay_alu instid0(VALU_DEP_4)
	v_xor_b32_e32 v21, s16, v21
	v_cmp_gt_i32_e64 s16, 0, v22
	v_ashrrev_i32_e32 v22, 31, v24
	v_lshlrev_b32_e32 v19, 24, v19
	v_not_b32_e32 v24, v23
	v_and_b32_e32 v20, v20, v21
	s_delay_alu instid0(VALU_DEP_4) | instskip(SKIP_1) | instid1(VALU_DEP_4)
	v_xor_b32_e32 v21, s16, v22
	v_cmp_gt_i32_e64 s16, 0, v23
	v_ashrrev_i32_e32 v22, 31, v24
	v_not_b32_e32 v23, v19
	s_delay_alu instid0(VALU_DEP_4) | instskip(NEXT) | instid1(VALU_DEP_3)
	v_and_b32_e32 v20, v20, v21
	v_xor_b32_e32 v21, s16, v22
	v_cmp_gt_i32_e64 s16, 0, v19
	s_delay_alu instid0(VALU_DEP_4) | instskip(NEXT) | instid1(VALU_DEP_3)
	v_ashrrev_i32_e32 v19, 31, v23
	v_and_b32_e32 v20, v20, v21
	s_delay_alu instid0(VALU_DEP_2) | instskip(NEXT) | instid1(VALU_DEP_1)
	v_xor_b32_e32 v19, s16, v19
	v_and_b32_e32 v19, v20, v19
	s_delay_alu instid0(VALU_DEP_1) | instskip(SKIP_1) | instid1(VALU_DEP_2)
	v_mbcnt_lo_u32_b32 v227, v19, 0
	v_cmp_ne_u32_e64 s17, 0, v19
	v_cmp_eq_u32_e64 s16, 0, v227
	s_delay_alu instid0(VALU_DEP_1) | instskip(NEXT) | instid1(SALU_CYCLE_1)
	s_and_b32 s17, s17, s16
	s_and_saveexec_b32 s16, s17
	s_cbranch_execz .LBB1953_77
; %bb.76:                               ;   in Loop: Header=BB1953_53 Depth=1
	s_waitcnt vmcnt(0) lgkmcnt(0)
	v_bcnt_u32_b32 v19, v19, v226
	flat_store_b32 v[162:163], v19
.LBB1953_77:                            ;   in Loop: Header=BB1953_53 Depth=1
	s_or_b32 exec_lo, exec_lo, s16
	v_cmp_ne_u16_e64 s16, 0x8000, v105
	; wave barrier
	s_delay_alu instid0(VALU_DEP_1) | instskip(NEXT) | instid1(VALU_DEP_1)
	v_cndmask_b32_e64 v19, 0x7fff, v105, s16
	v_and_b32_e32 v19, 0xffff, v19
	s_delay_alu instid0(VALU_DEP_1) | instskip(NEXT) | instid1(VALU_DEP_1)
	v_lshrrev_b32_e32 v19, v10, v19
	v_and_b32_e32 v19, v19, v18
	s_delay_alu instid0(VALU_DEP_1) | instskip(SKIP_3) | instid1(VALU_DEP_4)
	v_lshlrev_b32_e32 v20, 3, v19
	v_lshlrev_b32_e32 v22, 30, v19
	;; [unrolled: 1-line block ×4, first 2 shown]
	v_add_lshl_u32 v20, v20, v75, 2
	s_delay_alu instid0(VALU_DEP_1) | instskip(NEXT) | instid1(VALU_DEP_1)
	v_add_co_u32 v164, s16, v27, v20
	v_add_co_ci_u32_e64 v165, s16, 0, v74, s16
	v_and_b32_e32 v20, 1, v19
	flat_load_b32 v228, v[164:165]
	v_add_co_u32 v20, s16, v20, -1
	s_delay_alu instid0(VALU_DEP_1) | instskip(NEXT) | instid1(VALU_DEP_1)
	v_cndmask_b32_e64 v21, 0, 1, s16
	; wave barrier
	v_cmp_ne_u32_e64 s16, 0, v21
	v_not_b32_e32 v21, v22
	s_delay_alu instid0(VALU_DEP_2) | instskip(SKIP_1) | instid1(VALU_DEP_3)
	v_xor_b32_e32 v20, s16, v20
	v_cmp_gt_i32_e64 s16, 0, v22
	v_ashrrev_i32_e32 v21, 31, v21
	v_not_b32_e32 v22, v23
	s_delay_alu instid0(VALU_DEP_4) | instskip(NEXT) | instid1(VALU_DEP_3)
	v_and_b32_e32 v20, exec_lo, v20
	v_xor_b32_e32 v21, s16, v21
	v_cmp_gt_i32_e64 s16, 0, v23
	s_delay_alu instid0(VALU_DEP_4) | instskip(SKIP_1) | instid1(VALU_DEP_4)
	v_ashrrev_i32_e32 v22, 31, v22
	v_not_b32_e32 v23, v24
	v_and_b32_e32 v20, v20, v21
	v_lshlrev_b32_e32 v21, 27, v19
	s_delay_alu instid0(VALU_DEP_4) | instskip(SKIP_2) | instid1(VALU_DEP_4)
	v_xor_b32_e32 v22, s16, v22
	v_cmp_gt_i32_e64 s16, 0, v24
	v_ashrrev_i32_e32 v23, 31, v23
	v_not_b32_e32 v24, v21
	s_delay_alu instid0(VALU_DEP_4) | instskip(SKIP_1) | instid1(VALU_DEP_4)
	v_and_b32_e32 v20, v20, v22
	v_lshlrev_b32_e32 v22, 26, v19
	v_xor_b32_e32 v23, s16, v23
	v_cmp_gt_i32_e64 s16, 0, v21
	v_ashrrev_i32_e32 v21, 31, v24
	s_delay_alu instid0(VALU_DEP_4) | instskip(NEXT) | instid1(VALU_DEP_4)
	v_not_b32_e32 v24, v22
	v_and_b32_e32 v20, v20, v23
	v_lshlrev_b32_e32 v23, 25, v19
	s_delay_alu instid0(VALU_DEP_4)
	v_xor_b32_e32 v21, s16, v21
	v_cmp_gt_i32_e64 s16, 0, v22
	v_ashrrev_i32_e32 v22, 31, v24
	v_lshlrev_b32_e32 v19, 24, v19
	v_not_b32_e32 v24, v23
	v_and_b32_e32 v20, v20, v21
	s_delay_alu instid0(VALU_DEP_4) | instskip(SKIP_1) | instid1(VALU_DEP_4)
	v_xor_b32_e32 v21, s16, v22
	v_cmp_gt_i32_e64 s16, 0, v23
	v_ashrrev_i32_e32 v22, 31, v24
	v_not_b32_e32 v23, v19
	s_delay_alu instid0(VALU_DEP_4) | instskip(NEXT) | instid1(VALU_DEP_3)
	v_and_b32_e32 v20, v20, v21
	v_xor_b32_e32 v21, s16, v22
	v_cmp_gt_i32_e64 s16, 0, v19
	s_delay_alu instid0(VALU_DEP_4) | instskip(NEXT) | instid1(VALU_DEP_3)
	v_ashrrev_i32_e32 v19, 31, v23
	v_and_b32_e32 v20, v20, v21
	s_delay_alu instid0(VALU_DEP_2) | instskip(NEXT) | instid1(VALU_DEP_1)
	v_xor_b32_e32 v19, s16, v19
	v_and_b32_e32 v19, v20, v19
	s_delay_alu instid0(VALU_DEP_1) | instskip(SKIP_1) | instid1(VALU_DEP_2)
	v_mbcnt_lo_u32_b32 v229, v19, 0
	v_cmp_ne_u32_e64 s17, 0, v19
	v_cmp_eq_u32_e64 s16, 0, v229
	s_delay_alu instid0(VALU_DEP_1) | instskip(NEXT) | instid1(SALU_CYCLE_1)
	s_and_b32 s17, s17, s16
	s_and_saveexec_b32 s16, s17
	s_cbranch_execz .LBB1953_79
; %bb.78:                               ;   in Loop: Header=BB1953_53 Depth=1
	s_waitcnt vmcnt(0) lgkmcnt(0)
	v_bcnt_u32_b32 v19, v19, v228
	flat_store_b32 v[164:165], v19
.LBB1953_79:                            ;   in Loop: Header=BB1953_53 Depth=1
	s_or_b32 exec_lo, exec_lo, s16
	v_cmp_ne_u16_e64 s16, 0x8000, v109
	; wave barrier
	s_delay_alu instid0(VALU_DEP_1) | instskip(NEXT) | instid1(VALU_DEP_1)
	v_cndmask_b32_e64 v19, 0x7fff, v109, s16
	v_and_b32_e32 v19, 0xffff, v19
	s_delay_alu instid0(VALU_DEP_1) | instskip(NEXT) | instid1(VALU_DEP_1)
	v_lshrrev_b32_e32 v19, v10, v19
	v_and_b32_e32 v19, v19, v18
	s_delay_alu instid0(VALU_DEP_1) | instskip(SKIP_3) | instid1(VALU_DEP_4)
	v_lshlrev_b32_e32 v20, 3, v19
	v_lshlrev_b32_e32 v22, 30, v19
	;; [unrolled: 1-line block ×4, first 2 shown]
	v_add_lshl_u32 v20, v20, v75, 2
	s_delay_alu instid0(VALU_DEP_1) | instskip(NEXT) | instid1(VALU_DEP_1)
	v_add_co_u32 v166, s16, v27, v20
	v_add_co_ci_u32_e64 v167, s16, 0, v74, s16
	v_and_b32_e32 v20, 1, v19
	flat_load_b32 v230, v[166:167]
	v_add_co_u32 v20, s16, v20, -1
	s_delay_alu instid0(VALU_DEP_1) | instskip(NEXT) | instid1(VALU_DEP_1)
	v_cndmask_b32_e64 v21, 0, 1, s16
	; wave barrier
	v_cmp_ne_u32_e64 s16, 0, v21
	v_not_b32_e32 v21, v22
	s_delay_alu instid0(VALU_DEP_2) | instskip(SKIP_1) | instid1(VALU_DEP_3)
	v_xor_b32_e32 v20, s16, v20
	v_cmp_gt_i32_e64 s16, 0, v22
	v_ashrrev_i32_e32 v21, 31, v21
	v_not_b32_e32 v22, v23
	s_delay_alu instid0(VALU_DEP_4) | instskip(NEXT) | instid1(VALU_DEP_3)
	v_and_b32_e32 v20, exec_lo, v20
	v_xor_b32_e32 v21, s16, v21
	v_cmp_gt_i32_e64 s16, 0, v23
	s_delay_alu instid0(VALU_DEP_4) | instskip(SKIP_1) | instid1(VALU_DEP_4)
	v_ashrrev_i32_e32 v22, 31, v22
	v_not_b32_e32 v23, v24
	v_and_b32_e32 v20, v20, v21
	v_lshlrev_b32_e32 v21, 27, v19
	s_delay_alu instid0(VALU_DEP_4) | instskip(SKIP_2) | instid1(VALU_DEP_4)
	v_xor_b32_e32 v22, s16, v22
	v_cmp_gt_i32_e64 s16, 0, v24
	v_ashrrev_i32_e32 v23, 31, v23
	v_not_b32_e32 v24, v21
	s_delay_alu instid0(VALU_DEP_4) | instskip(SKIP_1) | instid1(VALU_DEP_4)
	v_and_b32_e32 v20, v20, v22
	v_lshlrev_b32_e32 v22, 26, v19
	v_xor_b32_e32 v23, s16, v23
	v_cmp_gt_i32_e64 s16, 0, v21
	v_ashrrev_i32_e32 v21, 31, v24
	s_delay_alu instid0(VALU_DEP_4) | instskip(NEXT) | instid1(VALU_DEP_4)
	v_not_b32_e32 v24, v22
	v_and_b32_e32 v20, v20, v23
	v_lshlrev_b32_e32 v23, 25, v19
	s_delay_alu instid0(VALU_DEP_4)
	v_xor_b32_e32 v21, s16, v21
	v_cmp_gt_i32_e64 s16, 0, v22
	v_ashrrev_i32_e32 v22, 31, v24
	v_lshlrev_b32_e32 v19, 24, v19
	v_not_b32_e32 v24, v23
	v_and_b32_e32 v20, v20, v21
	s_delay_alu instid0(VALU_DEP_4) | instskip(SKIP_1) | instid1(VALU_DEP_4)
	v_xor_b32_e32 v21, s16, v22
	v_cmp_gt_i32_e64 s16, 0, v23
	v_ashrrev_i32_e32 v22, 31, v24
	v_not_b32_e32 v23, v19
	s_delay_alu instid0(VALU_DEP_4) | instskip(NEXT) | instid1(VALU_DEP_3)
	v_and_b32_e32 v20, v20, v21
	v_xor_b32_e32 v21, s16, v22
	v_cmp_gt_i32_e64 s16, 0, v19
	s_delay_alu instid0(VALU_DEP_4) | instskip(NEXT) | instid1(VALU_DEP_3)
	v_ashrrev_i32_e32 v19, 31, v23
	v_and_b32_e32 v20, v20, v21
	s_delay_alu instid0(VALU_DEP_2) | instskip(NEXT) | instid1(VALU_DEP_1)
	v_xor_b32_e32 v19, s16, v19
	v_and_b32_e32 v19, v20, v19
	s_delay_alu instid0(VALU_DEP_1) | instskip(SKIP_1) | instid1(VALU_DEP_2)
	v_mbcnt_lo_u32_b32 v231, v19, 0
	v_cmp_ne_u32_e64 s17, 0, v19
	v_cmp_eq_u32_e64 s16, 0, v231
	s_delay_alu instid0(VALU_DEP_1) | instskip(NEXT) | instid1(SALU_CYCLE_1)
	s_and_b32 s17, s17, s16
	s_and_saveexec_b32 s16, s17
	s_cbranch_execz .LBB1953_81
; %bb.80:                               ;   in Loop: Header=BB1953_53 Depth=1
	s_waitcnt vmcnt(0) lgkmcnt(0)
	v_bcnt_u32_b32 v19, v19, v230
	flat_store_b32 v[166:167], v19
.LBB1953_81:                            ;   in Loop: Header=BB1953_53 Depth=1
	s_or_b32 exec_lo, exec_lo, s16
	v_cmp_ne_u16_e64 s16, 0x8000, v93
	; wave barrier
	s_delay_alu instid0(VALU_DEP_1) | instskip(NEXT) | instid1(VALU_DEP_1)
	v_cndmask_b32_e64 v19, 0x7fff, v93, s16
	v_and_b32_e32 v19, 0xffff, v19
	s_delay_alu instid0(VALU_DEP_1) | instskip(NEXT) | instid1(VALU_DEP_1)
	v_lshrrev_b32_e32 v19, v10, v19
	v_and_b32_e32 v19, v19, v18
	s_delay_alu instid0(VALU_DEP_1) | instskip(SKIP_3) | instid1(VALU_DEP_4)
	v_lshlrev_b32_e32 v20, 3, v19
	v_lshlrev_b32_e32 v22, 30, v19
	;; [unrolled: 1-line block ×4, first 2 shown]
	v_add_lshl_u32 v20, v20, v75, 2
	s_delay_alu instid0(VALU_DEP_1) | instskip(NEXT) | instid1(VALU_DEP_1)
	v_add_co_u32 v176, s16, v27, v20
	v_add_co_ci_u32_e64 v177, s16, 0, v74, s16
	v_and_b32_e32 v20, 1, v19
	flat_load_b32 v240, v[176:177]
	v_add_co_u32 v20, s16, v20, -1
	s_delay_alu instid0(VALU_DEP_1) | instskip(NEXT) | instid1(VALU_DEP_1)
	v_cndmask_b32_e64 v21, 0, 1, s16
	; wave barrier
	v_cmp_ne_u32_e64 s16, 0, v21
	v_not_b32_e32 v21, v22
	s_delay_alu instid0(VALU_DEP_2) | instskip(SKIP_1) | instid1(VALU_DEP_3)
	v_xor_b32_e32 v20, s16, v20
	v_cmp_gt_i32_e64 s16, 0, v22
	v_ashrrev_i32_e32 v21, 31, v21
	v_not_b32_e32 v22, v23
	s_delay_alu instid0(VALU_DEP_4) | instskip(NEXT) | instid1(VALU_DEP_3)
	v_and_b32_e32 v20, exec_lo, v20
	v_xor_b32_e32 v21, s16, v21
	v_cmp_gt_i32_e64 s16, 0, v23
	s_delay_alu instid0(VALU_DEP_4) | instskip(SKIP_1) | instid1(VALU_DEP_4)
	v_ashrrev_i32_e32 v22, 31, v22
	v_not_b32_e32 v23, v24
	v_and_b32_e32 v20, v20, v21
	v_lshlrev_b32_e32 v21, 27, v19
	s_delay_alu instid0(VALU_DEP_4) | instskip(SKIP_2) | instid1(VALU_DEP_4)
	v_xor_b32_e32 v22, s16, v22
	v_cmp_gt_i32_e64 s16, 0, v24
	v_ashrrev_i32_e32 v23, 31, v23
	v_not_b32_e32 v24, v21
	s_delay_alu instid0(VALU_DEP_4) | instskip(SKIP_1) | instid1(VALU_DEP_4)
	v_and_b32_e32 v20, v20, v22
	v_lshlrev_b32_e32 v22, 26, v19
	v_xor_b32_e32 v23, s16, v23
	v_cmp_gt_i32_e64 s16, 0, v21
	v_ashrrev_i32_e32 v21, 31, v24
	s_delay_alu instid0(VALU_DEP_4) | instskip(NEXT) | instid1(VALU_DEP_4)
	v_not_b32_e32 v24, v22
	v_and_b32_e32 v20, v20, v23
	v_lshlrev_b32_e32 v23, 25, v19
	s_delay_alu instid0(VALU_DEP_4)
	v_xor_b32_e32 v21, s16, v21
	v_cmp_gt_i32_e64 s16, 0, v22
	v_ashrrev_i32_e32 v22, 31, v24
	v_lshlrev_b32_e32 v19, 24, v19
	v_not_b32_e32 v24, v23
	v_and_b32_e32 v20, v20, v21
	s_delay_alu instid0(VALU_DEP_4) | instskip(SKIP_1) | instid1(VALU_DEP_4)
	v_xor_b32_e32 v21, s16, v22
	v_cmp_gt_i32_e64 s16, 0, v23
	v_ashrrev_i32_e32 v22, 31, v24
	v_not_b32_e32 v23, v19
	s_delay_alu instid0(VALU_DEP_4) | instskip(NEXT) | instid1(VALU_DEP_3)
	v_and_b32_e32 v20, v20, v21
	v_xor_b32_e32 v21, s16, v22
	v_cmp_gt_i32_e64 s16, 0, v19
	s_delay_alu instid0(VALU_DEP_4) | instskip(NEXT) | instid1(VALU_DEP_3)
	v_ashrrev_i32_e32 v19, 31, v23
	v_and_b32_e32 v20, v20, v21
	s_delay_alu instid0(VALU_DEP_2) | instskip(NEXT) | instid1(VALU_DEP_1)
	v_xor_b32_e32 v19, s16, v19
	v_and_b32_e32 v19, v20, v19
	s_delay_alu instid0(VALU_DEP_1) | instskip(SKIP_1) | instid1(VALU_DEP_2)
	v_mbcnt_lo_u32_b32 v241, v19, 0
	v_cmp_ne_u32_e64 s17, 0, v19
	v_cmp_eq_u32_e64 s16, 0, v241
	s_delay_alu instid0(VALU_DEP_1) | instskip(NEXT) | instid1(SALU_CYCLE_1)
	s_and_b32 s17, s17, s16
	s_and_saveexec_b32 s16, s17
	s_cbranch_execz .LBB1953_83
; %bb.82:                               ;   in Loop: Header=BB1953_53 Depth=1
	s_waitcnt vmcnt(0) lgkmcnt(0)
	v_bcnt_u32_b32 v19, v19, v240
	flat_store_b32 v[176:177], v19
.LBB1953_83:                            ;   in Loop: Header=BB1953_53 Depth=1
	s_or_b32 exec_lo, exec_lo, s16
	v_cmp_ne_u16_e64 s16, 0x8000, v92
	; wave barrier
	s_delay_alu instid0(VALU_DEP_1) | instskip(NEXT) | instid1(VALU_DEP_1)
	v_cndmask_b32_e64 v19, 0x7fff, v92, s16
	v_and_b32_e32 v19, 0xffff, v19
	s_delay_alu instid0(VALU_DEP_1) | instskip(NEXT) | instid1(VALU_DEP_1)
	v_lshrrev_b32_e32 v19, v10, v19
	v_and_b32_e32 v18, v19, v18
	s_delay_alu instid0(VALU_DEP_1) | instskip(SKIP_3) | instid1(VALU_DEP_4)
	v_lshlrev_b32_e32 v19, 3, v18
	v_lshlrev_b32_e32 v21, 30, v18
	;; [unrolled: 1-line block ×4, first 2 shown]
	v_add_lshl_u32 v19, v19, v75, 2
	s_delay_alu instid0(VALU_DEP_1) | instskip(NEXT) | instid1(VALU_DEP_1)
	v_add_co_u32 v178, s16, v27, v19
	v_add_co_ci_u32_e64 v179, s16, 0, v74, s16
	v_and_b32_e32 v19, 1, v18
	flat_load_b32 v242, v[178:179]
	v_add_co_u32 v19, s16, v19, -1
	s_delay_alu instid0(VALU_DEP_1) | instskip(NEXT) | instid1(VALU_DEP_1)
	v_cndmask_b32_e64 v20, 0, 1, s16
	; wave barrier
	v_cmp_ne_u32_e64 s16, 0, v20
	v_not_b32_e32 v20, v21
	s_delay_alu instid0(VALU_DEP_2) | instskip(SKIP_1) | instid1(VALU_DEP_3)
	v_xor_b32_e32 v19, s16, v19
	v_cmp_gt_i32_e64 s16, 0, v21
	v_ashrrev_i32_e32 v20, 31, v20
	v_not_b32_e32 v21, v22
	s_delay_alu instid0(VALU_DEP_4) | instskip(NEXT) | instid1(VALU_DEP_3)
	v_and_b32_e32 v19, exec_lo, v19
	v_xor_b32_e32 v20, s16, v20
	v_cmp_gt_i32_e64 s16, 0, v22
	s_delay_alu instid0(VALU_DEP_4) | instskip(SKIP_1) | instid1(VALU_DEP_4)
	v_ashrrev_i32_e32 v21, 31, v21
	v_not_b32_e32 v22, v23
	v_and_b32_e32 v19, v19, v20
	v_lshlrev_b32_e32 v20, 27, v18
	s_delay_alu instid0(VALU_DEP_4) | instskip(SKIP_2) | instid1(VALU_DEP_4)
	v_xor_b32_e32 v21, s16, v21
	v_cmp_gt_i32_e64 s16, 0, v23
	v_ashrrev_i32_e32 v22, 31, v22
	v_not_b32_e32 v23, v20
	s_delay_alu instid0(VALU_DEP_4) | instskip(SKIP_1) | instid1(VALU_DEP_4)
	v_and_b32_e32 v19, v19, v21
	v_lshlrev_b32_e32 v21, 26, v18
	v_xor_b32_e32 v22, s16, v22
	v_cmp_gt_i32_e64 s16, 0, v20
	v_ashrrev_i32_e32 v20, 31, v23
	s_delay_alu instid0(VALU_DEP_4) | instskip(NEXT) | instid1(VALU_DEP_4)
	v_not_b32_e32 v23, v21
	v_and_b32_e32 v19, v19, v22
	v_lshlrev_b32_e32 v22, 25, v18
	s_delay_alu instid0(VALU_DEP_4)
	v_xor_b32_e32 v20, s16, v20
	v_cmp_gt_i32_e64 s16, 0, v21
	v_ashrrev_i32_e32 v21, 31, v23
	v_lshlrev_b32_e32 v18, 24, v18
	v_not_b32_e32 v23, v22
	v_and_b32_e32 v19, v19, v20
	s_delay_alu instid0(VALU_DEP_4) | instskip(SKIP_1) | instid1(VALU_DEP_4)
	v_xor_b32_e32 v20, s16, v21
	v_cmp_gt_i32_e64 s16, 0, v22
	v_ashrrev_i32_e32 v21, 31, v23
	v_not_b32_e32 v22, v18
	s_delay_alu instid0(VALU_DEP_4) | instskip(NEXT) | instid1(VALU_DEP_3)
	v_and_b32_e32 v19, v19, v20
	v_xor_b32_e32 v20, s16, v21
	v_cmp_gt_i32_e64 s16, 0, v18
	s_delay_alu instid0(VALU_DEP_4) | instskip(NEXT) | instid1(VALU_DEP_3)
	v_ashrrev_i32_e32 v18, 31, v22
	v_and_b32_e32 v19, v19, v20
	s_delay_alu instid0(VALU_DEP_2) | instskip(NEXT) | instid1(VALU_DEP_1)
	v_xor_b32_e32 v18, s16, v18
	v_and_b32_e32 v18, v19, v18
	s_delay_alu instid0(VALU_DEP_1) | instskip(SKIP_1) | instid1(VALU_DEP_2)
	v_mbcnt_lo_u32_b32 v243, v18, 0
	v_cmp_ne_u32_e64 s17, 0, v18
	v_cmp_eq_u32_e64 s16, 0, v243
	s_delay_alu instid0(VALU_DEP_1) | instskip(NEXT) | instid1(SALU_CYCLE_1)
	s_and_b32 s17, s17, s16
	s_and_saveexec_b32 s16, s17
	s_cbranch_execz .LBB1953_85
; %bb.84:                               ;   in Loop: Header=BB1953_53 Depth=1
	s_waitcnt vmcnt(0) lgkmcnt(0)
	v_bcnt_u32_b32 v18, v18, v242
	flat_store_b32 v[178:179], v18
.LBB1953_85:                            ;   in Loop: Header=BB1953_53 Depth=1
	s_or_b32 exec_lo, exec_lo, s16
	; wave barrier
	s_waitcnt vmcnt(0) lgkmcnt(0)
	s_waitcnt_vscnt null, 0x0
	s_barrier
	buffer_gl0_inv
	s_clause 0x1
	flat_load_b128 v[22:25], v[48:49] offset:32
	flat_load_b128 v[18:21], v[66:67] offset:16
	s_waitcnt vmcnt(1) lgkmcnt(1)
	v_add_nc_u32_e32 v181, v23, v22
	s_delay_alu instid0(VALU_DEP_1) | instskip(SKIP_1) | instid1(VALU_DEP_1)
	v_add3_u32 v181, v181, v24, v25
	s_waitcnt vmcnt(0) lgkmcnt(0)
	v_add3_u32 v181, v181, v18, v19
	s_delay_alu instid0(VALU_DEP_1) | instskip(NEXT) | instid1(VALU_DEP_1)
	v_add3_u32 v21, v181, v20, v21
	v_mov_b32_dpp v181, v21 row_shr:1 row_mask:0xf bank_mask:0xf
	s_delay_alu instid0(VALU_DEP_1) | instskip(NEXT) | instid1(VALU_DEP_1)
	v_cndmask_b32_e64 v181, v181, 0, vcc_lo
	v_add_nc_u32_e32 v21, v181, v21
	s_delay_alu instid0(VALU_DEP_1) | instskip(NEXT) | instid1(VALU_DEP_1)
	v_mov_b32_dpp v181, v21 row_shr:2 row_mask:0xf bank_mask:0xf
	v_cndmask_b32_e64 v181, 0, v181, s0
	s_delay_alu instid0(VALU_DEP_1) | instskip(NEXT) | instid1(VALU_DEP_1)
	v_add_nc_u32_e32 v21, v21, v181
	v_mov_b32_dpp v181, v21 row_shr:4 row_mask:0xf bank_mask:0xf
	s_delay_alu instid0(VALU_DEP_1) | instskip(NEXT) | instid1(VALU_DEP_1)
	v_cndmask_b32_e64 v181, 0, v181, s1
	v_add_nc_u32_e32 v21, v21, v181
	s_delay_alu instid0(VALU_DEP_1) | instskip(NEXT) | instid1(VALU_DEP_1)
	v_mov_b32_dpp v181, v21 row_shr:8 row_mask:0xf bank_mask:0xf
	v_cndmask_b32_e64 v181, 0, v181, s2
	s_delay_alu instid0(VALU_DEP_1) | instskip(SKIP_3) | instid1(VALU_DEP_1)
	v_add_nc_u32_e32 v21, v21, v181
	ds_swizzle_b32 v181, v21 offset:swizzle(BROADCAST,32,15)
	s_waitcnt lgkmcnt(0)
	v_cndmask_b32_e64 v181, v181, 0, s3
	v_add_nc_u32_e32 v21, v21, v181
	s_and_saveexec_b32 s16, s4
	s_cbranch_execz .LBB1953_87
; %bb.86:                               ;   in Loop: Header=BB1953_53 Depth=1
	flat_store_b32 v[98:99], v21
.LBB1953_87:                            ;   in Loop: Header=BB1953_53 Depth=1
	s_or_b32 exec_lo, exec_lo, s16
	s_waitcnt lgkmcnt(0)
	s_waitcnt_vscnt null, 0x0
	s_barrier
	buffer_gl0_inv
	s_and_saveexec_b32 s16, s5
	s_cbranch_execz .LBB1953_89
; %bb.88:                               ;   in Loop: Header=BB1953_53 Depth=1
	flat_load_b32 v181, v[100:101]
	s_waitcnt vmcnt(0) lgkmcnt(0)
	v_mov_b32_dpp v182, v181 row_shr:1 row_mask:0xf bank_mask:0xf
	s_delay_alu instid0(VALU_DEP_1) | instskip(NEXT) | instid1(VALU_DEP_1)
	v_cndmask_b32_e64 v182, v182, 0, s11
	v_add_nc_u32_e32 v181, v182, v181
	s_delay_alu instid0(VALU_DEP_1) | instskip(NEXT) | instid1(VALU_DEP_1)
	v_mov_b32_dpp v182, v181 row_shr:2 row_mask:0xf bank_mask:0xf
	v_cndmask_b32_e64 v182, 0, v182, s14
	s_delay_alu instid0(VALU_DEP_1) | instskip(NEXT) | instid1(VALU_DEP_1)
	v_add_nc_u32_e32 v181, v181, v182
	v_mov_b32_dpp v182, v181 row_shr:4 row_mask:0xf bank_mask:0xf
	s_delay_alu instid0(VALU_DEP_1) | instskip(NEXT) | instid1(VALU_DEP_1)
	v_cndmask_b32_e64 v182, 0, v182, s15
	v_add_nc_u32_e32 v181, v181, v182
	flat_store_b32 v[100:101], v181
.LBB1953_89:                            ;   in Loop: Header=BB1953_53 Depth=1
	s_or_b32 exec_lo, exec_lo, s16
	v_mov_b32_e32 v181, 0
	s_waitcnt lgkmcnt(0)
	s_waitcnt_vscnt null, 0x0
	s_barrier
	buffer_gl0_inv
	s_and_saveexec_b32 s16, s6
	s_cbranch_execz .LBB1953_91
; %bb.90:                               ;   in Loop: Header=BB1953_53 Depth=1
	flat_load_b32 v181, v[112:113]
.LBB1953_91:                            ;   in Loop: Header=BB1953_53 Depth=1
	s_or_b32 exec_lo, exec_lo, s16
	s_waitcnt vmcnt(0) lgkmcnt(0)
	v_add_nc_u32_e32 v21, v181, v21
	v_add_nc_u32_e32 v10, 8, v10
	s_mov_b32 s18, -1
                                        ; implicit-def: $vgpr141
                                        ; implicit-def: $vgpr139
                                        ; implicit-def: $vgpr140
                                        ; implicit-def: $vgpr121
                                        ; implicit-def: $vgpr120
                                        ; implicit-def: $vgpr111
                                        ; implicit-def: $vgpr110
                                        ; implicit-def: $vgpr122
                                        ; implicit-def: $vgpr124
                                        ; implicit-def: $vgpr123
                                        ; implicit-def: $vgpr125
                                        ; implicit-def: $vgpr126
                                        ; implicit-def: $vgpr127
                                        ; implicit-def: $vgpr136
                                        ; implicit-def: $vgpr137
                                        ; implicit-def: $vgpr138
	v_mov_b32_e32 v183, v5
	ds_bpermute_b32 v21, v76, v21
	s_waitcnt lgkmcnt(0)
	v_cndmask_b32_e64 v21, v21, v181, s7
	v_mov_b32_e32 v181, v5
	s_delay_alu instid0(VALU_DEP_2) | instskip(NEXT) | instid1(VALU_DEP_1)
	v_cndmask_b32_e64 v21, v21, 0, s10
	v_add_nc_u32_e32 v22, v21, v22
	s_delay_alu instid0(VALU_DEP_1) | instskip(NEXT) | instid1(VALU_DEP_1)
	v_add_nc_u32_e32 v23, v22, v23
	v_add_nc_u32_e32 v24, v23, v24
	s_delay_alu instid0(VALU_DEP_1) | instskip(NEXT) | instid1(VALU_DEP_1)
	v_add_nc_u32_e32 v244, v24, v25
	;; [unrolled: 3-line block ×3, first 2 shown]
	v_add_nc_u32_e32 v247, v246, v20
	s_clause 0x1
	flat_store_b128 v[48:49], v[21:24] offset:32
	flat_store_b128 v[66:67], v[244:247] offset:16
	s_waitcnt lgkmcnt(0)
	s_waitcnt_vscnt null, 0x0
	s_barrier
	buffer_gl0_inv
	s_clause 0xf
	flat_load_b32 v18, v[116:117]
	flat_load_b32 v19, v[118:119]
	;; [unrolled: 1-line block ×16, first 2 shown]
	v_mov_b32_e32 v167, v5
	v_mov_b32_e32 v179, v5
	;; [unrolled: 1-line block ×13, first 2 shown]
	v_cmp_lt_u32_e64 s16, v10, v11
	s_waitcnt vmcnt(0) lgkmcnt(0)
	v_add_nc_u32_e32 v4, v18, v4
	v_add3_u32 v182, v180, v39, v19
	v_add3_u32 v180, v193, v192, v20
	;; [unrolled: 1-line block ×4, first 2 shown]
	v_lshlrev_b64 v[18:19], 1, v[4:5]
	v_lshlrev_b64 v[20:21], 1, v[182:183]
	v_add3_u32 v164, v199, v198, v23
	v_lshlrev_b64 v[22:23], 1, v[180:181]
	v_add3_u32 v162, v209, v208, v24
	v_add3_u32 v160, v211, v210, v25
	;; [unrolled: 1-line block ×3, first 2 shown]
	v_add_co_u32 v226, s17, v12, v18
	s_delay_alu instid0(VALU_DEP_1) | instskip(SKIP_3) | instid1(VALU_DEP_1)
	v_add_co_ci_u32_e64 v227, s17, v13, v19, s17
	v_add3_u32 v132, v229, v228, v130
	v_lshlrev_b64 v[24:25], 1, v[178:179]
	v_add_co_u32 v228, s17, v12, v20
	v_add_co_ci_u32_e64 v229, s17, v13, v21, s17
	v_add3_u32 v150, v213, v212, v116
	v_add3_u32 v148, v215, v214, v117
	;; [unrolled: 1-line block ×3, first 2 shown]
	v_lshlrev_b64 v[116:117], 1, v[166:167]
	v_add_co_u32 v230, s17, v12, v22
	s_delay_alu instid0(VALU_DEP_1) | instskip(SKIP_3) | instid1(VALU_DEP_1)
	v_add_co_ci_u32_e64 v231, s17, v13, v23, s17
	v_add3_u32 v128, v241, v240, v135
	v_lshlrev_b64 v[134:135], 1, v[164:165]
	v_add_co_u32 v240, s17, v12, v24
	v_add_co_ci_u32_e64 v241, s17, v13, v25, s17
	v_add3_u32 v146, v225, v224, v118
	v_add3_u32 v118, v243, v242, v176
	v_lshlrev_b64 v[176:177], 1, v[162:163]
	v_add_co_u32 v242, s17, v12, v116
	s_delay_alu instid0(VALU_DEP_1) | instskip(SKIP_2) | instid1(VALU_DEP_1)
	v_add_co_ci_u32_e64 v243, s17, v13, v117, s17
	v_lshlrev_b64 v[192:193], 1, v[160:161]
	v_add_co_u32 v244, s17, v12, v134
	v_add_co_ci_u32_e64 v245, s17, v13, v135, s17
	v_lshlrev_b64 v[194:195], 1, v[150:151]
	v_add_co_u32 v246, s17, v12, v176
	s_delay_alu instid0(VALU_DEP_1) | instskip(SKIP_2) | instid1(VALU_DEP_1)
	v_add_co_ci_u32_e64 v247, s17, v13, v177, s17
	v_lshlrev_b64 v[196:197], 1, v[148:149]
	v_add_co_u32 v39, s17, v12, v192
	v_add_co_ci_u32_e64 v40, s17, v13, v193, s17
	;; [unrolled: 7-line block ×5, first 2 shown]
	v_add_co_u32 v43, s17, v12, v214
	s_delay_alu instid0(VALU_DEP_1) | instskip(SKIP_1) | instid1(VALU_DEP_1)
	v_add_co_ci_u32_e64 v44, s17, v13, v215, s17
	v_add_co_u32 v56, s17, v12, v224
	v_add_co_ci_u32_e64 v57, s17, v13, v225, s17
                                        ; implicit-def: $vgpr22_vgpr23
                                        ; implicit-def: $vgpr18_vgpr19
                                        ; implicit-def: $vgpr20_vgpr21
                                        ; implicit-def: $vgpr24_vgpr25
                                        ; implicit-def: $vgpr116_vgpr117
                                        ; implicit-def: $vgpr134_vgpr135
                                        ; implicit-def: $vgpr176_vgpr177
                                        ; implicit-def: $vgpr192_vgpr193
                                        ; implicit-def: $vgpr194_vgpr195
                                        ; implicit-def: $vgpr196_vgpr197
                                        ; implicit-def: $vgpr198_vgpr199
                                        ; implicit-def: $vgpr208_vgpr209
                                        ; implicit-def: $vgpr210_vgpr211
                                        ; implicit-def: $vgpr212_vgpr213
                                        ; implicit-def: $vgpr214_vgpr215
                                        ; implicit-def: $vgpr224_vgpr225
	s_and_saveexec_b32 s17, s16
	s_cbranch_execz .LBB1953_52
; %bb.92:                               ;   in Loop: Header=BB1953_53 Depth=1
	v_mad_u64_u32 v[18:19], null, v4, 6, v[226:227]
	v_mad_u64_u32 v[20:21], null, v182, 6, v[228:229]
	v_mad_u64_u32 v[22:23], null, v180, 6, v[230:231]
	v_mad_u64_u32 v[24:25], null, v178, 6, v[240:241]
	v_mad_u64_u32 v[116:117], null, v166, 6, v[242:243]
	v_mad_u64_u32 v[134:135], null, v164, 6, v[244:245]
	v_mad_u64_u32 v[176:177], null, v162, 6, v[246:247]
	v_mad_u64_u32 v[192:193], null, v160, 6, v[39:40]
	s_barrier
	buffer_gl0_inv
	s_clause 0xf
	flat_store_b16 v[226:227], v78
	flat_store_b16 v[228:229], v79
	;; [unrolled: 1-line block ×16, first 2 shown]
	s_waitcnt lgkmcnt(0)
	s_waitcnt_vscnt null, 0x0
	s_barrier
	buffer_gl0_inv
	s_clause 0xf
	flat_load_u16 v141, v[102:103]
	flat_load_u16 v139, v[102:103] offset:64
	flat_load_u16 v140, v[102:103] offset:128
	;; [unrolled: 1-line block ×15, first 2 shown]
	s_waitcnt vmcnt(0) lgkmcnt(0)
	s_barrier
	buffer_gl0_inv
	s_clause 0x7
	flat_store_b64 v[18:19], v[82:83]
	flat_store_b64 v[20:21], v[96:97]
	flat_store_b64 v[22:23], v[86:87]
	flat_store_b64 v[24:25], v[84:85]
	flat_store_b64 v[116:117], v[80:81]
	flat_store_b64 v[134:135], v[70:71]
	flat_store_b64 v[176:177], v[68:69]
	flat_store_b64 v[192:193], v[64:65]
	v_mad_u64_u32 v[18:19], null, v150, 6, v[41:42]
	v_mad_u64_u32 v[20:21], null, v148, 6, v[45:46]
	;; [unrolled: 1-line block ×8, first 2 shown]
	s_clause 0x7
	flat_store_b64 v[18:19], v[54:55]
	flat_store_b64 v[20:21], v[52:53]
	;; [unrolled: 1-line block ×8, first 2 shown]
	s_waitcnt lgkmcnt(0)
	s_waitcnt_vscnt null, 0x0
	s_barrier
	buffer_gl0_inv
	s_clause 0xf
	flat_load_b64 v[22:23], v[114:115]
	flat_load_b64 v[18:19], v[114:115] offset:256
	flat_load_b64 v[20:21], v[114:115] offset:512
	;; [unrolled: 1-line block ×15, first 2 shown]
	v_add_nc_u32_e32 v77, -8, v77
	s_xor_b32 s18, exec_lo, -1
	s_waitcnt vmcnt(0) lgkmcnt(0)
	s_barrier
	buffer_gl0_inv
	s_branch .LBB1953_52
.LBB1953_93:
	s_or_b32 exec_lo, exec_lo, s20
	v_or_b32_e32 v22, 0x800, v34
	v_dual_mov_b32 v27, 0 :: v_dual_lshlrev_b32 v10, 1, v34
	v_or_b32_e32 v24, 0xc00, v34
	v_lshlrev_b64 v[4:5], 3, v[4:5]
	s_delay_alu instid0(VALU_DEP_4) | instskip(NEXT) | instid1(VALU_DEP_4)
	v_lshlrev_b32_e32 v14, 1, v22
	v_add_co_u32 v10, vcc_lo, v12, v10
	v_add_co_ci_u32_e32 v11, vcc_lo, 0, v13, vcc_lo
	s_delay_alu instid0(VALU_DEP_3) | instskip(SKIP_4) | instid1(VALU_DEP_4)
	v_add_co_u32 v14, vcc_lo, v12, v14
	v_lshlrev_b32_e32 v18, 1, v24
	v_add_co_ci_u32_e32 v15, vcc_lo, 0, v13, vcc_lo
	v_add_co_u32 v16, vcc_lo, 0x1000, v10
	v_add_co_ci_u32_e32 v17, vcc_lo, 0, v11, vcc_lo
	v_add_co_u32 v18, vcc_lo, v12, v18
	v_add_co_ci_u32_e32 v19, vcc_lo, 0, v13, vcc_lo
	s_barrier
	buffer_gl0_inv
	s_clause 0xf
	flat_store_b16 v[226:227], v78
	flat_store_b16 v[228:229], v79
	;; [unrolled: 1-line block ×16, first 2 shown]
	s_waitcnt lgkmcnt(0)
	s_waitcnt_vscnt null, 0x0
	s_barrier
	buffer_gl0_inv
	s_clause 0xd
	flat_load_u16 v135, v[10:11]
	flat_load_u16 v134, v[10:11] offset:512
	flat_load_u16 v117, v[10:11] offset:1024
	;; [unrolled: 1-line block ×7, first 2 shown]
	flat_load_u16 v112, v[14:15]
	flat_load_u16 v102, v[16:17] offset:512
	flat_load_u16 v101, v[16:17] offset:1024
	flat_load_u16 v100, v[16:17] offset:1536
	flat_load_u16 v98, v[16:17] offset:2560
	flat_load_u16 v67, v[16:17] offset:3072
	v_add_co_u32 v10, vcc_lo, 0x1e00, v10
	v_lshlrev_b64 v[14:15], 3, v[182:183]
	v_add_co_ci_u32_e32 v11, vcc_lo, 0, v11, vcc_lo
	s_clause 0x1
	flat_load_u16 v99, v[18:19]
	flat_load_u16 v66, v[16:17] offset:3584
	v_add_co_u32 v4, vcc_lo, v12, v4
	v_lshlrev_b64 v[16:17], 3, v[180:181]
	v_add_co_ci_u32_e32 v5, vcc_lo, v13, v5, vcc_lo
	v_add_co_u32 v14, vcc_lo, v12, v14
	v_add_co_ci_u32_e32 v15, vcc_lo, v13, v15, vcc_lo
	s_delay_alu instid0(VALU_DEP_4)
	v_add_co_u32 v16, vcc_lo, v12, v16
	v_add_co_ci_u32_e32 v17, vcc_lo, v13, v17, vcc_lo
	v_lshlrev_b64 v[18:19], 3, v[178:179]
	s_waitcnt vmcnt(0) lgkmcnt(0)
	s_barrier
	buffer_gl0_inv
	s_clause 0x2
	flat_store_b64 v[4:5], v[82:83]
	flat_store_b64 v[14:15], v[96:97]
	;; [unrolled: 1-line block ×3, first 2 shown]
	v_lshlrev_b64 v[4:5], 3, v[166:167]
	v_add_co_u32 v14, vcc_lo, v12, v18
	v_lshlrev_b64 v[16:17], 3, v[164:165]
	v_add_co_ci_u32_e32 v15, vcc_lo, v13, v19, vcc_lo
	s_delay_alu instid0(VALU_DEP_4) | instskip(SKIP_4) | instid1(VALU_DEP_4)
	v_add_co_u32 v4, vcc_lo, v12, v4
	v_lshlrev_b64 v[18:19], 3, v[162:163]
	v_add_co_ci_u32_e32 v5, vcc_lo, v13, v5, vcc_lo
	v_add_co_u32 v16, vcc_lo, v12, v16
	v_add_co_ci_u32_e32 v17, vcc_lo, v13, v17, vcc_lo
	v_add_co_u32 v18, vcc_lo, v12, v18
	v_add_co_ci_u32_e32 v19, vcc_lo, v13, v19, vcc_lo
	flat_store_b64 v[14:15], v[84:85]
	v_lshlrev_b64 v[14:15], 3, v[160:161]
	s_clause 0x2
	flat_store_b64 v[4:5], v[80:81]
	flat_store_b64 v[16:17], v[70:71]
	;; [unrolled: 1-line block ×3, first 2 shown]
	v_lshlrev_b64 v[4:5], 3, v[150:151]
	v_lshlrev_b64 v[16:17], 3, v[148:149]
	;; [unrolled: 1-line block ×4, first 2 shown]
	v_add_co_u32 v14, vcc_lo, v12, v14
	v_add_co_ci_u32_e32 v15, vcc_lo, v13, v15, vcc_lo
	v_add_co_u32 v4, vcc_lo, v12, v4
	v_add_co_ci_u32_e32 v5, vcc_lo, v13, v5, vcc_lo
	;; [unrolled: 2-line block ×4, first 2 shown]
	flat_store_b64 v[14:15], v[64:65]
	v_lshlrev_b64 v[14:15], 3, v[144:145]
	s_clause 0x2
	flat_store_b64 v[4:5], v[54:55]
	flat_store_b64 v[16:17], v[52:53]
	;; [unrolled: 1-line block ×3, first 2 shown]
	v_lshlrev_b64 v[4:5], 3, v[132:133]
	v_lshlrev_b64 v[16:17], 3, v[130:131]
	;; [unrolled: 1-line block ×3, first 2 shown]
	v_add_nc_u32_e32 v25, 0xf00, v34
	v_add_co_u32 v14, vcc_lo, v12, v14
	v_add_co_ci_u32_e32 v15, vcc_lo, v13, v15, vcc_lo
	v_add_co_u32 v4, vcc_lo, v12, v4
	v_add_co_ci_u32_e32 v5, vcc_lo, v13, v5, vcc_lo
	;; [unrolled: 2-line block ×5, first 2 shown]
	s_clause 0x4
	flat_store_b64 v[14:15], v[35:36]
	flat_store_b64 v[4:5], v[32:33]
	;; [unrolled: 1-line block ×5, first 2 shown]
	v_lshlrev_b32_e32 v4, 3, v34
	v_lshl_or_b32 v14, v34, 3, 0x2000
	s_waitcnt lgkmcnt(0)
	s_waitcnt_vscnt null, 0x0
	s_barrier
	buffer_gl0_inv
	v_add_co_u32 v4, vcc_lo, v12, v4
	v_add_co_ci_u32_e32 v5, vcc_lo, 0, v13, vcc_lo
	v_mad_u64_u32 v[54:55], null, v25, 6, v[10:11]
	s_delay_alu instid0(VALU_DEP_3) | instskip(NEXT) | instid1(VALU_DEP_3)
	v_add_co_u32 v8, vcc_lo, 0x1000, v4
	v_add_co_ci_u32_e32 v9, vcc_lo, 0, v5, vcc_lo
	v_add_co_u32 v14, vcc_lo, v12, v14
	v_add_co_ci_u32_e32 v15, vcc_lo, 0, v13, vcc_lo
	v_add_co_u32 v16, vcc_lo, 0x2000, v4
	s_clause 0x3
	flat_load_b64 v[48:49], v[4:5]
	flat_load_b64 v[38:39], v[4:5] offset:2048
	flat_load_b64 v[36:37], v[8:9]
	flat_load_b64 v[34:35], v[8:9] offset:2048
	v_lshlrev_b32_e32 v8, 3, v22
	v_add_co_ci_u32_e32 v17, vcc_lo, 0, v5, vcc_lo
	v_add_co_u32 v18, vcc_lo, 0x3000, v4
	v_add_co_ci_u32_e32 v19, vcc_lo, 0, v5, vcc_lo
	s_delay_alu instid0(VALU_DEP_4)
	v_add_co_u32 v8, vcc_lo, v12, v8
	v_add_co_ci_u32_e32 v9, vcc_lo, 0, v13, vcc_lo
	s_clause 0x3
	flat_load_b64 v[32:33], v[14:15]
	flat_load_b64 v[30:31], v[16:17] offset:2048
	flat_load_b64 v[22:23], v[18:19]
	flat_load_b64 v[18:19], v[18:19] offset:2048
	v_add_co_u32 v14, vcc_lo, 0x4000, v4
	v_lshlrev_b32_e32 v16, 3, v24
	v_add_co_ci_u32_e32 v15, vcc_lo, 0, v5, vcc_lo
	v_add_co_u32 v50, vcc_lo, 0x5000, v4
	v_add_co_ci_u32_e32 v51, vcc_lo, 0, v5, vcc_lo
	s_delay_alu instid0(VALU_DEP_4)
	v_add_co_u32 v12, vcc_lo, v12, v16
	v_add_co_ci_u32_e32 v13, vcc_lo, 0, v13, vcc_lo
	v_add_co_u32 v52, vcc_lo, 0x6000, v4
	v_add_co_ci_u32_e32 v53, vcc_lo, 0, v5, vcc_lo
	;; [unrolled: 2-line block ×3, first 2 shown]
	s_clause 0x7
	flat_load_b64 v[24:25], v[8:9]
	flat_load_b64 v[20:21], v[14:15] offset:2048
	flat_load_b64 v[16:17], v[50:51]
	flat_load_b64 v[14:15], v[50:51] offset:2048
	;; [unrolled: 2-line block ×3, first 2 shown]
	flat_load_b64 v[8:9], v[4:5]
	flat_load_b64 v[4:5], v[54:55]
	v_lshlrev_b64 v[50:51], 1, v[26:27]
	v_add_co_u32 v2, vcc_lo, v2, v28
	v_add_co_ci_u32_e32 v3, vcc_lo, v3, v29, vcc_lo
	s_waitcnt vmcnt(0) lgkmcnt(0)
	s_delay_alu instid0(VALU_DEP_2) | instskip(NEXT) | instid1(VALU_DEP_2)
	v_add_co_u32 v2, vcc_lo, v2, v50
	v_add_co_ci_u32_e32 v3, vcc_lo, v3, v51, vcc_lo
	v_cmp_lt_u32_e32 vcc_lo, v26, v47
	s_barrier
	buffer_gl0_inv
	s_and_saveexec_b32 s1, vcc_lo
	s_cbranch_execz .LBB1953_95
; %bb.94:
	v_cmp_gt_i16_e64 s0, 0, v135
	s_delay_alu instid0(VALU_DEP_1) | instskip(NEXT) | instid1(VALU_DEP_1)
	v_cndmask_b32_e64 v28, 0x7fff, 0, s0
	v_xor_b32_e32 v28, v28, v135
	flat_store_b16 v[2:3], v28
.LBB1953_95:
	s_or_b32 exec_lo, exec_lo, s1
	v_add_nc_u32_e32 v28, 0x100, v26
	s_delay_alu instid0(VALU_DEP_1) | instskip(NEXT) | instid1(VALU_DEP_1)
	v_cmp_lt_u32_e64 s0, v28, v47
	s_and_saveexec_b32 s2, s0
	s_cbranch_execz .LBB1953_97
; %bb.96:
	v_cmp_gt_i16_e64 s1, 0, v134
	s_delay_alu instid0(VALU_DEP_1) | instskip(NEXT) | instid1(VALU_DEP_1)
	v_cndmask_b32_e64 v28, 0x7fff, 0, s1
	v_xor_b32_e32 v28, v28, v134
	flat_store_b16 v[2:3], v28 offset:512
.LBB1953_97:
	s_or_b32 exec_lo, exec_lo, s2
	v_add_nc_u32_e32 v28, 0x200, v26
	s_delay_alu instid0(VALU_DEP_1) | instskip(NEXT) | instid1(VALU_DEP_1)
	v_cmp_lt_u32_e64 s1, v28, v47
	s_and_saveexec_b32 s3, s1
	s_cbranch_execz .LBB1953_99
; %bb.98:
	v_cmp_gt_i16_e64 s2, 0, v117
	s_delay_alu instid0(VALU_DEP_1) | instskip(NEXT) | instid1(VALU_DEP_1)
	v_cndmask_b32_e64 v28, 0x7fff, 0, s2
	v_xor_b32_e32 v28, v28, v117
	flat_store_b16 v[2:3], v28 offset:1024
.LBB1953_99:
	;; [unrolled: 13-line block ×7, first 2 shown]
	s_or_b32 exec_lo, exec_lo, s10
	v_add_nc_u32_e32 v28, 0x800, v26
	s_delay_alu instid0(VALU_DEP_1) | instskip(NEXT) | instid1(VALU_DEP_1)
	v_cmp_lt_u32_e64 s7, v28, v47
	s_and_saveexec_b32 s11, s7
	s_cbranch_execz .LBB1953_111
; %bb.110:
	v_cmp_gt_i16_e64 s10, 0, v112
	s_delay_alu instid0(VALU_DEP_1) | instskip(NEXT) | instid1(VALU_DEP_1)
	v_cndmask_b32_e64 v28, 0x7fff, 0, s10
	v_xor_b32_e32 v50, v28, v112
	v_add_co_u32 v28, s10, 0x1000, v2
	s_delay_alu instid0(VALU_DEP_1)
	v_add_co_ci_u32_e64 v29, s10, 0, v3, s10
	flat_store_b16 v[28:29], v50
.LBB1953_111:
	s_or_b32 exec_lo, exec_lo, s11
	v_add_nc_u32_e32 v28, 0x900, v26
	s_delay_alu instid0(VALU_DEP_1) | instskip(NEXT) | instid1(VALU_DEP_1)
	v_cmp_lt_u32_e64 s10, v28, v47
	s_and_saveexec_b32 s14, s10
	s_cbranch_execz .LBB1953_113
; %bb.112:
	v_cmp_gt_i16_e64 s11, 0, v102
	s_delay_alu instid0(VALU_DEP_1) | instskip(NEXT) | instid1(VALU_DEP_1)
	v_cndmask_b32_e64 v28, 0x7fff, 0, s11
	v_xor_b32_e32 v50, v28, v102
	v_add_co_u32 v28, s11, 0x1000, v2
	s_delay_alu instid0(VALU_DEP_1)
	v_add_co_ci_u32_e64 v29, s11, 0, v3, s11
	flat_store_b16 v[28:29], v50 offset:512
.LBB1953_113:
	s_or_b32 exec_lo, exec_lo, s14
	v_add_nc_u32_e32 v28, 0xa00, v26
	s_delay_alu instid0(VALU_DEP_1) | instskip(NEXT) | instid1(VALU_DEP_1)
	v_cmp_lt_u32_e64 s11, v28, v47
	s_and_saveexec_b32 s15, s11
	s_cbranch_execz .LBB1953_115
; %bb.114:
	v_cmp_gt_i16_e64 s14, 0, v101
	s_delay_alu instid0(VALU_DEP_1) | instskip(NEXT) | instid1(VALU_DEP_1)
	v_cndmask_b32_e64 v28, 0x7fff, 0, s14
	v_xor_b32_e32 v50, v28, v101
	v_add_co_u32 v28, s14, 0x1000, v2
	s_delay_alu instid0(VALU_DEP_1)
	v_add_co_ci_u32_e64 v29, s14, 0, v3, s14
	flat_store_b16 v[28:29], v50 offset:1024
.LBB1953_115:
	;; [unrolled: 16-line block ×6, first 2 shown]
	s_or_b32 exec_lo, exec_lo, s19
	v_add_nc_u32_e32 v28, 0xf00, v26
	s_delay_alu instid0(VALU_DEP_1) | instskip(NEXT) | instid1(VALU_DEP_1)
	v_cmp_lt_u32_e64 s18, v28, v47
	s_and_saveexec_b32 s20, s18
	s_cbranch_execz .LBB1953_125
; %bb.124:
	v_cmp_gt_i16_e64 s19, 0, v66
	s_delay_alu instid0(VALU_DEP_1) | instskip(SKIP_1) | instid1(VALU_DEP_1)
	v_cndmask_b32_e64 v28, 0x7fff, 0, s19
	v_add_co_u32 v2, s19, 0x1000, v2
	v_add_co_ci_u32_e64 v3, s19, 0, v3, s19
	s_delay_alu instid0(VALU_DEP_3)
	v_xor_b32_e32 v28, v28, v66
	flat_store_b16 v[2:3], v28 offset:3584
.LBB1953_125:
	s_or_b32 exec_lo, exec_lo, s20
	v_lshlrev_b64 v[2:3], 3, v[26:27]
	v_add_co_u32 v0, s19, v6, v0
	s_delay_alu instid0(VALU_DEP_1) | instskip(NEXT) | instid1(VALU_DEP_2)
	v_add_co_ci_u32_e64 v1, s19, v7, v1, s19
	v_add_co_u32 v0, s19, v0, v2
	s_delay_alu instid0(VALU_DEP_1)
	v_add_co_ci_u32_e64 v1, s19, v1, v3, s19
	s_and_saveexec_b32 s19, vcc_lo
	s_cbranch_execnz .LBB1953_211
; %bb.126:
	s_or_b32 exec_lo, exec_lo, s19
	s_and_saveexec_b32 s19, s0
	s_cbranch_execnz .LBB1953_212
.LBB1953_127:
	s_or_b32 exec_lo, exec_lo, s19
	s_and_saveexec_b32 s0, s1
	s_cbranch_execnz .LBB1953_213
.LBB1953_128:
	s_or_b32 exec_lo, exec_lo, s0
	s_and_saveexec_b32 s0, s2
	s_cbranch_execnz .LBB1953_214
.LBB1953_129:
	s_or_b32 exec_lo, exec_lo, s0
	s_and_saveexec_b32 s0, s3
	s_cbranch_execnz .LBB1953_215
.LBB1953_130:
	s_or_b32 exec_lo, exec_lo, s0
	s_and_saveexec_b32 s0, s4
	s_cbranch_execnz .LBB1953_216
.LBB1953_131:
	s_or_b32 exec_lo, exec_lo, s0
	s_and_saveexec_b32 s0, s5
	s_cbranch_execnz .LBB1953_217
.LBB1953_132:
	s_or_b32 exec_lo, exec_lo, s0
	s_and_saveexec_b32 s0, s6
	s_cbranch_execnz .LBB1953_218
.LBB1953_133:
	s_or_b32 exec_lo, exec_lo, s0
	s_and_saveexec_b32 s0, s7
	s_cbranch_execnz .LBB1953_219
.LBB1953_134:
	s_or_b32 exec_lo, exec_lo, s0
	s_and_saveexec_b32 s0, s10
	s_cbranch_execnz .LBB1953_220
.LBB1953_135:
	s_or_b32 exec_lo, exec_lo, s0
	s_and_saveexec_b32 s0, s11
	s_cbranch_execnz .LBB1953_221
.LBB1953_136:
	s_or_b32 exec_lo, exec_lo, s0
	s_and_saveexec_b32 s0, s14
	s_cbranch_execnz .LBB1953_222
.LBB1953_137:
	s_or_b32 exec_lo, exec_lo, s0
	s_and_saveexec_b32 s0, s15
	s_cbranch_execnz .LBB1953_223
.LBB1953_138:
	s_or_b32 exec_lo, exec_lo, s0
	s_and_saveexec_b32 s0, s16
	s_cbranch_execnz .LBB1953_224
.LBB1953_139:
	s_or_b32 exec_lo, exec_lo, s0
	s_and_saveexec_b32 s0, s17
	s_cbranch_execnz .LBB1953_225
.LBB1953_140:
	s_or_b32 exec_lo, exec_lo, s0
	s_and_saveexec_b32 s0, s18
	s_cbranch_execz .LBB1953_142
.LBB1953_141:
	v_add_co_u32 v0, vcc_lo, 0x7000, v0
	v_add_co_ci_u32_e32 v1, vcc_lo, 0, v1, vcc_lo
	flat_store_b64 v[0:1], v[4:5] offset:2048
.LBB1953_142:
	s_or_b32 exec_lo, exec_lo, s0
                                        ; implicit-def: $vgpr47
                                        ; implicit-def: $vgpr0
                                        ; implicit-def: $vgpr1
                                        ; implicit-def: $vgpr2
                                        ; implicit-def: $vgpr3
                                        ; implicit-def: $vgpr4
                                        ; implicit-def: $vgpr5
                                        ; implicit-def: $vgpr6
                                        ; implicit-def: $vgpr7
                                        ; implicit-def: $vgpr8
                                        ; implicit-def: $vgpr10
                                        ; implicit-def: $vgpr11
                                        ; implicit-def: $vgpr12
                                        ; implicit-def: $vgpr13
                                        ; implicit-def: $vgpr14
                                        ; implicit-def: $vgpr15
                                        ; implicit-def: $vgpr34
                                        ; implicit-def: $vgpr16
.LBB1953_143:
	s_and_not1_saveexec_b32 s0, s25
	s_cbranch_execz .LBB1953_372
; %bb.144:
	s_mov_b32 s0, exec_lo
	v_cmpx_lt_u32_e32 0x400, v47
	s_xor_b32 s19, exec_lo, s0
	s_cbranch_execz .LBB1953_252
; %bb.145:
	s_load_b64 s[0:1], s[8:9], 0x0
	v_mov_b32_e32 v9, 0
	v_lshlrev_b32_e32 v19, 1, v16
	s_waitcnt lgkmcnt(0)
	s_cmp_lt_u32 s13, s1
	s_cselect_b32 s1, 14, 20
	s_delay_alu instid0(SALU_CYCLE_1) | instskip(SKIP_4) | instid1(SALU_CYCLE_1)
	s_add_u32 s2, s8, s1
	s_addc_u32 s3, s9, 0
	s_cmp_lt_u32 s12, s0
	global_load_u16 v17, v9, s[2:3]
	s_cselect_b32 s0, 12, 18
	s_add_u32 s0, s8, s0
	s_addc_u32 s1, s9, 0
	global_load_u16 v18, v9, s[0:1]
	s_waitcnt vmcnt(1)
	v_mad_u32_u24 v14, v15, v17, v14
	s_waitcnt vmcnt(0)
	s_delay_alu instid0(VALU_DEP_1) | instskip(NEXT) | instid1(VALU_DEP_1)
	v_mad_u64_u32 v[26:27], null, v14, v18, v[34:35]
	v_dual_mov_b32 v27, -1 :: v_dual_lshlrev_b32 v14, 3, v26
	v_lshlrev_b64 v[28:29], 1, v[8:9]
	v_mov_b32_e32 v17, -1
	s_delay_alu instid0(VALU_DEP_3) | instskip(NEXT) | instid1(VALU_DEP_3)
	v_dual_mov_b32 v15, v9 :: v_dual_and_b32 v14, 0xffffff00, v14
	v_add_co_u32 v20, vcc_lo, v0, v28
	s_delay_alu instid0(VALU_DEP_4) | instskip(NEXT) | instid1(VALU_DEP_3)
	v_add_co_ci_u32_e32 v21, vcc_lo, v1, v29, vcc_lo
	v_lshlrev_b64 v[0:1], 1, v[14:15]
	s_delay_alu instid0(VALU_DEP_3) | instskip(SKIP_1) | instid1(VALU_DEP_4)
	v_add_co_u32 v19, vcc_lo, v20, v19
	v_or_b32_e32 v18, v14, v16
	v_add_co_ci_u32_e32 v20, vcc_lo, 0, v21, vcc_lo
	s_delay_alu instid0(VALU_DEP_3) | instskip(NEXT) | instid1(VALU_DEP_3)
	v_add_co_u32 v0, s0, v19, v0
	v_cmp_lt_u32_e32 vcc_lo, v18, v47
	s_delay_alu instid0(VALU_DEP_3)
	v_add_co_ci_u32_e64 v1, s0, v20, v1, s0
	s_and_saveexec_b32 s0, vcc_lo
	s_cbranch_execz .LBB1953_147
; %bb.146:
	flat_load_u16 v27, v[0:1]
.LBB1953_147:
	s_or_b32 exec_lo, exec_lo, s0
	v_or_b32_e32 v19, 32, v18
	s_delay_alu instid0(VALU_DEP_1) | instskip(NEXT) | instid1(VALU_DEP_1)
	v_cmp_lt_u32_e64 s0, v19, v47
	s_and_saveexec_b32 s1, s0
	s_cbranch_execz .LBB1953_149
; %bb.148:
	flat_load_u16 v17, v[0:1] offset:64
.LBB1953_149:
	s_or_b32 exec_lo, exec_lo, s1
	v_or_b32_e32 v19, 64, v18
	v_dual_mov_b32 v30, -1 :: v_dual_mov_b32 v31, -1
	s_delay_alu instid0(VALU_DEP_2) | instskip(NEXT) | instid1(VALU_DEP_1)
	v_cmp_lt_u32_e64 s1, v19, v47
	s_and_saveexec_b32 s2, s1
	s_cbranch_execz .LBB1953_151
; %bb.150:
	flat_load_u16 v31, v[0:1] offset:128
.LBB1953_151:
	s_or_b32 exec_lo, exec_lo, s2
	v_or_b32_e32 v19, 0x60, v18
	s_delay_alu instid0(VALU_DEP_1) | instskip(NEXT) | instid1(VALU_DEP_1)
	v_cmp_lt_u32_e64 s2, v19, v47
	s_and_saveexec_b32 s3, s2
	s_cbranch_execz .LBB1953_153
; %bb.152:
	flat_load_u16 v30, v[0:1] offset:192
.LBB1953_153:
	s_or_b32 exec_lo, exec_lo, s3
	v_or_b32_e32 v19, 0x80, v18
	v_dual_mov_b32 v32, -1 :: v_dual_mov_b32 v33, -1
	s_delay_alu instid0(VALU_DEP_2) | instskip(NEXT) | instid1(VALU_DEP_1)
	v_cmp_lt_u32_e64 s3, v19, v47
	s_and_saveexec_b32 s4, s3
	s_cbranch_execz .LBB1953_155
; %bb.154:
	flat_load_u16 v33, v[0:1] offset:256
.LBB1953_155:
	;; [unrolled: 19-line block ×3, first 2 shown]
	s_or_b32 exec_lo, exec_lo, s6
	v_or_b32_e32 v18, 0xe0, v18
	s_delay_alu instid0(VALU_DEP_1) | instskip(NEXT) | instid1(VALU_DEP_1)
	v_cmp_lt_u32_e64 s6, v18, v47
	s_and_saveexec_b32 s7, s6
	s_cbranch_execz .LBB1953_161
; %bb.160:
	flat_load_u16 v35, v[0:1] offset:448
.LBB1953_161:
	s_or_b32 exec_lo, exec_lo, s7
	v_lshlrev_b64 v[0:1], 3, v[8:9]
	v_lshlrev_b32_e32 v8, 3, v16
                                        ; implicit-def: $vgpr20_vgpr21
	s_delay_alu instid0(VALU_DEP_2) | instskip(NEXT) | instid1(VALU_DEP_1)
	v_add_co_u32 v9, s7, v4, v0
	v_add_co_ci_u32_e64 v18, s7, v5, v1, s7
	v_lshlrev_b64 v[4:5], 3, v[14:15]
	s_delay_alu instid0(VALU_DEP_3) | instskip(NEXT) | instid1(VALU_DEP_1)
	v_add_co_u32 v8, s7, v9, v8
	v_add_co_ci_u32_e64 v9, s7, 0, v18, s7
	s_delay_alu instid0(VALU_DEP_2) | instskip(NEXT) | instid1(VALU_DEP_1)
	v_add_co_u32 v4, s7, v8, v4
	v_add_co_ci_u32_e64 v5, s7, v9, v5, s7
	s_and_saveexec_b32 s7, vcc_lo
	s_cbranch_execnz .LBB1953_285
; %bb.162:
	s_or_b32 exec_lo, exec_lo, s7
                                        ; implicit-def: $vgpr24_vgpr25
	s_and_saveexec_b32 s7, s0
	s_cbranch_execnz .LBB1953_286
.LBB1953_163:
	s_or_b32 exec_lo, exec_lo, s7
                                        ; implicit-def: $vgpr84_vgpr85
	s_and_saveexec_b32 s0, s1
	s_cbranch_execnz .LBB1953_287
.LBB1953_164:
	s_or_b32 exec_lo, exec_lo, s0
                                        ; implicit-def: $vgpr86_vgpr87
	s_and_saveexec_b32 s0, s2
	s_cbranch_execnz .LBB1953_288
.LBB1953_165:
	s_or_b32 exec_lo, exec_lo, s0
                                        ; implicit-def: $vgpr96_vgpr97
	s_and_saveexec_b32 s0, s3
	s_cbranch_execnz .LBB1953_289
.LBB1953_166:
	s_or_b32 exec_lo, exec_lo, s0
                                        ; implicit-def: $vgpr98_vgpr99
	s_and_saveexec_b32 s0, s4
	s_cbranch_execnz .LBB1953_290
.LBB1953_167:
	s_or_b32 exec_lo, exec_lo, s0
                                        ; implicit-def: $vgpr18_vgpr19
	s_and_saveexec_b32 s0, s5
	s_cbranch_execnz .LBB1953_291
.LBB1953_168:
	s_or_b32 exec_lo, exec_lo, s0
                                        ; implicit-def: $vgpr22_vgpr23
	s_and_saveexec_b32 s0, s6
	s_cbranch_execz .LBB1953_170
.LBB1953_169:
	flat_load_b64 v[22:23], v[4:5] offset:1792
.LBB1953_170:
	s_or_b32 exec_lo, exec_lo, s0
	s_waitcnt vmcnt(0) lgkmcnt(0)
	v_cmp_gt_i16_e32 vcc_lo, 0, v27
	s_mov_b32 s20, 0
	s_getpc_b64 s[0:1]
	s_add_u32 s0, s0, _ZN7rocprim17ROCPRIM_400000_NS16block_radix_sortI12hip_bfloat16Lj256ELj8ElLj1ELj1ELj8ELNS0_26block_radix_rank_algorithmE2ELNS0_18block_padding_hintE2ELNS0_4arch9wavefront6targetE0EE19radix_bits_per_passE@rel32@lo+4
	s_addc_u32 s1, s1, _ZN7rocprim17ROCPRIM_400000_NS16block_radix_sortI12hip_bfloat16Lj256ELj8ElLj1ELj1ELj8ELNS0_26block_radix_rank_algorithmE2ELNS0_18block_padding_hintE2ELNS0_4arch9wavefront6targetE0EE19radix_bits_per_passE@rel32@hi+12
	s_mov_b32 s21, s20
	s_mov_b32 s22, s20
	v_cndmask_b32_e64 v4, 0x7fff, 0, vcc_lo
	v_cmp_gt_i16_e32 vcc_lo, 0, v17
	s_mov_b32 s23, s20
	v_and_b32_e32 v15, 15, v16
	v_lshlrev_b32_e32 v14, 3, v34
	v_xor_b32_e32 v181, v4, v27
	v_cndmask_b32_e64 v5, 0x7fff, 0, vcc_lo
	v_cmp_gt_i16_e32 vcc_lo, 0, v31
	s_load_b32 s25, s[0:1], 0x0
	v_cmp_lt_u32_e64 s0, 1, v15
	v_cmp_lt_u32_e64 s1, 3, v15
	v_xor_b32_e32 v101, v5, v17
	v_cndmask_b32_e64 v8, 0x7fff, 0, vcc_lo
	v_cmp_gt_i16_e32 vcc_lo, 0, v30
	v_and_b32_e32 v17, 0x3e0, v34
	v_cmp_lt_u32_e64 s2, 7, v15
	v_cmp_eq_u32_e64 s7, 0, v16
	v_xor_b32_e32 v113, v8, v31
	v_cndmask_b32_e64 v9, 0x7fff, 0, vcc_lo
	v_cmp_gt_i16_e32 vcc_lo, 0, v33
	v_and_b32_e32 v37, 7, v16
	v_lshrrev_b32_e32 v135, 5, v26
	v_cmp_gt_u32_e64 s5, 8, v34
	v_xor_b32_e32 v103, v9, v30
	v_cndmask_b32_e64 v4, 0x7fff, 0, vcc_lo
	v_cmp_gt_i16_e32 vcc_lo, 0, v32
	v_cmp_lt_u32_e64 s14, 1, v37
	v_cmp_lt_u32_e64 s15, 3, v37
	;; [unrolled: 1-line block ×3, first 2 shown]
	v_xor_b32_e32 v115, v4, v33
	v_cndmask_b32_e64 v5, 0x7fff, 0, vcc_lo
	v_cmp_gt_i16_e32 vcc_lo, 0, v36
	v_lshlrev_b32_e32 v4, 5, v34
	v_cmp_eq_u32_e64 s10, 0, v34
	v_sub_nc_u32_e32 v163, v11, v10
	v_xor_b32_e32 v117, v5, v32
	v_mov_b32_e32 v5, 0
	v_cndmask_b32_e64 v8, 0x7fff, 0, vcc_lo
	v_cmp_gt_i16_e32 vcc_lo, 0, v35
	v_add_nc_u32_e32 v32, -1, v16
	s_waitcnt lgkmcnt(0)
	s_waitcnt_vscnt null, 0x0
	s_barrier
	v_xor_b32_e32 v119, v8, v36
	v_cndmask_b32_e64 v9, 0x7fff, 0, vcc_lo
	v_add_co_u32 v27, vcc_lo, v12, 32
	v_add_co_ci_u32_e32 v39, vcc_lo, 0, v13, vcc_lo
	v_add_co_u32 v8, vcc_lo, v12, v4
	s_delay_alu instid0(VALU_DEP_4)
	v_xor_b32_e32 v180, v9, v35
	v_add_co_ci_u32_e32 v9, vcc_lo, 0, v13, vcc_lo
	v_add_co_u32 v30, vcc_lo, v27, v4
	v_min_u32_e32 v4, 0xe0, v17
	v_and_b32_e32 v17, 16, v16
	v_cmp_gt_i32_e64 s4, 0, v32
	v_add_co_ci_u32_e32 v31, vcc_lo, 0, v39, vcc_lo
	s_delay_alu instid0(VALU_DEP_4) | instskip(NEXT) | instid1(VALU_DEP_4)
	v_or_b32_e32 v4, 31, v4
	v_cmp_eq_u32_e64 s3, 0, v17
	v_lshrrev_b32_e32 v17, 5, v34
	v_cmp_eq_u32_e32 vcc_lo, 0, v15
	v_cndmask_b32_e64 v15, v32, v16, s4
	v_cmp_eq_u32_e64 s4, v4, v34
	v_and_or_b32 v16, 0x1f00, v14, v16
	v_lshlrev_b32_e32 v4, 2, v17
	buffer_gl0_inv
	v_lshlrev_b32_e32 v162, 2, v15
	v_lshlrev_b32_e32 v15, 2, v34
	v_add_co_u32 v32, s11, v12, v4
	v_add_nc_u32_e32 v4, -1, v17
	v_lshlrev_b32_e32 v17, 1, v16
	v_add_co_ci_u32_e64 v33, s11, 0, v13, s11
	v_add_co_u32 v35, s11, v12, v15
	s_delay_alu instid0(VALU_DEP_1) | instskip(SKIP_4) | instid1(VALU_DEP_2)
	v_add_co_ci_u32_e64 v36, s11, 0, v13, s11
	v_cmp_eq_u32_e64 s11, 0, v37
	v_add_co_u32 v37, s16, v12, v17
	v_lshlrev_b64 v[14:15], 2, v[4:5]
	v_add_co_ci_u32_e64 v38, s16, 0, v13, s16
	v_add_co_u32 v48, s16, v12, v14
	s_delay_alu instid0(VALU_DEP_2) | instskip(NEXT) | instid1(VALU_DEP_4)
	v_mad_u64_u32 v[50:51], null, v16, 6, v[37:38]
	v_add_co_ci_u32_e64 v49, s16, v13, v15, s16
	v_dual_mov_b32 v14, s20 :: v_dual_mov_b32 v17, s23
	v_dual_mov_b32 v15, s21 :: v_dual_mov_b32 v16, s22
	s_branch .LBB1953_172
.LBB1953_171:                           ;   in Loop: Header=BB1953_172 Depth=1
	s_or_b32 exec_lo, exec_lo, s17
	s_delay_alu instid0(SALU_CYCLE_1) | instskip(NEXT) | instid1(SALU_CYCLE_1)
	s_and_b32 s16, exec_lo, s18
	s_or_b32 s20, s16, s20
	s_delay_alu instid0(SALU_CYCLE_1)
	s_and_not1_b32 exec_lo, exec_lo, s20
	s_cbranch_execz .LBB1953_226
.LBB1953_172:                           ; =>This Inner Loop Header: Depth=1
	v_mov_b32_e32 v164, v181
	v_dual_mov_b32 v64, v86 :: v_dual_mov_b32 v65, v87
	v_min_u32_e32 v4, s25, v163
	v_mov_b32_e32 v66, v84
	s_delay_alu instid0(VALU_DEP_4) | instskip(SKIP_1) | instid1(VALU_DEP_4)
	v_cmp_ne_u16_e64 s16, 0x8000, v164
	v_dual_mov_b32 v178, v103 :: v_dual_mov_b32 v179, v180
	v_lshlrev_b32_e64 v4, v4, -1
	s_clause 0x1
	flat_store_b128 v[8:9], v[14:17] offset:32
	flat_store_b128 v[30:31], v[14:17] offset:16
	v_cndmask_b32_e64 v52, 0x7fff, v164, s16
	s_waitcnt lgkmcnt(0)
	s_waitcnt_vscnt null, 0x0
	s_barrier
	v_not_b32_e32 v114, v4
	buffer_gl0_inv
	v_dual_mov_b32 v71, v21 :: v_dual_and_b32 v52, 0xffff, v52
	v_dual_mov_b32 v70, v20 :: v_dual_mov_b32 v69, v25
	v_dual_mov_b32 v68, v24 :: v_dual_mov_b32 v67, v85
	s_delay_alu instid0(VALU_DEP_3) | instskip(SKIP_1) | instid1(VALU_DEP_2)
	v_lshrrev_b32_e32 v4, v10, v52
	; wave barrier
	v_mov_b32_e32 v165, v113
	v_dual_mov_b32 v177, v115 :: v_dual_and_b32 v4, v4, v114
	v_dual_mov_b32 v54, v96 :: v_dual_mov_b32 v55, v97
	v_mov_b32_e32 v52, v98
	v_mov_b32_e32 v176, v117
	s_delay_alu instid0(VALU_DEP_4)
	v_and_b32_e32 v20, 1, v4
	v_lshlrev_b32_e32 v21, 30, v4
	v_lshlrev_b32_e32 v24, 29, v4
	;; [unrolled: 1-line block ×4, first 2 shown]
	v_add_co_u32 v20, s16, v20, -1
	s_delay_alu instid0(VALU_DEP_1)
	v_cndmask_b32_e64 v80, 0, 1, s16
	v_not_b32_e32 v84, v21
	v_cmp_gt_i32_e64 s17, 0, v21
	v_not_b32_e32 v21, v24
	v_lshlrev_b32_e32 v82, 26, v4
	v_cmp_ne_u32_e64 s16, 0, v80
	v_ashrrev_i32_e32 v80, 31, v84
	v_lshlrev_b32_e32 v83, 25, v4
	v_ashrrev_i32_e32 v21, 31, v21
	v_lshlrev_b32_e32 v85, 24, v4
	v_xor_b32_e32 v20, s16, v20
	v_cmp_gt_i32_e64 s16, 0, v24
	v_not_b32_e32 v24, v25
	v_xor_b32_e32 v80, s17, v80
	v_cmp_gt_i32_e64 s17, 0, v25
	v_and_b32_e32 v20, exec_lo, v20
	v_not_b32_e32 v25, v81
	v_ashrrev_i32_e32 v24, 31, v24
	v_xor_b32_e32 v21, s16, v21
	v_cmp_gt_i32_e64 s16, 0, v81
	v_dual_mov_b32 v167, v119 :: v_dual_and_b32 v20, v20, v80
	v_not_b32_e32 v80, v82
	v_ashrrev_i32_e32 v25, 31, v25
	v_xor_b32_e32 v24, s17, v24
	s_delay_alu instid0(VALU_DEP_4) | instskip(SKIP_3) | instid1(VALU_DEP_4)
	v_and_b32_e32 v20, v20, v21
	v_cmp_gt_i32_e64 s17, 0, v82
	v_ashrrev_i32_e32 v80, 31, v80
	v_xor_b32_e32 v25, s16, v25
	v_dual_mov_b32 v53, v99 :: v_dual_and_b32 v20, v20, v24
	s_delay_alu instid0(VALU_DEP_3) | instskip(SKIP_1) | instid1(VALU_DEP_3)
	v_xor_b32_e32 v82, s17, v80
	v_dual_mov_b32 v81, v19 :: v_dual_mov_b32 v80, v18
	v_and_b32_e32 v20, v20, v25
	v_not_b32_e32 v21, v83
	v_cmp_gt_i32_e64 s16, 0, v83
	s_delay_alu instid0(VALU_DEP_3) | instskip(NEXT) | instid1(VALU_DEP_3)
	v_dual_mov_b32 v83, v23 :: v_dual_and_b32 v20, v20, v82
	v_ashrrev_i32_e32 v21, 31, v21
	v_mov_b32_e32 v82, v22
	v_not_b32_e32 v24, v85
	v_cmp_gt_i32_e64 s17, 0, v85
	s_delay_alu instid0(VALU_DEP_4) | instskip(SKIP_1) | instid1(VALU_DEP_4)
	v_xor_b32_e32 v19, s16, v21
	v_mov_b32_e32 v166, v101
	v_ashrrev_i32_e32 v18, 31, v24
	s_delay_alu instid0(VALU_DEP_3) | instskip(NEXT) | instid1(VALU_DEP_2)
	v_and_b32_e32 v19, v20, v19
	v_xor_b32_e32 v18, s17, v18
	s_delay_alu instid0(VALU_DEP_1) | instskip(SKIP_1) | instid1(VALU_DEP_2)
	v_and_b32_e32 v18, v19, v18
	v_lshlrev_b32_e32 v19, 3, v4
	v_mbcnt_lo_u32_b32 v4, v18, 0
	s_delay_alu instid0(VALU_DEP_2) | instskip(SKIP_1) | instid1(VALU_DEP_3)
	v_add_lshl_u32 v19, v19, v135, 2
	v_cmp_ne_u32_e64 s16, 0, v18
	v_cmp_eq_u32_e64 s17, 0, v4
	s_delay_alu instid0(VALU_DEP_3) | instskip(NEXT) | instid1(VALU_DEP_1)
	v_add_co_u32 v84, s18, v27, v19
	v_add_co_ci_u32_e64 v85, s18, 0, v39, s18
	s_delay_alu instid0(VALU_DEP_3) | instskip(NEXT) | instid1(SALU_CYCLE_1)
	s_and_b32 s17, s16, s17
	s_and_saveexec_b32 s16, s17
	s_cbranch_execz .LBB1953_174
; %bb.173:                              ;   in Loop: Header=BB1953_172 Depth=1
	v_bcnt_u32_b32 v18, v18, 0
	flat_store_b32 v[84:85], v18
.LBB1953_174:                           ;   in Loop: Header=BB1953_172 Depth=1
	s_or_b32 exec_lo, exec_lo, s16
	v_cmp_ne_u16_e64 s16, 0x8000, v166
	; wave barrier
	s_delay_alu instid0(VALU_DEP_1) | instskip(NEXT) | instid1(VALU_DEP_1)
	v_cndmask_b32_e64 v18, 0x7fff, v166, s16
	v_and_b32_e32 v18, 0xffff, v18
	s_delay_alu instid0(VALU_DEP_1) | instskip(NEXT) | instid1(VALU_DEP_1)
	v_lshrrev_b32_e32 v18, v10, v18
	v_and_b32_e32 v18, v18, v114
	s_delay_alu instid0(VALU_DEP_1) | instskip(SKIP_3) | instid1(VALU_DEP_4)
	v_lshlrev_b32_e32 v19, 3, v18
	v_lshlrev_b32_e32 v21, 30, v18
	;; [unrolled: 1-line block ×4, first 2 shown]
	v_add_lshl_u32 v19, v19, v135, 2
	s_delay_alu instid0(VALU_DEP_1) | instskip(NEXT) | instid1(VALU_DEP_1)
	v_add_co_u32 v86, s16, v27, v19
	v_add_co_ci_u32_e64 v87, s16, 0, v39, s16
	v_and_b32_e32 v19, 1, v18
	flat_load_b32 v116, v[86:87]
	v_add_co_u32 v19, s16, v19, -1
	s_delay_alu instid0(VALU_DEP_1) | instskip(NEXT) | instid1(VALU_DEP_1)
	v_cndmask_b32_e64 v20, 0, 1, s16
	; wave barrier
	v_cmp_ne_u32_e64 s16, 0, v20
	v_not_b32_e32 v20, v21
	s_delay_alu instid0(VALU_DEP_2) | instskip(SKIP_1) | instid1(VALU_DEP_3)
	v_xor_b32_e32 v19, s16, v19
	v_cmp_gt_i32_e64 s16, 0, v21
	v_ashrrev_i32_e32 v20, 31, v20
	v_not_b32_e32 v21, v22
	s_delay_alu instid0(VALU_DEP_4) | instskip(NEXT) | instid1(VALU_DEP_3)
	v_and_b32_e32 v19, exec_lo, v19
	v_xor_b32_e32 v20, s16, v20
	v_cmp_gt_i32_e64 s16, 0, v22
	s_delay_alu instid0(VALU_DEP_4) | instskip(SKIP_1) | instid1(VALU_DEP_4)
	v_ashrrev_i32_e32 v21, 31, v21
	v_not_b32_e32 v22, v23
	v_and_b32_e32 v19, v19, v20
	v_lshlrev_b32_e32 v20, 27, v18
	s_delay_alu instid0(VALU_DEP_4) | instskip(SKIP_2) | instid1(VALU_DEP_4)
	v_xor_b32_e32 v21, s16, v21
	v_cmp_gt_i32_e64 s16, 0, v23
	v_ashrrev_i32_e32 v22, 31, v22
	v_not_b32_e32 v23, v20
	s_delay_alu instid0(VALU_DEP_4) | instskip(SKIP_1) | instid1(VALU_DEP_4)
	v_and_b32_e32 v19, v19, v21
	v_lshlrev_b32_e32 v21, 26, v18
	v_xor_b32_e32 v22, s16, v22
	v_cmp_gt_i32_e64 s16, 0, v20
	v_ashrrev_i32_e32 v20, 31, v23
	s_delay_alu instid0(VALU_DEP_4) | instskip(NEXT) | instid1(VALU_DEP_4)
	v_not_b32_e32 v23, v21
	v_and_b32_e32 v19, v19, v22
	v_lshlrev_b32_e32 v22, 25, v18
	s_delay_alu instid0(VALU_DEP_4)
	v_xor_b32_e32 v20, s16, v20
	v_cmp_gt_i32_e64 s16, 0, v21
	v_ashrrev_i32_e32 v21, 31, v23
	v_lshlrev_b32_e32 v18, 24, v18
	v_not_b32_e32 v23, v22
	v_and_b32_e32 v19, v19, v20
	s_delay_alu instid0(VALU_DEP_4) | instskip(SKIP_1) | instid1(VALU_DEP_4)
	v_xor_b32_e32 v20, s16, v21
	v_cmp_gt_i32_e64 s16, 0, v22
	v_ashrrev_i32_e32 v21, 31, v23
	v_not_b32_e32 v22, v18
	s_delay_alu instid0(VALU_DEP_4) | instskip(NEXT) | instid1(VALU_DEP_3)
	v_and_b32_e32 v19, v19, v20
	v_xor_b32_e32 v20, s16, v21
	v_cmp_gt_i32_e64 s16, 0, v18
	s_delay_alu instid0(VALU_DEP_4) | instskip(NEXT) | instid1(VALU_DEP_3)
	v_ashrrev_i32_e32 v18, 31, v22
	v_and_b32_e32 v19, v19, v20
	s_delay_alu instid0(VALU_DEP_2) | instskip(NEXT) | instid1(VALU_DEP_1)
	v_xor_b32_e32 v18, s16, v18
	v_and_b32_e32 v18, v19, v18
	s_delay_alu instid0(VALU_DEP_1) | instskip(SKIP_1) | instid1(VALU_DEP_2)
	v_mbcnt_lo_u32_b32 v118, v18, 0
	v_cmp_ne_u32_e64 s17, 0, v18
	v_cmp_eq_u32_e64 s16, 0, v118
	s_delay_alu instid0(VALU_DEP_1) | instskip(NEXT) | instid1(SALU_CYCLE_1)
	s_and_b32 s17, s17, s16
	s_and_saveexec_b32 s16, s17
	s_cbranch_execz .LBB1953_176
; %bb.175:                              ;   in Loop: Header=BB1953_172 Depth=1
	s_waitcnt vmcnt(0) lgkmcnt(0)
	v_bcnt_u32_b32 v18, v18, v116
	flat_store_b32 v[86:87], v18
.LBB1953_176:                           ;   in Loop: Header=BB1953_172 Depth=1
	s_or_b32 exec_lo, exec_lo, s16
	v_cmp_ne_u16_e64 s16, 0x8000, v165
	; wave barrier
	s_delay_alu instid0(VALU_DEP_1) | instskip(NEXT) | instid1(VALU_DEP_1)
	v_cndmask_b32_e64 v18, 0x7fff, v165, s16
	v_and_b32_e32 v18, 0xffff, v18
	s_delay_alu instid0(VALU_DEP_1) | instskip(NEXT) | instid1(VALU_DEP_1)
	v_lshrrev_b32_e32 v18, v10, v18
	v_and_b32_e32 v18, v18, v114
	s_delay_alu instid0(VALU_DEP_1) | instskip(SKIP_3) | instid1(VALU_DEP_4)
	v_lshlrev_b32_e32 v19, 3, v18
	v_lshlrev_b32_e32 v21, 30, v18
	;; [unrolled: 1-line block ×4, first 2 shown]
	v_add_lshl_u32 v19, v19, v135, 2
	s_delay_alu instid0(VALU_DEP_1) | instskip(NEXT) | instid1(VALU_DEP_1)
	v_add_co_u32 v96, s16, v27, v19
	v_add_co_ci_u32_e64 v97, s16, 0, v39, s16
	v_and_b32_e32 v19, 1, v18
	flat_load_b32 v128, v[96:97]
	v_add_co_u32 v19, s16, v19, -1
	s_delay_alu instid0(VALU_DEP_1) | instskip(NEXT) | instid1(VALU_DEP_1)
	v_cndmask_b32_e64 v20, 0, 1, s16
	; wave barrier
	v_cmp_ne_u32_e64 s16, 0, v20
	v_not_b32_e32 v20, v21
	s_delay_alu instid0(VALU_DEP_2) | instskip(SKIP_1) | instid1(VALU_DEP_3)
	v_xor_b32_e32 v19, s16, v19
	v_cmp_gt_i32_e64 s16, 0, v21
	v_ashrrev_i32_e32 v20, 31, v20
	v_not_b32_e32 v21, v22
	s_delay_alu instid0(VALU_DEP_4) | instskip(NEXT) | instid1(VALU_DEP_3)
	v_and_b32_e32 v19, exec_lo, v19
	v_xor_b32_e32 v20, s16, v20
	v_cmp_gt_i32_e64 s16, 0, v22
	s_delay_alu instid0(VALU_DEP_4) | instskip(SKIP_1) | instid1(VALU_DEP_4)
	v_ashrrev_i32_e32 v21, 31, v21
	v_not_b32_e32 v22, v23
	v_and_b32_e32 v19, v19, v20
	v_lshlrev_b32_e32 v20, 27, v18
	s_delay_alu instid0(VALU_DEP_4) | instskip(SKIP_2) | instid1(VALU_DEP_4)
	v_xor_b32_e32 v21, s16, v21
	v_cmp_gt_i32_e64 s16, 0, v23
	v_ashrrev_i32_e32 v22, 31, v22
	v_not_b32_e32 v23, v20
	s_delay_alu instid0(VALU_DEP_4) | instskip(SKIP_1) | instid1(VALU_DEP_4)
	v_and_b32_e32 v19, v19, v21
	v_lshlrev_b32_e32 v21, 26, v18
	v_xor_b32_e32 v22, s16, v22
	v_cmp_gt_i32_e64 s16, 0, v20
	v_ashrrev_i32_e32 v20, 31, v23
	s_delay_alu instid0(VALU_DEP_4) | instskip(NEXT) | instid1(VALU_DEP_4)
	v_not_b32_e32 v23, v21
	v_and_b32_e32 v19, v19, v22
	v_lshlrev_b32_e32 v22, 25, v18
	s_delay_alu instid0(VALU_DEP_4)
	v_xor_b32_e32 v20, s16, v20
	v_cmp_gt_i32_e64 s16, 0, v21
	v_ashrrev_i32_e32 v21, 31, v23
	v_lshlrev_b32_e32 v18, 24, v18
	v_not_b32_e32 v23, v22
	v_and_b32_e32 v19, v19, v20
	s_delay_alu instid0(VALU_DEP_4) | instskip(SKIP_1) | instid1(VALU_DEP_4)
	v_xor_b32_e32 v20, s16, v21
	v_cmp_gt_i32_e64 s16, 0, v22
	v_ashrrev_i32_e32 v21, 31, v23
	v_not_b32_e32 v22, v18
	s_delay_alu instid0(VALU_DEP_4) | instskip(NEXT) | instid1(VALU_DEP_3)
	v_and_b32_e32 v19, v19, v20
	v_xor_b32_e32 v20, s16, v21
	v_cmp_gt_i32_e64 s16, 0, v18
	s_delay_alu instid0(VALU_DEP_4) | instskip(NEXT) | instid1(VALU_DEP_3)
	v_ashrrev_i32_e32 v18, 31, v22
	v_and_b32_e32 v19, v19, v20
	s_delay_alu instid0(VALU_DEP_2) | instskip(NEXT) | instid1(VALU_DEP_1)
	v_xor_b32_e32 v18, s16, v18
	v_and_b32_e32 v18, v19, v18
	s_delay_alu instid0(VALU_DEP_1) | instskip(SKIP_1) | instid1(VALU_DEP_2)
	v_mbcnt_lo_u32_b32 v130, v18, 0
	v_cmp_ne_u32_e64 s17, 0, v18
	v_cmp_eq_u32_e64 s16, 0, v130
	s_delay_alu instid0(VALU_DEP_1) | instskip(NEXT) | instid1(SALU_CYCLE_1)
	s_and_b32 s17, s17, s16
	s_and_saveexec_b32 s16, s17
	s_cbranch_execz .LBB1953_178
; %bb.177:                              ;   in Loop: Header=BB1953_172 Depth=1
	s_waitcnt vmcnt(0) lgkmcnt(0)
	v_bcnt_u32_b32 v18, v18, v128
	flat_store_b32 v[96:97], v18
.LBB1953_178:                           ;   in Loop: Header=BB1953_172 Depth=1
	s_or_b32 exec_lo, exec_lo, s16
	v_cmp_ne_u16_e64 s16, 0x8000, v178
	; wave barrier
	s_delay_alu instid0(VALU_DEP_1) | instskip(NEXT) | instid1(VALU_DEP_1)
	v_cndmask_b32_e64 v18, 0x7fff, v178, s16
	v_and_b32_e32 v18, 0xffff, v18
	s_delay_alu instid0(VALU_DEP_1) | instskip(NEXT) | instid1(VALU_DEP_1)
	v_lshrrev_b32_e32 v18, v10, v18
	v_and_b32_e32 v18, v18, v114
	s_delay_alu instid0(VALU_DEP_1) | instskip(SKIP_3) | instid1(VALU_DEP_4)
	v_lshlrev_b32_e32 v19, 3, v18
	v_lshlrev_b32_e32 v21, 30, v18
	;; [unrolled: 1-line block ×4, first 2 shown]
	v_add_lshl_u32 v19, v19, v135, 2
	s_delay_alu instid0(VALU_DEP_1) | instskip(NEXT) | instid1(VALU_DEP_1)
	v_add_co_u32 v98, s16, v27, v19
	v_add_co_ci_u32_e64 v99, s16, 0, v39, s16
	v_and_b32_e32 v19, 1, v18
	flat_load_b32 v131, v[98:99]
	v_add_co_u32 v19, s16, v19, -1
	s_delay_alu instid0(VALU_DEP_1) | instskip(NEXT) | instid1(VALU_DEP_1)
	v_cndmask_b32_e64 v20, 0, 1, s16
	; wave barrier
	v_cmp_ne_u32_e64 s16, 0, v20
	v_not_b32_e32 v20, v21
	s_delay_alu instid0(VALU_DEP_2) | instskip(SKIP_1) | instid1(VALU_DEP_3)
	v_xor_b32_e32 v19, s16, v19
	v_cmp_gt_i32_e64 s16, 0, v21
	v_ashrrev_i32_e32 v20, 31, v20
	v_not_b32_e32 v21, v22
	s_delay_alu instid0(VALU_DEP_4) | instskip(NEXT) | instid1(VALU_DEP_3)
	v_and_b32_e32 v19, exec_lo, v19
	v_xor_b32_e32 v20, s16, v20
	v_cmp_gt_i32_e64 s16, 0, v22
	s_delay_alu instid0(VALU_DEP_4) | instskip(SKIP_1) | instid1(VALU_DEP_4)
	v_ashrrev_i32_e32 v21, 31, v21
	v_not_b32_e32 v22, v23
	v_and_b32_e32 v19, v19, v20
	v_lshlrev_b32_e32 v20, 27, v18
	s_delay_alu instid0(VALU_DEP_4) | instskip(SKIP_2) | instid1(VALU_DEP_4)
	v_xor_b32_e32 v21, s16, v21
	v_cmp_gt_i32_e64 s16, 0, v23
	v_ashrrev_i32_e32 v22, 31, v22
	v_not_b32_e32 v23, v20
	s_delay_alu instid0(VALU_DEP_4) | instskip(SKIP_1) | instid1(VALU_DEP_4)
	v_and_b32_e32 v19, v19, v21
	v_lshlrev_b32_e32 v21, 26, v18
	v_xor_b32_e32 v22, s16, v22
	v_cmp_gt_i32_e64 s16, 0, v20
	v_ashrrev_i32_e32 v20, 31, v23
	s_delay_alu instid0(VALU_DEP_4) | instskip(NEXT) | instid1(VALU_DEP_4)
	v_not_b32_e32 v23, v21
	v_and_b32_e32 v19, v19, v22
	v_lshlrev_b32_e32 v22, 25, v18
	s_delay_alu instid0(VALU_DEP_4)
	v_xor_b32_e32 v20, s16, v20
	v_cmp_gt_i32_e64 s16, 0, v21
	v_ashrrev_i32_e32 v21, 31, v23
	v_lshlrev_b32_e32 v18, 24, v18
	v_not_b32_e32 v23, v22
	v_and_b32_e32 v19, v19, v20
	s_delay_alu instid0(VALU_DEP_4) | instskip(SKIP_1) | instid1(VALU_DEP_4)
	v_xor_b32_e32 v20, s16, v21
	v_cmp_gt_i32_e64 s16, 0, v22
	v_ashrrev_i32_e32 v21, 31, v23
	v_not_b32_e32 v22, v18
	s_delay_alu instid0(VALU_DEP_4) | instskip(NEXT) | instid1(VALU_DEP_3)
	v_and_b32_e32 v19, v19, v20
	v_xor_b32_e32 v20, s16, v21
	v_cmp_gt_i32_e64 s16, 0, v18
	s_delay_alu instid0(VALU_DEP_4) | instskip(NEXT) | instid1(VALU_DEP_3)
	v_ashrrev_i32_e32 v18, 31, v22
	v_and_b32_e32 v19, v19, v20
	s_delay_alu instid0(VALU_DEP_2) | instskip(NEXT) | instid1(VALU_DEP_1)
	v_xor_b32_e32 v18, s16, v18
	v_and_b32_e32 v18, v19, v18
	s_delay_alu instid0(VALU_DEP_1) | instskip(SKIP_1) | instid1(VALU_DEP_2)
	v_mbcnt_lo_u32_b32 v132, v18, 0
	v_cmp_ne_u32_e64 s17, 0, v18
	v_cmp_eq_u32_e64 s16, 0, v132
	s_delay_alu instid0(VALU_DEP_1) | instskip(NEXT) | instid1(SALU_CYCLE_1)
	s_and_b32 s17, s17, s16
	s_and_saveexec_b32 s16, s17
	s_cbranch_execz .LBB1953_180
; %bb.179:                              ;   in Loop: Header=BB1953_172 Depth=1
	s_waitcnt vmcnt(0) lgkmcnt(0)
	v_bcnt_u32_b32 v18, v18, v131
	flat_store_b32 v[98:99], v18
.LBB1953_180:                           ;   in Loop: Header=BB1953_172 Depth=1
	s_or_b32 exec_lo, exec_lo, s16
	v_cmp_ne_u16_e64 s16, 0x8000, v177
	; wave barrier
	s_delay_alu instid0(VALU_DEP_1) | instskip(NEXT) | instid1(VALU_DEP_1)
	v_cndmask_b32_e64 v18, 0x7fff, v177, s16
	v_and_b32_e32 v18, 0xffff, v18
	s_delay_alu instid0(VALU_DEP_1) | instskip(NEXT) | instid1(VALU_DEP_1)
	v_lshrrev_b32_e32 v18, v10, v18
	v_and_b32_e32 v18, v18, v114
	s_delay_alu instid0(VALU_DEP_1) | instskip(SKIP_3) | instid1(VALU_DEP_4)
	v_lshlrev_b32_e32 v19, 3, v18
	v_lshlrev_b32_e32 v21, 30, v18
	;; [unrolled: 1-line block ×4, first 2 shown]
	v_add_lshl_u32 v19, v19, v135, 2
	s_delay_alu instid0(VALU_DEP_1) | instskip(NEXT) | instid1(VALU_DEP_1)
	v_add_co_u32 v100, s16, v27, v19
	v_add_co_ci_u32_e64 v101, s16, 0, v39, s16
	v_and_b32_e32 v19, 1, v18
	flat_load_b32 v133, v[100:101]
	v_add_co_u32 v19, s16, v19, -1
	s_delay_alu instid0(VALU_DEP_1) | instskip(NEXT) | instid1(VALU_DEP_1)
	v_cndmask_b32_e64 v20, 0, 1, s16
	; wave barrier
	v_cmp_ne_u32_e64 s16, 0, v20
	v_not_b32_e32 v20, v21
	s_delay_alu instid0(VALU_DEP_2) | instskip(SKIP_1) | instid1(VALU_DEP_3)
	v_xor_b32_e32 v19, s16, v19
	v_cmp_gt_i32_e64 s16, 0, v21
	v_ashrrev_i32_e32 v20, 31, v20
	v_not_b32_e32 v21, v22
	s_delay_alu instid0(VALU_DEP_4) | instskip(NEXT) | instid1(VALU_DEP_3)
	v_and_b32_e32 v19, exec_lo, v19
	v_xor_b32_e32 v20, s16, v20
	v_cmp_gt_i32_e64 s16, 0, v22
	s_delay_alu instid0(VALU_DEP_4) | instskip(SKIP_1) | instid1(VALU_DEP_4)
	v_ashrrev_i32_e32 v21, 31, v21
	v_not_b32_e32 v22, v23
	v_and_b32_e32 v19, v19, v20
	v_lshlrev_b32_e32 v20, 27, v18
	s_delay_alu instid0(VALU_DEP_4) | instskip(SKIP_2) | instid1(VALU_DEP_4)
	v_xor_b32_e32 v21, s16, v21
	v_cmp_gt_i32_e64 s16, 0, v23
	v_ashrrev_i32_e32 v22, 31, v22
	v_not_b32_e32 v23, v20
	s_delay_alu instid0(VALU_DEP_4) | instskip(SKIP_1) | instid1(VALU_DEP_4)
	v_and_b32_e32 v19, v19, v21
	v_lshlrev_b32_e32 v21, 26, v18
	v_xor_b32_e32 v22, s16, v22
	v_cmp_gt_i32_e64 s16, 0, v20
	v_ashrrev_i32_e32 v20, 31, v23
	s_delay_alu instid0(VALU_DEP_4) | instskip(NEXT) | instid1(VALU_DEP_4)
	v_not_b32_e32 v23, v21
	v_and_b32_e32 v19, v19, v22
	v_lshlrev_b32_e32 v22, 25, v18
	s_delay_alu instid0(VALU_DEP_4)
	v_xor_b32_e32 v20, s16, v20
	v_cmp_gt_i32_e64 s16, 0, v21
	v_ashrrev_i32_e32 v21, 31, v23
	v_lshlrev_b32_e32 v18, 24, v18
	v_not_b32_e32 v23, v22
	v_and_b32_e32 v19, v19, v20
	s_delay_alu instid0(VALU_DEP_4) | instskip(SKIP_1) | instid1(VALU_DEP_4)
	v_xor_b32_e32 v20, s16, v21
	v_cmp_gt_i32_e64 s16, 0, v22
	v_ashrrev_i32_e32 v21, 31, v23
	v_not_b32_e32 v22, v18
	s_delay_alu instid0(VALU_DEP_4) | instskip(NEXT) | instid1(VALU_DEP_3)
	v_and_b32_e32 v19, v19, v20
	v_xor_b32_e32 v20, s16, v21
	v_cmp_gt_i32_e64 s16, 0, v18
	s_delay_alu instid0(VALU_DEP_4) | instskip(NEXT) | instid1(VALU_DEP_3)
	v_ashrrev_i32_e32 v18, 31, v22
	v_and_b32_e32 v19, v19, v20
	s_delay_alu instid0(VALU_DEP_2) | instskip(NEXT) | instid1(VALU_DEP_1)
	v_xor_b32_e32 v18, s16, v18
	v_and_b32_e32 v18, v19, v18
	s_delay_alu instid0(VALU_DEP_1) | instskip(SKIP_1) | instid1(VALU_DEP_2)
	v_mbcnt_lo_u32_b32 v134, v18, 0
	v_cmp_ne_u32_e64 s17, 0, v18
	v_cmp_eq_u32_e64 s16, 0, v134
	s_delay_alu instid0(VALU_DEP_1) | instskip(NEXT) | instid1(SALU_CYCLE_1)
	s_and_b32 s17, s17, s16
	s_and_saveexec_b32 s16, s17
	s_cbranch_execz .LBB1953_182
; %bb.181:                              ;   in Loop: Header=BB1953_172 Depth=1
	s_waitcnt vmcnt(0) lgkmcnt(0)
	v_bcnt_u32_b32 v18, v18, v133
	flat_store_b32 v[100:101], v18
.LBB1953_182:                           ;   in Loop: Header=BB1953_172 Depth=1
	s_or_b32 exec_lo, exec_lo, s16
	v_cmp_ne_u16_e64 s16, 0x8000, v176
	; wave barrier
	s_delay_alu instid0(VALU_DEP_1) | instskip(NEXT) | instid1(VALU_DEP_1)
	v_cndmask_b32_e64 v18, 0x7fff, v176, s16
	v_and_b32_e32 v18, 0xffff, v18
	s_delay_alu instid0(VALU_DEP_1) | instskip(NEXT) | instid1(VALU_DEP_1)
	v_lshrrev_b32_e32 v18, v10, v18
	v_and_b32_e32 v18, v18, v114
	s_delay_alu instid0(VALU_DEP_1) | instskip(SKIP_3) | instid1(VALU_DEP_4)
	v_lshlrev_b32_e32 v19, 3, v18
	v_lshlrev_b32_e32 v21, 30, v18
	v_lshlrev_b32_e32 v22, 29, v18
	v_lshlrev_b32_e32 v23, 28, v18
	v_add_lshl_u32 v19, v19, v135, 2
	s_delay_alu instid0(VALU_DEP_1) | instskip(NEXT) | instid1(VALU_DEP_1)
	v_add_co_u32 v102, s16, v27, v19
	v_add_co_ci_u32_e64 v103, s16, 0, v39, s16
	v_and_b32_e32 v19, 1, v18
	flat_load_b32 v144, v[102:103]
	v_add_co_u32 v19, s16, v19, -1
	s_delay_alu instid0(VALU_DEP_1) | instskip(NEXT) | instid1(VALU_DEP_1)
	v_cndmask_b32_e64 v20, 0, 1, s16
	; wave barrier
	v_cmp_ne_u32_e64 s16, 0, v20
	v_not_b32_e32 v20, v21
	s_delay_alu instid0(VALU_DEP_2) | instskip(SKIP_1) | instid1(VALU_DEP_3)
	v_xor_b32_e32 v19, s16, v19
	v_cmp_gt_i32_e64 s16, 0, v21
	v_ashrrev_i32_e32 v20, 31, v20
	v_not_b32_e32 v21, v22
	s_delay_alu instid0(VALU_DEP_4) | instskip(NEXT) | instid1(VALU_DEP_3)
	v_and_b32_e32 v19, exec_lo, v19
	v_xor_b32_e32 v20, s16, v20
	v_cmp_gt_i32_e64 s16, 0, v22
	s_delay_alu instid0(VALU_DEP_4) | instskip(SKIP_1) | instid1(VALU_DEP_4)
	v_ashrrev_i32_e32 v21, 31, v21
	v_not_b32_e32 v22, v23
	v_and_b32_e32 v19, v19, v20
	v_lshlrev_b32_e32 v20, 27, v18
	s_delay_alu instid0(VALU_DEP_4) | instskip(SKIP_2) | instid1(VALU_DEP_4)
	v_xor_b32_e32 v21, s16, v21
	v_cmp_gt_i32_e64 s16, 0, v23
	v_ashrrev_i32_e32 v22, 31, v22
	v_not_b32_e32 v23, v20
	s_delay_alu instid0(VALU_DEP_4) | instskip(SKIP_1) | instid1(VALU_DEP_4)
	v_and_b32_e32 v19, v19, v21
	v_lshlrev_b32_e32 v21, 26, v18
	v_xor_b32_e32 v22, s16, v22
	v_cmp_gt_i32_e64 s16, 0, v20
	v_ashrrev_i32_e32 v20, 31, v23
	s_delay_alu instid0(VALU_DEP_4) | instskip(NEXT) | instid1(VALU_DEP_4)
	v_not_b32_e32 v23, v21
	v_and_b32_e32 v19, v19, v22
	v_lshlrev_b32_e32 v22, 25, v18
	s_delay_alu instid0(VALU_DEP_4)
	v_xor_b32_e32 v20, s16, v20
	v_cmp_gt_i32_e64 s16, 0, v21
	v_ashrrev_i32_e32 v21, 31, v23
	v_lshlrev_b32_e32 v18, 24, v18
	v_not_b32_e32 v23, v22
	v_and_b32_e32 v19, v19, v20
	s_delay_alu instid0(VALU_DEP_4) | instskip(SKIP_1) | instid1(VALU_DEP_4)
	v_xor_b32_e32 v20, s16, v21
	v_cmp_gt_i32_e64 s16, 0, v22
	v_ashrrev_i32_e32 v21, 31, v23
	v_not_b32_e32 v22, v18
	s_delay_alu instid0(VALU_DEP_4) | instskip(NEXT) | instid1(VALU_DEP_3)
	v_and_b32_e32 v19, v19, v20
	v_xor_b32_e32 v20, s16, v21
	v_cmp_gt_i32_e64 s16, 0, v18
	s_delay_alu instid0(VALU_DEP_4) | instskip(NEXT) | instid1(VALU_DEP_3)
	v_ashrrev_i32_e32 v18, 31, v22
	v_and_b32_e32 v19, v19, v20
	s_delay_alu instid0(VALU_DEP_2) | instskip(NEXT) | instid1(VALU_DEP_1)
	v_xor_b32_e32 v18, s16, v18
	v_and_b32_e32 v18, v19, v18
	s_delay_alu instid0(VALU_DEP_1) | instskip(SKIP_1) | instid1(VALU_DEP_2)
	v_mbcnt_lo_u32_b32 v145, v18, 0
	v_cmp_ne_u32_e64 s17, 0, v18
	v_cmp_eq_u32_e64 s16, 0, v145
	s_delay_alu instid0(VALU_DEP_1) | instskip(NEXT) | instid1(SALU_CYCLE_1)
	s_and_b32 s17, s17, s16
	s_and_saveexec_b32 s16, s17
	s_cbranch_execz .LBB1953_184
; %bb.183:                              ;   in Loop: Header=BB1953_172 Depth=1
	s_waitcnt vmcnt(0) lgkmcnt(0)
	v_bcnt_u32_b32 v18, v18, v144
	flat_store_b32 v[102:103], v18
.LBB1953_184:                           ;   in Loop: Header=BB1953_172 Depth=1
	s_or_b32 exec_lo, exec_lo, s16
	v_cmp_ne_u16_e64 s16, 0x8000, v167
	; wave barrier
	s_delay_alu instid0(VALU_DEP_1) | instskip(NEXT) | instid1(VALU_DEP_1)
	v_cndmask_b32_e64 v18, 0x7fff, v167, s16
	v_and_b32_e32 v18, 0xffff, v18
	s_delay_alu instid0(VALU_DEP_1) | instskip(NEXT) | instid1(VALU_DEP_1)
	v_lshrrev_b32_e32 v18, v10, v18
	v_and_b32_e32 v18, v18, v114
	s_delay_alu instid0(VALU_DEP_1) | instskip(SKIP_3) | instid1(VALU_DEP_4)
	v_lshlrev_b32_e32 v19, 3, v18
	v_lshlrev_b32_e32 v21, 30, v18
	;; [unrolled: 1-line block ×4, first 2 shown]
	v_add_lshl_u32 v19, v19, v135, 2
	s_delay_alu instid0(VALU_DEP_1) | instskip(NEXT) | instid1(VALU_DEP_1)
	v_add_co_u32 v112, s16, v27, v19
	v_add_co_ci_u32_e64 v113, s16, 0, v39, s16
	v_and_b32_e32 v19, 1, v18
	flat_load_b32 v146, v[112:113]
	v_add_co_u32 v19, s16, v19, -1
	s_delay_alu instid0(VALU_DEP_1) | instskip(NEXT) | instid1(VALU_DEP_1)
	v_cndmask_b32_e64 v20, 0, 1, s16
	; wave barrier
	v_cmp_ne_u32_e64 s16, 0, v20
	v_not_b32_e32 v20, v21
	s_delay_alu instid0(VALU_DEP_2) | instskip(SKIP_1) | instid1(VALU_DEP_3)
	v_xor_b32_e32 v19, s16, v19
	v_cmp_gt_i32_e64 s16, 0, v21
	v_ashrrev_i32_e32 v20, 31, v20
	v_not_b32_e32 v21, v22
	s_delay_alu instid0(VALU_DEP_4) | instskip(NEXT) | instid1(VALU_DEP_3)
	v_and_b32_e32 v19, exec_lo, v19
	v_xor_b32_e32 v20, s16, v20
	v_cmp_gt_i32_e64 s16, 0, v22
	s_delay_alu instid0(VALU_DEP_4) | instskip(SKIP_1) | instid1(VALU_DEP_4)
	v_ashrrev_i32_e32 v21, 31, v21
	v_not_b32_e32 v22, v23
	v_and_b32_e32 v19, v19, v20
	v_lshlrev_b32_e32 v20, 27, v18
	s_delay_alu instid0(VALU_DEP_4) | instskip(SKIP_2) | instid1(VALU_DEP_4)
	v_xor_b32_e32 v21, s16, v21
	v_cmp_gt_i32_e64 s16, 0, v23
	v_ashrrev_i32_e32 v22, 31, v22
	v_not_b32_e32 v23, v20
	s_delay_alu instid0(VALU_DEP_4) | instskip(SKIP_1) | instid1(VALU_DEP_4)
	v_and_b32_e32 v19, v19, v21
	v_lshlrev_b32_e32 v21, 26, v18
	v_xor_b32_e32 v22, s16, v22
	v_cmp_gt_i32_e64 s16, 0, v20
	v_ashrrev_i32_e32 v20, 31, v23
	s_delay_alu instid0(VALU_DEP_4) | instskip(NEXT) | instid1(VALU_DEP_4)
	v_not_b32_e32 v23, v21
	v_and_b32_e32 v19, v19, v22
	v_lshlrev_b32_e32 v22, 25, v18
	s_delay_alu instid0(VALU_DEP_4)
	v_xor_b32_e32 v20, s16, v20
	v_cmp_gt_i32_e64 s16, 0, v21
	v_ashrrev_i32_e32 v21, 31, v23
	v_lshlrev_b32_e32 v18, 24, v18
	v_not_b32_e32 v23, v22
	v_and_b32_e32 v19, v19, v20
	s_delay_alu instid0(VALU_DEP_4) | instskip(SKIP_1) | instid1(VALU_DEP_4)
	v_xor_b32_e32 v20, s16, v21
	v_cmp_gt_i32_e64 s16, 0, v22
	v_ashrrev_i32_e32 v21, 31, v23
	v_not_b32_e32 v22, v18
	s_delay_alu instid0(VALU_DEP_4) | instskip(NEXT) | instid1(VALU_DEP_3)
	v_and_b32_e32 v19, v19, v20
	v_xor_b32_e32 v20, s16, v21
	v_cmp_gt_i32_e64 s16, 0, v18
	s_delay_alu instid0(VALU_DEP_4) | instskip(NEXT) | instid1(VALU_DEP_3)
	v_ashrrev_i32_e32 v18, 31, v22
	v_and_b32_e32 v19, v19, v20
	s_delay_alu instid0(VALU_DEP_2) | instskip(NEXT) | instid1(VALU_DEP_1)
	v_xor_b32_e32 v18, s16, v18
	v_and_b32_e32 v18, v19, v18
	s_delay_alu instid0(VALU_DEP_1) | instskip(SKIP_1) | instid1(VALU_DEP_2)
	v_mbcnt_lo_u32_b32 v147, v18, 0
	v_cmp_ne_u32_e64 s17, 0, v18
	v_cmp_eq_u32_e64 s16, 0, v147
	s_delay_alu instid0(VALU_DEP_1) | instskip(NEXT) | instid1(SALU_CYCLE_1)
	s_and_b32 s17, s17, s16
	s_and_saveexec_b32 s16, s17
	s_cbranch_execz .LBB1953_186
; %bb.185:                              ;   in Loop: Header=BB1953_172 Depth=1
	s_waitcnt vmcnt(0) lgkmcnt(0)
	v_bcnt_u32_b32 v18, v18, v146
	flat_store_b32 v[112:113], v18
.LBB1953_186:                           ;   in Loop: Header=BB1953_172 Depth=1
	s_or_b32 exec_lo, exec_lo, s16
	v_cmp_ne_u16_e64 s16, 0x8000, v179
	; wave barrier
	s_delay_alu instid0(VALU_DEP_1) | instskip(NEXT) | instid1(VALU_DEP_1)
	v_cndmask_b32_e64 v18, 0x7fff, v179, s16
	v_and_b32_e32 v18, 0xffff, v18
	s_delay_alu instid0(VALU_DEP_1) | instskip(NEXT) | instid1(VALU_DEP_1)
	v_lshrrev_b32_e32 v18, v10, v18
	v_and_b32_e32 v18, v18, v114
	s_delay_alu instid0(VALU_DEP_1) | instskip(SKIP_3) | instid1(VALU_DEP_4)
	v_lshlrev_b32_e32 v19, 3, v18
	v_lshlrev_b32_e32 v21, 30, v18
	;; [unrolled: 1-line block ×4, first 2 shown]
	v_add_lshl_u32 v19, v19, v135, 2
	s_delay_alu instid0(VALU_DEP_1) | instskip(NEXT) | instid1(VALU_DEP_1)
	v_add_co_u32 v114, s16, v27, v19
	v_add_co_ci_u32_e64 v115, s16, 0, v39, s16
	v_and_b32_e32 v19, 1, v18
	flat_load_b32 v148, v[114:115]
	v_add_co_u32 v19, s16, v19, -1
	s_delay_alu instid0(VALU_DEP_1) | instskip(NEXT) | instid1(VALU_DEP_1)
	v_cndmask_b32_e64 v20, 0, 1, s16
	; wave barrier
	v_cmp_ne_u32_e64 s16, 0, v20
	v_not_b32_e32 v20, v21
	s_delay_alu instid0(VALU_DEP_2) | instskip(SKIP_1) | instid1(VALU_DEP_3)
	v_xor_b32_e32 v19, s16, v19
	v_cmp_gt_i32_e64 s16, 0, v21
	v_ashrrev_i32_e32 v20, 31, v20
	v_not_b32_e32 v21, v22
	s_delay_alu instid0(VALU_DEP_4) | instskip(NEXT) | instid1(VALU_DEP_3)
	v_and_b32_e32 v19, exec_lo, v19
	v_xor_b32_e32 v20, s16, v20
	v_cmp_gt_i32_e64 s16, 0, v22
	s_delay_alu instid0(VALU_DEP_4) | instskip(SKIP_1) | instid1(VALU_DEP_4)
	v_ashrrev_i32_e32 v21, 31, v21
	v_not_b32_e32 v22, v23
	v_and_b32_e32 v19, v19, v20
	v_lshlrev_b32_e32 v20, 27, v18
	s_delay_alu instid0(VALU_DEP_4) | instskip(SKIP_2) | instid1(VALU_DEP_4)
	v_xor_b32_e32 v21, s16, v21
	v_cmp_gt_i32_e64 s16, 0, v23
	v_ashrrev_i32_e32 v22, 31, v22
	v_not_b32_e32 v23, v20
	s_delay_alu instid0(VALU_DEP_4) | instskip(SKIP_1) | instid1(VALU_DEP_4)
	v_and_b32_e32 v19, v19, v21
	v_lshlrev_b32_e32 v21, 26, v18
	v_xor_b32_e32 v22, s16, v22
	v_cmp_gt_i32_e64 s16, 0, v20
	v_ashrrev_i32_e32 v20, 31, v23
	s_delay_alu instid0(VALU_DEP_4) | instskip(NEXT) | instid1(VALU_DEP_4)
	v_not_b32_e32 v23, v21
	v_and_b32_e32 v19, v19, v22
	v_lshlrev_b32_e32 v22, 25, v18
	s_delay_alu instid0(VALU_DEP_4)
	v_xor_b32_e32 v20, s16, v20
	v_cmp_gt_i32_e64 s16, 0, v21
	v_ashrrev_i32_e32 v21, 31, v23
	v_lshlrev_b32_e32 v18, 24, v18
	v_not_b32_e32 v23, v22
	v_and_b32_e32 v19, v19, v20
	s_delay_alu instid0(VALU_DEP_4) | instskip(SKIP_1) | instid1(VALU_DEP_4)
	v_xor_b32_e32 v20, s16, v21
	v_cmp_gt_i32_e64 s16, 0, v22
	v_ashrrev_i32_e32 v21, 31, v23
	v_not_b32_e32 v22, v18
	s_delay_alu instid0(VALU_DEP_4) | instskip(NEXT) | instid1(VALU_DEP_3)
	v_and_b32_e32 v19, v19, v20
	v_xor_b32_e32 v20, s16, v21
	v_cmp_gt_i32_e64 s16, 0, v18
	s_delay_alu instid0(VALU_DEP_4) | instskip(NEXT) | instid1(VALU_DEP_3)
	v_ashrrev_i32_e32 v18, 31, v22
	v_and_b32_e32 v19, v19, v20
	s_delay_alu instid0(VALU_DEP_2) | instskip(NEXT) | instid1(VALU_DEP_1)
	v_xor_b32_e32 v18, s16, v18
	v_and_b32_e32 v18, v19, v18
	s_delay_alu instid0(VALU_DEP_1) | instskip(SKIP_1) | instid1(VALU_DEP_2)
	v_mbcnt_lo_u32_b32 v149, v18, 0
	v_cmp_ne_u32_e64 s17, 0, v18
	v_cmp_eq_u32_e64 s16, 0, v149
	s_delay_alu instid0(VALU_DEP_1) | instskip(NEXT) | instid1(SALU_CYCLE_1)
	s_and_b32 s17, s17, s16
	s_and_saveexec_b32 s16, s17
	s_cbranch_execz .LBB1953_188
; %bb.187:                              ;   in Loop: Header=BB1953_172 Depth=1
	s_waitcnt vmcnt(0) lgkmcnt(0)
	v_bcnt_u32_b32 v18, v18, v148
	flat_store_b32 v[114:115], v18
.LBB1953_188:                           ;   in Loop: Header=BB1953_172 Depth=1
	s_or_b32 exec_lo, exec_lo, s16
	; wave barrier
	s_waitcnt vmcnt(0) lgkmcnt(0)
	s_waitcnt_vscnt null, 0x0
	s_barrier
	buffer_gl0_inv
	s_clause 0x1
	flat_load_b128 v[22:25], v[8:9] offset:32
	flat_load_b128 v[18:21], v[30:31] offset:16
	s_waitcnt vmcnt(1) lgkmcnt(1)
	v_add_nc_u32_e32 v117, v23, v22
	s_delay_alu instid0(VALU_DEP_1) | instskip(SKIP_1) | instid1(VALU_DEP_1)
	v_add3_u32 v117, v117, v24, v25
	s_waitcnt vmcnt(0) lgkmcnt(0)
	v_add3_u32 v117, v117, v18, v19
	s_delay_alu instid0(VALU_DEP_1) | instskip(NEXT) | instid1(VALU_DEP_1)
	v_add3_u32 v21, v117, v20, v21
	v_mov_b32_dpp v117, v21 row_shr:1 row_mask:0xf bank_mask:0xf
	s_delay_alu instid0(VALU_DEP_1) | instskip(NEXT) | instid1(VALU_DEP_1)
	v_cndmask_b32_e64 v117, v117, 0, vcc_lo
	v_add_nc_u32_e32 v21, v117, v21
	s_delay_alu instid0(VALU_DEP_1) | instskip(NEXT) | instid1(VALU_DEP_1)
	v_mov_b32_dpp v117, v21 row_shr:2 row_mask:0xf bank_mask:0xf
	v_cndmask_b32_e64 v117, 0, v117, s0
	s_delay_alu instid0(VALU_DEP_1) | instskip(NEXT) | instid1(VALU_DEP_1)
	v_add_nc_u32_e32 v21, v21, v117
	v_mov_b32_dpp v117, v21 row_shr:4 row_mask:0xf bank_mask:0xf
	s_delay_alu instid0(VALU_DEP_1) | instskip(NEXT) | instid1(VALU_DEP_1)
	v_cndmask_b32_e64 v117, 0, v117, s1
	v_add_nc_u32_e32 v21, v21, v117
	s_delay_alu instid0(VALU_DEP_1) | instskip(NEXT) | instid1(VALU_DEP_1)
	v_mov_b32_dpp v117, v21 row_shr:8 row_mask:0xf bank_mask:0xf
	v_cndmask_b32_e64 v117, 0, v117, s2
	s_delay_alu instid0(VALU_DEP_1) | instskip(SKIP_3) | instid1(VALU_DEP_1)
	v_add_nc_u32_e32 v21, v21, v117
	ds_swizzle_b32 v117, v21 offset:swizzle(BROADCAST,32,15)
	s_waitcnt lgkmcnt(0)
	v_cndmask_b32_e64 v117, v117, 0, s3
	v_add_nc_u32_e32 v21, v21, v117
	s_and_saveexec_b32 s16, s4
	s_cbranch_execz .LBB1953_190
; %bb.189:                              ;   in Loop: Header=BB1953_172 Depth=1
	flat_store_b32 v[32:33], v21
.LBB1953_190:                           ;   in Loop: Header=BB1953_172 Depth=1
	s_or_b32 exec_lo, exec_lo, s16
	s_waitcnt lgkmcnt(0)
	s_waitcnt_vscnt null, 0x0
	s_barrier
	buffer_gl0_inv
	s_and_saveexec_b32 s16, s5
	s_cbranch_execz .LBB1953_192
; %bb.191:                              ;   in Loop: Header=BB1953_172 Depth=1
	flat_load_b32 v117, v[35:36]
	s_waitcnt vmcnt(0) lgkmcnt(0)
	v_mov_b32_dpp v119, v117 row_shr:1 row_mask:0xf bank_mask:0xf
	s_delay_alu instid0(VALU_DEP_1) | instskip(NEXT) | instid1(VALU_DEP_1)
	v_cndmask_b32_e64 v119, v119, 0, s11
	v_add_nc_u32_e32 v117, v119, v117
	s_delay_alu instid0(VALU_DEP_1) | instskip(NEXT) | instid1(VALU_DEP_1)
	v_mov_b32_dpp v119, v117 row_shr:2 row_mask:0xf bank_mask:0xf
	v_cndmask_b32_e64 v119, 0, v119, s14
	s_delay_alu instid0(VALU_DEP_1) | instskip(NEXT) | instid1(VALU_DEP_1)
	v_add_nc_u32_e32 v117, v117, v119
	v_mov_b32_dpp v119, v117 row_shr:4 row_mask:0xf bank_mask:0xf
	s_delay_alu instid0(VALU_DEP_1) | instskip(NEXT) | instid1(VALU_DEP_1)
	v_cndmask_b32_e64 v119, 0, v119, s15
	v_add_nc_u32_e32 v117, v117, v119
	flat_store_b32 v[35:36], v117
.LBB1953_192:                           ;   in Loop: Header=BB1953_172 Depth=1
	s_or_b32 exec_lo, exec_lo, s16
	v_mov_b32_e32 v117, 0
	s_waitcnt lgkmcnt(0)
	s_waitcnt_vscnt null, 0x0
	s_barrier
	buffer_gl0_inv
	s_and_saveexec_b32 s16, s6
	s_cbranch_execz .LBB1953_194
; %bb.193:                              ;   in Loop: Header=BB1953_172 Depth=1
	flat_load_b32 v117, v[48:49]
.LBB1953_194:                           ;   in Loop: Header=BB1953_172 Depth=1
	s_or_b32 exec_lo, exec_lo, s16
	s_waitcnt vmcnt(0) lgkmcnt(0)
	v_add_nc_u32_e32 v21, v117, v21
	v_dual_mov_b32 v129, v5 :: v_dual_add_nc_u32 v10, 8, v10
	v_mov_b32_e32 v119, v5
	s_mov_b32 s18, -1
	ds_bpermute_b32 v21, v162, v21
	s_waitcnt lgkmcnt(0)
	v_cndmask_b32_e64 v21, v21, v117, s7
	v_mov_b32_e32 v117, v5
	s_delay_alu instid0(VALU_DEP_2) | instskip(NEXT) | instid1(VALU_DEP_1)
	v_cndmask_b32_e64 v21, v21, 0, s10
	v_add_nc_u32_e32 v22, v21, v22
	s_delay_alu instid0(VALU_DEP_1) | instskip(NEXT) | instid1(VALU_DEP_1)
	v_add_nc_u32_e32 v23, v22, v23
	v_add_nc_u32_e32 v24, v23, v24
	s_delay_alu instid0(VALU_DEP_1) | instskip(NEXT) | instid1(VALU_DEP_1)
	v_add_nc_u32_e32 v180, v24, v25
	;; [unrolled: 3-line block ×3, first 2 shown]
	v_add_nc_u32_e32 v183, v182, v20
	s_clause 0x1
	flat_store_b128 v[8:9], v[21:24] offset:32
	flat_store_b128 v[30:31], v[180:183] offset:16
	s_waitcnt lgkmcnt(0)
	s_waitcnt_vscnt null, 0x0
	s_barrier
	buffer_gl0_inv
	s_clause 0x7
	flat_load_b32 v18, v[84:85]
	flat_load_b32 v19, v[86:87]
	flat_load_b32 v20, v[96:97]
	flat_load_b32 v21, v[98:99]
	flat_load_b32 v22, v[100:101]
	flat_load_b32 v23, v[102:103]
	flat_load_b32 v24, v[112:113]
	flat_load_b32 v25, v[114:115]
	v_mov_b32_e32 v101, v5
	v_mov_b32_e32 v115, v5
	;; [unrolled: 1-line block ×4, first 2 shown]
	v_cmp_lt_u32_e64 s16, v10, v11
	s_waitcnt vmcnt(0) lgkmcnt(0)
	s_waitcnt_vscnt null, 0x0
                                        ; implicit-def: $vgpr181
                                        ; implicit-def: $vgpr180
	s_waitcnt vmcnt(7) lgkmcnt(7)
	v_add_nc_u32_e32 v4, v18, v4
	s_waitcnt vmcnt(6) lgkmcnt(6)
	v_add3_u32 v112, v118, v116, v19
	s_waitcnt vmcnt(5) lgkmcnt(5)
	v_add3_u32 v100, v130, v128, v20
	;; [unrolled: 2-line block ×4, first 2 shown]
	v_lshlrev_b64 v[18:19], 1, v[4:5]
	v_lshlrev_b64 v[20:21], 1, v[112:113]
	s_waitcnt vmcnt(2) lgkmcnt(2)
	v_add3_u32 v116, v145, v144, v23
	v_lshlrev_b64 v[22:23], 1, v[100:101]
	s_waitcnt vmcnt(0) lgkmcnt(0)
	v_add3_u32 v128, v149, v148, v25
	v_add3_u32 v118, v147, v146, v24
	v_add_co_u32 v150, s17, v12, v18
	s_delay_alu instid0(VALU_DEP_1) | instskip(SKIP_2) | instid1(VALU_DEP_1)
	v_add_co_ci_u32_e64 v151, s17, v13, v19, s17
	v_lshlrev_b64 v[24:25], 1, v[102:103]
	v_add_co_u32 v160, s17, v12, v20
	v_add_co_ci_u32_e64 v161, s17, v13, v21, s17
	v_lshlrev_b64 v[84:85], 1, v[114:115]
	v_lshlrev_b64 v[98:99], 1, v[128:129]
	v_add_co_u32 v129, s17, v12, v22
	s_delay_alu instid0(VALU_DEP_1) | instskip(SKIP_2) | instid1(VALU_DEP_1)
	v_add_co_ci_u32_e64 v130, s17, v13, v23, s17
	v_lshlrev_b64 v[86:87], 1, v[116:117]
	v_add_co_u32 v131, s17, v12, v24
	v_add_co_ci_u32_e64 v132, s17, v13, v25, s17
	v_lshlrev_b64 v[96:97], 1, v[118:119]
	v_add_co_u32 v133, s17, v12, v84
	s_delay_alu instid0(VALU_DEP_1) | instskip(SKIP_1) | instid1(VALU_DEP_1)
	v_add_co_ci_u32_e64 v134, s17, v13, v85, s17
	v_add_co_u32 v144, s17, v12, v86
	v_add_co_ci_u32_e64 v145, s17, v13, v87, s17
	v_add_co_u32 v146, s17, v12, v96
	s_delay_alu instid0(VALU_DEP_1) | instskip(SKIP_1) | instid1(VALU_DEP_1)
	v_add_co_ci_u32_e64 v147, s17, v13, v97, s17
	v_add_co_u32 v148, s17, v12, v98
	v_add_co_ci_u32_e64 v149, s17, v13, v99, s17
                                        ; implicit-def: $vgpr20_vgpr21
                                        ; implicit-def: $vgpr24_vgpr25
                                        ; implicit-def: $vgpr84_vgpr85
                                        ; implicit-def: $vgpr86_vgpr87
                                        ; implicit-def: $vgpr96_vgpr97
                                        ; implicit-def: $vgpr98_vgpr99
                                        ; implicit-def: $vgpr18_vgpr19
                                        ; implicit-def: $vgpr22_vgpr23
                                        ; implicit-def: $vgpr101
                                        ; implicit-def: $vgpr113
                                        ; implicit-def: $vgpr103
                                        ; implicit-def: $vgpr115
                                        ; implicit-def: $vgpr117
                                        ; implicit-def: $vgpr119
	s_and_saveexec_b32 s17, s16
	s_cbranch_execz .LBB1953_171
; %bb.195:                              ;   in Loop: Header=BB1953_172 Depth=1
	v_mad_u64_u32 v[18:19], null, v4, 6, v[150:151]
	v_mad_u64_u32 v[20:21], null, v112, 6, v[160:161]
	;; [unrolled: 1-line block ×8, first 2 shown]
	s_barrier
	buffer_gl0_inv
	s_clause 0x7
	flat_store_b16 v[150:151], v164
	flat_store_b16 v[160:161], v166
	;; [unrolled: 1-line block ×8, first 2 shown]
	s_waitcnt lgkmcnt(0)
	s_waitcnt_vscnt null, 0x0
	s_barrier
	buffer_gl0_inv
	s_clause 0x7
	flat_load_u16 v181, v[37:38]
	flat_load_u16 v101, v[37:38] offset:64
	flat_load_u16 v113, v[37:38] offset:128
	;; [unrolled: 1-line block ×7, first 2 shown]
	s_waitcnt vmcnt(0) lgkmcnt(0)
	s_barrier
	buffer_gl0_inv
	s_clause 0x7
	flat_store_b64 v[18:19], v[70:71]
	flat_store_b64 v[20:21], v[68:69]
	;; [unrolled: 1-line block ×8, first 2 shown]
	s_waitcnt lgkmcnt(0)
	s_waitcnt_vscnt null, 0x0
	s_barrier
	buffer_gl0_inv
	s_clause 0x7
	flat_load_b64 v[20:21], v[50:51]
	flat_load_b64 v[24:25], v[50:51] offset:256
	flat_load_b64 v[84:85], v[50:51] offset:512
	;; [unrolled: 1-line block ×7, first 2 shown]
	v_add_nc_u32_e32 v163, -8, v163
	s_xor_b32 s18, exec_lo, -1
	s_waitcnt vmcnt(0) lgkmcnt(0)
	s_barrier
	buffer_gl0_inv
	s_branch .LBB1953_171
.LBB1953_196:
	flat_load_b64 v[22:23], v[4:5]
	s_or_b32 exec_lo, exec_lo, s19
                                        ; implicit-def: $vgpr18_vgpr19
	s_and_saveexec_b32 s19, s0
	s_cbranch_execz .LBB1953_36
.LBB1953_197:
	flat_load_b64 v[18:19], v[4:5] offset:256
	s_or_b32 exec_lo, exec_lo, s19
                                        ; implicit-def: $vgpr20_vgpr21
	s_and_saveexec_b32 s0, s1
	s_cbranch_execz .LBB1953_37
.LBB1953_198:
	flat_load_b64 v[20:21], v[4:5] offset:512
	s_or_b32 exec_lo, exec_lo, s0
                                        ; implicit-def: $vgpr24_vgpr25
	s_and_saveexec_b32 s0, s2
	s_cbranch_execz .LBB1953_38
.LBB1953_199:
	flat_load_b64 v[24:25], v[4:5] offset:768
	s_or_b32 exec_lo, exec_lo, s0
                                        ; implicit-def: $vgpr116_vgpr117
	s_and_saveexec_b32 s0, s3
	s_cbranch_execz .LBB1953_39
.LBB1953_200:
	flat_load_b64 v[116:117], v[4:5] offset:1024
	s_or_b32 exec_lo, exec_lo, s0
                                        ; implicit-def: $vgpr134_vgpr135
	s_and_saveexec_b32 s0, s4
	s_cbranch_execz .LBB1953_40
.LBB1953_201:
	flat_load_b64 v[134:135], v[4:5] offset:1280
	s_or_b32 exec_lo, exec_lo, s0
                                        ; implicit-def: $vgpr176_vgpr177
	s_and_saveexec_b32 s0, s5
	s_cbranch_execz .LBB1953_41
.LBB1953_202:
	flat_load_b64 v[176:177], v[4:5] offset:1536
	s_or_b32 exec_lo, exec_lo, s0
                                        ; implicit-def: $vgpr192_vgpr193
	s_and_saveexec_b32 s0, s6
	s_cbranch_execz .LBB1953_42
.LBB1953_203:
	flat_load_b64 v[192:193], v[4:5] offset:1792
	s_or_b32 exec_lo, exec_lo, s0
                                        ; implicit-def: $vgpr194_vgpr195
	s_and_saveexec_b32 s0, s7
	s_cbranch_execz .LBB1953_43
.LBB1953_204:
	flat_load_b64 v[194:195], v[4:5] offset:2048
	s_or_b32 exec_lo, exec_lo, s0
                                        ; implicit-def: $vgpr196_vgpr197
	s_and_saveexec_b32 s0, s10
	s_cbranch_execz .LBB1953_44
.LBB1953_205:
	flat_load_b64 v[196:197], v[4:5] offset:2304
	s_or_b32 exec_lo, exec_lo, s0
                                        ; implicit-def: $vgpr198_vgpr199
	s_and_saveexec_b32 s0, s11
	s_cbranch_execz .LBB1953_45
.LBB1953_206:
	flat_load_b64 v[198:199], v[4:5] offset:2560
	s_or_b32 exec_lo, exec_lo, s0
                                        ; implicit-def: $vgpr208_vgpr209
	s_and_saveexec_b32 s0, s14
	s_cbranch_execz .LBB1953_46
.LBB1953_207:
	flat_load_b64 v[208:209], v[4:5] offset:2816
	s_or_b32 exec_lo, exec_lo, s0
                                        ; implicit-def: $vgpr210_vgpr211
	s_and_saveexec_b32 s0, s15
	s_cbranch_execz .LBB1953_47
.LBB1953_208:
	flat_load_b64 v[210:211], v[4:5] offset:3072
	s_or_b32 exec_lo, exec_lo, s0
                                        ; implicit-def: $vgpr212_vgpr213
	s_and_saveexec_b32 s0, s16
	s_cbranch_execz .LBB1953_48
.LBB1953_209:
	flat_load_b64 v[212:213], v[4:5] offset:3328
	s_or_b32 exec_lo, exec_lo, s0
                                        ; implicit-def: $vgpr214_vgpr215
	s_and_saveexec_b32 s0, s17
	s_cbranch_execz .LBB1953_49
.LBB1953_210:
	flat_load_b64 v[214:215], v[4:5] offset:3584
	s_or_b32 exec_lo, exec_lo, s0
                                        ; implicit-def: $vgpr224_vgpr225
	s_and_saveexec_b32 s0, s18
	s_cbranch_execnz .LBB1953_50
	s_branch .LBB1953_51
.LBB1953_211:
	flat_store_b64 v[0:1], v[48:49]
	s_or_b32 exec_lo, exec_lo, s19
	s_and_saveexec_b32 s19, s0
	s_cbranch_execz .LBB1953_127
.LBB1953_212:
	flat_store_b64 v[0:1], v[38:39] offset:2048
	s_or_b32 exec_lo, exec_lo, s19
	s_and_saveexec_b32 s0, s1
	s_cbranch_execz .LBB1953_128
.LBB1953_213:
	v_add_co_u32 v2, vcc_lo, 0x1000, v0
	v_add_co_ci_u32_e32 v3, vcc_lo, 0, v1, vcc_lo
	flat_store_b64 v[2:3], v[36:37]
	s_or_b32 exec_lo, exec_lo, s0
	s_and_saveexec_b32 s0, s2
	s_cbranch_execz .LBB1953_129
.LBB1953_214:
	v_add_co_u32 v2, vcc_lo, 0x1000, v0
	v_add_co_ci_u32_e32 v3, vcc_lo, 0, v1, vcc_lo
	flat_store_b64 v[2:3], v[34:35] offset:2048
	s_or_b32 exec_lo, exec_lo, s0
	s_and_saveexec_b32 s0, s3
	s_cbranch_execz .LBB1953_130
.LBB1953_215:
	v_add_co_u32 v2, vcc_lo, 0x2000, v0
	v_add_co_ci_u32_e32 v3, vcc_lo, 0, v1, vcc_lo
	flat_store_b64 v[2:3], v[32:33]
	s_or_b32 exec_lo, exec_lo, s0
	s_and_saveexec_b32 s0, s4
	s_cbranch_execz .LBB1953_131
.LBB1953_216:
	v_add_co_u32 v2, vcc_lo, 0x2000, v0
	v_add_co_ci_u32_e32 v3, vcc_lo, 0, v1, vcc_lo
	flat_store_b64 v[2:3], v[30:31] offset:2048
	s_or_b32 exec_lo, exec_lo, s0
	s_and_saveexec_b32 s0, s5
	s_cbranch_execz .LBB1953_132
.LBB1953_217:
	v_add_co_u32 v2, vcc_lo, 0x3000, v0
	v_add_co_ci_u32_e32 v3, vcc_lo, 0, v1, vcc_lo
	flat_store_b64 v[2:3], v[22:23]
	s_or_b32 exec_lo, exec_lo, s0
	s_and_saveexec_b32 s0, s6
	s_cbranch_execz .LBB1953_133
.LBB1953_218:
	v_add_co_u32 v2, vcc_lo, 0x3000, v0
	v_add_co_ci_u32_e32 v3, vcc_lo, 0, v1, vcc_lo
	flat_store_b64 v[2:3], v[18:19] offset:2048
	s_or_b32 exec_lo, exec_lo, s0
	s_and_saveexec_b32 s0, s7
	s_cbranch_execz .LBB1953_134
.LBB1953_219:
	v_add_co_u32 v2, vcc_lo, 0x4000, v0
	v_add_co_ci_u32_e32 v3, vcc_lo, 0, v1, vcc_lo
	flat_store_b64 v[2:3], v[24:25]
	s_or_b32 exec_lo, exec_lo, s0
	s_and_saveexec_b32 s0, s10
	s_cbranch_execz .LBB1953_135
.LBB1953_220:
	v_add_co_u32 v2, vcc_lo, 0x4000, v0
	v_add_co_ci_u32_e32 v3, vcc_lo, 0, v1, vcc_lo
	flat_store_b64 v[2:3], v[20:21] offset:2048
	s_or_b32 exec_lo, exec_lo, s0
	s_and_saveexec_b32 s0, s11
	s_cbranch_execz .LBB1953_136
.LBB1953_221:
	v_add_co_u32 v2, vcc_lo, 0x5000, v0
	v_add_co_ci_u32_e32 v3, vcc_lo, 0, v1, vcc_lo
	flat_store_b64 v[2:3], v[16:17]
	s_or_b32 exec_lo, exec_lo, s0
	s_and_saveexec_b32 s0, s14
	s_cbranch_execz .LBB1953_137
.LBB1953_222:
	v_add_co_u32 v2, vcc_lo, 0x5000, v0
	v_add_co_ci_u32_e32 v3, vcc_lo, 0, v1, vcc_lo
	flat_store_b64 v[2:3], v[14:15] offset:2048
	s_or_b32 exec_lo, exec_lo, s0
	s_and_saveexec_b32 s0, s15
	s_cbranch_execz .LBB1953_138
.LBB1953_223:
	v_add_co_u32 v2, vcc_lo, 0x6000, v0
	v_add_co_ci_u32_e32 v3, vcc_lo, 0, v1, vcc_lo
	flat_store_b64 v[2:3], v[12:13]
	s_or_b32 exec_lo, exec_lo, s0
	s_and_saveexec_b32 s0, s16
	s_cbranch_execz .LBB1953_139
.LBB1953_224:
	v_add_co_u32 v2, vcc_lo, 0x6000, v0
	v_add_co_ci_u32_e32 v3, vcc_lo, 0, v1, vcc_lo
	flat_store_b64 v[2:3], v[10:11] offset:2048
	s_or_b32 exec_lo, exec_lo, s0
	s_and_saveexec_b32 s0, s17
	s_cbranch_execz .LBB1953_140
.LBB1953_225:
	v_add_co_u32 v2, vcc_lo, 0x7000, v0
	v_add_co_ci_u32_e32 v3, vcc_lo, 0, v1, vcc_lo
	flat_store_b64 v[2:3], v[8:9]
	s_or_b32 exec_lo, exec_lo, s0
	s_and_saveexec_b32 s0, s18
	s_cbranch_execnz .LBB1953_141
	s_branch .LBB1953_142
.LBB1953_226:
	s_or_b32 exec_lo, exec_lo, s20
	v_lshlrev_b32_e32 v5, 1, v34
	v_mad_u64_u32 v[10:11], null, v4, 6, v[150:151]
	s_barrier
	buffer_gl0_inv
	v_add_co_u32 v8, vcc_lo, v12, v5
	v_mad_u64_u32 v[4:5], null, v112, 6, v[160:161]
	v_add_co_ci_u32_e32 v9, vcc_lo, 0, v13, vcc_lo
	s_clause 0x7
	flat_store_b16 v[150:151], v164
	flat_store_b16 v[160:161], v166
	;; [unrolled: 1-line block ×8, first 2 shown]
	s_waitcnt lgkmcnt(0)
	s_waitcnt_vscnt null, 0x0
	s_barrier
	buffer_gl0_inv
	s_clause 0x7
	flat_load_u16 v33, v[8:9]
	flat_load_u16 v32, v[8:9] offset:512
	flat_load_u16 v31, v[8:9] offset:1024
	;; [unrolled: 1-line block ×7, first 2 shown]
	s_waitcnt vmcnt(0) lgkmcnt(0)
	s_barrier
	buffer_gl0_inv
	s_clause 0x1
	flat_store_b64 v[10:11], v[70:71]
	flat_store_b64 v[4:5], v[68:69]
	v_mad_u64_u32 v[4:5], null, v100, 6, v[129:130]
	v_mad_u64_u32 v[10:11], null, v102, 6, v[131:132]
	;; [unrolled: 1-line block ×4, first 2 shown]
	s_clause 0x3
	flat_store_b64 v[4:5], v[66:67]
	flat_store_b64 v[10:11], v[64:65]
	;; [unrolled: 1-line block ×4, first 2 shown]
	v_mad_u64_u32 v[4:5], null, v34, 6, v[8:9]
	v_lshl_or_b32 v10, v34, 3, 0x2000
	v_mad_u64_u32 v[18:19], null, v118, 6, v[146:147]
	v_mad_u64_u32 v[20:21], null, v128, 6, v[148:149]
	s_clause 0x1
	flat_store_b64 v[18:19], v[80:81]
	flat_store_b64 v[20:21], v[82:83]
	v_add_co_u32 v8, vcc_lo, 0x1000, v4
	v_add_co_ci_u32_e32 v9, vcc_lo, 0, v5, vcc_lo
	v_add_co_u32 v10, vcc_lo, v12, v10
	v_add_co_ci_u32_e32 v11, vcc_lo, 0, v13, vcc_lo
	;; [unrolled: 2-line block ×3, first 2 shown]
	v_add_co_u32 v36, vcc_lo, 0x3000, v4
	s_waitcnt lgkmcnt(0)
	s_waitcnt_vscnt null, 0x0
	s_barrier
	buffer_gl0_inv
	v_add_co_ci_u32_e32 v37, vcc_lo, 0, v5, vcc_lo
	s_clause 0x7
	flat_load_b64 v[20:21], v[4:5]
	flat_load_b64 v[18:19], v[4:5] offset:2048
	flat_load_b64 v[16:17], v[8:9]
	flat_load_b64 v[14:15], v[8:9] offset:2048
	;; [unrolled: 2-line block ×4, first 2 shown]
	v_mov_b32_e32 v27, 0
	v_add_co_u32 v2, vcc_lo, v2, v28
	v_add_co_ci_u32_e32 v3, vcc_lo, v3, v29, vcc_lo
	s_delay_alu instid0(VALU_DEP_3)
	v_lshlrev_b64 v[34:35], 1, v[26:27]
	s_waitcnt vmcnt(0) lgkmcnt(0)
	s_barrier
	buffer_gl0_inv
	v_add_co_u32 v2, vcc_lo, v2, v34
	v_add_co_ci_u32_e32 v3, vcc_lo, v3, v35, vcc_lo
	v_cmp_lt_u32_e32 vcc_lo, v26, v47
	s_and_saveexec_b32 s1, vcc_lo
	s_cbranch_execz .LBB1953_228
; %bb.227:
	v_cmp_gt_i16_e64 s0, 0, v33
	s_delay_alu instid0(VALU_DEP_1) | instskip(NEXT) | instid1(VALU_DEP_1)
	v_cndmask_b32_e64 v28, 0x7fff, 0, s0
	v_xor_b32_e32 v28, v28, v33
	flat_store_b16 v[2:3], v28
.LBB1953_228:
	s_or_b32 exec_lo, exec_lo, s1
	v_add_nc_u32_e32 v28, 0x100, v26
	s_delay_alu instid0(VALU_DEP_1) | instskip(NEXT) | instid1(VALU_DEP_1)
	v_cmp_lt_u32_e64 s0, v28, v47
	s_and_saveexec_b32 s2, s0
	s_cbranch_execz .LBB1953_230
; %bb.229:
	v_cmp_gt_i16_e64 s1, 0, v32
	s_delay_alu instid0(VALU_DEP_1) | instskip(NEXT) | instid1(VALU_DEP_1)
	v_cndmask_b32_e64 v28, 0x7fff, 0, s1
	v_xor_b32_e32 v28, v28, v32
	flat_store_b16 v[2:3], v28 offset:512
.LBB1953_230:
	s_or_b32 exec_lo, exec_lo, s2
	v_add_nc_u32_e32 v28, 0x200, v26
	s_delay_alu instid0(VALU_DEP_1) | instskip(NEXT) | instid1(VALU_DEP_1)
	v_cmp_lt_u32_e64 s1, v28, v47
	s_and_saveexec_b32 s3, s1
	s_cbranch_execz .LBB1953_232
; %bb.231:
	v_cmp_gt_i16_e64 s2, 0, v31
	s_delay_alu instid0(VALU_DEP_1) | instskip(NEXT) | instid1(VALU_DEP_1)
	v_cndmask_b32_e64 v28, 0x7fff, 0, s2
	v_xor_b32_e32 v28, v28, v31
	flat_store_b16 v[2:3], v28 offset:1024
.LBB1953_232:
	;; [unrolled: 13-line block ×7, first 2 shown]
	s_or_b32 exec_lo, exec_lo, s10
	v_lshlrev_b64 v[2:3], 3, v[26:27]
	v_add_co_u32 v0, s7, v6, v0
	s_delay_alu instid0(VALU_DEP_1) | instskip(NEXT) | instid1(VALU_DEP_2)
	v_add_co_ci_u32_e64 v1, s7, v7, v1, s7
	v_add_co_u32 v0, s7, v0, v2
	s_delay_alu instid0(VALU_DEP_1)
	v_add_co_ci_u32_e64 v1, s7, v1, v3, s7
	s_and_saveexec_b32 s7, vcc_lo
	s_cbranch_execnz .LBB1953_292
; %bb.243:
	s_or_b32 exec_lo, exec_lo, s7
	s_and_saveexec_b32 s7, s0
	s_cbranch_execnz .LBB1953_293
.LBB1953_244:
	s_or_b32 exec_lo, exec_lo, s7
	s_and_saveexec_b32 s0, s1
	s_cbranch_execnz .LBB1953_294
.LBB1953_245:
	s_or_b32 exec_lo, exec_lo, s0
	s_and_saveexec_b32 s0, s2
	s_cbranch_execnz .LBB1953_295
.LBB1953_246:
	s_or_b32 exec_lo, exec_lo, s0
	s_and_saveexec_b32 s0, s3
	s_cbranch_execnz .LBB1953_296
.LBB1953_247:
	s_or_b32 exec_lo, exec_lo, s0
	s_and_saveexec_b32 s0, s4
	s_cbranch_execnz .LBB1953_297
.LBB1953_248:
	s_or_b32 exec_lo, exec_lo, s0
	s_and_saveexec_b32 s0, s5
	s_cbranch_execnz .LBB1953_298
.LBB1953_249:
	s_or_b32 exec_lo, exec_lo, s0
	s_and_saveexec_b32 s0, s6
	s_cbranch_execz .LBB1953_251
.LBB1953_250:
	v_add_co_u32 v0, vcc_lo, 0x3000, v0
	v_add_co_ci_u32_e32 v1, vcc_lo, 0, v1, vcc_lo
	flat_store_b64 v[0:1], v[4:5] offset:2048
.LBB1953_251:
	s_or_b32 exec_lo, exec_lo, s0
                                        ; implicit-def: $vgpr47
                                        ; implicit-def: $vgpr0
                                        ; implicit-def: $vgpr1
                                        ; implicit-def: $vgpr2
                                        ; implicit-def: $vgpr3
                                        ; implicit-def: $vgpr4
                                        ; implicit-def: $vgpr5
                                        ; implicit-def: $vgpr6
                                        ; implicit-def: $vgpr7
                                        ; implicit-def: $vgpr8
                                        ; implicit-def: $vgpr10
                                        ; implicit-def: $vgpr11
                                        ; implicit-def: $vgpr12
                                        ; implicit-def: $vgpr13
                                        ; implicit-def: $vgpr14
                                        ; implicit-def: $vgpr15
                                        ; implicit-def: $vgpr34
                                        ; implicit-def: $vgpr16
.LBB1953_252:
	s_and_not1_saveexec_b32 s0, s19
	s_cbranch_execz .LBB1953_372
; %bb.253:
	s_mov_b32 s0, exec_lo
	v_cmpx_lt_u32_e32 0x200, v47
	s_xor_b32 s19, exec_lo, s0
	s_cbranch_execz .LBB1953_313
; %bb.254:
	s_load_b64 s[0:1], s[8:9], 0x0
	v_mov_b32_e32 v9, 0
	s_waitcnt lgkmcnt(0)
	s_cmp_lt_u32 s13, s1
	s_cselect_b32 s1, 14, 20
	s_delay_alu instid0(SALU_CYCLE_1) | instskip(SKIP_4) | instid1(SALU_CYCLE_1)
	s_add_u32 s2, s8, s1
	s_addc_u32 s3, s9, 0
	s_cmp_lt_u32 s12, s0
	global_load_u16 v17, v9, s[2:3]
	s_cselect_b32 s0, 12, 18
	s_add_u32 s0, s8, s0
	s_addc_u32 s1, s9, 0
	global_load_u16 v18, v9, s[0:1]
	s_waitcnt vmcnt(1)
	v_mad_u32_u24 v14, v15, v17, v14
	v_mov_b32_e32 v17, -1
	s_waitcnt vmcnt(0)
	s_delay_alu instid0(VALU_DEP_2) | instskip(SKIP_1) | instid1(VALU_DEP_2)
	v_mad_u64_u32 v[35:36], null, v14, v18, v[34:35]
	v_lshlrev_b32_e32 v18, 1, v16
	v_lshlrev_b32_e32 v14, 2, v35
	v_lshlrev_b64 v[37:38], 1, v[8:9]
	s_delay_alu instid0(VALU_DEP_2) | instskip(NEXT) | instid1(VALU_DEP_2)
	v_dual_mov_b32 v15, v9 :: v_dual_and_b32 v14, 0xffffff80, v14
	v_add_co_u32 v19, vcc_lo, v0, v37
	s_delay_alu instid0(VALU_DEP_3) | instskip(NEXT) | instid1(VALU_DEP_3)
	v_add_co_ci_u32_e32 v20, vcc_lo, v1, v38, vcc_lo
	v_lshlrev_b64 v[0:1], 1, v[14:15]
	s_delay_alu instid0(VALU_DEP_3) | instskip(SKIP_1) | instid1(VALU_DEP_4)
	v_add_co_u32 v18, vcc_lo, v19, v18
	v_or_b32_e32 v21, v14, v16
	v_add_co_ci_u32_e32 v19, vcc_lo, 0, v20, vcc_lo
	s_delay_alu instid0(VALU_DEP_3) | instskip(NEXT) | instid1(VALU_DEP_3)
	v_add_co_u32 v0, vcc_lo, v18, v0
	v_cmp_lt_u32_e64 s1, v21, v47
	s_delay_alu instid0(VALU_DEP_3) | instskip(SKIP_1) | instid1(VALU_DEP_3)
	v_add_co_ci_u32_e32 v1, vcc_lo, v19, v1, vcc_lo
	v_mov_b32_e32 v18, -1
	s_and_saveexec_b32 s0, s1
	s_cbranch_execz .LBB1953_256
; %bb.255:
	flat_load_u16 v18, v[0:1]
.LBB1953_256:
	s_or_b32 exec_lo, exec_lo, s0
	v_or_b32_e32 v19, 32, v21
	s_delay_alu instid0(VALU_DEP_1) | instskip(NEXT) | instid1(VALU_DEP_1)
	v_cmp_lt_u32_e64 s2, v19, v47
	s_and_saveexec_b32 s0, s2
	s_cbranch_execz .LBB1953_258
; %bb.257:
	flat_load_u16 v17, v[0:1] offset:64
.LBB1953_258:
	s_or_b32 exec_lo, exec_lo, s0
	v_or_b32_e32 v20, 64, v21
	v_mov_b32_e32 v19, -1
	s_delay_alu instid0(VALU_DEP_2) | instskip(SKIP_1) | instid1(VALU_DEP_2)
	v_cmp_lt_u32_e64 s0, v20, v47
	v_mov_b32_e32 v20, -1
	s_and_saveexec_b32 s3, s0
	s_cbranch_execz .LBB1953_260
; %bb.259:
	flat_load_u16 v20, v[0:1] offset:128
.LBB1953_260:
	s_or_b32 exec_lo, exec_lo, s3
	v_or_b32_e32 v21, 0x60, v21
	s_delay_alu instid0(VALU_DEP_1)
	v_cmp_lt_u32_e32 vcc_lo, v21, v47
	s_and_saveexec_b32 s3, vcc_lo
	s_cbranch_execz .LBB1953_262
; %bb.261:
	flat_load_u16 v19, v[0:1] offset:192
.LBB1953_262:
	s_or_b32 exec_lo, exec_lo, s3
	v_lshlrev_b64 v[0:1], 3, v[8:9]
	v_lshlrev_b32_e32 v8, 3, v16
                                        ; implicit-def: $vgpr22_vgpr23_vgpr24_vgpr25_vgpr26_vgpr27_vgpr28_vgpr29
	s_delay_alu instid0(VALU_DEP_2) | instskip(NEXT) | instid1(VALU_DEP_1)
	v_add_co_u32 v9, s3, v4, v0
	v_add_co_ci_u32_e64 v21, s3, v5, v1, s3
	v_lshlrev_b64 v[4:5], 3, v[14:15]
	s_delay_alu instid0(VALU_DEP_3) | instskip(NEXT) | instid1(VALU_DEP_1)
	v_add_co_u32 v8, s3, v9, v8
	v_add_co_ci_u32_e64 v9, s3, 0, v21, s3
	s_delay_alu instid0(VALU_DEP_2) | instskip(NEXT) | instid1(VALU_DEP_1)
	v_add_co_u32 v4, s3, v8, v4
	v_add_co_ci_u32_e64 v5, s3, v9, v5, s3
	s_and_saveexec_b32 s3, s1
	s_cbranch_execnz .LBB1953_337
; %bb.263:
	s_or_b32 exec_lo, exec_lo, s3
	s_and_saveexec_b32 s1, s2
	s_cbranch_execnz .LBB1953_338
.LBB1953_264:
	s_or_b32 exec_lo, exec_lo, s1
	s_and_saveexec_b32 s1, s0
	s_cbranch_execnz .LBB1953_339
.LBB1953_265:
	s_or_b32 exec_lo, exec_lo, s1
	s_and_saveexec_b32 s0, vcc_lo
	s_cbranch_execz .LBB1953_267
.LBB1953_266:
	flat_load_b64 v[28:29], v[4:5] offset:768
.LBB1953_267:
	s_or_b32 exec_lo, exec_lo, s0
	s_waitcnt vmcnt(0) lgkmcnt(0)
	v_cmp_gt_i16_e32 vcc_lo, 0, v18
	s_mov_b32 s20, 0
	s_getpc_b64 s[0:1]
	s_add_u32 s0, s0, _ZN7rocprim17ROCPRIM_400000_NS16block_radix_sortI12hip_bfloat16Lj256ELj4ElLj1ELj1ELj8ELNS0_26block_radix_rank_algorithmE2ELNS0_18block_padding_hintE2ELNS0_4arch9wavefront6targetE0EE19radix_bits_per_passE@rel32@lo+4
	s_addc_u32 s1, s1, _ZN7rocprim17ROCPRIM_400000_NS16block_radix_sortI12hip_bfloat16Lj256ELj4ElLj1ELj1ELj8ELNS0_26block_radix_rank_algorithmE2ELNS0_18block_padding_hintE2ELNS0_4arch9wavefront6targetE0EE19radix_bits_per_passE@rel32@hi+12
	s_mov_b32 s21, s20
	s_mov_b32 s22, s20
	v_cndmask_b32_e64 v4, 0x7fff, 0, vcc_lo
	v_cmp_gt_i16_e32 vcc_lo, 0, v17
	s_mov_b32 s23, s20
	s_delay_alu instid0(SALU_CYCLE_1) | instskip(NEXT) | instid1(VALU_DEP_3)
	v_dual_mov_b32 v33, s23 :: v_dual_and_b32 v14, 15, v16
	v_xor_b32_e32 v113, v4, v18
	v_cndmask_b32_e64 v5, 0x7fff, 0, vcc_lo
	v_cmp_gt_i16_e32 vcc_lo, 0, v20
	v_lshlrev_b32_e32 v4, 5, v34
	v_dual_mov_b32 v32, s22 :: v_dual_and_b32 v15, 0x3e0, v34
	s_delay_alu instid0(VALU_DEP_4)
	v_xor_b32_e32 v69, v5, v17
	v_cndmask_b32_e64 v8, 0x7fff, 0, vcc_lo
	v_cmp_gt_i16_e32 vcc_lo, 0, v19
	v_add_nc_u32_e32 v17, -1, v16
	v_mov_b32_e32 v5, 0
	s_load_b32 s25, s[0:1], 0x0
	v_xor_b32_e32 v71, v8, v20
	v_cndmask_b32_e64 v9, 0x7fff, 0, vcc_lo
	v_add_co_u32 v36, vcc_lo, v12, 32
	v_add_co_ci_u32_e32 v39, vcc_lo, 0, v13, vcc_lo
	v_add_co_u32 v8, vcc_lo, v12, v4
	v_cmp_gt_i32_e64 s4, 0, v17
	v_xor_b32_e32 v112, v9, v19
	v_add_co_ci_u32_e32 v9, vcc_lo, 0, v13, vcc_lo
	v_add_co_u32 v48, vcc_lo, v36, v4
	v_add_co_ci_u32_e32 v49, vcc_lo, 0, v39, vcc_lo
	v_cmp_eq_u32_e32 vcc_lo, 0, v14
	v_cmp_lt_u32_e64 s0, 1, v14
	v_cmp_lt_u32_e64 s1, 3, v14
	;; [unrolled: 1-line block ×3, first 2 shown]
	v_cndmask_b32_e64 v14, v17, v16, s4
	v_min_u32_e32 v4, 0xe0, v15
	v_dual_mov_b32 v30, s20 :: v_dual_and_b32 v15, 16, v16
	v_cmp_eq_u32_e64 s7, 0, v16
	s_delay_alu instid0(VALU_DEP_4)
	v_dual_mov_b32 v31, s21 :: v_dual_lshlrev_b32 v98, 2, v14
	v_lshlrev_b32_e32 v14, 2, v34
	v_or_b32_e32 v4, 31, v4
	v_cmp_eq_u32_e64 s3, 0, v15
	v_lshrrev_b32_e32 v15, 5, v34
	v_and_b32_e32 v17, 7, v16
	v_and_or_b32 v16, 0xf80, v14, v16
	v_cmp_eq_u32_e64 s4, v4, v34
	v_lshrrev_b32_e32 v87, 5, v35
	v_lshlrev_b32_e32 v4, 2, v15
	v_cmp_gt_u32_e64 s5, 8, v34
	v_lshlrev_b32_e32 v18, 1, v16
	v_cmp_lt_u32_e64 s6, 31, v34
	v_cmp_eq_u32_e64 s10, 0, v34
	v_add_co_u32 v50, s11, v12, v4
	v_add_nc_u32_e32 v4, -1, v15
	v_add_co_u32 v54, s16, v12, v18
	v_add_co_ci_u32_e64 v51, s11, 0, v13, s11
	v_add_co_u32 v52, s11, v12, v14
	s_delay_alu instid0(VALU_DEP_4) | instskip(SKIP_3) | instid1(VALU_DEP_3)
	v_lshlrev_b64 v[14:15], 2, v[4:5]
	v_add_co_ci_u32_e64 v55, s16, 0, v13, s16
	v_add_co_ci_u32_e64 v53, s11, 0, v13, s11
	v_cmp_eq_u32_e64 s11, 0, v17
	v_mad_u64_u32 v[66:67], null, v16, 6, v[54:55]
	v_add_co_u32 v64, s16, v12, v14
	v_cmp_lt_u32_e64 s14, 1, v17
	v_cmp_lt_u32_e64 s15, 3, v17
	v_add_co_ci_u32_e64 v65, s16, v13, v15, s16
	v_sub_nc_u32_e32 v99, v11, v10
	s_waitcnt lgkmcnt(0)
	s_waitcnt_vscnt null, 0x0
	s_barrier
	buffer_gl0_inv
	s_branch .LBB1953_269
.LBB1953_268:                           ;   in Loop: Header=BB1953_269 Depth=1
	s_or_b32 exec_lo, exec_lo, s17
	s_delay_alu instid0(SALU_CYCLE_1) | instskip(NEXT) | instid1(SALU_CYCLE_1)
	s_and_b32 s16, exec_lo, s18
	s_or_b32 s20, s16, s20
	s_delay_alu instid0(SALU_CYCLE_1)
	s_and_not1_b32 exec_lo, exec_lo, s20
	s_cbranch_execz .LBB1953_299
.LBB1953_269:                           ; =>This Inner Loop Header: Depth=1
	v_mov_b32_e32 v100, v113
	v_min_u32_e32 v4, s25, v99
	v_mov_b32_e32 v102, v71
	s_clause 0x1
	flat_store_b128 v[8:9], v[30:33] offset:32
	flat_store_b128 v[48:49], v[30:33] offset:16
	s_waitcnt lgkmcnt(0)
	s_waitcnt_vscnt null, 0x0
	v_cmp_ne_u16_e64 s16, 0x8000, v100
	v_lshlrev_b32_e64 v4, v4, -1
	s_barrier
	buffer_gl0_inv
	v_cndmask_b32_e64 v14, 0x7fff, v100, s16
	v_not_b32_e32 v82, v4
	; wave barrier
	v_mov_b32_e32 v103, v69
	s_delay_alu instid0(VALU_DEP_3) | instskip(NEXT) | instid1(VALU_DEP_1)
	v_dual_mov_b32 v101, v112 :: v_dual_and_b32 v14, 0xffff, v14
	v_lshrrev_b32_e32 v4, v10, v14
	s_delay_alu instid0(VALU_DEP_1) | instskip(NEXT) | instid1(VALU_DEP_1)
	v_and_b32_e32 v4, v4, v82
	v_and_b32_e32 v14, 1, v4
	v_lshlrev_b32_e32 v15, 30, v4
	v_lshlrev_b32_e32 v16, 29, v4
	;; [unrolled: 1-line block ×4, first 2 shown]
	v_add_co_u32 v14, s16, v14, -1
	s_delay_alu instid0(VALU_DEP_1)
	v_cndmask_b32_e64 v18, 0, 1, s16
	v_not_b32_e32 v68, v15
	v_cmp_gt_i32_e64 s17, 0, v15
	v_not_b32_e32 v15, v16
	v_lshlrev_b32_e32 v20, 26, v4
	v_cmp_ne_u32_e64 s16, 0, v18
	v_ashrrev_i32_e32 v68, 31, v68
	v_lshlrev_b32_e32 v21, 25, v4
	v_ashrrev_i32_e32 v15, 31, v15
	v_lshlrev_b32_e32 v18, 24, v4
	v_xor_b32_e32 v14, s16, v14
	v_cmp_gt_i32_e64 s16, 0, v16
	v_not_b32_e32 v16, v17
	v_xor_b32_e32 v68, s17, v68
	v_cmp_gt_i32_e64 s17, 0, v17
	v_and_b32_e32 v14, exec_lo, v14
	v_not_b32_e32 v17, v19
	v_ashrrev_i32_e32 v16, 31, v16
	v_xor_b32_e32 v15, s16, v15
	v_cmp_gt_i32_e64 s16, 0, v19
	v_and_b32_e32 v14, v14, v68
	v_not_b32_e32 v19, v20
	v_ashrrev_i32_e32 v17, 31, v17
	v_xor_b32_e32 v16, s17, v16
	v_cmp_gt_i32_e64 s17, 0, v20
	v_and_b32_e32 v14, v14, v15
	;; [unrolled: 5-line block ×4, first 2 shown]
	v_ashrrev_i32_e32 v16, 31, v16
	v_xor_b32_e32 v15, s16, v15
	s_delay_alu instid0(VALU_DEP_3) | instskip(NEXT) | instid1(VALU_DEP_3)
	v_and_b32_e32 v14, v14, v19
	v_xor_b32_e32 v68, s17, v16
	s_delay_alu instid0(VALU_DEP_2)
	v_and_b32_e32 v70, v14, v15
	v_dual_mov_b32 v14, v22 :: v_dual_mov_b32 v15, v23
	v_dual_mov_b32 v16, v24 :: v_dual_mov_b32 v17, v25
	;; [unrolled: 1-line block ×4, first 2 shown]
	v_lshlrev_b32_e32 v23, 3, v4
	v_and_b32_e32 v22, v70, v68
	s_delay_alu instid0(VALU_DEP_2) | instskip(NEXT) | instid1(VALU_DEP_2)
	v_add_lshl_u32 v23, v23, v87, 2
	v_mbcnt_lo_u32_b32 v4, v22, 0
	v_cmp_ne_u32_e64 s16, 0, v22
	s_delay_alu instid0(VALU_DEP_3) | instskip(NEXT) | instid1(VALU_DEP_3)
	v_add_co_u32 v68, s18, v36, v23
	v_cmp_eq_u32_e64 s17, 0, v4
	v_add_co_ci_u32_e64 v69, s18, 0, v39, s18
	s_delay_alu instid0(VALU_DEP_2) | instskip(NEXT) | instid1(SALU_CYCLE_1)
	s_and_b32 s17, s16, s17
	s_and_saveexec_b32 s16, s17
	s_cbranch_execz .LBB1953_271
; %bb.270:                              ;   in Loop: Header=BB1953_269 Depth=1
	v_bcnt_u32_b32 v22, v22, 0
	flat_store_b32 v[68:69], v22
.LBB1953_271:                           ;   in Loop: Header=BB1953_269 Depth=1
	s_or_b32 exec_lo, exec_lo, s16
	v_cmp_ne_u16_e64 s16, 0x8000, v103
	; wave barrier
	s_delay_alu instid0(VALU_DEP_1) | instskip(NEXT) | instid1(VALU_DEP_1)
	v_cndmask_b32_e64 v22, 0x7fff, v103, s16
	v_and_b32_e32 v22, 0xffff, v22
	s_delay_alu instid0(VALU_DEP_1) | instskip(NEXT) | instid1(VALU_DEP_1)
	v_lshrrev_b32_e32 v22, v10, v22
	v_and_b32_e32 v22, v22, v82
	s_delay_alu instid0(VALU_DEP_1) | instskip(SKIP_3) | instid1(VALU_DEP_4)
	v_lshlrev_b32_e32 v23, 3, v22
	v_lshlrev_b32_e32 v25, 30, v22
	;; [unrolled: 1-line block ×4, first 2 shown]
	v_add_lshl_u32 v23, v23, v87, 2
	s_delay_alu instid0(VALU_DEP_1) | instskip(NEXT) | instid1(VALU_DEP_1)
	v_add_co_u32 v70, s16, v36, v23
	v_add_co_ci_u32_e64 v71, s16, 0, v39, s16
	v_and_b32_e32 v23, 1, v22
	flat_load_b32 v84, v[70:71]
	v_add_co_u32 v23, s16, v23, -1
	s_delay_alu instid0(VALU_DEP_1) | instskip(NEXT) | instid1(VALU_DEP_1)
	v_cndmask_b32_e64 v24, 0, 1, s16
	; wave barrier
	v_cmp_ne_u32_e64 s16, 0, v24
	v_not_b32_e32 v24, v25
	s_delay_alu instid0(VALU_DEP_2) | instskip(SKIP_1) | instid1(VALU_DEP_3)
	v_xor_b32_e32 v23, s16, v23
	v_cmp_gt_i32_e64 s16, 0, v25
	v_ashrrev_i32_e32 v24, 31, v24
	v_not_b32_e32 v25, v26
	s_delay_alu instid0(VALU_DEP_4) | instskip(NEXT) | instid1(VALU_DEP_3)
	v_and_b32_e32 v23, exec_lo, v23
	v_xor_b32_e32 v24, s16, v24
	v_cmp_gt_i32_e64 s16, 0, v26
	s_delay_alu instid0(VALU_DEP_4) | instskip(SKIP_1) | instid1(VALU_DEP_4)
	v_ashrrev_i32_e32 v25, 31, v25
	v_not_b32_e32 v26, v27
	v_and_b32_e32 v23, v23, v24
	v_lshlrev_b32_e32 v24, 27, v22
	s_delay_alu instid0(VALU_DEP_4) | instskip(SKIP_2) | instid1(VALU_DEP_4)
	v_xor_b32_e32 v25, s16, v25
	v_cmp_gt_i32_e64 s16, 0, v27
	v_ashrrev_i32_e32 v26, 31, v26
	v_not_b32_e32 v27, v24
	s_delay_alu instid0(VALU_DEP_4) | instskip(SKIP_1) | instid1(VALU_DEP_4)
	v_and_b32_e32 v23, v23, v25
	v_lshlrev_b32_e32 v25, 26, v22
	v_xor_b32_e32 v26, s16, v26
	v_cmp_gt_i32_e64 s16, 0, v24
	v_ashrrev_i32_e32 v24, 31, v27
	s_delay_alu instid0(VALU_DEP_4) | instskip(NEXT) | instid1(VALU_DEP_4)
	v_not_b32_e32 v27, v25
	v_and_b32_e32 v23, v23, v26
	v_lshlrev_b32_e32 v26, 25, v22
	s_delay_alu instid0(VALU_DEP_4)
	v_xor_b32_e32 v24, s16, v24
	v_cmp_gt_i32_e64 s16, 0, v25
	v_ashrrev_i32_e32 v25, 31, v27
	v_lshlrev_b32_e32 v22, 24, v22
	v_not_b32_e32 v27, v26
	v_and_b32_e32 v23, v23, v24
	s_delay_alu instid0(VALU_DEP_4) | instskip(SKIP_1) | instid1(VALU_DEP_4)
	v_xor_b32_e32 v24, s16, v25
	v_cmp_gt_i32_e64 s16, 0, v26
	v_ashrrev_i32_e32 v25, 31, v27
	v_not_b32_e32 v26, v22
	s_delay_alu instid0(VALU_DEP_4) | instskip(NEXT) | instid1(VALU_DEP_3)
	v_and_b32_e32 v23, v23, v24
	v_xor_b32_e32 v24, s16, v25
	v_cmp_gt_i32_e64 s16, 0, v22
	s_delay_alu instid0(VALU_DEP_4) | instskip(NEXT) | instid1(VALU_DEP_3)
	v_ashrrev_i32_e32 v22, 31, v26
	v_and_b32_e32 v23, v23, v24
	s_delay_alu instid0(VALU_DEP_2) | instskip(NEXT) | instid1(VALU_DEP_1)
	v_xor_b32_e32 v22, s16, v22
	v_and_b32_e32 v22, v23, v22
	s_delay_alu instid0(VALU_DEP_1) | instskip(SKIP_1) | instid1(VALU_DEP_2)
	v_mbcnt_lo_u32_b32 v85, v22, 0
	v_cmp_ne_u32_e64 s17, 0, v22
	v_cmp_eq_u32_e64 s16, 0, v85
	s_delay_alu instid0(VALU_DEP_1) | instskip(NEXT) | instid1(SALU_CYCLE_1)
	s_and_b32 s17, s17, s16
	s_and_saveexec_b32 s16, s17
	s_cbranch_execz .LBB1953_273
; %bb.272:                              ;   in Loop: Header=BB1953_269 Depth=1
	s_waitcnt vmcnt(0) lgkmcnt(0)
	v_bcnt_u32_b32 v22, v22, v84
	flat_store_b32 v[70:71], v22
.LBB1953_273:                           ;   in Loop: Header=BB1953_269 Depth=1
	s_or_b32 exec_lo, exec_lo, s16
	v_cmp_ne_u16_e64 s16, 0x8000, v102
	; wave barrier
	s_delay_alu instid0(VALU_DEP_1) | instskip(NEXT) | instid1(VALU_DEP_1)
	v_cndmask_b32_e64 v22, 0x7fff, v102, s16
	v_and_b32_e32 v22, 0xffff, v22
	s_delay_alu instid0(VALU_DEP_1) | instskip(NEXT) | instid1(VALU_DEP_1)
	v_lshrrev_b32_e32 v22, v10, v22
	v_and_b32_e32 v22, v22, v82
	s_delay_alu instid0(VALU_DEP_1) | instskip(SKIP_3) | instid1(VALU_DEP_4)
	v_lshlrev_b32_e32 v23, 3, v22
	v_lshlrev_b32_e32 v25, 30, v22
	v_lshlrev_b32_e32 v26, 29, v22
	v_lshlrev_b32_e32 v27, 28, v22
	v_add_lshl_u32 v23, v23, v87, 2
	s_delay_alu instid0(VALU_DEP_1) | instskip(NEXT) | instid1(VALU_DEP_1)
	v_add_co_u32 v80, s16, v36, v23
	v_add_co_ci_u32_e64 v81, s16, 0, v39, s16
	v_and_b32_e32 v23, 1, v22
	flat_load_b32 v86, v[80:81]
	v_add_co_u32 v23, s16, v23, -1
	s_delay_alu instid0(VALU_DEP_1) | instskip(NEXT) | instid1(VALU_DEP_1)
	v_cndmask_b32_e64 v24, 0, 1, s16
	; wave barrier
	v_cmp_ne_u32_e64 s16, 0, v24
	v_not_b32_e32 v24, v25
	s_delay_alu instid0(VALU_DEP_2) | instskip(SKIP_1) | instid1(VALU_DEP_3)
	v_xor_b32_e32 v23, s16, v23
	v_cmp_gt_i32_e64 s16, 0, v25
	v_ashrrev_i32_e32 v24, 31, v24
	v_not_b32_e32 v25, v26
	s_delay_alu instid0(VALU_DEP_4) | instskip(NEXT) | instid1(VALU_DEP_3)
	v_and_b32_e32 v23, exec_lo, v23
	v_xor_b32_e32 v24, s16, v24
	v_cmp_gt_i32_e64 s16, 0, v26
	s_delay_alu instid0(VALU_DEP_4) | instskip(SKIP_1) | instid1(VALU_DEP_4)
	v_ashrrev_i32_e32 v25, 31, v25
	v_not_b32_e32 v26, v27
	v_and_b32_e32 v23, v23, v24
	v_lshlrev_b32_e32 v24, 27, v22
	s_delay_alu instid0(VALU_DEP_4) | instskip(SKIP_2) | instid1(VALU_DEP_4)
	v_xor_b32_e32 v25, s16, v25
	v_cmp_gt_i32_e64 s16, 0, v27
	v_ashrrev_i32_e32 v26, 31, v26
	v_not_b32_e32 v27, v24
	s_delay_alu instid0(VALU_DEP_4) | instskip(SKIP_1) | instid1(VALU_DEP_4)
	v_and_b32_e32 v23, v23, v25
	v_lshlrev_b32_e32 v25, 26, v22
	v_xor_b32_e32 v26, s16, v26
	v_cmp_gt_i32_e64 s16, 0, v24
	v_ashrrev_i32_e32 v24, 31, v27
	s_delay_alu instid0(VALU_DEP_4) | instskip(NEXT) | instid1(VALU_DEP_4)
	v_not_b32_e32 v27, v25
	v_and_b32_e32 v23, v23, v26
	v_lshlrev_b32_e32 v26, 25, v22
	s_delay_alu instid0(VALU_DEP_4)
	v_xor_b32_e32 v24, s16, v24
	v_cmp_gt_i32_e64 s16, 0, v25
	v_ashrrev_i32_e32 v25, 31, v27
	v_lshlrev_b32_e32 v22, 24, v22
	v_not_b32_e32 v27, v26
	v_and_b32_e32 v23, v23, v24
	s_delay_alu instid0(VALU_DEP_4) | instskip(SKIP_1) | instid1(VALU_DEP_4)
	v_xor_b32_e32 v24, s16, v25
	v_cmp_gt_i32_e64 s16, 0, v26
	v_ashrrev_i32_e32 v25, 31, v27
	v_not_b32_e32 v26, v22
	s_delay_alu instid0(VALU_DEP_4) | instskip(NEXT) | instid1(VALU_DEP_3)
	v_and_b32_e32 v23, v23, v24
	v_xor_b32_e32 v24, s16, v25
	v_cmp_gt_i32_e64 s16, 0, v22
	s_delay_alu instid0(VALU_DEP_4) | instskip(NEXT) | instid1(VALU_DEP_3)
	v_ashrrev_i32_e32 v22, 31, v26
	v_and_b32_e32 v23, v23, v24
	s_delay_alu instid0(VALU_DEP_2) | instskip(NEXT) | instid1(VALU_DEP_1)
	v_xor_b32_e32 v22, s16, v22
	v_and_b32_e32 v22, v23, v22
	s_delay_alu instid0(VALU_DEP_1) | instskip(SKIP_1) | instid1(VALU_DEP_2)
	v_mbcnt_lo_u32_b32 v96, v22, 0
	v_cmp_ne_u32_e64 s17, 0, v22
	v_cmp_eq_u32_e64 s16, 0, v96
	s_delay_alu instid0(VALU_DEP_1) | instskip(NEXT) | instid1(SALU_CYCLE_1)
	s_and_b32 s17, s17, s16
	s_and_saveexec_b32 s16, s17
	s_cbranch_execz .LBB1953_275
; %bb.274:                              ;   in Loop: Header=BB1953_269 Depth=1
	s_waitcnt vmcnt(0) lgkmcnt(0)
	v_bcnt_u32_b32 v22, v22, v86
	flat_store_b32 v[80:81], v22
.LBB1953_275:                           ;   in Loop: Header=BB1953_269 Depth=1
	s_or_b32 exec_lo, exec_lo, s16
	v_cmp_ne_u16_e64 s16, 0x8000, v101
	; wave barrier
	s_delay_alu instid0(VALU_DEP_1) | instskip(NEXT) | instid1(VALU_DEP_1)
	v_cndmask_b32_e64 v22, 0x7fff, v101, s16
	v_and_b32_e32 v22, 0xffff, v22
	s_delay_alu instid0(VALU_DEP_1) | instskip(NEXT) | instid1(VALU_DEP_1)
	v_lshrrev_b32_e32 v22, v10, v22
	v_and_b32_e32 v22, v22, v82
	s_delay_alu instid0(VALU_DEP_1) | instskip(SKIP_3) | instid1(VALU_DEP_4)
	v_lshlrev_b32_e32 v23, 3, v22
	v_lshlrev_b32_e32 v25, 30, v22
	;; [unrolled: 1-line block ×4, first 2 shown]
	v_add_lshl_u32 v23, v23, v87, 2
	s_delay_alu instid0(VALU_DEP_1) | instskip(NEXT) | instid1(VALU_DEP_1)
	v_add_co_u32 v82, s16, v36, v23
	v_add_co_ci_u32_e64 v83, s16, 0, v39, s16
	v_and_b32_e32 v23, 1, v22
	flat_load_b32 v97, v[82:83]
	v_add_co_u32 v23, s16, v23, -1
	s_delay_alu instid0(VALU_DEP_1) | instskip(NEXT) | instid1(VALU_DEP_1)
	v_cndmask_b32_e64 v24, 0, 1, s16
	; wave barrier
	v_cmp_ne_u32_e64 s16, 0, v24
	v_not_b32_e32 v24, v25
	s_delay_alu instid0(VALU_DEP_2) | instskip(SKIP_1) | instid1(VALU_DEP_3)
	v_xor_b32_e32 v23, s16, v23
	v_cmp_gt_i32_e64 s16, 0, v25
	v_ashrrev_i32_e32 v24, 31, v24
	v_not_b32_e32 v25, v26
	s_delay_alu instid0(VALU_DEP_4) | instskip(NEXT) | instid1(VALU_DEP_3)
	v_and_b32_e32 v23, exec_lo, v23
	v_xor_b32_e32 v24, s16, v24
	v_cmp_gt_i32_e64 s16, 0, v26
	s_delay_alu instid0(VALU_DEP_4) | instskip(SKIP_1) | instid1(VALU_DEP_4)
	v_ashrrev_i32_e32 v25, 31, v25
	v_not_b32_e32 v26, v27
	v_and_b32_e32 v23, v23, v24
	v_lshlrev_b32_e32 v24, 27, v22
	s_delay_alu instid0(VALU_DEP_4) | instskip(SKIP_2) | instid1(VALU_DEP_4)
	v_xor_b32_e32 v25, s16, v25
	v_cmp_gt_i32_e64 s16, 0, v27
	v_ashrrev_i32_e32 v26, 31, v26
	v_not_b32_e32 v27, v24
	s_delay_alu instid0(VALU_DEP_4) | instskip(SKIP_1) | instid1(VALU_DEP_4)
	v_and_b32_e32 v23, v23, v25
	v_lshlrev_b32_e32 v25, 26, v22
	v_xor_b32_e32 v26, s16, v26
	v_cmp_gt_i32_e64 s16, 0, v24
	v_ashrrev_i32_e32 v24, 31, v27
	s_delay_alu instid0(VALU_DEP_4) | instskip(NEXT) | instid1(VALU_DEP_4)
	v_not_b32_e32 v27, v25
	v_and_b32_e32 v23, v23, v26
	v_lshlrev_b32_e32 v26, 25, v22
	s_delay_alu instid0(VALU_DEP_4)
	v_xor_b32_e32 v24, s16, v24
	v_cmp_gt_i32_e64 s16, 0, v25
	v_ashrrev_i32_e32 v25, 31, v27
	v_lshlrev_b32_e32 v22, 24, v22
	v_not_b32_e32 v27, v26
	v_and_b32_e32 v23, v23, v24
	s_delay_alu instid0(VALU_DEP_4) | instskip(SKIP_1) | instid1(VALU_DEP_4)
	v_xor_b32_e32 v24, s16, v25
	v_cmp_gt_i32_e64 s16, 0, v26
	v_ashrrev_i32_e32 v25, 31, v27
	v_not_b32_e32 v26, v22
	s_delay_alu instid0(VALU_DEP_4) | instskip(NEXT) | instid1(VALU_DEP_3)
	v_and_b32_e32 v23, v23, v24
	v_xor_b32_e32 v24, s16, v25
	v_cmp_gt_i32_e64 s16, 0, v22
	s_delay_alu instid0(VALU_DEP_4) | instskip(NEXT) | instid1(VALU_DEP_3)
	v_ashrrev_i32_e32 v22, 31, v26
	v_and_b32_e32 v23, v23, v24
	s_delay_alu instid0(VALU_DEP_2) | instskip(NEXT) | instid1(VALU_DEP_1)
	v_xor_b32_e32 v22, s16, v22
	v_and_b32_e32 v22, v23, v22
	s_delay_alu instid0(VALU_DEP_1) | instskip(SKIP_1) | instid1(VALU_DEP_2)
	v_mbcnt_lo_u32_b32 v112, v22, 0
	v_cmp_ne_u32_e64 s17, 0, v22
	v_cmp_eq_u32_e64 s16, 0, v112
	s_delay_alu instid0(VALU_DEP_1) | instskip(NEXT) | instid1(SALU_CYCLE_1)
	s_and_b32 s17, s17, s16
	s_and_saveexec_b32 s16, s17
	s_cbranch_execz .LBB1953_277
; %bb.276:                              ;   in Loop: Header=BB1953_269 Depth=1
	s_waitcnt vmcnt(0) lgkmcnt(0)
	v_bcnt_u32_b32 v22, v22, v97
	flat_store_b32 v[82:83], v22
.LBB1953_277:                           ;   in Loop: Header=BB1953_269 Depth=1
	s_or_b32 exec_lo, exec_lo, s16
	; wave barrier
	s_waitcnt vmcnt(0) lgkmcnt(0)
	s_waitcnt_vscnt null, 0x0
	s_barrier
	buffer_gl0_inv
	s_clause 0x1
	flat_load_b128 v[26:29], v[8:9] offset:32
	flat_load_b128 v[22:25], v[48:49] offset:16
	s_waitcnt vmcnt(1) lgkmcnt(1)
	v_add_nc_u32_e32 v113, v27, v26
	s_delay_alu instid0(VALU_DEP_1) | instskip(SKIP_1) | instid1(VALU_DEP_1)
	v_add3_u32 v113, v113, v28, v29
	s_waitcnt vmcnt(0) lgkmcnt(0)
	v_add3_u32 v113, v113, v22, v23
	s_delay_alu instid0(VALU_DEP_1) | instskip(NEXT) | instid1(VALU_DEP_1)
	v_add3_u32 v25, v113, v24, v25
	v_mov_b32_dpp v113, v25 row_shr:1 row_mask:0xf bank_mask:0xf
	s_delay_alu instid0(VALU_DEP_1) | instskip(NEXT) | instid1(VALU_DEP_1)
	v_cndmask_b32_e64 v113, v113, 0, vcc_lo
	v_add_nc_u32_e32 v25, v113, v25
	s_delay_alu instid0(VALU_DEP_1) | instskip(NEXT) | instid1(VALU_DEP_1)
	v_mov_b32_dpp v113, v25 row_shr:2 row_mask:0xf bank_mask:0xf
	v_cndmask_b32_e64 v113, 0, v113, s0
	s_delay_alu instid0(VALU_DEP_1) | instskip(NEXT) | instid1(VALU_DEP_1)
	v_add_nc_u32_e32 v25, v25, v113
	v_mov_b32_dpp v113, v25 row_shr:4 row_mask:0xf bank_mask:0xf
	s_delay_alu instid0(VALU_DEP_1) | instskip(NEXT) | instid1(VALU_DEP_1)
	v_cndmask_b32_e64 v113, 0, v113, s1
	v_add_nc_u32_e32 v25, v25, v113
	s_delay_alu instid0(VALU_DEP_1) | instskip(NEXT) | instid1(VALU_DEP_1)
	v_mov_b32_dpp v113, v25 row_shr:8 row_mask:0xf bank_mask:0xf
	v_cndmask_b32_e64 v113, 0, v113, s2
	s_delay_alu instid0(VALU_DEP_1) | instskip(SKIP_3) | instid1(VALU_DEP_1)
	v_add_nc_u32_e32 v25, v25, v113
	ds_swizzle_b32 v113, v25 offset:swizzle(BROADCAST,32,15)
	s_waitcnt lgkmcnt(0)
	v_cndmask_b32_e64 v113, v113, 0, s3
	v_add_nc_u32_e32 v25, v25, v113
	s_and_saveexec_b32 s16, s4
	s_cbranch_execz .LBB1953_279
; %bb.278:                              ;   in Loop: Header=BB1953_269 Depth=1
	flat_store_b32 v[50:51], v25
.LBB1953_279:                           ;   in Loop: Header=BB1953_269 Depth=1
	s_or_b32 exec_lo, exec_lo, s16
	s_waitcnt lgkmcnt(0)
	s_waitcnt_vscnt null, 0x0
	s_barrier
	buffer_gl0_inv
	s_and_saveexec_b32 s16, s5
	s_cbranch_execz .LBB1953_281
; %bb.280:                              ;   in Loop: Header=BB1953_269 Depth=1
	flat_load_b32 v113, v[52:53]
	s_waitcnt vmcnt(0) lgkmcnt(0)
	v_mov_b32_dpp v114, v113 row_shr:1 row_mask:0xf bank_mask:0xf
	s_delay_alu instid0(VALU_DEP_1) | instskip(NEXT) | instid1(VALU_DEP_1)
	v_cndmask_b32_e64 v114, v114, 0, s11
	v_add_nc_u32_e32 v113, v114, v113
	s_delay_alu instid0(VALU_DEP_1) | instskip(NEXT) | instid1(VALU_DEP_1)
	v_mov_b32_dpp v114, v113 row_shr:2 row_mask:0xf bank_mask:0xf
	v_cndmask_b32_e64 v114, 0, v114, s14
	s_delay_alu instid0(VALU_DEP_1) | instskip(NEXT) | instid1(VALU_DEP_1)
	v_add_nc_u32_e32 v113, v113, v114
	v_mov_b32_dpp v114, v113 row_shr:4 row_mask:0xf bank_mask:0xf
	s_delay_alu instid0(VALU_DEP_1) | instskip(NEXT) | instid1(VALU_DEP_1)
	v_cndmask_b32_e64 v114, 0, v114, s15
	v_add_nc_u32_e32 v113, v113, v114
	flat_store_b32 v[52:53], v113
.LBB1953_281:                           ;   in Loop: Header=BB1953_269 Depth=1
	s_or_b32 exec_lo, exec_lo, s16
	v_mov_b32_e32 v113, 0
	s_waitcnt lgkmcnt(0)
	s_waitcnt_vscnt null, 0x0
	s_barrier
	buffer_gl0_inv
	s_and_saveexec_b32 s16, s6
	s_cbranch_execz .LBB1953_283
; %bb.282:                              ;   in Loop: Header=BB1953_269 Depth=1
	flat_load_b32 v113, v[64:65]
.LBB1953_283:                           ;   in Loop: Header=BB1953_269 Depth=1
	s_or_b32 exec_lo, exec_lo, s16
	s_waitcnt vmcnt(0) lgkmcnt(0)
	v_add_nc_u32_e32 v25, v113, v25
	v_add_nc_u32_e32 v10, 8, v10
	s_mov_b32 s18, -1
	ds_bpermute_b32 v25, v98, v25
	s_waitcnt lgkmcnt(0)
	v_cndmask_b32_e64 v25, v25, v113, s7
	s_delay_alu instid0(VALU_DEP_1) | instskip(NEXT) | instid1(VALU_DEP_1)
	v_cndmask_b32_e64 v25, v25, 0, s10
	v_add_nc_u32_e32 v26, v25, v26
	s_delay_alu instid0(VALU_DEP_1) | instskip(NEXT) | instid1(VALU_DEP_1)
	v_add_nc_u32_e32 v27, v26, v27
	v_add_nc_u32_e32 v28, v27, v28
	s_delay_alu instid0(VALU_DEP_1) | instskip(NEXT) | instid1(VALU_DEP_1)
	v_add_nc_u32_e32 v113, v28, v29
	;; [unrolled: 3-line block ×3, first 2 shown]
	v_add_nc_u32_e32 v116, v115, v24
	s_clause 0x1
	flat_store_b128 v[8:9], v[25:28] offset:32
	flat_store_b128 v[48:49], v[113:116] offset:16
	s_waitcnt lgkmcnt(0)
	s_waitcnt_vscnt null, 0x0
	s_barrier
	buffer_gl0_inv
	s_clause 0x3
	flat_load_b32 v22, v[68:69]
	flat_load_b32 v23, v[70:71]
	;; [unrolled: 1-line block ×4, first 2 shown]
	v_mov_b32_e32 v71, v5
	v_mov_b32_e32 v69, v5
	;; [unrolled: 1-line block ×3, first 2 shown]
	s_waitcnt vmcnt(0) lgkmcnt(0)
	s_waitcnt_vscnt null, 0x0
                                        ; implicit-def: $vgpr113
	s_waitcnt vmcnt(3) lgkmcnt(3)
	v_add_nc_u32_e32 v4, v22, v4
	s_waitcnt vmcnt(2) lgkmcnt(2)
	v_add3_u32 v68, v85, v84, v23
	s_waitcnt vmcnt(1) lgkmcnt(1)
	v_add3_u32 v70, v96, v86, v24
	;; [unrolled: 2-line block ×3, first 2 shown]
                                        ; implicit-def: $vgpr112
	v_lshlrev_b64 v[22:23], 1, v[4:5]
	v_lshlrev_b64 v[24:25], 1, v[68:69]
	;; [unrolled: 1-line block ×3, first 2 shown]
	s_delay_alu instid0(VALU_DEP_4) | instskip(NEXT) | instid1(VALU_DEP_4)
	v_lshlrev_b64 v[28:29], 1, v[80:81]
                                        ; implicit-def: $vgpr69
                                        ; implicit-def: $vgpr71
	v_add_co_u32 v96, s17, v12, v22
	s_delay_alu instid0(VALU_DEP_1) | instskip(SKIP_1) | instid1(VALU_DEP_1)
	v_add_co_ci_u32_e64 v97, s17, v13, v23, s17
	v_add_co_u32 v85, s17, v12, v24
	v_add_co_ci_u32_e64 v86, s17, v13, v25, s17
	v_add_co_u32 v83, s17, v12, v26
	s_delay_alu instid0(VALU_DEP_1) | instskip(SKIP_1) | instid1(VALU_DEP_1)
	v_add_co_ci_u32_e64 v84, s17, v13, v27, s17
	v_add_co_u32 v81, s17, v12, v28
	v_add_co_ci_u32_e64 v82, s17, v13, v29, s17
	s_mov_b32 s17, exec_lo
                                        ; implicit-def: $vgpr22_vgpr23_vgpr24_vgpr25_vgpr26_vgpr27_vgpr28_vgpr29
	v_cmpx_lt_u32_e64 v10, v11
	s_cbranch_execz .LBB1953_268
; %bb.284:                              ;   in Loop: Header=BB1953_269 Depth=1
	v_mad_u64_u32 v[22:23], null, v4, 6, v[96:97]
	v_mad_u64_u32 v[24:25], null, v68, 6, v[85:86]
	;; [unrolled: 1-line block ×4, first 2 shown]
	s_barrier
	buffer_gl0_inv
	s_clause 0x3
	flat_store_b16 v[96:97], v100
	flat_store_b16 v[85:86], v103
	;; [unrolled: 1-line block ×4, first 2 shown]
	s_waitcnt lgkmcnt(0)
	s_waitcnt_vscnt null, 0x0
	s_barrier
	buffer_gl0_inv
	s_clause 0x3
	flat_load_u16 v113, v[54:55]
	flat_load_u16 v69, v[54:55] offset:64
	flat_load_u16 v71, v[54:55] offset:128
	;; [unrolled: 1-line block ×3, first 2 shown]
	s_waitcnt vmcnt(0) lgkmcnt(0)
	s_barrier
	buffer_gl0_inv
	s_clause 0x3
	flat_store_b64 v[22:23], v[14:15]
	flat_store_b64 v[24:25], v[16:17]
	;; [unrolled: 1-line block ×4, first 2 shown]
	s_waitcnt lgkmcnt(0)
	s_waitcnt_vscnt null, 0x0
	s_barrier
	buffer_gl0_inv
	s_clause 0x3
	flat_load_b64 v[22:23], v[66:67]
	flat_load_b64 v[24:25], v[66:67] offset:256
	flat_load_b64 v[26:27], v[66:67] offset:512
	;; [unrolled: 1-line block ×3, first 2 shown]
	v_add_nc_u32_e32 v99, -8, v99
	s_xor_b32 s18, exec_lo, -1
	s_waitcnt vmcnt(0) lgkmcnt(0)
	s_barrier
	buffer_gl0_inv
	s_branch .LBB1953_268
.LBB1953_285:
	flat_load_b64 v[20:21], v[4:5]
	s_or_b32 exec_lo, exec_lo, s7
                                        ; implicit-def: $vgpr24_vgpr25
	s_and_saveexec_b32 s7, s0
	s_cbranch_execz .LBB1953_163
.LBB1953_286:
	flat_load_b64 v[24:25], v[4:5] offset:256
	s_or_b32 exec_lo, exec_lo, s7
                                        ; implicit-def: $vgpr84_vgpr85
	s_and_saveexec_b32 s0, s1
	s_cbranch_execz .LBB1953_164
.LBB1953_287:
	flat_load_b64 v[84:85], v[4:5] offset:512
	s_or_b32 exec_lo, exec_lo, s0
                                        ; implicit-def: $vgpr86_vgpr87
	s_and_saveexec_b32 s0, s2
	s_cbranch_execz .LBB1953_165
.LBB1953_288:
	flat_load_b64 v[86:87], v[4:5] offset:768
	s_or_b32 exec_lo, exec_lo, s0
                                        ; implicit-def: $vgpr96_vgpr97
	s_and_saveexec_b32 s0, s3
	s_cbranch_execz .LBB1953_166
.LBB1953_289:
	flat_load_b64 v[96:97], v[4:5] offset:1024
	s_or_b32 exec_lo, exec_lo, s0
                                        ; implicit-def: $vgpr98_vgpr99
	s_and_saveexec_b32 s0, s4
	s_cbranch_execz .LBB1953_167
.LBB1953_290:
	flat_load_b64 v[98:99], v[4:5] offset:1280
	s_or_b32 exec_lo, exec_lo, s0
                                        ; implicit-def: $vgpr18_vgpr19
	s_and_saveexec_b32 s0, s5
	s_cbranch_execz .LBB1953_168
.LBB1953_291:
	flat_load_b64 v[18:19], v[4:5] offset:1536
	s_or_b32 exec_lo, exec_lo, s0
                                        ; implicit-def: $vgpr22_vgpr23
	s_and_saveexec_b32 s0, s6
	s_cbranch_execnz .LBB1953_169
	s_branch .LBB1953_170
.LBB1953_292:
	flat_store_b64 v[0:1], v[20:21]
	s_or_b32 exec_lo, exec_lo, s7
	s_and_saveexec_b32 s7, s0
	s_cbranch_execz .LBB1953_244
.LBB1953_293:
	flat_store_b64 v[0:1], v[18:19] offset:2048
	s_or_b32 exec_lo, exec_lo, s7
	s_and_saveexec_b32 s0, s1
	s_cbranch_execz .LBB1953_245
.LBB1953_294:
	v_add_co_u32 v2, vcc_lo, 0x1000, v0
	v_add_co_ci_u32_e32 v3, vcc_lo, 0, v1, vcc_lo
	flat_store_b64 v[2:3], v[16:17]
	s_or_b32 exec_lo, exec_lo, s0
	s_and_saveexec_b32 s0, s2
	s_cbranch_execz .LBB1953_246
.LBB1953_295:
	v_add_co_u32 v2, vcc_lo, 0x1000, v0
	v_add_co_ci_u32_e32 v3, vcc_lo, 0, v1, vcc_lo
	flat_store_b64 v[2:3], v[14:15] offset:2048
	s_or_b32 exec_lo, exec_lo, s0
	s_and_saveexec_b32 s0, s3
	s_cbranch_execz .LBB1953_247
.LBB1953_296:
	v_add_co_u32 v2, vcc_lo, 0x2000, v0
	v_add_co_ci_u32_e32 v3, vcc_lo, 0, v1, vcc_lo
	flat_store_b64 v[2:3], v[12:13]
	s_or_b32 exec_lo, exec_lo, s0
	s_and_saveexec_b32 s0, s4
	s_cbranch_execz .LBB1953_248
.LBB1953_297:
	v_add_co_u32 v2, vcc_lo, 0x2000, v0
	v_add_co_ci_u32_e32 v3, vcc_lo, 0, v1, vcc_lo
	flat_store_b64 v[2:3], v[10:11] offset:2048
	s_or_b32 exec_lo, exec_lo, s0
	s_and_saveexec_b32 s0, s5
	s_cbranch_execz .LBB1953_249
.LBB1953_298:
	v_add_co_u32 v2, vcc_lo, 0x3000, v0
	v_add_co_ci_u32_e32 v3, vcc_lo, 0, v1, vcc_lo
	flat_store_b64 v[2:3], v[8:9]
	s_or_b32 exec_lo, exec_lo, s0
	s_and_saveexec_b32 s0, s6
	s_cbranch_execnz .LBB1953_250
	s_branch .LBB1953_251
.LBB1953_299:
	s_or_b32 exec_lo, exec_lo, s20
	v_dual_mov_b32 v36, 0 :: v_dual_lshlrev_b32 v5, 1, v34
	v_mad_u64_u32 v[10:11], null, v4, 6, v[96:97]
	v_mad_u64_u32 v[26:27], null, v80, 6, v[81:82]
	s_delay_alu instid0(VALU_DEP_3) | instskip(SKIP_3) | instid1(VALU_DEP_3)
	v_add_co_u32 v8, vcc_lo, v12, v5
	v_add_co_ci_u32_e32 v9, vcc_lo, 0, v13, vcc_lo
	v_mad_u64_u32 v[4:5], null, v68, 6, v[85:86]
	v_mad_u64_u32 v[12:13], null, v70, 6, v[83:84]
	;; [unrolled: 1-line block ×3, first 2 shown]
	s_barrier
	buffer_gl0_inv
	s_clause 0x3
	flat_store_b16 v[96:97], v100
	flat_store_b16 v[85:86], v103
	;; [unrolled: 1-line block ×4, first 2 shown]
	s_waitcnt lgkmcnt(0)
	s_waitcnt_vscnt null, 0x0
	s_barrier
	buffer_gl0_inv
	s_clause 0x3
	flat_load_u16 v25, v[8:9]
	flat_load_u16 v24, v[8:9] offset:512
	flat_load_u16 v23, v[8:9] offset:1024
	;; [unrolled: 1-line block ×3, first 2 shown]
	s_waitcnt vmcnt(0) lgkmcnt(0)
	s_barrier
	buffer_gl0_inv
	s_clause 0x3
	flat_store_b64 v[10:11], v[14:15]
	flat_store_b64 v[4:5], v[16:17]
	;; [unrolled: 1-line block ×4, first 2 shown]
	v_add_co_u32 v4, vcc_lo, 0x1000, v28
	v_add_co_ci_u32_e32 v5, vcc_lo, 0, v29, vcc_lo
	s_waitcnt lgkmcnt(0)
	s_waitcnt_vscnt null, 0x0
	s_barrier
	buffer_gl0_inv
	s_clause 0x3
	flat_load_b64 v[12:13], v[28:29]
	flat_load_b64 v[10:11], v[28:29] offset:2048
	flat_load_b64 v[8:9], v[4:5]
	flat_load_b64 v[4:5], v[4:5] offset:2048
	v_lshlrev_b64 v[14:15], 1, v[35:36]
	v_add_co_u32 v2, vcc_lo, v2, v37
	v_add_co_ci_u32_e32 v3, vcc_lo, v3, v38, vcc_lo
	s_waitcnt vmcnt(0) lgkmcnt(0)
	s_delay_alu instid0(VALU_DEP_2) | instskip(NEXT) | instid1(VALU_DEP_2)
	v_add_co_u32 v2, vcc_lo, v2, v14
	v_add_co_ci_u32_e32 v3, vcc_lo, v3, v15, vcc_lo
	v_cmp_lt_u32_e32 vcc_lo, v35, v47
	s_barrier
	buffer_gl0_inv
	s_and_saveexec_b32 s1, vcc_lo
	s_cbranch_execz .LBB1953_301
; %bb.300:
	v_cmp_gt_i16_e64 s0, 0, v25
	s_delay_alu instid0(VALU_DEP_1) | instskip(NEXT) | instid1(VALU_DEP_1)
	v_cndmask_b32_e64 v14, 0x7fff, 0, s0
	v_xor_b32_e32 v14, v14, v25
	flat_store_b16 v[2:3], v14
.LBB1953_301:
	s_or_b32 exec_lo, exec_lo, s1
	v_add_nc_u32_e32 v14, 0x100, v35
	s_delay_alu instid0(VALU_DEP_1) | instskip(NEXT) | instid1(VALU_DEP_1)
	v_cmp_lt_u32_e64 s0, v14, v47
	s_and_saveexec_b32 s2, s0
	s_cbranch_execz .LBB1953_303
; %bb.302:
	v_cmp_gt_i16_e64 s1, 0, v24
	s_delay_alu instid0(VALU_DEP_1) | instskip(NEXT) | instid1(VALU_DEP_1)
	v_cndmask_b32_e64 v14, 0x7fff, 0, s1
	v_xor_b32_e32 v14, v14, v24
	flat_store_b16 v[2:3], v14 offset:512
.LBB1953_303:
	s_or_b32 exec_lo, exec_lo, s2
	v_add_nc_u32_e32 v14, 0x200, v35
	s_delay_alu instid0(VALU_DEP_1) | instskip(NEXT) | instid1(VALU_DEP_1)
	v_cmp_lt_u32_e64 s1, v14, v47
	s_and_saveexec_b32 s3, s1
	s_cbranch_execz .LBB1953_305
; %bb.304:
	v_cmp_gt_i16_e64 s2, 0, v23
	s_delay_alu instid0(VALU_DEP_1) | instskip(NEXT) | instid1(VALU_DEP_1)
	v_cndmask_b32_e64 v14, 0x7fff, 0, s2
	v_xor_b32_e32 v14, v14, v23
	flat_store_b16 v[2:3], v14 offset:1024
.LBB1953_305:
	;; [unrolled: 13-line block ×3, first 2 shown]
	s_or_b32 exec_lo, exec_lo, s4
	v_lshlrev_b64 v[2:3], 3, v[35:36]
	v_add_co_u32 v0, s3, v6, v0
	s_delay_alu instid0(VALU_DEP_1) | instskip(NEXT) | instid1(VALU_DEP_2)
	v_add_co_ci_u32_e64 v1, s3, v7, v1, s3
	v_add_co_u32 v0, s3, v0, v2
	s_delay_alu instid0(VALU_DEP_1)
	v_add_co_ci_u32_e64 v1, s3, v1, v3, s3
	s_and_saveexec_b32 s3, vcc_lo
	s_cbranch_execnz .LBB1953_340
; %bb.308:
	s_or_b32 exec_lo, exec_lo, s3
	s_and_saveexec_b32 s3, s0
	s_cbranch_execnz .LBB1953_341
.LBB1953_309:
	s_or_b32 exec_lo, exec_lo, s3
	s_and_saveexec_b32 s0, s1
	s_cbranch_execnz .LBB1953_342
.LBB1953_310:
	s_or_b32 exec_lo, exec_lo, s0
	s_and_saveexec_b32 s0, s2
	s_cbranch_execz .LBB1953_312
.LBB1953_311:
	v_add_co_u32 v0, vcc_lo, 0x1000, v0
	v_add_co_ci_u32_e32 v1, vcc_lo, 0, v1, vcc_lo
	flat_store_b64 v[0:1], v[4:5] offset:2048
.LBB1953_312:
	s_or_b32 exec_lo, exec_lo, s0
                                        ; implicit-def: $vgpr47
                                        ; implicit-def: $vgpr0
                                        ; implicit-def: $vgpr1
                                        ; implicit-def: $vgpr2
                                        ; implicit-def: $vgpr3
                                        ; implicit-def: $vgpr4
                                        ; implicit-def: $vgpr5
                                        ; implicit-def: $vgpr6
                                        ; implicit-def: $vgpr7
                                        ; implicit-def: $vgpr8
                                        ; implicit-def: $vgpr10
                                        ; implicit-def: $vgpr11
                                        ; implicit-def: $vgpr12
                                        ; implicit-def: $vgpr13
                                        ; implicit-def: $vgpr14
                                        ; implicit-def: $vgpr15
                                        ; implicit-def: $vgpr34
                                        ; implicit-def: $vgpr16
.LBB1953_313:
	s_and_not1_saveexec_b32 s0, s19
	s_cbranch_execz .LBB1953_372
; %bb.314:
	s_load_b64 s[0:1], s[8:9], 0x0
	v_mov_b32_e32 v9, 0
	s_delay_alu instid0(VALU_DEP_1) | instskip(SKIP_3) | instid1(SALU_CYCLE_1)
	v_lshlrev_b64 v[28:29], 1, v[8:9]
	s_waitcnt lgkmcnt(0)
	s_cmp_lt_u32 s13, s1
	s_cselect_b32 s1, 14, 20
	s_add_u32 s2, s8, s1
	s_addc_u32 s3, s9, 0
	s_cmp_lt_u32 s12, s0
	global_load_u16 v17, v9, s[2:3]
	s_cselect_b32 s0, 12, 18
	s_delay_alu instid0(SALU_CYCLE_1)
	s_add_u32 s0, s8, s0
	s_addc_u32 s1, s9, 0
	global_load_u16 v18, v9, s[0:1]
	s_mov_b32 s0, exec_lo
	s_waitcnt vmcnt(1)
	v_mad_u32_u24 v14, v15, v17, v14
	s_waitcnt vmcnt(0)
	s_delay_alu instid0(VALU_DEP_1)
	v_mad_u64_u32 v[26:27], null, v14, v18, v[34:35]
	v_cmpx_lt_u32_e32 0x100, v47
	s_xor_b32 s15, exec_lo, s0
	s_cbranch_execz .LBB1953_352
; %bb.315:
	s_delay_alu instid0(VALU_DEP_2) | instskip(SKIP_2) | instid1(VALU_DEP_3)
	v_dual_mov_b32 v15, v9 :: v_dual_lshlrev_b32 v14, 1, v26
	v_dual_mov_b32 v22, -1 :: v_dual_lshlrev_b32 v17, 1, v16
	v_add_co_u32 v18, vcc_lo, v0, v28
	v_and_b32_e32 v14, 0xffffffc0, v14
	v_add_co_ci_u32_e32 v19, vcc_lo, v1, v29, vcc_lo
	s_delay_alu instid0(VALU_DEP_3) | instskip(NEXT) | instid1(VALU_DEP_3)
	v_add_co_u32 v17, vcc_lo, v18, v17
	v_lshlrev_b64 v[0:1], 1, v[14:15]
	s_delay_alu instid0(VALU_DEP_3) | instskip(NEXT) | instid1(VALU_DEP_2)
	v_add_co_ci_u32_e32 v19, vcc_lo, 0, v19, vcc_lo
	v_add_co_u32 v0, vcc_lo, v17, v0
	v_mov_b32_e32 v17, -1
	v_or_b32_e32 v18, v16, v14
	s_delay_alu instid0(VALU_DEP_4) | instskip(NEXT) | instid1(VALU_DEP_2)
	v_add_co_ci_u32_e32 v1, vcc_lo, v19, v1, vcc_lo
	v_cmp_lt_u32_e32 vcc_lo, v18, v47
	s_and_saveexec_b32 s0, vcc_lo
	s_cbranch_execz .LBB1953_317
; %bb.316:
	flat_load_u16 v22, v[0:1]
.LBB1953_317:
	s_or_b32 exec_lo, exec_lo, s0
	v_or_b32_e32 v18, 32, v18
	s_delay_alu instid0(VALU_DEP_1) | instskip(NEXT) | instid1(VALU_DEP_1)
	v_cmp_lt_u32_e64 s0, v18, v47
	s_and_saveexec_b32 s1, s0
	s_cbranch_execz .LBB1953_319
; %bb.318:
	flat_load_u16 v17, v[0:1] offset:64
.LBB1953_319:
	s_or_b32 exec_lo, exec_lo, s1
	v_lshlrev_b64 v[0:1], 3, v[8:9]
	v_lshlrev_b32_e32 v8, 3, v16
	s_delay_alu instid0(VALU_DEP_2) | instskip(NEXT) | instid1(VALU_DEP_1)
	v_add_co_u32 v9, s1, v4, v0
	v_add_co_ci_u32_e64 v18, s1, v5, v1, s1
	v_lshlrev_b64 v[4:5], 3, v[14:15]
	s_delay_alu instid0(VALU_DEP_3) | instskip(NEXT) | instid1(VALU_DEP_1)
	v_add_co_u32 v8, s1, v9, v8
	v_add_co_ci_u32_e64 v9, s1, 0, v18, s1
                                        ; implicit-def: $vgpr18_vgpr19
	s_delay_alu instid0(VALU_DEP_2) | instskip(NEXT) | instid1(VALU_DEP_1)
	v_add_co_u32 v4, s1, v8, v4
	v_add_co_ci_u32_e64 v5, s1, v9, v5, s1
	s_and_saveexec_b32 s1, vcc_lo
	s_cbranch_execz .LBB1953_321
; %bb.320:
	flat_load_b64 v[18:19], v[4:5]
.LBB1953_321:
	s_or_b32 exec_lo, exec_lo, s1
                                        ; implicit-def: $vgpr20_vgpr21
	s_and_saveexec_b32 s1, s0
	s_cbranch_execz .LBB1953_323
; %bb.322:
	flat_load_b64 v[20:21], v[4:5] offset:256
.LBB1953_323:
	s_or_b32 exec_lo, exec_lo, s1
	s_waitcnt vmcnt(0) lgkmcnt(0)
	v_cmp_gt_i16_e32 vcc_lo, 0, v22
	s_mov_b32 s16, 0
	s_getpc_b64 s[0:1]
	s_add_u32 s0, s0, _ZN7rocprim17ROCPRIM_400000_NS16block_radix_sortI12hip_bfloat16Lj256ELj2ElLj1ELj1ELj8ELNS0_26block_radix_rank_algorithmE2ELNS0_18block_padding_hintE2ELNS0_4arch9wavefront6targetE0EE19radix_bits_per_passE@rel32@lo+4
	s_addc_u32 s1, s1, _ZN7rocprim17ROCPRIM_400000_NS16block_radix_sortI12hip_bfloat16Lj256ELj2ElLj1ELj1ELj8ELNS0_26block_radix_rank_algorithmE2ELNS0_18block_padding_hintE2ELNS0_4arch9wavefront6targetE0EE19radix_bits_per_passE@rel32@hi+12
	s_mov_b32 s17, s16
	s_mov_b32 s18, s16
	v_cndmask_b32_e64 v4, 0x7fff, 0, vcc_lo
	v_cmp_gt_i16_e32 vcc_lo, 0, v17
	s_mov_b32 s19, s16
	v_and_b32_e32 v15, 0x3e0, v34
	v_and_b32_e32 v14, 15, v16
	v_xor_b32_e32 v66, v4, v22
	v_cndmask_b32_e64 v5, 0x7fff, 0, vcc_lo
	v_lshlrev_b32_e32 v4, 5, v34
	v_add_co_u32 v27, vcc_lo, v12, 32
	v_add_co_ci_u32_e32 v39, vcc_lo, 0, v13, vcc_lo
	s_delay_alu instid0(VALU_DEP_4) | instskip(SKIP_4) | instid1(VALU_DEP_3)
	v_xor_b32_e32 v25, v5, v17
	v_mov_b32_e32 v5, 0
	v_add_nc_u32_e32 v17, -1, v16
	v_add_co_u32 v8, vcc_lo, v12, v4
	v_add_co_ci_u32_e32 v9, vcc_lo, 0, v13, vcc_lo
	v_cmp_gt_i32_e64 s4, 0, v17
	v_add_co_u32 v30, vcc_lo, v27, v4
	v_min_u32_e32 v4, 0xe0, v15
	v_and_b32_e32 v15, 16, v16
	v_add_co_ci_u32_e32 v31, vcc_lo, 0, v39, vcc_lo
	s_load_b32 s20, s[0:1], 0x0
	v_cmp_eq_u32_e32 vcc_lo, 0, v14
	v_cmp_lt_u32_e64 s0, 1, v14
	v_cmp_lt_u32_e64 s1, 3, v14
	v_cmp_lt_u32_e64 s2, 7, v14
	v_cndmask_b32_e64 v14, v17, v16, s4
	v_lshlrev_b32_e32 v17, 1, v34
	v_or_b32_e32 v4, 31, v4
	v_cmp_eq_u32_e64 s3, 0, v15
	v_lshrrev_b32_e32 v15, 5, v34
	v_cmp_eq_u32_e64 s7, 0, v16
	v_and_b32_e32 v22, 7, v16
	v_and_or_b32 v16, 0x7c0, v17, v16
	v_cmp_eq_u32_e64 s4, v4, v34
	v_lshlrev_b32_e32 v4, 2, v15
	v_lshlrev_b32_e32 v69, 2, v14
	;; [unrolled: 1-line block ×4, first 2 shown]
	v_lshrrev_b32_e32 v68, 5, v26
	v_add_co_u32 v32, s9, v12, v4
	v_add_nc_u32_e32 v4, -1, v15
	v_add_co_ci_u32_e64 v33, s9, 0, v13, s9
	v_add_co_u32 v37, s12, v12, v17
	v_add_co_u32 v35, s9, v12, v14
	s_delay_alu instid0(VALU_DEP_4) | instskip(SKIP_3) | instid1(VALU_DEP_4)
	v_lshlrev_b64 v[14:15], 2, v[4:5]
	v_add_co_ci_u32_e64 v38, s12, 0, v13, s12
	v_add_co_ci_u32_e64 v36, s9, 0, v13, s9
	v_cmp_gt_u32_e64 s5, 8, v34
	v_add_co_u32 v48, s12, v12, v14
	s_delay_alu instid0(VALU_DEP_4)
	v_mad_u64_u32 v[50:51], null, v16, 6, v[37:38]
	v_add_co_ci_u32_e64 v49, s12, v13, v15, s12
	v_mov_b32_e32 v14, s16
	v_cmp_lt_u32_e64 s6, 31, v34
	v_cmp_eq_u32_e64 s8, 0, v34
	v_cmp_eq_u32_e64 s9, 0, v22
	v_cmp_lt_u32_e64 s10, 1, v22
	v_cmp_lt_u32_e64 s11, 3, v22
	v_sub_nc_u32_e32 v70, v11, v10
	v_dual_mov_b32 v15, s17 :: v_dual_mov_b32 v16, s18
	v_mov_b32_e32 v17, s19
	s_waitcnt lgkmcnt(0)
	s_waitcnt_vscnt null, 0x0
	s_barrier
	buffer_gl0_inv
	s_branch .LBB1953_325
.LBB1953_324:                           ;   in Loop: Header=BB1953_325 Depth=1
	s_or_b32 exec_lo, exec_lo, s13
	s_delay_alu instid0(SALU_CYCLE_1) | instskip(NEXT) | instid1(SALU_CYCLE_1)
	s_and_b32 s12, exec_lo, s14
	s_or_b32 s16, s12, s16
	s_delay_alu instid0(SALU_CYCLE_1)
	s_and_not1_b32 exec_lo, exec_lo, s16
	s_cbranch_execz .LBB1953_343
.LBB1953_325:                           ; =>This Inner Loop Header: Depth=1
	v_mov_b32_e32 v71, v66
	v_min_u32_e32 v4, s20, v70
	s_clause 0x1
	flat_store_b128 v[8:9], v[14:17] offset:32
	flat_store_b128 v[30:31], v[14:17] offset:16
	s_waitcnt lgkmcnt(0)
	s_waitcnt_vscnt null, 0x0
	s_barrier
	v_cmp_ne_u16_e64 s12, 0x8000, v71
	v_lshlrev_b32_e64 v4, v4, -1
	buffer_gl0_inv
	; wave barrier
	v_cndmask_b32_e64 v22, 0x7fff, v71, s12
	s_delay_alu instid0(VALU_DEP_1) | instskip(SKIP_1) | instid1(VALU_DEP_2)
	v_dual_mov_b32 v80, v25 :: v_dual_and_b32 v23, 0xffff, v22
	v_not_b32_e32 v22, v4
	v_lshrrev_b32_e32 v4, v10, v23
	s_delay_alu instid0(VALU_DEP_1) | instskip(NEXT) | instid1(VALU_DEP_1)
	v_and_b32_e32 v4, v4, v22
	v_and_b32_e32 v23, 1, v4
	v_lshlrev_b32_e32 v24, 30, v4
	v_lshlrev_b32_e32 v52, 29, v4
	;; [unrolled: 1-line block ×4, first 2 shown]
	v_add_co_u32 v23, s12, v23, -1
	s_delay_alu instid0(VALU_DEP_1)
	v_cndmask_b32_e64 v54, 0, 1, s12
	v_not_b32_e32 v66, v24
	v_cmp_gt_i32_e64 s13, 0, v24
	v_not_b32_e32 v24, v52
	v_lshlrev_b32_e32 v64, 26, v4
	v_cmp_ne_u32_e64 s12, 0, v54
	v_ashrrev_i32_e32 v66, 31, v66
	v_lshlrev_b32_e32 v65, 25, v4
	v_ashrrev_i32_e32 v24, 31, v24
	v_lshlrev_b32_e32 v54, 24, v4
	v_xor_b32_e32 v23, s12, v23
	v_cmp_gt_i32_e64 s12, 0, v52
	v_not_b32_e32 v52, v53
	v_xor_b32_e32 v66, s13, v66
	v_cmp_gt_i32_e64 s13, 0, v53
	v_and_b32_e32 v23, exec_lo, v23
	v_not_b32_e32 v53, v55
	v_ashrrev_i32_e32 v52, 31, v52
	v_xor_b32_e32 v24, s12, v24
	v_cmp_gt_i32_e64 s12, 0, v55
	v_and_b32_e32 v23, v23, v66
	v_not_b32_e32 v55, v64
	v_ashrrev_i32_e32 v53, 31, v53
	v_xor_b32_e32 v52, s13, v52
	v_cmp_gt_i32_e64 s13, 0, v64
	v_and_b32_e32 v23, v23, v24
	;; [unrolled: 5-line block ×4, first 2 shown]
	v_ashrrev_i32_e32 v52, 31, v52
	v_xor_b32_e32 v24, s12, v24
	s_delay_alu instid0(VALU_DEP_3) | instskip(NEXT) | instid1(VALU_DEP_3)
	v_and_b32_e32 v23, v23, v55
	v_xor_b32_e32 v64, s13, v52
	v_dual_mov_b32 v55, v19 :: v_dual_mov_b32 v54, v18
	v_lshlrev_b32_e32 v19, 3, v4
	s_delay_alu instid0(VALU_DEP_4) | instskip(SKIP_1) | instid1(VALU_DEP_3)
	v_and_b32_e32 v23, v23, v24
	v_dual_mov_b32 v53, v21 :: v_dual_mov_b32 v52, v20
	v_add_lshl_u32 v19, v19, v68, 2
	s_delay_alu instid0(VALU_DEP_3) | instskip(NEXT) | instid1(VALU_DEP_2)
	v_and_b32_e32 v18, v23, v64
	v_add_co_u32 v64, s14, v27, v19
	s_delay_alu instid0(VALU_DEP_2) | instskip(SKIP_2) | instid1(VALU_DEP_3)
	v_mbcnt_lo_u32_b32 v4, v18, 0
	v_cmp_ne_u32_e64 s12, 0, v18
	v_add_co_ci_u32_e64 v65, s14, 0, v39, s14
	v_cmp_eq_u32_e64 s13, 0, v4
	s_delay_alu instid0(VALU_DEP_1) | instskip(NEXT) | instid1(SALU_CYCLE_1)
	s_and_b32 s13, s12, s13
	s_and_saveexec_b32 s12, s13
	s_cbranch_execz .LBB1953_327
; %bb.326:                              ;   in Loop: Header=BB1953_325 Depth=1
	v_bcnt_u32_b32 v18, v18, 0
	flat_store_b32 v[64:65], v18
.LBB1953_327:                           ;   in Loop: Header=BB1953_325 Depth=1
	s_or_b32 exec_lo, exec_lo, s12
	v_cmp_ne_u16_e64 s12, 0x8000, v80
	; wave barrier
	s_delay_alu instid0(VALU_DEP_1) | instskip(NEXT) | instid1(VALU_DEP_1)
	v_cndmask_b32_e64 v18, 0x7fff, v80, s12
	v_and_b32_e32 v18, 0xffff, v18
	s_delay_alu instid0(VALU_DEP_1) | instskip(NEXT) | instid1(VALU_DEP_1)
	v_lshrrev_b32_e32 v18, v10, v18
	v_and_b32_e32 v18, v18, v22
	s_delay_alu instid0(VALU_DEP_1) | instskip(SKIP_3) | instid1(VALU_DEP_4)
	v_lshlrev_b32_e32 v19, 3, v18
	v_lshlrev_b32_e32 v21, 30, v18
	;; [unrolled: 1-line block ×4, first 2 shown]
	v_add_lshl_u32 v19, v19, v68, 2
	s_delay_alu instid0(VALU_DEP_1) | instskip(NEXT) | instid1(VALU_DEP_1)
	v_add_co_u32 v66, s12, v27, v19
	v_add_co_ci_u32_e64 v67, s12, 0, v39, s12
	v_and_b32_e32 v19, 1, v18
	flat_load_b32 v81, v[66:67]
	v_add_co_u32 v19, s12, v19, -1
	s_delay_alu instid0(VALU_DEP_1) | instskip(NEXT) | instid1(VALU_DEP_1)
	v_cndmask_b32_e64 v20, 0, 1, s12
	; wave barrier
	v_cmp_ne_u32_e64 s12, 0, v20
	v_not_b32_e32 v20, v21
	s_delay_alu instid0(VALU_DEP_2) | instskip(SKIP_1) | instid1(VALU_DEP_3)
	v_xor_b32_e32 v19, s12, v19
	v_cmp_gt_i32_e64 s12, 0, v21
	v_ashrrev_i32_e32 v20, 31, v20
	v_not_b32_e32 v21, v22
	s_delay_alu instid0(VALU_DEP_4) | instskip(NEXT) | instid1(VALU_DEP_3)
	v_and_b32_e32 v19, exec_lo, v19
	v_xor_b32_e32 v20, s12, v20
	v_cmp_gt_i32_e64 s12, 0, v22
	s_delay_alu instid0(VALU_DEP_4) | instskip(SKIP_1) | instid1(VALU_DEP_4)
	v_ashrrev_i32_e32 v21, 31, v21
	v_not_b32_e32 v22, v23
	v_and_b32_e32 v19, v19, v20
	v_lshlrev_b32_e32 v20, 27, v18
	s_delay_alu instid0(VALU_DEP_4) | instskip(SKIP_2) | instid1(VALU_DEP_4)
	v_xor_b32_e32 v21, s12, v21
	v_cmp_gt_i32_e64 s12, 0, v23
	v_ashrrev_i32_e32 v22, 31, v22
	v_not_b32_e32 v23, v20
	s_delay_alu instid0(VALU_DEP_4) | instskip(SKIP_1) | instid1(VALU_DEP_4)
	v_and_b32_e32 v19, v19, v21
	v_lshlrev_b32_e32 v21, 26, v18
	v_xor_b32_e32 v22, s12, v22
	v_cmp_gt_i32_e64 s12, 0, v20
	v_ashrrev_i32_e32 v20, 31, v23
	s_delay_alu instid0(VALU_DEP_4) | instskip(NEXT) | instid1(VALU_DEP_4)
	v_not_b32_e32 v23, v21
	v_and_b32_e32 v19, v19, v22
	v_lshlrev_b32_e32 v22, 25, v18
	s_delay_alu instid0(VALU_DEP_4)
	v_xor_b32_e32 v20, s12, v20
	v_cmp_gt_i32_e64 s12, 0, v21
	v_ashrrev_i32_e32 v21, 31, v23
	v_lshlrev_b32_e32 v18, 24, v18
	v_not_b32_e32 v23, v22
	v_and_b32_e32 v19, v19, v20
	s_delay_alu instid0(VALU_DEP_4) | instskip(SKIP_1) | instid1(VALU_DEP_4)
	v_xor_b32_e32 v20, s12, v21
	v_cmp_gt_i32_e64 s12, 0, v22
	v_ashrrev_i32_e32 v21, 31, v23
	v_not_b32_e32 v22, v18
	s_delay_alu instid0(VALU_DEP_4) | instskip(NEXT) | instid1(VALU_DEP_3)
	v_and_b32_e32 v19, v19, v20
	v_xor_b32_e32 v20, s12, v21
	v_cmp_gt_i32_e64 s12, 0, v18
	s_delay_alu instid0(VALU_DEP_4) | instskip(NEXT) | instid1(VALU_DEP_3)
	v_ashrrev_i32_e32 v18, 31, v22
	v_and_b32_e32 v19, v19, v20
	s_delay_alu instid0(VALU_DEP_2) | instskip(NEXT) | instid1(VALU_DEP_1)
	v_xor_b32_e32 v18, s12, v18
	v_and_b32_e32 v18, v19, v18
	s_delay_alu instid0(VALU_DEP_1) | instskip(SKIP_1) | instid1(VALU_DEP_2)
	v_mbcnt_lo_u32_b32 v82, v18, 0
	v_cmp_ne_u32_e64 s13, 0, v18
	v_cmp_eq_u32_e64 s12, 0, v82
	s_delay_alu instid0(VALU_DEP_1) | instskip(NEXT) | instid1(SALU_CYCLE_1)
	s_and_b32 s13, s13, s12
	s_and_saveexec_b32 s12, s13
	s_cbranch_execz .LBB1953_329
; %bb.328:                              ;   in Loop: Header=BB1953_325 Depth=1
	s_waitcnt vmcnt(0) lgkmcnt(0)
	v_bcnt_u32_b32 v18, v18, v81
	flat_store_b32 v[66:67], v18
.LBB1953_329:                           ;   in Loop: Header=BB1953_325 Depth=1
	s_or_b32 exec_lo, exec_lo, s12
	; wave barrier
	s_waitcnt vmcnt(0) lgkmcnt(0)
	s_waitcnt_vscnt null, 0x0
	s_barrier
	buffer_gl0_inv
	s_clause 0x1
	flat_load_b128 v[22:25], v[8:9] offset:32
	flat_load_b128 v[18:21], v[30:31] offset:16
	s_waitcnt vmcnt(1) lgkmcnt(1)
	v_add_nc_u32_e32 v83, v23, v22
	s_delay_alu instid0(VALU_DEP_1) | instskip(SKIP_1) | instid1(VALU_DEP_1)
	v_add3_u32 v83, v83, v24, v25
	s_waitcnt vmcnt(0) lgkmcnt(0)
	v_add3_u32 v83, v83, v18, v19
	s_delay_alu instid0(VALU_DEP_1) | instskip(NEXT) | instid1(VALU_DEP_1)
	v_add3_u32 v21, v83, v20, v21
	v_mov_b32_dpp v83, v21 row_shr:1 row_mask:0xf bank_mask:0xf
	s_delay_alu instid0(VALU_DEP_1) | instskip(NEXT) | instid1(VALU_DEP_1)
	v_cndmask_b32_e64 v83, v83, 0, vcc_lo
	v_add_nc_u32_e32 v21, v83, v21
	s_delay_alu instid0(VALU_DEP_1) | instskip(NEXT) | instid1(VALU_DEP_1)
	v_mov_b32_dpp v83, v21 row_shr:2 row_mask:0xf bank_mask:0xf
	v_cndmask_b32_e64 v83, 0, v83, s0
	s_delay_alu instid0(VALU_DEP_1) | instskip(NEXT) | instid1(VALU_DEP_1)
	v_add_nc_u32_e32 v21, v21, v83
	v_mov_b32_dpp v83, v21 row_shr:4 row_mask:0xf bank_mask:0xf
	s_delay_alu instid0(VALU_DEP_1) | instskip(NEXT) | instid1(VALU_DEP_1)
	v_cndmask_b32_e64 v83, 0, v83, s1
	v_add_nc_u32_e32 v21, v21, v83
	s_delay_alu instid0(VALU_DEP_1) | instskip(NEXT) | instid1(VALU_DEP_1)
	v_mov_b32_dpp v83, v21 row_shr:8 row_mask:0xf bank_mask:0xf
	v_cndmask_b32_e64 v83, 0, v83, s2
	s_delay_alu instid0(VALU_DEP_1) | instskip(SKIP_3) | instid1(VALU_DEP_1)
	v_add_nc_u32_e32 v21, v21, v83
	ds_swizzle_b32 v83, v21 offset:swizzle(BROADCAST,32,15)
	s_waitcnt lgkmcnt(0)
	v_cndmask_b32_e64 v83, v83, 0, s3
	v_add_nc_u32_e32 v21, v21, v83
	s_and_saveexec_b32 s12, s4
	s_cbranch_execz .LBB1953_331
; %bb.330:                              ;   in Loop: Header=BB1953_325 Depth=1
	flat_store_b32 v[32:33], v21
.LBB1953_331:                           ;   in Loop: Header=BB1953_325 Depth=1
	s_or_b32 exec_lo, exec_lo, s12
	s_waitcnt lgkmcnt(0)
	s_waitcnt_vscnt null, 0x0
	s_barrier
	buffer_gl0_inv
	s_and_saveexec_b32 s12, s5
	s_cbranch_execz .LBB1953_333
; %bb.332:                              ;   in Loop: Header=BB1953_325 Depth=1
	flat_load_b32 v83, v[35:36]
	s_waitcnt vmcnt(0) lgkmcnt(0)
	v_mov_b32_dpp v84, v83 row_shr:1 row_mask:0xf bank_mask:0xf
	s_delay_alu instid0(VALU_DEP_1) | instskip(NEXT) | instid1(VALU_DEP_1)
	v_cndmask_b32_e64 v84, v84, 0, s9
	v_add_nc_u32_e32 v83, v84, v83
	s_delay_alu instid0(VALU_DEP_1) | instskip(NEXT) | instid1(VALU_DEP_1)
	v_mov_b32_dpp v84, v83 row_shr:2 row_mask:0xf bank_mask:0xf
	v_cndmask_b32_e64 v84, 0, v84, s10
	s_delay_alu instid0(VALU_DEP_1) | instskip(NEXT) | instid1(VALU_DEP_1)
	v_add_nc_u32_e32 v83, v83, v84
	v_mov_b32_dpp v84, v83 row_shr:4 row_mask:0xf bank_mask:0xf
	s_delay_alu instid0(VALU_DEP_1) | instskip(NEXT) | instid1(VALU_DEP_1)
	v_cndmask_b32_e64 v84, 0, v84, s11
	v_add_nc_u32_e32 v83, v83, v84
	flat_store_b32 v[35:36], v83
.LBB1953_333:                           ;   in Loop: Header=BB1953_325 Depth=1
	s_or_b32 exec_lo, exec_lo, s12
	v_mov_b32_e32 v83, 0
	s_waitcnt lgkmcnt(0)
	s_waitcnt_vscnt null, 0x0
	s_barrier
	buffer_gl0_inv
	s_and_saveexec_b32 s12, s6
	s_cbranch_execz .LBB1953_335
; %bb.334:                              ;   in Loop: Header=BB1953_325 Depth=1
	flat_load_b32 v83, v[48:49]
.LBB1953_335:                           ;   in Loop: Header=BB1953_325 Depth=1
	s_or_b32 exec_lo, exec_lo, s12
	s_waitcnt vmcnt(0) lgkmcnt(0)
	v_add_nc_u32_e32 v21, v83, v21
	v_add_nc_u32_e32 v10, 8, v10
	s_mov_b32 s14, -1
	ds_bpermute_b32 v21, v69, v21
	s_waitcnt lgkmcnt(0)
	v_cndmask_b32_e64 v21, v21, v83, s7
	s_delay_alu instid0(VALU_DEP_1) | instskip(NEXT) | instid1(VALU_DEP_1)
	v_cndmask_b32_e64 v21, v21, 0, s8
	v_add_nc_u32_e32 v22, v21, v22
	s_delay_alu instid0(VALU_DEP_1) | instskip(NEXT) | instid1(VALU_DEP_1)
	v_add_nc_u32_e32 v23, v22, v23
	v_add_nc_u32_e32 v24, v23, v24
	s_delay_alu instid0(VALU_DEP_1) | instskip(NEXT) | instid1(VALU_DEP_1)
	v_add_nc_u32_e32 v83, v24, v25
                                        ; implicit-def: $vgpr25
	v_add_nc_u32_e32 v84, v83, v18
	s_delay_alu instid0(VALU_DEP_1) | instskip(NEXT) | instid1(VALU_DEP_1)
	v_add_nc_u32_e32 v85, v84, v19
	v_add_nc_u32_e32 v86, v85, v20
	s_clause 0x1
	flat_store_b128 v[8:9], v[21:24] offset:32
	flat_store_b128 v[30:31], v[83:86] offset:16
	v_mov_b32_e32 v23, v5
	s_waitcnt lgkmcnt(0)
	s_waitcnt_vscnt null, 0x0
	s_barrier
	buffer_gl0_inv
	s_clause 0x1
	flat_load_b32 v18, v[64:65]
	flat_load_b32 v19, v[66:67]
	s_waitcnt vmcnt(0) lgkmcnt(0)
	s_waitcnt_vscnt null, 0x0
                                        ; implicit-def: $vgpr66
	s_waitcnt vmcnt(1) lgkmcnt(1)
	v_add_nc_u32_e32 v4, v18, v4
	s_waitcnt vmcnt(0) lgkmcnt(0)
	v_add3_u32 v22, v82, v81, v19
	s_delay_alu instid0(VALU_DEP_2) | instskip(NEXT) | instid1(VALU_DEP_2)
	v_lshlrev_b64 v[18:19], 1, v[4:5]
	v_lshlrev_b64 v[20:21], 1, v[22:23]
	s_delay_alu instid0(VALU_DEP_2) | instskip(NEXT) | instid1(VALU_DEP_1)
	v_add_co_u32 v23, s13, v12, v18
	v_add_co_ci_u32_e64 v24, s13, v13, v19, s13
	s_delay_alu instid0(VALU_DEP_3) | instskip(NEXT) | instid1(VALU_DEP_1)
	v_add_co_u32 v64, s13, v12, v20
	v_add_co_ci_u32_e64 v65, s13, v13, v21, s13
	s_mov_b32 s13, exec_lo
                                        ; implicit-def: $vgpr20_vgpr21
                                        ; implicit-def: $vgpr18_vgpr19
	v_cmpx_lt_u32_e64 v10, v11
	s_cbranch_execz .LBB1953_324
; %bb.336:                              ;   in Loop: Header=BB1953_325 Depth=1
	v_mad_u64_u32 v[18:19], null, v4, 6, v[23:24]
	v_mad_u64_u32 v[20:21], null, v22, 6, v[64:65]
	s_barrier
	buffer_gl0_inv
	s_clause 0x1
	flat_store_b16 v[23:24], v71
	flat_store_b16 v[64:65], v80
	s_waitcnt lgkmcnt(0)
	s_waitcnt_vscnt null, 0x0
	s_barrier
	buffer_gl0_inv
	s_clause 0x1
	flat_load_u16 v66, v[37:38]
	flat_load_u16 v25, v[37:38] offset:64
	s_waitcnt vmcnt(0) lgkmcnt(0)
	s_barrier
	buffer_gl0_inv
	s_clause 0x1
	flat_store_b64 v[18:19], v[54:55]
	flat_store_b64 v[20:21], v[52:53]
	s_waitcnt lgkmcnt(0)
	s_waitcnt_vscnt null, 0x0
	s_barrier
	buffer_gl0_inv
	s_clause 0x1
	flat_load_b64 v[18:19], v[50:51]
	flat_load_b64 v[20:21], v[50:51] offset:256
	v_add_nc_u32_e32 v70, -8, v70
	s_xor_b32 s14, exec_lo, -1
	s_waitcnt vmcnt(0) lgkmcnt(0)
	s_barrier
	buffer_gl0_inv
	s_branch .LBB1953_324
.LBB1953_337:
	flat_load_b64 v[22:23], v[4:5]
	s_or_b32 exec_lo, exec_lo, s3
	s_and_saveexec_b32 s1, s2
	s_cbranch_execz .LBB1953_264
.LBB1953_338:
	flat_load_b64 v[24:25], v[4:5] offset:256
	s_or_b32 exec_lo, exec_lo, s1
	s_and_saveexec_b32 s1, s0
	s_cbranch_execz .LBB1953_265
.LBB1953_339:
	flat_load_b64 v[26:27], v[4:5] offset:512
	s_or_b32 exec_lo, exec_lo, s1
	s_and_saveexec_b32 s0, vcc_lo
	s_cbranch_execnz .LBB1953_266
	s_branch .LBB1953_267
.LBB1953_340:
	flat_store_b64 v[0:1], v[12:13]
	s_or_b32 exec_lo, exec_lo, s3
	s_and_saveexec_b32 s3, s0
	s_cbranch_execz .LBB1953_309
.LBB1953_341:
	flat_store_b64 v[0:1], v[10:11] offset:2048
	s_or_b32 exec_lo, exec_lo, s3
	s_and_saveexec_b32 s0, s1
	s_cbranch_execz .LBB1953_310
.LBB1953_342:
	v_add_co_u32 v2, vcc_lo, 0x1000, v0
	v_add_co_ci_u32_e32 v3, vcc_lo, 0, v1, vcc_lo
	flat_store_b64 v[2:3], v[8:9]
	s_or_b32 exec_lo, exec_lo, s0
	s_and_saveexec_b32 s0, s2
	s_cbranch_execnz .LBB1953_311
	s_branch .LBB1953_312
.LBB1953_343:
	s_or_b32 exec_lo, exec_lo, s16
	v_lshlrev_b32_e32 v5, 1, v34
	s_barrier
	buffer_gl0_inv
	s_clause 0x1
	flat_store_b16 v[23:24], v71
	flat_store_b16 v[64:65], v80
	s_waitcnt lgkmcnt(0)
	s_waitcnt_vscnt null, 0x0
	v_add_co_u32 v8, vcc_lo, v12, v5
	v_add_co_ci_u32_e32 v9, vcc_lo, 0, v13, vcc_lo
	v_mad_u64_u32 v[12:13], null, v4, 6, v[23:24]
	v_mad_u64_u32 v[4:5], null, v22, 6, v[64:65]
	s_delay_alu instid0(VALU_DEP_3)
	v_mad_u64_u32 v[14:15], null, v34, 6, v[8:9]
	s_barrier
	buffer_gl0_inv
	s_clause 0x1
	flat_load_u16 v11, v[8:9]
	flat_load_u16 v10, v[8:9] offset:512
	s_waitcnt vmcnt(0) lgkmcnt(0)
	s_barrier
	buffer_gl0_inv
	s_clause 0x1
	flat_store_b64 v[12:13], v[54:55]
	flat_store_b64 v[4:5], v[52:53]
	s_waitcnt lgkmcnt(0)
	s_waitcnt_vscnt null, 0x0
	s_barrier
	buffer_gl0_inv
	s_clause 0x1
	flat_load_b64 v[8:9], v[14:15]
	flat_load_b64 v[4:5], v[14:15] offset:2048
	v_mov_b32_e32 v27, 0
	v_add_co_u32 v2, vcc_lo, v2, v28
	v_add_co_ci_u32_e32 v3, vcc_lo, v3, v29, vcc_lo
	s_delay_alu instid0(VALU_DEP_3)
	v_lshlrev_b64 v[12:13], 1, v[26:27]
	s_waitcnt vmcnt(0) lgkmcnt(0)
	s_barrier
	buffer_gl0_inv
	v_add_co_u32 v2, vcc_lo, v2, v12
	v_add_co_ci_u32_e32 v3, vcc_lo, v3, v13, vcc_lo
	v_cmp_lt_u32_e32 vcc_lo, v26, v47
	s_and_saveexec_b32 s1, vcc_lo
	s_cbranch_execz .LBB1953_345
; %bb.344:
	v_cmp_gt_i16_e64 s0, 0, v11
	s_delay_alu instid0(VALU_DEP_1) | instskip(NEXT) | instid1(VALU_DEP_1)
	v_cndmask_b32_e64 v12, 0x7fff, 0, s0
	v_xor_b32_e32 v11, v12, v11
	flat_store_b16 v[2:3], v11
.LBB1953_345:
	s_or_b32 exec_lo, exec_lo, s1
	v_add_nc_u32_e32 v11, 0x100, v26
	s_delay_alu instid0(VALU_DEP_1) | instskip(NEXT) | instid1(VALU_DEP_1)
	v_cmp_lt_u32_e64 s0, v11, v47
	s_and_saveexec_b32 s2, s0
	s_cbranch_execz .LBB1953_347
; %bb.346:
	v_cmp_gt_i16_e64 s1, 0, v10
	s_delay_alu instid0(VALU_DEP_1) | instskip(NEXT) | instid1(VALU_DEP_1)
	v_cndmask_b32_e64 v11, 0x7fff, 0, s1
	v_xor_b32_e32 v10, v11, v10
	flat_store_b16 v[2:3], v10 offset:512
.LBB1953_347:
	s_or_b32 exec_lo, exec_lo, s2
	v_lshlrev_b64 v[2:3], 3, v[26:27]
	v_add_co_u32 v0, s1, v6, v0
	s_delay_alu instid0(VALU_DEP_1) | instskip(NEXT) | instid1(VALU_DEP_2)
	v_add_co_ci_u32_e64 v1, s1, v7, v1, s1
	v_add_co_u32 v0, s1, v0, v2
	s_delay_alu instid0(VALU_DEP_1)
	v_add_co_ci_u32_e64 v1, s1, v1, v3, s1
	s_and_saveexec_b32 s1, vcc_lo
	s_cbranch_execz .LBB1953_349
; %bb.348:
	flat_store_b64 v[0:1], v[8:9]
.LBB1953_349:
	s_or_b32 exec_lo, exec_lo, s1
	s_and_saveexec_b32 s1, s0
	s_cbranch_execz .LBB1953_351
; %bb.350:
	flat_store_b64 v[0:1], v[4:5] offset:2048
.LBB1953_351:
	s_or_b32 exec_lo, exec_lo, s1
                                        ; implicit-def: $vgpr26_vgpr27
                                        ; implicit-def: $vgpr8_vgpr9
                                        ; implicit-def: $vgpr28_vgpr29
                                        ; implicit-def: $vgpr47
                                        ; implicit-def: $vgpr0
                                        ; implicit-def: $vgpr1
                                        ; implicit-def: $vgpr2
                                        ; implicit-def: $vgpr3
                                        ; implicit-def: $vgpr4
                                        ; implicit-def: $vgpr5
                                        ; implicit-def: $vgpr6
                                        ; implicit-def: $vgpr7
                                        ; implicit-def: $vgpr10
                                        ; implicit-def: $vgpr11
                                        ; implicit-def: $vgpr12
                                        ; implicit-def: $vgpr13
                                        ; implicit-def: $vgpr34
                                        ; implicit-def: $vgpr16
.LBB1953_352:
	s_and_not1_saveexec_b32 s0, s15
	s_cbranch_execz .LBB1953_372
; %bb.353:
	s_delay_alu instid0(VALU_DEP_2) | instskip(NEXT) | instid1(VALU_DEP_1)
	v_dual_mov_b32 v17, -1 :: v_dual_and_b32 v14, 0xffffffe0, v26
	v_or_b32_e32 v15, v16, v14
	s_delay_alu instid0(VALU_DEP_1)
	v_cmp_lt_u32_e32 vcc_lo, v15, v47
	s_and_saveexec_b32 s1, vcc_lo
	s_cbranch_execz .LBB1953_355
; %bb.354:
	v_mov_b32_e32 v15, 0
	v_lshlrev_b32_e32 v17, 1, v16
	v_add_co_u32 v18, s0, v0, v28
	s_delay_alu instid0(VALU_DEP_1) | instskip(NEXT) | instid1(VALU_DEP_4)
	v_add_co_ci_u32_e64 v19, s0, v1, v29, s0
	v_lshlrev_b64 v[0:1], 1, v[14:15]
	s_delay_alu instid0(VALU_DEP_3) | instskip(NEXT) | instid1(VALU_DEP_1)
	v_add_co_u32 v15, s0, v18, v17
	v_add_co_ci_u32_e64 v17, s0, 0, v19, s0
	s_delay_alu instid0(VALU_DEP_2) | instskip(NEXT) | instid1(VALU_DEP_1)
	v_add_co_u32 v0, s0, v15, v0
	v_add_co_ci_u32_e64 v1, s0, v17, v1, s0
	flat_load_u16 v17, v[0:1]
.LBB1953_355:
	s_or_b32 exec_lo, exec_lo, s1
	v_lshlrev_b64 v[0:1], 3, v[8:9]
                                        ; implicit-def: $vgpr18_vgpr19
	s_and_saveexec_b32 s0, vcc_lo
	s_cbranch_execz .LBB1953_357
; %bb.356:
	v_dual_mov_b32 v15, 0 :: v_dual_lshlrev_b32 v8, 3, v16
	s_delay_alu instid0(VALU_DEP_2) | instskip(NEXT) | instid1(VALU_DEP_3)
	v_add_co_u32 v9, vcc_lo, v4, v0
	v_add_co_ci_u32_e32 v18, vcc_lo, v5, v1, vcc_lo
	s_delay_alu instid0(VALU_DEP_3) | instskip(NEXT) | instid1(VALU_DEP_3)
	v_lshlrev_b64 v[4:5], 3, v[14:15]
	v_add_co_u32 v8, vcc_lo, v9, v8
	s_delay_alu instid0(VALU_DEP_3) | instskip(NEXT) | instid1(VALU_DEP_2)
	v_add_co_ci_u32_e32 v9, vcc_lo, 0, v18, vcc_lo
	v_add_co_u32 v4, vcc_lo, v8, v4
	s_delay_alu instid0(VALU_DEP_2)
	v_add_co_ci_u32_e32 v5, vcc_lo, v9, v5, vcc_lo
	flat_load_b64 v[18:19], v[4:5]
.LBB1953_357:
	s_or_b32 exec_lo, exec_lo, s0
	s_waitcnt vmcnt(0) lgkmcnt(0)
	v_cmp_gt_i16_e32 vcc_lo, 0, v17
	s_mov_b32 s16, 0
	s_getpc_b64 s[0:1]
	s_add_u32 s0, s0, _ZN7rocprim17ROCPRIM_400000_NS16block_radix_sortI12hip_bfloat16Lj256ELj1ElLj1ELj1ELj8ELNS0_26block_radix_rank_algorithmE2ELNS0_18block_padding_hintE2ELNS0_4arch9wavefront6targetE0EE19radix_bits_per_passE@rel32@lo+4
	s_addc_u32 s1, s1, _ZN7rocprim17ROCPRIM_400000_NS16block_radix_sortI12hip_bfloat16Lj256ELj1ElLj1ELj1ELj8ELNS0_26block_radix_rank_algorithmE2ELNS0_18block_padding_hintE2ELNS0_4arch9wavefront6targetE0EE19radix_bits_per_passE@rel32@hi+12
	s_mov_b32 s17, s16
	s_mov_b32 s18, s16
	v_cndmask_b32_e64 v4, 0x7fff, 0, vcc_lo
	v_add_co_u32 v27, vcc_lo, v12, 32
	s_mov_b32 s19, s16
	v_and_b32_e32 v15, 0x3e0, v34
	s_delay_alu instid0(VALU_DEP_3) | instskip(SKIP_3) | instid1(VALU_DEP_3)
	v_xor_b32_e32 v22, v4, v17
	v_dual_mov_b32 v5, 0 :: v_dual_lshlrev_b32 v4, 5, v34
	v_add_co_ci_u32_e32 v39, vcc_lo, 0, v13, vcc_lo
	v_and_b32_e32 v17, 16, v16
	v_add_co_u32 v8, vcc_lo, v12, v4
	v_add_co_ci_u32_e32 v9, vcc_lo, 0, v13, vcc_lo
	v_add_co_u32 v30, vcc_lo, v27, v4
	v_min_u32_e32 v4, 0xe0, v15
	v_add_nc_u32_e32 v20, -1, v16
	v_and_b32_e32 v14, 15, v16
	v_cmp_eq_u32_e64 s3, 0, v17
	v_lshrrev_b32_e32 v17, 5, v34
	v_or_b32_e32 v4, 31, v4
	v_cmp_gt_i32_e64 s4, 0, v20
	v_add_co_ci_u32_e32 v31, vcc_lo, 0, v39, vcc_lo
	s_load_b32 s15, s[0:1], 0x0
	v_cmp_eq_u32_e32 vcc_lo, 0, v14
	v_cmp_lt_u32_e64 s0, 1, v14
	v_cmp_lt_u32_e64 s1, 3, v14
	;; [unrolled: 1-line block ×3, first 2 shown]
	v_cndmask_b32_e64 v14, v20, v16, s4
	v_cmp_eq_u32_e64 s4, v4, v34
	v_lshlrev_b32_e32 v4, 2, v17
	v_cmp_eq_u32_e64 s7, 0, v16
	v_and_b32_e32 v20, 7, v16
	v_or_b32_e32 v16, v16, v15
	v_lshlrev_b32_e32 v65, 2, v14
	v_add_co_u32 v32, s9, v12, v4
	v_add_nc_u32_e32 v4, -1, v17
	s_delay_alu instid0(VALU_DEP_4) | instskip(SKIP_3) | instid1(VALU_DEP_4)
	v_lshlrev_b32_e32 v17, 1, v16
	v_lshlrev_b32_e32 v14, 2, v34
	v_add_co_ci_u32_e64 v33, s9, 0, v13, s9
	v_lshrrev_b32_e32 v64, 5, v26
	v_add_co_u32 v37, s12, v12, v17
	s_delay_alu instid0(VALU_DEP_4) | instskip(SKIP_4) | instid1(VALU_DEP_4)
	v_add_co_u32 v35, s9, v12, v14
	v_lshlrev_b64 v[14:15], 2, v[4:5]
	v_add_co_ci_u32_e64 v38, s12, 0, v13, s12
	v_add_co_ci_u32_e64 v36, s9, 0, v13, s9
	v_cmp_gt_u32_e64 s5, 8, v34
	v_add_co_u32 v48, s12, v12, v14
	s_delay_alu instid0(VALU_DEP_4)
	v_mad_u64_u32 v[50:51], null, v16, 6, v[37:38]
	v_add_co_ci_u32_e64 v49, s12, v13, v15, s12
	v_mov_b32_e32 v14, s16
	v_cmp_lt_u32_e64 s6, 31, v34
	v_cmp_eq_u32_e64 s8, 0, v34
	v_cmp_eq_u32_e64 s9, 0, v20
	v_cmp_lt_u32_e64 s10, 1, v20
	v_cmp_lt_u32_e64 s11, 3, v20
	v_sub_nc_u32_e32 v66, v11, v10
	v_dual_mov_b32 v15, s17 :: v_dual_mov_b32 v16, s18
	v_mov_b32_e32 v17, s19
	s_waitcnt lgkmcnt(0)
	s_waitcnt_vscnt null, 0x0
	s_barrier
	buffer_gl0_inv
	s_branch .LBB1953_359
.LBB1953_358:                           ;   in Loop: Header=BB1953_359 Depth=1
	s_or_b32 exec_lo, exec_lo, s13
	s_delay_alu instid0(SALU_CYCLE_1) | instskip(NEXT) | instid1(SALU_CYCLE_1)
	s_and_b32 s12, exec_lo, s14
	s_or_b32 s16, s12, s16
	s_delay_alu instid0(SALU_CYCLE_1)
	s_and_not1_b32 exec_lo, exec_lo, s16
	s_cbranch_execz .LBB1953_369
.LBB1953_359:                           ; =>This Inner Loop Header: Depth=1
	v_mov_b32_e32 v67, v22
	v_min_u32_e32 v20, s15, v66
	s_clause 0x1
	flat_store_b128 v[8:9], v[14:17] offset:32
	flat_store_b128 v[30:31], v[14:17] offset:16
	s_waitcnt lgkmcnt(0)
	s_waitcnt_vscnt null, 0x0
	s_barrier
	v_cmp_ne_u16_e64 s12, 0x8000, v67
	buffer_gl0_inv
	; wave barrier
	v_cndmask_b32_e64 v4, 0x7fff, v67, s12
	s_delay_alu instid0(VALU_DEP_1) | instskip(NEXT) | instid1(VALU_DEP_1)
	v_and_b32_e32 v4, 0xffff, v4
	v_lshrrev_b32_e32 v4, v10, v4
	s_delay_alu instid0(VALU_DEP_1) | instskip(NEXT) | instid1(VALU_DEP_1)
	v_bfe_u32 v4, v4, 0, v20
	v_and_b32_e32 v20, 1, v4
	v_lshlrev_b32_e32 v21, 30, v4
	v_lshlrev_b32_e32 v22, 29, v4
	;; [unrolled: 1-line block ×4, first 2 shown]
	v_add_co_u32 v20, s12, v20, -1
	s_delay_alu instid0(VALU_DEP_1)
	v_cndmask_b32_e64 v24, 0, 1, s12
	v_not_b32_e32 v54, v21
	v_cmp_gt_i32_e64 s13, 0, v21
	v_not_b32_e32 v21, v22
	v_lshlrev_b32_e32 v52, 26, v4
	v_cmp_ne_u32_e64 s12, 0, v24
	v_ashrrev_i32_e32 v54, 31, v54
	v_lshlrev_b32_e32 v53, 25, v4
	v_ashrrev_i32_e32 v21, 31, v21
	v_lshlrev_b32_e32 v24, 24, v4
	v_xor_b32_e32 v20, s12, v20
	v_cmp_gt_i32_e64 s12, 0, v22
	v_not_b32_e32 v22, v23
	v_xor_b32_e32 v54, s13, v54
	v_cmp_gt_i32_e64 s13, 0, v23
	v_and_b32_e32 v20, exec_lo, v20
	v_not_b32_e32 v23, v25
	v_ashrrev_i32_e32 v22, 31, v22
	v_xor_b32_e32 v21, s12, v21
	v_cmp_gt_i32_e64 s12, 0, v25
	v_and_b32_e32 v20, v20, v54
	v_not_b32_e32 v25, v52
	v_ashrrev_i32_e32 v23, 31, v23
	v_xor_b32_e32 v22, s13, v22
	v_cmp_gt_i32_e64 s13, 0, v52
	v_and_b32_e32 v20, v20, v21
	v_not_b32_e32 v21, v53
	v_ashrrev_i32_e32 v25, 31, v25
	v_xor_b32_e32 v23, s12, v23
	v_cmp_gt_i32_e64 s12, 0, v53
	v_and_b32_e32 v20, v20, v22
	v_not_b32_e32 v22, v24
	v_ashrrev_i32_e32 v21, 31, v21
	v_xor_b32_e32 v25, s13, v25
	v_cmp_gt_i32_e64 s13, 0, v24
	v_and_b32_e32 v20, v20, v23
	v_ashrrev_i32_e32 v22, 31, v22
	v_xor_b32_e32 v21, s12, v21
	v_dual_mov_b32 v53, v19 :: v_dual_mov_b32 v52, v18
	s_delay_alu instid0(VALU_DEP_4) | instskip(NEXT) | instid1(VALU_DEP_4)
	v_and_b32_e32 v20, v20, v25
	v_xor_b32_e32 v22, s13, v22
	v_lshlrev_b32_e32 v18, 3, v4
	s_delay_alu instid0(VALU_DEP_3) | instskip(NEXT) | instid1(VALU_DEP_2)
	v_and_b32_e32 v20, v20, v21
	v_add_lshl_u32 v18, v18, v64, 2
	s_delay_alu instid0(VALU_DEP_2) | instskip(NEXT) | instid1(VALU_DEP_2)
	v_and_b32_e32 v20, v20, v22
	v_add_co_u32 v54, s14, v27, v18
	s_delay_alu instid0(VALU_DEP_1) | instskip(NEXT) | instid1(VALU_DEP_3)
	v_add_co_ci_u32_e64 v55, s14, 0, v39, s14
	v_mbcnt_lo_u32_b32 v4, v20, 0
	v_cmp_ne_u32_e64 s12, 0, v20
	s_delay_alu instid0(VALU_DEP_2) | instskip(NEXT) | instid1(VALU_DEP_1)
	v_cmp_eq_u32_e64 s13, 0, v4
	s_and_b32 s13, s12, s13
	s_delay_alu instid0(SALU_CYCLE_1)
	s_and_saveexec_b32 s12, s13
	s_cbranch_execz .LBB1953_361
; %bb.360:                              ;   in Loop: Header=BB1953_359 Depth=1
	v_bcnt_u32_b32 v18, v20, 0
	flat_store_b32 v[54:55], v18
.LBB1953_361:                           ;   in Loop: Header=BB1953_359 Depth=1
	s_or_b32 exec_lo, exec_lo, s12
	; wave barrier
	s_waitcnt lgkmcnt(0)
	s_waitcnt_vscnt null, 0x0
	s_barrier
	buffer_gl0_inv
	s_clause 0x1
	flat_load_b128 v[22:25], v[8:9] offset:32
	flat_load_b128 v[18:21], v[30:31] offset:16
	s_waitcnt vmcnt(1) lgkmcnt(1)
	v_add_nc_u32_e32 v68, v23, v22
	s_delay_alu instid0(VALU_DEP_1) | instskip(SKIP_1) | instid1(VALU_DEP_1)
	v_add3_u32 v68, v68, v24, v25
	s_waitcnt vmcnt(0) lgkmcnt(0)
	v_add3_u32 v68, v68, v18, v19
	s_delay_alu instid0(VALU_DEP_1) | instskip(NEXT) | instid1(VALU_DEP_1)
	v_add3_u32 v21, v68, v20, v21
	v_mov_b32_dpp v68, v21 row_shr:1 row_mask:0xf bank_mask:0xf
	s_delay_alu instid0(VALU_DEP_1) | instskip(NEXT) | instid1(VALU_DEP_1)
	v_cndmask_b32_e64 v68, v68, 0, vcc_lo
	v_add_nc_u32_e32 v21, v68, v21
	s_delay_alu instid0(VALU_DEP_1) | instskip(NEXT) | instid1(VALU_DEP_1)
	v_mov_b32_dpp v68, v21 row_shr:2 row_mask:0xf bank_mask:0xf
	v_cndmask_b32_e64 v68, 0, v68, s0
	s_delay_alu instid0(VALU_DEP_1) | instskip(NEXT) | instid1(VALU_DEP_1)
	v_add_nc_u32_e32 v21, v21, v68
	v_mov_b32_dpp v68, v21 row_shr:4 row_mask:0xf bank_mask:0xf
	s_delay_alu instid0(VALU_DEP_1) | instskip(NEXT) | instid1(VALU_DEP_1)
	v_cndmask_b32_e64 v68, 0, v68, s1
	v_add_nc_u32_e32 v21, v21, v68
	s_delay_alu instid0(VALU_DEP_1) | instskip(NEXT) | instid1(VALU_DEP_1)
	v_mov_b32_dpp v68, v21 row_shr:8 row_mask:0xf bank_mask:0xf
	v_cndmask_b32_e64 v68, 0, v68, s2
	s_delay_alu instid0(VALU_DEP_1) | instskip(SKIP_3) | instid1(VALU_DEP_1)
	v_add_nc_u32_e32 v21, v21, v68
	ds_swizzle_b32 v68, v21 offset:swizzle(BROADCAST,32,15)
	s_waitcnt lgkmcnt(0)
	v_cndmask_b32_e64 v68, v68, 0, s3
	v_add_nc_u32_e32 v21, v21, v68
	s_and_saveexec_b32 s12, s4
	s_cbranch_execz .LBB1953_363
; %bb.362:                              ;   in Loop: Header=BB1953_359 Depth=1
	flat_store_b32 v[32:33], v21
.LBB1953_363:                           ;   in Loop: Header=BB1953_359 Depth=1
	s_or_b32 exec_lo, exec_lo, s12
	s_waitcnt lgkmcnt(0)
	s_waitcnt_vscnt null, 0x0
	s_barrier
	buffer_gl0_inv
	s_and_saveexec_b32 s12, s5
	s_cbranch_execz .LBB1953_365
; %bb.364:                              ;   in Loop: Header=BB1953_359 Depth=1
	flat_load_b32 v68, v[35:36]
	s_waitcnt vmcnt(0) lgkmcnt(0)
	v_mov_b32_dpp v69, v68 row_shr:1 row_mask:0xf bank_mask:0xf
	s_delay_alu instid0(VALU_DEP_1) | instskip(NEXT) | instid1(VALU_DEP_1)
	v_cndmask_b32_e64 v69, v69, 0, s9
	v_add_nc_u32_e32 v68, v69, v68
	s_delay_alu instid0(VALU_DEP_1) | instskip(NEXT) | instid1(VALU_DEP_1)
	v_mov_b32_dpp v69, v68 row_shr:2 row_mask:0xf bank_mask:0xf
	v_cndmask_b32_e64 v69, 0, v69, s10
	s_delay_alu instid0(VALU_DEP_1) | instskip(NEXT) | instid1(VALU_DEP_1)
	v_add_nc_u32_e32 v68, v68, v69
	v_mov_b32_dpp v69, v68 row_shr:4 row_mask:0xf bank_mask:0xf
	s_delay_alu instid0(VALU_DEP_1) | instskip(NEXT) | instid1(VALU_DEP_1)
	v_cndmask_b32_e64 v69, 0, v69, s11
	v_add_nc_u32_e32 v68, v68, v69
	flat_store_b32 v[35:36], v68
.LBB1953_365:                           ;   in Loop: Header=BB1953_359 Depth=1
	s_or_b32 exec_lo, exec_lo, s12
	v_mov_b32_e32 v68, 0
	s_waitcnt lgkmcnt(0)
	s_waitcnt_vscnt null, 0x0
	s_barrier
	buffer_gl0_inv
	s_and_saveexec_b32 s12, s6
	s_cbranch_execz .LBB1953_367
; %bb.366:                              ;   in Loop: Header=BB1953_359 Depth=1
	flat_load_b32 v68, v[48:49]
.LBB1953_367:                           ;   in Loop: Header=BB1953_359 Depth=1
	s_or_b32 exec_lo, exec_lo, s12
	s_waitcnt vmcnt(0) lgkmcnt(0)
	v_add_nc_u32_e32 v21, v68, v21
	v_add_nc_u32_e32 v10, 8, v10
	s_mov_b32 s14, -1
	ds_bpermute_b32 v21, v65, v21
	s_waitcnt lgkmcnt(0)
	v_cndmask_b32_e64 v21, v21, v68, s7
	s_delay_alu instid0(VALU_DEP_1) | instskip(NEXT) | instid1(VALU_DEP_1)
	v_cndmask_b32_e64 v21, v21, 0, s8
	v_add_nc_u32_e32 v22, v21, v22
	s_delay_alu instid0(VALU_DEP_1) | instskip(NEXT) | instid1(VALU_DEP_1)
	v_add_nc_u32_e32 v23, v22, v23
	v_add_nc_u32_e32 v24, v23, v24
	s_delay_alu instid0(VALU_DEP_1) | instskip(NEXT) | instid1(VALU_DEP_1)
	v_add_nc_u32_e32 v68, v24, v25
	;; [unrolled: 3-line block ×3, first 2 shown]
	v_add_nc_u32_e32 v71, v70, v20
	s_clause 0x1
	flat_store_b128 v[8:9], v[21:24] offset:32
	flat_store_b128 v[30:31], v[68:71] offset:16
	s_waitcnt lgkmcnt(0)
	s_waitcnt_vscnt null, 0x0
	s_barrier
	buffer_gl0_inv
	flat_load_b32 v18, v[54:55]
	s_waitcnt vmcnt(0) lgkmcnt(0)
	s_waitcnt_vscnt null, 0x0
                                        ; implicit-def: $vgpr22
	s_waitcnt vmcnt(0) lgkmcnt(0)
	v_add_nc_u32_e32 v4, v18, v4
	s_delay_alu instid0(VALU_DEP_1) | instskip(NEXT) | instid1(VALU_DEP_1)
	v_lshlrev_b64 v[18:19], 1, v[4:5]
	v_add_co_u32 v20, s13, v12, v18
	s_delay_alu instid0(VALU_DEP_1)
	v_add_co_ci_u32_e64 v21, s13, v13, v19, s13
	s_mov_b32 s13, exec_lo
                                        ; implicit-def: $vgpr18_vgpr19
	v_cmpx_lt_u32_e64 v10, v11
	s_cbranch_execz .LBB1953_358
; %bb.368:                              ;   in Loop: Header=BB1953_359 Depth=1
	s_delay_alu instid0(VALU_DEP_2)
	v_mad_u64_u32 v[18:19], null, v4, 6, v[20:21]
	s_barrier
	buffer_gl0_inv
	flat_store_b16 v[20:21], v67
	s_waitcnt lgkmcnt(0)
	s_waitcnt_vscnt null, 0x0
	s_barrier
	buffer_gl0_inv
	flat_load_u16 v22, v[37:38]
	s_waitcnt vmcnt(0) lgkmcnt(0)
	s_barrier
	buffer_gl0_inv
	flat_store_b64 v[18:19], v[52:53]
	s_waitcnt lgkmcnt(0)
	s_waitcnt_vscnt null, 0x0
	s_barrier
	buffer_gl0_inv
	flat_load_b64 v[18:19], v[50:51]
	v_add_nc_u32_e32 v66, -8, v66
	s_xor_b32 s14, exec_lo, -1
	s_waitcnt vmcnt(0) lgkmcnt(0)
	s_barrier
	buffer_gl0_inv
	s_branch .LBB1953_358
.LBB1953_369:
	s_or_b32 exec_lo, exec_lo, s16
	v_lshlrev_b32_e32 v5, 1, v34
	s_barrier
	buffer_gl0_inv
	flat_store_b16 v[20:21], v67
	s_waitcnt lgkmcnt(0)
	s_waitcnt_vscnt null, 0x0
	v_add_co_u32 v9, vcc_lo, v12, v5
	v_add_co_ci_u32_e32 v10, vcc_lo, 0, v13, vcc_lo
	v_mad_u64_u32 v[11:12], null, v4, 6, v[20:21]
	s_barrier
	s_delay_alu instid0(VALU_DEP_2)
	v_mad_u64_u32 v[4:5], null, v34, 6, v[9:10]
	buffer_gl0_inv
	flat_load_u16 v8, v[9:10]
	s_waitcnt vmcnt(0) lgkmcnt(0)
	s_barrier
	buffer_gl0_inv
	flat_store_b64 v[11:12], v[52:53]
	s_waitcnt lgkmcnt(0)
	s_waitcnt_vscnt null, 0x0
	s_barrier
	buffer_gl0_inv
	flat_load_b64 v[4:5], v[4:5]
	v_mov_b32_e32 v27, 0
	s_mov_b32 s0, exec_lo
	s_waitcnt vmcnt(0) lgkmcnt(0)
	s_barrier
	buffer_gl0_inv
	v_cmpx_lt_u32_e64 v26, v47
	s_cbranch_execz .LBB1953_371
; %bb.370:
	v_lshlrev_b64 v[9:10], 1, v[26:27]
	v_add_co_u32 v2, vcc_lo, v2, v28
	v_add_co_ci_u32_e32 v3, vcc_lo, v3, v29, vcc_lo
	s_delay_alu instid0(VALU_DEP_2) | instskip(NEXT) | instid1(VALU_DEP_2)
	v_add_co_u32 v2, vcc_lo, v2, v9
	v_add_co_ci_u32_e32 v3, vcc_lo, v3, v10, vcc_lo
	v_cmp_gt_i16_e32 vcc_lo, 0, v8
	v_lshlrev_b64 v[9:10], 3, v[26:27]
	v_cndmask_b32_e64 v11, 0x7fff, 0, vcc_lo
	v_add_co_u32 v0, vcc_lo, v6, v0
	v_add_co_ci_u32_e32 v1, vcc_lo, v7, v1, vcc_lo
	s_delay_alu instid0(VALU_DEP_3) | instskip(NEXT) | instid1(VALU_DEP_3)
	v_xor_b32_e32 v6, v11, v8
	v_add_co_u32 v0, vcc_lo, v0, v9
	s_delay_alu instid0(VALU_DEP_3)
	v_add_co_ci_u32_e32 v1, vcc_lo, v1, v10, vcc_lo
	flat_store_b16 v[2:3], v6
	flat_store_b64 v[0:1], v[4:5]
.LBB1953_371:
	s_or_b32 exec_lo, exec_lo, s0
.LBB1953_372:
	s_delay_alu instid0(SALU_CYCLE_1)
	s_or_b32 exec_lo, exec_lo, s24
	s_clause 0x1f
	scratch_load_b32 v141, off, s32
	scratch_load_b32 v140, off, s32 offset:4
	scratch_load_b32 v139, off, s32 offset:8
	;; [unrolled: 1-line block ×31, first 2 shown]
	s_clause 0x15
	scratch_load_b32 v77, off, s32 offset:128
	scratch_load_b32 v76, off, s32 offset:132
	;; [unrolled: 1-line block ×22, first 2 shown]
	s_waitcnt vmcnt(0) lgkmcnt(0)
	s_setpc_b64 s[30:31]
.Lfunc_end1953:
	.size	_ZN7rocprim17ROCPRIM_400000_NS6detail40segmented_radix_sort_single_block_helperI12hip_bfloat16lLj256ELj16ELb1EE4sortIPKS3_PS3_PKlPlEEbT_T0_T1_T2_jjjjRNS4_12storage_typeE, .Lfunc_end1953-_ZN7rocprim17ROCPRIM_400000_NS6detail40segmented_radix_sort_single_block_helperI12hip_bfloat16lLj256ELj16ELb1EE4sortIPKS3_PS3_PKlPlEEbT_T0_T1_T2_jjjjRNS4_12storage_typeE
                                        ; -- End function
	.section	.AMDGPU.csdata,"",@progbits
; Function info:
; codeLenInByte = 33936
; NumSgprs: 35
; NumVgprs: 248
; ScratchSize: 220
; MemoryBound: 1
	.section	.text._ZN7rocprim17ROCPRIM_400000_NS6detail17trampoline_kernelINS0_14default_configENS1_36segmented_radix_sort_config_selectorI12hip_bfloat16lEEZNS1_25segmented_radix_sort_implIS3_Lb1EPKS5_PS5_PKlPlN2at6native12_GLOBAL__N_18offset_tEEE10hipError_tPvRmT1_PNSt15iterator_traitsISL_E10value_typeET2_T3_PNSM_ISR_E10value_typeET4_jRbjT5_SX_jjP12ihipStream_tbEUlT_E_NS1_11comp_targetILNS1_3genE9ELNS1_11target_archE1100ELNS1_3gpuE3ELNS1_3repE0EEENS1_30default_config_static_selectorELNS0_4arch9wavefront6targetE0EEEvSL_,"axG",@progbits,_ZN7rocprim17ROCPRIM_400000_NS6detail17trampoline_kernelINS0_14default_configENS1_36segmented_radix_sort_config_selectorI12hip_bfloat16lEEZNS1_25segmented_radix_sort_implIS3_Lb1EPKS5_PS5_PKlPlN2at6native12_GLOBAL__N_18offset_tEEE10hipError_tPvRmT1_PNSt15iterator_traitsISL_E10value_typeET2_T3_PNSM_ISR_E10value_typeET4_jRbjT5_SX_jjP12ihipStream_tbEUlT_E_NS1_11comp_targetILNS1_3genE9ELNS1_11target_archE1100ELNS1_3gpuE3ELNS1_3repE0EEENS1_30default_config_static_selectorELNS0_4arch9wavefront6targetE0EEEvSL_,comdat
	.globl	_ZN7rocprim17ROCPRIM_400000_NS6detail17trampoline_kernelINS0_14default_configENS1_36segmented_radix_sort_config_selectorI12hip_bfloat16lEEZNS1_25segmented_radix_sort_implIS3_Lb1EPKS5_PS5_PKlPlN2at6native12_GLOBAL__N_18offset_tEEE10hipError_tPvRmT1_PNSt15iterator_traitsISL_E10value_typeET2_T3_PNSM_ISR_E10value_typeET4_jRbjT5_SX_jjP12ihipStream_tbEUlT_E_NS1_11comp_targetILNS1_3genE9ELNS1_11target_archE1100ELNS1_3gpuE3ELNS1_3repE0EEENS1_30default_config_static_selectorELNS0_4arch9wavefront6targetE0EEEvSL_ ; -- Begin function _ZN7rocprim17ROCPRIM_400000_NS6detail17trampoline_kernelINS0_14default_configENS1_36segmented_radix_sort_config_selectorI12hip_bfloat16lEEZNS1_25segmented_radix_sort_implIS3_Lb1EPKS5_PS5_PKlPlN2at6native12_GLOBAL__N_18offset_tEEE10hipError_tPvRmT1_PNSt15iterator_traitsISL_E10value_typeET2_T3_PNSM_ISR_E10value_typeET4_jRbjT5_SX_jjP12ihipStream_tbEUlT_E_NS1_11comp_targetILNS1_3genE9ELNS1_11target_archE1100ELNS1_3gpuE3ELNS1_3repE0EEENS1_30default_config_static_selectorELNS0_4arch9wavefront6targetE0EEEvSL_
	.p2align	8
	.type	_ZN7rocprim17ROCPRIM_400000_NS6detail17trampoline_kernelINS0_14default_configENS1_36segmented_radix_sort_config_selectorI12hip_bfloat16lEEZNS1_25segmented_radix_sort_implIS3_Lb1EPKS5_PS5_PKlPlN2at6native12_GLOBAL__N_18offset_tEEE10hipError_tPvRmT1_PNSt15iterator_traitsISL_E10value_typeET2_T3_PNSM_ISR_E10value_typeET4_jRbjT5_SX_jjP12ihipStream_tbEUlT_E_NS1_11comp_targetILNS1_3genE9ELNS1_11target_archE1100ELNS1_3gpuE3ELNS1_3repE0EEENS1_30default_config_static_selectorELNS0_4arch9wavefront6targetE0EEEvSL_,@function
_ZN7rocprim17ROCPRIM_400000_NS6detail17trampoline_kernelINS0_14default_configENS1_36segmented_radix_sort_config_selectorI12hip_bfloat16lEEZNS1_25segmented_radix_sort_implIS3_Lb1EPKS5_PS5_PKlPlN2at6native12_GLOBAL__N_18offset_tEEE10hipError_tPvRmT1_PNSt15iterator_traitsISL_E10value_typeET2_T3_PNSM_ISR_E10value_typeET4_jRbjT5_SX_jjP12ihipStream_tbEUlT_E_NS1_11comp_targetILNS1_3genE9ELNS1_11target_archE1100ELNS1_3gpuE3ELNS1_3repE0EEENS1_30default_config_static_selectorELNS0_4arch9wavefront6targetE0EEEvSL_: ; @_ZN7rocprim17ROCPRIM_400000_NS6detail17trampoline_kernelINS0_14default_configENS1_36segmented_radix_sort_config_selectorI12hip_bfloat16lEEZNS1_25segmented_radix_sort_implIS3_Lb1EPKS5_PS5_PKlPlN2at6native12_GLOBAL__N_18offset_tEEE10hipError_tPvRmT1_PNSt15iterator_traitsISL_E10value_typeET2_T3_PNSM_ISR_E10value_typeET4_jRbjT5_SX_jjP12ihipStream_tbEUlT_E_NS1_11comp_targetILNS1_3genE9ELNS1_11target_archE1100ELNS1_3gpuE3ELNS1_3repE0EEENS1_30default_config_static_selectorELNS0_4arch9wavefront6targetE0EEEvSL_
; %bb.0:
	s_clause 0x1
	s_load_b64 s[2:3], s[0:1], 0x38
	s_load_b128 s[4:7], s[0:1], 0x40
	s_mov_b32 s26, s14
	s_mov_b32 s27, 0
	;; [unrolled: 1-line block ×3, first 2 shown]
	s_lshl_b64 s[8:9], s[26:27], 2
	s_waitcnt lgkmcnt(0)
	s_add_u32 s2, s2, s8
	s_addc_u32 s3, s3, s9
	s_load_b32 s2, s[2:3], 0x0
	s_waitcnt lgkmcnt(0)
	s_add_i32 s52, s2, s5
	s_add_i32 s53, s2, s7
	s_mul_i32 s52, s52, s4
	s_mul_i32 s53, s53, s6
	s_delay_alu instid0(SALU_CYCLE_1)
	s_cmp_le_u32 s53, s52
	s_cbranch_scc1 .LBB1954_1190
; %bb.1:
	s_clause 0x3
	s_load_b32 s2, s[0:1], 0x30
	s_load_b128 s[44:47], s[0:1], 0x20
	s_load_b128 s[48:51], s[0:1], 0x50
	s_load_b256 s[36:43], s[0:1], 0x0
	s_waitcnt lgkmcnt(0)
	s_bitcmp1_b32 s2, 0
	s_mov_b32 s2, -1
	s_cselect_b32 s51, -1, 0
	s_sub_i32 s54, s53, s52
	s_delay_alu instid0(SALU_CYCLE_1)
	s_cmpk_lt_u32 s54, 0x1001
	s_cbranch_scc0 .LBB1954_7
; %bb.2:
	v_cndmask_b32_e64 v1, 0, 1, s51
	s_and_b32 s2, s48, 1
	s_delay_alu instid0(VALU_DEP_1) | instid1(SALU_CYCLE_1)
	v_cmp_ne_u32_e32 vcc_lo, s2, v1
	s_mov_b32 s2, -1
	s_cbranch_vccnz .LBB1954_4
; %bb.3:
	s_mov_b64 s[2:3], src_shared_base
	v_mov_b32_e32 v31, v0
	v_dual_mov_b32 v40, v0 :: v_dual_mov_b32 v1, s37
	v_mov_b32_e32 v0, s36
	v_dual_mov_b32 v2, s40 :: v_dual_mov_b32 v3, s41
	v_dual_mov_b32 v4, s42 :: v_dual_mov_b32 v5, s43
	;; [unrolled: 1-line block ×6, first 2 shown]
	s_add_u32 s8, s0, 0x60
	s_addc_u32 s9, s1, 0
	s_mov_b32 s12, s26
	s_mov_b32 s13, s15
	s_getpc_b64 s[4:5]
	s_add_u32 s4, s4, _ZN7rocprim17ROCPRIM_400000_NS6detail40segmented_radix_sort_single_block_helperI12hip_bfloat16lLj256ELj16ELb1EE4sortIPKS3_PS3_PKlPlEEbT_T0_T1_T2_jjjjRNS4_12storage_typeE@rel32@lo+4
	s_addc_u32 s5, s5, _ZN7rocprim17ROCPRIM_400000_NS6detail40segmented_radix_sort_single_block_helperI12hip_bfloat16lLj256ELj16ELb1EE4sortIPKS3_PS3_PKlPlEEbT_T0_T1_T2_jjjjRNS4_12storage_typeE@rel32@hi+12
	s_mov_b64 s[28:29], s[0:1]
	s_mov_b32 s27, s15
	s_swappc_b64 s[30:31], s[4:5]
	v_mov_b32_e32 v0, v40
	s_mov_b32 s15, s27
	s_mov_b64 s[0:1], s[28:29]
	s_mov_b32 s2, 0
.LBB1954_4:
	s_delay_alu instid0(SALU_CYCLE_1)
	s_and_not1_b32 vcc_lo, exec_lo, s2
	s_cbranch_vccnz .LBB1954_6
; %bb.5:
	s_mov_b64 s[2:3], src_shared_base
	v_mov_b32_e32 v31, v0
	v_dual_mov_b32 v40, v0 :: v_dual_mov_b32 v1, s37
	v_mov_b32_e32 v0, s36
	v_dual_mov_b32 v2, s38 :: v_dual_mov_b32 v3, s39
	v_dual_mov_b32 v4, s42 :: v_dual_mov_b32 v5, s43
	;; [unrolled: 1-line block ×6, first 2 shown]
	s_add_u32 s8, s0, 0x60
	s_addc_u32 s9, s1, 0
	s_mov_b32 s12, s26
	s_mov_b32 s13, s15
	s_getpc_b64 s[4:5]
	s_add_u32 s4, s4, _ZN7rocprim17ROCPRIM_400000_NS6detail40segmented_radix_sort_single_block_helperI12hip_bfloat16lLj256ELj16ELb1EE4sortIPKS3_PS3_PKlPlEEbT_T0_T1_T2_jjjjRNS4_12storage_typeE@rel32@lo+4
	s_addc_u32 s5, s5, _ZN7rocprim17ROCPRIM_400000_NS6detail40segmented_radix_sort_single_block_helperI12hip_bfloat16lLj256ELj16ELb1EE4sortIPKS3_PS3_PKlPlEEbT_T0_T1_T2_jjjjRNS4_12storage_typeE@rel32@hi+12
	s_mov_b64 s[28:29], s[0:1]
	s_mov_b32 s27, s15
	s_swappc_b64 s[30:31], s[4:5]
	v_mov_b32_e32 v0, v40
	s_mov_b32 s15, s27
	s_mov_b64 s[0:1], s[28:29]
.LBB1954_6:
	s_mov_b32 s2, 0
.LBB1954_7:
	s_delay_alu instid0(SALU_CYCLE_1)
	s_and_not1_b32 vcc_lo, exec_lo, s2
	s_cbranch_vccnz .LBB1954_1190
; %bb.8:
	s_cmp_ge_u32 s49, s50
	s_cbranch_scc1 .LBB1954_1190
; %bb.9:
	v_dual_mov_b32 v94, 1 :: v_dual_and_b32 v1, 0x3ff, v0
	v_mov_b32_e32 v3, 0
	v_bfe_u32 v70, v0, 20, 10
	v_bfe_u32 v0, v0, 10, 10
	s_delay_alu instid0(VALU_DEP_4)
	v_lshlrev_b32_e32 v44, 2, v1
	v_lshrrev_b32_e32 v4, 3, v1
	v_or_b32_e32 v5, 31, v1
	v_lshlrev_b32_e32 v6, 5, v1
	v_lshlrev_b32_e32 v2, 1, v1
	v_mad_u32_u24 v64, v1, 12, v44
	v_and_b32_e32 v62, 28, v4
	v_lshlrev_b32_e32 v4, 4, v1
	v_cmp_eq_u32_e64 s3, v5, v1
	v_add_nc_u32_e32 v5, 1, v1
	v_mad_u32_u24 v69, v1, 20, v64
	v_or_b32_e32 v55, 0x800, v1
	v_and_b32_e32 v68, 0xe00, v4
	v_mul_u32_u24_e32 v4, 9, v1
	v_or_b32_e32 v56, 0x900, v1
	v_sub_nc_u32_e32 v72, v69, v6
	v_or_b32_e32 v57, 0xa00, v1
	v_lshlrev_b32_e32 v6, 3, v68
	v_lshl_add_u32 v71, v4, 2, 0x420
	v_mul_u32_u24_e32 v4, 9, v5
	v_or_b32_e32 v58, 0xb00, v1
	v_or_b32_e32 v59, 0xc00, v1
	v_add_co_u32 v74, s8, s46, v6
	s_delay_alu instid0(VALU_DEP_4) | instskip(SKIP_4) | instid1(VALU_DEP_4)
	v_lshlrev_b32_e32 v73, 2, v4
	v_lshlrev_b32_e32 v4, 1, v68
	v_add_co_ci_u32_e64 v75, null, s47, 0, s8
	v_or_b32_e32 v60, 0xd00, v1
	v_or_b32_e32 v61, 0xe00, v1
	v_add_co_u32 v76, s8, s40, v4
	s_delay_alu instid0(VALU_DEP_1) | instskip(SKIP_1) | instid1(VALU_DEP_1)
	v_add_co_ci_u32_e64 v77, null, s41, 0, s8
	v_add_co_u32 v82, s8, s38, v2
	v_add_co_ci_u32_e64 v83, null, s39, 0, s8
	v_add_co_u32 v84, s8, s44, v6
	s_delay_alu instid0(VALU_DEP_1) | instskip(SKIP_1) | instid1(VALU_DEP_1)
	v_add_co_ci_u32_e64 v85, null, s45, 0, s8
	v_add_co_u32 v86, s8, s38, v4
	v_add_co_ci_u32_e64 v87, null, s39, 0, s8
	v_add_co_u32 v88, s8, s36, v2
	v_or_b32_e32 v63, 0xf00, v1
	v_add_co_ci_u32_e64 v89, null, s37, 0, s8
	v_add_co_u32 v90, s8, s42, v6
	v_add_co_u32 v49, s2, s40, v2
	v_add_co_ci_u32_e64 v91, null, s43, 0, s8
	v_add_co_u32 v92, s8, s36, v4
	v_or_b32_e32 v45, 0x100, v1
	v_or_b32_e32 v46, 0x200, v1
	;; [unrolled: 1-line block ×3, first 2 shown]
	v_and_b32_e32 v48, 3, v1
	v_add_co_ci_u32_e64 v50, null, s41, 0, s2
	v_or_b32_e32 v51, 0x400, v1
	v_or_b32_e32 v52, 0x500, v1
	;; [unrolled: 1-line block ×4, first 2 shown]
	v_cmp_gt_u32_e64 s2, 0x100, v1
	v_or_b32_e32 v65, 0x8400, v62
	v_cmp_gt_u32_e64 s4, 8, v1
	v_add_nc_u32_e32 v66, 0x8400, v44
	v_cmp_lt_u32_e64 s5, 31, v1
	v_add_nc_u32_e32 v67, 0x83fc, v62
	v_cmp_eq_u32_e64 s6, 0, v1
	v_cmp_ne_u32_e64 s7, 0x100, v5
	v_sub_nc_u32_e32 v78, 0, v2
	v_add_nc_u32_e32 v79, 0x400, v2
	v_lshlrev_b32_e32 v80, 3, v1
	v_mul_u32_u24_e32 v81, 6, v1
	v_add_co_ci_u32_e64 v93, null, s37, 0, s8
	v_lshlrev_b32_e32 v95, 1, v1
	v_lshlrev_b32_e32 v96, 1, v55
	;; [unrolled: 1-line block ×9, first 2 shown]
	v_mbcnt_lo_u32_b32 v104, -1, 0
	s_add_u32 s42, s0, 0x60
	s_mov_b32 s35, 0
	s_addc_u32 s43, s1, 0
	s_mov_b32 s48, s49
	s_branch .LBB1954_12
.LBB1954_10:                            ;   in Loop: Header=BB1954_12 Depth=1
	s_waitcnt lgkmcnt(0)
	s_barrier
.LBB1954_11:                            ;   in Loop: Header=BB1954_12 Depth=1
	s_add_i32 s48, s48, 8
	buffer_gl0_inv
	s_cmp_ge_u32 s48, s50
	s_cbranch_scc1 .LBB1954_1190
.LBB1954_12:                            ; =>This Loop Header: Depth=1
                                        ;     Child Loop BB1954_16 Depth 2
                                        ;     Child Loop BB1954_98 Depth 2
	;; [unrolled: 1-line block ×8, first 2 shown]
	s_sub_i32 s0, s50, s48
	s_xor_b32 s51, s51, -1
	s_min_u32 s0, s0, 8
	ds_store_2addr_stride64_b32 v44, v3, v3 offset1:4
	s_lshl_b32 s0, -1, s0
	ds_store_2addr_stride64_b32 v44, v3, v3 offset0:8 offset1:12
	s_not_b32 s55, s0
	s_cmp_lg_u32 s48, s49
	s_mov_b32 s0, -1
	s_waitcnt lgkmcnt(0)
	s_waitcnt_vscnt null, 0x0
	s_cbranch_scc0 .LBB1954_602
; %bb.13:                               ;   in Loop: Header=BB1954_12 Depth=1
	s_and_b32 vcc_lo, exec_lo, s51
	s_cbranch_vccz .LBB1954_307
; %bb.14:                               ;   in Loop: Header=BB1954_12 Depth=1
	s_mov_b32 s8, s54
	s_mov_b32 s34, s52
	s_barrier
	buffer_gl0_inv
                                        ; implicit-def: $vgpr20
                                        ; implicit-def: $vgpr2
                                        ; implicit-def: $vgpr6
                                        ; implicit-def: $vgpr7
                                        ; implicit-def: $vgpr8
                                        ; implicit-def: $vgpr9
                                        ; implicit-def: $vgpr10
                                        ; implicit-def: $vgpr11
                                        ; implicit-def: $vgpr12
                                        ; implicit-def: $vgpr13
                                        ; implicit-def: $vgpr14
                                        ; implicit-def: $vgpr15
                                        ; implicit-def: $vgpr16
                                        ; implicit-def: $vgpr17
                                        ; implicit-def: $vgpr18
                                        ; implicit-def: $vgpr19
	s_branch .LBB1954_16
.LBB1954_15:                            ;   in Loop: Header=BB1954_16 Depth=2
	s_or_b32 exec_lo, exec_lo, s0
	s_addk_i32 s8, 0xf000
	s_cmp_ge_u32 s9, s53
	s_mov_b32 s34, s9
	s_cbranch_scc1 .LBB1954_86
.LBB1954_16:                            ;   Parent Loop BB1954_12 Depth=1
                                        ; =>  This Inner Loop Header: Depth=2
	s_add_i32 s9, s34, 0x1000
	s_delay_alu instid0(SALU_CYCLE_1)
	s_cmp_gt_u32 s9, s53
	s_cbranch_scc1 .LBB1954_19
; %bb.17:                               ;   in Loop: Header=BB1954_16 Depth=2
	s_mov_b32 s1, 0
	s_mov_b32 s0, s34
	s_delay_alu instid0(SALU_CYCLE_1) | instskip(NEXT) | instid1(SALU_CYCLE_1)
	s_lshl_b64 s[10:11], s[0:1], 1
	v_add_co_u32 v4, vcc_lo, v49, s10
	v_add_co_ci_u32_e32 v5, vcc_lo, s11, v50, vcc_lo
	s_movk_i32 s11, 0x1000
	s_waitcnt vmcnt(0)
	s_delay_alu instid0(VALU_DEP_2) | instskip(NEXT) | instid1(VALU_DEP_2)
	v_add_co_u32 v36, vcc_lo, 0x1000, v4
	v_add_co_ci_u32_e32 v37, vcc_lo, 0, v5, vcc_lo
	s_clause 0xe
	global_load_u16 v22, v[4:5], off
	global_load_u16 v23, v[4:5], off offset:512
	global_load_u16 v24, v[4:5], off offset:1024
	;; [unrolled: 1-line block ×7, first 2 shown]
	global_load_u16 v30, v[36:37], off
	global_load_u16 v31, v[36:37], off offset:512
	global_load_u16 v32, v[36:37], off offset:1024
	;; [unrolled: 1-line block ×6, first 2 shown]
	v_add_co_u32 v4, vcc_lo, 0x1e00, v4
	v_add_co_ci_u32_e32 v5, vcc_lo, 0, v5, vcc_lo
	s_mov_b32 s10, -1
	s_cbranch_execz .LBB1954_20
; %bb.18:                               ;   in Loop: Header=BB1954_16 Depth=2
                                        ; implicit-def: $vgpr19
                                        ; implicit-def: $vgpr18
                                        ; implicit-def: $vgpr17
                                        ; implicit-def: $vgpr16
                                        ; implicit-def: $vgpr15
                                        ; implicit-def: $vgpr14
                                        ; implicit-def: $vgpr13
                                        ; implicit-def: $vgpr12
                                        ; implicit-def: $vgpr11
                                        ; implicit-def: $vgpr10
                                        ; implicit-def: $vgpr9
                                        ; implicit-def: $vgpr8
                                        ; implicit-def: $vgpr7
                                        ; implicit-def: $vgpr6
                                        ; implicit-def: $vgpr2
                                        ; implicit-def: $vgpr20
	v_mov_b32_e32 v21, s8
	s_and_saveexec_b32 s0, s10
	s_cbranch_execnz .LBB1954_39
	s_branch .LBB1954_40
.LBB1954_19:                            ;   in Loop: Header=BB1954_16 Depth=2
	s_mov_b32 s10, 0
                                        ; implicit-def: $sgpr11
                                        ; implicit-def: $vgpr22
                                        ; implicit-def: $vgpr23
                                        ; implicit-def: $vgpr24
                                        ; implicit-def: $vgpr25
                                        ; implicit-def: $vgpr26
                                        ; implicit-def: $vgpr27
                                        ; implicit-def: $vgpr28
                                        ; implicit-def: $vgpr29
                                        ; implicit-def: $vgpr30
                                        ; implicit-def: $vgpr31
                                        ; implicit-def: $vgpr32
                                        ; implicit-def: $vgpr33
                                        ; implicit-def: $vgpr34
                                        ; implicit-def: $vgpr35
                                        ; implicit-def: $vgpr36
                                        ; implicit-def: $vgpr4_vgpr5
.LBB1954_20:                            ;   in Loop: Header=BB1954_16 Depth=2
	s_lshl_b64 s[0:1], s[34:35], 1
	s_mov_b32 s11, exec_lo
	s_add_u32 s0, s40, s0
	s_addc_u32 s1, s41, s1
	v_cmpx_gt_u32_e64 s8, v1
	s_cbranch_execz .LBB1954_72
; %bb.21:                               ;   in Loop: Header=BB1954_16 Depth=2
	global_load_u16 v19, v95, s[0:1]
	s_or_b32 exec_lo, exec_lo, s11
	s_delay_alu instid0(SALU_CYCLE_1)
	s_mov_b32 s11, exec_lo
	v_cmpx_gt_u32_e64 s8, v45
	s_cbranch_execnz .LBB1954_73
.LBB1954_22:                            ;   in Loop: Header=BB1954_16 Depth=2
	s_or_b32 exec_lo, exec_lo, s11
	s_delay_alu instid0(SALU_CYCLE_1)
	s_mov_b32 s11, exec_lo
	v_cmpx_gt_u32_e64 s8, v46
	s_cbranch_execz .LBB1954_74
.LBB1954_23:                            ;   in Loop: Header=BB1954_16 Depth=2
	global_load_u16 v17, v95, s[0:1] offset:1024
	s_or_b32 exec_lo, exec_lo, s11
	s_delay_alu instid0(SALU_CYCLE_1)
	s_mov_b32 s11, exec_lo
	v_cmpx_gt_u32_e64 s8, v47
	s_cbranch_execnz .LBB1954_75
.LBB1954_24:                            ;   in Loop: Header=BB1954_16 Depth=2
	s_or_b32 exec_lo, exec_lo, s11
	s_delay_alu instid0(SALU_CYCLE_1)
	s_mov_b32 s11, exec_lo
	v_cmpx_gt_u32_e64 s8, v51
	s_cbranch_execz .LBB1954_76
.LBB1954_25:                            ;   in Loop: Header=BB1954_16 Depth=2
	global_load_u16 v15, v95, s[0:1] offset:2048
	s_or_b32 exec_lo, exec_lo, s11
	s_delay_alu instid0(SALU_CYCLE_1)
	s_mov_b32 s11, exec_lo
	v_cmpx_gt_u32_e64 s8, v52
	s_cbranch_execnz .LBB1954_77
.LBB1954_26:                            ;   in Loop: Header=BB1954_16 Depth=2
	s_or_b32 exec_lo, exec_lo, s11
	s_delay_alu instid0(SALU_CYCLE_1)
	s_mov_b32 s11, exec_lo
	v_cmpx_gt_u32_e64 s8, v53
	s_cbranch_execz .LBB1954_78
.LBB1954_27:                            ;   in Loop: Header=BB1954_16 Depth=2
	global_load_u16 v13, v95, s[0:1] offset:3072
	s_or_b32 exec_lo, exec_lo, s11
	s_delay_alu instid0(SALU_CYCLE_1)
	s_mov_b32 s11, exec_lo
	v_cmpx_gt_u32_e64 s8, v54
	s_cbranch_execnz .LBB1954_79
.LBB1954_28:                            ;   in Loop: Header=BB1954_16 Depth=2
	s_or_b32 exec_lo, exec_lo, s11
	s_delay_alu instid0(SALU_CYCLE_1)
	s_mov_b32 s11, exec_lo
	v_cmpx_gt_u32_e64 s8, v55
	s_cbranch_execz .LBB1954_80
.LBB1954_29:                            ;   in Loop: Header=BB1954_16 Depth=2
	global_load_u16 v11, v96, s[0:1]
	s_or_b32 exec_lo, exec_lo, s11
	s_delay_alu instid0(SALU_CYCLE_1)
	s_mov_b32 s11, exec_lo
	v_cmpx_gt_u32_e64 s8, v56
	s_cbranch_execnz .LBB1954_81
.LBB1954_30:                            ;   in Loop: Header=BB1954_16 Depth=2
	s_or_b32 exec_lo, exec_lo, s11
	s_delay_alu instid0(SALU_CYCLE_1)
	s_mov_b32 s11, exec_lo
	v_cmpx_gt_u32_e64 s8, v57
	s_cbranch_execz .LBB1954_82
.LBB1954_31:                            ;   in Loop: Header=BB1954_16 Depth=2
	global_load_u16 v9, v98, s[0:1]
	s_or_b32 exec_lo, exec_lo, s11
	s_delay_alu instid0(SALU_CYCLE_1)
	s_mov_b32 s11, exec_lo
	v_cmpx_gt_u32_e64 s8, v58
	s_cbranch_execnz .LBB1954_83
.LBB1954_32:                            ;   in Loop: Header=BB1954_16 Depth=2
	s_or_b32 exec_lo, exec_lo, s11
	s_delay_alu instid0(SALU_CYCLE_1)
	s_mov_b32 s11, exec_lo
	v_cmpx_gt_u32_e64 s8, v59
	s_cbranch_execz .LBB1954_84
.LBB1954_33:                            ;   in Loop: Header=BB1954_16 Depth=2
	global_load_u16 v7, v100, s[0:1]
	s_or_b32 exec_lo, exec_lo, s11
	s_delay_alu instid0(SALU_CYCLE_1)
	s_mov_b32 s11, exec_lo
	v_cmpx_gt_u32_e64 s8, v60
	s_cbranch_execnz .LBB1954_85
.LBB1954_34:                            ;   in Loop: Header=BB1954_16 Depth=2
	s_or_b32 exec_lo, exec_lo, s11
	s_delay_alu instid0(SALU_CYCLE_1)
	s_mov_b32 s11, exec_lo
	v_cmpx_gt_u32_e64 s8, v61
	s_cbranch_execz .LBB1954_36
.LBB1954_35:                            ;   in Loop: Header=BB1954_16 Depth=2
	global_load_u16 v2, v102, s[0:1]
.LBB1954_36:                            ;   in Loop: Header=BB1954_16 Depth=2
	s_or_b32 exec_lo, exec_lo, s11
	s_delay_alu instid0(SALU_CYCLE_1)
	s_mov_b32 s12, exec_lo
                                        ; implicit-def: $sgpr11
                                        ; implicit-def: $vgpr4_vgpr5
	v_cmpx_gt_u32_e64 s8, v63
; %bb.37:                               ;   in Loop: Header=BB1954_16 Depth=2
	v_add_co_u32 v4, s0, s0, v103
	s_delay_alu instid0(VALU_DEP_1)
	v_add_co_ci_u32_e64 v5, null, s1, 0, s0
	s_sub_i32 s11, s53, s34
	s_or_b32 s10, s10, exec_lo
                                        ; implicit-def: $vgpr20
; %bb.38:                               ;   in Loop: Header=BB1954_16 Depth=2
	s_or_b32 exec_lo, exec_lo, s12
	s_waitcnt vmcnt(0)
	v_dual_mov_b32 v22, v19 :: v_dual_mov_b32 v23, v18
	v_dual_mov_b32 v24, v17 :: v_dual_mov_b32 v25, v16
	;; [unrolled: 1-line block ×8, first 2 shown]
	s_and_saveexec_b32 s0, s10
	s_cbranch_execz .LBB1954_40
.LBB1954_39:                            ;   in Loop: Header=BB1954_16 Depth=2
	global_load_u16 v20, v[4:5], off
	s_waitcnt vmcnt(1)
	v_dual_mov_b32 v21, s11 :: v_dual_mov_b32 v2, v36
	v_dual_mov_b32 v6, v35 :: v_dual_mov_b32 v7, v34
	;; [unrolled: 1-line block ×8, first 2 shown]
.LBB1954_40:                            ;   in Loop: Header=BB1954_16 Depth=2
	s_or_b32 exec_lo, exec_lo, s0
	s_delay_alu instid0(SALU_CYCLE_1)
	s_mov_b32 s0, exec_lo
	v_cmpx_lt_u32_e64 v1, v21
	s_cbranch_execz .LBB1954_56
; %bb.41:                               ;   in Loop: Header=BB1954_16 Depth=2
	v_cmp_gt_i16_e32 vcc_lo, 0, v19
	v_lshlrev_b32_e32 v5, 2, v48
	v_cndmask_b32_e64 v4, 0x7fff, 0, vcc_lo
	s_delay_alu instid0(VALU_DEP_1) | instskip(NEXT) | instid1(VALU_DEP_1)
	v_xor_b32_e32 v4, v4, v19
	v_cmp_ne_u16_e32 vcc_lo, 0x8000, v4
	v_cndmask_b32_e32 v4, 0x7fff, v4, vcc_lo
	s_delay_alu instid0(VALU_DEP_1) | instskip(NEXT) | instid1(VALU_DEP_1)
	v_and_b32_e32 v4, 0xffff, v4
	v_lshrrev_b32_e32 v4, s48, v4
	s_delay_alu instid0(VALU_DEP_1) | instskip(NEXT) | instid1(VALU_DEP_1)
	v_and_b32_e32 v4, s55, v4
	v_lshl_or_b32 v4, v4, 4, v5
	ds_add_u32 v4, v94
	s_or_b32 exec_lo, exec_lo, s0
	s_delay_alu instid0(SALU_CYCLE_1)
	s_mov_b32 s0, exec_lo
	v_cmpx_lt_u32_e64 v45, v21
	s_cbranch_execnz .LBB1954_57
.LBB1954_42:                            ;   in Loop: Header=BB1954_16 Depth=2
	s_or_b32 exec_lo, exec_lo, s0
	s_delay_alu instid0(SALU_CYCLE_1)
	s_mov_b32 s0, exec_lo
	v_cmpx_lt_u32_e64 v46, v21
	s_cbranch_execz .LBB1954_58
.LBB1954_43:                            ;   in Loop: Header=BB1954_16 Depth=2
	v_cmp_gt_i16_e32 vcc_lo, 0, v17
	v_lshlrev_b32_e32 v5, 2, v48
	v_cndmask_b32_e64 v4, 0x7fff, 0, vcc_lo
	s_delay_alu instid0(VALU_DEP_1) | instskip(NEXT) | instid1(VALU_DEP_1)
	v_xor_b32_e32 v4, v4, v17
	v_cmp_ne_u16_e32 vcc_lo, 0x8000, v4
	v_cndmask_b32_e32 v4, 0x7fff, v4, vcc_lo
	s_delay_alu instid0(VALU_DEP_1) | instskip(NEXT) | instid1(VALU_DEP_1)
	v_and_b32_e32 v4, 0xffff, v4
	v_lshrrev_b32_e32 v4, s48, v4
	s_delay_alu instid0(VALU_DEP_1) | instskip(NEXT) | instid1(VALU_DEP_1)
	v_and_b32_e32 v4, s55, v4
	v_lshl_or_b32 v4, v4, 4, v5
	ds_add_u32 v4, v94
	s_or_b32 exec_lo, exec_lo, s0
	s_delay_alu instid0(SALU_CYCLE_1)
	s_mov_b32 s0, exec_lo
	v_cmpx_lt_u32_e64 v47, v21
	s_cbranch_execnz .LBB1954_59
.LBB1954_44:                            ;   in Loop: Header=BB1954_16 Depth=2
	s_or_b32 exec_lo, exec_lo, s0
	s_delay_alu instid0(SALU_CYCLE_1)
	s_mov_b32 s0, exec_lo
	v_cmpx_lt_u32_e64 v51, v21
	s_cbranch_execz .LBB1954_60
.LBB1954_45:                            ;   in Loop: Header=BB1954_16 Depth=2
	v_cmp_gt_i16_e32 vcc_lo, 0, v15
	v_lshlrev_b32_e32 v5, 2, v48
	v_cndmask_b32_e64 v4, 0x7fff, 0, vcc_lo
	s_delay_alu instid0(VALU_DEP_1) | instskip(NEXT) | instid1(VALU_DEP_1)
	v_xor_b32_e32 v4, v4, v15
	v_cmp_ne_u16_e32 vcc_lo, 0x8000, v4
	v_cndmask_b32_e32 v4, 0x7fff, v4, vcc_lo
	s_delay_alu instid0(VALU_DEP_1) | instskip(NEXT) | instid1(VALU_DEP_1)
	v_and_b32_e32 v4, 0xffff, v4
	v_lshrrev_b32_e32 v4, s48, v4
	s_delay_alu instid0(VALU_DEP_1) | instskip(NEXT) | instid1(VALU_DEP_1)
	v_and_b32_e32 v4, s55, v4
	v_lshl_or_b32 v4, v4, 4, v5
	ds_add_u32 v4, v94
	s_or_b32 exec_lo, exec_lo, s0
	s_delay_alu instid0(SALU_CYCLE_1)
	s_mov_b32 s0, exec_lo
	v_cmpx_lt_u32_e64 v52, v21
	s_cbranch_execnz .LBB1954_61
.LBB1954_46:                            ;   in Loop: Header=BB1954_16 Depth=2
	s_or_b32 exec_lo, exec_lo, s0
	s_delay_alu instid0(SALU_CYCLE_1)
	s_mov_b32 s0, exec_lo
	v_cmpx_lt_u32_e64 v53, v21
	s_cbranch_execz .LBB1954_62
.LBB1954_47:                            ;   in Loop: Header=BB1954_16 Depth=2
	v_cmp_gt_i16_e32 vcc_lo, 0, v13
	v_lshlrev_b32_e32 v5, 2, v48
	v_cndmask_b32_e64 v4, 0x7fff, 0, vcc_lo
	s_delay_alu instid0(VALU_DEP_1) | instskip(NEXT) | instid1(VALU_DEP_1)
	v_xor_b32_e32 v4, v4, v13
	v_cmp_ne_u16_e32 vcc_lo, 0x8000, v4
	v_cndmask_b32_e32 v4, 0x7fff, v4, vcc_lo
	s_delay_alu instid0(VALU_DEP_1) | instskip(NEXT) | instid1(VALU_DEP_1)
	v_and_b32_e32 v4, 0xffff, v4
	v_lshrrev_b32_e32 v4, s48, v4
	s_delay_alu instid0(VALU_DEP_1) | instskip(NEXT) | instid1(VALU_DEP_1)
	v_and_b32_e32 v4, s55, v4
	v_lshl_or_b32 v4, v4, 4, v5
	ds_add_u32 v4, v94
	s_or_b32 exec_lo, exec_lo, s0
	s_delay_alu instid0(SALU_CYCLE_1)
	s_mov_b32 s0, exec_lo
	v_cmpx_lt_u32_e64 v54, v21
	s_cbranch_execnz .LBB1954_63
.LBB1954_48:                            ;   in Loop: Header=BB1954_16 Depth=2
	s_or_b32 exec_lo, exec_lo, s0
	s_delay_alu instid0(SALU_CYCLE_1)
	s_mov_b32 s0, exec_lo
	v_cmpx_lt_u32_e64 v55, v21
	s_cbranch_execz .LBB1954_64
.LBB1954_49:                            ;   in Loop: Header=BB1954_16 Depth=2
	v_cmp_gt_i16_e32 vcc_lo, 0, v11
	v_lshlrev_b32_e32 v5, 2, v48
	v_cndmask_b32_e64 v4, 0x7fff, 0, vcc_lo
	s_delay_alu instid0(VALU_DEP_1) | instskip(NEXT) | instid1(VALU_DEP_1)
	v_xor_b32_e32 v4, v4, v11
	v_cmp_ne_u16_e32 vcc_lo, 0x8000, v4
	v_cndmask_b32_e32 v4, 0x7fff, v4, vcc_lo
	s_delay_alu instid0(VALU_DEP_1) | instskip(NEXT) | instid1(VALU_DEP_1)
	v_and_b32_e32 v4, 0xffff, v4
	v_lshrrev_b32_e32 v4, s48, v4
	s_delay_alu instid0(VALU_DEP_1) | instskip(NEXT) | instid1(VALU_DEP_1)
	v_and_b32_e32 v4, s55, v4
	v_lshl_or_b32 v4, v4, 4, v5
	ds_add_u32 v4, v94
	s_or_b32 exec_lo, exec_lo, s0
	s_delay_alu instid0(SALU_CYCLE_1)
	s_mov_b32 s0, exec_lo
	v_cmpx_lt_u32_e64 v56, v21
	s_cbranch_execnz .LBB1954_65
.LBB1954_50:                            ;   in Loop: Header=BB1954_16 Depth=2
	s_or_b32 exec_lo, exec_lo, s0
	s_delay_alu instid0(SALU_CYCLE_1)
	s_mov_b32 s0, exec_lo
	v_cmpx_lt_u32_e64 v57, v21
	s_cbranch_execz .LBB1954_66
.LBB1954_51:                            ;   in Loop: Header=BB1954_16 Depth=2
	v_cmp_gt_i16_e32 vcc_lo, 0, v9
	v_lshlrev_b32_e32 v5, 2, v48
	v_cndmask_b32_e64 v4, 0x7fff, 0, vcc_lo
	s_delay_alu instid0(VALU_DEP_1) | instskip(NEXT) | instid1(VALU_DEP_1)
	v_xor_b32_e32 v4, v4, v9
	v_cmp_ne_u16_e32 vcc_lo, 0x8000, v4
	v_cndmask_b32_e32 v4, 0x7fff, v4, vcc_lo
	s_delay_alu instid0(VALU_DEP_1) | instskip(NEXT) | instid1(VALU_DEP_1)
	v_and_b32_e32 v4, 0xffff, v4
	v_lshrrev_b32_e32 v4, s48, v4
	s_delay_alu instid0(VALU_DEP_1) | instskip(NEXT) | instid1(VALU_DEP_1)
	v_and_b32_e32 v4, s55, v4
	v_lshl_or_b32 v4, v4, 4, v5
	ds_add_u32 v4, v94
	s_or_b32 exec_lo, exec_lo, s0
	s_delay_alu instid0(SALU_CYCLE_1)
	s_mov_b32 s0, exec_lo
	v_cmpx_lt_u32_e64 v58, v21
	s_cbranch_execnz .LBB1954_67
.LBB1954_52:                            ;   in Loop: Header=BB1954_16 Depth=2
	s_or_b32 exec_lo, exec_lo, s0
	s_delay_alu instid0(SALU_CYCLE_1)
	s_mov_b32 s0, exec_lo
	v_cmpx_lt_u32_e64 v59, v21
	s_cbranch_execz .LBB1954_68
.LBB1954_53:                            ;   in Loop: Header=BB1954_16 Depth=2
	v_cmp_gt_i16_e32 vcc_lo, 0, v7
	v_lshlrev_b32_e32 v5, 2, v48
	v_cndmask_b32_e64 v4, 0x7fff, 0, vcc_lo
	s_delay_alu instid0(VALU_DEP_1) | instskip(NEXT) | instid1(VALU_DEP_1)
	v_xor_b32_e32 v4, v4, v7
	v_cmp_ne_u16_e32 vcc_lo, 0x8000, v4
	v_cndmask_b32_e32 v4, 0x7fff, v4, vcc_lo
	s_delay_alu instid0(VALU_DEP_1) | instskip(NEXT) | instid1(VALU_DEP_1)
	v_and_b32_e32 v4, 0xffff, v4
	v_lshrrev_b32_e32 v4, s48, v4
	s_delay_alu instid0(VALU_DEP_1) | instskip(NEXT) | instid1(VALU_DEP_1)
	v_and_b32_e32 v4, s55, v4
	v_lshl_or_b32 v4, v4, 4, v5
	ds_add_u32 v4, v94
	s_or_b32 exec_lo, exec_lo, s0
	s_delay_alu instid0(SALU_CYCLE_1)
	s_mov_b32 s0, exec_lo
	v_cmpx_lt_u32_e64 v60, v21
	s_cbranch_execnz .LBB1954_69
.LBB1954_54:                            ;   in Loop: Header=BB1954_16 Depth=2
	s_or_b32 exec_lo, exec_lo, s0
	s_delay_alu instid0(SALU_CYCLE_1)
	s_mov_b32 s0, exec_lo
	v_cmpx_lt_u32_e64 v61, v21
	s_cbranch_execz .LBB1954_70
.LBB1954_55:                            ;   in Loop: Header=BB1954_16 Depth=2
	v_cmp_gt_i16_e32 vcc_lo, 0, v2
	v_lshlrev_b32_e32 v5, 2, v48
	v_cndmask_b32_e64 v4, 0x7fff, 0, vcc_lo
	s_delay_alu instid0(VALU_DEP_1) | instskip(NEXT) | instid1(VALU_DEP_1)
	v_xor_b32_e32 v4, v4, v2
	v_cmp_ne_u16_e32 vcc_lo, 0x8000, v4
	v_cndmask_b32_e32 v4, 0x7fff, v4, vcc_lo
	s_delay_alu instid0(VALU_DEP_1) | instskip(NEXT) | instid1(VALU_DEP_1)
	v_and_b32_e32 v4, 0xffff, v4
	v_lshrrev_b32_e32 v4, s48, v4
	s_delay_alu instid0(VALU_DEP_1) | instskip(NEXT) | instid1(VALU_DEP_1)
	v_and_b32_e32 v4, s55, v4
	v_lshl_or_b32 v4, v4, 4, v5
	ds_add_u32 v4, v94
	s_or_b32 exec_lo, exec_lo, s0
	s_delay_alu instid0(SALU_CYCLE_1)
	s_mov_b32 s0, exec_lo
	v_cmpx_lt_u32_e64 v63, v21
	s_cbranch_execz .LBB1954_15
	s_branch .LBB1954_71
.LBB1954_56:                            ;   in Loop: Header=BB1954_16 Depth=2
	s_or_b32 exec_lo, exec_lo, s0
	s_delay_alu instid0(SALU_CYCLE_1)
	s_mov_b32 s0, exec_lo
	v_cmpx_lt_u32_e64 v45, v21
	s_cbranch_execz .LBB1954_42
.LBB1954_57:                            ;   in Loop: Header=BB1954_16 Depth=2
	v_cmp_gt_i16_e32 vcc_lo, 0, v18
	v_lshlrev_b32_e32 v5, 2, v48
	v_cndmask_b32_e64 v4, 0x7fff, 0, vcc_lo
	s_delay_alu instid0(VALU_DEP_1) | instskip(NEXT) | instid1(VALU_DEP_1)
	v_xor_b32_e32 v4, v4, v18
	v_cmp_ne_u16_e32 vcc_lo, 0x8000, v4
	v_cndmask_b32_e32 v4, 0x7fff, v4, vcc_lo
	s_delay_alu instid0(VALU_DEP_1) | instskip(NEXT) | instid1(VALU_DEP_1)
	v_and_b32_e32 v4, 0xffff, v4
	v_lshrrev_b32_e32 v4, s48, v4
	s_delay_alu instid0(VALU_DEP_1) | instskip(NEXT) | instid1(VALU_DEP_1)
	v_and_b32_e32 v4, s55, v4
	v_lshl_or_b32 v4, v4, 4, v5
	ds_add_u32 v4, v94
	s_or_b32 exec_lo, exec_lo, s0
	s_delay_alu instid0(SALU_CYCLE_1)
	s_mov_b32 s0, exec_lo
	v_cmpx_lt_u32_e64 v46, v21
	s_cbranch_execnz .LBB1954_43
.LBB1954_58:                            ;   in Loop: Header=BB1954_16 Depth=2
	s_or_b32 exec_lo, exec_lo, s0
	s_delay_alu instid0(SALU_CYCLE_1)
	s_mov_b32 s0, exec_lo
	v_cmpx_lt_u32_e64 v47, v21
	s_cbranch_execz .LBB1954_44
.LBB1954_59:                            ;   in Loop: Header=BB1954_16 Depth=2
	v_cmp_gt_i16_e32 vcc_lo, 0, v16
	v_lshlrev_b32_e32 v5, 2, v48
	v_cndmask_b32_e64 v4, 0x7fff, 0, vcc_lo
	s_delay_alu instid0(VALU_DEP_1) | instskip(NEXT) | instid1(VALU_DEP_1)
	v_xor_b32_e32 v4, v4, v16
	v_cmp_ne_u16_e32 vcc_lo, 0x8000, v4
	v_cndmask_b32_e32 v4, 0x7fff, v4, vcc_lo
	s_delay_alu instid0(VALU_DEP_1) | instskip(NEXT) | instid1(VALU_DEP_1)
	v_and_b32_e32 v4, 0xffff, v4
	v_lshrrev_b32_e32 v4, s48, v4
	s_delay_alu instid0(VALU_DEP_1) | instskip(NEXT) | instid1(VALU_DEP_1)
	v_and_b32_e32 v4, s55, v4
	v_lshl_or_b32 v4, v4, 4, v5
	ds_add_u32 v4, v94
	s_or_b32 exec_lo, exec_lo, s0
	s_delay_alu instid0(SALU_CYCLE_1)
	s_mov_b32 s0, exec_lo
	v_cmpx_lt_u32_e64 v51, v21
	s_cbranch_execnz .LBB1954_45
.LBB1954_60:                            ;   in Loop: Header=BB1954_16 Depth=2
	s_or_b32 exec_lo, exec_lo, s0
	s_delay_alu instid0(SALU_CYCLE_1)
	s_mov_b32 s0, exec_lo
	v_cmpx_lt_u32_e64 v52, v21
	s_cbranch_execz .LBB1954_46
.LBB1954_61:                            ;   in Loop: Header=BB1954_16 Depth=2
	v_cmp_gt_i16_e32 vcc_lo, 0, v14
	v_lshlrev_b32_e32 v5, 2, v48
	v_cndmask_b32_e64 v4, 0x7fff, 0, vcc_lo
	s_delay_alu instid0(VALU_DEP_1) | instskip(NEXT) | instid1(VALU_DEP_1)
	v_xor_b32_e32 v4, v4, v14
	v_cmp_ne_u16_e32 vcc_lo, 0x8000, v4
	v_cndmask_b32_e32 v4, 0x7fff, v4, vcc_lo
	s_delay_alu instid0(VALU_DEP_1) | instskip(NEXT) | instid1(VALU_DEP_1)
	v_and_b32_e32 v4, 0xffff, v4
	v_lshrrev_b32_e32 v4, s48, v4
	s_delay_alu instid0(VALU_DEP_1) | instskip(NEXT) | instid1(VALU_DEP_1)
	v_and_b32_e32 v4, s55, v4
	v_lshl_or_b32 v4, v4, 4, v5
	ds_add_u32 v4, v94
	s_or_b32 exec_lo, exec_lo, s0
	s_delay_alu instid0(SALU_CYCLE_1)
	s_mov_b32 s0, exec_lo
	v_cmpx_lt_u32_e64 v53, v21
	s_cbranch_execnz .LBB1954_47
.LBB1954_62:                            ;   in Loop: Header=BB1954_16 Depth=2
	s_or_b32 exec_lo, exec_lo, s0
	s_delay_alu instid0(SALU_CYCLE_1)
	s_mov_b32 s0, exec_lo
	v_cmpx_lt_u32_e64 v54, v21
	s_cbranch_execz .LBB1954_48
.LBB1954_63:                            ;   in Loop: Header=BB1954_16 Depth=2
	v_cmp_gt_i16_e32 vcc_lo, 0, v12
	v_lshlrev_b32_e32 v5, 2, v48
	v_cndmask_b32_e64 v4, 0x7fff, 0, vcc_lo
	s_delay_alu instid0(VALU_DEP_1) | instskip(NEXT) | instid1(VALU_DEP_1)
	v_xor_b32_e32 v4, v4, v12
	v_cmp_ne_u16_e32 vcc_lo, 0x8000, v4
	v_cndmask_b32_e32 v4, 0x7fff, v4, vcc_lo
	s_delay_alu instid0(VALU_DEP_1) | instskip(NEXT) | instid1(VALU_DEP_1)
	v_and_b32_e32 v4, 0xffff, v4
	v_lshrrev_b32_e32 v4, s48, v4
	s_delay_alu instid0(VALU_DEP_1) | instskip(NEXT) | instid1(VALU_DEP_1)
	v_and_b32_e32 v4, s55, v4
	v_lshl_or_b32 v4, v4, 4, v5
	ds_add_u32 v4, v94
	s_or_b32 exec_lo, exec_lo, s0
	s_delay_alu instid0(SALU_CYCLE_1)
	s_mov_b32 s0, exec_lo
	v_cmpx_lt_u32_e64 v55, v21
	s_cbranch_execnz .LBB1954_49
.LBB1954_64:                            ;   in Loop: Header=BB1954_16 Depth=2
	s_or_b32 exec_lo, exec_lo, s0
	s_delay_alu instid0(SALU_CYCLE_1)
	s_mov_b32 s0, exec_lo
	v_cmpx_lt_u32_e64 v56, v21
	s_cbranch_execz .LBB1954_50
.LBB1954_65:                            ;   in Loop: Header=BB1954_16 Depth=2
	v_cmp_gt_i16_e32 vcc_lo, 0, v10
	v_lshlrev_b32_e32 v5, 2, v48
	v_cndmask_b32_e64 v4, 0x7fff, 0, vcc_lo
	s_delay_alu instid0(VALU_DEP_1) | instskip(NEXT) | instid1(VALU_DEP_1)
	v_xor_b32_e32 v4, v4, v10
	v_cmp_ne_u16_e32 vcc_lo, 0x8000, v4
	v_cndmask_b32_e32 v4, 0x7fff, v4, vcc_lo
	s_delay_alu instid0(VALU_DEP_1) | instskip(NEXT) | instid1(VALU_DEP_1)
	v_and_b32_e32 v4, 0xffff, v4
	v_lshrrev_b32_e32 v4, s48, v4
	s_delay_alu instid0(VALU_DEP_1) | instskip(NEXT) | instid1(VALU_DEP_1)
	v_and_b32_e32 v4, s55, v4
	v_lshl_or_b32 v4, v4, 4, v5
	ds_add_u32 v4, v94
	s_or_b32 exec_lo, exec_lo, s0
	s_delay_alu instid0(SALU_CYCLE_1)
	s_mov_b32 s0, exec_lo
	v_cmpx_lt_u32_e64 v57, v21
	s_cbranch_execnz .LBB1954_51
.LBB1954_66:                            ;   in Loop: Header=BB1954_16 Depth=2
	s_or_b32 exec_lo, exec_lo, s0
	s_delay_alu instid0(SALU_CYCLE_1)
	s_mov_b32 s0, exec_lo
	v_cmpx_lt_u32_e64 v58, v21
	s_cbranch_execz .LBB1954_52
.LBB1954_67:                            ;   in Loop: Header=BB1954_16 Depth=2
	v_cmp_gt_i16_e32 vcc_lo, 0, v8
	v_lshlrev_b32_e32 v5, 2, v48
	v_cndmask_b32_e64 v4, 0x7fff, 0, vcc_lo
	s_delay_alu instid0(VALU_DEP_1) | instskip(NEXT) | instid1(VALU_DEP_1)
	v_xor_b32_e32 v4, v4, v8
	v_cmp_ne_u16_e32 vcc_lo, 0x8000, v4
	v_cndmask_b32_e32 v4, 0x7fff, v4, vcc_lo
	s_delay_alu instid0(VALU_DEP_1) | instskip(NEXT) | instid1(VALU_DEP_1)
	v_and_b32_e32 v4, 0xffff, v4
	v_lshrrev_b32_e32 v4, s48, v4
	s_delay_alu instid0(VALU_DEP_1) | instskip(NEXT) | instid1(VALU_DEP_1)
	v_and_b32_e32 v4, s55, v4
	v_lshl_or_b32 v4, v4, 4, v5
	ds_add_u32 v4, v94
	s_or_b32 exec_lo, exec_lo, s0
	s_delay_alu instid0(SALU_CYCLE_1)
	s_mov_b32 s0, exec_lo
	v_cmpx_lt_u32_e64 v59, v21
	s_cbranch_execnz .LBB1954_53
.LBB1954_68:                            ;   in Loop: Header=BB1954_16 Depth=2
	s_or_b32 exec_lo, exec_lo, s0
	s_delay_alu instid0(SALU_CYCLE_1)
	s_mov_b32 s0, exec_lo
	v_cmpx_lt_u32_e64 v60, v21
	s_cbranch_execz .LBB1954_54
.LBB1954_69:                            ;   in Loop: Header=BB1954_16 Depth=2
	v_cmp_gt_i16_e32 vcc_lo, 0, v6
	v_lshlrev_b32_e32 v5, 2, v48
	v_cndmask_b32_e64 v4, 0x7fff, 0, vcc_lo
	s_delay_alu instid0(VALU_DEP_1) | instskip(NEXT) | instid1(VALU_DEP_1)
	v_xor_b32_e32 v4, v4, v6
	v_cmp_ne_u16_e32 vcc_lo, 0x8000, v4
	v_cndmask_b32_e32 v4, 0x7fff, v4, vcc_lo
	s_delay_alu instid0(VALU_DEP_1) | instskip(NEXT) | instid1(VALU_DEP_1)
	v_and_b32_e32 v4, 0xffff, v4
	v_lshrrev_b32_e32 v4, s48, v4
	s_delay_alu instid0(VALU_DEP_1) | instskip(NEXT) | instid1(VALU_DEP_1)
	v_and_b32_e32 v4, s55, v4
	v_lshl_or_b32 v4, v4, 4, v5
	ds_add_u32 v4, v94
	s_or_b32 exec_lo, exec_lo, s0
	s_delay_alu instid0(SALU_CYCLE_1)
	s_mov_b32 s0, exec_lo
	v_cmpx_lt_u32_e64 v61, v21
	s_cbranch_execnz .LBB1954_55
.LBB1954_70:                            ;   in Loop: Header=BB1954_16 Depth=2
	s_or_b32 exec_lo, exec_lo, s0
	s_delay_alu instid0(SALU_CYCLE_1)
	s_mov_b32 s0, exec_lo
	v_cmpx_lt_u32_e64 v63, v21
	s_cbranch_execz .LBB1954_15
.LBB1954_71:                            ;   in Loop: Header=BB1954_16 Depth=2
	s_waitcnt vmcnt(0)
	v_cmp_gt_i16_e32 vcc_lo, 0, v20
	v_lshlrev_b32_e32 v5, 2, v48
	v_cndmask_b32_e64 v4, 0x7fff, 0, vcc_lo
	s_delay_alu instid0(VALU_DEP_1) | instskip(NEXT) | instid1(VALU_DEP_1)
	v_xor_b32_e32 v4, v4, v20
	v_cmp_ne_u16_e32 vcc_lo, 0x8000, v4
	v_cndmask_b32_e32 v4, 0x7fff, v4, vcc_lo
	s_delay_alu instid0(VALU_DEP_1) | instskip(NEXT) | instid1(VALU_DEP_1)
	v_and_b32_e32 v4, 0xffff, v4
	v_lshrrev_b32_e32 v4, s48, v4
	s_delay_alu instid0(VALU_DEP_1) | instskip(NEXT) | instid1(VALU_DEP_1)
	v_and_b32_e32 v4, s55, v4
	v_lshl_or_b32 v4, v4, 4, v5
	ds_add_u32 v4, v94
	s_branch .LBB1954_15
.LBB1954_72:                            ;   in Loop: Header=BB1954_16 Depth=2
	s_or_b32 exec_lo, exec_lo, s11
	s_delay_alu instid0(SALU_CYCLE_1)
	s_mov_b32 s11, exec_lo
	v_cmpx_gt_u32_e64 s8, v45
	s_cbranch_execz .LBB1954_22
.LBB1954_73:                            ;   in Loop: Header=BB1954_16 Depth=2
	global_load_u16 v18, v95, s[0:1] offset:512
	s_or_b32 exec_lo, exec_lo, s11
	s_delay_alu instid0(SALU_CYCLE_1)
	s_mov_b32 s11, exec_lo
	v_cmpx_gt_u32_e64 s8, v46
	s_cbranch_execnz .LBB1954_23
.LBB1954_74:                            ;   in Loop: Header=BB1954_16 Depth=2
	s_or_b32 exec_lo, exec_lo, s11
	s_delay_alu instid0(SALU_CYCLE_1)
	s_mov_b32 s11, exec_lo
	v_cmpx_gt_u32_e64 s8, v47
	s_cbranch_execz .LBB1954_24
.LBB1954_75:                            ;   in Loop: Header=BB1954_16 Depth=2
	global_load_u16 v16, v95, s[0:1] offset:1536
	s_or_b32 exec_lo, exec_lo, s11
	s_delay_alu instid0(SALU_CYCLE_1)
	s_mov_b32 s11, exec_lo
	v_cmpx_gt_u32_e64 s8, v51
	s_cbranch_execnz .LBB1954_25
.LBB1954_76:                            ;   in Loop: Header=BB1954_16 Depth=2
	s_or_b32 exec_lo, exec_lo, s11
	s_delay_alu instid0(SALU_CYCLE_1)
	s_mov_b32 s11, exec_lo
	v_cmpx_gt_u32_e64 s8, v52
	s_cbranch_execz .LBB1954_26
.LBB1954_77:                            ;   in Loop: Header=BB1954_16 Depth=2
	global_load_u16 v14, v95, s[0:1] offset:2560
	s_or_b32 exec_lo, exec_lo, s11
	s_delay_alu instid0(SALU_CYCLE_1)
	s_mov_b32 s11, exec_lo
	v_cmpx_gt_u32_e64 s8, v53
	s_cbranch_execnz .LBB1954_27
.LBB1954_78:                            ;   in Loop: Header=BB1954_16 Depth=2
	s_or_b32 exec_lo, exec_lo, s11
	s_delay_alu instid0(SALU_CYCLE_1)
	s_mov_b32 s11, exec_lo
	v_cmpx_gt_u32_e64 s8, v54
	s_cbranch_execz .LBB1954_28
.LBB1954_79:                            ;   in Loop: Header=BB1954_16 Depth=2
	global_load_u16 v12, v95, s[0:1] offset:3584
	s_or_b32 exec_lo, exec_lo, s11
	s_delay_alu instid0(SALU_CYCLE_1)
	s_mov_b32 s11, exec_lo
	v_cmpx_gt_u32_e64 s8, v55
	s_cbranch_execnz .LBB1954_29
.LBB1954_80:                            ;   in Loop: Header=BB1954_16 Depth=2
	s_or_b32 exec_lo, exec_lo, s11
	s_delay_alu instid0(SALU_CYCLE_1)
	s_mov_b32 s11, exec_lo
	v_cmpx_gt_u32_e64 s8, v56
	s_cbranch_execz .LBB1954_30
.LBB1954_81:                            ;   in Loop: Header=BB1954_16 Depth=2
	global_load_u16 v10, v97, s[0:1]
	s_or_b32 exec_lo, exec_lo, s11
	s_delay_alu instid0(SALU_CYCLE_1)
	s_mov_b32 s11, exec_lo
	v_cmpx_gt_u32_e64 s8, v57
	s_cbranch_execnz .LBB1954_31
.LBB1954_82:                            ;   in Loop: Header=BB1954_16 Depth=2
	s_or_b32 exec_lo, exec_lo, s11
	s_delay_alu instid0(SALU_CYCLE_1)
	s_mov_b32 s11, exec_lo
	v_cmpx_gt_u32_e64 s8, v58
	s_cbranch_execz .LBB1954_32
.LBB1954_83:                            ;   in Loop: Header=BB1954_16 Depth=2
	global_load_u16 v8, v99, s[0:1]
	s_or_b32 exec_lo, exec_lo, s11
	s_delay_alu instid0(SALU_CYCLE_1)
	s_mov_b32 s11, exec_lo
	v_cmpx_gt_u32_e64 s8, v59
	s_cbranch_execnz .LBB1954_33
.LBB1954_84:                            ;   in Loop: Header=BB1954_16 Depth=2
	s_or_b32 exec_lo, exec_lo, s11
	s_delay_alu instid0(SALU_CYCLE_1)
	s_mov_b32 s11, exec_lo
	v_cmpx_gt_u32_e64 s8, v60
	s_cbranch_execz .LBB1954_34
.LBB1954_85:                            ;   in Loop: Header=BB1954_16 Depth=2
	global_load_u16 v6, v101, s[0:1]
	s_or_b32 exec_lo, exec_lo, s11
	s_delay_alu instid0(SALU_CYCLE_1)
	s_mov_b32 s11, exec_lo
	v_cmpx_gt_u32_e64 s8, v61
	s_cbranch_execz .LBB1954_36
	s_branch .LBB1954_35
.LBB1954_86:                            ;   in Loop: Header=BB1954_12 Depth=1
	v_mov_b32_e32 v2, 0
	s_waitcnt vmcnt(0) lgkmcnt(0)
	s_barrier
	buffer_gl0_inv
	s_and_saveexec_b32 s0, s2
	s_cbranch_execz .LBB1954_88
; %bb.87:                               ;   in Loop: Header=BB1954_12 Depth=1
	ds_load_2addr_b64 v[4:7], v64 offset1:1
	s_waitcnt lgkmcnt(0)
	v_add_nc_u32_e32 v2, v5, v4
	s_delay_alu instid0(VALU_DEP_1)
	v_add3_u32 v2, v2, v6, v7
.LBB1954_88:                            ;   in Loop: Header=BB1954_12 Depth=1
	s_or_b32 exec_lo, exec_lo, s0
	v_and_b32_e32 v4, 15, v104
	s_delay_alu instid0(VALU_DEP_2) | instskip(SKIP_1) | instid1(VALU_DEP_3)
	v_mov_b32_dpp v5, v2 row_shr:1 row_mask:0xf bank_mask:0xf
	v_and_b32_e32 v6, 16, v104
	v_cmp_eq_u32_e64 s0, 0, v4
	v_cmp_lt_u32_e64 s1, 1, v4
	v_cmp_lt_u32_e64 s8, 3, v4
	;; [unrolled: 1-line block ×3, first 2 shown]
	v_cmp_eq_u32_e64 s10, 0, v6
	v_cndmask_b32_e64 v5, v5, 0, s0
	s_delay_alu instid0(VALU_DEP_1) | instskip(NEXT) | instid1(VALU_DEP_1)
	v_add_nc_u32_e32 v2, v5, v2
	v_mov_b32_dpp v5, v2 row_shr:2 row_mask:0xf bank_mask:0xf
	s_delay_alu instid0(VALU_DEP_1) | instskip(NEXT) | instid1(VALU_DEP_1)
	v_cndmask_b32_e64 v5, 0, v5, s1
	v_add_nc_u32_e32 v2, v2, v5
	s_delay_alu instid0(VALU_DEP_1) | instskip(NEXT) | instid1(VALU_DEP_1)
	v_mov_b32_dpp v5, v2 row_shr:4 row_mask:0xf bank_mask:0xf
	v_cndmask_b32_e64 v5, 0, v5, s8
	s_delay_alu instid0(VALU_DEP_1) | instskip(NEXT) | instid1(VALU_DEP_1)
	v_add_nc_u32_e32 v2, v2, v5
	v_mov_b32_dpp v5, v2 row_shr:8 row_mask:0xf bank_mask:0xf
	s_delay_alu instid0(VALU_DEP_1) | instskip(SKIP_1) | instid1(VALU_DEP_2)
	v_cndmask_b32_e64 v4, 0, v5, s9
	v_bfe_i32 v5, v104, 4, 1
	v_add_nc_u32_e32 v2, v2, v4
	ds_swizzle_b32 v4, v2 offset:swizzle(BROADCAST,32,15)
	s_waitcnt lgkmcnt(0)
	v_and_b32_e32 v4, v5, v4
	s_delay_alu instid0(VALU_DEP_1)
	v_add_nc_u32_e32 v4, v2, v4
	s_and_saveexec_b32 s11, s3
	s_cbranch_execz .LBB1954_90
; %bb.89:                               ;   in Loop: Header=BB1954_12 Depth=1
	ds_store_b32 v65, v4
.LBB1954_90:                            ;   in Loop: Header=BB1954_12 Depth=1
	s_or_b32 exec_lo, exec_lo, s11
	v_and_b32_e32 v2, 7, v104
	s_waitcnt lgkmcnt(0)
	s_barrier
	buffer_gl0_inv
	s_and_saveexec_b32 s11, s4
	s_cbranch_execz .LBB1954_92
; %bb.91:                               ;   in Loop: Header=BB1954_12 Depth=1
	ds_load_b32 v5, v66
	v_cmp_ne_u32_e32 vcc_lo, 0, v2
	s_waitcnt lgkmcnt(0)
	v_mov_b32_dpp v6, v5 row_shr:1 row_mask:0xf bank_mask:0xf
	s_delay_alu instid0(VALU_DEP_1) | instskip(SKIP_1) | instid1(VALU_DEP_2)
	v_cndmask_b32_e32 v6, 0, v6, vcc_lo
	v_cmp_lt_u32_e32 vcc_lo, 1, v2
	v_add_nc_u32_e32 v5, v6, v5
	s_delay_alu instid0(VALU_DEP_1) | instskip(NEXT) | instid1(VALU_DEP_1)
	v_mov_b32_dpp v6, v5 row_shr:2 row_mask:0xf bank_mask:0xf
	v_cndmask_b32_e32 v6, 0, v6, vcc_lo
	v_cmp_lt_u32_e32 vcc_lo, 3, v2
	s_delay_alu instid0(VALU_DEP_2) | instskip(NEXT) | instid1(VALU_DEP_1)
	v_add_nc_u32_e32 v5, v5, v6
	v_mov_b32_dpp v6, v5 row_shr:4 row_mask:0xf bank_mask:0xf
	s_delay_alu instid0(VALU_DEP_1) | instskip(NEXT) | instid1(VALU_DEP_1)
	v_cndmask_b32_e32 v6, 0, v6, vcc_lo
	v_add_nc_u32_e32 v5, v5, v6
	ds_store_b32 v66, v5
.LBB1954_92:                            ;   in Loop: Header=BB1954_12 Depth=1
	s_or_b32 exec_lo, exec_lo, s11
	v_mov_b32_e32 v5, 0
	s_waitcnt lgkmcnt(0)
	s_barrier
	buffer_gl0_inv
	s_and_saveexec_b32 s11, s5
	s_cbranch_execz .LBB1954_94
; %bb.93:                               ;   in Loop: Header=BB1954_12 Depth=1
	ds_load_b32 v5, v67
.LBB1954_94:                            ;   in Loop: Header=BB1954_12 Depth=1
	s_or_b32 exec_lo, exec_lo, s11
	v_add_nc_u32_e32 v6, -1, v104
	s_waitcnt lgkmcnt(0)
	v_add_nc_u32_e32 v4, v5, v4
	v_cmp_eq_u32_e64 s11, 0, v104
	s_barrier
	v_cmp_gt_i32_e32 vcc_lo, 0, v6
	buffer_gl0_inv
	v_cndmask_b32_e32 v6, v6, v104, vcc_lo
	s_delay_alu instid0(VALU_DEP_1)
	v_lshlrev_b32_e32 v105, 2, v6
	ds_bpermute_b32 v4, v105, v4
	s_and_saveexec_b32 s12, s2
	s_cbranch_execz .LBB1954_96
; %bb.95:                               ;   in Loop: Header=BB1954_12 Depth=1
	s_waitcnt lgkmcnt(0)
	v_cndmask_b32_e64 v4, v4, v5, s11
	s_delay_alu instid0(VALU_DEP_1)
	v_add_nc_u32_e32 v4, s52, v4
	ds_store_b32 v44, v4
.LBB1954_96:                            ;   in Loop: Header=BB1954_12 Depth=1
	s_or_b32 exec_lo, exec_lo, s12
	s_clause 0x1
	s_load_b32 s12, s[42:43], 0x4
	s_load_b32 s16, s[42:43], 0xc
	v_lshlrev_b32_e32 v5, 3, v104
	v_cmp_lt_u32_e64 s14, 3, v2
	v_or_b32_e32 v106, v104, v68
	s_mov_b32 s56, s54
	s_mov_b32 s34, s52
	v_add_co_u32 v107, vcc_lo, v74, v5
	v_add_co_ci_u32_e32 v108, vcc_lo, 0, v75, vcc_lo
	v_or_b32_e32 v109, 32, v106
	v_or_b32_e32 v110, 64, v106
	;; [unrolled: 1-line block ×9, first 2 shown]
	s_waitcnt lgkmcnt(0)
	s_cmp_lt_u32 s15, s12
	v_or_b32_e32 v118, 0x140, v106
	s_cselect_b32 s12, 14, 20
	v_or_b32_e32 v119, 0x160, v106
	s_add_u32 s12, s42, s12
	s_addc_u32 s13, s43, 0
	s_and_b32 s16, s16, 0xffff
	global_load_u16 v4, v3, s[12:13]
	v_cmp_eq_u32_e64 s12, 0, v2
	v_cmp_lt_u32_e64 s13, 1, v2
	v_lshlrev_b32_e32 v2, 1, v104
	v_or_b32_e32 v120, 0x180, v106
	v_or_b32_e32 v121, 0x1a0, v106
	;; [unrolled: 1-line block ×4, first 2 shown]
	v_add_co_u32 v124, vcc_lo, v76, v2
	v_add_co_ci_u32_e32 v125, vcc_lo, 0, v77, vcc_lo
                                        ; implicit-def: $vgpr8_vgpr9
                                        ; implicit-def: $vgpr10_vgpr11
                                        ; implicit-def: $vgpr12_vgpr13
                                        ; implicit-def: $vgpr14_vgpr15
                                        ; implicit-def: $vgpr16_vgpr17
                                        ; implicit-def: $vgpr18_vgpr19
                                        ; implicit-def: $vgpr20_vgpr21
                                        ; implicit-def: $vgpr22_vgpr23
                                        ; implicit-def: $vgpr24_vgpr25
                                        ; implicit-def: $vgpr26_vgpr27
                                        ; implicit-def: $vgpr28_vgpr29
                                        ; implicit-def: $vgpr30_vgpr31
                                        ; implicit-def: $vgpr32_vgpr33
                                        ; implicit-def: $vgpr34_vgpr35
                                        ; implicit-def: $vgpr129
                                        ; implicit-def: $vgpr130
                                        ; implicit-def: $vgpr131
                                        ; implicit-def: $vgpr132
                                        ; implicit-def: $vgpr133
                                        ; implicit-def: $vgpr134
                                        ; implicit-def: $vgpr135
                                        ; implicit-def: $vgpr136
                                        ; implicit-def: $vgpr137
                                        ; implicit-def: $vgpr138
                                        ; implicit-def: $vgpr139
                                        ; implicit-def: $vgpr140
                                        ; implicit-def: $vgpr141
                                        ; implicit-def: $vgpr142
                                        ; implicit-def: $vgpr143
                                        ; implicit-def: $vgpr144
	s_delay_alu instid0(VALU_DEP_2) | instskip(NEXT) | instid1(VALU_DEP_2)
	v_add_co_u32 v127, vcc_lo, 0x3c0, v124
	v_add_co_ci_u32_e32 v128, vcc_lo, 0, v125, vcc_lo
	s_waitcnt vmcnt(0)
	v_mad_u32_u24 v6, v70, v4, v0
	s_delay_alu instid0(VALU_DEP_1) | instskip(NEXT) | instid1(VALU_DEP_1)
	v_mad_u64_u32 v[4:5], null, v6, s16, v[1:2]
                                        ; implicit-def: $vgpr6_vgpr7
	v_lshrrev_b32_e32 v126, 5, v4
                                        ; implicit-def: $vgpr4_vgpr5
	s_branch .LBB1954_98
.LBB1954_97:                            ;   in Loop: Header=BB1954_98 Depth=2
	s_or_b32 exec_lo, exec_lo, s16
	s_addk_i32 s56, 0xf000
	s_cmp_lt_u32 s57, s53
	s_mov_b32 s34, s57
	s_cbranch_scc0 .LBB1954_306
.LBB1954_98:                            ;   Parent Loop BB1954_12 Depth=1
                                        ; =>  This Inner Loop Header: Depth=2
	s_add_i32 s57, s34, 0x1000
	s_delay_alu instid0(SALU_CYCLE_1)
	s_cmp_gt_u32 s57, s53
	s_cbranch_scc1 .LBB1954_101
; %bb.99:                               ;   in Loop: Header=BB1954_98 Depth=2
	s_mov_b32 s17, 0
	s_mov_b32 s16, s34
	s_delay_alu instid0(SALU_CYCLE_1) | instskip(NEXT) | instid1(SALU_CYCLE_1)
	s_lshl_b64 s[18:19], s[16:17], 1
	v_add_co_u32 v36, vcc_lo, v124, s18
	v_add_co_ci_u32_e32 v37, vcc_lo, s19, v125, vcc_lo
	s_mov_b32 s19, -1
	s_movk_i32 s18, 0x1000
	s_clause 0xe
	global_load_u16 v2, v[36:37], off
	global_load_u16 v146, v[36:37], off offset:64
	global_load_u16 v149, v[36:37], off offset:128
	;; [unrolled: 1-line block ×14, first 2 shown]
	s_cbranch_execz .LBB1954_102
; %bb.100:                              ;   in Loop: Header=BB1954_98 Depth=2
                                        ; implicit-def: $sgpr20
	v_dual_mov_b32 v36, s20 :: v_dual_mov_b32 v145, s56
	s_and_saveexec_b32 s20, s19
	s_cbranch_execnz .LBB1954_133
	s_branch .LBB1954_134
.LBB1954_101:                           ;   in Loop: Header=BB1954_98 Depth=2
	s_mov_b32 s17, -1
	s_mov_b32 s19, 0
                                        ; implicit-def: $sgpr18
                                        ; implicit-def: $vgpr2
                                        ; implicit-def: $vgpr146
                                        ; implicit-def: $vgpr149
                                        ; implicit-def: $vgpr153
                                        ; implicit-def: $vgpr157
                                        ; implicit-def: $vgpr161
                                        ; implicit-def: $vgpr165
                                        ; implicit-def: $vgpr170
                                        ; implicit-def: $vgpr169
                                        ; implicit-def: $vgpr43
                                        ; implicit-def: $vgpr42
                                        ; implicit-def: $vgpr41
                                        ; implicit-def: $vgpr40
                                        ; implicit-def: $vgpr39
                                        ; implicit-def: $vgpr38
.LBB1954_102:                           ;   in Loop: Header=BB1954_98 Depth=2
	s_lshl_b64 s[16:17], s[34:35], 1
	s_waitcnt vmcnt(13)
	v_mov_b32_e32 v146, -1
	v_add_co_u32 v36, vcc_lo, v124, s16
	v_add_co_ci_u32_e32 v37, vcc_lo, s17, v125, vcc_lo
	v_mov_b32_e32 v2, -1
	s_mov_b32 s16, exec_lo
	v_cmpx_gt_u32_e64 s56, v106
	s_cbranch_execz .LBB1954_104
; %bb.103:                              ;   in Loop: Header=BB1954_98 Depth=2
	global_load_u16 v2, v[36:37], off
.LBB1954_104:                           ;   in Loop: Header=BB1954_98 Depth=2
	s_or_b32 exec_lo, exec_lo, s16
	s_delay_alu instid0(SALU_CYCLE_1)
	s_mov_b32 s16, exec_lo
	v_cmpx_gt_u32_e64 s56, v109
	s_cbranch_execz .LBB1954_106
; %bb.105:                              ;   in Loop: Header=BB1954_98 Depth=2
	global_load_u16 v146, v[36:37], off offset:64
.LBB1954_106:                           ;   in Loop: Header=BB1954_98 Depth=2
	s_or_b32 exec_lo, exec_lo, s16
	s_waitcnt vmcnt(11)
	v_mov_b32_e32 v153, -1
	v_mov_b32_e32 v149, -1
	s_mov_b32 s16, exec_lo
	v_cmpx_gt_u32_e64 s56, v110
	s_cbranch_execz .LBB1954_108
; %bb.107:                              ;   in Loop: Header=BB1954_98 Depth=2
	global_load_u16 v149, v[36:37], off offset:128
.LBB1954_108:                           ;   in Loop: Header=BB1954_98 Depth=2
	s_or_b32 exec_lo, exec_lo, s16
	s_delay_alu instid0(SALU_CYCLE_1)
	s_mov_b32 s16, exec_lo
	v_cmpx_gt_u32_e64 s56, v111
	s_cbranch_execz .LBB1954_110
; %bb.109:                              ;   in Loop: Header=BB1954_98 Depth=2
	global_load_u16 v153, v[36:37], off offset:192
.LBB1954_110:                           ;   in Loop: Header=BB1954_98 Depth=2
	s_or_b32 exec_lo, exec_lo, s16
	s_waitcnt vmcnt(9)
	v_mov_b32_e32 v161, -1
	v_mov_b32_e32 v157, -1
	s_mov_b32 s16, exec_lo
	v_cmpx_gt_u32_e64 s56, v112
	s_cbranch_execz .LBB1954_112
; %bb.111:                              ;   in Loop: Header=BB1954_98 Depth=2
	global_load_u16 v157, v[36:37], off offset:256
.LBB1954_112:                           ;   in Loop: Header=BB1954_98 Depth=2
	s_or_b32 exec_lo, exec_lo, s16
	s_delay_alu instid0(SALU_CYCLE_1)
	s_mov_b32 s16, exec_lo
	v_cmpx_gt_u32_e64 s56, v113
	s_cbranch_execz .LBB1954_114
; %bb.113:                              ;   in Loop: Header=BB1954_98 Depth=2
	global_load_u16 v161, v[36:37], off offset:320
.LBB1954_114:                           ;   in Loop: Header=BB1954_98 Depth=2
	s_or_b32 exec_lo, exec_lo, s16
	s_waitcnt vmcnt(7)
	v_dual_mov_b32 v170, -1 :: v_dual_mov_b32 v165, -1
	s_mov_b32 s16, exec_lo
	v_cmpx_gt_u32_e64 s56, v114
	s_cbranch_execz .LBB1954_116
; %bb.115:                              ;   in Loop: Header=BB1954_98 Depth=2
	global_load_u16 v165, v[36:37], off offset:384
.LBB1954_116:                           ;   in Loop: Header=BB1954_98 Depth=2
	s_or_b32 exec_lo, exec_lo, s16
	s_delay_alu instid0(SALU_CYCLE_1)
	s_mov_b32 s16, exec_lo
	v_cmpx_gt_u32_e64 s56, v115
	s_cbranch_execz .LBB1954_118
; %bb.117:                              ;   in Loop: Header=BB1954_98 Depth=2
	global_load_u16 v170, v[36:37], off offset:448
.LBB1954_118:                           ;   in Loop: Header=BB1954_98 Depth=2
	s_or_b32 exec_lo, exec_lo, s16
	s_waitcnt vmcnt(5)
	v_mov_b32_e32 v43, -1
	v_mov_b32_e32 v169, -1
	s_mov_b32 s16, exec_lo
	v_cmpx_gt_u32_e64 s56, v116
	s_cbranch_execz .LBB1954_120
; %bb.119:                              ;   in Loop: Header=BB1954_98 Depth=2
	global_load_u16 v169, v[36:37], off offset:512
.LBB1954_120:                           ;   in Loop: Header=BB1954_98 Depth=2
	s_or_b32 exec_lo, exec_lo, s16
	s_delay_alu instid0(SALU_CYCLE_1)
	s_mov_b32 s16, exec_lo
	v_cmpx_gt_u32_e64 s56, v117
	s_cbranch_execz .LBB1954_122
; %bb.121:                              ;   in Loop: Header=BB1954_98 Depth=2
	global_load_u16 v43, v[36:37], off offset:576
.LBB1954_122:                           ;   in Loop: Header=BB1954_98 Depth=2
	s_or_b32 exec_lo, exec_lo, s16
	s_waitcnt vmcnt(3)
	v_dual_mov_b32 v41, -1 :: v_dual_mov_b32 v42, -1
	s_mov_b32 s16, exec_lo
	v_cmpx_gt_u32_e64 s56, v118
	s_cbranch_execz .LBB1954_124
; %bb.123:                              ;   in Loop: Header=BB1954_98 Depth=2
	global_load_u16 v42, v[36:37], off offset:640
.LBB1954_124:                           ;   in Loop: Header=BB1954_98 Depth=2
	s_or_b32 exec_lo, exec_lo, s16
	s_delay_alu instid0(SALU_CYCLE_1)
	s_mov_b32 s16, exec_lo
	v_cmpx_gt_u32_e64 s56, v119
	s_cbranch_execz .LBB1954_126
; %bb.125:                              ;   in Loop: Header=BB1954_98 Depth=2
	global_load_u16 v41, v[36:37], off offset:704
.LBB1954_126:                           ;   in Loop: Header=BB1954_98 Depth=2
	s_or_b32 exec_lo, exec_lo, s16
	s_waitcnt vmcnt(1)
	v_dual_mov_b32 v39, -1 :: v_dual_mov_b32 v40, -1
	s_mov_b32 s16, exec_lo
	v_cmpx_gt_u32_e64 s56, v120
	s_cbranch_execz .LBB1954_128
; %bb.127:                              ;   in Loop: Header=BB1954_98 Depth=2
	global_load_u16 v40, v[36:37], off offset:768
.LBB1954_128:                           ;   in Loop: Header=BB1954_98 Depth=2
	s_or_b32 exec_lo, exec_lo, s16
	s_delay_alu instid0(SALU_CYCLE_1)
	s_mov_b32 s16, exec_lo
	v_cmpx_gt_u32_e64 s56, v121
	s_cbranch_execz .LBB1954_130
; %bb.129:                              ;   in Loop: Header=BB1954_98 Depth=2
	global_load_u16 v39, v[36:37], off offset:832
.LBB1954_130:                           ;   in Loop: Header=BB1954_98 Depth=2
	s_or_b32 exec_lo, exec_lo, s16
	s_waitcnt vmcnt(0)
	v_mov_b32_e32 v38, -1
	s_mov_b32 s16, exec_lo
	v_cmpx_gt_u32_e64 s56, v122
	s_cbranch_execz .LBB1954_132
; %bb.131:                              ;   in Loop: Header=BB1954_98 Depth=2
	global_load_u16 v38, v[36:37], off offset:896
.LBB1954_132:                           ;   in Loop: Header=BB1954_98 Depth=2
	s_or_b32 exec_lo, exec_lo, s16
	v_cmp_gt_u32_e64 s19, s56, v123
	s_sub_i32 s18, s53, s34
	s_mov_b32 s20, -1
	s_mov_b64 s[16:17], s[34:35]
	v_dual_mov_b32 v36, s20 :: v_dual_mov_b32 v145, s56
	s_and_saveexec_b32 s20, s19
	s_cbranch_execz .LBB1954_134
.LBB1954_133:                           ;   in Loop: Header=BB1954_98 Depth=2
	s_lshl_b64 s[16:17], s[16:17], 1
	v_mov_b32_e32 v145, s18
	v_add_co_u32 v36, vcc_lo, v127, s16
	v_add_co_ci_u32_e32 v37, vcc_lo, s17, v128, vcc_lo
	global_load_u16 v36, v[36:37], off
.LBB1954_134:                           ;   in Loop: Header=BB1954_98 Depth=2
	s_or_b32 exec_lo, exec_lo, s20
	s_waitcnt vmcnt(14)
	v_cmp_gt_i16_e32 vcc_lo, 0, v2
	ds_store_b32 v69, v3 offset:1056
	ds_store_2addr_b32 v71, v3, v3 offset0:1 offset1:2
	ds_store_2addr_b32 v71, v3, v3 offset0:3 offset1:4
	;; [unrolled: 1-line block ×4, first 2 shown]
	s_waitcnt vmcnt(0) lgkmcnt(0)
	s_barrier
	v_cndmask_b32_e64 v37, 0x7fff, 0, vcc_lo
	buffer_gl0_inv
	; wave barrier
	v_xor_b32_e32 v2, v37, v2
	s_delay_alu instid0(VALU_DEP_1) | instskip(SKIP_1) | instid1(VALU_DEP_1)
	v_cmp_ne_u16_e32 vcc_lo, 0x8000, v2
	v_cndmask_b32_e32 v37, 0x7fff, v2, vcc_lo
	v_and_b32_e32 v37, 0xffff, v37
	s_delay_alu instid0(VALU_DEP_1) | instskip(NEXT) | instid1(VALU_DEP_1)
	v_lshrrev_b32_e32 v37, s48, v37
	v_and_b32_e32 v148, s55, v37
	s_delay_alu instid0(VALU_DEP_1)
	v_lshlrev_b32_e32 v150, 29, v148
	v_and_b32_e32 v37, 1, v148
	v_lshlrev_b32_e32 v147, 30, v148
	v_lshlrev_b32_e32 v151, 28, v148
	;; [unrolled: 1-line block ×4, first 2 shown]
	v_add_co_u32 v37, s16, v37, -1
	s_delay_alu instid0(VALU_DEP_1)
	v_cndmask_b32_e64 v152, 0, 1, s16
	v_not_b32_e32 v158, v147
	v_cmp_gt_i32_e64 s16, 0, v147
	v_not_b32_e32 v147, v150
	v_lshlrev_b32_e32 v156, 25, v148
	v_cmp_ne_u32_e32 vcc_lo, 0, v152
	v_ashrrev_i32_e32 v158, 31, v158
	v_lshlrev_b32_e32 v152, 24, v148
	v_ashrrev_i32_e32 v147, 31, v147
	v_mad_u32_u24 v148, v148, 9, v126
	v_xor_b32_e32 v37, vcc_lo, v37
	v_cmp_gt_i32_e32 vcc_lo, 0, v150
	v_not_b32_e32 v150, v151
	v_xor_b32_e32 v158, s16, v158
	v_cmp_gt_i32_e64 s16, 0, v151
	v_and_b32_e32 v37, exec_lo, v37
	v_not_b32_e32 v151, v154
	v_ashrrev_i32_e32 v150, 31, v150
	v_xor_b32_e32 v147, vcc_lo, v147
	v_cmp_gt_i32_e32 vcc_lo, 0, v154
	v_and_b32_e32 v37, v37, v158
	v_not_b32_e32 v154, v155
	v_ashrrev_i32_e32 v151, 31, v151
	v_xor_b32_e32 v150, s16, v150
	v_cmp_gt_i32_e64 s16, 0, v155
	v_and_b32_e32 v37, v37, v147
	v_not_b32_e32 v147, v156
	v_ashrrev_i32_e32 v154, 31, v154
	v_xor_b32_e32 v151, vcc_lo, v151
	v_cmp_gt_i32_e32 vcc_lo, 0, v156
	v_and_b32_e32 v37, v37, v150
	v_not_b32_e32 v150, v152
	v_ashrrev_i32_e32 v147, 31, v147
	v_xor_b32_e32 v154, s16, v154
	v_cmp_gt_i32_e64 s16, 0, v152
	v_and_b32_e32 v37, v37, v151
	v_ashrrev_i32_e32 v150, 31, v150
	v_xor_b32_e32 v147, vcc_lo, v147
	v_lshl_add_u32 v148, v148, 2, 0x420
	s_delay_alu instid0(VALU_DEP_4) | instskip(NEXT) | instid1(VALU_DEP_4)
	v_and_b32_e32 v37, v37, v154
	v_xor_b32_e32 v150, s16, v150
	s_delay_alu instid0(VALU_DEP_2) | instskip(NEXT) | instid1(VALU_DEP_1)
	v_and_b32_e32 v37, v37, v147
	v_and_b32_e32 v37, v37, v150
	s_delay_alu instid0(VALU_DEP_1) | instskip(SKIP_1) | instid1(VALU_DEP_2)
	v_mbcnt_lo_u32_b32 v147, v37, 0
	v_cmp_ne_u32_e64 s16, 0, v37
	v_cmp_eq_u32_e32 vcc_lo, 0, v147
	s_delay_alu instid0(VALU_DEP_2) | instskip(NEXT) | instid1(SALU_CYCLE_1)
	s_and_b32 s17, s16, vcc_lo
	s_and_saveexec_b32 s16, s17
	s_cbranch_execz .LBB1954_136
; %bb.135:                              ;   in Loop: Header=BB1954_98 Depth=2
	v_bcnt_u32_b32 v37, v37, 0
	ds_store_b32 v148, v37
.LBB1954_136:                           ;   in Loop: Header=BB1954_98 Depth=2
	s_or_b32 exec_lo, exec_lo, s16
	v_cmp_gt_i16_e64 vcc_lo, 0, v146
	; wave barrier
	s_delay_alu instid0(VALU_DEP_1) | instskip(NEXT) | instid1(VALU_DEP_1)
	v_cndmask_b32_e64 v37, 0x7fff, 0, vcc_lo
	v_xor_b32_e32 v146, v37, v146
	s_delay_alu instid0(VALU_DEP_1) | instskip(SKIP_1) | instid1(VALU_DEP_1)
	v_cmp_ne_u16_e64 vcc_lo, 0x8000, v146
	v_cndmask_b32_e32 v37, 0x7fff, v146, vcc_lo
	v_and_b32_e32 v37, 0xffff, v37
	s_delay_alu instid0(VALU_DEP_1) | instskip(NEXT) | instid1(VALU_DEP_1)
	v_lshrrev_b32_e32 v37, s48, v37
	v_and_b32_e32 v37, s55, v37
	s_delay_alu instid0(VALU_DEP_1)
	v_and_b32_e32 v150, 1, v37
	v_lshlrev_b32_e32 v151, 30, v37
	v_lshlrev_b32_e32 v152, 29, v37
	v_lshlrev_b32_e32 v154, 28, v37
	v_lshlrev_b32_e32 v156, 27, v37
	v_add_co_u32 v150, s16, v150, -1
	s_delay_alu instid0(VALU_DEP_1)
	v_cndmask_b32_e64 v155, 0, 1, s16
	v_not_b32_e32 v160, v151
	v_cmp_gt_i32_e64 s16, 0, v151
	v_not_b32_e32 v151, v152
	v_lshlrev_b32_e32 v158, 26, v37
	v_cmp_ne_u32_e32 vcc_lo, 0, v155
	v_ashrrev_i32_e32 v160, 31, v160
	v_lshlrev_b32_e32 v159, 25, v37
	v_ashrrev_i32_e32 v151, 31, v151
	v_lshlrev_b32_e32 v155, 24, v37
	v_xor_b32_e32 v150, vcc_lo, v150
	v_cmp_gt_i32_e32 vcc_lo, 0, v152
	v_not_b32_e32 v152, v154
	v_xor_b32_e32 v160, s16, v160
	v_cmp_gt_i32_e64 s16, 0, v154
	v_and_b32_e32 v150, exec_lo, v150
	v_not_b32_e32 v154, v156
	v_ashrrev_i32_e32 v152, 31, v152
	v_xor_b32_e32 v151, vcc_lo, v151
	v_cmp_gt_i32_e32 vcc_lo, 0, v156
	v_and_b32_e32 v150, v150, v160
	v_not_b32_e32 v156, v158
	v_ashrrev_i32_e32 v154, 31, v154
	v_xor_b32_e32 v152, s16, v152
	v_cmp_gt_i32_e64 s16, 0, v158
	v_and_b32_e32 v150, v150, v151
	v_not_b32_e32 v151, v159
	v_ashrrev_i32_e32 v156, 31, v156
	v_xor_b32_e32 v154, vcc_lo, v154
	v_cmp_gt_i32_e32 vcc_lo, 0, v159
	v_and_b32_e32 v150, v150, v152
	v_not_b32_e32 v152, v155
	v_ashrrev_i32_e32 v151, 31, v151
	v_xor_b32_e32 v156, s16, v156
	v_mul_u32_u24_e32 v37, 9, v37
	v_and_b32_e32 v150, v150, v154
	v_cmp_gt_i32_e64 s16, 0, v155
	v_ashrrev_i32_e32 v152, 31, v152
	v_xor_b32_e32 v151, vcc_lo, v151
	v_add_lshl_u32 v154, v37, v126, 2
	v_and_b32_e32 v150, v150, v156
	s_delay_alu instid0(VALU_DEP_4) | instskip(NEXT) | instid1(VALU_DEP_3)
	v_xor_b32_e32 v37, s16, v152
	v_add_nc_u32_e32 v152, 0x420, v154
	s_delay_alu instid0(VALU_DEP_3) | instskip(SKIP_2) | instid1(VALU_DEP_1)
	v_and_b32_e32 v151, v150, v151
	ds_load_b32 v150, v154 offset:1056
	; wave barrier
	v_and_b32_e32 v37, v151, v37
	v_mbcnt_lo_u32_b32 v151, v37, 0
	v_cmp_ne_u32_e64 s16, 0, v37
	s_delay_alu instid0(VALU_DEP_2) | instskip(NEXT) | instid1(VALU_DEP_2)
	v_cmp_eq_u32_e32 vcc_lo, 0, v151
	s_and_b32 s17, s16, vcc_lo
	s_delay_alu instid0(SALU_CYCLE_1)
	s_and_saveexec_b32 s16, s17
	s_cbranch_execz .LBB1954_138
; %bb.137:                              ;   in Loop: Header=BB1954_98 Depth=2
	s_waitcnt lgkmcnt(0)
	v_bcnt_u32_b32 v37, v37, v150
	ds_store_b32 v152, v37
.LBB1954_138:                           ;   in Loop: Header=BB1954_98 Depth=2
	s_or_b32 exec_lo, exec_lo, s16
	v_cmp_gt_i16_e64 vcc_lo, 0, v149
	; wave barrier
	s_delay_alu instid0(VALU_DEP_1) | instskip(NEXT) | instid1(VALU_DEP_1)
	v_cndmask_b32_e64 v37, 0x7fff, 0, vcc_lo
	v_xor_b32_e32 v149, v37, v149
	s_delay_alu instid0(VALU_DEP_1) | instskip(SKIP_1) | instid1(VALU_DEP_1)
	v_cmp_ne_u16_e64 vcc_lo, 0x8000, v149
	v_cndmask_b32_e32 v37, 0x7fff, v149, vcc_lo
	v_and_b32_e32 v37, 0xffff, v37
	s_delay_alu instid0(VALU_DEP_1) | instskip(NEXT) | instid1(VALU_DEP_1)
	v_lshrrev_b32_e32 v37, s48, v37
	v_and_b32_e32 v37, s55, v37
	s_delay_alu instid0(VALU_DEP_1)
	v_and_b32_e32 v154, 1, v37
	v_lshlrev_b32_e32 v155, 30, v37
	v_lshlrev_b32_e32 v156, 29, v37
	;; [unrolled: 1-line block ×4, first 2 shown]
	v_add_co_u32 v154, s16, v154, -1
	s_delay_alu instid0(VALU_DEP_1)
	v_cndmask_b32_e64 v159, 0, 1, s16
	v_not_b32_e32 v164, v155
	v_cmp_gt_i32_e64 s16, 0, v155
	v_not_b32_e32 v155, v156
	v_lshlrev_b32_e32 v162, 26, v37
	v_cmp_ne_u32_e32 vcc_lo, 0, v159
	v_ashrrev_i32_e32 v164, 31, v164
	v_lshlrev_b32_e32 v163, 25, v37
	v_ashrrev_i32_e32 v155, 31, v155
	v_lshlrev_b32_e32 v159, 24, v37
	v_xor_b32_e32 v154, vcc_lo, v154
	v_cmp_gt_i32_e32 vcc_lo, 0, v156
	v_not_b32_e32 v156, v158
	v_xor_b32_e32 v164, s16, v164
	v_cmp_gt_i32_e64 s16, 0, v158
	v_and_b32_e32 v154, exec_lo, v154
	v_not_b32_e32 v158, v160
	v_ashrrev_i32_e32 v156, 31, v156
	v_xor_b32_e32 v155, vcc_lo, v155
	v_cmp_gt_i32_e32 vcc_lo, 0, v160
	v_and_b32_e32 v154, v154, v164
	v_not_b32_e32 v160, v162
	v_ashrrev_i32_e32 v158, 31, v158
	v_xor_b32_e32 v156, s16, v156
	v_cmp_gt_i32_e64 s16, 0, v162
	v_and_b32_e32 v154, v154, v155
	v_not_b32_e32 v155, v163
	v_ashrrev_i32_e32 v160, 31, v160
	v_xor_b32_e32 v158, vcc_lo, v158
	v_cmp_gt_i32_e32 vcc_lo, 0, v163
	v_and_b32_e32 v154, v154, v156
	v_not_b32_e32 v156, v159
	v_ashrrev_i32_e32 v155, 31, v155
	v_xor_b32_e32 v160, s16, v160
	v_mul_u32_u24_e32 v37, 9, v37
	v_and_b32_e32 v154, v154, v158
	v_cmp_gt_i32_e64 s16, 0, v159
	v_ashrrev_i32_e32 v156, 31, v156
	v_xor_b32_e32 v155, vcc_lo, v155
	v_add_lshl_u32 v158, v37, v126, 2
	v_and_b32_e32 v154, v154, v160
	s_delay_alu instid0(VALU_DEP_4) | instskip(NEXT) | instid1(VALU_DEP_3)
	v_xor_b32_e32 v37, s16, v156
	v_add_nc_u32_e32 v156, 0x420, v158
	s_delay_alu instid0(VALU_DEP_3) | instskip(SKIP_2) | instid1(VALU_DEP_1)
	v_and_b32_e32 v155, v154, v155
	ds_load_b32 v154, v158 offset:1056
	; wave barrier
	v_and_b32_e32 v37, v155, v37
	v_mbcnt_lo_u32_b32 v155, v37, 0
	v_cmp_ne_u32_e64 s16, 0, v37
	s_delay_alu instid0(VALU_DEP_2) | instskip(NEXT) | instid1(VALU_DEP_2)
	v_cmp_eq_u32_e32 vcc_lo, 0, v155
	s_and_b32 s17, s16, vcc_lo
	s_delay_alu instid0(SALU_CYCLE_1)
	s_and_saveexec_b32 s16, s17
	s_cbranch_execz .LBB1954_140
; %bb.139:                              ;   in Loop: Header=BB1954_98 Depth=2
	s_waitcnt lgkmcnt(0)
	v_bcnt_u32_b32 v37, v37, v154
	ds_store_b32 v156, v37
.LBB1954_140:                           ;   in Loop: Header=BB1954_98 Depth=2
	s_or_b32 exec_lo, exec_lo, s16
	v_cmp_gt_i16_e64 vcc_lo, 0, v153
	; wave barrier
	s_delay_alu instid0(VALU_DEP_1) | instskip(NEXT) | instid1(VALU_DEP_1)
	v_cndmask_b32_e64 v37, 0x7fff, 0, vcc_lo
	v_xor_b32_e32 v153, v37, v153
	s_delay_alu instid0(VALU_DEP_1) | instskip(SKIP_1) | instid1(VALU_DEP_1)
	v_cmp_ne_u16_e64 vcc_lo, 0x8000, v153
	v_cndmask_b32_e32 v37, 0x7fff, v153, vcc_lo
	v_and_b32_e32 v37, 0xffff, v37
	s_delay_alu instid0(VALU_DEP_1) | instskip(NEXT) | instid1(VALU_DEP_1)
	v_lshrrev_b32_e32 v37, s48, v37
	v_and_b32_e32 v37, s55, v37
	s_delay_alu instid0(VALU_DEP_1)
	v_and_b32_e32 v158, 1, v37
	v_lshlrev_b32_e32 v159, 30, v37
	v_lshlrev_b32_e32 v160, 29, v37
	;; [unrolled: 1-line block ×4, first 2 shown]
	v_add_co_u32 v158, s16, v158, -1
	s_delay_alu instid0(VALU_DEP_1)
	v_cndmask_b32_e64 v163, 0, 1, s16
	v_not_b32_e32 v168, v159
	v_cmp_gt_i32_e64 s16, 0, v159
	v_not_b32_e32 v159, v160
	v_lshlrev_b32_e32 v166, 26, v37
	v_cmp_ne_u32_e32 vcc_lo, 0, v163
	v_ashrrev_i32_e32 v168, 31, v168
	v_lshlrev_b32_e32 v167, 25, v37
	v_ashrrev_i32_e32 v159, 31, v159
	v_lshlrev_b32_e32 v163, 24, v37
	v_xor_b32_e32 v158, vcc_lo, v158
	v_cmp_gt_i32_e32 vcc_lo, 0, v160
	v_not_b32_e32 v160, v162
	v_xor_b32_e32 v168, s16, v168
	v_cmp_gt_i32_e64 s16, 0, v162
	v_and_b32_e32 v158, exec_lo, v158
	v_not_b32_e32 v162, v164
	v_ashrrev_i32_e32 v160, 31, v160
	v_xor_b32_e32 v159, vcc_lo, v159
	v_cmp_gt_i32_e32 vcc_lo, 0, v164
	v_and_b32_e32 v158, v158, v168
	v_not_b32_e32 v164, v166
	v_ashrrev_i32_e32 v162, 31, v162
	v_xor_b32_e32 v160, s16, v160
	v_cmp_gt_i32_e64 s16, 0, v166
	v_and_b32_e32 v158, v158, v159
	v_not_b32_e32 v159, v167
	v_ashrrev_i32_e32 v164, 31, v164
	v_xor_b32_e32 v162, vcc_lo, v162
	v_cmp_gt_i32_e32 vcc_lo, 0, v167
	v_and_b32_e32 v158, v158, v160
	v_not_b32_e32 v160, v163
	v_ashrrev_i32_e32 v159, 31, v159
	v_xor_b32_e32 v164, s16, v164
	v_mul_u32_u24_e32 v37, 9, v37
	v_and_b32_e32 v158, v158, v162
	v_cmp_gt_i32_e64 s16, 0, v163
	v_ashrrev_i32_e32 v160, 31, v160
	v_xor_b32_e32 v159, vcc_lo, v159
	v_add_lshl_u32 v162, v37, v126, 2
	v_and_b32_e32 v158, v158, v164
	s_delay_alu instid0(VALU_DEP_4) | instskip(NEXT) | instid1(VALU_DEP_3)
	v_xor_b32_e32 v37, s16, v160
	v_add_nc_u32_e32 v160, 0x420, v162
	s_delay_alu instid0(VALU_DEP_3) | instskip(SKIP_2) | instid1(VALU_DEP_1)
	v_and_b32_e32 v159, v158, v159
	ds_load_b32 v158, v162 offset:1056
	; wave barrier
	v_and_b32_e32 v37, v159, v37
	v_mbcnt_lo_u32_b32 v159, v37, 0
	v_cmp_ne_u32_e64 s16, 0, v37
	s_delay_alu instid0(VALU_DEP_2) | instskip(NEXT) | instid1(VALU_DEP_2)
	v_cmp_eq_u32_e32 vcc_lo, 0, v159
	s_and_b32 s17, s16, vcc_lo
	s_delay_alu instid0(SALU_CYCLE_1)
	s_and_saveexec_b32 s16, s17
	s_cbranch_execz .LBB1954_142
; %bb.141:                              ;   in Loop: Header=BB1954_98 Depth=2
	s_waitcnt lgkmcnt(0)
	v_bcnt_u32_b32 v37, v37, v158
	ds_store_b32 v160, v37
.LBB1954_142:                           ;   in Loop: Header=BB1954_98 Depth=2
	s_or_b32 exec_lo, exec_lo, s16
	v_cmp_gt_i16_e64 vcc_lo, 0, v157
	; wave barrier
	s_delay_alu instid0(VALU_DEP_1) | instskip(NEXT) | instid1(VALU_DEP_1)
	v_cndmask_b32_e64 v37, 0x7fff, 0, vcc_lo
	v_xor_b32_e32 v157, v37, v157
	s_delay_alu instid0(VALU_DEP_1) | instskip(SKIP_1) | instid1(VALU_DEP_1)
	v_cmp_ne_u16_e64 vcc_lo, 0x8000, v157
	v_cndmask_b32_e32 v37, 0x7fff, v157, vcc_lo
	v_and_b32_e32 v37, 0xffff, v37
	s_delay_alu instid0(VALU_DEP_1) | instskip(NEXT) | instid1(VALU_DEP_1)
	v_lshrrev_b32_e32 v37, s48, v37
	v_and_b32_e32 v37, s55, v37
	s_delay_alu instid0(VALU_DEP_1)
	v_and_b32_e32 v162, 1, v37
	v_lshlrev_b32_e32 v163, 30, v37
	v_lshlrev_b32_e32 v164, 29, v37
	;; [unrolled: 1-line block ×4, first 2 shown]
	v_add_co_u32 v162, s16, v162, -1
	s_delay_alu instid0(VALU_DEP_1)
	v_cndmask_b32_e64 v167, 0, 1, s16
	v_not_b32_e32 v173, v163
	v_cmp_gt_i32_e64 s16, 0, v163
	v_not_b32_e32 v163, v164
	v_lshlrev_b32_e32 v171, 26, v37
	v_cmp_ne_u32_e32 vcc_lo, 0, v167
	v_ashrrev_i32_e32 v173, 31, v173
	v_lshlrev_b32_e32 v172, 25, v37
	v_ashrrev_i32_e32 v163, 31, v163
	v_lshlrev_b32_e32 v167, 24, v37
	v_xor_b32_e32 v162, vcc_lo, v162
	v_cmp_gt_i32_e32 vcc_lo, 0, v164
	v_not_b32_e32 v164, v166
	v_xor_b32_e32 v173, s16, v173
	v_cmp_gt_i32_e64 s16, 0, v166
	v_and_b32_e32 v162, exec_lo, v162
	v_not_b32_e32 v166, v168
	v_ashrrev_i32_e32 v164, 31, v164
	v_xor_b32_e32 v163, vcc_lo, v163
	v_cmp_gt_i32_e32 vcc_lo, 0, v168
	v_and_b32_e32 v162, v162, v173
	v_not_b32_e32 v168, v171
	v_ashrrev_i32_e32 v166, 31, v166
	v_xor_b32_e32 v164, s16, v164
	v_cmp_gt_i32_e64 s16, 0, v171
	v_and_b32_e32 v162, v162, v163
	v_not_b32_e32 v163, v172
	v_ashrrev_i32_e32 v168, 31, v168
	v_xor_b32_e32 v166, vcc_lo, v166
	v_cmp_gt_i32_e32 vcc_lo, 0, v172
	v_and_b32_e32 v162, v162, v164
	v_not_b32_e32 v164, v167
	v_ashrrev_i32_e32 v163, 31, v163
	v_xor_b32_e32 v168, s16, v168
	v_mul_u32_u24_e32 v37, 9, v37
	v_and_b32_e32 v162, v162, v166
	v_cmp_gt_i32_e64 s16, 0, v167
	v_ashrrev_i32_e32 v164, 31, v164
	v_xor_b32_e32 v163, vcc_lo, v163
	v_add_lshl_u32 v166, v37, v126, 2
	v_and_b32_e32 v162, v162, v168
	s_delay_alu instid0(VALU_DEP_4) | instskip(NEXT) | instid1(VALU_DEP_3)
	v_xor_b32_e32 v37, s16, v164
	v_add_nc_u32_e32 v164, 0x420, v166
	s_delay_alu instid0(VALU_DEP_3) | instskip(SKIP_2) | instid1(VALU_DEP_1)
	v_and_b32_e32 v163, v162, v163
	ds_load_b32 v162, v166 offset:1056
	; wave barrier
	v_and_b32_e32 v37, v163, v37
	v_mbcnt_lo_u32_b32 v163, v37, 0
	v_cmp_ne_u32_e64 s16, 0, v37
	s_delay_alu instid0(VALU_DEP_2) | instskip(NEXT) | instid1(VALU_DEP_2)
	v_cmp_eq_u32_e32 vcc_lo, 0, v163
	s_and_b32 s17, s16, vcc_lo
	s_delay_alu instid0(SALU_CYCLE_1)
	s_and_saveexec_b32 s16, s17
	s_cbranch_execz .LBB1954_144
; %bb.143:                              ;   in Loop: Header=BB1954_98 Depth=2
	s_waitcnt lgkmcnt(0)
	v_bcnt_u32_b32 v37, v37, v162
	ds_store_b32 v164, v37
.LBB1954_144:                           ;   in Loop: Header=BB1954_98 Depth=2
	s_or_b32 exec_lo, exec_lo, s16
	v_cmp_gt_i16_e64 vcc_lo, 0, v161
	; wave barrier
	s_delay_alu instid0(VALU_DEP_1) | instskip(NEXT) | instid1(VALU_DEP_1)
	v_cndmask_b32_e64 v37, 0x7fff, 0, vcc_lo
	v_xor_b32_e32 v161, v37, v161
	s_delay_alu instid0(VALU_DEP_1) | instskip(SKIP_1) | instid1(VALU_DEP_1)
	v_cmp_ne_u16_e64 vcc_lo, 0x8000, v161
	v_cndmask_b32_e32 v37, 0x7fff, v161, vcc_lo
	v_and_b32_e32 v37, 0xffff, v37
	s_delay_alu instid0(VALU_DEP_1) | instskip(NEXT) | instid1(VALU_DEP_1)
	v_lshrrev_b32_e32 v37, s48, v37
	v_and_b32_e32 v37, s55, v37
	s_delay_alu instid0(VALU_DEP_1)
	v_and_b32_e32 v166, 1, v37
	v_lshlrev_b32_e32 v167, 30, v37
	v_lshlrev_b32_e32 v168, 29, v37
	;; [unrolled: 1-line block ×4, first 2 shown]
	v_add_co_u32 v166, s16, v166, -1
	s_delay_alu instid0(VALU_DEP_1)
	v_cndmask_b32_e64 v172, 0, 1, s16
	v_not_b32_e32 v176, v167
	v_cmp_gt_i32_e64 s16, 0, v167
	v_not_b32_e32 v167, v168
	v_lshlrev_b32_e32 v174, 26, v37
	v_cmp_ne_u32_e32 vcc_lo, 0, v172
	v_ashrrev_i32_e32 v176, 31, v176
	v_lshlrev_b32_e32 v175, 25, v37
	v_ashrrev_i32_e32 v167, 31, v167
	v_lshlrev_b32_e32 v172, 24, v37
	v_xor_b32_e32 v166, vcc_lo, v166
	v_cmp_gt_i32_e32 vcc_lo, 0, v168
	v_not_b32_e32 v168, v171
	v_xor_b32_e32 v176, s16, v176
	v_cmp_gt_i32_e64 s16, 0, v171
	v_and_b32_e32 v166, exec_lo, v166
	v_not_b32_e32 v171, v173
	v_ashrrev_i32_e32 v168, 31, v168
	v_xor_b32_e32 v167, vcc_lo, v167
	v_cmp_gt_i32_e32 vcc_lo, 0, v173
	v_and_b32_e32 v166, v166, v176
	v_not_b32_e32 v173, v174
	v_ashrrev_i32_e32 v171, 31, v171
	v_xor_b32_e32 v168, s16, v168
	v_cmp_gt_i32_e64 s16, 0, v174
	v_and_b32_e32 v166, v166, v167
	v_not_b32_e32 v167, v175
	v_ashrrev_i32_e32 v173, 31, v173
	v_xor_b32_e32 v171, vcc_lo, v171
	v_cmp_gt_i32_e32 vcc_lo, 0, v175
	v_and_b32_e32 v166, v166, v168
	v_not_b32_e32 v168, v172
	v_ashrrev_i32_e32 v167, 31, v167
	v_xor_b32_e32 v173, s16, v173
	v_mul_u32_u24_e32 v37, 9, v37
	v_and_b32_e32 v166, v166, v171
	v_cmp_gt_i32_e64 s16, 0, v172
	v_ashrrev_i32_e32 v168, 31, v168
	v_xor_b32_e32 v167, vcc_lo, v167
	v_add_lshl_u32 v171, v37, v126, 2
	v_and_b32_e32 v166, v166, v173
	s_delay_alu instid0(VALU_DEP_4) | instskip(NEXT) | instid1(VALU_DEP_3)
	v_xor_b32_e32 v37, s16, v168
	v_add_nc_u32_e32 v168, 0x420, v171
	s_delay_alu instid0(VALU_DEP_3) | instskip(SKIP_2) | instid1(VALU_DEP_1)
	v_and_b32_e32 v167, v166, v167
	ds_load_b32 v166, v171 offset:1056
	; wave barrier
	v_and_b32_e32 v37, v167, v37
	v_mbcnt_lo_u32_b32 v167, v37, 0
	v_cmp_ne_u32_e64 s16, 0, v37
	s_delay_alu instid0(VALU_DEP_2) | instskip(NEXT) | instid1(VALU_DEP_2)
	v_cmp_eq_u32_e32 vcc_lo, 0, v167
	s_and_b32 s17, s16, vcc_lo
	s_delay_alu instid0(SALU_CYCLE_1)
	s_and_saveexec_b32 s16, s17
	s_cbranch_execz .LBB1954_146
; %bb.145:                              ;   in Loop: Header=BB1954_98 Depth=2
	s_waitcnt lgkmcnt(0)
	v_bcnt_u32_b32 v37, v37, v166
	ds_store_b32 v168, v37
.LBB1954_146:                           ;   in Loop: Header=BB1954_98 Depth=2
	s_or_b32 exec_lo, exec_lo, s16
	v_cmp_gt_i16_e64 vcc_lo, 0, v165
	; wave barrier
	s_delay_alu instid0(VALU_DEP_1) | instskip(NEXT) | instid1(VALU_DEP_1)
	v_cndmask_b32_e64 v37, 0x7fff, 0, vcc_lo
	v_xor_b32_e32 v165, v37, v165
	s_delay_alu instid0(VALU_DEP_1) | instskip(SKIP_1) | instid1(VALU_DEP_1)
	v_cmp_ne_u16_e64 vcc_lo, 0x8000, v165
	v_cndmask_b32_e32 v37, 0x7fff, v165, vcc_lo
	v_and_b32_e32 v37, 0xffff, v37
	s_delay_alu instid0(VALU_DEP_1) | instskip(NEXT) | instid1(VALU_DEP_1)
	v_lshrrev_b32_e32 v37, s48, v37
	v_and_b32_e32 v37, s55, v37
	s_delay_alu instid0(VALU_DEP_1)
	v_and_b32_e32 v171, 1, v37
	v_lshlrev_b32_e32 v172, 30, v37
	v_lshlrev_b32_e32 v173, 29, v37
	v_lshlrev_b32_e32 v174, 28, v37
	v_lshlrev_b32_e32 v176, 27, v37
	v_add_co_u32 v171, s16, v171, -1
	s_delay_alu instid0(VALU_DEP_1)
	v_cndmask_b32_e64 v175, 0, 1, s16
	v_not_b32_e32 v179, v172
	v_cmp_gt_i32_e64 s16, 0, v172
	v_not_b32_e32 v172, v173
	v_lshlrev_b32_e32 v177, 26, v37
	v_cmp_ne_u32_e32 vcc_lo, 0, v175
	v_ashrrev_i32_e32 v179, 31, v179
	v_lshlrev_b32_e32 v178, 25, v37
	v_ashrrev_i32_e32 v172, 31, v172
	v_lshlrev_b32_e32 v175, 24, v37
	v_xor_b32_e32 v171, vcc_lo, v171
	v_cmp_gt_i32_e32 vcc_lo, 0, v173
	v_not_b32_e32 v173, v174
	v_xor_b32_e32 v179, s16, v179
	v_cmp_gt_i32_e64 s16, 0, v174
	v_and_b32_e32 v171, exec_lo, v171
	v_not_b32_e32 v174, v176
	v_ashrrev_i32_e32 v173, 31, v173
	v_xor_b32_e32 v172, vcc_lo, v172
	v_cmp_gt_i32_e32 vcc_lo, 0, v176
	v_and_b32_e32 v171, v171, v179
	v_not_b32_e32 v176, v177
	v_ashrrev_i32_e32 v174, 31, v174
	v_xor_b32_e32 v173, s16, v173
	v_cmp_gt_i32_e64 s16, 0, v177
	v_and_b32_e32 v171, v171, v172
	v_not_b32_e32 v172, v178
	v_ashrrev_i32_e32 v176, 31, v176
	v_xor_b32_e32 v174, vcc_lo, v174
	v_cmp_gt_i32_e32 vcc_lo, 0, v178
	v_and_b32_e32 v171, v171, v173
	v_not_b32_e32 v173, v175
	v_ashrrev_i32_e32 v172, 31, v172
	v_xor_b32_e32 v176, s16, v176
	v_mul_u32_u24_e32 v37, 9, v37
	v_and_b32_e32 v171, v171, v174
	v_cmp_gt_i32_e64 s16, 0, v175
	v_ashrrev_i32_e32 v173, 31, v173
	v_xor_b32_e32 v172, vcc_lo, v172
	v_add_lshl_u32 v174, v37, v126, 2
	v_and_b32_e32 v171, v171, v176
	s_delay_alu instid0(VALU_DEP_4) | instskip(NEXT) | instid1(VALU_DEP_3)
	v_xor_b32_e32 v37, s16, v173
	v_add_nc_u32_e32 v173, 0x420, v174
	s_delay_alu instid0(VALU_DEP_3) | instskip(SKIP_2) | instid1(VALU_DEP_1)
	v_and_b32_e32 v172, v171, v172
	ds_load_b32 v171, v174 offset:1056
	; wave barrier
	v_and_b32_e32 v37, v172, v37
	v_mbcnt_lo_u32_b32 v172, v37, 0
	v_cmp_ne_u32_e64 s16, 0, v37
	s_delay_alu instid0(VALU_DEP_2) | instskip(NEXT) | instid1(VALU_DEP_2)
	v_cmp_eq_u32_e32 vcc_lo, 0, v172
	s_and_b32 s17, s16, vcc_lo
	s_delay_alu instid0(SALU_CYCLE_1)
	s_and_saveexec_b32 s16, s17
	s_cbranch_execz .LBB1954_148
; %bb.147:                              ;   in Loop: Header=BB1954_98 Depth=2
	s_waitcnt lgkmcnt(0)
	v_bcnt_u32_b32 v37, v37, v171
	ds_store_b32 v173, v37
.LBB1954_148:                           ;   in Loop: Header=BB1954_98 Depth=2
	s_or_b32 exec_lo, exec_lo, s16
	v_cmp_gt_i16_e64 vcc_lo, 0, v170
	; wave barrier
	s_delay_alu instid0(VALU_DEP_1) | instskip(NEXT) | instid1(VALU_DEP_1)
	v_cndmask_b32_e64 v37, 0x7fff, 0, vcc_lo
	v_xor_b32_e32 v170, v37, v170
	s_delay_alu instid0(VALU_DEP_1) | instskip(SKIP_1) | instid1(VALU_DEP_1)
	v_cmp_ne_u16_e64 vcc_lo, 0x8000, v170
	v_cndmask_b32_e32 v37, 0x7fff, v170, vcc_lo
	v_and_b32_e32 v37, 0xffff, v37
	s_delay_alu instid0(VALU_DEP_1) | instskip(NEXT) | instid1(VALU_DEP_1)
	v_lshrrev_b32_e32 v37, s48, v37
	v_and_b32_e32 v37, s55, v37
	s_delay_alu instid0(VALU_DEP_1)
	v_and_b32_e32 v174, 1, v37
	v_lshlrev_b32_e32 v175, 30, v37
	v_lshlrev_b32_e32 v176, 29, v37
	;; [unrolled: 1-line block ×4, first 2 shown]
	v_add_co_u32 v174, s16, v174, -1
	s_delay_alu instid0(VALU_DEP_1)
	v_cndmask_b32_e64 v178, 0, 1, s16
	v_not_b32_e32 v182, v175
	v_cmp_gt_i32_e64 s16, 0, v175
	v_not_b32_e32 v175, v176
	v_lshlrev_b32_e32 v180, 26, v37
	v_cmp_ne_u32_e32 vcc_lo, 0, v178
	v_ashrrev_i32_e32 v182, 31, v182
	v_lshlrev_b32_e32 v181, 25, v37
	v_ashrrev_i32_e32 v175, 31, v175
	v_lshlrev_b32_e32 v178, 24, v37
	v_xor_b32_e32 v174, vcc_lo, v174
	v_cmp_gt_i32_e32 vcc_lo, 0, v176
	v_not_b32_e32 v176, v177
	v_xor_b32_e32 v182, s16, v182
	v_cmp_gt_i32_e64 s16, 0, v177
	v_and_b32_e32 v174, exec_lo, v174
	v_not_b32_e32 v177, v179
	v_ashrrev_i32_e32 v176, 31, v176
	v_xor_b32_e32 v175, vcc_lo, v175
	v_cmp_gt_i32_e32 vcc_lo, 0, v179
	v_and_b32_e32 v174, v174, v182
	v_not_b32_e32 v179, v180
	v_ashrrev_i32_e32 v177, 31, v177
	v_xor_b32_e32 v176, s16, v176
	v_cmp_gt_i32_e64 s16, 0, v180
	v_and_b32_e32 v174, v174, v175
	v_not_b32_e32 v175, v181
	v_ashrrev_i32_e32 v179, 31, v179
	v_xor_b32_e32 v177, vcc_lo, v177
	v_cmp_gt_i32_e32 vcc_lo, 0, v181
	v_and_b32_e32 v174, v174, v176
	v_not_b32_e32 v176, v178
	v_ashrrev_i32_e32 v175, 31, v175
	v_xor_b32_e32 v179, s16, v179
	v_mul_u32_u24_e32 v37, 9, v37
	v_and_b32_e32 v174, v174, v177
	v_cmp_gt_i32_e64 s16, 0, v178
	v_ashrrev_i32_e32 v176, 31, v176
	v_xor_b32_e32 v175, vcc_lo, v175
	v_add_lshl_u32 v177, v37, v126, 2
	v_and_b32_e32 v174, v174, v179
	s_delay_alu instid0(VALU_DEP_4) | instskip(NEXT) | instid1(VALU_DEP_3)
	v_xor_b32_e32 v37, s16, v176
	v_add_nc_u32_e32 v176, 0x420, v177
	s_delay_alu instid0(VALU_DEP_3) | instskip(SKIP_2) | instid1(VALU_DEP_1)
	v_and_b32_e32 v175, v174, v175
	ds_load_b32 v174, v177 offset:1056
	; wave barrier
	v_and_b32_e32 v37, v175, v37
	v_mbcnt_lo_u32_b32 v175, v37, 0
	v_cmp_ne_u32_e64 s16, 0, v37
	s_delay_alu instid0(VALU_DEP_2) | instskip(NEXT) | instid1(VALU_DEP_2)
	v_cmp_eq_u32_e32 vcc_lo, 0, v175
	s_and_b32 s17, s16, vcc_lo
	s_delay_alu instid0(SALU_CYCLE_1)
	s_and_saveexec_b32 s16, s17
	s_cbranch_execz .LBB1954_150
; %bb.149:                              ;   in Loop: Header=BB1954_98 Depth=2
	s_waitcnt lgkmcnt(0)
	v_bcnt_u32_b32 v37, v37, v174
	ds_store_b32 v176, v37
.LBB1954_150:                           ;   in Loop: Header=BB1954_98 Depth=2
	s_or_b32 exec_lo, exec_lo, s16
	v_cmp_gt_i16_e64 vcc_lo, 0, v169
	; wave barrier
	s_delay_alu instid0(VALU_DEP_1) | instskip(NEXT) | instid1(VALU_DEP_1)
	v_cndmask_b32_e64 v37, 0x7fff, 0, vcc_lo
	v_xor_b32_e32 v169, v37, v169
	s_delay_alu instid0(VALU_DEP_1) | instskip(SKIP_1) | instid1(VALU_DEP_1)
	v_cmp_ne_u16_e64 vcc_lo, 0x8000, v169
	v_cndmask_b32_e32 v37, 0x7fff, v169, vcc_lo
	v_and_b32_e32 v37, 0xffff, v37
	s_delay_alu instid0(VALU_DEP_1) | instskip(NEXT) | instid1(VALU_DEP_1)
	v_lshrrev_b32_e32 v37, s48, v37
	v_and_b32_e32 v37, s55, v37
	s_delay_alu instid0(VALU_DEP_1)
	v_and_b32_e32 v177, 1, v37
	v_lshlrev_b32_e32 v178, 30, v37
	v_lshlrev_b32_e32 v179, 29, v37
	;; [unrolled: 1-line block ×4, first 2 shown]
	v_add_co_u32 v177, s16, v177, -1
	s_delay_alu instid0(VALU_DEP_1)
	v_cndmask_b32_e64 v181, 0, 1, s16
	v_not_b32_e32 v185, v178
	v_cmp_gt_i32_e64 s16, 0, v178
	v_not_b32_e32 v178, v179
	v_lshlrev_b32_e32 v183, 26, v37
	v_cmp_ne_u32_e32 vcc_lo, 0, v181
	v_ashrrev_i32_e32 v185, 31, v185
	v_lshlrev_b32_e32 v184, 25, v37
	v_ashrrev_i32_e32 v178, 31, v178
	v_lshlrev_b32_e32 v181, 24, v37
	v_xor_b32_e32 v177, vcc_lo, v177
	v_cmp_gt_i32_e32 vcc_lo, 0, v179
	v_not_b32_e32 v179, v180
	v_xor_b32_e32 v185, s16, v185
	v_cmp_gt_i32_e64 s16, 0, v180
	v_and_b32_e32 v177, exec_lo, v177
	v_not_b32_e32 v180, v182
	v_ashrrev_i32_e32 v179, 31, v179
	v_xor_b32_e32 v178, vcc_lo, v178
	v_cmp_gt_i32_e32 vcc_lo, 0, v182
	v_and_b32_e32 v177, v177, v185
	v_not_b32_e32 v182, v183
	v_ashrrev_i32_e32 v180, 31, v180
	v_xor_b32_e32 v179, s16, v179
	v_cmp_gt_i32_e64 s16, 0, v183
	v_and_b32_e32 v177, v177, v178
	v_not_b32_e32 v178, v184
	v_ashrrev_i32_e32 v182, 31, v182
	v_xor_b32_e32 v180, vcc_lo, v180
	v_cmp_gt_i32_e32 vcc_lo, 0, v184
	v_and_b32_e32 v177, v177, v179
	v_not_b32_e32 v179, v181
	v_ashrrev_i32_e32 v178, 31, v178
	v_xor_b32_e32 v182, s16, v182
	v_mul_u32_u24_e32 v37, 9, v37
	v_and_b32_e32 v177, v177, v180
	v_cmp_gt_i32_e64 s16, 0, v181
	v_ashrrev_i32_e32 v179, 31, v179
	v_xor_b32_e32 v178, vcc_lo, v178
	v_add_lshl_u32 v180, v37, v126, 2
	v_and_b32_e32 v177, v177, v182
	s_delay_alu instid0(VALU_DEP_4) | instskip(NEXT) | instid1(VALU_DEP_2)
	v_xor_b32_e32 v37, s16, v179
	v_and_b32_e32 v177, v177, v178
	ds_load_b32 v178, v180 offset:1056
	v_add_nc_u32_e32 v180, 0x420, v180
	; wave barrier
	v_and_b32_e32 v37, v177, v37
	s_delay_alu instid0(VALU_DEP_1) | instskip(SKIP_1) | instid1(VALU_DEP_2)
	v_mbcnt_lo_u32_b32 v179, v37, 0
	v_cmp_ne_u32_e64 s16, 0, v37
	v_cmp_eq_u32_e32 vcc_lo, 0, v179
	s_delay_alu instid0(VALU_DEP_2) | instskip(NEXT) | instid1(SALU_CYCLE_1)
	s_and_b32 s17, s16, vcc_lo
	s_and_saveexec_b32 s16, s17
	s_cbranch_execz .LBB1954_152
; %bb.151:                              ;   in Loop: Header=BB1954_98 Depth=2
	s_waitcnt lgkmcnt(0)
	v_bcnt_u32_b32 v37, v37, v178
	ds_store_b32 v180, v37
.LBB1954_152:                           ;   in Loop: Header=BB1954_98 Depth=2
	s_or_b32 exec_lo, exec_lo, s16
	v_cmp_gt_i16_e32 vcc_lo, 0, v43
	; wave barrier
	v_cndmask_b32_e64 v37, 0x7fff, 0, vcc_lo
	s_delay_alu instid0(VALU_DEP_1) | instskip(NEXT) | instid1(VALU_DEP_1)
	v_xor_b32_e32 v177, v37, v43
	v_cmp_ne_u16_e64 vcc_lo, 0x8000, v177
	v_cndmask_b32_e32 v37, 0x7fff, v177, vcc_lo
	s_delay_alu instid0(VALU_DEP_1) | instskip(NEXT) | instid1(VALU_DEP_1)
	v_and_b32_e32 v37, 0xffff, v37
	v_lshrrev_b32_e32 v37, s48, v37
	s_delay_alu instid0(VALU_DEP_1) | instskip(NEXT) | instid1(VALU_DEP_1)
	v_and_b32_e32 v37, s55, v37
	v_and_b32_e32 v43, 1, v37
	v_lshlrev_b32_e32 v181, 30, v37
	v_lshlrev_b32_e32 v182, 29, v37
	;; [unrolled: 1-line block ×4, first 2 shown]
	v_add_co_u32 v43, s16, v43, -1
	s_delay_alu instid0(VALU_DEP_1)
	v_cndmask_b32_e64 v184, 0, 1, s16
	v_not_b32_e32 v188, v181
	v_cmp_gt_i32_e64 s16, 0, v181
	v_not_b32_e32 v181, v182
	v_lshlrev_b32_e32 v186, 26, v37
	v_cmp_ne_u32_e32 vcc_lo, 0, v184
	v_ashrrev_i32_e32 v188, 31, v188
	v_lshlrev_b32_e32 v187, 25, v37
	v_ashrrev_i32_e32 v181, 31, v181
	v_lshlrev_b32_e32 v184, 24, v37
	v_xor_b32_e32 v43, vcc_lo, v43
	v_cmp_gt_i32_e32 vcc_lo, 0, v182
	v_not_b32_e32 v182, v183
	v_xor_b32_e32 v188, s16, v188
	v_cmp_gt_i32_e64 s16, 0, v183
	v_and_b32_e32 v43, exec_lo, v43
	v_not_b32_e32 v183, v185
	v_ashrrev_i32_e32 v182, 31, v182
	v_xor_b32_e32 v181, vcc_lo, v181
	v_cmp_gt_i32_e32 vcc_lo, 0, v185
	v_and_b32_e32 v43, v43, v188
	v_not_b32_e32 v185, v186
	v_ashrrev_i32_e32 v183, 31, v183
	v_xor_b32_e32 v182, s16, v182
	v_cmp_gt_i32_e64 s16, 0, v186
	v_and_b32_e32 v43, v43, v181
	v_not_b32_e32 v181, v187
	v_ashrrev_i32_e32 v185, 31, v185
	v_xor_b32_e32 v183, vcc_lo, v183
	v_cmp_gt_i32_e32 vcc_lo, 0, v187
	v_and_b32_e32 v43, v43, v182
	v_not_b32_e32 v182, v184
	v_ashrrev_i32_e32 v181, 31, v181
	v_xor_b32_e32 v185, s16, v185
	v_mul_u32_u24_e32 v37, 9, v37
	v_and_b32_e32 v43, v43, v183
	v_cmp_gt_i32_e64 s16, 0, v184
	v_ashrrev_i32_e32 v182, 31, v182
	v_xor_b32_e32 v181, vcc_lo, v181
	v_add_lshl_u32 v184, v37, v126, 2
	v_and_b32_e32 v43, v43, v185
	s_delay_alu instid0(VALU_DEP_4) | instskip(SKIP_3) | instid1(VALU_DEP_2)
	v_xor_b32_e32 v37, s16, v182
	ds_load_b32 v182, v184 offset:1056
	v_and_b32_e32 v43, v43, v181
	v_add_nc_u32_e32 v184, 0x420, v184
	; wave barrier
	v_and_b32_e32 v37, v43, v37
	s_delay_alu instid0(VALU_DEP_1) | instskip(SKIP_1) | instid1(VALU_DEP_2)
	v_mbcnt_lo_u32_b32 v183, v37, 0
	v_cmp_ne_u32_e64 s16, 0, v37
	v_cmp_eq_u32_e32 vcc_lo, 0, v183
	s_delay_alu instid0(VALU_DEP_2) | instskip(NEXT) | instid1(SALU_CYCLE_1)
	s_and_b32 s17, s16, vcc_lo
	s_and_saveexec_b32 s16, s17
	s_cbranch_execz .LBB1954_154
; %bb.153:                              ;   in Loop: Header=BB1954_98 Depth=2
	s_waitcnt lgkmcnt(0)
	v_bcnt_u32_b32 v37, v37, v182
	ds_store_b32 v184, v37
.LBB1954_154:                           ;   in Loop: Header=BB1954_98 Depth=2
	s_or_b32 exec_lo, exec_lo, s16
	v_cmp_gt_i16_e32 vcc_lo, 0, v42
	; wave barrier
	v_cndmask_b32_e64 v37, 0x7fff, 0, vcc_lo
	s_delay_alu instid0(VALU_DEP_1) | instskip(NEXT) | instid1(VALU_DEP_1)
	v_xor_b32_e32 v181, v37, v42
	v_cmp_ne_u16_e64 vcc_lo, 0x8000, v181
	v_cndmask_b32_e32 v37, 0x7fff, v181, vcc_lo
	s_delay_alu instid0(VALU_DEP_1) | instskip(NEXT) | instid1(VALU_DEP_1)
	v_and_b32_e32 v37, 0xffff, v37
	v_lshrrev_b32_e32 v37, s48, v37
	s_delay_alu instid0(VALU_DEP_1) | instskip(NEXT) | instid1(VALU_DEP_1)
	v_and_b32_e32 v37, s55, v37
	v_and_b32_e32 v42, 1, v37
	v_lshlrev_b32_e32 v43, 30, v37
	v_lshlrev_b32_e32 v185, 29, v37
	;; [unrolled: 1-line block ×4, first 2 shown]
	v_add_co_u32 v42, s16, v42, -1
	s_delay_alu instid0(VALU_DEP_1)
	v_cndmask_b32_e64 v187, 0, 1, s16
	v_not_b32_e32 v191, v43
	v_cmp_gt_i32_e64 s16, 0, v43
	v_not_b32_e32 v43, v185
	v_lshlrev_b32_e32 v189, 26, v37
	v_cmp_ne_u32_e32 vcc_lo, 0, v187
	v_ashrrev_i32_e32 v191, 31, v191
	v_lshlrev_b32_e32 v190, 25, v37
	v_ashrrev_i32_e32 v43, 31, v43
	v_lshlrev_b32_e32 v187, 24, v37
	v_xor_b32_e32 v42, vcc_lo, v42
	v_cmp_gt_i32_e32 vcc_lo, 0, v185
	v_not_b32_e32 v185, v186
	v_xor_b32_e32 v191, s16, v191
	v_cmp_gt_i32_e64 s16, 0, v186
	v_and_b32_e32 v42, exec_lo, v42
	v_not_b32_e32 v186, v188
	v_ashrrev_i32_e32 v185, 31, v185
	v_xor_b32_e32 v43, vcc_lo, v43
	v_cmp_gt_i32_e32 vcc_lo, 0, v188
	v_and_b32_e32 v42, v42, v191
	v_not_b32_e32 v188, v189
	v_ashrrev_i32_e32 v186, 31, v186
	v_xor_b32_e32 v185, s16, v185
	v_cmp_gt_i32_e64 s16, 0, v189
	v_and_b32_e32 v42, v42, v43
	v_not_b32_e32 v43, v190
	v_ashrrev_i32_e32 v188, 31, v188
	v_xor_b32_e32 v186, vcc_lo, v186
	v_cmp_gt_i32_e32 vcc_lo, 0, v190
	v_and_b32_e32 v42, v42, v185
	v_not_b32_e32 v185, v187
	v_ashrrev_i32_e32 v43, 31, v43
	v_xor_b32_e32 v188, s16, v188
	v_mul_u32_u24_e32 v37, 9, v37
	v_and_b32_e32 v42, v42, v186
	v_cmp_gt_i32_e64 s16, 0, v187
	v_ashrrev_i32_e32 v185, 31, v185
	v_xor_b32_e32 v43, vcc_lo, v43
	s_delay_alu instid0(VALU_DEP_4) | instskip(SKIP_1) | instid1(VALU_DEP_4)
	v_and_b32_e32 v42, v42, v188
	v_add_lshl_u32 v188, v37, v126, 2
	v_xor_b32_e32 v37, s16, v185
	s_delay_alu instid0(VALU_DEP_3) | instskip(SKIP_3) | instid1(VALU_DEP_1)
	v_and_b32_e32 v42, v42, v43
	ds_load_b32 v186, v188 offset:1056
	v_add_nc_u32_e32 v188, 0x420, v188
	; wave barrier
	v_and_b32_e32 v37, v42, v37
	v_mbcnt_lo_u32_b32 v187, v37, 0
	v_cmp_ne_u32_e64 s16, 0, v37
	s_delay_alu instid0(VALU_DEP_2) | instskip(NEXT) | instid1(VALU_DEP_2)
	v_cmp_eq_u32_e32 vcc_lo, 0, v187
	s_and_b32 s17, s16, vcc_lo
	s_delay_alu instid0(SALU_CYCLE_1)
	s_and_saveexec_b32 s16, s17
	s_cbranch_execz .LBB1954_156
; %bb.155:                              ;   in Loop: Header=BB1954_98 Depth=2
	s_waitcnt lgkmcnt(0)
	v_bcnt_u32_b32 v37, v37, v186
	ds_store_b32 v188, v37
.LBB1954_156:                           ;   in Loop: Header=BB1954_98 Depth=2
	s_or_b32 exec_lo, exec_lo, s16
	v_cmp_gt_i16_e32 vcc_lo, 0, v41
	; wave barrier
	v_cndmask_b32_e64 v37, 0x7fff, 0, vcc_lo
	s_delay_alu instid0(VALU_DEP_1) | instskip(NEXT) | instid1(VALU_DEP_1)
	v_xor_b32_e32 v185, v37, v41
	v_cmp_ne_u16_e64 vcc_lo, 0x8000, v185
	v_cndmask_b32_e32 v37, 0x7fff, v185, vcc_lo
	s_delay_alu instid0(VALU_DEP_1) | instskip(NEXT) | instid1(VALU_DEP_1)
	v_and_b32_e32 v37, 0xffff, v37
	v_lshrrev_b32_e32 v37, s48, v37
	s_delay_alu instid0(VALU_DEP_1) | instskip(NEXT) | instid1(VALU_DEP_1)
	v_and_b32_e32 v37, s55, v37
	v_and_b32_e32 v41, 1, v37
	v_lshlrev_b32_e32 v42, 30, v37
	v_lshlrev_b32_e32 v43, 29, v37
	;; [unrolled: 1-line block ×4, first 2 shown]
	v_add_co_u32 v41, s16, v41, -1
	s_delay_alu instid0(VALU_DEP_1)
	v_cndmask_b32_e64 v190, 0, 1, s16
	v_not_b32_e32 v194, v42
	v_cmp_gt_i32_e64 s16, 0, v42
	v_not_b32_e32 v42, v43
	v_lshlrev_b32_e32 v192, 26, v37
	v_cmp_ne_u32_e32 vcc_lo, 0, v190
	v_ashrrev_i32_e32 v194, 31, v194
	v_lshlrev_b32_e32 v193, 25, v37
	v_ashrrev_i32_e32 v42, 31, v42
	v_lshlrev_b32_e32 v190, 24, v37
	v_xor_b32_e32 v41, vcc_lo, v41
	v_cmp_gt_i32_e32 vcc_lo, 0, v43
	v_not_b32_e32 v43, v189
	v_xor_b32_e32 v194, s16, v194
	v_cmp_gt_i32_e64 s16, 0, v189
	v_and_b32_e32 v41, exec_lo, v41
	v_not_b32_e32 v189, v191
	v_ashrrev_i32_e32 v43, 31, v43
	v_xor_b32_e32 v42, vcc_lo, v42
	v_cmp_gt_i32_e32 vcc_lo, 0, v191
	v_and_b32_e32 v41, v41, v194
	v_not_b32_e32 v191, v192
	v_ashrrev_i32_e32 v189, 31, v189
	v_xor_b32_e32 v43, s16, v43
	v_cmp_gt_i32_e64 s16, 0, v192
	v_and_b32_e32 v41, v41, v42
	v_not_b32_e32 v42, v193
	v_ashrrev_i32_e32 v191, 31, v191
	v_xor_b32_e32 v189, vcc_lo, v189
	v_cmp_gt_i32_e32 vcc_lo, 0, v193
	v_and_b32_e32 v41, v41, v43
	v_not_b32_e32 v43, v190
	v_ashrrev_i32_e32 v42, 31, v42
	v_xor_b32_e32 v191, s16, v191
	v_mul_u32_u24_e32 v37, 9, v37
	v_and_b32_e32 v41, v41, v189
	v_cmp_gt_i32_e64 s16, 0, v190
	v_ashrrev_i32_e32 v43, 31, v43
	v_xor_b32_e32 v42, vcc_lo, v42
	v_add_lshl_u32 v189, v37, v126, 2
	v_and_b32_e32 v41, v41, v191
	s_delay_alu instid0(VALU_DEP_4) | instskip(SKIP_3) | instid1(VALU_DEP_2)
	v_xor_b32_e32 v37, s16, v43
	ds_load_b32 v190, v189 offset:1056
	v_and_b32_e32 v41, v41, v42
	v_add_nc_u32_e32 v192, 0x420, v189
	; wave barrier
	v_and_b32_e32 v37, v41, v37
	s_delay_alu instid0(VALU_DEP_1) | instskip(SKIP_1) | instid1(VALU_DEP_2)
	v_mbcnt_lo_u32_b32 v191, v37, 0
	v_cmp_ne_u32_e64 s16, 0, v37
	v_cmp_eq_u32_e32 vcc_lo, 0, v191
	s_delay_alu instid0(VALU_DEP_2) | instskip(NEXT) | instid1(SALU_CYCLE_1)
	s_and_b32 s17, s16, vcc_lo
	s_and_saveexec_b32 s16, s17
	s_cbranch_execz .LBB1954_158
; %bb.157:                              ;   in Loop: Header=BB1954_98 Depth=2
	s_waitcnt lgkmcnt(0)
	v_bcnt_u32_b32 v37, v37, v190
	ds_store_b32 v192, v37
.LBB1954_158:                           ;   in Loop: Header=BB1954_98 Depth=2
	s_or_b32 exec_lo, exec_lo, s16
	v_cmp_gt_i16_e32 vcc_lo, 0, v40
	; wave barrier
	v_cndmask_b32_e64 v37, 0x7fff, 0, vcc_lo
	s_delay_alu instid0(VALU_DEP_1) | instskip(NEXT) | instid1(VALU_DEP_1)
	v_xor_b32_e32 v189, v37, v40
	v_cmp_ne_u16_e64 vcc_lo, 0x8000, v189
	v_cndmask_b32_e32 v37, 0x7fff, v189, vcc_lo
	s_delay_alu instid0(VALU_DEP_1) | instskip(NEXT) | instid1(VALU_DEP_1)
	v_and_b32_e32 v37, 0xffff, v37
	v_lshrrev_b32_e32 v37, s48, v37
	s_delay_alu instid0(VALU_DEP_1) | instskip(NEXT) | instid1(VALU_DEP_1)
	v_and_b32_e32 v37, s55, v37
	v_and_b32_e32 v40, 1, v37
	v_lshlrev_b32_e32 v41, 30, v37
	v_lshlrev_b32_e32 v42, 29, v37
	;; [unrolled: 1-line block ×4, first 2 shown]
	v_add_co_u32 v40, s16, v40, -1
	s_delay_alu instid0(VALU_DEP_1)
	v_cndmask_b32_e64 v193, 0, 1, s16
	v_not_b32_e32 v197, v41
	v_cmp_gt_i32_e64 s16, 0, v41
	v_not_b32_e32 v41, v42
	v_lshlrev_b32_e32 v195, 26, v37
	v_cmp_ne_u32_e32 vcc_lo, 0, v193
	v_ashrrev_i32_e32 v197, 31, v197
	v_lshlrev_b32_e32 v196, 25, v37
	v_ashrrev_i32_e32 v41, 31, v41
	v_lshlrev_b32_e32 v193, 24, v37
	v_xor_b32_e32 v40, vcc_lo, v40
	v_cmp_gt_i32_e32 vcc_lo, 0, v42
	v_not_b32_e32 v42, v43
	v_xor_b32_e32 v197, s16, v197
	v_cmp_gt_i32_e64 s16, 0, v43
	v_and_b32_e32 v40, exec_lo, v40
	v_not_b32_e32 v43, v194
	v_ashrrev_i32_e32 v42, 31, v42
	v_xor_b32_e32 v41, vcc_lo, v41
	v_cmp_gt_i32_e32 vcc_lo, 0, v194
	v_and_b32_e32 v40, v40, v197
	v_not_b32_e32 v194, v195
	v_ashrrev_i32_e32 v43, 31, v43
	v_xor_b32_e32 v42, s16, v42
	v_cmp_gt_i32_e64 s16, 0, v195
	v_and_b32_e32 v40, v40, v41
	v_not_b32_e32 v41, v196
	v_ashrrev_i32_e32 v194, 31, v194
	v_xor_b32_e32 v43, vcc_lo, v43
	v_cmp_gt_i32_e32 vcc_lo, 0, v196
	v_and_b32_e32 v40, v40, v42
	v_not_b32_e32 v42, v193
	v_ashrrev_i32_e32 v41, 31, v41
	v_xor_b32_e32 v194, s16, v194
	v_mul_u32_u24_e32 v37, 9, v37
	v_and_b32_e32 v40, v40, v43
	v_cmp_gt_i32_e64 s16, 0, v193
	v_ashrrev_i32_e32 v42, 31, v42
	v_xor_b32_e32 v41, vcc_lo, v41
	v_add_lshl_u32 v43, v37, v126, 2
	v_and_b32_e32 v40, v40, v194
	s_delay_alu instid0(VALU_DEP_4) | instskip(SKIP_3) | instid1(VALU_DEP_2)
	v_xor_b32_e32 v37, s16, v42
	ds_load_b32 v194, v43 offset:1056
	v_and_b32_e32 v40, v40, v41
	v_add_nc_u32_e32 v196, 0x420, v43
	; wave barrier
	v_and_b32_e32 v37, v40, v37
	s_delay_alu instid0(VALU_DEP_1) | instskip(SKIP_1) | instid1(VALU_DEP_2)
	v_mbcnt_lo_u32_b32 v195, v37, 0
	v_cmp_ne_u32_e64 s16, 0, v37
	v_cmp_eq_u32_e32 vcc_lo, 0, v195
	s_delay_alu instid0(VALU_DEP_2) | instskip(NEXT) | instid1(SALU_CYCLE_1)
	s_and_b32 s17, s16, vcc_lo
	s_and_saveexec_b32 s16, s17
	s_cbranch_execz .LBB1954_160
; %bb.159:                              ;   in Loop: Header=BB1954_98 Depth=2
	s_waitcnt lgkmcnt(0)
	v_bcnt_u32_b32 v37, v37, v194
	ds_store_b32 v196, v37
.LBB1954_160:                           ;   in Loop: Header=BB1954_98 Depth=2
	s_or_b32 exec_lo, exec_lo, s16
	v_cmp_gt_i16_e32 vcc_lo, 0, v39
	; wave barrier
	v_cndmask_b32_e64 v37, 0x7fff, 0, vcc_lo
	s_delay_alu instid0(VALU_DEP_1) | instskip(NEXT) | instid1(VALU_DEP_1)
	v_xor_b32_e32 v193, v37, v39
	v_cmp_ne_u16_e64 vcc_lo, 0x8000, v193
	v_cndmask_b32_e32 v37, 0x7fff, v193, vcc_lo
	s_delay_alu instid0(VALU_DEP_1) | instskip(NEXT) | instid1(VALU_DEP_1)
	v_and_b32_e32 v37, 0xffff, v37
	v_lshrrev_b32_e32 v37, s48, v37
	s_delay_alu instid0(VALU_DEP_1) | instskip(NEXT) | instid1(VALU_DEP_1)
	v_and_b32_e32 v37, s55, v37
	v_and_b32_e32 v39, 1, v37
	v_lshlrev_b32_e32 v40, 30, v37
	v_lshlrev_b32_e32 v41, 29, v37
	;; [unrolled: 1-line block ×4, first 2 shown]
	v_add_co_u32 v39, s16, v39, -1
	s_delay_alu instid0(VALU_DEP_1)
	v_cndmask_b32_e64 v43, 0, 1, s16
	v_not_b32_e32 v200, v40
	v_cmp_gt_i32_e64 s16, 0, v40
	v_not_b32_e32 v40, v41
	v_lshlrev_b32_e32 v198, 26, v37
	v_cmp_ne_u32_e32 vcc_lo, 0, v43
	v_ashrrev_i32_e32 v200, 31, v200
	v_lshlrev_b32_e32 v199, 25, v37
	v_ashrrev_i32_e32 v40, 31, v40
	v_lshlrev_b32_e32 v43, 24, v37
	v_xor_b32_e32 v39, vcc_lo, v39
	v_cmp_gt_i32_e32 vcc_lo, 0, v41
	v_not_b32_e32 v41, v42
	v_xor_b32_e32 v200, s16, v200
	v_cmp_gt_i32_e64 s16, 0, v42
	v_and_b32_e32 v39, exec_lo, v39
	v_not_b32_e32 v42, v197
	v_ashrrev_i32_e32 v41, 31, v41
	v_xor_b32_e32 v40, vcc_lo, v40
	v_cmp_gt_i32_e32 vcc_lo, 0, v197
	v_and_b32_e32 v39, v39, v200
	v_not_b32_e32 v197, v198
	v_ashrrev_i32_e32 v42, 31, v42
	v_xor_b32_e32 v41, s16, v41
	v_cmp_gt_i32_e64 s16, 0, v198
	v_and_b32_e32 v39, v39, v40
	v_not_b32_e32 v40, v199
	v_ashrrev_i32_e32 v197, 31, v197
	v_xor_b32_e32 v42, vcc_lo, v42
	v_cmp_gt_i32_e32 vcc_lo, 0, v199
	v_and_b32_e32 v39, v39, v41
	v_not_b32_e32 v41, v43
	v_ashrrev_i32_e32 v40, 31, v40
	v_xor_b32_e32 v197, s16, v197
	v_mul_u32_u24_e32 v37, 9, v37
	v_and_b32_e32 v39, v39, v42
	v_cmp_gt_i32_e64 s16, 0, v43
	v_ashrrev_i32_e32 v41, 31, v41
	v_xor_b32_e32 v40, vcc_lo, v40
	v_add_lshl_u32 v42, v37, v126, 2
	v_and_b32_e32 v39, v39, v197
	s_delay_alu instid0(VALU_DEP_4) | instskip(SKIP_3) | instid1(VALU_DEP_2)
	v_xor_b32_e32 v37, s16, v41
	ds_load_b32 v198, v42 offset:1056
	v_and_b32_e32 v39, v39, v40
	v_add_nc_u32_e32 v200, 0x420, v42
	; wave barrier
	v_and_b32_e32 v37, v39, v37
	s_delay_alu instid0(VALU_DEP_1) | instskip(SKIP_1) | instid1(VALU_DEP_2)
	v_mbcnt_lo_u32_b32 v199, v37, 0
	v_cmp_ne_u32_e64 s16, 0, v37
	v_cmp_eq_u32_e32 vcc_lo, 0, v199
	s_delay_alu instid0(VALU_DEP_2) | instskip(NEXT) | instid1(SALU_CYCLE_1)
	s_and_b32 s17, s16, vcc_lo
	s_and_saveexec_b32 s16, s17
	s_cbranch_execz .LBB1954_162
; %bb.161:                              ;   in Loop: Header=BB1954_98 Depth=2
	s_waitcnt lgkmcnt(0)
	v_bcnt_u32_b32 v37, v37, v198
	ds_store_b32 v200, v37
.LBB1954_162:                           ;   in Loop: Header=BB1954_98 Depth=2
	s_or_b32 exec_lo, exec_lo, s16
	v_cmp_gt_i16_e32 vcc_lo, 0, v38
	; wave barrier
	v_cndmask_b32_e64 v37, 0x7fff, 0, vcc_lo
	s_delay_alu instid0(VALU_DEP_1) | instskip(NEXT) | instid1(VALU_DEP_1)
	v_xor_b32_e32 v197, v37, v38
	v_cmp_ne_u16_e64 vcc_lo, 0x8000, v197
	v_cndmask_b32_e32 v37, 0x7fff, v197, vcc_lo
	s_delay_alu instid0(VALU_DEP_1) | instskip(NEXT) | instid1(VALU_DEP_1)
	v_and_b32_e32 v37, 0xffff, v37
	v_lshrrev_b32_e32 v37, s48, v37
	s_delay_alu instid0(VALU_DEP_1) | instskip(NEXT) | instid1(VALU_DEP_1)
	v_and_b32_e32 v37, s55, v37
	v_and_b32_e32 v38, 1, v37
	v_lshlrev_b32_e32 v39, 30, v37
	v_lshlrev_b32_e32 v40, 29, v37
	;; [unrolled: 1-line block ×4, first 2 shown]
	v_add_co_u32 v38, s16, v38, -1
	s_delay_alu instid0(VALU_DEP_1)
	v_cndmask_b32_e64 v42, 0, 1, s16
	v_not_b32_e32 v203, v39
	v_cmp_gt_i32_e64 s16, 0, v39
	v_not_b32_e32 v39, v40
	v_lshlrev_b32_e32 v201, 26, v37
	v_cmp_ne_u32_e32 vcc_lo, 0, v42
	v_ashrrev_i32_e32 v203, 31, v203
	v_lshlrev_b32_e32 v202, 25, v37
	v_ashrrev_i32_e32 v39, 31, v39
	v_lshlrev_b32_e32 v42, 24, v37
	v_xor_b32_e32 v38, vcc_lo, v38
	v_cmp_gt_i32_e32 vcc_lo, 0, v40
	v_not_b32_e32 v40, v41
	v_xor_b32_e32 v203, s16, v203
	v_cmp_gt_i32_e64 s16, 0, v41
	v_and_b32_e32 v38, exec_lo, v38
	v_not_b32_e32 v41, v43
	v_ashrrev_i32_e32 v40, 31, v40
	v_xor_b32_e32 v39, vcc_lo, v39
	v_cmp_gt_i32_e32 vcc_lo, 0, v43
	v_and_b32_e32 v38, v38, v203
	v_not_b32_e32 v43, v201
	v_ashrrev_i32_e32 v41, 31, v41
	v_xor_b32_e32 v40, s16, v40
	v_cmp_gt_i32_e64 s16, 0, v201
	v_and_b32_e32 v38, v38, v39
	v_not_b32_e32 v39, v202
	v_ashrrev_i32_e32 v43, 31, v43
	v_xor_b32_e32 v41, vcc_lo, v41
	v_cmp_gt_i32_e32 vcc_lo, 0, v202
	v_and_b32_e32 v38, v38, v40
	v_not_b32_e32 v40, v42
	v_ashrrev_i32_e32 v39, 31, v39
	v_xor_b32_e32 v43, s16, v43
	v_mul_u32_u24_e32 v37, 9, v37
	v_and_b32_e32 v38, v38, v41
	v_cmp_gt_i32_e64 s16, 0, v42
	v_ashrrev_i32_e32 v40, 31, v40
	v_xor_b32_e32 v39, vcc_lo, v39
	v_add_lshl_u32 v41, v37, v126, 2
	v_and_b32_e32 v38, v38, v43
	s_delay_alu instid0(VALU_DEP_4) | instskip(SKIP_3) | instid1(VALU_DEP_2)
	v_xor_b32_e32 v37, s16, v40
	ds_load_b32 v202, v41 offset:1056
	v_and_b32_e32 v38, v38, v39
	v_add_nc_u32_e32 v204, 0x420, v41
	; wave barrier
	v_and_b32_e32 v37, v38, v37
	s_delay_alu instid0(VALU_DEP_1) | instskip(SKIP_1) | instid1(VALU_DEP_2)
	v_mbcnt_lo_u32_b32 v203, v37, 0
	v_cmp_ne_u32_e64 s16, 0, v37
	v_cmp_eq_u32_e32 vcc_lo, 0, v203
	s_delay_alu instid0(VALU_DEP_2) | instskip(NEXT) | instid1(SALU_CYCLE_1)
	s_and_b32 s17, s16, vcc_lo
	s_and_saveexec_b32 s16, s17
	s_cbranch_execz .LBB1954_164
; %bb.163:                              ;   in Loop: Header=BB1954_98 Depth=2
	s_waitcnt lgkmcnt(0)
	v_bcnt_u32_b32 v37, v37, v202
	ds_store_b32 v204, v37
.LBB1954_164:                           ;   in Loop: Header=BB1954_98 Depth=2
	s_or_b32 exec_lo, exec_lo, s16
	v_cmp_gt_i16_e32 vcc_lo, 0, v36
	; wave barrier
	v_cndmask_b32_e64 v37, 0x7fff, 0, vcc_lo
	s_delay_alu instid0(VALU_DEP_1) | instskip(NEXT) | instid1(VALU_DEP_1)
	v_xor_b32_e32 v201, v37, v36
	v_cmp_ne_u16_e64 vcc_lo, 0x8000, v201
	v_cndmask_b32_e32 v36, 0x7fff, v201, vcc_lo
	s_delay_alu instid0(VALU_DEP_1) | instskip(NEXT) | instid1(VALU_DEP_1)
	v_and_b32_e32 v36, 0xffff, v36
	v_lshrrev_b32_e32 v36, s48, v36
	s_delay_alu instid0(VALU_DEP_1) | instskip(NEXT) | instid1(VALU_DEP_1)
	v_and_b32_e32 v36, s55, v36
	v_and_b32_e32 v37, 1, v36
	v_lshlrev_b32_e32 v38, 30, v36
	v_lshlrev_b32_e32 v39, 29, v36
	v_lshlrev_b32_e32 v40, 28, v36
	v_lshlrev_b32_e32 v42, 27, v36
	v_add_co_u32 v37, s16, v37, -1
	s_delay_alu instid0(VALU_DEP_1)
	v_cndmask_b32_e64 v41, 0, 1, s16
	v_not_b32_e32 v206, v38
	v_cmp_gt_i32_e64 s16, 0, v38
	v_not_b32_e32 v38, v39
	v_lshlrev_b32_e32 v43, 26, v36
	v_cmp_ne_u32_e32 vcc_lo, 0, v41
	v_ashrrev_i32_e32 v206, 31, v206
	v_lshlrev_b32_e32 v205, 25, v36
	v_ashrrev_i32_e32 v38, 31, v38
	v_lshlrev_b32_e32 v41, 24, v36
	v_xor_b32_e32 v37, vcc_lo, v37
	v_cmp_gt_i32_e32 vcc_lo, 0, v39
	v_not_b32_e32 v39, v40
	v_xor_b32_e32 v206, s16, v206
	v_cmp_gt_i32_e64 s16, 0, v40
	v_and_b32_e32 v37, exec_lo, v37
	v_not_b32_e32 v40, v42
	v_ashrrev_i32_e32 v39, 31, v39
	v_xor_b32_e32 v38, vcc_lo, v38
	v_cmp_gt_i32_e32 vcc_lo, 0, v42
	v_and_b32_e32 v37, v37, v206
	v_not_b32_e32 v42, v43
	v_ashrrev_i32_e32 v40, 31, v40
	v_xor_b32_e32 v39, s16, v39
	v_cmp_gt_i32_e64 s16, 0, v43
	v_and_b32_e32 v37, v37, v38
	v_not_b32_e32 v38, v205
	v_ashrrev_i32_e32 v42, 31, v42
	v_xor_b32_e32 v40, vcc_lo, v40
	v_cmp_gt_i32_e32 vcc_lo, 0, v205
	v_and_b32_e32 v37, v37, v39
	v_not_b32_e32 v39, v41
	v_ashrrev_i32_e32 v38, 31, v38
	v_xor_b32_e32 v42, s16, v42
	v_mul_u32_u24_e32 v36, 9, v36
	v_and_b32_e32 v37, v37, v40
	v_cmp_gt_i32_e64 s16, 0, v41
	v_ashrrev_i32_e32 v39, 31, v39
	v_xor_b32_e32 v38, vcc_lo, v38
	v_add_lshl_u32 v40, v36, v126, 2
	v_and_b32_e32 v37, v37, v42
	s_delay_alu instid0(VALU_DEP_4) | instskip(SKIP_3) | instid1(VALU_DEP_2)
	v_xor_b32_e32 v36, s16, v39
	ds_load_b32 v205, v40 offset:1056
	v_and_b32_e32 v37, v37, v38
	v_add_nc_u32_e32 v207, 0x420, v40
	; wave barrier
	v_and_b32_e32 v36, v37, v36
	s_delay_alu instid0(VALU_DEP_1) | instskip(SKIP_1) | instid1(VALU_DEP_2)
	v_mbcnt_lo_u32_b32 v206, v36, 0
	v_cmp_ne_u32_e64 s16, 0, v36
	v_cmp_eq_u32_e32 vcc_lo, 0, v206
	s_delay_alu instid0(VALU_DEP_2) | instskip(NEXT) | instid1(SALU_CYCLE_1)
	s_and_b32 s17, s16, vcc_lo
	s_and_saveexec_b32 s16, s17
	s_cbranch_execz .LBB1954_166
; %bb.165:                              ;   in Loop: Header=BB1954_98 Depth=2
	s_waitcnt lgkmcnt(0)
	v_bcnt_u32_b32 v36, v36, v205
	ds_store_b32 v207, v36
.LBB1954_166:                           ;   in Loop: Header=BB1954_98 Depth=2
	s_or_b32 exec_lo, exec_lo, s16
	; wave barrier
	s_waitcnt lgkmcnt(0)
	s_barrier
	buffer_gl0_inv
	ds_load_b32 v208, v69 offset:1056
	ds_load_2addr_b32 v[42:43], v71 offset0:1 offset1:2
	ds_load_2addr_b32 v[40:41], v71 offset0:3 offset1:4
	;; [unrolled: 1-line block ×4, first 2 shown]
	s_waitcnt lgkmcnt(3)
	v_add3_u32 v209, v42, v208, v43
	s_waitcnt lgkmcnt(2)
	s_delay_alu instid0(VALU_DEP_1) | instskip(SKIP_1) | instid1(VALU_DEP_1)
	v_add3_u32 v209, v209, v40, v41
	s_waitcnt lgkmcnt(1)
	v_add3_u32 v209, v209, v36, v37
	s_waitcnt lgkmcnt(0)
	s_delay_alu instid0(VALU_DEP_1) | instskip(NEXT) | instid1(VALU_DEP_1)
	v_add3_u32 v39, v209, v38, v39
	v_mov_b32_dpp v209, v39 row_shr:1 row_mask:0xf bank_mask:0xf
	s_delay_alu instid0(VALU_DEP_1) | instskip(NEXT) | instid1(VALU_DEP_1)
	v_cndmask_b32_e64 v209, v209, 0, s0
	v_add_nc_u32_e32 v39, v209, v39
	s_delay_alu instid0(VALU_DEP_1) | instskip(NEXT) | instid1(VALU_DEP_1)
	v_mov_b32_dpp v209, v39 row_shr:2 row_mask:0xf bank_mask:0xf
	v_cndmask_b32_e64 v209, 0, v209, s1
	s_delay_alu instid0(VALU_DEP_1) | instskip(NEXT) | instid1(VALU_DEP_1)
	v_add_nc_u32_e32 v39, v39, v209
	v_mov_b32_dpp v209, v39 row_shr:4 row_mask:0xf bank_mask:0xf
	s_delay_alu instid0(VALU_DEP_1) | instskip(NEXT) | instid1(VALU_DEP_1)
	v_cndmask_b32_e64 v209, 0, v209, s8
	v_add_nc_u32_e32 v39, v39, v209
	s_delay_alu instid0(VALU_DEP_1) | instskip(NEXT) | instid1(VALU_DEP_1)
	v_mov_b32_dpp v209, v39 row_shr:8 row_mask:0xf bank_mask:0xf
	v_cndmask_b32_e64 v209, 0, v209, s9
	s_delay_alu instid0(VALU_DEP_1) | instskip(SKIP_3) | instid1(VALU_DEP_1)
	v_add_nc_u32_e32 v39, v39, v209
	ds_swizzle_b32 v209, v39 offset:swizzle(BROADCAST,32,15)
	s_waitcnt lgkmcnt(0)
	v_cndmask_b32_e64 v209, v209, 0, s10
	v_add_nc_u32_e32 v39, v39, v209
	s_and_saveexec_b32 s16, s3
	s_cbranch_execz .LBB1954_168
; %bb.167:                              ;   in Loop: Header=BB1954_98 Depth=2
	ds_store_b32 v62, v39 offset:1024
.LBB1954_168:                           ;   in Loop: Header=BB1954_98 Depth=2
	s_or_b32 exec_lo, exec_lo, s16
	s_waitcnt lgkmcnt(0)
	s_barrier
	buffer_gl0_inv
	s_and_saveexec_b32 s16, s4
	s_cbranch_execz .LBB1954_170
; %bb.169:                              ;   in Loop: Header=BB1954_98 Depth=2
	ds_load_b32 v209, v72 offset:1024
	s_waitcnt lgkmcnt(0)
	v_mov_b32_dpp v210, v209 row_shr:1 row_mask:0xf bank_mask:0xf
	s_delay_alu instid0(VALU_DEP_1) | instskip(NEXT) | instid1(VALU_DEP_1)
	v_cndmask_b32_e64 v210, v210, 0, s12
	v_add_nc_u32_e32 v209, v210, v209
	s_delay_alu instid0(VALU_DEP_1) | instskip(NEXT) | instid1(VALU_DEP_1)
	v_mov_b32_dpp v210, v209 row_shr:2 row_mask:0xf bank_mask:0xf
	v_cndmask_b32_e64 v210, 0, v210, s13
	s_delay_alu instid0(VALU_DEP_1) | instskip(NEXT) | instid1(VALU_DEP_1)
	v_add_nc_u32_e32 v209, v209, v210
	v_mov_b32_dpp v210, v209 row_shr:4 row_mask:0xf bank_mask:0xf
	s_delay_alu instid0(VALU_DEP_1) | instskip(NEXT) | instid1(VALU_DEP_1)
	v_cndmask_b32_e64 v210, 0, v210, s14
	v_add_nc_u32_e32 v209, v209, v210
	ds_store_b32 v72, v209 offset:1024
.LBB1954_170:                           ;   in Loop: Header=BB1954_98 Depth=2
	s_or_b32 exec_lo, exec_lo, s16
	v_mov_b32_e32 v209, 0
	s_waitcnt lgkmcnt(0)
	s_barrier
	buffer_gl0_inv
	s_and_saveexec_b32 s16, s5
	s_cbranch_execz .LBB1954_172
; %bb.171:                              ;   in Loop: Header=BB1954_98 Depth=2
	ds_load_b32 v209, v62 offset:1020
.LBB1954_172:                           ;   in Loop: Header=BB1954_98 Depth=2
	s_or_b32 exec_lo, exec_lo, s16
	s_waitcnt lgkmcnt(0)
	v_add_nc_u32_e32 v39, v209, v39
	ds_bpermute_b32 v39, v105, v39
	s_waitcnt lgkmcnt(0)
	v_cndmask_b32_e64 v39, v39, v209, s11
	s_delay_alu instid0(VALU_DEP_1) | instskip(NEXT) | instid1(VALU_DEP_1)
	v_cndmask_b32_e64 v39, v39, 0, s6
	v_add_nc_u32_e32 v208, v39, v208
	s_delay_alu instid0(VALU_DEP_1) | instskip(NEXT) | instid1(VALU_DEP_1)
	v_add_nc_u32_e32 v42, v208, v42
	v_add_nc_u32_e32 v43, v42, v43
	s_delay_alu instid0(VALU_DEP_1) | instskip(NEXT) | instid1(VALU_DEP_1)
	v_add_nc_u32_e32 v40, v43, v40
	;; [unrolled: 3-line block ×3, first 2 shown]
	v_add_nc_u32_e32 v37, v36, v37
	s_delay_alu instid0(VALU_DEP_1)
	v_add_nc_u32_e32 v38, v37, v38
	ds_store_b32 v69, v39 offset:1056
	ds_store_2addr_b32 v71, v208, v42 offset0:1 offset1:2
	ds_store_2addr_b32 v71, v43, v40 offset0:3 offset1:4
	;; [unrolled: 1-line block ×4, first 2 shown]
	v_mov_b32_e32 v38, 0x1000
	s_waitcnt lgkmcnt(0)
	s_barrier
	buffer_gl0_inv
	ds_load_b32 v39, v152
	ds_load_b32 v40, v156
	;; [unrolled: 1-line block ×16, first 2 shown]
	ds_load_b32 v156, v69 offset:1056
	s_and_saveexec_b32 s16, s7
	s_cbranch_execz .LBB1954_174
; %bb.173:                              ;   in Loop: Header=BB1954_98 Depth=2
	ds_load_b32 v38, v73 offset:1056
.LBB1954_174:                           ;   in Loop: Header=BB1954_98 Depth=2
	s_or_b32 exec_lo, exec_lo, s16
	s_waitcnt lgkmcnt(0)
	s_barrier
	buffer_gl0_inv
	s_and_saveexec_b32 s16, s2
	s_cbranch_execz .LBB1954_176
; %bb.175:                              ;   in Loop: Header=BB1954_98 Depth=2
	ds_load_b32 v160, v44
	s_waitcnt lgkmcnt(0)
	v_sub_nc_u32_e32 v156, v160, v156
	ds_store_b32 v44, v156
.LBB1954_176:                           ;   in Loop: Header=BB1954_98 Depth=2
	s_or_b32 exec_lo, exec_lo, s16
	v_add_nc_u32_e32 v168, v148, v147
	v_add3_u32 v164, v151, v150, v39
	v_add3_u32 v160, v155, v154, v40
	;; [unrolled: 1-line block ×5, first 2 shown]
	v_lshlrev_b32_e32 v158, 1, v168
	v_add3_u32 v43, v199, v198, v36
	v_lshlrev_b32_e32 v36, 1, v164
	v_add3_u32 v152, v172, v171, v173
	v_add3_u32 v151, v175, v174, v176
	ds_store_b16 v158, v2 offset:1024
	v_lshlrev_b32_e32 v2, 1, v160
	ds_store_b16 v36, v146 offset:1024
	v_lshlrev_b32_e32 v36, 1, v154
	v_add3_u32 v150, v179, v178, v180
	v_add3_u32 v42, v203, v202, v37
	v_lshlrev_b32_e32 v37, 1, v156
	v_add3_u32 v148, v183, v182, v184
	v_lshlrev_b32_e32 v158, 1, v155
	v_add3_u32 v147, v187, v186, v188
	v_add3_u32 v40, v191, v190, v192
	ds_store_b16 v2, v149 offset:1024
	ds_store_b16 v37, v153 offset:1024
	;; [unrolled: 1-line block ×3, first 2 shown]
	v_lshlrev_b32_e32 v2, 1, v152
	ds_store_b16 v36, v161 offset:1024
	v_lshlrev_b32_e32 v36, 1, v151
	v_lshlrev_b32_e32 v37, 1, v150
	;; [unrolled: 1-line block ×3, first 2 shown]
	v_add3_u32 v39, v195, v194, v196
	v_add3_u32 v41, v206, v205, v41
	ds_store_b16 v2, v165 offset:1024
	v_lshlrev_b32_e32 v2, 1, v147
	ds_store_b16 v36, v170 offset:1024
	ds_store_b16 v37, v169 offset:1024
	;; [unrolled: 1-line block ×3, first 2 shown]
	v_lshlrev_b32_e32 v36, 1, v40
	v_cmp_lt_u32_e32 vcc_lo, v1, v145
	v_lshlrev_b32_e32 v37, 1, v43
	ds_store_b16 v2, v181 offset:1024
	v_lshlrev_b32_e32 v2, 1, v39
	ds_store_b16 v36, v185 offset:1024
	v_lshlrev_b32_e32 v36, 1, v41
	v_lshlrev_b32_e32 v146, 1, v42
	ds_store_b16 v2, v189 offset:1024
	ds_store_b16 v37, v193 offset:1024
	;; [unrolled: 1-line block ×4, first 2 shown]
	s_waitcnt lgkmcnt(0)
	s_barrier
	buffer_gl0_inv
	s_and_saveexec_b32 s17, vcc_lo
	s_cbranch_execz .LBB1954_192
; %bb.177:                              ;   in Loop: Header=BB1954_98 Depth=2
	v_add_nc_u32_e32 v2, v72, v78
	ds_load_u16 v146, v2 offset:1024
	s_waitcnt lgkmcnt(0)
	v_cmp_ne_u16_e64 s16, 0x8000, v146
	s_delay_alu instid0(VALU_DEP_1) | instskip(SKIP_1) | instid1(VALU_DEP_2)
	v_cndmask_b32_e64 v2, 0x7fff, v146, s16
	v_cmp_gt_i16_e64 s16, 0, v146
	v_and_b32_e32 v2, 0xffff, v2
	s_delay_alu instid0(VALU_DEP_2) | instskip(NEXT) | instid1(VALU_DEP_2)
	v_cndmask_b32_e64 v149, 0x7fff, 0, s16
	v_lshrrev_b32_e32 v2, s48, v2
	s_delay_alu instid0(VALU_DEP_1) | instskip(NEXT) | instid1(VALU_DEP_1)
	v_and_b32_e32 v2, s55, v2
	v_lshlrev_b32_e32 v2, 2, v2
	ds_load_b32 v2, v2
	s_waitcnt lgkmcnt(0)
	v_add_nc_u32_e32 v2, v2, v1
	s_delay_alu instid0(VALU_DEP_1) | instskip(SKIP_1) | instid1(VALU_DEP_2)
	v_lshlrev_b64 v[36:37], 1, v[2:3]
	v_xor_b32_e32 v2, v149, v146
	v_add_co_u32 v36, s16, s38, v36
	s_delay_alu instid0(VALU_DEP_1) | instskip(SKIP_3) | instid1(VALU_DEP_1)
	v_add_co_ci_u32_e64 v37, s16, s39, v37, s16
	global_store_b16 v[36:37], v2, off
	s_or_b32 exec_lo, exec_lo, s17
	v_cmp_lt_u32_e64 s16, v45, v145
	s_and_saveexec_b32 s18, s16
	s_cbranch_execnz .LBB1954_193
.LBB1954_178:                           ;   in Loop: Header=BB1954_98 Depth=2
	s_or_b32 exec_lo, exec_lo, s18
	v_cmp_lt_u32_e64 s17, v46, v145
	s_delay_alu instid0(VALU_DEP_1)
	s_and_saveexec_b32 s19, s17
	s_cbranch_execz .LBB1954_194
.LBB1954_179:                           ;   in Loop: Header=BB1954_98 Depth=2
	ds_load_u16 v146, v79 offset:1024
	s_waitcnt lgkmcnt(0)
	v_cmp_ne_u16_e64 s18, 0x8000, v146
	s_delay_alu instid0(VALU_DEP_1) | instskip(SKIP_1) | instid1(VALU_DEP_2)
	v_cndmask_b32_e64 v2, 0x7fff, v146, s18
	v_cmp_gt_i16_e64 s18, 0, v146
	v_and_b32_e32 v2, 0xffff, v2
	s_delay_alu instid0(VALU_DEP_2) | instskip(NEXT) | instid1(VALU_DEP_2)
	v_cndmask_b32_e64 v149, 0x7fff, 0, s18
	v_lshrrev_b32_e32 v2, s48, v2
	s_delay_alu instid0(VALU_DEP_1) | instskip(NEXT) | instid1(VALU_DEP_1)
	v_and_b32_e32 v2, s55, v2
	v_lshlrev_b32_e32 v2, 2, v2
	ds_load_b32 v2, v2
	s_waitcnt lgkmcnt(0)
	v_add_nc_u32_e32 v2, v2, v46
	s_delay_alu instid0(VALU_DEP_1) | instskip(SKIP_1) | instid1(VALU_DEP_2)
	v_lshlrev_b64 v[36:37], 1, v[2:3]
	v_xor_b32_e32 v2, v149, v146
	v_add_co_u32 v36, s18, s38, v36
	s_delay_alu instid0(VALU_DEP_1) | instskip(SKIP_3) | instid1(VALU_DEP_1)
	v_add_co_ci_u32_e64 v37, s18, s39, v37, s18
	global_store_b16 v[36:37], v2, off
	s_or_b32 exec_lo, exec_lo, s19
	v_cmp_lt_u32_e64 s18, v47, v145
	s_and_saveexec_b32 s20, s18
	s_cbranch_execnz .LBB1954_195
.LBB1954_180:                           ;   in Loop: Header=BB1954_98 Depth=2
	s_or_b32 exec_lo, exec_lo, s20
	v_cmp_lt_u32_e64 s19, v51, v145
	s_delay_alu instid0(VALU_DEP_1)
	s_and_saveexec_b32 s21, s19
	s_cbranch_execz .LBB1954_196
.LBB1954_181:                           ;   in Loop: Header=BB1954_98 Depth=2
	ds_load_u16 v146, v79 offset:2048
	s_waitcnt lgkmcnt(0)
	v_cmp_ne_u16_e64 s20, 0x8000, v146
	s_delay_alu instid0(VALU_DEP_1) | instskip(SKIP_1) | instid1(VALU_DEP_2)
	v_cndmask_b32_e64 v2, 0x7fff, v146, s20
	v_cmp_gt_i16_e64 s20, 0, v146
	v_and_b32_e32 v2, 0xffff, v2
	s_delay_alu instid0(VALU_DEP_2) | instskip(NEXT) | instid1(VALU_DEP_2)
	v_cndmask_b32_e64 v149, 0x7fff, 0, s20
	v_lshrrev_b32_e32 v2, s48, v2
	s_delay_alu instid0(VALU_DEP_1) | instskip(NEXT) | instid1(VALU_DEP_1)
	v_and_b32_e32 v2, s55, v2
	v_lshlrev_b32_e32 v2, 2, v2
	ds_load_b32 v2, v2
	s_waitcnt lgkmcnt(0)
	v_add_nc_u32_e32 v2, v2, v51
	s_delay_alu instid0(VALU_DEP_1) | instskip(SKIP_1) | instid1(VALU_DEP_2)
	v_lshlrev_b64 v[36:37], 1, v[2:3]
	v_xor_b32_e32 v2, v149, v146
	v_add_co_u32 v36, s20, s38, v36
	s_delay_alu instid0(VALU_DEP_1) | instskip(SKIP_3) | instid1(VALU_DEP_1)
	v_add_co_ci_u32_e64 v37, s20, s39, v37, s20
	global_store_b16 v[36:37], v2, off
	s_or_b32 exec_lo, exec_lo, s21
	v_cmp_lt_u32_e64 s20, v52, v145
	s_and_saveexec_b32 s22, s20
	s_cbranch_execnz .LBB1954_197
.LBB1954_182:                           ;   in Loop: Header=BB1954_98 Depth=2
	s_or_b32 exec_lo, exec_lo, s22
	v_cmp_lt_u32_e64 s21, v53, v145
	s_delay_alu instid0(VALU_DEP_1)
	s_and_saveexec_b32 s23, s21
	s_cbranch_execz .LBB1954_198
.LBB1954_183:                           ;   in Loop: Header=BB1954_98 Depth=2
	ds_load_u16 v146, v79 offset:3072
	s_waitcnt lgkmcnt(0)
	v_cmp_ne_u16_e64 s22, 0x8000, v146
	s_delay_alu instid0(VALU_DEP_1) | instskip(SKIP_1) | instid1(VALU_DEP_2)
	v_cndmask_b32_e64 v2, 0x7fff, v146, s22
	v_cmp_gt_i16_e64 s22, 0, v146
	v_and_b32_e32 v2, 0xffff, v2
	s_delay_alu instid0(VALU_DEP_2) | instskip(NEXT) | instid1(VALU_DEP_2)
	v_cndmask_b32_e64 v149, 0x7fff, 0, s22
	v_lshrrev_b32_e32 v2, s48, v2
	s_delay_alu instid0(VALU_DEP_1) | instskip(NEXT) | instid1(VALU_DEP_1)
	v_and_b32_e32 v2, s55, v2
	v_lshlrev_b32_e32 v2, 2, v2
	ds_load_b32 v2, v2
	s_waitcnt lgkmcnt(0)
	v_add_nc_u32_e32 v2, v2, v53
	s_delay_alu instid0(VALU_DEP_1) | instskip(SKIP_1) | instid1(VALU_DEP_2)
	v_lshlrev_b64 v[36:37], 1, v[2:3]
	v_xor_b32_e32 v2, v149, v146
	v_add_co_u32 v36, s22, s38, v36
	s_delay_alu instid0(VALU_DEP_1) | instskip(SKIP_3) | instid1(VALU_DEP_1)
	v_add_co_ci_u32_e64 v37, s22, s39, v37, s22
	global_store_b16 v[36:37], v2, off
	s_or_b32 exec_lo, exec_lo, s23
	v_cmp_lt_u32_e64 s22, v54, v145
	s_and_saveexec_b32 s24, s22
	s_cbranch_execnz .LBB1954_199
.LBB1954_184:                           ;   in Loop: Header=BB1954_98 Depth=2
	s_or_b32 exec_lo, exec_lo, s24
	v_cmp_lt_u32_e64 s23, v55, v145
	s_delay_alu instid0(VALU_DEP_1)
	s_and_saveexec_b32 s25, s23
	s_cbranch_execz .LBB1954_200
.LBB1954_185:                           ;   in Loop: Header=BB1954_98 Depth=2
	ds_load_u16 v146, v79 offset:4096
	s_waitcnt lgkmcnt(0)
	v_cmp_ne_u16_e64 s24, 0x8000, v146
	s_delay_alu instid0(VALU_DEP_1) | instskip(SKIP_1) | instid1(VALU_DEP_2)
	v_cndmask_b32_e64 v2, 0x7fff, v146, s24
	v_cmp_gt_i16_e64 s24, 0, v146
	v_and_b32_e32 v2, 0xffff, v2
	s_delay_alu instid0(VALU_DEP_2) | instskip(NEXT) | instid1(VALU_DEP_2)
	v_cndmask_b32_e64 v149, 0x7fff, 0, s24
	v_lshrrev_b32_e32 v2, s48, v2
	s_delay_alu instid0(VALU_DEP_1) | instskip(NEXT) | instid1(VALU_DEP_1)
	v_and_b32_e32 v2, s55, v2
	v_lshlrev_b32_e32 v2, 2, v2
	ds_load_b32 v2, v2
	s_waitcnt lgkmcnt(0)
	v_add_nc_u32_e32 v2, v2, v55
	s_delay_alu instid0(VALU_DEP_1) | instskip(SKIP_1) | instid1(VALU_DEP_2)
	v_lshlrev_b64 v[36:37], 1, v[2:3]
	v_xor_b32_e32 v2, v149, v146
	v_add_co_u32 v36, s24, s38, v36
	s_delay_alu instid0(VALU_DEP_1) | instskip(SKIP_3) | instid1(VALU_DEP_1)
	v_add_co_ci_u32_e64 v37, s24, s39, v37, s24
	global_store_b16 v[36:37], v2, off
	s_or_b32 exec_lo, exec_lo, s25
	v_cmp_lt_u32_e64 s24, v56, v145
	s_and_saveexec_b32 s27, s24
	s_cbranch_execnz .LBB1954_201
.LBB1954_186:                           ;   in Loop: Header=BB1954_98 Depth=2
	s_or_b32 exec_lo, exec_lo, s27
	v_cmp_lt_u32_e64 s25, v57, v145
	s_delay_alu instid0(VALU_DEP_1)
	s_and_saveexec_b32 s28, s25
	s_cbranch_execz .LBB1954_202
.LBB1954_187:                           ;   in Loop: Header=BB1954_98 Depth=2
	ds_load_u16 v146, v79 offset:5120
	s_waitcnt lgkmcnt(0)
	v_cmp_ne_u16_e64 s27, 0x8000, v146
	s_delay_alu instid0(VALU_DEP_1) | instskip(SKIP_1) | instid1(VALU_DEP_2)
	v_cndmask_b32_e64 v2, 0x7fff, v146, s27
	v_cmp_gt_i16_e64 s27, 0, v146
	v_and_b32_e32 v2, 0xffff, v2
	s_delay_alu instid0(VALU_DEP_2) | instskip(NEXT) | instid1(VALU_DEP_2)
	v_cndmask_b32_e64 v149, 0x7fff, 0, s27
	v_lshrrev_b32_e32 v2, s48, v2
	s_delay_alu instid0(VALU_DEP_1) | instskip(NEXT) | instid1(VALU_DEP_1)
	v_and_b32_e32 v2, s55, v2
	v_lshlrev_b32_e32 v2, 2, v2
	ds_load_b32 v2, v2
	s_waitcnt lgkmcnt(0)
	v_add_nc_u32_e32 v2, v2, v57
	s_delay_alu instid0(VALU_DEP_1) | instskip(SKIP_1) | instid1(VALU_DEP_2)
	v_lshlrev_b64 v[36:37], 1, v[2:3]
	v_xor_b32_e32 v2, v149, v146
	v_add_co_u32 v36, s27, s38, v36
	s_delay_alu instid0(VALU_DEP_1) | instskip(SKIP_3) | instid1(VALU_DEP_1)
	v_add_co_ci_u32_e64 v37, s27, s39, v37, s27
	global_store_b16 v[36:37], v2, off
	s_or_b32 exec_lo, exec_lo, s28
	v_cmp_lt_u32_e64 s27, v58, v145
	s_and_saveexec_b32 s29, s27
	s_cbranch_execnz .LBB1954_203
.LBB1954_188:                           ;   in Loop: Header=BB1954_98 Depth=2
	s_or_b32 exec_lo, exec_lo, s29
	v_cmp_lt_u32_e64 s28, v59, v145
	s_delay_alu instid0(VALU_DEP_1)
	s_and_saveexec_b32 s30, s28
	s_cbranch_execz .LBB1954_204
.LBB1954_189:                           ;   in Loop: Header=BB1954_98 Depth=2
	ds_load_u16 v146, v79 offset:6144
	s_waitcnt lgkmcnt(0)
	v_cmp_ne_u16_e64 s29, 0x8000, v146
	s_delay_alu instid0(VALU_DEP_1) | instskip(SKIP_1) | instid1(VALU_DEP_2)
	v_cndmask_b32_e64 v2, 0x7fff, v146, s29
	v_cmp_gt_i16_e64 s29, 0, v146
	v_and_b32_e32 v2, 0xffff, v2
	s_delay_alu instid0(VALU_DEP_2) | instskip(NEXT) | instid1(VALU_DEP_2)
	v_cndmask_b32_e64 v149, 0x7fff, 0, s29
	v_lshrrev_b32_e32 v2, s48, v2
	s_delay_alu instid0(VALU_DEP_1) | instskip(NEXT) | instid1(VALU_DEP_1)
	v_and_b32_e32 v2, s55, v2
	v_lshlrev_b32_e32 v2, 2, v2
	ds_load_b32 v2, v2
	s_waitcnt lgkmcnt(0)
	v_add_nc_u32_e32 v2, v2, v59
	s_delay_alu instid0(VALU_DEP_1) | instskip(SKIP_1) | instid1(VALU_DEP_2)
	v_lshlrev_b64 v[36:37], 1, v[2:3]
	v_xor_b32_e32 v2, v149, v146
	v_add_co_u32 v36, s29, s38, v36
	s_delay_alu instid0(VALU_DEP_1) | instskip(SKIP_3) | instid1(VALU_DEP_1)
	v_add_co_ci_u32_e64 v37, s29, s39, v37, s29
	global_store_b16 v[36:37], v2, off
	s_or_b32 exec_lo, exec_lo, s30
	v_cmp_lt_u32_e64 s29, v60, v145
	s_and_saveexec_b32 s31, s29
	s_cbranch_execnz .LBB1954_205
.LBB1954_190:                           ;   in Loop: Header=BB1954_98 Depth=2
	s_or_b32 exec_lo, exec_lo, s31
	v_cmp_lt_u32_e64 s30, v61, v145
	s_delay_alu instid0(VALU_DEP_1)
	s_and_saveexec_b32 s33, s30
	s_cbranch_execz .LBB1954_206
.LBB1954_191:                           ;   in Loop: Header=BB1954_98 Depth=2
	ds_load_u16 v146, v79 offset:7168
	s_waitcnt lgkmcnt(0)
	v_cmp_ne_u16_e64 s31, 0x8000, v146
	s_delay_alu instid0(VALU_DEP_1) | instskip(SKIP_1) | instid1(VALU_DEP_2)
	v_cndmask_b32_e64 v2, 0x7fff, v146, s31
	v_cmp_gt_i16_e64 s31, 0, v146
	v_and_b32_e32 v2, 0xffff, v2
	s_delay_alu instid0(VALU_DEP_2) | instskip(NEXT) | instid1(VALU_DEP_2)
	v_cndmask_b32_e64 v149, 0x7fff, 0, s31
	v_lshrrev_b32_e32 v2, s48, v2
	s_delay_alu instid0(VALU_DEP_1) | instskip(NEXT) | instid1(VALU_DEP_1)
	v_and_b32_e32 v2, s55, v2
	v_lshlrev_b32_e32 v2, 2, v2
	ds_load_b32 v2, v2
	s_waitcnt lgkmcnt(0)
	v_add_nc_u32_e32 v2, v2, v61
	s_delay_alu instid0(VALU_DEP_1) | instskip(SKIP_1) | instid1(VALU_DEP_2)
	v_lshlrev_b64 v[36:37], 1, v[2:3]
	v_xor_b32_e32 v2, v149, v146
	v_add_co_u32 v36, s31, s38, v36
	s_delay_alu instid0(VALU_DEP_1) | instskip(SKIP_3) | instid1(VALU_DEP_1)
	v_add_co_ci_u32_e64 v37, s31, s39, v37, s31
	global_store_b16 v[36:37], v2, off
	s_or_b32 exec_lo, exec_lo, s33
	v_cmp_lt_u32_e64 s31, v63, v145
	s_and_saveexec_b32 s58, s31
	s_cbranch_execnz .LBB1954_207
	s_branch .LBB1954_208
.LBB1954_192:                           ;   in Loop: Header=BB1954_98 Depth=2
	s_or_b32 exec_lo, exec_lo, s17
	v_cmp_lt_u32_e64 s16, v45, v145
	s_delay_alu instid0(VALU_DEP_1)
	s_and_saveexec_b32 s18, s16
	s_cbranch_execz .LBB1954_178
.LBB1954_193:                           ;   in Loop: Header=BB1954_98 Depth=2
	ds_load_u16 v146, v79 offset:512
	s_waitcnt lgkmcnt(0)
	v_cmp_ne_u16_e64 s17, 0x8000, v146
	s_delay_alu instid0(VALU_DEP_1) | instskip(SKIP_1) | instid1(VALU_DEP_2)
	v_cndmask_b32_e64 v2, 0x7fff, v146, s17
	v_cmp_gt_i16_e64 s17, 0, v146
	v_and_b32_e32 v2, 0xffff, v2
	s_delay_alu instid0(VALU_DEP_2) | instskip(NEXT) | instid1(VALU_DEP_2)
	v_cndmask_b32_e64 v149, 0x7fff, 0, s17
	v_lshrrev_b32_e32 v2, s48, v2
	s_delay_alu instid0(VALU_DEP_1) | instskip(NEXT) | instid1(VALU_DEP_1)
	v_and_b32_e32 v2, s55, v2
	v_lshlrev_b32_e32 v2, 2, v2
	ds_load_b32 v2, v2
	s_waitcnt lgkmcnt(0)
	v_add_nc_u32_e32 v2, v2, v45
	s_delay_alu instid0(VALU_DEP_1) | instskip(SKIP_1) | instid1(VALU_DEP_2)
	v_lshlrev_b64 v[36:37], 1, v[2:3]
	v_xor_b32_e32 v2, v149, v146
	v_add_co_u32 v36, s17, s38, v36
	s_delay_alu instid0(VALU_DEP_1) | instskip(SKIP_3) | instid1(VALU_DEP_1)
	v_add_co_ci_u32_e64 v37, s17, s39, v37, s17
	global_store_b16 v[36:37], v2, off
	s_or_b32 exec_lo, exec_lo, s18
	v_cmp_lt_u32_e64 s17, v46, v145
	s_and_saveexec_b32 s19, s17
	s_cbranch_execnz .LBB1954_179
.LBB1954_194:                           ;   in Loop: Header=BB1954_98 Depth=2
	s_or_b32 exec_lo, exec_lo, s19
	v_cmp_lt_u32_e64 s18, v47, v145
	s_delay_alu instid0(VALU_DEP_1)
	s_and_saveexec_b32 s20, s18
	s_cbranch_execz .LBB1954_180
.LBB1954_195:                           ;   in Loop: Header=BB1954_98 Depth=2
	ds_load_u16 v146, v79 offset:1536
	s_waitcnt lgkmcnt(0)
	v_cmp_ne_u16_e64 s19, 0x8000, v146
	s_delay_alu instid0(VALU_DEP_1) | instskip(SKIP_1) | instid1(VALU_DEP_2)
	v_cndmask_b32_e64 v2, 0x7fff, v146, s19
	v_cmp_gt_i16_e64 s19, 0, v146
	v_and_b32_e32 v2, 0xffff, v2
	s_delay_alu instid0(VALU_DEP_2) | instskip(NEXT) | instid1(VALU_DEP_2)
	v_cndmask_b32_e64 v149, 0x7fff, 0, s19
	v_lshrrev_b32_e32 v2, s48, v2
	s_delay_alu instid0(VALU_DEP_1) | instskip(NEXT) | instid1(VALU_DEP_1)
	v_and_b32_e32 v2, s55, v2
	v_lshlrev_b32_e32 v2, 2, v2
	ds_load_b32 v2, v2
	s_waitcnt lgkmcnt(0)
	v_add_nc_u32_e32 v2, v2, v47
	s_delay_alu instid0(VALU_DEP_1) | instskip(SKIP_1) | instid1(VALU_DEP_2)
	v_lshlrev_b64 v[36:37], 1, v[2:3]
	v_xor_b32_e32 v2, v149, v146
	v_add_co_u32 v36, s19, s38, v36
	s_delay_alu instid0(VALU_DEP_1) | instskip(SKIP_3) | instid1(VALU_DEP_1)
	v_add_co_ci_u32_e64 v37, s19, s39, v37, s19
	global_store_b16 v[36:37], v2, off
	s_or_b32 exec_lo, exec_lo, s20
	v_cmp_lt_u32_e64 s19, v51, v145
	s_and_saveexec_b32 s21, s19
	s_cbranch_execnz .LBB1954_181
.LBB1954_196:                           ;   in Loop: Header=BB1954_98 Depth=2
	s_or_b32 exec_lo, exec_lo, s21
	v_cmp_lt_u32_e64 s20, v52, v145
	s_delay_alu instid0(VALU_DEP_1)
	s_and_saveexec_b32 s22, s20
	s_cbranch_execz .LBB1954_182
.LBB1954_197:                           ;   in Loop: Header=BB1954_98 Depth=2
	ds_load_u16 v146, v79 offset:2560
	s_waitcnt lgkmcnt(0)
	v_cmp_ne_u16_e64 s21, 0x8000, v146
	s_delay_alu instid0(VALU_DEP_1) | instskip(SKIP_1) | instid1(VALU_DEP_2)
	v_cndmask_b32_e64 v2, 0x7fff, v146, s21
	v_cmp_gt_i16_e64 s21, 0, v146
	v_and_b32_e32 v2, 0xffff, v2
	s_delay_alu instid0(VALU_DEP_2) | instskip(NEXT) | instid1(VALU_DEP_2)
	v_cndmask_b32_e64 v149, 0x7fff, 0, s21
	v_lshrrev_b32_e32 v2, s48, v2
	s_delay_alu instid0(VALU_DEP_1) | instskip(NEXT) | instid1(VALU_DEP_1)
	v_and_b32_e32 v2, s55, v2
	v_lshlrev_b32_e32 v2, 2, v2
	ds_load_b32 v2, v2
	s_waitcnt lgkmcnt(0)
	v_add_nc_u32_e32 v2, v2, v52
	s_delay_alu instid0(VALU_DEP_1) | instskip(SKIP_1) | instid1(VALU_DEP_2)
	v_lshlrev_b64 v[36:37], 1, v[2:3]
	v_xor_b32_e32 v2, v149, v146
	v_add_co_u32 v36, s21, s38, v36
	s_delay_alu instid0(VALU_DEP_1) | instskip(SKIP_3) | instid1(VALU_DEP_1)
	v_add_co_ci_u32_e64 v37, s21, s39, v37, s21
	global_store_b16 v[36:37], v2, off
	s_or_b32 exec_lo, exec_lo, s22
	v_cmp_lt_u32_e64 s21, v53, v145
	s_and_saveexec_b32 s23, s21
	s_cbranch_execnz .LBB1954_183
.LBB1954_198:                           ;   in Loop: Header=BB1954_98 Depth=2
	s_or_b32 exec_lo, exec_lo, s23
	v_cmp_lt_u32_e64 s22, v54, v145
	s_delay_alu instid0(VALU_DEP_1)
	s_and_saveexec_b32 s24, s22
	s_cbranch_execz .LBB1954_184
.LBB1954_199:                           ;   in Loop: Header=BB1954_98 Depth=2
	ds_load_u16 v146, v79 offset:3584
	s_waitcnt lgkmcnt(0)
	v_cmp_ne_u16_e64 s23, 0x8000, v146
	s_delay_alu instid0(VALU_DEP_1) | instskip(SKIP_1) | instid1(VALU_DEP_2)
	v_cndmask_b32_e64 v2, 0x7fff, v146, s23
	v_cmp_gt_i16_e64 s23, 0, v146
	v_and_b32_e32 v2, 0xffff, v2
	s_delay_alu instid0(VALU_DEP_2) | instskip(NEXT) | instid1(VALU_DEP_2)
	v_cndmask_b32_e64 v149, 0x7fff, 0, s23
	v_lshrrev_b32_e32 v2, s48, v2
	s_delay_alu instid0(VALU_DEP_1) | instskip(NEXT) | instid1(VALU_DEP_1)
	v_and_b32_e32 v2, s55, v2
	v_lshlrev_b32_e32 v2, 2, v2
	ds_load_b32 v2, v2
	s_waitcnt lgkmcnt(0)
	v_add_nc_u32_e32 v2, v2, v54
	s_delay_alu instid0(VALU_DEP_1) | instskip(SKIP_1) | instid1(VALU_DEP_2)
	v_lshlrev_b64 v[36:37], 1, v[2:3]
	v_xor_b32_e32 v2, v149, v146
	v_add_co_u32 v36, s23, s38, v36
	s_delay_alu instid0(VALU_DEP_1) | instskip(SKIP_3) | instid1(VALU_DEP_1)
	v_add_co_ci_u32_e64 v37, s23, s39, v37, s23
	global_store_b16 v[36:37], v2, off
	s_or_b32 exec_lo, exec_lo, s24
	v_cmp_lt_u32_e64 s23, v55, v145
	s_and_saveexec_b32 s25, s23
	s_cbranch_execnz .LBB1954_185
.LBB1954_200:                           ;   in Loop: Header=BB1954_98 Depth=2
	s_or_b32 exec_lo, exec_lo, s25
	v_cmp_lt_u32_e64 s24, v56, v145
	s_delay_alu instid0(VALU_DEP_1)
	s_and_saveexec_b32 s27, s24
	s_cbranch_execz .LBB1954_186
.LBB1954_201:                           ;   in Loop: Header=BB1954_98 Depth=2
	ds_load_u16 v146, v79 offset:4608
	s_waitcnt lgkmcnt(0)
	v_cmp_ne_u16_e64 s25, 0x8000, v146
	s_delay_alu instid0(VALU_DEP_1) | instskip(SKIP_1) | instid1(VALU_DEP_2)
	v_cndmask_b32_e64 v2, 0x7fff, v146, s25
	v_cmp_gt_i16_e64 s25, 0, v146
	v_and_b32_e32 v2, 0xffff, v2
	s_delay_alu instid0(VALU_DEP_2) | instskip(NEXT) | instid1(VALU_DEP_2)
	v_cndmask_b32_e64 v149, 0x7fff, 0, s25
	v_lshrrev_b32_e32 v2, s48, v2
	s_delay_alu instid0(VALU_DEP_1) | instskip(NEXT) | instid1(VALU_DEP_1)
	v_and_b32_e32 v2, s55, v2
	v_lshlrev_b32_e32 v2, 2, v2
	ds_load_b32 v2, v2
	s_waitcnt lgkmcnt(0)
	v_add_nc_u32_e32 v2, v2, v56
	s_delay_alu instid0(VALU_DEP_1) | instskip(SKIP_1) | instid1(VALU_DEP_2)
	v_lshlrev_b64 v[36:37], 1, v[2:3]
	v_xor_b32_e32 v2, v149, v146
	v_add_co_u32 v36, s25, s38, v36
	s_delay_alu instid0(VALU_DEP_1) | instskip(SKIP_3) | instid1(VALU_DEP_1)
	v_add_co_ci_u32_e64 v37, s25, s39, v37, s25
	global_store_b16 v[36:37], v2, off
	s_or_b32 exec_lo, exec_lo, s27
	v_cmp_lt_u32_e64 s25, v57, v145
	s_and_saveexec_b32 s28, s25
	s_cbranch_execnz .LBB1954_187
.LBB1954_202:                           ;   in Loop: Header=BB1954_98 Depth=2
	s_or_b32 exec_lo, exec_lo, s28
	v_cmp_lt_u32_e64 s27, v58, v145
	s_delay_alu instid0(VALU_DEP_1)
	s_and_saveexec_b32 s29, s27
	s_cbranch_execz .LBB1954_188
.LBB1954_203:                           ;   in Loop: Header=BB1954_98 Depth=2
	ds_load_u16 v146, v79 offset:5632
	s_waitcnt lgkmcnt(0)
	v_cmp_ne_u16_e64 s28, 0x8000, v146
	s_delay_alu instid0(VALU_DEP_1) | instskip(SKIP_1) | instid1(VALU_DEP_2)
	v_cndmask_b32_e64 v2, 0x7fff, v146, s28
	v_cmp_gt_i16_e64 s28, 0, v146
	v_and_b32_e32 v2, 0xffff, v2
	s_delay_alu instid0(VALU_DEP_2) | instskip(NEXT) | instid1(VALU_DEP_2)
	v_cndmask_b32_e64 v149, 0x7fff, 0, s28
	v_lshrrev_b32_e32 v2, s48, v2
	s_delay_alu instid0(VALU_DEP_1) | instskip(NEXT) | instid1(VALU_DEP_1)
	v_and_b32_e32 v2, s55, v2
	v_lshlrev_b32_e32 v2, 2, v2
	ds_load_b32 v2, v2
	s_waitcnt lgkmcnt(0)
	v_add_nc_u32_e32 v2, v2, v58
	s_delay_alu instid0(VALU_DEP_1) | instskip(SKIP_1) | instid1(VALU_DEP_2)
	v_lshlrev_b64 v[36:37], 1, v[2:3]
	v_xor_b32_e32 v2, v149, v146
	v_add_co_u32 v36, s28, s38, v36
	s_delay_alu instid0(VALU_DEP_1) | instskip(SKIP_3) | instid1(VALU_DEP_1)
	v_add_co_ci_u32_e64 v37, s28, s39, v37, s28
	global_store_b16 v[36:37], v2, off
	s_or_b32 exec_lo, exec_lo, s29
	v_cmp_lt_u32_e64 s28, v59, v145
	s_and_saveexec_b32 s30, s28
	s_cbranch_execnz .LBB1954_189
.LBB1954_204:                           ;   in Loop: Header=BB1954_98 Depth=2
	s_or_b32 exec_lo, exec_lo, s30
	v_cmp_lt_u32_e64 s29, v60, v145
	s_delay_alu instid0(VALU_DEP_1)
	s_and_saveexec_b32 s31, s29
	s_cbranch_execz .LBB1954_190
.LBB1954_205:                           ;   in Loop: Header=BB1954_98 Depth=2
	ds_load_u16 v146, v79 offset:6656
	s_waitcnt lgkmcnt(0)
	v_cmp_ne_u16_e64 s30, 0x8000, v146
	s_delay_alu instid0(VALU_DEP_1) | instskip(SKIP_1) | instid1(VALU_DEP_2)
	v_cndmask_b32_e64 v2, 0x7fff, v146, s30
	v_cmp_gt_i16_e64 s30, 0, v146
	v_and_b32_e32 v2, 0xffff, v2
	s_delay_alu instid0(VALU_DEP_2) | instskip(NEXT) | instid1(VALU_DEP_2)
	v_cndmask_b32_e64 v149, 0x7fff, 0, s30
	v_lshrrev_b32_e32 v2, s48, v2
	s_delay_alu instid0(VALU_DEP_1) | instskip(NEXT) | instid1(VALU_DEP_1)
	v_and_b32_e32 v2, s55, v2
	v_lshlrev_b32_e32 v2, 2, v2
	ds_load_b32 v2, v2
	s_waitcnt lgkmcnt(0)
	v_add_nc_u32_e32 v2, v2, v60
	s_delay_alu instid0(VALU_DEP_1) | instskip(SKIP_1) | instid1(VALU_DEP_2)
	v_lshlrev_b64 v[36:37], 1, v[2:3]
	v_xor_b32_e32 v2, v149, v146
	v_add_co_u32 v36, s30, s38, v36
	s_delay_alu instid0(VALU_DEP_1) | instskip(SKIP_3) | instid1(VALU_DEP_1)
	v_add_co_ci_u32_e64 v37, s30, s39, v37, s30
	global_store_b16 v[36:37], v2, off
	s_or_b32 exec_lo, exec_lo, s31
	v_cmp_lt_u32_e64 s30, v61, v145
	s_and_saveexec_b32 s33, s30
	s_cbranch_execnz .LBB1954_191
.LBB1954_206:                           ;   in Loop: Header=BB1954_98 Depth=2
	s_or_b32 exec_lo, exec_lo, s33
	v_cmp_lt_u32_e64 s31, v63, v145
	s_delay_alu instid0(VALU_DEP_1)
	s_and_saveexec_b32 s58, s31
	s_cbranch_execz .LBB1954_208
.LBB1954_207:                           ;   in Loop: Header=BB1954_98 Depth=2
	ds_load_u16 v146, v79 offset:7680
	s_waitcnt lgkmcnt(0)
	v_cmp_ne_u16_e64 s33, 0x8000, v146
	s_delay_alu instid0(VALU_DEP_1) | instskip(SKIP_1) | instid1(VALU_DEP_2)
	v_cndmask_b32_e64 v2, 0x7fff, v146, s33
	v_cmp_gt_i16_e64 s33, 0, v146
	v_and_b32_e32 v2, 0xffff, v2
	s_delay_alu instid0(VALU_DEP_2) | instskip(NEXT) | instid1(VALU_DEP_2)
	v_cndmask_b32_e64 v149, 0x7fff, 0, s33
	v_lshrrev_b32_e32 v2, s48, v2
	s_delay_alu instid0(VALU_DEP_1) | instskip(NEXT) | instid1(VALU_DEP_1)
	v_and_b32_e32 v2, s55, v2
	v_lshlrev_b32_e32 v2, 2, v2
	ds_load_b32 v2, v2
	s_waitcnt lgkmcnt(0)
	v_add_nc_u32_e32 v2, v2, v63
	s_delay_alu instid0(VALU_DEP_1) | instskip(SKIP_1) | instid1(VALU_DEP_2)
	v_lshlrev_b64 v[36:37], 1, v[2:3]
	v_xor_b32_e32 v2, v149, v146
	v_add_co_u32 v36, s33, s38, v36
	s_delay_alu instid0(VALU_DEP_1)
	v_add_co_ci_u32_e64 v37, s33, s39, v37, s33
	global_store_b16 v[36:37], v2, off
.LBB1954_208:                           ;   in Loop: Header=BB1954_98 Depth=2
	s_or_b32 exec_lo, exec_lo, s58
	s_lshl_b64 s[58:59], s[34:35], 3
	s_delay_alu instid0(SALU_CYCLE_1) | instskip(NEXT) | instid1(VALU_DEP_1)
	v_add_co_u32 v36, s33, v107, s58
	v_add_co_ci_u32_e64 v37, s33, s59, v108, s33
	v_cmp_lt_u32_e64 s33, v106, v145
	s_delay_alu instid0(VALU_DEP_1) | instskip(NEXT) | instid1(SALU_CYCLE_1)
	s_and_saveexec_b32 s34, s33
	s_xor_b32 s33, exec_lo, s34
	s_cbranch_execz .LBB1954_240
; %bb.209:                              ;   in Loop: Header=BB1954_98 Depth=2
	global_load_b64 v[34:35], v[36:37], off
	s_or_b32 exec_lo, exec_lo, s33
	s_delay_alu instid0(SALU_CYCLE_1)
	s_mov_b32 s34, exec_lo
	v_cmpx_lt_u32_e64 v109, v145
	s_cbranch_execnz .LBB1954_241
.LBB1954_210:                           ;   in Loop: Header=BB1954_98 Depth=2
	s_or_b32 exec_lo, exec_lo, s34
	s_delay_alu instid0(SALU_CYCLE_1)
	s_mov_b32 s34, exec_lo
	v_cmpx_lt_u32_e64 v110, v145
	s_cbranch_execz .LBB1954_242
.LBB1954_211:                           ;   in Loop: Header=BB1954_98 Depth=2
	global_load_b64 v[30:31], v[36:37], off offset:512
	s_or_b32 exec_lo, exec_lo, s34
	s_delay_alu instid0(SALU_CYCLE_1)
	s_mov_b32 s34, exec_lo
	v_cmpx_lt_u32_e64 v111, v145
	s_cbranch_execnz .LBB1954_243
.LBB1954_212:                           ;   in Loop: Header=BB1954_98 Depth=2
	s_or_b32 exec_lo, exec_lo, s34
	s_delay_alu instid0(SALU_CYCLE_1)
	s_mov_b32 s34, exec_lo
	v_cmpx_lt_u32_e64 v112, v145
	s_cbranch_execz .LBB1954_244
.LBB1954_213:                           ;   in Loop: Header=BB1954_98 Depth=2
	global_load_b64 v[26:27], v[36:37], off offset:1024
	s_or_b32 exec_lo, exec_lo, s34
	s_delay_alu instid0(SALU_CYCLE_1)
	s_mov_b32 s34, exec_lo
	v_cmpx_lt_u32_e64 v113, v145
	s_cbranch_execnz .LBB1954_245
.LBB1954_214:                           ;   in Loop: Header=BB1954_98 Depth=2
	s_or_b32 exec_lo, exec_lo, s34
	s_delay_alu instid0(SALU_CYCLE_1)
	s_mov_b32 s34, exec_lo
	v_cmpx_lt_u32_e64 v114, v145
	s_cbranch_execz .LBB1954_246
.LBB1954_215:                           ;   in Loop: Header=BB1954_98 Depth=2
	global_load_b64 v[22:23], v[36:37], off offset:1536
	s_or_b32 exec_lo, exec_lo, s34
	s_delay_alu instid0(SALU_CYCLE_1)
	s_mov_b32 s34, exec_lo
	v_cmpx_lt_u32_e64 v115, v145
	s_cbranch_execnz .LBB1954_247
.LBB1954_216:                           ;   in Loop: Header=BB1954_98 Depth=2
	s_or_b32 exec_lo, exec_lo, s34
	s_delay_alu instid0(SALU_CYCLE_1)
	s_mov_b32 s34, exec_lo
	v_cmpx_lt_u32_e64 v116, v145
	s_cbranch_execz .LBB1954_248
.LBB1954_217:                           ;   in Loop: Header=BB1954_98 Depth=2
	global_load_b64 v[18:19], v[36:37], off offset:2048
	s_or_b32 exec_lo, exec_lo, s34
	s_delay_alu instid0(SALU_CYCLE_1)
	s_mov_b32 s34, exec_lo
	v_cmpx_lt_u32_e64 v117, v145
	s_cbranch_execnz .LBB1954_249
.LBB1954_218:                           ;   in Loop: Header=BB1954_98 Depth=2
	s_or_b32 exec_lo, exec_lo, s34
	s_delay_alu instid0(SALU_CYCLE_1)
	s_mov_b32 s34, exec_lo
	v_cmpx_lt_u32_e64 v118, v145
	s_cbranch_execz .LBB1954_250
.LBB1954_219:                           ;   in Loop: Header=BB1954_98 Depth=2
	global_load_b64 v[14:15], v[36:37], off offset:2560
	s_or_b32 exec_lo, exec_lo, s34
	s_delay_alu instid0(SALU_CYCLE_1)
	s_mov_b32 s34, exec_lo
	v_cmpx_lt_u32_e64 v119, v145
	s_cbranch_execnz .LBB1954_251
.LBB1954_220:                           ;   in Loop: Header=BB1954_98 Depth=2
	s_or_b32 exec_lo, exec_lo, s34
	s_delay_alu instid0(SALU_CYCLE_1)
	s_mov_b32 s34, exec_lo
	v_cmpx_lt_u32_e64 v120, v145
	s_cbranch_execz .LBB1954_252
.LBB1954_221:                           ;   in Loop: Header=BB1954_98 Depth=2
	global_load_b64 v[10:11], v[36:37], off offset:3072
	s_or_b32 exec_lo, exec_lo, s34
	s_delay_alu instid0(SALU_CYCLE_1)
	s_mov_b32 s34, exec_lo
	v_cmpx_lt_u32_e64 v121, v145
	s_cbranch_execnz .LBB1954_253
.LBB1954_222:                           ;   in Loop: Header=BB1954_98 Depth=2
	s_or_b32 exec_lo, exec_lo, s34
	s_delay_alu instid0(SALU_CYCLE_1)
	s_mov_b32 s34, exec_lo
	v_cmpx_lt_u32_e64 v122, v145
	s_cbranch_execz .LBB1954_254
.LBB1954_223:                           ;   in Loop: Header=BB1954_98 Depth=2
	global_load_b64 v[6:7], v[36:37], off offset:3584
	s_or_b32 exec_lo, exec_lo, s34
	s_delay_alu instid0(SALU_CYCLE_1)
	s_mov_b32 s34, exec_lo
	v_cmpx_lt_u32_e64 v123, v145
	s_cbranch_execnz .LBB1954_255
.LBB1954_224:                           ;   in Loop: Header=BB1954_98 Depth=2
	s_or_b32 exec_lo, exec_lo, s34
	s_and_saveexec_b32 s34, vcc_lo
	s_cbranch_execz .LBB1954_256
.LBB1954_225:                           ;   in Loop: Header=BB1954_98 Depth=2
	v_add_nc_u32_e32 v2, v72, v78
	ds_load_u16 v2, v2 offset:1024
	s_waitcnt lgkmcnt(0)
	v_cmp_ne_u16_e64 s33, 0x8000, v2
	s_delay_alu instid0(VALU_DEP_1) | instskip(NEXT) | instid1(VALU_DEP_1)
	v_cndmask_b32_e64 v2, 0x7fff, v2, s33
	v_and_b32_e32 v2, 0xffff, v2
	s_delay_alu instid0(VALU_DEP_1) | instskip(NEXT) | instid1(VALU_DEP_1)
	v_lshrrev_b32_e32 v2, s48, v2
	v_and_b32_e32 v144, s55, v2
	s_or_b32 exec_lo, exec_lo, s34
	s_and_saveexec_b32 s34, s16
	s_cbranch_execnz .LBB1954_257
.LBB1954_226:                           ;   in Loop: Header=BB1954_98 Depth=2
	s_or_b32 exec_lo, exec_lo, s34
	s_and_saveexec_b32 s34, s17
	s_cbranch_execz .LBB1954_258
.LBB1954_227:                           ;   in Loop: Header=BB1954_98 Depth=2
	ds_load_u16 v2, v79 offset:1024
	s_waitcnt lgkmcnt(0)
	v_cmp_ne_u16_e64 s33, 0x8000, v2
	s_delay_alu instid0(VALU_DEP_1) | instskip(NEXT) | instid1(VALU_DEP_1)
	v_cndmask_b32_e64 v2, 0x7fff, v2, s33
	v_and_b32_e32 v2, 0xffff, v2
	s_delay_alu instid0(VALU_DEP_1) | instskip(NEXT) | instid1(VALU_DEP_1)
	v_lshrrev_b32_e32 v2, s48, v2
	v_and_b32_e32 v142, s55, v2
	s_or_b32 exec_lo, exec_lo, s34
	s_and_saveexec_b32 s34, s18
	s_cbranch_execnz .LBB1954_259
.LBB1954_228:                           ;   in Loop: Header=BB1954_98 Depth=2
	s_or_b32 exec_lo, exec_lo, s34
	s_and_saveexec_b32 s34, s19
	s_cbranch_execz .LBB1954_260
.LBB1954_229:                           ;   in Loop: Header=BB1954_98 Depth=2
	ds_load_u16 v2, v79 offset:2048
	s_waitcnt lgkmcnt(0)
	v_cmp_ne_u16_e64 s33, 0x8000, v2
	s_delay_alu instid0(VALU_DEP_1) | instskip(NEXT) | instid1(VALU_DEP_1)
	v_cndmask_b32_e64 v2, 0x7fff, v2, s33
	v_and_b32_e32 v2, 0xffff, v2
	s_delay_alu instid0(VALU_DEP_1) | instskip(NEXT) | instid1(VALU_DEP_1)
	v_lshrrev_b32_e32 v2, s48, v2
	v_and_b32_e32 v140, s55, v2
	s_or_b32 exec_lo, exec_lo, s34
	s_and_saveexec_b32 s34, s20
	s_cbranch_execnz .LBB1954_261
.LBB1954_230:                           ;   in Loop: Header=BB1954_98 Depth=2
	s_or_b32 exec_lo, exec_lo, s34
	s_and_saveexec_b32 s34, s21
	s_cbranch_execz .LBB1954_262
.LBB1954_231:                           ;   in Loop: Header=BB1954_98 Depth=2
	ds_load_u16 v2, v79 offset:3072
	s_waitcnt lgkmcnt(0)
	v_cmp_ne_u16_e64 s33, 0x8000, v2
	s_delay_alu instid0(VALU_DEP_1) | instskip(NEXT) | instid1(VALU_DEP_1)
	v_cndmask_b32_e64 v2, 0x7fff, v2, s33
	v_and_b32_e32 v2, 0xffff, v2
	s_delay_alu instid0(VALU_DEP_1) | instskip(NEXT) | instid1(VALU_DEP_1)
	v_lshrrev_b32_e32 v2, s48, v2
	v_and_b32_e32 v138, s55, v2
	s_or_b32 exec_lo, exec_lo, s34
	s_and_saveexec_b32 s34, s22
	s_cbranch_execnz .LBB1954_263
.LBB1954_232:                           ;   in Loop: Header=BB1954_98 Depth=2
	s_or_b32 exec_lo, exec_lo, s34
	s_and_saveexec_b32 s34, s23
	s_cbranch_execz .LBB1954_264
.LBB1954_233:                           ;   in Loop: Header=BB1954_98 Depth=2
	ds_load_u16 v2, v79 offset:4096
	s_waitcnt lgkmcnt(0)
	v_cmp_ne_u16_e64 s33, 0x8000, v2
	s_delay_alu instid0(VALU_DEP_1) | instskip(NEXT) | instid1(VALU_DEP_1)
	v_cndmask_b32_e64 v2, 0x7fff, v2, s33
	v_and_b32_e32 v2, 0xffff, v2
	s_delay_alu instid0(VALU_DEP_1) | instskip(NEXT) | instid1(VALU_DEP_1)
	v_lshrrev_b32_e32 v2, s48, v2
	v_and_b32_e32 v136, s55, v2
	s_or_b32 exec_lo, exec_lo, s34
	s_and_saveexec_b32 s34, s24
	s_cbranch_execnz .LBB1954_265
.LBB1954_234:                           ;   in Loop: Header=BB1954_98 Depth=2
	s_or_b32 exec_lo, exec_lo, s34
	s_and_saveexec_b32 s34, s25
	s_cbranch_execz .LBB1954_266
.LBB1954_235:                           ;   in Loop: Header=BB1954_98 Depth=2
	ds_load_u16 v2, v79 offset:5120
	s_waitcnt lgkmcnt(0)
	v_cmp_ne_u16_e64 s33, 0x8000, v2
	s_delay_alu instid0(VALU_DEP_1) | instskip(NEXT) | instid1(VALU_DEP_1)
	v_cndmask_b32_e64 v2, 0x7fff, v2, s33
	v_and_b32_e32 v2, 0xffff, v2
	s_delay_alu instid0(VALU_DEP_1) | instskip(NEXT) | instid1(VALU_DEP_1)
	v_lshrrev_b32_e32 v2, s48, v2
	v_and_b32_e32 v134, s55, v2
	s_or_b32 exec_lo, exec_lo, s34
	s_and_saveexec_b32 s34, s27
	s_cbranch_execnz .LBB1954_267
.LBB1954_236:                           ;   in Loop: Header=BB1954_98 Depth=2
	s_or_b32 exec_lo, exec_lo, s34
	s_and_saveexec_b32 s34, s28
	s_cbranch_execz .LBB1954_268
.LBB1954_237:                           ;   in Loop: Header=BB1954_98 Depth=2
	ds_load_u16 v2, v79 offset:6144
	s_waitcnt lgkmcnt(0)
	v_cmp_ne_u16_e64 s33, 0x8000, v2
	s_delay_alu instid0(VALU_DEP_1) | instskip(NEXT) | instid1(VALU_DEP_1)
	v_cndmask_b32_e64 v2, 0x7fff, v2, s33
	v_and_b32_e32 v2, 0xffff, v2
	s_delay_alu instid0(VALU_DEP_1) | instskip(NEXT) | instid1(VALU_DEP_1)
	v_lshrrev_b32_e32 v2, s48, v2
	v_and_b32_e32 v132, s55, v2
	s_or_b32 exec_lo, exec_lo, s34
	s_and_saveexec_b32 s34, s29
	s_cbranch_execnz .LBB1954_269
.LBB1954_238:                           ;   in Loop: Header=BB1954_98 Depth=2
	s_or_b32 exec_lo, exec_lo, s34
	s_and_saveexec_b32 s34, s30
	s_cbranch_execz .LBB1954_270
.LBB1954_239:                           ;   in Loop: Header=BB1954_98 Depth=2
	ds_load_u16 v2, v79 offset:7168
	s_waitcnt lgkmcnt(0)
	v_cmp_ne_u16_e64 s33, 0x8000, v2
	s_delay_alu instid0(VALU_DEP_1) | instskip(NEXT) | instid1(VALU_DEP_1)
	v_cndmask_b32_e64 v2, 0x7fff, v2, s33
	v_and_b32_e32 v2, 0xffff, v2
	s_delay_alu instid0(VALU_DEP_1) | instskip(NEXT) | instid1(VALU_DEP_1)
	v_lshrrev_b32_e32 v2, s48, v2
	v_and_b32_e32 v130, s55, v2
	s_or_b32 exec_lo, exec_lo, s34
	s_and_saveexec_b32 s34, s31
	s_cbranch_execnz .LBB1954_271
	s_branch .LBB1954_272
.LBB1954_240:                           ;   in Loop: Header=BB1954_98 Depth=2
	s_or_b32 exec_lo, exec_lo, s33
	s_delay_alu instid0(SALU_CYCLE_1)
	s_mov_b32 s34, exec_lo
	v_cmpx_lt_u32_e64 v109, v145
	s_cbranch_execz .LBB1954_210
.LBB1954_241:                           ;   in Loop: Header=BB1954_98 Depth=2
	global_load_b64 v[32:33], v[36:37], off offset:256
	s_or_b32 exec_lo, exec_lo, s34
	s_delay_alu instid0(SALU_CYCLE_1)
	s_mov_b32 s34, exec_lo
	v_cmpx_lt_u32_e64 v110, v145
	s_cbranch_execnz .LBB1954_211
.LBB1954_242:                           ;   in Loop: Header=BB1954_98 Depth=2
	s_or_b32 exec_lo, exec_lo, s34
	s_delay_alu instid0(SALU_CYCLE_1)
	s_mov_b32 s34, exec_lo
	v_cmpx_lt_u32_e64 v111, v145
	s_cbranch_execz .LBB1954_212
.LBB1954_243:                           ;   in Loop: Header=BB1954_98 Depth=2
	global_load_b64 v[28:29], v[36:37], off offset:768
	s_or_b32 exec_lo, exec_lo, s34
	s_delay_alu instid0(SALU_CYCLE_1)
	s_mov_b32 s34, exec_lo
	v_cmpx_lt_u32_e64 v112, v145
	s_cbranch_execnz .LBB1954_213
.LBB1954_244:                           ;   in Loop: Header=BB1954_98 Depth=2
	s_or_b32 exec_lo, exec_lo, s34
	s_delay_alu instid0(SALU_CYCLE_1)
	s_mov_b32 s34, exec_lo
	v_cmpx_lt_u32_e64 v113, v145
	s_cbranch_execz .LBB1954_214
.LBB1954_245:                           ;   in Loop: Header=BB1954_98 Depth=2
	global_load_b64 v[24:25], v[36:37], off offset:1280
	s_or_b32 exec_lo, exec_lo, s34
	s_delay_alu instid0(SALU_CYCLE_1)
	s_mov_b32 s34, exec_lo
	v_cmpx_lt_u32_e64 v114, v145
	s_cbranch_execnz .LBB1954_215
.LBB1954_246:                           ;   in Loop: Header=BB1954_98 Depth=2
	s_or_b32 exec_lo, exec_lo, s34
	s_delay_alu instid0(SALU_CYCLE_1)
	s_mov_b32 s34, exec_lo
	v_cmpx_lt_u32_e64 v115, v145
	s_cbranch_execz .LBB1954_216
.LBB1954_247:                           ;   in Loop: Header=BB1954_98 Depth=2
	global_load_b64 v[20:21], v[36:37], off offset:1792
	s_or_b32 exec_lo, exec_lo, s34
	s_delay_alu instid0(SALU_CYCLE_1)
	s_mov_b32 s34, exec_lo
	v_cmpx_lt_u32_e64 v116, v145
	s_cbranch_execnz .LBB1954_217
.LBB1954_248:                           ;   in Loop: Header=BB1954_98 Depth=2
	s_or_b32 exec_lo, exec_lo, s34
	s_delay_alu instid0(SALU_CYCLE_1)
	s_mov_b32 s34, exec_lo
	v_cmpx_lt_u32_e64 v117, v145
	s_cbranch_execz .LBB1954_218
.LBB1954_249:                           ;   in Loop: Header=BB1954_98 Depth=2
	global_load_b64 v[16:17], v[36:37], off offset:2304
	s_or_b32 exec_lo, exec_lo, s34
	s_delay_alu instid0(SALU_CYCLE_1)
	s_mov_b32 s34, exec_lo
	v_cmpx_lt_u32_e64 v118, v145
	s_cbranch_execnz .LBB1954_219
.LBB1954_250:                           ;   in Loop: Header=BB1954_98 Depth=2
	s_or_b32 exec_lo, exec_lo, s34
	s_delay_alu instid0(SALU_CYCLE_1)
	s_mov_b32 s34, exec_lo
	v_cmpx_lt_u32_e64 v119, v145
	s_cbranch_execz .LBB1954_220
.LBB1954_251:                           ;   in Loop: Header=BB1954_98 Depth=2
	global_load_b64 v[12:13], v[36:37], off offset:2816
	s_or_b32 exec_lo, exec_lo, s34
	s_delay_alu instid0(SALU_CYCLE_1)
	s_mov_b32 s34, exec_lo
	v_cmpx_lt_u32_e64 v120, v145
	s_cbranch_execnz .LBB1954_221
.LBB1954_252:                           ;   in Loop: Header=BB1954_98 Depth=2
	s_or_b32 exec_lo, exec_lo, s34
	s_delay_alu instid0(SALU_CYCLE_1)
	s_mov_b32 s34, exec_lo
	v_cmpx_lt_u32_e64 v121, v145
	s_cbranch_execz .LBB1954_222
.LBB1954_253:                           ;   in Loop: Header=BB1954_98 Depth=2
	global_load_b64 v[8:9], v[36:37], off offset:3328
	s_or_b32 exec_lo, exec_lo, s34
	s_delay_alu instid0(SALU_CYCLE_1)
	s_mov_b32 s34, exec_lo
	v_cmpx_lt_u32_e64 v122, v145
	s_cbranch_execnz .LBB1954_223
.LBB1954_254:                           ;   in Loop: Header=BB1954_98 Depth=2
	s_or_b32 exec_lo, exec_lo, s34
	s_delay_alu instid0(SALU_CYCLE_1)
	s_mov_b32 s34, exec_lo
	v_cmpx_lt_u32_e64 v123, v145
	s_cbranch_execz .LBB1954_224
.LBB1954_255:                           ;   in Loop: Header=BB1954_98 Depth=2
	global_load_b64 v[4:5], v[36:37], off offset:3840
	s_or_b32 exec_lo, exec_lo, s34
	s_and_saveexec_b32 s34, vcc_lo
	s_cbranch_execnz .LBB1954_225
.LBB1954_256:                           ;   in Loop: Header=BB1954_98 Depth=2
	s_or_b32 exec_lo, exec_lo, s34
	s_and_saveexec_b32 s34, s16
	s_cbranch_execz .LBB1954_226
.LBB1954_257:                           ;   in Loop: Header=BB1954_98 Depth=2
	ds_load_u16 v2, v79 offset:512
	s_waitcnt lgkmcnt(0)
	v_cmp_ne_u16_e64 s33, 0x8000, v2
	s_delay_alu instid0(VALU_DEP_1) | instskip(NEXT) | instid1(VALU_DEP_1)
	v_cndmask_b32_e64 v2, 0x7fff, v2, s33
	v_and_b32_e32 v2, 0xffff, v2
	s_delay_alu instid0(VALU_DEP_1) | instskip(NEXT) | instid1(VALU_DEP_1)
	v_lshrrev_b32_e32 v2, s48, v2
	v_and_b32_e32 v143, s55, v2
	s_or_b32 exec_lo, exec_lo, s34
	s_and_saveexec_b32 s34, s17
	s_cbranch_execnz .LBB1954_227
.LBB1954_258:                           ;   in Loop: Header=BB1954_98 Depth=2
	s_or_b32 exec_lo, exec_lo, s34
	s_and_saveexec_b32 s34, s18
	s_cbranch_execz .LBB1954_228
.LBB1954_259:                           ;   in Loop: Header=BB1954_98 Depth=2
	ds_load_u16 v2, v79 offset:1536
	s_waitcnt lgkmcnt(0)
	v_cmp_ne_u16_e64 s33, 0x8000, v2
	s_delay_alu instid0(VALU_DEP_1) | instskip(NEXT) | instid1(VALU_DEP_1)
	v_cndmask_b32_e64 v2, 0x7fff, v2, s33
	v_and_b32_e32 v2, 0xffff, v2
	s_delay_alu instid0(VALU_DEP_1) | instskip(NEXT) | instid1(VALU_DEP_1)
	v_lshrrev_b32_e32 v2, s48, v2
	v_and_b32_e32 v141, s55, v2
	s_or_b32 exec_lo, exec_lo, s34
	s_and_saveexec_b32 s34, s19
	s_cbranch_execnz .LBB1954_229
.LBB1954_260:                           ;   in Loop: Header=BB1954_98 Depth=2
	s_or_b32 exec_lo, exec_lo, s34
	s_and_saveexec_b32 s34, s20
	s_cbranch_execz .LBB1954_230
.LBB1954_261:                           ;   in Loop: Header=BB1954_98 Depth=2
	ds_load_u16 v2, v79 offset:2560
	s_waitcnt lgkmcnt(0)
	v_cmp_ne_u16_e64 s33, 0x8000, v2
	s_delay_alu instid0(VALU_DEP_1) | instskip(NEXT) | instid1(VALU_DEP_1)
	v_cndmask_b32_e64 v2, 0x7fff, v2, s33
	v_and_b32_e32 v2, 0xffff, v2
	s_delay_alu instid0(VALU_DEP_1) | instskip(NEXT) | instid1(VALU_DEP_1)
	v_lshrrev_b32_e32 v2, s48, v2
	v_and_b32_e32 v139, s55, v2
	s_or_b32 exec_lo, exec_lo, s34
	s_and_saveexec_b32 s34, s21
	s_cbranch_execnz .LBB1954_231
.LBB1954_262:                           ;   in Loop: Header=BB1954_98 Depth=2
	s_or_b32 exec_lo, exec_lo, s34
	s_and_saveexec_b32 s34, s22
	s_cbranch_execz .LBB1954_232
.LBB1954_263:                           ;   in Loop: Header=BB1954_98 Depth=2
	ds_load_u16 v2, v79 offset:3584
	s_waitcnt lgkmcnt(0)
	v_cmp_ne_u16_e64 s33, 0x8000, v2
	s_delay_alu instid0(VALU_DEP_1) | instskip(NEXT) | instid1(VALU_DEP_1)
	v_cndmask_b32_e64 v2, 0x7fff, v2, s33
	v_and_b32_e32 v2, 0xffff, v2
	s_delay_alu instid0(VALU_DEP_1) | instskip(NEXT) | instid1(VALU_DEP_1)
	v_lshrrev_b32_e32 v2, s48, v2
	v_and_b32_e32 v137, s55, v2
	s_or_b32 exec_lo, exec_lo, s34
	s_and_saveexec_b32 s34, s23
	s_cbranch_execnz .LBB1954_233
.LBB1954_264:                           ;   in Loop: Header=BB1954_98 Depth=2
	s_or_b32 exec_lo, exec_lo, s34
	s_and_saveexec_b32 s34, s24
	s_cbranch_execz .LBB1954_234
.LBB1954_265:                           ;   in Loop: Header=BB1954_98 Depth=2
	ds_load_u16 v2, v79 offset:4608
	s_waitcnt lgkmcnt(0)
	v_cmp_ne_u16_e64 s33, 0x8000, v2
	s_delay_alu instid0(VALU_DEP_1) | instskip(NEXT) | instid1(VALU_DEP_1)
	v_cndmask_b32_e64 v2, 0x7fff, v2, s33
	v_and_b32_e32 v2, 0xffff, v2
	s_delay_alu instid0(VALU_DEP_1) | instskip(NEXT) | instid1(VALU_DEP_1)
	v_lshrrev_b32_e32 v2, s48, v2
	v_and_b32_e32 v135, s55, v2
	s_or_b32 exec_lo, exec_lo, s34
	s_and_saveexec_b32 s34, s25
	s_cbranch_execnz .LBB1954_235
.LBB1954_266:                           ;   in Loop: Header=BB1954_98 Depth=2
	s_or_b32 exec_lo, exec_lo, s34
	s_and_saveexec_b32 s34, s27
	s_cbranch_execz .LBB1954_236
.LBB1954_267:                           ;   in Loop: Header=BB1954_98 Depth=2
	ds_load_u16 v2, v79 offset:5632
	s_waitcnt lgkmcnt(0)
	v_cmp_ne_u16_e64 s33, 0x8000, v2
	s_delay_alu instid0(VALU_DEP_1) | instskip(NEXT) | instid1(VALU_DEP_1)
	v_cndmask_b32_e64 v2, 0x7fff, v2, s33
	v_and_b32_e32 v2, 0xffff, v2
	s_delay_alu instid0(VALU_DEP_1) | instskip(NEXT) | instid1(VALU_DEP_1)
	v_lshrrev_b32_e32 v2, s48, v2
	v_and_b32_e32 v133, s55, v2
	s_or_b32 exec_lo, exec_lo, s34
	s_and_saveexec_b32 s34, s28
	s_cbranch_execnz .LBB1954_237
.LBB1954_268:                           ;   in Loop: Header=BB1954_98 Depth=2
	s_or_b32 exec_lo, exec_lo, s34
	s_and_saveexec_b32 s34, s29
	s_cbranch_execz .LBB1954_238
.LBB1954_269:                           ;   in Loop: Header=BB1954_98 Depth=2
	ds_load_u16 v2, v79 offset:6656
	s_waitcnt lgkmcnt(0)
	v_cmp_ne_u16_e64 s33, 0x8000, v2
	s_delay_alu instid0(VALU_DEP_1) | instskip(NEXT) | instid1(VALU_DEP_1)
	v_cndmask_b32_e64 v2, 0x7fff, v2, s33
	v_and_b32_e32 v2, 0xffff, v2
	s_delay_alu instid0(VALU_DEP_1) | instskip(NEXT) | instid1(VALU_DEP_1)
	v_lshrrev_b32_e32 v2, s48, v2
	v_and_b32_e32 v131, s55, v2
	s_or_b32 exec_lo, exec_lo, s34
	s_and_saveexec_b32 s34, s30
	s_cbranch_execnz .LBB1954_239
.LBB1954_270:                           ;   in Loop: Header=BB1954_98 Depth=2
	s_or_b32 exec_lo, exec_lo, s34
	s_and_saveexec_b32 s34, s31
	s_cbranch_execz .LBB1954_272
.LBB1954_271:                           ;   in Loop: Header=BB1954_98 Depth=2
	ds_load_u16 v2, v79 offset:7680
	s_waitcnt lgkmcnt(0)
	v_cmp_ne_u16_e64 s33, 0x8000, v2
	s_delay_alu instid0(VALU_DEP_1) | instskip(NEXT) | instid1(VALU_DEP_1)
	v_cndmask_b32_e64 v2, 0x7fff, v2, s33
	v_and_b32_e32 v2, 0xffff, v2
	s_delay_alu instid0(VALU_DEP_1) | instskip(NEXT) | instid1(VALU_DEP_1)
	v_lshrrev_b32_e32 v2, s48, v2
	v_and_b32_e32 v129, s55, v2
.LBB1954_272:                           ;   in Loop: Header=BB1954_98 Depth=2
	s_or_b32 exec_lo, exec_lo, s34
	v_lshlrev_b32_e32 v2, 3, v168
	v_lshlrev_b32_e32 v36, 3, v164
	s_waitcnt vmcnt(0)
	s_waitcnt_vscnt null, 0x0
	s_barrier
	buffer_gl0_inv
	ds_store_b64 v2, v[34:35] offset:1024
	v_lshlrev_b32_e32 v2, 3, v160
	v_lshlrev_b32_e32 v37, 3, v156
	;; [unrolled: 1-line block ×4, first 2 shown]
	ds_store_b64 v36, v[32:33] offset:1024
	ds_store_b64 v2, v[30:31] offset:1024
	;; [unrolled: 1-line block ×5, first 2 shown]
	v_lshlrev_b32_e32 v2, 3, v152
	v_lshlrev_b32_e32 v36, 3, v151
	;; [unrolled: 1-line block ×5, first 2 shown]
	ds_store_b64 v2, v[22:23] offset:1024
	ds_store_b64 v36, v[20:21] offset:1024
	ds_store_b64 v37, v[18:19] offset:1024
	ds_store_b64 v145, v[16:17] offset:1024
	ds_store_b64 v146, v[14:15] offset:1024
	v_lshlrev_b32_e32 v2, 3, v40
	v_lshlrev_b32_e32 v36, 3, v39
	;; [unrolled: 1-line block ×5, first 2 shown]
	ds_store_b64 v2, v[12:13] offset:1024
	ds_store_b64 v36, v[10:11] offset:1024
	;; [unrolled: 1-line block ×5, first 2 shown]
	s_waitcnt lgkmcnt(0)
	s_barrier
	buffer_gl0_inv
	s_and_saveexec_b32 s33, vcc_lo
	s_cbranch_execz .LBB1954_288
; %bb.273:                              ;   in Loop: Header=BB1954_98 Depth=2
	v_lshlrev_b32_e32 v2, 2, v144
	ds_load_b32 v2, v2
	ds_load_b64 v[36:37], v80 offset:1024
	s_waitcnt lgkmcnt(1)
	v_add_nc_u32_e32 v2, v2, v1
	s_delay_alu instid0(VALU_DEP_1) | instskip(NEXT) | instid1(VALU_DEP_1)
	v_lshlrev_b64 v[39:40], 3, v[2:3]
	v_add_co_u32 v39, vcc_lo, s44, v39
	s_delay_alu instid0(VALU_DEP_2)
	v_add_co_ci_u32_e32 v40, vcc_lo, s45, v40, vcc_lo
	s_waitcnt lgkmcnt(0)
	global_store_b64 v[39:40], v[36:37], off
	s_or_b32 exec_lo, exec_lo, s33
	s_and_saveexec_b32 s33, s16
	s_cbranch_execnz .LBB1954_289
.LBB1954_274:                           ;   in Loop: Header=BB1954_98 Depth=2
	s_or_b32 exec_lo, exec_lo, s33
	s_and_saveexec_b32 s16, s17
	s_cbranch_execz .LBB1954_290
.LBB1954_275:                           ;   in Loop: Header=BB1954_98 Depth=2
	v_lshlrev_b32_e32 v2, 2, v142
	v_add_nc_u32_e32 v36, v79, v81
	ds_load_b32 v2, v2
	ds_load_b64 v[36:37], v36 offset:4096
	s_waitcnt lgkmcnt(1)
	v_add_nc_u32_e32 v2, v2, v46
	s_delay_alu instid0(VALU_DEP_1) | instskip(NEXT) | instid1(VALU_DEP_1)
	v_lshlrev_b64 v[39:40], 3, v[2:3]
	v_add_co_u32 v39, vcc_lo, s44, v39
	s_delay_alu instid0(VALU_DEP_2)
	v_add_co_ci_u32_e32 v40, vcc_lo, s45, v40, vcc_lo
	s_waitcnt lgkmcnt(0)
	global_store_b64 v[39:40], v[36:37], off
	s_or_b32 exec_lo, exec_lo, s16
	s_and_saveexec_b32 s16, s18
	s_cbranch_execnz .LBB1954_291
.LBB1954_276:                           ;   in Loop: Header=BB1954_98 Depth=2
	s_or_b32 exec_lo, exec_lo, s16
	s_and_saveexec_b32 s16, s19
	s_cbranch_execz .LBB1954_292
.LBB1954_277:                           ;   in Loop: Header=BB1954_98 Depth=2
	v_lshlrev_b32_e32 v2, 2, v140
	v_add_nc_u32_e32 v36, v79, v81
	ds_load_b32 v2, v2
	ds_load_b64 v[36:37], v36 offset:8192
	s_waitcnt lgkmcnt(1)
	v_add_nc_u32_e32 v2, v2, v51
	s_delay_alu instid0(VALU_DEP_1) | instskip(NEXT) | instid1(VALU_DEP_1)
	v_lshlrev_b64 v[39:40], 3, v[2:3]
	v_add_co_u32 v39, vcc_lo, s44, v39
	s_delay_alu instid0(VALU_DEP_2)
	v_add_co_ci_u32_e32 v40, vcc_lo, s45, v40, vcc_lo
	s_waitcnt lgkmcnt(0)
	global_store_b64 v[39:40], v[36:37], off
	s_or_b32 exec_lo, exec_lo, s16
	s_and_saveexec_b32 s16, s20
	s_cbranch_execnz .LBB1954_293
.LBB1954_278:                           ;   in Loop: Header=BB1954_98 Depth=2
	s_or_b32 exec_lo, exec_lo, s16
	s_and_saveexec_b32 s16, s21
	s_cbranch_execz .LBB1954_294
.LBB1954_279:                           ;   in Loop: Header=BB1954_98 Depth=2
	v_lshlrev_b32_e32 v2, 2, v138
	v_add_nc_u32_e32 v36, v79, v81
	ds_load_b32 v2, v2
	ds_load_b64 v[36:37], v36 offset:12288
	s_waitcnt lgkmcnt(1)
	v_add_nc_u32_e32 v2, v2, v53
	s_delay_alu instid0(VALU_DEP_1) | instskip(NEXT) | instid1(VALU_DEP_1)
	v_lshlrev_b64 v[39:40], 3, v[2:3]
	v_add_co_u32 v39, vcc_lo, s44, v39
	s_delay_alu instid0(VALU_DEP_2)
	v_add_co_ci_u32_e32 v40, vcc_lo, s45, v40, vcc_lo
	s_waitcnt lgkmcnt(0)
	global_store_b64 v[39:40], v[36:37], off
	s_or_b32 exec_lo, exec_lo, s16
	s_and_saveexec_b32 s16, s22
	s_cbranch_execnz .LBB1954_295
.LBB1954_280:                           ;   in Loop: Header=BB1954_98 Depth=2
	s_or_b32 exec_lo, exec_lo, s16
	s_and_saveexec_b32 s16, s23
	s_cbranch_execz .LBB1954_296
.LBB1954_281:                           ;   in Loop: Header=BB1954_98 Depth=2
	v_lshlrev_b32_e32 v2, 2, v136
	v_add_nc_u32_e32 v36, v79, v81
	ds_load_b32 v2, v2
	ds_load_b64 v[36:37], v36 offset:16384
	s_waitcnt lgkmcnt(1)
	v_add_nc_u32_e32 v2, v2, v55
	s_delay_alu instid0(VALU_DEP_1) | instskip(NEXT) | instid1(VALU_DEP_1)
	v_lshlrev_b64 v[39:40], 3, v[2:3]
	v_add_co_u32 v39, vcc_lo, s44, v39
	s_delay_alu instid0(VALU_DEP_2)
	v_add_co_ci_u32_e32 v40, vcc_lo, s45, v40, vcc_lo
	s_waitcnt lgkmcnt(0)
	global_store_b64 v[39:40], v[36:37], off
	s_or_b32 exec_lo, exec_lo, s16
	s_and_saveexec_b32 s16, s24
	s_cbranch_execnz .LBB1954_297
.LBB1954_282:                           ;   in Loop: Header=BB1954_98 Depth=2
	s_or_b32 exec_lo, exec_lo, s16
	s_and_saveexec_b32 s16, s25
	s_cbranch_execz .LBB1954_298
.LBB1954_283:                           ;   in Loop: Header=BB1954_98 Depth=2
	v_lshlrev_b32_e32 v2, 2, v134
	v_add_nc_u32_e32 v36, v79, v81
	ds_load_b32 v2, v2
	ds_load_b64 v[36:37], v36 offset:20480
	s_waitcnt lgkmcnt(1)
	v_add_nc_u32_e32 v2, v2, v57
	s_delay_alu instid0(VALU_DEP_1) | instskip(NEXT) | instid1(VALU_DEP_1)
	v_lshlrev_b64 v[39:40], 3, v[2:3]
	v_add_co_u32 v39, vcc_lo, s44, v39
	s_delay_alu instid0(VALU_DEP_2)
	v_add_co_ci_u32_e32 v40, vcc_lo, s45, v40, vcc_lo
	s_waitcnt lgkmcnt(0)
	global_store_b64 v[39:40], v[36:37], off
	s_or_b32 exec_lo, exec_lo, s16
	s_and_saveexec_b32 s16, s27
	s_cbranch_execnz .LBB1954_299
.LBB1954_284:                           ;   in Loop: Header=BB1954_98 Depth=2
	s_or_b32 exec_lo, exec_lo, s16
	s_and_saveexec_b32 s16, s28
	s_cbranch_execz .LBB1954_300
.LBB1954_285:                           ;   in Loop: Header=BB1954_98 Depth=2
	v_lshlrev_b32_e32 v2, 2, v132
	v_add_nc_u32_e32 v36, v79, v81
	ds_load_b32 v2, v2
	ds_load_b64 v[36:37], v36 offset:24576
	s_waitcnt lgkmcnt(1)
	v_add_nc_u32_e32 v2, v2, v59
	s_delay_alu instid0(VALU_DEP_1) | instskip(NEXT) | instid1(VALU_DEP_1)
	v_lshlrev_b64 v[39:40], 3, v[2:3]
	v_add_co_u32 v39, vcc_lo, s44, v39
	s_delay_alu instid0(VALU_DEP_2)
	v_add_co_ci_u32_e32 v40, vcc_lo, s45, v40, vcc_lo
	s_waitcnt lgkmcnt(0)
	global_store_b64 v[39:40], v[36:37], off
	s_or_b32 exec_lo, exec_lo, s16
	s_and_saveexec_b32 s16, s29
	s_cbranch_execnz .LBB1954_301
.LBB1954_286:                           ;   in Loop: Header=BB1954_98 Depth=2
	s_or_b32 exec_lo, exec_lo, s16
	s_and_saveexec_b32 s16, s30
	s_cbranch_execz .LBB1954_302
.LBB1954_287:                           ;   in Loop: Header=BB1954_98 Depth=2
	v_lshlrev_b32_e32 v2, 2, v130
	v_add_nc_u32_e32 v36, v79, v81
	ds_load_b32 v2, v2
	ds_load_b64 v[36:37], v36 offset:28672
	s_waitcnt lgkmcnt(1)
	v_add_nc_u32_e32 v2, v2, v61
	s_delay_alu instid0(VALU_DEP_1) | instskip(NEXT) | instid1(VALU_DEP_1)
	v_lshlrev_b64 v[39:40], 3, v[2:3]
	v_add_co_u32 v39, vcc_lo, s44, v39
	s_delay_alu instid0(VALU_DEP_2)
	v_add_co_ci_u32_e32 v40, vcc_lo, s45, v40, vcc_lo
	s_waitcnt lgkmcnt(0)
	global_store_b64 v[39:40], v[36:37], off
	s_or_b32 exec_lo, exec_lo, s16
	s_and_saveexec_b32 s16, s31
	s_cbranch_execnz .LBB1954_303
	s_branch .LBB1954_304
.LBB1954_288:                           ;   in Loop: Header=BB1954_98 Depth=2
	s_or_b32 exec_lo, exec_lo, s33
	s_and_saveexec_b32 s33, s16
	s_cbranch_execz .LBB1954_274
.LBB1954_289:                           ;   in Loop: Header=BB1954_98 Depth=2
	v_lshlrev_b32_e32 v2, 2, v143
	v_add_nc_u32_e32 v36, v79, v81
	ds_load_b32 v2, v2
	ds_load_b64 v[36:37], v36 offset:2048
	s_waitcnt lgkmcnt(1)
	v_add_nc_u32_e32 v2, v2, v45
	s_delay_alu instid0(VALU_DEP_1) | instskip(NEXT) | instid1(VALU_DEP_1)
	v_lshlrev_b64 v[39:40], 3, v[2:3]
	v_add_co_u32 v39, vcc_lo, s44, v39
	s_delay_alu instid0(VALU_DEP_2)
	v_add_co_ci_u32_e32 v40, vcc_lo, s45, v40, vcc_lo
	s_waitcnt lgkmcnt(0)
	global_store_b64 v[39:40], v[36:37], off
	s_or_b32 exec_lo, exec_lo, s33
	s_and_saveexec_b32 s16, s17
	s_cbranch_execnz .LBB1954_275
.LBB1954_290:                           ;   in Loop: Header=BB1954_98 Depth=2
	s_or_b32 exec_lo, exec_lo, s16
	s_and_saveexec_b32 s16, s18
	s_cbranch_execz .LBB1954_276
.LBB1954_291:                           ;   in Loop: Header=BB1954_98 Depth=2
	v_lshlrev_b32_e32 v2, 2, v141
	v_add_nc_u32_e32 v36, v79, v81
	ds_load_b32 v2, v2
	ds_load_b64 v[36:37], v36 offset:6144
	s_waitcnt lgkmcnt(1)
	v_add_nc_u32_e32 v2, v2, v47
	s_delay_alu instid0(VALU_DEP_1) | instskip(NEXT) | instid1(VALU_DEP_1)
	v_lshlrev_b64 v[39:40], 3, v[2:3]
	v_add_co_u32 v39, vcc_lo, s44, v39
	s_delay_alu instid0(VALU_DEP_2)
	v_add_co_ci_u32_e32 v40, vcc_lo, s45, v40, vcc_lo
	s_waitcnt lgkmcnt(0)
	global_store_b64 v[39:40], v[36:37], off
	s_or_b32 exec_lo, exec_lo, s16
	s_and_saveexec_b32 s16, s19
	s_cbranch_execnz .LBB1954_277
.LBB1954_292:                           ;   in Loop: Header=BB1954_98 Depth=2
	s_or_b32 exec_lo, exec_lo, s16
	s_and_saveexec_b32 s16, s20
	s_cbranch_execz .LBB1954_278
.LBB1954_293:                           ;   in Loop: Header=BB1954_98 Depth=2
	v_lshlrev_b32_e32 v2, 2, v139
	v_add_nc_u32_e32 v36, v79, v81
	ds_load_b32 v2, v2
	ds_load_b64 v[36:37], v36 offset:10240
	s_waitcnt lgkmcnt(1)
	v_add_nc_u32_e32 v2, v2, v52
	s_delay_alu instid0(VALU_DEP_1) | instskip(NEXT) | instid1(VALU_DEP_1)
	v_lshlrev_b64 v[39:40], 3, v[2:3]
	v_add_co_u32 v39, vcc_lo, s44, v39
	s_delay_alu instid0(VALU_DEP_2)
	v_add_co_ci_u32_e32 v40, vcc_lo, s45, v40, vcc_lo
	s_waitcnt lgkmcnt(0)
	global_store_b64 v[39:40], v[36:37], off
	s_or_b32 exec_lo, exec_lo, s16
	s_and_saveexec_b32 s16, s21
	s_cbranch_execnz .LBB1954_279
.LBB1954_294:                           ;   in Loop: Header=BB1954_98 Depth=2
	s_or_b32 exec_lo, exec_lo, s16
	s_and_saveexec_b32 s16, s22
	s_cbranch_execz .LBB1954_280
.LBB1954_295:                           ;   in Loop: Header=BB1954_98 Depth=2
	v_lshlrev_b32_e32 v2, 2, v137
	v_add_nc_u32_e32 v36, v79, v81
	ds_load_b32 v2, v2
	ds_load_b64 v[36:37], v36 offset:14336
	s_waitcnt lgkmcnt(1)
	v_add_nc_u32_e32 v2, v2, v54
	s_delay_alu instid0(VALU_DEP_1) | instskip(NEXT) | instid1(VALU_DEP_1)
	v_lshlrev_b64 v[39:40], 3, v[2:3]
	v_add_co_u32 v39, vcc_lo, s44, v39
	s_delay_alu instid0(VALU_DEP_2)
	v_add_co_ci_u32_e32 v40, vcc_lo, s45, v40, vcc_lo
	s_waitcnt lgkmcnt(0)
	global_store_b64 v[39:40], v[36:37], off
	s_or_b32 exec_lo, exec_lo, s16
	s_and_saveexec_b32 s16, s23
	s_cbranch_execnz .LBB1954_281
.LBB1954_296:                           ;   in Loop: Header=BB1954_98 Depth=2
	s_or_b32 exec_lo, exec_lo, s16
	s_and_saveexec_b32 s16, s24
	s_cbranch_execz .LBB1954_282
.LBB1954_297:                           ;   in Loop: Header=BB1954_98 Depth=2
	v_lshlrev_b32_e32 v2, 2, v135
	v_add_nc_u32_e32 v36, v79, v81
	ds_load_b32 v2, v2
	ds_load_b64 v[36:37], v36 offset:18432
	s_waitcnt lgkmcnt(1)
	v_add_nc_u32_e32 v2, v2, v56
	s_delay_alu instid0(VALU_DEP_1) | instskip(NEXT) | instid1(VALU_DEP_1)
	v_lshlrev_b64 v[39:40], 3, v[2:3]
	v_add_co_u32 v39, vcc_lo, s44, v39
	s_delay_alu instid0(VALU_DEP_2)
	v_add_co_ci_u32_e32 v40, vcc_lo, s45, v40, vcc_lo
	s_waitcnt lgkmcnt(0)
	global_store_b64 v[39:40], v[36:37], off
	s_or_b32 exec_lo, exec_lo, s16
	s_and_saveexec_b32 s16, s25
	s_cbranch_execnz .LBB1954_283
.LBB1954_298:                           ;   in Loop: Header=BB1954_98 Depth=2
	s_or_b32 exec_lo, exec_lo, s16
	s_and_saveexec_b32 s16, s27
	s_cbranch_execz .LBB1954_284
.LBB1954_299:                           ;   in Loop: Header=BB1954_98 Depth=2
	v_lshlrev_b32_e32 v2, 2, v133
	v_add_nc_u32_e32 v36, v79, v81
	ds_load_b32 v2, v2
	ds_load_b64 v[36:37], v36 offset:22528
	s_waitcnt lgkmcnt(1)
	v_add_nc_u32_e32 v2, v2, v58
	s_delay_alu instid0(VALU_DEP_1) | instskip(NEXT) | instid1(VALU_DEP_1)
	v_lshlrev_b64 v[39:40], 3, v[2:3]
	v_add_co_u32 v39, vcc_lo, s44, v39
	s_delay_alu instid0(VALU_DEP_2)
	v_add_co_ci_u32_e32 v40, vcc_lo, s45, v40, vcc_lo
	s_waitcnt lgkmcnt(0)
	global_store_b64 v[39:40], v[36:37], off
	s_or_b32 exec_lo, exec_lo, s16
	s_and_saveexec_b32 s16, s28
	s_cbranch_execnz .LBB1954_285
.LBB1954_300:                           ;   in Loop: Header=BB1954_98 Depth=2
	s_or_b32 exec_lo, exec_lo, s16
	s_and_saveexec_b32 s16, s29
	s_cbranch_execz .LBB1954_286
.LBB1954_301:                           ;   in Loop: Header=BB1954_98 Depth=2
	v_lshlrev_b32_e32 v2, 2, v131
	v_add_nc_u32_e32 v36, v79, v81
	ds_load_b32 v2, v2
	ds_load_b64 v[36:37], v36 offset:26624
	s_waitcnt lgkmcnt(1)
	v_add_nc_u32_e32 v2, v2, v60
	s_delay_alu instid0(VALU_DEP_1) | instskip(NEXT) | instid1(VALU_DEP_1)
	v_lshlrev_b64 v[39:40], 3, v[2:3]
	v_add_co_u32 v39, vcc_lo, s44, v39
	s_delay_alu instid0(VALU_DEP_2)
	v_add_co_ci_u32_e32 v40, vcc_lo, s45, v40, vcc_lo
	s_waitcnt lgkmcnt(0)
	global_store_b64 v[39:40], v[36:37], off
	s_or_b32 exec_lo, exec_lo, s16
	s_and_saveexec_b32 s16, s30
	s_cbranch_execnz .LBB1954_287
.LBB1954_302:                           ;   in Loop: Header=BB1954_98 Depth=2
	s_or_b32 exec_lo, exec_lo, s16
	s_and_saveexec_b32 s16, s31
	s_cbranch_execz .LBB1954_304
.LBB1954_303:                           ;   in Loop: Header=BB1954_98 Depth=2
	v_lshlrev_b32_e32 v2, 2, v129
	v_add_nc_u32_e32 v36, v79, v81
	ds_load_b32 v2, v2
	ds_load_b64 v[36:37], v36 offset:30720
	s_waitcnt lgkmcnt(1)
	v_add_nc_u32_e32 v2, v2, v63
	s_delay_alu instid0(VALU_DEP_1) | instskip(NEXT) | instid1(VALU_DEP_1)
	v_lshlrev_b64 v[39:40], 3, v[2:3]
	v_add_co_u32 v39, vcc_lo, s44, v39
	s_delay_alu instid0(VALU_DEP_2)
	v_add_co_ci_u32_e32 v40, vcc_lo, s45, v40, vcc_lo
	s_waitcnt lgkmcnt(0)
	global_store_b64 v[39:40], v[36:37], off
.LBB1954_304:                           ;   in Loop: Header=BB1954_98 Depth=2
	s_or_b32 exec_lo, exec_lo, s16
	s_waitcnt_vscnt null, 0x0
	s_barrier
	buffer_gl0_inv
	s_and_saveexec_b32 s16, s2
	s_cbranch_execz .LBB1954_97
; %bb.305:                              ;   in Loop: Header=BB1954_98 Depth=2
	ds_load_b32 v2, v44
	s_waitcnt lgkmcnt(0)
	v_add_nc_u32_e32 v2, v2, v38
	ds_store_b32 v44, v2
	s_branch .LBB1954_97
.LBB1954_306:                           ;   in Loop: Header=BB1954_12 Depth=1
	s_waitcnt lgkmcnt(0)
	s_mov_b32 s0, 0
	s_barrier
.LBB1954_307:                           ;   in Loop: Header=BB1954_12 Depth=1
	s_and_b32 vcc_lo, exec_lo, s0
	s_cbranch_vccz .LBB1954_601
; %bb.308:                              ;   in Loop: Header=BB1954_12 Depth=1
	s_mov_b32 s8, s54
	s_mov_b32 s34, s52
	s_barrier
	buffer_gl0_inv
                                        ; implicit-def: $vgpr20
                                        ; implicit-def: $vgpr2
                                        ; implicit-def: $vgpr6
                                        ; implicit-def: $vgpr7
                                        ; implicit-def: $vgpr8
                                        ; implicit-def: $vgpr9
                                        ; implicit-def: $vgpr10
                                        ; implicit-def: $vgpr11
                                        ; implicit-def: $vgpr12
                                        ; implicit-def: $vgpr13
                                        ; implicit-def: $vgpr14
                                        ; implicit-def: $vgpr15
                                        ; implicit-def: $vgpr16
                                        ; implicit-def: $vgpr17
                                        ; implicit-def: $vgpr18
                                        ; implicit-def: $vgpr19
	s_branch .LBB1954_310
.LBB1954_309:                           ;   in Loop: Header=BB1954_310 Depth=2
	s_or_b32 exec_lo, exec_lo, s0
	s_addk_i32 s8, 0xf000
	s_cmp_ge_u32 s9, s53
	s_mov_b32 s34, s9
	s_cbranch_scc1 .LBB1954_380
.LBB1954_310:                           ;   Parent Loop BB1954_12 Depth=1
                                        ; =>  This Inner Loop Header: Depth=2
	s_add_i32 s9, s34, 0x1000
	s_delay_alu instid0(SALU_CYCLE_1)
	s_cmp_gt_u32 s9, s53
	s_cbranch_scc1 .LBB1954_313
; %bb.311:                              ;   in Loop: Header=BB1954_310 Depth=2
	s_mov_b32 s1, 0
	s_mov_b32 s0, s34
	s_delay_alu instid0(SALU_CYCLE_1) | instskip(NEXT) | instid1(SALU_CYCLE_1)
	s_lshl_b64 s[10:11], s[0:1], 1
	v_add_co_u32 v4, vcc_lo, v82, s10
	v_add_co_ci_u32_e32 v5, vcc_lo, s11, v83, vcc_lo
	s_movk_i32 s11, 0x1000
	s_waitcnt vmcnt(0)
	s_delay_alu instid0(VALU_DEP_2) | instskip(NEXT) | instid1(VALU_DEP_2)
	v_add_co_u32 v36, vcc_lo, 0x1000, v4
	v_add_co_ci_u32_e32 v37, vcc_lo, 0, v5, vcc_lo
	s_clause 0xe
	global_load_u16 v22, v[4:5], off
	global_load_u16 v23, v[4:5], off offset:512
	global_load_u16 v24, v[4:5], off offset:1024
	;; [unrolled: 1-line block ×7, first 2 shown]
	global_load_u16 v30, v[36:37], off
	global_load_u16 v31, v[36:37], off offset:512
	global_load_u16 v32, v[36:37], off offset:1024
	;; [unrolled: 1-line block ×6, first 2 shown]
	v_add_co_u32 v4, vcc_lo, 0x1e00, v4
	v_add_co_ci_u32_e32 v5, vcc_lo, 0, v5, vcc_lo
	s_mov_b32 s10, -1
	s_cbranch_execz .LBB1954_314
; %bb.312:                              ;   in Loop: Header=BB1954_310 Depth=2
                                        ; implicit-def: $vgpr19
                                        ; implicit-def: $vgpr18
                                        ; implicit-def: $vgpr17
                                        ; implicit-def: $vgpr16
                                        ; implicit-def: $vgpr15
                                        ; implicit-def: $vgpr14
                                        ; implicit-def: $vgpr13
                                        ; implicit-def: $vgpr12
                                        ; implicit-def: $vgpr11
                                        ; implicit-def: $vgpr10
                                        ; implicit-def: $vgpr9
                                        ; implicit-def: $vgpr8
                                        ; implicit-def: $vgpr7
                                        ; implicit-def: $vgpr6
                                        ; implicit-def: $vgpr2
                                        ; implicit-def: $vgpr20
	v_mov_b32_e32 v21, s8
	s_and_saveexec_b32 s0, s10
	s_cbranch_execnz .LBB1954_333
	s_branch .LBB1954_334
.LBB1954_313:                           ;   in Loop: Header=BB1954_310 Depth=2
	s_mov_b32 s10, 0
                                        ; implicit-def: $sgpr11
                                        ; implicit-def: $vgpr22
                                        ; implicit-def: $vgpr23
                                        ; implicit-def: $vgpr24
                                        ; implicit-def: $vgpr25
                                        ; implicit-def: $vgpr26
                                        ; implicit-def: $vgpr27
                                        ; implicit-def: $vgpr28
                                        ; implicit-def: $vgpr29
                                        ; implicit-def: $vgpr30
                                        ; implicit-def: $vgpr31
                                        ; implicit-def: $vgpr32
                                        ; implicit-def: $vgpr33
                                        ; implicit-def: $vgpr34
                                        ; implicit-def: $vgpr35
                                        ; implicit-def: $vgpr36
                                        ; implicit-def: $vgpr4_vgpr5
.LBB1954_314:                           ;   in Loop: Header=BB1954_310 Depth=2
	s_lshl_b64 s[0:1], s[34:35], 1
	s_mov_b32 s11, exec_lo
	s_add_u32 s0, s38, s0
	s_addc_u32 s1, s39, s1
	v_cmpx_gt_u32_e64 s8, v1
	s_cbranch_execz .LBB1954_366
; %bb.315:                              ;   in Loop: Header=BB1954_310 Depth=2
	global_load_u16 v19, v95, s[0:1]
	s_or_b32 exec_lo, exec_lo, s11
	s_delay_alu instid0(SALU_CYCLE_1)
	s_mov_b32 s11, exec_lo
	v_cmpx_gt_u32_e64 s8, v45
	s_cbranch_execnz .LBB1954_367
.LBB1954_316:                           ;   in Loop: Header=BB1954_310 Depth=2
	s_or_b32 exec_lo, exec_lo, s11
	s_delay_alu instid0(SALU_CYCLE_1)
	s_mov_b32 s11, exec_lo
	v_cmpx_gt_u32_e64 s8, v46
	s_cbranch_execz .LBB1954_368
.LBB1954_317:                           ;   in Loop: Header=BB1954_310 Depth=2
	global_load_u16 v17, v95, s[0:1] offset:1024
	s_or_b32 exec_lo, exec_lo, s11
	s_delay_alu instid0(SALU_CYCLE_1)
	s_mov_b32 s11, exec_lo
	v_cmpx_gt_u32_e64 s8, v47
	s_cbranch_execnz .LBB1954_369
.LBB1954_318:                           ;   in Loop: Header=BB1954_310 Depth=2
	s_or_b32 exec_lo, exec_lo, s11
	s_delay_alu instid0(SALU_CYCLE_1)
	s_mov_b32 s11, exec_lo
	v_cmpx_gt_u32_e64 s8, v51
	s_cbranch_execz .LBB1954_370
.LBB1954_319:                           ;   in Loop: Header=BB1954_310 Depth=2
	global_load_u16 v15, v95, s[0:1] offset:2048
	s_or_b32 exec_lo, exec_lo, s11
	s_delay_alu instid0(SALU_CYCLE_1)
	s_mov_b32 s11, exec_lo
	v_cmpx_gt_u32_e64 s8, v52
	s_cbranch_execnz .LBB1954_371
.LBB1954_320:                           ;   in Loop: Header=BB1954_310 Depth=2
	s_or_b32 exec_lo, exec_lo, s11
	s_delay_alu instid0(SALU_CYCLE_1)
	s_mov_b32 s11, exec_lo
	v_cmpx_gt_u32_e64 s8, v53
	s_cbranch_execz .LBB1954_372
.LBB1954_321:                           ;   in Loop: Header=BB1954_310 Depth=2
	global_load_u16 v13, v95, s[0:1] offset:3072
	s_or_b32 exec_lo, exec_lo, s11
	s_delay_alu instid0(SALU_CYCLE_1)
	s_mov_b32 s11, exec_lo
	v_cmpx_gt_u32_e64 s8, v54
	s_cbranch_execnz .LBB1954_373
.LBB1954_322:                           ;   in Loop: Header=BB1954_310 Depth=2
	s_or_b32 exec_lo, exec_lo, s11
	s_delay_alu instid0(SALU_CYCLE_1)
	s_mov_b32 s11, exec_lo
	v_cmpx_gt_u32_e64 s8, v55
	s_cbranch_execz .LBB1954_374
.LBB1954_323:                           ;   in Loop: Header=BB1954_310 Depth=2
	global_load_u16 v11, v96, s[0:1]
	s_or_b32 exec_lo, exec_lo, s11
	s_delay_alu instid0(SALU_CYCLE_1)
	s_mov_b32 s11, exec_lo
	v_cmpx_gt_u32_e64 s8, v56
	s_cbranch_execnz .LBB1954_375
.LBB1954_324:                           ;   in Loop: Header=BB1954_310 Depth=2
	s_or_b32 exec_lo, exec_lo, s11
	s_delay_alu instid0(SALU_CYCLE_1)
	s_mov_b32 s11, exec_lo
	v_cmpx_gt_u32_e64 s8, v57
	s_cbranch_execz .LBB1954_376
.LBB1954_325:                           ;   in Loop: Header=BB1954_310 Depth=2
	global_load_u16 v9, v98, s[0:1]
	s_or_b32 exec_lo, exec_lo, s11
	s_delay_alu instid0(SALU_CYCLE_1)
	s_mov_b32 s11, exec_lo
	v_cmpx_gt_u32_e64 s8, v58
	s_cbranch_execnz .LBB1954_377
.LBB1954_326:                           ;   in Loop: Header=BB1954_310 Depth=2
	s_or_b32 exec_lo, exec_lo, s11
	s_delay_alu instid0(SALU_CYCLE_1)
	s_mov_b32 s11, exec_lo
	v_cmpx_gt_u32_e64 s8, v59
	s_cbranch_execz .LBB1954_378
.LBB1954_327:                           ;   in Loop: Header=BB1954_310 Depth=2
	global_load_u16 v7, v100, s[0:1]
	s_or_b32 exec_lo, exec_lo, s11
	s_delay_alu instid0(SALU_CYCLE_1)
	s_mov_b32 s11, exec_lo
	v_cmpx_gt_u32_e64 s8, v60
	s_cbranch_execnz .LBB1954_379
.LBB1954_328:                           ;   in Loop: Header=BB1954_310 Depth=2
	s_or_b32 exec_lo, exec_lo, s11
	s_delay_alu instid0(SALU_CYCLE_1)
	s_mov_b32 s11, exec_lo
	v_cmpx_gt_u32_e64 s8, v61
	s_cbranch_execz .LBB1954_330
.LBB1954_329:                           ;   in Loop: Header=BB1954_310 Depth=2
	global_load_u16 v2, v102, s[0:1]
.LBB1954_330:                           ;   in Loop: Header=BB1954_310 Depth=2
	s_or_b32 exec_lo, exec_lo, s11
	s_delay_alu instid0(SALU_CYCLE_1)
	s_mov_b32 s12, exec_lo
                                        ; implicit-def: $sgpr11
                                        ; implicit-def: $vgpr4_vgpr5
	v_cmpx_gt_u32_e64 s8, v63
; %bb.331:                              ;   in Loop: Header=BB1954_310 Depth=2
	v_add_co_u32 v4, s0, s0, v103
	s_delay_alu instid0(VALU_DEP_1)
	v_add_co_ci_u32_e64 v5, null, s1, 0, s0
	s_sub_i32 s11, s53, s34
	s_or_b32 s10, s10, exec_lo
                                        ; implicit-def: $vgpr20
; %bb.332:                              ;   in Loop: Header=BB1954_310 Depth=2
	s_or_b32 exec_lo, exec_lo, s12
	s_waitcnt vmcnt(0)
	v_dual_mov_b32 v22, v19 :: v_dual_mov_b32 v23, v18
	v_dual_mov_b32 v24, v17 :: v_dual_mov_b32 v25, v16
	;; [unrolled: 1-line block ×8, first 2 shown]
	s_and_saveexec_b32 s0, s10
	s_cbranch_execz .LBB1954_334
.LBB1954_333:                           ;   in Loop: Header=BB1954_310 Depth=2
	global_load_u16 v20, v[4:5], off
	s_waitcnt vmcnt(1)
	v_dual_mov_b32 v21, s11 :: v_dual_mov_b32 v2, v36
	v_dual_mov_b32 v6, v35 :: v_dual_mov_b32 v7, v34
	;; [unrolled: 1-line block ×8, first 2 shown]
.LBB1954_334:                           ;   in Loop: Header=BB1954_310 Depth=2
	s_or_b32 exec_lo, exec_lo, s0
	s_delay_alu instid0(SALU_CYCLE_1)
	s_mov_b32 s0, exec_lo
	v_cmpx_lt_u32_e64 v1, v21
	s_cbranch_execz .LBB1954_350
; %bb.335:                              ;   in Loop: Header=BB1954_310 Depth=2
	v_cmp_gt_i16_e32 vcc_lo, 0, v19
	v_lshlrev_b32_e32 v5, 2, v48
	v_cndmask_b32_e64 v4, 0x7fff, 0, vcc_lo
	s_delay_alu instid0(VALU_DEP_1) | instskip(NEXT) | instid1(VALU_DEP_1)
	v_xor_b32_e32 v4, v4, v19
	v_cmp_ne_u16_e32 vcc_lo, 0x8000, v4
	v_cndmask_b32_e32 v4, 0x7fff, v4, vcc_lo
	s_delay_alu instid0(VALU_DEP_1) | instskip(NEXT) | instid1(VALU_DEP_1)
	v_and_b32_e32 v4, 0xffff, v4
	v_lshrrev_b32_e32 v4, s48, v4
	s_delay_alu instid0(VALU_DEP_1) | instskip(NEXT) | instid1(VALU_DEP_1)
	v_and_b32_e32 v4, s55, v4
	v_lshl_or_b32 v4, v4, 4, v5
	ds_add_u32 v4, v94
	s_or_b32 exec_lo, exec_lo, s0
	s_delay_alu instid0(SALU_CYCLE_1)
	s_mov_b32 s0, exec_lo
	v_cmpx_lt_u32_e64 v45, v21
	s_cbranch_execnz .LBB1954_351
.LBB1954_336:                           ;   in Loop: Header=BB1954_310 Depth=2
	s_or_b32 exec_lo, exec_lo, s0
	s_delay_alu instid0(SALU_CYCLE_1)
	s_mov_b32 s0, exec_lo
	v_cmpx_lt_u32_e64 v46, v21
	s_cbranch_execz .LBB1954_352
.LBB1954_337:                           ;   in Loop: Header=BB1954_310 Depth=2
	v_cmp_gt_i16_e32 vcc_lo, 0, v17
	v_lshlrev_b32_e32 v5, 2, v48
	v_cndmask_b32_e64 v4, 0x7fff, 0, vcc_lo
	s_delay_alu instid0(VALU_DEP_1) | instskip(NEXT) | instid1(VALU_DEP_1)
	v_xor_b32_e32 v4, v4, v17
	v_cmp_ne_u16_e32 vcc_lo, 0x8000, v4
	v_cndmask_b32_e32 v4, 0x7fff, v4, vcc_lo
	s_delay_alu instid0(VALU_DEP_1) | instskip(NEXT) | instid1(VALU_DEP_1)
	v_and_b32_e32 v4, 0xffff, v4
	v_lshrrev_b32_e32 v4, s48, v4
	s_delay_alu instid0(VALU_DEP_1) | instskip(NEXT) | instid1(VALU_DEP_1)
	v_and_b32_e32 v4, s55, v4
	v_lshl_or_b32 v4, v4, 4, v5
	ds_add_u32 v4, v94
	s_or_b32 exec_lo, exec_lo, s0
	s_delay_alu instid0(SALU_CYCLE_1)
	s_mov_b32 s0, exec_lo
	v_cmpx_lt_u32_e64 v47, v21
	s_cbranch_execnz .LBB1954_353
.LBB1954_338:                           ;   in Loop: Header=BB1954_310 Depth=2
	s_or_b32 exec_lo, exec_lo, s0
	s_delay_alu instid0(SALU_CYCLE_1)
	s_mov_b32 s0, exec_lo
	v_cmpx_lt_u32_e64 v51, v21
	s_cbranch_execz .LBB1954_354
.LBB1954_339:                           ;   in Loop: Header=BB1954_310 Depth=2
	v_cmp_gt_i16_e32 vcc_lo, 0, v15
	v_lshlrev_b32_e32 v5, 2, v48
	v_cndmask_b32_e64 v4, 0x7fff, 0, vcc_lo
	s_delay_alu instid0(VALU_DEP_1) | instskip(NEXT) | instid1(VALU_DEP_1)
	v_xor_b32_e32 v4, v4, v15
	v_cmp_ne_u16_e32 vcc_lo, 0x8000, v4
	v_cndmask_b32_e32 v4, 0x7fff, v4, vcc_lo
	s_delay_alu instid0(VALU_DEP_1) | instskip(NEXT) | instid1(VALU_DEP_1)
	v_and_b32_e32 v4, 0xffff, v4
	v_lshrrev_b32_e32 v4, s48, v4
	s_delay_alu instid0(VALU_DEP_1) | instskip(NEXT) | instid1(VALU_DEP_1)
	v_and_b32_e32 v4, s55, v4
	v_lshl_or_b32 v4, v4, 4, v5
	ds_add_u32 v4, v94
	s_or_b32 exec_lo, exec_lo, s0
	s_delay_alu instid0(SALU_CYCLE_1)
	s_mov_b32 s0, exec_lo
	v_cmpx_lt_u32_e64 v52, v21
	s_cbranch_execnz .LBB1954_355
.LBB1954_340:                           ;   in Loop: Header=BB1954_310 Depth=2
	s_or_b32 exec_lo, exec_lo, s0
	s_delay_alu instid0(SALU_CYCLE_1)
	s_mov_b32 s0, exec_lo
	v_cmpx_lt_u32_e64 v53, v21
	s_cbranch_execz .LBB1954_356
.LBB1954_341:                           ;   in Loop: Header=BB1954_310 Depth=2
	v_cmp_gt_i16_e32 vcc_lo, 0, v13
	v_lshlrev_b32_e32 v5, 2, v48
	v_cndmask_b32_e64 v4, 0x7fff, 0, vcc_lo
	s_delay_alu instid0(VALU_DEP_1) | instskip(NEXT) | instid1(VALU_DEP_1)
	v_xor_b32_e32 v4, v4, v13
	v_cmp_ne_u16_e32 vcc_lo, 0x8000, v4
	v_cndmask_b32_e32 v4, 0x7fff, v4, vcc_lo
	s_delay_alu instid0(VALU_DEP_1) | instskip(NEXT) | instid1(VALU_DEP_1)
	v_and_b32_e32 v4, 0xffff, v4
	v_lshrrev_b32_e32 v4, s48, v4
	s_delay_alu instid0(VALU_DEP_1) | instskip(NEXT) | instid1(VALU_DEP_1)
	v_and_b32_e32 v4, s55, v4
	v_lshl_or_b32 v4, v4, 4, v5
	ds_add_u32 v4, v94
	s_or_b32 exec_lo, exec_lo, s0
	s_delay_alu instid0(SALU_CYCLE_1)
	s_mov_b32 s0, exec_lo
	v_cmpx_lt_u32_e64 v54, v21
	s_cbranch_execnz .LBB1954_357
.LBB1954_342:                           ;   in Loop: Header=BB1954_310 Depth=2
	s_or_b32 exec_lo, exec_lo, s0
	s_delay_alu instid0(SALU_CYCLE_1)
	s_mov_b32 s0, exec_lo
	v_cmpx_lt_u32_e64 v55, v21
	s_cbranch_execz .LBB1954_358
.LBB1954_343:                           ;   in Loop: Header=BB1954_310 Depth=2
	v_cmp_gt_i16_e32 vcc_lo, 0, v11
	v_lshlrev_b32_e32 v5, 2, v48
	v_cndmask_b32_e64 v4, 0x7fff, 0, vcc_lo
	s_delay_alu instid0(VALU_DEP_1) | instskip(NEXT) | instid1(VALU_DEP_1)
	v_xor_b32_e32 v4, v4, v11
	v_cmp_ne_u16_e32 vcc_lo, 0x8000, v4
	v_cndmask_b32_e32 v4, 0x7fff, v4, vcc_lo
	s_delay_alu instid0(VALU_DEP_1) | instskip(NEXT) | instid1(VALU_DEP_1)
	v_and_b32_e32 v4, 0xffff, v4
	v_lshrrev_b32_e32 v4, s48, v4
	s_delay_alu instid0(VALU_DEP_1) | instskip(NEXT) | instid1(VALU_DEP_1)
	v_and_b32_e32 v4, s55, v4
	v_lshl_or_b32 v4, v4, 4, v5
	ds_add_u32 v4, v94
	s_or_b32 exec_lo, exec_lo, s0
	s_delay_alu instid0(SALU_CYCLE_1)
	s_mov_b32 s0, exec_lo
	v_cmpx_lt_u32_e64 v56, v21
	s_cbranch_execnz .LBB1954_359
.LBB1954_344:                           ;   in Loop: Header=BB1954_310 Depth=2
	s_or_b32 exec_lo, exec_lo, s0
	s_delay_alu instid0(SALU_CYCLE_1)
	s_mov_b32 s0, exec_lo
	v_cmpx_lt_u32_e64 v57, v21
	s_cbranch_execz .LBB1954_360
.LBB1954_345:                           ;   in Loop: Header=BB1954_310 Depth=2
	v_cmp_gt_i16_e32 vcc_lo, 0, v9
	v_lshlrev_b32_e32 v5, 2, v48
	v_cndmask_b32_e64 v4, 0x7fff, 0, vcc_lo
	s_delay_alu instid0(VALU_DEP_1) | instskip(NEXT) | instid1(VALU_DEP_1)
	v_xor_b32_e32 v4, v4, v9
	v_cmp_ne_u16_e32 vcc_lo, 0x8000, v4
	v_cndmask_b32_e32 v4, 0x7fff, v4, vcc_lo
	s_delay_alu instid0(VALU_DEP_1) | instskip(NEXT) | instid1(VALU_DEP_1)
	v_and_b32_e32 v4, 0xffff, v4
	v_lshrrev_b32_e32 v4, s48, v4
	s_delay_alu instid0(VALU_DEP_1) | instskip(NEXT) | instid1(VALU_DEP_1)
	v_and_b32_e32 v4, s55, v4
	v_lshl_or_b32 v4, v4, 4, v5
	ds_add_u32 v4, v94
	s_or_b32 exec_lo, exec_lo, s0
	s_delay_alu instid0(SALU_CYCLE_1)
	s_mov_b32 s0, exec_lo
	v_cmpx_lt_u32_e64 v58, v21
	s_cbranch_execnz .LBB1954_361
.LBB1954_346:                           ;   in Loop: Header=BB1954_310 Depth=2
	s_or_b32 exec_lo, exec_lo, s0
	s_delay_alu instid0(SALU_CYCLE_1)
	s_mov_b32 s0, exec_lo
	v_cmpx_lt_u32_e64 v59, v21
	s_cbranch_execz .LBB1954_362
.LBB1954_347:                           ;   in Loop: Header=BB1954_310 Depth=2
	v_cmp_gt_i16_e32 vcc_lo, 0, v7
	v_lshlrev_b32_e32 v5, 2, v48
	v_cndmask_b32_e64 v4, 0x7fff, 0, vcc_lo
	s_delay_alu instid0(VALU_DEP_1) | instskip(NEXT) | instid1(VALU_DEP_1)
	v_xor_b32_e32 v4, v4, v7
	v_cmp_ne_u16_e32 vcc_lo, 0x8000, v4
	v_cndmask_b32_e32 v4, 0x7fff, v4, vcc_lo
	s_delay_alu instid0(VALU_DEP_1) | instskip(NEXT) | instid1(VALU_DEP_1)
	v_and_b32_e32 v4, 0xffff, v4
	v_lshrrev_b32_e32 v4, s48, v4
	s_delay_alu instid0(VALU_DEP_1) | instskip(NEXT) | instid1(VALU_DEP_1)
	v_and_b32_e32 v4, s55, v4
	v_lshl_or_b32 v4, v4, 4, v5
	ds_add_u32 v4, v94
	s_or_b32 exec_lo, exec_lo, s0
	s_delay_alu instid0(SALU_CYCLE_1)
	s_mov_b32 s0, exec_lo
	v_cmpx_lt_u32_e64 v60, v21
	s_cbranch_execnz .LBB1954_363
.LBB1954_348:                           ;   in Loop: Header=BB1954_310 Depth=2
	s_or_b32 exec_lo, exec_lo, s0
	s_delay_alu instid0(SALU_CYCLE_1)
	s_mov_b32 s0, exec_lo
	v_cmpx_lt_u32_e64 v61, v21
	s_cbranch_execz .LBB1954_364
.LBB1954_349:                           ;   in Loop: Header=BB1954_310 Depth=2
	v_cmp_gt_i16_e32 vcc_lo, 0, v2
	v_lshlrev_b32_e32 v5, 2, v48
	v_cndmask_b32_e64 v4, 0x7fff, 0, vcc_lo
	s_delay_alu instid0(VALU_DEP_1) | instskip(NEXT) | instid1(VALU_DEP_1)
	v_xor_b32_e32 v4, v4, v2
	v_cmp_ne_u16_e32 vcc_lo, 0x8000, v4
	v_cndmask_b32_e32 v4, 0x7fff, v4, vcc_lo
	s_delay_alu instid0(VALU_DEP_1) | instskip(NEXT) | instid1(VALU_DEP_1)
	v_and_b32_e32 v4, 0xffff, v4
	v_lshrrev_b32_e32 v4, s48, v4
	s_delay_alu instid0(VALU_DEP_1) | instskip(NEXT) | instid1(VALU_DEP_1)
	v_and_b32_e32 v4, s55, v4
	v_lshl_or_b32 v4, v4, 4, v5
	ds_add_u32 v4, v94
	s_or_b32 exec_lo, exec_lo, s0
	s_delay_alu instid0(SALU_CYCLE_1)
	s_mov_b32 s0, exec_lo
	v_cmpx_lt_u32_e64 v63, v21
	s_cbranch_execz .LBB1954_309
	s_branch .LBB1954_365
.LBB1954_350:                           ;   in Loop: Header=BB1954_310 Depth=2
	s_or_b32 exec_lo, exec_lo, s0
	s_delay_alu instid0(SALU_CYCLE_1)
	s_mov_b32 s0, exec_lo
	v_cmpx_lt_u32_e64 v45, v21
	s_cbranch_execz .LBB1954_336
.LBB1954_351:                           ;   in Loop: Header=BB1954_310 Depth=2
	v_cmp_gt_i16_e32 vcc_lo, 0, v18
	v_lshlrev_b32_e32 v5, 2, v48
	v_cndmask_b32_e64 v4, 0x7fff, 0, vcc_lo
	s_delay_alu instid0(VALU_DEP_1) | instskip(NEXT) | instid1(VALU_DEP_1)
	v_xor_b32_e32 v4, v4, v18
	v_cmp_ne_u16_e32 vcc_lo, 0x8000, v4
	v_cndmask_b32_e32 v4, 0x7fff, v4, vcc_lo
	s_delay_alu instid0(VALU_DEP_1) | instskip(NEXT) | instid1(VALU_DEP_1)
	v_and_b32_e32 v4, 0xffff, v4
	v_lshrrev_b32_e32 v4, s48, v4
	s_delay_alu instid0(VALU_DEP_1) | instskip(NEXT) | instid1(VALU_DEP_1)
	v_and_b32_e32 v4, s55, v4
	v_lshl_or_b32 v4, v4, 4, v5
	ds_add_u32 v4, v94
	s_or_b32 exec_lo, exec_lo, s0
	s_delay_alu instid0(SALU_CYCLE_1)
	s_mov_b32 s0, exec_lo
	v_cmpx_lt_u32_e64 v46, v21
	s_cbranch_execnz .LBB1954_337
.LBB1954_352:                           ;   in Loop: Header=BB1954_310 Depth=2
	s_or_b32 exec_lo, exec_lo, s0
	s_delay_alu instid0(SALU_CYCLE_1)
	s_mov_b32 s0, exec_lo
	v_cmpx_lt_u32_e64 v47, v21
	s_cbranch_execz .LBB1954_338
.LBB1954_353:                           ;   in Loop: Header=BB1954_310 Depth=2
	v_cmp_gt_i16_e32 vcc_lo, 0, v16
	v_lshlrev_b32_e32 v5, 2, v48
	v_cndmask_b32_e64 v4, 0x7fff, 0, vcc_lo
	s_delay_alu instid0(VALU_DEP_1) | instskip(NEXT) | instid1(VALU_DEP_1)
	v_xor_b32_e32 v4, v4, v16
	v_cmp_ne_u16_e32 vcc_lo, 0x8000, v4
	v_cndmask_b32_e32 v4, 0x7fff, v4, vcc_lo
	s_delay_alu instid0(VALU_DEP_1) | instskip(NEXT) | instid1(VALU_DEP_1)
	v_and_b32_e32 v4, 0xffff, v4
	v_lshrrev_b32_e32 v4, s48, v4
	s_delay_alu instid0(VALU_DEP_1) | instskip(NEXT) | instid1(VALU_DEP_1)
	v_and_b32_e32 v4, s55, v4
	v_lshl_or_b32 v4, v4, 4, v5
	ds_add_u32 v4, v94
	s_or_b32 exec_lo, exec_lo, s0
	s_delay_alu instid0(SALU_CYCLE_1)
	s_mov_b32 s0, exec_lo
	v_cmpx_lt_u32_e64 v51, v21
	s_cbranch_execnz .LBB1954_339
.LBB1954_354:                           ;   in Loop: Header=BB1954_310 Depth=2
	s_or_b32 exec_lo, exec_lo, s0
	s_delay_alu instid0(SALU_CYCLE_1)
	s_mov_b32 s0, exec_lo
	v_cmpx_lt_u32_e64 v52, v21
	s_cbranch_execz .LBB1954_340
.LBB1954_355:                           ;   in Loop: Header=BB1954_310 Depth=2
	v_cmp_gt_i16_e32 vcc_lo, 0, v14
	v_lshlrev_b32_e32 v5, 2, v48
	v_cndmask_b32_e64 v4, 0x7fff, 0, vcc_lo
	s_delay_alu instid0(VALU_DEP_1) | instskip(NEXT) | instid1(VALU_DEP_1)
	v_xor_b32_e32 v4, v4, v14
	v_cmp_ne_u16_e32 vcc_lo, 0x8000, v4
	v_cndmask_b32_e32 v4, 0x7fff, v4, vcc_lo
	s_delay_alu instid0(VALU_DEP_1) | instskip(NEXT) | instid1(VALU_DEP_1)
	v_and_b32_e32 v4, 0xffff, v4
	v_lshrrev_b32_e32 v4, s48, v4
	s_delay_alu instid0(VALU_DEP_1) | instskip(NEXT) | instid1(VALU_DEP_1)
	v_and_b32_e32 v4, s55, v4
	v_lshl_or_b32 v4, v4, 4, v5
	ds_add_u32 v4, v94
	s_or_b32 exec_lo, exec_lo, s0
	s_delay_alu instid0(SALU_CYCLE_1)
	s_mov_b32 s0, exec_lo
	v_cmpx_lt_u32_e64 v53, v21
	s_cbranch_execnz .LBB1954_341
.LBB1954_356:                           ;   in Loop: Header=BB1954_310 Depth=2
	s_or_b32 exec_lo, exec_lo, s0
	s_delay_alu instid0(SALU_CYCLE_1)
	s_mov_b32 s0, exec_lo
	v_cmpx_lt_u32_e64 v54, v21
	s_cbranch_execz .LBB1954_342
.LBB1954_357:                           ;   in Loop: Header=BB1954_310 Depth=2
	v_cmp_gt_i16_e32 vcc_lo, 0, v12
	v_lshlrev_b32_e32 v5, 2, v48
	v_cndmask_b32_e64 v4, 0x7fff, 0, vcc_lo
	s_delay_alu instid0(VALU_DEP_1) | instskip(NEXT) | instid1(VALU_DEP_1)
	v_xor_b32_e32 v4, v4, v12
	v_cmp_ne_u16_e32 vcc_lo, 0x8000, v4
	v_cndmask_b32_e32 v4, 0x7fff, v4, vcc_lo
	s_delay_alu instid0(VALU_DEP_1) | instskip(NEXT) | instid1(VALU_DEP_1)
	v_and_b32_e32 v4, 0xffff, v4
	v_lshrrev_b32_e32 v4, s48, v4
	s_delay_alu instid0(VALU_DEP_1) | instskip(NEXT) | instid1(VALU_DEP_1)
	v_and_b32_e32 v4, s55, v4
	v_lshl_or_b32 v4, v4, 4, v5
	ds_add_u32 v4, v94
	s_or_b32 exec_lo, exec_lo, s0
	s_delay_alu instid0(SALU_CYCLE_1)
	s_mov_b32 s0, exec_lo
	v_cmpx_lt_u32_e64 v55, v21
	s_cbranch_execnz .LBB1954_343
.LBB1954_358:                           ;   in Loop: Header=BB1954_310 Depth=2
	s_or_b32 exec_lo, exec_lo, s0
	s_delay_alu instid0(SALU_CYCLE_1)
	s_mov_b32 s0, exec_lo
	v_cmpx_lt_u32_e64 v56, v21
	s_cbranch_execz .LBB1954_344
.LBB1954_359:                           ;   in Loop: Header=BB1954_310 Depth=2
	v_cmp_gt_i16_e32 vcc_lo, 0, v10
	v_lshlrev_b32_e32 v5, 2, v48
	v_cndmask_b32_e64 v4, 0x7fff, 0, vcc_lo
	s_delay_alu instid0(VALU_DEP_1) | instskip(NEXT) | instid1(VALU_DEP_1)
	v_xor_b32_e32 v4, v4, v10
	v_cmp_ne_u16_e32 vcc_lo, 0x8000, v4
	v_cndmask_b32_e32 v4, 0x7fff, v4, vcc_lo
	s_delay_alu instid0(VALU_DEP_1) | instskip(NEXT) | instid1(VALU_DEP_1)
	v_and_b32_e32 v4, 0xffff, v4
	v_lshrrev_b32_e32 v4, s48, v4
	s_delay_alu instid0(VALU_DEP_1) | instskip(NEXT) | instid1(VALU_DEP_1)
	v_and_b32_e32 v4, s55, v4
	v_lshl_or_b32 v4, v4, 4, v5
	ds_add_u32 v4, v94
	s_or_b32 exec_lo, exec_lo, s0
	s_delay_alu instid0(SALU_CYCLE_1)
	s_mov_b32 s0, exec_lo
	v_cmpx_lt_u32_e64 v57, v21
	s_cbranch_execnz .LBB1954_345
.LBB1954_360:                           ;   in Loop: Header=BB1954_310 Depth=2
	s_or_b32 exec_lo, exec_lo, s0
	s_delay_alu instid0(SALU_CYCLE_1)
	s_mov_b32 s0, exec_lo
	v_cmpx_lt_u32_e64 v58, v21
	s_cbranch_execz .LBB1954_346
.LBB1954_361:                           ;   in Loop: Header=BB1954_310 Depth=2
	v_cmp_gt_i16_e32 vcc_lo, 0, v8
	v_lshlrev_b32_e32 v5, 2, v48
	v_cndmask_b32_e64 v4, 0x7fff, 0, vcc_lo
	s_delay_alu instid0(VALU_DEP_1) | instskip(NEXT) | instid1(VALU_DEP_1)
	v_xor_b32_e32 v4, v4, v8
	v_cmp_ne_u16_e32 vcc_lo, 0x8000, v4
	v_cndmask_b32_e32 v4, 0x7fff, v4, vcc_lo
	s_delay_alu instid0(VALU_DEP_1) | instskip(NEXT) | instid1(VALU_DEP_1)
	v_and_b32_e32 v4, 0xffff, v4
	v_lshrrev_b32_e32 v4, s48, v4
	s_delay_alu instid0(VALU_DEP_1) | instskip(NEXT) | instid1(VALU_DEP_1)
	v_and_b32_e32 v4, s55, v4
	v_lshl_or_b32 v4, v4, 4, v5
	ds_add_u32 v4, v94
	s_or_b32 exec_lo, exec_lo, s0
	s_delay_alu instid0(SALU_CYCLE_1)
	s_mov_b32 s0, exec_lo
	v_cmpx_lt_u32_e64 v59, v21
	s_cbranch_execnz .LBB1954_347
.LBB1954_362:                           ;   in Loop: Header=BB1954_310 Depth=2
	s_or_b32 exec_lo, exec_lo, s0
	s_delay_alu instid0(SALU_CYCLE_1)
	s_mov_b32 s0, exec_lo
	v_cmpx_lt_u32_e64 v60, v21
	s_cbranch_execz .LBB1954_348
.LBB1954_363:                           ;   in Loop: Header=BB1954_310 Depth=2
	v_cmp_gt_i16_e32 vcc_lo, 0, v6
	v_lshlrev_b32_e32 v5, 2, v48
	v_cndmask_b32_e64 v4, 0x7fff, 0, vcc_lo
	s_delay_alu instid0(VALU_DEP_1) | instskip(NEXT) | instid1(VALU_DEP_1)
	v_xor_b32_e32 v4, v4, v6
	v_cmp_ne_u16_e32 vcc_lo, 0x8000, v4
	v_cndmask_b32_e32 v4, 0x7fff, v4, vcc_lo
	s_delay_alu instid0(VALU_DEP_1) | instskip(NEXT) | instid1(VALU_DEP_1)
	v_and_b32_e32 v4, 0xffff, v4
	v_lshrrev_b32_e32 v4, s48, v4
	s_delay_alu instid0(VALU_DEP_1) | instskip(NEXT) | instid1(VALU_DEP_1)
	v_and_b32_e32 v4, s55, v4
	v_lshl_or_b32 v4, v4, 4, v5
	ds_add_u32 v4, v94
	s_or_b32 exec_lo, exec_lo, s0
	s_delay_alu instid0(SALU_CYCLE_1)
	s_mov_b32 s0, exec_lo
	v_cmpx_lt_u32_e64 v61, v21
	s_cbranch_execnz .LBB1954_349
.LBB1954_364:                           ;   in Loop: Header=BB1954_310 Depth=2
	s_or_b32 exec_lo, exec_lo, s0
	s_delay_alu instid0(SALU_CYCLE_1)
	s_mov_b32 s0, exec_lo
	v_cmpx_lt_u32_e64 v63, v21
	s_cbranch_execz .LBB1954_309
.LBB1954_365:                           ;   in Loop: Header=BB1954_310 Depth=2
	s_waitcnt vmcnt(0)
	v_cmp_gt_i16_e32 vcc_lo, 0, v20
	v_lshlrev_b32_e32 v5, 2, v48
	v_cndmask_b32_e64 v4, 0x7fff, 0, vcc_lo
	s_delay_alu instid0(VALU_DEP_1) | instskip(NEXT) | instid1(VALU_DEP_1)
	v_xor_b32_e32 v4, v4, v20
	v_cmp_ne_u16_e32 vcc_lo, 0x8000, v4
	v_cndmask_b32_e32 v4, 0x7fff, v4, vcc_lo
	s_delay_alu instid0(VALU_DEP_1) | instskip(NEXT) | instid1(VALU_DEP_1)
	v_and_b32_e32 v4, 0xffff, v4
	v_lshrrev_b32_e32 v4, s48, v4
	s_delay_alu instid0(VALU_DEP_1) | instskip(NEXT) | instid1(VALU_DEP_1)
	v_and_b32_e32 v4, s55, v4
	v_lshl_or_b32 v4, v4, 4, v5
	ds_add_u32 v4, v94
	s_branch .LBB1954_309
.LBB1954_366:                           ;   in Loop: Header=BB1954_310 Depth=2
	s_or_b32 exec_lo, exec_lo, s11
	s_delay_alu instid0(SALU_CYCLE_1)
	s_mov_b32 s11, exec_lo
	v_cmpx_gt_u32_e64 s8, v45
	s_cbranch_execz .LBB1954_316
.LBB1954_367:                           ;   in Loop: Header=BB1954_310 Depth=2
	global_load_u16 v18, v95, s[0:1] offset:512
	s_or_b32 exec_lo, exec_lo, s11
	s_delay_alu instid0(SALU_CYCLE_1)
	s_mov_b32 s11, exec_lo
	v_cmpx_gt_u32_e64 s8, v46
	s_cbranch_execnz .LBB1954_317
.LBB1954_368:                           ;   in Loop: Header=BB1954_310 Depth=2
	s_or_b32 exec_lo, exec_lo, s11
	s_delay_alu instid0(SALU_CYCLE_1)
	s_mov_b32 s11, exec_lo
	v_cmpx_gt_u32_e64 s8, v47
	s_cbranch_execz .LBB1954_318
.LBB1954_369:                           ;   in Loop: Header=BB1954_310 Depth=2
	global_load_u16 v16, v95, s[0:1] offset:1536
	s_or_b32 exec_lo, exec_lo, s11
	s_delay_alu instid0(SALU_CYCLE_1)
	s_mov_b32 s11, exec_lo
	v_cmpx_gt_u32_e64 s8, v51
	s_cbranch_execnz .LBB1954_319
.LBB1954_370:                           ;   in Loop: Header=BB1954_310 Depth=2
	s_or_b32 exec_lo, exec_lo, s11
	s_delay_alu instid0(SALU_CYCLE_1)
	s_mov_b32 s11, exec_lo
	v_cmpx_gt_u32_e64 s8, v52
	s_cbranch_execz .LBB1954_320
.LBB1954_371:                           ;   in Loop: Header=BB1954_310 Depth=2
	global_load_u16 v14, v95, s[0:1] offset:2560
	s_or_b32 exec_lo, exec_lo, s11
	s_delay_alu instid0(SALU_CYCLE_1)
	s_mov_b32 s11, exec_lo
	v_cmpx_gt_u32_e64 s8, v53
	s_cbranch_execnz .LBB1954_321
.LBB1954_372:                           ;   in Loop: Header=BB1954_310 Depth=2
	s_or_b32 exec_lo, exec_lo, s11
	s_delay_alu instid0(SALU_CYCLE_1)
	s_mov_b32 s11, exec_lo
	v_cmpx_gt_u32_e64 s8, v54
	s_cbranch_execz .LBB1954_322
.LBB1954_373:                           ;   in Loop: Header=BB1954_310 Depth=2
	global_load_u16 v12, v95, s[0:1] offset:3584
	s_or_b32 exec_lo, exec_lo, s11
	s_delay_alu instid0(SALU_CYCLE_1)
	s_mov_b32 s11, exec_lo
	v_cmpx_gt_u32_e64 s8, v55
	s_cbranch_execnz .LBB1954_323
.LBB1954_374:                           ;   in Loop: Header=BB1954_310 Depth=2
	s_or_b32 exec_lo, exec_lo, s11
	s_delay_alu instid0(SALU_CYCLE_1)
	s_mov_b32 s11, exec_lo
	v_cmpx_gt_u32_e64 s8, v56
	s_cbranch_execz .LBB1954_324
.LBB1954_375:                           ;   in Loop: Header=BB1954_310 Depth=2
	global_load_u16 v10, v97, s[0:1]
	s_or_b32 exec_lo, exec_lo, s11
	s_delay_alu instid0(SALU_CYCLE_1)
	s_mov_b32 s11, exec_lo
	v_cmpx_gt_u32_e64 s8, v57
	s_cbranch_execnz .LBB1954_325
.LBB1954_376:                           ;   in Loop: Header=BB1954_310 Depth=2
	s_or_b32 exec_lo, exec_lo, s11
	s_delay_alu instid0(SALU_CYCLE_1)
	s_mov_b32 s11, exec_lo
	v_cmpx_gt_u32_e64 s8, v58
	s_cbranch_execz .LBB1954_326
.LBB1954_377:                           ;   in Loop: Header=BB1954_310 Depth=2
	global_load_u16 v8, v99, s[0:1]
	s_or_b32 exec_lo, exec_lo, s11
	s_delay_alu instid0(SALU_CYCLE_1)
	s_mov_b32 s11, exec_lo
	v_cmpx_gt_u32_e64 s8, v59
	s_cbranch_execnz .LBB1954_327
.LBB1954_378:                           ;   in Loop: Header=BB1954_310 Depth=2
	s_or_b32 exec_lo, exec_lo, s11
	s_delay_alu instid0(SALU_CYCLE_1)
	s_mov_b32 s11, exec_lo
	v_cmpx_gt_u32_e64 s8, v60
	s_cbranch_execz .LBB1954_328
.LBB1954_379:                           ;   in Loop: Header=BB1954_310 Depth=2
	global_load_u16 v6, v101, s[0:1]
	s_or_b32 exec_lo, exec_lo, s11
	s_delay_alu instid0(SALU_CYCLE_1)
	s_mov_b32 s11, exec_lo
	v_cmpx_gt_u32_e64 s8, v61
	s_cbranch_execz .LBB1954_330
	s_branch .LBB1954_329
.LBB1954_380:                           ;   in Loop: Header=BB1954_12 Depth=1
	v_mov_b32_e32 v2, 0
	s_waitcnt vmcnt(0) lgkmcnt(0)
	s_barrier
	buffer_gl0_inv
	s_and_saveexec_b32 s0, s2
	s_cbranch_execz .LBB1954_382
; %bb.381:                              ;   in Loop: Header=BB1954_12 Depth=1
	ds_load_2addr_b64 v[4:7], v64 offset1:1
	s_waitcnt lgkmcnt(0)
	v_add_nc_u32_e32 v2, v5, v4
	s_delay_alu instid0(VALU_DEP_1)
	v_add3_u32 v2, v2, v6, v7
.LBB1954_382:                           ;   in Loop: Header=BB1954_12 Depth=1
	s_or_b32 exec_lo, exec_lo, s0
	v_and_b32_e32 v4, 15, v104
	s_delay_alu instid0(VALU_DEP_2) | instskip(SKIP_1) | instid1(VALU_DEP_3)
	v_mov_b32_dpp v5, v2 row_shr:1 row_mask:0xf bank_mask:0xf
	v_and_b32_e32 v6, 16, v104
	v_cmp_eq_u32_e64 s0, 0, v4
	v_cmp_lt_u32_e64 s1, 1, v4
	v_cmp_lt_u32_e64 s8, 3, v4
	;; [unrolled: 1-line block ×3, first 2 shown]
	v_cmp_eq_u32_e64 s10, 0, v6
	v_cndmask_b32_e64 v5, v5, 0, s0
	s_delay_alu instid0(VALU_DEP_1) | instskip(NEXT) | instid1(VALU_DEP_1)
	v_add_nc_u32_e32 v2, v5, v2
	v_mov_b32_dpp v5, v2 row_shr:2 row_mask:0xf bank_mask:0xf
	s_delay_alu instid0(VALU_DEP_1) | instskip(NEXT) | instid1(VALU_DEP_1)
	v_cndmask_b32_e64 v5, 0, v5, s1
	v_add_nc_u32_e32 v2, v2, v5
	s_delay_alu instid0(VALU_DEP_1) | instskip(NEXT) | instid1(VALU_DEP_1)
	v_mov_b32_dpp v5, v2 row_shr:4 row_mask:0xf bank_mask:0xf
	v_cndmask_b32_e64 v5, 0, v5, s8
	s_delay_alu instid0(VALU_DEP_1) | instskip(NEXT) | instid1(VALU_DEP_1)
	v_add_nc_u32_e32 v2, v2, v5
	v_mov_b32_dpp v5, v2 row_shr:8 row_mask:0xf bank_mask:0xf
	s_delay_alu instid0(VALU_DEP_1) | instskip(SKIP_1) | instid1(VALU_DEP_2)
	v_cndmask_b32_e64 v4, 0, v5, s9
	v_bfe_i32 v5, v104, 4, 1
	v_add_nc_u32_e32 v2, v2, v4
	ds_swizzle_b32 v4, v2 offset:swizzle(BROADCAST,32,15)
	s_waitcnt lgkmcnt(0)
	v_and_b32_e32 v4, v5, v4
	s_delay_alu instid0(VALU_DEP_1)
	v_add_nc_u32_e32 v4, v2, v4
	s_and_saveexec_b32 s11, s3
	s_cbranch_execz .LBB1954_384
; %bb.383:                              ;   in Loop: Header=BB1954_12 Depth=1
	ds_store_b32 v65, v4
.LBB1954_384:                           ;   in Loop: Header=BB1954_12 Depth=1
	s_or_b32 exec_lo, exec_lo, s11
	v_and_b32_e32 v2, 7, v104
	s_waitcnt lgkmcnt(0)
	s_barrier
	buffer_gl0_inv
	s_and_saveexec_b32 s11, s4
	s_cbranch_execz .LBB1954_386
; %bb.385:                              ;   in Loop: Header=BB1954_12 Depth=1
	ds_load_b32 v5, v66
	v_cmp_ne_u32_e32 vcc_lo, 0, v2
	s_waitcnt lgkmcnt(0)
	v_mov_b32_dpp v6, v5 row_shr:1 row_mask:0xf bank_mask:0xf
	s_delay_alu instid0(VALU_DEP_1) | instskip(SKIP_1) | instid1(VALU_DEP_2)
	v_cndmask_b32_e32 v6, 0, v6, vcc_lo
	v_cmp_lt_u32_e32 vcc_lo, 1, v2
	v_add_nc_u32_e32 v5, v6, v5
	s_delay_alu instid0(VALU_DEP_1) | instskip(NEXT) | instid1(VALU_DEP_1)
	v_mov_b32_dpp v6, v5 row_shr:2 row_mask:0xf bank_mask:0xf
	v_cndmask_b32_e32 v6, 0, v6, vcc_lo
	v_cmp_lt_u32_e32 vcc_lo, 3, v2
	s_delay_alu instid0(VALU_DEP_2) | instskip(NEXT) | instid1(VALU_DEP_1)
	v_add_nc_u32_e32 v5, v5, v6
	v_mov_b32_dpp v6, v5 row_shr:4 row_mask:0xf bank_mask:0xf
	s_delay_alu instid0(VALU_DEP_1) | instskip(NEXT) | instid1(VALU_DEP_1)
	v_cndmask_b32_e32 v6, 0, v6, vcc_lo
	v_add_nc_u32_e32 v5, v5, v6
	ds_store_b32 v66, v5
.LBB1954_386:                           ;   in Loop: Header=BB1954_12 Depth=1
	s_or_b32 exec_lo, exec_lo, s11
	v_mov_b32_e32 v5, 0
	s_waitcnt lgkmcnt(0)
	s_barrier
	buffer_gl0_inv
	s_and_saveexec_b32 s11, s5
	s_cbranch_execz .LBB1954_388
; %bb.387:                              ;   in Loop: Header=BB1954_12 Depth=1
	ds_load_b32 v5, v67
.LBB1954_388:                           ;   in Loop: Header=BB1954_12 Depth=1
	s_or_b32 exec_lo, exec_lo, s11
	v_add_nc_u32_e32 v6, -1, v104
	s_waitcnt lgkmcnt(0)
	v_add_nc_u32_e32 v4, v5, v4
	v_cmp_eq_u32_e64 s11, 0, v104
	s_barrier
	v_cmp_gt_i32_e32 vcc_lo, 0, v6
	buffer_gl0_inv
	v_cndmask_b32_e32 v6, v6, v104, vcc_lo
	s_delay_alu instid0(VALU_DEP_1)
	v_lshlrev_b32_e32 v105, 2, v6
	ds_bpermute_b32 v4, v105, v4
	s_and_saveexec_b32 s12, s2
	s_cbranch_execz .LBB1954_390
; %bb.389:                              ;   in Loop: Header=BB1954_12 Depth=1
	s_waitcnt lgkmcnt(0)
	v_cndmask_b32_e64 v4, v4, v5, s11
	s_delay_alu instid0(VALU_DEP_1)
	v_add_nc_u32_e32 v4, s52, v4
	ds_store_b32 v44, v4
.LBB1954_390:                           ;   in Loop: Header=BB1954_12 Depth=1
	s_or_b32 exec_lo, exec_lo, s12
	s_load_b64 s[12:13], s[42:43], 0x0
	v_lshlrev_b32_e32 v5, 3, v104
	v_cmp_lt_u32_e64 s14, 3, v2
	v_or_b32_e32 v106, v104, v68
	s_mov_b32 s56, s54
	s_mov_b32 s34, s52
	v_add_co_u32 v107, vcc_lo, v84, v5
	v_add_co_ci_u32_e32 v108, vcc_lo, 0, v85, vcc_lo
	v_or_b32_e32 v109, 32, v106
	v_or_b32_e32 v110, 64, v106
	;; [unrolled: 1-line block ×10, first 2 shown]
	s_waitcnt lgkmcnt(0)
	s_cmp_lt_u32 s15, s13
	v_or_b32_e32 v119, 0x160, v106
	s_cselect_b32 s13, 14, 20
	v_or_b32_e32 v120, 0x180, v106
	s_add_u32 s16, s42, s13
	s_addc_u32 s17, s43, 0
	s_cmp_lt_u32 s26, s12
	global_load_u16 v4, v3, s[16:17]
	s_cselect_b32 s12, 12, 18
	v_or_b32_e32 v121, 0x1a0, v106
	s_add_u32 s12, s42, s12
	s_addc_u32 s13, s43, 0
	v_or_b32_e32 v122, 0x1c0, v106
	global_load_u16 v6, v3, s[12:13]
	v_cmp_eq_u32_e64 s12, 0, v2
	v_cmp_lt_u32_e64 s13, 1, v2
	v_lshlrev_b32_e32 v2, 1, v104
	v_or_b32_e32 v123, 0x1e0, v106
                                        ; implicit-def: $vgpr8_vgpr9
                                        ; implicit-def: $vgpr10_vgpr11
                                        ; implicit-def: $vgpr12_vgpr13
                                        ; implicit-def: $vgpr14_vgpr15
                                        ; implicit-def: $vgpr16_vgpr17
                                        ; implicit-def: $vgpr18_vgpr19
                                        ; implicit-def: $vgpr20_vgpr21
                                        ; implicit-def: $vgpr22_vgpr23
                                        ; implicit-def: $vgpr24_vgpr25
                                        ; implicit-def: $vgpr26_vgpr27
                                        ; implicit-def: $vgpr28_vgpr29
                                        ; implicit-def: $vgpr30_vgpr31
                                        ; implicit-def: $vgpr32_vgpr33
                                        ; implicit-def: $vgpr34_vgpr35
                                        ; implicit-def: $vgpr129
                                        ; implicit-def: $vgpr130
                                        ; implicit-def: $vgpr131
                                        ; implicit-def: $vgpr132
                                        ; implicit-def: $vgpr133
                                        ; implicit-def: $vgpr134
                                        ; implicit-def: $vgpr135
                                        ; implicit-def: $vgpr136
                                        ; implicit-def: $vgpr137
                                        ; implicit-def: $vgpr138
                                        ; implicit-def: $vgpr139
                                        ; implicit-def: $vgpr140
                                        ; implicit-def: $vgpr141
                                        ; implicit-def: $vgpr142
                                        ; implicit-def: $vgpr143
                                        ; implicit-def: $vgpr144
	s_delay_alu instid0(VALU_DEP_2) | instskip(SKIP_1) | instid1(VALU_DEP_2)
	v_add_co_u32 v124, vcc_lo, v86, v2
	v_add_co_ci_u32_e32 v125, vcc_lo, 0, v87, vcc_lo
	v_add_co_u32 v127, vcc_lo, 0x3c0, v124
	s_delay_alu instid0(VALU_DEP_2) | instskip(SKIP_3) | instid1(VALU_DEP_1)
	v_add_co_ci_u32_e32 v128, vcc_lo, 0, v125, vcc_lo
	s_waitcnt vmcnt(1)
	v_mad_u32_u24 v7, v70, v4, v0
	s_waitcnt vmcnt(0)
	v_mad_u64_u32 v[4:5], null, v7, v6, v[1:2]
                                        ; implicit-def: $vgpr6_vgpr7
	s_delay_alu instid0(VALU_DEP_1)
	v_lshrrev_b32_e32 v126, 5, v4
                                        ; implicit-def: $vgpr4_vgpr5
	s_branch .LBB1954_392
.LBB1954_391:                           ;   in Loop: Header=BB1954_392 Depth=2
	s_or_b32 exec_lo, exec_lo, s16
	s_addk_i32 s56, 0xf000
	s_cmp_lt_u32 s57, s53
	s_mov_b32 s34, s57
	s_cbranch_scc0 .LBB1954_600
.LBB1954_392:                           ;   Parent Loop BB1954_12 Depth=1
                                        ; =>  This Inner Loop Header: Depth=2
	s_add_i32 s57, s34, 0x1000
	s_delay_alu instid0(SALU_CYCLE_1)
	s_cmp_gt_u32 s57, s53
	s_cbranch_scc1 .LBB1954_395
; %bb.393:                              ;   in Loop: Header=BB1954_392 Depth=2
	s_mov_b32 s17, 0
	s_mov_b32 s16, s34
	s_delay_alu instid0(SALU_CYCLE_1) | instskip(NEXT) | instid1(SALU_CYCLE_1)
	s_lshl_b64 s[18:19], s[16:17], 1
	v_add_co_u32 v36, vcc_lo, v124, s18
	v_add_co_ci_u32_e32 v37, vcc_lo, s19, v125, vcc_lo
	s_mov_b32 s19, -1
	s_movk_i32 s18, 0x1000
	s_clause 0xe
	global_load_u16 v2, v[36:37], off
	global_load_u16 v146, v[36:37], off offset:64
	global_load_u16 v149, v[36:37], off offset:128
	;; [unrolled: 1-line block ×14, first 2 shown]
	s_cbranch_execz .LBB1954_396
; %bb.394:                              ;   in Loop: Header=BB1954_392 Depth=2
                                        ; implicit-def: $sgpr20
	v_dual_mov_b32 v36, s20 :: v_dual_mov_b32 v145, s56
	s_and_saveexec_b32 s20, s19
	s_cbranch_execnz .LBB1954_427
	s_branch .LBB1954_428
.LBB1954_395:                           ;   in Loop: Header=BB1954_392 Depth=2
	s_mov_b32 s17, -1
	s_mov_b32 s19, 0
                                        ; implicit-def: $sgpr18
                                        ; implicit-def: $vgpr2
                                        ; implicit-def: $vgpr146
                                        ; implicit-def: $vgpr149
                                        ; implicit-def: $vgpr153
                                        ; implicit-def: $vgpr157
                                        ; implicit-def: $vgpr161
                                        ; implicit-def: $vgpr165
                                        ; implicit-def: $vgpr170
                                        ; implicit-def: $vgpr169
                                        ; implicit-def: $vgpr43
                                        ; implicit-def: $vgpr42
                                        ; implicit-def: $vgpr41
                                        ; implicit-def: $vgpr40
                                        ; implicit-def: $vgpr39
                                        ; implicit-def: $vgpr38
.LBB1954_396:                           ;   in Loop: Header=BB1954_392 Depth=2
	s_lshl_b64 s[16:17], s[34:35], 1
	s_waitcnt vmcnt(13)
	v_mov_b32_e32 v146, -1
	v_add_co_u32 v36, vcc_lo, v124, s16
	v_add_co_ci_u32_e32 v37, vcc_lo, s17, v125, vcc_lo
	v_mov_b32_e32 v2, -1
	s_mov_b32 s16, exec_lo
	v_cmpx_gt_u32_e64 s56, v106
	s_cbranch_execz .LBB1954_398
; %bb.397:                              ;   in Loop: Header=BB1954_392 Depth=2
	global_load_u16 v2, v[36:37], off
.LBB1954_398:                           ;   in Loop: Header=BB1954_392 Depth=2
	s_or_b32 exec_lo, exec_lo, s16
	s_delay_alu instid0(SALU_CYCLE_1)
	s_mov_b32 s16, exec_lo
	v_cmpx_gt_u32_e64 s56, v109
	s_cbranch_execz .LBB1954_400
; %bb.399:                              ;   in Loop: Header=BB1954_392 Depth=2
	global_load_u16 v146, v[36:37], off offset:64
.LBB1954_400:                           ;   in Loop: Header=BB1954_392 Depth=2
	s_or_b32 exec_lo, exec_lo, s16
	s_waitcnt vmcnt(11)
	v_mov_b32_e32 v153, -1
	v_mov_b32_e32 v149, -1
	s_mov_b32 s16, exec_lo
	v_cmpx_gt_u32_e64 s56, v110
	s_cbranch_execz .LBB1954_402
; %bb.401:                              ;   in Loop: Header=BB1954_392 Depth=2
	global_load_u16 v149, v[36:37], off offset:128
.LBB1954_402:                           ;   in Loop: Header=BB1954_392 Depth=2
	s_or_b32 exec_lo, exec_lo, s16
	s_delay_alu instid0(SALU_CYCLE_1)
	s_mov_b32 s16, exec_lo
	v_cmpx_gt_u32_e64 s56, v111
	s_cbranch_execz .LBB1954_404
; %bb.403:                              ;   in Loop: Header=BB1954_392 Depth=2
	global_load_u16 v153, v[36:37], off offset:192
.LBB1954_404:                           ;   in Loop: Header=BB1954_392 Depth=2
	s_or_b32 exec_lo, exec_lo, s16
	s_waitcnt vmcnt(9)
	v_mov_b32_e32 v161, -1
	v_mov_b32_e32 v157, -1
	s_mov_b32 s16, exec_lo
	v_cmpx_gt_u32_e64 s56, v112
	s_cbranch_execz .LBB1954_406
; %bb.405:                              ;   in Loop: Header=BB1954_392 Depth=2
	global_load_u16 v157, v[36:37], off offset:256
.LBB1954_406:                           ;   in Loop: Header=BB1954_392 Depth=2
	s_or_b32 exec_lo, exec_lo, s16
	s_delay_alu instid0(SALU_CYCLE_1)
	s_mov_b32 s16, exec_lo
	v_cmpx_gt_u32_e64 s56, v113
	s_cbranch_execz .LBB1954_408
; %bb.407:                              ;   in Loop: Header=BB1954_392 Depth=2
	global_load_u16 v161, v[36:37], off offset:320
.LBB1954_408:                           ;   in Loop: Header=BB1954_392 Depth=2
	s_or_b32 exec_lo, exec_lo, s16
	s_waitcnt vmcnt(7)
	v_dual_mov_b32 v170, -1 :: v_dual_mov_b32 v165, -1
	s_mov_b32 s16, exec_lo
	v_cmpx_gt_u32_e64 s56, v114
	s_cbranch_execz .LBB1954_410
; %bb.409:                              ;   in Loop: Header=BB1954_392 Depth=2
	global_load_u16 v165, v[36:37], off offset:384
.LBB1954_410:                           ;   in Loop: Header=BB1954_392 Depth=2
	s_or_b32 exec_lo, exec_lo, s16
	s_delay_alu instid0(SALU_CYCLE_1)
	s_mov_b32 s16, exec_lo
	v_cmpx_gt_u32_e64 s56, v115
	s_cbranch_execz .LBB1954_412
; %bb.411:                              ;   in Loop: Header=BB1954_392 Depth=2
	global_load_u16 v170, v[36:37], off offset:448
.LBB1954_412:                           ;   in Loop: Header=BB1954_392 Depth=2
	s_or_b32 exec_lo, exec_lo, s16
	s_waitcnt vmcnt(5)
	v_mov_b32_e32 v43, -1
	v_mov_b32_e32 v169, -1
	s_mov_b32 s16, exec_lo
	v_cmpx_gt_u32_e64 s56, v116
	s_cbranch_execz .LBB1954_414
; %bb.413:                              ;   in Loop: Header=BB1954_392 Depth=2
	global_load_u16 v169, v[36:37], off offset:512
.LBB1954_414:                           ;   in Loop: Header=BB1954_392 Depth=2
	s_or_b32 exec_lo, exec_lo, s16
	s_delay_alu instid0(SALU_CYCLE_1)
	s_mov_b32 s16, exec_lo
	v_cmpx_gt_u32_e64 s56, v117
	s_cbranch_execz .LBB1954_416
; %bb.415:                              ;   in Loop: Header=BB1954_392 Depth=2
	global_load_u16 v43, v[36:37], off offset:576
.LBB1954_416:                           ;   in Loop: Header=BB1954_392 Depth=2
	s_or_b32 exec_lo, exec_lo, s16
	s_waitcnt vmcnt(3)
	v_dual_mov_b32 v41, -1 :: v_dual_mov_b32 v42, -1
	s_mov_b32 s16, exec_lo
	v_cmpx_gt_u32_e64 s56, v118
	s_cbranch_execz .LBB1954_418
; %bb.417:                              ;   in Loop: Header=BB1954_392 Depth=2
	global_load_u16 v42, v[36:37], off offset:640
.LBB1954_418:                           ;   in Loop: Header=BB1954_392 Depth=2
	s_or_b32 exec_lo, exec_lo, s16
	s_delay_alu instid0(SALU_CYCLE_1)
	s_mov_b32 s16, exec_lo
	v_cmpx_gt_u32_e64 s56, v119
	s_cbranch_execz .LBB1954_420
; %bb.419:                              ;   in Loop: Header=BB1954_392 Depth=2
	global_load_u16 v41, v[36:37], off offset:704
.LBB1954_420:                           ;   in Loop: Header=BB1954_392 Depth=2
	s_or_b32 exec_lo, exec_lo, s16
	s_waitcnt vmcnt(1)
	v_dual_mov_b32 v39, -1 :: v_dual_mov_b32 v40, -1
	s_mov_b32 s16, exec_lo
	v_cmpx_gt_u32_e64 s56, v120
	s_cbranch_execz .LBB1954_422
; %bb.421:                              ;   in Loop: Header=BB1954_392 Depth=2
	global_load_u16 v40, v[36:37], off offset:768
.LBB1954_422:                           ;   in Loop: Header=BB1954_392 Depth=2
	s_or_b32 exec_lo, exec_lo, s16
	s_delay_alu instid0(SALU_CYCLE_1)
	s_mov_b32 s16, exec_lo
	v_cmpx_gt_u32_e64 s56, v121
	s_cbranch_execz .LBB1954_424
; %bb.423:                              ;   in Loop: Header=BB1954_392 Depth=2
	global_load_u16 v39, v[36:37], off offset:832
.LBB1954_424:                           ;   in Loop: Header=BB1954_392 Depth=2
	s_or_b32 exec_lo, exec_lo, s16
	s_waitcnt vmcnt(0)
	v_mov_b32_e32 v38, -1
	s_mov_b32 s16, exec_lo
	v_cmpx_gt_u32_e64 s56, v122
	s_cbranch_execz .LBB1954_426
; %bb.425:                              ;   in Loop: Header=BB1954_392 Depth=2
	global_load_u16 v38, v[36:37], off offset:896
.LBB1954_426:                           ;   in Loop: Header=BB1954_392 Depth=2
	s_or_b32 exec_lo, exec_lo, s16
	v_cmp_gt_u32_e64 s19, s56, v123
	s_sub_i32 s18, s53, s34
	s_mov_b32 s20, -1
	s_mov_b64 s[16:17], s[34:35]
	v_dual_mov_b32 v36, s20 :: v_dual_mov_b32 v145, s56
	s_and_saveexec_b32 s20, s19
	s_cbranch_execz .LBB1954_428
.LBB1954_427:                           ;   in Loop: Header=BB1954_392 Depth=2
	s_lshl_b64 s[16:17], s[16:17], 1
	v_mov_b32_e32 v145, s18
	v_add_co_u32 v36, vcc_lo, v127, s16
	v_add_co_ci_u32_e32 v37, vcc_lo, s17, v128, vcc_lo
	global_load_u16 v36, v[36:37], off
.LBB1954_428:                           ;   in Loop: Header=BB1954_392 Depth=2
	s_or_b32 exec_lo, exec_lo, s20
	s_waitcnt vmcnt(14)
	v_cmp_gt_i16_e32 vcc_lo, 0, v2
	ds_store_b32 v69, v3 offset:1056
	ds_store_2addr_b32 v71, v3, v3 offset0:1 offset1:2
	ds_store_2addr_b32 v71, v3, v3 offset0:3 offset1:4
	;; [unrolled: 1-line block ×4, first 2 shown]
	s_waitcnt vmcnt(0) lgkmcnt(0)
	s_barrier
	v_cndmask_b32_e64 v37, 0x7fff, 0, vcc_lo
	buffer_gl0_inv
	; wave barrier
	v_xor_b32_e32 v2, v37, v2
	s_delay_alu instid0(VALU_DEP_1) | instskip(SKIP_1) | instid1(VALU_DEP_1)
	v_cmp_ne_u16_e32 vcc_lo, 0x8000, v2
	v_cndmask_b32_e32 v37, 0x7fff, v2, vcc_lo
	v_and_b32_e32 v37, 0xffff, v37
	s_delay_alu instid0(VALU_DEP_1) | instskip(NEXT) | instid1(VALU_DEP_1)
	v_lshrrev_b32_e32 v37, s48, v37
	v_and_b32_e32 v148, s55, v37
	s_delay_alu instid0(VALU_DEP_1)
	v_lshlrev_b32_e32 v150, 29, v148
	v_and_b32_e32 v37, 1, v148
	v_lshlrev_b32_e32 v147, 30, v148
	v_lshlrev_b32_e32 v151, 28, v148
	;; [unrolled: 1-line block ×4, first 2 shown]
	v_add_co_u32 v37, s16, v37, -1
	s_delay_alu instid0(VALU_DEP_1)
	v_cndmask_b32_e64 v152, 0, 1, s16
	v_not_b32_e32 v158, v147
	v_cmp_gt_i32_e64 s16, 0, v147
	v_not_b32_e32 v147, v150
	v_lshlrev_b32_e32 v156, 25, v148
	v_cmp_ne_u32_e32 vcc_lo, 0, v152
	v_ashrrev_i32_e32 v158, 31, v158
	v_lshlrev_b32_e32 v152, 24, v148
	v_ashrrev_i32_e32 v147, 31, v147
	v_mad_u32_u24 v148, v148, 9, v126
	v_xor_b32_e32 v37, vcc_lo, v37
	v_cmp_gt_i32_e32 vcc_lo, 0, v150
	v_not_b32_e32 v150, v151
	v_xor_b32_e32 v158, s16, v158
	v_cmp_gt_i32_e64 s16, 0, v151
	v_and_b32_e32 v37, exec_lo, v37
	v_not_b32_e32 v151, v154
	v_ashrrev_i32_e32 v150, 31, v150
	v_xor_b32_e32 v147, vcc_lo, v147
	v_cmp_gt_i32_e32 vcc_lo, 0, v154
	v_and_b32_e32 v37, v37, v158
	v_not_b32_e32 v154, v155
	v_ashrrev_i32_e32 v151, 31, v151
	v_xor_b32_e32 v150, s16, v150
	v_cmp_gt_i32_e64 s16, 0, v155
	v_and_b32_e32 v37, v37, v147
	v_not_b32_e32 v147, v156
	v_ashrrev_i32_e32 v154, 31, v154
	v_xor_b32_e32 v151, vcc_lo, v151
	v_cmp_gt_i32_e32 vcc_lo, 0, v156
	v_and_b32_e32 v37, v37, v150
	v_not_b32_e32 v150, v152
	v_ashrrev_i32_e32 v147, 31, v147
	v_xor_b32_e32 v154, s16, v154
	v_cmp_gt_i32_e64 s16, 0, v152
	v_and_b32_e32 v37, v37, v151
	v_ashrrev_i32_e32 v150, 31, v150
	v_xor_b32_e32 v147, vcc_lo, v147
	v_lshl_add_u32 v148, v148, 2, 0x420
	s_delay_alu instid0(VALU_DEP_4) | instskip(NEXT) | instid1(VALU_DEP_4)
	v_and_b32_e32 v37, v37, v154
	v_xor_b32_e32 v150, s16, v150
	s_delay_alu instid0(VALU_DEP_2) | instskip(NEXT) | instid1(VALU_DEP_1)
	v_and_b32_e32 v37, v37, v147
	v_and_b32_e32 v37, v37, v150
	s_delay_alu instid0(VALU_DEP_1) | instskip(SKIP_1) | instid1(VALU_DEP_2)
	v_mbcnt_lo_u32_b32 v147, v37, 0
	v_cmp_ne_u32_e64 s16, 0, v37
	v_cmp_eq_u32_e32 vcc_lo, 0, v147
	s_delay_alu instid0(VALU_DEP_2) | instskip(NEXT) | instid1(SALU_CYCLE_1)
	s_and_b32 s17, s16, vcc_lo
	s_and_saveexec_b32 s16, s17
	s_cbranch_execz .LBB1954_430
; %bb.429:                              ;   in Loop: Header=BB1954_392 Depth=2
	v_bcnt_u32_b32 v37, v37, 0
	ds_store_b32 v148, v37
.LBB1954_430:                           ;   in Loop: Header=BB1954_392 Depth=2
	s_or_b32 exec_lo, exec_lo, s16
	v_cmp_gt_i16_e64 vcc_lo, 0, v146
	; wave barrier
	s_delay_alu instid0(VALU_DEP_1) | instskip(NEXT) | instid1(VALU_DEP_1)
	v_cndmask_b32_e64 v37, 0x7fff, 0, vcc_lo
	v_xor_b32_e32 v146, v37, v146
	s_delay_alu instid0(VALU_DEP_1) | instskip(SKIP_1) | instid1(VALU_DEP_1)
	v_cmp_ne_u16_e64 vcc_lo, 0x8000, v146
	v_cndmask_b32_e32 v37, 0x7fff, v146, vcc_lo
	v_and_b32_e32 v37, 0xffff, v37
	s_delay_alu instid0(VALU_DEP_1) | instskip(NEXT) | instid1(VALU_DEP_1)
	v_lshrrev_b32_e32 v37, s48, v37
	v_and_b32_e32 v37, s55, v37
	s_delay_alu instid0(VALU_DEP_1)
	v_and_b32_e32 v150, 1, v37
	v_lshlrev_b32_e32 v151, 30, v37
	v_lshlrev_b32_e32 v152, 29, v37
	;; [unrolled: 1-line block ×4, first 2 shown]
	v_add_co_u32 v150, s16, v150, -1
	s_delay_alu instid0(VALU_DEP_1)
	v_cndmask_b32_e64 v155, 0, 1, s16
	v_not_b32_e32 v160, v151
	v_cmp_gt_i32_e64 s16, 0, v151
	v_not_b32_e32 v151, v152
	v_lshlrev_b32_e32 v158, 26, v37
	v_cmp_ne_u32_e32 vcc_lo, 0, v155
	v_ashrrev_i32_e32 v160, 31, v160
	v_lshlrev_b32_e32 v159, 25, v37
	v_ashrrev_i32_e32 v151, 31, v151
	v_lshlrev_b32_e32 v155, 24, v37
	v_xor_b32_e32 v150, vcc_lo, v150
	v_cmp_gt_i32_e32 vcc_lo, 0, v152
	v_not_b32_e32 v152, v154
	v_xor_b32_e32 v160, s16, v160
	v_cmp_gt_i32_e64 s16, 0, v154
	v_and_b32_e32 v150, exec_lo, v150
	v_not_b32_e32 v154, v156
	v_ashrrev_i32_e32 v152, 31, v152
	v_xor_b32_e32 v151, vcc_lo, v151
	v_cmp_gt_i32_e32 vcc_lo, 0, v156
	v_and_b32_e32 v150, v150, v160
	v_not_b32_e32 v156, v158
	v_ashrrev_i32_e32 v154, 31, v154
	v_xor_b32_e32 v152, s16, v152
	v_cmp_gt_i32_e64 s16, 0, v158
	v_and_b32_e32 v150, v150, v151
	v_not_b32_e32 v151, v159
	v_ashrrev_i32_e32 v156, 31, v156
	v_xor_b32_e32 v154, vcc_lo, v154
	v_cmp_gt_i32_e32 vcc_lo, 0, v159
	v_and_b32_e32 v150, v150, v152
	v_not_b32_e32 v152, v155
	v_ashrrev_i32_e32 v151, 31, v151
	v_xor_b32_e32 v156, s16, v156
	v_mul_u32_u24_e32 v37, 9, v37
	v_and_b32_e32 v150, v150, v154
	v_cmp_gt_i32_e64 s16, 0, v155
	v_ashrrev_i32_e32 v152, 31, v152
	v_xor_b32_e32 v151, vcc_lo, v151
	v_add_lshl_u32 v154, v37, v126, 2
	v_and_b32_e32 v150, v150, v156
	s_delay_alu instid0(VALU_DEP_4) | instskip(NEXT) | instid1(VALU_DEP_3)
	v_xor_b32_e32 v37, s16, v152
	v_add_nc_u32_e32 v152, 0x420, v154
	s_delay_alu instid0(VALU_DEP_3) | instskip(SKIP_2) | instid1(VALU_DEP_1)
	v_and_b32_e32 v151, v150, v151
	ds_load_b32 v150, v154 offset:1056
	; wave barrier
	v_and_b32_e32 v37, v151, v37
	v_mbcnt_lo_u32_b32 v151, v37, 0
	v_cmp_ne_u32_e64 s16, 0, v37
	s_delay_alu instid0(VALU_DEP_2) | instskip(NEXT) | instid1(VALU_DEP_2)
	v_cmp_eq_u32_e32 vcc_lo, 0, v151
	s_and_b32 s17, s16, vcc_lo
	s_delay_alu instid0(SALU_CYCLE_1)
	s_and_saveexec_b32 s16, s17
	s_cbranch_execz .LBB1954_432
; %bb.431:                              ;   in Loop: Header=BB1954_392 Depth=2
	s_waitcnt lgkmcnt(0)
	v_bcnt_u32_b32 v37, v37, v150
	ds_store_b32 v152, v37
.LBB1954_432:                           ;   in Loop: Header=BB1954_392 Depth=2
	s_or_b32 exec_lo, exec_lo, s16
	v_cmp_gt_i16_e64 vcc_lo, 0, v149
	; wave barrier
	s_delay_alu instid0(VALU_DEP_1) | instskip(NEXT) | instid1(VALU_DEP_1)
	v_cndmask_b32_e64 v37, 0x7fff, 0, vcc_lo
	v_xor_b32_e32 v149, v37, v149
	s_delay_alu instid0(VALU_DEP_1) | instskip(SKIP_1) | instid1(VALU_DEP_1)
	v_cmp_ne_u16_e64 vcc_lo, 0x8000, v149
	v_cndmask_b32_e32 v37, 0x7fff, v149, vcc_lo
	v_and_b32_e32 v37, 0xffff, v37
	s_delay_alu instid0(VALU_DEP_1) | instskip(NEXT) | instid1(VALU_DEP_1)
	v_lshrrev_b32_e32 v37, s48, v37
	v_and_b32_e32 v37, s55, v37
	s_delay_alu instid0(VALU_DEP_1)
	v_and_b32_e32 v154, 1, v37
	v_lshlrev_b32_e32 v155, 30, v37
	v_lshlrev_b32_e32 v156, 29, v37
	;; [unrolled: 1-line block ×4, first 2 shown]
	v_add_co_u32 v154, s16, v154, -1
	s_delay_alu instid0(VALU_DEP_1)
	v_cndmask_b32_e64 v159, 0, 1, s16
	v_not_b32_e32 v164, v155
	v_cmp_gt_i32_e64 s16, 0, v155
	v_not_b32_e32 v155, v156
	v_lshlrev_b32_e32 v162, 26, v37
	v_cmp_ne_u32_e32 vcc_lo, 0, v159
	v_ashrrev_i32_e32 v164, 31, v164
	v_lshlrev_b32_e32 v163, 25, v37
	v_ashrrev_i32_e32 v155, 31, v155
	v_lshlrev_b32_e32 v159, 24, v37
	v_xor_b32_e32 v154, vcc_lo, v154
	v_cmp_gt_i32_e32 vcc_lo, 0, v156
	v_not_b32_e32 v156, v158
	v_xor_b32_e32 v164, s16, v164
	v_cmp_gt_i32_e64 s16, 0, v158
	v_and_b32_e32 v154, exec_lo, v154
	v_not_b32_e32 v158, v160
	v_ashrrev_i32_e32 v156, 31, v156
	v_xor_b32_e32 v155, vcc_lo, v155
	v_cmp_gt_i32_e32 vcc_lo, 0, v160
	v_and_b32_e32 v154, v154, v164
	v_not_b32_e32 v160, v162
	v_ashrrev_i32_e32 v158, 31, v158
	v_xor_b32_e32 v156, s16, v156
	v_cmp_gt_i32_e64 s16, 0, v162
	v_and_b32_e32 v154, v154, v155
	v_not_b32_e32 v155, v163
	v_ashrrev_i32_e32 v160, 31, v160
	v_xor_b32_e32 v158, vcc_lo, v158
	v_cmp_gt_i32_e32 vcc_lo, 0, v163
	v_and_b32_e32 v154, v154, v156
	v_not_b32_e32 v156, v159
	v_ashrrev_i32_e32 v155, 31, v155
	v_xor_b32_e32 v160, s16, v160
	v_mul_u32_u24_e32 v37, 9, v37
	v_and_b32_e32 v154, v154, v158
	v_cmp_gt_i32_e64 s16, 0, v159
	v_ashrrev_i32_e32 v156, 31, v156
	v_xor_b32_e32 v155, vcc_lo, v155
	v_add_lshl_u32 v158, v37, v126, 2
	v_and_b32_e32 v154, v154, v160
	s_delay_alu instid0(VALU_DEP_4) | instskip(NEXT) | instid1(VALU_DEP_3)
	v_xor_b32_e32 v37, s16, v156
	v_add_nc_u32_e32 v156, 0x420, v158
	s_delay_alu instid0(VALU_DEP_3) | instskip(SKIP_2) | instid1(VALU_DEP_1)
	v_and_b32_e32 v155, v154, v155
	ds_load_b32 v154, v158 offset:1056
	; wave barrier
	v_and_b32_e32 v37, v155, v37
	v_mbcnt_lo_u32_b32 v155, v37, 0
	v_cmp_ne_u32_e64 s16, 0, v37
	s_delay_alu instid0(VALU_DEP_2) | instskip(NEXT) | instid1(VALU_DEP_2)
	v_cmp_eq_u32_e32 vcc_lo, 0, v155
	s_and_b32 s17, s16, vcc_lo
	s_delay_alu instid0(SALU_CYCLE_1)
	s_and_saveexec_b32 s16, s17
	s_cbranch_execz .LBB1954_434
; %bb.433:                              ;   in Loop: Header=BB1954_392 Depth=2
	s_waitcnt lgkmcnt(0)
	v_bcnt_u32_b32 v37, v37, v154
	ds_store_b32 v156, v37
.LBB1954_434:                           ;   in Loop: Header=BB1954_392 Depth=2
	s_or_b32 exec_lo, exec_lo, s16
	v_cmp_gt_i16_e64 vcc_lo, 0, v153
	; wave barrier
	s_delay_alu instid0(VALU_DEP_1) | instskip(NEXT) | instid1(VALU_DEP_1)
	v_cndmask_b32_e64 v37, 0x7fff, 0, vcc_lo
	v_xor_b32_e32 v153, v37, v153
	s_delay_alu instid0(VALU_DEP_1) | instskip(SKIP_1) | instid1(VALU_DEP_1)
	v_cmp_ne_u16_e64 vcc_lo, 0x8000, v153
	v_cndmask_b32_e32 v37, 0x7fff, v153, vcc_lo
	v_and_b32_e32 v37, 0xffff, v37
	s_delay_alu instid0(VALU_DEP_1) | instskip(NEXT) | instid1(VALU_DEP_1)
	v_lshrrev_b32_e32 v37, s48, v37
	v_and_b32_e32 v37, s55, v37
	s_delay_alu instid0(VALU_DEP_1)
	v_and_b32_e32 v158, 1, v37
	v_lshlrev_b32_e32 v159, 30, v37
	v_lshlrev_b32_e32 v160, 29, v37
	;; [unrolled: 1-line block ×4, first 2 shown]
	v_add_co_u32 v158, s16, v158, -1
	s_delay_alu instid0(VALU_DEP_1)
	v_cndmask_b32_e64 v163, 0, 1, s16
	v_not_b32_e32 v168, v159
	v_cmp_gt_i32_e64 s16, 0, v159
	v_not_b32_e32 v159, v160
	v_lshlrev_b32_e32 v166, 26, v37
	v_cmp_ne_u32_e32 vcc_lo, 0, v163
	v_ashrrev_i32_e32 v168, 31, v168
	v_lshlrev_b32_e32 v167, 25, v37
	v_ashrrev_i32_e32 v159, 31, v159
	v_lshlrev_b32_e32 v163, 24, v37
	v_xor_b32_e32 v158, vcc_lo, v158
	v_cmp_gt_i32_e32 vcc_lo, 0, v160
	v_not_b32_e32 v160, v162
	v_xor_b32_e32 v168, s16, v168
	v_cmp_gt_i32_e64 s16, 0, v162
	v_and_b32_e32 v158, exec_lo, v158
	v_not_b32_e32 v162, v164
	v_ashrrev_i32_e32 v160, 31, v160
	v_xor_b32_e32 v159, vcc_lo, v159
	v_cmp_gt_i32_e32 vcc_lo, 0, v164
	v_and_b32_e32 v158, v158, v168
	v_not_b32_e32 v164, v166
	v_ashrrev_i32_e32 v162, 31, v162
	v_xor_b32_e32 v160, s16, v160
	v_cmp_gt_i32_e64 s16, 0, v166
	v_and_b32_e32 v158, v158, v159
	v_not_b32_e32 v159, v167
	v_ashrrev_i32_e32 v164, 31, v164
	v_xor_b32_e32 v162, vcc_lo, v162
	v_cmp_gt_i32_e32 vcc_lo, 0, v167
	v_and_b32_e32 v158, v158, v160
	v_not_b32_e32 v160, v163
	v_ashrrev_i32_e32 v159, 31, v159
	v_xor_b32_e32 v164, s16, v164
	v_mul_u32_u24_e32 v37, 9, v37
	v_and_b32_e32 v158, v158, v162
	v_cmp_gt_i32_e64 s16, 0, v163
	v_ashrrev_i32_e32 v160, 31, v160
	v_xor_b32_e32 v159, vcc_lo, v159
	v_add_lshl_u32 v162, v37, v126, 2
	v_and_b32_e32 v158, v158, v164
	s_delay_alu instid0(VALU_DEP_4) | instskip(NEXT) | instid1(VALU_DEP_3)
	v_xor_b32_e32 v37, s16, v160
	v_add_nc_u32_e32 v160, 0x420, v162
	s_delay_alu instid0(VALU_DEP_3) | instskip(SKIP_2) | instid1(VALU_DEP_1)
	v_and_b32_e32 v159, v158, v159
	ds_load_b32 v158, v162 offset:1056
	; wave barrier
	v_and_b32_e32 v37, v159, v37
	v_mbcnt_lo_u32_b32 v159, v37, 0
	v_cmp_ne_u32_e64 s16, 0, v37
	s_delay_alu instid0(VALU_DEP_2) | instskip(NEXT) | instid1(VALU_DEP_2)
	v_cmp_eq_u32_e32 vcc_lo, 0, v159
	s_and_b32 s17, s16, vcc_lo
	s_delay_alu instid0(SALU_CYCLE_1)
	s_and_saveexec_b32 s16, s17
	s_cbranch_execz .LBB1954_436
; %bb.435:                              ;   in Loop: Header=BB1954_392 Depth=2
	s_waitcnt lgkmcnt(0)
	v_bcnt_u32_b32 v37, v37, v158
	ds_store_b32 v160, v37
.LBB1954_436:                           ;   in Loop: Header=BB1954_392 Depth=2
	s_or_b32 exec_lo, exec_lo, s16
	v_cmp_gt_i16_e64 vcc_lo, 0, v157
	; wave barrier
	s_delay_alu instid0(VALU_DEP_1) | instskip(NEXT) | instid1(VALU_DEP_1)
	v_cndmask_b32_e64 v37, 0x7fff, 0, vcc_lo
	v_xor_b32_e32 v157, v37, v157
	s_delay_alu instid0(VALU_DEP_1) | instskip(SKIP_1) | instid1(VALU_DEP_1)
	v_cmp_ne_u16_e64 vcc_lo, 0x8000, v157
	v_cndmask_b32_e32 v37, 0x7fff, v157, vcc_lo
	v_and_b32_e32 v37, 0xffff, v37
	s_delay_alu instid0(VALU_DEP_1) | instskip(NEXT) | instid1(VALU_DEP_1)
	v_lshrrev_b32_e32 v37, s48, v37
	v_and_b32_e32 v37, s55, v37
	s_delay_alu instid0(VALU_DEP_1)
	v_and_b32_e32 v162, 1, v37
	v_lshlrev_b32_e32 v163, 30, v37
	v_lshlrev_b32_e32 v164, 29, v37
	;; [unrolled: 1-line block ×4, first 2 shown]
	v_add_co_u32 v162, s16, v162, -1
	s_delay_alu instid0(VALU_DEP_1)
	v_cndmask_b32_e64 v167, 0, 1, s16
	v_not_b32_e32 v173, v163
	v_cmp_gt_i32_e64 s16, 0, v163
	v_not_b32_e32 v163, v164
	v_lshlrev_b32_e32 v171, 26, v37
	v_cmp_ne_u32_e32 vcc_lo, 0, v167
	v_ashrrev_i32_e32 v173, 31, v173
	v_lshlrev_b32_e32 v172, 25, v37
	v_ashrrev_i32_e32 v163, 31, v163
	v_lshlrev_b32_e32 v167, 24, v37
	v_xor_b32_e32 v162, vcc_lo, v162
	v_cmp_gt_i32_e32 vcc_lo, 0, v164
	v_not_b32_e32 v164, v166
	v_xor_b32_e32 v173, s16, v173
	v_cmp_gt_i32_e64 s16, 0, v166
	v_and_b32_e32 v162, exec_lo, v162
	v_not_b32_e32 v166, v168
	v_ashrrev_i32_e32 v164, 31, v164
	v_xor_b32_e32 v163, vcc_lo, v163
	v_cmp_gt_i32_e32 vcc_lo, 0, v168
	v_and_b32_e32 v162, v162, v173
	v_not_b32_e32 v168, v171
	v_ashrrev_i32_e32 v166, 31, v166
	v_xor_b32_e32 v164, s16, v164
	v_cmp_gt_i32_e64 s16, 0, v171
	v_and_b32_e32 v162, v162, v163
	v_not_b32_e32 v163, v172
	v_ashrrev_i32_e32 v168, 31, v168
	v_xor_b32_e32 v166, vcc_lo, v166
	v_cmp_gt_i32_e32 vcc_lo, 0, v172
	v_and_b32_e32 v162, v162, v164
	v_not_b32_e32 v164, v167
	v_ashrrev_i32_e32 v163, 31, v163
	v_xor_b32_e32 v168, s16, v168
	v_mul_u32_u24_e32 v37, 9, v37
	v_and_b32_e32 v162, v162, v166
	v_cmp_gt_i32_e64 s16, 0, v167
	v_ashrrev_i32_e32 v164, 31, v164
	v_xor_b32_e32 v163, vcc_lo, v163
	v_add_lshl_u32 v166, v37, v126, 2
	v_and_b32_e32 v162, v162, v168
	s_delay_alu instid0(VALU_DEP_4) | instskip(NEXT) | instid1(VALU_DEP_3)
	v_xor_b32_e32 v37, s16, v164
	v_add_nc_u32_e32 v164, 0x420, v166
	s_delay_alu instid0(VALU_DEP_3) | instskip(SKIP_2) | instid1(VALU_DEP_1)
	v_and_b32_e32 v163, v162, v163
	ds_load_b32 v162, v166 offset:1056
	; wave barrier
	v_and_b32_e32 v37, v163, v37
	v_mbcnt_lo_u32_b32 v163, v37, 0
	v_cmp_ne_u32_e64 s16, 0, v37
	s_delay_alu instid0(VALU_DEP_2) | instskip(NEXT) | instid1(VALU_DEP_2)
	v_cmp_eq_u32_e32 vcc_lo, 0, v163
	s_and_b32 s17, s16, vcc_lo
	s_delay_alu instid0(SALU_CYCLE_1)
	s_and_saveexec_b32 s16, s17
	s_cbranch_execz .LBB1954_438
; %bb.437:                              ;   in Loop: Header=BB1954_392 Depth=2
	s_waitcnt lgkmcnt(0)
	v_bcnt_u32_b32 v37, v37, v162
	ds_store_b32 v164, v37
.LBB1954_438:                           ;   in Loop: Header=BB1954_392 Depth=2
	s_or_b32 exec_lo, exec_lo, s16
	v_cmp_gt_i16_e64 vcc_lo, 0, v161
	; wave barrier
	s_delay_alu instid0(VALU_DEP_1) | instskip(NEXT) | instid1(VALU_DEP_1)
	v_cndmask_b32_e64 v37, 0x7fff, 0, vcc_lo
	v_xor_b32_e32 v161, v37, v161
	s_delay_alu instid0(VALU_DEP_1) | instskip(SKIP_1) | instid1(VALU_DEP_1)
	v_cmp_ne_u16_e64 vcc_lo, 0x8000, v161
	v_cndmask_b32_e32 v37, 0x7fff, v161, vcc_lo
	v_and_b32_e32 v37, 0xffff, v37
	s_delay_alu instid0(VALU_DEP_1) | instskip(NEXT) | instid1(VALU_DEP_1)
	v_lshrrev_b32_e32 v37, s48, v37
	v_and_b32_e32 v37, s55, v37
	s_delay_alu instid0(VALU_DEP_1)
	v_and_b32_e32 v166, 1, v37
	v_lshlrev_b32_e32 v167, 30, v37
	v_lshlrev_b32_e32 v168, 29, v37
	;; [unrolled: 1-line block ×4, first 2 shown]
	v_add_co_u32 v166, s16, v166, -1
	s_delay_alu instid0(VALU_DEP_1)
	v_cndmask_b32_e64 v172, 0, 1, s16
	v_not_b32_e32 v176, v167
	v_cmp_gt_i32_e64 s16, 0, v167
	v_not_b32_e32 v167, v168
	v_lshlrev_b32_e32 v174, 26, v37
	v_cmp_ne_u32_e32 vcc_lo, 0, v172
	v_ashrrev_i32_e32 v176, 31, v176
	v_lshlrev_b32_e32 v175, 25, v37
	v_ashrrev_i32_e32 v167, 31, v167
	v_lshlrev_b32_e32 v172, 24, v37
	v_xor_b32_e32 v166, vcc_lo, v166
	v_cmp_gt_i32_e32 vcc_lo, 0, v168
	v_not_b32_e32 v168, v171
	v_xor_b32_e32 v176, s16, v176
	v_cmp_gt_i32_e64 s16, 0, v171
	v_and_b32_e32 v166, exec_lo, v166
	v_not_b32_e32 v171, v173
	v_ashrrev_i32_e32 v168, 31, v168
	v_xor_b32_e32 v167, vcc_lo, v167
	v_cmp_gt_i32_e32 vcc_lo, 0, v173
	v_and_b32_e32 v166, v166, v176
	v_not_b32_e32 v173, v174
	v_ashrrev_i32_e32 v171, 31, v171
	v_xor_b32_e32 v168, s16, v168
	v_cmp_gt_i32_e64 s16, 0, v174
	v_and_b32_e32 v166, v166, v167
	v_not_b32_e32 v167, v175
	v_ashrrev_i32_e32 v173, 31, v173
	v_xor_b32_e32 v171, vcc_lo, v171
	v_cmp_gt_i32_e32 vcc_lo, 0, v175
	v_and_b32_e32 v166, v166, v168
	v_not_b32_e32 v168, v172
	v_ashrrev_i32_e32 v167, 31, v167
	v_xor_b32_e32 v173, s16, v173
	v_mul_u32_u24_e32 v37, 9, v37
	v_and_b32_e32 v166, v166, v171
	v_cmp_gt_i32_e64 s16, 0, v172
	v_ashrrev_i32_e32 v168, 31, v168
	v_xor_b32_e32 v167, vcc_lo, v167
	v_add_lshl_u32 v171, v37, v126, 2
	v_and_b32_e32 v166, v166, v173
	s_delay_alu instid0(VALU_DEP_4) | instskip(NEXT) | instid1(VALU_DEP_3)
	v_xor_b32_e32 v37, s16, v168
	v_add_nc_u32_e32 v168, 0x420, v171
	s_delay_alu instid0(VALU_DEP_3) | instskip(SKIP_2) | instid1(VALU_DEP_1)
	v_and_b32_e32 v167, v166, v167
	ds_load_b32 v166, v171 offset:1056
	; wave barrier
	v_and_b32_e32 v37, v167, v37
	v_mbcnt_lo_u32_b32 v167, v37, 0
	v_cmp_ne_u32_e64 s16, 0, v37
	s_delay_alu instid0(VALU_DEP_2) | instskip(NEXT) | instid1(VALU_DEP_2)
	v_cmp_eq_u32_e32 vcc_lo, 0, v167
	s_and_b32 s17, s16, vcc_lo
	s_delay_alu instid0(SALU_CYCLE_1)
	s_and_saveexec_b32 s16, s17
	s_cbranch_execz .LBB1954_440
; %bb.439:                              ;   in Loop: Header=BB1954_392 Depth=2
	s_waitcnt lgkmcnt(0)
	v_bcnt_u32_b32 v37, v37, v166
	ds_store_b32 v168, v37
.LBB1954_440:                           ;   in Loop: Header=BB1954_392 Depth=2
	s_or_b32 exec_lo, exec_lo, s16
	v_cmp_gt_i16_e64 vcc_lo, 0, v165
	; wave barrier
	s_delay_alu instid0(VALU_DEP_1) | instskip(NEXT) | instid1(VALU_DEP_1)
	v_cndmask_b32_e64 v37, 0x7fff, 0, vcc_lo
	v_xor_b32_e32 v165, v37, v165
	s_delay_alu instid0(VALU_DEP_1) | instskip(SKIP_1) | instid1(VALU_DEP_1)
	v_cmp_ne_u16_e64 vcc_lo, 0x8000, v165
	v_cndmask_b32_e32 v37, 0x7fff, v165, vcc_lo
	v_and_b32_e32 v37, 0xffff, v37
	s_delay_alu instid0(VALU_DEP_1) | instskip(NEXT) | instid1(VALU_DEP_1)
	v_lshrrev_b32_e32 v37, s48, v37
	v_and_b32_e32 v37, s55, v37
	s_delay_alu instid0(VALU_DEP_1)
	v_and_b32_e32 v171, 1, v37
	v_lshlrev_b32_e32 v172, 30, v37
	v_lshlrev_b32_e32 v173, 29, v37
	;; [unrolled: 1-line block ×4, first 2 shown]
	v_add_co_u32 v171, s16, v171, -1
	s_delay_alu instid0(VALU_DEP_1)
	v_cndmask_b32_e64 v175, 0, 1, s16
	v_not_b32_e32 v179, v172
	v_cmp_gt_i32_e64 s16, 0, v172
	v_not_b32_e32 v172, v173
	v_lshlrev_b32_e32 v177, 26, v37
	v_cmp_ne_u32_e32 vcc_lo, 0, v175
	v_ashrrev_i32_e32 v179, 31, v179
	v_lshlrev_b32_e32 v178, 25, v37
	v_ashrrev_i32_e32 v172, 31, v172
	v_lshlrev_b32_e32 v175, 24, v37
	v_xor_b32_e32 v171, vcc_lo, v171
	v_cmp_gt_i32_e32 vcc_lo, 0, v173
	v_not_b32_e32 v173, v174
	v_xor_b32_e32 v179, s16, v179
	v_cmp_gt_i32_e64 s16, 0, v174
	v_and_b32_e32 v171, exec_lo, v171
	v_not_b32_e32 v174, v176
	v_ashrrev_i32_e32 v173, 31, v173
	v_xor_b32_e32 v172, vcc_lo, v172
	v_cmp_gt_i32_e32 vcc_lo, 0, v176
	v_and_b32_e32 v171, v171, v179
	v_not_b32_e32 v176, v177
	v_ashrrev_i32_e32 v174, 31, v174
	v_xor_b32_e32 v173, s16, v173
	v_cmp_gt_i32_e64 s16, 0, v177
	v_and_b32_e32 v171, v171, v172
	v_not_b32_e32 v172, v178
	v_ashrrev_i32_e32 v176, 31, v176
	v_xor_b32_e32 v174, vcc_lo, v174
	v_cmp_gt_i32_e32 vcc_lo, 0, v178
	v_and_b32_e32 v171, v171, v173
	v_not_b32_e32 v173, v175
	v_ashrrev_i32_e32 v172, 31, v172
	v_xor_b32_e32 v176, s16, v176
	v_mul_u32_u24_e32 v37, 9, v37
	v_and_b32_e32 v171, v171, v174
	v_cmp_gt_i32_e64 s16, 0, v175
	v_ashrrev_i32_e32 v173, 31, v173
	v_xor_b32_e32 v172, vcc_lo, v172
	v_add_lshl_u32 v174, v37, v126, 2
	v_and_b32_e32 v171, v171, v176
	s_delay_alu instid0(VALU_DEP_4) | instskip(NEXT) | instid1(VALU_DEP_3)
	v_xor_b32_e32 v37, s16, v173
	v_add_nc_u32_e32 v173, 0x420, v174
	s_delay_alu instid0(VALU_DEP_3) | instskip(SKIP_2) | instid1(VALU_DEP_1)
	v_and_b32_e32 v172, v171, v172
	ds_load_b32 v171, v174 offset:1056
	; wave barrier
	v_and_b32_e32 v37, v172, v37
	v_mbcnt_lo_u32_b32 v172, v37, 0
	v_cmp_ne_u32_e64 s16, 0, v37
	s_delay_alu instid0(VALU_DEP_2) | instskip(NEXT) | instid1(VALU_DEP_2)
	v_cmp_eq_u32_e32 vcc_lo, 0, v172
	s_and_b32 s17, s16, vcc_lo
	s_delay_alu instid0(SALU_CYCLE_1)
	s_and_saveexec_b32 s16, s17
	s_cbranch_execz .LBB1954_442
; %bb.441:                              ;   in Loop: Header=BB1954_392 Depth=2
	s_waitcnt lgkmcnt(0)
	v_bcnt_u32_b32 v37, v37, v171
	ds_store_b32 v173, v37
.LBB1954_442:                           ;   in Loop: Header=BB1954_392 Depth=2
	s_or_b32 exec_lo, exec_lo, s16
	v_cmp_gt_i16_e64 vcc_lo, 0, v170
	; wave barrier
	s_delay_alu instid0(VALU_DEP_1) | instskip(NEXT) | instid1(VALU_DEP_1)
	v_cndmask_b32_e64 v37, 0x7fff, 0, vcc_lo
	v_xor_b32_e32 v170, v37, v170
	s_delay_alu instid0(VALU_DEP_1) | instskip(SKIP_1) | instid1(VALU_DEP_1)
	v_cmp_ne_u16_e64 vcc_lo, 0x8000, v170
	v_cndmask_b32_e32 v37, 0x7fff, v170, vcc_lo
	v_and_b32_e32 v37, 0xffff, v37
	s_delay_alu instid0(VALU_DEP_1) | instskip(NEXT) | instid1(VALU_DEP_1)
	v_lshrrev_b32_e32 v37, s48, v37
	v_and_b32_e32 v37, s55, v37
	s_delay_alu instid0(VALU_DEP_1)
	v_and_b32_e32 v174, 1, v37
	v_lshlrev_b32_e32 v175, 30, v37
	v_lshlrev_b32_e32 v176, 29, v37
	v_lshlrev_b32_e32 v177, 28, v37
	v_lshlrev_b32_e32 v179, 27, v37
	v_add_co_u32 v174, s16, v174, -1
	s_delay_alu instid0(VALU_DEP_1)
	v_cndmask_b32_e64 v178, 0, 1, s16
	v_not_b32_e32 v182, v175
	v_cmp_gt_i32_e64 s16, 0, v175
	v_not_b32_e32 v175, v176
	v_lshlrev_b32_e32 v180, 26, v37
	v_cmp_ne_u32_e32 vcc_lo, 0, v178
	v_ashrrev_i32_e32 v182, 31, v182
	v_lshlrev_b32_e32 v181, 25, v37
	v_ashrrev_i32_e32 v175, 31, v175
	v_lshlrev_b32_e32 v178, 24, v37
	v_xor_b32_e32 v174, vcc_lo, v174
	v_cmp_gt_i32_e32 vcc_lo, 0, v176
	v_not_b32_e32 v176, v177
	v_xor_b32_e32 v182, s16, v182
	v_cmp_gt_i32_e64 s16, 0, v177
	v_and_b32_e32 v174, exec_lo, v174
	v_not_b32_e32 v177, v179
	v_ashrrev_i32_e32 v176, 31, v176
	v_xor_b32_e32 v175, vcc_lo, v175
	v_cmp_gt_i32_e32 vcc_lo, 0, v179
	v_and_b32_e32 v174, v174, v182
	v_not_b32_e32 v179, v180
	v_ashrrev_i32_e32 v177, 31, v177
	v_xor_b32_e32 v176, s16, v176
	v_cmp_gt_i32_e64 s16, 0, v180
	v_and_b32_e32 v174, v174, v175
	v_not_b32_e32 v175, v181
	v_ashrrev_i32_e32 v179, 31, v179
	v_xor_b32_e32 v177, vcc_lo, v177
	v_cmp_gt_i32_e32 vcc_lo, 0, v181
	v_and_b32_e32 v174, v174, v176
	v_not_b32_e32 v176, v178
	v_ashrrev_i32_e32 v175, 31, v175
	v_xor_b32_e32 v179, s16, v179
	v_mul_u32_u24_e32 v37, 9, v37
	v_and_b32_e32 v174, v174, v177
	v_cmp_gt_i32_e64 s16, 0, v178
	v_ashrrev_i32_e32 v176, 31, v176
	v_xor_b32_e32 v175, vcc_lo, v175
	v_add_lshl_u32 v177, v37, v126, 2
	v_and_b32_e32 v174, v174, v179
	s_delay_alu instid0(VALU_DEP_4) | instskip(NEXT) | instid1(VALU_DEP_3)
	v_xor_b32_e32 v37, s16, v176
	v_add_nc_u32_e32 v176, 0x420, v177
	s_delay_alu instid0(VALU_DEP_3) | instskip(SKIP_2) | instid1(VALU_DEP_1)
	v_and_b32_e32 v175, v174, v175
	ds_load_b32 v174, v177 offset:1056
	; wave barrier
	v_and_b32_e32 v37, v175, v37
	v_mbcnt_lo_u32_b32 v175, v37, 0
	v_cmp_ne_u32_e64 s16, 0, v37
	s_delay_alu instid0(VALU_DEP_2) | instskip(NEXT) | instid1(VALU_DEP_2)
	v_cmp_eq_u32_e32 vcc_lo, 0, v175
	s_and_b32 s17, s16, vcc_lo
	s_delay_alu instid0(SALU_CYCLE_1)
	s_and_saveexec_b32 s16, s17
	s_cbranch_execz .LBB1954_444
; %bb.443:                              ;   in Loop: Header=BB1954_392 Depth=2
	s_waitcnt lgkmcnt(0)
	v_bcnt_u32_b32 v37, v37, v174
	ds_store_b32 v176, v37
.LBB1954_444:                           ;   in Loop: Header=BB1954_392 Depth=2
	s_or_b32 exec_lo, exec_lo, s16
	v_cmp_gt_i16_e64 vcc_lo, 0, v169
	; wave barrier
	s_delay_alu instid0(VALU_DEP_1) | instskip(NEXT) | instid1(VALU_DEP_1)
	v_cndmask_b32_e64 v37, 0x7fff, 0, vcc_lo
	v_xor_b32_e32 v169, v37, v169
	s_delay_alu instid0(VALU_DEP_1) | instskip(SKIP_1) | instid1(VALU_DEP_1)
	v_cmp_ne_u16_e64 vcc_lo, 0x8000, v169
	v_cndmask_b32_e32 v37, 0x7fff, v169, vcc_lo
	v_and_b32_e32 v37, 0xffff, v37
	s_delay_alu instid0(VALU_DEP_1) | instskip(NEXT) | instid1(VALU_DEP_1)
	v_lshrrev_b32_e32 v37, s48, v37
	v_and_b32_e32 v37, s55, v37
	s_delay_alu instid0(VALU_DEP_1)
	v_and_b32_e32 v177, 1, v37
	v_lshlrev_b32_e32 v178, 30, v37
	v_lshlrev_b32_e32 v179, 29, v37
	;; [unrolled: 1-line block ×4, first 2 shown]
	v_add_co_u32 v177, s16, v177, -1
	s_delay_alu instid0(VALU_DEP_1)
	v_cndmask_b32_e64 v181, 0, 1, s16
	v_not_b32_e32 v185, v178
	v_cmp_gt_i32_e64 s16, 0, v178
	v_not_b32_e32 v178, v179
	v_lshlrev_b32_e32 v183, 26, v37
	v_cmp_ne_u32_e32 vcc_lo, 0, v181
	v_ashrrev_i32_e32 v185, 31, v185
	v_lshlrev_b32_e32 v184, 25, v37
	v_ashrrev_i32_e32 v178, 31, v178
	v_lshlrev_b32_e32 v181, 24, v37
	v_xor_b32_e32 v177, vcc_lo, v177
	v_cmp_gt_i32_e32 vcc_lo, 0, v179
	v_not_b32_e32 v179, v180
	v_xor_b32_e32 v185, s16, v185
	v_cmp_gt_i32_e64 s16, 0, v180
	v_and_b32_e32 v177, exec_lo, v177
	v_not_b32_e32 v180, v182
	v_ashrrev_i32_e32 v179, 31, v179
	v_xor_b32_e32 v178, vcc_lo, v178
	v_cmp_gt_i32_e32 vcc_lo, 0, v182
	v_and_b32_e32 v177, v177, v185
	v_not_b32_e32 v182, v183
	v_ashrrev_i32_e32 v180, 31, v180
	v_xor_b32_e32 v179, s16, v179
	v_cmp_gt_i32_e64 s16, 0, v183
	v_and_b32_e32 v177, v177, v178
	v_not_b32_e32 v178, v184
	v_ashrrev_i32_e32 v182, 31, v182
	v_xor_b32_e32 v180, vcc_lo, v180
	v_cmp_gt_i32_e32 vcc_lo, 0, v184
	v_and_b32_e32 v177, v177, v179
	v_not_b32_e32 v179, v181
	v_ashrrev_i32_e32 v178, 31, v178
	v_xor_b32_e32 v182, s16, v182
	v_mul_u32_u24_e32 v37, 9, v37
	v_and_b32_e32 v177, v177, v180
	v_cmp_gt_i32_e64 s16, 0, v181
	v_ashrrev_i32_e32 v179, 31, v179
	v_xor_b32_e32 v178, vcc_lo, v178
	v_add_lshl_u32 v180, v37, v126, 2
	v_and_b32_e32 v177, v177, v182
	s_delay_alu instid0(VALU_DEP_4) | instskip(NEXT) | instid1(VALU_DEP_2)
	v_xor_b32_e32 v37, s16, v179
	v_and_b32_e32 v177, v177, v178
	ds_load_b32 v178, v180 offset:1056
	v_add_nc_u32_e32 v180, 0x420, v180
	; wave barrier
	v_and_b32_e32 v37, v177, v37
	s_delay_alu instid0(VALU_DEP_1) | instskip(SKIP_1) | instid1(VALU_DEP_2)
	v_mbcnt_lo_u32_b32 v179, v37, 0
	v_cmp_ne_u32_e64 s16, 0, v37
	v_cmp_eq_u32_e32 vcc_lo, 0, v179
	s_delay_alu instid0(VALU_DEP_2) | instskip(NEXT) | instid1(SALU_CYCLE_1)
	s_and_b32 s17, s16, vcc_lo
	s_and_saveexec_b32 s16, s17
	s_cbranch_execz .LBB1954_446
; %bb.445:                              ;   in Loop: Header=BB1954_392 Depth=2
	s_waitcnt lgkmcnt(0)
	v_bcnt_u32_b32 v37, v37, v178
	ds_store_b32 v180, v37
.LBB1954_446:                           ;   in Loop: Header=BB1954_392 Depth=2
	s_or_b32 exec_lo, exec_lo, s16
	v_cmp_gt_i16_e32 vcc_lo, 0, v43
	; wave barrier
	v_cndmask_b32_e64 v37, 0x7fff, 0, vcc_lo
	s_delay_alu instid0(VALU_DEP_1) | instskip(NEXT) | instid1(VALU_DEP_1)
	v_xor_b32_e32 v177, v37, v43
	v_cmp_ne_u16_e64 vcc_lo, 0x8000, v177
	v_cndmask_b32_e32 v37, 0x7fff, v177, vcc_lo
	s_delay_alu instid0(VALU_DEP_1) | instskip(NEXT) | instid1(VALU_DEP_1)
	v_and_b32_e32 v37, 0xffff, v37
	v_lshrrev_b32_e32 v37, s48, v37
	s_delay_alu instid0(VALU_DEP_1) | instskip(NEXT) | instid1(VALU_DEP_1)
	v_and_b32_e32 v37, s55, v37
	v_and_b32_e32 v43, 1, v37
	v_lshlrev_b32_e32 v181, 30, v37
	v_lshlrev_b32_e32 v182, 29, v37
	;; [unrolled: 1-line block ×4, first 2 shown]
	v_add_co_u32 v43, s16, v43, -1
	s_delay_alu instid0(VALU_DEP_1)
	v_cndmask_b32_e64 v184, 0, 1, s16
	v_not_b32_e32 v188, v181
	v_cmp_gt_i32_e64 s16, 0, v181
	v_not_b32_e32 v181, v182
	v_lshlrev_b32_e32 v186, 26, v37
	v_cmp_ne_u32_e32 vcc_lo, 0, v184
	v_ashrrev_i32_e32 v188, 31, v188
	v_lshlrev_b32_e32 v187, 25, v37
	v_ashrrev_i32_e32 v181, 31, v181
	v_lshlrev_b32_e32 v184, 24, v37
	v_xor_b32_e32 v43, vcc_lo, v43
	v_cmp_gt_i32_e32 vcc_lo, 0, v182
	v_not_b32_e32 v182, v183
	v_xor_b32_e32 v188, s16, v188
	v_cmp_gt_i32_e64 s16, 0, v183
	v_and_b32_e32 v43, exec_lo, v43
	v_not_b32_e32 v183, v185
	v_ashrrev_i32_e32 v182, 31, v182
	v_xor_b32_e32 v181, vcc_lo, v181
	v_cmp_gt_i32_e32 vcc_lo, 0, v185
	v_and_b32_e32 v43, v43, v188
	v_not_b32_e32 v185, v186
	v_ashrrev_i32_e32 v183, 31, v183
	v_xor_b32_e32 v182, s16, v182
	v_cmp_gt_i32_e64 s16, 0, v186
	v_and_b32_e32 v43, v43, v181
	v_not_b32_e32 v181, v187
	v_ashrrev_i32_e32 v185, 31, v185
	v_xor_b32_e32 v183, vcc_lo, v183
	v_cmp_gt_i32_e32 vcc_lo, 0, v187
	v_and_b32_e32 v43, v43, v182
	v_not_b32_e32 v182, v184
	v_ashrrev_i32_e32 v181, 31, v181
	v_xor_b32_e32 v185, s16, v185
	v_mul_u32_u24_e32 v37, 9, v37
	v_and_b32_e32 v43, v43, v183
	v_cmp_gt_i32_e64 s16, 0, v184
	v_ashrrev_i32_e32 v182, 31, v182
	v_xor_b32_e32 v181, vcc_lo, v181
	v_add_lshl_u32 v184, v37, v126, 2
	v_and_b32_e32 v43, v43, v185
	s_delay_alu instid0(VALU_DEP_4) | instskip(SKIP_3) | instid1(VALU_DEP_2)
	v_xor_b32_e32 v37, s16, v182
	ds_load_b32 v182, v184 offset:1056
	v_and_b32_e32 v43, v43, v181
	v_add_nc_u32_e32 v184, 0x420, v184
	; wave barrier
	v_and_b32_e32 v37, v43, v37
	s_delay_alu instid0(VALU_DEP_1) | instskip(SKIP_1) | instid1(VALU_DEP_2)
	v_mbcnt_lo_u32_b32 v183, v37, 0
	v_cmp_ne_u32_e64 s16, 0, v37
	v_cmp_eq_u32_e32 vcc_lo, 0, v183
	s_delay_alu instid0(VALU_DEP_2) | instskip(NEXT) | instid1(SALU_CYCLE_1)
	s_and_b32 s17, s16, vcc_lo
	s_and_saveexec_b32 s16, s17
	s_cbranch_execz .LBB1954_448
; %bb.447:                              ;   in Loop: Header=BB1954_392 Depth=2
	s_waitcnt lgkmcnt(0)
	v_bcnt_u32_b32 v37, v37, v182
	ds_store_b32 v184, v37
.LBB1954_448:                           ;   in Loop: Header=BB1954_392 Depth=2
	s_or_b32 exec_lo, exec_lo, s16
	v_cmp_gt_i16_e32 vcc_lo, 0, v42
	; wave barrier
	v_cndmask_b32_e64 v37, 0x7fff, 0, vcc_lo
	s_delay_alu instid0(VALU_DEP_1) | instskip(NEXT) | instid1(VALU_DEP_1)
	v_xor_b32_e32 v181, v37, v42
	v_cmp_ne_u16_e64 vcc_lo, 0x8000, v181
	v_cndmask_b32_e32 v37, 0x7fff, v181, vcc_lo
	s_delay_alu instid0(VALU_DEP_1) | instskip(NEXT) | instid1(VALU_DEP_1)
	v_and_b32_e32 v37, 0xffff, v37
	v_lshrrev_b32_e32 v37, s48, v37
	s_delay_alu instid0(VALU_DEP_1) | instskip(NEXT) | instid1(VALU_DEP_1)
	v_and_b32_e32 v37, s55, v37
	v_and_b32_e32 v42, 1, v37
	v_lshlrev_b32_e32 v43, 30, v37
	v_lshlrev_b32_e32 v185, 29, v37
	;; [unrolled: 1-line block ×4, first 2 shown]
	v_add_co_u32 v42, s16, v42, -1
	s_delay_alu instid0(VALU_DEP_1)
	v_cndmask_b32_e64 v187, 0, 1, s16
	v_not_b32_e32 v191, v43
	v_cmp_gt_i32_e64 s16, 0, v43
	v_not_b32_e32 v43, v185
	v_lshlrev_b32_e32 v189, 26, v37
	v_cmp_ne_u32_e32 vcc_lo, 0, v187
	v_ashrrev_i32_e32 v191, 31, v191
	v_lshlrev_b32_e32 v190, 25, v37
	v_ashrrev_i32_e32 v43, 31, v43
	v_lshlrev_b32_e32 v187, 24, v37
	v_xor_b32_e32 v42, vcc_lo, v42
	v_cmp_gt_i32_e32 vcc_lo, 0, v185
	v_not_b32_e32 v185, v186
	v_xor_b32_e32 v191, s16, v191
	v_cmp_gt_i32_e64 s16, 0, v186
	v_and_b32_e32 v42, exec_lo, v42
	v_not_b32_e32 v186, v188
	v_ashrrev_i32_e32 v185, 31, v185
	v_xor_b32_e32 v43, vcc_lo, v43
	v_cmp_gt_i32_e32 vcc_lo, 0, v188
	v_and_b32_e32 v42, v42, v191
	v_not_b32_e32 v188, v189
	v_ashrrev_i32_e32 v186, 31, v186
	v_xor_b32_e32 v185, s16, v185
	v_cmp_gt_i32_e64 s16, 0, v189
	v_and_b32_e32 v42, v42, v43
	v_not_b32_e32 v43, v190
	v_ashrrev_i32_e32 v188, 31, v188
	v_xor_b32_e32 v186, vcc_lo, v186
	v_cmp_gt_i32_e32 vcc_lo, 0, v190
	v_and_b32_e32 v42, v42, v185
	v_not_b32_e32 v185, v187
	v_ashrrev_i32_e32 v43, 31, v43
	v_xor_b32_e32 v188, s16, v188
	v_mul_u32_u24_e32 v37, 9, v37
	v_and_b32_e32 v42, v42, v186
	v_cmp_gt_i32_e64 s16, 0, v187
	v_ashrrev_i32_e32 v185, 31, v185
	v_xor_b32_e32 v43, vcc_lo, v43
	s_delay_alu instid0(VALU_DEP_4) | instskip(SKIP_1) | instid1(VALU_DEP_4)
	v_and_b32_e32 v42, v42, v188
	v_add_lshl_u32 v188, v37, v126, 2
	v_xor_b32_e32 v37, s16, v185
	s_delay_alu instid0(VALU_DEP_3) | instskip(SKIP_3) | instid1(VALU_DEP_1)
	v_and_b32_e32 v42, v42, v43
	ds_load_b32 v186, v188 offset:1056
	v_add_nc_u32_e32 v188, 0x420, v188
	; wave barrier
	v_and_b32_e32 v37, v42, v37
	v_mbcnt_lo_u32_b32 v187, v37, 0
	v_cmp_ne_u32_e64 s16, 0, v37
	s_delay_alu instid0(VALU_DEP_2) | instskip(NEXT) | instid1(VALU_DEP_2)
	v_cmp_eq_u32_e32 vcc_lo, 0, v187
	s_and_b32 s17, s16, vcc_lo
	s_delay_alu instid0(SALU_CYCLE_1)
	s_and_saveexec_b32 s16, s17
	s_cbranch_execz .LBB1954_450
; %bb.449:                              ;   in Loop: Header=BB1954_392 Depth=2
	s_waitcnt lgkmcnt(0)
	v_bcnt_u32_b32 v37, v37, v186
	ds_store_b32 v188, v37
.LBB1954_450:                           ;   in Loop: Header=BB1954_392 Depth=2
	s_or_b32 exec_lo, exec_lo, s16
	v_cmp_gt_i16_e32 vcc_lo, 0, v41
	; wave barrier
	v_cndmask_b32_e64 v37, 0x7fff, 0, vcc_lo
	s_delay_alu instid0(VALU_DEP_1) | instskip(NEXT) | instid1(VALU_DEP_1)
	v_xor_b32_e32 v185, v37, v41
	v_cmp_ne_u16_e64 vcc_lo, 0x8000, v185
	v_cndmask_b32_e32 v37, 0x7fff, v185, vcc_lo
	s_delay_alu instid0(VALU_DEP_1) | instskip(NEXT) | instid1(VALU_DEP_1)
	v_and_b32_e32 v37, 0xffff, v37
	v_lshrrev_b32_e32 v37, s48, v37
	s_delay_alu instid0(VALU_DEP_1) | instskip(NEXT) | instid1(VALU_DEP_1)
	v_and_b32_e32 v37, s55, v37
	v_and_b32_e32 v41, 1, v37
	v_lshlrev_b32_e32 v42, 30, v37
	v_lshlrev_b32_e32 v43, 29, v37
	;; [unrolled: 1-line block ×4, first 2 shown]
	v_add_co_u32 v41, s16, v41, -1
	s_delay_alu instid0(VALU_DEP_1)
	v_cndmask_b32_e64 v190, 0, 1, s16
	v_not_b32_e32 v194, v42
	v_cmp_gt_i32_e64 s16, 0, v42
	v_not_b32_e32 v42, v43
	v_lshlrev_b32_e32 v192, 26, v37
	v_cmp_ne_u32_e32 vcc_lo, 0, v190
	v_ashrrev_i32_e32 v194, 31, v194
	v_lshlrev_b32_e32 v193, 25, v37
	v_ashrrev_i32_e32 v42, 31, v42
	v_lshlrev_b32_e32 v190, 24, v37
	v_xor_b32_e32 v41, vcc_lo, v41
	v_cmp_gt_i32_e32 vcc_lo, 0, v43
	v_not_b32_e32 v43, v189
	v_xor_b32_e32 v194, s16, v194
	v_cmp_gt_i32_e64 s16, 0, v189
	v_and_b32_e32 v41, exec_lo, v41
	v_not_b32_e32 v189, v191
	v_ashrrev_i32_e32 v43, 31, v43
	v_xor_b32_e32 v42, vcc_lo, v42
	v_cmp_gt_i32_e32 vcc_lo, 0, v191
	v_and_b32_e32 v41, v41, v194
	v_not_b32_e32 v191, v192
	v_ashrrev_i32_e32 v189, 31, v189
	v_xor_b32_e32 v43, s16, v43
	v_cmp_gt_i32_e64 s16, 0, v192
	v_and_b32_e32 v41, v41, v42
	v_not_b32_e32 v42, v193
	v_ashrrev_i32_e32 v191, 31, v191
	v_xor_b32_e32 v189, vcc_lo, v189
	v_cmp_gt_i32_e32 vcc_lo, 0, v193
	v_and_b32_e32 v41, v41, v43
	v_not_b32_e32 v43, v190
	v_ashrrev_i32_e32 v42, 31, v42
	v_xor_b32_e32 v191, s16, v191
	v_mul_u32_u24_e32 v37, 9, v37
	v_and_b32_e32 v41, v41, v189
	v_cmp_gt_i32_e64 s16, 0, v190
	v_ashrrev_i32_e32 v43, 31, v43
	v_xor_b32_e32 v42, vcc_lo, v42
	v_add_lshl_u32 v189, v37, v126, 2
	v_and_b32_e32 v41, v41, v191
	s_delay_alu instid0(VALU_DEP_4) | instskip(SKIP_3) | instid1(VALU_DEP_2)
	v_xor_b32_e32 v37, s16, v43
	ds_load_b32 v190, v189 offset:1056
	v_and_b32_e32 v41, v41, v42
	v_add_nc_u32_e32 v192, 0x420, v189
	; wave barrier
	v_and_b32_e32 v37, v41, v37
	s_delay_alu instid0(VALU_DEP_1) | instskip(SKIP_1) | instid1(VALU_DEP_2)
	v_mbcnt_lo_u32_b32 v191, v37, 0
	v_cmp_ne_u32_e64 s16, 0, v37
	v_cmp_eq_u32_e32 vcc_lo, 0, v191
	s_delay_alu instid0(VALU_DEP_2) | instskip(NEXT) | instid1(SALU_CYCLE_1)
	s_and_b32 s17, s16, vcc_lo
	s_and_saveexec_b32 s16, s17
	s_cbranch_execz .LBB1954_452
; %bb.451:                              ;   in Loop: Header=BB1954_392 Depth=2
	s_waitcnt lgkmcnt(0)
	v_bcnt_u32_b32 v37, v37, v190
	ds_store_b32 v192, v37
.LBB1954_452:                           ;   in Loop: Header=BB1954_392 Depth=2
	s_or_b32 exec_lo, exec_lo, s16
	v_cmp_gt_i16_e32 vcc_lo, 0, v40
	; wave barrier
	v_cndmask_b32_e64 v37, 0x7fff, 0, vcc_lo
	s_delay_alu instid0(VALU_DEP_1) | instskip(NEXT) | instid1(VALU_DEP_1)
	v_xor_b32_e32 v189, v37, v40
	v_cmp_ne_u16_e64 vcc_lo, 0x8000, v189
	v_cndmask_b32_e32 v37, 0x7fff, v189, vcc_lo
	s_delay_alu instid0(VALU_DEP_1) | instskip(NEXT) | instid1(VALU_DEP_1)
	v_and_b32_e32 v37, 0xffff, v37
	v_lshrrev_b32_e32 v37, s48, v37
	s_delay_alu instid0(VALU_DEP_1) | instskip(NEXT) | instid1(VALU_DEP_1)
	v_and_b32_e32 v37, s55, v37
	v_and_b32_e32 v40, 1, v37
	v_lshlrev_b32_e32 v41, 30, v37
	v_lshlrev_b32_e32 v42, 29, v37
	;; [unrolled: 1-line block ×4, first 2 shown]
	v_add_co_u32 v40, s16, v40, -1
	s_delay_alu instid0(VALU_DEP_1)
	v_cndmask_b32_e64 v193, 0, 1, s16
	v_not_b32_e32 v197, v41
	v_cmp_gt_i32_e64 s16, 0, v41
	v_not_b32_e32 v41, v42
	v_lshlrev_b32_e32 v195, 26, v37
	v_cmp_ne_u32_e32 vcc_lo, 0, v193
	v_ashrrev_i32_e32 v197, 31, v197
	v_lshlrev_b32_e32 v196, 25, v37
	v_ashrrev_i32_e32 v41, 31, v41
	v_lshlrev_b32_e32 v193, 24, v37
	v_xor_b32_e32 v40, vcc_lo, v40
	v_cmp_gt_i32_e32 vcc_lo, 0, v42
	v_not_b32_e32 v42, v43
	v_xor_b32_e32 v197, s16, v197
	v_cmp_gt_i32_e64 s16, 0, v43
	v_and_b32_e32 v40, exec_lo, v40
	v_not_b32_e32 v43, v194
	v_ashrrev_i32_e32 v42, 31, v42
	v_xor_b32_e32 v41, vcc_lo, v41
	v_cmp_gt_i32_e32 vcc_lo, 0, v194
	v_and_b32_e32 v40, v40, v197
	v_not_b32_e32 v194, v195
	v_ashrrev_i32_e32 v43, 31, v43
	v_xor_b32_e32 v42, s16, v42
	v_cmp_gt_i32_e64 s16, 0, v195
	v_and_b32_e32 v40, v40, v41
	v_not_b32_e32 v41, v196
	v_ashrrev_i32_e32 v194, 31, v194
	v_xor_b32_e32 v43, vcc_lo, v43
	v_cmp_gt_i32_e32 vcc_lo, 0, v196
	v_and_b32_e32 v40, v40, v42
	v_not_b32_e32 v42, v193
	v_ashrrev_i32_e32 v41, 31, v41
	v_xor_b32_e32 v194, s16, v194
	v_mul_u32_u24_e32 v37, 9, v37
	v_and_b32_e32 v40, v40, v43
	v_cmp_gt_i32_e64 s16, 0, v193
	v_ashrrev_i32_e32 v42, 31, v42
	v_xor_b32_e32 v41, vcc_lo, v41
	v_add_lshl_u32 v43, v37, v126, 2
	v_and_b32_e32 v40, v40, v194
	s_delay_alu instid0(VALU_DEP_4) | instskip(SKIP_3) | instid1(VALU_DEP_2)
	v_xor_b32_e32 v37, s16, v42
	ds_load_b32 v194, v43 offset:1056
	v_and_b32_e32 v40, v40, v41
	v_add_nc_u32_e32 v196, 0x420, v43
	; wave barrier
	v_and_b32_e32 v37, v40, v37
	s_delay_alu instid0(VALU_DEP_1) | instskip(SKIP_1) | instid1(VALU_DEP_2)
	v_mbcnt_lo_u32_b32 v195, v37, 0
	v_cmp_ne_u32_e64 s16, 0, v37
	v_cmp_eq_u32_e32 vcc_lo, 0, v195
	s_delay_alu instid0(VALU_DEP_2) | instskip(NEXT) | instid1(SALU_CYCLE_1)
	s_and_b32 s17, s16, vcc_lo
	s_and_saveexec_b32 s16, s17
	s_cbranch_execz .LBB1954_454
; %bb.453:                              ;   in Loop: Header=BB1954_392 Depth=2
	s_waitcnt lgkmcnt(0)
	v_bcnt_u32_b32 v37, v37, v194
	ds_store_b32 v196, v37
.LBB1954_454:                           ;   in Loop: Header=BB1954_392 Depth=2
	s_or_b32 exec_lo, exec_lo, s16
	v_cmp_gt_i16_e32 vcc_lo, 0, v39
	; wave barrier
	v_cndmask_b32_e64 v37, 0x7fff, 0, vcc_lo
	s_delay_alu instid0(VALU_DEP_1) | instskip(NEXT) | instid1(VALU_DEP_1)
	v_xor_b32_e32 v193, v37, v39
	v_cmp_ne_u16_e64 vcc_lo, 0x8000, v193
	v_cndmask_b32_e32 v37, 0x7fff, v193, vcc_lo
	s_delay_alu instid0(VALU_DEP_1) | instskip(NEXT) | instid1(VALU_DEP_1)
	v_and_b32_e32 v37, 0xffff, v37
	v_lshrrev_b32_e32 v37, s48, v37
	s_delay_alu instid0(VALU_DEP_1) | instskip(NEXT) | instid1(VALU_DEP_1)
	v_and_b32_e32 v37, s55, v37
	v_and_b32_e32 v39, 1, v37
	v_lshlrev_b32_e32 v40, 30, v37
	v_lshlrev_b32_e32 v41, 29, v37
	;; [unrolled: 1-line block ×4, first 2 shown]
	v_add_co_u32 v39, s16, v39, -1
	s_delay_alu instid0(VALU_DEP_1)
	v_cndmask_b32_e64 v43, 0, 1, s16
	v_not_b32_e32 v200, v40
	v_cmp_gt_i32_e64 s16, 0, v40
	v_not_b32_e32 v40, v41
	v_lshlrev_b32_e32 v198, 26, v37
	v_cmp_ne_u32_e32 vcc_lo, 0, v43
	v_ashrrev_i32_e32 v200, 31, v200
	v_lshlrev_b32_e32 v199, 25, v37
	v_ashrrev_i32_e32 v40, 31, v40
	v_lshlrev_b32_e32 v43, 24, v37
	v_xor_b32_e32 v39, vcc_lo, v39
	v_cmp_gt_i32_e32 vcc_lo, 0, v41
	v_not_b32_e32 v41, v42
	v_xor_b32_e32 v200, s16, v200
	v_cmp_gt_i32_e64 s16, 0, v42
	v_and_b32_e32 v39, exec_lo, v39
	v_not_b32_e32 v42, v197
	v_ashrrev_i32_e32 v41, 31, v41
	v_xor_b32_e32 v40, vcc_lo, v40
	v_cmp_gt_i32_e32 vcc_lo, 0, v197
	v_and_b32_e32 v39, v39, v200
	v_not_b32_e32 v197, v198
	v_ashrrev_i32_e32 v42, 31, v42
	v_xor_b32_e32 v41, s16, v41
	v_cmp_gt_i32_e64 s16, 0, v198
	v_and_b32_e32 v39, v39, v40
	v_not_b32_e32 v40, v199
	v_ashrrev_i32_e32 v197, 31, v197
	v_xor_b32_e32 v42, vcc_lo, v42
	v_cmp_gt_i32_e32 vcc_lo, 0, v199
	v_and_b32_e32 v39, v39, v41
	v_not_b32_e32 v41, v43
	v_ashrrev_i32_e32 v40, 31, v40
	v_xor_b32_e32 v197, s16, v197
	v_mul_u32_u24_e32 v37, 9, v37
	v_and_b32_e32 v39, v39, v42
	v_cmp_gt_i32_e64 s16, 0, v43
	v_ashrrev_i32_e32 v41, 31, v41
	v_xor_b32_e32 v40, vcc_lo, v40
	v_add_lshl_u32 v42, v37, v126, 2
	v_and_b32_e32 v39, v39, v197
	s_delay_alu instid0(VALU_DEP_4) | instskip(SKIP_3) | instid1(VALU_DEP_2)
	v_xor_b32_e32 v37, s16, v41
	ds_load_b32 v198, v42 offset:1056
	v_and_b32_e32 v39, v39, v40
	v_add_nc_u32_e32 v200, 0x420, v42
	; wave barrier
	v_and_b32_e32 v37, v39, v37
	s_delay_alu instid0(VALU_DEP_1) | instskip(SKIP_1) | instid1(VALU_DEP_2)
	v_mbcnt_lo_u32_b32 v199, v37, 0
	v_cmp_ne_u32_e64 s16, 0, v37
	v_cmp_eq_u32_e32 vcc_lo, 0, v199
	s_delay_alu instid0(VALU_DEP_2) | instskip(NEXT) | instid1(SALU_CYCLE_1)
	s_and_b32 s17, s16, vcc_lo
	s_and_saveexec_b32 s16, s17
	s_cbranch_execz .LBB1954_456
; %bb.455:                              ;   in Loop: Header=BB1954_392 Depth=2
	s_waitcnt lgkmcnt(0)
	v_bcnt_u32_b32 v37, v37, v198
	ds_store_b32 v200, v37
.LBB1954_456:                           ;   in Loop: Header=BB1954_392 Depth=2
	s_or_b32 exec_lo, exec_lo, s16
	v_cmp_gt_i16_e32 vcc_lo, 0, v38
	; wave barrier
	v_cndmask_b32_e64 v37, 0x7fff, 0, vcc_lo
	s_delay_alu instid0(VALU_DEP_1) | instskip(NEXT) | instid1(VALU_DEP_1)
	v_xor_b32_e32 v197, v37, v38
	v_cmp_ne_u16_e64 vcc_lo, 0x8000, v197
	v_cndmask_b32_e32 v37, 0x7fff, v197, vcc_lo
	s_delay_alu instid0(VALU_DEP_1) | instskip(NEXT) | instid1(VALU_DEP_1)
	v_and_b32_e32 v37, 0xffff, v37
	v_lshrrev_b32_e32 v37, s48, v37
	s_delay_alu instid0(VALU_DEP_1) | instskip(NEXT) | instid1(VALU_DEP_1)
	v_and_b32_e32 v37, s55, v37
	v_and_b32_e32 v38, 1, v37
	v_lshlrev_b32_e32 v39, 30, v37
	v_lshlrev_b32_e32 v40, 29, v37
	;; [unrolled: 1-line block ×4, first 2 shown]
	v_add_co_u32 v38, s16, v38, -1
	s_delay_alu instid0(VALU_DEP_1)
	v_cndmask_b32_e64 v42, 0, 1, s16
	v_not_b32_e32 v203, v39
	v_cmp_gt_i32_e64 s16, 0, v39
	v_not_b32_e32 v39, v40
	v_lshlrev_b32_e32 v201, 26, v37
	v_cmp_ne_u32_e32 vcc_lo, 0, v42
	v_ashrrev_i32_e32 v203, 31, v203
	v_lshlrev_b32_e32 v202, 25, v37
	v_ashrrev_i32_e32 v39, 31, v39
	v_lshlrev_b32_e32 v42, 24, v37
	v_xor_b32_e32 v38, vcc_lo, v38
	v_cmp_gt_i32_e32 vcc_lo, 0, v40
	v_not_b32_e32 v40, v41
	v_xor_b32_e32 v203, s16, v203
	v_cmp_gt_i32_e64 s16, 0, v41
	v_and_b32_e32 v38, exec_lo, v38
	v_not_b32_e32 v41, v43
	v_ashrrev_i32_e32 v40, 31, v40
	v_xor_b32_e32 v39, vcc_lo, v39
	v_cmp_gt_i32_e32 vcc_lo, 0, v43
	v_and_b32_e32 v38, v38, v203
	v_not_b32_e32 v43, v201
	v_ashrrev_i32_e32 v41, 31, v41
	v_xor_b32_e32 v40, s16, v40
	v_cmp_gt_i32_e64 s16, 0, v201
	v_and_b32_e32 v38, v38, v39
	v_not_b32_e32 v39, v202
	v_ashrrev_i32_e32 v43, 31, v43
	v_xor_b32_e32 v41, vcc_lo, v41
	v_cmp_gt_i32_e32 vcc_lo, 0, v202
	v_and_b32_e32 v38, v38, v40
	v_not_b32_e32 v40, v42
	v_ashrrev_i32_e32 v39, 31, v39
	v_xor_b32_e32 v43, s16, v43
	v_mul_u32_u24_e32 v37, 9, v37
	v_and_b32_e32 v38, v38, v41
	v_cmp_gt_i32_e64 s16, 0, v42
	v_ashrrev_i32_e32 v40, 31, v40
	v_xor_b32_e32 v39, vcc_lo, v39
	v_add_lshl_u32 v41, v37, v126, 2
	v_and_b32_e32 v38, v38, v43
	s_delay_alu instid0(VALU_DEP_4) | instskip(SKIP_3) | instid1(VALU_DEP_2)
	v_xor_b32_e32 v37, s16, v40
	ds_load_b32 v202, v41 offset:1056
	v_and_b32_e32 v38, v38, v39
	v_add_nc_u32_e32 v204, 0x420, v41
	; wave barrier
	v_and_b32_e32 v37, v38, v37
	s_delay_alu instid0(VALU_DEP_1) | instskip(SKIP_1) | instid1(VALU_DEP_2)
	v_mbcnt_lo_u32_b32 v203, v37, 0
	v_cmp_ne_u32_e64 s16, 0, v37
	v_cmp_eq_u32_e32 vcc_lo, 0, v203
	s_delay_alu instid0(VALU_DEP_2) | instskip(NEXT) | instid1(SALU_CYCLE_1)
	s_and_b32 s17, s16, vcc_lo
	s_and_saveexec_b32 s16, s17
	s_cbranch_execz .LBB1954_458
; %bb.457:                              ;   in Loop: Header=BB1954_392 Depth=2
	s_waitcnt lgkmcnt(0)
	v_bcnt_u32_b32 v37, v37, v202
	ds_store_b32 v204, v37
.LBB1954_458:                           ;   in Loop: Header=BB1954_392 Depth=2
	s_or_b32 exec_lo, exec_lo, s16
	v_cmp_gt_i16_e32 vcc_lo, 0, v36
	; wave barrier
	v_cndmask_b32_e64 v37, 0x7fff, 0, vcc_lo
	s_delay_alu instid0(VALU_DEP_1) | instskip(NEXT) | instid1(VALU_DEP_1)
	v_xor_b32_e32 v201, v37, v36
	v_cmp_ne_u16_e64 vcc_lo, 0x8000, v201
	v_cndmask_b32_e32 v36, 0x7fff, v201, vcc_lo
	s_delay_alu instid0(VALU_DEP_1) | instskip(NEXT) | instid1(VALU_DEP_1)
	v_and_b32_e32 v36, 0xffff, v36
	v_lshrrev_b32_e32 v36, s48, v36
	s_delay_alu instid0(VALU_DEP_1) | instskip(NEXT) | instid1(VALU_DEP_1)
	v_and_b32_e32 v36, s55, v36
	v_and_b32_e32 v37, 1, v36
	v_lshlrev_b32_e32 v38, 30, v36
	v_lshlrev_b32_e32 v39, 29, v36
	;; [unrolled: 1-line block ×4, first 2 shown]
	v_add_co_u32 v37, s16, v37, -1
	s_delay_alu instid0(VALU_DEP_1)
	v_cndmask_b32_e64 v41, 0, 1, s16
	v_not_b32_e32 v206, v38
	v_cmp_gt_i32_e64 s16, 0, v38
	v_not_b32_e32 v38, v39
	v_lshlrev_b32_e32 v43, 26, v36
	v_cmp_ne_u32_e32 vcc_lo, 0, v41
	v_ashrrev_i32_e32 v206, 31, v206
	v_lshlrev_b32_e32 v205, 25, v36
	v_ashrrev_i32_e32 v38, 31, v38
	v_lshlrev_b32_e32 v41, 24, v36
	v_xor_b32_e32 v37, vcc_lo, v37
	v_cmp_gt_i32_e32 vcc_lo, 0, v39
	v_not_b32_e32 v39, v40
	v_xor_b32_e32 v206, s16, v206
	v_cmp_gt_i32_e64 s16, 0, v40
	v_and_b32_e32 v37, exec_lo, v37
	v_not_b32_e32 v40, v42
	v_ashrrev_i32_e32 v39, 31, v39
	v_xor_b32_e32 v38, vcc_lo, v38
	v_cmp_gt_i32_e32 vcc_lo, 0, v42
	v_and_b32_e32 v37, v37, v206
	v_not_b32_e32 v42, v43
	v_ashrrev_i32_e32 v40, 31, v40
	v_xor_b32_e32 v39, s16, v39
	v_cmp_gt_i32_e64 s16, 0, v43
	v_and_b32_e32 v37, v37, v38
	v_not_b32_e32 v38, v205
	v_ashrrev_i32_e32 v42, 31, v42
	v_xor_b32_e32 v40, vcc_lo, v40
	v_cmp_gt_i32_e32 vcc_lo, 0, v205
	v_and_b32_e32 v37, v37, v39
	v_not_b32_e32 v39, v41
	v_ashrrev_i32_e32 v38, 31, v38
	v_xor_b32_e32 v42, s16, v42
	v_mul_u32_u24_e32 v36, 9, v36
	v_and_b32_e32 v37, v37, v40
	v_cmp_gt_i32_e64 s16, 0, v41
	v_ashrrev_i32_e32 v39, 31, v39
	v_xor_b32_e32 v38, vcc_lo, v38
	v_add_lshl_u32 v40, v36, v126, 2
	v_and_b32_e32 v37, v37, v42
	s_delay_alu instid0(VALU_DEP_4) | instskip(SKIP_3) | instid1(VALU_DEP_2)
	v_xor_b32_e32 v36, s16, v39
	ds_load_b32 v205, v40 offset:1056
	v_and_b32_e32 v37, v37, v38
	v_add_nc_u32_e32 v207, 0x420, v40
	; wave barrier
	v_and_b32_e32 v36, v37, v36
	s_delay_alu instid0(VALU_DEP_1) | instskip(SKIP_1) | instid1(VALU_DEP_2)
	v_mbcnt_lo_u32_b32 v206, v36, 0
	v_cmp_ne_u32_e64 s16, 0, v36
	v_cmp_eq_u32_e32 vcc_lo, 0, v206
	s_delay_alu instid0(VALU_DEP_2) | instskip(NEXT) | instid1(SALU_CYCLE_1)
	s_and_b32 s17, s16, vcc_lo
	s_and_saveexec_b32 s16, s17
	s_cbranch_execz .LBB1954_460
; %bb.459:                              ;   in Loop: Header=BB1954_392 Depth=2
	s_waitcnt lgkmcnt(0)
	v_bcnt_u32_b32 v36, v36, v205
	ds_store_b32 v207, v36
.LBB1954_460:                           ;   in Loop: Header=BB1954_392 Depth=2
	s_or_b32 exec_lo, exec_lo, s16
	; wave barrier
	s_waitcnt lgkmcnt(0)
	s_barrier
	buffer_gl0_inv
	ds_load_b32 v208, v69 offset:1056
	ds_load_2addr_b32 v[42:43], v71 offset0:1 offset1:2
	ds_load_2addr_b32 v[40:41], v71 offset0:3 offset1:4
	;; [unrolled: 1-line block ×4, first 2 shown]
	s_waitcnt lgkmcnt(3)
	v_add3_u32 v209, v42, v208, v43
	s_waitcnt lgkmcnt(2)
	s_delay_alu instid0(VALU_DEP_1) | instskip(SKIP_1) | instid1(VALU_DEP_1)
	v_add3_u32 v209, v209, v40, v41
	s_waitcnt lgkmcnt(1)
	v_add3_u32 v209, v209, v36, v37
	s_waitcnt lgkmcnt(0)
	s_delay_alu instid0(VALU_DEP_1) | instskip(NEXT) | instid1(VALU_DEP_1)
	v_add3_u32 v39, v209, v38, v39
	v_mov_b32_dpp v209, v39 row_shr:1 row_mask:0xf bank_mask:0xf
	s_delay_alu instid0(VALU_DEP_1) | instskip(NEXT) | instid1(VALU_DEP_1)
	v_cndmask_b32_e64 v209, v209, 0, s0
	v_add_nc_u32_e32 v39, v209, v39
	s_delay_alu instid0(VALU_DEP_1) | instskip(NEXT) | instid1(VALU_DEP_1)
	v_mov_b32_dpp v209, v39 row_shr:2 row_mask:0xf bank_mask:0xf
	v_cndmask_b32_e64 v209, 0, v209, s1
	s_delay_alu instid0(VALU_DEP_1) | instskip(NEXT) | instid1(VALU_DEP_1)
	v_add_nc_u32_e32 v39, v39, v209
	v_mov_b32_dpp v209, v39 row_shr:4 row_mask:0xf bank_mask:0xf
	s_delay_alu instid0(VALU_DEP_1) | instskip(NEXT) | instid1(VALU_DEP_1)
	v_cndmask_b32_e64 v209, 0, v209, s8
	v_add_nc_u32_e32 v39, v39, v209
	s_delay_alu instid0(VALU_DEP_1) | instskip(NEXT) | instid1(VALU_DEP_1)
	v_mov_b32_dpp v209, v39 row_shr:8 row_mask:0xf bank_mask:0xf
	v_cndmask_b32_e64 v209, 0, v209, s9
	s_delay_alu instid0(VALU_DEP_1) | instskip(SKIP_3) | instid1(VALU_DEP_1)
	v_add_nc_u32_e32 v39, v39, v209
	ds_swizzle_b32 v209, v39 offset:swizzle(BROADCAST,32,15)
	s_waitcnt lgkmcnt(0)
	v_cndmask_b32_e64 v209, v209, 0, s10
	v_add_nc_u32_e32 v39, v39, v209
	s_and_saveexec_b32 s16, s3
	s_cbranch_execz .LBB1954_462
; %bb.461:                              ;   in Loop: Header=BB1954_392 Depth=2
	ds_store_b32 v62, v39 offset:1024
.LBB1954_462:                           ;   in Loop: Header=BB1954_392 Depth=2
	s_or_b32 exec_lo, exec_lo, s16
	s_waitcnt lgkmcnt(0)
	s_barrier
	buffer_gl0_inv
	s_and_saveexec_b32 s16, s4
	s_cbranch_execz .LBB1954_464
; %bb.463:                              ;   in Loop: Header=BB1954_392 Depth=2
	ds_load_b32 v209, v72 offset:1024
	s_waitcnt lgkmcnt(0)
	v_mov_b32_dpp v210, v209 row_shr:1 row_mask:0xf bank_mask:0xf
	s_delay_alu instid0(VALU_DEP_1) | instskip(NEXT) | instid1(VALU_DEP_1)
	v_cndmask_b32_e64 v210, v210, 0, s12
	v_add_nc_u32_e32 v209, v210, v209
	s_delay_alu instid0(VALU_DEP_1) | instskip(NEXT) | instid1(VALU_DEP_1)
	v_mov_b32_dpp v210, v209 row_shr:2 row_mask:0xf bank_mask:0xf
	v_cndmask_b32_e64 v210, 0, v210, s13
	s_delay_alu instid0(VALU_DEP_1) | instskip(NEXT) | instid1(VALU_DEP_1)
	v_add_nc_u32_e32 v209, v209, v210
	v_mov_b32_dpp v210, v209 row_shr:4 row_mask:0xf bank_mask:0xf
	s_delay_alu instid0(VALU_DEP_1) | instskip(NEXT) | instid1(VALU_DEP_1)
	v_cndmask_b32_e64 v210, 0, v210, s14
	v_add_nc_u32_e32 v209, v209, v210
	ds_store_b32 v72, v209 offset:1024
.LBB1954_464:                           ;   in Loop: Header=BB1954_392 Depth=2
	s_or_b32 exec_lo, exec_lo, s16
	v_mov_b32_e32 v209, 0
	s_waitcnt lgkmcnt(0)
	s_barrier
	buffer_gl0_inv
	s_and_saveexec_b32 s16, s5
	s_cbranch_execz .LBB1954_466
; %bb.465:                              ;   in Loop: Header=BB1954_392 Depth=2
	ds_load_b32 v209, v62 offset:1020
.LBB1954_466:                           ;   in Loop: Header=BB1954_392 Depth=2
	s_or_b32 exec_lo, exec_lo, s16
	s_waitcnt lgkmcnt(0)
	v_add_nc_u32_e32 v39, v209, v39
	ds_bpermute_b32 v39, v105, v39
	s_waitcnt lgkmcnt(0)
	v_cndmask_b32_e64 v39, v39, v209, s11
	s_delay_alu instid0(VALU_DEP_1) | instskip(NEXT) | instid1(VALU_DEP_1)
	v_cndmask_b32_e64 v39, v39, 0, s6
	v_add_nc_u32_e32 v208, v39, v208
	s_delay_alu instid0(VALU_DEP_1) | instskip(NEXT) | instid1(VALU_DEP_1)
	v_add_nc_u32_e32 v42, v208, v42
	v_add_nc_u32_e32 v43, v42, v43
	s_delay_alu instid0(VALU_DEP_1) | instskip(NEXT) | instid1(VALU_DEP_1)
	v_add_nc_u32_e32 v40, v43, v40
	v_add_nc_u32_e32 v41, v40, v41
	s_delay_alu instid0(VALU_DEP_1) | instskip(NEXT) | instid1(VALU_DEP_1)
	v_add_nc_u32_e32 v36, v41, v36
	v_add_nc_u32_e32 v37, v36, v37
	s_delay_alu instid0(VALU_DEP_1)
	v_add_nc_u32_e32 v38, v37, v38
	ds_store_b32 v69, v39 offset:1056
	ds_store_2addr_b32 v71, v208, v42 offset0:1 offset1:2
	ds_store_2addr_b32 v71, v43, v40 offset0:3 offset1:4
	;; [unrolled: 1-line block ×4, first 2 shown]
	v_mov_b32_e32 v38, 0x1000
	s_waitcnt lgkmcnt(0)
	s_barrier
	buffer_gl0_inv
	ds_load_b32 v39, v152
	ds_load_b32 v40, v156
	;; [unrolled: 1-line block ×16, first 2 shown]
	ds_load_b32 v156, v69 offset:1056
	s_and_saveexec_b32 s16, s7
	s_cbranch_execz .LBB1954_468
; %bb.467:                              ;   in Loop: Header=BB1954_392 Depth=2
	ds_load_b32 v38, v73 offset:1056
.LBB1954_468:                           ;   in Loop: Header=BB1954_392 Depth=2
	s_or_b32 exec_lo, exec_lo, s16
	s_waitcnt lgkmcnt(0)
	s_barrier
	buffer_gl0_inv
	s_and_saveexec_b32 s16, s2
	s_cbranch_execz .LBB1954_470
; %bb.469:                              ;   in Loop: Header=BB1954_392 Depth=2
	ds_load_b32 v160, v44
	s_waitcnt lgkmcnt(0)
	v_sub_nc_u32_e32 v156, v160, v156
	ds_store_b32 v44, v156
.LBB1954_470:                           ;   in Loop: Header=BB1954_392 Depth=2
	s_or_b32 exec_lo, exec_lo, s16
	v_add_nc_u32_e32 v168, v148, v147
	v_add3_u32 v164, v151, v150, v39
	v_add3_u32 v160, v155, v154, v40
	;; [unrolled: 1-line block ×5, first 2 shown]
	v_lshlrev_b32_e32 v158, 1, v168
	v_add3_u32 v43, v199, v198, v36
	v_lshlrev_b32_e32 v36, 1, v164
	v_add3_u32 v152, v172, v171, v173
	v_add3_u32 v151, v175, v174, v176
	ds_store_b16 v158, v2 offset:1024
	v_lshlrev_b32_e32 v2, 1, v160
	ds_store_b16 v36, v146 offset:1024
	v_lshlrev_b32_e32 v36, 1, v154
	v_add3_u32 v150, v179, v178, v180
	v_add3_u32 v42, v203, v202, v37
	v_lshlrev_b32_e32 v37, 1, v156
	v_add3_u32 v148, v183, v182, v184
	v_lshlrev_b32_e32 v158, 1, v155
	v_add3_u32 v147, v187, v186, v188
	v_add3_u32 v40, v191, v190, v192
	ds_store_b16 v2, v149 offset:1024
	ds_store_b16 v37, v153 offset:1024
	ds_store_b16 v158, v157 offset:1024
	v_lshlrev_b32_e32 v2, 1, v152
	ds_store_b16 v36, v161 offset:1024
	v_lshlrev_b32_e32 v36, 1, v151
	v_lshlrev_b32_e32 v37, 1, v150
	v_lshlrev_b32_e32 v146, 1, v148
	v_add3_u32 v39, v195, v194, v196
	v_add3_u32 v41, v206, v205, v41
	ds_store_b16 v2, v165 offset:1024
	v_lshlrev_b32_e32 v2, 1, v147
	ds_store_b16 v36, v170 offset:1024
	ds_store_b16 v37, v169 offset:1024
	;; [unrolled: 1-line block ×3, first 2 shown]
	v_lshlrev_b32_e32 v36, 1, v40
	v_cmp_lt_u32_e32 vcc_lo, v1, v145
	v_lshlrev_b32_e32 v37, 1, v43
	ds_store_b16 v2, v181 offset:1024
	v_lshlrev_b32_e32 v2, 1, v39
	ds_store_b16 v36, v185 offset:1024
	v_lshlrev_b32_e32 v36, 1, v41
	v_lshlrev_b32_e32 v146, 1, v42
	ds_store_b16 v2, v189 offset:1024
	ds_store_b16 v37, v193 offset:1024
	;; [unrolled: 1-line block ×4, first 2 shown]
	s_waitcnt lgkmcnt(0)
	s_barrier
	buffer_gl0_inv
	s_and_saveexec_b32 s17, vcc_lo
	s_cbranch_execz .LBB1954_486
; %bb.471:                              ;   in Loop: Header=BB1954_392 Depth=2
	v_add_nc_u32_e32 v2, v72, v78
	ds_load_u16 v146, v2 offset:1024
	s_waitcnt lgkmcnt(0)
	v_cmp_ne_u16_e64 s16, 0x8000, v146
	s_delay_alu instid0(VALU_DEP_1) | instskip(SKIP_1) | instid1(VALU_DEP_2)
	v_cndmask_b32_e64 v2, 0x7fff, v146, s16
	v_cmp_gt_i16_e64 s16, 0, v146
	v_and_b32_e32 v2, 0xffff, v2
	s_delay_alu instid0(VALU_DEP_2) | instskip(NEXT) | instid1(VALU_DEP_2)
	v_cndmask_b32_e64 v149, 0x7fff, 0, s16
	v_lshrrev_b32_e32 v2, s48, v2
	s_delay_alu instid0(VALU_DEP_1) | instskip(NEXT) | instid1(VALU_DEP_1)
	v_and_b32_e32 v2, s55, v2
	v_lshlrev_b32_e32 v2, 2, v2
	ds_load_b32 v2, v2
	s_waitcnt lgkmcnt(0)
	v_add_nc_u32_e32 v2, v2, v1
	s_delay_alu instid0(VALU_DEP_1) | instskip(SKIP_1) | instid1(VALU_DEP_2)
	v_lshlrev_b64 v[36:37], 1, v[2:3]
	v_xor_b32_e32 v2, v149, v146
	v_add_co_u32 v36, s16, s40, v36
	s_delay_alu instid0(VALU_DEP_1) | instskip(SKIP_3) | instid1(VALU_DEP_1)
	v_add_co_ci_u32_e64 v37, s16, s41, v37, s16
	global_store_b16 v[36:37], v2, off
	s_or_b32 exec_lo, exec_lo, s17
	v_cmp_lt_u32_e64 s16, v45, v145
	s_and_saveexec_b32 s18, s16
	s_cbranch_execnz .LBB1954_487
.LBB1954_472:                           ;   in Loop: Header=BB1954_392 Depth=2
	s_or_b32 exec_lo, exec_lo, s18
	v_cmp_lt_u32_e64 s17, v46, v145
	s_delay_alu instid0(VALU_DEP_1)
	s_and_saveexec_b32 s19, s17
	s_cbranch_execz .LBB1954_488
.LBB1954_473:                           ;   in Loop: Header=BB1954_392 Depth=2
	ds_load_u16 v146, v79 offset:1024
	s_waitcnt lgkmcnt(0)
	v_cmp_ne_u16_e64 s18, 0x8000, v146
	s_delay_alu instid0(VALU_DEP_1) | instskip(SKIP_1) | instid1(VALU_DEP_2)
	v_cndmask_b32_e64 v2, 0x7fff, v146, s18
	v_cmp_gt_i16_e64 s18, 0, v146
	v_and_b32_e32 v2, 0xffff, v2
	s_delay_alu instid0(VALU_DEP_2) | instskip(NEXT) | instid1(VALU_DEP_2)
	v_cndmask_b32_e64 v149, 0x7fff, 0, s18
	v_lshrrev_b32_e32 v2, s48, v2
	s_delay_alu instid0(VALU_DEP_1) | instskip(NEXT) | instid1(VALU_DEP_1)
	v_and_b32_e32 v2, s55, v2
	v_lshlrev_b32_e32 v2, 2, v2
	ds_load_b32 v2, v2
	s_waitcnt lgkmcnt(0)
	v_add_nc_u32_e32 v2, v2, v46
	s_delay_alu instid0(VALU_DEP_1) | instskip(SKIP_1) | instid1(VALU_DEP_2)
	v_lshlrev_b64 v[36:37], 1, v[2:3]
	v_xor_b32_e32 v2, v149, v146
	v_add_co_u32 v36, s18, s40, v36
	s_delay_alu instid0(VALU_DEP_1) | instskip(SKIP_3) | instid1(VALU_DEP_1)
	v_add_co_ci_u32_e64 v37, s18, s41, v37, s18
	global_store_b16 v[36:37], v2, off
	s_or_b32 exec_lo, exec_lo, s19
	v_cmp_lt_u32_e64 s18, v47, v145
	s_and_saveexec_b32 s20, s18
	s_cbranch_execnz .LBB1954_489
.LBB1954_474:                           ;   in Loop: Header=BB1954_392 Depth=2
	s_or_b32 exec_lo, exec_lo, s20
	v_cmp_lt_u32_e64 s19, v51, v145
	s_delay_alu instid0(VALU_DEP_1)
	s_and_saveexec_b32 s21, s19
	s_cbranch_execz .LBB1954_490
.LBB1954_475:                           ;   in Loop: Header=BB1954_392 Depth=2
	ds_load_u16 v146, v79 offset:2048
	s_waitcnt lgkmcnt(0)
	v_cmp_ne_u16_e64 s20, 0x8000, v146
	s_delay_alu instid0(VALU_DEP_1) | instskip(SKIP_1) | instid1(VALU_DEP_2)
	v_cndmask_b32_e64 v2, 0x7fff, v146, s20
	v_cmp_gt_i16_e64 s20, 0, v146
	v_and_b32_e32 v2, 0xffff, v2
	s_delay_alu instid0(VALU_DEP_2) | instskip(NEXT) | instid1(VALU_DEP_2)
	v_cndmask_b32_e64 v149, 0x7fff, 0, s20
	v_lshrrev_b32_e32 v2, s48, v2
	s_delay_alu instid0(VALU_DEP_1) | instskip(NEXT) | instid1(VALU_DEP_1)
	v_and_b32_e32 v2, s55, v2
	v_lshlrev_b32_e32 v2, 2, v2
	ds_load_b32 v2, v2
	s_waitcnt lgkmcnt(0)
	v_add_nc_u32_e32 v2, v2, v51
	s_delay_alu instid0(VALU_DEP_1) | instskip(SKIP_1) | instid1(VALU_DEP_2)
	v_lshlrev_b64 v[36:37], 1, v[2:3]
	v_xor_b32_e32 v2, v149, v146
	v_add_co_u32 v36, s20, s40, v36
	s_delay_alu instid0(VALU_DEP_1) | instskip(SKIP_3) | instid1(VALU_DEP_1)
	v_add_co_ci_u32_e64 v37, s20, s41, v37, s20
	global_store_b16 v[36:37], v2, off
	s_or_b32 exec_lo, exec_lo, s21
	v_cmp_lt_u32_e64 s20, v52, v145
	s_and_saveexec_b32 s22, s20
	s_cbranch_execnz .LBB1954_491
.LBB1954_476:                           ;   in Loop: Header=BB1954_392 Depth=2
	s_or_b32 exec_lo, exec_lo, s22
	v_cmp_lt_u32_e64 s21, v53, v145
	s_delay_alu instid0(VALU_DEP_1)
	s_and_saveexec_b32 s23, s21
	s_cbranch_execz .LBB1954_492
.LBB1954_477:                           ;   in Loop: Header=BB1954_392 Depth=2
	ds_load_u16 v146, v79 offset:3072
	s_waitcnt lgkmcnt(0)
	v_cmp_ne_u16_e64 s22, 0x8000, v146
	s_delay_alu instid0(VALU_DEP_1) | instskip(SKIP_1) | instid1(VALU_DEP_2)
	v_cndmask_b32_e64 v2, 0x7fff, v146, s22
	v_cmp_gt_i16_e64 s22, 0, v146
	v_and_b32_e32 v2, 0xffff, v2
	s_delay_alu instid0(VALU_DEP_2) | instskip(NEXT) | instid1(VALU_DEP_2)
	v_cndmask_b32_e64 v149, 0x7fff, 0, s22
	v_lshrrev_b32_e32 v2, s48, v2
	s_delay_alu instid0(VALU_DEP_1) | instskip(NEXT) | instid1(VALU_DEP_1)
	v_and_b32_e32 v2, s55, v2
	v_lshlrev_b32_e32 v2, 2, v2
	ds_load_b32 v2, v2
	s_waitcnt lgkmcnt(0)
	v_add_nc_u32_e32 v2, v2, v53
	s_delay_alu instid0(VALU_DEP_1) | instskip(SKIP_1) | instid1(VALU_DEP_2)
	v_lshlrev_b64 v[36:37], 1, v[2:3]
	v_xor_b32_e32 v2, v149, v146
	v_add_co_u32 v36, s22, s40, v36
	s_delay_alu instid0(VALU_DEP_1) | instskip(SKIP_3) | instid1(VALU_DEP_1)
	v_add_co_ci_u32_e64 v37, s22, s41, v37, s22
	global_store_b16 v[36:37], v2, off
	s_or_b32 exec_lo, exec_lo, s23
	v_cmp_lt_u32_e64 s22, v54, v145
	s_and_saveexec_b32 s24, s22
	s_cbranch_execnz .LBB1954_493
.LBB1954_478:                           ;   in Loop: Header=BB1954_392 Depth=2
	s_or_b32 exec_lo, exec_lo, s24
	v_cmp_lt_u32_e64 s23, v55, v145
	s_delay_alu instid0(VALU_DEP_1)
	s_and_saveexec_b32 s25, s23
	s_cbranch_execz .LBB1954_494
.LBB1954_479:                           ;   in Loop: Header=BB1954_392 Depth=2
	ds_load_u16 v146, v79 offset:4096
	s_waitcnt lgkmcnt(0)
	v_cmp_ne_u16_e64 s24, 0x8000, v146
	s_delay_alu instid0(VALU_DEP_1) | instskip(SKIP_1) | instid1(VALU_DEP_2)
	v_cndmask_b32_e64 v2, 0x7fff, v146, s24
	v_cmp_gt_i16_e64 s24, 0, v146
	v_and_b32_e32 v2, 0xffff, v2
	s_delay_alu instid0(VALU_DEP_2) | instskip(NEXT) | instid1(VALU_DEP_2)
	v_cndmask_b32_e64 v149, 0x7fff, 0, s24
	v_lshrrev_b32_e32 v2, s48, v2
	s_delay_alu instid0(VALU_DEP_1) | instskip(NEXT) | instid1(VALU_DEP_1)
	v_and_b32_e32 v2, s55, v2
	v_lshlrev_b32_e32 v2, 2, v2
	ds_load_b32 v2, v2
	s_waitcnt lgkmcnt(0)
	v_add_nc_u32_e32 v2, v2, v55
	s_delay_alu instid0(VALU_DEP_1) | instskip(SKIP_1) | instid1(VALU_DEP_2)
	v_lshlrev_b64 v[36:37], 1, v[2:3]
	v_xor_b32_e32 v2, v149, v146
	v_add_co_u32 v36, s24, s40, v36
	s_delay_alu instid0(VALU_DEP_1) | instskip(SKIP_3) | instid1(VALU_DEP_1)
	v_add_co_ci_u32_e64 v37, s24, s41, v37, s24
	global_store_b16 v[36:37], v2, off
	s_or_b32 exec_lo, exec_lo, s25
	v_cmp_lt_u32_e64 s24, v56, v145
	s_and_saveexec_b32 s27, s24
	s_cbranch_execnz .LBB1954_495
.LBB1954_480:                           ;   in Loop: Header=BB1954_392 Depth=2
	s_or_b32 exec_lo, exec_lo, s27
	v_cmp_lt_u32_e64 s25, v57, v145
	s_delay_alu instid0(VALU_DEP_1)
	s_and_saveexec_b32 s28, s25
	s_cbranch_execz .LBB1954_496
.LBB1954_481:                           ;   in Loop: Header=BB1954_392 Depth=2
	ds_load_u16 v146, v79 offset:5120
	s_waitcnt lgkmcnt(0)
	v_cmp_ne_u16_e64 s27, 0x8000, v146
	s_delay_alu instid0(VALU_DEP_1) | instskip(SKIP_1) | instid1(VALU_DEP_2)
	v_cndmask_b32_e64 v2, 0x7fff, v146, s27
	v_cmp_gt_i16_e64 s27, 0, v146
	v_and_b32_e32 v2, 0xffff, v2
	s_delay_alu instid0(VALU_DEP_2) | instskip(NEXT) | instid1(VALU_DEP_2)
	v_cndmask_b32_e64 v149, 0x7fff, 0, s27
	v_lshrrev_b32_e32 v2, s48, v2
	s_delay_alu instid0(VALU_DEP_1) | instskip(NEXT) | instid1(VALU_DEP_1)
	v_and_b32_e32 v2, s55, v2
	v_lshlrev_b32_e32 v2, 2, v2
	ds_load_b32 v2, v2
	s_waitcnt lgkmcnt(0)
	v_add_nc_u32_e32 v2, v2, v57
	s_delay_alu instid0(VALU_DEP_1) | instskip(SKIP_1) | instid1(VALU_DEP_2)
	v_lshlrev_b64 v[36:37], 1, v[2:3]
	v_xor_b32_e32 v2, v149, v146
	v_add_co_u32 v36, s27, s40, v36
	s_delay_alu instid0(VALU_DEP_1) | instskip(SKIP_3) | instid1(VALU_DEP_1)
	v_add_co_ci_u32_e64 v37, s27, s41, v37, s27
	global_store_b16 v[36:37], v2, off
	s_or_b32 exec_lo, exec_lo, s28
	v_cmp_lt_u32_e64 s27, v58, v145
	s_and_saveexec_b32 s29, s27
	s_cbranch_execnz .LBB1954_497
.LBB1954_482:                           ;   in Loop: Header=BB1954_392 Depth=2
	s_or_b32 exec_lo, exec_lo, s29
	v_cmp_lt_u32_e64 s28, v59, v145
	s_delay_alu instid0(VALU_DEP_1)
	s_and_saveexec_b32 s30, s28
	s_cbranch_execz .LBB1954_498
.LBB1954_483:                           ;   in Loop: Header=BB1954_392 Depth=2
	ds_load_u16 v146, v79 offset:6144
	s_waitcnt lgkmcnt(0)
	v_cmp_ne_u16_e64 s29, 0x8000, v146
	s_delay_alu instid0(VALU_DEP_1) | instskip(SKIP_1) | instid1(VALU_DEP_2)
	v_cndmask_b32_e64 v2, 0x7fff, v146, s29
	v_cmp_gt_i16_e64 s29, 0, v146
	v_and_b32_e32 v2, 0xffff, v2
	s_delay_alu instid0(VALU_DEP_2) | instskip(NEXT) | instid1(VALU_DEP_2)
	v_cndmask_b32_e64 v149, 0x7fff, 0, s29
	v_lshrrev_b32_e32 v2, s48, v2
	s_delay_alu instid0(VALU_DEP_1) | instskip(NEXT) | instid1(VALU_DEP_1)
	v_and_b32_e32 v2, s55, v2
	v_lshlrev_b32_e32 v2, 2, v2
	ds_load_b32 v2, v2
	s_waitcnt lgkmcnt(0)
	v_add_nc_u32_e32 v2, v2, v59
	s_delay_alu instid0(VALU_DEP_1) | instskip(SKIP_1) | instid1(VALU_DEP_2)
	v_lshlrev_b64 v[36:37], 1, v[2:3]
	v_xor_b32_e32 v2, v149, v146
	v_add_co_u32 v36, s29, s40, v36
	s_delay_alu instid0(VALU_DEP_1) | instskip(SKIP_3) | instid1(VALU_DEP_1)
	v_add_co_ci_u32_e64 v37, s29, s41, v37, s29
	global_store_b16 v[36:37], v2, off
	s_or_b32 exec_lo, exec_lo, s30
	v_cmp_lt_u32_e64 s29, v60, v145
	s_and_saveexec_b32 s31, s29
	s_cbranch_execnz .LBB1954_499
.LBB1954_484:                           ;   in Loop: Header=BB1954_392 Depth=2
	s_or_b32 exec_lo, exec_lo, s31
	v_cmp_lt_u32_e64 s30, v61, v145
	s_delay_alu instid0(VALU_DEP_1)
	s_and_saveexec_b32 s33, s30
	s_cbranch_execz .LBB1954_500
.LBB1954_485:                           ;   in Loop: Header=BB1954_392 Depth=2
	ds_load_u16 v146, v79 offset:7168
	s_waitcnt lgkmcnt(0)
	v_cmp_ne_u16_e64 s31, 0x8000, v146
	s_delay_alu instid0(VALU_DEP_1) | instskip(SKIP_1) | instid1(VALU_DEP_2)
	v_cndmask_b32_e64 v2, 0x7fff, v146, s31
	v_cmp_gt_i16_e64 s31, 0, v146
	v_and_b32_e32 v2, 0xffff, v2
	s_delay_alu instid0(VALU_DEP_2) | instskip(NEXT) | instid1(VALU_DEP_2)
	v_cndmask_b32_e64 v149, 0x7fff, 0, s31
	v_lshrrev_b32_e32 v2, s48, v2
	s_delay_alu instid0(VALU_DEP_1) | instskip(NEXT) | instid1(VALU_DEP_1)
	v_and_b32_e32 v2, s55, v2
	v_lshlrev_b32_e32 v2, 2, v2
	ds_load_b32 v2, v2
	s_waitcnt lgkmcnt(0)
	v_add_nc_u32_e32 v2, v2, v61
	s_delay_alu instid0(VALU_DEP_1) | instskip(SKIP_1) | instid1(VALU_DEP_2)
	v_lshlrev_b64 v[36:37], 1, v[2:3]
	v_xor_b32_e32 v2, v149, v146
	v_add_co_u32 v36, s31, s40, v36
	s_delay_alu instid0(VALU_DEP_1) | instskip(SKIP_3) | instid1(VALU_DEP_1)
	v_add_co_ci_u32_e64 v37, s31, s41, v37, s31
	global_store_b16 v[36:37], v2, off
	s_or_b32 exec_lo, exec_lo, s33
	v_cmp_lt_u32_e64 s31, v63, v145
	s_and_saveexec_b32 s58, s31
	s_cbranch_execnz .LBB1954_501
	s_branch .LBB1954_502
.LBB1954_486:                           ;   in Loop: Header=BB1954_392 Depth=2
	s_or_b32 exec_lo, exec_lo, s17
	v_cmp_lt_u32_e64 s16, v45, v145
	s_delay_alu instid0(VALU_DEP_1)
	s_and_saveexec_b32 s18, s16
	s_cbranch_execz .LBB1954_472
.LBB1954_487:                           ;   in Loop: Header=BB1954_392 Depth=2
	ds_load_u16 v146, v79 offset:512
	s_waitcnt lgkmcnt(0)
	v_cmp_ne_u16_e64 s17, 0x8000, v146
	s_delay_alu instid0(VALU_DEP_1) | instskip(SKIP_1) | instid1(VALU_DEP_2)
	v_cndmask_b32_e64 v2, 0x7fff, v146, s17
	v_cmp_gt_i16_e64 s17, 0, v146
	v_and_b32_e32 v2, 0xffff, v2
	s_delay_alu instid0(VALU_DEP_2) | instskip(NEXT) | instid1(VALU_DEP_2)
	v_cndmask_b32_e64 v149, 0x7fff, 0, s17
	v_lshrrev_b32_e32 v2, s48, v2
	s_delay_alu instid0(VALU_DEP_1) | instskip(NEXT) | instid1(VALU_DEP_1)
	v_and_b32_e32 v2, s55, v2
	v_lshlrev_b32_e32 v2, 2, v2
	ds_load_b32 v2, v2
	s_waitcnt lgkmcnt(0)
	v_add_nc_u32_e32 v2, v2, v45
	s_delay_alu instid0(VALU_DEP_1) | instskip(SKIP_1) | instid1(VALU_DEP_2)
	v_lshlrev_b64 v[36:37], 1, v[2:3]
	v_xor_b32_e32 v2, v149, v146
	v_add_co_u32 v36, s17, s40, v36
	s_delay_alu instid0(VALU_DEP_1) | instskip(SKIP_3) | instid1(VALU_DEP_1)
	v_add_co_ci_u32_e64 v37, s17, s41, v37, s17
	global_store_b16 v[36:37], v2, off
	s_or_b32 exec_lo, exec_lo, s18
	v_cmp_lt_u32_e64 s17, v46, v145
	s_and_saveexec_b32 s19, s17
	s_cbranch_execnz .LBB1954_473
.LBB1954_488:                           ;   in Loop: Header=BB1954_392 Depth=2
	s_or_b32 exec_lo, exec_lo, s19
	v_cmp_lt_u32_e64 s18, v47, v145
	s_delay_alu instid0(VALU_DEP_1)
	s_and_saveexec_b32 s20, s18
	s_cbranch_execz .LBB1954_474
.LBB1954_489:                           ;   in Loop: Header=BB1954_392 Depth=2
	ds_load_u16 v146, v79 offset:1536
	s_waitcnt lgkmcnt(0)
	v_cmp_ne_u16_e64 s19, 0x8000, v146
	s_delay_alu instid0(VALU_DEP_1) | instskip(SKIP_1) | instid1(VALU_DEP_2)
	v_cndmask_b32_e64 v2, 0x7fff, v146, s19
	v_cmp_gt_i16_e64 s19, 0, v146
	v_and_b32_e32 v2, 0xffff, v2
	s_delay_alu instid0(VALU_DEP_2) | instskip(NEXT) | instid1(VALU_DEP_2)
	v_cndmask_b32_e64 v149, 0x7fff, 0, s19
	v_lshrrev_b32_e32 v2, s48, v2
	s_delay_alu instid0(VALU_DEP_1) | instskip(NEXT) | instid1(VALU_DEP_1)
	v_and_b32_e32 v2, s55, v2
	v_lshlrev_b32_e32 v2, 2, v2
	ds_load_b32 v2, v2
	s_waitcnt lgkmcnt(0)
	v_add_nc_u32_e32 v2, v2, v47
	s_delay_alu instid0(VALU_DEP_1) | instskip(SKIP_1) | instid1(VALU_DEP_2)
	v_lshlrev_b64 v[36:37], 1, v[2:3]
	v_xor_b32_e32 v2, v149, v146
	v_add_co_u32 v36, s19, s40, v36
	s_delay_alu instid0(VALU_DEP_1) | instskip(SKIP_3) | instid1(VALU_DEP_1)
	v_add_co_ci_u32_e64 v37, s19, s41, v37, s19
	global_store_b16 v[36:37], v2, off
	s_or_b32 exec_lo, exec_lo, s20
	v_cmp_lt_u32_e64 s19, v51, v145
	s_and_saveexec_b32 s21, s19
	s_cbranch_execnz .LBB1954_475
.LBB1954_490:                           ;   in Loop: Header=BB1954_392 Depth=2
	s_or_b32 exec_lo, exec_lo, s21
	v_cmp_lt_u32_e64 s20, v52, v145
	s_delay_alu instid0(VALU_DEP_1)
	s_and_saveexec_b32 s22, s20
	s_cbranch_execz .LBB1954_476
.LBB1954_491:                           ;   in Loop: Header=BB1954_392 Depth=2
	ds_load_u16 v146, v79 offset:2560
	s_waitcnt lgkmcnt(0)
	v_cmp_ne_u16_e64 s21, 0x8000, v146
	s_delay_alu instid0(VALU_DEP_1) | instskip(SKIP_1) | instid1(VALU_DEP_2)
	v_cndmask_b32_e64 v2, 0x7fff, v146, s21
	v_cmp_gt_i16_e64 s21, 0, v146
	v_and_b32_e32 v2, 0xffff, v2
	s_delay_alu instid0(VALU_DEP_2) | instskip(NEXT) | instid1(VALU_DEP_2)
	v_cndmask_b32_e64 v149, 0x7fff, 0, s21
	v_lshrrev_b32_e32 v2, s48, v2
	s_delay_alu instid0(VALU_DEP_1) | instskip(NEXT) | instid1(VALU_DEP_1)
	v_and_b32_e32 v2, s55, v2
	v_lshlrev_b32_e32 v2, 2, v2
	ds_load_b32 v2, v2
	s_waitcnt lgkmcnt(0)
	v_add_nc_u32_e32 v2, v2, v52
	s_delay_alu instid0(VALU_DEP_1) | instskip(SKIP_1) | instid1(VALU_DEP_2)
	v_lshlrev_b64 v[36:37], 1, v[2:3]
	v_xor_b32_e32 v2, v149, v146
	v_add_co_u32 v36, s21, s40, v36
	s_delay_alu instid0(VALU_DEP_1) | instskip(SKIP_3) | instid1(VALU_DEP_1)
	v_add_co_ci_u32_e64 v37, s21, s41, v37, s21
	global_store_b16 v[36:37], v2, off
	s_or_b32 exec_lo, exec_lo, s22
	v_cmp_lt_u32_e64 s21, v53, v145
	s_and_saveexec_b32 s23, s21
	s_cbranch_execnz .LBB1954_477
.LBB1954_492:                           ;   in Loop: Header=BB1954_392 Depth=2
	s_or_b32 exec_lo, exec_lo, s23
	v_cmp_lt_u32_e64 s22, v54, v145
	s_delay_alu instid0(VALU_DEP_1)
	s_and_saveexec_b32 s24, s22
	s_cbranch_execz .LBB1954_478
.LBB1954_493:                           ;   in Loop: Header=BB1954_392 Depth=2
	ds_load_u16 v146, v79 offset:3584
	s_waitcnt lgkmcnt(0)
	v_cmp_ne_u16_e64 s23, 0x8000, v146
	s_delay_alu instid0(VALU_DEP_1) | instskip(SKIP_1) | instid1(VALU_DEP_2)
	v_cndmask_b32_e64 v2, 0x7fff, v146, s23
	v_cmp_gt_i16_e64 s23, 0, v146
	v_and_b32_e32 v2, 0xffff, v2
	s_delay_alu instid0(VALU_DEP_2) | instskip(NEXT) | instid1(VALU_DEP_2)
	v_cndmask_b32_e64 v149, 0x7fff, 0, s23
	v_lshrrev_b32_e32 v2, s48, v2
	s_delay_alu instid0(VALU_DEP_1) | instskip(NEXT) | instid1(VALU_DEP_1)
	v_and_b32_e32 v2, s55, v2
	v_lshlrev_b32_e32 v2, 2, v2
	ds_load_b32 v2, v2
	s_waitcnt lgkmcnt(0)
	v_add_nc_u32_e32 v2, v2, v54
	s_delay_alu instid0(VALU_DEP_1) | instskip(SKIP_1) | instid1(VALU_DEP_2)
	v_lshlrev_b64 v[36:37], 1, v[2:3]
	v_xor_b32_e32 v2, v149, v146
	v_add_co_u32 v36, s23, s40, v36
	s_delay_alu instid0(VALU_DEP_1) | instskip(SKIP_3) | instid1(VALU_DEP_1)
	v_add_co_ci_u32_e64 v37, s23, s41, v37, s23
	global_store_b16 v[36:37], v2, off
	s_or_b32 exec_lo, exec_lo, s24
	v_cmp_lt_u32_e64 s23, v55, v145
	s_and_saveexec_b32 s25, s23
	s_cbranch_execnz .LBB1954_479
.LBB1954_494:                           ;   in Loop: Header=BB1954_392 Depth=2
	s_or_b32 exec_lo, exec_lo, s25
	v_cmp_lt_u32_e64 s24, v56, v145
	s_delay_alu instid0(VALU_DEP_1)
	s_and_saveexec_b32 s27, s24
	s_cbranch_execz .LBB1954_480
.LBB1954_495:                           ;   in Loop: Header=BB1954_392 Depth=2
	ds_load_u16 v146, v79 offset:4608
	s_waitcnt lgkmcnt(0)
	v_cmp_ne_u16_e64 s25, 0x8000, v146
	s_delay_alu instid0(VALU_DEP_1) | instskip(SKIP_1) | instid1(VALU_DEP_2)
	v_cndmask_b32_e64 v2, 0x7fff, v146, s25
	v_cmp_gt_i16_e64 s25, 0, v146
	v_and_b32_e32 v2, 0xffff, v2
	s_delay_alu instid0(VALU_DEP_2) | instskip(NEXT) | instid1(VALU_DEP_2)
	v_cndmask_b32_e64 v149, 0x7fff, 0, s25
	v_lshrrev_b32_e32 v2, s48, v2
	s_delay_alu instid0(VALU_DEP_1) | instskip(NEXT) | instid1(VALU_DEP_1)
	v_and_b32_e32 v2, s55, v2
	v_lshlrev_b32_e32 v2, 2, v2
	ds_load_b32 v2, v2
	s_waitcnt lgkmcnt(0)
	v_add_nc_u32_e32 v2, v2, v56
	s_delay_alu instid0(VALU_DEP_1) | instskip(SKIP_1) | instid1(VALU_DEP_2)
	v_lshlrev_b64 v[36:37], 1, v[2:3]
	v_xor_b32_e32 v2, v149, v146
	v_add_co_u32 v36, s25, s40, v36
	s_delay_alu instid0(VALU_DEP_1) | instskip(SKIP_3) | instid1(VALU_DEP_1)
	v_add_co_ci_u32_e64 v37, s25, s41, v37, s25
	global_store_b16 v[36:37], v2, off
	s_or_b32 exec_lo, exec_lo, s27
	v_cmp_lt_u32_e64 s25, v57, v145
	s_and_saveexec_b32 s28, s25
	s_cbranch_execnz .LBB1954_481
.LBB1954_496:                           ;   in Loop: Header=BB1954_392 Depth=2
	s_or_b32 exec_lo, exec_lo, s28
	v_cmp_lt_u32_e64 s27, v58, v145
	s_delay_alu instid0(VALU_DEP_1)
	s_and_saveexec_b32 s29, s27
	s_cbranch_execz .LBB1954_482
.LBB1954_497:                           ;   in Loop: Header=BB1954_392 Depth=2
	ds_load_u16 v146, v79 offset:5632
	s_waitcnt lgkmcnt(0)
	v_cmp_ne_u16_e64 s28, 0x8000, v146
	s_delay_alu instid0(VALU_DEP_1) | instskip(SKIP_1) | instid1(VALU_DEP_2)
	v_cndmask_b32_e64 v2, 0x7fff, v146, s28
	v_cmp_gt_i16_e64 s28, 0, v146
	v_and_b32_e32 v2, 0xffff, v2
	s_delay_alu instid0(VALU_DEP_2) | instskip(NEXT) | instid1(VALU_DEP_2)
	v_cndmask_b32_e64 v149, 0x7fff, 0, s28
	v_lshrrev_b32_e32 v2, s48, v2
	s_delay_alu instid0(VALU_DEP_1) | instskip(NEXT) | instid1(VALU_DEP_1)
	v_and_b32_e32 v2, s55, v2
	v_lshlrev_b32_e32 v2, 2, v2
	ds_load_b32 v2, v2
	s_waitcnt lgkmcnt(0)
	v_add_nc_u32_e32 v2, v2, v58
	s_delay_alu instid0(VALU_DEP_1) | instskip(SKIP_1) | instid1(VALU_DEP_2)
	v_lshlrev_b64 v[36:37], 1, v[2:3]
	v_xor_b32_e32 v2, v149, v146
	v_add_co_u32 v36, s28, s40, v36
	s_delay_alu instid0(VALU_DEP_1) | instskip(SKIP_3) | instid1(VALU_DEP_1)
	v_add_co_ci_u32_e64 v37, s28, s41, v37, s28
	global_store_b16 v[36:37], v2, off
	s_or_b32 exec_lo, exec_lo, s29
	v_cmp_lt_u32_e64 s28, v59, v145
	s_and_saveexec_b32 s30, s28
	s_cbranch_execnz .LBB1954_483
.LBB1954_498:                           ;   in Loop: Header=BB1954_392 Depth=2
	s_or_b32 exec_lo, exec_lo, s30
	v_cmp_lt_u32_e64 s29, v60, v145
	s_delay_alu instid0(VALU_DEP_1)
	s_and_saveexec_b32 s31, s29
	s_cbranch_execz .LBB1954_484
.LBB1954_499:                           ;   in Loop: Header=BB1954_392 Depth=2
	ds_load_u16 v146, v79 offset:6656
	s_waitcnt lgkmcnt(0)
	v_cmp_ne_u16_e64 s30, 0x8000, v146
	s_delay_alu instid0(VALU_DEP_1) | instskip(SKIP_1) | instid1(VALU_DEP_2)
	v_cndmask_b32_e64 v2, 0x7fff, v146, s30
	v_cmp_gt_i16_e64 s30, 0, v146
	v_and_b32_e32 v2, 0xffff, v2
	s_delay_alu instid0(VALU_DEP_2) | instskip(NEXT) | instid1(VALU_DEP_2)
	v_cndmask_b32_e64 v149, 0x7fff, 0, s30
	v_lshrrev_b32_e32 v2, s48, v2
	s_delay_alu instid0(VALU_DEP_1) | instskip(NEXT) | instid1(VALU_DEP_1)
	v_and_b32_e32 v2, s55, v2
	v_lshlrev_b32_e32 v2, 2, v2
	ds_load_b32 v2, v2
	s_waitcnt lgkmcnt(0)
	v_add_nc_u32_e32 v2, v2, v60
	s_delay_alu instid0(VALU_DEP_1) | instskip(SKIP_1) | instid1(VALU_DEP_2)
	v_lshlrev_b64 v[36:37], 1, v[2:3]
	v_xor_b32_e32 v2, v149, v146
	v_add_co_u32 v36, s30, s40, v36
	s_delay_alu instid0(VALU_DEP_1) | instskip(SKIP_3) | instid1(VALU_DEP_1)
	v_add_co_ci_u32_e64 v37, s30, s41, v37, s30
	global_store_b16 v[36:37], v2, off
	s_or_b32 exec_lo, exec_lo, s31
	v_cmp_lt_u32_e64 s30, v61, v145
	s_and_saveexec_b32 s33, s30
	s_cbranch_execnz .LBB1954_485
.LBB1954_500:                           ;   in Loop: Header=BB1954_392 Depth=2
	s_or_b32 exec_lo, exec_lo, s33
	v_cmp_lt_u32_e64 s31, v63, v145
	s_delay_alu instid0(VALU_DEP_1)
	s_and_saveexec_b32 s58, s31
	s_cbranch_execz .LBB1954_502
.LBB1954_501:                           ;   in Loop: Header=BB1954_392 Depth=2
	ds_load_u16 v146, v79 offset:7680
	s_waitcnt lgkmcnt(0)
	v_cmp_ne_u16_e64 s33, 0x8000, v146
	s_delay_alu instid0(VALU_DEP_1) | instskip(SKIP_1) | instid1(VALU_DEP_2)
	v_cndmask_b32_e64 v2, 0x7fff, v146, s33
	v_cmp_gt_i16_e64 s33, 0, v146
	v_and_b32_e32 v2, 0xffff, v2
	s_delay_alu instid0(VALU_DEP_2) | instskip(NEXT) | instid1(VALU_DEP_2)
	v_cndmask_b32_e64 v149, 0x7fff, 0, s33
	v_lshrrev_b32_e32 v2, s48, v2
	s_delay_alu instid0(VALU_DEP_1) | instskip(NEXT) | instid1(VALU_DEP_1)
	v_and_b32_e32 v2, s55, v2
	v_lshlrev_b32_e32 v2, 2, v2
	ds_load_b32 v2, v2
	s_waitcnt lgkmcnt(0)
	v_add_nc_u32_e32 v2, v2, v63
	s_delay_alu instid0(VALU_DEP_1) | instskip(SKIP_1) | instid1(VALU_DEP_2)
	v_lshlrev_b64 v[36:37], 1, v[2:3]
	v_xor_b32_e32 v2, v149, v146
	v_add_co_u32 v36, s33, s40, v36
	s_delay_alu instid0(VALU_DEP_1)
	v_add_co_ci_u32_e64 v37, s33, s41, v37, s33
	global_store_b16 v[36:37], v2, off
.LBB1954_502:                           ;   in Loop: Header=BB1954_392 Depth=2
	s_or_b32 exec_lo, exec_lo, s58
	s_lshl_b64 s[58:59], s[34:35], 3
	s_delay_alu instid0(SALU_CYCLE_1) | instskip(NEXT) | instid1(VALU_DEP_1)
	v_add_co_u32 v36, s33, v107, s58
	v_add_co_ci_u32_e64 v37, s33, s59, v108, s33
	v_cmp_lt_u32_e64 s33, v106, v145
	s_delay_alu instid0(VALU_DEP_1) | instskip(NEXT) | instid1(SALU_CYCLE_1)
	s_and_saveexec_b32 s34, s33
	s_xor_b32 s33, exec_lo, s34
	s_cbranch_execz .LBB1954_534
; %bb.503:                              ;   in Loop: Header=BB1954_392 Depth=2
	global_load_b64 v[34:35], v[36:37], off
	s_or_b32 exec_lo, exec_lo, s33
	s_delay_alu instid0(SALU_CYCLE_1)
	s_mov_b32 s34, exec_lo
	v_cmpx_lt_u32_e64 v109, v145
	s_cbranch_execnz .LBB1954_535
.LBB1954_504:                           ;   in Loop: Header=BB1954_392 Depth=2
	s_or_b32 exec_lo, exec_lo, s34
	s_delay_alu instid0(SALU_CYCLE_1)
	s_mov_b32 s34, exec_lo
	v_cmpx_lt_u32_e64 v110, v145
	s_cbranch_execz .LBB1954_536
.LBB1954_505:                           ;   in Loop: Header=BB1954_392 Depth=2
	global_load_b64 v[30:31], v[36:37], off offset:512
	s_or_b32 exec_lo, exec_lo, s34
	s_delay_alu instid0(SALU_CYCLE_1)
	s_mov_b32 s34, exec_lo
	v_cmpx_lt_u32_e64 v111, v145
	s_cbranch_execnz .LBB1954_537
.LBB1954_506:                           ;   in Loop: Header=BB1954_392 Depth=2
	s_or_b32 exec_lo, exec_lo, s34
	s_delay_alu instid0(SALU_CYCLE_1)
	s_mov_b32 s34, exec_lo
	v_cmpx_lt_u32_e64 v112, v145
	s_cbranch_execz .LBB1954_538
.LBB1954_507:                           ;   in Loop: Header=BB1954_392 Depth=2
	global_load_b64 v[26:27], v[36:37], off offset:1024
	s_or_b32 exec_lo, exec_lo, s34
	s_delay_alu instid0(SALU_CYCLE_1)
	s_mov_b32 s34, exec_lo
	v_cmpx_lt_u32_e64 v113, v145
	s_cbranch_execnz .LBB1954_539
.LBB1954_508:                           ;   in Loop: Header=BB1954_392 Depth=2
	s_or_b32 exec_lo, exec_lo, s34
	s_delay_alu instid0(SALU_CYCLE_1)
	s_mov_b32 s34, exec_lo
	v_cmpx_lt_u32_e64 v114, v145
	s_cbranch_execz .LBB1954_540
.LBB1954_509:                           ;   in Loop: Header=BB1954_392 Depth=2
	global_load_b64 v[22:23], v[36:37], off offset:1536
	s_or_b32 exec_lo, exec_lo, s34
	s_delay_alu instid0(SALU_CYCLE_1)
	s_mov_b32 s34, exec_lo
	v_cmpx_lt_u32_e64 v115, v145
	s_cbranch_execnz .LBB1954_541
.LBB1954_510:                           ;   in Loop: Header=BB1954_392 Depth=2
	s_or_b32 exec_lo, exec_lo, s34
	s_delay_alu instid0(SALU_CYCLE_1)
	s_mov_b32 s34, exec_lo
	v_cmpx_lt_u32_e64 v116, v145
	s_cbranch_execz .LBB1954_542
.LBB1954_511:                           ;   in Loop: Header=BB1954_392 Depth=2
	global_load_b64 v[18:19], v[36:37], off offset:2048
	s_or_b32 exec_lo, exec_lo, s34
	s_delay_alu instid0(SALU_CYCLE_1)
	s_mov_b32 s34, exec_lo
	v_cmpx_lt_u32_e64 v117, v145
	s_cbranch_execnz .LBB1954_543
.LBB1954_512:                           ;   in Loop: Header=BB1954_392 Depth=2
	s_or_b32 exec_lo, exec_lo, s34
	s_delay_alu instid0(SALU_CYCLE_1)
	s_mov_b32 s34, exec_lo
	v_cmpx_lt_u32_e64 v118, v145
	s_cbranch_execz .LBB1954_544
.LBB1954_513:                           ;   in Loop: Header=BB1954_392 Depth=2
	global_load_b64 v[14:15], v[36:37], off offset:2560
	s_or_b32 exec_lo, exec_lo, s34
	s_delay_alu instid0(SALU_CYCLE_1)
	s_mov_b32 s34, exec_lo
	v_cmpx_lt_u32_e64 v119, v145
	s_cbranch_execnz .LBB1954_545
.LBB1954_514:                           ;   in Loop: Header=BB1954_392 Depth=2
	s_or_b32 exec_lo, exec_lo, s34
	s_delay_alu instid0(SALU_CYCLE_1)
	s_mov_b32 s34, exec_lo
	v_cmpx_lt_u32_e64 v120, v145
	s_cbranch_execz .LBB1954_546
.LBB1954_515:                           ;   in Loop: Header=BB1954_392 Depth=2
	global_load_b64 v[10:11], v[36:37], off offset:3072
	s_or_b32 exec_lo, exec_lo, s34
	s_delay_alu instid0(SALU_CYCLE_1)
	s_mov_b32 s34, exec_lo
	v_cmpx_lt_u32_e64 v121, v145
	s_cbranch_execnz .LBB1954_547
.LBB1954_516:                           ;   in Loop: Header=BB1954_392 Depth=2
	s_or_b32 exec_lo, exec_lo, s34
	s_delay_alu instid0(SALU_CYCLE_1)
	s_mov_b32 s34, exec_lo
	v_cmpx_lt_u32_e64 v122, v145
	s_cbranch_execz .LBB1954_548
.LBB1954_517:                           ;   in Loop: Header=BB1954_392 Depth=2
	global_load_b64 v[6:7], v[36:37], off offset:3584
	s_or_b32 exec_lo, exec_lo, s34
	s_delay_alu instid0(SALU_CYCLE_1)
	s_mov_b32 s34, exec_lo
	v_cmpx_lt_u32_e64 v123, v145
	s_cbranch_execnz .LBB1954_549
.LBB1954_518:                           ;   in Loop: Header=BB1954_392 Depth=2
	s_or_b32 exec_lo, exec_lo, s34
	s_and_saveexec_b32 s34, vcc_lo
	s_cbranch_execz .LBB1954_550
.LBB1954_519:                           ;   in Loop: Header=BB1954_392 Depth=2
	v_add_nc_u32_e32 v2, v72, v78
	ds_load_u16 v2, v2 offset:1024
	s_waitcnt lgkmcnt(0)
	v_cmp_ne_u16_e64 s33, 0x8000, v2
	s_delay_alu instid0(VALU_DEP_1) | instskip(NEXT) | instid1(VALU_DEP_1)
	v_cndmask_b32_e64 v2, 0x7fff, v2, s33
	v_and_b32_e32 v2, 0xffff, v2
	s_delay_alu instid0(VALU_DEP_1) | instskip(NEXT) | instid1(VALU_DEP_1)
	v_lshrrev_b32_e32 v2, s48, v2
	v_and_b32_e32 v144, s55, v2
	s_or_b32 exec_lo, exec_lo, s34
	s_and_saveexec_b32 s34, s16
	s_cbranch_execnz .LBB1954_551
.LBB1954_520:                           ;   in Loop: Header=BB1954_392 Depth=2
	s_or_b32 exec_lo, exec_lo, s34
	s_and_saveexec_b32 s34, s17
	s_cbranch_execz .LBB1954_552
.LBB1954_521:                           ;   in Loop: Header=BB1954_392 Depth=2
	ds_load_u16 v2, v79 offset:1024
	s_waitcnt lgkmcnt(0)
	v_cmp_ne_u16_e64 s33, 0x8000, v2
	s_delay_alu instid0(VALU_DEP_1) | instskip(NEXT) | instid1(VALU_DEP_1)
	v_cndmask_b32_e64 v2, 0x7fff, v2, s33
	v_and_b32_e32 v2, 0xffff, v2
	s_delay_alu instid0(VALU_DEP_1) | instskip(NEXT) | instid1(VALU_DEP_1)
	v_lshrrev_b32_e32 v2, s48, v2
	v_and_b32_e32 v142, s55, v2
	s_or_b32 exec_lo, exec_lo, s34
	s_and_saveexec_b32 s34, s18
	s_cbranch_execnz .LBB1954_553
.LBB1954_522:                           ;   in Loop: Header=BB1954_392 Depth=2
	s_or_b32 exec_lo, exec_lo, s34
	s_and_saveexec_b32 s34, s19
	s_cbranch_execz .LBB1954_554
.LBB1954_523:                           ;   in Loop: Header=BB1954_392 Depth=2
	ds_load_u16 v2, v79 offset:2048
	s_waitcnt lgkmcnt(0)
	v_cmp_ne_u16_e64 s33, 0x8000, v2
	s_delay_alu instid0(VALU_DEP_1) | instskip(NEXT) | instid1(VALU_DEP_1)
	v_cndmask_b32_e64 v2, 0x7fff, v2, s33
	v_and_b32_e32 v2, 0xffff, v2
	s_delay_alu instid0(VALU_DEP_1) | instskip(NEXT) | instid1(VALU_DEP_1)
	v_lshrrev_b32_e32 v2, s48, v2
	v_and_b32_e32 v140, s55, v2
	s_or_b32 exec_lo, exec_lo, s34
	s_and_saveexec_b32 s34, s20
	s_cbranch_execnz .LBB1954_555
.LBB1954_524:                           ;   in Loop: Header=BB1954_392 Depth=2
	s_or_b32 exec_lo, exec_lo, s34
	s_and_saveexec_b32 s34, s21
	s_cbranch_execz .LBB1954_556
.LBB1954_525:                           ;   in Loop: Header=BB1954_392 Depth=2
	ds_load_u16 v2, v79 offset:3072
	s_waitcnt lgkmcnt(0)
	v_cmp_ne_u16_e64 s33, 0x8000, v2
	s_delay_alu instid0(VALU_DEP_1) | instskip(NEXT) | instid1(VALU_DEP_1)
	v_cndmask_b32_e64 v2, 0x7fff, v2, s33
	v_and_b32_e32 v2, 0xffff, v2
	s_delay_alu instid0(VALU_DEP_1) | instskip(NEXT) | instid1(VALU_DEP_1)
	v_lshrrev_b32_e32 v2, s48, v2
	v_and_b32_e32 v138, s55, v2
	s_or_b32 exec_lo, exec_lo, s34
	s_and_saveexec_b32 s34, s22
	s_cbranch_execnz .LBB1954_557
.LBB1954_526:                           ;   in Loop: Header=BB1954_392 Depth=2
	s_or_b32 exec_lo, exec_lo, s34
	s_and_saveexec_b32 s34, s23
	s_cbranch_execz .LBB1954_558
.LBB1954_527:                           ;   in Loop: Header=BB1954_392 Depth=2
	ds_load_u16 v2, v79 offset:4096
	s_waitcnt lgkmcnt(0)
	v_cmp_ne_u16_e64 s33, 0x8000, v2
	s_delay_alu instid0(VALU_DEP_1) | instskip(NEXT) | instid1(VALU_DEP_1)
	v_cndmask_b32_e64 v2, 0x7fff, v2, s33
	v_and_b32_e32 v2, 0xffff, v2
	s_delay_alu instid0(VALU_DEP_1) | instskip(NEXT) | instid1(VALU_DEP_1)
	v_lshrrev_b32_e32 v2, s48, v2
	v_and_b32_e32 v136, s55, v2
	s_or_b32 exec_lo, exec_lo, s34
	s_and_saveexec_b32 s34, s24
	s_cbranch_execnz .LBB1954_559
.LBB1954_528:                           ;   in Loop: Header=BB1954_392 Depth=2
	s_or_b32 exec_lo, exec_lo, s34
	s_and_saveexec_b32 s34, s25
	s_cbranch_execz .LBB1954_560
.LBB1954_529:                           ;   in Loop: Header=BB1954_392 Depth=2
	ds_load_u16 v2, v79 offset:5120
	s_waitcnt lgkmcnt(0)
	v_cmp_ne_u16_e64 s33, 0x8000, v2
	s_delay_alu instid0(VALU_DEP_1) | instskip(NEXT) | instid1(VALU_DEP_1)
	v_cndmask_b32_e64 v2, 0x7fff, v2, s33
	v_and_b32_e32 v2, 0xffff, v2
	s_delay_alu instid0(VALU_DEP_1) | instskip(NEXT) | instid1(VALU_DEP_1)
	v_lshrrev_b32_e32 v2, s48, v2
	v_and_b32_e32 v134, s55, v2
	s_or_b32 exec_lo, exec_lo, s34
	s_and_saveexec_b32 s34, s27
	s_cbranch_execnz .LBB1954_561
.LBB1954_530:                           ;   in Loop: Header=BB1954_392 Depth=2
	s_or_b32 exec_lo, exec_lo, s34
	s_and_saveexec_b32 s34, s28
	s_cbranch_execz .LBB1954_562
.LBB1954_531:                           ;   in Loop: Header=BB1954_392 Depth=2
	ds_load_u16 v2, v79 offset:6144
	s_waitcnt lgkmcnt(0)
	v_cmp_ne_u16_e64 s33, 0x8000, v2
	s_delay_alu instid0(VALU_DEP_1) | instskip(NEXT) | instid1(VALU_DEP_1)
	v_cndmask_b32_e64 v2, 0x7fff, v2, s33
	v_and_b32_e32 v2, 0xffff, v2
	s_delay_alu instid0(VALU_DEP_1) | instskip(NEXT) | instid1(VALU_DEP_1)
	v_lshrrev_b32_e32 v2, s48, v2
	v_and_b32_e32 v132, s55, v2
	s_or_b32 exec_lo, exec_lo, s34
	s_and_saveexec_b32 s34, s29
	s_cbranch_execnz .LBB1954_563
.LBB1954_532:                           ;   in Loop: Header=BB1954_392 Depth=2
	s_or_b32 exec_lo, exec_lo, s34
	s_and_saveexec_b32 s34, s30
	s_cbranch_execz .LBB1954_564
.LBB1954_533:                           ;   in Loop: Header=BB1954_392 Depth=2
	ds_load_u16 v2, v79 offset:7168
	s_waitcnt lgkmcnt(0)
	v_cmp_ne_u16_e64 s33, 0x8000, v2
	s_delay_alu instid0(VALU_DEP_1) | instskip(NEXT) | instid1(VALU_DEP_1)
	v_cndmask_b32_e64 v2, 0x7fff, v2, s33
	v_and_b32_e32 v2, 0xffff, v2
	s_delay_alu instid0(VALU_DEP_1) | instskip(NEXT) | instid1(VALU_DEP_1)
	v_lshrrev_b32_e32 v2, s48, v2
	v_and_b32_e32 v130, s55, v2
	s_or_b32 exec_lo, exec_lo, s34
	s_and_saveexec_b32 s34, s31
	s_cbranch_execnz .LBB1954_565
	s_branch .LBB1954_566
.LBB1954_534:                           ;   in Loop: Header=BB1954_392 Depth=2
	s_or_b32 exec_lo, exec_lo, s33
	s_delay_alu instid0(SALU_CYCLE_1)
	s_mov_b32 s34, exec_lo
	v_cmpx_lt_u32_e64 v109, v145
	s_cbranch_execz .LBB1954_504
.LBB1954_535:                           ;   in Loop: Header=BB1954_392 Depth=2
	global_load_b64 v[32:33], v[36:37], off offset:256
	s_or_b32 exec_lo, exec_lo, s34
	s_delay_alu instid0(SALU_CYCLE_1)
	s_mov_b32 s34, exec_lo
	v_cmpx_lt_u32_e64 v110, v145
	s_cbranch_execnz .LBB1954_505
.LBB1954_536:                           ;   in Loop: Header=BB1954_392 Depth=2
	s_or_b32 exec_lo, exec_lo, s34
	s_delay_alu instid0(SALU_CYCLE_1)
	s_mov_b32 s34, exec_lo
	v_cmpx_lt_u32_e64 v111, v145
	s_cbranch_execz .LBB1954_506
.LBB1954_537:                           ;   in Loop: Header=BB1954_392 Depth=2
	global_load_b64 v[28:29], v[36:37], off offset:768
	s_or_b32 exec_lo, exec_lo, s34
	s_delay_alu instid0(SALU_CYCLE_1)
	s_mov_b32 s34, exec_lo
	v_cmpx_lt_u32_e64 v112, v145
	s_cbranch_execnz .LBB1954_507
.LBB1954_538:                           ;   in Loop: Header=BB1954_392 Depth=2
	s_or_b32 exec_lo, exec_lo, s34
	s_delay_alu instid0(SALU_CYCLE_1)
	s_mov_b32 s34, exec_lo
	v_cmpx_lt_u32_e64 v113, v145
	s_cbranch_execz .LBB1954_508
.LBB1954_539:                           ;   in Loop: Header=BB1954_392 Depth=2
	global_load_b64 v[24:25], v[36:37], off offset:1280
	s_or_b32 exec_lo, exec_lo, s34
	s_delay_alu instid0(SALU_CYCLE_1)
	s_mov_b32 s34, exec_lo
	v_cmpx_lt_u32_e64 v114, v145
	s_cbranch_execnz .LBB1954_509
.LBB1954_540:                           ;   in Loop: Header=BB1954_392 Depth=2
	s_or_b32 exec_lo, exec_lo, s34
	s_delay_alu instid0(SALU_CYCLE_1)
	s_mov_b32 s34, exec_lo
	v_cmpx_lt_u32_e64 v115, v145
	s_cbranch_execz .LBB1954_510
.LBB1954_541:                           ;   in Loop: Header=BB1954_392 Depth=2
	global_load_b64 v[20:21], v[36:37], off offset:1792
	s_or_b32 exec_lo, exec_lo, s34
	s_delay_alu instid0(SALU_CYCLE_1)
	s_mov_b32 s34, exec_lo
	v_cmpx_lt_u32_e64 v116, v145
	s_cbranch_execnz .LBB1954_511
.LBB1954_542:                           ;   in Loop: Header=BB1954_392 Depth=2
	s_or_b32 exec_lo, exec_lo, s34
	s_delay_alu instid0(SALU_CYCLE_1)
	s_mov_b32 s34, exec_lo
	v_cmpx_lt_u32_e64 v117, v145
	s_cbranch_execz .LBB1954_512
.LBB1954_543:                           ;   in Loop: Header=BB1954_392 Depth=2
	global_load_b64 v[16:17], v[36:37], off offset:2304
	s_or_b32 exec_lo, exec_lo, s34
	s_delay_alu instid0(SALU_CYCLE_1)
	s_mov_b32 s34, exec_lo
	v_cmpx_lt_u32_e64 v118, v145
	s_cbranch_execnz .LBB1954_513
.LBB1954_544:                           ;   in Loop: Header=BB1954_392 Depth=2
	s_or_b32 exec_lo, exec_lo, s34
	s_delay_alu instid0(SALU_CYCLE_1)
	s_mov_b32 s34, exec_lo
	v_cmpx_lt_u32_e64 v119, v145
	s_cbranch_execz .LBB1954_514
.LBB1954_545:                           ;   in Loop: Header=BB1954_392 Depth=2
	global_load_b64 v[12:13], v[36:37], off offset:2816
	s_or_b32 exec_lo, exec_lo, s34
	s_delay_alu instid0(SALU_CYCLE_1)
	s_mov_b32 s34, exec_lo
	v_cmpx_lt_u32_e64 v120, v145
	s_cbranch_execnz .LBB1954_515
.LBB1954_546:                           ;   in Loop: Header=BB1954_392 Depth=2
	s_or_b32 exec_lo, exec_lo, s34
	s_delay_alu instid0(SALU_CYCLE_1)
	s_mov_b32 s34, exec_lo
	v_cmpx_lt_u32_e64 v121, v145
	s_cbranch_execz .LBB1954_516
.LBB1954_547:                           ;   in Loop: Header=BB1954_392 Depth=2
	global_load_b64 v[8:9], v[36:37], off offset:3328
	s_or_b32 exec_lo, exec_lo, s34
	s_delay_alu instid0(SALU_CYCLE_1)
	s_mov_b32 s34, exec_lo
	v_cmpx_lt_u32_e64 v122, v145
	s_cbranch_execnz .LBB1954_517
.LBB1954_548:                           ;   in Loop: Header=BB1954_392 Depth=2
	s_or_b32 exec_lo, exec_lo, s34
	s_delay_alu instid0(SALU_CYCLE_1)
	s_mov_b32 s34, exec_lo
	v_cmpx_lt_u32_e64 v123, v145
	s_cbranch_execz .LBB1954_518
.LBB1954_549:                           ;   in Loop: Header=BB1954_392 Depth=2
	global_load_b64 v[4:5], v[36:37], off offset:3840
	s_or_b32 exec_lo, exec_lo, s34
	s_and_saveexec_b32 s34, vcc_lo
	s_cbranch_execnz .LBB1954_519
.LBB1954_550:                           ;   in Loop: Header=BB1954_392 Depth=2
	s_or_b32 exec_lo, exec_lo, s34
	s_and_saveexec_b32 s34, s16
	s_cbranch_execz .LBB1954_520
.LBB1954_551:                           ;   in Loop: Header=BB1954_392 Depth=2
	ds_load_u16 v2, v79 offset:512
	s_waitcnt lgkmcnt(0)
	v_cmp_ne_u16_e64 s33, 0x8000, v2
	s_delay_alu instid0(VALU_DEP_1) | instskip(NEXT) | instid1(VALU_DEP_1)
	v_cndmask_b32_e64 v2, 0x7fff, v2, s33
	v_and_b32_e32 v2, 0xffff, v2
	s_delay_alu instid0(VALU_DEP_1) | instskip(NEXT) | instid1(VALU_DEP_1)
	v_lshrrev_b32_e32 v2, s48, v2
	v_and_b32_e32 v143, s55, v2
	s_or_b32 exec_lo, exec_lo, s34
	s_and_saveexec_b32 s34, s17
	s_cbranch_execnz .LBB1954_521
.LBB1954_552:                           ;   in Loop: Header=BB1954_392 Depth=2
	s_or_b32 exec_lo, exec_lo, s34
	s_and_saveexec_b32 s34, s18
	s_cbranch_execz .LBB1954_522
.LBB1954_553:                           ;   in Loop: Header=BB1954_392 Depth=2
	ds_load_u16 v2, v79 offset:1536
	s_waitcnt lgkmcnt(0)
	v_cmp_ne_u16_e64 s33, 0x8000, v2
	s_delay_alu instid0(VALU_DEP_1) | instskip(NEXT) | instid1(VALU_DEP_1)
	v_cndmask_b32_e64 v2, 0x7fff, v2, s33
	v_and_b32_e32 v2, 0xffff, v2
	s_delay_alu instid0(VALU_DEP_1) | instskip(NEXT) | instid1(VALU_DEP_1)
	v_lshrrev_b32_e32 v2, s48, v2
	v_and_b32_e32 v141, s55, v2
	s_or_b32 exec_lo, exec_lo, s34
	s_and_saveexec_b32 s34, s19
	s_cbranch_execnz .LBB1954_523
.LBB1954_554:                           ;   in Loop: Header=BB1954_392 Depth=2
	s_or_b32 exec_lo, exec_lo, s34
	s_and_saveexec_b32 s34, s20
	s_cbranch_execz .LBB1954_524
.LBB1954_555:                           ;   in Loop: Header=BB1954_392 Depth=2
	ds_load_u16 v2, v79 offset:2560
	s_waitcnt lgkmcnt(0)
	v_cmp_ne_u16_e64 s33, 0x8000, v2
	s_delay_alu instid0(VALU_DEP_1) | instskip(NEXT) | instid1(VALU_DEP_1)
	v_cndmask_b32_e64 v2, 0x7fff, v2, s33
	v_and_b32_e32 v2, 0xffff, v2
	s_delay_alu instid0(VALU_DEP_1) | instskip(NEXT) | instid1(VALU_DEP_1)
	v_lshrrev_b32_e32 v2, s48, v2
	v_and_b32_e32 v139, s55, v2
	s_or_b32 exec_lo, exec_lo, s34
	s_and_saveexec_b32 s34, s21
	s_cbranch_execnz .LBB1954_525
.LBB1954_556:                           ;   in Loop: Header=BB1954_392 Depth=2
	s_or_b32 exec_lo, exec_lo, s34
	s_and_saveexec_b32 s34, s22
	s_cbranch_execz .LBB1954_526
.LBB1954_557:                           ;   in Loop: Header=BB1954_392 Depth=2
	ds_load_u16 v2, v79 offset:3584
	s_waitcnt lgkmcnt(0)
	v_cmp_ne_u16_e64 s33, 0x8000, v2
	s_delay_alu instid0(VALU_DEP_1) | instskip(NEXT) | instid1(VALU_DEP_1)
	v_cndmask_b32_e64 v2, 0x7fff, v2, s33
	v_and_b32_e32 v2, 0xffff, v2
	s_delay_alu instid0(VALU_DEP_1) | instskip(NEXT) | instid1(VALU_DEP_1)
	v_lshrrev_b32_e32 v2, s48, v2
	v_and_b32_e32 v137, s55, v2
	s_or_b32 exec_lo, exec_lo, s34
	s_and_saveexec_b32 s34, s23
	s_cbranch_execnz .LBB1954_527
.LBB1954_558:                           ;   in Loop: Header=BB1954_392 Depth=2
	s_or_b32 exec_lo, exec_lo, s34
	s_and_saveexec_b32 s34, s24
	s_cbranch_execz .LBB1954_528
.LBB1954_559:                           ;   in Loop: Header=BB1954_392 Depth=2
	ds_load_u16 v2, v79 offset:4608
	s_waitcnt lgkmcnt(0)
	v_cmp_ne_u16_e64 s33, 0x8000, v2
	s_delay_alu instid0(VALU_DEP_1) | instskip(NEXT) | instid1(VALU_DEP_1)
	v_cndmask_b32_e64 v2, 0x7fff, v2, s33
	v_and_b32_e32 v2, 0xffff, v2
	s_delay_alu instid0(VALU_DEP_1) | instskip(NEXT) | instid1(VALU_DEP_1)
	v_lshrrev_b32_e32 v2, s48, v2
	v_and_b32_e32 v135, s55, v2
	s_or_b32 exec_lo, exec_lo, s34
	s_and_saveexec_b32 s34, s25
	s_cbranch_execnz .LBB1954_529
.LBB1954_560:                           ;   in Loop: Header=BB1954_392 Depth=2
	s_or_b32 exec_lo, exec_lo, s34
	s_and_saveexec_b32 s34, s27
	s_cbranch_execz .LBB1954_530
.LBB1954_561:                           ;   in Loop: Header=BB1954_392 Depth=2
	ds_load_u16 v2, v79 offset:5632
	s_waitcnt lgkmcnt(0)
	v_cmp_ne_u16_e64 s33, 0x8000, v2
	s_delay_alu instid0(VALU_DEP_1) | instskip(NEXT) | instid1(VALU_DEP_1)
	v_cndmask_b32_e64 v2, 0x7fff, v2, s33
	v_and_b32_e32 v2, 0xffff, v2
	s_delay_alu instid0(VALU_DEP_1) | instskip(NEXT) | instid1(VALU_DEP_1)
	v_lshrrev_b32_e32 v2, s48, v2
	v_and_b32_e32 v133, s55, v2
	s_or_b32 exec_lo, exec_lo, s34
	s_and_saveexec_b32 s34, s28
	s_cbranch_execnz .LBB1954_531
.LBB1954_562:                           ;   in Loop: Header=BB1954_392 Depth=2
	s_or_b32 exec_lo, exec_lo, s34
	s_and_saveexec_b32 s34, s29
	s_cbranch_execz .LBB1954_532
.LBB1954_563:                           ;   in Loop: Header=BB1954_392 Depth=2
	ds_load_u16 v2, v79 offset:6656
	s_waitcnt lgkmcnt(0)
	v_cmp_ne_u16_e64 s33, 0x8000, v2
	s_delay_alu instid0(VALU_DEP_1) | instskip(NEXT) | instid1(VALU_DEP_1)
	v_cndmask_b32_e64 v2, 0x7fff, v2, s33
	v_and_b32_e32 v2, 0xffff, v2
	s_delay_alu instid0(VALU_DEP_1) | instskip(NEXT) | instid1(VALU_DEP_1)
	v_lshrrev_b32_e32 v2, s48, v2
	v_and_b32_e32 v131, s55, v2
	s_or_b32 exec_lo, exec_lo, s34
	s_and_saveexec_b32 s34, s30
	s_cbranch_execnz .LBB1954_533
.LBB1954_564:                           ;   in Loop: Header=BB1954_392 Depth=2
	s_or_b32 exec_lo, exec_lo, s34
	s_and_saveexec_b32 s34, s31
	s_cbranch_execz .LBB1954_566
.LBB1954_565:                           ;   in Loop: Header=BB1954_392 Depth=2
	ds_load_u16 v2, v79 offset:7680
	s_waitcnt lgkmcnt(0)
	v_cmp_ne_u16_e64 s33, 0x8000, v2
	s_delay_alu instid0(VALU_DEP_1) | instskip(NEXT) | instid1(VALU_DEP_1)
	v_cndmask_b32_e64 v2, 0x7fff, v2, s33
	v_and_b32_e32 v2, 0xffff, v2
	s_delay_alu instid0(VALU_DEP_1) | instskip(NEXT) | instid1(VALU_DEP_1)
	v_lshrrev_b32_e32 v2, s48, v2
	v_and_b32_e32 v129, s55, v2
.LBB1954_566:                           ;   in Loop: Header=BB1954_392 Depth=2
	s_or_b32 exec_lo, exec_lo, s34
	v_lshlrev_b32_e32 v2, 3, v168
	v_lshlrev_b32_e32 v36, 3, v164
	s_waitcnt vmcnt(0)
	s_waitcnt_vscnt null, 0x0
	s_barrier
	buffer_gl0_inv
	ds_store_b64 v2, v[34:35] offset:1024
	v_lshlrev_b32_e32 v2, 3, v160
	v_lshlrev_b32_e32 v37, 3, v156
	;; [unrolled: 1-line block ×4, first 2 shown]
	ds_store_b64 v36, v[32:33] offset:1024
	ds_store_b64 v2, v[30:31] offset:1024
	;; [unrolled: 1-line block ×5, first 2 shown]
	v_lshlrev_b32_e32 v2, 3, v152
	v_lshlrev_b32_e32 v36, 3, v151
	;; [unrolled: 1-line block ×5, first 2 shown]
	ds_store_b64 v2, v[22:23] offset:1024
	ds_store_b64 v36, v[20:21] offset:1024
	ds_store_b64 v37, v[18:19] offset:1024
	ds_store_b64 v145, v[16:17] offset:1024
	ds_store_b64 v146, v[14:15] offset:1024
	v_lshlrev_b32_e32 v2, 3, v40
	v_lshlrev_b32_e32 v36, 3, v39
	;; [unrolled: 1-line block ×5, first 2 shown]
	ds_store_b64 v2, v[12:13] offset:1024
	ds_store_b64 v36, v[10:11] offset:1024
	;; [unrolled: 1-line block ×5, first 2 shown]
	s_waitcnt lgkmcnt(0)
	s_barrier
	buffer_gl0_inv
	s_and_saveexec_b32 s33, vcc_lo
	s_cbranch_execz .LBB1954_582
; %bb.567:                              ;   in Loop: Header=BB1954_392 Depth=2
	v_lshlrev_b32_e32 v2, 2, v144
	ds_load_b32 v2, v2
	ds_load_b64 v[36:37], v80 offset:1024
	s_waitcnt lgkmcnt(1)
	v_add_nc_u32_e32 v2, v2, v1
	s_delay_alu instid0(VALU_DEP_1) | instskip(NEXT) | instid1(VALU_DEP_1)
	v_lshlrev_b64 v[39:40], 3, v[2:3]
	v_add_co_u32 v39, vcc_lo, s46, v39
	s_delay_alu instid0(VALU_DEP_2)
	v_add_co_ci_u32_e32 v40, vcc_lo, s47, v40, vcc_lo
	s_waitcnt lgkmcnt(0)
	global_store_b64 v[39:40], v[36:37], off
	s_or_b32 exec_lo, exec_lo, s33
	s_and_saveexec_b32 s33, s16
	s_cbranch_execnz .LBB1954_583
.LBB1954_568:                           ;   in Loop: Header=BB1954_392 Depth=2
	s_or_b32 exec_lo, exec_lo, s33
	s_and_saveexec_b32 s16, s17
	s_cbranch_execz .LBB1954_584
.LBB1954_569:                           ;   in Loop: Header=BB1954_392 Depth=2
	v_lshlrev_b32_e32 v2, 2, v142
	v_add_nc_u32_e32 v36, v79, v81
	ds_load_b32 v2, v2
	ds_load_b64 v[36:37], v36 offset:4096
	s_waitcnt lgkmcnt(1)
	v_add_nc_u32_e32 v2, v2, v46
	s_delay_alu instid0(VALU_DEP_1) | instskip(NEXT) | instid1(VALU_DEP_1)
	v_lshlrev_b64 v[39:40], 3, v[2:3]
	v_add_co_u32 v39, vcc_lo, s46, v39
	s_delay_alu instid0(VALU_DEP_2)
	v_add_co_ci_u32_e32 v40, vcc_lo, s47, v40, vcc_lo
	s_waitcnt lgkmcnt(0)
	global_store_b64 v[39:40], v[36:37], off
	s_or_b32 exec_lo, exec_lo, s16
	s_and_saveexec_b32 s16, s18
	s_cbranch_execnz .LBB1954_585
.LBB1954_570:                           ;   in Loop: Header=BB1954_392 Depth=2
	s_or_b32 exec_lo, exec_lo, s16
	s_and_saveexec_b32 s16, s19
	s_cbranch_execz .LBB1954_586
.LBB1954_571:                           ;   in Loop: Header=BB1954_392 Depth=2
	v_lshlrev_b32_e32 v2, 2, v140
	v_add_nc_u32_e32 v36, v79, v81
	ds_load_b32 v2, v2
	ds_load_b64 v[36:37], v36 offset:8192
	s_waitcnt lgkmcnt(1)
	v_add_nc_u32_e32 v2, v2, v51
	s_delay_alu instid0(VALU_DEP_1) | instskip(NEXT) | instid1(VALU_DEP_1)
	v_lshlrev_b64 v[39:40], 3, v[2:3]
	v_add_co_u32 v39, vcc_lo, s46, v39
	s_delay_alu instid0(VALU_DEP_2)
	v_add_co_ci_u32_e32 v40, vcc_lo, s47, v40, vcc_lo
	s_waitcnt lgkmcnt(0)
	global_store_b64 v[39:40], v[36:37], off
	s_or_b32 exec_lo, exec_lo, s16
	s_and_saveexec_b32 s16, s20
	s_cbranch_execnz .LBB1954_587
.LBB1954_572:                           ;   in Loop: Header=BB1954_392 Depth=2
	s_or_b32 exec_lo, exec_lo, s16
	s_and_saveexec_b32 s16, s21
	s_cbranch_execz .LBB1954_588
.LBB1954_573:                           ;   in Loop: Header=BB1954_392 Depth=2
	v_lshlrev_b32_e32 v2, 2, v138
	v_add_nc_u32_e32 v36, v79, v81
	ds_load_b32 v2, v2
	ds_load_b64 v[36:37], v36 offset:12288
	s_waitcnt lgkmcnt(1)
	v_add_nc_u32_e32 v2, v2, v53
	s_delay_alu instid0(VALU_DEP_1) | instskip(NEXT) | instid1(VALU_DEP_1)
	v_lshlrev_b64 v[39:40], 3, v[2:3]
	v_add_co_u32 v39, vcc_lo, s46, v39
	s_delay_alu instid0(VALU_DEP_2)
	v_add_co_ci_u32_e32 v40, vcc_lo, s47, v40, vcc_lo
	s_waitcnt lgkmcnt(0)
	global_store_b64 v[39:40], v[36:37], off
	s_or_b32 exec_lo, exec_lo, s16
	s_and_saveexec_b32 s16, s22
	s_cbranch_execnz .LBB1954_589
.LBB1954_574:                           ;   in Loop: Header=BB1954_392 Depth=2
	s_or_b32 exec_lo, exec_lo, s16
	s_and_saveexec_b32 s16, s23
	s_cbranch_execz .LBB1954_590
.LBB1954_575:                           ;   in Loop: Header=BB1954_392 Depth=2
	v_lshlrev_b32_e32 v2, 2, v136
	v_add_nc_u32_e32 v36, v79, v81
	ds_load_b32 v2, v2
	ds_load_b64 v[36:37], v36 offset:16384
	s_waitcnt lgkmcnt(1)
	v_add_nc_u32_e32 v2, v2, v55
	s_delay_alu instid0(VALU_DEP_1) | instskip(NEXT) | instid1(VALU_DEP_1)
	v_lshlrev_b64 v[39:40], 3, v[2:3]
	v_add_co_u32 v39, vcc_lo, s46, v39
	s_delay_alu instid0(VALU_DEP_2)
	v_add_co_ci_u32_e32 v40, vcc_lo, s47, v40, vcc_lo
	s_waitcnt lgkmcnt(0)
	global_store_b64 v[39:40], v[36:37], off
	s_or_b32 exec_lo, exec_lo, s16
	s_and_saveexec_b32 s16, s24
	s_cbranch_execnz .LBB1954_591
.LBB1954_576:                           ;   in Loop: Header=BB1954_392 Depth=2
	s_or_b32 exec_lo, exec_lo, s16
	s_and_saveexec_b32 s16, s25
	s_cbranch_execz .LBB1954_592
.LBB1954_577:                           ;   in Loop: Header=BB1954_392 Depth=2
	v_lshlrev_b32_e32 v2, 2, v134
	v_add_nc_u32_e32 v36, v79, v81
	ds_load_b32 v2, v2
	ds_load_b64 v[36:37], v36 offset:20480
	s_waitcnt lgkmcnt(1)
	v_add_nc_u32_e32 v2, v2, v57
	s_delay_alu instid0(VALU_DEP_1) | instskip(NEXT) | instid1(VALU_DEP_1)
	v_lshlrev_b64 v[39:40], 3, v[2:3]
	v_add_co_u32 v39, vcc_lo, s46, v39
	s_delay_alu instid0(VALU_DEP_2)
	v_add_co_ci_u32_e32 v40, vcc_lo, s47, v40, vcc_lo
	s_waitcnt lgkmcnt(0)
	global_store_b64 v[39:40], v[36:37], off
	s_or_b32 exec_lo, exec_lo, s16
	s_and_saveexec_b32 s16, s27
	s_cbranch_execnz .LBB1954_593
.LBB1954_578:                           ;   in Loop: Header=BB1954_392 Depth=2
	s_or_b32 exec_lo, exec_lo, s16
	s_and_saveexec_b32 s16, s28
	s_cbranch_execz .LBB1954_594
.LBB1954_579:                           ;   in Loop: Header=BB1954_392 Depth=2
	v_lshlrev_b32_e32 v2, 2, v132
	v_add_nc_u32_e32 v36, v79, v81
	ds_load_b32 v2, v2
	ds_load_b64 v[36:37], v36 offset:24576
	s_waitcnt lgkmcnt(1)
	v_add_nc_u32_e32 v2, v2, v59
	s_delay_alu instid0(VALU_DEP_1) | instskip(NEXT) | instid1(VALU_DEP_1)
	v_lshlrev_b64 v[39:40], 3, v[2:3]
	v_add_co_u32 v39, vcc_lo, s46, v39
	s_delay_alu instid0(VALU_DEP_2)
	v_add_co_ci_u32_e32 v40, vcc_lo, s47, v40, vcc_lo
	s_waitcnt lgkmcnt(0)
	global_store_b64 v[39:40], v[36:37], off
	s_or_b32 exec_lo, exec_lo, s16
	s_and_saveexec_b32 s16, s29
	s_cbranch_execnz .LBB1954_595
.LBB1954_580:                           ;   in Loop: Header=BB1954_392 Depth=2
	s_or_b32 exec_lo, exec_lo, s16
	s_and_saveexec_b32 s16, s30
	s_cbranch_execz .LBB1954_596
.LBB1954_581:                           ;   in Loop: Header=BB1954_392 Depth=2
	v_lshlrev_b32_e32 v2, 2, v130
	v_add_nc_u32_e32 v36, v79, v81
	ds_load_b32 v2, v2
	ds_load_b64 v[36:37], v36 offset:28672
	s_waitcnt lgkmcnt(1)
	v_add_nc_u32_e32 v2, v2, v61
	s_delay_alu instid0(VALU_DEP_1) | instskip(NEXT) | instid1(VALU_DEP_1)
	v_lshlrev_b64 v[39:40], 3, v[2:3]
	v_add_co_u32 v39, vcc_lo, s46, v39
	s_delay_alu instid0(VALU_DEP_2)
	v_add_co_ci_u32_e32 v40, vcc_lo, s47, v40, vcc_lo
	s_waitcnt lgkmcnt(0)
	global_store_b64 v[39:40], v[36:37], off
	s_or_b32 exec_lo, exec_lo, s16
	s_and_saveexec_b32 s16, s31
	s_cbranch_execnz .LBB1954_597
	s_branch .LBB1954_598
.LBB1954_582:                           ;   in Loop: Header=BB1954_392 Depth=2
	s_or_b32 exec_lo, exec_lo, s33
	s_and_saveexec_b32 s33, s16
	s_cbranch_execz .LBB1954_568
.LBB1954_583:                           ;   in Loop: Header=BB1954_392 Depth=2
	v_lshlrev_b32_e32 v2, 2, v143
	v_add_nc_u32_e32 v36, v79, v81
	ds_load_b32 v2, v2
	ds_load_b64 v[36:37], v36 offset:2048
	s_waitcnt lgkmcnt(1)
	v_add_nc_u32_e32 v2, v2, v45
	s_delay_alu instid0(VALU_DEP_1) | instskip(NEXT) | instid1(VALU_DEP_1)
	v_lshlrev_b64 v[39:40], 3, v[2:3]
	v_add_co_u32 v39, vcc_lo, s46, v39
	s_delay_alu instid0(VALU_DEP_2)
	v_add_co_ci_u32_e32 v40, vcc_lo, s47, v40, vcc_lo
	s_waitcnt lgkmcnt(0)
	global_store_b64 v[39:40], v[36:37], off
	s_or_b32 exec_lo, exec_lo, s33
	s_and_saveexec_b32 s16, s17
	s_cbranch_execnz .LBB1954_569
.LBB1954_584:                           ;   in Loop: Header=BB1954_392 Depth=2
	s_or_b32 exec_lo, exec_lo, s16
	s_and_saveexec_b32 s16, s18
	s_cbranch_execz .LBB1954_570
.LBB1954_585:                           ;   in Loop: Header=BB1954_392 Depth=2
	v_lshlrev_b32_e32 v2, 2, v141
	v_add_nc_u32_e32 v36, v79, v81
	ds_load_b32 v2, v2
	ds_load_b64 v[36:37], v36 offset:6144
	s_waitcnt lgkmcnt(1)
	v_add_nc_u32_e32 v2, v2, v47
	s_delay_alu instid0(VALU_DEP_1) | instskip(NEXT) | instid1(VALU_DEP_1)
	v_lshlrev_b64 v[39:40], 3, v[2:3]
	v_add_co_u32 v39, vcc_lo, s46, v39
	s_delay_alu instid0(VALU_DEP_2)
	v_add_co_ci_u32_e32 v40, vcc_lo, s47, v40, vcc_lo
	s_waitcnt lgkmcnt(0)
	global_store_b64 v[39:40], v[36:37], off
	s_or_b32 exec_lo, exec_lo, s16
	s_and_saveexec_b32 s16, s19
	s_cbranch_execnz .LBB1954_571
.LBB1954_586:                           ;   in Loop: Header=BB1954_392 Depth=2
	s_or_b32 exec_lo, exec_lo, s16
	s_and_saveexec_b32 s16, s20
	s_cbranch_execz .LBB1954_572
.LBB1954_587:                           ;   in Loop: Header=BB1954_392 Depth=2
	v_lshlrev_b32_e32 v2, 2, v139
	v_add_nc_u32_e32 v36, v79, v81
	ds_load_b32 v2, v2
	ds_load_b64 v[36:37], v36 offset:10240
	s_waitcnt lgkmcnt(1)
	v_add_nc_u32_e32 v2, v2, v52
	s_delay_alu instid0(VALU_DEP_1) | instskip(NEXT) | instid1(VALU_DEP_1)
	v_lshlrev_b64 v[39:40], 3, v[2:3]
	v_add_co_u32 v39, vcc_lo, s46, v39
	s_delay_alu instid0(VALU_DEP_2)
	v_add_co_ci_u32_e32 v40, vcc_lo, s47, v40, vcc_lo
	s_waitcnt lgkmcnt(0)
	global_store_b64 v[39:40], v[36:37], off
	s_or_b32 exec_lo, exec_lo, s16
	s_and_saveexec_b32 s16, s21
	s_cbranch_execnz .LBB1954_573
.LBB1954_588:                           ;   in Loop: Header=BB1954_392 Depth=2
	s_or_b32 exec_lo, exec_lo, s16
	s_and_saveexec_b32 s16, s22
	s_cbranch_execz .LBB1954_574
.LBB1954_589:                           ;   in Loop: Header=BB1954_392 Depth=2
	v_lshlrev_b32_e32 v2, 2, v137
	v_add_nc_u32_e32 v36, v79, v81
	ds_load_b32 v2, v2
	ds_load_b64 v[36:37], v36 offset:14336
	s_waitcnt lgkmcnt(1)
	v_add_nc_u32_e32 v2, v2, v54
	s_delay_alu instid0(VALU_DEP_1) | instskip(NEXT) | instid1(VALU_DEP_1)
	v_lshlrev_b64 v[39:40], 3, v[2:3]
	v_add_co_u32 v39, vcc_lo, s46, v39
	s_delay_alu instid0(VALU_DEP_2)
	v_add_co_ci_u32_e32 v40, vcc_lo, s47, v40, vcc_lo
	s_waitcnt lgkmcnt(0)
	global_store_b64 v[39:40], v[36:37], off
	s_or_b32 exec_lo, exec_lo, s16
	s_and_saveexec_b32 s16, s23
	s_cbranch_execnz .LBB1954_575
.LBB1954_590:                           ;   in Loop: Header=BB1954_392 Depth=2
	s_or_b32 exec_lo, exec_lo, s16
	s_and_saveexec_b32 s16, s24
	s_cbranch_execz .LBB1954_576
.LBB1954_591:                           ;   in Loop: Header=BB1954_392 Depth=2
	v_lshlrev_b32_e32 v2, 2, v135
	v_add_nc_u32_e32 v36, v79, v81
	ds_load_b32 v2, v2
	ds_load_b64 v[36:37], v36 offset:18432
	s_waitcnt lgkmcnt(1)
	v_add_nc_u32_e32 v2, v2, v56
	s_delay_alu instid0(VALU_DEP_1) | instskip(NEXT) | instid1(VALU_DEP_1)
	v_lshlrev_b64 v[39:40], 3, v[2:3]
	v_add_co_u32 v39, vcc_lo, s46, v39
	s_delay_alu instid0(VALU_DEP_2)
	v_add_co_ci_u32_e32 v40, vcc_lo, s47, v40, vcc_lo
	s_waitcnt lgkmcnt(0)
	global_store_b64 v[39:40], v[36:37], off
	s_or_b32 exec_lo, exec_lo, s16
	s_and_saveexec_b32 s16, s25
	s_cbranch_execnz .LBB1954_577
.LBB1954_592:                           ;   in Loop: Header=BB1954_392 Depth=2
	s_or_b32 exec_lo, exec_lo, s16
	s_and_saveexec_b32 s16, s27
	s_cbranch_execz .LBB1954_578
.LBB1954_593:                           ;   in Loop: Header=BB1954_392 Depth=2
	v_lshlrev_b32_e32 v2, 2, v133
	v_add_nc_u32_e32 v36, v79, v81
	ds_load_b32 v2, v2
	ds_load_b64 v[36:37], v36 offset:22528
	s_waitcnt lgkmcnt(1)
	v_add_nc_u32_e32 v2, v2, v58
	s_delay_alu instid0(VALU_DEP_1) | instskip(NEXT) | instid1(VALU_DEP_1)
	v_lshlrev_b64 v[39:40], 3, v[2:3]
	v_add_co_u32 v39, vcc_lo, s46, v39
	s_delay_alu instid0(VALU_DEP_2)
	v_add_co_ci_u32_e32 v40, vcc_lo, s47, v40, vcc_lo
	s_waitcnt lgkmcnt(0)
	global_store_b64 v[39:40], v[36:37], off
	s_or_b32 exec_lo, exec_lo, s16
	s_and_saveexec_b32 s16, s28
	s_cbranch_execnz .LBB1954_579
.LBB1954_594:                           ;   in Loop: Header=BB1954_392 Depth=2
	s_or_b32 exec_lo, exec_lo, s16
	s_and_saveexec_b32 s16, s29
	s_cbranch_execz .LBB1954_580
.LBB1954_595:                           ;   in Loop: Header=BB1954_392 Depth=2
	v_lshlrev_b32_e32 v2, 2, v131
	v_add_nc_u32_e32 v36, v79, v81
	ds_load_b32 v2, v2
	ds_load_b64 v[36:37], v36 offset:26624
	s_waitcnt lgkmcnt(1)
	v_add_nc_u32_e32 v2, v2, v60
	s_delay_alu instid0(VALU_DEP_1) | instskip(NEXT) | instid1(VALU_DEP_1)
	v_lshlrev_b64 v[39:40], 3, v[2:3]
	v_add_co_u32 v39, vcc_lo, s46, v39
	s_delay_alu instid0(VALU_DEP_2)
	v_add_co_ci_u32_e32 v40, vcc_lo, s47, v40, vcc_lo
	s_waitcnt lgkmcnt(0)
	global_store_b64 v[39:40], v[36:37], off
	s_or_b32 exec_lo, exec_lo, s16
	s_and_saveexec_b32 s16, s30
	s_cbranch_execnz .LBB1954_581
.LBB1954_596:                           ;   in Loop: Header=BB1954_392 Depth=2
	s_or_b32 exec_lo, exec_lo, s16
	s_and_saveexec_b32 s16, s31
	s_cbranch_execz .LBB1954_598
.LBB1954_597:                           ;   in Loop: Header=BB1954_392 Depth=2
	v_lshlrev_b32_e32 v2, 2, v129
	v_add_nc_u32_e32 v36, v79, v81
	ds_load_b32 v2, v2
	ds_load_b64 v[36:37], v36 offset:30720
	s_waitcnt lgkmcnt(1)
	v_add_nc_u32_e32 v2, v2, v63
	s_delay_alu instid0(VALU_DEP_1) | instskip(NEXT) | instid1(VALU_DEP_1)
	v_lshlrev_b64 v[39:40], 3, v[2:3]
	v_add_co_u32 v39, vcc_lo, s46, v39
	s_delay_alu instid0(VALU_DEP_2)
	v_add_co_ci_u32_e32 v40, vcc_lo, s47, v40, vcc_lo
	s_waitcnt lgkmcnt(0)
	global_store_b64 v[39:40], v[36:37], off
.LBB1954_598:                           ;   in Loop: Header=BB1954_392 Depth=2
	s_or_b32 exec_lo, exec_lo, s16
	s_waitcnt_vscnt null, 0x0
	s_barrier
	buffer_gl0_inv
	s_and_saveexec_b32 s16, s2
	s_cbranch_execz .LBB1954_391
; %bb.599:                              ;   in Loop: Header=BB1954_392 Depth=2
	ds_load_b32 v2, v44
	s_waitcnt lgkmcnt(0)
	v_add_nc_u32_e32 v2, v2, v38
	ds_store_b32 v44, v2
	s_branch .LBB1954_391
.LBB1954_600:                           ;   in Loop: Header=BB1954_12 Depth=1
	s_waitcnt lgkmcnt(0)
	s_barrier
.LBB1954_601:                           ;   in Loop: Header=BB1954_12 Depth=1
	s_mov_b32 s0, 0
.LBB1954_602:                           ;   in Loop: Header=BB1954_12 Depth=1
	s_delay_alu instid0(SALU_CYCLE_1)
	s_and_not1_b32 vcc_lo, exec_lo, s0
	s_cbranch_vccnz .LBB1954_11
; %bb.603:                              ;   in Loop: Header=BB1954_12 Depth=1
	s_and_b32 vcc_lo, exec_lo, s51
	s_mov_b32 s0, -1
	s_cbranch_vccz .LBB1954_897
; %bb.604:                              ;   in Loop: Header=BB1954_12 Depth=1
	s_mov_b32 s8, s54
	s_mov_b32 s34, s52
	s_barrier
	buffer_gl0_inv
                                        ; implicit-def: $vgpr20
                                        ; implicit-def: $vgpr2
                                        ; implicit-def: $vgpr6
                                        ; implicit-def: $vgpr7
                                        ; implicit-def: $vgpr8
                                        ; implicit-def: $vgpr9
                                        ; implicit-def: $vgpr10
                                        ; implicit-def: $vgpr11
                                        ; implicit-def: $vgpr12
                                        ; implicit-def: $vgpr13
                                        ; implicit-def: $vgpr14
                                        ; implicit-def: $vgpr15
                                        ; implicit-def: $vgpr16
                                        ; implicit-def: $vgpr17
                                        ; implicit-def: $vgpr18
                                        ; implicit-def: $vgpr19
	s_branch .LBB1954_606
.LBB1954_605:                           ;   in Loop: Header=BB1954_606 Depth=2
	s_or_b32 exec_lo, exec_lo, s0
	s_addk_i32 s8, 0xf000
	s_cmp_ge_u32 s9, s53
	s_mov_b32 s34, s9
	s_cbranch_scc1 .LBB1954_676
.LBB1954_606:                           ;   Parent Loop BB1954_12 Depth=1
                                        ; =>  This Inner Loop Header: Depth=2
	s_add_i32 s9, s34, 0x1000
	s_delay_alu instid0(SALU_CYCLE_1)
	s_cmp_gt_u32 s9, s53
	s_cbranch_scc1 .LBB1954_609
; %bb.607:                              ;   in Loop: Header=BB1954_606 Depth=2
	s_mov_b32 s1, 0
	s_mov_b32 s0, s34
	s_delay_alu instid0(SALU_CYCLE_1) | instskip(NEXT) | instid1(SALU_CYCLE_1)
	s_lshl_b64 s[10:11], s[0:1], 1
	v_add_co_u32 v4, vcc_lo, v88, s10
	v_add_co_ci_u32_e32 v5, vcc_lo, s11, v89, vcc_lo
	s_movk_i32 s11, 0x1000
	s_waitcnt vmcnt(0)
	s_delay_alu instid0(VALU_DEP_2) | instskip(NEXT) | instid1(VALU_DEP_2)
	v_add_co_u32 v36, vcc_lo, 0x1000, v4
	v_add_co_ci_u32_e32 v37, vcc_lo, 0, v5, vcc_lo
	s_clause 0xe
	global_load_u16 v22, v[4:5], off
	global_load_u16 v23, v[4:5], off offset:512
	global_load_u16 v24, v[4:5], off offset:1024
	;; [unrolled: 1-line block ×7, first 2 shown]
	global_load_u16 v30, v[36:37], off
	global_load_u16 v31, v[36:37], off offset:512
	global_load_u16 v32, v[36:37], off offset:1024
	global_load_u16 v33, v[36:37], off offset:1536
	global_load_u16 v34, v[36:37], off offset:2048
	global_load_u16 v35, v[36:37], off offset:2560
	global_load_u16 v36, v[36:37], off offset:3072
	v_add_co_u32 v4, vcc_lo, 0x1e00, v4
	v_add_co_ci_u32_e32 v5, vcc_lo, 0, v5, vcc_lo
	s_mov_b32 s10, -1
	s_cbranch_execz .LBB1954_610
; %bb.608:                              ;   in Loop: Header=BB1954_606 Depth=2
                                        ; implicit-def: $vgpr19
                                        ; implicit-def: $vgpr18
                                        ; implicit-def: $vgpr17
                                        ; implicit-def: $vgpr16
                                        ; implicit-def: $vgpr15
                                        ; implicit-def: $vgpr14
                                        ; implicit-def: $vgpr13
                                        ; implicit-def: $vgpr12
                                        ; implicit-def: $vgpr11
                                        ; implicit-def: $vgpr10
                                        ; implicit-def: $vgpr9
                                        ; implicit-def: $vgpr8
                                        ; implicit-def: $vgpr7
                                        ; implicit-def: $vgpr6
                                        ; implicit-def: $vgpr2
                                        ; implicit-def: $vgpr20
	v_mov_b32_e32 v21, s8
	s_and_saveexec_b32 s0, s10
	s_cbranch_execnz .LBB1954_629
	s_branch .LBB1954_630
.LBB1954_609:                           ;   in Loop: Header=BB1954_606 Depth=2
	s_mov_b32 s10, 0
                                        ; implicit-def: $sgpr11
                                        ; implicit-def: $vgpr22
                                        ; implicit-def: $vgpr23
                                        ; implicit-def: $vgpr24
                                        ; implicit-def: $vgpr25
                                        ; implicit-def: $vgpr26
                                        ; implicit-def: $vgpr27
                                        ; implicit-def: $vgpr28
                                        ; implicit-def: $vgpr29
                                        ; implicit-def: $vgpr30
                                        ; implicit-def: $vgpr31
                                        ; implicit-def: $vgpr32
                                        ; implicit-def: $vgpr33
                                        ; implicit-def: $vgpr34
                                        ; implicit-def: $vgpr35
                                        ; implicit-def: $vgpr36
                                        ; implicit-def: $vgpr4_vgpr5
.LBB1954_610:                           ;   in Loop: Header=BB1954_606 Depth=2
	s_lshl_b64 s[0:1], s[34:35], 1
	s_mov_b32 s11, exec_lo
	s_add_u32 s0, s36, s0
	s_addc_u32 s1, s37, s1
	v_cmpx_gt_u32_e64 s8, v1
	s_cbranch_execz .LBB1954_662
; %bb.611:                              ;   in Loop: Header=BB1954_606 Depth=2
	global_load_u16 v19, v95, s[0:1]
	s_or_b32 exec_lo, exec_lo, s11
	s_delay_alu instid0(SALU_CYCLE_1)
	s_mov_b32 s11, exec_lo
	v_cmpx_gt_u32_e64 s8, v45
	s_cbranch_execnz .LBB1954_663
.LBB1954_612:                           ;   in Loop: Header=BB1954_606 Depth=2
	s_or_b32 exec_lo, exec_lo, s11
	s_delay_alu instid0(SALU_CYCLE_1)
	s_mov_b32 s11, exec_lo
	v_cmpx_gt_u32_e64 s8, v46
	s_cbranch_execz .LBB1954_664
.LBB1954_613:                           ;   in Loop: Header=BB1954_606 Depth=2
	global_load_u16 v17, v95, s[0:1] offset:1024
	s_or_b32 exec_lo, exec_lo, s11
	s_delay_alu instid0(SALU_CYCLE_1)
	s_mov_b32 s11, exec_lo
	v_cmpx_gt_u32_e64 s8, v47
	s_cbranch_execnz .LBB1954_665
.LBB1954_614:                           ;   in Loop: Header=BB1954_606 Depth=2
	s_or_b32 exec_lo, exec_lo, s11
	s_delay_alu instid0(SALU_CYCLE_1)
	s_mov_b32 s11, exec_lo
	v_cmpx_gt_u32_e64 s8, v51
	s_cbranch_execz .LBB1954_666
.LBB1954_615:                           ;   in Loop: Header=BB1954_606 Depth=2
	global_load_u16 v15, v95, s[0:1] offset:2048
	s_or_b32 exec_lo, exec_lo, s11
	s_delay_alu instid0(SALU_CYCLE_1)
	s_mov_b32 s11, exec_lo
	v_cmpx_gt_u32_e64 s8, v52
	s_cbranch_execnz .LBB1954_667
.LBB1954_616:                           ;   in Loop: Header=BB1954_606 Depth=2
	s_or_b32 exec_lo, exec_lo, s11
	s_delay_alu instid0(SALU_CYCLE_1)
	s_mov_b32 s11, exec_lo
	v_cmpx_gt_u32_e64 s8, v53
	s_cbranch_execz .LBB1954_668
.LBB1954_617:                           ;   in Loop: Header=BB1954_606 Depth=2
	global_load_u16 v13, v95, s[0:1] offset:3072
	s_or_b32 exec_lo, exec_lo, s11
	s_delay_alu instid0(SALU_CYCLE_1)
	s_mov_b32 s11, exec_lo
	v_cmpx_gt_u32_e64 s8, v54
	s_cbranch_execnz .LBB1954_669
.LBB1954_618:                           ;   in Loop: Header=BB1954_606 Depth=2
	s_or_b32 exec_lo, exec_lo, s11
	s_delay_alu instid0(SALU_CYCLE_1)
	s_mov_b32 s11, exec_lo
	v_cmpx_gt_u32_e64 s8, v55
	s_cbranch_execz .LBB1954_670
.LBB1954_619:                           ;   in Loop: Header=BB1954_606 Depth=2
	global_load_u16 v11, v96, s[0:1]
	s_or_b32 exec_lo, exec_lo, s11
	s_delay_alu instid0(SALU_CYCLE_1)
	s_mov_b32 s11, exec_lo
	v_cmpx_gt_u32_e64 s8, v56
	s_cbranch_execnz .LBB1954_671
.LBB1954_620:                           ;   in Loop: Header=BB1954_606 Depth=2
	s_or_b32 exec_lo, exec_lo, s11
	s_delay_alu instid0(SALU_CYCLE_1)
	s_mov_b32 s11, exec_lo
	v_cmpx_gt_u32_e64 s8, v57
	s_cbranch_execz .LBB1954_672
.LBB1954_621:                           ;   in Loop: Header=BB1954_606 Depth=2
	global_load_u16 v9, v98, s[0:1]
	s_or_b32 exec_lo, exec_lo, s11
	s_delay_alu instid0(SALU_CYCLE_1)
	s_mov_b32 s11, exec_lo
	v_cmpx_gt_u32_e64 s8, v58
	s_cbranch_execnz .LBB1954_673
.LBB1954_622:                           ;   in Loop: Header=BB1954_606 Depth=2
	s_or_b32 exec_lo, exec_lo, s11
	s_delay_alu instid0(SALU_CYCLE_1)
	s_mov_b32 s11, exec_lo
	v_cmpx_gt_u32_e64 s8, v59
	s_cbranch_execz .LBB1954_674
.LBB1954_623:                           ;   in Loop: Header=BB1954_606 Depth=2
	global_load_u16 v7, v100, s[0:1]
	s_or_b32 exec_lo, exec_lo, s11
	s_delay_alu instid0(SALU_CYCLE_1)
	s_mov_b32 s11, exec_lo
	v_cmpx_gt_u32_e64 s8, v60
	s_cbranch_execnz .LBB1954_675
.LBB1954_624:                           ;   in Loop: Header=BB1954_606 Depth=2
	s_or_b32 exec_lo, exec_lo, s11
	s_delay_alu instid0(SALU_CYCLE_1)
	s_mov_b32 s11, exec_lo
	v_cmpx_gt_u32_e64 s8, v61
	s_cbranch_execz .LBB1954_626
.LBB1954_625:                           ;   in Loop: Header=BB1954_606 Depth=2
	global_load_u16 v2, v102, s[0:1]
.LBB1954_626:                           ;   in Loop: Header=BB1954_606 Depth=2
	s_or_b32 exec_lo, exec_lo, s11
	s_delay_alu instid0(SALU_CYCLE_1)
	s_mov_b32 s12, exec_lo
                                        ; implicit-def: $sgpr11
                                        ; implicit-def: $vgpr4_vgpr5
	v_cmpx_gt_u32_e64 s8, v63
; %bb.627:                              ;   in Loop: Header=BB1954_606 Depth=2
	v_add_co_u32 v4, s0, s0, v103
	s_delay_alu instid0(VALU_DEP_1)
	v_add_co_ci_u32_e64 v5, null, s1, 0, s0
	s_sub_i32 s11, s53, s34
	s_or_b32 s10, s10, exec_lo
                                        ; implicit-def: $vgpr20
; %bb.628:                              ;   in Loop: Header=BB1954_606 Depth=2
	s_or_b32 exec_lo, exec_lo, s12
	s_waitcnt vmcnt(0)
	v_dual_mov_b32 v22, v19 :: v_dual_mov_b32 v23, v18
	v_dual_mov_b32 v24, v17 :: v_dual_mov_b32 v25, v16
	;; [unrolled: 1-line block ×8, first 2 shown]
	s_and_saveexec_b32 s0, s10
	s_cbranch_execz .LBB1954_630
.LBB1954_629:                           ;   in Loop: Header=BB1954_606 Depth=2
	global_load_u16 v20, v[4:5], off
	s_waitcnt vmcnt(1)
	v_dual_mov_b32 v21, s11 :: v_dual_mov_b32 v2, v36
	v_dual_mov_b32 v6, v35 :: v_dual_mov_b32 v7, v34
	;; [unrolled: 1-line block ×8, first 2 shown]
.LBB1954_630:                           ;   in Loop: Header=BB1954_606 Depth=2
	s_or_b32 exec_lo, exec_lo, s0
	s_delay_alu instid0(SALU_CYCLE_1)
	s_mov_b32 s0, exec_lo
	v_cmpx_lt_u32_e64 v1, v21
	s_cbranch_execz .LBB1954_646
; %bb.631:                              ;   in Loop: Header=BB1954_606 Depth=2
	v_cmp_gt_i16_e32 vcc_lo, 0, v19
	v_lshlrev_b32_e32 v5, 2, v48
	v_cndmask_b32_e64 v4, 0x7fff, 0, vcc_lo
	s_delay_alu instid0(VALU_DEP_1) | instskip(NEXT) | instid1(VALU_DEP_1)
	v_xor_b32_e32 v4, v4, v19
	v_cmp_ne_u16_e32 vcc_lo, 0x8000, v4
	v_cndmask_b32_e32 v4, 0x7fff, v4, vcc_lo
	s_delay_alu instid0(VALU_DEP_1) | instskip(NEXT) | instid1(VALU_DEP_1)
	v_and_b32_e32 v4, 0xffff, v4
	v_lshrrev_b32_e32 v4, s49, v4
	s_delay_alu instid0(VALU_DEP_1) | instskip(NEXT) | instid1(VALU_DEP_1)
	v_and_b32_e32 v4, s55, v4
	v_lshl_or_b32 v4, v4, 4, v5
	ds_add_u32 v4, v94
	s_or_b32 exec_lo, exec_lo, s0
	s_delay_alu instid0(SALU_CYCLE_1)
	s_mov_b32 s0, exec_lo
	v_cmpx_lt_u32_e64 v45, v21
	s_cbranch_execnz .LBB1954_647
.LBB1954_632:                           ;   in Loop: Header=BB1954_606 Depth=2
	s_or_b32 exec_lo, exec_lo, s0
	s_delay_alu instid0(SALU_CYCLE_1)
	s_mov_b32 s0, exec_lo
	v_cmpx_lt_u32_e64 v46, v21
	s_cbranch_execz .LBB1954_648
.LBB1954_633:                           ;   in Loop: Header=BB1954_606 Depth=2
	v_cmp_gt_i16_e32 vcc_lo, 0, v17
	v_lshlrev_b32_e32 v5, 2, v48
	v_cndmask_b32_e64 v4, 0x7fff, 0, vcc_lo
	s_delay_alu instid0(VALU_DEP_1) | instskip(NEXT) | instid1(VALU_DEP_1)
	v_xor_b32_e32 v4, v4, v17
	v_cmp_ne_u16_e32 vcc_lo, 0x8000, v4
	v_cndmask_b32_e32 v4, 0x7fff, v4, vcc_lo
	s_delay_alu instid0(VALU_DEP_1) | instskip(NEXT) | instid1(VALU_DEP_1)
	v_and_b32_e32 v4, 0xffff, v4
	v_lshrrev_b32_e32 v4, s49, v4
	s_delay_alu instid0(VALU_DEP_1) | instskip(NEXT) | instid1(VALU_DEP_1)
	v_and_b32_e32 v4, s55, v4
	v_lshl_or_b32 v4, v4, 4, v5
	ds_add_u32 v4, v94
	s_or_b32 exec_lo, exec_lo, s0
	s_delay_alu instid0(SALU_CYCLE_1)
	s_mov_b32 s0, exec_lo
	v_cmpx_lt_u32_e64 v47, v21
	s_cbranch_execnz .LBB1954_649
.LBB1954_634:                           ;   in Loop: Header=BB1954_606 Depth=2
	s_or_b32 exec_lo, exec_lo, s0
	s_delay_alu instid0(SALU_CYCLE_1)
	s_mov_b32 s0, exec_lo
	v_cmpx_lt_u32_e64 v51, v21
	s_cbranch_execz .LBB1954_650
.LBB1954_635:                           ;   in Loop: Header=BB1954_606 Depth=2
	v_cmp_gt_i16_e32 vcc_lo, 0, v15
	v_lshlrev_b32_e32 v5, 2, v48
	v_cndmask_b32_e64 v4, 0x7fff, 0, vcc_lo
	s_delay_alu instid0(VALU_DEP_1) | instskip(NEXT) | instid1(VALU_DEP_1)
	v_xor_b32_e32 v4, v4, v15
	v_cmp_ne_u16_e32 vcc_lo, 0x8000, v4
	v_cndmask_b32_e32 v4, 0x7fff, v4, vcc_lo
	s_delay_alu instid0(VALU_DEP_1) | instskip(NEXT) | instid1(VALU_DEP_1)
	v_and_b32_e32 v4, 0xffff, v4
	v_lshrrev_b32_e32 v4, s49, v4
	s_delay_alu instid0(VALU_DEP_1) | instskip(NEXT) | instid1(VALU_DEP_1)
	v_and_b32_e32 v4, s55, v4
	v_lshl_or_b32 v4, v4, 4, v5
	ds_add_u32 v4, v94
	s_or_b32 exec_lo, exec_lo, s0
	s_delay_alu instid0(SALU_CYCLE_1)
	s_mov_b32 s0, exec_lo
	v_cmpx_lt_u32_e64 v52, v21
	s_cbranch_execnz .LBB1954_651
.LBB1954_636:                           ;   in Loop: Header=BB1954_606 Depth=2
	s_or_b32 exec_lo, exec_lo, s0
	s_delay_alu instid0(SALU_CYCLE_1)
	s_mov_b32 s0, exec_lo
	v_cmpx_lt_u32_e64 v53, v21
	s_cbranch_execz .LBB1954_652
.LBB1954_637:                           ;   in Loop: Header=BB1954_606 Depth=2
	v_cmp_gt_i16_e32 vcc_lo, 0, v13
	v_lshlrev_b32_e32 v5, 2, v48
	v_cndmask_b32_e64 v4, 0x7fff, 0, vcc_lo
	s_delay_alu instid0(VALU_DEP_1) | instskip(NEXT) | instid1(VALU_DEP_1)
	v_xor_b32_e32 v4, v4, v13
	v_cmp_ne_u16_e32 vcc_lo, 0x8000, v4
	v_cndmask_b32_e32 v4, 0x7fff, v4, vcc_lo
	s_delay_alu instid0(VALU_DEP_1) | instskip(NEXT) | instid1(VALU_DEP_1)
	v_and_b32_e32 v4, 0xffff, v4
	v_lshrrev_b32_e32 v4, s49, v4
	s_delay_alu instid0(VALU_DEP_1) | instskip(NEXT) | instid1(VALU_DEP_1)
	v_and_b32_e32 v4, s55, v4
	v_lshl_or_b32 v4, v4, 4, v5
	ds_add_u32 v4, v94
	s_or_b32 exec_lo, exec_lo, s0
	s_delay_alu instid0(SALU_CYCLE_1)
	s_mov_b32 s0, exec_lo
	v_cmpx_lt_u32_e64 v54, v21
	s_cbranch_execnz .LBB1954_653
.LBB1954_638:                           ;   in Loop: Header=BB1954_606 Depth=2
	s_or_b32 exec_lo, exec_lo, s0
	s_delay_alu instid0(SALU_CYCLE_1)
	s_mov_b32 s0, exec_lo
	v_cmpx_lt_u32_e64 v55, v21
	s_cbranch_execz .LBB1954_654
.LBB1954_639:                           ;   in Loop: Header=BB1954_606 Depth=2
	v_cmp_gt_i16_e32 vcc_lo, 0, v11
	v_lshlrev_b32_e32 v5, 2, v48
	v_cndmask_b32_e64 v4, 0x7fff, 0, vcc_lo
	s_delay_alu instid0(VALU_DEP_1) | instskip(NEXT) | instid1(VALU_DEP_1)
	v_xor_b32_e32 v4, v4, v11
	v_cmp_ne_u16_e32 vcc_lo, 0x8000, v4
	v_cndmask_b32_e32 v4, 0x7fff, v4, vcc_lo
	s_delay_alu instid0(VALU_DEP_1) | instskip(NEXT) | instid1(VALU_DEP_1)
	v_and_b32_e32 v4, 0xffff, v4
	v_lshrrev_b32_e32 v4, s49, v4
	s_delay_alu instid0(VALU_DEP_1) | instskip(NEXT) | instid1(VALU_DEP_1)
	v_and_b32_e32 v4, s55, v4
	v_lshl_or_b32 v4, v4, 4, v5
	ds_add_u32 v4, v94
	s_or_b32 exec_lo, exec_lo, s0
	s_delay_alu instid0(SALU_CYCLE_1)
	s_mov_b32 s0, exec_lo
	v_cmpx_lt_u32_e64 v56, v21
	s_cbranch_execnz .LBB1954_655
.LBB1954_640:                           ;   in Loop: Header=BB1954_606 Depth=2
	s_or_b32 exec_lo, exec_lo, s0
	s_delay_alu instid0(SALU_CYCLE_1)
	s_mov_b32 s0, exec_lo
	v_cmpx_lt_u32_e64 v57, v21
	s_cbranch_execz .LBB1954_656
.LBB1954_641:                           ;   in Loop: Header=BB1954_606 Depth=2
	v_cmp_gt_i16_e32 vcc_lo, 0, v9
	v_lshlrev_b32_e32 v5, 2, v48
	v_cndmask_b32_e64 v4, 0x7fff, 0, vcc_lo
	s_delay_alu instid0(VALU_DEP_1) | instskip(NEXT) | instid1(VALU_DEP_1)
	v_xor_b32_e32 v4, v4, v9
	v_cmp_ne_u16_e32 vcc_lo, 0x8000, v4
	v_cndmask_b32_e32 v4, 0x7fff, v4, vcc_lo
	s_delay_alu instid0(VALU_DEP_1) | instskip(NEXT) | instid1(VALU_DEP_1)
	v_and_b32_e32 v4, 0xffff, v4
	v_lshrrev_b32_e32 v4, s49, v4
	s_delay_alu instid0(VALU_DEP_1) | instskip(NEXT) | instid1(VALU_DEP_1)
	v_and_b32_e32 v4, s55, v4
	v_lshl_or_b32 v4, v4, 4, v5
	ds_add_u32 v4, v94
	s_or_b32 exec_lo, exec_lo, s0
	s_delay_alu instid0(SALU_CYCLE_1)
	s_mov_b32 s0, exec_lo
	v_cmpx_lt_u32_e64 v58, v21
	s_cbranch_execnz .LBB1954_657
.LBB1954_642:                           ;   in Loop: Header=BB1954_606 Depth=2
	s_or_b32 exec_lo, exec_lo, s0
	s_delay_alu instid0(SALU_CYCLE_1)
	s_mov_b32 s0, exec_lo
	v_cmpx_lt_u32_e64 v59, v21
	s_cbranch_execz .LBB1954_658
.LBB1954_643:                           ;   in Loop: Header=BB1954_606 Depth=2
	v_cmp_gt_i16_e32 vcc_lo, 0, v7
	v_lshlrev_b32_e32 v5, 2, v48
	v_cndmask_b32_e64 v4, 0x7fff, 0, vcc_lo
	s_delay_alu instid0(VALU_DEP_1) | instskip(NEXT) | instid1(VALU_DEP_1)
	v_xor_b32_e32 v4, v4, v7
	v_cmp_ne_u16_e32 vcc_lo, 0x8000, v4
	v_cndmask_b32_e32 v4, 0x7fff, v4, vcc_lo
	s_delay_alu instid0(VALU_DEP_1) | instskip(NEXT) | instid1(VALU_DEP_1)
	v_and_b32_e32 v4, 0xffff, v4
	v_lshrrev_b32_e32 v4, s49, v4
	s_delay_alu instid0(VALU_DEP_1) | instskip(NEXT) | instid1(VALU_DEP_1)
	v_and_b32_e32 v4, s55, v4
	v_lshl_or_b32 v4, v4, 4, v5
	ds_add_u32 v4, v94
	s_or_b32 exec_lo, exec_lo, s0
	s_delay_alu instid0(SALU_CYCLE_1)
	s_mov_b32 s0, exec_lo
	v_cmpx_lt_u32_e64 v60, v21
	s_cbranch_execnz .LBB1954_659
.LBB1954_644:                           ;   in Loop: Header=BB1954_606 Depth=2
	s_or_b32 exec_lo, exec_lo, s0
	s_delay_alu instid0(SALU_CYCLE_1)
	s_mov_b32 s0, exec_lo
	v_cmpx_lt_u32_e64 v61, v21
	s_cbranch_execz .LBB1954_660
.LBB1954_645:                           ;   in Loop: Header=BB1954_606 Depth=2
	v_cmp_gt_i16_e32 vcc_lo, 0, v2
	v_lshlrev_b32_e32 v5, 2, v48
	v_cndmask_b32_e64 v4, 0x7fff, 0, vcc_lo
	s_delay_alu instid0(VALU_DEP_1) | instskip(NEXT) | instid1(VALU_DEP_1)
	v_xor_b32_e32 v4, v4, v2
	v_cmp_ne_u16_e32 vcc_lo, 0x8000, v4
	v_cndmask_b32_e32 v4, 0x7fff, v4, vcc_lo
	s_delay_alu instid0(VALU_DEP_1) | instskip(NEXT) | instid1(VALU_DEP_1)
	v_and_b32_e32 v4, 0xffff, v4
	v_lshrrev_b32_e32 v4, s49, v4
	s_delay_alu instid0(VALU_DEP_1) | instskip(NEXT) | instid1(VALU_DEP_1)
	v_and_b32_e32 v4, s55, v4
	v_lshl_or_b32 v4, v4, 4, v5
	ds_add_u32 v4, v94
	s_or_b32 exec_lo, exec_lo, s0
	s_delay_alu instid0(SALU_CYCLE_1)
	s_mov_b32 s0, exec_lo
	v_cmpx_lt_u32_e64 v63, v21
	s_cbranch_execz .LBB1954_605
	s_branch .LBB1954_661
.LBB1954_646:                           ;   in Loop: Header=BB1954_606 Depth=2
	s_or_b32 exec_lo, exec_lo, s0
	s_delay_alu instid0(SALU_CYCLE_1)
	s_mov_b32 s0, exec_lo
	v_cmpx_lt_u32_e64 v45, v21
	s_cbranch_execz .LBB1954_632
.LBB1954_647:                           ;   in Loop: Header=BB1954_606 Depth=2
	v_cmp_gt_i16_e32 vcc_lo, 0, v18
	v_lshlrev_b32_e32 v5, 2, v48
	v_cndmask_b32_e64 v4, 0x7fff, 0, vcc_lo
	s_delay_alu instid0(VALU_DEP_1) | instskip(NEXT) | instid1(VALU_DEP_1)
	v_xor_b32_e32 v4, v4, v18
	v_cmp_ne_u16_e32 vcc_lo, 0x8000, v4
	v_cndmask_b32_e32 v4, 0x7fff, v4, vcc_lo
	s_delay_alu instid0(VALU_DEP_1) | instskip(NEXT) | instid1(VALU_DEP_1)
	v_and_b32_e32 v4, 0xffff, v4
	v_lshrrev_b32_e32 v4, s49, v4
	s_delay_alu instid0(VALU_DEP_1) | instskip(NEXT) | instid1(VALU_DEP_1)
	v_and_b32_e32 v4, s55, v4
	v_lshl_or_b32 v4, v4, 4, v5
	ds_add_u32 v4, v94
	s_or_b32 exec_lo, exec_lo, s0
	s_delay_alu instid0(SALU_CYCLE_1)
	s_mov_b32 s0, exec_lo
	v_cmpx_lt_u32_e64 v46, v21
	s_cbranch_execnz .LBB1954_633
.LBB1954_648:                           ;   in Loop: Header=BB1954_606 Depth=2
	s_or_b32 exec_lo, exec_lo, s0
	s_delay_alu instid0(SALU_CYCLE_1)
	s_mov_b32 s0, exec_lo
	v_cmpx_lt_u32_e64 v47, v21
	s_cbranch_execz .LBB1954_634
.LBB1954_649:                           ;   in Loop: Header=BB1954_606 Depth=2
	v_cmp_gt_i16_e32 vcc_lo, 0, v16
	v_lshlrev_b32_e32 v5, 2, v48
	v_cndmask_b32_e64 v4, 0x7fff, 0, vcc_lo
	s_delay_alu instid0(VALU_DEP_1) | instskip(NEXT) | instid1(VALU_DEP_1)
	v_xor_b32_e32 v4, v4, v16
	v_cmp_ne_u16_e32 vcc_lo, 0x8000, v4
	v_cndmask_b32_e32 v4, 0x7fff, v4, vcc_lo
	s_delay_alu instid0(VALU_DEP_1) | instskip(NEXT) | instid1(VALU_DEP_1)
	v_and_b32_e32 v4, 0xffff, v4
	v_lshrrev_b32_e32 v4, s49, v4
	s_delay_alu instid0(VALU_DEP_1) | instskip(NEXT) | instid1(VALU_DEP_1)
	v_and_b32_e32 v4, s55, v4
	v_lshl_or_b32 v4, v4, 4, v5
	ds_add_u32 v4, v94
	s_or_b32 exec_lo, exec_lo, s0
	s_delay_alu instid0(SALU_CYCLE_1)
	s_mov_b32 s0, exec_lo
	v_cmpx_lt_u32_e64 v51, v21
	s_cbranch_execnz .LBB1954_635
.LBB1954_650:                           ;   in Loop: Header=BB1954_606 Depth=2
	s_or_b32 exec_lo, exec_lo, s0
	s_delay_alu instid0(SALU_CYCLE_1)
	s_mov_b32 s0, exec_lo
	v_cmpx_lt_u32_e64 v52, v21
	s_cbranch_execz .LBB1954_636
.LBB1954_651:                           ;   in Loop: Header=BB1954_606 Depth=2
	v_cmp_gt_i16_e32 vcc_lo, 0, v14
	v_lshlrev_b32_e32 v5, 2, v48
	v_cndmask_b32_e64 v4, 0x7fff, 0, vcc_lo
	s_delay_alu instid0(VALU_DEP_1) | instskip(NEXT) | instid1(VALU_DEP_1)
	v_xor_b32_e32 v4, v4, v14
	v_cmp_ne_u16_e32 vcc_lo, 0x8000, v4
	v_cndmask_b32_e32 v4, 0x7fff, v4, vcc_lo
	s_delay_alu instid0(VALU_DEP_1) | instskip(NEXT) | instid1(VALU_DEP_1)
	v_and_b32_e32 v4, 0xffff, v4
	v_lshrrev_b32_e32 v4, s49, v4
	s_delay_alu instid0(VALU_DEP_1) | instskip(NEXT) | instid1(VALU_DEP_1)
	v_and_b32_e32 v4, s55, v4
	v_lshl_or_b32 v4, v4, 4, v5
	ds_add_u32 v4, v94
	s_or_b32 exec_lo, exec_lo, s0
	s_delay_alu instid0(SALU_CYCLE_1)
	s_mov_b32 s0, exec_lo
	v_cmpx_lt_u32_e64 v53, v21
	s_cbranch_execnz .LBB1954_637
.LBB1954_652:                           ;   in Loop: Header=BB1954_606 Depth=2
	s_or_b32 exec_lo, exec_lo, s0
	s_delay_alu instid0(SALU_CYCLE_1)
	s_mov_b32 s0, exec_lo
	v_cmpx_lt_u32_e64 v54, v21
	s_cbranch_execz .LBB1954_638
.LBB1954_653:                           ;   in Loop: Header=BB1954_606 Depth=2
	v_cmp_gt_i16_e32 vcc_lo, 0, v12
	v_lshlrev_b32_e32 v5, 2, v48
	v_cndmask_b32_e64 v4, 0x7fff, 0, vcc_lo
	s_delay_alu instid0(VALU_DEP_1) | instskip(NEXT) | instid1(VALU_DEP_1)
	v_xor_b32_e32 v4, v4, v12
	v_cmp_ne_u16_e32 vcc_lo, 0x8000, v4
	v_cndmask_b32_e32 v4, 0x7fff, v4, vcc_lo
	s_delay_alu instid0(VALU_DEP_1) | instskip(NEXT) | instid1(VALU_DEP_1)
	v_and_b32_e32 v4, 0xffff, v4
	v_lshrrev_b32_e32 v4, s49, v4
	s_delay_alu instid0(VALU_DEP_1) | instskip(NEXT) | instid1(VALU_DEP_1)
	v_and_b32_e32 v4, s55, v4
	v_lshl_or_b32 v4, v4, 4, v5
	ds_add_u32 v4, v94
	s_or_b32 exec_lo, exec_lo, s0
	s_delay_alu instid0(SALU_CYCLE_1)
	s_mov_b32 s0, exec_lo
	v_cmpx_lt_u32_e64 v55, v21
	s_cbranch_execnz .LBB1954_639
.LBB1954_654:                           ;   in Loop: Header=BB1954_606 Depth=2
	s_or_b32 exec_lo, exec_lo, s0
	s_delay_alu instid0(SALU_CYCLE_1)
	s_mov_b32 s0, exec_lo
	v_cmpx_lt_u32_e64 v56, v21
	s_cbranch_execz .LBB1954_640
.LBB1954_655:                           ;   in Loop: Header=BB1954_606 Depth=2
	v_cmp_gt_i16_e32 vcc_lo, 0, v10
	v_lshlrev_b32_e32 v5, 2, v48
	v_cndmask_b32_e64 v4, 0x7fff, 0, vcc_lo
	s_delay_alu instid0(VALU_DEP_1) | instskip(NEXT) | instid1(VALU_DEP_1)
	v_xor_b32_e32 v4, v4, v10
	v_cmp_ne_u16_e32 vcc_lo, 0x8000, v4
	v_cndmask_b32_e32 v4, 0x7fff, v4, vcc_lo
	s_delay_alu instid0(VALU_DEP_1) | instskip(NEXT) | instid1(VALU_DEP_1)
	v_and_b32_e32 v4, 0xffff, v4
	v_lshrrev_b32_e32 v4, s49, v4
	s_delay_alu instid0(VALU_DEP_1) | instskip(NEXT) | instid1(VALU_DEP_1)
	v_and_b32_e32 v4, s55, v4
	v_lshl_or_b32 v4, v4, 4, v5
	ds_add_u32 v4, v94
	s_or_b32 exec_lo, exec_lo, s0
	s_delay_alu instid0(SALU_CYCLE_1)
	s_mov_b32 s0, exec_lo
	v_cmpx_lt_u32_e64 v57, v21
	s_cbranch_execnz .LBB1954_641
.LBB1954_656:                           ;   in Loop: Header=BB1954_606 Depth=2
	s_or_b32 exec_lo, exec_lo, s0
	s_delay_alu instid0(SALU_CYCLE_1)
	s_mov_b32 s0, exec_lo
	v_cmpx_lt_u32_e64 v58, v21
	s_cbranch_execz .LBB1954_642
.LBB1954_657:                           ;   in Loop: Header=BB1954_606 Depth=2
	v_cmp_gt_i16_e32 vcc_lo, 0, v8
	v_lshlrev_b32_e32 v5, 2, v48
	v_cndmask_b32_e64 v4, 0x7fff, 0, vcc_lo
	s_delay_alu instid0(VALU_DEP_1) | instskip(NEXT) | instid1(VALU_DEP_1)
	v_xor_b32_e32 v4, v4, v8
	v_cmp_ne_u16_e32 vcc_lo, 0x8000, v4
	v_cndmask_b32_e32 v4, 0x7fff, v4, vcc_lo
	s_delay_alu instid0(VALU_DEP_1) | instskip(NEXT) | instid1(VALU_DEP_1)
	v_and_b32_e32 v4, 0xffff, v4
	v_lshrrev_b32_e32 v4, s49, v4
	s_delay_alu instid0(VALU_DEP_1) | instskip(NEXT) | instid1(VALU_DEP_1)
	v_and_b32_e32 v4, s55, v4
	v_lshl_or_b32 v4, v4, 4, v5
	ds_add_u32 v4, v94
	s_or_b32 exec_lo, exec_lo, s0
	s_delay_alu instid0(SALU_CYCLE_1)
	s_mov_b32 s0, exec_lo
	v_cmpx_lt_u32_e64 v59, v21
	s_cbranch_execnz .LBB1954_643
.LBB1954_658:                           ;   in Loop: Header=BB1954_606 Depth=2
	s_or_b32 exec_lo, exec_lo, s0
	s_delay_alu instid0(SALU_CYCLE_1)
	s_mov_b32 s0, exec_lo
	v_cmpx_lt_u32_e64 v60, v21
	s_cbranch_execz .LBB1954_644
.LBB1954_659:                           ;   in Loop: Header=BB1954_606 Depth=2
	v_cmp_gt_i16_e32 vcc_lo, 0, v6
	v_lshlrev_b32_e32 v5, 2, v48
	v_cndmask_b32_e64 v4, 0x7fff, 0, vcc_lo
	s_delay_alu instid0(VALU_DEP_1) | instskip(NEXT) | instid1(VALU_DEP_1)
	v_xor_b32_e32 v4, v4, v6
	v_cmp_ne_u16_e32 vcc_lo, 0x8000, v4
	v_cndmask_b32_e32 v4, 0x7fff, v4, vcc_lo
	s_delay_alu instid0(VALU_DEP_1) | instskip(NEXT) | instid1(VALU_DEP_1)
	v_and_b32_e32 v4, 0xffff, v4
	v_lshrrev_b32_e32 v4, s49, v4
	s_delay_alu instid0(VALU_DEP_1) | instskip(NEXT) | instid1(VALU_DEP_1)
	v_and_b32_e32 v4, s55, v4
	v_lshl_or_b32 v4, v4, 4, v5
	ds_add_u32 v4, v94
	s_or_b32 exec_lo, exec_lo, s0
	s_delay_alu instid0(SALU_CYCLE_1)
	s_mov_b32 s0, exec_lo
	v_cmpx_lt_u32_e64 v61, v21
	s_cbranch_execnz .LBB1954_645
.LBB1954_660:                           ;   in Loop: Header=BB1954_606 Depth=2
	s_or_b32 exec_lo, exec_lo, s0
	s_delay_alu instid0(SALU_CYCLE_1)
	s_mov_b32 s0, exec_lo
	v_cmpx_lt_u32_e64 v63, v21
	s_cbranch_execz .LBB1954_605
.LBB1954_661:                           ;   in Loop: Header=BB1954_606 Depth=2
	s_waitcnt vmcnt(0)
	v_cmp_gt_i16_e32 vcc_lo, 0, v20
	v_lshlrev_b32_e32 v5, 2, v48
	v_cndmask_b32_e64 v4, 0x7fff, 0, vcc_lo
	s_delay_alu instid0(VALU_DEP_1) | instskip(NEXT) | instid1(VALU_DEP_1)
	v_xor_b32_e32 v4, v4, v20
	v_cmp_ne_u16_e32 vcc_lo, 0x8000, v4
	v_cndmask_b32_e32 v4, 0x7fff, v4, vcc_lo
	s_delay_alu instid0(VALU_DEP_1) | instskip(NEXT) | instid1(VALU_DEP_1)
	v_and_b32_e32 v4, 0xffff, v4
	v_lshrrev_b32_e32 v4, s49, v4
	s_delay_alu instid0(VALU_DEP_1) | instskip(NEXT) | instid1(VALU_DEP_1)
	v_and_b32_e32 v4, s55, v4
	v_lshl_or_b32 v4, v4, 4, v5
	ds_add_u32 v4, v94
	s_branch .LBB1954_605
.LBB1954_662:                           ;   in Loop: Header=BB1954_606 Depth=2
	s_or_b32 exec_lo, exec_lo, s11
	s_delay_alu instid0(SALU_CYCLE_1)
	s_mov_b32 s11, exec_lo
	v_cmpx_gt_u32_e64 s8, v45
	s_cbranch_execz .LBB1954_612
.LBB1954_663:                           ;   in Loop: Header=BB1954_606 Depth=2
	global_load_u16 v18, v95, s[0:1] offset:512
	s_or_b32 exec_lo, exec_lo, s11
	s_delay_alu instid0(SALU_CYCLE_1)
	s_mov_b32 s11, exec_lo
	v_cmpx_gt_u32_e64 s8, v46
	s_cbranch_execnz .LBB1954_613
.LBB1954_664:                           ;   in Loop: Header=BB1954_606 Depth=2
	s_or_b32 exec_lo, exec_lo, s11
	s_delay_alu instid0(SALU_CYCLE_1)
	s_mov_b32 s11, exec_lo
	v_cmpx_gt_u32_e64 s8, v47
	s_cbranch_execz .LBB1954_614
.LBB1954_665:                           ;   in Loop: Header=BB1954_606 Depth=2
	global_load_u16 v16, v95, s[0:1] offset:1536
	s_or_b32 exec_lo, exec_lo, s11
	s_delay_alu instid0(SALU_CYCLE_1)
	s_mov_b32 s11, exec_lo
	v_cmpx_gt_u32_e64 s8, v51
	s_cbranch_execnz .LBB1954_615
.LBB1954_666:                           ;   in Loop: Header=BB1954_606 Depth=2
	s_or_b32 exec_lo, exec_lo, s11
	s_delay_alu instid0(SALU_CYCLE_1)
	s_mov_b32 s11, exec_lo
	v_cmpx_gt_u32_e64 s8, v52
	s_cbranch_execz .LBB1954_616
.LBB1954_667:                           ;   in Loop: Header=BB1954_606 Depth=2
	global_load_u16 v14, v95, s[0:1] offset:2560
	s_or_b32 exec_lo, exec_lo, s11
	s_delay_alu instid0(SALU_CYCLE_1)
	s_mov_b32 s11, exec_lo
	v_cmpx_gt_u32_e64 s8, v53
	s_cbranch_execnz .LBB1954_617
.LBB1954_668:                           ;   in Loop: Header=BB1954_606 Depth=2
	s_or_b32 exec_lo, exec_lo, s11
	s_delay_alu instid0(SALU_CYCLE_1)
	s_mov_b32 s11, exec_lo
	v_cmpx_gt_u32_e64 s8, v54
	s_cbranch_execz .LBB1954_618
.LBB1954_669:                           ;   in Loop: Header=BB1954_606 Depth=2
	global_load_u16 v12, v95, s[0:1] offset:3584
	s_or_b32 exec_lo, exec_lo, s11
	s_delay_alu instid0(SALU_CYCLE_1)
	s_mov_b32 s11, exec_lo
	v_cmpx_gt_u32_e64 s8, v55
	s_cbranch_execnz .LBB1954_619
.LBB1954_670:                           ;   in Loop: Header=BB1954_606 Depth=2
	s_or_b32 exec_lo, exec_lo, s11
	s_delay_alu instid0(SALU_CYCLE_1)
	s_mov_b32 s11, exec_lo
	v_cmpx_gt_u32_e64 s8, v56
	s_cbranch_execz .LBB1954_620
.LBB1954_671:                           ;   in Loop: Header=BB1954_606 Depth=2
	global_load_u16 v10, v97, s[0:1]
	s_or_b32 exec_lo, exec_lo, s11
	s_delay_alu instid0(SALU_CYCLE_1)
	s_mov_b32 s11, exec_lo
	v_cmpx_gt_u32_e64 s8, v57
	s_cbranch_execnz .LBB1954_621
.LBB1954_672:                           ;   in Loop: Header=BB1954_606 Depth=2
	s_or_b32 exec_lo, exec_lo, s11
	s_delay_alu instid0(SALU_CYCLE_1)
	s_mov_b32 s11, exec_lo
	v_cmpx_gt_u32_e64 s8, v58
	s_cbranch_execz .LBB1954_622
.LBB1954_673:                           ;   in Loop: Header=BB1954_606 Depth=2
	global_load_u16 v8, v99, s[0:1]
	s_or_b32 exec_lo, exec_lo, s11
	s_delay_alu instid0(SALU_CYCLE_1)
	s_mov_b32 s11, exec_lo
	v_cmpx_gt_u32_e64 s8, v59
	s_cbranch_execnz .LBB1954_623
.LBB1954_674:                           ;   in Loop: Header=BB1954_606 Depth=2
	s_or_b32 exec_lo, exec_lo, s11
	s_delay_alu instid0(SALU_CYCLE_1)
	s_mov_b32 s11, exec_lo
	v_cmpx_gt_u32_e64 s8, v60
	s_cbranch_execz .LBB1954_624
.LBB1954_675:                           ;   in Loop: Header=BB1954_606 Depth=2
	global_load_u16 v6, v101, s[0:1]
	s_or_b32 exec_lo, exec_lo, s11
	s_delay_alu instid0(SALU_CYCLE_1)
	s_mov_b32 s11, exec_lo
	v_cmpx_gt_u32_e64 s8, v61
	s_cbranch_execz .LBB1954_626
	s_branch .LBB1954_625
.LBB1954_676:                           ;   in Loop: Header=BB1954_12 Depth=1
	v_mov_b32_e32 v2, 0
	s_waitcnt vmcnt(0) lgkmcnt(0)
	s_barrier
	buffer_gl0_inv
	s_and_saveexec_b32 s0, s2
	s_cbranch_execz .LBB1954_678
; %bb.677:                              ;   in Loop: Header=BB1954_12 Depth=1
	ds_load_2addr_b64 v[4:7], v64 offset1:1
	s_waitcnt lgkmcnt(0)
	v_add_nc_u32_e32 v2, v5, v4
	s_delay_alu instid0(VALU_DEP_1)
	v_add3_u32 v2, v2, v6, v7
.LBB1954_678:                           ;   in Loop: Header=BB1954_12 Depth=1
	s_or_b32 exec_lo, exec_lo, s0
	v_and_b32_e32 v4, 15, v104
	s_delay_alu instid0(VALU_DEP_2) | instskip(SKIP_1) | instid1(VALU_DEP_3)
	v_mov_b32_dpp v5, v2 row_shr:1 row_mask:0xf bank_mask:0xf
	v_and_b32_e32 v6, 16, v104
	v_cmp_eq_u32_e64 s0, 0, v4
	v_cmp_lt_u32_e64 s1, 1, v4
	v_cmp_lt_u32_e64 s8, 3, v4
	;; [unrolled: 1-line block ×3, first 2 shown]
	v_cmp_eq_u32_e64 s10, 0, v6
	v_cndmask_b32_e64 v5, v5, 0, s0
	s_delay_alu instid0(VALU_DEP_1) | instskip(NEXT) | instid1(VALU_DEP_1)
	v_add_nc_u32_e32 v2, v5, v2
	v_mov_b32_dpp v5, v2 row_shr:2 row_mask:0xf bank_mask:0xf
	s_delay_alu instid0(VALU_DEP_1) | instskip(NEXT) | instid1(VALU_DEP_1)
	v_cndmask_b32_e64 v5, 0, v5, s1
	v_add_nc_u32_e32 v2, v2, v5
	s_delay_alu instid0(VALU_DEP_1) | instskip(NEXT) | instid1(VALU_DEP_1)
	v_mov_b32_dpp v5, v2 row_shr:4 row_mask:0xf bank_mask:0xf
	v_cndmask_b32_e64 v5, 0, v5, s8
	s_delay_alu instid0(VALU_DEP_1) | instskip(NEXT) | instid1(VALU_DEP_1)
	v_add_nc_u32_e32 v2, v2, v5
	v_mov_b32_dpp v5, v2 row_shr:8 row_mask:0xf bank_mask:0xf
	s_delay_alu instid0(VALU_DEP_1) | instskip(SKIP_1) | instid1(VALU_DEP_2)
	v_cndmask_b32_e64 v4, 0, v5, s9
	v_bfe_i32 v5, v104, 4, 1
	v_add_nc_u32_e32 v2, v2, v4
	ds_swizzle_b32 v4, v2 offset:swizzle(BROADCAST,32,15)
	s_waitcnt lgkmcnt(0)
	v_and_b32_e32 v4, v5, v4
	s_delay_alu instid0(VALU_DEP_1)
	v_add_nc_u32_e32 v4, v2, v4
	s_and_saveexec_b32 s11, s3
	s_cbranch_execz .LBB1954_680
; %bb.679:                              ;   in Loop: Header=BB1954_12 Depth=1
	ds_store_b32 v65, v4
.LBB1954_680:                           ;   in Loop: Header=BB1954_12 Depth=1
	s_or_b32 exec_lo, exec_lo, s11
	v_and_b32_e32 v2, 7, v104
	s_waitcnt lgkmcnt(0)
	s_barrier
	buffer_gl0_inv
	s_and_saveexec_b32 s11, s4
	s_cbranch_execz .LBB1954_682
; %bb.681:                              ;   in Loop: Header=BB1954_12 Depth=1
	ds_load_b32 v5, v66
	v_cmp_ne_u32_e32 vcc_lo, 0, v2
	s_waitcnt lgkmcnt(0)
	v_mov_b32_dpp v6, v5 row_shr:1 row_mask:0xf bank_mask:0xf
	s_delay_alu instid0(VALU_DEP_1) | instskip(SKIP_1) | instid1(VALU_DEP_2)
	v_cndmask_b32_e32 v6, 0, v6, vcc_lo
	v_cmp_lt_u32_e32 vcc_lo, 1, v2
	v_add_nc_u32_e32 v5, v6, v5
	s_delay_alu instid0(VALU_DEP_1) | instskip(NEXT) | instid1(VALU_DEP_1)
	v_mov_b32_dpp v6, v5 row_shr:2 row_mask:0xf bank_mask:0xf
	v_cndmask_b32_e32 v6, 0, v6, vcc_lo
	v_cmp_lt_u32_e32 vcc_lo, 3, v2
	s_delay_alu instid0(VALU_DEP_2) | instskip(NEXT) | instid1(VALU_DEP_1)
	v_add_nc_u32_e32 v5, v5, v6
	v_mov_b32_dpp v6, v5 row_shr:4 row_mask:0xf bank_mask:0xf
	s_delay_alu instid0(VALU_DEP_1) | instskip(NEXT) | instid1(VALU_DEP_1)
	v_cndmask_b32_e32 v6, 0, v6, vcc_lo
	v_add_nc_u32_e32 v5, v5, v6
	ds_store_b32 v66, v5
.LBB1954_682:                           ;   in Loop: Header=BB1954_12 Depth=1
	s_or_b32 exec_lo, exec_lo, s11
	v_mov_b32_e32 v5, 0
	s_waitcnt lgkmcnt(0)
	s_barrier
	buffer_gl0_inv
	s_and_saveexec_b32 s11, s5
	s_cbranch_execz .LBB1954_684
; %bb.683:                              ;   in Loop: Header=BB1954_12 Depth=1
	ds_load_b32 v5, v67
.LBB1954_684:                           ;   in Loop: Header=BB1954_12 Depth=1
	s_or_b32 exec_lo, exec_lo, s11
	v_add_nc_u32_e32 v6, -1, v104
	s_waitcnt lgkmcnt(0)
	v_add_nc_u32_e32 v4, v5, v4
	v_cmp_eq_u32_e64 s11, 0, v104
	s_barrier
	v_cmp_gt_i32_e32 vcc_lo, 0, v6
	buffer_gl0_inv
	v_cndmask_b32_e32 v6, v6, v104, vcc_lo
	s_delay_alu instid0(VALU_DEP_1)
	v_lshlrev_b32_e32 v105, 2, v6
	ds_bpermute_b32 v4, v105, v4
	s_and_saveexec_b32 s12, s2
	s_cbranch_execz .LBB1954_686
; %bb.685:                              ;   in Loop: Header=BB1954_12 Depth=1
	s_waitcnt lgkmcnt(0)
	v_cndmask_b32_e64 v4, v4, v5, s11
	s_delay_alu instid0(VALU_DEP_1)
	v_add_nc_u32_e32 v4, s52, v4
	ds_store_b32 v44, v4
.LBB1954_686:                           ;   in Loop: Header=BB1954_12 Depth=1
	s_or_b32 exec_lo, exec_lo, s12
	s_load_b64 s[12:13], s[42:43], 0x0
	v_lshlrev_b32_e32 v5, 3, v104
	v_cmp_lt_u32_e64 s14, 3, v2
	v_or_b32_e32 v106, v104, v68
	s_mov_b32 s56, s54
	s_mov_b32 s34, s52
	v_add_co_u32 v107, vcc_lo, v90, v5
	v_add_co_ci_u32_e32 v108, vcc_lo, 0, v91, vcc_lo
	v_or_b32_e32 v109, 32, v106
	v_or_b32_e32 v110, 64, v106
	;; [unrolled: 1-line block ×10, first 2 shown]
	s_waitcnt lgkmcnt(0)
	s_cmp_lt_u32 s15, s13
	v_or_b32_e32 v119, 0x160, v106
	s_cselect_b32 s13, 14, 20
	v_or_b32_e32 v120, 0x180, v106
	s_add_u32 s16, s42, s13
	s_addc_u32 s17, s43, 0
	s_cmp_lt_u32 s26, s12
	global_load_u16 v4, v3, s[16:17]
	s_cselect_b32 s12, 12, 18
	v_or_b32_e32 v121, 0x1a0, v106
	s_add_u32 s12, s42, s12
	s_addc_u32 s13, s43, 0
	v_or_b32_e32 v122, 0x1c0, v106
	global_load_u16 v6, v3, s[12:13]
	v_cmp_eq_u32_e64 s12, 0, v2
	v_cmp_lt_u32_e64 s13, 1, v2
	v_lshlrev_b32_e32 v2, 1, v104
	v_or_b32_e32 v123, 0x1e0, v106
                                        ; implicit-def: $vgpr8_vgpr9
                                        ; implicit-def: $vgpr10_vgpr11
                                        ; implicit-def: $vgpr12_vgpr13
                                        ; implicit-def: $vgpr14_vgpr15
                                        ; implicit-def: $vgpr16_vgpr17
                                        ; implicit-def: $vgpr18_vgpr19
                                        ; implicit-def: $vgpr20_vgpr21
                                        ; implicit-def: $vgpr22_vgpr23
                                        ; implicit-def: $vgpr24_vgpr25
                                        ; implicit-def: $vgpr26_vgpr27
                                        ; implicit-def: $vgpr28_vgpr29
                                        ; implicit-def: $vgpr30_vgpr31
                                        ; implicit-def: $vgpr32_vgpr33
                                        ; implicit-def: $vgpr34_vgpr35
                                        ; implicit-def: $vgpr129
                                        ; implicit-def: $vgpr130
                                        ; implicit-def: $vgpr131
                                        ; implicit-def: $vgpr132
                                        ; implicit-def: $vgpr133
                                        ; implicit-def: $vgpr134
                                        ; implicit-def: $vgpr135
                                        ; implicit-def: $vgpr136
                                        ; implicit-def: $vgpr137
                                        ; implicit-def: $vgpr138
                                        ; implicit-def: $vgpr139
                                        ; implicit-def: $vgpr140
                                        ; implicit-def: $vgpr141
                                        ; implicit-def: $vgpr142
                                        ; implicit-def: $vgpr143
                                        ; implicit-def: $vgpr144
	s_delay_alu instid0(VALU_DEP_2) | instskip(SKIP_1) | instid1(VALU_DEP_2)
	v_add_co_u32 v124, vcc_lo, v92, v2
	v_add_co_ci_u32_e32 v125, vcc_lo, 0, v93, vcc_lo
	v_add_co_u32 v127, vcc_lo, 0x3c0, v124
	s_delay_alu instid0(VALU_DEP_2) | instskip(SKIP_3) | instid1(VALU_DEP_1)
	v_add_co_ci_u32_e32 v128, vcc_lo, 0, v125, vcc_lo
	s_waitcnt vmcnt(1)
	v_mad_u32_u24 v7, v70, v4, v0
	s_waitcnt vmcnt(0)
	v_mad_u64_u32 v[4:5], null, v7, v6, v[1:2]
                                        ; implicit-def: $vgpr6_vgpr7
	s_delay_alu instid0(VALU_DEP_1)
	v_lshrrev_b32_e32 v126, 5, v4
                                        ; implicit-def: $vgpr4_vgpr5
	s_branch .LBB1954_688
.LBB1954_687:                           ;   in Loop: Header=BB1954_688 Depth=2
	s_or_b32 exec_lo, exec_lo, s16
	s_addk_i32 s56, 0xf000
	s_cmp_lt_u32 s57, s53
	s_mov_b32 s34, s57
	s_cbranch_scc0 .LBB1954_896
.LBB1954_688:                           ;   Parent Loop BB1954_12 Depth=1
                                        ; =>  This Inner Loop Header: Depth=2
	s_add_i32 s57, s34, 0x1000
	s_delay_alu instid0(SALU_CYCLE_1)
	s_cmp_gt_u32 s57, s53
	s_cbranch_scc1 .LBB1954_691
; %bb.689:                              ;   in Loop: Header=BB1954_688 Depth=2
	s_mov_b32 s17, 0
	s_mov_b32 s16, s34
	s_delay_alu instid0(SALU_CYCLE_1) | instskip(NEXT) | instid1(SALU_CYCLE_1)
	s_lshl_b64 s[18:19], s[16:17], 1
	v_add_co_u32 v36, vcc_lo, v124, s18
	v_add_co_ci_u32_e32 v37, vcc_lo, s19, v125, vcc_lo
	s_mov_b32 s19, -1
	s_movk_i32 s18, 0x1000
	s_clause 0xe
	global_load_u16 v2, v[36:37], off
	global_load_u16 v146, v[36:37], off offset:64
	global_load_u16 v149, v[36:37], off offset:128
	;; [unrolled: 1-line block ×14, first 2 shown]
	s_cbranch_execz .LBB1954_692
; %bb.690:                              ;   in Loop: Header=BB1954_688 Depth=2
                                        ; implicit-def: $sgpr20
	v_dual_mov_b32 v36, s20 :: v_dual_mov_b32 v145, s56
	s_and_saveexec_b32 s20, s19
	s_cbranch_execnz .LBB1954_723
	s_branch .LBB1954_724
.LBB1954_691:                           ;   in Loop: Header=BB1954_688 Depth=2
	s_mov_b32 s17, -1
	s_mov_b32 s19, 0
                                        ; implicit-def: $sgpr18
                                        ; implicit-def: $vgpr2
                                        ; implicit-def: $vgpr146
                                        ; implicit-def: $vgpr149
                                        ; implicit-def: $vgpr153
                                        ; implicit-def: $vgpr157
                                        ; implicit-def: $vgpr161
                                        ; implicit-def: $vgpr165
                                        ; implicit-def: $vgpr170
                                        ; implicit-def: $vgpr169
                                        ; implicit-def: $vgpr43
                                        ; implicit-def: $vgpr42
                                        ; implicit-def: $vgpr41
                                        ; implicit-def: $vgpr40
                                        ; implicit-def: $vgpr39
                                        ; implicit-def: $vgpr38
.LBB1954_692:                           ;   in Loop: Header=BB1954_688 Depth=2
	s_lshl_b64 s[16:17], s[34:35], 1
	s_waitcnt vmcnt(13)
	v_mov_b32_e32 v146, -1
	v_add_co_u32 v36, vcc_lo, v124, s16
	v_add_co_ci_u32_e32 v37, vcc_lo, s17, v125, vcc_lo
	v_mov_b32_e32 v2, -1
	s_mov_b32 s16, exec_lo
	v_cmpx_gt_u32_e64 s56, v106
	s_cbranch_execz .LBB1954_694
; %bb.693:                              ;   in Loop: Header=BB1954_688 Depth=2
	global_load_u16 v2, v[36:37], off
.LBB1954_694:                           ;   in Loop: Header=BB1954_688 Depth=2
	s_or_b32 exec_lo, exec_lo, s16
	s_delay_alu instid0(SALU_CYCLE_1)
	s_mov_b32 s16, exec_lo
	v_cmpx_gt_u32_e64 s56, v109
	s_cbranch_execz .LBB1954_696
; %bb.695:                              ;   in Loop: Header=BB1954_688 Depth=2
	global_load_u16 v146, v[36:37], off offset:64
.LBB1954_696:                           ;   in Loop: Header=BB1954_688 Depth=2
	s_or_b32 exec_lo, exec_lo, s16
	s_waitcnt vmcnt(11)
	v_mov_b32_e32 v153, -1
	v_mov_b32_e32 v149, -1
	s_mov_b32 s16, exec_lo
	v_cmpx_gt_u32_e64 s56, v110
	s_cbranch_execz .LBB1954_698
; %bb.697:                              ;   in Loop: Header=BB1954_688 Depth=2
	global_load_u16 v149, v[36:37], off offset:128
.LBB1954_698:                           ;   in Loop: Header=BB1954_688 Depth=2
	s_or_b32 exec_lo, exec_lo, s16
	s_delay_alu instid0(SALU_CYCLE_1)
	s_mov_b32 s16, exec_lo
	v_cmpx_gt_u32_e64 s56, v111
	s_cbranch_execz .LBB1954_700
; %bb.699:                              ;   in Loop: Header=BB1954_688 Depth=2
	global_load_u16 v153, v[36:37], off offset:192
.LBB1954_700:                           ;   in Loop: Header=BB1954_688 Depth=2
	s_or_b32 exec_lo, exec_lo, s16
	s_waitcnt vmcnt(9)
	v_mov_b32_e32 v161, -1
	v_mov_b32_e32 v157, -1
	s_mov_b32 s16, exec_lo
	v_cmpx_gt_u32_e64 s56, v112
	s_cbranch_execz .LBB1954_702
; %bb.701:                              ;   in Loop: Header=BB1954_688 Depth=2
	global_load_u16 v157, v[36:37], off offset:256
.LBB1954_702:                           ;   in Loop: Header=BB1954_688 Depth=2
	s_or_b32 exec_lo, exec_lo, s16
	s_delay_alu instid0(SALU_CYCLE_1)
	s_mov_b32 s16, exec_lo
	v_cmpx_gt_u32_e64 s56, v113
	s_cbranch_execz .LBB1954_704
; %bb.703:                              ;   in Loop: Header=BB1954_688 Depth=2
	global_load_u16 v161, v[36:37], off offset:320
.LBB1954_704:                           ;   in Loop: Header=BB1954_688 Depth=2
	s_or_b32 exec_lo, exec_lo, s16
	s_waitcnt vmcnt(7)
	v_dual_mov_b32 v170, -1 :: v_dual_mov_b32 v165, -1
	s_mov_b32 s16, exec_lo
	v_cmpx_gt_u32_e64 s56, v114
	s_cbranch_execz .LBB1954_706
; %bb.705:                              ;   in Loop: Header=BB1954_688 Depth=2
	global_load_u16 v165, v[36:37], off offset:384
.LBB1954_706:                           ;   in Loop: Header=BB1954_688 Depth=2
	s_or_b32 exec_lo, exec_lo, s16
	s_delay_alu instid0(SALU_CYCLE_1)
	s_mov_b32 s16, exec_lo
	v_cmpx_gt_u32_e64 s56, v115
	s_cbranch_execz .LBB1954_708
; %bb.707:                              ;   in Loop: Header=BB1954_688 Depth=2
	global_load_u16 v170, v[36:37], off offset:448
.LBB1954_708:                           ;   in Loop: Header=BB1954_688 Depth=2
	s_or_b32 exec_lo, exec_lo, s16
	s_waitcnt vmcnt(5)
	v_mov_b32_e32 v43, -1
	v_mov_b32_e32 v169, -1
	s_mov_b32 s16, exec_lo
	v_cmpx_gt_u32_e64 s56, v116
	s_cbranch_execz .LBB1954_710
; %bb.709:                              ;   in Loop: Header=BB1954_688 Depth=2
	global_load_u16 v169, v[36:37], off offset:512
.LBB1954_710:                           ;   in Loop: Header=BB1954_688 Depth=2
	s_or_b32 exec_lo, exec_lo, s16
	s_delay_alu instid0(SALU_CYCLE_1)
	s_mov_b32 s16, exec_lo
	v_cmpx_gt_u32_e64 s56, v117
	s_cbranch_execz .LBB1954_712
; %bb.711:                              ;   in Loop: Header=BB1954_688 Depth=2
	global_load_u16 v43, v[36:37], off offset:576
.LBB1954_712:                           ;   in Loop: Header=BB1954_688 Depth=2
	s_or_b32 exec_lo, exec_lo, s16
	s_waitcnt vmcnt(3)
	v_dual_mov_b32 v41, -1 :: v_dual_mov_b32 v42, -1
	s_mov_b32 s16, exec_lo
	v_cmpx_gt_u32_e64 s56, v118
	s_cbranch_execz .LBB1954_714
; %bb.713:                              ;   in Loop: Header=BB1954_688 Depth=2
	global_load_u16 v42, v[36:37], off offset:640
.LBB1954_714:                           ;   in Loop: Header=BB1954_688 Depth=2
	s_or_b32 exec_lo, exec_lo, s16
	s_delay_alu instid0(SALU_CYCLE_1)
	s_mov_b32 s16, exec_lo
	v_cmpx_gt_u32_e64 s56, v119
	s_cbranch_execz .LBB1954_716
; %bb.715:                              ;   in Loop: Header=BB1954_688 Depth=2
	global_load_u16 v41, v[36:37], off offset:704
.LBB1954_716:                           ;   in Loop: Header=BB1954_688 Depth=2
	s_or_b32 exec_lo, exec_lo, s16
	s_waitcnt vmcnt(1)
	v_dual_mov_b32 v39, -1 :: v_dual_mov_b32 v40, -1
	s_mov_b32 s16, exec_lo
	v_cmpx_gt_u32_e64 s56, v120
	s_cbranch_execz .LBB1954_718
; %bb.717:                              ;   in Loop: Header=BB1954_688 Depth=2
	global_load_u16 v40, v[36:37], off offset:768
.LBB1954_718:                           ;   in Loop: Header=BB1954_688 Depth=2
	s_or_b32 exec_lo, exec_lo, s16
	s_delay_alu instid0(SALU_CYCLE_1)
	s_mov_b32 s16, exec_lo
	v_cmpx_gt_u32_e64 s56, v121
	s_cbranch_execz .LBB1954_720
; %bb.719:                              ;   in Loop: Header=BB1954_688 Depth=2
	global_load_u16 v39, v[36:37], off offset:832
.LBB1954_720:                           ;   in Loop: Header=BB1954_688 Depth=2
	s_or_b32 exec_lo, exec_lo, s16
	s_waitcnt vmcnt(0)
	v_mov_b32_e32 v38, -1
	s_mov_b32 s16, exec_lo
	v_cmpx_gt_u32_e64 s56, v122
	s_cbranch_execz .LBB1954_722
; %bb.721:                              ;   in Loop: Header=BB1954_688 Depth=2
	global_load_u16 v38, v[36:37], off offset:896
.LBB1954_722:                           ;   in Loop: Header=BB1954_688 Depth=2
	s_or_b32 exec_lo, exec_lo, s16
	v_cmp_gt_u32_e64 s19, s56, v123
	s_sub_i32 s18, s53, s34
	s_mov_b32 s20, -1
	s_mov_b64 s[16:17], s[34:35]
	v_dual_mov_b32 v36, s20 :: v_dual_mov_b32 v145, s56
	s_and_saveexec_b32 s20, s19
	s_cbranch_execz .LBB1954_724
.LBB1954_723:                           ;   in Loop: Header=BB1954_688 Depth=2
	s_lshl_b64 s[16:17], s[16:17], 1
	v_mov_b32_e32 v145, s18
	v_add_co_u32 v36, vcc_lo, v127, s16
	v_add_co_ci_u32_e32 v37, vcc_lo, s17, v128, vcc_lo
	global_load_u16 v36, v[36:37], off
.LBB1954_724:                           ;   in Loop: Header=BB1954_688 Depth=2
	s_or_b32 exec_lo, exec_lo, s20
	s_waitcnt vmcnt(14)
	v_cmp_gt_i16_e32 vcc_lo, 0, v2
	ds_store_b32 v69, v3 offset:1056
	ds_store_2addr_b32 v71, v3, v3 offset0:1 offset1:2
	ds_store_2addr_b32 v71, v3, v3 offset0:3 offset1:4
	;; [unrolled: 1-line block ×4, first 2 shown]
	s_waitcnt vmcnt(0) lgkmcnt(0)
	s_barrier
	v_cndmask_b32_e64 v37, 0x7fff, 0, vcc_lo
	buffer_gl0_inv
	; wave barrier
	v_xor_b32_e32 v2, v37, v2
	s_delay_alu instid0(VALU_DEP_1) | instskip(SKIP_1) | instid1(VALU_DEP_1)
	v_cmp_ne_u16_e32 vcc_lo, 0x8000, v2
	v_cndmask_b32_e32 v37, 0x7fff, v2, vcc_lo
	v_and_b32_e32 v37, 0xffff, v37
	s_delay_alu instid0(VALU_DEP_1) | instskip(NEXT) | instid1(VALU_DEP_1)
	v_lshrrev_b32_e32 v37, s49, v37
	v_and_b32_e32 v148, s55, v37
	s_delay_alu instid0(VALU_DEP_1)
	v_lshlrev_b32_e32 v150, 29, v148
	v_and_b32_e32 v37, 1, v148
	v_lshlrev_b32_e32 v147, 30, v148
	v_lshlrev_b32_e32 v151, 28, v148
	;; [unrolled: 1-line block ×4, first 2 shown]
	v_add_co_u32 v37, s16, v37, -1
	s_delay_alu instid0(VALU_DEP_1)
	v_cndmask_b32_e64 v152, 0, 1, s16
	v_not_b32_e32 v158, v147
	v_cmp_gt_i32_e64 s16, 0, v147
	v_not_b32_e32 v147, v150
	v_lshlrev_b32_e32 v156, 25, v148
	v_cmp_ne_u32_e32 vcc_lo, 0, v152
	v_ashrrev_i32_e32 v158, 31, v158
	v_lshlrev_b32_e32 v152, 24, v148
	v_ashrrev_i32_e32 v147, 31, v147
	v_mad_u32_u24 v148, v148, 9, v126
	v_xor_b32_e32 v37, vcc_lo, v37
	v_cmp_gt_i32_e32 vcc_lo, 0, v150
	v_not_b32_e32 v150, v151
	v_xor_b32_e32 v158, s16, v158
	v_cmp_gt_i32_e64 s16, 0, v151
	v_and_b32_e32 v37, exec_lo, v37
	v_not_b32_e32 v151, v154
	v_ashrrev_i32_e32 v150, 31, v150
	v_xor_b32_e32 v147, vcc_lo, v147
	v_cmp_gt_i32_e32 vcc_lo, 0, v154
	v_and_b32_e32 v37, v37, v158
	v_not_b32_e32 v154, v155
	v_ashrrev_i32_e32 v151, 31, v151
	v_xor_b32_e32 v150, s16, v150
	v_cmp_gt_i32_e64 s16, 0, v155
	v_and_b32_e32 v37, v37, v147
	v_not_b32_e32 v147, v156
	v_ashrrev_i32_e32 v154, 31, v154
	v_xor_b32_e32 v151, vcc_lo, v151
	v_cmp_gt_i32_e32 vcc_lo, 0, v156
	v_and_b32_e32 v37, v37, v150
	v_not_b32_e32 v150, v152
	v_ashrrev_i32_e32 v147, 31, v147
	v_xor_b32_e32 v154, s16, v154
	v_cmp_gt_i32_e64 s16, 0, v152
	v_and_b32_e32 v37, v37, v151
	v_ashrrev_i32_e32 v150, 31, v150
	v_xor_b32_e32 v147, vcc_lo, v147
	v_lshl_add_u32 v148, v148, 2, 0x420
	s_delay_alu instid0(VALU_DEP_4) | instskip(NEXT) | instid1(VALU_DEP_4)
	v_and_b32_e32 v37, v37, v154
	v_xor_b32_e32 v150, s16, v150
	s_delay_alu instid0(VALU_DEP_2) | instskip(NEXT) | instid1(VALU_DEP_1)
	v_and_b32_e32 v37, v37, v147
	v_and_b32_e32 v37, v37, v150
	s_delay_alu instid0(VALU_DEP_1) | instskip(SKIP_1) | instid1(VALU_DEP_2)
	v_mbcnt_lo_u32_b32 v147, v37, 0
	v_cmp_ne_u32_e64 s16, 0, v37
	v_cmp_eq_u32_e32 vcc_lo, 0, v147
	s_delay_alu instid0(VALU_DEP_2) | instskip(NEXT) | instid1(SALU_CYCLE_1)
	s_and_b32 s17, s16, vcc_lo
	s_and_saveexec_b32 s16, s17
	s_cbranch_execz .LBB1954_726
; %bb.725:                              ;   in Loop: Header=BB1954_688 Depth=2
	v_bcnt_u32_b32 v37, v37, 0
	ds_store_b32 v148, v37
.LBB1954_726:                           ;   in Loop: Header=BB1954_688 Depth=2
	s_or_b32 exec_lo, exec_lo, s16
	v_cmp_gt_i16_e64 vcc_lo, 0, v146
	; wave barrier
	s_delay_alu instid0(VALU_DEP_1) | instskip(NEXT) | instid1(VALU_DEP_1)
	v_cndmask_b32_e64 v37, 0x7fff, 0, vcc_lo
	v_xor_b32_e32 v146, v37, v146
	s_delay_alu instid0(VALU_DEP_1) | instskip(SKIP_1) | instid1(VALU_DEP_1)
	v_cmp_ne_u16_e64 vcc_lo, 0x8000, v146
	v_cndmask_b32_e32 v37, 0x7fff, v146, vcc_lo
	v_and_b32_e32 v37, 0xffff, v37
	s_delay_alu instid0(VALU_DEP_1) | instskip(NEXT) | instid1(VALU_DEP_1)
	v_lshrrev_b32_e32 v37, s49, v37
	v_and_b32_e32 v37, s55, v37
	s_delay_alu instid0(VALU_DEP_1)
	v_and_b32_e32 v150, 1, v37
	v_lshlrev_b32_e32 v151, 30, v37
	v_lshlrev_b32_e32 v152, 29, v37
	;; [unrolled: 1-line block ×4, first 2 shown]
	v_add_co_u32 v150, s16, v150, -1
	s_delay_alu instid0(VALU_DEP_1)
	v_cndmask_b32_e64 v155, 0, 1, s16
	v_not_b32_e32 v160, v151
	v_cmp_gt_i32_e64 s16, 0, v151
	v_not_b32_e32 v151, v152
	v_lshlrev_b32_e32 v158, 26, v37
	v_cmp_ne_u32_e32 vcc_lo, 0, v155
	v_ashrrev_i32_e32 v160, 31, v160
	v_lshlrev_b32_e32 v159, 25, v37
	v_ashrrev_i32_e32 v151, 31, v151
	v_lshlrev_b32_e32 v155, 24, v37
	v_xor_b32_e32 v150, vcc_lo, v150
	v_cmp_gt_i32_e32 vcc_lo, 0, v152
	v_not_b32_e32 v152, v154
	v_xor_b32_e32 v160, s16, v160
	v_cmp_gt_i32_e64 s16, 0, v154
	v_and_b32_e32 v150, exec_lo, v150
	v_not_b32_e32 v154, v156
	v_ashrrev_i32_e32 v152, 31, v152
	v_xor_b32_e32 v151, vcc_lo, v151
	v_cmp_gt_i32_e32 vcc_lo, 0, v156
	v_and_b32_e32 v150, v150, v160
	v_not_b32_e32 v156, v158
	v_ashrrev_i32_e32 v154, 31, v154
	v_xor_b32_e32 v152, s16, v152
	v_cmp_gt_i32_e64 s16, 0, v158
	v_and_b32_e32 v150, v150, v151
	v_not_b32_e32 v151, v159
	v_ashrrev_i32_e32 v156, 31, v156
	v_xor_b32_e32 v154, vcc_lo, v154
	v_cmp_gt_i32_e32 vcc_lo, 0, v159
	v_and_b32_e32 v150, v150, v152
	v_not_b32_e32 v152, v155
	v_ashrrev_i32_e32 v151, 31, v151
	v_xor_b32_e32 v156, s16, v156
	v_mul_u32_u24_e32 v37, 9, v37
	v_and_b32_e32 v150, v150, v154
	v_cmp_gt_i32_e64 s16, 0, v155
	v_ashrrev_i32_e32 v152, 31, v152
	v_xor_b32_e32 v151, vcc_lo, v151
	v_add_lshl_u32 v154, v37, v126, 2
	v_and_b32_e32 v150, v150, v156
	s_delay_alu instid0(VALU_DEP_4) | instskip(NEXT) | instid1(VALU_DEP_3)
	v_xor_b32_e32 v37, s16, v152
	v_add_nc_u32_e32 v152, 0x420, v154
	s_delay_alu instid0(VALU_DEP_3) | instskip(SKIP_2) | instid1(VALU_DEP_1)
	v_and_b32_e32 v151, v150, v151
	ds_load_b32 v150, v154 offset:1056
	; wave barrier
	v_and_b32_e32 v37, v151, v37
	v_mbcnt_lo_u32_b32 v151, v37, 0
	v_cmp_ne_u32_e64 s16, 0, v37
	s_delay_alu instid0(VALU_DEP_2) | instskip(NEXT) | instid1(VALU_DEP_2)
	v_cmp_eq_u32_e32 vcc_lo, 0, v151
	s_and_b32 s17, s16, vcc_lo
	s_delay_alu instid0(SALU_CYCLE_1)
	s_and_saveexec_b32 s16, s17
	s_cbranch_execz .LBB1954_728
; %bb.727:                              ;   in Loop: Header=BB1954_688 Depth=2
	s_waitcnt lgkmcnt(0)
	v_bcnt_u32_b32 v37, v37, v150
	ds_store_b32 v152, v37
.LBB1954_728:                           ;   in Loop: Header=BB1954_688 Depth=2
	s_or_b32 exec_lo, exec_lo, s16
	v_cmp_gt_i16_e64 vcc_lo, 0, v149
	; wave barrier
	s_delay_alu instid0(VALU_DEP_1) | instskip(NEXT) | instid1(VALU_DEP_1)
	v_cndmask_b32_e64 v37, 0x7fff, 0, vcc_lo
	v_xor_b32_e32 v149, v37, v149
	s_delay_alu instid0(VALU_DEP_1) | instskip(SKIP_1) | instid1(VALU_DEP_1)
	v_cmp_ne_u16_e64 vcc_lo, 0x8000, v149
	v_cndmask_b32_e32 v37, 0x7fff, v149, vcc_lo
	v_and_b32_e32 v37, 0xffff, v37
	s_delay_alu instid0(VALU_DEP_1) | instskip(NEXT) | instid1(VALU_DEP_1)
	v_lshrrev_b32_e32 v37, s49, v37
	v_and_b32_e32 v37, s55, v37
	s_delay_alu instid0(VALU_DEP_1)
	v_and_b32_e32 v154, 1, v37
	v_lshlrev_b32_e32 v155, 30, v37
	v_lshlrev_b32_e32 v156, 29, v37
	;; [unrolled: 1-line block ×4, first 2 shown]
	v_add_co_u32 v154, s16, v154, -1
	s_delay_alu instid0(VALU_DEP_1)
	v_cndmask_b32_e64 v159, 0, 1, s16
	v_not_b32_e32 v164, v155
	v_cmp_gt_i32_e64 s16, 0, v155
	v_not_b32_e32 v155, v156
	v_lshlrev_b32_e32 v162, 26, v37
	v_cmp_ne_u32_e32 vcc_lo, 0, v159
	v_ashrrev_i32_e32 v164, 31, v164
	v_lshlrev_b32_e32 v163, 25, v37
	v_ashrrev_i32_e32 v155, 31, v155
	v_lshlrev_b32_e32 v159, 24, v37
	v_xor_b32_e32 v154, vcc_lo, v154
	v_cmp_gt_i32_e32 vcc_lo, 0, v156
	v_not_b32_e32 v156, v158
	v_xor_b32_e32 v164, s16, v164
	v_cmp_gt_i32_e64 s16, 0, v158
	v_and_b32_e32 v154, exec_lo, v154
	v_not_b32_e32 v158, v160
	v_ashrrev_i32_e32 v156, 31, v156
	v_xor_b32_e32 v155, vcc_lo, v155
	v_cmp_gt_i32_e32 vcc_lo, 0, v160
	v_and_b32_e32 v154, v154, v164
	v_not_b32_e32 v160, v162
	v_ashrrev_i32_e32 v158, 31, v158
	v_xor_b32_e32 v156, s16, v156
	v_cmp_gt_i32_e64 s16, 0, v162
	v_and_b32_e32 v154, v154, v155
	v_not_b32_e32 v155, v163
	v_ashrrev_i32_e32 v160, 31, v160
	v_xor_b32_e32 v158, vcc_lo, v158
	v_cmp_gt_i32_e32 vcc_lo, 0, v163
	v_and_b32_e32 v154, v154, v156
	v_not_b32_e32 v156, v159
	v_ashrrev_i32_e32 v155, 31, v155
	v_xor_b32_e32 v160, s16, v160
	v_mul_u32_u24_e32 v37, 9, v37
	v_and_b32_e32 v154, v154, v158
	v_cmp_gt_i32_e64 s16, 0, v159
	v_ashrrev_i32_e32 v156, 31, v156
	v_xor_b32_e32 v155, vcc_lo, v155
	v_add_lshl_u32 v158, v37, v126, 2
	v_and_b32_e32 v154, v154, v160
	s_delay_alu instid0(VALU_DEP_4) | instskip(NEXT) | instid1(VALU_DEP_3)
	v_xor_b32_e32 v37, s16, v156
	v_add_nc_u32_e32 v156, 0x420, v158
	s_delay_alu instid0(VALU_DEP_3) | instskip(SKIP_2) | instid1(VALU_DEP_1)
	v_and_b32_e32 v155, v154, v155
	ds_load_b32 v154, v158 offset:1056
	; wave barrier
	v_and_b32_e32 v37, v155, v37
	v_mbcnt_lo_u32_b32 v155, v37, 0
	v_cmp_ne_u32_e64 s16, 0, v37
	s_delay_alu instid0(VALU_DEP_2) | instskip(NEXT) | instid1(VALU_DEP_2)
	v_cmp_eq_u32_e32 vcc_lo, 0, v155
	s_and_b32 s17, s16, vcc_lo
	s_delay_alu instid0(SALU_CYCLE_1)
	s_and_saveexec_b32 s16, s17
	s_cbranch_execz .LBB1954_730
; %bb.729:                              ;   in Loop: Header=BB1954_688 Depth=2
	s_waitcnt lgkmcnt(0)
	v_bcnt_u32_b32 v37, v37, v154
	ds_store_b32 v156, v37
.LBB1954_730:                           ;   in Loop: Header=BB1954_688 Depth=2
	s_or_b32 exec_lo, exec_lo, s16
	v_cmp_gt_i16_e64 vcc_lo, 0, v153
	; wave barrier
	s_delay_alu instid0(VALU_DEP_1) | instskip(NEXT) | instid1(VALU_DEP_1)
	v_cndmask_b32_e64 v37, 0x7fff, 0, vcc_lo
	v_xor_b32_e32 v153, v37, v153
	s_delay_alu instid0(VALU_DEP_1) | instskip(SKIP_1) | instid1(VALU_DEP_1)
	v_cmp_ne_u16_e64 vcc_lo, 0x8000, v153
	v_cndmask_b32_e32 v37, 0x7fff, v153, vcc_lo
	v_and_b32_e32 v37, 0xffff, v37
	s_delay_alu instid0(VALU_DEP_1) | instskip(NEXT) | instid1(VALU_DEP_1)
	v_lshrrev_b32_e32 v37, s49, v37
	v_and_b32_e32 v37, s55, v37
	s_delay_alu instid0(VALU_DEP_1)
	v_and_b32_e32 v158, 1, v37
	v_lshlrev_b32_e32 v159, 30, v37
	v_lshlrev_b32_e32 v160, 29, v37
	;; [unrolled: 1-line block ×4, first 2 shown]
	v_add_co_u32 v158, s16, v158, -1
	s_delay_alu instid0(VALU_DEP_1)
	v_cndmask_b32_e64 v163, 0, 1, s16
	v_not_b32_e32 v168, v159
	v_cmp_gt_i32_e64 s16, 0, v159
	v_not_b32_e32 v159, v160
	v_lshlrev_b32_e32 v166, 26, v37
	v_cmp_ne_u32_e32 vcc_lo, 0, v163
	v_ashrrev_i32_e32 v168, 31, v168
	v_lshlrev_b32_e32 v167, 25, v37
	v_ashrrev_i32_e32 v159, 31, v159
	v_lshlrev_b32_e32 v163, 24, v37
	v_xor_b32_e32 v158, vcc_lo, v158
	v_cmp_gt_i32_e32 vcc_lo, 0, v160
	v_not_b32_e32 v160, v162
	v_xor_b32_e32 v168, s16, v168
	v_cmp_gt_i32_e64 s16, 0, v162
	v_and_b32_e32 v158, exec_lo, v158
	v_not_b32_e32 v162, v164
	v_ashrrev_i32_e32 v160, 31, v160
	v_xor_b32_e32 v159, vcc_lo, v159
	v_cmp_gt_i32_e32 vcc_lo, 0, v164
	v_and_b32_e32 v158, v158, v168
	v_not_b32_e32 v164, v166
	v_ashrrev_i32_e32 v162, 31, v162
	v_xor_b32_e32 v160, s16, v160
	v_cmp_gt_i32_e64 s16, 0, v166
	v_and_b32_e32 v158, v158, v159
	v_not_b32_e32 v159, v167
	v_ashrrev_i32_e32 v164, 31, v164
	v_xor_b32_e32 v162, vcc_lo, v162
	v_cmp_gt_i32_e32 vcc_lo, 0, v167
	v_and_b32_e32 v158, v158, v160
	v_not_b32_e32 v160, v163
	v_ashrrev_i32_e32 v159, 31, v159
	v_xor_b32_e32 v164, s16, v164
	v_mul_u32_u24_e32 v37, 9, v37
	v_and_b32_e32 v158, v158, v162
	v_cmp_gt_i32_e64 s16, 0, v163
	v_ashrrev_i32_e32 v160, 31, v160
	v_xor_b32_e32 v159, vcc_lo, v159
	v_add_lshl_u32 v162, v37, v126, 2
	v_and_b32_e32 v158, v158, v164
	s_delay_alu instid0(VALU_DEP_4) | instskip(NEXT) | instid1(VALU_DEP_3)
	v_xor_b32_e32 v37, s16, v160
	v_add_nc_u32_e32 v160, 0x420, v162
	s_delay_alu instid0(VALU_DEP_3) | instskip(SKIP_2) | instid1(VALU_DEP_1)
	v_and_b32_e32 v159, v158, v159
	ds_load_b32 v158, v162 offset:1056
	; wave barrier
	v_and_b32_e32 v37, v159, v37
	v_mbcnt_lo_u32_b32 v159, v37, 0
	v_cmp_ne_u32_e64 s16, 0, v37
	s_delay_alu instid0(VALU_DEP_2) | instskip(NEXT) | instid1(VALU_DEP_2)
	v_cmp_eq_u32_e32 vcc_lo, 0, v159
	s_and_b32 s17, s16, vcc_lo
	s_delay_alu instid0(SALU_CYCLE_1)
	s_and_saveexec_b32 s16, s17
	s_cbranch_execz .LBB1954_732
; %bb.731:                              ;   in Loop: Header=BB1954_688 Depth=2
	s_waitcnt lgkmcnt(0)
	v_bcnt_u32_b32 v37, v37, v158
	ds_store_b32 v160, v37
.LBB1954_732:                           ;   in Loop: Header=BB1954_688 Depth=2
	s_or_b32 exec_lo, exec_lo, s16
	v_cmp_gt_i16_e64 vcc_lo, 0, v157
	; wave barrier
	s_delay_alu instid0(VALU_DEP_1) | instskip(NEXT) | instid1(VALU_DEP_1)
	v_cndmask_b32_e64 v37, 0x7fff, 0, vcc_lo
	v_xor_b32_e32 v157, v37, v157
	s_delay_alu instid0(VALU_DEP_1) | instskip(SKIP_1) | instid1(VALU_DEP_1)
	v_cmp_ne_u16_e64 vcc_lo, 0x8000, v157
	v_cndmask_b32_e32 v37, 0x7fff, v157, vcc_lo
	v_and_b32_e32 v37, 0xffff, v37
	s_delay_alu instid0(VALU_DEP_1) | instskip(NEXT) | instid1(VALU_DEP_1)
	v_lshrrev_b32_e32 v37, s49, v37
	v_and_b32_e32 v37, s55, v37
	s_delay_alu instid0(VALU_DEP_1)
	v_and_b32_e32 v162, 1, v37
	v_lshlrev_b32_e32 v163, 30, v37
	v_lshlrev_b32_e32 v164, 29, v37
	;; [unrolled: 1-line block ×4, first 2 shown]
	v_add_co_u32 v162, s16, v162, -1
	s_delay_alu instid0(VALU_DEP_1)
	v_cndmask_b32_e64 v167, 0, 1, s16
	v_not_b32_e32 v173, v163
	v_cmp_gt_i32_e64 s16, 0, v163
	v_not_b32_e32 v163, v164
	v_lshlrev_b32_e32 v171, 26, v37
	v_cmp_ne_u32_e32 vcc_lo, 0, v167
	v_ashrrev_i32_e32 v173, 31, v173
	v_lshlrev_b32_e32 v172, 25, v37
	v_ashrrev_i32_e32 v163, 31, v163
	v_lshlrev_b32_e32 v167, 24, v37
	v_xor_b32_e32 v162, vcc_lo, v162
	v_cmp_gt_i32_e32 vcc_lo, 0, v164
	v_not_b32_e32 v164, v166
	v_xor_b32_e32 v173, s16, v173
	v_cmp_gt_i32_e64 s16, 0, v166
	v_and_b32_e32 v162, exec_lo, v162
	v_not_b32_e32 v166, v168
	v_ashrrev_i32_e32 v164, 31, v164
	v_xor_b32_e32 v163, vcc_lo, v163
	v_cmp_gt_i32_e32 vcc_lo, 0, v168
	v_and_b32_e32 v162, v162, v173
	v_not_b32_e32 v168, v171
	v_ashrrev_i32_e32 v166, 31, v166
	v_xor_b32_e32 v164, s16, v164
	v_cmp_gt_i32_e64 s16, 0, v171
	v_and_b32_e32 v162, v162, v163
	v_not_b32_e32 v163, v172
	v_ashrrev_i32_e32 v168, 31, v168
	v_xor_b32_e32 v166, vcc_lo, v166
	v_cmp_gt_i32_e32 vcc_lo, 0, v172
	v_and_b32_e32 v162, v162, v164
	v_not_b32_e32 v164, v167
	v_ashrrev_i32_e32 v163, 31, v163
	v_xor_b32_e32 v168, s16, v168
	v_mul_u32_u24_e32 v37, 9, v37
	v_and_b32_e32 v162, v162, v166
	v_cmp_gt_i32_e64 s16, 0, v167
	v_ashrrev_i32_e32 v164, 31, v164
	v_xor_b32_e32 v163, vcc_lo, v163
	v_add_lshl_u32 v166, v37, v126, 2
	v_and_b32_e32 v162, v162, v168
	s_delay_alu instid0(VALU_DEP_4) | instskip(NEXT) | instid1(VALU_DEP_3)
	v_xor_b32_e32 v37, s16, v164
	v_add_nc_u32_e32 v164, 0x420, v166
	s_delay_alu instid0(VALU_DEP_3) | instskip(SKIP_2) | instid1(VALU_DEP_1)
	v_and_b32_e32 v163, v162, v163
	ds_load_b32 v162, v166 offset:1056
	; wave barrier
	v_and_b32_e32 v37, v163, v37
	v_mbcnt_lo_u32_b32 v163, v37, 0
	v_cmp_ne_u32_e64 s16, 0, v37
	s_delay_alu instid0(VALU_DEP_2) | instskip(NEXT) | instid1(VALU_DEP_2)
	v_cmp_eq_u32_e32 vcc_lo, 0, v163
	s_and_b32 s17, s16, vcc_lo
	s_delay_alu instid0(SALU_CYCLE_1)
	s_and_saveexec_b32 s16, s17
	s_cbranch_execz .LBB1954_734
; %bb.733:                              ;   in Loop: Header=BB1954_688 Depth=2
	s_waitcnt lgkmcnt(0)
	v_bcnt_u32_b32 v37, v37, v162
	ds_store_b32 v164, v37
.LBB1954_734:                           ;   in Loop: Header=BB1954_688 Depth=2
	s_or_b32 exec_lo, exec_lo, s16
	v_cmp_gt_i16_e64 vcc_lo, 0, v161
	; wave barrier
	s_delay_alu instid0(VALU_DEP_1) | instskip(NEXT) | instid1(VALU_DEP_1)
	v_cndmask_b32_e64 v37, 0x7fff, 0, vcc_lo
	v_xor_b32_e32 v161, v37, v161
	s_delay_alu instid0(VALU_DEP_1) | instskip(SKIP_1) | instid1(VALU_DEP_1)
	v_cmp_ne_u16_e64 vcc_lo, 0x8000, v161
	v_cndmask_b32_e32 v37, 0x7fff, v161, vcc_lo
	v_and_b32_e32 v37, 0xffff, v37
	s_delay_alu instid0(VALU_DEP_1) | instskip(NEXT) | instid1(VALU_DEP_1)
	v_lshrrev_b32_e32 v37, s49, v37
	v_and_b32_e32 v37, s55, v37
	s_delay_alu instid0(VALU_DEP_1)
	v_and_b32_e32 v166, 1, v37
	v_lshlrev_b32_e32 v167, 30, v37
	v_lshlrev_b32_e32 v168, 29, v37
	v_lshlrev_b32_e32 v171, 28, v37
	v_lshlrev_b32_e32 v173, 27, v37
	v_add_co_u32 v166, s16, v166, -1
	s_delay_alu instid0(VALU_DEP_1)
	v_cndmask_b32_e64 v172, 0, 1, s16
	v_not_b32_e32 v176, v167
	v_cmp_gt_i32_e64 s16, 0, v167
	v_not_b32_e32 v167, v168
	v_lshlrev_b32_e32 v174, 26, v37
	v_cmp_ne_u32_e32 vcc_lo, 0, v172
	v_ashrrev_i32_e32 v176, 31, v176
	v_lshlrev_b32_e32 v175, 25, v37
	v_ashrrev_i32_e32 v167, 31, v167
	v_lshlrev_b32_e32 v172, 24, v37
	v_xor_b32_e32 v166, vcc_lo, v166
	v_cmp_gt_i32_e32 vcc_lo, 0, v168
	v_not_b32_e32 v168, v171
	v_xor_b32_e32 v176, s16, v176
	v_cmp_gt_i32_e64 s16, 0, v171
	v_and_b32_e32 v166, exec_lo, v166
	v_not_b32_e32 v171, v173
	v_ashrrev_i32_e32 v168, 31, v168
	v_xor_b32_e32 v167, vcc_lo, v167
	v_cmp_gt_i32_e32 vcc_lo, 0, v173
	v_and_b32_e32 v166, v166, v176
	v_not_b32_e32 v173, v174
	v_ashrrev_i32_e32 v171, 31, v171
	v_xor_b32_e32 v168, s16, v168
	v_cmp_gt_i32_e64 s16, 0, v174
	v_and_b32_e32 v166, v166, v167
	v_not_b32_e32 v167, v175
	v_ashrrev_i32_e32 v173, 31, v173
	v_xor_b32_e32 v171, vcc_lo, v171
	v_cmp_gt_i32_e32 vcc_lo, 0, v175
	v_and_b32_e32 v166, v166, v168
	v_not_b32_e32 v168, v172
	v_ashrrev_i32_e32 v167, 31, v167
	v_xor_b32_e32 v173, s16, v173
	v_mul_u32_u24_e32 v37, 9, v37
	v_and_b32_e32 v166, v166, v171
	v_cmp_gt_i32_e64 s16, 0, v172
	v_ashrrev_i32_e32 v168, 31, v168
	v_xor_b32_e32 v167, vcc_lo, v167
	v_add_lshl_u32 v171, v37, v126, 2
	v_and_b32_e32 v166, v166, v173
	s_delay_alu instid0(VALU_DEP_4) | instskip(NEXT) | instid1(VALU_DEP_3)
	v_xor_b32_e32 v37, s16, v168
	v_add_nc_u32_e32 v168, 0x420, v171
	s_delay_alu instid0(VALU_DEP_3) | instskip(SKIP_2) | instid1(VALU_DEP_1)
	v_and_b32_e32 v167, v166, v167
	ds_load_b32 v166, v171 offset:1056
	; wave barrier
	v_and_b32_e32 v37, v167, v37
	v_mbcnt_lo_u32_b32 v167, v37, 0
	v_cmp_ne_u32_e64 s16, 0, v37
	s_delay_alu instid0(VALU_DEP_2) | instskip(NEXT) | instid1(VALU_DEP_2)
	v_cmp_eq_u32_e32 vcc_lo, 0, v167
	s_and_b32 s17, s16, vcc_lo
	s_delay_alu instid0(SALU_CYCLE_1)
	s_and_saveexec_b32 s16, s17
	s_cbranch_execz .LBB1954_736
; %bb.735:                              ;   in Loop: Header=BB1954_688 Depth=2
	s_waitcnt lgkmcnt(0)
	v_bcnt_u32_b32 v37, v37, v166
	ds_store_b32 v168, v37
.LBB1954_736:                           ;   in Loop: Header=BB1954_688 Depth=2
	s_or_b32 exec_lo, exec_lo, s16
	v_cmp_gt_i16_e64 vcc_lo, 0, v165
	; wave barrier
	s_delay_alu instid0(VALU_DEP_1) | instskip(NEXT) | instid1(VALU_DEP_1)
	v_cndmask_b32_e64 v37, 0x7fff, 0, vcc_lo
	v_xor_b32_e32 v165, v37, v165
	s_delay_alu instid0(VALU_DEP_1) | instskip(SKIP_1) | instid1(VALU_DEP_1)
	v_cmp_ne_u16_e64 vcc_lo, 0x8000, v165
	v_cndmask_b32_e32 v37, 0x7fff, v165, vcc_lo
	v_and_b32_e32 v37, 0xffff, v37
	s_delay_alu instid0(VALU_DEP_1) | instskip(NEXT) | instid1(VALU_DEP_1)
	v_lshrrev_b32_e32 v37, s49, v37
	v_and_b32_e32 v37, s55, v37
	s_delay_alu instid0(VALU_DEP_1)
	v_and_b32_e32 v171, 1, v37
	v_lshlrev_b32_e32 v172, 30, v37
	v_lshlrev_b32_e32 v173, 29, v37
	;; [unrolled: 1-line block ×4, first 2 shown]
	v_add_co_u32 v171, s16, v171, -1
	s_delay_alu instid0(VALU_DEP_1)
	v_cndmask_b32_e64 v175, 0, 1, s16
	v_not_b32_e32 v179, v172
	v_cmp_gt_i32_e64 s16, 0, v172
	v_not_b32_e32 v172, v173
	v_lshlrev_b32_e32 v177, 26, v37
	v_cmp_ne_u32_e32 vcc_lo, 0, v175
	v_ashrrev_i32_e32 v179, 31, v179
	v_lshlrev_b32_e32 v178, 25, v37
	v_ashrrev_i32_e32 v172, 31, v172
	v_lshlrev_b32_e32 v175, 24, v37
	v_xor_b32_e32 v171, vcc_lo, v171
	v_cmp_gt_i32_e32 vcc_lo, 0, v173
	v_not_b32_e32 v173, v174
	v_xor_b32_e32 v179, s16, v179
	v_cmp_gt_i32_e64 s16, 0, v174
	v_and_b32_e32 v171, exec_lo, v171
	v_not_b32_e32 v174, v176
	v_ashrrev_i32_e32 v173, 31, v173
	v_xor_b32_e32 v172, vcc_lo, v172
	v_cmp_gt_i32_e32 vcc_lo, 0, v176
	v_and_b32_e32 v171, v171, v179
	v_not_b32_e32 v176, v177
	v_ashrrev_i32_e32 v174, 31, v174
	v_xor_b32_e32 v173, s16, v173
	v_cmp_gt_i32_e64 s16, 0, v177
	v_and_b32_e32 v171, v171, v172
	v_not_b32_e32 v172, v178
	v_ashrrev_i32_e32 v176, 31, v176
	v_xor_b32_e32 v174, vcc_lo, v174
	v_cmp_gt_i32_e32 vcc_lo, 0, v178
	v_and_b32_e32 v171, v171, v173
	v_not_b32_e32 v173, v175
	v_ashrrev_i32_e32 v172, 31, v172
	v_xor_b32_e32 v176, s16, v176
	v_mul_u32_u24_e32 v37, 9, v37
	v_and_b32_e32 v171, v171, v174
	v_cmp_gt_i32_e64 s16, 0, v175
	v_ashrrev_i32_e32 v173, 31, v173
	v_xor_b32_e32 v172, vcc_lo, v172
	v_add_lshl_u32 v174, v37, v126, 2
	v_and_b32_e32 v171, v171, v176
	s_delay_alu instid0(VALU_DEP_4) | instskip(NEXT) | instid1(VALU_DEP_3)
	v_xor_b32_e32 v37, s16, v173
	v_add_nc_u32_e32 v173, 0x420, v174
	s_delay_alu instid0(VALU_DEP_3) | instskip(SKIP_2) | instid1(VALU_DEP_1)
	v_and_b32_e32 v172, v171, v172
	ds_load_b32 v171, v174 offset:1056
	; wave barrier
	v_and_b32_e32 v37, v172, v37
	v_mbcnt_lo_u32_b32 v172, v37, 0
	v_cmp_ne_u32_e64 s16, 0, v37
	s_delay_alu instid0(VALU_DEP_2) | instskip(NEXT) | instid1(VALU_DEP_2)
	v_cmp_eq_u32_e32 vcc_lo, 0, v172
	s_and_b32 s17, s16, vcc_lo
	s_delay_alu instid0(SALU_CYCLE_1)
	s_and_saveexec_b32 s16, s17
	s_cbranch_execz .LBB1954_738
; %bb.737:                              ;   in Loop: Header=BB1954_688 Depth=2
	s_waitcnt lgkmcnt(0)
	v_bcnt_u32_b32 v37, v37, v171
	ds_store_b32 v173, v37
.LBB1954_738:                           ;   in Loop: Header=BB1954_688 Depth=2
	s_or_b32 exec_lo, exec_lo, s16
	v_cmp_gt_i16_e64 vcc_lo, 0, v170
	; wave barrier
	s_delay_alu instid0(VALU_DEP_1) | instskip(NEXT) | instid1(VALU_DEP_1)
	v_cndmask_b32_e64 v37, 0x7fff, 0, vcc_lo
	v_xor_b32_e32 v170, v37, v170
	s_delay_alu instid0(VALU_DEP_1) | instskip(SKIP_1) | instid1(VALU_DEP_1)
	v_cmp_ne_u16_e64 vcc_lo, 0x8000, v170
	v_cndmask_b32_e32 v37, 0x7fff, v170, vcc_lo
	v_and_b32_e32 v37, 0xffff, v37
	s_delay_alu instid0(VALU_DEP_1) | instskip(NEXT) | instid1(VALU_DEP_1)
	v_lshrrev_b32_e32 v37, s49, v37
	v_and_b32_e32 v37, s55, v37
	s_delay_alu instid0(VALU_DEP_1)
	v_and_b32_e32 v174, 1, v37
	v_lshlrev_b32_e32 v175, 30, v37
	v_lshlrev_b32_e32 v176, 29, v37
	v_lshlrev_b32_e32 v177, 28, v37
	v_lshlrev_b32_e32 v179, 27, v37
	v_add_co_u32 v174, s16, v174, -1
	s_delay_alu instid0(VALU_DEP_1)
	v_cndmask_b32_e64 v178, 0, 1, s16
	v_not_b32_e32 v182, v175
	v_cmp_gt_i32_e64 s16, 0, v175
	v_not_b32_e32 v175, v176
	v_lshlrev_b32_e32 v180, 26, v37
	v_cmp_ne_u32_e32 vcc_lo, 0, v178
	v_ashrrev_i32_e32 v182, 31, v182
	v_lshlrev_b32_e32 v181, 25, v37
	v_ashrrev_i32_e32 v175, 31, v175
	v_lshlrev_b32_e32 v178, 24, v37
	v_xor_b32_e32 v174, vcc_lo, v174
	v_cmp_gt_i32_e32 vcc_lo, 0, v176
	v_not_b32_e32 v176, v177
	v_xor_b32_e32 v182, s16, v182
	v_cmp_gt_i32_e64 s16, 0, v177
	v_and_b32_e32 v174, exec_lo, v174
	v_not_b32_e32 v177, v179
	v_ashrrev_i32_e32 v176, 31, v176
	v_xor_b32_e32 v175, vcc_lo, v175
	v_cmp_gt_i32_e32 vcc_lo, 0, v179
	v_and_b32_e32 v174, v174, v182
	v_not_b32_e32 v179, v180
	v_ashrrev_i32_e32 v177, 31, v177
	v_xor_b32_e32 v176, s16, v176
	v_cmp_gt_i32_e64 s16, 0, v180
	v_and_b32_e32 v174, v174, v175
	v_not_b32_e32 v175, v181
	v_ashrrev_i32_e32 v179, 31, v179
	v_xor_b32_e32 v177, vcc_lo, v177
	v_cmp_gt_i32_e32 vcc_lo, 0, v181
	v_and_b32_e32 v174, v174, v176
	v_not_b32_e32 v176, v178
	v_ashrrev_i32_e32 v175, 31, v175
	v_xor_b32_e32 v179, s16, v179
	v_mul_u32_u24_e32 v37, 9, v37
	v_and_b32_e32 v174, v174, v177
	v_cmp_gt_i32_e64 s16, 0, v178
	v_ashrrev_i32_e32 v176, 31, v176
	v_xor_b32_e32 v175, vcc_lo, v175
	v_add_lshl_u32 v177, v37, v126, 2
	v_and_b32_e32 v174, v174, v179
	s_delay_alu instid0(VALU_DEP_4) | instskip(NEXT) | instid1(VALU_DEP_3)
	v_xor_b32_e32 v37, s16, v176
	v_add_nc_u32_e32 v176, 0x420, v177
	s_delay_alu instid0(VALU_DEP_3) | instskip(SKIP_2) | instid1(VALU_DEP_1)
	v_and_b32_e32 v175, v174, v175
	ds_load_b32 v174, v177 offset:1056
	; wave barrier
	v_and_b32_e32 v37, v175, v37
	v_mbcnt_lo_u32_b32 v175, v37, 0
	v_cmp_ne_u32_e64 s16, 0, v37
	s_delay_alu instid0(VALU_DEP_2) | instskip(NEXT) | instid1(VALU_DEP_2)
	v_cmp_eq_u32_e32 vcc_lo, 0, v175
	s_and_b32 s17, s16, vcc_lo
	s_delay_alu instid0(SALU_CYCLE_1)
	s_and_saveexec_b32 s16, s17
	s_cbranch_execz .LBB1954_740
; %bb.739:                              ;   in Loop: Header=BB1954_688 Depth=2
	s_waitcnt lgkmcnt(0)
	v_bcnt_u32_b32 v37, v37, v174
	ds_store_b32 v176, v37
.LBB1954_740:                           ;   in Loop: Header=BB1954_688 Depth=2
	s_or_b32 exec_lo, exec_lo, s16
	v_cmp_gt_i16_e64 vcc_lo, 0, v169
	; wave barrier
	s_delay_alu instid0(VALU_DEP_1) | instskip(NEXT) | instid1(VALU_DEP_1)
	v_cndmask_b32_e64 v37, 0x7fff, 0, vcc_lo
	v_xor_b32_e32 v169, v37, v169
	s_delay_alu instid0(VALU_DEP_1) | instskip(SKIP_1) | instid1(VALU_DEP_1)
	v_cmp_ne_u16_e64 vcc_lo, 0x8000, v169
	v_cndmask_b32_e32 v37, 0x7fff, v169, vcc_lo
	v_and_b32_e32 v37, 0xffff, v37
	s_delay_alu instid0(VALU_DEP_1) | instskip(NEXT) | instid1(VALU_DEP_1)
	v_lshrrev_b32_e32 v37, s49, v37
	v_and_b32_e32 v37, s55, v37
	s_delay_alu instid0(VALU_DEP_1)
	v_and_b32_e32 v177, 1, v37
	v_lshlrev_b32_e32 v178, 30, v37
	v_lshlrev_b32_e32 v179, 29, v37
	;; [unrolled: 1-line block ×4, first 2 shown]
	v_add_co_u32 v177, s16, v177, -1
	s_delay_alu instid0(VALU_DEP_1)
	v_cndmask_b32_e64 v181, 0, 1, s16
	v_not_b32_e32 v185, v178
	v_cmp_gt_i32_e64 s16, 0, v178
	v_not_b32_e32 v178, v179
	v_lshlrev_b32_e32 v183, 26, v37
	v_cmp_ne_u32_e32 vcc_lo, 0, v181
	v_ashrrev_i32_e32 v185, 31, v185
	v_lshlrev_b32_e32 v184, 25, v37
	v_ashrrev_i32_e32 v178, 31, v178
	v_lshlrev_b32_e32 v181, 24, v37
	v_xor_b32_e32 v177, vcc_lo, v177
	v_cmp_gt_i32_e32 vcc_lo, 0, v179
	v_not_b32_e32 v179, v180
	v_xor_b32_e32 v185, s16, v185
	v_cmp_gt_i32_e64 s16, 0, v180
	v_and_b32_e32 v177, exec_lo, v177
	v_not_b32_e32 v180, v182
	v_ashrrev_i32_e32 v179, 31, v179
	v_xor_b32_e32 v178, vcc_lo, v178
	v_cmp_gt_i32_e32 vcc_lo, 0, v182
	v_and_b32_e32 v177, v177, v185
	v_not_b32_e32 v182, v183
	v_ashrrev_i32_e32 v180, 31, v180
	v_xor_b32_e32 v179, s16, v179
	v_cmp_gt_i32_e64 s16, 0, v183
	v_and_b32_e32 v177, v177, v178
	v_not_b32_e32 v178, v184
	v_ashrrev_i32_e32 v182, 31, v182
	v_xor_b32_e32 v180, vcc_lo, v180
	v_cmp_gt_i32_e32 vcc_lo, 0, v184
	v_and_b32_e32 v177, v177, v179
	v_not_b32_e32 v179, v181
	v_ashrrev_i32_e32 v178, 31, v178
	v_xor_b32_e32 v182, s16, v182
	v_mul_u32_u24_e32 v37, 9, v37
	v_and_b32_e32 v177, v177, v180
	v_cmp_gt_i32_e64 s16, 0, v181
	v_ashrrev_i32_e32 v179, 31, v179
	v_xor_b32_e32 v178, vcc_lo, v178
	v_add_lshl_u32 v180, v37, v126, 2
	v_and_b32_e32 v177, v177, v182
	s_delay_alu instid0(VALU_DEP_4) | instskip(NEXT) | instid1(VALU_DEP_2)
	v_xor_b32_e32 v37, s16, v179
	v_and_b32_e32 v177, v177, v178
	ds_load_b32 v178, v180 offset:1056
	v_add_nc_u32_e32 v180, 0x420, v180
	; wave barrier
	v_and_b32_e32 v37, v177, v37
	s_delay_alu instid0(VALU_DEP_1) | instskip(SKIP_1) | instid1(VALU_DEP_2)
	v_mbcnt_lo_u32_b32 v179, v37, 0
	v_cmp_ne_u32_e64 s16, 0, v37
	v_cmp_eq_u32_e32 vcc_lo, 0, v179
	s_delay_alu instid0(VALU_DEP_2) | instskip(NEXT) | instid1(SALU_CYCLE_1)
	s_and_b32 s17, s16, vcc_lo
	s_and_saveexec_b32 s16, s17
	s_cbranch_execz .LBB1954_742
; %bb.741:                              ;   in Loop: Header=BB1954_688 Depth=2
	s_waitcnt lgkmcnt(0)
	v_bcnt_u32_b32 v37, v37, v178
	ds_store_b32 v180, v37
.LBB1954_742:                           ;   in Loop: Header=BB1954_688 Depth=2
	s_or_b32 exec_lo, exec_lo, s16
	v_cmp_gt_i16_e32 vcc_lo, 0, v43
	; wave barrier
	v_cndmask_b32_e64 v37, 0x7fff, 0, vcc_lo
	s_delay_alu instid0(VALU_DEP_1) | instskip(NEXT) | instid1(VALU_DEP_1)
	v_xor_b32_e32 v177, v37, v43
	v_cmp_ne_u16_e64 vcc_lo, 0x8000, v177
	v_cndmask_b32_e32 v37, 0x7fff, v177, vcc_lo
	s_delay_alu instid0(VALU_DEP_1) | instskip(NEXT) | instid1(VALU_DEP_1)
	v_and_b32_e32 v37, 0xffff, v37
	v_lshrrev_b32_e32 v37, s49, v37
	s_delay_alu instid0(VALU_DEP_1) | instskip(NEXT) | instid1(VALU_DEP_1)
	v_and_b32_e32 v37, s55, v37
	v_and_b32_e32 v43, 1, v37
	v_lshlrev_b32_e32 v181, 30, v37
	v_lshlrev_b32_e32 v182, 29, v37
	;; [unrolled: 1-line block ×4, first 2 shown]
	v_add_co_u32 v43, s16, v43, -1
	s_delay_alu instid0(VALU_DEP_1)
	v_cndmask_b32_e64 v184, 0, 1, s16
	v_not_b32_e32 v188, v181
	v_cmp_gt_i32_e64 s16, 0, v181
	v_not_b32_e32 v181, v182
	v_lshlrev_b32_e32 v186, 26, v37
	v_cmp_ne_u32_e32 vcc_lo, 0, v184
	v_ashrrev_i32_e32 v188, 31, v188
	v_lshlrev_b32_e32 v187, 25, v37
	v_ashrrev_i32_e32 v181, 31, v181
	v_lshlrev_b32_e32 v184, 24, v37
	v_xor_b32_e32 v43, vcc_lo, v43
	v_cmp_gt_i32_e32 vcc_lo, 0, v182
	v_not_b32_e32 v182, v183
	v_xor_b32_e32 v188, s16, v188
	v_cmp_gt_i32_e64 s16, 0, v183
	v_and_b32_e32 v43, exec_lo, v43
	v_not_b32_e32 v183, v185
	v_ashrrev_i32_e32 v182, 31, v182
	v_xor_b32_e32 v181, vcc_lo, v181
	v_cmp_gt_i32_e32 vcc_lo, 0, v185
	v_and_b32_e32 v43, v43, v188
	v_not_b32_e32 v185, v186
	v_ashrrev_i32_e32 v183, 31, v183
	v_xor_b32_e32 v182, s16, v182
	v_cmp_gt_i32_e64 s16, 0, v186
	v_and_b32_e32 v43, v43, v181
	v_not_b32_e32 v181, v187
	v_ashrrev_i32_e32 v185, 31, v185
	v_xor_b32_e32 v183, vcc_lo, v183
	v_cmp_gt_i32_e32 vcc_lo, 0, v187
	v_and_b32_e32 v43, v43, v182
	v_not_b32_e32 v182, v184
	v_ashrrev_i32_e32 v181, 31, v181
	v_xor_b32_e32 v185, s16, v185
	v_mul_u32_u24_e32 v37, 9, v37
	v_and_b32_e32 v43, v43, v183
	v_cmp_gt_i32_e64 s16, 0, v184
	v_ashrrev_i32_e32 v182, 31, v182
	v_xor_b32_e32 v181, vcc_lo, v181
	v_add_lshl_u32 v184, v37, v126, 2
	v_and_b32_e32 v43, v43, v185
	s_delay_alu instid0(VALU_DEP_4) | instskip(SKIP_3) | instid1(VALU_DEP_2)
	v_xor_b32_e32 v37, s16, v182
	ds_load_b32 v182, v184 offset:1056
	v_and_b32_e32 v43, v43, v181
	v_add_nc_u32_e32 v184, 0x420, v184
	; wave barrier
	v_and_b32_e32 v37, v43, v37
	s_delay_alu instid0(VALU_DEP_1) | instskip(SKIP_1) | instid1(VALU_DEP_2)
	v_mbcnt_lo_u32_b32 v183, v37, 0
	v_cmp_ne_u32_e64 s16, 0, v37
	v_cmp_eq_u32_e32 vcc_lo, 0, v183
	s_delay_alu instid0(VALU_DEP_2) | instskip(NEXT) | instid1(SALU_CYCLE_1)
	s_and_b32 s17, s16, vcc_lo
	s_and_saveexec_b32 s16, s17
	s_cbranch_execz .LBB1954_744
; %bb.743:                              ;   in Loop: Header=BB1954_688 Depth=2
	s_waitcnt lgkmcnt(0)
	v_bcnt_u32_b32 v37, v37, v182
	ds_store_b32 v184, v37
.LBB1954_744:                           ;   in Loop: Header=BB1954_688 Depth=2
	s_or_b32 exec_lo, exec_lo, s16
	v_cmp_gt_i16_e32 vcc_lo, 0, v42
	; wave barrier
	v_cndmask_b32_e64 v37, 0x7fff, 0, vcc_lo
	s_delay_alu instid0(VALU_DEP_1) | instskip(NEXT) | instid1(VALU_DEP_1)
	v_xor_b32_e32 v181, v37, v42
	v_cmp_ne_u16_e64 vcc_lo, 0x8000, v181
	v_cndmask_b32_e32 v37, 0x7fff, v181, vcc_lo
	s_delay_alu instid0(VALU_DEP_1) | instskip(NEXT) | instid1(VALU_DEP_1)
	v_and_b32_e32 v37, 0xffff, v37
	v_lshrrev_b32_e32 v37, s49, v37
	s_delay_alu instid0(VALU_DEP_1) | instskip(NEXT) | instid1(VALU_DEP_1)
	v_and_b32_e32 v37, s55, v37
	v_and_b32_e32 v42, 1, v37
	v_lshlrev_b32_e32 v43, 30, v37
	v_lshlrev_b32_e32 v185, 29, v37
	;; [unrolled: 1-line block ×4, first 2 shown]
	v_add_co_u32 v42, s16, v42, -1
	s_delay_alu instid0(VALU_DEP_1)
	v_cndmask_b32_e64 v187, 0, 1, s16
	v_not_b32_e32 v191, v43
	v_cmp_gt_i32_e64 s16, 0, v43
	v_not_b32_e32 v43, v185
	v_lshlrev_b32_e32 v189, 26, v37
	v_cmp_ne_u32_e32 vcc_lo, 0, v187
	v_ashrrev_i32_e32 v191, 31, v191
	v_lshlrev_b32_e32 v190, 25, v37
	v_ashrrev_i32_e32 v43, 31, v43
	v_lshlrev_b32_e32 v187, 24, v37
	v_xor_b32_e32 v42, vcc_lo, v42
	v_cmp_gt_i32_e32 vcc_lo, 0, v185
	v_not_b32_e32 v185, v186
	v_xor_b32_e32 v191, s16, v191
	v_cmp_gt_i32_e64 s16, 0, v186
	v_and_b32_e32 v42, exec_lo, v42
	v_not_b32_e32 v186, v188
	v_ashrrev_i32_e32 v185, 31, v185
	v_xor_b32_e32 v43, vcc_lo, v43
	v_cmp_gt_i32_e32 vcc_lo, 0, v188
	v_and_b32_e32 v42, v42, v191
	v_not_b32_e32 v188, v189
	v_ashrrev_i32_e32 v186, 31, v186
	v_xor_b32_e32 v185, s16, v185
	v_cmp_gt_i32_e64 s16, 0, v189
	v_and_b32_e32 v42, v42, v43
	v_not_b32_e32 v43, v190
	v_ashrrev_i32_e32 v188, 31, v188
	v_xor_b32_e32 v186, vcc_lo, v186
	v_cmp_gt_i32_e32 vcc_lo, 0, v190
	v_and_b32_e32 v42, v42, v185
	v_not_b32_e32 v185, v187
	v_ashrrev_i32_e32 v43, 31, v43
	v_xor_b32_e32 v188, s16, v188
	v_mul_u32_u24_e32 v37, 9, v37
	v_and_b32_e32 v42, v42, v186
	v_cmp_gt_i32_e64 s16, 0, v187
	v_ashrrev_i32_e32 v185, 31, v185
	v_xor_b32_e32 v43, vcc_lo, v43
	s_delay_alu instid0(VALU_DEP_4) | instskip(SKIP_1) | instid1(VALU_DEP_4)
	v_and_b32_e32 v42, v42, v188
	v_add_lshl_u32 v188, v37, v126, 2
	v_xor_b32_e32 v37, s16, v185
	s_delay_alu instid0(VALU_DEP_3) | instskip(SKIP_3) | instid1(VALU_DEP_1)
	v_and_b32_e32 v42, v42, v43
	ds_load_b32 v186, v188 offset:1056
	v_add_nc_u32_e32 v188, 0x420, v188
	; wave barrier
	v_and_b32_e32 v37, v42, v37
	v_mbcnt_lo_u32_b32 v187, v37, 0
	v_cmp_ne_u32_e64 s16, 0, v37
	s_delay_alu instid0(VALU_DEP_2) | instskip(NEXT) | instid1(VALU_DEP_2)
	v_cmp_eq_u32_e32 vcc_lo, 0, v187
	s_and_b32 s17, s16, vcc_lo
	s_delay_alu instid0(SALU_CYCLE_1)
	s_and_saveexec_b32 s16, s17
	s_cbranch_execz .LBB1954_746
; %bb.745:                              ;   in Loop: Header=BB1954_688 Depth=2
	s_waitcnt lgkmcnt(0)
	v_bcnt_u32_b32 v37, v37, v186
	ds_store_b32 v188, v37
.LBB1954_746:                           ;   in Loop: Header=BB1954_688 Depth=2
	s_or_b32 exec_lo, exec_lo, s16
	v_cmp_gt_i16_e32 vcc_lo, 0, v41
	; wave barrier
	v_cndmask_b32_e64 v37, 0x7fff, 0, vcc_lo
	s_delay_alu instid0(VALU_DEP_1) | instskip(NEXT) | instid1(VALU_DEP_1)
	v_xor_b32_e32 v185, v37, v41
	v_cmp_ne_u16_e64 vcc_lo, 0x8000, v185
	v_cndmask_b32_e32 v37, 0x7fff, v185, vcc_lo
	s_delay_alu instid0(VALU_DEP_1) | instskip(NEXT) | instid1(VALU_DEP_1)
	v_and_b32_e32 v37, 0xffff, v37
	v_lshrrev_b32_e32 v37, s49, v37
	s_delay_alu instid0(VALU_DEP_1) | instskip(NEXT) | instid1(VALU_DEP_1)
	v_and_b32_e32 v37, s55, v37
	v_and_b32_e32 v41, 1, v37
	v_lshlrev_b32_e32 v42, 30, v37
	v_lshlrev_b32_e32 v43, 29, v37
	v_lshlrev_b32_e32 v189, 28, v37
	v_lshlrev_b32_e32 v191, 27, v37
	v_add_co_u32 v41, s16, v41, -1
	s_delay_alu instid0(VALU_DEP_1)
	v_cndmask_b32_e64 v190, 0, 1, s16
	v_not_b32_e32 v194, v42
	v_cmp_gt_i32_e64 s16, 0, v42
	v_not_b32_e32 v42, v43
	v_lshlrev_b32_e32 v192, 26, v37
	v_cmp_ne_u32_e32 vcc_lo, 0, v190
	v_ashrrev_i32_e32 v194, 31, v194
	v_lshlrev_b32_e32 v193, 25, v37
	v_ashrrev_i32_e32 v42, 31, v42
	v_lshlrev_b32_e32 v190, 24, v37
	v_xor_b32_e32 v41, vcc_lo, v41
	v_cmp_gt_i32_e32 vcc_lo, 0, v43
	v_not_b32_e32 v43, v189
	v_xor_b32_e32 v194, s16, v194
	v_cmp_gt_i32_e64 s16, 0, v189
	v_and_b32_e32 v41, exec_lo, v41
	v_not_b32_e32 v189, v191
	v_ashrrev_i32_e32 v43, 31, v43
	v_xor_b32_e32 v42, vcc_lo, v42
	v_cmp_gt_i32_e32 vcc_lo, 0, v191
	v_and_b32_e32 v41, v41, v194
	v_not_b32_e32 v191, v192
	v_ashrrev_i32_e32 v189, 31, v189
	v_xor_b32_e32 v43, s16, v43
	v_cmp_gt_i32_e64 s16, 0, v192
	v_and_b32_e32 v41, v41, v42
	v_not_b32_e32 v42, v193
	v_ashrrev_i32_e32 v191, 31, v191
	v_xor_b32_e32 v189, vcc_lo, v189
	v_cmp_gt_i32_e32 vcc_lo, 0, v193
	v_and_b32_e32 v41, v41, v43
	v_not_b32_e32 v43, v190
	v_ashrrev_i32_e32 v42, 31, v42
	v_xor_b32_e32 v191, s16, v191
	v_mul_u32_u24_e32 v37, 9, v37
	v_and_b32_e32 v41, v41, v189
	v_cmp_gt_i32_e64 s16, 0, v190
	v_ashrrev_i32_e32 v43, 31, v43
	v_xor_b32_e32 v42, vcc_lo, v42
	v_add_lshl_u32 v189, v37, v126, 2
	v_and_b32_e32 v41, v41, v191
	s_delay_alu instid0(VALU_DEP_4) | instskip(SKIP_3) | instid1(VALU_DEP_2)
	v_xor_b32_e32 v37, s16, v43
	ds_load_b32 v190, v189 offset:1056
	v_and_b32_e32 v41, v41, v42
	v_add_nc_u32_e32 v192, 0x420, v189
	; wave barrier
	v_and_b32_e32 v37, v41, v37
	s_delay_alu instid0(VALU_DEP_1) | instskip(SKIP_1) | instid1(VALU_DEP_2)
	v_mbcnt_lo_u32_b32 v191, v37, 0
	v_cmp_ne_u32_e64 s16, 0, v37
	v_cmp_eq_u32_e32 vcc_lo, 0, v191
	s_delay_alu instid0(VALU_DEP_2) | instskip(NEXT) | instid1(SALU_CYCLE_1)
	s_and_b32 s17, s16, vcc_lo
	s_and_saveexec_b32 s16, s17
	s_cbranch_execz .LBB1954_748
; %bb.747:                              ;   in Loop: Header=BB1954_688 Depth=2
	s_waitcnt lgkmcnt(0)
	v_bcnt_u32_b32 v37, v37, v190
	ds_store_b32 v192, v37
.LBB1954_748:                           ;   in Loop: Header=BB1954_688 Depth=2
	s_or_b32 exec_lo, exec_lo, s16
	v_cmp_gt_i16_e32 vcc_lo, 0, v40
	; wave barrier
	v_cndmask_b32_e64 v37, 0x7fff, 0, vcc_lo
	s_delay_alu instid0(VALU_DEP_1) | instskip(NEXT) | instid1(VALU_DEP_1)
	v_xor_b32_e32 v189, v37, v40
	v_cmp_ne_u16_e64 vcc_lo, 0x8000, v189
	v_cndmask_b32_e32 v37, 0x7fff, v189, vcc_lo
	s_delay_alu instid0(VALU_DEP_1) | instskip(NEXT) | instid1(VALU_DEP_1)
	v_and_b32_e32 v37, 0xffff, v37
	v_lshrrev_b32_e32 v37, s49, v37
	s_delay_alu instid0(VALU_DEP_1) | instskip(NEXT) | instid1(VALU_DEP_1)
	v_and_b32_e32 v37, s55, v37
	v_and_b32_e32 v40, 1, v37
	v_lshlrev_b32_e32 v41, 30, v37
	v_lshlrev_b32_e32 v42, 29, v37
	;; [unrolled: 1-line block ×4, first 2 shown]
	v_add_co_u32 v40, s16, v40, -1
	s_delay_alu instid0(VALU_DEP_1)
	v_cndmask_b32_e64 v193, 0, 1, s16
	v_not_b32_e32 v197, v41
	v_cmp_gt_i32_e64 s16, 0, v41
	v_not_b32_e32 v41, v42
	v_lshlrev_b32_e32 v195, 26, v37
	v_cmp_ne_u32_e32 vcc_lo, 0, v193
	v_ashrrev_i32_e32 v197, 31, v197
	v_lshlrev_b32_e32 v196, 25, v37
	v_ashrrev_i32_e32 v41, 31, v41
	v_lshlrev_b32_e32 v193, 24, v37
	v_xor_b32_e32 v40, vcc_lo, v40
	v_cmp_gt_i32_e32 vcc_lo, 0, v42
	v_not_b32_e32 v42, v43
	v_xor_b32_e32 v197, s16, v197
	v_cmp_gt_i32_e64 s16, 0, v43
	v_and_b32_e32 v40, exec_lo, v40
	v_not_b32_e32 v43, v194
	v_ashrrev_i32_e32 v42, 31, v42
	v_xor_b32_e32 v41, vcc_lo, v41
	v_cmp_gt_i32_e32 vcc_lo, 0, v194
	v_and_b32_e32 v40, v40, v197
	v_not_b32_e32 v194, v195
	v_ashrrev_i32_e32 v43, 31, v43
	v_xor_b32_e32 v42, s16, v42
	v_cmp_gt_i32_e64 s16, 0, v195
	v_and_b32_e32 v40, v40, v41
	v_not_b32_e32 v41, v196
	v_ashrrev_i32_e32 v194, 31, v194
	v_xor_b32_e32 v43, vcc_lo, v43
	v_cmp_gt_i32_e32 vcc_lo, 0, v196
	v_and_b32_e32 v40, v40, v42
	v_not_b32_e32 v42, v193
	v_ashrrev_i32_e32 v41, 31, v41
	v_xor_b32_e32 v194, s16, v194
	v_mul_u32_u24_e32 v37, 9, v37
	v_and_b32_e32 v40, v40, v43
	v_cmp_gt_i32_e64 s16, 0, v193
	v_ashrrev_i32_e32 v42, 31, v42
	v_xor_b32_e32 v41, vcc_lo, v41
	v_add_lshl_u32 v43, v37, v126, 2
	v_and_b32_e32 v40, v40, v194
	s_delay_alu instid0(VALU_DEP_4) | instskip(SKIP_3) | instid1(VALU_DEP_2)
	v_xor_b32_e32 v37, s16, v42
	ds_load_b32 v194, v43 offset:1056
	v_and_b32_e32 v40, v40, v41
	v_add_nc_u32_e32 v196, 0x420, v43
	; wave barrier
	v_and_b32_e32 v37, v40, v37
	s_delay_alu instid0(VALU_DEP_1) | instskip(SKIP_1) | instid1(VALU_DEP_2)
	v_mbcnt_lo_u32_b32 v195, v37, 0
	v_cmp_ne_u32_e64 s16, 0, v37
	v_cmp_eq_u32_e32 vcc_lo, 0, v195
	s_delay_alu instid0(VALU_DEP_2) | instskip(NEXT) | instid1(SALU_CYCLE_1)
	s_and_b32 s17, s16, vcc_lo
	s_and_saveexec_b32 s16, s17
	s_cbranch_execz .LBB1954_750
; %bb.749:                              ;   in Loop: Header=BB1954_688 Depth=2
	s_waitcnt lgkmcnt(0)
	v_bcnt_u32_b32 v37, v37, v194
	ds_store_b32 v196, v37
.LBB1954_750:                           ;   in Loop: Header=BB1954_688 Depth=2
	s_or_b32 exec_lo, exec_lo, s16
	v_cmp_gt_i16_e32 vcc_lo, 0, v39
	; wave barrier
	v_cndmask_b32_e64 v37, 0x7fff, 0, vcc_lo
	s_delay_alu instid0(VALU_DEP_1) | instskip(NEXT) | instid1(VALU_DEP_1)
	v_xor_b32_e32 v193, v37, v39
	v_cmp_ne_u16_e64 vcc_lo, 0x8000, v193
	v_cndmask_b32_e32 v37, 0x7fff, v193, vcc_lo
	s_delay_alu instid0(VALU_DEP_1) | instskip(NEXT) | instid1(VALU_DEP_1)
	v_and_b32_e32 v37, 0xffff, v37
	v_lshrrev_b32_e32 v37, s49, v37
	s_delay_alu instid0(VALU_DEP_1) | instskip(NEXT) | instid1(VALU_DEP_1)
	v_and_b32_e32 v37, s55, v37
	v_and_b32_e32 v39, 1, v37
	v_lshlrev_b32_e32 v40, 30, v37
	v_lshlrev_b32_e32 v41, 29, v37
	;; [unrolled: 1-line block ×4, first 2 shown]
	v_add_co_u32 v39, s16, v39, -1
	s_delay_alu instid0(VALU_DEP_1)
	v_cndmask_b32_e64 v43, 0, 1, s16
	v_not_b32_e32 v200, v40
	v_cmp_gt_i32_e64 s16, 0, v40
	v_not_b32_e32 v40, v41
	v_lshlrev_b32_e32 v198, 26, v37
	v_cmp_ne_u32_e32 vcc_lo, 0, v43
	v_ashrrev_i32_e32 v200, 31, v200
	v_lshlrev_b32_e32 v199, 25, v37
	v_ashrrev_i32_e32 v40, 31, v40
	v_lshlrev_b32_e32 v43, 24, v37
	v_xor_b32_e32 v39, vcc_lo, v39
	v_cmp_gt_i32_e32 vcc_lo, 0, v41
	v_not_b32_e32 v41, v42
	v_xor_b32_e32 v200, s16, v200
	v_cmp_gt_i32_e64 s16, 0, v42
	v_and_b32_e32 v39, exec_lo, v39
	v_not_b32_e32 v42, v197
	v_ashrrev_i32_e32 v41, 31, v41
	v_xor_b32_e32 v40, vcc_lo, v40
	v_cmp_gt_i32_e32 vcc_lo, 0, v197
	v_and_b32_e32 v39, v39, v200
	v_not_b32_e32 v197, v198
	v_ashrrev_i32_e32 v42, 31, v42
	v_xor_b32_e32 v41, s16, v41
	v_cmp_gt_i32_e64 s16, 0, v198
	v_and_b32_e32 v39, v39, v40
	v_not_b32_e32 v40, v199
	v_ashrrev_i32_e32 v197, 31, v197
	v_xor_b32_e32 v42, vcc_lo, v42
	v_cmp_gt_i32_e32 vcc_lo, 0, v199
	v_and_b32_e32 v39, v39, v41
	v_not_b32_e32 v41, v43
	v_ashrrev_i32_e32 v40, 31, v40
	v_xor_b32_e32 v197, s16, v197
	v_mul_u32_u24_e32 v37, 9, v37
	v_and_b32_e32 v39, v39, v42
	v_cmp_gt_i32_e64 s16, 0, v43
	v_ashrrev_i32_e32 v41, 31, v41
	v_xor_b32_e32 v40, vcc_lo, v40
	v_add_lshl_u32 v42, v37, v126, 2
	v_and_b32_e32 v39, v39, v197
	s_delay_alu instid0(VALU_DEP_4) | instskip(SKIP_3) | instid1(VALU_DEP_2)
	v_xor_b32_e32 v37, s16, v41
	ds_load_b32 v198, v42 offset:1056
	v_and_b32_e32 v39, v39, v40
	v_add_nc_u32_e32 v200, 0x420, v42
	; wave barrier
	v_and_b32_e32 v37, v39, v37
	s_delay_alu instid0(VALU_DEP_1) | instskip(SKIP_1) | instid1(VALU_DEP_2)
	v_mbcnt_lo_u32_b32 v199, v37, 0
	v_cmp_ne_u32_e64 s16, 0, v37
	v_cmp_eq_u32_e32 vcc_lo, 0, v199
	s_delay_alu instid0(VALU_DEP_2) | instskip(NEXT) | instid1(SALU_CYCLE_1)
	s_and_b32 s17, s16, vcc_lo
	s_and_saveexec_b32 s16, s17
	s_cbranch_execz .LBB1954_752
; %bb.751:                              ;   in Loop: Header=BB1954_688 Depth=2
	s_waitcnt lgkmcnt(0)
	v_bcnt_u32_b32 v37, v37, v198
	ds_store_b32 v200, v37
.LBB1954_752:                           ;   in Loop: Header=BB1954_688 Depth=2
	s_or_b32 exec_lo, exec_lo, s16
	v_cmp_gt_i16_e32 vcc_lo, 0, v38
	; wave barrier
	v_cndmask_b32_e64 v37, 0x7fff, 0, vcc_lo
	s_delay_alu instid0(VALU_DEP_1) | instskip(NEXT) | instid1(VALU_DEP_1)
	v_xor_b32_e32 v197, v37, v38
	v_cmp_ne_u16_e64 vcc_lo, 0x8000, v197
	v_cndmask_b32_e32 v37, 0x7fff, v197, vcc_lo
	s_delay_alu instid0(VALU_DEP_1) | instskip(NEXT) | instid1(VALU_DEP_1)
	v_and_b32_e32 v37, 0xffff, v37
	v_lshrrev_b32_e32 v37, s49, v37
	s_delay_alu instid0(VALU_DEP_1) | instskip(NEXT) | instid1(VALU_DEP_1)
	v_and_b32_e32 v37, s55, v37
	v_and_b32_e32 v38, 1, v37
	v_lshlrev_b32_e32 v39, 30, v37
	v_lshlrev_b32_e32 v40, 29, v37
	;; [unrolled: 1-line block ×4, first 2 shown]
	v_add_co_u32 v38, s16, v38, -1
	s_delay_alu instid0(VALU_DEP_1)
	v_cndmask_b32_e64 v42, 0, 1, s16
	v_not_b32_e32 v203, v39
	v_cmp_gt_i32_e64 s16, 0, v39
	v_not_b32_e32 v39, v40
	v_lshlrev_b32_e32 v201, 26, v37
	v_cmp_ne_u32_e32 vcc_lo, 0, v42
	v_ashrrev_i32_e32 v203, 31, v203
	v_lshlrev_b32_e32 v202, 25, v37
	v_ashrrev_i32_e32 v39, 31, v39
	v_lshlrev_b32_e32 v42, 24, v37
	v_xor_b32_e32 v38, vcc_lo, v38
	v_cmp_gt_i32_e32 vcc_lo, 0, v40
	v_not_b32_e32 v40, v41
	v_xor_b32_e32 v203, s16, v203
	v_cmp_gt_i32_e64 s16, 0, v41
	v_and_b32_e32 v38, exec_lo, v38
	v_not_b32_e32 v41, v43
	v_ashrrev_i32_e32 v40, 31, v40
	v_xor_b32_e32 v39, vcc_lo, v39
	v_cmp_gt_i32_e32 vcc_lo, 0, v43
	v_and_b32_e32 v38, v38, v203
	v_not_b32_e32 v43, v201
	v_ashrrev_i32_e32 v41, 31, v41
	v_xor_b32_e32 v40, s16, v40
	v_cmp_gt_i32_e64 s16, 0, v201
	v_and_b32_e32 v38, v38, v39
	v_not_b32_e32 v39, v202
	v_ashrrev_i32_e32 v43, 31, v43
	v_xor_b32_e32 v41, vcc_lo, v41
	v_cmp_gt_i32_e32 vcc_lo, 0, v202
	v_and_b32_e32 v38, v38, v40
	v_not_b32_e32 v40, v42
	v_ashrrev_i32_e32 v39, 31, v39
	v_xor_b32_e32 v43, s16, v43
	v_mul_u32_u24_e32 v37, 9, v37
	v_and_b32_e32 v38, v38, v41
	v_cmp_gt_i32_e64 s16, 0, v42
	v_ashrrev_i32_e32 v40, 31, v40
	v_xor_b32_e32 v39, vcc_lo, v39
	v_add_lshl_u32 v41, v37, v126, 2
	v_and_b32_e32 v38, v38, v43
	s_delay_alu instid0(VALU_DEP_4) | instskip(SKIP_3) | instid1(VALU_DEP_2)
	v_xor_b32_e32 v37, s16, v40
	ds_load_b32 v202, v41 offset:1056
	v_and_b32_e32 v38, v38, v39
	v_add_nc_u32_e32 v204, 0x420, v41
	; wave barrier
	v_and_b32_e32 v37, v38, v37
	s_delay_alu instid0(VALU_DEP_1) | instskip(SKIP_1) | instid1(VALU_DEP_2)
	v_mbcnt_lo_u32_b32 v203, v37, 0
	v_cmp_ne_u32_e64 s16, 0, v37
	v_cmp_eq_u32_e32 vcc_lo, 0, v203
	s_delay_alu instid0(VALU_DEP_2) | instskip(NEXT) | instid1(SALU_CYCLE_1)
	s_and_b32 s17, s16, vcc_lo
	s_and_saveexec_b32 s16, s17
	s_cbranch_execz .LBB1954_754
; %bb.753:                              ;   in Loop: Header=BB1954_688 Depth=2
	s_waitcnt lgkmcnt(0)
	v_bcnt_u32_b32 v37, v37, v202
	ds_store_b32 v204, v37
.LBB1954_754:                           ;   in Loop: Header=BB1954_688 Depth=2
	s_or_b32 exec_lo, exec_lo, s16
	v_cmp_gt_i16_e32 vcc_lo, 0, v36
	; wave barrier
	v_cndmask_b32_e64 v37, 0x7fff, 0, vcc_lo
	s_delay_alu instid0(VALU_DEP_1) | instskip(NEXT) | instid1(VALU_DEP_1)
	v_xor_b32_e32 v201, v37, v36
	v_cmp_ne_u16_e64 vcc_lo, 0x8000, v201
	v_cndmask_b32_e32 v36, 0x7fff, v201, vcc_lo
	s_delay_alu instid0(VALU_DEP_1) | instskip(NEXT) | instid1(VALU_DEP_1)
	v_and_b32_e32 v36, 0xffff, v36
	v_lshrrev_b32_e32 v36, s49, v36
	s_delay_alu instid0(VALU_DEP_1) | instskip(NEXT) | instid1(VALU_DEP_1)
	v_and_b32_e32 v36, s55, v36
	v_and_b32_e32 v37, 1, v36
	v_lshlrev_b32_e32 v38, 30, v36
	v_lshlrev_b32_e32 v39, 29, v36
	;; [unrolled: 1-line block ×4, first 2 shown]
	v_add_co_u32 v37, s16, v37, -1
	s_delay_alu instid0(VALU_DEP_1)
	v_cndmask_b32_e64 v41, 0, 1, s16
	v_not_b32_e32 v206, v38
	v_cmp_gt_i32_e64 s16, 0, v38
	v_not_b32_e32 v38, v39
	v_lshlrev_b32_e32 v43, 26, v36
	v_cmp_ne_u32_e32 vcc_lo, 0, v41
	v_ashrrev_i32_e32 v206, 31, v206
	v_lshlrev_b32_e32 v205, 25, v36
	v_ashrrev_i32_e32 v38, 31, v38
	v_lshlrev_b32_e32 v41, 24, v36
	v_xor_b32_e32 v37, vcc_lo, v37
	v_cmp_gt_i32_e32 vcc_lo, 0, v39
	v_not_b32_e32 v39, v40
	v_xor_b32_e32 v206, s16, v206
	v_cmp_gt_i32_e64 s16, 0, v40
	v_and_b32_e32 v37, exec_lo, v37
	v_not_b32_e32 v40, v42
	v_ashrrev_i32_e32 v39, 31, v39
	v_xor_b32_e32 v38, vcc_lo, v38
	v_cmp_gt_i32_e32 vcc_lo, 0, v42
	v_and_b32_e32 v37, v37, v206
	v_not_b32_e32 v42, v43
	v_ashrrev_i32_e32 v40, 31, v40
	v_xor_b32_e32 v39, s16, v39
	v_cmp_gt_i32_e64 s16, 0, v43
	v_and_b32_e32 v37, v37, v38
	v_not_b32_e32 v38, v205
	v_ashrrev_i32_e32 v42, 31, v42
	v_xor_b32_e32 v40, vcc_lo, v40
	v_cmp_gt_i32_e32 vcc_lo, 0, v205
	v_and_b32_e32 v37, v37, v39
	v_not_b32_e32 v39, v41
	v_ashrrev_i32_e32 v38, 31, v38
	v_xor_b32_e32 v42, s16, v42
	v_mul_u32_u24_e32 v36, 9, v36
	v_and_b32_e32 v37, v37, v40
	v_cmp_gt_i32_e64 s16, 0, v41
	v_ashrrev_i32_e32 v39, 31, v39
	v_xor_b32_e32 v38, vcc_lo, v38
	v_add_lshl_u32 v40, v36, v126, 2
	v_and_b32_e32 v37, v37, v42
	s_delay_alu instid0(VALU_DEP_4) | instskip(SKIP_3) | instid1(VALU_DEP_2)
	v_xor_b32_e32 v36, s16, v39
	ds_load_b32 v205, v40 offset:1056
	v_and_b32_e32 v37, v37, v38
	v_add_nc_u32_e32 v207, 0x420, v40
	; wave barrier
	v_and_b32_e32 v36, v37, v36
	s_delay_alu instid0(VALU_DEP_1) | instskip(SKIP_1) | instid1(VALU_DEP_2)
	v_mbcnt_lo_u32_b32 v206, v36, 0
	v_cmp_ne_u32_e64 s16, 0, v36
	v_cmp_eq_u32_e32 vcc_lo, 0, v206
	s_delay_alu instid0(VALU_DEP_2) | instskip(NEXT) | instid1(SALU_CYCLE_1)
	s_and_b32 s17, s16, vcc_lo
	s_and_saveexec_b32 s16, s17
	s_cbranch_execz .LBB1954_756
; %bb.755:                              ;   in Loop: Header=BB1954_688 Depth=2
	s_waitcnt lgkmcnt(0)
	v_bcnt_u32_b32 v36, v36, v205
	ds_store_b32 v207, v36
.LBB1954_756:                           ;   in Loop: Header=BB1954_688 Depth=2
	s_or_b32 exec_lo, exec_lo, s16
	; wave barrier
	s_waitcnt lgkmcnt(0)
	s_barrier
	buffer_gl0_inv
	ds_load_b32 v208, v69 offset:1056
	ds_load_2addr_b32 v[42:43], v71 offset0:1 offset1:2
	ds_load_2addr_b32 v[40:41], v71 offset0:3 offset1:4
	;; [unrolled: 1-line block ×4, first 2 shown]
	s_waitcnt lgkmcnt(3)
	v_add3_u32 v209, v42, v208, v43
	s_waitcnt lgkmcnt(2)
	s_delay_alu instid0(VALU_DEP_1) | instskip(SKIP_1) | instid1(VALU_DEP_1)
	v_add3_u32 v209, v209, v40, v41
	s_waitcnt lgkmcnt(1)
	v_add3_u32 v209, v209, v36, v37
	s_waitcnt lgkmcnt(0)
	s_delay_alu instid0(VALU_DEP_1) | instskip(NEXT) | instid1(VALU_DEP_1)
	v_add3_u32 v39, v209, v38, v39
	v_mov_b32_dpp v209, v39 row_shr:1 row_mask:0xf bank_mask:0xf
	s_delay_alu instid0(VALU_DEP_1) | instskip(NEXT) | instid1(VALU_DEP_1)
	v_cndmask_b32_e64 v209, v209, 0, s0
	v_add_nc_u32_e32 v39, v209, v39
	s_delay_alu instid0(VALU_DEP_1) | instskip(NEXT) | instid1(VALU_DEP_1)
	v_mov_b32_dpp v209, v39 row_shr:2 row_mask:0xf bank_mask:0xf
	v_cndmask_b32_e64 v209, 0, v209, s1
	s_delay_alu instid0(VALU_DEP_1) | instskip(NEXT) | instid1(VALU_DEP_1)
	v_add_nc_u32_e32 v39, v39, v209
	v_mov_b32_dpp v209, v39 row_shr:4 row_mask:0xf bank_mask:0xf
	s_delay_alu instid0(VALU_DEP_1) | instskip(NEXT) | instid1(VALU_DEP_1)
	v_cndmask_b32_e64 v209, 0, v209, s8
	v_add_nc_u32_e32 v39, v39, v209
	s_delay_alu instid0(VALU_DEP_1) | instskip(NEXT) | instid1(VALU_DEP_1)
	v_mov_b32_dpp v209, v39 row_shr:8 row_mask:0xf bank_mask:0xf
	v_cndmask_b32_e64 v209, 0, v209, s9
	s_delay_alu instid0(VALU_DEP_1) | instskip(SKIP_3) | instid1(VALU_DEP_1)
	v_add_nc_u32_e32 v39, v39, v209
	ds_swizzle_b32 v209, v39 offset:swizzle(BROADCAST,32,15)
	s_waitcnt lgkmcnt(0)
	v_cndmask_b32_e64 v209, v209, 0, s10
	v_add_nc_u32_e32 v39, v39, v209
	s_and_saveexec_b32 s16, s3
	s_cbranch_execz .LBB1954_758
; %bb.757:                              ;   in Loop: Header=BB1954_688 Depth=2
	ds_store_b32 v62, v39 offset:1024
.LBB1954_758:                           ;   in Loop: Header=BB1954_688 Depth=2
	s_or_b32 exec_lo, exec_lo, s16
	s_waitcnt lgkmcnt(0)
	s_barrier
	buffer_gl0_inv
	s_and_saveexec_b32 s16, s4
	s_cbranch_execz .LBB1954_760
; %bb.759:                              ;   in Loop: Header=BB1954_688 Depth=2
	ds_load_b32 v209, v72 offset:1024
	s_waitcnt lgkmcnt(0)
	v_mov_b32_dpp v210, v209 row_shr:1 row_mask:0xf bank_mask:0xf
	s_delay_alu instid0(VALU_DEP_1) | instskip(NEXT) | instid1(VALU_DEP_1)
	v_cndmask_b32_e64 v210, v210, 0, s12
	v_add_nc_u32_e32 v209, v210, v209
	s_delay_alu instid0(VALU_DEP_1) | instskip(NEXT) | instid1(VALU_DEP_1)
	v_mov_b32_dpp v210, v209 row_shr:2 row_mask:0xf bank_mask:0xf
	v_cndmask_b32_e64 v210, 0, v210, s13
	s_delay_alu instid0(VALU_DEP_1) | instskip(NEXT) | instid1(VALU_DEP_1)
	v_add_nc_u32_e32 v209, v209, v210
	v_mov_b32_dpp v210, v209 row_shr:4 row_mask:0xf bank_mask:0xf
	s_delay_alu instid0(VALU_DEP_1) | instskip(NEXT) | instid1(VALU_DEP_1)
	v_cndmask_b32_e64 v210, 0, v210, s14
	v_add_nc_u32_e32 v209, v209, v210
	ds_store_b32 v72, v209 offset:1024
.LBB1954_760:                           ;   in Loop: Header=BB1954_688 Depth=2
	s_or_b32 exec_lo, exec_lo, s16
	v_mov_b32_e32 v209, 0
	s_waitcnt lgkmcnt(0)
	s_barrier
	buffer_gl0_inv
	s_and_saveexec_b32 s16, s5
	s_cbranch_execz .LBB1954_762
; %bb.761:                              ;   in Loop: Header=BB1954_688 Depth=2
	ds_load_b32 v209, v62 offset:1020
.LBB1954_762:                           ;   in Loop: Header=BB1954_688 Depth=2
	s_or_b32 exec_lo, exec_lo, s16
	s_waitcnt lgkmcnt(0)
	v_add_nc_u32_e32 v39, v209, v39
	ds_bpermute_b32 v39, v105, v39
	s_waitcnt lgkmcnt(0)
	v_cndmask_b32_e64 v39, v39, v209, s11
	s_delay_alu instid0(VALU_DEP_1) | instskip(NEXT) | instid1(VALU_DEP_1)
	v_cndmask_b32_e64 v39, v39, 0, s6
	v_add_nc_u32_e32 v208, v39, v208
	s_delay_alu instid0(VALU_DEP_1) | instskip(NEXT) | instid1(VALU_DEP_1)
	v_add_nc_u32_e32 v42, v208, v42
	v_add_nc_u32_e32 v43, v42, v43
	s_delay_alu instid0(VALU_DEP_1) | instskip(NEXT) | instid1(VALU_DEP_1)
	v_add_nc_u32_e32 v40, v43, v40
	v_add_nc_u32_e32 v41, v40, v41
	s_delay_alu instid0(VALU_DEP_1) | instskip(NEXT) | instid1(VALU_DEP_1)
	v_add_nc_u32_e32 v36, v41, v36
	v_add_nc_u32_e32 v37, v36, v37
	s_delay_alu instid0(VALU_DEP_1)
	v_add_nc_u32_e32 v38, v37, v38
	ds_store_b32 v69, v39 offset:1056
	ds_store_2addr_b32 v71, v208, v42 offset0:1 offset1:2
	ds_store_2addr_b32 v71, v43, v40 offset0:3 offset1:4
	;; [unrolled: 1-line block ×4, first 2 shown]
	v_mov_b32_e32 v38, 0x1000
	s_waitcnt lgkmcnt(0)
	s_barrier
	buffer_gl0_inv
	ds_load_b32 v39, v152
	ds_load_b32 v40, v156
	;; [unrolled: 1-line block ×16, first 2 shown]
	ds_load_b32 v156, v69 offset:1056
	s_and_saveexec_b32 s16, s7
	s_cbranch_execz .LBB1954_764
; %bb.763:                              ;   in Loop: Header=BB1954_688 Depth=2
	ds_load_b32 v38, v73 offset:1056
.LBB1954_764:                           ;   in Loop: Header=BB1954_688 Depth=2
	s_or_b32 exec_lo, exec_lo, s16
	s_waitcnt lgkmcnt(0)
	s_barrier
	buffer_gl0_inv
	s_and_saveexec_b32 s16, s2
	s_cbranch_execz .LBB1954_766
; %bb.765:                              ;   in Loop: Header=BB1954_688 Depth=2
	ds_load_b32 v160, v44
	s_waitcnt lgkmcnt(0)
	v_sub_nc_u32_e32 v156, v160, v156
	ds_store_b32 v44, v156
.LBB1954_766:                           ;   in Loop: Header=BB1954_688 Depth=2
	s_or_b32 exec_lo, exec_lo, s16
	v_add_nc_u32_e32 v168, v148, v147
	v_add3_u32 v164, v151, v150, v39
	v_add3_u32 v160, v155, v154, v40
	;; [unrolled: 1-line block ×5, first 2 shown]
	v_lshlrev_b32_e32 v158, 1, v168
	v_add3_u32 v43, v199, v198, v36
	v_lshlrev_b32_e32 v36, 1, v164
	v_add3_u32 v152, v172, v171, v173
	v_add3_u32 v151, v175, v174, v176
	ds_store_b16 v158, v2 offset:1024
	v_lshlrev_b32_e32 v2, 1, v160
	ds_store_b16 v36, v146 offset:1024
	v_lshlrev_b32_e32 v36, 1, v154
	v_add3_u32 v150, v179, v178, v180
	v_add3_u32 v42, v203, v202, v37
	v_lshlrev_b32_e32 v37, 1, v156
	v_add3_u32 v148, v183, v182, v184
	v_lshlrev_b32_e32 v158, 1, v155
	v_add3_u32 v147, v187, v186, v188
	v_add3_u32 v40, v191, v190, v192
	ds_store_b16 v2, v149 offset:1024
	ds_store_b16 v37, v153 offset:1024
	;; [unrolled: 1-line block ×3, first 2 shown]
	v_lshlrev_b32_e32 v2, 1, v152
	ds_store_b16 v36, v161 offset:1024
	v_lshlrev_b32_e32 v36, 1, v151
	v_lshlrev_b32_e32 v37, 1, v150
	;; [unrolled: 1-line block ×3, first 2 shown]
	v_add3_u32 v39, v195, v194, v196
	v_add3_u32 v41, v206, v205, v41
	ds_store_b16 v2, v165 offset:1024
	v_lshlrev_b32_e32 v2, 1, v147
	ds_store_b16 v36, v170 offset:1024
	ds_store_b16 v37, v169 offset:1024
	;; [unrolled: 1-line block ×3, first 2 shown]
	v_lshlrev_b32_e32 v36, 1, v40
	v_cmp_lt_u32_e32 vcc_lo, v1, v145
	v_lshlrev_b32_e32 v37, 1, v43
	ds_store_b16 v2, v181 offset:1024
	v_lshlrev_b32_e32 v2, 1, v39
	ds_store_b16 v36, v185 offset:1024
	v_lshlrev_b32_e32 v36, 1, v41
	v_lshlrev_b32_e32 v146, 1, v42
	ds_store_b16 v2, v189 offset:1024
	ds_store_b16 v37, v193 offset:1024
	;; [unrolled: 1-line block ×4, first 2 shown]
	s_waitcnt lgkmcnt(0)
	s_barrier
	buffer_gl0_inv
	s_and_saveexec_b32 s17, vcc_lo
	s_cbranch_execz .LBB1954_782
; %bb.767:                              ;   in Loop: Header=BB1954_688 Depth=2
	v_add_nc_u32_e32 v2, v72, v78
	ds_load_u16 v146, v2 offset:1024
	s_waitcnt lgkmcnt(0)
	v_cmp_ne_u16_e64 s16, 0x8000, v146
	s_delay_alu instid0(VALU_DEP_1) | instskip(SKIP_1) | instid1(VALU_DEP_2)
	v_cndmask_b32_e64 v2, 0x7fff, v146, s16
	v_cmp_gt_i16_e64 s16, 0, v146
	v_and_b32_e32 v2, 0xffff, v2
	s_delay_alu instid0(VALU_DEP_2) | instskip(NEXT) | instid1(VALU_DEP_2)
	v_cndmask_b32_e64 v149, 0x7fff, 0, s16
	v_lshrrev_b32_e32 v2, s49, v2
	s_delay_alu instid0(VALU_DEP_1) | instskip(NEXT) | instid1(VALU_DEP_1)
	v_and_b32_e32 v2, s55, v2
	v_lshlrev_b32_e32 v2, 2, v2
	ds_load_b32 v2, v2
	s_waitcnt lgkmcnt(0)
	v_add_nc_u32_e32 v2, v2, v1
	s_delay_alu instid0(VALU_DEP_1) | instskip(SKIP_1) | instid1(VALU_DEP_2)
	v_lshlrev_b64 v[36:37], 1, v[2:3]
	v_xor_b32_e32 v2, v149, v146
	v_add_co_u32 v36, s16, s38, v36
	s_delay_alu instid0(VALU_DEP_1) | instskip(SKIP_3) | instid1(VALU_DEP_1)
	v_add_co_ci_u32_e64 v37, s16, s39, v37, s16
	global_store_b16 v[36:37], v2, off
	s_or_b32 exec_lo, exec_lo, s17
	v_cmp_lt_u32_e64 s16, v45, v145
	s_and_saveexec_b32 s18, s16
	s_cbranch_execnz .LBB1954_783
.LBB1954_768:                           ;   in Loop: Header=BB1954_688 Depth=2
	s_or_b32 exec_lo, exec_lo, s18
	v_cmp_lt_u32_e64 s17, v46, v145
	s_delay_alu instid0(VALU_DEP_1)
	s_and_saveexec_b32 s19, s17
	s_cbranch_execz .LBB1954_784
.LBB1954_769:                           ;   in Loop: Header=BB1954_688 Depth=2
	ds_load_u16 v146, v79 offset:1024
	s_waitcnt lgkmcnt(0)
	v_cmp_ne_u16_e64 s18, 0x8000, v146
	s_delay_alu instid0(VALU_DEP_1) | instskip(SKIP_1) | instid1(VALU_DEP_2)
	v_cndmask_b32_e64 v2, 0x7fff, v146, s18
	v_cmp_gt_i16_e64 s18, 0, v146
	v_and_b32_e32 v2, 0xffff, v2
	s_delay_alu instid0(VALU_DEP_2) | instskip(NEXT) | instid1(VALU_DEP_2)
	v_cndmask_b32_e64 v149, 0x7fff, 0, s18
	v_lshrrev_b32_e32 v2, s49, v2
	s_delay_alu instid0(VALU_DEP_1) | instskip(NEXT) | instid1(VALU_DEP_1)
	v_and_b32_e32 v2, s55, v2
	v_lshlrev_b32_e32 v2, 2, v2
	ds_load_b32 v2, v2
	s_waitcnt lgkmcnt(0)
	v_add_nc_u32_e32 v2, v2, v46
	s_delay_alu instid0(VALU_DEP_1) | instskip(SKIP_1) | instid1(VALU_DEP_2)
	v_lshlrev_b64 v[36:37], 1, v[2:3]
	v_xor_b32_e32 v2, v149, v146
	v_add_co_u32 v36, s18, s38, v36
	s_delay_alu instid0(VALU_DEP_1) | instskip(SKIP_3) | instid1(VALU_DEP_1)
	v_add_co_ci_u32_e64 v37, s18, s39, v37, s18
	global_store_b16 v[36:37], v2, off
	s_or_b32 exec_lo, exec_lo, s19
	v_cmp_lt_u32_e64 s18, v47, v145
	s_and_saveexec_b32 s20, s18
	s_cbranch_execnz .LBB1954_785
.LBB1954_770:                           ;   in Loop: Header=BB1954_688 Depth=2
	s_or_b32 exec_lo, exec_lo, s20
	v_cmp_lt_u32_e64 s19, v51, v145
	s_delay_alu instid0(VALU_DEP_1)
	s_and_saveexec_b32 s21, s19
	s_cbranch_execz .LBB1954_786
.LBB1954_771:                           ;   in Loop: Header=BB1954_688 Depth=2
	ds_load_u16 v146, v79 offset:2048
	s_waitcnt lgkmcnt(0)
	v_cmp_ne_u16_e64 s20, 0x8000, v146
	s_delay_alu instid0(VALU_DEP_1) | instskip(SKIP_1) | instid1(VALU_DEP_2)
	v_cndmask_b32_e64 v2, 0x7fff, v146, s20
	v_cmp_gt_i16_e64 s20, 0, v146
	v_and_b32_e32 v2, 0xffff, v2
	s_delay_alu instid0(VALU_DEP_2) | instskip(NEXT) | instid1(VALU_DEP_2)
	v_cndmask_b32_e64 v149, 0x7fff, 0, s20
	v_lshrrev_b32_e32 v2, s49, v2
	s_delay_alu instid0(VALU_DEP_1) | instskip(NEXT) | instid1(VALU_DEP_1)
	v_and_b32_e32 v2, s55, v2
	v_lshlrev_b32_e32 v2, 2, v2
	ds_load_b32 v2, v2
	s_waitcnt lgkmcnt(0)
	v_add_nc_u32_e32 v2, v2, v51
	s_delay_alu instid0(VALU_DEP_1) | instskip(SKIP_1) | instid1(VALU_DEP_2)
	v_lshlrev_b64 v[36:37], 1, v[2:3]
	v_xor_b32_e32 v2, v149, v146
	v_add_co_u32 v36, s20, s38, v36
	s_delay_alu instid0(VALU_DEP_1) | instskip(SKIP_3) | instid1(VALU_DEP_1)
	v_add_co_ci_u32_e64 v37, s20, s39, v37, s20
	global_store_b16 v[36:37], v2, off
	s_or_b32 exec_lo, exec_lo, s21
	v_cmp_lt_u32_e64 s20, v52, v145
	s_and_saveexec_b32 s22, s20
	s_cbranch_execnz .LBB1954_787
.LBB1954_772:                           ;   in Loop: Header=BB1954_688 Depth=2
	s_or_b32 exec_lo, exec_lo, s22
	v_cmp_lt_u32_e64 s21, v53, v145
	s_delay_alu instid0(VALU_DEP_1)
	s_and_saveexec_b32 s23, s21
	s_cbranch_execz .LBB1954_788
.LBB1954_773:                           ;   in Loop: Header=BB1954_688 Depth=2
	ds_load_u16 v146, v79 offset:3072
	s_waitcnt lgkmcnt(0)
	v_cmp_ne_u16_e64 s22, 0x8000, v146
	s_delay_alu instid0(VALU_DEP_1) | instskip(SKIP_1) | instid1(VALU_DEP_2)
	v_cndmask_b32_e64 v2, 0x7fff, v146, s22
	v_cmp_gt_i16_e64 s22, 0, v146
	v_and_b32_e32 v2, 0xffff, v2
	s_delay_alu instid0(VALU_DEP_2) | instskip(NEXT) | instid1(VALU_DEP_2)
	v_cndmask_b32_e64 v149, 0x7fff, 0, s22
	v_lshrrev_b32_e32 v2, s49, v2
	s_delay_alu instid0(VALU_DEP_1) | instskip(NEXT) | instid1(VALU_DEP_1)
	v_and_b32_e32 v2, s55, v2
	v_lshlrev_b32_e32 v2, 2, v2
	ds_load_b32 v2, v2
	s_waitcnt lgkmcnt(0)
	v_add_nc_u32_e32 v2, v2, v53
	s_delay_alu instid0(VALU_DEP_1) | instskip(SKIP_1) | instid1(VALU_DEP_2)
	v_lshlrev_b64 v[36:37], 1, v[2:3]
	v_xor_b32_e32 v2, v149, v146
	v_add_co_u32 v36, s22, s38, v36
	s_delay_alu instid0(VALU_DEP_1) | instskip(SKIP_3) | instid1(VALU_DEP_1)
	v_add_co_ci_u32_e64 v37, s22, s39, v37, s22
	global_store_b16 v[36:37], v2, off
	s_or_b32 exec_lo, exec_lo, s23
	v_cmp_lt_u32_e64 s22, v54, v145
	s_and_saveexec_b32 s24, s22
	s_cbranch_execnz .LBB1954_789
.LBB1954_774:                           ;   in Loop: Header=BB1954_688 Depth=2
	s_or_b32 exec_lo, exec_lo, s24
	v_cmp_lt_u32_e64 s23, v55, v145
	s_delay_alu instid0(VALU_DEP_1)
	s_and_saveexec_b32 s25, s23
	s_cbranch_execz .LBB1954_790
.LBB1954_775:                           ;   in Loop: Header=BB1954_688 Depth=2
	ds_load_u16 v146, v79 offset:4096
	s_waitcnt lgkmcnt(0)
	v_cmp_ne_u16_e64 s24, 0x8000, v146
	s_delay_alu instid0(VALU_DEP_1) | instskip(SKIP_1) | instid1(VALU_DEP_2)
	v_cndmask_b32_e64 v2, 0x7fff, v146, s24
	v_cmp_gt_i16_e64 s24, 0, v146
	v_and_b32_e32 v2, 0xffff, v2
	s_delay_alu instid0(VALU_DEP_2) | instskip(NEXT) | instid1(VALU_DEP_2)
	v_cndmask_b32_e64 v149, 0x7fff, 0, s24
	v_lshrrev_b32_e32 v2, s49, v2
	s_delay_alu instid0(VALU_DEP_1) | instskip(NEXT) | instid1(VALU_DEP_1)
	v_and_b32_e32 v2, s55, v2
	v_lshlrev_b32_e32 v2, 2, v2
	ds_load_b32 v2, v2
	s_waitcnt lgkmcnt(0)
	v_add_nc_u32_e32 v2, v2, v55
	s_delay_alu instid0(VALU_DEP_1) | instskip(SKIP_1) | instid1(VALU_DEP_2)
	v_lshlrev_b64 v[36:37], 1, v[2:3]
	v_xor_b32_e32 v2, v149, v146
	v_add_co_u32 v36, s24, s38, v36
	s_delay_alu instid0(VALU_DEP_1) | instskip(SKIP_3) | instid1(VALU_DEP_1)
	v_add_co_ci_u32_e64 v37, s24, s39, v37, s24
	global_store_b16 v[36:37], v2, off
	s_or_b32 exec_lo, exec_lo, s25
	v_cmp_lt_u32_e64 s24, v56, v145
	s_and_saveexec_b32 s27, s24
	s_cbranch_execnz .LBB1954_791
.LBB1954_776:                           ;   in Loop: Header=BB1954_688 Depth=2
	s_or_b32 exec_lo, exec_lo, s27
	v_cmp_lt_u32_e64 s25, v57, v145
	s_delay_alu instid0(VALU_DEP_1)
	s_and_saveexec_b32 s28, s25
	s_cbranch_execz .LBB1954_792
.LBB1954_777:                           ;   in Loop: Header=BB1954_688 Depth=2
	ds_load_u16 v146, v79 offset:5120
	s_waitcnt lgkmcnt(0)
	v_cmp_ne_u16_e64 s27, 0x8000, v146
	s_delay_alu instid0(VALU_DEP_1) | instskip(SKIP_1) | instid1(VALU_DEP_2)
	v_cndmask_b32_e64 v2, 0x7fff, v146, s27
	v_cmp_gt_i16_e64 s27, 0, v146
	v_and_b32_e32 v2, 0xffff, v2
	s_delay_alu instid0(VALU_DEP_2) | instskip(NEXT) | instid1(VALU_DEP_2)
	v_cndmask_b32_e64 v149, 0x7fff, 0, s27
	v_lshrrev_b32_e32 v2, s49, v2
	s_delay_alu instid0(VALU_DEP_1) | instskip(NEXT) | instid1(VALU_DEP_1)
	v_and_b32_e32 v2, s55, v2
	v_lshlrev_b32_e32 v2, 2, v2
	ds_load_b32 v2, v2
	s_waitcnt lgkmcnt(0)
	v_add_nc_u32_e32 v2, v2, v57
	s_delay_alu instid0(VALU_DEP_1) | instskip(SKIP_1) | instid1(VALU_DEP_2)
	v_lshlrev_b64 v[36:37], 1, v[2:3]
	v_xor_b32_e32 v2, v149, v146
	v_add_co_u32 v36, s27, s38, v36
	s_delay_alu instid0(VALU_DEP_1) | instskip(SKIP_3) | instid1(VALU_DEP_1)
	v_add_co_ci_u32_e64 v37, s27, s39, v37, s27
	global_store_b16 v[36:37], v2, off
	s_or_b32 exec_lo, exec_lo, s28
	v_cmp_lt_u32_e64 s27, v58, v145
	s_and_saveexec_b32 s29, s27
	s_cbranch_execnz .LBB1954_793
.LBB1954_778:                           ;   in Loop: Header=BB1954_688 Depth=2
	s_or_b32 exec_lo, exec_lo, s29
	v_cmp_lt_u32_e64 s28, v59, v145
	s_delay_alu instid0(VALU_DEP_1)
	s_and_saveexec_b32 s30, s28
	s_cbranch_execz .LBB1954_794
.LBB1954_779:                           ;   in Loop: Header=BB1954_688 Depth=2
	ds_load_u16 v146, v79 offset:6144
	s_waitcnt lgkmcnt(0)
	v_cmp_ne_u16_e64 s29, 0x8000, v146
	s_delay_alu instid0(VALU_DEP_1) | instskip(SKIP_1) | instid1(VALU_DEP_2)
	v_cndmask_b32_e64 v2, 0x7fff, v146, s29
	v_cmp_gt_i16_e64 s29, 0, v146
	v_and_b32_e32 v2, 0xffff, v2
	s_delay_alu instid0(VALU_DEP_2) | instskip(NEXT) | instid1(VALU_DEP_2)
	v_cndmask_b32_e64 v149, 0x7fff, 0, s29
	v_lshrrev_b32_e32 v2, s49, v2
	s_delay_alu instid0(VALU_DEP_1) | instskip(NEXT) | instid1(VALU_DEP_1)
	v_and_b32_e32 v2, s55, v2
	v_lshlrev_b32_e32 v2, 2, v2
	ds_load_b32 v2, v2
	s_waitcnt lgkmcnt(0)
	v_add_nc_u32_e32 v2, v2, v59
	s_delay_alu instid0(VALU_DEP_1) | instskip(SKIP_1) | instid1(VALU_DEP_2)
	v_lshlrev_b64 v[36:37], 1, v[2:3]
	v_xor_b32_e32 v2, v149, v146
	v_add_co_u32 v36, s29, s38, v36
	s_delay_alu instid0(VALU_DEP_1) | instskip(SKIP_3) | instid1(VALU_DEP_1)
	v_add_co_ci_u32_e64 v37, s29, s39, v37, s29
	global_store_b16 v[36:37], v2, off
	s_or_b32 exec_lo, exec_lo, s30
	v_cmp_lt_u32_e64 s29, v60, v145
	s_and_saveexec_b32 s31, s29
	s_cbranch_execnz .LBB1954_795
.LBB1954_780:                           ;   in Loop: Header=BB1954_688 Depth=2
	s_or_b32 exec_lo, exec_lo, s31
	v_cmp_lt_u32_e64 s30, v61, v145
	s_delay_alu instid0(VALU_DEP_1)
	s_and_saveexec_b32 s33, s30
	s_cbranch_execz .LBB1954_796
.LBB1954_781:                           ;   in Loop: Header=BB1954_688 Depth=2
	ds_load_u16 v146, v79 offset:7168
	s_waitcnt lgkmcnt(0)
	v_cmp_ne_u16_e64 s31, 0x8000, v146
	s_delay_alu instid0(VALU_DEP_1) | instskip(SKIP_1) | instid1(VALU_DEP_2)
	v_cndmask_b32_e64 v2, 0x7fff, v146, s31
	v_cmp_gt_i16_e64 s31, 0, v146
	v_and_b32_e32 v2, 0xffff, v2
	s_delay_alu instid0(VALU_DEP_2) | instskip(NEXT) | instid1(VALU_DEP_2)
	v_cndmask_b32_e64 v149, 0x7fff, 0, s31
	v_lshrrev_b32_e32 v2, s49, v2
	s_delay_alu instid0(VALU_DEP_1) | instskip(NEXT) | instid1(VALU_DEP_1)
	v_and_b32_e32 v2, s55, v2
	v_lshlrev_b32_e32 v2, 2, v2
	ds_load_b32 v2, v2
	s_waitcnt lgkmcnt(0)
	v_add_nc_u32_e32 v2, v2, v61
	s_delay_alu instid0(VALU_DEP_1) | instskip(SKIP_1) | instid1(VALU_DEP_2)
	v_lshlrev_b64 v[36:37], 1, v[2:3]
	v_xor_b32_e32 v2, v149, v146
	v_add_co_u32 v36, s31, s38, v36
	s_delay_alu instid0(VALU_DEP_1) | instskip(SKIP_3) | instid1(VALU_DEP_1)
	v_add_co_ci_u32_e64 v37, s31, s39, v37, s31
	global_store_b16 v[36:37], v2, off
	s_or_b32 exec_lo, exec_lo, s33
	v_cmp_lt_u32_e64 s31, v63, v145
	s_and_saveexec_b32 s58, s31
	s_cbranch_execnz .LBB1954_797
	s_branch .LBB1954_798
.LBB1954_782:                           ;   in Loop: Header=BB1954_688 Depth=2
	s_or_b32 exec_lo, exec_lo, s17
	v_cmp_lt_u32_e64 s16, v45, v145
	s_delay_alu instid0(VALU_DEP_1)
	s_and_saveexec_b32 s18, s16
	s_cbranch_execz .LBB1954_768
.LBB1954_783:                           ;   in Loop: Header=BB1954_688 Depth=2
	ds_load_u16 v146, v79 offset:512
	s_waitcnt lgkmcnt(0)
	v_cmp_ne_u16_e64 s17, 0x8000, v146
	s_delay_alu instid0(VALU_DEP_1) | instskip(SKIP_1) | instid1(VALU_DEP_2)
	v_cndmask_b32_e64 v2, 0x7fff, v146, s17
	v_cmp_gt_i16_e64 s17, 0, v146
	v_and_b32_e32 v2, 0xffff, v2
	s_delay_alu instid0(VALU_DEP_2) | instskip(NEXT) | instid1(VALU_DEP_2)
	v_cndmask_b32_e64 v149, 0x7fff, 0, s17
	v_lshrrev_b32_e32 v2, s49, v2
	s_delay_alu instid0(VALU_DEP_1) | instskip(NEXT) | instid1(VALU_DEP_1)
	v_and_b32_e32 v2, s55, v2
	v_lshlrev_b32_e32 v2, 2, v2
	ds_load_b32 v2, v2
	s_waitcnt lgkmcnt(0)
	v_add_nc_u32_e32 v2, v2, v45
	s_delay_alu instid0(VALU_DEP_1) | instskip(SKIP_1) | instid1(VALU_DEP_2)
	v_lshlrev_b64 v[36:37], 1, v[2:3]
	v_xor_b32_e32 v2, v149, v146
	v_add_co_u32 v36, s17, s38, v36
	s_delay_alu instid0(VALU_DEP_1) | instskip(SKIP_3) | instid1(VALU_DEP_1)
	v_add_co_ci_u32_e64 v37, s17, s39, v37, s17
	global_store_b16 v[36:37], v2, off
	s_or_b32 exec_lo, exec_lo, s18
	v_cmp_lt_u32_e64 s17, v46, v145
	s_and_saveexec_b32 s19, s17
	s_cbranch_execnz .LBB1954_769
.LBB1954_784:                           ;   in Loop: Header=BB1954_688 Depth=2
	s_or_b32 exec_lo, exec_lo, s19
	v_cmp_lt_u32_e64 s18, v47, v145
	s_delay_alu instid0(VALU_DEP_1)
	s_and_saveexec_b32 s20, s18
	s_cbranch_execz .LBB1954_770
.LBB1954_785:                           ;   in Loop: Header=BB1954_688 Depth=2
	ds_load_u16 v146, v79 offset:1536
	s_waitcnt lgkmcnt(0)
	v_cmp_ne_u16_e64 s19, 0x8000, v146
	s_delay_alu instid0(VALU_DEP_1) | instskip(SKIP_1) | instid1(VALU_DEP_2)
	v_cndmask_b32_e64 v2, 0x7fff, v146, s19
	v_cmp_gt_i16_e64 s19, 0, v146
	v_and_b32_e32 v2, 0xffff, v2
	s_delay_alu instid0(VALU_DEP_2) | instskip(NEXT) | instid1(VALU_DEP_2)
	v_cndmask_b32_e64 v149, 0x7fff, 0, s19
	v_lshrrev_b32_e32 v2, s49, v2
	s_delay_alu instid0(VALU_DEP_1) | instskip(NEXT) | instid1(VALU_DEP_1)
	v_and_b32_e32 v2, s55, v2
	v_lshlrev_b32_e32 v2, 2, v2
	ds_load_b32 v2, v2
	s_waitcnt lgkmcnt(0)
	v_add_nc_u32_e32 v2, v2, v47
	s_delay_alu instid0(VALU_DEP_1) | instskip(SKIP_1) | instid1(VALU_DEP_2)
	v_lshlrev_b64 v[36:37], 1, v[2:3]
	v_xor_b32_e32 v2, v149, v146
	v_add_co_u32 v36, s19, s38, v36
	s_delay_alu instid0(VALU_DEP_1) | instskip(SKIP_3) | instid1(VALU_DEP_1)
	v_add_co_ci_u32_e64 v37, s19, s39, v37, s19
	global_store_b16 v[36:37], v2, off
	s_or_b32 exec_lo, exec_lo, s20
	v_cmp_lt_u32_e64 s19, v51, v145
	s_and_saveexec_b32 s21, s19
	s_cbranch_execnz .LBB1954_771
.LBB1954_786:                           ;   in Loop: Header=BB1954_688 Depth=2
	s_or_b32 exec_lo, exec_lo, s21
	v_cmp_lt_u32_e64 s20, v52, v145
	s_delay_alu instid0(VALU_DEP_1)
	s_and_saveexec_b32 s22, s20
	s_cbranch_execz .LBB1954_772
.LBB1954_787:                           ;   in Loop: Header=BB1954_688 Depth=2
	ds_load_u16 v146, v79 offset:2560
	s_waitcnt lgkmcnt(0)
	v_cmp_ne_u16_e64 s21, 0x8000, v146
	s_delay_alu instid0(VALU_DEP_1) | instskip(SKIP_1) | instid1(VALU_DEP_2)
	v_cndmask_b32_e64 v2, 0x7fff, v146, s21
	v_cmp_gt_i16_e64 s21, 0, v146
	v_and_b32_e32 v2, 0xffff, v2
	s_delay_alu instid0(VALU_DEP_2) | instskip(NEXT) | instid1(VALU_DEP_2)
	v_cndmask_b32_e64 v149, 0x7fff, 0, s21
	v_lshrrev_b32_e32 v2, s49, v2
	s_delay_alu instid0(VALU_DEP_1) | instskip(NEXT) | instid1(VALU_DEP_1)
	v_and_b32_e32 v2, s55, v2
	v_lshlrev_b32_e32 v2, 2, v2
	ds_load_b32 v2, v2
	s_waitcnt lgkmcnt(0)
	v_add_nc_u32_e32 v2, v2, v52
	s_delay_alu instid0(VALU_DEP_1) | instskip(SKIP_1) | instid1(VALU_DEP_2)
	v_lshlrev_b64 v[36:37], 1, v[2:3]
	v_xor_b32_e32 v2, v149, v146
	v_add_co_u32 v36, s21, s38, v36
	s_delay_alu instid0(VALU_DEP_1) | instskip(SKIP_3) | instid1(VALU_DEP_1)
	v_add_co_ci_u32_e64 v37, s21, s39, v37, s21
	global_store_b16 v[36:37], v2, off
	s_or_b32 exec_lo, exec_lo, s22
	v_cmp_lt_u32_e64 s21, v53, v145
	s_and_saveexec_b32 s23, s21
	s_cbranch_execnz .LBB1954_773
.LBB1954_788:                           ;   in Loop: Header=BB1954_688 Depth=2
	s_or_b32 exec_lo, exec_lo, s23
	v_cmp_lt_u32_e64 s22, v54, v145
	s_delay_alu instid0(VALU_DEP_1)
	s_and_saveexec_b32 s24, s22
	s_cbranch_execz .LBB1954_774
.LBB1954_789:                           ;   in Loop: Header=BB1954_688 Depth=2
	ds_load_u16 v146, v79 offset:3584
	s_waitcnt lgkmcnt(0)
	v_cmp_ne_u16_e64 s23, 0x8000, v146
	s_delay_alu instid0(VALU_DEP_1) | instskip(SKIP_1) | instid1(VALU_DEP_2)
	v_cndmask_b32_e64 v2, 0x7fff, v146, s23
	v_cmp_gt_i16_e64 s23, 0, v146
	v_and_b32_e32 v2, 0xffff, v2
	s_delay_alu instid0(VALU_DEP_2) | instskip(NEXT) | instid1(VALU_DEP_2)
	v_cndmask_b32_e64 v149, 0x7fff, 0, s23
	v_lshrrev_b32_e32 v2, s49, v2
	s_delay_alu instid0(VALU_DEP_1) | instskip(NEXT) | instid1(VALU_DEP_1)
	v_and_b32_e32 v2, s55, v2
	v_lshlrev_b32_e32 v2, 2, v2
	ds_load_b32 v2, v2
	s_waitcnt lgkmcnt(0)
	v_add_nc_u32_e32 v2, v2, v54
	s_delay_alu instid0(VALU_DEP_1) | instskip(SKIP_1) | instid1(VALU_DEP_2)
	v_lshlrev_b64 v[36:37], 1, v[2:3]
	v_xor_b32_e32 v2, v149, v146
	v_add_co_u32 v36, s23, s38, v36
	s_delay_alu instid0(VALU_DEP_1) | instskip(SKIP_3) | instid1(VALU_DEP_1)
	v_add_co_ci_u32_e64 v37, s23, s39, v37, s23
	global_store_b16 v[36:37], v2, off
	s_or_b32 exec_lo, exec_lo, s24
	v_cmp_lt_u32_e64 s23, v55, v145
	s_and_saveexec_b32 s25, s23
	s_cbranch_execnz .LBB1954_775
.LBB1954_790:                           ;   in Loop: Header=BB1954_688 Depth=2
	s_or_b32 exec_lo, exec_lo, s25
	v_cmp_lt_u32_e64 s24, v56, v145
	s_delay_alu instid0(VALU_DEP_1)
	s_and_saveexec_b32 s27, s24
	s_cbranch_execz .LBB1954_776
.LBB1954_791:                           ;   in Loop: Header=BB1954_688 Depth=2
	ds_load_u16 v146, v79 offset:4608
	s_waitcnt lgkmcnt(0)
	v_cmp_ne_u16_e64 s25, 0x8000, v146
	s_delay_alu instid0(VALU_DEP_1) | instskip(SKIP_1) | instid1(VALU_DEP_2)
	v_cndmask_b32_e64 v2, 0x7fff, v146, s25
	v_cmp_gt_i16_e64 s25, 0, v146
	v_and_b32_e32 v2, 0xffff, v2
	s_delay_alu instid0(VALU_DEP_2) | instskip(NEXT) | instid1(VALU_DEP_2)
	v_cndmask_b32_e64 v149, 0x7fff, 0, s25
	v_lshrrev_b32_e32 v2, s49, v2
	s_delay_alu instid0(VALU_DEP_1) | instskip(NEXT) | instid1(VALU_DEP_1)
	v_and_b32_e32 v2, s55, v2
	v_lshlrev_b32_e32 v2, 2, v2
	ds_load_b32 v2, v2
	s_waitcnt lgkmcnt(0)
	v_add_nc_u32_e32 v2, v2, v56
	s_delay_alu instid0(VALU_DEP_1) | instskip(SKIP_1) | instid1(VALU_DEP_2)
	v_lshlrev_b64 v[36:37], 1, v[2:3]
	v_xor_b32_e32 v2, v149, v146
	v_add_co_u32 v36, s25, s38, v36
	s_delay_alu instid0(VALU_DEP_1) | instskip(SKIP_3) | instid1(VALU_DEP_1)
	v_add_co_ci_u32_e64 v37, s25, s39, v37, s25
	global_store_b16 v[36:37], v2, off
	s_or_b32 exec_lo, exec_lo, s27
	v_cmp_lt_u32_e64 s25, v57, v145
	s_and_saveexec_b32 s28, s25
	s_cbranch_execnz .LBB1954_777
.LBB1954_792:                           ;   in Loop: Header=BB1954_688 Depth=2
	s_or_b32 exec_lo, exec_lo, s28
	v_cmp_lt_u32_e64 s27, v58, v145
	s_delay_alu instid0(VALU_DEP_1)
	s_and_saveexec_b32 s29, s27
	s_cbranch_execz .LBB1954_778
.LBB1954_793:                           ;   in Loop: Header=BB1954_688 Depth=2
	ds_load_u16 v146, v79 offset:5632
	s_waitcnt lgkmcnt(0)
	v_cmp_ne_u16_e64 s28, 0x8000, v146
	s_delay_alu instid0(VALU_DEP_1) | instskip(SKIP_1) | instid1(VALU_DEP_2)
	v_cndmask_b32_e64 v2, 0x7fff, v146, s28
	v_cmp_gt_i16_e64 s28, 0, v146
	v_and_b32_e32 v2, 0xffff, v2
	s_delay_alu instid0(VALU_DEP_2) | instskip(NEXT) | instid1(VALU_DEP_2)
	v_cndmask_b32_e64 v149, 0x7fff, 0, s28
	v_lshrrev_b32_e32 v2, s49, v2
	s_delay_alu instid0(VALU_DEP_1) | instskip(NEXT) | instid1(VALU_DEP_1)
	v_and_b32_e32 v2, s55, v2
	v_lshlrev_b32_e32 v2, 2, v2
	ds_load_b32 v2, v2
	s_waitcnt lgkmcnt(0)
	v_add_nc_u32_e32 v2, v2, v58
	s_delay_alu instid0(VALU_DEP_1) | instskip(SKIP_1) | instid1(VALU_DEP_2)
	v_lshlrev_b64 v[36:37], 1, v[2:3]
	v_xor_b32_e32 v2, v149, v146
	v_add_co_u32 v36, s28, s38, v36
	s_delay_alu instid0(VALU_DEP_1) | instskip(SKIP_3) | instid1(VALU_DEP_1)
	v_add_co_ci_u32_e64 v37, s28, s39, v37, s28
	global_store_b16 v[36:37], v2, off
	s_or_b32 exec_lo, exec_lo, s29
	v_cmp_lt_u32_e64 s28, v59, v145
	s_and_saveexec_b32 s30, s28
	s_cbranch_execnz .LBB1954_779
.LBB1954_794:                           ;   in Loop: Header=BB1954_688 Depth=2
	s_or_b32 exec_lo, exec_lo, s30
	v_cmp_lt_u32_e64 s29, v60, v145
	s_delay_alu instid0(VALU_DEP_1)
	s_and_saveexec_b32 s31, s29
	s_cbranch_execz .LBB1954_780
.LBB1954_795:                           ;   in Loop: Header=BB1954_688 Depth=2
	ds_load_u16 v146, v79 offset:6656
	s_waitcnt lgkmcnt(0)
	v_cmp_ne_u16_e64 s30, 0x8000, v146
	s_delay_alu instid0(VALU_DEP_1) | instskip(SKIP_1) | instid1(VALU_DEP_2)
	v_cndmask_b32_e64 v2, 0x7fff, v146, s30
	v_cmp_gt_i16_e64 s30, 0, v146
	v_and_b32_e32 v2, 0xffff, v2
	s_delay_alu instid0(VALU_DEP_2) | instskip(NEXT) | instid1(VALU_DEP_2)
	v_cndmask_b32_e64 v149, 0x7fff, 0, s30
	v_lshrrev_b32_e32 v2, s49, v2
	s_delay_alu instid0(VALU_DEP_1) | instskip(NEXT) | instid1(VALU_DEP_1)
	v_and_b32_e32 v2, s55, v2
	v_lshlrev_b32_e32 v2, 2, v2
	ds_load_b32 v2, v2
	s_waitcnt lgkmcnt(0)
	v_add_nc_u32_e32 v2, v2, v60
	s_delay_alu instid0(VALU_DEP_1) | instskip(SKIP_1) | instid1(VALU_DEP_2)
	v_lshlrev_b64 v[36:37], 1, v[2:3]
	v_xor_b32_e32 v2, v149, v146
	v_add_co_u32 v36, s30, s38, v36
	s_delay_alu instid0(VALU_DEP_1) | instskip(SKIP_3) | instid1(VALU_DEP_1)
	v_add_co_ci_u32_e64 v37, s30, s39, v37, s30
	global_store_b16 v[36:37], v2, off
	s_or_b32 exec_lo, exec_lo, s31
	v_cmp_lt_u32_e64 s30, v61, v145
	s_and_saveexec_b32 s33, s30
	s_cbranch_execnz .LBB1954_781
.LBB1954_796:                           ;   in Loop: Header=BB1954_688 Depth=2
	s_or_b32 exec_lo, exec_lo, s33
	v_cmp_lt_u32_e64 s31, v63, v145
	s_delay_alu instid0(VALU_DEP_1)
	s_and_saveexec_b32 s58, s31
	s_cbranch_execz .LBB1954_798
.LBB1954_797:                           ;   in Loop: Header=BB1954_688 Depth=2
	ds_load_u16 v146, v79 offset:7680
	s_waitcnt lgkmcnt(0)
	v_cmp_ne_u16_e64 s33, 0x8000, v146
	s_delay_alu instid0(VALU_DEP_1) | instskip(SKIP_1) | instid1(VALU_DEP_2)
	v_cndmask_b32_e64 v2, 0x7fff, v146, s33
	v_cmp_gt_i16_e64 s33, 0, v146
	v_and_b32_e32 v2, 0xffff, v2
	s_delay_alu instid0(VALU_DEP_2) | instskip(NEXT) | instid1(VALU_DEP_2)
	v_cndmask_b32_e64 v149, 0x7fff, 0, s33
	v_lshrrev_b32_e32 v2, s49, v2
	s_delay_alu instid0(VALU_DEP_1) | instskip(NEXT) | instid1(VALU_DEP_1)
	v_and_b32_e32 v2, s55, v2
	v_lshlrev_b32_e32 v2, 2, v2
	ds_load_b32 v2, v2
	s_waitcnt lgkmcnt(0)
	v_add_nc_u32_e32 v2, v2, v63
	s_delay_alu instid0(VALU_DEP_1) | instskip(SKIP_1) | instid1(VALU_DEP_2)
	v_lshlrev_b64 v[36:37], 1, v[2:3]
	v_xor_b32_e32 v2, v149, v146
	v_add_co_u32 v36, s33, s38, v36
	s_delay_alu instid0(VALU_DEP_1)
	v_add_co_ci_u32_e64 v37, s33, s39, v37, s33
	global_store_b16 v[36:37], v2, off
.LBB1954_798:                           ;   in Loop: Header=BB1954_688 Depth=2
	s_or_b32 exec_lo, exec_lo, s58
	s_lshl_b64 s[58:59], s[34:35], 3
	s_delay_alu instid0(SALU_CYCLE_1) | instskip(NEXT) | instid1(VALU_DEP_1)
	v_add_co_u32 v36, s33, v107, s58
	v_add_co_ci_u32_e64 v37, s33, s59, v108, s33
	v_cmp_lt_u32_e64 s33, v106, v145
	s_delay_alu instid0(VALU_DEP_1) | instskip(NEXT) | instid1(SALU_CYCLE_1)
	s_and_saveexec_b32 s34, s33
	s_xor_b32 s33, exec_lo, s34
	s_cbranch_execz .LBB1954_830
; %bb.799:                              ;   in Loop: Header=BB1954_688 Depth=2
	global_load_b64 v[34:35], v[36:37], off
	s_or_b32 exec_lo, exec_lo, s33
	s_delay_alu instid0(SALU_CYCLE_1)
	s_mov_b32 s34, exec_lo
	v_cmpx_lt_u32_e64 v109, v145
	s_cbranch_execnz .LBB1954_831
.LBB1954_800:                           ;   in Loop: Header=BB1954_688 Depth=2
	s_or_b32 exec_lo, exec_lo, s34
	s_delay_alu instid0(SALU_CYCLE_1)
	s_mov_b32 s34, exec_lo
	v_cmpx_lt_u32_e64 v110, v145
	s_cbranch_execz .LBB1954_832
.LBB1954_801:                           ;   in Loop: Header=BB1954_688 Depth=2
	global_load_b64 v[30:31], v[36:37], off offset:512
	s_or_b32 exec_lo, exec_lo, s34
	s_delay_alu instid0(SALU_CYCLE_1)
	s_mov_b32 s34, exec_lo
	v_cmpx_lt_u32_e64 v111, v145
	s_cbranch_execnz .LBB1954_833
.LBB1954_802:                           ;   in Loop: Header=BB1954_688 Depth=2
	s_or_b32 exec_lo, exec_lo, s34
	s_delay_alu instid0(SALU_CYCLE_1)
	s_mov_b32 s34, exec_lo
	v_cmpx_lt_u32_e64 v112, v145
	s_cbranch_execz .LBB1954_834
.LBB1954_803:                           ;   in Loop: Header=BB1954_688 Depth=2
	global_load_b64 v[26:27], v[36:37], off offset:1024
	s_or_b32 exec_lo, exec_lo, s34
	s_delay_alu instid0(SALU_CYCLE_1)
	s_mov_b32 s34, exec_lo
	v_cmpx_lt_u32_e64 v113, v145
	s_cbranch_execnz .LBB1954_835
.LBB1954_804:                           ;   in Loop: Header=BB1954_688 Depth=2
	s_or_b32 exec_lo, exec_lo, s34
	s_delay_alu instid0(SALU_CYCLE_1)
	s_mov_b32 s34, exec_lo
	v_cmpx_lt_u32_e64 v114, v145
	s_cbranch_execz .LBB1954_836
.LBB1954_805:                           ;   in Loop: Header=BB1954_688 Depth=2
	global_load_b64 v[22:23], v[36:37], off offset:1536
	s_or_b32 exec_lo, exec_lo, s34
	s_delay_alu instid0(SALU_CYCLE_1)
	s_mov_b32 s34, exec_lo
	v_cmpx_lt_u32_e64 v115, v145
	s_cbranch_execnz .LBB1954_837
.LBB1954_806:                           ;   in Loop: Header=BB1954_688 Depth=2
	s_or_b32 exec_lo, exec_lo, s34
	s_delay_alu instid0(SALU_CYCLE_1)
	s_mov_b32 s34, exec_lo
	v_cmpx_lt_u32_e64 v116, v145
	s_cbranch_execz .LBB1954_838
.LBB1954_807:                           ;   in Loop: Header=BB1954_688 Depth=2
	global_load_b64 v[18:19], v[36:37], off offset:2048
	s_or_b32 exec_lo, exec_lo, s34
	s_delay_alu instid0(SALU_CYCLE_1)
	s_mov_b32 s34, exec_lo
	v_cmpx_lt_u32_e64 v117, v145
	s_cbranch_execnz .LBB1954_839
.LBB1954_808:                           ;   in Loop: Header=BB1954_688 Depth=2
	s_or_b32 exec_lo, exec_lo, s34
	s_delay_alu instid0(SALU_CYCLE_1)
	s_mov_b32 s34, exec_lo
	v_cmpx_lt_u32_e64 v118, v145
	s_cbranch_execz .LBB1954_840
.LBB1954_809:                           ;   in Loop: Header=BB1954_688 Depth=2
	global_load_b64 v[14:15], v[36:37], off offset:2560
	s_or_b32 exec_lo, exec_lo, s34
	s_delay_alu instid0(SALU_CYCLE_1)
	s_mov_b32 s34, exec_lo
	v_cmpx_lt_u32_e64 v119, v145
	s_cbranch_execnz .LBB1954_841
.LBB1954_810:                           ;   in Loop: Header=BB1954_688 Depth=2
	s_or_b32 exec_lo, exec_lo, s34
	s_delay_alu instid0(SALU_CYCLE_1)
	s_mov_b32 s34, exec_lo
	v_cmpx_lt_u32_e64 v120, v145
	s_cbranch_execz .LBB1954_842
.LBB1954_811:                           ;   in Loop: Header=BB1954_688 Depth=2
	global_load_b64 v[10:11], v[36:37], off offset:3072
	s_or_b32 exec_lo, exec_lo, s34
	s_delay_alu instid0(SALU_CYCLE_1)
	s_mov_b32 s34, exec_lo
	v_cmpx_lt_u32_e64 v121, v145
	s_cbranch_execnz .LBB1954_843
.LBB1954_812:                           ;   in Loop: Header=BB1954_688 Depth=2
	s_or_b32 exec_lo, exec_lo, s34
	s_delay_alu instid0(SALU_CYCLE_1)
	s_mov_b32 s34, exec_lo
	v_cmpx_lt_u32_e64 v122, v145
	s_cbranch_execz .LBB1954_844
.LBB1954_813:                           ;   in Loop: Header=BB1954_688 Depth=2
	global_load_b64 v[6:7], v[36:37], off offset:3584
	s_or_b32 exec_lo, exec_lo, s34
	s_delay_alu instid0(SALU_CYCLE_1)
	s_mov_b32 s34, exec_lo
	v_cmpx_lt_u32_e64 v123, v145
	s_cbranch_execnz .LBB1954_845
.LBB1954_814:                           ;   in Loop: Header=BB1954_688 Depth=2
	s_or_b32 exec_lo, exec_lo, s34
	s_and_saveexec_b32 s34, vcc_lo
	s_cbranch_execz .LBB1954_846
.LBB1954_815:                           ;   in Loop: Header=BB1954_688 Depth=2
	v_add_nc_u32_e32 v2, v72, v78
	ds_load_u16 v2, v2 offset:1024
	s_waitcnt lgkmcnt(0)
	v_cmp_ne_u16_e64 s33, 0x8000, v2
	s_delay_alu instid0(VALU_DEP_1) | instskip(NEXT) | instid1(VALU_DEP_1)
	v_cndmask_b32_e64 v2, 0x7fff, v2, s33
	v_and_b32_e32 v2, 0xffff, v2
	s_delay_alu instid0(VALU_DEP_1) | instskip(NEXT) | instid1(VALU_DEP_1)
	v_lshrrev_b32_e32 v2, s49, v2
	v_and_b32_e32 v144, s55, v2
	s_or_b32 exec_lo, exec_lo, s34
	s_and_saveexec_b32 s34, s16
	s_cbranch_execnz .LBB1954_847
.LBB1954_816:                           ;   in Loop: Header=BB1954_688 Depth=2
	s_or_b32 exec_lo, exec_lo, s34
	s_and_saveexec_b32 s34, s17
	s_cbranch_execz .LBB1954_848
.LBB1954_817:                           ;   in Loop: Header=BB1954_688 Depth=2
	ds_load_u16 v2, v79 offset:1024
	s_waitcnt lgkmcnt(0)
	v_cmp_ne_u16_e64 s33, 0x8000, v2
	s_delay_alu instid0(VALU_DEP_1) | instskip(NEXT) | instid1(VALU_DEP_1)
	v_cndmask_b32_e64 v2, 0x7fff, v2, s33
	v_and_b32_e32 v2, 0xffff, v2
	s_delay_alu instid0(VALU_DEP_1) | instskip(NEXT) | instid1(VALU_DEP_1)
	v_lshrrev_b32_e32 v2, s49, v2
	v_and_b32_e32 v142, s55, v2
	s_or_b32 exec_lo, exec_lo, s34
	s_and_saveexec_b32 s34, s18
	s_cbranch_execnz .LBB1954_849
.LBB1954_818:                           ;   in Loop: Header=BB1954_688 Depth=2
	s_or_b32 exec_lo, exec_lo, s34
	s_and_saveexec_b32 s34, s19
	s_cbranch_execz .LBB1954_850
.LBB1954_819:                           ;   in Loop: Header=BB1954_688 Depth=2
	ds_load_u16 v2, v79 offset:2048
	s_waitcnt lgkmcnt(0)
	v_cmp_ne_u16_e64 s33, 0x8000, v2
	s_delay_alu instid0(VALU_DEP_1) | instskip(NEXT) | instid1(VALU_DEP_1)
	v_cndmask_b32_e64 v2, 0x7fff, v2, s33
	v_and_b32_e32 v2, 0xffff, v2
	s_delay_alu instid0(VALU_DEP_1) | instskip(NEXT) | instid1(VALU_DEP_1)
	v_lshrrev_b32_e32 v2, s49, v2
	v_and_b32_e32 v140, s55, v2
	s_or_b32 exec_lo, exec_lo, s34
	s_and_saveexec_b32 s34, s20
	s_cbranch_execnz .LBB1954_851
.LBB1954_820:                           ;   in Loop: Header=BB1954_688 Depth=2
	s_or_b32 exec_lo, exec_lo, s34
	s_and_saveexec_b32 s34, s21
	s_cbranch_execz .LBB1954_852
.LBB1954_821:                           ;   in Loop: Header=BB1954_688 Depth=2
	ds_load_u16 v2, v79 offset:3072
	s_waitcnt lgkmcnt(0)
	v_cmp_ne_u16_e64 s33, 0x8000, v2
	s_delay_alu instid0(VALU_DEP_1) | instskip(NEXT) | instid1(VALU_DEP_1)
	v_cndmask_b32_e64 v2, 0x7fff, v2, s33
	v_and_b32_e32 v2, 0xffff, v2
	s_delay_alu instid0(VALU_DEP_1) | instskip(NEXT) | instid1(VALU_DEP_1)
	v_lshrrev_b32_e32 v2, s49, v2
	v_and_b32_e32 v138, s55, v2
	s_or_b32 exec_lo, exec_lo, s34
	s_and_saveexec_b32 s34, s22
	s_cbranch_execnz .LBB1954_853
.LBB1954_822:                           ;   in Loop: Header=BB1954_688 Depth=2
	s_or_b32 exec_lo, exec_lo, s34
	s_and_saveexec_b32 s34, s23
	s_cbranch_execz .LBB1954_854
.LBB1954_823:                           ;   in Loop: Header=BB1954_688 Depth=2
	ds_load_u16 v2, v79 offset:4096
	s_waitcnt lgkmcnt(0)
	v_cmp_ne_u16_e64 s33, 0x8000, v2
	s_delay_alu instid0(VALU_DEP_1) | instskip(NEXT) | instid1(VALU_DEP_1)
	v_cndmask_b32_e64 v2, 0x7fff, v2, s33
	v_and_b32_e32 v2, 0xffff, v2
	s_delay_alu instid0(VALU_DEP_1) | instskip(NEXT) | instid1(VALU_DEP_1)
	v_lshrrev_b32_e32 v2, s49, v2
	v_and_b32_e32 v136, s55, v2
	s_or_b32 exec_lo, exec_lo, s34
	s_and_saveexec_b32 s34, s24
	s_cbranch_execnz .LBB1954_855
.LBB1954_824:                           ;   in Loop: Header=BB1954_688 Depth=2
	s_or_b32 exec_lo, exec_lo, s34
	s_and_saveexec_b32 s34, s25
	s_cbranch_execz .LBB1954_856
.LBB1954_825:                           ;   in Loop: Header=BB1954_688 Depth=2
	ds_load_u16 v2, v79 offset:5120
	s_waitcnt lgkmcnt(0)
	v_cmp_ne_u16_e64 s33, 0x8000, v2
	s_delay_alu instid0(VALU_DEP_1) | instskip(NEXT) | instid1(VALU_DEP_1)
	v_cndmask_b32_e64 v2, 0x7fff, v2, s33
	v_and_b32_e32 v2, 0xffff, v2
	s_delay_alu instid0(VALU_DEP_1) | instskip(NEXT) | instid1(VALU_DEP_1)
	v_lshrrev_b32_e32 v2, s49, v2
	v_and_b32_e32 v134, s55, v2
	s_or_b32 exec_lo, exec_lo, s34
	s_and_saveexec_b32 s34, s27
	s_cbranch_execnz .LBB1954_857
.LBB1954_826:                           ;   in Loop: Header=BB1954_688 Depth=2
	s_or_b32 exec_lo, exec_lo, s34
	s_and_saveexec_b32 s34, s28
	s_cbranch_execz .LBB1954_858
.LBB1954_827:                           ;   in Loop: Header=BB1954_688 Depth=2
	ds_load_u16 v2, v79 offset:6144
	s_waitcnt lgkmcnt(0)
	v_cmp_ne_u16_e64 s33, 0x8000, v2
	s_delay_alu instid0(VALU_DEP_1) | instskip(NEXT) | instid1(VALU_DEP_1)
	v_cndmask_b32_e64 v2, 0x7fff, v2, s33
	v_and_b32_e32 v2, 0xffff, v2
	s_delay_alu instid0(VALU_DEP_1) | instskip(NEXT) | instid1(VALU_DEP_1)
	v_lshrrev_b32_e32 v2, s49, v2
	v_and_b32_e32 v132, s55, v2
	s_or_b32 exec_lo, exec_lo, s34
	s_and_saveexec_b32 s34, s29
	s_cbranch_execnz .LBB1954_859
.LBB1954_828:                           ;   in Loop: Header=BB1954_688 Depth=2
	s_or_b32 exec_lo, exec_lo, s34
	s_and_saveexec_b32 s34, s30
	s_cbranch_execz .LBB1954_860
.LBB1954_829:                           ;   in Loop: Header=BB1954_688 Depth=2
	ds_load_u16 v2, v79 offset:7168
	s_waitcnt lgkmcnt(0)
	v_cmp_ne_u16_e64 s33, 0x8000, v2
	s_delay_alu instid0(VALU_DEP_1) | instskip(NEXT) | instid1(VALU_DEP_1)
	v_cndmask_b32_e64 v2, 0x7fff, v2, s33
	v_and_b32_e32 v2, 0xffff, v2
	s_delay_alu instid0(VALU_DEP_1) | instskip(NEXT) | instid1(VALU_DEP_1)
	v_lshrrev_b32_e32 v2, s49, v2
	v_and_b32_e32 v130, s55, v2
	s_or_b32 exec_lo, exec_lo, s34
	s_and_saveexec_b32 s34, s31
	s_cbranch_execnz .LBB1954_861
	s_branch .LBB1954_862
.LBB1954_830:                           ;   in Loop: Header=BB1954_688 Depth=2
	s_or_b32 exec_lo, exec_lo, s33
	s_delay_alu instid0(SALU_CYCLE_1)
	s_mov_b32 s34, exec_lo
	v_cmpx_lt_u32_e64 v109, v145
	s_cbranch_execz .LBB1954_800
.LBB1954_831:                           ;   in Loop: Header=BB1954_688 Depth=2
	global_load_b64 v[32:33], v[36:37], off offset:256
	s_or_b32 exec_lo, exec_lo, s34
	s_delay_alu instid0(SALU_CYCLE_1)
	s_mov_b32 s34, exec_lo
	v_cmpx_lt_u32_e64 v110, v145
	s_cbranch_execnz .LBB1954_801
.LBB1954_832:                           ;   in Loop: Header=BB1954_688 Depth=2
	s_or_b32 exec_lo, exec_lo, s34
	s_delay_alu instid0(SALU_CYCLE_1)
	s_mov_b32 s34, exec_lo
	v_cmpx_lt_u32_e64 v111, v145
	s_cbranch_execz .LBB1954_802
.LBB1954_833:                           ;   in Loop: Header=BB1954_688 Depth=2
	global_load_b64 v[28:29], v[36:37], off offset:768
	s_or_b32 exec_lo, exec_lo, s34
	s_delay_alu instid0(SALU_CYCLE_1)
	s_mov_b32 s34, exec_lo
	v_cmpx_lt_u32_e64 v112, v145
	s_cbranch_execnz .LBB1954_803
.LBB1954_834:                           ;   in Loop: Header=BB1954_688 Depth=2
	s_or_b32 exec_lo, exec_lo, s34
	s_delay_alu instid0(SALU_CYCLE_1)
	s_mov_b32 s34, exec_lo
	v_cmpx_lt_u32_e64 v113, v145
	s_cbranch_execz .LBB1954_804
.LBB1954_835:                           ;   in Loop: Header=BB1954_688 Depth=2
	global_load_b64 v[24:25], v[36:37], off offset:1280
	s_or_b32 exec_lo, exec_lo, s34
	s_delay_alu instid0(SALU_CYCLE_1)
	s_mov_b32 s34, exec_lo
	v_cmpx_lt_u32_e64 v114, v145
	s_cbranch_execnz .LBB1954_805
.LBB1954_836:                           ;   in Loop: Header=BB1954_688 Depth=2
	s_or_b32 exec_lo, exec_lo, s34
	s_delay_alu instid0(SALU_CYCLE_1)
	s_mov_b32 s34, exec_lo
	v_cmpx_lt_u32_e64 v115, v145
	s_cbranch_execz .LBB1954_806
.LBB1954_837:                           ;   in Loop: Header=BB1954_688 Depth=2
	global_load_b64 v[20:21], v[36:37], off offset:1792
	s_or_b32 exec_lo, exec_lo, s34
	s_delay_alu instid0(SALU_CYCLE_1)
	s_mov_b32 s34, exec_lo
	v_cmpx_lt_u32_e64 v116, v145
	s_cbranch_execnz .LBB1954_807
.LBB1954_838:                           ;   in Loop: Header=BB1954_688 Depth=2
	s_or_b32 exec_lo, exec_lo, s34
	s_delay_alu instid0(SALU_CYCLE_1)
	s_mov_b32 s34, exec_lo
	v_cmpx_lt_u32_e64 v117, v145
	s_cbranch_execz .LBB1954_808
.LBB1954_839:                           ;   in Loop: Header=BB1954_688 Depth=2
	global_load_b64 v[16:17], v[36:37], off offset:2304
	s_or_b32 exec_lo, exec_lo, s34
	s_delay_alu instid0(SALU_CYCLE_1)
	s_mov_b32 s34, exec_lo
	v_cmpx_lt_u32_e64 v118, v145
	s_cbranch_execnz .LBB1954_809
.LBB1954_840:                           ;   in Loop: Header=BB1954_688 Depth=2
	s_or_b32 exec_lo, exec_lo, s34
	s_delay_alu instid0(SALU_CYCLE_1)
	s_mov_b32 s34, exec_lo
	v_cmpx_lt_u32_e64 v119, v145
	s_cbranch_execz .LBB1954_810
.LBB1954_841:                           ;   in Loop: Header=BB1954_688 Depth=2
	global_load_b64 v[12:13], v[36:37], off offset:2816
	s_or_b32 exec_lo, exec_lo, s34
	s_delay_alu instid0(SALU_CYCLE_1)
	s_mov_b32 s34, exec_lo
	v_cmpx_lt_u32_e64 v120, v145
	s_cbranch_execnz .LBB1954_811
.LBB1954_842:                           ;   in Loop: Header=BB1954_688 Depth=2
	s_or_b32 exec_lo, exec_lo, s34
	s_delay_alu instid0(SALU_CYCLE_1)
	s_mov_b32 s34, exec_lo
	v_cmpx_lt_u32_e64 v121, v145
	s_cbranch_execz .LBB1954_812
.LBB1954_843:                           ;   in Loop: Header=BB1954_688 Depth=2
	global_load_b64 v[8:9], v[36:37], off offset:3328
	s_or_b32 exec_lo, exec_lo, s34
	s_delay_alu instid0(SALU_CYCLE_1)
	s_mov_b32 s34, exec_lo
	v_cmpx_lt_u32_e64 v122, v145
	s_cbranch_execnz .LBB1954_813
.LBB1954_844:                           ;   in Loop: Header=BB1954_688 Depth=2
	s_or_b32 exec_lo, exec_lo, s34
	s_delay_alu instid0(SALU_CYCLE_1)
	s_mov_b32 s34, exec_lo
	v_cmpx_lt_u32_e64 v123, v145
	s_cbranch_execz .LBB1954_814
.LBB1954_845:                           ;   in Loop: Header=BB1954_688 Depth=2
	global_load_b64 v[4:5], v[36:37], off offset:3840
	s_or_b32 exec_lo, exec_lo, s34
	s_and_saveexec_b32 s34, vcc_lo
	s_cbranch_execnz .LBB1954_815
.LBB1954_846:                           ;   in Loop: Header=BB1954_688 Depth=2
	s_or_b32 exec_lo, exec_lo, s34
	s_and_saveexec_b32 s34, s16
	s_cbranch_execz .LBB1954_816
.LBB1954_847:                           ;   in Loop: Header=BB1954_688 Depth=2
	ds_load_u16 v2, v79 offset:512
	s_waitcnt lgkmcnt(0)
	v_cmp_ne_u16_e64 s33, 0x8000, v2
	s_delay_alu instid0(VALU_DEP_1) | instskip(NEXT) | instid1(VALU_DEP_1)
	v_cndmask_b32_e64 v2, 0x7fff, v2, s33
	v_and_b32_e32 v2, 0xffff, v2
	s_delay_alu instid0(VALU_DEP_1) | instskip(NEXT) | instid1(VALU_DEP_1)
	v_lshrrev_b32_e32 v2, s49, v2
	v_and_b32_e32 v143, s55, v2
	s_or_b32 exec_lo, exec_lo, s34
	s_and_saveexec_b32 s34, s17
	s_cbranch_execnz .LBB1954_817
.LBB1954_848:                           ;   in Loop: Header=BB1954_688 Depth=2
	s_or_b32 exec_lo, exec_lo, s34
	s_and_saveexec_b32 s34, s18
	s_cbranch_execz .LBB1954_818
.LBB1954_849:                           ;   in Loop: Header=BB1954_688 Depth=2
	ds_load_u16 v2, v79 offset:1536
	s_waitcnt lgkmcnt(0)
	v_cmp_ne_u16_e64 s33, 0x8000, v2
	s_delay_alu instid0(VALU_DEP_1) | instskip(NEXT) | instid1(VALU_DEP_1)
	v_cndmask_b32_e64 v2, 0x7fff, v2, s33
	v_and_b32_e32 v2, 0xffff, v2
	s_delay_alu instid0(VALU_DEP_1) | instskip(NEXT) | instid1(VALU_DEP_1)
	v_lshrrev_b32_e32 v2, s49, v2
	v_and_b32_e32 v141, s55, v2
	s_or_b32 exec_lo, exec_lo, s34
	s_and_saveexec_b32 s34, s19
	s_cbranch_execnz .LBB1954_819
.LBB1954_850:                           ;   in Loop: Header=BB1954_688 Depth=2
	s_or_b32 exec_lo, exec_lo, s34
	s_and_saveexec_b32 s34, s20
	s_cbranch_execz .LBB1954_820
.LBB1954_851:                           ;   in Loop: Header=BB1954_688 Depth=2
	ds_load_u16 v2, v79 offset:2560
	s_waitcnt lgkmcnt(0)
	v_cmp_ne_u16_e64 s33, 0x8000, v2
	s_delay_alu instid0(VALU_DEP_1) | instskip(NEXT) | instid1(VALU_DEP_1)
	v_cndmask_b32_e64 v2, 0x7fff, v2, s33
	v_and_b32_e32 v2, 0xffff, v2
	s_delay_alu instid0(VALU_DEP_1) | instskip(NEXT) | instid1(VALU_DEP_1)
	v_lshrrev_b32_e32 v2, s49, v2
	v_and_b32_e32 v139, s55, v2
	s_or_b32 exec_lo, exec_lo, s34
	s_and_saveexec_b32 s34, s21
	s_cbranch_execnz .LBB1954_821
.LBB1954_852:                           ;   in Loop: Header=BB1954_688 Depth=2
	s_or_b32 exec_lo, exec_lo, s34
	s_and_saveexec_b32 s34, s22
	s_cbranch_execz .LBB1954_822
.LBB1954_853:                           ;   in Loop: Header=BB1954_688 Depth=2
	ds_load_u16 v2, v79 offset:3584
	s_waitcnt lgkmcnt(0)
	v_cmp_ne_u16_e64 s33, 0x8000, v2
	s_delay_alu instid0(VALU_DEP_1) | instskip(NEXT) | instid1(VALU_DEP_1)
	v_cndmask_b32_e64 v2, 0x7fff, v2, s33
	v_and_b32_e32 v2, 0xffff, v2
	s_delay_alu instid0(VALU_DEP_1) | instskip(NEXT) | instid1(VALU_DEP_1)
	v_lshrrev_b32_e32 v2, s49, v2
	v_and_b32_e32 v137, s55, v2
	s_or_b32 exec_lo, exec_lo, s34
	s_and_saveexec_b32 s34, s23
	s_cbranch_execnz .LBB1954_823
.LBB1954_854:                           ;   in Loop: Header=BB1954_688 Depth=2
	s_or_b32 exec_lo, exec_lo, s34
	s_and_saveexec_b32 s34, s24
	s_cbranch_execz .LBB1954_824
.LBB1954_855:                           ;   in Loop: Header=BB1954_688 Depth=2
	ds_load_u16 v2, v79 offset:4608
	s_waitcnt lgkmcnt(0)
	v_cmp_ne_u16_e64 s33, 0x8000, v2
	s_delay_alu instid0(VALU_DEP_1) | instskip(NEXT) | instid1(VALU_DEP_1)
	v_cndmask_b32_e64 v2, 0x7fff, v2, s33
	v_and_b32_e32 v2, 0xffff, v2
	s_delay_alu instid0(VALU_DEP_1) | instskip(NEXT) | instid1(VALU_DEP_1)
	v_lshrrev_b32_e32 v2, s49, v2
	v_and_b32_e32 v135, s55, v2
	s_or_b32 exec_lo, exec_lo, s34
	s_and_saveexec_b32 s34, s25
	s_cbranch_execnz .LBB1954_825
.LBB1954_856:                           ;   in Loop: Header=BB1954_688 Depth=2
	s_or_b32 exec_lo, exec_lo, s34
	s_and_saveexec_b32 s34, s27
	s_cbranch_execz .LBB1954_826
.LBB1954_857:                           ;   in Loop: Header=BB1954_688 Depth=2
	ds_load_u16 v2, v79 offset:5632
	s_waitcnt lgkmcnt(0)
	v_cmp_ne_u16_e64 s33, 0x8000, v2
	s_delay_alu instid0(VALU_DEP_1) | instskip(NEXT) | instid1(VALU_DEP_1)
	v_cndmask_b32_e64 v2, 0x7fff, v2, s33
	v_and_b32_e32 v2, 0xffff, v2
	s_delay_alu instid0(VALU_DEP_1) | instskip(NEXT) | instid1(VALU_DEP_1)
	v_lshrrev_b32_e32 v2, s49, v2
	v_and_b32_e32 v133, s55, v2
	s_or_b32 exec_lo, exec_lo, s34
	s_and_saveexec_b32 s34, s28
	s_cbranch_execnz .LBB1954_827
.LBB1954_858:                           ;   in Loop: Header=BB1954_688 Depth=2
	s_or_b32 exec_lo, exec_lo, s34
	s_and_saveexec_b32 s34, s29
	s_cbranch_execz .LBB1954_828
.LBB1954_859:                           ;   in Loop: Header=BB1954_688 Depth=2
	ds_load_u16 v2, v79 offset:6656
	s_waitcnt lgkmcnt(0)
	v_cmp_ne_u16_e64 s33, 0x8000, v2
	s_delay_alu instid0(VALU_DEP_1) | instskip(NEXT) | instid1(VALU_DEP_1)
	v_cndmask_b32_e64 v2, 0x7fff, v2, s33
	v_and_b32_e32 v2, 0xffff, v2
	s_delay_alu instid0(VALU_DEP_1) | instskip(NEXT) | instid1(VALU_DEP_1)
	v_lshrrev_b32_e32 v2, s49, v2
	v_and_b32_e32 v131, s55, v2
	s_or_b32 exec_lo, exec_lo, s34
	s_and_saveexec_b32 s34, s30
	s_cbranch_execnz .LBB1954_829
.LBB1954_860:                           ;   in Loop: Header=BB1954_688 Depth=2
	s_or_b32 exec_lo, exec_lo, s34
	s_and_saveexec_b32 s34, s31
	s_cbranch_execz .LBB1954_862
.LBB1954_861:                           ;   in Loop: Header=BB1954_688 Depth=2
	ds_load_u16 v2, v79 offset:7680
	s_waitcnt lgkmcnt(0)
	v_cmp_ne_u16_e64 s33, 0x8000, v2
	s_delay_alu instid0(VALU_DEP_1) | instskip(NEXT) | instid1(VALU_DEP_1)
	v_cndmask_b32_e64 v2, 0x7fff, v2, s33
	v_and_b32_e32 v2, 0xffff, v2
	s_delay_alu instid0(VALU_DEP_1) | instskip(NEXT) | instid1(VALU_DEP_1)
	v_lshrrev_b32_e32 v2, s49, v2
	v_and_b32_e32 v129, s55, v2
.LBB1954_862:                           ;   in Loop: Header=BB1954_688 Depth=2
	s_or_b32 exec_lo, exec_lo, s34
	v_lshlrev_b32_e32 v2, 3, v168
	v_lshlrev_b32_e32 v36, 3, v164
	s_waitcnt vmcnt(0)
	s_waitcnt_vscnt null, 0x0
	s_barrier
	buffer_gl0_inv
	ds_store_b64 v2, v[34:35] offset:1024
	v_lshlrev_b32_e32 v2, 3, v160
	v_lshlrev_b32_e32 v37, 3, v156
	;; [unrolled: 1-line block ×4, first 2 shown]
	ds_store_b64 v36, v[32:33] offset:1024
	ds_store_b64 v2, v[30:31] offset:1024
	;; [unrolled: 1-line block ×5, first 2 shown]
	v_lshlrev_b32_e32 v2, 3, v152
	v_lshlrev_b32_e32 v36, 3, v151
	;; [unrolled: 1-line block ×5, first 2 shown]
	ds_store_b64 v2, v[22:23] offset:1024
	ds_store_b64 v36, v[20:21] offset:1024
	;; [unrolled: 1-line block ×5, first 2 shown]
	v_lshlrev_b32_e32 v2, 3, v40
	v_lshlrev_b32_e32 v36, 3, v39
	;; [unrolled: 1-line block ×5, first 2 shown]
	ds_store_b64 v2, v[12:13] offset:1024
	ds_store_b64 v36, v[10:11] offset:1024
	;; [unrolled: 1-line block ×5, first 2 shown]
	s_waitcnt lgkmcnt(0)
	s_barrier
	buffer_gl0_inv
	s_and_saveexec_b32 s33, vcc_lo
	s_cbranch_execz .LBB1954_878
; %bb.863:                              ;   in Loop: Header=BB1954_688 Depth=2
	v_lshlrev_b32_e32 v2, 2, v144
	ds_load_b32 v2, v2
	ds_load_b64 v[36:37], v80 offset:1024
	s_waitcnt lgkmcnt(1)
	v_add_nc_u32_e32 v2, v2, v1
	s_delay_alu instid0(VALU_DEP_1) | instskip(NEXT) | instid1(VALU_DEP_1)
	v_lshlrev_b64 v[39:40], 3, v[2:3]
	v_add_co_u32 v39, vcc_lo, s44, v39
	s_delay_alu instid0(VALU_DEP_2)
	v_add_co_ci_u32_e32 v40, vcc_lo, s45, v40, vcc_lo
	s_waitcnt lgkmcnt(0)
	global_store_b64 v[39:40], v[36:37], off
	s_or_b32 exec_lo, exec_lo, s33
	s_and_saveexec_b32 s33, s16
	s_cbranch_execnz .LBB1954_879
.LBB1954_864:                           ;   in Loop: Header=BB1954_688 Depth=2
	s_or_b32 exec_lo, exec_lo, s33
	s_and_saveexec_b32 s16, s17
	s_cbranch_execz .LBB1954_880
.LBB1954_865:                           ;   in Loop: Header=BB1954_688 Depth=2
	v_lshlrev_b32_e32 v2, 2, v142
	v_add_nc_u32_e32 v36, v79, v81
	ds_load_b32 v2, v2
	ds_load_b64 v[36:37], v36 offset:4096
	s_waitcnt lgkmcnt(1)
	v_add_nc_u32_e32 v2, v2, v46
	s_delay_alu instid0(VALU_DEP_1) | instskip(NEXT) | instid1(VALU_DEP_1)
	v_lshlrev_b64 v[39:40], 3, v[2:3]
	v_add_co_u32 v39, vcc_lo, s44, v39
	s_delay_alu instid0(VALU_DEP_2)
	v_add_co_ci_u32_e32 v40, vcc_lo, s45, v40, vcc_lo
	s_waitcnt lgkmcnt(0)
	global_store_b64 v[39:40], v[36:37], off
	s_or_b32 exec_lo, exec_lo, s16
	s_and_saveexec_b32 s16, s18
	s_cbranch_execnz .LBB1954_881
.LBB1954_866:                           ;   in Loop: Header=BB1954_688 Depth=2
	s_or_b32 exec_lo, exec_lo, s16
	s_and_saveexec_b32 s16, s19
	s_cbranch_execz .LBB1954_882
.LBB1954_867:                           ;   in Loop: Header=BB1954_688 Depth=2
	v_lshlrev_b32_e32 v2, 2, v140
	v_add_nc_u32_e32 v36, v79, v81
	ds_load_b32 v2, v2
	ds_load_b64 v[36:37], v36 offset:8192
	s_waitcnt lgkmcnt(1)
	v_add_nc_u32_e32 v2, v2, v51
	s_delay_alu instid0(VALU_DEP_1) | instskip(NEXT) | instid1(VALU_DEP_1)
	v_lshlrev_b64 v[39:40], 3, v[2:3]
	v_add_co_u32 v39, vcc_lo, s44, v39
	s_delay_alu instid0(VALU_DEP_2)
	v_add_co_ci_u32_e32 v40, vcc_lo, s45, v40, vcc_lo
	s_waitcnt lgkmcnt(0)
	global_store_b64 v[39:40], v[36:37], off
	s_or_b32 exec_lo, exec_lo, s16
	s_and_saveexec_b32 s16, s20
	s_cbranch_execnz .LBB1954_883
.LBB1954_868:                           ;   in Loop: Header=BB1954_688 Depth=2
	s_or_b32 exec_lo, exec_lo, s16
	s_and_saveexec_b32 s16, s21
	s_cbranch_execz .LBB1954_884
.LBB1954_869:                           ;   in Loop: Header=BB1954_688 Depth=2
	v_lshlrev_b32_e32 v2, 2, v138
	v_add_nc_u32_e32 v36, v79, v81
	ds_load_b32 v2, v2
	ds_load_b64 v[36:37], v36 offset:12288
	s_waitcnt lgkmcnt(1)
	v_add_nc_u32_e32 v2, v2, v53
	s_delay_alu instid0(VALU_DEP_1) | instskip(NEXT) | instid1(VALU_DEP_1)
	v_lshlrev_b64 v[39:40], 3, v[2:3]
	v_add_co_u32 v39, vcc_lo, s44, v39
	s_delay_alu instid0(VALU_DEP_2)
	v_add_co_ci_u32_e32 v40, vcc_lo, s45, v40, vcc_lo
	s_waitcnt lgkmcnt(0)
	global_store_b64 v[39:40], v[36:37], off
	s_or_b32 exec_lo, exec_lo, s16
	s_and_saveexec_b32 s16, s22
	s_cbranch_execnz .LBB1954_885
.LBB1954_870:                           ;   in Loop: Header=BB1954_688 Depth=2
	s_or_b32 exec_lo, exec_lo, s16
	s_and_saveexec_b32 s16, s23
	s_cbranch_execz .LBB1954_886
.LBB1954_871:                           ;   in Loop: Header=BB1954_688 Depth=2
	v_lshlrev_b32_e32 v2, 2, v136
	v_add_nc_u32_e32 v36, v79, v81
	ds_load_b32 v2, v2
	ds_load_b64 v[36:37], v36 offset:16384
	s_waitcnt lgkmcnt(1)
	v_add_nc_u32_e32 v2, v2, v55
	s_delay_alu instid0(VALU_DEP_1) | instskip(NEXT) | instid1(VALU_DEP_1)
	v_lshlrev_b64 v[39:40], 3, v[2:3]
	v_add_co_u32 v39, vcc_lo, s44, v39
	s_delay_alu instid0(VALU_DEP_2)
	v_add_co_ci_u32_e32 v40, vcc_lo, s45, v40, vcc_lo
	s_waitcnt lgkmcnt(0)
	global_store_b64 v[39:40], v[36:37], off
	s_or_b32 exec_lo, exec_lo, s16
	s_and_saveexec_b32 s16, s24
	s_cbranch_execnz .LBB1954_887
.LBB1954_872:                           ;   in Loop: Header=BB1954_688 Depth=2
	s_or_b32 exec_lo, exec_lo, s16
	s_and_saveexec_b32 s16, s25
	s_cbranch_execz .LBB1954_888
.LBB1954_873:                           ;   in Loop: Header=BB1954_688 Depth=2
	v_lshlrev_b32_e32 v2, 2, v134
	v_add_nc_u32_e32 v36, v79, v81
	ds_load_b32 v2, v2
	ds_load_b64 v[36:37], v36 offset:20480
	s_waitcnt lgkmcnt(1)
	v_add_nc_u32_e32 v2, v2, v57
	s_delay_alu instid0(VALU_DEP_1) | instskip(NEXT) | instid1(VALU_DEP_1)
	v_lshlrev_b64 v[39:40], 3, v[2:3]
	v_add_co_u32 v39, vcc_lo, s44, v39
	s_delay_alu instid0(VALU_DEP_2)
	v_add_co_ci_u32_e32 v40, vcc_lo, s45, v40, vcc_lo
	s_waitcnt lgkmcnt(0)
	global_store_b64 v[39:40], v[36:37], off
	s_or_b32 exec_lo, exec_lo, s16
	s_and_saveexec_b32 s16, s27
	s_cbranch_execnz .LBB1954_889
.LBB1954_874:                           ;   in Loop: Header=BB1954_688 Depth=2
	s_or_b32 exec_lo, exec_lo, s16
	s_and_saveexec_b32 s16, s28
	s_cbranch_execz .LBB1954_890
.LBB1954_875:                           ;   in Loop: Header=BB1954_688 Depth=2
	v_lshlrev_b32_e32 v2, 2, v132
	v_add_nc_u32_e32 v36, v79, v81
	ds_load_b32 v2, v2
	ds_load_b64 v[36:37], v36 offset:24576
	s_waitcnt lgkmcnt(1)
	v_add_nc_u32_e32 v2, v2, v59
	s_delay_alu instid0(VALU_DEP_1) | instskip(NEXT) | instid1(VALU_DEP_1)
	v_lshlrev_b64 v[39:40], 3, v[2:3]
	v_add_co_u32 v39, vcc_lo, s44, v39
	s_delay_alu instid0(VALU_DEP_2)
	v_add_co_ci_u32_e32 v40, vcc_lo, s45, v40, vcc_lo
	s_waitcnt lgkmcnt(0)
	global_store_b64 v[39:40], v[36:37], off
	s_or_b32 exec_lo, exec_lo, s16
	s_and_saveexec_b32 s16, s29
	s_cbranch_execnz .LBB1954_891
.LBB1954_876:                           ;   in Loop: Header=BB1954_688 Depth=2
	s_or_b32 exec_lo, exec_lo, s16
	s_and_saveexec_b32 s16, s30
	s_cbranch_execz .LBB1954_892
.LBB1954_877:                           ;   in Loop: Header=BB1954_688 Depth=2
	v_lshlrev_b32_e32 v2, 2, v130
	v_add_nc_u32_e32 v36, v79, v81
	ds_load_b32 v2, v2
	ds_load_b64 v[36:37], v36 offset:28672
	s_waitcnt lgkmcnt(1)
	v_add_nc_u32_e32 v2, v2, v61
	s_delay_alu instid0(VALU_DEP_1) | instskip(NEXT) | instid1(VALU_DEP_1)
	v_lshlrev_b64 v[39:40], 3, v[2:3]
	v_add_co_u32 v39, vcc_lo, s44, v39
	s_delay_alu instid0(VALU_DEP_2)
	v_add_co_ci_u32_e32 v40, vcc_lo, s45, v40, vcc_lo
	s_waitcnt lgkmcnt(0)
	global_store_b64 v[39:40], v[36:37], off
	s_or_b32 exec_lo, exec_lo, s16
	s_and_saveexec_b32 s16, s31
	s_cbranch_execnz .LBB1954_893
	s_branch .LBB1954_894
.LBB1954_878:                           ;   in Loop: Header=BB1954_688 Depth=2
	s_or_b32 exec_lo, exec_lo, s33
	s_and_saveexec_b32 s33, s16
	s_cbranch_execz .LBB1954_864
.LBB1954_879:                           ;   in Loop: Header=BB1954_688 Depth=2
	v_lshlrev_b32_e32 v2, 2, v143
	v_add_nc_u32_e32 v36, v79, v81
	ds_load_b32 v2, v2
	ds_load_b64 v[36:37], v36 offset:2048
	s_waitcnt lgkmcnt(1)
	v_add_nc_u32_e32 v2, v2, v45
	s_delay_alu instid0(VALU_DEP_1) | instskip(NEXT) | instid1(VALU_DEP_1)
	v_lshlrev_b64 v[39:40], 3, v[2:3]
	v_add_co_u32 v39, vcc_lo, s44, v39
	s_delay_alu instid0(VALU_DEP_2)
	v_add_co_ci_u32_e32 v40, vcc_lo, s45, v40, vcc_lo
	s_waitcnt lgkmcnt(0)
	global_store_b64 v[39:40], v[36:37], off
	s_or_b32 exec_lo, exec_lo, s33
	s_and_saveexec_b32 s16, s17
	s_cbranch_execnz .LBB1954_865
.LBB1954_880:                           ;   in Loop: Header=BB1954_688 Depth=2
	s_or_b32 exec_lo, exec_lo, s16
	s_and_saveexec_b32 s16, s18
	s_cbranch_execz .LBB1954_866
.LBB1954_881:                           ;   in Loop: Header=BB1954_688 Depth=2
	v_lshlrev_b32_e32 v2, 2, v141
	v_add_nc_u32_e32 v36, v79, v81
	ds_load_b32 v2, v2
	ds_load_b64 v[36:37], v36 offset:6144
	s_waitcnt lgkmcnt(1)
	v_add_nc_u32_e32 v2, v2, v47
	s_delay_alu instid0(VALU_DEP_1) | instskip(NEXT) | instid1(VALU_DEP_1)
	v_lshlrev_b64 v[39:40], 3, v[2:3]
	v_add_co_u32 v39, vcc_lo, s44, v39
	s_delay_alu instid0(VALU_DEP_2)
	v_add_co_ci_u32_e32 v40, vcc_lo, s45, v40, vcc_lo
	s_waitcnt lgkmcnt(0)
	global_store_b64 v[39:40], v[36:37], off
	s_or_b32 exec_lo, exec_lo, s16
	s_and_saveexec_b32 s16, s19
	s_cbranch_execnz .LBB1954_867
.LBB1954_882:                           ;   in Loop: Header=BB1954_688 Depth=2
	s_or_b32 exec_lo, exec_lo, s16
	s_and_saveexec_b32 s16, s20
	s_cbranch_execz .LBB1954_868
.LBB1954_883:                           ;   in Loop: Header=BB1954_688 Depth=2
	v_lshlrev_b32_e32 v2, 2, v139
	v_add_nc_u32_e32 v36, v79, v81
	ds_load_b32 v2, v2
	ds_load_b64 v[36:37], v36 offset:10240
	s_waitcnt lgkmcnt(1)
	v_add_nc_u32_e32 v2, v2, v52
	s_delay_alu instid0(VALU_DEP_1) | instskip(NEXT) | instid1(VALU_DEP_1)
	v_lshlrev_b64 v[39:40], 3, v[2:3]
	v_add_co_u32 v39, vcc_lo, s44, v39
	s_delay_alu instid0(VALU_DEP_2)
	v_add_co_ci_u32_e32 v40, vcc_lo, s45, v40, vcc_lo
	s_waitcnt lgkmcnt(0)
	global_store_b64 v[39:40], v[36:37], off
	s_or_b32 exec_lo, exec_lo, s16
	s_and_saveexec_b32 s16, s21
	s_cbranch_execnz .LBB1954_869
.LBB1954_884:                           ;   in Loop: Header=BB1954_688 Depth=2
	s_or_b32 exec_lo, exec_lo, s16
	s_and_saveexec_b32 s16, s22
	s_cbranch_execz .LBB1954_870
.LBB1954_885:                           ;   in Loop: Header=BB1954_688 Depth=2
	v_lshlrev_b32_e32 v2, 2, v137
	v_add_nc_u32_e32 v36, v79, v81
	ds_load_b32 v2, v2
	ds_load_b64 v[36:37], v36 offset:14336
	s_waitcnt lgkmcnt(1)
	v_add_nc_u32_e32 v2, v2, v54
	s_delay_alu instid0(VALU_DEP_1) | instskip(NEXT) | instid1(VALU_DEP_1)
	v_lshlrev_b64 v[39:40], 3, v[2:3]
	v_add_co_u32 v39, vcc_lo, s44, v39
	s_delay_alu instid0(VALU_DEP_2)
	v_add_co_ci_u32_e32 v40, vcc_lo, s45, v40, vcc_lo
	s_waitcnt lgkmcnt(0)
	global_store_b64 v[39:40], v[36:37], off
	s_or_b32 exec_lo, exec_lo, s16
	s_and_saveexec_b32 s16, s23
	s_cbranch_execnz .LBB1954_871
.LBB1954_886:                           ;   in Loop: Header=BB1954_688 Depth=2
	s_or_b32 exec_lo, exec_lo, s16
	s_and_saveexec_b32 s16, s24
	s_cbranch_execz .LBB1954_872
.LBB1954_887:                           ;   in Loop: Header=BB1954_688 Depth=2
	v_lshlrev_b32_e32 v2, 2, v135
	v_add_nc_u32_e32 v36, v79, v81
	ds_load_b32 v2, v2
	ds_load_b64 v[36:37], v36 offset:18432
	s_waitcnt lgkmcnt(1)
	v_add_nc_u32_e32 v2, v2, v56
	s_delay_alu instid0(VALU_DEP_1) | instskip(NEXT) | instid1(VALU_DEP_1)
	v_lshlrev_b64 v[39:40], 3, v[2:3]
	v_add_co_u32 v39, vcc_lo, s44, v39
	s_delay_alu instid0(VALU_DEP_2)
	v_add_co_ci_u32_e32 v40, vcc_lo, s45, v40, vcc_lo
	s_waitcnt lgkmcnt(0)
	global_store_b64 v[39:40], v[36:37], off
	s_or_b32 exec_lo, exec_lo, s16
	s_and_saveexec_b32 s16, s25
	s_cbranch_execnz .LBB1954_873
.LBB1954_888:                           ;   in Loop: Header=BB1954_688 Depth=2
	s_or_b32 exec_lo, exec_lo, s16
	s_and_saveexec_b32 s16, s27
	s_cbranch_execz .LBB1954_874
.LBB1954_889:                           ;   in Loop: Header=BB1954_688 Depth=2
	v_lshlrev_b32_e32 v2, 2, v133
	v_add_nc_u32_e32 v36, v79, v81
	ds_load_b32 v2, v2
	ds_load_b64 v[36:37], v36 offset:22528
	s_waitcnt lgkmcnt(1)
	v_add_nc_u32_e32 v2, v2, v58
	s_delay_alu instid0(VALU_DEP_1) | instskip(NEXT) | instid1(VALU_DEP_1)
	v_lshlrev_b64 v[39:40], 3, v[2:3]
	v_add_co_u32 v39, vcc_lo, s44, v39
	s_delay_alu instid0(VALU_DEP_2)
	v_add_co_ci_u32_e32 v40, vcc_lo, s45, v40, vcc_lo
	s_waitcnt lgkmcnt(0)
	global_store_b64 v[39:40], v[36:37], off
	s_or_b32 exec_lo, exec_lo, s16
	s_and_saveexec_b32 s16, s28
	s_cbranch_execnz .LBB1954_875
.LBB1954_890:                           ;   in Loop: Header=BB1954_688 Depth=2
	s_or_b32 exec_lo, exec_lo, s16
	s_and_saveexec_b32 s16, s29
	s_cbranch_execz .LBB1954_876
.LBB1954_891:                           ;   in Loop: Header=BB1954_688 Depth=2
	v_lshlrev_b32_e32 v2, 2, v131
	v_add_nc_u32_e32 v36, v79, v81
	ds_load_b32 v2, v2
	ds_load_b64 v[36:37], v36 offset:26624
	s_waitcnt lgkmcnt(1)
	v_add_nc_u32_e32 v2, v2, v60
	s_delay_alu instid0(VALU_DEP_1) | instskip(NEXT) | instid1(VALU_DEP_1)
	v_lshlrev_b64 v[39:40], 3, v[2:3]
	v_add_co_u32 v39, vcc_lo, s44, v39
	s_delay_alu instid0(VALU_DEP_2)
	v_add_co_ci_u32_e32 v40, vcc_lo, s45, v40, vcc_lo
	s_waitcnt lgkmcnt(0)
	global_store_b64 v[39:40], v[36:37], off
	s_or_b32 exec_lo, exec_lo, s16
	s_and_saveexec_b32 s16, s30
	s_cbranch_execnz .LBB1954_877
.LBB1954_892:                           ;   in Loop: Header=BB1954_688 Depth=2
	s_or_b32 exec_lo, exec_lo, s16
	s_and_saveexec_b32 s16, s31
	s_cbranch_execz .LBB1954_894
.LBB1954_893:                           ;   in Loop: Header=BB1954_688 Depth=2
	v_lshlrev_b32_e32 v2, 2, v129
	v_add_nc_u32_e32 v36, v79, v81
	ds_load_b32 v2, v2
	ds_load_b64 v[36:37], v36 offset:30720
	s_waitcnt lgkmcnt(1)
	v_add_nc_u32_e32 v2, v2, v63
	s_delay_alu instid0(VALU_DEP_1) | instskip(NEXT) | instid1(VALU_DEP_1)
	v_lshlrev_b64 v[39:40], 3, v[2:3]
	v_add_co_u32 v39, vcc_lo, s44, v39
	s_delay_alu instid0(VALU_DEP_2)
	v_add_co_ci_u32_e32 v40, vcc_lo, s45, v40, vcc_lo
	s_waitcnt lgkmcnt(0)
	global_store_b64 v[39:40], v[36:37], off
.LBB1954_894:                           ;   in Loop: Header=BB1954_688 Depth=2
	s_or_b32 exec_lo, exec_lo, s16
	s_waitcnt_vscnt null, 0x0
	s_barrier
	buffer_gl0_inv
	s_and_saveexec_b32 s16, s2
	s_cbranch_execz .LBB1954_687
; %bb.895:                              ;   in Loop: Header=BB1954_688 Depth=2
	ds_load_b32 v2, v44
	s_waitcnt lgkmcnt(0)
	v_add_nc_u32_e32 v2, v2, v38
	ds_store_b32 v44, v2
	s_branch .LBB1954_687
.LBB1954_896:                           ;   in Loop: Header=BB1954_12 Depth=1
	s_waitcnt lgkmcnt(0)
	s_mov_b32 s0, 0
	s_barrier
.LBB1954_897:                           ;   in Loop: Header=BB1954_12 Depth=1
	s_and_b32 vcc_lo, exec_lo, s0
	s_cbranch_vccz .LBB1954_11
; %bb.898:                              ;   in Loop: Header=BB1954_12 Depth=1
	s_mov_b32 s8, s54
	s_mov_b32 s34, s52
	s_barrier
	buffer_gl0_inv
                                        ; implicit-def: $vgpr20
                                        ; implicit-def: $vgpr2
                                        ; implicit-def: $vgpr6
                                        ; implicit-def: $vgpr7
                                        ; implicit-def: $vgpr8
                                        ; implicit-def: $vgpr9
                                        ; implicit-def: $vgpr10
                                        ; implicit-def: $vgpr11
                                        ; implicit-def: $vgpr12
                                        ; implicit-def: $vgpr13
                                        ; implicit-def: $vgpr14
                                        ; implicit-def: $vgpr15
                                        ; implicit-def: $vgpr16
                                        ; implicit-def: $vgpr17
                                        ; implicit-def: $vgpr18
                                        ; implicit-def: $vgpr19
	s_branch .LBB1954_900
.LBB1954_899:                           ;   in Loop: Header=BB1954_900 Depth=2
	s_or_b32 exec_lo, exec_lo, s0
	s_addk_i32 s8, 0xf000
	s_cmp_ge_u32 s9, s53
	s_mov_b32 s34, s9
	s_cbranch_scc1 .LBB1954_970
.LBB1954_900:                           ;   Parent Loop BB1954_12 Depth=1
                                        ; =>  This Inner Loop Header: Depth=2
	s_add_i32 s9, s34, 0x1000
	s_delay_alu instid0(SALU_CYCLE_1)
	s_cmp_gt_u32 s9, s53
	s_cbranch_scc1 .LBB1954_903
; %bb.901:                              ;   in Loop: Header=BB1954_900 Depth=2
	s_mov_b32 s1, 0
	s_mov_b32 s0, s34
	s_delay_alu instid0(SALU_CYCLE_1) | instskip(NEXT) | instid1(SALU_CYCLE_1)
	s_lshl_b64 s[10:11], s[0:1], 1
	v_add_co_u32 v4, vcc_lo, v88, s10
	v_add_co_ci_u32_e32 v5, vcc_lo, s11, v89, vcc_lo
	s_movk_i32 s11, 0x1000
	s_waitcnt vmcnt(0)
	s_delay_alu instid0(VALU_DEP_2) | instskip(NEXT) | instid1(VALU_DEP_2)
	v_add_co_u32 v36, vcc_lo, 0x1000, v4
	v_add_co_ci_u32_e32 v37, vcc_lo, 0, v5, vcc_lo
	s_clause 0xe
	global_load_u16 v22, v[4:5], off
	global_load_u16 v23, v[4:5], off offset:512
	global_load_u16 v24, v[4:5], off offset:1024
	;; [unrolled: 1-line block ×7, first 2 shown]
	global_load_u16 v30, v[36:37], off
	global_load_u16 v31, v[36:37], off offset:512
	global_load_u16 v32, v[36:37], off offset:1024
	;; [unrolled: 1-line block ×6, first 2 shown]
	v_add_co_u32 v4, vcc_lo, 0x1e00, v4
	v_add_co_ci_u32_e32 v5, vcc_lo, 0, v5, vcc_lo
	s_mov_b32 s10, -1
	s_cbranch_execz .LBB1954_904
; %bb.902:                              ;   in Loop: Header=BB1954_900 Depth=2
                                        ; implicit-def: $vgpr19
                                        ; implicit-def: $vgpr18
                                        ; implicit-def: $vgpr17
                                        ; implicit-def: $vgpr16
                                        ; implicit-def: $vgpr15
                                        ; implicit-def: $vgpr14
                                        ; implicit-def: $vgpr13
                                        ; implicit-def: $vgpr12
                                        ; implicit-def: $vgpr11
                                        ; implicit-def: $vgpr10
                                        ; implicit-def: $vgpr9
                                        ; implicit-def: $vgpr8
                                        ; implicit-def: $vgpr7
                                        ; implicit-def: $vgpr6
                                        ; implicit-def: $vgpr2
                                        ; implicit-def: $vgpr20
	v_mov_b32_e32 v21, s8
	s_and_saveexec_b32 s0, s10
	s_cbranch_execnz .LBB1954_923
	s_branch .LBB1954_924
.LBB1954_903:                           ;   in Loop: Header=BB1954_900 Depth=2
	s_mov_b32 s10, 0
                                        ; implicit-def: $sgpr11
                                        ; implicit-def: $vgpr22
                                        ; implicit-def: $vgpr23
                                        ; implicit-def: $vgpr24
                                        ; implicit-def: $vgpr25
                                        ; implicit-def: $vgpr26
                                        ; implicit-def: $vgpr27
                                        ; implicit-def: $vgpr28
                                        ; implicit-def: $vgpr29
                                        ; implicit-def: $vgpr30
                                        ; implicit-def: $vgpr31
                                        ; implicit-def: $vgpr32
                                        ; implicit-def: $vgpr33
                                        ; implicit-def: $vgpr34
                                        ; implicit-def: $vgpr35
                                        ; implicit-def: $vgpr36
                                        ; implicit-def: $vgpr4_vgpr5
.LBB1954_904:                           ;   in Loop: Header=BB1954_900 Depth=2
	s_lshl_b64 s[0:1], s[34:35], 1
	s_mov_b32 s11, exec_lo
	s_add_u32 s0, s36, s0
	s_addc_u32 s1, s37, s1
	v_cmpx_gt_u32_e64 s8, v1
	s_cbranch_execz .LBB1954_956
; %bb.905:                              ;   in Loop: Header=BB1954_900 Depth=2
	global_load_u16 v19, v95, s[0:1]
	s_or_b32 exec_lo, exec_lo, s11
	s_delay_alu instid0(SALU_CYCLE_1)
	s_mov_b32 s11, exec_lo
	v_cmpx_gt_u32_e64 s8, v45
	s_cbranch_execnz .LBB1954_957
.LBB1954_906:                           ;   in Loop: Header=BB1954_900 Depth=2
	s_or_b32 exec_lo, exec_lo, s11
	s_delay_alu instid0(SALU_CYCLE_1)
	s_mov_b32 s11, exec_lo
	v_cmpx_gt_u32_e64 s8, v46
	s_cbranch_execz .LBB1954_958
.LBB1954_907:                           ;   in Loop: Header=BB1954_900 Depth=2
	global_load_u16 v17, v95, s[0:1] offset:1024
	s_or_b32 exec_lo, exec_lo, s11
	s_delay_alu instid0(SALU_CYCLE_1)
	s_mov_b32 s11, exec_lo
	v_cmpx_gt_u32_e64 s8, v47
	s_cbranch_execnz .LBB1954_959
.LBB1954_908:                           ;   in Loop: Header=BB1954_900 Depth=2
	s_or_b32 exec_lo, exec_lo, s11
	s_delay_alu instid0(SALU_CYCLE_1)
	s_mov_b32 s11, exec_lo
	v_cmpx_gt_u32_e64 s8, v51
	s_cbranch_execz .LBB1954_960
.LBB1954_909:                           ;   in Loop: Header=BB1954_900 Depth=2
	global_load_u16 v15, v95, s[0:1] offset:2048
	s_or_b32 exec_lo, exec_lo, s11
	s_delay_alu instid0(SALU_CYCLE_1)
	s_mov_b32 s11, exec_lo
	v_cmpx_gt_u32_e64 s8, v52
	s_cbranch_execnz .LBB1954_961
.LBB1954_910:                           ;   in Loop: Header=BB1954_900 Depth=2
	s_or_b32 exec_lo, exec_lo, s11
	s_delay_alu instid0(SALU_CYCLE_1)
	s_mov_b32 s11, exec_lo
	v_cmpx_gt_u32_e64 s8, v53
	s_cbranch_execz .LBB1954_962
.LBB1954_911:                           ;   in Loop: Header=BB1954_900 Depth=2
	global_load_u16 v13, v95, s[0:1] offset:3072
	s_or_b32 exec_lo, exec_lo, s11
	s_delay_alu instid0(SALU_CYCLE_1)
	s_mov_b32 s11, exec_lo
	v_cmpx_gt_u32_e64 s8, v54
	s_cbranch_execnz .LBB1954_963
.LBB1954_912:                           ;   in Loop: Header=BB1954_900 Depth=2
	s_or_b32 exec_lo, exec_lo, s11
	s_delay_alu instid0(SALU_CYCLE_1)
	s_mov_b32 s11, exec_lo
	v_cmpx_gt_u32_e64 s8, v55
	s_cbranch_execz .LBB1954_964
.LBB1954_913:                           ;   in Loop: Header=BB1954_900 Depth=2
	global_load_u16 v11, v96, s[0:1]
	s_or_b32 exec_lo, exec_lo, s11
	s_delay_alu instid0(SALU_CYCLE_1)
	s_mov_b32 s11, exec_lo
	v_cmpx_gt_u32_e64 s8, v56
	s_cbranch_execnz .LBB1954_965
.LBB1954_914:                           ;   in Loop: Header=BB1954_900 Depth=2
	s_or_b32 exec_lo, exec_lo, s11
	s_delay_alu instid0(SALU_CYCLE_1)
	s_mov_b32 s11, exec_lo
	v_cmpx_gt_u32_e64 s8, v57
	s_cbranch_execz .LBB1954_966
.LBB1954_915:                           ;   in Loop: Header=BB1954_900 Depth=2
	global_load_u16 v9, v98, s[0:1]
	s_or_b32 exec_lo, exec_lo, s11
	s_delay_alu instid0(SALU_CYCLE_1)
	s_mov_b32 s11, exec_lo
	v_cmpx_gt_u32_e64 s8, v58
	s_cbranch_execnz .LBB1954_967
.LBB1954_916:                           ;   in Loop: Header=BB1954_900 Depth=2
	s_or_b32 exec_lo, exec_lo, s11
	s_delay_alu instid0(SALU_CYCLE_1)
	s_mov_b32 s11, exec_lo
	v_cmpx_gt_u32_e64 s8, v59
	s_cbranch_execz .LBB1954_968
.LBB1954_917:                           ;   in Loop: Header=BB1954_900 Depth=2
	global_load_u16 v7, v100, s[0:1]
	s_or_b32 exec_lo, exec_lo, s11
	s_delay_alu instid0(SALU_CYCLE_1)
	s_mov_b32 s11, exec_lo
	v_cmpx_gt_u32_e64 s8, v60
	s_cbranch_execnz .LBB1954_969
.LBB1954_918:                           ;   in Loop: Header=BB1954_900 Depth=2
	s_or_b32 exec_lo, exec_lo, s11
	s_delay_alu instid0(SALU_CYCLE_1)
	s_mov_b32 s11, exec_lo
	v_cmpx_gt_u32_e64 s8, v61
	s_cbranch_execz .LBB1954_920
.LBB1954_919:                           ;   in Loop: Header=BB1954_900 Depth=2
	global_load_u16 v2, v102, s[0:1]
.LBB1954_920:                           ;   in Loop: Header=BB1954_900 Depth=2
	s_or_b32 exec_lo, exec_lo, s11
	s_delay_alu instid0(SALU_CYCLE_1)
	s_mov_b32 s12, exec_lo
                                        ; implicit-def: $sgpr11
                                        ; implicit-def: $vgpr4_vgpr5
	v_cmpx_gt_u32_e64 s8, v63
; %bb.921:                              ;   in Loop: Header=BB1954_900 Depth=2
	v_add_co_u32 v4, s0, s0, v103
	s_delay_alu instid0(VALU_DEP_1)
	v_add_co_ci_u32_e64 v5, null, s1, 0, s0
	s_sub_i32 s11, s53, s34
	s_or_b32 s10, s10, exec_lo
                                        ; implicit-def: $vgpr20
; %bb.922:                              ;   in Loop: Header=BB1954_900 Depth=2
	s_or_b32 exec_lo, exec_lo, s12
	s_waitcnt vmcnt(0)
	v_dual_mov_b32 v22, v19 :: v_dual_mov_b32 v23, v18
	v_dual_mov_b32 v24, v17 :: v_dual_mov_b32 v25, v16
	v_dual_mov_b32 v26, v15 :: v_dual_mov_b32 v27, v14
	v_dual_mov_b32 v28, v13 :: v_dual_mov_b32 v29, v12
	v_dual_mov_b32 v30, v11 :: v_dual_mov_b32 v31, v10
	v_dual_mov_b32 v32, v9 :: v_dual_mov_b32 v33, v8
	v_dual_mov_b32 v34, v7 :: v_dual_mov_b32 v35, v6
	v_dual_mov_b32 v36, v2 :: v_dual_mov_b32 v21, s8
	s_and_saveexec_b32 s0, s10
	s_cbranch_execz .LBB1954_924
.LBB1954_923:                           ;   in Loop: Header=BB1954_900 Depth=2
	global_load_u16 v20, v[4:5], off
	s_waitcnt vmcnt(1)
	v_dual_mov_b32 v21, s11 :: v_dual_mov_b32 v2, v36
	v_dual_mov_b32 v6, v35 :: v_dual_mov_b32 v7, v34
	;; [unrolled: 1-line block ×8, first 2 shown]
.LBB1954_924:                           ;   in Loop: Header=BB1954_900 Depth=2
	s_or_b32 exec_lo, exec_lo, s0
	v_lshlrev_b32_e32 v4, 2, v48
	s_mov_b32 s0, exec_lo
	v_cmpx_lt_u32_e64 v1, v21
	s_cbranch_execz .LBB1954_940
; %bb.925:                              ;   in Loop: Header=BB1954_900 Depth=2
	v_cmp_gt_i16_e32 vcc_lo, 0, v19
	v_cndmask_b32_e64 v5, 0x7fff, 0, vcc_lo
	s_delay_alu instid0(VALU_DEP_1) | instskip(NEXT) | instid1(VALU_DEP_1)
	v_xor_b32_e32 v5, v5, v19
	v_cmp_ne_u16_e32 vcc_lo, 0x8000, v5
	v_cndmask_b32_e32 v5, 0x7fff, v5, vcc_lo
	s_delay_alu instid0(VALU_DEP_1) | instskip(NEXT) | instid1(VALU_DEP_1)
	v_and_b32_e32 v5, 0xffff, v5
	v_lshrrev_b32_e32 v5, s49, v5
	s_delay_alu instid0(VALU_DEP_1) | instskip(NEXT) | instid1(VALU_DEP_1)
	v_and_b32_e32 v5, s55, v5
	v_lshl_or_b32 v5, v5, 4, v4
	ds_add_u32 v5, v94
	s_or_b32 exec_lo, exec_lo, s0
	s_delay_alu instid0(SALU_CYCLE_1)
	s_mov_b32 s0, exec_lo
	v_cmpx_lt_u32_e64 v45, v21
	s_cbranch_execnz .LBB1954_941
.LBB1954_926:                           ;   in Loop: Header=BB1954_900 Depth=2
	s_or_b32 exec_lo, exec_lo, s0
	s_delay_alu instid0(SALU_CYCLE_1)
	s_mov_b32 s0, exec_lo
	v_cmpx_lt_u32_e64 v46, v21
	s_cbranch_execz .LBB1954_942
.LBB1954_927:                           ;   in Loop: Header=BB1954_900 Depth=2
	v_cmp_gt_i16_e32 vcc_lo, 0, v17
	v_cndmask_b32_e64 v5, 0x7fff, 0, vcc_lo
	s_delay_alu instid0(VALU_DEP_1) | instskip(NEXT) | instid1(VALU_DEP_1)
	v_xor_b32_e32 v5, v5, v17
	v_cmp_ne_u16_e32 vcc_lo, 0x8000, v5
	v_cndmask_b32_e32 v5, 0x7fff, v5, vcc_lo
	s_delay_alu instid0(VALU_DEP_1) | instskip(NEXT) | instid1(VALU_DEP_1)
	v_and_b32_e32 v5, 0xffff, v5
	v_lshrrev_b32_e32 v5, s49, v5
	s_delay_alu instid0(VALU_DEP_1) | instskip(NEXT) | instid1(VALU_DEP_1)
	v_and_b32_e32 v5, s55, v5
	v_lshl_or_b32 v5, v5, 4, v4
	ds_add_u32 v5, v94
	s_or_b32 exec_lo, exec_lo, s0
	s_delay_alu instid0(SALU_CYCLE_1)
	s_mov_b32 s0, exec_lo
	v_cmpx_lt_u32_e64 v47, v21
	s_cbranch_execnz .LBB1954_943
.LBB1954_928:                           ;   in Loop: Header=BB1954_900 Depth=2
	s_or_b32 exec_lo, exec_lo, s0
	s_delay_alu instid0(SALU_CYCLE_1)
	s_mov_b32 s0, exec_lo
	v_cmpx_lt_u32_e64 v51, v21
	s_cbranch_execz .LBB1954_944
.LBB1954_929:                           ;   in Loop: Header=BB1954_900 Depth=2
	v_cmp_gt_i16_e32 vcc_lo, 0, v15
	v_cndmask_b32_e64 v5, 0x7fff, 0, vcc_lo
	s_delay_alu instid0(VALU_DEP_1) | instskip(NEXT) | instid1(VALU_DEP_1)
	v_xor_b32_e32 v5, v5, v15
	v_cmp_ne_u16_e32 vcc_lo, 0x8000, v5
	v_cndmask_b32_e32 v5, 0x7fff, v5, vcc_lo
	s_delay_alu instid0(VALU_DEP_1) | instskip(NEXT) | instid1(VALU_DEP_1)
	v_and_b32_e32 v5, 0xffff, v5
	v_lshrrev_b32_e32 v5, s49, v5
	s_delay_alu instid0(VALU_DEP_1) | instskip(NEXT) | instid1(VALU_DEP_1)
	v_and_b32_e32 v5, s55, v5
	v_lshl_or_b32 v5, v5, 4, v4
	ds_add_u32 v5, v94
	s_or_b32 exec_lo, exec_lo, s0
	s_delay_alu instid0(SALU_CYCLE_1)
	s_mov_b32 s0, exec_lo
	v_cmpx_lt_u32_e64 v52, v21
	s_cbranch_execnz .LBB1954_945
.LBB1954_930:                           ;   in Loop: Header=BB1954_900 Depth=2
	s_or_b32 exec_lo, exec_lo, s0
	s_delay_alu instid0(SALU_CYCLE_1)
	s_mov_b32 s0, exec_lo
	v_cmpx_lt_u32_e64 v53, v21
	s_cbranch_execz .LBB1954_946
.LBB1954_931:                           ;   in Loop: Header=BB1954_900 Depth=2
	v_cmp_gt_i16_e32 vcc_lo, 0, v13
	v_cndmask_b32_e64 v5, 0x7fff, 0, vcc_lo
	s_delay_alu instid0(VALU_DEP_1) | instskip(NEXT) | instid1(VALU_DEP_1)
	v_xor_b32_e32 v5, v5, v13
	v_cmp_ne_u16_e32 vcc_lo, 0x8000, v5
	v_cndmask_b32_e32 v5, 0x7fff, v5, vcc_lo
	s_delay_alu instid0(VALU_DEP_1) | instskip(NEXT) | instid1(VALU_DEP_1)
	v_and_b32_e32 v5, 0xffff, v5
	v_lshrrev_b32_e32 v5, s49, v5
	s_delay_alu instid0(VALU_DEP_1) | instskip(NEXT) | instid1(VALU_DEP_1)
	v_and_b32_e32 v5, s55, v5
	v_lshl_or_b32 v5, v5, 4, v4
	ds_add_u32 v5, v94
	s_or_b32 exec_lo, exec_lo, s0
	s_delay_alu instid0(SALU_CYCLE_1)
	s_mov_b32 s0, exec_lo
	v_cmpx_lt_u32_e64 v54, v21
	s_cbranch_execnz .LBB1954_947
.LBB1954_932:                           ;   in Loop: Header=BB1954_900 Depth=2
	s_or_b32 exec_lo, exec_lo, s0
	s_delay_alu instid0(SALU_CYCLE_1)
	s_mov_b32 s0, exec_lo
	v_cmpx_lt_u32_e64 v55, v21
	s_cbranch_execz .LBB1954_948
.LBB1954_933:                           ;   in Loop: Header=BB1954_900 Depth=2
	v_cmp_gt_i16_e32 vcc_lo, 0, v11
	v_cndmask_b32_e64 v5, 0x7fff, 0, vcc_lo
	s_delay_alu instid0(VALU_DEP_1) | instskip(NEXT) | instid1(VALU_DEP_1)
	v_xor_b32_e32 v5, v5, v11
	v_cmp_ne_u16_e32 vcc_lo, 0x8000, v5
	v_cndmask_b32_e32 v5, 0x7fff, v5, vcc_lo
	s_delay_alu instid0(VALU_DEP_1) | instskip(NEXT) | instid1(VALU_DEP_1)
	v_and_b32_e32 v5, 0xffff, v5
	v_lshrrev_b32_e32 v5, s49, v5
	s_delay_alu instid0(VALU_DEP_1) | instskip(NEXT) | instid1(VALU_DEP_1)
	v_and_b32_e32 v5, s55, v5
	v_lshl_or_b32 v5, v5, 4, v4
	ds_add_u32 v5, v94
	s_or_b32 exec_lo, exec_lo, s0
	s_delay_alu instid0(SALU_CYCLE_1)
	s_mov_b32 s0, exec_lo
	v_cmpx_lt_u32_e64 v56, v21
	s_cbranch_execnz .LBB1954_949
.LBB1954_934:                           ;   in Loop: Header=BB1954_900 Depth=2
	s_or_b32 exec_lo, exec_lo, s0
	s_delay_alu instid0(SALU_CYCLE_1)
	s_mov_b32 s0, exec_lo
	v_cmpx_lt_u32_e64 v57, v21
	s_cbranch_execz .LBB1954_950
.LBB1954_935:                           ;   in Loop: Header=BB1954_900 Depth=2
	v_cmp_gt_i16_e32 vcc_lo, 0, v9
	v_cndmask_b32_e64 v5, 0x7fff, 0, vcc_lo
	s_delay_alu instid0(VALU_DEP_1) | instskip(NEXT) | instid1(VALU_DEP_1)
	v_xor_b32_e32 v5, v5, v9
	v_cmp_ne_u16_e32 vcc_lo, 0x8000, v5
	v_cndmask_b32_e32 v5, 0x7fff, v5, vcc_lo
	s_delay_alu instid0(VALU_DEP_1) | instskip(NEXT) | instid1(VALU_DEP_1)
	v_and_b32_e32 v5, 0xffff, v5
	v_lshrrev_b32_e32 v5, s49, v5
	s_delay_alu instid0(VALU_DEP_1) | instskip(NEXT) | instid1(VALU_DEP_1)
	v_and_b32_e32 v5, s55, v5
	v_lshl_or_b32 v5, v5, 4, v4
	ds_add_u32 v5, v94
	s_or_b32 exec_lo, exec_lo, s0
	s_delay_alu instid0(SALU_CYCLE_1)
	s_mov_b32 s0, exec_lo
	v_cmpx_lt_u32_e64 v58, v21
	s_cbranch_execnz .LBB1954_951
.LBB1954_936:                           ;   in Loop: Header=BB1954_900 Depth=2
	s_or_b32 exec_lo, exec_lo, s0
	s_delay_alu instid0(SALU_CYCLE_1)
	s_mov_b32 s0, exec_lo
	v_cmpx_lt_u32_e64 v59, v21
	s_cbranch_execz .LBB1954_952
.LBB1954_937:                           ;   in Loop: Header=BB1954_900 Depth=2
	v_cmp_gt_i16_e32 vcc_lo, 0, v7
	v_cndmask_b32_e64 v5, 0x7fff, 0, vcc_lo
	s_delay_alu instid0(VALU_DEP_1) | instskip(NEXT) | instid1(VALU_DEP_1)
	v_xor_b32_e32 v5, v5, v7
	v_cmp_ne_u16_e32 vcc_lo, 0x8000, v5
	v_cndmask_b32_e32 v5, 0x7fff, v5, vcc_lo
	s_delay_alu instid0(VALU_DEP_1) | instskip(NEXT) | instid1(VALU_DEP_1)
	v_and_b32_e32 v5, 0xffff, v5
	v_lshrrev_b32_e32 v5, s49, v5
	s_delay_alu instid0(VALU_DEP_1) | instskip(NEXT) | instid1(VALU_DEP_1)
	v_and_b32_e32 v5, s55, v5
	v_lshl_or_b32 v5, v5, 4, v4
	ds_add_u32 v5, v94
	s_or_b32 exec_lo, exec_lo, s0
	s_delay_alu instid0(SALU_CYCLE_1)
	s_mov_b32 s0, exec_lo
	v_cmpx_lt_u32_e64 v60, v21
	s_cbranch_execnz .LBB1954_953
.LBB1954_938:                           ;   in Loop: Header=BB1954_900 Depth=2
	s_or_b32 exec_lo, exec_lo, s0
	s_delay_alu instid0(SALU_CYCLE_1)
	s_mov_b32 s0, exec_lo
	v_cmpx_lt_u32_e64 v61, v21
	s_cbranch_execz .LBB1954_954
.LBB1954_939:                           ;   in Loop: Header=BB1954_900 Depth=2
	v_cmp_gt_i16_e32 vcc_lo, 0, v2
	v_cndmask_b32_e64 v5, 0x7fff, 0, vcc_lo
	s_delay_alu instid0(VALU_DEP_1) | instskip(NEXT) | instid1(VALU_DEP_1)
	v_xor_b32_e32 v5, v5, v2
	v_cmp_ne_u16_e32 vcc_lo, 0x8000, v5
	v_cndmask_b32_e32 v5, 0x7fff, v5, vcc_lo
	s_delay_alu instid0(VALU_DEP_1) | instskip(NEXT) | instid1(VALU_DEP_1)
	v_and_b32_e32 v5, 0xffff, v5
	v_lshrrev_b32_e32 v5, s49, v5
	s_delay_alu instid0(VALU_DEP_1) | instskip(NEXT) | instid1(VALU_DEP_1)
	v_and_b32_e32 v5, s55, v5
	v_lshl_or_b32 v5, v5, 4, v4
	ds_add_u32 v5, v94
	s_or_b32 exec_lo, exec_lo, s0
	s_delay_alu instid0(SALU_CYCLE_1)
	s_mov_b32 s0, exec_lo
	v_cmpx_lt_u32_e64 v63, v21
	s_cbranch_execz .LBB1954_899
	s_branch .LBB1954_955
.LBB1954_940:                           ;   in Loop: Header=BB1954_900 Depth=2
	s_or_b32 exec_lo, exec_lo, s0
	s_delay_alu instid0(SALU_CYCLE_1)
	s_mov_b32 s0, exec_lo
	v_cmpx_lt_u32_e64 v45, v21
	s_cbranch_execz .LBB1954_926
.LBB1954_941:                           ;   in Loop: Header=BB1954_900 Depth=2
	v_cmp_gt_i16_e32 vcc_lo, 0, v18
	v_cndmask_b32_e64 v5, 0x7fff, 0, vcc_lo
	s_delay_alu instid0(VALU_DEP_1) | instskip(NEXT) | instid1(VALU_DEP_1)
	v_xor_b32_e32 v5, v5, v18
	v_cmp_ne_u16_e32 vcc_lo, 0x8000, v5
	v_cndmask_b32_e32 v5, 0x7fff, v5, vcc_lo
	s_delay_alu instid0(VALU_DEP_1) | instskip(NEXT) | instid1(VALU_DEP_1)
	v_and_b32_e32 v5, 0xffff, v5
	v_lshrrev_b32_e32 v5, s49, v5
	s_delay_alu instid0(VALU_DEP_1) | instskip(NEXT) | instid1(VALU_DEP_1)
	v_and_b32_e32 v5, s55, v5
	v_lshl_or_b32 v5, v5, 4, v4
	ds_add_u32 v5, v94
	s_or_b32 exec_lo, exec_lo, s0
	s_delay_alu instid0(SALU_CYCLE_1)
	s_mov_b32 s0, exec_lo
	v_cmpx_lt_u32_e64 v46, v21
	s_cbranch_execnz .LBB1954_927
.LBB1954_942:                           ;   in Loop: Header=BB1954_900 Depth=2
	s_or_b32 exec_lo, exec_lo, s0
	s_delay_alu instid0(SALU_CYCLE_1)
	s_mov_b32 s0, exec_lo
	v_cmpx_lt_u32_e64 v47, v21
	s_cbranch_execz .LBB1954_928
.LBB1954_943:                           ;   in Loop: Header=BB1954_900 Depth=2
	v_cmp_gt_i16_e32 vcc_lo, 0, v16
	v_cndmask_b32_e64 v5, 0x7fff, 0, vcc_lo
	s_delay_alu instid0(VALU_DEP_1) | instskip(NEXT) | instid1(VALU_DEP_1)
	v_xor_b32_e32 v5, v5, v16
	v_cmp_ne_u16_e32 vcc_lo, 0x8000, v5
	v_cndmask_b32_e32 v5, 0x7fff, v5, vcc_lo
	s_delay_alu instid0(VALU_DEP_1) | instskip(NEXT) | instid1(VALU_DEP_1)
	v_and_b32_e32 v5, 0xffff, v5
	v_lshrrev_b32_e32 v5, s49, v5
	s_delay_alu instid0(VALU_DEP_1) | instskip(NEXT) | instid1(VALU_DEP_1)
	v_and_b32_e32 v5, s55, v5
	v_lshl_or_b32 v5, v5, 4, v4
	ds_add_u32 v5, v94
	s_or_b32 exec_lo, exec_lo, s0
	s_delay_alu instid0(SALU_CYCLE_1)
	s_mov_b32 s0, exec_lo
	v_cmpx_lt_u32_e64 v51, v21
	s_cbranch_execnz .LBB1954_929
.LBB1954_944:                           ;   in Loop: Header=BB1954_900 Depth=2
	s_or_b32 exec_lo, exec_lo, s0
	s_delay_alu instid0(SALU_CYCLE_1)
	s_mov_b32 s0, exec_lo
	v_cmpx_lt_u32_e64 v52, v21
	s_cbranch_execz .LBB1954_930
.LBB1954_945:                           ;   in Loop: Header=BB1954_900 Depth=2
	v_cmp_gt_i16_e32 vcc_lo, 0, v14
	v_cndmask_b32_e64 v5, 0x7fff, 0, vcc_lo
	s_delay_alu instid0(VALU_DEP_1) | instskip(NEXT) | instid1(VALU_DEP_1)
	v_xor_b32_e32 v5, v5, v14
	v_cmp_ne_u16_e32 vcc_lo, 0x8000, v5
	v_cndmask_b32_e32 v5, 0x7fff, v5, vcc_lo
	s_delay_alu instid0(VALU_DEP_1) | instskip(NEXT) | instid1(VALU_DEP_1)
	v_and_b32_e32 v5, 0xffff, v5
	v_lshrrev_b32_e32 v5, s49, v5
	s_delay_alu instid0(VALU_DEP_1) | instskip(NEXT) | instid1(VALU_DEP_1)
	v_and_b32_e32 v5, s55, v5
	v_lshl_or_b32 v5, v5, 4, v4
	ds_add_u32 v5, v94
	s_or_b32 exec_lo, exec_lo, s0
	s_delay_alu instid0(SALU_CYCLE_1)
	s_mov_b32 s0, exec_lo
	v_cmpx_lt_u32_e64 v53, v21
	s_cbranch_execnz .LBB1954_931
.LBB1954_946:                           ;   in Loop: Header=BB1954_900 Depth=2
	s_or_b32 exec_lo, exec_lo, s0
	s_delay_alu instid0(SALU_CYCLE_1)
	s_mov_b32 s0, exec_lo
	v_cmpx_lt_u32_e64 v54, v21
	s_cbranch_execz .LBB1954_932
.LBB1954_947:                           ;   in Loop: Header=BB1954_900 Depth=2
	v_cmp_gt_i16_e32 vcc_lo, 0, v12
	v_cndmask_b32_e64 v5, 0x7fff, 0, vcc_lo
	s_delay_alu instid0(VALU_DEP_1) | instskip(NEXT) | instid1(VALU_DEP_1)
	v_xor_b32_e32 v5, v5, v12
	v_cmp_ne_u16_e32 vcc_lo, 0x8000, v5
	v_cndmask_b32_e32 v5, 0x7fff, v5, vcc_lo
	s_delay_alu instid0(VALU_DEP_1) | instskip(NEXT) | instid1(VALU_DEP_1)
	v_and_b32_e32 v5, 0xffff, v5
	v_lshrrev_b32_e32 v5, s49, v5
	s_delay_alu instid0(VALU_DEP_1) | instskip(NEXT) | instid1(VALU_DEP_1)
	v_and_b32_e32 v5, s55, v5
	v_lshl_or_b32 v5, v5, 4, v4
	ds_add_u32 v5, v94
	s_or_b32 exec_lo, exec_lo, s0
	s_delay_alu instid0(SALU_CYCLE_1)
	s_mov_b32 s0, exec_lo
	v_cmpx_lt_u32_e64 v55, v21
	s_cbranch_execnz .LBB1954_933
.LBB1954_948:                           ;   in Loop: Header=BB1954_900 Depth=2
	s_or_b32 exec_lo, exec_lo, s0
	s_delay_alu instid0(SALU_CYCLE_1)
	s_mov_b32 s0, exec_lo
	v_cmpx_lt_u32_e64 v56, v21
	s_cbranch_execz .LBB1954_934
.LBB1954_949:                           ;   in Loop: Header=BB1954_900 Depth=2
	v_cmp_gt_i16_e32 vcc_lo, 0, v10
	v_cndmask_b32_e64 v5, 0x7fff, 0, vcc_lo
	s_delay_alu instid0(VALU_DEP_1) | instskip(NEXT) | instid1(VALU_DEP_1)
	v_xor_b32_e32 v5, v5, v10
	v_cmp_ne_u16_e32 vcc_lo, 0x8000, v5
	v_cndmask_b32_e32 v5, 0x7fff, v5, vcc_lo
	s_delay_alu instid0(VALU_DEP_1) | instskip(NEXT) | instid1(VALU_DEP_1)
	v_and_b32_e32 v5, 0xffff, v5
	v_lshrrev_b32_e32 v5, s49, v5
	s_delay_alu instid0(VALU_DEP_1) | instskip(NEXT) | instid1(VALU_DEP_1)
	v_and_b32_e32 v5, s55, v5
	v_lshl_or_b32 v5, v5, 4, v4
	ds_add_u32 v5, v94
	s_or_b32 exec_lo, exec_lo, s0
	s_delay_alu instid0(SALU_CYCLE_1)
	s_mov_b32 s0, exec_lo
	v_cmpx_lt_u32_e64 v57, v21
	s_cbranch_execnz .LBB1954_935
.LBB1954_950:                           ;   in Loop: Header=BB1954_900 Depth=2
	s_or_b32 exec_lo, exec_lo, s0
	s_delay_alu instid0(SALU_CYCLE_1)
	s_mov_b32 s0, exec_lo
	v_cmpx_lt_u32_e64 v58, v21
	s_cbranch_execz .LBB1954_936
.LBB1954_951:                           ;   in Loop: Header=BB1954_900 Depth=2
	v_cmp_gt_i16_e32 vcc_lo, 0, v8
	v_cndmask_b32_e64 v5, 0x7fff, 0, vcc_lo
	s_delay_alu instid0(VALU_DEP_1) | instskip(NEXT) | instid1(VALU_DEP_1)
	v_xor_b32_e32 v5, v5, v8
	v_cmp_ne_u16_e32 vcc_lo, 0x8000, v5
	v_cndmask_b32_e32 v5, 0x7fff, v5, vcc_lo
	s_delay_alu instid0(VALU_DEP_1) | instskip(NEXT) | instid1(VALU_DEP_1)
	v_and_b32_e32 v5, 0xffff, v5
	v_lshrrev_b32_e32 v5, s49, v5
	s_delay_alu instid0(VALU_DEP_1) | instskip(NEXT) | instid1(VALU_DEP_1)
	v_and_b32_e32 v5, s55, v5
	v_lshl_or_b32 v5, v5, 4, v4
	ds_add_u32 v5, v94
	s_or_b32 exec_lo, exec_lo, s0
	s_delay_alu instid0(SALU_CYCLE_1)
	s_mov_b32 s0, exec_lo
	v_cmpx_lt_u32_e64 v59, v21
	s_cbranch_execnz .LBB1954_937
.LBB1954_952:                           ;   in Loop: Header=BB1954_900 Depth=2
	s_or_b32 exec_lo, exec_lo, s0
	s_delay_alu instid0(SALU_CYCLE_1)
	s_mov_b32 s0, exec_lo
	v_cmpx_lt_u32_e64 v60, v21
	s_cbranch_execz .LBB1954_938
.LBB1954_953:                           ;   in Loop: Header=BB1954_900 Depth=2
	v_cmp_gt_i16_e32 vcc_lo, 0, v6
	v_cndmask_b32_e64 v5, 0x7fff, 0, vcc_lo
	s_delay_alu instid0(VALU_DEP_1) | instskip(NEXT) | instid1(VALU_DEP_1)
	v_xor_b32_e32 v5, v5, v6
	v_cmp_ne_u16_e32 vcc_lo, 0x8000, v5
	v_cndmask_b32_e32 v5, 0x7fff, v5, vcc_lo
	s_delay_alu instid0(VALU_DEP_1) | instskip(NEXT) | instid1(VALU_DEP_1)
	v_and_b32_e32 v5, 0xffff, v5
	v_lshrrev_b32_e32 v5, s49, v5
	s_delay_alu instid0(VALU_DEP_1) | instskip(NEXT) | instid1(VALU_DEP_1)
	v_and_b32_e32 v5, s55, v5
	v_lshl_or_b32 v5, v5, 4, v4
	ds_add_u32 v5, v94
	s_or_b32 exec_lo, exec_lo, s0
	s_delay_alu instid0(SALU_CYCLE_1)
	s_mov_b32 s0, exec_lo
	v_cmpx_lt_u32_e64 v61, v21
	s_cbranch_execnz .LBB1954_939
.LBB1954_954:                           ;   in Loop: Header=BB1954_900 Depth=2
	s_or_b32 exec_lo, exec_lo, s0
	s_delay_alu instid0(SALU_CYCLE_1)
	s_mov_b32 s0, exec_lo
	v_cmpx_lt_u32_e64 v63, v21
	s_cbranch_execz .LBB1954_899
.LBB1954_955:                           ;   in Loop: Header=BB1954_900 Depth=2
	s_waitcnt vmcnt(0)
	v_cmp_gt_i16_e32 vcc_lo, 0, v20
	v_cndmask_b32_e64 v5, 0x7fff, 0, vcc_lo
	s_delay_alu instid0(VALU_DEP_1) | instskip(NEXT) | instid1(VALU_DEP_1)
	v_xor_b32_e32 v5, v5, v20
	v_cmp_ne_u16_e32 vcc_lo, 0x8000, v5
	v_cndmask_b32_e32 v5, 0x7fff, v5, vcc_lo
	s_delay_alu instid0(VALU_DEP_1) | instskip(NEXT) | instid1(VALU_DEP_1)
	v_and_b32_e32 v5, 0xffff, v5
	v_lshrrev_b32_e32 v5, s49, v5
	s_delay_alu instid0(VALU_DEP_1) | instskip(NEXT) | instid1(VALU_DEP_1)
	v_and_b32_e32 v5, s55, v5
	v_lshl_or_b32 v4, v5, 4, v4
	ds_add_u32 v4, v94
	s_branch .LBB1954_899
.LBB1954_956:                           ;   in Loop: Header=BB1954_900 Depth=2
	s_or_b32 exec_lo, exec_lo, s11
	s_delay_alu instid0(SALU_CYCLE_1)
	s_mov_b32 s11, exec_lo
	v_cmpx_gt_u32_e64 s8, v45
	s_cbranch_execz .LBB1954_906
.LBB1954_957:                           ;   in Loop: Header=BB1954_900 Depth=2
	global_load_u16 v18, v95, s[0:1] offset:512
	s_or_b32 exec_lo, exec_lo, s11
	s_delay_alu instid0(SALU_CYCLE_1)
	s_mov_b32 s11, exec_lo
	v_cmpx_gt_u32_e64 s8, v46
	s_cbranch_execnz .LBB1954_907
.LBB1954_958:                           ;   in Loop: Header=BB1954_900 Depth=2
	s_or_b32 exec_lo, exec_lo, s11
	s_delay_alu instid0(SALU_CYCLE_1)
	s_mov_b32 s11, exec_lo
	v_cmpx_gt_u32_e64 s8, v47
	s_cbranch_execz .LBB1954_908
.LBB1954_959:                           ;   in Loop: Header=BB1954_900 Depth=2
	global_load_u16 v16, v95, s[0:1] offset:1536
	s_or_b32 exec_lo, exec_lo, s11
	s_delay_alu instid0(SALU_CYCLE_1)
	s_mov_b32 s11, exec_lo
	v_cmpx_gt_u32_e64 s8, v51
	s_cbranch_execnz .LBB1954_909
.LBB1954_960:                           ;   in Loop: Header=BB1954_900 Depth=2
	s_or_b32 exec_lo, exec_lo, s11
	s_delay_alu instid0(SALU_CYCLE_1)
	s_mov_b32 s11, exec_lo
	v_cmpx_gt_u32_e64 s8, v52
	s_cbranch_execz .LBB1954_910
.LBB1954_961:                           ;   in Loop: Header=BB1954_900 Depth=2
	global_load_u16 v14, v95, s[0:1] offset:2560
	s_or_b32 exec_lo, exec_lo, s11
	s_delay_alu instid0(SALU_CYCLE_1)
	s_mov_b32 s11, exec_lo
	v_cmpx_gt_u32_e64 s8, v53
	s_cbranch_execnz .LBB1954_911
.LBB1954_962:                           ;   in Loop: Header=BB1954_900 Depth=2
	s_or_b32 exec_lo, exec_lo, s11
	s_delay_alu instid0(SALU_CYCLE_1)
	s_mov_b32 s11, exec_lo
	v_cmpx_gt_u32_e64 s8, v54
	s_cbranch_execz .LBB1954_912
.LBB1954_963:                           ;   in Loop: Header=BB1954_900 Depth=2
	global_load_u16 v12, v95, s[0:1] offset:3584
	s_or_b32 exec_lo, exec_lo, s11
	s_delay_alu instid0(SALU_CYCLE_1)
	s_mov_b32 s11, exec_lo
	v_cmpx_gt_u32_e64 s8, v55
	s_cbranch_execnz .LBB1954_913
.LBB1954_964:                           ;   in Loop: Header=BB1954_900 Depth=2
	s_or_b32 exec_lo, exec_lo, s11
	s_delay_alu instid0(SALU_CYCLE_1)
	s_mov_b32 s11, exec_lo
	v_cmpx_gt_u32_e64 s8, v56
	s_cbranch_execz .LBB1954_914
.LBB1954_965:                           ;   in Loop: Header=BB1954_900 Depth=2
	global_load_u16 v10, v97, s[0:1]
	s_or_b32 exec_lo, exec_lo, s11
	s_delay_alu instid0(SALU_CYCLE_1)
	s_mov_b32 s11, exec_lo
	v_cmpx_gt_u32_e64 s8, v57
	s_cbranch_execnz .LBB1954_915
.LBB1954_966:                           ;   in Loop: Header=BB1954_900 Depth=2
	s_or_b32 exec_lo, exec_lo, s11
	s_delay_alu instid0(SALU_CYCLE_1)
	s_mov_b32 s11, exec_lo
	v_cmpx_gt_u32_e64 s8, v58
	s_cbranch_execz .LBB1954_916
.LBB1954_967:                           ;   in Loop: Header=BB1954_900 Depth=2
	global_load_u16 v8, v99, s[0:1]
	s_or_b32 exec_lo, exec_lo, s11
	s_delay_alu instid0(SALU_CYCLE_1)
	s_mov_b32 s11, exec_lo
	v_cmpx_gt_u32_e64 s8, v59
	s_cbranch_execnz .LBB1954_917
.LBB1954_968:                           ;   in Loop: Header=BB1954_900 Depth=2
	s_or_b32 exec_lo, exec_lo, s11
	s_delay_alu instid0(SALU_CYCLE_1)
	s_mov_b32 s11, exec_lo
	v_cmpx_gt_u32_e64 s8, v60
	s_cbranch_execz .LBB1954_918
.LBB1954_969:                           ;   in Loop: Header=BB1954_900 Depth=2
	global_load_u16 v6, v101, s[0:1]
	s_or_b32 exec_lo, exec_lo, s11
	s_delay_alu instid0(SALU_CYCLE_1)
	s_mov_b32 s11, exec_lo
	v_cmpx_gt_u32_e64 s8, v61
	s_cbranch_execz .LBB1954_920
	s_branch .LBB1954_919
.LBB1954_970:                           ;   in Loop: Header=BB1954_12 Depth=1
	v_mov_b32_e32 v2, 0
	s_waitcnt vmcnt(0) lgkmcnt(0)
	s_barrier
	buffer_gl0_inv
	s_and_saveexec_b32 s0, s2
	s_cbranch_execz .LBB1954_972
; %bb.971:                              ;   in Loop: Header=BB1954_12 Depth=1
	ds_load_2addr_b64 v[4:7], v64 offset1:1
	s_waitcnt lgkmcnt(0)
	v_add_nc_u32_e32 v2, v5, v4
	s_delay_alu instid0(VALU_DEP_1)
	v_add3_u32 v2, v2, v6, v7
.LBB1954_972:                           ;   in Loop: Header=BB1954_12 Depth=1
	s_or_b32 exec_lo, exec_lo, s0
	v_and_b32_e32 v4, 15, v104
	s_delay_alu instid0(VALU_DEP_2) | instskip(SKIP_1) | instid1(VALU_DEP_3)
	v_mov_b32_dpp v5, v2 row_shr:1 row_mask:0xf bank_mask:0xf
	v_and_b32_e32 v6, 16, v104
	v_cmp_eq_u32_e64 s0, 0, v4
	v_cmp_lt_u32_e64 s1, 1, v4
	v_cmp_lt_u32_e64 s8, 3, v4
	;; [unrolled: 1-line block ×3, first 2 shown]
	v_cmp_eq_u32_e64 s10, 0, v6
	v_cndmask_b32_e64 v5, v5, 0, s0
	s_delay_alu instid0(VALU_DEP_1) | instskip(NEXT) | instid1(VALU_DEP_1)
	v_add_nc_u32_e32 v2, v5, v2
	v_mov_b32_dpp v5, v2 row_shr:2 row_mask:0xf bank_mask:0xf
	s_delay_alu instid0(VALU_DEP_1) | instskip(NEXT) | instid1(VALU_DEP_1)
	v_cndmask_b32_e64 v5, 0, v5, s1
	v_add_nc_u32_e32 v2, v2, v5
	s_delay_alu instid0(VALU_DEP_1) | instskip(NEXT) | instid1(VALU_DEP_1)
	v_mov_b32_dpp v5, v2 row_shr:4 row_mask:0xf bank_mask:0xf
	v_cndmask_b32_e64 v5, 0, v5, s8
	s_delay_alu instid0(VALU_DEP_1) | instskip(NEXT) | instid1(VALU_DEP_1)
	v_add_nc_u32_e32 v2, v2, v5
	v_mov_b32_dpp v5, v2 row_shr:8 row_mask:0xf bank_mask:0xf
	s_delay_alu instid0(VALU_DEP_1) | instskip(SKIP_1) | instid1(VALU_DEP_2)
	v_cndmask_b32_e64 v4, 0, v5, s9
	v_bfe_i32 v5, v104, 4, 1
	v_add_nc_u32_e32 v2, v2, v4
	ds_swizzle_b32 v4, v2 offset:swizzle(BROADCAST,32,15)
	s_waitcnt lgkmcnt(0)
	v_and_b32_e32 v4, v5, v4
	s_delay_alu instid0(VALU_DEP_1)
	v_add_nc_u32_e32 v4, v2, v4
	s_and_saveexec_b32 s11, s3
	s_cbranch_execz .LBB1954_974
; %bb.973:                              ;   in Loop: Header=BB1954_12 Depth=1
	ds_store_b32 v65, v4
.LBB1954_974:                           ;   in Loop: Header=BB1954_12 Depth=1
	s_or_b32 exec_lo, exec_lo, s11
	v_and_b32_e32 v2, 7, v104
	s_waitcnt lgkmcnt(0)
	s_barrier
	buffer_gl0_inv
	s_and_saveexec_b32 s11, s4
	s_cbranch_execz .LBB1954_976
; %bb.975:                              ;   in Loop: Header=BB1954_12 Depth=1
	ds_load_b32 v5, v66
	v_cmp_ne_u32_e32 vcc_lo, 0, v2
	s_waitcnt lgkmcnt(0)
	v_mov_b32_dpp v6, v5 row_shr:1 row_mask:0xf bank_mask:0xf
	s_delay_alu instid0(VALU_DEP_1) | instskip(SKIP_1) | instid1(VALU_DEP_2)
	v_cndmask_b32_e32 v6, 0, v6, vcc_lo
	v_cmp_lt_u32_e32 vcc_lo, 1, v2
	v_add_nc_u32_e32 v5, v6, v5
	s_delay_alu instid0(VALU_DEP_1) | instskip(NEXT) | instid1(VALU_DEP_1)
	v_mov_b32_dpp v6, v5 row_shr:2 row_mask:0xf bank_mask:0xf
	v_cndmask_b32_e32 v6, 0, v6, vcc_lo
	v_cmp_lt_u32_e32 vcc_lo, 3, v2
	s_delay_alu instid0(VALU_DEP_2) | instskip(NEXT) | instid1(VALU_DEP_1)
	v_add_nc_u32_e32 v5, v5, v6
	v_mov_b32_dpp v6, v5 row_shr:4 row_mask:0xf bank_mask:0xf
	s_delay_alu instid0(VALU_DEP_1) | instskip(NEXT) | instid1(VALU_DEP_1)
	v_cndmask_b32_e32 v6, 0, v6, vcc_lo
	v_add_nc_u32_e32 v5, v5, v6
	ds_store_b32 v66, v5
.LBB1954_976:                           ;   in Loop: Header=BB1954_12 Depth=1
	s_or_b32 exec_lo, exec_lo, s11
	v_mov_b32_e32 v5, 0
	s_waitcnt lgkmcnt(0)
	s_barrier
	buffer_gl0_inv
	s_and_saveexec_b32 s11, s5
	s_cbranch_execz .LBB1954_978
; %bb.977:                              ;   in Loop: Header=BB1954_12 Depth=1
	ds_load_b32 v5, v67
.LBB1954_978:                           ;   in Loop: Header=BB1954_12 Depth=1
	s_or_b32 exec_lo, exec_lo, s11
	v_add_nc_u32_e32 v6, -1, v104
	s_waitcnt lgkmcnt(0)
	v_add_nc_u32_e32 v4, v5, v4
	v_cmp_eq_u32_e64 s11, 0, v104
	s_barrier
	v_cmp_gt_i32_e32 vcc_lo, 0, v6
	buffer_gl0_inv
	v_cndmask_b32_e32 v6, v6, v104, vcc_lo
	s_delay_alu instid0(VALU_DEP_1)
	v_lshlrev_b32_e32 v105, 2, v6
	ds_bpermute_b32 v4, v105, v4
	s_and_saveexec_b32 s12, s2
	s_cbranch_execz .LBB1954_980
; %bb.979:                              ;   in Loop: Header=BB1954_12 Depth=1
	s_waitcnt lgkmcnt(0)
	v_cndmask_b32_e64 v4, v4, v5, s11
	s_delay_alu instid0(VALU_DEP_1)
	v_add_nc_u32_e32 v4, s52, v4
	ds_store_b32 v44, v4
.LBB1954_980:                           ;   in Loop: Header=BB1954_12 Depth=1
	s_or_b32 exec_lo, exec_lo, s12
	s_load_b64 s[12:13], s[42:43], 0x0
	v_lshlrev_b32_e32 v5, 3, v104
	v_cmp_lt_u32_e64 s14, 3, v2
	v_or_b32_e32 v106, v104, v68
	s_mov_b32 s56, s54
	s_mov_b32 s34, s52
	v_add_co_u32 v107, vcc_lo, v90, v5
	v_add_co_ci_u32_e32 v108, vcc_lo, 0, v91, vcc_lo
	v_or_b32_e32 v109, 32, v106
	v_or_b32_e32 v110, 64, v106
	;; [unrolled: 1-line block ×10, first 2 shown]
	s_waitcnt lgkmcnt(0)
	s_cmp_lt_u32 s15, s13
	v_or_b32_e32 v119, 0x160, v106
	s_cselect_b32 s13, 14, 20
	v_or_b32_e32 v120, 0x180, v106
	s_add_u32 s16, s42, s13
	s_addc_u32 s17, s43, 0
	s_cmp_lt_u32 s26, s12
	global_load_u16 v4, v3, s[16:17]
	s_cselect_b32 s12, 12, 18
	v_or_b32_e32 v121, 0x1a0, v106
	s_add_u32 s12, s42, s12
	s_addc_u32 s13, s43, 0
	v_or_b32_e32 v122, 0x1c0, v106
	global_load_u16 v6, v3, s[12:13]
	v_cmp_eq_u32_e64 s12, 0, v2
	v_cmp_lt_u32_e64 s13, 1, v2
	v_lshlrev_b32_e32 v2, 1, v104
	v_or_b32_e32 v123, 0x1e0, v106
                                        ; implicit-def: $vgpr8_vgpr9
                                        ; implicit-def: $vgpr10_vgpr11
                                        ; implicit-def: $vgpr12_vgpr13
                                        ; implicit-def: $vgpr14_vgpr15
                                        ; implicit-def: $vgpr16_vgpr17
                                        ; implicit-def: $vgpr18_vgpr19
                                        ; implicit-def: $vgpr20_vgpr21
                                        ; implicit-def: $vgpr22_vgpr23
                                        ; implicit-def: $vgpr24_vgpr25
                                        ; implicit-def: $vgpr26_vgpr27
                                        ; implicit-def: $vgpr28_vgpr29
                                        ; implicit-def: $vgpr30_vgpr31
                                        ; implicit-def: $vgpr32_vgpr33
                                        ; implicit-def: $vgpr34_vgpr35
                                        ; implicit-def: $vgpr129
                                        ; implicit-def: $vgpr130
                                        ; implicit-def: $vgpr131
                                        ; implicit-def: $vgpr132
                                        ; implicit-def: $vgpr133
                                        ; implicit-def: $vgpr134
                                        ; implicit-def: $vgpr135
                                        ; implicit-def: $vgpr136
                                        ; implicit-def: $vgpr137
                                        ; implicit-def: $vgpr138
                                        ; implicit-def: $vgpr139
                                        ; implicit-def: $vgpr140
                                        ; implicit-def: $vgpr141
                                        ; implicit-def: $vgpr142
                                        ; implicit-def: $vgpr143
                                        ; implicit-def: $vgpr144
	s_delay_alu instid0(VALU_DEP_2) | instskip(SKIP_1) | instid1(VALU_DEP_2)
	v_add_co_u32 v124, vcc_lo, v92, v2
	v_add_co_ci_u32_e32 v125, vcc_lo, 0, v93, vcc_lo
	v_add_co_u32 v127, vcc_lo, 0x3c0, v124
	s_delay_alu instid0(VALU_DEP_2) | instskip(SKIP_3) | instid1(VALU_DEP_1)
	v_add_co_ci_u32_e32 v128, vcc_lo, 0, v125, vcc_lo
	s_waitcnt vmcnt(1)
	v_mad_u32_u24 v7, v70, v4, v0
	s_waitcnt vmcnt(0)
	v_mad_u64_u32 v[4:5], null, v7, v6, v[1:2]
                                        ; implicit-def: $vgpr6_vgpr7
	s_delay_alu instid0(VALU_DEP_1)
	v_lshrrev_b32_e32 v126, 5, v4
                                        ; implicit-def: $vgpr4_vgpr5
	s_branch .LBB1954_982
.LBB1954_981:                           ;   in Loop: Header=BB1954_982 Depth=2
	s_or_b32 exec_lo, exec_lo, s16
	s_addk_i32 s56, 0xf000
	s_cmp_lt_u32 s57, s53
	s_mov_b32 s34, s57
	s_cbranch_scc0 .LBB1954_10
.LBB1954_982:                           ;   Parent Loop BB1954_12 Depth=1
                                        ; =>  This Inner Loop Header: Depth=2
	s_add_i32 s57, s34, 0x1000
	s_delay_alu instid0(SALU_CYCLE_1)
	s_cmp_gt_u32 s57, s53
	s_cbranch_scc1 .LBB1954_985
; %bb.983:                              ;   in Loop: Header=BB1954_982 Depth=2
	s_mov_b32 s17, 0
	s_mov_b32 s16, s34
	s_delay_alu instid0(SALU_CYCLE_1) | instskip(NEXT) | instid1(SALU_CYCLE_1)
	s_lshl_b64 s[18:19], s[16:17], 1
	v_add_co_u32 v36, vcc_lo, v124, s18
	v_add_co_ci_u32_e32 v37, vcc_lo, s19, v125, vcc_lo
	s_mov_b32 s19, -1
	s_movk_i32 s18, 0x1000
	s_clause 0xe
	global_load_u16 v2, v[36:37], off
	global_load_u16 v147, v[36:37], off offset:64
	global_load_u16 v149, v[36:37], off offset:128
	global_load_u16 v153, v[36:37], off offset:192
	global_load_u16 v157, v[36:37], off offset:256
	global_load_u16 v161, v[36:37], off offset:320
	global_load_u16 v165, v[36:37], off offset:384
	global_load_u16 v170, v[36:37], off offset:448
	global_load_u16 v169, v[36:37], off offset:512
	global_load_u16 v43, v[36:37], off offset:576
	global_load_u16 v42, v[36:37], off offset:640
	global_load_u16 v41, v[36:37], off offset:704
	global_load_u16 v40, v[36:37], off offset:768
	global_load_u16 v39, v[36:37], off offset:832
	global_load_u16 v38, v[36:37], off offset:896
	s_cbranch_execz .LBB1954_986
; %bb.984:                              ;   in Loop: Header=BB1954_982 Depth=2
                                        ; implicit-def: $sgpr20
	v_dual_mov_b32 v36, s20 :: v_dual_mov_b32 v145, s56
	s_and_saveexec_b32 s20, s19
	s_cbranch_execnz .LBB1954_1017
	s_branch .LBB1954_1018
.LBB1954_985:                           ;   in Loop: Header=BB1954_982 Depth=2
	s_mov_b32 s17, -1
	s_mov_b32 s19, 0
                                        ; implicit-def: $sgpr18
                                        ; implicit-def: $vgpr2
                                        ; implicit-def: $vgpr147
                                        ; implicit-def: $vgpr149
                                        ; implicit-def: $vgpr153
                                        ; implicit-def: $vgpr157
                                        ; implicit-def: $vgpr161
                                        ; implicit-def: $vgpr165
                                        ; implicit-def: $vgpr170
                                        ; implicit-def: $vgpr169
                                        ; implicit-def: $vgpr43
                                        ; implicit-def: $vgpr42
                                        ; implicit-def: $vgpr41
                                        ; implicit-def: $vgpr40
                                        ; implicit-def: $vgpr39
                                        ; implicit-def: $vgpr38
.LBB1954_986:                           ;   in Loop: Header=BB1954_982 Depth=2
	s_lshl_b64 s[16:17], s[34:35], 1
	s_waitcnt vmcnt(13)
	v_dual_mov_b32 v147, -1 :: v_dual_mov_b32 v2, -1
	v_add_co_u32 v36, vcc_lo, v124, s16
	v_add_co_ci_u32_e32 v37, vcc_lo, s17, v125, vcc_lo
	s_mov_b32 s16, exec_lo
	v_cmpx_gt_u32_e64 s56, v106
	s_cbranch_execz .LBB1954_988
; %bb.987:                              ;   in Loop: Header=BB1954_982 Depth=2
	global_load_u16 v2, v[36:37], off
.LBB1954_988:                           ;   in Loop: Header=BB1954_982 Depth=2
	s_or_b32 exec_lo, exec_lo, s16
	s_delay_alu instid0(SALU_CYCLE_1)
	s_mov_b32 s16, exec_lo
	v_cmpx_gt_u32_e64 s56, v109
	s_cbranch_execz .LBB1954_990
; %bb.989:                              ;   in Loop: Header=BB1954_982 Depth=2
	global_load_u16 v147, v[36:37], off offset:64
.LBB1954_990:                           ;   in Loop: Header=BB1954_982 Depth=2
	s_or_b32 exec_lo, exec_lo, s16
	s_waitcnt vmcnt(11)
	v_mov_b32_e32 v153, -1
	v_mov_b32_e32 v149, -1
	s_mov_b32 s16, exec_lo
	v_cmpx_gt_u32_e64 s56, v110
	s_cbranch_execz .LBB1954_992
; %bb.991:                              ;   in Loop: Header=BB1954_982 Depth=2
	global_load_u16 v149, v[36:37], off offset:128
.LBB1954_992:                           ;   in Loop: Header=BB1954_982 Depth=2
	s_or_b32 exec_lo, exec_lo, s16
	s_delay_alu instid0(SALU_CYCLE_1)
	s_mov_b32 s16, exec_lo
	v_cmpx_gt_u32_e64 s56, v111
	s_cbranch_execz .LBB1954_994
; %bb.993:                              ;   in Loop: Header=BB1954_982 Depth=2
	global_load_u16 v153, v[36:37], off offset:192
.LBB1954_994:                           ;   in Loop: Header=BB1954_982 Depth=2
	s_or_b32 exec_lo, exec_lo, s16
	s_waitcnt vmcnt(9)
	v_mov_b32_e32 v161, -1
	v_mov_b32_e32 v157, -1
	s_mov_b32 s16, exec_lo
	v_cmpx_gt_u32_e64 s56, v112
	s_cbranch_execz .LBB1954_996
; %bb.995:                              ;   in Loop: Header=BB1954_982 Depth=2
	global_load_u16 v157, v[36:37], off offset:256
.LBB1954_996:                           ;   in Loop: Header=BB1954_982 Depth=2
	s_or_b32 exec_lo, exec_lo, s16
	s_delay_alu instid0(SALU_CYCLE_1)
	s_mov_b32 s16, exec_lo
	v_cmpx_gt_u32_e64 s56, v113
	s_cbranch_execz .LBB1954_998
; %bb.997:                              ;   in Loop: Header=BB1954_982 Depth=2
	global_load_u16 v161, v[36:37], off offset:320
.LBB1954_998:                           ;   in Loop: Header=BB1954_982 Depth=2
	s_or_b32 exec_lo, exec_lo, s16
	s_waitcnt vmcnt(7)
	v_dual_mov_b32 v170, -1 :: v_dual_mov_b32 v165, -1
	s_mov_b32 s16, exec_lo
	v_cmpx_gt_u32_e64 s56, v114
	s_cbranch_execz .LBB1954_1000
; %bb.999:                              ;   in Loop: Header=BB1954_982 Depth=2
	global_load_u16 v165, v[36:37], off offset:384
.LBB1954_1000:                          ;   in Loop: Header=BB1954_982 Depth=2
	s_or_b32 exec_lo, exec_lo, s16
	s_delay_alu instid0(SALU_CYCLE_1)
	s_mov_b32 s16, exec_lo
	v_cmpx_gt_u32_e64 s56, v115
	s_cbranch_execz .LBB1954_1002
; %bb.1001:                             ;   in Loop: Header=BB1954_982 Depth=2
	global_load_u16 v170, v[36:37], off offset:448
.LBB1954_1002:                          ;   in Loop: Header=BB1954_982 Depth=2
	s_or_b32 exec_lo, exec_lo, s16
	s_waitcnt vmcnt(5)
	v_mov_b32_e32 v43, -1
	v_mov_b32_e32 v169, -1
	s_mov_b32 s16, exec_lo
	v_cmpx_gt_u32_e64 s56, v116
	s_cbranch_execz .LBB1954_1004
; %bb.1003:                             ;   in Loop: Header=BB1954_982 Depth=2
	global_load_u16 v169, v[36:37], off offset:512
.LBB1954_1004:                          ;   in Loop: Header=BB1954_982 Depth=2
	s_or_b32 exec_lo, exec_lo, s16
	s_delay_alu instid0(SALU_CYCLE_1)
	s_mov_b32 s16, exec_lo
	v_cmpx_gt_u32_e64 s56, v117
	s_cbranch_execz .LBB1954_1006
; %bb.1005:                             ;   in Loop: Header=BB1954_982 Depth=2
	global_load_u16 v43, v[36:37], off offset:576
.LBB1954_1006:                          ;   in Loop: Header=BB1954_982 Depth=2
	s_or_b32 exec_lo, exec_lo, s16
	s_waitcnt vmcnt(3)
	v_dual_mov_b32 v41, -1 :: v_dual_mov_b32 v42, -1
	s_mov_b32 s16, exec_lo
	v_cmpx_gt_u32_e64 s56, v118
	s_cbranch_execz .LBB1954_1008
; %bb.1007:                             ;   in Loop: Header=BB1954_982 Depth=2
	global_load_u16 v42, v[36:37], off offset:640
.LBB1954_1008:                          ;   in Loop: Header=BB1954_982 Depth=2
	s_or_b32 exec_lo, exec_lo, s16
	s_delay_alu instid0(SALU_CYCLE_1)
	s_mov_b32 s16, exec_lo
	v_cmpx_gt_u32_e64 s56, v119
	s_cbranch_execz .LBB1954_1010
; %bb.1009:                             ;   in Loop: Header=BB1954_982 Depth=2
	global_load_u16 v41, v[36:37], off offset:704
.LBB1954_1010:                          ;   in Loop: Header=BB1954_982 Depth=2
	s_or_b32 exec_lo, exec_lo, s16
	s_waitcnt vmcnt(1)
	v_dual_mov_b32 v39, -1 :: v_dual_mov_b32 v40, -1
	s_mov_b32 s16, exec_lo
	v_cmpx_gt_u32_e64 s56, v120
	s_cbranch_execz .LBB1954_1012
; %bb.1011:                             ;   in Loop: Header=BB1954_982 Depth=2
	global_load_u16 v40, v[36:37], off offset:768
.LBB1954_1012:                          ;   in Loop: Header=BB1954_982 Depth=2
	s_or_b32 exec_lo, exec_lo, s16
	s_delay_alu instid0(SALU_CYCLE_1)
	s_mov_b32 s16, exec_lo
	v_cmpx_gt_u32_e64 s56, v121
	s_cbranch_execz .LBB1954_1014
; %bb.1013:                             ;   in Loop: Header=BB1954_982 Depth=2
	global_load_u16 v39, v[36:37], off offset:832
.LBB1954_1014:                          ;   in Loop: Header=BB1954_982 Depth=2
	s_or_b32 exec_lo, exec_lo, s16
	s_waitcnt vmcnt(0)
	v_mov_b32_e32 v38, -1
	s_mov_b32 s16, exec_lo
	v_cmpx_gt_u32_e64 s56, v122
	s_cbranch_execz .LBB1954_1016
; %bb.1015:                             ;   in Loop: Header=BB1954_982 Depth=2
	global_load_u16 v38, v[36:37], off offset:896
.LBB1954_1016:                          ;   in Loop: Header=BB1954_982 Depth=2
	s_or_b32 exec_lo, exec_lo, s16
	v_cmp_gt_u32_e64 s19, s56, v123
	s_sub_i32 s18, s53, s34
	s_mov_b32 s20, -1
	s_mov_b64 s[16:17], s[34:35]
	v_dual_mov_b32 v36, s20 :: v_dual_mov_b32 v145, s56
	s_and_saveexec_b32 s20, s19
	s_cbranch_execz .LBB1954_1018
.LBB1954_1017:                          ;   in Loop: Header=BB1954_982 Depth=2
	s_lshl_b64 s[16:17], s[16:17], 1
	v_mov_b32_e32 v145, s18
	v_add_co_u32 v36, vcc_lo, v127, s16
	v_add_co_ci_u32_e32 v37, vcc_lo, s17, v128, vcc_lo
	global_load_u16 v36, v[36:37], off
.LBB1954_1018:                          ;   in Loop: Header=BB1954_982 Depth=2
	s_or_b32 exec_lo, exec_lo, s20
	s_waitcnt vmcnt(14)
	v_cmp_gt_i16_e32 vcc_lo, 0, v2
	ds_store_b32 v69, v3 offset:1056
	ds_store_2addr_b32 v71, v3, v3 offset0:1 offset1:2
	ds_store_2addr_b32 v71, v3, v3 offset0:3 offset1:4
	;; [unrolled: 1-line block ×4, first 2 shown]
	s_waitcnt vmcnt(0) lgkmcnt(0)
	s_barrier
	v_cndmask_b32_e64 v37, 0x7fff, 0, vcc_lo
	buffer_gl0_inv
	; wave barrier
	v_xor_b32_e32 v2, v37, v2
	s_delay_alu instid0(VALU_DEP_1) | instskip(SKIP_1) | instid1(VALU_DEP_1)
	v_cmp_ne_u16_e32 vcc_lo, 0x8000, v2
	v_cndmask_b32_e32 v37, 0x7fff, v2, vcc_lo
	v_and_b32_e32 v37, 0xffff, v37
	s_delay_alu instid0(VALU_DEP_1) | instskip(NEXT) | instid1(VALU_DEP_1)
	v_lshrrev_b32_e32 v37, s49, v37
	v_and_b32_e32 v148, s55, v37
	s_delay_alu instid0(VALU_DEP_1)
	v_lshlrev_b32_e32 v146, 30, v148
	v_and_b32_e32 v37, 1, v148
	v_lshlrev_b32_e32 v150, 29, v148
	v_lshlrev_b32_e32 v151, 28, v148
	;; [unrolled: 1-line block ×3, first 2 shown]
	v_not_b32_e32 v158, v146
	v_add_co_u32 v37, s16, v37, -1
	s_delay_alu instid0(VALU_DEP_1)
	v_cndmask_b32_e64 v152, 0, 1, s16
	v_cmp_gt_i32_e64 s16, 0, v146
	v_not_b32_e32 v146, v150
	v_ashrrev_i32_e32 v158, 31, v158
	v_lshlrev_b32_e32 v155, 26, v148
	v_cmp_ne_u32_e32 vcc_lo, 0, v152
	v_lshlrev_b32_e32 v156, 25, v148
	v_ashrrev_i32_e32 v146, 31, v146
	v_xor_b32_e32 v158, s16, v158
	v_cmp_gt_i32_e64 s16, 0, v151
	v_xor_b32_e32 v37, vcc_lo, v37
	v_cmp_gt_i32_e32 vcc_lo, 0, v150
	v_not_b32_e32 v150, v151
	v_not_b32_e32 v151, v154
	v_lshlrev_b32_e32 v152, 24, v148
	v_and_b32_e32 v37, exec_lo, v37
	v_xor_b32_e32 v146, vcc_lo, v146
	v_ashrrev_i32_e32 v150, 31, v150
	v_cmp_gt_i32_e32 vcc_lo, 0, v154
	v_not_b32_e32 v154, v155
	v_and_b32_e32 v37, v37, v158
	v_ashrrev_i32_e32 v151, 31, v151
	v_xor_b32_e32 v150, s16, v150
	v_cmp_gt_i32_e64 s16, 0, v155
	v_ashrrev_i32_e32 v154, 31, v154
	v_and_b32_e32 v37, v37, v146
	v_not_b32_e32 v146, v156
	v_xor_b32_e32 v151, vcc_lo, v151
	v_cmp_gt_i32_e32 vcc_lo, 0, v156
	v_xor_b32_e32 v154, s16, v154
	v_and_b32_e32 v37, v37, v150
	v_not_b32_e32 v150, v152
	v_ashrrev_i32_e32 v146, 31, v146
	v_cmp_gt_i32_e64 s16, 0, v152
	v_mad_u32_u24 v148, v148, 9, v126
	v_and_b32_e32 v37, v37, v151
	v_ashrrev_i32_e32 v150, 31, v150
	v_xor_b32_e32 v146, vcc_lo, v146
	s_delay_alu instid0(VALU_DEP_4) | instskip(NEXT) | instid1(VALU_DEP_4)
	v_lshl_add_u32 v148, v148, 2, 0x420
	v_and_b32_e32 v37, v37, v154
	s_delay_alu instid0(VALU_DEP_4) | instskip(NEXT) | instid1(VALU_DEP_2)
	v_xor_b32_e32 v150, s16, v150
	v_and_b32_e32 v37, v37, v146
	s_delay_alu instid0(VALU_DEP_1) | instskip(NEXT) | instid1(VALU_DEP_1)
	v_and_b32_e32 v37, v37, v150
	v_mbcnt_lo_u32_b32 v146, v37, 0
	v_cmp_ne_u32_e64 s16, 0, v37
	s_delay_alu instid0(VALU_DEP_2) | instskip(NEXT) | instid1(VALU_DEP_2)
	v_cmp_eq_u32_e32 vcc_lo, 0, v146
	s_and_b32 s17, s16, vcc_lo
	s_delay_alu instid0(SALU_CYCLE_1)
	s_and_saveexec_b32 s16, s17
	s_cbranch_execz .LBB1954_1020
; %bb.1019:                             ;   in Loop: Header=BB1954_982 Depth=2
	v_bcnt_u32_b32 v37, v37, 0
	ds_store_b32 v148, v37
.LBB1954_1020:                          ;   in Loop: Header=BB1954_982 Depth=2
	s_or_b32 exec_lo, exec_lo, s16
	v_cmp_gt_i16_e64 vcc_lo, 0, v147
	; wave barrier
	s_delay_alu instid0(VALU_DEP_1) | instskip(NEXT) | instid1(VALU_DEP_1)
	v_cndmask_b32_e64 v37, 0x7fff, 0, vcc_lo
	v_xor_b32_e32 v147, v37, v147
	s_delay_alu instid0(VALU_DEP_1) | instskip(SKIP_1) | instid1(VALU_DEP_1)
	v_cmp_ne_u16_e64 vcc_lo, 0x8000, v147
	v_cndmask_b32_e32 v37, 0x7fff, v147, vcc_lo
	v_and_b32_e32 v37, 0xffff, v37
	s_delay_alu instid0(VALU_DEP_1) | instskip(NEXT) | instid1(VALU_DEP_1)
	v_lshrrev_b32_e32 v37, s49, v37
	v_and_b32_e32 v37, s55, v37
	s_delay_alu instid0(VALU_DEP_1)
	v_and_b32_e32 v150, 1, v37
	v_lshlrev_b32_e32 v151, 30, v37
	v_lshlrev_b32_e32 v152, 29, v37
	;; [unrolled: 1-line block ×4, first 2 shown]
	v_add_co_u32 v150, s16, v150, -1
	s_delay_alu instid0(VALU_DEP_1)
	v_cndmask_b32_e64 v155, 0, 1, s16
	v_not_b32_e32 v160, v151
	v_cmp_gt_i32_e64 s16, 0, v151
	v_not_b32_e32 v151, v152
	v_lshlrev_b32_e32 v158, 26, v37
	v_cmp_ne_u32_e32 vcc_lo, 0, v155
	v_ashrrev_i32_e32 v160, 31, v160
	v_lshlrev_b32_e32 v159, 25, v37
	v_ashrrev_i32_e32 v151, 31, v151
	v_lshlrev_b32_e32 v155, 24, v37
	v_xor_b32_e32 v150, vcc_lo, v150
	v_cmp_gt_i32_e32 vcc_lo, 0, v152
	v_not_b32_e32 v152, v154
	v_xor_b32_e32 v160, s16, v160
	v_cmp_gt_i32_e64 s16, 0, v154
	v_and_b32_e32 v150, exec_lo, v150
	v_not_b32_e32 v154, v156
	v_ashrrev_i32_e32 v152, 31, v152
	v_xor_b32_e32 v151, vcc_lo, v151
	v_cmp_gt_i32_e32 vcc_lo, 0, v156
	v_and_b32_e32 v150, v150, v160
	v_not_b32_e32 v156, v158
	v_ashrrev_i32_e32 v154, 31, v154
	v_xor_b32_e32 v152, s16, v152
	v_cmp_gt_i32_e64 s16, 0, v158
	v_and_b32_e32 v150, v150, v151
	v_not_b32_e32 v151, v159
	v_ashrrev_i32_e32 v156, 31, v156
	v_xor_b32_e32 v154, vcc_lo, v154
	v_cmp_gt_i32_e32 vcc_lo, 0, v159
	v_and_b32_e32 v150, v150, v152
	v_not_b32_e32 v152, v155
	v_ashrrev_i32_e32 v151, 31, v151
	v_xor_b32_e32 v156, s16, v156
	v_mul_u32_u24_e32 v37, 9, v37
	v_and_b32_e32 v150, v150, v154
	v_cmp_gt_i32_e64 s16, 0, v155
	v_ashrrev_i32_e32 v152, 31, v152
	v_xor_b32_e32 v151, vcc_lo, v151
	v_add_lshl_u32 v154, v37, v126, 2
	v_and_b32_e32 v150, v150, v156
	s_delay_alu instid0(VALU_DEP_4) | instskip(NEXT) | instid1(VALU_DEP_3)
	v_xor_b32_e32 v37, s16, v152
	v_add_nc_u32_e32 v152, 0x420, v154
	s_delay_alu instid0(VALU_DEP_3) | instskip(SKIP_2) | instid1(VALU_DEP_1)
	v_and_b32_e32 v151, v150, v151
	ds_load_b32 v150, v154 offset:1056
	; wave barrier
	v_and_b32_e32 v37, v151, v37
	v_mbcnt_lo_u32_b32 v151, v37, 0
	v_cmp_ne_u32_e64 s16, 0, v37
	s_delay_alu instid0(VALU_DEP_2) | instskip(NEXT) | instid1(VALU_DEP_2)
	v_cmp_eq_u32_e32 vcc_lo, 0, v151
	s_and_b32 s17, s16, vcc_lo
	s_delay_alu instid0(SALU_CYCLE_1)
	s_and_saveexec_b32 s16, s17
	s_cbranch_execz .LBB1954_1022
; %bb.1021:                             ;   in Loop: Header=BB1954_982 Depth=2
	s_waitcnt lgkmcnt(0)
	v_bcnt_u32_b32 v37, v37, v150
	ds_store_b32 v152, v37
.LBB1954_1022:                          ;   in Loop: Header=BB1954_982 Depth=2
	s_or_b32 exec_lo, exec_lo, s16
	v_cmp_gt_i16_e64 vcc_lo, 0, v149
	; wave barrier
	s_delay_alu instid0(VALU_DEP_1) | instskip(NEXT) | instid1(VALU_DEP_1)
	v_cndmask_b32_e64 v37, 0x7fff, 0, vcc_lo
	v_xor_b32_e32 v149, v37, v149
	s_delay_alu instid0(VALU_DEP_1) | instskip(SKIP_1) | instid1(VALU_DEP_1)
	v_cmp_ne_u16_e64 vcc_lo, 0x8000, v149
	v_cndmask_b32_e32 v37, 0x7fff, v149, vcc_lo
	v_and_b32_e32 v37, 0xffff, v37
	s_delay_alu instid0(VALU_DEP_1) | instskip(NEXT) | instid1(VALU_DEP_1)
	v_lshrrev_b32_e32 v37, s49, v37
	v_and_b32_e32 v37, s55, v37
	s_delay_alu instid0(VALU_DEP_1)
	v_and_b32_e32 v154, 1, v37
	v_lshlrev_b32_e32 v155, 30, v37
	v_lshlrev_b32_e32 v156, 29, v37
	;; [unrolled: 1-line block ×4, first 2 shown]
	v_add_co_u32 v154, s16, v154, -1
	s_delay_alu instid0(VALU_DEP_1)
	v_cndmask_b32_e64 v159, 0, 1, s16
	v_not_b32_e32 v164, v155
	v_cmp_gt_i32_e64 s16, 0, v155
	v_not_b32_e32 v155, v156
	v_lshlrev_b32_e32 v162, 26, v37
	v_cmp_ne_u32_e32 vcc_lo, 0, v159
	v_ashrrev_i32_e32 v164, 31, v164
	v_lshlrev_b32_e32 v163, 25, v37
	v_ashrrev_i32_e32 v155, 31, v155
	v_lshlrev_b32_e32 v159, 24, v37
	v_xor_b32_e32 v154, vcc_lo, v154
	v_cmp_gt_i32_e32 vcc_lo, 0, v156
	v_not_b32_e32 v156, v158
	v_xor_b32_e32 v164, s16, v164
	v_cmp_gt_i32_e64 s16, 0, v158
	v_and_b32_e32 v154, exec_lo, v154
	v_not_b32_e32 v158, v160
	v_ashrrev_i32_e32 v156, 31, v156
	v_xor_b32_e32 v155, vcc_lo, v155
	v_cmp_gt_i32_e32 vcc_lo, 0, v160
	v_and_b32_e32 v154, v154, v164
	v_not_b32_e32 v160, v162
	v_ashrrev_i32_e32 v158, 31, v158
	v_xor_b32_e32 v156, s16, v156
	v_cmp_gt_i32_e64 s16, 0, v162
	v_and_b32_e32 v154, v154, v155
	v_not_b32_e32 v155, v163
	v_ashrrev_i32_e32 v160, 31, v160
	v_xor_b32_e32 v158, vcc_lo, v158
	v_cmp_gt_i32_e32 vcc_lo, 0, v163
	v_and_b32_e32 v154, v154, v156
	v_not_b32_e32 v156, v159
	v_ashrrev_i32_e32 v155, 31, v155
	v_xor_b32_e32 v160, s16, v160
	v_mul_u32_u24_e32 v37, 9, v37
	v_and_b32_e32 v154, v154, v158
	v_cmp_gt_i32_e64 s16, 0, v159
	v_ashrrev_i32_e32 v156, 31, v156
	v_xor_b32_e32 v155, vcc_lo, v155
	v_add_lshl_u32 v158, v37, v126, 2
	v_and_b32_e32 v154, v154, v160
	s_delay_alu instid0(VALU_DEP_4) | instskip(NEXT) | instid1(VALU_DEP_3)
	v_xor_b32_e32 v37, s16, v156
	v_add_nc_u32_e32 v156, 0x420, v158
	s_delay_alu instid0(VALU_DEP_3) | instskip(SKIP_2) | instid1(VALU_DEP_1)
	v_and_b32_e32 v155, v154, v155
	ds_load_b32 v154, v158 offset:1056
	; wave barrier
	v_and_b32_e32 v37, v155, v37
	v_mbcnt_lo_u32_b32 v155, v37, 0
	v_cmp_ne_u32_e64 s16, 0, v37
	s_delay_alu instid0(VALU_DEP_2) | instskip(NEXT) | instid1(VALU_DEP_2)
	v_cmp_eq_u32_e32 vcc_lo, 0, v155
	s_and_b32 s17, s16, vcc_lo
	s_delay_alu instid0(SALU_CYCLE_1)
	s_and_saveexec_b32 s16, s17
	s_cbranch_execz .LBB1954_1024
; %bb.1023:                             ;   in Loop: Header=BB1954_982 Depth=2
	s_waitcnt lgkmcnt(0)
	v_bcnt_u32_b32 v37, v37, v154
	ds_store_b32 v156, v37
.LBB1954_1024:                          ;   in Loop: Header=BB1954_982 Depth=2
	s_or_b32 exec_lo, exec_lo, s16
	v_cmp_gt_i16_e64 vcc_lo, 0, v153
	; wave barrier
	s_delay_alu instid0(VALU_DEP_1) | instskip(NEXT) | instid1(VALU_DEP_1)
	v_cndmask_b32_e64 v37, 0x7fff, 0, vcc_lo
	v_xor_b32_e32 v153, v37, v153
	s_delay_alu instid0(VALU_DEP_1) | instskip(SKIP_1) | instid1(VALU_DEP_1)
	v_cmp_ne_u16_e64 vcc_lo, 0x8000, v153
	v_cndmask_b32_e32 v37, 0x7fff, v153, vcc_lo
	v_and_b32_e32 v37, 0xffff, v37
	s_delay_alu instid0(VALU_DEP_1) | instskip(NEXT) | instid1(VALU_DEP_1)
	v_lshrrev_b32_e32 v37, s49, v37
	v_and_b32_e32 v37, s55, v37
	s_delay_alu instid0(VALU_DEP_1)
	v_and_b32_e32 v158, 1, v37
	v_lshlrev_b32_e32 v159, 30, v37
	v_lshlrev_b32_e32 v160, 29, v37
	;; [unrolled: 1-line block ×4, first 2 shown]
	v_add_co_u32 v158, s16, v158, -1
	s_delay_alu instid0(VALU_DEP_1)
	v_cndmask_b32_e64 v163, 0, 1, s16
	v_not_b32_e32 v168, v159
	v_cmp_gt_i32_e64 s16, 0, v159
	v_not_b32_e32 v159, v160
	v_lshlrev_b32_e32 v166, 26, v37
	v_cmp_ne_u32_e32 vcc_lo, 0, v163
	v_ashrrev_i32_e32 v168, 31, v168
	v_lshlrev_b32_e32 v167, 25, v37
	v_ashrrev_i32_e32 v159, 31, v159
	v_lshlrev_b32_e32 v163, 24, v37
	v_xor_b32_e32 v158, vcc_lo, v158
	v_cmp_gt_i32_e32 vcc_lo, 0, v160
	v_not_b32_e32 v160, v162
	v_xor_b32_e32 v168, s16, v168
	v_cmp_gt_i32_e64 s16, 0, v162
	v_and_b32_e32 v158, exec_lo, v158
	v_not_b32_e32 v162, v164
	v_ashrrev_i32_e32 v160, 31, v160
	v_xor_b32_e32 v159, vcc_lo, v159
	v_cmp_gt_i32_e32 vcc_lo, 0, v164
	v_and_b32_e32 v158, v158, v168
	v_not_b32_e32 v164, v166
	v_ashrrev_i32_e32 v162, 31, v162
	v_xor_b32_e32 v160, s16, v160
	v_cmp_gt_i32_e64 s16, 0, v166
	v_and_b32_e32 v158, v158, v159
	v_not_b32_e32 v159, v167
	v_ashrrev_i32_e32 v164, 31, v164
	v_xor_b32_e32 v162, vcc_lo, v162
	v_cmp_gt_i32_e32 vcc_lo, 0, v167
	v_and_b32_e32 v158, v158, v160
	v_not_b32_e32 v160, v163
	v_ashrrev_i32_e32 v159, 31, v159
	v_xor_b32_e32 v164, s16, v164
	v_mul_u32_u24_e32 v37, 9, v37
	v_and_b32_e32 v158, v158, v162
	v_cmp_gt_i32_e64 s16, 0, v163
	v_ashrrev_i32_e32 v160, 31, v160
	v_xor_b32_e32 v159, vcc_lo, v159
	v_add_lshl_u32 v162, v37, v126, 2
	v_and_b32_e32 v158, v158, v164
	s_delay_alu instid0(VALU_DEP_4) | instskip(NEXT) | instid1(VALU_DEP_3)
	v_xor_b32_e32 v37, s16, v160
	v_add_nc_u32_e32 v160, 0x420, v162
	s_delay_alu instid0(VALU_DEP_3) | instskip(SKIP_2) | instid1(VALU_DEP_1)
	v_and_b32_e32 v159, v158, v159
	ds_load_b32 v158, v162 offset:1056
	; wave barrier
	v_and_b32_e32 v37, v159, v37
	v_mbcnt_lo_u32_b32 v159, v37, 0
	v_cmp_ne_u32_e64 s16, 0, v37
	s_delay_alu instid0(VALU_DEP_2) | instskip(NEXT) | instid1(VALU_DEP_2)
	v_cmp_eq_u32_e32 vcc_lo, 0, v159
	s_and_b32 s17, s16, vcc_lo
	s_delay_alu instid0(SALU_CYCLE_1)
	s_and_saveexec_b32 s16, s17
	s_cbranch_execz .LBB1954_1026
; %bb.1025:                             ;   in Loop: Header=BB1954_982 Depth=2
	s_waitcnt lgkmcnt(0)
	v_bcnt_u32_b32 v37, v37, v158
	ds_store_b32 v160, v37
.LBB1954_1026:                          ;   in Loop: Header=BB1954_982 Depth=2
	s_or_b32 exec_lo, exec_lo, s16
	v_cmp_gt_i16_e64 vcc_lo, 0, v157
	; wave barrier
	s_delay_alu instid0(VALU_DEP_1) | instskip(NEXT) | instid1(VALU_DEP_1)
	v_cndmask_b32_e64 v37, 0x7fff, 0, vcc_lo
	v_xor_b32_e32 v157, v37, v157
	s_delay_alu instid0(VALU_DEP_1) | instskip(SKIP_1) | instid1(VALU_DEP_1)
	v_cmp_ne_u16_e64 vcc_lo, 0x8000, v157
	v_cndmask_b32_e32 v37, 0x7fff, v157, vcc_lo
	v_and_b32_e32 v37, 0xffff, v37
	s_delay_alu instid0(VALU_DEP_1) | instskip(NEXT) | instid1(VALU_DEP_1)
	v_lshrrev_b32_e32 v37, s49, v37
	v_and_b32_e32 v37, s55, v37
	s_delay_alu instid0(VALU_DEP_1)
	v_and_b32_e32 v162, 1, v37
	v_lshlrev_b32_e32 v163, 30, v37
	v_lshlrev_b32_e32 v164, 29, v37
	;; [unrolled: 1-line block ×4, first 2 shown]
	v_add_co_u32 v162, s16, v162, -1
	s_delay_alu instid0(VALU_DEP_1)
	v_cndmask_b32_e64 v167, 0, 1, s16
	v_not_b32_e32 v173, v163
	v_cmp_gt_i32_e64 s16, 0, v163
	v_not_b32_e32 v163, v164
	v_lshlrev_b32_e32 v171, 26, v37
	v_cmp_ne_u32_e32 vcc_lo, 0, v167
	v_ashrrev_i32_e32 v173, 31, v173
	v_lshlrev_b32_e32 v172, 25, v37
	v_ashrrev_i32_e32 v163, 31, v163
	v_lshlrev_b32_e32 v167, 24, v37
	v_xor_b32_e32 v162, vcc_lo, v162
	v_cmp_gt_i32_e32 vcc_lo, 0, v164
	v_not_b32_e32 v164, v166
	v_xor_b32_e32 v173, s16, v173
	v_cmp_gt_i32_e64 s16, 0, v166
	v_and_b32_e32 v162, exec_lo, v162
	v_not_b32_e32 v166, v168
	v_ashrrev_i32_e32 v164, 31, v164
	v_xor_b32_e32 v163, vcc_lo, v163
	v_cmp_gt_i32_e32 vcc_lo, 0, v168
	v_and_b32_e32 v162, v162, v173
	v_not_b32_e32 v168, v171
	v_ashrrev_i32_e32 v166, 31, v166
	v_xor_b32_e32 v164, s16, v164
	v_cmp_gt_i32_e64 s16, 0, v171
	v_and_b32_e32 v162, v162, v163
	v_not_b32_e32 v163, v172
	v_ashrrev_i32_e32 v168, 31, v168
	v_xor_b32_e32 v166, vcc_lo, v166
	v_cmp_gt_i32_e32 vcc_lo, 0, v172
	v_and_b32_e32 v162, v162, v164
	v_not_b32_e32 v164, v167
	v_ashrrev_i32_e32 v163, 31, v163
	v_xor_b32_e32 v168, s16, v168
	v_mul_u32_u24_e32 v37, 9, v37
	v_and_b32_e32 v162, v162, v166
	v_cmp_gt_i32_e64 s16, 0, v167
	v_ashrrev_i32_e32 v164, 31, v164
	v_xor_b32_e32 v163, vcc_lo, v163
	v_add_lshl_u32 v166, v37, v126, 2
	v_and_b32_e32 v162, v162, v168
	s_delay_alu instid0(VALU_DEP_4) | instskip(NEXT) | instid1(VALU_DEP_3)
	v_xor_b32_e32 v37, s16, v164
	v_add_nc_u32_e32 v164, 0x420, v166
	s_delay_alu instid0(VALU_DEP_3) | instskip(SKIP_2) | instid1(VALU_DEP_1)
	v_and_b32_e32 v163, v162, v163
	ds_load_b32 v162, v166 offset:1056
	; wave barrier
	v_and_b32_e32 v37, v163, v37
	v_mbcnt_lo_u32_b32 v163, v37, 0
	v_cmp_ne_u32_e64 s16, 0, v37
	s_delay_alu instid0(VALU_DEP_2) | instskip(NEXT) | instid1(VALU_DEP_2)
	v_cmp_eq_u32_e32 vcc_lo, 0, v163
	s_and_b32 s17, s16, vcc_lo
	s_delay_alu instid0(SALU_CYCLE_1)
	s_and_saveexec_b32 s16, s17
	s_cbranch_execz .LBB1954_1028
; %bb.1027:                             ;   in Loop: Header=BB1954_982 Depth=2
	s_waitcnt lgkmcnt(0)
	v_bcnt_u32_b32 v37, v37, v162
	ds_store_b32 v164, v37
.LBB1954_1028:                          ;   in Loop: Header=BB1954_982 Depth=2
	s_or_b32 exec_lo, exec_lo, s16
	v_cmp_gt_i16_e64 vcc_lo, 0, v161
	; wave barrier
	s_delay_alu instid0(VALU_DEP_1) | instskip(NEXT) | instid1(VALU_DEP_1)
	v_cndmask_b32_e64 v37, 0x7fff, 0, vcc_lo
	v_xor_b32_e32 v161, v37, v161
	s_delay_alu instid0(VALU_DEP_1) | instskip(SKIP_1) | instid1(VALU_DEP_1)
	v_cmp_ne_u16_e64 vcc_lo, 0x8000, v161
	v_cndmask_b32_e32 v37, 0x7fff, v161, vcc_lo
	v_and_b32_e32 v37, 0xffff, v37
	s_delay_alu instid0(VALU_DEP_1) | instskip(NEXT) | instid1(VALU_DEP_1)
	v_lshrrev_b32_e32 v37, s49, v37
	v_and_b32_e32 v37, s55, v37
	s_delay_alu instid0(VALU_DEP_1)
	v_and_b32_e32 v166, 1, v37
	v_lshlrev_b32_e32 v167, 30, v37
	v_lshlrev_b32_e32 v168, 29, v37
	;; [unrolled: 1-line block ×4, first 2 shown]
	v_add_co_u32 v166, s16, v166, -1
	s_delay_alu instid0(VALU_DEP_1)
	v_cndmask_b32_e64 v172, 0, 1, s16
	v_not_b32_e32 v176, v167
	v_cmp_gt_i32_e64 s16, 0, v167
	v_not_b32_e32 v167, v168
	v_lshlrev_b32_e32 v174, 26, v37
	v_cmp_ne_u32_e32 vcc_lo, 0, v172
	v_ashrrev_i32_e32 v176, 31, v176
	v_lshlrev_b32_e32 v175, 25, v37
	v_ashrrev_i32_e32 v167, 31, v167
	v_lshlrev_b32_e32 v172, 24, v37
	v_xor_b32_e32 v166, vcc_lo, v166
	v_cmp_gt_i32_e32 vcc_lo, 0, v168
	v_not_b32_e32 v168, v171
	v_xor_b32_e32 v176, s16, v176
	v_cmp_gt_i32_e64 s16, 0, v171
	v_and_b32_e32 v166, exec_lo, v166
	v_not_b32_e32 v171, v173
	v_ashrrev_i32_e32 v168, 31, v168
	v_xor_b32_e32 v167, vcc_lo, v167
	v_cmp_gt_i32_e32 vcc_lo, 0, v173
	v_and_b32_e32 v166, v166, v176
	v_not_b32_e32 v173, v174
	v_ashrrev_i32_e32 v171, 31, v171
	v_xor_b32_e32 v168, s16, v168
	v_cmp_gt_i32_e64 s16, 0, v174
	v_and_b32_e32 v166, v166, v167
	v_not_b32_e32 v167, v175
	v_ashrrev_i32_e32 v173, 31, v173
	v_xor_b32_e32 v171, vcc_lo, v171
	v_cmp_gt_i32_e32 vcc_lo, 0, v175
	v_and_b32_e32 v166, v166, v168
	v_not_b32_e32 v168, v172
	v_ashrrev_i32_e32 v167, 31, v167
	v_xor_b32_e32 v173, s16, v173
	v_mul_u32_u24_e32 v37, 9, v37
	v_and_b32_e32 v166, v166, v171
	v_cmp_gt_i32_e64 s16, 0, v172
	v_ashrrev_i32_e32 v168, 31, v168
	v_xor_b32_e32 v167, vcc_lo, v167
	v_add_lshl_u32 v171, v37, v126, 2
	v_and_b32_e32 v166, v166, v173
	s_delay_alu instid0(VALU_DEP_4) | instskip(NEXT) | instid1(VALU_DEP_3)
	v_xor_b32_e32 v37, s16, v168
	v_add_nc_u32_e32 v168, 0x420, v171
	s_delay_alu instid0(VALU_DEP_3) | instskip(SKIP_2) | instid1(VALU_DEP_1)
	v_and_b32_e32 v167, v166, v167
	ds_load_b32 v166, v171 offset:1056
	; wave barrier
	v_and_b32_e32 v37, v167, v37
	v_mbcnt_lo_u32_b32 v167, v37, 0
	v_cmp_ne_u32_e64 s16, 0, v37
	s_delay_alu instid0(VALU_DEP_2) | instskip(NEXT) | instid1(VALU_DEP_2)
	v_cmp_eq_u32_e32 vcc_lo, 0, v167
	s_and_b32 s17, s16, vcc_lo
	s_delay_alu instid0(SALU_CYCLE_1)
	s_and_saveexec_b32 s16, s17
	s_cbranch_execz .LBB1954_1030
; %bb.1029:                             ;   in Loop: Header=BB1954_982 Depth=2
	s_waitcnt lgkmcnt(0)
	v_bcnt_u32_b32 v37, v37, v166
	ds_store_b32 v168, v37
.LBB1954_1030:                          ;   in Loop: Header=BB1954_982 Depth=2
	s_or_b32 exec_lo, exec_lo, s16
	v_cmp_gt_i16_e64 vcc_lo, 0, v165
	; wave barrier
	s_delay_alu instid0(VALU_DEP_1) | instskip(NEXT) | instid1(VALU_DEP_1)
	v_cndmask_b32_e64 v37, 0x7fff, 0, vcc_lo
	v_xor_b32_e32 v165, v37, v165
	s_delay_alu instid0(VALU_DEP_1) | instskip(SKIP_1) | instid1(VALU_DEP_1)
	v_cmp_ne_u16_e64 vcc_lo, 0x8000, v165
	v_cndmask_b32_e32 v37, 0x7fff, v165, vcc_lo
	v_and_b32_e32 v37, 0xffff, v37
	s_delay_alu instid0(VALU_DEP_1) | instskip(NEXT) | instid1(VALU_DEP_1)
	v_lshrrev_b32_e32 v37, s49, v37
	v_and_b32_e32 v37, s55, v37
	s_delay_alu instid0(VALU_DEP_1)
	v_and_b32_e32 v171, 1, v37
	v_lshlrev_b32_e32 v172, 30, v37
	v_lshlrev_b32_e32 v173, 29, v37
	;; [unrolled: 1-line block ×4, first 2 shown]
	v_add_co_u32 v171, s16, v171, -1
	s_delay_alu instid0(VALU_DEP_1)
	v_cndmask_b32_e64 v175, 0, 1, s16
	v_not_b32_e32 v179, v172
	v_cmp_gt_i32_e64 s16, 0, v172
	v_not_b32_e32 v172, v173
	v_lshlrev_b32_e32 v177, 26, v37
	v_cmp_ne_u32_e32 vcc_lo, 0, v175
	v_ashrrev_i32_e32 v179, 31, v179
	v_lshlrev_b32_e32 v178, 25, v37
	v_ashrrev_i32_e32 v172, 31, v172
	v_lshlrev_b32_e32 v175, 24, v37
	v_xor_b32_e32 v171, vcc_lo, v171
	v_cmp_gt_i32_e32 vcc_lo, 0, v173
	v_not_b32_e32 v173, v174
	v_xor_b32_e32 v179, s16, v179
	v_cmp_gt_i32_e64 s16, 0, v174
	v_and_b32_e32 v171, exec_lo, v171
	v_not_b32_e32 v174, v176
	v_ashrrev_i32_e32 v173, 31, v173
	v_xor_b32_e32 v172, vcc_lo, v172
	v_cmp_gt_i32_e32 vcc_lo, 0, v176
	v_and_b32_e32 v171, v171, v179
	v_not_b32_e32 v176, v177
	v_ashrrev_i32_e32 v174, 31, v174
	v_xor_b32_e32 v173, s16, v173
	v_cmp_gt_i32_e64 s16, 0, v177
	v_and_b32_e32 v171, v171, v172
	v_not_b32_e32 v172, v178
	v_ashrrev_i32_e32 v176, 31, v176
	v_xor_b32_e32 v174, vcc_lo, v174
	v_cmp_gt_i32_e32 vcc_lo, 0, v178
	v_and_b32_e32 v171, v171, v173
	v_not_b32_e32 v173, v175
	v_ashrrev_i32_e32 v172, 31, v172
	v_xor_b32_e32 v176, s16, v176
	v_mul_u32_u24_e32 v37, 9, v37
	v_and_b32_e32 v171, v171, v174
	v_cmp_gt_i32_e64 s16, 0, v175
	v_ashrrev_i32_e32 v173, 31, v173
	v_xor_b32_e32 v172, vcc_lo, v172
	v_add_lshl_u32 v174, v37, v126, 2
	v_and_b32_e32 v171, v171, v176
	s_delay_alu instid0(VALU_DEP_4) | instskip(NEXT) | instid1(VALU_DEP_3)
	v_xor_b32_e32 v37, s16, v173
	v_add_nc_u32_e32 v173, 0x420, v174
	s_delay_alu instid0(VALU_DEP_3) | instskip(SKIP_2) | instid1(VALU_DEP_1)
	v_and_b32_e32 v172, v171, v172
	ds_load_b32 v171, v174 offset:1056
	; wave barrier
	v_and_b32_e32 v37, v172, v37
	v_mbcnt_lo_u32_b32 v172, v37, 0
	v_cmp_ne_u32_e64 s16, 0, v37
	s_delay_alu instid0(VALU_DEP_2) | instskip(NEXT) | instid1(VALU_DEP_2)
	v_cmp_eq_u32_e32 vcc_lo, 0, v172
	s_and_b32 s17, s16, vcc_lo
	s_delay_alu instid0(SALU_CYCLE_1)
	s_and_saveexec_b32 s16, s17
	s_cbranch_execz .LBB1954_1032
; %bb.1031:                             ;   in Loop: Header=BB1954_982 Depth=2
	s_waitcnt lgkmcnt(0)
	v_bcnt_u32_b32 v37, v37, v171
	ds_store_b32 v173, v37
.LBB1954_1032:                          ;   in Loop: Header=BB1954_982 Depth=2
	s_or_b32 exec_lo, exec_lo, s16
	v_cmp_gt_i16_e64 vcc_lo, 0, v170
	; wave barrier
	s_delay_alu instid0(VALU_DEP_1) | instskip(NEXT) | instid1(VALU_DEP_1)
	v_cndmask_b32_e64 v37, 0x7fff, 0, vcc_lo
	v_xor_b32_e32 v170, v37, v170
	s_delay_alu instid0(VALU_DEP_1) | instskip(SKIP_1) | instid1(VALU_DEP_1)
	v_cmp_ne_u16_e64 vcc_lo, 0x8000, v170
	v_cndmask_b32_e32 v37, 0x7fff, v170, vcc_lo
	v_and_b32_e32 v37, 0xffff, v37
	s_delay_alu instid0(VALU_DEP_1) | instskip(NEXT) | instid1(VALU_DEP_1)
	v_lshrrev_b32_e32 v37, s49, v37
	v_and_b32_e32 v37, s55, v37
	s_delay_alu instid0(VALU_DEP_1)
	v_and_b32_e32 v174, 1, v37
	v_lshlrev_b32_e32 v175, 30, v37
	v_lshlrev_b32_e32 v176, 29, v37
	;; [unrolled: 1-line block ×4, first 2 shown]
	v_add_co_u32 v174, s16, v174, -1
	s_delay_alu instid0(VALU_DEP_1)
	v_cndmask_b32_e64 v178, 0, 1, s16
	v_not_b32_e32 v182, v175
	v_cmp_gt_i32_e64 s16, 0, v175
	v_not_b32_e32 v175, v176
	v_lshlrev_b32_e32 v180, 26, v37
	v_cmp_ne_u32_e32 vcc_lo, 0, v178
	v_ashrrev_i32_e32 v182, 31, v182
	v_lshlrev_b32_e32 v181, 25, v37
	v_ashrrev_i32_e32 v175, 31, v175
	v_lshlrev_b32_e32 v178, 24, v37
	v_xor_b32_e32 v174, vcc_lo, v174
	v_cmp_gt_i32_e32 vcc_lo, 0, v176
	v_not_b32_e32 v176, v177
	v_xor_b32_e32 v182, s16, v182
	v_cmp_gt_i32_e64 s16, 0, v177
	v_and_b32_e32 v174, exec_lo, v174
	v_not_b32_e32 v177, v179
	v_ashrrev_i32_e32 v176, 31, v176
	v_xor_b32_e32 v175, vcc_lo, v175
	v_cmp_gt_i32_e32 vcc_lo, 0, v179
	v_and_b32_e32 v174, v174, v182
	v_not_b32_e32 v179, v180
	v_ashrrev_i32_e32 v177, 31, v177
	v_xor_b32_e32 v176, s16, v176
	v_cmp_gt_i32_e64 s16, 0, v180
	v_and_b32_e32 v174, v174, v175
	v_not_b32_e32 v175, v181
	v_ashrrev_i32_e32 v179, 31, v179
	v_xor_b32_e32 v177, vcc_lo, v177
	v_cmp_gt_i32_e32 vcc_lo, 0, v181
	v_and_b32_e32 v174, v174, v176
	v_not_b32_e32 v176, v178
	v_ashrrev_i32_e32 v175, 31, v175
	v_xor_b32_e32 v179, s16, v179
	v_mul_u32_u24_e32 v37, 9, v37
	v_and_b32_e32 v174, v174, v177
	v_cmp_gt_i32_e64 s16, 0, v178
	v_ashrrev_i32_e32 v176, 31, v176
	v_xor_b32_e32 v175, vcc_lo, v175
	v_add_lshl_u32 v177, v37, v126, 2
	v_and_b32_e32 v174, v174, v179
	s_delay_alu instid0(VALU_DEP_4) | instskip(NEXT) | instid1(VALU_DEP_3)
	v_xor_b32_e32 v37, s16, v176
	v_add_nc_u32_e32 v176, 0x420, v177
	s_delay_alu instid0(VALU_DEP_3) | instskip(SKIP_2) | instid1(VALU_DEP_1)
	v_and_b32_e32 v175, v174, v175
	ds_load_b32 v174, v177 offset:1056
	; wave barrier
	v_and_b32_e32 v37, v175, v37
	v_mbcnt_lo_u32_b32 v175, v37, 0
	v_cmp_ne_u32_e64 s16, 0, v37
	s_delay_alu instid0(VALU_DEP_2) | instskip(NEXT) | instid1(VALU_DEP_2)
	v_cmp_eq_u32_e32 vcc_lo, 0, v175
	s_and_b32 s17, s16, vcc_lo
	s_delay_alu instid0(SALU_CYCLE_1)
	s_and_saveexec_b32 s16, s17
	s_cbranch_execz .LBB1954_1034
; %bb.1033:                             ;   in Loop: Header=BB1954_982 Depth=2
	s_waitcnt lgkmcnt(0)
	v_bcnt_u32_b32 v37, v37, v174
	ds_store_b32 v176, v37
.LBB1954_1034:                          ;   in Loop: Header=BB1954_982 Depth=2
	s_or_b32 exec_lo, exec_lo, s16
	v_cmp_gt_i16_e64 vcc_lo, 0, v169
	; wave barrier
	s_delay_alu instid0(VALU_DEP_1) | instskip(NEXT) | instid1(VALU_DEP_1)
	v_cndmask_b32_e64 v37, 0x7fff, 0, vcc_lo
	v_xor_b32_e32 v169, v37, v169
	s_delay_alu instid0(VALU_DEP_1) | instskip(SKIP_1) | instid1(VALU_DEP_1)
	v_cmp_ne_u16_e64 vcc_lo, 0x8000, v169
	v_cndmask_b32_e32 v37, 0x7fff, v169, vcc_lo
	v_and_b32_e32 v37, 0xffff, v37
	s_delay_alu instid0(VALU_DEP_1) | instskip(NEXT) | instid1(VALU_DEP_1)
	v_lshrrev_b32_e32 v37, s49, v37
	v_and_b32_e32 v37, s55, v37
	s_delay_alu instid0(VALU_DEP_1)
	v_and_b32_e32 v177, 1, v37
	v_lshlrev_b32_e32 v178, 30, v37
	v_lshlrev_b32_e32 v179, 29, v37
	;; [unrolled: 1-line block ×4, first 2 shown]
	v_add_co_u32 v177, s16, v177, -1
	s_delay_alu instid0(VALU_DEP_1)
	v_cndmask_b32_e64 v181, 0, 1, s16
	v_not_b32_e32 v185, v178
	v_cmp_gt_i32_e64 s16, 0, v178
	v_not_b32_e32 v178, v179
	v_lshlrev_b32_e32 v183, 26, v37
	v_cmp_ne_u32_e32 vcc_lo, 0, v181
	v_ashrrev_i32_e32 v185, 31, v185
	v_lshlrev_b32_e32 v184, 25, v37
	v_ashrrev_i32_e32 v178, 31, v178
	v_lshlrev_b32_e32 v181, 24, v37
	v_xor_b32_e32 v177, vcc_lo, v177
	v_cmp_gt_i32_e32 vcc_lo, 0, v179
	v_not_b32_e32 v179, v180
	v_xor_b32_e32 v185, s16, v185
	v_cmp_gt_i32_e64 s16, 0, v180
	v_and_b32_e32 v177, exec_lo, v177
	v_not_b32_e32 v180, v182
	v_ashrrev_i32_e32 v179, 31, v179
	v_xor_b32_e32 v178, vcc_lo, v178
	v_cmp_gt_i32_e32 vcc_lo, 0, v182
	v_and_b32_e32 v177, v177, v185
	v_not_b32_e32 v182, v183
	v_ashrrev_i32_e32 v180, 31, v180
	v_xor_b32_e32 v179, s16, v179
	v_cmp_gt_i32_e64 s16, 0, v183
	v_and_b32_e32 v177, v177, v178
	v_not_b32_e32 v178, v184
	v_ashrrev_i32_e32 v182, 31, v182
	v_xor_b32_e32 v180, vcc_lo, v180
	v_cmp_gt_i32_e32 vcc_lo, 0, v184
	v_and_b32_e32 v177, v177, v179
	v_not_b32_e32 v179, v181
	v_ashrrev_i32_e32 v178, 31, v178
	v_xor_b32_e32 v182, s16, v182
	v_mul_u32_u24_e32 v37, 9, v37
	v_and_b32_e32 v177, v177, v180
	v_cmp_gt_i32_e64 s16, 0, v181
	v_ashrrev_i32_e32 v179, 31, v179
	v_xor_b32_e32 v178, vcc_lo, v178
	v_add_lshl_u32 v180, v37, v126, 2
	v_and_b32_e32 v177, v177, v182
	s_delay_alu instid0(VALU_DEP_4) | instskip(NEXT) | instid1(VALU_DEP_2)
	v_xor_b32_e32 v37, s16, v179
	v_and_b32_e32 v177, v177, v178
	ds_load_b32 v178, v180 offset:1056
	v_add_nc_u32_e32 v180, 0x420, v180
	; wave barrier
	v_and_b32_e32 v37, v177, v37
	s_delay_alu instid0(VALU_DEP_1) | instskip(SKIP_1) | instid1(VALU_DEP_2)
	v_mbcnt_lo_u32_b32 v179, v37, 0
	v_cmp_ne_u32_e64 s16, 0, v37
	v_cmp_eq_u32_e32 vcc_lo, 0, v179
	s_delay_alu instid0(VALU_DEP_2) | instskip(NEXT) | instid1(SALU_CYCLE_1)
	s_and_b32 s17, s16, vcc_lo
	s_and_saveexec_b32 s16, s17
	s_cbranch_execz .LBB1954_1036
; %bb.1035:                             ;   in Loop: Header=BB1954_982 Depth=2
	s_waitcnt lgkmcnt(0)
	v_bcnt_u32_b32 v37, v37, v178
	ds_store_b32 v180, v37
.LBB1954_1036:                          ;   in Loop: Header=BB1954_982 Depth=2
	s_or_b32 exec_lo, exec_lo, s16
	v_cmp_gt_i16_e32 vcc_lo, 0, v43
	; wave barrier
	v_cndmask_b32_e64 v37, 0x7fff, 0, vcc_lo
	s_delay_alu instid0(VALU_DEP_1) | instskip(NEXT) | instid1(VALU_DEP_1)
	v_xor_b32_e32 v177, v37, v43
	v_cmp_ne_u16_e64 vcc_lo, 0x8000, v177
	v_cndmask_b32_e32 v37, 0x7fff, v177, vcc_lo
	s_delay_alu instid0(VALU_DEP_1) | instskip(NEXT) | instid1(VALU_DEP_1)
	v_and_b32_e32 v37, 0xffff, v37
	v_lshrrev_b32_e32 v37, s49, v37
	s_delay_alu instid0(VALU_DEP_1) | instskip(NEXT) | instid1(VALU_DEP_1)
	v_and_b32_e32 v37, s55, v37
	v_and_b32_e32 v43, 1, v37
	v_lshlrev_b32_e32 v181, 30, v37
	v_lshlrev_b32_e32 v182, 29, v37
	;; [unrolled: 1-line block ×4, first 2 shown]
	v_add_co_u32 v43, s16, v43, -1
	s_delay_alu instid0(VALU_DEP_1)
	v_cndmask_b32_e64 v184, 0, 1, s16
	v_not_b32_e32 v188, v181
	v_cmp_gt_i32_e64 s16, 0, v181
	v_not_b32_e32 v181, v182
	v_lshlrev_b32_e32 v186, 26, v37
	v_cmp_ne_u32_e32 vcc_lo, 0, v184
	v_ashrrev_i32_e32 v188, 31, v188
	v_lshlrev_b32_e32 v187, 25, v37
	v_ashrrev_i32_e32 v181, 31, v181
	v_lshlrev_b32_e32 v184, 24, v37
	v_xor_b32_e32 v43, vcc_lo, v43
	v_cmp_gt_i32_e32 vcc_lo, 0, v182
	v_not_b32_e32 v182, v183
	v_xor_b32_e32 v188, s16, v188
	v_cmp_gt_i32_e64 s16, 0, v183
	v_and_b32_e32 v43, exec_lo, v43
	v_not_b32_e32 v183, v185
	v_ashrrev_i32_e32 v182, 31, v182
	v_xor_b32_e32 v181, vcc_lo, v181
	v_cmp_gt_i32_e32 vcc_lo, 0, v185
	v_and_b32_e32 v43, v43, v188
	v_not_b32_e32 v185, v186
	v_ashrrev_i32_e32 v183, 31, v183
	v_xor_b32_e32 v182, s16, v182
	v_cmp_gt_i32_e64 s16, 0, v186
	v_and_b32_e32 v43, v43, v181
	v_not_b32_e32 v181, v187
	v_ashrrev_i32_e32 v185, 31, v185
	v_xor_b32_e32 v183, vcc_lo, v183
	v_cmp_gt_i32_e32 vcc_lo, 0, v187
	v_and_b32_e32 v43, v43, v182
	v_not_b32_e32 v182, v184
	v_ashrrev_i32_e32 v181, 31, v181
	v_xor_b32_e32 v185, s16, v185
	v_mul_u32_u24_e32 v37, 9, v37
	v_and_b32_e32 v43, v43, v183
	v_cmp_gt_i32_e64 s16, 0, v184
	v_ashrrev_i32_e32 v182, 31, v182
	v_xor_b32_e32 v181, vcc_lo, v181
	v_add_lshl_u32 v184, v37, v126, 2
	v_and_b32_e32 v43, v43, v185
	s_delay_alu instid0(VALU_DEP_4) | instskip(SKIP_3) | instid1(VALU_DEP_2)
	v_xor_b32_e32 v37, s16, v182
	ds_load_b32 v182, v184 offset:1056
	v_and_b32_e32 v43, v43, v181
	v_add_nc_u32_e32 v184, 0x420, v184
	; wave barrier
	v_and_b32_e32 v37, v43, v37
	s_delay_alu instid0(VALU_DEP_1) | instskip(SKIP_1) | instid1(VALU_DEP_2)
	v_mbcnt_lo_u32_b32 v183, v37, 0
	v_cmp_ne_u32_e64 s16, 0, v37
	v_cmp_eq_u32_e32 vcc_lo, 0, v183
	s_delay_alu instid0(VALU_DEP_2) | instskip(NEXT) | instid1(SALU_CYCLE_1)
	s_and_b32 s17, s16, vcc_lo
	s_and_saveexec_b32 s16, s17
	s_cbranch_execz .LBB1954_1038
; %bb.1037:                             ;   in Loop: Header=BB1954_982 Depth=2
	s_waitcnt lgkmcnt(0)
	v_bcnt_u32_b32 v37, v37, v182
	ds_store_b32 v184, v37
.LBB1954_1038:                          ;   in Loop: Header=BB1954_982 Depth=2
	s_or_b32 exec_lo, exec_lo, s16
	v_cmp_gt_i16_e32 vcc_lo, 0, v42
	; wave barrier
	v_cndmask_b32_e64 v37, 0x7fff, 0, vcc_lo
	s_delay_alu instid0(VALU_DEP_1) | instskip(NEXT) | instid1(VALU_DEP_1)
	v_xor_b32_e32 v181, v37, v42
	v_cmp_ne_u16_e64 vcc_lo, 0x8000, v181
	v_cndmask_b32_e32 v37, 0x7fff, v181, vcc_lo
	s_delay_alu instid0(VALU_DEP_1) | instskip(NEXT) | instid1(VALU_DEP_1)
	v_and_b32_e32 v37, 0xffff, v37
	v_lshrrev_b32_e32 v37, s49, v37
	s_delay_alu instid0(VALU_DEP_1) | instskip(NEXT) | instid1(VALU_DEP_1)
	v_and_b32_e32 v37, s55, v37
	v_and_b32_e32 v42, 1, v37
	v_lshlrev_b32_e32 v43, 30, v37
	v_lshlrev_b32_e32 v185, 29, v37
	v_lshlrev_b32_e32 v186, 28, v37
	v_lshlrev_b32_e32 v188, 27, v37
	v_add_co_u32 v42, s16, v42, -1
	s_delay_alu instid0(VALU_DEP_1)
	v_cndmask_b32_e64 v187, 0, 1, s16
	v_not_b32_e32 v191, v43
	v_cmp_gt_i32_e64 s16, 0, v43
	v_not_b32_e32 v43, v185
	v_lshlrev_b32_e32 v189, 26, v37
	v_cmp_ne_u32_e32 vcc_lo, 0, v187
	v_ashrrev_i32_e32 v191, 31, v191
	v_lshlrev_b32_e32 v190, 25, v37
	v_ashrrev_i32_e32 v43, 31, v43
	v_lshlrev_b32_e32 v187, 24, v37
	v_xor_b32_e32 v42, vcc_lo, v42
	v_cmp_gt_i32_e32 vcc_lo, 0, v185
	v_not_b32_e32 v185, v186
	v_xor_b32_e32 v191, s16, v191
	v_cmp_gt_i32_e64 s16, 0, v186
	v_and_b32_e32 v42, exec_lo, v42
	v_not_b32_e32 v186, v188
	v_ashrrev_i32_e32 v185, 31, v185
	v_xor_b32_e32 v43, vcc_lo, v43
	v_cmp_gt_i32_e32 vcc_lo, 0, v188
	v_and_b32_e32 v42, v42, v191
	v_not_b32_e32 v188, v189
	v_ashrrev_i32_e32 v186, 31, v186
	v_xor_b32_e32 v185, s16, v185
	v_cmp_gt_i32_e64 s16, 0, v189
	v_and_b32_e32 v42, v42, v43
	v_not_b32_e32 v43, v190
	v_ashrrev_i32_e32 v188, 31, v188
	v_xor_b32_e32 v186, vcc_lo, v186
	v_cmp_gt_i32_e32 vcc_lo, 0, v190
	v_and_b32_e32 v42, v42, v185
	v_not_b32_e32 v185, v187
	v_ashrrev_i32_e32 v43, 31, v43
	v_xor_b32_e32 v188, s16, v188
	v_mul_u32_u24_e32 v37, 9, v37
	v_and_b32_e32 v42, v42, v186
	v_cmp_gt_i32_e64 s16, 0, v187
	v_ashrrev_i32_e32 v185, 31, v185
	v_xor_b32_e32 v43, vcc_lo, v43
	s_delay_alu instid0(VALU_DEP_4) | instskip(SKIP_1) | instid1(VALU_DEP_4)
	v_and_b32_e32 v42, v42, v188
	v_add_lshl_u32 v188, v37, v126, 2
	v_xor_b32_e32 v37, s16, v185
	s_delay_alu instid0(VALU_DEP_3) | instskip(SKIP_3) | instid1(VALU_DEP_1)
	v_and_b32_e32 v42, v42, v43
	ds_load_b32 v186, v188 offset:1056
	v_add_nc_u32_e32 v188, 0x420, v188
	; wave barrier
	v_and_b32_e32 v37, v42, v37
	v_mbcnt_lo_u32_b32 v187, v37, 0
	v_cmp_ne_u32_e64 s16, 0, v37
	s_delay_alu instid0(VALU_DEP_2) | instskip(NEXT) | instid1(VALU_DEP_2)
	v_cmp_eq_u32_e32 vcc_lo, 0, v187
	s_and_b32 s17, s16, vcc_lo
	s_delay_alu instid0(SALU_CYCLE_1)
	s_and_saveexec_b32 s16, s17
	s_cbranch_execz .LBB1954_1040
; %bb.1039:                             ;   in Loop: Header=BB1954_982 Depth=2
	s_waitcnt lgkmcnt(0)
	v_bcnt_u32_b32 v37, v37, v186
	ds_store_b32 v188, v37
.LBB1954_1040:                          ;   in Loop: Header=BB1954_982 Depth=2
	s_or_b32 exec_lo, exec_lo, s16
	v_cmp_gt_i16_e32 vcc_lo, 0, v41
	; wave barrier
	v_cndmask_b32_e64 v37, 0x7fff, 0, vcc_lo
	s_delay_alu instid0(VALU_DEP_1) | instskip(NEXT) | instid1(VALU_DEP_1)
	v_xor_b32_e32 v185, v37, v41
	v_cmp_ne_u16_e64 vcc_lo, 0x8000, v185
	v_cndmask_b32_e32 v37, 0x7fff, v185, vcc_lo
	s_delay_alu instid0(VALU_DEP_1) | instskip(NEXT) | instid1(VALU_DEP_1)
	v_and_b32_e32 v37, 0xffff, v37
	v_lshrrev_b32_e32 v37, s49, v37
	s_delay_alu instid0(VALU_DEP_1) | instskip(NEXT) | instid1(VALU_DEP_1)
	v_and_b32_e32 v37, s55, v37
	v_and_b32_e32 v41, 1, v37
	v_lshlrev_b32_e32 v42, 30, v37
	v_lshlrev_b32_e32 v43, 29, v37
	;; [unrolled: 1-line block ×4, first 2 shown]
	v_add_co_u32 v41, s16, v41, -1
	s_delay_alu instid0(VALU_DEP_1)
	v_cndmask_b32_e64 v190, 0, 1, s16
	v_not_b32_e32 v194, v42
	v_cmp_gt_i32_e64 s16, 0, v42
	v_not_b32_e32 v42, v43
	v_lshlrev_b32_e32 v192, 26, v37
	v_cmp_ne_u32_e32 vcc_lo, 0, v190
	v_ashrrev_i32_e32 v194, 31, v194
	v_lshlrev_b32_e32 v193, 25, v37
	v_ashrrev_i32_e32 v42, 31, v42
	v_lshlrev_b32_e32 v190, 24, v37
	v_xor_b32_e32 v41, vcc_lo, v41
	v_cmp_gt_i32_e32 vcc_lo, 0, v43
	v_not_b32_e32 v43, v189
	v_xor_b32_e32 v194, s16, v194
	v_cmp_gt_i32_e64 s16, 0, v189
	v_and_b32_e32 v41, exec_lo, v41
	v_not_b32_e32 v189, v191
	v_ashrrev_i32_e32 v43, 31, v43
	v_xor_b32_e32 v42, vcc_lo, v42
	v_cmp_gt_i32_e32 vcc_lo, 0, v191
	v_and_b32_e32 v41, v41, v194
	v_not_b32_e32 v191, v192
	v_ashrrev_i32_e32 v189, 31, v189
	v_xor_b32_e32 v43, s16, v43
	v_cmp_gt_i32_e64 s16, 0, v192
	v_and_b32_e32 v41, v41, v42
	v_not_b32_e32 v42, v193
	v_ashrrev_i32_e32 v191, 31, v191
	v_xor_b32_e32 v189, vcc_lo, v189
	v_cmp_gt_i32_e32 vcc_lo, 0, v193
	v_and_b32_e32 v41, v41, v43
	v_not_b32_e32 v43, v190
	v_ashrrev_i32_e32 v42, 31, v42
	v_xor_b32_e32 v191, s16, v191
	v_mul_u32_u24_e32 v37, 9, v37
	v_and_b32_e32 v41, v41, v189
	v_cmp_gt_i32_e64 s16, 0, v190
	v_ashrrev_i32_e32 v43, 31, v43
	v_xor_b32_e32 v42, vcc_lo, v42
	v_add_lshl_u32 v189, v37, v126, 2
	v_and_b32_e32 v41, v41, v191
	s_delay_alu instid0(VALU_DEP_4) | instskip(SKIP_3) | instid1(VALU_DEP_2)
	v_xor_b32_e32 v37, s16, v43
	ds_load_b32 v190, v189 offset:1056
	v_and_b32_e32 v41, v41, v42
	v_add_nc_u32_e32 v192, 0x420, v189
	; wave barrier
	v_and_b32_e32 v37, v41, v37
	s_delay_alu instid0(VALU_DEP_1) | instskip(SKIP_1) | instid1(VALU_DEP_2)
	v_mbcnt_lo_u32_b32 v191, v37, 0
	v_cmp_ne_u32_e64 s16, 0, v37
	v_cmp_eq_u32_e32 vcc_lo, 0, v191
	s_delay_alu instid0(VALU_DEP_2) | instskip(NEXT) | instid1(SALU_CYCLE_1)
	s_and_b32 s17, s16, vcc_lo
	s_and_saveexec_b32 s16, s17
	s_cbranch_execz .LBB1954_1042
; %bb.1041:                             ;   in Loop: Header=BB1954_982 Depth=2
	s_waitcnt lgkmcnt(0)
	v_bcnt_u32_b32 v37, v37, v190
	ds_store_b32 v192, v37
.LBB1954_1042:                          ;   in Loop: Header=BB1954_982 Depth=2
	s_or_b32 exec_lo, exec_lo, s16
	v_cmp_gt_i16_e32 vcc_lo, 0, v40
	; wave barrier
	v_cndmask_b32_e64 v37, 0x7fff, 0, vcc_lo
	s_delay_alu instid0(VALU_DEP_1) | instskip(NEXT) | instid1(VALU_DEP_1)
	v_xor_b32_e32 v189, v37, v40
	v_cmp_ne_u16_e64 vcc_lo, 0x8000, v189
	v_cndmask_b32_e32 v37, 0x7fff, v189, vcc_lo
	s_delay_alu instid0(VALU_DEP_1) | instskip(NEXT) | instid1(VALU_DEP_1)
	v_and_b32_e32 v37, 0xffff, v37
	v_lshrrev_b32_e32 v37, s49, v37
	s_delay_alu instid0(VALU_DEP_1) | instskip(NEXT) | instid1(VALU_DEP_1)
	v_and_b32_e32 v37, s55, v37
	v_and_b32_e32 v40, 1, v37
	v_lshlrev_b32_e32 v41, 30, v37
	v_lshlrev_b32_e32 v42, 29, v37
	;; [unrolled: 1-line block ×4, first 2 shown]
	v_add_co_u32 v40, s16, v40, -1
	s_delay_alu instid0(VALU_DEP_1)
	v_cndmask_b32_e64 v193, 0, 1, s16
	v_not_b32_e32 v197, v41
	v_cmp_gt_i32_e64 s16, 0, v41
	v_not_b32_e32 v41, v42
	v_lshlrev_b32_e32 v195, 26, v37
	v_cmp_ne_u32_e32 vcc_lo, 0, v193
	v_ashrrev_i32_e32 v197, 31, v197
	v_lshlrev_b32_e32 v196, 25, v37
	v_ashrrev_i32_e32 v41, 31, v41
	v_lshlrev_b32_e32 v193, 24, v37
	v_xor_b32_e32 v40, vcc_lo, v40
	v_cmp_gt_i32_e32 vcc_lo, 0, v42
	v_not_b32_e32 v42, v43
	v_xor_b32_e32 v197, s16, v197
	v_cmp_gt_i32_e64 s16, 0, v43
	v_and_b32_e32 v40, exec_lo, v40
	v_not_b32_e32 v43, v194
	v_ashrrev_i32_e32 v42, 31, v42
	v_xor_b32_e32 v41, vcc_lo, v41
	v_cmp_gt_i32_e32 vcc_lo, 0, v194
	v_and_b32_e32 v40, v40, v197
	v_not_b32_e32 v194, v195
	v_ashrrev_i32_e32 v43, 31, v43
	v_xor_b32_e32 v42, s16, v42
	v_cmp_gt_i32_e64 s16, 0, v195
	v_and_b32_e32 v40, v40, v41
	v_not_b32_e32 v41, v196
	v_ashrrev_i32_e32 v194, 31, v194
	v_xor_b32_e32 v43, vcc_lo, v43
	v_cmp_gt_i32_e32 vcc_lo, 0, v196
	v_and_b32_e32 v40, v40, v42
	v_not_b32_e32 v42, v193
	v_ashrrev_i32_e32 v41, 31, v41
	v_xor_b32_e32 v194, s16, v194
	v_mul_u32_u24_e32 v37, 9, v37
	v_and_b32_e32 v40, v40, v43
	v_cmp_gt_i32_e64 s16, 0, v193
	v_ashrrev_i32_e32 v42, 31, v42
	v_xor_b32_e32 v41, vcc_lo, v41
	v_add_lshl_u32 v43, v37, v126, 2
	v_and_b32_e32 v40, v40, v194
	s_delay_alu instid0(VALU_DEP_4) | instskip(SKIP_3) | instid1(VALU_DEP_2)
	v_xor_b32_e32 v37, s16, v42
	ds_load_b32 v194, v43 offset:1056
	v_and_b32_e32 v40, v40, v41
	v_add_nc_u32_e32 v196, 0x420, v43
	; wave barrier
	v_and_b32_e32 v37, v40, v37
	s_delay_alu instid0(VALU_DEP_1) | instskip(SKIP_1) | instid1(VALU_DEP_2)
	v_mbcnt_lo_u32_b32 v195, v37, 0
	v_cmp_ne_u32_e64 s16, 0, v37
	v_cmp_eq_u32_e32 vcc_lo, 0, v195
	s_delay_alu instid0(VALU_DEP_2) | instskip(NEXT) | instid1(SALU_CYCLE_1)
	s_and_b32 s17, s16, vcc_lo
	s_and_saveexec_b32 s16, s17
	s_cbranch_execz .LBB1954_1044
; %bb.1043:                             ;   in Loop: Header=BB1954_982 Depth=2
	s_waitcnt lgkmcnt(0)
	v_bcnt_u32_b32 v37, v37, v194
	ds_store_b32 v196, v37
.LBB1954_1044:                          ;   in Loop: Header=BB1954_982 Depth=2
	s_or_b32 exec_lo, exec_lo, s16
	v_cmp_gt_i16_e32 vcc_lo, 0, v39
	; wave barrier
	v_cndmask_b32_e64 v37, 0x7fff, 0, vcc_lo
	s_delay_alu instid0(VALU_DEP_1) | instskip(NEXT) | instid1(VALU_DEP_1)
	v_xor_b32_e32 v193, v37, v39
	v_cmp_ne_u16_e64 vcc_lo, 0x8000, v193
	v_cndmask_b32_e32 v37, 0x7fff, v193, vcc_lo
	s_delay_alu instid0(VALU_DEP_1) | instskip(NEXT) | instid1(VALU_DEP_1)
	v_and_b32_e32 v37, 0xffff, v37
	v_lshrrev_b32_e32 v37, s49, v37
	s_delay_alu instid0(VALU_DEP_1) | instskip(NEXT) | instid1(VALU_DEP_1)
	v_and_b32_e32 v37, s55, v37
	v_and_b32_e32 v39, 1, v37
	v_lshlrev_b32_e32 v40, 30, v37
	v_lshlrev_b32_e32 v41, 29, v37
	;; [unrolled: 1-line block ×4, first 2 shown]
	v_add_co_u32 v39, s16, v39, -1
	s_delay_alu instid0(VALU_DEP_1)
	v_cndmask_b32_e64 v43, 0, 1, s16
	v_not_b32_e32 v200, v40
	v_cmp_gt_i32_e64 s16, 0, v40
	v_not_b32_e32 v40, v41
	v_lshlrev_b32_e32 v198, 26, v37
	v_cmp_ne_u32_e32 vcc_lo, 0, v43
	v_ashrrev_i32_e32 v200, 31, v200
	v_lshlrev_b32_e32 v199, 25, v37
	v_ashrrev_i32_e32 v40, 31, v40
	v_lshlrev_b32_e32 v43, 24, v37
	v_xor_b32_e32 v39, vcc_lo, v39
	v_cmp_gt_i32_e32 vcc_lo, 0, v41
	v_not_b32_e32 v41, v42
	v_xor_b32_e32 v200, s16, v200
	v_cmp_gt_i32_e64 s16, 0, v42
	v_and_b32_e32 v39, exec_lo, v39
	v_not_b32_e32 v42, v197
	v_ashrrev_i32_e32 v41, 31, v41
	v_xor_b32_e32 v40, vcc_lo, v40
	v_cmp_gt_i32_e32 vcc_lo, 0, v197
	v_and_b32_e32 v39, v39, v200
	v_not_b32_e32 v197, v198
	v_ashrrev_i32_e32 v42, 31, v42
	v_xor_b32_e32 v41, s16, v41
	v_cmp_gt_i32_e64 s16, 0, v198
	v_and_b32_e32 v39, v39, v40
	v_not_b32_e32 v40, v199
	v_ashrrev_i32_e32 v197, 31, v197
	v_xor_b32_e32 v42, vcc_lo, v42
	v_cmp_gt_i32_e32 vcc_lo, 0, v199
	v_and_b32_e32 v39, v39, v41
	v_not_b32_e32 v41, v43
	v_ashrrev_i32_e32 v40, 31, v40
	v_xor_b32_e32 v197, s16, v197
	v_mul_u32_u24_e32 v37, 9, v37
	v_and_b32_e32 v39, v39, v42
	v_cmp_gt_i32_e64 s16, 0, v43
	v_ashrrev_i32_e32 v41, 31, v41
	v_xor_b32_e32 v40, vcc_lo, v40
	v_add_lshl_u32 v42, v37, v126, 2
	v_and_b32_e32 v39, v39, v197
	s_delay_alu instid0(VALU_DEP_4) | instskip(SKIP_3) | instid1(VALU_DEP_2)
	v_xor_b32_e32 v37, s16, v41
	ds_load_b32 v198, v42 offset:1056
	v_and_b32_e32 v39, v39, v40
	v_add_nc_u32_e32 v200, 0x420, v42
	; wave barrier
	v_and_b32_e32 v37, v39, v37
	s_delay_alu instid0(VALU_DEP_1) | instskip(SKIP_1) | instid1(VALU_DEP_2)
	v_mbcnt_lo_u32_b32 v199, v37, 0
	v_cmp_ne_u32_e64 s16, 0, v37
	v_cmp_eq_u32_e32 vcc_lo, 0, v199
	s_delay_alu instid0(VALU_DEP_2) | instskip(NEXT) | instid1(SALU_CYCLE_1)
	s_and_b32 s17, s16, vcc_lo
	s_and_saveexec_b32 s16, s17
	s_cbranch_execz .LBB1954_1046
; %bb.1045:                             ;   in Loop: Header=BB1954_982 Depth=2
	s_waitcnt lgkmcnt(0)
	v_bcnt_u32_b32 v37, v37, v198
	ds_store_b32 v200, v37
.LBB1954_1046:                          ;   in Loop: Header=BB1954_982 Depth=2
	s_or_b32 exec_lo, exec_lo, s16
	v_cmp_gt_i16_e32 vcc_lo, 0, v38
	; wave barrier
	v_cndmask_b32_e64 v37, 0x7fff, 0, vcc_lo
	s_delay_alu instid0(VALU_DEP_1) | instskip(NEXT) | instid1(VALU_DEP_1)
	v_xor_b32_e32 v197, v37, v38
	v_cmp_ne_u16_e64 vcc_lo, 0x8000, v197
	v_cndmask_b32_e32 v37, 0x7fff, v197, vcc_lo
	s_delay_alu instid0(VALU_DEP_1) | instskip(NEXT) | instid1(VALU_DEP_1)
	v_and_b32_e32 v37, 0xffff, v37
	v_lshrrev_b32_e32 v37, s49, v37
	s_delay_alu instid0(VALU_DEP_1) | instskip(NEXT) | instid1(VALU_DEP_1)
	v_and_b32_e32 v37, s55, v37
	v_and_b32_e32 v38, 1, v37
	v_lshlrev_b32_e32 v39, 30, v37
	v_lshlrev_b32_e32 v40, 29, v37
	;; [unrolled: 1-line block ×4, first 2 shown]
	v_add_co_u32 v38, s16, v38, -1
	s_delay_alu instid0(VALU_DEP_1)
	v_cndmask_b32_e64 v42, 0, 1, s16
	v_not_b32_e32 v203, v39
	v_cmp_gt_i32_e64 s16, 0, v39
	v_not_b32_e32 v39, v40
	v_lshlrev_b32_e32 v201, 26, v37
	v_cmp_ne_u32_e32 vcc_lo, 0, v42
	v_ashrrev_i32_e32 v203, 31, v203
	v_lshlrev_b32_e32 v202, 25, v37
	v_ashrrev_i32_e32 v39, 31, v39
	v_lshlrev_b32_e32 v42, 24, v37
	v_xor_b32_e32 v38, vcc_lo, v38
	v_cmp_gt_i32_e32 vcc_lo, 0, v40
	v_not_b32_e32 v40, v41
	v_xor_b32_e32 v203, s16, v203
	v_cmp_gt_i32_e64 s16, 0, v41
	v_and_b32_e32 v38, exec_lo, v38
	v_not_b32_e32 v41, v43
	v_ashrrev_i32_e32 v40, 31, v40
	v_xor_b32_e32 v39, vcc_lo, v39
	v_cmp_gt_i32_e32 vcc_lo, 0, v43
	v_and_b32_e32 v38, v38, v203
	v_not_b32_e32 v43, v201
	v_ashrrev_i32_e32 v41, 31, v41
	v_xor_b32_e32 v40, s16, v40
	v_cmp_gt_i32_e64 s16, 0, v201
	v_and_b32_e32 v38, v38, v39
	v_not_b32_e32 v39, v202
	v_ashrrev_i32_e32 v43, 31, v43
	v_xor_b32_e32 v41, vcc_lo, v41
	v_cmp_gt_i32_e32 vcc_lo, 0, v202
	v_and_b32_e32 v38, v38, v40
	v_not_b32_e32 v40, v42
	v_ashrrev_i32_e32 v39, 31, v39
	v_xor_b32_e32 v43, s16, v43
	v_mul_u32_u24_e32 v37, 9, v37
	v_and_b32_e32 v38, v38, v41
	v_cmp_gt_i32_e64 s16, 0, v42
	v_ashrrev_i32_e32 v40, 31, v40
	v_xor_b32_e32 v39, vcc_lo, v39
	v_add_lshl_u32 v41, v37, v126, 2
	v_and_b32_e32 v38, v38, v43
	s_delay_alu instid0(VALU_DEP_4) | instskip(SKIP_3) | instid1(VALU_DEP_2)
	v_xor_b32_e32 v37, s16, v40
	ds_load_b32 v202, v41 offset:1056
	v_and_b32_e32 v38, v38, v39
	v_add_nc_u32_e32 v204, 0x420, v41
	; wave barrier
	v_and_b32_e32 v37, v38, v37
	s_delay_alu instid0(VALU_DEP_1) | instskip(SKIP_1) | instid1(VALU_DEP_2)
	v_mbcnt_lo_u32_b32 v203, v37, 0
	v_cmp_ne_u32_e64 s16, 0, v37
	v_cmp_eq_u32_e32 vcc_lo, 0, v203
	s_delay_alu instid0(VALU_DEP_2) | instskip(NEXT) | instid1(SALU_CYCLE_1)
	s_and_b32 s17, s16, vcc_lo
	s_and_saveexec_b32 s16, s17
	s_cbranch_execz .LBB1954_1048
; %bb.1047:                             ;   in Loop: Header=BB1954_982 Depth=2
	s_waitcnt lgkmcnt(0)
	v_bcnt_u32_b32 v37, v37, v202
	ds_store_b32 v204, v37
.LBB1954_1048:                          ;   in Loop: Header=BB1954_982 Depth=2
	s_or_b32 exec_lo, exec_lo, s16
	v_cmp_gt_i16_e32 vcc_lo, 0, v36
	; wave barrier
	v_cndmask_b32_e64 v37, 0x7fff, 0, vcc_lo
	s_delay_alu instid0(VALU_DEP_1) | instskip(NEXT) | instid1(VALU_DEP_1)
	v_xor_b32_e32 v201, v37, v36
	v_cmp_ne_u16_e64 vcc_lo, 0x8000, v201
	v_cndmask_b32_e32 v36, 0x7fff, v201, vcc_lo
	s_delay_alu instid0(VALU_DEP_1) | instskip(NEXT) | instid1(VALU_DEP_1)
	v_and_b32_e32 v36, 0xffff, v36
	v_lshrrev_b32_e32 v36, s49, v36
	s_delay_alu instid0(VALU_DEP_1) | instskip(NEXT) | instid1(VALU_DEP_1)
	v_and_b32_e32 v36, s55, v36
	v_and_b32_e32 v37, 1, v36
	v_lshlrev_b32_e32 v38, 30, v36
	v_lshlrev_b32_e32 v39, 29, v36
	;; [unrolled: 1-line block ×4, first 2 shown]
	v_add_co_u32 v37, s16, v37, -1
	s_delay_alu instid0(VALU_DEP_1)
	v_cndmask_b32_e64 v41, 0, 1, s16
	v_not_b32_e32 v206, v38
	v_cmp_gt_i32_e64 s16, 0, v38
	v_not_b32_e32 v38, v39
	v_lshlrev_b32_e32 v43, 26, v36
	v_cmp_ne_u32_e32 vcc_lo, 0, v41
	v_ashrrev_i32_e32 v206, 31, v206
	v_lshlrev_b32_e32 v205, 25, v36
	v_ashrrev_i32_e32 v38, 31, v38
	v_lshlrev_b32_e32 v41, 24, v36
	v_xor_b32_e32 v37, vcc_lo, v37
	v_cmp_gt_i32_e32 vcc_lo, 0, v39
	v_not_b32_e32 v39, v40
	v_xor_b32_e32 v206, s16, v206
	v_cmp_gt_i32_e64 s16, 0, v40
	v_and_b32_e32 v37, exec_lo, v37
	v_not_b32_e32 v40, v42
	v_ashrrev_i32_e32 v39, 31, v39
	v_xor_b32_e32 v38, vcc_lo, v38
	v_cmp_gt_i32_e32 vcc_lo, 0, v42
	v_and_b32_e32 v37, v37, v206
	v_not_b32_e32 v42, v43
	v_ashrrev_i32_e32 v40, 31, v40
	v_xor_b32_e32 v39, s16, v39
	v_cmp_gt_i32_e64 s16, 0, v43
	v_and_b32_e32 v37, v37, v38
	v_not_b32_e32 v38, v205
	v_ashrrev_i32_e32 v42, 31, v42
	v_xor_b32_e32 v40, vcc_lo, v40
	v_cmp_gt_i32_e32 vcc_lo, 0, v205
	v_and_b32_e32 v37, v37, v39
	v_not_b32_e32 v39, v41
	v_ashrrev_i32_e32 v38, 31, v38
	v_xor_b32_e32 v42, s16, v42
	v_mul_u32_u24_e32 v36, 9, v36
	v_and_b32_e32 v37, v37, v40
	v_cmp_gt_i32_e64 s16, 0, v41
	v_ashrrev_i32_e32 v39, 31, v39
	v_xor_b32_e32 v38, vcc_lo, v38
	v_add_lshl_u32 v40, v36, v126, 2
	v_and_b32_e32 v37, v37, v42
	s_delay_alu instid0(VALU_DEP_4) | instskip(SKIP_3) | instid1(VALU_DEP_2)
	v_xor_b32_e32 v36, s16, v39
	ds_load_b32 v205, v40 offset:1056
	v_and_b32_e32 v37, v37, v38
	v_add_nc_u32_e32 v207, 0x420, v40
	; wave barrier
	v_and_b32_e32 v36, v37, v36
	s_delay_alu instid0(VALU_DEP_1) | instskip(SKIP_1) | instid1(VALU_DEP_2)
	v_mbcnt_lo_u32_b32 v206, v36, 0
	v_cmp_ne_u32_e64 s16, 0, v36
	v_cmp_eq_u32_e32 vcc_lo, 0, v206
	s_delay_alu instid0(VALU_DEP_2) | instskip(NEXT) | instid1(SALU_CYCLE_1)
	s_and_b32 s17, s16, vcc_lo
	s_and_saveexec_b32 s16, s17
	s_cbranch_execz .LBB1954_1050
; %bb.1049:                             ;   in Loop: Header=BB1954_982 Depth=2
	s_waitcnt lgkmcnt(0)
	v_bcnt_u32_b32 v36, v36, v205
	ds_store_b32 v207, v36
.LBB1954_1050:                          ;   in Loop: Header=BB1954_982 Depth=2
	s_or_b32 exec_lo, exec_lo, s16
	; wave barrier
	s_waitcnt lgkmcnt(0)
	s_barrier
	buffer_gl0_inv
	ds_load_b32 v208, v69 offset:1056
	ds_load_2addr_b32 v[42:43], v71 offset0:1 offset1:2
	ds_load_2addr_b32 v[40:41], v71 offset0:3 offset1:4
	;; [unrolled: 1-line block ×4, first 2 shown]
	s_waitcnt lgkmcnt(3)
	v_add3_u32 v209, v42, v208, v43
	s_waitcnt lgkmcnt(2)
	s_delay_alu instid0(VALU_DEP_1) | instskip(SKIP_1) | instid1(VALU_DEP_1)
	v_add3_u32 v209, v209, v40, v41
	s_waitcnt lgkmcnt(1)
	v_add3_u32 v209, v209, v36, v37
	s_waitcnt lgkmcnt(0)
	s_delay_alu instid0(VALU_DEP_1) | instskip(NEXT) | instid1(VALU_DEP_1)
	v_add3_u32 v39, v209, v38, v39
	v_mov_b32_dpp v209, v39 row_shr:1 row_mask:0xf bank_mask:0xf
	s_delay_alu instid0(VALU_DEP_1) | instskip(NEXT) | instid1(VALU_DEP_1)
	v_cndmask_b32_e64 v209, v209, 0, s0
	v_add_nc_u32_e32 v39, v209, v39
	s_delay_alu instid0(VALU_DEP_1) | instskip(NEXT) | instid1(VALU_DEP_1)
	v_mov_b32_dpp v209, v39 row_shr:2 row_mask:0xf bank_mask:0xf
	v_cndmask_b32_e64 v209, 0, v209, s1
	s_delay_alu instid0(VALU_DEP_1) | instskip(NEXT) | instid1(VALU_DEP_1)
	v_add_nc_u32_e32 v39, v39, v209
	v_mov_b32_dpp v209, v39 row_shr:4 row_mask:0xf bank_mask:0xf
	s_delay_alu instid0(VALU_DEP_1) | instskip(NEXT) | instid1(VALU_DEP_1)
	v_cndmask_b32_e64 v209, 0, v209, s8
	v_add_nc_u32_e32 v39, v39, v209
	s_delay_alu instid0(VALU_DEP_1) | instskip(NEXT) | instid1(VALU_DEP_1)
	v_mov_b32_dpp v209, v39 row_shr:8 row_mask:0xf bank_mask:0xf
	v_cndmask_b32_e64 v209, 0, v209, s9
	s_delay_alu instid0(VALU_DEP_1) | instskip(SKIP_3) | instid1(VALU_DEP_1)
	v_add_nc_u32_e32 v39, v39, v209
	ds_swizzle_b32 v209, v39 offset:swizzle(BROADCAST,32,15)
	s_waitcnt lgkmcnt(0)
	v_cndmask_b32_e64 v209, v209, 0, s10
	v_add_nc_u32_e32 v39, v39, v209
	s_and_saveexec_b32 s16, s3
	s_cbranch_execz .LBB1954_1052
; %bb.1051:                             ;   in Loop: Header=BB1954_982 Depth=2
	ds_store_b32 v62, v39 offset:1024
.LBB1954_1052:                          ;   in Loop: Header=BB1954_982 Depth=2
	s_or_b32 exec_lo, exec_lo, s16
	s_waitcnt lgkmcnt(0)
	s_barrier
	buffer_gl0_inv
	s_and_saveexec_b32 s16, s4
	s_cbranch_execz .LBB1954_1054
; %bb.1053:                             ;   in Loop: Header=BB1954_982 Depth=2
	ds_load_b32 v209, v72 offset:1024
	s_waitcnt lgkmcnt(0)
	v_mov_b32_dpp v210, v209 row_shr:1 row_mask:0xf bank_mask:0xf
	s_delay_alu instid0(VALU_DEP_1) | instskip(NEXT) | instid1(VALU_DEP_1)
	v_cndmask_b32_e64 v210, v210, 0, s12
	v_add_nc_u32_e32 v209, v210, v209
	s_delay_alu instid0(VALU_DEP_1) | instskip(NEXT) | instid1(VALU_DEP_1)
	v_mov_b32_dpp v210, v209 row_shr:2 row_mask:0xf bank_mask:0xf
	v_cndmask_b32_e64 v210, 0, v210, s13
	s_delay_alu instid0(VALU_DEP_1) | instskip(NEXT) | instid1(VALU_DEP_1)
	v_add_nc_u32_e32 v209, v209, v210
	v_mov_b32_dpp v210, v209 row_shr:4 row_mask:0xf bank_mask:0xf
	s_delay_alu instid0(VALU_DEP_1) | instskip(NEXT) | instid1(VALU_DEP_1)
	v_cndmask_b32_e64 v210, 0, v210, s14
	v_add_nc_u32_e32 v209, v209, v210
	ds_store_b32 v72, v209 offset:1024
.LBB1954_1054:                          ;   in Loop: Header=BB1954_982 Depth=2
	s_or_b32 exec_lo, exec_lo, s16
	v_mov_b32_e32 v209, 0
	s_waitcnt lgkmcnt(0)
	s_barrier
	buffer_gl0_inv
	s_and_saveexec_b32 s16, s5
	s_cbranch_execz .LBB1954_1056
; %bb.1055:                             ;   in Loop: Header=BB1954_982 Depth=2
	ds_load_b32 v209, v62 offset:1020
.LBB1954_1056:                          ;   in Loop: Header=BB1954_982 Depth=2
	s_or_b32 exec_lo, exec_lo, s16
	s_waitcnt lgkmcnt(0)
	v_add_nc_u32_e32 v39, v209, v39
	ds_bpermute_b32 v39, v105, v39
	s_waitcnt lgkmcnt(0)
	v_cndmask_b32_e64 v39, v39, v209, s11
	s_delay_alu instid0(VALU_DEP_1) | instskip(NEXT) | instid1(VALU_DEP_1)
	v_cndmask_b32_e64 v39, v39, 0, s6
	v_add_nc_u32_e32 v208, v39, v208
	s_delay_alu instid0(VALU_DEP_1) | instskip(NEXT) | instid1(VALU_DEP_1)
	v_add_nc_u32_e32 v42, v208, v42
	v_add_nc_u32_e32 v43, v42, v43
	s_delay_alu instid0(VALU_DEP_1) | instskip(NEXT) | instid1(VALU_DEP_1)
	v_add_nc_u32_e32 v40, v43, v40
	;; [unrolled: 3-line block ×3, first 2 shown]
	v_add_nc_u32_e32 v37, v36, v37
	s_delay_alu instid0(VALU_DEP_1)
	v_add_nc_u32_e32 v38, v37, v38
	ds_store_b32 v69, v39 offset:1056
	ds_store_2addr_b32 v71, v208, v42 offset0:1 offset1:2
	ds_store_2addr_b32 v71, v43, v40 offset0:3 offset1:4
	;; [unrolled: 1-line block ×4, first 2 shown]
	v_mov_b32_e32 v38, 0x1000
	s_waitcnt lgkmcnt(0)
	s_barrier
	buffer_gl0_inv
	ds_load_b32 v39, v152
	ds_load_b32 v40, v156
	;; [unrolled: 1-line block ×16, first 2 shown]
	ds_load_b32 v156, v69 offset:1056
	s_and_saveexec_b32 s16, s7
	s_cbranch_execz .LBB1954_1058
; %bb.1057:                             ;   in Loop: Header=BB1954_982 Depth=2
	ds_load_b32 v38, v73 offset:1056
.LBB1954_1058:                          ;   in Loop: Header=BB1954_982 Depth=2
	s_or_b32 exec_lo, exec_lo, s16
	s_waitcnt lgkmcnt(0)
	s_barrier
	buffer_gl0_inv
	s_and_saveexec_b32 s16, s2
	s_cbranch_execz .LBB1954_1060
; %bb.1059:                             ;   in Loop: Header=BB1954_982 Depth=2
	ds_load_b32 v160, v44
	s_waitcnt lgkmcnt(0)
	v_sub_nc_u32_e32 v156, v160, v156
	ds_store_b32 v44, v156
.LBB1954_1060:                          ;   in Loop: Header=BB1954_982 Depth=2
	s_or_b32 exec_lo, exec_lo, s16
	v_add_nc_u32_e32 v168, v148, v146
	v_add3_u32 v164, v151, v150, v39
	v_add3_u32 v156, v159, v158, v41
	;; [unrolled: 1-line block ×4, first 2 shown]
	v_lshlrev_b32_e32 v158, 1, v168
	v_add3_u32 v154, v167, v166, v43
	v_add3_u32 v152, v172, v171, v152
	;; [unrolled: 1-line block ×3, first 2 shown]
	v_lshlrev_b32_e32 v36, 1, v164
	ds_store_b16 v158, v2 offset:1024
	v_lshlrev_b32_e32 v2, 1, v156
	v_add3_u32 v151, v175, v174, v173
	v_add3_u32 v41, v206, v205, v37
	v_lshlrev_b32_e32 v37, 1, v160
	v_lshlrev_b32_e32 v158, 1, v155
	v_add3_u32 v150, v179, v178, v176
	v_add3_u32 v146, v187, v186, v184
	ds_store_b16 v36, v147 offset:1024
	ds_store_b16 v37, v149 offset:1024
	v_lshlrev_b32_e32 v36, 1, v154
	ds_store_b16 v2, v153 offset:1024
	ds_store_b16 v158, v157 offset:1024
	v_lshlrev_b32_e32 v2, 1, v152
	v_add3_u32 v148, v183, v182, v180
	v_lshlrev_b32_e32 v37, 1, v151
	v_add3_u32 v42, v191, v190, v188
	v_add3_u32 v39, v199, v198, v196
	ds_store_b16 v36, v161 offset:1024
	v_lshlrev_b32_e32 v36, 1, v150
	ds_store_b16 v2, v165 offset:1024
	ds_store_b16 v37, v170 offset:1024
	v_lshlrev_b32_e32 v2, 1, v146
	v_add3_u32 v40, v195, v194, v192
	v_lshlrev_b32_e32 v147, 1, v148
	ds_store_b16 v36, v169 offset:1024
	ds_store_b16 v147, v177 offset:1024
	v_lshlrev_b32_e32 v36, 1, v42
	ds_store_b16 v2, v181 offset:1024
	v_lshlrev_b32_e32 v2, 1, v39
	v_lshlrev_b32_e32 v37, 1, v40
	;; [unrolled: 1-line block ×3, first 2 shown]
	ds_store_b16 v36, v185 offset:1024
	ds_store_b16 v37, v189 offset:1024
	v_lshlrev_b32_e32 v36, 1, v41
	ds_store_b16 v2, v193 offset:1024
	ds_store_b16 v147, v197 offset:1024
	v_cmp_lt_u32_e32 vcc_lo, v1, v145
	v_add_nc_u32_e32 v147, v72, v78
	ds_store_b16 v36, v201 offset:1024
	s_waitcnt lgkmcnt(0)
	s_barrier
	buffer_gl0_inv
	s_and_saveexec_b32 s17, vcc_lo
	s_cbranch_execz .LBB1954_1076
; %bb.1061:                             ;   in Loop: Header=BB1954_982 Depth=2
	ds_load_u16 v149, v147 offset:1024
	s_waitcnt lgkmcnt(0)
	v_cmp_ne_u16_e64 s16, 0x8000, v149
	s_delay_alu instid0(VALU_DEP_1) | instskip(SKIP_1) | instid1(VALU_DEP_2)
	v_cndmask_b32_e64 v2, 0x7fff, v149, s16
	v_cmp_gt_i16_e64 s16, 0, v149
	v_and_b32_e32 v2, 0xffff, v2
	s_delay_alu instid0(VALU_DEP_2) | instskip(NEXT) | instid1(VALU_DEP_2)
	v_cndmask_b32_e64 v153, 0x7fff, 0, s16
	v_lshrrev_b32_e32 v2, s49, v2
	s_delay_alu instid0(VALU_DEP_1) | instskip(NEXT) | instid1(VALU_DEP_1)
	v_and_b32_e32 v2, s55, v2
	v_lshlrev_b32_e32 v2, 2, v2
	ds_load_b32 v2, v2
	s_waitcnt lgkmcnt(0)
	v_add_nc_u32_e32 v2, v2, v1
	s_delay_alu instid0(VALU_DEP_1) | instskip(SKIP_1) | instid1(VALU_DEP_2)
	v_lshlrev_b64 v[36:37], 1, v[2:3]
	v_xor_b32_e32 v2, v153, v149
	v_add_co_u32 v36, s16, s40, v36
	s_delay_alu instid0(VALU_DEP_1) | instskip(SKIP_3) | instid1(VALU_DEP_1)
	v_add_co_ci_u32_e64 v37, s16, s41, v37, s16
	global_store_b16 v[36:37], v2, off
	s_or_b32 exec_lo, exec_lo, s17
	v_cmp_lt_u32_e64 s16, v45, v145
	s_and_saveexec_b32 s18, s16
	s_cbranch_execnz .LBB1954_1077
.LBB1954_1062:                          ;   in Loop: Header=BB1954_982 Depth=2
	s_or_b32 exec_lo, exec_lo, s18
	v_cmp_lt_u32_e64 s17, v46, v145
	s_delay_alu instid0(VALU_DEP_1)
	s_and_saveexec_b32 s19, s17
	s_cbranch_execz .LBB1954_1078
.LBB1954_1063:                          ;   in Loop: Header=BB1954_982 Depth=2
	ds_load_u16 v149, v79 offset:1024
	s_waitcnt lgkmcnt(0)
	v_cmp_ne_u16_e64 s18, 0x8000, v149
	s_delay_alu instid0(VALU_DEP_1) | instskip(SKIP_1) | instid1(VALU_DEP_2)
	v_cndmask_b32_e64 v2, 0x7fff, v149, s18
	v_cmp_gt_i16_e64 s18, 0, v149
	v_and_b32_e32 v2, 0xffff, v2
	s_delay_alu instid0(VALU_DEP_2) | instskip(NEXT) | instid1(VALU_DEP_2)
	v_cndmask_b32_e64 v153, 0x7fff, 0, s18
	v_lshrrev_b32_e32 v2, s49, v2
	s_delay_alu instid0(VALU_DEP_1) | instskip(NEXT) | instid1(VALU_DEP_1)
	v_and_b32_e32 v2, s55, v2
	v_lshlrev_b32_e32 v2, 2, v2
	ds_load_b32 v2, v2
	s_waitcnt lgkmcnt(0)
	v_add_nc_u32_e32 v2, v2, v46
	s_delay_alu instid0(VALU_DEP_1) | instskip(SKIP_1) | instid1(VALU_DEP_2)
	v_lshlrev_b64 v[36:37], 1, v[2:3]
	v_xor_b32_e32 v2, v153, v149
	v_add_co_u32 v36, s18, s40, v36
	s_delay_alu instid0(VALU_DEP_1) | instskip(SKIP_3) | instid1(VALU_DEP_1)
	v_add_co_ci_u32_e64 v37, s18, s41, v37, s18
	global_store_b16 v[36:37], v2, off
	s_or_b32 exec_lo, exec_lo, s19
	v_cmp_lt_u32_e64 s18, v47, v145
	s_and_saveexec_b32 s20, s18
	s_cbranch_execnz .LBB1954_1079
.LBB1954_1064:                          ;   in Loop: Header=BB1954_982 Depth=2
	s_or_b32 exec_lo, exec_lo, s20
	v_cmp_lt_u32_e64 s19, v51, v145
	s_delay_alu instid0(VALU_DEP_1)
	s_and_saveexec_b32 s21, s19
	s_cbranch_execz .LBB1954_1080
.LBB1954_1065:                          ;   in Loop: Header=BB1954_982 Depth=2
	ds_load_u16 v149, v79 offset:2048
	s_waitcnt lgkmcnt(0)
	v_cmp_ne_u16_e64 s20, 0x8000, v149
	s_delay_alu instid0(VALU_DEP_1) | instskip(SKIP_1) | instid1(VALU_DEP_2)
	v_cndmask_b32_e64 v2, 0x7fff, v149, s20
	v_cmp_gt_i16_e64 s20, 0, v149
	v_and_b32_e32 v2, 0xffff, v2
	s_delay_alu instid0(VALU_DEP_2) | instskip(NEXT) | instid1(VALU_DEP_2)
	v_cndmask_b32_e64 v153, 0x7fff, 0, s20
	v_lshrrev_b32_e32 v2, s49, v2
	s_delay_alu instid0(VALU_DEP_1) | instskip(NEXT) | instid1(VALU_DEP_1)
	v_and_b32_e32 v2, s55, v2
	v_lshlrev_b32_e32 v2, 2, v2
	ds_load_b32 v2, v2
	s_waitcnt lgkmcnt(0)
	v_add_nc_u32_e32 v2, v2, v51
	s_delay_alu instid0(VALU_DEP_1) | instskip(SKIP_1) | instid1(VALU_DEP_2)
	v_lshlrev_b64 v[36:37], 1, v[2:3]
	v_xor_b32_e32 v2, v153, v149
	v_add_co_u32 v36, s20, s40, v36
	s_delay_alu instid0(VALU_DEP_1) | instskip(SKIP_3) | instid1(VALU_DEP_1)
	v_add_co_ci_u32_e64 v37, s20, s41, v37, s20
	global_store_b16 v[36:37], v2, off
	s_or_b32 exec_lo, exec_lo, s21
	v_cmp_lt_u32_e64 s20, v52, v145
	s_and_saveexec_b32 s22, s20
	s_cbranch_execnz .LBB1954_1081
.LBB1954_1066:                          ;   in Loop: Header=BB1954_982 Depth=2
	s_or_b32 exec_lo, exec_lo, s22
	v_cmp_lt_u32_e64 s21, v53, v145
	s_delay_alu instid0(VALU_DEP_1)
	s_and_saveexec_b32 s23, s21
	s_cbranch_execz .LBB1954_1082
.LBB1954_1067:                          ;   in Loop: Header=BB1954_982 Depth=2
	ds_load_u16 v149, v79 offset:3072
	s_waitcnt lgkmcnt(0)
	v_cmp_ne_u16_e64 s22, 0x8000, v149
	s_delay_alu instid0(VALU_DEP_1) | instskip(SKIP_1) | instid1(VALU_DEP_2)
	v_cndmask_b32_e64 v2, 0x7fff, v149, s22
	v_cmp_gt_i16_e64 s22, 0, v149
	v_and_b32_e32 v2, 0xffff, v2
	s_delay_alu instid0(VALU_DEP_2) | instskip(NEXT) | instid1(VALU_DEP_2)
	v_cndmask_b32_e64 v153, 0x7fff, 0, s22
	v_lshrrev_b32_e32 v2, s49, v2
	s_delay_alu instid0(VALU_DEP_1) | instskip(NEXT) | instid1(VALU_DEP_1)
	v_and_b32_e32 v2, s55, v2
	v_lshlrev_b32_e32 v2, 2, v2
	ds_load_b32 v2, v2
	s_waitcnt lgkmcnt(0)
	v_add_nc_u32_e32 v2, v2, v53
	s_delay_alu instid0(VALU_DEP_1) | instskip(SKIP_1) | instid1(VALU_DEP_2)
	v_lshlrev_b64 v[36:37], 1, v[2:3]
	v_xor_b32_e32 v2, v153, v149
	v_add_co_u32 v36, s22, s40, v36
	s_delay_alu instid0(VALU_DEP_1) | instskip(SKIP_3) | instid1(VALU_DEP_1)
	v_add_co_ci_u32_e64 v37, s22, s41, v37, s22
	global_store_b16 v[36:37], v2, off
	s_or_b32 exec_lo, exec_lo, s23
	v_cmp_lt_u32_e64 s22, v54, v145
	s_and_saveexec_b32 s24, s22
	s_cbranch_execnz .LBB1954_1083
.LBB1954_1068:                          ;   in Loop: Header=BB1954_982 Depth=2
	s_or_b32 exec_lo, exec_lo, s24
	v_cmp_lt_u32_e64 s23, v55, v145
	s_delay_alu instid0(VALU_DEP_1)
	s_and_saveexec_b32 s25, s23
	s_cbranch_execz .LBB1954_1084
.LBB1954_1069:                          ;   in Loop: Header=BB1954_982 Depth=2
	ds_load_u16 v149, v79 offset:4096
	s_waitcnt lgkmcnt(0)
	v_cmp_ne_u16_e64 s24, 0x8000, v149
	s_delay_alu instid0(VALU_DEP_1) | instskip(SKIP_1) | instid1(VALU_DEP_2)
	v_cndmask_b32_e64 v2, 0x7fff, v149, s24
	v_cmp_gt_i16_e64 s24, 0, v149
	v_and_b32_e32 v2, 0xffff, v2
	s_delay_alu instid0(VALU_DEP_2) | instskip(NEXT) | instid1(VALU_DEP_2)
	v_cndmask_b32_e64 v153, 0x7fff, 0, s24
	v_lshrrev_b32_e32 v2, s49, v2
	s_delay_alu instid0(VALU_DEP_1) | instskip(NEXT) | instid1(VALU_DEP_1)
	v_and_b32_e32 v2, s55, v2
	v_lshlrev_b32_e32 v2, 2, v2
	ds_load_b32 v2, v2
	s_waitcnt lgkmcnt(0)
	v_add_nc_u32_e32 v2, v2, v55
	s_delay_alu instid0(VALU_DEP_1) | instskip(SKIP_1) | instid1(VALU_DEP_2)
	v_lshlrev_b64 v[36:37], 1, v[2:3]
	v_xor_b32_e32 v2, v153, v149
	v_add_co_u32 v36, s24, s40, v36
	s_delay_alu instid0(VALU_DEP_1) | instskip(SKIP_3) | instid1(VALU_DEP_1)
	v_add_co_ci_u32_e64 v37, s24, s41, v37, s24
	global_store_b16 v[36:37], v2, off
	s_or_b32 exec_lo, exec_lo, s25
	v_cmp_lt_u32_e64 s24, v56, v145
	s_and_saveexec_b32 s27, s24
	s_cbranch_execnz .LBB1954_1085
.LBB1954_1070:                          ;   in Loop: Header=BB1954_982 Depth=2
	s_or_b32 exec_lo, exec_lo, s27
	v_cmp_lt_u32_e64 s25, v57, v145
	s_delay_alu instid0(VALU_DEP_1)
	s_and_saveexec_b32 s28, s25
	s_cbranch_execz .LBB1954_1086
.LBB1954_1071:                          ;   in Loop: Header=BB1954_982 Depth=2
	ds_load_u16 v149, v79 offset:5120
	s_waitcnt lgkmcnt(0)
	v_cmp_ne_u16_e64 s27, 0x8000, v149
	s_delay_alu instid0(VALU_DEP_1) | instskip(SKIP_1) | instid1(VALU_DEP_2)
	v_cndmask_b32_e64 v2, 0x7fff, v149, s27
	v_cmp_gt_i16_e64 s27, 0, v149
	v_and_b32_e32 v2, 0xffff, v2
	s_delay_alu instid0(VALU_DEP_2) | instskip(NEXT) | instid1(VALU_DEP_2)
	v_cndmask_b32_e64 v153, 0x7fff, 0, s27
	v_lshrrev_b32_e32 v2, s49, v2
	s_delay_alu instid0(VALU_DEP_1) | instskip(NEXT) | instid1(VALU_DEP_1)
	v_and_b32_e32 v2, s55, v2
	v_lshlrev_b32_e32 v2, 2, v2
	ds_load_b32 v2, v2
	s_waitcnt lgkmcnt(0)
	v_add_nc_u32_e32 v2, v2, v57
	s_delay_alu instid0(VALU_DEP_1) | instskip(SKIP_1) | instid1(VALU_DEP_2)
	v_lshlrev_b64 v[36:37], 1, v[2:3]
	v_xor_b32_e32 v2, v153, v149
	v_add_co_u32 v36, s27, s40, v36
	s_delay_alu instid0(VALU_DEP_1) | instskip(SKIP_3) | instid1(VALU_DEP_1)
	v_add_co_ci_u32_e64 v37, s27, s41, v37, s27
	global_store_b16 v[36:37], v2, off
	s_or_b32 exec_lo, exec_lo, s28
	v_cmp_lt_u32_e64 s27, v58, v145
	s_and_saveexec_b32 s29, s27
	s_cbranch_execnz .LBB1954_1087
.LBB1954_1072:                          ;   in Loop: Header=BB1954_982 Depth=2
	s_or_b32 exec_lo, exec_lo, s29
	v_cmp_lt_u32_e64 s28, v59, v145
	s_delay_alu instid0(VALU_DEP_1)
	s_and_saveexec_b32 s30, s28
	s_cbranch_execz .LBB1954_1088
.LBB1954_1073:                          ;   in Loop: Header=BB1954_982 Depth=2
	ds_load_u16 v149, v79 offset:6144
	s_waitcnt lgkmcnt(0)
	v_cmp_ne_u16_e64 s29, 0x8000, v149
	s_delay_alu instid0(VALU_DEP_1) | instskip(SKIP_1) | instid1(VALU_DEP_2)
	v_cndmask_b32_e64 v2, 0x7fff, v149, s29
	v_cmp_gt_i16_e64 s29, 0, v149
	v_and_b32_e32 v2, 0xffff, v2
	s_delay_alu instid0(VALU_DEP_2) | instskip(NEXT) | instid1(VALU_DEP_2)
	v_cndmask_b32_e64 v153, 0x7fff, 0, s29
	v_lshrrev_b32_e32 v2, s49, v2
	s_delay_alu instid0(VALU_DEP_1) | instskip(NEXT) | instid1(VALU_DEP_1)
	v_and_b32_e32 v2, s55, v2
	v_lshlrev_b32_e32 v2, 2, v2
	ds_load_b32 v2, v2
	s_waitcnt lgkmcnt(0)
	v_add_nc_u32_e32 v2, v2, v59
	s_delay_alu instid0(VALU_DEP_1) | instskip(SKIP_1) | instid1(VALU_DEP_2)
	v_lshlrev_b64 v[36:37], 1, v[2:3]
	v_xor_b32_e32 v2, v153, v149
	v_add_co_u32 v36, s29, s40, v36
	s_delay_alu instid0(VALU_DEP_1) | instskip(SKIP_3) | instid1(VALU_DEP_1)
	v_add_co_ci_u32_e64 v37, s29, s41, v37, s29
	global_store_b16 v[36:37], v2, off
	s_or_b32 exec_lo, exec_lo, s30
	v_cmp_lt_u32_e64 s29, v60, v145
	s_and_saveexec_b32 s31, s29
	s_cbranch_execnz .LBB1954_1089
.LBB1954_1074:                          ;   in Loop: Header=BB1954_982 Depth=2
	s_or_b32 exec_lo, exec_lo, s31
	v_cmp_lt_u32_e64 s30, v61, v145
	s_delay_alu instid0(VALU_DEP_1)
	s_and_saveexec_b32 s33, s30
	s_cbranch_execz .LBB1954_1090
.LBB1954_1075:                          ;   in Loop: Header=BB1954_982 Depth=2
	ds_load_u16 v149, v79 offset:7168
	s_waitcnt lgkmcnt(0)
	v_cmp_ne_u16_e64 s31, 0x8000, v149
	s_delay_alu instid0(VALU_DEP_1) | instskip(SKIP_1) | instid1(VALU_DEP_2)
	v_cndmask_b32_e64 v2, 0x7fff, v149, s31
	v_cmp_gt_i16_e64 s31, 0, v149
	v_and_b32_e32 v2, 0xffff, v2
	s_delay_alu instid0(VALU_DEP_2) | instskip(NEXT) | instid1(VALU_DEP_2)
	v_cndmask_b32_e64 v153, 0x7fff, 0, s31
	v_lshrrev_b32_e32 v2, s49, v2
	s_delay_alu instid0(VALU_DEP_1) | instskip(NEXT) | instid1(VALU_DEP_1)
	v_and_b32_e32 v2, s55, v2
	v_lshlrev_b32_e32 v2, 2, v2
	ds_load_b32 v2, v2
	s_waitcnt lgkmcnt(0)
	v_add_nc_u32_e32 v2, v2, v61
	s_delay_alu instid0(VALU_DEP_1) | instskip(SKIP_1) | instid1(VALU_DEP_2)
	v_lshlrev_b64 v[36:37], 1, v[2:3]
	v_xor_b32_e32 v2, v153, v149
	v_add_co_u32 v36, s31, s40, v36
	s_delay_alu instid0(VALU_DEP_1) | instskip(SKIP_3) | instid1(VALU_DEP_1)
	v_add_co_ci_u32_e64 v37, s31, s41, v37, s31
	global_store_b16 v[36:37], v2, off
	s_or_b32 exec_lo, exec_lo, s33
	v_cmp_lt_u32_e64 s31, v63, v145
	s_and_saveexec_b32 s58, s31
	s_cbranch_execnz .LBB1954_1091
	s_branch .LBB1954_1092
.LBB1954_1076:                          ;   in Loop: Header=BB1954_982 Depth=2
	s_or_b32 exec_lo, exec_lo, s17
	v_cmp_lt_u32_e64 s16, v45, v145
	s_delay_alu instid0(VALU_DEP_1)
	s_and_saveexec_b32 s18, s16
	s_cbranch_execz .LBB1954_1062
.LBB1954_1077:                          ;   in Loop: Header=BB1954_982 Depth=2
	ds_load_u16 v149, v79 offset:512
	s_waitcnt lgkmcnt(0)
	v_cmp_ne_u16_e64 s17, 0x8000, v149
	s_delay_alu instid0(VALU_DEP_1) | instskip(SKIP_1) | instid1(VALU_DEP_2)
	v_cndmask_b32_e64 v2, 0x7fff, v149, s17
	v_cmp_gt_i16_e64 s17, 0, v149
	v_and_b32_e32 v2, 0xffff, v2
	s_delay_alu instid0(VALU_DEP_2) | instskip(NEXT) | instid1(VALU_DEP_2)
	v_cndmask_b32_e64 v153, 0x7fff, 0, s17
	v_lshrrev_b32_e32 v2, s49, v2
	s_delay_alu instid0(VALU_DEP_1) | instskip(NEXT) | instid1(VALU_DEP_1)
	v_and_b32_e32 v2, s55, v2
	v_lshlrev_b32_e32 v2, 2, v2
	ds_load_b32 v2, v2
	s_waitcnt lgkmcnt(0)
	v_add_nc_u32_e32 v2, v2, v45
	s_delay_alu instid0(VALU_DEP_1) | instskip(SKIP_1) | instid1(VALU_DEP_2)
	v_lshlrev_b64 v[36:37], 1, v[2:3]
	v_xor_b32_e32 v2, v153, v149
	v_add_co_u32 v36, s17, s40, v36
	s_delay_alu instid0(VALU_DEP_1) | instskip(SKIP_3) | instid1(VALU_DEP_1)
	v_add_co_ci_u32_e64 v37, s17, s41, v37, s17
	global_store_b16 v[36:37], v2, off
	s_or_b32 exec_lo, exec_lo, s18
	v_cmp_lt_u32_e64 s17, v46, v145
	s_and_saveexec_b32 s19, s17
	s_cbranch_execnz .LBB1954_1063
.LBB1954_1078:                          ;   in Loop: Header=BB1954_982 Depth=2
	s_or_b32 exec_lo, exec_lo, s19
	v_cmp_lt_u32_e64 s18, v47, v145
	s_delay_alu instid0(VALU_DEP_1)
	s_and_saveexec_b32 s20, s18
	s_cbranch_execz .LBB1954_1064
.LBB1954_1079:                          ;   in Loop: Header=BB1954_982 Depth=2
	ds_load_u16 v149, v79 offset:1536
	s_waitcnt lgkmcnt(0)
	v_cmp_ne_u16_e64 s19, 0x8000, v149
	s_delay_alu instid0(VALU_DEP_1) | instskip(SKIP_1) | instid1(VALU_DEP_2)
	v_cndmask_b32_e64 v2, 0x7fff, v149, s19
	v_cmp_gt_i16_e64 s19, 0, v149
	v_and_b32_e32 v2, 0xffff, v2
	s_delay_alu instid0(VALU_DEP_2) | instskip(NEXT) | instid1(VALU_DEP_2)
	v_cndmask_b32_e64 v153, 0x7fff, 0, s19
	v_lshrrev_b32_e32 v2, s49, v2
	s_delay_alu instid0(VALU_DEP_1) | instskip(NEXT) | instid1(VALU_DEP_1)
	v_and_b32_e32 v2, s55, v2
	v_lshlrev_b32_e32 v2, 2, v2
	ds_load_b32 v2, v2
	s_waitcnt lgkmcnt(0)
	v_add_nc_u32_e32 v2, v2, v47
	s_delay_alu instid0(VALU_DEP_1) | instskip(SKIP_1) | instid1(VALU_DEP_2)
	v_lshlrev_b64 v[36:37], 1, v[2:3]
	v_xor_b32_e32 v2, v153, v149
	v_add_co_u32 v36, s19, s40, v36
	s_delay_alu instid0(VALU_DEP_1) | instskip(SKIP_3) | instid1(VALU_DEP_1)
	v_add_co_ci_u32_e64 v37, s19, s41, v37, s19
	global_store_b16 v[36:37], v2, off
	s_or_b32 exec_lo, exec_lo, s20
	v_cmp_lt_u32_e64 s19, v51, v145
	s_and_saveexec_b32 s21, s19
	s_cbranch_execnz .LBB1954_1065
.LBB1954_1080:                          ;   in Loop: Header=BB1954_982 Depth=2
	s_or_b32 exec_lo, exec_lo, s21
	v_cmp_lt_u32_e64 s20, v52, v145
	s_delay_alu instid0(VALU_DEP_1)
	s_and_saveexec_b32 s22, s20
	s_cbranch_execz .LBB1954_1066
.LBB1954_1081:                          ;   in Loop: Header=BB1954_982 Depth=2
	ds_load_u16 v149, v79 offset:2560
	s_waitcnt lgkmcnt(0)
	v_cmp_ne_u16_e64 s21, 0x8000, v149
	s_delay_alu instid0(VALU_DEP_1) | instskip(SKIP_1) | instid1(VALU_DEP_2)
	v_cndmask_b32_e64 v2, 0x7fff, v149, s21
	v_cmp_gt_i16_e64 s21, 0, v149
	v_and_b32_e32 v2, 0xffff, v2
	s_delay_alu instid0(VALU_DEP_2) | instskip(NEXT) | instid1(VALU_DEP_2)
	v_cndmask_b32_e64 v153, 0x7fff, 0, s21
	v_lshrrev_b32_e32 v2, s49, v2
	s_delay_alu instid0(VALU_DEP_1) | instskip(NEXT) | instid1(VALU_DEP_1)
	v_and_b32_e32 v2, s55, v2
	v_lshlrev_b32_e32 v2, 2, v2
	ds_load_b32 v2, v2
	s_waitcnt lgkmcnt(0)
	v_add_nc_u32_e32 v2, v2, v52
	s_delay_alu instid0(VALU_DEP_1) | instskip(SKIP_1) | instid1(VALU_DEP_2)
	v_lshlrev_b64 v[36:37], 1, v[2:3]
	v_xor_b32_e32 v2, v153, v149
	v_add_co_u32 v36, s21, s40, v36
	s_delay_alu instid0(VALU_DEP_1) | instskip(SKIP_3) | instid1(VALU_DEP_1)
	v_add_co_ci_u32_e64 v37, s21, s41, v37, s21
	global_store_b16 v[36:37], v2, off
	s_or_b32 exec_lo, exec_lo, s22
	v_cmp_lt_u32_e64 s21, v53, v145
	s_and_saveexec_b32 s23, s21
	s_cbranch_execnz .LBB1954_1067
.LBB1954_1082:                          ;   in Loop: Header=BB1954_982 Depth=2
	s_or_b32 exec_lo, exec_lo, s23
	v_cmp_lt_u32_e64 s22, v54, v145
	s_delay_alu instid0(VALU_DEP_1)
	s_and_saveexec_b32 s24, s22
	s_cbranch_execz .LBB1954_1068
.LBB1954_1083:                          ;   in Loop: Header=BB1954_982 Depth=2
	ds_load_u16 v149, v79 offset:3584
	s_waitcnt lgkmcnt(0)
	v_cmp_ne_u16_e64 s23, 0x8000, v149
	s_delay_alu instid0(VALU_DEP_1) | instskip(SKIP_1) | instid1(VALU_DEP_2)
	v_cndmask_b32_e64 v2, 0x7fff, v149, s23
	v_cmp_gt_i16_e64 s23, 0, v149
	v_and_b32_e32 v2, 0xffff, v2
	s_delay_alu instid0(VALU_DEP_2) | instskip(NEXT) | instid1(VALU_DEP_2)
	v_cndmask_b32_e64 v153, 0x7fff, 0, s23
	v_lshrrev_b32_e32 v2, s49, v2
	s_delay_alu instid0(VALU_DEP_1) | instskip(NEXT) | instid1(VALU_DEP_1)
	v_and_b32_e32 v2, s55, v2
	v_lshlrev_b32_e32 v2, 2, v2
	ds_load_b32 v2, v2
	s_waitcnt lgkmcnt(0)
	v_add_nc_u32_e32 v2, v2, v54
	s_delay_alu instid0(VALU_DEP_1) | instskip(SKIP_1) | instid1(VALU_DEP_2)
	v_lshlrev_b64 v[36:37], 1, v[2:3]
	v_xor_b32_e32 v2, v153, v149
	v_add_co_u32 v36, s23, s40, v36
	s_delay_alu instid0(VALU_DEP_1) | instskip(SKIP_3) | instid1(VALU_DEP_1)
	v_add_co_ci_u32_e64 v37, s23, s41, v37, s23
	global_store_b16 v[36:37], v2, off
	s_or_b32 exec_lo, exec_lo, s24
	v_cmp_lt_u32_e64 s23, v55, v145
	s_and_saveexec_b32 s25, s23
	s_cbranch_execnz .LBB1954_1069
.LBB1954_1084:                          ;   in Loop: Header=BB1954_982 Depth=2
	s_or_b32 exec_lo, exec_lo, s25
	v_cmp_lt_u32_e64 s24, v56, v145
	s_delay_alu instid0(VALU_DEP_1)
	s_and_saveexec_b32 s27, s24
	s_cbranch_execz .LBB1954_1070
.LBB1954_1085:                          ;   in Loop: Header=BB1954_982 Depth=2
	ds_load_u16 v149, v79 offset:4608
	s_waitcnt lgkmcnt(0)
	v_cmp_ne_u16_e64 s25, 0x8000, v149
	s_delay_alu instid0(VALU_DEP_1) | instskip(SKIP_1) | instid1(VALU_DEP_2)
	v_cndmask_b32_e64 v2, 0x7fff, v149, s25
	v_cmp_gt_i16_e64 s25, 0, v149
	v_and_b32_e32 v2, 0xffff, v2
	s_delay_alu instid0(VALU_DEP_2) | instskip(NEXT) | instid1(VALU_DEP_2)
	v_cndmask_b32_e64 v153, 0x7fff, 0, s25
	v_lshrrev_b32_e32 v2, s49, v2
	s_delay_alu instid0(VALU_DEP_1) | instskip(NEXT) | instid1(VALU_DEP_1)
	v_and_b32_e32 v2, s55, v2
	v_lshlrev_b32_e32 v2, 2, v2
	ds_load_b32 v2, v2
	s_waitcnt lgkmcnt(0)
	v_add_nc_u32_e32 v2, v2, v56
	s_delay_alu instid0(VALU_DEP_1) | instskip(SKIP_1) | instid1(VALU_DEP_2)
	v_lshlrev_b64 v[36:37], 1, v[2:3]
	v_xor_b32_e32 v2, v153, v149
	v_add_co_u32 v36, s25, s40, v36
	s_delay_alu instid0(VALU_DEP_1) | instskip(SKIP_3) | instid1(VALU_DEP_1)
	v_add_co_ci_u32_e64 v37, s25, s41, v37, s25
	global_store_b16 v[36:37], v2, off
	s_or_b32 exec_lo, exec_lo, s27
	v_cmp_lt_u32_e64 s25, v57, v145
	s_and_saveexec_b32 s28, s25
	s_cbranch_execnz .LBB1954_1071
.LBB1954_1086:                          ;   in Loop: Header=BB1954_982 Depth=2
	s_or_b32 exec_lo, exec_lo, s28
	v_cmp_lt_u32_e64 s27, v58, v145
	s_delay_alu instid0(VALU_DEP_1)
	s_and_saveexec_b32 s29, s27
	s_cbranch_execz .LBB1954_1072
.LBB1954_1087:                          ;   in Loop: Header=BB1954_982 Depth=2
	ds_load_u16 v149, v79 offset:5632
	s_waitcnt lgkmcnt(0)
	v_cmp_ne_u16_e64 s28, 0x8000, v149
	s_delay_alu instid0(VALU_DEP_1) | instskip(SKIP_1) | instid1(VALU_DEP_2)
	v_cndmask_b32_e64 v2, 0x7fff, v149, s28
	v_cmp_gt_i16_e64 s28, 0, v149
	v_and_b32_e32 v2, 0xffff, v2
	s_delay_alu instid0(VALU_DEP_2) | instskip(NEXT) | instid1(VALU_DEP_2)
	v_cndmask_b32_e64 v153, 0x7fff, 0, s28
	v_lshrrev_b32_e32 v2, s49, v2
	s_delay_alu instid0(VALU_DEP_1) | instskip(NEXT) | instid1(VALU_DEP_1)
	v_and_b32_e32 v2, s55, v2
	v_lshlrev_b32_e32 v2, 2, v2
	ds_load_b32 v2, v2
	s_waitcnt lgkmcnt(0)
	v_add_nc_u32_e32 v2, v2, v58
	s_delay_alu instid0(VALU_DEP_1) | instskip(SKIP_1) | instid1(VALU_DEP_2)
	v_lshlrev_b64 v[36:37], 1, v[2:3]
	v_xor_b32_e32 v2, v153, v149
	v_add_co_u32 v36, s28, s40, v36
	s_delay_alu instid0(VALU_DEP_1) | instskip(SKIP_3) | instid1(VALU_DEP_1)
	v_add_co_ci_u32_e64 v37, s28, s41, v37, s28
	global_store_b16 v[36:37], v2, off
	s_or_b32 exec_lo, exec_lo, s29
	v_cmp_lt_u32_e64 s28, v59, v145
	s_and_saveexec_b32 s30, s28
	s_cbranch_execnz .LBB1954_1073
.LBB1954_1088:                          ;   in Loop: Header=BB1954_982 Depth=2
	s_or_b32 exec_lo, exec_lo, s30
	v_cmp_lt_u32_e64 s29, v60, v145
	s_delay_alu instid0(VALU_DEP_1)
	s_and_saveexec_b32 s31, s29
	s_cbranch_execz .LBB1954_1074
.LBB1954_1089:                          ;   in Loop: Header=BB1954_982 Depth=2
	ds_load_u16 v149, v79 offset:6656
	s_waitcnt lgkmcnt(0)
	v_cmp_ne_u16_e64 s30, 0x8000, v149
	s_delay_alu instid0(VALU_DEP_1) | instskip(SKIP_1) | instid1(VALU_DEP_2)
	v_cndmask_b32_e64 v2, 0x7fff, v149, s30
	v_cmp_gt_i16_e64 s30, 0, v149
	v_and_b32_e32 v2, 0xffff, v2
	s_delay_alu instid0(VALU_DEP_2) | instskip(NEXT) | instid1(VALU_DEP_2)
	v_cndmask_b32_e64 v153, 0x7fff, 0, s30
	v_lshrrev_b32_e32 v2, s49, v2
	s_delay_alu instid0(VALU_DEP_1) | instskip(NEXT) | instid1(VALU_DEP_1)
	v_and_b32_e32 v2, s55, v2
	v_lshlrev_b32_e32 v2, 2, v2
	ds_load_b32 v2, v2
	s_waitcnt lgkmcnt(0)
	v_add_nc_u32_e32 v2, v2, v60
	s_delay_alu instid0(VALU_DEP_1) | instskip(SKIP_1) | instid1(VALU_DEP_2)
	v_lshlrev_b64 v[36:37], 1, v[2:3]
	v_xor_b32_e32 v2, v153, v149
	v_add_co_u32 v36, s30, s40, v36
	s_delay_alu instid0(VALU_DEP_1) | instskip(SKIP_3) | instid1(VALU_DEP_1)
	v_add_co_ci_u32_e64 v37, s30, s41, v37, s30
	global_store_b16 v[36:37], v2, off
	s_or_b32 exec_lo, exec_lo, s31
	v_cmp_lt_u32_e64 s30, v61, v145
	s_and_saveexec_b32 s33, s30
	s_cbranch_execnz .LBB1954_1075
.LBB1954_1090:                          ;   in Loop: Header=BB1954_982 Depth=2
	s_or_b32 exec_lo, exec_lo, s33
	v_cmp_lt_u32_e64 s31, v63, v145
	s_delay_alu instid0(VALU_DEP_1)
	s_and_saveexec_b32 s58, s31
	s_cbranch_execz .LBB1954_1092
.LBB1954_1091:                          ;   in Loop: Header=BB1954_982 Depth=2
	ds_load_u16 v149, v79 offset:7680
	s_waitcnt lgkmcnt(0)
	v_cmp_ne_u16_e64 s33, 0x8000, v149
	s_delay_alu instid0(VALU_DEP_1) | instskip(SKIP_1) | instid1(VALU_DEP_2)
	v_cndmask_b32_e64 v2, 0x7fff, v149, s33
	v_cmp_gt_i16_e64 s33, 0, v149
	v_and_b32_e32 v2, 0xffff, v2
	s_delay_alu instid0(VALU_DEP_2) | instskip(NEXT) | instid1(VALU_DEP_2)
	v_cndmask_b32_e64 v153, 0x7fff, 0, s33
	v_lshrrev_b32_e32 v2, s49, v2
	s_delay_alu instid0(VALU_DEP_1) | instskip(NEXT) | instid1(VALU_DEP_1)
	v_and_b32_e32 v2, s55, v2
	v_lshlrev_b32_e32 v2, 2, v2
	ds_load_b32 v2, v2
	s_waitcnt lgkmcnt(0)
	v_add_nc_u32_e32 v2, v2, v63
	s_delay_alu instid0(VALU_DEP_1) | instskip(SKIP_1) | instid1(VALU_DEP_2)
	v_lshlrev_b64 v[36:37], 1, v[2:3]
	v_xor_b32_e32 v2, v153, v149
	v_add_co_u32 v36, s33, s40, v36
	s_delay_alu instid0(VALU_DEP_1)
	v_add_co_ci_u32_e64 v37, s33, s41, v37, s33
	global_store_b16 v[36:37], v2, off
.LBB1954_1092:                          ;   in Loop: Header=BB1954_982 Depth=2
	s_or_b32 exec_lo, exec_lo, s58
	s_lshl_b64 s[58:59], s[34:35], 3
	s_delay_alu instid0(SALU_CYCLE_1) | instskip(NEXT) | instid1(VALU_DEP_1)
	v_add_co_u32 v36, s33, v107, s58
	v_add_co_ci_u32_e64 v37, s33, s59, v108, s33
	v_cmp_lt_u32_e64 s33, v106, v145
	s_delay_alu instid0(VALU_DEP_1) | instskip(NEXT) | instid1(SALU_CYCLE_1)
	s_and_saveexec_b32 s34, s33
	s_xor_b32 s33, exec_lo, s34
	s_cbranch_execz .LBB1954_1124
; %bb.1093:                             ;   in Loop: Header=BB1954_982 Depth=2
	global_load_b64 v[34:35], v[36:37], off
	s_or_b32 exec_lo, exec_lo, s33
	s_delay_alu instid0(SALU_CYCLE_1)
	s_mov_b32 s34, exec_lo
	v_cmpx_lt_u32_e64 v109, v145
	s_cbranch_execnz .LBB1954_1125
.LBB1954_1094:                          ;   in Loop: Header=BB1954_982 Depth=2
	s_or_b32 exec_lo, exec_lo, s34
	s_delay_alu instid0(SALU_CYCLE_1)
	s_mov_b32 s34, exec_lo
	v_cmpx_lt_u32_e64 v110, v145
	s_cbranch_execz .LBB1954_1126
.LBB1954_1095:                          ;   in Loop: Header=BB1954_982 Depth=2
	global_load_b64 v[30:31], v[36:37], off offset:512
	s_or_b32 exec_lo, exec_lo, s34
	s_delay_alu instid0(SALU_CYCLE_1)
	s_mov_b32 s34, exec_lo
	v_cmpx_lt_u32_e64 v111, v145
	s_cbranch_execnz .LBB1954_1127
.LBB1954_1096:                          ;   in Loop: Header=BB1954_982 Depth=2
	s_or_b32 exec_lo, exec_lo, s34
	s_delay_alu instid0(SALU_CYCLE_1)
	s_mov_b32 s34, exec_lo
	v_cmpx_lt_u32_e64 v112, v145
	s_cbranch_execz .LBB1954_1128
.LBB1954_1097:                          ;   in Loop: Header=BB1954_982 Depth=2
	global_load_b64 v[26:27], v[36:37], off offset:1024
	s_or_b32 exec_lo, exec_lo, s34
	s_delay_alu instid0(SALU_CYCLE_1)
	s_mov_b32 s34, exec_lo
	v_cmpx_lt_u32_e64 v113, v145
	s_cbranch_execnz .LBB1954_1129
.LBB1954_1098:                          ;   in Loop: Header=BB1954_982 Depth=2
	s_or_b32 exec_lo, exec_lo, s34
	s_delay_alu instid0(SALU_CYCLE_1)
	s_mov_b32 s34, exec_lo
	v_cmpx_lt_u32_e64 v114, v145
	s_cbranch_execz .LBB1954_1130
.LBB1954_1099:                          ;   in Loop: Header=BB1954_982 Depth=2
	global_load_b64 v[22:23], v[36:37], off offset:1536
	s_or_b32 exec_lo, exec_lo, s34
	s_delay_alu instid0(SALU_CYCLE_1)
	s_mov_b32 s34, exec_lo
	v_cmpx_lt_u32_e64 v115, v145
	s_cbranch_execnz .LBB1954_1131
.LBB1954_1100:                          ;   in Loop: Header=BB1954_982 Depth=2
	s_or_b32 exec_lo, exec_lo, s34
	s_delay_alu instid0(SALU_CYCLE_1)
	s_mov_b32 s34, exec_lo
	v_cmpx_lt_u32_e64 v116, v145
	s_cbranch_execz .LBB1954_1132
.LBB1954_1101:                          ;   in Loop: Header=BB1954_982 Depth=2
	global_load_b64 v[18:19], v[36:37], off offset:2048
	s_or_b32 exec_lo, exec_lo, s34
	s_delay_alu instid0(SALU_CYCLE_1)
	s_mov_b32 s34, exec_lo
	v_cmpx_lt_u32_e64 v117, v145
	s_cbranch_execnz .LBB1954_1133
.LBB1954_1102:                          ;   in Loop: Header=BB1954_982 Depth=2
	s_or_b32 exec_lo, exec_lo, s34
	s_delay_alu instid0(SALU_CYCLE_1)
	s_mov_b32 s34, exec_lo
	v_cmpx_lt_u32_e64 v118, v145
	s_cbranch_execz .LBB1954_1134
.LBB1954_1103:                          ;   in Loop: Header=BB1954_982 Depth=2
	global_load_b64 v[14:15], v[36:37], off offset:2560
	s_or_b32 exec_lo, exec_lo, s34
	s_delay_alu instid0(SALU_CYCLE_1)
	s_mov_b32 s34, exec_lo
	v_cmpx_lt_u32_e64 v119, v145
	s_cbranch_execnz .LBB1954_1135
.LBB1954_1104:                          ;   in Loop: Header=BB1954_982 Depth=2
	s_or_b32 exec_lo, exec_lo, s34
	s_delay_alu instid0(SALU_CYCLE_1)
	s_mov_b32 s34, exec_lo
	v_cmpx_lt_u32_e64 v120, v145
	s_cbranch_execz .LBB1954_1136
.LBB1954_1105:                          ;   in Loop: Header=BB1954_982 Depth=2
	global_load_b64 v[10:11], v[36:37], off offset:3072
	s_or_b32 exec_lo, exec_lo, s34
	s_delay_alu instid0(SALU_CYCLE_1)
	s_mov_b32 s34, exec_lo
	v_cmpx_lt_u32_e64 v121, v145
	s_cbranch_execnz .LBB1954_1137
.LBB1954_1106:                          ;   in Loop: Header=BB1954_982 Depth=2
	s_or_b32 exec_lo, exec_lo, s34
	s_delay_alu instid0(SALU_CYCLE_1)
	s_mov_b32 s34, exec_lo
	v_cmpx_lt_u32_e64 v122, v145
	s_cbranch_execz .LBB1954_1138
.LBB1954_1107:                          ;   in Loop: Header=BB1954_982 Depth=2
	global_load_b64 v[6:7], v[36:37], off offset:3584
	s_or_b32 exec_lo, exec_lo, s34
	s_delay_alu instid0(SALU_CYCLE_1)
	s_mov_b32 s34, exec_lo
	v_cmpx_lt_u32_e64 v123, v145
	s_cbranch_execnz .LBB1954_1139
.LBB1954_1108:                          ;   in Loop: Header=BB1954_982 Depth=2
	s_or_b32 exec_lo, exec_lo, s34
	s_and_saveexec_b32 s34, vcc_lo
	s_cbranch_execz .LBB1954_1140
.LBB1954_1109:                          ;   in Loop: Header=BB1954_982 Depth=2
	ds_load_u16 v2, v147 offset:1024
	s_waitcnt lgkmcnt(0)
	v_cmp_ne_u16_e64 s33, 0x8000, v2
	s_delay_alu instid0(VALU_DEP_1) | instskip(NEXT) | instid1(VALU_DEP_1)
	v_cndmask_b32_e64 v2, 0x7fff, v2, s33
	v_and_b32_e32 v2, 0xffff, v2
	s_delay_alu instid0(VALU_DEP_1) | instskip(NEXT) | instid1(VALU_DEP_1)
	v_lshrrev_b32_e32 v2, s49, v2
	v_and_b32_e32 v144, s55, v2
	s_or_b32 exec_lo, exec_lo, s34
	s_and_saveexec_b32 s34, s16
	s_cbranch_execnz .LBB1954_1141
.LBB1954_1110:                          ;   in Loop: Header=BB1954_982 Depth=2
	s_or_b32 exec_lo, exec_lo, s34
	s_and_saveexec_b32 s34, s17
	s_cbranch_execz .LBB1954_1142
.LBB1954_1111:                          ;   in Loop: Header=BB1954_982 Depth=2
	ds_load_u16 v2, v79 offset:1024
	s_waitcnt lgkmcnt(0)
	v_cmp_ne_u16_e64 s33, 0x8000, v2
	s_delay_alu instid0(VALU_DEP_1) | instskip(NEXT) | instid1(VALU_DEP_1)
	v_cndmask_b32_e64 v2, 0x7fff, v2, s33
	v_and_b32_e32 v2, 0xffff, v2
	s_delay_alu instid0(VALU_DEP_1) | instskip(NEXT) | instid1(VALU_DEP_1)
	v_lshrrev_b32_e32 v2, s49, v2
	v_and_b32_e32 v142, s55, v2
	s_or_b32 exec_lo, exec_lo, s34
	s_and_saveexec_b32 s34, s18
	s_cbranch_execnz .LBB1954_1143
.LBB1954_1112:                          ;   in Loop: Header=BB1954_982 Depth=2
	s_or_b32 exec_lo, exec_lo, s34
	s_and_saveexec_b32 s34, s19
	s_cbranch_execz .LBB1954_1144
.LBB1954_1113:                          ;   in Loop: Header=BB1954_982 Depth=2
	ds_load_u16 v2, v79 offset:2048
	s_waitcnt lgkmcnt(0)
	v_cmp_ne_u16_e64 s33, 0x8000, v2
	s_delay_alu instid0(VALU_DEP_1) | instskip(NEXT) | instid1(VALU_DEP_1)
	v_cndmask_b32_e64 v2, 0x7fff, v2, s33
	v_and_b32_e32 v2, 0xffff, v2
	s_delay_alu instid0(VALU_DEP_1) | instskip(NEXT) | instid1(VALU_DEP_1)
	v_lshrrev_b32_e32 v2, s49, v2
	v_and_b32_e32 v140, s55, v2
	s_or_b32 exec_lo, exec_lo, s34
	s_and_saveexec_b32 s34, s20
	s_cbranch_execnz .LBB1954_1145
.LBB1954_1114:                          ;   in Loop: Header=BB1954_982 Depth=2
	s_or_b32 exec_lo, exec_lo, s34
	s_and_saveexec_b32 s34, s21
	s_cbranch_execz .LBB1954_1146
.LBB1954_1115:                          ;   in Loop: Header=BB1954_982 Depth=2
	ds_load_u16 v2, v79 offset:3072
	s_waitcnt lgkmcnt(0)
	v_cmp_ne_u16_e64 s33, 0x8000, v2
	s_delay_alu instid0(VALU_DEP_1) | instskip(NEXT) | instid1(VALU_DEP_1)
	v_cndmask_b32_e64 v2, 0x7fff, v2, s33
	v_and_b32_e32 v2, 0xffff, v2
	s_delay_alu instid0(VALU_DEP_1) | instskip(NEXT) | instid1(VALU_DEP_1)
	v_lshrrev_b32_e32 v2, s49, v2
	v_and_b32_e32 v138, s55, v2
	s_or_b32 exec_lo, exec_lo, s34
	s_and_saveexec_b32 s34, s22
	s_cbranch_execnz .LBB1954_1147
.LBB1954_1116:                          ;   in Loop: Header=BB1954_982 Depth=2
	s_or_b32 exec_lo, exec_lo, s34
	s_and_saveexec_b32 s34, s23
	s_cbranch_execz .LBB1954_1148
.LBB1954_1117:                          ;   in Loop: Header=BB1954_982 Depth=2
	ds_load_u16 v2, v79 offset:4096
	s_waitcnt lgkmcnt(0)
	v_cmp_ne_u16_e64 s33, 0x8000, v2
	s_delay_alu instid0(VALU_DEP_1) | instskip(NEXT) | instid1(VALU_DEP_1)
	v_cndmask_b32_e64 v2, 0x7fff, v2, s33
	v_and_b32_e32 v2, 0xffff, v2
	s_delay_alu instid0(VALU_DEP_1) | instskip(NEXT) | instid1(VALU_DEP_1)
	v_lshrrev_b32_e32 v2, s49, v2
	v_and_b32_e32 v136, s55, v2
	s_or_b32 exec_lo, exec_lo, s34
	s_and_saveexec_b32 s34, s24
	s_cbranch_execnz .LBB1954_1149
.LBB1954_1118:                          ;   in Loop: Header=BB1954_982 Depth=2
	s_or_b32 exec_lo, exec_lo, s34
	s_and_saveexec_b32 s34, s25
	s_cbranch_execz .LBB1954_1150
.LBB1954_1119:                          ;   in Loop: Header=BB1954_982 Depth=2
	ds_load_u16 v2, v79 offset:5120
	s_waitcnt lgkmcnt(0)
	v_cmp_ne_u16_e64 s33, 0x8000, v2
	s_delay_alu instid0(VALU_DEP_1) | instskip(NEXT) | instid1(VALU_DEP_1)
	v_cndmask_b32_e64 v2, 0x7fff, v2, s33
	v_and_b32_e32 v2, 0xffff, v2
	s_delay_alu instid0(VALU_DEP_1) | instskip(NEXT) | instid1(VALU_DEP_1)
	v_lshrrev_b32_e32 v2, s49, v2
	v_and_b32_e32 v134, s55, v2
	s_or_b32 exec_lo, exec_lo, s34
	s_and_saveexec_b32 s34, s27
	s_cbranch_execnz .LBB1954_1151
.LBB1954_1120:                          ;   in Loop: Header=BB1954_982 Depth=2
	s_or_b32 exec_lo, exec_lo, s34
	s_and_saveexec_b32 s34, s28
	s_cbranch_execz .LBB1954_1152
.LBB1954_1121:                          ;   in Loop: Header=BB1954_982 Depth=2
	ds_load_u16 v2, v79 offset:6144
	s_waitcnt lgkmcnt(0)
	v_cmp_ne_u16_e64 s33, 0x8000, v2
	s_delay_alu instid0(VALU_DEP_1) | instskip(NEXT) | instid1(VALU_DEP_1)
	v_cndmask_b32_e64 v2, 0x7fff, v2, s33
	v_and_b32_e32 v2, 0xffff, v2
	s_delay_alu instid0(VALU_DEP_1) | instskip(NEXT) | instid1(VALU_DEP_1)
	v_lshrrev_b32_e32 v2, s49, v2
	v_and_b32_e32 v132, s55, v2
	s_or_b32 exec_lo, exec_lo, s34
	s_and_saveexec_b32 s34, s29
	s_cbranch_execnz .LBB1954_1153
.LBB1954_1122:                          ;   in Loop: Header=BB1954_982 Depth=2
	s_or_b32 exec_lo, exec_lo, s34
	s_and_saveexec_b32 s34, s30
	s_cbranch_execz .LBB1954_1154
.LBB1954_1123:                          ;   in Loop: Header=BB1954_982 Depth=2
	ds_load_u16 v2, v79 offset:7168
	s_waitcnt lgkmcnt(0)
	v_cmp_ne_u16_e64 s33, 0x8000, v2
	s_delay_alu instid0(VALU_DEP_1) | instskip(NEXT) | instid1(VALU_DEP_1)
	v_cndmask_b32_e64 v2, 0x7fff, v2, s33
	v_and_b32_e32 v2, 0xffff, v2
	s_delay_alu instid0(VALU_DEP_1) | instskip(NEXT) | instid1(VALU_DEP_1)
	v_lshrrev_b32_e32 v2, s49, v2
	v_and_b32_e32 v130, s55, v2
	s_or_b32 exec_lo, exec_lo, s34
	s_and_saveexec_b32 s34, s31
	s_cbranch_execnz .LBB1954_1155
	s_branch .LBB1954_1156
.LBB1954_1124:                          ;   in Loop: Header=BB1954_982 Depth=2
	s_or_b32 exec_lo, exec_lo, s33
	s_delay_alu instid0(SALU_CYCLE_1)
	s_mov_b32 s34, exec_lo
	v_cmpx_lt_u32_e64 v109, v145
	s_cbranch_execz .LBB1954_1094
.LBB1954_1125:                          ;   in Loop: Header=BB1954_982 Depth=2
	global_load_b64 v[32:33], v[36:37], off offset:256
	s_or_b32 exec_lo, exec_lo, s34
	s_delay_alu instid0(SALU_CYCLE_1)
	s_mov_b32 s34, exec_lo
	v_cmpx_lt_u32_e64 v110, v145
	s_cbranch_execnz .LBB1954_1095
.LBB1954_1126:                          ;   in Loop: Header=BB1954_982 Depth=2
	s_or_b32 exec_lo, exec_lo, s34
	s_delay_alu instid0(SALU_CYCLE_1)
	s_mov_b32 s34, exec_lo
	v_cmpx_lt_u32_e64 v111, v145
	s_cbranch_execz .LBB1954_1096
.LBB1954_1127:                          ;   in Loop: Header=BB1954_982 Depth=2
	global_load_b64 v[28:29], v[36:37], off offset:768
	s_or_b32 exec_lo, exec_lo, s34
	s_delay_alu instid0(SALU_CYCLE_1)
	s_mov_b32 s34, exec_lo
	v_cmpx_lt_u32_e64 v112, v145
	s_cbranch_execnz .LBB1954_1097
.LBB1954_1128:                          ;   in Loop: Header=BB1954_982 Depth=2
	s_or_b32 exec_lo, exec_lo, s34
	s_delay_alu instid0(SALU_CYCLE_1)
	s_mov_b32 s34, exec_lo
	v_cmpx_lt_u32_e64 v113, v145
	s_cbranch_execz .LBB1954_1098
.LBB1954_1129:                          ;   in Loop: Header=BB1954_982 Depth=2
	global_load_b64 v[24:25], v[36:37], off offset:1280
	s_or_b32 exec_lo, exec_lo, s34
	s_delay_alu instid0(SALU_CYCLE_1)
	s_mov_b32 s34, exec_lo
	v_cmpx_lt_u32_e64 v114, v145
	s_cbranch_execnz .LBB1954_1099
.LBB1954_1130:                          ;   in Loop: Header=BB1954_982 Depth=2
	s_or_b32 exec_lo, exec_lo, s34
	s_delay_alu instid0(SALU_CYCLE_1)
	s_mov_b32 s34, exec_lo
	v_cmpx_lt_u32_e64 v115, v145
	s_cbranch_execz .LBB1954_1100
.LBB1954_1131:                          ;   in Loop: Header=BB1954_982 Depth=2
	global_load_b64 v[20:21], v[36:37], off offset:1792
	s_or_b32 exec_lo, exec_lo, s34
	s_delay_alu instid0(SALU_CYCLE_1)
	s_mov_b32 s34, exec_lo
	v_cmpx_lt_u32_e64 v116, v145
	s_cbranch_execnz .LBB1954_1101
.LBB1954_1132:                          ;   in Loop: Header=BB1954_982 Depth=2
	s_or_b32 exec_lo, exec_lo, s34
	s_delay_alu instid0(SALU_CYCLE_1)
	s_mov_b32 s34, exec_lo
	v_cmpx_lt_u32_e64 v117, v145
	s_cbranch_execz .LBB1954_1102
.LBB1954_1133:                          ;   in Loop: Header=BB1954_982 Depth=2
	global_load_b64 v[16:17], v[36:37], off offset:2304
	s_or_b32 exec_lo, exec_lo, s34
	s_delay_alu instid0(SALU_CYCLE_1)
	s_mov_b32 s34, exec_lo
	v_cmpx_lt_u32_e64 v118, v145
	s_cbranch_execnz .LBB1954_1103
.LBB1954_1134:                          ;   in Loop: Header=BB1954_982 Depth=2
	s_or_b32 exec_lo, exec_lo, s34
	s_delay_alu instid0(SALU_CYCLE_1)
	s_mov_b32 s34, exec_lo
	v_cmpx_lt_u32_e64 v119, v145
	s_cbranch_execz .LBB1954_1104
.LBB1954_1135:                          ;   in Loop: Header=BB1954_982 Depth=2
	global_load_b64 v[12:13], v[36:37], off offset:2816
	s_or_b32 exec_lo, exec_lo, s34
	s_delay_alu instid0(SALU_CYCLE_1)
	s_mov_b32 s34, exec_lo
	v_cmpx_lt_u32_e64 v120, v145
	s_cbranch_execnz .LBB1954_1105
.LBB1954_1136:                          ;   in Loop: Header=BB1954_982 Depth=2
	s_or_b32 exec_lo, exec_lo, s34
	s_delay_alu instid0(SALU_CYCLE_1)
	s_mov_b32 s34, exec_lo
	v_cmpx_lt_u32_e64 v121, v145
	s_cbranch_execz .LBB1954_1106
.LBB1954_1137:                          ;   in Loop: Header=BB1954_982 Depth=2
	global_load_b64 v[8:9], v[36:37], off offset:3328
	s_or_b32 exec_lo, exec_lo, s34
	s_delay_alu instid0(SALU_CYCLE_1)
	s_mov_b32 s34, exec_lo
	v_cmpx_lt_u32_e64 v122, v145
	s_cbranch_execnz .LBB1954_1107
.LBB1954_1138:                          ;   in Loop: Header=BB1954_982 Depth=2
	s_or_b32 exec_lo, exec_lo, s34
	s_delay_alu instid0(SALU_CYCLE_1)
	s_mov_b32 s34, exec_lo
	v_cmpx_lt_u32_e64 v123, v145
	s_cbranch_execz .LBB1954_1108
.LBB1954_1139:                          ;   in Loop: Header=BB1954_982 Depth=2
	global_load_b64 v[4:5], v[36:37], off offset:3840
	s_or_b32 exec_lo, exec_lo, s34
	s_and_saveexec_b32 s34, vcc_lo
	s_cbranch_execnz .LBB1954_1109
.LBB1954_1140:                          ;   in Loop: Header=BB1954_982 Depth=2
	s_or_b32 exec_lo, exec_lo, s34
	s_and_saveexec_b32 s34, s16
	s_cbranch_execz .LBB1954_1110
.LBB1954_1141:                          ;   in Loop: Header=BB1954_982 Depth=2
	ds_load_u16 v2, v79 offset:512
	s_waitcnt lgkmcnt(0)
	v_cmp_ne_u16_e64 s33, 0x8000, v2
	s_delay_alu instid0(VALU_DEP_1) | instskip(NEXT) | instid1(VALU_DEP_1)
	v_cndmask_b32_e64 v2, 0x7fff, v2, s33
	v_and_b32_e32 v2, 0xffff, v2
	s_delay_alu instid0(VALU_DEP_1) | instskip(NEXT) | instid1(VALU_DEP_1)
	v_lshrrev_b32_e32 v2, s49, v2
	v_and_b32_e32 v143, s55, v2
	s_or_b32 exec_lo, exec_lo, s34
	s_and_saveexec_b32 s34, s17
	s_cbranch_execnz .LBB1954_1111
.LBB1954_1142:                          ;   in Loop: Header=BB1954_982 Depth=2
	s_or_b32 exec_lo, exec_lo, s34
	s_and_saveexec_b32 s34, s18
	s_cbranch_execz .LBB1954_1112
.LBB1954_1143:                          ;   in Loop: Header=BB1954_982 Depth=2
	ds_load_u16 v2, v79 offset:1536
	s_waitcnt lgkmcnt(0)
	v_cmp_ne_u16_e64 s33, 0x8000, v2
	s_delay_alu instid0(VALU_DEP_1) | instskip(NEXT) | instid1(VALU_DEP_1)
	v_cndmask_b32_e64 v2, 0x7fff, v2, s33
	v_and_b32_e32 v2, 0xffff, v2
	s_delay_alu instid0(VALU_DEP_1) | instskip(NEXT) | instid1(VALU_DEP_1)
	v_lshrrev_b32_e32 v2, s49, v2
	v_and_b32_e32 v141, s55, v2
	s_or_b32 exec_lo, exec_lo, s34
	s_and_saveexec_b32 s34, s19
	s_cbranch_execnz .LBB1954_1113
.LBB1954_1144:                          ;   in Loop: Header=BB1954_982 Depth=2
	s_or_b32 exec_lo, exec_lo, s34
	s_and_saveexec_b32 s34, s20
	s_cbranch_execz .LBB1954_1114
.LBB1954_1145:                          ;   in Loop: Header=BB1954_982 Depth=2
	ds_load_u16 v2, v79 offset:2560
	s_waitcnt lgkmcnt(0)
	v_cmp_ne_u16_e64 s33, 0x8000, v2
	s_delay_alu instid0(VALU_DEP_1) | instskip(NEXT) | instid1(VALU_DEP_1)
	v_cndmask_b32_e64 v2, 0x7fff, v2, s33
	v_and_b32_e32 v2, 0xffff, v2
	s_delay_alu instid0(VALU_DEP_1) | instskip(NEXT) | instid1(VALU_DEP_1)
	v_lshrrev_b32_e32 v2, s49, v2
	v_and_b32_e32 v139, s55, v2
	s_or_b32 exec_lo, exec_lo, s34
	s_and_saveexec_b32 s34, s21
	s_cbranch_execnz .LBB1954_1115
.LBB1954_1146:                          ;   in Loop: Header=BB1954_982 Depth=2
	s_or_b32 exec_lo, exec_lo, s34
	s_and_saveexec_b32 s34, s22
	s_cbranch_execz .LBB1954_1116
.LBB1954_1147:                          ;   in Loop: Header=BB1954_982 Depth=2
	ds_load_u16 v2, v79 offset:3584
	s_waitcnt lgkmcnt(0)
	v_cmp_ne_u16_e64 s33, 0x8000, v2
	s_delay_alu instid0(VALU_DEP_1) | instskip(NEXT) | instid1(VALU_DEP_1)
	v_cndmask_b32_e64 v2, 0x7fff, v2, s33
	v_and_b32_e32 v2, 0xffff, v2
	s_delay_alu instid0(VALU_DEP_1) | instskip(NEXT) | instid1(VALU_DEP_1)
	v_lshrrev_b32_e32 v2, s49, v2
	v_and_b32_e32 v137, s55, v2
	s_or_b32 exec_lo, exec_lo, s34
	s_and_saveexec_b32 s34, s23
	s_cbranch_execnz .LBB1954_1117
.LBB1954_1148:                          ;   in Loop: Header=BB1954_982 Depth=2
	s_or_b32 exec_lo, exec_lo, s34
	s_and_saveexec_b32 s34, s24
	s_cbranch_execz .LBB1954_1118
.LBB1954_1149:                          ;   in Loop: Header=BB1954_982 Depth=2
	ds_load_u16 v2, v79 offset:4608
	s_waitcnt lgkmcnt(0)
	v_cmp_ne_u16_e64 s33, 0x8000, v2
	s_delay_alu instid0(VALU_DEP_1) | instskip(NEXT) | instid1(VALU_DEP_1)
	v_cndmask_b32_e64 v2, 0x7fff, v2, s33
	v_and_b32_e32 v2, 0xffff, v2
	s_delay_alu instid0(VALU_DEP_1) | instskip(NEXT) | instid1(VALU_DEP_1)
	v_lshrrev_b32_e32 v2, s49, v2
	v_and_b32_e32 v135, s55, v2
	s_or_b32 exec_lo, exec_lo, s34
	s_and_saveexec_b32 s34, s25
	s_cbranch_execnz .LBB1954_1119
.LBB1954_1150:                          ;   in Loop: Header=BB1954_982 Depth=2
	s_or_b32 exec_lo, exec_lo, s34
	s_and_saveexec_b32 s34, s27
	s_cbranch_execz .LBB1954_1120
.LBB1954_1151:                          ;   in Loop: Header=BB1954_982 Depth=2
	ds_load_u16 v2, v79 offset:5632
	s_waitcnt lgkmcnt(0)
	v_cmp_ne_u16_e64 s33, 0x8000, v2
	s_delay_alu instid0(VALU_DEP_1) | instskip(NEXT) | instid1(VALU_DEP_1)
	v_cndmask_b32_e64 v2, 0x7fff, v2, s33
	v_and_b32_e32 v2, 0xffff, v2
	s_delay_alu instid0(VALU_DEP_1) | instskip(NEXT) | instid1(VALU_DEP_1)
	v_lshrrev_b32_e32 v2, s49, v2
	v_and_b32_e32 v133, s55, v2
	s_or_b32 exec_lo, exec_lo, s34
	s_and_saveexec_b32 s34, s28
	s_cbranch_execnz .LBB1954_1121
.LBB1954_1152:                          ;   in Loop: Header=BB1954_982 Depth=2
	s_or_b32 exec_lo, exec_lo, s34
	s_and_saveexec_b32 s34, s29
	s_cbranch_execz .LBB1954_1122
.LBB1954_1153:                          ;   in Loop: Header=BB1954_982 Depth=2
	ds_load_u16 v2, v79 offset:6656
	s_waitcnt lgkmcnt(0)
	v_cmp_ne_u16_e64 s33, 0x8000, v2
	s_delay_alu instid0(VALU_DEP_1) | instskip(NEXT) | instid1(VALU_DEP_1)
	v_cndmask_b32_e64 v2, 0x7fff, v2, s33
	v_and_b32_e32 v2, 0xffff, v2
	s_delay_alu instid0(VALU_DEP_1) | instskip(NEXT) | instid1(VALU_DEP_1)
	v_lshrrev_b32_e32 v2, s49, v2
	v_and_b32_e32 v131, s55, v2
	s_or_b32 exec_lo, exec_lo, s34
	s_and_saveexec_b32 s34, s30
	s_cbranch_execnz .LBB1954_1123
.LBB1954_1154:                          ;   in Loop: Header=BB1954_982 Depth=2
	s_or_b32 exec_lo, exec_lo, s34
	s_and_saveexec_b32 s34, s31
	s_cbranch_execz .LBB1954_1156
.LBB1954_1155:                          ;   in Loop: Header=BB1954_982 Depth=2
	ds_load_u16 v2, v79 offset:7680
	s_waitcnt lgkmcnt(0)
	v_cmp_ne_u16_e64 s33, 0x8000, v2
	s_delay_alu instid0(VALU_DEP_1) | instskip(NEXT) | instid1(VALU_DEP_1)
	v_cndmask_b32_e64 v2, 0x7fff, v2, s33
	v_and_b32_e32 v2, 0xffff, v2
	s_delay_alu instid0(VALU_DEP_1) | instskip(NEXT) | instid1(VALU_DEP_1)
	v_lshrrev_b32_e32 v2, s49, v2
	v_and_b32_e32 v129, s55, v2
.LBB1954_1156:                          ;   in Loop: Header=BB1954_982 Depth=2
	s_or_b32 exec_lo, exec_lo, s34
	v_lshlrev_b32_e32 v2, 3, v168
	v_lshlrev_b32_e32 v36, 3, v164
	s_waitcnt vmcnt(0)
	s_waitcnt_vscnt null, 0x0
	s_barrier
	buffer_gl0_inv
	ds_store_b64 v2, v[34:35] offset:1024
	v_lshlrev_b32_e32 v2, 3, v160
	v_lshlrev_b32_e32 v37, 3, v156
	;; [unrolled: 1-line block ×4, first 2 shown]
	ds_store_b64 v36, v[32:33] offset:1024
	ds_store_b64 v2, v[30:31] offset:1024
	;; [unrolled: 1-line block ×5, first 2 shown]
	v_lshlrev_b32_e32 v2, 3, v152
	v_lshlrev_b32_e32 v36, 3, v151
	;; [unrolled: 1-line block ×5, first 2 shown]
	ds_store_b64 v2, v[22:23] offset:1024
	ds_store_b64 v36, v[20:21] offset:1024
	;; [unrolled: 1-line block ×5, first 2 shown]
	v_lshlrev_b32_e32 v2, 3, v42
	v_lshlrev_b32_e32 v36, 3, v40
	;; [unrolled: 1-line block ×5, first 2 shown]
	ds_store_b64 v2, v[12:13] offset:1024
	ds_store_b64 v36, v[10:11] offset:1024
	ds_store_b64 v37, v[8:9] offset:1024
	ds_store_b64 v39, v[6:7] offset:1024
	ds_store_b64 v40, v[4:5] offset:1024
	s_waitcnt lgkmcnt(0)
	s_barrier
	buffer_gl0_inv
	s_and_saveexec_b32 s33, vcc_lo
	s_cbranch_execz .LBB1954_1172
; %bb.1157:                             ;   in Loop: Header=BB1954_982 Depth=2
	v_lshlrev_b32_e32 v2, 2, v144
	ds_load_b32 v2, v2
	ds_load_b64 v[36:37], v80 offset:1024
	s_waitcnt lgkmcnt(1)
	v_add_nc_u32_e32 v2, v2, v1
	s_delay_alu instid0(VALU_DEP_1) | instskip(NEXT) | instid1(VALU_DEP_1)
	v_lshlrev_b64 v[39:40], 3, v[2:3]
	v_add_co_u32 v39, vcc_lo, s46, v39
	s_delay_alu instid0(VALU_DEP_2)
	v_add_co_ci_u32_e32 v40, vcc_lo, s47, v40, vcc_lo
	s_waitcnt lgkmcnt(0)
	global_store_b64 v[39:40], v[36:37], off
	s_or_b32 exec_lo, exec_lo, s33
	v_add_nc_u32_e32 v36, v79, v81
	s_and_saveexec_b32 s33, s16
	s_cbranch_execnz .LBB1954_1173
.LBB1954_1158:                          ;   in Loop: Header=BB1954_982 Depth=2
	s_or_b32 exec_lo, exec_lo, s33
	s_and_saveexec_b32 s16, s17
	s_cbranch_execz .LBB1954_1174
.LBB1954_1159:                          ;   in Loop: Header=BB1954_982 Depth=2
	v_lshlrev_b32_e32 v2, 2, v142
	ds_load_b32 v2, v2
	ds_load_b64 v[39:40], v36 offset:4096
	s_waitcnt lgkmcnt(1)
	v_add_nc_u32_e32 v2, v2, v46
	s_delay_alu instid0(VALU_DEP_1) | instskip(NEXT) | instid1(VALU_DEP_1)
	v_lshlrev_b64 v[41:42], 3, v[2:3]
	v_add_co_u32 v41, vcc_lo, s46, v41
	s_delay_alu instid0(VALU_DEP_2)
	v_add_co_ci_u32_e32 v42, vcc_lo, s47, v42, vcc_lo
	s_waitcnt lgkmcnt(0)
	global_store_b64 v[41:42], v[39:40], off
	s_or_b32 exec_lo, exec_lo, s16
	s_and_saveexec_b32 s16, s18
	s_cbranch_execnz .LBB1954_1175
.LBB1954_1160:                          ;   in Loop: Header=BB1954_982 Depth=2
	s_or_b32 exec_lo, exec_lo, s16
	s_and_saveexec_b32 s16, s19
	s_cbranch_execz .LBB1954_1176
.LBB1954_1161:                          ;   in Loop: Header=BB1954_982 Depth=2
	v_lshlrev_b32_e32 v2, 2, v140
	ds_load_b32 v2, v2
	ds_load_b64 v[39:40], v36 offset:8192
	s_waitcnt lgkmcnt(1)
	v_add_nc_u32_e32 v2, v2, v51
	s_delay_alu instid0(VALU_DEP_1) | instskip(NEXT) | instid1(VALU_DEP_1)
	v_lshlrev_b64 v[41:42], 3, v[2:3]
	v_add_co_u32 v41, vcc_lo, s46, v41
	s_delay_alu instid0(VALU_DEP_2)
	v_add_co_ci_u32_e32 v42, vcc_lo, s47, v42, vcc_lo
	s_waitcnt lgkmcnt(0)
	global_store_b64 v[41:42], v[39:40], off
	s_or_b32 exec_lo, exec_lo, s16
	s_and_saveexec_b32 s16, s20
	s_cbranch_execnz .LBB1954_1177
.LBB1954_1162:                          ;   in Loop: Header=BB1954_982 Depth=2
	s_or_b32 exec_lo, exec_lo, s16
	s_and_saveexec_b32 s16, s21
	s_cbranch_execz .LBB1954_1178
.LBB1954_1163:                          ;   in Loop: Header=BB1954_982 Depth=2
	v_lshlrev_b32_e32 v2, 2, v138
	ds_load_b32 v2, v2
	ds_load_b64 v[39:40], v36 offset:12288
	s_waitcnt lgkmcnt(1)
	v_add_nc_u32_e32 v2, v2, v53
	s_delay_alu instid0(VALU_DEP_1) | instskip(NEXT) | instid1(VALU_DEP_1)
	v_lshlrev_b64 v[41:42], 3, v[2:3]
	v_add_co_u32 v41, vcc_lo, s46, v41
	s_delay_alu instid0(VALU_DEP_2)
	v_add_co_ci_u32_e32 v42, vcc_lo, s47, v42, vcc_lo
	s_waitcnt lgkmcnt(0)
	global_store_b64 v[41:42], v[39:40], off
	s_or_b32 exec_lo, exec_lo, s16
	s_and_saveexec_b32 s16, s22
	s_cbranch_execnz .LBB1954_1179
.LBB1954_1164:                          ;   in Loop: Header=BB1954_982 Depth=2
	s_or_b32 exec_lo, exec_lo, s16
	s_and_saveexec_b32 s16, s23
	s_cbranch_execz .LBB1954_1180
.LBB1954_1165:                          ;   in Loop: Header=BB1954_982 Depth=2
	v_lshlrev_b32_e32 v2, 2, v136
	ds_load_b32 v2, v2
	ds_load_b64 v[39:40], v36 offset:16384
	s_waitcnt lgkmcnt(1)
	v_add_nc_u32_e32 v2, v2, v55
	s_delay_alu instid0(VALU_DEP_1) | instskip(NEXT) | instid1(VALU_DEP_1)
	v_lshlrev_b64 v[41:42], 3, v[2:3]
	v_add_co_u32 v41, vcc_lo, s46, v41
	s_delay_alu instid0(VALU_DEP_2)
	v_add_co_ci_u32_e32 v42, vcc_lo, s47, v42, vcc_lo
	s_waitcnt lgkmcnt(0)
	global_store_b64 v[41:42], v[39:40], off
	s_or_b32 exec_lo, exec_lo, s16
	s_and_saveexec_b32 s16, s24
	s_cbranch_execnz .LBB1954_1181
.LBB1954_1166:                          ;   in Loop: Header=BB1954_982 Depth=2
	s_or_b32 exec_lo, exec_lo, s16
	s_and_saveexec_b32 s16, s25
	s_cbranch_execz .LBB1954_1182
.LBB1954_1167:                          ;   in Loop: Header=BB1954_982 Depth=2
	v_lshlrev_b32_e32 v2, 2, v134
	ds_load_b32 v2, v2
	ds_load_b64 v[39:40], v36 offset:20480
	s_waitcnt lgkmcnt(1)
	v_add_nc_u32_e32 v2, v2, v57
	s_delay_alu instid0(VALU_DEP_1) | instskip(NEXT) | instid1(VALU_DEP_1)
	v_lshlrev_b64 v[41:42], 3, v[2:3]
	v_add_co_u32 v41, vcc_lo, s46, v41
	s_delay_alu instid0(VALU_DEP_2)
	v_add_co_ci_u32_e32 v42, vcc_lo, s47, v42, vcc_lo
	s_waitcnt lgkmcnt(0)
	global_store_b64 v[41:42], v[39:40], off
	s_or_b32 exec_lo, exec_lo, s16
	s_and_saveexec_b32 s16, s27
	s_cbranch_execnz .LBB1954_1183
.LBB1954_1168:                          ;   in Loop: Header=BB1954_982 Depth=2
	s_or_b32 exec_lo, exec_lo, s16
	s_and_saveexec_b32 s16, s28
	s_cbranch_execz .LBB1954_1184
.LBB1954_1169:                          ;   in Loop: Header=BB1954_982 Depth=2
	v_lshlrev_b32_e32 v2, 2, v132
	ds_load_b32 v2, v2
	ds_load_b64 v[39:40], v36 offset:24576
	s_waitcnt lgkmcnt(1)
	v_add_nc_u32_e32 v2, v2, v59
	s_delay_alu instid0(VALU_DEP_1) | instskip(NEXT) | instid1(VALU_DEP_1)
	v_lshlrev_b64 v[41:42], 3, v[2:3]
	v_add_co_u32 v41, vcc_lo, s46, v41
	s_delay_alu instid0(VALU_DEP_2)
	v_add_co_ci_u32_e32 v42, vcc_lo, s47, v42, vcc_lo
	s_waitcnt lgkmcnt(0)
	global_store_b64 v[41:42], v[39:40], off
	s_or_b32 exec_lo, exec_lo, s16
	s_and_saveexec_b32 s16, s29
	s_cbranch_execnz .LBB1954_1185
.LBB1954_1170:                          ;   in Loop: Header=BB1954_982 Depth=2
	s_or_b32 exec_lo, exec_lo, s16
	s_and_saveexec_b32 s16, s30
	s_cbranch_execz .LBB1954_1186
.LBB1954_1171:                          ;   in Loop: Header=BB1954_982 Depth=2
	v_lshlrev_b32_e32 v2, 2, v130
	ds_load_b32 v2, v2
	ds_load_b64 v[39:40], v36 offset:28672
	s_waitcnt lgkmcnt(1)
	v_add_nc_u32_e32 v2, v2, v61
	s_delay_alu instid0(VALU_DEP_1) | instskip(NEXT) | instid1(VALU_DEP_1)
	v_lshlrev_b64 v[41:42], 3, v[2:3]
	v_add_co_u32 v41, vcc_lo, s46, v41
	s_delay_alu instid0(VALU_DEP_2)
	v_add_co_ci_u32_e32 v42, vcc_lo, s47, v42, vcc_lo
	s_waitcnt lgkmcnt(0)
	global_store_b64 v[41:42], v[39:40], off
	s_or_b32 exec_lo, exec_lo, s16
	s_and_saveexec_b32 s16, s31
	s_cbranch_execnz .LBB1954_1187
	s_branch .LBB1954_1188
.LBB1954_1172:                          ;   in Loop: Header=BB1954_982 Depth=2
	s_or_b32 exec_lo, exec_lo, s33
	v_add_nc_u32_e32 v36, v79, v81
	s_and_saveexec_b32 s33, s16
	s_cbranch_execz .LBB1954_1158
.LBB1954_1173:                          ;   in Loop: Header=BB1954_982 Depth=2
	v_lshlrev_b32_e32 v2, 2, v143
	ds_load_b32 v2, v2
	ds_load_b64 v[39:40], v36 offset:2048
	s_waitcnt lgkmcnt(1)
	v_add_nc_u32_e32 v2, v2, v45
	s_delay_alu instid0(VALU_DEP_1) | instskip(NEXT) | instid1(VALU_DEP_1)
	v_lshlrev_b64 v[41:42], 3, v[2:3]
	v_add_co_u32 v41, vcc_lo, s46, v41
	s_delay_alu instid0(VALU_DEP_2)
	v_add_co_ci_u32_e32 v42, vcc_lo, s47, v42, vcc_lo
	s_waitcnt lgkmcnt(0)
	global_store_b64 v[41:42], v[39:40], off
	s_or_b32 exec_lo, exec_lo, s33
	s_and_saveexec_b32 s16, s17
	s_cbranch_execnz .LBB1954_1159
.LBB1954_1174:                          ;   in Loop: Header=BB1954_982 Depth=2
	s_or_b32 exec_lo, exec_lo, s16
	s_and_saveexec_b32 s16, s18
	s_cbranch_execz .LBB1954_1160
.LBB1954_1175:                          ;   in Loop: Header=BB1954_982 Depth=2
	v_lshlrev_b32_e32 v2, 2, v141
	ds_load_b32 v2, v2
	ds_load_b64 v[39:40], v36 offset:6144
	s_waitcnt lgkmcnt(1)
	v_add_nc_u32_e32 v2, v2, v47
	s_delay_alu instid0(VALU_DEP_1) | instskip(NEXT) | instid1(VALU_DEP_1)
	v_lshlrev_b64 v[41:42], 3, v[2:3]
	v_add_co_u32 v41, vcc_lo, s46, v41
	s_delay_alu instid0(VALU_DEP_2)
	v_add_co_ci_u32_e32 v42, vcc_lo, s47, v42, vcc_lo
	s_waitcnt lgkmcnt(0)
	global_store_b64 v[41:42], v[39:40], off
	s_or_b32 exec_lo, exec_lo, s16
	s_and_saveexec_b32 s16, s19
	s_cbranch_execnz .LBB1954_1161
.LBB1954_1176:                          ;   in Loop: Header=BB1954_982 Depth=2
	s_or_b32 exec_lo, exec_lo, s16
	s_and_saveexec_b32 s16, s20
	s_cbranch_execz .LBB1954_1162
.LBB1954_1177:                          ;   in Loop: Header=BB1954_982 Depth=2
	v_lshlrev_b32_e32 v2, 2, v139
	ds_load_b32 v2, v2
	ds_load_b64 v[39:40], v36 offset:10240
	s_waitcnt lgkmcnt(1)
	v_add_nc_u32_e32 v2, v2, v52
	s_delay_alu instid0(VALU_DEP_1) | instskip(NEXT) | instid1(VALU_DEP_1)
	v_lshlrev_b64 v[41:42], 3, v[2:3]
	v_add_co_u32 v41, vcc_lo, s46, v41
	s_delay_alu instid0(VALU_DEP_2)
	v_add_co_ci_u32_e32 v42, vcc_lo, s47, v42, vcc_lo
	s_waitcnt lgkmcnt(0)
	global_store_b64 v[41:42], v[39:40], off
	s_or_b32 exec_lo, exec_lo, s16
	s_and_saveexec_b32 s16, s21
	s_cbranch_execnz .LBB1954_1163
.LBB1954_1178:                          ;   in Loop: Header=BB1954_982 Depth=2
	s_or_b32 exec_lo, exec_lo, s16
	s_and_saveexec_b32 s16, s22
	s_cbranch_execz .LBB1954_1164
.LBB1954_1179:                          ;   in Loop: Header=BB1954_982 Depth=2
	v_lshlrev_b32_e32 v2, 2, v137
	ds_load_b32 v2, v2
	ds_load_b64 v[39:40], v36 offset:14336
	s_waitcnt lgkmcnt(1)
	v_add_nc_u32_e32 v2, v2, v54
	s_delay_alu instid0(VALU_DEP_1) | instskip(NEXT) | instid1(VALU_DEP_1)
	v_lshlrev_b64 v[41:42], 3, v[2:3]
	v_add_co_u32 v41, vcc_lo, s46, v41
	s_delay_alu instid0(VALU_DEP_2)
	v_add_co_ci_u32_e32 v42, vcc_lo, s47, v42, vcc_lo
	s_waitcnt lgkmcnt(0)
	global_store_b64 v[41:42], v[39:40], off
	s_or_b32 exec_lo, exec_lo, s16
	s_and_saveexec_b32 s16, s23
	s_cbranch_execnz .LBB1954_1165
.LBB1954_1180:                          ;   in Loop: Header=BB1954_982 Depth=2
	s_or_b32 exec_lo, exec_lo, s16
	s_and_saveexec_b32 s16, s24
	s_cbranch_execz .LBB1954_1166
.LBB1954_1181:                          ;   in Loop: Header=BB1954_982 Depth=2
	v_lshlrev_b32_e32 v2, 2, v135
	ds_load_b32 v2, v2
	ds_load_b64 v[39:40], v36 offset:18432
	s_waitcnt lgkmcnt(1)
	v_add_nc_u32_e32 v2, v2, v56
	s_delay_alu instid0(VALU_DEP_1) | instskip(NEXT) | instid1(VALU_DEP_1)
	v_lshlrev_b64 v[41:42], 3, v[2:3]
	v_add_co_u32 v41, vcc_lo, s46, v41
	s_delay_alu instid0(VALU_DEP_2)
	v_add_co_ci_u32_e32 v42, vcc_lo, s47, v42, vcc_lo
	s_waitcnt lgkmcnt(0)
	global_store_b64 v[41:42], v[39:40], off
	s_or_b32 exec_lo, exec_lo, s16
	s_and_saveexec_b32 s16, s25
	s_cbranch_execnz .LBB1954_1167
.LBB1954_1182:                          ;   in Loop: Header=BB1954_982 Depth=2
	s_or_b32 exec_lo, exec_lo, s16
	s_and_saveexec_b32 s16, s27
	s_cbranch_execz .LBB1954_1168
.LBB1954_1183:                          ;   in Loop: Header=BB1954_982 Depth=2
	v_lshlrev_b32_e32 v2, 2, v133
	ds_load_b32 v2, v2
	ds_load_b64 v[39:40], v36 offset:22528
	s_waitcnt lgkmcnt(1)
	v_add_nc_u32_e32 v2, v2, v58
	s_delay_alu instid0(VALU_DEP_1) | instskip(NEXT) | instid1(VALU_DEP_1)
	v_lshlrev_b64 v[41:42], 3, v[2:3]
	v_add_co_u32 v41, vcc_lo, s46, v41
	s_delay_alu instid0(VALU_DEP_2)
	v_add_co_ci_u32_e32 v42, vcc_lo, s47, v42, vcc_lo
	s_waitcnt lgkmcnt(0)
	global_store_b64 v[41:42], v[39:40], off
	s_or_b32 exec_lo, exec_lo, s16
	s_and_saveexec_b32 s16, s28
	s_cbranch_execnz .LBB1954_1169
.LBB1954_1184:                          ;   in Loop: Header=BB1954_982 Depth=2
	s_or_b32 exec_lo, exec_lo, s16
	s_and_saveexec_b32 s16, s29
	s_cbranch_execz .LBB1954_1170
.LBB1954_1185:                          ;   in Loop: Header=BB1954_982 Depth=2
	v_lshlrev_b32_e32 v2, 2, v131
	ds_load_b32 v2, v2
	ds_load_b64 v[39:40], v36 offset:26624
	s_waitcnt lgkmcnt(1)
	v_add_nc_u32_e32 v2, v2, v60
	s_delay_alu instid0(VALU_DEP_1) | instskip(NEXT) | instid1(VALU_DEP_1)
	v_lshlrev_b64 v[41:42], 3, v[2:3]
	v_add_co_u32 v41, vcc_lo, s46, v41
	s_delay_alu instid0(VALU_DEP_2)
	v_add_co_ci_u32_e32 v42, vcc_lo, s47, v42, vcc_lo
	s_waitcnt lgkmcnt(0)
	global_store_b64 v[41:42], v[39:40], off
	s_or_b32 exec_lo, exec_lo, s16
	s_and_saveexec_b32 s16, s30
	s_cbranch_execnz .LBB1954_1171
.LBB1954_1186:                          ;   in Loop: Header=BB1954_982 Depth=2
	s_or_b32 exec_lo, exec_lo, s16
	s_and_saveexec_b32 s16, s31
	s_cbranch_execz .LBB1954_1188
.LBB1954_1187:                          ;   in Loop: Header=BB1954_982 Depth=2
	v_lshlrev_b32_e32 v2, 2, v129
	ds_load_b32 v2, v2
	ds_load_b64 v[36:37], v36 offset:30720
	s_waitcnt lgkmcnt(1)
	v_add_nc_u32_e32 v2, v2, v63
	s_delay_alu instid0(VALU_DEP_1) | instskip(NEXT) | instid1(VALU_DEP_1)
	v_lshlrev_b64 v[39:40], 3, v[2:3]
	v_add_co_u32 v39, vcc_lo, s46, v39
	s_delay_alu instid0(VALU_DEP_2)
	v_add_co_ci_u32_e32 v40, vcc_lo, s47, v40, vcc_lo
	s_waitcnt lgkmcnt(0)
	global_store_b64 v[39:40], v[36:37], off
.LBB1954_1188:                          ;   in Loop: Header=BB1954_982 Depth=2
	s_or_b32 exec_lo, exec_lo, s16
	s_waitcnt_vscnt null, 0x0
	s_barrier
	buffer_gl0_inv
	s_and_saveexec_b32 s16, s2
	s_cbranch_execz .LBB1954_981
; %bb.1189:                             ;   in Loop: Header=BB1954_982 Depth=2
	ds_load_b32 v2, v44
	s_waitcnt lgkmcnt(0)
	v_add_nc_u32_e32 v2, v2, v38
	ds_store_b32 v44, v2
	s_branch .LBB1954_981
.LBB1954_1190:
	s_endpgm
	.section	.rodata,"a",@progbits
	.p2align	6, 0x0
	.amdhsa_kernel _ZN7rocprim17ROCPRIM_400000_NS6detail17trampoline_kernelINS0_14default_configENS1_36segmented_radix_sort_config_selectorI12hip_bfloat16lEEZNS1_25segmented_radix_sort_implIS3_Lb1EPKS5_PS5_PKlPlN2at6native12_GLOBAL__N_18offset_tEEE10hipError_tPvRmT1_PNSt15iterator_traitsISL_E10value_typeET2_T3_PNSM_ISR_E10value_typeET4_jRbjT5_SX_jjP12ihipStream_tbEUlT_E_NS1_11comp_targetILNS1_3genE9ELNS1_11target_archE1100ELNS1_3gpuE3ELNS1_3repE0EEENS1_30default_config_static_selectorELNS0_4arch9wavefront6targetE0EEEvSL_
		.amdhsa_group_segment_fixed_size 33824
		.amdhsa_private_segment_fixed_size 220
		.amdhsa_kernarg_size 352
		.amdhsa_user_sgpr_count 14
		.amdhsa_user_sgpr_dispatch_ptr 0
		.amdhsa_user_sgpr_queue_ptr 0
		.amdhsa_user_sgpr_kernarg_segment_ptr 1
		.amdhsa_user_sgpr_dispatch_id 0
		.amdhsa_user_sgpr_private_segment_size 0
		.amdhsa_wavefront_size32 1
		.amdhsa_uses_dynamic_stack 0
		.amdhsa_enable_private_segment 1
		.amdhsa_system_sgpr_workgroup_id_x 1
		.amdhsa_system_sgpr_workgroup_id_y 1
		.amdhsa_system_sgpr_workgroup_id_z 0
		.amdhsa_system_sgpr_workgroup_info 0
		.amdhsa_system_vgpr_workitem_id 2
		.amdhsa_next_free_vgpr 248
		.amdhsa_next_free_sgpr 60
		.amdhsa_reserve_vcc 1
		.amdhsa_float_round_mode_32 0
		.amdhsa_float_round_mode_16_64 0
		.amdhsa_float_denorm_mode_32 3
		.amdhsa_float_denorm_mode_16_64 3
		.amdhsa_dx10_clamp 1
		.amdhsa_ieee_mode 1
		.amdhsa_fp16_overflow 0
		.amdhsa_workgroup_processor_mode 1
		.amdhsa_memory_ordered 1
		.amdhsa_forward_progress 0
		.amdhsa_shared_vgpr_count 0
		.amdhsa_exception_fp_ieee_invalid_op 0
		.amdhsa_exception_fp_denorm_src 0
		.amdhsa_exception_fp_ieee_div_zero 0
		.amdhsa_exception_fp_ieee_overflow 0
		.amdhsa_exception_fp_ieee_underflow 0
		.amdhsa_exception_fp_ieee_inexact 0
		.amdhsa_exception_int_div_zero 0
	.end_amdhsa_kernel
	.section	.text._ZN7rocprim17ROCPRIM_400000_NS6detail17trampoline_kernelINS0_14default_configENS1_36segmented_radix_sort_config_selectorI12hip_bfloat16lEEZNS1_25segmented_radix_sort_implIS3_Lb1EPKS5_PS5_PKlPlN2at6native12_GLOBAL__N_18offset_tEEE10hipError_tPvRmT1_PNSt15iterator_traitsISL_E10value_typeET2_T3_PNSM_ISR_E10value_typeET4_jRbjT5_SX_jjP12ihipStream_tbEUlT_E_NS1_11comp_targetILNS1_3genE9ELNS1_11target_archE1100ELNS1_3gpuE3ELNS1_3repE0EEENS1_30default_config_static_selectorELNS0_4arch9wavefront6targetE0EEEvSL_,"axG",@progbits,_ZN7rocprim17ROCPRIM_400000_NS6detail17trampoline_kernelINS0_14default_configENS1_36segmented_radix_sort_config_selectorI12hip_bfloat16lEEZNS1_25segmented_radix_sort_implIS3_Lb1EPKS5_PS5_PKlPlN2at6native12_GLOBAL__N_18offset_tEEE10hipError_tPvRmT1_PNSt15iterator_traitsISL_E10value_typeET2_T3_PNSM_ISR_E10value_typeET4_jRbjT5_SX_jjP12ihipStream_tbEUlT_E_NS1_11comp_targetILNS1_3genE9ELNS1_11target_archE1100ELNS1_3gpuE3ELNS1_3repE0EEENS1_30default_config_static_selectorELNS0_4arch9wavefront6targetE0EEEvSL_,comdat
.Lfunc_end1954:
	.size	_ZN7rocprim17ROCPRIM_400000_NS6detail17trampoline_kernelINS0_14default_configENS1_36segmented_radix_sort_config_selectorI12hip_bfloat16lEEZNS1_25segmented_radix_sort_implIS3_Lb1EPKS5_PS5_PKlPlN2at6native12_GLOBAL__N_18offset_tEEE10hipError_tPvRmT1_PNSt15iterator_traitsISL_E10value_typeET2_T3_PNSM_ISR_E10value_typeET4_jRbjT5_SX_jjP12ihipStream_tbEUlT_E_NS1_11comp_targetILNS1_3genE9ELNS1_11target_archE1100ELNS1_3gpuE3ELNS1_3repE0EEENS1_30default_config_static_selectorELNS0_4arch9wavefront6targetE0EEEvSL_, .Lfunc_end1954-_ZN7rocprim17ROCPRIM_400000_NS6detail17trampoline_kernelINS0_14default_configENS1_36segmented_radix_sort_config_selectorI12hip_bfloat16lEEZNS1_25segmented_radix_sort_implIS3_Lb1EPKS5_PS5_PKlPlN2at6native12_GLOBAL__N_18offset_tEEE10hipError_tPvRmT1_PNSt15iterator_traitsISL_E10value_typeET2_T3_PNSM_ISR_E10value_typeET4_jRbjT5_SX_jjP12ihipStream_tbEUlT_E_NS1_11comp_targetILNS1_3genE9ELNS1_11target_archE1100ELNS1_3gpuE3ELNS1_3repE0EEENS1_30default_config_static_selectorELNS0_4arch9wavefront6targetE0EEEvSL_
                                        ; -- End function
	.section	.AMDGPU.csdata,"",@progbits
; Kernel info:
; codeLenInByte = 79556
; NumSgprs: 62
; NumVgprs: 248
; ScratchSize: 220
; MemoryBound: 0
; FloatMode: 240
; IeeeMode: 1
; LDSByteSize: 33824 bytes/workgroup (compile time only)
; SGPRBlocks: 7
; VGPRBlocks: 30
; NumSGPRsForWavesPerEU: 62
; NumVGPRsForWavesPerEU: 248
; Occupancy: 5
; WaveLimiterHint : 1
; COMPUTE_PGM_RSRC2:SCRATCH_EN: 1
; COMPUTE_PGM_RSRC2:USER_SGPR: 14
; COMPUTE_PGM_RSRC2:TRAP_HANDLER: 0
; COMPUTE_PGM_RSRC2:TGID_X_EN: 1
; COMPUTE_PGM_RSRC2:TGID_Y_EN: 1
; COMPUTE_PGM_RSRC2:TGID_Z_EN: 0
; COMPUTE_PGM_RSRC2:TIDIG_COMP_CNT: 2
	.section	.text._ZN7rocprim17ROCPRIM_400000_NS6detail17trampoline_kernelINS0_14default_configENS1_36segmented_radix_sort_config_selectorI12hip_bfloat16lEEZNS1_25segmented_radix_sort_implIS3_Lb1EPKS5_PS5_PKlPlN2at6native12_GLOBAL__N_18offset_tEEE10hipError_tPvRmT1_PNSt15iterator_traitsISL_E10value_typeET2_T3_PNSM_ISR_E10value_typeET4_jRbjT5_SX_jjP12ihipStream_tbEUlT_E_NS1_11comp_targetILNS1_3genE8ELNS1_11target_archE1030ELNS1_3gpuE2ELNS1_3repE0EEENS1_30default_config_static_selectorELNS0_4arch9wavefront6targetE0EEEvSL_,"axG",@progbits,_ZN7rocprim17ROCPRIM_400000_NS6detail17trampoline_kernelINS0_14default_configENS1_36segmented_radix_sort_config_selectorI12hip_bfloat16lEEZNS1_25segmented_radix_sort_implIS3_Lb1EPKS5_PS5_PKlPlN2at6native12_GLOBAL__N_18offset_tEEE10hipError_tPvRmT1_PNSt15iterator_traitsISL_E10value_typeET2_T3_PNSM_ISR_E10value_typeET4_jRbjT5_SX_jjP12ihipStream_tbEUlT_E_NS1_11comp_targetILNS1_3genE8ELNS1_11target_archE1030ELNS1_3gpuE2ELNS1_3repE0EEENS1_30default_config_static_selectorELNS0_4arch9wavefront6targetE0EEEvSL_,comdat
	.globl	_ZN7rocprim17ROCPRIM_400000_NS6detail17trampoline_kernelINS0_14default_configENS1_36segmented_radix_sort_config_selectorI12hip_bfloat16lEEZNS1_25segmented_radix_sort_implIS3_Lb1EPKS5_PS5_PKlPlN2at6native12_GLOBAL__N_18offset_tEEE10hipError_tPvRmT1_PNSt15iterator_traitsISL_E10value_typeET2_T3_PNSM_ISR_E10value_typeET4_jRbjT5_SX_jjP12ihipStream_tbEUlT_E_NS1_11comp_targetILNS1_3genE8ELNS1_11target_archE1030ELNS1_3gpuE2ELNS1_3repE0EEENS1_30default_config_static_selectorELNS0_4arch9wavefront6targetE0EEEvSL_ ; -- Begin function _ZN7rocprim17ROCPRIM_400000_NS6detail17trampoline_kernelINS0_14default_configENS1_36segmented_radix_sort_config_selectorI12hip_bfloat16lEEZNS1_25segmented_radix_sort_implIS3_Lb1EPKS5_PS5_PKlPlN2at6native12_GLOBAL__N_18offset_tEEE10hipError_tPvRmT1_PNSt15iterator_traitsISL_E10value_typeET2_T3_PNSM_ISR_E10value_typeET4_jRbjT5_SX_jjP12ihipStream_tbEUlT_E_NS1_11comp_targetILNS1_3genE8ELNS1_11target_archE1030ELNS1_3gpuE2ELNS1_3repE0EEENS1_30default_config_static_selectorELNS0_4arch9wavefront6targetE0EEEvSL_
	.p2align	8
	.type	_ZN7rocprim17ROCPRIM_400000_NS6detail17trampoline_kernelINS0_14default_configENS1_36segmented_radix_sort_config_selectorI12hip_bfloat16lEEZNS1_25segmented_radix_sort_implIS3_Lb1EPKS5_PS5_PKlPlN2at6native12_GLOBAL__N_18offset_tEEE10hipError_tPvRmT1_PNSt15iterator_traitsISL_E10value_typeET2_T3_PNSM_ISR_E10value_typeET4_jRbjT5_SX_jjP12ihipStream_tbEUlT_E_NS1_11comp_targetILNS1_3genE8ELNS1_11target_archE1030ELNS1_3gpuE2ELNS1_3repE0EEENS1_30default_config_static_selectorELNS0_4arch9wavefront6targetE0EEEvSL_,@function
_ZN7rocprim17ROCPRIM_400000_NS6detail17trampoline_kernelINS0_14default_configENS1_36segmented_radix_sort_config_selectorI12hip_bfloat16lEEZNS1_25segmented_radix_sort_implIS3_Lb1EPKS5_PS5_PKlPlN2at6native12_GLOBAL__N_18offset_tEEE10hipError_tPvRmT1_PNSt15iterator_traitsISL_E10value_typeET2_T3_PNSM_ISR_E10value_typeET4_jRbjT5_SX_jjP12ihipStream_tbEUlT_E_NS1_11comp_targetILNS1_3genE8ELNS1_11target_archE1030ELNS1_3gpuE2ELNS1_3repE0EEENS1_30default_config_static_selectorELNS0_4arch9wavefront6targetE0EEEvSL_: ; @_ZN7rocprim17ROCPRIM_400000_NS6detail17trampoline_kernelINS0_14default_configENS1_36segmented_radix_sort_config_selectorI12hip_bfloat16lEEZNS1_25segmented_radix_sort_implIS3_Lb1EPKS5_PS5_PKlPlN2at6native12_GLOBAL__N_18offset_tEEE10hipError_tPvRmT1_PNSt15iterator_traitsISL_E10value_typeET2_T3_PNSM_ISR_E10value_typeET4_jRbjT5_SX_jjP12ihipStream_tbEUlT_E_NS1_11comp_targetILNS1_3genE8ELNS1_11target_archE1030ELNS1_3gpuE2ELNS1_3repE0EEENS1_30default_config_static_selectorELNS0_4arch9wavefront6targetE0EEEvSL_
; %bb.0:
	.section	.rodata,"a",@progbits
	.p2align	6, 0x0
	.amdhsa_kernel _ZN7rocprim17ROCPRIM_400000_NS6detail17trampoline_kernelINS0_14default_configENS1_36segmented_radix_sort_config_selectorI12hip_bfloat16lEEZNS1_25segmented_radix_sort_implIS3_Lb1EPKS5_PS5_PKlPlN2at6native12_GLOBAL__N_18offset_tEEE10hipError_tPvRmT1_PNSt15iterator_traitsISL_E10value_typeET2_T3_PNSM_ISR_E10value_typeET4_jRbjT5_SX_jjP12ihipStream_tbEUlT_E_NS1_11comp_targetILNS1_3genE8ELNS1_11target_archE1030ELNS1_3gpuE2ELNS1_3repE0EEENS1_30default_config_static_selectorELNS0_4arch9wavefront6targetE0EEEvSL_
		.amdhsa_group_segment_fixed_size 0
		.amdhsa_private_segment_fixed_size 0
		.amdhsa_kernarg_size 96
		.amdhsa_user_sgpr_count 15
		.amdhsa_user_sgpr_dispatch_ptr 0
		.amdhsa_user_sgpr_queue_ptr 0
		.amdhsa_user_sgpr_kernarg_segment_ptr 1
		.amdhsa_user_sgpr_dispatch_id 0
		.amdhsa_user_sgpr_private_segment_size 0
		.amdhsa_wavefront_size32 1
		.amdhsa_uses_dynamic_stack 0
		.amdhsa_enable_private_segment 0
		.amdhsa_system_sgpr_workgroup_id_x 1
		.amdhsa_system_sgpr_workgroup_id_y 0
		.amdhsa_system_sgpr_workgroup_id_z 0
		.amdhsa_system_sgpr_workgroup_info 0
		.amdhsa_system_vgpr_workitem_id 0
		.amdhsa_next_free_vgpr 1
		.amdhsa_next_free_sgpr 1
		.amdhsa_reserve_vcc 0
		.amdhsa_float_round_mode_32 0
		.amdhsa_float_round_mode_16_64 0
		.amdhsa_float_denorm_mode_32 3
		.amdhsa_float_denorm_mode_16_64 3
		.amdhsa_dx10_clamp 1
		.amdhsa_ieee_mode 1
		.amdhsa_fp16_overflow 0
		.amdhsa_workgroup_processor_mode 1
		.amdhsa_memory_ordered 1
		.amdhsa_forward_progress 0
		.amdhsa_shared_vgpr_count 0
		.amdhsa_exception_fp_ieee_invalid_op 0
		.amdhsa_exception_fp_denorm_src 0
		.amdhsa_exception_fp_ieee_div_zero 0
		.amdhsa_exception_fp_ieee_overflow 0
		.amdhsa_exception_fp_ieee_underflow 0
		.amdhsa_exception_fp_ieee_inexact 0
		.amdhsa_exception_int_div_zero 0
	.end_amdhsa_kernel
	.section	.text._ZN7rocprim17ROCPRIM_400000_NS6detail17trampoline_kernelINS0_14default_configENS1_36segmented_radix_sort_config_selectorI12hip_bfloat16lEEZNS1_25segmented_radix_sort_implIS3_Lb1EPKS5_PS5_PKlPlN2at6native12_GLOBAL__N_18offset_tEEE10hipError_tPvRmT1_PNSt15iterator_traitsISL_E10value_typeET2_T3_PNSM_ISR_E10value_typeET4_jRbjT5_SX_jjP12ihipStream_tbEUlT_E_NS1_11comp_targetILNS1_3genE8ELNS1_11target_archE1030ELNS1_3gpuE2ELNS1_3repE0EEENS1_30default_config_static_selectorELNS0_4arch9wavefront6targetE0EEEvSL_,"axG",@progbits,_ZN7rocprim17ROCPRIM_400000_NS6detail17trampoline_kernelINS0_14default_configENS1_36segmented_radix_sort_config_selectorI12hip_bfloat16lEEZNS1_25segmented_radix_sort_implIS3_Lb1EPKS5_PS5_PKlPlN2at6native12_GLOBAL__N_18offset_tEEE10hipError_tPvRmT1_PNSt15iterator_traitsISL_E10value_typeET2_T3_PNSM_ISR_E10value_typeET4_jRbjT5_SX_jjP12ihipStream_tbEUlT_E_NS1_11comp_targetILNS1_3genE8ELNS1_11target_archE1030ELNS1_3gpuE2ELNS1_3repE0EEENS1_30default_config_static_selectorELNS0_4arch9wavefront6targetE0EEEvSL_,comdat
.Lfunc_end1955:
	.size	_ZN7rocprim17ROCPRIM_400000_NS6detail17trampoline_kernelINS0_14default_configENS1_36segmented_radix_sort_config_selectorI12hip_bfloat16lEEZNS1_25segmented_radix_sort_implIS3_Lb1EPKS5_PS5_PKlPlN2at6native12_GLOBAL__N_18offset_tEEE10hipError_tPvRmT1_PNSt15iterator_traitsISL_E10value_typeET2_T3_PNSM_ISR_E10value_typeET4_jRbjT5_SX_jjP12ihipStream_tbEUlT_E_NS1_11comp_targetILNS1_3genE8ELNS1_11target_archE1030ELNS1_3gpuE2ELNS1_3repE0EEENS1_30default_config_static_selectorELNS0_4arch9wavefront6targetE0EEEvSL_, .Lfunc_end1955-_ZN7rocprim17ROCPRIM_400000_NS6detail17trampoline_kernelINS0_14default_configENS1_36segmented_radix_sort_config_selectorI12hip_bfloat16lEEZNS1_25segmented_radix_sort_implIS3_Lb1EPKS5_PS5_PKlPlN2at6native12_GLOBAL__N_18offset_tEEE10hipError_tPvRmT1_PNSt15iterator_traitsISL_E10value_typeET2_T3_PNSM_ISR_E10value_typeET4_jRbjT5_SX_jjP12ihipStream_tbEUlT_E_NS1_11comp_targetILNS1_3genE8ELNS1_11target_archE1030ELNS1_3gpuE2ELNS1_3repE0EEENS1_30default_config_static_selectorELNS0_4arch9wavefront6targetE0EEEvSL_
                                        ; -- End function
	.section	.AMDGPU.csdata,"",@progbits
; Kernel info:
; codeLenInByte = 0
; NumSgprs: 0
; NumVgprs: 0
; ScratchSize: 0
; MemoryBound: 0
; FloatMode: 240
; IeeeMode: 1
; LDSByteSize: 0 bytes/workgroup (compile time only)
; SGPRBlocks: 0
; VGPRBlocks: 0
; NumSGPRsForWavesPerEU: 1
; NumVGPRsForWavesPerEU: 1
; Occupancy: 16
; WaveLimiterHint : 0
; COMPUTE_PGM_RSRC2:SCRATCH_EN: 0
; COMPUTE_PGM_RSRC2:USER_SGPR: 15
; COMPUTE_PGM_RSRC2:TRAP_HANDLER: 0
; COMPUTE_PGM_RSRC2:TGID_X_EN: 1
; COMPUTE_PGM_RSRC2:TGID_Y_EN: 0
; COMPUTE_PGM_RSRC2:TGID_Z_EN: 0
; COMPUTE_PGM_RSRC2:TIDIG_COMP_CNT: 0
	.section	.text._ZN7rocprim17ROCPRIM_400000_NS6detail17trampoline_kernelINS0_14default_configENS1_36segmented_radix_sort_config_selectorI12hip_bfloat16lEEZNS1_25segmented_radix_sort_implIS3_Lb1EPKS5_PS5_PKlPlN2at6native12_GLOBAL__N_18offset_tEEE10hipError_tPvRmT1_PNSt15iterator_traitsISL_E10value_typeET2_T3_PNSM_ISR_E10value_typeET4_jRbjT5_SX_jjP12ihipStream_tbEUlT_E0_NS1_11comp_targetILNS1_3genE0ELNS1_11target_archE4294967295ELNS1_3gpuE0ELNS1_3repE0EEENS1_60segmented_radix_sort_warp_sort_medium_config_static_selectorELNS0_4arch9wavefront6targetE0EEEvSL_,"axG",@progbits,_ZN7rocprim17ROCPRIM_400000_NS6detail17trampoline_kernelINS0_14default_configENS1_36segmented_radix_sort_config_selectorI12hip_bfloat16lEEZNS1_25segmented_radix_sort_implIS3_Lb1EPKS5_PS5_PKlPlN2at6native12_GLOBAL__N_18offset_tEEE10hipError_tPvRmT1_PNSt15iterator_traitsISL_E10value_typeET2_T3_PNSM_ISR_E10value_typeET4_jRbjT5_SX_jjP12ihipStream_tbEUlT_E0_NS1_11comp_targetILNS1_3genE0ELNS1_11target_archE4294967295ELNS1_3gpuE0ELNS1_3repE0EEENS1_60segmented_radix_sort_warp_sort_medium_config_static_selectorELNS0_4arch9wavefront6targetE0EEEvSL_,comdat
	.globl	_ZN7rocprim17ROCPRIM_400000_NS6detail17trampoline_kernelINS0_14default_configENS1_36segmented_radix_sort_config_selectorI12hip_bfloat16lEEZNS1_25segmented_radix_sort_implIS3_Lb1EPKS5_PS5_PKlPlN2at6native12_GLOBAL__N_18offset_tEEE10hipError_tPvRmT1_PNSt15iterator_traitsISL_E10value_typeET2_T3_PNSM_ISR_E10value_typeET4_jRbjT5_SX_jjP12ihipStream_tbEUlT_E0_NS1_11comp_targetILNS1_3genE0ELNS1_11target_archE4294967295ELNS1_3gpuE0ELNS1_3repE0EEENS1_60segmented_radix_sort_warp_sort_medium_config_static_selectorELNS0_4arch9wavefront6targetE0EEEvSL_ ; -- Begin function _ZN7rocprim17ROCPRIM_400000_NS6detail17trampoline_kernelINS0_14default_configENS1_36segmented_radix_sort_config_selectorI12hip_bfloat16lEEZNS1_25segmented_radix_sort_implIS3_Lb1EPKS5_PS5_PKlPlN2at6native12_GLOBAL__N_18offset_tEEE10hipError_tPvRmT1_PNSt15iterator_traitsISL_E10value_typeET2_T3_PNSM_ISR_E10value_typeET4_jRbjT5_SX_jjP12ihipStream_tbEUlT_E0_NS1_11comp_targetILNS1_3genE0ELNS1_11target_archE4294967295ELNS1_3gpuE0ELNS1_3repE0EEENS1_60segmented_radix_sort_warp_sort_medium_config_static_selectorELNS0_4arch9wavefront6targetE0EEEvSL_
	.p2align	8
	.type	_ZN7rocprim17ROCPRIM_400000_NS6detail17trampoline_kernelINS0_14default_configENS1_36segmented_radix_sort_config_selectorI12hip_bfloat16lEEZNS1_25segmented_radix_sort_implIS3_Lb1EPKS5_PS5_PKlPlN2at6native12_GLOBAL__N_18offset_tEEE10hipError_tPvRmT1_PNSt15iterator_traitsISL_E10value_typeET2_T3_PNSM_ISR_E10value_typeET4_jRbjT5_SX_jjP12ihipStream_tbEUlT_E0_NS1_11comp_targetILNS1_3genE0ELNS1_11target_archE4294967295ELNS1_3gpuE0ELNS1_3repE0EEENS1_60segmented_radix_sort_warp_sort_medium_config_static_selectorELNS0_4arch9wavefront6targetE0EEEvSL_,@function
_ZN7rocprim17ROCPRIM_400000_NS6detail17trampoline_kernelINS0_14default_configENS1_36segmented_radix_sort_config_selectorI12hip_bfloat16lEEZNS1_25segmented_radix_sort_implIS3_Lb1EPKS5_PS5_PKlPlN2at6native12_GLOBAL__N_18offset_tEEE10hipError_tPvRmT1_PNSt15iterator_traitsISL_E10value_typeET2_T3_PNSM_ISR_E10value_typeET4_jRbjT5_SX_jjP12ihipStream_tbEUlT_E0_NS1_11comp_targetILNS1_3genE0ELNS1_11target_archE4294967295ELNS1_3gpuE0ELNS1_3repE0EEENS1_60segmented_radix_sort_warp_sort_medium_config_static_selectorELNS0_4arch9wavefront6targetE0EEEvSL_: ; @_ZN7rocprim17ROCPRIM_400000_NS6detail17trampoline_kernelINS0_14default_configENS1_36segmented_radix_sort_config_selectorI12hip_bfloat16lEEZNS1_25segmented_radix_sort_implIS3_Lb1EPKS5_PS5_PKlPlN2at6native12_GLOBAL__N_18offset_tEEE10hipError_tPvRmT1_PNSt15iterator_traitsISL_E10value_typeET2_T3_PNSM_ISR_E10value_typeET4_jRbjT5_SX_jjP12ihipStream_tbEUlT_E0_NS1_11comp_targetILNS1_3genE0ELNS1_11target_archE4294967295ELNS1_3gpuE0ELNS1_3repE0EEENS1_60segmented_radix_sort_warp_sort_medium_config_static_selectorELNS0_4arch9wavefront6targetE0EEEvSL_
; %bb.0:
	.section	.rodata,"a",@progbits
	.p2align	6, 0x0
	.amdhsa_kernel _ZN7rocprim17ROCPRIM_400000_NS6detail17trampoline_kernelINS0_14default_configENS1_36segmented_radix_sort_config_selectorI12hip_bfloat16lEEZNS1_25segmented_radix_sort_implIS3_Lb1EPKS5_PS5_PKlPlN2at6native12_GLOBAL__N_18offset_tEEE10hipError_tPvRmT1_PNSt15iterator_traitsISL_E10value_typeET2_T3_PNSM_ISR_E10value_typeET4_jRbjT5_SX_jjP12ihipStream_tbEUlT_E0_NS1_11comp_targetILNS1_3genE0ELNS1_11target_archE4294967295ELNS1_3gpuE0ELNS1_3repE0EEENS1_60segmented_radix_sort_warp_sort_medium_config_static_selectorELNS0_4arch9wavefront6targetE0EEEvSL_
		.amdhsa_group_segment_fixed_size 0
		.amdhsa_private_segment_fixed_size 0
		.amdhsa_kernarg_size 88
		.amdhsa_user_sgpr_count 15
		.amdhsa_user_sgpr_dispatch_ptr 0
		.amdhsa_user_sgpr_queue_ptr 0
		.amdhsa_user_sgpr_kernarg_segment_ptr 1
		.amdhsa_user_sgpr_dispatch_id 0
		.amdhsa_user_sgpr_private_segment_size 0
		.amdhsa_wavefront_size32 1
		.amdhsa_uses_dynamic_stack 0
		.amdhsa_enable_private_segment 0
		.amdhsa_system_sgpr_workgroup_id_x 1
		.amdhsa_system_sgpr_workgroup_id_y 0
		.amdhsa_system_sgpr_workgroup_id_z 0
		.amdhsa_system_sgpr_workgroup_info 0
		.amdhsa_system_vgpr_workitem_id 0
		.amdhsa_next_free_vgpr 1
		.amdhsa_next_free_sgpr 1
		.amdhsa_reserve_vcc 0
		.amdhsa_float_round_mode_32 0
		.amdhsa_float_round_mode_16_64 0
		.amdhsa_float_denorm_mode_32 3
		.amdhsa_float_denorm_mode_16_64 3
		.amdhsa_dx10_clamp 1
		.amdhsa_ieee_mode 1
		.amdhsa_fp16_overflow 0
		.amdhsa_workgroup_processor_mode 1
		.amdhsa_memory_ordered 1
		.amdhsa_forward_progress 0
		.amdhsa_shared_vgpr_count 0
		.amdhsa_exception_fp_ieee_invalid_op 0
		.amdhsa_exception_fp_denorm_src 0
		.amdhsa_exception_fp_ieee_div_zero 0
		.amdhsa_exception_fp_ieee_overflow 0
		.amdhsa_exception_fp_ieee_underflow 0
		.amdhsa_exception_fp_ieee_inexact 0
		.amdhsa_exception_int_div_zero 0
	.end_amdhsa_kernel
	.section	.text._ZN7rocprim17ROCPRIM_400000_NS6detail17trampoline_kernelINS0_14default_configENS1_36segmented_radix_sort_config_selectorI12hip_bfloat16lEEZNS1_25segmented_radix_sort_implIS3_Lb1EPKS5_PS5_PKlPlN2at6native12_GLOBAL__N_18offset_tEEE10hipError_tPvRmT1_PNSt15iterator_traitsISL_E10value_typeET2_T3_PNSM_ISR_E10value_typeET4_jRbjT5_SX_jjP12ihipStream_tbEUlT_E0_NS1_11comp_targetILNS1_3genE0ELNS1_11target_archE4294967295ELNS1_3gpuE0ELNS1_3repE0EEENS1_60segmented_radix_sort_warp_sort_medium_config_static_selectorELNS0_4arch9wavefront6targetE0EEEvSL_,"axG",@progbits,_ZN7rocprim17ROCPRIM_400000_NS6detail17trampoline_kernelINS0_14default_configENS1_36segmented_radix_sort_config_selectorI12hip_bfloat16lEEZNS1_25segmented_radix_sort_implIS3_Lb1EPKS5_PS5_PKlPlN2at6native12_GLOBAL__N_18offset_tEEE10hipError_tPvRmT1_PNSt15iterator_traitsISL_E10value_typeET2_T3_PNSM_ISR_E10value_typeET4_jRbjT5_SX_jjP12ihipStream_tbEUlT_E0_NS1_11comp_targetILNS1_3genE0ELNS1_11target_archE4294967295ELNS1_3gpuE0ELNS1_3repE0EEENS1_60segmented_radix_sort_warp_sort_medium_config_static_selectorELNS0_4arch9wavefront6targetE0EEEvSL_,comdat
.Lfunc_end1956:
	.size	_ZN7rocprim17ROCPRIM_400000_NS6detail17trampoline_kernelINS0_14default_configENS1_36segmented_radix_sort_config_selectorI12hip_bfloat16lEEZNS1_25segmented_radix_sort_implIS3_Lb1EPKS5_PS5_PKlPlN2at6native12_GLOBAL__N_18offset_tEEE10hipError_tPvRmT1_PNSt15iterator_traitsISL_E10value_typeET2_T3_PNSM_ISR_E10value_typeET4_jRbjT5_SX_jjP12ihipStream_tbEUlT_E0_NS1_11comp_targetILNS1_3genE0ELNS1_11target_archE4294967295ELNS1_3gpuE0ELNS1_3repE0EEENS1_60segmented_radix_sort_warp_sort_medium_config_static_selectorELNS0_4arch9wavefront6targetE0EEEvSL_, .Lfunc_end1956-_ZN7rocprim17ROCPRIM_400000_NS6detail17trampoline_kernelINS0_14default_configENS1_36segmented_radix_sort_config_selectorI12hip_bfloat16lEEZNS1_25segmented_radix_sort_implIS3_Lb1EPKS5_PS5_PKlPlN2at6native12_GLOBAL__N_18offset_tEEE10hipError_tPvRmT1_PNSt15iterator_traitsISL_E10value_typeET2_T3_PNSM_ISR_E10value_typeET4_jRbjT5_SX_jjP12ihipStream_tbEUlT_E0_NS1_11comp_targetILNS1_3genE0ELNS1_11target_archE4294967295ELNS1_3gpuE0ELNS1_3repE0EEENS1_60segmented_radix_sort_warp_sort_medium_config_static_selectorELNS0_4arch9wavefront6targetE0EEEvSL_
                                        ; -- End function
	.section	.AMDGPU.csdata,"",@progbits
; Kernel info:
; codeLenInByte = 0
; NumSgprs: 0
; NumVgprs: 0
; ScratchSize: 0
; MemoryBound: 0
; FloatMode: 240
; IeeeMode: 1
; LDSByteSize: 0 bytes/workgroup (compile time only)
; SGPRBlocks: 0
; VGPRBlocks: 0
; NumSGPRsForWavesPerEU: 1
; NumVGPRsForWavesPerEU: 1
; Occupancy: 16
; WaveLimiterHint : 0
; COMPUTE_PGM_RSRC2:SCRATCH_EN: 0
; COMPUTE_PGM_RSRC2:USER_SGPR: 15
; COMPUTE_PGM_RSRC2:TRAP_HANDLER: 0
; COMPUTE_PGM_RSRC2:TGID_X_EN: 1
; COMPUTE_PGM_RSRC2:TGID_Y_EN: 0
; COMPUTE_PGM_RSRC2:TGID_Z_EN: 0
; COMPUTE_PGM_RSRC2:TIDIG_COMP_CNT: 0
	.section	.text._ZN7rocprim17ROCPRIM_400000_NS6detail17trampoline_kernelINS0_14default_configENS1_36segmented_radix_sort_config_selectorI12hip_bfloat16lEEZNS1_25segmented_radix_sort_implIS3_Lb1EPKS5_PS5_PKlPlN2at6native12_GLOBAL__N_18offset_tEEE10hipError_tPvRmT1_PNSt15iterator_traitsISL_E10value_typeET2_T3_PNSM_ISR_E10value_typeET4_jRbjT5_SX_jjP12ihipStream_tbEUlT_E0_NS1_11comp_targetILNS1_3genE5ELNS1_11target_archE942ELNS1_3gpuE9ELNS1_3repE0EEENS1_60segmented_radix_sort_warp_sort_medium_config_static_selectorELNS0_4arch9wavefront6targetE0EEEvSL_,"axG",@progbits,_ZN7rocprim17ROCPRIM_400000_NS6detail17trampoline_kernelINS0_14default_configENS1_36segmented_radix_sort_config_selectorI12hip_bfloat16lEEZNS1_25segmented_radix_sort_implIS3_Lb1EPKS5_PS5_PKlPlN2at6native12_GLOBAL__N_18offset_tEEE10hipError_tPvRmT1_PNSt15iterator_traitsISL_E10value_typeET2_T3_PNSM_ISR_E10value_typeET4_jRbjT5_SX_jjP12ihipStream_tbEUlT_E0_NS1_11comp_targetILNS1_3genE5ELNS1_11target_archE942ELNS1_3gpuE9ELNS1_3repE0EEENS1_60segmented_radix_sort_warp_sort_medium_config_static_selectorELNS0_4arch9wavefront6targetE0EEEvSL_,comdat
	.globl	_ZN7rocprim17ROCPRIM_400000_NS6detail17trampoline_kernelINS0_14default_configENS1_36segmented_radix_sort_config_selectorI12hip_bfloat16lEEZNS1_25segmented_radix_sort_implIS3_Lb1EPKS5_PS5_PKlPlN2at6native12_GLOBAL__N_18offset_tEEE10hipError_tPvRmT1_PNSt15iterator_traitsISL_E10value_typeET2_T3_PNSM_ISR_E10value_typeET4_jRbjT5_SX_jjP12ihipStream_tbEUlT_E0_NS1_11comp_targetILNS1_3genE5ELNS1_11target_archE942ELNS1_3gpuE9ELNS1_3repE0EEENS1_60segmented_radix_sort_warp_sort_medium_config_static_selectorELNS0_4arch9wavefront6targetE0EEEvSL_ ; -- Begin function _ZN7rocprim17ROCPRIM_400000_NS6detail17trampoline_kernelINS0_14default_configENS1_36segmented_radix_sort_config_selectorI12hip_bfloat16lEEZNS1_25segmented_radix_sort_implIS3_Lb1EPKS5_PS5_PKlPlN2at6native12_GLOBAL__N_18offset_tEEE10hipError_tPvRmT1_PNSt15iterator_traitsISL_E10value_typeET2_T3_PNSM_ISR_E10value_typeET4_jRbjT5_SX_jjP12ihipStream_tbEUlT_E0_NS1_11comp_targetILNS1_3genE5ELNS1_11target_archE942ELNS1_3gpuE9ELNS1_3repE0EEENS1_60segmented_radix_sort_warp_sort_medium_config_static_selectorELNS0_4arch9wavefront6targetE0EEEvSL_
	.p2align	8
	.type	_ZN7rocprim17ROCPRIM_400000_NS6detail17trampoline_kernelINS0_14default_configENS1_36segmented_radix_sort_config_selectorI12hip_bfloat16lEEZNS1_25segmented_radix_sort_implIS3_Lb1EPKS5_PS5_PKlPlN2at6native12_GLOBAL__N_18offset_tEEE10hipError_tPvRmT1_PNSt15iterator_traitsISL_E10value_typeET2_T3_PNSM_ISR_E10value_typeET4_jRbjT5_SX_jjP12ihipStream_tbEUlT_E0_NS1_11comp_targetILNS1_3genE5ELNS1_11target_archE942ELNS1_3gpuE9ELNS1_3repE0EEENS1_60segmented_radix_sort_warp_sort_medium_config_static_selectorELNS0_4arch9wavefront6targetE0EEEvSL_,@function
_ZN7rocprim17ROCPRIM_400000_NS6detail17trampoline_kernelINS0_14default_configENS1_36segmented_radix_sort_config_selectorI12hip_bfloat16lEEZNS1_25segmented_radix_sort_implIS3_Lb1EPKS5_PS5_PKlPlN2at6native12_GLOBAL__N_18offset_tEEE10hipError_tPvRmT1_PNSt15iterator_traitsISL_E10value_typeET2_T3_PNSM_ISR_E10value_typeET4_jRbjT5_SX_jjP12ihipStream_tbEUlT_E0_NS1_11comp_targetILNS1_3genE5ELNS1_11target_archE942ELNS1_3gpuE9ELNS1_3repE0EEENS1_60segmented_radix_sort_warp_sort_medium_config_static_selectorELNS0_4arch9wavefront6targetE0EEEvSL_: ; @_ZN7rocprim17ROCPRIM_400000_NS6detail17trampoline_kernelINS0_14default_configENS1_36segmented_radix_sort_config_selectorI12hip_bfloat16lEEZNS1_25segmented_radix_sort_implIS3_Lb1EPKS5_PS5_PKlPlN2at6native12_GLOBAL__N_18offset_tEEE10hipError_tPvRmT1_PNSt15iterator_traitsISL_E10value_typeET2_T3_PNSM_ISR_E10value_typeET4_jRbjT5_SX_jjP12ihipStream_tbEUlT_E0_NS1_11comp_targetILNS1_3genE5ELNS1_11target_archE942ELNS1_3gpuE9ELNS1_3repE0EEENS1_60segmented_radix_sort_warp_sort_medium_config_static_selectorELNS0_4arch9wavefront6targetE0EEEvSL_
; %bb.0:
	.section	.rodata,"a",@progbits
	.p2align	6, 0x0
	.amdhsa_kernel _ZN7rocprim17ROCPRIM_400000_NS6detail17trampoline_kernelINS0_14default_configENS1_36segmented_radix_sort_config_selectorI12hip_bfloat16lEEZNS1_25segmented_radix_sort_implIS3_Lb1EPKS5_PS5_PKlPlN2at6native12_GLOBAL__N_18offset_tEEE10hipError_tPvRmT1_PNSt15iterator_traitsISL_E10value_typeET2_T3_PNSM_ISR_E10value_typeET4_jRbjT5_SX_jjP12ihipStream_tbEUlT_E0_NS1_11comp_targetILNS1_3genE5ELNS1_11target_archE942ELNS1_3gpuE9ELNS1_3repE0EEENS1_60segmented_radix_sort_warp_sort_medium_config_static_selectorELNS0_4arch9wavefront6targetE0EEEvSL_
		.amdhsa_group_segment_fixed_size 0
		.amdhsa_private_segment_fixed_size 0
		.amdhsa_kernarg_size 88
		.amdhsa_user_sgpr_count 15
		.amdhsa_user_sgpr_dispatch_ptr 0
		.amdhsa_user_sgpr_queue_ptr 0
		.amdhsa_user_sgpr_kernarg_segment_ptr 1
		.amdhsa_user_sgpr_dispatch_id 0
		.amdhsa_user_sgpr_private_segment_size 0
		.amdhsa_wavefront_size32 1
		.amdhsa_uses_dynamic_stack 0
		.amdhsa_enable_private_segment 0
		.amdhsa_system_sgpr_workgroup_id_x 1
		.amdhsa_system_sgpr_workgroup_id_y 0
		.amdhsa_system_sgpr_workgroup_id_z 0
		.amdhsa_system_sgpr_workgroup_info 0
		.amdhsa_system_vgpr_workitem_id 0
		.amdhsa_next_free_vgpr 1
		.amdhsa_next_free_sgpr 1
		.amdhsa_reserve_vcc 0
		.amdhsa_float_round_mode_32 0
		.amdhsa_float_round_mode_16_64 0
		.amdhsa_float_denorm_mode_32 3
		.amdhsa_float_denorm_mode_16_64 3
		.amdhsa_dx10_clamp 1
		.amdhsa_ieee_mode 1
		.amdhsa_fp16_overflow 0
		.amdhsa_workgroup_processor_mode 1
		.amdhsa_memory_ordered 1
		.amdhsa_forward_progress 0
		.amdhsa_shared_vgpr_count 0
		.amdhsa_exception_fp_ieee_invalid_op 0
		.amdhsa_exception_fp_denorm_src 0
		.amdhsa_exception_fp_ieee_div_zero 0
		.amdhsa_exception_fp_ieee_overflow 0
		.amdhsa_exception_fp_ieee_underflow 0
		.amdhsa_exception_fp_ieee_inexact 0
		.amdhsa_exception_int_div_zero 0
	.end_amdhsa_kernel
	.section	.text._ZN7rocprim17ROCPRIM_400000_NS6detail17trampoline_kernelINS0_14default_configENS1_36segmented_radix_sort_config_selectorI12hip_bfloat16lEEZNS1_25segmented_radix_sort_implIS3_Lb1EPKS5_PS5_PKlPlN2at6native12_GLOBAL__N_18offset_tEEE10hipError_tPvRmT1_PNSt15iterator_traitsISL_E10value_typeET2_T3_PNSM_ISR_E10value_typeET4_jRbjT5_SX_jjP12ihipStream_tbEUlT_E0_NS1_11comp_targetILNS1_3genE5ELNS1_11target_archE942ELNS1_3gpuE9ELNS1_3repE0EEENS1_60segmented_radix_sort_warp_sort_medium_config_static_selectorELNS0_4arch9wavefront6targetE0EEEvSL_,"axG",@progbits,_ZN7rocprim17ROCPRIM_400000_NS6detail17trampoline_kernelINS0_14default_configENS1_36segmented_radix_sort_config_selectorI12hip_bfloat16lEEZNS1_25segmented_radix_sort_implIS3_Lb1EPKS5_PS5_PKlPlN2at6native12_GLOBAL__N_18offset_tEEE10hipError_tPvRmT1_PNSt15iterator_traitsISL_E10value_typeET2_T3_PNSM_ISR_E10value_typeET4_jRbjT5_SX_jjP12ihipStream_tbEUlT_E0_NS1_11comp_targetILNS1_3genE5ELNS1_11target_archE942ELNS1_3gpuE9ELNS1_3repE0EEENS1_60segmented_radix_sort_warp_sort_medium_config_static_selectorELNS0_4arch9wavefront6targetE0EEEvSL_,comdat
.Lfunc_end1957:
	.size	_ZN7rocprim17ROCPRIM_400000_NS6detail17trampoline_kernelINS0_14default_configENS1_36segmented_radix_sort_config_selectorI12hip_bfloat16lEEZNS1_25segmented_radix_sort_implIS3_Lb1EPKS5_PS5_PKlPlN2at6native12_GLOBAL__N_18offset_tEEE10hipError_tPvRmT1_PNSt15iterator_traitsISL_E10value_typeET2_T3_PNSM_ISR_E10value_typeET4_jRbjT5_SX_jjP12ihipStream_tbEUlT_E0_NS1_11comp_targetILNS1_3genE5ELNS1_11target_archE942ELNS1_3gpuE9ELNS1_3repE0EEENS1_60segmented_radix_sort_warp_sort_medium_config_static_selectorELNS0_4arch9wavefront6targetE0EEEvSL_, .Lfunc_end1957-_ZN7rocprim17ROCPRIM_400000_NS6detail17trampoline_kernelINS0_14default_configENS1_36segmented_radix_sort_config_selectorI12hip_bfloat16lEEZNS1_25segmented_radix_sort_implIS3_Lb1EPKS5_PS5_PKlPlN2at6native12_GLOBAL__N_18offset_tEEE10hipError_tPvRmT1_PNSt15iterator_traitsISL_E10value_typeET2_T3_PNSM_ISR_E10value_typeET4_jRbjT5_SX_jjP12ihipStream_tbEUlT_E0_NS1_11comp_targetILNS1_3genE5ELNS1_11target_archE942ELNS1_3gpuE9ELNS1_3repE0EEENS1_60segmented_radix_sort_warp_sort_medium_config_static_selectorELNS0_4arch9wavefront6targetE0EEEvSL_
                                        ; -- End function
	.section	.AMDGPU.csdata,"",@progbits
; Kernel info:
; codeLenInByte = 0
; NumSgprs: 0
; NumVgprs: 0
; ScratchSize: 0
; MemoryBound: 0
; FloatMode: 240
; IeeeMode: 1
; LDSByteSize: 0 bytes/workgroup (compile time only)
; SGPRBlocks: 0
; VGPRBlocks: 0
; NumSGPRsForWavesPerEU: 1
; NumVGPRsForWavesPerEU: 1
; Occupancy: 16
; WaveLimiterHint : 0
; COMPUTE_PGM_RSRC2:SCRATCH_EN: 0
; COMPUTE_PGM_RSRC2:USER_SGPR: 15
; COMPUTE_PGM_RSRC2:TRAP_HANDLER: 0
; COMPUTE_PGM_RSRC2:TGID_X_EN: 1
; COMPUTE_PGM_RSRC2:TGID_Y_EN: 0
; COMPUTE_PGM_RSRC2:TGID_Z_EN: 0
; COMPUTE_PGM_RSRC2:TIDIG_COMP_CNT: 0
	.section	.text._ZN7rocprim17ROCPRIM_400000_NS6detail17trampoline_kernelINS0_14default_configENS1_36segmented_radix_sort_config_selectorI12hip_bfloat16lEEZNS1_25segmented_radix_sort_implIS3_Lb1EPKS5_PS5_PKlPlN2at6native12_GLOBAL__N_18offset_tEEE10hipError_tPvRmT1_PNSt15iterator_traitsISL_E10value_typeET2_T3_PNSM_ISR_E10value_typeET4_jRbjT5_SX_jjP12ihipStream_tbEUlT_E0_NS1_11comp_targetILNS1_3genE4ELNS1_11target_archE910ELNS1_3gpuE8ELNS1_3repE0EEENS1_60segmented_radix_sort_warp_sort_medium_config_static_selectorELNS0_4arch9wavefront6targetE0EEEvSL_,"axG",@progbits,_ZN7rocprim17ROCPRIM_400000_NS6detail17trampoline_kernelINS0_14default_configENS1_36segmented_radix_sort_config_selectorI12hip_bfloat16lEEZNS1_25segmented_radix_sort_implIS3_Lb1EPKS5_PS5_PKlPlN2at6native12_GLOBAL__N_18offset_tEEE10hipError_tPvRmT1_PNSt15iterator_traitsISL_E10value_typeET2_T3_PNSM_ISR_E10value_typeET4_jRbjT5_SX_jjP12ihipStream_tbEUlT_E0_NS1_11comp_targetILNS1_3genE4ELNS1_11target_archE910ELNS1_3gpuE8ELNS1_3repE0EEENS1_60segmented_radix_sort_warp_sort_medium_config_static_selectorELNS0_4arch9wavefront6targetE0EEEvSL_,comdat
	.globl	_ZN7rocprim17ROCPRIM_400000_NS6detail17trampoline_kernelINS0_14default_configENS1_36segmented_radix_sort_config_selectorI12hip_bfloat16lEEZNS1_25segmented_radix_sort_implIS3_Lb1EPKS5_PS5_PKlPlN2at6native12_GLOBAL__N_18offset_tEEE10hipError_tPvRmT1_PNSt15iterator_traitsISL_E10value_typeET2_T3_PNSM_ISR_E10value_typeET4_jRbjT5_SX_jjP12ihipStream_tbEUlT_E0_NS1_11comp_targetILNS1_3genE4ELNS1_11target_archE910ELNS1_3gpuE8ELNS1_3repE0EEENS1_60segmented_radix_sort_warp_sort_medium_config_static_selectorELNS0_4arch9wavefront6targetE0EEEvSL_ ; -- Begin function _ZN7rocprim17ROCPRIM_400000_NS6detail17trampoline_kernelINS0_14default_configENS1_36segmented_radix_sort_config_selectorI12hip_bfloat16lEEZNS1_25segmented_radix_sort_implIS3_Lb1EPKS5_PS5_PKlPlN2at6native12_GLOBAL__N_18offset_tEEE10hipError_tPvRmT1_PNSt15iterator_traitsISL_E10value_typeET2_T3_PNSM_ISR_E10value_typeET4_jRbjT5_SX_jjP12ihipStream_tbEUlT_E0_NS1_11comp_targetILNS1_3genE4ELNS1_11target_archE910ELNS1_3gpuE8ELNS1_3repE0EEENS1_60segmented_radix_sort_warp_sort_medium_config_static_selectorELNS0_4arch9wavefront6targetE0EEEvSL_
	.p2align	8
	.type	_ZN7rocprim17ROCPRIM_400000_NS6detail17trampoline_kernelINS0_14default_configENS1_36segmented_radix_sort_config_selectorI12hip_bfloat16lEEZNS1_25segmented_radix_sort_implIS3_Lb1EPKS5_PS5_PKlPlN2at6native12_GLOBAL__N_18offset_tEEE10hipError_tPvRmT1_PNSt15iterator_traitsISL_E10value_typeET2_T3_PNSM_ISR_E10value_typeET4_jRbjT5_SX_jjP12ihipStream_tbEUlT_E0_NS1_11comp_targetILNS1_3genE4ELNS1_11target_archE910ELNS1_3gpuE8ELNS1_3repE0EEENS1_60segmented_radix_sort_warp_sort_medium_config_static_selectorELNS0_4arch9wavefront6targetE0EEEvSL_,@function
_ZN7rocprim17ROCPRIM_400000_NS6detail17trampoline_kernelINS0_14default_configENS1_36segmented_radix_sort_config_selectorI12hip_bfloat16lEEZNS1_25segmented_radix_sort_implIS3_Lb1EPKS5_PS5_PKlPlN2at6native12_GLOBAL__N_18offset_tEEE10hipError_tPvRmT1_PNSt15iterator_traitsISL_E10value_typeET2_T3_PNSM_ISR_E10value_typeET4_jRbjT5_SX_jjP12ihipStream_tbEUlT_E0_NS1_11comp_targetILNS1_3genE4ELNS1_11target_archE910ELNS1_3gpuE8ELNS1_3repE0EEENS1_60segmented_radix_sort_warp_sort_medium_config_static_selectorELNS0_4arch9wavefront6targetE0EEEvSL_: ; @_ZN7rocprim17ROCPRIM_400000_NS6detail17trampoline_kernelINS0_14default_configENS1_36segmented_radix_sort_config_selectorI12hip_bfloat16lEEZNS1_25segmented_radix_sort_implIS3_Lb1EPKS5_PS5_PKlPlN2at6native12_GLOBAL__N_18offset_tEEE10hipError_tPvRmT1_PNSt15iterator_traitsISL_E10value_typeET2_T3_PNSM_ISR_E10value_typeET4_jRbjT5_SX_jjP12ihipStream_tbEUlT_E0_NS1_11comp_targetILNS1_3genE4ELNS1_11target_archE910ELNS1_3gpuE8ELNS1_3repE0EEENS1_60segmented_radix_sort_warp_sort_medium_config_static_selectorELNS0_4arch9wavefront6targetE0EEEvSL_
; %bb.0:
	.section	.rodata,"a",@progbits
	.p2align	6, 0x0
	.amdhsa_kernel _ZN7rocprim17ROCPRIM_400000_NS6detail17trampoline_kernelINS0_14default_configENS1_36segmented_radix_sort_config_selectorI12hip_bfloat16lEEZNS1_25segmented_radix_sort_implIS3_Lb1EPKS5_PS5_PKlPlN2at6native12_GLOBAL__N_18offset_tEEE10hipError_tPvRmT1_PNSt15iterator_traitsISL_E10value_typeET2_T3_PNSM_ISR_E10value_typeET4_jRbjT5_SX_jjP12ihipStream_tbEUlT_E0_NS1_11comp_targetILNS1_3genE4ELNS1_11target_archE910ELNS1_3gpuE8ELNS1_3repE0EEENS1_60segmented_radix_sort_warp_sort_medium_config_static_selectorELNS0_4arch9wavefront6targetE0EEEvSL_
		.amdhsa_group_segment_fixed_size 0
		.amdhsa_private_segment_fixed_size 0
		.amdhsa_kernarg_size 88
		.amdhsa_user_sgpr_count 15
		.amdhsa_user_sgpr_dispatch_ptr 0
		.amdhsa_user_sgpr_queue_ptr 0
		.amdhsa_user_sgpr_kernarg_segment_ptr 1
		.amdhsa_user_sgpr_dispatch_id 0
		.amdhsa_user_sgpr_private_segment_size 0
		.amdhsa_wavefront_size32 1
		.amdhsa_uses_dynamic_stack 0
		.amdhsa_enable_private_segment 0
		.amdhsa_system_sgpr_workgroup_id_x 1
		.amdhsa_system_sgpr_workgroup_id_y 0
		.amdhsa_system_sgpr_workgroup_id_z 0
		.amdhsa_system_sgpr_workgroup_info 0
		.amdhsa_system_vgpr_workitem_id 0
		.amdhsa_next_free_vgpr 1
		.amdhsa_next_free_sgpr 1
		.amdhsa_reserve_vcc 0
		.amdhsa_float_round_mode_32 0
		.amdhsa_float_round_mode_16_64 0
		.amdhsa_float_denorm_mode_32 3
		.amdhsa_float_denorm_mode_16_64 3
		.amdhsa_dx10_clamp 1
		.amdhsa_ieee_mode 1
		.amdhsa_fp16_overflow 0
		.amdhsa_workgroup_processor_mode 1
		.amdhsa_memory_ordered 1
		.amdhsa_forward_progress 0
		.amdhsa_shared_vgpr_count 0
		.amdhsa_exception_fp_ieee_invalid_op 0
		.amdhsa_exception_fp_denorm_src 0
		.amdhsa_exception_fp_ieee_div_zero 0
		.amdhsa_exception_fp_ieee_overflow 0
		.amdhsa_exception_fp_ieee_underflow 0
		.amdhsa_exception_fp_ieee_inexact 0
		.amdhsa_exception_int_div_zero 0
	.end_amdhsa_kernel
	.section	.text._ZN7rocprim17ROCPRIM_400000_NS6detail17trampoline_kernelINS0_14default_configENS1_36segmented_radix_sort_config_selectorI12hip_bfloat16lEEZNS1_25segmented_radix_sort_implIS3_Lb1EPKS5_PS5_PKlPlN2at6native12_GLOBAL__N_18offset_tEEE10hipError_tPvRmT1_PNSt15iterator_traitsISL_E10value_typeET2_T3_PNSM_ISR_E10value_typeET4_jRbjT5_SX_jjP12ihipStream_tbEUlT_E0_NS1_11comp_targetILNS1_3genE4ELNS1_11target_archE910ELNS1_3gpuE8ELNS1_3repE0EEENS1_60segmented_radix_sort_warp_sort_medium_config_static_selectorELNS0_4arch9wavefront6targetE0EEEvSL_,"axG",@progbits,_ZN7rocprim17ROCPRIM_400000_NS6detail17trampoline_kernelINS0_14default_configENS1_36segmented_radix_sort_config_selectorI12hip_bfloat16lEEZNS1_25segmented_radix_sort_implIS3_Lb1EPKS5_PS5_PKlPlN2at6native12_GLOBAL__N_18offset_tEEE10hipError_tPvRmT1_PNSt15iterator_traitsISL_E10value_typeET2_T3_PNSM_ISR_E10value_typeET4_jRbjT5_SX_jjP12ihipStream_tbEUlT_E0_NS1_11comp_targetILNS1_3genE4ELNS1_11target_archE910ELNS1_3gpuE8ELNS1_3repE0EEENS1_60segmented_radix_sort_warp_sort_medium_config_static_selectorELNS0_4arch9wavefront6targetE0EEEvSL_,comdat
.Lfunc_end1958:
	.size	_ZN7rocprim17ROCPRIM_400000_NS6detail17trampoline_kernelINS0_14default_configENS1_36segmented_radix_sort_config_selectorI12hip_bfloat16lEEZNS1_25segmented_radix_sort_implIS3_Lb1EPKS5_PS5_PKlPlN2at6native12_GLOBAL__N_18offset_tEEE10hipError_tPvRmT1_PNSt15iterator_traitsISL_E10value_typeET2_T3_PNSM_ISR_E10value_typeET4_jRbjT5_SX_jjP12ihipStream_tbEUlT_E0_NS1_11comp_targetILNS1_3genE4ELNS1_11target_archE910ELNS1_3gpuE8ELNS1_3repE0EEENS1_60segmented_radix_sort_warp_sort_medium_config_static_selectorELNS0_4arch9wavefront6targetE0EEEvSL_, .Lfunc_end1958-_ZN7rocprim17ROCPRIM_400000_NS6detail17trampoline_kernelINS0_14default_configENS1_36segmented_radix_sort_config_selectorI12hip_bfloat16lEEZNS1_25segmented_radix_sort_implIS3_Lb1EPKS5_PS5_PKlPlN2at6native12_GLOBAL__N_18offset_tEEE10hipError_tPvRmT1_PNSt15iterator_traitsISL_E10value_typeET2_T3_PNSM_ISR_E10value_typeET4_jRbjT5_SX_jjP12ihipStream_tbEUlT_E0_NS1_11comp_targetILNS1_3genE4ELNS1_11target_archE910ELNS1_3gpuE8ELNS1_3repE0EEENS1_60segmented_radix_sort_warp_sort_medium_config_static_selectorELNS0_4arch9wavefront6targetE0EEEvSL_
                                        ; -- End function
	.section	.AMDGPU.csdata,"",@progbits
; Kernel info:
; codeLenInByte = 0
; NumSgprs: 0
; NumVgprs: 0
; ScratchSize: 0
; MemoryBound: 0
; FloatMode: 240
; IeeeMode: 1
; LDSByteSize: 0 bytes/workgroup (compile time only)
; SGPRBlocks: 0
; VGPRBlocks: 0
; NumSGPRsForWavesPerEU: 1
; NumVGPRsForWavesPerEU: 1
; Occupancy: 16
; WaveLimiterHint : 0
; COMPUTE_PGM_RSRC2:SCRATCH_EN: 0
; COMPUTE_PGM_RSRC2:USER_SGPR: 15
; COMPUTE_PGM_RSRC2:TRAP_HANDLER: 0
; COMPUTE_PGM_RSRC2:TGID_X_EN: 1
; COMPUTE_PGM_RSRC2:TGID_Y_EN: 0
; COMPUTE_PGM_RSRC2:TGID_Z_EN: 0
; COMPUTE_PGM_RSRC2:TIDIG_COMP_CNT: 0
	.section	.text._ZN7rocprim17ROCPRIM_400000_NS6detail17trampoline_kernelINS0_14default_configENS1_36segmented_radix_sort_config_selectorI12hip_bfloat16lEEZNS1_25segmented_radix_sort_implIS3_Lb1EPKS5_PS5_PKlPlN2at6native12_GLOBAL__N_18offset_tEEE10hipError_tPvRmT1_PNSt15iterator_traitsISL_E10value_typeET2_T3_PNSM_ISR_E10value_typeET4_jRbjT5_SX_jjP12ihipStream_tbEUlT_E0_NS1_11comp_targetILNS1_3genE3ELNS1_11target_archE908ELNS1_3gpuE7ELNS1_3repE0EEENS1_60segmented_radix_sort_warp_sort_medium_config_static_selectorELNS0_4arch9wavefront6targetE0EEEvSL_,"axG",@progbits,_ZN7rocprim17ROCPRIM_400000_NS6detail17trampoline_kernelINS0_14default_configENS1_36segmented_radix_sort_config_selectorI12hip_bfloat16lEEZNS1_25segmented_radix_sort_implIS3_Lb1EPKS5_PS5_PKlPlN2at6native12_GLOBAL__N_18offset_tEEE10hipError_tPvRmT1_PNSt15iterator_traitsISL_E10value_typeET2_T3_PNSM_ISR_E10value_typeET4_jRbjT5_SX_jjP12ihipStream_tbEUlT_E0_NS1_11comp_targetILNS1_3genE3ELNS1_11target_archE908ELNS1_3gpuE7ELNS1_3repE0EEENS1_60segmented_radix_sort_warp_sort_medium_config_static_selectorELNS0_4arch9wavefront6targetE0EEEvSL_,comdat
	.globl	_ZN7rocprim17ROCPRIM_400000_NS6detail17trampoline_kernelINS0_14default_configENS1_36segmented_radix_sort_config_selectorI12hip_bfloat16lEEZNS1_25segmented_radix_sort_implIS3_Lb1EPKS5_PS5_PKlPlN2at6native12_GLOBAL__N_18offset_tEEE10hipError_tPvRmT1_PNSt15iterator_traitsISL_E10value_typeET2_T3_PNSM_ISR_E10value_typeET4_jRbjT5_SX_jjP12ihipStream_tbEUlT_E0_NS1_11comp_targetILNS1_3genE3ELNS1_11target_archE908ELNS1_3gpuE7ELNS1_3repE0EEENS1_60segmented_radix_sort_warp_sort_medium_config_static_selectorELNS0_4arch9wavefront6targetE0EEEvSL_ ; -- Begin function _ZN7rocprim17ROCPRIM_400000_NS6detail17trampoline_kernelINS0_14default_configENS1_36segmented_radix_sort_config_selectorI12hip_bfloat16lEEZNS1_25segmented_radix_sort_implIS3_Lb1EPKS5_PS5_PKlPlN2at6native12_GLOBAL__N_18offset_tEEE10hipError_tPvRmT1_PNSt15iterator_traitsISL_E10value_typeET2_T3_PNSM_ISR_E10value_typeET4_jRbjT5_SX_jjP12ihipStream_tbEUlT_E0_NS1_11comp_targetILNS1_3genE3ELNS1_11target_archE908ELNS1_3gpuE7ELNS1_3repE0EEENS1_60segmented_radix_sort_warp_sort_medium_config_static_selectorELNS0_4arch9wavefront6targetE0EEEvSL_
	.p2align	8
	.type	_ZN7rocprim17ROCPRIM_400000_NS6detail17trampoline_kernelINS0_14default_configENS1_36segmented_radix_sort_config_selectorI12hip_bfloat16lEEZNS1_25segmented_radix_sort_implIS3_Lb1EPKS5_PS5_PKlPlN2at6native12_GLOBAL__N_18offset_tEEE10hipError_tPvRmT1_PNSt15iterator_traitsISL_E10value_typeET2_T3_PNSM_ISR_E10value_typeET4_jRbjT5_SX_jjP12ihipStream_tbEUlT_E0_NS1_11comp_targetILNS1_3genE3ELNS1_11target_archE908ELNS1_3gpuE7ELNS1_3repE0EEENS1_60segmented_radix_sort_warp_sort_medium_config_static_selectorELNS0_4arch9wavefront6targetE0EEEvSL_,@function
_ZN7rocprim17ROCPRIM_400000_NS6detail17trampoline_kernelINS0_14default_configENS1_36segmented_radix_sort_config_selectorI12hip_bfloat16lEEZNS1_25segmented_radix_sort_implIS3_Lb1EPKS5_PS5_PKlPlN2at6native12_GLOBAL__N_18offset_tEEE10hipError_tPvRmT1_PNSt15iterator_traitsISL_E10value_typeET2_T3_PNSM_ISR_E10value_typeET4_jRbjT5_SX_jjP12ihipStream_tbEUlT_E0_NS1_11comp_targetILNS1_3genE3ELNS1_11target_archE908ELNS1_3gpuE7ELNS1_3repE0EEENS1_60segmented_radix_sort_warp_sort_medium_config_static_selectorELNS0_4arch9wavefront6targetE0EEEvSL_: ; @_ZN7rocprim17ROCPRIM_400000_NS6detail17trampoline_kernelINS0_14default_configENS1_36segmented_radix_sort_config_selectorI12hip_bfloat16lEEZNS1_25segmented_radix_sort_implIS3_Lb1EPKS5_PS5_PKlPlN2at6native12_GLOBAL__N_18offset_tEEE10hipError_tPvRmT1_PNSt15iterator_traitsISL_E10value_typeET2_T3_PNSM_ISR_E10value_typeET4_jRbjT5_SX_jjP12ihipStream_tbEUlT_E0_NS1_11comp_targetILNS1_3genE3ELNS1_11target_archE908ELNS1_3gpuE7ELNS1_3repE0EEENS1_60segmented_radix_sort_warp_sort_medium_config_static_selectorELNS0_4arch9wavefront6targetE0EEEvSL_
; %bb.0:
	.section	.rodata,"a",@progbits
	.p2align	6, 0x0
	.amdhsa_kernel _ZN7rocprim17ROCPRIM_400000_NS6detail17trampoline_kernelINS0_14default_configENS1_36segmented_radix_sort_config_selectorI12hip_bfloat16lEEZNS1_25segmented_radix_sort_implIS3_Lb1EPKS5_PS5_PKlPlN2at6native12_GLOBAL__N_18offset_tEEE10hipError_tPvRmT1_PNSt15iterator_traitsISL_E10value_typeET2_T3_PNSM_ISR_E10value_typeET4_jRbjT5_SX_jjP12ihipStream_tbEUlT_E0_NS1_11comp_targetILNS1_3genE3ELNS1_11target_archE908ELNS1_3gpuE7ELNS1_3repE0EEENS1_60segmented_radix_sort_warp_sort_medium_config_static_selectorELNS0_4arch9wavefront6targetE0EEEvSL_
		.amdhsa_group_segment_fixed_size 0
		.amdhsa_private_segment_fixed_size 0
		.amdhsa_kernarg_size 88
		.amdhsa_user_sgpr_count 15
		.amdhsa_user_sgpr_dispatch_ptr 0
		.amdhsa_user_sgpr_queue_ptr 0
		.amdhsa_user_sgpr_kernarg_segment_ptr 1
		.amdhsa_user_sgpr_dispatch_id 0
		.amdhsa_user_sgpr_private_segment_size 0
		.amdhsa_wavefront_size32 1
		.amdhsa_uses_dynamic_stack 0
		.amdhsa_enable_private_segment 0
		.amdhsa_system_sgpr_workgroup_id_x 1
		.amdhsa_system_sgpr_workgroup_id_y 0
		.amdhsa_system_sgpr_workgroup_id_z 0
		.amdhsa_system_sgpr_workgroup_info 0
		.amdhsa_system_vgpr_workitem_id 0
		.amdhsa_next_free_vgpr 1
		.amdhsa_next_free_sgpr 1
		.amdhsa_reserve_vcc 0
		.amdhsa_float_round_mode_32 0
		.amdhsa_float_round_mode_16_64 0
		.amdhsa_float_denorm_mode_32 3
		.amdhsa_float_denorm_mode_16_64 3
		.amdhsa_dx10_clamp 1
		.amdhsa_ieee_mode 1
		.amdhsa_fp16_overflow 0
		.amdhsa_workgroup_processor_mode 1
		.amdhsa_memory_ordered 1
		.amdhsa_forward_progress 0
		.amdhsa_shared_vgpr_count 0
		.amdhsa_exception_fp_ieee_invalid_op 0
		.amdhsa_exception_fp_denorm_src 0
		.amdhsa_exception_fp_ieee_div_zero 0
		.amdhsa_exception_fp_ieee_overflow 0
		.amdhsa_exception_fp_ieee_underflow 0
		.amdhsa_exception_fp_ieee_inexact 0
		.amdhsa_exception_int_div_zero 0
	.end_amdhsa_kernel
	.section	.text._ZN7rocprim17ROCPRIM_400000_NS6detail17trampoline_kernelINS0_14default_configENS1_36segmented_radix_sort_config_selectorI12hip_bfloat16lEEZNS1_25segmented_radix_sort_implIS3_Lb1EPKS5_PS5_PKlPlN2at6native12_GLOBAL__N_18offset_tEEE10hipError_tPvRmT1_PNSt15iterator_traitsISL_E10value_typeET2_T3_PNSM_ISR_E10value_typeET4_jRbjT5_SX_jjP12ihipStream_tbEUlT_E0_NS1_11comp_targetILNS1_3genE3ELNS1_11target_archE908ELNS1_3gpuE7ELNS1_3repE0EEENS1_60segmented_radix_sort_warp_sort_medium_config_static_selectorELNS0_4arch9wavefront6targetE0EEEvSL_,"axG",@progbits,_ZN7rocprim17ROCPRIM_400000_NS6detail17trampoline_kernelINS0_14default_configENS1_36segmented_radix_sort_config_selectorI12hip_bfloat16lEEZNS1_25segmented_radix_sort_implIS3_Lb1EPKS5_PS5_PKlPlN2at6native12_GLOBAL__N_18offset_tEEE10hipError_tPvRmT1_PNSt15iterator_traitsISL_E10value_typeET2_T3_PNSM_ISR_E10value_typeET4_jRbjT5_SX_jjP12ihipStream_tbEUlT_E0_NS1_11comp_targetILNS1_3genE3ELNS1_11target_archE908ELNS1_3gpuE7ELNS1_3repE0EEENS1_60segmented_radix_sort_warp_sort_medium_config_static_selectorELNS0_4arch9wavefront6targetE0EEEvSL_,comdat
.Lfunc_end1959:
	.size	_ZN7rocprim17ROCPRIM_400000_NS6detail17trampoline_kernelINS0_14default_configENS1_36segmented_radix_sort_config_selectorI12hip_bfloat16lEEZNS1_25segmented_radix_sort_implIS3_Lb1EPKS5_PS5_PKlPlN2at6native12_GLOBAL__N_18offset_tEEE10hipError_tPvRmT1_PNSt15iterator_traitsISL_E10value_typeET2_T3_PNSM_ISR_E10value_typeET4_jRbjT5_SX_jjP12ihipStream_tbEUlT_E0_NS1_11comp_targetILNS1_3genE3ELNS1_11target_archE908ELNS1_3gpuE7ELNS1_3repE0EEENS1_60segmented_radix_sort_warp_sort_medium_config_static_selectorELNS0_4arch9wavefront6targetE0EEEvSL_, .Lfunc_end1959-_ZN7rocprim17ROCPRIM_400000_NS6detail17trampoline_kernelINS0_14default_configENS1_36segmented_radix_sort_config_selectorI12hip_bfloat16lEEZNS1_25segmented_radix_sort_implIS3_Lb1EPKS5_PS5_PKlPlN2at6native12_GLOBAL__N_18offset_tEEE10hipError_tPvRmT1_PNSt15iterator_traitsISL_E10value_typeET2_T3_PNSM_ISR_E10value_typeET4_jRbjT5_SX_jjP12ihipStream_tbEUlT_E0_NS1_11comp_targetILNS1_3genE3ELNS1_11target_archE908ELNS1_3gpuE7ELNS1_3repE0EEENS1_60segmented_radix_sort_warp_sort_medium_config_static_selectorELNS0_4arch9wavefront6targetE0EEEvSL_
                                        ; -- End function
	.section	.AMDGPU.csdata,"",@progbits
; Kernel info:
; codeLenInByte = 0
; NumSgprs: 0
; NumVgprs: 0
; ScratchSize: 0
; MemoryBound: 0
; FloatMode: 240
; IeeeMode: 1
; LDSByteSize: 0 bytes/workgroup (compile time only)
; SGPRBlocks: 0
; VGPRBlocks: 0
; NumSGPRsForWavesPerEU: 1
; NumVGPRsForWavesPerEU: 1
; Occupancy: 16
; WaveLimiterHint : 0
; COMPUTE_PGM_RSRC2:SCRATCH_EN: 0
; COMPUTE_PGM_RSRC2:USER_SGPR: 15
; COMPUTE_PGM_RSRC2:TRAP_HANDLER: 0
; COMPUTE_PGM_RSRC2:TGID_X_EN: 1
; COMPUTE_PGM_RSRC2:TGID_Y_EN: 0
; COMPUTE_PGM_RSRC2:TGID_Z_EN: 0
; COMPUTE_PGM_RSRC2:TIDIG_COMP_CNT: 0
	.section	.text._ZN7rocprim17ROCPRIM_400000_NS6detail17trampoline_kernelINS0_14default_configENS1_36segmented_radix_sort_config_selectorI12hip_bfloat16lEEZNS1_25segmented_radix_sort_implIS3_Lb1EPKS5_PS5_PKlPlN2at6native12_GLOBAL__N_18offset_tEEE10hipError_tPvRmT1_PNSt15iterator_traitsISL_E10value_typeET2_T3_PNSM_ISR_E10value_typeET4_jRbjT5_SX_jjP12ihipStream_tbEUlT_E0_NS1_11comp_targetILNS1_3genE2ELNS1_11target_archE906ELNS1_3gpuE6ELNS1_3repE0EEENS1_60segmented_radix_sort_warp_sort_medium_config_static_selectorELNS0_4arch9wavefront6targetE0EEEvSL_,"axG",@progbits,_ZN7rocprim17ROCPRIM_400000_NS6detail17trampoline_kernelINS0_14default_configENS1_36segmented_radix_sort_config_selectorI12hip_bfloat16lEEZNS1_25segmented_radix_sort_implIS3_Lb1EPKS5_PS5_PKlPlN2at6native12_GLOBAL__N_18offset_tEEE10hipError_tPvRmT1_PNSt15iterator_traitsISL_E10value_typeET2_T3_PNSM_ISR_E10value_typeET4_jRbjT5_SX_jjP12ihipStream_tbEUlT_E0_NS1_11comp_targetILNS1_3genE2ELNS1_11target_archE906ELNS1_3gpuE6ELNS1_3repE0EEENS1_60segmented_radix_sort_warp_sort_medium_config_static_selectorELNS0_4arch9wavefront6targetE0EEEvSL_,comdat
	.globl	_ZN7rocprim17ROCPRIM_400000_NS6detail17trampoline_kernelINS0_14default_configENS1_36segmented_radix_sort_config_selectorI12hip_bfloat16lEEZNS1_25segmented_radix_sort_implIS3_Lb1EPKS5_PS5_PKlPlN2at6native12_GLOBAL__N_18offset_tEEE10hipError_tPvRmT1_PNSt15iterator_traitsISL_E10value_typeET2_T3_PNSM_ISR_E10value_typeET4_jRbjT5_SX_jjP12ihipStream_tbEUlT_E0_NS1_11comp_targetILNS1_3genE2ELNS1_11target_archE906ELNS1_3gpuE6ELNS1_3repE0EEENS1_60segmented_radix_sort_warp_sort_medium_config_static_selectorELNS0_4arch9wavefront6targetE0EEEvSL_ ; -- Begin function _ZN7rocprim17ROCPRIM_400000_NS6detail17trampoline_kernelINS0_14default_configENS1_36segmented_radix_sort_config_selectorI12hip_bfloat16lEEZNS1_25segmented_radix_sort_implIS3_Lb1EPKS5_PS5_PKlPlN2at6native12_GLOBAL__N_18offset_tEEE10hipError_tPvRmT1_PNSt15iterator_traitsISL_E10value_typeET2_T3_PNSM_ISR_E10value_typeET4_jRbjT5_SX_jjP12ihipStream_tbEUlT_E0_NS1_11comp_targetILNS1_3genE2ELNS1_11target_archE906ELNS1_3gpuE6ELNS1_3repE0EEENS1_60segmented_radix_sort_warp_sort_medium_config_static_selectorELNS0_4arch9wavefront6targetE0EEEvSL_
	.p2align	8
	.type	_ZN7rocprim17ROCPRIM_400000_NS6detail17trampoline_kernelINS0_14default_configENS1_36segmented_radix_sort_config_selectorI12hip_bfloat16lEEZNS1_25segmented_radix_sort_implIS3_Lb1EPKS5_PS5_PKlPlN2at6native12_GLOBAL__N_18offset_tEEE10hipError_tPvRmT1_PNSt15iterator_traitsISL_E10value_typeET2_T3_PNSM_ISR_E10value_typeET4_jRbjT5_SX_jjP12ihipStream_tbEUlT_E0_NS1_11comp_targetILNS1_3genE2ELNS1_11target_archE906ELNS1_3gpuE6ELNS1_3repE0EEENS1_60segmented_radix_sort_warp_sort_medium_config_static_selectorELNS0_4arch9wavefront6targetE0EEEvSL_,@function
_ZN7rocprim17ROCPRIM_400000_NS6detail17trampoline_kernelINS0_14default_configENS1_36segmented_radix_sort_config_selectorI12hip_bfloat16lEEZNS1_25segmented_radix_sort_implIS3_Lb1EPKS5_PS5_PKlPlN2at6native12_GLOBAL__N_18offset_tEEE10hipError_tPvRmT1_PNSt15iterator_traitsISL_E10value_typeET2_T3_PNSM_ISR_E10value_typeET4_jRbjT5_SX_jjP12ihipStream_tbEUlT_E0_NS1_11comp_targetILNS1_3genE2ELNS1_11target_archE906ELNS1_3gpuE6ELNS1_3repE0EEENS1_60segmented_radix_sort_warp_sort_medium_config_static_selectorELNS0_4arch9wavefront6targetE0EEEvSL_: ; @_ZN7rocprim17ROCPRIM_400000_NS6detail17trampoline_kernelINS0_14default_configENS1_36segmented_radix_sort_config_selectorI12hip_bfloat16lEEZNS1_25segmented_radix_sort_implIS3_Lb1EPKS5_PS5_PKlPlN2at6native12_GLOBAL__N_18offset_tEEE10hipError_tPvRmT1_PNSt15iterator_traitsISL_E10value_typeET2_T3_PNSM_ISR_E10value_typeET4_jRbjT5_SX_jjP12ihipStream_tbEUlT_E0_NS1_11comp_targetILNS1_3genE2ELNS1_11target_archE906ELNS1_3gpuE6ELNS1_3repE0EEENS1_60segmented_radix_sort_warp_sort_medium_config_static_selectorELNS0_4arch9wavefront6targetE0EEEvSL_
; %bb.0:
	.section	.rodata,"a",@progbits
	.p2align	6, 0x0
	.amdhsa_kernel _ZN7rocprim17ROCPRIM_400000_NS6detail17trampoline_kernelINS0_14default_configENS1_36segmented_radix_sort_config_selectorI12hip_bfloat16lEEZNS1_25segmented_radix_sort_implIS3_Lb1EPKS5_PS5_PKlPlN2at6native12_GLOBAL__N_18offset_tEEE10hipError_tPvRmT1_PNSt15iterator_traitsISL_E10value_typeET2_T3_PNSM_ISR_E10value_typeET4_jRbjT5_SX_jjP12ihipStream_tbEUlT_E0_NS1_11comp_targetILNS1_3genE2ELNS1_11target_archE906ELNS1_3gpuE6ELNS1_3repE0EEENS1_60segmented_radix_sort_warp_sort_medium_config_static_selectorELNS0_4arch9wavefront6targetE0EEEvSL_
		.amdhsa_group_segment_fixed_size 0
		.amdhsa_private_segment_fixed_size 0
		.amdhsa_kernarg_size 88
		.amdhsa_user_sgpr_count 15
		.amdhsa_user_sgpr_dispatch_ptr 0
		.amdhsa_user_sgpr_queue_ptr 0
		.amdhsa_user_sgpr_kernarg_segment_ptr 1
		.amdhsa_user_sgpr_dispatch_id 0
		.amdhsa_user_sgpr_private_segment_size 0
		.amdhsa_wavefront_size32 1
		.amdhsa_uses_dynamic_stack 0
		.amdhsa_enable_private_segment 0
		.amdhsa_system_sgpr_workgroup_id_x 1
		.amdhsa_system_sgpr_workgroup_id_y 0
		.amdhsa_system_sgpr_workgroup_id_z 0
		.amdhsa_system_sgpr_workgroup_info 0
		.amdhsa_system_vgpr_workitem_id 0
		.amdhsa_next_free_vgpr 1
		.amdhsa_next_free_sgpr 1
		.amdhsa_reserve_vcc 0
		.amdhsa_float_round_mode_32 0
		.amdhsa_float_round_mode_16_64 0
		.amdhsa_float_denorm_mode_32 3
		.amdhsa_float_denorm_mode_16_64 3
		.amdhsa_dx10_clamp 1
		.amdhsa_ieee_mode 1
		.amdhsa_fp16_overflow 0
		.amdhsa_workgroup_processor_mode 1
		.amdhsa_memory_ordered 1
		.amdhsa_forward_progress 0
		.amdhsa_shared_vgpr_count 0
		.amdhsa_exception_fp_ieee_invalid_op 0
		.amdhsa_exception_fp_denorm_src 0
		.amdhsa_exception_fp_ieee_div_zero 0
		.amdhsa_exception_fp_ieee_overflow 0
		.amdhsa_exception_fp_ieee_underflow 0
		.amdhsa_exception_fp_ieee_inexact 0
		.amdhsa_exception_int_div_zero 0
	.end_amdhsa_kernel
	.section	.text._ZN7rocprim17ROCPRIM_400000_NS6detail17trampoline_kernelINS0_14default_configENS1_36segmented_radix_sort_config_selectorI12hip_bfloat16lEEZNS1_25segmented_radix_sort_implIS3_Lb1EPKS5_PS5_PKlPlN2at6native12_GLOBAL__N_18offset_tEEE10hipError_tPvRmT1_PNSt15iterator_traitsISL_E10value_typeET2_T3_PNSM_ISR_E10value_typeET4_jRbjT5_SX_jjP12ihipStream_tbEUlT_E0_NS1_11comp_targetILNS1_3genE2ELNS1_11target_archE906ELNS1_3gpuE6ELNS1_3repE0EEENS1_60segmented_radix_sort_warp_sort_medium_config_static_selectorELNS0_4arch9wavefront6targetE0EEEvSL_,"axG",@progbits,_ZN7rocprim17ROCPRIM_400000_NS6detail17trampoline_kernelINS0_14default_configENS1_36segmented_radix_sort_config_selectorI12hip_bfloat16lEEZNS1_25segmented_radix_sort_implIS3_Lb1EPKS5_PS5_PKlPlN2at6native12_GLOBAL__N_18offset_tEEE10hipError_tPvRmT1_PNSt15iterator_traitsISL_E10value_typeET2_T3_PNSM_ISR_E10value_typeET4_jRbjT5_SX_jjP12ihipStream_tbEUlT_E0_NS1_11comp_targetILNS1_3genE2ELNS1_11target_archE906ELNS1_3gpuE6ELNS1_3repE0EEENS1_60segmented_radix_sort_warp_sort_medium_config_static_selectorELNS0_4arch9wavefront6targetE0EEEvSL_,comdat
.Lfunc_end1960:
	.size	_ZN7rocprim17ROCPRIM_400000_NS6detail17trampoline_kernelINS0_14default_configENS1_36segmented_radix_sort_config_selectorI12hip_bfloat16lEEZNS1_25segmented_radix_sort_implIS3_Lb1EPKS5_PS5_PKlPlN2at6native12_GLOBAL__N_18offset_tEEE10hipError_tPvRmT1_PNSt15iterator_traitsISL_E10value_typeET2_T3_PNSM_ISR_E10value_typeET4_jRbjT5_SX_jjP12ihipStream_tbEUlT_E0_NS1_11comp_targetILNS1_3genE2ELNS1_11target_archE906ELNS1_3gpuE6ELNS1_3repE0EEENS1_60segmented_radix_sort_warp_sort_medium_config_static_selectorELNS0_4arch9wavefront6targetE0EEEvSL_, .Lfunc_end1960-_ZN7rocprim17ROCPRIM_400000_NS6detail17trampoline_kernelINS0_14default_configENS1_36segmented_radix_sort_config_selectorI12hip_bfloat16lEEZNS1_25segmented_radix_sort_implIS3_Lb1EPKS5_PS5_PKlPlN2at6native12_GLOBAL__N_18offset_tEEE10hipError_tPvRmT1_PNSt15iterator_traitsISL_E10value_typeET2_T3_PNSM_ISR_E10value_typeET4_jRbjT5_SX_jjP12ihipStream_tbEUlT_E0_NS1_11comp_targetILNS1_3genE2ELNS1_11target_archE906ELNS1_3gpuE6ELNS1_3repE0EEENS1_60segmented_radix_sort_warp_sort_medium_config_static_selectorELNS0_4arch9wavefront6targetE0EEEvSL_
                                        ; -- End function
	.section	.AMDGPU.csdata,"",@progbits
; Kernel info:
; codeLenInByte = 0
; NumSgprs: 0
; NumVgprs: 0
; ScratchSize: 0
; MemoryBound: 0
; FloatMode: 240
; IeeeMode: 1
; LDSByteSize: 0 bytes/workgroup (compile time only)
; SGPRBlocks: 0
; VGPRBlocks: 0
; NumSGPRsForWavesPerEU: 1
; NumVGPRsForWavesPerEU: 1
; Occupancy: 16
; WaveLimiterHint : 0
; COMPUTE_PGM_RSRC2:SCRATCH_EN: 0
; COMPUTE_PGM_RSRC2:USER_SGPR: 15
; COMPUTE_PGM_RSRC2:TRAP_HANDLER: 0
; COMPUTE_PGM_RSRC2:TGID_X_EN: 1
; COMPUTE_PGM_RSRC2:TGID_Y_EN: 0
; COMPUTE_PGM_RSRC2:TGID_Z_EN: 0
; COMPUTE_PGM_RSRC2:TIDIG_COMP_CNT: 0
	.section	.text._ZN7rocprim17ROCPRIM_400000_NS6detail17trampoline_kernelINS0_14default_configENS1_36segmented_radix_sort_config_selectorI12hip_bfloat16lEEZNS1_25segmented_radix_sort_implIS3_Lb1EPKS5_PS5_PKlPlN2at6native12_GLOBAL__N_18offset_tEEE10hipError_tPvRmT1_PNSt15iterator_traitsISL_E10value_typeET2_T3_PNSM_ISR_E10value_typeET4_jRbjT5_SX_jjP12ihipStream_tbEUlT_E0_NS1_11comp_targetILNS1_3genE10ELNS1_11target_archE1201ELNS1_3gpuE5ELNS1_3repE0EEENS1_60segmented_radix_sort_warp_sort_medium_config_static_selectorELNS0_4arch9wavefront6targetE0EEEvSL_,"axG",@progbits,_ZN7rocprim17ROCPRIM_400000_NS6detail17trampoline_kernelINS0_14default_configENS1_36segmented_radix_sort_config_selectorI12hip_bfloat16lEEZNS1_25segmented_radix_sort_implIS3_Lb1EPKS5_PS5_PKlPlN2at6native12_GLOBAL__N_18offset_tEEE10hipError_tPvRmT1_PNSt15iterator_traitsISL_E10value_typeET2_T3_PNSM_ISR_E10value_typeET4_jRbjT5_SX_jjP12ihipStream_tbEUlT_E0_NS1_11comp_targetILNS1_3genE10ELNS1_11target_archE1201ELNS1_3gpuE5ELNS1_3repE0EEENS1_60segmented_radix_sort_warp_sort_medium_config_static_selectorELNS0_4arch9wavefront6targetE0EEEvSL_,comdat
	.globl	_ZN7rocprim17ROCPRIM_400000_NS6detail17trampoline_kernelINS0_14default_configENS1_36segmented_radix_sort_config_selectorI12hip_bfloat16lEEZNS1_25segmented_radix_sort_implIS3_Lb1EPKS5_PS5_PKlPlN2at6native12_GLOBAL__N_18offset_tEEE10hipError_tPvRmT1_PNSt15iterator_traitsISL_E10value_typeET2_T3_PNSM_ISR_E10value_typeET4_jRbjT5_SX_jjP12ihipStream_tbEUlT_E0_NS1_11comp_targetILNS1_3genE10ELNS1_11target_archE1201ELNS1_3gpuE5ELNS1_3repE0EEENS1_60segmented_radix_sort_warp_sort_medium_config_static_selectorELNS0_4arch9wavefront6targetE0EEEvSL_ ; -- Begin function _ZN7rocprim17ROCPRIM_400000_NS6detail17trampoline_kernelINS0_14default_configENS1_36segmented_radix_sort_config_selectorI12hip_bfloat16lEEZNS1_25segmented_radix_sort_implIS3_Lb1EPKS5_PS5_PKlPlN2at6native12_GLOBAL__N_18offset_tEEE10hipError_tPvRmT1_PNSt15iterator_traitsISL_E10value_typeET2_T3_PNSM_ISR_E10value_typeET4_jRbjT5_SX_jjP12ihipStream_tbEUlT_E0_NS1_11comp_targetILNS1_3genE10ELNS1_11target_archE1201ELNS1_3gpuE5ELNS1_3repE0EEENS1_60segmented_radix_sort_warp_sort_medium_config_static_selectorELNS0_4arch9wavefront6targetE0EEEvSL_
	.p2align	8
	.type	_ZN7rocprim17ROCPRIM_400000_NS6detail17trampoline_kernelINS0_14default_configENS1_36segmented_radix_sort_config_selectorI12hip_bfloat16lEEZNS1_25segmented_radix_sort_implIS3_Lb1EPKS5_PS5_PKlPlN2at6native12_GLOBAL__N_18offset_tEEE10hipError_tPvRmT1_PNSt15iterator_traitsISL_E10value_typeET2_T3_PNSM_ISR_E10value_typeET4_jRbjT5_SX_jjP12ihipStream_tbEUlT_E0_NS1_11comp_targetILNS1_3genE10ELNS1_11target_archE1201ELNS1_3gpuE5ELNS1_3repE0EEENS1_60segmented_radix_sort_warp_sort_medium_config_static_selectorELNS0_4arch9wavefront6targetE0EEEvSL_,@function
_ZN7rocprim17ROCPRIM_400000_NS6detail17trampoline_kernelINS0_14default_configENS1_36segmented_radix_sort_config_selectorI12hip_bfloat16lEEZNS1_25segmented_radix_sort_implIS3_Lb1EPKS5_PS5_PKlPlN2at6native12_GLOBAL__N_18offset_tEEE10hipError_tPvRmT1_PNSt15iterator_traitsISL_E10value_typeET2_T3_PNSM_ISR_E10value_typeET4_jRbjT5_SX_jjP12ihipStream_tbEUlT_E0_NS1_11comp_targetILNS1_3genE10ELNS1_11target_archE1201ELNS1_3gpuE5ELNS1_3repE0EEENS1_60segmented_radix_sort_warp_sort_medium_config_static_selectorELNS0_4arch9wavefront6targetE0EEEvSL_: ; @_ZN7rocprim17ROCPRIM_400000_NS6detail17trampoline_kernelINS0_14default_configENS1_36segmented_radix_sort_config_selectorI12hip_bfloat16lEEZNS1_25segmented_radix_sort_implIS3_Lb1EPKS5_PS5_PKlPlN2at6native12_GLOBAL__N_18offset_tEEE10hipError_tPvRmT1_PNSt15iterator_traitsISL_E10value_typeET2_T3_PNSM_ISR_E10value_typeET4_jRbjT5_SX_jjP12ihipStream_tbEUlT_E0_NS1_11comp_targetILNS1_3genE10ELNS1_11target_archE1201ELNS1_3gpuE5ELNS1_3repE0EEENS1_60segmented_radix_sort_warp_sort_medium_config_static_selectorELNS0_4arch9wavefront6targetE0EEEvSL_
; %bb.0:
	.section	.rodata,"a",@progbits
	.p2align	6, 0x0
	.amdhsa_kernel _ZN7rocprim17ROCPRIM_400000_NS6detail17trampoline_kernelINS0_14default_configENS1_36segmented_radix_sort_config_selectorI12hip_bfloat16lEEZNS1_25segmented_radix_sort_implIS3_Lb1EPKS5_PS5_PKlPlN2at6native12_GLOBAL__N_18offset_tEEE10hipError_tPvRmT1_PNSt15iterator_traitsISL_E10value_typeET2_T3_PNSM_ISR_E10value_typeET4_jRbjT5_SX_jjP12ihipStream_tbEUlT_E0_NS1_11comp_targetILNS1_3genE10ELNS1_11target_archE1201ELNS1_3gpuE5ELNS1_3repE0EEENS1_60segmented_radix_sort_warp_sort_medium_config_static_selectorELNS0_4arch9wavefront6targetE0EEEvSL_
		.amdhsa_group_segment_fixed_size 0
		.amdhsa_private_segment_fixed_size 0
		.amdhsa_kernarg_size 88
		.amdhsa_user_sgpr_count 15
		.amdhsa_user_sgpr_dispatch_ptr 0
		.amdhsa_user_sgpr_queue_ptr 0
		.amdhsa_user_sgpr_kernarg_segment_ptr 1
		.amdhsa_user_sgpr_dispatch_id 0
		.amdhsa_user_sgpr_private_segment_size 0
		.amdhsa_wavefront_size32 1
		.amdhsa_uses_dynamic_stack 0
		.amdhsa_enable_private_segment 0
		.amdhsa_system_sgpr_workgroup_id_x 1
		.amdhsa_system_sgpr_workgroup_id_y 0
		.amdhsa_system_sgpr_workgroup_id_z 0
		.amdhsa_system_sgpr_workgroup_info 0
		.amdhsa_system_vgpr_workitem_id 0
		.amdhsa_next_free_vgpr 1
		.amdhsa_next_free_sgpr 1
		.amdhsa_reserve_vcc 0
		.amdhsa_float_round_mode_32 0
		.amdhsa_float_round_mode_16_64 0
		.amdhsa_float_denorm_mode_32 3
		.amdhsa_float_denorm_mode_16_64 3
		.amdhsa_dx10_clamp 1
		.amdhsa_ieee_mode 1
		.amdhsa_fp16_overflow 0
		.amdhsa_workgroup_processor_mode 1
		.amdhsa_memory_ordered 1
		.amdhsa_forward_progress 0
		.amdhsa_shared_vgpr_count 0
		.amdhsa_exception_fp_ieee_invalid_op 0
		.amdhsa_exception_fp_denorm_src 0
		.amdhsa_exception_fp_ieee_div_zero 0
		.amdhsa_exception_fp_ieee_overflow 0
		.amdhsa_exception_fp_ieee_underflow 0
		.amdhsa_exception_fp_ieee_inexact 0
		.amdhsa_exception_int_div_zero 0
	.end_amdhsa_kernel
	.section	.text._ZN7rocprim17ROCPRIM_400000_NS6detail17trampoline_kernelINS0_14default_configENS1_36segmented_radix_sort_config_selectorI12hip_bfloat16lEEZNS1_25segmented_radix_sort_implIS3_Lb1EPKS5_PS5_PKlPlN2at6native12_GLOBAL__N_18offset_tEEE10hipError_tPvRmT1_PNSt15iterator_traitsISL_E10value_typeET2_T3_PNSM_ISR_E10value_typeET4_jRbjT5_SX_jjP12ihipStream_tbEUlT_E0_NS1_11comp_targetILNS1_3genE10ELNS1_11target_archE1201ELNS1_3gpuE5ELNS1_3repE0EEENS1_60segmented_radix_sort_warp_sort_medium_config_static_selectorELNS0_4arch9wavefront6targetE0EEEvSL_,"axG",@progbits,_ZN7rocprim17ROCPRIM_400000_NS6detail17trampoline_kernelINS0_14default_configENS1_36segmented_radix_sort_config_selectorI12hip_bfloat16lEEZNS1_25segmented_radix_sort_implIS3_Lb1EPKS5_PS5_PKlPlN2at6native12_GLOBAL__N_18offset_tEEE10hipError_tPvRmT1_PNSt15iterator_traitsISL_E10value_typeET2_T3_PNSM_ISR_E10value_typeET4_jRbjT5_SX_jjP12ihipStream_tbEUlT_E0_NS1_11comp_targetILNS1_3genE10ELNS1_11target_archE1201ELNS1_3gpuE5ELNS1_3repE0EEENS1_60segmented_radix_sort_warp_sort_medium_config_static_selectorELNS0_4arch9wavefront6targetE0EEEvSL_,comdat
.Lfunc_end1961:
	.size	_ZN7rocprim17ROCPRIM_400000_NS6detail17trampoline_kernelINS0_14default_configENS1_36segmented_radix_sort_config_selectorI12hip_bfloat16lEEZNS1_25segmented_radix_sort_implIS3_Lb1EPKS5_PS5_PKlPlN2at6native12_GLOBAL__N_18offset_tEEE10hipError_tPvRmT1_PNSt15iterator_traitsISL_E10value_typeET2_T3_PNSM_ISR_E10value_typeET4_jRbjT5_SX_jjP12ihipStream_tbEUlT_E0_NS1_11comp_targetILNS1_3genE10ELNS1_11target_archE1201ELNS1_3gpuE5ELNS1_3repE0EEENS1_60segmented_radix_sort_warp_sort_medium_config_static_selectorELNS0_4arch9wavefront6targetE0EEEvSL_, .Lfunc_end1961-_ZN7rocprim17ROCPRIM_400000_NS6detail17trampoline_kernelINS0_14default_configENS1_36segmented_radix_sort_config_selectorI12hip_bfloat16lEEZNS1_25segmented_radix_sort_implIS3_Lb1EPKS5_PS5_PKlPlN2at6native12_GLOBAL__N_18offset_tEEE10hipError_tPvRmT1_PNSt15iterator_traitsISL_E10value_typeET2_T3_PNSM_ISR_E10value_typeET4_jRbjT5_SX_jjP12ihipStream_tbEUlT_E0_NS1_11comp_targetILNS1_3genE10ELNS1_11target_archE1201ELNS1_3gpuE5ELNS1_3repE0EEENS1_60segmented_radix_sort_warp_sort_medium_config_static_selectorELNS0_4arch9wavefront6targetE0EEEvSL_
                                        ; -- End function
	.section	.AMDGPU.csdata,"",@progbits
; Kernel info:
; codeLenInByte = 0
; NumSgprs: 0
; NumVgprs: 0
; ScratchSize: 0
; MemoryBound: 0
; FloatMode: 240
; IeeeMode: 1
; LDSByteSize: 0 bytes/workgroup (compile time only)
; SGPRBlocks: 0
; VGPRBlocks: 0
; NumSGPRsForWavesPerEU: 1
; NumVGPRsForWavesPerEU: 1
; Occupancy: 16
; WaveLimiterHint : 0
; COMPUTE_PGM_RSRC2:SCRATCH_EN: 0
; COMPUTE_PGM_RSRC2:USER_SGPR: 15
; COMPUTE_PGM_RSRC2:TRAP_HANDLER: 0
; COMPUTE_PGM_RSRC2:TGID_X_EN: 1
; COMPUTE_PGM_RSRC2:TGID_Y_EN: 0
; COMPUTE_PGM_RSRC2:TGID_Z_EN: 0
; COMPUTE_PGM_RSRC2:TIDIG_COMP_CNT: 0
	.section	.text._ZN7rocprim17ROCPRIM_400000_NS6detail17trampoline_kernelINS0_14default_configENS1_36segmented_radix_sort_config_selectorI12hip_bfloat16lEEZNS1_25segmented_radix_sort_implIS3_Lb1EPKS5_PS5_PKlPlN2at6native12_GLOBAL__N_18offset_tEEE10hipError_tPvRmT1_PNSt15iterator_traitsISL_E10value_typeET2_T3_PNSM_ISR_E10value_typeET4_jRbjT5_SX_jjP12ihipStream_tbEUlT_E0_NS1_11comp_targetILNS1_3genE10ELNS1_11target_archE1200ELNS1_3gpuE4ELNS1_3repE0EEENS1_60segmented_radix_sort_warp_sort_medium_config_static_selectorELNS0_4arch9wavefront6targetE0EEEvSL_,"axG",@progbits,_ZN7rocprim17ROCPRIM_400000_NS6detail17trampoline_kernelINS0_14default_configENS1_36segmented_radix_sort_config_selectorI12hip_bfloat16lEEZNS1_25segmented_radix_sort_implIS3_Lb1EPKS5_PS5_PKlPlN2at6native12_GLOBAL__N_18offset_tEEE10hipError_tPvRmT1_PNSt15iterator_traitsISL_E10value_typeET2_T3_PNSM_ISR_E10value_typeET4_jRbjT5_SX_jjP12ihipStream_tbEUlT_E0_NS1_11comp_targetILNS1_3genE10ELNS1_11target_archE1200ELNS1_3gpuE4ELNS1_3repE0EEENS1_60segmented_radix_sort_warp_sort_medium_config_static_selectorELNS0_4arch9wavefront6targetE0EEEvSL_,comdat
	.globl	_ZN7rocprim17ROCPRIM_400000_NS6detail17trampoline_kernelINS0_14default_configENS1_36segmented_radix_sort_config_selectorI12hip_bfloat16lEEZNS1_25segmented_radix_sort_implIS3_Lb1EPKS5_PS5_PKlPlN2at6native12_GLOBAL__N_18offset_tEEE10hipError_tPvRmT1_PNSt15iterator_traitsISL_E10value_typeET2_T3_PNSM_ISR_E10value_typeET4_jRbjT5_SX_jjP12ihipStream_tbEUlT_E0_NS1_11comp_targetILNS1_3genE10ELNS1_11target_archE1200ELNS1_3gpuE4ELNS1_3repE0EEENS1_60segmented_radix_sort_warp_sort_medium_config_static_selectorELNS0_4arch9wavefront6targetE0EEEvSL_ ; -- Begin function _ZN7rocprim17ROCPRIM_400000_NS6detail17trampoline_kernelINS0_14default_configENS1_36segmented_radix_sort_config_selectorI12hip_bfloat16lEEZNS1_25segmented_radix_sort_implIS3_Lb1EPKS5_PS5_PKlPlN2at6native12_GLOBAL__N_18offset_tEEE10hipError_tPvRmT1_PNSt15iterator_traitsISL_E10value_typeET2_T3_PNSM_ISR_E10value_typeET4_jRbjT5_SX_jjP12ihipStream_tbEUlT_E0_NS1_11comp_targetILNS1_3genE10ELNS1_11target_archE1200ELNS1_3gpuE4ELNS1_3repE0EEENS1_60segmented_radix_sort_warp_sort_medium_config_static_selectorELNS0_4arch9wavefront6targetE0EEEvSL_
	.p2align	8
	.type	_ZN7rocprim17ROCPRIM_400000_NS6detail17trampoline_kernelINS0_14default_configENS1_36segmented_radix_sort_config_selectorI12hip_bfloat16lEEZNS1_25segmented_radix_sort_implIS3_Lb1EPKS5_PS5_PKlPlN2at6native12_GLOBAL__N_18offset_tEEE10hipError_tPvRmT1_PNSt15iterator_traitsISL_E10value_typeET2_T3_PNSM_ISR_E10value_typeET4_jRbjT5_SX_jjP12ihipStream_tbEUlT_E0_NS1_11comp_targetILNS1_3genE10ELNS1_11target_archE1200ELNS1_3gpuE4ELNS1_3repE0EEENS1_60segmented_radix_sort_warp_sort_medium_config_static_selectorELNS0_4arch9wavefront6targetE0EEEvSL_,@function
_ZN7rocprim17ROCPRIM_400000_NS6detail17trampoline_kernelINS0_14default_configENS1_36segmented_radix_sort_config_selectorI12hip_bfloat16lEEZNS1_25segmented_radix_sort_implIS3_Lb1EPKS5_PS5_PKlPlN2at6native12_GLOBAL__N_18offset_tEEE10hipError_tPvRmT1_PNSt15iterator_traitsISL_E10value_typeET2_T3_PNSM_ISR_E10value_typeET4_jRbjT5_SX_jjP12ihipStream_tbEUlT_E0_NS1_11comp_targetILNS1_3genE10ELNS1_11target_archE1200ELNS1_3gpuE4ELNS1_3repE0EEENS1_60segmented_radix_sort_warp_sort_medium_config_static_selectorELNS0_4arch9wavefront6targetE0EEEvSL_: ; @_ZN7rocprim17ROCPRIM_400000_NS6detail17trampoline_kernelINS0_14default_configENS1_36segmented_radix_sort_config_selectorI12hip_bfloat16lEEZNS1_25segmented_radix_sort_implIS3_Lb1EPKS5_PS5_PKlPlN2at6native12_GLOBAL__N_18offset_tEEE10hipError_tPvRmT1_PNSt15iterator_traitsISL_E10value_typeET2_T3_PNSM_ISR_E10value_typeET4_jRbjT5_SX_jjP12ihipStream_tbEUlT_E0_NS1_11comp_targetILNS1_3genE10ELNS1_11target_archE1200ELNS1_3gpuE4ELNS1_3repE0EEENS1_60segmented_radix_sort_warp_sort_medium_config_static_selectorELNS0_4arch9wavefront6targetE0EEEvSL_
; %bb.0:
	.section	.rodata,"a",@progbits
	.p2align	6, 0x0
	.amdhsa_kernel _ZN7rocprim17ROCPRIM_400000_NS6detail17trampoline_kernelINS0_14default_configENS1_36segmented_radix_sort_config_selectorI12hip_bfloat16lEEZNS1_25segmented_radix_sort_implIS3_Lb1EPKS5_PS5_PKlPlN2at6native12_GLOBAL__N_18offset_tEEE10hipError_tPvRmT1_PNSt15iterator_traitsISL_E10value_typeET2_T3_PNSM_ISR_E10value_typeET4_jRbjT5_SX_jjP12ihipStream_tbEUlT_E0_NS1_11comp_targetILNS1_3genE10ELNS1_11target_archE1200ELNS1_3gpuE4ELNS1_3repE0EEENS1_60segmented_radix_sort_warp_sort_medium_config_static_selectorELNS0_4arch9wavefront6targetE0EEEvSL_
		.amdhsa_group_segment_fixed_size 0
		.amdhsa_private_segment_fixed_size 0
		.amdhsa_kernarg_size 88
		.amdhsa_user_sgpr_count 15
		.amdhsa_user_sgpr_dispatch_ptr 0
		.amdhsa_user_sgpr_queue_ptr 0
		.amdhsa_user_sgpr_kernarg_segment_ptr 1
		.amdhsa_user_sgpr_dispatch_id 0
		.amdhsa_user_sgpr_private_segment_size 0
		.amdhsa_wavefront_size32 1
		.amdhsa_uses_dynamic_stack 0
		.amdhsa_enable_private_segment 0
		.amdhsa_system_sgpr_workgroup_id_x 1
		.amdhsa_system_sgpr_workgroup_id_y 0
		.amdhsa_system_sgpr_workgroup_id_z 0
		.amdhsa_system_sgpr_workgroup_info 0
		.amdhsa_system_vgpr_workitem_id 0
		.amdhsa_next_free_vgpr 1
		.amdhsa_next_free_sgpr 1
		.amdhsa_reserve_vcc 0
		.amdhsa_float_round_mode_32 0
		.amdhsa_float_round_mode_16_64 0
		.amdhsa_float_denorm_mode_32 3
		.amdhsa_float_denorm_mode_16_64 3
		.amdhsa_dx10_clamp 1
		.amdhsa_ieee_mode 1
		.amdhsa_fp16_overflow 0
		.amdhsa_workgroup_processor_mode 1
		.amdhsa_memory_ordered 1
		.amdhsa_forward_progress 0
		.amdhsa_shared_vgpr_count 0
		.amdhsa_exception_fp_ieee_invalid_op 0
		.amdhsa_exception_fp_denorm_src 0
		.amdhsa_exception_fp_ieee_div_zero 0
		.amdhsa_exception_fp_ieee_overflow 0
		.amdhsa_exception_fp_ieee_underflow 0
		.amdhsa_exception_fp_ieee_inexact 0
		.amdhsa_exception_int_div_zero 0
	.end_amdhsa_kernel
	.section	.text._ZN7rocprim17ROCPRIM_400000_NS6detail17trampoline_kernelINS0_14default_configENS1_36segmented_radix_sort_config_selectorI12hip_bfloat16lEEZNS1_25segmented_radix_sort_implIS3_Lb1EPKS5_PS5_PKlPlN2at6native12_GLOBAL__N_18offset_tEEE10hipError_tPvRmT1_PNSt15iterator_traitsISL_E10value_typeET2_T3_PNSM_ISR_E10value_typeET4_jRbjT5_SX_jjP12ihipStream_tbEUlT_E0_NS1_11comp_targetILNS1_3genE10ELNS1_11target_archE1200ELNS1_3gpuE4ELNS1_3repE0EEENS1_60segmented_radix_sort_warp_sort_medium_config_static_selectorELNS0_4arch9wavefront6targetE0EEEvSL_,"axG",@progbits,_ZN7rocprim17ROCPRIM_400000_NS6detail17trampoline_kernelINS0_14default_configENS1_36segmented_radix_sort_config_selectorI12hip_bfloat16lEEZNS1_25segmented_radix_sort_implIS3_Lb1EPKS5_PS5_PKlPlN2at6native12_GLOBAL__N_18offset_tEEE10hipError_tPvRmT1_PNSt15iterator_traitsISL_E10value_typeET2_T3_PNSM_ISR_E10value_typeET4_jRbjT5_SX_jjP12ihipStream_tbEUlT_E0_NS1_11comp_targetILNS1_3genE10ELNS1_11target_archE1200ELNS1_3gpuE4ELNS1_3repE0EEENS1_60segmented_radix_sort_warp_sort_medium_config_static_selectorELNS0_4arch9wavefront6targetE0EEEvSL_,comdat
.Lfunc_end1962:
	.size	_ZN7rocprim17ROCPRIM_400000_NS6detail17trampoline_kernelINS0_14default_configENS1_36segmented_radix_sort_config_selectorI12hip_bfloat16lEEZNS1_25segmented_radix_sort_implIS3_Lb1EPKS5_PS5_PKlPlN2at6native12_GLOBAL__N_18offset_tEEE10hipError_tPvRmT1_PNSt15iterator_traitsISL_E10value_typeET2_T3_PNSM_ISR_E10value_typeET4_jRbjT5_SX_jjP12ihipStream_tbEUlT_E0_NS1_11comp_targetILNS1_3genE10ELNS1_11target_archE1200ELNS1_3gpuE4ELNS1_3repE0EEENS1_60segmented_radix_sort_warp_sort_medium_config_static_selectorELNS0_4arch9wavefront6targetE0EEEvSL_, .Lfunc_end1962-_ZN7rocprim17ROCPRIM_400000_NS6detail17trampoline_kernelINS0_14default_configENS1_36segmented_radix_sort_config_selectorI12hip_bfloat16lEEZNS1_25segmented_radix_sort_implIS3_Lb1EPKS5_PS5_PKlPlN2at6native12_GLOBAL__N_18offset_tEEE10hipError_tPvRmT1_PNSt15iterator_traitsISL_E10value_typeET2_T3_PNSM_ISR_E10value_typeET4_jRbjT5_SX_jjP12ihipStream_tbEUlT_E0_NS1_11comp_targetILNS1_3genE10ELNS1_11target_archE1200ELNS1_3gpuE4ELNS1_3repE0EEENS1_60segmented_radix_sort_warp_sort_medium_config_static_selectorELNS0_4arch9wavefront6targetE0EEEvSL_
                                        ; -- End function
	.section	.AMDGPU.csdata,"",@progbits
; Kernel info:
; codeLenInByte = 0
; NumSgprs: 0
; NumVgprs: 0
; ScratchSize: 0
; MemoryBound: 0
; FloatMode: 240
; IeeeMode: 1
; LDSByteSize: 0 bytes/workgroup (compile time only)
; SGPRBlocks: 0
; VGPRBlocks: 0
; NumSGPRsForWavesPerEU: 1
; NumVGPRsForWavesPerEU: 1
; Occupancy: 16
; WaveLimiterHint : 0
; COMPUTE_PGM_RSRC2:SCRATCH_EN: 0
; COMPUTE_PGM_RSRC2:USER_SGPR: 15
; COMPUTE_PGM_RSRC2:TRAP_HANDLER: 0
; COMPUTE_PGM_RSRC2:TGID_X_EN: 1
; COMPUTE_PGM_RSRC2:TGID_Y_EN: 0
; COMPUTE_PGM_RSRC2:TGID_Z_EN: 0
; COMPUTE_PGM_RSRC2:TIDIG_COMP_CNT: 0
	.text
	.p2align	2                               ; -- Begin function _ZN7rocprim17ROCPRIM_400000_NS6detail26segmented_warp_sort_helperINS1_20WarpSortHelperConfigILj16ELj8ELj256EEE12hip_bfloat16lLi256ELb1EvE4sortIPKS5_PS5_PKlPlEEvT_T0_T1_T2_jjjjRNS6_12storage_typeE
	.type	_ZN7rocprim17ROCPRIM_400000_NS6detail26segmented_warp_sort_helperINS1_20WarpSortHelperConfigILj16ELj8ELj256EEE12hip_bfloat16lLi256ELb1EvE4sortIPKS5_PS5_PKlPlEEvT_T0_T1_T2_jjjjRNS6_12storage_typeE,@function
_ZN7rocprim17ROCPRIM_400000_NS6detail26segmented_warp_sort_helperINS1_20WarpSortHelperConfigILj16ELj8ELj256EEE12hip_bfloat16lLi256ELb1EvE4sortIPKS5_PS5_PKlPlEEvT_T0_T1_T2_jjjjRNS6_12storage_typeE: ; @_ZN7rocprim17ROCPRIM_400000_NS6detail26segmented_warp_sort_helperINS1_20WarpSortHelperConfigILj16ELj8ELj256EEE12hip_bfloat16lLi256ELb1EvE4sortIPKS5_PS5_PKlPlEEvT_T0_T1_T2_jjjjRNS6_12storage_typeE
; %bb.0:
	s_waitcnt vmcnt(0) expcnt(0) lgkmcnt(0)
	v_mov_b32_e32 v10, v9
	v_mbcnt_lo_u32_b32 v9, -1, 0
	v_dual_mov_b32 v38, -1 :: v_dual_mov_b32 v49, -1
	s_delay_alu instid0(VALU_DEP_2) | instskip(SKIP_2) | instid1(VALU_DEP_3)
	v_lshlrev_b32_e32 v37, 3, v9
	v_mov_b32_e32 v9, 0
	v_sub_nc_u32_e32 v10, v10, v8
	v_and_b32_e32 v36, 0x78, v37
	s_delay_alu instid0(VALU_DEP_3) | instskip(NEXT) | instid1(VALU_DEP_2)
	v_lshlrev_b64 v[24:25], 1, v[8:9]
	v_lshlrev_b32_e32 v34, 1, v36
	s_delay_alu instid0(VALU_DEP_2) | instskip(NEXT) | instid1(VALU_DEP_3)
	v_add_co_u32 v0, vcc_lo, v0, v24
	v_add_co_ci_u32_e32 v1, vcc_lo, v1, v25, vcc_lo
	s_delay_alu instid0(VALU_DEP_2) | instskip(NEXT) | instid1(VALU_DEP_2)
	v_add_co_u32 v0, vcc_lo, v0, v34
	v_add_co_ci_u32_e32 v1, vcc_lo, 0, v1, vcc_lo
	v_cmp_lt_u32_e32 vcc_lo, v36, v10
	s_and_saveexec_b32 s0, vcc_lo
	s_cbranch_execz .LBB1963_2
; %bb.1:
	flat_load_u16 v38, v[0:1]
.LBB1963_2:
	s_or_b32 exec_lo, exec_lo, s0
	v_or_b32_e32 v11, 1, v36
	s_delay_alu instid0(VALU_DEP_1) | instskip(NEXT) | instid1(VALU_DEP_1)
	v_cmp_lt_u32_e64 s0, v11, v10
	s_and_saveexec_b32 s1, s0
	s_cbranch_execz .LBB1963_4
; %bb.3:
	flat_load_u16 v49, v[0:1] offset:2
.LBB1963_4:
	s_or_b32 exec_lo, exec_lo, s1
	v_or_b32_e32 v11, 2, v36
	v_dual_mov_b32 v53, -1 :: v_dual_mov_b32 v50, -1
	s_delay_alu instid0(VALU_DEP_2) | instskip(NEXT) | instid1(VALU_DEP_1)
	v_cmp_lt_u32_e64 s1, v11, v10
	s_and_saveexec_b32 s2, s1
	s_cbranch_execz .LBB1963_6
; %bb.5:
	flat_load_u16 v50, v[0:1] offset:4
.LBB1963_6:
	s_or_b32 exec_lo, exec_lo, s2
	v_or_b32_e32 v11, 3, v36
	s_delay_alu instid0(VALU_DEP_1) | instskip(NEXT) | instid1(VALU_DEP_1)
	v_cmp_lt_u32_e64 s2, v11, v10
	s_and_saveexec_b32 s3, s2
	s_cbranch_execz .LBB1963_8
; %bb.7:
	flat_load_u16 v53, v[0:1] offset:6
.LBB1963_8:
	s_or_b32 exec_lo, exec_lo, s3
	v_or_b32_e32 v11, 4, v36
	v_dual_mov_b32 v48, -1 :: v_dual_mov_b32 v51, -1
	s_delay_alu instid0(VALU_DEP_2) | instskip(NEXT) | instid1(VALU_DEP_1)
	v_cmp_lt_u32_e64 s3, v11, v10
	s_and_saveexec_b32 s4, s3
	s_cbranch_execz .LBB1963_10
; %bb.9:
	flat_load_u16 v51, v[0:1] offset:8
.LBB1963_10:
	;; [unrolled: 19-line block ×3, first 2 shown]
	s_or_b32 exec_lo, exec_lo, s6
	v_or_b32_e32 v11, 7, v36
	s_delay_alu instid0(VALU_DEP_1) | instskip(NEXT) | instid1(VALU_DEP_1)
	v_cmp_lt_u32_e64 s6, v11, v10
	s_and_saveexec_b32 s7, s6
	s_cbranch_execz .LBB1963_16
; %bb.15:
	flat_load_u16 v39, v[0:1] offset:14
.LBB1963_16:
	s_or_b32 exec_lo, exec_lo, s7
	v_lshlrev_b64 v[0:1], 3, v[8:9]
	v_lshlrev_b32_e32 v35, 3, v36
	; wave barrier
	s_delay_alu instid0(VALU_DEP_2) | instskip(NEXT) | instid1(VALU_DEP_1)
	v_add_co_u32 v4, s7, v4, v0
	v_add_co_ci_u32_e64 v5, s7, v5, v1, s7
	s_delay_alu instid0(VALU_DEP_2) | instskip(NEXT) | instid1(VALU_DEP_1)
	v_add_co_u32 v32, s7, v4, v35
	v_add_co_ci_u32_e64 v33, s7, 0, v5, s7
                                        ; implicit-def: $vgpr4_vgpr5
	s_and_saveexec_b32 s7, vcc_lo
	s_cbranch_execnz .LBB1963_318
; %bb.17:
	s_or_b32 exec_lo, exec_lo, s7
	s_and_saveexec_b32 s7, s0
                                        ; implicit-def: $vgpr8_vgpr9_vgpr10_vgpr11
	s_cbranch_execnz .LBB1963_319
.LBB1963_18:
	s_or_b32 exec_lo, exec_lo, s7
                                        ; implicit-def: $vgpr26_vgpr27
	s_and_saveexec_b32 s7, s1
	s_cbranch_execnz .LBB1963_320
.LBB1963_19:
	s_or_b32 exec_lo, exec_lo, s7
	s_and_saveexec_b32 s7, s2
                                        ; implicit-def: $vgpr12_vgpr13_vgpr14_vgpr15
	s_cbranch_execnz .LBB1963_321
.LBB1963_20:
	s_or_b32 exec_lo, exec_lo, s7
                                        ; implicit-def: $vgpr28_vgpr29
	s_and_saveexec_b32 s7, s3
	s_cbranch_execnz .LBB1963_322
.LBB1963_21:
	s_or_b32 exec_lo, exec_lo, s7
	s_and_saveexec_b32 s7, s4
                                        ; implicit-def: $vgpr16_vgpr17_vgpr18_vgpr19
	s_cbranch_execnz .LBB1963_323
.LBB1963_22:
	s_or_b32 exec_lo, exec_lo, s7
                                        ; implicit-def: $vgpr16_vgpr17
	s_and_saveexec_b32 s7, s5
	s_cbranch_execnz .LBB1963_324
.LBB1963_23:
	s_or_b32 exec_lo, exec_lo, s7
	s_and_saveexec_b32 s7, s6
                                        ; implicit-def: $vgpr20_vgpr21_vgpr22_vgpr23
	s_cbranch_execz .LBB1963_25
.LBB1963_24:
	flat_load_b64 v[22:23], v[32:33] offset:56
.LBB1963_25:
	s_or_b32 exec_lo, exec_lo, s7
	; wave barrier
	s_load_b64 s[10:11], s[8:9], 0x0
	v_mov_b32_e32 v8, 0
	v_bfe_u32 v12, v31, 10, 10
	v_bfe_u32 v13, v31, 20, 10
	s_waitcnt lgkmcnt(0)
	s_cmp_lt_u32 s13, s11
	s_cselect_b32 s7, 14, 20
	s_delay_alu instid0(SALU_CYCLE_1) | instskip(SKIP_4) | instid1(SALU_CYCLE_1)
	s_add_u32 s14, s8, s7
	s_addc_u32 s15, s9, 0
	s_cmp_lt_u32 s12, s10
	global_load_u16 v9, v8, s[14:15]
	s_cselect_b32 s7, 12, 18
	s_add_u32 s8, s8, s7
	s_addc_u32 s9, s9, 0
	global_load_u16 v8, v8, s[8:9]
	s_mov_b32 s8, exec_lo
	s_waitcnt vmcnt(1)
	v_mad_u32_u24 v9, v13, v9, v12
	s_waitcnt vmcnt(0)
	s_delay_alu instid0(VALU_DEP_1) | instskip(SKIP_1) | instid1(VALU_DEP_1)
	v_mul_lo_u32 v8, v9, v8
	v_and_b32_e32 v9, 0x3ff, v31
	v_add_lshl_u32 v32, v8, v9, 3
	s_delay_alu instid0(VALU_DEP_1)
	v_cmpx_gt_u32_e32 0x800, v32
	s_cbranch_execz .LBB1963_307
; %bb.26:
	v_lshlrev_b32_e32 v8, 16, v49
	s_delay_alu instid0(VALU_DEP_1) | instskip(NEXT) | instid1(VALU_DEP_1)
	v_add_f32_e32 v9, 0, v8
	v_and_b32_e32 v8, 0x7f800000, v9
	s_delay_alu instid0(VALU_DEP_1) | instskip(NEXT) | instid1(VALU_DEP_1)
	v_cmp_ne_u32_e64 s7, 0x7f800000, v8
                                        ; implicit-def: $vgpr8
	s_and_saveexec_b32 s9, s7
	s_delay_alu instid0(SALU_CYCLE_1)
	s_xor_b32 s7, exec_lo, s9
; %bb.27:
	v_bfe_u32 v8, v9, 16, 1
	s_delay_alu instid0(VALU_DEP_1)
	v_add3_u32 v8, v9, v8, 0x7fff
                                        ; implicit-def: $vgpr9
; %bb.28:
	s_and_not1_saveexec_b32 s9, s7
; %bb.29:
	v_and_b32_e32 v8, 0xffff, v9
	v_or_b32_e32 v12, 0x10000, v9
	s_delay_alu instid0(VALU_DEP_2) | instskip(NEXT) | instid1(VALU_DEP_1)
	v_cmp_eq_u32_e64 s7, 0, v8
	v_cndmask_b32_e64 v8, v12, v9, s7
; %bb.30:
	s_or_b32 exec_lo, exec_lo, s9
	v_lshlrev_b32_e32 v9, 16, v38
	s_delay_alu instid0(VALU_DEP_1) | instskip(NEXT) | instid1(VALU_DEP_1)
	v_add_f32_e32 v12, 0, v9
	v_and_b32_e32 v9, 0x7f800000, v12
	s_delay_alu instid0(VALU_DEP_1) | instskip(NEXT) | instid1(VALU_DEP_1)
	v_cmp_ne_u32_e64 s7, 0x7f800000, v9
                                        ; implicit-def: $vgpr9
	s_and_saveexec_b32 s9, s7
	s_delay_alu instid0(SALU_CYCLE_1)
	s_xor_b32 s7, exec_lo, s9
; %bb.31:
	v_bfe_u32 v9, v12, 16, 1
	s_delay_alu instid0(VALU_DEP_1)
	v_add3_u32 v9, v12, v9, 0x7fff
                                        ; implicit-def: $vgpr12
; %bb.32:
	s_and_not1_saveexec_b32 s9, s7
; %bb.33:
	v_and_b32_e32 v9, 0xffff, v12
	v_or_b32_e32 v13, 0x10000, v12
	s_delay_alu instid0(VALU_DEP_2) | instskip(NEXT) | instid1(VALU_DEP_1)
	v_cmp_eq_u32_e64 s7, 0, v9
	v_cndmask_b32_e64 v9, v13, v12, s7
; %bb.34:
	s_or_b32 exec_lo, exec_lo, s9
	v_cmp_lt_i32_e64 s7, -1, v8
	s_delay_alu instid0(VALU_DEP_2) | instskip(SKIP_2) | instid1(VALU_DEP_4)
	v_perm_b32 v8, v9, v8, 0x7060302
	v_mov_b32_e32 v21, v11
	v_dual_mov_b32 v33, v49 :: v_dual_mov_b32 v20, v10
	v_cndmask_b32_e64 v12, -1, 0xffff8000, s7
	v_cmp_lt_i32_e64 s7, -1, v9
	s_mov_b32 s9, exec_lo
	s_delay_alu instid0(VALU_DEP_1) | instskip(NEXT) | instid1(VALU_DEP_1)
	v_cndmask_b32_e64 v13, -1, 0xffff8000, s7
	v_perm_b32 v9, v13, v12, 0x5040100
	s_delay_alu instid0(VALU_DEP_1) | instskip(NEXT) | instid1(VALU_DEP_1)
	v_xor_b32_e32 v8, v9, v8
	v_lshrrev_b32_e32 v9, 16, v8
	s_delay_alu instid0(VALU_DEP_1)
	v_cmpx_gt_u16_e64 v8, v9
; %bb.35:
	v_dual_mov_b32 v33, v38 :: v_dual_mov_b32 v38, v49
	v_dual_mov_b32 v21, v5 :: v_dual_mov_b32 v20, v4
	;; [unrolled: 1-line block ×3, first 2 shown]
; %bb.36:
	s_or_b32 exec_lo, exec_lo, s9
	v_lshlrev_b32_e32 v8, 16, v53
	s_delay_alu instid0(VALU_DEP_1) | instskip(NEXT) | instid1(VALU_DEP_1)
	v_add_f32_e32 v9, 0, v8
	v_and_b32_e32 v8, 0x7f800000, v9
	s_delay_alu instid0(VALU_DEP_1) | instskip(NEXT) | instid1(VALU_DEP_1)
	v_cmp_ne_u32_e64 s7, 0x7f800000, v8
                                        ; implicit-def: $vgpr8
	s_and_saveexec_b32 s9, s7
	s_delay_alu instid0(SALU_CYCLE_1)
	s_xor_b32 s7, exec_lo, s9
; %bb.37:
	v_bfe_u32 v8, v9, 16, 1
	s_delay_alu instid0(VALU_DEP_1)
	v_add3_u32 v8, v9, v8, 0x7fff
                                        ; implicit-def: $vgpr9
; %bb.38:
	s_and_not1_saveexec_b32 s9, s7
; %bb.39:
	v_and_b32_e32 v8, 0xffff, v9
	v_or_b32_e32 v10, 0x10000, v9
	s_delay_alu instid0(VALU_DEP_2) | instskip(NEXT) | instid1(VALU_DEP_1)
	v_cmp_eq_u32_e64 s7, 0, v8
	v_cndmask_b32_e64 v8, v10, v9, s7
; %bb.40:
	s_or_b32 exec_lo, exec_lo, s9
	v_lshlrev_b32_e32 v9, 16, v50
	s_delay_alu instid0(VALU_DEP_1) | instskip(NEXT) | instid1(VALU_DEP_1)
	v_add_f32_e32 v10, 0, v9
	v_and_b32_e32 v9, 0x7f800000, v10
	s_delay_alu instid0(VALU_DEP_1) | instskip(NEXT) | instid1(VALU_DEP_1)
	v_cmp_ne_u32_e64 s7, 0x7f800000, v9
                                        ; implicit-def: $vgpr9
	s_and_saveexec_b32 s9, s7
	s_delay_alu instid0(SALU_CYCLE_1)
	s_xor_b32 s7, exec_lo, s9
; %bb.41:
	v_bfe_u32 v9, v10, 16, 1
	s_delay_alu instid0(VALU_DEP_1)
	v_add3_u32 v9, v10, v9, 0x7fff
                                        ; implicit-def: $vgpr10
; %bb.42:
	s_and_not1_saveexec_b32 s9, s7
; %bb.43:
	v_and_b32_e32 v9, 0xffff, v10
	v_or_b32_e32 v11, 0x10000, v10
	s_delay_alu instid0(VALU_DEP_2) | instskip(NEXT) | instid1(VALU_DEP_1)
	v_cmp_eq_u32_e64 s7, 0, v9
	v_cndmask_b32_e64 v9, v11, v10, s7
; %bb.44:
	s_or_b32 exec_lo, exec_lo, s9
	v_cmp_lt_i32_e64 s7, -1, v8
	s_delay_alu instid0(VALU_DEP_2) | instskip(SKIP_2) | instid1(VALU_DEP_4)
	v_perm_b32 v8, v9, v8, 0x7060302
	v_dual_mov_b32 v12, v53 :: v_dual_mov_b32 v31, v15
	v_mov_b32_e32 v30, v14
	v_cndmask_b32_e64 v10, -1, 0xffff8000, s7
	v_cmp_lt_i32_e64 s7, -1, v9
	s_mov_b32 s9, exec_lo
	s_delay_alu instid0(VALU_DEP_1) | instskip(NEXT) | instid1(VALU_DEP_1)
	v_cndmask_b32_e64 v11, -1, 0xffff8000, s7
	v_perm_b32 v9, v11, v10, 0x5040100
	s_delay_alu instid0(VALU_DEP_1) | instskip(NEXT) | instid1(VALU_DEP_1)
	v_xor_b32_e32 v8, v9, v8
	v_lshrrev_b32_e32 v9, 16, v8
	s_delay_alu instid0(VALU_DEP_1)
	v_cmpx_gt_u16_e64 v8, v9
; %bb.45:
	v_dual_mov_b32 v12, v50 :: v_dual_mov_b32 v31, v27
	v_mov_b32_e32 v50, v53
	v_dual_mov_b32 v30, v26 :: v_dual_mov_b32 v27, v15
	v_mov_b32_e32 v26, v14
; %bb.46:
	s_or_b32 exec_lo, exec_lo, s9
	v_lshlrev_b32_e32 v8, 16, v48
	s_delay_alu instid0(VALU_DEP_1) | instskip(NEXT) | instid1(VALU_DEP_1)
	v_add_f32_e32 v9, 0, v8
	v_and_b32_e32 v8, 0x7f800000, v9
	s_delay_alu instid0(VALU_DEP_1) | instskip(NEXT) | instid1(VALU_DEP_1)
	v_cmp_ne_u32_e64 s7, 0x7f800000, v8
                                        ; implicit-def: $vgpr8
	s_and_saveexec_b32 s9, s7
	s_delay_alu instid0(SALU_CYCLE_1)
	s_xor_b32 s7, exec_lo, s9
; %bb.47:
	v_bfe_u32 v8, v9, 16, 1
	s_delay_alu instid0(VALU_DEP_1)
	v_add3_u32 v8, v9, v8, 0x7fff
                                        ; implicit-def: $vgpr9
; %bb.48:
	s_and_not1_saveexec_b32 s9, s7
; %bb.49:
	v_and_b32_e32 v8, 0xffff, v9
	v_or_b32_e32 v10, 0x10000, v9
	s_delay_alu instid0(VALU_DEP_2) | instskip(NEXT) | instid1(VALU_DEP_1)
	v_cmp_eq_u32_e64 s7, 0, v8
	v_cndmask_b32_e64 v8, v10, v9, s7
; %bb.50:
	s_or_b32 exec_lo, exec_lo, s9
	v_lshlrev_b32_e32 v9, 16, v51
	s_delay_alu instid0(VALU_DEP_1) | instskip(NEXT) | instid1(VALU_DEP_1)
	v_add_f32_e32 v10, 0, v9
	v_and_b32_e32 v9, 0x7f800000, v10
	s_delay_alu instid0(VALU_DEP_1) | instskip(NEXT) | instid1(VALU_DEP_1)
	v_cmp_ne_u32_e64 s7, 0x7f800000, v9
                                        ; implicit-def: $vgpr9
	s_and_saveexec_b32 s9, s7
	s_delay_alu instid0(SALU_CYCLE_1)
	s_xor_b32 s7, exec_lo, s9
; %bb.51:
	v_bfe_u32 v9, v10, 16, 1
	s_delay_alu instid0(VALU_DEP_1)
	v_add3_u32 v9, v10, v9, 0x7fff
                                        ; implicit-def: $vgpr10
; %bb.52:
	s_and_not1_saveexec_b32 s9, s7
; %bb.53:
	v_and_b32_e32 v9, 0xffff, v10
	v_or_b32_e32 v11, 0x10000, v10
	s_delay_alu instid0(VALU_DEP_2) | instskip(NEXT) | instid1(VALU_DEP_1)
	v_cmp_eq_u32_e64 s7, 0, v9
	v_cndmask_b32_e64 v9, v11, v10, s7
; %bb.54:
	s_or_b32 exec_lo, exec_lo, s9
	v_cmp_lt_i32_e64 s7, -1, v8
	s_delay_alu instid0(VALU_DEP_2) | instskip(SKIP_2) | instid1(VALU_DEP_3)
	v_perm_b32 v8, v9, v8, 0x7060302
	v_mov_b32_e32 v53, v51
	s_mov_b32 s9, exec_lo
	v_cndmask_b32_e64 v10, -1, 0xffff8000, s7
	v_cmp_lt_i32_e64 s7, -1, v9
	s_delay_alu instid0(VALU_DEP_1) | instskip(NEXT) | instid1(VALU_DEP_1)
	v_cndmask_b32_e64 v11, -1, 0xffff8000, s7
	v_perm_b32 v9, v11, v10, 0x5040100
	s_delay_alu instid0(VALU_DEP_1) | instskip(SKIP_1) | instid1(VALU_DEP_2)
	v_xor_b32_e32 v10, v9, v8
	v_dual_mov_b32 v8, v18 :: v_dual_mov_b32 v9, v19
	v_lshrrev_b32_e32 v11, 16, v10
	s_delay_alu instid0(VALU_DEP_1)
	v_cmpx_gt_u16_e64 v10, v11
; %bb.55:
	v_dual_mov_b32 v8, v28 :: v_dual_mov_b32 v9, v29
	v_dual_mov_b32 v29, v19 :: v_dual_mov_b32 v28, v18
	;; [unrolled: 1-line block ×3, first 2 shown]
; %bb.56:
	s_or_b32 exec_lo, exec_lo, s9
	v_lshlrev_b32_e32 v10, 16, v39
	s_delay_alu instid0(VALU_DEP_1) | instskip(NEXT) | instid1(VALU_DEP_1)
	v_add_f32_e32 v11, 0, v10
	v_and_b32_e32 v10, 0x7f800000, v11
	s_delay_alu instid0(VALU_DEP_1) | instskip(NEXT) | instid1(VALU_DEP_1)
	v_cmp_ne_u32_e64 s7, 0x7f800000, v10
                                        ; implicit-def: $vgpr10
	s_and_saveexec_b32 s9, s7
	s_delay_alu instid0(SALU_CYCLE_1)
	s_xor_b32 s7, exec_lo, s9
; %bb.57:
	v_bfe_u32 v10, v11, 16, 1
	s_delay_alu instid0(VALU_DEP_1)
	v_add3_u32 v10, v11, v10, 0x7fff
                                        ; implicit-def: $vgpr11
; %bb.58:
	s_and_not1_saveexec_b32 s9, s7
; %bb.59:
	v_and_b32_e32 v10, 0xffff, v11
	v_or_b32_e32 v13, 0x10000, v11
	s_delay_alu instid0(VALU_DEP_2) | instskip(NEXT) | instid1(VALU_DEP_1)
	v_cmp_eq_u32_e64 s7, 0, v10
	v_cndmask_b32_e64 v10, v13, v11, s7
; %bb.60:
	s_or_b32 exec_lo, exec_lo, s9
	v_lshlrev_b32_e32 v11, 16, v52
	s_delay_alu instid0(VALU_DEP_1) | instskip(NEXT) | instid1(VALU_DEP_1)
	v_add_f32_e32 v13, 0, v11
	v_and_b32_e32 v11, 0x7f800000, v13
	s_delay_alu instid0(VALU_DEP_1) | instskip(NEXT) | instid1(VALU_DEP_1)
	v_cmp_ne_u32_e64 s7, 0x7f800000, v11
                                        ; implicit-def: $vgpr11
	s_and_saveexec_b32 s9, s7
	s_delay_alu instid0(SALU_CYCLE_1)
	s_xor_b32 s7, exec_lo, s9
; %bb.61:
	v_bfe_u32 v11, v13, 16, 1
	s_delay_alu instid0(VALU_DEP_1)
	v_add3_u32 v11, v13, v11, 0x7fff
                                        ; implicit-def: $vgpr13
; %bb.62:
	s_and_not1_saveexec_b32 s9, s7
; %bb.63:
	v_and_b32_e32 v11, 0xffff, v13
	v_or_b32_e32 v14, 0x10000, v13
	s_delay_alu instid0(VALU_DEP_2) | instskip(NEXT) | instid1(VALU_DEP_1)
	v_cmp_eq_u32_e64 s7, 0, v11
	v_cndmask_b32_e64 v11, v14, v13, s7
; %bb.64:
	s_or_b32 exec_lo, exec_lo, s9
	v_cmp_lt_i32_e64 s7, -1, v10
	s_delay_alu instid0(VALU_DEP_2) | instskip(SKIP_2) | instid1(VALU_DEP_3)
	v_perm_b32 v10, v11, v10, 0x7060302
	v_mov_b32_e32 v51, v52
	s_mov_b32 s9, exec_lo
	v_cndmask_b32_e64 v13, -1, 0xffff8000, s7
	v_cmp_lt_i32_e64 s7, -1, v11
	s_delay_alu instid0(VALU_DEP_1) | instskip(NEXT) | instid1(VALU_DEP_1)
	v_cndmask_b32_e64 v14, -1, 0xffff8000, s7
	v_perm_b32 v11, v14, v13, 0x5040100
	s_delay_alu instid0(VALU_DEP_1) | instskip(SKIP_1) | instid1(VALU_DEP_2)
	v_xor_b32_e32 v13, v11, v10
	v_dual_mov_b32 v10, v22 :: v_dual_mov_b32 v11, v23
	v_lshrrev_b32_e32 v14, 16, v13
	s_delay_alu instid0(VALU_DEP_1)
	v_cmpx_gt_u16_e64 v13, v14
; %bb.65:
	v_dual_mov_b32 v10, v16 :: v_dual_mov_b32 v11, v17
	v_dual_mov_b32 v16, v22 :: v_dual_mov_b32 v17, v23
	v_mov_b32_e32 v51, v39
	v_mov_b32_e32 v39, v52
; %bb.66:
	s_or_b32 exec_lo, exec_lo, s9
	v_lshlrev_b32_e32 v13, 16, v50
	s_delay_alu instid0(VALU_DEP_1) | instskip(NEXT) | instid1(VALU_DEP_1)
	v_add_f32_e32 v14, 0, v13
	v_and_b32_e32 v13, 0x7f800000, v14
	s_delay_alu instid0(VALU_DEP_1) | instskip(NEXT) | instid1(VALU_DEP_1)
	v_cmp_ne_u32_e64 s7, 0x7f800000, v13
                                        ; implicit-def: $vgpr13
	s_and_saveexec_b32 s9, s7
	s_delay_alu instid0(SALU_CYCLE_1)
	s_xor_b32 s7, exec_lo, s9
; %bb.67:
	v_bfe_u32 v13, v14, 16, 1
	s_delay_alu instid0(VALU_DEP_1)
	v_add3_u32 v13, v14, v13, 0x7fff
                                        ; implicit-def: $vgpr14
; %bb.68:
	s_and_not1_saveexec_b32 s9, s7
; %bb.69:
	v_and_b32_e32 v13, 0xffff, v14
	v_or_b32_e32 v15, 0x10000, v14
	s_delay_alu instid0(VALU_DEP_2) | instskip(NEXT) | instid1(VALU_DEP_1)
	v_cmp_eq_u32_e64 s7, 0, v13
	v_cndmask_b32_e64 v13, v15, v14, s7
; %bb.70:
	s_or_b32 exec_lo, exec_lo, s9
	v_lshlrev_b32_e32 v14, 16, v33
	s_delay_alu instid0(VALU_DEP_1) | instskip(NEXT) | instid1(VALU_DEP_1)
	v_add_f32_e32 v15, 0, v14
	v_and_b32_e32 v14, 0x7f800000, v15
	s_delay_alu instid0(VALU_DEP_1) | instskip(NEXT) | instid1(VALU_DEP_1)
	v_cmp_ne_u32_e64 s7, 0x7f800000, v14
                                        ; implicit-def: $vgpr14
	s_and_saveexec_b32 s9, s7
	s_delay_alu instid0(SALU_CYCLE_1)
	s_xor_b32 s7, exec_lo, s9
; %bb.71:
	v_bfe_u32 v14, v15, 16, 1
	s_delay_alu instid0(VALU_DEP_1)
	v_add3_u32 v14, v15, v14, 0x7fff
                                        ; implicit-def: $vgpr15
; %bb.72:
	s_and_not1_saveexec_b32 s9, s7
; %bb.73:
	v_and_b32_e32 v14, 0xffff, v15
	v_or_b32_e32 v18, 0x10000, v15
	s_delay_alu instid0(VALU_DEP_2) | instskip(NEXT) | instid1(VALU_DEP_1)
	v_cmp_eq_u32_e64 s7, 0, v14
	v_cndmask_b32_e64 v14, v18, v15, s7
; %bb.74:
	s_or_b32 exec_lo, exec_lo, s9
	v_cmp_lt_i32_e64 s7, -1, v13
	s_delay_alu instid0(VALU_DEP_2) | instskip(SKIP_2) | instid1(VALU_DEP_4)
	v_perm_b32 v13, v14, v13, 0x7060302
	v_mov_b32_e32 v49, v50
	v_dual_mov_b32 v22, v26 :: v_dual_mov_b32 v23, v27
	v_cndmask_b32_e64 v15, -1, 0xffff8000, s7
	v_cmp_lt_i32_e64 s7, -1, v14
	s_mov_b32 s9, exec_lo
	s_delay_alu instid0(VALU_DEP_1) | instskip(NEXT) | instid1(VALU_DEP_1)
	v_cndmask_b32_e64 v18, -1, 0xffff8000, s7
	v_perm_b32 v14, v18, v15, 0x5040100
	s_delay_alu instid0(VALU_DEP_1) | instskip(NEXT) | instid1(VALU_DEP_1)
	v_xor_b32_e32 v13, v14, v13
	v_lshrrev_b32_e32 v14, 16, v13
	s_delay_alu instid0(VALU_DEP_1)
	v_cmpx_gt_u16_e64 v13, v14
; %bb.75:
	v_mov_b32_e32 v23, v21
	v_dual_mov_b32 v49, v33 :: v_dual_mov_b32 v22, v20
	v_mov_b32_e32 v20, v26
	v_mov_b32_e32 v33, v50
	;; [unrolled: 1-line block ×3, first 2 shown]
; %bb.76:
	s_or_b32 exec_lo, exec_lo, s9
	v_lshlrev_b32_e32 v13, 16, v53
	s_delay_alu instid0(VALU_DEP_1) | instskip(NEXT) | instid1(VALU_DEP_1)
	v_add_f32_e32 v14, 0, v13
	v_and_b32_e32 v13, 0x7f800000, v14
	s_delay_alu instid0(VALU_DEP_1) | instskip(NEXT) | instid1(VALU_DEP_1)
	v_cmp_ne_u32_e64 s7, 0x7f800000, v13
                                        ; implicit-def: $vgpr13
	s_and_saveexec_b32 s9, s7
	s_delay_alu instid0(SALU_CYCLE_1)
	s_xor_b32 s7, exec_lo, s9
; %bb.77:
	v_bfe_u32 v13, v14, 16, 1
	s_delay_alu instid0(VALU_DEP_1)
	v_add3_u32 v13, v14, v13, 0x7fff
                                        ; implicit-def: $vgpr14
; %bb.78:
	s_and_not1_saveexec_b32 s9, s7
; %bb.79:
	v_and_b32_e32 v13, 0xffff, v14
	v_or_b32_e32 v15, 0x10000, v14
	s_delay_alu instid0(VALU_DEP_2) | instskip(NEXT) | instid1(VALU_DEP_1)
	v_cmp_eq_u32_e64 s7, 0, v13
	v_cndmask_b32_e64 v13, v15, v14, s7
; %bb.80:
	s_or_b32 exec_lo, exec_lo, s9
	v_lshlrev_b32_e32 v14, 16, v12
	s_delay_alu instid0(VALU_DEP_1) | instskip(NEXT) | instid1(VALU_DEP_1)
	v_add_f32_e32 v15, 0, v14
	v_and_b32_e32 v14, 0x7f800000, v15
	s_delay_alu instid0(VALU_DEP_1) | instskip(NEXT) | instid1(VALU_DEP_1)
	v_cmp_ne_u32_e64 s7, 0x7f800000, v14
                                        ; implicit-def: $vgpr14
	s_and_saveexec_b32 s9, s7
	s_delay_alu instid0(SALU_CYCLE_1)
	s_xor_b32 s7, exec_lo, s9
; %bb.81:
	v_bfe_u32 v14, v15, 16, 1
	s_delay_alu instid0(VALU_DEP_1)
	v_add3_u32 v14, v15, v14, 0x7fff
                                        ; implicit-def: $vgpr15
; %bb.82:
	s_and_not1_saveexec_b32 s9, s7
; %bb.83:
	v_and_b32_e32 v14, 0xffff, v15
	v_or_b32_e32 v18, 0x10000, v15
	s_delay_alu instid0(VALU_DEP_2) | instskip(NEXT) | instid1(VALU_DEP_1)
	v_cmp_eq_u32_e64 s7, 0, v14
	v_cndmask_b32_e64 v14, v18, v15, s7
; %bb.84:
	s_or_b32 exec_lo, exec_lo, s9
	v_cmp_lt_i32_e64 s7, -1, v13
	s_delay_alu instid0(VALU_DEP_2) | instskip(SKIP_1) | instid1(VALU_DEP_2)
	v_perm_b32 v13, v14, v13, 0x7060302
	s_mov_b32 s9, exec_lo
	v_cndmask_b32_e64 v15, -1, 0xffff8000, s7
	v_cmp_lt_i32_e64 s7, -1, v14
	s_delay_alu instid0(VALU_DEP_1) | instskip(NEXT) | instid1(VALU_DEP_1)
	v_cndmask_b32_e64 v18, -1, 0xffff8000, s7
	v_perm_b32 v14, v18, v15, 0x5040100
	v_dual_mov_b32 v18, v28 :: v_dual_mov_b32 v19, v29
	s_delay_alu instid0(VALU_DEP_2) | instskip(SKIP_1) | instid1(VALU_DEP_2)
	v_xor_b32_e32 v13, v14, v13
	v_mov_b32_e32 v14, v12
	v_lshrrev_b32_e32 v15, 16, v13
	s_delay_alu instid0(VALU_DEP_1)
	v_cmpx_gt_u16_e64 v13, v15
; %bb.85:
	v_mov_b32_e32 v18, v30
	v_dual_mov_b32 v14, v53 :: v_dual_mov_b32 v19, v31
	v_dual_mov_b32 v31, v29 :: v_dual_mov_b32 v30, v28
	v_mov_b32_e32 v53, v12
; %bb.86:
	s_or_b32 exec_lo, exec_lo, s9
	v_lshlrev_b32_e32 v12, 16, v51
	s_delay_alu instid0(VALU_DEP_1) | instskip(NEXT) | instid1(VALU_DEP_1)
	v_add_f32_e32 v13, 0, v12
	v_and_b32_e32 v12, 0x7f800000, v13
	s_delay_alu instid0(VALU_DEP_1) | instskip(NEXT) | instid1(VALU_DEP_1)
	v_cmp_ne_u32_e64 s7, 0x7f800000, v12
                                        ; implicit-def: $vgpr12
	s_and_saveexec_b32 s9, s7
	s_delay_alu instid0(SALU_CYCLE_1)
	s_xor_b32 s7, exec_lo, s9
; %bb.87:
	v_bfe_u32 v12, v13, 16, 1
	s_delay_alu instid0(VALU_DEP_1)
	v_add3_u32 v12, v13, v12, 0x7fff
                                        ; implicit-def: $vgpr13
; %bb.88:
	s_and_not1_saveexec_b32 s9, s7
; %bb.89:
	v_and_b32_e32 v12, 0xffff, v13
	v_or_b32_e32 v15, 0x10000, v13
	s_delay_alu instid0(VALU_DEP_2) | instskip(NEXT) | instid1(VALU_DEP_1)
	v_cmp_eq_u32_e64 s7, 0, v12
	v_cndmask_b32_e64 v12, v15, v13, s7
; %bb.90:
	s_or_b32 exec_lo, exec_lo, s9
	v_lshlrev_b32_e32 v13, 16, v48
	s_delay_alu instid0(VALU_DEP_1) | instskip(NEXT) | instid1(VALU_DEP_1)
	v_add_f32_e32 v15, 0, v13
	v_and_b32_e32 v13, 0x7f800000, v15
	s_delay_alu instid0(VALU_DEP_1) | instskip(NEXT) | instid1(VALU_DEP_1)
	v_cmp_ne_u32_e64 s7, 0x7f800000, v13
                                        ; implicit-def: $vgpr13
	s_and_saveexec_b32 s9, s7
	s_delay_alu instid0(SALU_CYCLE_1)
	s_xor_b32 s7, exec_lo, s9
; %bb.91:
	v_bfe_u32 v13, v15, 16, 1
	s_delay_alu instid0(VALU_DEP_1)
	v_add3_u32 v13, v15, v13, 0x7fff
                                        ; implicit-def: $vgpr15
; %bb.92:
	s_and_not1_saveexec_b32 s9, s7
; %bb.93:
	v_and_b32_e32 v13, 0xffff, v15
	v_or_b32_e32 v26, 0x10000, v15
	s_delay_alu instid0(VALU_DEP_2) | instskip(NEXT) | instid1(VALU_DEP_1)
	v_cmp_eq_u32_e64 s7, 0, v13
	v_cndmask_b32_e64 v13, v26, v15, s7
; %bb.94:
	s_or_b32 exec_lo, exec_lo, s9
	v_cmp_lt_i32_e64 s7, -1, v12
	s_delay_alu instid0(VALU_DEP_2) | instskip(SKIP_2) | instid1(VALU_DEP_3)
	v_perm_b32 v12, v13, v12, 0x7060302
	v_mov_b32_e32 v50, v48
	s_mov_b32 s9, exec_lo
	v_cndmask_b32_e64 v15, -1, 0xffff8000, s7
	v_cmp_lt_i32_e64 s7, -1, v13
	s_delay_alu instid0(VALU_DEP_1) | instskip(NEXT) | instid1(VALU_DEP_1)
	v_cndmask_b32_e64 v26, -1, 0xffff8000, s7
	v_perm_b32 v13, v26, v15, 0x5040100
	s_delay_alu instid0(VALU_DEP_1) | instskip(SKIP_1) | instid1(VALU_DEP_2)
	v_xor_b32_e32 v15, v13, v12
	v_dual_mov_b32 v12, v16 :: v_dual_mov_b32 v13, v17
	v_lshrrev_b32_e32 v26, 16, v15
	s_delay_alu instid0(VALU_DEP_1)
	v_cmpx_gt_u16_e64 v15, v26
; %bb.95:
	v_dual_mov_b32 v13, v9 :: v_dual_mov_b32 v12, v8
	v_dual_mov_b32 v8, v16 :: v_dual_mov_b32 v9, v17
	;; [unrolled: 1-line block ×3, first 2 shown]
; %bb.96:
	s_or_b32 exec_lo, exec_lo, s9
	v_lshlrev_b32_e32 v15, 16, v33
	s_delay_alu instid0(VALU_DEP_1) | instskip(NEXT) | instid1(VALU_DEP_1)
	v_add_f32_e32 v16, 0, v15
	v_and_b32_e32 v15, 0x7f800000, v16
	s_delay_alu instid0(VALU_DEP_1) | instskip(NEXT) | instid1(VALU_DEP_1)
	v_cmp_ne_u32_e64 s7, 0x7f800000, v15
                                        ; implicit-def: $vgpr15
	s_and_saveexec_b32 s9, s7
	s_delay_alu instid0(SALU_CYCLE_1)
	s_xor_b32 s7, exec_lo, s9
; %bb.97:
	v_bfe_u32 v15, v16, 16, 1
	s_delay_alu instid0(VALU_DEP_1)
	v_add3_u32 v15, v16, v15, 0x7fff
                                        ; implicit-def: $vgpr16
; %bb.98:
	s_and_not1_saveexec_b32 s9, s7
; %bb.99:
	v_and_b32_e32 v15, 0xffff, v16
	v_or_b32_e32 v17, 0x10000, v16
	s_delay_alu instid0(VALU_DEP_2) | instskip(NEXT) | instid1(VALU_DEP_1)
	v_cmp_eq_u32_e64 s7, 0, v15
	v_cndmask_b32_e64 v15, v17, v16, s7
; %bb.100:
	s_or_b32 exec_lo, exec_lo, s9
	v_lshlrev_b32_e32 v16, 16, v38
	s_delay_alu instid0(VALU_DEP_1) | instskip(NEXT) | instid1(VALU_DEP_1)
	v_add_f32_e32 v17, 0, v16
	v_and_b32_e32 v16, 0x7f800000, v17
	s_delay_alu instid0(VALU_DEP_1) | instskip(NEXT) | instid1(VALU_DEP_1)
	v_cmp_ne_u32_e64 s7, 0x7f800000, v16
                                        ; implicit-def: $vgpr16
	s_and_saveexec_b32 s9, s7
	s_delay_alu instid0(SALU_CYCLE_1)
	s_xor_b32 s7, exec_lo, s9
; %bb.101:
	v_bfe_u32 v16, v17, 16, 1
	s_delay_alu instid0(VALU_DEP_1)
	v_add3_u32 v16, v17, v16, 0x7fff
                                        ; implicit-def: $vgpr17
; %bb.102:
	s_and_not1_saveexec_b32 s9, s7
; %bb.103:
	v_and_b32_e32 v16, 0xffff, v17
	v_or_b32_e32 v26, 0x10000, v17
	s_delay_alu instid0(VALU_DEP_2) | instskip(NEXT) | instid1(VALU_DEP_1)
	v_cmp_eq_u32_e64 s7, 0, v16
	v_cndmask_b32_e64 v16, v26, v17, s7
; %bb.104:
	s_or_b32 exec_lo, exec_lo, s9
	v_cmp_lt_i32_e64 s7, -1, v15
	s_delay_alu instid0(VALU_DEP_2) | instskip(SKIP_2) | instid1(VALU_DEP_3)
	v_perm_b32 v15, v16, v15, 0x7060302
	v_mov_b32_e32 v48, v33
	s_mov_b32 s9, exec_lo
	v_cndmask_b32_e64 v17, -1, 0xffff8000, s7
	v_cmp_lt_i32_e64 s7, -1, v16
	s_delay_alu instid0(VALU_DEP_1) | instskip(NEXT) | instid1(VALU_DEP_1)
	v_cndmask_b32_e64 v26, -1, 0xffff8000, s7
	v_perm_b32 v16, v26, v17, 0x5040100
	v_dual_mov_b32 v27, v21 :: v_dual_mov_b32 v26, v20
	s_delay_alu instid0(VALU_DEP_2) | instskip(NEXT) | instid1(VALU_DEP_1)
	v_xor_b32_e32 v15, v16, v15
	v_lshrrev_b32_e32 v16, 16, v15
	s_delay_alu instid0(VALU_DEP_1)
	v_cmpx_gt_u16_e64 v15, v16
; %bb.105:
	v_dual_mov_b32 v48, v38 :: v_dual_mov_b32 v27, v5
	v_mov_b32_e32 v26, v4
	v_dual_mov_b32 v4, v20 :: v_dual_mov_b32 v5, v21
	v_mov_b32_e32 v38, v33
; %bb.106:
	s_or_b32 exec_lo, exec_lo, s9
	v_lshlrev_b32_e32 v15, 16, v14
	s_delay_alu instid0(VALU_DEP_1) | instskip(NEXT) | instid1(VALU_DEP_1)
	v_add_f32_e32 v16, 0, v15
	v_and_b32_e32 v15, 0x7f800000, v16
	s_delay_alu instid0(VALU_DEP_1) | instskip(NEXT) | instid1(VALU_DEP_1)
	v_cmp_ne_u32_e64 s7, 0x7f800000, v15
                                        ; implicit-def: $vgpr15
	s_and_saveexec_b32 s9, s7
	s_delay_alu instid0(SALU_CYCLE_1)
	s_xor_b32 s7, exec_lo, s9
; %bb.107:
	v_bfe_u32 v15, v16, 16, 1
	s_delay_alu instid0(VALU_DEP_1)
	v_add3_u32 v15, v16, v15, 0x7fff
                                        ; implicit-def: $vgpr16
; %bb.108:
	s_and_not1_saveexec_b32 s9, s7
; %bb.109:
	v_and_b32_e32 v15, 0xffff, v16
	v_or_b32_e32 v17, 0x10000, v16
	s_delay_alu instid0(VALU_DEP_2) | instskip(NEXT) | instid1(VALU_DEP_1)
	v_cmp_eq_u32_e64 s7, 0, v15
	v_cndmask_b32_e64 v15, v17, v16, s7
; %bb.110:
	s_or_b32 exec_lo, exec_lo, s9
	v_lshlrev_b32_e32 v16, 16, v49
	s_delay_alu instid0(VALU_DEP_1) | instskip(NEXT) | instid1(VALU_DEP_1)
	v_add_f32_e32 v17, 0, v16
	v_and_b32_e32 v16, 0x7f800000, v17
	s_delay_alu instid0(VALU_DEP_1) | instskip(NEXT) | instid1(VALU_DEP_1)
	v_cmp_ne_u32_e64 s7, 0x7f800000, v16
                                        ; implicit-def: $vgpr16
	s_and_saveexec_b32 s9, s7
	s_delay_alu instid0(SALU_CYCLE_1)
	s_xor_b32 s7, exec_lo, s9
; %bb.111:
	v_bfe_u32 v16, v17, 16, 1
	s_delay_alu instid0(VALU_DEP_1)
	v_add3_u32 v16, v17, v16, 0x7fff
                                        ; implicit-def: $vgpr17
; %bb.112:
	s_and_not1_saveexec_b32 s9, s7
; %bb.113:
	v_and_b32_e32 v16, 0xffff, v17
	v_or_b32_e32 v20, 0x10000, v17
	s_delay_alu instid0(VALU_DEP_2) | instskip(NEXT) | instid1(VALU_DEP_1)
	v_cmp_eq_u32_e64 s7, 0, v16
	v_cndmask_b32_e64 v16, v20, v17, s7
; %bb.114:
	s_or_b32 exec_lo, exec_lo, s9
	v_cmp_lt_i32_e64 s7, -1, v15
	s_delay_alu instid0(VALU_DEP_2) | instskip(SKIP_2) | instid1(VALU_DEP_3)
	v_perm_b32 v15, v16, v15, 0x7060302
	v_mov_b32_e32 v54, v14
	s_mov_b32 s9, exec_lo
	v_cndmask_b32_e64 v17, -1, 0xffff8000, s7
	v_cmp_lt_i32_e64 s7, -1, v16
	s_delay_alu instid0(VALU_DEP_1) | instskip(NEXT) | instid1(VALU_DEP_1)
	v_cndmask_b32_e64 v20, -1, 0xffff8000, s7
	v_perm_b32 v16, v20, v17, 0x5040100
	v_dual_mov_b32 v20, v30 :: v_dual_mov_b32 v21, v31
	s_delay_alu instid0(VALU_DEP_2) | instskip(NEXT) | instid1(VALU_DEP_1)
	v_xor_b32_e32 v15, v16, v15
	v_lshrrev_b32_e32 v16, 16, v15
	s_delay_alu instid0(VALU_DEP_1)
	v_cmpx_gt_u16_e64 v15, v16
; %bb.115:
	v_dual_mov_b32 v54, v49 :: v_dual_mov_b32 v49, v14
	v_dual_mov_b32 v20, v22 :: v_dual_mov_b32 v21, v23
	;; [unrolled: 1-line block ×3, first 2 shown]
; %bb.116:
	s_or_b32 exec_lo, exec_lo, s9
	v_lshlrev_b32_e32 v14, 16, v50
	s_delay_alu instid0(VALU_DEP_1) | instskip(NEXT) | instid1(VALU_DEP_1)
	v_add_f32_e32 v15, 0, v14
	v_and_b32_e32 v14, 0x7f800000, v15
	s_delay_alu instid0(VALU_DEP_1) | instskip(NEXT) | instid1(VALU_DEP_1)
	v_cmp_ne_u32_e64 s7, 0x7f800000, v14
                                        ; implicit-def: $vgpr14
	s_and_saveexec_b32 s9, s7
	s_delay_alu instid0(SALU_CYCLE_1)
	s_xor_b32 s7, exec_lo, s9
; %bb.117:
	v_bfe_u32 v14, v15, 16, 1
	s_delay_alu instid0(VALU_DEP_1)
	v_add3_u32 v14, v15, v14, 0x7fff
                                        ; implicit-def: $vgpr15
; %bb.118:
	s_and_not1_saveexec_b32 s9, s7
; %bb.119:
	v_and_b32_e32 v14, 0xffff, v15
	v_or_b32_e32 v16, 0x10000, v15
	s_delay_alu instid0(VALU_DEP_2) | instskip(NEXT) | instid1(VALU_DEP_1)
	v_cmp_eq_u32_e64 s7, 0, v14
	v_cndmask_b32_e64 v14, v16, v15, s7
; %bb.120:
	s_or_b32 exec_lo, exec_lo, s9
	v_lshlrev_b32_e32 v15, 16, v53
	s_delay_alu instid0(VALU_DEP_1) | instskip(NEXT) | instid1(VALU_DEP_1)
	v_add_f32_e32 v16, 0, v15
	v_and_b32_e32 v15, 0x7f800000, v16
	s_delay_alu instid0(VALU_DEP_1) | instskip(NEXT) | instid1(VALU_DEP_1)
	v_cmp_ne_u32_e64 s7, 0x7f800000, v15
                                        ; implicit-def: $vgpr15
	s_and_saveexec_b32 s9, s7
	s_delay_alu instid0(SALU_CYCLE_1)
	s_xor_b32 s7, exec_lo, s9
; %bb.121:
	v_bfe_u32 v15, v16, 16, 1
	s_delay_alu instid0(VALU_DEP_1)
	v_add3_u32 v15, v16, v15, 0x7fff
                                        ; implicit-def: $vgpr16
; %bb.122:
	s_and_not1_saveexec_b32 s9, s7
; %bb.123:
	v_and_b32_e32 v15, 0xffff, v16
	v_or_b32_e32 v17, 0x10000, v16
	s_delay_alu instid0(VALU_DEP_2) | instskip(NEXT) | instid1(VALU_DEP_1)
	v_cmp_eq_u32_e64 s7, 0, v15
	v_cndmask_b32_e64 v15, v17, v16, s7
; %bb.124:
	s_or_b32 exec_lo, exec_lo, s9
	v_cmp_lt_i32_e64 s7, -1, v14
	s_delay_alu instid0(VALU_DEP_2) | instskip(SKIP_2) | instid1(VALU_DEP_3)
	v_perm_b32 v14, v15, v14, 0x7060302
	v_mov_b32_e32 v52, v53
	s_mov_b32 s9, exec_lo
	v_cndmask_b32_e64 v16, -1, 0xffff8000, s7
	v_cmp_lt_i32_e64 s7, -1, v15
	s_delay_alu instid0(VALU_DEP_1) | instskip(NEXT) | instid1(VALU_DEP_1)
	v_cndmask_b32_e64 v17, -1, 0xffff8000, s7
	v_perm_b32 v15, v17, v16, 0x5040100
	s_delay_alu instid0(VALU_DEP_1) | instskip(SKIP_1) | instid1(VALU_DEP_2)
	v_xor_b32_e32 v16, v15, v14
	v_dual_mov_b32 v15, v9 :: v_dual_mov_b32 v14, v8
	v_lshrrev_b32_e32 v17, 16, v16
	s_delay_alu instid0(VALU_DEP_1)
	v_cmpx_gt_u16_e64 v16, v17
; %bb.125:
	v_dual_mov_b32 v14, v18 :: v_dual_mov_b32 v15, v19
	v_dual_mov_b32 v19, v9 :: v_dual_mov_b32 v18, v8
	v_mov_b32_e32 v52, v50
	v_mov_b32_e32 v50, v53
; %bb.126:
	s_or_b32 exec_lo, exec_lo, s9
	v_lshlrev_b32_e32 v8, 16, v39
	s_delay_alu instid0(VALU_DEP_1) | instskip(NEXT) | instid1(VALU_DEP_1)
	v_add_f32_e32 v9, 0, v8
	v_and_b32_e32 v8, 0x7f800000, v9
	s_delay_alu instid0(VALU_DEP_1) | instskip(NEXT) | instid1(VALU_DEP_1)
	v_cmp_ne_u32_e64 s7, 0x7f800000, v8
                                        ; implicit-def: $vgpr8
	s_and_saveexec_b32 s9, s7
	s_delay_alu instid0(SALU_CYCLE_1)
	s_xor_b32 s7, exec_lo, s9
; %bb.127:
	v_bfe_u32 v8, v9, 16, 1
	s_delay_alu instid0(VALU_DEP_1)
	v_add3_u32 v8, v9, v8, 0x7fff
                                        ; implicit-def: $vgpr9
; %bb.128:
	s_and_not1_saveexec_b32 s9, s7
; %bb.129:
	v_and_b32_e32 v8, 0xffff, v9
	v_or_b32_e32 v16, 0x10000, v9
	s_delay_alu instid0(VALU_DEP_2) | instskip(NEXT) | instid1(VALU_DEP_1)
	v_cmp_eq_u32_e64 s7, 0, v8
	v_cndmask_b32_e64 v8, v16, v9, s7
; %bb.130:
	s_or_b32 exec_lo, exec_lo, s9
	v_lshlrev_b32_e32 v9, 16, v51
	s_delay_alu instid0(VALU_DEP_1) | instskip(NEXT) | instid1(VALU_DEP_1)
	v_add_f32_e32 v16, 0, v9
	v_and_b32_e32 v9, 0x7f800000, v16
	s_delay_alu instid0(VALU_DEP_1) | instskip(NEXT) | instid1(VALU_DEP_1)
	v_cmp_ne_u32_e64 s7, 0x7f800000, v9
                                        ; implicit-def: $vgpr9
	s_and_saveexec_b32 s9, s7
	s_delay_alu instid0(SALU_CYCLE_1)
	s_xor_b32 s7, exec_lo, s9
; %bb.131:
	v_bfe_u32 v9, v16, 16, 1
	s_delay_alu instid0(VALU_DEP_1)
	v_add3_u32 v9, v16, v9, 0x7fff
                                        ; implicit-def: $vgpr16
; %bb.132:
	s_and_not1_saveexec_b32 s9, s7
; %bb.133:
	v_and_b32_e32 v9, 0xffff, v16
	v_or_b32_e32 v17, 0x10000, v16
	s_delay_alu instid0(VALU_DEP_2) | instskip(NEXT) | instid1(VALU_DEP_1)
	v_cmp_eq_u32_e64 s7, 0, v9
	v_cndmask_b32_e64 v9, v17, v16, s7
; %bb.134:
	s_or_b32 exec_lo, exec_lo, s9
	v_cmp_lt_i32_e64 s7, -1, v8
	s_delay_alu instid0(VALU_DEP_2) | instskip(SKIP_2) | instid1(VALU_DEP_3)
	v_perm_b32 v8, v9, v8, 0x7060302
	v_mov_b32_e32 v33, v51
	s_mov_b32 s9, exec_lo
	v_cndmask_b32_e64 v16, -1, 0xffff8000, s7
	v_cmp_lt_i32_e64 s7, -1, v9
	s_delay_alu instid0(VALU_DEP_1) | instskip(NEXT) | instid1(VALU_DEP_1)
	v_cndmask_b32_e64 v17, -1, 0xffff8000, s7
	v_perm_b32 v9, v17, v16, 0x5040100
	s_delay_alu instid0(VALU_DEP_1) | instskip(SKIP_1) | instid1(VALU_DEP_2)
	v_xor_b32_e32 v16, v9, v8
	v_dual_mov_b32 v8, v10 :: v_dual_mov_b32 v9, v11
	v_lshrrev_b32_e32 v17, 16, v16
	s_delay_alu instid0(VALU_DEP_1)
	v_cmpx_gt_u16_e64 v16, v17
; %bb.135:
	v_dual_mov_b32 v8, v12 :: v_dual_mov_b32 v9, v13
	v_dual_mov_b32 v13, v11 :: v_dual_mov_b32 v12, v10
	v_mov_b32_e32 v33, v39
	v_mov_b32_e32 v39, v51
; %bb.136:
	s_or_b32 exec_lo, exec_lo, s9
	v_lshlrev_b32_e32 v10, 16, v49
	s_delay_alu instid0(VALU_DEP_1) | instskip(NEXT) | instid1(VALU_DEP_1)
	v_add_f32_e32 v11, 0, v10
	v_and_b32_e32 v10, 0x7f800000, v11
	s_delay_alu instid0(VALU_DEP_1) | instskip(NEXT) | instid1(VALU_DEP_1)
	v_cmp_ne_u32_e64 s7, 0x7f800000, v10
                                        ; implicit-def: $vgpr10
	s_and_saveexec_b32 s9, s7
	s_delay_alu instid0(SALU_CYCLE_1)
	s_xor_b32 s7, exec_lo, s9
; %bb.137:
	v_bfe_u32 v10, v11, 16, 1
	s_delay_alu instid0(VALU_DEP_1)
	v_add3_u32 v10, v11, v10, 0x7fff
                                        ; implicit-def: $vgpr11
; %bb.138:
	s_and_not1_saveexec_b32 s9, s7
; %bb.139:
	v_and_b32_e32 v10, 0xffff, v11
	v_or_b32_e32 v16, 0x10000, v11
	s_delay_alu instid0(VALU_DEP_2) | instskip(NEXT) | instid1(VALU_DEP_1)
	v_cmp_eq_u32_e64 s7, 0, v10
	v_cndmask_b32_e64 v10, v16, v11, s7
; %bb.140:
	s_or_b32 exec_lo, exec_lo, s9
	v_lshlrev_b32_e32 v11, 16, v48
	s_delay_alu instid0(VALU_DEP_1) | instskip(NEXT) | instid1(VALU_DEP_1)
	v_add_f32_e32 v16, 0, v11
	v_and_b32_e32 v11, 0x7f800000, v16
	s_delay_alu instid0(VALU_DEP_1) | instskip(NEXT) | instid1(VALU_DEP_1)
	v_cmp_ne_u32_e64 s7, 0x7f800000, v11
                                        ; implicit-def: $vgpr11
	s_and_saveexec_b32 s9, s7
	s_delay_alu instid0(SALU_CYCLE_1)
	s_xor_b32 s7, exec_lo, s9
; %bb.141:
	v_bfe_u32 v11, v16, 16, 1
	s_delay_alu instid0(VALU_DEP_1)
	v_add3_u32 v11, v16, v11, 0x7fff
                                        ; implicit-def: $vgpr16
; %bb.142:
	s_and_not1_saveexec_b32 s9, s7
; %bb.143:
	v_and_b32_e32 v11, 0xffff, v16
	v_or_b32_e32 v17, 0x10000, v16
	s_delay_alu instid0(VALU_DEP_2) | instskip(NEXT) | instid1(VALU_DEP_1)
	v_cmp_eq_u32_e64 s7, 0, v11
	v_cndmask_b32_e64 v11, v17, v16, s7
; %bb.144:
	s_or_b32 exec_lo, exec_lo, s9
	v_cmp_lt_i32_e64 s7, -1, v10
	s_delay_alu instid0(VALU_DEP_2) | instskip(SKIP_2) | instid1(VALU_DEP_4)
	v_perm_b32 v10, v11, v10, 0x7060302
	v_dual_mov_b32 v30, v49 :: v_dual_mov_b32 v29, v23
	v_mov_b32_e32 v28, v22
	v_cndmask_b32_e64 v16, -1, 0xffff8000, s7
	v_cmp_lt_i32_e64 s7, -1, v11
	s_mov_b32 s9, exec_lo
	s_delay_alu instid0(VALU_DEP_1) | instskip(NEXT) | instid1(VALU_DEP_1)
	v_cndmask_b32_e64 v17, -1, 0xffff8000, s7
	v_perm_b32 v11, v17, v16, 0x5040100
	s_delay_alu instid0(VALU_DEP_1) | instskip(NEXT) | instid1(VALU_DEP_1)
	v_xor_b32_e32 v10, v11, v10
	v_lshrrev_b32_e32 v11, 16, v10
	s_delay_alu instid0(VALU_DEP_1)
	v_cmpx_gt_u16_e64 v10, v11
; %bb.145:
	v_dual_mov_b32 v30, v48 :: v_dual_mov_b32 v29, v27
	v_mov_b32_e32 v48, v49
	v_dual_mov_b32 v28, v26 :: v_dual_mov_b32 v27, v23
	v_mov_b32_e32 v26, v22
; %bb.146:
	s_or_b32 exec_lo, exec_lo, s9
	v_lshlrev_b32_e32 v10, 16, v52
	s_delay_alu instid0(VALU_DEP_1) | instskip(NEXT) | instid1(VALU_DEP_1)
	v_add_f32_e32 v11, 0, v10
	v_and_b32_e32 v10, 0x7f800000, v11
	s_delay_alu instid0(VALU_DEP_1) | instskip(NEXT) | instid1(VALU_DEP_1)
	v_cmp_ne_u32_e64 s7, 0x7f800000, v10
                                        ; implicit-def: $vgpr10
	s_and_saveexec_b32 s9, s7
	s_delay_alu instid0(SALU_CYCLE_1)
	s_xor_b32 s7, exec_lo, s9
; %bb.147:
	v_bfe_u32 v10, v11, 16, 1
	s_delay_alu instid0(VALU_DEP_1)
	v_add3_u32 v10, v11, v10, 0x7fff
                                        ; implicit-def: $vgpr11
; %bb.148:
	s_and_not1_saveexec_b32 s9, s7
; %bb.149:
	v_and_b32_e32 v10, 0xffff, v11
	v_or_b32_e32 v16, 0x10000, v11
	s_delay_alu instid0(VALU_DEP_2) | instskip(NEXT) | instid1(VALU_DEP_1)
	v_cmp_eq_u32_e64 s7, 0, v10
	v_cndmask_b32_e64 v10, v16, v11, s7
; %bb.150:
	s_or_b32 exec_lo, exec_lo, s9
	v_lshlrev_b32_e32 v11, 16, v54
	s_delay_alu instid0(VALU_DEP_1) | instskip(NEXT) | instid1(VALU_DEP_1)
	v_add_f32_e32 v16, 0, v11
	v_and_b32_e32 v11, 0x7f800000, v16
	s_delay_alu instid0(VALU_DEP_1) | instskip(NEXT) | instid1(VALU_DEP_1)
	v_cmp_ne_u32_e64 s7, 0x7f800000, v11
                                        ; implicit-def: $vgpr11
	s_and_saveexec_b32 s9, s7
	s_delay_alu instid0(SALU_CYCLE_1)
	s_xor_b32 s7, exec_lo, s9
; %bb.151:
	v_bfe_u32 v11, v16, 16, 1
	s_delay_alu instid0(VALU_DEP_1)
	v_add3_u32 v11, v16, v11, 0x7fff
                                        ; implicit-def: $vgpr16
; %bb.152:
	s_and_not1_saveexec_b32 s9, s7
; %bb.153:
	v_and_b32_e32 v11, 0xffff, v16
	v_or_b32_e32 v17, 0x10000, v16
	s_delay_alu instid0(VALU_DEP_2) | instskip(NEXT) | instid1(VALU_DEP_1)
	v_cmp_eq_u32_e64 s7, 0, v11
	v_cndmask_b32_e64 v11, v17, v16, s7
; %bb.154:
	s_or_b32 exec_lo, exec_lo, s9
	v_cmp_lt_i32_e64 s7, -1, v10
	s_delay_alu instid0(VALU_DEP_2) | instskip(SKIP_2) | instid1(VALU_DEP_3)
	v_perm_b32 v10, v11, v10, 0x7060302
	v_mov_b32_e32 v51, v54
	s_mov_b32 s9, exec_lo
	v_cndmask_b32_e64 v16, -1, 0xffff8000, s7
	v_cmp_lt_i32_e64 s7, -1, v11
	s_delay_alu instid0(VALU_DEP_1) | instskip(NEXT) | instid1(VALU_DEP_1)
	v_cndmask_b32_e64 v17, -1, 0xffff8000, s7
	v_perm_b32 v11, v17, v16, 0x5040100
	v_dual_mov_b32 v16, v18 :: v_dual_mov_b32 v17, v19
	s_delay_alu instid0(VALU_DEP_2) | instskip(NEXT) | instid1(VALU_DEP_1)
	v_xor_b32_e32 v10, v11, v10
	v_lshrrev_b32_e32 v11, 16, v10
	s_delay_alu instid0(VALU_DEP_1)
	v_cmpx_gt_u16_e64 v10, v11
; %bb.155:
	v_dual_mov_b32 v16, v20 :: v_dual_mov_b32 v17, v21
	v_mov_b32_e32 v21, v19
	v_dual_mov_b32 v51, v52 :: v_dual_mov_b32 v20, v18
	v_mov_b32_e32 v52, v54
; %bb.156:
	s_or_b32 exec_lo, exec_lo, s9
	v_lshlrev_b32_e32 v10, 16, v33
	s_delay_alu instid0(VALU_DEP_1) | instskip(NEXT) | instid1(VALU_DEP_1)
	v_add_f32_e32 v11, 0, v10
	v_and_b32_e32 v10, 0x7f800000, v11
	s_delay_alu instid0(VALU_DEP_1) | instskip(NEXT) | instid1(VALU_DEP_1)
	v_cmp_ne_u32_e64 s7, 0x7f800000, v10
                                        ; implicit-def: $vgpr10
	s_and_saveexec_b32 s9, s7
	s_delay_alu instid0(SALU_CYCLE_1)
	s_xor_b32 s7, exec_lo, s9
; %bb.157:
	v_bfe_u32 v10, v11, 16, 1
	s_delay_alu instid0(VALU_DEP_1)
	v_add3_u32 v10, v11, v10, 0x7fff
                                        ; implicit-def: $vgpr11
; %bb.158:
	s_and_not1_saveexec_b32 s9, s7
; %bb.159:
	v_and_b32_e32 v10, 0xffff, v11
	v_or_b32_e32 v18, 0x10000, v11
	s_delay_alu instid0(VALU_DEP_2) | instskip(NEXT) | instid1(VALU_DEP_1)
	v_cmp_eq_u32_e64 s7, 0, v10
	v_cndmask_b32_e64 v10, v18, v11, s7
; %bb.160:
	s_or_b32 exec_lo, exec_lo, s9
	v_lshlrev_b32_e32 v11, 16, v50
	s_delay_alu instid0(VALU_DEP_1) | instskip(NEXT) | instid1(VALU_DEP_1)
	v_add_f32_e32 v18, 0, v11
	v_and_b32_e32 v11, 0x7f800000, v18
	s_delay_alu instid0(VALU_DEP_1) | instskip(NEXT) | instid1(VALU_DEP_1)
	v_cmp_ne_u32_e64 s7, 0x7f800000, v11
                                        ; implicit-def: $vgpr11
	s_and_saveexec_b32 s9, s7
	s_delay_alu instid0(SALU_CYCLE_1)
	s_xor_b32 s7, exec_lo, s9
; %bb.161:
	v_bfe_u32 v11, v18, 16, 1
	s_delay_alu instid0(VALU_DEP_1)
	v_add3_u32 v11, v18, v11, 0x7fff
                                        ; implicit-def: $vgpr18
; %bb.162:
	s_and_not1_saveexec_b32 s9, s7
; %bb.163:
	v_and_b32_e32 v11, 0xffff, v18
	v_or_b32_e32 v19, 0x10000, v18
	s_delay_alu instid0(VALU_DEP_2) | instskip(NEXT) | instid1(VALU_DEP_1)
	v_cmp_eq_u32_e64 s7, 0, v11
	v_cndmask_b32_e64 v11, v19, v18, s7
; %bb.164:
	s_or_b32 exec_lo, exec_lo, s9
	v_cmp_lt_i32_e64 s7, -1, v10
	s_delay_alu instid0(VALU_DEP_2) | instskip(SKIP_2) | instid1(VALU_DEP_3)
	v_perm_b32 v10, v11, v10, 0x7060302
	v_mov_b32_e32 v49, v50
	s_mov_b32 s9, exec_lo
	v_cndmask_b32_e64 v18, -1, 0xffff8000, s7
	v_cmp_lt_i32_e64 s7, -1, v11
	s_delay_alu instid0(VALU_DEP_1) | instskip(NEXT) | instid1(VALU_DEP_1)
	v_cndmask_b32_e64 v19, -1, 0xffff8000, s7
	v_perm_b32 v11, v19, v18, 0x5040100
	s_delay_alu instid0(VALU_DEP_1) | instskip(SKIP_1) | instid1(VALU_DEP_2)
	v_xor_b32_e32 v18, v11, v10
	v_dual_mov_b32 v10, v12 :: v_dual_mov_b32 v11, v13
	v_lshrrev_b32_e32 v19, 16, v18
	s_delay_alu instid0(VALU_DEP_1)
	v_cmpx_gt_u16_e64 v18, v19
; %bb.165:
	v_dual_mov_b32 v10, v14 :: v_dual_mov_b32 v11, v15
	v_dual_mov_b32 v15, v13 :: v_dual_mov_b32 v14, v12
	v_mov_b32_e32 v49, v33
	v_mov_b32_e32 v33, v50
; %bb.166:
	s_or_b32 exec_lo, exec_lo, s9
	v_lshlrev_b32_e32 v12, 16, v48
	s_delay_alu instid0(VALU_DEP_1) | instskip(NEXT) | instid1(VALU_DEP_1)
	v_add_f32_e32 v13, 0, v12
	v_and_b32_e32 v12, 0x7f800000, v13
	s_delay_alu instid0(VALU_DEP_1) | instskip(NEXT) | instid1(VALU_DEP_1)
	v_cmp_ne_u32_e64 s7, 0x7f800000, v12
                                        ; implicit-def: $vgpr12
	s_and_saveexec_b32 s9, s7
	s_delay_alu instid0(SALU_CYCLE_1)
	s_xor_b32 s7, exec_lo, s9
; %bb.167:
	v_bfe_u32 v12, v13, 16, 1
	s_delay_alu instid0(VALU_DEP_1)
	v_add3_u32 v12, v13, v12, 0x7fff
                                        ; implicit-def: $vgpr13
; %bb.168:
	s_and_not1_saveexec_b32 s9, s7
; %bb.169:
	v_and_b32_e32 v12, 0xffff, v13
	v_or_b32_e32 v18, 0x10000, v13
	s_delay_alu instid0(VALU_DEP_2) | instskip(NEXT) | instid1(VALU_DEP_1)
	v_cmp_eq_u32_e64 s7, 0, v12
	v_cndmask_b32_e64 v12, v18, v13, s7
; %bb.170:
	s_or_b32 exec_lo, exec_lo, s9
	v_lshlrev_b32_e32 v13, 16, v38
	s_delay_alu instid0(VALU_DEP_1) | instskip(NEXT) | instid1(VALU_DEP_1)
	v_add_f32_e32 v18, 0, v13
	v_and_b32_e32 v13, 0x7f800000, v18
	s_delay_alu instid0(VALU_DEP_1) | instskip(NEXT) | instid1(VALU_DEP_1)
	v_cmp_ne_u32_e64 s7, 0x7f800000, v13
                                        ; implicit-def: $vgpr13
	s_and_saveexec_b32 s9, s7
	s_delay_alu instid0(SALU_CYCLE_1)
	s_xor_b32 s7, exec_lo, s9
; %bb.171:
	v_bfe_u32 v13, v18, 16, 1
	s_delay_alu instid0(VALU_DEP_1)
	v_add3_u32 v13, v18, v13, 0x7fff
                                        ; implicit-def: $vgpr18
; %bb.172:
	s_and_not1_saveexec_b32 s9, s7
; %bb.173:
	v_and_b32_e32 v13, 0xffff, v18
	v_or_b32_e32 v19, 0x10000, v18
	s_delay_alu instid0(VALU_DEP_2) | instskip(NEXT) | instid1(VALU_DEP_1)
	v_cmp_eq_u32_e64 s7, 0, v13
	v_cndmask_b32_e64 v13, v19, v18, s7
; %bb.174:
	s_or_b32 exec_lo, exec_lo, s9
	v_cmp_lt_i32_e64 s7, -1, v12
	s_delay_alu instid0(VALU_DEP_2) | instskip(SKIP_2) | instid1(VALU_DEP_4)
	v_perm_b32 v12, v13, v12, 0x7060302
	v_dual_mov_b32 v31, v48 :: v_dual_mov_b32 v22, v26
	v_mov_b32_e32 v23, v27
	v_cndmask_b32_e64 v18, -1, 0xffff8000, s7
	v_cmp_lt_i32_e64 s7, -1, v13
	s_mov_b32 s9, exec_lo
	s_delay_alu instid0(VALU_DEP_1) | instskip(NEXT) | instid1(VALU_DEP_1)
	v_cndmask_b32_e64 v19, -1, 0xffff8000, s7
	v_perm_b32 v13, v19, v18, 0x5040100
	s_delay_alu instid0(VALU_DEP_1) | instskip(NEXT) | instid1(VALU_DEP_1)
	v_xor_b32_e32 v12, v13, v12
	v_lshrrev_b32_e32 v13, 16, v12
	s_delay_alu instid0(VALU_DEP_1)
	v_cmpx_gt_u16_e64 v12, v13
; %bb.175:
	v_dual_mov_b32 v31, v38 :: v_dual_mov_b32 v38, v48
	v_dual_mov_b32 v23, v5 :: v_dual_mov_b32 v22, v4
	;; [unrolled: 1-line block ×3, first 2 shown]
; %bb.176:
	s_or_b32 exec_lo, exec_lo, s9
	v_lshlrev_b32_e32 v12, 16, v51
	s_delay_alu instid0(VALU_DEP_1) | instskip(NEXT) | instid1(VALU_DEP_1)
	v_add_f32_e32 v13, 0, v12
	v_and_b32_e32 v12, 0x7f800000, v13
	s_delay_alu instid0(VALU_DEP_1) | instskip(NEXT) | instid1(VALU_DEP_1)
	v_cmp_ne_u32_e64 s7, 0x7f800000, v12
                                        ; implicit-def: $vgpr12
	s_and_saveexec_b32 s9, s7
	s_delay_alu instid0(SALU_CYCLE_1)
	s_xor_b32 s7, exec_lo, s9
; %bb.177:
	v_bfe_u32 v12, v13, 16, 1
	s_delay_alu instid0(VALU_DEP_1)
	v_add3_u32 v12, v13, v12, 0x7fff
                                        ; implicit-def: $vgpr13
; %bb.178:
	s_and_not1_saveexec_b32 s9, s7
; %bb.179:
	v_and_b32_e32 v12, 0xffff, v13
	v_or_b32_e32 v18, 0x10000, v13
	s_delay_alu instid0(VALU_DEP_2) | instskip(NEXT) | instid1(VALU_DEP_1)
	v_cmp_eq_u32_e64 s7, 0, v12
	v_cndmask_b32_e64 v12, v18, v13, s7
; %bb.180:
	s_or_b32 exec_lo, exec_lo, s9
	v_lshlrev_b32_e32 v13, 16, v30
	s_delay_alu instid0(VALU_DEP_1) | instskip(NEXT) | instid1(VALU_DEP_1)
	v_add_f32_e32 v18, 0, v13
	v_and_b32_e32 v13, 0x7f800000, v18
	s_delay_alu instid0(VALU_DEP_1) | instskip(NEXT) | instid1(VALU_DEP_1)
	v_cmp_ne_u32_e64 s7, 0x7f800000, v13
                                        ; implicit-def: $vgpr13
	s_and_saveexec_b32 s9, s7
	s_delay_alu instid0(SALU_CYCLE_1)
	s_xor_b32 s7, exec_lo, s9
; %bb.181:
	v_bfe_u32 v13, v18, 16, 1
	s_delay_alu instid0(VALU_DEP_1)
	v_add3_u32 v13, v18, v13, 0x7fff
                                        ; implicit-def: $vgpr18
; %bb.182:
	s_and_not1_saveexec_b32 s9, s7
; %bb.183:
	v_and_b32_e32 v13, 0xffff, v18
	v_or_b32_e32 v19, 0x10000, v18
	s_delay_alu instid0(VALU_DEP_2) | instskip(NEXT) | instid1(VALU_DEP_1)
	v_cmp_eq_u32_e64 s7, 0, v13
	v_cndmask_b32_e64 v13, v19, v18, s7
; %bb.184:
	s_or_b32 exec_lo, exec_lo, s9
	v_cmp_lt_i32_e64 s7, -1, v12
	s_delay_alu instid0(VALU_DEP_2) | instskip(SKIP_2) | instid1(VALU_DEP_4)
	v_perm_b32 v12, v13, v12, 0x7060302
	v_dual_mov_b32 v48, v51 :: v_dual_mov_b32 v27, v21
	v_mov_b32_e32 v26, v20
	v_cndmask_b32_e64 v18, -1, 0xffff8000, s7
	v_cmp_lt_i32_e64 s7, -1, v13
	s_mov_b32 s9, exec_lo
	s_delay_alu instid0(VALU_DEP_1) | instskip(NEXT) | instid1(VALU_DEP_1)
	v_cndmask_b32_e64 v19, -1, 0xffff8000, s7
	v_perm_b32 v13, v19, v18, 0x5040100
	s_delay_alu instid0(VALU_DEP_1) | instskip(NEXT) | instid1(VALU_DEP_1)
	v_xor_b32_e32 v12, v13, v12
	v_lshrrev_b32_e32 v13, 16, v12
	s_delay_alu instid0(VALU_DEP_1)
	v_cmpx_gt_u16_e64 v12, v13
; %bb.185:
	v_mov_b32_e32 v26, v28
	v_dual_mov_b32 v48, v30 :: v_dual_mov_b32 v27, v29
	v_dual_mov_b32 v30, v51 :: v_dual_mov_b32 v29, v21
	v_mov_b32_e32 v28, v20
; %bb.186:
	s_or_b32 exec_lo, exec_lo, s9
	v_lshlrev_b32_e32 v12, 16, v49
	s_delay_alu instid0(VALU_DEP_1) | instskip(NEXT) | instid1(VALU_DEP_1)
	v_add_f32_e32 v13, 0, v12
	v_and_b32_e32 v12, 0x7f800000, v13
	s_delay_alu instid0(VALU_DEP_1) | instskip(NEXT) | instid1(VALU_DEP_1)
	v_cmp_ne_u32_e64 s7, 0x7f800000, v12
                                        ; implicit-def: $vgpr12
	s_and_saveexec_b32 s9, s7
	s_delay_alu instid0(SALU_CYCLE_1)
	s_xor_b32 s7, exec_lo, s9
; %bb.187:
	v_bfe_u32 v12, v13, 16, 1
	s_delay_alu instid0(VALU_DEP_1)
	v_add3_u32 v12, v13, v12, 0x7fff
                                        ; implicit-def: $vgpr13
; %bb.188:
	s_and_not1_saveexec_b32 s9, s7
; %bb.189:
	v_and_b32_e32 v12, 0xffff, v13
	v_or_b32_e32 v18, 0x10000, v13
	s_delay_alu instid0(VALU_DEP_2) | instskip(NEXT) | instid1(VALU_DEP_1)
	v_cmp_eq_u32_e64 s7, 0, v12
	v_cndmask_b32_e64 v12, v18, v13, s7
; %bb.190:
	s_or_b32 exec_lo, exec_lo, s9
	v_lshlrev_b32_e32 v13, 16, v52
	s_delay_alu instid0(VALU_DEP_1) | instskip(NEXT) | instid1(VALU_DEP_1)
	v_add_f32_e32 v18, 0, v13
	v_and_b32_e32 v13, 0x7f800000, v18
	s_delay_alu instid0(VALU_DEP_1) | instskip(NEXT) | instid1(VALU_DEP_1)
	v_cmp_ne_u32_e64 s7, 0x7f800000, v13
                                        ; implicit-def: $vgpr13
	s_and_saveexec_b32 s9, s7
	s_delay_alu instid0(SALU_CYCLE_1)
	s_xor_b32 s7, exec_lo, s9
; %bb.191:
	v_bfe_u32 v13, v18, 16, 1
	s_delay_alu instid0(VALU_DEP_1)
	v_add3_u32 v13, v18, v13, 0x7fff
                                        ; implicit-def: $vgpr18
; %bb.192:
	s_and_not1_saveexec_b32 s9, s7
; %bb.193:
	v_and_b32_e32 v13, 0xffff, v18
	v_or_b32_e32 v19, 0x10000, v18
	s_delay_alu instid0(VALU_DEP_2) | instskip(NEXT) | instid1(VALU_DEP_1)
	v_cmp_eq_u32_e64 s7, 0, v13
	v_cndmask_b32_e64 v13, v19, v18, s7
; %bb.194:
	s_or_b32 exec_lo, exec_lo, s9
	v_cmp_lt_i32_e64 s7, -1, v12
	s_delay_alu instid0(VALU_DEP_2) | instskip(SKIP_2) | instid1(VALU_DEP_3)
	v_perm_b32 v12, v13, v12, 0x7060302
	v_mov_b32_e32 v53, v52
	s_mov_b32 s9, exec_lo
	v_cndmask_b32_e64 v18, -1, 0xffff8000, s7
	v_cmp_lt_i32_e64 s7, -1, v13
	s_delay_alu instid0(VALU_DEP_1) | instskip(NEXT) | instid1(VALU_DEP_1)
	v_cndmask_b32_e64 v19, -1, 0xffff8000, s7
	v_perm_b32 v13, v19, v18, 0x5040100
	v_dual_mov_b32 v19, v15 :: v_dual_mov_b32 v18, v14
	s_delay_alu instid0(VALU_DEP_2) | instskip(NEXT) | instid1(VALU_DEP_1)
	v_xor_b32_e32 v12, v13, v12
	v_lshrrev_b32_e32 v13, 16, v12
	s_delay_alu instid0(VALU_DEP_1)
	v_cmpx_gt_u16_e64 v12, v13
; %bb.195:
	v_dual_mov_b32 v19, v17 :: v_dual_mov_b32 v18, v16
	v_dual_mov_b32 v17, v15 :: v_dual_mov_b32 v16, v14
	v_mov_b32_e32 v53, v49
	v_mov_b32_e32 v49, v52
; %bb.196:
	s_or_b32 exec_lo, exec_lo, s9
	v_lshlrev_b32_e32 v12, 16, v39
	s_delay_alu instid0(VALU_DEP_1) | instskip(NEXT) | instid1(VALU_DEP_1)
	v_add_f32_e32 v13, 0, v12
	v_and_b32_e32 v12, 0x7f800000, v13
	s_delay_alu instid0(VALU_DEP_1) | instskip(NEXT) | instid1(VALU_DEP_1)
	v_cmp_ne_u32_e64 s7, 0x7f800000, v12
                                        ; implicit-def: $vgpr12
	s_and_saveexec_b32 s9, s7
	s_delay_alu instid0(SALU_CYCLE_1)
	s_xor_b32 s7, exec_lo, s9
; %bb.197:
	v_bfe_u32 v12, v13, 16, 1
	s_delay_alu instid0(VALU_DEP_1)
	v_add3_u32 v12, v13, v12, 0x7fff
                                        ; implicit-def: $vgpr13
; %bb.198:
	s_and_not1_saveexec_b32 s9, s7
; %bb.199:
	v_and_b32_e32 v12, 0xffff, v13
	v_or_b32_e32 v14, 0x10000, v13
	s_delay_alu instid0(VALU_DEP_2) | instskip(NEXT) | instid1(VALU_DEP_1)
	v_cmp_eq_u32_e64 s7, 0, v12
	v_cndmask_b32_e64 v12, v14, v13, s7
; %bb.200:
	s_or_b32 exec_lo, exec_lo, s9
	v_lshlrev_b32_e32 v13, 16, v33
	s_delay_alu instid0(VALU_DEP_1) | instskip(NEXT) | instid1(VALU_DEP_1)
	v_add_f32_e32 v14, 0, v13
	v_and_b32_e32 v13, 0x7f800000, v14
	s_delay_alu instid0(VALU_DEP_1) | instskip(NEXT) | instid1(VALU_DEP_1)
	v_cmp_ne_u32_e64 s7, 0x7f800000, v13
                                        ; implicit-def: $vgpr13
	s_and_saveexec_b32 s9, s7
	s_delay_alu instid0(SALU_CYCLE_1)
	s_xor_b32 s7, exec_lo, s9
; %bb.201:
	v_bfe_u32 v13, v14, 16, 1
	s_delay_alu instid0(VALU_DEP_1)
	v_add3_u32 v13, v14, v13, 0x7fff
                                        ; implicit-def: $vgpr14
; %bb.202:
	s_and_not1_saveexec_b32 s9, s7
; %bb.203:
	v_and_b32_e32 v13, 0xffff, v14
	v_or_b32_e32 v15, 0x10000, v14
	s_delay_alu instid0(VALU_DEP_2) | instskip(NEXT) | instid1(VALU_DEP_1)
	v_cmp_eq_u32_e64 s7, 0, v13
	v_cndmask_b32_e64 v13, v15, v14, s7
; %bb.204:
	s_or_b32 exec_lo, exec_lo, s9
	v_cmp_lt_i32_e64 s7, -1, v12
	s_delay_alu instid0(VALU_DEP_2) | instskip(SKIP_2) | instid1(VALU_DEP_3)
	v_perm_b32 v12, v13, v12, 0x7060302
	v_mov_b32_e32 v50, v33
	s_mov_b32 s9, exec_lo
	v_cndmask_b32_e64 v14, -1, 0xffff8000, s7
	v_cmp_lt_i32_e64 s7, -1, v13
	s_delay_alu instid0(VALU_DEP_1) | instskip(NEXT) | instid1(VALU_DEP_1)
	v_cndmask_b32_e64 v15, -1, 0xffff8000, s7
	v_perm_b32 v13, v15, v14, 0x5040100
	s_delay_alu instid0(VALU_DEP_1) | instskip(SKIP_1) | instid1(VALU_DEP_2)
	v_xor_b32_e32 v14, v13, v12
	v_dual_mov_b32 v13, v9 :: v_dual_mov_b32 v12, v8
	v_lshrrev_b32_e32 v15, 16, v14
	s_delay_alu instid0(VALU_DEP_1)
	v_cmpx_gt_u16_e64 v14, v15
; %bb.205:
	v_dual_mov_b32 v13, v11 :: v_dual_mov_b32 v12, v10
	v_dual_mov_b32 v11, v9 :: v_dual_mov_b32 v10, v8
	;; [unrolled: 1-line block ×3, first 2 shown]
; %bb.206:
	s_or_b32 exec_lo, exec_lo, s9
	v_lshlrev_b32_e32 v8, 16, v30
	s_delay_alu instid0(VALU_DEP_1) | instskip(NEXT) | instid1(VALU_DEP_1)
	v_add_f32_e32 v9, 0, v8
	v_and_b32_e32 v8, 0x7f800000, v9
	s_delay_alu instid0(VALU_DEP_1) | instskip(NEXT) | instid1(VALU_DEP_1)
	v_cmp_ne_u32_e64 s7, 0x7f800000, v8
                                        ; implicit-def: $vgpr8
	s_and_saveexec_b32 s9, s7
	s_delay_alu instid0(SALU_CYCLE_1)
	s_xor_b32 s7, exec_lo, s9
; %bb.207:
	v_bfe_u32 v8, v9, 16, 1
	s_delay_alu instid0(VALU_DEP_1)
	v_add3_u32 v8, v9, v8, 0x7fff
                                        ; implicit-def: $vgpr9
; %bb.208:
	s_and_not1_saveexec_b32 s9, s7
; %bb.209:
	v_and_b32_e32 v8, 0xffff, v9
	v_or_b32_e32 v14, 0x10000, v9
	s_delay_alu instid0(VALU_DEP_2) | instskip(NEXT) | instid1(VALU_DEP_1)
	v_cmp_eq_u32_e64 s7, 0, v8
	v_cndmask_b32_e64 v8, v14, v9, s7
; %bb.210:
	s_or_b32 exec_lo, exec_lo, s9
	v_lshlrev_b32_e32 v9, 16, v31
	s_delay_alu instid0(VALU_DEP_1) | instskip(NEXT) | instid1(VALU_DEP_1)
	v_add_f32_e32 v14, 0, v9
	v_and_b32_e32 v9, 0x7f800000, v14
	s_delay_alu instid0(VALU_DEP_1) | instskip(NEXT) | instid1(VALU_DEP_1)
	v_cmp_ne_u32_e64 s7, 0x7f800000, v9
                                        ; implicit-def: $vgpr9
	s_and_saveexec_b32 s9, s7
	s_delay_alu instid0(SALU_CYCLE_1)
	s_xor_b32 s7, exec_lo, s9
; %bb.211:
	v_bfe_u32 v9, v14, 16, 1
	s_delay_alu instid0(VALU_DEP_1)
	v_add3_u32 v9, v14, v9, 0x7fff
                                        ; implicit-def: $vgpr14
; %bb.212:
	s_and_not1_saveexec_b32 s9, s7
; %bb.213:
	v_and_b32_e32 v9, 0xffff, v14
	v_or_b32_e32 v15, 0x10000, v14
	s_delay_alu instid0(VALU_DEP_2) | instskip(NEXT) | instid1(VALU_DEP_1)
	v_cmp_eq_u32_e64 s7, 0, v9
	v_cndmask_b32_e64 v9, v15, v14, s7
; %bb.214:
	s_or_b32 exec_lo, exec_lo, s9
	v_cmp_lt_i32_e64 s7, -1, v8
	s_delay_alu instid0(VALU_DEP_2) | instskip(SKIP_2) | instid1(VALU_DEP_4)
	v_perm_b32 v8, v9, v8, 0x7060302
	v_dual_mov_b32 v33, v30 :: v_dual_mov_b32 v20, v28
	v_mov_b32_e32 v21, v29
	v_cndmask_b32_e64 v14, -1, 0xffff8000, s7
	v_cmp_lt_i32_e64 s7, -1, v9
	s_mov_b32 s9, exec_lo
	s_delay_alu instid0(VALU_DEP_1) | instskip(NEXT) | instid1(VALU_DEP_1)
	v_cndmask_b32_e64 v15, -1, 0xffff8000, s7
	v_perm_b32 v9, v15, v14, 0x5040100
	s_delay_alu instid0(VALU_DEP_1) | instskip(NEXT) | instid1(VALU_DEP_1)
	v_xor_b32_e32 v8, v9, v8
	v_lshrrev_b32_e32 v9, 16, v8
	s_delay_alu instid0(VALU_DEP_1)
	v_cmpx_gt_u16_e64 v8, v9
; %bb.215:
	v_dual_mov_b32 v33, v31 :: v_dual_mov_b32 v20, v22
	v_mov_b32_e32 v31, v30
	v_dual_mov_b32 v21, v23 :: v_dual_mov_b32 v22, v28
	v_mov_b32_e32 v23, v29
; %bb.216:
	s_or_b32 exec_lo, exec_lo, s9
	v_lshlrev_b32_e32 v8, 16, v53
	s_delay_alu instid0(VALU_DEP_1) | instskip(NEXT) | instid1(VALU_DEP_1)
	v_add_f32_e32 v9, 0, v8
	v_and_b32_e32 v8, 0x7f800000, v9
	s_delay_alu instid0(VALU_DEP_1) | instskip(NEXT) | instid1(VALU_DEP_1)
	v_cmp_ne_u32_e64 s7, 0x7f800000, v8
                                        ; implicit-def: $vgpr8
	s_and_saveexec_b32 s9, s7
	s_delay_alu instid0(SALU_CYCLE_1)
	s_xor_b32 s7, exec_lo, s9
; %bb.217:
	v_bfe_u32 v8, v9, 16, 1
	s_delay_alu instid0(VALU_DEP_1)
	v_add3_u32 v8, v9, v8, 0x7fff
                                        ; implicit-def: $vgpr9
; %bb.218:
	s_and_not1_saveexec_b32 s9, s7
; %bb.219:
	v_and_b32_e32 v8, 0xffff, v9
	v_or_b32_e32 v14, 0x10000, v9
	s_delay_alu instid0(VALU_DEP_2) | instskip(NEXT) | instid1(VALU_DEP_1)
	v_cmp_eq_u32_e64 s7, 0, v8
	v_cndmask_b32_e64 v8, v14, v9, s7
; %bb.220:
	s_or_b32 exec_lo, exec_lo, s9
	v_lshlrev_b32_e32 v9, 16, v48
	s_delay_alu instid0(VALU_DEP_1) | instskip(NEXT) | instid1(VALU_DEP_1)
	v_add_f32_e32 v14, 0, v9
	v_and_b32_e32 v9, 0x7f800000, v14
	s_delay_alu instid0(VALU_DEP_1) | instskip(NEXT) | instid1(VALU_DEP_1)
	v_cmp_ne_u32_e64 s7, 0x7f800000, v9
                                        ; implicit-def: $vgpr9
	s_and_saveexec_b32 s9, s7
	s_delay_alu instid0(SALU_CYCLE_1)
	s_xor_b32 s7, exec_lo, s9
; %bb.221:
	v_bfe_u32 v9, v14, 16, 1
	s_delay_alu instid0(VALU_DEP_1)
	v_add3_u32 v9, v14, v9, 0x7fff
                                        ; implicit-def: $vgpr14
; %bb.222:
	s_and_not1_saveexec_b32 s9, s7
; %bb.223:
	v_and_b32_e32 v9, 0xffff, v14
	v_or_b32_e32 v15, 0x10000, v14
	s_delay_alu instid0(VALU_DEP_2) | instskip(NEXT) | instid1(VALU_DEP_1)
	v_cmp_eq_u32_e64 s7, 0, v9
	v_cndmask_b32_e64 v9, v15, v14, s7
; %bb.224:
	s_or_b32 exec_lo, exec_lo, s9
	v_cmp_lt_i32_e64 s7, -1, v8
	s_delay_alu instid0(VALU_DEP_2) | instskip(SKIP_1) | instid1(VALU_DEP_3)
	v_perm_b32 v8, v9, v8, 0x7060302
	v_mov_b32_e32 v28, v48
	v_cndmask_b32_e64 v14, -1, 0xffff8000, s7
	v_cmp_lt_i32_e64 s7, -1, v9
	s_delay_alu instid0(VALU_DEP_1) | instskip(NEXT) | instid1(VALU_DEP_1)
	v_cndmask_b32_e64 v15, -1, 0xffff8000, s7
	v_perm_b32 v9, v15, v14, 0x5040100
	s_delay_alu instid0(VALU_DEP_1) | instskip(NEXT) | instid1(VALU_DEP_1)
	v_xor_b32_e32 v8, v9, v8
	v_lshrrev_b32_e32 v9, 16, v8
	s_delay_alu instid0(VALU_DEP_1) | instskip(SKIP_1) | instid1(VALU_DEP_2)
	v_cmp_gt_u16_e64 s7, v8, v9
	v_dual_mov_b32 v8, v16 :: v_dual_mov_b32 v9, v17
	s_and_saveexec_b32 s9, s7
; %bb.225:
	v_mov_b32_e32 v8, v26
	v_dual_mov_b32 v28, v53 :: v_dual_mov_b32 v9, v27
	v_dual_mov_b32 v27, v17 :: v_dual_mov_b32 v26, v16
	v_mov_b32_e32 v53, v48
; %bb.226:
	s_or_b32 exec_lo, exec_lo, s9
	v_lshlrev_b32_e32 v14, 16, v50
	s_delay_alu instid0(VALU_DEP_1) | instskip(NEXT) | instid1(VALU_DEP_1)
	v_add_f32_e32 v15, 0, v14
	v_and_b32_e32 v14, 0x7f800000, v15
	s_delay_alu instid0(VALU_DEP_1) | instskip(NEXT) | instid1(VALU_DEP_1)
	v_cmp_ne_u32_e64 s7, 0x7f800000, v14
                                        ; implicit-def: $vgpr14
	s_and_saveexec_b32 s9, s7
	s_delay_alu instid0(SALU_CYCLE_1)
	s_xor_b32 s7, exec_lo, s9
; %bb.227:
	v_bfe_u32 v14, v15, 16, 1
	s_delay_alu instid0(VALU_DEP_1)
	v_add3_u32 v14, v15, v14, 0x7fff
                                        ; implicit-def: $vgpr15
; %bb.228:
	s_and_not1_saveexec_b32 s9, s7
; %bb.229:
	v_and_b32_e32 v14, 0xffff, v15
	v_or_b32_e32 v16, 0x10000, v15
	s_delay_alu instid0(VALU_DEP_2) | instskip(NEXT) | instid1(VALU_DEP_1)
	v_cmp_eq_u32_e64 s7, 0, v14
	v_cndmask_b32_e64 v14, v16, v15, s7
; %bb.230:
	s_or_b32 exec_lo, exec_lo, s9
	v_lshlrev_b32_e32 v15, 16, v49
	s_delay_alu instid0(VALU_DEP_1) | instskip(NEXT) | instid1(VALU_DEP_1)
	v_add_f32_e32 v16, 0, v15
	v_and_b32_e32 v15, 0x7f800000, v16
	s_delay_alu instid0(VALU_DEP_1) | instskip(NEXT) | instid1(VALU_DEP_1)
	v_cmp_ne_u32_e64 s7, 0x7f800000, v15
                                        ; implicit-def: $vgpr15
	s_and_saveexec_b32 s9, s7
	s_delay_alu instid0(SALU_CYCLE_1)
	s_xor_b32 s7, exec_lo, s9
; %bb.231:
	v_bfe_u32 v15, v16, 16, 1
	s_delay_alu instid0(VALU_DEP_1)
	v_add3_u32 v15, v16, v15, 0x7fff
                                        ; implicit-def: $vgpr16
; %bb.232:
	s_and_not1_saveexec_b32 s9, s7
; %bb.233:
	v_and_b32_e32 v15, 0xffff, v16
	v_or_b32_e32 v17, 0x10000, v16
	s_delay_alu instid0(VALU_DEP_2) | instskip(NEXT) | instid1(VALU_DEP_1)
	v_cmp_eq_u32_e64 s7, 0, v15
	v_cndmask_b32_e64 v15, v17, v16, s7
; %bb.234:
	s_or_b32 exec_lo, exec_lo, s9
	v_cmp_lt_i32_e64 s7, -1, v14
	s_delay_alu instid0(VALU_DEP_2) | instskip(SKIP_2) | instid1(VALU_DEP_3)
	v_perm_b32 v14, v15, v14, 0x7060302
	v_mov_b32_e32 v48, v49
	s_mov_b32 s9, exec_lo
	v_cndmask_b32_e64 v16, -1, 0xffff8000, s7
	v_cmp_lt_i32_e64 s7, -1, v15
	s_delay_alu instid0(VALU_DEP_1) | instskip(NEXT) | instid1(VALU_DEP_1)
	v_cndmask_b32_e64 v17, -1, 0xffff8000, s7
	v_perm_b32 v15, v17, v16, 0x5040100
	v_dual_mov_b32 v17, v11 :: v_dual_mov_b32 v16, v10
	s_delay_alu instid0(VALU_DEP_2) | instskip(NEXT) | instid1(VALU_DEP_1)
	v_xor_b32_e32 v14, v15, v14
	v_lshrrev_b32_e32 v15, 16, v14
	s_delay_alu instid0(VALU_DEP_1)
	v_cmpx_gt_u16_e64 v14, v15
; %bb.235:
	v_dual_mov_b32 v16, v18 :: v_dual_mov_b32 v17, v19
	v_dual_mov_b32 v19, v11 :: v_dual_mov_b32 v18, v10
	v_mov_b32_e32 v48, v50
	v_mov_b32_e32 v50, v49
; %bb.236:
	s_or_b32 exec_lo, exec_lo, s9
	v_lshlrev_b32_e32 v10, 16, v31
	s_delay_alu instid0(VALU_DEP_1) | instskip(NEXT) | instid1(VALU_DEP_1)
	v_add_f32_e32 v11, 0, v10
	v_and_b32_e32 v10, 0x7f800000, v11
	s_delay_alu instid0(VALU_DEP_1) | instskip(NEXT) | instid1(VALU_DEP_1)
	v_cmp_ne_u32_e64 s7, 0x7f800000, v10
                                        ; implicit-def: $vgpr10
	s_and_saveexec_b32 s9, s7
	s_delay_alu instid0(SALU_CYCLE_1)
	s_xor_b32 s7, exec_lo, s9
; %bb.237:
	v_bfe_u32 v10, v11, 16, 1
	s_delay_alu instid0(VALU_DEP_1)
	v_add3_u32 v10, v11, v10, 0x7fff
                                        ; implicit-def: $vgpr11
; %bb.238:
	s_and_not1_saveexec_b32 s9, s7
; %bb.239:
	v_and_b32_e32 v10, 0xffff, v11
	v_or_b32_e32 v14, 0x10000, v11
	s_delay_alu instid0(VALU_DEP_2) | instskip(NEXT) | instid1(VALU_DEP_1)
	v_cmp_eq_u32_e64 s7, 0, v10
	v_cndmask_b32_e64 v10, v14, v11, s7
; %bb.240:
	s_or_b32 exec_lo, exec_lo, s9
	v_lshlrev_b32_e32 v11, 16, v38
	s_delay_alu instid0(VALU_DEP_1) | instskip(NEXT) | instid1(VALU_DEP_1)
	v_add_f32_e32 v14, 0, v11
	v_and_b32_e32 v11, 0x7f800000, v14
	s_delay_alu instid0(VALU_DEP_1) | instskip(NEXT) | instid1(VALU_DEP_1)
	v_cmp_ne_u32_e64 s7, 0x7f800000, v11
                                        ; implicit-def: $vgpr11
	s_and_saveexec_b32 s9, s7
	s_delay_alu instid0(SALU_CYCLE_1)
	s_xor_b32 s7, exec_lo, s9
; %bb.241:
	v_bfe_u32 v11, v14, 16, 1
	s_delay_alu instid0(VALU_DEP_1)
	v_add3_u32 v11, v14, v11, 0x7fff
                                        ; implicit-def: $vgpr14
; %bb.242:
	s_and_not1_saveexec_b32 s9, s7
; %bb.243:
	v_and_b32_e32 v11, 0xffff, v14
	v_or_b32_e32 v15, 0x10000, v14
	s_delay_alu instid0(VALU_DEP_2) | instskip(NEXT) | instid1(VALU_DEP_1)
	v_cmp_eq_u32_e64 s7, 0, v11
	v_cndmask_b32_e64 v11, v15, v14, s7
; %bb.244:
	s_or_b32 exec_lo, exec_lo, s9
	v_cmp_lt_i32_e64 s7, -1, v10
	s_delay_alu instid0(VALU_DEP_2) | instskip(SKIP_1) | instid1(VALU_DEP_3)
	v_perm_b32 v10, v11, v10, 0x7060302
	v_mov_b32_e32 v49, v31
	v_cndmask_b32_e64 v14, -1, 0xffff8000, s7
	v_cmp_lt_i32_e64 s7, -1, v11
	s_delay_alu instid0(VALU_DEP_1) | instskip(NEXT) | instid1(VALU_DEP_1)
	v_cndmask_b32_e64 v15, -1, 0xffff8000, s7
	v_perm_b32 v11, v15, v14, 0x5040100
	s_delay_alu instid0(VALU_DEP_1) | instskip(NEXT) | instid1(VALU_DEP_1)
	v_xor_b32_e32 v10, v11, v10
	v_lshrrev_b32_e32 v11, 16, v10
	s_delay_alu instid0(VALU_DEP_1) | instskip(SKIP_1) | instid1(VALU_DEP_2)
	v_cmp_gt_u16_e64 s7, v10, v11
	v_dual_mov_b32 v10, v22 :: v_dual_mov_b32 v11, v23
	s_and_saveexec_b32 s9, s7
; %bb.245:
	v_dual_mov_b32 v49, v38 :: v_dual_mov_b32 v38, v31
	v_dual_mov_b32 v11, v5 :: v_dual_mov_b32 v10, v4
	;; [unrolled: 1-line block ×3, first 2 shown]
; %bb.246:
	s_or_b32 exec_lo, exec_lo, s9
	v_lshlrev_b32_e32 v14, 16, v28
	s_delay_alu instid0(VALU_DEP_1) | instskip(NEXT) | instid1(VALU_DEP_1)
	v_add_f32_e32 v15, 0, v14
	v_and_b32_e32 v14, 0x7f800000, v15
	s_delay_alu instid0(VALU_DEP_1) | instskip(NEXT) | instid1(VALU_DEP_1)
	v_cmp_ne_u32_e64 s7, 0x7f800000, v14
                                        ; implicit-def: $vgpr14
	s_and_saveexec_b32 s9, s7
	s_delay_alu instid0(SALU_CYCLE_1)
	s_xor_b32 s7, exec_lo, s9
; %bb.247:
	v_bfe_u32 v14, v15, 16, 1
	s_delay_alu instid0(VALU_DEP_1)
	v_add3_u32 v14, v15, v14, 0x7fff
                                        ; implicit-def: $vgpr15
; %bb.248:
	s_and_not1_saveexec_b32 s9, s7
; %bb.249:
	v_and_b32_e32 v14, 0xffff, v15
	v_or_b32_e32 v22, 0x10000, v15
	s_delay_alu instid0(VALU_DEP_2) | instskip(NEXT) | instid1(VALU_DEP_1)
	v_cmp_eq_u32_e64 s7, 0, v14
	v_cndmask_b32_e64 v14, v22, v15, s7
; %bb.250:
	s_or_b32 exec_lo, exec_lo, s9
	v_lshlrev_b32_e32 v15, 16, v33
	s_delay_alu instid0(VALU_DEP_1) | instskip(NEXT) | instid1(VALU_DEP_1)
	v_add_f32_e32 v22, 0, v15
	v_and_b32_e32 v15, 0x7f800000, v22
	s_delay_alu instid0(VALU_DEP_1) | instskip(NEXT) | instid1(VALU_DEP_1)
	v_cmp_ne_u32_e64 s7, 0x7f800000, v15
                                        ; implicit-def: $vgpr15
	s_and_saveexec_b32 s9, s7
	s_delay_alu instid0(SALU_CYCLE_1)
	s_xor_b32 s7, exec_lo, s9
; %bb.251:
	v_bfe_u32 v15, v22, 16, 1
	s_delay_alu instid0(VALU_DEP_1)
	v_add3_u32 v15, v22, v15, 0x7fff
                                        ; implicit-def: $vgpr22
; %bb.252:
	s_and_not1_saveexec_b32 s9, s7
; %bb.253:
	v_and_b32_e32 v15, 0xffff, v22
	v_or_b32_e32 v23, 0x10000, v22
	s_delay_alu instid0(VALU_DEP_2) | instskip(NEXT) | instid1(VALU_DEP_1)
	v_cmp_eq_u32_e64 s7, 0, v15
	v_cndmask_b32_e64 v15, v23, v22, s7
; %bb.254:
	s_or_b32 exec_lo, exec_lo, s9
	v_cmp_lt_i32_e64 s7, -1, v14
	s_delay_alu instid0(VALU_DEP_2) | instskip(SKIP_1) | instid1(VALU_DEP_3)
	v_perm_b32 v14, v15, v14, 0x7060302
	v_mov_b32_e32 v52, v28
	v_cndmask_b32_e64 v22, -1, 0xffff8000, s7
	v_cmp_lt_i32_e64 s7, -1, v15
	s_delay_alu instid0(VALU_DEP_1) | instskip(NEXT) | instid1(VALU_DEP_1)
	v_cndmask_b32_e64 v23, -1, 0xffff8000, s7
	v_perm_b32 v15, v23, v22, 0x5040100
	s_delay_alu instid0(VALU_DEP_1) | instskip(NEXT) | instid1(VALU_DEP_1)
	v_xor_b32_e32 v14, v15, v14
	v_lshrrev_b32_e32 v15, 16, v14
	s_delay_alu instid0(VALU_DEP_1) | instskip(SKIP_1) | instid1(VALU_DEP_2)
	v_cmp_gt_u16_e64 s7, v14, v15
	v_dual_mov_b32 v14, v26 :: v_dual_mov_b32 v15, v27
	s_and_saveexec_b32 s9, s7
; %bb.255:
	v_dual_mov_b32 v52, v33 :: v_dual_mov_b32 v33, v28
	v_dual_mov_b32 v14, v20 :: v_dual_mov_b32 v15, v21
	;; [unrolled: 1-line block ×3, first 2 shown]
; %bb.256:
	s_or_b32 exec_lo, exec_lo, s9
	v_lshlrev_b32_e32 v22, 16, v48
	s_delay_alu instid0(VALU_DEP_1) | instskip(NEXT) | instid1(VALU_DEP_1)
	v_add_f32_e32 v23, 0, v22
	v_and_b32_e32 v22, 0x7f800000, v23
	s_delay_alu instid0(VALU_DEP_1) | instskip(NEXT) | instid1(VALU_DEP_1)
	v_cmp_ne_u32_e64 s7, 0x7f800000, v22
                                        ; implicit-def: $vgpr22
	s_and_saveexec_b32 s9, s7
	s_delay_alu instid0(SALU_CYCLE_1)
	s_xor_b32 s7, exec_lo, s9
; %bb.257:
	v_bfe_u32 v22, v23, 16, 1
	s_delay_alu instid0(VALU_DEP_1)
	v_add3_u32 v22, v23, v22, 0x7fff
                                        ; implicit-def: $vgpr23
; %bb.258:
	s_and_not1_saveexec_b32 s9, s7
; %bb.259:
	v_and_b32_e32 v22, 0xffff, v23
	v_or_b32_e32 v26, 0x10000, v23
	s_delay_alu instid0(VALU_DEP_2) | instskip(NEXT) | instid1(VALU_DEP_1)
	v_cmp_eq_u32_e64 s7, 0, v22
	v_cndmask_b32_e64 v22, v26, v23, s7
; %bb.260:
	s_or_b32 exec_lo, exec_lo, s9
	v_lshlrev_b32_e32 v23, 16, v53
	s_delay_alu instid0(VALU_DEP_1) | instskip(NEXT) | instid1(VALU_DEP_1)
	v_add_f32_e32 v26, 0, v23
	v_and_b32_e32 v23, 0x7f800000, v26
	s_delay_alu instid0(VALU_DEP_1) | instskip(NEXT) | instid1(VALU_DEP_1)
	v_cmp_ne_u32_e64 s7, 0x7f800000, v23
                                        ; implicit-def: $vgpr23
	s_and_saveexec_b32 s9, s7
	s_delay_alu instid0(SALU_CYCLE_1)
	s_xor_b32 s7, exec_lo, s9
; %bb.261:
	v_bfe_u32 v23, v26, 16, 1
	s_delay_alu instid0(VALU_DEP_1)
	v_add3_u32 v23, v26, v23, 0x7fff
                                        ; implicit-def: $vgpr26
; %bb.262:
	s_and_not1_saveexec_b32 s9, s7
; %bb.263:
	v_and_b32_e32 v23, 0xffff, v26
	v_or_b32_e32 v27, 0x10000, v26
	s_delay_alu instid0(VALU_DEP_2) | instskip(NEXT) | instid1(VALU_DEP_1)
	v_cmp_eq_u32_e64 s7, 0, v23
	v_cndmask_b32_e64 v23, v27, v26, s7
; %bb.264:
	s_or_b32 exec_lo, exec_lo, s9
	v_cmp_lt_i32_e64 s7, -1, v22
	s_delay_alu instid0(VALU_DEP_2) | instskip(SKIP_2) | instid1(VALU_DEP_4)
	v_perm_b32 v22, v23, v22, 0x7060302
	v_dual_mov_b32 v31, v19 :: v_dual_mov_b32 v30, v18
	v_mov_b32_e32 v51, v53
	v_cndmask_b32_e64 v26, -1, 0xffff8000, s7
	v_cmp_lt_i32_e64 s7, -1, v23
	s_mov_b32 s9, exec_lo
	s_delay_alu instid0(VALU_DEP_1) | instskip(NEXT) | instid1(VALU_DEP_1)
	v_cndmask_b32_e64 v27, -1, 0xffff8000, s7
	v_perm_b32 v23, v27, v26, 0x5040100
	s_delay_alu instid0(VALU_DEP_1) | instskip(NEXT) | instid1(VALU_DEP_1)
	v_xor_b32_e32 v22, v23, v22
	v_lshrrev_b32_e32 v23, 16, v22
	s_delay_alu instid0(VALU_DEP_1)
	v_cmpx_gt_u16_e64 v22, v23
; %bb.265:
	v_dual_mov_b32 v31, v9 :: v_dual_mov_b32 v30, v8
	v_dual_mov_b32 v8, v18 :: v_dual_mov_b32 v9, v19
	v_dual_mov_b32 v51, v48 :: v_dual_mov_b32 v48, v53
; %bb.266:
	s_or_b32 exec_lo, exec_lo, s9
	v_lshlrev_b32_e32 v18, 16, v39
	s_delay_alu instid0(VALU_DEP_1) | instskip(NEXT) | instid1(VALU_DEP_1)
	v_add_f32_e32 v19, 0, v18
	v_and_b32_e32 v18, 0x7f800000, v19
	s_delay_alu instid0(VALU_DEP_1) | instskip(NEXT) | instid1(VALU_DEP_1)
	v_cmp_ne_u32_e64 s7, 0x7f800000, v18
                                        ; implicit-def: $vgpr18
	s_and_saveexec_b32 s9, s7
	s_delay_alu instid0(SALU_CYCLE_1)
	s_xor_b32 s7, exec_lo, s9
; %bb.267:
	v_bfe_u32 v18, v19, 16, 1
	s_delay_alu instid0(VALU_DEP_1)
	v_add3_u32 v18, v19, v18, 0x7fff
                                        ; implicit-def: $vgpr19
; %bb.268:
	s_and_not1_saveexec_b32 s9, s7
; %bb.269:
	v_and_b32_e32 v18, 0xffff, v19
	v_or_b32_e32 v22, 0x10000, v19
	s_delay_alu instid0(VALU_DEP_2) | instskip(NEXT) | instid1(VALU_DEP_1)
	v_cmp_eq_u32_e64 s7, 0, v18
	v_cndmask_b32_e64 v18, v22, v19, s7
; %bb.270:
	s_or_b32 exec_lo, exec_lo, s9
	v_lshlrev_b32_e32 v19, 16, v50
	s_delay_alu instid0(VALU_DEP_1) | instskip(NEXT) | instid1(VALU_DEP_1)
	v_add_f32_e32 v22, 0, v19
	v_and_b32_e32 v19, 0x7f800000, v22
	s_delay_alu instid0(VALU_DEP_1) | instskip(NEXT) | instid1(VALU_DEP_1)
	v_cmp_ne_u32_e64 s7, 0x7f800000, v19
                                        ; implicit-def: $vgpr19
	s_and_saveexec_b32 s9, s7
	s_delay_alu instid0(SALU_CYCLE_1)
	s_xor_b32 s7, exec_lo, s9
; %bb.271:
	v_bfe_u32 v19, v22, 16, 1
	s_delay_alu instid0(VALU_DEP_1)
	v_add3_u32 v19, v22, v19, 0x7fff
                                        ; implicit-def: $vgpr22
; %bb.272:
	s_and_not1_saveexec_b32 s9, s7
; %bb.273:
	v_and_b32_e32 v19, 0xffff, v22
	v_or_b32_e32 v23, 0x10000, v22
	s_delay_alu instid0(VALU_DEP_2) | instskip(NEXT) | instid1(VALU_DEP_1)
	v_cmp_eq_u32_e64 s7, 0, v19
	v_cndmask_b32_e64 v19, v23, v22, s7
; %bb.274:
	s_or_b32 exec_lo, exec_lo, s9
	v_cmp_lt_i32_e64 s7, -1, v18
	s_delay_alu instid0(VALU_DEP_2) | instskip(SKIP_2) | instid1(VALU_DEP_3)
	v_perm_b32 v18, v19, v18, 0x7060302
	v_mov_b32_e32 v54, v50
	s_mov_b32 s9, exec_lo
	v_cndmask_b32_e64 v22, -1, 0xffff8000, s7
	v_cmp_lt_i32_e64 s7, -1, v19
	s_delay_alu instid0(VALU_DEP_1) | instskip(NEXT) | instid1(VALU_DEP_1)
	v_cndmask_b32_e64 v23, -1, 0xffff8000, s7
	v_perm_b32 v19, v23, v22, 0x5040100
	v_dual_mov_b32 v23, v13 :: v_dual_mov_b32 v22, v12
	s_delay_alu instid0(VALU_DEP_2) | instskip(NEXT) | instid1(VALU_DEP_1)
	v_xor_b32_e32 v18, v19, v18
	v_lshrrev_b32_e32 v19, 16, v18
	s_delay_alu instid0(VALU_DEP_1)
	v_cmpx_gt_u16_e64 v18, v19
; %bb.275:
	v_dual_mov_b32 v23, v17 :: v_dual_mov_b32 v22, v16
	v_dual_mov_b32 v17, v13 :: v_dual_mov_b32 v16, v12
	;; [unrolled: 1-line block ×3, first 2 shown]
; %bb.276:
	s_or_b32 exec_lo, exec_lo, s9
	v_lshlrev_b32_e32 v12, 16, v33
	s_delay_alu instid0(VALU_DEP_1) | instskip(NEXT) | instid1(VALU_DEP_1)
	v_add_f32_e32 v13, 0, v12
	v_and_b32_e32 v12, 0x7f800000, v13
	s_delay_alu instid0(VALU_DEP_1) | instskip(NEXT) | instid1(VALU_DEP_1)
	v_cmp_ne_u32_e64 s7, 0x7f800000, v12
                                        ; implicit-def: $vgpr12
	s_and_saveexec_b32 s9, s7
	s_delay_alu instid0(SALU_CYCLE_1)
	s_xor_b32 s7, exec_lo, s9
; %bb.277:
	v_bfe_u32 v12, v13, 16, 1
	s_delay_alu instid0(VALU_DEP_1)
	v_add3_u32 v12, v13, v12, 0x7fff
                                        ; implicit-def: $vgpr13
; %bb.278:
	s_and_not1_saveexec_b32 s9, s7
; %bb.279:
	v_and_b32_e32 v12, 0xffff, v13
	v_or_b32_e32 v18, 0x10000, v13
	s_delay_alu instid0(VALU_DEP_2) | instskip(NEXT) | instid1(VALU_DEP_1)
	v_cmp_eq_u32_e64 s7, 0, v12
	v_cndmask_b32_e64 v12, v18, v13, s7
; %bb.280:
	s_or_b32 exec_lo, exec_lo, s9
	v_lshlrev_b32_e32 v13, 16, v49
	s_delay_alu instid0(VALU_DEP_1) | instskip(NEXT) | instid1(VALU_DEP_1)
	v_add_f32_e32 v18, 0, v13
	v_and_b32_e32 v13, 0x7f800000, v18
	s_delay_alu instid0(VALU_DEP_1) | instskip(NEXT) | instid1(VALU_DEP_1)
	v_cmp_ne_u32_e64 s7, 0x7f800000, v13
                                        ; implicit-def: $vgpr13
	s_and_saveexec_b32 s9, s7
	s_delay_alu instid0(SALU_CYCLE_1)
	s_xor_b32 s7, exec_lo, s9
; %bb.281:
	v_bfe_u32 v13, v18, 16, 1
	s_delay_alu instid0(VALU_DEP_1)
	v_add3_u32 v13, v18, v13, 0x7fff
                                        ; implicit-def: $vgpr18
; %bb.282:
	s_and_not1_saveexec_b32 s9, s7
; %bb.283:
	v_and_b32_e32 v13, 0xffff, v18
	v_or_b32_e32 v19, 0x10000, v18
	s_delay_alu instid0(VALU_DEP_2) | instskip(NEXT) | instid1(VALU_DEP_1)
	v_cmp_eq_u32_e64 s7, 0, v13
	v_cndmask_b32_e64 v13, v19, v18, s7
; %bb.284:
	s_or_b32 exec_lo, exec_lo, s9
	v_cmp_lt_i32_e64 s7, -1, v12
	s_delay_alu instid0(VALU_DEP_2) | instskip(SKIP_2) | instid1(VALU_DEP_4)
	v_perm_b32 v12, v13, v12, 0x7060302
	v_mov_b32_e32 v50, v33
	v_dual_mov_b32 v27, v21 :: v_dual_mov_b32 v26, v20
	v_cndmask_b32_e64 v18, -1, 0xffff8000, s7
	v_cmp_lt_i32_e64 s7, -1, v13
	s_mov_b32 s9, exec_lo
	s_delay_alu instid0(VALU_DEP_1) | instskip(NEXT) | instid1(VALU_DEP_1)
	v_cndmask_b32_e64 v19, -1, 0xffff8000, s7
	v_perm_b32 v13, v19, v18, 0x5040100
	s_delay_alu instid0(VALU_DEP_1) | instskip(NEXT) | instid1(VALU_DEP_1)
	v_xor_b32_e32 v12, v13, v12
	v_lshrrev_b32_e32 v13, 16, v12
	s_delay_alu instid0(VALU_DEP_1)
	v_cmpx_gt_u16_e64 v12, v13
; %bb.285:
	v_dual_mov_b32 v50, v49 :: v_dual_mov_b32 v27, v11
	v_dual_mov_b32 v49, v33 :: v_dual_mov_b32 v26, v10
	;; [unrolled: 1-line block ×3, first 2 shown]
; %bb.286:
	s_or_b32 exec_lo, exec_lo, s9
	v_lshlrev_b32_e32 v12, 16, v51
	s_delay_alu instid0(VALU_DEP_1) | instskip(NEXT) | instid1(VALU_DEP_1)
	v_add_f32_e32 v13, 0, v12
	v_and_b32_e32 v12, 0x7f800000, v13
	s_delay_alu instid0(VALU_DEP_1) | instskip(NEXT) | instid1(VALU_DEP_1)
	v_cmp_ne_u32_e64 s7, 0x7f800000, v12
                                        ; implicit-def: $vgpr12
	s_and_saveexec_b32 s9, s7
	s_delay_alu instid0(SALU_CYCLE_1)
	s_xor_b32 s7, exec_lo, s9
; %bb.287:
	v_bfe_u32 v12, v13, 16, 1
	s_delay_alu instid0(VALU_DEP_1)
	v_add3_u32 v12, v13, v12, 0x7fff
                                        ; implicit-def: $vgpr13
; %bb.288:
	s_and_not1_saveexec_b32 s9, s7
; %bb.289:
	v_and_b32_e32 v12, 0xffff, v13
	v_or_b32_e32 v18, 0x10000, v13
	s_delay_alu instid0(VALU_DEP_2) | instskip(NEXT) | instid1(VALU_DEP_1)
	v_cmp_eq_u32_e64 s7, 0, v12
	v_cndmask_b32_e64 v12, v18, v13, s7
; %bb.290:
	s_or_b32 exec_lo, exec_lo, s9
	v_lshlrev_b32_e32 v13, 16, v52
	s_delay_alu instid0(VALU_DEP_1) | instskip(NEXT) | instid1(VALU_DEP_1)
	v_add_f32_e32 v18, 0, v13
	v_and_b32_e32 v13, 0x7f800000, v18
	s_delay_alu instid0(VALU_DEP_1) | instskip(NEXT) | instid1(VALU_DEP_1)
	v_cmp_ne_u32_e64 s7, 0x7f800000, v13
                                        ; implicit-def: $vgpr13
	s_and_saveexec_b32 s9, s7
	s_delay_alu instid0(SALU_CYCLE_1)
	s_xor_b32 s7, exec_lo, s9
; %bb.291:
	v_bfe_u32 v13, v18, 16, 1
	s_delay_alu instid0(VALU_DEP_1)
	v_add3_u32 v13, v18, v13, 0x7fff
                                        ; implicit-def: $vgpr18
; %bb.292:
	s_and_not1_saveexec_b32 s9, s7
; %bb.293:
	v_and_b32_e32 v13, 0xffff, v18
	v_or_b32_e32 v19, 0x10000, v18
	s_delay_alu instid0(VALU_DEP_2) | instskip(NEXT) | instid1(VALU_DEP_1)
	v_cmp_eq_u32_e64 s7, 0, v13
	v_cndmask_b32_e64 v13, v19, v18, s7
; %bb.294:
	s_or_b32 exec_lo, exec_lo, s9
	v_cmp_lt_i32_e64 s7, -1, v12
	s_delay_alu instid0(VALU_DEP_2) | instskip(SKIP_2) | instid1(VALU_DEP_4)
	v_perm_b32 v12, v13, v12, 0x7060302
	v_mov_b32_e32 v53, v52
	v_dual_mov_b32 v29, v9 :: v_dual_mov_b32 v28, v8
	v_cndmask_b32_e64 v18, -1, 0xffff8000, s7
	v_cmp_lt_i32_e64 s7, -1, v13
	s_mov_b32 s9, exec_lo
	s_delay_alu instid0(VALU_DEP_1) | instskip(NEXT) | instid1(VALU_DEP_1)
	v_cndmask_b32_e64 v19, -1, 0xffff8000, s7
	v_perm_b32 v13, v19, v18, 0x5040100
	s_delay_alu instid0(VALU_DEP_1) | instskip(NEXT) | instid1(VALU_DEP_1)
	v_xor_b32_e32 v12, v13, v12
	v_lshrrev_b32_e32 v13, 16, v12
	s_delay_alu instid0(VALU_DEP_1)
	v_cmpx_gt_u16_e64 v12, v13
; %bb.295:
	v_mov_b32_e32 v29, v15
	v_dual_mov_b32 v53, v51 :: v_dual_mov_b32 v28, v14
	v_dual_mov_b32 v15, v9 :: v_dual_mov_b32 v14, v8
	v_mov_b32_e32 v51, v52
; %bb.296:
	s_or_b32 exec_lo, exec_lo, s9
	v_lshlrev_b32_e32 v8, 16, v54
	s_delay_alu instid0(VALU_DEP_1) | instskip(NEXT) | instid1(VALU_DEP_1)
	v_add_f32_e32 v9, 0, v8
	v_and_b32_e32 v8, 0x7f800000, v9
	s_delay_alu instid0(VALU_DEP_1) | instskip(NEXT) | instid1(VALU_DEP_1)
	v_cmp_ne_u32_e64 s7, 0x7f800000, v8
                                        ; implicit-def: $vgpr8
	s_and_saveexec_b32 s9, s7
	s_delay_alu instid0(SALU_CYCLE_1)
	s_xor_b32 s7, exec_lo, s9
; %bb.297:
	v_bfe_u32 v8, v9, 16, 1
	s_delay_alu instid0(VALU_DEP_1)
	v_add3_u32 v8, v9, v8, 0x7fff
                                        ; implicit-def: $vgpr9
; %bb.298:
	s_and_not1_saveexec_b32 s9, s7
; %bb.299:
	v_and_b32_e32 v8, 0xffff, v9
	v_or_b32_e32 v12, 0x10000, v9
	s_delay_alu instid0(VALU_DEP_2) | instskip(NEXT) | instid1(VALU_DEP_1)
	v_cmp_eq_u32_e64 s7, 0, v8
	v_cndmask_b32_e64 v8, v12, v9, s7
; %bb.300:
	s_or_b32 exec_lo, exec_lo, s9
	v_lshlrev_b32_e32 v9, 16, v48
	s_delay_alu instid0(VALU_DEP_1) | instskip(NEXT) | instid1(VALU_DEP_1)
	v_add_f32_e32 v12, 0, v9
	v_and_b32_e32 v9, 0x7f800000, v12
	s_delay_alu instid0(VALU_DEP_1) | instskip(NEXT) | instid1(VALU_DEP_1)
	v_cmp_ne_u32_e64 s7, 0x7f800000, v9
                                        ; implicit-def: $vgpr9
	s_and_saveexec_b32 s9, s7
	s_delay_alu instid0(SALU_CYCLE_1)
	s_xor_b32 s7, exec_lo, s9
; %bb.301:
	v_bfe_u32 v9, v12, 16, 1
	s_delay_alu instid0(VALU_DEP_1)
	v_add3_u32 v9, v12, v9, 0x7fff
                                        ; implicit-def: $vgpr12
; %bb.302:
	s_and_not1_saveexec_b32 s9, s7
; %bb.303:
	v_and_b32_e32 v9, 0xffff, v12
	v_or_b32_e32 v13, 0x10000, v12
	s_delay_alu instid0(VALU_DEP_2) | instskip(NEXT) | instid1(VALU_DEP_1)
	v_cmp_eq_u32_e64 s7, 0, v9
	v_cndmask_b32_e64 v9, v13, v12, s7
; %bb.304:
	s_or_b32 exec_lo, exec_lo, s9
	v_cmp_lt_i32_e64 s7, -1, v8
	s_delay_alu instid0(VALU_DEP_2) | instskip(SKIP_2) | instid1(VALU_DEP_4)
	v_perm_b32 v8, v9, v8, 0x7060302
	v_mov_b32_e32 v18, v30
	v_dual_mov_b32 v52, v54 :: v_dual_mov_b32 v19, v31
	v_cndmask_b32_e64 v12, -1, 0xffff8000, s7
	v_cmp_lt_i32_e64 s7, -1, v9
	s_mov_b32 s9, exec_lo
	s_delay_alu instid0(VALU_DEP_1) | instskip(NEXT) | instid1(VALU_DEP_1)
	v_cndmask_b32_e64 v13, -1, 0xffff8000, s7
	v_perm_b32 v9, v13, v12, 0x5040100
	s_delay_alu instid0(VALU_DEP_1) | instskip(NEXT) | instid1(VALU_DEP_1)
	v_xor_b32_e32 v8, v9, v8
	v_lshrrev_b32_e32 v9, 16, v8
	s_delay_alu instid0(VALU_DEP_1)
	v_cmpx_gt_u16_e64 v8, v9
; %bb.305:
	v_dual_mov_b32 v52, v48 :: v_dual_mov_b32 v19, v17
	v_mov_b32_e32 v18, v16
	v_mov_b32_e32 v16, v30
	v_dual_mov_b32 v48, v54 :: v_dual_mov_b32 v17, v31
; %bb.306:
	s_or_b32 exec_lo, exec_lo, s9
.LBB1963_307:
	s_delay_alu instid0(SALU_CYCLE_1)
	s_or_b32 exec_lo, exec_lo, s8
	v_and_b32_e32 v20, 0xffffff00, v32
	v_or_b32_e32 v8, 8, v37
	v_and_b32_e32 v31, 0xf0, v37
	v_perm_b32 v65, v39, v52, 0x5040100
	v_perm_b32 v64, v48, v51, 0x5040100
	v_sub_nc_u32_e64 v13, 0x800, v20 clamp
	v_lshlrev_b32_e32 v12, 1, v20
	v_perm_b32 v67, v53, v50, 0x5040100
	v_perm_b32 v66, v49, v38, 0x5040100
	s_mov_b32 s8, exec_lo
	v_min_u32_e32 v21, v13, v8
	v_mad_u64_u32 v[8:9], null, v20, 6, v[12:13]
	v_and_b32_e32 v20, 8, v37
	v_lshl_or_b32 v32, v31, 1, v12
	s_delay_alu instid0(VALU_DEP_4) | instskip(NEXT) | instid1(VALU_DEP_3)
	v_add_nc_u32_e32 v9, 8, v21
	v_min_u32_e32 v54, v13, v20
	v_sub_nc_u32_e32 v20, v21, v31
	s_delay_alu instid0(VALU_DEP_3) | instskip(SKIP_2) | instid1(VALU_DEP_4)
	v_min_u32_e32 v30, v13, v9
	v_lshl_add_u32 v68, v37, 3, v8
	v_lshl_or_b32 v9, v37, 1, v12
	v_min_u32_e32 v55, v54, v20
	s_delay_alu instid0(VALU_DEP_4) | instskip(NEXT) | instid1(VALU_DEP_4)
	v_sub_nc_u32_e32 v33, v30, v21
	v_add_nc_u32_e32 v69, 0x1010, v68
	v_add_nc_u32_e32 v20, 0x1000, v68
	;; [unrolled: 1-line block ×4, first 2 shown]
	v_sub_nc_u32_e64 v33, v54, v33 clamp
	ds_store_2addr_b64 v69, v[26:27], v[14:15] offset1:1
	ds_store_2addr_b64 v70, v[28:29], v[18:19] offset1:1
	;; [unrolled: 1-line block ×5, first 2 shown]
	; wave barrier
	v_cmpx_lt_u32_e64 v33, v55
	s_cbranch_execz .LBB1963_326
; %bb.308:
	v_lshlrev_b32_e32 v64, 1, v21
	v_lshlrev_b32_e32 v65, 1, v54
	s_mov_b32 s9, 0
	s_delay_alu instid0(VALU_DEP_1)
	v_add3_u32 v64, v12, v64, v65
	s_branch .LBB1963_310
.LBB1963_309:                           ;   in Loop: Header=BB1963_310 Depth=1
	s_or_b32 exec_lo, exec_lo, s10
	v_cmp_lt_i32_e64 s7, -1, v66
	v_lshrrev_b32_e32 v68, 16, v66
	v_lshrrev_b32_e32 v69, 16, v67
	s_delay_alu instid0(VALU_DEP_3) | instskip(SKIP_1) | instid1(VALU_DEP_2)
	v_cndmask_b32_e64 v66, -1, 0xffff8000, s7
	v_cmp_lt_i32_e64 s7, -1, v67
	v_xor_b32_e32 v66, v66, v68
	s_delay_alu instid0(VALU_DEP_2) | instskip(SKIP_1) | instid1(VALU_DEP_2)
	v_cndmask_b32_e64 v67, -1, 0xffff8000, s7
	v_add_nc_u32_e32 v68, 1, v65
	v_xor_b32_e32 v67, v67, v69
	s_delay_alu instid0(VALU_DEP_1) | instskip(NEXT) | instid1(VALU_DEP_1)
	v_cmp_gt_u16_e64 s7, v66, v67
	v_cndmask_b32_e64 v55, v55, v65, s7
	s_delay_alu instid0(VALU_DEP_4) | instskip(NEXT) | instid1(VALU_DEP_1)
	v_cndmask_b32_e64 v33, v68, v33, s7
	v_cmp_ge_u32_e64 s7, v33, v55
	s_delay_alu instid0(VALU_DEP_1) | instskip(NEXT) | instid1(SALU_CYCLE_1)
	s_or_b32 s9, s7, s9
	s_and_not1_b32 exec_lo, exec_lo, s9
	s_cbranch_execz .LBB1963_325
.LBB1963_310:                           ; =>This Inner Loop Header: Depth=1
	v_add_nc_u32_e32 v66, v55, v33
	s_delay_alu instid0(VALU_DEP_1) | instskip(SKIP_1) | instid1(VALU_DEP_2)
	v_lshrrev_b32_e32 v65, 1, v66
	v_and_b32_e32 v66, -2, v66
	v_not_b32_e32 v67, v65
	s_delay_alu instid0(VALU_DEP_2) | instskip(NEXT) | instid1(VALU_DEP_2)
	v_add_nc_u32_e32 v66, v32, v66
	v_lshl_add_u32 v67, v67, 1, v64
	ds_load_u16 v68, v67
	ds_load_u16 v67, v66
	s_waitcnt lgkmcnt(1)
	v_lshlrev_b32_e32 v66, 16, v68
	s_delay_alu instid0(VALU_DEP_1) | instskip(NEXT) | instid1(VALU_DEP_1)
	v_add_f32_e32 v68, 0, v66
	v_and_b32_e32 v66, 0x7f800000, v68
	s_delay_alu instid0(VALU_DEP_1) | instskip(NEXT) | instid1(VALU_DEP_1)
	v_cmp_ne_u32_e64 s7, 0x7f800000, v66
                                        ; implicit-def: $vgpr66
	s_and_saveexec_b32 s10, s7
	s_delay_alu instid0(SALU_CYCLE_1)
	s_xor_b32 s7, exec_lo, s10
; %bb.311:                              ;   in Loop: Header=BB1963_310 Depth=1
	v_bfe_u32 v66, v68, 16, 1
	s_delay_alu instid0(VALU_DEP_1)
	v_add3_u32 v66, v68, v66, 0x7fff
                                        ; implicit-def: $vgpr68
; %bb.312:                              ;   in Loop: Header=BB1963_310 Depth=1
	s_and_not1_saveexec_b32 s10, s7
; %bb.313:                              ;   in Loop: Header=BB1963_310 Depth=1
	v_and_b32_e32 v66, 0xffff, v68
	v_or_b32_e32 v69, 0x10000, v68
	s_delay_alu instid0(VALU_DEP_2) | instskip(NEXT) | instid1(VALU_DEP_1)
	v_cmp_eq_u32_e64 s7, 0, v66
	v_cndmask_b32_e64 v66, v69, v68, s7
; %bb.314:                              ;   in Loop: Header=BB1963_310 Depth=1
	s_or_b32 exec_lo, exec_lo, s10
	s_waitcnt lgkmcnt(0)
	v_lshlrev_b32_e32 v67, 16, v67
	s_delay_alu instid0(VALU_DEP_1) | instskip(NEXT) | instid1(VALU_DEP_1)
	v_add_f32_e32 v68, 0, v67
	v_and_b32_e32 v67, 0x7f800000, v68
	s_delay_alu instid0(VALU_DEP_1) | instskip(NEXT) | instid1(VALU_DEP_1)
	v_cmp_ne_u32_e64 s7, 0x7f800000, v67
                                        ; implicit-def: $vgpr67
	s_and_saveexec_b32 s10, s7
	s_delay_alu instid0(SALU_CYCLE_1)
	s_xor_b32 s7, exec_lo, s10
; %bb.315:                              ;   in Loop: Header=BB1963_310 Depth=1
	v_bfe_u32 v67, v68, 16, 1
	s_delay_alu instid0(VALU_DEP_1)
	v_add3_u32 v67, v68, v67, 0x7fff
                                        ; implicit-def: $vgpr68
; %bb.316:                              ;   in Loop: Header=BB1963_310 Depth=1
	s_and_not1_saveexec_b32 s10, s7
	s_cbranch_execz .LBB1963_309
; %bb.317:                              ;   in Loop: Header=BB1963_310 Depth=1
	v_and_b32_e32 v67, 0xffff, v68
	v_or_b32_e32 v69, 0x10000, v68
	s_delay_alu instid0(VALU_DEP_2) | instskip(NEXT) | instid1(VALU_DEP_1)
	v_cmp_eq_u32_e64 s7, 0, v67
	v_cndmask_b32_e64 v67, v69, v68, s7
	s_branch .LBB1963_309
.LBB1963_318:
	flat_load_b64 v[4:5], v[32:33]
	s_or_b32 exec_lo, exec_lo, s7
	s_and_saveexec_b32 s7, s0
                                        ; implicit-def: $vgpr8_vgpr9_vgpr10_vgpr11
	s_cbranch_execz .LBB1963_18
.LBB1963_319:
	flat_load_b64 v[10:11], v[32:33] offset:8
	s_or_b32 exec_lo, exec_lo, s7
                                        ; implicit-def: $vgpr26_vgpr27
	s_and_saveexec_b32 s7, s1
	s_cbranch_execz .LBB1963_19
.LBB1963_320:
	flat_load_b64 v[26:27], v[32:33] offset:16
	s_or_b32 exec_lo, exec_lo, s7
	s_and_saveexec_b32 s7, s2
                                        ; implicit-def: $vgpr12_vgpr13_vgpr14_vgpr15
	s_cbranch_execz .LBB1963_20
.LBB1963_321:
	flat_load_b64 v[14:15], v[32:33] offset:24
	s_or_b32 exec_lo, exec_lo, s7
                                        ; implicit-def: $vgpr28_vgpr29
	s_and_saveexec_b32 s7, s3
	s_cbranch_execz .LBB1963_21
.LBB1963_322:
	flat_load_b64 v[28:29], v[32:33] offset:32
	s_or_b32 exec_lo, exec_lo, s7
	s_and_saveexec_b32 s7, s4
                                        ; implicit-def: $vgpr16_vgpr17_vgpr18_vgpr19
	s_cbranch_execz .LBB1963_22
.LBB1963_323:
	flat_load_b64 v[18:19], v[32:33] offset:40
	s_or_b32 exec_lo, exec_lo, s7
                                        ; implicit-def: $vgpr16_vgpr17
	s_and_saveexec_b32 s7, s5
	s_cbranch_execz .LBB1963_23
.LBB1963_324:
	flat_load_b64 v[16:17], v[32:33] offset:48
	s_or_b32 exec_lo, exec_lo, s7
	s_and_saveexec_b32 s7, s6
                                        ; implicit-def: $vgpr20_vgpr21_vgpr22_vgpr23
	s_cbranch_execnz .LBB1963_24
	s_branch .LBB1963_25
.LBB1963_325:
	s_or_b32 exec_lo, exec_lo, s9
.LBB1963_326:
	s_delay_alu instid0(SALU_CYCLE_1) | instskip(SKIP_2) | instid1(VALU_DEP_2)
	s_or_b32 exec_lo, exec_lo, s8
	v_add_nc_u32_e32 v55, v21, v54
	v_add_nc_u32_e32 v54, v33, v31
	v_sub_nc_u32_e32 v55, v55, v33
	s_delay_alu instid0(VALU_DEP_2) | instskip(NEXT) | instid1(VALU_DEP_2)
	v_cmp_le_u32_e64 s7, v54, v21
	v_cmp_le_u32_e64 s8, v55, v30
	s_delay_alu instid0(VALU_DEP_1) | instskip(NEXT) | instid1(SALU_CYCLE_1)
	s_or_b32 s7, s7, s8
	s_and_saveexec_b32 s9, s7
	s_cbranch_execz .LBB1963_426
; %bb.327:
	v_cmp_ge_u32_e64 s7, v54, v21
	s_mov_b32 s10, exec_lo
                                        ; implicit-def: $vgpr31
	v_cmpx_lt_u32_e64 v54, v21
	s_cbranch_execz .LBB1963_329
; %bb.328:
	v_lshl_add_u32 v4, v33, 1, v32
	ds_load_u16 v31, v4
.LBB1963_329:
	s_or_b32 exec_lo, exec_lo, s10
	v_cmp_ge_u32_e64 s10, v55, v30
	s_mov_b32 s11, exec_lo
                                        ; implicit-def: $vgpr32
	v_cmpx_lt_u32_e64 v55, v30
	s_cbranch_execz .LBB1963_331
; %bb.330:
	v_lshl_add_u32 v4, v55, 1, v12
	ds_load_u16 v32, v4
.LBB1963_331:
	s_or_b32 exec_lo, exec_lo, s11
	s_or_b32 s7, s7, s10
	s_delay_alu instid0(SALU_CYCLE_1) | instskip(NEXT) | instid1(SALU_CYCLE_1)
	s_xor_b32 s7, s7, -1
	s_and_saveexec_b32 s8, s7
	s_cbranch_execz .LBB1963_341
; %bb.332:
	s_waitcnt lgkmcnt(0)
	v_lshlrev_b32_e32 v4, 16, v32
	s_delay_alu instid0(VALU_DEP_1) | instskip(NEXT) | instid1(VALU_DEP_1)
	v_add_f32_e32 v5, 0, v4
	v_and_b32_e32 v4, 0x7f800000, v5
	s_delay_alu instid0(VALU_DEP_1) | instskip(NEXT) | instid1(VALU_DEP_1)
	v_cmp_ne_u32_e64 s7, 0x7f800000, v4
                                        ; implicit-def: $vgpr4
	s_and_saveexec_b32 s11, s7
	s_delay_alu instid0(SALU_CYCLE_1)
	s_xor_b32 s7, exec_lo, s11
; %bb.333:
	v_bfe_u32 v4, v5, 16, 1
	s_delay_alu instid0(VALU_DEP_1)
	v_add3_u32 v4, v5, v4, 0x7fff
                                        ; implicit-def: $vgpr5
; %bb.334:
	s_and_not1_saveexec_b32 s11, s7
; %bb.335:
	v_and_b32_e32 v4, 0xffff, v5
	v_or_b32_e32 v10, 0x10000, v5
	s_delay_alu instid0(VALU_DEP_2) | instskip(NEXT) | instid1(VALU_DEP_1)
	v_cmp_eq_u32_e64 s7, 0, v4
	v_cndmask_b32_e64 v4, v10, v5, s7
; %bb.336:
	s_or_b32 exec_lo, exec_lo, s11
	v_lshlrev_b32_e32 v5, 16, v31
	s_delay_alu instid0(VALU_DEP_1) | instskip(NEXT) | instid1(VALU_DEP_1)
	v_add_f32_e32 v10, 0, v5
	v_and_b32_e32 v5, 0x7f800000, v10
	s_delay_alu instid0(VALU_DEP_1) | instskip(NEXT) | instid1(VALU_DEP_1)
	v_cmp_ne_u32_e64 s7, 0x7f800000, v5
                                        ; implicit-def: $vgpr5
	s_and_saveexec_b32 s11, s7
	s_delay_alu instid0(SALU_CYCLE_1)
	s_xor_b32 s7, exec_lo, s11
; %bb.337:
	v_bfe_u32 v5, v10, 16, 1
	s_delay_alu instid0(VALU_DEP_1)
	v_add3_u32 v5, v10, v5, 0x7fff
                                        ; implicit-def: $vgpr10
; %bb.338:
	s_and_not1_saveexec_b32 s11, s7
; %bb.339:
	v_and_b32_e32 v5, 0xffff, v10
	v_or_b32_e32 v11, 0x10000, v10
	s_delay_alu instid0(VALU_DEP_2) | instskip(NEXT) | instid1(VALU_DEP_1)
	v_cmp_eq_u32_e64 s7, 0, v5
	v_cndmask_b32_e64 v5, v11, v10, s7
; %bb.340:
	s_or_b32 exec_lo, exec_lo, s11
	v_cmp_lt_i32_e64 s7, -1, v4
	s_delay_alu instid0(VALU_DEP_2) | instskip(SKIP_1) | instid1(VALU_DEP_2)
	v_perm_b32 v4, v5, v4, 0x7060302
	s_and_not1_b32 s10, s10, exec_lo
	v_cndmask_b32_e64 v10, -1, 0xffff8000, s7
	v_cmp_lt_i32_e64 s7, -1, v5
	s_delay_alu instid0(VALU_DEP_1) | instskip(NEXT) | instid1(VALU_DEP_1)
	v_cndmask_b32_e64 v11, -1, 0xffff8000, s7
	v_perm_b32 v5, v11, v10, 0x5040100
	s_delay_alu instid0(VALU_DEP_1) | instskip(NEXT) | instid1(VALU_DEP_1)
	v_xor_b32_e32 v4, v5, v4
	v_lshrrev_b32_e32 v5, 16, v4
	s_delay_alu instid0(VALU_DEP_1) | instskip(NEXT) | instid1(VALU_DEP_1)
	v_cmp_le_u16_e64 s7, v4, v5
	s_and_b32 s7, s7, exec_lo
	s_delay_alu instid0(SALU_CYCLE_1)
	s_or_b32 s10, s10, s7
.LBB1963_341:
	s_or_b32 exec_lo, exec_lo, s8
	v_cndmask_b32_e64 v4, v55, v54, s10
	v_cndmask_b32_e64 v5, v30, v21, s10
	s_mov_b32 s11, -1
	s_mov_b32 s8, -1
	s_mov_b32 s12, exec_lo
	v_add_nc_u32_e32 v10, 1, v4
	v_add_nc_u32_e32 v5, -1, v5
	v_lshl_add_u32 v4, v4, 3, v8
	s_delay_alu instid0(VALU_DEP_3) | instskip(NEXT) | instid1(VALU_DEP_3)
	v_cndmask_b32_e64 v14, v10, v55, s10
	v_min_u32_e32 v5, v10, v5
	v_cndmask_b32_e64 v15, v54, v10, s10
	s_delay_alu instid0(VALU_DEP_2)
	v_lshl_add_u32 v5, v5, 1, v12
	ds_load_u16 v11, v5
	ds_load_b64 v[4:5], v4 offset:4096
	s_waitcnt lgkmcnt(1)
	v_cndmask_b32_e64 v33, v11, v32, s10
	v_cndmask_b32_e64 v38, v31, v11, s10
	v_cmpx_lt_u32_e64 v14, v30
	s_cbranch_execz .LBB1963_353
; %bb.342:
	s_mov_b32 s13, 0
	s_mov_b32 s8, exec_lo
	v_cmpx_lt_u32_e64 v15, v21
	s_cbranch_execz .LBB1963_352
; %bb.343:
	v_lshlrev_b32_e32 v10, 16, v33
	s_delay_alu instid0(VALU_DEP_1) | instskip(NEXT) | instid1(VALU_DEP_1)
	v_add_f32_e32 v11, 0, v10
	v_and_b32_e32 v10, 0x7f800000, v11
	s_delay_alu instid0(VALU_DEP_1) | instskip(NEXT) | instid1(VALU_DEP_1)
	v_cmp_ne_u32_e64 s7, 0x7f800000, v10
                                        ; implicit-def: $vgpr10
	s_and_saveexec_b32 s13, s7
	s_delay_alu instid0(SALU_CYCLE_1)
	s_xor_b32 s7, exec_lo, s13
; %bb.344:
	v_bfe_u32 v10, v11, 16, 1
	s_delay_alu instid0(VALU_DEP_1)
	v_add3_u32 v10, v11, v10, 0x7fff
                                        ; implicit-def: $vgpr11
; %bb.345:
	s_and_not1_saveexec_b32 s13, s7
; %bb.346:
	v_and_b32_e32 v10, 0xffff, v11
	v_or_b32_e32 v16, 0x10000, v11
	s_delay_alu instid0(VALU_DEP_2) | instskip(NEXT) | instid1(VALU_DEP_1)
	v_cmp_eq_u32_e64 s7, 0, v10
	v_cndmask_b32_e64 v10, v16, v11, s7
; %bb.347:
	s_or_b32 exec_lo, exec_lo, s13
	v_lshlrev_b32_e32 v11, 16, v38
	s_delay_alu instid0(VALU_DEP_1) | instskip(NEXT) | instid1(VALU_DEP_1)
	v_add_f32_e32 v16, 0, v11
	v_and_b32_e32 v11, 0x7f800000, v16
	s_delay_alu instid0(VALU_DEP_1) | instskip(NEXT) | instid1(VALU_DEP_1)
	v_cmp_ne_u32_e64 s7, 0x7f800000, v11
                                        ; implicit-def: $vgpr11
	s_and_saveexec_b32 s13, s7
	s_delay_alu instid0(SALU_CYCLE_1)
	s_xor_b32 s7, exec_lo, s13
; %bb.348:
	v_bfe_u32 v11, v16, 16, 1
	s_delay_alu instid0(VALU_DEP_1)
	v_add3_u32 v11, v16, v11, 0x7fff
                                        ; implicit-def: $vgpr16
; %bb.349:
	s_and_not1_saveexec_b32 s13, s7
; %bb.350:
	v_and_b32_e32 v11, 0xffff, v16
	v_or_b32_e32 v17, 0x10000, v16
	s_delay_alu instid0(VALU_DEP_2) | instskip(NEXT) | instid1(VALU_DEP_1)
	v_cmp_eq_u32_e64 s7, 0, v11
	v_cndmask_b32_e64 v11, v17, v16, s7
; %bb.351:
	s_or_b32 exec_lo, exec_lo, s13
	v_cmp_lt_i32_e64 s7, -1, v10
	s_delay_alu instid0(VALU_DEP_2) | instskip(NEXT) | instid1(VALU_DEP_2)
	v_perm_b32 v10, v11, v10, 0x7060302
	v_cndmask_b32_e64 v16, -1, 0xffff8000, s7
	v_cmp_lt_i32_e64 s7, -1, v11
	s_delay_alu instid0(VALU_DEP_1) | instskip(NEXT) | instid1(VALU_DEP_1)
	v_cndmask_b32_e64 v17, -1, 0xffff8000, s7
	v_perm_b32 v11, v17, v16, 0x5040100
	s_delay_alu instid0(VALU_DEP_1) | instskip(NEXT) | instid1(VALU_DEP_1)
	v_xor_b32_e32 v10, v11, v10
	v_lshrrev_b32_e32 v11, 16, v10
	s_delay_alu instid0(VALU_DEP_1) | instskip(NEXT) | instid1(VALU_DEP_1)
	v_cmp_le_u16_e64 s7, v10, v11
	s_and_b32 s13, s7, exec_lo
.LBB1963_352:
	s_or_b32 exec_lo, exec_lo, s8
	s_delay_alu instid0(SALU_CYCLE_1)
	s_or_not1_b32 s8, s13, exec_lo
.LBB1963_353:
	s_or_b32 exec_lo, exec_lo, s12
	v_cndmask_b32_e64 v10, v14, v15, s8
	v_cndmask_b32_e64 v11, v30, v21, s8
	s_mov_b32 s12, exec_lo
	s_delay_alu instid0(VALU_DEP_2) | instskip(NEXT) | instid1(VALU_DEP_2)
	v_add_nc_u32_e32 v16, 1, v10
	v_add_nc_u32_e32 v11, -1, v11
	v_lshl_add_u32 v10, v10, 3, v8
	s_delay_alu instid0(VALU_DEP_3) | instskip(NEXT) | instid1(VALU_DEP_3)
	v_cndmask_b32_e64 v14, v16, v14, s8
	v_min_u32_e32 v11, v16, v11
	v_cndmask_b32_e64 v15, v15, v16, s8
	s_delay_alu instid0(VALU_DEP_2)
	v_lshl_add_u32 v11, v11, 1, v12
	ds_load_u16 v17, v11
	ds_load_b64 v[10:11], v10 offset:4096
	s_waitcnt lgkmcnt(1)
	v_cndmask_b32_e64 v39, v17, v33, s8
	v_cndmask_b32_e64 v49, v38, v17, s8
	v_cmpx_lt_u32_e64 v14, v30
	s_cbranch_execz .LBB1963_365
; %bb.354:
	s_mov_b32 s13, 0
	s_mov_b32 s11, exec_lo
	v_cmpx_lt_u32_e64 v15, v21
	s_cbranch_execz .LBB1963_364
; %bb.355:
	v_lshlrev_b32_e32 v16, 16, v39
	s_delay_alu instid0(VALU_DEP_1) | instskip(NEXT) | instid1(VALU_DEP_1)
	v_add_f32_e32 v17, 0, v16
	v_and_b32_e32 v16, 0x7f800000, v17
	s_delay_alu instid0(VALU_DEP_1) | instskip(NEXT) | instid1(VALU_DEP_1)
	v_cmp_ne_u32_e64 s7, 0x7f800000, v16
                                        ; implicit-def: $vgpr16
	s_and_saveexec_b32 s13, s7
	s_delay_alu instid0(SALU_CYCLE_1)
	s_xor_b32 s7, exec_lo, s13
; %bb.356:
	v_bfe_u32 v16, v17, 16, 1
	s_delay_alu instid0(VALU_DEP_1)
	v_add3_u32 v16, v17, v16, 0x7fff
                                        ; implicit-def: $vgpr17
; %bb.357:
	s_and_not1_saveexec_b32 s13, s7
; %bb.358:
	v_and_b32_e32 v16, 0xffff, v17
	v_or_b32_e32 v18, 0x10000, v17
	s_delay_alu instid0(VALU_DEP_2) | instskip(NEXT) | instid1(VALU_DEP_1)
	v_cmp_eq_u32_e64 s7, 0, v16
	v_cndmask_b32_e64 v16, v18, v17, s7
; %bb.359:
	s_or_b32 exec_lo, exec_lo, s13
	v_lshlrev_b32_e32 v17, 16, v49
	s_delay_alu instid0(VALU_DEP_1) | instskip(NEXT) | instid1(VALU_DEP_1)
	v_add_f32_e32 v18, 0, v17
	v_and_b32_e32 v17, 0x7f800000, v18
	s_delay_alu instid0(VALU_DEP_1) | instskip(NEXT) | instid1(VALU_DEP_1)
	v_cmp_ne_u32_e64 s7, 0x7f800000, v17
                                        ; implicit-def: $vgpr17
	s_and_saveexec_b32 s13, s7
	s_delay_alu instid0(SALU_CYCLE_1)
	s_xor_b32 s7, exec_lo, s13
; %bb.360:
	v_bfe_u32 v17, v18, 16, 1
	s_delay_alu instid0(VALU_DEP_1)
	v_add3_u32 v17, v18, v17, 0x7fff
                                        ; implicit-def: $vgpr18
; %bb.361:
	s_and_not1_saveexec_b32 s13, s7
; %bb.362:
	v_and_b32_e32 v17, 0xffff, v18
	v_or_b32_e32 v19, 0x10000, v18
	s_delay_alu instid0(VALU_DEP_2) | instskip(NEXT) | instid1(VALU_DEP_1)
	v_cmp_eq_u32_e64 s7, 0, v17
	v_cndmask_b32_e64 v17, v19, v18, s7
; %bb.363:
	s_or_b32 exec_lo, exec_lo, s13
	v_cmp_lt_i32_e64 s7, -1, v16
	s_delay_alu instid0(VALU_DEP_2) | instskip(NEXT) | instid1(VALU_DEP_2)
	v_perm_b32 v16, v17, v16, 0x7060302
	v_cndmask_b32_e64 v18, -1, 0xffff8000, s7
	v_cmp_lt_i32_e64 s7, -1, v17
	s_delay_alu instid0(VALU_DEP_1) | instskip(NEXT) | instid1(VALU_DEP_1)
	v_cndmask_b32_e64 v19, -1, 0xffff8000, s7
	v_perm_b32 v17, v19, v18, 0x5040100
	s_delay_alu instid0(VALU_DEP_1) | instskip(NEXT) | instid1(VALU_DEP_1)
	v_xor_b32_e32 v16, v17, v16
	v_lshrrev_b32_e32 v17, 16, v16
	s_delay_alu instid0(VALU_DEP_1) | instskip(NEXT) | instid1(VALU_DEP_1)
	v_cmp_le_u16_e64 s7, v16, v17
	s_and_b32 s13, s7, exec_lo
.LBB1963_364:
	s_or_b32 exec_lo, exec_lo, s11
	s_delay_alu instid0(SALU_CYCLE_1)
	s_or_not1_b32 s11, s13, exec_lo
.LBB1963_365:
	s_or_b32 exec_lo, exec_lo, s12
	v_cndmask_b32_e64 v16, v14, v15, s11
	v_cndmask_b32_e64 v17, v30, v21, s11
	s_mov_b32 s13, -1
	s_mov_b32 s12, -1
	s_mov_b32 s14, exec_lo
	v_add_nc_u32_e32 v18, 1, v16
	v_add_nc_u32_e32 v17, -1, v17
	v_lshl_add_u32 v16, v16, 3, v8
	s_delay_alu instid0(VALU_DEP_2)
	v_min_u32_e32 v17, v18, v17
	ds_load_b64 v[26:27], v16 offset:4096
	v_cndmask_b32_e64 v16, v18, v14, s11
	v_lshl_add_u32 v17, v17, 1, v12
	ds_load_u16 v19, v17
	v_cndmask_b32_e64 v17, v15, v18, s11
	s_waitcnt lgkmcnt(0)
	v_cndmask_b32_e64 v50, v19, v39, s11
	v_cndmask_b32_e64 v53, v49, v19, s11
	v_cmpx_lt_u32_e64 v16, v30
	s_cbranch_execz .LBB1963_377
; %bb.366:
	s_mov_b32 s15, 0
	s_mov_b32 s12, exec_lo
	v_cmpx_lt_u32_e64 v17, v21
	s_cbranch_execz .LBB1963_376
; %bb.367:
	v_lshlrev_b32_e32 v14, 16, v50
	s_delay_alu instid0(VALU_DEP_1) | instskip(NEXT) | instid1(VALU_DEP_1)
	v_add_f32_e32 v15, 0, v14
	v_and_b32_e32 v14, 0x7f800000, v15
	s_delay_alu instid0(VALU_DEP_1) | instskip(NEXT) | instid1(VALU_DEP_1)
	v_cmp_ne_u32_e64 s7, 0x7f800000, v14
                                        ; implicit-def: $vgpr14
	s_and_saveexec_b32 s15, s7
	s_delay_alu instid0(SALU_CYCLE_1)
	s_xor_b32 s7, exec_lo, s15
; %bb.368:
	v_bfe_u32 v14, v15, 16, 1
	s_delay_alu instid0(VALU_DEP_1)
	v_add3_u32 v14, v15, v14, 0x7fff
                                        ; implicit-def: $vgpr15
; %bb.369:
	s_and_not1_saveexec_b32 s15, s7
; %bb.370:
	v_and_b32_e32 v14, 0xffff, v15
	v_or_b32_e32 v18, 0x10000, v15
	s_delay_alu instid0(VALU_DEP_2) | instskip(NEXT) | instid1(VALU_DEP_1)
	v_cmp_eq_u32_e64 s7, 0, v14
	v_cndmask_b32_e64 v14, v18, v15, s7
; %bb.371:
	s_or_b32 exec_lo, exec_lo, s15
	v_lshlrev_b32_e32 v15, 16, v53
	s_delay_alu instid0(VALU_DEP_1) | instskip(NEXT) | instid1(VALU_DEP_1)
	v_add_f32_e32 v18, 0, v15
	v_and_b32_e32 v15, 0x7f800000, v18
	s_delay_alu instid0(VALU_DEP_1) | instskip(NEXT) | instid1(VALU_DEP_1)
	v_cmp_ne_u32_e64 s7, 0x7f800000, v15
                                        ; implicit-def: $vgpr15
	s_and_saveexec_b32 s15, s7
	s_delay_alu instid0(SALU_CYCLE_1)
	s_xor_b32 s7, exec_lo, s15
; %bb.372:
	v_bfe_u32 v15, v18, 16, 1
	s_delay_alu instid0(VALU_DEP_1)
	v_add3_u32 v15, v18, v15, 0x7fff
                                        ; implicit-def: $vgpr18
; %bb.373:
	s_and_not1_saveexec_b32 s15, s7
; %bb.374:
	v_and_b32_e32 v15, 0xffff, v18
	v_or_b32_e32 v19, 0x10000, v18
	s_delay_alu instid0(VALU_DEP_2) | instskip(NEXT) | instid1(VALU_DEP_1)
	v_cmp_eq_u32_e64 s7, 0, v15
	v_cndmask_b32_e64 v15, v19, v18, s7
; %bb.375:
	s_or_b32 exec_lo, exec_lo, s15
	v_cmp_lt_i32_e64 s7, -1, v14
	s_delay_alu instid0(VALU_DEP_2) | instskip(NEXT) | instid1(VALU_DEP_2)
	v_perm_b32 v14, v15, v14, 0x7060302
	v_cndmask_b32_e64 v18, -1, 0xffff8000, s7
	v_cmp_lt_i32_e64 s7, -1, v15
	s_delay_alu instid0(VALU_DEP_1) | instskip(NEXT) | instid1(VALU_DEP_1)
	v_cndmask_b32_e64 v19, -1, 0xffff8000, s7
	v_perm_b32 v15, v19, v18, 0x5040100
	s_delay_alu instid0(VALU_DEP_1) | instskip(NEXT) | instid1(VALU_DEP_1)
	v_xor_b32_e32 v14, v15, v14
	v_lshrrev_b32_e32 v15, 16, v14
	s_delay_alu instid0(VALU_DEP_1) | instskip(NEXT) | instid1(VALU_DEP_1)
	v_cmp_le_u16_e64 s7, v14, v15
	s_and_b32 s15, s7, exec_lo
.LBB1963_376:
	s_or_b32 exec_lo, exec_lo, s12
	s_delay_alu instid0(SALU_CYCLE_1)
	s_or_not1_b32 s12, s15, exec_lo
.LBB1963_377:
	s_or_b32 exec_lo, exec_lo, s14
	v_cndmask_b32_e64 v14, v16, v17, s12
	v_cndmask_b32_e64 v15, v30, v21, s12
	s_mov_b32 s14, exec_lo
	s_delay_alu instid0(VALU_DEP_2) | instskip(NEXT) | instid1(VALU_DEP_2)
	v_add_nc_u32_e32 v18, 1, v14
	v_add_nc_u32_e32 v15, -1, v15
	v_lshl_add_u32 v14, v14, 3, v8
	s_delay_alu instid0(VALU_DEP_3) | instskip(NEXT) | instid1(VALU_DEP_3)
	v_cndmask_b32_e64 v16, v18, v16, s12
	v_min_u32_e32 v15, v18, v15
	v_cndmask_b32_e64 v17, v17, v18, s12
	s_delay_alu instid0(VALU_DEP_2)
	v_lshl_add_u32 v15, v15, 1, v12
	ds_load_u16 v19, v15
	ds_load_b64 v[14:15], v14 offset:4096
	s_waitcnt lgkmcnt(1)
	v_cndmask_b32_e64 v51, v19, v50, s12
	v_cndmask_b32_e64 v54, v53, v19, s12
	v_cmpx_lt_u32_e64 v16, v30
	s_cbranch_execz .LBB1963_389
; %bb.378:
	s_mov_b32 s15, 0
	s_mov_b32 s13, exec_lo
	v_cmpx_lt_u32_e64 v17, v21
	s_cbranch_execz .LBB1963_388
; %bb.379:
	v_lshlrev_b32_e32 v18, 16, v51
	s_delay_alu instid0(VALU_DEP_1) | instskip(NEXT) | instid1(VALU_DEP_1)
	v_add_f32_e32 v19, 0, v18
	v_and_b32_e32 v18, 0x7f800000, v19
	s_delay_alu instid0(VALU_DEP_1) | instskip(NEXT) | instid1(VALU_DEP_1)
	v_cmp_ne_u32_e64 s7, 0x7f800000, v18
                                        ; implicit-def: $vgpr18
	s_and_saveexec_b32 s15, s7
	s_delay_alu instid0(SALU_CYCLE_1)
	s_xor_b32 s7, exec_lo, s15
; %bb.380:
	v_bfe_u32 v18, v19, 16, 1
	s_delay_alu instid0(VALU_DEP_1)
	v_add3_u32 v18, v19, v18, 0x7fff
                                        ; implicit-def: $vgpr19
; %bb.381:
	s_and_not1_saveexec_b32 s15, s7
; %bb.382:
	v_and_b32_e32 v18, 0xffff, v19
	v_or_b32_e32 v22, 0x10000, v19
	s_delay_alu instid0(VALU_DEP_2) | instskip(NEXT) | instid1(VALU_DEP_1)
	v_cmp_eq_u32_e64 s7, 0, v18
	v_cndmask_b32_e64 v18, v22, v19, s7
; %bb.383:
	s_or_b32 exec_lo, exec_lo, s15
	v_lshlrev_b32_e32 v19, 16, v54
	s_delay_alu instid0(VALU_DEP_1) | instskip(NEXT) | instid1(VALU_DEP_1)
	v_add_f32_e32 v22, 0, v19
	v_and_b32_e32 v19, 0x7f800000, v22
	s_delay_alu instid0(VALU_DEP_1) | instskip(NEXT) | instid1(VALU_DEP_1)
	v_cmp_ne_u32_e64 s7, 0x7f800000, v19
                                        ; implicit-def: $vgpr19
	s_and_saveexec_b32 s15, s7
	s_delay_alu instid0(SALU_CYCLE_1)
	s_xor_b32 s7, exec_lo, s15
; %bb.384:
	v_bfe_u32 v19, v22, 16, 1
	s_delay_alu instid0(VALU_DEP_1)
	v_add3_u32 v19, v22, v19, 0x7fff
                                        ; implicit-def: $vgpr22
; %bb.385:
	s_and_not1_saveexec_b32 s15, s7
; %bb.386:
	v_and_b32_e32 v19, 0xffff, v22
	v_or_b32_e32 v23, 0x10000, v22
	s_delay_alu instid0(VALU_DEP_2) | instskip(NEXT) | instid1(VALU_DEP_1)
	v_cmp_eq_u32_e64 s7, 0, v19
	v_cndmask_b32_e64 v19, v23, v22, s7
; %bb.387:
	s_or_b32 exec_lo, exec_lo, s15
	v_cmp_lt_i32_e64 s7, -1, v18
	s_delay_alu instid0(VALU_DEP_2) | instskip(NEXT) | instid1(VALU_DEP_2)
	v_perm_b32 v18, v19, v18, 0x7060302
	v_cndmask_b32_e64 v22, -1, 0xffff8000, s7
	v_cmp_lt_i32_e64 s7, -1, v19
	s_delay_alu instid0(VALU_DEP_1) | instskip(NEXT) | instid1(VALU_DEP_1)
	v_cndmask_b32_e64 v23, -1, 0xffff8000, s7
	v_perm_b32 v19, v23, v22, 0x5040100
	s_delay_alu instid0(VALU_DEP_1) | instskip(NEXT) | instid1(VALU_DEP_1)
	v_xor_b32_e32 v18, v19, v18
	v_lshrrev_b32_e32 v19, 16, v18
	s_delay_alu instid0(VALU_DEP_1) | instskip(NEXT) | instid1(VALU_DEP_1)
	v_cmp_le_u16_e64 s7, v18, v19
	s_and_b32 s15, s7, exec_lo
.LBB1963_388:
	s_or_b32 exec_lo, exec_lo, s13
	s_delay_alu instid0(SALU_CYCLE_1)
	s_or_not1_b32 s13, s15, exec_lo
.LBB1963_389:
	s_or_b32 exec_lo, exec_lo, s14
	v_cndmask_b32_e64 v18, v16, v17, s13
	v_cndmask_b32_e64 v19, v30, v21, s13
	s_mov_b32 s15, -1
	s_mov_b32 s14, -1
	s_mov_b32 s16, exec_lo
	v_add_nc_u32_e32 v22, 1, v18
	v_add_nc_u32_e32 v19, -1, v19
	v_lshl_add_u32 v18, v18, 3, v8
	s_delay_alu instid0(VALU_DEP_3) | instskip(NEXT) | instid1(VALU_DEP_3)
	v_cndmask_b32_e64 v16, v22, v16, s13
	v_min_u32_e32 v19, v22, v19
	v_cndmask_b32_e64 v17, v17, v22, s13
	ds_load_b64 v[28:29], v18 offset:4096
	v_lshl_add_u32 v19, v19, 1, v12
	ds_load_u16 v19, v19
	s_waitcnt lgkmcnt(0)
	v_cndmask_b32_e64 v48, v19, v51, s13
	v_cndmask_b32_e64 v55, v54, v19, s13
	v_cmpx_lt_u32_e64 v16, v30
	s_cbranch_execz .LBB1963_401
; %bb.390:
	s_mov_b32 s17, 0
	s_mov_b32 s14, exec_lo
	v_cmpx_lt_u32_e64 v17, v21
	s_cbranch_execz .LBB1963_400
; %bb.391:
	v_lshlrev_b32_e32 v18, 16, v48
	s_delay_alu instid0(VALU_DEP_1) | instskip(NEXT) | instid1(VALU_DEP_1)
	v_add_f32_e32 v19, 0, v18
	v_and_b32_e32 v18, 0x7f800000, v19
	s_delay_alu instid0(VALU_DEP_1) | instskip(NEXT) | instid1(VALU_DEP_1)
	v_cmp_ne_u32_e64 s7, 0x7f800000, v18
                                        ; implicit-def: $vgpr18
	s_and_saveexec_b32 s17, s7
	s_delay_alu instid0(SALU_CYCLE_1)
	s_xor_b32 s7, exec_lo, s17
; %bb.392:
	v_bfe_u32 v18, v19, 16, 1
	s_delay_alu instid0(VALU_DEP_1)
	v_add3_u32 v18, v19, v18, 0x7fff
                                        ; implicit-def: $vgpr19
; %bb.393:
	s_and_not1_saveexec_b32 s17, s7
; %bb.394:
	v_and_b32_e32 v18, 0xffff, v19
	v_or_b32_e32 v22, 0x10000, v19
	s_delay_alu instid0(VALU_DEP_2) | instskip(NEXT) | instid1(VALU_DEP_1)
	v_cmp_eq_u32_e64 s7, 0, v18
	v_cndmask_b32_e64 v18, v22, v19, s7
; %bb.395:
	s_or_b32 exec_lo, exec_lo, s17
	v_lshlrev_b32_e32 v19, 16, v55
	s_delay_alu instid0(VALU_DEP_1) | instskip(NEXT) | instid1(VALU_DEP_1)
	v_add_f32_e32 v22, 0, v19
	v_and_b32_e32 v19, 0x7f800000, v22
	s_delay_alu instid0(VALU_DEP_1) | instskip(NEXT) | instid1(VALU_DEP_1)
	v_cmp_ne_u32_e64 s7, 0x7f800000, v19
                                        ; implicit-def: $vgpr19
	s_and_saveexec_b32 s17, s7
	s_delay_alu instid0(SALU_CYCLE_1)
	s_xor_b32 s7, exec_lo, s17
; %bb.396:
	v_bfe_u32 v19, v22, 16, 1
	s_delay_alu instid0(VALU_DEP_1)
	v_add3_u32 v19, v22, v19, 0x7fff
                                        ; implicit-def: $vgpr22
; %bb.397:
	s_and_not1_saveexec_b32 s17, s7
; %bb.398:
	v_and_b32_e32 v19, 0xffff, v22
	v_or_b32_e32 v23, 0x10000, v22
	s_delay_alu instid0(VALU_DEP_2) | instskip(NEXT) | instid1(VALU_DEP_1)
	v_cmp_eq_u32_e64 s7, 0, v19
	v_cndmask_b32_e64 v19, v23, v22, s7
; %bb.399:
	s_or_b32 exec_lo, exec_lo, s17
	v_cmp_lt_i32_e64 s7, -1, v18
	s_delay_alu instid0(VALU_DEP_2) | instskip(NEXT) | instid1(VALU_DEP_2)
	v_perm_b32 v18, v19, v18, 0x7060302
	v_cndmask_b32_e64 v22, -1, 0xffff8000, s7
	v_cmp_lt_i32_e64 s7, -1, v19
	s_delay_alu instid0(VALU_DEP_1) | instskip(NEXT) | instid1(VALU_DEP_1)
	v_cndmask_b32_e64 v23, -1, 0xffff8000, s7
	v_perm_b32 v19, v23, v22, 0x5040100
	s_delay_alu instid0(VALU_DEP_1) | instskip(NEXT) | instid1(VALU_DEP_1)
	v_xor_b32_e32 v18, v19, v18
	v_lshrrev_b32_e32 v19, 16, v18
	s_delay_alu instid0(VALU_DEP_1) | instskip(NEXT) | instid1(VALU_DEP_1)
	v_cmp_le_u16_e64 s7, v18, v19
	s_and_b32 s17, s7, exec_lo
.LBB1963_400:
	s_or_b32 exec_lo, exec_lo, s14
	s_delay_alu instid0(SALU_CYCLE_1)
	s_or_not1_b32 s14, s17, exec_lo
.LBB1963_401:
	s_or_b32 exec_lo, exec_lo, s16
	v_cndmask_b32_e64 v18, v16, v17, s14
	v_cndmask_b32_e64 v19, v30, v21, s14
	s_mov_b32 s16, exec_lo
	s_delay_alu instid0(VALU_DEP_2) | instskip(NEXT) | instid1(VALU_DEP_2)
	v_add_nc_u32_e32 v23, 1, v18
	v_add_nc_u32_e32 v19, -1, v19
	v_lshl_add_u32 v18, v18, 3, v8
	s_delay_alu instid0(VALU_DEP_3) | instskip(NEXT) | instid1(VALU_DEP_3)
	v_cndmask_b32_e64 v22, v23, v16, s14
	v_min_u32_e32 v19, v23, v19
	v_cndmask_b32_e64 v23, v17, v23, s14
	s_delay_alu instid0(VALU_DEP_2)
	v_lshl_add_u32 v19, v19, 1, v12
	ds_load_u16 v64, v19
	ds_load_b64 v[18:19], v18 offset:4096
	s_waitcnt lgkmcnt(1)
	v_cndmask_b32_e64 v52, v64, v48, s14
	v_cndmask_b32_e64 v64, v55, v64, s14
	v_cmpx_lt_u32_e64 v22, v30
	s_cbranch_execz .LBB1963_413
; %bb.402:
	s_mov_b32 s17, 0
	s_mov_b32 s15, exec_lo
	v_cmpx_lt_u32_e64 v23, v21
	s_cbranch_execz .LBB1963_412
; %bb.403:
	v_lshlrev_b32_e32 v16, 16, v52
	s_delay_alu instid0(VALU_DEP_1) | instskip(NEXT) | instid1(VALU_DEP_1)
	v_add_f32_e32 v17, 0, v16
	v_and_b32_e32 v16, 0x7f800000, v17
	s_delay_alu instid0(VALU_DEP_1) | instskip(NEXT) | instid1(VALU_DEP_1)
	v_cmp_ne_u32_e64 s7, 0x7f800000, v16
                                        ; implicit-def: $vgpr16
	s_and_saveexec_b32 s17, s7
	s_delay_alu instid0(SALU_CYCLE_1)
	s_xor_b32 s7, exec_lo, s17
; %bb.404:
	v_bfe_u32 v16, v17, 16, 1
	s_delay_alu instid0(VALU_DEP_1)
	v_add3_u32 v16, v17, v16, 0x7fff
                                        ; implicit-def: $vgpr17
; %bb.405:
	s_and_not1_saveexec_b32 s17, s7
; %bb.406:
	v_and_b32_e32 v16, 0xffff, v17
	v_or_b32_e32 v65, 0x10000, v17
	s_delay_alu instid0(VALU_DEP_2) | instskip(NEXT) | instid1(VALU_DEP_1)
	v_cmp_eq_u32_e64 s7, 0, v16
	v_cndmask_b32_e64 v16, v65, v17, s7
; %bb.407:
	s_or_b32 exec_lo, exec_lo, s17
	v_lshlrev_b32_e32 v17, 16, v64
	s_delay_alu instid0(VALU_DEP_1) | instskip(NEXT) | instid1(VALU_DEP_1)
	v_add_f32_e32 v65, 0, v17
	v_and_b32_e32 v17, 0x7f800000, v65
	s_delay_alu instid0(VALU_DEP_1) | instskip(NEXT) | instid1(VALU_DEP_1)
	v_cmp_ne_u32_e64 s7, 0x7f800000, v17
                                        ; implicit-def: $vgpr17
	s_and_saveexec_b32 s17, s7
	s_delay_alu instid0(SALU_CYCLE_1)
	s_xor_b32 s7, exec_lo, s17
; %bb.408:
	v_bfe_u32 v17, v65, 16, 1
	s_delay_alu instid0(VALU_DEP_1)
	v_add3_u32 v17, v65, v17, 0x7fff
                                        ; implicit-def: $vgpr65
; %bb.409:
	s_and_not1_saveexec_b32 s17, s7
; %bb.410:
	v_and_b32_e32 v17, 0xffff, v65
	v_or_b32_e32 v66, 0x10000, v65
	s_delay_alu instid0(VALU_DEP_2) | instskip(NEXT) | instid1(VALU_DEP_1)
	v_cmp_eq_u32_e64 s7, 0, v17
	v_cndmask_b32_e64 v17, v66, v65, s7
; %bb.411:
	s_or_b32 exec_lo, exec_lo, s17
	v_cmp_lt_i32_e64 s7, -1, v16
	s_delay_alu instid0(VALU_DEP_2) | instskip(NEXT) | instid1(VALU_DEP_2)
	v_perm_b32 v16, v17, v16, 0x7060302
	v_cndmask_b32_e64 v65, -1, 0xffff8000, s7
	v_cmp_lt_i32_e64 s7, -1, v17
	s_delay_alu instid0(VALU_DEP_1) | instskip(NEXT) | instid1(VALU_DEP_1)
	v_cndmask_b32_e64 v66, -1, 0xffff8000, s7
	v_perm_b32 v17, v66, v65, 0x5040100
	s_delay_alu instid0(VALU_DEP_1) | instskip(NEXT) | instid1(VALU_DEP_1)
	v_xor_b32_e32 v16, v17, v16
	v_lshrrev_b32_e32 v17, 16, v16
	s_delay_alu instid0(VALU_DEP_1) | instskip(NEXT) | instid1(VALU_DEP_1)
	v_cmp_le_u16_e64 s7, v16, v17
	s_and_b32 s17, s7, exec_lo
.LBB1963_412:
	s_or_b32 exec_lo, exec_lo, s15
	s_delay_alu instid0(SALU_CYCLE_1)
	s_or_not1_b32 s15, s17, exec_lo
.LBB1963_413:
	s_or_b32 exec_lo, exec_lo, s16
	v_cndmask_b32_e64 v16, v22, v23, s15
	v_cndmask_b32_e64 v17, v30, v21, s15
	s_mov_b32 s17, -1
	s_mov_b32 s16, exec_lo
	s_delay_alu instid0(VALU_DEP_2) | instskip(NEXT) | instid1(VALU_DEP_2)
	v_add_nc_u32_e32 v65, 1, v16
	v_add_nc_u32_e32 v17, -1, v17
	v_lshl_add_u32 v16, v16, 3, v8
	s_delay_alu instid0(VALU_DEP_3) | instskip(NEXT) | instid1(VALU_DEP_3)
	v_cndmask_b32_e64 v22, v65, v22, s15
	v_min_u32_e32 v17, v65, v17
	v_cndmask_b32_e64 v23, v23, v65, s15
	s_delay_alu instid0(VALU_DEP_2)
	v_lshl_add_u32 v17, v17, 1, v12
	ds_load_u16 v66, v17
	ds_load_b64 v[16:17], v16 offset:4096
	s_waitcnt lgkmcnt(1)
	v_cndmask_b32_e64 v65, v66, v52, s15
	v_cndmask_b32_e64 v66, v64, v66, s15
	v_cmpx_lt_u32_e64 v22, v30
	s_cbranch_execz .LBB1963_425
; %bb.414:
	s_mov_b32 s18, 0
	s_mov_b32 s17, exec_lo
	v_cmpx_lt_u32_e64 v23, v21
	s_cbranch_execz .LBB1963_424
; %bb.415:
	v_lshlrev_b32_e32 v21, 16, v65
	s_delay_alu instid0(VALU_DEP_1) | instskip(NEXT) | instid1(VALU_DEP_1)
	v_add_f32_e32 v30, 0, v21
	v_and_b32_e32 v21, 0x7f800000, v30
	s_delay_alu instid0(VALU_DEP_1) | instskip(NEXT) | instid1(VALU_DEP_1)
	v_cmp_ne_u32_e64 s7, 0x7f800000, v21
                                        ; implicit-def: $vgpr21
	s_and_saveexec_b32 s18, s7
	s_delay_alu instid0(SALU_CYCLE_1)
	s_xor_b32 s7, exec_lo, s18
; %bb.416:
	v_bfe_u32 v21, v30, 16, 1
	s_delay_alu instid0(VALU_DEP_1)
	v_add3_u32 v21, v30, v21, 0x7fff
                                        ; implicit-def: $vgpr30
; %bb.417:
	s_and_not1_saveexec_b32 s18, s7
; %bb.418:
	v_and_b32_e32 v21, 0xffff, v30
	v_or_b32_e32 v67, 0x10000, v30
	s_delay_alu instid0(VALU_DEP_2) | instskip(NEXT) | instid1(VALU_DEP_1)
	v_cmp_eq_u32_e64 s7, 0, v21
	v_cndmask_b32_e64 v21, v67, v30, s7
; %bb.419:
	s_or_b32 exec_lo, exec_lo, s18
	v_lshlrev_b32_e32 v30, 16, v66
	s_delay_alu instid0(VALU_DEP_1) | instskip(NEXT) | instid1(VALU_DEP_1)
	v_add_f32_e32 v67, 0, v30
	v_and_b32_e32 v30, 0x7f800000, v67
	s_delay_alu instid0(VALU_DEP_1) | instskip(NEXT) | instid1(VALU_DEP_1)
	v_cmp_ne_u32_e64 s7, 0x7f800000, v30
                                        ; implicit-def: $vgpr30
	s_and_saveexec_b32 s18, s7
	s_delay_alu instid0(SALU_CYCLE_1)
	s_xor_b32 s7, exec_lo, s18
; %bb.420:
	v_bfe_u32 v30, v67, 16, 1
	s_delay_alu instid0(VALU_DEP_1)
	v_add3_u32 v30, v67, v30, 0x7fff
                                        ; implicit-def: $vgpr67
; %bb.421:
	s_and_not1_saveexec_b32 s18, s7
; %bb.422:
	v_and_b32_e32 v30, 0xffff, v67
	v_or_b32_e32 v68, 0x10000, v67
	s_delay_alu instid0(VALU_DEP_2) | instskip(NEXT) | instid1(VALU_DEP_1)
	v_cmp_eq_u32_e64 s7, 0, v30
	v_cndmask_b32_e64 v30, v68, v67, s7
; %bb.423:
	s_or_b32 exec_lo, exec_lo, s18
	v_cmp_lt_i32_e64 s7, -1, v21
	s_delay_alu instid0(VALU_DEP_2) | instskip(NEXT) | instid1(VALU_DEP_2)
	v_perm_b32 v21, v30, v21, 0x7060302
	v_cndmask_b32_e64 v67, -1, 0xffff8000, s7
	v_cmp_lt_i32_e64 s7, -1, v30
	s_delay_alu instid0(VALU_DEP_1) | instskip(NEXT) | instid1(VALU_DEP_1)
	v_cndmask_b32_e64 v68, -1, 0xffff8000, s7
	v_perm_b32 v30, v68, v67, 0x5040100
	s_delay_alu instid0(VALU_DEP_1) | instskip(NEXT) | instid1(VALU_DEP_1)
	v_xor_b32_e32 v21, v30, v21
	v_lshrrev_b32_e32 v30, 16, v21
	s_delay_alu instid0(VALU_DEP_1) | instskip(NEXT) | instid1(VALU_DEP_1)
	v_cmp_le_u16_e64 s7, v21, v30
	s_and_b32 s18, s7, exec_lo
.LBB1963_424:
	s_or_b32 exec_lo, exec_lo, s17
	s_delay_alu instid0(SALU_CYCLE_1)
	s_or_not1_b32 s17, s18, exec_lo
.LBB1963_425:
	s_or_b32 exec_lo, exec_lo, s16
	v_cndmask_b32_e64 v21, v22, v23, s17
	v_cndmask_b32_e64 v52, v52, v64, s15
	;; [unrolled: 1-line block ×5, first 2 shown]
	v_lshl_add_u32 v21, v21, 3, v8
	v_cndmask_b32_e64 v50, v39, v49, s11
	v_cndmask_b32_e64 v49, v33, v38, s8
	;; [unrolled: 1-line block ×4, first 2 shown]
	ds_load_b64 v[22:23], v21 offset:4096
.LBB1963_426:
	s_or_b32 exec_lo, exec_lo, s9
	v_and_b32_e32 v31, 0xe0, v37
	v_and_b32_e32 v32, 24, v37
	v_perm_b32 v65, v39, v52, 0x5040100
	v_perm_b32 v64, v48, v51, 0x5040100
	;; [unrolled: 1-line block ×3, first 2 shown]
	v_or_b32_e32 v21, 16, v31
	v_min_u32_e32 v54, v13, v32
	v_perm_b32 v66, v49, v38, 0x5040100
	s_mov_b32 s8, exec_lo
	s_delay_alu instid0(VALU_DEP_3)
	v_min_u32_e32 v21, v13, v21
	; wave barrier
	ds_store_2addr_b64 v20, v[26:27], v[14:15] offset0:2 offset1:3
	ds_store_2addr_b64 v20, v[28:29], v[18:19] offset0:4 offset1:5
	ds_store_2addr_b64 v20, v[4:5], v[10:11] offset1:1
	ds_store_2addr_b64 v9, v[66:67], v[64:65] offset1:1
	s_waitcnt lgkmcnt(4)
	ds_store_2addr_b64 v20, v[16:17], v[22:23] offset0:6 offset1:7
	v_add_nc_u32_e32 v30, 16, v21
	v_sub_nc_u32_e32 v32, v21, v31
	; wave barrier
	s_delay_alu instid0(VALU_DEP_2) | instskip(NEXT) | instid1(VALU_DEP_2)
	v_min_u32_e32 v30, v13, v30
	v_min_u32_e32 v55, v54, v32
	s_delay_alu instid0(VALU_DEP_2) | instskip(NEXT) | instid1(VALU_DEP_1)
	v_sub_nc_u32_e32 v33, v30, v21
	v_sub_nc_u32_e64 v32, v54, v33 clamp
	v_lshl_add_u32 v33, v31, 1, v12
	s_delay_alu instid0(VALU_DEP_2)
	v_cmpx_lt_u32_e64 v32, v55
	s_cbranch_execz .LBB1963_438
; %bb.427:
	v_lshlrev_b32_e32 v64, 1, v21
	v_lshlrev_b32_e32 v65, 1, v54
	s_mov_b32 s9, 0
	s_delay_alu instid0(VALU_DEP_1)
	v_add3_u32 v64, v12, v64, v65
	s_branch .LBB1963_429
.LBB1963_428:                           ;   in Loop: Header=BB1963_429 Depth=1
	s_or_b32 exec_lo, exec_lo, s10
	v_cmp_lt_i32_e64 s7, -1, v66
	v_lshrrev_b32_e32 v68, 16, v66
	v_lshrrev_b32_e32 v69, 16, v67
	s_delay_alu instid0(VALU_DEP_3) | instskip(SKIP_1) | instid1(VALU_DEP_2)
	v_cndmask_b32_e64 v66, -1, 0xffff8000, s7
	v_cmp_lt_i32_e64 s7, -1, v67
	v_xor_b32_e32 v66, v66, v68
	s_delay_alu instid0(VALU_DEP_2) | instskip(SKIP_1) | instid1(VALU_DEP_2)
	v_cndmask_b32_e64 v67, -1, 0xffff8000, s7
	v_add_nc_u32_e32 v68, 1, v65
	v_xor_b32_e32 v67, v67, v69
	s_delay_alu instid0(VALU_DEP_1) | instskip(NEXT) | instid1(VALU_DEP_1)
	v_cmp_gt_u16_e64 s7, v66, v67
	v_cndmask_b32_e64 v55, v55, v65, s7
	s_delay_alu instid0(VALU_DEP_4) | instskip(NEXT) | instid1(VALU_DEP_1)
	v_cndmask_b32_e64 v32, v68, v32, s7
	v_cmp_ge_u32_e64 s7, v32, v55
	s_delay_alu instid0(VALU_DEP_1) | instskip(NEXT) | instid1(SALU_CYCLE_1)
	s_or_b32 s9, s7, s9
	s_and_not1_b32 exec_lo, exec_lo, s9
	s_cbranch_execz .LBB1963_437
.LBB1963_429:                           ; =>This Inner Loop Header: Depth=1
	v_add_nc_u32_e32 v66, v55, v32
	s_delay_alu instid0(VALU_DEP_1) | instskip(SKIP_1) | instid1(VALU_DEP_2)
	v_lshrrev_b32_e32 v65, 1, v66
	v_and_b32_e32 v66, -2, v66
	v_not_b32_e32 v67, v65
	s_delay_alu instid0(VALU_DEP_2) | instskip(NEXT) | instid1(VALU_DEP_2)
	v_add_nc_u32_e32 v66, v33, v66
	v_lshl_add_u32 v67, v67, 1, v64
	ds_load_u16 v68, v67
	ds_load_u16 v67, v66
	s_waitcnt lgkmcnt(1)
	v_lshlrev_b32_e32 v66, 16, v68
	s_delay_alu instid0(VALU_DEP_1) | instskip(NEXT) | instid1(VALU_DEP_1)
	v_add_f32_e32 v68, 0, v66
	v_and_b32_e32 v66, 0x7f800000, v68
	s_delay_alu instid0(VALU_DEP_1) | instskip(NEXT) | instid1(VALU_DEP_1)
	v_cmp_ne_u32_e64 s7, 0x7f800000, v66
                                        ; implicit-def: $vgpr66
	s_and_saveexec_b32 s10, s7
	s_delay_alu instid0(SALU_CYCLE_1)
	s_xor_b32 s7, exec_lo, s10
; %bb.430:                              ;   in Loop: Header=BB1963_429 Depth=1
	v_bfe_u32 v66, v68, 16, 1
	s_delay_alu instid0(VALU_DEP_1)
	v_add3_u32 v66, v68, v66, 0x7fff
                                        ; implicit-def: $vgpr68
; %bb.431:                              ;   in Loop: Header=BB1963_429 Depth=1
	s_and_not1_saveexec_b32 s10, s7
; %bb.432:                              ;   in Loop: Header=BB1963_429 Depth=1
	v_and_b32_e32 v66, 0xffff, v68
	v_or_b32_e32 v69, 0x10000, v68
	s_delay_alu instid0(VALU_DEP_2) | instskip(NEXT) | instid1(VALU_DEP_1)
	v_cmp_eq_u32_e64 s7, 0, v66
	v_cndmask_b32_e64 v66, v69, v68, s7
; %bb.433:                              ;   in Loop: Header=BB1963_429 Depth=1
	s_or_b32 exec_lo, exec_lo, s10
	s_waitcnt lgkmcnt(0)
	v_lshlrev_b32_e32 v67, 16, v67
	s_delay_alu instid0(VALU_DEP_1) | instskip(NEXT) | instid1(VALU_DEP_1)
	v_add_f32_e32 v68, 0, v67
	v_and_b32_e32 v67, 0x7f800000, v68
	s_delay_alu instid0(VALU_DEP_1) | instskip(NEXT) | instid1(VALU_DEP_1)
	v_cmp_ne_u32_e64 s7, 0x7f800000, v67
                                        ; implicit-def: $vgpr67
	s_and_saveexec_b32 s10, s7
	s_delay_alu instid0(SALU_CYCLE_1)
	s_xor_b32 s7, exec_lo, s10
; %bb.434:                              ;   in Loop: Header=BB1963_429 Depth=1
	v_bfe_u32 v67, v68, 16, 1
	s_delay_alu instid0(VALU_DEP_1)
	v_add3_u32 v67, v68, v67, 0x7fff
                                        ; implicit-def: $vgpr68
; %bb.435:                              ;   in Loop: Header=BB1963_429 Depth=1
	s_and_not1_saveexec_b32 s10, s7
	s_cbranch_execz .LBB1963_428
; %bb.436:                              ;   in Loop: Header=BB1963_429 Depth=1
	v_and_b32_e32 v67, 0xffff, v68
	v_or_b32_e32 v69, 0x10000, v68
	s_delay_alu instid0(VALU_DEP_2) | instskip(NEXT) | instid1(VALU_DEP_1)
	v_cmp_eq_u32_e64 s7, 0, v67
	v_cndmask_b32_e64 v67, v69, v68, s7
	s_branch .LBB1963_428
.LBB1963_437:
	s_or_b32 exec_lo, exec_lo, s9
.LBB1963_438:
	s_delay_alu instid0(SALU_CYCLE_1) | instskip(SKIP_2) | instid1(VALU_DEP_2)
	s_or_b32 exec_lo, exec_lo, s8
	v_add_nc_u32_e32 v55, v21, v54
	v_add_nc_u32_e32 v54, v32, v31
	v_sub_nc_u32_e32 v55, v55, v32
	s_delay_alu instid0(VALU_DEP_2) | instskip(NEXT) | instid1(VALU_DEP_2)
	v_cmp_le_u32_e64 s7, v54, v21
	v_cmp_le_u32_e64 s8, v55, v30
	s_delay_alu instid0(VALU_DEP_1) | instskip(NEXT) | instid1(SALU_CYCLE_1)
	s_or_b32 s7, s7, s8
	s_and_saveexec_b32 s9, s7
	s_cbranch_execz .LBB1963_538
; %bb.439:
	v_cmp_ge_u32_e64 s7, v54, v21
	s_mov_b32 s10, exec_lo
                                        ; implicit-def: $vgpr31
	v_cmpx_lt_u32_e64 v54, v21
	s_cbranch_execz .LBB1963_441
; %bb.440:
	v_lshl_add_u32 v4, v32, 1, v33
	ds_load_u16 v31, v4
.LBB1963_441:
	s_or_b32 exec_lo, exec_lo, s10
	v_cmp_ge_u32_e64 s10, v55, v30
	s_mov_b32 s11, exec_lo
                                        ; implicit-def: $vgpr32
	v_cmpx_lt_u32_e64 v55, v30
	s_cbranch_execz .LBB1963_443
; %bb.442:
	v_lshl_add_u32 v4, v55, 1, v12
	ds_load_u16 v32, v4
.LBB1963_443:
	s_or_b32 exec_lo, exec_lo, s11
	s_or_b32 s7, s7, s10
	s_delay_alu instid0(SALU_CYCLE_1) | instskip(NEXT) | instid1(SALU_CYCLE_1)
	s_xor_b32 s7, s7, -1
	s_and_saveexec_b32 s8, s7
	s_cbranch_execz .LBB1963_453
; %bb.444:
	s_waitcnt lgkmcnt(0)
	v_lshlrev_b32_e32 v4, 16, v32
	s_delay_alu instid0(VALU_DEP_1) | instskip(NEXT) | instid1(VALU_DEP_1)
	v_add_f32_e32 v5, 0, v4
	v_and_b32_e32 v4, 0x7f800000, v5
	s_delay_alu instid0(VALU_DEP_1) | instskip(NEXT) | instid1(VALU_DEP_1)
	v_cmp_ne_u32_e64 s7, 0x7f800000, v4
                                        ; implicit-def: $vgpr4
	s_and_saveexec_b32 s11, s7
	s_delay_alu instid0(SALU_CYCLE_1)
	s_xor_b32 s7, exec_lo, s11
; %bb.445:
	v_bfe_u32 v4, v5, 16, 1
	s_delay_alu instid0(VALU_DEP_1)
	v_add3_u32 v4, v5, v4, 0x7fff
                                        ; implicit-def: $vgpr5
; %bb.446:
	s_and_not1_saveexec_b32 s11, s7
; %bb.447:
	v_and_b32_e32 v4, 0xffff, v5
	v_or_b32_e32 v10, 0x10000, v5
	s_delay_alu instid0(VALU_DEP_2) | instskip(NEXT) | instid1(VALU_DEP_1)
	v_cmp_eq_u32_e64 s7, 0, v4
	v_cndmask_b32_e64 v4, v10, v5, s7
; %bb.448:
	s_or_b32 exec_lo, exec_lo, s11
	v_lshlrev_b32_e32 v5, 16, v31
	s_delay_alu instid0(VALU_DEP_1) | instskip(NEXT) | instid1(VALU_DEP_1)
	v_add_f32_e32 v10, 0, v5
	v_and_b32_e32 v5, 0x7f800000, v10
	s_delay_alu instid0(VALU_DEP_1) | instskip(NEXT) | instid1(VALU_DEP_1)
	v_cmp_ne_u32_e64 s7, 0x7f800000, v5
                                        ; implicit-def: $vgpr5
	s_and_saveexec_b32 s11, s7
	s_delay_alu instid0(SALU_CYCLE_1)
	s_xor_b32 s7, exec_lo, s11
; %bb.449:
	v_bfe_u32 v5, v10, 16, 1
	s_delay_alu instid0(VALU_DEP_1)
	v_add3_u32 v5, v10, v5, 0x7fff
                                        ; implicit-def: $vgpr10
; %bb.450:
	s_and_not1_saveexec_b32 s11, s7
; %bb.451:
	v_and_b32_e32 v5, 0xffff, v10
	v_or_b32_e32 v11, 0x10000, v10
	s_delay_alu instid0(VALU_DEP_2) | instskip(NEXT) | instid1(VALU_DEP_1)
	v_cmp_eq_u32_e64 s7, 0, v5
	v_cndmask_b32_e64 v5, v11, v10, s7
; %bb.452:
	s_or_b32 exec_lo, exec_lo, s11
	v_cmp_lt_i32_e64 s7, -1, v4
	s_delay_alu instid0(VALU_DEP_2) | instskip(SKIP_1) | instid1(VALU_DEP_2)
	v_perm_b32 v4, v5, v4, 0x7060302
	s_and_not1_b32 s10, s10, exec_lo
	v_cndmask_b32_e64 v10, -1, 0xffff8000, s7
	v_cmp_lt_i32_e64 s7, -1, v5
	s_delay_alu instid0(VALU_DEP_1) | instskip(NEXT) | instid1(VALU_DEP_1)
	v_cndmask_b32_e64 v11, -1, 0xffff8000, s7
	v_perm_b32 v5, v11, v10, 0x5040100
	s_delay_alu instid0(VALU_DEP_1) | instskip(NEXT) | instid1(VALU_DEP_1)
	v_xor_b32_e32 v4, v5, v4
	v_lshrrev_b32_e32 v5, 16, v4
	s_delay_alu instid0(VALU_DEP_1) | instskip(NEXT) | instid1(VALU_DEP_1)
	v_cmp_le_u16_e64 s7, v4, v5
	s_and_b32 s7, s7, exec_lo
	s_delay_alu instid0(SALU_CYCLE_1)
	s_or_b32 s10, s10, s7
.LBB1963_453:
	s_or_b32 exec_lo, exec_lo, s8
	v_cndmask_b32_e64 v4, v55, v54, s10
	v_cndmask_b32_e64 v5, v30, v21, s10
	s_mov_b32 s11, -1
	s_mov_b32 s8, -1
	s_mov_b32 s12, exec_lo
	v_add_nc_u32_e32 v10, 1, v4
	v_add_nc_u32_e32 v5, -1, v5
	v_lshl_add_u32 v4, v4, 3, v8
	s_delay_alu instid0(VALU_DEP_3) | instskip(NEXT) | instid1(VALU_DEP_3)
	v_cndmask_b32_e64 v14, v10, v55, s10
	v_min_u32_e32 v5, v10, v5
	v_cndmask_b32_e64 v15, v54, v10, s10
	s_delay_alu instid0(VALU_DEP_2)
	v_lshl_add_u32 v5, v5, 1, v12
	ds_load_u16 v11, v5
	ds_load_b64 v[4:5], v4 offset:4096
	s_waitcnt lgkmcnt(1)
	v_cndmask_b32_e64 v33, v11, v32, s10
	v_cndmask_b32_e64 v38, v31, v11, s10
	v_cmpx_lt_u32_e64 v14, v30
	s_cbranch_execz .LBB1963_465
; %bb.454:
	s_mov_b32 s13, 0
	s_mov_b32 s8, exec_lo
	v_cmpx_lt_u32_e64 v15, v21
	s_cbranch_execz .LBB1963_464
; %bb.455:
	v_lshlrev_b32_e32 v10, 16, v33
	s_delay_alu instid0(VALU_DEP_1) | instskip(NEXT) | instid1(VALU_DEP_1)
	v_add_f32_e32 v11, 0, v10
	v_and_b32_e32 v10, 0x7f800000, v11
	s_delay_alu instid0(VALU_DEP_1) | instskip(NEXT) | instid1(VALU_DEP_1)
	v_cmp_ne_u32_e64 s7, 0x7f800000, v10
                                        ; implicit-def: $vgpr10
	s_and_saveexec_b32 s13, s7
	s_delay_alu instid0(SALU_CYCLE_1)
	s_xor_b32 s7, exec_lo, s13
; %bb.456:
	v_bfe_u32 v10, v11, 16, 1
	s_delay_alu instid0(VALU_DEP_1)
	v_add3_u32 v10, v11, v10, 0x7fff
                                        ; implicit-def: $vgpr11
; %bb.457:
	s_and_not1_saveexec_b32 s13, s7
; %bb.458:
	v_and_b32_e32 v10, 0xffff, v11
	v_or_b32_e32 v16, 0x10000, v11
	s_delay_alu instid0(VALU_DEP_2) | instskip(NEXT) | instid1(VALU_DEP_1)
	v_cmp_eq_u32_e64 s7, 0, v10
	v_cndmask_b32_e64 v10, v16, v11, s7
; %bb.459:
	s_or_b32 exec_lo, exec_lo, s13
	v_lshlrev_b32_e32 v11, 16, v38
	s_delay_alu instid0(VALU_DEP_1) | instskip(NEXT) | instid1(VALU_DEP_1)
	v_add_f32_e32 v16, 0, v11
	v_and_b32_e32 v11, 0x7f800000, v16
	s_delay_alu instid0(VALU_DEP_1) | instskip(NEXT) | instid1(VALU_DEP_1)
	v_cmp_ne_u32_e64 s7, 0x7f800000, v11
                                        ; implicit-def: $vgpr11
	s_and_saveexec_b32 s13, s7
	s_delay_alu instid0(SALU_CYCLE_1)
	s_xor_b32 s7, exec_lo, s13
; %bb.460:
	v_bfe_u32 v11, v16, 16, 1
	s_delay_alu instid0(VALU_DEP_1)
	v_add3_u32 v11, v16, v11, 0x7fff
                                        ; implicit-def: $vgpr16
; %bb.461:
	s_and_not1_saveexec_b32 s13, s7
; %bb.462:
	v_and_b32_e32 v11, 0xffff, v16
	v_or_b32_e32 v17, 0x10000, v16
	s_delay_alu instid0(VALU_DEP_2) | instskip(NEXT) | instid1(VALU_DEP_1)
	v_cmp_eq_u32_e64 s7, 0, v11
	v_cndmask_b32_e64 v11, v17, v16, s7
; %bb.463:
	s_or_b32 exec_lo, exec_lo, s13
	v_cmp_lt_i32_e64 s7, -1, v10
	s_delay_alu instid0(VALU_DEP_2) | instskip(NEXT) | instid1(VALU_DEP_2)
	v_perm_b32 v10, v11, v10, 0x7060302
	v_cndmask_b32_e64 v16, -1, 0xffff8000, s7
	v_cmp_lt_i32_e64 s7, -1, v11
	s_delay_alu instid0(VALU_DEP_1) | instskip(NEXT) | instid1(VALU_DEP_1)
	v_cndmask_b32_e64 v17, -1, 0xffff8000, s7
	v_perm_b32 v11, v17, v16, 0x5040100
	s_delay_alu instid0(VALU_DEP_1) | instskip(NEXT) | instid1(VALU_DEP_1)
	v_xor_b32_e32 v10, v11, v10
	v_lshrrev_b32_e32 v11, 16, v10
	s_delay_alu instid0(VALU_DEP_1) | instskip(NEXT) | instid1(VALU_DEP_1)
	v_cmp_le_u16_e64 s7, v10, v11
	s_and_b32 s13, s7, exec_lo
.LBB1963_464:
	s_or_b32 exec_lo, exec_lo, s8
	s_delay_alu instid0(SALU_CYCLE_1)
	s_or_not1_b32 s8, s13, exec_lo
.LBB1963_465:
	s_or_b32 exec_lo, exec_lo, s12
	v_cndmask_b32_e64 v10, v14, v15, s8
	v_cndmask_b32_e64 v11, v30, v21, s8
	s_mov_b32 s12, exec_lo
	s_delay_alu instid0(VALU_DEP_2) | instskip(NEXT) | instid1(VALU_DEP_2)
	v_add_nc_u32_e32 v16, 1, v10
	v_add_nc_u32_e32 v11, -1, v11
	v_lshl_add_u32 v10, v10, 3, v8
	s_delay_alu instid0(VALU_DEP_3) | instskip(NEXT) | instid1(VALU_DEP_3)
	v_cndmask_b32_e64 v14, v16, v14, s8
	v_min_u32_e32 v11, v16, v11
	v_cndmask_b32_e64 v15, v15, v16, s8
	s_delay_alu instid0(VALU_DEP_2)
	v_lshl_add_u32 v11, v11, 1, v12
	ds_load_u16 v17, v11
	ds_load_b64 v[10:11], v10 offset:4096
	s_waitcnt lgkmcnt(1)
	v_cndmask_b32_e64 v39, v17, v33, s8
	v_cndmask_b32_e64 v49, v38, v17, s8
	v_cmpx_lt_u32_e64 v14, v30
	s_cbranch_execz .LBB1963_477
; %bb.466:
	s_mov_b32 s13, 0
	s_mov_b32 s11, exec_lo
	v_cmpx_lt_u32_e64 v15, v21
	s_cbranch_execz .LBB1963_476
; %bb.467:
	v_lshlrev_b32_e32 v16, 16, v39
	s_delay_alu instid0(VALU_DEP_1) | instskip(NEXT) | instid1(VALU_DEP_1)
	v_add_f32_e32 v17, 0, v16
	v_and_b32_e32 v16, 0x7f800000, v17
	s_delay_alu instid0(VALU_DEP_1) | instskip(NEXT) | instid1(VALU_DEP_1)
	v_cmp_ne_u32_e64 s7, 0x7f800000, v16
                                        ; implicit-def: $vgpr16
	s_and_saveexec_b32 s13, s7
	s_delay_alu instid0(SALU_CYCLE_1)
	s_xor_b32 s7, exec_lo, s13
; %bb.468:
	v_bfe_u32 v16, v17, 16, 1
	s_delay_alu instid0(VALU_DEP_1)
	v_add3_u32 v16, v17, v16, 0x7fff
                                        ; implicit-def: $vgpr17
; %bb.469:
	s_and_not1_saveexec_b32 s13, s7
; %bb.470:
	v_and_b32_e32 v16, 0xffff, v17
	v_or_b32_e32 v18, 0x10000, v17
	s_delay_alu instid0(VALU_DEP_2) | instskip(NEXT) | instid1(VALU_DEP_1)
	v_cmp_eq_u32_e64 s7, 0, v16
	v_cndmask_b32_e64 v16, v18, v17, s7
; %bb.471:
	s_or_b32 exec_lo, exec_lo, s13
	v_lshlrev_b32_e32 v17, 16, v49
	s_delay_alu instid0(VALU_DEP_1) | instskip(NEXT) | instid1(VALU_DEP_1)
	v_add_f32_e32 v18, 0, v17
	v_and_b32_e32 v17, 0x7f800000, v18
	s_delay_alu instid0(VALU_DEP_1) | instskip(NEXT) | instid1(VALU_DEP_1)
	v_cmp_ne_u32_e64 s7, 0x7f800000, v17
                                        ; implicit-def: $vgpr17
	s_and_saveexec_b32 s13, s7
	s_delay_alu instid0(SALU_CYCLE_1)
	s_xor_b32 s7, exec_lo, s13
; %bb.472:
	v_bfe_u32 v17, v18, 16, 1
	s_delay_alu instid0(VALU_DEP_1)
	v_add3_u32 v17, v18, v17, 0x7fff
                                        ; implicit-def: $vgpr18
; %bb.473:
	s_and_not1_saveexec_b32 s13, s7
; %bb.474:
	v_and_b32_e32 v17, 0xffff, v18
	v_or_b32_e32 v19, 0x10000, v18
	s_delay_alu instid0(VALU_DEP_2) | instskip(NEXT) | instid1(VALU_DEP_1)
	v_cmp_eq_u32_e64 s7, 0, v17
	v_cndmask_b32_e64 v17, v19, v18, s7
; %bb.475:
	s_or_b32 exec_lo, exec_lo, s13
	v_cmp_lt_i32_e64 s7, -1, v16
	s_delay_alu instid0(VALU_DEP_2) | instskip(NEXT) | instid1(VALU_DEP_2)
	v_perm_b32 v16, v17, v16, 0x7060302
	v_cndmask_b32_e64 v18, -1, 0xffff8000, s7
	v_cmp_lt_i32_e64 s7, -1, v17
	s_delay_alu instid0(VALU_DEP_1) | instskip(NEXT) | instid1(VALU_DEP_1)
	v_cndmask_b32_e64 v19, -1, 0xffff8000, s7
	v_perm_b32 v17, v19, v18, 0x5040100
	s_delay_alu instid0(VALU_DEP_1) | instskip(NEXT) | instid1(VALU_DEP_1)
	v_xor_b32_e32 v16, v17, v16
	v_lshrrev_b32_e32 v17, 16, v16
	s_delay_alu instid0(VALU_DEP_1) | instskip(NEXT) | instid1(VALU_DEP_1)
	v_cmp_le_u16_e64 s7, v16, v17
	s_and_b32 s13, s7, exec_lo
.LBB1963_476:
	s_or_b32 exec_lo, exec_lo, s11
	s_delay_alu instid0(SALU_CYCLE_1)
	s_or_not1_b32 s11, s13, exec_lo
.LBB1963_477:
	s_or_b32 exec_lo, exec_lo, s12
	v_cndmask_b32_e64 v16, v14, v15, s11
	v_cndmask_b32_e64 v17, v30, v21, s11
	s_mov_b32 s13, -1
	s_mov_b32 s12, -1
	s_mov_b32 s14, exec_lo
	v_add_nc_u32_e32 v18, 1, v16
	v_add_nc_u32_e32 v17, -1, v17
	v_lshl_add_u32 v16, v16, 3, v8
	s_delay_alu instid0(VALU_DEP_2)
	v_min_u32_e32 v17, v18, v17
	ds_load_b64 v[26:27], v16 offset:4096
	v_cndmask_b32_e64 v16, v18, v14, s11
	v_lshl_add_u32 v17, v17, 1, v12
	ds_load_u16 v19, v17
	v_cndmask_b32_e64 v17, v15, v18, s11
	s_waitcnt lgkmcnt(0)
	v_cndmask_b32_e64 v50, v19, v39, s11
	v_cndmask_b32_e64 v53, v49, v19, s11
	v_cmpx_lt_u32_e64 v16, v30
	s_cbranch_execz .LBB1963_489
; %bb.478:
	s_mov_b32 s15, 0
	s_mov_b32 s12, exec_lo
	v_cmpx_lt_u32_e64 v17, v21
	s_cbranch_execz .LBB1963_488
; %bb.479:
	v_lshlrev_b32_e32 v14, 16, v50
	s_delay_alu instid0(VALU_DEP_1) | instskip(NEXT) | instid1(VALU_DEP_1)
	v_add_f32_e32 v15, 0, v14
	v_and_b32_e32 v14, 0x7f800000, v15
	s_delay_alu instid0(VALU_DEP_1) | instskip(NEXT) | instid1(VALU_DEP_1)
	v_cmp_ne_u32_e64 s7, 0x7f800000, v14
                                        ; implicit-def: $vgpr14
	s_and_saveexec_b32 s15, s7
	s_delay_alu instid0(SALU_CYCLE_1)
	s_xor_b32 s7, exec_lo, s15
; %bb.480:
	v_bfe_u32 v14, v15, 16, 1
	s_delay_alu instid0(VALU_DEP_1)
	v_add3_u32 v14, v15, v14, 0x7fff
                                        ; implicit-def: $vgpr15
; %bb.481:
	s_and_not1_saveexec_b32 s15, s7
; %bb.482:
	v_and_b32_e32 v14, 0xffff, v15
	v_or_b32_e32 v18, 0x10000, v15
	s_delay_alu instid0(VALU_DEP_2) | instskip(NEXT) | instid1(VALU_DEP_1)
	v_cmp_eq_u32_e64 s7, 0, v14
	v_cndmask_b32_e64 v14, v18, v15, s7
; %bb.483:
	s_or_b32 exec_lo, exec_lo, s15
	v_lshlrev_b32_e32 v15, 16, v53
	s_delay_alu instid0(VALU_DEP_1) | instskip(NEXT) | instid1(VALU_DEP_1)
	v_add_f32_e32 v18, 0, v15
	v_and_b32_e32 v15, 0x7f800000, v18
	s_delay_alu instid0(VALU_DEP_1) | instskip(NEXT) | instid1(VALU_DEP_1)
	v_cmp_ne_u32_e64 s7, 0x7f800000, v15
                                        ; implicit-def: $vgpr15
	s_and_saveexec_b32 s15, s7
	s_delay_alu instid0(SALU_CYCLE_1)
	s_xor_b32 s7, exec_lo, s15
; %bb.484:
	v_bfe_u32 v15, v18, 16, 1
	s_delay_alu instid0(VALU_DEP_1)
	v_add3_u32 v15, v18, v15, 0x7fff
                                        ; implicit-def: $vgpr18
; %bb.485:
	s_and_not1_saveexec_b32 s15, s7
; %bb.486:
	v_and_b32_e32 v15, 0xffff, v18
	v_or_b32_e32 v19, 0x10000, v18
	s_delay_alu instid0(VALU_DEP_2) | instskip(NEXT) | instid1(VALU_DEP_1)
	v_cmp_eq_u32_e64 s7, 0, v15
	v_cndmask_b32_e64 v15, v19, v18, s7
; %bb.487:
	s_or_b32 exec_lo, exec_lo, s15
	v_cmp_lt_i32_e64 s7, -1, v14
	s_delay_alu instid0(VALU_DEP_2) | instskip(NEXT) | instid1(VALU_DEP_2)
	v_perm_b32 v14, v15, v14, 0x7060302
	v_cndmask_b32_e64 v18, -1, 0xffff8000, s7
	v_cmp_lt_i32_e64 s7, -1, v15
	s_delay_alu instid0(VALU_DEP_1) | instskip(NEXT) | instid1(VALU_DEP_1)
	v_cndmask_b32_e64 v19, -1, 0xffff8000, s7
	v_perm_b32 v15, v19, v18, 0x5040100
	s_delay_alu instid0(VALU_DEP_1) | instskip(NEXT) | instid1(VALU_DEP_1)
	v_xor_b32_e32 v14, v15, v14
	v_lshrrev_b32_e32 v15, 16, v14
	s_delay_alu instid0(VALU_DEP_1) | instskip(NEXT) | instid1(VALU_DEP_1)
	v_cmp_le_u16_e64 s7, v14, v15
	s_and_b32 s15, s7, exec_lo
.LBB1963_488:
	s_or_b32 exec_lo, exec_lo, s12
	s_delay_alu instid0(SALU_CYCLE_1)
	s_or_not1_b32 s12, s15, exec_lo
.LBB1963_489:
	s_or_b32 exec_lo, exec_lo, s14
	v_cndmask_b32_e64 v14, v16, v17, s12
	v_cndmask_b32_e64 v15, v30, v21, s12
	s_mov_b32 s14, exec_lo
	s_delay_alu instid0(VALU_DEP_2) | instskip(NEXT) | instid1(VALU_DEP_2)
	v_add_nc_u32_e32 v18, 1, v14
	v_add_nc_u32_e32 v15, -1, v15
	v_lshl_add_u32 v14, v14, 3, v8
	s_delay_alu instid0(VALU_DEP_3) | instskip(NEXT) | instid1(VALU_DEP_3)
	v_cndmask_b32_e64 v16, v18, v16, s12
	v_min_u32_e32 v15, v18, v15
	v_cndmask_b32_e64 v17, v17, v18, s12
	s_delay_alu instid0(VALU_DEP_2)
	v_lshl_add_u32 v15, v15, 1, v12
	ds_load_u16 v19, v15
	ds_load_b64 v[14:15], v14 offset:4096
	s_waitcnt lgkmcnt(1)
	v_cndmask_b32_e64 v51, v19, v50, s12
	v_cndmask_b32_e64 v54, v53, v19, s12
	v_cmpx_lt_u32_e64 v16, v30
	s_cbranch_execz .LBB1963_501
; %bb.490:
	s_mov_b32 s15, 0
	s_mov_b32 s13, exec_lo
	v_cmpx_lt_u32_e64 v17, v21
	s_cbranch_execz .LBB1963_500
; %bb.491:
	v_lshlrev_b32_e32 v18, 16, v51
	s_delay_alu instid0(VALU_DEP_1) | instskip(NEXT) | instid1(VALU_DEP_1)
	v_add_f32_e32 v19, 0, v18
	v_and_b32_e32 v18, 0x7f800000, v19
	s_delay_alu instid0(VALU_DEP_1) | instskip(NEXT) | instid1(VALU_DEP_1)
	v_cmp_ne_u32_e64 s7, 0x7f800000, v18
                                        ; implicit-def: $vgpr18
	s_and_saveexec_b32 s15, s7
	s_delay_alu instid0(SALU_CYCLE_1)
	s_xor_b32 s7, exec_lo, s15
; %bb.492:
	v_bfe_u32 v18, v19, 16, 1
	s_delay_alu instid0(VALU_DEP_1)
	v_add3_u32 v18, v19, v18, 0x7fff
                                        ; implicit-def: $vgpr19
; %bb.493:
	s_and_not1_saveexec_b32 s15, s7
; %bb.494:
	v_and_b32_e32 v18, 0xffff, v19
	v_or_b32_e32 v22, 0x10000, v19
	s_delay_alu instid0(VALU_DEP_2) | instskip(NEXT) | instid1(VALU_DEP_1)
	v_cmp_eq_u32_e64 s7, 0, v18
	v_cndmask_b32_e64 v18, v22, v19, s7
; %bb.495:
	s_or_b32 exec_lo, exec_lo, s15
	v_lshlrev_b32_e32 v19, 16, v54
	s_delay_alu instid0(VALU_DEP_1) | instskip(NEXT) | instid1(VALU_DEP_1)
	v_add_f32_e32 v22, 0, v19
	v_and_b32_e32 v19, 0x7f800000, v22
	s_delay_alu instid0(VALU_DEP_1) | instskip(NEXT) | instid1(VALU_DEP_1)
	v_cmp_ne_u32_e64 s7, 0x7f800000, v19
                                        ; implicit-def: $vgpr19
	s_and_saveexec_b32 s15, s7
	s_delay_alu instid0(SALU_CYCLE_1)
	s_xor_b32 s7, exec_lo, s15
; %bb.496:
	v_bfe_u32 v19, v22, 16, 1
	s_delay_alu instid0(VALU_DEP_1)
	v_add3_u32 v19, v22, v19, 0x7fff
                                        ; implicit-def: $vgpr22
; %bb.497:
	s_and_not1_saveexec_b32 s15, s7
; %bb.498:
	v_and_b32_e32 v19, 0xffff, v22
	v_or_b32_e32 v23, 0x10000, v22
	s_delay_alu instid0(VALU_DEP_2) | instskip(NEXT) | instid1(VALU_DEP_1)
	v_cmp_eq_u32_e64 s7, 0, v19
	v_cndmask_b32_e64 v19, v23, v22, s7
; %bb.499:
	s_or_b32 exec_lo, exec_lo, s15
	v_cmp_lt_i32_e64 s7, -1, v18
	s_delay_alu instid0(VALU_DEP_2) | instskip(NEXT) | instid1(VALU_DEP_2)
	v_perm_b32 v18, v19, v18, 0x7060302
	v_cndmask_b32_e64 v22, -1, 0xffff8000, s7
	v_cmp_lt_i32_e64 s7, -1, v19
	s_delay_alu instid0(VALU_DEP_1) | instskip(NEXT) | instid1(VALU_DEP_1)
	v_cndmask_b32_e64 v23, -1, 0xffff8000, s7
	v_perm_b32 v19, v23, v22, 0x5040100
	s_delay_alu instid0(VALU_DEP_1) | instskip(NEXT) | instid1(VALU_DEP_1)
	v_xor_b32_e32 v18, v19, v18
	v_lshrrev_b32_e32 v19, 16, v18
	s_delay_alu instid0(VALU_DEP_1) | instskip(NEXT) | instid1(VALU_DEP_1)
	v_cmp_le_u16_e64 s7, v18, v19
	s_and_b32 s15, s7, exec_lo
.LBB1963_500:
	s_or_b32 exec_lo, exec_lo, s13
	s_delay_alu instid0(SALU_CYCLE_1)
	s_or_not1_b32 s13, s15, exec_lo
.LBB1963_501:
	s_or_b32 exec_lo, exec_lo, s14
	v_cndmask_b32_e64 v18, v16, v17, s13
	v_cndmask_b32_e64 v19, v30, v21, s13
	s_mov_b32 s15, -1
	s_mov_b32 s14, -1
	s_mov_b32 s16, exec_lo
	v_add_nc_u32_e32 v22, 1, v18
	v_add_nc_u32_e32 v19, -1, v19
	v_lshl_add_u32 v18, v18, 3, v8
	s_delay_alu instid0(VALU_DEP_3) | instskip(NEXT) | instid1(VALU_DEP_3)
	v_cndmask_b32_e64 v16, v22, v16, s13
	v_min_u32_e32 v19, v22, v19
	v_cndmask_b32_e64 v17, v17, v22, s13
	ds_load_b64 v[28:29], v18 offset:4096
	v_lshl_add_u32 v19, v19, 1, v12
	ds_load_u16 v19, v19
	s_waitcnt lgkmcnt(0)
	v_cndmask_b32_e64 v48, v19, v51, s13
	v_cndmask_b32_e64 v55, v54, v19, s13
	v_cmpx_lt_u32_e64 v16, v30
	s_cbranch_execz .LBB1963_513
; %bb.502:
	s_mov_b32 s17, 0
	s_mov_b32 s14, exec_lo
	v_cmpx_lt_u32_e64 v17, v21
	s_cbranch_execz .LBB1963_512
; %bb.503:
	v_lshlrev_b32_e32 v18, 16, v48
	s_delay_alu instid0(VALU_DEP_1) | instskip(NEXT) | instid1(VALU_DEP_1)
	v_add_f32_e32 v19, 0, v18
	v_and_b32_e32 v18, 0x7f800000, v19
	s_delay_alu instid0(VALU_DEP_1) | instskip(NEXT) | instid1(VALU_DEP_1)
	v_cmp_ne_u32_e64 s7, 0x7f800000, v18
                                        ; implicit-def: $vgpr18
	s_and_saveexec_b32 s17, s7
	s_delay_alu instid0(SALU_CYCLE_1)
	s_xor_b32 s7, exec_lo, s17
; %bb.504:
	v_bfe_u32 v18, v19, 16, 1
	s_delay_alu instid0(VALU_DEP_1)
	v_add3_u32 v18, v19, v18, 0x7fff
                                        ; implicit-def: $vgpr19
; %bb.505:
	s_and_not1_saveexec_b32 s17, s7
; %bb.506:
	v_and_b32_e32 v18, 0xffff, v19
	v_or_b32_e32 v22, 0x10000, v19
	s_delay_alu instid0(VALU_DEP_2) | instskip(NEXT) | instid1(VALU_DEP_1)
	v_cmp_eq_u32_e64 s7, 0, v18
	v_cndmask_b32_e64 v18, v22, v19, s7
; %bb.507:
	s_or_b32 exec_lo, exec_lo, s17
	v_lshlrev_b32_e32 v19, 16, v55
	s_delay_alu instid0(VALU_DEP_1) | instskip(NEXT) | instid1(VALU_DEP_1)
	v_add_f32_e32 v22, 0, v19
	v_and_b32_e32 v19, 0x7f800000, v22
	s_delay_alu instid0(VALU_DEP_1) | instskip(NEXT) | instid1(VALU_DEP_1)
	v_cmp_ne_u32_e64 s7, 0x7f800000, v19
                                        ; implicit-def: $vgpr19
	s_and_saveexec_b32 s17, s7
	s_delay_alu instid0(SALU_CYCLE_1)
	s_xor_b32 s7, exec_lo, s17
; %bb.508:
	v_bfe_u32 v19, v22, 16, 1
	s_delay_alu instid0(VALU_DEP_1)
	v_add3_u32 v19, v22, v19, 0x7fff
                                        ; implicit-def: $vgpr22
; %bb.509:
	s_and_not1_saveexec_b32 s17, s7
; %bb.510:
	v_and_b32_e32 v19, 0xffff, v22
	v_or_b32_e32 v23, 0x10000, v22
	s_delay_alu instid0(VALU_DEP_2) | instskip(NEXT) | instid1(VALU_DEP_1)
	v_cmp_eq_u32_e64 s7, 0, v19
	v_cndmask_b32_e64 v19, v23, v22, s7
; %bb.511:
	s_or_b32 exec_lo, exec_lo, s17
	v_cmp_lt_i32_e64 s7, -1, v18
	s_delay_alu instid0(VALU_DEP_2) | instskip(NEXT) | instid1(VALU_DEP_2)
	v_perm_b32 v18, v19, v18, 0x7060302
	v_cndmask_b32_e64 v22, -1, 0xffff8000, s7
	v_cmp_lt_i32_e64 s7, -1, v19
	s_delay_alu instid0(VALU_DEP_1) | instskip(NEXT) | instid1(VALU_DEP_1)
	v_cndmask_b32_e64 v23, -1, 0xffff8000, s7
	v_perm_b32 v19, v23, v22, 0x5040100
	s_delay_alu instid0(VALU_DEP_1) | instskip(NEXT) | instid1(VALU_DEP_1)
	v_xor_b32_e32 v18, v19, v18
	v_lshrrev_b32_e32 v19, 16, v18
	s_delay_alu instid0(VALU_DEP_1) | instskip(NEXT) | instid1(VALU_DEP_1)
	v_cmp_le_u16_e64 s7, v18, v19
	s_and_b32 s17, s7, exec_lo
.LBB1963_512:
	s_or_b32 exec_lo, exec_lo, s14
	s_delay_alu instid0(SALU_CYCLE_1)
	s_or_not1_b32 s14, s17, exec_lo
.LBB1963_513:
	s_or_b32 exec_lo, exec_lo, s16
	v_cndmask_b32_e64 v18, v16, v17, s14
	v_cndmask_b32_e64 v19, v30, v21, s14
	s_mov_b32 s16, exec_lo
	s_delay_alu instid0(VALU_DEP_2) | instskip(NEXT) | instid1(VALU_DEP_2)
	v_add_nc_u32_e32 v23, 1, v18
	v_add_nc_u32_e32 v19, -1, v19
	v_lshl_add_u32 v18, v18, 3, v8
	s_delay_alu instid0(VALU_DEP_3) | instskip(NEXT) | instid1(VALU_DEP_3)
	v_cndmask_b32_e64 v22, v23, v16, s14
	v_min_u32_e32 v19, v23, v19
	v_cndmask_b32_e64 v23, v17, v23, s14
	s_delay_alu instid0(VALU_DEP_2)
	v_lshl_add_u32 v19, v19, 1, v12
	ds_load_u16 v64, v19
	ds_load_b64 v[18:19], v18 offset:4096
	s_waitcnt lgkmcnt(1)
	v_cndmask_b32_e64 v52, v64, v48, s14
	v_cndmask_b32_e64 v64, v55, v64, s14
	v_cmpx_lt_u32_e64 v22, v30
	s_cbranch_execz .LBB1963_525
; %bb.514:
	s_mov_b32 s17, 0
	s_mov_b32 s15, exec_lo
	v_cmpx_lt_u32_e64 v23, v21
	s_cbranch_execz .LBB1963_524
; %bb.515:
	v_lshlrev_b32_e32 v16, 16, v52
	s_delay_alu instid0(VALU_DEP_1) | instskip(NEXT) | instid1(VALU_DEP_1)
	v_add_f32_e32 v17, 0, v16
	v_and_b32_e32 v16, 0x7f800000, v17
	s_delay_alu instid0(VALU_DEP_1) | instskip(NEXT) | instid1(VALU_DEP_1)
	v_cmp_ne_u32_e64 s7, 0x7f800000, v16
                                        ; implicit-def: $vgpr16
	s_and_saveexec_b32 s17, s7
	s_delay_alu instid0(SALU_CYCLE_1)
	s_xor_b32 s7, exec_lo, s17
; %bb.516:
	v_bfe_u32 v16, v17, 16, 1
	s_delay_alu instid0(VALU_DEP_1)
	v_add3_u32 v16, v17, v16, 0x7fff
                                        ; implicit-def: $vgpr17
; %bb.517:
	s_and_not1_saveexec_b32 s17, s7
; %bb.518:
	v_and_b32_e32 v16, 0xffff, v17
	v_or_b32_e32 v65, 0x10000, v17
	s_delay_alu instid0(VALU_DEP_2) | instskip(NEXT) | instid1(VALU_DEP_1)
	v_cmp_eq_u32_e64 s7, 0, v16
	v_cndmask_b32_e64 v16, v65, v17, s7
; %bb.519:
	s_or_b32 exec_lo, exec_lo, s17
	v_lshlrev_b32_e32 v17, 16, v64
	s_delay_alu instid0(VALU_DEP_1) | instskip(NEXT) | instid1(VALU_DEP_1)
	v_add_f32_e32 v65, 0, v17
	v_and_b32_e32 v17, 0x7f800000, v65
	s_delay_alu instid0(VALU_DEP_1) | instskip(NEXT) | instid1(VALU_DEP_1)
	v_cmp_ne_u32_e64 s7, 0x7f800000, v17
                                        ; implicit-def: $vgpr17
	s_and_saveexec_b32 s17, s7
	s_delay_alu instid0(SALU_CYCLE_1)
	s_xor_b32 s7, exec_lo, s17
; %bb.520:
	v_bfe_u32 v17, v65, 16, 1
	s_delay_alu instid0(VALU_DEP_1)
	v_add3_u32 v17, v65, v17, 0x7fff
                                        ; implicit-def: $vgpr65
; %bb.521:
	s_and_not1_saveexec_b32 s17, s7
; %bb.522:
	v_and_b32_e32 v17, 0xffff, v65
	v_or_b32_e32 v66, 0x10000, v65
	s_delay_alu instid0(VALU_DEP_2) | instskip(NEXT) | instid1(VALU_DEP_1)
	v_cmp_eq_u32_e64 s7, 0, v17
	v_cndmask_b32_e64 v17, v66, v65, s7
; %bb.523:
	s_or_b32 exec_lo, exec_lo, s17
	v_cmp_lt_i32_e64 s7, -1, v16
	s_delay_alu instid0(VALU_DEP_2) | instskip(NEXT) | instid1(VALU_DEP_2)
	v_perm_b32 v16, v17, v16, 0x7060302
	v_cndmask_b32_e64 v65, -1, 0xffff8000, s7
	v_cmp_lt_i32_e64 s7, -1, v17
	s_delay_alu instid0(VALU_DEP_1) | instskip(NEXT) | instid1(VALU_DEP_1)
	v_cndmask_b32_e64 v66, -1, 0xffff8000, s7
	v_perm_b32 v17, v66, v65, 0x5040100
	s_delay_alu instid0(VALU_DEP_1) | instskip(NEXT) | instid1(VALU_DEP_1)
	v_xor_b32_e32 v16, v17, v16
	v_lshrrev_b32_e32 v17, 16, v16
	s_delay_alu instid0(VALU_DEP_1) | instskip(NEXT) | instid1(VALU_DEP_1)
	v_cmp_le_u16_e64 s7, v16, v17
	s_and_b32 s17, s7, exec_lo
.LBB1963_524:
	s_or_b32 exec_lo, exec_lo, s15
	s_delay_alu instid0(SALU_CYCLE_1)
	s_or_not1_b32 s15, s17, exec_lo
.LBB1963_525:
	s_or_b32 exec_lo, exec_lo, s16
	v_cndmask_b32_e64 v16, v22, v23, s15
	v_cndmask_b32_e64 v17, v30, v21, s15
	s_mov_b32 s17, -1
	s_mov_b32 s16, exec_lo
	s_delay_alu instid0(VALU_DEP_2) | instskip(NEXT) | instid1(VALU_DEP_2)
	v_add_nc_u32_e32 v65, 1, v16
	v_add_nc_u32_e32 v17, -1, v17
	v_lshl_add_u32 v16, v16, 3, v8
	s_delay_alu instid0(VALU_DEP_3) | instskip(NEXT) | instid1(VALU_DEP_3)
	v_cndmask_b32_e64 v22, v65, v22, s15
	v_min_u32_e32 v17, v65, v17
	v_cndmask_b32_e64 v23, v23, v65, s15
	s_delay_alu instid0(VALU_DEP_2)
	v_lshl_add_u32 v17, v17, 1, v12
	ds_load_u16 v66, v17
	ds_load_b64 v[16:17], v16 offset:4096
	s_waitcnt lgkmcnt(1)
	v_cndmask_b32_e64 v65, v66, v52, s15
	v_cndmask_b32_e64 v66, v64, v66, s15
	v_cmpx_lt_u32_e64 v22, v30
	s_cbranch_execz .LBB1963_537
; %bb.526:
	s_mov_b32 s18, 0
	s_mov_b32 s17, exec_lo
	v_cmpx_lt_u32_e64 v23, v21
	s_cbranch_execz .LBB1963_536
; %bb.527:
	v_lshlrev_b32_e32 v21, 16, v65
	s_delay_alu instid0(VALU_DEP_1) | instskip(NEXT) | instid1(VALU_DEP_1)
	v_add_f32_e32 v30, 0, v21
	v_and_b32_e32 v21, 0x7f800000, v30
	s_delay_alu instid0(VALU_DEP_1) | instskip(NEXT) | instid1(VALU_DEP_1)
	v_cmp_ne_u32_e64 s7, 0x7f800000, v21
                                        ; implicit-def: $vgpr21
	s_and_saveexec_b32 s18, s7
	s_delay_alu instid0(SALU_CYCLE_1)
	s_xor_b32 s7, exec_lo, s18
; %bb.528:
	v_bfe_u32 v21, v30, 16, 1
	s_delay_alu instid0(VALU_DEP_1)
	v_add3_u32 v21, v30, v21, 0x7fff
                                        ; implicit-def: $vgpr30
; %bb.529:
	s_and_not1_saveexec_b32 s18, s7
; %bb.530:
	v_and_b32_e32 v21, 0xffff, v30
	v_or_b32_e32 v67, 0x10000, v30
	s_delay_alu instid0(VALU_DEP_2) | instskip(NEXT) | instid1(VALU_DEP_1)
	v_cmp_eq_u32_e64 s7, 0, v21
	v_cndmask_b32_e64 v21, v67, v30, s7
; %bb.531:
	s_or_b32 exec_lo, exec_lo, s18
	v_lshlrev_b32_e32 v30, 16, v66
	s_delay_alu instid0(VALU_DEP_1) | instskip(NEXT) | instid1(VALU_DEP_1)
	v_add_f32_e32 v67, 0, v30
	v_and_b32_e32 v30, 0x7f800000, v67
	s_delay_alu instid0(VALU_DEP_1) | instskip(NEXT) | instid1(VALU_DEP_1)
	v_cmp_ne_u32_e64 s7, 0x7f800000, v30
                                        ; implicit-def: $vgpr30
	s_and_saveexec_b32 s18, s7
	s_delay_alu instid0(SALU_CYCLE_1)
	s_xor_b32 s7, exec_lo, s18
; %bb.532:
	v_bfe_u32 v30, v67, 16, 1
	s_delay_alu instid0(VALU_DEP_1)
	v_add3_u32 v30, v67, v30, 0x7fff
                                        ; implicit-def: $vgpr67
; %bb.533:
	s_and_not1_saveexec_b32 s18, s7
; %bb.534:
	v_and_b32_e32 v30, 0xffff, v67
	v_or_b32_e32 v68, 0x10000, v67
	s_delay_alu instid0(VALU_DEP_2) | instskip(NEXT) | instid1(VALU_DEP_1)
	v_cmp_eq_u32_e64 s7, 0, v30
	v_cndmask_b32_e64 v30, v68, v67, s7
; %bb.535:
	s_or_b32 exec_lo, exec_lo, s18
	v_cmp_lt_i32_e64 s7, -1, v21
	s_delay_alu instid0(VALU_DEP_2) | instskip(NEXT) | instid1(VALU_DEP_2)
	v_perm_b32 v21, v30, v21, 0x7060302
	v_cndmask_b32_e64 v67, -1, 0xffff8000, s7
	v_cmp_lt_i32_e64 s7, -1, v30
	s_delay_alu instid0(VALU_DEP_1) | instskip(NEXT) | instid1(VALU_DEP_1)
	v_cndmask_b32_e64 v68, -1, 0xffff8000, s7
	v_perm_b32 v30, v68, v67, 0x5040100
	s_delay_alu instid0(VALU_DEP_1) | instskip(NEXT) | instid1(VALU_DEP_1)
	v_xor_b32_e32 v21, v30, v21
	v_lshrrev_b32_e32 v30, 16, v21
	s_delay_alu instid0(VALU_DEP_1) | instskip(NEXT) | instid1(VALU_DEP_1)
	v_cmp_le_u16_e64 s7, v21, v30
	s_and_b32 s18, s7, exec_lo
.LBB1963_536:
	s_or_b32 exec_lo, exec_lo, s17
	s_delay_alu instid0(SALU_CYCLE_1)
	s_or_not1_b32 s17, s18, exec_lo
.LBB1963_537:
	s_or_b32 exec_lo, exec_lo, s16
	v_cndmask_b32_e64 v21, v22, v23, s17
	v_cndmask_b32_e64 v52, v52, v64, s15
	;; [unrolled: 1-line block ×5, first 2 shown]
	v_lshl_add_u32 v21, v21, 3, v8
	v_cndmask_b32_e64 v50, v39, v49, s11
	v_cndmask_b32_e64 v49, v33, v38, s8
	;; [unrolled: 1-line block ×4, first 2 shown]
	ds_load_b64 v[22:23], v21 offset:4096
.LBB1963_538:
	s_or_b32 exec_lo, exec_lo, s9
	v_and_b32_e32 v31, 0xc0, v37
	v_and_b32_e32 v32, 56, v37
	v_perm_b32 v65, v39, v52, 0x5040100
	v_perm_b32 v64, v48, v51, 0x5040100
	;; [unrolled: 1-line block ×3, first 2 shown]
	v_or_b32_e32 v21, 32, v31
	v_min_u32_e32 v54, v13, v32
	v_perm_b32 v66, v49, v38, 0x5040100
	s_mov_b32 s8, exec_lo
	s_delay_alu instid0(VALU_DEP_3)
	v_min_u32_e32 v21, v13, v21
	; wave barrier
	ds_store_2addr_b64 v20, v[26:27], v[14:15] offset0:2 offset1:3
	ds_store_2addr_b64 v20, v[28:29], v[18:19] offset0:4 offset1:5
	ds_store_2addr_b64 v20, v[4:5], v[10:11] offset1:1
	ds_store_2addr_b64 v9, v[66:67], v[64:65] offset1:1
	s_waitcnt lgkmcnt(4)
	ds_store_2addr_b64 v20, v[16:17], v[22:23] offset0:6 offset1:7
	v_add_nc_u32_e32 v30, 32, v21
	v_sub_nc_u32_e32 v32, v21, v31
	; wave barrier
	s_delay_alu instid0(VALU_DEP_2) | instskip(NEXT) | instid1(VALU_DEP_2)
	v_min_u32_e32 v30, v13, v30
	v_min_u32_e32 v55, v54, v32
	s_delay_alu instid0(VALU_DEP_2) | instskip(NEXT) | instid1(VALU_DEP_1)
	v_sub_nc_u32_e32 v33, v30, v21
	v_sub_nc_u32_e64 v32, v54, v33 clamp
	v_lshl_add_u32 v33, v31, 1, v12
	s_delay_alu instid0(VALU_DEP_2)
	v_cmpx_lt_u32_e64 v32, v55
	s_cbranch_execz .LBB1963_550
; %bb.539:
	v_lshlrev_b32_e32 v64, 1, v21
	v_lshlrev_b32_e32 v65, 1, v54
	s_mov_b32 s9, 0
	s_delay_alu instid0(VALU_DEP_1)
	v_add3_u32 v64, v12, v64, v65
	s_branch .LBB1963_541
.LBB1963_540:                           ;   in Loop: Header=BB1963_541 Depth=1
	s_or_b32 exec_lo, exec_lo, s10
	v_cmp_lt_i32_e64 s7, -1, v66
	v_lshrrev_b32_e32 v68, 16, v66
	v_lshrrev_b32_e32 v69, 16, v67
	s_delay_alu instid0(VALU_DEP_3) | instskip(SKIP_1) | instid1(VALU_DEP_2)
	v_cndmask_b32_e64 v66, -1, 0xffff8000, s7
	v_cmp_lt_i32_e64 s7, -1, v67
	v_xor_b32_e32 v66, v66, v68
	s_delay_alu instid0(VALU_DEP_2) | instskip(SKIP_1) | instid1(VALU_DEP_2)
	v_cndmask_b32_e64 v67, -1, 0xffff8000, s7
	v_add_nc_u32_e32 v68, 1, v65
	v_xor_b32_e32 v67, v67, v69
	s_delay_alu instid0(VALU_DEP_1) | instskip(NEXT) | instid1(VALU_DEP_1)
	v_cmp_gt_u16_e64 s7, v66, v67
	v_cndmask_b32_e64 v55, v55, v65, s7
	s_delay_alu instid0(VALU_DEP_4) | instskip(NEXT) | instid1(VALU_DEP_1)
	v_cndmask_b32_e64 v32, v68, v32, s7
	v_cmp_ge_u32_e64 s7, v32, v55
	s_delay_alu instid0(VALU_DEP_1) | instskip(NEXT) | instid1(SALU_CYCLE_1)
	s_or_b32 s9, s7, s9
	s_and_not1_b32 exec_lo, exec_lo, s9
	s_cbranch_execz .LBB1963_549
.LBB1963_541:                           ; =>This Inner Loop Header: Depth=1
	v_add_nc_u32_e32 v66, v55, v32
	s_delay_alu instid0(VALU_DEP_1) | instskip(SKIP_1) | instid1(VALU_DEP_2)
	v_lshrrev_b32_e32 v65, 1, v66
	v_and_b32_e32 v66, -2, v66
	v_not_b32_e32 v67, v65
	s_delay_alu instid0(VALU_DEP_2) | instskip(NEXT) | instid1(VALU_DEP_2)
	v_add_nc_u32_e32 v66, v33, v66
	v_lshl_add_u32 v67, v67, 1, v64
	ds_load_u16 v68, v67
	ds_load_u16 v67, v66
	s_waitcnt lgkmcnt(1)
	v_lshlrev_b32_e32 v66, 16, v68
	s_delay_alu instid0(VALU_DEP_1) | instskip(NEXT) | instid1(VALU_DEP_1)
	v_add_f32_e32 v68, 0, v66
	v_and_b32_e32 v66, 0x7f800000, v68
	s_delay_alu instid0(VALU_DEP_1) | instskip(NEXT) | instid1(VALU_DEP_1)
	v_cmp_ne_u32_e64 s7, 0x7f800000, v66
                                        ; implicit-def: $vgpr66
	s_and_saveexec_b32 s10, s7
	s_delay_alu instid0(SALU_CYCLE_1)
	s_xor_b32 s7, exec_lo, s10
; %bb.542:                              ;   in Loop: Header=BB1963_541 Depth=1
	v_bfe_u32 v66, v68, 16, 1
	s_delay_alu instid0(VALU_DEP_1)
	v_add3_u32 v66, v68, v66, 0x7fff
                                        ; implicit-def: $vgpr68
; %bb.543:                              ;   in Loop: Header=BB1963_541 Depth=1
	s_and_not1_saveexec_b32 s10, s7
; %bb.544:                              ;   in Loop: Header=BB1963_541 Depth=1
	v_and_b32_e32 v66, 0xffff, v68
	v_or_b32_e32 v69, 0x10000, v68
	s_delay_alu instid0(VALU_DEP_2) | instskip(NEXT) | instid1(VALU_DEP_1)
	v_cmp_eq_u32_e64 s7, 0, v66
	v_cndmask_b32_e64 v66, v69, v68, s7
; %bb.545:                              ;   in Loop: Header=BB1963_541 Depth=1
	s_or_b32 exec_lo, exec_lo, s10
	s_waitcnt lgkmcnt(0)
	v_lshlrev_b32_e32 v67, 16, v67
	s_delay_alu instid0(VALU_DEP_1) | instskip(NEXT) | instid1(VALU_DEP_1)
	v_add_f32_e32 v68, 0, v67
	v_and_b32_e32 v67, 0x7f800000, v68
	s_delay_alu instid0(VALU_DEP_1) | instskip(NEXT) | instid1(VALU_DEP_1)
	v_cmp_ne_u32_e64 s7, 0x7f800000, v67
                                        ; implicit-def: $vgpr67
	s_and_saveexec_b32 s10, s7
	s_delay_alu instid0(SALU_CYCLE_1)
	s_xor_b32 s7, exec_lo, s10
; %bb.546:                              ;   in Loop: Header=BB1963_541 Depth=1
	v_bfe_u32 v67, v68, 16, 1
	s_delay_alu instid0(VALU_DEP_1)
	v_add3_u32 v67, v68, v67, 0x7fff
                                        ; implicit-def: $vgpr68
; %bb.547:                              ;   in Loop: Header=BB1963_541 Depth=1
	s_and_not1_saveexec_b32 s10, s7
	s_cbranch_execz .LBB1963_540
; %bb.548:                              ;   in Loop: Header=BB1963_541 Depth=1
	v_and_b32_e32 v67, 0xffff, v68
	v_or_b32_e32 v69, 0x10000, v68
	s_delay_alu instid0(VALU_DEP_2) | instskip(NEXT) | instid1(VALU_DEP_1)
	v_cmp_eq_u32_e64 s7, 0, v67
	v_cndmask_b32_e64 v67, v69, v68, s7
	s_branch .LBB1963_540
.LBB1963_549:
	s_or_b32 exec_lo, exec_lo, s9
.LBB1963_550:
	s_delay_alu instid0(SALU_CYCLE_1) | instskip(SKIP_2) | instid1(VALU_DEP_2)
	s_or_b32 exec_lo, exec_lo, s8
	v_add_nc_u32_e32 v55, v21, v54
	v_add_nc_u32_e32 v54, v32, v31
	v_sub_nc_u32_e32 v55, v55, v32
	s_delay_alu instid0(VALU_DEP_2) | instskip(NEXT) | instid1(VALU_DEP_2)
	v_cmp_le_u32_e64 s7, v54, v21
	v_cmp_le_u32_e64 s8, v55, v30
	s_delay_alu instid0(VALU_DEP_1) | instskip(NEXT) | instid1(SALU_CYCLE_1)
	s_or_b32 s7, s7, s8
	s_and_saveexec_b32 s9, s7
	s_cbranch_execz .LBB1963_650
; %bb.551:
	v_cmp_ge_u32_e64 s7, v54, v21
	s_mov_b32 s10, exec_lo
                                        ; implicit-def: $vgpr31
	v_cmpx_lt_u32_e64 v54, v21
	s_cbranch_execz .LBB1963_553
; %bb.552:
	v_lshl_add_u32 v4, v32, 1, v33
	ds_load_u16 v31, v4
.LBB1963_553:
	s_or_b32 exec_lo, exec_lo, s10
	v_cmp_ge_u32_e64 s10, v55, v30
	s_mov_b32 s11, exec_lo
                                        ; implicit-def: $vgpr32
	v_cmpx_lt_u32_e64 v55, v30
	s_cbranch_execz .LBB1963_555
; %bb.554:
	v_lshl_add_u32 v4, v55, 1, v12
	ds_load_u16 v32, v4
.LBB1963_555:
	s_or_b32 exec_lo, exec_lo, s11
	s_or_b32 s7, s7, s10
	s_delay_alu instid0(SALU_CYCLE_1) | instskip(NEXT) | instid1(SALU_CYCLE_1)
	s_xor_b32 s7, s7, -1
	s_and_saveexec_b32 s8, s7
	s_cbranch_execz .LBB1963_565
; %bb.556:
	s_waitcnt lgkmcnt(0)
	v_lshlrev_b32_e32 v4, 16, v32
	s_delay_alu instid0(VALU_DEP_1) | instskip(NEXT) | instid1(VALU_DEP_1)
	v_add_f32_e32 v5, 0, v4
	v_and_b32_e32 v4, 0x7f800000, v5
	s_delay_alu instid0(VALU_DEP_1) | instskip(NEXT) | instid1(VALU_DEP_1)
	v_cmp_ne_u32_e64 s7, 0x7f800000, v4
                                        ; implicit-def: $vgpr4
	s_and_saveexec_b32 s11, s7
	s_delay_alu instid0(SALU_CYCLE_1)
	s_xor_b32 s7, exec_lo, s11
; %bb.557:
	v_bfe_u32 v4, v5, 16, 1
	s_delay_alu instid0(VALU_DEP_1)
	v_add3_u32 v4, v5, v4, 0x7fff
                                        ; implicit-def: $vgpr5
; %bb.558:
	s_and_not1_saveexec_b32 s11, s7
; %bb.559:
	v_and_b32_e32 v4, 0xffff, v5
	v_or_b32_e32 v10, 0x10000, v5
	s_delay_alu instid0(VALU_DEP_2) | instskip(NEXT) | instid1(VALU_DEP_1)
	v_cmp_eq_u32_e64 s7, 0, v4
	v_cndmask_b32_e64 v4, v10, v5, s7
; %bb.560:
	s_or_b32 exec_lo, exec_lo, s11
	v_lshlrev_b32_e32 v5, 16, v31
	s_delay_alu instid0(VALU_DEP_1) | instskip(NEXT) | instid1(VALU_DEP_1)
	v_add_f32_e32 v10, 0, v5
	v_and_b32_e32 v5, 0x7f800000, v10
	s_delay_alu instid0(VALU_DEP_1) | instskip(NEXT) | instid1(VALU_DEP_1)
	v_cmp_ne_u32_e64 s7, 0x7f800000, v5
                                        ; implicit-def: $vgpr5
	s_and_saveexec_b32 s11, s7
	s_delay_alu instid0(SALU_CYCLE_1)
	s_xor_b32 s7, exec_lo, s11
; %bb.561:
	v_bfe_u32 v5, v10, 16, 1
	s_delay_alu instid0(VALU_DEP_1)
	v_add3_u32 v5, v10, v5, 0x7fff
                                        ; implicit-def: $vgpr10
; %bb.562:
	s_and_not1_saveexec_b32 s11, s7
; %bb.563:
	v_and_b32_e32 v5, 0xffff, v10
	v_or_b32_e32 v11, 0x10000, v10
	s_delay_alu instid0(VALU_DEP_2) | instskip(NEXT) | instid1(VALU_DEP_1)
	v_cmp_eq_u32_e64 s7, 0, v5
	v_cndmask_b32_e64 v5, v11, v10, s7
; %bb.564:
	s_or_b32 exec_lo, exec_lo, s11
	v_cmp_lt_i32_e64 s7, -1, v4
	s_delay_alu instid0(VALU_DEP_2) | instskip(SKIP_1) | instid1(VALU_DEP_2)
	v_perm_b32 v4, v5, v4, 0x7060302
	s_and_not1_b32 s10, s10, exec_lo
	v_cndmask_b32_e64 v10, -1, 0xffff8000, s7
	v_cmp_lt_i32_e64 s7, -1, v5
	s_delay_alu instid0(VALU_DEP_1) | instskip(NEXT) | instid1(VALU_DEP_1)
	v_cndmask_b32_e64 v11, -1, 0xffff8000, s7
	v_perm_b32 v5, v11, v10, 0x5040100
	s_delay_alu instid0(VALU_DEP_1) | instskip(NEXT) | instid1(VALU_DEP_1)
	v_xor_b32_e32 v4, v5, v4
	v_lshrrev_b32_e32 v5, 16, v4
	s_delay_alu instid0(VALU_DEP_1) | instskip(NEXT) | instid1(VALU_DEP_1)
	v_cmp_le_u16_e64 s7, v4, v5
	s_and_b32 s7, s7, exec_lo
	s_delay_alu instid0(SALU_CYCLE_1)
	s_or_b32 s10, s10, s7
.LBB1963_565:
	s_or_b32 exec_lo, exec_lo, s8
	v_cndmask_b32_e64 v4, v55, v54, s10
	v_cndmask_b32_e64 v5, v30, v21, s10
	s_mov_b32 s11, -1
	s_mov_b32 s8, -1
	s_mov_b32 s12, exec_lo
	v_add_nc_u32_e32 v10, 1, v4
	v_add_nc_u32_e32 v5, -1, v5
	v_lshl_add_u32 v4, v4, 3, v8
	s_delay_alu instid0(VALU_DEP_3) | instskip(NEXT) | instid1(VALU_DEP_3)
	v_cndmask_b32_e64 v14, v10, v55, s10
	v_min_u32_e32 v5, v10, v5
	v_cndmask_b32_e64 v15, v54, v10, s10
	s_delay_alu instid0(VALU_DEP_2)
	v_lshl_add_u32 v5, v5, 1, v12
	ds_load_u16 v11, v5
	ds_load_b64 v[4:5], v4 offset:4096
	s_waitcnt lgkmcnt(1)
	v_cndmask_b32_e64 v33, v11, v32, s10
	v_cndmask_b32_e64 v38, v31, v11, s10
	v_cmpx_lt_u32_e64 v14, v30
	s_cbranch_execz .LBB1963_577
; %bb.566:
	s_mov_b32 s13, 0
	s_mov_b32 s8, exec_lo
	v_cmpx_lt_u32_e64 v15, v21
	s_cbranch_execz .LBB1963_576
; %bb.567:
	v_lshlrev_b32_e32 v10, 16, v33
	s_delay_alu instid0(VALU_DEP_1) | instskip(NEXT) | instid1(VALU_DEP_1)
	v_add_f32_e32 v11, 0, v10
	v_and_b32_e32 v10, 0x7f800000, v11
	s_delay_alu instid0(VALU_DEP_1) | instskip(NEXT) | instid1(VALU_DEP_1)
	v_cmp_ne_u32_e64 s7, 0x7f800000, v10
                                        ; implicit-def: $vgpr10
	s_and_saveexec_b32 s13, s7
	s_delay_alu instid0(SALU_CYCLE_1)
	s_xor_b32 s7, exec_lo, s13
; %bb.568:
	v_bfe_u32 v10, v11, 16, 1
	s_delay_alu instid0(VALU_DEP_1)
	v_add3_u32 v10, v11, v10, 0x7fff
                                        ; implicit-def: $vgpr11
; %bb.569:
	s_and_not1_saveexec_b32 s13, s7
; %bb.570:
	v_and_b32_e32 v10, 0xffff, v11
	v_or_b32_e32 v16, 0x10000, v11
	s_delay_alu instid0(VALU_DEP_2) | instskip(NEXT) | instid1(VALU_DEP_1)
	v_cmp_eq_u32_e64 s7, 0, v10
	v_cndmask_b32_e64 v10, v16, v11, s7
; %bb.571:
	s_or_b32 exec_lo, exec_lo, s13
	v_lshlrev_b32_e32 v11, 16, v38
	s_delay_alu instid0(VALU_DEP_1) | instskip(NEXT) | instid1(VALU_DEP_1)
	v_add_f32_e32 v16, 0, v11
	v_and_b32_e32 v11, 0x7f800000, v16
	s_delay_alu instid0(VALU_DEP_1) | instskip(NEXT) | instid1(VALU_DEP_1)
	v_cmp_ne_u32_e64 s7, 0x7f800000, v11
                                        ; implicit-def: $vgpr11
	s_and_saveexec_b32 s13, s7
	s_delay_alu instid0(SALU_CYCLE_1)
	s_xor_b32 s7, exec_lo, s13
; %bb.572:
	v_bfe_u32 v11, v16, 16, 1
	s_delay_alu instid0(VALU_DEP_1)
	v_add3_u32 v11, v16, v11, 0x7fff
                                        ; implicit-def: $vgpr16
; %bb.573:
	s_and_not1_saveexec_b32 s13, s7
; %bb.574:
	v_and_b32_e32 v11, 0xffff, v16
	v_or_b32_e32 v17, 0x10000, v16
	s_delay_alu instid0(VALU_DEP_2) | instskip(NEXT) | instid1(VALU_DEP_1)
	v_cmp_eq_u32_e64 s7, 0, v11
	v_cndmask_b32_e64 v11, v17, v16, s7
; %bb.575:
	s_or_b32 exec_lo, exec_lo, s13
	v_cmp_lt_i32_e64 s7, -1, v10
	s_delay_alu instid0(VALU_DEP_2) | instskip(NEXT) | instid1(VALU_DEP_2)
	v_perm_b32 v10, v11, v10, 0x7060302
	v_cndmask_b32_e64 v16, -1, 0xffff8000, s7
	v_cmp_lt_i32_e64 s7, -1, v11
	s_delay_alu instid0(VALU_DEP_1) | instskip(NEXT) | instid1(VALU_DEP_1)
	v_cndmask_b32_e64 v17, -1, 0xffff8000, s7
	v_perm_b32 v11, v17, v16, 0x5040100
	s_delay_alu instid0(VALU_DEP_1) | instskip(NEXT) | instid1(VALU_DEP_1)
	v_xor_b32_e32 v10, v11, v10
	v_lshrrev_b32_e32 v11, 16, v10
	s_delay_alu instid0(VALU_DEP_1) | instskip(NEXT) | instid1(VALU_DEP_1)
	v_cmp_le_u16_e64 s7, v10, v11
	s_and_b32 s13, s7, exec_lo
.LBB1963_576:
	s_or_b32 exec_lo, exec_lo, s8
	s_delay_alu instid0(SALU_CYCLE_1)
	s_or_not1_b32 s8, s13, exec_lo
.LBB1963_577:
	s_or_b32 exec_lo, exec_lo, s12
	v_cndmask_b32_e64 v10, v14, v15, s8
	v_cndmask_b32_e64 v11, v30, v21, s8
	s_mov_b32 s12, exec_lo
	s_delay_alu instid0(VALU_DEP_2) | instskip(NEXT) | instid1(VALU_DEP_2)
	v_add_nc_u32_e32 v16, 1, v10
	v_add_nc_u32_e32 v11, -1, v11
	v_lshl_add_u32 v10, v10, 3, v8
	s_delay_alu instid0(VALU_DEP_3) | instskip(NEXT) | instid1(VALU_DEP_3)
	v_cndmask_b32_e64 v14, v16, v14, s8
	v_min_u32_e32 v11, v16, v11
	v_cndmask_b32_e64 v15, v15, v16, s8
	s_delay_alu instid0(VALU_DEP_2)
	v_lshl_add_u32 v11, v11, 1, v12
	ds_load_u16 v17, v11
	ds_load_b64 v[10:11], v10 offset:4096
	s_waitcnt lgkmcnt(1)
	v_cndmask_b32_e64 v39, v17, v33, s8
	v_cndmask_b32_e64 v49, v38, v17, s8
	v_cmpx_lt_u32_e64 v14, v30
	s_cbranch_execz .LBB1963_589
; %bb.578:
	s_mov_b32 s13, 0
	s_mov_b32 s11, exec_lo
	v_cmpx_lt_u32_e64 v15, v21
	s_cbranch_execz .LBB1963_588
; %bb.579:
	v_lshlrev_b32_e32 v16, 16, v39
	s_delay_alu instid0(VALU_DEP_1) | instskip(NEXT) | instid1(VALU_DEP_1)
	v_add_f32_e32 v17, 0, v16
	v_and_b32_e32 v16, 0x7f800000, v17
	s_delay_alu instid0(VALU_DEP_1) | instskip(NEXT) | instid1(VALU_DEP_1)
	v_cmp_ne_u32_e64 s7, 0x7f800000, v16
                                        ; implicit-def: $vgpr16
	s_and_saveexec_b32 s13, s7
	s_delay_alu instid0(SALU_CYCLE_1)
	s_xor_b32 s7, exec_lo, s13
; %bb.580:
	v_bfe_u32 v16, v17, 16, 1
	s_delay_alu instid0(VALU_DEP_1)
	v_add3_u32 v16, v17, v16, 0x7fff
                                        ; implicit-def: $vgpr17
; %bb.581:
	s_and_not1_saveexec_b32 s13, s7
; %bb.582:
	v_and_b32_e32 v16, 0xffff, v17
	v_or_b32_e32 v18, 0x10000, v17
	s_delay_alu instid0(VALU_DEP_2) | instskip(NEXT) | instid1(VALU_DEP_1)
	v_cmp_eq_u32_e64 s7, 0, v16
	v_cndmask_b32_e64 v16, v18, v17, s7
; %bb.583:
	s_or_b32 exec_lo, exec_lo, s13
	v_lshlrev_b32_e32 v17, 16, v49
	s_delay_alu instid0(VALU_DEP_1) | instskip(NEXT) | instid1(VALU_DEP_1)
	v_add_f32_e32 v18, 0, v17
	v_and_b32_e32 v17, 0x7f800000, v18
	s_delay_alu instid0(VALU_DEP_1) | instskip(NEXT) | instid1(VALU_DEP_1)
	v_cmp_ne_u32_e64 s7, 0x7f800000, v17
                                        ; implicit-def: $vgpr17
	s_and_saveexec_b32 s13, s7
	s_delay_alu instid0(SALU_CYCLE_1)
	s_xor_b32 s7, exec_lo, s13
; %bb.584:
	v_bfe_u32 v17, v18, 16, 1
	s_delay_alu instid0(VALU_DEP_1)
	v_add3_u32 v17, v18, v17, 0x7fff
                                        ; implicit-def: $vgpr18
; %bb.585:
	s_and_not1_saveexec_b32 s13, s7
; %bb.586:
	v_and_b32_e32 v17, 0xffff, v18
	v_or_b32_e32 v19, 0x10000, v18
	s_delay_alu instid0(VALU_DEP_2) | instskip(NEXT) | instid1(VALU_DEP_1)
	v_cmp_eq_u32_e64 s7, 0, v17
	v_cndmask_b32_e64 v17, v19, v18, s7
; %bb.587:
	s_or_b32 exec_lo, exec_lo, s13
	v_cmp_lt_i32_e64 s7, -1, v16
	s_delay_alu instid0(VALU_DEP_2) | instskip(NEXT) | instid1(VALU_DEP_2)
	v_perm_b32 v16, v17, v16, 0x7060302
	v_cndmask_b32_e64 v18, -1, 0xffff8000, s7
	v_cmp_lt_i32_e64 s7, -1, v17
	s_delay_alu instid0(VALU_DEP_1) | instskip(NEXT) | instid1(VALU_DEP_1)
	v_cndmask_b32_e64 v19, -1, 0xffff8000, s7
	v_perm_b32 v17, v19, v18, 0x5040100
	s_delay_alu instid0(VALU_DEP_1) | instskip(NEXT) | instid1(VALU_DEP_1)
	v_xor_b32_e32 v16, v17, v16
	v_lshrrev_b32_e32 v17, 16, v16
	s_delay_alu instid0(VALU_DEP_1) | instskip(NEXT) | instid1(VALU_DEP_1)
	v_cmp_le_u16_e64 s7, v16, v17
	s_and_b32 s13, s7, exec_lo
.LBB1963_588:
	s_or_b32 exec_lo, exec_lo, s11
	s_delay_alu instid0(SALU_CYCLE_1)
	s_or_not1_b32 s11, s13, exec_lo
.LBB1963_589:
	s_or_b32 exec_lo, exec_lo, s12
	v_cndmask_b32_e64 v16, v14, v15, s11
	v_cndmask_b32_e64 v17, v30, v21, s11
	s_mov_b32 s13, -1
	s_mov_b32 s12, -1
	s_mov_b32 s14, exec_lo
	v_add_nc_u32_e32 v18, 1, v16
	v_add_nc_u32_e32 v17, -1, v17
	v_lshl_add_u32 v16, v16, 3, v8
	s_delay_alu instid0(VALU_DEP_2)
	v_min_u32_e32 v17, v18, v17
	ds_load_b64 v[26:27], v16 offset:4096
	v_cndmask_b32_e64 v16, v18, v14, s11
	v_lshl_add_u32 v17, v17, 1, v12
	ds_load_u16 v19, v17
	v_cndmask_b32_e64 v17, v15, v18, s11
	s_waitcnt lgkmcnt(0)
	v_cndmask_b32_e64 v50, v19, v39, s11
	v_cndmask_b32_e64 v53, v49, v19, s11
	v_cmpx_lt_u32_e64 v16, v30
	s_cbranch_execz .LBB1963_601
; %bb.590:
	s_mov_b32 s15, 0
	s_mov_b32 s12, exec_lo
	v_cmpx_lt_u32_e64 v17, v21
	s_cbranch_execz .LBB1963_600
; %bb.591:
	v_lshlrev_b32_e32 v14, 16, v50
	s_delay_alu instid0(VALU_DEP_1) | instskip(NEXT) | instid1(VALU_DEP_1)
	v_add_f32_e32 v15, 0, v14
	v_and_b32_e32 v14, 0x7f800000, v15
	s_delay_alu instid0(VALU_DEP_1) | instskip(NEXT) | instid1(VALU_DEP_1)
	v_cmp_ne_u32_e64 s7, 0x7f800000, v14
                                        ; implicit-def: $vgpr14
	s_and_saveexec_b32 s15, s7
	s_delay_alu instid0(SALU_CYCLE_1)
	s_xor_b32 s7, exec_lo, s15
; %bb.592:
	v_bfe_u32 v14, v15, 16, 1
	s_delay_alu instid0(VALU_DEP_1)
	v_add3_u32 v14, v15, v14, 0x7fff
                                        ; implicit-def: $vgpr15
; %bb.593:
	s_and_not1_saveexec_b32 s15, s7
; %bb.594:
	v_and_b32_e32 v14, 0xffff, v15
	v_or_b32_e32 v18, 0x10000, v15
	s_delay_alu instid0(VALU_DEP_2) | instskip(NEXT) | instid1(VALU_DEP_1)
	v_cmp_eq_u32_e64 s7, 0, v14
	v_cndmask_b32_e64 v14, v18, v15, s7
; %bb.595:
	s_or_b32 exec_lo, exec_lo, s15
	v_lshlrev_b32_e32 v15, 16, v53
	s_delay_alu instid0(VALU_DEP_1) | instskip(NEXT) | instid1(VALU_DEP_1)
	v_add_f32_e32 v18, 0, v15
	v_and_b32_e32 v15, 0x7f800000, v18
	s_delay_alu instid0(VALU_DEP_1) | instskip(NEXT) | instid1(VALU_DEP_1)
	v_cmp_ne_u32_e64 s7, 0x7f800000, v15
                                        ; implicit-def: $vgpr15
	s_and_saveexec_b32 s15, s7
	s_delay_alu instid0(SALU_CYCLE_1)
	s_xor_b32 s7, exec_lo, s15
; %bb.596:
	v_bfe_u32 v15, v18, 16, 1
	s_delay_alu instid0(VALU_DEP_1)
	v_add3_u32 v15, v18, v15, 0x7fff
                                        ; implicit-def: $vgpr18
; %bb.597:
	s_and_not1_saveexec_b32 s15, s7
; %bb.598:
	v_and_b32_e32 v15, 0xffff, v18
	v_or_b32_e32 v19, 0x10000, v18
	s_delay_alu instid0(VALU_DEP_2) | instskip(NEXT) | instid1(VALU_DEP_1)
	v_cmp_eq_u32_e64 s7, 0, v15
	v_cndmask_b32_e64 v15, v19, v18, s7
; %bb.599:
	s_or_b32 exec_lo, exec_lo, s15
	v_cmp_lt_i32_e64 s7, -1, v14
	s_delay_alu instid0(VALU_DEP_2) | instskip(NEXT) | instid1(VALU_DEP_2)
	v_perm_b32 v14, v15, v14, 0x7060302
	v_cndmask_b32_e64 v18, -1, 0xffff8000, s7
	v_cmp_lt_i32_e64 s7, -1, v15
	s_delay_alu instid0(VALU_DEP_1) | instskip(NEXT) | instid1(VALU_DEP_1)
	v_cndmask_b32_e64 v19, -1, 0xffff8000, s7
	v_perm_b32 v15, v19, v18, 0x5040100
	s_delay_alu instid0(VALU_DEP_1) | instskip(NEXT) | instid1(VALU_DEP_1)
	v_xor_b32_e32 v14, v15, v14
	v_lshrrev_b32_e32 v15, 16, v14
	s_delay_alu instid0(VALU_DEP_1) | instskip(NEXT) | instid1(VALU_DEP_1)
	v_cmp_le_u16_e64 s7, v14, v15
	s_and_b32 s15, s7, exec_lo
.LBB1963_600:
	s_or_b32 exec_lo, exec_lo, s12
	s_delay_alu instid0(SALU_CYCLE_1)
	s_or_not1_b32 s12, s15, exec_lo
.LBB1963_601:
	s_or_b32 exec_lo, exec_lo, s14
	v_cndmask_b32_e64 v14, v16, v17, s12
	v_cndmask_b32_e64 v15, v30, v21, s12
	s_mov_b32 s14, exec_lo
	s_delay_alu instid0(VALU_DEP_2) | instskip(NEXT) | instid1(VALU_DEP_2)
	v_add_nc_u32_e32 v18, 1, v14
	v_add_nc_u32_e32 v15, -1, v15
	v_lshl_add_u32 v14, v14, 3, v8
	s_delay_alu instid0(VALU_DEP_3) | instskip(NEXT) | instid1(VALU_DEP_3)
	v_cndmask_b32_e64 v16, v18, v16, s12
	v_min_u32_e32 v15, v18, v15
	v_cndmask_b32_e64 v17, v17, v18, s12
	s_delay_alu instid0(VALU_DEP_2)
	v_lshl_add_u32 v15, v15, 1, v12
	ds_load_u16 v19, v15
	ds_load_b64 v[14:15], v14 offset:4096
	s_waitcnt lgkmcnt(1)
	v_cndmask_b32_e64 v51, v19, v50, s12
	v_cndmask_b32_e64 v54, v53, v19, s12
	v_cmpx_lt_u32_e64 v16, v30
	s_cbranch_execz .LBB1963_613
; %bb.602:
	s_mov_b32 s15, 0
	s_mov_b32 s13, exec_lo
	v_cmpx_lt_u32_e64 v17, v21
	s_cbranch_execz .LBB1963_612
; %bb.603:
	v_lshlrev_b32_e32 v18, 16, v51
	s_delay_alu instid0(VALU_DEP_1) | instskip(NEXT) | instid1(VALU_DEP_1)
	v_add_f32_e32 v19, 0, v18
	v_and_b32_e32 v18, 0x7f800000, v19
	s_delay_alu instid0(VALU_DEP_1) | instskip(NEXT) | instid1(VALU_DEP_1)
	v_cmp_ne_u32_e64 s7, 0x7f800000, v18
                                        ; implicit-def: $vgpr18
	s_and_saveexec_b32 s15, s7
	s_delay_alu instid0(SALU_CYCLE_1)
	s_xor_b32 s7, exec_lo, s15
; %bb.604:
	v_bfe_u32 v18, v19, 16, 1
	s_delay_alu instid0(VALU_DEP_1)
	v_add3_u32 v18, v19, v18, 0x7fff
                                        ; implicit-def: $vgpr19
; %bb.605:
	s_and_not1_saveexec_b32 s15, s7
; %bb.606:
	v_and_b32_e32 v18, 0xffff, v19
	v_or_b32_e32 v22, 0x10000, v19
	s_delay_alu instid0(VALU_DEP_2) | instskip(NEXT) | instid1(VALU_DEP_1)
	v_cmp_eq_u32_e64 s7, 0, v18
	v_cndmask_b32_e64 v18, v22, v19, s7
; %bb.607:
	s_or_b32 exec_lo, exec_lo, s15
	v_lshlrev_b32_e32 v19, 16, v54
	s_delay_alu instid0(VALU_DEP_1) | instskip(NEXT) | instid1(VALU_DEP_1)
	v_add_f32_e32 v22, 0, v19
	v_and_b32_e32 v19, 0x7f800000, v22
	s_delay_alu instid0(VALU_DEP_1) | instskip(NEXT) | instid1(VALU_DEP_1)
	v_cmp_ne_u32_e64 s7, 0x7f800000, v19
                                        ; implicit-def: $vgpr19
	s_and_saveexec_b32 s15, s7
	s_delay_alu instid0(SALU_CYCLE_1)
	s_xor_b32 s7, exec_lo, s15
; %bb.608:
	v_bfe_u32 v19, v22, 16, 1
	s_delay_alu instid0(VALU_DEP_1)
	v_add3_u32 v19, v22, v19, 0x7fff
                                        ; implicit-def: $vgpr22
; %bb.609:
	s_and_not1_saveexec_b32 s15, s7
; %bb.610:
	v_and_b32_e32 v19, 0xffff, v22
	v_or_b32_e32 v23, 0x10000, v22
	s_delay_alu instid0(VALU_DEP_2) | instskip(NEXT) | instid1(VALU_DEP_1)
	v_cmp_eq_u32_e64 s7, 0, v19
	v_cndmask_b32_e64 v19, v23, v22, s7
; %bb.611:
	s_or_b32 exec_lo, exec_lo, s15
	v_cmp_lt_i32_e64 s7, -1, v18
	s_delay_alu instid0(VALU_DEP_2) | instskip(NEXT) | instid1(VALU_DEP_2)
	v_perm_b32 v18, v19, v18, 0x7060302
	v_cndmask_b32_e64 v22, -1, 0xffff8000, s7
	v_cmp_lt_i32_e64 s7, -1, v19
	s_delay_alu instid0(VALU_DEP_1) | instskip(NEXT) | instid1(VALU_DEP_1)
	v_cndmask_b32_e64 v23, -1, 0xffff8000, s7
	v_perm_b32 v19, v23, v22, 0x5040100
	s_delay_alu instid0(VALU_DEP_1) | instskip(NEXT) | instid1(VALU_DEP_1)
	v_xor_b32_e32 v18, v19, v18
	v_lshrrev_b32_e32 v19, 16, v18
	s_delay_alu instid0(VALU_DEP_1) | instskip(NEXT) | instid1(VALU_DEP_1)
	v_cmp_le_u16_e64 s7, v18, v19
	s_and_b32 s15, s7, exec_lo
.LBB1963_612:
	s_or_b32 exec_lo, exec_lo, s13
	s_delay_alu instid0(SALU_CYCLE_1)
	s_or_not1_b32 s13, s15, exec_lo
.LBB1963_613:
	s_or_b32 exec_lo, exec_lo, s14
	v_cndmask_b32_e64 v18, v16, v17, s13
	v_cndmask_b32_e64 v19, v30, v21, s13
	s_mov_b32 s15, -1
	s_mov_b32 s14, -1
	s_mov_b32 s16, exec_lo
	v_add_nc_u32_e32 v22, 1, v18
	v_add_nc_u32_e32 v19, -1, v19
	v_lshl_add_u32 v18, v18, 3, v8
	s_delay_alu instid0(VALU_DEP_3) | instskip(NEXT) | instid1(VALU_DEP_3)
	v_cndmask_b32_e64 v16, v22, v16, s13
	v_min_u32_e32 v19, v22, v19
	v_cndmask_b32_e64 v17, v17, v22, s13
	ds_load_b64 v[28:29], v18 offset:4096
	v_lshl_add_u32 v19, v19, 1, v12
	ds_load_u16 v19, v19
	s_waitcnt lgkmcnt(0)
	v_cndmask_b32_e64 v48, v19, v51, s13
	v_cndmask_b32_e64 v55, v54, v19, s13
	v_cmpx_lt_u32_e64 v16, v30
	s_cbranch_execz .LBB1963_625
; %bb.614:
	s_mov_b32 s17, 0
	s_mov_b32 s14, exec_lo
	v_cmpx_lt_u32_e64 v17, v21
	s_cbranch_execz .LBB1963_624
; %bb.615:
	v_lshlrev_b32_e32 v18, 16, v48
	s_delay_alu instid0(VALU_DEP_1) | instskip(NEXT) | instid1(VALU_DEP_1)
	v_add_f32_e32 v19, 0, v18
	v_and_b32_e32 v18, 0x7f800000, v19
	s_delay_alu instid0(VALU_DEP_1) | instskip(NEXT) | instid1(VALU_DEP_1)
	v_cmp_ne_u32_e64 s7, 0x7f800000, v18
                                        ; implicit-def: $vgpr18
	s_and_saveexec_b32 s17, s7
	s_delay_alu instid0(SALU_CYCLE_1)
	s_xor_b32 s7, exec_lo, s17
; %bb.616:
	v_bfe_u32 v18, v19, 16, 1
	s_delay_alu instid0(VALU_DEP_1)
	v_add3_u32 v18, v19, v18, 0x7fff
                                        ; implicit-def: $vgpr19
; %bb.617:
	s_and_not1_saveexec_b32 s17, s7
; %bb.618:
	v_and_b32_e32 v18, 0xffff, v19
	v_or_b32_e32 v22, 0x10000, v19
	s_delay_alu instid0(VALU_DEP_2) | instskip(NEXT) | instid1(VALU_DEP_1)
	v_cmp_eq_u32_e64 s7, 0, v18
	v_cndmask_b32_e64 v18, v22, v19, s7
; %bb.619:
	s_or_b32 exec_lo, exec_lo, s17
	v_lshlrev_b32_e32 v19, 16, v55
	s_delay_alu instid0(VALU_DEP_1) | instskip(NEXT) | instid1(VALU_DEP_1)
	v_add_f32_e32 v22, 0, v19
	v_and_b32_e32 v19, 0x7f800000, v22
	s_delay_alu instid0(VALU_DEP_1) | instskip(NEXT) | instid1(VALU_DEP_1)
	v_cmp_ne_u32_e64 s7, 0x7f800000, v19
                                        ; implicit-def: $vgpr19
	s_and_saveexec_b32 s17, s7
	s_delay_alu instid0(SALU_CYCLE_1)
	s_xor_b32 s7, exec_lo, s17
; %bb.620:
	v_bfe_u32 v19, v22, 16, 1
	s_delay_alu instid0(VALU_DEP_1)
	v_add3_u32 v19, v22, v19, 0x7fff
                                        ; implicit-def: $vgpr22
; %bb.621:
	s_and_not1_saveexec_b32 s17, s7
; %bb.622:
	v_and_b32_e32 v19, 0xffff, v22
	v_or_b32_e32 v23, 0x10000, v22
	s_delay_alu instid0(VALU_DEP_2) | instskip(NEXT) | instid1(VALU_DEP_1)
	v_cmp_eq_u32_e64 s7, 0, v19
	v_cndmask_b32_e64 v19, v23, v22, s7
; %bb.623:
	s_or_b32 exec_lo, exec_lo, s17
	v_cmp_lt_i32_e64 s7, -1, v18
	s_delay_alu instid0(VALU_DEP_2) | instskip(NEXT) | instid1(VALU_DEP_2)
	v_perm_b32 v18, v19, v18, 0x7060302
	v_cndmask_b32_e64 v22, -1, 0xffff8000, s7
	v_cmp_lt_i32_e64 s7, -1, v19
	s_delay_alu instid0(VALU_DEP_1) | instskip(NEXT) | instid1(VALU_DEP_1)
	v_cndmask_b32_e64 v23, -1, 0xffff8000, s7
	v_perm_b32 v19, v23, v22, 0x5040100
	s_delay_alu instid0(VALU_DEP_1) | instskip(NEXT) | instid1(VALU_DEP_1)
	v_xor_b32_e32 v18, v19, v18
	v_lshrrev_b32_e32 v19, 16, v18
	s_delay_alu instid0(VALU_DEP_1) | instskip(NEXT) | instid1(VALU_DEP_1)
	v_cmp_le_u16_e64 s7, v18, v19
	s_and_b32 s17, s7, exec_lo
.LBB1963_624:
	s_or_b32 exec_lo, exec_lo, s14
	s_delay_alu instid0(SALU_CYCLE_1)
	s_or_not1_b32 s14, s17, exec_lo
.LBB1963_625:
	s_or_b32 exec_lo, exec_lo, s16
	v_cndmask_b32_e64 v18, v16, v17, s14
	v_cndmask_b32_e64 v19, v30, v21, s14
	s_mov_b32 s16, exec_lo
	s_delay_alu instid0(VALU_DEP_2) | instskip(NEXT) | instid1(VALU_DEP_2)
	v_add_nc_u32_e32 v23, 1, v18
	v_add_nc_u32_e32 v19, -1, v19
	v_lshl_add_u32 v18, v18, 3, v8
	s_delay_alu instid0(VALU_DEP_3) | instskip(NEXT) | instid1(VALU_DEP_3)
	v_cndmask_b32_e64 v22, v23, v16, s14
	v_min_u32_e32 v19, v23, v19
	v_cndmask_b32_e64 v23, v17, v23, s14
	s_delay_alu instid0(VALU_DEP_2)
	v_lshl_add_u32 v19, v19, 1, v12
	ds_load_u16 v64, v19
	ds_load_b64 v[18:19], v18 offset:4096
	s_waitcnt lgkmcnt(1)
	v_cndmask_b32_e64 v52, v64, v48, s14
	v_cndmask_b32_e64 v64, v55, v64, s14
	v_cmpx_lt_u32_e64 v22, v30
	s_cbranch_execz .LBB1963_637
; %bb.626:
	s_mov_b32 s17, 0
	s_mov_b32 s15, exec_lo
	v_cmpx_lt_u32_e64 v23, v21
	s_cbranch_execz .LBB1963_636
; %bb.627:
	v_lshlrev_b32_e32 v16, 16, v52
	s_delay_alu instid0(VALU_DEP_1) | instskip(NEXT) | instid1(VALU_DEP_1)
	v_add_f32_e32 v17, 0, v16
	v_and_b32_e32 v16, 0x7f800000, v17
	s_delay_alu instid0(VALU_DEP_1) | instskip(NEXT) | instid1(VALU_DEP_1)
	v_cmp_ne_u32_e64 s7, 0x7f800000, v16
                                        ; implicit-def: $vgpr16
	s_and_saveexec_b32 s17, s7
	s_delay_alu instid0(SALU_CYCLE_1)
	s_xor_b32 s7, exec_lo, s17
; %bb.628:
	v_bfe_u32 v16, v17, 16, 1
	s_delay_alu instid0(VALU_DEP_1)
	v_add3_u32 v16, v17, v16, 0x7fff
                                        ; implicit-def: $vgpr17
; %bb.629:
	s_and_not1_saveexec_b32 s17, s7
; %bb.630:
	v_and_b32_e32 v16, 0xffff, v17
	v_or_b32_e32 v65, 0x10000, v17
	s_delay_alu instid0(VALU_DEP_2) | instskip(NEXT) | instid1(VALU_DEP_1)
	v_cmp_eq_u32_e64 s7, 0, v16
	v_cndmask_b32_e64 v16, v65, v17, s7
; %bb.631:
	s_or_b32 exec_lo, exec_lo, s17
	v_lshlrev_b32_e32 v17, 16, v64
	s_delay_alu instid0(VALU_DEP_1) | instskip(NEXT) | instid1(VALU_DEP_1)
	v_add_f32_e32 v65, 0, v17
	v_and_b32_e32 v17, 0x7f800000, v65
	s_delay_alu instid0(VALU_DEP_1) | instskip(NEXT) | instid1(VALU_DEP_1)
	v_cmp_ne_u32_e64 s7, 0x7f800000, v17
                                        ; implicit-def: $vgpr17
	s_and_saveexec_b32 s17, s7
	s_delay_alu instid0(SALU_CYCLE_1)
	s_xor_b32 s7, exec_lo, s17
; %bb.632:
	v_bfe_u32 v17, v65, 16, 1
	s_delay_alu instid0(VALU_DEP_1)
	v_add3_u32 v17, v65, v17, 0x7fff
                                        ; implicit-def: $vgpr65
; %bb.633:
	s_and_not1_saveexec_b32 s17, s7
; %bb.634:
	v_and_b32_e32 v17, 0xffff, v65
	v_or_b32_e32 v66, 0x10000, v65
	s_delay_alu instid0(VALU_DEP_2) | instskip(NEXT) | instid1(VALU_DEP_1)
	v_cmp_eq_u32_e64 s7, 0, v17
	v_cndmask_b32_e64 v17, v66, v65, s7
; %bb.635:
	s_or_b32 exec_lo, exec_lo, s17
	v_cmp_lt_i32_e64 s7, -1, v16
	s_delay_alu instid0(VALU_DEP_2) | instskip(NEXT) | instid1(VALU_DEP_2)
	v_perm_b32 v16, v17, v16, 0x7060302
	v_cndmask_b32_e64 v65, -1, 0xffff8000, s7
	v_cmp_lt_i32_e64 s7, -1, v17
	s_delay_alu instid0(VALU_DEP_1) | instskip(NEXT) | instid1(VALU_DEP_1)
	v_cndmask_b32_e64 v66, -1, 0xffff8000, s7
	v_perm_b32 v17, v66, v65, 0x5040100
	s_delay_alu instid0(VALU_DEP_1) | instskip(NEXT) | instid1(VALU_DEP_1)
	v_xor_b32_e32 v16, v17, v16
	v_lshrrev_b32_e32 v17, 16, v16
	s_delay_alu instid0(VALU_DEP_1) | instskip(NEXT) | instid1(VALU_DEP_1)
	v_cmp_le_u16_e64 s7, v16, v17
	s_and_b32 s17, s7, exec_lo
.LBB1963_636:
	s_or_b32 exec_lo, exec_lo, s15
	s_delay_alu instid0(SALU_CYCLE_1)
	s_or_not1_b32 s15, s17, exec_lo
.LBB1963_637:
	s_or_b32 exec_lo, exec_lo, s16
	v_cndmask_b32_e64 v16, v22, v23, s15
	v_cndmask_b32_e64 v17, v30, v21, s15
	s_mov_b32 s17, -1
	s_mov_b32 s16, exec_lo
	s_delay_alu instid0(VALU_DEP_2) | instskip(NEXT) | instid1(VALU_DEP_2)
	v_add_nc_u32_e32 v65, 1, v16
	v_add_nc_u32_e32 v17, -1, v17
	v_lshl_add_u32 v16, v16, 3, v8
	s_delay_alu instid0(VALU_DEP_3) | instskip(NEXT) | instid1(VALU_DEP_3)
	v_cndmask_b32_e64 v22, v65, v22, s15
	v_min_u32_e32 v17, v65, v17
	v_cndmask_b32_e64 v23, v23, v65, s15
	s_delay_alu instid0(VALU_DEP_2)
	v_lshl_add_u32 v17, v17, 1, v12
	ds_load_u16 v66, v17
	ds_load_b64 v[16:17], v16 offset:4096
	s_waitcnt lgkmcnt(1)
	v_cndmask_b32_e64 v65, v66, v52, s15
	v_cndmask_b32_e64 v66, v64, v66, s15
	v_cmpx_lt_u32_e64 v22, v30
	s_cbranch_execz .LBB1963_649
; %bb.638:
	s_mov_b32 s18, 0
	s_mov_b32 s17, exec_lo
	v_cmpx_lt_u32_e64 v23, v21
	s_cbranch_execz .LBB1963_648
; %bb.639:
	v_lshlrev_b32_e32 v21, 16, v65
	s_delay_alu instid0(VALU_DEP_1) | instskip(NEXT) | instid1(VALU_DEP_1)
	v_add_f32_e32 v30, 0, v21
	v_and_b32_e32 v21, 0x7f800000, v30
	s_delay_alu instid0(VALU_DEP_1) | instskip(NEXT) | instid1(VALU_DEP_1)
	v_cmp_ne_u32_e64 s7, 0x7f800000, v21
                                        ; implicit-def: $vgpr21
	s_and_saveexec_b32 s18, s7
	s_delay_alu instid0(SALU_CYCLE_1)
	s_xor_b32 s7, exec_lo, s18
; %bb.640:
	v_bfe_u32 v21, v30, 16, 1
	s_delay_alu instid0(VALU_DEP_1)
	v_add3_u32 v21, v30, v21, 0x7fff
                                        ; implicit-def: $vgpr30
; %bb.641:
	s_and_not1_saveexec_b32 s18, s7
; %bb.642:
	v_and_b32_e32 v21, 0xffff, v30
	v_or_b32_e32 v67, 0x10000, v30
	s_delay_alu instid0(VALU_DEP_2) | instskip(NEXT) | instid1(VALU_DEP_1)
	v_cmp_eq_u32_e64 s7, 0, v21
	v_cndmask_b32_e64 v21, v67, v30, s7
; %bb.643:
	s_or_b32 exec_lo, exec_lo, s18
	v_lshlrev_b32_e32 v30, 16, v66
	s_delay_alu instid0(VALU_DEP_1) | instskip(NEXT) | instid1(VALU_DEP_1)
	v_add_f32_e32 v67, 0, v30
	v_and_b32_e32 v30, 0x7f800000, v67
	s_delay_alu instid0(VALU_DEP_1) | instskip(NEXT) | instid1(VALU_DEP_1)
	v_cmp_ne_u32_e64 s7, 0x7f800000, v30
                                        ; implicit-def: $vgpr30
	s_and_saveexec_b32 s18, s7
	s_delay_alu instid0(SALU_CYCLE_1)
	s_xor_b32 s7, exec_lo, s18
; %bb.644:
	v_bfe_u32 v30, v67, 16, 1
	s_delay_alu instid0(VALU_DEP_1)
	v_add3_u32 v30, v67, v30, 0x7fff
                                        ; implicit-def: $vgpr67
; %bb.645:
	s_and_not1_saveexec_b32 s18, s7
; %bb.646:
	v_and_b32_e32 v30, 0xffff, v67
	v_or_b32_e32 v68, 0x10000, v67
	s_delay_alu instid0(VALU_DEP_2) | instskip(NEXT) | instid1(VALU_DEP_1)
	v_cmp_eq_u32_e64 s7, 0, v30
	v_cndmask_b32_e64 v30, v68, v67, s7
; %bb.647:
	s_or_b32 exec_lo, exec_lo, s18
	v_cmp_lt_i32_e64 s7, -1, v21
	s_delay_alu instid0(VALU_DEP_2) | instskip(NEXT) | instid1(VALU_DEP_2)
	v_perm_b32 v21, v30, v21, 0x7060302
	v_cndmask_b32_e64 v67, -1, 0xffff8000, s7
	v_cmp_lt_i32_e64 s7, -1, v30
	s_delay_alu instid0(VALU_DEP_1) | instskip(NEXT) | instid1(VALU_DEP_1)
	v_cndmask_b32_e64 v68, -1, 0xffff8000, s7
	v_perm_b32 v30, v68, v67, 0x5040100
	s_delay_alu instid0(VALU_DEP_1) | instskip(NEXT) | instid1(VALU_DEP_1)
	v_xor_b32_e32 v21, v30, v21
	v_lshrrev_b32_e32 v30, 16, v21
	s_delay_alu instid0(VALU_DEP_1) | instskip(NEXT) | instid1(VALU_DEP_1)
	v_cmp_le_u16_e64 s7, v21, v30
	s_and_b32 s18, s7, exec_lo
.LBB1963_648:
	s_or_b32 exec_lo, exec_lo, s17
	s_delay_alu instid0(SALU_CYCLE_1)
	s_or_not1_b32 s17, s18, exec_lo
.LBB1963_649:
	s_or_b32 exec_lo, exec_lo, s16
	v_cndmask_b32_e64 v21, v22, v23, s17
	v_cndmask_b32_e64 v52, v52, v64, s15
	;; [unrolled: 1-line block ×5, first 2 shown]
	v_lshl_add_u32 v21, v21, 3, v8
	v_cndmask_b32_e64 v50, v39, v49, s11
	v_cndmask_b32_e64 v49, v33, v38, s8
	;; [unrolled: 1-line block ×4, first 2 shown]
	ds_load_b64 v[22:23], v21 offset:4096
.LBB1963_650:
	s_or_b32 exec_lo, exec_lo, s9
	v_and_b32_e32 v32, 0x80, v37
	v_min_u32_e32 v33, v13, v36
	v_perm_b32 v55, v39, v52, 0x5040100
	v_perm_b32 v54, v48, v51, 0x5040100
	;; [unrolled: 1-line block ×3, first 2 shown]
	v_or_b32_e32 v21, 64, v32
	v_perm_b32 v64, v49, v38, 0x5040100
	s_mov_b32 s8, exec_lo
	; wave barrier
	s_delay_alu instid0(VALU_DEP_2)
	v_min_u32_e32 v21, v13, v21
	ds_store_2addr_b64 v20, v[26:27], v[14:15] offset0:2 offset1:3
	ds_store_2addr_b64 v20, v[28:29], v[18:19] offset0:4 offset1:5
	ds_store_2addr_b64 v20, v[4:5], v[10:11] offset1:1
	ds_store_2addr_b64 v9, v[64:65], v[54:55] offset1:1
	s_waitcnt lgkmcnt(4)
	ds_store_2addr_b64 v20, v[16:17], v[22:23] offset0:6 offset1:7
	; wave barrier
	v_add_nc_u32_e32 v30, 64, v21
	s_delay_alu instid0(VALU_DEP_1) | instskip(SKIP_1) | instid1(VALU_DEP_2)
	v_min_u32_e32 v30, v13, v30
	v_sub_nc_u32_e32 v13, v21, v32
	v_sub_nc_u32_e32 v31, v30, v21
	s_delay_alu instid0(VALU_DEP_2) | instskip(NEXT) | instid1(VALU_DEP_2)
	v_min_u32_e32 v36, v33, v13
	v_sub_nc_u32_e64 v13, v33, v31 clamp
	v_lshl_add_u32 v31, v32, 1, v12
	s_delay_alu instid0(VALU_DEP_2)
	v_cmpx_lt_u32_e64 v13, v36
	s_cbranch_execz .LBB1963_662
; %bb.651:
	v_lshlrev_b32_e32 v9, 1, v21
	v_lshlrev_b32_e32 v20, 1, v33
	s_mov_b32 s9, 0
	s_delay_alu instid0(VALU_DEP_1)
	v_add3_u32 v9, v12, v9, v20
	s_branch .LBB1963_653
.LBB1963_652:                           ;   in Loop: Header=BB1963_653 Depth=1
	s_or_b32 exec_lo, exec_lo, s10
	v_cmp_lt_i32_e64 s7, -1, v37
	v_lshrrev_b32_e32 v55, 16, v37
	v_lshrrev_b32_e32 v64, 16, v54
	s_delay_alu instid0(VALU_DEP_3) | instskip(SKIP_1) | instid1(VALU_DEP_2)
	v_cndmask_b32_e64 v37, -1, 0xffff8000, s7
	v_cmp_lt_i32_e64 s7, -1, v54
	v_xor_b32_e32 v37, v37, v55
	s_delay_alu instid0(VALU_DEP_2) | instskip(SKIP_1) | instid1(VALU_DEP_2)
	v_cndmask_b32_e64 v54, -1, 0xffff8000, s7
	v_add_nc_u32_e32 v55, 1, v20
	v_xor_b32_e32 v54, v54, v64
	s_delay_alu instid0(VALU_DEP_1) | instskip(NEXT) | instid1(VALU_DEP_1)
	v_cmp_gt_u16_e64 s7, v37, v54
	v_cndmask_b32_e64 v36, v36, v20, s7
	s_delay_alu instid0(VALU_DEP_4) | instskip(NEXT) | instid1(VALU_DEP_1)
	v_cndmask_b32_e64 v13, v55, v13, s7
	v_cmp_ge_u32_e64 s7, v13, v36
	s_delay_alu instid0(VALU_DEP_1) | instskip(NEXT) | instid1(SALU_CYCLE_1)
	s_or_b32 s9, s7, s9
	s_and_not1_b32 exec_lo, exec_lo, s9
	s_cbranch_execz .LBB1963_661
.LBB1963_653:                           ; =>This Inner Loop Header: Depth=1
	v_add_nc_u32_e32 v37, v36, v13
	s_delay_alu instid0(VALU_DEP_1) | instskip(SKIP_1) | instid1(VALU_DEP_2)
	v_lshrrev_b32_e32 v20, 1, v37
	v_and_b32_e32 v37, -2, v37
	v_not_b32_e32 v54, v20
	s_delay_alu instid0(VALU_DEP_2) | instskip(NEXT) | instid1(VALU_DEP_2)
	v_add_nc_u32_e32 v37, v31, v37
	v_lshl_add_u32 v54, v54, 1, v9
	ds_load_u16 v55, v54
	ds_load_u16 v54, v37
	s_waitcnt lgkmcnt(1)
	v_lshlrev_b32_e32 v37, 16, v55
	s_delay_alu instid0(VALU_DEP_1) | instskip(NEXT) | instid1(VALU_DEP_1)
	v_add_f32_e32 v55, 0, v37
	v_and_b32_e32 v37, 0x7f800000, v55
	s_delay_alu instid0(VALU_DEP_1) | instskip(NEXT) | instid1(VALU_DEP_1)
	v_cmp_ne_u32_e64 s7, 0x7f800000, v37
                                        ; implicit-def: $vgpr37
	s_and_saveexec_b32 s10, s7
	s_delay_alu instid0(SALU_CYCLE_1)
	s_xor_b32 s7, exec_lo, s10
; %bb.654:                              ;   in Loop: Header=BB1963_653 Depth=1
	v_bfe_u32 v37, v55, 16, 1
	s_delay_alu instid0(VALU_DEP_1)
	v_add3_u32 v37, v55, v37, 0x7fff
                                        ; implicit-def: $vgpr55
; %bb.655:                              ;   in Loop: Header=BB1963_653 Depth=1
	s_and_not1_saveexec_b32 s10, s7
; %bb.656:                              ;   in Loop: Header=BB1963_653 Depth=1
	v_and_b32_e32 v37, 0xffff, v55
	v_or_b32_e32 v64, 0x10000, v55
	s_delay_alu instid0(VALU_DEP_2) | instskip(NEXT) | instid1(VALU_DEP_1)
	v_cmp_eq_u32_e64 s7, 0, v37
	v_cndmask_b32_e64 v37, v64, v55, s7
; %bb.657:                              ;   in Loop: Header=BB1963_653 Depth=1
	s_or_b32 exec_lo, exec_lo, s10
	s_waitcnt lgkmcnt(0)
	v_lshlrev_b32_e32 v54, 16, v54
	s_delay_alu instid0(VALU_DEP_1) | instskip(NEXT) | instid1(VALU_DEP_1)
	v_add_f32_e32 v55, 0, v54
	v_and_b32_e32 v54, 0x7f800000, v55
	s_delay_alu instid0(VALU_DEP_1) | instskip(NEXT) | instid1(VALU_DEP_1)
	v_cmp_ne_u32_e64 s7, 0x7f800000, v54
                                        ; implicit-def: $vgpr54
	s_and_saveexec_b32 s10, s7
	s_delay_alu instid0(SALU_CYCLE_1)
	s_xor_b32 s7, exec_lo, s10
; %bb.658:                              ;   in Loop: Header=BB1963_653 Depth=1
	v_bfe_u32 v54, v55, 16, 1
	s_delay_alu instid0(VALU_DEP_1)
	v_add3_u32 v54, v55, v54, 0x7fff
                                        ; implicit-def: $vgpr55
; %bb.659:                              ;   in Loop: Header=BB1963_653 Depth=1
	s_and_not1_saveexec_b32 s10, s7
	s_cbranch_execz .LBB1963_652
; %bb.660:                              ;   in Loop: Header=BB1963_653 Depth=1
	v_and_b32_e32 v54, 0xffff, v55
	v_or_b32_e32 v64, 0x10000, v55
	s_delay_alu instid0(VALU_DEP_2) | instskip(NEXT) | instid1(VALU_DEP_1)
	v_cmp_eq_u32_e64 s7, 0, v54
	v_cndmask_b32_e64 v54, v64, v55, s7
	s_branch .LBB1963_652
.LBB1963_661:
	s_or_b32 exec_lo, exec_lo, s9
.LBB1963_662:
	s_delay_alu instid0(SALU_CYCLE_1) | instskip(SKIP_2) | instid1(VALU_DEP_2)
	s_or_b32 exec_lo, exec_lo, s8
	v_add_nc_u32_e32 v9, v21, v33
	v_add_nc_u32_e32 v20, v13, v32
	v_sub_nc_u32_e32 v32, v9, v13
	s_delay_alu instid0(VALU_DEP_2) | instskip(NEXT) | instid1(VALU_DEP_2)
	v_cmp_le_u32_e64 s7, v20, v21
	v_cmp_le_u32_e64 s8, v32, v30
	s_delay_alu instid0(VALU_DEP_1) | instskip(NEXT) | instid1(SALU_CYCLE_1)
	s_or_b32 s7, s7, s8
	s_and_saveexec_b32 s9, s7
	s_cbranch_execz .LBB1963_762
; %bb.663:
	v_cmp_ge_u32_e64 s7, v20, v21
	s_mov_b32 s10, exec_lo
                                        ; implicit-def: $vgpr9
	v_cmpx_lt_u32_e64 v20, v21
	s_cbranch_execz .LBB1963_665
; %bb.664:
	v_lshl_add_u32 v4, v13, 1, v31
	ds_load_u16 v9, v4
.LBB1963_665:
	s_or_b32 exec_lo, exec_lo, s10
	v_cmp_ge_u32_e64 s10, v32, v30
	s_mov_b32 s11, exec_lo
                                        ; implicit-def: $vgpr13
	v_cmpx_lt_u32_e64 v32, v30
	s_cbranch_execz .LBB1963_667
; %bb.666:
	v_lshl_add_u32 v4, v32, 1, v12
	ds_load_u16 v13, v4
.LBB1963_667:
	s_or_b32 exec_lo, exec_lo, s11
	s_or_b32 s7, s7, s10
	s_delay_alu instid0(SALU_CYCLE_1) | instskip(NEXT) | instid1(SALU_CYCLE_1)
	s_xor_b32 s7, s7, -1
	s_and_saveexec_b32 s8, s7
	s_cbranch_execz .LBB1963_677
; %bb.668:
	s_waitcnt lgkmcnt(0)
	v_lshlrev_b32_e32 v4, 16, v13
	s_delay_alu instid0(VALU_DEP_1) | instskip(NEXT) | instid1(VALU_DEP_1)
	v_add_f32_e32 v5, 0, v4
	v_and_b32_e32 v4, 0x7f800000, v5
	s_delay_alu instid0(VALU_DEP_1) | instskip(NEXT) | instid1(VALU_DEP_1)
	v_cmp_ne_u32_e64 s7, 0x7f800000, v4
                                        ; implicit-def: $vgpr4
	s_and_saveexec_b32 s11, s7
	s_delay_alu instid0(SALU_CYCLE_1)
	s_xor_b32 s7, exec_lo, s11
; %bb.669:
	v_bfe_u32 v4, v5, 16, 1
	s_delay_alu instid0(VALU_DEP_1)
	v_add3_u32 v4, v5, v4, 0x7fff
                                        ; implicit-def: $vgpr5
; %bb.670:
	s_and_not1_saveexec_b32 s11, s7
; %bb.671:
	v_and_b32_e32 v4, 0xffff, v5
	v_or_b32_e32 v10, 0x10000, v5
	s_delay_alu instid0(VALU_DEP_2) | instskip(NEXT) | instid1(VALU_DEP_1)
	v_cmp_eq_u32_e64 s7, 0, v4
	v_cndmask_b32_e64 v4, v10, v5, s7
; %bb.672:
	s_or_b32 exec_lo, exec_lo, s11
	v_lshlrev_b32_e32 v5, 16, v9
	s_delay_alu instid0(VALU_DEP_1) | instskip(NEXT) | instid1(VALU_DEP_1)
	v_add_f32_e32 v10, 0, v5
	v_and_b32_e32 v5, 0x7f800000, v10
	s_delay_alu instid0(VALU_DEP_1) | instskip(NEXT) | instid1(VALU_DEP_1)
	v_cmp_ne_u32_e64 s7, 0x7f800000, v5
                                        ; implicit-def: $vgpr5
	s_and_saveexec_b32 s11, s7
	s_delay_alu instid0(SALU_CYCLE_1)
	s_xor_b32 s7, exec_lo, s11
; %bb.673:
	v_bfe_u32 v5, v10, 16, 1
	s_delay_alu instid0(VALU_DEP_1)
	v_add3_u32 v5, v10, v5, 0x7fff
                                        ; implicit-def: $vgpr10
; %bb.674:
	s_and_not1_saveexec_b32 s11, s7
; %bb.675:
	v_and_b32_e32 v5, 0xffff, v10
	v_or_b32_e32 v11, 0x10000, v10
	s_delay_alu instid0(VALU_DEP_2) | instskip(NEXT) | instid1(VALU_DEP_1)
	v_cmp_eq_u32_e64 s7, 0, v5
	v_cndmask_b32_e64 v5, v11, v10, s7
; %bb.676:
	s_or_b32 exec_lo, exec_lo, s11
	v_cmp_lt_i32_e64 s7, -1, v4
	s_delay_alu instid0(VALU_DEP_2) | instskip(SKIP_1) | instid1(VALU_DEP_2)
	v_perm_b32 v4, v5, v4, 0x7060302
	s_and_not1_b32 s10, s10, exec_lo
	v_cndmask_b32_e64 v10, -1, 0xffff8000, s7
	v_cmp_lt_i32_e64 s7, -1, v5
	s_delay_alu instid0(VALU_DEP_1) | instskip(NEXT) | instid1(VALU_DEP_1)
	v_cndmask_b32_e64 v11, -1, 0xffff8000, s7
	v_perm_b32 v5, v11, v10, 0x5040100
	s_delay_alu instid0(VALU_DEP_1) | instskip(NEXT) | instid1(VALU_DEP_1)
	v_xor_b32_e32 v4, v5, v4
	v_lshrrev_b32_e32 v5, 16, v4
	s_delay_alu instid0(VALU_DEP_1) | instskip(NEXT) | instid1(VALU_DEP_1)
	v_cmp_le_u16_e64 s7, v4, v5
	s_and_b32 s7, s7, exec_lo
	s_delay_alu instid0(SALU_CYCLE_1)
	s_or_b32 s10, s10, s7
.LBB1963_677:
	s_or_b32 exec_lo, exec_lo, s8
	v_cndmask_b32_e64 v4, v32, v20, s10
	v_cndmask_b32_e64 v5, v30, v21, s10
	s_mov_b32 s11, -1
	s_mov_b32 s8, -1
	s_mov_b32 s12, exec_lo
	v_add_nc_u32_e32 v10, 1, v4
	v_add_nc_u32_e32 v5, -1, v5
	v_lshl_add_u32 v4, v4, 3, v8
	s_delay_alu instid0(VALU_DEP_3) | instskip(NEXT) | instid1(VALU_DEP_3)
	v_cndmask_b32_e64 v14, v10, v32, s10
	v_min_u32_e32 v5, v10, v5
	v_cndmask_b32_e64 v15, v20, v10, s10
	s_delay_alu instid0(VALU_DEP_2)
	v_lshl_add_u32 v5, v5, 1, v12
	ds_load_u16 v11, v5
	ds_load_b64 v[4:5], v4 offset:4096
	s_waitcnt lgkmcnt(1)
	v_cndmask_b32_e64 v20, v11, v13, s10
	v_cndmask_b32_e64 v31, v9, v11, s10
	v_cmpx_lt_u32_e64 v14, v30
	s_cbranch_execz .LBB1963_689
; %bb.678:
	s_mov_b32 s13, 0
	s_mov_b32 s8, exec_lo
	v_cmpx_lt_u32_e64 v15, v21
	s_cbranch_execz .LBB1963_688
; %bb.679:
	v_lshlrev_b32_e32 v10, 16, v20
	s_delay_alu instid0(VALU_DEP_1) | instskip(NEXT) | instid1(VALU_DEP_1)
	v_add_f32_e32 v11, 0, v10
	v_and_b32_e32 v10, 0x7f800000, v11
	s_delay_alu instid0(VALU_DEP_1) | instskip(NEXT) | instid1(VALU_DEP_1)
	v_cmp_ne_u32_e64 s7, 0x7f800000, v10
                                        ; implicit-def: $vgpr10
	s_and_saveexec_b32 s13, s7
	s_delay_alu instid0(SALU_CYCLE_1)
	s_xor_b32 s7, exec_lo, s13
; %bb.680:
	v_bfe_u32 v10, v11, 16, 1
	s_delay_alu instid0(VALU_DEP_1)
	v_add3_u32 v10, v11, v10, 0x7fff
                                        ; implicit-def: $vgpr11
; %bb.681:
	s_and_not1_saveexec_b32 s13, s7
; %bb.682:
	v_and_b32_e32 v10, 0xffff, v11
	v_or_b32_e32 v16, 0x10000, v11
	s_delay_alu instid0(VALU_DEP_2) | instskip(NEXT) | instid1(VALU_DEP_1)
	v_cmp_eq_u32_e64 s7, 0, v10
	v_cndmask_b32_e64 v10, v16, v11, s7
; %bb.683:
	s_or_b32 exec_lo, exec_lo, s13
	v_lshlrev_b32_e32 v11, 16, v31
	s_delay_alu instid0(VALU_DEP_1) | instskip(NEXT) | instid1(VALU_DEP_1)
	v_add_f32_e32 v16, 0, v11
	v_and_b32_e32 v11, 0x7f800000, v16
	s_delay_alu instid0(VALU_DEP_1) | instskip(NEXT) | instid1(VALU_DEP_1)
	v_cmp_ne_u32_e64 s7, 0x7f800000, v11
                                        ; implicit-def: $vgpr11
	s_and_saveexec_b32 s13, s7
	s_delay_alu instid0(SALU_CYCLE_1)
	s_xor_b32 s7, exec_lo, s13
; %bb.684:
	v_bfe_u32 v11, v16, 16, 1
	s_delay_alu instid0(VALU_DEP_1)
	v_add3_u32 v11, v16, v11, 0x7fff
                                        ; implicit-def: $vgpr16
; %bb.685:
	s_and_not1_saveexec_b32 s13, s7
; %bb.686:
	v_and_b32_e32 v11, 0xffff, v16
	v_or_b32_e32 v17, 0x10000, v16
	s_delay_alu instid0(VALU_DEP_2) | instskip(NEXT) | instid1(VALU_DEP_1)
	v_cmp_eq_u32_e64 s7, 0, v11
	v_cndmask_b32_e64 v11, v17, v16, s7
; %bb.687:
	s_or_b32 exec_lo, exec_lo, s13
	v_cmp_lt_i32_e64 s7, -1, v10
	s_delay_alu instid0(VALU_DEP_2) | instskip(NEXT) | instid1(VALU_DEP_2)
	v_perm_b32 v10, v11, v10, 0x7060302
	v_cndmask_b32_e64 v16, -1, 0xffff8000, s7
	v_cmp_lt_i32_e64 s7, -1, v11
	s_delay_alu instid0(VALU_DEP_1) | instskip(NEXT) | instid1(VALU_DEP_1)
	v_cndmask_b32_e64 v17, -1, 0xffff8000, s7
	v_perm_b32 v11, v17, v16, 0x5040100
	s_delay_alu instid0(VALU_DEP_1) | instskip(NEXT) | instid1(VALU_DEP_1)
	v_xor_b32_e32 v10, v11, v10
	v_lshrrev_b32_e32 v11, 16, v10
	s_delay_alu instid0(VALU_DEP_1) | instskip(NEXT) | instid1(VALU_DEP_1)
	v_cmp_le_u16_e64 s7, v10, v11
	s_and_b32 s13, s7, exec_lo
.LBB1963_688:
	s_or_b32 exec_lo, exec_lo, s8
	s_delay_alu instid0(SALU_CYCLE_1)
	s_or_not1_b32 s8, s13, exec_lo
.LBB1963_689:
	s_or_b32 exec_lo, exec_lo, s12
	v_cndmask_b32_e64 v10, v14, v15, s8
	v_cndmask_b32_e64 v11, v30, v21, s8
	s_mov_b32 s12, exec_lo
	s_delay_alu instid0(VALU_DEP_2) | instskip(NEXT) | instid1(VALU_DEP_2)
	v_add_nc_u32_e32 v16, 1, v10
	v_add_nc_u32_e32 v11, -1, v11
	v_lshl_add_u32 v10, v10, 3, v8
	s_delay_alu instid0(VALU_DEP_3) | instskip(NEXT) | instid1(VALU_DEP_3)
	v_cndmask_b32_e64 v14, v16, v14, s8
	v_min_u32_e32 v11, v16, v11
	v_cndmask_b32_e64 v15, v15, v16, s8
	s_delay_alu instid0(VALU_DEP_2)
	v_lshl_add_u32 v11, v11, 1, v12
	ds_load_u16 v17, v11
	ds_load_b64 v[10:11], v10 offset:4096
	s_waitcnt lgkmcnt(1)
	v_cndmask_b32_e64 v32, v17, v20, s8
	v_cndmask_b32_e64 v33, v31, v17, s8
	v_cmpx_lt_u32_e64 v14, v30
	s_cbranch_execz .LBB1963_701
; %bb.690:
	s_mov_b32 s13, 0
	s_mov_b32 s11, exec_lo
	v_cmpx_lt_u32_e64 v15, v21
	s_cbranch_execz .LBB1963_700
; %bb.691:
	v_lshlrev_b32_e32 v16, 16, v32
	s_delay_alu instid0(VALU_DEP_1) | instskip(NEXT) | instid1(VALU_DEP_1)
	v_add_f32_e32 v17, 0, v16
	v_and_b32_e32 v16, 0x7f800000, v17
	s_delay_alu instid0(VALU_DEP_1) | instskip(NEXT) | instid1(VALU_DEP_1)
	v_cmp_ne_u32_e64 s7, 0x7f800000, v16
                                        ; implicit-def: $vgpr16
	s_and_saveexec_b32 s13, s7
	s_delay_alu instid0(SALU_CYCLE_1)
	s_xor_b32 s7, exec_lo, s13
; %bb.692:
	v_bfe_u32 v16, v17, 16, 1
	s_delay_alu instid0(VALU_DEP_1)
	v_add3_u32 v16, v17, v16, 0x7fff
                                        ; implicit-def: $vgpr17
; %bb.693:
	s_and_not1_saveexec_b32 s13, s7
; %bb.694:
	v_and_b32_e32 v16, 0xffff, v17
	v_or_b32_e32 v18, 0x10000, v17
	s_delay_alu instid0(VALU_DEP_2) | instskip(NEXT) | instid1(VALU_DEP_1)
	v_cmp_eq_u32_e64 s7, 0, v16
	v_cndmask_b32_e64 v16, v18, v17, s7
; %bb.695:
	s_or_b32 exec_lo, exec_lo, s13
	v_lshlrev_b32_e32 v17, 16, v33
	s_delay_alu instid0(VALU_DEP_1) | instskip(NEXT) | instid1(VALU_DEP_1)
	v_add_f32_e32 v18, 0, v17
	v_and_b32_e32 v17, 0x7f800000, v18
	s_delay_alu instid0(VALU_DEP_1) | instskip(NEXT) | instid1(VALU_DEP_1)
	v_cmp_ne_u32_e64 s7, 0x7f800000, v17
                                        ; implicit-def: $vgpr17
	s_and_saveexec_b32 s13, s7
	s_delay_alu instid0(SALU_CYCLE_1)
	s_xor_b32 s7, exec_lo, s13
; %bb.696:
	v_bfe_u32 v17, v18, 16, 1
	s_delay_alu instid0(VALU_DEP_1)
	v_add3_u32 v17, v18, v17, 0x7fff
                                        ; implicit-def: $vgpr18
; %bb.697:
	s_and_not1_saveexec_b32 s13, s7
; %bb.698:
	v_and_b32_e32 v17, 0xffff, v18
	v_or_b32_e32 v19, 0x10000, v18
	s_delay_alu instid0(VALU_DEP_2) | instskip(NEXT) | instid1(VALU_DEP_1)
	v_cmp_eq_u32_e64 s7, 0, v17
	v_cndmask_b32_e64 v17, v19, v18, s7
; %bb.699:
	s_or_b32 exec_lo, exec_lo, s13
	v_cmp_lt_i32_e64 s7, -1, v16
	s_delay_alu instid0(VALU_DEP_2) | instskip(NEXT) | instid1(VALU_DEP_2)
	v_perm_b32 v16, v17, v16, 0x7060302
	v_cndmask_b32_e64 v18, -1, 0xffff8000, s7
	v_cmp_lt_i32_e64 s7, -1, v17
	s_delay_alu instid0(VALU_DEP_1) | instskip(NEXT) | instid1(VALU_DEP_1)
	v_cndmask_b32_e64 v19, -1, 0xffff8000, s7
	v_perm_b32 v17, v19, v18, 0x5040100
	s_delay_alu instid0(VALU_DEP_1) | instskip(NEXT) | instid1(VALU_DEP_1)
	v_xor_b32_e32 v16, v17, v16
	v_lshrrev_b32_e32 v17, 16, v16
	s_delay_alu instid0(VALU_DEP_1) | instskip(NEXT) | instid1(VALU_DEP_1)
	v_cmp_le_u16_e64 s7, v16, v17
	s_and_b32 s13, s7, exec_lo
.LBB1963_700:
	s_or_b32 exec_lo, exec_lo, s11
	s_delay_alu instid0(SALU_CYCLE_1)
	s_or_not1_b32 s11, s13, exec_lo
.LBB1963_701:
	s_or_b32 exec_lo, exec_lo, s12
	v_cndmask_b32_e64 v16, v14, v15, s11
	v_cndmask_b32_e64 v17, v30, v21, s11
	s_mov_b32 s13, -1
	s_mov_b32 s12, -1
	s_mov_b32 s14, exec_lo
	v_add_nc_u32_e32 v18, 1, v16
	v_add_nc_u32_e32 v17, -1, v17
	v_lshl_add_u32 v16, v16, 3, v8
	s_delay_alu instid0(VALU_DEP_2)
	v_min_u32_e32 v17, v18, v17
	ds_load_b64 v[26:27], v16 offset:4096
	v_cndmask_b32_e64 v16, v18, v14, s11
	v_lshl_add_u32 v17, v17, 1, v12
	ds_load_u16 v19, v17
	v_cndmask_b32_e64 v17, v15, v18, s11
	s_waitcnt lgkmcnt(0)
	v_cndmask_b32_e64 v36, v19, v32, s11
	v_cndmask_b32_e64 v37, v33, v19, s11
	v_cmpx_lt_u32_e64 v16, v30
	s_cbranch_execz .LBB1963_713
; %bb.702:
	s_mov_b32 s15, 0
	s_mov_b32 s12, exec_lo
	v_cmpx_lt_u32_e64 v17, v21
	s_cbranch_execz .LBB1963_712
; %bb.703:
	v_lshlrev_b32_e32 v14, 16, v36
	s_delay_alu instid0(VALU_DEP_1) | instskip(NEXT) | instid1(VALU_DEP_1)
	v_add_f32_e32 v15, 0, v14
	v_and_b32_e32 v14, 0x7f800000, v15
	s_delay_alu instid0(VALU_DEP_1) | instskip(NEXT) | instid1(VALU_DEP_1)
	v_cmp_ne_u32_e64 s7, 0x7f800000, v14
                                        ; implicit-def: $vgpr14
	s_and_saveexec_b32 s15, s7
	s_delay_alu instid0(SALU_CYCLE_1)
	s_xor_b32 s7, exec_lo, s15
; %bb.704:
	v_bfe_u32 v14, v15, 16, 1
	s_delay_alu instid0(VALU_DEP_1)
	v_add3_u32 v14, v15, v14, 0x7fff
                                        ; implicit-def: $vgpr15
; %bb.705:
	s_and_not1_saveexec_b32 s15, s7
; %bb.706:
	v_and_b32_e32 v14, 0xffff, v15
	v_or_b32_e32 v18, 0x10000, v15
	s_delay_alu instid0(VALU_DEP_2) | instskip(NEXT) | instid1(VALU_DEP_1)
	v_cmp_eq_u32_e64 s7, 0, v14
	v_cndmask_b32_e64 v14, v18, v15, s7
; %bb.707:
	s_or_b32 exec_lo, exec_lo, s15
	v_lshlrev_b32_e32 v15, 16, v37
	s_delay_alu instid0(VALU_DEP_1) | instskip(NEXT) | instid1(VALU_DEP_1)
	v_add_f32_e32 v18, 0, v15
	v_and_b32_e32 v15, 0x7f800000, v18
	s_delay_alu instid0(VALU_DEP_1) | instskip(NEXT) | instid1(VALU_DEP_1)
	v_cmp_ne_u32_e64 s7, 0x7f800000, v15
                                        ; implicit-def: $vgpr15
	s_and_saveexec_b32 s15, s7
	s_delay_alu instid0(SALU_CYCLE_1)
	s_xor_b32 s7, exec_lo, s15
; %bb.708:
	v_bfe_u32 v15, v18, 16, 1
	s_delay_alu instid0(VALU_DEP_1)
	v_add3_u32 v15, v18, v15, 0x7fff
                                        ; implicit-def: $vgpr18
; %bb.709:
	s_and_not1_saveexec_b32 s15, s7
; %bb.710:
	v_and_b32_e32 v15, 0xffff, v18
	v_or_b32_e32 v19, 0x10000, v18
	s_delay_alu instid0(VALU_DEP_2) | instskip(NEXT) | instid1(VALU_DEP_1)
	v_cmp_eq_u32_e64 s7, 0, v15
	v_cndmask_b32_e64 v15, v19, v18, s7
; %bb.711:
	s_or_b32 exec_lo, exec_lo, s15
	v_cmp_lt_i32_e64 s7, -1, v14
	s_delay_alu instid0(VALU_DEP_2) | instskip(NEXT) | instid1(VALU_DEP_2)
	v_perm_b32 v14, v15, v14, 0x7060302
	v_cndmask_b32_e64 v18, -1, 0xffff8000, s7
	v_cmp_lt_i32_e64 s7, -1, v15
	s_delay_alu instid0(VALU_DEP_1) | instskip(NEXT) | instid1(VALU_DEP_1)
	v_cndmask_b32_e64 v19, -1, 0xffff8000, s7
	v_perm_b32 v15, v19, v18, 0x5040100
	s_delay_alu instid0(VALU_DEP_1) | instskip(NEXT) | instid1(VALU_DEP_1)
	v_xor_b32_e32 v14, v15, v14
	v_lshrrev_b32_e32 v15, 16, v14
	s_delay_alu instid0(VALU_DEP_1) | instskip(NEXT) | instid1(VALU_DEP_1)
	v_cmp_le_u16_e64 s7, v14, v15
	s_and_b32 s15, s7, exec_lo
.LBB1963_712:
	s_or_b32 exec_lo, exec_lo, s12
	s_delay_alu instid0(SALU_CYCLE_1)
	s_or_not1_b32 s12, s15, exec_lo
.LBB1963_713:
	s_or_b32 exec_lo, exec_lo, s14
	v_cndmask_b32_e64 v14, v16, v17, s12
	v_cndmask_b32_e64 v15, v30, v21, s12
	s_mov_b32 s14, exec_lo
	s_delay_alu instid0(VALU_DEP_2) | instskip(NEXT) | instid1(VALU_DEP_2)
	v_add_nc_u32_e32 v18, 1, v14
	v_add_nc_u32_e32 v15, -1, v15
	v_lshl_add_u32 v14, v14, 3, v8
	s_delay_alu instid0(VALU_DEP_3) | instskip(NEXT) | instid1(VALU_DEP_3)
	v_cndmask_b32_e64 v16, v18, v16, s12
	v_min_u32_e32 v15, v18, v15
	v_cndmask_b32_e64 v17, v17, v18, s12
	s_delay_alu instid0(VALU_DEP_2)
	v_lshl_add_u32 v15, v15, 1, v12
	ds_load_u16 v19, v15
	ds_load_b64 v[14:15], v14 offset:4096
	s_waitcnt lgkmcnt(1)
	v_cndmask_b32_e64 v38, v19, v36, s12
	v_cndmask_b32_e64 v39, v37, v19, s12
	v_cmpx_lt_u32_e64 v16, v30
	s_cbranch_execz .LBB1963_725
; %bb.714:
	s_mov_b32 s15, 0
	s_mov_b32 s13, exec_lo
	v_cmpx_lt_u32_e64 v17, v21
	s_cbranch_execz .LBB1963_724
; %bb.715:
	v_lshlrev_b32_e32 v18, 16, v38
	s_delay_alu instid0(VALU_DEP_1) | instskip(NEXT) | instid1(VALU_DEP_1)
	v_add_f32_e32 v19, 0, v18
	v_and_b32_e32 v18, 0x7f800000, v19
	s_delay_alu instid0(VALU_DEP_1) | instskip(NEXT) | instid1(VALU_DEP_1)
	v_cmp_ne_u32_e64 s7, 0x7f800000, v18
                                        ; implicit-def: $vgpr18
	s_and_saveexec_b32 s15, s7
	s_delay_alu instid0(SALU_CYCLE_1)
	s_xor_b32 s7, exec_lo, s15
; %bb.716:
	v_bfe_u32 v18, v19, 16, 1
	s_delay_alu instid0(VALU_DEP_1)
	v_add3_u32 v18, v19, v18, 0x7fff
                                        ; implicit-def: $vgpr19
; %bb.717:
	s_and_not1_saveexec_b32 s15, s7
; %bb.718:
	v_and_b32_e32 v18, 0xffff, v19
	v_or_b32_e32 v22, 0x10000, v19
	s_delay_alu instid0(VALU_DEP_2) | instskip(NEXT) | instid1(VALU_DEP_1)
	v_cmp_eq_u32_e64 s7, 0, v18
	v_cndmask_b32_e64 v18, v22, v19, s7
; %bb.719:
	s_or_b32 exec_lo, exec_lo, s15
	v_lshlrev_b32_e32 v19, 16, v39
	s_delay_alu instid0(VALU_DEP_1) | instskip(NEXT) | instid1(VALU_DEP_1)
	v_add_f32_e32 v22, 0, v19
	v_and_b32_e32 v19, 0x7f800000, v22
	s_delay_alu instid0(VALU_DEP_1) | instskip(NEXT) | instid1(VALU_DEP_1)
	v_cmp_ne_u32_e64 s7, 0x7f800000, v19
                                        ; implicit-def: $vgpr19
	s_and_saveexec_b32 s15, s7
	s_delay_alu instid0(SALU_CYCLE_1)
	s_xor_b32 s7, exec_lo, s15
; %bb.720:
	v_bfe_u32 v19, v22, 16, 1
	s_delay_alu instid0(VALU_DEP_1)
	v_add3_u32 v19, v22, v19, 0x7fff
                                        ; implicit-def: $vgpr22
; %bb.721:
	s_and_not1_saveexec_b32 s15, s7
; %bb.722:
	v_and_b32_e32 v19, 0xffff, v22
	v_or_b32_e32 v23, 0x10000, v22
	s_delay_alu instid0(VALU_DEP_2) | instskip(NEXT) | instid1(VALU_DEP_1)
	v_cmp_eq_u32_e64 s7, 0, v19
	v_cndmask_b32_e64 v19, v23, v22, s7
; %bb.723:
	s_or_b32 exec_lo, exec_lo, s15
	v_cmp_lt_i32_e64 s7, -1, v18
	s_delay_alu instid0(VALU_DEP_2) | instskip(NEXT) | instid1(VALU_DEP_2)
	v_perm_b32 v18, v19, v18, 0x7060302
	v_cndmask_b32_e64 v22, -1, 0xffff8000, s7
	v_cmp_lt_i32_e64 s7, -1, v19
	s_delay_alu instid0(VALU_DEP_1) | instskip(NEXT) | instid1(VALU_DEP_1)
	v_cndmask_b32_e64 v23, -1, 0xffff8000, s7
	v_perm_b32 v19, v23, v22, 0x5040100
	s_delay_alu instid0(VALU_DEP_1) | instskip(NEXT) | instid1(VALU_DEP_1)
	v_xor_b32_e32 v18, v19, v18
	v_lshrrev_b32_e32 v19, 16, v18
	s_delay_alu instid0(VALU_DEP_1) | instskip(NEXT) | instid1(VALU_DEP_1)
	v_cmp_le_u16_e64 s7, v18, v19
	s_and_b32 s15, s7, exec_lo
.LBB1963_724:
	s_or_b32 exec_lo, exec_lo, s13
	s_delay_alu instid0(SALU_CYCLE_1)
	s_or_not1_b32 s13, s15, exec_lo
.LBB1963_725:
	s_or_b32 exec_lo, exec_lo, s14
	v_cndmask_b32_e64 v18, v16, v17, s13
	v_cndmask_b32_e64 v19, v30, v21, s13
	s_mov_b32 s15, -1
	s_mov_b32 s14, -1
	s_mov_b32 s16, exec_lo
	v_add_nc_u32_e32 v22, 1, v18
	v_add_nc_u32_e32 v19, -1, v19
	v_lshl_add_u32 v18, v18, 3, v8
	s_delay_alu instid0(VALU_DEP_3) | instskip(NEXT) | instid1(VALU_DEP_3)
	v_cndmask_b32_e64 v16, v22, v16, s13
	v_min_u32_e32 v19, v22, v19
	v_cndmask_b32_e64 v17, v17, v22, s13
	ds_load_b64 v[28:29], v18 offset:4096
	v_lshl_add_u32 v19, v19, 1, v12
	ds_load_u16 v19, v19
	s_waitcnt lgkmcnt(0)
	v_cndmask_b32_e64 v48, v19, v38, s13
	v_cndmask_b32_e64 v49, v39, v19, s13
	v_cmpx_lt_u32_e64 v16, v30
	s_cbranch_execz .LBB1963_737
; %bb.726:
	s_mov_b32 s17, 0
	s_mov_b32 s14, exec_lo
	v_cmpx_lt_u32_e64 v17, v21
	s_cbranch_execz .LBB1963_736
; %bb.727:
	v_lshlrev_b32_e32 v18, 16, v48
	s_delay_alu instid0(VALU_DEP_1) | instskip(NEXT) | instid1(VALU_DEP_1)
	v_add_f32_e32 v19, 0, v18
	v_and_b32_e32 v18, 0x7f800000, v19
	s_delay_alu instid0(VALU_DEP_1) | instskip(NEXT) | instid1(VALU_DEP_1)
	v_cmp_ne_u32_e64 s7, 0x7f800000, v18
                                        ; implicit-def: $vgpr18
	s_and_saveexec_b32 s17, s7
	s_delay_alu instid0(SALU_CYCLE_1)
	s_xor_b32 s7, exec_lo, s17
; %bb.728:
	v_bfe_u32 v18, v19, 16, 1
	s_delay_alu instid0(VALU_DEP_1)
	v_add3_u32 v18, v19, v18, 0x7fff
                                        ; implicit-def: $vgpr19
; %bb.729:
	s_and_not1_saveexec_b32 s17, s7
; %bb.730:
	v_and_b32_e32 v18, 0xffff, v19
	v_or_b32_e32 v22, 0x10000, v19
	s_delay_alu instid0(VALU_DEP_2) | instskip(NEXT) | instid1(VALU_DEP_1)
	v_cmp_eq_u32_e64 s7, 0, v18
	v_cndmask_b32_e64 v18, v22, v19, s7
; %bb.731:
	s_or_b32 exec_lo, exec_lo, s17
	v_lshlrev_b32_e32 v19, 16, v49
	s_delay_alu instid0(VALU_DEP_1) | instskip(NEXT) | instid1(VALU_DEP_1)
	v_add_f32_e32 v22, 0, v19
	v_and_b32_e32 v19, 0x7f800000, v22
	s_delay_alu instid0(VALU_DEP_1) | instskip(NEXT) | instid1(VALU_DEP_1)
	v_cmp_ne_u32_e64 s7, 0x7f800000, v19
                                        ; implicit-def: $vgpr19
	s_and_saveexec_b32 s17, s7
	s_delay_alu instid0(SALU_CYCLE_1)
	s_xor_b32 s7, exec_lo, s17
; %bb.732:
	v_bfe_u32 v19, v22, 16, 1
	s_delay_alu instid0(VALU_DEP_1)
	v_add3_u32 v19, v22, v19, 0x7fff
                                        ; implicit-def: $vgpr22
; %bb.733:
	s_and_not1_saveexec_b32 s17, s7
; %bb.734:
	v_and_b32_e32 v19, 0xffff, v22
	v_or_b32_e32 v23, 0x10000, v22
	s_delay_alu instid0(VALU_DEP_2) | instskip(NEXT) | instid1(VALU_DEP_1)
	v_cmp_eq_u32_e64 s7, 0, v19
	v_cndmask_b32_e64 v19, v23, v22, s7
; %bb.735:
	s_or_b32 exec_lo, exec_lo, s17
	v_cmp_lt_i32_e64 s7, -1, v18
	s_delay_alu instid0(VALU_DEP_2) | instskip(NEXT) | instid1(VALU_DEP_2)
	v_perm_b32 v18, v19, v18, 0x7060302
	v_cndmask_b32_e64 v22, -1, 0xffff8000, s7
	v_cmp_lt_i32_e64 s7, -1, v19
	s_delay_alu instid0(VALU_DEP_1) | instskip(NEXT) | instid1(VALU_DEP_1)
	v_cndmask_b32_e64 v23, -1, 0xffff8000, s7
	v_perm_b32 v19, v23, v22, 0x5040100
	s_delay_alu instid0(VALU_DEP_1) | instskip(NEXT) | instid1(VALU_DEP_1)
	v_xor_b32_e32 v18, v19, v18
	v_lshrrev_b32_e32 v19, 16, v18
	s_delay_alu instid0(VALU_DEP_1) | instskip(NEXT) | instid1(VALU_DEP_1)
	v_cmp_le_u16_e64 s7, v18, v19
	s_and_b32 s17, s7, exec_lo
.LBB1963_736:
	s_or_b32 exec_lo, exec_lo, s14
	s_delay_alu instid0(SALU_CYCLE_1)
	s_or_not1_b32 s14, s17, exec_lo
.LBB1963_737:
	s_or_b32 exec_lo, exec_lo, s16
	v_cndmask_b32_e64 v18, v16, v17, s14
	v_cndmask_b32_e64 v19, v30, v21, s14
	s_mov_b32 s16, exec_lo
	s_delay_alu instid0(VALU_DEP_2) | instskip(NEXT) | instid1(VALU_DEP_2)
	v_add_nc_u32_e32 v23, 1, v18
	v_add_nc_u32_e32 v19, -1, v19
	v_lshl_add_u32 v18, v18, 3, v8
	s_delay_alu instid0(VALU_DEP_3) | instskip(NEXT) | instid1(VALU_DEP_3)
	v_cndmask_b32_e64 v22, v23, v16, s14
	v_min_u32_e32 v19, v23, v19
	v_cndmask_b32_e64 v23, v17, v23, s14
	s_delay_alu instid0(VALU_DEP_2)
	v_lshl_add_u32 v19, v19, 1, v12
	ds_load_u16 v51, v19
	ds_load_b64 v[18:19], v18 offset:4096
	s_waitcnt lgkmcnt(1)
	v_cndmask_b32_e64 v50, v51, v48, s14
	v_cndmask_b32_e64 v51, v49, v51, s14
	v_cmpx_lt_u32_e64 v22, v30
	s_cbranch_execz .LBB1963_749
; %bb.738:
	s_mov_b32 s17, 0
	s_mov_b32 s15, exec_lo
	v_cmpx_lt_u32_e64 v23, v21
	s_cbranch_execz .LBB1963_748
; %bb.739:
	v_lshlrev_b32_e32 v16, 16, v50
	s_delay_alu instid0(VALU_DEP_1) | instskip(NEXT) | instid1(VALU_DEP_1)
	v_add_f32_e32 v17, 0, v16
	v_and_b32_e32 v16, 0x7f800000, v17
	s_delay_alu instid0(VALU_DEP_1) | instskip(NEXT) | instid1(VALU_DEP_1)
	v_cmp_ne_u32_e64 s7, 0x7f800000, v16
                                        ; implicit-def: $vgpr16
	s_and_saveexec_b32 s17, s7
	s_delay_alu instid0(SALU_CYCLE_1)
	s_xor_b32 s7, exec_lo, s17
; %bb.740:
	v_bfe_u32 v16, v17, 16, 1
	s_delay_alu instid0(VALU_DEP_1)
	v_add3_u32 v16, v17, v16, 0x7fff
                                        ; implicit-def: $vgpr17
; %bb.741:
	s_and_not1_saveexec_b32 s17, s7
; %bb.742:
	v_and_b32_e32 v16, 0xffff, v17
	v_or_b32_e32 v52, 0x10000, v17
	s_delay_alu instid0(VALU_DEP_2) | instskip(NEXT) | instid1(VALU_DEP_1)
	v_cmp_eq_u32_e64 s7, 0, v16
	v_cndmask_b32_e64 v16, v52, v17, s7
; %bb.743:
	s_or_b32 exec_lo, exec_lo, s17
	v_lshlrev_b32_e32 v17, 16, v51
	s_delay_alu instid0(VALU_DEP_1) | instskip(NEXT) | instid1(VALU_DEP_1)
	v_add_f32_e32 v52, 0, v17
	v_and_b32_e32 v17, 0x7f800000, v52
	s_delay_alu instid0(VALU_DEP_1) | instskip(NEXT) | instid1(VALU_DEP_1)
	v_cmp_ne_u32_e64 s7, 0x7f800000, v17
                                        ; implicit-def: $vgpr17
	s_and_saveexec_b32 s17, s7
	s_delay_alu instid0(SALU_CYCLE_1)
	s_xor_b32 s7, exec_lo, s17
; %bb.744:
	v_bfe_u32 v17, v52, 16, 1
	s_delay_alu instid0(VALU_DEP_1)
	v_add3_u32 v17, v52, v17, 0x7fff
                                        ; implicit-def: $vgpr52
; %bb.745:
	s_and_not1_saveexec_b32 s17, s7
; %bb.746:
	v_and_b32_e32 v17, 0xffff, v52
	v_or_b32_e32 v53, 0x10000, v52
	s_delay_alu instid0(VALU_DEP_2) | instskip(NEXT) | instid1(VALU_DEP_1)
	v_cmp_eq_u32_e64 s7, 0, v17
	v_cndmask_b32_e64 v17, v53, v52, s7
; %bb.747:
	s_or_b32 exec_lo, exec_lo, s17
	v_cmp_lt_i32_e64 s7, -1, v16
	s_delay_alu instid0(VALU_DEP_2) | instskip(NEXT) | instid1(VALU_DEP_2)
	v_perm_b32 v16, v17, v16, 0x7060302
	v_cndmask_b32_e64 v52, -1, 0xffff8000, s7
	v_cmp_lt_i32_e64 s7, -1, v17
	s_delay_alu instid0(VALU_DEP_1) | instskip(NEXT) | instid1(VALU_DEP_1)
	v_cndmask_b32_e64 v53, -1, 0xffff8000, s7
	v_perm_b32 v17, v53, v52, 0x5040100
	s_delay_alu instid0(VALU_DEP_1) | instskip(NEXT) | instid1(VALU_DEP_1)
	v_xor_b32_e32 v16, v17, v16
	v_lshrrev_b32_e32 v17, 16, v16
	s_delay_alu instid0(VALU_DEP_1) | instskip(NEXT) | instid1(VALU_DEP_1)
	v_cmp_le_u16_e64 s7, v16, v17
	s_and_b32 s17, s7, exec_lo
.LBB1963_748:
	s_or_b32 exec_lo, exec_lo, s15
	s_delay_alu instid0(SALU_CYCLE_1)
	s_or_not1_b32 s15, s17, exec_lo
.LBB1963_749:
	s_or_b32 exec_lo, exec_lo, s16
	v_cndmask_b32_e64 v16, v22, v23, s15
	v_cndmask_b32_e64 v17, v30, v21, s15
	s_mov_b32 s17, -1
	s_mov_b32 s16, exec_lo
	s_delay_alu instid0(VALU_DEP_2) | instskip(NEXT) | instid1(VALU_DEP_2)
	v_add_nc_u32_e32 v52, 1, v16
	v_add_nc_u32_e32 v17, -1, v17
	s_delay_alu instid0(VALU_DEP_2) | instskip(NEXT) | instid1(VALU_DEP_2)
	v_cndmask_b32_e64 v22, v52, v22, s15
	v_min_u32_e32 v17, v52, v17
	v_cndmask_b32_e64 v23, v23, v52, s15
	s_delay_alu instid0(VALU_DEP_2)
	v_lshl_add_u32 v12, v17, 1, v12
	ds_load_u16 v53, v12
	v_lshl_add_u32 v12, v16, 3, v8
	ds_load_b64 v[16:17], v12 offset:4096
	s_waitcnt lgkmcnt(1)
	v_cndmask_b32_e64 v12, v53, v50, s15
	v_cndmask_b32_e64 v54, v51, v53, s15
	v_cmpx_lt_u32_e64 v22, v30
	s_cbranch_execz .LBB1963_761
; %bb.750:
	s_mov_b32 s18, 0
	s_mov_b32 s17, exec_lo
	v_cmpx_lt_u32_e64 v23, v21
	s_cbranch_execz .LBB1963_760
; %bb.751:
	v_lshlrev_b32_e32 v21, 16, v12
	s_delay_alu instid0(VALU_DEP_1) | instskip(NEXT) | instid1(VALU_DEP_1)
	v_add_f32_e32 v30, 0, v21
	v_and_b32_e32 v21, 0x7f800000, v30
	s_delay_alu instid0(VALU_DEP_1) | instskip(NEXT) | instid1(VALU_DEP_1)
	v_cmp_ne_u32_e64 s7, 0x7f800000, v21
                                        ; implicit-def: $vgpr21
	s_and_saveexec_b32 s18, s7
	s_delay_alu instid0(SALU_CYCLE_1)
	s_xor_b32 s7, exec_lo, s18
; %bb.752:
	v_bfe_u32 v21, v30, 16, 1
	s_delay_alu instid0(VALU_DEP_1)
	v_add3_u32 v21, v30, v21, 0x7fff
                                        ; implicit-def: $vgpr30
; %bb.753:
	s_and_not1_saveexec_b32 s18, s7
; %bb.754:
	v_and_b32_e32 v21, 0xffff, v30
	v_or_b32_e32 v52, 0x10000, v30
	s_delay_alu instid0(VALU_DEP_2) | instskip(NEXT) | instid1(VALU_DEP_1)
	v_cmp_eq_u32_e64 s7, 0, v21
	v_cndmask_b32_e64 v21, v52, v30, s7
; %bb.755:
	s_or_b32 exec_lo, exec_lo, s18
	v_lshlrev_b32_e32 v30, 16, v54
	s_delay_alu instid0(VALU_DEP_1) | instskip(NEXT) | instid1(VALU_DEP_1)
	v_add_f32_e32 v52, 0, v30
	v_and_b32_e32 v30, 0x7f800000, v52
	s_delay_alu instid0(VALU_DEP_1) | instskip(NEXT) | instid1(VALU_DEP_1)
	v_cmp_ne_u32_e64 s7, 0x7f800000, v30
                                        ; implicit-def: $vgpr30
	s_and_saveexec_b32 s18, s7
	s_delay_alu instid0(SALU_CYCLE_1)
	s_xor_b32 s7, exec_lo, s18
; %bb.756:
	v_bfe_u32 v30, v52, 16, 1
	s_delay_alu instid0(VALU_DEP_1)
	v_add3_u32 v30, v52, v30, 0x7fff
                                        ; implicit-def: $vgpr52
; %bb.757:
	s_and_not1_saveexec_b32 s18, s7
; %bb.758:
	v_and_b32_e32 v30, 0xffff, v52
	v_or_b32_e32 v53, 0x10000, v52
	s_delay_alu instid0(VALU_DEP_2) | instskip(NEXT) | instid1(VALU_DEP_1)
	v_cmp_eq_u32_e64 s7, 0, v30
	v_cndmask_b32_e64 v30, v53, v52, s7
; %bb.759:
	s_or_b32 exec_lo, exec_lo, s18
	v_cmp_lt_i32_e64 s7, -1, v21
	s_delay_alu instid0(VALU_DEP_2) | instskip(NEXT) | instid1(VALU_DEP_2)
	v_perm_b32 v21, v30, v21, 0x7060302
	v_cndmask_b32_e64 v52, -1, 0xffff8000, s7
	v_cmp_lt_i32_e64 s7, -1, v30
	s_delay_alu instid0(VALU_DEP_1) | instskip(NEXT) | instid1(VALU_DEP_1)
	v_cndmask_b32_e64 v53, -1, 0xffff8000, s7
	v_perm_b32 v30, v53, v52, 0x5040100
	s_delay_alu instid0(VALU_DEP_1) | instskip(NEXT) | instid1(VALU_DEP_1)
	v_xor_b32_e32 v21, v30, v21
	v_lshrrev_b32_e32 v30, 16, v21
	s_delay_alu instid0(VALU_DEP_1) | instskip(NEXT) | instid1(VALU_DEP_1)
	v_cmp_le_u16_e64 s7, v21, v30
	s_and_b32 s18, s7, exec_lo
.LBB1963_760:
	s_or_b32 exec_lo, exec_lo, s17
	s_delay_alu instid0(SALU_CYCLE_1)
	s_or_not1_b32 s17, s18, exec_lo
.LBB1963_761:
	s_or_b32 exec_lo, exec_lo, s16
	v_cndmask_b32_e64 v21, v22, v23, s17
	v_cndmask_b32_e64 v52, v50, v51, s15
	;; [unrolled: 1-line block ×5, first 2 shown]
	v_lshl_add_u32 v8, v21, 3, v8
	v_cndmask_b32_e64 v50, v32, v33, s11
	v_cndmask_b32_e64 v49, v20, v31, s8
	;; [unrolled: 1-line block ×4, first 2 shown]
	ds_load_b64 v[22:23], v8 offset:4096
.LBB1963_762:
	s_or_b32 exec_lo, exec_lo, s9
	v_add_co_u32 v2, s7, v2, v24
	s_delay_alu instid0(VALU_DEP_1) | instskip(NEXT) | instid1(VALU_DEP_2)
	v_add_co_ci_u32_e64 v3, s7, v3, v25, s7
	v_add_co_u32 v2, s7, v2, v34
	s_delay_alu instid0(VALU_DEP_1)
	v_add_co_ci_u32_e64 v3, s7, 0, v3, s7
	; wave barrier
	s_waitcnt lgkmcnt(0)
	s_waitcnt_vscnt null, 0x0
	s_barrier
	buffer_gl0_inv
	; wave barrier
	s_and_saveexec_b32 s7, vcc_lo
	s_cbranch_execnz .LBB1963_780
; %bb.763:
	s_or_b32 exec_lo, exec_lo, s7
	s_and_saveexec_b32 s7, s0
	s_cbranch_execnz .LBB1963_781
.LBB1963_764:
	s_or_b32 exec_lo, exec_lo, s7
	s_and_saveexec_b32 s7, s1
	s_cbranch_execnz .LBB1963_782
.LBB1963_765:
	s_or_b32 exec_lo, exec_lo, s7
	s_and_saveexec_b32 s7, s2
	s_cbranch_execnz .LBB1963_783
.LBB1963_766:
	s_or_b32 exec_lo, exec_lo, s7
	s_and_saveexec_b32 s7, s3
	s_cbranch_execnz .LBB1963_784
.LBB1963_767:
	s_or_b32 exec_lo, exec_lo, s7
	s_and_saveexec_b32 s7, s4
	s_cbranch_execnz .LBB1963_785
.LBB1963_768:
	s_or_b32 exec_lo, exec_lo, s7
	s_and_saveexec_b32 s7, s5
	s_cbranch_execnz .LBB1963_786
.LBB1963_769:
	s_or_b32 exec_lo, exec_lo, s7
	s_and_saveexec_b32 s7, s6
	s_cbranch_execz .LBB1963_771
.LBB1963_770:
	flat_store_b16 v[2:3], v39 offset:14
.LBB1963_771:
	s_or_b32 exec_lo, exec_lo, s7
	v_add_co_u32 v0, s7, v6, v0
	s_delay_alu instid0(VALU_DEP_1) | instskip(NEXT) | instid1(VALU_DEP_2)
	v_add_co_ci_u32_e64 v1, s7, v7, v1, s7
	v_add_co_u32 v0, s7, v0, v35
	s_delay_alu instid0(VALU_DEP_1)
	v_add_co_ci_u32_e64 v1, s7, 0, v1, s7
	; wave barrier
	s_and_saveexec_b32 s7, vcc_lo
	s_cbranch_execnz .LBB1963_787
; %bb.772:
	s_or_b32 exec_lo, exec_lo, s7
	s_and_saveexec_b32 s7, s0
	s_cbranch_execnz .LBB1963_788
.LBB1963_773:
	s_or_b32 exec_lo, exec_lo, s7
	s_and_saveexec_b32 s0, s1
	s_cbranch_execnz .LBB1963_789
.LBB1963_774:
	s_or_b32 exec_lo, exec_lo, s0
	s_and_saveexec_b32 s0, s2
	s_cbranch_execnz .LBB1963_790
.LBB1963_775:
	s_or_b32 exec_lo, exec_lo, s0
	s_and_saveexec_b32 s0, s3
	s_cbranch_execnz .LBB1963_791
.LBB1963_776:
	s_or_b32 exec_lo, exec_lo, s0
	s_and_saveexec_b32 s0, s4
	s_cbranch_execnz .LBB1963_792
.LBB1963_777:
	s_or_b32 exec_lo, exec_lo, s0
	s_and_saveexec_b32 s0, s5
	s_cbranch_execnz .LBB1963_793
.LBB1963_778:
	s_or_b32 exec_lo, exec_lo, s0
	s_and_saveexec_b32 s0, s6
	s_cbranch_execnz .LBB1963_794
.LBB1963_779:
	s_or_b32 exec_lo, exec_lo, s0
	s_waitcnt lgkmcnt(0)
	s_setpc_b64 s[30:31]
.LBB1963_780:
	flat_store_b16 v[2:3], v38
	s_or_b32 exec_lo, exec_lo, s7
	s_and_saveexec_b32 s7, s0
	s_cbranch_execz .LBB1963_764
.LBB1963_781:
	flat_store_b16 v[2:3], v49 offset:2
	s_or_b32 exec_lo, exec_lo, s7
	s_and_saveexec_b32 s7, s1
	s_cbranch_execz .LBB1963_765
.LBB1963_782:
	flat_store_b16 v[2:3], v50 offset:4
	s_or_b32 exec_lo, exec_lo, s7
	s_and_saveexec_b32 s7, s2
	s_cbranch_execz .LBB1963_766
.LBB1963_783:
	flat_store_b16 v[2:3], v53 offset:6
	s_or_b32 exec_lo, exec_lo, s7
	s_and_saveexec_b32 s7, s3
	s_cbranch_execz .LBB1963_767
.LBB1963_784:
	flat_store_b16 v[2:3], v51 offset:8
	s_or_b32 exec_lo, exec_lo, s7
	s_and_saveexec_b32 s7, s4
	s_cbranch_execz .LBB1963_768
.LBB1963_785:
	flat_store_b16 v[2:3], v48 offset:10
	s_or_b32 exec_lo, exec_lo, s7
	s_and_saveexec_b32 s7, s5
	s_cbranch_execz .LBB1963_769
.LBB1963_786:
	flat_store_b16 v[2:3], v52 offset:12
	s_or_b32 exec_lo, exec_lo, s7
	s_and_saveexec_b32 s7, s6
	s_cbranch_execnz .LBB1963_770
	s_branch .LBB1963_771
.LBB1963_787:
	flat_store_b64 v[0:1], v[4:5]
	s_or_b32 exec_lo, exec_lo, s7
	s_and_saveexec_b32 s7, s0
	s_cbranch_execz .LBB1963_773
.LBB1963_788:
	flat_store_b64 v[0:1], v[10:11] offset:8
	s_or_b32 exec_lo, exec_lo, s7
	s_and_saveexec_b32 s0, s1
	s_cbranch_execz .LBB1963_774
.LBB1963_789:
	flat_store_b64 v[0:1], v[26:27] offset:16
	s_or_b32 exec_lo, exec_lo, s0
	s_and_saveexec_b32 s0, s2
	s_cbranch_execz .LBB1963_775
.LBB1963_790:
	flat_store_b64 v[0:1], v[14:15] offset:24
	s_or_b32 exec_lo, exec_lo, s0
	s_and_saveexec_b32 s0, s3
	s_cbranch_execz .LBB1963_776
.LBB1963_791:
	flat_store_b64 v[0:1], v[28:29] offset:32
	s_or_b32 exec_lo, exec_lo, s0
	s_and_saveexec_b32 s0, s4
	s_cbranch_execz .LBB1963_777
.LBB1963_792:
	flat_store_b64 v[0:1], v[18:19] offset:40
	s_or_b32 exec_lo, exec_lo, s0
	s_and_saveexec_b32 s0, s5
	s_cbranch_execz .LBB1963_778
.LBB1963_793:
	flat_store_b64 v[0:1], v[16:17] offset:48
	s_or_b32 exec_lo, exec_lo, s0
	s_and_saveexec_b32 s0, s6
	s_cbranch_execz .LBB1963_779
.LBB1963_794:
	flat_store_b64 v[0:1], v[22:23] offset:56
	s_or_b32 exec_lo, exec_lo, s0
	s_waitcnt lgkmcnt(0)
	s_setpc_b64 s[30:31]
.Lfunc_end1963:
	.size	_ZN7rocprim17ROCPRIM_400000_NS6detail26segmented_warp_sort_helperINS1_20WarpSortHelperConfigILj16ELj8ELj256EEE12hip_bfloat16lLi256ELb1EvE4sortIPKS5_PS5_PKlPlEEvT_T0_T1_T2_jjjjRNS6_12storage_typeE, .Lfunc_end1963-_ZN7rocprim17ROCPRIM_400000_NS6detail26segmented_warp_sort_helperINS1_20WarpSortHelperConfigILj16ELj8ELj256EEE12hip_bfloat16lLi256ELb1EvE4sortIPKS5_PS5_PKlPlEEvT_T0_T1_T2_jjjjRNS6_12storage_typeE
                                        ; -- End function
	.section	.AMDGPU.csdata,"",@progbits
; Function info:
; codeLenInByte = 30748
; NumSgprs: 34
; NumVgprs: 71
; ScratchSize: 0
; MemoryBound: 0
	.section	.text._ZN7rocprim17ROCPRIM_400000_NS6detail17trampoline_kernelINS0_14default_configENS1_36segmented_radix_sort_config_selectorI12hip_bfloat16lEEZNS1_25segmented_radix_sort_implIS3_Lb1EPKS5_PS5_PKlPlN2at6native12_GLOBAL__N_18offset_tEEE10hipError_tPvRmT1_PNSt15iterator_traitsISL_E10value_typeET2_T3_PNSM_ISR_E10value_typeET4_jRbjT5_SX_jjP12ihipStream_tbEUlT_E0_NS1_11comp_targetILNS1_3genE9ELNS1_11target_archE1100ELNS1_3gpuE3ELNS1_3repE0EEENS1_60segmented_radix_sort_warp_sort_medium_config_static_selectorELNS0_4arch9wavefront6targetE0EEEvSL_,"axG",@progbits,_ZN7rocprim17ROCPRIM_400000_NS6detail17trampoline_kernelINS0_14default_configENS1_36segmented_radix_sort_config_selectorI12hip_bfloat16lEEZNS1_25segmented_radix_sort_implIS3_Lb1EPKS5_PS5_PKlPlN2at6native12_GLOBAL__N_18offset_tEEE10hipError_tPvRmT1_PNSt15iterator_traitsISL_E10value_typeET2_T3_PNSM_ISR_E10value_typeET4_jRbjT5_SX_jjP12ihipStream_tbEUlT_E0_NS1_11comp_targetILNS1_3genE9ELNS1_11target_archE1100ELNS1_3gpuE3ELNS1_3repE0EEENS1_60segmented_radix_sort_warp_sort_medium_config_static_selectorELNS0_4arch9wavefront6targetE0EEEvSL_,comdat
	.globl	_ZN7rocprim17ROCPRIM_400000_NS6detail17trampoline_kernelINS0_14default_configENS1_36segmented_radix_sort_config_selectorI12hip_bfloat16lEEZNS1_25segmented_radix_sort_implIS3_Lb1EPKS5_PS5_PKlPlN2at6native12_GLOBAL__N_18offset_tEEE10hipError_tPvRmT1_PNSt15iterator_traitsISL_E10value_typeET2_T3_PNSM_ISR_E10value_typeET4_jRbjT5_SX_jjP12ihipStream_tbEUlT_E0_NS1_11comp_targetILNS1_3genE9ELNS1_11target_archE1100ELNS1_3gpuE3ELNS1_3repE0EEENS1_60segmented_radix_sort_warp_sort_medium_config_static_selectorELNS0_4arch9wavefront6targetE0EEEvSL_ ; -- Begin function _ZN7rocprim17ROCPRIM_400000_NS6detail17trampoline_kernelINS0_14default_configENS1_36segmented_radix_sort_config_selectorI12hip_bfloat16lEEZNS1_25segmented_radix_sort_implIS3_Lb1EPKS5_PS5_PKlPlN2at6native12_GLOBAL__N_18offset_tEEE10hipError_tPvRmT1_PNSt15iterator_traitsISL_E10value_typeET2_T3_PNSM_ISR_E10value_typeET4_jRbjT5_SX_jjP12ihipStream_tbEUlT_E0_NS1_11comp_targetILNS1_3genE9ELNS1_11target_archE1100ELNS1_3gpuE3ELNS1_3repE0EEENS1_60segmented_radix_sort_warp_sort_medium_config_static_selectorELNS0_4arch9wavefront6targetE0EEEvSL_
	.p2align	8
	.type	_ZN7rocprim17ROCPRIM_400000_NS6detail17trampoline_kernelINS0_14default_configENS1_36segmented_radix_sort_config_selectorI12hip_bfloat16lEEZNS1_25segmented_radix_sort_implIS3_Lb1EPKS5_PS5_PKlPlN2at6native12_GLOBAL__N_18offset_tEEE10hipError_tPvRmT1_PNSt15iterator_traitsISL_E10value_typeET2_T3_PNSM_ISR_E10value_typeET4_jRbjT5_SX_jjP12ihipStream_tbEUlT_E0_NS1_11comp_targetILNS1_3genE9ELNS1_11target_archE1100ELNS1_3gpuE3ELNS1_3repE0EEENS1_60segmented_radix_sort_warp_sort_medium_config_static_selectorELNS0_4arch9wavefront6targetE0EEEvSL_,@function
_ZN7rocprim17ROCPRIM_400000_NS6detail17trampoline_kernelINS0_14default_configENS1_36segmented_radix_sort_config_selectorI12hip_bfloat16lEEZNS1_25segmented_radix_sort_implIS3_Lb1EPKS5_PS5_PKlPlN2at6native12_GLOBAL__N_18offset_tEEE10hipError_tPvRmT1_PNSt15iterator_traitsISL_E10value_typeET2_T3_PNSM_ISR_E10value_typeET4_jRbjT5_SX_jjP12ihipStream_tbEUlT_E0_NS1_11comp_targetILNS1_3genE9ELNS1_11target_archE1100ELNS1_3gpuE3ELNS1_3repE0EEENS1_60segmented_radix_sort_warp_sort_medium_config_static_selectorELNS0_4arch9wavefront6targetE0EEEvSL_: ; @_ZN7rocprim17ROCPRIM_400000_NS6detail17trampoline_kernelINS0_14default_configENS1_36segmented_radix_sort_config_selectorI12hip_bfloat16lEEZNS1_25segmented_radix_sort_implIS3_Lb1EPKS5_PS5_PKlPlN2at6native12_GLOBAL__N_18offset_tEEE10hipError_tPvRmT1_PNSt15iterator_traitsISL_E10value_typeET2_T3_PNSM_ISR_E10value_typeET4_jRbjT5_SX_jjP12ihipStream_tbEUlT_E0_NS1_11comp_targetILNS1_3genE9ELNS1_11target_archE1100ELNS1_3gpuE3ELNS1_3repE0EEENS1_60segmented_radix_sort_warp_sort_medium_config_static_selectorELNS0_4arch9wavefront6targetE0EEEvSL_
; %bb.0:
	s_load_b32 s2, s[0:1], 0x64
	v_bfe_u32 v1, v0, 10, 10
	v_bfe_u32 v2, v0, 20, 10
	s_mov_b32 s32, 0
	s_waitcnt lgkmcnt(0)
	s_lshr_b32 s3, s2, 16
	s_and_b32 s2, s2, 0xffff
	v_mad_u32_u24 v4, v2, s3, v1
	v_and_b32_e32 v1, 0x3ff, v0
	s_load_b32 s3, s[0:1], 0x34
	s_delay_alu instid0(VALU_DEP_1) | instskip(SKIP_1) | instid1(VALU_DEP_1)
	v_mad_u64_u32 v[2:3], null, v4, s2, v[1:2]
	s_mov_b32 s2, exec_lo
	v_lshrrev_b32_e32 v1, 4, v2
	s_delay_alu instid0(VALU_DEP_1) | instskip(SKIP_1) | instid1(VALU_DEP_1)
	v_lshl_add_u32 v1, s14, 4, v1
	s_waitcnt lgkmcnt(0)
	v_cmpx_gt_u32_e64 s3, v1
	s_cbranch_execz .LBB1964_6
; %bb.1:
	s_clause 0x1
	s_load_b64 s[2:3], s[0:1], 0x38
	s_load_b128 s[4:7], s[0:1], 0x40
	v_mov_b32_e32 v2, 0
	s_delay_alu instid0(VALU_DEP_1) | instskip(SKIP_1) | instid1(VALU_DEP_1)
	v_lshlrev_b64 v[1:2], 2, v[1:2]
	s_waitcnt lgkmcnt(0)
	v_add_co_u32 v1, vcc_lo, s2, v1
	s_delay_alu instid0(VALU_DEP_2) | instskip(SKIP_4) | instid1(VALU_DEP_2)
	v_add_co_ci_u32_e32 v2, vcc_lo, s3, v2, vcc_lo
	global_load_b32 v1, v[1:2], off
	s_waitcnt vmcnt(0)
	v_add_nc_u32_e32 v2, s5, v1
	v_add_nc_u32_e32 v1, s7, v1
	v_mul_lo_u32 v40, v2, s4
	s_delay_alu instid0(VALU_DEP_2) | instskip(NEXT) | instid1(VALU_DEP_1)
	v_mul_lo_u32 v41, v1, s6
	v_cmp_gt_u32_e32 vcc_lo, v41, v40
	s_and_b32 exec_lo, exec_lo, vcc_lo
	s_cbranch_execz .LBB1964_6
; %bb.2:
	s_clause 0x2
	s_load_b32 s2, s[0:1], 0x30
	s_load_b128 s[36:39], s[0:1], 0x20
	s_load_b256 s[20:27], s[0:1], 0x0
	s_waitcnt lgkmcnt(0)
	s_bitcmp0_b32 s2, 0
	s_mov_b32 s2, -1
	s_cbranch_scc0 .LBB1964_4
; %bb.3:
	v_mov_b32_e32 v31, v0
	v_dual_mov_b32 v42, v0 :: v_dual_mov_b32 v1, s21
	v_mov_b32_e32 v0, s20
	v_dual_mov_b32 v2, s22 :: v_dual_mov_b32 v3, s23
	v_dual_mov_b32 v4, s26 :: v_dual_mov_b32 v5, s27
	;; [unrolled: 1-line block ×4, first 2 shown]
	s_add_u32 s8, s0, 0x58
	s_addc_u32 s9, s1, 0
	s_mov_b32 s12, s14
	s_mov_b32 s13, s15
	s_getpc_b64 s[2:3]
	s_add_u32 s2, s2, _ZN7rocprim17ROCPRIM_400000_NS6detail26segmented_warp_sort_helperINS1_20WarpSortHelperConfigILj16ELj8ELj256EEE12hip_bfloat16lLi256ELb1EvE4sortIPKS5_PS5_PKlPlEEvT_T0_T1_T2_jjjjRNS6_12storage_typeE@rel32@lo+4
	s_addc_u32 s3, s3, _ZN7rocprim17ROCPRIM_400000_NS6detail26segmented_warp_sort_helperINS1_20WarpSortHelperConfigILj16ELj8ELj256EEE12hip_bfloat16lLi256ELb1EvE4sortIPKS5_PS5_PKlPlEEvT_T0_T1_T2_jjjjRNS6_12storage_typeE@rel32@hi+12
	s_mov_b64 s[22:23], s[0:1]
	s_mov_b32 s19, s15
	s_mov_b32 s28, s14
	s_swappc_b64 s[30:31], s[2:3]
	v_mov_b32_e32 v0, v42
	s_mov_b32 s14, s28
	s_mov_b32 s15, s19
	s_mov_b64 s[0:1], s[22:23]
	s_mov_b32 s2, 0
.LBB1964_4:
	s_delay_alu instid0(SALU_CYCLE_1)
	s_and_not1_b32 vcc_lo, exec_lo, s2
	s_cbranch_vccnz .LBB1964_6
; %bb.5:
	v_dual_mov_b32 v31, v0 :: v_dual_mov_b32 v0, s20
	v_dual_mov_b32 v1, s21 :: v_dual_mov_b32 v2, s24
	;; [unrolled: 1-line block ×5, first 2 shown]
	v_mov_b32_e32 v9, v41
	s_add_u32 s8, s0, 0x58
	s_addc_u32 s9, s1, 0
	s_mov_b32 s12, s14
	s_mov_b32 s13, s15
	s_getpc_b64 s[0:1]
	s_add_u32 s0, s0, _ZN7rocprim17ROCPRIM_400000_NS6detail26segmented_warp_sort_helperINS1_20WarpSortHelperConfigILj16ELj8ELj256EEE12hip_bfloat16lLi256ELb1EvE4sortIPKS5_PS5_PKlPlEEvT_T0_T1_T2_jjjjRNS6_12storage_typeE@rel32@lo+4
	s_addc_u32 s1, s1, _ZN7rocprim17ROCPRIM_400000_NS6detail26segmented_warp_sort_helperINS1_20WarpSortHelperConfigILj16ELj8ELj256EEE12hip_bfloat16lLi256ELb1EvE4sortIPKS5_PS5_PKlPlEEvT_T0_T1_T2_jjjjRNS6_12storage_typeE@rel32@hi+12
	s_delay_alu instid0(SALU_CYCLE_1)
	s_swappc_b64 s[30:31], s[0:1]
.LBB1964_6:
	s_endpgm
	.section	.rodata,"a",@progbits
	.p2align	6, 0x0
	.amdhsa_kernel _ZN7rocprim17ROCPRIM_400000_NS6detail17trampoline_kernelINS0_14default_configENS1_36segmented_radix_sort_config_selectorI12hip_bfloat16lEEZNS1_25segmented_radix_sort_implIS3_Lb1EPKS5_PS5_PKlPlN2at6native12_GLOBAL__N_18offset_tEEE10hipError_tPvRmT1_PNSt15iterator_traitsISL_E10value_typeET2_T3_PNSM_ISR_E10value_typeET4_jRbjT5_SX_jjP12ihipStream_tbEUlT_E0_NS1_11comp_targetILNS1_3genE9ELNS1_11target_archE1100ELNS1_3gpuE3ELNS1_3repE0EEENS1_60segmented_radix_sort_warp_sort_medium_config_static_selectorELNS0_4arch9wavefront6targetE0EEEvSL_
		.amdhsa_group_segment_fixed_size 20480
		.amdhsa_private_segment_fixed_size 0
		.amdhsa_kernarg_size 344
		.amdhsa_user_sgpr_count 14
		.amdhsa_user_sgpr_dispatch_ptr 0
		.amdhsa_user_sgpr_queue_ptr 0
		.amdhsa_user_sgpr_kernarg_segment_ptr 1
		.amdhsa_user_sgpr_dispatch_id 0
		.amdhsa_user_sgpr_private_segment_size 0
		.amdhsa_wavefront_size32 1
		.amdhsa_uses_dynamic_stack 0
		.amdhsa_enable_private_segment 0
		.amdhsa_system_sgpr_workgroup_id_x 1
		.amdhsa_system_sgpr_workgroup_id_y 1
		.amdhsa_system_sgpr_workgroup_id_z 0
		.amdhsa_system_sgpr_workgroup_info 0
		.amdhsa_system_vgpr_workitem_id 2
		.amdhsa_next_free_vgpr 71
		.amdhsa_next_free_sgpr 40
		.amdhsa_reserve_vcc 1
		.amdhsa_float_round_mode_32 0
		.amdhsa_float_round_mode_16_64 0
		.amdhsa_float_denorm_mode_32 3
		.amdhsa_float_denorm_mode_16_64 3
		.amdhsa_dx10_clamp 1
		.amdhsa_ieee_mode 1
		.amdhsa_fp16_overflow 0
		.amdhsa_workgroup_processor_mode 1
		.amdhsa_memory_ordered 1
		.amdhsa_forward_progress 0
		.amdhsa_shared_vgpr_count 0
		.amdhsa_exception_fp_ieee_invalid_op 0
		.amdhsa_exception_fp_denorm_src 0
		.amdhsa_exception_fp_ieee_div_zero 0
		.amdhsa_exception_fp_ieee_overflow 0
		.amdhsa_exception_fp_ieee_underflow 0
		.amdhsa_exception_fp_ieee_inexact 0
		.amdhsa_exception_int_div_zero 0
	.end_amdhsa_kernel
	.section	.text._ZN7rocprim17ROCPRIM_400000_NS6detail17trampoline_kernelINS0_14default_configENS1_36segmented_radix_sort_config_selectorI12hip_bfloat16lEEZNS1_25segmented_radix_sort_implIS3_Lb1EPKS5_PS5_PKlPlN2at6native12_GLOBAL__N_18offset_tEEE10hipError_tPvRmT1_PNSt15iterator_traitsISL_E10value_typeET2_T3_PNSM_ISR_E10value_typeET4_jRbjT5_SX_jjP12ihipStream_tbEUlT_E0_NS1_11comp_targetILNS1_3genE9ELNS1_11target_archE1100ELNS1_3gpuE3ELNS1_3repE0EEENS1_60segmented_radix_sort_warp_sort_medium_config_static_selectorELNS0_4arch9wavefront6targetE0EEEvSL_,"axG",@progbits,_ZN7rocprim17ROCPRIM_400000_NS6detail17trampoline_kernelINS0_14default_configENS1_36segmented_radix_sort_config_selectorI12hip_bfloat16lEEZNS1_25segmented_radix_sort_implIS3_Lb1EPKS5_PS5_PKlPlN2at6native12_GLOBAL__N_18offset_tEEE10hipError_tPvRmT1_PNSt15iterator_traitsISL_E10value_typeET2_T3_PNSM_ISR_E10value_typeET4_jRbjT5_SX_jjP12ihipStream_tbEUlT_E0_NS1_11comp_targetILNS1_3genE9ELNS1_11target_archE1100ELNS1_3gpuE3ELNS1_3repE0EEENS1_60segmented_radix_sort_warp_sort_medium_config_static_selectorELNS0_4arch9wavefront6targetE0EEEvSL_,comdat
.Lfunc_end1964:
	.size	_ZN7rocprim17ROCPRIM_400000_NS6detail17trampoline_kernelINS0_14default_configENS1_36segmented_radix_sort_config_selectorI12hip_bfloat16lEEZNS1_25segmented_radix_sort_implIS3_Lb1EPKS5_PS5_PKlPlN2at6native12_GLOBAL__N_18offset_tEEE10hipError_tPvRmT1_PNSt15iterator_traitsISL_E10value_typeET2_T3_PNSM_ISR_E10value_typeET4_jRbjT5_SX_jjP12ihipStream_tbEUlT_E0_NS1_11comp_targetILNS1_3genE9ELNS1_11target_archE1100ELNS1_3gpuE3ELNS1_3repE0EEENS1_60segmented_radix_sort_warp_sort_medium_config_static_selectorELNS0_4arch9wavefront6targetE0EEEvSL_, .Lfunc_end1964-_ZN7rocprim17ROCPRIM_400000_NS6detail17trampoline_kernelINS0_14default_configENS1_36segmented_radix_sort_config_selectorI12hip_bfloat16lEEZNS1_25segmented_radix_sort_implIS3_Lb1EPKS5_PS5_PKlPlN2at6native12_GLOBAL__N_18offset_tEEE10hipError_tPvRmT1_PNSt15iterator_traitsISL_E10value_typeET2_T3_PNSM_ISR_E10value_typeET4_jRbjT5_SX_jjP12ihipStream_tbEUlT_E0_NS1_11comp_targetILNS1_3genE9ELNS1_11target_archE1100ELNS1_3gpuE3ELNS1_3repE0EEENS1_60segmented_radix_sort_warp_sort_medium_config_static_selectorELNS0_4arch9wavefront6targetE0EEEvSL_
                                        ; -- End function
	.section	.AMDGPU.csdata,"",@progbits
; Kernel info:
; codeLenInByte = 500
; NumSgprs: 42
; NumVgprs: 71
; ScratchSize: 0
; MemoryBound: 0
; FloatMode: 240
; IeeeMode: 1
; LDSByteSize: 20480 bytes/workgroup (compile time only)
; SGPRBlocks: 5
; VGPRBlocks: 8
; NumSGPRsForWavesPerEU: 42
; NumVGPRsForWavesPerEU: 71
; Occupancy: 12
; WaveLimiterHint : 0
; COMPUTE_PGM_RSRC2:SCRATCH_EN: 0
; COMPUTE_PGM_RSRC2:USER_SGPR: 14
; COMPUTE_PGM_RSRC2:TRAP_HANDLER: 0
; COMPUTE_PGM_RSRC2:TGID_X_EN: 1
; COMPUTE_PGM_RSRC2:TGID_Y_EN: 1
; COMPUTE_PGM_RSRC2:TGID_Z_EN: 0
; COMPUTE_PGM_RSRC2:TIDIG_COMP_CNT: 2
	.section	.text._ZN7rocprim17ROCPRIM_400000_NS6detail17trampoline_kernelINS0_14default_configENS1_36segmented_radix_sort_config_selectorI12hip_bfloat16lEEZNS1_25segmented_radix_sort_implIS3_Lb1EPKS5_PS5_PKlPlN2at6native12_GLOBAL__N_18offset_tEEE10hipError_tPvRmT1_PNSt15iterator_traitsISL_E10value_typeET2_T3_PNSM_ISR_E10value_typeET4_jRbjT5_SX_jjP12ihipStream_tbEUlT_E0_NS1_11comp_targetILNS1_3genE8ELNS1_11target_archE1030ELNS1_3gpuE2ELNS1_3repE0EEENS1_60segmented_radix_sort_warp_sort_medium_config_static_selectorELNS0_4arch9wavefront6targetE0EEEvSL_,"axG",@progbits,_ZN7rocprim17ROCPRIM_400000_NS6detail17trampoline_kernelINS0_14default_configENS1_36segmented_radix_sort_config_selectorI12hip_bfloat16lEEZNS1_25segmented_radix_sort_implIS3_Lb1EPKS5_PS5_PKlPlN2at6native12_GLOBAL__N_18offset_tEEE10hipError_tPvRmT1_PNSt15iterator_traitsISL_E10value_typeET2_T3_PNSM_ISR_E10value_typeET4_jRbjT5_SX_jjP12ihipStream_tbEUlT_E0_NS1_11comp_targetILNS1_3genE8ELNS1_11target_archE1030ELNS1_3gpuE2ELNS1_3repE0EEENS1_60segmented_radix_sort_warp_sort_medium_config_static_selectorELNS0_4arch9wavefront6targetE0EEEvSL_,comdat
	.globl	_ZN7rocprim17ROCPRIM_400000_NS6detail17trampoline_kernelINS0_14default_configENS1_36segmented_radix_sort_config_selectorI12hip_bfloat16lEEZNS1_25segmented_radix_sort_implIS3_Lb1EPKS5_PS5_PKlPlN2at6native12_GLOBAL__N_18offset_tEEE10hipError_tPvRmT1_PNSt15iterator_traitsISL_E10value_typeET2_T3_PNSM_ISR_E10value_typeET4_jRbjT5_SX_jjP12ihipStream_tbEUlT_E0_NS1_11comp_targetILNS1_3genE8ELNS1_11target_archE1030ELNS1_3gpuE2ELNS1_3repE0EEENS1_60segmented_radix_sort_warp_sort_medium_config_static_selectorELNS0_4arch9wavefront6targetE0EEEvSL_ ; -- Begin function _ZN7rocprim17ROCPRIM_400000_NS6detail17trampoline_kernelINS0_14default_configENS1_36segmented_radix_sort_config_selectorI12hip_bfloat16lEEZNS1_25segmented_radix_sort_implIS3_Lb1EPKS5_PS5_PKlPlN2at6native12_GLOBAL__N_18offset_tEEE10hipError_tPvRmT1_PNSt15iterator_traitsISL_E10value_typeET2_T3_PNSM_ISR_E10value_typeET4_jRbjT5_SX_jjP12ihipStream_tbEUlT_E0_NS1_11comp_targetILNS1_3genE8ELNS1_11target_archE1030ELNS1_3gpuE2ELNS1_3repE0EEENS1_60segmented_radix_sort_warp_sort_medium_config_static_selectorELNS0_4arch9wavefront6targetE0EEEvSL_
	.p2align	8
	.type	_ZN7rocprim17ROCPRIM_400000_NS6detail17trampoline_kernelINS0_14default_configENS1_36segmented_radix_sort_config_selectorI12hip_bfloat16lEEZNS1_25segmented_radix_sort_implIS3_Lb1EPKS5_PS5_PKlPlN2at6native12_GLOBAL__N_18offset_tEEE10hipError_tPvRmT1_PNSt15iterator_traitsISL_E10value_typeET2_T3_PNSM_ISR_E10value_typeET4_jRbjT5_SX_jjP12ihipStream_tbEUlT_E0_NS1_11comp_targetILNS1_3genE8ELNS1_11target_archE1030ELNS1_3gpuE2ELNS1_3repE0EEENS1_60segmented_radix_sort_warp_sort_medium_config_static_selectorELNS0_4arch9wavefront6targetE0EEEvSL_,@function
_ZN7rocprim17ROCPRIM_400000_NS6detail17trampoline_kernelINS0_14default_configENS1_36segmented_radix_sort_config_selectorI12hip_bfloat16lEEZNS1_25segmented_radix_sort_implIS3_Lb1EPKS5_PS5_PKlPlN2at6native12_GLOBAL__N_18offset_tEEE10hipError_tPvRmT1_PNSt15iterator_traitsISL_E10value_typeET2_T3_PNSM_ISR_E10value_typeET4_jRbjT5_SX_jjP12ihipStream_tbEUlT_E0_NS1_11comp_targetILNS1_3genE8ELNS1_11target_archE1030ELNS1_3gpuE2ELNS1_3repE0EEENS1_60segmented_radix_sort_warp_sort_medium_config_static_selectorELNS0_4arch9wavefront6targetE0EEEvSL_: ; @_ZN7rocprim17ROCPRIM_400000_NS6detail17trampoline_kernelINS0_14default_configENS1_36segmented_radix_sort_config_selectorI12hip_bfloat16lEEZNS1_25segmented_radix_sort_implIS3_Lb1EPKS5_PS5_PKlPlN2at6native12_GLOBAL__N_18offset_tEEE10hipError_tPvRmT1_PNSt15iterator_traitsISL_E10value_typeET2_T3_PNSM_ISR_E10value_typeET4_jRbjT5_SX_jjP12ihipStream_tbEUlT_E0_NS1_11comp_targetILNS1_3genE8ELNS1_11target_archE1030ELNS1_3gpuE2ELNS1_3repE0EEENS1_60segmented_radix_sort_warp_sort_medium_config_static_selectorELNS0_4arch9wavefront6targetE0EEEvSL_
; %bb.0:
	.section	.rodata,"a",@progbits
	.p2align	6, 0x0
	.amdhsa_kernel _ZN7rocprim17ROCPRIM_400000_NS6detail17trampoline_kernelINS0_14default_configENS1_36segmented_radix_sort_config_selectorI12hip_bfloat16lEEZNS1_25segmented_radix_sort_implIS3_Lb1EPKS5_PS5_PKlPlN2at6native12_GLOBAL__N_18offset_tEEE10hipError_tPvRmT1_PNSt15iterator_traitsISL_E10value_typeET2_T3_PNSM_ISR_E10value_typeET4_jRbjT5_SX_jjP12ihipStream_tbEUlT_E0_NS1_11comp_targetILNS1_3genE8ELNS1_11target_archE1030ELNS1_3gpuE2ELNS1_3repE0EEENS1_60segmented_radix_sort_warp_sort_medium_config_static_selectorELNS0_4arch9wavefront6targetE0EEEvSL_
		.amdhsa_group_segment_fixed_size 0
		.amdhsa_private_segment_fixed_size 0
		.amdhsa_kernarg_size 88
		.amdhsa_user_sgpr_count 15
		.amdhsa_user_sgpr_dispatch_ptr 0
		.amdhsa_user_sgpr_queue_ptr 0
		.amdhsa_user_sgpr_kernarg_segment_ptr 1
		.amdhsa_user_sgpr_dispatch_id 0
		.amdhsa_user_sgpr_private_segment_size 0
		.amdhsa_wavefront_size32 1
		.amdhsa_uses_dynamic_stack 0
		.amdhsa_enable_private_segment 0
		.amdhsa_system_sgpr_workgroup_id_x 1
		.amdhsa_system_sgpr_workgroup_id_y 0
		.amdhsa_system_sgpr_workgroup_id_z 0
		.amdhsa_system_sgpr_workgroup_info 0
		.amdhsa_system_vgpr_workitem_id 0
		.amdhsa_next_free_vgpr 1
		.amdhsa_next_free_sgpr 1
		.amdhsa_reserve_vcc 0
		.amdhsa_float_round_mode_32 0
		.amdhsa_float_round_mode_16_64 0
		.amdhsa_float_denorm_mode_32 3
		.amdhsa_float_denorm_mode_16_64 3
		.amdhsa_dx10_clamp 1
		.amdhsa_ieee_mode 1
		.amdhsa_fp16_overflow 0
		.amdhsa_workgroup_processor_mode 1
		.amdhsa_memory_ordered 1
		.amdhsa_forward_progress 0
		.amdhsa_shared_vgpr_count 0
		.amdhsa_exception_fp_ieee_invalid_op 0
		.amdhsa_exception_fp_denorm_src 0
		.amdhsa_exception_fp_ieee_div_zero 0
		.amdhsa_exception_fp_ieee_overflow 0
		.amdhsa_exception_fp_ieee_underflow 0
		.amdhsa_exception_fp_ieee_inexact 0
		.amdhsa_exception_int_div_zero 0
	.end_amdhsa_kernel
	.section	.text._ZN7rocprim17ROCPRIM_400000_NS6detail17trampoline_kernelINS0_14default_configENS1_36segmented_radix_sort_config_selectorI12hip_bfloat16lEEZNS1_25segmented_radix_sort_implIS3_Lb1EPKS5_PS5_PKlPlN2at6native12_GLOBAL__N_18offset_tEEE10hipError_tPvRmT1_PNSt15iterator_traitsISL_E10value_typeET2_T3_PNSM_ISR_E10value_typeET4_jRbjT5_SX_jjP12ihipStream_tbEUlT_E0_NS1_11comp_targetILNS1_3genE8ELNS1_11target_archE1030ELNS1_3gpuE2ELNS1_3repE0EEENS1_60segmented_radix_sort_warp_sort_medium_config_static_selectorELNS0_4arch9wavefront6targetE0EEEvSL_,"axG",@progbits,_ZN7rocprim17ROCPRIM_400000_NS6detail17trampoline_kernelINS0_14default_configENS1_36segmented_radix_sort_config_selectorI12hip_bfloat16lEEZNS1_25segmented_radix_sort_implIS3_Lb1EPKS5_PS5_PKlPlN2at6native12_GLOBAL__N_18offset_tEEE10hipError_tPvRmT1_PNSt15iterator_traitsISL_E10value_typeET2_T3_PNSM_ISR_E10value_typeET4_jRbjT5_SX_jjP12ihipStream_tbEUlT_E0_NS1_11comp_targetILNS1_3genE8ELNS1_11target_archE1030ELNS1_3gpuE2ELNS1_3repE0EEENS1_60segmented_radix_sort_warp_sort_medium_config_static_selectorELNS0_4arch9wavefront6targetE0EEEvSL_,comdat
.Lfunc_end1965:
	.size	_ZN7rocprim17ROCPRIM_400000_NS6detail17trampoline_kernelINS0_14default_configENS1_36segmented_radix_sort_config_selectorI12hip_bfloat16lEEZNS1_25segmented_radix_sort_implIS3_Lb1EPKS5_PS5_PKlPlN2at6native12_GLOBAL__N_18offset_tEEE10hipError_tPvRmT1_PNSt15iterator_traitsISL_E10value_typeET2_T3_PNSM_ISR_E10value_typeET4_jRbjT5_SX_jjP12ihipStream_tbEUlT_E0_NS1_11comp_targetILNS1_3genE8ELNS1_11target_archE1030ELNS1_3gpuE2ELNS1_3repE0EEENS1_60segmented_radix_sort_warp_sort_medium_config_static_selectorELNS0_4arch9wavefront6targetE0EEEvSL_, .Lfunc_end1965-_ZN7rocprim17ROCPRIM_400000_NS6detail17trampoline_kernelINS0_14default_configENS1_36segmented_radix_sort_config_selectorI12hip_bfloat16lEEZNS1_25segmented_radix_sort_implIS3_Lb1EPKS5_PS5_PKlPlN2at6native12_GLOBAL__N_18offset_tEEE10hipError_tPvRmT1_PNSt15iterator_traitsISL_E10value_typeET2_T3_PNSM_ISR_E10value_typeET4_jRbjT5_SX_jjP12ihipStream_tbEUlT_E0_NS1_11comp_targetILNS1_3genE8ELNS1_11target_archE1030ELNS1_3gpuE2ELNS1_3repE0EEENS1_60segmented_radix_sort_warp_sort_medium_config_static_selectorELNS0_4arch9wavefront6targetE0EEEvSL_
                                        ; -- End function
	.section	.AMDGPU.csdata,"",@progbits
; Kernel info:
; codeLenInByte = 0
; NumSgprs: 0
; NumVgprs: 0
; ScratchSize: 0
; MemoryBound: 0
; FloatMode: 240
; IeeeMode: 1
; LDSByteSize: 0 bytes/workgroup (compile time only)
; SGPRBlocks: 0
; VGPRBlocks: 0
; NumSGPRsForWavesPerEU: 1
; NumVGPRsForWavesPerEU: 1
; Occupancy: 16
; WaveLimiterHint : 0
; COMPUTE_PGM_RSRC2:SCRATCH_EN: 0
; COMPUTE_PGM_RSRC2:USER_SGPR: 15
; COMPUTE_PGM_RSRC2:TRAP_HANDLER: 0
; COMPUTE_PGM_RSRC2:TGID_X_EN: 1
; COMPUTE_PGM_RSRC2:TGID_Y_EN: 0
; COMPUTE_PGM_RSRC2:TGID_Z_EN: 0
; COMPUTE_PGM_RSRC2:TIDIG_COMP_CNT: 0
	.section	.text._ZN7rocprim17ROCPRIM_400000_NS6detail17trampoline_kernelINS0_14default_configENS1_36segmented_radix_sort_config_selectorI12hip_bfloat16lEEZNS1_25segmented_radix_sort_implIS3_Lb1EPKS5_PS5_PKlPlN2at6native12_GLOBAL__N_18offset_tEEE10hipError_tPvRmT1_PNSt15iterator_traitsISL_E10value_typeET2_T3_PNSM_ISR_E10value_typeET4_jRbjT5_SX_jjP12ihipStream_tbEUlT_E1_NS1_11comp_targetILNS1_3genE0ELNS1_11target_archE4294967295ELNS1_3gpuE0ELNS1_3repE0EEENS1_59segmented_radix_sort_warp_sort_small_config_static_selectorELNS0_4arch9wavefront6targetE0EEEvSL_,"axG",@progbits,_ZN7rocprim17ROCPRIM_400000_NS6detail17trampoline_kernelINS0_14default_configENS1_36segmented_radix_sort_config_selectorI12hip_bfloat16lEEZNS1_25segmented_radix_sort_implIS3_Lb1EPKS5_PS5_PKlPlN2at6native12_GLOBAL__N_18offset_tEEE10hipError_tPvRmT1_PNSt15iterator_traitsISL_E10value_typeET2_T3_PNSM_ISR_E10value_typeET4_jRbjT5_SX_jjP12ihipStream_tbEUlT_E1_NS1_11comp_targetILNS1_3genE0ELNS1_11target_archE4294967295ELNS1_3gpuE0ELNS1_3repE0EEENS1_59segmented_radix_sort_warp_sort_small_config_static_selectorELNS0_4arch9wavefront6targetE0EEEvSL_,comdat
	.globl	_ZN7rocprim17ROCPRIM_400000_NS6detail17trampoline_kernelINS0_14default_configENS1_36segmented_radix_sort_config_selectorI12hip_bfloat16lEEZNS1_25segmented_radix_sort_implIS3_Lb1EPKS5_PS5_PKlPlN2at6native12_GLOBAL__N_18offset_tEEE10hipError_tPvRmT1_PNSt15iterator_traitsISL_E10value_typeET2_T3_PNSM_ISR_E10value_typeET4_jRbjT5_SX_jjP12ihipStream_tbEUlT_E1_NS1_11comp_targetILNS1_3genE0ELNS1_11target_archE4294967295ELNS1_3gpuE0ELNS1_3repE0EEENS1_59segmented_radix_sort_warp_sort_small_config_static_selectorELNS0_4arch9wavefront6targetE0EEEvSL_ ; -- Begin function _ZN7rocprim17ROCPRIM_400000_NS6detail17trampoline_kernelINS0_14default_configENS1_36segmented_radix_sort_config_selectorI12hip_bfloat16lEEZNS1_25segmented_radix_sort_implIS3_Lb1EPKS5_PS5_PKlPlN2at6native12_GLOBAL__N_18offset_tEEE10hipError_tPvRmT1_PNSt15iterator_traitsISL_E10value_typeET2_T3_PNSM_ISR_E10value_typeET4_jRbjT5_SX_jjP12ihipStream_tbEUlT_E1_NS1_11comp_targetILNS1_3genE0ELNS1_11target_archE4294967295ELNS1_3gpuE0ELNS1_3repE0EEENS1_59segmented_radix_sort_warp_sort_small_config_static_selectorELNS0_4arch9wavefront6targetE0EEEvSL_
	.p2align	8
	.type	_ZN7rocprim17ROCPRIM_400000_NS6detail17trampoline_kernelINS0_14default_configENS1_36segmented_radix_sort_config_selectorI12hip_bfloat16lEEZNS1_25segmented_radix_sort_implIS3_Lb1EPKS5_PS5_PKlPlN2at6native12_GLOBAL__N_18offset_tEEE10hipError_tPvRmT1_PNSt15iterator_traitsISL_E10value_typeET2_T3_PNSM_ISR_E10value_typeET4_jRbjT5_SX_jjP12ihipStream_tbEUlT_E1_NS1_11comp_targetILNS1_3genE0ELNS1_11target_archE4294967295ELNS1_3gpuE0ELNS1_3repE0EEENS1_59segmented_radix_sort_warp_sort_small_config_static_selectorELNS0_4arch9wavefront6targetE0EEEvSL_,@function
_ZN7rocprim17ROCPRIM_400000_NS6detail17trampoline_kernelINS0_14default_configENS1_36segmented_radix_sort_config_selectorI12hip_bfloat16lEEZNS1_25segmented_radix_sort_implIS3_Lb1EPKS5_PS5_PKlPlN2at6native12_GLOBAL__N_18offset_tEEE10hipError_tPvRmT1_PNSt15iterator_traitsISL_E10value_typeET2_T3_PNSM_ISR_E10value_typeET4_jRbjT5_SX_jjP12ihipStream_tbEUlT_E1_NS1_11comp_targetILNS1_3genE0ELNS1_11target_archE4294967295ELNS1_3gpuE0ELNS1_3repE0EEENS1_59segmented_radix_sort_warp_sort_small_config_static_selectorELNS0_4arch9wavefront6targetE0EEEvSL_: ; @_ZN7rocprim17ROCPRIM_400000_NS6detail17trampoline_kernelINS0_14default_configENS1_36segmented_radix_sort_config_selectorI12hip_bfloat16lEEZNS1_25segmented_radix_sort_implIS3_Lb1EPKS5_PS5_PKlPlN2at6native12_GLOBAL__N_18offset_tEEE10hipError_tPvRmT1_PNSt15iterator_traitsISL_E10value_typeET2_T3_PNSM_ISR_E10value_typeET4_jRbjT5_SX_jjP12ihipStream_tbEUlT_E1_NS1_11comp_targetILNS1_3genE0ELNS1_11target_archE4294967295ELNS1_3gpuE0ELNS1_3repE0EEENS1_59segmented_radix_sort_warp_sort_small_config_static_selectorELNS0_4arch9wavefront6targetE0EEEvSL_
; %bb.0:
	.section	.rodata,"a",@progbits
	.p2align	6, 0x0
	.amdhsa_kernel _ZN7rocprim17ROCPRIM_400000_NS6detail17trampoline_kernelINS0_14default_configENS1_36segmented_radix_sort_config_selectorI12hip_bfloat16lEEZNS1_25segmented_radix_sort_implIS3_Lb1EPKS5_PS5_PKlPlN2at6native12_GLOBAL__N_18offset_tEEE10hipError_tPvRmT1_PNSt15iterator_traitsISL_E10value_typeET2_T3_PNSM_ISR_E10value_typeET4_jRbjT5_SX_jjP12ihipStream_tbEUlT_E1_NS1_11comp_targetILNS1_3genE0ELNS1_11target_archE4294967295ELNS1_3gpuE0ELNS1_3repE0EEENS1_59segmented_radix_sort_warp_sort_small_config_static_selectorELNS0_4arch9wavefront6targetE0EEEvSL_
		.amdhsa_group_segment_fixed_size 0
		.amdhsa_private_segment_fixed_size 0
		.amdhsa_kernarg_size 88
		.amdhsa_user_sgpr_count 15
		.amdhsa_user_sgpr_dispatch_ptr 0
		.amdhsa_user_sgpr_queue_ptr 0
		.amdhsa_user_sgpr_kernarg_segment_ptr 1
		.amdhsa_user_sgpr_dispatch_id 0
		.amdhsa_user_sgpr_private_segment_size 0
		.amdhsa_wavefront_size32 1
		.amdhsa_uses_dynamic_stack 0
		.amdhsa_enable_private_segment 0
		.amdhsa_system_sgpr_workgroup_id_x 1
		.amdhsa_system_sgpr_workgroup_id_y 0
		.amdhsa_system_sgpr_workgroup_id_z 0
		.amdhsa_system_sgpr_workgroup_info 0
		.amdhsa_system_vgpr_workitem_id 0
		.amdhsa_next_free_vgpr 1
		.amdhsa_next_free_sgpr 1
		.amdhsa_reserve_vcc 0
		.amdhsa_float_round_mode_32 0
		.amdhsa_float_round_mode_16_64 0
		.amdhsa_float_denorm_mode_32 3
		.amdhsa_float_denorm_mode_16_64 3
		.amdhsa_dx10_clamp 1
		.amdhsa_ieee_mode 1
		.amdhsa_fp16_overflow 0
		.amdhsa_workgroup_processor_mode 1
		.amdhsa_memory_ordered 1
		.amdhsa_forward_progress 0
		.amdhsa_shared_vgpr_count 0
		.amdhsa_exception_fp_ieee_invalid_op 0
		.amdhsa_exception_fp_denorm_src 0
		.amdhsa_exception_fp_ieee_div_zero 0
		.amdhsa_exception_fp_ieee_overflow 0
		.amdhsa_exception_fp_ieee_underflow 0
		.amdhsa_exception_fp_ieee_inexact 0
		.amdhsa_exception_int_div_zero 0
	.end_amdhsa_kernel
	.section	.text._ZN7rocprim17ROCPRIM_400000_NS6detail17trampoline_kernelINS0_14default_configENS1_36segmented_radix_sort_config_selectorI12hip_bfloat16lEEZNS1_25segmented_radix_sort_implIS3_Lb1EPKS5_PS5_PKlPlN2at6native12_GLOBAL__N_18offset_tEEE10hipError_tPvRmT1_PNSt15iterator_traitsISL_E10value_typeET2_T3_PNSM_ISR_E10value_typeET4_jRbjT5_SX_jjP12ihipStream_tbEUlT_E1_NS1_11comp_targetILNS1_3genE0ELNS1_11target_archE4294967295ELNS1_3gpuE0ELNS1_3repE0EEENS1_59segmented_radix_sort_warp_sort_small_config_static_selectorELNS0_4arch9wavefront6targetE0EEEvSL_,"axG",@progbits,_ZN7rocprim17ROCPRIM_400000_NS6detail17trampoline_kernelINS0_14default_configENS1_36segmented_radix_sort_config_selectorI12hip_bfloat16lEEZNS1_25segmented_radix_sort_implIS3_Lb1EPKS5_PS5_PKlPlN2at6native12_GLOBAL__N_18offset_tEEE10hipError_tPvRmT1_PNSt15iterator_traitsISL_E10value_typeET2_T3_PNSM_ISR_E10value_typeET4_jRbjT5_SX_jjP12ihipStream_tbEUlT_E1_NS1_11comp_targetILNS1_3genE0ELNS1_11target_archE4294967295ELNS1_3gpuE0ELNS1_3repE0EEENS1_59segmented_radix_sort_warp_sort_small_config_static_selectorELNS0_4arch9wavefront6targetE0EEEvSL_,comdat
.Lfunc_end1966:
	.size	_ZN7rocprim17ROCPRIM_400000_NS6detail17trampoline_kernelINS0_14default_configENS1_36segmented_radix_sort_config_selectorI12hip_bfloat16lEEZNS1_25segmented_radix_sort_implIS3_Lb1EPKS5_PS5_PKlPlN2at6native12_GLOBAL__N_18offset_tEEE10hipError_tPvRmT1_PNSt15iterator_traitsISL_E10value_typeET2_T3_PNSM_ISR_E10value_typeET4_jRbjT5_SX_jjP12ihipStream_tbEUlT_E1_NS1_11comp_targetILNS1_3genE0ELNS1_11target_archE4294967295ELNS1_3gpuE0ELNS1_3repE0EEENS1_59segmented_radix_sort_warp_sort_small_config_static_selectorELNS0_4arch9wavefront6targetE0EEEvSL_, .Lfunc_end1966-_ZN7rocprim17ROCPRIM_400000_NS6detail17trampoline_kernelINS0_14default_configENS1_36segmented_radix_sort_config_selectorI12hip_bfloat16lEEZNS1_25segmented_radix_sort_implIS3_Lb1EPKS5_PS5_PKlPlN2at6native12_GLOBAL__N_18offset_tEEE10hipError_tPvRmT1_PNSt15iterator_traitsISL_E10value_typeET2_T3_PNSM_ISR_E10value_typeET4_jRbjT5_SX_jjP12ihipStream_tbEUlT_E1_NS1_11comp_targetILNS1_3genE0ELNS1_11target_archE4294967295ELNS1_3gpuE0ELNS1_3repE0EEENS1_59segmented_radix_sort_warp_sort_small_config_static_selectorELNS0_4arch9wavefront6targetE0EEEvSL_
                                        ; -- End function
	.section	.AMDGPU.csdata,"",@progbits
; Kernel info:
; codeLenInByte = 0
; NumSgprs: 0
; NumVgprs: 0
; ScratchSize: 0
; MemoryBound: 0
; FloatMode: 240
; IeeeMode: 1
; LDSByteSize: 0 bytes/workgroup (compile time only)
; SGPRBlocks: 0
; VGPRBlocks: 0
; NumSGPRsForWavesPerEU: 1
; NumVGPRsForWavesPerEU: 1
; Occupancy: 16
; WaveLimiterHint : 0
; COMPUTE_PGM_RSRC2:SCRATCH_EN: 0
; COMPUTE_PGM_RSRC2:USER_SGPR: 15
; COMPUTE_PGM_RSRC2:TRAP_HANDLER: 0
; COMPUTE_PGM_RSRC2:TGID_X_EN: 1
; COMPUTE_PGM_RSRC2:TGID_Y_EN: 0
; COMPUTE_PGM_RSRC2:TGID_Z_EN: 0
; COMPUTE_PGM_RSRC2:TIDIG_COMP_CNT: 0
	.section	.text._ZN7rocprim17ROCPRIM_400000_NS6detail17trampoline_kernelINS0_14default_configENS1_36segmented_radix_sort_config_selectorI12hip_bfloat16lEEZNS1_25segmented_radix_sort_implIS3_Lb1EPKS5_PS5_PKlPlN2at6native12_GLOBAL__N_18offset_tEEE10hipError_tPvRmT1_PNSt15iterator_traitsISL_E10value_typeET2_T3_PNSM_ISR_E10value_typeET4_jRbjT5_SX_jjP12ihipStream_tbEUlT_E1_NS1_11comp_targetILNS1_3genE5ELNS1_11target_archE942ELNS1_3gpuE9ELNS1_3repE0EEENS1_59segmented_radix_sort_warp_sort_small_config_static_selectorELNS0_4arch9wavefront6targetE0EEEvSL_,"axG",@progbits,_ZN7rocprim17ROCPRIM_400000_NS6detail17trampoline_kernelINS0_14default_configENS1_36segmented_radix_sort_config_selectorI12hip_bfloat16lEEZNS1_25segmented_radix_sort_implIS3_Lb1EPKS5_PS5_PKlPlN2at6native12_GLOBAL__N_18offset_tEEE10hipError_tPvRmT1_PNSt15iterator_traitsISL_E10value_typeET2_T3_PNSM_ISR_E10value_typeET4_jRbjT5_SX_jjP12ihipStream_tbEUlT_E1_NS1_11comp_targetILNS1_3genE5ELNS1_11target_archE942ELNS1_3gpuE9ELNS1_3repE0EEENS1_59segmented_radix_sort_warp_sort_small_config_static_selectorELNS0_4arch9wavefront6targetE0EEEvSL_,comdat
	.globl	_ZN7rocprim17ROCPRIM_400000_NS6detail17trampoline_kernelINS0_14default_configENS1_36segmented_radix_sort_config_selectorI12hip_bfloat16lEEZNS1_25segmented_radix_sort_implIS3_Lb1EPKS5_PS5_PKlPlN2at6native12_GLOBAL__N_18offset_tEEE10hipError_tPvRmT1_PNSt15iterator_traitsISL_E10value_typeET2_T3_PNSM_ISR_E10value_typeET4_jRbjT5_SX_jjP12ihipStream_tbEUlT_E1_NS1_11comp_targetILNS1_3genE5ELNS1_11target_archE942ELNS1_3gpuE9ELNS1_3repE0EEENS1_59segmented_radix_sort_warp_sort_small_config_static_selectorELNS0_4arch9wavefront6targetE0EEEvSL_ ; -- Begin function _ZN7rocprim17ROCPRIM_400000_NS6detail17trampoline_kernelINS0_14default_configENS1_36segmented_radix_sort_config_selectorI12hip_bfloat16lEEZNS1_25segmented_radix_sort_implIS3_Lb1EPKS5_PS5_PKlPlN2at6native12_GLOBAL__N_18offset_tEEE10hipError_tPvRmT1_PNSt15iterator_traitsISL_E10value_typeET2_T3_PNSM_ISR_E10value_typeET4_jRbjT5_SX_jjP12ihipStream_tbEUlT_E1_NS1_11comp_targetILNS1_3genE5ELNS1_11target_archE942ELNS1_3gpuE9ELNS1_3repE0EEENS1_59segmented_radix_sort_warp_sort_small_config_static_selectorELNS0_4arch9wavefront6targetE0EEEvSL_
	.p2align	8
	.type	_ZN7rocprim17ROCPRIM_400000_NS6detail17trampoline_kernelINS0_14default_configENS1_36segmented_radix_sort_config_selectorI12hip_bfloat16lEEZNS1_25segmented_radix_sort_implIS3_Lb1EPKS5_PS5_PKlPlN2at6native12_GLOBAL__N_18offset_tEEE10hipError_tPvRmT1_PNSt15iterator_traitsISL_E10value_typeET2_T3_PNSM_ISR_E10value_typeET4_jRbjT5_SX_jjP12ihipStream_tbEUlT_E1_NS1_11comp_targetILNS1_3genE5ELNS1_11target_archE942ELNS1_3gpuE9ELNS1_3repE0EEENS1_59segmented_radix_sort_warp_sort_small_config_static_selectorELNS0_4arch9wavefront6targetE0EEEvSL_,@function
_ZN7rocprim17ROCPRIM_400000_NS6detail17trampoline_kernelINS0_14default_configENS1_36segmented_radix_sort_config_selectorI12hip_bfloat16lEEZNS1_25segmented_radix_sort_implIS3_Lb1EPKS5_PS5_PKlPlN2at6native12_GLOBAL__N_18offset_tEEE10hipError_tPvRmT1_PNSt15iterator_traitsISL_E10value_typeET2_T3_PNSM_ISR_E10value_typeET4_jRbjT5_SX_jjP12ihipStream_tbEUlT_E1_NS1_11comp_targetILNS1_3genE5ELNS1_11target_archE942ELNS1_3gpuE9ELNS1_3repE0EEENS1_59segmented_radix_sort_warp_sort_small_config_static_selectorELNS0_4arch9wavefront6targetE0EEEvSL_: ; @_ZN7rocprim17ROCPRIM_400000_NS6detail17trampoline_kernelINS0_14default_configENS1_36segmented_radix_sort_config_selectorI12hip_bfloat16lEEZNS1_25segmented_radix_sort_implIS3_Lb1EPKS5_PS5_PKlPlN2at6native12_GLOBAL__N_18offset_tEEE10hipError_tPvRmT1_PNSt15iterator_traitsISL_E10value_typeET2_T3_PNSM_ISR_E10value_typeET4_jRbjT5_SX_jjP12ihipStream_tbEUlT_E1_NS1_11comp_targetILNS1_3genE5ELNS1_11target_archE942ELNS1_3gpuE9ELNS1_3repE0EEENS1_59segmented_radix_sort_warp_sort_small_config_static_selectorELNS0_4arch9wavefront6targetE0EEEvSL_
; %bb.0:
	.section	.rodata,"a",@progbits
	.p2align	6, 0x0
	.amdhsa_kernel _ZN7rocprim17ROCPRIM_400000_NS6detail17trampoline_kernelINS0_14default_configENS1_36segmented_radix_sort_config_selectorI12hip_bfloat16lEEZNS1_25segmented_radix_sort_implIS3_Lb1EPKS5_PS5_PKlPlN2at6native12_GLOBAL__N_18offset_tEEE10hipError_tPvRmT1_PNSt15iterator_traitsISL_E10value_typeET2_T3_PNSM_ISR_E10value_typeET4_jRbjT5_SX_jjP12ihipStream_tbEUlT_E1_NS1_11comp_targetILNS1_3genE5ELNS1_11target_archE942ELNS1_3gpuE9ELNS1_3repE0EEENS1_59segmented_radix_sort_warp_sort_small_config_static_selectorELNS0_4arch9wavefront6targetE0EEEvSL_
		.amdhsa_group_segment_fixed_size 0
		.amdhsa_private_segment_fixed_size 0
		.amdhsa_kernarg_size 88
		.amdhsa_user_sgpr_count 15
		.amdhsa_user_sgpr_dispatch_ptr 0
		.amdhsa_user_sgpr_queue_ptr 0
		.amdhsa_user_sgpr_kernarg_segment_ptr 1
		.amdhsa_user_sgpr_dispatch_id 0
		.amdhsa_user_sgpr_private_segment_size 0
		.amdhsa_wavefront_size32 1
		.amdhsa_uses_dynamic_stack 0
		.amdhsa_enable_private_segment 0
		.amdhsa_system_sgpr_workgroup_id_x 1
		.amdhsa_system_sgpr_workgroup_id_y 0
		.amdhsa_system_sgpr_workgroup_id_z 0
		.amdhsa_system_sgpr_workgroup_info 0
		.amdhsa_system_vgpr_workitem_id 0
		.amdhsa_next_free_vgpr 1
		.amdhsa_next_free_sgpr 1
		.amdhsa_reserve_vcc 0
		.amdhsa_float_round_mode_32 0
		.amdhsa_float_round_mode_16_64 0
		.amdhsa_float_denorm_mode_32 3
		.amdhsa_float_denorm_mode_16_64 3
		.amdhsa_dx10_clamp 1
		.amdhsa_ieee_mode 1
		.amdhsa_fp16_overflow 0
		.amdhsa_workgroup_processor_mode 1
		.amdhsa_memory_ordered 1
		.amdhsa_forward_progress 0
		.amdhsa_shared_vgpr_count 0
		.amdhsa_exception_fp_ieee_invalid_op 0
		.amdhsa_exception_fp_denorm_src 0
		.amdhsa_exception_fp_ieee_div_zero 0
		.amdhsa_exception_fp_ieee_overflow 0
		.amdhsa_exception_fp_ieee_underflow 0
		.amdhsa_exception_fp_ieee_inexact 0
		.amdhsa_exception_int_div_zero 0
	.end_amdhsa_kernel
	.section	.text._ZN7rocprim17ROCPRIM_400000_NS6detail17trampoline_kernelINS0_14default_configENS1_36segmented_radix_sort_config_selectorI12hip_bfloat16lEEZNS1_25segmented_radix_sort_implIS3_Lb1EPKS5_PS5_PKlPlN2at6native12_GLOBAL__N_18offset_tEEE10hipError_tPvRmT1_PNSt15iterator_traitsISL_E10value_typeET2_T3_PNSM_ISR_E10value_typeET4_jRbjT5_SX_jjP12ihipStream_tbEUlT_E1_NS1_11comp_targetILNS1_3genE5ELNS1_11target_archE942ELNS1_3gpuE9ELNS1_3repE0EEENS1_59segmented_radix_sort_warp_sort_small_config_static_selectorELNS0_4arch9wavefront6targetE0EEEvSL_,"axG",@progbits,_ZN7rocprim17ROCPRIM_400000_NS6detail17trampoline_kernelINS0_14default_configENS1_36segmented_radix_sort_config_selectorI12hip_bfloat16lEEZNS1_25segmented_radix_sort_implIS3_Lb1EPKS5_PS5_PKlPlN2at6native12_GLOBAL__N_18offset_tEEE10hipError_tPvRmT1_PNSt15iterator_traitsISL_E10value_typeET2_T3_PNSM_ISR_E10value_typeET4_jRbjT5_SX_jjP12ihipStream_tbEUlT_E1_NS1_11comp_targetILNS1_3genE5ELNS1_11target_archE942ELNS1_3gpuE9ELNS1_3repE0EEENS1_59segmented_radix_sort_warp_sort_small_config_static_selectorELNS0_4arch9wavefront6targetE0EEEvSL_,comdat
.Lfunc_end1967:
	.size	_ZN7rocprim17ROCPRIM_400000_NS6detail17trampoline_kernelINS0_14default_configENS1_36segmented_radix_sort_config_selectorI12hip_bfloat16lEEZNS1_25segmented_radix_sort_implIS3_Lb1EPKS5_PS5_PKlPlN2at6native12_GLOBAL__N_18offset_tEEE10hipError_tPvRmT1_PNSt15iterator_traitsISL_E10value_typeET2_T3_PNSM_ISR_E10value_typeET4_jRbjT5_SX_jjP12ihipStream_tbEUlT_E1_NS1_11comp_targetILNS1_3genE5ELNS1_11target_archE942ELNS1_3gpuE9ELNS1_3repE0EEENS1_59segmented_radix_sort_warp_sort_small_config_static_selectorELNS0_4arch9wavefront6targetE0EEEvSL_, .Lfunc_end1967-_ZN7rocprim17ROCPRIM_400000_NS6detail17trampoline_kernelINS0_14default_configENS1_36segmented_radix_sort_config_selectorI12hip_bfloat16lEEZNS1_25segmented_radix_sort_implIS3_Lb1EPKS5_PS5_PKlPlN2at6native12_GLOBAL__N_18offset_tEEE10hipError_tPvRmT1_PNSt15iterator_traitsISL_E10value_typeET2_T3_PNSM_ISR_E10value_typeET4_jRbjT5_SX_jjP12ihipStream_tbEUlT_E1_NS1_11comp_targetILNS1_3genE5ELNS1_11target_archE942ELNS1_3gpuE9ELNS1_3repE0EEENS1_59segmented_radix_sort_warp_sort_small_config_static_selectorELNS0_4arch9wavefront6targetE0EEEvSL_
                                        ; -- End function
	.section	.AMDGPU.csdata,"",@progbits
; Kernel info:
; codeLenInByte = 0
; NumSgprs: 0
; NumVgprs: 0
; ScratchSize: 0
; MemoryBound: 0
; FloatMode: 240
; IeeeMode: 1
; LDSByteSize: 0 bytes/workgroup (compile time only)
; SGPRBlocks: 0
; VGPRBlocks: 0
; NumSGPRsForWavesPerEU: 1
; NumVGPRsForWavesPerEU: 1
; Occupancy: 16
; WaveLimiterHint : 0
; COMPUTE_PGM_RSRC2:SCRATCH_EN: 0
; COMPUTE_PGM_RSRC2:USER_SGPR: 15
; COMPUTE_PGM_RSRC2:TRAP_HANDLER: 0
; COMPUTE_PGM_RSRC2:TGID_X_EN: 1
; COMPUTE_PGM_RSRC2:TGID_Y_EN: 0
; COMPUTE_PGM_RSRC2:TGID_Z_EN: 0
; COMPUTE_PGM_RSRC2:TIDIG_COMP_CNT: 0
	.section	.text._ZN7rocprim17ROCPRIM_400000_NS6detail17trampoline_kernelINS0_14default_configENS1_36segmented_radix_sort_config_selectorI12hip_bfloat16lEEZNS1_25segmented_radix_sort_implIS3_Lb1EPKS5_PS5_PKlPlN2at6native12_GLOBAL__N_18offset_tEEE10hipError_tPvRmT1_PNSt15iterator_traitsISL_E10value_typeET2_T3_PNSM_ISR_E10value_typeET4_jRbjT5_SX_jjP12ihipStream_tbEUlT_E1_NS1_11comp_targetILNS1_3genE4ELNS1_11target_archE910ELNS1_3gpuE8ELNS1_3repE0EEENS1_59segmented_radix_sort_warp_sort_small_config_static_selectorELNS0_4arch9wavefront6targetE0EEEvSL_,"axG",@progbits,_ZN7rocprim17ROCPRIM_400000_NS6detail17trampoline_kernelINS0_14default_configENS1_36segmented_radix_sort_config_selectorI12hip_bfloat16lEEZNS1_25segmented_radix_sort_implIS3_Lb1EPKS5_PS5_PKlPlN2at6native12_GLOBAL__N_18offset_tEEE10hipError_tPvRmT1_PNSt15iterator_traitsISL_E10value_typeET2_T3_PNSM_ISR_E10value_typeET4_jRbjT5_SX_jjP12ihipStream_tbEUlT_E1_NS1_11comp_targetILNS1_3genE4ELNS1_11target_archE910ELNS1_3gpuE8ELNS1_3repE0EEENS1_59segmented_radix_sort_warp_sort_small_config_static_selectorELNS0_4arch9wavefront6targetE0EEEvSL_,comdat
	.globl	_ZN7rocprim17ROCPRIM_400000_NS6detail17trampoline_kernelINS0_14default_configENS1_36segmented_radix_sort_config_selectorI12hip_bfloat16lEEZNS1_25segmented_radix_sort_implIS3_Lb1EPKS5_PS5_PKlPlN2at6native12_GLOBAL__N_18offset_tEEE10hipError_tPvRmT1_PNSt15iterator_traitsISL_E10value_typeET2_T3_PNSM_ISR_E10value_typeET4_jRbjT5_SX_jjP12ihipStream_tbEUlT_E1_NS1_11comp_targetILNS1_3genE4ELNS1_11target_archE910ELNS1_3gpuE8ELNS1_3repE0EEENS1_59segmented_radix_sort_warp_sort_small_config_static_selectorELNS0_4arch9wavefront6targetE0EEEvSL_ ; -- Begin function _ZN7rocprim17ROCPRIM_400000_NS6detail17trampoline_kernelINS0_14default_configENS1_36segmented_radix_sort_config_selectorI12hip_bfloat16lEEZNS1_25segmented_radix_sort_implIS3_Lb1EPKS5_PS5_PKlPlN2at6native12_GLOBAL__N_18offset_tEEE10hipError_tPvRmT1_PNSt15iterator_traitsISL_E10value_typeET2_T3_PNSM_ISR_E10value_typeET4_jRbjT5_SX_jjP12ihipStream_tbEUlT_E1_NS1_11comp_targetILNS1_3genE4ELNS1_11target_archE910ELNS1_3gpuE8ELNS1_3repE0EEENS1_59segmented_radix_sort_warp_sort_small_config_static_selectorELNS0_4arch9wavefront6targetE0EEEvSL_
	.p2align	8
	.type	_ZN7rocprim17ROCPRIM_400000_NS6detail17trampoline_kernelINS0_14default_configENS1_36segmented_radix_sort_config_selectorI12hip_bfloat16lEEZNS1_25segmented_radix_sort_implIS3_Lb1EPKS5_PS5_PKlPlN2at6native12_GLOBAL__N_18offset_tEEE10hipError_tPvRmT1_PNSt15iterator_traitsISL_E10value_typeET2_T3_PNSM_ISR_E10value_typeET4_jRbjT5_SX_jjP12ihipStream_tbEUlT_E1_NS1_11comp_targetILNS1_3genE4ELNS1_11target_archE910ELNS1_3gpuE8ELNS1_3repE0EEENS1_59segmented_radix_sort_warp_sort_small_config_static_selectorELNS0_4arch9wavefront6targetE0EEEvSL_,@function
_ZN7rocprim17ROCPRIM_400000_NS6detail17trampoline_kernelINS0_14default_configENS1_36segmented_radix_sort_config_selectorI12hip_bfloat16lEEZNS1_25segmented_radix_sort_implIS3_Lb1EPKS5_PS5_PKlPlN2at6native12_GLOBAL__N_18offset_tEEE10hipError_tPvRmT1_PNSt15iterator_traitsISL_E10value_typeET2_T3_PNSM_ISR_E10value_typeET4_jRbjT5_SX_jjP12ihipStream_tbEUlT_E1_NS1_11comp_targetILNS1_3genE4ELNS1_11target_archE910ELNS1_3gpuE8ELNS1_3repE0EEENS1_59segmented_radix_sort_warp_sort_small_config_static_selectorELNS0_4arch9wavefront6targetE0EEEvSL_: ; @_ZN7rocprim17ROCPRIM_400000_NS6detail17trampoline_kernelINS0_14default_configENS1_36segmented_radix_sort_config_selectorI12hip_bfloat16lEEZNS1_25segmented_radix_sort_implIS3_Lb1EPKS5_PS5_PKlPlN2at6native12_GLOBAL__N_18offset_tEEE10hipError_tPvRmT1_PNSt15iterator_traitsISL_E10value_typeET2_T3_PNSM_ISR_E10value_typeET4_jRbjT5_SX_jjP12ihipStream_tbEUlT_E1_NS1_11comp_targetILNS1_3genE4ELNS1_11target_archE910ELNS1_3gpuE8ELNS1_3repE0EEENS1_59segmented_radix_sort_warp_sort_small_config_static_selectorELNS0_4arch9wavefront6targetE0EEEvSL_
; %bb.0:
	.section	.rodata,"a",@progbits
	.p2align	6, 0x0
	.amdhsa_kernel _ZN7rocprim17ROCPRIM_400000_NS6detail17trampoline_kernelINS0_14default_configENS1_36segmented_radix_sort_config_selectorI12hip_bfloat16lEEZNS1_25segmented_radix_sort_implIS3_Lb1EPKS5_PS5_PKlPlN2at6native12_GLOBAL__N_18offset_tEEE10hipError_tPvRmT1_PNSt15iterator_traitsISL_E10value_typeET2_T3_PNSM_ISR_E10value_typeET4_jRbjT5_SX_jjP12ihipStream_tbEUlT_E1_NS1_11comp_targetILNS1_3genE4ELNS1_11target_archE910ELNS1_3gpuE8ELNS1_3repE0EEENS1_59segmented_radix_sort_warp_sort_small_config_static_selectorELNS0_4arch9wavefront6targetE0EEEvSL_
		.amdhsa_group_segment_fixed_size 0
		.amdhsa_private_segment_fixed_size 0
		.amdhsa_kernarg_size 88
		.amdhsa_user_sgpr_count 15
		.amdhsa_user_sgpr_dispatch_ptr 0
		.amdhsa_user_sgpr_queue_ptr 0
		.amdhsa_user_sgpr_kernarg_segment_ptr 1
		.amdhsa_user_sgpr_dispatch_id 0
		.amdhsa_user_sgpr_private_segment_size 0
		.amdhsa_wavefront_size32 1
		.amdhsa_uses_dynamic_stack 0
		.amdhsa_enable_private_segment 0
		.amdhsa_system_sgpr_workgroup_id_x 1
		.amdhsa_system_sgpr_workgroup_id_y 0
		.amdhsa_system_sgpr_workgroup_id_z 0
		.amdhsa_system_sgpr_workgroup_info 0
		.amdhsa_system_vgpr_workitem_id 0
		.amdhsa_next_free_vgpr 1
		.amdhsa_next_free_sgpr 1
		.amdhsa_reserve_vcc 0
		.amdhsa_float_round_mode_32 0
		.amdhsa_float_round_mode_16_64 0
		.amdhsa_float_denorm_mode_32 3
		.amdhsa_float_denorm_mode_16_64 3
		.amdhsa_dx10_clamp 1
		.amdhsa_ieee_mode 1
		.amdhsa_fp16_overflow 0
		.amdhsa_workgroup_processor_mode 1
		.amdhsa_memory_ordered 1
		.amdhsa_forward_progress 0
		.amdhsa_shared_vgpr_count 0
		.amdhsa_exception_fp_ieee_invalid_op 0
		.amdhsa_exception_fp_denorm_src 0
		.amdhsa_exception_fp_ieee_div_zero 0
		.amdhsa_exception_fp_ieee_overflow 0
		.amdhsa_exception_fp_ieee_underflow 0
		.amdhsa_exception_fp_ieee_inexact 0
		.amdhsa_exception_int_div_zero 0
	.end_amdhsa_kernel
	.section	.text._ZN7rocprim17ROCPRIM_400000_NS6detail17trampoline_kernelINS0_14default_configENS1_36segmented_radix_sort_config_selectorI12hip_bfloat16lEEZNS1_25segmented_radix_sort_implIS3_Lb1EPKS5_PS5_PKlPlN2at6native12_GLOBAL__N_18offset_tEEE10hipError_tPvRmT1_PNSt15iterator_traitsISL_E10value_typeET2_T3_PNSM_ISR_E10value_typeET4_jRbjT5_SX_jjP12ihipStream_tbEUlT_E1_NS1_11comp_targetILNS1_3genE4ELNS1_11target_archE910ELNS1_3gpuE8ELNS1_3repE0EEENS1_59segmented_radix_sort_warp_sort_small_config_static_selectorELNS0_4arch9wavefront6targetE0EEEvSL_,"axG",@progbits,_ZN7rocprim17ROCPRIM_400000_NS6detail17trampoline_kernelINS0_14default_configENS1_36segmented_radix_sort_config_selectorI12hip_bfloat16lEEZNS1_25segmented_radix_sort_implIS3_Lb1EPKS5_PS5_PKlPlN2at6native12_GLOBAL__N_18offset_tEEE10hipError_tPvRmT1_PNSt15iterator_traitsISL_E10value_typeET2_T3_PNSM_ISR_E10value_typeET4_jRbjT5_SX_jjP12ihipStream_tbEUlT_E1_NS1_11comp_targetILNS1_3genE4ELNS1_11target_archE910ELNS1_3gpuE8ELNS1_3repE0EEENS1_59segmented_radix_sort_warp_sort_small_config_static_selectorELNS0_4arch9wavefront6targetE0EEEvSL_,comdat
.Lfunc_end1968:
	.size	_ZN7rocprim17ROCPRIM_400000_NS6detail17trampoline_kernelINS0_14default_configENS1_36segmented_radix_sort_config_selectorI12hip_bfloat16lEEZNS1_25segmented_radix_sort_implIS3_Lb1EPKS5_PS5_PKlPlN2at6native12_GLOBAL__N_18offset_tEEE10hipError_tPvRmT1_PNSt15iterator_traitsISL_E10value_typeET2_T3_PNSM_ISR_E10value_typeET4_jRbjT5_SX_jjP12ihipStream_tbEUlT_E1_NS1_11comp_targetILNS1_3genE4ELNS1_11target_archE910ELNS1_3gpuE8ELNS1_3repE0EEENS1_59segmented_radix_sort_warp_sort_small_config_static_selectorELNS0_4arch9wavefront6targetE0EEEvSL_, .Lfunc_end1968-_ZN7rocprim17ROCPRIM_400000_NS6detail17trampoline_kernelINS0_14default_configENS1_36segmented_radix_sort_config_selectorI12hip_bfloat16lEEZNS1_25segmented_radix_sort_implIS3_Lb1EPKS5_PS5_PKlPlN2at6native12_GLOBAL__N_18offset_tEEE10hipError_tPvRmT1_PNSt15iterator_traitsISL_E10value_typeET2_T3_PNSM_ISR_E10value_typeET4_jRbjT5_SX_jjP12ihipStream_tbEUlT_E1_NS1_11comp_targetILNS1_3genE4ELNS1_11target_archE910ELNS1_3gpuE8ELNS1_3repE0EEENS1_59segmented_radix_sort_warp_sort_small_config_static_selectorELNS0_4arch9wavefront6targetE0EEEvSL_
                                        ; -- End function
	.section	.AMDGPU.csdata,"",@progbits
; Kernel info:
; codeLenInByte = 0
; NumSgprs: 0
; NumVgprs: 0
; ScratchSize: 0
; MemoryBound: 0
; FloatMode: 240
; IeeeMode: 1
; LDSByteSize: 0 bytes/workgroup (compile time only)
; SGPRBlocks: 0
; VGPRBlocks: 0
; NumSGPRsForWavesPerEU: 1
; NumVGPRsForWavesPerEU: 1
; Occupancy: 16
; WaveLimiterHint : 0
; COMPUTE_PGM_RSRC2:SCRATCH_EN: 0
; COMPUTE_PGM_RSRC2:USER_SGPR: 15
; COMPUTE_PGM_RSRC2:TRAP_HANDLER: 0
; COMPUTE_PGM_RSRC2:TGID_X_EN: 1
; COMPUTE_PGM_RSRC2:TGID_Y_EN: 0
; COMPUTE_PGM_RSRC2:TGID_Z_EN: 0
; COMPUTE_PGM_RSRC2:TIDIG_COMP_CNT: 0
	.section	.text._ZN7rocprim17ROCPRIM_400000_NS6detail17trampoline_kernelINS0_14default_configENS1_36segmented_radix_sort_config_selectorI12hip_bfloat16lEEZNS1_25segmented_radix_sort_implIS3_Lb1EPKS5_PS5_PKlPlN2at6native12_GLOBAL__N_18offset_tEEE10hipError_tPvRmT1_PNSt15iterator_traitsISL_E10value_typeET2_T3_PNSM_ISR_E10value_typeET4_jRbjT5_SX_jjP12ihipStream_tbEUlT_E1_NS1_11comp_targetILNS1_3genE3ELNS1_11target_archE908ELNS1_3gpuE7ELNS1_3repE0EEENS1_59segmented_radix_sort_warp_sort_small_config_static_selectorELNS0_4arch9wavefront6targetE0EEEvSL_,"axG",@progbits,_ZN7rocprim17ROCPRIM_400000_NS6detail17trampoline_kernelINS0_14default_configENS1_36segmented_radix_sort_config_selectorI12hip_bfloat16lEEZNS1_25segmented_radix_sort_implIS3_Lb1EPKS5_PS5_PKlPlN2at6native12_GLOBAL__N_18offset_tEEE10hipError_tPvRmT1_PNSt15iterator_traitsISL_E10value_typeET2_T3_PNSM_ISR_E10value_typeET4_jRbjT5_SX_jjP12ihipStream_tbEUlT_E1_NS1_11comp_targetILNS1_3genE3ELNS1_11target_archE908ELNS1_3gpuE7ELNS1_3repE0EEENS1_59segmented_radix_sort_warp_sort_small_config_static_selectorELNS0_4arch9wavefront6targetE0EEEvSL_,comdat
	.globl	_ZN7rocprim17ROCPRIM_400000_NS6detail17trampoline_kernelINS0_14default_configENS1_36segmented_radix_sort_config_selectorI12hip_bfloat16lEEZNS1_25segmented_radix_sort_implIS3_Lb1EPKS5_PS5_PKlPlN2at6native12_GLOBAL__N_18offset_tEEE10hipError_tPvRmT1_PNSt15iterator_traitsISL_E10value_typeET2_T3_PNSM_ISR_E10value_typeET4_jRbjT5_SX_jjP12ihipStream_tbEUlT_E1_NS1_11comp_targetILNS1_3genE3ELNS1_11target_archE908ELNS1_3gpuE7ELNS1_3repE0EEENS1_59segmented_radix_sort_warp_sort_small_config_static_selectorELNS0_4arch9wavefront6targetE0EEEvSL_ ; -- Begin function _ZN7rocprim17ROCPRIM_400000_NS6detail17trampoline_kernelINS0_14default_configENS1_36segmented_radix_sort_config_selectorI12hip_bfloat16lEEZNS1_25segmented_radix_sort_implIS3_Lb1EPKS5_PS5_PKlPlN2at6native12_GLOBAL__N_18offset_tEEE10hipError_tPvRmT1_PNSt15iterator_traitsISL_E10value_typeET2_T3_PNSM_ISR_E10value_typeET4_jRbjT5_SX_jjP12ihipStream_tbEUlT_E1_NS1_11comp_targetILNS1_3genE3ELNS1_11target_archE908ELNS1_3gpuE7ELNS1_3repE0EEENS1_59segmented_radix_sort_warp_sort_small_config_static_selectorELNS0_4arch9wavefront6targetE0EEEvSL_
	.p2align	8
	.type	_ZN7rocprim17ROCPRIM_400000_NS6detail17trampoline_kernelINS0_14default_configENS1_36segmented_radix_sort_config_selectorI12hip_bfloat16lEEZNS1_25segmented_radix_sort_implIS3_Lb1EPKS5_PS5_PKlPlN2at6native12_GLOBAL__N_18offset_tEEE10hipError_tPvRmT1_PNSt15iterator_traitsISL_E10value_typeET2_T3_PNSM_ISR_E10value_typeET4_jRbjT5_SX_jjP12ihipStream_tbEUlT_E1_NS1_11comp_targetILNS1_3genE3ELNS1_11target_archE908ELNS1_3gpuE7ELNS1_3repE0EEENS1_59segmented_radix_sort_warp_sort_small_config_static_selectorELNS0_4arch9wavefront6targetE0EEEvSL_,@function
_ZN7rocprim17ROCPRIM_400000_NS6detail17trampoline_kernelINS0_14default_configENS1_36segmented_radix_sort_config_selectorI12hip_bfloat16lEEZNS1_25segmented_radix_sort_implIS3_Lb1EPKS5_PS5_PKlPlN2at6native12_GLOBAL__N_18offset_tEEE10hipError_tPvRmT1_PNSt15iterator_traitsISL_E10value_typeET2_T3_PNSM_ISR_E10value_typeET4_jRbjT5_SX_jjP12ihipStream_tbEUlT_E1_NS1_11comp_targetILNS1_3genE3ELNS1_11target_archE908ELNS1_3gpuE7ELNS1_3repE0EEENS1_59segmented_radix_sort_warp_sort_small_config_static_selectorELNS0_4arch9wavefront6targetE0EEEvSL_: ; @_ZN7rocprim17ROCPRIM_400000_NS6detail17trampoline_kernelINS0_14default_configENS1_36segmented_radix_sort_config_selectorI12hip_bfloat16lEEZNS1_25segmented_radix_sort_implIS3_Lb1EPKS5_PS5_PKlPlN2at6native12_GLOBAL__N_18offset_tEEE10hipError_tPvRmT1_PNSt15iterator_traitsISL_E10value_typeET2_T3_PNSM_ISR_E10value_typeET4_jRbjT5_SX_jjP12ihipStream_tbEUlT_E1_NS1_11comp_targetILNS1_3genE3ELNS1_11target_archE908ELNS1_3gpuE7ELNS1_3repE0EEENS1_59segmented_radix_sort_warp_sort_small_config_static_selectorELNS0_4arch9wavefront6targetE0EEEvSL_
; %bb.0:
	.section	.rodata,"a",@progbits
	.p2align	6, 0x0
	.amdhsa_kernel _ZN7rocprim17ROCPRIM_400000_NS6detail17trampoline_kernelINS0_14default_configENS1_36segmented_radix_sort_config_selectorI12hip_bfloat16lEEZNS1_25segmented_radix_sort_implIS3_Lb1EPKS5_PS5_PKlPlN2at6native12_GLOBAL__N_18offset_tEEE10hipError_tPvRmT1_PNSt15iterator_traitsISL_E10value_typeET2_T3_PNSM_ISR_E10value_typeET4_jRbjT5_SX_jjP12ihipStream_tbEUlT_E1_NS1_11comp_targetILNS1_3genE3ELNS1_11target_archE908ELNS1_3gpuE7ELNS1_3repE0EEENS1_59segmented_radix_sort_warp_sort_small_config_static_selectorELNS0_4arch9wavefront6targetE0EEEvSL_
		.amdhsa_group_segment_fixed_size 0
		.amdhsa_private_segment_fixed_size 0
		.amdhsa_kernarg_size 88
		.amdhsa_user_sgpr_count 15
		.amdhsa_user_sgpr_dispatch_ptr 0
		.amdhsa_user_sgpr_queue_ptr 0
		.amdhsa_user_sgpr_kernarg_segment_ptr 1
		.amdhsa_user_sgpr_dispatch_id 0
		.amdhsa_user_sgpr_private_segment_size 0
		.amdhsa_wavefront_size32 1
		.amdhsa_uses_dynamic_stack 0
		.amdhsa_enable_private_segment 0
		.amdhsa_system_sgpr_workgroup_id_x 1
		.amdhsa_system_sgpr_workgroup_id_y 0
		.amdhsa_system_sgpr_workgroup_id_z 0
		.amdhsa_system_sgpr_workgroup_info 0
		.amdhsa_system_vgpr_workitem_id 0
		.amdhsa_next_free_vgpr 1
		.amdhsa_next_free_sgpr 1
		.amdhsa_reserve_vcc 0
		.amdhsa_float_round_mode_32 0
		.amdhsa_float_round_mode_16_64 0
		.amdhsa_float_denorm_mode_32 3
		.amdhsa_float_denorm_mode_16_64 3
		.amdhsa_dx10_clamp 1
		.amdhsa_ieee_mode 1
		.amdhsa_fp16_overflow 0
		.amdhsa_workgroup_processor_mode 1
		.amdhsa_memory_ordered 1
		.amdhsa_forward_progress 0
		.amdhsa_shared_vgpr_count 0
		.amdhsa_exception_fp_ieee_invalid_op 0
		.amdhsa_exception_fp_denorm_src 0
		.amdhsa_exception_fp_ieee_div_zero 0
		.amdhsa_exception_fp_ieee_overflow 0
		.amdhsa_exception_fp_ieee_underflow 0
		.amdhsa_exception_fp_ieee_inexact 0
		.amdhsa_exception_int_div_zero 0
	.end_amdhsa_kernel
	.section	.text._ZN7rocprim17ROCPRIM_400000_NS6detail17trampoline_kernelINS0_14default_configENS1_36segmented_radix_sort_config_selectorI12hip_bfloat16lEEZNS1_25segmented_radix_sort_implIS3_Lb1EPKS5_PS5_PKlPlN2at6native12_GLOBAL__N_18offset_tEEE10hipError_tPvRmT1_PNSt15iterator_traitsISL_E10value_typeET2_T3_PNSM_ISR_E10value_typeET4_jRbjT5_SX_jjP12ihipStream_tbEUlT_E1_NS1_11comp_targetILNS1_3genE3ELNS1_11target_archE908ELNS1_3gpuE7ELNS1_3repE0EEENS1_59segmented_radix_sort_warp_sort_small_config_static_selectorELNS0_4arch9wavefront6targetE0EEEvSL_,"axG",@progbits,_ZN7rocprim17ROCPRIM_400000_NS6detail17trampoline_kernelINS0_14default_configENS1_36segmented_radix_sort_config_selectorI12hip_bfloat16lEEZNS1_25segmented_radix_sort_implIS3_Lb1EPKS5_PS5_PKlPlN2at6native12_GLOBAL__N_18offset_tEEE10hipError_tPvRmT1_PNSt15iterator_traitsISL_E10value_typeET2_T3_PNSM_ISR_E10value_typeET4_jRbjT5_SX_jjP12ihipStream_tbEUlT_E1_NS1_11comp_targetILNS1_3genE3ELNS1_11target_archE908ELNS1_3gpuE7ELNS1_3repE0EEENS1_59segmented_radix_sort_warp_sort_small_config_static_selectorELNS0_4arch9wavefront6targetE0EEEvSL_,comdat
.Lfunc_end1969:
	.size	_ZN7rocprim17ROCPRIM_400000_NS6detail17trampoline_kernelINS0_14default_configENS1_36segmented_radix_sort_config_selectorI12hip_bfloat16lEEZNS1_25segmented_radix_sort_implIS3_Lb1EPKS5_PS5_PKlPlN2at6native12_GLOBAL__N_18offset_tEEE10hipError_tPvRmT1_PNSt15iterator_traitsISL_E10value_typeET2_T3_PNSM_ISR_E10value_typeET4_jRbjT5_SX_jjP12ihipStream_tbEUlT_E1_NS1_11comp_targetILNS1_3genE3ELNS1_11target_archE908ELNS1_3gpuE7ELNS1_3repE0EEENS1_59segmented_radix_sort_warp_sort_small_config_static_selectorELNS0_4arch9wavefront6targetE0EEEvSL_, .Lfunc_end1969-_ZN7rocprim17ROCPRIM_400000_NS6detail17trampoline_kernelINS0_14default_configENS1_36segmented_radix_sort_config_selectorI12hip_bfloat16lEEZNS1_25segmented_radix_sort_implIS3_Lb1EPKS5_PS5_PKlPlN2at6native12_GLOBAL__N_18offset_tEEE10hipError_tPvRmT1_PNSt15iterator_traitsISL_E10value_typeET2_T3_PNSM_ISR_E10value_typeET4_jRbjT5_SX_jjP12ihipStream_tbEUlT_E1_NS1_11comp_targetILNS1_3genE3ELNS1_11target_archE908ELNS1_3gpuE7ELNS1_3repE0EEENS1_59segmented_radix_sort_warp_sort_small_config_static_selectorELNS0_4arch9wavefront6targetE0EEEvSL_
                                        ; -- End function
	.section	.AMDGPU.csdata,"",@progbits
; Kernel info:
; codeLenInByte = 0
; NumSgprs: 0
; NumVgprs: 0
; ScratchSize: 0
; MemoryBound: 0
; FloatMode: 240
; IeeeMode: 1
; LDSByteSize: 0 bytes/workgroup (compile time only)
; SGPRBlocks: 0
; VGPRBlocks: 0
; NumSGPRsForWavesPerEU: 1
; NumVGPRsForWavesPerEU: 1
; Occupancy: 16
; WaveLimiterHint : 0
; COMPUTE_PGM_RSRC2:SCRATCH_EN: 0
; COMPUTE_PGM_RSRC2:USER_SGPR: 15
; COMPUTE_PGM_RSRC2:TRAP_HANDLER: 0
; COMPUTE_PGM_RSRC2:TGID_X_EN: 1
; COMPUTE_PGM_RSRC2:TGID_Y_EN: 0
; COMPUTE_PGM_RSRC2:TGID_Z_EN: 0
; COMPUTE_PGM_RSRC2:TIDIG_COMP_CNT: 0
	.section	.text._ZN7rocprim17ROCPRIM_400000_NS6detail17trampoline_kernelINS0_14default_configENS1_36segmented_radix_sort_config_selectorI12hip_bfloat16lEEZNS1_25segmented_radix_sort_implIS3_Lb1EPKS5_PS5_PKlPlN2at6native12_GLOBAL__N_18offset_tEEE10hipError_tPvRmT1_PNSt15iterator_traitsISL_E10value_typeET2_T3_PNSM_ISR_E10value_typeET4_jRbjT5_SX_jjP12ihipStream_tbEUlT_E1_NS1_11comp_targetILNS1_3genE2ELNS1_11target_archE906ELNS1_3gpuE6ELNS1_3repE0EEENS1_59segmented_radix_sort_warp_sort_small_config_static_selectorELNS0_4arch9wavefront6targetE0EEEvSL_,"axG",@progbits,_ZN7rocprim17ROCPRIM_400000_NS6detail17trampoline_kernelINS0_14default_configENS1_36segmented_radix_sort_config_selectorI12hip_bfloat16lEEZNS1_25segmented_radix_sort_implIS3_Lb1EPKS5_PS5_PKlPlN2at6native12_GLOBAL__N_18offset_tEEE10hipError_tPvRmT1_PNSt15iterator_traitsISL_E10value_typeET2_T3_PNSM_ISR_E10value_typeET4_jRbjT5_SX_jjP12ihipStream_tbEUlT_E1_NS1_11comp_targetILNS1_3genE2ELNS1_11target_archE906ELNS1_3gpuE6ELNS1_3repE0EEENS1_59segmented_radix_sort_warp_sort_small_config_static_selectorELNS0_4arch9wavefront6targetE0EEEvSL_,comdat
	.globl	_ZN7rocprim17ROCPRIM_400000_NS6detail17trampoline_kernelINS0_14default_configENS1_36segmented_radix_sort_config_selectorI12hip_bfloat16lEEZNS1_25segmented_radix_sort_implIS3_Lb1EPKS5_PS5_PKlPlN2at6native12_GLOBAL__N_18offset_tEEE10hipError_tPvRmT1_PNSt15iterator_traitsISL_E10value_typeET2_T3_PNSM_ISR_E10value_typeET4_jRbjT5_SX_jjP12ihipStream_tbEUlT_E1_NS1_11comp_targetILNS1_3genE2ELNS1_11target_archE906ELNS1_3gpuE6ELNS1_3repE0EEENS1_59segmented_radix_sort_warp_sort_small_config_static_selectorELNS0_4arch9wavefront6targetE0EEEvSL_ ; -- Begin function _ZN7rocprim17ROCPRIM_400000_NS6detail17trampoline_kernelINS0_14default_configENS1_36segmented_radix_sort_config_selectorI12hip_bfloat16lEEZNS1_25segmented_radix_sort_implIS3_Lb1EPKS5_PS5_PKlPlN2at6native12_GLOBAL__N_18offset_tEEE10hipError_tPvRmT1_PNSt15iterator_traitsISL_E10value_typeET2_T3_PNSM_ISR_E10value_typeET4_jRbjT5_SX_jjP12ihipStream_tbEUlT_E1_NS1_11comp_targetILNS1_3genE2ELNS1_11target_archE906ELNS1_3gpuE6ELNS1_3repE0EEENS1_59segmented_radix_sort_warp_sort_small_config_static_selectorELNS0_4arch9wavefront6targetE0EEEvSL_
	.p2align	8
	.type	_ZN7rocprim17ROCPRIM_400000_NS6detail17trampoline_kernelINS0_14default_configENS1_36segmented_radix_sort_config_selectorI12hip_bfloat16lEEZNS1_25segmented_radix_sort_implIS3_Lb1EPKS5_PS5_PKlPlN2at6native12_GLOBAL__N_18offset_tEEE10hipError_tPvRmT1_PNSt15iterator_traitsISL_E10value_typeET2_T3_PNSM_ISR_E10value_typeET4_jRbjT5_SX_jjP12ihipStream_tbEUlT_E1_NS1_11comp_targetILNS1_3genE2ELNS1_11target_archE906ELNS1_3gpuE6ELNS1_3repE0EEENS1_59segmented_radix_sort_warp_sort_small_config_static_selectorELNS0_4arch9wavefront6targetE0EEEvSL_,@function
_ZN7rocprim17ROCPRIM_400000_NS6detail17trampoline_kernelINS0_14default_configENS1_36segmented_radix_sort_config_selectorI12hip_bfloat16lEEZNS1_25segmented_radix_sort_implIS3_Lb1EPKS5_PS5_PKlPlN2at6native12_GLOBAL__N_18offset_tEEE10hipError_tPvRmT1_PNSt15iterator_traitsISL_E10value_typeET2_T3_PNSM_ISR_E10value_typeET4_jRbjT5_SX_jjP12ihipStream_tbEUlT_E1_NS1_11comp_targetILNS1_3genE2ELNS1_11target_archE906ELNS1_3gpuE6ELNS1_3repE0EEENS1_59segmented_radix_sort_warp_sort_small_config_static_selectorELNS0_4arch9wavefront6targetE0EEEvSL_: ; @_ZN7rocprim17ROCPRIM_400000_NS6detail17trampoline_kernelINS0_14default_configENS1_36segmented_radix_sort_config_selectorI12hip_bfloat16lEEZNS1_25segmented_radix_sort_implIS3_Lb1EPKS5_PS5_PKlPlN2at6native12_GLOBAL__N_18offset_tEEE10hipError_tPvRmT1_PNSt15iterator_traitsISL_E10value_typeET2_T3_PNSM_ISR_E10value_typeET4_jRbjT5_SX_jjP12ihipStream_tbEUlT_E1_NS1_11comp_targetILNS1_3genE2ELNS1_11target_archE906ELNS1_3gpuE6ELNS1_3repE0EEENS1_59segmented_radix_sort_warp_sort_small_config_static_selectorELNS0_4arch9wavefront6targetE0EEEvSL_
; %bb.0:
	.section	.rodata,"a",@progbits
	.p2align	6, 0x0
	.amdhsa_kernel _ZN7rocprim17ROCPRIM_400000_NS6detail17trampoline_kernelINS0_14default_configENS1_36segmented_radix_sort_config_selectorI12hip_bfloat16lEEZNS1_25segmented_radix_sort_implIS3_Lb1EPKS5_PS5_PKlPlN2at6native12_GLOBAL__N_18offset_tEEE10hipError_tPvRmT1_PNSt15iterator_traitsISL_E10value_typeET2_T3_PNSM_ISR_E10value_typeET4_jRbjT5_SX_jjP12ihipStream_tbEUlT_E1_NS1_11comp_targetILNS1_3genE2ELNS1_11target_archE906ELNS1_3gpuE6ELNS1_3repE0EEENS1_59segmented_radix_sort_warp_sort_small_config_static_selectorELNS0_4arch9wavefront6targetE0EEEvSL_
		.amdhsa_group_segment_fixed_size 0
		.amdhsa_private_segment_fixed_size 0
		.amdhsa_kernarg_size 88
		.amdhsa_user_sgpr_count 15
		.amdhsa_user_sgpr_dispatch_ptr 0
		.amdhsa_user_sgpr_queue_ptr 0
		.amdhsa_user_sgpr_kernarg_segment_ptr 1
		.amdhsa_user_sgpr_dispatch_id 0
		.amdhsa_user_sgpr_private_segment_size 0
		.amdhsa_wavefront_size32 1
		.amdhsa_uses_dynamic_stack 0
		.amdhsa_enable_private_segment 0
		.amdhsa_system_sgpr_workgroup_id_x 1
		.amdhsa_system_sgpr_workgroup_id_y 0
		.amdhsa_system_sgpr_workgroup_id_z 0
		.amdhsa_system_sgpr_workgroup_info 0
		.amdhsa_system_vgpr_workitem_id 0
		.amdhsa_next_free_vgpr 1
		.amdhsa_next_free_sgpr 1
		.amdhsa_reserve_vcc 0
		.amdhsa_float_round_mode_32 0
		.amdhsa_float_round_mode_16_64 0
		.amdhsa_float_denorm_mode_32 3
		.amdhsa_float_denorm_mode_16_64 3
		.amdhsa_dx10_clamp 1
		.amdhsa_ieee_mode 1
		.amdhsa_fp16_overflow 0
		.amdhsa_workgroup_processor_mode 1
		.amdhsa_memory_ordered 1
		.amdhsa_forward_progress 0
		.amdhsa_shared_vgpr_count 0
		.amdhsa_exception_fp_ieee_invalid_op 0
		.amdhsa_exception_fp_denorm_src 0
		.amdhsa_exception_fp_ieee_div_zero 0
		.amdhsa_exception_fp_ieee_overflow 0
		.amdhsa_exception_fp_ieee_underflow 0
		.amdhsa_exception_fp_ieee_inexact 0
		.amdhsa_exception_int_div_zero 0
	.end_amdhsa_kernel
	.section	.text._ZN7rocprim17ROCPRIM_400000_NS6detail17trampoline_kernelINS0_14default_configENS1_36segmented_radix_sort_config_selectorI12hip_bfloat16lEEZNS1_25segmented_radix_sort_implIS3_Lb1EPKS5_PS5_PKlPlN2at6native12_GLOBAL__N_18offset_tEEE10hipError_tPvRmT1_PNSt15iterator_traitsISL_E10value_typeET2_T3_PNSM_ISR_E10value_typeET4_jRbjT5_SX_jjP12ihipStream_tbEUlT_E1_NS1_11comp_targetILNS1_3genE2ELNS1_11target_archE906ELNS1_3gpuE6ELNS1_3repE0EEENS1_59segmented_radix_sort_warp_sort_small_config_static_selectorELNS0_4arch9wavefront6targetE0EEEvSL_,"axG",@progbits,_ZN7rocprim17ROCPRIM_400000_NS6detail17trampoline_kernelINS0_14default_configENS1_36segmented_radix_sort_config_selectorI12hip_bfloat16lEEZNS1_25segmented_radix_sort_implIS3_Lb1EPKS5_PS5_PKlPlN2at6native12_GLOBAL__N_18offset_tEEE10hipError_tPvRmT1_PNSt15iterator_traitsISL_E10value_typeET2_T3_PNSM_ISR_E10value_typeET4_jRbjT5_SX_jjP12ihipStream_tbEUlT_E1_NS1_11comp_targetILNS1_3genE2ELNS1_11target_archE906ELNS1_3gpuE6ELNS1_3repE0EEENS1_59segmented_radix_sort_warp_sort_small_config_static_selectorELNS0_4arch9wavefront6targetE0EEEvSL_,comdat
.Lfunc_end1970:
	.size	_ZN7rocprim17ROCPRIM_400000_NS6detail17trampoline_kernelINS0_14default_configENS1_36segmented_radix_sort_config_selectorI12hip_bfloat16lEEZNS1_25segmented_radix_sort_implIS3_Lb1EPKS5_PS5_PKlPlN2at6native12_GLOBAL__N_18offset_tEEE10hipError_tPvRmT1_PNSt15iterator_traitsISL_E10value_typeET2_T3_PNSM_ISR_E10value_typeET4_jRbjT5_SX_jjP12ihipStream_tbEUlT_E1_NS1_11comp_targetILNS1_3genE2ELNS1_11target_archE906ELNS1_3gpuE6ELNS1_3repE0EEENS1_59segmented_radix_sort_warp_sort_small_config_static_selectorELNS0_4arch9wavefront6targetE0EEEvSL_, .Lfunc_end1970-_ZN7rocprim17ROCPRIM_400000_NS6detail17trampoline_kernelINS0_14default_configENS1_36segmented_radix_sort_config_selectorI12hip_bfloat16lEEZNS1_25segmented_radix_sort_implIS3_Lb1EPKS5_PS5_PKlPlN2at6native12_GLOBAL__N_18offset_tEEE10hipError_tPvRmT1_PNSt15iterator_traitsISL_E10value_typeET2_T3_PNSM_ISR_E10value_typeET4_jRbjT5_SX_jjP12ihipStream_tbEUlT_E1_NS1_11comp_targetILNS1_3genE2ELNS1_11target_archE906ELNS1_3gpuE6ELNS1_3repE0EEENS1_59segmented_radix_sort_warp_sort_small_config_static_selectorELNS0_4arch9wavefront6targetE0EEEvSL_
                                        ; -- End function
	.section	.AMDGPU.csdata,"",@progbits
; Kernel info:
; codeLenInByte = 0
; NumSgprs: 0
; NumVgprs: 0
; ScratchSize: 0
; MemoryBound: 0
; FloatMode: 240
; IeeeMode: 1
; LDSByteSize: 0 bytes/workgroup (compile time only)
; SGPRBlocks: 0
; VGPRBlocks: 0
; NumSGPRsForWavesPerEU: 1
; NumVGPRsForWavesPerEU: 1
; Occupancy: 16
; WaveLimiterHint : 0
; COMPUTE_PGM_RSRC2:SCRATCH_EN: 0
; COMPUTE_PGM_RSRC2:USER_SGPR: 15
; COMPUTE_PGM_RSRC2:TRAP_HANDLER: 0
; COMPUTE_PGM_RSRC2:TGID_X_EN: 1
; COMPUTE_PGM_RSRC2:TGID_Y_EN: 0
; COMPUTE_PGM_RSRC2:TGID_Z_EN: 0
; COMPUTE_PGM_RSRC2:TIDIG_COMP_CNT: 0
	.section	.text._ZN7rocprim17ROCPRIM_400000_NS6detail17trampoline_kernelINS0_14default_configENS1_36segmented_radix_sort_config_selectorI12hip_bfloat16lEEZNS1_25segmented_radix_sort_implIS3_Lb1EPKS5_PS5_PKlPlN2at6native12_GLOBAL__N_18offset_tEEE10hipError_tPvRmT1_PNSt15iterator_traitsISL_E10value_typeET2_T3_PNSM_ISR_E10value_typeET4_jRbjT5_SX_jjP12ihipStream_tbEUlT_E1_NS1_11comp_targetILNS1_3genE10ELNS1_11target_archE1201ELNS1_3gpuE5ELNS1_3repE0EEENS1_59segmented_radix_sort_warp_sort_small_config_static_selectorELNS0_4arch9wavefront6targetE0EEEvSL_,"axG",@progbits,_ZN7rocprim17ROCPRIM_400000_NS6detail17trampoline_kernelINS0_14default_configENS1_36segmented_radix_sort_config_selectorI12hip_bfloat16lEEZNS1_25segmented_radix_sort_implIS3_Lb1EPKS5_PS5_PKlPlN2at6native12_GLOBAL__N_18offset_tEEE10hipError_tPvRmT1_PNSt15iterator_traitsISL_E10value_typeET2_T3_PNSM_ISR_E10value_typeET4_jRbjT5_SX_jjP12ihipStream_tbEUlT_E1_NS1_11comp_targetILNS1_3genE10ELNS1_11target_archE1201ELNS1_3gpuE5ELNS1_3repE0EEENS1_59segmented_radix_sort_warp_sort_small_config_static_selectorELNS0_4arch9wavefront6targetE0EEEvSL_,comdat
	.globl	_ZN7rocprim17ROCPRIM_400000_NS6detail17trampoline_kernelINS0_14default_configENS1_36segmented_radix_sort_config_selectorI12hip_bfloat16lEEZNS1_25segmented_radix_sort_implIS3_Lb1EPKS5_PS5_PKlPlN2at6native12_GLOBAL__N_18offset_tEEE10hipError_tPvRmT1_PNSt15iterator_traitsISL_E10value_typeET2_T3_PNSM_ISR_E10value_typeET4_jRbjT5_SX_jjP12ihipStream_tbEUlT_E1_NS1_11comp_targetILNS1_3genE10ELNS1_11target_archE1201ELNS1_3gpuE5ELNS1_3repE0EEENS1_59segmented_radix_sort_warp_sort_small_config_static_selectorELNS0_4arch9wavefront6targetE0EEEvSL_ ; -- Begin function _ZN7rocprim17ROCPRIM_400000_NS6detail17trampoline_kernelINS0_14default_configENS1_36segmented_radix_sort_config_selectorI12hip_bfloat16lEEZNS1_25segmented_radix_sort_implIS3_Lb1EPKS5_PS5_PKlPlN2at6native12_GLOBAL__N_18offset_tEEE10hipError_tPvRmT1_PNSt15iterator_traitsISL_E10value_typeET2_T3_PNSM_ISR_E10value_typeET4_jRbjT5_SX_jjP12ihipStream_tbEUlT_E1_NS1_11comp_targetILNS1_3genE10ELNS1_11target_archE1201ELNS1_3gpuE5ELNS1_3repE0EEENS1_59segmented_radix_sort_warp_sort_small_config_static_selectorELNS0_4arch9wavefront6targetE0EEEvSL_
	.p2align	8
	.type	_ZN7rocprim17ROCPRIM_400000_NS6detail17trampoline_kernelINS0_14default_configENS1_36segmented_radix_sort_config_selectorI12hip_bfloat16lEEZNS1_25segmented_radix_sort_implIS3_Lb1EPKS5_PS5_PKlPlN2at6native12_GLOBAL__N_18offset_tEEE10hipError_tPvRmT1_PNSt15iterator_traitsISL_E10value_typeET2_T3_PNSM_ISR_E10value_typeET4_jRbjT5_SX_jjP12ihipStream_tbEUlT_E1_NS1_11comp_targetILNS1_3genE10ELNS1_11target_archE1201ELNS1_3gpuE5ELNS1_3repE0EEENS1_59segmented_radix_sort_warp_sort_small_config_static_selectorELNS0_4arch9wavefront6targetE0EEEvSL_,@function
_ZN7rocprim17ROCPRIM_400000_NS6detail17trampoline_kernelINS0_14default_configENS1_36segmented_radix_sort_config_selectorI12hip_bfloat16lEEZNS1_25segmented_radix_sort_implIS3_Lb1EPKS5_PS5_PKlPlN2at6native12_GLOBAL__N_18offset_tEEE10hipError_tPvRmT1_PNSt15iterator_traitsISL_E10value_typeET2_T3_PNSM_ISR_E10value_typeET4_jRbjT5_SX_jjP12ihipStream_tbEUlT_E1_NS1_11comp_targetILNS1_3genE10ELNS1_11target_archE1201ELNS1_3gpuE5ELNS1_3repE0EEENS1_59segmented_radix_sort_warp_sort_small_config_static_selectorELNS0_4arch9wavefront6targetE0EEEvSL_: ; @_ZN7rocprim17ROCPRIM_400000_NS6detail17trampoline_kernelINS0_14default_configENS1_36segmented_radix_sort_config_selectorI12hip_bfloat16lEEZNS1_25segmented_radix_sort_implIS3_Lb1EPKS5_PS5_PKlPlN2at6native12_GLOBAL__N_18offset_tEEE10hipError_tPvRmT1_PNSt15iterator_traitsISL_E10value_typeET2_T3_PNSM_ISR_E10value_typeET4_jRbjT5_SX_jjP12ihipStream_tbEUlT_E1_NS1_11comp_targetILNS1_3genE10ELNS1_11target_archE1201ELNS1_3gpuE5ELNS1_3repE0EEENS1_59segmented_radix_sort_warp_sort_small_config_static_selectorELNS0_4arch9wavefront6targetE0EEEvSL_
; %bb.0:
	.section	.rodata,"a",@progbits
	.p2align	6, 0x0
	.amdhsa_kernel _ZN7rocprim17ROCPRIM_400000_NS6detail17trampoline_kernelINS0_14default_configENS1_36segmented_radix_sort_config_selectorI12hip_bfloat16lEEZNS1_25segmented_radix_sort_implIS3_Lb1EPKS5_PS5_PKlPlN2at6native12_GLOBAL__N_18offset_tEEE10hipError_tPvRmT1_PNSt15iterator_traitsISL_E10value_typeET2_T3_PNSM_ISR_E10value_typeET4_jRbjT5_SX_jjP12ihipStream_tbEUlT_E1_NS1_11comp_targetILNS1_3genE10ELNS1_11target_archE1201ELNS1_3gpuE5ELNS1_3repE0EEENS1_59segmented_radix_sort_warp_sort_small_config_static_selectorELNS0_4arch9wavefront6targetE0EEEvSL_
		.amdhsa_group_segment_fixed_size 0
		.amdhsa_private_segment_fixed_size 0
		.amdhsa_kernarg_size 88
		.amdhsa_user_sgpr_count 15
		.amdhsa_user_sgpr_dispatch_ptr 0
		.amdhsa_user_sgpr_queue_ptr 0
		.amdhsa_user_sgpr_kernarg_segment_ptr 1
		.amdhsa_user_sgpr_dispatch_id 0
		.amdhsa_user_sgpr_private_segment_size 0
		.amdhsa_wavefront_size32 1
		.amdhsa_uses_dynamic_stack 0
		.amdhsa_enable_private_segment 0
		.amdhsa_system_sgpr_workgroup_id_x 1
		.amdhsa_system_sgpr_workgroup_id_y 0
		.amdhsa_system_sgpr_workgroup_id_z 0
		.amdhsa_system_sgpr_workgroup_info 0
		.amdhsa_system_vgpr_workitem_id 0
		.amdhsa_next_free_vgpr 1
		.amdhsa_next_free_sgpr 1
		.amdhsa_reserve_vcc 0
		.amdhsa_float_round_mode_32 0
		.amdhsa_float_round_mode_16_64 0
		.amdhsa_float_denorm_mode_32 3
		.amdhsa_float_denorm_mode_16_64 3
		.amdhsa_dx10_clamp 1
		.amdhsa_ieee_mode 1
		.amdhsa_fp16_overflow 0
		.amdhsa_workgroup_processor_mode 1
		.amdhsa_memory_ordered 1
		.amdhsa_forward_progress 0
		.amdhsa_shared_vgpr_count 0
		.amdhsa_exception_fp_ieee_invalid_op 0
		.amdhsa_exception_fp_denorm_src 0
		.amdhsa_exception_fp_ieee_div_zero 0
		.amdhsa_exception_fp_ieee_overflow 0
		.amdhsa_exception_fp_ieee_underflow 0
		.amdhsa_exception_fp_ieee_inexact 0
		.amdhsa_exception_int_div_zero 0
	.end_amdhsa_kernel
	.section	.text._ZN7rocprim17ROCPRIM_400000_NS6detail17trampoline_kernelINS0_14default_configENS1_36segmented_radix_sort_config_selectorI12hip_bfloat16lEEZNS1_25segmented_radix_sort_implIS3_Lb1EPKS5_PS5_PKlPlN2at6native12_GLOBAL__N_18offset_tEEE10hipError_tPvRmT1_PNSt15iterator_traitsISL_E10value_typeET2_T3_PNSM_ISR_E10value_typeET4_jRbjT5_SX_jjP12ihipStream_tbEUlT_E1_NS1_11comp_targetILNS1_3genE10ELNS1_11target_archE1201ELNS1_3gpuE5ELNS1_3repE0EEENS1_59segmented_radix_sort_warp_sort_small_config_static_selectorELNS0_4arch9wavefront6targetE0EEEvSL_,"axG",@progbits,_ZN7rocprim17ROCPRIM_400000_NS6detail17trampoline_kernelINS0_14default_configENS1_36segmented_radix_sort_config_selectorI12hip_bfloat16lEEZNS1_25segmented_radix_sort_implIS3_Lb1EPKS5_PS5_PKlPlN2at6native12_GLOBAL__N_18offset_tEEE10hipError_tPvRmT1_PNSt15iterator_traitsISL_E10value_typeET2_T3_PNSM_ISR_E10value_typeET4_jRbjT5_SX_jjP12ihipStream_tbEUlT_E1_NS1_11comp_targetILNS1_3genE10ELNS1_11target_archE1201ELNS1_3gpuE5ELNS1_3repE0EEENS1_59segmented_radix_sort_warp_sort_small_config_static_selectorELNS0_4arch9wavefront6targetE0EEEvSL_,comdat
.Lfunc_end1971:
	.size	_ZN7rocprim17ROCPRIM_400000_NS6detail17trampoline_kernelINS0_14default_configENS1_36segmented_radix_sort_config_selectorI12hip_bfloat16lEEZNS1_25segmented_radix_sort_implIS3_Lb1EPKS5_PS5_PKlPlN2at6native12_GLOBAL__N_18offset_tEEE10hipError_tPvRmT1_PNSt15iterator_traitsISL_E10value_typeET2_T3_PNSM_ISR_E10value_typeET4_jRbjT5_SX_jjP12ihipStream_tbEUlT_E1_NS1_11comp_targetILNS1_3genE10ELNS1_11target_archE1201ELNS1_3gpuE5ELNS1_3repE0EEENS1_59segmented_radix_sort_warp_sort_small_config_static_selectorELNS0_4arch9wavefront6targetE0EEEvSL_, .Lfunc_end1971-_ZN7rocprim17ROCPRIM_400000_NS6detail17trampoline_kernelINS0_14default_configENS1_36segmented_radix_sort_config_selectorI12hip_bfloat16lEEZNS1_25segmented_radix_sort_implIS3_Lb1EPKS5_PS5_PKlPlN2at6native12_GLOBAL__N_18offset_tEEE10hipError_tPvRmT1_PNSt15iterator_traitsISL_E10value_typeET2_T3_PNSM_ISR_E10value_typeET4_jRbjT5_SX_jjP12ihipStream_tbEUlT_E1_NS1_11comp_targetILNS1_3genE10ELNS1_11target_archE1201ELNS1_3gpuE5ELNS1_3repE0EEENS1_59segmented_radix_sort_warp_sort_small_config_static_selectorELNS0_4arch9wavefront6targetE0EEEvSL_
                                        ; -- End function
	.section	.AMDGPU.csdata,"",@progbits
; Kernel info:
; codeLenInByte = 0
; NumSgprs: 0
; NumVgprs: 0
; ScratchSize: 0
; MemoryBound: 0
; FloatMode: 240
; IeeeMode: 1
; LDSByteSize: 0 bytes/workgroup (compile time only)
; SGPRBlocks: 0
; VGPRBlocks: 0
; NumSGPRsForWavesPerEU: 1
; NumVGPRsForWavesPerEU: 1
; Occupancy: 16
; WaveLimiterHint : 0
; COMPUTE_PGM_RSRC2:SCRATCH_EN: 0
; COMPUTE_PGM_RSRC2:USER_SGPR: 15
; COMPUTE_PGM_RSRC2:TRAP_HANDLER: 0
; COMPUTE_PGM_RSRC2:TGID_X_EN: 1
; COMPUTE_PGM_RSRC2:TGID_Y_EN: 0
; COMPUTE_PGM_RSRC2:TGID_Z_EN: 0
; COMPUTE_PGM_RSRC2:TIDIG_COMP_CNT: 0
	.section	.text._ZN7rocprim17ROCPRIM_400000_NS6detail17trampoline_kernelINS0_14default_configENS1_36segmented_radix_sort_config_selectorI12hip_bfloat16lEEZNS1_25segmented_radix_sort_implIS3_Lb1EPKS5_PS5_PKlPlN2at6native12_GLOBAL__N_18offset_tEEE10hipError_tPvRmT1_PNSt15iterator_traitsISL_E10value_typeET2_T3_PNSM_ISR_E10value_typeET4_jRbjT5_SX_jjP12ihipStream_tbEUlT_E1_NS1_11comp_targetILNS1_3genE10ELNS1_11target_archE1200ELNS1_3gpuE4ELNS1_3repE0EEENS1_59segmented_radix_sort_warp_sort_small_config_static_selectorELNS0_4arch9wavefront6targetE0EEEvSL_,"axG",@progbits,_ZN7rocprim17ROCPRIM_400000_NS6detail17trampoline_kernelINS0_14default_configENS1_36segmented_radix_sort_config_selectorI12hip_bfloat16lEEZNS1_25segmented_radix_sort_implIS3_Lb1EPKS5_PS5_PKlPlN2at6native12_GLOBAL__N_18offset_tEEE10hipError_tPvRmT1_PNSt15iterator_traitsISL_E10value_typeET2_T3_PNSM_ISR_E10value_typeET4_jRbjT5_SX_jjP12ihipStream_tbEUlT_E1_NS1_11comp_targetILNS1_3genE10ELNS1_11target_archE1200ELNS1_3gpuE4ELNS1_3repE0EEENS1_59segmented_radix_sort_warp_sort_small_config_static_selectorELNS0_4arch9wavefront6targetE0EEEvSL_,comdat
	.globl	_ZN7rocprim17ROCPRIM_400000_NS6detail17trampoline_kernelINS0_14default_configENS1_36segmented_radix_sort_config_selectorI12hip_bfloat16lEEZNS1_25segmented_radix_sort_implIS3_Lb1EPKS5_PS5_PKlPlN2at6native12_GLOBAL__N_18offset_tEEE10hipError_tPvRmT1_PNSt15iterator_traitsISL_E10value_typeET2_T3_PNSM_ISR_E10value_typeET4_jRbjT5_SX_jjP12ihipStream_tbEUlT_E1_NS1_11comp_targetILNS1_3genE10ELNS1_11target_archE1200ELNS1_3gpuE4ELNS1_3repE0EEENS1_59segmented_radix_sort_warp_sort_small_config_static_selectorELNS0_4arch9wavefront6targetE0EEEvSL_ ; -- Begin function _ZN7rocprim17ROCPRIM_400000_NS6detail17trampoline_kernelINS0_14default_configENS1_36segmented_radix_sort_config_selectorI12hip_bfloat16lEEZNS1_25segmented_radix_sort_implIS3_Lb1EPKS5_PS5_PKlPlN2at6native12_GLOBAL__N_18offset_tEEE10hipError_tPvRmT1_PNSt15iterator_traitsISL_E10value_typeET2_T3_PNSM_ISR_E10value_typeET4_jRbjT5_SX_jjP12ihipStream_tbEUlT_E1_NS1_11comp_targetILNS1_3genE10ELNS1_11target_archE1200ELNS1_3gpuE4ELNS1_3repE0EEENS1_59segmented_radix_sort_warp_sort_small_config_static_selectorELNS0_4arch9wavefront6targetE0EEEvSL_
	.p2align	8
	.type	_ZN7rocprim17ROCPRIM_400000_NS6detail17trampoline_kernelINS0_14default_configENS1_36segmented_radix_sort_config_selectorI12hip_bfloat16lEEZNS1_25segmented_radix_sort_implIS3_Lb1EPKS5_PS5_PKlPlN2at6native12_GLOBAL__N_18offset_tEEE10hipError_tPvRmT1_PNSt15iterator_traitsISL_E10value_typeET2_T3_PNSM_ISR_E10value_typeET4_jRbjT5_SX_jjP12ihipStream_tbEUlT_E1_NS1_11comp_targetILNS1_3genE10ELNS1_11target_archE1200ELNS1_3gpuE4ELNS1_3repE0EEENS1_59segmented_radix_sort_warp_sort_small_config_static_selectorELNS0_4arch9wavefront6targetE0EEEvSL_,@function
_ZN7rocprim17ROCPRIM_400000_NS6detail17trampoline_kernelINS0_14default_configENS1_36segmented_radix_sort_config_selectorI12hip_bfloat16lEEZNS1_25segmented_radix_sort_implIS3_Lb1EPKS5_PS5_PKlPlN2at6native12_GLOBAL__N_18offset_tEEE10hipError_tPvRmT1_PNSt15iterator_traitsISL_E10value_typeET2_T3_PNSM_ISR_E10value_typeET4_jRbjT5_SX_jjP12ihipStream_tbEUlT_E1_NS1_11comp_targetILNS1_3genE10ELNS1_11target_archE1200ELNS1_3gpuE4ELNS1_3repE0EEENS1_59segmented_radix_sort_warp_sort_small_config_static_selectorELNS0_4arch9wavefront6targetE0EEEvSL_: ; @_ZN7rocprim17ROCPRIM_400000_NS6detail17trampoline_kernelINS0_14default_configENS1_36segmented_radix_sort_config_selectorI12hip_bfloat16lEEZNS1_25segmented_radix_sort_implIS3_Lb1EPKS5_PS5_PKlPlN2at6native12_GLOBAL__N_18offset_tEEE10hipError_tPvRmT1_PNSt15iterator_traitsISL_E10value_typeET2_T3_PNSM_ISR_E10value_typeET4_jRbjT5_SX_jjP12ihipStream_tbEUlT_E1_NS1_11comp_targetILNS1_3genE10ELNS1_11target_archE1200ELNS1_3gpuE4ELNS1_3repE0EEENS1_59segmented_radix_sort_warp_sort_small_config_static_selectorELNS0_4arch9wavefront6targetE0EEEvSL_
; %bb.0:
	.section	.rodata,"a",@progbits
	.p2align	6, 0x0
	.amdhsa_kernel _ZN7rocprim17ROCPRIM_400000_NS6detail17trampoline_kernelINS0_14default_configENS1_36segmented_radix_sort_config_selectorI12hip_bfloat16lEEZNS1_25segmented_radix_sort_implIS3_Lb1EPKS5_PS5_PKlPlN2at6native12_GLOBAL__N_18offset_tEEE10hipError_tPvRmT1_PNSt15iterator_traitsISL_E10value_typeET2_T3_PNSM_ISR_E10value_typeET4_jRbjT5_SX_jjP12ihipStream_tbEUlT_E1_NS1_11comp_targetILNS1_3genE10ELNS1_11target_archE1200ELNS1_3gpuE4ELNS1_3repE0EEENS1_59segmented_radix_sort_warp_sort_small_config_static_selectorELNS0_4arch9wavefront6targetE0EEEvSL_
		.amdhsa_group_segment_fixed_size 0
		.amdhsa_private_segment_fixed_size 0
		.amdhsa_kernarg_size 88
		.amdhsa_user_sgpr_count 15
		.amdhsa_user_sgpr_dispatch_ptr 0
		.amdhsa_user_sgpr_queue_ptr 0
		.amdhsa_user_sgpr_kernarg_segment_ptr 1
		.amdhsa_user_sgpr_dispatch_id 0
		.amdhsa_user_sgpr_private_segment_size 0
		.amdhsa_wavefront_size32 1
		.amdhsa_uses_dynamic_stack 0
		.amdhsa_enable_private_segment 0
		.amdhsa_system_sgpr_workgroup_id_x 1
		.amdhsa_system_sgpr_workgroup_id_y 0
		.amdhsa_system_sgpr_workgroup_id_z 0
		.amdhsa_system_sgpr_workgroup_info 0
		.amdhsa_system_vgpr_workitem_id 0
		.amdhsa_next_free_vgpr 1
		.amdhsa_next_free_sgpr 1
		.amdhsa_reserve_vcc 0
		.amdhsa_float_round_mode_32 0
		.amdhsa_float_round_mode_16_64 0
		.amdhsa_float_denorm_mode_32 3
		.amdhsa_float_denorm_mode_16_64 3
		.amdhsa_dx10_clamp 1
		.amdhsa_ieee_mode 1
		.amdhsa_fp16_overflow 0
		.amdhsa_workgroup_processor_mode 1
		.amdhsa_memory_ordered 1
		.amdhsa_forward_progress 0
		.amdhsa_shared_vgpr_count 0
		.amdhsa_exception_fp_ieee_invalid_op 0
		.amdhsa_exception_fp_denorm_src 0
		.amdhsa_exception_fp_ieee_div_zero 0
		.amdhsa_exception_fp_ieee_overflow 0
		.amdhsa_exception_fp_ieee_underflow 0
		.amdhsa_exception_fp_ieee_inexact 0
		.amdhsa_exception_int_div_zero 0
	.end_amdhsa_kernel
	.section	.text._ZN7rocprim17ROCPRIM_400000_NS6detail17trampoline_kernelINS0_14default_configENS1_36segmented_radix_sort_config_selectorI12hip_bfloat16lEEZNS1_25segmented_radix_sort_implIS3_Lb1EPKS5_PS5_PKlPlN2at6native12_GLOBAL__N_18offset_tEEE10hipError_tPvRmT1_PNSt15iterator_traitsISL_E10value_typeET2_T3_PNSM_ISR_E10value_typeET4_jRbjT5_SX_jjP12ihipStream_tbEUlT_E1_NS1_11comp_targetILNS1_3genE10ELNS1_11target_archE1200ELNS1_3gpuE4ELNS1_3repE0EEENS1_59segmented_radix_sort_warp_sort_small_config_static_selectorELNS0_4arch9wavefront6targetE0EEEvSL_,"axG",@progbits,_ZN7rocprim17ROCPRIM_400000_NS6detail17trampoline_kernelINS0_14default_configENS1_36segmented_radix_sort_config_selectorI12hip_bfloat16lEEZNS1_25segmented_radix_sort_implIS3_Lb1EPKS5_PS5_PKlPlN2at6native12_GLOBAL__N_18offset_tEEE10hipError_tPvRmT1_PNSt15iterator_traitsISL_E10value_typeET2_T3_PNSM_ISR_E10value_typeET4_jRbjT5_SX_jjP12ihipStream_tbEUlT_E1_NS1_11comp_targetILNS1_3genE10ELNS1_11target_archE1200ELNS1_3gpuE4ELNS1_3repE0EEENS1_59segmented_radix_sort_warp_sort_small_config_static_selectorELNS0_4arch9wavefront6targetE0EEEvSL_,comdat
.Lfunc_end1972:
	.size	_ZN7rocprim17ROCPRIM_400000_NS6detail17trampoline_kernelINS0_14default_configENS1_36segmented_radix_sort_config_selectorI12hip_bfloat16lEEZNS1_25segmented_radix_sort_implIS3_Lb1EPKS5_PS5_PKlPlN2at6native12_GLOBAL__N_18offset_tEEE10hipError_tPvRmT1_PNSt15iterator_traitsISL_E10value_typeET2_T3_PNSM_ISR_E10value_typeET4_jRbjT5_SX_jjP12ihipStream_tbEUlT_E1_NS1_11comp_targetILNS1_3genE10ELNS1_11target_archE1200ELNS1_3gpuE4ELNS1_3repE0EEENS1_59segmented_radix_sort_warp_sort_small_config_static_selectorELNS0_4arch9wavefront6targetE0EEEvSL_, .Lfunc_end1972-_ZN7rocprim17ROCPRIM_400000_NS6detail17trampoline_kernelINS0_14default_configENS1_36segmented_radix_sort_config_selectorI12hip_bfloat16lEEZNS1_25segmented_radix_sort_implIS3_Lb1EPKS5_PS5_PKlPlN2at6native12_GLOBAL__N_18offset_tEEE10hipError_tPvRmT1_PNSt15iterator_traitsISL_E10value_typeET2_T3_PNSM_ISR_E10value_typeET4_jRbjT5_SX_jjP12ihipStream_tbEUlT_E1_NS1_11comp_targetILNS1_3genE10ELNS1_11target_archE1200ELNS1_3gpuE4ELNS1_3repE0EEENS1_59segmented_radix_sort_warp_sort_small_config_static_selectorELNS0_4arch9wavefront6targetE0EEEvSL_
                                        ; -- End function
	.section	.AMDGPU.csdata,"",@progbits
; Kernel info:
; codeLenInByte = 0
; NumSgprs: 0
; NumVgprs: 0
; ScratchSize: 0
; MemoryBound: 0
; FloatMode: 240
; IeeeMode: 1
; LDSByteSize: 0 bytes/workgroup (compile time only)
; SGPRBlocks: 0
; VGPRBlocks: 0
; NumSGPRsForWavesPerEU: 1
; NumVGPRsForWavesPerEU: 1
; Occupancy: 16
; WaveLimiterHint : 0
; COMPUTE_PGM_RSRC2:SCRATCH_EN: 0
; COMPUTE_PGM_RSRC2:USER_SGPR: 15
; COMPUTE_PGM_RSRC2:TRAP_HANDLER: 0
; COMPUTE_PGM_RSRC2:TGID_X_EN: 1
; COMPUTE_PGM_RSRC2:TGID_Y_EN: 0
; COMPUTE_PGM_RSRC2:TGID_Z_EN: 0
; COMPUTE_PGM_RSRC2:TIDIG_COMP_CNT: 0
	.text
	.p2align	2                               ; -- Begin function _ZN7rocprim17ROCPRIM_400000_NS6detail26segmented_warp_sort_helperINS1_20WarpSortHelperConfigILj8ELj4ELj256EEE12hip_bfloat16lLi256ELb1EvE4sortIPKS5_PS5_PKlPlEEvT_T0_T1_T2_jjjjRNS6_12storage_typeE
	.type	_ZN7rocprim17ROCPRIM_400000_NS6detail26segmented_warp_sort_helperINS1_20WarpSortHelperConfigILj8ELj4ELj256EEE12hip_bfloat16lLi256ELb1EvE4sortIPKS5_PS5_PKlPlEEvT_T0_T1_T2_jjjjRNS6_12storage_typeE,@function
_ZN7rocprim17ROCPRIM_400000_NS6detail26segmented_warp_sort_helperINS1_20WarpSortHelperConfigILj8ELj4ELj256EEE12hip_bfloat16lLi256ELb1EvE4sortIPKS5_PS5_PKlPlEEvT_T0_T1_T2_jjjjRNS6_12storage_typeE: ; @_ZN7rocprim17ROCPRIM_400000_NS6detail26segmented_warp_sort_helperINS1_20WarpSortHelperConfigILj8ELj4ELj256EEE12hip_bfloat16lLi256ELb1EvE4sortIPKS5_PS5_PKlPlEEvT_T0_T1_T2_jjjjRNS6_12storage_typeE
; %bb.0:
	s_waitcnt vmcnt(0) expcnt(0) lgkmcnt(0)
	v_mov_b32_e32 v12, v9
	v_mbcnt_lo_u32_b32 v9, -1, 0
	v_dual_mov_b32 v37, -1 :: v_dual_mov_b32 v36, -1
	s_delay_alu instid0(VALU_DEP_2) | instskip(NEXT) | instid1(VALU_DEP_4)
	v_dual_mov_b32 v9, 0 :: v_dual_lshlrev_b32 v34, 2, v9
	v_sub_nc_u32_e32 v12, v12, v8
	s_delay_alu instid0(VALU_DEP_2) | instskip(NEXT) | instid1(VALU_DEP_3)
	v_and_b32_e32 v33, 28, v34
	v_lshlrev_b64 v[28:29], 1, v[8:9]
	s_delay_alu instid0(VALU_DEP_2) | instskip(NEXT) | instid1(VALU_DEP_2)
	v_lshlrev_b32_e32 v30, 1, v33
	v_add_co_u32 v0, vcc_lo, v0, v28
	s_delay_alu instid0(VALU_DEP_3) | instskip(NEXT) | instid1(VALU_DEP_2)
	v_add_co_ci_u32_e32 v1, vcc_lo, v1, v29, vcc_lo
	v_add_co_u32 v0, vcc_lo, v0, v30
	s_delay_alu instid0(VALU_DEP_2)
	v_add_co_ci_u32_e32 v1, vcc_lo, 0, v1, vcc_lo
	v_cmp_lt_u32_e32 vcc_lo, v33, v12
	s_and_saveexec_b32 s0, vcc_lo
	s_cbranch_execz .LBB1973_2
; %bb.1:
	flat_load_u16 v37, v[0:1]
.LBB1973_2:
	s_or_b32 exec_lo, exec_lo, s0
	v_or_b32_e32 v13, 1, v33
	s_delay_alu instid0(VALU_DEP_1) | instskip(NEXT) | instid1(VALU_DEP_1)
	v_cmp_lt_u32_e64 s0, v13, v12
	s_and_saveexec_b32 s1, s0
	s_cbranch_execz .LBB1973_4
; %bb.3:
	flat_load_u16 v36, v[0:1] offset:2
.LBB1973_4:
	s_or_b32 exec_lo, exec_lo, s1
	v_or_b32_e32 v13, 2, v33
	v_dual_mov_b32 v35, -1 :: v_dual_mov_b32 v38, -1
	s_delay_alu instid0(VALU_DEP_2) | instskip(NEXT) | instid1(VALU_DEP_1)
	v_cmp_lt_u32_e64 s1, v13, v12
	s_and_saveexec_b32 s2, s1
	s_cbranch_execz .LBB1973_6
; %bb.5:
	flat_load_u16 v38, v[0:1] offset:4
.LBB1973_6:
	s_or_b32 exec_lo, exec_lo, s2
	v_or_b32_e32 v13, 3, v33
	s_delay_alu instid0(VALU_DEP_1) | instskip(NEXT) | instid1(VALU_DEP_1)
	v_cmp_lt_u32_e64 s2, v13, v12
	s_and_saveexec_b32 s3, s2
	s_cbranch_execz .LBB1973_8
; %bb.7:
	flat_load_u16 v35, v[0:1] offset:6
.LBB1973_8:
	s_or_b32 exec_lo, exec_lo, s3
	v_lshlrev_b64 v[0:1], 3, v[8:9]
	v_lshlrev_b32_e32 v32, 3, v33
	; wave barrier
                                        ; implicit-def: $vgpr12_vgpr13_vgpr14_vgpr15_vgpr16_vgpr17_vgpr18_vgpr19
	s_delay_alu instid0(VALU_DEP_2) | instskip(NEXT) | instid1(VALU_DEP_1)
	v_add_co_u32 v4, s3, v4, v0
	v_add_co_ci_u32_e64 v5, s3, v5, v1, s3
	s_delay_alu instid0(VALU_DEP_2) | instskip(NEXT) | instid1(VALU_DEP_1)
	v_add_co_u32 v4, s3, v4, v32
	v_add_co_ci_u32_e64 v5, s3, 0, v5, s3
	s_and_saveexec_b32 s3, vcc_lo
	s_cbranch_execnz .LBB1973_82
; %bb.9:
	s_or_b32 exec_lo, exec_lo, s3
	s_and_saveexec_b32 s3, s0
	s_cbranch_execnz .LBB1973_83
.LBB1973_10:
	s_or_b32 exec_lo, exec_lo, s3
	s_and_saveexec_b32 s3, s1
	s_cbranch_execnz .LBB1973_84
.LBB1973_11:
	s_or_b32 exec_lo, exec_lo, s3
	s_and_saveexec_b32 s3, s2
	s_cbranch_execz .LBB1973_13
.LBB1973_12:
	flat_load_b64 v[18:19], v[4:5] offset:24
.LBB1973_13:
	s_or_b32 exec_lo, exec_lo, s3
	; wave barrier
	s_load_b64 s[4:5], s[8:9], 0x0
	v_mov_b32_e32 v4, 0
	v_bfe_u32 v8, v31, 10, 10
	v_bfe_u32 v9, v31, 20, 10
	s_waitcnt lgkmcnt(0)
	s_cmp_lt_u32 s13, s5
	s_cselect_b32 s3, 14, 20
	s_delay_alu instid0(SALU_CYCLE_1) | instskip(SKIP_4) | instid1(SALU_CYCLE_1)
	s_add_u32 s6, s8, s3
	s_addc_u32 s7, s9, 0
	s_cmp_lt_u32 s12, s4
	global_load_u16 v5, v4, s[6:7]
	s_cselect_b32 s3, 12, 18
	s_add_u32 s4, s8, s3
	s_addc_u32 s5, s9, 0
	global_load_u16 v4, v4, s[4:5]
	s_mov_b32 s5, exec_lo
	s_waitcnt vmcnt(1)
	v_mad_u32_u24 v5, v9, v5, v8
	s_waitcnt vmcnt(0)
	s_delay_alu instid0(VALU_DEP_1) | instskip(SKIP_1) | instid1(VALU_DEP_1)
	v_mul_lo_u32 v4, v5, v4
	v_and_b32_e32 v5, 0x3ff, v31
	v_add_lshl_u32 v4, v4, v5, 2
	s_delay_alu instid0(VALU_DEP_1)
	v_cmpx_gt_u32_e32 0x400, v4
	s_cbranch_execz .LBB1973_71
; %bb.14:
	v_lshlrev_b32_e32 v5, 16, v36
	s_delay_alu instid0(VALU_DEP_1) | instskip(NEXT) | instid1(VALU_DEP_1)
	v_add_f32_e32 v8, 0, v5
	v_and_b32_e32 v5, 0x7f800000, v8
	s_delay_alu instid0(VALU_DEP_1) | instskip(NEXT) | instid1(VALU_DEP_1)
	v_cmp_ne_u32_e64 s3, 0x7f800000, v5
                                        ; implicit-def: $vgpr5
	s_and_saveexec_b32 s4, s3
	s_delay_alu instid0(SALU_CYCLE_1)
	s_xor_b32 s3, exec_lo, s4
; %bb.15:
	v_bfe_u32 v5, v8, 16, 1
	s_delay_alu instid0(VALU_DEP_1)
	v_add3_u32 v5, v8, v5, 0x7fff
                                        ; implicit-def: $vgpr8
; %bb.16:
	s_and_not1_saveexec_b32 s4, s3
; %bb.17:
	v_and_b32_e32 v5, 0xffff, v8
	v_or_b32_e32 v9, 0x10000, v8
	s_delay_alu instid0(VALU_DEP_2) | instskip(NEXT) | instid1(VALU_DEP_1)
	v_cmp_eq_u32_e64 s3, 0, v5
	v_cndmask_b32_e64 v5, v9, v8, s3
; %bb.18:
	s_or_b32 exec_lo, exec_lo, s4
	v_lshlrev_b32_e32 v8, 16, v37
                                        ; implicit-def: $vgpr20
	s_delay_alu instid0(VALU_DEP_1) | instskip(NEXT) | instid1(VALU_DEP_1)
	v_add_f32_e32 v8, 0, v8
	v_and_b32_e32 v9, 0x7f800000, v8
	s_delay_alu instid0(VALU_DEP_1) | instskip(NEXT) | instid1(VALU_DEP_1)
	v_cmp_ne_u32_e64 s3, 0x7f800000, v9
	s_and_saveexec_b32 s4, s3
	s_delay_alu instid0(SALU_CYCLE_1)
	s_xor_b32 s3, exec_lo, s4
; %bb.19:
	v_bfe_u32 v9, v8, 16, 1
	s_delay_alu instid0(VALU_DEP_1)
	v_add3_u32 v20, v8, v9, 0x7fff
                                        ; implicit-def: $vgpr8
; %bb.20:
	s_and_not1_saveexec_b32 s4, s3
; %bb.21:
	v_and_b32_e32 v9, 0xffff, v8
	v_or_b32_e32 v20, 0x10000, v8
	s_delay_alu instid0(VALU_DEP_2) | instskip(NEXT) | instid1(VALU_DEP_1)
	v_cmp_eq_u32_e64 s3, 0, v9
	v_cndmask_b32_e64 v20, v20, v8, s3
; %bb.22:
	s_or_b32 exec_lo, exec_lo, s4
	v_lshlrev_b32_e32 v8, 16, v35
                                        ; implicit-def: $vgpr21
	s_delay_alu instid0(VALU_DEP_1) | instskip(NEXT) | instid1(VALU_DEP_1)
	v_add_f32_e32 v8, 0, v8
	v_and_b32_e32 v9, 0x7f800000, v8
	s_delay_alu instid0(VALU_DEP_1) | instskip(NEXT) | instid1(VALU_DEP_1)
	v_cmp_ne_u32_e64 s3, 0x7f800000, v9
	s_and_saveexec_b32 s4, s3
	s_delay_alu instid0(SALU_CYCLE_1)
	s_xor_b32 s3, exec_lo, s4
; %bb.23:
	v_bfe_u32 v9, v8, 16, 1
	s_delay_alu instid0(VALU_DEP_1)
	v_add3_u32 v21, v8, v9, 0x7fff
; %bb.24:
	s_and_not1_saveexec_b32 s4, s3
; %bb.25:
	v_and_b32_e32 v9, 0xffff, v8
	v_or_b32_e32 v21, 0x10000, v8
	s_delay_alu instid0(VALU_DEP_2) | instskip(NEXT) | instid1(VALU_DEP_1)
	v_cmp_eq_u32_e64 s3, 0, v9
	v_cndmask_b32_e64 v21, v21, v8, s3
; %bb.26:
	s_or_b32 exec_lo, exec_lo, s4
	v_lshlrev_b32_e32 v9, 16, v38
	s_delay_alu instid0(VALU_DEP_1) | instskip(NEXT) | instid1(VALU_DEP_1)
	v_add_f32_e32 v9, 0, v9
	v_and_b32_e32 v22, 0x7f800000, v9
	s_delay_alu instid0(VALU_DEP_1) | instskip(NEXT) | instid1(VALU_DEP_1)
	v_cmp_ne_u32_e64 s3, 0x7f800000, v22
                                        ; implicit-def: $vgpr22
	s_and_saveexec_b32 s4, s3
	s_delay_alu instid0(SALU_CYCLE_1)
	s_xor_b32 s3, exec_lo, s4
; %bb.27:
	v_bfe_u32 v22, v9, 16, 1
	s_delay_alu instid0(VALU_DEP_1)
	v_add3_u32 v22, v9, v22, 0x7fff
; %bb.28:
	s_and_not1_saveexec_b32 s4, s3
; %bb.29:
	v_and_b32_e32 v22, 0xffff, v9
	v_or_b32_e32 v23, 0x10000, v9
	s_delay_alu instid0(VALU_DEP_2) | instskip(NEXT) | instid1(VALU_DEP_1)
	v_cmp_eq_u32_e64 s3, 0, v22
	v_cndmask_b32_e64 v22, v23, v9, s3
; %bb.30:
	s_or_b32 exec_lo, exec_lo, s4
	v_cmp_lt_i32_e64 s3, -1, v5
	v_perm_b32 v23, v20, v5, 0x7060302
	v_dual_mov_b32 v27, v19 :: v_dual_mov_b32 v26, v18
	s_delay_alu instid0(VALU_DEP_3) | instskip(SKIP_1) | instid1(VALU_DEP_1)
	v_cndmask_b32_e64 v5, -1, 0xffff8000, s3
	v_cmp_lt_i32_e64 s3, -1, v20
	v_cndmask_b32_e64 v20, -1, 0xffff8000, s3
	v_cmp_lt_i32_e64 s3, -1, v21
	s_delay_alu instid0(VALU_DEP_2) | instskip(NEXT) | instid1(VALU_DEP_2)
	v_perm_b32 v5, v20, v5, 0x5040100
	v_cndmask_b32_e64 v24, -1, 0xffff8000, s3
	v_cmp_lt_i32_e64 s3, -1, v22
	v_perm_b32 v20, v22, v21, 0x7060302
	s_delay_alu instid0(VALU_DEP_4) | instskip(NEXT) | instid1(VALU_DEP_3)
	v_xor_b32_e32 v5, v5, v23
	v_cndmask_b32_e64 v25, -1, 0xffff8000, s3
	s_delay_alu instid0(VALU_DEP_1) | instskip(SKIP_1) | instid1(VALU_DEP_2)
	v_perm_b32 v21, v25, v24, 0x5040100
	v_dual_mov_b32 v25, v17 :: v_dual_mov_b32 v24, v16
	v_xor_b32_e32 v20, v21, v20
	v_lshrrev_b32_e32 v21, 16, v5
	s_delay_alu instid0(VALU_DEP_2) | instskip(NEXT) | instid1(VALU_DEP_2)
	v_lshrrev_b32_e32 v22, 16, v20
	v_cmp_gt_u16_e64 s3, v5, v21
	v_mov_b32_e32 v5, v38
	s_delay_alu instid0(VALU_DEP_3) | instskip(NEXT) | instid1(VALU_DEP_3)
	v_cmp_gt_u16_e64 s4, v20, v22
	v_cndmask_b32_e64 v23, v15, v13, s3
	v_cndmask_b32_e64 v22, v14, v12, s3
	;; [unrolled: 1-line block ×4, first 2 shown]
	s_and_saveexec_b32 s6, s4
; %bb.31:
	v_mov_b32_e32 v25, v19
	v_mov_b32_e32 v27, v17
	v_dual_mov_b32 v5, v35 :: v_dual_mov_b32 v24, v18
	v_dual_mov_b32 v35, v38 :: v_dual_mov_b32 v26, v16
	v_mov_b32_e32 v9, v8
; %bb.32:
	s_or_b32 exec_lo, exec_lo, s6
	s_delay_alu instid0(VALU_DEP_1) | instskip(NEXT) | instid1(VALU_DEP_1)
	v_and_b32_e32 v8, 0x7f800000, v9
	v_cmp_ne_u32_e64 s4, 0x7f800000, v8
                                        ; implicit-def: $vgpr8
	s_delay_alu instid0(VALU_DEP_1) | instskip(NEXT) | instid1(SALU_CYCLE_1)
	s_and_saveexec_b32 s6, s4
	s_xor_b32 s4, exec_lo, s6
; %bb.33:
	v_bfe_u32 v8, v9, 16, 1
	s_delay_alu instid0(VALU_DEP_1)
	v_add3_u32 v8, v9, v8, 0x7fff
; %bb.34:
	s_and_not1_saveexec_b32 s6, s4
; %bb.35:
	v_and_b32_e32 v8, 0xffff, v9
	v_or_b32_e32 v12, 0x10000, v9
	s_delay_alu instid0(VALU_DEP_2) | instskip(NEXT) | instid1(VALU_DEP_1)
	v_cmp_eq_u32_e64 s4, 0, v8
	v_cndmask_b32_e64 v8, v12, v9, s4
; %bb.36:
	s_or_b32 exec_lo, exec_lo, s6
	v_cndmask_b32_e64 v12, v36, v37, s3
	s_delay_alu instid0(VALU_DEP_1) | instskip(NEXT) | instid1(VALU_DEP_1)
	v_lshlrev_b32_e32 v13, 16, v12
	v_add_f32_e32 v13, 0, v13
	s_delay_alu instid0(VALU_DEP_1) | instskip(NEXT) | instid1(VALU_DEP_1)
	v_and_b32_e32 v14, 0x7f800000, v13
	v_cmp_ne_u32_e64 s4, 0x7f800000, v14
                                        ; implicit-def: $vgpr14
	s_delay_alu instid0(VALU_DEP_1) | instskip(NEXT) | instid1(SALU_CYCLE_1)
	s_and_saveexec_b32 s6, s4
	s_xor_b32 s4, exec_lo, s6
; %bb.37:
	v_bfe_u32 v14, v13, 16, 1
	s_delay_alu instid0(VALU_DEP_1)
	v_add3_u32 v14, v13, v14, 0x7fff
; %bb.38:
	s_and_not1_saveexec_b32 s6, s4
; %bb.39:
	v_and_b32_e32 v14, 0xffff, v13
	v_or_b32_e32 v15, 0x10000, v13
	s_delay_alu instid0(VALU_DEP_2) | instskip(NEXT) | instid1(VALU_DEP_1)
	v_cmp_eq_u32_e64 s4, 0, v14
	v_cndmask_b32_e64 v14, v15, v13, s4
; %bb.40:
	s_or_b32 exec_lo, exec_lo, s6
	v_cmp_lt_i32_e64 s4, -1, v8
	s_delay_alu instid0(VALU_DEP_2) | instskip(NEXT) | instid1(VALU_DEP_2)
	v_perm_b32 v8, v14, v8, 0x7060302
	v_cndmask_b32_e64 v15, -1, 0xffff8000, s4
	v_cmp_lt_i32_e64 s4, -1, v14
	s_delay_alu instid0(VALU_DEP_1) | instskip(NEXT) | instid1(VALU_DEP_1)
	v_cndmask_b32_e64 v16, -1, 0xffff8000, s4
	v_perm_b32 v14, v16, v15, 0x5040100
	s_delay_alu instid0(VALU_DEP_1) | instskip(NEXT) | instid1(VALU_DEP_1)
	v_xor_b32_e32 v8, v14, v8
	v_lshrrev_b32_e32 v14, 16, v8
	s_delay_alu instid0(VALU_DEP_1) | instskip(SKIP_1) | instid1(VALU_DEP_2)
	v_cmp_gt_u16_e64 s4, v8, v14
	v_mov_b32_e32 v8, v12
	s_and_saveexec_b32 s6, s4
	s_cbranch_execz .LBB1973_42
; %bb.41:
	v_mov_b32_e32 v13, v20
	v_mov_b32_e32 v16, v23
	v_dual_mov_b32 v16, v25 :: v_dual_mov_b32 v17, v24
	v_dual_mov_b32 v14, v21 :: v_dual_mov_b32 v15, v22
	;; [unrolled: 1-line block ×7, first 2 shown]
	s_delay_alu instid0(VALU_DEP_3) | instskip(NEXT) | instid1(VALU_DEP_3)
	v_mov_b32_e32 v27, v20
	v_dual_mov_b32 v26, v19 :: v_dual_mov_b32 v25, v18
	s_delay_alu instid0(VALU_DEP_4)
	v_dual_mov_b32 v24, v17 :: v_dual_mov_b32 v23, v16
	v_dual_mov_b32 v22, v15 :: v_dual_mov_b32 v21, v14
	v_mov_b32_e32 v20, v13
	v_mov_b32_e32 v13, v9
.LBB1973_42:
	s_or_b32 exec_lo, exec_lo, s6
	s_delay_alu instid0(VALU_DEP_1) | instskip(NEXT) | instid1(VALU_DEP_1)
	v_and_b32_e32 v9, 0x7f800000, v13
                                        ; implicit-def: $vgpr12
	v_cmp_ne_u32_e64 s4, 0x7f800000, v9
	s_delay_alu instid0(VALU_DEP_1) | instskip(NEXT) | instid1(SALU_CYCLE_1)
	s_and_saveexec_b32 s6, s4
	s_xor_b32 s4, exec_lo, s6
; %bb.43:
	v_bfe_u32 v9, v13, 16, 1
	s_delay_alu instid0(VALU_DEP_1)
	v_add3_u32 v12, v13, v9, 0x7fff
                                        ; implicit-def: $vgpr13
; %bb.44:
	s_and_not1_saveexec_b32 s6, s4
; %bb.45:
	v_and_b32_e32 v9, 0xffff, v13
	v_or_b32_e32 v12, 0x10000, v13
	s_delay_alu instid0(VALU_DEP_2) | instskip(NEXT) | instid1(VALU_DEP_1)
	v_cmp_eq_u32_e64 s4, 0, v9
	v_cndmask_b32_e64 v12, v12, v13, s4
; %bb.46:
	s_or_b32 exec_lo, exec_lo, s6
	v_cndmask_b32_e64 v9, v37, v36, s3
	s_delay_alu instid0(VALU_DEP_1) | instskip(NEXT) | instid1(VALU_DEP_1)
	v_lshlrev_b32_e32 v13, 16, v9
	v_add_f32_e32 v14, 0, v13
	s_delay_alu instid0(VALU_DEP_1) | instskip(NEXT) | instid1(VALU_DEP_1)
	v_and_b32_e32 v13, 0x7f800000, v14
	v_cmp_ne_u32_e64 s3, 0x7f800000, v13
                                        ; implicit-def: $vgpr13
	s_delay_alu instid0(VALU_DEP_1) | instskip(NEXT) | instid1(SALU_CYCLE_1)
	s_and_saveexec_b32 s4, s3
	s_xor_b32 s3, exec_lo, s4
; %bb.47:
	v_bfe_u32 v13, v14, 16, 1
	s_delay_alu instid0(VALU_DEP_1)
	v_add3_u32 v13, v14, v13, 0x7fff
                                        ; implicit-def: $vgpr14
; %bb.48:
	s_and_not1_saveexec_b32 s4, s3
; %bb.49:
	v_and_b32_e32 v13, 0xffff, v14
	v_or_b32_e32 v15, 0x10000, v14
	s_delay_alu instid0(VALU_DEP_2) | instskip(NEXT) | instid1(VALU_DEP_1)
	v_cmp_eq_u32_e64 s3, 0, v13
	v_cndmask_b32_e64 v13, v15, v14, s3
; %bb.50:
	s_or_b32 exec_lo, exec_lo, s4
	v_lshlrev_b32_e32 v14, 16, v35
	s_delay_alu instid0(VALU_DEP_1) | instskip(NEXT) | instid1(VALU_DEP_1)
	v_add_f32_e32 v31, 0, v14
	v_and_b32_e32 v14, 0x7f800000, v31
	s_delay_alu instid0(VALU_DEP_1) | instskip(NEXT) | instid1(VALU_DEP_1)
	v_cmp_ne_u32_e64 s3, 0x7f800000, v14
                                        ; implicit-def: $vgpr14
	s_and_saveexec_b32 s4, s3
	s_delay_alu instid0(SALU_CYCLE_1)
	s_xor_b32 s3, exec_lo, s4
; %bb.51:
	v_bfe_u32 v14, v31, 16, 1
	s_delay_alu instid0(VALU_DEP_1)
	v_add3_u32 v14, v31, v14, 0x7fff
; %bb.52:
	s_and_not1_saveexec_b32 s4, s3
; %bb.53:
	v_and_b32_e32 v14, 0xffff, v31
	v_or_b32_e32 v15, 0x10000, v31
	s_delay_alu instid0(VALU_DEP_2) | instskip(NEXT) | instid1(VALU_DEP_1)
	v_cmp_eq_u32_e64 s3, 0, v14
	v_cndmask_b32_e64 v14, v15, v31, s3
; %bb.54:
	s_or_b32 exec_lo, exec_lo, s4
	v_lshlrev_b32_e32 v15, 16, v5
	s_delay_alu instid0(VALU_DEP_1) | instskip(NEXT) | instid1(VALU_DEP_1)
	v_add_f32_e32 v36, 0, v15
	v_and_b32_e32 v15, 0x7f800000, v36
	s_delay_alu instid0(VALU_DEP_1) | instskip(NEXT) | instid1(VALU_DEP_1)
	v_cmp_ne_u32_e64 s3, 0x7f800000, v15
                                        ; implicit-def: $vgpr15
	s_and_saveexec_b32 s4, s3
	s_delay_alu instid0(SALU_CYCLE_1)
	s_xor_b32 s3, exec_lo, s4
; %bb.55:
	v_bfe_u32 v15, v36, 16, 1
	s_delay_alu instid0(VALU_DEP_1)
	v_add3_u32 v15, v36, v15, 0x7fff
; %bb.56:
	s_and_not1_saveexec_b32 s4, s3
; %bb.57:
	v_and_b32_e32 v15, 0xffff, v36
	v_or_b32_e32 v16, 0x10000, v36
	s_delay_alu instid0(VALU_DEP_2) | instskip(NEXT) | instid1(VALU_DEP_1)
	v_cmp_eq_u32_e64 s3, 0, v15
	v_cndmask_b32_e64 v15, v16, v36, s3
; %bb.58:
	s_or_b32 exec_lo, exec_lo, s4
	v_cmp_lt_i32_e64 s3, -1, v12
	v_perm_b32 v16, v13, v12, 0x7060302
	v_mov_b32_e32 v19, v27
	s_delay_alu instid0(VALU_DEP_3) | instskip(SKIP_1) | instid1(VALU_DEP_1)
	v_cndmask_b32_e64 v12, -1, 0xffff8000, s3
	v_cmp_lt_i32_e64 s3, -1, v13
	v_cndmask_b32_e64 v13, -1, 0xffff8000, s3
	v_cmp_lt_i32_e64 s3, -1, v14
	s_delay_alu instid0(VALU_DEP_2) | instskip(NEXT) | instid1(VALU_DEP_2)
	v_perm_b32 v12, v13, v12, 0x5040100
	v_cndmask_b32_e64 v17, -1, 0xffff8000, s3
	v_cmp_lt_i32_e64 s3, -1, v15
	v_perm_b32 v13, v15, v14, 0x7060302
	s_delay_alu instid0(VALU_DEP_4) | instskip(SKIP_1) | instid1(VALU_DEP_4)
	v_xor_b32_e32 v12, v12, v16
	v_mov_b32_e32 v16, v24
	v_cndmask_b32_e64 v18, -1, 0xffff8000, s3
	s_delay_alu instid0(VALU_DEP_1) | instskip(SKIP_1) | instid1(VALU_DEP_2)
	v_perm_b32 v14, v18, v17, 0x5040100
	v_dual_mov_b32 v17, v25 :: v_dual_mov_b32 v18, v26
	v_xor_b32_e32 v13, v14, v13
	v_lshrrev_b32_e32 v14, 16, v12
	s_delay_alu instid0(VALU_DEP_2) | instskip(NEXT) | instid1(VALU_DEP_2)
	v_lshrrev_b32_e32 v24, 16, v13
	v_cmp_gt_u16_e64 s3, v12, v14
	s_delay_alu instid0(VALU_DEP_2) | instskip(NEXT) | instid1(VALU_DEP_2)
	v_cmp_gt_u16_e64 s4, v13, v24
	v_cndmask_b32_e64 v15, v23, v21, s3
	v_cndmask_b32_e64 v14, v22, v20, s3
	;; [unrolled: 1-line block ×4, first 2 shown]
	v_mov_b32_e32 v20, v5
	s_and_saveexec_b32 s6, s4
; %bb.59:
	s_delay_alu instid0(VALU_DEP_2) | instskip(SKIP_3) | instid1(VALU_DEP_4)
	v_dual_mov_b32 v48, v12 :: v_dual_mov_b32 v49, v13
	v_dual_mov_b32 v50, v14 :: v_dual_mov_b32 v51, v15
	v_dual_mov_b32 v52, v18 :: v_dual_mov_b32 v53, v19
	v_dual_mov_b32 v54, v16 :: v_dual_mov_b32 v55, v17
	v_dual_mov_b32 v12, v48 :: v_dual_mov_b32 v13, v49
	v_dual_mov_b32 v20, v35 :: v_dual_mov_b32 v35, v5
	v_dual_mov_b32 v14, v50 :: v_dual_mov_b32 v15, v51
	v_dual_mov_b32 v16, v52 :: v_dual_mov_b32 v17, v53
	v_dual_mov_b32 v18, v54 :: v_dual_mov_b32 v19, v55
	v_mov_b32_e32 v36, v31
; %bb.60:
	s_or_b32 exec_lo, exec_lo, s6
	s_delay_alu instid0(VALU_DEP_1) | instskip(NEXT) | instid1(VALU_DEP_1)
	v_and_b32_e32 v5, 0x7f800000, v36
	v_cmp_ne_u32_e64 s4, 0x7f800000, v5
                                        ; implicit-def: $vgpr5
	s_delay_alu instid0(VALU_DEP_1) | instskip(NEXT) | instid1(SALU_CYCLE_1)
	s_and_saveexec_b32 s6, s4
	s_xor_b32 s4, exec_lo, s6
; %bb.61:
	v_bfe_u32 v5, v36, 16, 1
	s_delay_alu instid0(VALU_DEP_1)
	v_add3_u32 v5, v36, v5, 0x7fff
                                        ; implicit-def: $vgpr36
; %bb.62:
	s_and_not1_saveexec_b32 s6, s4
; %bb.63:
	v_and_b32_e32 v5, 0xffff, v36
	v_or_b32_e32 v21, 0x10000, v36
	s_delay_alu instid0(VALU_DEP_2) | instskip(NEXT) | instid1(VALU_DEP_1)
	v_cmp_eq_u32_e64 s4, 0, v5
	v_cndmask_b32_e64 v5, v21, v36, s4
; %bb.64:
	s_or_b32 exec_lo, exec_lo, s6
	v_cndmask_b32_e64 v36, v8, v9, s3
	s_delay_alu instid0(VALU_DEP_1) | instskip(NEXT) | instid1(VALU_DEP_1)
	v_lshlrev_b32_e32 v21, 16, v36
	v_add_f32_e32 v22, 0, v21
	s_delay_alu instid0(VALU_DEP_1) | instskip(NEXT) | instid1(VALU_DEP_1)
	v_and_b32_e32 v21, 0x7f800000, v22
	v_cmp_ne_u32_e64 s4, 0x7f800000, v21
                                        ; implicit-def: $vgpr21
	s_delay_alu instid0(VALU_DEP_1) | instskip(NEXT) | instid1(SALU_CYCLE_1)
	s_and_saveexec_b32 s6, s4
	s_xor_b32 s4, exec_lo, s6
; %bb.65:
	v_bfe_u32 v21, v22, 16, 1
	s_delay_alu instid0(VALU_DEP_1)
	v_add3_u32 v21, v22, v21, 0x7fff
                                        ; implicit-def: $vgpr22
; %bb.66:
	s_and_not1_saveexec_b32 s6, s4
; %bb.67:
	v_and_b32_e32 v21, 0xffff, v22
	v_or_b32_e32 v23, 0x10000, v22
	s_delay_alu instid0(VALU_DEP_2) | instskip(NEXT) | instid1(VALU_DEP_1)
	v_cmp_eq_u32_e64 s4, 0, v21
	v_cndmask_b32_e64 v21, v23, v22, s4
; %bb.68:
	s_or_b32 exec_lo, exec_lo, s6
	v_cmp_lt_i32_e64 s4, -1, v5
	s_delay_alu instid0(VALU_DEP_2) | instskip(SKIP_2) | instid1(VALU_DEP_3)
	v_perm_b32 v5, v21, v5, 0x7060302
	v_mov_b32_e32 v38, v20
	s_mov_b32 s6, exec_lo
	v_cndmask_b32_e64 v22, -1, 0xffff8000, s4
	v_cmp_lt_i32_e64 s4, -1, v21
	s_delay_alu instid0(VALU_DEP_1) | instskip(NEXT) | instid1(VALU_DEP_1)
	v_cndmask_b32_e64 v23, -1, 0xffff8000, s4
	v_perm_b32 v21, v23, v22, 0x5040100
	s_delay_alu instid0(VALU_DEP_1) | instskip(NEXT) | instid1(VALU_DEP_1)
	v_xor_b32_e32 v5, v21, v5
	v_lshrrev_b32_e32 v21, 16, v5
	s_delay_alu instid0(VALU_DEP_1)
	v_cmpx_gt_u16_e64 v5, v21
; %bb.69:
	v_dual_mov_b32 v48, v12 :: v_dual_mov_b32 v49, v13
	v_dual_mov_b32 v50, v16 :: v_dual_mov_b32 v51, v17
	;; [unrolled: 1-line block ×4, first 2 shown]
	s_delay_alu instid0(VALU_DEP_4) | instskip(NEXT) | instid1(VALU_DEP_4)
	v_dual_mov_b32 v12, v48 :: v_dual_mov_b32 v13, v49
	v_dual_mov_b32 v14, v50 :: v_dual_mov_b32 v15, v51
	s_delay_alu instid0(VALU_DEP_4) | instskip(NEXT) | instid1(VALU_DEP_4)
	v_dual_mov_b32 v16, v52 :: v_dual_mov_b32 v17, v53
	v_dual_mov_b32 v18, v54 :: v_dual_mov_b32 v19, v55
	v_mov_b32_e32 v38, v36
	v_mov_b32_e32 v36, v20
; %bb.70:
	s_or_b32 exec_lo, exec_lo, s6
	v_cndmask_b32_e64 v37, v9, v8, s3
.LBB1973_71:
	s_or_b32 exec_lo, exec_lo, s5
	v_dual_mov_b32 v25, 0 :: v_dual_and_b32 v24, 0xffffff80, v4
	v_or_b32_e32 v8, 4, v34
	v_lshlrev_b32_e32 v20, 1, v34
	v_lshlrev_b32_e32 v21, 3, v34
	s_delay_alu instid0(VALU_DEP_4)
	v_sub_nc_u32_e64 v31, 0x400, v24 clamp
	v_lshlrev_b64 v[4:5], 1, v[24:25]
	v_and_b32_e32 v26, 0x78, v34
	v_and_b32_e32 v22, 4, v34
	v_perm_b32 v52, v35, v38, 0x5040100
	v_min_u32_e32 v39, v31, v8
	v_perm_b32 v51, v36, v37, 0x5040100
	v_add_co_u32 v8, s3, v10, v4
	s_delay_alu instid0(VALU_DEP_1) | instskip(NEXT) | instid1(VALU_DEP_4)
	v_add_co_ci_u32_e64 v9, s3, v11, v5, s3
	v_add_nc_u32_e32 v10, 4, v39
	v_min_u32_e32 v27, v31, v22
	v_sub_nc_u32_e32 v22, v39, v26
	s_delay_alu instid0(VALU_DEP_4) | instskip(NEXT) | instid1(VALU_DEP_4)
	v_mad_u64_u32 v[4:5], null, v24, 6, v[8:9]
	v_min_u32_e32 v48, v31, v10
	v_add_co_u32 v10, s3, v8, v20
	s_delay_alu instid0(VALU_DEP_1) | instskip(NEXT) | instid1(VALU_DEP_3)
	v_add_co_ci_u32_e64 v11, s3, 0, v9, s3
	v_sub_nc_u32_e32 v23, v48, v39
	v_add_co_u32 v20, s3, v4, v21
	s_delay_alu instid0(VALU_DEP_1) | instskip(SKIP_1) | instid1(VALU_DEP_3)
	v_add_co_ci_u32_e64 v21, s3, 0, v5, s3
	v_min_u32_e32 v50, v27, v22
	v_add_co_u32 v22, s3, 0x800, v20
	v_sub_nc_u32_e64 v49, v27, v23 clamp
	s_delay_alu instid0(VALU_DEP_4)
	v_add_co_ci_u32_e64 v23, s3, 0, v21, s3
	s_mov_b32 s4, 0
	s_mov_b32 s5, exec_lo
	s_clause 0x2
	flat_store_b128 v[20:21], v[12:15] offset:2048
	flat_store_b64 v[10:11], v[51:52]
	flat_store_b128 v[20:21], v[16:19] offset:2064
	; wave barrier
	v_cmpx_lt_u32_e64 v49, v50
	s_cbranch_execz .LBB1973_86
; %bb.72:
	v_lshlrev_b32_e32 v24, 1, v26
	v_lshlrev_b32_e32 v53, 1, v39
	s_delay_alu instid0(VALU_DEP_2) | instskip(NEXT) | instid1(VALU_DEP_1)
	v_add_co_u32 v51, s3, v8, v24
	v_add_co_ci_u32_e64 v52, s3, 0, v9, s3
	s_delay_alu instid0(VALU_DEP_3) | instskip(NEXT) | instid1(VALU_DEP_1)
	v_add_co_u32 v53, s3, v8, v53
	v_add_co_ci_u32_e64 v54, s3, 0, v9, s3
	s_branch .LBB1973_74
.LBB1973_73:                            ;   in Loop: Header=BB1973_74 Depth=1
	s_or_b32 exec_lo, exec_lo, s6
	v_cmp_lt_i32_e64 s3, -1, v24
	v_lshrrev_b32_e32 v65, 16, v24
	v_lshrrev_b32_e32 v66, 16, v64
	s_delay_alu instid0(VALU_DEP_3) | instskip(SKIP_1) | instid1(VALU_DEP_2)
	v_cndmask_b32_e64 v24, -1, 0xffff8000, s3
	v_cmp_lt_i32_e64 s3, -1, v64
	v_xor_b32_e32 v24, v24, v65
	s_delay_alu instid0(VALU_DEP_2) | instskip(SKIP_1) | instid1(VALU_DEP_2)
	v_cndmask_b32_e64 v64, -1, 0xffff8000, s3
	v_add_nc_u32_e32 v65, 1, v55
	v_xor_b32_e32 v64, v64, v66
	s_delay_alu instid0(VALU_DEP_1) | instskip(NEXT) | instid1(VALU_DEP_1)
	v_cmp_gt_u16_e64 s3, v24, v64
	v_cndmask_b32_e64 v50, v50, v55, s3
	s_delay_alu instid0(VALU_DEP_4) | instskip(NEXT) | instid1(VALU_DEP_1)
	v_cndmask_b32_e64 v49, v65, v49, s3
	v_cmp_ge_u32_e64 s3, v49, v50
	s_delay_alu instid0(VALU_DEP_1) | instskip(NEXT) | instid1(SALU_CYCLE_1)
	s_or_b32 s4, s3, s4
	s_and_not1_b32 exec_lo, exec_lo, s4
	s_cbranch_execz .LBB1973_85
.LBB1973_74:                            ; =>This Inner Loop Header: Depth=1
	v_add_nc_u32_e32 v66, v50, v49
	s_delay_alu instid0(VALU_DEP_1) | instskip(NEXT) | instid1(VALU_DEP_1)
	v_lshrrev_b32_e32 v55, 1, v66
	v_xad_u32 v24, v55, -1, v27
	s_delay_alu instid0(VALU_DEP_1) | instskip(NEXT) | instid1(VALU_DEP_1)
	v_lshlrev_b64 v[64:65], 1, v[24:25]
	v_add_co_u32 v64, s3, v53, v64
	s_delay_alu instid0(VALU_DEP_1) | instskip(SKIP_2) | instid1(VALU_DEP_1)
	v_add_co_ci_u32_e64 v65, s3, v54, v65, s3
	flat_load_u16 v24, v[64:65]
	v_and_b32_e32 v64, -2, v66
	v_add_co_u32 v64, s3, v51, v64
	s_delay_alu instid0(VALU_DEP_1) | instskip(SKIP_3) | instid1(VALU_DEP_1)
	v_add_co_ci_u32_e64 v65, s3, 0, v52, s3
	flat_load_u16 v64, v[64:65]
	s_waitcnt vmcnt(1) lgkmcnt(1)
	v_lshlrev_b32_e32 v24, 16, v24
	v_add_f32_e32 v65, 0, v24
	s_delay_alu instid0(VALU_DEP_1) | instskip(NEXT) | instid1(VALU_DEP_1)
	v_and_b32_e32 v24, 0x7f800000, v65
	v_cmp_ne_u32_e64 s3, 0x7f800000, v24
                                        ; implicit-def: $vgpr24
	s_delay_alu instid0(VALU_DEP_1) | instskip(NEXT) | instid1(SALU_CYCLE_1)
	s_and_saveexec_b32 s6, s3
	s_xor_b32 s3, exec_lo, s6
; %bb.75:                               ;   in Loop: Header=BB1973_74 Depth=1
	v_bfe_u32 v24, v65, 16, 1
	s_delay_alu instid0(VALU_DEP_1)
	v_add3_u32 v24, v65, v24, 0x7fff
                                        ; implicit-def: $vgpr65
; %bb.76:                               ;   in Loop: Header=BB1973_74 Depth=1
	s_and_not1_saveexec_b32 s6, s3
; %bb.77:                               ;   in Loop: Header=BB1973_74 Depth=1
	v_and_b32_e32 v24, 0xffff, v65
	v_or_b32_e32 v66, 0x10000, v65
	s_delay_alu instid0(VALU_DEP_2) | instskip(NEXT) | instid1(VALU_DEP_1)
	v_cmp_eq_u32_e64 s3, 0, v24
	v_cndmask_b32_e64 v24, v66, v65, s3
; %bb.78:                               ;   in Loop: Header=BB1973_74 Depth=1
	s_or_b32 exec_lo, exec_lo, s6
	s_waitcnt vmcnt(0) lgkmcnt(0)
	v_lshlrev_b32_e32 v64, 16, v64
	s_delay_alu instid0(VALU_DEP_1) | instskip(NEXT) | instid1(VALU_DEP_1)
	v_add_f32_e32 v65, 0, v64
	v_and_b32_e32 v64, 0x7f800000, v65
	s_delay_alu instid0(VALU_DEP_1) | instskip(NEXT) | instid1(VALU_DEP_1)
	v_cmp_ne_u32_e64 s3, 0x7f800000, v64
                                        ; implicit-def: $vgpr64
	s_and_saveexec_b32 s6, s3
	s_delay_alu instid0(SALU_CYCLE_1)
	s_xor_b32 s3, exec_lo, s6
; %bb.79:                               ;   in Loop: Header=BB1973_74 Depth=1
	v_bfe_u32 v64, v65, 16, 1
	s_delay_alu instid0(VALU_DEP_1)
	v_add3_u32 v64, v65, v64, 0x7fff
                                        ; implicit-def: $vgpr65
; %bb.80:                               ;   in Loop: Header=BB1973_74 Depth=1
	s_and_not1_saveexec_b32 s6, s3
	s_cbranch_execz .LBB1973_73
; %bb.81:                               ;   in Loop: Header=BB1973_74 Depth=1
	v_and_b32_e32 v64, 0xffff, v65
	v_or_b32_e32 v66, 0x10000, v65
	s_delay_alu instid0(VALU_DEP_2) | instskip(NEXT) | instid1(VALU_DEP_1)
	v_cmp_eq_u32_e64 s3, 0, v64
	v_cndmask_b32_e64 v64, v66, v65, s3
	s_branch .LBB1973_73
.LBB1973_82:
	flat_load_b64 v[12:13], v[4:5]
	s_or_b32 exec_lo, exec_lo, s3
	s_and_saveexec_b32 s3, s0
	s_cbranch_execz .LBB1973_10
.LBB1973_83:
	flat_load_b64 v[14:15], v[4:5] offset:8
	s_or_b32 exec_lo, exec_lo, s3
	s_and_saveexec_b32 s3, s1
	s_cbranch_execz .LBB1973_11
.LBB1973_84:
	flat_load_b64 v[16:17], v[4:5] offset:16
	s_or_b32 exec_lo, exec_lo, s3
	s_and_saveexec_b32 s3, s2
	s_cbranch_execnz .LBB1973_12
	s_branch .LBB1973_13
.LBB1973_85:
	s_or_b32 exec_lo, exec_lo, s4
.LBB1973_86:
	s_delay_alu instid0(SALU_CYCLE_1) | instskip(SKIP_2) | instid1(VALU_DEP_2)
	s_or_b32 exec_lo, exec_lo, s5
	v_add_nc_u32_e32 v25, v39, v27
	v_add_nc_u32_e32 v24, v49, v26
	v_sub_nc_u32_e32 v26, v25, v49
	s_delay_alu instid0(VALU_DEP_2) | instskip(NEXT) | instid1(VALU_DEP_2)
	v_cmp_le_u32_e64 s3, v24, v39
	v_cmp_le_u32_e64 s4, v26, v48
	s_delay_alu instid0(VALU_DEP_1) | instskip(NEXT) | instid1(SALU_CYCLE_1)
	s_or_b32 s3, s3, s4
	s_and_saveexec_b32 s5, s3
	s_cbranch_execz .LBB1973_138
; %bb.87:
	v_cmp_ge_u32_e64 s3, v24, v39
	s_mov_b32 s6, exec_lo
                                        ; implicit-def: $vgpr25
	v_cmpx_lt_u32_e64 v24, v39
	s_cbranch_execz .LBB1973_89
; %bb.88:
	v_mov_b32_e32 v25, 0
	s_delay_alu instid0(VALU_DEP_1) | instskip(NEXT) | instid1(VALU_DEP_1)
	v_lshlrev_b64 v[12:13], 1, v[24:25]
	v_add_co_u32 v12, s4, v8, v12
	s_delay_alu instid0(VALU_DEP_1)
	v_add_co_ci_u32_e64 v13, s4, v9, v13, s4
	flat_load_u16 v25, v[12:13]
.LBB1973_89:
	s_or_b32 exec_lo, exec_lo, s6
	v_cmp_ge_u32_e64 s6, v26, v48
	s_mov_b32 s7, exec_lo
                                        ; implicit-def: $vgpr27
	v_cmpx_lt_u32_e64 v26, v48
	s_cbranch_execz .LBB1973_91
; %bb.90:
	v_mov_b32_e32 v27, 0
	s_delay_alu instid0(VALU_DEP_1) | instskip(NEXT) | instid1(VALU_DEP_1)
	v_lshlrev_b64 v[12:13], 1, v[26:27]
	v_add_co_u32 v12, s4, v8, v12
	s_delay_alu instid0(VALU_DEP_1)
	v_add_co_ci_u32_e64 v13, s4, v9, v13, s4
	flat_load_u16 v27, v[12:13]
.LBB1973_91:
	s_or_b32 exec_lo, exec_lo, s7
	s_or_b32 s3, s3, s6
	s_delay_alu instid0(SALU_CYCLE_1) | instskip(NEXT) | instid1(SALU_CYCLE_1)
	s_xor_b32 s3, s3, -1
	s_and_saveexec_b32 s4, s3
	s_cbranch_execz .LBB1973_101
; %bb.92:
	s_waitcnt vmcnt(0) lgkmcnt(0)
	v_lshlrev_b32_e32 v12, 16, v27
	s_delay_alu instid0(VALU_DEP_1) | instskip(NEXT) | instid1(VALU_DEP_1)
	v_add_f32_e32 v13, 0, v12
	v_and_b32_e32 v12, 0x7f800000, v13
	s_delay_alu instid0(VALU_DEP_1) | instskip(NEXT) | instid1(VALU_DEP_1)
	v_cmp_ne_u32_e64 s3, 0x7f800000, v12
                                        ; implicit-def: $vgpr12
	s_and_saveexec_b32 s7, s3
	s_delay_alu instid0(SALU_CYCLE_1)
	s_xor_b32 s3, exec_lo, s7
; %bb.93:
	v_bfe_u32 v12, v13, 16, 1
	s_delay_alu instid0(VALU_DEP_1)
	v_add3_u32 v12, v13, v12, 0x7fff
                                        ; implicit-def: $vgpr13
; %bb.94:
	s_and_not1_saveexec_b32 s7, s3
; %bb.95:
	v_and_b32_e32 v12, 0xffff, v13
	v_or_b32_e32 v14, 0x10000, v13
	s_delay_alu instid0(VALU_DEP_2) | instskip(NEXT) | instid1(VALU_DEP_1)
	v_cmp_eq_u32_e64 s3, 0, v12
	v_cndmask_b32_e64 v12, v14, v13, s3
; %bb.96:
	s_or_b32 exec_lo, exec_lo, s7
	v_lshlrev_b32_e32 v13, 16, v25
	s_delay_alu instid0(VALU_DEP_1) | instskip(NEXT) | instid1(VALU_DEP_1)
	v_add_f32_e32 v14, 0, v13
	v_and_b32_e32 v13, 0x7f800000, v14
	s_delay_alu instid0(VALU_DEP_1) | instskip(NEXT) | instid1(VALU_DEP_1)
	v_cmp_ne_u32_e64 s3, 0x7f800000, v13
                                        ; implicit-def: $vgpr13
	s_and_saveexec_b32 s7, s3
	s_delay_alu instid0(SALU_CYCLE_1)
	s_xor_b32 s3, exec_lo, s7
; %bb.97:
	v_bfe_u32 v13, v14, 16, 1
	s_delay_alu instid0(VALU_DEP_1)
	v_add3_u32 v13, v14, v13, 0x7fff
                                        ; implicit-def: $vgpr14
; %bb.98:
	s_and_not1_saveexec_b32 s7, s3
; %bb.99:
	v_and_b32_e32 v13, 0xffff, v14
	v_or_b32_e32 v15, 0x10000, v14
	s_delay_alu instid0(VALU_DEP_2) | instskip(NEXT) | instid1(VALU_DEP_1)
	v_cmp_eq_u32_e64 s3, 0, v13
	v_cndmask_b32_e64 v13, v15, v14, s3
; %bb.100:
	s_or_b32 exec_lo, exec_lo, s7
	v_cmp_lt_i32_e64 s3, -1, v12
	s_delay_alu instid0(VALU_DEP_2) | instskip(SKIP_1) | instid1(VALU_DEP_2)
	v_perm_b32 v12, v13, v12, 0x7060302
	s_and_not1_b32 s6, s6, exec_lo
	v_cndmask_b32_e64 v14, -1, 0xffff8000, s3
	v_cmp_lt_i32_e64 s3, -1, v13
	s_delay_alu instid0(VALU_DEP_1) | instskip(NEXT) | instid1(VALU_DEP_1)
	v_cndmask_b32_e64 v15, -1, 0xffff8000, s3
	v_perm_b32 v13, v15, v14, 0x5040100
	s_delay_alu instid0(VALU_DEP_1) | instskip(NEXT) | instid1(VALU_DEP_1)
	v_xor_b32_e32 v12, v13, v12
	v_lshrrev_b32_e32 v13, 16, v12
	s_delay_alu instid0(VALU_DEP_1) | instskip(NEXT) | instid1(VALU_DEP_1)
	v_cmp_le_u16_e64 s3, v12, v13
	s_and_b32 s3, s3, exec_lo
	s_delay_alu instid0(SALU_CYCLE_1)
	s_or_b32 s6, s6, s3
.LBB1973_101:
	s_or_b32 exec_lo, exec_lo, s4
	v_cndmask_b32_e64 v14, v26, v24, s6
	v_cndmask_b32_e64 v12, v48, v39, s6
	v_mov_b32_e32 v15, 0
	s_mov_b32 s9, 0
	s_mov_b32 s7, -1
	v_add_nc_u32_e32 v18, 1, v14
	v_add_nc_u32_e32 v16, -1, v12
	v_lshlrev_b64 v[12:13], 3, v[14:15]
	s_mov_b32 s4, -1
	s_mov_b32 s8, exec_lo
	s_delay_alu instid0(VALU_DEP_2) | instskip(NEXT) | instid1(VALU_DEP_1)
	v_min_u32_e32 v14, v18, v16
	v_lshlrev_b64 v[16:17], 1, v[14:15]
	s_delay_alu instid0(VALU_DEP_1) | instskip(NEXT) | instid1(VALU_DEP_1)
	v_add_co_u32 v16, s3, v8, v16
	v_add_co_ci_u32_e64 v17, s3, v9, v17, s3
	v_add_co_u32 v12, s3, v4, v12
	s_delay_alu instid0(VALU_DEP_1)
	v_add_co_ci_u32_e64 v13, s3, v5, v13, s3
	s_clause 0x1
	flat_load_u16 v14, v[16:17]
	flat_load_b64 v[12:13], v[12:13] offset:2048
	v_cndmask_b32_e64 v16, v18, v26, s6
	v_cndmask_b32_e64 v17, v24, v18, s6
	s_waitcnt vmcnt(1) lgkmcnt(1)
	v_cndmask_b32_e64 v24, v14, v27, s6
	v_cndmask_b32_e64 v26, v25, v14, s6
	v_cmpx_lt_u32_e64 v16, v48
	s_cbranch_execz .LBB1973_113
; %bb.102:
	s_mov_b32 s4, exec_lo
	v_cmpx_lt_u32_e64 v17, v39
	s_cbranch_execz .LBB1973_112
; %bb.103:
	v_lshlrev_b32_e32 v14, 16, v24
	s_delay_alu instid0(VALU_DEP_1) | instskip(NEXT) | instid1(VALU_DEP_1)
	v_add_f32_e32 v18, 0, v14
	v_and_b32_e32 v14, 0x7f800000, v18
	s_delay_alu instid0(VALU_DEP_1) | instskip(NEXT) | instid1(VALU_DEP_1)
	v_cmp_ne_u32_e64 s3, 0x7f800000, v14
                                        ; implicit-def: $vgpr14
	s_and_saveexec_b32 s9, s3
	s_delay_alu instid0(SALU_CYCLE_1)
	s_xor_b32 s3, exec_lo, s9
; %bb.104:
	v_bfe_u32 v14, v18, 16, 1
	s_delay_alu instid0(VALU_DEP_1)
	v_add3_u32 v14, v18, v14, 0x7fff
                                        ; implicit-def: $vgpr18
; %bb.105:
	s_and_not1_saveexec_b32 s9, s3
; %bb.106:
	v_and_b32_e32 v14, 0xffff, v18
	v_or_b32_e32 v19, 0x10000, v18
	s_delay_alu instid0(VALU_DEP_2) | instskip(NEXT) | instid1(VALU_DEP_1)
	v_cmp_eq_u32_e64 s3, 0, v14
	v_cndmask_b32_e64 v14, v19, v18, s3
; %bb.107:
	s_or_b32 exec_lo, exec_lo, s9
	v_lshlrev_b32_e32 v18, 16, v26
	s_delay_alu instid0(VALU_DEP_1) | instskip(NEXT) | instid1(VALU_DEP_1)
	v_add_f32_e32 v19, 0, v18
	v_and_b32_e32 v18, 0x7f800000, v19
	s_delay_alu instid0(VALU_DEP_1) | instskip(NEXT) | instid1(VALU_DEP_1)
	v_cmp_ne_u32_e64 s3, 0x7f800000, v18
                                        ; implicit-def: $vgpr18
	s_and_saveexec_b32 s9, s3
	s_delay_alu instid0(SALU_CYCLE_1)
	s_xor_b32 s3, exec_lo, s9
; %bb.108:
	v_bfe_u32 v18, v19, 16, 1
	s_delay_alu instid0(VALU_DEP_1)
	v_add3_u32 v18, v19, v18, 0x7fff
                                        ; implicit-def: $vgpr19
; %bb.109:
	s_and_not1_saveexec_b32 s9, s3
; %bb.110:
	v_and_b32_e32 v18, 0xffff, v19
	v_or_b32_e32 v35, 0x10000, v19
	s_delay_alu instid0(VALU_DEP_2) | instskip(NEXT) | instid1(VALU_DEP_1)
	v_cmp_eq_u32_e64 s3, 0, v18
	v_cndmask_b32_e64 v18, v35, v19, s3
; %bb.111:
	s_or_b32 exec_lo, exec_lo, s9
	v_cmp_lt_i32_e64 s3, -1, v14
	s_delay_alu instid0(VALU_DEP_2) | instskip(NEXT) | instid1(VALU_DEP_2)
	v_perm_b32 v14, v18, v14, 0x7060302
	v_cndmask_b32_e64 v19, -1, 0xffff8000, s3
	v_cmp_lt_i32_e64 s3, -1, v18
	s_delay_alu instid0(VALU_DEP_1) | instskip(NEXT) | instid1(VALU_DEP_1)
	v_cndmask_b32_e64 v35, -1, 0xffff8000, s3
	v_perm_b32 v18, v35, v19, 0x5040100
	s_delay_alu instid0(VALU_DEP_1) | instskip(NEXT) | instid1(VALU_DEP_1)
	v_xor_b32_e32 v14, v18, v14
	v_lshrrev_b32_e32 v18, 16, v14
	s_delay_alu instid0(VALU_DEP_1) | instskip(NEXT) | instid1(VALU_DEP_1)
	v_cmp_le_u16_e64 s3, v14, v18
	s_and_b32 s9, s3, exec_lo
.LBB1973_112:
	s_or_b32 exec_lo, exec_lo, s4
	s_delay_alu instid0(SALU_CYCLE_1)
	s_or_not1_b32 s4, s9, exec_lo
.LBB1973_113:
	s_or_b32 exec_lo, exec_lo, s8
	v_cndmask_b32_e64 v14, v16, v17, s4
	v_cndmask_b32_e64 v18, v48, v39, s4
	s_mov_b32 s9, 0
	s_mov_b32 s8, exec_lo
	s_delay_alu instid0(VALU_DEP_2) | instskip(NEXT) | instid1(VALU_DEP_2)
	v_add_nc_u32_e32 v35, 1, v14
	v_add_nc_u32_e32 v36, -1, v18
	v_lshlrev_b64 v[18:19], 3, v[14:15]
	s_delay_alu instid0(VALU_DEP_3) | instskip(NEXT) | instid1(VALU_DEP_3)
	v_cndmask_b32_e64 v37, v35, v16, s4
	v_min_u32_e32 v14, v35, v36
	v_cndmask_b32_e64 v38, v17, v35, s4
	s_delay_alu instid0(VALU_DEP_2) | instskip(NEXT) | instid1(VALU_DEP_1)
	v_lshlrev_b64 v[14:15], 1, v[14:15]
	v_add_co_u32 v14, s3, v8, v14
	s_delay_alu instid0(VALU_DEP_1) | instskip(SKIP_2) | instid1(VALU_DEP_1)
	v_add_co_ci_u32_e64 v15, s3, v9, v15, s3
	flat_load_u16 v36, v[14:15]
	v_add_co_u32 v14, s3, v4, v18
	v_add_co_ci_u32_e64 v15, s3, v5, v19, s3
	flat_load_b64 v[14:15], v[14:15] offset:2048
	s_waitcnt vmcnt(1) lgkmcnt(1)
	v_cndmask_b32_e64 v35, v36, v24, s4
	v_cndmask_b32_e64 v36, v26, v36, s4
	v_cmpx_lt_u32_e64 v37, v48
	s_cbranch_execz .LBB1973_125
; %bb.114:
	s_mov_b32 s7, exec_lo
	v_cmpx_lt_u32_e64 v38, v39
	s_cbranch_execz .LBB1973_124
; %bb.115:
	v_lshlrev_b32_e32 v16, 16, v35
	s_delay_alu instid0(VALU_DEP_1) | instskip(NEXT) | instid1(VALU_DEP_1)
	v_add_f32_e32 v17, 0, v16
	v_and_b32_e32 v16, 0x7f800000, v17
	s_delay_alu instid0(VALU_DEP_1) | instskip(NEXT) | instid1(VALU_DEP_1)
	v_cmp_ne_u32_e64 s3, 0x7f800000, v16
                                        ; implicit-def: $vgpr16
	s_and_saveexec_b32 s9, s3
	s_delay_alu instid0(SALU_CYCLE_1)
	s_xor_b32 s3, exec_lo, s9
; %bb.116:
	v_bfe_u32 v16, v17, 16, 1
	s_delay_alu instid0(VALU_DEP_1)
	v_add3_u32 v16, v17, v16, 0x7fff
                                        ; implicit-def: $vgpr17
; %bb.117:
	s_and_not1_saveexec_b32 s9, s3
; %bb.118:
	v_and_b32_e32 v16, 0xffff, v17
	v_or_b32_e32 v18, 0x10000, v17
	s_delay_alu instid0(VALU_DEP_2) | instskip(NEXT) | instid1(VALU_DEP_1)
	v_cmp_eq_u32_e64 s3, 0, v16
	v_cndmask_b32_e64 v16, v18, v17, s3
; %bb.119:
	s_or_b32 exec_lo, exec_lo, s9
	v_lshlrev_b32_e32 v17, 16, v36
	s_delay_alu instid0(VALU_DEP_1) | instskip(NEXT) | instid1(VALU_DEP_1)
	v_add_f32_e32 v18, 0, v17
	v_and_b32_e32 v17, 0x7f800000, v18
	s_delay_alu instid0(VALU_DEP_1) | instskip(NEXT) | instid1(VALU_DEP_1)
	v_cmp_ne_u32_e64 s3, 0x7f800000, v17
                                        ; implicit-def: $vgpr17
	s_and_saveexec_b32 s9, s3
	s_delay_alu instid0(SALU_CYCLE_1)
	s_xor_b32 s3, exec_lo, s9
; %bb.120:
	v_bfe_u32 v17, v18, 16, 1
	s_delay_alu instid0(VALU_DEP_1)
	v_add3_u32 v17, v18, v17, 0x7fff
                                        ; implicit-def: $vgpr18
; %bb.121:
	s_and_not1_saveexec_b32 s9, s3
; %bb.122:
	v_and_b32_e32 v17, 0xffff, v18
	v_or_b32_e32 v19, 0x10000, v18
	s_delay_alu instid0(VALU_DEP_2) | instskip(NEXT) | instid1(VALU_DEP_1)
	v_cmp_eq_u32_e64 s3, 0, v17
	v_cndmask_b32_e64 v17, v19, v18, s3
; %bb.123:
	s_or_b32 exec_lo, exec_lo, s9
	v_cmp_lt_i32_e64 s3, -1, v16
	s_delay_alu instid0(VALU_DEP_2) | instskip(NEXT) | instid1(VALU_DEP_2)
	v_perm_b32 v16, v17, v16, 0x7060302
	v_cndmask_b32_e64 v18, -1, 0xffff8000, s3
	v_cmp_lt_i32_e64 s3, -1, v17
	s_delay_alu instid0(VALU_DEP_1) | instskip(NEXT) | instid1(VALU_DEP_1)
	v_cndmask_b32_e64 v19, -1, 0xffff8000, s3
	v_perm_b32 v17, v19, v18, 0x5040100
	s_delay_alu instid0(VALU_DEP_1) | instskip(NEXT) | instid1(VALU_DEP_1)
	v_xor_b32_e32 v16, v17, v16
	v_lshrrev_b32_e32 v17, 16, v16
	s_delay_alu instid0(VALU_DEP_1) | instskip(NEXT) | instid1(VALU_DEP_1)
	v_cmp_le_u16_e64 s3, v16, v17
	s_and_b32 s9, s3, exec_lo
.LBB1973_124:
	s_or_b32 exec_lo, exec_lo, s7
	s_delay_alu instid0(SALU_CYCLE_1)
	s_or_not1_b32 s7, s9, exec_lo
.LBB1973_125:
	s_or_b32 exec_lo, exec_lo, s8
	v_cndmask_b32_e64 v18, v37, v38, s7
	v_cndmask_b32_e64 v16, v48, v39, s7
	v_mov_b32_e32 v19, 0
	s_mov_b32 s10, 0
	s_mov_b32 s9, -1
	v_add_nc_u32_e32 v51, 1, v18
	v_add_nc_u32_e32 v49, -1, v16
	v_lshlrev_b64 v[16:17], 3, v[18:19]
	s_mov_b32 s8, exec_lo
	s_delay_alu instid0(VALU_DEP_2) | instskip(NEXT) | instid1(VALU_DEP_1)
	v_min_u32_e32 v18, v51, v49
	v_lshlrev_b64 v[49:50], 1, v[18:19]
	v_cndmask_b32_e64 v18, v51, v37, s7
	v_cndmask_b32_e64 v37, v38, v51, s7
	s_delay_alu instid0(VALU_DEP_3) | instskip(NEXT) | instid1(VALU_DEP_1)
	v_add_co_u32 v49, s3, v8, v49
	v_add_co_ci_u32_e64 v50, s3, v9, v50, s3
	v_add_co_u32 v16, s3, v4, v16
	s_delay_alu instid0(VALU_DEP_1)
	v_add_co_ci_u32_e64 v17, s3, v5, v17, s3
	s_clause 0x1
	flat_load_u16 v50, v[49:50]
	flat_load_b64 v[16:17], v[16:17] offset:2048
	s_waitcnt vmcnt(1) lgkmcnt(1)
	v_cndmask_b32_e64 v49, v50, v35, s7
	v_cndmask_b32_e64 v50, v36, v50, s7
	v_cmpx_lt_u32_e64 v18, v48
	s_cbranch_execz .LBB1973_137
; %bb.126:
	s_mov_b32 s9, exec_lo
	v_cmpx_lt_u32_e64 v37, v39
	s_cbranch_execz .LBB1973_136
; %bb.127:
	v_lshlrev_b32_e32 v38, 16, v49
	s_delay_alu instid0(VALU_DEP_1) | instskip(NEXT) | instid1(VALU_DEP_1)
	v_add_f32_e32 v39, 0, v38
	v_and_b32_e32 v38, 0x7f800000, v39
	s_delay_alu instid0(VALU_DEP_1) | instskip(NEXT) | instid1(VALU_DEP_1)
	v_cmp_ne_u32_e64 s3, 0x7f800000, v38
                                        ; implicit-def: $vgpr38
	s_and_saveexec_b32 s10, s3
	s_delay_alu instid0(SALU_CYCLE_1)
	s_xor_b32 s3, exec_lo, s10
; %bb.128:
	v_bfe_u32 v38, v39, 16, 1
	s_delay_alu instid0(VALU_DEP_1)
	v_add3_u32 v38, v39, v38, 0x7fff
                                        ; implicit-def: $vgpr39
; %bb.129:
	s_and_not1_saveexec_b32 s10, s3
; %bb.130:
	v_and_b32_e32 v38, 0xffff, v39
	v_or_b32_e32 v48, 0x10000, v39
	s_delay_alu instid0(VALU_DEP_2) | instskip(NEXT) | instid1(VALU_DEP_1)
	v_cmp_eq_u32_e64 s3, 0, v38
	v_cndmask_b32_e64 v38, v48, v39, s3
; %bb.131:
	s_or_b32 exec_lo, exec_lo, s10
	v_lshlrev_b32_e32 v39, 16, v50
	s_delay_alu instid0(VALU_DEP_1) | instskip(NEXT) | instid1(VALU_DEP_1)
	v_add_f32_e32 v48, 0, v39
	v_and_b32_e32 v39, 0x7f800000, v48
	s_delay_alu instid0(VALU_DEP_1) | instskip(NEXT) | instid1(VALU_DEP_1)
	v_cmp_ne_u32_e64 s3, 0x7f800000, v39
                                        ; implicit-def: $vgpr39
	s_and_saveexec_b32 s10, s3
	s_delay_alu instid0(SALU_CYCLE_1)
	s_xor_b32 s3, exec_lo, s10
; %bb.132:
	v_bfe_u32 v39, v48, 16, 1
	s_delay_alu instid0(VALU_DEP_1)
	v_add3_u32 v39, v48, v39, 0x7fff
                                        ; implicit-def: $vgpr48
; %bb.133:
	s_and_not1_saveexec_b32 s10, s3
; %bb.134:
	v_and_b32_e32 v39, 0xffff, v48
	v_or_b32_e32 v51, 0x10000, v48
	s_delay_alu instid0(VALU_DEP_2) | instskip(NEXT) | instid1(VALU_DEP_1)
	v_cmp_eq_u32_e64 s3, 0, v39
	v_cndmask_b32_e64 v39, v51, v48, s3
; %bb.135:
	s_or_b32 exec_lo, exec_lo, s10
	v_cmp_lt_i32_e64 s3, -1, v38
	s_delay_alu instid0(VALU_DEP_2) | instskip(NEXT) | instid1(VALU_DEP_2)
	v_perm_b32 v38, v39, v38, 0x7060302
	v_cndmask_b32_e64 v48, -1, 0xffff8000, s3
	v_cmp_lt_i32_e64 s3, -1, v39
	s_delay_alu instid0(VALU_DEP_1) | instskip(NEXT) | instid1(VALU_DEP_1)
	v_cndmask_b32_e64 v51, -1, 0xffff8000, s3
	v_perm_b32 v39, v51, v48, 0x5040100
	s_delay_alu instid0(VALU_DEP_1) | instskip(NEXT) | instid1(VALU_DEP_1)
	v_xor_b32_e32 v38, v39, v38
	v_lshrrev_b32_e32 v39, 16, v38
	s_delay_alu instid0(VALU_DEP_1) | instskip(NEXT) | instid1(VALU_DEP_1)
	v_cmp_le_u16_e64 s3, v38, v39
	s_and_b32 s10, s3, exec_lo
.LBB1973_136:
	s_or_b32 exec_lo, exec_lo, s9
	s_delay_alu instid0(SALU_CYCLE_1)
	s_or_not1_b32 s9, s10, exec_lo
.LBB1973_137:
	s_or_b32 exec_lo, exec_lo, s8
	v_cndmask_b32_e64 v18, v18, v37, s9
	v_cndmask_b32_e64 v38, v35, v36, s7
	;; [unrolled: 1-line block ×5, first 2 shown]
	v_lshlrev_b64 v[18:19], 3, v[18:19]
	s_delay_alu instid0(VALU_DEP_1) | instskip(NEXT) | instid1(VALU_DEP_1)
	v_add_co_u32 v18, s3, v4, v18
	v_add_co_ci_u32_e64 v19, s3, v5, v19, s3
	flat_load_b64 v[18:19], v[18:19] offset:2048
.LBB1973_138:
	s_or_b32 exec_lo, exec_lo, s5
	v_and_b32_e32 v26, 0x70, v34
	v_and_b32_e32 v25, 12, v34
	s_mov_b32 s4, exec_lo
	; wave barrier
	s_delay_alu instid0(VALU_DEP_2) | instskip(NEXT) | instid1(VALU_DEP_2)
	v_or_b32_e32 v24, 8, v26
	v_min_u32_e32 v27, v31, v25
	s_delay_alu instid0(VALU_DEP_2) | instskip(NEXT) | instid1(VALU_DEP_1)
	v_min_u32_e32 v39, v31, v24
	v_add_nc_u32_e32 v24, 8, v39
	s_delay_alu instid0(VALU_DEP_1) | instskip(SKIP_1) | instid1(VALU_DEP_2)
	v_min_u32_e32 v48, v31, v24
	v_sub_nc_u32_e32 v24, v39, v26
	v_sub_nc_u32_e32 v25, v48, v39
	s_delay_alu instid0(VALU_DEP_2) | instskip(SKIP_1) | instid1(VALU_DEP_3)
	v_min_u32_e32 v50, v27, v24
	v_perm_b32 v24, v36, v37, 0x5040100
	v_sub_nc_u32_e64 v49, v27, v25 clamp
	v_perm_b32 v25, v35, v38, 0x5040100
	s_clause 0x1
	flat_store_b128 v[20:21], v[12:15] offset:2048
	flat_store_b64 v[10:11], v[24:25]
	s_waitcnt vmcnt(0) lgkmcnt(2)
	flat_store_b128 v[22:23], v[16:19] offset:16
	; wave barrier
	v_cmpx_lt_u32_e64 v49, v50
	s_cbranch_execz .LBB1973_150
; %bb.139:
	v_lshlrev_b32_e32 v24, 1, v26
	v_lshlrev_b32_e32 v25, 1, v39
	s_mov_b32 s5, 0
	s_delay_alu instid0(VALU_DEP_2) | instskip(NEXT) | instid1(VALU_DEP_1)
	v_add_co_u32 v51, s3, v8, v24
	v_add_co_ci_u32_e64 v52, s3, 0, v9, s3
	s_delay_alu instid0(VALU_DEP_3)
	v_add_co_u32 v53, s3, v8, v25
	v_mov_b32_e32 v25, 0
	v_add_co_ci_u32_e64 v54, s3, 0, v9, s3
	s_branch .LBB1973_141
.LBB1973_140:                           ;   in Loop: Header=BB1973_141 Depth=1
	s_or_b32 exec_lo, exec_lo, s6
	v_cmp_lt_i32_e64 s3, -1, v24
	v_lshrrev_b32_e32 v65, 16, v24
	v_lshrrev_b32_e32 v66, 16, v64
	s_delay_alu instid0(VALU_DEP_3) | instskip(SKIP_1) | instid1(VALU_DEP_2)
	v_cndmask_b32_e64 v24, -1, 0xffff8000, s3
	v_cmp_lt_i32_e64 s3, -1, v64
	v_xor_b32_e32 v24, v24, v65
	s_delay_alu instid0(VALU_DEP_2) | instskip(SKIP_1) | instid1(VALU_DEP_2)
	v_cndmask_b32_e64 v64, -1, 0xffff8000, s3
	v_add_nc_u32_e32 v65, 1, v55
	v_xor_b32_e32 v64, v64, v66
	s_delay_alu instid0(VALU_DEP_1) | instskip(NEXT) | instid1(VALU_DEP_1)
	v_cmp_gt_u16_e64 s3, v24, v64
	v_cndmask_b32_e64 v50, v50, v55, s3
	s_delay_alu instid0(VALU_DEP_4) | instskip(NEXT) | instid1(VALU_DEP_1)
	v_cndmask_b32_e64 v49, v65, v49, s3
	v_cmp_ge_u32_e64 s3, v49, v50
	s_delay_alu instid0(VALU_DEP_1) | instskip(NEXT) | instid1(SALU_CYCLE_1)
	s_or_b32 s5, s3, s5
	s_and_not1_b32 exec_lo, exec_lo, s5
	s_cbranch_execz .LBB1973_149
.LBB1973_141:                           ; =>This Inner Loop Header: Depth=1
	v_add_nc_u32_e32 v66, v50, v49
	s_delay_alu instid0(VALU_DEP_1) | instskip(NEXT) | instid1(VALU_DEP_1)
	v_lshrrev_b32_e32 v55, 1, v66
	v_xad_u32 v24, v55, -1, v27
	s_delay_alu instid0(VALU_DEP_1) | instskip(NEXT) | instid1(VALU_DEP_1)
	v_lshlrev_b64 v[64:65], 1, v[24:25]
	v_add_co_u32 v64, s3, v53, v64
	s_delay_alu instid0(VALU_DEP_1) | instskip(SKIP_2) | instid1(VALU_DEP_1)
	v_add_co_ci_u32_e64 v65, s3, v54, v65, s3
	flat_load_u16 v24, v[64:65]
	v_and_b32_e32 v64, -2, v66
	v_add_co_u32 v64, s3, v51, v64
	s_delay_alu instid0(VALU_DEP_1) | instskip(SKIP_3) | instid1(VALU_DEP_1)
	v_add_co_ci_u32_e64 v65, s3, 0, v52, s3
	flat_load_u16 v64, v[64:65]
	s_waitcnt vmcnt(1) lgkmcnt(1)
	v_lshlrev_b32_e32 v24, 16, v24
	v_add_f32_e32 v65, 0, v24
	s_delay_alu instid0(VALU_DEP_1) | instskip(NEXT) | instid1(VALU_DEP_1)
	v_and_b32_e32 v24, 0x7f800000, v65
	v_cmp_ne_u32_e64 s3, 0x7f800000, v24
                                        ; implicit-def: $vgpr24
	s_delay_alu instid0(VALU_DEP_1) | instskip(NEXT) | instid1(SALU_CYCLE_1)
	s_and_saveexec_b32 s6, s3
	s_xor_b32 s3, exec_lo, s6
; %bb.142:                              ;   in Loop: Header=BB1973_141 Depth=1
	v_bfe_u32 v24, v65, 16, 1
	s_delay_alu instid0(VALU_DEP_1)
	v_add3_u32 v24, v65, v24, 0x7fff
                                        ; implicit-def: $vgpr65
; %bb.143:                              ;   in Loop: Header=BB1973_141 Depth=1
	s_and_not1_saveexec_b32 s6, s3
; %bb.144:                              ;   in Loop: Header=BB1973_141 Depth=1
	v_and_b32_e32 v24, 0xffff, v65
	v_or_b32_e32 v66, 0x10000, v65
	s_delay_alu instid0(VALU_DEP_2) | instskip(NEXT) | instid1(VALU_DEP_1)
	v_cmp_eq_u32_e64 s3, 0, v24
	v_cndmask_b32_e64 v24, v66, v65, s3
; %bb.145:                              ;   in Loop: Header=BB1973_141 Depth=1
	s_or_b32 exec_lo, exec_lo, s6
	s_waitcnt vmcnt(0) lgkmcnt(0)
	v_lshlrev_b32_e32 v64, 16, v64
	s_delay_alu instid0(VALU_DEP_1) | instskip(NEXT) | instid1(VALU_DEP_1)
	v_add_f32_e32 v65, 0, v64
	v_and_b32_e32 v64, 0x7f800000, v65
	s_delay_alu instid0(VALU_DEP_1) | instskip(NEXT) | instid1(VALU_DEP_1)
	v_cmp_ne_u32_e64 s3, 0x7f800000, v64
                                        ; implicit-def: $vgpr64
	s_and_saveexec_b32 s6, s3
	s_delay_alu instid0(SALU_CYCLE_1)
	s_xor_b32 s3, exec_lo, s6
; %bb.146:                              ;   in Loop: Header=BB1973_141 Depth=1
	v_bfe_u32 v64, v65, 16, 1
	s_delay_alu instid0(VALU_DEP_1)
	v_add3_u32 v64, v65, v64, 0x7fff
                                        ; implicit-def: $vgpr65
; %bb.147:                              ;   in Loop: Header=BB1973_141 Depth=1
	s_and_not1_saveexec_b32 s6, s3
	s_cbranch_execz .LBB1973_140
; %bb.148:                              ;   in Loop: Header=BB1973_141 Depth=1
	v_and_b32_e32 v64, 0xffff, v65
	v_or_b32_e32 v66, 0x10000, v65
	s_delay_alu instid0(VALU_DEP_2) | instskip(NEXT) | instid1(VALU_DEP_1)
	v_cmp_eq_u32_e64 s3, 0, v64
	v_cndmask_b32_e64 v64, v66, v65, s3
	s_branch .LBB1973_140
.LBB1973_149:
	s_or_b32 exec_lo, exec_lo, s5
.LBB1973_150:
	s_delay_alu instid0(SALU_CYCLE_1) | instskip(SKIP_2) | instid1(VALU_DEP_2)
	s_or_b32 exec_lo, exec_lo, s4
	v_add_nc_u32_e32 v25, v39, v27
	v_add_nc_u32_e32 v24, v49, v26
	v_sub_nc_u32_e32 v26, v25, v49
	s_delay_alu instid0(VALU_DEP_2) | instskip(NEXT) | instid1(VALU_DEP_2)
	v_cmp_le_u32_e64 s3, v24, v39
	v_cmp_le_u32_e64 s4, v26, v48
	s_delay_alu instid0(VALU_DEP_1) | instskip(NEXT) | instid1(SALU_CYCLE_1)
	s_or_b32 s3, s3, s4
	s_and_saveexec_b32 s5, s3
	s_cbranch_execz .LBB1973_202
; %bb.151:
	v_cmp_ge_u32_e64 s3, v24, v39
	s_mov_b32 s6, exec_lo
                                        ; implicit-def: $vgpr25
	v_cmpx_lt_u32_e64 v24, v39
	s_cbranch_execz .LBB1973_153
; %bb.152:
	v_mov_b32_e32 v25, 0
	s_delay_alu instid0(VALU_DEP_1) | instskip(NEXT) | instid1(VALU_DEP_1)
	v_lshlrev_b64 v[12:13], 1, v[24:25]
	v_add_co_u32 v12, s4, v8, v12
	s_delay_alu instid0(VALU_DEP_1)
	v_add_co_ci_u32_e64 v13, s4, v9, v13, s4
	flat_load_u16 v25, v[12:13]
.LBB1973_153:
	s_or_b32 exec_lo, exec_lo, s6
	v_cmp_ge_u32_e64 s6, v26, v48
	s_mov_b32 s7, exec_lo
                                        ; implicit-def: $vgpr27
	v_cmpx_lt_u32_e64 v26, v48
	s_cbranch_execz .LBB1973_155
; %bb.154:
	v_mov_b32_e32 v27, 0
	s_delay_alu instid0(VALU_DEP_1) | instskip(NEXT) | instid1(VALU_DEP_1)
	v_lshlrev_b64 v[12:13], 1, v[26:27]
	v_add_co_u32 v12, s4, v8, v12
	s_delay_alu instid0(VALU_DEP_1)
	v_add_co_ci_u32_e64 v13, s4, v9, v13, s4
	flat_load_u16 v27, v[12:13]
.LBB1973_155:
	s_or_b32 exec_lo, exec_lo, s7
	s_or_b32 s3, s3, s6
	s_delay_alu instid0(SALU_CYCLE_1) | instskip(NEXT) | instid1(SALU_CYCLE_1)
	s_xor_b32 s3, s3, -1
	s_and_saveexec_b32 s4, s3
	s_cbranch_execz .LBB1973_165
; %bb.156:
	s_waitcnt vmcnt(0) lgkmcnt(0)
	v_lshlrev_b32_e32 v12, 16, v27
	s_delay_alu instid0(VALU_DEP_1) | instskip(NEXT) | instid1(VALU_DEP_1)
	v_add_f32_e32 v13, 0, v12
	v_and_b32_e32 v12, 0x7f800000, v13
	s_delay_alu instid0(VALU_DEP_1) | instskip(NEXT) | instid1(VALU_DEP_1)
	v_cmp_ne_u32_e64 s3, 0x7f800000, v12
                                        ; implicit-def: $vgpr12
	s_and_saveexec_b32 s7, s3
	s_delay_alu instid0(SALU_CYCLE_1)
	s_xor_b32 s3, exec_lo, s7
; %bb.157:
	v_bfe_u32 v12, v13, 16, 1
	s_delay_alu instid0(VALU_DEP_1)
	v_add3_u32 v12, v13, v12, 0x7fff
                                        ; implicit-def: $vgpr13
; %bb.158:
	s_and_not1_saveexec_b32 s7, s3
; %bb.159:
	v_and_b32_e32 v12, 0xffff, v13
	v_or_b32_e32 v14, 0x10000, v13
	s_delay_alu instid0(VALU_DEP_2) | instskip(NEXT) | instid1(VALU_DEP_1)
	v_cmp_eq_u32_e64 s3, 0, v12
	v_cndmask_b32_e64 v12, v14, v13, s3
; %bb.160:
	s_or_b32 exec_lo, exec_lo, s7
	v_lshlrev_b32_e32 v13, 16, v25
	s_delay_alu instid0(VALU_DEP_1) | instskip(NEXT) | instid1(VALU_DEP_1)
	v_add_f32_e32 v14, 0, v13
	v_and_b32_e32 v13, 0x7f800000, v14
	s_delay_alu instid0(VALU_DEP_1) | instskip(NEXT) | instid1(VALU_DEP_1)
	v_cmp_ne_u32_e64 s3, 0x7f800000, v13
                                        ; implicit-def: $vgpr13
	s_and_saveexec_b32 s7, s3
	s_delay_alu instid0(SALU_CYCLE_1)
	s_xor_b32 s3, exec_lo, s7
; %bb.161:
	v_bfe_u32 v13, v14, 16, 1
	s_delay_alu instid0(VALU_DEP_1)
	v_add3_u32 v13, v14, v13, 0x7fff
                                        ; implicit-def: $vgpr14
; %bb.162:
	s_and_not1_saveexec_b32 s7, s3
; %bb.163:
	v_and_b32_e32 v13, 0xffff, v14
	v_or_b32_e32 v15, 0x10000, v14
	s_delay_alu instid0(VALU_DEP_2) | instskip(NEXT) | instid1(VALU_DEP_1)
	v_cmp_eq_u32_e64 s3, 0, v13
	v_cndmask_b32_e64 v13, v15, v14, s3
; %bb.164:
	s_or_b32 exec_lo, exec_lo, s7
	v_cmp_lt_i32_e64 s3, -1, v12
	s_delay_alu instid0(VALU_DEP_2) | instskip(SKIP_1) | instid1(VALU_DEP_2)
	v_perm_b32 v12, v13, v12, 0x7060302
	s_and_not1_b32 s6, s6, exec_lo
	v_cndmask_b32_e64 v14, -1, 0xffff8000, s3
	v_cmp_lt_i32_e64 s3, -1, v13
	s_delay_alu instid0(VALU_DEP_1) | instskip(NEXT) | instid1(VALU_DEP_1)
	v_cndmask_b32_e64 v15, -1, 0xffff8000, s3
	v_perm_b32 v13, v15, v14, 0x5040100
	s_delay_alu instid0(VALU_DEP_1) | instskip(NEXT) | instid1(VALU_DEP_1)
	v_xor_b32_e32 v12, v13, v12
	v_lshrrev_b32_e32 v13, 16, v12
	s_delay_alu instid0(VALU_DEP_1) | instskip(NEXT) | instid1(VALU_DEP_1)
	v_cmp_le_u16_e64 s3, v12, v13
	s_and_b32 s3, s3, exec_lo
	s_delay_alu instid0(SALU_CYCLE_1)
	s_or_b32 s6, s6, s3
.LBB1973_165:
	s_or_b32 exec_lo, exec_lo, s4
	v_cndmask_b32_e64 v14, v26, v24, s6
	v_cndmask_b32_e64 v12, v48, v39, s6
	v_mov_b32_e32 v15, 0
	s_mov_b32 s9, 0
	s_mov_b32 s7, -1
	v_add_nc_u32_e32 v18, 1, v14
	v_add_nc_u32_e32 v16, -1, v12
	v_lshlrev_b64 v[12:13], 3, v[14:15]
	s_mov_b32 s4, -1
	s_mov_b32 s8, exec_lo
	s_delay_alu instid0(VALU_DEP_2) | instskip(NEXT) | instid1(VALU_DEP_1)
	v_min_u32_e32 v14, v18, v16
	v_lshlrev_b64 v[16:17], 1, v[14:15]
	s_delay_alu instid0(VALU_DEP_1) | instskip(NEXT) | instid1(VALU_DEP_1)
	v_add_co_u32 v16, s3, v8, v16
	v_add_co_ci_u32_e64 v17, s3, v9, v17, s3
	v_add_co_u32 v12, s3, v4, v12
	s_delay_alu instid0(VALU_DEP_1)
	v_add_co_ci_u32_e64 v13, s3, v5, v13, s3
	s_clause 0x1
	flat_load_u16 v14, v[16:17]
	flat_load_b64 v[12:13], v[12:13] offset:2048
	v_cndmask_b32_e64 v16, v18, v26, s6
	v_cndmask_b32_e64 v17, v24, v18, s6
	s_waitcnt vmcnt(1) lgkmcnt(1)
	v_cndmask_b32_e64 v24, v14, v27, s6
	v_cndmask_b32_e64 v26, v25, v14, s6
	v_cmpx_lt_u32_e64 v16, v48
	s_cbranch_execz .LBB1973_177
; %bb.166:
	s_mov_b32 s4, exec_lo
	v_cmpx_lt_u32_e64 v17, v39
	s_cbranch_execz .LBB1973_176
; %bb.167:
	v_lshlrev_b32_e32 v14, 16, v24
	s_delay_alu instid0(VALU_DEP_1) | instskip(NEXT) | instid1(VALU_DEP_1)
	v_add_f32_e32 v18, 0, v14
	v_and_b32_e32 v14, 0x7f800000, v18
	s_delay_alu instid0(VALU_DEP_1) | instskip(NEXT) | instid1(VALU_DEP_1)
	v_cmp_ne_u32_e64 s3, 0x7f800000, v14
                                        ; implicit-def: $vgpr14
	s_and_saveexec_b32 s9, s3
	s_delay_alu instid0(SALU_CYCLE_1)
	s_xor_b32 s3, exec_lo, s9
; %bb.168:
	v_bfe_u32 v14, v18, 16, 1
	s_delay_alu instid0(VALU_DEP_1)
	v_add3_u32 v14, v18, v14, 0x7fff
                                        ; implicit-def: $vgpr18
; %bb.169:
	s_and_not1_saveexec_b32 s9, s3
; %bb.170:
	v_and_b32_e32 v14, 0xffff, v18
	v_or_b32_e32 v19, 0x10000, v18
	s_delay_alu instid0(VALU_DEP_2) | instskip(NEXT) | instid1(VALU_DEP_1)
	v_cmp_eq_u32_e64 s3, 0, v14
	v_cndmask_b32_e64 v14, v19, v18, s3
; %bb.171:
	s_or_b32 exec_lo, exec_lo, s9
	v_lshlrev_b32_e32 v18, 16, v26
	s_delay_alu instid0(VALU_DEP_1) | instskip(NEXT) | instid1(VALU_DEP_1)
	v_add_f32_e32 v19, 0, v18
	v_and_b32_e32 v18, 0x7f800000, v19
	s_delay_alu instid0(VALU_DEP_1) | instskip(NEXT) | instid1(VALU_DEP_1)
	v_cmp_ne_u32_e64 s3, 0x7f800000, v18
                                        ; implicit-def: $vgpr18
	s_and_saveexec_b32 s9, s3
	s_delay_alu instid0(SALU_CYCLE_1)
	s_xor_b32 s3, exec_lo, s9
; %bb.172:
	v_bfe_u32 v18, v19, 16, 1
	s_delay_alu instid0(VALU_DEP_1)
	v_add3_u32 v18, v19, v18, 0x7fff
                                        ; implicit-def: $vgpr19
; %bb.173:
	s_and_not1_saveexec_b32 s9, s3
; %bb.174:
	v_and_b32_e32 v18, 0xffff, v19
	v_or_b32_e32 v35, 0x10000, v19
	s_delay_alu instid0(VALU_DEP_2) | instskip(NEXT) | instid1(VALU_DEP_1)
	v_cmp_eq_u32_e64 s3, 0, v18
	v_cndmask_b32_e64 v18, v35, v19, s3
; %bb.175:
	s_or_b32 exec_lo, exec_lo, s9
	v_cmp_lt_i32_e64 s3, -1, v14
	s_delay_alu instid0(VALU_DEP_2) | instskip(NEXT) | instid1(VALU_DEP_2)
	v_perm_b32 v14, v18, v14, 0x7060302
	v_cndmask_b32_e64 v19, -1, 0xffff8000, s3
	v_cmp_lt_i32_e64 s3, -1, v18
	s_delay_alu instid0(VALU_DEP_1) | instskip(NEXT) | instid1(VALU_DEP_1)
	v_cndmask_b32_e64 v35, -1, 0xffff8000, s3
	v_perm_b32 v18, v35, v19, 0x5040100
	s_delay_alu instid0(VALU_DEP_1) | instskip(NEXT) | instid1(VALU_DEP_1)
	v_xor_b32_e32 v14, v18, v14
	v_lshrrev_b32_e32 v18, 16, v14
	s_delay_alu instid0(VALU_DEP_1) | instskip(NEXT) | instid1(VALU_DEP_1)
	v_cmp_le_u16_e64 s3, v14, v18
	s_and_b32 s9, s3, exec_lo
.LBB1973_176:
	s_or_b32 exec_lo, exec_lo, s4
	s_delay_alu instid0(SALU_CYCLE_1)
	s_or_not1_b32 s4, s9, exec_lo
.LBB1973_177:
	s_or_b32 exec_lo, exec_lo, s8
	v_cndmask_b32_e64 v14, v16, v17, s4
	v_cndmask_b32_e64 v18, v48, v39, s4
	s_mov_b32 s9, 0
	s_mov_b32 s8, exec_lo
	s_delay_alu instid0(VALU_DEP_2) | instskip(NEXT) | instid1(VALU_DEP_2)
	v_add_nc_u32_e32 v35, 1, v14
	v_add_nc_u32_e32 v36, -1, v18
	v_lshlrev_b64 v[18:19], 3, v[14:15]
	s_delay_alu instid0(VALU_DEP_3) | instskip(NEXT) | instid1(VALU_DEP_3)
	v_cndmask_b32_e64 v37, v35, v16, s4
	v_min_u32_e32 v14, v35, v36
	v_cndmask_b32_e64 v38, v17, v35, s4
	s_delay_alu instid0(VALU_DEP_2) | instskip(NEXT) | instid1(VALU_DEP_1)
	v_lshlrev_b64 v[14:15], 1, v[14:15]
	v_add_co_u32 v14, s3, v8, v14
	s_delay_alu instid0(VALU_DEP_1) | instskip(SKIP_2) | instid1(VALU_DEP_1)
	v_add_co_ci_u32_e64 v15, s3, v9, v15, s3
	flat_load_u16 v36, v[14:15]
	v_add_co_u32 v14, s3, v4, v18
	v_add_co_ci_u32_e64 v15, s3, v5, v19, s3
	flat_load_b64 v[14:15], v[14:15] offset:2048
	s_waitcnt vmcnt(1) lgkmcnt(1)
	v_cndmask_b32_e64 v35, v36, v24, s4
	v_cndmask_b32_e64 v36, v26, v36, s4
	v_cmpx_lt_u32_e64 v37, v48
	s_cbranch_execz .LBB1973_189
; %bb.178:
	s_mov_b32 s7, exec_lo
	v_cmpx_lt_u32_e64 v38, v39
	s_cbranch_execz .LBB1973_188
; %bb.179:
	v_lshlrev_b32_e32 v16, 16, v35
	s_delay_alu instid0(VALU_DEP_1) | instskip(NEXT) | instid1(VALU_DEP_1)
	v_add_f32_e32 v17, 0, v16
	v_and_b32_e32 v16, 0x7f800000, v17
	s_delay_alu instid0(VALU_DEP_1) | instskip(NEXT) | instid1(VALU_DEP_1)
	v_cmp_ne_u32_e64 s3, 0x7f800000, v16
                                        ; implicit-def: $vgpr16
	s_and_saveexec_b32 s9, s3
	s_delay_alu instid0(SALU_CYCLE_1)
	s_xor_b32 s3, exec_lo, s9
; %bb.180:
	v_bfe_u32 v16, v17, 16, 1
	s_delay_alu instid0(VALU_DEP_1)
	v_add3_u32 v16, v17, v16, 0x7fff
                                        ; implicit-def: $vgpr17
; %bb.181:
	s_and_not1_saveexec_b32 s9, s3
; %bb.182:
	v_and_b32_e32 v16, 0xffff, v17
	v_or_b32_e32 v18, 0x10000, v17
	s_delay_alu instid0(VALU_DEP_2) | instskip(NEXT) | instid1(VALU_DEP_1)
	v_cmp_eq_u32_e64 s3, 0, v16
	v_cndmask_b32_e64 v16, v18, v17, s3
; %bb.183:
	s_or_b32 exec_lo, exec_lo, s9
	v_lshlrev_b32_e32 v17, 16, v36
	s_delay_alu instid0(VALU_DEP_1) | instskip(NEXT) | instid1(VALU_DEP_1)
	v_add_f32_e32 v18, 0, v17
	v_and_b32_e32 v17, 0x7f800000, v18
	s_delay_alu instid0(VALU_DEP_1) | instskip(NEXT) | instid1(VALU_DEP_1)
	v_cmp_ne_u32_e64 s3, 0x7f800000, v17
                                        ; implicit-def: $vgpr17
	s_and_saveexec_b32 s9, s3
	s_delay_alu instid0(SALU_CYCLE_1)
	s_xor_b32 s3, exec_lo, s9
; %bb.184:
	v_bfe_u32 v17, v18, 16, 1
	s_delay_alu instid0(VALU_DEP_1)
	v_add3_u32 v17, v18, v17, 0x7fff
                                        ; implicit-def: $vgpr18
; %bb.185:
	s_and_not1_saveexec_b32 s9, s3
; %bb.186:
	v_and_b32_e32 v17, 0xffff, v18
	v_or_b32_e32 v19, 0x10000, v18
	s_delay_alu instid0(VALU_DEP_2) | instskip(NEXT) | instid1(VALU_DEP_1)
	v_cmp_eq_u32_e64 s3, 0, v17
	v_cndmask_b32_e64 v17, v19, v18, s3
; %bb.187:
	s_or_b32 exec_lo, exec_lo, s9
	v_cmp_lt_i32_e64 s3, -1, v16
	s_delay_alu instid0(VALU_DEP_2) | instskip(NEXT) | instid1(VALU_DEP_2)
	v_perm_b32 v16, v17, v16, 0x7060302
	v_cndmask_b32_e64 v18, -1, 0xffff8000, s3
	v_cmp_lt_i32_e64 s3, -1, v17
	s_delay_alu instid0(VALU_DEP_1) | instskip(NEXT) | instid1(VALU_DEP_1)
	v_cndmask_b32_e64 v19, -1, 0xffff8000, s3
	v_perm_b32 v17, v19, v18, 0x5040100
	s_delay_alu instid0(VALU_DEP_1) | instskip(NEXT) | instid1(VALU_DEP_1)
	v_xor_b32_e32 v16, v17, v16
	v_lshrrev_b32_e32 v17, 16, v16
	s_delay_alu instid0(VALU_DEP_1) | instskip(NEXT) | instid1(VALU_DEP_1)
	v_cmp_le_u16_e64 s3, v16, v17
	s_and_b32 s9, s3, exec_lo
.LBB1973_188:
	s_or_b32 exec_lo, exec_lo, s7
	s_delay_alu instid0(SALU_CYCLE_1)
	s_or_not1_b32 s7, s9, exec_lo
.LBB1973_189:
	s_or_b32 exec_lo, exec_lo, s8
	v_cndmask_b32_e64 v18, v37, v38, s7
	v_cndmask_b32_e64 v16, v48, v39, s7
	v_mov_b32_e32 v19, 0
	s_mov_b32 s10, 0
	s_mov_b32 s9, -1
	v_add_nc_u32_e32 v51, 1, v18
	v_add_nc_u32_e32 v49, -1, v16
	v_lshlrev_b64 v[16:17], 3, v[18:19]
	s_mov_b32 s8, exec_lo
	s_delay_alu instid0(VALU_DEP_2) | instskip(NEXT) | instid1(VALU_DEP_1)
	v_min_u32_e32 v18, v51, v49
	v_lshlrev_b64 v[49:50], 1, v[18:19]
	v_cndmask_b32_e64 v18, v51, v37, s7
	v_cndmask_b32_e64 v37, v38, v51, s7
	s_delay_alu instid0(VALU_DEP_3) | instskip(NEXT) | instid1(VALU_DEP_1)
	v_add_co_u32 v49, s3, v8, v49
	v_add_co_ci_u32_e64 v50, s3, v9, v50, s3
	v_add_co_u32 v16, s3, v4, v16
	s_delay_alu instid0(VALU_DEP_1)
	v_add_co_ci_u32_e64 v17, s3, v5, v17, s3
	s_clause 0x1
	flat_load_u16 v50, v[49:50]
	flat_load_b64 v[16:17], v[16:17] offset:2048
	s_waitcnt vmcnt(1) lgkmcnt(1)
	v_cndmask_b32_e64 v49, v50, v35, s7
	v_cndmask_b32_e64 v50, v36, v50, s7
	v_cmpx_lt_u32_e64 v18, v48
	s_cbranch_execz .LBB1973_201
; %bb.190:
	s_mov_b32 s9, exec_lo
	v_cmpx_lt_u32_e64 v37, v39
	s_cbranch_execz .LBB1973_200
; %bb.191:
	v_lshlrev_b32_e32 v38, 16, v49
	s_delay_alu instid0(VALU_DEP_1) | instskip(NEXT) | instid1(VALU_DEP_1)
	v_add_f32_e32 v39, 0, v38
	v_and_b32_e32 v38, 0x7f800000, v39
	s_delay_alu instid0(VALU_DEP_1) | instskip(NEXT) | instid1(VALU_DEP_1)
	v_cmp_ne_u32_e64 s3, 0x7f800000, v38
                                        ; implicit-def: $vgpr38
	s_and_saveexec_b32 s10, s3
	s_delay_alu instid0(SALU_CYCLE_1)
	s_xor_b32 s3, exec_lo, s10
; %bb.192:
	v_bfe_u32 v38, v39, 16, 1
	s_delay_alu instid0(VALU_DEP_1)
	v_add3_u32 v38, v39, v38, 0x7fff
                                        ; implicit-def: $vgpr39
; %bb.193:
	s_and_not1_saveexec_b32 s10, s3
; %bb.194:
	v_and_b32_e32 v38, 0xffff, v39
	v_or_b32_e32 v48, 0x10000, v39
	s_delay_alu instid0(VALU_DEP_2) | instskip(NEXT) | instid1(VALU_DEP_1)
	v_cmp_eq_u32_e64 s3, 0, v38
	v_cndmask_b32_e64 v38, v48, v39, s3
; %bb.195:
	s_or_b32 exec_lo, exec_lo, s10
	v_lshlrev_b32_e32 v39, 16, v50
	s_delay_alu instid0(VALU_DEP_1) | instskip(NEXT) | instid1(VALU_DEP_1)
	v_add_f32_e32 v48, 0, v39
	v_and_b32_e32 v39, 0x7f800000, v48
	s_delay_alu instid0(VALU_DEP_1) | instskip(NEXT) | instid1(VALU_DEP_1)
	v_cmp_ne_u32_e64 s3, 0x7f800000, v39
                                        ; implicit-def: $vgpr39
	s_and_saveexec_b32 s10, s3
	s_delay_alu instid0(SALU_CYCLE_1)
	s_xor_b32 s3, exec_lo, s10
; %bb.196:
	v_bfe_u32 v39, v48, 16, 1
	s_delay_alu instid0(VALU_DEP_1)
	v_add3_u32 v39, v48, v39, 0x7fff
                                        ; implicit-def: $vgpr48
; %bb.197:
	s_and_not1_saveexec_b32 s10, s3
; %bb.198:
	v_and_b32_e32 v39, 0xffff, v48
	v_or_b32_e32 v51, 0x10000, v48
	s_delay_alu instid0(VALU_DEP_2) | instskip(NEXT) | instid1(VALU_DEP_1)
	v_cmp_eq_u32_e64 s3, 0, v39
	v_cndmask_b32_e64 v39, v51, v48, s3
; %bb.199:
	s_or_b32 exec_lo, exec_lo, s10
	v_cmp_lt_i32_e64 s3, -1, v38
	s_delay_alu instid0(VALU_DEP_2) | instskip(NEXT) | instid1(VALU_DEP_2)
	v_perm_b32 v38, v39, v38, 0x7060302
	v_cndmask_b32_e64 v48, -1, 0xffff8000, s3
	v_cmp_lt_i32_e64 s3, -1, v39
	s_delay_alu instid0(VALU_DEP_1) | instskip(NEXT) | instid1(VALU_DEP_1)
	v_cndmask_b32_e64 v51, -1, 0xffff8000, s3
	v_perm_b32 v39, v51, v48, 0x5040100
	s_delay_alu instid0(VALU_DEP_1) | instskip(NEXT) | instid1(VALU_DEP_1)
	v_xor_b32_e32 v38, v39, v38
	v_lshrrev_b32_e32 v39, 16, v38
	s_delay_alu instid0(VALU_DEP_1) | instskip(NEXT) | instid1(VALU_DEP_1)
	v_cmp_le_u16_e64 s3, v38, v39
	s_and_b32 s10, s3, exec_lo
.LBB1973_200:
	s_or_b32 exec_lo, exec_lo, s9
	s_delay_alu instid0(SALU_CYCLE_1)
	s_or_not1_b32 s9, s10, exec_lo
.LBB1973_201:
	s_or_b32 exec_lo, exec_lo, s8
	v_cndmask_b32_e64 v18, v18, v37, s9
	v_cndmask_b32_e64 v38, v35, v36, s7
	;; [unrolled: 1-line block ×5, first 2 shown]
	v_lshlrev_b64 v[18:19], 3, v[18:19]
	s_delay_alu instid0(VALU_DEP_1) | instskip(NEXT) | instid1(VALU_DEP_1)
	v_add_co_u32 v18, s3, v4, v18
	v_add_co_ci_u32_e64 v19, s3, v5, v19, s3
	flat_load_b64 v[18:19], v[18:19] offset:2048
.LBB1973_202:
	s_or_b32 exec_lo, exec_lo, s5
	v_and_b32_e32 v26, 0x60, v34
	v_min_u32_e32 v27, v31, v33
	v_perm_b32 v49, v35, v38, 0x5040100
	v_perm_b32 v48, v36, v37, 0x5040100
	s_mov_b32 s4, exec_lo
	v_or_b32_e32 v24, 16, v26
	; wave barrier
	s_clause 0x1
	flat_store_b128 v[20:21], v[12:15] offset:2048
	flat_store_b64 v[10:11], v[48:49]
	s_waitcnt vmcnt(0) lgkmcnt(2)
	flat_store_b128 v[22:23], v[16:19] offset:16
	v_min_u32_e32 v24, v31, v24
	; wave barrier
	s_delay_alu instid0(VALU_DEP_1) | instskip(NEXT) | instid1(VALU_DEP_1)
	v_add_nc_u32_e32 v25, 16, v24
	v_min_u32_e32 v25, v31, v25
	v_sub_nc_u32_e32 v31, v24, v26
	s_delay_alu instid0(VALU_DEP_2) | instskip(NEXT) | instid1(VALU_DEP_2)
	v_sub_nc_u32_e32 v34, v25, v24
	v_min_u32_e32 v33, v27, v31
	s_delay_alu instid0(VALU_DEP_2) | instskip(NEXT) | instid1(VALU_DEP_1)
	v_sub_nc_u32_e64 v31, v27, v34 clamp
	v_cmpx_lt_u32_e64 v31, v33
	s_cbranch_execz .LBB1973_214
; %bb.203:
	v_lshlrev_b32_e32 v10, 1, v26
	v_lshlrev_b32_e32 v11, 1, v24
	s_mov_b32 s5, 0
	s_delay_alu instid0(VALU_DEP_2) | instskip(NEXT) | instid1(VALU_DEP_1)
	v_add_co_u32 v20, s3, v8, v10
	v_add_co_ci_u32_e64 v21, s3, 0, v9, s3
	s_delay_alu instid0(VALU_DEP_3)
	v_add_co_u32 v22, s3, v8, v11
	v_mov_b32_e32 v11, 0
	v_add_co_ci_u32_e64 v23, s3, 0, v9, s3
	s_branch .LBB1973_205
.LBB1973_204:                           ;   in Loop: Header=BB1973_205 Depth=1
	s_or_b32 exec_lo, exec_lo, s6
	v_cmp_lt_i32_e64 s3, -1, v10
	v_lshrrev_b32_e32 v48, 16, v10
	v_lshrrev_b32_e32 v49, 16, v39
	s_delay_alu instid0(VALU_DEP_3) | instskip(SKIP_1) | instid1(VALU_DEP_2)
	v_cndmask_b32_e64 v10, -1, 0xffff8000, s3
	v_cmp_lt_i32_e64 s3, -1, v39
	v_xor_b32_e32 v10, v10, v48
	s_delay_alu instid0(VALU_DEP_2) | instskip(SKIP_1) | instid1(VALU_DEP_2)
	v_cndmask_b32_e64 v39, -1, 0xffff8000, s3
	v_add_nc_u32_e32 v48, 1, v34
	v_xor_b32_e32 v39, v39, v49
	s_delay_alu instid0(VALU_DEP_1) | instskip(NEXT) | instid1(VALU_DEP_1)
	v_cmp_gt_u16_e64 s3, v10, v39
	v_cndmask_b32_e64 v33, v33, v34, s3
	s_delay_alu instid0(VALU_DEP_4) | instskip(NEXT) | instid1(VALU_DEP_1)
	v_cndmask_b32_e64 v31, v48, v31, s3
	v_cmp_ge_u32_e64 s3, v31, v33
	s_delay_alu instid0(VALU_DEP_1) | instskip(NEXT) | instid1(SALU_CYCLE_1)
	s_or_b32 s5, s3, s5
	s_and_not1_b32 exec_lo, exec_lo, s5
	s_cbranch_execz .LBB1973_213
.LBB1973_205:                           ; =>This Inner Loop Header: Depth=1
	v_add_nc_u32_e32 v39, v33, v31
	s_delay_alu instid0(VALU_DEP_1) | instskip(SKIP_1) | instid1(VALU_DEP_2)
	v_lshrrev_b32_e32 v34, 1, v39
	v_and_b32_e32 v39, -2, v39
	v_xad_u32 v10, v34, -1, v27
	s_delay_alu instid0(VALU_DEP_1) | instskip(NEXT) | instid1(VALU_DEP_1)
	v_lshlrev_b64 v[48:49], 1, v[10:11]
	v_add_co_u32 v48, s3, v22, v48
	s_delay_alu instid0(VALU_DEP_1) | instskip(SKIP_2) | instid1(VALU_DEP_1)
	v_add_co_ci_u32_e64 v49, s3, v23, v49, s3
	flat_load_u16 v10, v[48:49]
	v_add_co_u32 v48, s3, v20, v39
	v_add_co_ci_u32_e64 v49, s3, 0, v21, s3
	flat_load_u16 v39, v[48:49]
	s_waitcnt vmcnt(1) lgkmcnt(1)
	v_lshlrev_b32_e32 v10, 16, v10
	s_delay_alu instid0(VALU_DEP_1) | instskip(NEXT) | instid1(VALU_DEP_1)
	v_add_f32_e32 v48, 0, v10
	v_and_b32_e32 v10, 0x7f800000, v48
	s_delay_alu instid0(VALU_DEP_1) | instskip(NEXT) | instid1(VALU_DEP_1)
	v_cmp_ne_u32_e64 s3, 0x7f800000, v10
                                        ; implicit-def: $vgpr10
	s_and_saveexec_b32 s6, s3
	s_delay_alu instid0(SALU_CYCLE_1)
	s_xor_b32 s3, exec_lo, s6
; %bb.206:                              ;   in Loop: Header=BB1973_205 Depth=1
	v_bfe_u32 v10, v48, 16, 1
	s_delay_alu instid0(VALU_DEP_1)
	v_add3_u32 v10, v48, v10, 0x7fff
                                        ; implicit-def: $vgpr48
; %bb.207:                              ;   in Loop: Header=BB1973_205 Depth=1
	s_and_not1_saveexec_b32 s6, s3
; %bb.208:                              ;   in Loop: Header=BB1973_205 Depth=1
	v_and_b32_e32 v10, 0xffff, v48
	v_or_b32_e32 v49, 0x10000, v48
	s_delay_alu instid0(VALU_DEP_2) | instskip(NEXT) | instid1(VALU_DEP_1)
	v_cmp_eq_u32_e64 s3, 0, v10
	v_cndmask_b32_e64 v10, v49, v48, s3
; %bb.209:                              ;   in Loop: Header=BB1973_205 Depth=1
	s_or_b32 exec_lo, exec_lo, s6
	s_waitcnt vmcnt(0) lgkmcnt(0)
	v_lshlrev_b32_e32 v39, 16, v39
	s_delay_alu instid0(VALU_DEP_1) | instskip(NEXT) | instid1(VALU_DEP_1)
	v_add_f32_e32 v48, 0, v39
	v_and_b32_e32 v39, 0x7f800000, v48
	s_delay_alu instid0(VALU_DEP_1) | instskip(NEXT) | instid1(VALU_DEP_1)
	v_cmp_ne_u32_e64 s3, 0x7f800000, v39
                                        ; implicit-def: $vgpr39
	s_and_saveexec_b32 s6, s3
	s_delay_alu instid0(SALU_CYCLE_1)
	s_xor_b32 s3, exec_lo, s6
; %bb.210:                              ;   in Loop: Header=BB1973_205 Depth=1
	v_bfe_u32 v39, v48, 16, 1
	s_delay_alu instid0(VALU_DEP_1)
	v_add3_u32 v39, v48, v39, 0x7fff
                                        ; implicit-def: $vgpr48
; %bb.211:                              ;   in Loop: Header=BB1973_205 Depth=1
	s_and_not1_saveexec_b32 s6, s3
	s_cbranch_execz .LBB1973_204
; %bb.212:                              ;   in Loop: Header=BB1973_205 Depth=1
	v_and_b32_e32 v39, 0xffff, v48
	v_or_b32_e32 v49, 0x10000, v48
	s_delay_alu instid0(VALU_DEP_2) | instskip(NEXT) | instid1(VALU_DEP_1)
	v_cmp_eq_u32_e64 s3, 0, v39
	v_cndmask_b32_e64 v39, v49, v48, s3
	s_branch .LBB1973_204
.LBB1973_213:
	s_or_b32 exec_lo, exec_lo, s5
.LBB1973_214:
	s_delay_alu instid0(SALU_CYCLE_1) | instskip(SKIP_2) | instid1(VALU_DEP_2)
	s_or_b32 exec_lo, exec_lo, s4
	v_add_nc_u32_e32 v11, v24, v27
	v_add_nc_u32_e32 v10, v31, v26
	v_sub_nc_u32_e32 v20, v11, v31
	s_delay_alu instid0(VALU_DEP_2) | instskip(NEXT) | instid1(VALU_DEP_2)
	v_cmp_le_u32_e64 s3, v10, v24
	v_cmp_le_u32_e64 s4, v20, v25
	s_delay_alu instid0(VALU_DEP_1) | instskip(NEXT) | instid1(SALU_CYCLE_1)
	s_or_b32 s3, s3, s4
	s_and_saveexec_b32 s5, s3
	s_cbranch_execz .LBB1973_266
; %bb.215:
	v_cmp_ge_u32_e64 s3, v10, v24
	s_mov_b32 s6, exec_lo
                                        ; implicit-def: $vgpr22
	v_cmpx_lt_u32_e64 v10, v24
	s_cbranch_execz .LBB1973_217
; %bb.216:
	v_mov_b32_e32 v11, 0
	s_delay_alu instid0(VALU_DEP_1) | instskip(NEXT) | instid1(VALU_DEP_1)
	v_lshlrev_b64 v[11:12], 1, v[10:11]
	v_add_co_u32 v11, s4, v8, v11
	s_delay_alu instid0(VALU_DEP_1)
	v_add_co_ci_u32_e64 v12, s4, v9, v12, s4
	flat_load_u16 v22, v[11:12]
.LBB1973_217:
	s_or_b32 exec_lo, exec_lo, s6
	v_cmp_ge_u32_e64 s6, v20, v25
	s_mov_b32 s7, exec_lo
                                        ; implicit-def: $vgpr21
	v_cmpx_lt_u32_e64 v20, v25
	s_cbranch_execz .LBB1973_219
; %bb.218:
	v_mov_b32_e32 v21, 0
	s_delay_alu instid0(VALU_DEP_1) | instskip(NEXT) | instid1(VALU_DEP_1)
	v_lshlrev_b64 v[11:12], 1, v[20:21]
	v_add_co_u32 v11, s4, v8, v11
	s_delay_alu instid0(VALU_DEP_1)
	v_add_co_ci_u32_e64 v12, s4, v9, v12, s4
	flat_load_u16 v21, v[11:12]
.LBB1973_219:
	s_or_b32 exec_lo, exec_lo, s7
	s_or_b32 s3, s3, s6
	s_delay_alu instid0(SALU_CYCLE_1) | instskip(NEXT) | instid1(SALU_CYCLE_1)
	s_xor_b32 s3, s3, -1
	s_and_saveexec_b32 s4, s3
	s_cbranch_execz .LBB1973_229
; %bb.220:
	s_waitcnt vmcnt(0) lgkmcnt(0)
	v_lshlrev_b32_e32 v11, 16, v21
	s_delay_alu instid0(VALU_DEP_1) | instskip(NEXT) | instid1(VALU_DEP_1)
	v_add_f32_e32 v12, 0, v11
	v_and_b32_e32 v11, 0x7f800000, v12
	s_delay_alu instid0(VALU_DEP_1) | instskip(NEXT) | instid1(VALU_DEP_1)
	v_cmp_ne_u32_e64 s3, 0x7f800000, v11
                                        ; implicit-def: $vgpr11
	s_and_saveexec_b32 s7, s3
	s_delay_alu instid0(SALU_CYCLE_1)
	s_xor_b32 s3, exec_lo, s7
; %bb.221:
	v_bfe_u32 v11, v12, 16, 1
	s_delay_alu instid0(VALU_DEP_1)
	v_add3_u32 v11, v12, v11, 0x7fff
                                        ; implicit-def: $vgpr12
; %bb.222:
	s_and_not1_saveexec_b32 s7, s3
; %bb.223:
	v_and_b32_e32 v11, 0xffff, v12
	v_or_b32_e32 v13, 0x10000, v12
	s_delay_alu instid0(VALU_DEP_2) | instskip(NEXT) | instid1(VALU_DEP_1)
	v_cmp_eq_u32_e64 s3, 0, v11
	v_cndmask_b32_e64 v11, v13, v12, s3
; %bb.224:
	s_or_b32 exec_lo, exec_lo, s7
	v_lshlrev_b32_e32 v12, 16, v22
	s_delay_alu instid0(VALU_DEP_1) | instskip(NEXT) | instid1(VALU_DEP_1)
	v_add_f32_e32 v13, 0, v12
	v_and_b32_e32 v12, 0x7f800000, v13
	s_delay_alu instid0(VALU_DEP_1) | instskip(NEXT) | instid1(VALU_DEP_1)
	v_cmp_ne_u32_e64 s3, 0x7f800000, v12
                                        ; implicit-def: $vgpr12
	s_and_saveexec_b32 s7, s3
	s_delay_alu instid0(SALU_CYCLE_1)
	s_xor_b32 s3, exec_lo, s7
; %bb.225:
	v_bfe_u32 v12, v13, 16, 1
	s_delay_alu instid0(VALU_DEP_1)
	v_add3_u32 v12, v13, v12, 0x7fff
                                        ; implicit-def: $vgpr13
; %bb.226:
	s_and_not1_saveexec_b32 s7, s3
; %bb.227:
	v_and_b32_e32 v12, 0xffff, v13
	v_or_b32_e32 v14, 0x10000, v13
	s_delay_alu instid0(VALU_DEP_2) | instskip(NEXT) | instid1(VALU_DEP_1)
	v_cmp_eq_u32_e64 s3, 0, v12
	v_cndmask_b32_e64 v12, v14, v13, s3
; %bb.228:
	s_or_b32 exec_lo, exec_lo, s7
	v_cmp_lt_i32_e64 s3, -1, v11
	s_delay_alu instid0(VALU_DEP_2) | instskip(SKIP_1) | instid1(VALU_DEP_2)
	v_perm_b32 v11, v12, v11, 0x7060302
	s_and_not1_b32 s6, s6, exec_lo
	v_cndmask_b32_e64 v13, -1, 0xffff8000, s3
	v_cmp_lt_i32_e64 s3, -1, v12
	s_delay_alu instid0(VALU_DEP_1) | instskip(NEXT) | instid1(VALU_DEP_1)
	v_cndmask_b32_e64 v14, -1, 0xffff8000, s3
	v_perm_b32 v12, v14, v13, 0x5040100
	s_delay_alu instid0(VALU_DEP_1) | instskip(NEXT) | instid1(VALU_DEP_1)
	v_xor_b32_e32 v11, v12, v11
	v_lshrrev_b32_e32 v12, 16, v11
	s_delay_alu instid0(VALU_DEP_1) | instskip(NEXT) | instid1(VALU_DEP_1)
	v_cmp_le_u16_e64 s3, v11, v12
	s_and_b32 s3, s3, exec_lo
	s_delay_alu instid0(SALU_CYCLE_1)
	s_or_b32 s6, s6, s3
.LBB1973_229:
	s_or_b32 exec_lo, exec_lo, s4
	v_cndmask_b32_e64 v14, v20, v10, s6
	v_cndmask_b32_e64 v11, v25, v24, s6
	v_mov_b32_e32 v15, 0
	s_mov_b32 s9, 0
	s_mov_b32 s7, -1
	v_add_nc_u32_e32 v16, 1, v14
	v_add_nc_u32_e32 v13, -1, v11
	v_lshlrev_b64 v[11:12], 3, v[14:15]
	s_mov_b32 s4, -1
	s_mov_b32 s8, exec_lo
	v_cndmask_b32_e64 v10, v10, v16, s6
	v_min_u32_e32 v14, v16, v13
	s_delay_alu instid0(VALU_DEP_1) | instskip(NEXT) | instid1(VALU_DEP_1)
	v_lshlrev_b64 v[13:14], 1, v[14:15]
	v_add_co_u32 v13, s3, v8, v13
	s_delay_alu instid0(VALU_DEP_1) | instskip(SKIP_1) | instid1(VALU_DEP_1)
	v_add_co_ci_u32_e64 v14, s3, v9, v14, s3
	v_add_co_u32 v11, s3, v4, v11
	v_add_co_ci_u32_e64 v12, s3, v5, v12, s3
	s_clause 0x1
	flat_load_u16 v14, v[13:14]
	flat_load_b64 v[12:13], v[11:12] offset:2048
	v_cndmask_b32_e64 v11, v16, v20, s6
	s_waitcnt vmcnt(1) lgkmcnt(1)
	v_cndmask_b32_e64 v20, v14, v21, s6
	v_cndmask_b32_e64 v23, v22, v14, s6
	s_delay_alu instid0(VALU_DEP_3)
	v_cmpx_lt_u32_e64 v11, v25
	s_cbranch_execz .LBB1973_241
; %bb.230:
	s_mov_b32 s4, exec_lo
	v_cmpx_lt_u32_e64 v10, v24
	s_cbranch_execz .LBB1973_240
; %bb.231:
	v_lshlrev_b32_e32 v14, 16, v20
	s_delay_alu instid0(VALU_DEP_1) | instskip(NEXT) | instid1(VALU_DEP_1)
	v_add_f32_e32 v16, 0, v14
	v_and_b32_e32 v14, 0x7f800000, v16
	s_delay_alu instid0(VALU_DEP_1) | instskip(NEXT) | instid1(VALU_DEP_1)
	v_cmp_ne_u32_e64 s3, 0x7f800000, v14
                                        ; implicit-def: $vgpr14
	s_and_saveexec_b32 s9, s3
	s_delay_alu instid0(SALU_CYCLE_1)
	s_xor_b32 s3, exec_lo, s9
; %bb.232:
	v_bfe_u32 v14, v16, 16, 1
	s_delay_alu instid0(VALU_DEP_1)
	v_add3_u32 v14, v16, v14, 0x7fff
                                        ; implicit-def: $vgpr16
; %bb.233:
	s_and_not1_saveexec_b32 s9, s3
; %bb.234:
	v_and_b32_e32 v14, 0xffff, v16
	v_or_b32_e32 v17, 0x10000, v16
	s_delay_alu instid0(VALU_DEP_2) | instskip(NEXT) | instid1(VALU_DEP_1)
	v_cmp_eq_u32_e64 s3, 0, v14
	v_cndmask_b32_e64 v14, v17, v16, s3
; %bb.235:
	s_or_b32 exec_lo, exec_lo, s9
	v_lshlrev_b32_e32 v16, 16, v23
	s_delay_alu instid0(VALU_DEP_1) | instskip(NEXT) | instid1(VALU_DEP_1)
	v_add_f32_e32 v17, 0, v16
	v_and_b32_e32 v16, 0x7f800000, v17
	s_delay_alu instid0(VALU_DEP_1) | instskip(NEXT) | instid1(VALU_DEP_1)
	v_cmp_ne_u32_e64 s3, 0x7f800000, v16
                                        ; implicit-def: $vgpr16
	s_and_saveexec_b32 s9, s3
	s_delay_alu instid0(SALU_CYCLE_1)
	s_xor_b32 s3, exec_lo, s9
; %bb.236:
	v_bfe_u32 v16, v17, 16, 1
	s_delay_alu instid0(VALU_DEP_1)
	v_add3_u32 v16, v17, v16, 0x7fff
                                        ; implicit-def: $vgpr17
; %bb.237:
	s_and_not1_saveexec_b32 s9, s3
; %bb.238:
	v_and_b32_e32 v16, 0xffff, v17
	v_or_b32_e32 v18, 0x10000, v17
	s_delay_alu instid0(VALU_DEP_2) | instskip(NEXT) | instid1(VALU_DEP_1)
	v_cmp_eq_u32_e64 s3, 0, v16
	v_cndmask_b32_e64 v16, v18, v17, s3
; %bb.239:
	s_or_b32 exec_lo, exec_lo, s9
	v_cmp_lt_i32_e64 s3, -1, v14
	s_delay_alu instid0(VALU_DEP_2) | instskip(NEXT) | instid1(VALU_DEP_2)
	v_perm_b32 v14, v16, v14, 0x7060302
	v_cndmask_b32_e64 v17, -1, 0xffff8000, s3
	v_cmp_lt_i32_e64 s3, -1, v16
	s_delay_alu instid0(VALU_DEP_1) | instskip(NEXT) | instid1(VALU_DEP_1)
	v_cndmask_b32_e64 v18, -1, 0xffff8000, s3
	v_perm_b32 v16, v18, v17, 0x5040100
	s_delay_alu instid0(VALU_DEP_1) | instskip(NEXT) | instid1(VALU_DEP_1)
	v_xor_b32_e32 v14, v16, v14
	v_lshrrev_b32_e32 v16, 16, v14
	s_delay_alu instid0(VALU_DEP_1) | instskip(NEXT) | instid1(VALU_DEP_1)
	v_cmp_le_u16_e64 s3, v14, v16
	s_and_b32 s9, s3, exec_lo
.LBB1973_240:
	s_or_b32 exec_lo, exec_lo, s4
	s_delay_alu instid0(SALU_CYCLE_1)
	s_or_not1_b32 s4, s9, exec_lo
.LBB1973_241:
	s_or_b32 exec_lo, exec_lo, s8
	v_cndmask_b32_e64 v14, v11, v10, s4
	v_cndmask_b32_e64 v16, v25, v24, s4
	s_mov_b32 s9, 0
	s_mov_b32 s8, exec_lo
	s_delay_alu instid0(VALU_DEP_2) | instskip(NEXT) | instid1(VALU_DEP_2)
	v_add_nc_u32_e32 v19, 1, v14
	v_add_nc_u32_e32 v18, -1, v16
	v_lshlrev_b64 v[16:17], 3, v[14:15]
	s_delay_alu instid0(VALU_DEP_2) | instskip(SKIP_2) | instid1(VALU_DEP_3)
	v_min_u32_e32 v14, v19, v18
	v_cndmask_b32_e64 v18, v19, v11, s4
	v_cndmask_b32_e64 v19, v10, v19, s4
	v_lshlrev_b64 v[14:15], 1, v[14:15]
	s_delay_alu instid0(VALU_DEP_1) | instskip(NEXT) | instid1(VALU_DEP_1)
	v_add_co_u32 v14, s3, v8, v14
	v_add_co_ci_u32_e64 v15, s3, v9, v15, s3
	flat_load_u16 v27, v[14:15]
	v_add_co_u32 v14, s3, v4, v16
	s_delay_alu instid0(VALU_DEP_1)
	v_add_co_ci_u32_e64 v15, s3, v5, v17, s3
	flat_load_b64 v[14:15], v[14:15] offset:2048
	s_waitcnt vmcnt(1) lgkmcnt(1)
	v_cndmask_b32_e64 v26, v27, v20, s4
	v_cndmask_b32_e64 v27, v23, v27, s4
	v_cmpx_lt_u32_e64 v18, v25
	s_cbranch_execz .LBB1973_253
; %bb.242:
	s_mov_b32 s7, exec_lo
	v_cmpx_lt_u32_e64 v19, v24
	s_cbranch_execz .LBB1973_252
; %bb.243:
	v_lshlrev_b32_e32 v10, 16, v26
	s_delay_alu instid0(VALU_DEP_1) | instskip(NEXT) | instid1(VALU_DEP_1)
	v_add_f32_e32 v11, 0, v10
	v_and_b32_e32 v10, 0x7f800000, v11
	s_delay_alu instid0(VALU_DEP_1) | instskip(NEXT) | instid1(VALU_DEP_1)
	v_cmp_ne_u32_e64 s3, 0x7f800000, v10
                                        ; implicit-def: $vgpr10
	s_and_saveexec_b32 s9, s3
	s_delay_alu instid0(SALU_CYCLE_1)
	s_xor_b32 s3, exec_lo, s9
; %bb.244:
	v_bfe_u32 v10, v11, 16, 1
	s_delay_alu instid0(VALU_DEP_1)
	v_add3_u32 v10, v11, v10, 0x7fff
                                        ; implicit-def: $vgpr11
; %bb.245:
	s_and_not1_saveexec_b32 s9, s3
; %bb.246:
	v_and_b32_e32 v10, 0xffff, v11
	v_or_b32_e32 v16, 0x10000, v11
	s_delay_alu instid0(VALU_DEP_2) | instskip(NEXT) | instid1(VALU_DEP_1)
	v_cmp_eq_u32_e64 s3, 0, v10
	v_cndmask_b32_e64 v10, v16, v11, s3
; %bb.247:
	s_or_b32 exec_lo, exec_lo, s9
	v_lshlrev_b32_e32 v11, 16, v27
	s_delay_alu instid0(VALU_DEP_1) | instskip(NEXT) | instid1(VALU_DEP_1)
	v_add_f32_e32 v16, 0, v11
	v_and_b32_e32 v11, 0x7f800000, v16
	s_delay_alu instid0(VALU_DEP_1) | instskip(NEXT) | instid1(VALU_DEP_1)
	v_cmp_ne_u32_e64 s3, 0x7f800000, v11
                                        ; implicit-def: $vgpr11
	s_and_saveexec_b32 s9, s3
	s_delay_alu instid0(SALU_CYCLE_1)
	s_xor_b32 s3, exec_lo, s9
; %bb.248:
	v_bfe_u32 v11, v16, 16, 1
	s_delay_alu instid0(VALU_DEP_1)
	v_add3_u32 v11, v16, v11, 0x7fff
                                        ; implicit-def: $vgpr16
; %bb.249:
	s_and_not1_saveexec_b32 s9, s3
; %bb.250:
	v_and_b32_e32 v11, 0xffff, v16
	v_or_b32_e32 v17, 0x10000, v16
	s_delay_alu instid0(VALU_DEP_2) | instskip(NEXT) | instid1(VALU_DEP_1)
	v_cmp_eq_u32_e64 s3, 0, v11
	v_cndmask_b32_e64 v11, v17, v16, s3
; %bb.251:
	s_or_b32 exec_lo, exec_lo, s9
	v_cmp_lt_i32_e64 s3, -1, v10
	s_delay_alu instid0(VALU_DEP_2) | instskip(NEXT) | instid1(VALU_DEP_2)
	v_perm_b32 v10, v11, v10, 0x7060302
	v_cndmask_b32_e64 v16, -1, 0xffff8000, s3
	v_cmp_lt_i32_e64 s3, -1, v11
	s_delay_alu instid0(VALU_DEP_1) | instskip(NEXT) | instid1(VALU_DEP_1)
	v_cndmask_b32_e64 v17, -1, 0xffff8000, s3
	v_perm_b32 v11, v17, v16, 0x5040100
	s_delay_alu instid0(VALU_DEP_1) | instskip(NEXT) | instid1(VALU_DEP_1)
	v_xor_b32_e32 v10, v11, v10
	v_lshrrev_b32_e32 v11, 16, v10
	s_delay_alu instid0(VALU_DEP_1) | instskip(NEXT) | instid1(VALU_DEP_1)
	v_cmp_le_u16_e64 s3, v10, v11
	s_and_b32 s9, s3, exec_lo
.LBB1973_252:
	s_or_b32 exec_lo, exec_lo, s7
	s_delay_alu instid0(SALU_CYCLE_1)
	s_or_not1_b32 s7, s9, exec_lo
.LBB1973_253:
	s_or_b32 exec_lo, exec_lo, s8
	v_cndmask_b32_e64 v10, v18, v19, s7
	v_cndmask_b32_e64 v16, v25, v24, s7
	v_mov_b32_e32 v11, 0
	s_mov_b32 s10, 0
	s_mov_b32 s9, -1
	v_add_nc_u32_e32 v31, 1, v10
	v_add_nc_u32_e32 v33, -1, v16
	v_lshlrev_b64 v[16:17], 3, v[10:11]
	s_mov_b32 s8, exec_lo
	s_delay_alu instid0(VALU_DEP_2) | instskip(NEXT) | instid1(VALU_DEP_1)
	v_min_u32_e32 v10, v31, v33
	v_lshlrev_b64 v[33:34], 1, v[10:11]
	v_cndmask_b32_e64 v10, v31, v18, s7
	v_cndmask_b32_e64 v18, v19, v31, s7
	s_delay_alu instid0(VALU_DEP_3) | instskip(NEXT) | instid1(VALU_DEP_1)
	v_add_co_u32 v8, s3, v8, v33
	v_add_co_ci_u32_e64 v9, s3, v9, v34, s3
	flat_load_u16 v33, v[8:9]
	v_add_co_u32 v8, s3, v4, v16
	s_delay_alu instid0(VALU_DEP_1)
	v_add_co_ci_u32_e64 v9, s3, v5, v17, s3
	flat_load_b64 v[16:17], v[8:9] offset:2048
	s_waitcnt vmcnt(1) lgkmcnt(1)
	v_cndmask_b32_e64 v8, v33, v26, s7
	v_cndmask_b32_e64 v9, v27, v33, s7
	v_cmpx_lt_u32_e64 v10, v25
	s_cbranch_execz .LBB1973_265
; %bb.254:
	s_mov_b32 s9, exec_lo
	v_cmpx_lt_u32_e64 v18, v24
	s_cbranch_execz .LBB1973_264
; %bb.255:
	v_lshlrev_b32_e32 v19, 16, v8
	s_delay_alu instid0(VALU_DEP_1) | instskip(NEXT) | instid1(VALU_DEP_1)
	v_add_f32_e32 v24, 0, v19
	v_and_b32_e32 v19, 0x7f800000, v24
	s_delay_alu instid0(VALU_DEP_1) | instskip(NEXT) | instid1(VALU_DEP_1)
	v_cmp_ne_u32_e64 s3, 0x7f800000, v19
                                        ; implicit-def: $vgpr19
	s_and_saveexec_b32 s10, s3
	s_delay_alu instid0(SALU_CYCLE_1)
	s_xor_b32 s3, exec_lo, s10
; %bb.256:
	v_bfe_u32 v19, v24, 16, 1
	s_delay_alu instid0(VALU_DEP_1)
	v_add3_u32 v19, v24, v19, 0x7fff
                                        ; implicit-def: $vgpr24
; %bb.257:
	s_and_not1_saveexec_b32 s10, s3
; %bb.258:
	v_and_b32_e32 v19, 0xffff, v24
	v_or_b32_e32 v25, 0x10000, v24
	s_delay_alu instid0(VALU_DEP_2) | instskip(NEXT) | instid1(VALU_DEP_1)
	v_cmp_eq_u32_e64 s3, 0, v19
	v_cndmask_b32_e64 v19, v25, v24, s3
; %bb.259:
	s_or_b32 exec_lo, exec_lo, s10
	v_lshlrev_b32_e32 v24, 16, v9
	s_delay_alu instid0(VALU_DEP_1) | instskip(NEXT) | instid1(VALU_DEP_1)
	v_add_f32_e32 v25, 0, v24
	v_and_b32_e32 v24, 0x7f800000, v25
	s_delay_alu instid0(VALU_DEP_1) | instskip(NEXT) | instid1(VALU_DEP_1)
	v_cmp_ne_u32_e64 s3, 0x7f800000, v24
                                        ; implicit-def: $vgpr24
	s_and_saveexec_b32 s10, s3
	s_delay_alu instid0(SALU_CYCLE_1)
	s_xor_b32 s3, exec_lo, s10
; %bb.260:
	v_bfe_u32 v24, v25, 16, 1
	s_delay_alu instid0(VALU_DEP_1)
	v_add3_u32 v24, v25, v24, 0x7fff
                                        ; implicit-def: $vgpr25
; %bb.261:
	s_and_not1_saveexec_b32 s10, s3
; %bb.262:
	v_and_b32_e32 v24, 0xffff, v25
	v_or_b32_e32 v31, 0x10000, v25
	s_delay_alu instid0(VALU_DEP_2) | instskip(NEXT) | instid1(VALU_DEP_1)
	v_cmp_eq_u32_e64 s3, 0, v24
	v_cndmask_b32_e64 v24, v31, v25, s3
; %bb.263:
	s_or_b32 exec_lo, exec_lo, s10
	v_cmp_lt_i32_e64 s3, -1, v19
	s_delay_alu instid0(VALU_DEP_2) | instskip(NEXT) | instid1(VALU_DEP_2)
	v_perm_b32 v19, v24, v19, 0x7060302
	v_cndmask_b32_e64 v25, -1, 0xffff8000, s3
	v_cmp_lt_i32_e64 s3, -1, v24
	s_delay_alu instid0(VALU_DEP_1) | instskip(NEXT) | instid1(VALU_DEP_1)
	v_cndmask_b32_e64 v31, -1, 0xffff8000, s3
	v_perm_b32 v24, v31, v25, 0x5040100
	s_delay_alu instid0(VALU_DEP_1) | instskip(NEXT) | instid1(VALU_DEP_1)
	v_xor_b32_e32 v19, v24, v19
	v_lshrrev_b32_e32 v24, 16, v19
	s_delay_alu instid0(VALU_DEP_1) | instskip(NEXT) | instid1(VALU_DEP_1)
	v_cmp_le_u16_e64 s3, v19, v24
	s_and_b32 s10, s3, exec_lo
.LBB1973_264:
	s_or_b32 exec_lo, exec_lo, s9
	s_delay_alu instid0(SALU_CYCLE_1)
	s_or_not1_b32 s9, s10, exec_lo
.LBB1973_265:
	s_or_b32 exec_lo, exec_lo, s8
	v_cndmask_b32_e64 v10, v10, v18, s9
	v_cndmask_b32_e64 v38, v26, v27, s7
	;; [unrolled: 1-line block ×5, first 2 shown]
	v_lshlrev_b64 v[10:11], 3, v[10:11]
	s_delay_alu instid0(VALU_DEP_1) | instskip(NEXT) | instid1(VALU_DEP_1)
	v_add_co_u32 v4, s3, v4, v10
	v_add_co_ci_u32_e64 v5, s3, v5, v11, s3
	flat_load_b64 v[18:19], v[4:5] offset:2048
.LBB1973_266:
	s_or_b32 exec_lo, exec_lo, s5
	v_add_co_u32 v2, s3, v2, v28
	s_delay_alu instid0(VALU_DEP_1) | instskip(NEXT) | instid1(VALU_DEP_2)
	v_add_co_ci_u32_e64 v3, s3, v3, v29, s3
	v_add_co_u32 v2, s3, v2, v30
	s_delay_alu instid0(VALU_DEP_1)
	v_add_co_ci_u32_e64 v3, s3, 0, v3, s3
	; wave barrier
	s_waitcnt vmcnt(0) lgkmcnt(0)
	s_waitcnt_vscnt null, 0x0
	s_barrier
	buffer_gl0_inv
	; wave barrier
	s_and_saveexec_b32 s3, vcc_lo
	s_cbranch_execnz .LBB1973_276
; %bb.267:
	s_or_b32 exec_lo, exec_lo, s3
	s_and_saveexec_b32 s3, s0
	s_cbranch_execnz .LBB1973_277
.LBB1973_268:
	s_or_b32 exec_lo, exec_lo, s3
	s_and_saveexec_b32 s3, s1
	s_cbranch_execnz .LBB1973_278
.LBB1973_269:
	s_or_b32 exec_lo, exec_lo, s3
	s_and_saveexec_b32 s3, s2
	s_cbranch_execz .LBB1973_271
.LBB1973_270:
	flat_store_b16 v[2:3], v35 offset:6
.LBB1973_271:
	s_or_b32 exec_lo, exec_lo, s3
	v_add_co_u32 v0, s3, v6, v0
	s_delay_alu instid0(VALU_DEP_1) | instskip(NEXT) | instid1(VALU_DEP_2)
	v_add_co_ci_u32_e64 v1, s3, v7, v1, s3
	v_add_co_u32 v0, s3, v0, v32
	s_delay_alu instid0(VALU_DEP_1)
	v_add_co_ci_u32_e64 v1, s3, 0, v1, s3
	; wave barrier
	s_and_saveexec_b32 s3, vcc_lo
	s_cbranch_execnz .LBB1973_279
; %bb.272:
	s_or_b32 exec_lo, exec_lo, s3
	s_and_saveexec_b32 s3, s0
	s_cbranch_execnz .LBB1973_280
.LBB1973_273:
	s_or_b32 exec_lo, exec_lo, s3
	s_and_saveexec_b32 s0, s1
	s_cbranch_execnz .LBB1973_281
.LBB1973_274:
	s_or_b32 exec_lo, exec_lo, s0
	s_and_saveexec_b32 s0, s2
	s_cbranch_execnz .LBB1973_282
.LBB1973_275:
	s_or_b32 exec_lo, exec_lo, s0
	s_waitcnt lgkmcnt(0)
	s_setpc_b64 s[30:31]
.LBB1973_276:
	flat_store_b16 v[2:3], v37
	s_or_b32 exec_lo, exec_lo, s3
	s_and_saveexec_b32 s3, s0
	s_cbranch_execz .LBB1973_268
.LBB1973_277:
	flat_store_b16 v[2:3], v36 offset:2
	s_or_b32 exec_lo, exec_lo, s3
	s_and_saveexec_b32 s3, s1
	s_cbranch_execz .LBB1973_269
.LBB1973_278:
	flat_store_b16 v[2:3], v38 offset:4
	s_or_b32 exec_lo, exec_lo, s3
	s_and_saveexec_b32 s3, s2
	s_cbranch_execnz .LBB1973_270
	s_branch .LBB1973_271
.LBB1973_279:
	flat_store_b64 v[0:1], v[12:13]
	s_or_b32 exec_lo, exec_lo, s3
	s_and_saveexec_b32 s3, s0
	s_cbranch_execz .LBB1973_273
.LBB1973_280:
	flat_store_b64 v[0:1], v[14:15] offset:8
	s_or_b32 exec_lo, exec_lo, s3
	s_and_saveexec_b32 s0, s1
	s_cbranch_execz .LBB1973_274
.LBB1973_281:
	flat_store_b64 v[0:1], v[16:17] offset:16
	s_or_b32 exec_lo, exec_lo, s0
	s_and_saveexec_b32 s0, s2
	s_cbranch_execz .LBB1973_275
.LBB1973_282:
	flat_store_b64 v[0:1], v[18:19] offset:24
	s_or_b32 exec_lo, exec_lo, s0
	s_waitcnt lgkmcnt(0)
	s_setpc_b64 s[30:31]
.Lfunc_end1973:
	.size	_ZN7rocprim17ROCPRIM_400000_NS6detail26segmented_warp_sort_helperINS1_20WarpSortHelperConfigILj8ELj4ELj256EEE12hip_bfloat16lLi256ELb1EvE4sortIPKS5_PS5_PKlPlEEvT_T0_T1_T2_jjjjRNS6_12storage_typeE, .Lfunc_end1973-_ZN7rocprim17ROCPRIM_400000_NS6detail26segmented_warp_sort_helperINS1_20WarpSortHelperConfigILj8ELj4ELj256EEE12hip_bfloat16lLi256ELb1EvE4sortIPKS5_PS5_PKlPlEEvT_T0_T1_T2_jjjjRNS6_12storage_typeE
                                        ; -- End function
	.section	.AMDGPU.csdata,"",@progbits
; Function info:
; codeLenInByte = 12172
; NumSgprs: 34
; NumVgprs: 67
; ScratchSize: 0
; MemoryBound: 1
	.section	.text._ZN7rocprim17ROCPRIM_400000_NS6detail17trampoline_kernelINS0_14default_configENS1_36segmented_radix_sort_config_selectorI12hip_bfloat16lEEZNS1_25segmented_radix_sort_implIS3_Lb1EPKS5_PS5_PKlPlN2at6native12_GLOBAL__N_18offset_tEEE10hipError_tPvRmT1_PNSt15iterator_traitsISL_E10value_typeET2_T3_PNSM_ISR_E10value_typeET4_jRbjT5_SX_jjP12ihipStream_tbEUlT_E1_NS1_11comp_targetILNS1_3genE9ELNS1_11target_archE1100ELNS1_3gpuE3ELNS1_3repE0EEENS1_59segmented_radix_sort_warp_sort_small_config_static_selectorELNS0_4arch9wavefront6targetE0EEEvSL_,"axG",@progbits,_ZN7rocprim17ROCPRIM_400000_NS6detail17trampoline_kernelINS0_14default_configENS1_36segmented_radix_sort_config_selectorI12hip_bfloat16lEEZNS1_25segmented_radix_sort_implIS3_Lb1EPKS5_PS5_PKlPlN2at6native12_GLOBAL__N_18offset_tEEE10hipError_tPvRmT1_PNSt15iterator_traitsISL_E10value_typeET2_T3_PNSM_ISR_E10value_typeET4_jRbjT5_SX_jjP12ihipStream_tbEUlT_E1_NS1_11comp_targetILNS1_3genE9ELNS1_11target_archE1100ELNS1_3gpuE3ELNS1_3repE0EEENS1_59segmented_radix_sort_warp_sort_small_config_static_selectorELNS0_4arch9wavefront6targetE0EEEvSL_,comdat
	.globl	_ZN7rocprim17ROCPRIM_400000_NS6detail17trampoline_kernelINS0_14default_configENS1_36segmented_radix_sort_config_selectorI12hip_bfloat16lEEZNS1_25segmented_radix_sort_implIS3_Lb1EPKS5_PS5_PKlPlN2at6native12_GLOBAL__N_18offset_tEEE10hipError_tPvRmT1_PNSt15iterator_traitsISL_E10value_typeET2_T3_PNSM_ISR_E10value_typeET4_jRbjT5_SX_jjP12ihipStream_tbEUlT_E1_NS1_11comp_targetILNS1_3genE9ELNS1_11target_archE1100ELNS1_3gpuE3ELNS1_3repE0EEENS1_59segmented_radix_sort_warp_sort_small_config_static_selectorELNS0_4arch9wavefront6targetE0EEEvSL_ ; -- Begin function _ZN7rocprim17ROCPRIM_400000_NS6detail17trampoline_kernelINS0_14default_configENS1_36segmented_radix_sort_config_selectorI12hip_bfloat16lEEZNS1_25segmented_radix_sort_implIS3_Lb1EPKS5_PS5_PKlPlN2at6native12_GLOBAL__N_18offset_tEEE10hipError_tPvRmT1_PNSt15iterator_traitsISL_E10value_typeET2_T3_PNSM_ISR_E10value_typeET4_jRbjT5_SX_jjP12ihipStream_tbEUlT_E1_NS1_11comp_targetILNS1_3genE9ELNS1_11target_archE1100ELNS1_3gpuE3ELNS1_3repE0EEENS1_59segmented_radix_sort_warp_sort_small_config_static_selectorELNS0_4arch9wavefront6targetE0EEEvSL_
	.p2align	8
	.type	_ZN7rocprim17ROCPRIM_400000_NS6detail17trampoline_kernelINS0_14default_configENS1_36segmented_radix_sort_config_selectorI12hip_bfloat16lEEZNS1_25segmented_radix_sort_implIS3_Lb1EPKS5_PS5_PKlPlN2at6native12_GLOBAL__N_18offset_tEEE10hipError_tPvRmT1_PNSt15iterator_traitsISL_E10value_typeET2_T3_PNSM_ISR_E10value_typeET4_jRbjT5_SX_jjP12ihipStream_tbEUlT_E1_NS1_11comp_targetILNS1_3genE9ELNS1_11target_archE1100ELNS1_3gpuE3ELNS1_3repE0EEENS1_59segmented_radix_sort_warp_sort_small_config_static_selectorELNS0_4arch9wavefront6targetE0EEEvSL_,@function
_ZN7rocprim17ROCPRIM_400000_NS6detail17trampoline_kernelINS0_14default_configENS1_36segmented_radix_sort_config_selectorI12hip_bfloat16lEEZNS1_25segmented_radix_sort_implIS3_Lb1EPKS5_PS5_PKlPlN2at6native12_GLOBAL__N_18offset_tEEE10hipError_tPvRmT1_PNSt15iterator_traitsISL_E10value_typeET2_T3_PNSM_ISR_E10value_typeET4_jRbjT5_SX_jjP12ihipStream_tbEUlT_E1_NS1_11comp_targetILNS1_3genE9ELNS1_11target_archE1100ELNS1_3gpuE3ELNS1_3repE0EEENS1_59segmented_radix_sort_warp_sort_small_config_static_selectorELNS0_4arch9wavefront6targetE0EEEvSL_: ; @_ZN7rocprim17ROCPRIM_400000_NS6detail17trampoline_kernelINS0_14default_configENS1_36segmented_radix_sort_config_selectorI12hip_bfloat16lEEZNS1_25segmented_radix_sort_implIS3_Lb1EPKS5_PS5_PKlPlN2at6native12_GLOBAL__N_18offset_tEEE10hipError_tPvRmT1_PNSt15iterator_traitsISL_E10value_typeET2_T3_PNSM_ISR_E10value_typeET4_jRbjT5_SX_jjP12ihipStream_tbEUlT_E1_NS1_11comp_targetILNS1_3genE9ELNS1_11target_archE1100ELNS1_3gpuE3ELNS1_3repE0EEENS1_59segmented_radix_sort_warp_sort_small_config_static_selectorELNS0_4arch9wavefront6targetE0EEEvSL_
; %bb.0:
	s_load_b32 s2, s[0:1], 0x64
	v_bfe_u32 v1, v0, 10, 10
	v_bfe_u32 v2, v0, 20, 10
	s_mov_b32 s32, 0
	s_waitcnt lgkmcnt(0)
	s_lshr_b32 s3, s2, 16
	s_and_b32 s2, s2, 0xffff
	v_mad_u32_u24 v4, v2, s3, v1
	v_and_b32_e32 v1, 0x3ff, v0
	s_load_b32 s3, s[0:1], 0x34
	s_delay_alu instid0(VALU_DEP_1) | instskip(SKIP_1) | instid1(VALU_DEP_1)
	v_mad_u64_u32 v[2:3], null, v4, s2, v[1:2]
	s_mov_b32 s2, exec_lo
	v_lshrrev_b32_e32 v1, 3, v2
	s_delay_alu instid0(VALU_DEP_1) | instskip(SKIP_1) | instid1(VALU_DEP_1)
	v_lshl_add_u32 v1, s14, 5, v1
	s_waitcnt lgkmcnt(0)
	v_cmpx_gt_u32_e64 s3, v1
	s_cbranch_execz .LBB1974_6
; %bb.1:
	s_clause 0x1
	s_load_b64 s[2:3], s[0:1], 0x38
	s_load_b128 s[4:7], s[0:1], 0x40
	v_mov_b32_e32 v2, 0
	s_delay_alu instid0(VALU_DEP_1) | instskip(SKIP_1) | instid1(VALU_DEP_1)
	v_lshlrev_b64 v[1:2], 2, v[1:2]
	s_waitcnt lgkmcnt(0)
	v_sub_co_u32 v1, vcc_lo, s2, v1
	s_delay_alu instid0(VALU_DEP_2) | instskip(SKIP_4) | instid1(VALU_DEP_2)
	v_sub_co_ci_u32_e32 v2, vcc_lo, s3, v2, vcc_lo
	global_load_b32 v1, v[1:2], off offset:-4
	s_waitcnt vmcnt(0)
	v_add_nc_u32_e32 v2, s5, v1
	v_add_nc_u32_e32 v1, s7, v1
	v_mul_lo_u32 v40, v2, s4
	s_delay_alu instid0(VALU_DEP_2) | instskip(NEXT) | instid1(VALU_DEP_1)
	v_mul_lo_u32 v41, v1, s6
	v_cmp_gt_u32_e32 vcc_lo, v41, v40
	s_and_b32 exec_lo, exec_lo, vcc_lo
	s_cbranch_execz .LBB1974_6
; %bb.2:
	s_clause 0x2
	s_load_b32 s2, s[0:1], 0x30
	s_load_b128 s[24:27], s[0:1], 0x20
	s_load_b256 s[16:23], s[0:1], 0x0
	s_waitcnt lgkmcnt(0)
	s_bitcmp0_b32 s2, 0
	s_mov_b32 s2, -1
	s_cbranch_scc0 .LBB1974_4
; %bb.3:
	s_mov_b64 s[2:3], src_shared_base
	v_mov_b32_e32 v31, v0
	v_dual_mov_b32 v42, v0 :: v_dual_mov_b32 v1, s17
	v_mov_b32_e32 v0, s16
	v_dual_mov_b32 v2, s18 :: v_dual_mov_b32 v3, s19
	v_dual_mov_b32 v4, s22 :: v_dual_mov_b32 v5, s23
	;; [unrolled: 1-line block ×5, first 2 shown]
	s_add_u32 s8, s0, 0x58
	s_addc_u32 s9, s1, 0
	s_mov_b32 s12, s14
	s_mov_b32 s13, s15
	s_getpc_b64 s[4:5]
	s_add_u32 s4, s4, _ZN7rocprim17ROCPRIM_400000_NS6detail26segmented_warp_sort_helperINS1_20WarpSortHelperConfigILj8ELj4ELj256EEE12hip_bfloat16lLi256ELb1EvE4sortIPKS5_PS5_PKlPlEEvT_T0_T1_T2_jjjjRNS6_12storage_typeE@rel32@lo+4
	s_addc_u32 s5, s5, _ZN7rocprim17ROCPRIM_400000_NS6detail26segmented_warp_sort_helperINS1_20WarpSortHelperConfigILj8ELj4ELj256EEE12hip_bfloat16lLi256ELb1EvE4sortIPKS5_PS5_PKlPlEEvT_T0_T1_T2_jjjjRNS6_12storage_typeE@rel32@hi+12
	s_mov_b64 s[18:19], s[0:1]
	s_swappc_b64 s[30:31], s[4:5]
	v_mov_b32_e32 v0, v42
	s_mov_b64 s[0:1], s[18:19]
	s_mov_b32 s2, 0
.LBB1974_4:
	s_delay_alu instid0(SALU_CYCLE_1)
	s_and_not1_b32 vcc_lo, exec_lo, s2
	s_cbranch_vccnz .LBB1974_6
; %bb.5:
	s_add_u32 s8, s0, 0x58
	s_addc_u32 s9, s1, 0
	s_mov_b64 s[0:1], src_shared_base
	v_dual_mov_b32 v31, v0 :: v_dual_mov_b32 v0, s16
	v_dual_mov_b32 v1, s17 :: v_dual_mov_b32 v2, s20
	;; [unrolled: 1-line block ×6, first 2 shown]
	v_mov_b32_e32 v11, s1
	s_mov_b32 s12, s14
	s_mov_b32 s13, s15
	s_getpc_b64 s[2:3]
	s_add_u32 s2, s2, _ZN7rocprim17ROCPRIM_400000_NS6detail26segmented_warp_sort_helperINS1_20WarpSortHelperConfigILj8ELj4ELj256EEE12hip_bfloat16lLi256ELb1EvE4sortIPKS5_PS5_PKlPlEEvT_T0_T1_T2_jjjjRNS6_12storage_typeE@rel32@lo+4
	s_addc_u32 s3, s3, _ZN7rocprim17ROCPRIM_400000_NS6detail26segmented_warp_sort_helperINS1_20WarpSortHelperConfigILj8ELj4ELj256EEE12hip_bfloat16lLi256ELb1EvE4sortIPKS5_PS5_PKlPlEEvT_T0_T1_T2_jjjjRNS6_12storage_typeE@rel32@hi+12
	s_delay_alu instid0(SALU_CYCLE_1)
	s_swappc_b64 s[30:31], s[2:3]
.LBB1974_6:
	s_endpgm
	.section	.rodata,"a",@progbits
	.p2align	6, 0x0
	.amdhsa_kernel _ZN7rocprim17ROCPRIM_400000_NS6detail17trampoline_kernelINS0_14default_configENS1_36segmented_radix_sort_config_selectorI12hip_bfloat16lEEZNS1_25segmented_radix_sort_implIS3_Lb1EPKS5_PS5_PKlPlN2at6native12_GLOBAL__N_18offset_tEEE10hipError_tPvRmT1_PNSt15iterator_traitsISL_E10value_typeET2_T3_PNSM_ISR_E10value_typeET4_jRbjT5_SX_jjP12ihipStream_tbEUlT_E1_NS1_11comp_targetILNS1_3genE9ELNS1_11target_archE1100ELNS1_3gpuE3ELNS1_3repE0EEENS1_59segmented_radix_sort_warp_sort_small_config_static_selectorELNS0_4arch9wavefront6targetE0EEEvSL_
		.amdhsa_group_segment_fixed_size 10240
		.amdhsa_private_segment_fixed_size 0
		.amdhsa_kernarg_size 344
		.amdhsa_user_sgpr_count 14
		.amdhsa_user_sgpr_dispatch_ptr 0
		.amdhsa_user_sgpr_queue_ptr 0
		.amdhsa_user_sgpr_kernarg_segment_ptr 1
		.amdhsa_user_sgpr_dispatch_id 0
		.amdhsa_user_sgpr_private_segment_size 0
		.amdhsa_wavefront_size32 1
		.amdhsa_uses_dynamic_stack 0
		.amdhsa_enable_private_segment 0
		.amdhsa_system_sgpr_workgroup_id_x 1
		.amdhsa_system_sgpr_workgroup_id_y 1
		.amdhsa_system_sgpr_workgroup_id_z 0
		.amdhsa_system_sgpr_workgroup_info 0
		.amdhsa_system_vgpr_workitem_id 2
		.amdhsa_next_free_vgpr 67
		.amdhsa_next_free_sgpr 33
		.amdhsa_reserve_vcc 1
		.amdhsa_float_round_mode_32 0
		.amdhsa_float_round_mode_16_64 0
		.amdhsa_float_denorm_mode_32 3
		.amdhsa_float_denorm_mode_16_64 3
		.amdhsa_dx10_clamp 1
		.amdhsa_ieee_mode 1
		.amdhsa_fp16_overflow 0
		.amdhsa_workgroup_processor_mode 1
		.amdhsa_memory_ordered 1
		.amdhsa_forward_progress 0
		.amdhsa_shared_vgpr_count 0
		.amdhsa_exception_fp_ieee_invalid_op 0
		.amdhsa_exception_fp_denorm_src 0
		.amdhsa_exception_fp_ieee_div_zero 0
		.amdhsa_exception_fp_ieee_overflow 0
		.amdhsa_exception_fp_ieee_underflow 0
		.amdhsa_exception_fp_ieee_inexact 0
		.amdhsa_exception_int_div_zero 0
	.end_amdhsa_kernel
	.section	.text._ZN7rocprim17ROCPRIM_400000_NS6detail17trampoline_kernelINS0_14default_configENS1_36segmented_radix_sort_config_selectorI12hip_bfloat16lEEZNS1_25segmented_radix_sort_implIS3_Lb1EPKS5_PS5_PKlPlN2at6native12_GLOBAL__N_18offset_tEEE10hipError_tPvRmT1_PNSt15iterator_traitsISL_E10value_typeET2_T3_PNSM_ISR_E10value_typeET4_jRbjT5_SX_jjP12ihipStream_tbEUlT_E1_NS1_11comp_targetILNS1_3genE9ELNS1_11target_archE1100ELNS1_3gpuE3ELNS1_3repE0EEENS1_59segmented_radix_sort_warp_sort_small_config_static_selectorELNS0_4arch9wavefront6targetE0EEEvSL_,"axG",@progbits,_ZN7rocprim17ROCPRIM_400000_NS6detail17trampoline_kernelINS0_14default_configENS1_36segmented_radix_sort_config_selectorI12hip_bfloat16lEEZNS1_25segmented_radix_sort_implIS3_Lb1EPKS5_PS5_PKlPlN2at6native12_GLOBAL__N_18offset_tEEE10hipError_tPvRmT1_PNSt15iterator_traitsISL_E10value_typeET2_T3_PNSM_ISR_E10value_typeET4_jRbjT5_SX_jjP12ihipStream_tbEUlT_E1_NS1_11comp_targetILNS1_3genE9ELNS1_11target_archE1100ELNS1_3gpuE3ELNS1_3repE0EEENS1_59segmented_radix_sort_warp_sort_small_config_static_selectorELNS0_4arch9wavefront6targetE0EEEvSL_,comdat
.Lfunc_end1974:
	.size	_ZN7rocprim17ROCPRIM_400000_NS6detail17trampoline_kernelINS0_14default_configENS1_36segmented_radix_sort_config_selectorI12hip_bfloat16lEEZNS1_25segmented_radix_sort_implIS3_Lb1EPKS5_PS5_PKlPlN2at6native12_GLOBAL__N_18offset_tEEE10hipError_tPvRmT1_PNSt15iterator_traitsISL_E10value_typeET2_T3_PNSM_ISR_E10value_typeET4_jRbjT5_SX_jjP12ihipStream_tbEUlT_E1_NS1_11comp_targetILNS1_3genE9ELNS1_11target_archE1100ELNS1_3gpuE3ELNS1_3repE0EEENS1_59segmented_radix_sort_warp_sort_small_config_static_selectorELNS0_4arch9wavefront6targetE0EEEvSL_, .Lfunc_end1974-_ZN7rocprim17ROCPRIM_400000_NS6detail17trampoline_kernelINS0_14default_configENS1_36segmented_radix_sort_config_selectorI12hip_bfloat16lEEZNS1_25segmented_radix_sort_implIS3_Lb1EPKS5_PS5_PKlPlN2at6native12_GLOBAL__N_18offset_tEEE10hipError_tPvRmT1_PNSt15iterator_traitsISL_E10value_typeET2_T3_PNSM_ISR_E10value_typeET4_jRbjT5_SX_jjP12ihipStream_tbEUlT_E1_NS1_11comp_targetILNS1_3genE9ELNS1_11target_archE1100ELNS1_3gpuE3ELNS1_3repE0EEENS1_59segmented_radix_sort_warp_sort_small_config_static_selectorELNS0_4arch9wavefront6targetE0EEEvSL_
                                        ; -- End function
	.section	.AMDGPU.csdata,"",@progbits
; Kernel info:
; codeLenInByte = 508
; NumSgprs: 35
; NumVgprs: 67
; ScratchSize: 0
; MemoryBound: 0
; FloatMode: 240
; IeeeMode: 1
; LDSByteSize: 10240 bytes/workgroup (compile time only)
; SGPRBlocks: 4
; VGPRBlocks: 8
; NumSGPRsForWavesPerEU: 35
; NumVGPRsForWavesPerEU: 67
; Occupancy: 16
; WaveLimiterHint : 0
; COMPUTE_PGM_RSRC2:SCRATCH_EN: 0
; COMPUTE_PGM_RSRC2:USER_SGPR: 14
; COMPUTE_PGM_RSRC2:TRAP_HANDLER: 0
; COMPUTE_PGM_RSRC2:TGID_X_EN: 1
; COMPUTE_PGM_RSRC2:TGID_Y_EN: 1
; COMPUTE_PGM_RSRC2:TGID_Z_EN: 0
; COMPUTE_PGM_RSRC2:TIDIG_COMP_CNT: 2
	.section	.text._ZN7rocprim17ROCPRIM_400000_NS6detail17trampoline_kernelINS0_14default_configENS1_36segmented_radix_sort_config_selectorI12hip_bfloat16lEEZNS1_25segmented_radix_sort_implIS3_Lb1EPKS5_PS5_PKlPlN2at6native12_GLOBAL__N_18offset_tEEE10hipError_tPvRmT1_PNSt15iterator_traitsISL_E10value_typeET2_T3_PNSM_ISR_E10value_typeET4_jRbjT5_SX_jjP12ihipStream_tbEUlT_E1_NS1_11comp_targetILNS1_3genE8ELNS1_11target_archE1030ELNS1_3gpuE2ELNS1_3repE0EEENS1_59segmented_radix_sort_warp_sort_small_config_static_selectorELNS0_4arch9wavefront6targetE0EEEvSL_,"axG",@progbits,_ZN7rocprim17ROCPRIM_400000_NS6detail17trampoline_kernelINS0_14default_configENS1_36segmented_radix_sort_config_selectorI12hip_bfloat16lEEZNS1_25segmented_radix_sort_implIS3_Lb1EPKS5_PS5_PKlPlN2at6native12_GLOBAL__N_18offset_tEEE10hipError_tPvRmT1_PNSt15iterator_traitsISL_E10value_typeET2_T3_PNSM_ISR_E10value_typeET4_jRbjT5_SX_jjP12ihipStream_tbEUlT_E1_NS1_11comp_targetILNS1_3genE8ELNS1_11target_archE1030ELNS1_3gpuE2ELNS1_3repE0EEENS1_59segmented_radix_sort_warp_sort_small_config_static_selectorELNS0_4arch9wavefront6targetE0EEEvSL_,comdat
	.globl	_ZN7rocprim17ROCPRIM_400000_NS6detail17trampoline_kernelINS0_14default_configENS1_36segmented_radix_sort_config_selectorI12hip_bfloat16lEEZNS1_25segmented_radix_sort_implIS3_Lb1EPKS5_PS5_PKlPlN2at6native12_GLOBAL__N_18offset_tEEE10hipError_tPvRmT1_PNSt15iterator_traitsISL_E10value_typeET2_T3_PNSM_ISR_E10value_typeET4_jRbjT5_SX_jjP12ihipStream_tbEUlT_E1_NS1_11comp_targetILNS1_3genE8ELNS1_11target_archE1030ELNS1_3gpuE2ELNS1_3repE0EEENS1_59segmented_radix_sort_warp_sort_small_config_static_selectorELNS0_4arch9wavefront6targetE0EEEvSL_ ; -- Begin function _ZN7rocprim17ROCPRIM_400000_NS6detail17trampoline_kernelINS0_14default_configENS1_36segmented_radix_sort_config_selectorI12hip_bfloat16lEEZNS1_25segmented_radix_sort_implIS3_Lb1EPKS5_PS5_PKlPlN2at6native12_GLOBAL__N_18offset_tEEE10hipError_tPvRmT1_PNSt15iterator_traitsISL_E10value_typeET2_T3_PNSM_ISR_E10value_typeET4_jRbjT5_SX_jjP12ihipStream_tbEUlT_E1_NS1_11comp_targetILNS1_3genE8ELNS1_11target_archE1030ELNS1_3gpuE2ELNS1_3repE0EEENS1_59segmented_radix_sort_warp_sort_small_config_static_selectorELNS0_4arch9wavefront6targetE0EEEvSL_
	.p2align	8
	.type	_ZN7rocprim17ROCPRIM_400000_NS6detail17trampoline_kernelINS0_14default_configENS1_36segmented_radix_sort_config_selectorI12hip_bfloat16lEEZNS1_25segmented_radix_sort_implIS3_Lb1EPKS5_PS5_PKlPlN2at6native12_GLOBAL__N_18offset_tEEE10hipError_tPvRmT1_PNSt15iterator_traitsISL_E10value_typeET2_T3_PNSM_ISR_E10value_typeET4_jRbjT5_SX_jjP12ihipStream_tbEUlT_E1_NS1_11comp_targetILNS1_3genE8ELNS1_11target_archE1030ELNS1_3gpuE2ELNS1_3repE0EEENS1_59segmented_radix_sort_warp_sort_small_config_static_selectorELNS0_4arch9wavefront6targetE0EEEvSL_,@function
_ZN7rocprim17ROCPRIM_400000_NS6detail17trampoline_kernelINS0_14default_configENS1_36segmented_radix_sort_config_selectorI12hip_bfloat16lEEZNS1_25segmented_radix_sort_implIS3_Lb1EPKS5_PS5_PKlPlN2at6native12_GLOBAL__N_18offset_tEEE10hipError_tPvRmT1_PNSt15iterator_traitsISL_E10value_typeET2_T3_PNSM_ISR_E10value_typeET4_jRbjT5_SX_jjP12ihipStream_tbEUlT_E1_NS1_11comp_targetILNS1_3genE8ELNS1_11target_archE1030ELNS1_3gpuE2ELNS1_3repE0EEENS1_59segmented_radix_sort_warp_sort_small_config_static_selectorELNS0_4arch9wavefront6targetE0EEEvSL_: ; @_ZN7rocprim17ROCPRIM_400000_NS6detail17trampoline_kernelINS0_14default_configENS1_36segmented_radix_sort_config_selectorI12hip_bfloat16lEEZNS1_25segmented_radix_sort_implIS3_Lb1EPKS5_PS5_PKlPlN2at6native12_GLOBAL__N_18offset_tEEE10hipError_tPvRmT1_PNSt15iterator_traitsISL_E10value_typeET2_T3_PNSM_ISR_E10value_typeET4_jRbjT5_SX_jjP12ihipStream_tbEUlT_E1_NS1_11comp_targetILNS1_3genE8ELNS1_11target_archE1030ELNS1_3gpuE2ELNS1_3repE0EEENS1_59segmented_radix_sort_warp_sort_small_config_static_selectorELNS0_4arch9wavefront6targetE0EEEvSL_
; %bb.0:
	.section	.rodata,"a",@progbits
	.p2align	6, 0x0
	.amdhsa_kernel _ZN7rocprim17ROCPRIM_400000_NS6detail17trampoline_kernelINS0_14default_configENS1_36segmented_radix_sort_config_selectorI12hip_bfloat16lEEZNS1_25segmented_radix_sort_implIS3_Lb1EPKS5_PS5_PKlPlN2at6native12_GLOBAL__N_18offset_tEEE10hipError_tPvRmT1_PNSt15iterator_traitsISL_E10value_typeET2_T3_PNSM_ISR_E10value_typeET4_jRbjT5_SX_jjP12ihipStream_tbEUlT_E1_NS1_11comp_targetILNS1_3genE8ELNS1_11target_archE1030ELNS1_3gpuE2ELNS1_3repE0EEENS1_59segmented_radix_sort_warp_sort_small_config_static_selectorELNS0_4arch9wavefront6targetE0EEEvSL_
		.amdhsa_group_segment_fixed_size 0
		.amdhsa_private_segment_fixed_size 0
		.amdhsa_kernarg_size 88
		.amdhsa_user_sgpr_count 15
		.amdhsa_user_sgpr_dispatch_ptr 0
		.amdhsa_user_sgpr_queue_ptr 0
		.amdhsa_user_sgpr_kernarg_segment_ptr 1
		.amdhsa_user_sgpr_dispatch_id 0
		.amdhsa_user_sgpr_private_segment_size 0
		.amdhsa_wavefront_size32 1
		.amdhsa_uses_dynamic_stack 0
		.amdhsa_enable_private_segment 0
		.amdhsa_system_sgpr_workgroup_id_x 1
		.amdhsa_system_sgpr_workgroup_id_y 0
		.amdhsa_system_sgpr_workgroup_id_z 0
		.amdhsa_system_sgpr_workgroup_info 0
		.amdhsa_system_vgpr_workitem_id 0
		.amdhsa_next_free_vgpr 1
		.amdhsa_next_free_sgpr 1
		.amdhsa_reserve_vcc 0
		.amdhsa_float_round_mode_32 0
		.amdhsa_float_round_mode_16_64 0
		.amdhsa_float_denorm_mode_32 3
		.amdhsa_float_denorm_mode_16_64 3
		.amdhsa_dx10_clamp 1
		.amdhsa_ieee_mode 1
		.amdhsa_fp16_overflow 0
		.amdhsa_workgroup_processor_mode 1
		.amdhsa_memory_ordered 1
		.amdhsa_forward_progress 0
		.amdhsa_shared_vgpr_count 0
		.amdhsa_exception_fp_ieee_invalid_op 0
		.amdhsa_exception_fp_denorm_src 0
		.amdhsa_exception_fp_ieee_div_zero 0
		.amdhsa_exception_fp_ieee_overflow 0
		.amdhsa_exception_fp_ieee_underflow 0
		.amdhsa_exception_fp_ieee_inexact 0
		.amdhsa_exception_int_div_zero 0
	.end_amdhsa_kernel
	.section	.text._ZN7rocprim17ROCPRIM_400000_NS6detail17trampoline_kernelINS0_14default_configENS1_36segmented_radix_sort_config_selectorI12hip_bfloat16lEEZNS1_25segmented_radix_sort_implIS3_Lb1EPKS5_PS5_PKlPlN2at6native12_GLOBAL__N_18offset_tEEE10hipError_tPvRmT1_PNSt15iterator_traitsISL_E10value_typeET2_T3_PNSM_ISR_E10value_typeET4_jRbjT5_SX_jjP12ihipStream_tbEUlT_E1_NS1_11comp_targetILNS1_3genE8ELNS1_11target_archE1030ELNS1_3gpuE2ELNS1_3repE0EEENS1_59segmented_radix_sort_warp_sort_small_config_static_selectorELNS0_4arch9wavefront6targetE0EEEvSL_,"axG",@progbits,_ZN7rocprim17ROCPRIM_400000_NS6detail17trampoline_kernelINS0_14default_configENS1_36segmented_radix_sort_config_selectorI12hip_bfloat16lEEZNS1_25segmented_radix_sort_implIS3_Lb1EPKS5_PS5_PKlPlN2at6native12_GLOBAL__N_18offset_tEEE10hipError_tPvRmT1_PNSt15iterator_traitsISL_E10value_typeET2_T3_PNSM_ISR_E10value_typeET4_jRbjT5_SX_jjP12ihipStream_tbEUlT_E1_NS1_11comp_targetILNS1_3genE8ELNS1_11target_archE1030ELNS1_3gpuE2ELNS1_3repE0EEENS1_59segmented_radix_sort_warp_sort_small_config_static_selectorELNS0_4arch9wavefront6targetE0EEEvSL_,comdat
.Lfunc_end1975:
	.size	_ZN7rocprim17ROCPRIM_400000_NS6detail17trampoline_kernelINS0_14default_configENS1_36segmented_radix_sort_config_selectorI12hip_bfloat16lEEZNS1_25segmented_radix_sort_implIS3_Lb1EPKS5_PS5_PKlPlN2at6native12_GLOBAL__N_18offset_tEEE10hipError_tPvRmT1_PNSt15iterator_traitsISL_E10value_typeET2_T3_PNSM_ISR_E10value_typeET4_jRbjT5_SX_jjP12ihipStream_tbEUlT_E1_NS1_11comp_targetILNS1_3genE8ELNS1_11target_archE1030ELNS1_3gpuE2ELNS1_3repE0EEENS1_59segmented_radix_sort_warp_sort_small_config_static_selectorELNS0_4arch9wavefront6targetE0EEEvSL_, .Lfunc_end1975-_ZN7rocprim17ROCPRIM_400000_NS6detail17trampoline_kernelINS0_14default_configENS1_36segmented_radix_sort_config_selectorI12hip_bfloat16lEEZNS1_25segmented_radix_sort_implIS3_Lb1EPKS5_PS5_PKlPlN2at6native12_GLOBAL__N_18offset_tEEE10hipError_tPvRmT1_PNSt15iterator_traitsISL_E10value_typeET2_T3_PNSM_ISR_E10value_typeET4_jRbjT5_SX_jjP12ihipStream_tbEUlT_E1_NS1_11comp_targetILNS1_3genE8ELNS1_11target_archE1030ELNS1_3gpuE2ELNS1_3repE0EEENS1_59segmented_radix_sort_warp_sort_small_config_static_selectorELNS0_4arch9wavefront6targetE0EEEvSL_
                                        ; -- End function
	.section	.AMDGPU.csdata,"",@progbits
; Kernel info:
; codeLenInByte = 0
; NumSgprs: 0
; NumVgprs: 0
; ScratchSize: 0
; MemoryBound: 0
; FloatMode: 240
; IeeeMode: 1
; LDSByteSize: 0 bytes/workgroup (compile time only)
; SGPRBlocks: 0
; VGPRBlocks: 0
; NumSGPRsForWavesPerEU: 1
; NumVGPRsForWavesPerEU: 1
; Occupancy: 16
; WaveLimiterHint : 0
; COMPUTE_PGM_RSRC2:SCRATCH_EN: 0
; COMPUTE_PGM_RSRC2:USER_SGPR: 15
; COMPUTE_PGM_RSRC2:TRAP_HANDLER: 0
; COMPUTE_PGM_RSRC2:TGID_X_EN: 1
; COMPUTE_PGM_RSRC2:TGID_Y_EN: 0
; COMPUTE_PGM_RSRC2:TGID_Z_EN: 0
; COMPUTE_PGM_RSRC2:TIDIG_COMP_CNT: 0
	.section	.text._ZN7rocprim17ROCPRIM_400000_NS6detail17trampoline_kernelINS0_14default_configENS1_36segmented_radix_sort_config_selectorI12hip_bfloat16lEEZNS1_25segmented_radix_sort_implIS3_Lb1EPKS5_PS5_PKlPlN2at6native12_GLOBAL__N_18offset_tEEE10hipError_tPvRmT1_PNSt15iterator_traitsISL_E10value_typeET2_T3_PNSM_ISR_E10value_typeET4_jRbjT5_SX_jjP12ihipStream_tbEUlT_E2_NS1_11comp_targetILNS1_3genE0ELNS1_11target_archE4294967295ELNS1_3gpuE0ELNS1_3repE0EEENS1_30default_config_static_selectorELNS0_4arch9wavefront6targetE0EEEvSL_,"axG",@progbits,_ZN7rocprim17ROCPRIM_400000_NS6detail17trampoline_kernelINS0_14default_configENS1_36segmented_radix_sort_config_selectorI12hip_bfloat16lEEZNS1_25segmented_radix_sort_implIS3_Lb1EPKS5_PS5_PKlPlN2at6native12_GLOBAL__N_18offset_tEEE10hipError_tPvRmT1_PNSt15iterator_traitsISL_E10value_typeET2_T3_PNSM_ISR_E10value_typeET4_jRbjT5_SX_jjP12ihipStream_tbEUlT_E2_NS1_11comp_targetILNS1_3genE0ELNS1_11target_archE4294967295ELNS1_3gpuE0ELNS1_3repE0EEENS1_30default_config_static_selectorELNS0_4arch9wavefront6targetE0EEEvSL_,comdat
	.globl	_ZN7rocprim17ROCPRIM_400000_NS6detail17trampoline_kernelINS0_14default_configENS1_36segmented_radix_sort_config_selectorI12hip_bfloat16lEEZNS1_25segmented_radix_sort_implIS3_Lb1EPKS5_PS5_PKlPlN2at6native12_GLOBAL__N_18offset_tEEE10hipError_tPvRmT1_PNSt15iterator_traitsISL_E10value_typeET2_T3_PNSM_ISR_E10value_typeET4_jRbjT5_SX_jjP12ihipStream_tbEUlT_E2_NS1_11comp_targetILNS1_3genE0ELNS1_11target_archE4294967295ELNS1_3gpuE0ELNS1_3repE0EEENS1_30default_config_static_selectorELNS0_4arch9wavefront6targetE0EEEvSL_ ; -- Begin function _ZN7rocprim17ROCPRIM_400000_NS6detail17trampoline_kernelINS0_14default_configENS1_36segmented_radix_sort_config_selectorI12hip_bfloat16lEEZNS1_25segmented_radix_sort_implIS3_Lb1EPKS5_PS5_PKlPlN2at6native12_GLOBAL__N_18offset_tEEE10hipError_tPvRmT1_PNSt15iterator_traitsISL_E10value_typeET2_T3_PNSM_ISR_E10value_typeET4_jRbjT5_SX_jjP12ihipStream_tbEUlT_E2_NS1_11comp_targetILNS1_3genE0ELNS1_11target_archE4294967295ELNS1_3gpuE0ELNS1_3repE0EEENS1_30default_config_static_selectorELNS0_4arch9wavefront6targetE0EEEvSL_
	.p2align	8
	.type	_ZN7rocprim17ROCPRIM_400000_NS6detail17trampoline_kernelINS0_14default_configENS1_36segmented_radix_sort_config_selectorI12hip_bfloat16lEEZNS1_25segmented_radix_sort_implIS3_Lb1EPKS5_PS5_PKlPlN2at6native12_GLOBAL__N_18offset_tEEE10hipError_tPvRmT1_PNSt15iterator_traitsISL_E10value_typeET2_T3_PNSM_ISR_E10value_typeET4_jRbjT5_SX_jjP12ihipStream_tbEUlT_E2_NS1_11comp_targetILNS1_3genE0ELNS1_11target_archE4294967295ELNS1_3gpuE0ELNS1_3repE0EEENS1_30default_config_static_selectorELNS0_4arch9wavefront6targetE0EEEvSL_,@function
_ZN7rocprim17ROCPRIM_400000_NS6detail17trampoline_kernelINS0_14default_configENS1_36segmented_radix_sort_config_selectorI12hip_bfloat16lEEZNS1_25segmented_radix_sort_implIS3_Lb1EPKS5_PS5_PKlPlN2at6native12_GLOBAL__N_18offset_tEEE10hipError_tPvRmT1_PNSt15iterator_traitsISL_E10value_typeET2_T3_PNSM_ISR_E10value_typeET4_jRbjT5_SX_jjP12ihipStream_tbEUlT_E2_NS1_11comp_targetILNS1_3genE0ELNS1_11target_archE4294967295ELNS1_3gpuE0ELNS1_3repE0EEENS1_30default_config_static_selectorELNS0_4arch9wavefront6targetE0EEEvSL_: ; @_ZN7rocprim17ROCPRIM_400000_NS6detail17trampoline_kernelINS0_14default_configENS1_36segmented_radix_sort_config_selectorI12hip_bfloat16lEEZNS1_25segmented_radix_sort_implIS3_Lb1EPKS5_PS5_PKlPlN2at6native12_GLOBAL__N_18offset_tEEE10hipError_tPvRmT1_PNSt15iterator_traitsISL_E10value_typeET2_T3_PNSM_ISR_E10value_typeET4_jRbjT5_SX_jjP12ihipStream_tbEUlT_E2_NS1_11comp_targetILNS1_3genE0ELNS1_11target_archE4294967295ELNS1_3gpuE0ELNS1_3repE0EEENS1_30default_config_static_selectorELNS0_4arch9wavefront6targetE0EEEvSL_
; %bb.0:
	.section	.rodata,"a",@progbits
	.p2align	6, 0x0
	.amdhsa_kernel _ZN7rocprim17ROCPRIM_400000_NS6detail17trampoline_kernelINS0_14default_configENS1_36segmented_radix_sort_config_selectorI12hip_bfloat16lEEZNS1_25segmented_radix_sort_implIS3_Lb1EPKS5_PS5_PKlPlN2at6native12_GLOBAL__N_18offset_tEEE10hipError_tPvRmT1_PNSt15iterator_traitsISL_E10value_typeET2_T3_PNSM_ISR_E10value_typeET4_jRbjT5_SX_jjP12ihipStream_tbEUlT_E2_NS1_11comp_targetILNS1_3genE0ELNS1_11target_archE4294967295ELNS1_3gpuE0ELNS1_3repE0EEENS1_30default_config_static_selectorELNS0_4arch9wavefront6targetE0EEEvSL_
		.amdhsa_group_segment_fixed_size 0
		.amdhsa_private_segment_fixed_size 0
		.amdhsa_kernarg_size 80
		.amdhsa_user_sgpr_count 15
		.amdhsa_user_sgpr_dispatch_ptr 0
		.amdhsa_user_sgpr_queue_ptr 0
		.amdhsa_user_sgpr_kernarg_segment_ptr 1
		.amdhsa_user_sgpr_dispatch_id 0
		.amdhsa_user_sgpr_private_segment_size 0
		.amdhsa_wavefront_size32 1
		.amdhsa_uses_dynamic_stack 0
		.amdhsa_enable_private_segment 0
		.amdhsa_system_sgpr_workgroup_id_x 1
		.amdhsa_system_sgpr_workgroup_id_y 0
		.amdhsa_system_sgpr_workgroup_id_z 0
		.amdhsa_system_sgpr_workgroup_info 0
		.amdhsa_system_vgpr_workitem_id 0
		.amdhsa_next_free_vgpr 1
		.amdhsa_next_free_sgpr 1
		.amdhsa_reserve_vcc 0
		.amdhsa_float_round_mode_32 0
		.amdhsa_float_round_mode_16_64 0
		.amdhsa_float_denorm_mode_32 3
		.amdhsa_float_denorm_mode_16_64 3
		.amdhsa_dx10_clamp 1
		.amdhsa_ieee_mode 1
		.amdhsa_fp16_overflow 0
		.amdhsa_workgroup_processor_mode 1
		.amdhsa_memory_ordered 1
		.amdhsa_forward_progress 0
		.amdhsa_shared_vgpr_count 0
		.amdhsa_exception_fp_ieee_invalid_op 0
		.amdhsa_exception_fp_denorm_src 0
		.amdhsa_exception_fp_ieee_div_zero 0
		.amdhsa_exception_fp_ieee_overflow 0
		.amdhsa_exception_fp_ieee_underflow 0
		.amdhsa_exception_fp_ieee_inexact 0
		.amdhsa_exception_int_div_zero 0
	.end_amdhsa_kernel
	.section	.text._ZN7rocprim17ROCPRIM_400000_NS6detail17trampoline_kernelINS0_14default_configENS1_36segmented_radix_sort_config_selectorI12hip_bfloat16lEEZNS1_25segmented_radix_sort_implIS3_Lb1EPKS5_PS5_PKlPlN2at6native12_GLOBAL__N_18offset_tEEE10hipError_tPvRmT1_PNSt15iterator_traitsISL_E10value_typeET2_T3_PNSM_ISR_E10value_typeET4_jRbjT5_SX_jjP12ihipStream_tbEUlT_E2_NS1_11comp_targetILNS1_3genE0ELNS1_11target_archE4294967295ELNS1_3gpuE0ELNS1_3repE0EEENS1_30default_config_static_selectorELNS0_4arch9wavefront6targetE0EEEvSL_,"axG",@progbits,_ZN7rocprim17ROCPRIM_400000_NS6detail17trampoline_kernelINS0_14default_configENS1_36segmented_radix_sort_config_selectorI12hip_bfloat16lEEZNS1_25segmented_radix_sort_implIS3_Lb1EPKS5_PS5_PKlPlN2at6native12_GLOBAL__N_18offset_tEEE10hipError_tPvRmT1_PNSt15iterator_traitsISL_E10value_typeET2_T3_PNSM_ISR_E10value_typeET4_jRbjT5_SX_jjP12ihipStream_tbEUlT_E2_NS1_11comp_targetILNS1_3genE0ELNS1_11target_archE4294967295ELNS1_3gpuE0ELNS1_3repE0EEENS1_30default_config_static_selectorELNS0_4arch9wavefront6targetE0EEEvSL_,comdat
.Lfunc_end1976:
	.size	_ZN7rocprim17ROCPRIM_400000_NS6detail17trampoline_kernelINS0_14default_configENS1_36segmented_radix_sort_config_selectorI12hip_bfloat16lEEZNS1_25segmented_radix_sort_implIS3_Lb1EPKS5_PS5_PKlPlN2at6native12_GLOBAL__N_18offset_tEEE10hipError_tPvRmT1_PNSt15iterator_traitsISL_E10value_typeET2_T3_PNSM_ISR_E10value_typeET4_jRbjT5_SX_jjP12ihipStream_tbEUlT_E2_NS1_11comp_targetILNS1_3genE0ELNS1_11target_archE4294967295ELNS1_3gpuE0ELNS1_3repE0EEENS1_30default_config_static_selectorELNS0_4arch9wavefront6targetE0EEEvSL_, .Lfunc_end1976-_ZN7rocprim17ROCPRIM_400000_NS6detail17trampoline_kernelINS0_14default_configENS1_36segmented_radix_sort_config_selectorI12hip_bfloat16lEEZNS1_25segmented_radix_sort_implIS3_Lb1EPKS5_PS5_PKlPlN2at6native12_GLOBAL__N_18offset_tEEE10hipError_tPvRmT1_PNSt15iterator_traitsISL_E10value_typeET2_T3_PNSM_ISR_E10value_typeET4_jRbjT5_SX_jjP12ihipStream_tbEUlT_E2_NS1_11comp_targetILNS1_3genE0ELNS1_11target_archE4294967295ELNS1_3gpuE0ELNS1_3repE0EEENS1_30default_config_static_selectorELNS0_4arch9wavefront6targetE0EEEvSL_
                                        ; -- End function
	.section	.AMDGPU.csdata,"",@progbits
; Kernel info:
; codeLenInByte = 0
; NumSgprs: 0
; NumVgprs: 0
; ScratchSize: 0
; MemoryBound: 0
; FloatMode: 240
; IeeeMode: 1
; LDSByteSize: 0 bytes/workgroup (compile time only)
; SGPRBlocks: 0
; VGPRBlocks: 0
; NumSGPRsForWavesPerEU: 1
; NumVGPRsForWavesPerEU: 1
; Occupancy: 16
; WaveLimiterHint : 0
; COMPUTE_PGM_RSRC2:SCRATCH_EN: 0
; COMPUTE_PGM_RSRC2:USER_SGPR: 15
; COMPUTE_PGM_RSRC2:TRAP_HANDLER: 0
; COMPUTE_PGM_RSRC2:TGID_X_EN: 1
; COMPUTE_PGM_RSRC2:TGID_Y_EN: 0
; COMPUTE_PGM_RSRC2:TGID_Z_EN: 0
; COMPUTE_PGM_RSRC2:TIDIG_COMP_CNT: 0
	.section	.text._ZN7rocprim17ROCPRIM_400000_NS6detail17trampoline_kernelINS0_14default_configENS1_36segmented_radix_sort_config_selectorI12hip_bfloat16lEEZNS1_25segmented_radix_sort_implIS3_Lb1EPKS5_PS5_PKlPlN2at6native12_GLOBAL__N_18offset_tEEE10hipError_tPvRmT1_PNSt15iterator_traitsISL_E10value_typeET2_T3_PNSM_ISR_E10value_typeET4_jRbjT5_SX_jjP12ihipStream_tbEUlT_E2_NS1_11comp_targetILNS1_3genE5ELNS1_11target_archE942ELNS1_3gpuE9ELNS1_3repE0EEENS1_30default_config_static_selectorELNS0_4arch9wavefront6targetE0EEEvSL_,"axG",@progbits,_ZN7rocprim17ROCPRIM_400000_NS6detail17trampoline_kernelINS0_14default_configENS1_36segmented_radix_sort_config_selectorI12hip_bfloat16lEEZNS1_25segmented_radix_sort_implIS3_Lb1EPKS5_PS5_PKlPlN2at6native12_GLOBAL__N_18offset_tEEE10hipError_tPvRmT1_PNSt15iterator_traitsISL_E10value_typeET2_T3_PNSM_ISR_E10value_typeET4_jRbjT5_SX_jjP12ihipStream_tbEUlT_E2_NS1_11comp_targetILNS1_3genE5ELNS1_11target_archE942ELNS1_3gpuE9ELNS1_3repE0EEENS1_30default_config_static_selectorELNS0_4arch9wavefront6targetE0EEEvSL_,comdat
	.globl	_ZN7rocprim17ROCPRIM_400000_NS6detail17trampoline_kernelINS0_14default_configENS1_36segmented_radix_sort_config_selectorI12hip_bfloat16lEEZNS1_25segmented_radix_sort_implIS3_Lb1EPKS5_PS5_PKlPlN2at6native12_GLOBAL__N_18offset_tEEE10hipError_tPvRmT1_PNSt15iterator_traitsISL_E10value_typeET2_T3_PNSM_ISR_E10value_typeET4_jRbjT5_SX_jjP12ihipStream_tbEUlT_E2_NS1_11comp_targetILNS1_3genE5ELNS1_11target_archE942ELNS1_3gpuE9ELNS1_3repE0EEENS1_30default_config_static_selectorELNS0_4arch9wavefront6targetE0EEEvSL_ ; -- Begin function _ZN7rocprim17ROCPRIM_400000_NS6detail17trampoline_kernelINS0_14default_configENS1_36segmented_radix_sort_config_selectorI12hip_bfloat16lEEZNS1_25segmented_radix_sort_implIS3_Lb1EPKS5_PS5_PKlPlN2at6native12_GLOBAL__N_18offset_tEEE10hipError_tPvRmT1_PNSt15iterator_traitsISL_E10value_typeET2_T3_PNSM_ISR_E10value_typeET4_jRbjT5_SX_jjP12ihipStream_tbEUlT_E2_NS1_11comp_targetILNS1_3genE5ELNS1_11target_archE942ELNS1_3gpuE9ELNS1_3repE0EEENS1_30default_config_static_selectorELNS0_4arch9wavefront6targetE0EEEvSL_
	.p2align	8
	.type	_ZN7rocprim17ROCPRIM_400000_NS6detail17trampoline_kernelINS0_14default_configENS1_36segmented_radix_sort_config_selectorI12hip_bfloat16lEEZNS1_25segmented_radix_sort_implIS3_Lb1EPKS5_PS5_PKlPlN2at6native12_GLOBAL__N_18offset_tEEE10hipError_tPvRmT1_PNSt15iterator_traitsISL_E10value_typeET2_T3_PNSM_ISR_E10value_typeET4_jRbjT5_SX_jjP12ihipStream_tbEUlT_E2_NS1_11comp_targetILNS1_3genE5ELNS1_11target_archE942ELNS1_3gpuE9ELNS1_3repE0EEENS1_30default_config_static_selectorELNS0_4arch9wavefront6targetE0EEEvSL_,@function
_ZN7rocprim17ROCPRIM_400000_NS6detail17trampoline_kernelINS0_14default_configENS1_36segmented_radix_sort_config_selectorI12hip_bfloat16lEEZNS1_25segmented_radix_sort_implIS3_Lb1EPKS5_PS5_PKlPlN2at6native12_GLOBAL__N_18offset_tEEE10hipError_tPvRmT1_PNSt15iterator_traitsISL_E10value_typeET2_T3_PNSM_ISR_E10value_typeET4_jRbjT5_SX_jjP12ihipStream_tbEUlT_E2_NS1_11comp_targetILNS1_3genE5ELNS1_11target_archE942ELNS1_3gpuE9ELNS1_3repE0EEENS1_30default_config_static_selectorELNS0_4arch9wavefront6targetE0EEEvSL_: ; @_ZN7rocprim17ROCPRIM_400000_NS6detail17trampoline_kernelINS0_14default_configENS1_36segmented_radix_sort_config_selectorI12hip_bfloat16lEEZNS1_25segmented_radix_sort_implIS3_Lb1EPKS5_PS5_PKlPlN2at6native12_GLOBAL__N_18offset_tEEE10hipError_tPvRmT1_PNSt15iterator_traitsISL_E10value_typeET2_T3_PNSM_ISR_E10value_typeET4_jRbjT5_SX_jjP12ihipStream_tbEUlT_E2_NS1_11comp_targetILNS1_3genE5ELNS1_11target_archE942ELNS1_3gpuE9ELNS1_3repE0EEENS1_30default_config_static_selectorELNS0_4arch9wavefront6targetE0EEEvSL_
; %bb.0:
	.section	.rodata,"a",@progbits
	.p2align	6, 0x0
	.amdhsa_kernel _ZN7rocprim17ROCPRIM_400000_NS6detail17trampoline_kernelINS0_14default_configENS1_36segmented_radix_sort_config_selectorI12hip_bfloat16lEEZNS1_25segmented_radix_sort_implIS3_Lb1EPKS5_PS5_PKlPlN2at6native12_GLOBAL__N_18offset_tEEE10hipError_tPvRmT1_PNSt15iterator_traitsISL_E10value_typeET2_T3_PNSM_ISR_E10value_typeET4_jRbjT5_SX_jjP12ihipStream_tbEUlT_E2_NS1_11comp_targetILNS1_3genE5ELNS1_11target_archE942ELNS1_3gpuE9ELNS1_3repE0EEENS1_30default_config_static_selectorELNS0_4arch9wavefront6targetE0EEEvSL_
		.amdhsa_group_segment_fixed_size 0
		.amdhsa_private_segment_fixed_size 0
		.amdhsa_kernarg_size 80
		.amdhsa_user_sgpr_count 15
		.amdhsa_user_sgpr_dispatch_ptr 0
		.amdhsa_user_sgpr_queue_ptr 0
		.amdhsa_user_sgpr_kernarg_segment_ptr 1
		.amdhsa_user_sgpr_dispatch_id 0
		.amdhsa_user_sgpr_private_segment_size 0
		.amdhsa_wavefront_size32 1
		.amdhsa_uses_dynamic_stack 0
		.amdhsa_enable_private_segment 0
		.amdhsa_system_sgpr_workgroup_id_x 1
		.amdhsa_system_sgpr_workgroup_id_y 0
		.amdhsa_system_sgpr_workgroup_id_z 0
		.amdhsa_system_sgpr_workgroup_info 0
		.amdhsa_system_vgpr_workitem_id 0
		.amdhsa_next_free_vgpr 1
		.amdhsa_next_free_sgpr 1
		.amdhsa_reserve_vcc 0
		.amdhsa_float_round_mode_32 0
		.amdhsa_float_round_mode_16_64 0
		.amdhsa_float_denorm_mode_32 3
		.amdhsa_float_denorm_mode_16_64 3
		.amdhsa_dx10_clamp 1
		.amdhsa_ieee_mode 1
		.amdhsa_fp16_overflow 0
		.amdhsa_workgroup_processor_mode 1
		.amdhsa_memory_ordered 1
		.amdhsa_forward_progress 0
		.amdhsa_shared_vgpr_count 0
		.amdhsa_exception_fp_ieee_invalid_op 0
		.amdhsa_exception_fp_denorm_src 0
		.amdhsa_exception_fp_ieee_div_zero 0
		.amdhsa_exception_fp_ieee_overflow 0
		.amdhsa_exception_fp_ieee_underflow 0
		.amdhsa_exception_fp_ieee_inexact 0
		.amdhsa_exception_int_div_zero 0
	.end_amdhsa_kernel
	.section	.text._ZN7rocprim17ROCPRIM_400000_NS6detail17trampoline_kernelINS0_14default_configENS1_36segmented_radix_sort_config_selectorI12hip_bfloat16lEEZNS1_25segmented_radix_sort_implIS3_Lb1EPKS5_PS5_PKlPlN2at6native12_GLOBAL__N_18offset_tEEE10hipError_tPvRmT1_PNSt15iterator_traitsISL_E10value_typeET2_T3_PNSM_ISR_E10value_typeET4_jRbjT5_SX_jjP12ihipStream_tbEUlT_E2_NS1_11comp_targetILNS1_3genE5ELNS1_11target_archE942ELNS1_3gpuE9ELNS1_3repE0EEENS1_30default_config_static_selectorELNS0_4arch9wavefront6targetE0EEEvSL_,"axG",@progbits,_ZN7rocprim17ROCPRIM_400000_NS6detail17trampoline_kernelINS0_14default_configENS1_36segmented_radix_sort_config_selectorI12hip_bfloat16lEEZNS1_25segmented_radix_sort_implIS3_Lb1EPKS5_PS5_PKlPlN2at6native12_GLOBAL__N_18offset_tEEE10hipError_tPvRmT1_PNSt15iterator_traitsISL_E10value_typeET2_T3_PNSM_ISR_E10value_typeET4_jRbjT5_SX_jjP12ihipStream_tbEUlT_E2_NS1_11comp_targetILNS1_3genE5ELNS1_11target_archE942ELNS1_3gpuE9ELNS1_3repE0EEENS1_30default_config_static_selectorELNS0_4arch9wavefront6targetE0EEEvSL_,comdat
.Lfunc_end1977:
	.size	_ZN7rocprim17ROCPRIM_400000_NS6detail17trampoline_kernelINS0_14default_configENS1_36segmented_radix_sort_config_selectorI12hip_bfloat16lEEZNS1_25segmented_radix_sort_implIS3_Lb1EPKS5_PS5_PKlPlN2at6native12_GLOBAL__N_18offset_tEEE10hipError_tPvRmT1_PNSt15iterator_traitsISL_E10value_typeET2_T3_PNSM_ISR_E10value_typeET4_jRbjT5_SX_jjP12ihipStream_tbEUlT_E2_NS1_11comp_targetILNS1_3genE5ELNS1_11target_archE942ELNS1_3gpuE9ELNS1_3repE0EEENS1_30default_config_static_selectorELNS0_4arch9wavefront6targetE0EEEvSL_, .Lfunc_end1977-_ZN7rocprim17ROCPRIM_400000_NS6detail17trampoline_kernelINS0_14default_configENS1_36segmented_radix_sort_config_selectorI12hip_bfloat16lEEZNS1_25segmented_radix_sort_implIS3_Lb1EPKS5_PS5_PKlPlN2at6native12_GLOBAL__N_18offset_tEEE10hipError_tPvRmT1_PNSt15iterator_traitsISL_E10value_typeET2_T3_PNSM_ISR_E10value_typeET4_jRbjT5_SX_jjP12ihipStream_tbEUlT_E2_NS1_11comp_targetILNS1_3genE5ELNS1_11target_archE942ELNS1_3gpuE9ELNS1_3repE0EEENS1_30default_config_static_selectorELNS0_4arch9wavefront6targetE0EEEvSL_
                                        ; -- End function
	.section	.AMDGPU.csdata,"",@progbits
; Kernel info:
; codeLenInByte = 0
; NumSgprs: 0
; NumVgprs: 0
; ScratchSize: 0
; MemoryBound: 0
; FloatMode: 240
; IeeeMode: 1
; LDSByteSize: 0 bytes/workgroup (compile time only)
; SGPRBlocks: 0
; VGPRBlocks: 0
; NumSGPRsForWavesPerEU: 1
; NumVGPRsForWavesPerEU: 1
; Occupancy: 16
; WaveLimiterHint : 0
; COMPUTE_PGM_RSRC2:SCRATCH_EN: 0
; COMPUTE_PGM_RSRC2:USER_SGPR: 15
; COMPUTE_PGM_RSRC2:TRAP_HANDLER: 0
; COMPUTE_PGM_RSRC2:TGID_X_EN: 1
; COMPUTE_PGM_RSRC2:TGID_Y_EN: 0
; COMPUTE_PGM_RSRC2:TGID_Z_EN: 0
; COMPUTE_PGM_RSRC2:TIDIG_COMP_CNT: 0
	.section	.text._ZN7rocprim17ROCPRIM_400000_NS6detail17trampoline_kernelINS0_14default_configENS1_36segmented_radix_sort_config_selectorI12hip_bfloat16lEEZNS1_25segmented_radix_sort_implIS3_Lb1EPKS5_PS5_PKlPlN2at6native12_GLOBAL__N_18offset_tEEE10hipError_tPvRmT1_PNSt15iterator_traitsISL_E10value_typeET2_T3_PNSM_ISR_E10value_typeET4_jRbjT5_SX_jjP12ihipStream_tbEUlT_E2_NS1_11comp_targetILNS1_3genE4ELNS1_11target_archE910ELNS1_3gpuE8ELNS1_3repE0EEENS1_30default_config_static_selectorELNS0_4arch9wavefront6targetE0EEEvSL_,"axG",@progbits,_ZN7rocprim17ROCPRIM_400000_NS6detail17trampoline_kernelINS0_14default_configENS1_36segmented_radix_sort_config_selectorI12hip_bfloat16lEEZNS1_25segmented_radix_sort_implIS3_Lb1EPKS5_PS5_PKlPlN2at6native12_GLOBAL__N_18offset_tEEE10hipError_tPvRmT1_PNSt15iterator_traitsISL_E10value_typeET2_T3_PNSM_ISR_E10value_typeET4_jRbjT5_SX_jjP12ihipStream_tbEUlT_E2_NS1_11comp_targetILNS1_3genE4ELNS1_11target_archE910ELNS1_3gpuE8ELNS1_3repE0EEENS1_30default_config_static_selectorELNS0_4arch9wavefront6targetE0EEEvSL_,comdat
	.globl	_ZN7rocprim17ROCPRIM_400000_NS6detail17trampoline_kernelINS0_14default_configENS1_36segmented_radix_sort_config_selectorI12hip_bfloat16lEEZNS1_25segmented_radix_sort_implIS3_Lb1EPKS5_PS5_PKlPlN2at6native12_GLOBAL__N_18offset_tEEE10hipError_tPvRmT1_PNSt15iterator_traitsISL_E10value_typeET2_T3_PNSM_ISR_E10value_typeET4_jRbjT5_SX_jjP12ihipStream_tbEUlT_E2_NS1_11comp_targetILNS1_3genE4ELNS1_11target_archE910ELNS1_3gpuE8ELNS1_3repE0EEENS1_30default_config_static_selectorELNS0_4arch9wavefront6targetE0EEEvSL_ ; -- Begin function _ZN7rocprim17ROCPRIM_400000_NS6detail17trampoline_kernelINS0_14default_configENS1_36segmented_radix_sort_config_selectorI12hip_bfloat16lEEZNS1_25segmented_radix_sort_implIS3_Lb1EPKS5_PS5_PKlPlN2at6native12_GLOBAL__N_18offset_tEEE10hipError_tPvRmT1_PNSt15iterator_traitsISL_E10value_typeET2_T3_PNSM_ISR_E10value_typeET4_jRbjT5_SX_jjP12ihipStream_tbEUlT_E2_NS1_11comp_targetILNS1_3genE4ELNS1_11target_archE910ELNS1_3gpuE8ELNS1_3repE0EEENS1_30default_config_static_selectorELNS0_4arch9wavefront6targetE0EEEvSL_
	.p2align	8
	.type	_ZN7rocprim17ROCPRIM_400000_NS6detail17trampoline_kernelINS0_14default_configENS1_36segmented_radix_sort_config_selectorI12hip_bfloat16lEEZNS1_25segmented_radix_sort_implIS3_Lb1EPKS5_PS5_PKlPlN2at6native12_GLOBAL__N_18offset_tEEE10hipError_tPvRmT1_PNSt15iterator_traitsISL_E10value_typeET2_T3_PNSM_ISR_E10value_typeET4_jRbjT5_SX_jjP12ihipStream_tbEUlT_E2_NS1_11comp_targetILNS1_3genE4ELNS1_11target_archE910ELNS1_3gpuE8ELNS1_3repE0EEENS1_30default_config_static_selectorELNS0_4arch9wavefront6targetE0EEEvSL_,@function
_ZN7rocprim17ROCPRIM_400000_NS6detail17trampoline_kernelINS0_14default_configENS1_36segmented_radix_sort_config_selectorI12hip_bfloat16lEEZNS1_25segmented_radix_sort_implIS3_Lb1EPKS5_PS5_PKlPlN2at6native12_GLOBAL__N_18offset_tEEE10hipError_tPvRmT1_PNSt15iterator_traitsISL_E10value_typeET2_T3_PNSM_ISR_E10value_typeET4_jRbjT5_SX_jjP12ihipStream_tbEUlT_E2_NS1_11comp_targetILNS1_3genE4ELNS1_11target_archE910ELNS1_3gpuE8ELNS1_3repE0EEENS1_30default_config_static_selectorELNS0_4arch9wavefront6targetE0EEEvSL_: ; @_ZN7rocprim17ROCPRIM_400000_NS6detail17trampoline_kernelINS0_14default_configENS1_36segmented_radix_sort_config_selectorI12hip_bfloat16lEEZNS1_25segmented_radix_sort_implIS3_Lb1EPKS5_PS5_PKlPlN2at6native12_GLOBAL__N_18offset_tEEE10hipError_tPvRmT1_PNSt15iterator_traitsISL_E10value_typeET2_T3_PNSM_ISR_E10value_typeET4_jRbjT5_SX_jjP12ihipStream_tbEUlT_E2_NS1_11comp_targetILNS1_3genE4ELNS1_11target_archE910ELNS1_3gpuE8ELNS1_3repE0EEENS1_30default_config_static_selectorELNS0_4arch9wavefront6targetE0EEEvSL_
; %bb.0:
	.section	.rodata,"a",@progbits
	.p2align	6, 0x0
	.amdhsa_kernel _ZN7rocprim17ROCPRIM_400000_NS6detail17trampoline_kernelINS0_14default_configENS1_36segmented_radix_sort_config_selectorI12hip_bfloat16lEEZNS1_25segmented_radix_sort_implIS3_Lb1EPKS5_PS5_PKlPlN2at6native12_GLOBAL__N_18offset_tEEE10hipError_tPvRmT1_PNSt15iterator_traitsISL_E10value_typeET2_T3_PNSM_ISR_E10value_typeET4_jRbjT5_SX_jjP12ihipStream_tbEUlT_E2_NS1_11comp_targetILNS1_3genE4ELNS1_11target_archE910ELNS1_3gpuE8ELNS1_3repE0EEENS1_30default_config_static_selectorELNS0_4arch9wavefront6targetE0EEEvSL_
		.amdhsa_group_segment_fixed_size 0
		.amdhsa_private_segment_fixed_size 0
		.amdhsa_kernarg_size 80
		.amdhsa_user_sgpr_count 15
		.amdhsa_user_sgpr_dispatch_ptr 0
		.amdhsa_user_sgpr_queue_ptr 0
		.amdhsa_user_sgpr_kernarg_segment_ptr 1
		.amdhsa_user_sgpr_dispatch_id 0
		.amdhsa_user_sgpr_private_segment_size 0
		.amdhsa_wavefront_size32 1
		.amdhsa_uses_dynamic_stack 0
		.amdhsa_enable_private_segment 0
		.amdhsa_system_sgpr_workgroup_id_x 1
		.amdhsa_system_sgpr_workgroup_id_y 0
		.amdhsa_system_sgpr_workgroup_id_z 0
		.amdhsa_system_sgpr_workgroup_info 0
		.amdhsa_system_vgpr_workitem_id 0
		.amdhsa_next_free_vgpr 1
		.amdhsa_next_free_sgpr 1
		.amdhsa_reserve_vcc 0
		.amdhsa_float_round_mode_32 0
		.amdhsa_float_round_mode_16_64 0
		.amdhsa_float_denorm_mode_32 3
		.amdhsa_float_denorm_mode_16_64 3
		.amdhsa_dx10_clamp 1
		.amdhsa_ieee_mode 1
		.amdhsa_fp16_overflow 0
		.amdhsa_workgroup_processor_mode 1
		.amdhsa_memory_ordered 1
		.amdhsa_forward_progress 0
		.amdhsa_shared_vgpr_count 0
		.amdhsa_exception_fp_ieee_invalid_op 0
		.amdhsa_exception_fp_denorm_src 0
		.amdhsa_exception_fp_ieee_div_zero 0
		.amdhsa_exception_fp_ieee_overflow 0
		.amdhsa_exception_fp_ieee_underflow 0
		.amdhsa_exception_fp_ieee_inexact 0
		.amdhsa_exception_int_div_zero 0
	.end_amdhsa_kernel
	.section	.text._ZN7rocprim17ROCPRIM_400000_NS6detail17trampoline_kernelINS0_14default_configENS1_36segmented_radix_sort_config_selectorI12hip_bfloat16lEEZNS1_25segmented_radix_sort_implIS3_Lb1EPKS5_PS5_PKlPlN2at6native12_GLOBAL__N_18offset_tEEE10hipError_tPvRmT1_PNSt15iterator_traitsISL_E10value_typeET2_T3_PNSM_ISR_E10value_typeET4_jRbjT5_SX_jjP12ihipStream_tbEUlT_E2_NS1_11comp_targetILNS1_3genE4ELNS1_11target_archE910ELNS1_3gpuE8ELNS1_3repE0EEENS1_30default_config_static_selectorELNS0_4arch9wavefront6targetE0EEEvSL_,"axG",@progbits,_ZN7rocprim17ROCPRIM_400000_NS6detail17trampoline_kernelINS0_14default_configENS1_36segmented_radix_sort_config_selectorI12hip_bfloat16lEEZNS1_25segmented_radix_sort_implIS3_Lb1EPKS5_PS5_PKlPlN2at6native12_GLOBAL__N_18offset_tEEE10hipError_tPvRmT1_PNSt15iterator_traitsISL_E10value_typeET2_T3_PNSM_ISR_E10value_typeET4_jRbjT5_SX_jjP12ihipStream_tbEUlT_E2_NS1_11comp_targetILNS1_3genE4ELNS1_11target_archE910ELNS1_3gpuE8ELNS1_3repE0EEENS1_30default_config_static_selectorELNS0_4arch9wavefront6targetE0EEEvSL_,comdat
.Lfunc_end1978:
	.size	_ZN7rocprim17ROCPRIM_400000_NS6detail17trampoline_kernelINS0_14default_configENS1_36segmented_radix_sort_config_selectorI12hip_bfloat16lEEZNS1_25segmented_radix_sort_implIS3_Lb1EPKS5_PS5_PKlPlN2at6native12_GLOBAL__N_18offset_tEEE10hipError_tPvRmT1_PNSt15iterator_traitsISL_E10value_typeET2_T3_PNSM_ISR_E10value_typeET4_jRbjT5_SX_jjP12ihipStream_tbEUlT_E2_NS1_11comp_targetILNS1_3genE4ELNS1_11target_archE910ELNS1_3gpuE8ELNS1_3repE0EEENS1_30default_config_static_selectorELNS0_4arch9wavefront6targetE0EEEvSL_, .Lfunc_end1978-_ZN7rocprim17ROCPRIM_400000_NS6detail17trampoline_kernelINS0_14default_configENS1_36segmented_radix_sort_config_selectorI12hip_bfloat16lEEZNS1_25segmented_radix_sort_implIS3_Lb1EPKS5_PS5_PKlPlN2at6native12_GLOBAL__N_18offset_tEEE10hipError_tPvRmT1_PNSt15iterator_traitsISL_E10value_typeET2_T3_PNSM_ISR_E10value_typeET4_jRbjT5_SX_jjP12ihipStream_tbEUlT_E2_NS1_11comp_targetILNS1_3genE4ELNS1_11target_archE910ELNS1_3gpuE8ELNS1_3repE0EEENS1_30default_config_static_selectorELNS0_4arch9wavefront6targetE0EEEvSL_
                                        ; -- End function
	.section	.AMDGPU.csdata,"",@progbits
; Kernel info:
; codeLenInByte = 0
; NumSgprs: 0
; NumVgprs: 0
; ScratchSize: 0
; MemoryBound: 0
; FloatMode: 240
; IeeeMode: 1
; LDSByteSize: 0 bytes/workgroup (compile time only)
; SGPRBlocks: 0
; VGPRBlocks: 0
; NumSGPRsForWavesPerEU: 1
; NumVGPRsForWavesPerEU: 1
; Occupancy: 16
; WaveLimiterHint : 0
; COMPUTE_PGM_RSRC2:SCRATCH_EN: 0
; COMPUTE_PGM_RSRC2:USER_SGPR: 15
; COMPUTE_PGM_RSRC2:TRAP_HANDLER: 0
; COMPUTE_PGM_RSRC2:TGID_X_EN: 1
; COMPUTE_PGM_RSRC2:TGID_Y_EN: 0
; COMPUTE_PGM_RSRC2:TGID_Z_EN: 0
; COMPUTE_PGM_RSRC2:TIDIG_COMP_CNT: 0
	.section	.text._ZN7rocprim17ROCPRIM_400000_NS6detail17trampoline_kernelINS0_14default_configENS1_36segmented_radix_sort_config_selectorI12hip_bfloat16lEEZNS1_25segmented_radix_sort_implIS3_Lb1EPKS5_PS5_PKlPlN2at6native12_GLOBAL__N_18offset_tEEE10hipError_tPvRmT1_PNSt15iterator_traitsISL_E10value_typeET2_T3_PNSM_ISR_E10value_typeET4_jRbjT5_SX_jjP12ihipStream_tbEUlT_E2_NS1_11comp_targetILNS1_3genE3ELNS1_11target_archE908ELNS1_3gpuE7ELNS1_3repE0EEENS1_30default_config_static_selectorELNS0_4arch9wavefront6targetE0EEEvSL_,"axG",@progbits,_ZN7rocprim17ROCPRIM_400000_NS6detail17trampoline_kernelINS0_14default_configENS1_36segmented_radix_sort_config_selectorI12hip_bfloat16lEEZNS1_25segmented_radix_sort_implIS3_Lb1EPKS5_PS5_PKlPlN2at6native12_GLOBAL__N_18offset_tEEE10hipError_tPvRmT1_PNSt15iterator_traitsISL_E10value_typeET2_T3_PNSM_ISR_E10value_typeET4_jRbjT5_SX_jjP12ihipStream_tbEUlT_E2_NS1_11comp_targetILNS1_3genE3ELNS1_11target_archE908ELNS1_3gpuE7ELNS1_3repE0EEENS1_30default_config_static_selectorELNS0_4arch9wavefront6targetE0EEEvSL_,comdat
	.globl	_ZN7rocprim17ROCPRIM_400000_NS6detail17trampoline_kernelINS0_14default_configENS1_36segmented_radix_sort_config_selectorI12hip_bfloat16lEEZNS1_25segmented_radix_sort_implIS3_Lb1EPKS5_PS5_PKlPlN2at6native12_GLOBAL__N_18offset_tEEE10hipError_tPvRmT1_PNSt15iterator_traitsISL_E10value_typeET2_T3_PNSM_ISR_E10value_typeET4_jRbjT5_SX_jjP12ihipStream_tbEUlT_E2_NS1_11comp_targetILNS1_3genE3ELNS1_11target_archE908ELNS1_3gpuE7ELNS1_3repE0EEENS1_30default_config_static_selectorELNS0_4arch9wavefront6targetE0EEEvSL_ ; -- Begin function _ZN7rocprim17ROCPRIM_400000_NS6detail17trampoline_kernelINS0_14default_configENS1_36segmented_radix_sort_config_selectorI12hip_bfloat16lEEZNS1_25segmented_radix_sort_implIS3_Lb1EPKS5_PS5_PKlPlN2at6native12_GLOBAL__N_18offset_tEEE10hipError_tPvRmT1_PNSt15iterator_traitsISL_E10value_typeET2_T3_PNSM_ISR_E10value_typeET4_jRbjT5_SX_jjP12ihipStream_tbEUlT_E2_NS1_11comp_targetILNS1_3genE3ELNS1_11target_archE908ELNS1_3gpuE7ELNS1_3repE0EEENS1_30default_config_static_selectorELNS0_4arch9wavefront6targetE0EEEvSL_
	.p2align	8
	.type	_ZN7rocprim17ROCPRIM_400000_NS6detail17trampoline_kernelINS0_14default_configENS1_36segmented_radix_sort_config_selectorI12hip_bfloat16lEEZNS1_25segmented_radix_sort_implIS3_Lb1EPKS5_PS5_PKlPlN2at6native12_GLOBAL__N_18offset_tEEE10hipError_tPvRmT1_PNSt15iterator_traitsISL_E10value_typeET2_T3_PNSM_ISR_E10value_typeET4_jRbjT5_SX_jjP12ihipStream_tbEUlT_E2_NS1_11comp_targetILNS1_3genE3ELNS1_11target_archE908ELNS1_3gpuE7ELNS1_3repE0EEENS1_30default_config_static_selectorELNS0_4arch9wavefront6targetE0EEEvSL_,@function
_ZN7rocprim17ROCPRIM_400000_NS6detail17trampoline_kernelINS0_14default_configENS1_36segmented_radix_sort_config_selectorI12hip_bfloat16lEEZNS1_25segmented_radix_sort_implIS3_Lb1EPKS5_PS5_PKlPlN2at6native12_GLOBAL__N_18offset_tEEE10hipError_tPvRmT1_PNSt15iterator_traitsISL_E10value_typeET2_T3_PNSM_ISR_E10value_typeET4_jRbjT5_SX_jjP12ihipStream_tbEUlT_E2_NS1_11comp_targetILNS1_3genE3ELNS1_11target_archE908ELNS1_3gpuE7ELNS1_3repE0EEENS1_30default_config_static_selectorELNS0_4arch9wavefront6targetE0EEEvSL_: ; @_ZN7rocprim17ROCPRIM_400000_NS6detail17trampoline_kernelINS0_14default_configENS1_36segmented_radix_sort_config_selectorI12hip_bfloat16lEEZNS1_25segmented_radix_sort_implIS3_Lb1EPKS5_PS5_PKlPlN2at6native12_GLOBAL__N_18offset_tEEE10hipError_tPvRmT1_PNSt15iterator_traitsISL_E10value_typeET2_T3_PNSM_ISR_E10value_typeET4_jRbjT5_SX_jjP12ihipStream_tbEUlT_E2_NS1_11comp_targetILNS1_3genE3ELNS1_11target_archE908ELNS1_3gpuE7ELNS1_3repE0EEENS1_30default_config_static_selectorELNS0_4arch9wavefront6targetE0EEEvSL_
; %bb.0:
	.section	.rodata,"a",@progbits
	.p2align	6, 0x0
	.amdhsa_kernel _ZN7rocprim17ROCPRIM_400000_NS6detail17trampoline_kernelINS0_14default_configENS1_36segmented_radix_sort_config_selectorI12hip_bfloat16lEEZNS1_25segmented_radix_sort_implIS3_Lb1EPKS5_PS5_PKlPlN2at6native12_GLOBAL__N_18offset_tEEE10hipError_tPvRmT1_PNSt15iterator_traitsISL_E10value_typeET2_T3_PNSM_ISR_E10value_typeET4_jRbjT5_SX_jjP12ihipStream_tbEUlT_E2_NS1_11comp_targetILNS1_3genE3ELNS1_11target_archE908ELNS1_3gpuE7ELNS1_3repE0EEENS1_30default_config_static_selectorELNS0_4arch9wavefront6targetE0EEEvSL_
		.amdhsa_group_segment_fixed_size 0
		.amdhsa_private_segment_fixed_size 0
		.amdhsa_kernarg_size 80
		.amdhsa_user_sgpr_count 15
		.amdhsa_user_sgpr_dispatch_ptr 0
		.amdhsa_user_sgpr_queue_ptr 0
		.amdhsa_user_sgpr_kernarg_segment_ptr 1
		.amdhsa_user_sgpr_dispatch_id 0
		.amdhsa_user_sgpr_private_segment_size 0
		.amdhsa_wavefront_size32 1
		.amdhsa_uses_dynamic_stack 0
		.amdhsa_enable_private_segment 0
		.amdhsa_system_sgpr_workgroup_id_x 1
		.amdhsa_system_sgpr_workgroup_id_y 0
		.amdhsa_system_sgpr_workgroup_id_z 0
		.amdhsa_system_sgpr_workgroup_info 0
		.amdhsa_system_vgpr_workitem_id 0
		.amdhsa_next_free_vgpr 1
		.amdhsa_next_free_sgpr 1
		.amdhsa_reserve_vcc 0
		.amdhsa_float_round_mode_32 0
		.amdhsa_float_round_mode_16_64 0
		.amdhsa_float_denorm_mode_32 3
		.amdhsa_float_denorm_mode_16_64 3
		.amdhsa_dx10_clamp 1
		.amdhsa_ieee_mode 1
		.amdhsa_fp16_overflow 0
		.amdhsa_workgroup_processor_mode 1
		.amdhsa_memory_ordered 1
		.amdhsa_forward_progress 0
		.amdhsa_shared_vgpr_count 0
		.amdhsa_exception_fp_ieee_invalid_op 0
		.amdhsa_exception_fp_denorm_src 0
		.amdhsa_exception_fp_ieee_div_zero 0
		.amdhsa_exception_fp_ieee_overflow 0
		.amdhsa_exception_fp_ieee_underflow 0
		.amdhsa_exception_fp_ieee_inexact 0
		.amdhsa_exception_int_div_zero 0
	.end_amdhsa_kernel
	.section	.text._ZN7rocprim17ROCPRIM_400000_NS6detail17trampoline_kernelINS0_14default_configENS1_36segmented_radix_sort_config_selectorI12hip_bfloat16lEEZNS1_25segmented_radix_sort_implIS3_Lb1EPKS5_PS5_PKlPlN2at6native12_GLOBAL__N_18offset_tEEE10hipError_tPvRmT1_PNSt15iterator_traitsISL_E10value_typeET2_T3_PNSM_ISR_E10value_typeET4_jRbjT5_SX_jjP12ihipStream_tbEUlT_E2_NS1_11comp_targetILNS1_3genE3ELNS1_11target_archE908ELNS1_3gpuE7ELNS1_3repE0EEENS1_30default_config_static_selectorELNS0_4arch9wavefront6targetE0EEEvSL_,"axG",@progbits,_ZN7rocprim17ROCPRIM_400000_NS6detail17trampoline_kernelINS0_14default_configENS1_36segmented_radix_sort_config_selectorI12hip_bfloat16lEEZNS1_25segmented_radix_sort_implIS3_Lb1EPKS5_PS5_PKlPlN2at6native12_GLOBAL__N_18offset_tEEE10hipError_tPvRmT1_PNSt15iterator_traitsISL_E10value_typeET2_T3_PNSM_ISR_E10value_typeET4_jRbjT5_SX_jjP12ihipStream_tbEUlT_E2_NS1_11comp_targetILNS1_3genE3ELNS1_11target_archE908ELNS1_3gpuE7ELNS1_3repE0EEENS1_30default_config_static_selectorELNS0_4arch9wavefront6targetE0EEEvSL_,comdat
.Lfunc_end1979:
	.size	_ZN7rocprim17ROCPRIM_400000_NS6detail17trampoline_kernelINS0_14default_configENS1_36segmented_radix_sort_config_selectorI12hip_bfloat16lEEZNS1_25segmented_radix_sort_implIS3_Lb1EPKS5_PS5_PKlPlN2at6native12_GLOBAL__N_18offset_tEEE10hipError_tPvRmT1_PNSt15iterator_traitsISL_E10value_typeET2_T3_PNSM_ISR_E10value_typeET4_jRbjT5_SX_jjP12ihipStream_tbEUlT_E2_NS1_11comp_targetILNS1_3genE3ELNS1_11target_archE908ELNS1_3gpuE7ELNS1_3repE0EEENS1_30default_config_static_selectorELNS0_4arch9wavefront6targetE0EEEvSL_, .Lfunc_end1979-_ZN7rocprim17ROCPRIM_400000_NS6detail17trampoline_kernelINS0_14default_configENS1_36segmented_radix_sort_config_selectorI12hip_bfloat16lEEZNS1_25segmented_radix_sort_implIS3_Lb1EPKS5_PS5_PKlPlN2at6native12_GLOBAL__N_18offset_tEEE10hipError_tPvRmT1_PNSt15iterator_traitsISL_E10value_typeET2_T3_PNSM_ISR_E10value_typeET4_jRbjT5_SX_jjP12ihipStream_tbEUlT_E2_NS1_11comp_targetILNS1_3genE3ELNS1_11target_archE908ELNS1_3gpuE7ELNS1_3repE0EEENS1_30default_config_static_selectorELNS0_4arch9wavefront6targetE0EEEvSL_
                                        ; -- End function
	.section	.AMDGPU.csdata,"",@progbits
; Kernel info:
; codeLenInByte = 0
; NumSgprs: 0
; NumVgprs: 0
; ScratchSize: 0
; MemoryBound: 0
; FloatMode: 240
; IeeeMode: 1
; LDSByteSize: 0 bytes/workgroup (compile time only)
; SGPRBlocks: 0
; VGPRBlocks: 0
; NumSGPRsForWavesPerEU: 1
; NumVGPRsForWavesPerEU: 1
; Occupancy: 16
; WaveLimiterHint : 0
; COMPUTE_PGM_RSRC2:SCRATCH_EN: 0
; COMPUTE_PGM_RSRC2:USER_SGPR: 15
; COMPUTE_PGM_RSRC2:TRAP_HANDLER: 0
; COMPUTE_PGM_RSRC2:TGID_X_EN: 1
; COMPUTE_PGM_RSRC2:TGID_Y_EN: 0
; COMPUTE_PGM_RSRC2:TGID_Z_EN: 0
; COMPUTE_PGM_RSRC2:TIDIG_COMP_CNT: 0
	.section	.text._ZN7rocprim17ROCPRIM_400000_NS6detail17trampoline_kernelINS0_14default_configENS1_36segmented_radix_sort_config_selectorI12hip_bfloat16lEEZNS1_25segmented_radix_sort_implIS3_Lb1EPKS5_PS5_PKlPlN2at6native12_GLOBAL__N_18offset_tEEE10hipError_tPvRmT1_PNSt15iterator_traitsISL_E10value_typeET2_T3_PNSM_ISR_E10value_typeET4_jRbjT5_SX_jjP12ihipStream_tbEUlT_E2_NS1_11comp_targetILNS1_3genE2ELNS1_11target_archE906ELNS1_3gpuE6ELNS1_3repE0EEENS1_30default_config_static_selectorELNS0_4arch9wavefront6targetE0EEEvSL_,"axG",@progbits,_ZN7rocprim17ROCPRIM_400000_NS6detail17trampoline_kernelINS0_14default_configENS1_36segmented_radix_sort_config_selectorI12hip_bfloat16lEEZNS1_25segmented_radix_sort_implIS3_Lb1EPKS5_PS5_PKlPlN2at6native12_GLOBAL__N_18offset_tEEE10hipError_tPvRmT1_PNSt15iterator_traitsISL_E10value_typeET2_T3_PNSM_ISR_E10value_typeET4_jRbjT5_SX_jjP12ihipStream_tbEUlT_E2_NS1_11comp_targetILNS1_3genE2ELNS1_11target_archE906ELNS1_3gpuE6ELNS1_3repE0EEENS1_30default_config_static_selectorELNS0_4arch9wavefront6targetE0EEEvSL_,comdat
	.globl	_ZN7rocprim17ROCPRIM_400000_NS6detail17trampoline_kernelINS0_14default_configENS1_36segmented_radix_sort_config_selectorI12hip_bfloat16lEEZNS1_25segmented_radix_sort_implIS3_Lb1EPKS5_PS5_PKlPlN2at6native12_GLOBAL__N_18offset_tEEE10hipError_tPvRmT1_PNSt15iterator_traitsISL_E10value_typeET2_T3_PNSM_ISR_E10value_typeET4_jRbjT5_SX_jjP12ihipStream_tbEUlT_E2_NS1_11comp_targetILNS1_3genE2ELNS1_11target_archE906ELNS1_3gpuE6ELNS1_3repE0EEENS1_30default_config_static_selectorELNS0_4arch9wavefront6targetE0EEEvSL_ ; -- Begin function _ZN7rocprim17ROCPRIM_400000_NS6detail17trampoline_kernelINS0_14default_configENS1_36segmented_radix_sort_config_selectorI12hip_bfloat16lEEZNS1_25segmented_radix_sort_implIS3_Lb1EPKS5_PS5_PKlPlN2at6native12_GLOBAL__N_18offset_tEEE10hipError_tPvRmT1_PNSt15iterator_traitsISL_E10value_typeET2_T3_PNSM_ISR_E10value_typeET4_jRbjT5_SX_jjP12ihipStream_tbEUlT_E2_NS1_11comp_targetILNS1_3genE2ELNS1_11target_archE906ELNS1_3gpuE6ELNS1_3repE0EEENS1_30default_config_static_selectorELNS0_4arch9wavefront6targetE0EEEvSL_
	.p2align	8
	.type	_ZN7rocprim17ROCPRIM_400000_NS6detail17trampoline_kernelINS0_14default_configENS1_36segmented_radix_sort_config_selectorI12hip_bfloat16lEEZNS1_25segmented_radix_sort_implIS3_Lb1EPKS5_PS5_PKlPlN2at6native12_GLOBAL__N_18offset_tEEE10hipError_tPvRmT1_PNSt15iterator_traitsISL_E10value_typeET2_T3_PNSM_ISR_E10value_typeET4_jRbjT5_SX_jjP12ihipStream_tbEUlT_E2_NS1_11comp_targetILNS1_3genE2ELNS1_11target_archE906ELNS1_3gpuE6ELNS1_3repE0EEENS1_30default_config_static_selectorELNS0_4arch9wavefront6targetE0EEEvSL_,@function
_ZN7rocprim17ROCPRIM_400000_NS6detail17trampoline_kernelINS0_14default_configENS1_36segmented_radix_sort_config_selectorI12hip_bfloat16lEEZNS1_25segmented_radix_sort_implIS3_Lb1EPKS5_PS5_PKlPlN2at6native12_GLOBAL__N_18offset_tEEE10hipError_tPvRmT1_PNSt15iterator_traitsISL_E10value_typeET2_T3_PNSM_ISR_E10value_typeET4_jRbjT5_SX_jjP12ihipStream_tbEUlT_E2_NS1_11comp_targetILNS1_3genE2ELNS1_11target_archE906ELNS1_3gpuE6ELNS1_3repE0EEENS1_30default_config_static_selectorELNS0_4arch9wavefront6targetE0EEEvSL_: ; @_ZN7rocprim17ROCPRIM_400000_NS6detail17trampoline_kernelINS0_14default_configENS1_36segmented_radix_sort_config_selectorI12hip_bfloat16lEEZNS1_25segmented_radix_sort_implIS3_Lb1EPKS5_PS5_PKlPlN2at6native12_GLOBAL__N_18offset_tEEE10hipError_tPvRmT1_PNSt15iterator_traitsISL_E10value_typeET2_T3_PNSM_ISR_E10value_typeET4_jRbjT5_SX_jjP12ihipStream_tbEUlT_E2_NS1_11comp_targetILNS1_3genE2ELNS1_11target_archE906ELNS1_3gpuE6ELNS1_3repE0EEENS1_30default_config_static_selectorELNS0_4arch9wavefront6targetE0EEEvSL_
; %bb.0:
	.section	.rodata,"a",@progbits
	.p2align	6, 0x0
	.amdhsa_kernel _ZN7rocprim17ROCPRIM_400000_NS6detail17trampoline_kernelINS0_14default_configENS1_36segmented_radix_sort_config_selectorI12hip_bfloat16lEEZNS1_25segmented_radix_sort_implIS3_Lb1EPKS5_PS5_PKlPlN2at6native12_GLOBAL__N_18offset_tEEE10hipError_tPvRmT1_PNSt15iterator_traitsISL_E10value_typeET2_T3_PNSM_ISR_E10value_typeET4_jRbjT5_SX_jjP12ihipStream_tbEUlT_E2_NS1_11comp_targetILNS1_3genE2ELNS1_11target_archE906ELNS1_3gpuE6ELNS1_3repE0EEENS1_30default_config_static_selectorELNS0_4arch9wavefront6targetE0EEEvSL_
		.amdhsa_group_segment_fixed_size 0
		.amdhsa_private_segment_fixed_size 0
		.amdhsa_kernarg_size 80
		.amdhsa_user_sgpr_count 15
		.amdhsa_user_sgpr_dispatch_ptr 0
		.amdhsa_user_sgpr_queue_ptr 0
		.amdhsa_user_sgpr_kernarg_segment_ptr 1
		.amdhsa_user_sgpr_dispatch_id 0
		.amdhsa_user_sgpr_private_segment_size 0
		.amdhsa_wavefront_size32 1
		.amdhsa_uses_dynamic_stack 0
		.amdhsa_enable_private_segment 0
		.amdhsa_system_sgpr_workgroup_id_x 1
		.amdhsa_system_sgpr_workgroup_id_y 0
		.amdhsa_system_sgpr_workgroup_id_z 0
		.amdhsa_system_sgpr_workgroup_info 0
		.amdhsa_system_vgpr_workitem_id 0
		.amdhsa_next_free_vgpr 1
		.amdhsa_next_free_sgpr 1
		.amdhsa_reserve_vcc 0
		.amdhsa_float_round_mode_32 0
		.amdhsa_float_round_mode_16_64 0
		.amdhsa_float_denorm_mode_32 3
		.amdhsa_float_denorm_mode_16_64 3
		.amdhsa_dx10_clamp 1
		.amdhsa_ieee_mode 1
		.amdhsa_fp16_overflow 0
		.amdhsa_workgroup_processor_mode 1
		.amdhsa_memory_ordered 1
		.amdhsa_forward_progress 0
		.amdhsa_shared_vgpr_count 0
		.amdhsa_exception_fp_ieee_invalid_op 0
		.amdhsa_exception_fp_denorm_src 0
		.amdhsa_exception_fp_ieee_div_zero 0
		.amdhsa_exception_fp_ieee_overflow 0
		.amdhsa_exception_fp_ieee_underflow 0
		.amdhsa_exception_fp_ieee_inexact 0
		.amdhsa_exception_int_div_zero 0
	.end_amdhsa_kernel
	.section	.text._ZN7rocprim17ROCPRIM_400000_NS6detail17trampoline_kernelINS0_14default_configENS1_36segmented_radix_sort_config_selectorI12hip_bfloat16lEEZNS1_25segmented_radix_sort_implIS3_Lb1EPKS5_PS5_PKlPlN2at6native12_GLOBAL__N_18offset_tEEE10hipError_tPvRmT1_PNSt15iterator_traitsISL_E10value_typeET2_T3_PNSM_ISR_E10value_typeET4_jRbjT5_SX_jjP12ihipStream_tbEUlT_E2_NS1_11comp_targetILNS1_3genE2ELNS1_11target_archE906ELNS1_3gpuE6ELNS1_3repE0EEENS1_30default_config_static_selectorELNS0_4arch9wavefront6targetE0EEEvSL_,"axG",@progbits,_ZN7rocprim17ROCPRIM_400000_NS6detail17trampoline_kernelINS0_14default_configENS1_36segmented_radix_sort_config_selectorI12hip_bfloat16lEEZNS1_25segmented_radix_sort_implIS3_Lb1EPKS5_PS5_PKlPlN2at6native12_GLOBAL__N_18offset_tEEE10hipError_tPvRmT1_PNSt15iterator_traitsISL_E10value_typeET2_T3_PNSM_ISR_E10value_typeET4_jRbjT5_SX_jjP12ihipStream_tbEUlT_E2_NS1_11comp_targetILNS1_3genE2ELNS1_11target_archE906ELNS1_3gpuE6ELNS1_3repE0EEENS1_30default_config_static_selectorELNS0_4arch9wavefront6targetE0EEEvSL_,comdat
.Lfunc_end1980:
	.size	_ZN7rocprim17ROCPRIM_400000_NS6detail17trampoline_kernelINS0_14default_configENS1_36segmented_radix_sort_config_selectorI12hip_bfloat16lEEZNS1_25segmented_radix_sort_implIS3_Lb1EPKS5_PS5_PKlPlN2at6native12_GLOBAL__N_18offset_tEEE10hipError_tPvRmT1_PNSt15iterator_traitsISL_E10value_typeET2_T3_PNSM_ISR_E10value_typeET4_jRbjT5_SX_jjP12ihipStream_tbEUlT_E2_NS1_11comp_targetILNS1_3genE2ELNS1_11target_archE906ELNS1_3gpuE6ELNS1_3repE0EEENS1_30default_config_static_selectorELNS0_4arch9wavefront6targetE0EEEvSL_, .Lfunc_end1980-_ZN7rocprim17ROCPRIM_400000_NS6detail17trampoline_kernelINS0_14default_configENS1_36segmented_radix_sort_config_selectorI12hip_bfloat16lEEZNS1_25segmented_radix_sort_implIS3_Lb1EPKS5_PS5_PKlPlN2at6native12_GLOBAL__N_18offset_tEEE10hipError_tPvRmT1_PNSt15iterator_traitsISL_E10value_typeET2_T3_PNSM_ISR_E10value_typeET4_jRbjT5_SX_jjP12ihipStream_tbEUlT_E2_NS1_11comp_targetILNS1_3genE2ELNS1_11target_archE906ELNS1_3gpuE6ELNS1_3repE0EEENS1_30default_config_static_selectorELNS0_4arch9wavefront6targetE0EEEvSL_
                                        ; -- End function
	.section	.AMDGPU.csdata,"",@progbits
; Kernel info:
; codeLenInByte = 0
; NumSgprs: 0
; NumVgprs: 0
; ScratchSize: 0
; MemoryBound: 0
; FloatMode: 240
; IeeeMode: 1
; LDSByteSize: 0 bytes/workgroup (compile time only)
; SGPRBlocks: 0
; VGPRBlocks: 0
; NumSGPRsForWavesPerEU: 1
; NumVGPRsForWavesPerEU: 1
; Occupancy: 16
; WaveLimiterHint : 0
; COMPUTE_PGM_RSRC2:SCRATCH_EN: 0
; COMPUTE_PGM_RSRC2:USER_SGPR: 15
; COMPUTE_PGM_RSRC2:TRAP_HANDLER: 0
; COMPUTE_PGM_RSRC2:TGID_X_EN: 1
; COMPUTE_PGM_RSRC2:TGID_Y_EN: 0
; COMPUTE_PGM_RSRC2:TGID_Z_EN: 0
; COMPUTE_PGM_RSRC2:TIDIG_COMP_CNT: 0
	.section	.text._ZN7rocprim17ROCPRIM_400000_NS6detail17trampoline_kernelINS0_14default_configENS1_36segmented_radix_sort_config_selectorI12hip_bfloat16lEEZNS1_25segmented_radix_sort_implIS3_Lb1EPKS5_PS5_PKlPlN2at6native12_GLOBAL__N_18offset_tEEE10hipError_tPvRmT1_PNSt15iterator_traitsISL_E10value_typeET2_T3_PNSM_ISR_E10value_typeET4_jRbjT5_SX_jjP12ihipStream_tbEUlT_E2_NS1_11comp_targetILNS1_3genE10ELNS1_11target_archE1201ELNS1_3gpuE5ELNS1_3repE0EEENS1_30default_config_static_selectorELNS0_4arch9wavefront6targetE0EEEvSL_,"axG",@progbits,_ZN7rocprim17ROCPRIM_400000_NS6detail17trampoline_kernelINS0_14default_configENS1_36segmented_radix_sort_config_selectorI12hip_bfloat16lEEZNS1_25segmented_radix_sort_implIS3_Lb1EPKS5_PS5_PKlPlN2at6native12_GLOBAL__N_18offset_tEEE10hipError_tPvRmT1_PNSt15iterator_traitsISL_E10value_typeET2_T3_PNSM_ISR_E10value_typeET4_jRbjT5_SX_jjP12ihipStream_tbEUlT_E2_NS1_11comp_targetILNS1_3genE10ELNS1_11target_archE1201ELNS1_3gpuE5ELNS1_3repE0EEENS1_30default_config_static_selectorELNS0_4arch9wavefront6targetE0EEEvSL_,comdat
	.globl	_ZN7rocprim17ROCPRIM_400000_NS6detail17trampoline_kernelINS0_14default_configENS1_36segmented_radix_sort_config_selectorI12hip_bfloat16lEEZNS1_25segmented_radix_sort_implIS3_Lb1EPKS5_PS5_PKlPlN2at6native12_GLOBAL__N_18offset_tEEE10hipError_tPvRmT1_PNSt15iterator_traitsISL_E10value_typeET2_T3_PNSM_ISR_E10value_typeET4_jRbjT5_SX_jjP12ihipStream_tbEUlT_E2_NS1_11comp_targetILNS1_3genE10ELNS1_11target_archE1201ELNS1_3gpuE5ELNS1_3repE0EEENS1_30default_config_static_selectorELNS0_4arch9wavefront6targetE0EEEvSL_ ; -- Begin function _ZN7rocprim17ROCPRIM_400000_NS6detail17trampoline_kernelINS0_14default_configENS1_36segmented_radix_sort_config_selectorI12hip_bfloat16lEEZNS1_25segmented_radix_sort_implIS3_Lb1EPKS5_PS5_PKlPlN2at6native12_GLOBAL__N_18offset_tEEE10hipError_tPvRmT1_PNSt15iterator_traitsISL_E10value_typeET2_T3_PNSM_ISR_E10value_typeET4_jRbjT5_SX_jjP12ihipStream_tbEUlT_E2_NS1_11comp_targetILNS1_3genE10ELNS1_11target_archE1201ELNS1_3gpuE5ELNS1_3repE0EEENS1_30default_config_static_selectorELNS0_4arch9wavefront6targetE0EEEvSL_
	.p2align	8
	.type	_ZN7rocprim17ROCPRIM_400000_NS6detail17trampoline_kernelINS0_14default_configENS1_36segmented_radix_sort_config_selectorI12hip_bfloat16lEEZNS1_25segmented_radix_sort_implIS3_Lb1EPKS5_PS5_PKlPlN2at6native12_GLOBAL__N_18offset_tEEE10hipError_tPvRmT1_PNSt15iterator_traitsISL_E10value_typeET2_T3_PNSM_ISR_E10value_typeET4_jRbjT5_SX_jjP12ihipStream_tbEUlT_E2_NS1_11comp_targetILNS1_3genE10ELNS1_11target_archE1201ELNS1_3gpuE5ELNS1_3repE0EEENS1_30default_config_static_selectorELNS0_4arch9wavefront6targetE0EEEvSL_,@function
_ZN7rocprim17ROCPRIM_400000_NS6detail17trampoline_kernelINS0_14default_configENS1_36segmented_radix_sort_config_selectorI12hip_bfloat16lEEZNS1_25segmented_radix_sort_implIS3_Lb1EPKS5_PS5_PKlPlN2at6native12_GLOBAL__N_18offset_tEEE10hipError_tPvRmT1_PNSt15iterator_traitsISL_E10value_typeET2_T3_PNSM_ISR_E10value_typeET4_jRbjT5_SX_jjP12ihipStream_tbEUlT_E2_NS1_11comp_targetILNS1_3genE10ELNS1_11target_archE1201ELNS1_3gpuE5ELNS1_3repE0EEENS1_30default_config_static_selectorELNS0_4arch9wavefront6targetE0EEEvSL_: ; @_ZN7rocprim17ROCPRIM_400000_NS6detail17trampoline_kernelINS0_14default_configENS1_36segmented_radix_sort_config_selectorI12hip_bfloat16lEEZNS1_25segmented_radix_sort_implIS3_Lb1EPKS5_PS5_PKlPlN2at6native12_GLOBAL__N_18offset_tEEE10hipError_tPvRmT1_PNSt15iterator_traitsISL_E10value_typeET2_T3_PNSM_ISR_E10value_typeET4_jRbjT5_SX_jjP12ihipStream_tbEUlT_E2_NS1_11comp_targetILNS1_3genE10ELNS1_11target_archE1201ELNS1_3gpuE5ELNS1_3repE0EEENS1_30default_config_static_selectorELNS0_4arch9wavefront6targetE0EEEvSL_
; %bb.0:
	.section	.rodata,"a",@progbits
	.p2align	6, 0x0
	.amdhsa_kernel _ZN7rocprim17ROCPRIM_400000_NS6detail17trampoline_kernelINS0_14default_configENS1_36segmented_radix_sort_config_selectorI12hip_bfloat16lEEZNS1_25segmented_radix_sort_implIS3_Lb1EPKS5_PS5_PKlPlN2at6native12_GLOBAL__N_18offset_tEEE10hipError_tPvRmT1_PNSt15iterator_traitsISL_E10value_typeET2_T3_PNSM_ISR_E10value_typeET4_jRbjT5_SX_jjP12ihipStream_tbEUlT_E2_NS1_11comp_targetILNS1_3genE10ELNS1_11target_archE1201ELNS1_3gpuE5ELNS1_3repE0EEENS1_30default_config_static_selectorELNS0_4arch9wavefront6targetE0EEEvSL_
		.amdhsa_group_segment_fixed_size 0
		.amdhsa_private_segment_fixed_size 0
		.amdhsa_kernarg_size 80
		.amdhsa_user_sgpr_count 15
		.amdhsa_user_sgpr_dispatch_ptr 0
		.amdhsa_user_sgpr_queue_ptr 0
		.amdhsa_user_sgpr_kernarg_segment_ptr 1
		.amdhsa_user_sgpr_dispatch_id 0
		.amdhsa_user_sgpr_private_segment_size 0
		.amdhsa_wavefront_size32 1
		.amdhsa_uses_dynamic_stack 0
		.amdhsa_enable_private_segment 0
		.amdhsa_system_sgpr_workgroup_id_x 1
		.amdhsa_system_sgpr_workgroup_id_y 0
		.amdhsa_system_sgpr_workgroup_id_z 0
		.amdhsa_system_sgpr_workgroup_info 0
		.amdhsa_system_vgpr_workitem_id 0
		.amdhsa_next_free_vgpr 1
		.amdhsa_next_free_sgpr 1
		.amdhsa_reserve_vcc 0
		.amdhsa_float_round_mode_32 0
		.amdhsa_float_round_mode_16_64 0
		.amdhsa_float_denorm_mode_32 3
		.amdhsa_float_denorm_mode_16_64 3
		.amdhsa_dx10_clamp 1
		.amdhsa_ieee_mode 1
		.amdhsa_fp16_overflow 0
		.amdhsa_workgroup_processor_mode 1
		.amdhsa_memory_ordered 1
		.amdhsa_forward_progress 0
		.amdhsa_shared_vgpr_count 0
		.amdhsa_exception_fp_ieee_invalid_op 0
		.amdhsa_exception_fp_denorm_src 0
		.amdhsa_exception_fp_ieee_div_zero 0
		.amdhsa_exception_fp_ieee_overflow 0
		.amdhsa_exception_fp_ieee_underflow 0
		.amdhsa_exception_fp_ieee_inexact 0
		.amdhsa_exception_int_div_zero 0
	.end_amdhsa_kernel
	.section	.text._ZN7rocprim17ROCPRIM_400000_NS6detail17trampoline_kernelINS0_14default_configENS1_36segmented_radix_sort_config_selectorI12hip_bfloat16lEEZNS1_25segmented_radix_sort_implIS3_Lb1EPKS5_PS5_PKlPlN2at6native12_GLOBAL__N_18offset_tEEE10hipError_tPvRmT1_PNSt15iterator_traitsISL_E10value_typeET2_T3_PNSM_ISR_E10value_typeET4_jRbjT5_SX_jjP12ihipStream_tbEUlT_E2_NS1_11comp_targetILNS1_3genE10ELNS1_11target_archE1201ELNS1_3gpuE5ELNS1_3repE0EEENS1_30default_config_static_selectorELNS0_4arch9wavefront6targetE0EEEvSL_,"axG",@progbits,_ZN7rocprim17ROCPRIM_400000_NS6detail17trampoline_kernelINS0_14default_configENS1_36segmented_radix_sort_config_selectorI12hip_bfloat16lEEZNS1_25segmented_radix_sort_implIS3_Lb1EPKS5_PS5_PKlPlN2at6native12_GLOBAL__N_18offset_tEEE10hipError_tPvRmT1_PNSt15iterator_traitsISL_E10value_typeET2_T3_PNSM_ISR_E10value_typeET4_jRbjT5_SX_jjP12ihipStream_tbEUlT_E2_NS1_11comp_targetILNS1_3genE10ELNS1_11target_archE1201ELNS1_3gpuE5ELNS1_3repE0EEENS1_30default_config_static_selectorELNS0_4arch9wavefront6targetE0EEEvSL_,comdat
.Lfunc_end1981:
	.size	_ZN7rocprim17ROCPRIM_400000_NS6detail17trampoline_kernelINS0_14default_configENS1_36segmented_radix_sort_config_selectorI12hip_bfloat16lEEZNS1_25segmented_radix_sort_implIS3_Lb1EPKS5_PS5_PKlPlN2at6native12_GLOBAL__N_18offset_tEEE10hipError_tPvRmT1_PNSt15iterator_traitsISL_E10value_typeET2_T3_PNSM_ISR_E10value_typeET4_jRbjT5_SX_jjP12ihipStream_tbEUlT_E2_NS1_11comp_targetILNS1_3genE10ELNS1_11target_archE1201ELNS1_3gpuE5ELNS1_3repE0EEENS1_30default_config_static_selectorELNS0_4arch9wavefront6targetE0EEEvSL_, .Lfunc_end1981-_ZN7rocprim17ROCPRIM_400000_NS6detail17trampoline_kernelINS0_14default_configENS1_36segmented_radix_sort_config_selectorI12hip_bfloat16lEEZNS1_25segmented_radix_sort_implIS3_Lb1EPKS5_PS5_PKlPlN2at6native12_GLOBAL__N_18offset_tEEE10hipError_tPvRmT1_PNSt15iterator_traitsISL_E10value_typeET2_T3_PNSM_ISR_E10value_typeET4_jRbjT5_SX_jjP12ihipStream_tbEUlT_E2_NS1_11comp_targetILNS1_3genE10ELNS1_11target_archE1201ELNS1_3gpuE5ELNS1_3repE0EEENS1_30default_config_static_selectorELNS0_4arch9wavefront6targetE0EEEvSL_
                                        ; -- End function
	.section	.AMDGPU.csdata,"",@progbits
; Kernel info:
; codeLenInByte = 0
; NumSgprs: 0
; NumVgprs: 0
; ScratchSize: 0
; MemoryBound: 0
; FloatMode: 240
; IeeeMode: 1
; LDSByteSize: 0 bytes/workgroup (compile time only)
; SGPRBlocks: 0
; VGPRBlocks: 0
; NumSGPRsForWavesPerEU: 1
; NumVGPRsForWavesPerEU: 1
; Occupancy: 16
; WaveLimiterHint : 0
; COMPUTE_PGM_RSRC2:SCRATCH_EN: 0
; COMPUTE_PGM_RSRC2:USER_SGPR: 15
; COMPUTE_PGM_RSRC2:TRAP_HANDLER: 0
; COMPUTE_PGM_RSRC2:TGID_X_EN: 1
; COMPUTE_PGM_RSRC2:TGID_Y_EN: 0
; COMPUTE_PGM_RSRC2:TGID_Z_EN: 0
; COMPUTE_PGM_RSRC2:TIDIG_COMP_CNT: 0
	.section	.text._ZN7rocprim17ROCPRIM_400000_NS6detail17trampoline_kernelINS0_14default_configENS1_36segmented_radix_sort_config_selectorI12hip_bfloat16lEEZNS1_25segmented_radix_sort_implIS3_Lb1EPKS5_PS5_PKlPlN2at6native12_GLOBAL__N_18offset_tEEE10hipError_tPvRmT1_PNSt15iterator_traitsISL_E10value_typeET2_T3_PNSM_ISR_E10value_typeET4_jRbjT5_SX_jjP12ihipStream_tbEUlT_E2_NS1_11comp_targetILNS1_3genE10ELNS1_11target_archE1200ELNS1_3gpuE4ELNS1_3repE0EEENS1_30default_config_static_selectorELNS0_4arch9wavefront6targetE0EEEvSL_,"axG",@progbits,_ZN7rocprim17ROCPRIM_400000_NS6detail17trampoline_kernelINS0_14default_configENS1_36segmented_radix_sort_config_selectorI12hip_bfloat16lEEZNS1_25segmented_radix_sort_implIS3_Lb1EPKS5_PS5_PKlPlN2at6native12_GLOBAL__N_18offset_tEEE10hipError_tPvRmT1_PNSt15iterator_traitsISL_E10value_typeET2_T3_PNSM_ISR_E10value_typeET4_jRbjT5_SX_jjP12ihipStream_tbEUlT_E2_NS1_11comp_targetILNS1_3genE10ELNS1_11target_archE1200ELNS1_3gpuE4ELNS1_3repE0EEENS1_30default_config_static_selectorELNS0_4arch9wavefront6targetE0EEEvSL_,comdat
	.globl	_ZN7rocprim17ROCPRIM_400000_NS6detail17trampoline_kernelINS0_14default_configENS1_36segmented_radix_sort_config_selectorI12hip_bfloat16lEEZNS1_25segmented_radix_sort_implIS3_Lb1EPKS5_PS5_PKlPlN2at6native12_GLOBAL__N_18offset_tEEE10hipError_tPvRmT1_PNSt15iterator_traitsISL_E10value_typeET2_T3_PNSM_ISR_E10value_typeET4_jRbjT5_SX_jjP12ihipStream_tbEUlT_E2_NS1_11comp_targetILNS1_3genE10ELNS1_11target_archE1200ELNS1_3gpuE4ELNS1_3repE0EEENS1_30default_config_static_selectorELNS0_4arch9wavefront6targetE0EEEvSL_ ; -- Begin function _ZN7rocprim17ROCPRIM_400000_NS6detail17trampoline_kernelINS0_14default_configENS1_36segmented_radix_sort_config_selectorI12hip_bfloat16lEEZNS1_25segmented_radix_sort_implIS3_Lb1EPKS5_PS5_PKlPlN2at6native12_GLOBAL__N_18offset_tEEE10hipError_tPvRmT1_PNSt15iterator_traitsISL_E10value_typeET2_T3_PNSM_ISR_E10value_typeET4_jRbjT5_SX_jjP12ihipStream_tbEUlT_E2_NS1_11comp_targetILNS1_3genE10ELNS1_11target_archE1200ELNS1_3gpuE4ELNS1_3repE0EEENS1_30default_config_static_selectorELNS0_4arch9wavefront6targetE0EEEvSL_
	.p2align	8
	.type	_ZN7rocprim17ROCPRIM_400000_NS6detail17trampoline_kernelINS0_14default_configENS1_36segmented_radix_sort_config_selectorI12hip_bfloat16lEEZNS1_25segmented_radix_sort_implIS3_Lb1EPKS5_PS5_PKlPlN2at6native12_GLOBAL__N_18offset_tEEE10hipError_tPvRmT1_PNSt15iterator_traitsISL_E10value_typeET2_T3_PNSM_ISR_E10value_typeET4_jRbjT5_SX_jjP12ihipStream_tbEUlT_E2_NS1_11comp_targetILNS1_3genE10ELNS1_11target_archE1200ELNS1_3gpuE4ELNS1_3repE0EEENS1_30default_config_static_selectorELNS0_4arch9wavefront6targetE0EEEvSL_,@function
_ZN7rocprim17ROCPRIM_400000_NS6detail17trampoline_kernelINS0_14default_configENS1_36segmented_radix_sort_config_selectorI12hip_bfloat16lEEZNS1_25segmented_radix_sort_implIS3_Lb1EPKS5_PS5_PKlPlN2at6native12_GLOBAL__N_18offset_tEEE10hipError_tPvRmT1_PNSt15iterator_traitsISL_E10value_typeET2_T3_PNSM_ISR_E10value_typeET4_jRbjT5_SX_jjP12ihipStream_tbEUlT_E2_NS1_11comp_targetILNS1_3genE10ELNS1_11target_archE1200ELNS1_3gpuE4ELNS1_3repE0EEENS1_30default_config_static_selectorELNS0_4arch9wavefront6targetE0EEEvSL_: ; @_ZN7rocprim17ROCPRIM_400000_NS6detail17trampoline_kernelINS0_14default_configENS1_36segmented_radix_sort_config_selectorI12hip_bfloat16lEEZNS1_25segmented_radix_sort_implIS3_Lb1EPKS5_PS5_PKlPlN2at6native12_GLOBAL__N_18offset_tEEE10hipError_tPvRmT1_PNSt15iterator_traitsISL_E10value_typeET2_T3_PNSM_ISR_E10value_typeET4_jRbjT5_SX_jjP12ihipStream_tbEUlT_E2_NS1_11comp_targetILNS1_3genE10ELNS1_11target_archE1200ELNS1_3gpuE4ELNS1_3repE0EEENS1_30default_config_static_selectorELNS0_4arch9wavefront6targetE0EEEvSL_
; %bb.0:
	.section	.rodata,"a",@progbits
	.p2align	6, 0x0
	.amdhsa_kernel _ZN7rocprim17ROCPRIM_400000_NS6detail17trampoline_kernelINS0_14default_configENS1_36segmented_radix_sort_config_selectorI12hip_bfloat16lEEZNS1_25segmented_radix_sort_implIS3_Lb1EPKS5_PS5_PKlPlN2at6native12_GLOBAL__N_18offset_tEEE10hipError_tPvRmT1_PNSt15iterator_traitsISL_E10value_typeET2_T3_PNSM_ISR_E10value_typeET4_jRbjT5_SX_jjP12ihipStream_tbEUlT_E2_NS1_11comp_targetILNS1_3genE10ELNS1_11target_archE1200ELNS1_3gpuE4ELNS1_3repE0EEENS1_30default_config_static_selectorELNS0_4arch9wavefront6targetE0EEEvSL_
		.amdhsa_group_segment_fixed_size 0
		.amdhsa_private_segment_fixed_size 0
		.amdhsa_kernarg_size 80
		.amdhsa_user_sgpr_count 15
		.amdhsa_user_sgpr_dispatch_ptr 0
		.amdhsa_user_sgpr_queue_ptr 0
		.amdhsa_user_sgpr_kernarg_segment_ptr 1
		.amdhsa_user_sgpr_dispatch_id 0
		.amdhsa_user_sgpr_private_segment_size 0
		.amdhsa_wavefront_size32 1
		.amdhsa_uses_dynamic_stack 0
		.amdhsa_enable_private_segment 0
		.amdhsa_system_sgpr_workgroup_id_x 1
		.amdhsa_system_sgpr_workgroup_id_y 0
		.amdhsa_system_sgpr_workgroup_id_z 0
		.amdhsa_system_sgpr_workgroup_info 0
		.amdhsa_system_vgpr_workitem_id 0
		.amdhsa_next_free_vgpr 1
		.amdhsa_next_free_sgpr 1
		.amdhsa_reserve_vcc 0
		.amdhsa_float_round_mode_32 0
		.amdhsa_float_round_mode_16_64 0
		.amdhsa_float_denorm_mode_32 3
		.amdhsa_float_denorm_mode_16_64 3
		.amdhsa_dx10_clamp 1
		.amdhsa_ieee_mode 1
		.amdhsa_fp16_overflow 0
		.amdhsa_workgroup_processor_mode 1
		.amdhsa_memory_ordered 1
		.amdhsa_forward_progress 0
		.amdhsa_shared_vgpr_count 0
		.amdhsa_exception_fp_ieee_invalid_op 0
		.amdhsa_exception_fp_denorm_src 0
		.amdhsa_exception_fp_ieee_div_zero 0
		.amdhsa_exception_fp_ieee_overflow 0
		.amdhsa_exception_fp_ieee_underflow 0
		.amdhsa_exception_fp_ieee_inexact 0
		.amdhsa_exception_int_div_zero 0
	.end_amdhsa_kernel
	.section	.text._ZN7rocprim17ROCPRIM_400000_NS6detail17trampoline_kernelINS0_14default_configENS1_36segmented_radix_sort_config_selectorI12hip_bfloat16lEEZNS1_25segmented_radix_sort_implIS3_Lb1EPKS5_PS5_PKlPlN2at6native12_GLOBAL__N_18offset_tEEE10hipError_tPvRmT1_PNSt15iterator_traitsISL_E10value_typeET2_T3_PNSM_ISR_E10value_typeET4_jRbjT5_SX_jjP12ihipStream_tbEUlT_E2_NS1_11comp_targetILNS1_3genE10ELNS1_11target_archE1200ELNS1_3gpuE4ELNS1_3repE0EEENS1_30default_config_static_selectorELNS0_4arch9wavefront6targetE0EEEvSL_,"axG",@progbits,_ZN7rocprim17ROCPRIM_400000_NS6detail17trampoline_kernelINS0_14default_configENS1_36segmented_radix_sort_config_selectorI12hip_bfloat16lEEZNS1_25segmented_radix_sort_implIS3_Lb1EPKS5_PS5_PKlPlN2at6native12_GLOBAL__N_18offset_tEEE10hipError_tPvRmT1_PNSt15iterator_traitsISL_E10value_typeET2_T3_PNSM_ISR_E10value_typeET4_jRbjT5_SX_jjP12ihipStream_tbEUlT_E2_NS1_11comp_targetILNS1_3genE10ELNS1_11target_archE1200ELNS1_3gpuE4ELNS1_3repE0EEENS1_30default_config_static_selectorELNS0_4arch9wavefront6targetE0EEEvSL_,comdat
.Lfunc_end1982:
	.size	_ZN7rocprim17ROCPRIM_400000_NS6detail17trampoline_kernelINS0_14default_configENS1_36segmented_radix_sort_config_selectorI12hip_bfloat16lEEZNS1_25segmented_radix_sort_implIS3_Lb1EPKS5_PS5_PKlPlN2at6native12_GLOBAL__N_18offset_tEEE10hipError_tPvRmT1_PNSt15iterator_traitsISL_E10value_typeET2_T3_PNSM_ISR_E10value_typeET4_jRbjT5_SX_jjP12ihipStream_tbEUlT_E2_NS1_11comp_targetILNS1_3genE10ELNS1_11target_archE1200ELNS1_3gpuE4ELNS1_3repE0EEENS1_30default_config_static_selectorELNS0_4arch9wavefront6targetE0EEEvSL_, .Lfunc_end1982-_ZN7rocprim17ROCPRIM_400000_NS6detail17trampoline_kernelINS0_14default_configENS1_36segmented_radix_sort_config_selectorI12hip_bfloat16lEEZNS1_25segmented_radix_sort_implIS3_Lb1EPKS5_PS5_PKlPlN2at6native12_GLOBAL__N_18offset_tEEE10hipError_tPvRmT1_PNSt15iterator_traitsISL_E10value_typeET2_T3_PNSM_ISR_E10value_typeET4_jRbjT5_SX_jjP12ihipStream_tbEUlT_E2_NS1_11comp_targetILNS1_3genE10ELNS1_11target_archE1200ELNS1_3gpuE4ELNS1_3repE0EEENS1_30default_config_static_selectorELNS0_4arch9wavefront6targetE0EEEvSL_
                                        ; -- End function
	.section	.AMDGPU.csdata,"",@progbits
; Kernel info:
; codeLenInByte = 0
; NumSgprs: 0
; NumVgprs: 0
; ScratchSize: 0
; MemoryBound: 0
; FloatMode: 240
; IeeeMode: 1
; LDSByteSize: 0 bytes/workgroup (compile time only)
; SGPRBlocks: 0
; VGPRBlocks: 0
; NumSGPRsForWavesPerEU: 1
; NumVGPRsForWavesPerEU: 1
; Occupancy: 16
; WaveLimiterHint : 0
; COMPUTE_PGM_RSRC2:SCRATCH_EN: 0
; COMPUTE_PGM_RSRC2:USER_SGPR: 15
; COMPUTE_PGM_RSRC2:TRAP_HANDLER: 0
; COMPUTE_PGM_RSRC2:TGID_X_EN: 1
; COMPUTE_PGM_RSRC2:TGID_Y_EN: 0
; COMPUTE_PGM_RSRC2:TGID_Z_EN: 0
; COMPUTE_PGM_RSRC2:TIDIG_COMP_CNT: 0
	.section	.text._ZN7rocprim17ROCPRIM_400000_NS6detail17trampoline_kernelINS0_14default_configENS1_36segmented_radix_sort_config_selectorI12hip_bfloat16lEEZNS1_25segmented_radix_sort_implIS3_Lb1EPKS5_PS5_PKlPlN2at6native12_GLOBAL__N_18offset_tEEE10hipError_tPvRmT1_PNSt15iterator_traitsISL_E10value_typeET2_T3_PNSM_ISR_E10value_typeET4_jRbjT5_SX_jjP12ihipStream_tbEUlT_E2_NS1_11comp_targetILNS1_3genE9ELNS1_11target_archE1100ELNS1_3gpuE3ELNS1_3repE0EEENS1_30default_config_static_selectorELNS0_4arch9wavefront6targetE0EEEvSL_,"axG",@progbits,_ZN7rocprim17ROCPRIM_400000_NS6detail17trampoline_kernelINS0_14default_configENS1_36segmented_radix_sort_config_selectorI12hip_bfloat16lEEZNS1_25segmented_radix_sort_implIS3_Lb1EPKS5_PS5_PKlPlN2at6native12_GLOBAL__N_18offset_tEEE10hipError_tPvRmT1_PNSt15iterator_traitsISL_E10value_typeET2_T3_PNSM_ISR_E10value_typeET4_jRbjT5_SX_jjP12ihipStream_tbEUlT_E2_NS1_11comp_targetILNS1_3genE9ELNS1_11target_archE1100ELNS1_3gpuE3ELNS1_3repE0EEENS1_30default_config_static_selectorELNS0_4arch9wavefront6targetE0EEEvSL_,comdat
	.globl	_ZN7rocprim17ROCPRIM_400000_NS6detail17trampoline_kernelINS0_14default_configENS1_36segmented_radix_sort_config_selectorI12hip_bfloat16lEEZNS1_25segmented_radix_sort_implIS3_Lb1EPKS5_PS5_PKlPlN2at6native12_GLOBAL__N_18offset_tEEE10hipError_tPvRmT1_PNSt15iterator_traitsISL_E10value_typeET2_T3_PNSM_ISR_E10value_typeET4_jRbjT5_SX_jjP12ihipStream_tbEUlT_E2_NS1_11comp_targetILNS1_3genE9ELNS1_11target_archE1100ELNS1_3gpuE3ELNS1_3repE0EEENS1_30default_config_static_selectorELNS0_4arch9wavefront6targetE0EEEvSL_ ; -- Begin function _ZN7rocprim17ROCPRIM_400000_NS6detail17trampoline_kernelINS0_14default_configENS1_36segmented_radix_sort_config_selectorI12hip_bfloat16lEEZNS1_25segmented_radix_sort_implIS3_Lb1EPKS5_PS5_PKlPlN2at6native12_GLOBAL__N_18offset_tEEE10hipError_tPvRmT1_PNSt15iterator_traitsISL_E10value_typeET2_T3_PNSM_ISR_E10value_typeET4_jRbjT5_SX_jjP12ihipStream_tbEUlT_E2_NS1_11comp_targetILNS1_3genE9ELNS1_11target_archE1100ELNS1_3gpuE3ELNS1_3repE0EEENS1_30default_config_static_selectorELNS0_4arch9wavefront6targetE0EEEvSL_
	.p2align	8
	.type	_ZN7rocprim17ROCPRIM_400000_NS6detail17trampoline_kernelINS0_14default_configENS1_36segmented_radix_sort_config_selectorI12hip_bfloat16lEEZNS1_25segmented_radix_sort_implIS3_Lb1EPKS5_PS5_PKlPlN2at6native12_GLOBAL__N_18offset_tEEE10hipError_tPvRmT1_PNSt15iterator_traitsISL_E10value_typeET2_T3_PNSM_ISR_E10value_typeET4_jRbjT5_SX_jjP12ihipStream_tbEUlT_E2_NS1_11comp_targetILNS1_3genE9ELNS1_11target_archE1100ELNS1_3gpuE3ELNS1_3repE0EEENS1_30default_config_static_selectorELNS0_4arch9wavefront6targetE0EEEvSL_,@function
_ZN7rocprim17ROCPRIM_400000_NS6detail17trampoline_kernelINS0_14default_configENS1_36segmented_radix_sort_config_selectorI12hip_bfloat16lEEZNS1_25segmented_radix_sort_implIS3_Lb1EPKS5_PS5_PKlPlN2at6native12_GLOBAL__N_18offset_tEEE10hipError_tPvRmT1_PNSt15iterator_traitsISL_E10value_typeET2_T3_PNSM_ISR_E10value_typeET4_jRbjT5_SX_jjP12ihipStream_tbEUlT_E2_NS1_11comp_targetILNS1_3genE9ELNS1_11target_archE1100ELNS1_3gpuE3ELNS1_3repE0EEENS1_30default_config_static_selectorELNS0_4arch9wavefront6targetE0EEEvSL_: ; @_ZN7rocprim17ROCPRIM_400000_NS6detail17trampoline_kernelINS0_14default_configENS1_36segmented_radix_sort_config_selectorI12hip_bfloat16lEEZNS1_25segmented_radix_sort_implIS3_Lb1EPKS5_PS5_PKlPlN2at6native12_GLOBAL__N_18offset_tEEE10hipError_tPvRmT1_PNSt15iterator_traitsISL_E10value_typeET2_T3_PNSM_ISR_E10value_typeET4_jRbjT5_SX_jjP12ihipStream_tbEUlT_E2_NS1_11comp_targetILNS1_3genE9ELNS1_11target_archE1100ELNS1_3gpuE3ELNS1_3repE0EEENS1_30default_config_static_selectorELNS0_4arch9wavefront6targetE0EEEvSL_
; %bb.0:
	s_load_b128 s[4:7], s[0:1], 0x34
	s_mov_b32 s32, 0
	s_waitcnt lgkmcnt(0)
	s_add_i32 s52, s5, s14
	s_add_i32 s53, s7, s14
	s_mul_i32 s52, s52, s4
	s_mul_i32 s53, s53, s6
	s_delay_alu instid0(SALU_CYCLE_1)
	s_cmp_le_u32 s53, s52
	s_cbranch_scc1 .LBB1983_1198
; %bb.1:
	s_clause 0x3
	s_load_b32 s2, s[0:1], 0x30
	s_load_b128 s[44:47], s[0:1], 0x20
	s_load_b128 s[48:51], s[0:1], 0x44
	s_load_b256 s[36:43], s[0:1], 0x0
	s_waitcnt lgkmcnt(0)
	s_bitcmp1_b32 s2, 0
	s_mov_b32 s2, -1
	s_cselect_b32 s51, -1, 0
	s_sub_i32 s54, s53, s52
	s_delay_alu instid0(SALU_CYCLE_1)
	s_cmpk_lt_u32 s54, 0x1001
	s_cbranch_scc0 .LBB1983_15
; %bb.2:
	s_cmp_lt_u32 s54, 33
	s_cbranch_scc0 .LBB1983_9
; %bb.3:
	s_load_b32 s2, s[0:1], 0x5c
	v_bfe_u32 v1, v0, 10, 10
	v_bfe_u32 v2, v0, 20, 10
	s_mov_b32 s11, exec_lo
	s_waitcnt lgkmcnt(0)
	s_lshr_b32 s3, s2, 16
	s_and_b32 s2, s2, 0xffff
	v_mad_u32_u24 v4, v2, s3, v1
	v_and_b32_e32 v1, 0x3ff, v0
	s_delay_alu instid0(VALU_DEP_1) | instskip(NEXT) | instid1(VALU_DEP_1)
	v_mad_u64_u32 v[2:3], null, v4, s2, v[1:2]
	v_cmpx_gt_u32_e32 8, v2
	s_cbranch_execz .LBB1983_8
; %bb.4:
	v_cndmask_b32_e64 v1, 0, 1, s51
	s_and_b32 s2, s48, 1
	s_delay_alu instid0(VALU_DEP_1) | instid1(SALU_CYCLE_1)
	v_cmp_ne_u32_e32 vcc_lo, s2, v1
	s_mov_b32 s2, -1
	s_cbranch_vccnz .LBB1983_6
; %bb.5:
	s_mov_b64 s[2:3], src_shared_base
	v_mov_b32_e32 v31, v0
	v_dual_mov_b32 v40, v0 :: v_dual_mov_b32 v1, s37
	v_mov_b32_e32 v0, s36
	v_dual_mov_b32 v2, s40 :: v_dual_mov_b32 v3, s41
	v_dual_mov_b32 v4, s42 :: v_dual_mov_b32 v5, s43
	;; [unrolled: 1-line block ×5, first 2 shown]
	s_add_u32 s8, s0, 0x50
	s_addc_u32 s9, s1, 0
	s_mov_b32 s12, s14
	s_mov_b32 s13, s15
	s_getpc_b64 s[4:5]
	s_add_u32 s4, s4, _ZN7rocprim17ROCPRIM_400000_NS6detail26segmented_warp_sort_helperINS1_20WarpSortHelperConfigILj8ELj4ELj256EEE12hip_bfloat16lLi256ELb1EvE4sortIPKS5_PS5_PKlPlEEvT_T0_T1_T2_jjjjRNS6_12storage_typeE@rel32@lo+4
	s_addc_u32 s5, s5, _ZN7rocprim17ROCPRIM_400000_NS6detail26segmented_warp_sort_helperINS1_20WarpSortHelperConfigILj8ELj4ELj256EEE12hip_bfloat16lLi256ELb1EvE4sortIPKS5_PS5_PKlPlEEvT_T0_T1_T2_jjjjRNS6_12storage_typeE@rel32@hi+12
	s_mov_b64 s[16:17], s[0:1]
	s_swappc_b64 s[30:31], s[4:5]
	v_mov_b32_e32 v0, v40
	s_mov_b64 s[0:1], s[16:17]
	s_mov_b32 s2, 0
.LBB1983_6:
	s_delay_alu instid0(SALU_CYCLE_1)
	s_and_not1_b32 vcc_lo, exec_lo, s2
	s_cbranch_vccnz .LBB1983_8
; %bb.7:
	s_mov_b64 s[2:3], src_shared_base
	v_mov_b32_e32 v31, v0
	v_dual_mov_b32 v40, v0 :: v_dual_mov_b32 v1, s37
	v_mov_b32_e32 v0, s36
	v_dual_mov_b32 v2, s38 :: v_dual_mov_b32 v3, s39
	v_dual_mov_b32 v4, s42 :: v_dual_mov_b32 v5, s43
	;; [unrolled: 1-line block ×5, first 2 shown]
	s_add_u32 s8, s0, 0x50
	s_addc_u32 s9, s1, 0
	s_mov_b32 s12, s14
	s_mov_b32 s13, s15
	s_getpc_b64 s[4:5]
	s_add_u32 s4, s4, _ZN7rocprim17ROCPRIM_400000_NS6detail26segmented_warp_sort_helperINS1_20WarpSortHelperConfigILj8ELj4ELj256EEE12hip_bfloat16lLi256ELb1EvE4sortIPKS5_PS5_PKlPlEEvT_T0_T1_T2_jjjjRNS6_12storage_typeE@rel32@lo+4
	s_addc_u32 s5, s5, _ZN7rocprim17ROCPRIM_400000_NS6detail26segmented_warp_sort_helperINS1_20WarpSortHelperConfigILj8ELj4ELj256EEE12hip_bfloat16lLi256ELb1EvE4sortIPKS5_PS5_PKlPlEEvT_T0_T1_T2_jjjjRNS6_12storage_typeE@rel32@hi+12
	s_mov_b64 s[16:17], s[0:1]
	s_swappc_b64 s[30:31], s[4:5]
	v_mov_b32_e32 v0, v40
	s_mov_b64 s[0:1], s[16:17]
.LBB1983_8:
	s_or_b32 exec_lo, exec_lo, s11
	s_mov_b32 s2, 0
.LBB1983_9:
	s_delay_alu instid0(SALU_CYCLE_1)
	s_and_not1_b32 vcc_lo, exec_lo, s2
	s_cbranch_vccnz .LBB1983_14
; %bb.10:
	v_cndmask_b32_e64 v1, 0, 1, s51
	s_and_b32 s2, s48, 1
	s_delay_alu instid0(VALU_DEP_1) | instid1(SALU_CYCLE_1)
	v_cmp_ne_u32_e32 vcc_lo, s2, v1
	s_mov_b32 s2, -1
	s_cbranch_vccnz .LBB1983_12
; %bb.11:
	s_mov_b64 s[2:3], src_shared_base
	v_mov_b32_e32 v31, v0
	v_dual_mov_b32 v40, v0 :: v_dual_mov_b32 v1, s37
	v_mov_b32_e32 v0, s36
	v_dual_mov_b32 v2, s40 :: v_dual_mov_b32 v3, s41
	v_dual_mov_b32 v4, s42 :: v_dual_mov_b32 v5, s43
	;; [unrolled: 1-line block ×6, first 2 shown]
	s_add_u32 s8, s0, 0x50
	s_addc_u32 s9, s1, 0
	s_mov_b32 s12, s14
	s_mov_b32 s13, s15
	s_getpc_b64 s[4:5]
	s_add_u32 s4, s4, _ZN7rocprim17ROCPRIM_400000_NS6detail40segmented_radix_sort_single_block_helperI12hip_bfloat16lLj256ELj16ELb1EE4sortIPKS3_PS3_PKlPlEEbT_T0_T1_T2_jjjjRNS4_12storage_typeE@rel32@lo+4
	s_addc_u32 s5, s5, _ZN7rocprim17ROCPRIM_400000_NS6detail40segmented_radix_sort_single_block_helperI12hip_bfloat16lLj256ELj16ELb1EE4sortIPKS3_PS3_PKlPlEEbT_T0_T1_T2_jjjjRNS4_12storage_typeE@rel32@hi+12
	s_mov_b64 s[26:27], s[0:1]
	s_mov_b32 s28, s15
	s_mov_b32 s29, s14
	s_swappc_b64 s[30:31], s[4:5]
	v_mov_b32_e32 v0, v40
	s_mov_b32 s14, s29
	s_mov_b32 s15, s28
	s_mov_b64 s[0:1], s[26:27]
	s_mov_b32 s2, 0
.LBB1983_12:
	s_delay_alu instid0(SALU_CYCLE_1)
	s_and_not1_b32 vcc_lo, exec_lo, s2
	s_cbranch_vccnz .LBB1983_14
; %bb.13:
	s_mov_b64 s[2:3], src_shared_base
	v_mov_b32_e32 v31, v0
	v_dual_mov_b32 v40, v0 :: v_dual_mov_b32 v1, s37
	v_mov_b32_e32 v0, s36
	v_dual_mov_b32 v2, s38 :: v_dual_mov_b32 v3, s39
	v_dual_mov_b32 v4, s42 :: v_dual_mov_b32 v5, s43
	;; [unrolled: 1-line block ×6, first 2 shown]
	s_add_u32 s8, s0, 0x50
	s_addc_u32 s9, s1, 0
	s_mov_b32 s12, s14
	s_mov_b32 s13, s15
	s_getpc_b64 s[4:5]
	s_add_u32 s4, s4, _ZN7rocprim17ROCPRIM_400000_NS6detail40segmented_radix_sort_single_block_helperI12hip_bfloat16lLj256ELj16ELb1EE4sortIPKS3_PS3_PKlPlEEbT_T0_T1_T2_jjjjRNS4_12storage_typeE@rel32@lo+4
	s_addc_u32 s5, s5, _ZN7rocprim17ROCPRIM_400000_NS6detail40segmented_radix_sort_single_block_helperI12hip_bfloat16lLj256ELj16ELb1EE4sortIPKS3_PS3_PKlPlEEbT_T0_T1_T2_jjjjRNS4_12storage_typeE@rel32@hi+12
	s_mov_b64 s[26:27], s[0:1]
	s_mov_b32 s29, s15
	s_mov_b32 s28, s14
	s_swappc_b64 s[30:31], s[4:5]
	v_mov_b32_e32 v0, v40
	s_mov_b32 s14, s28
	s_mov_b32 s15, s29
	s_mov_b64 s[0:1], s[26:27]
.LBB1983_14:
	s_mov_b32 s2, 0
.LBB1983_15:
	s_delay_alu instid0(SALU_CYCLE_1)
	s_and_not1_b32 vcc_lo, exec_lo, s2
	s_cbranch_vccnz .LBB1983_1198
; %bb.16:
	s_cmp_ge_u32 s49, s50
	s_cbranch_scc1 .LBB1983_1198
; %bb.17:
	v_dual_mov_b32 v94, 1 :: v_dual_and_b32 v1, 0x3ff, v0
	v_mov_b32_e32 v3, 0
	v_bfe_u32 v70, v0, 20, 10
	v_bfe_u32 v0, v0, 10, 10
	s_delay_alu instid0(VALU_DEP_4)
	v_lshlrev_b32_e32 v44, 2, v1
	v_lshrrev_b32_e32 v4, 3, v1
	v_or_b32_e32 v5, 31, v1
	v_lshlrev_b32_e32 v6, 5, v1
	v_lshlrev_b32_e32 v2, 1, v1
	v_mad_u32_u24 v64, v1, 12, v44
	v_and_b32_e32 v62, 28, v4
	v_lshlrev_b32_e32 v4, 4, v1
	v_cmp_eq_u32_e64 s3, v5, v1
	v_add_nc_u32_e32 v5, 1, v1
	v_mad_u32_u24 v69, v1, 20, v64
	v_or_b32_e32 v55, 0x800, v1
	v_and_b32_e32 v68, 0xe00, v4
	v_mul_u32_u24_e32 v4, 9, v1
	v_or_b32_e32 v56, 0x900, v1
	v_sub_nc_u32_e32 v72, v69, v6
	v_or_b32_e32 v57, 0xa00, v1
	v_lshlrev_b32_e32 v6, 3, v68
	v_lshl_add_u32 v71, v4, 2, 0x420
	v_mul_u32_u24_e32 v4, 9, v5
	v_or_b32_e32 v58, 0xb00, v1
	v_or_b32_e32 v59, 0xc00, v1
	v_add_co_u32 v74, s8, s46, v6
	s_delay_alu instid0(VALU_DEP_4) | instskip(SKIP_4) | instid1(VALU_DEP_4)
	v_lshlrev_b32_e32 v73, 2, v4
	v_lshlrev_b32_e32 v4, 1, v68
	v_add_co_ci_u32_e64 v75, null, s47, 0, s8
	v_or_b32_e32 v60, 0xd00, v1
	v_or_b32_e32 v61, 0xe00, v1
	v_add_co_u32 v76, s8, s40, v4
	s_delay_alu instid0(VALU_DEP_1) | instskip(SKIP_1) | instid1(VALU_DEP_1)
	v_add_co_ci_u32_e64 v77, null, s41, 0, s8
	v_add_co_u32 v82, s8, s38, v2
	v_add_co_ci_u32_e64 v83, null, s39, 0, s8
	v_add_co_u32 v84, s8, s44, v6
	s_delay_alu instid0(VALU_DEP_1) | instskip(SKIP_1) | instid1(VALU_DEP_1)
	v_add_co_ci_u32_e64 v85, null, s45, 0, s8
	v_add_co_u32 v86, s8, s38, v4
	v_add_co_ci_u32_e64 v87, null, s39, 0, s8
	v_add_co_u32 v88, s8, s36, v2
	v_or_b32_e32 v63, 0xf00, v1
	v_add_co_ci_u32_e64 v89, null, s37, 0, s8
	v_add_co_u32 v90, s8, s42, v6
	v_add_co_u32 v49, s2, s40, v2
	v_add_co_ci_u32_e64 v91, null, s43, 0, s8
	v_add_co_u32 v92, s8, s36, v4
	v_or_b32_e32 v45, 0x100, v1
	v_or_b32_e32 v46, 0x200, v1
	;; [unrolled: 1-line block ×3, first 2 shown]
	v_and_b32_e32 v48, 3, v1
	v_add_co_ci_u32_e64 v50, null, s41, 0, s2
	v_or_b32_e32 v51, 0x400, v1
	v_or_b32_e32 v52, 0x500, v1
	;; [unrolled: 1-line block ×4, first 2 shown]
	v_cmp_gt_u32_e64 s2, 0x100, v1
	v_or_b32_e32 v65, 0x8400, v62
	v_cmp_gt_u32_e64 s4, 8, v1
	v_add_nc_u32_e32 v66, 0x8400, v44
	v_cmp_lt_u32_e64 s5, 31, v1
	v_add_nc_u32_e32 v67, 0x83fc, v62
	v_cmp_eq_u32_e64 s6, 0, v1
	v_cmp_ne_u32_e64 s7, 0x100, v5
	v_sub_nc_u32_e32 v78, 0, v2
	v_add_nc_u32_e32 v79, 0x400, v2
	v_lshlrev_b32_e32 v80, 3, v1
	v_mul_u32_u24_e32 v81, 6, v1
	v_add_co_ci_u32_e64 v93, null, s37, 0, s8
	v_lshlrev_b32_e32 v95, 1, v1
	v_lshlrev_b32_e32 v96, 1, v55
	;; [unrolled: 1-line block ×9, first 2 shown]
	v_mbcnt_lo_u32_b32 v104, -1, 0
	s_add_u32 s42, s0, 0x50
	s_mov_b32 s35, 0
	s_addc_u32 s43, s1, 0
	s_mov_b32 s48, s49
	s_branch .LBB1983_20
.LBB1983_18:                            ;   in Loop: Header=BB1983_20 Depth=1
	s_waitcnt lgkmcnt(0)
	s_barrier
.LBB1983_19:                            ;   in Loop: Header=BB1983_20 Depth=1
	s_add_i32 s48, s48, 8
	buffer_gl0_inv
	s_cmp_ge_u32 s48, s50
	s_cbranch_scc1 .LBB1983_1198
.LBB1983_20:                            ; =>This Loop Header: Depth=1
                                        ;     Child Loop BB1983_24 Depth 2
                                        ;     Child Loop BB1983_106 Depth 2
	;; [unrolled: 1-line block ×8, first 2 shown]
	s_sub_i32 s0, s50, s48
	s_xor_b32 s51, s51, -1
	s_min_u32 s0, s0, 8
	ds_store_2addr_stride64_b32 v44, v3, v3 offset1:4
	s_lshl_b32 s0, -1, s0
	ds_store_2addr_stride64_b32 v44, v3, v3 offset0:8 offset1:12
	s_not_b32 s55, s0
	s_cmp_lg_u32 s48, s49
	s_mov_b32 s0, -1
	s_waitcnt lgkmcnt(0)
	s_waitcnt_vscnt null, 0x0
	s_cbranch_scc0 .LBB1983_610
; %bb.21:                               ;   in Loop: Header=BB1983_20 Depth=1
	s_and_b32 vcc_lo, exec_lo, s51
	s_cbranch_vccz .LBB1983_315
; %bb.22:                               ;   in Loop: Header=BB1983_20 Depth=1
	s_mov_b32 s8, s54
	s_mov_b32 s34, s52
	s_barrier
	buffer_gl0_inv
                                        ; implicit-def: $vgpr20
                                        ; implicit-def: $vgpr2
                                        ; implicit-def: $vgpr6
                                        ; implicit-def: $vgpr7
                                        ; implicit-def: $vgpr8
                                        ; implicit-def: $vgpr9
                                        ; implicit-def: $vgpr10
                                        ; implicit-def: $vgpr11
                                        ; implicit-def: $vgpr12
                                        ; implicit-def: $vgpr13
                                        ; implicit-def: $vgpr14
                                        ; implicit-def: $vgpr15
                                        ; implicit-def: $vgpr16
                                        ; implicit-def: $vgpr17
                                        ; implicit-def: $vgpr18
                                        ; implicit-def: $vgpr19
	s_branch .LBB1983_24
.LBB1983_23:                            ;   in Loop: Header=BB1983_24 Depth=2
	s_or_b32 exec_lo, exec_lo, s0
	s_addk_i32 s8, 0xf000
	s_cmp_ge_u32 s9, s53
	s_mov_b32 s34, s9
	s_cbranch_scc1 .LBB1983_94
.LBB1983_24:                            ;   Parent Loop BB1983_20 Depth=1
                                        ; =>  This Inner Loop Header: Depth=2
	s_add_i32 s9, s34, 0x1000
	s_delay_alu instid0(SALU_CYCLE_1)
	s_cmp_gt_u32 s9, s53
	s_cbranch_scc1 .LBB1983_27
; %bb.25:                               ;   in Loop: Header=BB1983_24 Depth=2
	s_mov_b32 s1, 0
	s_mov_b32 s0, s34
	s_delay_alu instid0(SALU_CYCLE_1) | instskip(NEXT) | instid1(SALU_CYCLE_1)
	s_lshl_b64 s[10:11], s[0:1], 1
	v_add_co_u32 v4, vcc_lo, v49, s10
	v_add_co_ci_u32_e32 v5, vcc_lo, s11, v50, vcc_lo
	s_movk_i32 s11, 0x1000
	s_waitcnt vmcnt(0)
	s_delay_alu instid0(VALU_DEP_2) | instskip(NEXT) | instid1(VALU_DEP_2)
	v_add_co_u32 v36, vcc_lo, 0x1000, v4
	v_add_co_ci_u32_e32 v37, vcc_lo, 0, v5, vcc_lo
	s_clause 0xe
	global_load_u16 v22, v[4:5], off
	global_load_u16 v23, v[4:5], off offset:512
	global_load_u16 v24, v[4:5], off offset:1024
	;; [unrolled: 1-line block ×7, first 2 shown]
	global_load_u16 v30, v[36:37], off
	global_load_u16 v31, v[36:37], off offset:512
	global_load_u16 v32, v[36:37], off offset:1024
	;; [unrolled: 1-line block ×6, first 2 shown]
	v_add_co_u32 v4, vcc_lo, 0x1e00, v4
	v_add_co_ci_u32_e32 v5, vcc_lo, 0, v5, vcc_lo
	s_mov_b32 s10, -1
	s_cbranch_execz .LBB1983_28
; %bb.26:                               ;   in Loop: Header=BB1983_24 Depth=2
                                        ; implicit-def: $vgpr19
                                        ; implicit-def: $vgpr18
                                        ; implicit-def: $vgpr17
                                        ; implicit-def: $vgpr16
                                        ; implicit-def: $vgpr15
                                        ; implicit-def: $vgpr14
                                        ; implicit-def: $vgpr13
                                        ; implicit-def: $vgpr12
                                        ; implicit-def: $vgpr11
                                        ; implicit-def: $vgpr10
                                        ; implicit-def: $vgpr9
                                        ; implicit-def: $vgpr8
                                        ; implicit-def: $vgpr7
                                        ; implicit-def: $vgpr6
                                        ; implicit-def: $vgpr2
                                        ; implicit-def: $vgpr20
	v_mov_b32_e32 v21, s8
	s_and_saveexec_b32 s0, s10
	s_cbranch_execnz .LBB1983_47
	s_branch .LBB1983_48
.LBB1983_27:                            ;   in Loop: Header=BB1983_24 Depth=2
	s_mov_b32 s10, 0
                                        ; implicit-def: $sgpr11
                                        ; implicit-def: $vgpr22
                                        ; implicit-def: $vgpr23
                                        ; implicit-def: $vgpr24
                                        ; implicit-def: $vgpr25
                                        ; implicit-def: $vgpr26
                                        ; implicit-def: $vgpr27
                                        ; implicit-def: $vgpr28
                                        ; implicit-def: $vgpr29
                                        ; implicit-def: $vgpr30
                                        ; implicit-def: $vgpr31
                                        ; implicit-def: $vgpr32
                                        ; implicit-def: $vgpr33
                                        ; implicit-def: $vgpr34
                                        ; implicit-def: $vgpr35
                                        ; implicit-def: $vgpr36
                                        ; implicit-def: $vgpr4_vgpr5
.LBB1983_28:                            ;   in Loop: Header=BB1983_24 Depth=2
	s_lshl_b64 s[0:1], s[34:35], 1
	s_mov_b32 s11, exec_lo
	s_add_u32 s0, s40, s0
	s_addc_u32 s1, s41, s1
	v_cmpx_gt_u32_e64 s8, v1
	s_cbranch_execz .LBB1983_80
; %bb.29:                               ;   in Loop: Header=BB1983_24 Depth=2
	global_load_u16 v19, v95, s[0:1]
	s_or_b32 exec_lo, exec_lo, s11
	s_delay_alu instid0(SALU_CYCLE_1)
	s_mov_b32 s11, exec_lo
	v_cmpx_gt_u32_e64 s8, v45
	s_cbranch_execnz .LBB1983_81
.LBB1983_30:                            ;   in Loop: Header=BB1983_24 Depth=2
	s_or_b32 exec_lo, exec_lo, s11
	s_delay_alu instid0(SALU_CYCLE_1)
	s_mov_b32 s11, exec_lo
	v_cmpx_gt_u32_e64 s8, v46
	s_cbranch_execz .LBB1983_82
.LBB1983_31:                            ;   in Loop: Header=BB1983_24 Depth=2
	global_load_u16 v17, v95, s[0:1] offset:1024
	s_or_b32 exec_lo, exec_lo, s11
	s_delay_alu instid0(SALU_CYCLE_1)
	s_mov_b32 s11, exec_lo
	v_cmpx_gt_u32_e64 s8, v47
	s_cbranch_execnz .LBB1983_83
.LBB1983_32:                            ;   in Loop: Header=BB1983_24 Depth=2
	s_or_b32 exec_lo, exec_lo, s11
	s_delay_alu instid0(SALU_CYCLE_1)
	s_mov_b32 s11, exec_lo
	v_cmpx_gt_u32_e64 s8, v51
	s_cbranch_execz .LBB1983_84
.LBB1983_33:                            ;   in Loop: Header=BB1983_24 Depth=2
	global_load_u16 v15, v95, s[0:1] offset:2048
	s_or_b32 exec_lo, exec_lo, s11
	s_delay_alu instid0(SALU_CYCLE_1)
	s_mov_b32 s11, exec_lo
	v_cmpx_gt_u32_e64 s8, v52
	s_cbranch_execnz .LBB1983_85
.LBB1983_34:                            ;   in Loop: Header=BB1983_24 Depth=2
	s_or_b32 exec_lo, exec_lo, s11
	s_delay_alu instid0(SALU_CYCLE_1)
	s_mov_b32 s11, exec_lo
	v_cmpx_gt_u32_e64 s8, v53
	s_cbranch_execz .LBB1983_86
.LBB1983_35:                            ;   in Loop: Header=BB1983_24 Depth=2
	global_load_u16 v13, v95, s[0:1] offset:3072
	s_or_b32 exec_lo, exec_lo, s11
	s_delay_alu instid0(SALU_CYCLE_1)
	s_mov_b32 s11, exec_lo
	v_cmpx_gt_u32_e64 s8, v54
	s_cbranch_execnz .LBB1983_87
.LBB1983_36:                            ;   in Loop: Header=BB1983_24 Depth=2
	s_or_b32 exec_lo, exec_lo, s11
	s_delay_alu instid0(SALU_CYCLE_1)
	s_mov_b32 s11, exec_lo
	v_cmpx_gt_u32_e64 s8, v55
	s_cbranch_execz .LBB1983_88
.LBB1983_37:                            ;   in Loop: Header=BB1983_24 Depth=2
	global_load_u16 v11, v96, s[0:1]
	s_or_b32 exec_lo, exec_lo, s11
	s_delay_alu instid0(SALU_CYCLE_1)
	s_mov_b32 s11, exec_lo
	v_cmpx_gt_u32_e64 s8, v56
	s_cbranch_execnz .LBB1983_89
.LBB1983_38:                            ;   in Loop: Header=BB1983_24 Depth=2
	s_or_b32 exec_lo, exec_lo, s11
	s_delay_alu instid0(SALU_CYCLE_1)
	s_mov_b32 s11, exec_lo
	v_cmpx_gt_u32_e64 s8, v57
	s_cbranch_execz .LBB1983_90
.LBB1983_39:                            ;   in Loop: Header=BB1983_24 Depth=2
	global_load_u16 v9, v98, s[0:1]
	s_or_b32 exec_lo, exec_lo, s11
	s_delay_alu instid0(SALU_CYCLE_1)
	s_mov_b32 s11, exec_lo
	v_cmpx_gt_u32_e64 s8, v58
	s_cbranch_execnz .LBB1983_91
.LBB1983_40:                            ;   in Loop: Header=BB1983_24 Depth=2
	s_or_b32 exec_lo, exec_lo, s11
	s_delay_alu instid0(SALU_CYCLE_1)
	s_mov_b32 s11, exec_lo
	v_cmpx_gt_u32_e64 s8, v59
	s_cbranch_execz .LBB1983_92
.LBB1983_41:                            ;   in Loop: Header=BB1983_24 Depth=2
	global_load_u16 v7, v100, s[0:1]
	s_or_b32 exec_lo, exec_lo, s11
	s_delay_alu instid0(SALU_CYCLE_1)
	s_mov_b32 s11, exec_lo
	v_cmpx_gt_u32_e64 s8, v60
	s_cbranch_execnz .LBB1983_93
.LBB1983_42:                            ;   in Loop: Header=BB1983_24 Depth=2
	s_or_b32 exec_lo, exec_lo, s11
	s_delay_alu instid0(SALU_CYCLE_1)
	s_mov_b32 s11, exec_lo
	v_cmpx_gt_u32_e64 s8, v61
	s_cbranch_execz .LBB1983_44
.LBB1983_43:                            ;   in Loop: Header=BB1983_24 Depth=2
	global_load_u16 v2, v102, s[0:1]
.LBB1983_44:                            ;   in Loop: Header=BB1983_24 Depth=2
	s_or_b32 exec_lo, exec_lo, s11
	s_delay_alu instid0(SALU_CYCLE_1)
	s_mov_b32 s12, exec_lo
                                        ; implicit-def: $sgpr11
                                        ; implicit-def: $vgpr4_vgpr5
	v_cmpx_gt_u32_e64 s8, v63
; %bb.45:                               ;   in Loop: Header=BB1983_24 Depth=2
	v_add_co_u32 v4, s0, s0, v103
	s_delay_alu instid0(VALU_DEP_1)
	v_add_co_ci_u32_e64 v5, null, s1, 0, s0
	s_sub_i32 s11, s53, s34
	s_or_b32 s10, s10, exec_lo
                                        ; implicit-def: $vgpr20
; %bb.46:                               ;   in Loop: Header=BB1983_24 Depth=2
	s_or_b32 exec_lo, exec_lo, s12
	s_waitcnt vmcnt(0)
	v_dual_mov_b32 v22, v19 :: v_dual_mov_b32 v23, v18
	v_dual_mov_b32 v24, v17 :: v_dual_mov_b32 v25, v16
	;; [unrolled: 1-line block ×8, first 2 shown]
	s_and_saveexec_b32 s0, s10
	s_cbranch_execz .LBB1983_48
.LBB1983_47:                            ;   in Loop: Header=BB1983_24 Depth=2
	global_load_u16 v20, v[4:5], off
	s_waitcnt vmcnt(1)
	v_dual_mov_b32 v21, s11 :: v_dual_mov_b32 v2, v36
	v_dual_mov_b32 v6, v35 :: v_dual_mov_b32 v7, v34
	;; [unrolled: 1-line block ×8, first 2 shown]
.LBB1983_48:                            ;   in Loop: Header=BB1983_24 Depth=2
	s_or_b32 exec_lo, exec_lo, s0
	s_delay_alu instid0(SALU_CYCLE_1)
	s_mov_b32 s0, exec_lo
	v_cmpx_lt_u32_e64 v1, v21
	s_cbranch_execz .LBB1983_64
; %bb.49:                               ;   in Loop: Header=BB1983_24 Depth=2
	v_cmp_gt_i16_e32 vcc_lo, 0, v19
	v_lshlrev_b32_e32 v5, 2, v48
	v_cndmask_b32_e64 v4, 0x7fff, 0, vcc_lo
	s_delay_alu instid0(VALU_DEP_1) | instskip(NEXT) | instid1(VALU_DEP_1)
	v_xor_b32_e32 v4, v4, v19
	v_cmp_ne_u16_e32 vcc_lo, 0x8000, v4
	v_cndmask_b32_e32 v4, 0x7fff, v4, vcc_lo
	s_delay_alu instid0(VALU_DEP_1) | instskip(NEXT) | instid1(VALU_DEP_1)
	v_and_b32_e32 v4, 0xffff, v4
	v_lshrrev_b32_e32 v4, s48, v4
	s_delay_alu instid0(VALU_DEP_1) | instskip(NEXT) | instid1(VALU_DEP_1)
	v_and_b32_e32 v4, s55, v4
	v_lshl_or_b32 v4, v4, 4, v5
	ds_add_u32 v4, v94
	s_or_b32 exec_lo, exec_lo, s0
	s_delay_alu instid0(SALU_CYCLE_1)
	s_mov_b32 s0, exec_lo
	v_cmpx_lt_u32_e64 v45, v21
	s_cbranch_execnz .LBB1983_65
.LBB1983_50:                            ;   in Loop: Header=BB1983_24 Depth=2
	s_or_b32 exec_lo, exec_lo, s0
	s_delay_alu instid0(SALU_CYCLE_1)
	s_mov_b32 s0, exec_lo
	v_cmpx_lt_u32_e64 v46, v21
	s_cbranch_execz .LBB1983_66
.LBB1983_51:                            ;   in Loop: Header=BB1983_24 Depth=2
	v_cmp_gt_i16_e32 vcc_lo, 0, v17
	v_lshlrev_b32_e32 v5, 2, v48
	v_cndmask_b32_e64 v4, 0x7fff, 0, vcc_lo
	s_delay_alu instid0(VALU_DEP_1) | instskip(NEXT) | instid1(VALU_DEP_1)
	v_xor_b32_e32 v4, v4, v17
	v_cmp_ne_u16_e32 vcc_lo, 0x8000, v4
	v_cndmask_b32_e32 v4, 0x7fff, v4, vcc_lo
	s_delay_alu instid0(VALU_DEP_1) | instskip(NEXT) | instid1(VALU_DEP_1)
	v_and_b32_e32 v4, 0xffff, v4
	v_lshrrev_b32_e32 v4, s48, v4
	s_delay_alu instid0(VALU_DEP_1) | instskip(NEXT) | instid1(VALU_DEP_1)
	v_and_b32_e32 v4, s55, v4
	v_lshl_or_b32 v4, v4, 4, v5
	ds_add_u32 v4, v94
	s_or_b32 exec_lo, exec_lo, s0
	s_delay_alu instid0(SALU_CYCLE_1)
	s_mov_b32 s0, exec_lo
	v_cmpx_lt_u32_e64 v47, v21
	s_cbranch_execnz .LBB1983_67
.LBB1983_52:                            ;   in Loop: Header=BB1983_24 Depth=2
	s_or_b32 exec_lo, exec_lo, s0
	s_delay_alu instid0(SALU_CYCLE_1)
	s_mov_b32 s0, exec_lo
	v_cmpx_lt_u32_e64 v51, v21
	s_cbranch_execz .LBB1983_68
.LBB1983_53:                            ;   in Loop: Header=BB1983_24 Depth=2
	v_cmp_gt_i16_e32 vcc_lo, 0, v15
	v_lshlrev_b32_e32 v5, 2, v48
	v_cndmask_b32_e64 v4, 0x7fff, 0, vcc_lo
	s_delay_alu instid0(VALU_DEP_1) | instskip(NEXT) | instid1(VALU_DEP_1)
	v_xor_b32_e32 v4, v4, v15
	v_cmp_ne_u16_e32 vcc_lo, 0x8000, v4
	v_cndmask_b32_e32 v4, 0x7fff, v4, vcc_lo
	s_delay_alu instid0(VALU_DEP_1) | instskip(NEXT) | instid1(VALU_DEP_1)
	v_and_b32_e32 v4, 0xffff, v4
	v_lshrrev_b32_e32 v4, s48, v4
	s_delay_alu instid0(VALU_DEP_1) | instskip(NEXT) | instid1(VALU_DEP_1)
	v_and_b32_e32 v4, s55, v4
	v_lshl_or_b32 v4, v4, 4, v5
	ds_add_u32 v4, v94
	s_or_b32 exec_lo, exec_lo, s0
	s_delay_alu instid0(SALU_CYCLE_1)
	s_mov_b32 s0, exec_lo
	v_cmpx_lt_u32_e64 v52, v21
	s_cbranch_execnz .LBB1983_69
.LBB1983_54:                            ;   in Loop: Header=BB1983_24 Depth=2
	s_or_b32 exec_lo, exec_lo, s0
	s_delay_alu instid0(SALU_CYCLE_1)
	s_mov_b32 s0, exec_lo
	v_cmpx_lt_u32_e64 v53, v21
	s_cbranch_execz .LBB1983_70
.LBB1983_55:                            ;   in Loop: Header=BB1983_24 Depth=2
	v_cmp_gt_i16_e32 vcc_lo, 0, v13
	v_lshlrev_b32_e32 v5, 2, v48
	v_cndmask_b32_e64 v4, 0x7fff, 0, vcc_lo
	s_delay_alu instid0(VALU_DEP_1) | instskip(NEXT) | instid1(VALU_DEP_1)
	v_xor_b32_e32 v4, v4, v13
	v_cmp_ne_u16_e32 vcc_lo, 0x8000, v4
	v_cndmask_b32_e32 v4, 0x7fff, v4, vcc_lo
	s_delay_alu instid0(VALU_DEP_1) | instskip(NEXT) | instid1(VALU_DEP_1)
	v_and_b32_e32 v4, 0xffff, v4
	v_lshrrev_b32_e32 v4, s48, v4
	s_delay_alu instid0(VALU_DEP_1) | instskip(NEXT) | instid1(VALU_DEP_1)
	v_and_b32_e32 v4, s55, v4
	v_lshl_or_b32 v4, v4, 4, v5
	ds_add_u32 v4, v94
	s_or_b32 exec_lo, exec_lo, s0
	s_delay_alu instid0(SALU_CYCLE_1)
	s_mov_b32 s0, exec_lo
	v_cmpx_lt_u32_e64 v54, v21
	s_cbranch_execnz .LBB1983_71
.LBB1983_56:                            ;   in Loop: Header=BB1983_24 Depth=2
	s_or_b32 exec_lo, exec_lo, s0
	s_delay_alu instid0(SALU_CYCLE_1)
	s_mov_b32 s0, exec_lo
	v_cmpx_lt_u32_e64 v55, v21
	s_cbranch_execz .LBB1983_72
.LBB1983_57:                            ;   in Loop: Header=BB1983_24 Depth=2
	v_cmp_gt_i16_e32 vcc_lo, 0, v11
	v_lshlrev_b32_e32 v5, 2, v48
	v_cndmask_b32_e64 v4, 0x7fff, 0, vcc_lo
	s_delay_alu instid0(VALU_DEP_1) | instskip(NEXT) | instid1(VALU_DEP_1)
	v_xor_b32_e32 v4, v4, v11
	v_cmp_ne_u16_e32 vcc_lo, 0x8000, v4
	v_cndmask_b32_e32 v4, 0x7fff, v4, vcc_lo
	s_delay_alu instid0(VALU_DEP_1) | instskip(NEXT) | instid1(VALU_DEP_1)
	v_and_b32_e32 v4, 0xffff, v4
	v_lshrrev_b32_e32 v4, s48, v4
	s_delay_alu instid0(VALU_DEP_1) | instskip(NEXT) | instid1(VALU_DEP_1)
	v_and_b32_e32 v4, s55, v4
	v_lshl_or_b32 v4, v4, 4, v5
	ds_add_u32 v4, v94
	s_or_b32 exec_lo, exec_lo, s0
	s_delay_alu instid0(SALU_CYCLE_1)
	s_mov_b32 s0, exec_lo
	v_cmpx_lt_u32_e64 v56, v21
	s_cbranch_execnz .LBB1983_73
.LBB1983_58:                            ;   in Loop: Header=BB1983_24 Depth=2
	s_or_b32 exec_lo, exec_lo, s0
	s_delay_alu instid0(SALU_CYCLE_1)
	s_mov_b32 s0, exec_lo
	v_cmpx_lt_u32_e64 v57, v21
	s_cbranch_execz .LBB1983_74
.LBB1983_59:                            ;   in Loop: Header=BB1983_24 Depth=2
	v_cmp_gt_i16_e32 vcc_lo, 0, v9
	v_lshlrev_b32_e32 v5, 2, v48
	v_cndmask_b32_e64 v4, 0x7fff, 0, vcc_lo
	s_delay_alu instid0(VALU_DEP_1) | instskip(NEXT) | instid1(VALU_DEP_1)
	v_xor_b32_e32 v4, v4, v9
	v_cmp_ne_u16_e32 vcc_lo, 0x8000, v4
	v_cndmask_b32_e32 v4, 0x7fff, v4, vcc_lo
	s_delay_alu instid0(VALU_DEP_1) | instskip(NEXT) | instid1(VALU_DEP_1)
	v_and_b32_e32 v4, 0xffff, v4
	v_lshrrev_b32_e32 v4, s48, v4
	s_delay_alu instid0(VALU_DEP_1) | instskip(NEXT) | instid1(VALU_DEP_1)
	v_and_b32_e32 v4, s55, v4
	v_lshl_or_b32 v4, v4, 4, v5
	ds_add_u32 v4, v94
	s_or_b32 exec_lo, exec_lo, s0
	s_delay_alu instid0(SALU_CYCLE_1)
	s_mov_b32 s0, exec_lo
	v_cmpx_lt_u32_e64 v58, v21
	s_cbranch_execnz .LBB1983_75
.LBB1983_60:                            ;   in Loop: Header=BB1983_24 Depth=2
	s_or_b32 exec_lo, exec_lo, s0
	s_delay_alu instid0(SALU_CYCLE_1)
	s_mov_b32 s0, exec_lo
	v_cmpx_lt_u32_e64 v59, v21
	s_cbranch_execz .LBB1983_76
.LBB1983_61:                            ;   in Loop: Header=BB1983_24 Depth=2
	v_cmp_gt_i16_e32 vcc_lo, 0, v7
	v_lshlrev_b32_e32 v5, 2, v48
	v_cndmask_b32_e64 v4, 0x7fff, 0, vcc_lo
	s_delay_alu instid0(VALU_DEP_1) | instskip(NEXT) | instid1(VALU_DEP_1)
	v_xor_b32_e32 v4, v4, v7
	v_cmp_ne_u16_e32 vcc_lo, 0x8000, v4
	v_cndmask_b32_e32 v4, 0x7fff, v4, vcc_lo
	s_delay_alu instid0(VALU_DEP_1) | instskip(NEXT) | instid1(VALU_DEP_1)
	v_and_b32_e32 v4, 0xffff, v4
	v_lshrrev_b32_e32 v4, s48, v4
	s_delay_alu instid0(VALU_DEP_1) | instskip(NEXT) | instid1(VALU_DEP_1)
	v_and_b32_e32 v4, s55, v4
	v_lshl_or_b32 v4, v4, 4, v5
	ds_add_u32 v4, v94
	s_or_b32 exec_lo, exec_lo, s0
	s_delay_alu instid0(SALU_CYCLE_1)
	s_mov_b32 s0, exec_lo
	v_cmpx_lt_u32_e64 v60, v21
	s_cbranch_execnz .LBB1983_77
.LBB1983_62:                            ;   in Loop: Header=BB1983_24 Depth=2
	s_or_b32 exec_lo, exec_lo, s0
	s_delay_alu instid0(SALU_CYCLE_1)
	s_mov_b32 s0, exec_lo
	v_cmpx_lt_u32_e64 v61, v21
	s_cbranch_execz .LBB1983_78
.LBB1983_63:                            ;   in Loop: Header=BB1983_24 Depth=2
	v_cmp_gt_i16_e32 vcc_lo, 0, v2
	v_lshlrev_b32_e32 v5, 2, v48
	v_cndmask_b32_e64 v4, 0x7fff, 0, vcc_lo
	s_delay_alu instid0(VALU_DEP_1) | instskip(NEXT) | instid1(VALU_DEP_1)
	v_xor_b32_e32 v4, v4, v2
	v_cmp_ne_u16_e32 vcc_lo, 0x8000, v4
	v_cndmask_b32_e32 v4, 0x7fff, v4, vcc_lo
	s_delay_alu instid0(VALU_DEP_1) | instskip(NEXT) | instid1(VALU_DEP_1)
	v_and_b32_e32 v4, 0xffff, v4
	v_lshrrev_b32_e32 v4, s48, v4
	s_delay_alu instid0(VALU_DEP_1) | instskip(NEXT) | instid1(VALU_DEP_1)
	v_and_b32_e32 v4, s55, v4
	v_lshl_or_b32 v4, v4, 4, v5
	ds_add_u32 v4, v94
	s_or_b32 exec_lo, exec_lo, s0
	s_delay_alu instid0(SALU_CYCLE_1)
	s_mov_b32 s0, exec_lo
	v_cmpx_lt_u32_e64 v63, v21
	s_cbranch_execz .LBB1983_23
	s_branch .LBB1983_79
.LBB1983_64:                            ;   in Loop: Header=BB1983_24 Depth=2
	s_or_b32 exec_lo, exec_lo, s0
	s_delay_alu instid0(SALU_CYCLE_1)
	s_mov_b32 s0, exec_lo
	v_cmpx_lt_u32_e64 v45, v21
	s_cbranch_execz .LBB1983_50
.LBB1983_65:                            ;   in Loop: Header=BB1983_24 Depth=2
	v_cmp_gt_i16_e32 vcc_lo, 0, v18
	v_lshlrev_b32_e32 v5, 2, v48
	v_cndmask_b32_e64 v4, 0x7fff, 0, vcc_lo
	s_delay_alu instid0(VALU_DEP_1) | instskip(NEXT) | instid1(VALU_DEP_1)
	v_xor_b32_e32 v4, v4, v18
	v_cmp_ne_u16_e32 vcc_lo, 0x8000, v4
	v_cndmask_b32_e32 v4, 0x7fff, v4, vcc_lo
	s_delay_alu instid0(VALU_DEP_1) | instskip(NEXT) | instid1(VALU_DEP_1)
	v_and_b32_e32 v4, 0xffff, v4
	v_lshrrev_b32_e32 v4, s48, v4
	s_delay_alu instid0(VALU_DEP_1) | instskip(NEXT) | instid1(VALU_DEP_1)
	v_and_b32_e32 v4, s55, v4
	v_lshl_or_b32 v4, v4, 4, v5
	ds_add_u32 v4, v94
	s_or_b32 exec_lo, exec_lo, s0
	s_delay_alu instid0(SALU_CYCLE_1)
	s_mov_b32 s0, exec_lo
	v_cmpx_lt_u32_e64 v46, v21
	s_cbranch_execnz .LBB1983_51
.LBB1983_66:                            ;   in Loop: Header=BB1983_24 Depth=2
	s_or_b32 exec_lo, exec_lo, s0
	s_delay_alu instid0(SALU_CYCLE_1)
	s_mov_b32 s0, exec_lo
	v_cmpx_lt_u32_e64 v47, v21
	s_cbranch_execz .LBB1983_52
.LBB1983_67:                            ;   in Loop: Header=BB1983_24 Depth=2
	v_cmp_gt_i16_e32 vcc_lo, 0, v16
	v_lshlrev_b32_e32 v5, 2, v48
	v_cndmask_b32_e64 v4, 0x7fff, 0, vcc_lo
	s_delay_alu instid0(VALU_DEP_1) | instskip(NEXT) | instid1(VALU_DEP_1)
	v_xor_b32_e32 v4, v4, v16
	v_cmp_ne_u16_e32 vcc_lo, 0x8000, v4
	v_cndmask_b32_e32 v4, 0x7fff, v4, vcc_lo
	s_delay_alu instid0(VALU_DEP_1) | instskip(NEXT) | instid1(VALU_DEP_1)
	v_and_b32_e32 v4, 0xffff, v4
	v_lshrrev_b32_e32 v4, s48, v4
	s_delay_alu instid0(VALU_DEP_1) | instskip(NEXT) | instid1(VALU_DEP_1)
	v_and_b32_e32 v4, s55, v4
	v_lshl_or_b32 v4, v4, 4, v5
	ds_add_u32 v4, v94
	s_or_b32 exec_lo, exec_lo, s0
	s_delay_alu instid0(SALU_CYCLE_1)
	s_mov_b32 s0, exec_lo
	v_cmpx_lt_u32_e64 v51, v21
	s_cbranch_execnz .LBB1983_53
.LBB1983_68:                            ;   in Loop: Header=BB1983_24 Depth=2
	s_or_b32 exec_lo, exec_lo, s0
	s_delay_alu instid0(SALU_CYCLE_1)
	s_mov_b32 s0, exec_lo
	v_cmpx_lt_u32_e64 v52, v21
	s_cbranch_execz .LBB1983_54
.LBB1983_69:                            ;   in Loop: Header=BB1983_24 Depth=2
	v_cmp_gt_i16_e32 vcc_lo, 0, v14
	v_lshlrev_b32_e32 v5, 2, v48
	v_cndmask_b32_e64 v4, 0x7fff, 0, vcc_lo
	s_delay_alu instid0(VALU_DEP_1) | instskip(NEXT) | instid1(VALU_DEP_1)
	v_xor_b32_e32 v4, v4, v14
	v_cmp_ne_u16_e32 vcc_lo, 0x8000, v4
	v_cndmask_b32_e32 v4, 0x7fff, v4, vcc_lo
	s_delay_alu instid0(VALU_DEP_1) | instskip(NEXT) | instid1(VALU_DEP_1)
	v_and_b32_e32 v4, 0xffff, v4
	v_lshrrev_b32_e32 v4, s48, v4
	s_delay_alu instid0(VALU_DEP_1) | instskip(NEXT) | instid1(VALU_DEP_1)
	v_and_b32_e32 v4, s55, v4
	v_lshl_or_b32 v4, v4, 4, v5
	ds_add_u32 v4, v94
	s_or_b32 exec_lo, exec_lo, s0
	s_delay_alu instid0(SALU_CYCLE_1)
	s_mov_b32 s0, exec_lo
	v_cmpx_lt_u32_e64 v53, v21
	s_cbranch_execnz .LBB1983_55
.LBB1983_70:                            ;   in Loop: Header=BB1983_24 Depth=2
	s_or_b32 exec_lo, exec_lo, s0
	s_delay_alu instid0(SALU_CYCLE_1)
	s_mov_b32 s0, exec_lo
	v_cmpx_lt_u32_e64 v54, v21
	s_cbranch_execz .LBB1983_56
.LBB1983_71:                            ;   in Loop: Header=BB1983_24 Depth=2
	v_cmp_gt_i16_e32 vcc_lo, 0, v12
	v_lshlrev_b32_e32 v5, 2, v48
	v_cndmask_b32_e64 v4, 0x7fff, 0, vcc_lo
	s_delay_alu instid0(VALU_DEP_1) | instskip(NEXT) | instid1(VALU_DEP_1)
	v_xor_b32_e32 v4, v4, v12
	v_cmp_ne_u16_e32 vcc_lo, 0x8000, v4
	v_cndmask_b32_e32 v4, 0x7fff, v4, vcc_lo
	s_delay_alu instid0(VALU_DEP_1) | instskip(NEXT) | instid1(VALU_DEP_1)
	v_and_b32_e32 v4, 0xffff, v4
	v_lshrrev_b32_e32 v4, s48, v4
	s_delay_alu instid0(VALU_DEP_1) | instskip(NEXT) | instid1(VALU_DEP_1)
	v_and_b32_e32 v4, s55, v4
	v_lshl_or_b32 v4, v4, 4, v5
	ds_add_u32 v4, v94
	s_or_b32 exec_lo, exec_lo, s0
	s_delay_alu instid0(SALU_CYCLE_1)
	s_mov_b32 s0, exec_lo
	v_cmpx_lt_u32_e64 v55, v21
	s_cbranch_execnz .LBB1983_57
.LBB1983_72:                            ;   in Loop: Header=BB1983_24 Depth=2
	s_or_b32 exec_lo, exec_lo, s0
	s_delay_alu instid0(SALU_CYCLE_1)
	s_mov_b32 s0, exec_lo
	v_cmpx_lt_u32_e64 v56, v21
	s_cbranch_execz .LBB1983_58
.LBB1983_73:                            ;   in Loop: Header=BB1983_24 Depth=2
	v_cmp_gt_i16_e32 vcc_lo, 0, v10
	v_lshlrev_b32_e32 v5, 2, v48
	v_cndmask_b32_e64 v4, 0x7fff, 0, vcc_lo
	s_delay_alu instid0(VALU_DEP_1) | instskip(NEXT) | instid1(VALU_DEP_1)
	v_xor_b32_e32 v4, v4, v10
	v_cmp_ne_u16_e32 vcc_lo, 0x8000, v4
	v_cndmask_b32_e32 v4, 0x7fff, v4, vcc_lo
	s_delay_alu instid0(VALU_DEP_1) | instskip(NEXT) | instid1(VALU_DEP_1)
	v_and_b32_e32 v4, 0xffff, v4
	v_lshrrev_b32_e32 v4, s48, v4
	s_delay_alu instid0(VALU_DEP_1) | instskip(NEXT) | instid1(VALU_DEP_1)
	v_and_b32_e32 v4, s55, v4
	v_lshl_or_b32 v4, v4, 4, v5
	ds_add_u32 v4, v94
	s_or_b32 exec_lo, exec_lo, s0
	s_delay_alu instid0(SALU_CYCLE_1)
	s_mov_b32 s0, exec_lo
	v_cmpx_lt_u32_e64 v57, v21
	s_cbranch_execnz .LBB1983_59
.LBB1983_74:                            ;   in Loop: Header=BB1983_24 Depth=2
	s_or_b32 exec_lo, exec_lo, s0
	s_delay_alu instid0(SALU_CYCLE_1)
	s_mov_b32 s0, exec_lo
	v_cmpx_lt_u32_e64 v58, v21
	s_cbranch_execz .LBB1983_60
.LBB1983_75:                            ;   in Loop: Header=BB1983_24 Depth=2
	v_cmp_gt_i16_e32 vcc_lo, 0, v8
	v_lshlrev_b32_e32 v5, 2, v48
	v_cndmask_b32_e64 v4, 0x7fff, 0, vcc_lo
	s_delay_alu instid0(VALU_DEP_1) | instskip(NEXT) | instid1(VALU_DEP_1)
	v_xor_b32_e32 v4, v4, v8
	v_cmp_ne_u16_e32 vcc_lo, 0x8000, v4
	v_cndmask_b32_e32 v4, 0x7fff, v4, vcc_lo
	s_delay_alu instid0(VALU_DEP_1) | instskip(NEXT) | instid1(VALU_DEP_1)
	v_and_b32_e32 v4, 0xffff, v4
	v_lshrrev_b32_e32 v4, s48, v4
	s_delay_alu instid0(VALU_DEP_1) | instskip(NEXT) | instid1(VALU_DEP_1)
	v_and_b32_e32 v4, s55, v4
	v_lshl_or_b32 v4, v4, 4, v5
	ds_add_u32 v4, v94
	s_or_b32 exec_lo, exec_lo, s0
	s_delay_alu instid0(SALU_CYCLE_1)
	s_mov_b32 s0, exec_lo
	v_cmpx_lt_u32_e64 v59, v21
	s_cbranch_execnz .LBB1983_61
.LBB1983_76:                            ;   in Loop: Header=BB1983_24 Depth=2
	s_or_b32 exec_lo, exec_lo, s0
	s_delay_alu instid0(SALU_CYCLE_1)
	s_mov_b32 s0, exec_lo
	v_cmpx_lt_u32_e64 v60, v21
	s_cbranch_execz .LBB1983_62
.LBB1983_77:                            ;   in Loop: Header=BB1983_24 Depth=2
	v_cmp_gt_i16_e32 vcc_lo, 0, v6
	v_lshlrev_b32_e32 v5, 2, v48
	v_cndmask_b32_e64 v4, 0x7fff, 0, vcc_lo
	s_delay_alu instid0(VALU_DEP_1) | instskip(NEXT) | instid1(VALU_DEP_1)
	v_xor_b32_e32 v4, v4, v6
	v_cmp_ne_u16_e32 vcc_lo, 0x8000, v4
	v_cndmask_b32_e32 v4, 0x7fff, v4, vcc_lo
	s_delay_alu instid0(VALU_DEP_1) | instskip(NEXT) | instid1(VALU_DEP_1)
	v_and_b32_e32 v4, 0xffff, v4
	v_lshrrev_b32_e32 v4, s48, v4
	s_delay_alu instid0(VALU_DEP_1) | instskip(NEXT) | instid1(VALU_DEP_1)
	v_and_b32_e32 v4, s55, v4
	v_lshl_or_b32 v4, v4, 4, v5
	ds_add_u32 v4, v94
	s_or_b32 exec_lo, exec_lo, s0
	s_delay_alu instid0(SALU_CYCLE_1)
	s_mov_b32 s0, exec_lo
	v_cmpx_lt_u32_e64 v61, v21
	s_cbranch_execnz .LBB1983_63
.LBB1983_78:                            ;   in Loop: Header=BB1983_24 Depth=2
	s_or_b32 exec_lo, exec_lo, s0
	s_delay_alu instid0(SALU_CYCLE_1)
	s_mov_b32 s0, exec_lo
	v_cmpx_lt_u32_e64 v63, v21
	s_cbranch_execz .LBB1983_23
.LBB1983_79:                            ;   in Loop: Header=BB1983_24 Depth=2
	s_waitcnt vmcnt(0)
	v_cmp_gt_i16_e32 vcc_lo, 0, v20
	v_lshlrev_b32_e32 v5, 2, v48
	v_cndmask_b32_e64 v4, 0x7fff, 0, vcc_lo
	s_delay_alu instid0(VALU_DEP_1) | instskip(NEXT) | instid1(VALU_DEP_1)
	v_xor_b32_e32 v4, v4, v20
	v_cmp_ne_u16_e32 vcc_lo, 0x8000, v4
	v_cndmask_b32_e32 v4, 0x7fff, v4, vcc_lo
	s_delay_alu instid0(VALU_DEP_1) | instskip(NEXT) | instid1(VALU_DEP_1)
	v_and_b32_e32 v4, 0xffff, v4
	v_lshrrev_b32_e32 v4, s48, v4
	s_delay_alu instid0(VALU_DEP_1) | instskip(NEXT) | instid1(VALU_DEP_1)
	v_and_b32_e32 v4, s55, v4
	v_lshl_or_b32 v4, v4, 4, v5
	ds_add_u32 v4, v94
	s_branch .LBB1983_23
.LBB1983_80:                            ;   in Loop: Header=BB1983_24 Depth=2
	s_or_b32 exec_lo, exec_lo, s11
	s_delay_alu instid0(SALU_CYCLE_1)
	s_mov_b32 s11, exec_lo
	v_cmpx_gt_u32_e64 s8, v45
	s_cbranch_execz .LBB1983_30
.LBB1983_81:                            ;   in Loop: Header=BB1983_24 Depth=2
	global_load_u16 v18, v95, s[0:1] offset:512
	s_or_b32 exec_lo, exec_lo, s11
	s_delay_alu instid0(SALU_CYCLE_1)
	s_mov_b32 s11, exec_lo
	v_cmpx_gt_u32_e64 s8, v46
	s_cbranch_execnz .LBB1983_31
.LBB1983_82:                            ;   in Loop: Header=BB1983_24 Depth=2
	s_or_b32 exec_lo, exec_lo, s11
	s_delay_alu instid0(SALU_CYCLE_1)
	s_mov_b32 s11, exec_lo
	v_cmpx_gt_u32_e64 s8, v47
	s_cbranch_execz .LBB1983_32
.LBB1983_83:                            ;   in Loop: Header=BB1983_24 Depth=2
	global_load_u16 v16, v95, s[0:1] offset:1536
	s_or_b32 exec_lo, exec_lo, s11
	s_delay_alu instid0(SALU_CYCLE_1)
	s_mov_b32 s11, exec_lo
	v_cmpx_gt_u32_e64 s8, v51
	s_cbranch_execnz .LBB1983_33
.LBB1983_84:                            ;   in Loop: Header=BB1983_24 Depth=2
	s_or_b32 exec_lo, exec_lo, s11
	s_delay_alu instid0(SALU_CYCLE_1)
	s_mov_b32 s11, exec_lo
	v_cmpx_gt_u32_e64 s8, v52
	s_cbranch_execz .LBB1983_34
.LBB1983_85:                            ;   in Loop: Header=BB1983_24 Depth=2
	global_load_u16 v14, v95, s[0:1] offset:2560
	s_or_b32 exec_lo, exec_lo, s11
	s_delay_alu instid0(SALU_CYCLE_1)
	s_mov_b32 s11, exec_lo
	v_cmpx_gt_u32_e64 s8, v53
	s_cbranch_execnz .LBB1983_35
.LBB1983_86:                            ;   in Loop: Header=BB1983_24 Depth=2
	s_or_b32 exec_lo, exec_lo, s11
	s_delay_alu instid0(SALU_CYCLE_1)
	s_mov_b32 s11, exec_lo
	v_cmpx_gt_u32_e64 s8, v54
	s_cbranch_execz .LBB1983_36
.LBB1983_87:                            ;   in Loop: Header=BB1983_24 Depth=2
	global_load_u16 v12, v95, s[0:1] offset:3584
	s_or_b32 exec_lo, exec_lo, s11
	s_delay_alu instid0(SALU_CYCLE_1)
	s_mov_b32 s11, exec_lo
	v_cmpx_gt_u32_e64 s8, v55
	s_cbranch_execnz .LBB1983_37
.LBB1983_88:                            ;   in Loop: Header=BB1983_24 Depth=2
	s_or_b32 exec_lo, exec_lo, s11
	s_delay_alu instid0(SALU_CYCLE_1)
	s_mov_b32 s11, exec_lo
	v_cmpx_gt_u32_e64 s8, v56
	s_cbranch_execz .LBB1983_38
.LBB1983_89:                            ;   in Loop: Header=BB1983_24 Depth=2
	global_load_u16 v10, v97, s[0:1]
	s_or_b32 exec_lo, exec_lo, s11
	s_delay_alu instid0(SALU_CYCLE_1)
	s_mov_b32 s11, exec_lo
	v_cmpx_gt_u32_e64 s8, v57
	s_cbranch_execnz .LBB1983_39
.LBB1983_90:                            ;   in Loop: Header=BB1983_24 Depth=2
	s_or_b32 exec_lo, exec_lo, s11
	s_delay_alu instid0(SALU_CYCLE_1)
	s_mov_b32 s11, exec_lo
	v_cmpx_gt_u32_e64 s8, v58
	s_cbranch_execz .LBB1983_40
.LBB1983_91:                            ;   in Loop: Header=BB1983_24 Depth=2
	global_load_u16 v8, v99, s[0:1]
	s_or_b32 exec_lo, exec_lo, s11
	s_delay_alu instid0(SALU_CYCLE_1)
	s_mov_b32 s11, exec_lo
	v_cmpx_gt_u32_e64 s8, v59
	s_cbranch_execnz .LBB1983_41
.LBB1983_92:                            ;   in Loop: Header=BB1983_24 Depth=2
	s_or_b32 exec_lo, exec_lo, s11
	s_delay_alu instid0(SALU_CYCLE_1)
	s_mov_b32 s11, exec_lo
	v_cmpx_gt_u32_e64 s8, v60
	s_cbranch_execz .LBB1983_42
.LBB1983_93:                            ;   in Loop: Header=BB1983_24 Depth=2
	global_load_u16 v6, v101, s[0:1]
	s_or_b32 exec_lo, exec_lo, s11
	s_delay_alu instid0(SALU_CYCLE_1)
	s_mov_b32 s11, exec_lo
	v_cmpx_gt_u32_e64 s8, v61
	s_cbranch_execz .LBB1983_44
	s_branch .LBB1983_43
.LBB1983_94:                            ;   in Loop: Header=BB1983_20 Depth=1
	v_mov_b32_e32 v2, 0
	s_waitcnt vmcnt(0) lgkmcnt(0)
	s_barrier
	buffer_gl0_inv
	s_and_saveexec_b32 s0, s2
	s_cbranch_execz .LBB1983_96
; %bb.95:                               ;   in Loop: Header=BB1983_20 Depth=1
	ds_load_2addr_b64 v[4:7], v64 offset1:1
	s_waitcnt lgkmcnt(0)
	v_add_nc_u32_e32 v2, v5, v4
	s_delay_alu instid0(VALU_DEP_1)
	v_add3_u32 v2, v2, v6, v7
.LBB1983_96:                            ;   in Loop: Header=BB1983_20 Depth=1
	s_or_b32 exec_lo, exec_lo, s0
	v_and_b32_e32 v4, 15, v104
	s_delay_alu instid0(VALU_DEP_2) | instskip(SKIP_1) | instid1(VALU_DEP_3)
	v_mov_b32_dpp v5, v2 row_shr:1 row_mask:0xf bank_mask:0xf
	v_and_b32_e32 v6, 16, v104
	v_cmp_eq_u32_e64 s0, 0, v4
	v_cmp_lt_u32_e64 s1, 1, v4
	v_cmp_lt_u32_e64 s8, 3, v4
	;; [unrolled: 1-line block ×3, first 2 shown]
	v_cmp_eq_u32_e64 s10, 0, v6
	v_cndmask_b32_e64 v5, v5, 0, s0
	s_delay_alu instid0(VALU_DEP_1) | instskip(NEXT) | instid1(VALU_DEP_1)
	v_add_nc_u32_e32 v2, v5, v2
	v_mov_b32_dpp v5, v2 row_shr:2 row_mask:0xf bank_mask:0xf
	s_delay_alu instid0(VALU_DEP_1) | instskip(NEXT) | instid1(VALU_DEP_1)
	v_cndmask_b32_e64 v5, 0, v5, s1
	v_add_nc_u32_e32 v2, v2, v5
	s_delay_alu instid0(VALU_DEP_1) | instskip(NEXT) | instid1(VALU_DEP_1)
	v_mov_b32_dpp v5, v2 row_shr:4 row_mask:0xf bank_mask:0xf
	v_cndmask_b32_e64 v5, 0, v5, s8
	s_delay_alu instid0(VALU_DEP_1) | instskip(NEXT) | instid1(VALU_DEP_1)
	v_add_nc_u32_e32 v2, v2, v5
	v_mov_b32_dpp v5, v2 row_shr:8 row_mask:0xf bank_mask:0xf
	s_delay_alu instid0(VALU_DEP_1) | instskip(SKIP_1) | instid1(VALU_DEP_2)
	v_cndmask_b32_e64 v4, 0, v5, s9
	v_bfe_i32 v5, v104, 4, 1
	v_add_nc_u32_e32 v2, v2, v4
	ds_swizzle_b32 v4, v2 offset:swizzle(BROADCAST,32,15)
	s_waitcnt lgkmcnt(0)
	v_and_b32_e32 v4, v5, v4
	s_delay_alu instid0(VALU_DEP_1)
	v_add_nc_u32_e32 v4, v2, v4
	s_and_saveexec_b32 s11, s3
	s_cbranch_execz .LBB1983_98
; %bb.97:                               ;   in Loop: Header=BB1983_20 Depth=1
	ds_store_b32 v65, v4
.LBB1983_98:                            ;   in Loop: Header=BB1983_20 Depth=1
	s_or_b32 exec_lo, exec_lo, s11
	v_and_b32_e32 v2, 7, v104
	s_waitcnt lgkmcnt(0)
	s_barrier
	buffer_gl0_inv
	s_and_saveexec_b32 s11, s4
	s_cbranch_execz .LBB1983_100
; %bb.99:                               ;   in Loop: Header=BB1983_20 Depth=1
	ds_load_b32 v5, v66
	v_cmp_ne_u32_e32 vcc_lo, 0, v2
	s_waitcnt lgkmcnt(0)
	v_mov_b32_dpp v6, v5 row_shr:1 row_mask:0xf bank_mask:0xf
	s_delay_alu instid0(VALU_DEP_1) | instskip(SKIP_1) | instid1(VALU_DEP_2)
	v_cndmask_b32_e32 v6, 0, v6, vcc_lo
	v_cmp_lt_u32_e32 vcc_lo, 1, v2
	v_add_nc_u32_e32 v5, v6, v5
	s_delay_alu instid0(VALU_DEP_1) | instskip(NEXT) | instid1(VALU_DEP_1)
	v_mov_b32_dpp v6, v5 row_shr:2 row_mask:0xf bank_mask:0xf
	v_cndmask_b32_e32 v6, 0, v6, vcc_lo
	v_cmp_lt_u32_e32 vcc_lo, 3, v2
	s_delay_alu instid0(VALU_DEP_2) | instskip(NEXT) | instid1(VALU_DEP_1)
	v_add_nc_u32_e32 v5, v5, v6
	v_mov_b32_dpp v6, v5 row_shr:4 row_mask:0xf bank_mask:0xf
	s_delay_alu instid0(VALU_DEP_1) | instskip(NEXT) | instid1(VALU_DEP_1)
	v_cndmask_b32_e32 v6, 0, v6, vcc_lo
	v_add_nc_u32_e32 v5, v5, v6
	ds_store_b32 v66, v5
.LBB1983_100:                           ;   in Loop: Header=BB1983_20 Depth=1
	s_or_b32 exec_lo, exec_lo, s11
	v_mov_b32_e32 v5, 0
	s_waitcnt lgkmcnt(0)
	s_barrier
	buffer_gl0_inv
	s_and_saveexec_b32 s11, s5
	s_cbranch_execz .LBB1983_102
; %bb.101:                              ;   in Loop: Header=BB1983_20 Depth=1
	ds_load_b32 v5, v67
.LBB1983_102:                           ;   in Loop: Header=BB1983_20 Depth=1
	s_or_b32 exec_lo, exec_lo, s11
	v_add_nc_u32_e32 v6, -1, v104
	s_waitcnt lgkmcnt(0)
	v_add_nc_u32_e32 v4, v5, v4
	v_cmp_eq_u32_e64 s11, 0, v104
	s_barrier
	v_cmp_gt_i32_e32 vcc_lo, 0, v6
	buffer_gl0_inv
	v_cndmask_b32_e32 v6, v6, v104, vcc_lo
	s_delay_alu instid0(VALU_DEP_1)
	v_lshlrev_b32_e32 v105, 2, v6
	ds_bpermute_b32 v4, v105, v4
	s_and_saveexec_b32 s12, s2
	s_cbranch_execz .LBB1983_104
; %bb.103:                              ;   in Loop: Header=BB1983_20 Depth=1
	s_waitcnt lgkmcnt(0)
	v_cndmask_b32_e64 v4, v4, v5, s11
	s_delay_alu instid0(VALU_DEP_1)
	v_add_nc_u32_e32 v4, s52, v4
	ds_store_b32 v44, v4
.LBB1983_104:                           ;   in Loop: Header=BB1983_20 Depth=1
	s_or_b32 exec_lo, exec_lo, s12
	s_clause 0x1
	s_load_b32 s12, s[42:43], 0x4
	s_load_b32 s17, s[42:43], 0xc
	v_lshlrev_b32_e32 v5, 3, v104
	v_cmp_lt_u32_e64 s16, 3, v2
	v_or_b32_e32 v106, v104, v68
	s_mov_b32 s56, s54
	s_mov_b32 s34, s52
	v_add_co_u32 v107, vcc_lo, v74, v5
	v_add_co_ci_u32_e32 v108, vcc_lo, 0, v75, vcc_lo
	v_or_b32_e32 v109, 32, v106
	v_or_b32_e32 v110, 64, v106
	v_or_b32_e32 v111, 0x60, v106
	v_or_b32_e32 v112, 0x80, v106
	v_or_b32_e32 v113, 0xa0, v106
	v_or_b32_e32 v114, 0xc0, v106
	v_or_b32_e32 v115, 0xe0, v106
	v_or_b32_e32 v116, 0x100, v106
	v_or_b32_e32 v117, 0x120, v106
	s_waitcnt lgkmcnt(0)
	s_cmp_lt_u32 s15, s12
	v_or_b32_e32 v118, 0x140, v106
	s_cselect_b32 s12, 14, 20
	v_or_b32_e32 v119, 0x160, v106
	s_add_u32 s12, s42, s12
	s_addc_u32 s13, s43, 0
	s_and_b32 s17, s17, 0xffff
	global_load_u16 v4, v3, s[12:13]
	v_cmp_eq_u32_e64 s12, 0, v2
	v_cmp_lt_u32_e64 s13, 1, v2
	v_lshlrev_b32_e32 v2, 1, v104
	v_or_b32_e32 v120, 0x180, v106
	v_or_b32_e32 v121, 0x1a0, v106
	;; [unrolled: 1-line block ×4, first 2 shown]
	v_add_co_u32 v124, vcc_lo, v76, v2
	v_add_co_ci_u32_e32 v125, vcc_lo, 0, v77, vcc_lo
                                        ; implicit-def: $vgpr8_vgpr9
                                        ; implicit-def: $vgpr10_vgpr11
                                        ; implicit-def: $vgpr12_vgpr13
                                        ; implicit-def: $vgpr14_vgpr15
                                        ; implicit-def: $vgpr16_vgpr17
                                        ; implicit-def: $vgpr18_vgpr19
                                        ; implicit-def: $vgpr20_vgpr21
                                        ; implicit-def: $vgpr22_vgpr23
                                        ; implicit-def: $vgpr24_vgpr25
                                        ; implicit-def: $vgpr26_vgpr27
                                        ; implicit-def: $vgpr28_vgpr29
                                        ; implicit-def: $vgpr30_vgpr31
                                        ; implicit-def: $vgpr32_vgpr33
                                        ; implicit-def: $vgpr34_vgpr35
                                        ; implicit-def: $vgpr129
                                        ; implicit-def: $vgpr130
                                        ; implicit-def: $vgpr131
                                        ; implicit-def: $vgpr132
                                        ; implicit-def: $vgpr133
                                        ; implicit-def: $vgpr134
                                        ; implicit-def: $vgpr135
                                        ; implicit-def: $vgpr136
                                        ; implicit-def: $vgpr137
                                        ; implicit-def: $vgpr138
                                        ; implicit-def: $vgpr139
                                        ; implicit-def: $vgpr140
                                        ; implicit-def: $vgpr141
                                        ; implicit-def: $vgpr142
                                        ; implicit-def: $vgpr143
                                        ; implicit-def: $vgpr144
	s_delay_alu instid0(VALU_DEP_2) | instskip(NEXT) | instid1(VALU_DEP_2)
	v_add_co_u32 v127, vcc_lo, 0x3c0, v124
	v_add_co_ci_u32_e32 v128, vcc_lo, 0, v125, vcc_lo
	s_waitcnt vmcnt(0)
	v_mad_u32_u24 v6, v70, v4, v0
	s_delay_alu instid0(VALU_DEP_1) | instskip(NEXT) | instid1(VALU_DEP_1)
	v_mad_u64_u32 v[4:5], null, v6, s17, v[1:2]
                                        ; implicit-def: $vgpr6_vgpr7
	v_lshrrev_b32_e32 v126, 5, v4
                                        ; implicit-def: $vgpr4_vgpr5
	s_branch .LBB1983_106
.LBB1983_105:                           ;   in Loop: Header=BB1983_106 Depth=2
	s_or_b32 exec_lo, exec_lo, s17
	s_addk_i32 s56, 0xf000
	s_cmp_lt_u32 s57, s53
	s_mov_b32 s34, s57
	s_cbranch_scc0 .LBB1983_314
.LBB1983_106:                           ;   Parent Loop BB1983_20 Depth=1
                                        ; =>  This Inner Loop Header: Depth=2
	s_add_i32 s57, s34, 0x1000
	s_delay_alu instid0(SALU_CYCLE_1)
	s_cmp_gt_u32 s57, s53
	s_cbranch_scc1 .LBB1983_109
; %bb.107:                              ;   in Loop: Header=BB1983_106 Depth=2
	s_mov_b32 s19, 0
	s_mov_b32 s18, s34
	s_movk_i32 s17, 0x1000
	s_lshl_b64 s[20:21], s[18:19], 1
	s_delay_alu instid0(SALU_CYCLE_1)
	v_add_co_u32 v36, vcc_lo, v124, s20
	v_add_co_ci_u32_e32 v37, vcc_lo, s21, v125, vcc_lo
	s_mov_b32 s20, -1
	s_clause 0xe
	global_load_u16 v2, v[36:37], off
	global_load_u16 v146, v[36:37], off offset:64
	global_load_u16 v149, v[36:37], off offset:128
	;; [unrolled: 1-line block ×14, first 2 shown]
	s_cbranch_execz .LBB1983_110
; %bb.108:                              ;   in Loop: Header=BB1983_106 Depth=2
                                        ; implicit-def: $sgpr21
	v_dual_mov_b32 v36, s21 :: v_dual_mov_b32 v145, s56
	s_and_saveexec_b32 s21, s20
	s_cbranch_execnz .LBB1983_141
	s_branch .LBB1983_142
.LBB1983_109:                           ;   in Loop: Header=BB1983_106 Depth=2
	s_mov_b32 s19, -1
	s_mov_b32 s20, 0
                                        ; implicit-def: $sgpr17
                                        ; implicit-def: $vgpr2
                                        ; implicit-def: $vgpr146
                                        ; implicit-def: $vgpr149
                                        ; implicit-def: $vgpr153
                                        ; implicit-def: $vgpr157
                                        ; implicit-def: $vgpr161
                                        ; implicit-def: $vgpr165
                                        ; implicit-def: $vgpr170
                                        ; implicit-def: $vgpr169
                                        ; implicit-def: $vgpr43
                                        ; implicit-def: $vgpr42
                                        ; implicit-def: $vgpr41
                                        ; implicit-def: $vgpr40
                                        ; implicit-def: $vgpr39
                                        ; implicit-def: $vgpr38
.LBB1983_110:                           ;   in Loop: Header=BB1983_106 Depth=2
	s_lshl_b64 s[18:19], s[34:35], 1
	s_waitcnt vmcnt(13)
	v_mov_b32_e32 v146, -1
	v_add_co_u32 v36, vcc_lo, v124, s18
	v_add_co_ci_u32_e32 v37, vcc_lo, s19, v125, vcc_lo
	v_mov_b32_e32 v2, -1
	s_mov_b32 s17, exec_lo
	v_cmpx_gt_u32_e64 s56, v106
	s_cbranch_execz .LBB1983_112
; %bb.111:                              ;   in Loop: Header=BB1983_106 Depth=2
	global_load_u16 v2, v[36:37], off
.LBB1983_112:                           ;   in Loop: Header=BB1983_106 Depth=2
	s_or_b32 exec_lo, exec_lo, s17
	s_delay_alu instid0(SALU_CYCLE_1)
	s_mov_b32 s17, exec_lo
	v_cmpx_gt_u32_e64 s56, v109
	s_cbranch_execz .LBB1983_114
; %bb.113:                              ;   in Loop: Header=BB1983_106 Depth=2
	global_load_u16 v146, v[36:37], off offset:64
.LBB1983_114:                           ;   in Loop: Header=BB1983_106 Depth=2
	s_or_b32 exec_lo, exec_lo, s17
	s_waitcnt vmcnt(11)
	v_mov_b32_e32 v153, -1
	v_mov_b32_e32 v149, -1
	s_mov_b32 s17, exec_lo
	v_cmpx_gt_u32_e64 s56, v110
	s_cbranch_execz .LBB1983_116
; %bb.115:                              ;   in Loop: Header=BB1983_106 Depth=2
	global_load_u16 v149, v[36:37], off offset:128
.LBB1983_116:                           ;   in Loop: Header=BB1983_106 Depth=2
	s_or_b32 exec_lo, exec_lo, s17
	s_delay_alu instid0(SALU_CYCLE_1)
	s_mov_b32 s17, exec_lo
	v_cmpx_gt_u32_e64 s56, v111
	s_cbranch_execz .LBB1983_118
; %bb.117:                              ;   in Loop: Header=BB1983_106 Depth=2
	global_load_u16 v153, v[36:37], off offset:192
.LBB1983_118:                           ;   in Loop: Header=BB1983_106 Depth=2
	s_or_b32 exec_lo, exec_lo, s17
	s_waitcnt vmcnt(9)
	v_mov_b32_e32 v161, -1
	v_mov_b32_e32 v157, -1
	s_mov_b32 s17, exec_lo
	v_cmpx_gt_u32_e64 s56, v112
	s_cbranch_execz .LBB1983_120
; %bb.119:                              ;   in Loop: Header=BB1983_106 Depth=2
	global_load_u16 v157, v[36:37], off offset:256
.LBB1983_120:                           ;   in Loop: Header=BB1983_106 Depth=2
	s_or_b32 exec_lo, exec_lo, s17
	s_delay_alu instid0(SALU_CYCLE_1)
	s_mov_b32 s17, exec_lo
	v_cmpx_gt_u32_e64 s56, v113
	s_cbranch_execz .LBB1983_122
; %bb.121:                              ;   in Loop: Header=BB1983_106 Depth=2
	global_load_u16 v161, v[36:37], off offset:320
.LBB1983_122:                           ;   in Loop: Header=BB1983_106 Depth=2
	s_or_b32 exec_lo, exec_lo, s17
	s_waitcnt vmcnt(7)
	v_dual_mov_b32 v170, -1 :: v_dual_mov_b32 v165, -1
	s_mov_b32 s17, exec_lo
	v_cmpx_gt_u32_e64 s56, v114
	s_cbranch_execz .LBB1983_124
; %bb.123:                              ;   in Loop: Header=BB1983_106 Depth=2
	global_load_u16 v165, v[36:37], off offset:384
.LBB1983_124:                           ;   in Loop: Header=BB1983_106 Depth=2
	s_or_b32 exec_lo, exec_lo, s17
	s_delay_alu instid0(SALU_CYCLE_1)
	s_mov_b32 s17, exec_lo
	v_cmpx_gt_u32_e64 s56, v115
	s_cbranch_execz .LBB1983_126
; %bb.125:                              ;   in Loop: Header=BB1983_106 Depth=2
	global_load_u16 v170, v[36:37], off offset:448
.LBB1983_126:                           ;   in Loop: Header=BB1983_106 Depth=2
	s_or_b32 exec_lo, exec_lo, s17
	s_waitcnt vmcnt(5)
	v_mov_b32_e32 v43, -1
	v_mov_b32_e32 v169, -1
	s_mov_b32 s17, exec_lo
	v_cmpx_gt_u32_e64 s56, v116
	s_cbranch_execz .LBB1983_128
; %bb.127:                              ;   in Loop: Header=BB1983_106 Depth=2
	global_load_u16 v169, v[36:37], off offset:512
.LBB1983_128:                           ;   in Loop: Header=BB1983_106 Depth=2
	s_or_b32 exec_lo, exec_lo, s17
	s_delay_alu instid0(SALU_CYCLE_1)
	s_mov_b32 s17, exec_lo
	v_cmpx_gt_u32_e64 s56, v117
	s_cbranch_execz .LBB1983_130
; %bb.129:                              ;   in Loop: Header=BB1983_106 Depth=2
	global_load_u16 v43, v[36:37], off offset:576
.LBB1983_130:                           ;   in Loop: Header=BB1983_106 Depth=2
	s_or_b32 exec_lo, exec_lo, s17
	s_waitcnt vmcnt(3)
	v_dual_mov_b32 v41, -1 :: v_dual_mov_b32 v42, -1
	s_mov_b32 s17, exec_lo
	v_cmpx_gt_u32_e64 s56, v118
	s_cbranch_execz .LBB1983_132
; %bb.131:                              ;   in Loop: Header=BB1983_106 Depth=2
	global_load_u16 v42, v[36:37], off offset:640
.LBB1983_132:                           ;   in Loop: Header=BB1983_106 Depth=2
	s_or_b32 exec_lo, exec_lo, s17
	s_delay_alu instid0(SALU_CYCLE_1)
	s_mov_b32 s17, exec_lo
	v_cmpx_gt_u32_e64 s56, v119
	s_cbranch_execz .LBB1983_134
; %bb.133:                              ;   in Loop: Header=BB1983_106 Depth=2
	global_load_u16 v41, v[36:37], off offset:704
.LBB1983_134:                           ;   in Loop: Header=BB1983_106 Depth=2
	s_or_b32 exec_lo, exec_lo, s17
	s_waitcnt vmcnt(1)
	v_dual_mov_b32 v39, -1 :: v_dual_mov_b32 v40, -1
	s_mov_b32 s17, exec_lo
	v_cmpx_gt_u32_e64 s56, v120
	s_cbranch_execz .LBB1983_136
; %bb.135:                              ;   in Loop: Header=BB1983_106 Depth=2
	global_load_u16 v40, v[36:37], off offset:768
.LBB1983_136:                           ;   in Loop: Header=BB1983_106 Depth=2
	s_or_b32 exec_lo, exec_lo, s17
	s_delay_alu instid0(SALU_CYCLE_1)
	s_mov_b32 s17, exec_lo
	v_cmpx_gt_u32_e64 s56, v121
	s_cbranch_execz .LBB1983_138
; %bb.137:                              ;   in Loop: Header=BB1983_106 Depth=2
	global_load_u16 v39, v[36:37], off offset:832
.LBB1983_138:                           ;   in Loop: Header=BB1983_106 Depth=2
	s_or_b32 exec_lo, exec_lo, s17
	s_waitcnt vmcnt(0)
	v_mov_b32_e32 v38, -1
	s_mov_b32 s17, exec_lo
	v_cmpx_gt_u32_e64 s56, v122
	s_cbranch_execz .LBB1983_140
; %bb.139:                              ;   in Loop: Header=BB1983_106 Depth=2
	global_load_u16 v38, v[36:37], off offset:896
.LBB1983_140:                           ;   in Loop: Header=BB1983_106 Depth=2
	s_or_b32 exec_lo, exec_lo, s17
	v_cmp_gt_u32_e64 s20, s56, v123
	s_sub_i32 s17, s53, s34
	s_mov_b32 s21, -1
	s_mov_b64 s[18:19], s[34:35]
	v_dual_mov_b32 v36, s21 :: v_dual_mov_b32 v145, s56
	s_and_saveexec_b32 s21, s20
	s_cbranch_execz .LBB1983_142
.LBB1983_141:                           ;   in Loop: Header=BB1983_106 Depth=2
	s_lshl_b64 s[18:19], s[18:19], 1
	v_mov_b32_e32 v145, s17
	v_add_co_u32 v36, vcc_lo, v127, s18
	v_add_co_ci_u32_e32 v37, vcc_lo, s19, v128, vcc_lo
	global_load_u16 v36, v[36:37], off
.LBB1983_142:                           ;   in Loop: Header=BB1983_106 Depth=2
	s_or_b32 exec_lo, exec_lo, s21
	s_waitcnt vmcnt(14)
	v_cmp_gt_i16_e32 vcc_lo, 0, v2
	ds_store_b32 v69, v3 offset:1056
	ds_store_2addr_b32 v71, v3, v3 offset0:1 offset1:2
	ds_store_2addr_b32 v71, v3, v3 offset0:3 offset1:4
	;; [unrolled: 1-line block ×4, first 2 shown]
	s_waitcnt vmcnt(0) lgkmcnt(0)
	s_barrier
	v_cndmask_b32_e64 v37, 0x7fff, 0, vcc_lo
	buffer_gl0_inv
	; wave barrier
	v_xor_b32_e32 v2, v37, v2
	s_delay_alu instid0(VALU_DEP_1) | instskip(SKIP_1) | instid1(VALU_DEP_1)
	v_cmp_ne_u16_e32 vcc_lo, 0x8000, v2
	v_cndmask_b32_e32 v37, 0x7fff, v2, vcc_lo
	v_and_b32_e32 v37, 0xffff, v37
	s_delay_alu instid0(VALU_DEP_1) | instskip(NEXT) | instid1(VALU_DEP_1)
	v_lshrrev_b32_e32 v37, s48, v37
	v_and_b32_e32 v148, s55, v37
	s_delay_alu instid0(VALU_DEP_1)
	v_lshlrev_b32_e32 v150, 29, v148
	v_and_b32_e32 v37, 1, v148
	v_lshlrev_b32_e32 v147, 30, v148
	v_lshlrev_b32_e32 v151, 28, v148
	;; [unrolled: 1-line block ×4, first 2 shown]
	v_add_co_u32 v37, s17, v37, -1
	s_delay_alu instid0(VALU_DEP_1)
	v_cndmask_b32_e64 v152, 0, 1, s17
	v_not_b32_e32 v158, v147
	v_cmp_gt_i32_e64 s17, 0, v147
	v_not_b32_e32 v147, v150
	v_lshlrev_b32_e32 v156, 25, v148
	v_cmp_ne_u32_e32 vcc_lo, 0, v152
	v_ashrrev_i32_e32 v158, 31, v158
	v_lshlrev_b32_e32 v152, 24, v148
	v_ashrrev_i32_e32 v147, 31, v147
	v_mad_u32_u24 v148, v148, 9, v126
	v_xor_b32_e32 v37, vcc_lo, v37
	v_cmp_gt_i32_e32 vcc_lo, 0, v150
	v_not_b32_e32 v150, v151
	v_xor_b32_e32 v158, s17, v158
	v_cmp_gt_i32_e64 s17, 0, v151
	v_and_b32_e32 v37, exec_lo, v37
	v_not_b32_e32 v151, v154
	v_ashrrev_i32_e32 v150, 31, v150
	v_xor_b32_e32 v147, vcc_lo, v147
	v_cmp_gt_i32_e32 vcc_lo, 0, v154
	v_and_b32_e32 v37, v37, v158
	v_not_b32_e32 v154, v155
	v_ashrrev_i32_e32 v151, 31, v151
	v_xor_b32_e32 v150, s17, v150
	v_cmp_gt_i32_e64 s17, 0, v155
	v_and_b32_e32 v37, v37, v147
	v_not_b32_e32 v147, v156
	v_ashrrev_i32_e32 v154, 31, v154
	v_xor_b32_e32 v151, vcc_lo, v151
	v_cmp_gt_i32_e32 vcc_lo, 0, v156
	v_and_b32_e32 v37, v37, v150
	v_not_b32_e32 v150, v152
	v_ashrrev_i32_e32 v147, 31, v147
	v_xor_b32_e32 v154, s17, v154
	v_cmp_gt_i32_e64 s17, 0, v152
	v_and_b32_e32 v37, v37, v151
	v_ashrrev_i32_e32 v150, 31, v150
	v_xor_b32_e32 v147, vcc_lo, v147
	v_lshl_add_u32 v148, v148, 2, 0x420
	s_delay_alu instid0(VALU_DEP_4) | instskip(NEXT) | instid1(VALU_DEP_4)
	v_and_b32_e32 v37, v37, v154
	v_xor_b32_e32 v150, s17, v150
	s_delay_alu instid0(VALU_DEP_2) | instskip(NEXT) | instid1(VALU_DEP_1)
	v_and_b32_e32 v37, v37, v147
	v_and_b32_e32 v37, v37, v150
	s_delay_alu instid0(VALU_DEP_1) | instskip(SKIP_1) | instid1(VALU_DEP_2)
	v_mbcnt_lo_u32_b32 v147, v37, 0
	v_cmp_ne_u32_e64 s17, 0, v37
	v_cmp_eq_u32_e32 vcc_lo, 0, v147
	s_delay_alu instid0(VALU_DEP_2) | instskip(NEXT) | instid1(SALU_CYCLE_1)
	s_and_b32 s18, s17, vcc_lo
	s_and_saveexec_b32 s17, s18
	s_cbranch_execz .LBB1983_144
; %bb.143:                              ;   in Loop: Header=BB1983_106 Depth=2
	v_bcnt_u32_b32 v37, v37, 0
	ds_store_b32 v148, v37
.LBB1983_144:                           ;   in Loop: Header=BB1983_106 Depth=2
	s_or_b32 exec_lo, exec_lo, s17
	v_cmp_gt_i16_e64 vcc_lo, 0, v146
	; wave barrier
	s_delay_alu instid0(VALU_DEP_1) | instskip(NEXT) | instid1(VALU_DEP_1)
	v_cndmask_b32_e64 v37, 0x7fff, 0, vcc_lo
	v_xor_b32_e32 v146, v37, v146
	s_delay_alu instid0(VALU_DEP_1) | instskip(SKIP_1) | instid1(VALU_DEP_1)
	v_cmp_ne_u16_e64 vcc_lo, 0x8000, v146
	v_cndmask_b32_e32 v37, 0x7fff, v146, vcc_lo
	v_and_b32_e32 v37, 0xffff, v37
	s_delay_alu instid0(VALU_DEP_1) | instskip(NEXT) | instid1(VALU_DEP_1)
	v_lshrrev_b32_e32 v37, s48, v37
	v_and_b32_e32 v37, s55, v37
	s_delay_alu instid0(VALU_DEP_1)
	v_and_b32_e32 v150, 1, v37
	v_lshlrev_b32_e32 v151, 30, v37
	v_lshlrev_b32_e32 v152, 29, v37
	;; [unrolled: 1-line block ×4, first 2 shown]
	v_add_co_u32 v150, s17, v150, -1
	s_delay_alu instid0(VALU_DEP_1)
	v_cndmask_b32_e64 v155, 0, 1, s17
	v_not_b32_e32 v160, v151
	v_cmp_gt_i32_e64 s17, 0, v151
	v_not_b32_e32 v151, v152
	v_lshlrev_b32_e32 v158, 26, v37
	v_cmp_ne_u32_e32 vcc_lo, 0, v155
	v_ashrrev_i32_e32 v160, 31, v160
	v_lshlrev_b32_e32 v159, 25, v37
	v_ashrrev_i32_e32 v151, 31, v151
	v_lshlrev_b32_e32 v155, 24, v37
	v_xor_b32_e32 v150, vcc_lo, v150
	v_cmp_gt_i32_e32 vcc_lo, 0, v152
	v_not_b32_e32 v152, v154
	v_xor_b32_e32 v160, s17, v160
	v_cmp_gt_i32_e64 s17, 0, v154
	v_and_b32_e32 v150, exec_lo, v150
	v_not_b32_e32 v154, v156
	v_ashrrev_i32_e32 v152, 31, v152
	v_xor_b32_e32 v151, vcc_lo, v151
	v_cmp_gt_i32_e32 vcc_lo, 0, v156
	v_and_b32_e32 v150, v150, v160
	v_not_b32_e32 v156, v158
	v_ashrrev_i32_e32 v154, 31, v154
	v_xor_b32_e32 v152, s17, v152
	v_cmp_gt_i32_e64 s17, 0, v158
	v_and_b32_e32 v150, v150, v151
	v_not_b32_e32 v151, v159
	v_ashrrev_i32_e32 v156, 31, v156
	v_xor_b32_e32 v154, vcc_lo, v154
	v_cmp_gt_i32_e32 vcc_lo, 0, v159
	v_and_b32_e32 v150, v150, v152
	v_not_b32_e32 v152, v155
	v_ashrrev_i32_e32 v151, 31, v151
	v_xor_b32_e32 v156, s17, v156
	v_mul_u32_u24_e32 v37, 9, v37
	v_and_b32_e32 v150, v150, v154
	v_cmp_gt_i32_e64 s17, 0, v155
	v_ashrrev_i32_e32 v152, 31, v152
	v_xor_b32_e32 v151, vcc_lo, v151
	v_add_lshl_u32 v154, v37, v126, 2
	v_and_b32_e32 v150, v150, v156
	s_delay_alu instid0(VALU_DEP_4) | instskip(NEXT) | instid1(VALU_DEP_3)
	v_xor_b32_e32 v37, s17, v152
	v_add_nc_u32_e32 v152, 0x420, v154
	s_delay_alu instid0(VALU_DEP_3) | instskip(SKIP_2) | instid1(VALU_DEP_1)
	v_and_b32_e32 v151, v150, v151
	ds_load_b32 v150, v154 offset:1056
	; wave barrier
	v_and_b32_e32 v37, v151, v37
	v_mbcnt_lo_u32_b32 v151, v37, 0
	v_cmp_ne_u32_e64 s17, 0, v37
	s_delay_alu instid0(VALU_DEP_2) | instskip(NEXT) | instid1(VALU_DEP_2)
	v_cmp_eq_u32_e32 vcc_lo, 0, v151
	s_and_b32 s18, s17, vcc_lo
	s_delay_alu instid0(SALU_CYCLE_1)
	s_and_saveexec_b32 s17, s18
	s_cbranch_execz .LBB1983_146
; %bb.145:                              ;   in Loop: Header=BB1983_106 Depth=2
	s_waitcnt lgkmcnt(0)
	v_bcnt_u32_b32 v37, v37, v150
	ds_store_b32 v152, v37
.LBB1983_146:                           ;   in Loop: Header=BB1983_106 Depth=2
	s_or_b32 exec_lo, exec_lo, s17
	v_cmp_gt_i16_e64 vcc_lo, 0, v149
	; wave barrier
	s_delay_alu instid0(VALU_DEP_1) | instskip(NEXT) | instid1(VALU_DEP_1)
	v_cndmask_b32_e64 v37, 0x7fff, 0, vcc_lo
	v_xor_b32_e32 v149, v37, v149
	s_delay_alu instid0(VALU_DEP_1) | instskip(SKIP_1) | instid1(VALU_DEP_1)
	v_cmp_ne_u16_e64 vcc_lo, 0x8000, v149
	v_cndmask_b32_e32 v37, 0x7fff, v149, vcc_lo
	v_and_b32_e32 v37, 0xffff, v37
	s_delay_alu instid0(VALU_DEP_1) | instskip(NEXT) | instid1(VALU_DEP_1)
	v_lshrrev_b32_e32 v37, s48, v37
	v_and_b32_e32 v37, s55, v37
	s_delay_alu instid0(VALU_DEP_1)
	v_and_b32_e32 v154, 1, v37
	v_lshlrev_b32_e32 v155, 30, v37
	v_lshlrev_b32_e32 v156, 29, v37
	;; [unrolled: 1-line block ×4, first 2 shown]
	v_add_co_u32 v154, s17, v154, -1
	s_delay_alu instid0(VALU_DEP_1)
	v_cndmask_b32_e64 v159, 0, 1, s17
	v_not_b32_e32 v164, v155
	v_cmp_gt_i32_e64 s17, 0, v155
	v_not_b32_e32 v155, v156
	v_lshlrev_b32_e32 v162, 26, v37
	v_cmp_ne_u32_e32 vcc_lo, 0, v159
	v_ashrrev_i32_e32 v164, 31, v164
	v_lshlrev_b32_e32 v163, 25, v37
	v_ashrrev_i32_e32 v155, 31, v155
	v_lshlrev_b32_e32 v159, 24, v37
	v_xor_b32_e32 v154, vcc_lo, v154
	v_cmp_gt_i32_e32 vcc_lo, 0, v156
	v_not_b32_e32 v156, v158
	v_xor_b32_e32 v164, s17, v164
	v_cmp_gt_i32_e64 s17, 0, v158
	v_and_b32_e32 v154, exec_lo, v154
	v_not_b32_e32 v158, v160
	v_ashrrev_i32_e32 v156, 31, v156
	v_xor_b32_e32 v155, vcc_lo, v155
	v_cmp_gt_i32_e32 vcc_lo, 0, v160
	v_and_b32_e32 v154, v154, v164
	v_not_b32_e32 v160, v162
	v_ashrrev_i32_e32 v158, 31, v158
	v_xor_b32_e32 v156, s17, v156
	v_cmp_gt_i32_e64 s17, 0, v162
	v_and_b32_e32 v154, v154, v155
	v_not_b32_e32 v155, v163
	v_ashrrev_i32_e32 v160, 31, v160
	v_xor_b32_e32 v158, vcc_lo, v158
	v_cmp_gt_i32_e32 vcc_lo, 0, v163
	v_and_b32_e32 v154, v154, v156
	v_not_b32_e32 v156, v159
	v_ashrrev_i32_e32 v155, 31, v155
	v_xor_b32_e32 v160, s17, v160
	v_mul_u32_u24_e32 v37, 9, v37
	v_and_b32_e32 v154, v154, v158
	v_cmp_gt_i32_e64 s17, 0, v159
	v_ashrrev_i32_e32 v156, 31, v156
	v_xor_b32_e32 v155, vcc_lo, v155
	v_add_lshl_u32 v158, v37, v126, 2
	v_and_b32_e32 v154, v154, v160
	s_delay_alu instid0(VALU_DEP_4) | instskip(NEXT) | instid1(VALU_DEP_3)
	v_xor_b32_e32 v37, s17, v156
	v_add_nc_u32_e32 v156, 0x420, v158
	s_delay_alu instid0(VALU_DEP_3) | instskip(SKIP_2) | instid1(VALU_DEP_1)
	v_and_b32_e32 v155, v154, v155
	ds_load_b32 v154, v158 offset:1056
	; wave barrier
	v_and_b32_e32 v37, v155, v37
	v_mbcnt_lo_u32_b32 v155, v37, 0
	v_cmp_ne_u32_e64 s17, 0, v37
	s_delay_alu instid0(VALU_DEP_2) | instskip(NEXT) | instid1(VALU_DEP_2)
	v_cmp_eq_u32_e32 vcc_lo, 0, v155
	s_and_b32 s18, s17, vcc_lo
	s_delay_alu instid0(SALU_CYCLE_1)
	s_and_saveexec_b32 s17, s18
	s_cbranch_execz .LBB1983_148
; %bb.147:                              ;   in Loop: Header=BB1983_106 Depth=2
	s_waitcnt lgkmcnt(0)
	v_bcnt_u32_b32 v37, v37, v154
	ds_store_b32 v156, v37
.LBB1983_148:                           ;   in Loop: Header=BB1983_106 Depth=2
	s_or_b32 exec_lo, exec_lo, s17
	v_cmp_gt_i16_e64 vcc_lo, 0, v153
	; wave barrier
	s_delay_alu instid0(VALU_DEP_1) | instskip(NEXT) | instid1(VALU_DEP_1)
	v_cndmask_b32_e64 v37, 0x7fff, 0, vcc_lo
	v_xor_b32_e32 v153, v37, v153
	s_delay_alu instid0(VALU_DEP_1) | instskip(SKIP_1) | instid1(VALU_DEP_1)
	v_cmp_ne_u16_e64 vcc_lo, 0x8000, v153
	v_cndmask_b32_e32 v37, 0x7fff, v153, vcc_lo
	v_and_b32_e32 v37, 0xffff, v37
	s_delay_alu instid0(VALU_DEP_1) | instskip(NEXT) | instid1(VALU_DEP_1)
	v_lshrrev_b32_e32 v37, s48, v37
	v_and_b32_e32 v37, s55, v37
	s_delay_alu instid0(VALU_DEP_1)
	v_and_b32_e32 v158, 1, v37
	v_lshlrev_b32_e32 v159, 30, v37
	v_lshlrev_b32_e32 v160, 29, v37
	;; [unrolled: 1-line block ×4, first 2 shown]
	v_add_co_u32 v158, s17, v158, -1
	s_delay_alu instid0(VALU_DEP_1)
	v_cndmask_b32_e64 v163, 0, 1, s17
	v_not_b32_e32 v168, v159
	v_cmp_gt_i32_e64 s17, 0, v159
	v_not_b32_e32 v159, v160
	v_lshlrev_b32_e32 v166, 26, v37
	v_cmp_ne_u32_e32 vcc_lo, 0, v163
	v_ashrrev_i32_e32 v168, 31, v168
	v_lshlrev_b32_e32 v167, 25, v37
	v_ashrrev_i32_e32 v159, 31, v159
	v_lshlrev_b32_e32 v163, 24, v37
	v_xor_b32_e32 v158, vcc_lo, v158
	v_cmp_gt_i32_e32 vcc_lo, 0, v160
	v_not_b32_e32 v160, v162
	v_xor_b32_e32 v168, s17, v168
	v_cmp_gt_i32_e64 s17, 0, v162
	v_and_b32_e32 v158, exec_lo, v158
	v_not_b32_e32 v162, v164
	v_ashrrev_i32_e32 v160, 31, v160
	v_xor_b32_e32 v159, vcc_lo, v159
	v_cmp_gt_i32_e32 vcc_lo, 0, v164
	v_and_b32_e32 v158, v158, v168
	v_not_b32_e32 v164, v166
	v_ashrrev_i32_e32 v162, 31, v162
	v_xor_b32_e32 v160, s17, v160
	v_cmp_gt_i32_e64 s17, 0, v166
	v_and_b32_e32 v158, v158, v159
	v_not_b32_e32 v159, v167
	v_ashrrev_i32_e32 v164, 31, v164
	v_xor_b32_e32 v162, vcc_lo, v162
	v_cmp_gt_i32_e32 vcc_lo, 0, v167
	v_and_b32_e32 v158, v158, v160
	v_not_b32_e32 v160, v163
	v_ashrrev_i32_e32 v159, 31, v159
	v_xor_b32_e32 v164, s17, v164
	v_mul_u32_u24_e32 v37, 9, v37
	v_and_b32_e32 v158, v158, v162
	v_cmp_gt_i32_e64 s17, 0, v163
	v_ashrrev_i32_e32 v160, 31, v160
	v_xor_b32_e32 v159, vcc_lo, v159
	v_add_lshl_u32 v162, v37, v126, 2
	v_and_b32_e32 v158, v158, v164
	s_delay_alu instid0(VALU_DEP_4) | instskip(NEXT) | instid1(VALU_DEP_3)
	v_xor_b32_e32 v37, s17, v160
	v_add_nc_u32_e32 v160, 0x420, v162
	s_delay_alu instid0(VALU_DEP_3) | instskip(SKIP_2) | instid1(VALU_DEP_1)
	v_and_b32_e32 v159, v158, v159
	ds_load_b32 v158, v162 offset:1056
	; wave barrier
	v_and_b32_e32 v37, v159, v37
	v_mbcnt_lo_u32_b32 v159, v37, 0
	v_cmp_ne_u32_e64 s17, 0, v37
	s_delay_alu instid0(VALU_DEP_2) | instskip(NEXT) | instid1(VALU_DEP_2)
	v_cmp_eq_u32_e32 vcc_lo, 0, v159
	s_and_b32 s18, s17, vcc_lo
	s_delay_alu instid0(SALU_CYCLE_1)
	s_and_saveexec_b32 s17, s18
	s_cbranch_execz .LBB1983_150
; %bb.149:                              ;   in Loop: Header=BB1983_106 Depth=2
	s_waitcnt lgkmcnt(0)
	v_bcnt_u32_b32 v37, v37, v158
	ds_store_b32 v160, v37
.LBB1983_150:                           ;   in Loop: Header=BB1983_106 Depth=2
	s_or_b32 exec_lo, exec_lo, s17
	v_cmp_gt_i16_e64 vcc_lo, 0, v157
	; wave barrier
	s_delay_alu instid0(VALU_DEP_1) | instskip(NEXT) | instid1(VALU_DEP_1)
	v_cndmask_b32_e64 v37, 0x7fff, 0, vcc_lo
	v_xor_b32_e32 v157, v37, v157
	s_delay_alu instid0(VALU_DEP_1) | instskip(SKIP_1) | instid1(VALU_DEP_1)
	v_cmp_ne_u16_e64 vcc_lo, 0x8000, v157
	v_cndmask_b32_e32 v37, 0x7fff, v157, vcc_lo
	v_and_b32_e32 v37, 0xffff, v37
	s_delay_alu instid0(VALU_DEP_1) | instskip(NEXT) | instid1(VALU_DEP_1)
	v_lshrrev_b32_e32 v37, s48, v37
	v_and_b32_e32 v37, s55, v37
	s_delay_alu instid0(VALU_DEP_1)
	v_and_b32_e32 v162, 1, v37
	v_lshlrev_b32_e32 v163, 30, v37
	v_lshlrev_b32_e32 v164, 29, v37
	;; [unrolled: 1-line block ×4, first 2 shown]
	v_add_co_u32 v162, s17, v162, -1
	s_delay_alu instid0(VALU_DEP_1)
	v_cndmask_b32_e64 v167, 0, 1, s17
	v_not_b32_e32 v173, v163
	v_cmp_gt_i32_e64 s17, 0, v163
	v_not_b32_e32 v163, v164
	v_lshlrev_b32_e32 v171, 26, v37
	v_cmp_ne_u32_e32 vcc_lo, 0, v167
	v_ashrrev_i32_e32 v173, 31, v173
	v_lshlrev_b32_e32 v172, 25, v37
	v_ashrrev_i32_e32 v163, 31, v163
	v_lshlrev_b32_e32 v167, 24, v37
	v_xor_b32_e32 v162, vcc_lo, v162
	v_cmp_gt_i32_e32 vcc_lo, 0, v164
	v_not_b32_e32 v164, v166
	v_xor_b32_e32 v173, s17, v173
	v_cmp_gt_i32_e64 s17, 0, v166
	v_and_b32_e32 v162, exec_lo, v162
	v_not_b32_e32 v166, v168
	v_ashrrev_i32_e32 v164, 31, v164
	v_xor_b32_e32 v163, vcc_lo, v163
	v_cmp_gt_i32_e32 vcc_lo, 0, v168
	v_and_b32_e32 v162, v162, v173
	v_not_b32_e32 v168, v171
	v_ashrrev_i32_e32 v166, 31, v166
	v_xor_b32_e32 v164, s17, v164
	v_cmp_gt_i32_e64 s17, 0, v171
	v_and_b32_e32 v162, v162, v163
	v_not_b32_e32 v163, v172
	v_ashrrev_i32_e32 v168, 31, v168
	v_xor_b32_e32 v166, vcc_lo, v166
	v_cmp_gt_i32_e32 vcc_lo, 0, v172
	v_and_b32_e32 v162, v162, v164
	v_not_b32_e32 v164, v167
	v_ashrrev_i32_e32 v163, 31, v163
	v_xor_b32_e32 v168, s17, v168
	v_mul_u32_u24_e32 v37, 9, v37
	v_and_b32_e32 v162, v162, v166
	v_cmp_gt_i32_e64 s17, 0, v167
	v_ashrrev_i32_e32 v164, 31, v164
	v_xor_b32_e32 v163, vcc_lo, v163
	v_add_lshl_u32 v166, v37, v126, 2
	v_and_b32_e32 v162, v162, v168
	s_delay_alu instid0(VALU_DEP_4) | instskip(NEXT) | instid1(VALU_DEP_3)
	v_xor_b32_e32 v37, s17, v164
	v_add_nc_u32_e32 v164, 0x420, v166
	s_delay_alu instid0(VALU_DEP_3) | instskip(SKIP_2) | instid1(VALU_DEP_1)
	v_and_b32_e32 v163, v162, v163
	ds_load_b32 v162, v166 offset:1056
	; wave barrier
	v_and_b32_e32 v37, v163, v37
	v_mbcnt_lo_u32_b32 v163, v37, 0
	v_cmp_ne_u32_e64 s17, 0, v37
	s_delay_alu instid0(VALU_DEP_2) | instskip(NEXT) | instid1(VALU_DEP_2)
	v_cmp_eq_u32_e32 vcc_lo, 0, v163
	s_and_b32 s18, s17, vcc_lo
	s_delay_alu instid0(SALU_CYCLE_1)
	s_and_saveexec_b32 s17, s18
	s_cbranch_execz .LBB1983_152
; %bb.151:                              ;   in Loop: Header=BB1983_106 Depth=2
	s_waitcnt lgkmcnt(0)
	v_bcnt_u32_b32 v37, v37, v162
	ds_store_b32 v164, v37
.LBB1983_152:                           ;   in Loop: Header=BB1983_106 Depth=2
	s_or_b32 exec_lo, exec_lo, s17
	v_cmp_gt_i16_e64 vcc_lo, 0, v161
	; wave barrier
	s_delay_alu instid0(VALU_DEP_1) | instskip(NEXT) | instid1(VALU_DEP_1)
	v_cndmask_b32_e64 v37, 0x7fff, 0, vcc_lo
	v_xor_b32_e32 v161, v37, v161
	s_delay_alu instid0(VALU_DEP_1) | instskip(SKIP_1) | instid1(VALU_DEP_1)
	v_cmp_ne_u16_e64 vcc_lo, 0x8000, v161
	v_cndmask_b32_e32 v37, 0x7fff, v161, vcc_lo
	v_and_b32_e32 v37, 0xffff, v37
	s_delay_alu instid0(VALU_DEP_1) | instskip(NEXT) | instid1(VALU_DEP_1)
	v_lshrrev_b32_e32 v37, s48, v37
	v_and_b32_e32 v37, s55, v37
	s_delay_alu instid0(VALU_DEP_1)
	v_and_b32_e32 v166, 1, v37
	v_lshlrev_b32_e32 v167, 30, v37
	v_lshlrev_b32_e32 v168, 29, v37
	;; [unrolled: 1-line block ×4, first 2 shown]
	v_add_co_u32 v166, s17, v166, -1
	s_delay_alu instid0(VALU_DEP_1)
	v_cndmask_b32_e64 v172, 0, 1, s17
	v_not_b32_e32 v176, v167
	v_cmp_gt_i32_e64 s17, 0, v167
	v_not_b32_e32 v167, v168
	v_lshlrev_b32_e32 v174, 26, v37
	v_cmp_ne_u32_e32 vcc_lo, 0, v172
	v_ashrrev_i32_e32 v176, 31, v176
	v_lshlrev_b32_e32 v175, 25, v37
	v_ashrrev_i32_e32 v167, 31, v167
	v_lshlrev_b32_e32 v172, 24, v37
	v_xor_b32_e32 v166, vcc_lo, v166
	v_cmp_gt_i32_e32 vcc_lo, 0, v168
	v_not_b32_e32 v168, v171
	v_xor_b32_e32 v176, s17, v176
	v_cmp_gt_i32_e64 s17, 0, v171
	v_and_b32_e32 v166, exec_lo, v166
	v_not_b32_e32 v171, v173
	v_ashrrev_i32_e32 v168, 31, v168
	v_xor_b32_e32 v167, vcc_lo, v167
	v_cmp_gt_i32_e32 vcc_lo, 0, v173
	v_and_b32_e32 v166, v166, v176
	v_not_b32_e32 v173, v174
	v_ashrrev_i32_e32 v171, 31, v171
	v_xor_b32_e32 v168, s17, v168
	v_cmp_gt_i32_e64 s17, 0, v174
	v_and_b32_e32 v166, v166, v167
	v_not_b32_e32 v167, v175
	v_ashrrev_i32_e32 v173, 31, v173
	v_xor_b32_e32 v171, vcc_lo, v171
	v_cmp_gt_i32_e32 vcc_lo, 0, v175
	v_and_b32_e32 v166, v166, v168
	v_not_b32_e32 v168, v172
	v_ashrrev_i32_e32 v167, 31, v167
	v_xor_b32_e32 v173, s17, v173
	v_mul_u32_u24_e32 v37, 9, v37
	v_and_b32_e32 v166, v166, v171
	v_cmp_gt_i32_e64 s17, 0, v172
	v_ashrrev_i32_e32 v168, 31, v168
	v_xor_b32_e32 v167, vcc_lo, v167
	v_add_lshl_u32 v171, v37, v126, 2
	v_and_b32_e32 v166, v166, v173
	s_delay_alu instid0(VALU_DEP_4) | instskip(NEXT) | instid1(VALU_DEP_3)
	v_xor_b32_e32 v37, s17, v168
	v_add_nc_u32_e32 v168, 0x420, v171
	s_delay_alu instid0(VALU_DEP_3) | instskip(SKIP_2) | instid1(VALU_DEP_1)
	v_and_b32_e32 v167, v166, v167
	ds_load_b32 v166, v171 offset:1056
	; wave barrier
	v_and_b32_e32 v37, v167, v37
	v_mbcnt_lo_u32_b32 v167, v37, 0
	v_cmp_ne_u32_e64 s17, 0, v37
	s_delay_alu instid0(VALU_DEP_2) | instskip(NEXT) | instid1(VALU_DEP_2)
	v_cmp_eq_u32_e32 vcc_lo, 0, v167
	s_and_b32 s18, s17, vcc_lo
	s_delay_alu instid0(SALU_CYCLE_1)
	s_and_saveexec_b32 s17, s18
	s_cbranch_execz .LBB1983_154
; %bb.153:                              ;   in Loop: Header=BB1983_106 Depth=2
	s_waitcnt lgkmcnt(0)
	v_bcnt_u32_b32 v37, v37, v166
	ds_store_b32 v168, v37
.LBB1983_154:                           ;   in Loop: Header=BB1983_106 Depth=2
	s_or_b32 exec_lo, exec_lo, s17
	v_cmp_gt_i16_e64 vcc_lo, 0, v165
	; wave barrier
	s_delay_alu instid0(VALU_DEP_1) | instskip(NEXT) | instid1(VALU_DEP_1)
	v_cndmask_b32_e64 v37, 0x7fff, 0, vcc_lo
	v_xor_b32_e32 v165, v37, v165
	s_delay_alu instid0(VALU_DEP_1) | instskip(SKIP_1) | instid1(VALU_DEP_1)
	v_cmp_ne_u16_e64 vcc_lo, 0x8000, v165
	v_cndmask_b32_e32 v37, 0x7fff, v165, vcc_lo
	v_and_b32_e32 v37, 0xffff, v37
	s_delay_alu instid0(VALU_DEP_1) | instskip(NEXT) | instid1(VALU_DEP_1)
	v_lshrrev_b32_e32 v37, s48, v37
	v_and_b32_e32 v37, s55, v37
	s_delay_alu instid0(VALU_DEP_1)
	v_and_b32_e32 v171, 1, v37
	v_lshlrev_b32_e32 v172, 30, v37
	v_lshlrev_b32_e32 v173, 29, v37
	;; [unrolled: 1-line block ×4, first 2 shown]
	v_add_co_u32 v171, s17, v171, -1
	s_delay_alu instid0(VALU_DEP_1)
	v_cndmask_b32_e64 v175, 0, 1, s17
	v_not_b32_e32 v179, v172
	v_cmp_gt_i32_e64 s17, 0, v172
	v_not_b32_e32 v172, v173
	v_lshlrev_b32_e32 v177, 26, v37
	v_cmp_ne_u32_e32 vcc_lo, 0, v175
	v_ashrrev_i32_e32 v179, 31, v179
	v_lshlrev_b32_e32 v178, 25, v37
	v_ashrrev_i32_e32 v172, 31, v172
	v_lshlrev_b32_e32 v175, 24, v37
	v_xor_b32_e32 v171, vcc_lo, v171
	v_cmp_gt_i32_e32 vcc_lo, 0, v173
	v_not_b32_e32 v173, v174
	v_xor_b32_e32 v179, s17, v179
	v_cmp_gt_i32_e64 s17, 0, v174
	v_and_b32_e32 v171, exec_lo, v171
	v_not_b32_e32 v174, v176
	v_ashrrev_i32_e32 v173, 31, v173
	v_xor_b32_e32 v172, vcc_lo, v172
	v_cmp_gt_i32_e32 vcc_lo, 0, v176
	v_and_b32_e32 v171, v171, v179
	v_not_b32_e32 v176, v177
	v_ashrrev_i32_e32 v174, 31, v174
	v_xor_b32_e32 v173, s17, v173
	v_cmp_gt_i32_e64 s17, 0, v177
	v_and_b32_e32 v171, v171, v172
	v_not_b32_e32 v172, v178
	v_ashrrev_i32_e32 v176, 31, v176
	v_xor_b32_e32 v174, vcc_lo, v174
	v_cmp_gt_i32_e32 vcc_lo, 0, v178
	v_and_b32_e32 v171, v171, v173
	v_not_b32_e32 v173, v175
	v_ashrrev_i32_e32 v172, 31, v172
	v_xor_b32_e32 v176, s17, v176
	v_mul_u32_u24_e32 v37, 9, v37
	v_and_b32_e32 v171, v171, v174
	v_cmp_gt_i32_e64 s17, 0, v175
	v_ashrrev_i32_e32 v173, 31, v173
	v_xor_b32_e32 v172, vcc_lo, v172
	v_add_lshl_u32 v174, v37, v126, 2
	v_and_b32_e32 v171, v171, v176
	s_delay_alu instid0(VALU_DEP_4) | instskip(NEXT) | instid1(VALU_DEP_3)
	v_xor_b32_e32 v37, s17, v173
	v_add_nc_u32_e32 v173, 0x420, v174
	s_delay_alu instid0(VALU_DEP_3) | instskip(SKIP_2) | instid1(VALU_DEP_1)
	v_and_b32_e32 v172, v171, v172
	ds_load_b32 v171, v174 offset:1056
	; wave barrier
	v_and_b32_e32 v37, v172, v37
	v_mbcnt_lo_u32_b32 v172, v37, 0
	v_cmp_ne_u32_e64 s17, 0, v37
	s_delay_alu instid0(VALU_DEP_2) | instskip(NEXT) | instid1(VALU_DEP_2)
	v_cmp_eq_u32_e32 vcc_lo, 0, v172
	s_and_b32 s18, s17, vcc_lo
	s_delay_alu instid0(SALU_CYCLE_1)
	s_and_saveexec_b32 s17, s18
	s_cbranch_execz .LBB1983_156
; %bb.155:                              ;   in Loop: Header=BB1983_106 Depth=2
	s_waitcnt lgkmcnt(0)
	v_bcnt_u32_b32 v37, v37, v171
	ds_store_b32 v173, v37
.LBB1983_156:                           ;   in Loop: Header=BB1983_106 Depth=2
	s_or_b32 exec_lo, exec_lo, s17
	v_cmp_gt_i16_e64 vcc_lo, 0, v170
	; wave barrier
	s_delay_alu instid0(VALU_DEP_1) | instskip(NEXT) | instid1(VALU_DEP_1)
	v_cndmask_b32_e64 v37, 0x7fff, 0, vcc_lo
	v_xor_b32_e32 v170, v37, v170
	s_delay_alu instid0(VALU_DEP_1) | instskip(SKIP_1) | instid1(VALU_DEP_1)
	v_cmp_ne_u16_e64 vcc_lo, 0x8000, v170
	v_cndmask_b32_e32 v37, 0x7fff, v170, vcc_lo
	v_and_b32_e32 v37, 0xffff, v37
	s_delay_alu instid0(VALU_DEP_1) | instskip(NEXT) | instid1(VALU_DEP_1)
	v_lshrrev_b32_e32 v37, s48, v37
	v_and_b32_e32 v37, s55, v37
	s_delay_alu instid0(VALU_DEP_1)
	v_and_b32_e32 v174, 1, v37
	v_lshlrev_b32_e32 v175, 30, v37
	v_lshlrev_b32_e32 v176, 29, v37
	;; [unrolled: 1-line block ×4, first 2 shown]
	v_add_co_u32 v174, s17, v174, -1
	s_delay_alu instid0(VALU_DEP_1)
	v_cndmask_b32_e64 v178, 0, 1, s17
	v_not_b32_e32 v182, v175
	v_cmp_gt_i32_e64 s17, 0, v175
	v_not_b32_e32 v175, v176
	v_lshlrev_b32_e32 v180, 26, v37
	v_cmp_ne_u32_e32 vcc_lo, 0, v178
	v_ashrrev_i32_e32 v182, 31, v182
	v_lshlrev_b32_e32 v181, 25, v37
	v_ashrrev_i32_e32 v175, 31, v175
	v_lshlrev_b32_e32 v178, 24, v37
	v_xor_b32_e32 v174, vcc_lo, v174
	v_cmp_gt_i32_e32 vcc_lo, 0, v176
	v_not_b32_e32 v176, v177
	v_xor_b32_e32 v182, s17, v182
	v_cmp_gt_i32_e64 s17, 0, v177
	v_and_b32_e32 v174, exec_lo, v174
	v_not_b32_e32 v177, v179
	v_ashrrev_i32_e32 v176, 31, v176
	v_xor_b32_e32 v175, vcc_lo, v175
	v_cmp_gt_i32_e32 vcc_lo, 0, v179
	v_and_b32_e32 v174, v174, v182
	v_not_b32_e32 v179, v180
	v_ashrrev_i32_e32 v177, 31, v177
	v_xor_b32_e32 v176, s17, v176
	v_cmp_gt_i32_e64 s17, 0, v180
	v_and_b32_e32 v174, v174, v175
	v_not_b32_e32 v175, v181
	v_ashrrev_i32_e32 v179, 31, v179
	v_xor_b32_e32 v177, vcc_lo, v177
	v_cmp_gt_i32_e32 vcc_lo, 0, v181
	v_and_b32_e32 v174, v174, v176
	v_not_b32_e32 v176, v178
	v_ashrrev_i32_e32 v175, 31, v175
	v_xor_b32_e32 v179, s17, v179
	v_mul_u32_u24_e32 v37, 9, v37
	v_and_b32_e32 v174, v174, v177
	v_cmp_gt_i32_e64 s17, 0, v178
	v_ashrrev_i32_e32 v176, 31, v176
	v_xor_b32_e32 v175, vcc_lo, v175
	v_add_lshl_u32 v177, v37, v126, 2
	v_and_b32_e32 v174, v174, v179
	s_delay_alu instid0(VALU_DEP_4) | instskip(NEXT) | instid1(VALU_DEP_3)
	v_xor_b32_e32 v37, s17, v176
	v_add_nc_u32_e32 v176, 0x420, v177
	s_delay_alu instid0(VALU_DEP_3) | instskip(SKIP_2) | instid1(VALU_DEP_1)
	v_and_b32_e32 v175, v174, v175
	ds_load_b32 v174, v177 offset:1056
	; wave barrier
	v_and_b32_e32 v37, v175, v37
	v_mbcnt_lo_u32_b32 v175, v37, 0
	v_cmp_ne_u32_e64 s17, 0, v37
	s_delay_alu instid0(VALU_DEP_2) | instskip(NEXT) | instid1(VALU_DEP_2)
	v_cmp_eq_u32_e32 vcc_lo, 0, v175
	s_and_b32 s18, s17, vcc_lo
	s_delay_alu instid0(SALU_CYCLE_1)
	s_and_saveexec_b32 s17, s18
	s_cbranch_execz .LBB1983_158
; %bb.157:                              ;   in Loop: Header=BB1983_106 Depth=2
	s_waitcnt lgkmcnt(0)
	v_bcnt_u32_b32 v37, v37, v174
	ds_store_b32 v176, v37
.LBB1983_158:                           ;   in Loop: Header=BB1983_106 Depth=2
	s_or_b32 exec_lo, exec_lo, s17
	v_cmp_gt_i16_e64 vcc_lo, 0, v169
	; wave barrier
	s_delay_alu instid0(VALU_DEP_1) | instskip(NEXT) | instid1(VALU_DEP_1)
	v_cndmask_b32_e64 v37, 0x7fff, 0, vcc_lo
	v_xor_b32_e32 v169, v37, v169
	s_delay_alu instid0(VALU_DEP_1) | instskip(SKIP_1) | instid1(VALU_DEP_1)
	v_cmp_ne_u16_e64 vcc_lo, 0x8000, v169
	v_cndmask_b32_e32 v37, 0x7fff, v169, vcc_lo
	v_and_b32_e32 v37, 0xffff, v37
	s_delay_alu instid0(VALU_DEP_1) | instskip(NEXT) | instid1(VALU_DEP_1)
	v_lshrrev_b32_e32 v37, s48, v37
	v_and_b32_e32 v37, s55, v37
	s_delay_alu instid0(VALU_DEP_1)
	v_and_b32_e32 v177, 1, v37
	v_lshlrev_b32_e32 v178, 30, v37
	v_lshlrev_b32_e32 v179, 29, v37
	;; [unrolled: 1-line block ×4, first 2 shown]
	v_add_co_u32 v177, s17, v177, -1
	s_delay_alu instid0(VALU_DEP_1)
	v_cndmask_b32_e64 v181, 0, 1, s17
	v_not_b32_e32 v185, v178
	v_cmp_gt_i32_e64 s17, 0, v178
	v_not_b32_e32 v178, v179
	v_lshlrev_b32_e32 v183, 26, v37
	v_cmp_ne_u32_e32 vcc_lo, 0, v181
	v_ashrrev_i32_e32 v185, 31, v185
	v_lshlrev_b32_e32 v184, 25, v37
	v_ashrrev_i32_e32 v178, 31, v178
	v_lshlrev_b32_e32 v181, 24, v37
	v_xor_b32_e32 v177, vcc_lo, v177
	v_cmp_gt_i32_e32 vcc_lo, 0, v179
	v_not_b32_e32 v179, v180
	v_xor_b32_e32 v185, s17, v185
	v_cmp_gt_i32_e64 s17, 0, v180
	v_and_b32_e32 v177, exec_lo, v177
	v_not_b32_e32 v180, v182
	v_ashrrev_i32_e32 v179, 31, v179
	v_xor_b32_e32 v178, vcc_lo, v178
	v_cmp_gt_i32_e32 vcc_lo, 0, v182
	v_and_b32_e32 v177, v177, v185
	v_not_b32_e32 v182, v183
	v_ashrrev_i32_e32 v180, 31, v180
	v_xor_b32_e32 v179, s17, v179
	v_cmp_gt_i32_e64 s17, 0, v183
	v_and_b32_e32 v177, v177, v178
	v_not_b32_e32 v178, v184
	v_ashrrev_i32_e32 v182, 31, v182
	v_xor_b32_e32 v180, vcc_lo, v180
	v_cmp_gt_i32_e32 vcc_lo, 0, v184
	v_and_b32_e32 v177, v177, v179
	v_not_b32_e32 v179, v181
	v_ashrrev_i32_e32 v178, 31, v178
	v_xor_b32_e32 v182, s17, v182
	v_mul_u32_u24_e32 v37, 9, v37
	v_and_b32_e32 v177, v177, v180
	v_cmp_gt_i32_e64 s17, 0, v181
	v_ashrrev_i32_e32 v179, 31, v179
	v_xor_b32_e32 v178, vcc_lo, v178
	v_add_lshl_u32 v180, v37, v126, 2
	v_and_b32_e32 v177, v177, v182
	s_delay_alu instid0(VALU_DEP_4) | instskip(NEXT) | instid1(VALU_DEP_2)
	v_xor_b32_e32 v37, s17, v179
	v_and_b32_e32 v177, v177, v178
	ds_load_b32 v178, v180 offset:1056
	v_add_nc_u32_e32 v180, 0x420, v180
	; wave barrier
	v_and_b32_e32 v37, v177, v37
	s_delay_alu instid0(VALU_DEP_1) | instskip(SKIP_1) | instid1(VALU_DEP_2)
	v_mbcnt_lo_u32_b32 v179, v37, 0
	v_cmp_ne_u32_e64 s17, 0, v37
	v_cmp_eq_u32_e32 vcc_lo, 0, v179
	s_delay_alu instid0(VALU_DEP_2) | instskip(NEXT) | instid1(SALU_CYCLE_1)
	s_and_b32 s18, s17, vcc_lo
	s_and_saveexec_b32 s17, s18
	s_cbranch_execz .LBB1983_160
; %bb.159:                              ;   in Loop: Header=BB1983_106 Depth=2
	s_waitcnt lgkmcnt(0)
	v_bcnt_u32_b32 v37, v37, v178
	ds_store_b32 v180, v37
.LBB1983_160:                           ;   in Loop: Header=BB1983_106 Depth=2
	s_or_b32 exec_lo, exec_lo, s17
	v_cmp_gt_i16_e32 vcc_lo, 0, v43
	; wave barrier
	v_cndmask_b32_e64 v37, 0x7fff, 0, vcc_lo
	s_delay_alu instid0(VALU_DEP_1) | instskip(NEXT) | instid1(VALU_DEP_1)
	v_xor_b32_e32 v177, v37, v43
	v_cmp_ne_u16_e64 vcc_lo, 0x8000, v177
	v_cndmask_b32_e32 v37, 0x7fff, v177, vcc_lo
	s_delay_alu instid0(VALU_DEP_1) | instskip(NEXT) | instid1(VALU_DEP_1)
	v_and_b32_e32 v37, 0xffff, v37
	v_lshrrev_b32_e32 v37, s48, v37
	s_delay_alu instid0(VALU_DEP_1) | instskip(NEXT) | instid1(VALU_DEP_1)
	v_and_b32_e32 v37, s55, v37
	v_and_b32_e32 v43, 1, v37
	v_lshlrev_b32_e32 v181, 30, v37
	v_lshlrev_b32_e32 v182, 29, v37
	;; [unrolled: 1-line block ×4, first 2 shown]
	v_add_co_u32 v43, s17, v43, -1
	s_delay_alu instid0(VALU_DEP_1)
	v_cndmask_b32_e64 v184, 0, 1, s17
	v_not_b32_e32 v188, v181
	v_cmp_gt_i32_e64 s17, 0, v181
	v_not_b32_e32 v181, v182
	v_lshlrev_b32_e32 v186, 26, v37
	v_cmp_ne_u32_e32 vcc_lo, 0, v184
	v_ashrrev_i32_e32 v188, 31, v188
	v_lshlrev_b32_e32 v187, 25, v37
	v_ashrrev_i32_e32 v181, 31, v181
	v_lshlrev_b32_e32 v184, 24, v37
	v_xor_b32_e32 v43, vcc_lo, v43
	v_cmp_gt_i32_e32 vcc_lo, 0, v182
	v_not_b32_e32 v182, v183
	v_xor_b32_e32 v188, s17, v188
	v_cmp_gt_i32_e64 s17, 0, v183
	v_and_b32_e32 v43, exec_lo, v43
	v_not_b32_e32 v183, v185
	v_ashrrev_i32_e32 v182, 31, v182
	v_xor_b32_e32 v181, vcc_lo, v181
	v_cmp_gt_i32_e32 vcc_lo, 0, v185
	v_and_b32_e32 v43, v43, v188
	v_not_b32_e32 v185, v186
	v_ashrrev_i32_e32 v183, 31, v183
	v_xor_b32_e32 v182, s17, v182
	v_cmp_gt_i32_e64 s17, 0, v186
	v_and_b32_e32 v43, v43, v181
	v_not_b32_e32 v181, v187
	v_ashrrev_i32_e32 v185, 31, v185
	v_xor_b32_e32 v183, vcc_lo, v183
	v_cmp_gt_i32_e32 vcc_lo, 0, v187
	v_and_b32_e32 v43, v43, v182
	v_not_b32_e32 v182, v184
	v_ashrrev_i32_e32 v181, 31, v181
	v_xor_b32_e32 v185, s17, v185
	v_mul_u32_u24_e32 v37, 9, v37
	v_and_b32_e32 v43, v43, v183
	v_cmp_gt_i32_e64 s17, 0, v184
	v_ashrrev_i32_e32 v182, 31, v182
	v_xor_b32_e32 v181, vcc_lo, v181
	v_add_lshl_u32 v184, v37, v126, 2
	v_and_b32_e32 v43, v43, v185
	s_delay_alu instid0(VALU_DEP_4) | instskip(SKIP_3) | instid1(VALU_DEP_2)
	v_xor_b32_e32 v37, s17, v182
	ds_load_b32 v182, v184 offset:1056
	v_and_b32_e32 v43, v43, v181
	v_add_nc_u32_e32 v184, 0x420, v184
	; wave barrier
	v_and_b32_e32 v37, v43, v37
	s_delay_alu instid0(VALU_DEP_1) | instskip(SKIP_1) | instid1(VALU_DEP_2)
	v_mbcnt_lo_u32_b32 v183, v37, 0
	v_cmp_ne_u32_e64 s17, 0, v37
	v_cmp_eq_u32_e32 vcc_lo, 0, v183
	s_delay_alu instid0(VALU_DEP_2) | instskip(NEXT) | instid1(SALU_CYCLE_1)
	s_and_b32 s18, s17, vcc_lo
	s_and_saveexec_b32 s17, s18
	s_cbranch_execz .LBB1983_162
; %bb.161:                              ;   in Loop: Header=BB1983_106 Depth=2
	s_waitcnt lgkmcnt(0)
	v_bcnt_u32_b32 v37, v37, v182
	ds_store_b32 v184, v37
.LBB1983_162:                           ;   in Loop: Header=BB1983_106 Depth=2
	s_or_b32 exec_lo, exec_lo, s17
	v_cmp_gt_i16_e32 vcc_lo, 0, v42
	; wave barrier
	v_cndmask_b32_e64 v37, 0x7fff, 0, vcc_lo
	s_delay_alu instid0(VALU_DEP_1) | instskip(NEXT) | instid1(VALU_DEP_1)
	v_xor_b32_e32 v181, v37, v42
	v_cmp_ne_u16_e64 vcc_lo, 0x8000, v181
	v_cndmask_b32_e32 v37, 0x7fff, v181, vcc_lo
	s_delay_alu instid0(VALU_DEP_1) | instskip(NEXT) | instid1(VALU_DEP_1)
	v_and_b32_e32 v37, 0xffff, v37
	v_lshrrev_b32_e32 v37, s48, v37
	s_delay_alu instid0(VALU_DEP_1) | instskip(NEXT) | instid1(VALU_DEP_1)
	v_and_b32_e32 v37, s55, v37
	v_and_b32_e32 v42, 1, v37
	v_lshlrev_b32_e32 v43, 30, v37
	v_lshlrev_b32_e32 v185, 29, v37
	;; [unrolled: 1-line block ×4, first 2 shown]
	v_add_co_u32 v42, s17, v42, -1
	s_delay_alu instid0(VALU_DEP_1)
	v_cndmask_b32_e64 v187, 0, 1, s17
	v_not_b32_e32 v191, v43
	v_cmp_gt_i32_e64 s17, 0, v43
	v_not_b32_e32 v43, v185
	v_lshlrev_b32_e32 v189, 26, v37
	v_cmp_ne_u32_e32 vcc_lo, 0, v187
	v_ashrrev_i32_e32 v191, 31, v191
	v_lshlrev_b32_e32 v190, 25, v37
	v_ashrrev_i32_e32 v43, 31, v43
	v_lshlrev_b32_e32 v187, 24, v37
	v_xor_b32_e32 v42, vcc_lo, v42
	v_cmp_gt_i32_e32 vcc_lo, 0, v185
	v_not_b32_e32 v185, v186
	v_xor_b32_e32 v191, s17, v191
	v_cmp_gt_i32_e64 s17, 0, v186
	v_and_b32_e32 v42, exec_lo, v42
	v_not_b32_e32 v186, v188
	v_ashrrev_i32_e32 v185, 31, v185
	v_xor_b32_e32 v43, vcc_lo, v43
	v_cmp_gt_i32_e32 vcc_lo, 0, v188
	v_and_b32_e32 v42, v42, v191
	v_not_b32_e32 v188, v189
	v_ashrrev_i32_e32 v186, 31, v186
	v_xor_b32_e32 v185, s17, v185
	v_cmp_gt_i32_e64 s17, 0, v189
	v_and_b32_e32 v42, v42, v43
	v_not_b32_e32 v43, v190
	v_ashrrev_i32_e32 v188, 31, v188
	v_xor_b32_e32 v186, vcc_lo, v186
	v_cmp_gt_i32_e32 vcc_lo, 0, v190
	v_and_b32_e32 v42, v42, v185
	v_not_b32_e32 v185, v187
	v_ashrrev_i32_e32 v43, 31, v43
	v_xor_b32_e32 v188, s17, v188
	v_mul_u32_u24_e32 v37, 9, v37
	v_and_b32_e32 v42, v42, v186
	v_cmp_gt_i32_e64 s17, 0, v187
	v_ashrrev_i32_e32 v185, 31, v185
	v_xor_b32_e32 v43, vcc_lo, v43
	s_delay_alu instid0(VALU_DEP_4) | instskip(SKIP_1) | instid1(VALU_DEP_4)
	v_and_b32_e32 v42, v42, v188
	v_add_lshl_u32 v188, v37, v126, 2
	v_xor_b32_e32 v37, s17, v185
	s_delay_alu instid0(VALU_DEP_3) | instskip(SKIP_3) | instid1(VALU_DEP_1)
	v_and_b32_e32 v42, v42, v43
	ds_load_b32 v186, v188 offset:1056
	v_add_nc_u32_e32 v188, 0x420, v188
	; wave barrier
	v_and_b32_e32 v37, v42, v37
	v_mbcnt_lo_u32_b32 v187, v37, 0
	v_cmp_ne_u32_e64 s17, 0, v37
	s_delay_alu instid0(VALU_DEP_2) | instskip(NEXT) | instid1(VALU_DEP_2)
	v_cmp_eq_u32_e32 vcc_lo, 0, v187
	s_and_b32 s18, s17, vcc_lo
	s_delay_alu instid0(SALU_CYCLE_1)
	s_and_saveexec_b32 s17, s18
	s_cbranch_execz .LBB1983_164
; %bb.163:                              ;   in Loop: Header=BB1983_106 Depth=2
	s_waitcnt lgkmcnt(0)
	v_bcnt_u32_b32 v37, v37, v186
	ds_store_b32 v188, v37
.LBB1983_164:                           ;   in Loop: Header=BB1983_106 Depth=2
	s_or_b32 exec_lo, exec_lo, s17
	v_cmp_gt_i16_e32 vcc_lo, 0, v41
	; wave barrier
	v_cndmask_b32_e64 v37, 0x7fff, 0, vcc_lo
	s_delay_alu instid0(VALU_DEP_1) | instskip(NEXT) | instid1(VALU_DEP_1)
	v_xor_b32_e32 v185, v37, v41
	v_cmp_ne_u16_e64 vcc_lo, 0x8000, v185
	v_cndmask_b32_e32 v37, 0x7fff, v185, vcc_lo
	s_delay_alu instid0(VALU_DEP_1) | instskip(NEXT) | instid1(VALU_DEP_1)
	v_and_b32_e32 v37, 0xffff, v37
	v_lshrrev_b32_e32 v37, s48, v37
	s_delay_alu instid0(VALU_DEP_1) | instskip(NEXT) | instid1(VALU_DEP_1)
	v_and_b32_e32 v37, s55, v37
	v_and_b32_e32 v41, 1, v37
	v_lshlrev_b32_e32 v42, 30, v37
	v_lshlrev_b32_e32 v43, 29, v37
	;; [unrolled: 1-line block ×4, first 2 shown]
	v_add_co_u32 v41, s17, v41, -1
	s_delay_alu instid0(VALU_DEP_1)
	v_cndmask_b32_e64 v190, 0, 1, s17
	v_not_b32_e32 v194, v42
	v_cmp_gt_i32_e64 s17, 0, v42
	v_not_b32_e32 v42, v43
	v_lshlrev_b32_e32 v192, 26, v37
	v_cmp_ne_u32_e32 vcc_lo, 0, v190
	v_ashrrev_i32_e32 v194, 31, v194
	v_lshlrev_b32_e32 v193, 25, v37
	v_ashrrev_i32_e32 v42, 31, v42
	v_lshlrev_b32_e32 v190, 24, v37
	v_xor_b32_e32 v41, vcc_lo, v41
	v_cmp_gt_i32_e32 vcc_lo, 0, v43
	v_not_b32_e32 v43, v189
	v_xor_b32_e32 v194, s17, v194
	v_cmp_gt_i32_e64 s17, 0, v189
	v_and_b32_e32 v41, exec_lo, v41
	v_not_b32_e32 v189, v191
	v_ashrrev_i32_e32 v43, 31, v43
	v_xor_b32_e32 v42, vcc_lo, v42
	v_cmp_gt_i32_e32 vcc_lo, 0, v191
	v_and_b32_e32 v41, v41, v194
	v_not_b32_e32 v191, v192
	v_ashrrev_i32_e32 v189, 31, v189
	v_xor_b32_e32 v43, s17, v43
	v_cmp_gt_i32_e64 s17, 0, v192
	v_and_b32_e32 v41, v41, v42
	v_not_b32_e32 v42, v193
	v_ashrrev_i32_e32 v191, 31, v191
	v_xor_b32_e32 v189, vcc_lo, v189
	v_cmp_gt_i32_e32 vcc_lo, 0, v193
	v_and_b32_e32 v41, v41, v43
	v_not_b32_e32 v43, v190
	v_ashrrev_i32_e32 v42, 31, v42
	v_xor_b32_e32 v191, s17, v191
	v_mul_u32_u24_e32 v37, 9, v37
	v_and_b32_e32 v41, v41, v189
	v_cmp_gt_i32_e64 s17, 0, v190
	v_ashrrev_i32_e32 v43, 31, v43
	v_xor_b32_e32 v42, vcc_lo, v42
	v_add_lshl_u32 v189, v37, v126, 2
	v_and_b32_e32 v41, v41, v191
	s_delay_alu instid0(VALU_DEP_4) | instskip(SKIP_3) | instid1(VALU_DEP_2)
	v_xor_b32_e32 v37, s17, v43
	ds_load_b32 v190, v189 offset:1056
	v_and_b32_e32 v41, v41, v42
	v_add_nc_u32_e32 v192, 0x420, v189
	; wave barrier
	v_and_b32_e32 v37, v41, v37
	s_delay_alu instid0(VALU_DEP_1) | instskip(SKIP_1) | instid1(VALU_DEP_2)
	v_mbcnt_lo_u32_b32 v191, v37, 0
	v_cmp_ne_u32_e64 s17, 0, v37
	v_cmp_eq_u32_e32 vcc_lo, 0, v191
	s_delay_alu instid0(VALU_DEP_2) | instskip(NEXT) | instid1(SALU_CYCLE_1)
	s_and_b32 s18, s17, vcc_lo
	s_and_saveexec_b32 s17, s18
	s_cbranch_execz .LBB1983_166
; %bb.165:                              ;   in Loop: Header=BB1983_106 Depth=2
	s_waitcnt lgkmcnt(0)
	v_bcnt_u32_b32 v37, v37, v190
	ds_store_b32 v192, v37
.LBB1983_166:                           ;   in Loop: Header=BB1983_106 Depth=2
	s_or_b32 exec_lo, exec_lo, s17
	v_cmp_gt_i16_e32 vcc_lo, 0, v40
	; wave barrier
	v_cndmask_b32_e64 v37, 0x7fff, 0, vcc_lo
	s_delay_alu instid0(VALU_DEP_1) | instskip(NEXT) | instid1(VALU_DEP_1)
	v_xor_b32_e32 v189, v37, v40
	v_cmp_ne_u16_e64 vcc_lo, 0x8000, v189
	v_cndmask_b32_e32 v37, 0x7fff, v189, vcc_lo
	s_delay_alu instid0(VALU_DEP_1) | instskip(NEXT) | instid1(VALU_DEP_1)
	v_and_b32_e32 v37, 0xffff, v37
	v_lshrrev_b32_e32 v37, s48, v37
	s_delay_alu instid0(VALU_DEP_1) | instskip(NEXT) | instid1(VALU_DEP_1)
	v_and_b32_e32 v37, s55, v37
	v_and_b32_e32 v40, 1, v37
	v_lshlrev_b32_e32 v41, 30, v37
	v_lshlrev_b32_e32 v42, 29, v37
	;; [unrolled: 1-line block ×4, first 2 shown]
	v_add_co_u32 v40, s17, v40, -1
	s_delay_alu instid0(VALU_DEP_1)
	v_cndmask_b32_e64 v193, 0, 1, s17
	v_not_b32_e32 v197, v41
	v_cmp_gt_i32_e64 s17, 0, v41
	v_not_b32_e32 v41, v42
	v_lshlrev_b32_e32 v195, 26, v37
	v_cmp_ne_u32_e32 vcc_lo, 0, v193
	v_ashrrev_i32_e32 v197, 31, v197
	v_lshlrev_b32_e32 v196, 25, v37
	v_ashrrev_i32_e32 v41, 31, v41
	v_lshlrev_b32_e32 v193, 24, v37
	v_xor_b32_e32 v40, vcc_lo, v40
	v_cmp_gt_i32_e32 vcc_lo, 0, v42
	v_not_b32_e32 v42, v43
	v_xor_b32_e32 v197, s17, v197
	v_cmp_gt_i32_e64 s17, 0, v43
	v_and_b32_e32 v40, exec_lo, v40
	v_not_b32_e32 v43, v194
	v_ashrrev_i32_e32 v42, 31, v42
	v_xor_b32_e32 v41, vcc_lo, v41
	v_cmp_gt_i32_e32 vcc_lo, 0, v194
	v_and_b32_e32 v40, v40, v197
	v_not_b32_e32 v194, v195
	v_ashrrev_i32_e32 v43, 31, v43
	v_xor_b32_e32 v42, s17, v42
	v_cmp_gt_i32_e64 s17, 0, v195
	v_and_b32_e32 v40, v40, v41
	v_not_b32_e32 v41, v196
	v_ashrrev_i32_e32 v194, 31, v194
	v_xor_b32_e32 v43, vcc_lo, v43
	v_cmp_gt_i32_e32 vcc_lo, 0, v196
	v_and_b32_e32 v40, v40, v42
	v_not_b32_e32 v42, v193
	v_ashrrev_i32_e32 v41, 31, v41
	v_xor_b32_e32 v194, s17, v194
	v_mul_u32_u24_e32 v37, 9, v37
	v_and_b32_e32 v40, v40, v43
	v_cmp_gt_i32_e64 s17, 0, v193
	v_ashrrev_i32_e32 v42, 31, v42
	v_xor_b32_e32 v41, vcc_lo, v41
	v_add_lshl_u32 v43, v37, v126, 2
	v_and_b32_e32 v40, v40, v194
	s_delay_alu instid0(VALU_DEP_4) | instskip(SKIP_3) | instid1(VALU_DEP_2)
	v_xor_b32_e32 v37, s17, v42
	ds_load_b32 v194, v43 offset:1056
	v_and_b32_e32 v40, v40, v41
	v_add_nc_u32_e32 v196, 0x420, v43
	; wave barrier
	v_and_b32_e32 v37, v40, v37
	s_delay_alu instid0(VALU_DEP_1) | instskip(SKIP_1) | instid1(VALU_DEP_2)
	v_mbcnt_lo_u32_b32 v195, v37, 0
	v_cmp_ne_u32_e64 s17, 0, v37
	v_cmp_eq_u32_e32 vcc_lo, 0, v195
	s_delay_alu instid0(VALU_DEP_2) | instskip(NEXT) | instid1(SALU_CYCLE_1)
	s_and_b32 s18, s17, vcc_lo
	s_and_saveexec_b32 s17, s18
	s_cbranch_execz .LBB1983_168
; %bb.167:                              ;   in Loop: Header=BB1983_106 Depth=2
	s_waitcnt lgkmcnt(0)
	v_bcnt_u32_b32 v37, v37, v194
	ds_store_b32 v196, v37
.LBB1983_168:                           ;   in Loop: Header=BB1983_106 Depth=2
	s_or_b32 exec_lo, exec_lo, s17
	v_cmp_gt_i16_e32 vcc_lo, 0, v39
	; wave barrier
	v_cndmask_b32_e64 v37, 0x7fff, 0, vcc_lo
	s_delay_alu instid0(VALU_DEP_1) | instskip(NEXT) | instid1(VALU_DEP_1)
	v_xor_b32_e32 v193, v37, v39
	v_cmp_ne_u16_e64 vcc_lo, 0x8000, v193
	v_cndmask_b32_e32 v37, 0x7fff, v193, vcc_lo
	s_delay_alu instid0(VALU_DEP_1) | instskip(NEXT) | instid1(VALU_DEP_1)
	v_and_b32_e32 v37, 0xffff, v37
	v_lshrrev_b32_e32 v37, s48, v37
	s_delay_alu instid0(VALU_DEP_1) | instskip(NEXT) | instid1(VALU_DEP_1)
	v_and_b32_e32 v37, s55, v37
	v_and_b32_e32 v39, 1, v37
	v_lshlrev_b32_e32 v40, 30, v37
	v_lshlrev_b32_e32 v41, 29, v37
	;; [unrolled: 1-line block ×4, first 2 shown]
	v_add_co_u32 v39, s17, v39, -1
	s_delay_alu instid0(VALU_DEP_1)
	v_cndmask_b32_e64 v43, 0, 1, s17
	v_not_b32_e32 v200, v40
	v_cmp_gt_i32_e64 s17, 0, v40
	v_not_b32_e32 v40, v41
	v_lshlrev_b32_e32 v198, 26, v37
	v_cmp_ne_u32_e32 vcc_lo, 0, v43
	v_ashrrev_i32_e32 v200, 31, v200
	v_lshlrev_b32_e32 v199, 25, v37
	v_ashrrev_i32_e32 v40, 31, v40
	v_lshlrev_b32_e32 v43, 24, v37
	v_xor_b32_e32 v39, vcc_lo, v39
	v_cmp_gt_i32_e32 vcc_lo, 0, v41
	v_not_b32_e32 v41, v42
	v_xor_b32_e32 v200, s17, v200
	v_cmp_gt_i32_e64 s17, 0, v42
	v_and_b32_e32 v39, exec_lo, v39
	v_not_b32_e32 v42, v197
	v_ashrrev_i32_e32 v41, 31, v41
	v_xor_b32_e32 v40, vcc_lo, v40
	v_cmp_gt_i32_e32 vcc_lo, 0, v197
	v_and_b32_e32 v39, v39, v200
	v_not_b32_e32 v197, v198
	v_ashrrev_i32_e32 v42, 31, v42
	v_xor_b32_e32 v41, s17, v41
	v_cmp_gt_i32_e64 s17, 0, v198
	v_and_b32_e32 v39, v39, v40
	v_not_b32_e32 v40, v199
	v_ashrrev_i32_e32 v197, 31, v197
	v_xor_b32_e32 v42, vcc_lo, v42
	v_cmp_gt_i32_e32 vcc_lo, 0, v199
	v_and_b32_e32 v39, v39, v41
	v_not_b32_e32 v41, v43
	v_ashrrev_i32_e32 v40, 31, v40
	v_xor_b32_e32 v197, s17, v197
	v_mul_u32_u24_e32 v37, 9, v37
	v_and_b32_e32 v39, v39, v42
	v_cmp_gt_i32_e64 s17, 0, v43
	v_ashrrev_i32_e32 v41, 31, v41
	v_xor_b32_e32 v40, vcc_lo, v40
	v_add_lshl_u32 v42, v37, v126, 2
	v_and_b32_e32 v39, v39, v197
	s_delay_alu instid0(VALU_DEP_4) | instskip(SKIP_3) | instid1(VALU_DEP_2)
	v_xor_b32_e32 v37, s17, v41
	ds_load_b32 v198, v42 offset:1056
	v_and_b32_e32 v39, v39, v40
	v_add_nc_u32_e32 v200, 0x420, v42
	; wave barrier
	v_and_b32_e32 v37, v39, v37
	s_delay_alu instid0(VALU_DEP_1) | instskip(SKIP_1) | instid1(VALU_DEP_2)
	v_mbcnt_lo_u32_b32 v199, v37, 0
	v_cmp_ne_u32_e64 s17, 0, v37
	v_cmp_eq_u32_e32 vcc_lo, 0, v199
	s_delay_alu instid0(VALU_DEP_2) | instskip(NEXT) | instid1(SALU_CYCLE_1)
	s_and_b32 s18, s17, vcc_lo
	s_and_saveexec_b32 s17, s18
	s_cbranch_execz .LBB1983_170
; %bb.169:                              ;   in Loop: Header=BB1983_106 Depth=2
	s_waitcnt lgkmcnt(0)
	v_bcnt_u32_b32 v37, v37, v198
	ds_store_b32 v200, v37
.LBB1983_170:                           ;   in Loop: Header=BB1983_106 Depth=2
	s_or_b32 exec_lo, exec_lo, s17
	v_cmp_gt_i16_e32 vcc_lo, 0, v38
	; wave barrier
	v_cndmask_b32_e64 v37, 0x7fff, 0, vcc_lo
	s_delay_alu instid0(VALU_DEP_1) | instskip(NEXT) | instid1(VALU_DEP_1)
	v_xor_b32_e32 v197, v37, v38
	v_cmp_ne_u16_e64 vcc_lo, 0x8000, v197
	v_cndmask_b32_e32 v37, 0x7fff, v197, vcc_lo
	s_delay_alu instid0(VALU_DEP_1) | instskip(NEXT) | instid1(VALU_DEP_1)
	v_and_b32_e32 v37, 0xffff, v37
	v_lshrrev_b32_e32 v37, s48, v37
	s_delay_alu instid0(VALU_DEP_1) | instskip(NEXT) | instid1(VALU_DEP_1)
	v_and_b32_e32 v37, s55, v37
	v_and_b32_e32 v38, 1, v37
	v_lshlrev_b32_e32 v39, 30, v37
	v_lshlrev_b32_e32 v40, 29, v37
	;; [unrolled: 1-line block ×4, first 2 shown]
	v_add_co_u32 v38, s17, v38, -1
	s_delay_alu instid0(VALU_DEP_1)
	v_cndmask_b32_e64 v42, 0, 1, s17
	v_not_b32_e32 v203, v39
	v_cmp_gt_i32_e64 s17, 0, v39
	v_not_b32_e32 v39, v40
	v_lshlrev_b32_e32 v201, 26, v37
	v_cmp_ne_u32_e32 vcc_lo, 0, v42
	v_ashrrev_i32_e32 v203, 31, v203
	v_lshlrev_b32_e32 v202, 25, v37
	v_ashrrev_i32_e32 v39, 31, v39
	v_lshlrev_b32_e32 v42, 24, v37
	v_xor_b32_e32 v38, vcc_lo, v38
	v_cmp_gt_i32_e32 vcc_lo, 0, v40
	v_not_b32_e32 v40, v41
	v_xor_b32_e32 v203, s17, v203
	v_cmp_gt_i32_e64 s17, 0, v41
	v_and_b32_e32 v38, exec_lo, v38
	v_not_b32_e32 v41, v43
	v_ashrrev_i32_e32 v40, 31, v40
	v_xor_b32_e32 v39, vcc_lo, v39
	v_cmp_gt_i32_e32 vcc_lo, 0, v43
	v_and_b32_e32 v38, v38, v203
	v_not_b32_e32 v43, v201
	v_ashrrev_i32_e32 v41, 31, v41
	v_xor_b32_e32 v40, s17, v40
	v_cmp_gt_i32_e64 s17, 0, v201
	v_and_b32_e32 v38, v38, v39
	v_not_b32_e32 v39, v202
	v_ashrrev_i32_e32 v43, 31, v43
	v_xor_b32_e32 v41, vcc_lo, v41
	v_cmp_gt_i32_e32 vcc_lo, 0, v202
	v_and_b32_e32 v38, v38, v40
	v_not_b32_e32 v40, v42
	v_ashrrev_i32_e32 v39, 31, v39
	v_xor_b32_e32 v43, s17, v43
	v_mul_u32_u24_e32 v37, 9, v37
	v_and_b32_e32 v38, v38, v41
	v_cmp_gt_i32_e64 s17, 0, v42
	v_ashrrev_i32_e32 v40, 31, v40
	v_xor_b32_e32 v39, vcc_lo, v39
	v_add_lshl_u32 v41, v37, v126, 2
	v_and_b32_e32 v38, v38, v43
	s_delay_alu instid0(VALU_DEP_4) | instskip(SKIP_3) | instid1(VALU_DEP_2)
	v_xor_b32_e32 v37, s17, v40
	ds_load_b32 v202, v41 offset:1056
	v_and_b32_e32 v38, v38, v39
	v_add_nc_u32_e32 v204, 0x420, v41
	; wave barrier
	v_and_b32_e32 v37, v38, v37
	s_delay_alu instid0(VALU_DEP_1) | instskip(SKIP_1) | instid1(VALU_DEP_2)
	v_mbcnt_lo_u32_b32 v203, v37, 0
	v_cmp_ne_u32_e64 s17, 0, v37
	v_cmp_eq_u32_e32 vcc_lo, 0, v203
	s_delay_alu instid0(VALU_DEP_2) | instskip(NEXT) | instid1(SALU_CYCLE_1)
	s_and_b32 s18, s17, vcc_lo
	s_and_saveexec_b32 s17, s18
	s_cbranch_execz .LBB1983_172
; %bb.171:                              ;   in Loop: Header=BB1983_106 Depth=2
	s_waitcnt lgkmcnt(0)
	v_bcnt_u32_b32 v37, v37, v202
	ds_store_b32 v204, v37
.LBB1983_172:                           ;   in Loop: Header=BB1983_106 Depth=2
	s_or_b32 exec_lo, exec_lo, s17
	v_cmp_gt_i16_e32 vcc_lo, 0, v36
	; wave barrier
	v_cndmask_b32_e64 v37, 0x7fff, 0, vcc_lo
	s_delay_alu instid0(VALU_DEP_1) | instskip(NEXT) | instid1(VALU_DEP_1)
	v_xor_b32_e32 v201, v37, v36
	v_cmp_ne_u16_e64 vcc_lo, 0x8000, v201
	v_cndmask_b32_e32 v36, 0x7fff, v201, vcc_lo
	s_delay_alu instid0(VALU_DEP_1) | instskip(NEXT) | instid1(VALU_DEP_1)
	v_and_b32_e32 v36, 0xffff, v36
	v_lshrrev_b32_e32 v36, s48, v36
	s_delay_alu instid0(VALU_DEP_1) | instskip(NEXT) | instid1(VALU_DEP_1)
	v_and_b32_e32 v36, s55, v36
	v_and_b32_e32 v37, 1, v36
	v_lshlrev_b32_e32 v38, 30, v36
	v_lshlrev_b32_e32 v39, 29, v36
	;; [unrolled: 1-line block ×4, first 2 shown]
	v_add_co_u32 v37, s17, v37, -1
	s_delay_alu instid0(VALU_DEP_1)
	v_cndmask_b32_e64 v41, 0, 1, s17
	v_not_b32_e32 v206, v38
	v_cmp_gt_i32_e64 s17, 0, v38
	v_not_b32_e32 v38, v39
	v_lshlrev_b32_e32 v43, 26, v36
	v_cmp_ne_u32_e32 vcc_lo, 0, v41
	v_ashrrev_i32_e32 v206, 31, v206
	v_lshlrev_b32_e32 v205, 25, v36
	v_ashrrev_i32_e32 v38, 31, v38
	v_lshlrev_b32_e32 v41, 24, v36
	v_xor_b32_e32 v37, vcc_lo, v37
	v_cmp_gt_i32_e32 vcc_lo, 0, v39
	v_not_b32_e32 v39, v40
	v_xor_b32_e32 v206, s17, v206
	v_cmp_gt_i32_e64 s17, 0, v40
	v_and_b32_e32 v37, exec_lo, v37
	v_not_b32_e32 v40, v42
	v_ashrrev_i32_e32 v39, 31, v39
	v_xor_b32_e32 v38, vcc_lo, v38
	v_cmp_gt_i32_e32 vcc_lo, 0, v42
	v_and_b32_e32 v37, v37, v206
	v_not_b32_e32 v42, v43
	v_ashrrev_i32_e32 v40, 31, v40
	v_xor_b32_e32 v39, s17, v39
	v_cmp_gt_i32_e64 s17, 0, v43
	v_and_b32_e32 v37, v37, v38
	v_not_b32_e32 v38, v205
	v_ashrrev_i32_e32 v42, 31, v42
	v_xor_b32_e32 v40, vcc_lo, v40
	v_cmp_gt_i32_e32 vcc_lo, 0, v205
	v_and_b32_e32 v37, v37, v39
	v_not_b32_e32 v39, v41
	v_ashrrev_i32_e32 v38, 31, v38
	v_xor_b32_e32 v42, s17, v42
	v_mul_u32_u24_e32 v36, 9, v36
	v_and_b32_e32 v37, v37, v40
	v_cmp_gt_i32_e64 s17, 0, v41
	v_ashrrev_i32_e32 v39, 31, v39
	v_xor_b32_e32 v38, vcc_lo, v38
	v_add_lshl_u32 v40, v36, v126, 2
	v_and_b32_e32 v37, v37, v42
	s_delay_alu instid0(VALU_DEP_4) | instskip(SKIP_3) | instid1(VALU_DEP_2)
	v_xor_b32_e32 v36, s17, v39
	ds_load_b32 v205, v40 offset:1056
	v_and_b32_e32 v37, v37, v38
	v_add_nc_u32_e32 v207, 0x420, v40
	; wave barrier
	v_and_b32_e32 v36, v37, v36
	s_delay_alu instid0(VALU_DEP_1) | instskip(SKIP_1) | instid1(VALU_DEP_2)
	v_mbcnt_lo_u32_b32 v206, v36, 0
	v_cmp_ne_u32_e64 s17, 0, v36
	v_cmp_eq_u32_e32 vcc_lo, 0, v206
	s_delay_alu instid0(VALU_DEP_2) | instskip(NEXT) | instid1(SALU_CYCLE_1)
	s_and_b32 s18, s17, vcc_lo
	s_and_saveexec_b32 s17, s18
	s_cbranch_execz .LBB1983_174
; %bb.173:                              ;   in Loop: Header=BB1983_106 Depth=2
	s_waitcnt lgkmcnt(0)
	v_bcnt_u32_b32 v36, v36, v205
	ds_store_b32 v207, v36
.LBB1983_174:                           ;   in Loop: Header=BB1983_106 Depth=2
	s_or_b32 exec_lo, exec_lo, s17
	; wave barrier
	s_waitcnt lgkmcnt(0)
	s_barrier
	buffer_gl0_inv
	ds_load_b32 v208, v69 offset:1056
	ds_load_2addr_b32 v[42:43], v71 offset0:1 offset1:2
	ds_load_2addr_b32 v[40:41], v71 offset0:3 offset1:4
	;; [unrolled: 1-line block ×4, first 2 shown]
	s_waitcnt lgkmcnt(3)
	v_add3_u32 v209, v42, v208, v43
	s_waitcnt lgkmcnt(2)
	s_delay_alu instid0(VALU_DEP_1) | instskip(SKIP_1) | instid1(VALU_DEP_1)
	v_add3_u32 v209, v209, v40, v41
	s_waitcnt lgkmcnt(1)
	v_add3_u32 v209, v209, v36, v37
	s_waitcnt lgkmcnt(0)
	s_delay_alu instid0(VALU_DEP_1) | instskip(NEXT) | instid1(VALU_DEP_1)
	v_add3_u32 v39, v209, v38, v39
	v_mov_b32_dpp v209, v39 row_shr:1 row_mask:0xf bank_mask:0xf
	s_delay_alu instid0(VALU_DEP_1) | instskip(NEXT) | instid1(VALU_DEP_1)
	v_cndmask_b32_e64 v209, v209, 0, s0
	v_add_nc_u32_e32 v39, v209, v39
	s_delay_alu instid0(VALU_DEP_1) | instskip(NEXT) | instid1(VALU_DEP_1)
	v_mov_b32_dpp v209, v39 row_shr:2 row_mask:0xf bank_mask:0xf
	v_cndmask_b32_e64 v209, 0, v209, s1
	s_delay_alu instid0(VALU_DEP_1) | instskip(NEXT) | instid1(VALU_DEP_1)
	v_add_nc_u32_e32 v39, v39, v209
	v_mov_b32_dpp v209, v39 row_shr:4 row_mask:0xf bank_mask:0xf
	s_delay_alu instid0(VALU_DEP_1) | instskip(NEXT) | instid1(VALU_DEP_1)
	v_cndmask_b32_e64 v209, 0, v209, s8
	v_add_nc_u32_e32 v39, v39, v209
	s_delay_alu instid0(VALU_DEP_1) | instskip(NEXT) | instid1(VALU_DEP_1)
	v_mov_b32_dpp v209, v39 row_shr:8 row_mask:0xf bank_mask:0xf
	v_cndmask_b32_e64 v209, 0, v209, s9
	s_delay_alu instid0(VALU_DEP_1) | instskip(SKIP_3) | instid1(VALU_DEP_1)
	v_add_nc_u32_e32 v39, v39, v209
	ds_swizzle_b32 v209, v39 offset:swizzle(BROADCAST,32,15)
	s_waitcnt lgkmcnt(0)
	v_cndmask_b32_e64 v209, v209, 0, s10
	v_add_nc_u32_e32 v39, v39, v209
	s_and_saveexec_b32 s17, s3
	s_cbranch_execz .LBB1983_176
; %bb.175:                              ;   in Loop: Header=BB1983_106 Depth=2
	ds_store_b32 v62, v39 offset:1024
.LBB1983_176:                           ;   in Loop: Header=BB1983_106 Depth=2
	s_or_b32 exec_lo, exec_lo, s17
	s_waitcnt lgkmcnt(0)
	s_barrier
	buffer_gl0_inv
	s_and_saveexec_b32 s17, s4
	s_cbranch_execz .LBB1983_178
; %bb.177:                              ;   in Loop: Header=BB1983_106 Depth=2
	ds_load_b32 v209, v72 offset:1024
	s_waitcnt lgkmcnt(0)
	v_mov_b32_dpp v210, v209 row_shr:1 row_mask:0xf bank_mask:0xf
	s_delay_alu instid0(VALU_DEP_1) | instskip(NEXT) | instid1(VALU_DEP_1)
	v_cndmask_b32_e64 v210, v210, 0, s12
	v_add_nc_u32_e32 v209, v210, v209
	s_delay_alu instid0(VALU_DEP_1) | instskip(NEXT) | instid1(VALU_DEP_1)
	v_mov_b32_dpp v210, v209 row_shr:2 row_mask:0xf bank_mask:0xf
	v_cndmask_b32_e64 v210, 0, v210, s13
	s_delay_alu instid0(VALU_DEP_1) | instskip(NEXT) | instid1(VALU_DEP_1)
	v_add_nc_u32_e32 v209, v209, v210
	v_mov_b32_dpp v210, v209 row_shr:4 row_mask:0xf bank_mask:0xf
	s_delay_alu instid0(VALU_DEP_1) | instskip(NEXT) | instid1(VALU_DEP_1)
	v_cndmask_b32_e64 v210, 0, v210, s16
	v_add_nc_u32_e32 v209, v209, v210
	ds_store_b32 v72, v209 offset:1024
.LBB1983_178:                           ;   in Loop: Header=BB1983_106 Depth=2
	s_or_b32 exec_lo, exec_lo, s17
	v_mov_b32_e32 v209, 0
	s_waitcnt lgkmcnt(0)
	s_barrier
	buffer_gl0_inv
	s_and_saveexec_b32 s17, s5
	s_cbranch_execz .LBB1983_180
; %bb.179:                              ;   in Loop: Header=BB1983_106 Depth=2
	ds_load_b32 v209, v62 offset:1020
.LBB1983_180:                           ;   in Loop: Header=BB1983_106 Depth=2
	s_or_b32 exec_lo, exec_lo, s17
	s_waitcnt lgkmcnt(0)
	v_add_nc_u32_e32 v39, v209, v39
	ds_bpermute_b32 v39, v105, v39
	s_waitcnt lgkmcnt(0)
	v_cndmask_b32_e64 v39, v39, v209, s11
	s_delay_alu instid0(VALU_DEP_1) | instskip(NEXT) | instid1(VALU_DEP_1)
	v_cndmask_b32_e64 v39, v39, 0, s6
	v_add_nc_u32_e32 v208, v39, v208
	s_delay_alu instid0(VALU_DEP_1) | instskip(NEXT) | instid1(VALU_DEP_1)
	v_add_nc_u32_e32 v42, v208, v42
	v_add_nc_u32_e32 v43, v42, v43
	s_delay_alu instid0(VALU_DEP_1) | instskip(NEXT) | instid1(VALU_DEP_1)
	v_add_nc_u32_e32 v40, v43, v40
	;; [unrolled: 3-line block ×3, first 2 shown]
	v_add_nc_u32_e32 v37, v36, v37
	s_delay_alu instid0(VALU_DEP_1)
	v_add_nc_u32_e32 v38, v37, v38
	ds_store_b32 v69, v39 offset:1056
	ds_store_2addr_b32 v71, v208, v42 offset0:1 offset1:2
	ds_store_2addr_b32 v71, v43, v40 offset0:3 offset1:4
	;; [unrolled: 1-line block ×4, first 2 shown]
	v_mov_b32_e32 v38, 0x1000
	s_waitcnt lgkmcnt(0)
	s_barrier
	buffer_gl0_inv
	ds_load_b32 v39, v152
	ds_load_b32 v40, v156
	ds_load_b32 v42, v160
	ds_load_b32 v43, v164
	ds_load_b32 v152, v168
	ds_load_b32 v173, v173
	ds_load_b32 v176, v176
	ds_load_b32 v180, v180
	ds_load_b32 v184, v184
	ds_load_b32 v188, v188
	ds_load_b32 v192, v192
	ds_load_b32 v196, v196
	ds_load_b32 v36, v200
	ds_load_b32 v37, v204
	ds_load_b32 v41, v207
	ds_load_b32 v148, v148
	ds_load_b32 v156, v69 offset:1056
	s_and_saveexec_b32 s17, s7
	s_cbranch_execz .LBB1983_182
; %bb.181:                              ;   in Loop: Header=BB1983_106 Depth=2
	ds_load_b32 v38, v73 offset:1056
.LBB1983_182:                           ;   in Loop: Header=BB1983_106 Depth=2
	s_or_b32 exec_lo, exec_lo, s17
	s_waitcnt lgkmcnt(0)
	s_barrier
	buffer_gl0_inv
	s_and_saveexec_b32 s17, s2
	s_cbranch_execz .LBB1983_184
; %bb.183:                              ;   in Loop: Header=BB1983_106 Depth=2
	ds_load_b32 v160, v44
	s_waitcnt lgkmcnt(0)
	v_sub_nc_u32_e32 v156, v160, v156
	ds_store_b32 v44, v156
.LBB1983_184:                           ;   in Loop: Header=BB1983_106 Depth=2
	s_or_b32 exec_lo, exec_lo, s17
	v_add_nc_u32_e32 v168, v148, v147
	v_add3_u32 v164, v151, v150, v39
	v_add3_u32 v160, v155, v154, v40
	;; [unrolled: 1-line block ×5, first 2 shown]
	v_lshlrev_b32_e32 v158, 1, v168
	v_add3_u32 v43, v199, v198, v36
	v_lshlrev_b32_e32 v36, 1, v164
	v_add3_u32 v152, v172, v171, v173
	v_add3_u32 v151, v175, v174, v176
	ds_store_b16 v158, v2 offset:1024
	v_lshlrev_b32_e32 v2, 1, v160
	ds_store_b16 v36, v146 offset:1024
	v_lshlrev_b32_e32 v36, 1, v154
	v_add3_u32 v150, v179, v178, v180
	v_add3_u32 v42, v203, v202, v37
	v_lshlrev_b32_e32 v37, 1, v156
	v_add3_u32 v148, v183, v182, v184
	v_lshlrev_b32_e32 v158, 1, v155
	v_add3_u32 v147, v187, v186, v188
	v_add3_u32 v40, v191, v190, v192
	ds_store_b16 v2, v149 offset:1024
	ds_store_b16 v37, v153 offset:1024
	;; [unrolled: 1-line block ×3, first 2 shown]
	v_lshlrev_b32_e32 v2, 1, v152
	ds_store_b16 v36, v161 offset:1024
	v_lshlrev_b32_e32 v36, 1, v151
	v_lshlrev_b32_e32 v37, 1, v150
	;; [unrolled: 1-line block ×3, first 2 shown]
	v_add3_u32 v39, v195, v194, v196
	v_add3_u32 v41, v206, v205, v41
	ds_store_b16 v2, v165 offset:1024
	v_lshlrev_b32_e32 v2, 1, v147
	ds_store_b16 v36, v170 offset:1024
	ds_store_b16 v37, v169 offset:1024
	;; [unrolled: 1-line block ×3, first 2 shown]
	v_lshlrev_b32_e32 v36, 1, v40
	v_cmp_lt_u32_e32 vcc_lo, v1, v145
	v_lshlrev_b32_e32 v37, 1, v43
	ds_store_b16 v2, v181 offset:1024
	v_lshlrev_b32_e32 v2, 1, v39
	ds_store_b16 v36, v185 offset:1024
	v_lshlrev_b32_e32 v36, 1, v41
	v_lshlrev_b32_e32 v146, 1, v42
	ds_store_b16 v2, v189 offset:1024
	ds_store_b16 v37, v193 offset:1024
	;; [unrolled: 1-line block ×4, first 2 shown]
	s_waitcnt lgkmcnt(0)
	s_barrier
	buffer_gl0_inv
	s_and_saveexec_b32 s18, vcc_lo
	s_cbranch_execz .LBB1983_200
; %bb.185:                              ;   in Loop: Header=BB1983_106 Depth=2
	v_add_nc_u32_e32 v2, v72, v78
	ds_load_u16 v146, v2 offset:1024
	s_waitcnt lgkmcnt(0)
	v_cmp_ne_u16_e64 s17, 0x8000, v146
	s_delay_alu instid0(VALU_DEP_1) | instskip(SKIP_1) | instid1(VALU_DEP_2)
	v_cndmask_b32_e64 v2, 0x7fff, v146, s17
	v_cmp_gt_i16_e64 s17, 0, v146
	v_and_b32_e32 v2, 0xffff, v2
	s_delay_alu instid0(VALU_DEP_2) | instskip(NEXT) | instid1(VALU_DEP_2)
	v_cndmask_b32_e64 v149, 0x7fff, 0, s17
	v_lshrrev_b32_e32 v2, s48, v2
	s_delay_alu instid0(VALU_DEP_1) | instskip(NEXT) | instid1(VALU_DEP_1)
	v_and_b32_e32 v2, s55, v2
	v_lshlrev_b32_e32 v2, 2, v2
	ds_load_b32 v2, v2
	s_waitcnt lgkmcnt(0)
	v_add_nc_u32_e32 v2, v2, v1
	s_delay_alu instid0(VALU_DEP_1) | instskip(SKIP_1) | instid1(VALU_DEP_2)
	v_lshlrev_b64 v[36:37], 1, v[2:3]
	v_xor_b32_e32 v2, v149, v146
	v_add_co_u32 v36, s17, s38, v36
	s_delay_alu instid0(VALU_DEP_1) | instskip(SKIP_3) | instid1(VALU_DEP_1)
	v_add_co_ci_u32_e64 v37, s17, s39, v37, s17
	global_store_b16 v[36:37], v2, off
	s_or_b32 exec_lo, exec_lo, s18
	v_cmp_lt_u32_e64 s17, v45, v145
	s_and_saveexec_b32 s19, s17
	s_cbranch_execnz .LBB1983_201
.LBB1983_186:                           ;   in Loop: Header=BB1983_106 Depth=2
	s_or_b32 exec_lo, exec_lo, s19
	v_cmp_lt_u32_e64 s18, v46, v145
	s_delay_alu instid0(VALU_DEP_1)
	s_and_saveexec_b32 s20, s18
	s_cbranch_execz .LBB1983_202
.LBB1983_187:                           ;   in Loop: Header=BB1983_106 Depth=2
	ds_load_u16 v146, v79 offset:1024
	s_waitcnt lgkmcnt(0)
	v_cmp_ne_u16_e64 s19, 0x8000, v146
	s_delay_alu instid0(VALU_DEP_1) | instskip(SKIP_1) | instid1(VALU_DEP_2)
	v_cndmask_b32_e64 v2, 0x7fff, v146, s19
	v_cmp_gt_i16_e64 s19, 0, v146
	v_and_b32_e32 v2, 0xffff, v2
	s_delay_alu instid0(VALU_DEP_2) | instskip(NEXT) | instid1(VALU_DEP_2)
	v_cndmask_b32_e64 v149, 0x7fff, 0, s19
	v_lshrrev_b32_e32 v2, s48, v2
	s_delay_alu instid0(VALU_DEP_1) | instskip(NEXT) | instid1(VALU_DEP_1)
	v_and_b32_e32 v2, s55, v2
	v_lshlrev_b32_e32 v2, 2, v2
	ds_load_b32 v2, v2
	s_waitcnt lgkmcnt(0)
	v_add_nc_u32_e32 v2, v2, v46
	s_delay_alu instid0(VALU_DEP_1) | instskip(SKIP_1) | instid1(VALU_DEP_2)
	v_lshlrev_b64 v[36:37], 1, v[2:3]
	v_xor_b32_e32 v2, v149, v146
	v_add_co_u32 v36, s19, s38, v36
	s_delay_alu instid0(VALU_DEP_1) | instskip(SKIP_3) | instid1(VALU_DEP_1)
	v_add_co_ci_u32_e64 v37, s19, s39, v37, s19
	global_store_b16 v[36:37], v2, off
	s_or_b32 exec_lo, exec_lo, s20
	v_cmp_lt_u32_e64 s19, v47, v145
	s_and_saveexec_b32 s21, s19
	s_cbranch_execnz .LBB1983_203
.LBB1983_188:                           ;   in Loop: Header=BB1983_106 Depth=2
	s_or_b32 exec_lo, exec_lo, s21
	v_cmp_lt_u32_e64 s20, v51, v145
	s_delay_alu instid0(VALU_DEP_1)
	s_and_saveexec_b32 s22, s20
	s_cbranch_execz .LBB1983_204
.LBB1983_189:                           ;   in Loop: Header=BB1983_106 Depth=2
	ds_load_u16 v146, v79 offset:2048
	s_waitcnt lgkmcnt(0)
	v_cmp_ne_u16_e64 s21, 0x8000, v146
	s_delay_alu instid0(VALU_DEP_1) | instskip(SKIP_1) | instid1(VALU_DEP_2)
	v_cndmask_b32_e64 v2, 0x7fff, v146, s21
	v_cmp_gt_i16_e64 s21, 0, v146
	v_and_b32_e32 v2, 0xffff, v2
	s_delay_alu instid0(VALU_DEP_2) | instskip(NEXT) | instid1(VALU_DEP_2)
	v_cndmask_b32_e64 v149, 0x7fff, 0, s21
	v_lshrrev_b32_e32 v2, s48, v2
	s_delay_alu instid0(VALU_DEP_1) | instskip(NEXT) | instid1(VALU_DEP_1)
	v_and_b32_e32 v2, s55, v2
	v_lshlrev_b32_e32 v2, 2, v2
	ds_load_b32 v2, v2
	s_waitcnt lgkmcnt(0)
	v_add_nc_u32_e32 v2, v2, v51
	s_delay_alu instid0(VALU_DEP_1) | instskip(SKIP_1) | instid1(VALU_DEP_2)
	v_lshlrev_b64 v[36:37], 1, v[2:3]
	v_xor_b32_e32 v2, v149, v146
	v_add_co_u32 v36, s21, s38, v36
	s_delay_alu instid0(VALU_DEP_1) | instskip(SKIP_3) | instid1(VALU_DEP_1)
	v_add_co_ci_u32_e64 v37, s21, s39, v37, s21
	global_store_b16 v[36:37], v2, off
	s_or_b32 exec_lo, exec_lo, s22
	v_cmp_lt_u32_e64 s21, v52, v145
	s_and_saveexec_b32 s23, s21
	s_cbranch_execnz .LBB1983_205
.LBB1983_190:                           ;   in Loop: Header=BB1983_106 Depth=2
	s_or_b32 exec_lo, exec_lo, s23
	v_cmp_lt_u32_e64 s22, v53, v145
	s_delay_alu instid0(VALU_DEP_1)
	s_and_saveexec_b32 s24, s22
	s_cbranch_execz .LBB1983_206
.LBB1983_191:                           ;   in Loop: Header=BB1983_106 Depth=2
	ds_load_u16 v146, v79 offset:3072
	s_waitcnt lgkmcnt(0)
	v_cmp_ne_u16_e64 s23, 0x8000, v146
	s_delay_alu instid0(VALU_DEP_1) | instskip(SKIP_1) | instid1(VALU_DEP_2)
	v_cndmask_b32_e64 v2, 0x7fff, v146, s23
	v_cmp_gt_i16_e64 s23, 0, v146
	v_and_b32_e32 v2, 0xffff, v2
	s_delay_alu instid0(VALU_DEP_2) | instskip(NEXT) | instid1(VALU_DEP_2)
	v_cndmask_b32_e64 v149, 0x7fff, 0, s23
	v_lshrrev_b32_e32 v2, s48, v2
	s_delay_alu instid0(VALU_DEP_1) | instskip(NEXT) | instid1(VALU_DEP_1)
	v_and_b32_e32 v2, s55, v2
	v_lshlrev_b32_e32 v2, 2, v2
	ds_load_b32 v2, v2
	s_waitcnt lgkmcnt(0)
	v_add_nc_u32_e32 v2, v2, v53
	s_delay_alu instid0(VALU_DEP_1) | instskip(SKIP_1) | instid1(VALU_DEP_2)
	v_lshlrev_b64 v[36:37], 1, v[2:3]
	v_xor_b32_e32 v2, v149, v146
	v_add_co_u32 v36, s23, s38, v36
	s_delay_alu instid0(VALU_DEP_1) | instskip(SKIP_3) | instid1(VALU_DEP_1)
	v_add_co_ci_u32_e64 v37, s23, s39, v37, s23
	global_store_b16 v[36:37], v2, off
	s_or_b32 exec_lo, exec_lo, s24
	v_cmp_lt_u32_e64 s23, v54, v145
	s_and_saveexec_b32 s25, s23
	s_cbranch_execnz .LBB1983_207
.LBB1983_192:                           ;   in Loop: Header=BB1983_106 Depth=2
	s_or_b32 exec_lo, exec_lo, s25
	v_cmp_lt_u32_e64 s24, v55, v145
	s_delay_alu instid0(VALU_DEP_1)
	s_and_saveexec_b32 s26, s24
	s_cbranch_execz .LBB1983_208
.LBB1983_193:                           ;   in Loop: Header=BB1983_106 Depth=2
	ds_load_u16 v146, v79 offset:4096
	s_waitcnt lgkmcnt(0)
	v_cmp_ne_u16_e64 s25, 0x8000, v146
	s_delay_alu instid0(VALU_DEP_1) | instskip(SKIP_1) | instid1(VALU_DEP_2)
	v_cndmask_b32_e64 v2, 0x7fff, v146, s25
	v_cmp_gt_i16_e64 s25, 0, v146
	v_and_b32_e32 v2, 0xffff, v2
	s_delay_alu instid0(VALU_DEP_2) | instskip(NEXT) | instid1(VALU_DEP_2)
	v_cndmask_b32_e64 v149, 0x7fff, 0, s25
	v_lshrrev_b32_e32 v2, s48, v2
	s_delay_alu instid0(VALU_DEP_1) | instskip(NEXT) | instid1(VALU_DEP_1)
	v_and_b32_e32 v2, s55, v2
	v_lshlrev_b32_e32 v2, 2, v2
	ds_load_b32 v2, v2
	s_waitcnt lgkmcnt(0)
	v_add_nc_u32_e32 v2, v2, v55
	s_delay_alu instid0(VALU_DEP_1) | instskip(SKIP_1) | instid1(VALU_DEP_2)
	v_lshlrev_b64 v[36:37], 1, v[2:3]
	v_xor_b32_e32 v2, v149, v146
	v_add_co_u32 v36, s25, s38, v36
	s_delay_alu instid0(VALU_DEP_1) | instskip(SKIP_3) | instid1(VALU_DEP_1)
	v_add_co_ci_u32_e64 v37, s25, s39, v37, s25
	global_store_b16 v[36:37], v2, off
	s_or_b32 exec_lo, exec_lo, s26
	v_cmp_lt_u32_e64 s25, v56, v145
	s_and_saveexec_b32 s27, s25
	s_cbranch_execnz .LBB1983_209
.LBB1983_194:                           ;   in Loop: Header=BB1983_106 Depth=2
	s_or_b32 exec_lo, exec_lo, s27
	v_cmp_lt_u32_e64 s26, v57, v145
	s_delay_alu instid0(VALU_DEP_1)
	s_and_saveexec_b32 s28, s26
	s_cbranch_execz .LBB1983_210
.LBB1983_195:                           ;   in Loop: Header=BB1983_106 Depth=2
	ds_load_u16 v146, v79 offset:5120
	s_waitcnt lgkmcnt(0)
	v_cmp_ne_u16_e64 s27, 0x8000, v146
	s_delay_alu instid0(VALU_DEP_1) | instskip(SKIP_1) | instid1(VALU_DEP_2)
	v_cndmask_b32_e64 v2, 0x7fff, v146, s27
	v_cmp_gt_i16_e64 s27, 0, v146
	v_and_b32_e32 v2, 0xffff, v2
	s_delay_alu instid0(VALU_DEP_2) | instskip(NEXT) | instid1(VALU_DEP_2)
	v_cndmask_b32_e64 v149, 0x7fff, 0, s27
	v_lshrrev_b32_e32 v2, s48, v2
	s_delay_alu instid0(VALU_DEP_1) | instskip(NEXT) | instid1(VALU_DEP_1)
	v_and_b32_e32 v2, s55, v2
	v_lshlrev_b32_e32 v2, 2, v2
	ds_load_b32 v2, v2
	s_waitcnt lgkmcnt(0)
	v_add_nc_u32_e32 v2, v2, v57
	s_delay_alu instid0(VALU_DEP_1) | instskip(SKIP_1) | instid1(VALU_DEP_2)
	v_lshlrev_b64 v[36:37], 1, v[2:3]
	v_xor_b32_e32 v2, v149, v146
	v_add_co_u32 v36, s27, s38, v36
	s_delay_alu instid0(VALU_DEP_1) | instskip(SKIP_3) | instid1(VALU_DEP_1)
	v_add_co_ci_u32_e64 v37, s27, s39, v37, s27
	global_store_b16 v[36:37], v2, off
	s_or_b32 exec_lo, exec_lo, s28
	v_cmp_lt_u32_e64 s27, v58, v145
	s_and_saveexec_b32 s29, s27
	s_cbranch_execnz .LBB1983_211
.LBB1983_196:                           ;   in Loop: Header=BB1983_106 Depth=2
	s_or_b32 exec_lo, exec_lo, s29
	v_cmp_lt_u32_e64 s28, v59, v145
	s_delay_alu instid0(VALU_DEP_1)
	s_and_saveexec_b32 s30, s28
	s_cbranch_execz .LBB1983_212
.LBB1983_197:                           ;   in Loop: Header=BB1983_106 Depth=2
	ds_load_u16 v146, v79 offset:6144
	s_waitcnt lgkmcnt(0)
	v_cmp_ne_u16_e64 s29, 0x8000, v146
	s_delay_alu instid0(VALU_DEP_1) | instskip(SKIP_1) | instid1(VALU_DEP_2)
	v_cndmask_b32_e64 v2, 0x7fff, v146, s29
	v_cmp_gt_i16_e64 s29, 0, v146
	v_and_b32_e32 v2, 0xffff, v2
	s_delay_alu instid0(VALU_DEP_2) | instskip(NEXT) | instid1(VALU_DEP_2)
	v_cndmask_b32_e64 v149, 0x7fff, 0, s29
	v_lshrrev_b32_e32 v2, s48, v2
	s_delay_alu instid0(VALU_DEP_1) | instskip(NEXT) | instid1(VALU_DEP_1)
	v_and_b32_e32 v2, s55, v2
	v_lshlrev_b32_e32 v2, 2, v2
	ds_load_b32 v2, v2
	s_waitcnt lgkmcnt(0)
	v_add_nc_u32_e32 v2, v2, v59
	s_delay_alu instid0(VALU_DEP_1) | instskip(SKIP_1) | instid1(VALU_DEP_2)
	v_lshlrev_b64 v[36:37], 1, v[2:3]
	v_xor_b32_e32 v2, v149, v146
	v_add_co_u32 v36, s29, s38, v36
	s_delay_alu instid0(VALU_DEP_1) | instskip(SKIP_3) | instid1(VALU_DEP_1)
	v_add_co_ci_u32_e64 v37, s29, s39, v37, s29
	global_store_b16 v[36:37], v2, off
	s_or_b32 exec_lo, exec_lo, s30
	v_cmp_lt_u32_e64 s29, v60, v145
	s_and_saveexec_b32 s31, s29
	s_cbranch_execnz .LBB1983_213
.LBB1983_198:                           ;   in Loop: Header=BB1983_106 Depth=2
	s_or_b32 exec_lo, exec_lo, s31
	v_cmp_lt_u32_e64 s30, v61, v145
	s_delay_alu instid0(VALU_DEP_1)
	s_and_saveexec_b32 s33, s30
	s_cbranch_execz .LBB1983_214
.LBB1983_199:                           ;   in Loop: Header=BB1983_106 Depth=2
	ds_load_u16 v146, v79 offset:7168
	s_waitcnt lgkmcnt(0)
	v_cmp_ne_u16_e64 s31, 0x8000, v146
	s_delay_alu instid0(VALU_DEP_1) | instskip(SKIP_1) | instid1(VALU_DEP_2)
	v_cndmask_b32_e64 v2, 0x7fff, v146, s31
	v_cmp_gt_i16_e64 s31, 0, v146
	v_and_b32_e32 v2, 0xffff, v2
	s_delay_alu instid0(VALU_DEP_2) | instskip(NEXT) | instid1(VALU_DEP_2)
	v_cndmask_b32_e64 v149, 0x7fff, 0, s31
	v_lshrrev_b32_e32 v2, s48, v2
	s_delay_alu instid0(VALU_DEP_1) | instskip(NEXT) | instid1(VALU_DEP_1)
	v_and_b32_e32 v2, s55, v2
	v_lshlrev_b32_e32 v2, 2, v2
	ds_load_b32 v2, v2
	s_waitcnt lgkmcnt(0)
	v_add_nc_u32_e32 v2, v2, v61
	s_delay_alu instid0(VALU_DEP_1) | instskip(SKIP_1) | instid1(VALU_DEP_2)
	v_lshlrev_b64 v[36:37], 1, v[2:3]
	v_xor_b32_e32 v2, v149, v146
	v_add_co_u32 v36, s31, s38, v36
	s_delay_alu instid0(VALU_DEP_1) | instskip(SKIP_3) | instid1(VALU_DEP_1)
	v_add_co_ci_u32_e64 v37, s31, s39, v37, s31
	global_store_b16 v[36:37], v2, off
	s_or_b32 exec_lo, exec_lo, s33
	v_cmp_lt_u32_e64 s31, v63, v145
	s_and_saveexec_b32 s58, s31
	s_cbranch_execnz .LBB1983_215
	s_branch .LBB1983_216
.LBB1983_200:                           ;   in Loop: Header=BB1983_106 Depth=2
	s_or_b32 exec_lo, exec_lo, s18
	v_cmp_lt_u32_e64 s17, v45, v145
	s_delay_alu instid0(VALU_DEP_1)
	s_and_saveexec_b32 s19, s17
	s_cbranch_execz .LBB1983_186
.LBB1983_201:                           ;   in Loop: Header=BB1983_106 Depth=2
	ds_load_u16 v146, v79 offset:512
	s_waitcnt lgkmcnt(0)
	v_cmp_ne_u16_e64 s18, 0x8000, v146
	s_delay_alu instid0(VALU_DEP_1) | instskip(SKIP_1) | instid1(VALU_DEP_2)
	v_cndmask_b32_e64 v2, 0x7fff, v146, s18
	v_cmp_gt_i16_e64 s18, 0, v146
	v_and_b32_e32 v2, 0xffff, v2
	s_delay_alu instid0(VALU_DEP_2) | instskip(NEXT) | instid1(VALU_DEP_2)
	v_cndmask_b32_e64 v149, 0x7fff, 0, s18
	v_lshrrev_b32_e32 v2, s48, v2
	s_delay_alu instid0(VALU_DEP_1) | instskip(NEXT) | instid1(VALU_DEP_1)
	v_and_b32_e32 v2, s55, v2
	v_lshlrev_b32_e32 v2, 2, v2
	ds_load_b32 v2, v2
	s_waitcnt lgkmcnt(0)
	v_add_nc_u32_e32 v2, v2, v45
	s_delay_alu instid0(VALU_DEP_1) | instskip(SKIP_1) | instid1(VALU_DEP_2)
	v_lshlrev_b64 v[36:37], 1, v[2:3]
	v_xor_b32_e32 v2, v149, v146
	v_add_co_u32 v36, s18, s38, v36
	s_delay_alu instid0(VALU_DEP_1) | instskip(SKIP_3) | instid1(VALU_DEP_1)
	v_add_co_ci_u32_e64 v37, s18, s39, v37, s18
	global_store_b16 v[36:37], v2, off
	s_or_b32 exec_lo, exec_lo, s19
	v_cmp_lt_u32_e64 s18, v46, v145
	s_and_saveexec_b32 s20, s18
	s_cbranch_execnz .LBB1983_187
.LBB1983_202:                           ;   in Loop: Header=BB1983_106 Depth=2
	s_or_b32 exec_lo, exec_lo, s20
	v_cmp_lt_u32_e64 s19, v47, v145
	s_delay_alu instid0(VALU_DEP_1)
	s_and_saveexec_b32 s21, s19
	s_cbranch_execz .LBB1983_188
.LBB1983_203:                           ;   in Loop: Header=BB1983_106 Depth=2
	ds_load_u16 v146, v79 offset:1536
	s_waitcnt lgkmcnt(0)
	v_cmp_ne_u16_e64 s20, 0x8000, v146
	s_delay_alu instid0(VALU_DEP_1) | instskip(SKIP_1) | instid1(VALU_DEP_2)
	v_cndmask_b32_e64 v2, 0x7fff, v146, s20
	v_cmp_gt_i16_e64 s20, 0, v146
	v_and_b32_e32 v2, 0xffff, v2
	s_delay_alu instid0(VALU_DEP_2) | instskip(NEXT) | instid1(VALU_DEP_2)
	v_cndmask_b32_e64 v149, 0x7fff, 0, s20
	v_lshrrev_b32_e32 v2, s48, v2
	s_delay_alu instid0(VALU_DEP_1) | instskip(NEXT) | instid1(VALU_DEP_1)
	v_and_b32_e32 v2, s55, v2
	v_lshlrev_b32_e32 v2, 2, v2
	ds_load_b32 v2, v2
	s_waitcnt lgkmcnt(0)
	v_add_nc_u32_e32 v2, v2, v47
	s_delay_alu instid0(VALU_DEP_1) | instskip(SKIP_1) | instid1(VALU_DEP_2)
	v_lshlrev_b64 v[36:37], 1, v[2:3]
	v_xor_b32_e32 v2, v149, v146
	v_add_co_u32 v36, s20, s38, v36
	s_delay_alu instid0(VALU_DEP_1) | instskip(SKIP_3) | instid1(VALU_DEP_1)
	v_add_co_ci_u32_e64 v37, s20, s39, v37, s20
	global_store_b16 v[36:37], v2, off
	s_or_b32 exec_lo, exec_lo, s21
	v_cmp_lt_u32_e64 s20, v51, v145
	s_and_saveexec_b32 s22, s20
	s_cbranch_execnz .LBB1983_189
.LBB1983_204:                           ;   in Loop: Header=BB1983_106 Depth=2
	s_or_b32 exec_lo, exec_lo, s22
	v_cmp_lt_u32_e64 s21, v52, v145
	s_delay_alu instid0(VALU_DEP_1)
	s_and_saveexec_b32 s23, s21
	s_cbranch_execz .LBB1983_190
.LBB1983_205:                           ;   in Loop: Header=BB1983_106 Depth=2
	ds_load_u16 v146, v79 offset:2560
	s_waitcnt lgkmcnt(0)
	v_cmp_ne_u16_e64 s22, 0x8000, v146
	s_delay_alu instid0(VALU_DEP_1) | instskip(SKIP_1) | instid1(VALU_DEP_2)
	v_cndmask_b32_e64 v2, 0x7fff, v146, s22
	v_cmp_gt_i16_e64 s22, 0, v146
	v_and_b32_e32 v2, 0xffff, v2
	s_delay_alu instid0(VALU_DEP_2) | instskip(NEXT) | instid1(VALU_DEP_2)
	v_cndmask_b32_e64 v149, 0x7fff, 0, s22
	v_lshrrev_b32_e32 v2, s48, v2
	s_delay_alu instid0(VALU_DEP_1) | instskip(NEXT) | instid1(VALU_DEP_1)
	v_and_b32_e32 v2, s55, v2
	v_lshlrev_b32_e32 v2, 2, v2
	ds_load_b32 v2, v2
	s_waitcnt lgkmcnt(0)
	v_add_nc_u32_e32 v2, v2, v52
	s_delay_alu instid0(VALU_DEP_1) | instskip(SKIP_1) | instid1(VALU_DEP_2)
	v_lshlrev_b64 v[36:37], 1, v[2:3]
	v_xor_b32_e32 v2, v149, v146
	v_add_co_u32 v36, s22, s38, v36
	s_delay_alu instid0(VALU_DEP_1) | instskip(SKIP_3) | instid1(VALU_DEP_1)
	v_add_co_ci_u32_e64 v37, s22, s39, v37, s22
	global_store_b16 v[36:37], v2, off
	s_or_b32 exec_lo, exec_lo, s23
	v_cmp_lt_u32_e64 s22, v53, v145
	s_and_saveexec_b32 s24, s22
	s_cbranch_execnz .LBB1983_191
.LBB1983_206:                           ;   in Loop: Header=BB1983_106 Depth=2
	s_or_b32 exec_lo, exec_lo, s24
	v_cmp_lt_u32_e64 s23, v54, v145
	s_delay_alu instid0(VALU_DEP_1)
	s_and_saveexec_b32 s25, s23
	s_cbranch_execz .LBB1983_192
.LBB1983_207:                           ;   in Loop: Header=BB1983_106 Depth=2
	ds_load_u16 v146, v79 offset:3584
	s_waitcnt lgkmcnt(0)
	v_cmp_ne_u16_e64 s24, 0x8000, v146
	s_delay_alu instid0(VALU_DEP_1) | instskip(SKIP_1) | instid1(VALU_DEP_2)
	v_cndmask_b32_e64 v2, 0x7fff, v146, s24
	v_cmp_gt_i16_e64 s24, 0, v146
	v_and_b32_e32 v2, 0xffff, v2
	s_delay_alu instid0(VALU_DEP_2) | instskip(NEXT) | instid1(VALU_DEP_2)
	v_cndmask_b32_e64 v149, 0x7fff, 0, s24
	v_lshrrev_b32_e32 v2, s48, v2
	s_delay_alu instid0(VALU_DEP_1) | instskip(NEXT) | instid1(VALU_DEP_1)
	v_and_b32_e32 v2, s55, v2
	v_lshlrev_b32_e32 v2, 2, v2
	ds_load_b32 v2, v2
	s_waitcnt lgkmcnt(0)
	v_add_nc_u32_e32 v2, v2, v54
	s_delay_alu instid0(VALU_DEP_1) | instskip(SKIP_1) | instid1(VALU_DEP_2)
	v_lshlrev_b64 v[36:37], 1, v[2:3]
	v_xor_b32_e32 v2, v149, v146
	v_add_co_u32 v36, s24, s38, v36
	s_delay_alu instid0(VALU_DEP_1) | instskip(SKIP_3) | instid1(VALU_DEP_1)
	v_add_co_ci_u32_e64 v37, s24, s39, v37, s24
	global_store_b16 v[36:37], v2, off
	s_or_b32 exec_lo, exec_lo, s25
	v_cmp_lt_u32_e64 s24, v55, v145
	s_and_saveexec_b32 s26, s24
	s_cbranch_execnz .LBB1983_193
.LBB1983_208:                           ;   in Loop: Header=BB1983_106 Depth=2
	s_or_b32 exec_lo, exec_lo, s26
	v_cmp_lt_u32_e64 s25, v56, v145
	s_delay_alu instid0(VALU_DEP_1)
	s_and_saveexec_b32 s27, s25
	s_cbranch_execz .LBB1983_194
.LBB1983_209:                           ;   in Loop: Header=BB1983_106 Depth=2
	ds_load_u16 v146, v79 offset:4608
	s_waitcnt lgkmcnt(0)
	v_cmp_ne_u16_e64 s26, 0x8000, v146
	s_delay_alu instid0(VALU_DEP_1) | instskip(SKIP_1) | instid1(VALU_DEP_2)
	v_cndmask_b32_e64 v2, 0x7fff, v146, s26
	v_cmp_gt_i16_e64 s26, 0, v146
	v_and_b32_e32 v2, 0xffff, v2
	s_delay_alu instid0(VALU_DEP_2) | instskip(NEXT) | instid1(VALU_DEP_2)
	v_cndmask_b32_e64 v149, 0x7fff, 0, s26
	v_lshrrev_b32_e32 v2, s48, v2
	s_delay_alu instid0(VALU_DEP_1) | instskip(NEXT) | instid1(VALU_DEP_1)
	v_and_b32_e32 v2, s55, v2
	v_lshlrev_b32_e32 v2, 2, v2
	ds_load_b32 v2, v2
	s_waitcnt lgkmcnt(0)
	v_add_nc_u32_e32 v2, v2, v56
	s_delay_alu instid0(VALU_DEP_1) | instskip(SKIP_1) | instid1(VALU_DEP_2)
	v_lshlrev_b64 v[36:37], 1, v[2:3]
	v_xor_b32_e32 v2, v149, v146
	v_add_co_u32 v36, s26, s38, v36
	s_delay_alu instid0(VALU_DEP_1) | instskip(SKIP_3) | instid1(VALU_DEP_1)
	v_add_co_ci_u32_e64 v37, s26, s39, v37, s26
	global_store_b16 v[36:37], v2, off
	s_or_b32 exec_lo, exec_lo, s27
	v_cmp_lt_u32_e64 s26, v57, v145
	s_and_saveexec_b32 s28, s26
	s_cbranch_execnz .LBB1983_195
.LBB1983_210:                           ;   in Loop: Header=BB1983_106 Depth=2
	s_or_b32 exec_lo, exec_lo, s28
	v_cmp_lt_u32_e64 s27, v58, v145
	s_delay_alu instid0(VALU_DEP_1)
	s_and_saveexec_b32 s29, s27
	s_cbranch_execz .LBB1983_196
.LBB1983_211:                           ;   in Loop: Header=BB1983_106 Depth=2
	ds_load_u16 v146, v79 offset:5632
	s_waitcnt lgkmcnt(0)
	v_cmp_ne_u16_e64 s28, 0x8000, v146
	s_delay_alu instid0(VALU_DEP_1) | instskip(SKIP_1) | instid1(VALU_DEP_2)
	v_cndmask_b32_e64 v2, 0x7fff, v146, s28
	v_cmp_gt_i16_e64 s28, 0, v146
	v_and_b32_e32 v2, 0xffff, v2
	s_delay_alu instid0(VALU_DEP_2) | instskip(NEXT) | instid1(VALU_DEP_2)
	v_cndmask_b32_e64 v149, 0x7fff, 0, s28
	v_lshrrev_b32_e32 v2, s48, v2
	s_delay_alu instid0(VALU_DEP_1) | instskip(NEXT) | instid1(VALU_DEP_1)
	v_and_b32_e32 v2, s55, v2
	v_lshlrev_b32_e32 v2, 2, v2
	ds_load_b32 v2, v2
	s_waitcnt lgkmcnt(0)
	v_add_nc_u32_e32 v2, v2, v58
	s_delay_alu instid0(VALU_DEP_1) | instskip(SKIP_1) | instid1(VALU_DEP_2)
	v_lshlrev_b64 v[36:37], 1, v[2:3]
	v_xor_b32_e32 v2, v149, v146
	v_add_co_u32 v36, s28, s38, v36
	s_delay_alu instid0(VALU_DEP_1) | instskip(SKIP_3) | instid1(VALU_DEP_1)
	v_add_co_ci_u32_e64 v37, s28, s39, v37, s28
	global_store_b16 v[36:37], v2, off
	s_or_b32 exec_lo, exec_lo, s29
	v_cmp_lt_u32_e64 s28, v59, v145
	s_and_saveexec_b32 s30, s28
	s_cbranch_execnz .LBB1983_197
.LBB1983_212:                           ;   in Loop: Header=BB1983_106 Depth=2
	s_or_b32 exec_lo, exec_lo, s30
	v_cmp_lt_u32_e64 s29, v60, v145
	s_delay_alu instid0(VALU_DEP_1)
	s_and_saveexec_b32 s31, s29
	s_cbranch_execz .LBB1983_198
.LBB1983_213:                           ;   in Loop: Header=BB1983_106 Depth=2
	ds_load_u16 v146, v79 offset:6656
	s_waitcnt lgkmcnt(0)
	v_cmp_ne_u16_e64 s30, 0x8000, v146
	s_delay_alu instid0(VALU_DEP_1) | instskip(SKIP_1) | instid1(VALU_DEP_2)
	v_cndmask_b32_e64 v2, 0x7fff, v146, s30
	v_cmp_gt_i16_e64 s30, 0, v146
	v_and_b32_e32 v2, 0xffff, v2
	s_delay_alu instid0(VALU_DEP_2) | instskip(NEXT) | instid1(VALU_DEP_2)
	v_cndmask_b32_e64 v149, 0x7fff, 0, s30
	v_lshrrev_b32_e32 v2, s48, v2
	s_delay_alu instid0(VALU_DEP_1) | instskip(NEXT) | instid1(VALU_DEP_1)
	v_and_b32_e32 v2, s55, v2
	v_lshlrev_b32_e32 v2, 2, v2
	ds_load_b32 v2, v2
	s_waitcnt lgkmcnt(0)
	v_add_nc_u32_e32 v2, v2, v60
	s_delay_alu instid0(VALU_DEP_1) | instskip(SKIP_1) | instid1(VALU_DEP_2)
	v_lshlrev_b64 v[36:37], 1, v[2:3]
	v_xor_b32_e32 v2, v149, v146
	v_add_co_u32 v36, s30, s38, v36
	s_delay_alu instid0(VALU_DEP_1) | instskip(SKIP_3) | instid1(VALU_DEP_1)
	v_add_co_ci_u32_e64 v37, s30, s39, v37, s30
	global_store_b16 v[36:37], v2, off
	s_or_b32 exec_lo, exec_lo, s31
	v_cmp_lt_u32_e64 s30, v61, v145
	s_and_saveexec_b32 s33, s30
	s_cbranch_execnz .LBB1983_199
.LBB1983_214:                           ;   in Loop: Header=BB1983_106 Depth=2
	s_or_b32 exec_lo, exec_lo, s33
	v_cmp_lt_u32_e64 s31, v63, v145
	s_delay_alu instid0(VALU_DEP_1)
	s_and_saveexec_b32 s58, s31
	s_cbranch_execz .LBB1983_216
.LBB1983_215:                           ;   in Loop: Header=BB1983_106 Depth=2
	ds_load_u16 v146, v79 offset:7680
	s_waitcnt lgkmcnt(0)
	v_cmp_ne_u16_e64 s33, 0x8000, v146
	s_delay_alu instid0(VALU_DEP_1) | instskip(SKIP_1) | instid1(VALU_DEP_2)
	v_cndmask_b32_e64 v2, 0x7fff, v146, s33
	v_cmp_gt_i16_e64 s33, 0, v146
	v_and_b32_e32 v2, 0xffff, v2
	s_delay_alu instid0(VALU_DEP_2) | instskip(NEXT) | instid1(VALU_DEP_2)
	v_cndmask_b32_e64 v149, 0x7fff, 0, s33
	v_lshrrev_b32_e32 v2, s48, v2
	s_delay_alu instid0(VALU_DEP_1) | instskip(NEXT) | instid1(VALU_DEP_1)
	v_and_b32_e32 v2, s55, v2
	v_lshlrev_b32_e32 v2, 2, v2
	ds_load_b32 v2, v2
	s_waitcnt lgkmcnt(0)
	v_add_nc_u32_e32 v2, v2, v63
	s_delay_alu instid0(VALU_DEP_1) | instskip(SKIP_1) | instid1(VALU_DEP_2)
	v_lshlrev_b64 v[36:37], 1, v[2:3]
	v_xor_b32_e32 v2, v149, v146
	v_add_co_u32 v36, s33, s38, v36
	s_delay_alu instid0(VALU_DEP_1)
	v_add_co_ci_u32_e64 v37, s33, s39, v37, s33
	global_store_b16 v[36:37], v2, off
.LBB1983_216:                           ;   in Loop: Header=BB1983_106 Depth=2
	s_or_b32 exec_lo, exec_lo, s58
	s_lshl_b64 s[58:59], s[34:35], 3
	s_delay_alu instid0(SALU_CYCLE_1) | instskip(NEXT) | instid1(VALU_DEP_1)
	v_add_co_u32 v36, s33, v107, s58
	v_add_co_ci_u32_e64 v37, s33, s59, v108, s33
	v_cmp_lt_u32_e64 s33, v106, v145
	s_delay_alu instid0(VALU_DEP_1) | instskip(NEXT) | instid1(SALU_CYCLE_1)
	s_and_saveexec_b32 s34, s33
	s_xor_b32 s33, exec_lo, s34
	s_cbranch_execz .LBB1983_248
; %bb.217:                              ;   in Loop: Header=BB1983_106 Depth=2
	global_load_b64 v[34:35], v[36:37], off
	s_or_b32 exec_lo, exec_lo, s33
	s_delay_alu instid0(SALU_CYCLE_1)
	s_mov_b32 s34, exec_lo
	v_cmpx_lt_u32_e64 v109, v145
	s_cbranch_execnz .LBB1983_249
.LBB1983_218:                           ;   in Loop: Header=BB1983_106 Depth=2
	s_or_b32 exec_lo, exec_lo, s34
	s_delay_alu instid0(SALU_CYCLE_1)
	s_mov_b32 s34, exec_lo
	v_cmpx_lt_u32_e64 v110, v145
	s_cbranch_execz .LBB1983_250
.LBB1983_219:                           ;   in Loop: Header=BB1983_106 Depth=2
	global_load_b64 v[30:31], v[36:37], off offset:512
	s_or_b32 exec_lo, exec_lo, s34
	s_delay_alu instid0(SALU_CYCLE_1)
	s_mov_b32 s34, exec_lo
	v_cmpx_lt_u32_e64 v111, v145
	s_cbranch_execnz .LBB1983_251
.LBB1983_220:                           ;   in Loop: Header=BB1983_106 Depth=2
	s_or_b32 exec_lo, exec_lo, s34
	s_delay_alu instid0(SALU_CYCLE_1)
	s_mov_b32 s34, exec_lo
	v_cmpx_lt_u32_e64 v112, v145
	s_cbranch_execz .LBB1983_252
.LBB1983_221:                           ;   in Loop: Header=BB1983_106 Depth=2
	global_load_b64 v[26:27], v[36:37], off offset:1024
	s_or_b32 exec_lo, exec_lo, s34
	s_delay_alu instid0(SALU_CYCLE_1)
	s_mov_b32 s34, exec_lo
	v_cmpx_lt_u32_e64 v113, v145
	s_cbranch_execnz .LBB1983_253
.LBB1983_222:                           ;   in Loop: Header=BB1983_106 Depth=2
	s_or_b32 exec_lo, exec_lo, s34
	s_delay_alu instid0(SALU_CYCLE_1)
	s_mov_b32 s34, exec_lo
	v_cmpx_lt_u32_e64 v114, v145
	s_cbranch_execz .LBB1983_254
.LBB1983_223:                           ;   in Loop: Header=BB1983_106 Depth=2
	global_load_b64 v[22:23], v[36:37], off offset:1536
	s_or_b32 exec_lo, exec_lo, s34
	s_delay_alu instid0(SALU_CYCLE_1)
	s_mov_b32 s34, exec_lo
	v_cmpx_lt_u32_e64 v115, v145
	s_cbranch_execnz .LBB1983_255
.LBB1983_224:                           ;   in Loop: Header=BB1983_106 Depth=2
	s_or_b32 exec_lo, exec_lo, s34
	s_delay_alu instid0(SALU_CYCLE_1)
	s_mov_b32 s34, exec_lo
	v_cmpx_lt_u32_e64 v116, v145
	s_cbranch_execz .LBB1983_256
.LBB1983_225:                           ;   in Loop: Header=BB1983_106 Depth=2
	global_load_b64 v[18:19], v[36:37], off offset:2048
	s_or_b32 exec_lo, exec_lo, s34
	s_delay_alu instid0(SALU_CYCLE_1)
	s_mov_b32 s34, exec_lo
	v_cmpx_lt_u32_e64 v117, v145
	s_cbranch_execnz .LBB1983_257
.LBB1983_226:                           ;   in Loop: Header=BB1983_106 Depth=2
	s_or_b32 exec_lo, exec_lo, s34
	s_delay_alu instid0(SALU_CYCLE_1)
	s_mov_b32 s34, exec_lo
	v_cmpx_lt_u32_e64 v118, v145
	s_cbranch_execz .LBB1983_258
.LBB1983_227:                           ;   in Loop: Header=BB1983_106 Depth=2
	global_load_b64 v[14:15], v[36:37], off offset:2560
	s_or_b32 exec_lo, exec_lo, s34
	s_delay_alu instid0(SALU_CYCLE_1)
	s_mov_b32 s34, exec_lo
	v_cmpx_lt_u32_e64 v119, v145
	s_cbranch_execnz .LBB1983_259
.LBB1983_228:                           ;   in Loop: Header=BB1983_106 Depth=2
	s_or_b32 exec_lo, exec_lo, s34
	s_delay_alu instid0(SALU_CYCLE_1)
	s_mov_b32 s34, exec_lo
	v_cmpx_lt_u32_e64 v120, v145
	s_cbranch_execz .LBB1983_260
.LBB1983_229:                           ;   in Loop: Header=BB1983_106 Depth=2
	global_load_b64 v[10:11], v[36:37], off offset:3072
	s_or_b32 exec_lo, exec_lo, s34
	s_delay_alu instid0(SALU_CYCLE_1)
	s_mov_b32 s34, exec_lo
	v_cmpx_lt_u32_e64 v121, v145
	s_cbranch_execnz .LBB1983_261
.LBB1983_230:                           ;   in Loop: Header=BB1983_106 Depth=2
	s_or_b32 exec_lo, exec_lo, s34
	s_delay_alu instid0(SALU_CYCLE_1)
	s_mov_b32 s34, exec_lo
	v_cmpx_lt_u32_e64 v122, v145
	s_cbranch_execz .LBB1983_262
.LBB1983_231:                           ;   in Loop: Header=BB1983_106 Depth=2
	global_load_b64 v[6:7], v[36:37], off offset:3584
	s_or_b32 exec_lo, exec_lo, s34
	s_delay_alu instid0(SALU_CYCLE_1)
	s_mov_b32 s34, exec_lo
	v_cmpx_lt_u32_e64 v123, v145
	s_cbranch_execnz .LBB1983_263
.LBB1983_232:                           ;   in Loop: Header=BB1983_106 Depth=2
	s_or_b32 exec_lo, exec_lo, s34
	s_and_saveexec_b32 s34, vcc_lo
	s_cbranch_execz .LBB1983_264
.LBB1983_233:                           ;   in Loop: Header=BB1983_106 Depth=2
	v_add_nc_u32_e32 v2, v72, v78
	ds_load_u16 v2, v2 offset:1024
	s_waitcnt lgkmcnt(0)
	v_cmp_ne_u16_e64 s33, 0x8000, v2
	s_delay_alu instid0(VALU_DEP_1) | instskip(NEXT) | instid1(VALU_DEP_1)
	v_cndmask_b32_e64 v2, 0x7fff, v2, s33
	v_and_b32_e32 v2, 0xffff, v2
	s_delay_alu instid0(VALU_DEP_1) | instskip(NEXT) | instid1(VALU_DEP_1)
	v_lshrrev_b32_e32 v2, s48, v2
	v_and_b32_e32 v144, s55, v2
	s_or_b32 exec_lo, exec_lo, s34
	s_and_saveexec_b32 s34, s17
	s_cbranch_execnz .LBB1983_265
.LBB1983_234:                           ;   in Loop: Header=BB1983_106 Depth=2
	s_or_b32 exec_lo, exec_lo, s34
	s_and_saveexec_b32 s34, s18
	s_cbranch_execz .LBB1983_266
.LBB1983_235:                           ;   in Loop: Header=BB1983_106 Depth=2
	ds_load_u16 v2, v79 offset:1024
	s_waitcnt lgkmcnt(0)
	v_cmp_ne_u16_e64 s33, 0x8000, v2
	s_delay_alu instid0(VALU_DEP_1) | instskip(NEXT) | instid1(VALU_DEP_1)
	v_cndmask_b32_e64 v2, 0x7fff, v2, s33
	v_and_b32_e32 v2, 0xffff, v2
	s_delay_alu instid0(VALU_DEP_1) | instskip(NEXT) | instid1(VALU_DEP_1)
	v_lshrrev_b32_e32 v2, s48, v2
	v_and_b32_e32 v142, s55, v2
	s_or_b32 exec_lo, exec_lo, s34
	s_and_saveexec_b32 s34, s19
	s_cbranch_execnz .LBB1983_267
.LBB1983_236:                           ;   in Loop: Header=BB1983_106 Depth=2
	s_or_b32 exec_lo, exec_lo, s34
	s_and_saveexec_b32 s34, s20
	s_cbranch_execz .LBB1983_268
.LBB1983_237:                           ;   in Loop: Header=BB1983_106 Depth=2
	ds_load_u16 v2, v79 offset:2048
	s_waitcnt lgkmcnt(0)
	v_cmp_ne_u16_e64 s33, 0x8000, v2
	s_delay_alu instid0(VALU_DEP_1) | instskip(NEXT) | instid1(VALU_DEP_1)
	v_cndmask_b32_e64 v2, 0x7fff, v2, s33
	v_and_b32_e32 v2, 0xffff, v2
	s_delay_alu instid0(VALU_DEP_1) | instskip(NEXT) | instid1(VALU_DEP_1)
	v_lshrrev_b32_e32 v2, s48, v2
	v_and_b32_e32 v140, s55, v2
	s_or_b32 exec_lo, exec_lo, s34
	s_and_saveexec_b32 s34, s21
	s_cbranch_execnz .LBB1983_269
.LBB1983_238:                           ;   in Loop: Header=BB1983_106 Depth=2
	s_or_b32 exec_lo, exec_lo, s34
	s_and_saveexec_b32 s34, s22
	s_cbranch_execz .LBB1983_270
.LBB1983_239:                           ;   in Loop: Header=BB1983_106 Depth=2
	ds_load_u16 v2, v79 offset:3072
	s_waitcnt lgkmcnt(0)
	v_cmp_ne_u16_e64 s33, 0x8000, v2
	s_delay_alu instid0(VALU_DEP_1) | instskip(NEXT) | instid1(VALU_DEP_1)
	v_cndmask_b32_e64 v2, 0x7fff, v2, s33
	v_and_b32_e32 v2, 0xffff, v2
	s_delay_alu instid0(VALU_DEP_1) | instskip(NEXT) | instid1(VALU_DEP_1)
	v_lshrrev_b32_e32 v2, s48, v2
	v_and_b32_e32 v138, s55, v2
	s_or_b32 exec_lo, exec_lo, s34
	s_and_saveexec_b32 s34, s23
	s_cbranch_execnz .LBB1983_271
.LBB1983_240:                           ;   in Loop: Header=BB1983_106 Depth=2
	s_or_b32 exec_lo, exec_lo, s34
	s_and_saveexec_b32 s34, s24
	s_cbranch_execz .LBB1983_272
.LBB1983_241:                           ;   in Loop: Header=BB1983_106 Depth=2
	ds_load_u16 v2, v79 offset:4096
	s_waitcnt lgkmcnt(0)
	v_cmp_ne_u16_e64 s33, 0x8000, v2
	s_delay_alu instid0(VALU_DEP_1) | instskip(NEXT) | instid1(VALU_DEP_1)
	v_cndmask_b32_e64 v2, 0x7fff, v2, s33
	v_and_b32_e32 v2, 0xffff, v2
	s_delay_alu instid0(VALU_DEP_1) | instskip(NEXT) | instid1(VALU_DEP_1)
	v_lshrrev_b32_e32 v2, s48, v2
	v_and_b32_e32 v136, s55, v2
	s_or_b32 exec_lo, exec_lo, s34
	s_and_saveexec_b32 s34, s25
	s_cbranch_execnz .LBB1983_273
.LBB1983_242:                           ;   in Loop: Header=BB1983_106 Depth=2
	s_or_b32 exec_lo, exec_lo, s34
	s_and_saveexec_b32 s34, s26
	s_cbranch_execz .LBB1983_274
.LBB1983_243:                           ;   in Loop: Header=BB1983_106 Depth=2
	ds_load_u16 v2, v79 offset:5120
	s_waitcnt lgkmcnt(0)
	v_cmp_ne_u16_e64 s33, 0x8000, v2
	s_delay_alu instid0(VALU_DEP_1) | instskip(NEXT) | instid1(VALU_DEP_1)
	v_cndmask_b32_e64 v2, 0x7fff, v2, s33
	v_and_b32_e32 v2, 0xffff, v2
	s_delay_alu instid0(VALU_DEP_1) | instskip(NEXT) | instid1(VALU_DEP_1)
	v_lshrrev_b32_e32 v2, s48, v2
	v_and_b32_e32 v134, s55, v2
	s_or_b32 exec_lo, exec_lo, s34
	s_and_saveexec_b32 s34, s27
	s_cbranch_execnz .LBB1983_275
.LBB1983_244:                           ;   in Loop: Header=BB1983_106 Depth=2
	s_or_b32 exec_lo, exec_lo, s34
	s_and_saveexec_b32 s34, s28
	s_cbranch_execz .LBB1983_276
.LBB1983_245:                           ;   in Loop: Header=BB1983_106 Depth=2
	ds_load_u16 v2, v79 offset:6144
	s_waitcnt lgkmcnt(0)
	v_cmp_ne_u16_e64 s33, 0x8000, v2
	s_delay_alu instid0(VALU_DEP_1) | instskip(NEXT) | instid1(VALU_DEP_1)
	v_cndmask_b32_e64 v2, 0x7fff, v2, s33
	v_and_b32_e32 v2, 0xffff, v2
	s_delay_alu instid0(VALU_DEP_1) | instskip(NEXT) | instid1(VALU_DEP_1)
	v_lshrrev_b32_e32 v2, s48, v2
	v_and_b32_e32 v132, s55, v2
	s_or_b32 exec_lo, exec_lo, s34
	s_and_saveexec_b32 s34, s29
	s_cbranch_execnz .LBB1983_277
.LBB1983_246:                           ;   in Loop: Header=BB1983_106 Depth=2
	s_or_b32 exec_lo, exec_lo, s34
	s_and_saveexec_b32 s34, s30
	s_cbranch_execz .LBB1983_278
.LBB1983_247:                           ;   in Loop: Header=BB1983_106 Depth=2
	ds_load_u16 v2, v79 offset:7168
	s_waitcnt lgkmcnt(0)
	v_cmp_ne_u16_e64 s33, 0x8000, v2
	s_delay_alu instid0(VALU_DEP_1) | instskip(NEXT) | instid1(VALU_DEP_1)
	v_cndmask_b32_e64 v2, 0x7fff, v2, s33
	v_and_b32_e32 v2, 0xffff, v2
	s_delay_alu instid0(VALU_DEP_1) | instskip(NEXT) | instid1(VALU_DEP_1)
	v_lshrrev_b32_e32 v2, s48, v2
	v_and_b32_e32 v130, s55, v2
	s_or_b32 exec_lo, exec_lo, s34
	s_and_saveexec_b32 s34, s31
	s_cbranch_execnz .LBB1983_279
	s_branch .LBB1983_280
.LBB1983_248:                           ;   in Loop: Header=BB1983_106 Depth=2
	s_or_b32 exec_lo, exec_lo, s33
	s_delay_alu instid0(SALU_CYCLE_1)
	s_mov_b32 s34, exec_lo
	v_cmpx_lt_u32_e64 v109, v145
	s_cbranch_execz .LBB1983_218
.LBB1983_249:                           ;   in Loop: Header=BB1983_106 Depth=2
	global_load_b64 v[32:33], v[36:37], off offset:256
	s_or_b32 exec_lo, exec_lo, s34
	s_delay_alu instid0(SALU_CYCLE_1)
	s_mov_b32 s34, exec_lo
	v_cmpx_lt_u32_e64 v110, v145
	s_cbranch_execnz .LBB1983_219
.LBB1983_250:                           ;   in Loop: Header=BB1983_106 Depth=2
	s_or_b32 exec_lo, exec_lo, s34
	s_delay_alu instid0(SALU_CYCLE_1)
	s_mov_b32 s34, exec_lo
	v_cmpx_lt_u32_e64 v111, v145
	s_cbranch_execz .LBB1983_220
.LBB1983_251:                           ;   in Loop: Header=BB1983_106 Depth=2
	global_load_b64 v[28:29], v[36:37], off offset:768
	s_or_b32 exec_lo, exec_lo, s34
	s_delay_alu instid0(SALU_CYCLE_1)
	s_mov_b32 s34, exec_lo
	v_cmpx_lt_u32_e64 v112, v145
	s_cbranch_execnz .LBB1983_221
.LBB1983_252:                           ;   in Loop: Header=BB1983_106 Depth=2
	s_or_b32 exec_lo, exec_lo, s34
	s_delay_alu instid0(SALU_CYCLE_1)
	s_mov_b32 s34, exec_lo
	v_cmpx_lt_u32_e64 v113, v145
	s_cbranch_execz .LBB1983_222
.LBB1983_253:                           ;   in Loop: Header=BB1983_106 Depth=2
	global_load_b64 v[24:25], v[36:37], off offset:1280
	s_or_b32 exec_lo, exec_lo, s34
	s_delay_alu instid0(SALU_CYCLE_1)
	s_mov_b32 s34, exec_lo
	v_cmpx_lt_u32_e64 v114, v145
	s_cbranch_execnz .LBB1983_223
.LBB1983_254:                           ;   in Loop: Header=BB1983_106 Depth=2
	s_or_b32 exec_lo, exec_lo, s34
	s_delay_alu instid0(SALU_CYCLE_1)
	s_mov_b32 s34, exec_lo
	v_cmpx_lt_u32_e64 v115, v145
	s_cbranch_execz .LBB1983_224
.LBB1983_255:                           ;   in Loop: Header=BB1983_106 Depth=2
	global_load_b64 v[20:21], v[36:37], off offset:1792
	s_or_b32 exec_lo, exec_lo, s34
	s_delay_alu instid0(SALU_CYCLE_1)
	s_mov_b32 s34, exec_lo
	v_cmpx_lt_u32_e64 v116, v145
	s_cbranch_execnz .LBB1983_225
.LBB1983_256:                           ;   in Loop: Header=BB1983_106 Depth=2
	s_or_b32 exec_lo, exec_lo, s34
	s_delay_alu instid0(SALU_CYCLE_1)
	s_mov_b32 s34, exec_lo
	v_cmpx_lt_u32_e64 v117, v145
	s_cbranch_execz .LBB1983_226
.LBB1983_257:                           ;   in Loop: Header=BB1983_106 Depth=2
	global_load_b64 v[16:17], v[36:37], off offset:2304
	s_or_b32 exec_lo, exec_lo, s34
	s_delay_alu instid0(SALU_CYCLE_1)
	s_mov_b32 s34, exec_lo
	v_cmpx_lt_u32_e64 v118, v145
	s_cbranch_execnz .LBB1983_227
.LBB1983_258:                           ;   in Loop: Header=BB1983_106 Depth=2
	s_or_b32 exec_lo, exec_lo, s34
	s_delay_alu instid0(SALU_CYCLE_1)
	s_mov_b32 s34, exec_lo
	v_cmpx_lt_u32_e64 v119, v145
	s_cbranch_execz .LBB1983_228
.LBB1983_259:                           ;   in Loop: Header=BB1983_106 Depth=2
	global_load_b64 v[12:13], v[36:37], off offset:2816
	s_or_b32 exec_lo, exec_lo, s34
	s_delay_alu instid0(SALU_CYCLE_1)
	s_mov_b32 s34, exec_lo
	v_cmpx_lt_u32_e64 v120, v145
	s_cbranch_execnz .LBB1983_229
.LBB1983_260:                           ;   in Loop: Header=BB1983_106 Depth=2
	s_or_b32 exec_lo, exec_lo, s34
	s_delay_alu instid0(SALU_CYCLE_1)
	s_mov_b32 s34, exec_lo
	v_cmpx_lt_u32_e64 v121, v145
	s_cbranch_execz .LBB1983_230
.LBB1983_261:                           ;   in Loop: Header=BB1983_106 Depth=2
	global_load_b64 v[8:9], v[36:37], off offset:3328
	s_or_b32 exec_lo, exec_lo, s34
	s_delay_alu instid0(SALU_CYCLE_1)
	s_mov_b32 s34, exec_lo
	v_cmpx_lt_u32_e64 v122, v145
	s_cbranch_execnz .LBB1983_231
.LBB1983_262:                           ;   in Loop: Header=BB1983_106 Depth=2
	s_or_b32 exec_lo, exec_lo, s34
	s_delay_alu instid0(SALU_CYCLE_1)
	s_mov_b32 s34, exec_lo
	v_cmpx_lt_u32_e64 v123, v145
	s_cbranch_execz .LBB1983_232
.LBB1983_263:                           ;   in Loop: Header=BB1983_106 Depth=2
	global_load_b64 v[4:5], v[36:37], off offset:3840
	s_or_b32 exec_lo, exec_lo, s34
	s_and_saveexec_b32 s34, vcc_lo
	s_cbranch_execnz .LBB1983_233
.LBB1983_264:                           ;   in Loop: Header=BB1983_106 Depth=2
	s_or_b32 exec_lo, exec_lo, s34
	s_and_saveexec_b32 s34, s17
	s_cbranch_execz .LBB1983_234
.LBB1983_265:                           ;   in Loop: Header=BB1983_106 Depth=2
	ds_load_u16 v2, v79 offset:512
	s_waitcnt lgkmcnt(0)
	v_cmp_ne_u16_e64 s33, 0x8000, v2
	s_delay_alu instid0(VALU_DEP_1) | instskip(NEXT) | instid1(VALU_DEP_1)
	v_cndmask_b32_e64 v2, 0x7fff, v2, s33
	v_and_b32_e32 v2, 0xffff, v2
	s_delay_alu instid0(VALU_DEP_1) | instskip(NEXT) | instid1(VALU_DEP_1)
	v_lshrrev_b32_e32 v2, s48, v2
	v_and_b32_e32 v143, s55, v2
	s_or_b32 exec_lo, exec_lo, s34
	s_and_saveexec_b32 s34, s18
	s_cbranch_execnz .LBB1983_235
.LBB1983_266:                           ;   in Loop: Header=BB1983_106 Depth=2
	s_or_b32 exec_lo, exec_lo, s34
	s_and_saveexec_b32 s34, s19
	s_cbranch_execz .LBB1983_236
.LBB1983_267:                           ;   in Loop: Header=BB1983_106 Depth=2
	ds_load_u16 v2, v79 offset:1536
	s_waitcnt lgkmcnt(0)
	v_cmp_ne_u16_e64 s33, 0x8000, v2
	s_delay_alu instid0(VALU_DEP_1) | instskip(NEXT) | instid1(VALU_DEP_1)
	v_cndmask_b32_e64 v2, 0x7fff, v2, s33
	v_and_b32_e32 v2, 0xffff, v2
	s_delay_alu instid0(VALU_DEP_1) | instskip(NEXT) | instid1(VALU_DEP_1)
	v_lshrrev_b32_e32 v2, s48, v2
	v_and_b32_e32 v141, s55, v2
	s_or_b32 exec_lo, exec_lo, s34
	s_and_saveexec_b32 s34, s20
	s_cbranch_execnz .LBB1983_237
.LBB1983_268:                           ;   in Loop: Header=BB1983_106 Depth=2
	s_or_b32 exec_lo, exec_lo, s34
	s_and_saveexec_b32 s34, s21
	s_cbranch_execz .LBB1983_238
.LBB1983_269:                           ;   in Loop: Header=BB1983_106 Depth=2
	ds_load_u16 v2, v79 offset:2560
	s_waitcnt lgkmcnt(0)
	v_cmp_ne_u16_e64 s33, 0x8000, v2
	s_delay_alu instid0(VALU_DEP_1) | instskip(NEXT) | instid1(VALU_DEP_1)
	v_cndmask_b32_e64 v2, 0x7fff, v2, s33
	v_and_b32_e32 v2, 0xffff, v2
	s_delay_alu instid0(VALU_DEP_1) | instskip(NEXT) | instid1(VALU_DEP_1)
	v_lshrrev_b32_e32 v2, s48, v2
	v_and_b32_e32 v139, s55, v2
	s_or_b32 exec_lo, exec_lo, s34
	s_and_saveexec_b32 s34, s22
	s_cbranch_execnz .LBB1983_239
.LBB1983_270:                           ;   in Loop: Header=BB1983_106 Depth=2
	s_or_b32 exec_lo, exec_lo, s34
	s_and_saveexec_b32 s34, s23
	s_cbranch_execz .LBB1983_240
.LBB1983_271:                           ;   in Loop: Header=BB1983_106 Depth=2
	ds_load_u16 v2, v79 offset:3584
	s_waitcnt lgkmcnt(0)
	v_cmp_ne_u16_e64 s33, 0x8000, v2
	s_delay_alu instid0(VALU_DEP_1) | instskip(NEXT) | instid1(VALU_DEP_1)
	v_cndmask_b32_e64 v2, 0x7fff, v2, s33
	v_and_b32_e32 v2, 0xffff, v2
	s_delay_alu instid0(VALU_DEP_1) | instskip(NEXT) | instid1(VALU_DEP_1)
	v_lshrrev_b32_e32 v2, s48, v2
	v_and_b32_e32 v137, s55, v2
	s_or_b32 exec_lo, exec_lo, s34
	s_and_saveexec_b32 s34, s24
	s_cbranch_execnz .LBB1983_241
.LBB1983_272:                           ;   in Loop: Header=BB1983_106 Depth=2
	s_or_b32 exec_lo, exec_lo, s34
	s_and_saveexec_b32 s34, s25
	s_cbranch_execz .LBB1983_242
.LBB1983_273:                           ;   in Loop: Header=BB1983_106 Depth=2
	ds_load_u16 v2, v79 offset:4608
	s_waitcnt lgkmcnt(0)
	v_cmp_ne_u16_e64 s33, 0x8000, v2
	s_delay_alu instid0(VALU_DEP_1) | instskip(NEXT) | instid1(VALU_DEP_1)
	v_cndmask_b32_e64 v2, 0x7fff, v2, s33
	v_and_b32_e32 v2, 0xffff, v2
	s_delay_alu instid0(VALU_DEP_1) | instskip(NEXT) | instid1(VALU_DEP_1)
	v_lshrrev_b32_e32 v2, s48, v2
	v_and_b32_e32 v135, s55, v2
	s_or_b32 exec_lo, exec_lo, s34
	s_and_saveexec_b32 s34, s26
	s_cbranch_execnz .LBB1983_243
.LBB1983_274:                           ;   in Loop: Header=BB1983_106 Depth=2
	s_or_b32 exec_lo, exec_lo, s34
	s_and_saveexec_b32 s34, s27
	s_cbranch_execz .LBB1983_244
.LBB1983_275:                           ;   in Loop: Header=BB1983_106 Depth=2
	ds_load_u16 v2, v79 offset:5632
	s_waitcnt lgkmcnt(0)
	v_cmp_ne_u16_e64 s33, 0x8000, v2
	s_delay_alu instid0(VALU_DEP_1) | instskip(NEXT) | instid1(VALU_DEP_1)
	v_cndmask_b32_e64 v2, 0x7fff, v2, s33
	v_and_b32_e32 v2, 0xffff, v2
	s_delay_alu instid0(VALU_DEP_1) | instskip(NEXT) | instid1(VALU_DEP_1)
	v_lshrrev_b32_e32 v2, s48, v2
	v_and_b32_e32 v133, s55, v2
	s_or_b32 exec_lo, exec_lo, s34
	s_and_saveexec_b32 s34, s28
	s_cbranch_execnz .LBB1983_245
.LBB1983_276:                           ;   in Loop: Header=BB1983_106 Depth=2
	s_or_b32 exec_lo, exec_lo, s34
	s_and_saveexec_b32 s34, s29
	s_cbranch_execz .LBB1983_246
.LBB1983_277:                           ;   in Loop: Header=BB1983_106 Depth=2
	ds_load_u16 v2, v79 offset:6656
	s_waitcnt lgkmcnt(0)
	v_cmp_ne_u16_e64 s33, 0x8000, v2
	s_delay_alu instid0(VALU_DEP_1) | instskip(NEXT) | instid1(VALU_DEP_1)
	v_cndmask_b32_e64 v2, 0x7fff, v2, s33
	v_and_b32_e32 v2, 0xffff, v2
	s_delay_alu instid0(VALU_DEP_1) | instskip(NEXT) | instid1(VALU_DEP_1)
	v_lshrrev_b32_e32 v2, s48, v2
	v_and_b32_e32 v131, s55, v2
	s_or_b32 exec_lo, exec_lo, s34
	s_and_saveexec_b32 s34, s30
	s_cbranch_execnz .LBB1983_247
.LBB1983_278:                           ;   in Loop: Header=BB1983_106 Depth=2
	s_or_b32 exec_lo, exec_lo, s34
	s_and_saveexec_b32 s34, s31
	s_cbranch_execz .LBB1983_280
.LBB1983_279:                           ;   in Loop: Header=BB1983_106 Depth=2
	ds_load_u16 v2, v79 offset:7680
	s_waitcnt lgkmcnt(0)
	v_cmp_ne_u16_e64 s33, 0x8000, v2
	s_delay_alu instid0(VALU_DEP_1) | instskip(NEXT) | instid1(VALU_DEP_1)
	v_cndmask_b32_e64 v2, 0x7fff, v2, s33
	v_and_b32_e32 v2, 0xffff, v2
	s_delay_alu instid0(VALU_DEP_1) | instskip(NEXT) | instid1(VALU_DEP_1)
	v_lshrrev_b32_e32 v2, s48, v2
	v_and_b32_e32 v129, s55, v2
.LBB1983_280:                           ;   in Loop: Header=BB1983_106 Depth=2
	s_or_b32 exec_lo, exec_lo, s34
	v_lshlrev_b32_e32 v2, 3, v168
	v_lshlrev_b32_e32 v36, 3, v164
	s_waitcnt vmcnt(0)
	s_waitcnt_vscnt null, 0x0
	s_barrier
	buffer_gl0_inv
	ds_store_b64 v2, v[34:35] offset:1024
	v_lshlrev_b32_e32 v2, 3, v160
	v_lshlrev_b32_e32 v37, 3, v156
	;; [unrolled: 1-line block ×4, first 2 shown]
	ds_store_b64 v36, v[32:33] offset:1024
	ds_store_b64 v2, v[30:31] offset:1024
	;; [unrolled: 1-line block ×5, first 2 shown]
	v_lshlrev_b32_e32 v2, 3, v152
	v_lshlrev_b32_e32 v36, 3, v151
	;; [unrolled: 1-line block ×5, first 2 shown]
	ds_store_b64 v2, v[22:23] offset:1024
	ds_store_b64 v36, v[20:21] offset:1024
	;; [unrolled: 1-line block ×5, first 2 shown]
	v_lshlrev_b32_e32 v2, 3, v40
	v_lshlrev_b32_e32 v36, 3, v39
	;; [unrolled: 1-line block ×5, first 2 shown]
	ds_store_b64 v2, v[12:13] offset:1024
	ds_store_b64 v36, v[10:11] offset:1024
	;; [unrolled: 1-line block ×5, first 2 shown]
	s_waitcnt lgkmcnt(0)
	s_barrier
	buffer_gl0_inv
	s_and_saveexec_b32 s33, vcc_lo
	s_cbranch_execz .LBB1983_296
; %bb.281:                              ;   in Loop: Header=BB1983_106 Depth=2
	v_lshlrev_b32_e32 v2, 2, v144
	ds_load_b32 v2, v2
	ds_load_b64 v[36:37], v80 offset:1024
	s_waitcnt lgkmcnt(1)
	v_add_nc_u32_e32 v2, v2, v1
	s_delay_alu instid0(VALU_DEP_1) | instskip(NEXT) | instid1(VALU_DEP_1)
	v_lshlrev_b64 v[39:40], 3, v[2:3]
	v_add_co_u32 v39, vcc_lo, s44, v39
	s_delay_alu instid0(VALU_DEP_2)
	v_add_co_ci_u32_e32 v40, vcc_lo, s45, v40, vcc_lo
	s_waitcnt lgkmcnt(0)
	global_store_b64 v[39:40], v[36:37], off
	s_or_b32 exec_lo, exec_lo, s33
	s_and_saveexec_b32 s33, s17
	s_cbranch_execnz .LBB1983_297
.LBB1983_282:                           ;   in Loop: Header=BB1983_106 Depth=2
	s_or_b32 exec_lo, exec_lo, s33
	s_and_saveexec_b32 s17, s18
	s_cbranch_execz .LBB1983_298
.LBB1983_283:                           ;   in Loop: Header=BB1983_106 Depth=2
	v_lshlrev_b32_e32 v2, 2, v142
	v_add_nc_u32_e32 v36, v79, v81
	ds_load_b32 v2, v2
	ds_load_b64 v[36:37], v36 offset:4096
	s_waitcnt lgkmcnt(1)
	v_add_nc_u32_e32 v2, v2, v46
	s_delay_alu instid0(VALU_DEP_1) | instskip(NEXT) | instid1(VALU_DEP_1)
	v_lshlrev_b64 v[39:40], 3, v[2:3]
	v_add_co_u32 v39, vcc_lo, s44, v39
	s_delay_alu instid0(VALU_DEP_2)
	v_add_co_ci_u32_e32 v40, vcc_lo, s45, v40, vcc_lo
	s_waitcnt lgkmcnt(0)
	global_store_b64 v[39:40], v[36:37], off
	s_or_b32 exec_lo, exec_lo, s17
	s_and_saveexec_b32 s17, s19
	s_cbranch_execnz .LBB1983_299
.LBB1983_284:                           ;   in Loop: Header=BB1983_106 Depth=2
	s_or_b32 exec_lo, exec_lo, s17
	s_and_saveexec_b32 s17, s20
	s_cbranch_execz .LBB1983_300
.LBB1983_285:                           ;   in Loop: Header=BB1983_106 Depth=2
	v_lshlrev_b32_e32 v2, 2, v140
	v_add_nc_u32_e32 v36, v79, v81
	ds_load_b32 v2, v2
	ds_load_b64 v[36:37], v36 offset:8192
	s_waitcnt lgkmcnt(1)
	v_add_nc_u32_e32 v2, v2, v51
	s_delay_alu instid0(VALU_DEP_1) | instskip(NEXT) | instid1(VALU_DEP_1)
	v_lshlrev_b64 v[39:40], 3, v[2:3]
	v_add_co_u32 v39, vcc_lo, s44, v39
	s_delay_alu instid0(VALU_DEP_2)
	v_add_co_ci_u32_e32 v40, vcc_lo, s45, v40, vcc_lo
	s_waitcnt lgkmcnt(0)
	global_store_b64 v[39:40], v[36:37], off
	s_or_b32 exec_lo, exec_lo, s17
	s_and_saveexec_b32 s17, s21
	s_cbranch_execnz .LBB1983_301
.LBB1983_286:                           ;   in Loop: Header=BB1983_106 Depth=2
	s_or_b32 exec_lo, exec_lo, s17
	s_and_saveexec_b32 s17, s22
	s_cbranch_execz .LBB1983_302
.LBB1983_287:                           ;   in Loop: Header=BB1983_106 Depth=2
	v_lshlrev_b32_e32 v2, 2, v138
	v_add_nc_u32_e32 v36, v79, v81
	ds_load_b32 v2, v2
	ds_load_b64 v[36:37], v36 offset:12288
	s_waitcnt lgkmcnt(1)
	v_add_nc_u32_e32 v2, v2, v53
	s_delay_alu instid0(VALU_DEP_1) | instskip(NEXT) | instid1(VALU_DEP_1)
	v_lshlrev_b64 v[39:40], 3, v[2:3]
	v_add_co_u32 v39, vcc_lo, s44, v39
	s_delay_alu instid0(VALU_DEP_2)
	v_add_co_ci_u32_e32 v40, vcc_lo, s45, v40, vcc_lo
	s_waitcnt lgkmcnt(0)
	global_store_b64 v[39:40], v[36:37], off
	s_or_b32 exec_lo, exec_lo, s17
	s_and_saveexec_b32 s17, s23
	s_cbranch_execnz .LBB1983_303
.LBB1983_288:                           ;   in Loop: Header=BB1983_106 Depth=2
	s_or_b32 exec_lo, exec_lo, s17
	s_and_saveexec_b32 s17, s24
	s_cbranch_execz .LBB1983_304
.LBB1983_289:                           ;   in Loop: Header=BB1983_106 Depth=2
	v_lshlrev_b32_e32 v2, 2, v136
	v_add_nc_u32_e32 v36, v79, v81
	ds_load_b32 v2, v2
	ds_load_b64 v[36:37], v36 offset:16384
	s_waitcnt lgkmcnt(1)
	v_add_nc_u32_e32 v2, v2, v55
	s_delay_alu instid0(VALU_DEP_1) | instskip(NEXT) | instid1(VALU_DEP_1)
	v_lshlrev_b64 v[39:40], 3, v[2:3]
	v_add_co_u32 v39, vcc_lo, s44, v39
	s_delay_alu instid0(VALU_DEP_2)
	v_add_co_ci_u32_e32 v40, vcc_lo, s45, v40, vcc_lo
	s_waitcnt lgkmcnt(0)
	global_store_b64 v[39:40], v[36:37], off
	s_or_b32 exec_lo, exec_lo, s17
	s_and_saveexec_b32 s17, s25
	s_cbranch_execnz .LBB1983_305
.LBB1983_290:                           ;   in Loop: Header=BB1983_106 Depth=2
	s_or_b32 exec_lo, exec_lo, s17
	s_and_saveexec_b32 s17, s26
	s_cbranch_execz .LBB1983_306
.LBB1983_291:                           ;   in Loop: Header=BB1983_106 Depth=2
	v_lshlrev_b32_e32 v2, 2, v134
	v_add_nc_u32_e32 v36, v79, v81
	ds_load_b32 v2, v2
	ds_load_b64 v[36:37], v36 offset:20480
	s_waitcnt lgkmcnt(1)
	v_add_nc_u32_e32 v2, v2, v57
	s_delay_alu instid0(VALU_DEP_1) | instskip(NEXT) | instid1(VALU_DEP_1)
	v_lshlrev_b64 v[39:40], 3, v[2:3]
	v_add_co_u32 v39, vcc_lo, s44, v39
	s_delay_alu instid0(VALU_DEP_2)
	v_add_co_ci_u32_e32 v40, vcc_lo, s45, v40, vcc_lo
	s_waitcnt lgkmcnt(0)
	global_store_b64 v[39:40], v[36:37], off
	s_or_b32 exec_lo, exec_lo, s17
	s_and_saveexec_b32 s17, s27
	s_cbranch_execnz .LBB1983_307
.LBB1983_292:                           ;   in Loop: Header=BB1983_106 Depth=2
	s_or_b32 exec_lo, exec_lo, s17
	s_and_saveexec_b32 s17, s28
	s_cbranch_execz .LBB1983_308
.LBB1983_293:                           ;   in Loop: Header=BB1983_106 Depth=2
	v_lshlrev_b32_e32 v2, 2, v132
	v_add_nc_u32_e32 v36, v79, v81
	ds_load_b32 v2, v2
	ds_load_b64 v[36:37], v36 offset:24576
	s_waitcnt lgkmcnt(1)
	v_add_nc_u32_e32 v2, v2, v59
	s_delay_alu instid0(VALU_DEP_1) | instskip(NEXT) | instid1(VALU_DEP_1)
	v_lshlrev_b64 v[39:40], 3, v[2:3]
	v_add_co_u32 v39, vcc_lo, s44, v39
	s_delay_alu instid0(VALU_DEP_2)
	v_add_co_ci_u32_e32 v40, vcc_lo, s45, v40, vcc_lo
	s_waitcnt lgkmcnt(0)
	global_store_b64 v[39:40], v[36:37], off
	s_or_b32 exec_lo, exec_lo, s17
	s_and_saveexec_b32 s17, s29
	s_cbranch_execnz .LBB1983_309
.LBB1983_294:                           ;   in Loop: Header=BB1983_106 Depth=2
	s_or_b32 exec_lo, exec_lo, s17
	s_and_saveexec_b32 s17, s30
	s_cbranch_execz .LBB1983_310
.LBB1983_295:                           ;   in Loop: Header=BB1983_106 Depth=2
	v_lshlrev_b32_e32 v2, 2, v130
	v_add_nc_u32_e32 v36, v79, v81
	ds_load_b32 v2, v2
	ds_load_b64 v[36:37], v36 offset:28672
	s_waitcnt lgkmcnt(1)
	v_add_nc_u32_e32 v2, v2, v61
	s_delay_alu instid0(VALU_DEP_1) | instskip(NEXT) | instid1(VALU_DEP_1)
	v_lshlrev_b64 v[39:40], 3, v[2:3]
	v_add_co_u32 v39, vcc_lo, s44, v39
	s_delay_alu instid0(VALU_DEP_2)
	v_add_co_ci_u32_e32 v40, vcc_lo, s45, v40, vcc_lo
	s_waitcnt lgkmcnt(0)
	global_store_b64 v[39:40], v[36:37], off
	s_or_b32 exec_lo, exec_lo, s17
	s_and_saveexec_b32 s17, s31
	s_cbranch_execnz .LBB1983_311
	s_branch .LBB1983_312
.LBB1983_296:                           ;   in Loop: Header=BB1983_106 Depth=2
	s_or_b32 exec_lo, exec_lo, s33
	s_and_saveexec_b32 s33, s17
	s_cbranch_execz .LBB1983_282
.LBB1983_297:                           ;   in Loop: Header=BB1983_106 Depth=2
	v_lshlrev_b32_e32 v2, 2, v143
	v_add_nc_u32_e32 v36, v79, v81
	ds_load_b32 v2, v2
	ds_load_b64 v[36:37], v36 offset:2048
	s_waitcnt lgkmcnt(1)
	v_add_nc_u32_e32 v2, v2, v45
	s_delay_alu instid0(VALU_DEP_1) | instskip(NEXT) | instid1(VALU_DEP_1)
	v_lshlrev_b64 v[39:40], 3, v[2:3]
	v_add_co_u32 v39, vcc_lo, s44, v39
	s_delay_alu instid0(VALU_DEP_2)
	v_add_co_ci_u32_e32 v40, vcc_lo, s45, v40, vcc_lo
	s_waitcnt lgkmcnt(0)
	global_store_b64 v[39:40], v[36:37], off
	s_or_b32 exec_lo, exec_lo, s33
	s_and_saveexec_b32 s17, s18
	s_cbranch_execnz .LBB1983_283
.LBB1983_298:                           ;   in Loop: Header=BB1983_106 Depth=2
	s_or_b32 exec_lo, exec_lo, s17
	s_and_saveexec_b32 s17, s19
	s_cbranch_execz .LBB1983_284
.LBB1983_299:                           ;   in Loop: Header=BB1983_106 Depth=2
	v_lshlrev_b32_e32 v2, 2, v141
	v_add_nc_u32_e32 v36, v79, v81
	ds_load_b32 v2, v2
	ds_load_b64 v[36:37], v36 offset:6144
	s_waitcnt lgkmcnt(1)
	v_add_nc_u32_e32 v2, v2, v47
	s_delay_alu instid0(VALU_DEP_1) | instskip(NEXT) | instid1(VALU_DEP_1)
	v_lshlrev_b64 v[39:40], 3, v[2:3]
	v_add_co_u32 v39, vcc_lo, s44, v39
	s_delay_alu instid0(VALU_DEP_2)
	v_add_co_ci_u32_e32 v40, vcc_lo, s45, v40, vcc_lo
	s_waitcnt lgkmcnt(0)
	global_store_b64 v[39:40], v[36:37], off
	s_or_b32 exec_lo, exec_lo, s17
	s_and_saveexec_b32 s17, s20
	s_cbranch_execnz .LBB1983_285
.LBB1983_300:                           ;   in Loop: Header=BB1983_106 Depth=2
	s_or_b32 exec_lo, exec_lo, s17
	s_and_saveexec_b32 s17, s21
	s_cbranch_execz .LBB1983_286
.LBB1983_301:                           ;   in Loop: Header=BB1983_106 Depth=2
	v_lshlrev_b32_e32 v2, 2, v139
	v_add_nc_u32_e32 v36, v79, v81
	ds_load_b32 v2, v2
	ds_load_b64 v[36:37], v36 offset:10240
	s_waitcnt lgkmcnt(1)
	v_add_nc_u32_e32 v2, v2, v52
	s_delay_alu instid0(VALU_DEP_1) | instskip(NEXT) | instid1(VALU_DEP_1)
	v_lshlrev_b64 v[39:40], 3, v[2:3]
	v_add_co_u32 v39, vcc_lo, s44, v39
	s_delay_alu instid0(VALU_DEP_2)
	v_add_co_ci_u32_e32 v40, vcc_lo, s45, v40, vcc_lo
	s_waitcnt lgkmcnt(0)
	global_store_b64 v[39:40], v[36:37], off
	s_or_b32 exec_lo, exec_lo, s17
	s_and_saveexec_b32 s17, s22
	s_cbranch_execnz .LBB1983_287
.LBB1983_302:                           ;   in Loop: Header=BB1983_106 Depth=2
	s_or_b32 exec_lo, exec_lo, s17
	s_and_saveexec_b32 s17, s23
	s_cbranch_execz .LBB1983_288
.LBB1983_303:                           ;   in Loop: Header=BB1983_106 Depth=2
	v_lshlrev_b32_e32 v2, 2, v137
	v_add_nc_u32_e32 v36, v79, v81
	ds_load_b32 v2, v2
	ds_load_b64 v[36:37], v36 offset:14336
	s_waitcnt lgkmcnt(1)
	v_add_nc_u32_e32 v2, v2, v54
	s_delay_alu instid0(VALU_DEP_1) | instskip(NEXT) | instid1(VALU_DEP_1)
	v_lshlrev_b64 v[39:40], 3, v[2:3]
	v_add_co_u32 v39, vcc_lo, s44, v39
	s_delay_alu instid0(VALU_DEP_2)
	v_add_co_ci_u32_e32 v40, vcc_lo, s45, v40, vcc_lo
	s_waitcnt lgkmcnt(0)
	global_store_b64 v[39:40], v[36:37], off
	s_or_b32 exec_lo, exec_lo, s17
	s_and_saveexec_b32 s17, s24
	s_cbranch_execnz .LBB1983_289
.LBB1983_304:                           ;   in Loop: Header=BB1983_106 Depth=2
	s_or_b32 exec_lo, exec_lo, s17
	s_and_saveexec_b32 s17, s25
	s_cbranch_execz .LBB1983_290
.LBB1983_305:                           ;   in Loop: Header=BB1983_106 Depth=2
	v_lshlrev_b32_e32 v2, 2, v135
	v_add_nc_u32_e32 v36, v79, v81
	ds_load_b32 v2, v2
	ds_load_b64 v[36:37], v36 offset:18432
	s_waitcnt lgkmcnt(1)
	v_add_nc_u32_e32 v2, v2, v56
	s_delay_alu instid0(VALU_DEP_1) | instskip(NEXT) | instid1(VALU_DEP_1)
	v_lshlrev_b64 v[39:40], 3, v[2:3]
	v_add_co_u32 v39, vcc_lo, s44, v39
	s_delay_alu instid0(VALU_DEP_2)
	v_add_co_ci_u32_e32 v40, vcc_lo, s45, v40, vcc_lo
	s_waitcnt lgkmcnt(0)
	global_store_b64 v[39:40], v[36:37], off
	s_or_b32 exec_lo, exec_lo, s17
	s_and_saveexec_b32 s17, s26
	s_cbranch_execnz .LBB1983_291
.LBB1983_306:                           ;   in Loop: Header=BB1983_106 Depth=2
	s_or_b32 exec_lo, exec_lo, s17
	s_and_saveexec_b32 s17, s27
	s_cbranch_execz .LBB1983_292
.LBB1983_307:                           ;   in Loop: Header=BB1983_106 Depth=2
	v_lshlrev_b32_e32 v2, 2, v133
	v_add_nc_u32_e32 v36, v79, v81
	ds_load_b32 v2, v2
	ds_load_b64 v[36:37], v36 offset:22528
	s_waitcnt lgkmcnt(1)
	v_add_nc_u32_e32 v2, v2, v58
	s_delay_alu instid0(VALU_DEP_1) | instskip(NEXT) | instid1(VALU_DEP_1)
	v_lshlrev_b64 v[39:40], 3, v[2:3]
	v_add_co_u32 v39, vcc_lo, s44, v39
	s_delay_alu instid0(VALU_DEP_2)
	v_add_co_ci_u32_e32 v40, vcc_lo, s45, v40, vcc_lo
	s_waitcnt lgkmcnt(0)
	global_store_b64 v[39:40], v[36:37], off
	s_or_b32 exec_lo, exec_lo, s17
	s_and_saveexec_b32 s17, s28
	s_cbranch_execnz .LBB1983_293
.LBB1983_308:                           ;   in Loop: Header=BB1983_106 Depth=2
	s_or_b32 exec_lo, exec_lo, s17
	s_and_saveexec_b32 s17, s29
	s_cbranch_execz .LBB1983_294
.LBB1983_309:                           ;   in Loop: Header=BB1983_106 Depth=2
	v_lshlrev_b32_e32 v2, 2, v131
	v_add_nc_u32_e32 v36, v79, v81
	ds_load_b32 v2, v2
	ds_load_b64 v[36:37], v36 offset:26624
	s_waitcnt lgkmcnt(1)
	v_add_nc_u32_e32 v2, v2, v60
	s_delay_alu instid0(VALU_DEP_1) | instskip(NEXT) | instid1(VALU_DEP_1)
	v_lshlrev_b64 v[39:40], 3, v[2:3]
	v_add_co_u32 v39, vcc_lo, s44, v39
	s_delay_alu instid0(VALU_DEP_2)
	v_add_co_ci_u32_e32 v40, vcc_lo, s45, v40, vcc_lo
	s_waitcnt lgkmcnt(0)
	global_store_b64 v[39:40], v[36:37], off
	s_or_b32 exec_lo, exec_lo, s17
	s_and_saveexec_b32 s17, s30
	s_cbranch_execnz .LBB1983_295
.LBB1983_310:                           ;   in Loop: Header=BB1983_106 Depth=2
	s_or_b32 exec_lo, exec_lo, s17
	s_and_saveexec_b32 s17, s31
	s_cbranch_execz .LBB1983_312
.LBB1983_311:                           ;   in Loop: Header=BB1983_106 Depth=2
	v_lshlrev_b32_e32 v2, 2, v129
	v_add_nc_u32_e32 v36, v79, v81
	ds_load_b32 v2, v2
	ds_load_b64 v[36:37], v36 offset:30720
	s_waitcnt lgkmcnt(1)
	v_add_nc_u32_e32 v2, v2, v63
	s_delay_alu instid0(VALU_DEP_1) | instskip(NEXT) | instid1(VALU_DEP_1)
	v_lshlrev_b64 v[39:40], 3, v[2:3]
	v_add_co_u32 v39, vcc_lo, s44, v39
	s_delay_alu instid0(VALU_DEP_2)
	v_add_co_ci_u32_e32 v40, vcc_lo, s45, v40, vcc_lo
	s_waitcnt lgkmcnt(0)
	global_store_b64 v[39:40], v[36:37], off
.LBB1983_312:                           ;   in Loop: Header=BB1983_106 Depth=2
	s_or_b32 exec_lo, exec_lo, s17
	s_waitcnt_vscnt null, 0x0
	s_barrier
	buffer_gl0_inv
	s_and_saveexec_b32 s17, s2
	s_cbranch_execz .LBB1983_105
; %bb.313:                              ;   in Loop: Header=BB1983_106 Depth=2
	ds_load_b32 v2, v44
	s_waitcnt lgkmcnt(0)
	v_add_nc_u32_e32 v2, v2, v38
	ds_store_b32 v44, v2
	s_branch .LBB1983_105
.LBB1983_314:                           ;   in Loop: Header=BB1983_20 Depth=1
	s_waitcnt lgkmcnt(0)
	s_mov_b32 s0, 0
	s_barrier
.LBB1983_315:                           ;   in Loop: Header=BB1983_20 Depth=1
	s_and_b32 vcc_lo, exec_lo, s0
	s_cbranch_vccz .LBB1983_609
; %bb.316:                              ;   in Loop: Header=BB1983_20 Depth=1
	s_mov_b32 s8, s54
	s_mov_b32 s34, s52
	s_barrier
	buffer_gl0_inv
                                        ; implicit-def: $vgpr20
                                        ; implicit-def: $vgpr2
                                        ; implicit-def: $vgpr6
                                        ; implicit-def: $vgpr7
                                        ; implicit-def: $vgpr8
                                        ; implicit-def: $vgpr9
                                        ; implicit-def: $vgpr10
                                        ; implicit-def: $vgpr11
                                        ; implicit-def: $vgpr12
                                        ; implicit-def: $vgpr13
                                        ; implicit-def: $vgpr14
                                        ; implicit-def: $vgpr15
                                        ; implicit-def: $vgpr16
                                        ; implicit-def: $vgpr17
                                        ; implicit-def: $vgpr18
                                        ; implicit-def: $vgpr19
	s_branch .LBB1983_318
.LBB1983_317:                           ;   in Loop: Header=BB1983_318 Depth=2
	s_or_b32 exec_lo, exec_lo, s0
	s_addk_i32 s8, 0xf000
	s_cmp_ge_u32 s9, s53
	s_mov_b32 s34, s9
	s_cbranch_scc1 .LBB1983_388
.LBB1983_318:                           ;   Parent Loop BB1983_20 Depth=1
                                        ; =>  This Inner Loop Header: Depth=2
	s_add_i32 s9, s34, 0x1000
	s_delay_alu instid0(SALU_CYCLE_1)
	s_cmp_gt_u32 s9, s53
	s_cbranch_scc1 .LBB1983_321
; %bb.319:                              ;   in Loop: Header=BB1983_318 Depth=2
	s_mov_b32 s1, 0
	s_mov_b32 s0, s34
	s_delay_alu instid0(SALU_CYCLE_1) | instskip(NEXT) | instid1(SALU_CYCLE_1)
	s_lshl_b64 s[10:11], s[0:1], 1
	v_add_co_u32 v4, vcc_lo, v82, s10
	v_add_co_ci_u32_e32 v5, vcc_lo, s11, v83, vcc_lo
	s_movk_i32 s11, 0x1000
	s_waitcnt vmcnt(0)
	s_delay_alu instid0(VALU_DEP_2) | instskip(NEXT) | instid1(VALU_DEP_2)
	v_add_co_u32 v36, vcc_lo, 0x1000, v4
	v_add_co_ci_u32_e32 v37, vcc_lo, 0, v5, vcc_lo
	s_clause 0xe
	global_load_u16 v22, v[4:5], off
	global_load_u16 v23, v[4:5], off offset:512
	global_load_u16 v24, v[4:5], off offset:1024
	;; [unrolled: 1-line block ×7, first 2 shown]
	global_load_u16 v30, v[36:37], off
	global_load_u16 v31, v[36:37], off offset:512
	global_load_u16 v32, v[36:37], off offset:1024
	;; [unrolled: 1-line block ×6, first 2 shown]
	v_add_co_u32 v4, vcc_lo, 0x1e00, v4
	v_add_co_ci_u32_e32 v5, vcc_lo, 0, v5, vcc_lo
	s_mov_b32 s10, -1
	s_cbranch_execz .LBB1983_322
; %bb.320:                              ;   in Loop: Header=BB1983_318 Depth=2
                                        ; implicit-def: $vgpr19
                                        ; implicit-def: $vgpr18
                                        ; implicit-def: $vgpr17
                                        ; implicit-def: $vgpr16
                                        ; implicit-def: $vgpr15
                                        ; implicit-def: $vgpr14
                                        ; implicit-def: $vgpr13
                                        ; implicit-def: $vgpr12
                                        ; implicit-def: $vgpr11
                                        ; implicit-def: $vgpr10
                                        ; implicit-def: $vgpr9
                                        ; implicit-def: $vgpr8
                                        ; implicit-def: $vgpr7
                                        ; implicit-def: $vgpr6
                                        ; implicit-def: $vgpr2
                                        ; implicit-def: $vgpr20
	v_mov_b32_e32 v21, s8
	s_and_saveexec_b32 s0, s10
	s_cbranch_execnz .LBB1983_341
	s_branch .LBB1983_342
.LBB1983_321:                           ;   in Loop: Header=BB1983_318 Depth=2
	s_mov_b32 s10, 0
                                        ; implicit-def: $sgpr11
                                        ; implicit-def: $vgpr22
                                        ; implicit-def: $vgpr23
                                        ; implicit-def: $vgpr24
                                        ; implicit-def: $vgpr25
                                        ; implicit-def: $vgpr26
                                        ; implicit-def: $vgpr27
                                        ; implicit-def: $vgpr28
                                        ; implicit-def: $vgpr29
                                        ; implicit-def: $vgpr30
                                        ; implicit-def: $vgpr31
                                        ; implicit-def: $vgpr32
                                        ; implicit-def: $vgpr33
                                        ; implicit-def: $vgpr34
                                        ; implicit-def: $vgpr35
                                        ; implicit-def: $vgpr36
                                        ; implicit-def: $vgpr4_vgpr5
.LBB1983_322:                           ;   in Loop: Header=BB1983_318 Depth=2
	s_lshl_b64 s[0:1], s[34:35], 1
	s_mov_b32 s11, exec_lo
	s_add_u32 s0, s38, s0
	s_addc_u32 s1, s39, s1
	v_cmpx_gt_u32_e64 s8, v1
	s_cbranch_execz .LBB1983_374
; %bb.323:                              ;   in Loop: Header=BB1983_318 Depth=2
	global_load_u16 v19, v95, s[0:1]
	s_or_b32 exec_lo, exec_lo, s11
	s_delay_alu instid0(SALU_CYCLE_1)
	s_mov_b32 s11, exec_lo
	v_cmpx_gt_u32_e64 s8, v45
	s_cbranch_execnz .LBB1983_375
.LBB1983_324:                           ;   in Loop: Header=BB1983_318 Depth=2
	s_or_b32 exec_lo, exec_lo, s11
	s_delay_alu instid0(SALU_CYCLE_1)
	s_mov_b32 s11, exec_lo
	v_cmpx_gt_u32_e64 s8, v46
	s_cbranch_execz .LBB1983_376
.LBB1983_325:                           ;   in Loop: Header=BB1983_318 Depth=2
	global_load_u16 v17, v95, s[0:1] offset:1024
	s_or_b32 exec_lo, exec_lo, s11
	s_delay_alu instid0(SALU_CYCLE_1)
	s_mov_b32 s11, exec_lo
	v_cmpx_gt_u32_e64 s8, v47
	s_cbranch_execnz .LBB1983_377
.LBB1983_326:                           ;   in Loop: Header=BB1983_318 Depth=2
	s_or_b32 exec_lo, exec_lo, s11
	s_delay_alu instid0(SALU_CYCLE_1)
	s_mov_b32 s11, exec_lo
	v_cmpx_gt_u32_e64 s8, v51
	s_cbranch_execz .LBB1983_378
.LBB1983_327:                           ;   in Loop: Header=BB1983_318 Depth=2
	global_load_u16 v15, v95, s[0:1] offset:2048
	s_or_b32 exec_lo, exec_lo, s11
	s_delay_alu instid0(SALU_CYCLE_1)
	s_mov_b32 s11, exec_lo
	v_cmpx_gt_u32_e64 s8, v52
	s_cbranch_execnz .LBB1983_379
.LBB1983_328:                           ;   in Loop: Header=BB1983_318 Depth=2
	s_or_b32 exec_lo, exec_lo, s11
	s_delay_alu instid0(SALU_CYCLE_1)
	s_mov_b32 s11, exec_lo
	v_cmpx_gt_u32_e64 s8, v53
	s_cbranch_execz .LBB1983_380
.LBB1983_329:                           ;   in Loop: Header=BB1983_318 Depth=2
	global_load_u16 v13, v95, s[0:1] offset:3072
	s_or_b32 exec_lo, exec_lo, s11
	s_delay_alu instid0(SALU_CYCLE_1)
	s_mov_b32 s11, exec_lo
	v_cmpx_gt_u32_e64 s8, v54
	s_cbranch_execnz .LBB1983_381
.LBB1983_330:                           ;   in Loop: Header=BB1983_318 Depth=2
	s_or_b32 exec_lo, exec_lo, s11
	s_delay_alu instid0(SALU_CYCLE_1)
	s_mov_b32 s11, exec_lo
	v_cmpx_gt_u32_e64 s8, v55
	s_cbranch_execz .LBB1983_382
.LBB1983_331:                           ;   in Loop: Header=BB1983_318 Depth=2
	global_load_u16 v11, v96, s[0:1]
	s_or_b32 exec_lo, exec_lo, s11
	s_delay_alu instid0(SALU_CYCLE_1)
	s_mov_b32 s11, exec_lo
	v_cmpx_gt_u32_e64 s8, v56
	s_cbranch_execnz .LBB1983_383
.LBB1983_332:                           ;   in Loop: Header=BB1983_318 Depth=2
	s_or_b32 exec_lo, exec_lo, s11
	s_delay_alu instid0(SALU_CYCLE_1)
	s_mov_b32 s11, exec_lo
	v_cmpx_gt_u32_e64 s8, v57
	s_cbranch_execz .LBB1983_384
.LBB1983_333:                           ;   in Loop: Header=BB1983_318 Depth=2
	global_load_u16 v9, v98, s[0:1]
	s_or_b32 exec_lo, exec_lo, s11
	s_delay_alu instid0(SALU_CYCLE_1)
	s_mov_b32 s11, exec_lo
	v_cmpx_gt_u32_e64 s8, v58
	s_cbranch_execnz .LBB1983_385
.LBB1983_334:                           ;   in Loop: Header=BB1983_318 Depth=2
	s_or_b32 exec_lo, exec_lo, s11
	s_delay_alu instid0(SALU_CYCLE_1)
	s_mov_b32 s11, exec_lo
	v_cmpx_gt_u32_e64 s8, v59
	s_cbranch_execz .LBB1983_386
.LBB1983_335:                           ;   in Loop: Header=BB1983_318 Depth=2
	global_load_u16 v7, v100, s[0:1]
	s_or_b32 exec_lo, exec_lo, s11
	s_delay_alu instid0(SALU_CYCLE_1)
	s_mov_b32 s11, exec_lo
	v_cmpx_gt_u32_e64 s8, v60
	s_cbranch_execnz .LBB1983_387
.LBB1983_336:                           ;   in Loop: Header=BB1983_318 Depth=2
	s_or_b32 exec_lo, exec_lo, s11
	s_delay_alu instid0(SALU_CYCLE_1)
	s_mov_b32 s11, exec_lo
	v_cmpx_gt_u32_e64 s8, v61
	s_cbranch_execz .LBB1983_338
.LBB1983_337:                           ;   in Loop: Header=BB1983_318 Depth=2
	global_load_u16 v2, v102, s[0:1]
.LBB1983_338:                           ;   in Loop: Header=BB1983_318 Depth=2
	s_or_b32 exec_lo, exec_lo, s11
	s_delay_alu instid0(SALU_CYCLE_1)
	s_mov_b32 s12, exec_lo
                                        ; implicit-def: $sgpr11
                                        ; implicit-def: $vgpr4_vgpr5
	v_cmpx_gt_u32_e64 s8, v63
; %bb.339:                              ;   in Loop: Header=BB1983_318 Depth=2
	v_add_co_u32 v4, s0, s0, v103
	s_delay_alu instid0(VALU_DEP_1)
	v_add_co_ci_u32_e64 v5, null, s1, 0, s0
	s_sub_i32 s11, s53, s34
	s_or_b32 s10, s10, exec_lo
                                        ; implicit-def: $vgpr20
; %bb.340:                              ;   in Loop: Header=BB1983_318 Depth=2
	s_or_b32 exec_lo, exec_lo, s12
	s_waitcnt vmcnt(0)
	v_dual_mov_b32 v22, v19 :: v_dual_mov_b32 v23, v18
	v_dual_mov_b32 v24, v17 :: v_dual_mov_b32 v25, v16
	;; [unrolled: 1-line block ×8, first 2 shown]
	s_and_saveexec_b32 s0, s10
	s_cbranch_execz .LBB1983_342
.LBB1983_341:                           ;   in Loop: Header=BB1983_318 Depth=2
	global_load_u16 v20, v[4:5], off
	s_waitcnt vmcnt(1)
	v_dual_mov_b32 v21, s11 :: v_dual_mov_b32 v2, v36
	v_dual_mov_b32 v6, v35 :: v_dual_mov_b32 v7, v34
	v_dual_mov_b32 v8, v33 :: v_dual_mov_b32 v9, v32
	v_dual_mov_b32 v10, v31 :: v_dual_mov_b32 v11, v30
	v_dual_mov_b32 v12, v29 :: v_dual_mov_b32 v13, v28
	v_dual_mov_b32 v14, v27 :: v_dual_mov_b32 v15, v26
	v_dual_mov_b32 v16, v25 :: v_dual_mov_b32 v17, v24
	v_dual_mov_b32 v18, v23 :: v_dual_mov_b32 v19, v22
.LBB1983_342:                           ;   in Loop: Header=BB1983_318 Depth=2
	s_or_b32 exec_lo, exec_lo, s0
	s_delay_alu instid0(SALU_CYCLE_1)
	s_mov_b32 s0, exec_lo
	v_cmpx_lt_u32_e64 v1, v21
	s_cbranch_execz .LBB1983_358
; %bb.343:                              ;   in Loop: Header=BB1983_318 Depth=2
	v_cmp_gt_i16_e32 vcc_lo, 0, v19
	v_lshlrev_b32_e32 v5, 2, v48
	v_cndmask_b32_e64 v4, 0x7fff, 0, vcc_lo
	s_delay_alu instid0(VALU_DEP_1) | instskip(NEXT) | instid1(VALU_DEP_1)
	v_xor_b32_e32 v4, v4, v19
	v_cmp_ne_u16_e32 vcc_lo, 0x8000, v4
	v_cndmask_b32_e32 v4, 0x7fff, v4, vcc_lo
	s_delay_alu instid0(VALU_DEP_1) | instskip(NEXT) | instid1(VALU_DEP_1)
	v_and_b32_e32 v4, 0xffff, v4
	v_lshrrev_b32_e32 v4, s48, v4
	s_delay_alu instid0(VALU_DEP_1) | instskip(NEXT) | instid1(VALU_DEP_1)
	v_and_b32_e32 v4, s55, v4
	v_lshl_or_b32 v4, v4, 4, v5
	ds_add_u32 v4, v94
	s_or_b32 exec_lo, exec_lo, s0
	s_delay_alu instid0(SALU_CYCLE_1)
	s_mov_b32 s0, exec_lo
	v_cmpx_lt_u32_e64 v45, v21
	s_cbranch_execnz .LBB1983_359
.LBB1983_344:                           ;   in Loop: Header=BB1983_318 Depth=2
	s_or_b32 exec_lo, exec_lo, s0
	s_delay_alu instid0(SALU_CYCLE_1)
	s_mov_b32 s0, exec_lo
	v_cmpx_lt_u32_e64 v46, v21
	s_cbranch_execz .LBB1983_360
.LBB1983_345:                           ;   in Loop: Header=BB1983_318 Depth=2
	v_cmp_gt_i16_e32 vcc_lo, 0, v17
	v_lshlrev_b32_e32 v5, 2, v48
	v_cndmask_b32_e64 v4, 0x7fff, 0, vcc_lo
	s_delay_alu instid0(VALU_DEP_1) | instskip(NEXT) | instid1(VALU_DEP_1)
	v_xor_b32_e32 v4, v4, v17
	v_cmp_ne_u16_e32 vcc_lo, 0x8000, v4
	v_cndmask_b32_e32 v4, 0x7fff, v4, vcc_lo
	s_delay_alu instid0(VALU_DEP_1) | instskip(NEXT) | instid1(VALU_DEP_1)
	v_and_b32_e32 v4, 0xffff, v4
	v_lshrrev_b32_e32 v4, s48, v4
	s_delay_alu instid0(VALU_DEP_1) | instskip(NEXT) | instid1(VALU_DEP_1)
	v_and_b32_e32 v4, s55, v4
	v_lshl_or_b32 v4, v4, 4, v5
	ds_add_u32 v4, v94
	s_or_b32 exec_lo, exec_lo, s0
	s_delay_alu instid0(SALU_CYCLE_1)
	s_mov_b32 s0, exec_lo
	v_cmpx_lt_u32_e64 v47, v21
	s_cbranch_execnz .LBB1983_361
.LBB1983_346:                           ;   in Loop: Header=BB1983_318 Depth=2
	s_or_b32 exec_lo, exec_lo, s0
	s_delay_alu instid0(SALU_CYCLE_1)
	s_mov_b32 s0, exec_lo
	v_cmpx_lt_u32_e64 v51, v21
	s_cbranch_execz .LBB1983_362
.LBB1983_347:                           ;   in Loop: Header=BB1983_318 Depth=2
	v_cmp_gt_i16_e32 vcc_lo, 0, v15
	v_lshlrev_b32_e32 v5, 2, v48
	v_cndmask_b32_e64 v4, 0x7fff, 0, vcc_lo
	s_delay_alu instid0(VALU_DEP_1) | instskip(NEXT) | instid1(VALU_DEP_1)
	v_xor_b32_e32 v4, v4, v15
	v_cmp_ne_u16_e32 vcc_lo, 0x8000, v4
	v_cndmask_b32_e32 v4, 0x7fff, v4, vcc_lo
	s_delay_alu instid0(VALU_DEP_1) | instskip(NEXT) | instid1(VALU_DEP_1)
	v_and_b32_e32 v4, 0xffff, v4
	v_lshrrev_b32_e32 v4, s48, v4
	s_delay_alu instid0(VALU_DEP_1) | instskip(NEXT) | instid1(VALU_DEP_1)
	v_and_b32_e32 v4, s55, v4
	v_lshl_or_b32 v4, v4, 4, v5
	ds_add_u32 v4, v94
	s_or_b32 exec_lo, exec_lo, s0
	s_delay_alu instid0(SALU_CYCLE_1)
	s_mov_b32 s0, exec_lo
	v_cmpx_lt_u32_e64 v52, v21
	s_cbranch_execnz .LBB1983_363
.LBB1983_348:                           ;   in Loop: Header=BB1983_318 Depth=2
	s_or_b32 exec_lo, exec_lo, s0
	s_delay_alu instid0(SALU_CYCLE_1)
	s_mov_b32 s0, exec_lo
	v_cmpx_lt_u32_e64 v53, v21
	s_cbranch_execz .LBB1983_364
.LBB1983_349:                           ;   in Loop: Header=BB1983_318 Depth=2
	v_cmp_gt_i16_e32 vcc_lo, 0, v13
	v_lshlrev_b32_e32 v5, 2, v48
	v_cndmask_b32_e64 v4, 0x7fff, 0, vcc_lo
	s_delay_alu instid0(VALU_DEP_1) | instskip(NEXT) | instid1(VALU_DEP_1)
	v_xor_b32_e32 v4, v4, v13
	v_cmp_ne_u16_e32 vcc_lo, 0x8000, v4
	v_cndmask_b32_e32 v4, 0x7fff, v4, vcc_lo
	s_delay_alu instid0(VALU_DEP_1) | instskip(NEXT) | instid1(VALU_DEP_1)
	v_and_b32_e32 v4, 0xffff, v4
	v_lshrrev_b32_e32 v4, s48, v4
	s_delay_alu instid0(VALU_DEP_1) | instskip(NEXT) | instid1(VALU_DEP_1)
	v_and_b32_e32 v4, s55, v4
	v_lshl_or_b32 v4, v4, 4, v5
	ds_add_u32 v4, v94
	s_or_b32 exec_lo, exec_lo, s0
	s_delay_alu instid0(SALU_CYCLE_1)
	s_mov_b32 s0, exec_lo
	v_cmpx_lt_u32_e64 v54, v21
	s_cbranch_execnz .LBB1983_365
.LBB1983_350:                           ;   in Loop: Header=BB1983_318 Depth=2
	s_or_b32 exec_lo, exec_lo, s0
	s_delay_alu instid0(SALU_CYCLE_1)
	s_mov_b32 s0, exec_lo
	v_cmpx_lt_u32_e64 v55, v21
	s_cbranch_execz .LBB1983_366
.LBB1983_351:                           ;   in Loop: Header=BB1983_318 Depth=2
	v_cmp_gt_i16_e32 vcc_lo, 0, v11
	v_lshlrev_b32_e32 v5, 2, v48
	v_cndmask_b32_e64 v4, 0x7fff, 0, vcc_lo
	s_delay_alu instid0(VALU_DEP_1) | instskip(NEXT) | instid1(VALU_DEP_1)
	v_xor_b32_e32 v4, v4, v11
	v_cmp_ne_u16_e32 vcc_lo, 0x8000, v4
	v_cndmask_b32_e32 v4, 0x7fff, v4, vcc_lo
	s_delay_alu instid0(VALU_DEP_1) | instskip(NEXT) | instid1(VALU_DEP_1)
	v_and_b32_e32 v4, 0xffff, v4
	v_lshrrev_b32_e32 v4, s48, v4
	s_delay_alu instid0(VALU_DEP_1) | instskip(NEXT) | instid1(VALU_DEP_1)
	v_and_b32_e32 v4, s55, v4
	v_lshl_or_b32 v4, v4, 4, v5
	ds_add_u32 v4, v94
	s_or_b32 exec_lo, exec_lo, s0
	s_delay_alu instid0(SALU_CYCLE_1)
	s_mov_b32 s0, exec_lo
	v_cmpx_lt_u32_e64 v56, v21
	s_cbranch_execnz .LBB1983_367
.LBB1983_352:                           ;   in Loop: Header=BB1983_318 Depth=2
	s_or_b32 exec_lo, exec_lo, s0
	s_delay_alu instid0(SALU_CYCLE_1)
	s_mov_b32 s0, exec_lo
	v_cmpx_lt_u32_e64 v57, v21
	s_cbranch_execz .LBB1983_368
.LBB1983_353:                           ;   in Loop: Header=BB1983_318 Depth=2
	v_cmp_gt_i16_e32 vcc_lo, 0, v9
	v_lshlrev_b32_e32 v5, 2, v48
	v_cndmask_b32_e64 v4, 0x7fff, 0, vcc_lo
	s_delay_alu instid0(VALU_DEP_1) | instskip(NEXT) | instid1(VALU_DEP_1)
	v_xor_b32_e32 v4, v4, v9
	v_cmp_ne_u16_e32 vcc_lo, 0x8000, v4
	v_cndmask_b32_e32 v4, 0x7fff, v4, vcc_lo
	s_delay_alu instid0(VALU_DEP_1) | instskip(NEXT) | instid1(VALU_DEP_1)
	v_and_b32_e32 v4, 0xffff, v4
	v_lshrrev_b32_e32 v4, s48, v4
	s_delay_alu instid0(VALU_DEP_1) | instskip(NEXT) | instid1(VALU_DEP_1)
	v_and_b32_e32 v4, s55, v4
	v_lshl_or_b32 v4, v4, 4, v5
	ds_add_u32 v4, v94
	s_or_b32 exec_lo, exec_lo, s0
	s_delay_alu instid0(SALU_CYCLE_1)
	s_mov_b32 s0, exec_lo
	v_cmpx_lt_u32_e64 v58, v21
	s_cbranch_execnz .LBB1983_369
.LBB1983_354:                           ;   in Loop: Header=BB1983_318 Depth=2
	s_or_b32 exec_lo, exec_lo, s0
	s_delay_alu instid0(SALU_CYCLE_1)
	s_mov_b32 s0, exec_lo
	v_cmpx_lt_u32_e64 v59, v21
	s_cbranch_execz .LBB1983_370
.LBB1983_355:                           ;   in Loop: Header=BB1983_318 Depth=2
	v_cmp_gt_i16_e32 vcc_lo, 0, v7
	v_lshlrev_b32_e32 v5, 2, v48
	v_cndmask_b32_e64 v4, 0x7fff, 0, vcc_lo
	s_delay_alu instid0(VALU_DEP_1) | instskip(NEXT) | instid1(VALU_DEP_1)
	v_xor_b32_e32 v4, v4, v7
	v_cmp_ne_u16_e32 vcc_lo, 0x8000, v4
	v_cndmask_b32_e32 v4, 0x7fff, v4, vcc_lo
	s_delay_alu instid0(VALU_DEP_1) | instskip(NEXT) | instid1(VALU_DEP_1)
	v_and_b32_e32 v4, 0xffff, v4
	v_lshrrev_b32_e32 v4, s48, v4
	s_delay_alu instid0(VALU_DEP_1) | instskip(NEXT) | instid1(VALU_DEP_1)
	v_and_b32_e32 v4, s55, v4
	v_lshl_or_b32 v4, v4, 4, v5
	ds_add_u32 v4, v94
	s_or_b32 exec_lo, exec_lo, s0
	s_delay_alu instid0(SALU_CYCLE_1)
	s_mov_b32 s0, exec_lo
	v_cmpx_lt_u32_e64 v60, v21
	s_cbranch_execnz .LBB1983_371
.LBB1983_356:                           ;   in Loop: Header=BB1983_318 Depth=2
	s_or_b32 exec_lo, exec_lo, s0
	s_delay_alu instid0(SALU_CYCLE_1)
	s_mov_b32 s0, exec_lo
	v_cmpx_lt_u32_e64 v61, v21
	s_cbranch_execz .LBB1983_372
.LBB1983_357:                           ;   in Loop: Header=BB1983_318 Depth=2
	v_cmp_gt_i16_e32 vcc_lo, 0, v2
	v_lshlrev_b32_e32 v5, 2, v48
	v_cndmask_b32_e64 v4, 0x7fff, 0, vcc_lo
	s_delay_alu instid0(VALU_DEP_1) | instskip(NEXT) | instid1(VALU_DEP_1)
	v_xor_b32_e32 v4, v4, v2
	v_cmp_ne_u16_e32 vcc_lo, 0x8000, v4
	v_cndmask_b32_e32 v4, 0x7fff, v4, vcc_lo
	s_delay_alu instid0(VALU_DEP_1) | instskip(NEXT) | instid1(VALU_DEP_1)
	v_and_b32_e32 v4, 0xffff, v4
	v_lshrrev_b32_e32 v4, s48, v4
	s_delay_alu instid0(VALU_DEP_1) | instskip(NEXT) | instid1(VALU_DEP_1)
	v_and_b32_e32 v4, s55, v4
	v_lshl_or_b32 v4, v4, 4, v5
	ds_add_u32 v4, v94
	s_or_b32 exec_lo, exec_lo, s0
	s_delay_alu instid0(SALU_CYCLE_1)
	s_mov_b32 s0, exec_lo
	v_cmpx_lt_u32_e64 v63, v21
	s_cbranch_execz .LBB1983_317
	s_branch .LBB1983_373
.LBB1983_358:                           ;   in Loop: Header=BB1983_318 Depth=2
	s_or_b32 exec_lo, exec_lo, s0
	s_delay_alu instid0(SALU_CYCLE_1)
	s_mov_b32 s0, exec_lo
	v_cmpx_lt_u32_e64 v45, v21
	s_cbranch_execz .LBB1983_344
.LBB1983_359:                           ;   in Loop: Header=BB1983_318 Depth=2
	v_cmp_gt_i16_e32 vcc_lo, 0, v18
	v_lshlrev_b32_e32 v5, 2, v48
	v_cndmask_b32_e64 v4, 0x7fff, 0, vcc_lo
	s_delay_alu instid0(VALU_DEP_1) | instskip(NEXT) | instid1(VALU_DEP_1)
	v_xor_b32_e32 v4, v4, v18
	v_cmp_ne_u16_e32 vcc_lo, 0x8000, v4
	v_cndmask_b32_e32 v4, 0x7fff, v4, vcc_lo
	s_delay_alu instid0(VALU_DEP_1) | instskip(NEXT) | instid1(VALU_DEP_1)
	v_and_b32_e32 v4, 0xffff, v4
	v_lshrrev_b32_e32 v4, s48, v4
	s_delay_alu instid0(VALU_DEP_1) | instskip(NEXT) | instid1(VALU_DEP_1)
	v_and_b32_e32 v4, s55, v4
	v_lshl_or_b32 v4, v4, 4, v5
	ds_add_u32 v4, v94
	s_or_b32 exec_lo, exec_lo, s0
	s_delay_alu instid0(SALU_CYCLE_1)
	s_mov_b32 s0, exec_lo
	v_cmpx_lt_u32_e64 v46, v21
	s_cbranch_execnz .LBB1983_345
.LBB1983_360:                           ;   in Loop: Header=BB1983_318 Depth=2
	s_or_b32 exec_lo, exec_lo, s0
	s_delay_alu instid0(SALU_CYCLE_1)
	s_mov_b32 s0, exec_lo
	v_cmpx_lt_u32_e64 v47, v21
	s_cbranch_execz .LBB1983_346
.LBB1983_361:                           ;   in Loop: Header=BB1983_318 Depth=2
	v_cmp_gt_i16_e32 vcc_lo, 0, v16
	v_lshlrev_b32_e32 v5, 2, v48
	v_cndmask_b32_e64 v4, 0x7fff, 0, vcc_lo
	s_delay_alu instid0(VALU_DEP_1) | instskip(NEXT) | instid1(VALU_DEP_1)
	v_xor_b32_e32 v4, v4, v16
	v_cmp_ne_u16_e32 vcc_lo, 0x8000, v4
	v_cndmask_b32_e32 v4, 0x7fff, v4, vcc_lo
	s_delay_alu instid0(VALU_DEP_1) | instskip(NEXT) | instid1(VALU_DEP_1)
	v_and_b32_e32 v4, 0xffff, v4
	v_lshrrev_b32_e32 v4, s48, v4
	s_delay_alu instid0(VALU_DEP_1) | instskip(NEXT) | instid1(VALU_DEP_1)
	v_and_b32_e32 v4, s55, v4
	v_lshl_or_b32 v4, v4, 4, v5
	ds_add_u32 v4, v94
	s_or_b32 exec_lo, exec_lo, s0
	s_delay_alu instid0(SALU_CYCLE_1)
	s_mov_b32 s0, exec_lo
	v_cmpx_lt_u32_e64 v51, v21
	s_cbranch_execnz .LBB1983_347
.LBB1983_362:                           ;   in Loop: Header=BB1983_318 Depth=2
	s_or_b32 exec_lo, exec_lo, s0
	s_delay_alu instid0(SALU_CYCLE_1)
	s_mov_b32 s0, exec_lo
	v_cmpx_lt_u32_e64 v52, v21
	s_cbranch_execz .LBB1983_348
.LBB1983_363:                           ;   in Loop: Header=BB1983_318 Depth=2
	v_cmp_gt_i16_e32 vcc_lo, 0, v14
	v_lshlrev_b32_e32 v5, 2, v48
	v_cndmask_b32_e64 v4, 0x7fff, 0, vcc_lo
	s_delay_alu instid0(VALU_DEP_1) | instskip(NEXT) | instid1(VALU_DEP_1)
	v_xor_b32_e32 v4, v4, v14
	v_cmp_ne_u16_e32 vcc_lo, 0x8000, v4
	v_cndmask_b32_e32 v4, 0x7fff, v4, vcc_lo
	s_delay_alu instid0(VALU_DEP_1) | instskip(NEXT) | instid1(VALU_DEP_1)
	v_and_b32_e32 v4, 0xffff, v4
	v_lshrrev_b32_e32 v4, s48, v4
	s_delay_alu instid0(VALU_DEP_1) | instskip(NEXT) | instid1(VALU_DEP_1)
	v_and_b32_e32 v4, s55, v4
	v_lshl_or_b32 v4, v4, 4, v5
	ds_add_u32 v4, v94
	s_or_b32 exec_lo, exec_lo, s0
	s_delay_alu instid0(SALU_CYCLE_1)
	s_mov_b32 s0, exec_lo
	v_cmpx_lt_u32_e64 v53, v21
	s_cbranch_execnz .LBB1983_349
.LBB1983_364:                           ;   in Loop: Header=BB1983_318 Depth=2
	s_or_b32 exec_lo, exec_lo, s0
	s_delay_alu instid0(SALU_CYCLE_1)
	s_mov_b32 s0, exec_lo
	v_cmpx_lt_u32_e64 v54, v21
	s_cbranch_execz .LBB1983_350
.LBB1983_365:                           ;   in Loop: Header=BB1983_318 Depth=2
	v_cmp_gt_i16_e32 vcc_lo, 0, v12
	v_lshlrev_b32_e32 v5, 2, v48
	v_cndmask_b32_e64 v4, 0x7fff, 0, vcc_lo
	s_delay_alu instid0(VALU_DEP_1) | instskip(NEXT) | instid1(VALU_DEP_1)
	v_xor_b32_e32 v4, v4, v12
	v_cmp_ne_u16_e32 vcc_lo, 0x8000, v4
	v_cndmask_b32_e32 v4, 0x7fff, v4, vcc_lo
	s_delay_alu instid0(VALU_DEP_1) | instskip(NEXT) | instid1(VALU_DEP_1)
	v_and_b32_e32 v4, 0xffff, v4
	v_lshrrev_b32_e32 v4, s48, v4
	s_delay_alu instid0(VALU_DEP_1) | instskip(NEXT) | instid1(VALU_DEP_1)
	v_and_b32_e32 v4, s55, v4
	v_lshl_or_b32 v4, v4, 4, v5
	ds_add_u32 v4, v94
	s_or_b32 exec_lo, exec_lo, s0
	s_delay_alu instid0(SALU_CYCLE_1)
	s_mov_b32 s0, exec_lo
	v_cmpx_lt_u32_e64 v55, v21
	s_cbranch_execnz .LBB1983_351
.LBB1983_366:                           ;   in Loop: Header=BB1983_318 Depth=2
	s_or_b32 exec_lo, exec_lo, s0
	s_delay_alu instid0(SALU_CYCLE_1)
	s_mov_b32 s0, exec_lo
	v_cmpx_lt_u32_e64 v56, v21
	s_cbranch_execz .LBB1983_352
.LBB1983_367:                           ;   in Loop: Header=BB1983_318 Depth=2
	v_cmp_gt_i16_e32 vcc_lo, 0, v10
	v_lshlrev_b32_e32 v5, 2, v48
	v_cndmask_b32_e64 v4, 0x7fff, 0, vcc_lo
	s_delay_alu instid0(VALU_DEP_1) | instskip(NEXT) | instid1(VALU_DEP_1)
	v_xor_b32_e32 v4, v4, v10
	v_cmp_ne_u16_e32 vcc_lo, 0x8000, v4
	v_cndmask_b32_e32 v4, 0x7fff, v4, vcc_lo
	s_delay_alu instid0(VALU_DEP_1) | instskip(NEXT) | instid1(VALU_DEP_1)
	v_and_b32_e32 v4, 0xffff, v4
	v_lshrrev_b32_e32 v4, s48, v4
	s_delay_alu instid0(VALU_DEP_1) | instskip(NEXT) | instid1(VALU_DEP_1)
	v_and_b32_e32 v4, s55, v4
	v_lshl_or_b32 v4, v4, 4, v5
	ds_add_u32 v4, v94
	s_or_b32 exec_lo, exec_lo, s0
	s_delay_alu instid0(SALU_CYCLE_1)
	s_mov_b32 s0, exec_lo
	v_cmpx_lt_u32_e64 v57, v21
	s_cbranch_execnz .LBB1983_353
.LBB1983_368:                           ;   in Loop: Header=BB1983_318 Depth=2
	s_or_b32 exec_lo, exec_lo, s0
	s_delay_alu instid0(SALU_CYCLE_1)
	s_mov_b32 s0, exec_lo
	v_cmpx_lt_u32_e64 v58, v21
	s_cbranch_execz .LBB1983_354
.LBB1983_369:                           ;   in Loop: Header=BB1983_318 Depth=2
	v_cmp_gt_i16_e32 vcc_lo, 0, v8
	v_lshlrev_b32_e32 v5, 2, v48
	v_cndmask_b32_e64 v4, 0x7fff, 0, vcc_lo
	s_delay_alu instid0(VALU_DEP_1) | instskip(NEXT) | instid1(VALU_DEP_1)
	v_xor_b32_e32 v4, v4, v8
	v_cmp_ne_u16_e32 vcc_lo, 0x8000, v4
	v_cndmask_b32_e32 v4, 0x7fff, v4, vcc_lo
	s_delay_alu instid0(VALU_DEP_1) | instskip(NEXT) | instid1(VALU_DEP_1)
	v_and_b32_e32 v4, 0xffff, v4
	v_lshrrev_b32_e32 v4, s48, v4
	s_delay_alu instid0(VALU_DEP_1) | instskip(NEXT) | instid1(VALU_DEP_1)
	v_and_b32_e32 v4, s55, v4
	v_lshl_or_b32 v4, v4, 4, v5
	ds_add_u32 v4, v94
	s_or_b32 exec_lo, exec_lo, s0
	s_delay_alu instid0(SALU_CYCLE_1)
	s_mov_b32 s0, exec_lo
	v_cmpx_lt_u32_e64 v59, v21
	s_cbranch_execnz .LBB1983_355
.LBB1983_370:                           ;   in Loop: Header=BB1983_318 Depth=2
	s_or_b32 exec_lo, exec_lo, s0
	s_delay_alu instid0(SALU_CYCLE_1)
	s_mov_b32 s0, exec_lo
	v_cmpx_lt_u32_e64 v60, v21
	s_cbranch_execz .LBB1983_356
.LBB1983_371:                           ;   in Loop: Header=BB1983_318 Depth=2
	v_cmp_gt_i16_e32 vcc_lo, 0, v6
	v_lshlrev_b32_e32 v5, 2, v48
	v_cndmask_b32_e64 v4, 0x7fff, 0, vcc_lo
	s_delay_alu instid0(VALU_DEP_1) | instskip(NEXT) | instid1(VALU_DEP_1)
	v_xor_b32_e32 v4, v4, v6
	v_cmp_ne_u16_e32 vcc_lo, 0x8000, v4
	v_cndmask_b32_e32 v4, 0x7fff, v4, vcc_lo
	s_delay_alu instid0(VALU_DEP_1) | instskip(NEXT) | instid1(VALU_DEP_1)
	v_and_b32_e32 v4, 0xffff, v4
	v_lshrrev_b32_e32 v4, s48, v4
	s_delay_alu instid0(VALU_DEP_1) | instskip(NEXT) | instid1(VALU_DEP_1)
	v_and_b32_e32 v4, s55, v4
	v_lshl_or_b32 v4, v4, 4, v5
	ds_add_u32 v4, v94
	s_or_b32 exec_lo, exec_lo, s0
	s_delay_alu instid0(SALU_CYCLE_1)
	s_mov_b32 s0, exec_lo
	v_cmpx_lt_u32_e64 v61, v21
	s_cbranch_execnz .LBB1983_357
.LBB1983_372:                           ;   in Loop: Header=BB1983_318 Depth=2
	s_or_b32 exec_lo, exec_lo, s0
	s_delay_alu instid0(SALU_CYCLE_1)
	s_mov_b32 s0, exec_lo
	v_cmpx_lt_u32_e64 v63, v21
	s_cbranch_execz .LBB1983_317
.LBB1983_373:                           ;   in Loop: Header=BB1983_318 Depth=2
	s_waitcnt vmcnt(0)
	v_cmp_gt_i16_e32 vcc_lo, 0, v20
	v_lshlrev_b32_e32 v5, 2, v48
	v_cndmask_b32_e64 v4, 0x7fff, 0, vcc_lo
	s_delay_alu instid0(VALU_DEP_1) | instskip(NEXT) | instid1(VALU_DEP_1)
	v_xor_b32_e32 v4, v4, v20
	v_cmp_ne_u16_e32 vcc_lo, 0x8000, v4
	v_cndmask_b32_e32 v4, 0x7fff, v4, vcc_lo
	s_delay_alu instid0(VALU_DEP_1) | instskip(NEXT) | instid1(VALU_DEP_1)
	v_and_b32_e32 v4, 0xffff, v4
	v_lshrrev_b32_e32 v4, s48, v4
	s_delay_alu instid0(VALU_DEP_1) | instskip(NEXT) | instid1(VALU_DEP_1)
	v_and_b32_e32 v4, s55, v4
	v_lshl_or_b32 v4, v4, 4, v5
	ds_add_u32 v4, v94
	s_branch .LBB1983_317
.LBB1983_374:                           ;   in Loop: Header=BB1983_318 Depth=2
	s_or_b32 exec_lo, exec_lo, s11
	s_delay_alu instid0(SALU_CYCLE_1)
	s_mov_b32 s11, exec_lo
	v_cmpx_gt_u32_e64 s8, v45
	s_cbranch_execz .LBB1983_324
.LBB1983_375:                           ;   in Loop: Header=BB1983_318 Depth=2
	global_load_u16 v18, v95, s[0:1] offset:512
	s_or_b32 exec_lo, exec_lo, s11
	s_delay_alu instid0(SALU_CYCLE_1)
	s_mov_b32 s11, exec_lo
	v_cmpx_gt_u32_e64 s8, v46
	s_cbranch_execnz .LBB1983_325
.LBB1983_376:                           ;   in Loop: Header=BB1983_318 Depth=2
	s_or_b32 exec_lo, exec_lo, s11
	s_delay_alu instid0(SALU_CYCLE_1)
	s_mov_b32 s11, exec_lo
	v_cmpx_gt_u32_e64 s8, v47
	s_cbranch_execz .LBB1983_326
.LBB1983_377:                           ;   in Loop: Header=BB1983_318 Depth=2
	global_load_u16 v16, v95, s[0:1] offset:1536
	s_or_b32 exec_lo, exec_lo, s11
	s_delay_alu instid0(SALU_CYCLE_1)
	s_mov_b32 s11, exec_lo
	v_cmpx_gt_u32_e64 s8, v51
	s_cbranch_execnz .LBB1983_327
.LBB1983_378:                           ;   in Loop: Header=BB1983_318 Depth=2
	s_or_b32 exec_lo, exec_lo, s11
	s_delay_alu instid0(SALU_CYCLE_1)
	s_mov_b32 s11, exec_lo
	v_cmpx_gt_u32_e64 s8, v52
	s_cbranch_execz .LBB1983_328
.LBB1983_379:                           ;   in Loop: Header=BB1983_318 Depth=2
	global_load_u16 v14, v95, s[0:1] offset:2560
	s_or_b32 exec_lo, exec_lo, s11
	s_delay_alu instid0(SALU_CYCLE_1)
	s_mov_b32 s11, exec_lo
	v_cmpx_gt_u32_e64 s8, v53
	s_cbranch_execnz .LBB1983_329
.LBB1983_380:                           ;   in Loop: Header=BB1983_318 Depth=2
	s_or_b32 exec_lo, exec_lo, s11
	s_delay_alu instid0(SALU_CYCLE_1)
	s_mov_b32 s11, exec_lo
	v_cmpx_gt_u32_e64 s8, v54
	s_cbranch_execz .LBB1983_330
.LBB1983_381:                           ;   in Loop: Header=BB1983_318 Depth=2
	global_load_u16 v12, v95, s[0:1] offset:3584
	s_or_b32 exec_lo, exec_lo, s11
	s_delay_alu instid0(SALU_CYCLE_1)
	s_mov_b32 s11, exec_lo
	v_cmpx_gt_u32_e64 s8, v55
	s_cbranch_execnz .LBB1983_331
.LBB1983_382:                           ;   in Loop: Header=BB1983_318 Depth=2
	s_or_b32 exec_lo, exec_lo, s11
	s_delay_alu instid0(SALU_CYCLE_1)
	s_mov_b32 s11, exec_lo
	v_cmpx_gt_u32_e64 s8, v56
	s_cbranch_execz .LBB1983_332
.LBB1983_383:                           ;   in Loop: Header=BB1983_318 Depth=2
	global_load_u16 v10, v97, s[0:1]
	s_or_b32 exec_lo, exec_lo, s11
	s_delay_alu instid0(SALU_CYCLE_1)
	s_mov_b32 s11, exec_lo
	v_cmpx_gt_u32_e64 s8, v57
	s_cbranch_execnz .LBB1983_333
.LBB1983_384:                           ;   in Loop: Header=BB1983_318 Depth=2
	s_or_b32 exec_lo, exec_lo, s11
	s_delay_alu instid0(SALU_CYCLE_1)
	s_mov_b32 s11, exec_lo
	v_cmpx_gt_u32_e64 s8, v58
	s_cbranch_execz .LBB1983_334
.LBB1983_385:                           ;   in Loop: Header=BB1983_318 Depth=2
	global_load_u16 v8, v99, s[0:1]
	s_or_b32 exec_lo, exec_lo, s11
	s_delay_alu instid0(SALU_CYCLE_1)
	s_mov_b32 s11, exec_lo
	v_cmpx_gt_u32_e64 s8, v59
	s_cbranch_execnz .LBB1983_335
.LBB1983_386:                           ;   in Loop: Header=BB1983_318 Depth=2
	s_or_b32 exec_lo, exec_lo, s11
	s_delay_alu instid0(SALU_CYCLE_1)
	s_mov_b32 s11, exec_lo
	v_cmpx_gt_u32_e64 s8, v60
	s_cbranch_execz .LBB1983_336
.LBB1983_387:                           ;   in Loop: Header=BB1983_318 Depth=2
	global_load_u16 v6, v101, s[0:1]
	s_or_b32 exec_lo, exec_lo, s11
	s_delay_alu instid0(SALU_CYCLE_1)
	s_mov_b32 s11, exec_lo
	v_cmpx_gt_u32_e64 s8, v61
	s_cbranch_execz .LBB1983_338
	s_branch .LBB1983_337
.LBB1983_388:                           ;   in Loop: Header=BB1983_20 Depth=1
	v_mov_b32_e32 v2, 0
	s_waitcnt vmcnt(0) lgkmcnt(0)
	s_barrier
	buffer_gl0_inv
	s_and_saveexec_b32 s0, s2
	s_cbranch_execz .LBB1983_390
; %bb.389:                              ;   in Loop: Header=BB1983_20 Depth=1
	ds_load_2addr_b64 v[4:7], v64 offset1:1
	s_waitcnt lgkmcnt(0)
	v_add_nc_u32_e32 v2, v5, v4
	s_delay_alu instid0(VALU_DEP_1)
	v_add3_u32 v2, v2, v6, v7
.LBB1983_390:                           ;   in Loop: Header=BB1983_20 Depth=1
	s_or_b32 exec_lo, exec_lo, s0
	v_and_b32_e32 v4, 15, v104
	s_delay_alu instid0(VALU_DEP_2) | instskip(SKIP_1) | instid1(VALU_DEP_3)
	v_mov_b32_dpp v5, v2 row_shr:1 row_mask:0xf bank_mask:0xf
	v_and_b32_e32 v6, 16, v104
	v_cmp_eq_u32_e64 s0, 0, v4
	v_cmp_lt_u32_e64 s1, 1, v4
	v_cmp_lt_u32_e64 s8, 3, v4
	;; [unrolled: 1-line block ×3, first 2 shown]
	v_cmp_eq_u32_e64 s10, 0, v6
	v_cndmask_b32_e64 v5, v5, 0, s0
	s_delay_alu instid0(VALU_DEP_1) | instskip(NEXT) | instid1(VALU_DEP_1)
	v_add_nc_u32_e32 v2, v5, v2
	v_mov_b32_dpp v5, v2 row_shr:2 row_mask:0xf bank_mask:0xf
	s_delay_alu instid0(VALU_DEP_1) | instskip(NEXT) | instid1(VALU_DEP_1)
	v_cndmask_b32_e64 v5, 0, v5, s1
	v_add_nc_u32_e32 v2, v2, v5
	s_delay_alu instid0(VALU_DEP_1) | instskip(NEXT) | instid1(VALU_DEP_1)
	v_mov_b32_dpp v5, v2 row_shr:4 row_mask:0xf bank_mask:0xf
	v_cndmask_b32_e64 v5, 0, v5, s8
	s_delay_alu instid0(VALU_DEP_1) | instskip(NEXT) | instid1(VALU_DEP_1)
	v_add_nc_u32_e32 v2, v2, v5
	v_mov_b32_dpp v5, v2 row_shr:8 row_mask:0xf bank_mask:0xf
	s_delay_alu instid0(VALU_DEP_1) | instskip(SKIP_1) | instid1(VALU_DEP_2)
	v_cndmask_b32_e64 v4, 0, v5, s9
	v_bfe_i32 v5, v104, 4, 1
	v_add_nc_u32_e32 v2, v2, v4
	ds_swizzle_b32 v4, v2 offset:swizzle(BROADCAST,32,15)
	s_waitcnt lgkmcnt(0)
	v_and_b32_e32 v4, v5, v4
	s_delay_alu instid0(VALU_DEP_1)
	v_add_nc_u32_e32 v4, v2, v4
	s_and_saveexec_b32 s11, s3
	s_cbranch_execz .LBB1983_392
; %bb.391:                              ;   in Loop: Header=BB1983_20 Depth=1
	ds_store_b32 v65, v4
.LBB1983_392:                           ;   in Loop: Header=BB1983_20 Depth=1
	s_or_b32 exec_lo, exec_lo, s11
	v_and_b32_e32 v2, 7, v104
	s_waitcnt lgkmcnt(0)
	s_barrier
	buffer_gl0_inv
	s_and_saveexec_b32 s11, s4
	s_cbranch_execz .LBB1983_394
; %bb.393:                              ;   in Loop: Header=BB1983_20 Depth=1
	ds_load_b32 v5, v66
	v_cmp_ne_u32_e32 vcc_lo, 0, v2
	s_waitcnt lgkmcnt(0)
	v_mov_b32_dpp v6, v5 row_shr:1 row_mask:0xf bank_mask:0xf
	s_delay_alu instid0(VALU_DEP_1) | instskip(SKIP_1) | instid1(VALU_DEP_2)
	v_cndmask_b32_e32 v6, 0, v6, vcc_lo
	v_cmp_lt_u32_e32 vcc_lo, 1, v2
	v_add_nc_u32_e32 v5, v6, v5
	s_delay_alu instid0(VALU_DEP_1) | instskip(NEXT) | instid1(VALU_DEP_1)
	v_mov_b32_dpp v6, v5 row_shr:2 row_mask:0xf bank_mask:0xf
	v_cndmask_b32_e32 v6, 0, v6, vcc_lo
	v_cmp_lt_u32_e32 vcc_lo, 3, v2
	s_delay_alu instid0(VALU_DEP_2) | instskip(NEXT) | instid1(VALU_DEP_1)
	v_add_nc_u32_e32 v5, v5, v6
	v_mov_b32_dpp v6, v5 row_shr:4 row_mask:0xf bank_mask:0xf
	s_delay_alu instid0(VALU_DEP_1) | instskip(NEXT) | instid1(VALU_DEP_1)
	v_cndmask_b32_e32 v6, 0, v6, vcc_lo
	v_add_nc_u32_e32 v5, v5, v6
	ds_store_b32 v66, v5
.LBB1983_394:                           ;   in Loop: Header=BB1983_20 Depth=1
	s_or_b32 exec_lo, exec_lo, s11
	v_mov_b32_e32 v5, 0
	s_waitcnt lgkmcnt(0)
	s_barrier
	buffer_gl0_inv
	s_and_saveexec_b32 s11, s5
	s_cbranch_execz .LBB1983_396
; %bb.395:                              ;   in Loop: Header=BB1983_20 Depth=1
	ds_load_b32 v5, v67
.LBB1983_396:                           ;   in Loop: Header=BB1983_20 Depth=1
	s_or_b32 exec_lo, exec_lo, s11
	v_add_nc_u32_e32 v6, -1, v104
	s_waitcnt lgkmcnt(0)
	v_add_nc_u32_e32 v4, v5, v4
	v_cmp_eq_u32_e64 s11, 0, v104
	s_barrier
	v_cmp_gt_i32_e32 vcc_lo, 0, v6
	buffer_gl0_inv
	v_cndmask_b32_e32 v6, v6, v104, vcc_lo
	s_delay_alu instid0(VALU_DEP_1)
	v_lshlrev_b32_e32 v105, 2, v6
	ds_bpermute_b32 v4, v105, v4
	s_and_saveexec_b32 s12, s2
	s_cbranch_execz .LBB1983_398
; %bb.397:                              ;   in Loop: Header=BB1983_20 Depth=1
	s_waitcnt lgkmcnt(0)
	v_cndmask_b32_e64 v4, v4, v5, s11
	s_delay_alu instid0(VALU_DEP_1)
	v_add_nc_u32_e32 v4, s52, v4
	ds_store_b32 v44, v4
.LBB1983_398:                           ;   in Loop: Header=BB1983_20 Depth=1
	s_or_b32 exec_lo, exec_lo, s12
	s_load_b64 s[12:13], s[42:43], 0x0
	v_lshlrev_b32_e32 v5, 3, v104
	v_or_b32_e32 v106, v104, v68
	s_mov_b32 s56, s54
	s_mov_b32 s34, s52
                                        ; implicit-def: $vgpr8_vgpr9
                                        ; implicit-def: $vgpr10_vgpr11
                                        ; implicit-def: $vgpr12_vgpr13
                                        ; implicit-def: $vgpr14_vgpr15
                                        ; implicit-def: $vgpr16_vgpr17
                                        ; implicit-def: $vgpr18_vgpr19
                                        ; implicit-def: $vgpr20_vgpr21
                                        ; implicit-def: $vgpr22_vgpr23
                                        ; implicit-def: $vgpr24_vgpr25
                                        ; implicit-def: $vgpr26_vgpr27
                                        ; implicit-def: $vgpr28_vgpr29
                                        ; implicit-def: $vgpr30_vgpr31
                                        ; implicit-def: $vgpr32_vgpr33
                                        ; implicit-def: $vgpr34_vgpr35
                                        ; implicit-def: $vgpr129
                                        ; implicit-def: $vgpr130
                                        ; implicit-def: $vgpr131
                                        ; implicit-def: $vgpr132
                                        ; implicit-def: $vgpr133
                                        ; implicit-def: $vgpr134
                                        ; implicit-def: $vgpr135
                                        ; implicit-def: $vgpr136
                                        ; implicit-def: $vgpr137
                                        ; implicit-def: $vgpr138
                                        ; implicit-def: $vgpr139
                                        ; implicit-def: $vgpr140
                                        ; implicit-def: $vgpr141
                                        ; implicit-def: $vgpr142
                                        ; implicit-def: $vgpr143
                                        ; implicit-def: $vgpr144
	s_delay_alu instid0(VALU_DEP_2)
	v_add_co_u32 v107, vcc_lo, v84, v5
	v_add_co_ci_u32_e32 v108, vcc_lo, 0, v85, vcc_lo
	v_or_b32_e32 v109, 32, v106
	v_or_b32_e32 v110, 64, v106
	;; [unrolled: 1-line block ×10, first 2 shown]
	s_waitcnt lgkmcnt(0)
	s_cmp_lt_u32 s15, s13
	v_or_b32_e32 v119, 0x160, v106
	s_cselect_b32 s13, 14, 20
	v_or_b32_e32 v120, 0x180, v106
	s_add_u32 s16, s42, s13
	s_addc_u32 s17, s43, 0
	s_cmp_lt_u32 s14, s12
	global_load_u16 v4, v3, s[16:17]
	s_cselect_b32 s12, 12, 18
	v_or_b32_e32 v121, 0x1a0, v106
	s_add_u32 s12, s42, s12
	s_addc_u32 s13, s43, 0
	v_or_b32_e32 v122, 0x1c0, v106
	global_load_u16 v6, v3, s[12:13]
	v_cmp_eq_u32_e64 s12, 0, v2
	v_cmp_lt_u32_e64 s13, 1, v2
	v_cmp_lt_u32_e64 s16, 3, v2
	v_lshlrev_b32_e32 v2, 1, v104
	v_or_b32_e32 v123, 0x1e0, v106
	s_delay_alu instid0(VALU_DEP_2) | instskip(SKIP_1) | instid1(VALU_DEP_2)
	v_add_co_u32 v124, vcc_lo, v86, v2
	v_add_co_ci_u32_e32 v125, vcc_lo, 0, v87, vcc_lo
	v_add_co_u32 v127, vcc_lo, 0x3c0, v124
	s_delay_alu instid0(VALU_DEP_2) | instskip(SKIP_3) | instid1(VALU_DEP_1)
	v_add_co_ci_u32_e32 v128, vcc_lo, 0, v125, vcc_lo
	s_waitcnt vmcnt(1)
	v_mad_u32_u24 v7, v70, v4, v0
	s_waitcnt vmcnt(0)
	v_mad_u64_u32 v[4:5], null, v7, v6, v[1:2]
                                        ; implicit-def: $vgpr6_vgpr7
	s_delay_alu instid0(VALU_DEP_1)
	v_lshrrev_b32_e32 v126, 5, v4
                                        ; implicit-def: $vgpr4_vgpr5
	s_branch .LBB1983_400
.LBB1983_399:                           ;   in Loop: Header=BB1983_400 Depth=2
	s_or_b32 exec_lo, exec_lo, s17
	s_addk_i32 s56, 0xf000
	s_cmp_lt_u32 s57, s53
	s_mov_b32 s34, s57
	s_cbranch_scc0 .LBB1983_608
.LBB1983_400:                           ;   Parent Loop BB1983_20 Depth=1
                                        ; =>  This Inner Loop Header: Depth=2
	s_add_i32 s57, s34, 0x1000
	s_delay_alu instid0(SALU_CYCLE_1)
	s_cmp_gt_u32 s57, s53
	s_cbranch_scc1 .LBB1983_403
; %bb.401:                              ;   in Loop: Header=BB1983_400 Depth=2
	s_mov_b32 s19, 0
	s_mov_b32 s18, s34
	s_movk_i32 s17, 0x1000
	s_lshl_b64 s[20:21], s[18:19], 1
	s_delay_alu instid0(SALU_CYCLE_1)
	v_add_co_u32 v36, vcc_lo, v124, s20
	v_add_co_ci_u32_e32 v37, vcc_lo, s21, v125, vcc_lo
	s_mov_b32 s20, -1
	s_clause 0xe
	global_load_u16 v2, v[36:37], off
	global_load_u16 v146, v[36:37], off offset:64
	global_load_u16 v149, v[36:37], off offset:128
	global_load_u16 v153, v[36:37], off offset:192
	global_load_u16 v157, v[36:37], off offset:256
	global_load_u16 v161, v[36:37], off offset:320
	global_load_u16 v165, v[36:37], off offset:384
	global_load_u16 v170, v[36:37], off offset:448
	global_load_u16 v169, v[36:37], off offset:512
	global_load_u16 v43, v[36:37], off offset:576
	global_load_u16 v42, v[36:37], off offset:640
	global_load_u16 v41, v[36:37], off offset:704
	global_load_u16 v40, v[36:37], off offset:768
	global_load_u16 v39, v[36:37], off offset:832
	global_load_u16 v38, v[36:37], off offset:896
	s_cbranch_execz .LBB1983_404
; %bb.402:                              ;   in Loop: Header=BB1983_400 Depth=2
                                        ; implicit-def: $sgpr21
	v_dual_mov_b32 v36, s21 :: v_dual_mov_b32 v145, s56
	s_and_saveexec_b32 s21, s20
	s_cbranch_execnz .LBB1983_435
	s_branch .LBB1983_436
.LBB1983_403:                           ;   in Loop: Header=BB1983_400 Depth=2
	s_mov_b32 s19, -1
	s_mov_b32 s20, 0
                                        ; implicit-def: $sgpr17
                                        ; implicit-def: $vgpr2
                                        ; implicit-def: $vgpr146
                                        ; implicit-def: $vgpr149
                                        ; implicit-def: $vgpr153
                                        ; implicit-def: $vgpr157
                                        ; implicit-def: $vgpr161
                                        ; implicit-def: $vgpr165
                                        ; implicit-def: $vgpr170
                                        ; implicit-def: $vgpr169
                                        ; implicit-def: $vgpr43
                                        ; implicit-def: $vgpr42
                                        ; implicit-def: $vgpr41
                                        ; implicit-def: $vgpr40
                                        ; implicit-def: $vgpr39
                                        ; implicit-def: $vgpr38
.LBB1983_404:                           ;   in Loop: Header=BB1983_400 Depth=2
	s_lshl_b64 s[18:19], s[34:35], 1
	s_waitcnt vmcnt(13)
	v_mov_b32_e32 v146, -1
	v_add_co_u32 v36, vcc_lo, v124, s18
	v_add_co_ci_u32_e32 v37, vcc_lo, s19, v125, vcc_lo
	v_mov_b32_e32 v2, -1
	s_mov_b32 s17, exec_lo
	v_cmpx_gt_u32_e64 s56, v106
	s_cbranch_execz .LBB1983_406
; %bb.405:                              ;   in Loop: Header=BB1983_400 Depth=2
	global_load_u16 v2, v[36:37], off
.LBB1983_406:                           ;   in Loop: Header=BB1983_400 Depth=2
	s_or_b32 exec_lo, exec_lo, s17
	s_delay_alu instid0(SALU_CYCLE_1)
	s_mov_b32 s17, exec_lo
	v_cmpx_gt_u32_e64 s56, v109
	s_cbranch_execz .LBB1983_408
; %bb.407:                              ;   in Loop: Header=BB1983_400 Depth=2
	global_load_u16 v146, v[36:37], off offset:64
.LBB1983_408:                           ;   in Loop: Header=BB1983_400 Depth=2
	s_or_b32 exec_lo, exec_lo, s17
	s_waitcnt vmcnt(11)
	v_mov_b32_e32 v153, -1
	v_mov_b32_e32 v149, -1
	s_mov_b32 s17, exec_lo
	v_cmpx_gt_u32_e64 s56, v110
	s_cbranch_execz .LBB1983_410
; %bb.409:                              ;   in Loop: Header=BB1983_400 Depth=2
	global_load_u16 v149, v[36:37], off offset:128
.LBB1983_410:                           ;   in Loop: Header=BB1983_400 Depth=2
	s_or_b32 exec_lo, exec_lo, s17
	s_delay_alu instid0(SALU_CYCLE_1)
	s_mov_b32 s17, exec_lo
	v_cmpx_gt_u32_e64 s56, v111
	s_cbranch_execz .LBB1983_412
; %bb.411:                              ;   in Loop: Header=BB1983_400 Depth=2
	global_load_u16 v153, v[36:37], off offset:192
.LBB1983_412:                           ;   in Loop: Header=BB1983_400 Depth=2
	s_or_b32 exec_lo, exec_lo, s17
	s_waitcnt vmcnt(9)
	v_mov_b32_e32 v161, -1
	v_mov_b32_e32 v157, -1
	s_mov_b32 s17, exec_lo
	v_cmpx_gt_u32_e64 s56, v112
	s_cbranch_execz .LBB1983_414
; %bb.413:                              ;   in Loop: Header=BB1983_400 Depth=2
	global_load_u16 v157, v[36:37], off offset:256
.LBB1983_414:                           ;   in Loop: Header=BB1983_400 Depth=2
	s_or_b32 exec_lo, exec_lo, s17
	s_delay_alu instid0(SALU_CYCLE_1)
	s_mov_b32 s17, exec_lo
	v_cmpx_gt_u32_e64 s56, v113
	s_cbranch_execz .LBB1983_416
; %bb.415:                              ;   in Loop: Header=BB1983_400 Depth=2
	global_load_u16 v161, v[36:37], off offset:320
.LBB1983_416:                           ;   in Loop: Header=BB1983_400 Depth=2
	s_or_b32 exec_lo, exec_lo, s17
	s_waitcnt vmcnt(7)
	v_dual_mov_b32 v170, -1 :: v_dual_mov_b32 v165, -1
	s_mov_b32 s17, exec_lo
	v_cmpx_gt_u32_e64 s56, v114
	s_cbranch_execz .LBB1983_418
; %bb.417:                              ;   in Loop: Header=BB1983_400 Depth=2
	global_load_u16 v165, v[36:37], off offset:384
.LBB1983_418:                           ;   in Loop: Header=BB1983_400 Depth=2
	s_or_b32 exec_lo, exec_lo, s17
	s_delay_alu instid0(SALU_CYCLE_1)
	s_mov_b32 s17, exec_lo
	v_cmpx_gt_u32_e64 s56, v115
	s_cbranch_execz .LBB1983_420
; %bb.419:                              ;   in Loop: Header=BB1983_400 Depth=2
	global_load_u16 v170, v[36:37], off offset:448
.LBB1983_420:                           ;   in Loop: Header=BB1983_400 Depth=2
	s_or_b32 exec_lo, exec_lo, s17
	s_waitcnt vmcnt(5)
	v_mov_b32_e32 v43, -1
	v_mov_b32_e32 v169, -1
	s_mov_b32 s17, exec_lo
	v_cmpx_gt_u32_e64 s56, v116
	s_cbranch_execz .LBB1983_422
; %bb.421:                              ;   in Loop: Header=BB1983_400 Depth=2
	global_load_u16 v169, v[36:37], off offset:512
.LBB1983_422:                           ;   in Loop: Header=BB1983_400 Depth=2
	s_or_b32 exec_lo, exec_lo, s17
	s_delay_alu instid0(SALU_CYCLE_1)
	s_mov_b32 s17, exec_lo
	v_cmpx_gt_u32_e64 s56, v117
	s_cbranch_execz .LBB1983_424
; %bb.423:                              ;   in Loop: Header=BB1983_400 Depth=2
	global_load_u16 v43, v[36:37], off offset:576
.LBB1983_424:                           ;   in Loop: Header=BB1983_400 Depth=2
	s_or_b32 exec_lo, exec_lo, s17
	s_waitcnt vmcnt(3)
	v_dual_mov_b32 v41, -1 :: v_dual_mov_b32 v42, -1
	s_mov_b32 s17, exec_lo
	v_cmpx_gt_u32_e64 s56, v118
	s_cbranch_execz .LBB1983_426
; %bb.425:                              ;   in Loop: Header=BB1983_400 Depth=2
	global_load_u16 v42, v[36:37], off offset:640
.LBB1983_426:                           ;   in Loop: Header=BB1983_400 Depth=2
	s_or_b32 exec_lo, exec_lo, s17
	s_delay_alu instid0(SALU_CYCLE_1)
	s_mov_b32 s17, exec_lo
	v_cmpx_gt_u32_e64 s56, v119
	s_cbranch_execz .LBB1983_428
; %bb.427:                              ;   in Loop: Header=BB1983_400 Depth=2
	global_load_u16 v41, v[36:37], off offset:704
.LBB1983_428:                           ;   in Loop: Header=BB1983_400 Depth=2
	s_or_b32 exec_lo, exec_lo, s17
	s_waitcnt vmcnt(1)
	v_dual_mov_b32 v39, -1 :: v_dual_mov_b32 v40, -1
	s_mov_b32 s17, exec_lo
	v_cmpx_gt_u32_e64 s56, v120
	s_cbranch_execz .LBB1983_430
; %bb.429:                              ;   in Loop: Header=BB1983_400 Depth=2
	global_load_u16 v40, v[36:37], off offset:768
.LBB1983_430:                           ;   in Loop: Header=BB1983_400 Depth=2
	s_or_b32 exec_lo, exec_lo, s17
	s_delay_alu instid0(SALU_CYCLE_1)
	s_mov_b32 s17, exec_lo
	v_cmpx_gt_u32_e64 s56, v121
	s_cbranch_execz .LBB1983_432
; %bb.431:                              ;   in Loop: Header=BB1983_400 Depth=2
	global_load_u16 v39, v[36:37], off offset:832
.LBB1983_432:                           ;   in Loop: Header=BB1983_400 Depth=2
	s_or_b32 exec_lo, exec_lo, s17
	s_waitcnt vmcnt(0)
	v_mov_b32_e32 v38, -1
	s_mov_b32 s17, exec_lo
	v_cmpx_gt_u32_e64 s56, v122
	s_cbranch_execz .LBB1983_434
; %bb.433:                              ;   in Loop: Header=BB1983_400 Depth=2
	global_load_u16 v38, v[36:37], off offset:896
.LBB1983_434:                           ;   in Loop: Header=BB1983_400 Depth=2
	s_or_b32 exec_lo, exec_lo, s17
	v_cmp_gt_u32_e64 s20, s56, v123
	s_sub_i32 s17, s53, s34
	s_mov_b32 s21, -1
	s_mov_b64 s[18:19], s[34:35]
	v_dual_mov_b32 v36, s21 :: v_dual_mov_b32 v145, s56
	s_and_saveexec_b32 s21, s20
	s_cbranch_execz .LBB1983_436
.LBB1983_435:                           ;   in Loop: Header=BB1983_400 Depth=2
	s_lshl_b64 s[18:19], s[18:19], 1
	v_mov_b32_e32 v145, s17
	v_add_co_u32 v36, vcc_lo, v127, s18
	v_add_co_ci_u32_e32 v37, vcc_lo, s19, v128, vcc_lo
	global_load_u16 v36, v[36:37], off
.LBB1983_436:                           ;   in Loop: Header=BB1983_400 Depth=2
	s_or_b32 exec_lo, exec_lo, s21
	s_waitcnt vmcnt(14)
	v_cmp_gt_i16_e32 vcc_lo, 0, v2
	ds_store_b32 v69, v3 offset:1056
	ds_store_2addr_b32 v71, v3, v3 offset0:1 offset1:2
	ds_store_2addr_b32 v71, v3, v3 offset0:3 offset1:4
	;; [unrolled: 1-line block ×4, first 2 shown]
	s_waitcnt vmcnt(0) lgkmcnt(0)
	s_barrier
	v_cndmask_b32_e64 v37, 0x7fff, 0, vcc_lo
	buffer_gl0_inv
	; wave barrier
	v_xor_b32_e32 v2, v37, v2
	s_delay_alu instid0(VALU_DEP_1) | instskip(SKIP_1) | instid1(VALU_DEP_1)
	v_cmp_ne_u16_e32 vcc_lo, 0x8000, v2
	v_cndmask_b32_e32 v37, 0x7fff, v2, vcc_lo
	v_and_b32_e32 v37, 0xffff, v37
	s_delay_alu instid0(VALU_DEP_1) | instskip(NEXT) | instid1(VALU_DEP_1)
	v_lshrrev_b32_e32 v37, s48, v37
	v_and_b32_e32 v148, s55, v37
	s_delay_alu instid0(VALU_DEP_1)
	v_lshlrev_b32_e32 v150, 29, v148
	v_and_b32_e32 v37, 1, v148
	v_lshlrev_b32_e32 v147, 30, v148
	v_lshlrev_b32_e32 v151, 28, v148
	;; [unrolled: 1-line block ×4, first 2 shown]
	v_add_co_u32 v37, s17, v37, -1
	s_delay_alu instid0(VALU_DEP_1)
	v_cndmask_b32_e64 v152, 0, 1, s17
	v_not_b32_e32 v158, v147
	v_cmp_gt_i32_e64 s17, 0, v147
	v_not_b32_e32 v147, v150
	v_lshlrev_b32_e32 v156, 25, v148
	v_cmp_ne_u32_e32 vcc_lo, 0, v152
	v_ashrrev_i32_e32 v158, 31, v158
	v_lshlrev_b32_e32 v152, 24, v148
	v_ashrrev_i32_e32 v147, 31, v147
	v_mad_u32_u24 v148, v148, 9, v126
	v_xor_b32_e32 v37, vcc_lo, v37
	v_cmp_gt_i32_e32 vcc_lo, 0, v150
	v_not_b32_e32 v150, v151
	v_xor_b32_e32 v158, s17, v158
	v_cmp_gt_i32_e64 s17, 0, v151
	v_and_b32_e32 v37, exec_lo, v37
	v_not_b32_e32 v151, v154
	v_ashrrev_i32_e32 v150, 31, v150
	v_xor_b32_e32 v147, vcc_lo, v147
	v_cmp_gt_i32_e32 vcc_lo, 0, v154
	v_and_b32_e32 v37, v37, v158
	v_not_b32_e32 v154, v155
	v_ashrrev_i32_e32 v151, 31, v151
	v_xor_b32_e32 v150, s17, v150
	v_cmp_gt_i32_e64 s17, 0, v155
	v_and_b32_e32 v37, v37, v147
	v_not_b32_e32 v147, v156
	v_ashrrev_i32_e32 v154, 31, v154
	v_xor_b32_e32 v151, vcc_lo, v151
	v_cmp_gt_i32_e32 vcc_lo, 0, v156
	v_and_b32_e32 v37, v37, v150
	v_not_b32_e32 v150, v152
	v_ashrrev_i32_e32 v147, 31, v147
	v_xor_b32_e32 v154, s17, v154
	v_cmp_gt_i32_e64 s17, 0, v152
	v_and_b32_e32 v37, v37, v151
	v_ashrrev_i32_e32 v150, 31, v150
	v_xor_b32_e32 v147, vcc_lo, v147
	v_lshl_add_u32 v148, v148, 2, 0x420
	s_delay_alu instid0(VALU_DEP_4) | instskip(NEXT) | instid1(VALU_DEP_4)
	v_and_b32_e32 v37, v37, v154
	v_xor_b32_e32 v150, s17, v150
	s_delay_alu instid0(VALU_DEP_2) | instskip(NEXT) | instid1(VALU_DEP_1)
	v_and_b32_e32 v37, v37, v147
	v_and_b32_e32 v37, v37, v150
	s_delay_alu instid0(VALU_DEP_1) | instskip(SKIP_1) | instid1(VALU_DEP_2)
	v_mbcnt_lo_u32_b32 v147, v37, 0
	v_cmp_ne_u32_e64 s17, 0, v37
	v_cmp_eq_u32_e32 vcc_lo, 0, v147
	s_delay_alu instid0(VALU_DEP_2) | instskip(NEXT) | instid1(SALU_CYCLE_1)
	s_and_b32 s18, s17, vcc_lo
	s_and_saveexec_b32 s17, s18
	s_cbranch_execz .LBB1983_438
; %bb.437:                              ;   in Loop: Header=BB1983_400 Depth=2
	v_bcnt_u32_b32 v37, v37, 0
	ds_store_b32 v148, v37
.LBB1983_438:                           ;   in Loop: Header=BB1983_400 Depth=2
	s_or_b32 exec_lo, exec_lo, s17
	v_cmp_gt_i16_e64 vcc_lo, 0, v146
	; wave barrier
	s_delay_alu instid0(VALU_DEP_1) | instskip(NEXT) | instid1(VALU_DEP_1)
	v_cndmask_b32_e64 v37, 0x7fff, 0, vcc_lo
	v_xor_b32_e32 v146, v37, v146
	s_delay_alu instid0(VALU_DEP_1) | instskip(SKIP_1) | instid1(VALU_DEP_1)
	v_cmp_ne_u16_e64 vcc_lo, 0x8000, v146
	v_cndmask_b32_e32 v37, 0x7fff, v146, vcc_lo
	v_and_b32_e32 v37, 0xffff, v37
	s_delay_alu instid0(VALU_DEP_1) | instskip(NEXT) | instid1(VALU_DEP_1)
	v_lshrrev_b32_e32 v37, s48, v37
	v_and_b32_e32 v37, s55, v37
	s_delay_alu instid0(VALU_DEP_1)
	v_and_b32_e32 v150, 1, v37
	v_lshlrev_b32_e32 v151, 30, v37
	v_lshlrev_b32_e32 v152, 29, v37
	v_lshlrev_b32_e32 v154, 28, v37
	v_lshlrev_b32_e32 v156, 27, v37
	v_add_co_u32 v150, s17, v150, -1
	s_delay_alu instid0(VALU_DEP_1)
	v_cndmask_b32_e64 v155, 0, 1, s17
	v_not_b32_e32 v160, v151
	v_cmp_gt_i32_e64 s17, 0, v151
	v_not_b32_e32 v151, v152
	v_lshlrev_b32_e32 v158, 26, v37
	v_cmp_ne_u32_e32 vcc_lo, 0, v155
	v_ashrrev_i32_e32 v160, 31, v160
	v_lshlrev_b32_e32 v159, 25, v37
	v_ashrrev_i32_e32 v151, 31, v151
	v_lshlrev_b32_e32 v155, 24, v37
	v_xor_b32_e32 v150, vcc_lo, v150
	v_cmp_gt_i32_e32 vcc_lo, 0, v152
	v_not_b32_e32 v152, v154
	v_xor_b32_e32 v160, s17, v160
	v_cmp_gt_i32_e64 s17, 0, v154
	v_and_b32_e32 v150, exec_lo, v150
	v_not_b32_e32 v154, v156
	v_ashrrev_i32_e32 v152, 31, v152
	v_xor_b32_e32 v151, vcc_lo, v151
	v_cmp_gt_i32_e32 vcc_lo, 0, v156
	v_and_b32_e32 v150, v150, v160
	v_not_b32_e32 v156, v158
	v_ashrrev_i32_e32 v154, 31, v154
	v_xor_b32_e32 v152, s17, v152
	v_cmp_gt_i32_e64 s17, 0, v158
	v_and_b32_e32 v150, v150, v151
	v_not_b32_e32 v151, v159
	v_ashrrev_i32_e32 v156, 31, v156
	v_xor_b32_e32 v154, vcc_lo, v154
	v_cmp_gt_i32_e32 vcc_lo, 0, v159
	v_and_b32_e32 v150, v150, v152
	v_not_b32_e32 v152, v155
	v_ashrrev_i32_e32 v151, 31, v151
	v_xor_b32_e32 v156, s17, v156
	v_mul_u32_u24_e32 v37, 9, v37
	v_and_b32_e32 v150, v150, v154
	v_cmp_gt_i32_e64 s17, 0, v155
	v_ashrrev_i32_e32 v152, 31, v152
	v_xor_b32_e32 v151, vcc_lo, v151
	v_add_lshl_u32 v154, v37, v126, 2
	v_and_b32_e32 v150, v150, v156
	s_delay_alu instid0(VALU_DEP_4) | instskip(NEXT) | instid1(VALU_DEP_3)
	v_xor_b32_e32 v37, s17, v152
	v_add_nc_u32_e32 v152, 0x420, v154
	s_delay_alu instid0(VALU_DEP_3) | instskip(SKIP_2) | instid1(VALU_DEP_1)
	v_and_b32_e32 v151, v150, v151
	ds_load_b32 v150, v154 offset:1056
	; wave barrier
	v_and_b32_e32 v37, v151, v37
	v_mbcnt_lo_u32_b32 v151, v37, 0
	v_cmp_ne_u32_e64 s17, 0, v37
	s_delay_alu instid0(VALU_DEP_2) | instskip(NEXT) | instid1(VALU_DEP_2)
	v_cmp_eq_u32_e32 vcc_lo, 0, v151
	s_and_b32 s18, s17, vcc_lo
	s_delay_alu instid0(SALU_CYCLE_1)
	s_and_saveexec_b32 s17, s18
	s_cbranch_execz .LBB1983_440
; %bb.439:                              ;   in Loop: Header=BB1983_400 Depth=2
	s_waitcnt lgkmcnt(0)
	v_bcnt_u32_b32 v37, v37, v150
	ds_store_b32 v152, v37
.LBB1983_440:                           ;   in Loop: Header=BB1983_400 Depth=2
	s_or_b32 exec_lo, exec_lo, s17
	v_cmp_gt_i16_e64 vcc_lo, 0, v149
	; wave barrier
	s_delay_alu instid0(VALU_DEP_1) | instskip(NEXT) | instid1(VALU_DEP_1)
	v_cndmask_b32_e64 v37, 0x7fff, 0, vcc_lo
	v_xor_b32_e32 v149, v37, v149
	s_delay_alu instid0(VALU_DEP_1) | instskip(SKIP_1) | instid1(VALU_DEP_1)
	v_cmp_ne_u16_e64 vcc_lo, 0x8000, v149
	v_cndmask_b32_e32 v37, 0x7fff, v149, vcc_lo
	v_and_b32_e32 v37, 0xffff, v37
	s_delay_alu instid0(VALU_DEP_1) | instskip(NEXT) | instid1(VALU_DEP_1)
	v_lshrrev_b32_e32 v37, s48, v37
	v_and_b32_e32 v37, s55, v37
	s_delay_alu instid0(VALU_DEP_1)
	v_and_b32_e32 v154, 1, v37
	v_lshlrev_b32_e32 v155, 30, v37
	v_lshlrev_b32_e32 v156, 29, v37
	;; [unrolled: 1-line block ×4, first 2 shown]
	v_add_co_u32 v154, s17, v154, -1
	s_delay_alu instid0(VALU_DEP_1)
	v_cndmask_b32_e64 v159, 0, 1, s17
	v_not_b32_e32 v164, v155
	v_cmp_gt_i32_e64 s17, 0, v155
	v_not_b32_e32 v155, v156
	v_lshlrev_b32_e32 v162, 26, v37
	v_cmp_ne_u32_e32 vcc_lo, 0, v159
	v_ashrrev_i32_e32 v164, 31, v164
	v_lshlrev_b32_e32 v163, 25, v37
	v_ashrrev_i32_e32 v155, 31, v155
	v_lshlrev_b32_e32 v159, 24, v37
	v_xor_b32_e32 v154, vcc_lo, v154
	v_cmp_gt_i32_e32 vcc_lo, 0, v156
	v_not_b32_e32 v156, v158
	v_xor_b32_e32 v164, s17, v164
	v_cmp_gt_i32_e64 s17, 0, v158
	v_and_b32_e32 v154, exec_lo, v154
	v_not_b32_e32 v158, v160
	v_ashrrev_i32_e32 v156, 31, v156
	v_xor_b32_e32 v155, vcc_lo, v155
	v_cmp_gt_i32_e32 vcc_lo, 0, v160
	v_and_b32_e32 v154, v154, v164
	v_not_b32_e32 v160, v162
	v_ashrrev_i32_e32 v158, 31, v158
	v_xor_b32_e32 v156, s17, v156
	v_cmp_gt_i32_e64 s17, 0, v162
	v_and_b32_e32 v154, v154, v155
	v_not_b32_e32 v155, v163
	v_ashrrev_i32_e32 v160, 31, v160
	v_xor_b32_e32 v158, vcc_lo, v158
	v_cmp_gt_i32_e32 vcc_lo, 0, v163
	v_and_b32_e32 v154, v154, v156
	v_not_b32_e32 v156, v159
	v_ashrrev_i32_e32 v155, 31, v155
	v_xor_b32_e32 v160, s17, v160
	v_mul_u32_u24_e32 v37, 9, v37
	v_and_b32_e32 v154, v154, v158
	v_cmp_gt_i32_e64 s17, 0, v159
	v_ashrrev_i32_e32 v156, 31, v156
	v_xor_b32_e32 v155, vcc_lo, v155
	v_add_lshl_u32 v158, v37, v126, 2
	v_and_b32_e32 v154, v154, v160
	s_delay_alu instid0(VALU_DEP_4) | instskip(NEXT) | instid1(VALU_DEP_3)
	v_xor_b32_e32 v37, s17, v156
	v_add_nc_u32_e32 v156, 0x420, v158
	s_delay_alu instid0(VALU_DEP_3) | instskip(SKIP_2) | instid1(VALU_DEP_1)
	v_and_b32_e32 v155, v154, v155
	ds_load_b32 v154, v158 offset:1056
	; wave barrier
	v_and_b32_e32 v37, v155, v37
	v_mbcnt_lo_u32_b32 v155, v37, 0
	v_cmp_ne_u32_e64 s17, 0, v37
	s_delay_alu instid0(VALU_DEP_2) | instskip(NEXT) | instid1(VALU_DEP_2)
	v_cmp_eq_u32_e32 vcc_lo, 0, v155
	s_and_b32 s18, s17, vcc_lo
	s_delay_alu instid0(SALU_CYCLE_1)
	s_and_saveexec_b32 s17, s18
	s_cbranch_execz .LBB1983_442
; %bb.441:                              ;   in Loop: Header=BB1983_400 Depth=2
	s_waitcnt lgkmcnt(0)
	v_bcnt_u32_b32 v37, v37, v154
	ds_store_b32 v156, v37
.LBB1983_442:                           ;   in Loop: Header=BB1983_400 Depth=2
	s_or_b32 exec_lo, exec_lo, s17
	v_cmp_gt_i16_e64 vcc_lo, 0, v153
	; wave barrier
	s_delay_alu instid0(VALU_DEP_1) | instskip(NEXT) | instid1(VALU_DEP_1)
	v_cndmask_b32_e64 v37, 0x7fff, 0, vcc_lo
	v_xor_b32_e32 v153, v37, v153
	s_delay_alu instid0(VALU_DEP_1) | instskip(SKIP_1) | instid1(VALU_DEP_1)
	v_cmp_ne_u16_e64 vcc_lo, 0x8000, v153
	v_cndmask_b32_e32 v37, 0x7fff, v153, vcc_lo
	v_and_b32_e32 v37, 0xffff, v37
	s_delay_alu instid0(VALU_DEP_1) | instskip(NEXT) | instid1(VALU_DEP_1)
	v_lshrrev_b32_e32 v37, s48, v37
	v_and_b32_e32 v37, s55, v37
	s_delay_alu instid0(VALU_DEP_1)
	v_and_b32_e32 v158, 1, v37
	v_lshlrev_b32_e32 v159, 30, v37
	v_lshlrev_b32_e32 v160, 29, v37
	;; [unrolled: 1-line block ×4, first 2 shown]
	v_add_co_u32 v158, s17, v158, -1
	s_delay_alu instid0(VALU_DEP_1)
	v_cndmask_b32_e64 v163, 0, 1, s17
	v_not_b32_e32 v168, v159
	v_cmp_gt_i32_e64 s17, 0, v159
	v_not_b32_e32 v159, v160
	v_lshlrev_b32_e32 v166, 26, v37
	v_cmp_ne_u32_e32 vcc_lo, 0, v163
	v_ashrrev_i32_e32 v168, 31, v168
	v_lshlrev_b32_e32 v167, 25, v37
	v_ashrrev_i32_e32 v159, 31, v159
	v_lshlrev_b32_e32 v163, 24, v37
	v_xor_b32_e32 v158, vcc_lo, v158
	v_cmp_gt_i32_e32 vcc_lo, 0, v160
	v_not_b32_e32 v160, v162
	v_xor_b32_e32 v168, s17, v168
	v_cmp_gt_i32_e64 s17, 0, v162
	v_and_b32_e32 v158, exec_lo, v158
	v_not_b32_e32 v162, v164
	v_ashrrev_i32_e32 v160, 31, v160
	v_xor_b32_e32 v159, vcc_lo, v159
	v_cmp_gt_i32_e32 vcc_lo, 0, v164
	v_and_b32_e32 v158, v158, v168
	v_not_b32_e32 v164, v166
	v_ashrrev_i32_e32 v162, 31, v162
	v_xor_b32_e32 v160, s17, v160
	v_cmp_gt_i32_e64 s17, 0, v166
	v_and_b32_e32 v158, v158, v159
	v_not_b32_e32 v159, v167
	v_ashrrev_i32_e32 v164, 31, v164
	v_xor_b32_e32 v162, vcc_lo, v162
	v_cmp_gt_i32_e32 vcc_lo, 0, v167
	v_and_b32_e32 v158, v158, v160
	v_not_b32_e32 v160, v163
	v_ashrrev_i32_e32 v159, 31, v159
	v_xor_b32_e32 v164, s17, v164
	v_mul_u32_u24_e32 v37, 9, v37
	v_and_b32_e32 v158, v158, v162
	v_cmp_gt_i32_e64 s17, 0, v163
	v_ashrrev_i32_e32 v160, 31, v160
	v_xor_b32_e32 v159, vcc_lo, v159
	v_add_lshl_u32 v162, v37, v126, 2
	v_and_b32_e32 v158, v158, v164
	s_delay_alu instid0(VALU_DEP_4) | instskip(NEXT) | instid1(VALU_DEP_3)
	v_xor_b32_e32 v37, s17, v160
	v_add_nc_u32_e32 v160, 0x420, v162
	s_delay_alu instid0(VALU_DEP_3) | instskip(SKIP_2) | instid1(VALU_DEP_1)
	v_and_b32_e32 v159, v158, v159
	ds_load_b32 v158, v162 offset:1056
	; wave barrier
	v_and_b32_e32 v37, v159, v37
	v_mbcnt_lo_u32_b32 v159, v37, 0
	v_cmp_ne_u32_e64 s17, 0, v37
	s_delay_alu instid0(VALU_DEP_2) | instskip(NEXT) | instid1(VALU_DEP_2)
	v_cmp_eq_u32_e32 vcc_lo, 0, v159
	s_and_b32 s18, s17, vcc_lo
	s_delay_alu instid0(SALU_CYCLE_1)
	s_and_saveexec_b32 s17, s18
	s_cbranch_execz .LBB1983_444
; %bb.443:                              ;   in Loop: Header=BB1983_400 Depth=2
	s_waitcnt lgkmcnt(0)
	v_bcnt_u32_b32 v37, v37, v158
	ds_store_b32 v160, v37
.LBB1983_444:                           ;   in Loop: Header=BB1983_400 Depth=2
	s_or_b32 exec_lo, exec_lo, s17
	v_cmp_gt_i16_e64 vcc_lo, 0, v157
	; wave barrier
	s_delay_alu instid0(VALU_DEP_1) | instskip(NEXT) | instid1(VALU_DEP_1)
	v_cndmask_b32_e64 v37, 0x7fff, 0, vcc_lo
	v_xor_b32_e32 v157, v37, v157
	s_delay_alu instid0(VALU_DEP_1) | instskip(SKIP_1) | instid1(VALU_DEP_1)
	v_cmp_ne_u16_e64 vcc_lo, 0x8000, v157
	v_cndmask_b32_e32 v37, 0x7fff, v157, vcc_lo
	v_and_b32_e32 v37, 0xffff, v37
	s_delay_alu instid0(VALU_DEP_1) | instskip(NEXT) | instid1(VALU_DEP_1)
	v_lshrrev_b32_e32 v37, s48, v37
	v_and_b32_e32 v37, s55, v37
	s_delay_alu instid0(VALU_DEP_1)
	v_and_b32_e32 v162, 1, v37
	v_lshlrev_b32_e32 v163, 30, v37
	v_lshlrev_b32_e32 v164, 29, v37
	;; [unrolled: 1-line block ×4, first 2 shown]
	v_add_co_u32 v162, s17, v162, -1
	s_delay_alu instid0(VALU_DEP_1)
	v_cndmask_b32_e64 v167, 0, 1, s17
	v_not_b32_e32 v173, v163
	v_cmp_gt_i32_e64 s17, 0, v163
	v_not_b32_e32 v163, v164
	v_lshlrev_b32_e32 v171, 26, v37
	v_cmp_ne_u32_e32 vcc_lo, 0, v167
	v_ashrrev_i32_e32 v173, 31, v173
	v_lshlrev_b32_e32 v172, 25, v37
	v_ashrrev_i32_e32 v163, 31, v163
	v_lshlrev_b32_e32 v167, 24, v37
	v_xor_b32_e32 v162, vcc_lo, v162
	v_cmp_gt_i32_e32 vcc_lo, 0, v164
	v_not_b32_e32 v164, v166
	v_xor_b32_e32 v173, s17, v173
	v_cmp_gt_i32_e64 s17, 0, v166
	v_and_b32_e32 v162, exec_lo, v162
	v_not_b32_e32 v166, v168
	v_ashrrev_i32_e32 v164, 31, v164
	v_xor_b32_e32 v163, vcc_lo, v163
	v_cmp_gt_i32_e32 vcc_lo, 0, v168
	v_and_b32_e32 v162, v162, v173
	v_not_b32_e32 v168, v171
	v_ashrrev_i32_e32 v166, 31, v166
	v_xor_b32_e32 v164, s17, v164
	v_cmp_gt_i32_e64 s17, 0, v171
	v_and_b32_e32 v162, v162, v163
	v_not_b32_e32 v163, v172
	v_ashrrev_i32_e32 v168, 31, v168
	v_xor_b32_e32 v166, vcc_lo, v166
	v_cmp_gt_i32_e32 vcc_lo, 0, v172
	v_and_b32_e32 v162, v162, v164
	v_not_b32_e32 v164, v167
	v_ashrrev_i32_e32 v163, 31, v163
	v_xor_b32_e32 v168, s17, v168
	v_mul_u32_u24_e32 v37, 9, v37
	v_and_b32_e32 v162, v162, v166
	v_cmp_gt_i32_e64 s17, 0, v167
	v_ashrrev_i32_e32 v164, 31, v164
	v_xor_b32_e32 v163, vcc_lo, v163
	v_add_lshl_u32 v166, v37, v126, 2
	v_and_b32_e32 v162, v162, v168
	s_delay_alu instid0(VALU_DEP_4) | instskip(NEXT) | instid1(VALU_DEP_3)
	v_xor_b32_e32 v37, s17, v164
	v_add_nc_u32_e32 v164, 0x420, v166
	s_delay_alu instid0(VALU_DEP_3) | instskip(SKIP_2) | instid1(VALU_DEP_1)
	v_and_b32_e32 v163, v162, v163
	ds_load_b32 v162, v166 offset:1056
	; wave barrier
	v_and_b32_e32 v37, v163, v37
	v_mbcnt_lo_u32_b32 v163, v37, 0
	v_cmp_ne_u32_e64 s17, 0, v37
	s_delay_alu instid0(VALU_DEP_2) | instskip(NEXT) | instid1(VALU_DEP_2)
	v_cmp_eq_u32_e32 vcc_lo, 0, v163
	s_and_b32 s18, s17, vcc_lo
	s_delay_alu instid0(SALU_CYCLE_1)
	s_and_saveexec_b32 s17, s18
	s_cbranch_execz .LBB1983_446
; %bb.445:                              ;   in Loop: Header=BB1983_400 Depth=2
	s_waitcnt lgkmcnt(0)
	v_bcnt_u32_b32 v37, v37, v162
	ds_store_b32 v164, v37
.LBB1983_446:                           ;   in Loop: Header=BB1983_400 Depth=2
	s_or_b32 exec_lo, exec_lo, s17
	v_cmp_gt_i16_e64 vcc_lo, 0, v161
	; wave barrier
	s_delay_alu instid0(VALU_DEP_1) | instskip(NEXT) | instid1(VALU_DEP_1)
	v_cndmask_b32_e64 v37, 0x7fff, 0, vcc_lo
	v_xor_b32_e32 v161, v37, v161
	s_delay_alu instid0(VALU_DEP_1) | instskip(SKIP_1) | instid1(VALU_DEP_1)
	v_cmp_ne_u16_e64 vcc_lo, 0x8000, v161
	v_cndmask_b32_e32 v37, 0x7fff, v161, vcc_lo
	v_and_b32_e32 v37, 0xffff, v37
	s_delay_alu instid0(VALU_DEP_1) | instskip(NEXT) | instid1(VALU_DEP_1)
	v_lshrrev_b32_e32 v37, s48, v37
	v_and_b32_e32 v37, s55, v37
	s_delay_alu instid0(VALU_DEP_1)
	v_and_b32_e32 v166, 1, v37
	v_lshlrev_b32_e32 v167, 30, v37
	v_lshlrev_b32_e32 v168, 29, v37
	;; [unrolled: 1-line block ×4, first 2 shown]
	v_add_co_u32 v166, s17, v166, -1
	s_delay_alu instid0(VALU_DEP_1)
	v_cndmask_b32_e64 v172, 0, 1, s17
	v_not_b32_e32 v176, v167
	v_cmp_gt_i32_e64 s17, 0, v167
	v_not_b32_e32 v167, v168
	v_lshlrev_b32_e32 v174, 26, v37
	v_cmp_ne_u32_e32 vcc_lo, 0, v172
	v_ashrrev_i32_e32 v176, 31, v176
	v_lshlrev_b32_e32 v175, 25, v37
	v_ashrrev_i32_e32 v167, 31, v167
	v_lshlrev_b32_e32 v172, 24, v37
	v_xor_b32_e32 v166, vcc_lo, v166
	v_cmp_gt_i32_e32 vcc_lo, 0, v168
	v_not_b32_e32 v168, v171
	v_xor_b32_e32 v176, s17, v176
	v_cmp_gt_i32_e64 s17, 0, v171
	v_and_b32_e32 v166, exec_lo, v166
	v_not_b32_e32 v171, v173
	v_ashrrev_i32_e32 v168, 31, v168
	v_xor_b32_e32 v167, vcc_lo, v167
	v_cmp_gt_i32_e32 vcc_lo, 0, v173
	v_and_b32_e32 v166, v166, v176
	v_not_b32_e32 v173, v174
	v_ashrrev_i32_e32 v171, 31, v171
	v_xor_b32_e32 v168, s17, v168
	v_cmp_gt_i32_e64 s17, 0, v174
	v_and_b32_e32 v166, v166, v167
	v_not_b32_e32 v167, v175
	v_ashrrev_i32_e32 v173, 31, v173
	v_xor_b32_e32 v171, vcc_lo, v171
	v_cmp_gt_i32_e32 vcc_lo, 0, v175
	v_and_b32_e32 v166, v166, v168
	v_not_b32_e32 v168, v172
	v_ashrrev_i32_e32 v167, 31, v167
	v_xor_b32_e32 v173, s17, v173
	v_mul_u32_u24_e32 v37, 9, v37
	v_and_b32_e32 v166, v166, v171
	v_cmp_gt_i32_e64 s17, 0, v172
	v_ashrrev_i32_e32 v168, 31, v168
	v_xor_b32_e32 v167, vcc_lo, v167
	v_add_lshl_u32 v171, v37, v126, 2
	v_and_b32_e32 v166, v166, v173
	s_delay_alu instid0(VALU_DEP_4) | instskip(NEXT) | instid1(VALU_DEP_3)
	v_xor_b32_e32 v37, s17, v168
	v_add_nc_u32_e32 v168, 0x420, v171
	s_delay_alu instid0(VALU_DEP_3) | instskip(SKIP_2) | instid1(VALU_DEP_1)
	v_and_b32_e32 v167, v166, v167
	ds_load_b32 v166, v171 offset:1056
	; wave barrier
	v_and_b32_e32 v37, v167, v37
	v_mbcnt_lo_u32_b32 v167, v37, 0
	v_cmp_ne_u32_e64 s17, 0, v37
	s_delay_alu instid0(VALU_DEP_2) | instskip(NEXT) | instid1(VALU_DEP_2)
	v_cmp_eq_u32_e32 vcc_lo, 0, v167
	s_and_b32 s18, s17, vcc_lo
	s_delay_alu instid0(SALU_CYCLE_1)
	s_and_saveexec_b32 s17, s18
	s_cbranch_execz .LBB1983_448
; %bb.447:                              ;   in Loop: Header=BB1983_400 Depth=2
	s_waitcnt lgkmcnt(0)
	v_bcnt_u32_b32 v37, v37, v166
	ds_store_b32 v168, v37
.LBB1983_448:                           ;   in Loop: Header=BB1983_400 Depth=2
	s_or_b32 exec_lo, exec_lo, s17
	v_cmp_gt_i16_e64 vcc_lo, 0, v165
	; wave barrier
	s_delay_alu instid0(VALU_DEP_1) | instskip(NEXT) | instid1(VALU_DEP_1)
	v_cndmask_b32_e64 v37, 0x7fff, 0, vcc_lo
	v_xor_b32_e32 v165, v37, v165
	s_delay_alu instid0(VALU_DEP_1) | instskip(SKIP_1) | instid1(VALU_DEP_1)
	v_cmp_ne_u16_e64 vcc_lo, 0x8000, v165
	v_cndmask_b32_e32 v37, 0x7fff, v165, vcc_lo
	v_and_b32_e32 v37, 0xffff, v37
	s_delay_alu instid0(VALU_DEP_1) | instskip(NEXT) | instid1(VALU_DEP_1)
	v_lshrrev_b32_e32 v37, s48, v37
	v_and_b32_e32 v37, s55, v37
	s_delay_alu instid0(VALU_DEP_1)
	v_and_b32_e32 v171, 1, v37
	v_lshlrev_b32_e32 v172, 30, v37
	v_lshlrev_b32_e32 v173, 29, v37
	;; [unrolled: 1-line block ×4, first 2 shown]
	v_add_co_u32 v171, s17, v171, -1
	s_delay_alu instid0(VALU_DEP_1)
	v_cndmask_b32_e64 v175, 0, 1, s17
	v_not_b32_e32 v179, v172
	v_cmp_gt_i32_e64 s17, 0, v172
	v_not_b32_e32 v172, v173
	v_lshlrev_b32_e32 v177, 26, v37
	v_cmp_ne_u32_e32 vcc_lo, 0, v175
	v_ashrrev_i32_e32 v179, 31, v179
	v_lshlrev_b32_e32 v178, 25, v37
	v_ashrrev_i32_e32 v172, 31, v172
	v_lshlrev_b32_e32 v175, 24, v37
	v_xor_b32_e32 v171, vcc_lo, v171
	v_cmp_gt_i32_e32 vcc_lo, 0, v173
	v_not_b32_e32 v173, v174
	v_xor_b32_e32 v179, s17, v179
	v_cmp_gt_i32_e64 s17, 0, v174
	v_and_b32_e32 v171, exec_lo, v171
	v_not_b32_e32 v174, v176
	v_ashrrev_i32_e32 v173, 31, v173
	v_xor_b32_e32 v172, vcc_lo, v172
	v_cmp_gt_i32_e32 vcc_lo, 0, v176
	v_and_b32_e32 v171, v171, v179
	v_not_b32_e32 v176, v177
	v_ashrrev_i32_e32 v174, 31, v174
	v_xor_b32_e32 v173, s17, v173
	v_cmp_gt_i32_e64 s17, 0, v177
	v_and_b32_e32 v171, v171, v172
	v_not_b32_e32 v172, v178
	v_ashrrev_i32_e32 v176, 31, v176
	v_xor_b32_e32 v174, vcc_lo, v174
	v_cmp_gt_i32_e32 vcc_lo, 0, v178
	v_and_b32_e32 v171, v171, v173
	v_not_b32_e32 v173, v175
	v_ashrrev_i32_e32 v172, 31, v172
	v_xor_b32_e32 v176, s17, v176
	v_mul_u32_u24_e32 v37, 9, v37
	v_and_b32_e32 v171, v171, v174
	v_cmp_gt_i32_e64 s17, 0, v175
	v_ashrrev_i32_e32 v173, 31, v173
	v_xor_b32_e32 v172, vcc_lo, v172
	v_add_lshl_u32 v174, v37, v126, 2
	v_and_b32_e32 v171, v171, v176
	s_delay_alu instid0(VALU_DEP_4) | instskip(NEXT) | instid1(VALU_DEP_3)
	v_xor_b32_e32 v37, s17, v173
	v_add_nc_u32_e32 v173, 0x420, v174
	s_delay_alu instid0(VALU_DEP_3) | instskip(SKIP_2) | instid1(VALU_DEP_1)
	v_and_b32_e32 v172, v171, v172
	ds_load_b32 v171, v174 offset:1056
	; wave barrier
	v_and_b32_e32 v37, v172, v37
	v_mbcnt_lo_u32_b32 v172, v37, 0
	v_cmp_ne_u32_e64 s17, 0, v37
	s_delay_alu instid0(VALU_DEP_2) | instskip(NEXT) | instid1(VALU_DEP_2)
	v_cmp_eq_u32_e32 vcc_lo, 0, v172
	s_and_b32 s18, s17, vcc_lo
	s_delay_alu instid0(SALU_CYCLE_1)
	s_and_saveexec_b32 s17, s18
	s_cbranch_execz .LBB1983_450
; %bb.449:                              ;   in Loop: Header=BB1983_400 Depth=2
	s_waitcnt lgkmcnt(0)
	v_bcnt_u32_b32 v37, v37, v171
	ds_store_b32 v173, v37
.LBB1983_450:                           ;   in Loop: Header=BB1983_400 Depth=2
	s_or_b32 exec_lo, exec_lo, s17
	v_cmp_gt_i16_e64 vcc_lo, 0, v170
	; wave barrier
	s_delay_alu instid0(VALU_DEP_1) | instskip(NEXT) | instid1(VALU_DEP_1)
	v_cndmask_b32_e64 v37, 0x7fff, 0, vcc_lo
	v_xor_b32_e32 v170, v37, v170
	s_delay_alu instid0(VALU_DEP_1) | instskip(SKIP_1) | instid1(VALU_DEP_1)
	v_cmp_ne_u16_e64 vcc_lo, 0x8000, v170
	v_cndmask_b32_e32 v37, 0x7fff, v170, vcc_lo
	v_and_b32_e32 v37, 0xffff, v37
	s_delay_alu instid0(VALU_DEP_1) | instskip(NEXT) | instid1(VALU_DEP_1)
	v_lshrrev_b32_e32 v37, s48, v37
	v_and_b32_e32 v37, s55, v37
	s_delay_alu instid0(VALU_DEP_1)
	v_and_b32_e32 v174, 1, v37
	v_lshlrev_b32_e32 v175, 30, v37
	v_lshlrev_b32_e32 v176, 29, v37
	;; [unrolled: 1-line block ×4, first 2 shown]
	v_add_co_u32 v174, s17, v174, -1
	s_delay_alu instid0(VALU_DEP_1)
	v_cndmask_b32_e64 v178, 0, 1, s17
	v_not_b32_e32 v182, v175
	v_cmp_gt_i32_e64 s17, 0, v175
	v_not_b32_e32 v175, v176
	v_lshlrev_b32_e32 v180, 26, v37
	v_cmp_ne_u32_e32 vcc_lo, 0, v178
	v_ashrrev_i32_e32 v182, 31, v182
	v_lshlrev_b32_e32 v181, 25, v37
	v_ashrrev_i32_e32 v175, 31, v175
	v_lshlrev_b32_e32 v178, 24, v37
	v_xor_b32_e32 v174, vcc_lo, v174
	v_cmp_gt_i32_e32 vcc_lo, 0, v176
	v_not_b32_e32 v176, v177
	v_xor_b32_e32 v182, s17, v182
	v_cmp_gt_i32_e64 s17, 0, v177
	v_and_b32_e32 v174, exec_lo, v174
	v_not_b32_e32 v177, v179
	v_ashrrev_i32_e32 v176, 31, v176
	v_xor_b32_e32 v175, vcc_lo, v175
	v_cmp_gt_i32_e32 vcc_lo, 0, v179
	v_and_b32_e32 v174, v174, v182
	v_not_b32_e32 v179, v180
	v_ashrrev_i32_e32 v177, 31, v177
	v_xor_b32_e32 v176, s17, v176
	v_cmp_gt_i32_e64 s17, 0, v180
	v_and_b32_e32 v174, v174, v175
	v_not_b32_e32 v175, v181
	v_ashrrev_i32_e32 v179, 31, v179
	v_xor_b32_e32 v177, vcc_lo, v177
	v_cmp_gt_i32_e32 vcc_lo, 0, v181
	v_and_b32_e32 v174, v174, v176
	v_not_b32_e32 v176, v178
	v_ashrrev_i32_e32 v175, 31, v175
	v_xor_b32_e32 v179, s17, v179
	v_mul_u32_u24_e32 v37, 9, v37
	v_and_b32_e32 v174, v174, v177
	v_cmp_gt_i32_e64 s17, 0, v178
	v_ashrrev_i32_e32 v176, 31, v176
	v_xor_b32_e32 v175, vcc_lo, v175
	v_add_lshl_u32 v177, v37, v126, 2
	v_and_b32_e32 v174, v174, v179
	s_delay_alu instid0(VALU_DEP_4) | instskip(NEXT) | instid1(VALU_DEP_3)
	v_xor_b32_e32 v37, s17, v176
	v_add_nc_u32_e32 v176, 0x420, v177
	s_delay_alu instid0(VALU_DEP_3) | instskip(SKIP_2) | instid1(VALU_DEP_1)
	v_and_b32_e32 v175, v174, v175
	ds_load_b32 v174, v177 offset:1056
	; wave barrier
	v_and_b32_e32 v37, v175, v37
	v_mbcnt_lo_u32_b32 v175, v37, 0
	v_cmp_ne_u32_e64 s17, 0, v37
	s_delay_alu instid0(VALU_DEP_2) | instskip(NEXT) | instid1(VALU_DEP_2)
	v_cmp_eq_u32_e32 vcc_lo, 0, v175
	s_and_b32 s18, s17, vcc_lo
	s_delay_alu instid0(SALU_CYCLE_1)
	s_and_saveexec_b32 s17, s18
	s_cbranch_execz .LBB1983_452
; %bb.451:                              ;   in Loop: Header=BB1983_400 Depth=2
	s_waitcnt lgkmcnt(0)
	v_bcnt_u32_b32 v37, v37, v174
	ds_store_b32 v176, v37
.LBB1983_452:                           ;   in Loop: Header=BB1983_400 Depth=2
	s_or_b32 exec_lo, exec_lo, s17
	v_cmp_gt_i16_e64 vcc_lo, 0, v169
	; wave barrier
	s_delay_alu instid0(VALU_DEP_1) | instskip(NEXT) | instid1(VALU_DEP_1)
	v_cndmask_b32_e64 v37, 0x7fff, 0, vcc_lo
	v_xor_b32_e32 v169, v37, v169
	s_delay_alu instid0(VALU_DEP_1) | instskip(SKIP_1) | instid1(VALU_DEP_1)
	v_cmp_ne_u16_e64 vcc_lo, 0x8000, v169
	v_cndmask_b32_e32 v37, 0x7fff, v169, vcc_lo
	v_and_b32_e32 v37, 0xffff, v37
	s_delay_alu instid0(VALU_DEP_1) | instskip(NEXT) | instid1(VALU_DEP_1)
	v_lshrrev_b32_e32 v37, s48, v37
	v_and_b32_e32 v37, s55, v37
	s_delay_alu instid0(VALU_DEP_1)
	v_and_b32_e32 v177, 1, v37
	v_lshlrev_b32_e32 v178, 30, v37
	v_lshlrev_b32_e32 v179, 29, v37
	;; [unrolled: 1-line block ×4, first 2 shown]
	v_add_co_u32 v177, s17, v177, -1
	s_delay_alu instid0(VALU_DEP_1)
	v_cndmask_b32_e64 v181, 0, 1, s17
	v_not_b32_e32 v185, v178
	v_cmp_gt_i32_e64 s17, 0, v178
	v_not_b32_e32 v178, v179
	v_lshlrev_b32_e32 v183, 26, v37
	v_cmp_ne_u32_e32 vcc_lo, 0, v181
	v_ashrrev_i32_e32 v185, 31, v185
	v_lshlrev_b32_e32 v184, 25, v37
	v_ashrrev_i32_e32 v178, 31, v178
	v_lshlrev_b32_e32 v181, 24, v37
	v_xor_b32_e32 v177, vcc_lo, v177
	v_cmp_gt_i32_e32 vcc_lo, 0, v179
	v_not_b32_e32 v179, v180
	v_xor_b32_e32 v185, s17, v185
	v_cmp_gt_i32_e64 s17, 0, v180
	v_and_b32_e32 v177, exec_lo, v177
	v_not_b32_e32 v180, v182
	v_ashrrev_i32_e32 v179, 31, v179
	v_xor_b32_e32 v178, vcc_lo, v178
	v_cmp_gt_i32_e32 vcc_lo, 0, v182
	v_and_b32_e32 v177, v177, v185
	v_not_b32_e32 v182, v183
	v_ashrrev_i32_e32 v180, 31, v180
	v_xor_b32_e32 v179, s17, v179
	v_cmp_gt_i32_e64 s17, 0, v183
	v_and_b32_e32 v177, v177, v178
	v_not_b32_e32 v178, v184
	v_ashrrev_i32_e32 v182, 31, v182
	v_xor_b32_e32 v180, vcc_lo, v180
	v_cmp_gt_i32_e32 vcc_lo, 0, v184
	v_and_b32_e32 v177, v177, v179
	v_not_b32_e32 v179, v181
	v_ashrrev_i32_e32 v178, 31, v178
	v_xor_b32_e32 v182, s17, v182
	v_mul_u32_u24_e32 v37, 9, v37
	v_and_b32_e32 v177, v177, v180
	v_cmp_gt_i32_e64 s17, 0, v181
	v_ashrrev_i32_e32 v179, 31, v179
	v_xor_b32_e32 v178, vcc_lo, v178
	v_add_lshl_u32 v180, v37, v126, 2
	v_and_b32_e32 v177, v177, v182
	s_delay_alu instid0(VALU_DEP_4) | instskip(NEXT) | instid1(VALU_DEP_2)
	v_xor_b32_e32 v37, s17, v179
	v_and_b32_e32 v177, v177, v178
	ds_load_b32 v178, v180 offset:1056
	v_add_nc_u32_e32 v180, 0x420, v180
	; wave barrier
	v_and_b32_e32 v37, v177, v37
	s_delay_alu instid0(VALU_DEP_1) | instskip(SKIP_1) | instid1(VALU_DEP_2)
	v_mbcnt_lo_u32_b32 v179, v37, 0
	v_cmp_ne_u32_e64 s17, 0, v37
	v_cmp_eq_u32_e32 vcc_lo, 0, v179
	s_delay_alu instid0(VALU_DEP_2) | instskip(NEXT) | instid1(SALU_CYCLE_1)
	s_and_b32 s18, s17, vcc_lo
	s_and_saveexec_b32 s17, s18
	s_cbranch_execz .LBB1983_454
; %bb.453:                              ;   in Loop: Header=BB1983_400 Depth=2
	s_waitcnt lgkmcnt(0)
	v_bcnt_u32_b32 v37, v37, v178
	ds_store_b32 v180, v37
.LBB1983_454:                           ;   in Loop: Header=BB1983_400 Depth=2
	s_or_b32 exec_lo, exec_lo, s17
	v_cmp_gt_i16_e32 vcc_lo, 0, v43
	; wave barrier
	v_cndmask_b32_e64 v37, 0x7fff, 0, vcc_lo
	s_delay_alu instid0(VALU_DEP_1) | instskip(NEXT) | instid1(VALU_DEP_1)
	v_xor_b32_e32 v177, v37, v43
	v_cmp_ne_u16_e64 vcc_lo, 0x8000, v177
	v_cndmask_b32_e32 v37, 0x7fff, v177, vcc_lo
	s_delay_alu instid0(VALU_DEP_1) | instskip(NEXT) | instid1(VALU_DEP_1)
	v_and_b32_e32 v37, 0xffff, v37
	v_lshrrev_b32_e32 v37, s48, v37
	s_delay_alu instid0(VALU_DEP_1) | instskip(NEXT) | instid1(VALU_DEP_1)
	v_and_b32_e32 v37, s55, v37
	v_and_b32_e32 v43, 1, v37
	v_lshlrev_b32_e32 v181, 30, v37
	v_lshlrev_b32_e32 v182, 29, v37
	;; [unrolled: 1-line block ×4, first 2 shown]
	v_add_co_u32 v43, s17, v43, -1
	s_delay_alu instid0(VALU_DEP_1)
	v_cndmask_b32_e64 v184, 0, 1, s17
	v_not_b32_e32 v188, v181
	v_cmp_gt_i32_e64 s17, 0, v181
	v_not_b32_e32 v181, v182
	v_lshlrev_b32_e32 v186, 26, v37
	v_cmp_ne_u32_e32 vcc_lo, 0, v184
	v_ashrrev_i32_e32 v188, 31, v188
	v_lshlrev_b32_e32 v187, 25, v37
	v_ashrrev_i32_e32 v181, 31, v181
	v_lshlrev_b32_e32 v184, 24, v37
	v_xor_b32_e32 v43, vcc_lo, v43
	v_cmp_gt_i32_e32 vcc_lo, 0, v182
	v_not_b32_e32 v182, v183
	v_xor_b32_e32 v188, s17, v188
	v_cmp_gt_i32_e64 s17, 0, v183
	v_and_b32_e32 v43, exec_lo, v43
	v_not_b32_e32 v183, v185
	v_ashrrev_i32_e32 v182, 31, v182
	v_xor_b32_e32 v181, vcc_lo, v181
	v_cmp_gt_i32_e32 vcc_lo, 0, v185
	v_and_b32_e32 v43, v43, v188
	v_not_b32_e32 v185, v186
	v_ashrrev_i32_e32 v183, 31, v183
	v_xor_b32_e32 v182, s17, v182
	v_cmp_gt_i32_e64 s17, 0, v186
	v_and_b32_e32 v43, v43, v181
	v_not_b32_e32 v181, v187
	v_ashrrev_i32_e32 v185, 31, v185
	v_xor_b32_e32 v183, vcc_lo, v183
	v_cmp_gt_i32_e32 vcc_lo, 0, v187
	v_and_b32_e32 v43, v43, v182
	v_not_b32_e32 v182, v184
	v_ashrrev_i32_e32 v181, 31, v181
	v_xor_b32_e32 v185, s17, v185
	v_mul_u32_u24_e32 v37, 9, v37
	v_and_b32_e32 v43, v43, v183
	v_cmp_gt_i32_e64 s17, 0, v184
	v_ashrrev_i32_e32 v182, 31, v182
	v_xor_b32_e32 v181, vcc_lo, v181
	v_add_lshl_u32 v184, v37, v126, 2
	v_and_b32_e32 v43, v43, v185
	s_delay_alu instid0(VALU_DEP_4) | instskip(SKIP_3) | instid1(VALU_DEP_2)
	v_xor_b32_e32 v37, s17, v182
	ds_load_b32 v182, v184 offset:1056
	v_and_b32_e32 v43, v43, v181
	v_add_nc_u32_e32 v184, 0x420, v184
	; wave barrier
	v_and_b32_e32 v37, v43, v37
	s_delay_alu instid0(VALU_DEP_1) | instskip(SKIP_1) | instid1(VALU_DEP_2)
	v_mbcnt_lo_u32_b32 v183, v37, 0
	v_cmp_ne_u32_e64 s17, 0, v37
	v_cmp_eq_u32_e32 vcc_lo, 0, v183
	s_delay_alu instid0(VALU_DEP_2) | instskip(NEXT) | instid1(SALU_CYCLE_1)
	s_and_b32 s18, s17, vcc_lo
	s_and_saveexec_b32 s17, s18
	s_cbranch_execz .LBB1983_456
; %bb.455:                              ;   in Loop: Header=BB1983_400 Depth=2
	s_waitcnt lgkmcnt(0)
	v_bcnt_u32_b32 v37, v37, v182
	ds_store_b32 v184, v37
.LBB1983_456:                           ;   in Loop: Header=BB1983_400 Depth=2
	s_or_b32 exec_lo, exec_lo, s17
	v_cmp_gt_i16_e32 vcc_lo, 0, v42
	; wave barrier
	v_cndmask_b32_e64 v37, 0x7fff, 0, vcc_lo
	s_delay_alu instid0(VALU_DEP_1) | instskip(NEXT) | instid1(VALU_DEP_1)
	v_xor_b32_e32 v181, v37, v42
	v_cmp_ne_u16_e64 vcc_lo, 0x8000, v181
	v_cndmask_b32_e32 v37, 0x7fff, v181, vcc_lo
	s_delay_alu instid0(VALU_DEP_1) | instskip(NEXT) | instid1(VALU_DEP_1)
	v_and_b32_e32 v37, 0xffff, v37
	v_lshrrev_b32_e32 v37, s48, v37
	s_delay_alu instid0(VALU_DEP_1) | instskip(NEXT) | instid1(VALU_DEP_1)
	v_and_b32_e32 v37, s55, v37
	v_and_b32_e32 v42, 1, v37
	v_lshlrev_b32_e32 v43, 30, v37
	v_lshlrev_b32_e32 v185, 29, v37
	;; [unrolled: 1-line block ×4, first 2 shown]
	v_add_co_u32 v42, s17, v42, -1
	s_delay_alu instid0(VALU_DEP_1)
	v_cndmask_b32_e64 v187, 0, 1, s17
	v_not_b32_e32 v191, v43
	v_cmp_gt_i32_e64 s17, 0, v43
	v_not_b32_e32 v43, v185
	v_lshlrev_b32_e32 v189, 26, v37
	v_cmp_ne_u32_e32 vcc_lo, 0, v187
	v_ashrrev_i32_e32 v191, 31, v191
	v_lshlrev_b32_e32 v190, 25, v37
	v_ashrrev_i32_e32 v43, 31, v43
	v_lshlrev_b32_e32 v187, 24, v37
	v_xor_b32_e32 v42, vcc_lo, v42
	v_cmp_gt_i32_e32 vcc_lo, 0, v185
	v_not_b32_e32 v185, v186
	v_xor_b32_e32 v191, s17, v191
	v_cmp_gt_i32_e64 s17, 0, v186
	v_and_b32_e32 v42, exec_lo, v42
	v_not_b32_e32 v186, v188
	v_ashrrev_i32_e32 v185, 31, v185
	v_xor_b32_e32 v43, vcc_lo, v43
	v_cmp_gt_i32_e32 vcc_lo, 0, v188
	v_and_b32_e32 v42, v42, v191
	v_not_b32_e32 v188, v189
	v_ashrrev_i32_e32 v186, 31, v186
	v_xor_b32_e32 v185, s17, v185
	v_cmp_gt_i32_e64 s17, 0, v189
	v_and_b32_e32 v42, v42, v43
	v_not_b32_e32 v43, v190
	v_ashrrev_i32_e32 v188, 31, v188
	v_xor_b32_e32 v186, vcc_lo, v186
	v_cmp_gt_i32_e32 vcc_lo, 0, v190
	v_and_b32_e32 v42, v42, v185
	v_not_b32_e32 v185, v187
	v_ashrrev_i32_e32 v43, 31, v43
	v_xor_b32_e32 v188, s17, v188
	v_mul_u32_u24_e32 v37, 9, v37
	v_and_b32_e32 v42, v42, v186
	v_cmp_gt_i32_e64 s17, 0, v187
	v_ashrrev_i32_e32 v185, 31, v185
	v_xor_b32_e32 v43, vcc_lo, v43
	s_delay_alu instid0(VALU_DEP_4) | instskip(SKIP_1) | instid1(VALU_DEP_4)
	v_and_b32_e32 v42, v42, v188
	v_add_lshl_u32 v188, v37, v126, 2
	v_xor_b32_e32 v37, s17, v185
	s_delay_alu instid0(VALU_DEP_3) | instskip(SKIP_3) | instid1(VALU_DEP_1)
	v_and_b32_e32 v42, v42, v43
	ds_load_b32 v186, v188 offset:1056
	v_add_nc_u32_e32 v188, 0x420, v188
	; wave barrier
	v_and_b32_e32 v37, v42, v37
	v_mbcnt_lo_u32_b32 v187, v37, 0
	v_cmp_ne_u32_e64 s17, 0, v37
	s_delay_alu instid0(VALU_DEP_2) | instskip(NEXT) | instid1(VALU_DEP_2)
	v_cmp_eq_u32_e32 vcc_lo, 0, v187
	s_and_b32 s18, s17, vcc_lo
	s_delay_alu instid0(SALU_CYCLE_1)
	s_and_saveexec_b32 s17, s18
	s_cbranch_execz .LBB1983_458
; %bb.457:                              ;   in Loop: Header=BB1983_400 Depth=2
	s_waitcnt lgkmcnt(0)
	v_bcnt_u32_b32 v37, v37, v186
	ds_store_b32 v188, v37
.LBB1983_458:                           ;   in Loop: Header=BB1983_400 Depth=2
	s_or_b32 exec_lo, exec_lo, s17
	v_cmp_gt_i16_e32 vcc_lo, 0, v41
	; wave barrier
	v_cndmask_b32_e64 v37, 0x7fff, 0, vcc_lo
	s_delay_alu instid0(VALU_DEP_1) | instskip(NEXT) | instid1(VALU_DEP_1)
	v_xor_b32_e32 v185, v37, v41
	v_cmp_ne_u16_e64 vcc_lo, 0x8000, v185
	v_cndmask_b32_e32 v37, 0x7fff, v185, vcc_lo
	s_delay_alu instid0(VALU_DEP_1) | instskip(NEXT) | instid1(VALU_DEP_1)
	v_and_b32_e32 v37, 0xffff, v37
	v_lshrrev_b32_e32 v37, s48, v37
	s_delay_alu instid0(VALU_DEP_1) | instskip(NEXT) | instid1(VALU_DEP_1)
	v_and_b32_e32 v37, s55, v37
	v_and_b32_e32 v41, 1, v37
	v_lshlrev_b32_e32 v42, 30, v37
	v_lshlrev_b32_e32 v43, 29, v37
	;; [unrolled: 1-line block ×4, first 2 shown]
	v_add_co_u32 v41, s17, v41, -1
	s_delay_alu instid0(VALU_DEP_1)
	v_cndmask_b32_e64 v190, 0, 1, s17
	v_not_b32_e32 v194, v42
	v_cmp_gt_i32_e64 s17, 0, v42
	v_not_b32_e32 v42, v43
	v_lshlrev_b32_e32 v192, 26, v37
	v_cmp_ne_u32_e32 vcc_lo, 0, v190
	v_ashrrev_i32_e32 v194, 31, v194
	v_lshlrev_b32_e32 v193, 25, v37
	v_ashrrev_i32_e32 v42, 31, v42
	v_lshlrev_b32_e32 v190, 24, v37
	v_xor_b32_e32 v41, vcc_lo, v41
	v_cmp_gt_i32_e32 vcc_lo, 0, v43
	v_not_b32_e32 v43, v189
	v_xor_b32_e32 v194, s17, v194
	v_cmp_gt_i32_e64 s17, 0, v189
	v_and_b32_e32 v41, exec_lo, v41
	v_not_b32_e32 v189, v191
	v_ashrrev_i32_e32 v43, 31, v43
	v_xor_b32_e32 v42, vcc_lo, v42
	v_cmp_gt_i32_e32 vcc_lo, 0, v191
	v_and_b32_e32 v41, v41, v194
	v_not_b32_e32 v191, v192
	v_ashrrev_i32_e32 v189, 31, v189
	v_xor_b32_e32 v43, s17, v43
	v_cmp_gt_i32_e64 s17, 0, v192
	v_and_b32_e32 v41, v41, v42
	v_not_b32_e32 v42, v193
	v_ashrrev_i32_e32 v191, 31, v191
	v_xor_b32_e32 v189, vcc_lo, v189
	v_cmp_gt_i32_e32 vcc_lo, 0, v193
	v_and_b32_e32 v41, v41, v43
	v_not_b32_e32 v43, v190
	v_ashrrev_i32_e32 v42, 31, v42
	v_xor_b32_e32 v191, s17, v191
	v_mul_u32_u24_e32 v37, 9, v37
	v_and_b32_e32 v41, v41, v189
	v_cmp_gt_i32_e64 s17, 0, v190
	v_ashrrev_i32_e32 v43, 31, v43
	v_xor_b32_e32 v42, vcc_lo, v42
	v_add_lshl_u32 v189, v37, v126, 2
	v_and_b32_e32 v41, v41, v191
	s_delay_alu instid0(VALU_DEP_4) | instskip(SKIP_3) | instid1(VALU_DEP_2)
	v_xor_b32_e32 v37, s17, v43
	ds_load_b32 v190, v189 offset:1056
	v_and_b32_e32 v41, v41, v42
	v_add_nc_u32_e32 v192, 0x420, v189
	; wave barrier
	v_and_b32_e32 v37, v41, v37
	s_delay_alu instid0(VALU_DEP_1) | instskip(SKIP_1) | instid1(VALU_DEP_2)
	v_mbcnt_lo_u32_b32 v191, v37, 0
	v_cmp_ne_u32_e64 s17, 0, v37
	v_cmp_eq_u32_e32 vcc_lo, 0, v191
	s_delay_alu instid0(VALU_DEP_2) | instskip(NEXT) | instid1(SALU_CYCLE_1)
	s_and_b32 s18, s17, vcc_lo
	s_and_saveexec_b32 s17, s18
	s_cbranch_execz .LBB1983_460
; %bb.459:                              ;   in Loop: Header=BB1983_400 Depth=2
	s_waitcnt lgkmcnt(0)
	v_bcnt_u32_b32 v37, v37, v190
	ds_store_b32 v192, v37
.LBB1983_460:                           ;   in Loop: Header=BB1983_400 Depth=2
	s_or_b32 exec_lo, exec_lo, s17
	v_cmp_gt_i16_e32 vcc_lo, 0, v40
	; wave barrier
	v_cndmask_b32_e64 v37, 0x7fff, 0, vcc_lo
	s_delay_alu instid0(VALU_DEP_1) | instskip(NEXT) | instid1(VALU_DEP_1)
	v_xor_b32_e32 v189, v37, v40
	v_cmp_ne_u16_e64 vcc_lo, 0x8000, v189
	v_cndmask_b32_e32 v37, 0x7fff, v189, vcc_lo
	s_delay_alu instid0(VALU_DEP_1) | instskip(NEXT) | instid1(VALU_DEP_1)
	v_and_b32_e32 v37, 0xffff, v37
	v_lshrrev_b32_e32 v37, s48, v37
	s_delay_alu instid0(VALU_DEP_1) | instskip(NEXT) | instid1(VALU_DEP_1)
	v_and_b32_e32 v37, s55, v37
	v_and_b32_e32 v40, 1, v37
	v_lshlrev_b32_e32 v41, 30, v37
	v_lshlrev_b32_e32 v42, 29, v37
	;; [unrolled: 1-line block ×4, first 2 shown]
	v_add_co_u32 v40, s17, v40, -1
	s_delay_alu instid0(VALU_DEP_1)
	v_cndmask_b32_e64 v193, 0, 1, s17
	v_not_b32_e32 v197, v41
	v_cmp_gt_i32_e64 s17, 0, v41
	v_not_b32_e32 v41, v42
	v_lshlrev_b32_e32 v195, 26, v37
	v_cmp_ne_u32_e32 vcc_lo, 0, v193
	v_ashrrev_i32_e32 v197, 31, v197
	v_lshlrev_b32_e32 v196, 25, v37
	v_ashrrev_i32_e32 v41, 31, v41
	v_lshlrev_b32_e32 v193, 24, v37
	v_xor_b32_e32 v40, vcc_lo, v40
	v_cmp_gt_i32_e32 vcc_lo, 0, v42
	v_not_b32_e32 v42, v43
	v_xor_b32_e32 v197, s17, v197
	v_cmp_gt_i32_e64 s17, 0, v43
	v_and_b32_e32 v40, exec_lo, v40
	v_not_b32_e32 v43, v194
	v_ashrrev_i32_e32 v42, 31, v42
	v_xor_b32_e32 v41, vcc_lo, v41
	v_cmp_gt_i32_e32 vcc_lo, 0, v194
	v_and_b32_e32 v40, v40, v197
	v_not_b32_e32 v194, v195
	v_ashrrev_i32_e32 v43, 31, v43
	v_xor_b32_e32 v42, s17, v42
	v_cmp_gt_i32_e64 s17, 0, v195
	v_and_b32_e32 v40, v40, v41
	v_not_b32_e32 v41, v196
	v_ashrrev_i32_e32 v194, 31, v194
	v_xor_b32_e32 v43, vcc_lo, v43
	v_cmp_gt_i32_e32 vcc_lo, 0, v196
	v_and_b32_e32 v40, v40, v42
	v_not_b32_e32 v42, v193
	v_ashrrev_i32_e32 v41, 31, v41
	v_xor_b32_e32 v194, s17, v194
	v_mul_u32_u24_e32 v37, 9, v37
	v_and_b32_e32 v40, v40, v43
	v_cmp_gt_i32_e64 s17, 0, v193
	v_ashrrev_i32_e32 v42, 31, v42
	v_xor_b32_e32 v41, vcc_lo, v41
	v_add_lshl_u32 v43, v37, v126, 2
	v_and_b32_e32 v40, v40, v194
	s_delay_alu instid0(VALU_DEP_4) | instskip(SKIP_3) | instid1(VALU_DEP_2)
	v_xor_b32_e32 v37, s17, v42
	ds_load_b32 v194, v43 offset:1056
	v_and_b32_e32 v40, v40, v41
	v_add_nc_u32_e32 v196, 0x420, v43
	; wave barrier
	v_and_b32_e32 v37, v40, v37
	s_delay_alu instid0(VALU_DEP_1) | instskip(SKIP_1) | instid1(VALU_DEP_2)
	v_mbcnt_lo_u32_b32 v195, v37, 0
	v_cmp_ne_u32_e64 s17, 0, v37
	v_cmp_eq_u32_e32 vcc_lo, 0, v195
	s_delay_alu instid0(VALU_DEP_2) | instskip(NEXT) | instid1(SALU_CYCLE_1)
	s_and_b32 s18, s17, vcc_lo
	s_and_saveexec_b32 s17, s18
	s_cbranch_execz .LBB1983_462
; %bb.461:                              ;   in Loop: Header=BB1983_400 Depth=2
	s_waitcnt lgkmcnt(0)
	v_bcnt_u32_b32 v37, v37, v194
	ds_store_b32 v196, v37
.LBB1983_462:                           ;   in Loop: Header=BB1983_400 Depth=2
	s_or_b32 exec_lo, exec_lo, s17
	v_cmp_gt_i16_e32 vcc_lo, 0, v39
	; wave barrier
	v_cndmask_b32_e64 v37, 0x7fff, 0, vcc_lo
	s_delay_alu instid0(VALU_DEP_1) | instskip(NEXT) | instid1(VALU_DEP_1)
	v_xor_b32_e32 v193, v37, v39
	v_cmp_ne_u16_e64 vcc_lo, 0x8000, v193
	v_cndmask_b32_e32 v37, 0x7fff, v193, vcc_lo
	s_delay_alu instid0(VALU_DEP_1) | instskip(NEXT) | instid1(VALU_DEP_1)
	v_and_b32_e32 v37, 0xffff, v37
	v_lshrrev_b32_e32 v37, s48, v37
	s_delay_alu instid0(VALU_DEP_1) | instskip(NEXT) | instid1(VALU_DEP_1)
	v_and_b32_e32 v37, s55, v37
	v_and_b32_e32 v39, 1, v37
	v_lshlrev_b32_e32 v40, 30, v37
	v_lshlrev_b32_e32 v41, 29, v37
	;; [unrolled: 1-line block ×4, first 2 shown]
	v_add_co_u32 v39, s17, v39, -1
	s_delay_alu instid0(VALU_DEP_1)
	v_cndmask_b32_e64 v43, 0, 1, s17
	v_not_b32_e32 v200, v40
	v_cmp_gt_i32_e64 s17, 0, v40
	v_not_b32_e32 v40, v41
	v_lshlrev_b32_e32 v198, 26, v37
	v_cmp_ne_u32_e32 vcc_lo, 0, v43
	v_ashrrev_i32_e32 v200, 31, v200
	v_lshlrev_b32_e32 v199, 25, v37
	v_ashrrev_i32_e32 v40, 31, v40
	v_lshlrev_b32_e32 v43, 24, v37
	v_xor_b32_e32 v39, vcc_lo, v39
	v_cmp_gt_i32_e32 vcc_lo, 0, v41
	v_not_b32_e32 v41, v42
	v_xor_b32_e32 v200, s17, v200
	v_cmp_gt_i32_e64 s17, 0, v42
	v_and_b32_e32 v39, exec_lo, v39
	v_not_b32_e32 v42, v197
	v_ashrrev_i32_e32 v41, 31, v41
	v_xor_b32_e32 v40, vcc_lo, v40
	v_cmp_gt_i32_e32 vcc_lo, 0, v197
	v_and_b32_e32 v39, v39, v200
	v_not_b32_e32 v197, v198
	v_ashrrev_i32_e32 v42, 31, v42
	v_xor_b32_e32 v41, s17, v41
	v_cmp_gt_i32_e64 s17, 0, v198
	v_and_b32_e32 v39, v39, v40
	v_not_b32_e32 v40, v199
	v_ashrrev_i32_e32 v197, 31, v197
	v_xor_b32_e32 v42, vcc_lo, v42
	v_cmp_gt_i32_e32 vcc_lo, 0, v199
	v_and_b32_e32 v39, v39, v41
	v_not_b32_e32 v41, v43
	v_ashrrev_i32_e32 v40, 31, v40
	v_xor_b32_e32 v197, s17, v197
	v_mul_u32_u24_e32 v37, 9, v37
	v_and_b32_e32 v39, v39, v42
	v_cmp_gt_i32_e64 s17, 0, v43
	v_ashrrev_i32_e32 v41, 31, v41
	v_xor_b32_e32 v40, vcc_lo, v40
	v_add_lshl_u32 v42, v37, v126, 2
	v_and_b32_e32 v39, v39, v197
	s_delay_alu instid0(VALU_DEP_4) | instskip(SKIP_3) | instid1(VALU_DEP_2)
	v_xor_b32_e32 v37, s17, v41
	ds_load_b32 v198, v42 offset:1056
	v_and_b32_e32 v39, v39, v40
	v_add_nc_u32_e32 v200, 0x420, v42
	; wave barrier
	v_and_b32_e32 v37, v39, v37
	s_delay_alu instid0(VALU_DEP_1) | instskip(SKIP_1) | instid1(VALU_DEP_2)
	v_mbcnt_lo_u32_b32 v199, v37, 0
	v_cmp_ne_u32_e64 s17, 0, v37
	v_cmp_eq_u32_e32 vcc_lo, 0, v199
	s_delay_alu instid0(VALU_DEP_2) | instskip(NEXT) | instid1(SALU_CYCLE_1)
	s_and_b32 s18, s17, vcc_lo
	s_and_saveexec_b32 s17, s18
	s_cbranch_execz .LBB1983_464
; %bb.463:                              ;   in Loop: Header=BB1983_400 Depth=2
	s_waitcnt lgkmcnt(0)
	v_bcnt_u32_b32 v37, v37, v198
	ds_store_b32 v200, v37
.LBB1983_464:                           ;   in Loop: Header=BB1983_400 Depth=2
	s_or_b32 exec_lo, exec_lo, s17
	v_cmp_gt_i16_e32 vcc_lo, 0, v38
	; wave barrier
	v_cndmask_b32_e64 v37, 0x7fff, 0, vcc_lo
	s_delay_alu instid0(VALU_DEP_1) | instskip(NEXT) | instid1(VALU_DEP_1)
	v_xor_b32_e32 v197, v37, v38
	v_cmp_ne_u16_e64 vcc_lo, 0x8000, v197
	v_cndmask_b32_e32 v37, 0x7fff, v197, vcc_lo
	s_delay_alu instid0(VALU_DEP_1) | instskip(NEXT) | instid1(VALU_DEP_1)
	v_and_b32_e32 v37, 0xffff, v37
	v_lshrrev_b32_e32 v37, s48, v37
	s_delay_alu instid0(VALU_DEP_1) | instskip(NEXT) | instid1(VALU_DEP_1)
	v_and_b32_e32 v37, s55, v37
	v_and_b32_e32 v38, 1, v37
	v_lshlrev_b32_e32 v39, 30, v37
	v_lshlrev_b32_e32 v40, 29, v37
	;; [unrolled: 1-line block ×4, first 2 shown]
	v_add_co_u32 v38, s17, v38, -1
	s_delay_alu instid0(VALU_DEP_1)
	v_cndmask_b32_e64 v42, 0, 1, s17
	v_not_b32_e32 v203, v39
	v_cmp_gt_i32_e64 s17, 0, v39
	v_not_b32_e32 v39, v40
	v_lshlrev_b32_e32 v201, 26, v37
	v_cmp_ne_u32_e32 vcc_lo, 0, v42
	v_ashrrev_i32_e32 v203, 31, v203
	v_lshlrev_b32_e32 v202, 25, v37
	v_ashrrev_i32_e32 v39, 31, v39
	v_lshlrev_b32_e32 v42, 24, v37
	v_xor_b32_e32 v38, vcc_lo, v38
	v_cmp_gt_i32_e32 vcc_lo, 0, v40
	v_not_b32_e32 v40, v41
	v_xor_b32_e32 v203, s17, v203
	v_cmp_gt_i32_e64 s17, 0, v41
	v_and_b32_e32 v38, exec_lo, v38
	v_not_b32_e32 v41, v43
	v_ashrrev_i32_e32 v40, 31, v40
	v_xor_b32_e32 v39, vcc_lo, v39
	v_cmp_gt_i32_e32 vcc_lo, 0, v43
	v_and_b32_e32 v38, v38, v203
	v_not_b32_e32 v43, v201
	v_ashrrev_i32_e32 v41, 31, v41
	v_xor_b32_e32 v40, s17, v40
	v_cmp_gt_i32_e64 s17, 0, v201
	v_and_b32_e32 v38, v38, v39
	v_not_b32_e32 v39, v202
	v_ashrrev_i32_e32 v43, 31, v43
	v_xor_b32_e32 v41, vcc_lo, v41
	v_cmp_gt_i32_e32 vcc_lo, 0, v202
	v_and_b32_e32 v38, v38, v40
	v_not_b32_e32 v40, v42
	v_ashrrev_i32_e32 v39, 31, v39
	v_xor_b32_e32 v43, s17, v43
	v_mul_u32_u24_e32 v37, 9, v37
	v_and_b32_e32 v38, v38, v41
	v_cmp_gt_i32_e64 s17, 0, v42
	v_ashrrev_i32_e32 v40, 31, v40
	v_xor_b32_e32 v39, vcc_lo, v39
	v_add_lshl_u32 v41, v37, v126, 2
	v_and_b32_e32 v38, v38, v43
	s_delay_alu instid0(VALU_DEP_4) | instskip(SKIP_3) | instid1(VALU_DEP_2)
	v_xor_b32_e32 v37, s17, v40
	ds_load_b32 v202, v41 offset:1056
	v_and_b32_e32 v38, v38, v39
	v_add_nc_u32_e32 v204, 0x420, v41
	; wave barrier
	v_and_b32_e32 v37, v38, v37
	s_delay_alu instid0(VALU_DEP_1) | instskip(SKIP_1) | instid1(VALU_DEP_2)
	v_mbcnt_lo_u32_b32 v203, v37, 0
	v_cmp_ne_u32_e64 s17, 0, v37
	v_cmp_eq_u32_e32 vcc_lo, 0, v203
	s_delay_alu instid0(VALU_DEP_2) | instskip(NEXT) | instid1(SALU_CYCLE_1)
	s_and_b32 s18, s17, vcc_lo
	s_and_saveexec_b32 s17, s18
	s_cbranch_execz .LBB1983_466
; %bb.465:                              ;   in Loop: Header=BB1983_400 Depth=2
	s_waitcnt lgkmcnt(0)
	v_bcnt_u32_b32 v37, v37, v202
	ds_store_b32 v204, v37
.LBB1983_466:                           ;   in Loop: Header=BB1983_400 Depth=2
	s_or_b32 exec_lo, exec_lo, s17
	v_cmp_gt_i16_e32 vcc_lo, 0, v36
	; wave barrier
	v_cndmask_b32_e64 v37, 0x7fff, 0, vcc_lo
	s_delay_alu instid0(VALU_DEP_1) | instskip(NEXT) | instid1(VALU_DEP_1)
	v_xor_b32_e32 v201, v37, v36
	v_cmp_ne_u16_e64 vcc_lo, 0x8000, v201
	v_cndmask_b32_e32 v36, 0x7fff, v201, vcc_lo
	s_delay_alu instid0(VALU_DEP_1) | instskip(NEXT) | instid1(VALU_DEP_1)
	v_and_b32_e32 v36, 0xffff, v36
	v_lshrrev_b32_e32 v36, s48, v36
	s_delay_alu instid0(VALU_DEP_1) | instskip(NEXT) | instid1(VALU_DEP_1)
	v_and_b32_e32 v36, s55, v36
	v_and_b32_e32 v37, 1, v36
	v_lshlrev_b32_e32 v38, 30, v36
	v_lshlrev_b32_e32 v39, 29, v36
	;; [unrolled: 1-line block ×4, first 2 shown]
	v_add_co_u32 v37, s17, v37, -1
	s_delay_alu instid0(VALU_DEP_1)
	v_cndmask_b32_e64 v41, 0, 1, s17
	v_not_b32_e32 v206, v38
	v_cmp_gt_i32_e64 s17, 0, v38
	v_not_b32_e32 v38, v39
	v_lshlrev_b32_e32 v43, 26, v36
	v_cmp_ne_u32_e32 vcc_lo, 0, v41
	v_ashrrev_i32_e32 v206, 31, v206
	v_lshlrev_b32_e32 v205, 25, v36
	v_ashrrev_i32_e32 v38, 31, v38
	v_lshlrev_b32_e32 v41, 24, v36
	v_xor_b32_e32 v37, vcc_lo, v37
	v_cmp_gt_i32_e32 vcc_lo, 0, v39
	v_not_b32_e32 v39, v40
	v_xor_b32_e32 v206, s17, v206
	v_cmp_gt_i32_e64 s17, 0, v40
	v_and_b32_e32 v37, exec_lo, v37
	v_not_b32_e32 v40, v42
	v_ashrrev_i32_e32 v39, 31, v39
	v_xor_b32_e32 v38, vcc_lo, v38
	v_cmp_gt_i32_e32 vcc_lo, 0, v42
	v_and_b32_e32 v37, v37, v206
	v_not_b32_e32 v42, v43
	v_ashrrev_i32_e32 v40, 31, v40
	v_xor_b32_e32 v39, s17, v39
	v_cmp_gt_i32_e64 s17, 0, v43
	v_and_b32_e32 v37, v37, v38
	v_not_b32_e32 v38, v205
	v_ashrrev_i32_e32 v42, 31, v42
	v_xor_b32_e32 v40, vcc_lo, v40
	v_cmp_gt_i32_e32 vcc_lo, 0, v205
	v_and_b32_e32 v37, v37, v39
	v_not_b32_e32 v39, v41
	v_ashrrev_i32_e32 v38, 31, v38
	v_xor_b32_e32 v42, s17, v42
	v_mul_u32_u24_e32 v36, 9, v36
	v_and_b32_e32 v37, v37, v40
	v_cmp_gt_i32_e64 s17, 0, v41
	v_ashrrev_i32_e32 v39, 31, v39
	v_xor_b32_e32 v38, vcc_lo, v38
	v_add_lshl_u32 v40, v36, v126, 2
	v_and_b32_e32 v37, v37, v42
	s_delay_alu instid0(VALU_DEP_4) | instskip(SKIP_3) | instid1(VALU_DEP_2)
	v_xor_b32_e32 v36, s17, v39
	ds_load_b32 v205, v40 offset:1056
	v_and_b32_e32 v37, v37, v38
	v_add_nc_u32_e32 v207, 0x420, v40
	; wave barrier
	v_and_b32_e32 v36, v37, v36
	s_delay_alu instid0(VALU_DEP_1) | instskip(SKIP_1) | instid1(VALU_DEP_2)
	v_mbcnt_lo_u32_b32 v206, v36, 0
	v_cmp_ne_u32_e64 s17, 0, v36
	v_cmp_eq_u32_e32 vcc_lo, 0, v206
	s_delay_alu instid0(VALU_DEP_2) | instskip(NEXT) | instid1(SALU_CYCLE_1)
	s_and_b32 s18, s17, vcc_lo
	s_and_saveexec_b32 s17, s18
	s_cbranch_execz .LBB1983_468
; %bb.467:                              ;   in Loop: Header=BB1983_400 Depth=2
	s_waitcnt lgkmcnt(0)
	v_bcnt_u32_b32 v36, v36, v205
	ds_store_b32 v207, v36
.LBB1983_468:                           ;   in Loop: Header=BB1983_400 Depth=2
	s_or_b32 exec_lo, exec_lo, s17
	; wave barrier
	s_waitcnt lgkmcnt(0)
	s_barrier
	buffer_gl0_inv
	ds_load_b32 v208, v69 offset:1056
	ds_load_2addr_b32 v[42:43], v71 offset0:1 offset1:2
	ds_load_2addr_b32 v[40:41], v71 offset0:3 offset1:4
	;; [unrolled: 1-line block ×4, first 2 shown]
	s_waitcnt lgkmcnt(3)
	v_add3_u32 v209, v42, v208, v43
	s_waitcnt lgkmcnt(2)
	s_delay_alu instid0(VALU_DEP_1) | instskip(SKIP_1) | instid1(VALU_DEP_1)
	v_add3_u32 v209, v209, v40, v41
	s_waitcnt lgkmcnt(1)
	v_add3_u32 v209, v209, v36, v37
	s_waitcnt lgkmcnt(0)
	s_delay_alu instid0(VALU_DEP_1) | instskip(NEXT) | instid1(VALU_DEP_1)
	v_add3_u32 v39, v209, v38, v39
	v_mov_b32_dpp v209, v39 row_shr:1 row_mask:0xf bank_mask:0xf
	s_delay_alu instid0(VALU_DEP_1) | instskip(NEXT) | instid1(VALU_DEP_1)
	v_cndmask_b32_e64 v209, v209, 0, s0
	v_add_nc_u32_e32 v39, v209, v39
	s_delay_alu instid0(VALU_DEP_1) | instskip(NEXT) | instid1(VALU_DEP_1)
	v_mov_b32_dpp v209, v39 row_shr:2 row_mask:0xf bank_mask:0xf
	v_cndmask_b32_e64 v209, 0, v209, s1
	s_delay_alu instid0(VALU_DEP_1) | instskip(NEXT) | instid1(VALU_DEP_1)
	v_add_nc_u32_e32 v39, v39, v209
	v_mov_b32_dpp v209, v39 row_shr:4 row_mask:0xf bank_mask:0xf
	s_delay_alu instid0(VALU_DEP_1) | instskip(NEXT) | instid1(VALU_DEP_1)
	v_cndmask_b32_e64 v209, 0, v209, s8
	v_add_nc_u32_e32 v39, v39, v209
	s_delay_alu instid0(VALU_DEP_1) | instskip(NEXT) | instid1(VALU_DEP_1)
	v_mov_b32_dpp v209, v39 row_shr:8 row_mask:0xf bank_mask:0xf
	v_cndmask_b32_e64 v209, 0, v209, s9
	s_delay_alu instid0(VALU_DEP_1) | instskip(SKIP_3) | instid1(VALU_DEP_1)
	v_add_nc_u32_e32 v39, v39, v209
	ds_swizzle_b32 v209, v39 offset:swizzle(BROADCAST,32,15)
	s_waitcnt lgkmcnt(0)
	v_cndmask_b32_e64 v209, v209, 0, s10
	v_add_nc_u32_e32 v39, v39, v209
	s_and_saveexec_b32 s17, s3
	s_cbranch_execz .LBB1983_470
; %bb.469:                              ;   in Loop: Header=BB1983_400 Depth=2
	ds_store_b32 v62, v39 offset:1024
.LBB1983_470:                           ;   in Loop: Header=BB1983_400 Depth=2
	s_or_b32 exec_lo, exec_lo, s17
	s_waitcnt lgkmcnt(0)
	s_barrier
	buffer_gl0_inv
	s_and_saveexec_b32 s17, s4
	s_cbranch_execz .LBB1983_472
; %bb.471:                              ;   in Loop: Header=BB1983_400 Depth=2
	ds_load_b32 v209, v72 offset:1024
	s_waitcnt lgkmcnt(0)
	v_mov_b32_dpp v210, v209 row_shr:1 row_mask:0xf bank_mask:0xf
	s_delay_alu instid0(VALU_DEP_1) | instskip(NEXT) | instid1(VALU_DEP_1)
	v_cndmask_b32_e64 v210, v210, 0, s12
	v_add_nc_u32_e32 v209, v210, v209
	s_delay_alu instid0(VALU_DEP_1) | instskip(NEXT) | instid1(VALU_DEP_1)
	v_mov_b32_dpp v210, v209 row_shr:2 row_mask:0xf bank_mask:0xf
	v_cndmask_b32_e64 v210, 0, v210, s13
	s_delay_alu instid0(VALU_DEP_1) | instskip(NEXT) | instid1(VALU_DEP_1)
	v_add_nc_u32_e32 v209, v209, v210
	v_mov_b32_dpp v210, v209 row_shr:4 row_mask:0xf bank_mask:0xf
	s_delay_alu instid0(VALU_DEP_1) | instskip(NEXT) | instid1(VALU_DEP_1)
	v_cndmask_b32_e64 v210, 0, v210, s16
	v_add_nc_u32_e32 v209, v209, v210
	ds_store_b32 v72, v209 offset:1024
.LBB1983_472:                           ;   in Loop: Header=BB1983_400 Depth=2
	s_or_b32 exec_lo, exec_lo, s17
	v_mov_b32_e32 v209, 0
	s_waitcnt lgkmcnt(0)
	s_barrier
	buffer_gl0_inv
	s_and_saveexec_b32 s17, s5
	s_cbranch_execz .LBB1983_474
; %bb.473:                              ;   in Loop: Header=BB1983_400 Depth=2
	ds_load_b32 v209, v62 offset:1020
.LBB1983_474:                           ;   in Loop: Header=BB1983_400 Depth=2
	s_or_b32 exec_lo, exec_lo, s17
	s_waitcnt lgkmcnt(0)
	v_add_nc_u32_e32 v39, v209, v39
	ds_bpermute_b32 v39, v105, v39
	s_waitcnt lgkmcnt(0)
	v_cndmask_b32_e64 v39, v39, v209, s11
	s_delay_alu instid0(VALU_DEP_1) | instskip(NEXT) | instid1(VALU_DEP_1)
	v_cndmask_b32_e64 v39, v39, 0, s6
	v_add_nc_u32_e32 v208, v39, v208
	s_delay_alu instid0(VALU_DEP_1) | instskip(NEXT) | instid1(VALU_DEP_1)
	v_add_nc_u32_e32 v42, v208, v42
	v_add_nc_u32_e32 v43, v42, v43
	s_delay_alu instid0(VALU_DEP_1) | instskip(NEXT) | instid1(VALU_DEP_1)
	v_add_nc_u32_e32 v40, v43, v40
	;; [unrolled: 3-line block ×3, first 2 shown]
	v_add_nc_u32_e32 v37, v36, v37
	s_delay_alu instid0(VALU_DEP_1)
	v_add_nc_u32_e32 v38, v37, v38
	ds_store_b32 v69, v39 offset:1056
	ds_store_2addr_b32 v71, v208, v42 offset0:1 offset1:2
	ds_store_2addr_b32 v71, v43, v40 offset0:3 offset1:4
	;; [unrolled: 1-line block ×4, first 2 shown]
	v_mov_b32_e32 v38, 0x1000
	s_waitcnt lgkmcnt(0)
	s_barrier
	buffer_gl0_inv
	ds_load_b32 v39, v152
	ds_load_b32 v40, v156
	ds_load_b32 v42, v160
	ds_load_b32 v43, v164
	ds_load_b32 v152, v168
	ds_load_b32 v173, v173
	ds_load_b32 v176, v176
	ds_load_b32 v180, v180
	ds_load_b32 v184, v184
	ds_load_b32 v188, v188
	ds_load_b32 v192, v192
	ds_load_b32 v196, v196
	ds_load_b32 v36, v200
	ds_load_b32 v37, v204
	ds_load_b32 v41, v207
	ds_load_b32 v148, v148
	ds_load_b32 v156, v69 offset:1056
	s_and_saveexec_b32 s17, s7
	s_cbranch_execz .LBB1983_476
; %bb.475:                              ;   in Loop: Header=BB1983_400 Depth=2
	ds_load_b32 v38, v73 offset:1056
.LBB1983_476:                           ;   in Loop: Header=BB1983_400 Depth=2
	s_or_b32 exec_lo, exec_lo, s17
	s_waitcnt lgkmcnt(0)
	s_barrier
	buffer_gl0_inv
	s_and_saveexec_b32 s17, s2
	s_cbranch_execz .LBB1983_478
; %bb.477:                              ;   in Loop: Header=BB1983_400 Depth=2
	ds_load_b32 v160, v44
	s_waitcnt lgkmcnt(0)
	v_sub_nc_u32_e32 v156, v160, v156
	ds_store_b32 v44, v156
.LBB1983_478:                           ;   in Loop: Header=BB1983_400 Depth=2
	s_or_b32 exec_lo, exec_lo, s17
	v_add_nc_u32_e32 v168, v148, v147
	v_add3_u32 v164, v151, v150, v39
	v_add3_u32 v160, v155, v154, v40
	;; [unrolled: 1-line block ×5, first 2 shown]
	v_lshlrev_b32_e32 v158, 1, v168
	v_add3_u32 v43, v199, v198, v36
	v_lshlrev_b32_e32 v36, 1, v164
	v_add3_u32 v152, v172, v171, v173
	v_add3_u32 v151, v175, v174, v176
	ds_store_b16 v158, v2 offset:1024
	v_lshlrev_b32_e32 v2, 1, v160
	ds_store_b16 v36, v146 offset:1024
	v_lshlrev_b32_e32 v36, 1, v154
	v_add3_u32 v150, v179, v178, v180
	v_add3_u32 v42, v203, v202, v37
	v_lshlrev_b32_e32 v37, 1, v156
	v_add3_u32 v148, v183, v182, v184
	v_lshlrev_b32_e32 v158, 1, v155
	v_add3_u32 v147, v187, v186, v188
	v_add3_u32 v40, v191, v190, v192
	ds_store_b16 v2, v149 offset:1024
	ds_store_b16 v37, v153 offset:1024
	;; [unrolled: 1-line block ×3, first 2 shown]
	v_lshlrev_b32_e32 v2, 1, v152
	ds_store_b16 v36, v161 offset:1024
	v_lshlrev_b32_e32 v36, 1, v151
	v_lshlrev_b32_e32 v37, 1, v150
	;; [unrolled: 1-line block ×3, first 2 shown]
	v_add3_u32 v39, v195, v194, v196
	v_add3_u32 v41, v206, v205, v41
	ds_store_b16 v2, v165 offset:1024
	v_lshlrev_b32_e32 v2, 1, v147
	ds_store_b16 v36, v170 offset:1024
	ds_store_b16 v37, v169 offset:1024
	;; [unrolled: 1-line block ×3, first 2 shown]
	v_lshlrev_b32_e32 v36, 1, v40
	v_cmp_lt_u32_e32 vcc_lo, v1, v145
	v_lshlrev_b32_e32 v37, 1, v43
	ds_store_b16 v2, v181 offset:1024
	v_lshlrev_b32_e32 v2, 1, v39
	ds_store_b16 v36, v185 offset:1024
	v_lshlrev_b32_e32 v36, 1, v41
	v_lshlrev_b32_e32 v146, 1, v42
	ds_store_b16 v2, v189 offset:1024
	ds_store_b16 v37, v193 offset:1024
	;; [unrolled: 1-line block ×4, first 2 shown]
	s_waitcnt lgkmcnt(0)
	s_barrier
	buffer_gl0_inv
	s_and_saveexec_b32 s18, vcc_lo
	s_cbranch_execz .LBB1983_494
; %bb.479:                              ;   in Loop: Header=BB1983_400 Depth=2
	v_add_nc_u32_e32 v2, v72, v78
	ds_load_u16 v146, v2 offset:1024
	s_waitcnt lgkmcnt(0)
	v_cmp_ne_u16_e64 s17, 0x8000, v146
	s_delay_alu instid0(VALU_DEP_1) | instskip(SKIP_1) | instid1(VALU_DEP_2)
	v_cndmask_b32_e64 v2, 0x7fff, v146, s17
	v_cmp_gt_i16_e64 s17, 0, v146
	v_and_b32_e32 v2, 0xffff, v2
	s_delay_alu instid0(VALU_DEP_2) | instskip(NEXT) | instid1(VALU_DEP_2)
	v_cndmask_b32_e64 v149, 0x7fff, 0, s17
	v_lshrrev_b32_e32 v2, s48, v2
	s_delay_alu instid0(VALU_DEP_1) | instskip(NEXT) | instid1(VALU_DEP_1)
	v_and_b32_e32 v2, s55, v2
	v_lshlrev_b32_e32 v2, 2, v2
	ds_load_b32 v2, v2
	s_waitcnt lgkmcnt(0)
	v_add_nc_u32_e32 v2, v2, v1
	s_delay_alu instid0(VALU_DEP_1) | instskip(SKIP_1) | instid1(VALU_DEP_2)
	v_lshlrev_b64 v[36:37], 1, v[2:3]
	v_xor_b32_e32 v2, v149, v146
	v_add_co_u32 v36, s17, s40, v36
	s_delay_alu instid0(VALU_DEP_1) | instskip(SKIP_3) | instid1(VALU_DEP_1)
	v_add_co_ci_u32_e64 v37, s17, s41, v37, s17
	global_store_b16 v[36:37], v2, off
	s_or_b32 exec_lo, exec_lo, s18
	v_cmp_lt_u32_e64 s17, v45, v145
	s_and_saveexec_b32 s19, s17
	s_cbranch_execnz .LBB1983_495
.LBB1983_480:                           ;   in Loop: Header=BB1983_400 Depth=2
	s_or_b32 exec_lo, exec_lo, s19
	v_cmp_lt_u32_e64 s18, v46, v145
	s_delay_alu instid0(VALU_DEP_1)
	s_and_saveexec_b32 s20, s18
	s_cbranch_execz .LBB1983_496
.LBB1983_481:                           ;   in Loop: Header=BB1983_400 Depth=2
	ds_load_u16 v146, v79 offset:1024
	s_waitcnt lgkmcnt(0)
	v_cmp_ne_u16_e64 s19, 0x8000, v146
	s_delay_alu instid0(VALU_DEP_1) | instskip(SKIP_1) | instid1(VALU_DEP_2)
	v_cndmask_b32_e64 v2, 0x7fff, v146, s19
	v_cmp_gt_i16_e64 s19, 0, v146
	v_and_b32_e32 v2, 0xffff, v2
	s_delay_alu instid0(VALU_DEP_2) | instskip(NEXT) | instid1(VALU_DEP_2)
	v_cndmask_b32_e64 v149, 0x7fff, 0, s19
	v_lshrrev_b32_e32 v2, s48, v2
	s_delay_alu instid0(VALU_DEP_1) | instskip(NEXT) | instid1(VALU_DEP_1)
	v_and_b32_e32 v2, s55, v2
	v_lshlrev_b32_e32 v2, 2, v2
	ds_load_b32 v2, v2
	s_waitcnt lgkmcnt(0)
	v_add_nc_u32_e32 v2, v2, v46
	s_delay_alu instid0(VALU_DEP_1) | instskip(SKIP_1) | instid1(VALU_DEP_2)
	v_lshlrev_b64 v[36:37], 1, v[2:3]
	v_xor_b32_e32 v2, v149, v146
	v_add_co_u32 v36, s19, s40, v36
	s_delay_alu instid0(VALU_DEP_1) | instskip(SKIP_3) | instid1(VALU_DEP_1)
	v_add_co_ci_u32_e64 v37, s19, s41, v37, s19
	global_store_b16 v[36:37], v2, off
	s_or_b32 exec_lo, exec_lo, s20
	v_cmp_lt_u32_e64 s19, v47, v145
	s_and_saveexec_b32 s21, s19
	s_cbranch_execnz .LBB1983_497
.LBB1983_482:                           ;   in Loop: Header=BB1983_400 Depth=2
	s_or_b32 exec_lo, exec_lo, s21
	v_cmp_lt_u32_e64 s20, v51, v145
	s_delay_alu instid0(VALU_DEP_1)
	s_and_saveexec_b32 s22, s20
	s_cbranch_execz .LBB1983_498
.LBB1983_483:                           ;   in Loop: Header=BB1983_400 Depth=2
	ds_load_u16 v146, v79 offset:2048
	s_waitcnt lgkmcnt(0)
	v_cmp_ne_u16_e64 s21, 0x8000, v146
	s_delay_alu instid0(VALU_DEP_1) | instskip(SKIP_1) | instid1(VALU_DEP_2)
	v_cndmask_b32_e64 v2, 0x7fff, v146, s21
	v_cmp_gt_i16_e64 s21, 0, v146
	v_and_b32_e32 v2, 0xffff, v2
	s_delay_alu instid0(VALU_DEP_2) | instskip(NEXT) | instid1(VALU_DEP_2)
	v_cndmask_b32_e64 v149, 0x7fff, 0, s21
	v_lshrrev_b32_e32 v2, s48, v2
	s_delay_alu instid0(VALU_DEP_1) | instskip(NEXT) | instid1(VALU_DEP_1)
	v_and_b32_e32 v2, s55, v2
	v_lshlrev_b32_e32 v2, 2, v2
	ds_load_b32 v2, v2
	s_waitcnt lgkmcnt(0)
	v_add_nc_u32_e32 v2, v2, v51
	s_delay_alu instid0(VALU_DEP_1) | instskip(SKIP_1) | instid1(VALU_DEP_2)
	v_lshlrev_b64 v[36:37], 1, v[2:3]
	v_xor_b32_e32 v2, v149, v146
	v_add_co_u32 v36, s21, s40, v36
	s_delay_alu instid0(VALU_DEP_1) | instskip(SKIP_3) | instid1(VALU_DEP_1)
	v_add_co_ci_u32_e64 v37, s21, s41, v37, s21
	global_store_b16 v[36:37], v2, off
	s_or_b32 exec_lo, exec_lo, s22
	v_cmp_lt_u32_e64 s21, v52, v145
	s_and_saveexec_b32 s23, s21
	s_cbranch_execnz .LBB1983_499
.LBB1983_484:                           ;   in Loop: Header=BB1983_400 Depth=2
	s_or_b32 exec_lo, exec_lo, s23
	v_cmp_lt_u32_e64 s22, v53, v145
	s_delay_alu instid0(VALU_DEP_1)
	s_and_saveexec_b32 s24, s22
	s_cbranch_execz .LBB1983_500
.LBB1983_485:                           ;   in Loop: Header=BB1983_400 Depth=2
	ds_load_u16 v146, v79 offset:3072
	s_waitcnt lgkmcnt(0)
	v_cmp_ne_u16_e64 s23, 0x8000, v146
	s_delay_alu instid0(VALU_DEP_1) | instskip(SKIP_1) | instid1(VALU_DEP_2)
	v_cndmask_b32_e64 v2, 0x7fff, v146, s23
	v_cmp_gt_i16_e64 s23, 0, v146
	v_and_b32_e32 v2, 0xffff, v2
	s_delay_alu instid0(VALU_DEP_2) | instskip(NEXT) | instid1(VALU_DEP_2)
	v_cndmask_b32_e64 v149, 0x7fff, 0, s23
	v_lshrrev_b32_e32 v2, s48, v2
	s_delay_alu instid0(VALU_DEP_1) | instskip(NEXT) | instid1(VALU_DEP_1)
	v_and_b32_e32 v2, s55, v2
	v_lshlrev_b32_e32 v2, 2, v2
	ds_load_b32 v2, v2
	s_waitcnt lgkmcnt(0)
	v_add_nc_u32_e32 v2, v2, v53
	s_delay_alu instid0(VALU_DEP_1) | instskip(SKIP_1) | instid1(VALU_DEP_2)
	v_lshlrev_b64 v[36:37], 1, v[2:3]
	v_xor_b32_e32 v2, v149, v146
	v_add_co_u32 v36, s23, s40, v36
	s_delay_alu instid0(VALU_DEP_1) | instskip(SKIP_3) | instid1(VALU_DEP_1)
	v_add_co_ci_u32_e64 v37, s23, s41, v37, s23
	global_store_b16 v[36:37], v2, off
	s_or_b32 exec_lo, exec_lo, s24
	v_cmp_lt_u32_e64 s23, v54, v145
	s_and_saveexec_b32 s25, s23
	s_cbranch_execnz .LBB1983_501
.LBB1983_486:                           ;   in Loop: Header=BB1983_400 Depth=2
	s_or_b32 exec_lo, exec_lo, s25
	v_cmp_lt_u32_e64 s24, v55, v145
	s_delay_alu instid0(VALU_DEP_1)
	s_and_saveexec_b32 s26, s24
	s_cbranch_execz .LBB1983_502
.LBB1983_487:                           ;   in Loop: Header=BB1983_400 Depth=2
	ds_load_u16 v146, v79 offset:4096
	s_waitcnt lgkmcnt(0)
	v_cmp_ne_u16_e64 s25, 0x8000, v146
	s_delay_alu instid0(VALU_DEP_1) | instskip(SKIP_1) | instid1(VALU_DEP_2)
	v_cndmask_b32_e64 v2, 0x7fff, v146, s25
	v_cmp_gt_i16_e64 s25, 0, v146
	v_and_b32_e32 v2, 0xffff, v2
	s_delay_alu instid0(VALU_DEP_2) | instskip(NEXT) | instid1(VALU_DEP_2)
	v_cndmask_b32_e64 v149, 0x7fff, 0, s25
	v_lshrrev_b32_e32 v2, s48, v2
	s_delay_alu instid0(VALU_DEP_1) | instskip(NEXT) | instid1(VALU_DEP_1)
	v_and_b32_e32 v2, s55, v2
	v_lshlrev_b32_e32 v2, 2, v2
	ds_load_b32 v2, v2
	s_waitcnt lgkmcnt(0)
	v_add_nc_u32_e32 v2, v2, v55
	s_delay_alu instid0(VALU_DEP_1) | instskip(SKIP_1) | instid1(VALU_DEP_2)
	v_lshlrev_b64 v[36:37], 1, v[2:3]
	v_xor_b32_e32 v2, v149, v146
	v_add_co_u32 v36, s25, s40, v36
	s_delay_alu instid0(VALU_DEP_1) | instskip(SKIP_3) | instid1(VALU_DEP_1)
	v_add_co_ci_u32_e64 v37, s25, s41, v37, s25
	global_store_b16 v[36:37], v2, off
	s_or_b32 exec_lo, exec_lo, s26
	v_cmp_lt_u32_e64 s25, v56, v145
	s_and_saveexec_b32 s27, s25
	s_cbranch_execnz .LBB1983_503
.LBB1983_488:                           ;   in Loop: Header=BB1983_400 Depth=2
	s_or_b32 exec_lo, exec_lo, s27
	v_cmp_lt_u32_e64 s26, v57, v145
	s_delay_alu instid0(VALU_DEP_1)
	s_and_saveexec_b32 s28, s26
	s_cbranch_execz .LBB1983_504
.LBB1983_489:                           ;   in Loop: Header=BB1983_400 Depth=2
	ds_load_u16 v146, v79 offset:5120
	s_waitcnt lgkmcnt(0)
	v_cmp_ne_u16_e64 s27, 0x8000, v146
	s_delay_alu instid0(VALU_DEP_1) | instskip(SKIP_1) | instid1(VALU_DEP_2)
	v_cndmask_b32_e64 v2, 0x7fff, v146, s27
	v_cmp_gt_i16_e64 s27, 0, v146
	v_and_b32_e32 v2, 0xffff, v2
	s_delay_alu instid0(VALU_DEP_2) | instskip(NEXT) | instid1(VALU_DEP_2)
	v_cndmask_b32_e64 v149, 0x7fff, 0, s27
	v_lshrrev_b32_e32 v2, s48, v2
	s_delay_alu instid0(VALU_DEP_1) | instskip(NEXT) | instid1(VALU_DEP_1)
	v_and_b32_e32 v2, s55, v2
	v_lshlrev_b32_e32 v2, 2, v2
	ds_load_b32 v2, v2
	s_waitcnt lgkmcnt(0)
	v_add_nc_u32_e32 v2, v2, v57
	s_delay_alu instid0(VALU_DEP_1) | instskip(SKIP_1) | instid1(VALU_DEP_2)
	v_lshlrev_b64 v[36:37], 1, v[2:3]
	v_xor_b32_e32 v2, v149, v146
	v_add_co_u32 v36, s27, s40, v36
	s_delay_alu instid0(VALU_DEP_1) | instskip(SKIP_3) | instid1(VALU_DEP_1)
	v_add_co_ci_u32_e64 v37, s27, s41, v37, s27
	global_store_b16 v[36:37], v2, off
	s_or_b32 exec_lo, exec_lo, s28
	v_cmp_lt_u32_e64 s27, v58, v145
	s_and_saveexec_b32 s29, s27
	s_cbranch_execnz .LBB1983_505
.LBB1983_490:                           ;   in Loop: Header=BB1983_400 Depth=2
	s_or_b32 exec_lo, exec_lo, s29
	v_cmp_lt_u32_e64 s28, v59, v145
	s_delay_alu instid0(VALU_DEP_1)
	s_and_saveexec_b32 s30, s28
	s_cbranch_execz .LBB1983_506
.LBB1983_491:                           ;   in Loop: Header=BB1983_400 Depth=2
	ds_load_u16 v146, v79 offset:6144
	s_waitcnt lgkmcnt(0)
	v_cmp_ne_u16_e64 s29, 0x8000, v146
	s_delay_alu instid0(VALU_DEP_1) | instskip(SKIP_1) | instid1(VALU_DEP_2)
	v_cndmask_b32_e64 v2, 0x7fff, v146, s29
	v_cmp_gt_i16_e64 s29, 0, v146
	v_and_b32_e32 v2, 0xffff, v2
	s_delay_alu instid0(VALU_DEP_2) | instskip(NEXT) | instid1(VALU_DEP_2)
	v_cndmask_b32_e64 v149, 0x7fff, 0, s29
	v_lshrrev_b32_e32 v2, s48, v2
	s_delay_alu instid0(VALU_DEP_1) | instskip(NEXT) | instid1(VALU_DEP_1)
	v_and_b32_e32 v2, s55, v2
	v_lshlrev_b32_e32 v2, 2, v2
	ds_load_b32 v2, v2
	s_waitcnt lgkmcnt(0)
	v_add_nc_u32_e32 v2, v2, v59
	s_delay_alu instid0(VALU_DEP_1) | instskip(SKIP_1) | instid1(VALU_DEP_2)
	v_lshlrev_b64 v[36:37], 1, v[2:3]
	v_xor_b32_e32 v2, v149, v146
	v_add_co_u32 v36, s29, s40, v36
	s_delay_alu instid0(VALU_DEP_1) | instskip(SKIP_3) | instid1(VALU_DEP_1)
	v_add_co_ci_u32_e64 v37, s29, s41, v37, s29
	global_store_b16 v[36:37], v2, off
	s_or_b32 exec_lo, exec_lo, s30
	v_cmp_lt_u32_e64 s29, v60, v145
	s_and_saveexec_b32 s31, s29
	s_cbranch_execnz .LBB1983_507
.LBB1983_492:                           ;   in Loop: Header=BB1983_400 Depth=2
	s_or_b32 exec_lo, exec_lo, s31
	v_cmp_lt_u32_e64 s30, v61, v145
	s_delay_alu instid0(VALU_DEP_1)
	s_and_saveexec_b32 s33, s30
	s_cbranch_execz .LBB1983_508
.LBB1983_493:                           ;   in Loop: Header=BB1983_400 Depth=2
	ds_load_u16 v146, v79 offset:7168
	s_waitcnt lgkmcnt(0)
	v_cmp_ne_u16_e64 s31, 0x8000, v146
	s_delay_alu instid0(VALU_DEP_1) | instskip(SKIP_1) | instid1(VALU_DEP_2)
	v_cndmask_b32_e64 v2, 0x7fff, v146, s31
	v_cmp_gt_i16_e64 s31, 0, v146
	v_and_b32_e32 v2, 0xffff, v2
	s_delay_alu instid0(VALU_DEP_2) | instskip(NEXT) | instid1(VALU_DEP_2)
	v_cndmask_b32_e64 v149, 0x7fff, 0, s31
	v_lshrrev_b32_e32 v2, s48, v2
	s_delay_alu instid0(VALU_DEP_1) | instskip(NEXT) | instid1(VALU_DEP_1)
	v_and_b32_e32 v2, s55, v2
	v_lshlrev_b32_e32 v2, 2, v2
	ds_load_b32 v2, v2
	s_waitcnt lgkmcnt(0)
	v_add_nc_u32_e32 v2, v2, v61
	s_delay_alu instid0(VALU_DEP_1) | instskip(SKIP_1) | instid1(VALU_DEP_2)
	v_lshlrev_b64 v[36:37], 1, v[2:3]
	v_xor_b32_e32 v2, v149, v146
	v_add_co_u32 v36, s31, s40, v36
	s_delay_alu instid0(VALU_DEP_1) | instskip(SKIP_3) | instid1(VALU_DEP_1)
	v_add_co_ci_u32_e64 v37, s31, s41, v37, s31
	global_store_b16 v[36:37], v2, off
	s_or_b32 exec_lo, exec_lo, s33
	v_cmp_lt_u32_e64 s31, v63, v145
	s_and_saveexec_b32 s58, s31
	s_cbranch_execnz .LBB1983_509
	s_branch .LBB1983_510
.LBB1983_494:                           ;   in Loop: Header=BB1983_400 Depth=2
	s_or_b32 exec_lo, exec_lo, s18
	v_cmp_lt_u32_e64 s17, v45, v145
	s_delay_alu instid0(VALU_DEP_1)
	s_and_saveexec_b32 s19, s17
	s_cbranch_execz .LBB1983_480
.LBB1983_495:                           ;   in Loop: Header=BB1983_400 Depth=2
	ds_load_u16 v146, v79 offset:512
	s_waitcnt lgkmcnt(0)
	v_cmp_ne_u16_e64 s18, 0x8000, v146
	s_delay_alu instid0(VALU_DEP_1) | instskip(SKIP_1) | instid1(VALU_DEP_2)
	v_cndmask_b32_e64 v2, 0x7fff, v146, s18
	v_cmp_gt_i16_e64 s18, 0, v146
	v_and_b32_e32 v2, 0xffff, v2
	s_delay_alu instid0(VALU_DEP_2) | instskip(NEXT) | instid1(VALU_DEP_2)
	v_cndmask_b32_e64 v149, 0x7fff, 0, s18
	v_lshrrev_b32_e32 v2, s48, v2
	s_delay_alu instid0(VALU_DEP_1) | instskip(NEXT) | instid1(VALU_DEP_1)
	v_and_b32_e32 v2, s55, v2
	v_lshlrev_b32_e32 v2, 2, v2
	ds_load_b32 v2, v2
	s_waitcnt lgkmcnt(0)
	v_add_nc_u32_e32 v2, v2, v45
	s_delay_alu instid0(VALU_DEP_1) | instskip(SKIP_1) | instid1(VALU_DEP_2)
	v_lshlrev_b64 v[36:37], 1, v[2:3]
	v_xor_b32_e32 v2, v149, v146
	v_add_co_u32 v36, s18, s40, v36
	s_delay_alu instid0(VALU_DEP_1) | instskip(SKIP_3) | instid1(VALU_DEP_1)
	v_add_co_ci_u32_e64 v37, s18, s41, v37, s18
	global_store_b16 v[36:37], v2, off
	s_or_b32 exec_lo, exec_lo, s19
	v_cmp_lt_u32_e64 s18, v46, v145
	s_and_saveexec_b32 s20, s18
	s_cbranch_execnz .LBB1983_481
.LBB1983_496:                           ;   in Loop: Header=BB1983_400 Depth=2
	s_or_b32 exec_lo, exec_lo, s20
	v_cmp_lt_u32_e64 s19, v47, v145
	s_delay_alu instid0(VALU_DEP_1)
	s_and_saveexec_b32 s21, s19
	s_cbranch_execz .LBB1983_482
.LBB1983_497:                           ;   in Loop: Header=BB1983_400 Depth=2
	ds_load_u16 v146, v79 offset:1536
	s_waitcnt lgkmcnt(0)
	v_cmp_ne_u16_e64 s20, 0x8000, v146
	s_delay_alu instid0(VALU_DEP_1) | instskip(SKIP_1) | instid1(VALU_DEP_2)
	v_cndmask_b32_e64 v2, 0x7fff, v146, s20
	v_cmp_gt_i16_e64 s20, 0, v146
	v_and_b32_e32 v2, 0xffff, v2
	s_delay_alu instid0(VALU_DEP_2) | instskip(NEXT) | instid1(VALU_DEP_2)
	v_cndmask_b32_e64 v149, 0x7fff, 0, s20
	v_lshrrev_b32_e32 v2, s48, v2
	s_delay_alu instid0(VALU_DEP_1) | instskip(NEXT) | instid1(VALU_DEP_1)
	v_and_b32_e32 v2, s55, v2
	v_lshlrev_b32_e32 v2, 2, v2
	ds_load_b32 v2, v2
	s_waitcnt lgkmcnt(0)
	v_add_nc_u32_e32 v2, v2, v47
	s_delay_alu instid0(VALU_DEP_1) | instskip(SKIP_1) | instid1(VALU_DEP_2)
	v_lshlrev_b64 v[36:37], 1, v[2:3]
	v_xor_b32_e32 v2, v149, v146
	v_add_co_u32 v36, s20, s40, v36
	s_delay_alu instid0(VALU_DEP_1) | instskip(SKIP_3) | instid1(VALU_DEP_1)
	v_add_co_ci_u32_e64 v37, s20, s41, v37, s20
	global_store_b16 v[36:37], v2, off
	s_or_b32 exec_lo, exec_lo, s21
	v_cmp_lt_u32_e64 s20, v51, v145
	s_and_saveexec_b32 s22, s20
	s_cbranch_execnz .LBB1983_483
.LBB1983_498:                           ;   in Loop: Header=BB1983_400 Depth=2
	s_or_b32 exec_lo, exec_lo, s22
	v_cmp_lt_u32_e64 s21, v52, v145
	s_delay_alu instid0(VALU_DEP_1)
	s_and_saveexec_b32 s23, s21
	s_cbranch_execz .LBB1983_484
.LBB1983_499:                           ;   in Loop: Header=BB1983_400 Depth=2
	ds_load_u16 v146, v79 offset:2560
	s_waitcnt lgkmcnt(0)
	v_cmp_ne_u16_e64 s22, 0x8000, v146
	s_delay_alu instid0(VALU_DEP_1) | instskip(SKIP_1) | instid1(VALU_DEP_2)
	v_cndmask_b32_e64 v2, 0x7fff, v146, s22
	v_cmp_gt_i16_e64 s22, 0, v146
	v_and_b32_e32 v2, 0xffff, v2
	s_delay_alu instid0(VALU_DEP_2) | instskip(NEXT) | instid1(VALU_DEP_2)
	v_cndmask_b32_e64 v149, 0x7fff, 0, s22
	v_lshrrev_b32_e32 v2, s48, v2
	s_delay_alu instid0(VALU_DEP_1) | instskip(NEXT) | instid1(VALU_DEP_1)
	v_and_b32_e32 v2, s55, v2
	v_lshlrev_b32_e32 v2, 2, v2
	ds_load_b32 v2, v2
	s_waitcnt lgkmcnt(0)
	v_add_nc_u32_e32 v2, v2, v52
	s_delay_alu instid0(VALU_DEP_1) | instskip(SKIP_1) | instid1(VALU_DEP_2)
	v_lshlrev_b64 v[36:37], 1, v[2:3]
	v_xor_b32_e32 v2, v149, v146
	v_add_co_u32 v36, s22, s40, v36
	s_delay_alu instid0(VALU_DEP_1) | instskip(SKIP_3) | instid1(VALU_DEP_1)
	v_add_co_ci_u32_e64 v37, s22, s41, v37, s22
	global_store_b16 v[36:37], v2, off
	s_or_b32 exec_lo, exec_lo, s23
	v_cmp_lt_u32_e64 s22, v53, v145
	s_and_saveexec_b32 s24, s22
	s_cbranch_execnz .LBB1983_485
.LBB1983_500:                           ;   in Loop: Header=BB1983_400 Depth=2
	s_or_b32 exec_lo, exec_lo, s24
	v_cmp_lt_u32_e64 s23, v54, v145
	s_delay_alu instid0(VALU_DEP_1)
	s_and_saveexec_b32 s25, s23
	s_cbranch_execz .LBB1983_486
.LBB1983_501:                           ;   in Loop: Header=BB1983_400 Depth=2
	ds_load_u16 v146, v79 offset:3584
	s_waitcnt lgkmcnt(0)
	v_cmp_ne_u16_e64 s24, 0x8000, v146
	s_delay_alu instid0(VALU_DEP_1) | instskip(SKIP_1) | instid1(VALU_DEP_2)
	v_cndmask_b32_e64 v2, 0x7fff, v146, s24
	v_cmp_gt_i16_e64 s24, 0, v146
	v_and_b32_e32 v2, 0xffff, v2
	s_delay_alu instid0(VALU_DEP_2) | instskip(NEXT) | instid1(VALU_DEP_2)
	v_cndmask_b32_e64 v149, 0x7fff, 0, s24
	v_lshrrev_b32_e32 v2, s48, v2
	s_delay_alu instid0(VALU_DEP_1) | instskip(NEXT) | instid1(VALU_DEP_1)
	v_and_b32_e32 v2, s55, v2
	v_lshlrev_b32_e32 v2, 2, v2
	ds_load_b32 v2, v2
	s_waitcnt lgkmcnt(0)
	v_add_nc_u32_e32 v2, v2, v54
	s_delay_alu instid0(VALU_DEP_1) | instskip(SKIP_1) | instid1(VALU_DEP_2)
	v_lshlrev_b64 v[36:37], 1, v[2:3]
	v_xor_b32_e32 v2, v149, v146
	v_add_co_u32 v36, s24, s40, v36
	s_delay_alu instid0(VALU_DEP_1) | instskip(SKIP_3) | instid1(VALU_DEP_1)
	v_add_co_ci_u32_e64 v37, s24, s41, v37, s24
	global_store_b16 v[36:37], v2, off
	s_or_b32 exec_lo, exec_lo, s25
	v_cmp_lt_u32_e64 s24, v55, v145
	s_and_saveexec_b32 s26, s24
	s_cbranch_execnz .LBB1983_487
.LBB1983_502:                           ;   in Loop: Header=BB1983_400 Depth=2
	s_or_b32 exec_lo, exec_lo, s26
	v_cmp_lt_u32_e64 s25, v56, v145
	s_delay_alu instid0(VALU_DEP_1)
	s_and_saveexec_b32 s27, s25
	s_cbranch_execz .LBB1983_488
.LBB1983_503:                           ;   in Loop: Header=BB1983_400 Depth=2
	ds_load_u16 v146, v79 offset:4608
	s_waitcnt lgkmcnt(0)
	v_cmp_ne_u16_e64 s26, 0x8000, v146
	s_delay_alu instid0(VALU_DEP_1) | instskip(SKIP_1) | instid1(VALU_DEP_2)
	v_cndmask_b32_e64 v2, 0x7fff, v146, s26
	v_cmp_gt_i16_e64 s26, 0, v146
	v_and_b32_e32 v2, 0xffff, v2
	s_delay_alu instid0(VALU_DEP_2) | instskip(NEXT) | instid1(VALU_DEP_2)
	v_cndmask_b32_e64 v149, 0x7fff, 0, s26
	v_lshrrev_b32_e32 v2, s48, v2
	s_delay_alu instid0(VALU_DEP_1) | instskip(NEXT) | instid1(VALU_DEP_1)
	v_and_b32_e32 v2, s55, v2
	v_lshlrev_b32_e32 v2, 2, v2
	ds_load_b32 v2, v2
	s_waitcnt lgkmcnt(0)
	v_add_nc_u32_e32 v2, v2, v56
	s_delay_alu instid0(VALU_DEP_1) | instskip(SKIP_1) | instid1(VALU_DEP_2)
	v_lshlrev_b64 v[36:37], 1, v[2:3]
	v_xor_b32_e32 v2, v149, v146
	v_add_co_u32 v36, s26, s40, v36
	s_delay_alu instid0(VALU_DEP_1) | instskip(SKIP_3) | instid1(VALU_DEP_1)
	v_add_co_ci_u32_e64 v37, s26, s41, v37, s26
	global_store_b16 v[36:37], v2, off
	s_or_b32 exec_lo, exec_lo, s27
	v_cmp_lt_u32_e64 s26, v57, v145
	s_and_saveexec_b32 s28, s26
	s_cbranch_execnz .LBB1983_489
.LBB1983_504:                           ;   in Loop: Header=BB1983_400 Depth=2
	s_or_b32 exec_lo, exec_lo, s28
	v_cmp_lt_u32_e64 s27, v58, v145
	s_delay_alu instid0(VALU_DEP_1)
	s_and_saveexec_b32 s29, s27
	s_cbranch_execz .LBB1983_490
.LBB1983_505:                           ;   in Loop: Header=BB1983_400 Depth=2
	ds_load_u16 v146, v79 offset:5632
	s_waitcnt lgkmcnt(0)
	v_cmp_ne_u16_e64 s28, 0x8000, v146
	s_delay_alu instid0(VALU_DEP_1) | instskip(SKIP_1) | instid1(VALU_DEP_2)
	v_cndmask_b32_e64 v2, 0x7fff, v146, s28
	v_cmp_gt_i16_e64 s28, 0, v146
	v_and_b32_e32 v2, 0xffff, v2
	s_delay_alu instid0(VALU_DEP_2) | instskip(NEXT) | instid1(VALU_DEP_2)
	v_cndmask_b32_e64 v149, 0x7fff, 0, s28
	v_lshrrev_b32_e32 v2, s48, v2
	s_delay_alu instid0(VALU_DEP_1) | instskip(NEXT) | instid1(VALU_DEP_1)
	v_and_b32_e32 v2, s55, v2
	v_lshlrev_b32_e32 v2, 2, v2
	ds_load_b32 v2, v2
	s_waitcnt lgkmcnt(0)
	v_add_nc_u32_e32 v2, v2, v58
	s_delay_alu instid0(VALU_DEP_1) | instskip(SKIP_1) | instid1(VALU_DEP_2)
	v_lshlrev_b64 v[36:37], 1, v[2:3]
	v_xor_b32_e32 v2, v149, v146
	v_add_co_u32 v36, s28, s40, v36
	s_delay_alu instid0(VALU_DEP_1) | instskip(SKIP_3) | instid1(VALU_DEP_1)
	v_add_co_ci_u32_e64 v37, s28, s41, v37, s28
	global_store_b16 v[36:37], v2, off
	s_or_b32 exec_lo, exec_lo, s29
	v_cmp_lt_u32_e64 s28, v59, v145
	s_and_saveexec_b32 s30, s28
	s_cbranch_execnz .LBB1983_491
.LBB1983_506:                           ;   in Loop: Header=BB1983_400 Depth=2
	s_or_b32 exec_lo, exec_lo, s30
	v_cmp_lt_u32_e64 s29, v60, v145
	s_delay_alu instid0(VALU_DEP_1)
	s_and_saveexec_b32 s31, s29
	s_cbranch_execz .LBB1983_492
.LBB1983_507:                           ;   in Loop: Header=BB1983_400 Depth=2
	ds_load_u16 v146, v79 offset:6656
	s_waitcnt lgkmcnt(0)
	v_cmp_ne_u16_e64 s30, 0x8000, v146
	s_delay_alu instid0(VALU_DEP_1) | instskip(SKIP_1) | instid1(VALU_DEP_2)
	v_cndmask_b32_e64 v2, 0x7fff, v146, s30
	v_cmp_gt_i16_e64 s30, 0, v146
	v_and_b32_e32 v2, 0xffff, v2
	s_delay_alu instid0(VALU_DEP_2) | instskip(NEXT) | instid1(VALU_DEP_2)
	v_cndmask_b32_e64 v149, 0x7fff, 0, s30
	v_lshrrev_b32_e32 v2, s48, v2
	s_delay_alu instid0(VALU_DEP_1) | instskip(NEXT) | instid1(VALU_DEP_1)
	v_and_b32_e32 v2, s55, v2
	v_lshlrev_b32_e32 v2, 2, v2
	ds_load_b32 v2, v2
	s_waitcnt lgkmcnt(0)
	v_add_nc_u32_e32 v2, v2, v60
	s_delay_alu instid0(VALU_DEP_1) | instskip(SKIP_1) | instid1(VALU_DEP_2)
	v_lshlrev_b64 v[36:37], 1, v[2:3]
	v_xor_b32_e32 v2, v149, v146
	v_add_co_u32 v36, s30, s40, v36
	s_delay_alu instid0(VALU_DEP_1) | instskip(SKIP_3) | instid1(VALU_DEP_1)
	v_add_co_ci_u32_e64 v37, s30, s41, v37, s30
	global_store_b16 v[36:37], v2, off
	s_or_b32 exec_lo, exec_lo, s31
	v_cmp_lt_u32_e64 s30, v61, v145
	s_and_saveexec_b32 s33, s30
	s_cbranch_execnz .LBB1983_493
.LBB1983_508:                           ;   in Loop: Header=BB1983_400 Depth=2
	s_or_b32 exec_lo, exec_lo, s33
	v_cmp_lt_u32_e64 s31, v63, v145
	s_delay_alu instid0(VALU_DEP_1)
	s_and_saveexec_b32 s58, s31
	s_cbranch_execz .LBB1983_510
.LBB1983_509:                           ;   in Loop: Header=BB1983_400 Depth=2
	ds_load_u16 v146, v79 offset:7680
	s_waitcnt lgkmcnt(0)
	v_cmp_ne_u16_e64 s33, 0x8000, v146
	s_delay_alu instid0(VALU_DEP_1) | instskip(SKIP_1) | instid1(VALU_DEP_2)
	v_cndmask_b32_e64 v2, 0x7fff, v146, s33
	v_cmp_gt_i16_e64 s33, 0, v146
	v_and_b32_e32 v2, 0xffff, v2
	s_delay_alu instid0(VALU_DEP_2) | instskip(NEXT) | instid1(VALU_DEP_2)
	v_cndmask_b32_e64 v149, 0x7fff, 0, s33
	v_lshrrev_b32_e32 v2, s48, v2
	s_delay_alu instid0(VALU_DEP_1) | instskip(NEXT) | instid1(VALU_DEP_1)
	v_and_b32_e32 v2, s55, v2
	v_lshlrev_b32_e32 v2, 2, v2
	ds_load_b32 v2, v2
	s_waitcnt lgkmcnt(0)
	v_add_nc_u32_e32 v2, v2, v63
	s_delay_alu instid0(VALU_DEP_1) | instskip(SKIP_1) | instid1(VALU_DEP_2)
	v_lshlrev_b64 v[36:37], 1, v[2:3]
	v_xor_b32_e32 v2, v149, v146
	v_add_co_u32 v36, s33, s40, v36
	s_delay_alu instid0(VALU_DEP_1)
	v_add_co_ci_u32_e64 v37, s33, s41, v37, s33
	global_store_b16 v[36:37], v2, off
.LBB1983_510:                           ;   in Loop: Header=BB1983_400 Depth=2
	s_or_b32 exec_lo, exec_lo, s58
	s_lshl_b64 s[58:59], s[34:35], 3
	s_delay_alu instid0(SALU_CYCLE_1) | instskip(NEXT) | instid1(VALU_DEP_1)
	v_add_co_u32 v36, s33, v107, s58
	v_add_co_ci_u32_e64 v37, s33, s59, v108, s33
	v_cmp_lt_u32_e64 s33, v106, v145
	s_delay_alu instid0(VALU_DEP_1) | instskip(NEXT) | instid1(SALU_CYCLE_1)
	s_and_saveexec_b32 s34, s33
	s_xor_b32 s33, exec_lo, s34
	s_cbranch_execz .LBB1983_542
; %bb.511:                              ;   in Loop: Header=BB1983_400 Depth=2
	global_load_b64 v[34:35], v[36:37], off
	s_or_b32 exec_lo, exec_lo, s33
	s_delay_alu instid0(SALU_CYCLE_1)
	s_mov_b32 s34, exec_lo
	v_cmpx_lt_u32_e64 v109, v145
	s_cbranch_execnz .LBB1983_543
.LBB1983_512:                           ;   in Loop: Header=BB1983_400 Depth=2
	s_or_b32 exec_lo, exec_lo, s34
	s_delay_alu instid0(SALU_CYCLE_1)
	s_mov_b32 s34, exec_lo
	v_cmpx_lt_u32_e64 v110, v145
	s_cbranch_execz .LBB1983_544
.LBB1983_513:                           ;   in Loop: Header=BB1983_400 Depth=2
	global_load_b64 v[30:31], v[36:37], off offset:512
	s_or_b32 exec_lo, exec_lo, s34
	s_delay_alu instid0(SALU_CYCLE_1)
	s_mov_b32 s34, exec_lo
	v_cmpx_lt_u32_e64 v111, v145
	s_cbranch_execnz .LBB1983_545
.LBB1983_514:                           ;   in Loop: Header=BB1983_400 Depth=2
	s_or_b32 exec_lo, exec_lo, s34
	s_delay_alu instid0(SALU_CYCLE_1)
	s_mov_b32 s34, exec_lo
	v_cmpx_lt_u32_e64 v112, v145
	s_cbranch_execz .LBB1983_546
.LBB1983_515:                           ;   in Loop: Header=BB1983_400 Depth=2
	global_load_b64 v[26:27], v[36:37], off offset:1024
	s_or_b32 exec_lo, exec_lo, s34
	s_delay_alu instid0(SALU_CYCLE_1)
	s_mov_b32 s34, exec_lo
	v_cmpx_lt_u32_e64 v113, v145
	s_cbranch_execnz .LBB1983_547
.LBB1983_516:                           ;   in Loop: Header=BB1983_400 Depth=2
	s_or_b32 exec_lo, exec_lo, s34
	s_delay_alu instid0(SALU_CYCLE_1)
	s_mov_b32 s34, exec_lo
	v_cmpx_lt_u32_e64 v114, v145
	s_cbranch_execz .LBB1983_548
.LBB1983_517:                           ;   in Loop: Header=BB1983_400 Depth=2
	global_load_b64 v[22:23], v[36:37], off offset:1536
	s_or_b32 exec_lo, exec_lo, s34
	s_delay_alu instid0(SALU_CYCLE_1)
	s_mov_b32 s34, exec_lo
	v_cmpx_lt_u32_e64 v115, v145
	s_cbranch_execnz .LBB1983_549
.LBB1983_518:                           ;   in Loop: Header=BB1983_400 Depth=2
	s_or_b32 exec_lo, exec_lo, s34
	s_delay_alu instid0(SALU_CYCLE_1)
	s_mov_b32 s34, exec_lo
	v_cmpx_lt_u32_e64 v116, v145
	s_cbranch_execz .LBB1983_550
.LBB1983_519:                           ;   in Loop: Header=BB1983_400 Depth=2
	global_load_b64 v[18:19], v[36:37], off offset:2048
	s_or_b32 exec_lo, exec_lo, s34
	s_delay_alu instid0(SALU_CYCLE_1)
	s_mov_b32 s34, exec_lo
	v_cmpx_lt_u32_e64 v117, v145
	s_cbranch_execnz .LBB1983_551
.LBB1983_520:                           ;   in Loop: Header=BB1983_400 Depth=2
	s_or_b32 exec_lo, exec_lo, s34
	s_delay_alu instid0(SALU_CYCLE_1)
	s_mov_b32 s34, exec_lo
	v_cmpx_lt_u32_e64 v118, v145
	s_cbranch_execz .LBB1983_552
.LBB1983_521:                           ;   in Loop: Header=BB1983_400 Depth=2
	global_load_b64 v[14:15], v[36:37], off offset:2560
	s_or_b32 exec_lo, exec_lo, s34
	s_delay_alu instid0(SALU_CYCLE_1)
	s_mov_b32 s34, exec_lo
	v_cmpx_lt_u32_e64 v119, v145
	s_cbranch_execnz .LBB1983_553
.LBB1983_522:                           ;   in Loop: Header=BB1983_400 Depth=2
	s_or_b32 exec_lo, exec_lo, s34
	s_delay_alu instid0(SALU_CYCLE_1)
	s_mov_b32 s34, exec_lo
	v_cmpx_lt_u32_e64 v120, v145
	s_cbranch_execz .LBB1983_554
.LBB1983_523:                           ;   in Loop: Header=BB1983_400 Depth=2
	global_load_b64 v[10:11], v[36:37], off offset:3072
	s_or_b32 exec_lo, exec_lo, s34
	s_delay_alu instid0(SALU_CYCLE_1)
	s_mov_b32 s34, exec_lo
	v_cmpx_lt_u32_e64 v121, v145
	s_cbranch_execnz .LBB1983_555
.LBB1983_524:                           ;   in Loop: Header=BB1983_400 Depth=2
	s_or_b32 exec_lo, exec_lo, s34
	s_delay_alu instid0(SALU_CYCLE_1)
	s_mov_b32 s34, exec_lo
	v_cmpx_lt_u32_e64 v122, v145
	s_cbranch_execz .LBB1983_556
.LBB1983_525:                           ;   in Loop: Header=BB1983_400 Depth=2
	global_load_b64 v[6:7], v[36:37], off offset:3584
	s_or_b32 exec_lo, exec_lo, s34
	s_delay_alu instid0(SALU_CYCLE_1)
	s_mov_b32 s34, exec_lo
	v_cmpx_lt_u32_e64 v123, v145
	s_cbranch_execnz .LBB1983_557
.LBB1983_526:                           ;   in Loop: Header=BB1983_400 Depth=2
	s_or_b32 exec_lo, exec_lo, s34
	s_and_saveexec_b32 s34, vcc_lo
	s_cbranch_execz .LBB1983_558
.LBB1983_527:                           ;   in Loop: Header=BB1983_400 Depth=2
	v_add_nc_u32_e32 v2, v72, v78
	ds_load_u16 v2, v2 offset:1024
	s_waitcnt lgkmcnt(0)
	v_cmp_ne_u16_e64 s33, 0x8000, v2
	s_delay_alu instid0(VALU_DEP_1) | instskip(NEXT) | instid1(VALU_DEP_1)
	v_cndmask_b32_e64 v2, 0x7fff, v2, s33
	v_and_b32_e32 v2, 0xffff, v2
	s_delay_alu instid0(VALU_DEP_1) | instskip(NEXT) | instid1(VALU_DEP_1)
	v_lshrrev_b32_e32 v2, s48, v2
	v_and_b32_e32 v144, s55, v2
	s_or_b32 exec_lo, exec_lo, s34
	s_and_saveexec_b32 s34, s17
	s_cbranch_execnz .LBB1983_559
.LBB1983_528:                           ;   in Loop: Header=BB1983_400 Depth=2
	s_or_b32 exec_lo, exec_lo, s34
	s_and_saveexec_b32 s34, s18
	s_cbranch_execz .LBB1983_560
.LBB1983_529:                           ;   in Loop: Header=BB1983_400 Depth=2
	ds_load_u16 v2, v79 offset:1024
	s_waitcnt lgkmcnt(0)
	v_cmp_ne_u16_e64 s33, 0x8000, v2
	s_delay_alu instid0(VALU_DEP_1) | instskip(NEXT) | instid1(VALU_DEP_1)
	v_cndmask_b32_e64 v2, 0x7fff, v2, s33
	v_and_b32_e32 v2, 0xffff, v2
	s_delay_alu instid0(VALU_DEP_1) | instskip(NEXT) | instid1(VALU_DEP_1)
	v_lshrrev_b32_e32 v2, s48, v2
	v_and_b32_e32 v142, s55, v2
	s_or_b32 exec_lo, exec_lo, s34
	s_and_saveexec_b32 s34, s19
	s_cbranch_execnz .LBB1983_561
.LBB1983_530:                           ;   in Loop: Header=BB1983_400 Depth=2
	s_or_b32 exec_lo, exec_lo, s34
	s_and_saveexec_b32 s34, s20
	s_cbranch_execz .LBB1983_562
.LBB1983_531:                           ;   in Loop: Header=BB1983_400 Depth=2
	ds_load_u16 v2, v79 offset:2048
	s_waitcnt lgkmcnt(0)
	v_cmp_ne_u16_e64 s33, 0x8000, v2
	s_delay_alu instid0(VALU_DEP_1) | instskip(NEXT) | instid1(VALU_DEP_1)
	v_cndmask_b32_e64 v2, 0x7fff, v2, s33
	v_and_b32_e32 v2, 0xffff, v2
	s_delay_alu instid0(VALU_DEP_1) | instskip(NEXT) | instid1(VALU_DEP_1)
	v_lshrrev_b32_e32 v2, s48, v2
	v_and_b32_e32 v140, s55, v2
	s_or_b32 exec_lo, exec_lo, s34
	s_and_saveexec_b32 s34, s21
	s_cbranch_execnz .LBB1983_563
.LBB1983_532:                           ;   in Loop: Header=BB1983_400 Depth=2
	s_or_b32 exec_lo, exec_lo, s34
	s_and_saveexec_b32 s34, s22
	s_cbranch_execz .LBB1983_564
.LBB1983_533:                           ;   in Loop: Header=BB1983_400 Depth=2
	ds_load_u16 v2, v79 offset:3072
	s_waitcnt lgkmcnt(0)
	v_cmp_ne_u16_e64 s33, 0x8000, v2
	s_delay_alu instid0(VALU_DEP_1) | instskip(NEXT) | instid1(VALU_DEP_1)
	v_cndmask_b32_e64 v2, 0x7fff, v2, s33
	v_and_b32_e32 v2, 0xffff, v2
	s_delay_alu instid0(VALU_DEP_1) | instskip(NEXT) | instid1(VALU_DEP_1)
	v_lshrrev_b32_e32 v2, s48, v2
	v_and_b32_e32 v138, s55, v2
	s_or_b32 exec_lo, exec_lo, s34
	s_and_saveexec_b32 s34, s23
	s_cbranch_execnz .LBB1983_565
.LBB1983_534:                           ;   in Loop: Header=BB1983_400 Depth=2
	s_or_b32 exec_lo, exec_lo, s34
	s_and_saveexec_b32 s34, s24
	s_cbranch_execz .LBB1983_566
.LBB1983_535:                           ;   in Loop: Header=BB1983_400 Depth=2
	ds_load_u16 v2, v79 offset:4096
	s_waitcnt lgkmcnt(0)
	v_cmp_ne_u16_e64 s33, 0x8000, v2
	s_delay_alu instid0(VALU_DEP_1) | instskip(NEXT) | instid1(VALU_DEP_1)
	v_cndmask_b32_e64 v2, 0x7fff, v2, s33
	v_and_b32_e32 v2, 0xffff, v2
	s_delay_alu instid0(VALU_DEP_1) | instskip(NEXT) | instid1(VALU_DEP_1)
	v_lshrrev_b32_e32 v2, s48, v2
	v_and_b32_e32 v136, s55, v2
	s_or_b32 exec_lo, exec_lo, s34
	s_and_saveexec_b32 s34, s25
	s_cbranch_execnz .LBB1983_567
.LBB1983_536:                           ;   in Loop: Header=BB1983_400 Depth=2
	s_or_b32 exec_lo, exec_lo, s34
	s_and_saveexec_b32 s34, s26
	s_cbranch_execz .LBB1983_568
.LBB1983_537:                           ;   in Loop: Header=BB1983_400 Depth=2
	ds_load_u16 v2, v79 offset:5120
	s_waitcnt lgkmcnt(0)
	v_cmp_ne_u16_e64 s33, 0x8000, v2
	s_delay_alu instid0(VALU_DEP_1) | instskip(NEXT) | instid1(VALU_DEP_1)
	v_cndmask_b32_e64 v2, 0x7fff, v2, s33
	v_and_b32_e32 v2, 0xffff, v2
	s_delay_alu instid0(VALU_DEP_1) | instskip(NEXT) | instid1(VALU_DEP_1)
	v_lshrrev_b32_e32 v2, s48, v2
	v_and_b32_e32 v134, s55, v2
	s_or_b32 exec_lo, exec_lo, s34
	s_and_saveexec_b32 s34, s27
	s_cbranch_execnz .LBB1983_569
.LBB1983_538:                           ;   in Loop: Header=BB1983_400 Depth=2
	s_or_b32 exec_lo, exec_lo, s34
	s_and_saveexec_b32 s34, s28
	s_cbranch_execz .LBB1983_570
.LBB1983_539:                           ;   in Loop: Header=BB1983_400 Depth=2
	ds_load_u16 v2, v79 offset:6144
	s_waitcnt lgkmcnt(0)
	v_cmp_ne_u16_e64 s33, 0x8000, v2
	s_delay_alu instid0(VALU_DEP_1) | instskip(NEXT) | instid1(VALU_DEP_1)
	v_cndmask_b32_e64 v2, 0x7fff, v2, s33
	v_and_b32_e32 v2, 0xffff, v2
	s_delay_alu instid0(VALU_DEP_1) | instskip(NEXT) | instid1(VALU_DEP_1)
	v_lshrrev_b32_e32 v2, s48, v2
	v_and_b32_e32 v132, s55, v2
	s_or_b32 exec_lo, exec_lo, s34
	s_and_saveexec_b32 s34, s29
	s_cbranch_execnz .LBB1983_571
.LBB1983_540:                           ;   in Loop: Header=BB1983_400 Depth=2
	s_or_b32 exec_lo, exec_lo, s34
	s_and_saveexec_b32 s34, s30
	s_cbranch_execz .LBB1983_572
.LBB1983_541:                           ;   in Loop: Header=BB1983_400 Depth=2
	ds_load_u16 v2, v79 offset:7168
	s_waitcnt lgkmcnt(0)
	v_cmp_ne_u16_e64 s33, 0x8000, v2
	s_delay_alu instid0(VALU_DEP_1) | instskip(NEXT) | instid1(VALU_DEP_1)
	v_cndmask_b32_e64 v2, 0x7fff, v2, s33
	v_and_b32_e32 v2, 0xffff, v2
	s_delay_alu instid0(VALU_DEP_1) | instskip(NEXT) | instid1(VALU_DEP_1)
	v_lshrrev_b32_e32 v2, s48, v2
	v_and_b32_e32 v130, s55, v2
	s_or_b32 exec_lo, exec_lo, s34
	s_and_saveexec_b32 s34, s31
	s_cbranch_execnz .LBB1983_573
	s_branch .LBB1983_574
.LBB1983_542:                           ;   in Loop: Header=BB1983_400 Depth=2
	s_or_b32 exec_lo, exec_lo, s33
	s_delay_alu instid0(SALU_CYCLE_1)
	s_mov_b32 s34, exec_lo
	v_cmpx_lt_u32_e64 v109, v145
	s_cbranch_execz .LBB1983_512
.LBB1983_543:                           ;   in Loop: Header=BB1983_400 Depth=2
	global_load_b64 v[32:33], v[36:37], off offset:256
	s_or_b32 exec_lo, exec_lo, s34
	s_delay_alu instid0(SALU_CYCLE_1)
	s_mov_b32 s34, exec_lo
	v_cmpx_lt_u32_e64 v110, v145
	s_cbranch_execnz .LBB1983_513
.LBB1983_544:                           ;   in Loop: Header=BB1983_400 Depth=2
	s_or_b32 exec_lo, exec_lo, s34
	s_delay_alu instid0(SALU_CYCLE_1)
	s_mov_b32 s34, exec_lo
	v_cmpx_lt_u32_e64 v111, v145
	s_cbranch_execz .LBB1983_514
.LBB1983_545:                           ;   in Loop: Header=BB1983_400 Depth=2
	global_load_b64 v[28:29], v[36:37], off offset:768
	s_or_b32 exec_lo, exec_lo, s34
	s_delay_alu instid0(SALU_CYCLE_1)
	s_mov_b32 s34, exec_lo
	v_cmpx_lt_u32_e64 v112, v145
	s_cbranch_execnz .LBB1983_515
.LBB1983_546:                           ;   in Loop: Header=BB1983_400 Depth=2
	s_or_b32 exec_lo, exec_lo, s34
	s_delay_alu instid0(SALU_CYCLE_1)
	s_mov_b32 s34, exec_lo
	v_cmpx_lt_u32_e64 v113, v145
	s_cbranch_execz .LBB1983_516
.LBB1983_547:                           ;   in Loop: Header=BB1983_400 Depth=2
	global_load_b64 v[24:25], v[36:37], off offset:1280
	s_or_b32 exec_lo, exec_lo, s34
	s_delay_alu instid0(SALU_CYCLE_1)
	s_mov_b32 s34, exec_lo
	v_cmpx_lt_u32_e64 v114, v145
	s_cbranch_execnz .LBB1983_517
.LBB1983_548:                           ;   in Loop: Header=BB1983_400 Depth=2
	s_or_b32 exec_lo, exec_lo, s34
	s_delay_alu instid0(SALU_CYCLE_1)
	s_mov_b32 s34, exec_lo
	v_cmpx_lt_u32_e64 v115, v145
	s_cbranch_execz .LBB1983_518
.LBB1983_549:                           ;   in Loop: Header=BB1983_400 Depth=2
	global_load_b64 v[20:21], v[36:37], off offset:1792
	s_or_b32 exec_lo, exec_lo, s34
	s_delay_alu instid0(SALU_CYCLE_1)
	s_mov_b32 s34, exec_lo
	v_cmpx_lt_u32_e64 v116, v145
	s_cbranch_execnz .LBB1983_519
.LBB1983_550:                           ;   in Loop: Header=BB1983_400 Depth=2
	s_or_b32 exec_lo, exec_lo, s34
	s_delay_alu instid0(SALU_CYCLE_1)
	s_mov_b32 s34, exec_lo
	v_cmpx_lt_u32_e64 v117, v145
	s_cbranch_execz .LBB1983_520
.LBB1983_551:                           ;   in Loop: Header=BB1983_400 Depth=2
	global_load_b64 v[16:17], v[36:37], off offset:2304
	s_or_b32 exec_lo, exec_lo, s34
	s_delay_alu instid0(SALU_CYCLE_1)
	s_mov_b32 s34, exec_lo
	v_cmpx_lt_u32_e64 v118, v145
	s_cbranch_execnz .LBB1983_521
.LBB1983_552:                           ;   in Loop: Header=BB1983_400 Depth=2
	s_or_b32 exec_lo, exec_lo, s34
	s_delay_alu instid0(SALU_CYCLE_1)
	s_mov_b32 s34, exec_lo
	v_cmpx_lt_u32_e64 v119, v145
	s_cbranch_execz .LBB1983_522
.LBB1983_553:                           ;   in Loop: Header=BB1983_400 Depth=2
	global_load_b64 v[12:13], v[36:37], off offset:2816
	s_or_b32 exec_lo, exec_lo, s34
	s_delay_alu instid0(SALU_CYCLE_1)
	s_mov_b32 s34, exec_lo
	v_cmpx_lt_u32_e64 v120, v145
	s_cbranch_execnz .LBB1983_523
.LBB1983_554:                           ;   in Loop: Header=BB1983_400 Depth=2
	s_or_b32 exec_lo, exec_lo, s34
	s_delay_alu instid0(SALU_CYCLE_1)
	s_mov_b32 s34, exec_lo
	v_cmpx_lt_u32_e64 v121, v145
	s_cbranch_execz .LBB1983_524
.LBB1983_555:                           ;   in Loop: Header=BB1983_400 Depth=2
	global_load_b64 v[8:9], v[36:37], off offset:3328
	s_or_b32 exec_lo, exec_lo, s34
	s_delay_alu instid0(SALU_CYCLE_1)
	s_mov_b32 s34, exec_lo
	v_cmpx_lt_u32_e64 v122, v145
	s_cbranch_execnz .LBB1983_525
.LBB1983_556:                           ;   in Loop: Header=BB1983_400 Depth=2
	s_or_b32 exec_lo, exec_lo, s34
	s_delay_alu instid0(SALU_CYCLE_1)
	s_mov_b32 s34, exec_lo
	v_cmpx_lt_u32_e64 v123, v145
	s_cbranch_execz .LBB1983_526
.LBB1983_557:                           ;   in Loop: Header=BB1983_400 Depth=2
	global_load_b64 v[4:5], v[36:37], off offset:3840
	s_or_b32 exec_lo, exec_lo, s34
	s_and_saveexec_b32 s34, vcc_lo
	s_cbranch_execnz .LBB1983_527
.LBB1983_558:                           ;   in Loop: Header=BB1983_400 Depth=2
	s_or_b32 exec_lo, exec_lo, s34
	s_and_saveexec_b32 s34, s17
	s_cbranch_execz .LBB1983_528
.LBB1983_559:                           ;   in Loop: Header=BB1983_400 Depth=2
	ds_load_u16 v2, v79 offset:512
	s_waitcnt lgkmcnt(0)
	v_cmp_ne_u16_e64 s33, 0x8000, v2
	s_delay_alu instid0(VALU_DEP_1) | instskip(NEXT) | instid1(VALU_DEP_1)
	v_cndmask_b32_e64 v2, 0x7fff, v2, s33
	v_and_b32_e32 v2, 0xffff, v2
	s_delay_alu instid0(VALU_DEP_1) | instskip(NEXT) | instid1(VALU_DEP_1)
	v_lshrrev_b32_e32 v2, s48, v2
	v_and_b32_e32 v143, s55, v2
	s_or_b32 exec_lo, exec_lo, s34
	s_and_saveexec_b32 s34, s18
	s_cbranch_execnz .LBB1983_529
.LBB1983_560:                           ;   in Loop: Header=BB1983_400 Depth=2
	s_or_b32 exec_lo, exec_lo, s34
	s_and_saveexec_b32 s34, s19
	s_cbranch_execz .LBB1983_530
.LBB1983_561:                           ;   in Loop: Header=BB1983_400 Depth=2
	ds_load_u16 v2, v79 offset:1536
	s_waitcnt lgkmcnt(0)
	v_cmp_ne_u16_e64 s33, 0x8000, v2
	s_delay_alu instid0(VALU_DEP_1) | instskip(NEXT) | instid1(VALU_DEP_1)
	v_cndmask_b32_e64 v2, 0x7fff, v2, s33
	v_and_b32_e32 v2, 0xffff, v2
	s_delay_alu instid0(VALU_DEP_1) | instskip(NEXT) | instid1(VALU_DEP_1)
	v_lshrrev_b32_e32 v2, s48, v2
	v_and_b32_e32 v141, s55, v2
	s_or_b32 exec_lo, exec_lo, s34
	s_and_saveexec_b32 s34, s20
	s_cbranch_execnz .LBB1983_531
.LBB1983_562:                           ;   in Loop: Header=BB1983_400 Depth=2
	s_or_b32 exec_lo, exec_lo, s34
	s_and_saveexec_b32 s34, s21
	s_cbranch_execz .LBB1983_532
.LBB1983_563:                           ;   in Loop: Header=BB1983_400 Depth=2
	ds_load_u16 v2, v79 offset:2560
	s_waitcnt lgkmcnt(0)
	v_cmp_ne_u16_e64 s33, 0x8000, v2
	s_delay_alu instid0(VALU_DEP_1) | instskip(NEXT) | instid1(VALU_DEP_1)
	v_cndmask_b32_e64 v2, 0x7fff, v2, s33
	v_and_b32_e32 v2, 0xffff, v2
	s_delay_alu instid0(VALU_DEP_1) | instskip(NEXT) | instid1(VALU_DEP_1)
	v_lshrrev_b32_e32 v2, s48, v2
	v_and_b32_e32 v139, s55, v2
	s_or_b32 exec_lo, exec_lo, s34
	s_and_saveexec_b32 s34, s22
	s_cbranch_execnz .LBB1983_533
.LBB1983_564:                           ;   in Loop: Header=BB1983_400 Depth=2
	s_or_b32 exec_lo, exec_lo, s34
	s_and_saveexec_b32 s34, s23
	s_cbranch_execz .LBB1983_534
.LBB1983_565:                           ;   in Loop: Header=BB1983_400 Depth=2
	ds_load_u16 v2, v79 offset:3584
	s_waitcnt lgkmcnt(0)
	v_cmp_ne_u16_e64 s33, 0x8000, v2
	s_delay_alu instid0(VALU_DEP_1) | instskip(NEXT) | instid1(VALU_DEP_1)
	v_cndmask_b32_e64 v2, 0x7fff, v2, s33
	v_and_b32_e32 v2, 0xffff, v2
	s_delay_alu instid0(VALU_DEP_1) | instskip(NEXT) | instid1(VALU_DEP_1)
	v_lshrrev_b32_e32 v2, s48, v2
	v_and_b32_e32 v137, s55, v2
	s_or_b32 exec_lo, exec_lo, s34
	s_and_saveexec_b32 s34, s24
	s_cbranch_execnz .LBB1983_535
.LBB1983_566:                           ;   in Loop: Header=BB1983_400 Depth=2
	s_or_b32 exec_lo, exec_lo, s34
	s_and_saveexec_b32 s34, s25
	s_cbranch_execz .LBB1983_536
.LBB1983_567:                           ;   in Loop: Header=BB1983_400 Depth=2
	ds_load_u16 v2, v79 offset:4608
	s_waitcnt lgkmcnt(0)
	v_cmp_ne_u16_e64 s33, 0x8000, v2
	s_delay_alu instid0(VALU_DEP_1) | instskip(NEXT) | instid1(VALU_DEP_1)
	v_cndmask_b32_e64 v2, 0x7fff, v2, s33
	v_and_b32_e32 v2, 0xffff, v2
	s_delay_alu instid0(VALU_DEP_1) | instskip(NEXT) | instid1(VALU_DEP_1)
	v_lshrrev_b32_e32 v2, s48, v2
	v_and_b32_e32 v135, s55, v2
	s_or_b32 exec_lo, exec_lo, s34
	s_and_saveexec_b32 s34, s26
	s_cbranch_execnz .LBB1983_537
.LBB1983_568:                           ;   in Loop: Header=BB1983_400 Depth=2
	s_or_b32 exec_lo, exec_lo, s34
	s_and_saveexec_b32 s34, s27
	s_cbranch_execz .LBB1983_538
.LBB1983_569:                           ;   in Loop: Header=BB1983_400 Depth=2
	ds_load_u16 v2, v79 offset:5632
	s_waitcnt lgkmcnt(0)
	v_cmp_ne_u16_e64 s33, 0x8000, v2
	s_delay_alu instid0(VALU_DEP_1) | instskip(NEXT) | instid1(VALU_DEP_1)
	v_cndmask_b32_e64 v2, 0x7fff, v2, s33
	v_and_b32_e32 v2, 0xffff, v2
	s_delay_alu instid0(VALU_DEP_1) | instskip(NEXT) | instid1(VALU_DEP_1)
	v_lshrrev_b32_e32 v2, s48, v2
	v_and_b32_e32 v133, s55, v2
	s_or_b32 exec_lo, exec_lo, s34
	s_and_saveexec_b32 s34, s28
	s_cbranch_execnz .LBB1983_539
.LBB1983_570:                           ;   in Loop: Header=BB1983_400 Depth=2
	s_or_b32 exec_lo, exec_lo, s34
	s_and_saveexec_b32 s34, s29
	s_cbranch_execz .LBB1983_540
.LBB1983_571:                           ;   in Loop: Header=BB1983_400 Depth=2
	ds_load_u16 v2, v79 offset:6656
	s_waitcnt lgkmcnt(0)
	v_cmp_ne_u16_e64 s33, 0x8000, v2
	s_delay_alu instid0(VALU_DEP_1) | instskip(NEXT) | instid1(VALU_DEP_1)
	v_cndmask_b32_e64 v2, 0x7fff, v2, s33
	v_and_b32_e32 v2, 0xffff, v2
	s_delay_alu instid0(VALU_DEP_1) | instskip(NEXT) | instid1(VALU_DEP_1)
	v_lshrrev_b32_e32 v2, s48, v2
	v_and_b32_e32 v131, s55, v2
	s_or_b32 exec_lo, exec_lo, s34
	s_and_saveexec_b32 s34, s30
	s_cbranch_execnz .LBB1983_541
.LBB1983_572:                           ;   in Loop: Header=BB1983_400 Depth=2
	s_or_b32 exec_lo, exec_lo, s34
	s_and_saveexec_b32 s34, s31
	s_cbranch_execz .LBB1983_574
.LBB1983_573:                           ;   in Loop: Header=BB1983_400 Depth=2
	ds_load_u16 v2, v79 offset:7680
	s_waitcnt lgkmcnt(0)
	v_cmp_ne_u16_e64 s33, 0x8000, v2
	s_delay_alu instid0(VALU_DEP_1) | instskip(NEXT) | instid1(VALU_DEP_1)
	v_cndmask_b32_e64 v2, 0x7fff, v2, s33
	v_and_b32_e32 v2, 0xffff, v2
	s_delay_alu instid0(VALU_DEP_1) | instskip(NEXT) | instid1(VALU_DEP_1)
	v_lshrrev_b32_e32 v2, s48, v2
	v_and_b32_e32 v129, s55, v2
.LBB1983_574:                           ;   in Loop: Header=BB1983_400 Depth=2
	s_or_b32 exec_lo, exec_lo, s34
	v_lshlrev_b32_e32 v2, 3, v168
	v_lshlrev_b32_e32 v36, 3, v164
	s_waitcnt vmcnt(0)
	s_waitcnt_vscnt null, 0x0
	s_barrier
	buffer_gl0_inv
	ds_store_b64 v2, v[34:35] offset:1024
	v_lshlrev_b32_e32 v2, 3, v160
	v_lshlrev_b32_e32 v37, 3, v156
	;; [unrolled: 1-line block ×4, first 2 shown]
	ds_store_b64 v36, v[32:33] offset:1024
	ds_store_b64 v2, v[30:31] offset:1024
	;; [unrolled: 1-line block ×5, first 2 shown]
	v_lshlrev_b32_e32 v2, 3, v152
	v_lshlrev_b32_e32 v36, 3, v151
	;; [unrolled: 1-line block ×5, first 2 shown]
	ds_store_b64 v2, v[22:23] offset:1024
	ds_store_b64 v36, v[20:21] offset:1024
	;; [unrolled: 1-line block ×5, first 2 shown]
	v_lshlrev_b32_e32 v2, 3, v40
	v_lshlrev_b32_e32 v36, 3, v39
	;; [unrolled: 1-line block ×5, first 2 shown]
	ds_store_b64 v2, v[12:13] offset:1024
	ds_store_b64 v36, v[10:11] offset:1024
	;; [unrolled: 1-line block ×5, first 2 shown]
	s_waitcnt lgkmcnt(0)
	s_barrier
	buffer_gl0_inv
	s_and_saveexec_b32 s33, vcc_lo
	s_cbranch_execz .LBB1983_590
; %bb.575:                              ;   in Loop: Header=BB1983_400 Depth=2
	v_lshlrev_b32_e32 v2, 2, v144
	ds_load_b32 v2, v2
	ds_load_b64 v[36:37], v80 offset:1024
	s_waitcnt lgkmcnt(1)
	v_add_nc_u32_e32 v2, v2, v1
	s_delay_alu instid0(VALU_DEP_1) | instskip(NEXT) | instid1(VALU_DEP_1)
	v_lshlrev_b64 v[39:40], 3, v[2:3]
	v_add_co_u32 v39, vcc_lo, s46, v39
	s_delay_alu instid0(VALU_DEP_2)
	v_add_co_ci_u32_e32 v40, vcc_lo, s47, v40, vcc_lo
	s_waitcnt lgkmcnt(0)
	global_store_b64 v[39:40], v[36:37], off
	s_or_b32 exec_lo, exec_lo, s33
	s_and_saveexec_b32 s33, s17
	s_cbranch_execnz .LBB1983_591
.LBB1983_576:                           ;   in Loop: Header=BB1983_400 Depth=2
	s_or_b32 exec_lo, exec_lo, s33
	s_and_saveexec_b32 s17, s18
	s_cbranch_execz .LBB1983_592
.LBB1983_577:                           ;   in Loop: Header=BB1983_400 Depth=2
	v_lshlrev_b32_e32 v2, 2, v142
	v_add_nc_u32_e32 v36, v79, v81
	ds_load_b32 v2, v2
	ds_load_b64 v[36:37], v36 offset:4096
	s_waitcnt lgkmcnt(1)
	v_add_nc_u32_e32 v2, v2, v46
	s_delay_alu instid0(VALU_DEP_1) | instskip(NEXT) | instid1(VALU_DEP_1)
	v_lshlrev_b64 v[39:40], 3, v[2:3]
	v_add_co_u32 v39, vcc_lo, s46, v39
	s_delay_alu instid0(VALU_DEP_2)
	v_add_co_ci_u32_e32 v40, vcc_lo, s47, v40, vcc_lo
	s_waitcnt lgkmcnt(0)
	global_store_b64 v[39:40], v[36:37], off
	s_or_b32 exec_lo, exec_lo, s17
	s_and_saveexec_b32 s17, s19
	s_cbranch_execnz .LBB1983_593
.LBB1983_578:                           ;   in Loop: Header=BB1983_400 Depth=2
	s_or_b32 exec_lo, exec_lo, s17
	s_and_saveexec_b32 s17, s20
	s_cbranch_execz .LBB1983_594
.LBB1983_579:                           ;   in Loop: Header=BB1983_400 Depth=2
	v_lshlrev_b32_e32 v2, 2, v140
	v_add_nc_u32_e32 v36, v79, v81
	ds_load_b32 v2, v2
	ds_load_b64 v[36:37], v36 offset:8192
	s_waitcnt lgkmcnt(1)
	v_add_nc_u32_e32 v2, v2, v51
	s_delay_alu instid0(VALU_DEP_1) | instskip(NEXT) | instid1(VALU_DEP_1)
	v_lshlrev_b64 v[39:40], 3, v[2:3]
	v_add_co_u32 v39, vcc_lo, s46, v39
	s_delay_alu instid0(VALU_DEP_2)
	v_add_co_ci_u32_e32 v40, vcc_lo, s47, v40, vcc_lo
	s_waitcnt lgkmcnt(0)
	global_store_b64 v[39:40], v[36:37], off
	s_or_b32 exec_lo, exec_lo, s17
	s_and_saveexec_b32 s17, s21
	s_cbranch_execnz .LBB1983_595
.LBB1983_580:                           ;   in Loop: Header=BB1983_400 Depth=2
	s_or_b32 exec_lo, exec_lo, s17
	s_and_saveexec_b32 s17, s22
	s_cbranch_execz .LBB1983_596
.LBB1983_581:                           ;   in Loop: Header=BB1983_400 Depth=2
	v_lshlrev_b32_e32 v2, 2, v138
	v_add_nc_u32_e32 v36, v79, v81
	ds_load_b32 v2, v2
	ds_load_b64 v[36:37], v36 offset:12288
	s_waitcnt lgkmcnt(1)
	v_add_nc_u32_e32 v2, v2, v53
	s_delay_alu instid0(VALU_DEP_1) | instskip(NEXT) | instid1(VALU_DEP_1)
	v_lshlrev_b64 v[39:40], 3, v[2:3]
	v_add_co_u32 v39, vcc_lo, s46, v39
	s_delay_alu instid0(VALU_DEP_2)
	v_add_co_ci_u32_e32 v40, vcc_lo, s47, v40, vcc_lo
	s_waitcnt lgkmcnt(0)
	global_store_b64 v[39:40], v[36:37], off
	s_or_b32 exec_lo, exec_lo, s17
	s_and_saveexec_b32 s17, s23
	s_cbranch_execnz .LBB1983_597
.LBB1983_582:                           ;   in Loop: Header=BB1983_400 Depth=2
	s_or_b32 exec_lo, exec_lo, s17
	s_and_saveexec_b32 s17, s24
	s_cbranch_execz .LBB1983_598
.LBB1983_583:                           ;   in Loop: Header=BB1983_400 Depth=2
	v_lshlrev_b32_e32 v2, 2, v136
	v_add_nc_u32_e32 v36, v79, v81
	ds_load_b32 v2, v2
	ds_load_b64 v[36:37], v36 offset:16384
	s_waitcnt lgkmcnt(1)
	v_add_nc_u32_e32 v2, v2, v55
	s_delay_alu instid0(VALU_DEP_1) | instskip(NEXT) | instid1(VALU_DEP_1)
	v_lshlrev_b64 v[39:40], 3, v[2:3]
	v_add_co_u32 v39, vcc_lo, s46, v39
	s_delay_alu instid0(VALU_DEP_2)
	v_add_co_ci_u32_e32 v40, vcc_lo, s47, v40, vcc_lo
	s_waitcnt lgkmcnt(0)
	global_store_b64 v[39:40], v[36:37], off
	s_or_b32 exec_lo, exec_lo, s17
	s_and_saveexec_b32 s17, s25
	s_cbranch_execnz .LBB1983_599
.LBB1983_584:                           ;   in Loop: Header=BB1983_400 Depth=2
	s_or_b32 exec_lo, exec_lo, s17
	s_and_saveexec_b32 s17, s26
	s_cbranch_execz .LBB1983_600
.LBB1983_585:                           ;   in Loop: Header=BB1983_400 Depth=2
	v_lshlrev_b32_e32 v2, 2, v134
	v_add_nc_u32_e32 v36, v79, v81
	ds_load_b32 v2, v2
	ds_load_b64 v[36:37], v36 offset:20480
	s_waitcnt lgkmcnt(1)
	v_add_nc_u32_e32 v2, v2, v57
	s_delay_alu instid0(VALU_DEP_1) | instskip(NEXT) | instid1(VALU_DEP_1)
	v_lshlrev_b64 v[39:40], 3, v[2:3]
	v_add_co_u32 v39, vcc_lo, s46, v39
	s_delay_alu instid0(VALU_DEP_2)
	v_add_co_ci_u32_e32 v40, vcc_lo, s47, v40, vcc_lo
	s_waitcnt lgkmcnt(0)
	global_store_b64 v[39:40], v[36:37], off
	s_or_b32 exec_lo, exec_lo, s17
	s_and_saveexec_b32 s17, s27
	s_cbranch_execnz .LBB1983_601
.LBB1983_586:                           ;   in Loop: Header=BB1983_400 Depth=2
	s_or_b32 exec_lo, exec_lo, s17
	s_and_saveexec_b32 s17, s28
	s_cbranch_execz .LBB1983_602
.LBB1983_587:                           ;   in Loop: Header=BB1983_400 Depth=2
	v_lshlrev_b32_e32 v2, 2, v132
	v_add_nc_u32_e32 v36, v79, v81
	ds_load_b32 v2, v2
	ds_load_b64 v[36:37], v36 offset:24576
	s_waitcnt lgkmcnt(1)
	v_add_nc_u32_e32 v2, v2, v59
	s_delay_alu instid0(VALU_DEP_1) | instskip(NEXT) | instid1(VALU_DEP_1)
	v_lshlrev_b64 v[39:40], 3, v[2:3]
	v_add_co_u32 v39, vcc_lo, s46, v39
	s_delay_alu instid0(VALU_DEP_2)
	v_add_co_ci_u32_e32 v40, vcc_lo, s47, v40, vcc_lo
	s_waitcnt lgkmcnt(0)
	global_store_b64 v[39:40], v[36:37], off
	s_or_b32 exec_lo, exec_lo, s17
	s_and_saveexec_b32 s17, s29
	s_cbranch_execnz .LBB1983_603
.LBB1983_588:                           ;   in Loop: Header=BB1983_400 Depth=2
	s_or_b32 exec_lo, exec_lo, s17
	s_and_saveexec_b32 s17, s30
	s_cbranch_execz .LBB1983_604
.LBB1983_589:                           ;   in Loop: Header=BB1983_400 Depth=2
	v_lshlrev_b32_e32 v2, 2, v130
	v_add_nc_u32_e32 v36, v79, v81
	ds_load_b32 v2, v2
	ds_load_b64 v[36:37], v36 offset:28672
	s_waitcnt lgkmcnt(1)
	v_add_nc_u32_e32 v2, v2, v61
	s_delay_alu instid0(VALU_DEP_1) | instskip(NEXT) | instid1(VALU_DEP_1)
	v_lshlrev_b64 v[39:40], 3, v[2:3]
	v_add_co_u32 v39, vcc_lo, s46, v39
	s_delay_alu instid0(VALU_DEP_2)
	v_add_co_ci_u32_e32 v40, vcc_lo, s47, v40, vcc_lo
	s_waitcnt lgkmcnt(0)
	global_store_b64 v[39:40], v[36:37], off
	s_or_b32 exec_lo, exec_lo, s17
	s_and_saveexec_b32 s17, s31
	s_cbranch_execnz .LBB1983_605
	s_branch .LBB1983_606
.LBB1983_590:                           ;   in Loop: Header=BB1983_400 Depth=2
	s_or_b32 exec_lo, exec_lo, s33
	s_and_saveexec_b32 s33, s17
	s_cbranch_execz .LBB1983_576
.LBB1983_591:                           ;   in Loop: Header=BB1983_400 Depth=2
	v_lshlrev_b32_e32 v2, 2, v143
	v_add_nc_u32_e32 v36, v79, v81
	ds_load_b32 v2, v2
	ds_load_b64 v[36:37], v36 offset:2048
	s_waitcnt lgkmcnt(1)
	v_add_nc_u32_e32 v2, v2, v45
	s_delay_alu instid0(VALU_DEP_1) | instskip(NEXT) | instid1(VALU_DEP_1)
	v_lshlrev_b64 v[39:40], 3, v[2:3]
	v_add_co_u32 v39, vcc_lo, s46, v39
	s_delay_alu instid0(VALU_DEP_2)
	v_add_co_ci_u32_e32 v40, vcc_lo, s47, v40, vcc_lo
	s_waitcnt lgkmcnt(0)
	global_store_b64 v[39:40], v[36:37], off
	s_or_b32 exec_lo, exec_lo, s33
	s_and_saveexec_b32 s17, s18
	s_cbranch_execnz .LBB1983_577
.LBB1983_592:                           ;   in Loop: Header=BB1983_400 Depth=2
	s_or_b32 exec_lo, exec_lo, s17
	s_and_saveexec_b32 s17, s19
	s_cbranch_execz .LBB1983_578
.LBB1983_593:                           ;   in Loop: Header=BB1983_400 Depth=2
	v_lshlrev_b32_e32 v2, 2, v141
	v_add_nc_u32_e32 v36, v79, v81
	ds_load_b32 v2, v2
	ds_load_b64 v[36:37], v36 offset:6144
	s_waitcnt lgkmcnt(1)
	v_add_nc_u32_e32 v2, v2, v47
	s_delay_alu instid0(VALU_DEP_1) | instskip(NEXT) | instid1(VALU_DEP_1)
	v_lshlrev_b64 v[39:40], 3, v[2:3]
	v_add_co_u32 v39, vcc_lo, s46, v39
	s_delay_alu instid0(VALU_DEP_2)
	v_add_co_ci_u32_e32 v40, vcc_lo, s47, v40, vcc_lo
	s_waitcnt lgkmcnt(0)
	global_store_b64 v[39:40], v[36:37], off
	s_or_b32 exec_lo, exec_lo, s17
	s_and_saveexec_b32 s17, s20
	s_cbranch_execnz .LBB1983_579
.LBB1983_594:                           ;   in Loop: Header=BB1983_400 Depth=2
	s_or_b32 exec_lo, exec_lo, s17
	s_and_saveexec_b32 s17, s21
	s_cbranch_execz .LBB1983_580
.LBB1983_595:                           ;   in Loop: Header=BB1983_400 Depth=2
	v_lshlrev_b32_e32 v2, 2, v139
	v_add_nc_u32_e32 v36, v79, v81
	ds_load_b32 v2, v2
	ds_load_b64 v[36:37], v36 offset:10240
	s_waitcnt lgkmcnt(1)
	v_add_nc_u32_e32 v2, v2, v52
	s_delay_alu instid0(VALU_DEP_1) | instskip(NEXT) | instid1(VALU_DEP_1)
	v_lshlrev_b64 v[39:40], 3, v[2:3]
	v_add_co_u32 v39, vcc_lo, s46, v39
	s_delay_alu instid0(VALU_DEP_2)
	v_add_co_ci_u32_e32 v40, vcc_lo, s47, v40, vcc_lo
	s_waitcnt lgkmcnt(0)
	global_store_b64 v[39:40], v[36:37], off
	s_or_b32 exec_lo, exec_lo, s17
	s_and_saveexec_b32 s17, s22
	s_cbranch_execnz .LBB1983_581
.LBB1983_596:                           ;   in Loop: Header=BB1983_400 Depth=2
	s_or_b32 exec_lo, exec_lo, s17
	s_and_saveexec_b32 s17, s23
	s_cbranch_execz .LBB1983_582
.LBB1983_597:                           ;   in Loop: Header=BB1983_400 Depth=2
	v_lshlrev_b32_e32 v2, 2, v137
	v_add_nc_u32_e32 v36, v79, v81
	ds_load_b32 v2, v2
	ds_load_b64 v[36:37], v36 offset:14336
	s_waitcnt lgkmcnt(1)
	v_add_nc_u32_e32 v2, v2, v54
	s_delay_alu instid0(VALU_DEP_1) | instskip(NEXT) | instid1(VALU_DEP_1)
	v_lshlrev_b64 v[39:40], 3, v[2:3]
	v_add_co_u32 v39, vcc_lo, s46, v39
	s_delay_alu instid0(VALU_DEP_2)
	v_add_co_ci_u32_e32 v40, vcc_lo, s47, v40, vcc_lo
	s_waitcnt lgkmcnt(0)
	global_store_b64 v[39:40], v[36:37], off
	s_or_b32 exec_lo, exec_lo, s17
	s_and_saveexec_b32 s17, s24
	s_cbranch_execnz .LBB1983_583
.LBB1983_598:                           ;   in Loop: Header=BB1983_400 Depth=2
	s_or_b32 exec_lo, exec_lo, s17
	s_and_saveexec_b32 s17, s25
	s_cbranch_execz .LBB1983_584
.LBB1983_599:                           ;   in Loop: Header=BB1983_400 Depth=2
	v_lshlrev_b32_e32 v2, 2, v135
	v_add_nc_u32_e32 v36, v79, v81
	ds_load_b32 v2, v2
	ds_load_b64 v[36:37], v36 offset:18432
	s_waitcnt lgkmcnt(1)
	v_add_nc_u32_e32 v2, v2, v56
	s_delay_alu instid0(VALU_DEP_1) | instskip(NEXT) | instid1(VALU_DEP_1)
	v_lshlrev_b64 v[39:40], 3, v[2:3]
	v_add_co_u32 v39, vcc_lo, s46, v39
	s_delay_alu instid0(VALU_DEP_2)
	v_add_co_ci_u32_e32 v40, vcc_lo, s47, v40, vcc_lo
	s_waitcnt lgkmcnt(0)
	global_store_b64 v[39:40], v[36:37], off
	s_or_b32 exec_lo, exec_lo, s17
	s_and_saveexec_b32 s17, s26
	s_cbranch_execnz .LBB1983_585
.LBB1983_600:                           ;   in Loop: Header=BB1983_400 Depth=2
	s_or_b32 exec_lo, exec_lo, s17
	s_and_saveexec_b32 s17, s27
	s_cbranch_execz .LBB1983_586
.LBB1983_601:                           ;   in Loop: Header=BB1983_400 Depth=2
	v_lshlrev_b32_e32 v2, 2, v133
	v_add_nc_u32_e32 v36, v79, v81
	ds_load_b32 v2, v2
	ds_load_b64 v[36:37], v36 offset:22528
	s_waitcnt lgkmcnt(1)
	v_add_nc_u32_e32 v2, v2, v58
	s_delay_alu instid0(VALU_DEP_1) | instskip(NEXT) | instid1(VALU_DEP_1)
	v_lshlrev_b64 v[39:40], 3, v[2:3]
	v_add_co_u32 v39, vcc_lo, s46, v39
	s_delay_alu instid0(VALU_DEP_2)
	v_add_co_ci_u32_e32 v40, vcc_lo, s47, v40, vcc_lo
	s_waitcnt lgkmcnt(0)
	global_store_b64 v[39:40], v[36:37], off
	s_or_b32 exec_lo, exec_lo, s17
	s_and_saveexec_b32 s17, s28
	s_cbranch_execnz .LBB1983_587
.LBB1983_602:                           ;   in Loop: Header=BB1983_400 Depth=2
	s_or_b32 exec_lo, exec_lo, s17
	s_and_saveexec_b32 s17, s29
	s_cbranch_execz .LBB1983_588
.LBB1983_603:                           ;   in Loop: Header=BB1983_400 Depth=2
	v_lshlrev_b32_e32 v2, 2, v131
	v_add_nc_u32_e32 v36, v79, v81
	ds_load_b32 v2, v2
	ds_load_b64 v[36:37], v36 offset:26624
	s_waitcnt lgkmcnt(1)
	v_add_nc_u32_e32 v2, v2, v60
	s_delay_alu instid0(VALU_DEP_1) | instskip(NEXT) | instid1(VALU_DEP_1)
	v_lshlrev_b64 v[39:40], 3, v[2:3]
	v_add_co_u32 v39, vcc_lo, s46, v39
	s_delay_alu instid0(VALU_DEP_2)
	v_add_co_ci_u32_e32 v40, vcc_lo, s47, v40, vcc_lo
	s_waitcnt lgkmcnt(0)
	global_store_b64 v[39:40], v[36:37], off
	s_or_b32 exec_lo, exec_lo, s17
	s_and_saveexec_b32 s17, s30
	s_cbranch_execnz .LBB1983_589
.LBB1983_604:                           ;   in Loop: Header=BB1983_400 Depth=2
	s_or_b32 exec_lo, exec_lo, s17
	s_and_saveexec_b32 s17, s31
	s_cbranch_execz .LBB1983_606
.LBB1983_605:                           ;   in Loop: Header=BB1983_400 Depth=2
	v_lshlrev_b32_e32 v2, 2, v129
	v_add_nc_u32_e32 v36, v79, v81
	ds_load_b32 v2, v2
	ds_load_b64 v[36:37], v36 offset:30720
	s_waitcnt lgkmcnt(1)
	v_add_nc_u32_e32 v2, v2, v63
	s_delay_alu instid0(VALU_DEP_1) | instskip(NEXT) | instid1(VALU_DEP_1)
	v_lshlrev_b64 v[39:40], 3, v[2:3]
	v_add_co_u32 v39, vcc_lo, s46, v39
	s_delay_alu instid0(VALU_DEP_2)
	v_add_co_ci_u32_e32 v40, vcc_lo, s47, v40, vcc_lo
	s_waitcnt lgkmcnt(0)
	global_store_b64 v[39:40], v[36:37], off
.LBB1983_606:                           ;   in Loop: Header=BB1983_400 Depth=2
	s_or_b32 exec_lo, exec_lo, s17
	s_waitcnt_vscnt null, 0x0
	s_barrier
	buffer_gl0_inv
	s_and_saveexec_b32 s17, s2
	s_cbranch_execz .LBB1983_399
; %bb.607:                              ;   in Loop: Header=BB1983_400 Depth=2
	ds_load_b32 v2, v44
	s_waitcnt lgkmcnt(0)
	v_add_nc_u32_e32 v2, v2, v38
	ds_store_b32 v44, v2
	s_branch .LBB1983_399
.LBB1983_608:                           ;   in Loop: Header=BB1983_20 Depth=1
	s_waitcnt lgkmcnt(0)
	s_barrier
.LBB1983_609:                           ;   in Loop: Header=BB1983_20 Depth=1
	s_mov_b32 s0, 0
.LBB1983_610:                           ;   in Loop: Header=BB1983_20 Depth=1
	s_delay_alu instid0(SALU_CYCLE_1)
	s_and_not1_b32 vcc_lo, exec_lo, s0
	s_cbranch_vccnz .LBB1983_19
; %bb.611:                              ;   in Loop: Header=BB1983_20 Depth=1
	s_and_b32 vcc_lo, exec_lo, s51
	s_mov_b32 s0, -1
	s_cbranch_vccz .LBB1983_905
; %bb.612:                              ;   in Loop: Header=BB1983_20 Depth=1
	s_mov_b32 s8, s54
	s_mov_b32 s34, s52
	s_barrier
	buffer_gl0_inv
                                        ; implicit-def: $vgpr20
                                        ; implicit-def: $vgpr2
                                        ; implicit-def: $vgpr6
                                        ; implicit-def: $vgpr7
                                        ; implicit-def: $vgpr8
                                        ; implicit-def: $vgpr9
                                        ; implicit-def: $vgpr10
                                        ; implicit-def: $vgpr11
                                        ; implicit-def: $vgpr12
                                        ; implicit-def: $vgpr13
                                        ; implicit-def: $vgpr14
                                        ; implicit-def: $vgpr15
                                        ; implicit-def: $vgpr16
                                        ; implicit-def: $vgpr17
                                        ; implicit-def: $vgpr18
                                        ; implicit-def: $vgpr19
	s_branch .LBB1983_614
.LBB1983_613:                           ;   in Loop: Header=BB1983_614 Depth=2
	s_or_b32 exec_lo, exec_lo, s0
	s_addk_i32 s8, 0xf000
	s_cmp_ge_u32 s9, s53
	s_mov_b32 s34, s9
	s_cbranch_scc1 .LBB1983_684
.LBB1983_614:                           ;   Parent Loop BB1983_20 Depth=1
                                        ; =>  This Inner Loop Header: Depth=2
	s_add_i32 s9, s34, 0x1000
	s_delay_alu instid0(SALU_CYCLE_1)
	s_cmp_gt_u32 s9, s53
	s_cbranch_scc1 .LBB1983_617
; %bb.615:                              ;   in Loop: Header=BB1983_614 Depth=2
	s_mov_b32 s1, 0
	s_mov_b32 s0, s34
	s_delay_alu instid0(SALU_CYCLE_1) | instskip(NEXT) | instid1(SALU_CYCLE_1)
	s_lshl_b64 s[10:11], s[0:1], 1
	v_add_co_u32 v4, vcc_lo, v88, s10
	v_add_co_ci_u32_e32 v5, vcc_lo, s11, v89, vcc_lo
	s_movk_i32 s11, 0x1000
	s_waitcnt vmcnt(0)
	s_delay_alu instid0(VALU_DEP_2) | instskip(NEXT) | instid1(VALU_DEP_2)
	v_add_co_u32 v36, vcc_lo, 0x1000, v4
	v_add_co_ci_u32_e32 v37, vcc_lo, 0, v5, vcc_lo
	s_clause 0xe
	global_load_u16 v22, v[4:5], off
	global_load_u16 v23, v[4:5], off offset:512
	global_load_u16 v24, v[4:5], off offset:1024
	;; [unrolled: 1-line block ×7, first 2 shown]
	global_load_u16 v30, v[36:37], off
	global_load_u16 v31, v[36:37], off offset:512
	global_load_u16 v32, v[36:37], off offset:1024
	;; [unrolled: 1-line block ×6, first 2 shown]
	v_add_co_u32 v4, vcc_lo, 0x1e00, v4
	v_add_co_ci_u32_e32 v5, vcc_lo, 0, v5, vcc_lo
	s_mov_b32 s10, -1
	s_cbranch_execz .LBB1983_618
; %bb.616:                              ;   in Loop: Header=BB1983_614 Depth=2
                                        ; implicit-def: $vgpr19
                                        ; implicit-def: $vgpr18
                                        ; implicit-def: $vgpr17
                                        ; implicit-def: $vgpr16
                                        ; implicit-def: $vgpr15
                                        ; implicit-def: $vgpr14
                                        ; implicit-def: $vgpr13
                                        ; implicit-def: $vgpr12
                                        ; implicit-def: $vgpr11
                                        ; implicit-def: $vgpr10
                                        ; implicit-def: $vgpr9
                                        ; implicit-def: $vgpr8
                                        ; implicit-def: $vgpr7
                                        ; implicit-def: $vgpr6
                                        ; implicit-def: $vgpr2
                                        ; implicit-def: $vgpr20
	v_mov_b32_e32 v21, s8
	s_and_saveexec_b32 s0, s10
	s_cbranch_execnz .LBB1983_637
	s_branch .LBB1983_638
.LBB1983_617:                           ;   in Loop: Header=BB1983_614 Depth=2
	s_mov_b32 s10, 0
                                        ; implicit-def: $sgpr11
                                        ; implicit-def: $vgpr22
                                        ; implicit-def: $vgpr23
                                        ; implicit-def: $vgpr24
                                        ; implicit-def: $vgpr25
                                        ; implicit-def: $vgpr26
                                        ; implicit-def: $vgpr27
                                        ; implicit-def: $vgpr28
                                        ; implicit-def: $vgpr29
                                        ; implicit-def: $vgpr30
                                        ; implicit-def: $vgpr31
                                        ; implicit-def: $vgpr32
                                        ; implicit-def: $vgpr33
                                        ; implicit-def: $vgpr34
                                        ; implicit-def: $vgpr35
                                        ; implicit-def: $vgpr36
                                        ; implicit-def: $vgpr4_vgpr5
.LBB1983_618:                           ;   in Loop: Header=BB1983_614 Depth=2
	s_lshl_b64 s[0:1], s[34:35], 1
	s_mov_b32 s11, exec_lo
	s_add_u32 s0, s36, s0
	s_addc_u32 s1, s37, s1
	v_cmpx_gt_u32_e64 s8, v1
	s_cbranch_execz .LBB1983_670
; %bb.619:                              ;   in Loop: Header=BB1983_614 Depth=2
	global_load_u16 v19, v95, s[0:1]
	s_or_b32 exec_lo, exec_lo, s11
	s_delay_alu instid0(SALU_CYCLE_1)
	s_mov_b32 s11, exec_lo
	v_cmpx_gt_u32_e64 s8, v45
	s_cbranch_execnz .LBB1983_671
.LBB1983_620:                           ;   in Loop: Header=BB1983_614 Depth=2
	s_or_b32 exec_lo, exec_lo, s11
	s_delay_alu instid0(SALU_CYCLE_1)
	s_mov_b32 s11, exec_lo
	v_cmpx_gt_u32_e64 s8, v46
	s_cbranch_execz .LBB1983_672
.LBB1983_621:                           ;   in Loop: Header=BB1983_614 Depth=2
	global_load_u16 v17, v95, s[0:1] offset:1024
	s_or_b32 exec_lo, exec_lo, s11
	s_delay_alu instid0(SALU_CYCLE_1)
	s_mov_b32 s11, exec_lo
	v_cmpx_gt_u32_e64 s8, v47
	s_cbranch_execnz .LBB1983_673
.LBB1983_622:                           ;   in Loop: Header=BB1983_614 Depth=2
	s_or_b32 exec_lo, exec_lo, s11
	s_delay_alu instid0(SALU_CYCLE_1)
	s_mov_b32 s11, exec_lo
	v_cmpx_gt_u32_e64 s8, v51
	s_cbranch_execz .LBB1983_674
.LBB1983_623:                           ;   in Loop: Header=BB1983_614 Depth=2
	global_load_u16 v15, v95, s[0:1] offset:2048
	s_or_b32 exec_lo, exec_lo, s11
	s_delay_alu instid0(SALU_CYCLE_1)
	s_mov_b32 s11, exec_lo
	v_cmpx_gt_u32_e64 s8, v52
	s_cbranch_execnz .LBB1983_675
.LBB1983_624:                           ;   in Loop: Header=BB1983_614 Depth=2
	s_or_b32 exec_lo, exec_lo, s11
	s_delay_alu instid0(SALU_CYCLE_1)
	s_mov_b32 s11, exec_lo
	v_cmpx_gt_u32_e64 s8, v53
	s_cbranch_execz .LBB1983_676
.LBB1983_625:                           ;   in Loop: Header=BB1983_614 Depth=2
	global_load_u16 v13, v95, s[0:1] offset:3072
	s_or_b32 exec_lo, exec_lo, s11
	s_delay_alu instid0(SALU_CYCLE_1)
	s_mov_b32 s11, exec_lo
	v_cmpx_gt_u32_e64 s8, v54
	s_cbranch_execnz .LBB1983_677
.LBB1983_626:                           ;   in Loop: Header=BB1983_614 Depth=2
	s_or_b32 exec_lo, exec_lo, s11
	s_delay_alu instid0(SALU_CYCLE_1)
	s_mov_b32 s11, exec_lo
	v_cmpx_gt_u32_e64 s8, v55
	s_cbranch_execz .LBB1983_678
.LBB1983_627:                           ;   in Loop: Header=BB1983_614 Depth=2
	global_load_u16 v11, v96, s[0:1]
	s_or_b32 exec_lo, exec_lo, s11
	s_delay_alu instid0(SALU_CYCLE_1)
	s_mov_b32 s11, exec_lo
	v_cmpx_gt_u32_e64 s8, v56
	s_cbranch_execnz .LBB1983_679
.LBB1983_628:                           ;   in Loop: Header=BB1983_614 Depth=2
	s_or_b32 exec_lo, exec_lo, s11
	s_delay_alu instid0(SALU_CYCLE_1)
	s_mov_b32 s11, exec_lo
	v_cmpx_gt_u32_e64 s8, v57
	s_cbranch_execz .LBB1983_680
.LBB1983_629:                           ;   in Loop: Header=BB1983_614 Depth=2
	global_load_u16 v9, v98, s[0:1]
	s_or_b32 exec_lo, exec_lo, s11
	s_delay_alu instid0(SALU_CYCLE_1)
	s_mov_b32 s11, exec_lo
	v_cmpx_gt_u32_e64 s8, v58
	s_cbranch_execnz .LBB1983_681
.LBB1983_630:                           ;   in Loop: Header=BB1983_614 Depth=2
	s_or_b32 exec_lo, exec_lo, s11
	s_delay_alu instid0(SALU_CYCLE_1)
	s_mov_b32 s11, exec_lo
	v_cmpx_gt_u32_e64 s8, v59
	s_cbranch_execz .LBB1983_682
.LBB1983_631:                           ;   in Loop: Header=BB1983_614 Depth=2
	global_load_u16 v7, v100, s[0:1]
	s_or_b32 exec_lo, exec_lo, s11
	s_delay_alu instid0(SALU_CYCLE_1)
	s_mov_b32 s11, exec_lo
	v_cmpx_gt_u32_e64 s8, v60
	s_cbranch_execnz .LBB1983_683
.LBB1983_632:                           ;   in Loop: Header=BB1983_614 Depth=2
	s_or_b32 exec_lo, exec_lo, s11
	s_delay_alu instid0(SALU_CYCLE_1)
	s_mov_b32 s11, exec_lo
	v_cmpx_gt_u32_e64 s8, v61
	s_cbranch_execz .LBB1983_634
.LBB1983_633:                           ;   in Loop: Header=BB1983_614 Depth=2
	global_load_u16 v2, v102, s[0:1]
.LBB1983_634:                           ;   in Loop: Header=BB1983_614 Depth=2
	s_or_b32 exec_lo, exec_lo, s11
	s_delay_alu instid0(SALU_CYCLE_1)
	s_mov_b32 s12, exec_lo
                                        ; implicit-def: $sgpr11
                                        ; implicit-def: $vgpr4_vgpr5
	v_cmpx_gt_u32_e64 s8, v63
; %bb.635:                              ;   in Loop: Header=BB1983_614 Depth=2
	v_add_co_u32 v4, s0, s0, v103
	s_delay_alu instid0(VALU_DEP_1)
	v_add_co_ci_u32_e64 v5, null, s1, 0, s0
	s_sub_i32 s11, s53, s34
	s_or_b32 s10, s10, exec_lo
                                        ; implicit-def: $vgpr20
; %bb.636:                              ;   in Loop: Header=BB1983_614 Depth=2
	s_or_b32 exec_lo, exec_lo, s12
	s_waitcnt vmcnt(0)
	v_dual_mov_b32 v22, v19 :: v_dual_mov_b32 v23, v18
	v_dual_mov_b32 v24, v17 :: v_dual_mov_b32 v25, v16
	;; [unrolled: 1-line block ×8, first 2 shown]
	s_and_saveexec_b32 s0, s10
	s_cbranch_execz .LBB1983_638
.LBB1983_637:                           ;   in Loop: Header=BB1983_614 Depth=2
	global_load_u16 v20, v[4:5], off
	s_waitcnt vmcnt(1)
	v_dual_mov_b32 v21, s11 :: v_dual_mov_b32 v2, v36
	v_dual_mov_b32 v6, v35 :: v_dual_mov_b32 v7, v34
	;; [unrolled: 1-line block ×8, first 2 shown]
.LBB1983_638:                           ;   in Loop: Header=BB1983_614 Depth=2
	s_or_b32 exec_lo, exec_lo, s0
	s_delay_alu instid0(SALU_CYCLE_1)
	s_mov_b32 s0, exec_lo
	v_cmpx_lt_u32_e64 v1, v21
	s_cbranch_execz .LBB1983_654
; %bb.639:                              ;   in Loop: Header=BB1983_614 Depth=2
	v_cmp_gt_i16_e32 vcc_lo, 0, v19
	v_lshlrev_b32_e32 v5, 2, v48
	v_cndmask_b32_e64 v4, 0x7fff, 0, vcc_lo
	s_delay_alu instid0(VALU_DEP_1) | instskip(NEXT) | instid1(VALU_DEP_1)
	v_xor_b32_e32 v4, v4, v19
	v_cmp_ne_u16_e32 vcc_lo, 0x8000, v4
	v_cndmask_b32_e32 v4, 0x7fff, v4, vcc_lo
	s_delay_alu instid0(VALU_DEP_1) | instskip(NEXT) | instid1(VALU_DEP_1)
	v_and_b32_e32 v4, 0xffff, v4
	v_lshrrev_b32_e32 v4, s49, v4
	s_delay_alu instid0(VALU_DEP_1) | instskip(NEXT) | instid1(VALU_DEP_1)
	v_and_b32_e32 v4, s55, v4
	v_lshl_or_b32 v4, v4, 4, v5
	ds_add_u32 v4, v94
	s_or_b32 exec_lo, exec_lo, s0
	s_delay_alu instid0(SALU_CYCLE_1)
	s_mov_b32 s0, exec_lo
	v_cmpx_lt_u32_e64 v45, v21
	s_cbranch_execnz .LBB1983_655
.LBB1983_640:                           ;   in Loop: Header=BB1983_614 Depth=2
	s_or_b32 exec_lo, exec_lo, s0
	s_delay_alu instid0(SALU_CYCLE_1)
	s_mov_b32 s0, exec_lo
	v_cmpx_lt_u32_e64 v46, v21
	s_cbranch_execz .LBB1983_656
.LBB1983_641:                           ;   in Loop: Header=BB1983_614 Depth=2
	v_cmp_gt_i16_e32 vcc_lo, 0, v17
	v_lshlrev_b32_e32 v5, 2, v48
	v_cndmask_b32_e64 v4, 0x7fff, 0, vcc_lo
	s_delay_alu instid0(VALU_DEP_1) | instskip(NEXT) | instid1(VALU_DEP_1)
	v_xor_b32_e32 v4, v4, v17
	v_cmp_ne_u16_e32 vcc_lo, 0x8000, v4
	v_cndmask_b32_e32 v4, 0x7fff, v4, vcc_lo
	s_delay_alu instid0(VALU_DEP_1) | instskip(NEXT) | instid1(VALU_DEP_1)
	v_and_b32_e32 v4, 0xffff, v4
	v_lshrrev_b32_e32 v4, s49, v4
	s_delay_alu instid0(VALU_DEP_1) | instskip(NEXT) | instid1(VALU_DEP_1)
	v_and_b32_e32 v4, s55, v4
	v_lshl_or_b32 v4, v4, 4, v5
	ds_add_u32 v4, v94
	s_or_b32 exec_lo, exec_lo, s0
	s_delay_alu instid0(SALU_CYCLE_1)
	s_mov_b32 s0, exec_lo
	v_cmpx_lt_u32_e64 v47, v21
	s_cbranch_execnz .LBB1983_657
.LBB1983_642:                           ;   in Loop: Header=BB1983_614 Depth=2
	s_or_b32 exec_lo, exec_lo, s0
	s_delay_alu instid0(SALU_CYCLE_1)
	s_mov_b32 s0, exec_lo
	v_cmpx_lt_u32_e64 v51, v21
	s_cbranch_execz .LBB1983_658
.LBB1983_643:                           ;   in Loop: Header=BB1983_614 Depth=2
	v_cmp_gt_i16_e32 vcc_lo, 0, v15
	v_lshlrev_b32_e32 v5, 2, v48
	v_cndmask_b32_e64 v4, 0x7fff, 0, vcc_lo
	s_delay_alu instid0(VALU_DEP_1) | instskip(NEXT) | instid1(VALU_DEP_1)
	v_xor_b32_e32 v4, v4, v15
	v_cmp_ne_u16_e32 vcc_lo, 0x8000, v4
	v_cndmask_b32_e32 v4, 0x7fff, v4, vcc_lo
	s_delay_alu instid0(VALU_DEP_1) | instskip(NEXT) | instid1(VALU_DEP_1)
	v_and_b32_e32 v4, 0xffff, v4
	v_lshrrev_b32_e32 v4, s49, v4
	s_delay_alu instid0(VALU_DEP_1) | instskip(NEXT) | instid1(VALU_DEP_1)
	v_and_b32_e32 v4, s55, v4
	v_lshl_or_b32 v4, v4, 4, v5
	ds_add_u32 v4, v94
	s_or_b32 exec_lo, exec_lo, s0
	s_delay_alu instid0(SALU_CYCLE_1)
	s_mov_b32 s0, exec_lo
	v_cmpx_lt_u32_e64 v52, v21
	s_cbranch_execnz .LBB1983_659
.LBB1983_644:                           ;   in Loop: Header=BB1983_614 Depth=2
	s_or_b32 exec_lo, exec_lo, s0
	s_delay_alu instid0(SALU_CYCLE_1)
	s_mov_b32 s0, exec_lo
	v_cmpx_lt_u32_e64 v53, v21
	s_cbranch_execz .LBB1983_660
.LBB1983_645:                           ;   in Loop: Header=BB1983_614 Depth=2
	v_cmp_gt_i16_e32 vcc_lo, 0, v13
	v_lshlrev_b32_e32 v5, 2, v48
	v_cndmask_b32_e64 v4, 0x7fff, 0, vcc_lo
	s_delay_alu instid0(VALU_DEP_1) | instskip(NEXT) | instid1(VALU_DEP_1)
	v_xor_b32_e32 v4, v4, v13
	v_cmp_ne_u16_e32 vcc_lo, 0x8000, v4
	v_cndmask_b32_e32 v4, 0x7fff, v4, vcc_lo
	s_delay_alu instid0(VALU_DEP_1) | instskip(NEXT) | instid1(VALU_DEP_1)
	v_and_b32_e32 v4, 0xffff, v4
	v_lshrrev_b32_e32 v4, s49, v4
	s_delay_alu instid0(VALU_DEP_1) | instskip(NEXT) | instid1(VALU_DEP_1)
	v_and_b32_e32 v4, s55, v4
	v_lshl_or_b32 v4, v4, 4, v5
	ds_add_u32 v4, v94
	s_or_b32 exec_lo, exec_lo, s0
	s_delay_alu instid0(SALU_CYCLE_1)
	s_mov_b32 s0, exec_lo
	v_cmpx_lt_u32_e64 v54, v21
	s_cbranch_execnz .LBB1983_661
.LBB1983_646:                           ;   in Loop: Header=BB1983_614 Depth=2
	s_or_b32 exec_lo, exec_lo, s0
	s_delay_alu instid0(SALU_CYCLE_1)
	s_mov_b32 s0, exec_lo
	v_cmpx_lt_u32_e64 v55, v21
	s_cbranch_execz .LBB1983_662
.LBB1983_647:                           ;   in Loop: Header=BB1983_614 Depth=2
	v_cmp_gt_i16_e32 vcc_lo, 0, v11
	v_lshlrev_b32_e32 v5, 2, v48
	v_cndmask_b32_e64 v4, 0x7fff, 0, vcc_lo
	s_delay_alu instid0(VALU_DEP_1) | instskip(NEXT) | instid1(VALU_DEP_1)
	v_xor_b32_e32 v4, v4, v11
	v_cmp_ne_u16_e32 vcc_lo, 0x8000, v4
	v_cndmask_b32_e32 v4, 0x7fff, v4, vcc_lo
	s_delay_alu instid0(VALU_DEP_1) | instskip(NEXT) | instid1(VALU_DEP_1)
	v_and_b32_e32 v4, 0xffff, v4
	v_lshrrev_b32_e32 v4, s49, v4
	s_delay_alu instid0(VALU_DEP_1) | instskip(NEXT) | instid1(VALU_DEP_1)
	v_and_b32_e32 v4, s55, v4
	v_lshl_or_b32 v4, v4, 4, v5
	ds_add_u32 v4, v94
	s_or_b32 exec_lo, exec_lo, s0
	s_delay_alu instid0(SALU_CYCLE_1)
	s_mov_b32 s0, exec_lo
	v_cmpx_lt_u32_e64 v56, v21
	s_cbranch_execnz .LBB1983_663
.LBB1983_648:                           ;   in Loop: Header=BB1983_614 Depth=2
	s_or_b32 exec_lo, exec_lo, s0
	s_delay_alu instid0(SALU_CYCLE_1)
	s_mov_b32 s0, exec_lo
	v_cmpx_lt_u32_e64 v57, v21
	s_cbranch_execz .LBB1983_664
.LBB1983_649:                           ;   in Loop: Header=BB1983_614 Depth=2
	v_cmp_gt_i16_e32 vcc_lo, 0, v9
	v_lshlrev_b32_e32 v5, 2, v48
	v_cndmask_b32_e64 v4, 0x7fff, 0, vcc_lo
	s_delay_alu instid0(VALU_DEP_1) | instskip(NEXT) | instid1(VALU_DEP_1)
	v_xor_b32_e32 v4, v4, v9
	v_cmp_ne_u16_e32 vcc_lo, 0x8000, v4
	v_cndmask_b32_e32 v4, 0x7fff, v4, vcc_lo
	s_delay_alu instid0(VALU_DEP_1) | instskip(NEXT) | instid1(VALU_DEP_1)
	v_and_b32_e32 v4, 0xffff, v4
	v_lshrrev_b32_e32 v4, s49, v4
	s_delay_alu instid0(VALU_DEP_1) | instskip(NEXT) | instid1(VALU_DEP_1)
	v_and_b32_e32 v4, s55, v4
	v_lshl_or_b32 v4, v4, 4, v5
	ds_add_u32 v4, v94
	s_or_b32 exec_lo, exec_lo, s0
	s_delay_alu instid0(SALU_CYCLE_1)
	s_mov_b32 s0, exec_lo
	v_cmpx_lt_u32_e64 v58, v21
	s_cbranch_execnz .LBB1983_665
.LBB1983_650:                           ;   in Loop: Header=BB1983_614 Depth=2
	s_or_b32 exec_lo, exec_lo, s0
	s_delay_alu instid0(SALU_CYCLE_1)
	s_mov_b32 s0, exec_lo
	v_cmpx_lt_u32_e64 v59, v21
	s_cbranch_execz .LBB1983_666
.LBB1983_651:                           ;   in Loop: Header=BB1983_614 Depth=2
	v_cmp_gt_i16_e32 vcc_lo, 0, v7
	v_lshlrev_b32_e32 v5, 2, v48
	v_cndmask_b32_e64 v4, 0x7fff, 0, vcc_lo
	s_delay_alu instid0(VALU_DEP_1) | instskip(NEXT) | instid1(VALU_DEP_1)
	v_xor_b32_e32 v4, v4, v7
	v_cmp_ne_u16_e32 vcc_lo, 0x8000, v4
	v_cndmask_b32_e32 v4, 0x7fff, v4, vcc_lo
	s_delay_alu instid0(VALU_DEP_1) | instskip(NEXT) | instid1(VALU_DEP_1)
	v_and_b32_e32 v4, 0xffff, v4
	v_lshrrev_b32_e32 v4, s49, v4
	s_delay_alu instid0(VALU_DEP_1) | instskip(NEXT) | instid1(VALU_DEP_1)
	v_and_b32_e32 v4, s55, v4
	v_lshl_or_b32 v4, v4, 4, v5
	ds_add_u32 v4, v94
	s_or_b32 exec_lo, exec_lo, s0
	s_delay_alu instid0(SALU_CYCLE_1)
	s_mov_b32 s0, exec_lo
	v_cmpx_lt_u32_e64 v60, v21
	s_cbranch_execnz .LBB1983_667
.LBB1983_652:                           ;   in Loop: Header=BB1983_614 Depth=2
	s_or_b32 exec_lo, exec_lo, s0
	s_delay_alu instid0(SALU_CYCLE_1)
	s_mov_b32 s0, exec_lo
	v_cmpx_lt_u32_e64 v61, v21
	s_cbranch_execz .LBB1983_668
.LBB1983_653:                           ;   in Loop: Header=BB1983_614 Depth=2
	v_cmp_gt_i16_e32 vcc_lo, 0, v2
	v_lshlrev_b32_e32 v5, 2, v48
	v_cndmask_b32_e64 v4, 0x7fff, 0, vcc_lo
	s_delay_alu instid0(VALU_DEP_1) | instskip(NEXT) | instid1(VALU_DEP_1)
	v_xor_b32_e32 v4, v4, v2
	v_cmp_ne_u16_e32 vcc_lo, 0x8000, v4
	v_cndmask_b32_e32 v4, 0x7fff, v4, vcc_lo
	s_delay_alu instid0(VALU_DEP_1) | instskip(NEXT) | instid1(VALU_DEP_1)
	v_and_b32_e32 v4, 0xffff, v4
	v_lshrrev_b32_e32 v4, s49, v4
	s_delay_alu instid0(VALU_DEP_1) | instskip(NEXT) | instid1(VALU_DEP_1)
	v_and_b32_e32 v4, s55, v4
	v_lshl_or_b32 v4, v4, 4, v5
	ds_add_u32 v4, v94
	s_or_b32 exec_lo, exec_lo, s0
	s_delay_alu instid0(SALU_CYCLE_1)
	s_mov_b32 s0, exec_lo
	v_cmpx_lt_u32_e64 v63, v21
	s_cbranch_execz .LBB1983_613
	s_branch .LBB1983_669
.LBB1983_654:                           ;   in Loop: Header=BB1983_614 Depth=2
	s_or_b32 exec_lo, exec_lo, s0
	s_delay_alu instid0(SALU_CYCLE_1)
	s_mov_b32 s0, exec_lo
	v_cmpx_lt_u32_e64 v45, v21
	s_cbranch_execz .LBB1983_640
.LBB1983_655:                           ;   in Loop: Header=BB1983_614 Depth=2
	v_cmp_gt_i16_e32 vcc_lo, 0, v18
	v_lshlrev_b32_e32 v5, 2, v48
	v_cndmask_b32_e64 v4, 0x7fff, 0, vcc_lo
	s_delay_alu instid0(VALU_DEP_1) | instskip(NEXT) | instid1(VALU_DEP_1)
	v_xor_b32_e32 v4, v4, v18
	v_cmp_ne_u16_e32 vcc_lo, 0x8000, v4
	v_cndmask_b32_e32 v4, 0x7fff, v4, vcc_lo
	s_delay_alu instid0(VALU_DEP_1) | instskip(NEXT) | instid1(VALU_DEP_1)
	v_and_b32_e32 v4, 0xffff, v4
	v_lshrrev_b32_e32 v4, s49, v4
	s_delay_alu instid0(VALU_DEP_1) | instskip(NEXT) | instid1(VALU_DEP_1)
	v_and_b32_e32 v4, s55, v4
	v_lshl_or_b32 v4, v4, 4, v5
	ds_add_u32 v4, v94
	s_or_b32 exec_lo, exec_lo, s0
	s_delay_alu instid0(SALU_CYCLE_1)
	s_mov_b32 s0, exec_lo
	v_cmpx_lt_u32_e64 v46, v21
	s_cbranch_execnz .LBB1983_641
.LBB1983_656:                           ;   in Loop: Header=BB1983_614 Depth=2
	s_or_b32 exec_lo, exec_lo, s0
	s_delay_alu instid0(SALU_CYCLE_1)
	s_mov_b32 s0, exec_lo
	v_cmpx_lt_u32_e64 v47, v21
	s_cbranch_execz .LBB1983_642
.LBB1983_657:                           ;   in Loop: Header=BB1983_614 Depth=2
	v_cmp_gt_i16_e32 vcc_lo, 0, v16
	v_lshlrev_b32_e32 v5, 2, v48
	v_cndmask_b32_e64 v4, 0x7fff, 0, vcc_lo
	s_delay_alu instid0(VALU_DEP_1) | instskip(NEXT) | instid1(VALU_DEP_1)
	v_xor_b32_e32 v4, v4, v16
	v_cmp_ne_u16_e32 vcc_lo, 0x8000, v4
	v_cndmask_b32_e32 v4, 0x7fff, v4, vcc_lo
	s_delay_alu instid0(VALU_DEP_1) | instskip(NEXT) | instid1(VALU_DEP_1)
	v_and_b32_e32 v4, 0xffff, v4
	v_lshrrev_b32_e32 v4, s49, v4
	s_delay_alu instid0(VALU_DEP_1) | instskip(NEXT) | instid1(VALU_DEP_1)
	v_and_b32_e32 v4, s55, v4
	v_lshl_or_b32 v4, v4, 4, v5
	ds_add_u32 v4, v94
	s_or_b32 exec_lo, exec_lo, s0
	s_delay_alu instid0(SALU_CYCLE_1)
	s_mov_b32 s0, exec_lo
	v_cmpx_lt_u32_e64 v51, v21
	s_cbranch_execnz .LBB1983_643
.LBB1983_658:                           ;   in Loop: Header=BB1983_614 Depth=2
	s_or_b32 exec_lo, exec_lo, s0
	s_delay_alu instid0(SALU_CYCLE_1)
	s_mov_b32 s0, exec_lo
	v_cmpx_lt_u32_e64 v52, v21
	s_cbranch_execz .LBB1983_644
.LBB1983_659:                           ;   in Loop: Header=BB1983_614 Depth=2
	v_cmp_gt_i16_e32 vcc_lo, 0, v14
	v_lshlrev_b32_e32 v5, 2, v48
	v_cndmask_b32_e64 v4, 0x7fff, 0, vcc_lo
	s_delay_alu instid0(VALU_DEP_1) | instskip(NEXT) | instid1(VALU_DEP_1)
	v_xor_b32_e32 v4, v4, v14
	v_cmp_ne_u16_e32 vcc_lo, 0x8000, v4
	v_cndmask_b32_e32 v4, 0x7fff, v4, vcc_lo
	s_delay_alu instid0(VALU_DEP_1) | instskip(NEXT) | instid1(VALU_DEP_1)
	v_and_b32_e32 v4, 0xffff, v4
	v_lshrrev_b32_e32 v4, s49, v4
	s_delay_alu instid0(VALU_DEP_1) | instskip(NEXT) | instid1(VALU_DEP_1)
	v_and_b32_e32 v4, s55, v4
	v_lshl_or_b32 v4, v4, 4, v5
	ds_add_u32 v4, v94
	s_or_b32 exec_lo, exec_lo, s0
	s_delay_alu instid0(SALU_CYCLE_1)
	s_mov_b32 s0, exec_lo
	v_cmpx_lt_u32_e64 v53, v21
	s_cbranch_execnz .LBB1983_645
.LBB1983_660:                           ;   in Loop: Header=BB1983_614 Depth=2
	s_or_b32 exec_lo, exec_lo, s0
	s_delay_alu instid0(SALU_CYCLE_1)
	s_mov_b32 s0, exec_lo
	v_cmpx_lt_u32_e64 v54, v21
	s_cbranch_execz .LBB1983_646
.LBB1983_661:                           ;   in Loop: Header=BB1983_614 Depth=2
	v_cmp_gt_i16_e32 vcc_lo, 0, v12
	v_lshlrev_b32_e32 v5, 2, v48
	v_cndmask_b32_e64 v4, 0x7fff, 0, vcc_lo
	s_delay_alu instid0(VALU_DEP_1) | instskip(NEXT) | instid1(VALU_DEP_1)
	v_xor_b32_e32 v4, v4, v12
	v_cmp_ne_u16_e32 vcc_lo, 0x8000, v4
	v_cndmask_b32_e32 v4, 0x7fff, v4, vcc_lo
	s_delay_alu instid0(VALU_DEP_1) | instskip(NEXT) | instid1(VALU_DEP_1)
	v_and_b32_e32 v4, 0xffff, v4
	v_lshrrev_b32_e32 v4, s49, v4
	s_delay_alu instid0(VALU_DEP_1) | instskip(NEXT) | instid1(VALU_DEP_1)
	v_and_b32_e32 v4, s55, v4
	v_lshl_or_b32 v4, v4, 4, v5
	ds_add_u32 v4, v94
	s_or_b32 exec_lo, exec_lo, s0
	s_delay_alu instid0(SALU_CYCLE_1)
	s_mov_b32 s0, exec_lo
	v_cmpx_lt_u32_e64 v55, v21
	s_cbranch_execnz .LBB1983_647
.LBB1983_662:                           ;   in Loop: Header=BB1983_614 Depth=2
	s_or_b32 exec_lo, exec_lo, s0
	s_delay_alu instid0(SALU_CYCLE_1)
	s_mov_b32 s0, exec_lo
	v_cmpx_lt_u32_e64 v56, v21
	s_cbranch_execz .LBB1983_648
.LBB1983_663:                           ;   in Loop: Header=BB1983_614 Depth=2
	v_cmp_gt_i16_e32 vcc_lo, 0, v10
	v_lshlrev_b32_e32 v5, 2, v48
	v_cndmask_b32_e64 v4, 0x7fff, 0, vcc_lo
	s_delay_alu instid0(VALU_DEP_1) | instskip(NEXT) | instid1(VALU_DEP_1)
	v_xor_b32_e32 v4, v4, v10
	v_cmp_ne_u16_e32 vcc_lo, 0x8000, v4
	v_cndmask_b32_e32 v4, 0x7fff, v4, vcc_lo
	s_delay_alu instid0(VALU_DEP_1) | instskip(NEXT) | instid1(VALU_DEP_1)
	v_and_b32_e32 v4, 0xffff, v4
	v_lshrrev_b32_e32 v4, s49, v4
	s_delay_alu instid0(VALU_DEP_1) | instskip(NEXT) | instid1(VALU_DEP_1)
	v_and_b32_e32 v4, s55, v4
	v_lshl_or_b32 v4, v4, 4, v5
	ds_add_u32 v4, v94
	s_or_b32 exec_lo, exec_lo, s0
	s_delay_alu instid0(SALU_CYCLE_1)
	s_mov_b32 s0, exec_lo
	v_cmpx_lt_u32_e64 v57, v21
	s_cbranch_execnz .LBB1983_649
.LBB1983_664:                           ;   in Loop: Header=BB1983_614 Depth=2
	s_or_b32 exec_lo, exec_lo, s0
	s_delay_alu instid0(SALU_CYCLE_1)
	s_mov_b32 s0, exec_lo
	v_cmpx_lt_u32_e64 v58, v21
	s_cbranch_execz .LBB1983_650
.LBB1983_665:                           ;   in Loop: Header=BB1983_614 Depth=2
	v_cmp_gt_i16_e32 vcc_lo, 0, v8
	v_lshlrev_b32_e32 v5, 2, v48
	v_cndmask_b32_e64 v4, 0x7fff, 0, vcc_lo
	s_delay_alu instid0(VALU_DEP_1) | instskip(NEXT) | instid1(VALU_DEP_1)
	v_xor_b32_e32 v4, v4, v8
	v_cmp_ne_u16_e32 vcc_lo, 0x8000, v4
	v_cndmask_b32_e32 v4, 0x7fff, v4, vcc_lo
	s_delay_alu instid0(VALU_DEP_1) | instskip(NEXT) | instid1(VALU_DEP_1)
	v_and_b32_e32 v4, 0xffff, v4
	v_lshrrev_b32_e32 v4, s49, v4
	s_delay_alu instid0(VALU_DEP_1) | instskip(NEXT) | instid1(VALU_DEP_1)
	v_and_b32_e32 v4, s55, v4
	v_lshl_or_b32 v4, v4, 4, v5
	ds_add_u32 v4, v94
	s_or_b32 exec_lo, exec_lo, s0
	s_delay_alu instid0(SALU_CYCLE_1)
	s_mov_b32 s0, exec_lo
	v_cmpx_lt_u32_e64 v59, v21
	s_cbranch_execnz .LBB1983_651
.LBB1983_666:                           ;   in Loop: Header=BB1983_614 Depth=2
	s_or_b32 exec_lo, exec_lo, s0
	s_delay_alu instid0(SALU_CYCLE_1)
	s_mov_b32 s0, exec_lo
	v_cmpx_lt_u32_e64 v60, v21
	s_cbranch_execz .LBB1983_652
.LBB1983_667:                           ;   in Loop: Header=BB1983_614 Depth=2
	v_cmp_gt_i16_e32 vcc_lo, 0, v6
	v_lshlrev_b32_e32 v5, 2, v48
	v_cndmask_b32_e64 v4, 0x7fff, 0, vcc_lo
	s_delay_alu instid0(VALU_DEP_1) | instskip(NEXT) | instid1(VALU_DEP_1)
	v_xor_b32_e32 v4, v4, v6
	v_cmp_ne_u16_e32 vcc_lo, 0x8000, v4
	v_cndmask_b32_e32 v4, 0x7fff, v4, vcc_lo
	s_delay_alu instid0(VALU_DEP_1) | instskip(NEXT) | instid1(VALU_DEP_1)
	v_and_b32_e32 v4, 0xffff, v4
	v_lshrrev_b32_e32 v4, s49, v4
	s_delay_alu instid0(VALU_DEP_1) | instskip(NEXT) | instid1(VALU_DEP_1)
	v_and_b32_e32 v4, s55, v4
	v_lshl_or_b32 v4, v4, 4, v5
	ds_add_u32 v4, v94
	s_or_b32 exec_lo, exec_lo, s0
	s_delay_alu instid0(SALU_CYCLE_1)
	s_mov_b32 s0, exec_lo
	v_cmpx_lt_u32_e64 v61, v21
	s_cbranch_execnz .LBB1983_653
.LBB1983_668:                           ;   in Loop: Header=BB1983_614 Depth=2
	s_or_b32 exec_lo, exec_lo, s0
	s_delay_alu instid0(SALU_CYCLE_1)
	s_mov_b32 s0, exec_lo
	v_cmpx_lt_u32_e64 v63, v21
	s_cbranch_execz .LBB1983_613
.LBB1983_669:                           ;   in Loop: Header=BB1983_614 Depth=2
	s_waitcnt vmcnt(0)
	v_cmp_gt_i16_e32 vcc_lo, 0, v20
	v_lshlrev_b32_e32 v5, 2, v48
	v_cndmask_b32_e64 v4, 0x7fff, 0, vcc_lo
	s_delay_alu instid0(VALU_DEP_1) | instskip(NEXT) | instid1(VALU_DEP_1)
	v_xor_b32_e32 v4, v4, v20
	v_cmp_ne_u16_e32 vcc_lo, 0x8000, v4
	v_cndmask_b32_e32 v4, 0x7fff, v4, vcc_lo
	s_delay_alu instid0(VALU_DEP_1) | instskip(NEXT) | instid1(VALU_DEP_1)
	v_and_b32_e32 v4, 0xffff, v4
	v_lshrrev_b32_e32 v4, s49, v4
	s_delay_alu instid0(VALU_DEP_1) | instskip(NEXT) | instid1(VALU_DEP_1)
	v_and_b32_e32 v4, s55, v4
	v_lshl_or_b32 v4, v4, 4, v5
	ds_add_u32 v4, v94
	s_branch .LBB1983_613
.LBB1983_670:                           ;   in Loop: Header=BB1983_614 Depth=2
	s_or_b32 exec_lo, exec_lo, s11
	s_delay_alu instid0(SALU_CYCLE_1)
	s_mov_b32 s11, exec_lo
	v_cmpx_gt_u32_e64 s8, v45
	s_cbranch_execz .LBB1983_620
.LBB1983_671:                           ;   in Loop: Header=BB1983_614 Depth=2
	global_load_u16 v18, v95, s[0:1] offset:512
	s_or_b32 exec_lo, exec_lo, s11
	s_delay_alu instid0(SALU_CYCLE_1)
	s_mov_b32 s11, exec_lo
	v_cmpx_gt_u32_e64 s8, v46
	s_cbranch_execnz .LBB1983_621
.LBB1983_672:                           ;   in Loop: Header=BB1983_614 Depth=2
	s_or_b32 exec_lo, exec_lo, s11
	s_delay_alu instid0(SALU_CYCLE_1)
	s_mov_b32 s11, exec_lo
	v_cmpx_gt_u32_e64 s8, v47
	s_cbranch_execz .LBB1983_622
.LBB1983_673:                           ;   in Loop: Header=BB1983_614 Depth=2
	global_load_u16 v16, v95, s[0:1] offset:1536
	s_or_b32 exec_lo, exec_lo, s11
	s_delay_alu instid0(SALU_CYCLE_1)
	s_mov_b32 s11, exec_lo
	v_cmpx_gt_u32_e64 s8, v51
	s_cbranch_execnz .LBB1983_623
.LBB1983_674:                           ;   in Loop: Header=BB1983_614 Depth=2
	s_or_b32 exec_lo, exec_lo, s11
	s_delay_alu instid0(SALU_CYCLE_1)
	s_mov_b32 s11, exec_lo
	v_cmpx_gt_u32_e64 s8, v52
	s_cbranch_execz .LBB1983_624
.LBB1983_675:                           ;   in Loop: Header=BB1983_614 Depth=2
	global_load_u16 v14, v95, s[0:1] offset:2560
	s_or_b32 exec_lo, exec_lo, s11
	s_delay_alu instid0(SALU_CYCLE_1)
	s_mov_b32 s11, exec_lo
	v_cmpx_gt_u32_e64 s8, v53
	s_cbranch_execnz .LBB1983_625
.LBB1983_676:                           ;   in Loop: Header=BB1983_614 Depth=2
	s_or_b32 exec_lo, exec_lo, s11
	s_delay_alu instid0(SALU_CYCLE_1)
	s_mov_b32 s11, exec_lo
	v_cmpx_gt_u32_e64 s8, v54
	s_cbranch_execz .LBB1983_626
.LBB1983_677:                           ;   in Loop: Header=BB1983_614 Depth=2
	global_load_u16 v12, v95, s[0:1] offset:3584
	s_or_b32 exec_lo, exec_lo, s11
	s_delay_alu instid0(SALU_CYCLE_1)
	s_mov_b32 s11, exec_lo
	v_cmpx_gt_u32_e64 s8, v55
	s_cbranch_execnz .LBB1983_627
.LBB1983_678:                           ;   in Loop: Header=BB1983_614 Depth=2
	s_or_b32 exec_lo, exec_lo, s11
	s_delay_alu instid0(SALU_CYCLE_1)
	s_mov_b32 s11, exec_lo
	v_cmpx_gt_u32_e64 s8, v56
	s_cbranch_execz .LBB1983_628
.LBB1983_679:                           ;   in Loop: Header=BB1983_614 Depth=2
	global_load_u16 v10, v97, s[0:1]
	s_or_b32 exec_lo, exec_lo, s11
	s_delay_alu instid0(SALU_CYCLE_1)
	s_mov_b32 s11, exec_lo
	v_cmpx_gt_u32_e64 s8, v57
	s_cbranch_execnz .LBB1983_629
.LBB1983_680:                           ;   in Loop: Header=BB1983_614 Depth=2
	s_or_b32 exec_lo, exec_lo, s11
	s_delay_alu instid0(SALU_CYCLE_1)
	s_mov_b32 s11, exec_lo
	v_cmpx_gt_u32_e64 s8, v58
	s_cbranch_execz .LBB1983_630
.LBB1983_681:                           ;   in Loop: Header=BB1983_614 Depth=2
	global_load_u16 v8, v99, s[0:1]
	s_or_b32 exec_lo, exec_lo, s11
	s_delay_alu instid0(SALU_CYCLE_1)
	s_mov_b32 s11, exec_lo
	v_cmpx_gt_u32_e64 s8, v59
	s_cbranch_execnz .LBB1983_631
.LBB1983_682:                           ;   in Loop: Header=BB1983_614 Depth=2
	s_or_b32 exec_lo, exec_lo, s11
	s_delay_alu instid0(SALU_CYCLE_1)
	s_mov_b32 s11, exec_lo
	v_cmpx_gt_u32_e64 s8, v60
	s_cbranch_execz .LBB1983_632
.LBB1983_683:                           ;   in Loop: Header=BB1983_614 Depth=2
	global_load_u16 v6, v101, s[0:1]
	s_or_b32 exec_lo, exec_lo, s11
	s_delay_alu instid0(SALU_CYCLE_1)
	s_mov_b32 s11, exec_lo
	v_cmpx_gt_u32_e64 s8, v61
	s_cbranch_execz .LBB1983_634
	s_branch .LBB1983_633
.LBB1983_684:                           ;   in Loop: Header=BB1983_20 Depth=1
	v_mov_b32_e32 v2, 0
	s_waitcnt vmcnt(0) lgkmcnt(0)
	s_barrier
	buffer_gl0_inv
	s_and_saveexec_b32 s0, s2
	s_cbranch_execz .LBB1983_686
; %bb.685:                              ;   in Loop: Header=BB1983_20 Depth=1
	ds_load_2addr_b64 v[4:7], v64 offset1:1
	s_waitcnt lgkmcnt(0)
	v_add_nc_u32_e32 v2, v5, v4
	s_delay_alu instid0(VALU_DEP_1)
	v_add3_u32 v2, v2, v6, v7
.LBB1983_686:                           ;   in Loop: Header=BB1983_20 Depth=1
	s_or_b32 exec_lo, exec_lo, s0
	v_and_b32_e32 v4, 15, v104
	s_delay_alu instid0(VALU_DEP_2) | instskip(SKIP_1) | instid1(VALU_DEP_3)
	v_mov_b32_dpp v5, v2 row_shr:1 row_mask:0xf bank_mask:0xf
	v_and_b32_e32 v6, 16, v104
	v_cmp_eq_u32_e64 s0, 0, v4
	v_cmp_lt_u32_e64 s1, 1, v4
	v_cmp_lt_u32_e64 s8, 3, v4
	;; [unrolled: 1-line block ×3, first 2 shown]
	v_cmp_eq_u32_e64 s10, 0, v6
	v_cndmask_b32_e64 v5, v5, 0, s0
	s_delay_alu instid0(VALU_DEP_1) | instskip(NEXT) | instid1(VALU_DEP_1)
	v_add_nc_u32_e32 v2, v5, v2
	v_mov_b32_dpp v5, v2 row_shr:2 row_mask:0xf bank_mask:0xf
	s_delay_alu instid0(VALU_DEP_1) | instskip(NEXT) | instid1(VALU_DEP_1)
	v_cndmask_b32_e64 v5, 0, v5, s1
	v_add_nc_u32_e32 v2, v2, v5
	s_delay_alu instid0(VALU_DEP_1) | instskip(NEXT) | instid1(VALU_DEP_1)
	v_mov_b32_dpp v5, v2 row_shr:4 row_mask:0xf bank_mask:0xf
	v_cndmask_b32_e64 v5, 0, v5, s8
	s_delay_alu instid0(VALU_DEP_1) | instskip(NEXT) | instid1(VALU_DEP_1)
	v_add_nc_u32_e32 v2, v2, v5
	v_mov_b32_dpp v5, v2 row_shr:8 row_mask:0xf bank_mask:0xf
	s_delay_alu instid0(VALU_DEP_1) | instskip(SKIP_1) | instid1(VALU_DEP_2)
	v_cndmask_b32_e64 v4, 0, v5, s9
	v_bfe_i32 v5, v104, 4, 1
	v_add_nc_u32_e32 v2, v2, v4
	ds_swizzle_b32 v4, v2 offset:swizzle(BROADCAST,32,15)
	s_waitcnt lgkmcnt(0)
	v_and_b32_e32 v4, v5, v4
	s_delay_alu instid0(VALU_DEP_1)
	v_add_nc_u32_e32 v4, v2, v4
	s_and_saveexec_b32 s11, s3
	s_cbranch_execz .LBB1983_688
; %bb.687:                              ;   in Loop: Header=BB1983_20 Depth=1
	ds_store_b32 v65, v4
.LBB1983_688:                           ;   in Loop: Header=BB1983_20 Depth=1
	s_or_b32 exec_lo, exec_lo, s11
	v_and_b32_e32 v2, 7, v104
	s_waitcnt lgkmcnt(0)
	s_barrier
	buffer_gl0_inv
	s_and_saveexec_b32 s11, s4
	s_cbranch_execz .LBB1983_690
; %bb.689:                              ;   in Loop: Header=BB1983_20 Depth=1
	ds_load_b32 v5, v66
	v_cmp_ne_u32_e32 vcc_lo, 0, v2
	s_waitcnt lgkmcnt(0)
	v_mov_b32_dpp v6, v5 row_shr:1 row_mask:0xf bank_mask:0xf
	s_delay_alu instid0(VALU_DEP_1) | instskip(SKIP_1) | instid1(VALU_DEP_2)
	v_cndmask_b32_e32 v6, 0, v6, vcc_lo
	v_cmp_lt_u32_e32 vcc_lo, 1, v2
	v_add_nc_u32_e32 v5, v6, v5
	s_delay_alu instid0(VALU_DEP_1) | instskip(NEXT) | instid1(VALU_DEP_1)
	v_mov_b32_dpp v6, v5 row_shr:2 row_mask:0xf bank_mask:0xf
	v_cndmask_b32_e32 v6, 0, v6, vcc_lo
	v_cmp_lt_u32_e32 vcc_lo, 3, v2
	s_delay_alu instid0(VALU_DEP_2) | instskip(NEXT) | instid1(VALU_DEP_1)
	v_add_nc_u32_e32 v5, v5, v6
	v_mov_b32_dpp v6, v5 row_shr:4 row_mask:0xf bank_mask:0xf
	s_delay_alu instid0(VALU_DEP_1) | instskip(NEXT) | instid1(VALU_DEP_1)
	v_cndmask_b32_e32 v6, 0, v6, vcc_lo
	v_add_nc_u32_e32 v5, v5, v6
	ds_store_b32 v66, v5
.LBB1983_690:                           ;   in Loop: Header=BB1983_20 Depth=1
	s_or_b32 exec_lo, exec_lo, s11
	v_mov_b32_e32 v5, 0
	s_waitcnt lgkmcnt(0)
	s_barrier
	buffer_gl0_inv
	s_and_saveexec_b32 s11, s5
	s_cbranch_execz .LBB1983_692
; %bb.691:                              ;   in Loop: Header=BB1983_20 Depth=1
	ds_load_b32 v5, v67
.LBB1983_692:                           ;   in Loop: Header=BB1983_20 Depth=1
	s_or_b32 exec_lo, exec_lo, s11
	v_add_nc_u32_e32 v6, -1, v104
	s_waitcnt lgkmcnt(0)
	v_add_nc_u32_e32 v4, v5, v4
	v_cmp_eq_u32_e64 s11, 0, v104
	s_barrier
	v_cmp_gt_i32_e32 vcc_lo, 0, v6
	buffer_gl0_inv
	v_cndmask_b32_e32 v6, v6, v104, vcc_lo
	s_delay_alu instid0(VALU_DEP_1)
	v_lshlrev_b32_e32 v105, 2, v6
	ds_bpermute_b32 v4, v105, v4
	s_and_saveexec_b32 s12, s2
	s_cbranch_execz .LBB1983_694
; %bb.693:                              ;   in Loop: Header=BB1983_20 Depth=1
	s_waitcnt lgkmcnt(0)
	v_cndmask_b32_e64 v4, v4, v5, s11
	s_delay_alu instid0(VALU_DEP_1)
	v_add_nc_u32_e32 v4, s52, v4
	ds_store_b32 v44, v4
.LBB1983_694:                           ;   in Loop: Header=BB1983_20 Depth=1
	s_or_b32 exec_lo, exec_lo, s12
	s_load_b64 s[12:13], s[42:43], 0x0
	v_lshlrev_b32_e32 v5, 3, v104
	v_or_b32_e32 v106, v104, v68
	s_mov_b32 s56, s54
	s_mov_b32 s34, s52
                                        ; implicit-def: $vgpr8_vgpr9
                                        ; implicit-def: $vgpr10_vgpr11
                                        ; implicit-def: $vgpr12_vgpr13
                                        ; implicit-def: $vgpr14_vgpr15
                                        ; implicit-def: $vgpr16_vgpr17
                                        ; implicit-def: $vgpr18_vgpr19
                                        ; implicit-def: $vgpr20_vgpr21
                                        ; implicit-def: $vgpr22_vgpr23
                                        ; implicit-def: $vgpr24_vgpr25
                                        ; implicit-def: $vgpr26_vgpr27
                                        ; implicit-def: $vgpr28_vgpr29
                                        ; implicit-def: $vgpr30_vgpr31
                                        ; implicit-def: $vgpr32_vgpr33
                                        ; implicit-def: $vgpr34_vgpr35
                                        ; implicit-def: $vgpr129
                                        ; implicit-def: $vgpr130
                                        ; implicit-def: $vgpr131
                                        ; implicit-def: $vgpr132
                                        ; implicit-def: $vgpr133
                                        ; implicit-def: $vgpr134
                                        ; implicit-def: $vgpr135
                                        ; implicit-def: $vgpr136
                                        ; implicit-def: $vgpr137
                                        ; implicit-def: $vgpr138
                                        ; implicit-def: $vgpr139
                                        ; implicit-def: $vgpr140
                                        ; implicit-def: $vgpr141
                                        ; implicit-def: $vgpr142
                                        ; implicit-def: $vgpr143
                                        ; implicit-def: $vgpr144
	s_delay_alu instid0(VALU_DEP_2)
	v_add_co_u32 v107, vcc_lo, v90, v5
	v_add_co_ci_u32_e32 v108, vcc_lo, 0, v91, vcc_lo
	v_or_b32_e32 v109, 32, v106
	v_or_b32_e32 v110, 64, v106
	;; [unrolled: 1-line block ×10, first 2 shown]
	s_waitcnt lgkmcnt(0)
	s_cmp_lt_u32 s15, s13
	v_or_b32_e32 v119, 0x160, v106
	s_cselect_b32 s13, 14, 20
	v_or_b32_e32 v120, 0x180, v106
	s_add_u32 s16, s42, s13
	s_addc_u32 s17, s43, 0
	s_cmp_lt_u32 s14, s12
	global_load_u16 v4, v3, s[16:17]
	s_cselect_b32 s12, 12, 18
	v_or_b32_e32 v121, 0x1a0, v106
	s_add_u32 s12, s42, s12
	s_addc_u32 s13, s43, 0
	v_or_b32_e32 v122, 0x1c0, v106
	global_load_u16 v6, v3, s[12:13]
	v_cmp_eq_u32_e64 s12, 0, v2
	v_cmp_lt_u32_e64 s13, 1, v2
	v_cmp_lt_u32_e64 s16, 3, v2
	v_lshlrev_b32_e32 v2, 1, v104
	v_or_b32_e32 v123, 0x1e0, v106
	s_delay_alu instid0(VALU_DEP_2) | instskip(SKIP_1) | instid1(VALU_DEP_2)
	v_add_co_u32 v124, vcc_lo, v92, v2
	v_add_co_ci_u32_e32 v125, vcc_lo, 0, v93, vcc_lo
	v_add_co_u32 v127, vcc_lo, 0x3c0, v124
	s_delay_alu instid0(VALU_DEP_2) | instskip(SKIP_3) | instid1(VALU_DEP_1)
	v_add_co_ci_u32_e32 v128, vcc_lo, 0, v125, vcc_lo
	s_waitcnt vmcnt(1)
	v_mad_u32_u24 v7, v70, v4, v0
	s_waitcnt vmcnt(0)
	v_mad_u64_u32 v[4:5], null, v7, v6, v[1:2]
                                        ; implicit-def: $vgpr6_vgpr7
	s_delay_alu instid0(VALU_DEP_1)
	v_lshrrev_b32_e32 v126, 5, v4
                                        ; implicit-def: $vgpr4_vgpr5
	s_branch .LBB1983_696
.LBB1983_695:                           ;   in Loop: Header=BB1983_696 Depth=2
	s_or_b32 exec_lo, exec_lo, s17
	s_addk_i32 s56, 0xf000
	s_cmp_lt_u32 s57, s53
	s_mov_b32 s34, s57
	s_cbranch_scc0 .LBB1983_904
.LBB1983_696:                           ;   Parent Loop BB1983_20 Depth=1
                                        ; =>  This Inner Loop Header: Depth=2
	s_add_i32 s57, s34, 0x1000
	s_delay_alu instid0(SALU_CYCLE_1)
	s_cmp_gt_u32 s57, s53
	s_cbranch_scc1 .LBB1983_699
; %bb.697:                              ;   in Loop: Header=BB1983_696 Depth=2
	s_mov_b32 s19, 0
	s_mov_b32 s18, s34
	s_movk_i32 s17, 0x1000
	s_lshl_b64 s[20:21], s[18:19], 1
	s_delay_alu instid0(SALU_CYCLE_1)
	v_add_co_u32 v36, vcc_lo, v124, s20
	v_add_co_ci_u32_e32 v37, vcc_lo, s21, v125, vcc_lo
	s_mov_b32 s20, -1
	s_clause 0xe
	global_load_u16 v2, v[36:37], off
	global_load_u16 v146, v[36:37], off offset:64
	global_load_u16 v149, v[36:37], off offset:128
	;; [unrolled: 1-line block ×14, first 2 shown]
	s_cbranch_execz .LBB1983_700
; %bb.698:                              ;   in Loop: Header=BB1983_696 Depth=2
                                        ; implicit-def: $sgpr21
	v_dual_mov_b32 v36, s21 :: v_dual_mov_b32 v145, s56
	s_and_saveexec_b32 s21, s20
	s_cbranch_execnz .LBB1983_731
	s_branch .LBB1983_732
.LBB1983_699:                           ;   in Loop: Header=BB1983_696 Depth=2
	s_mov_b32 s19, -1
	s_mov_b32 s20, 0
                                        ; implicit-def: $sgpr17
                                        ; implicit-def: $vgpr2
                                        ; implicit-def: $vgpr146
                                        ; implicit-def: $vgpr149
                                        ; implicit-def: $vgpr153
                                        ; implicit-def: $vgpr157
                                        ; implicit-def: $vgpr161
                                        ; implicit-def: $vgpr165
                                        ; implicit-def: $vgpr170
                                        ; implicit-def: $vgpr169
                                        ; implicit-def: $vgpr43
                                        ; implicit-def: $vgpr42
                                        ; implicit-def: $vgpr41
                                        ; implicit-def: $vgpr40
                                        ; implicit-def: $vgpr39
                                        ; implicit-def: $vgpr38
.LBB1983_700:                           ;   in Loop: Header=BB1983_696 Depth=2
	s_lshl_b64 s[18:19], s[34:35], 1
	s_waitcnt vmcnt(13)
	v_mov_b32_e32 v146, -1
	v_add_co_u32 v36, vcc_lo, v124, s18
	v_add_co_ci_u32_e32 v37, vcc_lo, s19, v125, vcc_lo
	v_mov_b32_e32 v2, -1
	s_mov_b32 s17, exec_lo
	v_cmpx_gt_u32_e64 s56, v106
	s_cbranch_execz .LBB1983_702
; %bb.701:                              ;   in Loop: Header=BB1983_696 Depth=2
	global_load_u16 v2, v[36:37], off
.LBB1983_702:                           ;   in Loop: Header=BB1983_696 Depth=2
	s_or_b32 exec_lo, exec_lo, s17
	s_delay_alu instid0(SALU_CYCLE_1)
	s_mov_b32 s17, exec_lo
	v_cmpx_gt_u32_e64 s56, v109
	s_cbranch_execz .LBB1983_704
; %bb.703:                              ;   in Loop: Header=BB1983_696 Depth=2
	global_load_u16 v146, v[36:37], off offset:64
.LBB1983_704:                           ;   in Loop: Header=BB1983_696 Depth=2
	s_or_b32 exec_lo, exec_lo, s17
	s_waitcnt vmcnt(11)
	v_mov_b32_e32 v153, -1
	v_mov_b32_e32 v149, -1
	s_mov_b32 s17, exec_lo
	v_cmpx_gt_u32_e64 s56, v110
	s_cbranch_execz .LBB1983_706
; %bb.705:                              ;   in Loop: Header=BB1983_696 Depth=2
	global_load_u16 v149, v[36:37], off offset:128
.LBB1983_706:                           ;   in Loop: Header=BB1983_696 Depth=2
	s_or_b32 exec_lo, exec_lo, s17
	s_delay_alu instid0(SALU_CYCLE_1)
	s_mov_b32 s17, exec_lo
	v_cmpx_gt_u32_e64 s56, v111
	s_cbranch_execz .LBB1983_708
; %bb.707:                              ;   in Loop: Header=BB1983_696 Depth=2
	global_load_u16 v153, v[36:37], off offset:192
.LBB1983_708:                           ;   in Loop: Header=BB1983_696 Depth=2
	s_or_b32 exec_lo, exec_lo, s17
	s_waitcnt vmcnt(9)
	v_mov_b32_e32 v161, -1
	v_mov_b32_e32 v157, -1
	s_mov_b32 s17, exec_lo
	v_cmpx_gt_u32_e64 s56, v112
	s_cbranch_execz .LBB1983_710
; %bb.709:                              ;   in Loop: Header=BB1983_696 Depth=2
	global_load_u16 v157, v[36:37], off offset:256
.LBB1983_710:                           ;   in Loop: Header=BB1983_696 Depth=2
	s_or_b32 exec_lo, exec_lo, s17
	s_delay_alu instid0(SALU_CYCLE_1)
	s_mov_b32 s17, exec_lo
	v_cmpx_gt_u32_e64 s56, v113
	s_cbranch_execz .LBB1983_712
; %bb.711:                              ;   in Loop: Header=BB1983_696 Depth=2
	global_load_u16 v161, v[36:37], off offset:320
.LBB1983_712:                           ;   in Loop: Header=BB1983_696 Depth=2
	s_or_b32 exec_lo, exec_lo, s17
	s_waitcnt vmcnt(7)
	v_dual_mov_b32 v170, -1 :: v_dual_mov_b32 v165, -1
	s_mov_b32 s17, exec_lo
	v_cmpx_gt_u32_e64 s56, v114
	s_cbranch_execz .LBB1983_714
; %bb.713:                              ;   in Loop: Header=BB1983_696 Depth=2
	global_load_u16 v165, v[36:37], off offset:384
.LBB1983_714:                           ;   in Loop: Header=BB1983_696 Depth=2
	s_or_b32 exec_lo, exec_lo, s17
	s_delay_alu instid0(SALU_CYCLE_1)
	s_mov_b32 s17, exec_lo
	v_cmpx_gt_u32_e64 s56, v115
	s_cbranch_execz .LBB1983_716
; %bb.715:                              ;   in Loop: Header=BB1983_696 Depth=2
	global_load_u16 v170, v[36:37], off offset:448
.LBB1983_716:                           ;   in Loop: Header=BB1983_696 Depth=2
	s_or_b32 exec_lo, exec_lo, s17
	s_waitcnt vmcnt(5)
	v_mov_b32_e32 v43, -1
	v_mov_b32_e32 v169, -1
	s_mov_b32 s17, exec_lo
	v_cmpx_gt_u32_e64 s56, v116
	s_cbranch_execz .LBB1983_718
; %bb.717:                              ;   in Loop: Header=BB1983_696 Depth=2
	global_load_u16 v169, v[36:37], off offset:512
.LBB1983_718:                           ;   in Loop: Header=BB1983_696 Depth=2
	s_or_b32 exec_lo, exec_lo, s17
	s_delay_alu instid0(SALU_CYCLE_1)
	s_mov_b32 s17, exec_lo
	v_cmpx_gt_u32_e64 s56, v117
	s_cbranch_execz .LBB1983_720
; %bb.719:                              ;   in Loop: Header=BB1983_696 Depth=2
	global_load_u16 v43, v[36:37], off offset:576
.LBB1983_720:                           ;   in Loop: Header=BB1983_696 Depth=2
	s_or_b32 exec_lo, exec_lo, s17
	s_waitcnt vmcnt(3)
	v_dual_mov_b32 v41, -1 :: v_dual_mov_b32 v42, -1
	s_mov_b32 s17, exec_lo
	v_cmpx_gt_u32_e64 s56, v118
	s_cbranch_execz .LBB1983_722
; %bb.721:                              ;   in Loop: Header=BB1983_696 Depth=2
	global_load_u16 v42, v[36:37], off offset:640
.LBB1983_722:                           ;   in Loop: Header=BB1983_696 Depth=2
	s_or_b32 exec_lo, exec_lo, s17
	s_delay_alu instid0(SALU_CYCLE_1)
	s_mov_b32 s17, exec_lo
	v_cmpx_gt_u32_e64 s56, v119
	s_cbranch_execz .LBB1983_724
; %bb.723:                              ;   in Loop: Header=BB1983_696 Depth=2
	global_load_u16 v41, v[36:37], off offset:704
.LBB1983_724:                           ;   in Loop: Header=BB1983_696 Depth=2
	s_or_b32 exec_lo, exec_lo, s17
	s_waitcnt vmcnt(1)
	v_dual_mov_b32 v39, -1 :: v_dual_mov_b32 v40, -1
	s_mov_b32 s17, exec_lo
	v_cmpx_gt_u32_e64 s56, v120
	s_cbranch_execz .LBB1983_726
; %bb.725:                              ;   in Loop: Header=BB1983_696 Depth=2
	global_load_u16 v40, v[36:37], off offset:768
.LBB1983_726:                           ;   in Loop: Header=BB1983_696 Depth=2
	s_or_b32 exec_lo, exec_lo, s17
	s_delay_alu instid0(SALU_CYCLE_1)
	s_mov_b32 s17, exec_lo
	v_cmpx_gt_u32_e64 s56, v121
	s_cbranch_execz .LBB1983_728
; %bb.727:                              ;   in Loop: Header=BB1983_696 Depth=2
	global_load_u16 v39, v[36:37], off offset:832
.LBB1983_728:                           ;   in Loop: Header=BB1983_696 Depth=2
	s_or_b32 exec_lo, exec_lo, s17
	s_waitcnt vmcnt(0)
	v_mov_b32_e32 v38, -1
	s_mov_b32 s17, exec_lo
	v_cmpx_gt_u32_e64 s56, v122
	s_cbranch_execz .LBB1983_730
; %bb.729:                              ;   in Loop: Header=BB1983_696 Depth=2
	global_load_u16 v38, v[36:37], off offset:896
.LBB1983_730:                           ;   in Loop: Header=BB1983_696 Depth=2
	s_or_b32 exec_lo, exec_lo, s17
	v_cmp_gt_u32_e64 s20, s56, v123
	s_sub_i32 s17, s53, s34
	s_mov_b32 s21, -1
	s_mov_b64 s[18:19], s[34:35]
	v_dual_mov_b32 v36, s21 :: v_dual_mov_b32 v145, s56
	s_and_saveexec_b32 s21, s20
	s_cbranch_execz .LBB1983_732
.LBB1983_731:                           ;   in Loop: Header=BB1983_696 Depth=2
	s_lshl_b64 s[18:19], s[18:19], 1
	v_mov_b32_e32 v145, s17
	v_add_co_u32 v36, vcc_lo, v127, s18
	v_add_co_ci_u32_e32 v37, vcc_lo, s19, v128, vcc_lo
	global_load_u16 v36, v[36:37], off
.LBB1983_732:                           ;   in Loop: Header=BB1983_696 Depth=2
	s_or_b32 exec_lo, exec_lo, s21
	s_waitcnt vmcnt(14)
	v_cmp_gt_i16_e32 vcc_lo, 0, v2
	ds_store_b32 v69, v3 offset:1056
	ds_store_2addr_b32 v71, v3, v3 offset0:1 offset1:2
	ds_store_2addr_b32 v71, v3, v3 offset0:3 offset1:4
	;; [unrolled: 1-line block ×4, first 2 shown]
	s_waitcnt vmcnt(0) lgkmcnt(0)
	s_barrier
	v_cndmask_b32_e64 v37, 0x7fff, 0, vcc_lo
	buffer_gl0_inv
	; wave barrier
	v_xor_b32_e32 v2, v37, v2
	s_delay_alu instid0(VALU_DEP_1) | instskip(SKIP_1) | instid1(VALU_DEP_1)
	v_cmp_ne_u16_e32 vcc_lo, 0x8000, v2
	v_cndmask_b32_e32 v37, 0x7fff, v2, vcc_lo
	v_and_b32_e32 v37, 0xffff, v37
	s_delay_alu instid0(VALU_DEP_1) | instskip(NEXT) | instid1(VALU_DEP_1)
	v_lshrrev_b32_e32 v37, s49, v37
	v_and_b32_e32 v148, s55, v37
	s_delay_alu instid0(VALU_DEP_1)
	v_lshlrev_b32_e32 v150, 29, v148
	v_and_b32_e32 v37, 1, v148
	v_lshlrev_b32_e32 v147, 30, v148
	v_lshlrev_b32_e32 v151, 28, v148
	;; [unrolled: 1-line block ×4, first 2 shown]
	v_add_co_u32 v37, s17, v37, -1
	s_delay_alu instid0(VALU_DEP_1)
	v_cndmask_b32_e64 v152, 0, 1, s17
	v_not_b32_e32 v158, v147
	v_cmp_gt_i32_e64 s17, 0, v147
	v_not_b32_e32 v147, v150
	v_lshlrev_b32_e32 v156, 25, v148
	v_cmp_ne_u32_e32 vcc_lo, 0, v152
	v_ashrrev_i32_e32 v158, 31, v158
	v_lshlrev_b32_e32 v152, 24, v148
	v_ashrrev_i32_e32 v147, 31, v147
	v_mad_u32_u24 v148, v148, 9, v126
	v_xor_b32_e32 v37, vcc_lo, v37
	v_cmp_gt_i32_e32 vcc_lo, 0, v150
	v_not_b32_e32 v150, v151
	v_xor_b32_e32 v158, s17, v158
	v_cmp_gt_i32_e64 s17, 0, v151
	v_and_b32_e32 v37, exec_lo, v37
	v_not_b32_e32 v151, v154
	v_ashrrev_i32_e32 v150, 31, v150
	v_xor_b32_e32 v147, vcc_lo, v147
	v_cmp_gt_i32_e32 vcc_lo, 0, v154
	v_and_b32_e32 v37, v37, v158
	v_not_b32_e32 v154, v155
	v_ashrrev_i32_e32 v151, 31, v151
	v_xor_b32_e32 v150, s17, v150
	v_cmp_gt_i32_e64 s17, 0, v155
	v_and_b32_e32 v37, v37, v147
	v_not_b32_e32 v147, v156
	v_ashrrev_i32_e32 v154, 31, v154
	v_xor_b32_e32 v151, vcc_lo, v151
	v_cmp_gt_i32_e32 vcc_lo, 0, v156
	v_and_b32_e32 v37, v37, v150
	v_not_b32_e32 v150, v152
	v_ashrrev_i32_e32 v147, 31, v147
	v_xor_b32_e32 v154, s17, v154
	v_cmp_gt_i32_e64 s17, 0, v152
	v_and_b32_e32 v37, v37, v151
	v_ashrrev_i32_e32 v150, 31, v150
	v_xor_b32_e32 v147, vcc_lo, v147
	v_lshl_add_u32 v148, v148, 2, 0x420
	s_delay_alu instid0(VALU_DEP_4) | instskip(NEXT) | instid1(VALU_DEP_4)
	v_and_b32_e32 v37, v37, v154
	v_xor_b32_e32 v150, s17, v150
	s_delay_alu instid0(VALU_DEP_2) | instskip(NEXT) | instid1(VALU_DEP_1)
	v_and_b32_e32 v37, v37, v147
	v_and_b32_e32 v37, v37, v150
	s_delay_alu instid0(VALU_DEP_1) | instskip(SKIP_1) | instid1(VALU_DEP_2)
	v_mbcnt_lo_u32_b32 v147, v37, 0
	v_cmp_ne_u32_e64 s17, 0, v37
	v_cmp_eq_u32_e32 vcc_lo, 0, v147
	s_delay_alu instid0(VALU_DEP_2) | instskip(NEXT) | instid1(SALU_CYCLE_1)
	s_and_b32 s18, s17, vcc_lo
	s_and_saveexec_b32 s17, s18
	s_cbranch_execz .LBB1983_734
; %bb.733:                              ;   in Loop: Header=BB1983_696 Depth=2
	v_bcnt_u32_b32 v37, v37, 0
	ds_store_b32 v148, v37
.LBB1983_734:                           ;   in Loop: Header=BB1983_696 Depth=2
	s_or_b32 exec_lo, exec_lo, s17
	v_cmp_gt_i16_e64 vcc_lo, 0, v146
	; wave barrier
	s_delay_alu instid0(VALU_DEP_1) | instskip(NEXT) | instid1(VALU_DEP_1)
	v_cndmask_b32_e64 v37, 0x7fff, 0, vcc_lo
	v_xor_b32_e32 v146, v37, v146
	s_delay_alu instid0(VALU_DEP_1) | instskip(SKIP_1) | instid1(VALU_DEP_1)
	v_cmp_ne_u16_e64 vcc_lo, 0x8000, v146
	v_cndmask_b32_e32 v37, 0x7fff, v146, vcc_lo
	v_and_b32_e32 v37, 0xffff, v37
	s_delay_alu instid0(VALU_DEP_1) | instskip(NEXT) | instid1(VALU_DEP_1)
	v_lshrrev_b32_e32 v37, s49, v37
	v_and_b32_e32 v37, s55, v37
	s_delay_alu instid0(VALU_DEP_1)
	v_and_b32_e32 v150, 1, v37
	v_lshlrev_b32_e32 v151, 30, v37
	v_lshlrev_b32_e32 v152, 29, v37
	;; [unrolled: 1-line block ×4, first 2 shown]
	v_add_co_u32 v150, s17, v150, -1
	s_delay_alu instid0(VALU_DEP_1)
	v_cndmask_b32_e64 v155, 0, 1, s17
	v_not_b32_e32 v160, v151
	v_cmp_gt_i32_e64 s17, 0, v151
	v_not_b32_e32 v151, v152
	v_lshlrev_b32_e32 v158, 26, v37
	v_cmp_ne_u32_e32 vcc_lo, 0, v155
	v_ashrrev_i32_e32 v160, 31, v160
	v_lshlrev_b32_e32 v159, 25, v37
	v_ashrrev_i32_e32 v151, 31, v151
	v_lshlrev_b32_e32 v155, 24, v37
	v_xor_b32_e32 v150, vcc_lo, v150
	v_cmp_gt_i32_e32 vcc_lo, 0, v152
	v_not_b32_e32 v152, v154
	v_xor_b32_e32 v160, s17, v160
	v_cmp_gt_i32_e64 s17, 0, v154
	v_and_b32_e32 v150, exec_lo, v150
	v_not_b32_e32 v154, v156
	v_ashrrev_i32_e32 v152, 31, v152
	v_xor_b32_e32 v151, vcc_lo, v151
	v_cmp_gt_i32_e32 vcc_lo, 0, v156
	v_and_b32_e32 v150, v150, v160
	v_not_b32_e32 v156, v158
	v_ashrrev_i32_e32 v154, 31, v154
	v_xor_b32_e32 v152, s17, v152
	v_cmp_gt_i32_e64 s17, 0, v158
	v_and_b32_e32 v150, v150, v151
	v_not_b32_e32 v151, v159
	v_ashrrev_i32_e32 v156, 31, v156
	v_xor_b32_e32 v154, vcc_lo, v154
	v_cmp_gt_i32_e32 vcc_lo, 0, v159
	v_and_b32_e32 v150, v150, v152
	v_not_b32_e32 v152, v155
	v_ashrrev_i32_e32 v151, 31, v151
	v_xor_b32_e32 v156, s17, v156
	v_mul_u32_u24_e32 v37, 9, v37
	v_and_b32_e32 v150, v150, v154
	v_cmp_gt_i32_e64 s17, 0, v155
	v_ashrrev_i32_e32 v152, 31, v152
	v_xor_b32_e32 v151, vcc_lo, v151
	v_add_lshl_u32 v154, v37, v126, 2
	v_and_b32_e32 v150, v150, v156
	s_delay_alu instid0(VALU_DEP_4) | instskip(NEXT) | instid1(VALU_DEP_3)
	v_xor_b32_e32 v37, s17, v152
	v_add_nc_u32_e32 v152, 0x420, v154
	s_delay_alu instid0(VALU_DEP_3) | instskip(SKIP_2) | instid1(VALU_DEP_1)
	v_and_b32_e32 v151, v150, v151
	ds_load_b32 v150, v154 offset:1056
	; wave barrier
	v_and_b32_e32 v37, v151, v37
	v_mbcnt_lo_u32_b32 v151, v37, 0
	v_cmp_ne_u32_e64 s17, 0, v37
	s_delay_alu instid0(VALU_DEP_2) | instskip(NEXT) | instid1(VALU_DEP_2)
	v_cmp_eq_u32_e32 vcc_lo, 0, v151
	s_and_b32 s18, s17, vcc_lo
	s_delay_alu instid0(SALU_CYCLE_1)
	s_and_saveexec_b32 s17, s18
	s_cbranch_execz .LBB1983_736
; %bb.735:                              ;   in Loop: Header=BB1983_696 Depth=2
	s_waitcnt lgkmcnt(0)
	v_bcnt_u32_b32 v37, v37, v150
	ds_store_b32 v152, v37
.LBB1983_736:                           ;   in Loop: Header=BB1983_696 Depth=2
	s_or_b32 exec_lo, exec_lo, s17
	v_cmp_gt_i16_e64 vcc_lo, 0, v149
	; wave barrier
	s_delay_alu instid0(VALU_DEP_1) | instskip(NEXT) | instid1(VALU_DEP_1)
	v_cndmask_b32_e64 v37, 0x7fff, 0, vcc_lo
	v_xor_b32_e32 v149, v37, v149
	s_delay_alu instid0(VALU_DEP_1) | instskip(SKIP_1) | instid1(VALU_DEP_1)
	v_cmp_ne_u16_e64 vcc_lo, 0x8000, v149
	v_cndmask_b32_e32 v37, 0x7fff, v149, vcc_lo
	v_and_b32_e32 v37, 0xffff, v37
	s_delay_alu instid0(VALU_DEP_1) | instskip(NEXT) | instid1(VALU_DEP_1)
	v_lshrrev_b32_e32 v37, s49, v37
	v_and_b32_e32 v37, s55, v37
	s_delay_alu instid0(VALU_DEP_1)
	v_and_b32_e32 v154, 1, v37
	v_lshlrev_b32_e32 v155, 30, v37
	v_lshlrev_b32_e32 v156, 29, v37
	v_lshlrev_b32_e32 v158, 28, v37
	v_lshlrev_b32_e32 v160, 27, v37
	v_add_co_u32 v154, s17, v154, -1
	s_delay_alu instid0(VALU_DEP_1)
	v_cndmask_b32_e64 v159, 0, 1, s17
	v_not_b32_e32 v164, v155
	v_cmp_gt_i32_e64 s17, 0, v155
	v_not_b32_e32 v155, v156
	v_lshlrev_b32_e32 v162, 26, v37
	v_cmp_ne_u32_e32 vcc_lo, 0, v159
	v_ashrrev_i32_e32 v164, 31, v164
	v_lshlrev_b32_e32 v163, 25, v37
	v_ashrrev_i32_e32 v155, 31, v155
	v_lshlrev_b32_e32 v159, 24, v37
	v_xor_b32_e32 v154, vcc_lo, v154
	v_cmp_gt_i32_e32 vcc_lo, 0, v156
	v_not_b32_e32 v156, v158
	v_xor_b32_e32 v164, s17, v164
	v_cmp_gt_i32_e64 s17, 0, v158
	v_and_b32_e32 v154, exec_lo, v154
	v_not_b32_e32 v158, v160
	v_ashrrev_i32_e32 v156, 31, v156
	v_xor_b32_e32 v155, vcc_lo, v155
	v_cmp_gt_i32_e32 vcc_lo, 0, v160
	v_and_b32_e32 v154, v154, v164
	v_not_b32_e32 v160, v162
	v_ashrrev_i32_e32 v158, 31, v158
	v_xor_b32_e32 v156, s17, v156
	v_cmp_gt_i32_e64 s17, 0, v162
	v_and_b32_e32 v154, v154, v155
	v_not_b32_e32 v155, v163
	v_ashrrev_i32_e32 v160, 31, v160
	v_xor_b32_e32 v158, vcc_lo, v158
	v_cmp_gt_i32_e32 vcc_lo, 0, v163
	v_and_b32_e32 v154, v154, v156
	v_not_b32_e32 v156, v159
	v_ashrrev_i32_e32 v155, 31, v155
	v_xor_b32_e32 v160, s17, v160
	v_mul_u32_u24_e32 v37, 9, v37
	v_and_b32_e32 v154, v154, v158
	v_cmp_gt_i32_e64 s17, 0, v159
	v_ashrrev_i32_e32 v156, 31, v156
	v_xor_b32_e32 v155, vcc_lo, v155
	v_add_lshl_u32 v158, v37, v126, 2
	v_and_b32_e32 v154, v154, v160
	s_delay_alu instid0(VALU_DEP_4) | instskip(NEXT) | instid1(VALU_DEP_3)
	v_xor_b32_e32 v37, s17, v156
	v_add_nc_u32_e32 v156, 0x420, v158
	s_delay_alu instid0(VALU_DEP_3) | instskip(SKIP_2) | instid1(VALU_DEP_1)
	v_and_b32_e32 v155, v154, v155
	ds_load_b32 v154, v158 offset:1056
	; wave barrier
	v_and_b32_e32 v37, v155, v37
	v_mbcnt_lo_u32_b32 v155, v37, 0
	v_cmp_ne_u32_e64 s17, 0, v37
	s_delay_alu instid0(VALU_DEP_2) | instskip(NEXT) | instid1(VALU_DEP_2)
	v_cmp_eq_u32_e32 vcc_lo, 0, v155
	s_and_b32 s18, s17, vcc_lo
	s_delay_alu instid0(SALU_CYCLE_1)
	s_and_saveexec_b32 s17, s18
	s_cbranch_execz .LBB1983_738
; %bb.737:                              ;   in Loop: Header=BB1983_696 Depth=2
	s_waitcnt lgkmcnt(0)
	v_bcnt_u32_b32 v37, v37, v154
	ds_store_b32 v156, v37
.LBB1983_738:                           ;   in Loop: Header=BB1983_696 Depth=2
	s_or_b32 exec_lo, exec_lo, s17
	v_cmp_gt_i16_e64 vcc_lo, 0, v153
	; wave barrier
	s_delay_alu instid0(VALU_DEP_1) | instskip(NEXT) | instid1(VALU_DEP_1)
	v_cndmask_b32_e64 v37, 0x7fff, 0, vcc_lo
	v_xor_b32_e32 v153, v37, v153
	s_delay_alu instid0(VALU_DEP_1) | instskip(SKIP_1) | instid1(VALU_DEP_1)
	v_cmp_ne_u16_e64 vcc_lo, 0x8000, v153
	v_cndmask_b32_e32 v37, 0x7fff, v153, vcc_lo
	v_and_b32_e32 v37, 0xffff, v37
	s_delay_alu instid0(VALU_DEP_1) | instskip(NEXT) | instid1(VALU_DEP_1)
	v_lshrrev_b32_e32 v37, s49, v37
	v_and_b32_e32 v37, s55, v37
	s_delay_alu instid0(VALU_DEP_1)
	v_and_b32_e32 v158, 1, v37
	v_lshlrev_b32_e32 v159, 30, v37
	v_lshlrev_b32_e32 v160, 29, v37
	;; [unrolled: 1-line block ×4, first 2 shown]
	v_add_co_u32 v158, s17, v158, -1
	s_delay_alu instid0(VALU_DEP_1)
	v_cndmask_b32_e64 v163, 0, 1, s17
	v_not_b32_e32 v168, v159
	v_cmp_gt_i32_e64 s17, 0, v159
	v_not_b32_e32 v159, v160
	v_lshlrev_b32_e32 v166, 26, v37
	v_cmp_ne_u32_e32 vcc_lo, 0, v163
	v_ashrrev_i32_e32 v168, 31, v168
	v_lshlrev_b32_e32 v167, 25, v37
	v_ashrrev_i32_e32 v159, 31, v159
	v_lshlrev_b32_e32 v163, 24, v37
	v_xor_b32_e32 v158, vcc_lo, v158
	v_cmp_gt_i32_e32 vcc_lo, 0, v160
	v_not_b32_e32 v160, v162
	v_xor_b32_e32 v168, s17, v168
	v_cmp_gt_i32_e64 s17, 0, v162
	v_and_b32_e32 v158, exec_lo, v158
	v_not_b32_e32 v162, v164
	v_ashrrev_i32_e32 v160, 31, v160
	v_xor_b32_e32 v159, vcc_lo, v159
	v_cmp_gt_i32_e32 vcc_lo, 0, v164
	v_and_b32_e32 v158, v158, v168
	v_not_b32_e32 v164, v166
	v_ashrrev_i32_e32 v162, 31, v162
	v_xor_b32_e32 v160, s17, v160
	v_cmp_gt_i32_e64 s17, 0, v166
	v_and_b32_e32 v158, v158, v159
	v_not_b32_e32 v159, v167
	v_ashrrev_i32_e32 v164, 31, v164
	v_xor_b32_e32 v162, vcc_lo, v162
	v_cmp_gt_i32_e32 vcc_lo, 0, v167
	v_and_b32_e32 v158, v158, v160
	v_not_b32_e32 v160, v163
	v_ashrrev_i32_e32 v159, 31, v159
	v_xor_b32_e32 v164, s17, v164
	v_mul_u32_u24_e32 v37, 9, v37
	v_and_b32_e32 v158, v158, v162
	v_cmp_gt_i32_e64 s17, 0, v163
	v_ashrrev_i32_e32 v160, 31, v160
	v_xor_b32_e32 v159, vcc_lo, v159
	v_add_lshl_u32 v162, v37, v126, 2
	v_and_b32_e32 v158, v158, v164
	s_delay_alu instid0(VALU_DEP_4) | instskip(NEXT) | instid1(VALU_DEP_3)
	v_xor_b32_e32 v37, s17, v160
	v_add_nc_u32_e32 v160, 0x420, v162
	s_delay_alu instid0(VALU_DEP_3) | instskip(SKIP_2) | instid1(VALU_DEP_1)
	v_and_b32_e32 v159, v158, v159
	ds_load_b32 v158, v162 offset:1056
	; wave barrier
	v_and_b32_e32 v37, v159, v37
	v_mbcnt_lo_u32_b32 v159, v37, 0
	v_cmp_ne_u32_e64 s17, 0, v37
	s_delay_alu instid0(VALU_DEP_2) | instskip(NEXT) | instid1(VALU_DEP_2)
	v_cmp_eq_u32_e32 vcc_lo, 0, v159
	s_and_b32 s18, s17, vcc_lo
	s_delay_alu instid0(SALU_CYCLE_1)
	s_and_saveexec_b32 s17, s18
	s_cbranch_execz .LBB1983_740
; %bb.739:                              ;   in Loop: Header=BB1983_696 Depth=2
	s_waitcnt lgkmcnt(0)
	v_bcnt_u32_b32 v37, v37, v158
	ds_store_b32 v160, v37
.LBB1983_740:                           ;   in Loop: Header=BB1983_696 Depth=2
	s_or_b32 exec_lo, exec_lo, s17
	v_cmp_gt_i16_e64 vcc_lo, 0, v157
	; wave barrier
	s_delay_alu instid0(VALU_DEP_1) | instskip(NEXT) | instid1(VALU_DEP_1)
	v_cndmask_b32_e64 v37, 0x7fff, 0, vcc_lo
	v_xor_b32_e32 v157, v37, v157
	s_delay_alu instid0(VALU_DEP_1) | instskip(SKIP_1) | instid1(VALU_DEP_1)
	v_cmp_ne_u16_e64 vcc_lo, 0x8000, v157
	v_cndmask_b32_e32 v37, 0x7fff, v157, vcc_lo
	v_and_b32_e32 v37, 0xffff, v37
	s_delay_alu instid0(VALU_DEP_1) | instskip(NEXT) | instid1(VALU_DEP_1)
	v_lshrrev_b32_e32 v37, s49, v37
	v_and_b32_e32 v37, s55, v37
	s_delay_alu instid0(VALU_DEP_1)
	v_and_b32_e32 v162, 1, v37
	v_lshlrev_b32_e32 v163, 30, v37
	v_lshlrev_b32_e32 v164, 29, v37
	;; [unrolled: 1-line block ×4, first 2 shown]
	v_add_co_u32 v162, s17, v162, -1
	s_delay_alu instid0(VALU_DEP_1)
	v_cndmask_b32_e64 v167, 0, 1, s17
	v_not_b32_e32 v173, v163
	v_cmp_gt_i32_e64 s17, 0, v163
	v_not_b32_e32 v163, v164
	v_lshlrev_b32_e32 v171, 26, v37
	v_cmp_ne_u32_e32 vcc_lo, 0, v167
	v_ashrrev_i32_e32 v173, 31, v173
	v_lshlrev_b32_e32 v172, 25, v37
	v_ashrrev_i32_e32 v163, 31, v163
	v_lshlrev_b32_e32 v167, 24, v37
	v_xor_b32_e32 v162, vcc_lo, v162
	v_cmp_gt_i32_e32 vcc_lo, 0, v164
	v_not_b32_e32 v164, v166
	v_xor_b32_e32 v173, s17, v173
	v_cmp_gt_i32_e64 s17, 0, v166
	v_and_b32_e32 v162, exec_lo, v162
	v_not_b32_e32 v166, v168
	v_ashrrev_i32_e32 v164, 31, v164
	v_xor_b32_e32 v163, vcc_lo, v163
	v_cmp_gt_i32_e32 vcc_lo, 0, v168
	v_and_b32_e32 v162, v162, v173
	v_not_b32_e32 v168, v171
	v_ashrrev_i32_e32 v166, 31, v166
	v_xor_b32_e32 v164, s17, v164
	v_cmp_gt_i32_e64 s17, 0, v171
	v_and_b32_e32 v162, v162, v163
	v_not_b32_e32 v163, v172
	v_ashrrev_i32_e32 v168, 31, v168
	v_xor_b32_e32 v166, vcc_lo, v166
	v_cmp_gt_i32_e32 vcc_lo, 0, v172
	v_and_b32_e32 v162, v162, v164
	v_not_b32_e32 v164, v167
	v_ashrrev_i32_e32 v163, 31, v163
	v_xor_b32_e32 v168, s17, v168
	v_mul_u32_u24_e32 v37, 9, v37
	v_and_b32_e32 v162, v162, v166
	v_cmp_gt_i32_e64 s17, 0, v167
	v_ashrrev_i32_e32 v164, 31, v164
	v_xor_b32_e32 v163, vcc_lo, v163
	v_add_lshl_u32 v166, v37, v126, 2
	v_and_b32_e32 v162, v162, v168
	s_delay_alu instid0(VALU_DEP_4) | instskip(NEXT) | instid1(VALU_DEP_3)
	v_xor_b32_e32 v37, s17, v164
	v_add_nc_u32_e32 v164, 0x420, v166
	s_delay_alu instid0(VALU_DEP_3) | instskip(SKIP_2) | instid1(VALU_DEP_1)
	v_and_b32_e32 v163, v162, v163
	ds_load_b32 v162, v166 offset:1056
	; wave barrier
	v_and_b32_e32 v37, v163, v37
	v_mbcnt_lo_u32_b32 v163, v37, 0
	v_cmp_ne_u32_e64 s17, 0, v37
	s_delay_alu instid0(VALU_DEP_2) | instskip(NEXT) | instid1(VALU_DEP_2)
	v_cmp_eq_u32_e32 vcc_lo, 0, v163
	s_and_b32 s18, s17, vcc_lo
	s_delay_alu instid0(SALU_CYCLE_1)
	s_and_saveexec_b32 s17, s18
	s_cbranch_execz .LBB1983_742
; %bb.741:                              ;   in Loop: Header=BB1983_696 Depth=2
	s_waitcnt lgkmcnt(0)
	v_bcnt_u32_b32 v37, v37, v162
	ds_store_b32 v164, v37
.LBB1983_742:                           ;   in Loop: Header=BB1983_696 Depth=2
	s_or_b32 exec_lo, exec_lo, s17
	v_cmp_gt_i16_e64 vcc_lo, 0, v161
	; wave barrier
	s_delay_alu instid0(VALU_DEP_1) | instskip(NEXT) | instid1(VALU_DEP_1)
	v_cndmask_b32_e64 v37, 0x7fff, 0, vcc_lo
	v_xor_b32_e32 v161, v37, v161
	s_delay_alu instid0(VALU_DEP_1) | instskip(SKIP_1) | instid1(VALU_DEP_1)
	v_cmp_ne_u16_e64 vcc_lo, 0x8000, v161
	v_cndmask_b32_e32 v37, 0x7fff, v161, vcc_lo
	v_and_b32_e32 v37, 0xffff, v37
	s_delay_alu instid0(VALU_DEP_1) | instskip(NEXT) | instid1(VALU_DEP_1)
	v_lshrrev_b32_e32 v37, s49, v37
	v_and_b32_e32 v37, s55, v37
	s_delay_alu instid0(VALU_DEP_1)
	v_and_b32_e32 v166, 1, v37
	v_lshlrev_b32_e32 v167, 30, v37
	v_lshlrev_b32_e32 v168, 29, v37
	;; [unrolled: 1-line block ×4, first 2 shown]
	v_add_co_u32 v166, s17, v166, -1
	s_delay_alu instid0(VALU_DEP_1)
	v_cndmask_b32_e64 v172, 0, 1, s17
	v_not_b32_e32 v176, v167
	v_cmp_gt_i32_e64 s17, 0, v167
	v_not_b32_e32 v167, v168
	v_lshlrev_b32_e32 v174, 26, v37
	v_cmp_ne_u32_e32 vcc_lo, 0, v172
	v_ashrrev_i32_e32 v176, 31, v176
	v_lshlrev_b32_e32 v175, 25, v37
	v_ashrrev_i32_e32 v167, 31, v167
	v_lshlrev_b32_e32 v172, 24, v37
	v_xor_b32_e32 v166, vcc_lo, v166
	v_cmp_gt_i32_e32 vcc_lo, 0, v168
	v_not_b32_e32 v168, v171
	v_xor_b32_e32 v176, s17, v176
	v_cmp_gt_i32_e64 s17, 0, v171
	v_and_b32_e32 v166, exec_lo, v166
	v_not_b32_e32 v171, v173
	v_ashrrev_i32_e32 v168, 31, v168
	v_xor_b32_e32 v167, vcc_lo, v167
	v_cmp_gt_i32_e32 vcc_lo, 0, v173
	v_and_b32_e32 v166, v166, v176
	v_not_b32_e32 v173, v174
	v_ashrrev_i32_e32 v171, 31, v171
	v_xor_b32_e32 v168, s17, v168
	v_cmp_gt_i32_e64 s17, 0, v174
	v_and_b32_e32 v166, v166, v167
	v_not_b32_e32 v167, v175
	v_ashrrev_i32_e32 v173, 31, v173
	v_xor_b32_e32 v171, vcc_lo, v171
	v_cmp_gt_i32_e32 vcc_lo, 0, v175
	v_and_b32_e32 v166, v166, v168
	v_not_b32_e32 v168, v172
	v_ashrrev_i32_e32 v167, 31, v167
	v_xor_b32_e32 v173, s17, v173
	v_mul_u32_u24_e32 v37, 9, v37
	v_and_b32_e32 v166, v166, v171
	v_cmp_gt_i32_e64 s17, 0, v172
	v_ashrrev_i32_e32 v168, 31, v168
	v_xor_b32_e32 v167, vcc_lo, v167
	v_add_lshl_u32 v171, v37, v126, 2
	v_and_b32_e32 v166, v166, v173
	s_delay_alu instid0(VALU_DEP_4) | instskip(NEXT) | instid1(VALU_DEP_3)
	v_xor_b32_e32 v37, s17, v168
	v_add_nc_u32_e32 v168, 0x420, v171
	s_delay_alu instid0(VALU_DEP_3) | instskip(SKIP_2) | instid1(VALU_DEP_1)
	v_and_b32_e32 v167, v166, v167
	ds_load_b32 v166, v171 offset:1056
	; wave barrier
	v_and_b32_e32 v37, v167, v37
	v_mbcnt_lo_u32_b32 v167, v37, 0
	v_cmp_ne_u32_e64 s17, 0, v37
	s_delay_alu instid0(VALU_DEP_2) | instskip(NEXT) | instid1(VALU_DEP_2)
	v_cmp_eq_u32_e32 vcc_lo, 0, v167
	s_and_b32 s18, s17, vcc_lo
	s_delay_alu instid0(SALU_CYCLE_1)
	s_and_saveexec_b32 s17, s18
	s_cbranch_execz .LBB1983_744
; %bb.743:                              ;   in Loop: Header=BB1983_696 Depth=2
	s_waitcnt lgkmcnt(0)
	v_bcnt_u32_b32 v37, v37, v166
	ds_store_b32 v168, v37
.LBB1983_744:                           ;   in Loop: Header=BB1983_696 Depth=2
	s_or_b32 exec_lo, exec_lo, s17
	v_cmp_gt_i16_e64 vcc_lo, 0, v165
	; wave barrier
	s_delay_alu instid0(VALU_DEP_1) | instskip(NEXT) | instid1(VALU_DEP_1)
	v_cndmask_b32_e64 v37, 0x7fff, 0, vcc_lo
	v_xor_b32_e32 v165, v37, v165
	s_delay_alu instid0(VALU_DEP_1) | instskip(SKIP_1) | instid1(VALU_DEP_1)
	v_cmp_ne_u16_e64 vcc_lo, 0x8000, v165
	v_cndmask_b32_e32 v37, 0x7fff, v165, vcc_lo
	v_and_b32_e32 v37, 0xffff, v37
	s_delay_alu instid0(VALU_DEP_1) | instskip(NEXT) | instid1(VALU_DEP_1)
	v_lshrrev_b32_e32 v37, s49, v37
	v_and_b32_e32 v37, s55, v37
	s_delay_alu instid0(VALU_DEP_1)
	v_and_b32_e32 v171, 1, v37
	v_lshlrev_b32_e32 v172, 30, v37
	v_lshlrev_b32_e32 v173, 29, v37
	;; [unrolled: 1-line block ×4, first 2 shown]
	v_add_co_u32 v171, s17, v171, -1
	s_delay_alu instid0(VALU_DEP_1)
	v_cndmask_b32_e64 v175, 0, 1, s17
	v_not_b32_e32 v179, v172
	v_cmp_gt_i32_e64 s17, 0, v172
	v_not_b32_e32 v172, v173
	v_lshlrev_b32_e32 v177, 26, v37
	v_cmp_ne_u32_e32 vcc_lo, 0, v175
	v_ashrrev_i32_e32 v179, 31, v179
	v_lshlrev_b32_e32 v178, 25, v37
	v_ashrrev_i32_e32 v172, 31, v172
	v_lshlrev_b32_e32 v175, 24, v37
	v_xor_b32_e32 v171, vcc_lo, v171
	v_cmp_gt_i32_e32 vcc_lo, 0, v173
	v_not_b32_e32 v173, v174
	v_xor_b32_e32 v179, s17, v179
	v_cmp_gt_i32_e64 s17, 0, v174
	v_and_b32_e32 v171, exec_lo, v171
	v_not_b32_e32 v174, v176
	v_ashrrev_i32_e32 v173, 31, v173
	v_xor_b32_e32 v172, vcc_lo, v172
	v_cmp_gt_i32_e32 vcc_lo, 0, v176
	v_and_b32_e32 v171, v171, v179
	v_not_b32_e32 v176, v177
	v_ashrrev_i32_e32 v174, 31, v174
	v_xor_b32_e32 v173, s17, v173
	v_cmp_gt_i32_e64 s17, 0, v177
	v_and_b32_e32 v171, v171, v172
	v_not_b32_e32 v172, v178
	v_ashrrev_i32_e32 v176, 31, v176
	v_xor_b32_e32 v174, vcc_lo, v174
	v_cmp_gt_i32_e32 vcc_lo, 0, v178
	v_and_b32_e32 v171, v171, v173
	v_not_b32_e32 v173, v175
	v_ashrrev_i32_e32 v172, 31, v172
	v_xor_b32_e32 v176, s17, v176
	v_mul_u32_u24_e32 v37, 9, v37
	v_and_b32_e32 v171, v171, v174
	v_cmp_gt_i32_e64 s17, 0, v175
	v_ashrrev_i32_e32 v173, 31, v173
	v_xor_b32_e32 v172, vcc_lo, v172
	v_add_lshl_u32 v174, v37, v126, 2
	v_and_b32_e32 v171, v171, v176
	s_delay_alu instid0(VALU_DEP_4) | instskip(NEXT) | instid1(VALU_DEP_3)
	v_xor_b32_e32 v37, s17, v173
	v_add_nc_u32_e32 v173, 0x420, v174
	s_delay_alu instid0(VALU_DEP_3) | instskip(SKIP_2) | instid1(VALU_DEP_1)
	v_and_b32_e32 v172, v171, v172
	ds_load_b32 v171, v174 offset:1056
	; wave barrier
	v_and_b32_e32 v37, v172, v37
	v_mbcnt_lo_u32_b32 v172, v37, 0
	v_cmp_ne_u32_e64 s17, 0, v37
	s_delay_alu instid0(VALU_DEP_2) | instskip(NEXT) | instid1(VALU_DEP_2)
	v_cmp_eq_u32_e32 vcc_lo, 0, v172
	s_and_b32 s18, s17, vcc_lo
	s_delay_alu instid0(SALU_CYCLE_1)
	s_and_saveexec_b32 s17, s18
	s_cbranch_execz .LBB1983_746
; %bb.745:                              ;   in Loop: Header=BB1983_696 Depth=2
	s_waitcnt lgkmcnt(0)
	v_bcnt_u32_b32 v37, v37, v171
	ds_store_b32 v173, v37
.LBB1983_746:                           ;   in Loop: Header=BB1983_696 Depth=2
	s_or_b32 exec_lo, exec_lo, s17
	v_cmp_gt_i16_e64 vcc_lo, 0, v170
	; wave barrier
	s_delay_alu instid0(VALU_DEP_1) | instskip(NEXT) | instid1(VALU_DEP_1)
	v_cndmask_b32_e64 v37, 0x7fff, 0, vcc_lo
	v_xor_b32_e32 v170, v37, v170
	s_delay_alu instid0(VALU_DEP_1) | instskip(SKIP_1) | instid1(VALU_DEP_1)
	v_cmp_ne_u16_e64 vcc_lo, 0x8000, v170
	v_cndmask_b32_e32 v37, 0x7fff, v170, vcc_lo
	v_and_b32_e32 v37, 0xffff, v37
	s_delay_alu instid0(VALU_DEP_1) | instskip(NEXT) | instid1(VALU_DEP_1)
	v_lshrrev_b32_e32 v37, s49, v37
	v_and_b32_e32 v37, s55, v37
	s_delay_alu instid0(VALU_DEP_1)
	v_and_b32_e32 v174, 1, v37
	v_lshlrev_b32_e32 v175, 30, v37
	v_lshlrev_b32_e32 v176, 29, v37
	;; [unrolled: 1-line block ×4, first 2 shown]
	v_add_co_u32 v174, s17, v174, -1
	s_delay_alu instid0(VALU_DEP_1)
	v_cndmask_b32_e64 v178, 0, 1, s17
	v_not_b32_e32 v182, v175
	v_cmp_gt_i32_e64 s17, 0, v175
	v_not_b32_e32 v175, v176
	v_lshlrev_b32_e32 v180, 26, v37
	v_cmp_ne_u32_e32 vcc_lo, 0, v178
	v_ashrrev_i32_e32 v182, 31, v182
	v_lshlrev_b32_e32 v181, 25, v37
	v_ashrrev_i32_e32 v175, 31, v175
	v_lshlrev_b32_e32 v178, 24, v37
	v_xor_b32_e32 v174, vcc_lo, v174
	v_cmp_gt_i32_e32 vcc_lo, 0, v176
	v_not_b32_e32 v176, v177
	v_xor_b32_e32 v182, s17, v182
	v_cmp_gt_i32_e64 s17, 0, v177
	v_and_b32_e32 v174, exec_lo, v174
	v_not_b32_e32 v177, v179
	v_ashrrev_i32_e32 v176, 31, v176
	v_xor_b32_e32 v175, vcc_lo, v175
	v_cmp_gt_i32_e32 vcc_lo, 0, v179
	v_and_b32_e32 v174, v174, v182
	v_not_b32_e32 v179, v180
	v_ashrrev_i32_e32 v177, 31, v177
	v_xor_b32_e32 v176, s17, v176
	v_cmp_gt_i32_e64 s17, 0, v180
	v_and_b32_e32 v174, v174, v175
	v_not_b32_e32 v175, v181
	v_ashrrev_i32_e32 v179, 31, v179
	v_xor_b32_e32 v177, vcc_lo, v177
	v_cmp_gt_i32_e32 vcc_lo, 0, v181
	v_and_b32_e32 v174, v174, v176
	v_not_b32_e32 v176, v178
	v_ashrrev_i32_e32 v175, 31, v175
	v_xor_b32_e32 v179, s17, v179
	v_mul_u32_u24_e32 v37, 9, v37
	v_and_b32_e32 v174, v174, v177
	v_cmp_gt_i32_e64 s17, 0, v178
	v_ashrrev_i32_e32 v176, 31, v176
	v_xor_b32_e32 v175, vcc_lo, v175
	v_add_lshl_u32 v177, v37, v126, 2
	v_and_b32_e32 v174, v174, v179
	s_delay_alu instid0(VALU_DEP_4) | instskip(NEXT) | instid1(VALU_DEP_3)
	v_xor_b32_e32 v37, s17, v176
	v_add_nc_u32_e32 v176, 0x420, v177
	s_delay_alu instid0(VALU_DEP_3) | instskip(SKIP_2) | instid1(VALU_DEP_1)
	v_and_b32_e32 v175, v174, v175
	ds_load_b32 v174, v177 offset:1056
	; wave barrier
	v_and_b32_e32 v37, v175, v37
	v_mbcnt_lo_u32_b32 v175, v37, 0
	v_cmp_ne_u32_e64 s17, 0, v37
	s_delay_alu instid0(VALU_DEP_2) | instskip(NEXT) | instid1(VALU_DEP_2)
	v_cmp_eq_u32_e32 vcc_lo, 0, v175
	s_and_b32 s18, s17, vcc_lo
	s_delay_alu instid0(SALU_CYCLE_1)
	s_and_saveexec_b32 s17, s18
	s_cbranch_execz .LBB1983_748
; %bb.747:                              ;   in Loop: Header=BB1983_696 Depth=2
	s_waitcnt lgkmcnt(0)
	v_bcnt_u32_b32 v37, v37, v174
	ds_store_b32 v176, v37
.LBB1983_748:                           ;   in Loop: Header=BB1983_696 Depth=2
	s_or_b32 exec_lo, exec_lo, s17
	v_cmp_gt_i16_e64 vcc_lo, 0, v169
	; wave barrier
	s_delay_alu instid0(VALU_DEP_1) | instskip(NEXT) | instid1(VALU_DEP_1)
	v_cndmask_b32_e64 v37, 0x7fff, 0, vcc_lo
	v_xor_b32_e32 v169, v37, v169
	s_delay_alu instid0(VALU_DEP_1) | instskip(SKIP_1) | instid1(VALU_DEP_1)
	v_cmp_ne_u16_e64 vcc_lo, 0x8000, v169
	v_cndmask_b32_e32 v37, 0x7fff, v169, vcc_lo
	v_and_b32_e32 v37, 0xffff, v37
	s_delay_alu instid0(VALU_DEP_1) | instskip(NEXT) | instid1(VALU_DEP_1)
	v_lshrrev_b32_e32 v37, s49, v37
	v_and_b32_e32 v37, s55, v37
	s_delay_alu instid0(VALU_DEP_1)
	v_and_b32_e32 v177, 1, v37
	v_lshlrev_b32_e32 v178, 30, v37
	v_lshlrev_b32_e32 v179, 29, v37
	;; [unrolled: 1-line block ×4, first 2 shown]
	v_add_co_u32 v177, s17, v177, -1
	s_delay_alu instid0(VALU_DEP_1)
	v_cndmask_b32_e64 v181, 0, 1, s17
	v_not_b32_e32 v185, v178
	v_cmp_gt_i32_e64 s17, 0, v178
	v_not_b32_e32 v178, v179
	v_lshlrev_b32_e32 v183, 26, v37
	v_cmp_ne_u32_e32 vcc_lo, 0, v181
	v_ashrrev_i32_e32 v185, 31, v185
	v_lshlrev_b32_e32 v184, 25, v37
	v_ashrrev_i32_e32 v178, 31, v178
	v_lshlrev_b32_e32 v181, 24, v37
	v_xor_b32_e32 v177, vcc_lo, v177
	v_cmp_gt_i32_e32 vcc_lo, 0, v179
	v_not_b32_e32 v179, v180
	v_xor_b32_e32 v185, s17, v185
	v_cmp_gt_i32_e64 s17, 0, v180
	v_and_b32_e32 v177, exec_lo, v177
	v_not_b32_e32 v180, v182
	v_ashrrev_i32_e32 v179, 31, v179
	v_xor_b32_e32 v178, vcc_lo, v178
	v_cmp_gt_i32_e32 vcc_lo, 0, v182
	v_and_b32_e32 v177, v177, v185
	v_not_b32_e32 v182, v183
	v_ashrrev_i32_e32 v180, 31, v180
	v_xor_b32_e32 v179, s17, v179
	v_cmp_gt_i32_e64 s17, 0, v183
	v_and_b32_e32 v177, v177, v178
	v_not_b32_e32 v178, v184
	v_ashrrev_i32_e32 v182, 31, v182
	v_xor_b32_e32 v180, vcc_lo, v180
	v_cmp_gt_i32_e32 vcc_lo, 0, v184
	v_and_b32_e32 v177, v177, v179
	v_not_b32_e32 v179, v181
	v_ashrrev_i32_e32 v178, 31, v178
	v_xor_b32_e32 v182, s17, v182
	v_mul_u32_u24_e32 v37, 9, v37
	v_and_b32_e32 v177, v177, v180
	v_cmp_gt_i32_e64 s17, 0, v181
	v_ashrrev_i32_e32 v179, 31, v179
	v_xor_b32_e32 v178, vcc_lo, v178
	v_add_lshl_u32 v180, v37, v126, 2
	v_and_b32_e32 v177, v177, v182
	s_delay_alu instid0(VALU_DEP_4) | instskip(NEXT) | instid1(VALU_DEP_2)
	v_xor_b32_e32 v37, s17, v179
	v_and_b32_e32 v177, v177, v178
	ds_load_b32 v178, v180 offset:1056
	v_add_nc_u32_e32 v180, 0x420, v180
	; wave barrier
	v_and_b32_e32 v37, v177, v37
	s_delay_alu instid0(VALU_DEP_1) | instskip(SKIP_1) | instid1(VALU_DEP_2)
	v_mbcnt_lo_u32_b32 v179, v37, 0
	v_cmp_ne_u32_e64 s17, 0, v37
	v_cmp_eq_u32_e32 vcc_lo, 0, v179
	s_delay_alu instid0(VALU_DEP_2) | instskip(NEXT) | instid1(SALU_CYCLE_1)
	s_and_b32 s18, s17, vcc_lo
	s_and_saveexec_b32 s17, s18
	s_cbranch_execz .LBB1983_750
; %bb.749:                              ;   in Loop: Header=BB1983_696 Depth=2
	s_waitcnt lgkmcnt(0)
	v_bcnt_u32_b32 v37, v37, v178
	ds_store_b32 v180, v37
.LBB1983_750:                           ;   in Loop: Header=BB1983_696 Depth=2
	s_or_b32 exec_lo, exec_lo, s17
	v_cmp_gt_i16_e32 vcc_lo, 0, v43
	; wave barrier
	v_cndmask_b32_e64 v37, 0x7fff, 0, vcc_lo
	s_delay_alu instid0(VALU_DEP_1) | instskip(NEXT) | instid1(VALU_DEP_1)
	v_xor_b32_e32 v177, v37, v43
	v_cmp_ne_u16_e64 vcc_lo, 0x8000, v177
	v_cndmask_b32_e32 v37, 0x7fff, v177, vcc_lo
	s_delay_alu instid0(VALU_DEP_1) | instskip(NEXT) | instid1(VALU_DEP_1)
	v_and_b32_e32 v37, 0xffff, v37
	v_lshrrev_b32_e32 v37, s49, v37
	s_delay_alu instid0(VALU_DEP_1) | instskip(NEXT) | instid1(VALU_DEP_1)
	v_and_b32_e32 v37, s55, v37
	v_and_b32_e32 v43, 1, v37
	v_lshlrev_b32_e32 v181, 30, v37
	v_lshlrev_b32_e32 v182, 29, v37
	;; [unrolled: 1-line block ×4, first 2 shown]
	v_add_co_u32 v43, s17, v43, -1
	s_delay_alu instid0(VALU_DEP_1)
	v_cndmask_b32_e64 v184, 0, 1, s17
	v_not_b32_e32 v188, v181
	v_cmp_gt_i32_e64 s17, 0, v181
	v_not_b32_e32 v181, v182
	v_lshlrev_b32_e32 v186, 26, v37
	v_cmp_ne_u32_e32 vcc_lo, 0, v184
	v_ashrrev_i32_e32 v188, 31, v188
	v_lshlrev_b32_e32 v187, 25, v37
	v_ashrrev_i32_e32 v181, 31, v181
	v_lshlrev_b32_e32 v184, 24, v37
	v_xor_b32_e32 v43, vcc_lo, v43
	v_cmp_gt_i32_e32 vcc_lo, 0, v182
	v_not_b32_e32 v182, v183
	v_xor_b32_e32 v188, s17, v188
	v_cmp_gt_i32_e64 s17, 0, v183
	v_and_b32_e32 v43, exec_lo, v43
	v_not_b32_e32 v183, v185
	v_ashrrev_i32_e32 v182, 31, v182
	v_xor_b32_e32 v181, vcc_lo, v181
	v_cmp_gt_i32_e32 vcc_lo, 0, v185
	v_and_b32_e32 v43, v43, v188
	v_not_b32_e32 v185, v186
	v_ashrrev_i32_e32 v183, 31, v183
	v_xor_b32_e32 v182, s17, v182
	v_cmp_gt_i32_e64 s17, 0, v186
	v_and_b32_e32 v43, v43, v181
	v_not_b32_e32 v181, v187
	v_ashrrev_i32_e32 v185, 31, v185
	v_xor_b32_e32 v183, vcc_lo, v183
	v_cmp_gt_i32_e32 vcc_lo, 0, v187
	v_and_b32_e32 v43, v43, v182
	v_not_b32_e32 v182, v184
	v_ashrrev_i32_e32 v181, 31, v181
	v_xor_b32_e32 v185, s17, v185
	v_mul_u32_u24_e32 v37, 9, v37
	v_and_b32_e32 v43, v43, v183
	v_cmp_gt_i32_e64 s17, 0, v184
	v_ashrrev_i32_e32 v182, 31, v182
	v_xor_b32_e32 v181, vcc_lo, v181
	v_add_lshl_u32 v184, v37, v126, 2
	v_and_b32_e32 v43, v43, v185
	s_delay_alu instid0(VALU_DEP_4) | instskip(SKIP_3) | instid1(VALU_DEP_2)
	v_xor_b32_e32 v37, s17, v182
	ds_load_b32 v182, v184 offset:1056
	v_and_b32_e32 v43, v43, v181
	v_add_nc_u32_e32 v184, 0x420, v184
	; wave barrier
	v_and_b32_e32 v37, v43, v37
	s_delay_alu instid0(VALU_DEP_1) | instskip(SKIP_1) | instid1(VALU_DEP_2)
	v_mbcnt_lo_u32_b32 v183, v37, 0
	v_cmp_ne_u32_e64 s17, 0, v37
	v_cmp_eq_u32_e32 vcc_lo, 0, v183
	s_delay_alu instid0(VALU_DEP_2) | instskip(NEXT) | instid1(SALU_CYCLE_1)
	s_and_b32 s18, s17, vcc_lo
	s_and_saveexec_b32 s17, s18
	s_cbranch_execz .LBB1983_752
; %bb.751:                              ;   in Loop: Header=BB1983_696 Depth=2
	s_waitcnt lgkmcnt(0)
	v_bcnt_u32_b32 v37, v37, v182
	ds_store_b32 v184, v37
.LBB1983_752:                           ;   in Loop: Header=BB1983_696 Depth=2
	s_or_b32 exec_lo, exec_lo, s17
	v_cmp_gt_i16_e32 vcc_lo, 0, v42
	; wave barrier
	v_cndmask_b32_e64 v37, 0x7fff, 0, vcc_lo
	s_delay_alu instid0(VALU_DEP_1) | instskip(NEXT) | instid1(VALU_DEP_1)
	v_xor_b32_e32 v181, v37, v42
	v_cmp_ne_u16_e64 vcc_lo, 0x8000, v181
	v_cndmask_b32_e32 v37, 0x7fff, v181, vcc_lo
	s_delay_alu instid0(VALU_DEP_1) | instskip(NEXT) | instid1(VALU_DEP_1)
	v_and_b32_e32 v37, 0xffff, v37
	v_lshrrev_b32_e32 v37, s49, v37
	s_delay_alu instid0(VALU_DEP_1) | instskip(NEXT) | instid1(VALU_DEP_1)
	v_and_b32_e32 v37, s55, v37
	v_and_b32_e32 v42, 1, v37
	v_lshlrev_b32_e32 v43, 30, v37
	v_lshlrev_b32_e32 v185, 29, v37
	;; [unrolled: 1-line block ×4, first 2 shown]
	v_add_co_u32 v42, s17, v42, -1
	s_delay_alu instid0(VALU_DEP_1)
	v_cndmask_b32_e64 v187, 0, 1, s17
	v_not_b32_e32 v191, v43
	v_cmp_gt_i32_e64 s17, 0, v43
	v_not_b32_e32 v43, v185
	v_lshlrev_b32_e32 v189, 26, v37
	v_cmp_ne_u32_e32 vcc_lo, 0, v187
	v_ashrrev_i32_e32 v191, 31, v191
	v_lshlrev_b32_e32 v190, 25, v37
	v_ashrrev_i32_e32 v43, 31, v43
	v_lshlrev_b32_e32 v187, 24, v37
	v_xor_b32_e32 v42, vcc_lo, v42
	v_cmp_gt_i32_e32 vcc_lo, 0, v185
	v_not_b32_e32 v185, v186
	v_xor_b32_e32 v191, s17, v191
	v_cmp_gt_i32_e64 s17, 0, v186
	v_and_b32_e32 v42, exec_lo, v42
	v_not_b32_e32 v186, v188
	v_ashrrev_i32_e32 v185, 31, v185
	v_xor_b32_e32 v43, vcc_lo, v43
	v_cmp_gt_i32_e32 vcc_lo, 0, v188
	v_and_b32_e32 v42, v42, v191
	v_not_b32_e32 v188, v189
	v_ashrrev_i32_e32 v186, 31, v186
	v_xor_b32_e32 v185, s17, v185
	v_cmp_gt_i32_e64 s17, 0, v189
	v_and_b32_e32 v42, v42, v43
	v_not_b32_e32 v43, v190
	v_ashrrev_i32_e32 v188, 31, v188
	v_xor_b32_e32 v186, vcc_lo, v186
	v_cmp_gt_i32_e32 vcc_lo, 0, v190
	v_and_b32_e32 v42, v42, v185
	v_not_b32_e32 v185, v187
	v_ashrrev_i32_e32 v43, 31, v43
	v_xor_b32_e32 v188, s17, v188
	v_mul_u32_u24_e32 v37, 9, v37
	v_and_b32_e32 v42, v42, v186
	v_cmp_gt_i32_e64 s17, 0, v187
	v_ashrrev_i32_e32 v185, 31, v185
	v_xor_b32_e32 v43, vcc_lo, v43
	s_delay_alu instid0(VALU_DEP_4) | instskip(SKIP_1) | instid1(VALU_DEP_4)
	v_and_b32_e32 v42, v42, v188
	v_add_lshl_u32 v188, v37, v126, 2
	v_xor_b32_e32 v37, s17, v185
	s_delay_alu instid0(VALU_DEP_3) | instskip(SKIP_3) | instid1(VALU_DEP_1)
	v_and_b32_e32 v42, v42, v43
	ds_load_b32 v186, v188 offset:1056
	v_add_nc_u32_e32 v188, 0x420, v188
	; wave barrier
	v_and_b32_e32 v37, v42, v37
	v_mbcnt_lo_u32_b32 v187, v37, 0
	v_cmp_ne_u32_e64 s17, 0, v37
	s_delay_alu instid0(VALU_DEP_2) | instskip(NEXT) | instid1(VALU_DEP_2)
	v_cmp_eq_u32_e32 vcc_lo, 0, v187
	s_and_b32 s18, s17, vcc_lo
	s_delay_alu instid0(SALU_CYCLE_1)
	s_and_saveexec_b32 s17, s18
	s_cbranch_execz .LBB1983_754
; %bb.753:                              ;   in Loop: Header=BB1983_696 Depth=2
	s_waitcnt lgkmcnt(0)
	v_bcnt_u32_b32 v37, v37, v186
	ds_store_b32 v188, v37
.LBB1983_754:                           ;   in Loop: Header=BB1983_696 Depth=2
	s_or_b32 exec_lo, exec_lo, s17
	v_cmp_gt_i16_e32 vcc_lo, 0, v41
	; wave barrier
	v_cndmask_b32_e64 v37, 0x7fff, 0, vcc_lo
	s_delay_alu instid0(VALU_DEP_1) | instskip(NEXT) | instid1(VALU_DEP_1)
	v_xor_b32_e32 v185, v37, v41
	v_cmp_ne_u16_e64 vcc_lo, 0x8000, v185
	v_cndmask_b32_e32 v37, 0x7fff, v185, vcc_lo
	s_delay_alu instid0(VALU_DEP_1) | instskip(NEXT) | instid1(VALU_DEP_1)
	v_and_b32_e32 v37, 0xffff, v37
	v_lshrrev_b32_e32 v37, s49, v37
	s_delay_alu instid0(VALU_DEP_1) | instskip(NEXT) | instid1(VALU_DEP_1)
	v_and_b32_e32 v37, s55, v37
	v_and_b32_e32 v41, 1, v37
	v_lshlrev_b32_e32 v42, 30, v37
	v_lshlrev_b32_e32 v43, 29, v37
	v_lshlrev_b32_e32 v189, 28, v37
	v_lshlrev_b32_e32 v191, 27, v37
	v_add_co_u32 v41, s17, v41, -1
	s_delay_alu instid0(VALU_DEP_1)
	v_cndmask_b32_e64 v190, 0, 1, s17
	v_not_b32_e32 v194, v42
	v_cmp_gt_i32_e64 s17, 0, v42
	v_not_b32_e32 v42, v43
	v_lshlrev_b32_e32 v192, 26, v37
	v_cmp_ne_u32_e32 vcc_lo, 0, v190
	v_ashrrev_i32_e32 v194, 31, v194
	v_lshlrev_b32_e32 v193, 25, v37
	v_ashrrev_i32_e32 v42, 31, v42
	v_lshlrev_b32_e32 v190, 24, v37
	v_xor_b32_e32 v41, vcc_lo, v41
	v_cmp_gt_i32_e32 vcc_lo, 0, v43
	v_not_b32_e32 v43, v189
	v_xor_b32_e32 v194, s17, v194
	v_cmp_gt_i32_e64 s17, 0, v189
	v_and_b32_e32 v41, exec_lo, v41
	v_not_b32_e32 v189, v191
	v_ashrrev_i32_e32 v43, 31, v43
	v_xor_b32_e32 v42, vcc_lo, v42
	v_cmp_gt_i32_e32 vcc_lo, 0, v191
	v_and_b32_e32 v41, v41, v194
	v_not_b32_e32 v191, v192
	v_ashrrev_i32_e32 v189, 31, v189
	v_xor_b32_e32 v43, s17, v43
	v_cmp_gt_i32_e64 s17, 0, v192
	v_and_b32_e32 v41, v41, v42
	v_not_b32_e32 v42, v193
	v_ashrrev_i32_e32 v191, 31, v191
	v_xor_b32_e32 v189, vcc_lo, v189
	v_cmp_gt_i32_e32 vcc_lo, 0, v193
	v_and_b32_e32 v41, v41, v43
	v_not_b32_e32 v43, v190
	v_ashrrev_i32_e32 v42, 31, v42
	v_xor_b32_e32 v191, s17, v191
	v_mul_u32_u24_e32 v37, 9, v37
	v_and_b32_e32 v41, v41, v189
	v_cmp_gt_i32_e64 s17, 0, v190
	v_ashrrev_i32_e32 v43, 31, v43
	v_xor_b32_e32 v42, vcc_lo, v42
	v_add_lshl_u32 v189, v37, v126, 2
	v_and_b32_e32 v41, v41, v191
	s_delay_alu instid0(VALU_DEP_4) | instskip(SKIP_3) | instid1(VALU_DEP_2)
	v_xor_b32_e32 v37, s17, v43
	ds_load_b32 v190, v189 offset:1056
	v_and_b32_e32 v41, v41, v42
	v_add_nc_u32_e32 v192, 0x420, v189
	; wave barrier
	v_and_b32_e32 v37, v41, v37
	s_delay_alu instid0(VALU_DEP_1) | instskip(SKIP_1) | instid1(VALU_DEP_2)
	v_mbcnt_lo_u32_b32 v191, v37, 0
	v_cmp_ne_u32_e64 s17, 0, v37
	v_cmp_eq_u32_e32 vcc_lo, 0, v191
	s_delay_alu instid0(VALU_DEP_2) | instskip(NEXT) | instid1(SALU_CYCLE_1)
	s_and_b32 s18, s17, vcc_lo
	s_and_saveexec_b32 s17, s18
	s_cbranch_execz .LBB1983_756
; %bb.755:                              ;   in Loop: Header=BB1983_696 Depth=2
	s_waitcnt lgkmcnt(0)
	v_bcnt_u32_b32 v37, v37, v190
	ds_store_b32 v192, v37
.LBB1983_756:                           ;   in Loop: Header=BB1983_696 Depth=2
	s_or_b32 exec_lo, exec_lo, s17
	v_cmp_gt_i16_e32 vcc_lo, 0, v40
	; wave barrier
	v_cndmask_b32_e64 v37, 0x7fff, 0, vcc_lo
	s_delay_alu instid0(VALU_DEP_1) | instskip(NEXT) | instid1(VALU_DEP_1)
	v_xor_b32_e32 v189, v37, v40
	v_cmp_ne_u16_e64 vcc_lo, 0x8000, v189
	v_cndmask_b32_e32 v37, 0x7fff, v189, vcc_lo
	s_delay_alu instid0(VALU_DEP_1) | instskip(NEXT) | instid1(VALU_DEP_1)
	v_and_b32_e32 v37, 0xffff, v37
	v_lshrrev_b32_e32 v37, s49, v37
	s_delay_alu instid0(VALU_DEP_1) | instskip(NEXT) | instid1(VALU_DEP_1)
	v_and_b32_e32 v37, s55, v37
	v_and_b32_e32 v40, 1, v37
	v_lshlrev_b32_e32 v41, 30, v37
	v_lshlrev_b32_e32 v42, 29, v37
	;; [unrolled: 1-line block ×4, first 2 shown]
	v_add_co_u32 v40, s17, v40, -1
	s_delay_alu instid0(VALU_DEP_1)
	v_cndmask_b32_e64 v193, 0, 1, s17
	v_not_b32_e32 v197, v41
	v_cmp_gt_i32_e64 s17, 0, v41
	v_not_b32_e32 v41, v42
	v_lshlrev_b32_e32 v195, 26, v37
	v_cmp_ne_u32_e32 vcc_lo, 0, v193
	v_ashrrev_i32_e32 v197, 31, v197
	v_lshlrev_b32_e32 v196, 25, v37
	v_ashrrev_i32_e32 v41, 31, v41
	v_lshlrev_b32_e32 v193, 24, v37
	v_xor_b32_e32 v40, vcc_lo, v40
	v_cmp_gt_i32_e32 vcc_lo, 0, v42
	v_not_b32_e32 v42, v43
	v_xor_b32_e32 v197, s17, v197
	v_cmp_gt_i32_e64 s17, 0, v43
	v_and_b32_e32 v40, exec_lo, v40
	v_not_b32_e32 v43, v194
	v_ashrrev_i32_e32 v42, 31, v42
	v_xor_b32_e32 v41, vcc_lo, v41
	v_cmp_gt_i32_e32 vcc_lo, 0, v194
	v_and_b32_e32 v40, v40, v197
	v_not_b32_e32 v194, v195
	v_ashrrev_i32_e32 v43, 31, v43
	v_xor_b32_e32 v42, s17, v42
	v_cmp_gt_i32_e64 s17, 0, v195
	v_and_b32_e32 v40, v40, v41
	v_not_b32_e32 v41, v196
	v_ashrrev_i32_e32 v194, 31, v194
	v_xor_b32_e32 v43, vcc_lo, v43
	v_cmp_gt_i32_e32 vcc_lo, 0, v196
	v_and_b32_e32 v40, v40, v42
	v_not_b32_e32 v42, v193
	v_ashrrev_i32_e32 v41, 31, v41
	v_xor_b32_e32 v194, s17, v194
	v_mul_u32_u24_e32 v37, 9, v37
	v_and_b32_e32 v40, v40, v43
	v_cmp_gt_i32_e64 s17, 0, v193
	v_ashrrev_i32_e32 v42, 31, v42
	v_xor_b32_e32 v41, vcc_lo, v41
	v_add_lshl_u32 v43, v37, v126, 2
	v_and_b32_e32 v40, v40, v194
	s_delay_alu instid0(VALU_DEP_4) | instskip(SKIP_3) | instid1(VALU_DEP_2)
	v_xor_b32_e32 v37, s17, v42
	ds_load_b32 v194, v43 offset:1056
	v_and_b32_e32 v40, v40, v41
	v_add_nc_u32_e32 v196, 0x420, v43
	; wave barrier
	v_and_b32_e32 v37, v40, v37
	s_delay_alu instid0(VALU_DEP_1) | instskip(SKIP_1) | instid1(VALU_DEP_2)
	v_mbcnt_lo_u32_b32 v195, v37, 0
	v_cmp_ne_u32_e64 s17, 0, v37
	v_cmp_eq_u32_e32 vcc_lo, 0, v195
	s_delay_alu instid0(VALU_DEP_2) | instskip(NEXT) | instid1(SALU_CYCLE_1)
	s_and_b32 s18, s17, vcc_lo
	s_and_saveexec_b32 s17, s18
	s_cbranch_execz .LBB1983_758
; %bb.757:                              ;   in Loop: Header=BB1983_696 Depth=2
	s_waitcnt lgkmcnt(0)
	v_bcnt_u32_b32 v37, v37, v194
	ds_store_b32 v196, v37
.LBB1983_758:                           ;   in Loop: Header=BB1983_696 Depth=2
	s_or_b32 exec_lo, exec_lo, s17
	v_cmp_gt_i16_e32 vcc_lo, 0, v39
	; wave barrier
	v_cndmask_b32_e64 v37, 0x7fff, 0, vcc_lo
	s_delay_alu instid0(VALU_DEP_1) | instskip(NEXT) | instid1(VALU_DEP_1)
	v_xor_b32_e32 v193, v37, v39
	v_cmp_ne_u16_e64 vcc_lo, 0x8000, v193
	v_cndmask_b32_e32 v37, 0x7fff, v193, vcc_lo
	s_delay_alu instid0(VALU_DEP_1) | instskip(NEXT) | instid1(VALU_DEP_1)
	v_and_b32_e32 v37, 0xffff, v37
	v_lshrrev_b32_e32 v37, s49, v37
	s_delay_alu instid0(VALU_DEP_1) | instskip(NEXT) | instid1(VALU_DEP_1)
	v_and_b32_e32 v37, s55, v37
	v_and_b32_e32 v39, 1, v37
	v_lshlrev_b32_e32 v40, 30, v37
	v_lshlrev_b32_e32 v41, 29, v37
	v_lshlrev_b32_e32 v42, 28, v37
	v_lshlrev_b32_e32 v197, 27, v37
	v_add_co_u32 v39, s17, v39, -1
	s_delay_alu instid0(VALU_DEP_1)
	v_cndmask_b32_e64 v43, 0, 1, s17
	v_not_b32_e32 v200, v40
	v_cmp_gt_i32_e64 s17, 0, v40
	v_not_b32_e32 v40, v41
	v_lshlrev_b32_e32 v198, 26, v37
	v_cmp_ne_u32_e32 vcc_lo, 0, v43
	v_ashrrev_i32_e32 v200, 31, v200
	v_lshlrev_b32_e32 v199, 25, v37
	v_ashrrev_i32_e32 v40, 31, v40
	v_lshlrev_b32_e32 v43, 24, v37
	v_xor_b32_e32 v39, vcc_lo, v39
	v_cmp_gt_i32_e32 vcc_lo, 0, v41
	v_not_b32_e32 v41, v42
	v_xor_b32_e32 v200, s17, v200
	v_cmp_gt_i32_e64 s17, 0, v42
	v_and_b32_e32 v39, exec_lo, v39
	v_not_b32_e32 v42, v197
	v_ashrrev_i32_e32 v41, 31, v41
	v_xor_b32_e32 v40, vcc_lo, v40
	v_cmp_gt_i32_e32 vcc_lo, 0, v197
	v_and_b32_e32 v39, v39, v200
	v_not_b32_e32 v197, v198
	v_ashrrev_i32_e32 v42, 31, v42
	v_xor_b32_e32 v41, s17, v41
	v_cmp_gt_i32_e64 s17, 0, v198
	v_and_b32_e32 v39, v39, v40
	v_not_b32_e32 v40, v199
	v_ashrrev_i32_e32 v197, 31, v197
	v_xor_b32_e32 v42, vcc_lo, v42
	v_cmp_gt_i32_e32 vcc_lo, 0, v199
	v_and_b32_e32 v39, v39, v41
	v_not_b32_e32 v41, v43
	v_ashrrev_i32_e32 v40, 31, v40
	v_xor_b32_e32 v197, s17, v197
	v_mul_u32_u24_e32 v37, 9, v37
	v_and_b32_e32 v39, v39, v42
	v_cmp_gt_i32_e64 s17, 0, v43
	v_ashrrev_i32_e32 v41, 31, v41
	v_xor_b32_e32 v40, vcc_lo, v40
	v_add_lshl_u32 v42, v37, v126, 2
	v_and_b32_e32 v39, v39, v197
	s_delay_alu instid0(VALU_DEP_4) | instskip(SKIP_3) | instid1(VALU_DEP_2)
	v_xor_b32_e32 v37, s17, v41
	ds_load_b32 v198, v42 offset:1056
	v_and_b32_e32 v39, v39, v40
	v_add_nc_u32_e32 v200, 0x420, v42
	; wave barrier
	v_and_b32_e32 v37, v39, v37
	s_delay_alu instid0(VALU_DEP_1) | instskip(SKIP_1) | instid1(VALU_DEP_2)
	v_mbcnt_lo_u32_b32 v199, v37, 0
	v_cmp_ne_u32_e64 s17, 0, v37
	v_cmp_eq_u32_e32 vcc_lo, 0, v199
	s_delay_alu instid0(VALU_DEP_2) | instskip(NEXT) | instid1(SALU_CYCLE_1)
	s_and_b32 s18, s17, vcc_lo
	s_and_saveexec_b32 s17, s18
	s_cbranch_execz .LBB1983_760
; %bb.759:                              ;   in Loop: Header=BB1983_696 Depth=2
	s_waitcnt lgkmcnt(0)
	v_bcnt_u32_b32 v37, v37, v198
	ds_store_b32 v200, v37
.LBB1983_760:                           ;   in Loop: Header=BB1983_696 Depth=2
	s_or_b32 exec_lo, exec_lo, s17
	v_cmp_gt_i16_e32 vcc_lo, 0, v38
	; wave barrier
	v_cndmask_b32_e64 v37, 0x7fff, 0, vcc_lo
	s_delay_alu instid0(VALU_DEP_1) | instskip(NEXT) | instid1(VALU_DEP_1)
	v_xor_b32_e32 v197, v37, v38
	v_cmp_ne_u16_e64 vcc_lo, 0x8000, v197
	v_cndmask_b32_e32 v37, 0x7fff, v197, vcc_lo
	s_delay_alu instid0(VALU_DEP_1) | instskip(NEXT) | instid1(VALU_DEP_1)
	v_and_b32_e32 v37, 0xffff, v37
	v_lshrrev_b32_e32 v37, s49, v37
	s_delay_alu instid0(VALU_DEP_1) | instskip(NEXT) | instid1(VALU_DEP_1)
	v_and_b32_e32 v37, s55, v37
	v_and_b32_e32 v38, 1, v37
	v_lshlrev_b32_e32 v39, 30, v37
	v_lshlrev_b32_e32 v40, 29, v37
	;; [unrolled: 1-line block ×4, first 2 shown]
	v_add_co_u32 v38, s17, v38, -1
	s_delay_alu instid0(VALU_DEP_1)
	v_cndmask_b32_e64 v42, 0, 1, s17
	v_not_b32_e32 v203, v39
	v_cmp_gt_i32_e64 s17, 0, v39
	v_not_b32_e32 v39, v40
	v_lshlrev_b32_e32 v201, 26, v37
	v_cmp_ne_u32_e32 vcc_lo, 0, v42
	v_ashrrev_i32_e32 v203, 31, v203
	v_lshlrev_b32_e32 v202, 25, v37
	v_ashrrev_i32_e32 v39, 31, v39
	v_lshlrev_b32_e32 v42, 24, v37
	v_xor_b32_e32 v38, vcc_lo, v38
	v_cmp_gt_i32_e32 vcc_lo, 0, v40
	v_not_b32_e32 v40, v41
	v_xor_b32_e32 v203, s17, v203
	v_cmp_gt_i32_e64 s17, 0, v41
	v_and_b32_e32 v38, exec_lo, v38
	v_not_b32_e32 v41, v43
	v_ashrrev_i32_e32 v40, 31, v40
	v_xor_b32_e32 v39, vcc_lo, v39
	v_cmp_gt_i32_e32 vcc_lo, 0, v43
	v_and_b32_e32 v38, v38, v203
	v_not_b32_e32 v43, v201
	v_ashrrev_i32_e32 v41, 31, v41
	v_xor_b32_e32 v40, s17, v40
	v_cmp_gt_i32_e64 s17, 0, v201
	v_and_b32_e32 v38, v38, v39
	v_not_b32_e32 v39, v202
	v_ashrrev_i32_e32 v43, 31, v43
	v_xor_b32_e32 v41, vcc_lo, v41
	v_cmp_gt_i32_e32 vcc_lo, 0, v202
	v_and_b32_e32 v38, v38, v40
	v_not_b32_e32 v40, v42
	v_ashrrev_i32_e32 v39, 31, v39
	v_xor_b32_e32 v43, s17, v43
	v_mul_u32_u24_e32 v37, 9, v37
	v_and_b32_e32 v38, v38, v41
	v_cmp_gt_i32_e64 s17, 0, v42
	v_ashrrev_i32_e32 v40, 31, v40
	v_xor_b32_e32 v39, vcc_lo, v39
	v_add_lshl_u32 v41, v37, v126, 2
	v_and_b32_e32 v38, v38, v43
	s_delay_alu instid0(VALU_DEP_4) | instskip(SKIP_3) | instid1(VALU_DEP_2)
	v_xor_b32_e32 v37, s17, v40
	ds_load_b32 v202, v41 offset:1056
	v_and_b32_e32 v38, v38, v39
	v_add_nc_u32_e32 v204, 0x420, v41
	; wave barrier
	v_and_b32_e32 v37, v38, v37
	s_delay_alu instid0(VALU_DEP_1) | instskip(SKIP_1) | instid1(VALU_DEP_2)
	v_mbcnt_lo_u32_b32 v203, v37, 0
	v_cmp_ne_u32_e64 s17, 0, v37
	v_cmp_eq_u32_e32 vcc_lo, 0, v203
	s_delay_alu instid0(VALU_DEP_2) | instskip(NEXT) | instid1(SALU_CYCLE_1)
	s_and_b32 s18, s17, vcc_lo
	s_and_saveexec_b32 s17, s18
	s_cbranch_execz .LBB1983_762
; %bb.761:                              ;   in Loop: Header=BB1983_696 Depth=2
	s_waitcnt lgkmcnt(0)
	v_bcnt_u32_b32 v37, v37, v202
	ds_store_b32 v204, v37
.LBB1983_762:                           ;   in Loop: Header=BB1983_696 Depth=2
	s_or_b32 exec_lo, exec_lo, s17
	v_cmp_gt_i16_e32 vcc_lo, 0, v36
	; wave barrier
	v_cndmask_b32_e64 v37, 0x7fff, 0, vcc_lo
	s_delay_alu instid0(VALU_DEP_1) | instskip(NEXT) | instid1(VALU_DEP_1)
	v_xor_b32_e32 v201, v37, v36
	v_cmp_ne_u16_e64 vcc_lo, 0x8000, v201
	v_cndmask_b32_e32 v36, 0x7fff, v201, vcc_lo
	s_delay_alu instid0(VALU_DEP_1) | instskip(NEXT) | instid1(VALU_DEP_1)
	v_and_b32_e32 v36, 0xffff, v36
	v_lshrrev_b32_e32 v36, s49, v36
	s_delay_alu instid0(VALU_DEP_1) | instskip(NEXT) | instid1(VALU_DEP_1)
	v_and_b32_e32 v36, s55, v36
	v_and_b32_e32 v37, 1, v36
	v_lshlrev_b32_e32 v38, 30, v36
	v_lshlrev_b32_e32 v39, 29, v36
	;; [unrolled: 1-line block ×4, first 2 shown]
	v_add_co_u32 v37, s17, v37, -1
	s_delay_alu instid0(VALU_DEP_1)
	v_cndmask_b32_e64 v41, 0, 1, s17
	v_not_b32_e32 v206, v38
	v_cmp_gt_i32_e64 s17, 0, v38
	v_not_b32_e32 v38, v39
	v_lshlrev_b32_e32 v43, 26, v36
	v_cmp_ne_u32_e32 vcc_lo, 0, v41
	v_ashrrev_i32_e32 v206, 31, v206
	v_lshlrev_b32_e32 v205, 25, v36
	v_ashrrev_i32_e32 v38, 31, v38
	v_lshlrev_b32_e32 v41, 24, v36
	v_xor_b32_e32 v37, vcc_lo, v37
	v_cmp_gt_i32_e32 vcc_lo, 0, v39
	v_not_b32_e32 v39, v40
	v_xor_b32_e32 v206, s17, v206
	v_cmp_gt_i32_e64 s17, 0, v40
	v_and_b32_e32 v37, exec_lo, v37
	v_not_b32_e32 v40, v42
	v_ashrrev_i32_e32 v39, 31, v39
	v_xor_b32_e32 v38, vcc_lo, v38
	v_cmp_gt_i32_e32 vcc_lo, 0, v42
	v_and_b32_e32 v37, v37, v206
	v_not_b32_e32 v42, v43
	v_ashrrev_i32_e32 v40, 31, v40
	v_xor_b32_e32 v39, s17, v39
	v_cmp_gt_i32_e64 s17, 0, v43
	v_and_b32_e32 v37, v37, v38
	v_not_b32_e32 v38, v205
	v_ashrrev_i32_e32 v42, 31, v42
	v_xor_b32_e32 v40, vcc_lo, v40
	v_cmp_gt_i32_e32 vcc_lo, 0, v205
	v_and_b32_e32 v37, v37, v39
	v_not_b32_e32 v39, v41
	v_ashrrev_i32_e32 v38, 31, v38
	v_xor_b32_e32 v42, s17, v42
	v_mul_u32_u24_e32 v36, 9, v36
	v_and_b32_e32 v37, v37, v40
	v_cmp_gt_i32_e64 s17, 0, v41
	v_ashrrev_i32_e32 v39, 31, v39
	v_xor_b32_e32 v38, vcc_lo, v38
	v_add_lshl_u32 v40, v36, v126, 2
	v_and_b32_e32 v37, v37, v42
	s_delay_alu instid0(VALU_DEP_4) | instskip(SKIP_3) | instid1(VALU_DEP_2)
	v_xor_b32_e32 v36, s17, v39
	ds_load_b32 v205, v40 offset:1056
	v_and_b32_e32 v37, v37, v38
	v_add_nc_u32_e32 v207, 0x420, v40
	; wave barrier
	v_and_b32_e32 v36, v37, v36
	s_delay_alu instid0(VALU_DEP_1) | instskip(SKIP_1) | instid1(VALU_DEP_2)
	v_mbcnt_lo_u32_b32 v206, v36, 0
	v_cmp_ne_u32_e64 s17, 0, v36
	v_cmp_eq_u32_e32 vcc_lo, 0, v206
	s_delay_alu instid0(VALU_DEP_2) | instskip(NEXT) | instid1(SALU_CYCLE_1)
	s_and_b32 s18, s17, vcc_lo
	s_and_saveexec_b32 s17, s18
	s_cbranch_execz .LBB1983_764
; %bb.763:                              ;   in Loop: Header=BB1983_696 Depth=2
	s_waitcnt lgkmcnt(0)
	v_bcnt_u32_b32 v36, v36, v205
	ds_store_b32 v207, v36
.LBB1983_764:                           ;   in Loop: Header=BB1983_696 Depth=2
	s_or_b32 exec_lo, exec_lo, s17
	; wave barrier
	s_waitcnt lgkmcnt(0)
	s_barrier
	buffer_gl0_inv
	ds_load_b32 v208, v69 offset:1056
	ds_load_2addr_b32 v[42:43], v71 offset0:1 offset1:2
	ds_load_2addr_b32 v[40:41], v71 offset0:3 offset1:4
	;; [unrolled: 1-line block ×4, first 2 shown]
	s_waitcnt lgkmcnt(3)
	v_add3_u32 v209, v42, v208, v43
	s_waitcnt lgkmcnt(2)
	s_delay_alu instid0(VALU_DEP_1) | instskip(SKIP_1) | instid1(VALU_DEP_1)
	v_add3_u32 v209, v209, v40, v41
	s_waitcnt lgkmcnt(1)
	v_add3_u32 v209, v209, v36, v37
	s_waitcnt lgkmcnt(0)
	s_delay_alu instid0(VALU_DEP_1) | instskip(NEXT) | instid1(VALU_DEP_1)
	v_add3_u32 v39, v209, v38, v39
	v_mov_b32_dpp v209, v39 row_shr:1 row_mask:0xf bank_mask:0xf
	s_delay_alu instid0(VALU_DEP_1) | instskip(NEXT) | instid1(VALU_DEP_1)
	v_cndmask_b32_e64 v209, v209, 0, s0
	v_add_nc_u32_e32 v39, v209, v39
	s_delay_alu instid0(VALU_DEP_1) | instskip(NEXT) | instid1(VALU_DEP_1)
	v_mov_b32_dpp v209, v39 row_shr:2 row_mask:0xf bank_mask:0xf
	v_cndmask_b32_e64 v209, 0, v209, s1
	s_delay_alu instid0(VALU_DEP_1) | instskip(NEXT) | instid1(VALU_DEP_1)
	v_add_nc_u32_e32 v39, v39, v209
	v_mov_b32_dpp v209, v39 row_shr:4 row_mask:0xf bank_mask:0xf
	s_delay_alu instid0(VALU_DEP_1) | instskip(NEXT) | instid1(VALU_DEP_1)
	v_cndmask_b32_e64 v209, 0, v209, s8
	v_add_nc_u32_e32 v39, v39, v209
	s_delay_alu instid0(VALU_DEP_1) | instskip(NEXT) | instid1(VALU_DEP_1)
	v_mov_b32_dpp v209, v39 row_shr:8 row_mask:0xf bank_mask:0xf
	v_cndmask_b32_e64 v209, 0, v209, s9
	s_delay_alu instid0(VALU_DEP_1) | instskip(SKIP_3) | instid1(VALU_DEP_1)
	v_add_nc_u32_e32 v39, v39, v209
	ds_swizzle_b32 v209, v39 offset:swizzle(BROADCAST,32,15)
	s_waitcnt lgkmcnt(0)
	v_cndmask_b32_e64 v209, v209, 0, s10
	v_add_nc_u32_e32 v39, v39, v209
	s_and_saveexec_b32 s17, s3
	s_cbranch_execz .LBB1983_766
; %bb.765:                              ;   in Loop: Header=BB1983_696 Depth=2
	ds_store_b32 v62, v39 offset:1024
.LBB1983_766:                           ;   in Loop: Header=BB1983_696 Depth=2
	s_or_b32 exec_lo, exec_lo, s17
	s_waitcnt lgkmcnt(0)
	s_barrier
	buffer_gl0_inv
	s_and_saveexec_b32 s17, s4
	s_cbranch_execz .LBB1983_768
; %bb.767:                              ;   in Loop: Header=BB1983_696 Depth=2
	ds_load_b32 v209, v72 offset:1024
	s_waitcnt lgkmcnt(0)
	v_mov_b32_dpp v210, v209 row_shr:1 row_mask:0xf bank_mask:0xf
	s_delay_alu instid0(VALU_DEP_1) | instskip(NEXT) | instid1(VALU_DEP_1)
	v_cndmask_b32_e64 v210, v210, 0, s12
	v_add_nc_u32_e32 v209, v210, v209
	s_delay_alu instid0(VALU_DEP_1) | instskip(NEXT) | instid1(VALU_DEP_1)
	v_mov_b32_dpp v210, v209 row_shr:2 row_mask:0xf bank_mask:0xf
	v_cndmask_b32_e64 v210, 0, v210, s13
	s_delay_alu instid0(VALU_DEP_1) | instskip(NEXT) | instid1(VALU_DEP_1)
	v_add_nc_u32_e32 v209, v209, v210
	v_mov_b32_dpp v210, v209 row_shr:4 row_mask:0xf bank_mask:0xf
	s_delay_alu instid0(VALU_DEP_1) | instskip(NEXT) | instid1(VALU_DEP_1)
	v_cndmask_b32_e64 v210, 0, v210, s16
	v_add_nc_u32_e32 v209, v209, v210
	ds_store_b32 v72, v209 offset:1024
.LBB1983_768:                           ;   in Loop: Header=BB1983_696 Depth=2
	s_or_b32 exec_lo, exec_lo, s17
	v_mov_b32_e32 v209, 0
	s_waitcnt lgkmcnt(0)
	s_barrier
	buffer_gl0_inv
	s_and_saveexec_b32 s17, s5
	s_cbranch_execz .LBB1983_770
; %bb.769:                              ;   in Loop: Header=BB1983_696 Depth=2
	ds_load_b32 v209, v62 offset:1020
.LBB1983_770:                           ;   in Loop: Header=BB1983_696 Depth=2
	s_or_b32 exec_lo, exec_lo, s17
	s_waitcnt lgkmcnt(0)
	v_add_nc_u32_e32 v39, v209, v39
	ds_bpermute_b32 v39, v105, v39
	s_waitcnt lgkmcnt(0)
	v_cndmask_b32_e64 v39, v39, v209, s11
	s_delay_alu instid0(VALU_DEP_1) | instskip(NEXT) | instid1(VALU_DEP_1)
	v_cndmask_b32_e64 v39, v39, 0, s6
	v_add_nc_u32_e32 v208, v39, v208
	s_delay_alu instid0(VALU_DEP_1) | instskip(NEXT) | instid1(VALU_DEP_1)
	v_add_nc_u32_e32 v42, v208, v42
	v_add_nc_u32_e32 v43, v42, v43
	s_delay_alu instid0(VALU_DEP_1) | instskip(NEXT) | instid1(VALU_DEP_1)
	v_add_nc_u32_e32 v40, v43, v40
	;; [unrolled: 3-line block ×3, first 2 shown]
	v_add_nc_u32_e32 v37, v36, v37
	s_delay_alu instid0(VALU_DEP_1)
	v_add_nc_u32_e32 v38, v37, v38
	ds_store_b32 v69, v39 offset:1056
	ds_store_2addr_b32 v71, v208, v42 offset0:1 offset1:2
	ds_store_2addr_b32 v71, v43, v40 offset0:3 offset1:4
	;; [unrolled: 1-line block ×4, first 2 shown]
	v_mov_b32_e32 v38, 0x1000
	s_waitcnt lgkmcnt(0)
	s_barrier
	buffer_gl0_inv
	ds_load_b32 v39, v152
	ds_load_b32 v40, v156
	;; [unrolled: 1-line block ×16, first 2 shown]
	ds_load_b32 v156, v69 offset:1056
	s_and_saveexec_b32 s17, s7
	s_cbranch_execz .LBB1983_772
; %bb.771:                              ;   in Loop: Header=BB1983_696 Depth=2
	ds_load_b32 v38, v73 offset:1056
.LBB1983_772:                           ;   in Loop: Header=BB1983_696 Depth=2
	s_or_b32 exec_lo, exec_lo, s17
	s_waitcnt lgkmcnt(0)
	s_barrier
	buffer_gl0_inv
	s_and_saveexec_b32 s17, s2
	s_cbranch_execz .LBB1983_774
; %bb.773:                              ;   in Loop: Header=BB1983_696 Depth=2
	ds_load_b32 v160, v44
	s_waitcnt lgkmcnt(0)
	v_sub_nc_u32_e32 v156, v160, v156
	ds_store_b32 v44, v156
.LBB1983_774:                           ;   in Loop: Header=BB1983_696 Depth=2
	s_or_b32 exec_lo, exec_lo, s17
	v_add_nc_u32_e32 v168, v148, v147
	v_add3_u32 v164, v151, v150, v39
	v_add3_u32 v160, v155, v154, v40
	;; [unrolled: 1-line block ×5, first 2 shown]
	v_lshlrev_b32_e32 v158, 1, v168
	v_add3_u32 v43, v199, v198, v36
	v_lshlrev_b32_e32 v36, 1, v164
	v_add3_u32 v152, v172, v171, v173
	v_add3_u32 v151, v175, v174, v176
	ds_store_b16 v158, v2 offset:1024
	v_lshlrev_b32_e32 v2, 1, v160
	ds_store_b16 v36, v146 offset:1024
	v_lshlrev_b32_e32 v36, 1, v154
	v_add3_u32 v150, v179, v178, v180
	v_add3_u32 v42, v203, v202, v37
	v_lshlrev_b32_e32 v37, 1, v156
	v_add3_u32 v148, v183, v182, v184
	v_lshlrev_b32_e32 v158, 1, v155
	v_add3_u32 v147, v187, v186, v188
	v_add3_u32 v40, v191, v190, v192
	ds_store_b16 v2, v149 offset:1024
	ds_store_b16 v37, v153 offset:1024
	;; [unrolled: 1-line block ×3, first 2 shown]
	v_lshlrev_b32_e32 v2, 1, v152
	ds_store_b16 v36, v161 offset:1024
	v_lshlrev_b32_e32 v36, 1, v151
	v_lshlrev_b32_e32 v37, 1, v150
	;; [unrolled: 1-line block ×3, first 2 shown]
	v_add3_u32 v39, v195, v194, v196
	v_add3_u32 v41, v206, v205, v41
	ds_store_b16 v2, v165 offset:1024
	v_lshlrev_b32_e32 v2, 1, v147
	ds_store_b16 v36, v170 offset:1024
	ds_store_b16 v37, v169 offset:1024
	;; [unrolled: 1-line block ×3, first 2 shown]
	v_lshlrev_b32_e32 v36, 1, v40
	v_cmp_lt_u32_e32 vcc_lo, v1, v145
	v_lshlrev_b32_e32 v37, 1, v43
	ds_store_b16 v2, v181 offset:1024
	v_lshlrev_b32_e32 v2, 1, v39
	ds_store_b16 v36, v185 offset:1024
	v_lshlrev_b32_e32 v36, 1, v41
	v_lshlrev_b32_e32 v146, 1, v42
	ds_store_b16 v2, v189 offset:1024
	ds_store_b16 v37, v193 offset:1024
	;; [unrolled: 1-line block ×4, first 2 shown]
	s_waitcnt lgkmcnt(0)
	s_barrier
	buffer_gl0_inv
	s_and_saveexec_b32 s18, vcc_lo
	s_cbranch_execz .LBB1983_790
; %bb.775:                              ;   in Loop: Header=BB1983_696 Depth=2
	v_add_nc_u32_e32 v2, v72, v78
	ds_load_u16 v146, v2 offset:1024
	s_waitcnt lgkmcnt(0)
	v_cmp_ne_u16_e64 s17, 0x8000, v146
	s_delay_alu instid0(VALU_DEP_1) | instskip(SKIP_1) | instid1(VALU_DEP_2)
	v_cndmask_b32_e64 v2, 0x7fff, v146, s17
	v_cmp_gt_i16_e64 s17, 0, v146
	v_and_b32_e32 v2, 0xffff, v2
	s_delay_alu instid0(VALU_DEP_2) | instskip(NEXT) | instid1(VALU_DEP_2)
	v_cndmask_b32_e64 v149, 0x7fff, 0, s17
	v_lshrrev_b32_e32 v2, s49, v2
	s_delay_alu instid0(VALU_DEP_1) | instskip(NEXT) | instid1(VALU_DEP_1)
	v_and_b32_e32 v2, s55, v2
	v_lshlrev_b32_e32 v2, 2, v2
	ds_load_b32 v2, v2
	s_waitcnt lgkmcnt(0)
	v_add_nc_u32_e32 v2, v2, v1
	s_delay_alu instid0(VALU_DEP_1) | instskip(SKIP_1) | instid1(VALU_DEP_2)
	v_lshlrev_b64 v[36:37], 1, v[2:3]
	v_xor_b32_e32 v2, v149, v146
	v_add_co_u32 v36, s17, s38, v36
	s_delay_alu instid0(VALU_DEP_1) | instskip(SKIP_3) | instid1(VALU_DEP_1)
	v_add_co_ci_u32_e64 v37, s17, s39, v37, s17
	global_store_b16 v[36:37], v2, off
	s_or_b32 exec_lo, exec_lo, s18
	v_cmp_lt_u32_e64 s17, v45, v145
	s_and_saveexec_b32 s19, s17
	s_cbranch_execnz .LBB1983_791
.LBB1983_776:                           ;   in Loop: Header=BB1983_696 Depth=2
	s_or_b32 exec_lo, exec_lo, s19
	v_cmp_lt_u32_e64 s18, v46, v145
	s_delay_alu instid0(VALU_DEP_1)
	s_and_saveexec_b32 s20, s18
	s_cbranch_execz .LBB1983_792
.LBB1983_777:                           ;   in Loop: Header=BB1983_696 Depth=2
	ds_load_u16 v146, v79 offset:1024
	s_waitcnt lgkmcnt(0)
	v_cmp_ne_u16_e64 s19, 0x8000, v146
	s_delay_alu instid0(VALU_DEP_1) | instskip(SKIP_1) | instid1(VALU_DEP_2)
	v_cndmask_b32_e64 v2, 0x7fff, v146, s19
	v_cmp_gt_i16_e64 s19, 0, v146
	v_and_b32_e32 v2, 0xffff, v2
	s_delay_alu instid0(VALU_DEP_2) | instskip(NEXT) | instid1(VALU_DEP_2)
	v_cndmask_b32_e64 v149, 0x7fff, 0, s19
	v_lshrrev_b32_e32 v2, s49, v2
	s_delay_alu instid0(VALU_DEP_1) | instskip(NEXT) | instid1(VALU_DEP_1)
	v_and_b32_e32 v2, s55, v2
	v_lshlrev_b32_e32 v2, 2, v2
	ds_load_b32 v2, v2
	s_waitcnt lgkmcnt(0)
	v_add_nc_u32_e32 v2, v2, v46
	s_delay_alu instid0(VALU_DEP_1) | instskip(SKIP_1) | instid1(VALU_DEP_2)
	v_lshlrev_b64 v[36:37], 1, v[2:3]
	v_xor_b32_e32 v2, v149, v146
	v_add_co_u32 v36, s19, s38, v36
	s_delay_alu instid0(VALU_DEP_1) | instskip(SKIP_3) | instid1(VALU_DEP_1)
	v_add_co_ci_u32_e64 v37, s19, s39, v37, s19
	global_store_b16 v[36:37], v2, off
	s_or_b32 exec_lo, exec_lo, s20
	v_cmp_lt_u32_e64 s19, v47, v145
	s_and_saveexec_b32 s21, s19
	s_cbranch_execnz .LBB1983_793
.LBB1983_778:                           ;   in Loop: Header=BB1983_696 Depth=2
	s_or_b32 exec_lo, exec_lo, s21
	v_cmp_lt_u32_e64 s20, v51, v145
	s_delay_alu instid0(VALU_DEP_1)
	s_and_saveexec_b32 s22, s20
	s_cbranch_execz .LBB1983_794
.LBB1983_779:                           ;   in Loop: Header=BB1983_696 Depth=2
	ds_load_u16 v146, v79 offset:2048
	s_waitcnt lgkmcnt(0)
	v_cmp_ne_u16_e64 s21, 0x8000, v146
	s_delay_alu instid0(VALU_DEP_1) | instskip(SKIP_1) | instid1(VALU_DEP_2)
	v_cndmask_b32_e64 v2, 0x7fff, v146, s21
	v_cmp_gt_i16_e64 s21, 0, v146
	v_and_b32_e32 v2, 0xffff, v2
	s_delay_alu instid0(VALU_DEP_2) | instskip(NEXT) | instid1(VALU_DEP_2)
	v_cndmask_b32_e64 v149, 0x7fff, 0, s21
	v_lshrrev_b32_e32 v2, s49, v2
	s_delay_alu instid0(VALU_DEP_1) | instskip(NEXT) | instid1(VALU_DEP_1)
	v_and_b32_e32 v2, s55, v2
	v_lshlrev_b32_e32 v2, 2, v2
	ds_load_b32 v2, v2
	s_waitcnt lgkmcnt(0)
	v_add_nc_u32_e32 v2, v2, v51
	s_delay_alu instid0(VALU_DEP_1) | instskip(SKIP_1) | instid1(VALU_DEP_2)
	v_lshlrev_b64 v[36:37], 1, v[2:3]
	v_xor_b32_e32 v2, v149, v146
	v_add_co_u32 v36, s21, s38, v36
	s_delay_alu instid0(VALU_DEP_1) | instskip(SKIP_3) | instid1(VALU_DEP_1)
	v_add_co_ci_u32_e64 v37, s21, s39, v37, s21
	global_store_b16 v[36:37], v2, off
	s_or_b32 exec_lo, exec_lo, s22
	v_cmp_lt_u32_e64 s21, v52, v145
	s_and_saveexec_b32 s23, s21
	s_cbranch_execnz .LBB1983_795
.LBB1983_780:                           ;   in Loop: Header=BB1983_696 Depth=2
	s_or_b32 exec_lo, exec_lo, s23
	v_cmp_lt_u32_e64 s22, v53, v145
	s_delay_alu instid0(VALU_DEP_1)
	s_and_saveexec_b32 s24, s22
	s_cbranch_execz .LBB1983_796
.LBB1983_781:                           ;   in Loop: Header=BB1983_696 Depth=2
	ds_load_u16 v146, v79 offset:3072
	s_waitcnt lgkmcnt(0)
	v_cmp_ne_u16_e64 s23, 0x8000, v146
	s_delay_alu instid0(VALU_DEP_1) | instskip(SKIP_1) | instid1(VALU_DEP_2)
	v_cndmask_b32_e64 v2, 0x7fff, v146, s23
	v_cmp_gt_i16_e64 s23, 0, v146
	v_and_b32_e32 v2, 0xffff, v2
	s_delay_alu instid0(VALU_DEP_2) | instskip(NEXT) | instid1(VALU_DEP_2)
	v_cndmask_b32_e64 v149, 0x7fff, 0, s23
	v_lshrrev_b32_e32 v2, s49, v2
	s_delay_alu instid0(VALU_DEP_1) | instskip(NEXT) | instid1(VALU_DEP_1)
	v_and_b32_e32 v2, s55, v2
	v_lshlrev_b32_e32 v2, 2, v2
	ds_load_b32 v2, v2
	s_waitcnt lgkmcnt(0)
	v_add_nc_u32_e32 v2, v2, v53
	s_delay_alu instid0(VALU_DEP_1) | instskip(SKIP_1) | instid1(VALU_DEP_2)
	v_lshlrev_b64 v[36:37], 1, v[2:3]
	v_xor_b32_e32 v2, v149, v146
	v_add_co_u32 v36, s23, s38, v36
	s_delay_alu instid0(VALU_DEP_1) | instskip(SKIP_3) | instid1(VALU_DEP_1)
	v_add_co_ci_u32_e64 v37, s23, s39, v37, s23
	global_store_b16 v[36:37], v2, off
	s_or_b32 exec_lo, exec_lo, s24
	v_cmp_lt_u32_e64 s23, v54, v145
	s_and_saveexec_b32 s25, s23
	s_cbranch_execnz .LBB1983_797
.LBB1983_782:                           ;   in Loop: Header=BB1983_696 Depth=2
	s_or_b32 exec_lo, exec_lo, s25
	v_cmp_lt_u32_e64 s24, v55, v145
	s_delay_alu instid0(VALU_DEP_1)
	s_and_saveexec_b32 s26, s24
	s_cbranch_execz .LBB1983_798
.LBB1983_783:                           ;   in Loop: Header=BB1983_696 Depth=2
	ds_load_u16 v146, v79 offset:4096
	s_waitcnt lgkmcnt(0)
	v_cmp_ne_u16_e64 s25, 0x8000, v146
	s_delay_alu instid0(VALU_DEP_1) | instskip(SKIP_1) | instid1(VALU_DEP_2)
	v_cndmask_b32_e64 v2, 0x7fff, v146, s25
	v_cmp_gt_i16_e64 s25, 0, v146
	v_and_b32_e32 v2, 0xffff, v2
	s_delay_alu instid0(VALU_DEP_2) | instskip(NEXT) | instid1(VALU_DEP_2)
	v_cndmask_b32_e64 v149, 0x7fff, 0, s25
	v_lshrrev_b32_e32 v2, s49, v2
	s_delay_alu instid0(VALU_DEP_1) | instskip(NEXT) | instid1(VALU_DEP_1)
	v_and_b32_e32 v2, s55, v2
	v_lshlrev_b32_e32 v2, 2, v2
	ds_load_b32 v2, v2
	s_waitcnt lgkmcnt(0)
	v_add_nc_u32_e32 v2, v2, v55
	s_delay_alu instid0(VALU_DEP_1) | instskip(SKIP_1) | instid1(VALU_DEP_2)
	v_lshlrev_b64 v[36:37], 1, v[2:3]
	v_xor_b32_e32 v2, v149, v146
	v_add_co_u32 v36, s25, s38, v36
	s_delay_alu instid0(VALU_DEP_1) | instskip(SKIP_3) | instid1(VALU_DEP_1)
	v_add_co_ci_u32_e64 v37, s25, s39, v37, s25
	global_store_b16 v[36:37], v2, off
	s_or_b32 exec_lo, exec_lo, s26
	v_cmp_lt_u32_e64 s25, v56, v145
	s_and_saveexec_b32 s27, s25
	s_cbranch_execnz .LBB1983_799
.LBB1983_784:                           ;   in Loop: Header=BB1983_696 Depth=2
	s_or_b32 exec_lo, exec_lo, s27
	v_cmp_lt_u32_e64 s26, v57, v145
	s_delay_alu instid0(VALU_DEP_1)
	s_and_saveexec_b32 s28, s26
	s_cbranch_execz .LBB1983_800
.LBB1983_785:                           ;   in Loop: Header=BB1983_696 Depth=2
	ds_load_u16 v146, v79 offset:5120
	s_waitcnt lgkmcnt(0)
	v_cmp_ne_u16_e64 s27, 0x8000, v146
	s_delay_alu instid0(VALU_DEP_1) | instskip(SKIP_1) | instid1(VALU_DEP_2)
	v_cndmask_b32_e64 v2, 0x7fff, v146, s27
	v_cmp_gt_i16_e64 s27, 0, v146
	v_and_b32_e32 v2, 0xffff, v2
	s_delay_alu instid0(VALU_DEP_2) | instskip(NEXT) | instid1(VALU_DEP_2)
	v_cndmask_b32_e64 v149, 0x7fff, 0, s27
	v_lshrrev_b32_e32 v2, s49, v2
	s_delay_alu instid0(VALU_DEP_1) | instskip(NEXT) | instid1(VALU_DEP_1)
	v_and_b32_e32 v2, s55, v2
	v_lshlrev_b32_e32 v2, 2, v2
	ds_load_b32 v2, v2
	s_waitcnt lgkmcnt(0)
	v_add_nc_u32_e32 v2, v2, v57
	s_delay_alu instid0(VALU_DEP_1) | instskip(SKIP_1) | instid1(VALU_DEP_2)
	v_lshlrev_b64 v[36:37], 1, v[2:3]
	v_xor_b32_e32 v2, v149, v146
	v_add_co_u32 v36, s27, s38, v36
	s_delay_alu instid0(VALU_DEP_1) | instskip(SKIP_3) | instid1(VALU_DEP_1)
	v_add_co_ci_u32_e64 v37, s27, s39, v37, s27
	global_store_b16 v[36:37], v2, off
	s_or_b32 exec_lo, exec_lo, s28
	v_cmp_lt_u32_e64 s27, v58, v145
	s_and_saveexec_b32 s29, s27
	s_cbranch_execnz .LBB1983_801
.LBB1983_786:                           ;   in Loop: Header=BB1983_696 Depth=2
	s_or_b32 exec_lo, exec_lo, s29
	v_cmp_lt_u32_e64 s28, v59, v145
	s_delay_alu instid0(VALU_DEP_1)
	s_and_saveexec_b32 s30, s28
	s_cbranch_execz .LBB1983_802
.LBB1983_787:                           ;   in Loop: Header=BB1983_696 Depth=2
	ds_load_u16 v146, v79 offset:6144
	s_waitcnt lgkmcnt(0)
	v_cmp_ne_u16_e64 s29, 0x8000, v146
	s_delay_alu instid0(VALU_DEP_1) | instskip(SKIP_1) | instid1(VALU_DEP_2)
	v_cndmask_b32_e64 v2, 0x7fff, v146, s29
	v_cmp_gt_i16_e64 s29, 0, v146
	v_and_b32_e32 v2, 0xffff, v2
	s_delay_alu instid0(VALU_DEP_2) | instskip(NEXT) | instid1(VALU_DEP_2)
	v_cndmask_b32_e64 v149, 0x7fff, 0, s29
	v_lshrrev_b32_e32 v2, s49, v2
	s_delay_alu instid0(VALU_DEP_1) | instskip(NEXT) | instid1(VALU_DEP_1)
	v_and_b32_e32 v2, s55, v2
	v_lshlrev_b32_e32 v2, 2, v2
	ds_load_b32 v2, v2
	s_waitcnt lgkmcnt(0)
	v_add_nc_u32_e32 v2, v2, v59
	s_delay_alu instid0(VALU_DEP_1) | instskip(SKIP_1) | instid1(VALU_DEP_2)
	v_lshlrev_b64 v[36:37], 1, v[2:3]
	v_xor_b32_e32 v2, v149, v146
	v_add_co_u32 v36, s29, s38, v36
	s_delay_alu instid0(VALU_DEP_1) | instskip(SKIP_3) | instid1(VALU_DEP_1)
	v_add_co_ci_u32_e64 v37, s29, s39, v37, s29
	global_store_b16 v[36:37], v2, off
	s_or_b32 exec_lo, exec_lo, s30
	v_cmp_lt_u32_e64 s29, v60, v145
	s_and_saveexec_b32 s31, s29
	s_cbranch_execnz .LBB1983_803
.LBB1983_788:                           ;   in Loop: Header=BB1983_696 Depth=2
	s_or_b32 exec_lo, exec_lo, s31
	v_cmp_lt_u32_e64 s30, v61, v145
	s_delay_alu instid0(VALU_DEP_1)
	s_and_saveexec_b32 s33, s30
	s_cbranch_execz .LBB1983_804
.LBB1983_789:                           ;   in Loop: Header=BB1983_696 Depth=2
	ds_load_u16 v146, v79 offset:7168
	s_waitcnt lgkmcnt(0)
	v_cmp_ne_u16_e64 s31, 0x8000, v146
	s_delay_alu instid0(VALU_DEP_1) | instskip(SKIP_1) | instid1(VALU_DEP_2)
	v_cndmask_b32_e64 v2, 0x7fff, v146, s31
	v_cmp_gt_i16_e64 s31, 0, v146
	v_and_b32_e32 v2, 0xffff, v2
	s_delay_alu instid0(VALU_DEP_2) | instskip(NEXT) | instid1(VALU_DEP_2)
	v_cndmask_b32_e64 v149, 0x7fff, 0, s31
	v_lshrrev_b32_e32 v2, s49, v2
	s_delay_alu instid0(VALU_DEP_1) | instskip(NEXT) | instid1(VALU_DEP_1)
	v_and_b32_e32 v2, s55, v2
	v_lshlrev_b32_e32 v2, 2, v2
	ds_load_b32 v2, v2
	s_waitcnt lgkmcnt(0)
	v_add_nc_u32_e32 v2, v2, v61
	s_delay_alu instid0(VALU_DEP_1) | instskip(SKIP_1) | instid1(VALU_DEP_2)
	v_lshlrev_b64 v[36:37], 1, v[2:3]
	v_xor_b32_e32 v2, v149, v146
	v_add_co_u32 v36, s31, s38, v36
	s_delay_alu instid0(VALU_DEP_1) | instskip(SKIP_3) | instid1(VALU_DEP_1)
	v_add_co_ci_u32_e64 v37, s31, s39, v37, s31
	global_store_b16 v[36:37], v2, off
	s_or_b32 exec_lo, exec_lo, s33
	v_cmp_lt_u32_e64 s31, v63, v145
	s_and_saveexec_b32 s58, s31
	s_cbranch_execnz .LBB1983_805
	s_branch .LBB1983_806
.LBB1983_790:                           ;   in Loop: Header=BB1983_696 Depth=2
	s_or_b32 exec_lo, exec_lo, s18
	v_cmp_lt_u32_e64 s17, v45, v145
	s_delay_alu instid0(VALU_DEP_1)
	s_and_saveexec_b32 s19, s17
	s_cbranch_execz .LBB1983_776
.LBB1983_791:                           ;   in Loop: Header=BB1983_696 Depth=2
	ds_load_u16 v146, v79 offset:512
	s_waitcnt lgkmcnt(0)
	v_cmp_ne_u16_e64 s18, 0x8000, v146
	s_delay_alu instid0(VALU_DEP_1) | instskip(SKIP_1) | instid1(VALU_DEP_2)
	v_cndmask_b32_e64 v2, 0x7fff, v146, s18
	v_cmp_gt_i16_e64 s18, 0, v146
	v_and_b32_e32 v2, 0xffff, v2
	s_delay_alu instid0(VALU_DEP_2) | instskip(NEXT) | instid1(VALU_DEP_2)
	v_cndmask_b32_e64 v149, 0x7fff, 0, s18
	v_lshrrev_b32_e32 v2, s49, v2
	s_delay_alu instid0(VALU_DEP_1) | instskip(NEXT) | instid1(VALU_DEP_1)
	v_and_b32_e32 v2, s55, v2
	v_lshlrev_b32_e32 v2, 2, v2
	ds_load_b32 v2, v2
	s_waitcnt lgkmcnt(0)
	v_add_nc_u32_e32 v2, v2, v45
	s_delay_alu instid0(VALU_DEP_1) | instskip(SKIP_1) | instid1(VALU_DEP_2)
	v_lshlrev_b64 v[36:37], 1, v[2:3]
	v_xor_b32_e32 v2, v149, v146
	v_add_co_u32 v36, s18, s38, v36
	s_delay_alu instid0(VALU_DEP_1) | instskip(SKIP_3) | instid1(VALU_DEP_1)
	v_add_co_ci_u32_e64 v37, s18, s39, v37, s18
	global_store_b16 v[36:37], v2, off
	s_or_b32 exec_lo, exec_lo, s19
	v_cmp_lt_u32_e64 s18, v46, v145
	s_and_saveexec_b32 s20, s18
	s_cbranch_execnz .LBB1983_777
.LBB1983_792:                           ;   in Loop: Header=BB1983_696 Depth=2
	s_or_b32 exec_lo, exec_lo, s20
	v_cmp_lt_u32_e64 s19, v47, v145
	s_delay_alu instid0(VALU_DEP_1)
	s_and_saveexec_b32 s21, s19
	s_cbranch_execz .LBB1983_778
.LBB1983_793:                           ;   in Loop: Header=BB1983_696 Depth=2
	ds_load_u16 v146, v79 offset:1536
	s_waitcnt lgkmcnt(0)
	v_cmp_ne_u16_e64 s20, 0x8000, v146
	s_delay_alu instid0(VALU_DEP_1) | instskip(SKIP_1) | instid1(VALU_DEP_2)
	v_cndmask_b32_e64 v2, 0x7fff, v146, s20
	v_cmp_gt_i16_e64 s20, 0, v146
	v_and_b32_e32 v2, 0xffff, v2
	s_delay_alu instid0(VALU_DEP_2) | instskip(NEXT) | instid1(VALU_DEP_2)
	v_cndmask_b32_e64 v149, 0x7fff, 0, s20
	v_lshrrev_b32_e32 v2, s49, v2
	s_delay_alu instid0(VALU_DEP_1) | instskip(NEXT) | instid1(VALU_DEP_1)
	v_and_b32_e32 v2, s55, v2
	v_lshlrev_b32_e32 v2, 2, v2
	ds_load_b32 v2, v2
	s_waitcnt lgkmcnt(0)
	v_add_nc_u32_e32 v2, v2, v47
	s_delay_alu instid0(VALU_DEP_1) | instskip(SKIP_1) | instid1(VALU_DEP_2)
	v_lshlrev_b64 v[36:37], 1, v[2:3]
	v_xor_b32_e32 v2, v149, v146
	v_add_co_u32 v36, s20, s38, v36
	s_delay_alu instid0(VALU_DEP_1) | instskip(SKIP_3) | instid1(VALU_DEP_1)
	v_add_co_ci_u32_e64 v37, s20, s39, v37, s20
	global_store_b16 v[36:37], v2, off
	s_or_b32 exec_lo, exec_lo, s21
	v_cmp_lt_u32_e64 s20, v51, v145
	s_and_saveexec_b32 s22, s20
	s_cbranch_execnz .LBB1983_779
.LBB1983_794:                           ;   in Loop: Header=BB1983_696 Depth=2
	s_or_b32 exec_lo, exec_lo, s22
	v_cmp_lt_u32_e64 s21, v52, v145
	s_delay_alu instid0(VALU_DEP_1)
	s_and_saveexec_b32 s23, s21
	s_cbranch_execz .LBB1983_780
.LBB1983_795:                           ;   in Loop: Header=BB1983_696 Depth=2
	ds_load_u16 v146, v79 offset:2560
	s_waitcnt lgkmcnt(0)
	v_cmp_ne_u16_e64 s22, 0x8000, v146
	s_delay_alu instid0(VALU_DEP_1) | instskip(SKIP_1) | instid1(VALU_DEP_2)
	v_cndmask_b32_e64 v2, 0x7fff, v146, s22
	v_cmp_gt_i16_e64 s22, 0, v146
	v_and_b32_e32 v2, 0xffff, v2
	s_delay_alu instid0(VALU_DEP_2) | instskip(NEXT) | instid1(VALU_DEP_2)
	v_cndmask_b32_e64 v149, 0x7fff, 0, s22
	v_lshrrev_b32_e32 v2, s49, v2
	s_delay_alu instid0(VALU_DEP_1) | instskip(NEXT) | instid1(VALU_DEP_1)
	v_and_b32_e32 v2, s55, v2
	v_lshlrev_b32_e32 v2, 2, v2
	ds_load_b32 v2, v2
	s_waitcnt lgkmcnt(0)
	v_add_nc_u32_e32 v2, v2, v52
	s_delay_alu instid0(VALU_DEP_1) | instskip(SKIP_1) | instid1(VALU_DEP_2)
	v_lshlrev_b64 v[36:37], 1, v[2:3]
	v_xor_b32_e32 v2, v149, v146
	v_add_co_u32 v36, s22, s38, v36
	s_delay_alu instid0(VALU_DEP_1) | instskip(SKIP_3) | instid1(VALU_DEP_1)
	v_add_co_ci_u32_e64 v37, s22, s39, v37, s22
	global_store_b16 v[36:37], v2, off
	s_or_b32 exec_lo, exec_lo, s23
	v_cmp_lt_u32_e64 s22, v53, v145
	s_and_saveexec_b32 s24, s22
	s_cbranch_execnz .LBB1983_781
.LBB1983_796:                           ;   in Loop: Header=BB1983_696 Depth=2
	s_or_b32 exec_lo, exec_lo, s24
	v_cmp_lt_u32_e64 s23, v54, v145
	s_delay_alu instid0(VALU_DEP_1)
	s_and_saveexec_b32 s25, s23
	s_cbranch_execz .LBB1983_782
.LBB1983_797:                           ;   in Loop: Header=BB1983_696 Depth=2
	ds_load_u16 v146, v79 offset:3584
	s_waitcnt lgkmcnt(0)
	v_cmp_ne_u16_e64 s24, 0x8000, v146
	s_delay_alu instid0(VALU_DEP_1) | instskip(SKIP_1) | instid1(VALU_DEP_2)
	v_cndmask_b32_e64 v2, 0x7fff, v146, s24
	v_cmp_gt_i16_e64 s24, 0, v146
	v_and_b32_e32 v2, 0xffff, v2
	s_delay_alu instid0(VALU_DEP_2) | instskip(NEXT) | instid1(VALU_DEP_2)
	v_cndmask_b32_e64 v149, 0x7fff, 0, s24
	v_lshrrev_b32_e32 v2, s49, v2
	s_delay_alu instid0(VALU_DEP_1) | instskip(NEXT) | instid1(VALU_DEP_1)
	v_and_b32_e32 v2, s55, v2
	v_lshlrev_b32_e32 v2, 2, v2
	ds_load_b32 v2, v2
	s_waitcnt lgkmcnt(0)
	v_add_nc_u32_e32 v2, v2, v54
	s_delay_alu instid0(VALU_DEP_1) | instskip(SKIP_1) | instid1(VALU_DEP_2)
	v_lshlrev_b64 v[36:37], 1, v[2:3]
	v_xor_b32_e32 v2, v149, v146
	v_add_co_u32 v36, s24, s38, v36
	s_delay_alu instid0(VALU_DEP_1) | instskip(SKIP_3) | instid1(VALU_DEP_1)
	v_add_co_ci_u32_e64 v37, s24, s39, v37, s24
	global_store_b16 v[36:37], v2, off
	s_or_b32 exec_lo, exec_lo, s25
	v_cmp_lt_u32_e64 s24, v55, v145
	s_and_saveexec_b32 s26, s24
	s_cbranch_execnz .LBB1983_783
.LBB1983_798:                           ;   in Loop: Header=BB1983_696 Depth=2
	s_or_b32 exec_lo, exec_lo, s26
	v_cmp_lt_u32_e64 s25, v56, v145
	s_delay_alu instid0(VALU_DEP_1)
	s_and_saveexec_b32 s27, s25
	s_cbranch_execz .LBB1983_784
.LBB1983_799:                           ;   in Loop: Header=BB1983_696 Depth=2
	ds_load_u16 v146, v79 offset:4608
	s_waitcnt lgkmcnt(0)
	v_cmp_ne_u16_e64 s26, 0x8000, v146
	s_delay_alu instid0(VALU_DEP_1) | instskip(SKIP_1) | instid1(VALU_DEP_2)
	v_cndmask_b32_e64 v2, 0x7fff, v146, s26
	v_cmp_gt_i16_e64 s26, 0, v146
	v_and_b32_e32 v2, 0xffff, v2
	s_delay_alu instid0(VALU_DEP_2) | instskip(NEXT) | instid1(VALU_DEP_2)
	v_cndmask_b32_e64 v149, 0x7fff, 0, s26
	v_lshrrev_b32_e32 v2, s49, v2
	s_delay_alu instid0(VALU_DEP_1) | instskip(NEXT) | instid1(VALU_DEP_1)
	v_and_b32_e32 v2, s55, v2
	v_lshlrev_b32_e32 v2, 2, v2
	ds_load_b32 v2, v2
	s_waitcnt lgkmcnt(0)
	v_add_nc_u32_e32 v2, v2, v56
	s_delay_alu instid0(VALU_DEP_1) | instskip(SKIP_1) | instid1(VALU_DEP_2)
	v_lshlrev_b64 v[36:37], 1, v[2:3]
	v_xor_b32_e32 v2, v149, v146
	v_add_co_u32 v36, s26, s38, v36
	s_delay_alu instid0(VALU_DEP_1) | instskip(SKIP_3) | instid1(VALU_DEP_1)
	v_add_co_ci_u32_e64 v37, s26, s39, v37, s26
	global_store_b16 v[36:37], v2, off
	s_or_b32 exec_lo, exec_lo, s27
	v_cmp_lt_u32_e64 s26, v57, v145
	s_and_saveexec_b32 s28, s26
	s_cbranch_execnz .LBB1983_785
.LBB1983_800:                           ;   in Loop: Header=BB1983_696 Depth=2
	s_or_b32 exec_lo, exec_lo, s28
	v_cmp_lt_u32_e64 s27, v58, v145
	s_delay_alu instid0(VALU_DEP_1)
	s_and_saveexec_b32 s29, s27
	s_cbranch_execz .LBB1983_786
.LBB1983_801:                           ;   in Loop: Header=BB1983_696 Depth=2
	ds_load_u16 v146, v79 offset:5632
	s_waitcnt lgkmcnt(0)
	v_cmp_ne_u16_e64 s28, 0x8000, v146
	s_delay_alu instid0(VALU_DEP_1) | instskip(SKIP_1) | instid1(VALU_DEP_2)
	v_cndmask_b32_e64 v2, 0x7fff, v146, s28
	v_cmp_gt_i16_e64 s28, 0, v146
	v_and_b32_e32 v2, 0xffff, v2
	s_delay_alu instid0(VALU_DEP_2) | instskip(NEXT) | instid1(VALU_DEP_2)
	v_cndmask_b32_e64 v149, 0x7fff, 0, s28
	v_lshrrev_b32_e32 v2, s49, v2
	s_delay_alu instid0(VALU_DEP_1) | instskip(NEXT) | instid1(VALU_DEP_1)
	v_and_b32_e32 v2, s55, v2
	v_lshlrev_b32_e32 v2, 2, v2
	ds_load_b32 v2, v2
	s_waitcnt lgkmcnt(0)
	v_add_nc_u32_e32 v2, v2, v58
	s_delay_alu instid0(VALU_DEP_1) | instskip(SKIP_1) | instid1(VALU_DEP_2)
	v_lshlrev_b64 v[36:37], 1, v[2:3]
	v_xor_b32_e32 v2, v149, v146
	v_add_co_u32 v36, s28, s38, v36
	s_delay_alu instid0(VALU_DEP_1) | instskip(SKIP_3) | instid1(VALU_DEP_1)
	v_add_co_ci_u32_e64 v37, s28, s39, v37, s28
	global_store_b16 v[36:37], v2, off
	s_or_b32 exec_lo, exec_lo, s29
	v_cmp_lt_u32_e64 s28, v59, v145
	s_and_saveexec_b32 s30, s28
	s_cbranch_execnz .LBB1983_787
.LBB1983_802:                           ;   in Loop: Header=BB1983_696 Depth=2
	s_or_b32 exec_lo, exec_lo, s30
	v_cmp_lt_u32_e64 s29, v60, v145
	s_delay_alu instid0(VALU_DEP_1)
	s_and_saveexec_b32 s31, s29
	s_cbranch_execz .LBB1983_788
.LBB1983_803:                           ;   in Loop: Header=BB1983_696 Depth=2
	ds_load_u16 v146, v79 offset:6656
	s_waitcnt lgkmcnt(0)
	v_cmp_ne_u16_e64 s30, 0x8000, v146
	s_delay_alu instid0(VALU_DEP_1) | instskip(SKIP_1) | instid1(VALU_DEP_2)
	v_cndmask_b32_e64 v2, 0x7fff, v146, s30
	v_cmp_gt_i16_e64 s30, 0, v146
	v_and_b32_e32 v2, 0xffff, v2
	s_delay_alu instid0(VALU_DEP_2) | instskip(NEXT) | instid1(VALU_DEP_2)
	v_cndmask_b32_e64 v149, 0x7fff, 0, s30
	v_lshrrev_b32_e32 v2, s49, v2
	s_delay_alu instid0(VALU_DEP_1) | instskip(NEXT) | instid1(VALU_DEP_1)
	v_and_b32_e32 v2, s55, v2
	v_lshlrev_b32_e32 v2, 2, v2
	ds_load_b32 v2, v2
	s_waitcnt lgkmcnt(0)
	v_add_nc_u32_e32 v2, v2, v60
	s_delay_alu instid0(VALU_DEP_1) | instskip(SKIP_1) | instid1(VALU_DEP_2)
	v_lshlrev_b64 v[36:37], 1, v[2:3]
	v_xor_b32_e32 v2, v149, v146
	v_add_co_u32 v36, s30, s38, v36
	s_delay_alu instid0(VALU_DEP_1) | instskip(SKIP_3) | instid1(VALU_DEP_1)
	v_add_co_ci_u32_e64 v37, s30, s39, v37, s30
	global_store_b16 v[36:37], v2, off
	s_or_b32 exec_lo, exec_lo, s31
	v_cmp_lt_u32_e64 s30, v61, v145
	s_and_saveexec_b32 s33, s30
	s_cbranch_execnz .LBB1983_789
.LBB1983_804:                           ;   in Loop: Header=BB1983_696 Depth=2
	s_or_b32 exec_lo, exec_lo, s33
	v_cmp_lt_u32_e64 s31, v63, v145
	s_delay_alu instid0(VALU_DEP_1)
	s_and_saveexec_b32 s58, s31
	s_cbranch_execz .LBB1983_806
.LBB1983_805:                           ;   in Loop: Header=BB1983_696 Depth=2
	ds_load_u16 v146, v79 offset:7680
	s_waitcnt lgkmcnt(0)
	v_cmp_ne_u16_e64 s33, 0x8000, v146
	s_delay_alu instid0(VALU_DEP_1) | instskip(SKIP_1) | instid1(VALU_DEP_2)
	v_cndmask_b32_e64 v2, 0x7fff, v146, s33
	v_cmp_gt_i16_e64 s33, 0, v146
	v_and_b32_e32 v2, 0xffff, v2
	s_delay_alu instid0(VALU_DEP_2) | instskip(NEXT) | instid1(VALU_DEP_2)
	v_cndmask_b32_e64 v149, 0x7fff, 0, s33
	v_lshrrev_b32_e32 v2, s49, v2
	s_delay_alu instid0(VALU_DEP_1) | instskip(NEXT) | instid1(VALU_DEP_1)
	v_and_b32_e32 v2, s55, v2
	v_lshlrev_b32_e32 v2, 2, v2
	ds_load_b32 v2, v2
	s_waitcnt lgkmcnt(0)
	v_add_nc_u32_e32 v2, v2, v63
	s_delay_alu instid0(VALU_DEP_1) | instskip(SKIP_1) | instid1(VALU_DEP_2)
	v_lshlrev_b64 v[36:37], 1, v[2:3]
	v_xor_b32_e32 v2, v149, v146
	v_add_co_u32 v36, s33, s38, v36
	s_delay_alu instid0(VALU_DEP_1)
	v_add_co_ci_u32_e64 v37, s33, s39, v37, s33
	global_store_b16 v[36:37], v2, off
.LBB1983_806:                           ;   in Loop: Header=BB1983_696 Depth=2
	s_or_b32 exec_lo, exec_lo, s58
	s_lshl_b64 s[58:59], s[34:35], 3
	s_delay_alu instid0(SALU_CYCLE_1) | instskip(NEXT) | instid1(VALU_DEP_1)
	v_add_co_u32 v36, s33, v107, s58
	v_add_co_ci_u32_e64 v37, s33, s59, v108, s33
	v_cmp_lt_u32_e64 s33, v106, v145
	s_delay_alu instid0(VALU_DEP_1) | instskip(NEXT) | instid1(SALU_CYCLE_1)
	s_and_saveexec_b32 s34, s33
	s_xor_b32 s33, exec_lo, s34
	s_cbranch_execz .LBB1983_838
; %bb.807:                              ;   in Loop: Header=BB1983_696 Depth=2
	global_load_b64 v[34:35], v[36:37], off
	s_or_b32 exec_lo, exec_lo, s33
	s_delay_alu instid0(SALU_CYCLE_1)
	s_mov_b32 s34, exec_lo
	v_cmpx_lt_u32_e64 v109, v145
	s_cbranch_execnz .LBB1983_839
.LBB1983_808:                           ;   in Loop: Header=BB1983_696 Depth=2
	s_or_b32 exec_lo, exec_lo, s34
	s_delay_alu instid0(SALU_CYCLE_1)
	s_mov_b32 s34, exec_lo
	v_cmpx_lt_u32_e64 v110, v145
	s_cbranch_execz .LBB1983_840
.LBB1983_809:                           ;   in Loop: Header=BB1983_696 Depth=2
	global_load_b64 v[30:31], v[36:37], off offset:512
	s_or_b32 exec_lo, exec_lo, s34
	s_delay_alu instid0(SALU_CYCLE_1)
	s_mov_b32 s34, exec_lo
	v_cmpx_lt_u32_e64 v111, v145
	s_cbranch_execnz .LBB1983_841
.LBB1983_810:                           ;   in Loop: Header=BB1983_696 Depth=2
	s_or_b32 exec_lo, exec_lo, s34
	s_delay_alu instid0(SALU_CYCLE_1)
	s_mov_b32 s34, exec_lo
	v_cmpx_lt_u32_e64 v112, v145
	s_cbranch_execz .LBB1983_842
.LBB1983_811:                           ;   in Loop: Header=BB1983_696 Depth=2
	global_load_b64 v[26:27], v[36:37], off offset:1024
	s_or_b32 exec_lo, exec_lo, s34
	s_delay_alu instid0(SALU_CYCLE_1)
	s_mov_b32 s34, exec_lo
	v_cmpx_lt_u32_e64 v113, v145
	s_cbranch_execnz .LBB1983_843
.LBB1983_812:                           ;   in Loop: Header=BB1983_696 Depth=2
	s_or_b32 exec_lo, exec_lo, s34
	s_delay_alu instid0(SALU_CYCLE_1)
	s_mov_b32 s34, exec_lo
	v_cmpx_lt_u32_e64 v114, v145
	s_cbranch_execz .LBB1983_844
.LBB1983_813:                           ;   in Loop: Header=BB1983_696 Depth=2
	global_load_b64 v[22:23], v[36:37], off offset:1536
	s_or_b32 exec_lo, exec_lo, s34
	s_delay_alu instid0(SALU_CYCLE_1)
	s_mov_b32 s34, exec_lo
	v_cmpx_lt_u32_e64 v115, v145
	s_cbranch_execnz .LBB1983_845
.LBB1983_814:                           ;   in Loop: Header=BB1983_696 Depth=2
	s_or_b32 exec_lo, exec_lo, s34
	s_delay_alu instid0(SALU_CYCLE_1)
	s_mov_b32 s34, exec_lo
	v_cmpx_lt_u32_e64 v116, v145
	s_cbranch_execz .LBB1983_846
.LBB1983_815:                           ;   in Loop: Header=BB1983_696 Depth=2
	global_load_b64 v[18:19], v[36:37], off offset:2048
	s_or_b32 exec_lo, exec_lo, s34
	s_delay_alu instid0(SALU_CYCLE_1)
	s_mov_b32 s34, exec_lo
	v_cmpx_lt_u32_e64 v117, v145
	s_cbranch_execnz .LBB1983_847
.LBB1983_816:                           ;   in Loop: Header=BB1983_696 Depth=2
	s_or_b32 exec_lo, exec_lo, s34
	s_delay_alu instid0(SALU_CYCLE_1)
	s_mov_b32 s34, exec_lo
	v_cmpx_lt_u32_e64 v118, v145
	s_cbranch_execz .LBB1983_848
.LBB1983_817:                           ;   in Loop: Header=BB1983_696 Depth=2
	global_load_b64 v[14:15], v[36:37], off offset:2560
	s_or_b32 exec_lo, exec_lo, s34
	s_delay_alu instid0(SALU_CYCLE_1)
	s_mov_b32 s34, exec_lo
	v_cmpx_lt_u32_e64 v119, v145
	s_cbranch_execnz .LBB1983_849
.LBB1983_818:                           ;   in Loop: Header=BB1983_696 Depth=2
	s_or_b32 exec_lo, exec_lo, s34
	s_delay_alu instid0(SALU_CYCLE_1)
	s_mov_b32 s34, exec_lo
	v_cmpx_lt_u32_e64 v120, v145
	s_cbranch_execz .LBB1983_850
.LBB1983_819:                           ;   in Loop: Header=BB1983_696 Depth=2
	global_load_b64 v[10:11], v[36:37], off offset:3072
	s_or_b32 exec_lo, exec_lo, s34
	s_delay_alu instid0(SALU_CYCLE_1)
	s_mov_b32 s34, exec_lo
	v_cmpx_lt_u32_e64 v121, v145
	s_cbranch_execnz .LBB1983_851
.LBB1983_820:                           ;   in Loop: Header=BB1983_696 Depth=2
	s_or_b32 exec_lo, exec_lo, s34
	s_delay_alu instid0(SALU_CYCLE_1)
	s_mov_b32 s34, exec_lo
	v_cmpx_lt_u32_e64 v122, v145
	s_cbranch_execz .LBB1983_852
.LBB1983_821:                           ;   in Loop: Header=BB1983_696 Depth=2
	global_load_b64 v[6:7], v[36:37], off offset:3584
	s_or_b32 exec_lo, exec_lo, s34
	s_delay_alu instid0(SALU_CYCLE_1)
	s_mov_b32 s34, exec_lo
	v_cmpx_lt_u32_e64 v123, v145
	s_cbranch_execnz .LBB1983_853
.LBB1983_822:                           ;   in Loop: Header=BB1983_696 Depth=2
	s_or_b32 exec_lo, exec_lo, s34
	s_and_saveexec_b32 s34, vcc_lo
	s_cbranch_execz .LBB1983_854
.LBB1983_823:                           ;   in Loop: Header=BB1983_696 Depth=2
	v_add_nc_u32_e32 v2, v72, v78
	ds_load_u16 v2, v2 offset:1024
	s_waitcnt lgkmcnt(0)
	v_cmp_ne_u16_e64 s33, 0x8000, v2
	s_delay_alu instid0(VALU_DEP_1) | instskip(NEXT) | instid1(VALU_DEP_1)
	v_cndmask_b32_e64 v2, 0x7fff, v2, s33
	v_and_b32_e32 v2, 0xffff, v2
	s_delay_alu instid0(VALU_DEP_1) | instskip(NEXT) | instid1(VALU_DEP_1)
	v_lshrrev_b32_e32 v2, s49, v2
	v_and_b32_e32 v144, s55, v2
	s_or_b32 exec_lo, exec_lo, s34
	s_and_saveexec_b32 s34, s17
	s_cbranch_execnz .LBB1983_855
.LBB1983_824:                           ;   in Loop: Header=BB1983_696 Depth=2
	s_or_b32 exec_lo, exec_lo, s34
	s_and_saveexec_b32 s34, s18
	s_cbranch_execz .LBB1983_856
.LBB1983_825:                           ;   in Loop: Header=BB1983_696 Depth=2
	ds_load_u16 v2, v79 offset:1024
	s_waitcnt lgkmcnt(0)
	v_cmp_ne_u16_e64 s33, 0x8000, v2
	s_delay_alu instid0(VALU_DEP_1) | instskip(NEXT) | instid1(VALU_DEP_1)
	v_cndmask_b32_e64 v2, 0x7fff, v2, s33
	v_and_b32_e32 v2, 0xffff, v2
	s_delay_alu instid0(VALU_DEP_1) | instskip(NEXT) | instid1(VALU_DEP_1)
	v_lshrrev_b32_e32 v2, s49, v2
	v_and_b32_e32 v142, s55, v2
	s_or_b32 exec_lo, exec_lo, s34
	s_and_saveexec_b32 s34, s19
	s_cbranch_execnz .LBB1983_857
.LBB1983_826:                           ;   in Loop: Header=BB1983_696 Depth=2
	s_or_b32 exec_lo, exec_lo, s34
	s_and_saveexec_b32 s34, s20
	s_cbranch_execz .LBB1983_858
.LBB1983_827:                           ;   in Loop: Header=BB1983_696 Depth=2
	ds_load_u16 v2, v79 offset:2048
	s_waitcnt lgkmcnt(0)
	v_cmp_ne_u16_e64 s33, 0x8000, v2
	s_delay_alu instid0(VALU_DEP_1) | instskip(NEXT) | instid1(VALU_DEP_1)
	v_cndmask_b32_e64 v2, 0x7fff, v2, s33
	v_and_b32_e32 v2, 0xffff, v2
	s_delay_alu instid0(VALU_DEP_1) | instskip(NEXT) | instid1(VALU_DEP_1)
	v_lshrrev_b32_e32 v2, s49, v2
	v_and_b32_e32 v140, s55, v2
	s_or_b32 exec_lo, exec_lo, s34
	s_and_saveexec_b32 s34, s21
	s_cbranch_execnz .LBB1983_859
.LBB1983_828:                           ;   in Loop: Header=BB1983_696 Depth=2
	s_or_b32 exec_lo, exec_lo, s34
	s_and_saveexec_b32 s34, s22
	s_cbranch_execz .LBB1983_860
.LBB1983_829:                           ;   in Loop: Header=BB1983_696 Depth=2
	ds_load_u16 v2, v79 offset:3072
	s_waitcnt lgkmcnt(0)
	v_cmp_ne_u16_e64 s33, 0x8000, v2
	s_delay_alu instid0(VALU_DEP_1) | instskip(NEXT) | instid1(VALU_DEP_1)
	v_cndmask_b32_e64 v2, 0x7fff, v2, s33
	v_and_b32_e32 v2, 0xffff, v2
	s_delay_alu instid0(VALU_DEP_1) | instskip(NEXT) | instid1(VALU_DEP_1)
	v_lshrrev_b32_e32 v2, s49, v2
	v_and_b32_e32 v138, s55, v2
	s_or_b32 exec_lo, exec_lo, s34
	s_and_saveexec_b32 s34, s23
	s_cbranch_execnz .LBB1983_861
.LBB1983_830:                           ;   in Loop: Header=BB1983_696 Depth=2
	s_or_b32 exec_lo, exec_lo, s34
	s_and_saveexec_b32 s34, s24
	s_cbranch_execz .LBB1983_862
.LBB1983_831:                           ;   in Loop: Header=BB1983_696 Depth=2
	ds_load_u16 v2, v79 offset:4096
	s_waitcnt lgkmcnt(0)
	v_cmp_ne_u16_e64 s33, 0x8000, v2
	s_delay_alu instid0(VALU_DEP_1) | instskip(NEXT) | instid1(VALU_DEP_1)
	v_cndmask_b32_e64 v2, 0x7fff, v2, s33
	v_and_b32_e32 v2, 0xffff, v2
	s_delay_alu instid0(VALU_DEP_1) | instskip(NEXT) | instid1(VALU_DEP_1)
	v_lshrrev_b32_e32 v2, s49, v2
	v_and_b32_e32 v136, s55, v2
	s_or_b32 exec_lo, exec_lo, s34
	s_and_saveexec_b32 s34, s25
	s_cbranch_execnz .LBB1983_863
.LBB1983_832:                           ;   in Loop: Header=BB1983_696 Depth=2
	s_or_b32 exec_lo, exec_lo, s34
	s_and_saveexec_b32 s34, s26
	s_cbranch_execz .LBB1983_864
.LBB1983_833:                           ;   in Loop: Header=BB1983_696 Depth=2
	ds_load_u16 v2, v79 offset:5120
	s_waitcnt lgkmcnt(0)
	v_cmp_ne_u16_e64 s33, 0x8000, v2
	s_delay_alu instid0(VALU_DEP_1) | instskip(NEXT) | instid1(VALU_DEP_1)
	v_cndmask_b32_e64 v2, 0x7fff, v2, s33
	v_and_b32_e32 v2, 0xffff, v2
	s_delay_alu instid0(VALU_DEP_1) | instskip(NEXT) | instid1(VALU_DEP_1)
	v_lshrrev_b32_e32 v2, s49, v2
	v_and_b32_e32 v134, s55, v2
	s_or_b32 exec_lo, exec_lo, s34
	s_and_saveexec_b32 s34, s27
	s_cbranch_execnz .LBB1983_865
.LBB1983_834:                           ;   in Loop: Header=BB1983_696 Depth=2
	s_or_b32 exec_lo, exec_lo, s34
	s_and_saveexec_b32 s34, s28
	s_cbranch_execz .LBB1983_866
.LBB1983_835:                           ;   in Loop: Header=BB1983_696 Depth=2
	ds_load_u16 v2, v79 offset:6144
	s_waitcnt lgkmcnt(0)
	v_cmp_ne_u16_e64 s33, 0x8000, v2
	s_delay_alu instid0(VALU_DEP_1) | instskip(NEXT) | instid1(VALU_DEP_1)
	v_cndmask_b32_e64 v2, 0x7fff, v2, s33
	v_and_b32_e32 v2, 0xffff, v2
	s_delay_alu instid0(VALU_DEP_1) | instskip(NEXT) | instid1(VALU_DEP_1)
	v_lshrrev_b32_e32 v2, s49, v2
	v_and_b32_e32 v132, s55, v2
	s_or_b32 exec_lo, exec_lo, s34
	s_and_saveexec_b32 s34, s29
	s_cbranch_execnz .LBB1983_867
.LBB1983_836:                           ;   in Loop: Header=BB1983_696 Depth=2
	s_or_b32 exec_lo, exec_lo, s34
	s_and_saveexec_b32 s34, s30
	s_cbranch_execz .LBB1983_868
.LBB1983_837:                           ;   in Loop: Header=BB1983_696 Depth=2
	ds_load_u16 v2, v79 offset:7168
	s_waitcnt lgkmcnt(0)
	v_cmp_ne_u16_e64 s33, 0x8000, v2
	s_delay_alu instid0(VALU_DEP_1) | instskip(NEXT) | instid1(VALU_DEP_1)
	v_cndmask_b32_e64 v2, 0x7fff, v2, s33
	v_and_b32_e32 v2, 0xffff, v2
	s_delay_alu instid0(VALU_DEP_1) | instskip(NEXT) | instid1(VALU_DEP_1)
	v_lshrrev_b32_e32 v2, s49, v2
	v_and_b32_e32 v130, s55, v2
	s_or_b32 exec_lo, exec_lo, s34
	s_and_saveexec_b32 s34, s31
	s_cbranch_execnz .LBB1983_869
	s_branch .LBB1983_870
.LBB1983_838:                           ;   in Loop: Header=BB1983_696 Depth=2
	s_or_b32 exec_lo, exec_lo, s33
	s_delay_alu instid0(SALU_CYCLE_1)
	s_mov_b32 s34, exec_lo
	v_cmpx_lt_u32_e64 v109, v145
	s_cbranch_execz .LBB1983_808
.LBB1983_839:                           ;   in Loop: Header=BB1983_696 Depth=2
	global_load_b64 v[32:33], v[36:37], off offset:256
	s_or_b32 exec_lo, exec_lo, s34
	s_delay_alu instid0(SALU_CYCLE_1)
	s_mov_b32 s34, exec_lo
	v_cmpx_lt_u32_e64 v110, v145
	s_cbranch_execnz .LBB1983_809
.LBB1983_840:                           ;   in Loop: Header=BB1983_696 Depth=2
	s_or_b32 exec_lo, exec_lo, s34
	s_delay_alu instid0(SALU_CYCLE_1)
	s_mov_b32 s34, exec_lo
	v_cmpx_lt_u32_e64 v111, v145
	s_cbranch_execz .LBB1983_810
.LBB1983_841:                           ;   in Loop: Header=BB1983_696 Depth=2
	global_load_b64 v[28:29], v[36:37], off offset:768
	s_or_b32 exec_lo, exec_lo, s34
	s_delay_alu instid0(SALU_CYCLE_1)
	s_mov_b32 s34, exec_lo
	v_cmpx_lt_u32_e64 v112, v145
	s_cbranch_execnz .LBB1983_811
.LBB1983_842:                           ;   in Loop: Header=BB1983_696 Depth=2
	s_or_b32 exec_lo, exec_lo, s34
	s_delay_alu instid0(SALU_CYCLE_1)
	s_mov_b32 s34, exec_lo
	v_cmpx_lt_u32_e64 v113, v145
	s_cbranch_execz .LBB1983_812
.LBB1983_843:                           ;   in Loop: Header=BB1983_696 Depth=2
	global_load_b64 v[24:25], v[36:37], off offset:1280
	s_or_b32 exec_lo, exec_lo, s34
	s_delay_alu instid0(SALU_CYCLE_1)
	s_mov_b32 s34, exec_lo
	v_cmpx_lt_u32_e64 v114, v145
	s_cbranch_execnz .LBB1983_813
.LBB1983_844:                           ;   in Loop: Header=BB1983_696 Depth=2
	s_or_b32 exec_lo, exec_lo, s34
	s_delay_alu instid0(SALU_CYCLE_1)
	s_mov_b32 s34, exec_lo
	v_cmpx_lt_u32_e64 v115, v145
	s_cbranch_execz .LBB1983_814
.LBB1983_845:                           ;   in Loop: Header=BB1983_696 Depth=2
	global_load_b64 v[20:21], v[36:37], off offset:1792
	s_or_b32 exec_lo, exec_lo, s34
	s_delay_alu instid0(SALU_CYCLE_1)
	s_mov_b32 s34, exec_lo
	v_cmpx_lt_u32_e64 v116, v145
	s_cbranch_execnz .LBB1983_815
.LBB1983_846:                           ;   in Loop: Header=BB1983_696 Depth=2
	s_or_b32 exec_lo, exec_lo, s34
	s_delay_alu instid0(SALU_CYCLE_1)
	s_mov_b32 s34, exec_lo
	v_cmpx_lt_u32_e64 v117, v145
	s_cbranch_execz .LBB1983_816
.LBB1983_847:                           ;   in Loop: Header=BB1983_696 Depth=2
	global_load_b64 v[16:17], v[36:37], off offset:2304
	s_or_b32 exec_lo, exec_lo, s34
	s_delay_alu instid0(SALU_CYCLE_1)
	s_mov_b32 s34, exec_lo
	v_cmpx_lt_u32_e64 v118, v145
	s_cbranch_execnz .LBB1983_817
.LBB1983_848:                           ;   in Loop: Header=BB1983_696 Depth=2
	s_or_b32 exec_lo, exec_lo, s34
	s_delay_alu instid0(SALU_CYCLE_1)
	s_mov_b32 s34, exec_lo
	v_cmpx_lt_u32_e64 v119, v145
	s_cbranch_execz .LBB1983_818
.LBB1983_849:                           ;   in Loop: Header=BB1983_696 Depth=2
	global_load_b64 v[12:13], v[36:37], off offset:2816
	s_or_b32 exec_lo, exec_lo, s34
	s_delay_alu instid0(SALU_CYCLE_1)
	s_mov_b32 s34, exec_lo
	v_cmpx_lt_u32_e64 v120, v145
	s_cbranch_execnz .LBB1983_819
.LBB1983_850:                           ;   in Loop: Header=BB1983_696 Depth=2
	s_or_b32 exec_lo, exec_lo, s34
	s_delay_alu instid0(SALU_CYCLE_1)
	s_mov_b32 s34, exec_lo
	v_cmpx_lt_u32_e64 v121, v145
	s_cbranch_execz .LBB1983_820
.LBB1983_851:                           ;   in Loop: Header=BB1983_696 Depth=2
	global_load_b64 v[8:9], v[36:37], off offset:3328
	s_or_b32 exec_lo, exec_lo, s34
	s_delay_alu instid0(SALU_CYCLE_1)
	s_mov_b32 s34, exec_lo
	v_cmpx_lt_u32_e64 v122, v145
	s_cbranch_execnz .LBB1983_821
.LBB1983_852:                           ;   in Loop: Header=BB1983_696 Depth=2
	s_or_b32 exec_lo, exec_lo, s34
	s_delay_alu instid0(SALU_CYCLE_1)
	s_mov_b32 s34, exec_lo
	v_cmpx_lt_u32_e64 v123, v145
	s_cbranch_execz .LBB1983_822
.LBB1983_853:                           ;   in Loop: Header=BB1983_696 Depth=2
	global_load_b64 v[4:5], v[36:37], off offset:3840
	s_or_b32 exec_lo, exec_lo, s34
	s_and_saveexec_b32 s34, vcc_lo
	s_cbranch_execnz .LBB1983_823
.LBB1983_854:                           ;   in Loop: Header=BB1983_696 Depth=2
	s_or_b32 exec_lo, exec_lo, s34
	s_and_saveexec_b32 s34, s17
	s_cbranch_execz .LBB1983_824
.LBB1983_855:                           ;   in Loop: Header=BB1983_696 Depth=2
	ds_load_u16 v2, v79 offset:512
	s_waitcnt lgkmcnt(0)
	v_cmp_ne_u16_e64 s33, 0x8000, v2
	s_delay_alu instid0(VALU_DEP_1) | instskip(NEXT) | instid1(VALU_DEP_1)
	v_cndmask_b32_e64 v2, 0x7fff, v2, s33
	v_and_b32_e32 v2, 0xffff, v2
	s_delay_alu instid0(VALU_DEP_1) | instskip(NEXT) | instid1(VALU_DEP_1)
	v_lshrrev_b32_e32 v2, s49, v2
	v_and_b32_e32 v143, s55, v2
	s_or_b32 exec_lo, exec_lo, s34
	s_and_saveexec_b32 s34, s18
	s_cbranch_execnz .LBB1983_825
.LBB1983_856:                           ;   in Loop: Header=BB1983_696 Depth=2
	s_or_b32 exec_lo, exec_lo, s34
	s_and_saveexec_b32 s34, s19
	s_cbranch_execz .LBB1983_826
.LBB1983_857:                           ;   in Loop: Header=BB1983_696 Depth=2
	ds_load_u16 v2, v79 offset:1536
	s_waitcnt lgkmcnt(0)
	v_cmp_ne_u16_e64 s33, 0x8000, v2
	s_delay_alu instid0(VALU_DEP_1) | instskip(NEXT) | instid1(VALU_DEP_1)
	v_cndmask_b32_e64 v2, 0x7fff, v2, s33
	v_and_b32_e32 v2, 0xffff, v2
	s_delay_alu instid0(VALU_DEP_1) | instskip(NEXT) | instid1(VALU_DEP_1)
	v_lshrrev_b32_e32 v2, s49, v2
	v_and_b32_e32 v141, s55, v2
	s_or_b32 exec_lo, exec_lo, s34
	s_and_saveexec_b32 s34, s20
	s_cbranch_execnz .LBB1983_827
.LBB1983_858:                           ;   in Loop: Header=BB1983_696 Depth=2
	s_or_b32 exec_lo, exec_lo, s34
	s_and_saveexec_b32 s34, s21
	s_cbranch_execz .LBB1983_828
.LBB1983_859:                           ;   in Loop: Header=BB1983_696 Depth=2
	ds_load_u16 v2, v79 offset:2560
	s_waitcnt lgkmcnt(0)
	v_cmp_ne_u16_e64 s33, 0x8000, v2
	s_delay_alu instid0(VALU_DEP_1) | instskip(NEXT) | instid1(VALU_DEP_1)
	v_cndmask_b32_e64 v2, 0x7fff, v2, s33
	v_and_b32_e32 v2, 0xffff, v2
	s_delay_alu instid0(VALU_DEP_1) | instskip(NEXT) | instid1(VALU_DEP_1)
	v_lshrrev_b32_e32 v2, s49, v2
	v_and_b32_e32 v139, s55, v2
	s_or_b32 exec_lo, exec_lo, s34
	s_and_saveexec_b32 s34, s22
	s_cbranch_execnz .LBB1983_829
.LBB1983_860:                           ;   in Loop: Header=BB1983_696 Depth=2
	s_or_b32 exec_lo, exec_lo, s34
	s_and_saveexec_b32 s34, s23
	s_cbranch_execz .LBB1983_830
.LBB1983_861:                           ;   in Loop: Header=BB1983_696 Depth=2
	ds_load_u16 v2, v79 offset:3584
	s_waitcnt lgkmcnt(0)
	v_cmp_ne_u16_e64 s33, 0x8000, v2
	s_delay_alu instid0(VALU_DEP_1) | instskip(NEXT) | instid1(VALU_DEP_1)
	v_cndmask_b32_e64 v2, 0x7fff, v2, s33
	v_and_b32_e32 v2, 0xffff, v2
	s_delay_alu instid0(VALU_DEP_1) | instskip(NEXT) | instid1(VALU_DEP_1)
	v_lshrrev_b32_e32 v2, s49, v2
	v_and_b32_e32 v137, s55, v2
	s_or_b32 exec_lo, exec_lo, s34
	s_and_saveexec_b32 s34, s24
	s_cbranch_execnz .LBB1983_831
.LBB1983_862:                           ;   in Loop: Header=BB1983_696 Depth=2
	s_or_b32 exec_lo, exec_lo, s34
	s_and_saveexec_b32 s34, s25
	s_cbranch_execz .LBB1983_832
.LBB1983_863:                           ;   in Loop: Header=BB1983_696 Depth=2
	ds_load_u16 v2, v79 offset:4608
	s_waitcnt lgkmcnt(0)
	v_cmp_ne_u16_e64 s33, 0x8000, v2
	s_delay_alu instid0(VALU_DEP_1) | instskip(NEXT) | instid1(VALU_DEP_1)
	v_cndmask_b32_e64 v2, 0x7fff, v2, s33
	v_and_b32_e32 v2, 0xffff, v2
	s_delay_alu instid0(VALU_DEP_1) | instskip(NEXT) | instid1(VALU_DEP_1)
	v_lshrrev_b32_e32 v2, s49, v2
	v_and_b32_e32 v135, s55, v2
	s_or_b32 exec_lo, exec_lo, s34
	s_and_saveexec_b32 s34, s26
	s_cbranch_execnz .LBB1983_833
.LBB1983_864:                           ;   in Loop: Header=BB1983_696 Depth=2
	s_or_b32 exec_lo, exec_lo, s34
	s_and_saveexec_b32 s34, s27
	s_cbranch_execz .LBB1983_834
.LBB1983_865:                           ;   in Loop: Header=BB1983_696 Depth=2
	ds_load_u16 v2, v79 offset:5632
	s_waitcnt lgkmcnt(0)
	v_cmp_ne_u16_e64 s33, 0x8000, v2
	s_delay_alu instid0(VALU_DEP_1) | instskip(NEXT) | instid1(VALU_DEP_1)
	v_cndmask_b32_e64 v2, 0x7fff, v2, s33
	v_and_b32_e32 v2, 0xffff, v2
	s_delay_alu instid0(VALU_DEP_1) | instskip(NEXT) | instid1(VALU_DEP_1)
	v_lshrrev_b32_e32 v2, s49, v2
	v_and_b32_e32 v133, s55, v2
	s_or_b32 exec_lo, exec_lo, s34
	s_and_saveexec_b32 s34, s28
	s_cbranch_execnz .LBB1983_835
.LBB1983_866:                           ;   in Loop: Header=BB1983_696 Depth=2
	s_or_b32 exec_lo, exec_lo, s34
	s_and_saveexec_b32 s34, s29
	s_cbranch_execz .LBB1983_836
.LBB1983_867:                           ;   in Loop: Header=BB1983_696 Depth=2
	ds_load_u16 v2, v79 offset:6656
	s_waitcnt lgkmcnt(0)
	v_cmp_ne_u16_e64 s33, 0x8000, v2
	s_delay_alu instid0(VALU_DEP_1) | instskip(NEXT) | instid1(VALU_DEP_1)
	v_cndmask_b32_e64 v2, 0x7fff, v2, s33
	v_and_b32_e32 v2, 0xffff, v2
	s_delay_alu instid0(VALU_DEP_1) | instskip(NEXT) | instid1(VALU_DEP_1)
	v_lshrrev_b32_e32 v2, s49, v2
	v_and_b32_e32 v131, s55, v2
	s_or_b32 exec_lo, exec_lo, s34
	s_and_saveexec_b32 s34, s30
	s_cbranch_execnz .LBB1983_837
.LBB1983_868:                           ;   in Loop: Header=BB1983_696 Depth=2
	s_or_b32 exec_lo, exec_lo, s34
	s_and_saveexec_b32 s34, s31
	s_cbranch_execz .LBB1983_870
.LBB1983_869:                           ;   in Loop: Header=BB1983_696 Depth=2
	ds_load_u16 v2, v79 offset:7680
	s_waitcnt lgkmcnt(0)
	v_cmp_ne_u16_e64 s33, 0x8000, v2
	s_delay_alu instid0(VALU_DEP_1) | instskip(NEXT) | instid1(VALU_DEP_1)
	v_cndmask_b32_e64 v2, 0x7fff, v2, s33
	v_and_b32_e32 v2, 0xffff, v2
	s_delay_alu instid0(VALU_DEP_1) | instskip(NEXT) | instid1(VALU_DEP_1)
	v_lshrrev_b32_e32 v2, s49, v2
	v_and_b32_e32 v129, s55, v2
.LBB1983_870:                           ;   in Loop: Header=BB1983_696 Depth=2
	s_or_b32 exec_lo, exec_lo, s34
	v_lshlrev_b32_e32 v2, 3, v168
	v_lshlrev_b32_e32 v36, 3, v164
	s_waitcnt vmcnt(0)
	s_waitcnt_vscnt null, 0x0
	s_barrier
	buffer_gl0_inv
	ds_store_b64 v2, v[34:35] offset:1024
	v_lshlrev_b32_e32 v2, 3, v160
	v_lshlrev_b32_e32 v37, 3, v156
	;; [unrolled: 1-line block ×4, first 2 shown]
	ds_store_b64 v36, v[32:33] offset:1024
	ds_store_b64 v2, v[30:31] offset:1024
	;; [unrolled: 1-line block ×5, first 2 shown]
	v_lshlrev_b32_e32 v2, 3, v152
	v_lshlrev_b32_e32 v36, 3, v151
	;; [unrolled: 1-line block ×5, first 2 shown]
	ds_store_b64 v2, v[22:23] offset:1024
	ds_store_b64 v36, v[20:21] offset:1024
	;; [unrolled: 1-line block ×5, first 2 shown]
	v_lshlrev_b32_e32 v2, 3, v40
	v_lshlrev_b32_e32 v36, 3, v39
	;; [unrolled: 1-line block ×5, first 2 shown]
	ds_store_b64 v2, v[12:13] offset:1024
	ds_store_b64 v36, v[10:11] offset:1024
	;; [unrolled: 1-line block ×5, first 2 shown]
	s_waitcnt lgkmcnt(0)
	s_barrier
	buffer_gl0_inv
	s_and_saveexec_b32 s33, vcc_lo
	s_cbranch_execz .LBB1983_886
; %bb.871:                              ;   in Loop: Header=BB1983_696 Depth=2
	v_lshlrev_b32_e32 v2, 2, v144
	ds_load_b32 v2, v2
	ds_load_b64 v[36:37], v80 offset:1024
	s_waitcnt lgkmcnt(1)
	v_add_nc_u32_e32 v2, v2, v1
	s_delay_alu instid0(VALU_DEP_1) | instskip(NEXT) | instid1(VALU_DEP_1)
	v_lshlrev_b64 v[39:40], 3, v[2:3]
	v_add_co_u32 v39, vcc_lo, s44, v39
	s_delay_alu instid0(VALU_DEP_2)
	v_add_co_ci_u32_e32 v40, vcc_lo, s45, v40, vcc_lo
	s_waitcnt lgkmcnt(0)
	global_store_b64 v[39:40], v[36:37], off
	s_or_b32 exec_lo, exec_lo, s33
	s_and_saveexec_b32 s33, s17
	s_cbranch_execnz .LBB1983_887
.LBB1983_872:                           ;   in Loop: Header=BB1983_696 Depth=2
	s_or_b32 exec_lo, exec_lo, s33
	s_and_saveexec_b32 s17, s18
	s_cbranch_execz .LBB1983_888
.LBB1983_873:                           ;   in Loop: Header=BB1983_696 Depth=2
	v_lshlrev_b32_e32 v2, 2, v142
	v_add_nc_u32_e32 v36, v79, v81
	ds_load_b32 v2, v2
	ds_load_b64 v[36:37], v36 offset:4096
	s_waitcnt lgkmcnt(1)
	v_add_nc_u32_e32 v2, v2, v46
	s_delay_alu instid0(VALU_DEP_1) | instskip(NEXT) | instid1(VALU_DEP_1)
	v_lshlrev_b64 v[39:40], 3, v[2:3]
	v_add_co_u32 v39, vcc_lo, s44, v39
	s_delay_alu instid0(VALU_DEP_2)
	v_add_co_ci_u32_e32 v40, vcc_lo, s45, v40, vcc_lo
	s_waitcnt lgkmcnt(0)
	global_store_b64 v[39:40], v[36:37], off
	s_or_b32 exec_lo, exec_lo, s17
	s_and_saveexec_b32 s17, s19
	s_cbranch_execnz .LBB1983_889
.LBB1983_874:                           ;   in Loop: Header=BB1983_696 Depth=2
	s_or_b32 exec_lo, exec_lo, s17
	s_and_saveexec_b32 s17, s20
	s_cbranch_execz .LBB1983_890
.LBB1983_875:                           ;   in Loop: Header=BB1983_696 Depth=2
	v_lshlrev_b32_e32 v2, 2, v140
	v_add_nc_u32_e32 v36, v79, v81
	ds_load_b32 v2, v2
	ds_load_b64 v[36:37], v36 offset:8192
	s_waitcnt lgkmcnt(1)
	v_add_nc_u32_e32 v2, v2, v51
	s_delay_alu instid0(VALU_DEP_1) | instskip(NEXT) | instid1(VALU_DEP_1)
	v_lshlrev_b64 v[39:40], 3, v[2:3]
	v_add_co_u32 v39, vcc_lo, s44, v39
	s_delay_alu instid0(VALU_DEP_2)
	v_add_co_ci_u32_e32 v40, vcc_lo, s45, v40, vcc_lo
	s_waitcnt lgkmcnt(0)
	global_store_b64 v[39:40], v[36:37], off
	s_or_b32 exec_lo, exec_lo, s17
	s_and_saveexec_b32 s17, s21
	s_cbranch_execnz .LBB1983_891
.LBB1983_876:                           ;   in Loop: Header=BB1983_696 Depth=2
	s_or_b32 exec_lo, exec_lo, s17
	s_and_saveexec_b32 s17, s22
	s_cbranch_execz .LBB1983_892
.LBB1983_877:                           ;   in Loop: Header=BB1983_696 Depth=2
	v_lshlrev_b32_e32 v2, 2, v138
	v_add_nc_u32_e32 v36, v79, v81
	ds_load_b32 v2, v2
	ds_load_b64 v[36:37], v36 offset:12288
	s_waitcnt lgkmcnt(1)
	v_add_nc_u32_e32 v2, v2, v53
	s_delay_alu instid0(VALU_DEP_1) | instskip(NEXT) | instid1(VALU_DEP_1)
	v_lshlrev_b64 v[39:40], 3, v[2:3]
	v_add_co_u32 v39, vcc_lo, s44, v39
	s_delay_alu instid0(VALU_DEP_2)
	v_add_co_ci_u32_e32 v40, vcc_lo, s45, v40, vcc_lo
	s_waitcnt lgkmcnt(0)
	global_store_b64 v[39:40], v[36:37], off
	s_or_b32 exec_lo, exec_lo, s17
	s_and_saveexec_b32 s17, s23
	s_cbranch_execnz .LBB1983_893
.LBB1983_878:                           ;   in Loop: Header=BB1983_696 Depth=2
	s_or_b32 exec_lo, exec_lo, s17
	s_and_saveexec_b32 s17, s24
	s_cbranch_execz .LBB1983_894
.LBB1983_879:                           ;   in Loop: Header=BB1983_696 Depth=2
	v_lshlrev_b32_e32 v2, 2, v136
	v_add_nc_u32_e32 v36, v79, v81
	ds_load_b32 v2, v2
	ds_load_b64 v[36:37], v36 offset:16384
	s_waitcnt lgkmcnt(1)
	v_add_nc_u32_e32 v2, v2, v55
	s_delay_alu instid0(VALU_DEP_1) | instskip(NEXT) | instid1(VALU_DEP_1)
	v_lshlrev_b64 v[39:40], 3, v[2:3]
	v_add_co_u32 v39, vcc_lo, s44, v39
	s_delay_alu instid0(VALU_DEP_2)
	v_add_co_ci_u32_e32 v40, vcc_lo, s45, v40, vcc_lo
	s_waitcnt lgkmcnt(0)
	global_store_b64 v[39:40], v[36:37], off
	s_or_b32 exec_lo, exec_lo, s17
	s_and_saveexec_b32 s17, s25
	s_cbranch_execnz .LBB1983_895
.LBB1983_880:                           ;   in Loop: Header=BB1983_696 Depth=2
	s_or_b32 exec_lo, exec_lo, s17
	s_and_saveexec_b32 s17, s26
	s_cbranch_execz .LBB1983_896
.LBB1983_881:                           ;   in Loop: Header=BB1983_696 Depth=2
	v_lshlrev_b32_e32 v2, 2, v134
	v_add_nc_u32_e32 v36, v79, v81
	ds_load_b32 v2, v2
	ds_load_b64 v[36:37], v36 offset:20480
	s_waitcnt lgkmcnt(1)
	v_add_nc_u32_e32 v2, v2, v57
	s_delay_alu instid0(VALU_DEP_1) | instskip(NEXT) | instid1(VALU_DEP_1)
	v_lshlrev_b64 v[39:40], 3, v[2:3]
	v_add_co_u32 v39, vcc_lo, s44, v39
	s_delay_alu instid0(VALU_DEP_2)
	v_add_co_ci_u32_e32 v40, vcc_lo, s45, v40, vcc_lo
	s_waitcnt lgkmcnt(0)
	global_store_b64 v[39:40], v[36:37], off
	s_or_b32 exec_lo, exec_lo, s17
	s_and_saveexec_b32 s17, s27
	s_cbranch_execnz .LBB1983_897
.LBB1983_882:                           ;   in Loop: Header=BB1983_696 Depth=2
	s_or_b32 exec_lo, exec_lo, s17
	s_and_saveexec_b32 s17, s28
	s_cbranch_execz .LBB1983_898
.LBB1983_883:                           ;   in Loop: Header=BB1983_696 Depth=2
	v_lshlrev_b32_e32 v2, 2, v132
	v_add_nc_u32_e32 v36, v79, v81
	ds_load_b32 v2, v2
	ds_load_b64 v[36:37], v36 offset:24576
	s_waitcnt lgkmcnt(1)
	v_add_nc_u32_e32 v2, v2, v59
	s_delay_alu instid0(VALU_DEP_1) | instskip(NEXT) | instid1(VALU_DEP_1)
	v_lshlrev_b64 v[39:40], 3, v[2:3]
	v_add_co_u32 v39, vcc_lo, s44, v39
	s_delay_alu instid0(VALU_DEP_2)
	v_add_co_ci_u32_e32 v40, vcc_lo, s45, v40, vcc_lo
	s_waitcnt lgkmcnt(0)
	global_store_b64 v[39:40], v[36:37], off
	s_or_b32 exec_lo, exec_lo, s17
	s_and_saveexec_b32 s17, s29
	s_cbranch_execnz .LBB1983_899
.LBB1983_884:                           ;   in Loop: Header=BB1983_696 Depth=2
	s_or_b32 exec_lo, exec_lo, s17
	s_and_saveexec_b32 s17, s30
	s_cbranch_execz .LBB1983_900
.LBB1983_885:                           ;   in Loop: Header=BB1983_696 Depth=2
	v_lshlrev_b32_e32 v2, 2, v130
	v_add_nc_u32_e32 v36, v79, v81
	ds_load_b32 v2, v2
	ds_load_b64 v[36:37], v36 offset:28672
	s_waitcnt lgkmcnt(1)
	v_add_nc_u32_e32 v2, v2, v61
	s_delay_alu instid0(VALU_DEP_1) | instskip(NEXT) | instid1(VALU_DEP_1)
	v_lshlrev_b64 v[39:40], 3, v[2:3]
	v_add_co_u32 v39, vcc_lo, s44, v39
	s_delay_alu instid0(VALU_DEP_2)
	v_add_co_ci_u32_e32 v40, vcc_lo, s45, v40, vcc_lo
	s_waitcnt lgkmcnt(0)
	global_store_b64 v[39:40], v[36:37], off
	s_or_b32 exec_lo, exec_lo, s17
	s_and_saveexec_b32 s17, s31
	s_cbranch_execnz .LBB1983_901
	s_branch .LBB1983_902
.LBB1983_886:                           ;   in Loop: Header=BB1983_696 Depth=2
	s_or_b32 exec_lo, exec_lo, s33
	s_and_saveexec_b32 s33, s17
	s_cbranch_execz .LBB1983_872
.LBB1983_887:                           ;   in Loop: Header=BB1983_696 Depth=2
	v_lshlrev_b32_e32 v2, 2, v143
	v_add_nc_u32_e32 v36, v79, v81
	ds_load_b32 v2, v2
	ds_load_b64 v[36:37], v36 offset:2048
	s_waitcnt lgkmcnt(1)
	v_add_nc_u32_e32 v2, v2, v45
	s_delay_alu instid0(VALU_DEP_1) | instskip(NEXT) | instid1(VALU_DEP_1)
	v_lshlrev_b64 v[39:40], 3, v[2:3]
	v_add_co_u32 v39, vcc_lo, s44, v39
	s_delay_alu instid0(VALU_DEP_2)
	v_add_co_ci_u32_e32 v40, vcc_lo, s45, v40, vcc_lo
	s_waitcnt lgkmcnt(0)
	global_store_b64 v[39:40], v[36:37], off
	s_or_b32 exec_lo, exec_lo, s33
	s_and_saveexec_b32 s17, s18
	s_cbranch_execnz .LBB1983_873
.LBB1983_888:                           ;   in Loop: Header=BB1983_696 Depth=2
	s_or_b32 exec_lo, exec_lo, s17
	s_and_saveexec_b32 s17, s19
	s_cbranch_execz .LBB1983_874
.LBB1983_889:                           ;   in Loop: Header=BB1983_696 Depth=2
	v_lshlrev_b32_e32 v2, 2, v141
	v_add_nc_u32_e32 v36, v79, v81
	ds_load_b32 v2, v2
	ds_load_b64 v[36:37], v36 offset:6144
	s_waitcnt lgkmcnt(1)
	v_add_nc_u32_e32 v2, v2, v47
	s_delay_alu instid0(VALU_DEP_1) | instskip(NEXT) | instid1(VALU_DEP_1)
	v_lshlrev_b64 v[39:40], 3, v[2:3]
	v_add_co_u32 v39, vcc_lo, s44, v39
	s_delay_alu instid0(VALU_DEP_2)
	v_add_co_ci_u32_e32 v40, vcc_lo, s45, v40, vcc_lo
	s_waitcnt lgkmcnt(0)
	global_store_b64 v[39:40], v[36:37], off
	s_or_b32 exec_lo, exec_lo, s17
	s_and_saveexec_b32 s17, s20
	s_cbranch_execnz .LBB1983_875
.LBB1983_890:                           ;   in Loop: Header=BB1983_696 Depth=2
	s_or_b32 exec_lo, exec_lo, s17
	s_and_saveexec_b32 s17, s21
	s_cbranch_execz .LBB1983_876
.LBB1983_891:                           ;   in Loop: Header=BB1983_696 Depth=2
	v_lshlrev_b32_e32 v2, 2, v139
	v_add_nc_u32_e32 v36, v79, v81
	ds_load_b32 v2, v2
	ds_load_b64 v[36:37], v36 offset:10240
	s_waitcnt lgkmcnt(1)
	v_add_nc_u32_e32 v2, v2, v52
	s_delay_alu instid0(VALU_DEP_1) | instskip(NEXT) | instid1(VALU_DEP_1)
	v_lshlrev_b64 v[39:40], 3, v[2:3]
	v_add_co_u32 v39, vcc_lo, s44, v39
	s_delay_alu instid0(VALU_DEP_2)
	v_add_co_ci_u32_e32 v40, vcc_lo, s45, v40, vcc_lo
	s_waitcnt lgkmcnt(0)
	global_store_b64 v[39:40], v[36:37], off
	s_or_b32 exec_lo, exec_lo, s17
	s_and_saveexec_b32 s17, s22
	s_cbranch_execnz .LBB1983_877
.LBB1983_892:                           ;   in Loop: Header=BB1983_696 Depth=2
	s_or_b32 exec_lo, exec_lo, s17
	s_and_saveexec_b32 s17, s23
	s_cbranch_execz .LBB1983_878
.LBB1983_893:                           ;   in Loop: Header=BB1983_696 Depth=2
	v_lshlrev_b32_e32 v2, 2, v137
	v_add_nc_u32_e32 v36, v79, v81
	ds_load_b32 v2, v2
	ds_load_b64 v[36:37], v36 offset:14336
	s_waitcnt lgkmcnt(1)
	v_add_nc_u32_e32 v2, v2, v54
	s_delay_alu instid0(VALU_DEP_1) | instskip(NEXT) | instid1(VALU_DEP_1)
	v_lshlrev_b64 v[39:40], 3, v[2:3]
	v_add_co_u32 v39, vcc_lo, s44, v39
	s_delay_alu instid0(VALU_DEP_2)
	v_add_co_ci_u32_e32 v40, vcc_lo, s45, v40, vcc_lo
	s_waitcnt lgkmcnt(0)
	global_store_b64 v[39:40], v[36:37], off
	s_or_b32 exec_lo, exec_lo, s17
	s_and_saveexec_b32 s17, s24
	s_cbranch_execnz .LBB1983_879
.LBB1983_894:                           ;   in Loop: Header=BB1983_696 Depth=2
	s_or_b32 exec_lo, exec_lo, s17
	s_and_saveexec_b32 s17, s25
	s_cbranch_execz .LBB1983_880
.LBB1983_895:                           ;   in Loop: Header=BB1983_696 Depth=2
	v_lshlrev_b32_e32 v2, 2, v135
	v_add_nc_u32_e32 v36, v79, v81
	ds_load_b32 v2, v2
	ds_load_b64 v[36:37], v36 offset:18432
	s_waitcnt lgkmcnt(1)
	v_add_nc_u32_e32 v2, v2, v56
	s_delay_alu instid0(VALU_DEP_1) | instskip(NEXT) | instid1(VALU_DEP_1)
	v_lshlrev_b64 v[39:40], 3, v[2:3]
	v_add_co_u32 v39, vcc_lo, s44, v39
	s_delay_alu instid0(VALU_DEP_2)
	v_add_co_ci_u32_e32 v40, vcc_lo, s45, v40, vcc_lo
	s_waitcnt lgkmcnt(0)
	global_store_b64 v[39:40], v[36:37], off
	s_or_b32 exec_lo, exec_lo, s17
	s_and_saveexec_b32 s17, s26
	s_cbranch_execnz .LBB1983_881
.LBB1983_896:                           ;   in Loop: Header=BB1983_696 Depth=2
	s_or_b32 exec_lo, exec_lo, s17
	s_and_saveexec_b32 s17, s27
	s_cbranch_execz .LBB1983_882
.LBB1983_897:                           ;   in Loop: Header=BB1983_696 Depth=2
	v_lshlrev_b32_e32 v2, 2, v133
	v_add_nc_u32_e32 v36, v79, v81
	ds_load_b32 v2, v2
	ds_load_b64 v[36:37], v36 offset:22528
	s_waitcnt lgkmcnt(1)
	v_add_nc_u32_e32 v2, v2, v58
	s_delay_alu instid0(VALU_DEP_1) | instskip(NEXT) | instid1(VALU_DEP_1)
	v_lshlrev_b64 v[39:40], 3, v[2:3]
	v_add_co_u32 v39, vcc_lo, s44, v39
	s_delay_alu instid0(VALU_DEP_2)
	v_add_co_ci_u32_e32 v40, vcc_lo, s45, v40, vcc_lo
	s_waitcnt lgkmcnt(0)
	global_store_b64 v[39:40], v[36:37], off
	s_or_b32 exec_lo, exec_lo, s17
	s_and_saveexec_b32 s17, s28
	s_cbranch_execnz .LBB1983_883
.LBB1983_898:                           ;   in Loop: Header=BB1983_696 Depth=2
	s_or_b32 exec_lo, exec_lo, s17
	s_and_saveexec_b32 s17, s29
	s_cbranch_execz .LBB1983_884
.LBB1983_899:                           ;   in Loop: Header=BB1983_696 Depth=2
	v_lshlrev_b32_e32 v2, 2, v131
	v_add_nc_u32_e32 v36, v79, v81
	ds_load_b32 v2, v2
	ds_load_b64 v[36:37], v36 offset:26624
	s_waitcnt lgkmcnt(1)
	v_add_nc_u32_e32 v2, v2, v60
	s_delay_alu instid0(VALU_DEP_1) | instskip(NEXT) | instid1(VALU_DEP_1)
	v_lshlrev_b64 v[39:40], 3, v[2:3]
	v_add_co_u32 v39, vcc_lo, s44, v39
	s_delay_alu instid0(VALU_DEP_2)
	v_add_co_ci_u32_e32 v40, vcc_lo, s45, v40, vcc_lo
	s_waitcnt lgkmcnt(0)
	global_store_b64 v[39:40], v[36:37], off
	s_or_b32 exec_lo, exec_lo, s17
	s_and_saveexec_b32 s17, s30
	s_cbranch_execnz .LBB1983_885
.LBB1983_900:                           ;   in Loop: Header=BB1983_696 Depth=2
	s_or_b32 exec_lo, exec_lo, s17
	s_and_saveexec_b32 s17, s31
	s_cbranch_execz .LBB1983_902
.LBB1983_901:                           ;   in Loop: Header=BB1983_696 Depth=2
	v_lshlrev_b32_e32 v2, 2, v129
	v_add_nc_u32_e32 v36, v79, v81
	ds_load_b32 v2, v2
	ds_load_b64 v[36:37], v36 offset:30720
	s_waitcnt lgkmcnt(1)
	v_add_nc_u32_e32 v2, v2, v63
	s_delay_alu instid0(VALU_DEP_1) | instskip(NEXT) | instid1(VALU_DEP_1)
	v_lshlrev_b64 v[39:40], 3, v[2:3]
	v_add_co_u32 v39, vcc_lo, s44, v39
	s_delay_alu instid0(VALU_DEP_2)
	v_add_co_ci_u32_e32 v40, vcc_lo, s45, v40, vcc_lo
	s_waitcnt lgkmcnt(0)
	global_store_b64 v[39:40], v[36:37], off
.LBB1983_902:                           ;   in Loop: Header=BB1983_696 Depth=2
	s_or_b32 exec_lo, exec_lo, s17
	s_waitcnt_vscnt null, 0x0
	s_barrier
	buffer_gl0_inv
	s_and_saveexec_b32 s17, s2
	s_cbranch_execz .LBB1983_695
; %bb.903:                              ;   in Loop: Header=BB1983_696 Depth=2
	ds_load_b32 v2, v44
	s_waitcnt lgkmcnt(0)
	v_add_nc_u32_e32 v2, v2, v38
	ds_store_b32 v44, v2
	s_branch .LBB1983_695
.LBB1983_904:                           ;   in Loop: Header=BB1983_20 Depth=1
	s_waitcnt lgkmcnt(0)
	s_mov_b32 s0, 0
	s_barrier
.LBB1983_905:                           ;   in Loop: Header=BB1983_20 Depth=1
	s_and_b32 vcc_lo, exec_lo, s0
	s_cbranch_vccz .LBB1983_19
; %bb.906:                              ;   in Loop: Header=BB1983_20 Depth=1
	s_mov_b32 s8, s54
	s_mov_b32 s34, s52
	s_barrier
	buffer_gl0_inv
                                        ; implicit-def: $vgpr20
                                        ; implicit-def: $vgpr2
                                        ; implicit-def: $vgpr6
                                        ; implicit-def: $vgpr7
                                        ; implicit-def: $vgpr8
                                        ; implicit-def: $vgpr9
                                        ; implicit-def: $vgpr10
                                        ; implicit-def: $vgpr11
                                        ; implicit-def: $vgpr12
                                        ; implicit-def: $vgpr13
                                        ; implicit-def: $vgpr14
                                        ; implicit-def: $vgpr15
                                        ; implicit-def: $vgpr16
                                        ; implicit-def: $vgpr17
                                        ; implicit-def: $vgpr18
                                        ; implicit-def: $vgpr19
	s_branch .LBB1983_908
.LBB1983_907:                           ;   in Loop: Header=BB1983_908 Depth=2
	s_or_b32 exec_lo, exec_lo, s0
	s_addk_i32 s8, 0xf000
	s_cmp_ge_u32 s9, s53
	s_mov_b32 s34, s9
	s_cbranch_scc1 .LBB1983_978
.LBB1983_908:                           ;   Parent Loop BB1983_20 Depth=1
                                        ; =>  This Inner Loop Header: Depth=2
	s_add_i32 s9, s34, 0x1000
	s_delay_alu instid0(SALU_CYCLE_1)
	s_cmp_gt_u32 s9, s53
	s_cbranch_scc1 .LBB1983_911
; %bb.909:                              ;   in Loop: Header=BB1983_908 Depth=2
	s_mov_b32 s1, 0
	s_mov_b32 s0, s34
	s_delay_alu instid0(SALU_CYCLE_1) | instskip(NEXT) | instid1(SALU_CYCLE_1)
	s_lshl_b64 s[10:11], s[0:1], 1
	v_add_co_u32 v4, vcc_lo, v88, s10
	v_add_co_ci_u32_e32 v5, vcc_lo, s11, v89, vcc_lo
	s_movk_i32 s11, 0x1000
	s_waitcnt vmcnt(0)
	s_delay_alu instid0(VALU_DEP_2) | instskip(NEXT) | instid1(VALU_DEP_2)
	v_add_co_u32 v36, vcc_lo, 0x1000, v4
	v_add_co_ci_u32_e32 v37, vcc_lo, 0, v5, vcc_lo
	s_clause 0xe
	global_load_u16 v22, v[4:5], off
	global_load_u16 v23, v[4:5], off offset:512
	global_load_u16 v24, v[4:5], off offset:1024
	;; [unrolled: 1-line block ×7, first 2 shown]
	global_load_u16 v30, v[36:37], off
	global_load_u16 v31, v[36:37], off offset:512
	global_load_u16 v32, v[36:37], off offset:1024
	;; [unrolled: 1-line block ×6, first 2 shown]
	v_add_co_u32 v4, vcc_lo, 0x1e00, v4
	v_add_co_ci_u32_e32 v5, vcc_lo, 0, v5, vcc_lo
	s_mov_b32 s10, -1
	s_cbranch_execz .LBB1983_912
; %bb.910:                              ;   in Loop: Header=BB1983_908 Depth=2
                                        ; implicit-def: $vgpr19
                                        ; implicit-def: $vgpr18
                                        ; implicit-def: $vgpr17
                                        ; implicit-def: $vgpr16
                                        ; implicit-def: $vgpr15
                                        ; implicit-def: $vgpr14
                                        ; implicit-def: $vgpr13
                                        ; implicit-def: $vgpr12
                                        ; implicit-def: $vgpr11
                                        ; implicit-def: $vgpr10
                                        ; implicit-def: $vgpr9
                                        ; implicit-def: $vgpr8
                                        ; implicit-def: $vgpr7
                                        ; implicit-def: $vgpr6
                                        ; implicit-def: $vgpr2
                                        ; implicit-def: $vgpr20
	v_mov_b32_e32 v21, s8
	s_and_saveexec_b32 s0, s10
	s_cbranch_execnz .LBB1983_931
	s_branch .LBB1983_932
.LBB1983_911:                           ;   in Loop: Header=BB1983_908 Depth=2
	s_mov_b32 s10, 0
                                        ; implicit-def: $sgpr11
                                        ; implicit-def: $vgpr22
                                        ; implicit-def: $vgpr23
                                        ; implicit-def: $vgpr24
                                        ; implicit-def: $vgpr25
                                        ; implicit-def: $vgpr26
                                        ; implicit-def: $vgpr27
                                        ; implicit-def: $vgpr28
                                        ; implicit-def: $vgpr29
                                        ; implicit-def: $vgpr30
                                        ; implicit-def: $vgpr31
                                        ; implicit-def: $vgpr32
                                        ; implicit-def: $vgpr33
                                        ; implicit-def: $vgpr34
                                        ; implicit-def: $vgpr35
                                        ; implicit-def: $vgpr36
                                        ; implicit-def: $vgpr4_vgpr5
.LBB1983_912:                           ;   in Loop: Header=BB1983_908 Depth=2
	s_lshl_b64 s[0:1], s[34:35], 1
	s_mov_b32 s11, exec_lo
	s_add_u32 s0, s36, s0
	s_addc_u32 s1, s37, s1
	v_cmpx_gt_u32_e64 s8, v1
	s_cbranch_execz .LBB1983_964
; %bb.913:                              ;   in Loop: Header=BB1983_908 Depth=2
	global_load_u16 v19, v95, s[0:1]
	s_or_b32 exec_lo, exec_lo, s11
	s_delay_alu instid0(SALU_CYCLE_1)
	s_mov_b32 s11, exec_lo
	v_cmpx_gt_u32_e64 s8, v45
	s_cbranch_execnz .LBB1983_965
.LBB1983_914:                           ;   in Loop: Header=BB1983_908 Depth=2
	s_or_b32 exec_lo, exec_lo, s11
	s_delay_alu instid0(SALU_CYCLE_1)
	s_mov_b32 s11, exec_lo
	v_cmpx_gt_u32_e64 s8, v46
	s_cbranch_execz .LBB1983_966
.LBB1983_915:                           ;   in Loop: Header=BB1983_908 Depth=2
	global_load_u16 v17, v95, s[0:1] offset:1024
	s_or_b32 exec_lo, exec_lo, s11
	s_delay_alu instid0(SALU_CYCLE_1)
	s_mov_b32 s11, exec_lo
	v_cmpx_gt_u32_e64 s8, v47
	s_cbranch_execnz .LBB1983_967
.LBB1983_916:                           ;   in Loop: Header=BB1983_908 Depth=2
	s_or_b32 exec_lo, exec_lo, s11
	s_delay_alu instid0(SALU_CYCLE_1)
	s_mov_b32 s11, exec_lo
	v_cmpx_gt_u32_e64 s8, v51
	s_cbranch_execz .LBB1983_968
.LBB1983_917:                           ;   in Loop: Header=BB1983_908 Depth=2
	global_load_u16 v15, v95, s[0:1] offset:2048
	s_or_b32 exec_lo, exec_lo, s11
	s_delay_alu instid0(SALU_CYCLE_1)
	s_mov_b32 s11, exec_lo
	v_cmpx_gt_u32_e64 s8, v52
	s_cbranch_execnz .LBB1983_969
.LBB1983_918:                           ;   in Loop: Header=BB1983_908 Depth=2
	s_or_b32 exec_lo, exec_lo, s11
	s_delay_alu instid0(SALU_CYCLE_1)
	s_mov_b32 s11, exec_lo
	v_cmpx_gt_u32_e64 s8, v53
	s_cbranch_execz .LBB1983_970
.LBB1983_919:                           ;   in Loop: Header=BB1983_908 Depth=2
	global_load_u16 v13, v95, s[0:1] offset:3072
	s_or_b32 exec_lo, exec_lo, s11
	s_delay_alu instid0(SALU_CYCLE_1)
	s_mov_b32 s11, exec_lo
	v_cmpx_gt_u32_e64 s8, v54
	s_cbranch_execnz .LBB1983_971
.LBB1983_920:                           ;   in Loop: Header=BB1983_908 Depth=2
	s_or_b32 exec_lo, exec_lo, s11
	s_delay_alu instid0(SALU_CYCLE_1)
	s_mov_b32 s11, exec_lo
	v_cmpx_gt_u32_e64 s8, v55
	s_cbranch_execz .LBB1983_972
.LBB1983_921:                           ;   in Loop: Header=BB1983_908 Depth=2
	global_load_u16 v11, v96, s[0:1]
	s_or_b32 exec_lo, exec_lo, s11
	s_delay_alu instid0(SALU_CYCLE_1)
	s_mov_b32 s11, exec_lo
	v_cmpx_gt_u32_e64 s8, v56
	s_cbranch_execnz .LBB1983_973
.LBB1983_922:                           ;   in Loop: Header=BB1983_908 Depth=2
	s_or_b32 exec_lo, exec_lo, s11
	s_delay_alu instid0(SALU_CYCLE_1)
	s_mov_b32 s11, exec_lo
	v_cmpx_gt_u32_e64 s8, v57
	s_cbranch_execz .LBB1983_974
.LBB1983_923:                           ;   in Loop: Header=BB1983_908 Depth=2
	global_load_u16 v9, v98, s[0:1]
	s_or_b32 exec_lo, exec_lo, s11
	s_delay_alu instid0(SALU_CYCLE_1)
	s_mov_b32 s11, exec_lo
	v_cmpx_gt_u32_e64 s8, v58
	s_cbranch_execnz .LBB1983_975
.LBB1983_924:                           ;   in Loop: Header=BB1983_908 Depth=2
	s_or_b32 exec_lo, exec_lo, s11
	s_delay_alu instid0(SALU_CYCLE_1)
	s_mov_b32 s11, exec_lo
	v_cmpx_gt_u32_e64 s8, v59
	s_cbranch_execz .LBB1983_976
.LBB1983_925:                           ;   in Loop: Header=BB1983_908 Depth=2
	global_load_u16 v7, v100, s[0:1]
	s_or_b32 exec_lo, exec_lo, s11
	s_delay_alu instid0(SALU_CYCLE_1)
	s_mov_b32 s11, exec_lo
	v_cmpx_gt_u32_e64 s8, v60
	s_cbranch_execnz .LBB1983_977
.LBB1983_926:                           ;   in Loop: Header=BB1983_908 Depth=2
	s_or_b32 exec_lo, exec_lo, s11
	s_delay_alu instid0(SALU_CYCLE_1)
	s_mov_b32 s11, exec_lo
	v_cmpx_gt_u32_e64 s8, v61
	s_cbranch_execz .LBB1983_928
.LBB1983_927:                           ;   in Loop: Header=BB1983_908 Depth=2
	global_load_u16 v2, v102, s[0:1]
.LBB1983_928:                           ;   in Loop: Header=BB1983_908 Depth=2
	s_or_b32 exec_lo, exec_lo, s11
	s_delay_alu instid0(SALU_CYCLE_1)
	s_mov_b32 s12, exec_lo
                                        ; implicit-def: $sgpr11
                                        ; implicit-def: $vgpr4_vgpr5
	v_cmpx_gt_u32_e64 s8, v63
; %bb.929:                              ;   in Loop: Header=BB1983_908 Depth=2
	v_add_co_u32 v4, s0, s0, v103
	s_delay_alu instid0(VALU_DEP_1)
	v_add_co_ci_u32_e64 v5, null, s1, 0, s0
	s_sub_i32 s11, s53, s34
	s_or_b32 s10, s10, exec_lo
                                        ; implicit-def: $vgpr20
; %bb.930:                              ;   in Loop: Header=BB1983_908 Depth=2
	s_or_b32 exec_lo, exec_lo, s12
	s_waitcnt vmcnt(0)
	v_dual_mov_b32 v22, v19 :: v_dual_mov_b32 v23, v18
	v_dual_mov_b32 v24, v17 :: v_dual_mov_b32 v25, v16
	;; [unrolled: 1-line block ×8, first 2 shown]
	s_and_saveexec_b32 s0, s10
	s_cbranch_execz .LBB1983_932
.LBB1983_931:                           ;   in Loop: Header=BB1983_908 Depth=2
	global_load_u16 v20, v[4:5], off
	s_waitcnt vmcnt(1)
	v_dual_mov_b32 v21, s11 :: v_dual_mov_b32 v2, v36
	v_dual_mov_b32 v6, v35 :: v_dual_mov_b32 v7, v34
	;; [unrolled: 1-line block ×8, first 2 shown]
.LBB1983_932:                           ;   in Loop: Header=BB1983_908 Depth=2
	s_or_b32 exec_lo, exec_lo, s0
	v_lshlrev_b32_e32 v4, 2, v48
	s_mov_b32 s0, exec_lo
	v_cmpx_lt_u32_e64 v1, v21
	s_cbranch_execz .LBB1983_948
; %bb.933:                              ;   in Loop: Header=BB1983_908 Depth=2
	v_cmp_gt_i16_e32 vcc_lo, 0, v19
	v_cndmask_b32_e64 v5, 0x7fff, 0, vcc_lo
	s_delay_alu instid0(VALU_DEP_1) | instskip(NEXT) | instid1(VALU_DEP_1)
	v_xor_b32_e32 v5, v5, v19
	v_cmp_ne_u16_e32 vcc_lo, 0x8000, v5
	v_cndmask_b32_e32 v5, 0x7fff, v5, vcc_lo
	s_delay_alu instid0(VALU_DEP_1) | instskip(NEXT) | instid1(VALU_DEP_1)
	v_and_b32_e32 v5, 0xffff, v5
	v_lshrrev_b32_e32 v5, s49, v5
	s_delay_alu instid0(VALU_DEP_1) | instskip(NEXT) | instid1(VALU_DEP_1)
	v_and_b32_e32 v5, s55, v5
	v_lshl_or_b32 v5, v5, 4, v4
	ds_add_u32 v5, v94
	s_or_b32 exec_lo, exec_lo, s0
	s_delay_alu instid0(SALU_CYCLE_1)
	s_mov_b32 s0, exec_lo
	v_cmpx_lt_u32_e64 v45, v21
	s_cbranch_execnz .LBB1983_949
.LBB1983_934:                           ;   in Loop: Header=BB1983_908 Depth=2
	s_or_b32 exec_lo, exec_lo, s0
	s_delay_alu instid0(SALU_CYCLE_1)
	s_mov_b32 s0, exec_lo
	v_cmpx_lt_u32_e64 v46, v21
	s_cbranch_execz .LBB1983_950
.LBB1983_935:                           ;   in Loop: Header=BB1983_908 Depth=2
	v_cmp_gt_i16_e32 vcc_lo, 0, v17
	v_cndmask_b32_e64 v5, 0x7fff, 0, vcc_lo
	s_delay_alu instid0(VALU_DEP_1) | instskip(NEXT) | instid1(VALU_DEP_1)
	v_xor_b32_e32 v5, v5, v17
	v_cmp_ne_u16_e32 vcc_lo, 0x8000, v5
	v_cndmask_b32_e32 v5, 0x7fff, v5, vcc_lo
	s_delay_alu instid0(VALU_DEP_1) | instskip(NEXT) | instid1(VALU_DEP_1)
	v_and_b32_e32 v5, 0xffff, v5
	v_lshrrev_b32_e32 v5, s49, v5
	s_delay_alu instid0(VALU_DEP_1) | instskip(NEXT) | instid1(VALU_DEP_1)
	v_and_b32_e32 v5, s55, v5
	v_lshl_or_b32 v5, v5, 4, v4
	ds_add_u32 v5, v94
	s_or_b32 exec_lo, exec_lo, s0
	s_delay_alu instid0(SALU_CYCLE_1)
	s_mov_b32 s0, exec_lo
	v_cmpx_lt_u32_e64 v47, v21
	s_cbranch_execnz .LBB1983_951
.LBB1983_936:                           ;   in Loop: Header=BB1983_908 Depth=2
	s_or_b32 exec_lo, exec_lo, s0
	s_delay_alu instid0(SALU_CYCLE_1)
	s_mov_b32 s0, exec_lo
	v_cmpx_lt_u32_e64 v51, v21
	s_cbranch_execz .LBB1983_952
.LBB1983_937:                           ;   in Loop: Header=BB1983_908 Depth=2
	v_cmp_gt_i16_e32 vcc_lo, 0, v15
	v_cndmask_b32_e64 v5, 0x7fff, 0, vcc_lo
	s_delay_alu instid0(VALU_DEP_1) | instskip(NEXT) | instid1(VALU_DEP_1)
	v_xor_b32_e32 v5, v5, v15
	v_cmp_ne_u16_e32 vcc_lo, 0x8000, v5
	v_cndmask_b32_e32 v5, 0x7fff, v5, vcc_lo
	s_delay_alu instid0(VALU_DEP_1) | instskip(NEXT) | instid1(VALU_DEP_1)
	v_and_b32_e32 v5, 0xffff, v5
	v_lshrrev_b32_e32 v5, s49, v5
	s_delay_alu instid0(VALU_DEP_1) | instskip(NEXT) | instid1(VALU_DEP_1)
	v_and_b32_e32 v5, s55, v5
	v_lshl_or_b32 v5, v5, 4, v4
	ds_add_u32 v5, v94
	s_or_b32 exec_lo, exec_lo, s0
	s_delay_alu instid0(SALU_CYCLE_1)
	s_mov_b32 s0, exec_lo
	v_cmpx_lt_u32_e64 v52, v21
	s_cbranch_execnz .LBB1983_953
.LBB1983_938:                           ;   in Loop: Header=BB1983_908 Depth=2
	s_or_b32 exec_lo, exec_lo, s0
	s_delay_alu instid0(SALU_CYCLE_1)
	s_mov_b32 s0, exec_lo
	v_cmpx_lt_u32_e64 v53, v21
	s_cbranch_execz .LBB1983_954
.LBB1983_939:                           ;   in Loop: Header=BB1983_908 Depth=2
	v_cmp_gt_i16_e32 vcc_lo, 0, v13
	v_cndmask_b32_e64 v5, 0x7fff, 0, vcc_lo
	s_delay_alu instid0(VALU_DEP_1) | instskip(NEXT) | instid1(VALU_DEP_1)
	v_xor_b32_e32 v5, v5, v13
	v_cmp_ne_u16_e32 vcc_lo, 0x8000, v5
	v_cndmask_b32_e32 v5, 0x7fff, v5, vcc_lo
	s_delay_alu instid0(VALU_DEP_1) | instskip(NEXT) | instid1(VALU_DEP_1)
	v_and_b32_e32 v5, 0xffff, v5
	v_lshrrev_b32_e32 v5, s49, v5
	s_delay_alu instid0(VALU_DEP_1) | instskip(NEXT) | instid1(VALU_DEP_1)
	v_and_b32_e32 v5, s55, v5
	v_lshl_or_b32 v5, v5, 4, v4
	ds_add_u32 v5, v94
	s_or_b32 exec_lo, exec_lo, s0
	s_delay_alu instid0(SALU_CYCLE_1)
	s_mov_b32 s0, exec_lo
	v_cmpx_lt_u32_e64 v54, v21
	s_cbranch_execnz .LBB1983_955
.LBB1983_940:                           ;   in Loop: Header=BB1983_908 Depth=2
	s_or_b32 exec_lo, exec_lo, s0
	s_delay_alu instid0(SALU_CYCLE_1)
	s_mov_b32 s0, exec_lo
	v_cmpx_lt_u32_e64 v55, v21
	s_cbranch_execz .LBB1983_956
.LBB1983_941:                           ;   in Loop: Header=BB1983_908 Depth=2
	v_cmp_gt_i16_e32 vcc_lo, 0, v11
	v_cndmask_b32_e64 v5, 0x7fff, 0, vcc_lo
	s_delay_alu instid0(VALU_DEP_1) | instskip(NEXT) | instid1(VALU_DEP_1)
	v_xor_b32_e32 v5, v5, v11
	v_cmp_ne_u16_e32 vcc_lo, 0x8000, v5
	v_cndmask_b32_e32 v5, 0x7fff, v5, vcc_lo
	s_delay_alu instid0(VALU_DEP_1) | instskip(NEXT) | instid1(VALU_DEP_1)
	v_and_b32_e32 v5, 0xffff, v5
	v_lshrrev_b32_e32 v5, s49, v5
	s_delay_alu instid0(VALU_DEP_1) | instskip(NEXT) | instid1(VALU_DEP_1)
	v_and_b32_e32 v5, s55, v5
	v_lshl_or_b32 v5, v5, 4, v4
	ds_add_u32 v5, v94
	s_or_b32 exec_lo, exec_lo, s0
	s_delay_alu instid0(SALU_CYCLE_1)
	s_mov_b32 s0, exec_lo
	v_cmpx_lt_u32_e64 v56, v21
	s_cbranch_execnz .LBB1983_957
.LBB1983_942:                           ;   in Loop: Header=BB1983_908 Depth=2
	s_or_b32 exec_lo, exec_lo, s0
	s_delay_alu instid0(SALU_CYCLE_1)
	s_mov_b32 s0, exec_lo
	v_cmpx_lt_u32_e64 v57, v21
	s_cbranch_execz .LBB1983_958
.LBB1983_943:                           ;   in Loop: Header=BB1983_908 Depth=2
	v_cmp_gt_i16_e32 vcc_lo, 0, v9
	v_cndmask_b32_e64 v5, 0x7fff, 0, vcc_lo
	s_delay_alu instid0(VALU_DEP_1) | instskip(NEXT) | instid1(VALU_DEP_1)
	v_xor_b32_e32 v5, v5, v9
	v_cmp_ne_u16_e32 vcc_lo, 0x8000, v5
	v_cndmask_b32_e32 v5, 0x7fff, v5, vcc_lo
	s_delay_alu instid0(VALU_DEP_1) | instskip(NEXT) | instid1(VALU_DEP_1)
	v_and_b32_e32 v5, 0xffff, v5
	v_lshrrev_b32_e32 v5, s49, v5
	s_delay_alu instid0(VALU_DEP_1) | instskip(NEXT) | instid1(VALU_DEP_1)
	v_and_b32_e32 v5, s55, v5
	v_lshl_or_b32 v5, v5, 4, v4
	ds_add_u32 v5, v94
	s_or_b32 exec_lo, exec_lo, s0
	s_delay_alu instid0(SALU_CYCLE_1)
	s_mov_b32 s0, exec_lo
	v_cmpx_lt_u32_e64 v58, v21
	s_cbranch_execnz .LBB1983_959
.LBB1983_944:                           ;   in Loop: Header=BB1983_908 Depth=2
	s_or_b32 exec_lo, exec_lo, s0
	s_delay_alu instid0(SALU_CYCLE_1)
	s_mov_b32 s0, exec_lo
	v_cmpx_lt_u32_e64 v59, v21
	s_cbranch_execz .LBB1983_960
.LBB1983_945:                           ;   in Loop: Header=BB1983_908 Depth=2
	v_cmp_gt_i16_e32 vcc_lo, 0, v7
	v_cndmask_b32_e64 v5, 0x7fff, 0, vcc_lo
	s_delay_alu instid0(VALU_DEP_1) | instskip(NEXT) | instid1(VALU_DEP_1)
	v_xor_b32_e32 v5, v5, v7
	v_cmp_ne_u16_e32 vcc_lo, 0x8000, v5
	v_cndmask_b32_e32 v5, 0x7fff, v5, vcc_lo
	s_delay_alu instid0(VALU_DEP_1) | instskip(NEXT) | instid1(VALU_DEP_1)
	v_and_b32_e32 v5, 0xffff, v5
	v_lshrrev_b32_e32 v5, s49, v5
	s_delay_alu instid0(VALU_DEP_1) | instskip(NEXT) | instid1(VALU_DEP_1)
	v_and_b32_e32 v5, s55, v5
	v_lshl_or_b32 v5, v5, 4, v4
	ds_add_u32 v5, v94
	s_or_b32 exec_lo, exec_lo, s0
	s_delay_alu instid0(SALU_CYCLE_1)
	s_mov_b32 s0, exec_lo
	v_cmpx_lt_u32_e64 v60, v21
	s_cbranch_execnz .LBB1983_961
.LBB1983_946:                           ;   in Loop: Header=BB1983_908 Depth=2
	s_or_b32 exec_lo, exec_lo, s0
	s_delay_alu instid0(SALU_CYCLE_1)
	s_mov_b32 s0, exec_lo
	v_cmpx_lt_u32_e64 v61, v21
	s_cbranch_execz .LBB1983_962
.LBB1983_947:                           ;   in Loop: Header=BB1983_908 Depth=2
	v_cmp_gt_i16_e32 vcc_lo, 0, v2
	v_cndmask_b32_e64 v5, 0x7fff, 0, vcc_lo
	s_delay_alu instid0(VALU_DEP_1) | instskip(NEXT) | instid1(VALU_DEP_1)
	v_xor_b32_e32 v5, v5, v2
	v_cmp_ne_u16_e32 vcc_lo, 0x8000, v5
	v_cndmask_b32_e32 v5, 0x7fff, v5, vcc_lo
	s_delay_alu instid0(VALU_DEP_1) | instskip(NEXT) | instid1(VALU_DEP_1)
	v_and_b32_e32 v5, 0xffff, v5
	v_lshrrev_b32_e32 v5, s49, v5
	s_delay_alu instid0(VALU_DEP_1) | instskip(NEXT) | instid1(VALU_DEP_1)
	v_and_b32_e32 v5, s55, v5
	v_lshl_or_b32 v5, v5, 4, v4
	ds_add_u32 v5, v94
	s_or_b32 exec_lo, exec_lo, s0
	s_delay_alu instid0(SALU_CYCLE_1)
	s_mov_b32 s0, exec_lo
	v_cmpx_lt_u32_e64 v63, v21
	s_cbranch_execz .LBB1983_907
	s_branch .LBB1983_963
.LBB1983_948:                           ;   in Loop: Header=BB1983_908 Depth=2
	s_or_b32 exec_lo, exec_lo, s0
	s_delay_alu instid0(SALU_CYCLE_1)
	s_mov_b32 s0, exec_lo
	v_cmpx_lt_u32_e64 v45, v21
	s_cbranch_execz .LBB1983_934
.LBB1983_949:                           ;   in Loop: Header=BB1983_908 Depth=2
	v_cmp_gt_i16_e32 vcc_lo, 0, v18
	v_cndmask_b32_e64 v5, 0x7fff, 0, vcc_lo
	s_delay_alu instid0(VALU_DEP_1) | instskip(NEXT) | instid1(VALU_DEP_1)
	v_xor_b32_e32 v5, v5, v18
	v_cmp_ne_u16_e32 vcc_lo, 0x8000, v5
	v_cndmask_b32_e32 v5, 0x7fff, v5, vcc_lo
	s_delay_alu instid0(VALU_DEP_1) | instskip(NEXT) | instid1(VALU_DEP_1)
	v_and_b32_e32 v5, 0xffff, v5
	v_lshrrev_b32_e32 v5, s49, v5
	s_delay_alu instid0(VALU_DEP_1) | instskip(NEXT) | instid1(VALU_DEP_1)
	v_and_b32_e32 v5, s55, v5
	v_lshl_or_b32 v5, v5, 4, v4
	ds_add_u32 v5, v94
	s_or_b32 exec_lo, exec_lo, s0
	s_delay_alu instid0(SALU_CYCLE_1)
	s_mov_b32 s0, exec_lo
	v_cmpx_lt_u32_e64 v46, v21
	s_cbranch_execnz .LBB1983_935
.LBB1983_950:                           ;   in Loop: Header=BB1983_908 Depth=2
	s_or_b32 exec_lo, exec_lo, s0
	s_delay_alu instid0(SALU_CYCLE_1)
	s_mov_b32 s0, exec_lo
	v_cmpx_lt_u32_e64 v47, v21
	s_cbranch_execz .LBB1983_936
.LBB1983_951:                           ;   in Loop: Header=BB1983_908 Depth=2
	v_cmp_gt_i16_e32 vcc_lo, 0, v16
	v_cndmask_b32_e64 v5, 0x7fff, 0, vcc_lo
	s_delay_alu instid0(VALU_DEP_1) | instskip(NEXT) | instid1(VALU_DEP_1)
	v_xor_b32_e32 v5, v5, v16
	v_cmp_ne_u16_e32 vcc_lo, 0x8000, v5
	v_cndmask_b32_e32 v5, 0x7fff, v5, vcc_lo
	s_delay_alu instid0(VALU_DEP_1) | instskip(NEXT) | instid1(VALU_DEP_1)
	v_and_b32_e32 v5, 0xffff, v5
	v_lshrrev_b32_e32 v5, s49, v5
	s_delay_alu instid0(VALU_DEP_1) | instskip(NEXT) | instid1(VALU_DEP_1)
	v_and_b32_e32 v5, s55, v5
	v_lshl_or_b32 v5, v5, 4, v4
	ds_add_u32 v5, v94
	s_or_b32 exec_lo, exec_lo, s0
	s_delay_alu instid0(SALU_CYCLE_1)
	s_mov_b32 s0, exec_lo
	v_cmpx_lt_u32_e64 v51, v21
	s_cbranch_execnz .LBB1983_937
.LBB1983_952:                           ;   in Loop: Header=BB1983_908 Depth=2
	s_or_b32 exec_lo, exec_lo, s0
	s_delay_alu instid0(SALU_CYCLE_1)
	s_mov_b32 s0, exec_lo
	v_cmpx_lt_u32_e64 v52, v21
	s_cbranch_execz .LBB1983_938
.LBB1983_953:                           ;   in Loop: Header=BB1983_908 Depth=2
	v_cmp_gt_i16_e32 vcc_lo, 0, v14
	v_cndmask_b32_e64 v5, 0x7fff, 0, vcc_lo
	s_delay_alu instid0(VALU_DEP_1) | instskip(NEXT) | instid1(VALU_DEP_1)
	v_xor_b32_e32 v5, v5, v14
	v_cmp_ne_u16_e32 vcc_lo, 0x8000, v5
	v_cndmask_b32_e32 v5, 0x7fff, v5, vcc_lo
	s_delay_alu instid0(VALU_DEP_1) | instskip(NEXT) | instid1(VALU_DEP_1)
	v_and_b32_e32 v5, 0xffff, v5
	v_lshrrev_b32_e32 v5, s49, v5
	s_delay_alu instid0(VALU_DEP_1) | instskip(NEXT) | instid1(VALU_DEP_1)
	v_and_b32_e32 v5, s55, v5
	v_lshl_or_b32 v5, v5, 4, v4
	ds_add_u32 v5, v94
	s_or_b32 exec_lo, exec_lo, s0
	s_delay_alu instid0(SALU_CYCLE_1)
	s_mov_b32 s0, exec_lo
	v_cmpx_lt_u32_e64 v53, v21
	s_cbranch_execnz .LBB1983_939
.LBB1983_954:                           ;   in Loop: Header=BB1983_908 Depth=2
	s_or_b32 exec_lo, exec_lo, s0
	s_delay_alu instid0(SALU_CYCLE_1)
	s_mov_b32 s0, exec_lo
	v_cmpx_lt_u32_e64 v54, v21
	s_cbranch_execz .LBB1983_940
.LBB1983_955:                           ;   in Loop: Header=BB1983_908 Depth=2
	v_cmp_gt_i16_e32 vcc_lo, 0, v12
	v_cndmask_b32_e64 v5, 0x7fff, 0, vcc_lo
	s_delay_alu instid0(VALU_DEP_1) | instskip(NEXT) | instid1(VALU_DEP_1)
	v_xor_b32_e32 v5, v5, v12
	v_cmp_ne_u16_e32 vcc_lo, 0x8000, v5
	v_cndmask_b32_e32 v5, 0x7fff, v5, vcc_lo
	s_delay_alu instid0(VALU_DEP_1) | instskip(NEXT) | instid1(VALU_DEP_1)
	v_and_b32_e32 v5, 0xffff, v5
	v_lshrrev_b32_e32 v5, s49, v5
	s_delay_alu instid0(VALU_DEP_1) | instskip(NEXT) | instid1(VALU_DEP_1)
	v_and_b32_e32 v5, s55, v5
	v_lshl_or_b32 v5, v5, 4, v4
	ds_add_u32 v5, v94
	s_or_b32 exec_lo, exec_lo, s0
	s_delay_alu instid0(SALU_CYCLE_1)
	s_mov_b32 s0, exec_lo
	v_cmpx_lt_u32_e64 v55, v21
	s_cbranch_execnz .LBB1983_941
.LBB1983_956:                           ;   in Loop: Header=BB1983_908 Depth=2
	s_or_b32 exec_lo, exec_lo, s0
	s_delay_alu instid0(SALU_CYCLE_1)
	s_mov_b32 s0, exec_lo
	v_cmpx_lt_u32_e64 v56, v21
	s_cbranch_execz .LBB1983_942
.LBB1983_957:                           ;   in Loop: Header=BB1983_908 Depth=2
	v_cmp_gt_i16_e32 vcc_lo, 0, v10
	v_cndmask_b32_e64 v5, 0x7fff, 0, vcc_lo
	s_delay_alu instid0(VALU_DEP_1) | instskip(NEXT) | instid1(VALU_DEP_1)
	v_xor_b32_e32 v5, v5, v10
	v_cmp_ne_u16_e32 vcc_lo, 0x8000, v5
	v_cndmask_b32_e32 v5, 0x7fff, v5, vcc_lo
	s_delay_alu instid0(VALU_DEP_1) | instskip(NEXT) | instid1(VALU_DEP_1)
	v_and_b32_e32 v5, 0xffff, v5
	v_lshrrev_b32_e32 v5, s49, v5
	s_delay_alu instid0(VALU_DEP_1) | instskip(NEXT) | instid1(VALU_DEP_1)
	v_and_b32_e32 v5, s55, v5
	v_lshl_or_b32 v5, v5, 4, v4
	ds_add_u32 v5, v94
	s_or_b32 exec_lo, exec_lo, s0
	s_delay_alu instid0(SALU_CYCLE_1)
	s_mov_b32 s0, exec_lo
	v_cmpx_lt_u32_e64 v57, v21
	s_cbranch_execnz .LBB1983_943
.LBB1983_958:                           ;   in Loop: Header=BB1983_908 Depth=2
	s_or_b32 exec_lo, exec_lo, s0
	s_delay_alu instid0(SALU_CYCLE_1)
	s_mov_b32 s0, exec_lo
	v_cmpx_lt_u32_e64 v58, v21
	s_cbranch_execz .LBB1983_944
.LBB1983_959:                           ;   in Loop: Header=BB1983_908 Depth=2
	v_cmp_gt_i16_e32 vcc_lo, 0, v8
	v_cndmask_b32_e64 v5, 0x7fff, 0, vcc_lo
	s_delay_alu instid0(VALU_DEP_1) | instskip(NEXT) | instid1(VALU_DEP_1)
	v_xor_b32_e32 v5, v5, v8
	v_cmp_ne_u16_e32 vcc_lo, 0x8000, v5
	v_cndmask_b32_e32 v5, 0x7fff, v5, vcc_lo
	s_delay_alu instid0(VALU_DEP_1) | instskip(NEXT) | instid1(VALU_DEP_1)
	v_and_b32_e32 v5, 0xffff, v5
	v_lshrrev_b32_e32 v5, s49, v5
	s_delay_alu instid0(VALU_DEP_1) | instskip(NEXT) | instid1(VALU_DEP_1)
	v_and_b32_e32 v5, s55, v5
	v_lshl_or_b32 v5, v5, 4, v4
	ds_add_u32 v5, v94
	s_or_b32 exec_lo, exec_lo, s0
	s_delay_alu instid0(SALU_CYCLE_1)
	s_mov_b32 s0, exec_lo
	v_cmpx_lt_u32_e64 v59, v21
	s_cbranch_execnz .LBB1983_945
.LBB1983_960:                           ;   in Loop: Header=BB1983_908 Depth=2
	s_or_b32 exec_lo, exec_lo, s0
	s_delay_alu instid0(SALU_CYCLE_1)
	s_mov_b32 s0, exec_lo
	v_cmpx_lt_u32_e64 v60, v21
	s_cbranch_execz .LBB1983_946
.LBB1983_961:                           ;   in Loop: Header=BB1983_908 Depth=2
	v_cmp_gt_i16_e32 vcc_lo, 0, v6
	v_cndmask_b32_e64 v5, 0x7fff, 0, vcc_lo
	s_delay_alu instid0(VALU_DEP_1) | instskip(NEXT) | instid1(VALU_DEP_1)
	v_xor_b32_e32 v5, v5, v6
	v_cmp_ne_u16_e32 vcc_lo, 0x8000, v5
	v_cndmask_b32_e32 v5, 0x7fff, v5, vcc_lo
	s_delay_alu instid0(VALU_DEP_1) | instskip(NEXT) | instid1(VALU_DEP_1)
	v_and_b32_e32 v5, 0xffff, v5
	v_lshrrev_b32_e32 v5, s49, v5
	s_delay_alu instid0(VALU_DEP_1) | instskip(NEXT) | instid1(VALU_DEP_1)
	v_and_b32_e32 v5, s55, v5
	v_lshl_or_b32 v5, v5, 4, v4
	ds_add_u32 v5, v94
	s_or_b32 exec_lo, exec_lo, s0
	s_delay_alu instid0(SALU_CYCLE_1)
	s_mov_b32 s0, exec_lo
	v_cmpx_lt_u32_e64 v61, v21
	s_cbranch_execnz .LBB1983_947
.LBB1983_962:                           ;   in Loop: Header=BB1983_908 Depth=2
	s_or_b32 exec_lo, exec_lo, s0
	s_delay_alu instid0(SALU_CYCLE_1)
	s_mov_b32 s0, exec_lo
	v_cmpx_lt_u32_e64 v63, v21
	s_cbranch_execz .LBB1983_907
.LBB1983_963:                           ;   in Loop: Header=BB1983_908 Depth=2
	s_waitcnt vmcnt(0)
	v_cmp_gt_i16_e32 vcc_lo, 0, v20
	v_cndmask_b32_e64 v5, 0x7fff, 0, vcc_lo
	s_delay_alu instid0(VALU_DEP_1) | instskip(NEXT) | instid1(VALU_DEP_1)
	v_xor_b32_e32 v5, v5, v20
	v_cmp_ne_u16_e32 vcc_lo, 0x8000, v5
	v_cndmask_b32_e32 v5, 0x7fff, v5, vcc_lo
	s_delay_alu instid0(VALU_DEP_1) | instskip(NEXT) | instid1(VALU_DEP_1)
	v_and_b32_e32 v5, 0xffff, v5
	v_lshrrev_b32_e32 v5, s49, v5
	s_delay_alu instid0(VALU_DEP_1) | instskip(NEXT) | instid1(VALU_DEP_1)
	v_and_b32_e32 v5, s55, v5
	v_lshl_or_b32 v4, v5, 4, v4
	ds_add_u32 v4, v94
	s_branch .LBB1983_907
.LBB1983_964:                           ;   in Loop: Header=BB1983_908 Depth=2
	s_or_b32 exec_lo, exec_lo, s11
	s_delay_alu instid0(SALU_CYCLE_1)
	s_mov_b32 s11, exec_lo
	v_cmpx_gt_u32_e64 s8, v45
	s_cbranch_execz .LBB1983_914
.LBB1983_965:                           ;   in Loop: Header=BB1983_908 Depth=2
	global_load_u16 v18, v95, s[0:1] offset:512
	s_or_b32 exec_lo, exec_lo, s11
	s_delay_alu instid0(SALU_CYCLE_1)
	s_mov_b32 s11, exec_lo
	v_cmpx_gt_u32_e64 s8, v46
	s_cbranch_execnz .LBB1983_915
.LBB1983_966:                           ;   in Loop: Header=BB1983_908 Depth=2
	s_or_b32 exec_lo, exec_lo, s11
	s_delay_alu instid0(SALU_CYCLE_1)
	s_mov_b32 s11, exec_lo
	v_cmpx_gt_u32_e64 s8, v47
	s_cbranch_execz .LBB1983_916
.LBB1983_967:                           ;   in Loop: Header=BB1983_908 Depth=2
	global_load_u16 v16, v95, s[0:1] offset:1536
	s_or_b32 exec_lo, exec_lo, s11
	s_delay_alu instid0(SALU_CYCLE_1)
	s_mov_b32 s11, exec_lo
	v_cmpx_gt_u32_e64 s8, v51
	s_cbranch_execnz .LBB1983_917
.LBB1983_968:                           ;   in Loop: Header=BB1983_908 Depth=2
	s_or_b32 exec_lo, exec_lo, s11
	s_delay_alu instid0(SALU_CYCLE_1)
	s_mov_b32 s11, exec_lo
	v_cmpx_gt_u32_e64 s8, v52
	s_cbranch_execz .LBB1983_918
.LBB1983_969:                           ;   in Loop: Header=BB1983_908 Depth=2
	global_load_u16 v14, v95, s[0:1] offset:2560
	s_or_b32 exec_lo, exec_lo, s11
	s_delay_alu instid0(SALU_CYCLE_1)
	s_mov_b32 s11, exec_lo
	v_cmpx_gt_u32_e64 s8, v53
	s_cbranch_execnz .LBB1983_919
.LBB1983_970:                           ;   in Loop: Header=BB1983_908 Depth=2
	s_or_b32 exec_lo, exec_lo, s11
	s_delay_alu instid0(SALU_CYCLE_1)
	s_mov_b32 s11, exec_lo
	v_cmpx_gt_u32_e64 s8, v54
	s_cbranch_execz .LBB1983_920
.LBB1983_971:                           ;   in Loop: Header=BB1983_908 Depth=2
	global_load_u16 v12, v95, s[0:1] offset:3584
	s_or_b32 exec_lo, exec_lo, s11
	s_delay_alu instid0(SALU_CYCLE_1)
	s_mov_b32 s11, exec_lo
	v_cmpx_gt_u32_e64 s8, v55
	s_cbranch_execnz .LBB1983_921
.LBB1983_972:                           ;   in Loop: Header=BB1983_908 Depth=2
	s_or_b32 exec_lo, exec_lo, s11
	s_delay_alu instid0(SALU_CYCLE_1)
	s_mov_b32 s11, exec_lo
	v_cmpx_gt_u32_e64 s8, v56
	s_cbranch_execz .LBB1983_922
.LBB1983_973:                           ;   in Loop: Header=BB1983_908 Depth=2
	global_load_u16 v10, v97, s[0:1]
	s_or_b32 exec_lo, exec_lo, s11
	s_delay_alu instid0(SALU_CYCLE_1)
	s_mov_b32 s11, exec_lo
	v_cmpx_gt_u32_e64 s8, v57
	s_cbranch_execnz .LBB1983_923
.LBB1983_974:                           ;   in Loop: Header=BB1983_908 Depth=2
	s_or_b32 exec_lo, exec_lo, s11
	s_delay_alu instid0(SALU_CYCLE_1)
	s_mov_b32 s11, exec_lo
	v_cmpx_gt_u32_e64 s8, v58
	s_cbranch_execz .LBB1983_924
.LBB1983_975:                           ;   in Loop: Header=BB1983_908 Depth=2
	global_load_u16 v8, v99, s[0:1]
	s_or_b32 exec_lo, exec_lo, s11
	s_delay_alu instid0(SALU_CYCLE_1)
	s_mov_b32 s11, exec_lo
	v_cmpx_gt_u32_e64 s8, v59
	s_cbranch_execnz .LBB1983_925
.LBB1983_976:                           ;   in Loop: Header=BB1983_908 Depth=2
	s_or_b32 exec_lo, exec_lo, s11
	s_delay_alu instid0(SALU_CYCLE_1)
	s_mov_b32 s11, exec_lo
	v_cmpx_gt_u32_e64 s8, v60
	s_cbranch_execz .LBB1983_926
.LBB1983_977:                           ;   in Loop: Header=BB1983_908 Depth=2
	global_load_u16 v6, v101, s[0:1]
	s_or_b32 exec_lo, exec_lo, s11
	s_delay_alu instid0(SALU_CYCLE_1)
	s_mov_b32 s11, exec_lo
	v_cmpx_gt_u32_e64 s8, v61
	s_cbranch_execz .LBB1983_928
	s_branch .LBB1983_927
.LBB1983_978:                           ;   in Loop: Header=BB1983_20 Depth=1
	v_mov_b32_e32 v2, 0
	s_waitcnt vmcnt(0) lgkmcnt(0)
	s_barrier
	buffer_gl0_inv
	s_and_saveexec_b32 s0, s2
	s_cbranch_execz .LBB1983_980
; %bb.979:                              ;   in Loop: Header=BB1983_20 Depth=1
	ds_load_2addr_b64 v[4:7], v64 offset1:1
	s_waitcnt lgkmcnt(0)
	v_add_nc_u32_e32 v2, v5, v4
	s_delay_alu instid0(VALU_DEP_1)
	v_add3_u32 v2, v2, v6, v7
.LBB1983_980:                           ;   in Loop: Header=BB1983_20 Depth=1
	s_or_b32 exec_lo, exec_lo, s0
	v_and_b32_e32 v4, 15, v104
	s_delay_alu instid0(VALU_DEP_2) | instskip(SKIP_1) | instid1(VALU_DEP_3)
	v_mov_b32_dpp v5, v2 row_shr:1 row_mask:0xf bank_mask:0xf
	v_and_b32_e32 v6, 16, v104
	v_cmp_eq_u32_e64 s0, 0, v4
	v_cmp_lt_u32_e64 s1, 1, v4
	v_cmp_lt_u32_e64 s8, 3, v4
	;; [unrolled: 1-line block ×3, first 2 shown]
	v_cmp_eq_u32_e64 s10, 0, v6
	v_cndmask_b32_e64 v5, v5, 0, s0
	s_delay_alu instid0(VALU_DEP_1) | instskip(NEXT) | instid1(VALU_DEP_1)
	v_add_nc_u32_e32 v2, v5, v2
	v_mov_b32_dpp v5, v2 row_shr:2 row_mask:0xf bank_mask:0xf
	s_delay_alu instid0(VALU_DEP_1) | instskip(NEXT) | instid1(VALU_DEP_1)
	v_cndmask_b32_e64 v5, 0, v5, s1
	v_add_nc_u32_e32 v2, v2, v5
	s_delay_alu instid0(VALU_DEP_1) | instskip(NEXT) | instid1(VALU_DEP_1)
	v_mov_b32_dpp v5, v2 row_shr:4 row_mask:0xf bank_mask:0xf
	v_cndmask_b32_e64 v5, 0, v5, s8
	s_delay_alu instid0(VALU_DEP_1) | instskip(NEXT) | instid1(VALU_DEP_1)
	v_add_nc_u32_e32 v2, v2, v5
	v_mov_b32_dpp v5, v2 row_shr:8 row_mask:0xf bank_mask:0xf
	s_delay_alu instid0(VALU_DEP_1) | instskip(SKIP_1) | instid1(VALU_DEP_2)
	v_cndmask_b32_e64 v4, 0, v5, s9
	v_bfe_i32 v5, v104, 4, 1
	v_add_nc_u32_e32 v2, v2, v4
	ds_swizzle_b32 v4, v2 offset:swizzle(BROADCAST,32,15)
	s_waitcnt lgkmcnt(0)
	v_and_b32_e32 v4, v5, v4
	s_delay_alu instid0(VALU_DEP_1)
	v_add_nc_u32_e32 v4, v2, v4
	s_and_saveexec_b32 s11, s3
	s_cbranch_execz .LBB1983_982
; %bb.981:                              ;   in Loop: Header=BB1983_20 Depth=1
	ds_store_b32 v65, v4
.LBB1983_982:                           ;   in Loop: Header=BB1983_20 Depth=1
	s_or_b32 exec_lo, exec_lo, s11
	v_and_b32_e32 v2, 7, v104
	s_waitcnt lgkmcnt(0)
	s_barrier
	buffer_gl0_inv
	s_and_saveexec_b32 s11, s4
	s_cbranch_execz .LBB1983_984
; %bb.983:                              ;   in Loop: Header=BB1983_20 Depth=1
	ds_load_b32 v5, v66
	v_cmp_ne_u32_e32 vcc_lo, 0, v2
	s_waitcnt lgkmcnt(0)
	v_mov_b32_dpp v6, v5 row_shr:1 row_mask:0xf bank_mask:0xf
	s_delay_alu instid0(VALU_DEP_1) | instskip(SKIP_1) | instid1(VALU_DEP_2)
	v_cndmask_b32_e32 v6, 0, v6, vcc_lo
	v_cmp_lt_u32_e32 vcc_lo, 1, v2
	v_add_nc_u32_e32 v5, v6, v5
	s_delay_alu instid0(VALU_DEP_1) | instskip(NEXT) | instid1(VALU_DEP_1)
	v_mov_b32_dpp v6, v5 row_shr:2 row_mask:0xf bank_mask:0xf
	v_cndmask_b32_e32 v6, 0, v6, vcc_lo
	v_cmp_lt_u32_e32 vcc_lo, 3, v2
	s_delay_alu instid0(VALU_DEP_2) | instskip(NEXT) | instid1(VALU_DEP_1)
	v_add_nc_u32_e32 v5, v5, v6
	v_mov_b32_dpp v6, v5 row_shr:4 row_mask:0xf bank_mask:0xf
	s_delay_alu instid0(VALU_DEP_1) | instskip(NEXT) | instid1(VALU_DEP_1)
	v_cndmask_b32_e32 v6, 0, v6, vcc_lo
	v_add_nc_u32_e32 v5, v5, v6
	ds_store_b32 v66, v5
.LBB1983_984:                           ;   in Loop: Header=BB1983_20 Depth=1
	s_or_b32 exec_lo, exec_lo, s11
	v_mov_b32_e32 v5, 0
	s_waitcnt lgkmcnt(0)
	s_barrier
	buffer_gl0_inv
	s_and_saveexec_b32 s11, s5
	s_cbranch_execz .LBB1983_986
; %bb.985:                              ;   in Loop: Header=BB1983_20 Depth=1
	ds_load_b32 v5, v67
.LBB1983_986:                           ;   in Loop: Header=BB1983_20 Depth=1
	s_or_b32 exec_lo, exec_lo, s11
	v_add_nc_u32_e32 v6, -1, v104
	s_waitcnt lgkmcnt(0)
	v_add_nc_u32_e32 v4, v5, v4
	v_cmp_eq_u32_e64 s11, 0, v104
	s_barrier
	v_cmp_gt_i32_e32 vcc_lo, 0, v6
	buffer_gl0_inv
	v_cndmask_b32_e32 v6, v6, v104, vcc_lo
	s_delay_alu instid0(VALU_DEP_1)
	v_lshlrev_b32_e32 v105, 2, v6
	ds_bpermute_b32 v4, v105, v4
	s_and_saveexec_b32 s12, s2
	s_cbranch_execz .LBB1983_988
; %bb.987:                              ;   in Loop: Header=BB1983_20 Depth=1
	s_waitcnt lgkmcnt(0)
	v_cndmask_b32_e64 v4, v4, v5, s11
	s_delay_alu instid0(VALU_DEP_1)
	v_add_nc_u32_e32 v4, s52, v4
	ds_store_b32 v44, v4
.LBB1983_988:                           ;   in Loop: Header=BB1983_20 Depth=1
	s_or_b32 exec_lo, exec_lo, s12
	s_load_b64 s[12:13], s[42:43], 0x0
	v_lshlrev_b32_e32 v5, 3, v104
	v_or_b32_e32 v106, v104, v68
	s_mov_b32 s56, s54
	s_mov_b32 s34, s52
                                        ; implicit-def: $vgpr8_vgpr9
                                        ; implicit-def: $vgpr10_vgpr11
                                        ; implicit-def: $vgpr12_vgpr13
                                        ; implicit-def: $vgpr14_vgpr15
                                        ; implicit-def: $vgpr16_vgpr17
                                        ; implicit-def: $vgpr18_vgpr19
                                        ; implicit-def: $vgpr20_vgpr21
                                        ; implicit-def: $vgpr22_vgpr23
                                        ; implicit-def: $vgpr24_vgpr25
                                        ; implicit-def: $vgpr26_vgpr27
                                        ; implicit-def: $vgpr28_vgpr29
                                        ; implicit-def: $vgpr30_vgpr31
                                        ; implicit-def: $vgpr32_vgpr33
                                        ; implicit-def: $vgpr34_vgpr35
                                        ; implicit-def: $vgpr129
                                        ; implicit-def: $vgpr130
                                        ; implicit-def: $vgpr131
                                        ; implicit-def: $vgpr132
                                        ; implicit-def: $vgpr133
                                        ; implicit-def: $vgpr134
                                        ; implicit-def: $vgpr135
                                        ; implicit-def: $vgpr136
                                        ; implicit-def: $vgpr137
                                        ; implicit-def: $vgpr138
                                        ; implicit-def: $vgpr139
                                        ; implicit-def: $vgpr140
                                        ; implicit-def: $vgpr141
                                        ; implicit-def: $vgpr142
                                        ; implicit-def: $vgpr143
                                        ; implicit-def: $vgpr144
	s_delay_alu instid0(VALU_DEP_2)
	v_add_co_u32 v107, vcc_lo, v90, v5
	v_add_co_ci_u32_e32 v108, vcc_lo, 0, v91, vcc_lo
	v_or_b32_e32 v109, 32, v106
	v_or_b32_e32 v110, 64, v106
	v_or_b32_e32 v111, 0x60, v106
	v_or_b32_e32 v112, 0x80, v106
	v_or_b32_e32 v113, 0xa0, v106
	v_or_b32_e32 v114, 0xc0, v106
	v_or_b32_e32 v115, 0xe0, v106
	v_or_b32_e32 v116, 0x100, v106
	v_or_b32_e32 v117, 0x120, v106
	v_or_b32_e32 v118, 0x140, v106
	s_waitcnt lgkmcnt(0)
	s_cmp_lt_u32 s15, s13
	v_or_b32_e32 v119, 0x160, v106
	s_cselect_b32 s13, 14, 20
	v_or_b32_e32 v120, 0x180, v106
	s_add_u32 s16, s42, s13
	s_addc_u32 s17, s43, 0
	s_cmp_lt_u32 s14, s12
	global_load_u16 v4, v3, s[16:17]
	s_cselect_b32 s12, 12, 18
	v_or_b32_e32 v121, 0x1a0, v106
	s_add_u32 s12, s42, s12
	s_addc_u32 s13, s43, 0
	v_or_b32_e32 v122, 0x1c0, v106
	global_load_u16 v6, v3, s[12:13]
	v_cmp_eq_u32_e64 s12, 0, v2
	v_cmp_lt_u32_e64 s13, 1, v2
	v_cmp_lt_u32_e64 s16, 3, v2
	v_lshlrev_b32_e32 v2, 1, v104
	v_or_b32_e32 v123, 0x1e0, v106
	s_delay_alu instid0(VALU_DEP_2) | instskip(SKIP_1) | instid1(VALU_DEP_2)
	v_add_co_u32 v124, vcc_lo, v92, v2
	v_add_co_ci_u32_e32 v125, vcc_lo, 0, v93, vcc_lo
	v_add_co_u32 v127, vcc_lo, 0x3c0, v124
	s_delay_alu instid0(VALU_DEP_2) | instskip(SKIP_3) | instid1(VALU_DEP_1)
	v_add_co_ci_u32_e32 v128, vcc_lo, 0, v125, vcc_lo
	s_waitcnt vmcnt(1)
	v_mad_u32_u24 v7, v70, v4, v0
	s_waitcnt vmcnt(0)
	v_mad_u64_u32 v[4:5], null, v7, v6, v[1:2]
                                        ; implicit-def: $vgpr6_vgpr7
	s_delay_alu instid0(VALU_DEP_1)
	v_lshrrev_b32_e32 v126, 5, v4
                                        ; implicit-def: $vgpr4_vgpr5
	s_branch .LBB1983_990
.LBB1983_989:                           ;   in Loop: Header=BB1983_990 Depth=2
	s_or_b32 exec_lo, exec_lo, s17
	s_addk_i32 s56, 0xf000
	s_cmp_lt_u32 s57, s53
	s_mov_b32 s34, s57
	s_cbranch_scc0 .LBB1983_18
.LBB1983_990:                           ;   Parent Loop BB1983_20 Depth=1
                                        ; =>  This Inner Loop Header: Depth=2
	s_add_i32 s57, s34, 0x1000
	s_delay_alu instid0(SALU_CYCLE_1)
	s_cmp_gt_u32 s57, s53
	s_cbranch_scc1 .LBB1983_993
; %bb.991:                              ;   in Loop: Header=BB1983_990 Depth=2
	s_mov_b32 s19, 0
	s_mov_b32 s18, s34
	s_movk_i32 s17, 0x1000
	s_lshl_b64 s[20:21], s[18:19], 1
	s_delay_alu instid0(SALU_CYCLE_1)
	v_add_co_u32 v36, vcc_lo, v124, s20
	v_add_co_ci_u32_e32 v37, vcc_lo, s21, v125, vcc_lo
	s_mov_b32 s20, -1
	s_clause 0xe
	global_load_u16 v2, v[36:37], off
	global_load_u16 v147, v[36:37], off offset:64
	global_load_u16 v149, v[36:37], off offset:128
	global_load_u16 v153, v[36:37], off offset:192
	global_load_u16 v157, v[36:37], off offset:256
	global_load_u16 v161, v[36:37], off offset:320
	global_load_u16 v165, v[36:37], off offset:384
	global_load_u16 v170, v[36:37], off offset:448
	global_load_u16 v169, v[36:37], off offset:512
	global_load_u16 v43, v[36:37], off offset:576
	global_load_u16 v42, v[36:37], off offset:640
	global_load_u16 v41, v[36:37], off offset:704
	global_load_u16 v40, v[36:37], off offset:768
	global_load_u16 v39, v[36:37], off offset:832
	global_load_u16 v38, v[36:37], off offset:896
	s_cbranch_execz .LBB1983_994
; %bb.992:                              ;   in Loop: Header=BB1983_990 Depth=2
                                        ; implicit-def: $sgpr21
	v_dual_mov_b32 v36, s21 :: v_dual_mov_b32 v145, s56
	s_and_saveexec_b32 s21, s20
	s_cbranch_execnz .LBB1983_1025
	s_branch .LBB1983_1026
.LBB1983_993:                           ;   in Loop: Header=BB1983_990 Depth=2
	s_mov_b32 s19, -1
	s_mov_b32 s20, 0
                                        ; implicit-def: $sgpr17
                                        ; implicit-def: $vgpr2
                                        ; implicit-def: $vgpr147
                                        ; implicit-def: $vgpr149
                                        ; implicit-def: $vgpr153
                                        ; implicit-def: $vgpr157
                                        ; implicit-def: $vgpr161
                                        ; implicit-def: $vgpr165
                                        ; implicit-def: $vgpr170
                                        ; implicit-def: $vgpr169
                                        ; implicit-def: $vgpr43
                                        ; implicit-def: $vgpr42
                                        ; implicit-def: $vgpr41
                                        ; implicit-def: $vgpr40
                                        ; implicit-def: $vgpr39
                                        ; implicit-def: $vgpr38
.LBB1983_994:                           ;   in Loop: Header=BB1983_990 Depth=2
	s_lshl_b64 s[18:19], s[34:35], 1
	s_waitcnt vmcnt(13)
	v_dual_mov_b32 v147, -1 :: v_dual_mov_b32 v2, -1
	v_add_co_u32 v36, vcc_lo, v124, s18
	v_add_co_ci_u32_e32 v37, vcc_lo, s19, v125, vcc_lo
	s_mov_b32 s17, exec_lo
	v_cmpx_gt_u32_e64 s56, v106
	s_cbranch_execz .LBB1983_996
; %bb.995:                              ;   in Loop: Header=BB1983_990 Depth=2
	global_load_u16 v2, v[36:37], off
.LBB1983_996:                           ;   in Loop: Header=BB1983_990 Depth=2
	s_or_b32 exec_lo, exec_lo, s17
	s_delay_alu instid0(SALU_CYCLE_1)
	s_mov_b32 s17, exec_lo
	v_cmpx_gt_u32_e64 s56, v109
	s_cbranch_execz .LBB1983_998
; %bb.997:                              ;   in Loop: Header=BB1983_990 Depth=2
	global_load_u16 v147, v[36:37], off offset:64
.LBB1983_998:                           ;   in Loop: Header=BB1983_990 Depth=2
	s_or_b32 exec_lo, exec_lo, s17
	s_waitcnt vmcnt(11)
	v_mov_b32_e32 v153, -1
	v_mov_b32_e32 v149, -1
	s_mov_b32 s17, exec_lo
	v_cmpx_gt_u32_e64 s56, v110
	s_cbranch_execz .LBB1983_1000
; %bb.999:                              ;   in Loop: Header=BB1983_990 Depth=2
	global_load_u16 v149, v[36:37], off offset:128
.LBB1983_1000:                          ;   in Loop: Header=BB1983_990 Depth=2
	s_or_b32 exec_lo, exec_lo, s17
	s_delay_alu instid0(SALU_CYCLE_1)
	s_mov_b32 s17, exec_lo
	v_cmpx_gt_u32_e64 s56, v111
	s_cbranch_execz .LBB1983_1002
; %bb.1001:                             ;   in Loop: Header=BB1983_990 Depth=2
	global_load_u16 v153, v[36:37], off offset:192
.LBB1983_1002:                          ;   in Loop: Header=BB1983_990 Depth=2
	s_or_b32 exec_lo, exec_lo, s17
	s_waitcnt vmcnt(9)
	v_mov_b32_e32 v161, -1
	v_mov_b32_e32 v157, -1
	s_mov_b32 s17, exec_lo
	v_cmpx_gt_u32_e64 s56, v112
	s_cbranch_execz .LBB1983_1004
; %bb.1003:                             ;   in Loop: Header=BB1983_990 Depth=2
	global_load_u16 v157, v[36:37], off offset:256
.LBB1983_1004:                          ;   in Loop: Header=BB1983_990 Depth=2
	s_or_b32 exec_lo, exec_lo, s17
	s_delay_alu instid0(SALU_CYCLE_1)
	s_mov_b32 s17, exec_lo
	v_cmpx_gt_u32_e64 s56, v113
	s_cbranch_execz .LBB1983_1006
; %bb.1005:                             ;   in Loop: Header=BB1983_990 Depth=2
	global_load_u16 v161, v[36:37], off offset:320
.LBB1983_1006:                          ;   in Loop: Header=BB1983_990 Depth=2
	s_or_b32 exec_lo, exec_lo, s17
	s_waitcnt vmcnt(7)
	v_dual_mov_b32 v170, -1 :: v_dual_mov_b32 v165, -1
	s_mov_b32 s17, exec_lo
	v_cmpx_gt_u32_e64 s56, v114
	s_cbranch_execz .LBB1983_1008
; %bb.1007:                             ;   in Loop: Header=BB1983_990 Depth=2
	global_load_u16 v165, v[36:37], off offset:384
.LBB1983_1008:                          ;   in Loop: Header=BB1983_990 Depth=2
	s_or_b32 exec_lo, exec_lo, s17
	s_delay_alu instid0(SALU_CYCLE_1)
	s_mov_b32 s17, exec_lo
	v_cmpx_gt_u32_e64 s56, v115
	s_cbranch_execz .LBB1983_1010
; %bb.1009:                             ;   in Loop: Header=BB1983_990 Depth=2
	global_load_u16 v170, v[36:37], off offset:448
.LBB1983_1010:                          ;   in Loop: Header=BB1983_990 Depth=2
	s_or_b32 exec_lo, exec_lo, s17
	s_waitcnt vmcnt(5)
	v_mov_b32_e32 v43, -1
	v_mov_b32_e32 v169, -1
	s_mov_b32 s17, exec_lo
	v_cmpx_gt_u32_e64 s56, v116
	s_cbranch_execz .LBB1983_1012
; %bb.1011:                             ;   in Loop: Header=BB1983_990 Depth=2
	global_load_u16 v169, v[36:37], off offset:512
.LBB1983_1012:                          ;   in Loop: Header=BB1983_990 Depth=2
	s_or_b32 exec_lo, exec_lo, s17
	s_delay_alu instid0(SALU_CYCLE_1)
	s_mov_b32 s17, exec_lo
	v_cmpx_gt_u32_e64 s56, v117
	s_cbranch_execz .LBB1983_1014
; %bb.1013:                             ;   in Loop: Header=BB1983_990 Depth=2
	global_load_u16 v43, v[36:37], off offset:576
.LBB1983_1014:                          ;   in Loop: Header=BB1983_990 Depth=2
	s_or_b32 exec_lo, exec_lo, s17
	s_waitcnt vmcnt(3)
	v_dual_mov_b32 v41, -1 :: v_dual_mov_b32 v42, -1
	s_mov_b32 s17, exec_lo
	v_cmpx_gt_u32_e64 s56, v118
	s_cbranch_execz .LBB1983_1016
; %bb.1015:                             ;   in Loop: Header=BB1983_990 Depth=2
	global_load_u16 v42, v[36:37], off offset:640
.LBB1983_1016:                          ;   in Loop: Header=BB1983_990 Depth=2
	s_or_b32 exec_lo, exec_lo, s17
	s_delay_alu instid0(SALU_CYCLE_1)
	s_mov_b32 s17, exec_lo
	v_cmpx_gt_u32_e64 s56, v119
	s_cbranch_execz .LBB1983_1018
; %bb.1017:                             ;   in Loop: Header=BB1983_990 Depth=2
	global_load_u16 v41, v[36:37], off offset:704
.LBB1983_1018:                          ;   in Loop: Header=BB1983_990 Depth=2
	s_or_b32 exec_lo, exec_lo, s17
	s_waitcnt vmcnt(1)
	v_dual_mov_b32 v39, -1 :: v_dual_mov_b32 v40, -1
	s_mov_b32 s17, exec_lo
	v_cmpx_gt_u32_e64 s56, v120
	s_cbranch_execz .LBB1983_1020
; %bb.1019:                             ;   in Loop: Header=BB1983_990 Depth=2
	global_load_u16 v40, v[36:37], off offset:768
.LBB1983_1020:                          ;   in Loop: Header=BB1983_990 Depth=2
	s_or_b32 exec_lo, exec_lo, s17
	s_delay_alu instid0(SALU_CYCLE_1)
	s_mov_b32 s17, exec_lo
	v_cmpx_gt_u32_e64 s56, v121
	s_cbranch_execz .LBB1983_1022
; %bb.1021:                             ;   in Loop: Header=BB1983_990 Depth=2
	global_load_u16 v39, v[36:37], off offset:832
.LBB1983_1022:                          ;   in Loop: Header=BB1983_990 Depth=2
	s_or_b32 exec_lo, exec_lo, s17
	s_waitcnt vmcnt(0)
	v_mov_b32_e32 v38, -1
	s_mov_b32 s17, exec_lo
	v_cmpx_gt_u32_e64 s56, v122
	s_cbranch_execz .LBB1983_1024
; %bb.1023:                             ;   in Loop: Header=BB1983_990 Depth=2
	global_load_u16 v38, v[36:37], off offset:896
.LBB1983_1024:                          ;   in Loop: Header=BB1983_990 Depth=2
	s_or_b32 exec_lo, exec_lo, s17
	v_cmp_gt_u32_e64 s20, s56, v123
	s_sub_i32 s17, s53, s34
	s_mov_b32 s21, -1
	s_mov_b64 s[18:19], s[34:35]
	v_dual_mov_b32 v36, s21 :: v_dual_mov_b32 v145, s56
	s_and_saveexec_b32 s21, s20
	s_cbranch_execz .LBB1983_1026
.LBB1983_1025:                          ;   in Loop: Header=BB1983_990 Depth=2
	s_lshl_b64 s[18:19], s[18:19], 1
	v_mov_b32_e32 v145, s17
	v_add_co_u32 v36, vcc_lo, v127, s18
	v_add_co_ci_u32_e32 v37, vcc_lo, s19, v128, vcc_lo
	global_load_u16 v36, v[36:37], off
.LBB1983_1026:                          ;   in Loop: Header=BB1983_990 Depth=2
	s_or_b32 exec_lo, exec_lo, s21
	s_waitcnt vmcnt(14)
	v_cmp_gt_i16_e32 vcc_lo, 0, v2
	ds_store_b32 v69, v3 offset:1056
	ds_store_2addr_b32 v71, v3, v3 offset0:1 offset1:2
	ds_store_2addr_b32 v71, v3, v3 offset0:3 offset1:4
	;; [unrolled: 1-line block ×4, first 2 shown]
	s_waitcnt vmcnt(0) lgkmcnt(0)
	s_barrier
	v_cndmask_b32_e64 v37, 0x7fff, 0, vcc_lo
	buffer_gl0_inv
	; wave barrier
	v_xor_b32_e32 v2, v37, v2
	s_delay_alu instid0(VALU_DEP_1) | instskip(SKIP_1) | instid1(VALU_DEP_1)
	v_cmp_ne_u16_e32 vcc_lo, 0x8000, v2
	v_cndmask_b32_e32 v37, 0x7fff, v2, vcc_lo
	v_and_b32_e32 v37, 0xffff, v37
	s_delay_alu instid0(VALU_DEP_1) | instskip(NEXT) | instid1(VALU_DEP_1)
	v_lshrrev_b32_e32 v37, s49, v37
	v_and_b32_e32 v148, s55, v37
	s_delay_alu instid0(VALU_DEP_1)
	v_lshlrev_b32_e32 v146, 30, v148
	v_and_b32_e32 v37, 1, v148
	v_lshlrev_b32_e32 v150, 29, v148
	v_lshlrev_b32_e32 v151, 28, v148
	;; [unrolled: 1-line block ×3, first 2 shown]
	v_not_b32_e32 v158, v146
	v_add_co_u32 v37, s17, v37, -1
	s_delay_alu instid0(VALU_DEP_1)
	v_cndmask_b32_e64 v152, 0, 1, s17
	v_cmp_gt_i32_e64 s17, 0, v146
	v_not_b32_e32 v146, v150
	v_ashrrev_i32_e32 v158, 31, v158
	v_lshlrev_b32_e32 v155, 26, v148
	v_cmp_ne_u32_e32 vcc_lo, 0, v152
	v_lshlrev_b32_e32 v156, 25, v148
	v_ashrrev_i32_e32 v146, 31, v146
	v_xor_b32_e32 v158, s17, v158
	v_cmp_gt_i32_e64 s17, 0, v151
	v_xor_b32_e32 v37, vcc_lo, v37
	v_cmp_gt_i32_e32 vcc_lo, 0, v150
	v_not_b32_e32 v150, v151
	v_not_b32_e32 v151, v154
	v_lshlrev_b32_e32 v152, 24, v148
	v_and_b32_e32 v37, exec_lo, v37
	v_xor_b32_e32 v146, vcc_lo, v146
	v_ashrrev_i32_e32 v150, 31, v150
	v_cmp_gt_i32_e32 vcc_lo, 0, v154
	v_not_b32_e32 v154, v155
	v_and_b32_e32 v37, v37, v158
	v_ashrrev_i32_e32 v151, 31, v151
	v_xor_b32_e32 v150, s17, v150
	v_cmp_gt_i32_e64 s17, 0, v155
	v_ashrrev_i32_e32 v154, 31, v154
	v_and_b32_e32 v37, v37, v146
	v_not_b32_e32 v146, v156
	v_xor_b32_e32 v151, vcc_lo, v151
	v_cmp_gt_i32_e32 vcc_lo, 0, v156
	v_xor_b32_e32 v154, s17, v154
	v_and_b32_e32 v37, v37, v150
	v_not_b32_e32 v150, v152
	v_ashrrev_i32_e32 v146, 31, v146
	v_cmp_gt_i32_e64 s17, 0, v152
	v_mad_u32_u24 v148, v148, 9, v126
	v_and_b32_e32 v37, v37, v151
	v_ashrrev_i32_e32 v150, 31, v150
	v_xor_b32_e32 v146, vcc_lo, v146
	s_delay_alu instid0(VALU_DEP_4) | instskip(NEXT) | instid1(VALU_DEP_4)
	v_lshl_add_u32 v148, v148, 2, 0x420
	v_and_b32_e32 v37, v37, v154
	s_delay_alu instid0(VALU_DEP_4) | instskip(NEXT) | instid1(VALU_DEP_2)
	v_xor_b32_e32 v150, s17, v150
	v_and_b32_e32 v37, v37, v146
	s_delay_alu instid0(VALU_DEP_1) | instskip(NEXT) | instid1(VALU_DEP_1)
	v_and_b32_e32 v37, v37, v150
	v_mbcnt_lo_u32_b32 v146, v37, 0
	v_cmp_ne_u32_e64 s17, 0, v37
	s_delay_alu instid0(VALU_DEP_2) | instskip(NEXT) | instid1(VALU_DEP_2)
	v_cmp_eq_u32_e32 vcc_lo, 0, v146
	s_and_b32 s18, s17, vcc_lo
	s_delay_alu instid0(SALU_CYCLE_1)
	s_and_saveexec_b32 s17, s18
	s_cbranch_execz .LBB1983_1028
; %bb.1027:                             ;   in Loop: Header=BB1983_990 Depth=2
	v_bcnt_u32_b32 v37, v37, 0
	ds_store_b32 v148, v37
.LBB1983_1028:                          ;   in Loop: Header=BB1983_990 Depth=2
	s_or_b32 exec_lo, exec_lo, s17
	v_cmp_gt_i16_e64 vcc_lo, 0, v147
	; wave barrier
	s_delay_alu instid0(VALU_DEP_1) | instskip(NEXT) | instid1(VALU_DEP_1)
	v_cndmask_b32_e64 v37, 0x7fff, 0, vcc_lo
	v_xor_b32_e32 v147, v37, v147
	s_delay_alu instid0(VALU_DEP_1) | instskip(SKIP_1) | instid1(VALU_DEP_1)
	v_cmp_ne_u16_e64 vcc_lo, 0x8000, v147
	v_cndmask_b32_e32 v37, 0x7fff, v147, vcc_lo
	v_and_b32_e32 v37, 0xffff, v37
	s_delay_alu instid0(VALU_DEP_1) | instskip(NEXT) | instid1(VALU_DEP_1)
	v_lshrrev_b32_e32 v37, s49, v37
	v_and_b32_e32 v37, s55, v37
	s_delay_alu instid0(VALU_DEP_1)
	v_and_b32_e32 v150, 1, v37
	v_lshlrev_b32_e32 v151, 30, v37
	v_lshlrev_b32_e32 v152, 29, v37
	;; [unrolled: 1-line block ×4, first 2 shown]
	v_add_co_u32 v150, s17, v150, -1
	s_delay_alu instid0(VALU_DEP_1)
	v_cndmask_b32_e64 v155, 0, 1, s17
	v_not_b32_e32 v160, v151
	v_cmp_gt_i32_e64 s17, 0, v151
	v_not_b32_e32 v151, v152
	v_lshlrev_b32_e32 v158, 26, v37
	v_cmp_ne_u32_e32 vcc_lo, 0, v155
	v_ashrrev_i32_e32 v160, 31, v160
	v_lshlrev_b32_e32 v159, 25, v37
	v_ashrrev_i32_e32 v151, 31, v151
	v_lshlrev_b32_e32 v155, 24, v37
	v_xor_b32_e32 v150, vcc_lo, v150
	v_cmp_gt_i32_e32 vcc_lo, 0, v152
	v_not_b32_e32 v152, v154
	v_xor_b32_e32 v160, s17, v160
	v_cmp_gt_i32_e64 s17, 0, v154
	v_and_b32_e32 v150, exec_lo, v150
	v_not_b32_e32 v154, v156
	v_ashrrev_i32_e32 v152, 31, v152
	v_xor_b32_e32 v151, vcc_lo, v151
	v_cmp_gt_i32_e32 vcc_lo, 0, v156
	v_and_b32_e32 v150, v150, v160
	v_not_b32_e32 v156, v158
	v_ashrrev_i32_e32 v154, 31, v154
	v_xor_b32_e32 v152, s17, v152
	v_cmp_gt_i32_e64 s17, 0, v158
	v_and_b32_e32 v150, v150, v151
	v_not_b32_e32 v151, v159
	v_ashrrev_i32_e32 v156, 31, v156
	v_xor_b32_e32 v154, vcc_lo, v154
	v_cmp_gt_i32_e32 vcc_lo, 0, v159
	v_and_b32_e32 v150, v150, v152
	v_not_b32_e32 v152, v155
	v_ashrrev_i32_e32 v151, 31, v151
	v_xor_b32_e32 v156, s17, v156
	v_mul_u32_u24_e32 v37, 9, v37
	v_and_b32_e32 v150, v150, v154
	v_cmp_gt_i32_e64 s17, 0, v155
	v_ashrrev_i32_e32 v152, 31, v152
	v_xor_b32_e32 v151, vcc_lo, v151
	v_add_lshl_u32 v154, v37, v126, 2
	v_and_b32_e32 v150, v150, v156
	s_delay_alu instid0(VALU_DEP_4) | instskip(NEXT) | instid1(VALU_DEP_3)
	v_xor_b32_e32 v37, s17, v152
	v_add_nc_u32_e32 v152, 0x420, v154
	s_delay_alu instid0(VALU_DEP_3) | instskip(SKIP_2) | instid1(VALU_DEP_1)
	v_and_b32_e32 v151, v150, v151
	ds_load_b32 v150, v154 offset:1056
	; wave barrier
	v_and_b32_e32 v37, v151, v37
	v_mbcnt_lo_u32_b32 v151, v37, 0
	v_cmp_ne_u32_e64 s17, 0, v37
	s_delay_alu instid0(VALU_DEP_2) | instskip(NEXT) | instid1(VALU_DEP_2)
	v_cmp_eq_u32_e32 vcc_lo, 0, v151
	s_and_b32 s18, s17, vcc_lo
	s_delay_alu instid0(SALU_CYCLE_1)
	s_and_saveexec_b32 s17, s18
	s_cbranch_execz .LBB1983_1030
; %bb.1029:                             ;   in Loop: Header=BB1983_990 Depth=2
	s_waitcnt lgkmcnt(0)
	v_bcnt_u32_b32 v37, v37, v150
	ds_store_b32 v152, v37
.LBB1983_1030:                          ;   in Loop: Header=BB1983_990 Depth=2
	s_or_b32 exec_lo, exec_lo, s17
	v_cmp_gt_i16_e64 vcc_lo, 0, v149
	; wave barrier
	s_delay_alu instid0(VALU_DEP_1) | instskip(NEXT) | instid1(VALU_DEP_1)
	v_cndmask_b32_e64 v37, 0x7fff, 0, vcc_lo
	v_xor_b32_e32 v149, v37, v149
	s_delay_alu instid0(VALU_DEP_1) | instskip(SKIP_1) | instid1(VALU_DEP_1)
	v_cmp_ne_u16_e64 vcc_lo, 0x8000, v149
	v_cndmask_b32_e32 v37, 0x7fff, v149, vcc_lo
	v_and_b32_e32 v37, 0xffff, v37
	s_delay_alu instid0(VALU_DEP_1) | instskip(NEXT) | instid1(VALU_DEP_1)
	v_lshrrev_b32_e32 v37, s49, v37
	v_and_b32_e32 v37, s55, v37
	s_delay_alu instid0(VALU_DEP_1)
	v_and_b32_e32 v154, 1, v37
	v_lshlrev_b32_e32 v155, 30, v37
	v_lshlrev_b32_e32 v156, 29, v37
	v_lshlrev_b32_e32 v158, 28, v37
	v_lshlrev_b32_e32 v160, 27, v37
	v_add_co_u32 v154, s17, v154, -1
	s_delay_alu instid0(VALU_DEP_1)
	v_cndmask_b32_e64 v159, 0, 1, s17
	v_not_b32_e32 v164, v155
	v_cmp_gt_i32_e64 s17, 0, v155
	v_not_b32_e32 v155, v156
	v_lshlrev_b32_e32 v162, 26, v37
	v_cmp_ne_u32_e32 vcc_lo, 0, v159
	v_ashrrev_i32_e32 v164, 31, v164
	v_lshlrev_b32_e32 v163, 25, v37
	v_ashrrev_i32_e32 v155, 31, v155
	v_lshlrev_b32_e32 v159, 24, v37
	v_xor_b32_e32 v154, vcc_lo, v154
	v_cmp_gt_i32_e32 vcc_lo, 0, v156
	v_not_b32_e32 v156, v158
	v_xor_b32_e32 v164, s17, v164
	v_cmp_gt_i32_e64 s17, 0, v158
	v_and_b32_e32 v154, exec_lo, v154
	v_not_b32_e32 v158, v160
	v_ashrrev_i32_e32 v156, 31, v156
	v_xor_b32_e32 v155, vcc_lo, v155
	v_cmp_gt_i32_e32 vcc_lo, 0, v160
	v_and_b32_e32 v154, v154, v164
	v_not_b32_e32 v160, v162
	v_ashrrev_i32_e32 v158, 31, v158
	v_xor_b32_e32 v156, s17, v156
	v_cmp_gt_i32_e64 s17, 0, v162
	v_and_b32_e32 v154, v154, v155
	v_not_b32_e32 v155, v163
	v_ashrrev_i32_e32 v160, 31, v160
	v_xor_b32_e32 v158, vcc_lo, v158
	v_cmp_gt_i32_e32 vcc_lo, 0, v163
	v_and_b32_e32 v154, v154, v156
	v_not_b32_e32 v156, v159
	v_ashrrev_i32_e32 v155, 31, v155
	v_xor_b32_e32 v160, s17, v160
	v_mul_u32_u24_e32 v37, 9, v37
	v_and_b32_e32 v154, v154, v158
	v_cmp_gt_i32_e64 s17, 0, v159
	v_ashrrev_i32_e32 v156, 31, v156
	v_xor_b32_e32 v155, vcc_lo, v155
	v_add_lshl_u32 v158, v37, v126, 2
	v_and_b32_e32 v154, v154, v160
	s_delay_alu instid0(VALU_DEP_4) | instskip(NEXT) | instid1(VALU_DEP_3)
	v_xor_b32_e32 v37, s17, v156
	v_add_nc_u32_e32 v156, 0x420, v158
	s_delay_alu instid0(VALU_DEP_3) | instskip(SKIP_2) | instid1(VALU_DEP_1)
	v_and_b32_e32 v155, v154, v155
	ds_load_b32 v154, v158 offset:1056
	; wave barrier
	v_and_b32_e32 v37, v155, v37
	v_mbcnt_lo_u32_b32 v155, v37, 0
	v_cmp_ne_u32_e64 s17, 0, v37
	s_delay_alu instid0(VALU_DEP_2) | instskip(NEXT) | instid1(VALU_DEP_2)
	v_cmp_eq_u32_e32 vcc_lo, 0, v155
	s_and_b32 s18, s17, vcc_lo
	s_delay_alu instid0(SALU_CYCLE_1)
	s_and_saveexec_b32 s17, s18
	s_cbranch_execz .LBB1983_1032
; %bb.1031:                             ;   in Loop: Header=BB1983_990 Depth=2
	s_waitcnt lgkmcnt(0)
	v_bcnt_u32_b32 v37, v37, v154
	ds_store_b32 v156, v37
.LBB1983_1032:                          ;   in Loop: Header=BB1983_990 Depth=2
	s_or_b32 exec_lo, exec_lo, s17
	v_cmp_gt_i16_e64 vcc_lo, 0, v153
	; wave barrier
	s_delay_alu instid0(VALU_DEP_1) | instskip(NEXT) | instid1(VALU_DEP_1)
	v_cndmask_b32_e64 v37, 0x7fff, 0, vcc_lo
	v_xor_b32_e32 v153, v37, v153
	s_delay_alu instid0(VALU_DEP_1) | instskip(SKIP_1) | instid1(VALU_DEP_1)
	v_cmp_ne_u16_e64 vcc_lo, 0x8000, v153
	v_cndmask_b32_e32 v37, 0x7fff, v153, vcc_lo
	v_and_b32_e32 v37, 0xffff, v37
	s_delay_alu instid0(VALU_DEP_1) | instskip(NEXT) | instid1(VALU_DEP_1)
	v_lshrrev_b32_e32 v37, s49, v37
	v_and_b32_e32 v37, s55, v37
	s_delay_alu instid0(VALU_DEP_1)
	v_and_b32_e32 v158, 1, v37
	v_lshlrev_b32_e32 v159, 30, v37
	v_lshlrev_b32_e32 v160, 29, v37
	;; [unrolled: 1-line block ×4, first 2 shown]
	v_add_co_u32 v158, s17, v158, -1
	s_delay_alu instid0(VALU_DEP_1)
	v_cndmask_b32_e64 v163, 0, 1, s17
	v_not_b32_e32 v168, v159
	v_cmp_gt_i32_e64 s17, 0, v159
	v_not_b32_e32 v159, v160
	v_lshlrev_b32_e32 v166, 26, v37
	v_cmp_ne_u32_e32 vcc_lo, 0, v163
	v_ashrrev_i32_e32 v168, 31, v168
	v_lshlrev_b32_e32 v167, 25, v37
	v_ashrrev_i32_e32 v159, 31, v159
	v_lshlrev_b32_e32 v163, 24, v37
	v_xor_b32_e32 v158, vcc_lo, v158
	v_cmp_gt_i32_e32 vcc_lo, 0, v160
	v_not_b32_e32 v160, v162
	v_xor_b32_e32 v168, s17, v168
	v_cmp_gt_i32_e64 s17, 0, v162
	v_and_b32_e32 v158, exec_lo, v158
	v_not_b32_e32 v162, v164
	v_ashrrev_i32_e32 v160, 31, v160
	v_xor_b32_e32 v159, vcc_lo, v159
	v_cmp_gt_i32_e32 vcc_lo, 0, v164
	v_and_b32_e32 v158, v158, v168
	v_not_b32_e32 v164, v166
	v_ashrrev_i32_e32 v162, 31, v162
	v_xor_b32_e32 v160, s17, v160
	v_cmp_gt_i32_e64 s17, 0, v166
	v_and_b32_e32 v158, v158, v159
	v_not_b32_e32 v159, v167
	v_ashrrev_i32_e32 v164, 31, v164
	v_xor_b32_e32 v162, vcc_lo, v162
	v_cmp_gt_i32_e32 vcc_lo, 0, v167
	v_and_b32_e32 v158, v158, v160
	v_not_b32_e32 v160, v163
	v_ashrrev_i32_e32 v159, 31, v159
	v_xor_b32_e32 v164, s17, v164
	v_mul_u32_u24_e32 v37, 9, v37
	v_and_b32_e32 v158, v158, v162
	v_cmp_gt_i32_e64 s17, 0, v163
	v_ashrrev_i32_e32 v160, 31, v160
	v_xor_b32_e32 v159, vcc_lo, v159
	v_add_lshl_u32 v162, v37, v126, 2
	v_and_b32_e32 v158, v158, v164
	s_delay_alu instid0(VALU_DEP_4) | instskip(NEXT) | instid1(VALU_DEP_3)
	v_xor_b32_e32 v37, s17, v160
	v_add_nc_u32_e32 v160, 0x420, v162
	s_delay_alu instid0(VALU_DEP_3) | instskip(SKIP_2) | instid1(VALU_DEP_1)
	v_and_b32_e32 v159, v158, v159
	ds_load_b32 v158, v162 offset:1056
	; wave barrier
	v_and_b32_e32 v37, v159, v37
	v_mbcnt_lo_u32_b32 v159, v37, 0
	v_cmp_ne_u32_e64 s17, 0, v37
	s_delay_alu instid0(VALU_DEP_2) | instskip(NEXT) | instid1(VALU_DEP_2)
	v_cmp_eq_u32_e32 vcc_lo, 0, v159
	s_and_b32 s18, s17, vcc_lo
	s_delay_alu instid0(SALU_CYCLE_1)
	s_and_saveexec_b32 s17, s18
	s_cbranch_execz .LBB1983_1034
; %bb.1033:                             ;   in Loop: Header=BB1983_990 Depth=2
	s_waitcnt lgkmcnt(0)
	v_bcnt_u32_b32 v37, v37, v158
	ds_store_b32 v160, v37
.LBB1983_1034:                          ;   in Loop: Header=BB1983_990 Depth=2
	s_or_b32 exec_lo, exec_lo, s17
	v_cmp_gt_i16_e64 vcc_lo, 0, v157
	; wave barrier
	s_delay_alu instid0(VALU_DEP_1) | instskip(NEXT) | instid1(VALU_DEP_1)
	v_cndmask_b32_e64 v37, 0x7fff, 0, vcc_lo
	v_xor_b32_e32 v157, v37, v157
	s_delay_alu instid0(VALU_DEP_1) | instskip(SKIP_1) | instid1(VALU_DEP_1)
	v_cmp_ne_u16_e64 vcc_lo, 0x8000, v157
	v_cndmask_b32_e32 v37, 0x7fff, v157, vcc_lo
	v_and_b32_e32 v37, 0xffff, v37
	s_delay_alu instid0(VALU_DEP_1) | instskip(NEXT) | instid1(VALU_DEP_1)
	v_lshrrev_b32_e32 v37, s49, v37
	v_and_b32_e32 v37, s55, v37
	s_delay_alu instid0(VALU_DEP_1)
	v_and_b32_e32 v162, 1, v37
	v_lshlrev_b32_e32 v163, 30, v37
	v_lshlrev_b32_e32 v164, 29, v37
	;; [unrolled: 1-line block ×4, first 2 shown]
	v_add_co_u32 v162, s17, v162, -1
	s_delay_alu instid0(VALU_DEP_1)
	v_cndmask_b32_e64 v167, 0, 1, s17
	v_not_b32_e32 v173, v163
	v_cmp_gt_i32_e64 s17, 0, v163
	v_not_b32_e32 v163, v164
	v_lshlrev_b32_e32 v171, 26, v37
	v_cmp_ne_u32_e32 vcc_lo, 0, v167
	v_ashrrev_i32_e32 v173, 31, v173
	v_lshlrev_b32_e32 v172, 25, v37
	v_ashrrev_i32_e32 v163, 31, v163
	v_lshlrev_b32_e32 v167, 24, v37
	v_xor_b32_e32 v162, vcc_lo, v162
	v_cmp_gt_i32_e32 vcc_lo, 0, v164
	v_not_b32_e32 v164, v166
	v_xor_b32_e32 v173, s17, v173
	v_cmp_gt_i32_e64 s17, 0, v166
	v_and_b32_e32 v162, exec_lo, v162
	v_not_b32_e32 v166, v168
	v_ashrrev_i32_e32 v164, 31, v164
	v_xor_b32_e32 v163, vcc_lo, v163
	v_cmp_gt_i32_e32 vcc_lo, 0, v168
	v_and_b32_e32 v162, v162, v173
	v_not_b32_e32 v168, v171
	v_ashrrev_i32_e32 v166, 31, v166
	v_xor_b32_e32 v164, s17, v164
	v_cmp_gt_i32_e64 s17, 0, v171
	v_and_b32_e32 v162, v162, v163
	v_not_b32_e32 v163, v172
	v_ashrrev_i32_e32 v168, 31, v168
	v_xor_b32_e32 v166, vcc_lo, v166
	v_cmp_gt_i32_e32 vcc_lo, 0, v172
	v_and_b32_e32 v162, v162, v164
	v_not_b32_e32 v164, v167
	v_ashrrev_i32_e32 v163, 31, v163
	v_xor_b32_e32 v168, s17, v168
	v_mul_u32_u24_e32 v37, 9, v37
	v_and_b32_e32 v162, v162, v166
	v_cmp_gt_i32_e64 s17, 0, v167
	v_ashrrev_i32_e32 v164, 31, v164
	v_xor_b32_e32 v163, vcc_lo, v163
	v_add_lshl_u32 v166, v37, v126, 2
	v_and_b32_e32 v162, v162, v168
	s_delay_alu instid0(VALU_DEP_4) | instskip(NEXT) | instid1(VALU_DEP_3)
	v_xor_b32_e32 v37, s17, v164
	v_add_nc_u32_e32 v164, 0x420, v166
	s_delay_alu instid0(VALU_DEP_3) | instskip(SKIP_2) | instid1(VALU_DEP_1)
	v_and_b32_e32 v163, v162, v163
	ds_load_b32 v162, v166 offset:1056
	; wave barrier
	v_and_b32_e32 v37, v163, v37
	v_mbcnt_lo_u32_b32 v163, v37, 0
	v_cmp_ne_u32_e64 s17, 0, v37
	s_delay_alu instid0(VALU_DEP_2) | instskip(NEXT) | instid1(VALU_DEP_2)
	v_cmp_eq_u32_e32 vcc_lo, 0, v163
	s_and_b32 s18, s17, vcc_lo
	s_delay_alu instid0(SALU_CYCLE_1)
	s_and_saveexec_b32 s17, s18
	s_cbranch_execz .LBB1983_1036
; %bb.1035:                             ;   in Loop: Header=BB1983_990 Depth=2
	s_waitcnt lgkmcnt(0)
	v_bcnt_u32_b32 v37, v37, v162
	ds_store_b32 v164, v37
.LBB1983_1036:                          ;   in Loop: Header=BB1983_990 Depth=2
	s_or_b32 exec_lo, exec_lo, s17
	v_cmp_gt_i16_e64 vcc_lo, 0, v161
	; wave barrier
	s_delay_alu instid0(VALU_DEP_1) | instskip(NEXT) | instid1(VALU_DEP_1)
	v_cndmask_b32_e64 v37, 0x7fff, 0, vcc_lo
	v_xor_b32_e32 v161, v37, v161
	s_delay_alu instid0(VALU_DEP_1) | instskip(SKIP_1) | instid1(VALU_DEP_1)
	v_cmp_ne_u16_e64 vcc_lo, 0x8000, v161
	v_cndmask_b32_e32 v37, 0x7fff, v161, vcc_lo
	v_and_b32_e32 v37, 0xffff, v37
	s_delay_alu instid0(VALU_DEP_1) | instskip(NEXT) | instid1(VALU_DEP_1)
	v_lshrrev_b32_e32 v37, s49, v37
	v_and_b32_e32 v37, s55, v37
	s_delay_alu instid0(VALU_DEP_1)
	v_and_b32_e32 v166, 1, v37
	v_lshlrev_b32_e32 v167, 30, v37
	v_lshlrev_b32_e32 v168, 29, v37
	;; [unrolled: 1-line block ×4, first 2 shown]
	v_add_co_u32 v166, s17, v166, -1
	s_delay_alu instid0(VALU_DEP_1)
	v_cndmask_b32_e64 v172, 0, 1, s17
	v_not_b32_e32 v176, v167
	v_cmp_gt_i32_e64 s17, 0, v167
	v_not_b32_e32 v167, v168
	v_lshlrev_b32_e32 v174, 26, v37
	v_cmp_ne_u32_e32 vcc_lo, 0, v172
	v_ashrrev_i32_e32 v176, 31, v176
	v_lshlrev_b32_e32 v175, 25, v37
	v_ashrrev_i32_e32 v167, 31, v167
	v_lshlrev_b32_e32 v172, 24, v37
	v_xor_b32_e32 v166, vcc_lo, v166
	v_cmp_gt_i32_e32 vcc_lo, 0, v168
	v_not_b32_e32 v168, v171
	v_xor_b32_e32 v176, s17, v176
	v_cmp_gt_i32_e64 s17, 0, v171
	v_and_b32_e32 v166, exec_lo, v166
	v_not_b32_e32 v171, v173
	v_ashrrev_i32_e32 v168, 31, v168
	v_xor_b32_e32 v167, vcc_lo, v167
	v_cmp_gt_i32_e32 vcc_lo, 0, v173
	v_and_b32_e32 v166, v166, v176
	v_not_b32_e32 v173, v174
	v_ashrrev_i32_e32 v171, 31, v171
	v_xor_b32_e32 v168, s17, v168
	v_cmp_gt_i32_e64 s17, 0, v174
	v_and_b32_e32 v166, v166, v167
	v_not_b32_e32 v167, v175
	v_ashrrev_i32_e32 v173, 31, v173
	v_xor_b32_e32 v171, vcc_lo, v171
	v_cmp_gt_i32_e32 vcc_lo, 0, v175
	v_and_b32_e32 v166, v166, v168
	v_not_b32_e32 v168, v172
	v_ashrrev_i32_e32 v167, 31, v167
	v_xor_b32_e32 v173, s17, v173
	v_mul_u32_u24_e32 v37, 9, v37
	v_and_b32_e32 v166, v166, v171
	v_cmp_gt_i32_e64 s17, 0, v172
	v_ashrrev_i32_e32 v168, 31, v168
	v_xor_b32_e32 v167, vcc_lo, v167
	v_add_lshl_u32 v171, v37, v126, 2
	v_and_b32_e32 v166, v166, v173
	s_delay_alu instid0(VALU_DEP_4) | instskip(NEXT) | instid1(VALU_DEP_3)
	v_xor_b32_e32 v37, s17, v168
	v_add_nc_u32_e32 v168, 0x420, v171
	s_delay_alu instid0(VALU_DEP_3) | instskip(SKIP_2) | instid1(VALU_DEP_1)
	v_and_b32_e32 v167, v166, v167
	ds_load_b32 v166, v171 offset:1056
	; wave barrier
	v_and_b32_e32 v37, v167, v37
	v_mbcnt_lo_u32_b32 v167, v37, 0
	v_cmp_ne_u32_e64 s17, 0, v37
	s_delay_alu instid0(VALU_DEP_2) | instskip(NEXT) | instid1(VALU_DEP_2)
	v_cmp_eq_u32_e32 vcc_lo, 0, v167
	s_and_b32 s18, s17, vcc_lo
	s_delay_alu instid0(SALU_CYCLE_1)
	s_and_saveexec_b32 s17, s18
	s_cbranch_execz .LBB1983_1038
; %bb.1037:                             ;   in Loop: Header=BB1983_990 Depth=2
	s_waitcnt lgkmcnt(0)
	v_bcnt_u32_b32 v37, v37, v166
	ds_store_b32 v168, v37
.LBB1983_1038:                          ;   in Loop: Header=BB1983_990 Depth=2
	s_or_b32 exec_lo, exec_lo, s17
	v_cmp_gt_i16_e64 vcc_lo, 0, v165
	; wave barrier
	s_delay_alu instid0(VALU_DEP_1) | instskip(NEXT) | instid1(VALU_DEP_1)
	v_cndmask_b32_e64 v37, 0x7fff, 0, vcc_lo
	v_xor_b32_e32 v165, v37, v165
	s_delay_alu instid0(VALU_DEP_1) | instskip(SKIP_1) | instid1(VALU_DEP_1)
	v_cmp_ne_u16_e64 vcc_lo, 0x8000, v165
	v_cndmask_b32_e32 v37, 0x7fff, v165, vcc_lo
	v_and_b32_e32 v37, 0xffff, v37
	s_delay_alu instid0(VALU_DEP_1) | instskip(NEXT) | instid1(VALU_DEP_1)
	v_lshrrev_b32_e32 v37, s49, v37
	v_and_b32_e32 v37, s55, v37
	s_delay_alu instid0(VALU_DEP_1)
	v_and_b32_e32 v171, 1, v37
	v_lshlrev_b32_e32 v172, 30, v37
	v_lshlrev_b32_e32 v173, 29, v37
	;; [unrolled: 1-line block ×4, first 2 shown]
	v_add_co_u32 v171, s17, v171, -1
	s_delay_alu instid0(VALU_DEP_1)
	v_cndmask_b32_e64 v175, 0, 1, s17
	v_not_b32_e32 v179, v172
	v_cmp_gt_i32_e64 s17, 0, v172
	v_not_b32_e32 v172, v173
	v_lshlrev_b32_e32 v177, 26, v37
	v_cmp_ne_u32_e32 vcc_lo, 0, v175
	v_ashrrev_i32_e32 v179, 31, v179
	v_lshlrev_b32_e32 v178, 25, v37
	v_ashrrev_i32_e32 v172, 31, v172
	v_lshlrev_b32_e32 v175, 24, v37
	v_xor_b32_e32 v171, vcc_lo, v171
	v_cmp_gt_i32_e32 vcc_lo, 0, v173
	v_not_b32_e32 v173, v174
	v_xor_b32_e32 v179, s17, v179
	v_cmp_gt_i32_e64 s17, 0, v174
	v_and_b32_e32 v171, exec_lo, v171
	v_not_b32_e32 v174, v176
	v_ashrrev_i32_e32 v173, 31, v173
	v_xor_b32_e32 v172, vcc_lo, v172
	v_cmp_gt_i32_e32 vcc_lo, 0, v176
	v_and_b32_e32 v171, v171, v179
	v_not_b32_e32 v176, v177
	v_ashrrev_i32_e32 v174, 31, v174
	v_xor_b32_e32 v173, s17, v173
	v_cmp_gt_i32_e64 s17, 0, v177
	v_and_b32_e32 v171, v171, v172
	v_not_b32_e32 v172, v178
	v_ashrrev_i32_e32 v176, 31, v176
	v_xor_b32_e32 v174, vcc_lo, v174
	v_cmp_gt_i32_e32 vcc_lo, 0, v178
	v_and_b32_e32 v171, v171, v173
	v_not_b32_e32 v173, v175
	v_ashrrev_i32_e32 v172, 31, v172
	v_xor_b32_e32 v176, s17, v176
	v_mul_u32_u24_e32 v37, 9, v37
	v_and_b32_e32 v171, v171, v174
	v_cmp_gt_i32_e64 s17, 0, v175
	v_ashrrev_i32_e32 v173, 31, v173
	v_xor_b32_e32 v172, vcc_lo, v172
	v_add_lshl_u32 v174, v37, v126, 2
	v_and_b32_e32 v171, v171, v176
	s_delay_alu instid0(VALU_DEP_4) | instskip(NEXT) | instid1(VALU_DEP_3)
	v_xor_b32_e32 v37, s17, v173
	v_add_nc_u32_e32 v173, 0x420, v174
	s_delay_alu instid0(VALU_DEP_3) | instskip(SKIP_2) | instid1(VALU_DEP_1)
	v_and_b32_e32 v172, v171, v172
	ds_load_b32 v171, v174 offset:1056
	; wave barrier
	v_and_b32_e32 v37, v172, v37
	v_mbcnt_lo_u32_b32 v172, v37, 0
	v_cmp_ne_u32_e64 s17, 0, v37
	s_delay_alu instid0(VALU_DEP_2) | instskip(NEXT) | instid1(VALU_DEP_2)
	v_cmp_eq_u32_e32 vcc_lo, 0, v172
	s_and_b32 s18, s17, vcc_lo
	s_delay_alu instid0(SALU_CYCLE_1)
	s_and_saveexec_b32 s17, s18
	s_cbranch_execz .LBB1983_1040
; %bb.1039:                             ;   in Loop: Header=BB1983_990 Depth=2
	s_waitcnt lgkmcnt(0)
	v_bcnt_u32_b32 v37, v37, v171
	ds_store_b32 v173, v37
.LBB1983_1040:                          ;   in Loop: Header=BB1983_990 Depth=2
	s_or_b32 exec_lo, exec_lo, s17
	v_cmp_gt_i16_e64 vcc_lo, 0, v170
	; wave barrier
	s_delay_alu instid0(VALU_DEP_1) | instskip(NEXT) | instid1(VALU_DEP_1)
	v_cndmask_b32_e64 v37, 0x7fff, 0, vcc_lo
	v_xor_b32_e32 v170, v37, v170
	s_delay_alu instid0(VALU_DEP_1) | instskip(SKIP_1) | instid1(VALU_DEP_1)
	v_cmp_ne_u16_e64 vcc_lo, 0x8000, v170
	v_cndmask_b32_e32 v37, 0x7fff, v170, vcc_lo
	v_and_b32_e32 v37, 0xffff, v37
	s_delay_alu instid0(VALU_DEP_1) | instskip(NEXT) | instid1(VALU_DEP_1)
	v_lshrrev_b32_e32 v37, s49, v37
	v_and_b32_e32 v37, s55, v37
	s_delay_alu instid0(VALU_DEP_1)
	v_and_b32_e32 v174, 1, v37
	v_lshlrev_b32_e32 v175, 30, v37
	v_lshlrev_b32_e32 v176, 29, v37
	v_lshlrev_b32_e32 v177, 28, v37
	v_lshlrev_b32_e32 v179, 27, v37
	v_add_co_u32 v174, s17, v174, -1
	s_delay_alu instid0(VALU_DEP_1)
	v_cndmask_b32_e64 v178, 0, 1, s17
	v_not_b32_e32 v182, v175
	v_cmp_gt_i32_e64 s17, 0, v175
	v_not_b32_e32 v175, v176
	v_lshlrev_b32_e32 v180, 26, v37
	v_cmp_ne_u32_e32 vcc_lo, 0, v178
	v_ashrrev_i32_e32 v182, 31, v182
	v_lshlrev_b32_e32 v181, 25, v37
	v_ashrrev_i32_e32 v175, 31, v175
	v_lshlrev_b32_e32 v178, 24, v37
	v_xor_b32_e32 v174, vcc_lo, v174
	v_cmp_gt_i32_e32 vcc_lo, 0, v176
	v_not_b32_e32 v176, v177
	v_xor_b32_e32 v182, s17, v182
	v_cmp_gt_i32_e64 s17, 0, v177
	v_and_b32_e32 v174, exec_lo, v174
	v_not_b32_e32 v177, v179
	v_ashrrev_i32_e32 v176, 31, v176
	v_xor_b32_e32 v175, vcc_lo, v175
	v_cmp_gt_i32_e32 vcc_lo, 0, v179
	v_and_b32_e32 v174, v174, v182
	v_not_b32_e32 v179, v180
	v_ashrrev_i32_e32 v177, 31, v177
	v_xor_b32_e32 v176, s17, v176
	v_cmp_gt_i32_e64 s17, 0, v180
	v_and_b32_e32 v174, v174, v175
	v_not_b32_e32 v175, v181
	v_ashrrev_i32_e32 v179, 31, v179
	v_xor_b32_e32 v177, vcc_lo, v177
	v_cmp_gt_i32_e32 vcc_lo, 0, v181
	v_and_b32_e32 v174, v174, v176
	v_not_b32_e32 v176, v178
	v_ashrrev_i32_e32 v175, 31, v175
	v_xor_b32_e32 v179, s17, v179
	v_mul_u32_u24_e32 v37, 9, v37
	v_and_b32_e32 v174, v174, v177
	v_cmp_gt_i32_e64 s17, 0, v178
	v_ashrrev_i32_e32 v176, 31, v176
	v_xor_b32_e32 v175, vcc_lo, v175
	v_add_lshl_u32 v177, v37, v126, 2
	v_and_b32_e32 v174, v174, v179
	s_delay_alu instid0(VALU_DEP_4) | instskip(NEXT) | instid1(VALU_DEP_3)
	v_xor_b32_e32 v37, s17, v176
	v_add_nc_u32_e32 v176, 0x420, v177
	s_delay_alu instid0(VALU_DEP_3) | instskip(SKIP_2) | instid1(VALU_DEP_1)
	v_and_b32_e32 v175, v174, v175
	ds_load_b32 v174, v177 offset:1056
	; wave barrier
	v_and_b32_e32 v37, v175, v37
	v_mbcnt_lo_u32_b32 v175, v37, 0
	v_cmp_ne_u32_e64 s17, 0, v37
	s_delay_alu instid0(VALU_DEP_2) | instskip(NEXT) | instid1(VALU_DEP_2)
	v_cmp_eq_u32_e32 vcc_lo, 0, v175
	s_and_b32 s18, s17, vcc_lo
	s_delay_alu instid0(SALU_CYCLE_1)
	s_and_saveexec_b32 s17, s18
	s_cbranch_execz .LBB1983_1042
; %bb.1041:                             ;   in Loop: Header=BB1983_990 Depth=2
	s_waitcnt lgkmcnt(0)
	v_bcnt_u32_b32 v37, v37, v174
	ds_store_b32 v176, v37
.LBB1983_1042:                          ;   in Loop: Header=BB1983_990 Depth=2
	s_or_b32 exec_lo, exec_lo, s17
	v_cmp_gt_i16_e64 vcc_lo, 0, v169
	; wave barrier
	s_delay_alu instid0(VALU_DEP_1) | instskip(NEXT) | instid1(VALU_DEP_1)
	v_cndmask_b32_e64 v37, 0x7fff, 0, vcc_lo
	v_xor_b32_e32 v169, v37, v169
	s_delay_alu instid0(VALU_DEP_1) | instskip(SKIP_1) | instid1(VALU_DEP_1)
	v_cmp_ne_u16_e64 vcc_lo, 0x8000, v169
	v_cndmask_b32_e32 v37, 0x7fff, v169, vcc_lo
	v_and_b32_e32 v37, 0xffff, v37
	s_delay_alu instid0(VALU_DEP_1) | instskip(NEXT) | instid1(VALU_DEP_1)
	v_lshrrev_b32_e32 v37, s49, v37
	v_and_b32_e32 v37, s55, v37
	s_delay_alu instid0(VALU_DEP_1)
	v_and_b32_e32 v177, 1, v37
	v_lshlrev_b32_e32 v178, 30, v37
	v_lshlrev_b32_e32 v179, 29, v37
	;; [unrolled: 1-line block ×4, first 2 shown]
	v_add_co_u32 v177, s17, v177, -1
	s_delay_alu instid0(VALU_DEP_1)
	v_cndmask_b32_e64 v181, 0, 1, s17
	v_not_b32_e32 v185, v178
	v_cmp_gt_i32_e64 s17, 0, v178
	v_not_b32_e32 v178, v179
	v_lshlrev_b32_e32 v183, 26, v37
	v_cmp_ne_u32_e32 vcc_lo, 0, v181
	v_ashrrev_i32_e32 v185, 31, v185
	v_lshlrev_b32_e32 v184, 25, v37
	v_ashrrev_i32_e32 v178, 31, v178
	v_lshlrev_b32_e32 v181, 24, v37
	v_xor_b32_e32 v177, vcc_lo, v177
	v_cmp_gt_i32_e32 vcc_lo, 0, v179
	v_not_b32_e32 v179, v180
	v_xor_b32_e32 v185, s17, v185
	v_cmp_gt_i32_e64 s17, 0, v180
	v_and_b32_e32 v177, exec_lo, v177
	v_not_b32_e32 v180, v182
	v_ashrrev_i32_e32 v179, 31, v179
	v_xor_b32_e32 v178, vcc_lo, v178
	v_cmp_gt_i32_e32 vcc_lo, 0, v182
	v_and_b32_e32 v177, v177, v185
	v_not_b32_e32 v182, v183
	v_ashrrev_i32_e32 v180, 31, v180
	v_xor_b32_e32 v179, s17, v179
	v_cmp_gt_i32_e64 s17, 0, v183
	v_and_b32_e32 v177, v177, v178
	v_not_b32_e32 v178, v184
	v_ashrrev_i32_e32 v182, 31, v182
	v_xor_b32_e32 v180, vcc_lo, v180
	v_cmp_gt_i32_e32 vcc_lo, 0, v184
	v_and_b32_e32 v177, v177, v179
	v_not_b32_e32 v179, v181
	v_ashrrev_i32_e32 v178, 31, v178
	v_xor_b32_e32 v182, s17, v182
	v_mul_u32_u24_e32 v37, 9, v37
	v_and_b32_e32 v177, v177, v180
	v_cmp_gt_i32_e64 s17, 0, v181
	v_ashrrev_i32_e32 v179, 31, v179
	v_xor_b32_e32 v178, vcc_lo, v178
	v_add_lshl_u32 v180, v37, v126, 2
	v_and_b32_e32 v177, v177, v182
	s_delay_alu instid0(VALU_DEP_4) | instskip(NEXT) | instid1(VALU_DEP_2)
	v_xor_b32_e32 v37, s17, v179
	v_and_b32_e32 v177, v177, v178
	ds_load_b32 v178, v180 offset:1056
	v_add_nc_u32_e32 v180, 0x420, v180
	; wave barrier
	v_and_b32_e32 v37, v177, v37
	s_delay_alu instid0(VALU_DEP_1) | instskip(SKIP_1) | instid1(VALU_DEP_2)
	v_mbcnt_lo_u32_b32 v179, v37, 0
	v_cmp_ne_u32_e64 s17, 0, v37
	v_cmp_eq_u32_e32 vcc_lo, 0, v179
	s_delay_alu instid0(VALU_DEP_2) | instskip(NEXT) | instid1(SALU_CYCLE_1)
	s_and_b32 s18, s17, vcc_lo
	s_and_saveexec_b32 s17, s18
	s_cbranch_execz .LBB1983_1044
; %bb.1043:                             ;   in Loop: Header=BB1983_990 Depth=2
	s_waitcnt lgkmcnt(0)
	v_bcnt_u32_b32 v37, v37, v178
	ds_store_b32 v180, v37
.LBB1983_1044:                          ;   in Loop: Header=BB1983_990 Depth=2
	s_or_b32 exec_lo, exec_lo, s17
	v_cmp_gt_i16_e32 vcc_lo, 0, v43
	; wave barrier
	v_cndmask_b32_e64 v37, 0x7fff, 0, vcc_lo
	s_delay_alu instid0(VALU_DEP_1) | instskip(NEXT) | instid1(VALU_DEP_1)
	v_xor_b32_e32 v177, v37, v43
	v_cmp_ne_u16_e64 vcc_lo, 0x8000, v177
	v_cndmask_b32_e32 v37, 0x7fff, v177, vcc_lo
	s_delay_alu instid0(VALU_DEP_1) | instskip(NEXT) | instid1(VALU_DEP_1)
	v_and_b32_e32 v37, 0xffff, v37
	v_lshrrev_b32_e32 v37, s49, v37
	s_delay_alu instid0(VALU_DEP_1) | instskip(NEXT) | instid1(VALU_DEP_1)
	v_and_b32_e32 v37, s55, v37
	v_and_b32_e32 v43, 1, v37
	v_lshlrev_b32_e32 v181, 30, v37
	v_lshlrev_b32_e32 v182, 29, v37
	;; [unrolled: 1-line block ×4, first 2 shown]
	v_add_co_u32 v43, s17, v43, -1
	s_delay_alu instid0(VALU_DEP_1)
	v_cndmask_b32_e64 v184, 0, 1, s17
	v_not_b32_e32 v188, v181
	v_cmp_gt_i32_e64 s17, 0, v181
	v_not_b32_e32 v181, v182
	v_lshlrev_b32_e32 v186, 26, v37
	v_cmp_ne_u32_e32 vcc_lo, 0, v184
	v_ashrrev_i32_e32 v188, 31, v188
	v_lshlrev_b32_e32 v187, 25, v37
	v_ashrrev_i32_e32 v181, 31, v181
	v_lshlrev_b32_e32 v184, 24, v37
	v_xor_b32_e32 v43, vcc_lo, v43
	v_cmp_gt_i32_e32 vcc_lo, 0, v182
	v_not_b32_e32 v182, v183
	v_xor_b32_e32 v188, s17, v188
	v_cmp_gt_i32_e64 s17, 0, v183
	v_and_b32_e32 v43, exec_lo, v43
	v_not_b32_e32 v183, v185
	v_ashrrev_i32_e32 v182, 31, v182
	v_xor_b32_e32 v181, vcc_lo, v181
	v_cmp_gt_i32_e32 vcc_lo, 0, v185
	v_and_b32_e32 v43, v43, v188
	v_not_b32_e32 v185, v186
	v_ashrrev_i32_e32 v183, 31, v183
	v_xor_b32_e32 v182, s17, v182
	v_cmp_gt_i32_e64 s17, 0, v186
	v_and_b32_e32 v43, v43, v181
	v_not_b32_e32 v181, v187
	v_ashrrev_i32_e32 v185, 31, v185
	v_xor_b32_e32 v183, vcc_lo, v183
	v_cmp_gt_i32_e32 vcc_lo, 0, v187
	v_and_b32_e32 v43, v43, v182
	v_not_b32_e32 v182, v184
	v_ashrrev_i32_e32 v181, 31, v181
	v_xor_b32_e32 v185, s17, v185
	v_mul_u32_u24_e32 v37, 9, v37
	v_and_b32_e32 v43, v43, v183
	v_cmp_gt_i32_e64 s17, 0, v184
	v_ashrrev_i32_e32 v182, 31, v182
	v_xor_b32_e32 v181, vcc_lo, v181
	v_add_lshl_u32 v184, v37, v126, 2
	v_and_b32_e32 v43, v43, v185
	s_delay_alu instid0(VALU_DEP_4) | instskip(SKIP_3) | instid1(VALU_DEP_2)
	v_xor_b32_e32 v37, s17, v182
	ds_load_b32 v182, v184 offset:1056
	v_and_b32_e32 v43, v43, v181
	v_add_nc_u32_e32 v184, 0x420, v184
	; wave barrier
	v_and_b32_e32 v37, v43, v37
	s_delay_alu instid0(VALU_DEP_1) | instskip(SKIP_1) | instid1(VALU_DEP_2)
	v_mbcnt_lo_u32_b32 v183, v37, 0
	v_cmp_ne_u32_e64 s17, 0, v37
	v_cmp_eq_u32_e32 vcc_lo, 0, v183
	s_delay_alu instid0(VALU_DEP_2) | instskip(NEXT) | instid1(SALU_CYCLE_1)
	s_and_b32 s18, s17, vcc_lo
	s_and_saveexec_b32 s17, s18
	s_cbranch_execz .LBB1983_1046
; %bb.1045:                             ;   in Loop: Header=BB1983_990 Depth=2
	s_waitcnt lgkmcnt(0)
	v_bcnt_u32_b32 v37, v37, v182
	ds_store_b32 v184, v37
.LBB1983_1046:                          ;   in Loop: Header=BB1983_990 Depth=2
	s_or_b32 exec_lo, exec_lo, s17
	v_cmp_gt_i16_e32 vcc_lo, 0, v42
	; wave barrier
	v_cndmask_b32_e64 v37, 0x7fff, 0, vcc_lo
	s_delay_alu instid0(VALU_DEP_1) | instskip(NEXT) | instid1(VALU_DEP_1)
	v_xor_b32_e32 v181, v37, v42
	v_cmp_ne_u16_e64 vcc_lo, 0x8000, v181
	v_cndmask_b32_e32 v37, 0x7fff, v181, vcc_lo
	s_delay_alu instid0(VALU_DEP_1) | instskip(NEXT) | instid1(VALU_DEP_1)
	v_and_b32_e32 v37, 0xffff, v37
	v_lshrrev_b32_e32 v37, s49, v37
	s_delay_alu instid0(VALU_DEP_1) | instskip(NEXT) | instid1(VALU_DEP_1)
	v_and_b32_e32 v37, s55, v37
	v_and_b32_e32 v42, 1, v37
	v_lshlrev_b32_e32 v43, 30, v37
	v_lshlrev_b32_e32 v185, 29, v37
	;; [unrolled: 1-line block ×4, first 2 shown]
	v_add_co_u32 v42, s17, v42, -1
	s_delay_alu instid0(VALU_DEP_1)
	v_cndmask_b32_e64 v187, 0, 1, s17
	v_not_b32_e32 v191, v43
	v_cmp_gt_i32_e64 s17, 0, v43
	v_not_b32_e32 v43, v185
	v_lshlrev_b32_e32 v189, 26, v37
	v_cmp_ne_u32_e32 vcc_lo, 0, v187
	v_ashrrev_i32_e32 v191, 31, v191
	v_lshlrev_b32_e32 v190, 25, v37
	v_ashrrev_i32_e32 v43, 31, v43
	v_lshlrev_b32_e32 v187, 24, v37
	v_xor_b32_e32 v42, vcc_lo, v42
	v_cmp_gt_i32_e32 vcc_lo, 0, v185
	v_not_b32_e32 v185, v186
	v_xor_b32_e32 v191, s17, v191
	v_cmp_gt_i32_e64 s17, 0, v186
	v_and_b32_e32 v42, exec_lo, v42
	v_not_b32_e32 v186, v188
	v_ashrrev_i32_e32 v185, 31, v185
	v_xor_b32_e32 v43, vcc_lo, v43
	v_cmp_gt_i32_e32 vcc_lo, 0, v188
	v_and_b32_e32 v42, v42, v191
	v_not_b32_e32 v188, v189
	v_ashrrev_i32_e32 v186, 31, v186
	v_xor_b32_e32 v185, s17, v185
	v_cmp_gt_i32_e64 s17, 0, v189
	v_and_b32_e32 v42, v42, v43
	v_not_b32_e32 v43, v190
	v_ashrrev_i32_e32 v188, 31, v188
	v_xor_b32_e32 v186, vcc_lo, v186
	v_cmp_gt_i32_e32 vcc_lo, 0, v190
	v_and_b32_e32 v42, v42, v185
	v_not_b32_e32 v185, v187
	v_ashrrev_i32_e32 v43, 31, v43
	v_xor_b32_e32 v188, s17, v188
	v_mul_u32_u24_e32 v37, 9, v37
	v_and_b32_e32 v42, v42, v186
	v_cmp_gt_i32_e64 s17, 0, v187
	v_ashrrev_i32_e32 v185, 31, v185
	v_xor_b32_e32 v43, vcc_lo, v43
	s_delay_alu instid0(VALU_DEP_4) | instskip(SKIP_1) | instid1(VALU_DEP_4)
	v_and_b32_e32 v42, v42, v188
	v_add_lshl_u32 v188, v37, v126, 2
	v_xor_b32_e32 v37, s17, v185
	s_delay_alu instid0(VALU_DEP_3) | instskip(SKIP_3) | instid1(VALU_DEP_1)
	v_and_b32_e32 v42, v42, v43
	ds_load_b32 v186, v188 offset:1056
	v_add_nc_u32_e32 v188, 0x420, v188
	; wave barrier
	v_and_b32_e32 v37, v42, v37
	v_mbcnt_lo_u32_b32 v187, v37, 0
	v_cmp_ne_u32_e64 s17, 0, v37
	s_delay_alu instid0(VALU_DEP_2) | instskip(NEXT) | instid1(VALU_DEP_2)
	v_cmp_eq_u32_e32 vcc_lo, 0, v187
	s_and_b32 s18, s17, vcc_lo
	s_delay_alu instid0(SALU_CYCLE_1)
	s_and_saveexec_b32 s17, s18
	s_cbranch_execz .LBB1983_1048
; %bb.1047:                             ;   in Loop: Header=BB1983_990 Depth=2
	s_waitcnt lgkmcnt(0)
	v_bcnt_u32_b32 v37, v37, v186
	ds_store_b32 v188, v37
.LBB1983_1048:                          ;   in Loop: Header=BB1983_990 Depth=2
	s_or_b32 exec_lo, exec_lo, s17
	v_cmp_gt_i16_e32 vcc_lo, 0, v41
	; wave barrier
	v_cndmask_b32_e64 v37, 0x7fff, 0, vcc_lo
	s_delay_alu instid0(VALU_DEP_1) | instskip(NEXT) | instid1(VALU_DEP_1)
	v_xor_b32_e32 v185, v37, v41
	v_cmp_ne_u16_e64 vcc_lo, 0x8000, v185
	v_cndmask_b32_e32 v37, 0x7fff, v185, vcc_lo
	s_delay_alu instid0(VALU_DEP_1) | instskip(NEXT) | instid1(VALU_DEP_1)
	v_and_b32_e32 v37, 0xffff, v37
	v_lshrrev_b32_e32 v37, s49, v37
	s_delay_alu instid0(VALU_DEP_1) | instskip(NEXT) | instid1(VALU_DEP_1)
	v_and_b32_e32 v37, s55, v37
	v_and_b32_e32 v41, 1, v37
	v_lshlrev_b32_e32 v42, 30, v37
	v_lshlrev_b32_e32 v43, 29, v37
	;; [unrolled: 1-line block ×4, first 2 shown]
	v_add_co_u32 v41, s17, v41, -1
	s_delay_alu instid0(VALU_DEP_1)
	v_cndmask_b32_e64 v190, 0, 1, s17
	v_not_b32_e32 v194, v42
	v_cmp_gt_i32_e64 s17, 0, v42
	v_not_b32_e32 v42, v43
	v_lshlrev_b32_e32 v192, 26, v37
	v_cmp_ne_u32_e32 vcc_lo, 0, v190
	v_ashrrev_i32_e32 v194, 31, v194
	v_lshlrev_b32_e32 v193, 25, v37
	v_ashrrev_i32_e32 v42, 31, v42
	v_lshlrev_b32_e32 v190, 24, v37
	v_xor_b32_e32 v41, vcc_lo, v41
	v_cmp_gt_i32_e32 vcc_lo, 0, v43
	v_not_b32_e32 v43, v189
	v_xor_b32_e32 v194, s17, v194
	v_cmp_gt_i32_e64 s17, 0, v189
	v_and_b32_e32 v41, exec_lo, v41
	v_not_b32_e32 v189, v191
	v_ashrrev_i32_e32 v43, 31, v43
	v_xor_b32_e32 v42, vcc_lo, v42
	v_cmp_gt_i32_e32 vcc_lo, 0, v191
	v_and_b32_e32 v41, v41, v194
	v_not_b32_e32 v191, v192
	v_ashrrev_i32_e32 v189, 31, v189
	v_xor_b32_e32 v43, s17, v43
	v_cmp_gt_i32_e64 s17, 0, v192
	v_and_b32_e32 v41, v41, v42
	v_not_b32_e32 v42, v193
	v_ashrrev_i32_e32 v191, 31, v191
	v_xor_b32_e32 v189, vcc_lo, v189
	v_cmp_gt_i32_e32 vcc_lo, 0, v193
	v_and_b32_e32 v41, v41, v43
	v_not_b32_e32 v43, v190
	v_ashrrev_i32_e32 v42, 31, v42
	v_xor_b32_e32 v191, s17, v191
	v_mul_u32_u24_e32 v37, 9, v37
	v_and_b32_e32 v41, v41, v189
	v_cmp_gt_i32_e64 s17, 0, v190
	v_ashrrev_i32_e32 v43, 31, v43
	v_xor_b32_e32 v42, vcc_lo, v42
	v_add_lshl_u32 v189, v37, v126, 2
	v_and_b32_e32 v41, v41, v191
	s_delay_alu instid0(VALU_DEP_4) | instskip(SKIP_3) | instid1(VALU_DEP_2)
	v_xor_b32_e32 v37, s17, v43
	ds_load_b32 v190, v189 offset:1056
	v_and_b32_e32 v41, v41, v42
	v_add_nc_u32_e32 v192, 0x420, v189
	; wave barrier
	v_and_b32_e32 v37, v41, v37
	s_delay_alu instid0(VALU_DEP_1) | instskip(SKIP_1) | instid1(VALU_DEP_2)
	v_mbcnt_lo_u32_b32 v191, v37, 0
	v_cmp_ne_u32_e64 s17, 0, v37
	v_cmp_eq_u32_e32 vcc_lo, 0, v191
	s_delay_alu instid0(VALU_DEP_2) | instskip(NEXT) | instid1(SALU_CYCLE_1)
	s_and_b32 s18, s17, vcc_lo
	s_and_saveexec_b32 s17, s18
	s_cbranch_execz .LBB1983_1050
; %bb.1049:                             ;   in Loop: Header=BB1983_990 Depth=2
	s_waitcnt lgkmcnt(0)
	v_bcnt_u32_b32 v37, v37, v190
	ds_store_b32 v192, v37
.LBB1983_1050:                          ;   in Loop: Header=BB1983_990 Depth=2
	s_or_b32 exec_lo, exec_lo, s17
	v_cmp_gt_i16_e32 vcc_lo, 0, v40
	; wave barrier
	v_cndmask_b32_e64 v37, 0x7fff, 0, vcc_lo
	s_delay_alu instid0(VALU_DEP_1) | instskip(NEXT) | instid1(VALU_DEP_1)
	v_xor_b32_e32 v189, v37, v40
	v_cmp_ne_u16_e64 vcc_lo, 0x8000, v189
	v_cndmask_b32_e32 v37, 0x7fff, v189, vcc_lo
	s_delay_alu instid0(VALU_DEP_1) | instskip(NEXT) | instid1(VALU_DEP_1)
	v_and_b32_e32 v37, 0xffff, v37
	v_lshrrev_b32_e32 v37, s49, v37
	s_delay_alu instid0(VALU_DEP_1) | instskip(NEXT) | instid1(VALU_DEP_1)
	v_and_b32_e32 v37, s55, v37
	v_and_b32_e32 v40, 1, v37
	v_lshlrev_b32_e32 v41, 30, v37
	v_lshlrev_b32_e32 v42, 29, v37
	;; [unrolled: 1-line block ×4, first 2 shown]
	v_add_co_u32 v40, s17, v40, -1
	s_delay_alu instid0(VALU_DEP_1)
	v_cndmask_b32_e64 v193, 0, 1, s17
	v_not_b32_e32 v197, v41
	v_cmp_gt_i32_e64 s17, 0, v41
	v_not_b32_e32 v41, v42
	v_lshlrev_b32_e32 v195, 26, v37
	v_cmp_ne_u32_e32 vcc_lo, 0, v193
	v_ashrrev_i32_e32 v197, 31, v197
	v_lshlrev_b32_e32 v196, 25, v37
	v_ashrrev_i32_e32 v41, 31, v41
	v_lshlrev_b32_e32 v193, 24, v37
	v_xor_b32_e32 v40, vcc_lo, v40
	v_cmp_gt_i32_e32 vcc_lo, 0, v42
	v_not_b32_e32 v42, v43
	v_xor_b32_e32 v197, s17, v197
	v_cmp_gt_i32_e64 s17, 0, v43
	v_and_b32_e32 v40, exec_lo, v40
	v_not_b32_e32 v43, v194
	v_ashrrev_i32_e32 v42, 31, v42
	v_xor_b32_e32 v41, vcc_lo, v41
	v_cmp_gt_i32_e32 vcc_lo, 0, v194
	v_and_b32_e32 v40, v40, v197
	v_not_b32_e32 v194, v195
	v_ashrrev_i32_e32 v43, 31, v43
	v_xor_b32_e32 v42, s17, v42
	v_cmp_gt_i32_e64 s17, 0, v195
	v_and_b32_e32 v40, v40, v41
	v_not_b32_e32 v41, v196
	v_ashrrev_i32_e32 v194, 31, v194
	v_xor_b32_e32 v43, vcc_lo, v43
	v_cmp_gt_i32_e32 vcc_lo, 0, v196
	v_and_b32_e32 v40, v40, v42
	v_not_b32_e32 v42, v193
	v_ashrrev_i32_e32 v41, 31, v41
	v_xor_b32_e32 v194, s17, v194
	v_mul_u32_u24_e32 v37, 9, v37
	v_and_b32_e32 v40, v40, v43
	v_cmp_gt_i32_e64 s17, 0, v193
	v_ashrrev_i32_e32 v42, 31, v42
	v_xor_b32_e32 v41, vcc_lo, v41
	v_add_lshl_u32 v43, v37, v126, 2
	v_and_b32_e32 v40, v40, v194
	s_delay_alu instid0(VALU_DEP_4) | instskip(SKIP_3) | instid1(VALU_DEP_2)
	v_xor_b32_e32 v37, s17, v42
	ds_load_b32 v194, v43 offset:1056
	v_and_b32_e32 v40, v40, v41
	v_add_nc_u32_e32 v196, 0x420, v43
	; wave barrier
	v_and_b32_e32 v37, v40, v37
	s_delay_alu instid0(VALU_DEP_1) | instskip(SKIP_1) | instid1(VALU_DEP_2)
	v_mbcnt_lo_u32_b32 v195, v37, 0
	v_cmp_ne_u32_e64 s17, 0, v37
	v_cmp_eq_u32_e32 vcc_lo, 0, v195
	s_delay_alu instid0(VALU_DEP_2) | instskip(NEXT) | instid1(SALU_CYCLE_1)
	s_and_b32 s18, s17, vcc_lo
	s_and_saveexec_b32 s17, s18
	s_cbranch_execz .LBB1983_1052
; %bb.1051:                             ;   in Loop: Header=BB1983_990 Depth=2
	s_waitcnt lgkmcnt(0)
	v_bcnt_u32_b32 v37, v37, v194
	ds_store_b32 v196, v37
.LBB1983_1052:                          ;   in Loop: Header=BB1983_990 Depth=2
	s_or_b32 exec_lo, exec_lo, s17
	v_cmp_gt_i16_e32 vcc_lo, 0, v39
	; wave barrier
	v_cndmask_b32_e64 v37, 0x7fff, 0, vcc_lo
	s_delay_alu instid0(VALU_DEP_1) | instskip(NEXT) | instid1(VALU_DEP_1)
	v_xor_b32_e32 v193, v37, v39
	v_cmp_ne_u16_e64 vcc_lo, 0x8000, v193
	v_cndmask_b32_e32 v37, 0x7fff, v193, vcc_lo
	s_delay_alu instid0(VALU_DEP_1) | instskip(NEXT) | instid1(VALU_DEP_1)
	v_and_b32_e32 v37, 0xffff, v37
	v_lshrrev_b32_e32 v37, s49, v37
	s_delay_alu instid0(VALU_DEP_1) | instskip(NEXT) | instid1(VALU_DEP_1)
	v_and_b32_e32 v37, s55, v37
	v_and_b32_e32 v39, 1, v37
	v_lshlrev_b32_e32 v40, 30, v37
	v_lshlrev_b32_e32 v41, 29, v37
	;; [unrolled: 1-line block ×4, first 2 shown]
	v_add_co_u32 v39, s17, v39, -1
	s_delay_alu instid0(VALU_DEP_1)
	v_cndmask_b32_e64 v43, 0, 1, s17
	v_not_b32_e32 v200, v40
	v_cmp_gt_i32_e64 s17, 0, v40
	v_not_b32_e32 v40, v41
	v_lshlrev_b32_e32 v198, 26, v37
	v_cmp_ne_u32_e32 vcc_lo, 0, v43
	v_ashrrev_i32_e32 v200, 31, v200
	v_lshlrev_b32_e32 v199, 25, v37
	v_ashrrev_i32_e32 v40, 31, v40
	v_lshlrev_b32_e32 v43, 24, v37
	v_xor_b32_e32 v39, vcc_lo, v39
	v_cmp_gt_i32_e32 vcc_lo, 0, v41
	v_not_b32_e32 v41, v42
	v_xor_b32_e32 v200, s17, v200
	v_cmp_gt_i32_e64 s17, 0, v42
	v_and_b32_e32 v39, exec_lo, v39
	v_not_b32_e32 v42, v197
	v_ashrrev_i32_e32 v41, 31, v41
	v_xor_b32_e32 v40, vcc_lo, v40
	v_cmp_gt_i32_e32 vcc_lo, 0, v197
	v_and_b32_e32 v39, v39, v200
	v_not_b32_e32 v197, v198
	v_ashrrev_i32_e32 v42, 31, v42
	v_xor_b32_e32 v41, s17, v41
	v_cmp_gt_i32_e64 s17, 0, v198
	v_and_b32_e32 v39, v39, v40
	v_not_b32_e32 v40, v199
	v_ashrrev_i32_e32 v197, 31, v197
	v_xor_b32_e32 v42, vcc_lo, v42
	v_cmp_gt_i32_e32 vcc_lo, 0, v199
	v_and_b32_e32 v39, v39, v41
	v_not_b32_e32 v41, v43
	v_ashrrev_i32_e32 v40, 31, v40
	v_xor_b32_e32 v197, s17, v197
	v_mul_u32_u24_e32 v37, 9, v37
	v_and_b32_e32 v39, v39, v42
	v_cmp_gt_i32_e64 s17, 0, v43
	v_ashrrev_i32_e32 v41, 31, v41
	v_xor_b32_e32 v40, vcc_lo, v40
	v_add_lshl_u32 v42, v37, v126, 2
	v_and_b32_e32 v39, v39, v197
	s_delay_alu instid0(VALU_DEP_4) | instskip(SKIP_3) | instid1(VALU_DEP_2)
	v_xor_b32_e32 v37, s17, v41
	ds_load_b32 v198, v42 offset:1056
	v_and_b32_e32 v39, v39, v40
	v_add_nc_u32_e32 v200, 0x420, v42
	; wave barrier
	v_and_b32_e32 v37, v39, v37
	s_delay_alu instid0(VALU_DEP_1) | instskip(SKIP_1) | instid1(VALU_DEP_2)
	v_mbcnt_lo_u32_b32 v199, v37, 0
	v_cmp_ne_u32_e64 s17, 0, v37
	v_cmp_eq_u32_e32 vcc_lo, 0, v199
	s_delay_alu instid0(VALU_DEP_2) | instskip(NEXT) | instid1(SALU_CYCLE_1)
	s_and_b32 s18, s17, vcc_lo
	s_and_saveexec_b32 s17, s18
	s_cbranch_execz .LBB1983_1054
; %bb.1053:                             ;   in Loop: Header=BB1983_990 Depth=2
	s_waitcnt lgkmcnt(0)
	v_bcnt_u32_b32 v37, v37, v198
	ds_store_b32 v200, v37
.LBB1983_1054:                          ;   in Loop: Header=BB1983_990 Depth=2
	s_or_b32 exec_lo, exec_lo, s17
	v_cmp_gt_i16_e32 vcc_lo, 0, v38
	; wave barrier
	v_cndmask_b32_e64 v37, 0x7fff, 0, vcc_lo
	s_delay_alu instid0(VALU_DEP_1) | instskip(NEXT) | instid1(VALU_DEP_1)
	v_xor_b32_e32 v197, v37, v38
	v_cmp_ne_u16_e64 vcc_lo, 0x8000, v197
	v_cndmask_b32_e32 v37, 0x7fff, v197, vcc_lo
	s_delay_alu instid0(VALU_DEP_1) | instskip(NEXT) | instid1(VALU_DEP_1)
	v_and_b32_e32 v37, 0xffff, v37
	v_lshrrev_b32_e32 v37, s49, v37
	s_delay_alu instid0(VALU_DEP_1) | instskip(NEXT) | instid1(VALU_DEP_1)
	v_and_b32_e32 v37, s55, v37
	v_and_b32_e32 v38, 1, v37
	v_lshlrev_b32_e32 v39, 30, v37
	v_lshlrev_b32_e32 v40, 29, v37
	;; [unrolled: 1-line block ×4, first 2 shown]
	v_add_co_u32 v38, s17, v38, -1
	s_delay_alu instid0(VALU_DEP_1)
	v_cndmask_b32_e64 v42, 0, 1, s17
	v_not_b32_e32 v203, v39
	v_cmp_gt_i32_e64 s17, 0, v39
	v_not_b32_e32 v39, v40
	v_lshlrev_b32_e32 v201, 26, v37
	v_cmp_ne_u32_e32 vcc_lo, 0, v42
	v_ashrrev_i32_e32 v203, 31, v203
	v_lshlrev_b32_e32 v202, 25, v37
	v_ashrrev_i32_e32 v39, 31, v39
	v_lshlrev_b32_e32 v42, 24, v37
	v_xor_b32_e32 v38, vcc_lo, v38
	v_cmp_gt_i32_e32 vcc_lo, 0, v40
	v_not_b32_e32 v40, v41
	v_xor_b32_e32 v203, s17, v203
	v_cmp_gt_i32_e64 s17, 0, v41
	v_and_b32_e32 v38, exec_lo, v38
	v_not_b32_e32 v41, v43
	v_ashrrev_i32_e32 v40, 31, v40
	v_xor_b32_e32 v39, vcc_lo, v39
	v_cmp_gt_i32_e32 vcc_lo, 0, v43
	v_and_b32_e32 v38, v38, v203
	v_not_b32_e32 v43, v201
	v_ashrrev_i32_e32 v41, 31, v41
	v_xor_b32_e32 v40, s17, v40
	v_cmp_gt_i32_e64 s17, 0, v201
	v_and_b32_e32 v38, v38, v39
	v_not_b32_e32 v39, v202
	v_ashrrev_i32_e32 v43, 31, v43
	v_xor_b32_e32 v41, vcc_lo, v41
	v_cmp_gt_i32_e32 vcc_lo, 0, v202
	v_and_b32_e32 v38, v38, v40
	v_not_b32_e32 v40, v42
	v_ashrrev_i32_e32 v39, 31, v39
	v_xor_b32_e32 v43, s17, v43
	v_mul_u32_u24_e32 v37, 9, v37
	v_and_b32_e32 v38, v38, v41
	v_cmp_gt_i32_e64 s17, 0, v42
	v_ashrrev_i32_e32 v40, 31, v40
	v_xor_b32_e32 v39, vcc_lo, v39
	v_add_lshl_u32 v41, v37, v126, 2
	v_and_b32_e32 v38, v38, v43
	s_delay_alu instid0(VALU_DEP_4) | instskip(SKIP_3) | instid1(VALU_DEP_2)
	v_xor_b32_e32 v37, s17, v40
	ds_load_b32 v202, v41 offset:1056
	v_and_b32_e32 v38, v38, v39
	v_add_nc_u32_e32 v204, 0x420, v41
	; wave barrier
	v_and_b32_e32 v37, v38, v37
	s_delay_alu instid0(VALU_DEP_1) | instskip(SKIP_1) | instid1(VALU_DEP_2)
	v_mbcnt_lo_u32_b32 v203, v37, 0
	v_cmp_ne_u32_e64 s17, 0, v37
	v_cmp_eq_u32_e32 vcc_lo, 0, v203
	s_delay_alu instid0(VALU_DEP_2) | instskip(NEXT) | instid1(SALU_CYCLE_1)
	s_and_b32 s18, s17, vcc_lo
	s_and_saveexec_b32 s17, s18
	s_cbranch_execz .LBB1983_1056
; %bb.1055:                             ;   in Loop: Header=BB1983_990 Depth=2
	s_waitcnt lgkmcnt(0)
	v_bcnt_u32_b32 v37, v37, v202
	ds_store_b32 v204, v37
.LBB1983_1056:                          ;   in Loop: Header=BB1983_990 Depth=2
	s_or_b32 exec_lo, exec_lo, s17
	v_cmp_gt_i16_e32 vcc_lo, 0, v36
	; wave barrier
	v_cndmask_b32_e64 v37, 0x7fff, 0, vcc_lo
	s_delay_alu instid0(VALU_DEP_1) | instskip(NEXT) | instid1(VALU_DEP_1)
	v_xor_b32_e32 v201, v37, v36
	v_cmp_ne_u16_e64 vcc_lo, 0x8000, v201
	v_cndmask_b32_e32 v36, 0x7fff, v201, vcc_lo
	s_delay_alu instid0(VALU_DEP_1) | instskip(NEXT) | instid1(VALU_DEP_1)
	v_and_b32_e32 v36, 0xffff, v36
	v_lshrrev_b32_e32 v36, s49, v36
	s_delay_alu instid0(VALU_DEP_1) | instskip(NEXT) | instid1(VALU_DEP_1)
	v_and_b32_e32 v36, s55, v36
	v_and_b32_e32 v37, 1, v36
	v_lshlrev_b32_e32 v38, 30, v36
	v_lshlrev_b32_e32 v39, 29, v36
	;; [unrolled: 1-line block ×4, first 2 shown]
	v_add_co_u32 v37, s17, v37, -1
	s_delay_alu instid0(VALU_DEP_1)
	v_cndmask_b32_e64 v41, 0, 1, s17
	v_not_b32_e32 v206, v38
	v_cmp_gt_i32_e64 s17, 0, v38
	v_not_b32_e32 v38, v39
	v_lshlrev_b32_e32 v43, 26, v36
	v_cmp_ne_u32_e32 vcc_lo, 0, v41
	v_ashrrev_i32_e32 v206, 31, v206
	v_lshlrev_b32_e32 v205, 25, v36
	v_ashrrev_i32_e32 v38, 31, v38
	v_lshlrev_b32_e32 v41, 24, v36
	v_xor_b32_e32 v37, vcc_lo, v37
	v_cmp_gt_i32_e32 vcc_lo, 0, v39
	v_not_b32_e32 v39, v40
	v_xor_b32_e32 v206, s17, v206
	v_cmp_gt_i32_e64 s17, 0, v40
	v_and_b32_e32 v37, exec_lo, v37
	v_not_b32_e32 v40, v42
	v_ashrrev_i32_e32 v39, 31, v39
	v_xor_b32_e32 v38, vcc_lo, v38
	v_cmp_gt_i32_e32 vcc_lo, 0, v42
	v_and_b32_e32 v37, v37, v206
	v_not_b32_e32 v42, v43
	v_ashrrev_i32_e32 v40, 31, v40
	v_xor_b32_e32 v39, s17, v39
	v_cmp_gt_i32_e64 s17, 0, v43
	v_and_b32_e32 v37, v37, v38
	v_not_b32_e32 v38, v205
	v_ashrrev_i32_e32 v42, 31, v42
	v_xor_b32_e32 v40, vcc_lo, v40
	v_cmp_gt_i32_e32 vcc_lo, 0, v205
	v_and_b32_e32 v37, v37, v39
	v_not_b32_e32 v39, v41
	v_ashrrev_i32_e32 v38, 31, v38
	v_xor_b32_e32 v42, s17, v42
	v_mul_u32_u24_e32 v36, 9, v36
	v_and_b32_e32 v37, v37, v40
	v_cmp_gt_i32_e64 s17, 0, v41
	v_ashrrev_i32_e32 v39, 31, v39
	v_xor_b32_e32 v38, vcc_lo, v38
	v_add_lshl_u32 v40, v36, v126, 2
	v_and_b32_e32 v37, v37, v42
	s_delay_alu instid0(VALU_DEP_4) | instskip(SKIP_3) | instid1(VALU_DEP_2)
	v_xor_b32_e32 v36, s17, v39
	ds_load_b32 v205, v40 offset:1056
	v_and_b32_e32 v37, v37, v38
	v_add_nc_u32_e32 v207, 0x420, v40
	; wave barrier
	v_and_b32_e32 v36, v37, v36
	s_delay_alu instid0(VALU_DEP_1) | instskip(SKIP_1) | instid1(VALU_DEP_2)
	v_mbcnt_lo_u32_b32 v206, v36, 0
	v_cmp_ne_u32_e64 s17, 0, v36
	v_cmp_eq_u32_e32 vcc_lo, 0, v206
	s_delay_alu instid0(VALU_DEP_2) | instskip(NEXT) | instid1(SALU_CYCLE_1)
	s_and_b32 s18, s17, vcc_lo
	s_and_saveexec_b32 s17, s18
	s_cbranch_execz .LBB1983_1058
; %bb.1057:                             ;   in Loop: Header=BB1983_990 Depth=2
	s_waitcnt lgkmcnt(0)
	v_bcnt_u32_b32 v36, v36, v205
	ds_store_b32 v207, v36
.LBB1983_1058:                          ;   in Loop: Header=BB1983_990 Depth=2
	s_or_b32 exec_lo, exec_lo, s17
	; wave barrier
	s_waitcnt lgkmcnt(0)
	s_barrier
	buffer_gl0_inv
	ds_load_b32 v208, v69 offset:1056
	ds_load_2addr_b32 v[42:43], v71 offset0:1 offset1:2
	ds_load_2addr_b32 v[40:41], v71 offset0:3 offset1:4
	;; [unrolled: 1-line block ×4, first 2 shown]
	s_waitcnt lgkmcnt(3)
	v_add3_u32 v209, v42, v208, v43
	s_waitcnt lgkmcnt(2)
	s_delay_alu instid0(VALU_DEP_1) | instskip(SKIP_1) | instid1(VALU_DEP_1)
	v_add3_u32 v209, v209, v40, v41
	s_waitcnt lgkmcnt(1)
	v_add3_u32 v209, v209, v36, v37
	s_waitcnt lgkmcnt(0)
	s_delay_alu instid0(VALU_DEP_1) | instskip(NEXT) | instid1(VALU_DEP_1)
	v_add3_u32 v39, v209, v38, v39
	v_mov_b32_dpp v209, v39 row_shr:1 row_mask:0xf bank_mask:0xf
	s_delay_alu instid0(VALU_DEP_1) | instskip(NEXT) | instid1(VALU_DEP_1)
	v_cndmask_b32_e64 v209, v209, 0, s0
	v_add_nc_u32_e32 v39, v209, v39
	s_delay_alu instid0(VALU_DEP_1) | instskip(NEXT) | instid1(VALU_DEP_1)
	v_mov_b32_dpp v209, v39 row_shr:2 row_mask:0xf bank_mask:0xf
	v_cndmask_b32_e64 v209, 0, v209, s1
	s_delay_alu instid0(VALU_DEP_1) | instskip(NEXT) | instid1(VALU_DEP_1)
	v_add_nc_u32_e32 v39, v39, v209
	v_mov_b32_dpp v209, v39 row_shr:4 row_mask:0xf bank_mask:0xf
	s_delay_alu instid0(VALU_DEP_1) | instskip(NEXT) | instid1(VALU_DEP_1)
	v_cndmask_b32_e64 v209, 0, v209, s8
	v_add_nc_u32_e32 v39, v39, v209
	s_delay_alu instid0(VALU_DEP_1) | instskip(NEXT) | instid1(VALU_DEP_1)
	v_mov_b32_dpp v209, v39 row_shr:8 row_mask:0xf bank_mask:0xf
	v_cndmask_b32_e64 v209, 0, v209, s9
	s_delay_alu instid0(VALU_DEP_1) | instskip(SKIP_3) | instid1(VALU_DEP_1)
	v_add_nc_u32_e32 v39, v39, v209
	ds_swizzle_b32 v209, v39 offset:swizzle(BROADCAST,32,15)
	s_waitcnt lgkmcnt(0)
	v_cndmask_b32_e64 v209, v209, 0, s10
	v_add_nc_u32_e32 v39, v39, v209
	s_and_saveexec_b32 s17, s3
	s_cbranch_execz .LBB1983_1060
; %bb.1059:                             ;   in Loop: Header=BB1983_990 Depth=2
	ds_store_b32 v62, v39 offset:1024
.LBB1983_1060:                          ;   in Loop: Header=BB1983_990 Depth=2
	s_or_b32 exec_lo, exec_lo, s17
	s_waitcnt lgkmcnt(0)
	s_barrier
	buffer_gl0_inv
	s_and_saveexec_b32 s17, s4
	s_cbranch_execz .LBB1983_1062
; %bb.1061:                             ;   in Loop: Header=BB1983_990 Depth=2
	ds_load_b32 v209, v72 offset:1024
	s_waitcnt lgkmcnt(0)
	v_mov_b32_dpp v210, v209 row_shr:1 row_mask:0xf bank_mask:0xf
	s_delay_alu instid0(VALU_DEP_1) | instskip(NEXT) | instid1(VALU_DEP_1)
	v_cndmask_b32_e64 v210, v210, 0, s12
	v_add_nc_u32_e32 v209, v210, v209
	s_delay_alu instid0(VALU_DEP_1) | instskip(NEXT) | instid1(VALU_DEP_1)
	v_mov_b32_dpp v210, v209 row_shr:2 row_mask:0xf bank_mask:0xf
	v_cndmask_b32_e64 v210, 0, v210, s13
	s_delay_alu instid0(VALU_DEP_1) | instskip(NEXT) | instid1(VALU_DEP_1)
	v_add_nc_u32_e32 v209, v209, v210
	v_mov_b32_dpp v210, v209 row_shr:4 row_mask:0xf bank_mask:0xf
	s_delay_alu instid0(VALU_DEP_1) | instskip(NEXT) | instid1(VALU_DEP_1)
	v_cndmask_b32_e64 v210, 0, v210, s16
	v_add_nc_u32_e32 v209, v209, v210
	ds_store_b32 v72, v209 offset:1024
.LBB1983_1062:                          ;   in Loop: Header=BB1983_990 Depth=2
	s_or_b32 exec_lo, exec_lo, s17
	v_mov_b32_e32 v209, 0
	s_waitcnt lgkmcnt(0)
	s_barrier
	buffer_gl0_inv
	s_and_saveexec_b32 s17, s5
	s_cbranch_execz .LBB1983_1064
; %bb.1063:                             ;   in Loop: Header=BB1983_990 Depth=2
	ds_load_b32 v209, v62 offset:1020
.LBB1983_1064:                          ;   in Loop: Header=BB1983_990 Depth=2
	s_or_b32 exec_lo, exec_lo, s17
	s_waitcnt lgkmcnt(0)
	v_add_nc_u32_e32 v39, v209, v39
	ds_bpermute_b32 v39, v105, v39
	s_waitcnt lgkmcnt(0)
	v_cndmask_b32_e64 v39, v39, v209, s11
	s_delay_alu instid0(VALU_DEP_1) | instskip(NEXT) | instid1(VALU_DEP_1)
	v_cndmask_b32_e64 v39, v39, 0, s6
	v_add_nc_u32_e32 v208, v39, v208
	s_delay_alu instid0(VALU_DEP_1) | instskip(NEXT) | instid1(VALU_DEP_1)
	v_add_nc_u32_e32 v42, v208, v42
	v_add_nc_u32_e32 v43, v42, v43
	s_delay_alu instid0(VALU_DEP_1) | instskip(NEXT) | instid1(VALU_DEP_1)
	v_add_nc_u32_e32 v40, v43, v40
	;; [unrolled: 3-line block ×3, first 2 shown]
	v_add_nc_u32_e32 v37, v36, v37
	s_delay_alu instid0(VALU_DEP_1)
	v_add_nc_u32_e32 v38, v37, v38
	ds_store_b32 v69, v39 offset:1056
	ds_store_2addr_b32 v71, v208, v42 offset0:1 offset1:2
	ds_store_2addr_b32 v71, v43, v40 offset0:3 offset1:4
	;; [unrolled: 1-line block ×4, first 2 shown]
	v_mov_b32_e32 v38, 0x1000
	s_waitcnt lgkmcnt(0)
	s_barrier
	buffer_gl0_inv
	ds_load_b32 v39, v152
	ds_load_b32 v40, v156
	;; [unrolled: 1-line block ×16, first 2 shown]
	ds_load_b32 v156, v69 offset:1056
	s_and_saveexec_b32 s17, s7
	s_cbranch_execz .LBB1983_1066
; %bb.1065:                             ;   in Loop: Header=BB1983_990 Depth=2
	ds_load_b32 v38, v73 offset:1056
.LBB1983_1066:                          ;   in Loop: Header=BB1983_990 Depth=2
	s_or_b32 exec_lo, exec_lo, s17
	s_waitcnt lgkmcnt(0)
	s_barrier
	buffer_gl0_inv
	s_and_saveexec_b32 s17, s2
	s_cbranch_execz .LBB1983_1068
; %bb.1067:                             ;   in Loop: Header=BB1983_990 Depth=2
	ds_load_b32 v160, v44
	s_waitcnt lgkmcnt(0)
	v_sub_nc_u32_e32 v156, v160, v156
	ds_store_b32 v44, v156
.LBB1983_1068:                          ;   in Loop: Header=BB1983_990 Depth=2
	s_or_b32 exec_lo, exec_lo, s17
	v_add_nc_u32_e32 v168, v148, v146
	v_add3_u32 v164, v151, v150, v39
	v_add3_u32 v156, v159, v158, v41
	;; [unrolled: 1-line block ×4, first 2 shown]
	v_lshlrev_b32_e32 v158, 1, v168
	v_add3_u32 v154, v167, v166, v43
	v_add3_u32 v152, v172, v171, v152
	;; [unrolled: 1-line block ×3, first 2 shown]
	v_lshlrev_b32_e32 v36, 1, v164
	ds_store_b16 v158, v2 offset:1024
	v_lshlrev_b32_e32 v2, 1, v156
	v_add3_u32 v151, v175, v174, v173
	v_add3_u32 v41, v206, v205, v37
	v_lshlrev_b32_e32 v37, 1, v160
	v_lshlrev_b32_e32 v158, 1, v155
	v_add3_u32 v150, v179, v178, v176
	v_add3_u32 v146, v187, v186, v184
	ds_store_b16 v36, v147 offset:1024
	ds_store_b16 v37, v149 offset:1024
	v_lshlrev_b32_e32 v36, 1, v154
	ds_store_b16 v2, v153 offset:1024
	ds_store_b16 v158, v157 offset:1024
	v_lshlrev_b32_e32 v2, 1, v152
	v_add3_u32 v148, v183, v182, v180
	v_lshlrev_b32_e32 v37, 1, v151
	v_add3_u32 v42, v191, v190, v188
	v_add3_u32 v39, v199, v198, v196
	ds_store_b16 v36, v161 offset:1024
	v_lshlrev_b32_e32 v36, 1, v150
	ds_store_b16 v2, v165 offset:1024
	ds_store_b16 v37, v170 offset:1024
	v_lshlrev_b32_e32 v2, 1, v146
	v_add3_u32 v40, v195, v194, v192
	v_lshlrev_b32_e32 v147, 1, v148
	ds_store_b16 v36, v169 offset:1024
	ds_store_b16 v147, v177 offset:1024
	v_lshlrev_b32_e32 v36, 1, v42
	ds_store_b16 v2, v181 offset:1024
	v_lshlrev_b32_e32 v2, 1, v39
	v_lshlrev_b32_e32 v37, 1, v40
	;; [unrolled: 1-line block ×3, first 2 shown]
	ds_store_b16 v36, v185 offset:1024
	ds_store_b16 v37, v189 offset:1024
	v_lshlrev_b32_e32 v36, 1, v41
	ds_store_b16 v2, v193 offset:1024
	ds_store_b16 v147, v197 offset:1024
	v_cmp_lt_u32_e32 vcc_lo, v1, v145
	v_add_nc_u32_e32 v147, v72, v78
	ds_store_b16 v36, v201 offset:1024
	s_waitcnt lgkmcnt(0)
	s_barrier
	buffer_gl0_inv
	s_and_saveexec_b32 s18, vcc_lo
	s_cbranch_execz .LBB1983_1084
; %bb.1069:                             ;   in Loop: Header=BB1983_990 Depth=2
	ds_load_u16 v149, v147 offset:1024
	s_waitcnt lgkmcnt(0)
	v_cmp_ne_u16_e64 s17, 0x8000, v149
	s_delay_alu instid0(VALU_DEP_1) | instskip(SKIP_1) | instid1(VALU_DEP_2)
	v_cndmask_b32_e64 v2, 0x7fff, v149, s17
	v_cmp_gt_i16_e64 s17, 0, v149
	v_and_b32_e32 v2, 0xffff, v2
	s_delay_alu instid0(VALU_DEP_2) | instskip(NEXT) | instid1(VALU_DEP_2)
	v_cndmask_b32_e64 v153, 0x7fff, 0, s17
	v_lshrrev_b32_e32 v2, s49, v2
	s_delay_alu instid0(VALU_DEP_1) | instskip(NEXT) | instid1(VALU_DEP_1)
	v_and_b32_e32 v2, s55, v2
	v_lshlrev_b32_e32 v2, 2, v2
	ds_load_b32 v2, v2
	s_waitcnt lgkmcnt(0)
	v_add_nc_u32_e32 v2, v2, v1
	s_delay_alu instid0(VALU_DEP_1) | instskip(SKIP_1) | instid1(VALU_DEP_2)
	v_lshlrev_b64 v[36:37], 1, v[2:3]
	v_xor_b32_e32 v2, v153, v149
	v_add_co_u32 v36, s17, s40, v36
	s_delay_alu instid0(VALU_DEP_1) | instskip(SKIP_3) | instid1(VALU_DEP_1)
	v_add_co_ci_u32_e64 v37, s17, s41, v37, s17
	global_store_b16 v[36:37], v2, off
	s_or_b32 exec_lo, exec_lo, s18
	v_cmp_lt_u32_e64 s17, v45, v145
	s_and_saveexec_b32 s19, s17
	s_cbranch_execnz .LBB1983_1085
.LBB1983_1070:                          ;   in Loop: Header=BB1983_990 Depth=2
	s_or_b32 exec_lo, exec_lo, s19
	v_cmp_lt_u32_e64 s18, v46, v145
	s_delay_alu instid0(VALU_DEP_1)
	s_and_saveexec_b32 s20, s18
	s_cbranch_execz .LBB1983_1086
.LBB1983_1071:                          ;   in Loop: Header=BB1983_990 Depth=2
	ds_load_u16 v149, v79 offset:1024
	s_waitcnt lgkmcnt(0)
	v_cmp_ne_u16_e64 s19, 0x8000, v149
	s_delay_alu instid0(VALU_DEP_1) | instskip(SKIP_1) | instid1(VALU_DEP_2)
	v_cndmask_b32_e64 v2, 0x7fff, v149, s19
	v_cmp_gt_i16_e64 s19, 0, v149
	v_and_b32_e32 v2, 0xffff, v2
	s_delay_alu instid0(VALU_DEP_2) | instskip(NEXT) | instid1(VALU_DEP_2)
	v_cndmask_b32_e64 v153, 0x7fff, 0, s19
	v_lshrrev_b32_e32 v2, s49, v2
	s_delay_alu instid0(VALU_DEP_1) | instskip(NEXT) | instid1(VALU_DEP_1)
	v_and_b32_e32 v2, s55, v2
	v_lshlrev_b32_e32 v2, 2, v2
	ds_load_b32 v2, v2
	s_waitcnt lgkmcnt(0)
	v_add_nc_u32_e32 v2, v2, v46
	s_delay_alu instid0(VALU_DEP_1) | instskip(SKIP_1) | instid1(VALU_DEP_2)
	v_lshlrev_b64 v[36:37], 1, v[2:3]
	v_xor_b32_e32 v2, v153, v149
	v_add_co_u32 v36, s19, s40, v36
	s_delay_alu instid0(VALU_DEP_1) | instskip(SKIP_3) | instid1(VALU_DEP_1)
	v_add_co_ci_u32_e64 v37, s19, s41, v37, s19
	global_store_b16 v[36:37], v2, off
	s_or_b32 exec_lo, exec_lo, s20
	v_cmp_lt_u32_e64 s19, v47, v145
	s_and_saveexec_b32 s21, s19
	s_cbranch_execnz .LBB1983_1087
.LBB1983_1072:                          ;   in Loop: Header=BB1983_990 Depth=2
	s_or_b32 exec_lo, exec_lo, s21
	v_cmp_lt_u32_e64 s20, v51, v145
	s_delay_alu instid0(VALU_DEP_1)
	s_and_saveexec_b32 s22, s20
	s_cbranch_execz .LBB1983_1088
.LBB1983_1073:                          ;   in Loop: Header=BB1983_990 Depth=2
	ds_load_u16 v149, v79 offset:2048
	s_waitcnt lgkmcnt(0)
	v_cmp_ne_u16_e64 s21, 0x8000, v149
	s_delay_alu instid0(VALU_DEP_1) | instskip(SKIP_1) | instid1(VALU_DEP_2)
	v_cndmask_b32_e64 v2, 0x7fff, v149, s21
	v_cmp_gt_i16_e64 s21, 0, v149
	v_and_b32_e32 v2, 0xffff, v2
	s_delay_alu instid0(VALU_DEP_2) | instskip(NEXT) | instid1(VALU_DEP_2)
	v_cndmask_b32_e64 v153, 0x7fff, 0, s21
	v_lshrrev_b32_e32 v2, s49, v2
	s_delay_alu instid0(VALU_DEP_1) | instskip(NEXT) | instid1(VALU_DEP_1)
	v_and_b32_e32 v2, s55, v2
	v_lshlrev_b32_e32 v2, 2, v2
	ds_load_b32 v2, v2
	s_waitcnt lgkmcnt(0)
	v_add_nc_u32_e32 v2, v2, v51
	s_delay_alu instid0(VALU_DEP_1) | instskip(SKIP_1) | instid1(VALU_DEP_2)
	v_lshlrev_b64 v[36:37], 1, v[2:3]
	v_xor_b32_e32 v2, v153, v149
	v_add_co_u32 v36, s21, s40, v36
	s_delay_alu instid0(VALU_DEP_1) | instskip(SKIP_3) | instid1(VALU_DEP_1)
	v_add_co_ci_u32_e64 v37, s21, s41, v37, s21
	global_store_b16 v[36:37], v2, off
	s_or_b32 exec_lo, exec_lo, s22
	v_cmp_lt_u32_e64 s21, v52, v145
	s_and_saveexec_b32 s23, s21
	s_cbranch_execnz .LBB1983_1089
.LBB1983_1074:                          ;   in Loop: Header=BB1983_990 Depth=2
	s_or_b32 exec_lo, exec_lo, s23
	v_cmp_lt_u32_e64 s22, v53, v145
	s_delay_alu instid0(VALU_DEP_1)
	s_and_saveexec_b32 s24, s22
	s_cbranch_execz .LBB1983_1090
.LBB1983_1075:                          ;   in Loop: Header=BB1983_990 Depth=2
	ds_load_u16 v149, v79 offset:3072
	s_waitcnt lgkmcnt(0)
	v_cmp_ne_u16_e64 s23, 0x8000, v149
	s_delay_alu instid0(VALU_DEP_1) | instskip(SKIP_1) | instid1(VALU_DEP_2)
	v_cndmask_b32_e64 v2, 0x7fff, v149, s23
	v_cmp_gt_i16_e64 s23, 0, v149
	v_and_b32_e32 v2, 0xffff, v2
	s_delay_alu instid0(VALU_DEP_2) | instskip(NEXT) | instid1(VALU_DEP_2)
	v_cndmask_b32_e64 v153, 0x7fff, 0, s23
	v_lshrrev_b32_e32 v2, s49, v2
	s_delay_alu instid0(VALU_DEP_1) | instskip(NEXT) | instid1(VALU_DEP_1)
	v_and_b32_e32 v2, s55, v2
	v_lshlrev_b32_e32 v2, 2, v2
	ds_load_b32 v2, v2
	s_waitcnt lgkmcnt(0)
	v_add_nc_u32_e32 v2, v2, v53
	s_delay_alu instid0(VALU_DEP_1) | instskip(SKIP_1) | instid1(VALU_DEP_2)
	v_lshlrev_b64 v[36:37], 1, v[2:3]
	v_xor_b32_e32 v2, v153, v149
	v_add_co_u32 v36, s23, s40, v36
	s_delay_alu instid0(VALU_DEP_1) | instskip(SKIP_3) | instid1(VALU_DEP_1)
	v_add_co_ci_u32_e64 v37, s23, s41, v37, s23
	global_store_b16 v[36:37], v2, off
	s_or_b32 exec_lo, exec_lo, s24
	v_cmp_lt_u32_e64 s23, v54, v145
	s_and_saveexec_b32 s25, s23
	s_cbranch_execnz .LBB1983_1091
.LBB1983_1076:                          ;   in Loop: Header=BB1983_990 Depth=2
	s_or_b32 exec_lo, exec_lo, s25
	v_cmp_lt_u32_e64 s24, v55, v145
	s_delay_alu instid0(VALU_DEP_1)
	s_and_saveexec_b32 s26, s24
	s_cbranch_execz .LBB1983_1092
.LBB1983_1077:                          ;   in Loop: Header=BB1983_990 Depth=2
	ds_load_u16 v149, v79 offset:4096
	s_waitcnt lgkmcnt(0)
	v_cmp_ne_u16_e64 s25, 0x8000, v149
	s_delay_alu instid0(VALU_DEP_1) | instskip(SKIP_1) | instid1(VALU_DEP_2)
	v_cndmask_b32_e64 v2, 0x7fff, v149, s25
	v_cmp_gt_i16_e64 s25, 0, v149
	v_and_b32_e32 v2, 0xffff, v2
	s_delay_alu instid0(VALU_DEP_2) | instskip(NEXT) | instid1(VALU_DEP_2)
	v_cndmask_b32_e64 v153, 0x7fff, 0, s25
	v_lshrrev_b32_e32 v2, s49, v2
	s_delay_alu instid0(VALU_DEP_1) | instskip(NEXT) | instid1(VALU_DEP_1)
	v_and_b32_e32 v2, s55, v2
	v_lshlrev_b32_e32 v2, 2, v2
	ds_load_b32 v2, v2
	s_waitcnt lgkmcnt(0)
	v_add_nc_u32_e32 v2, v2, v55
	s_delay_alu instid0(VALU_DEP_1) | instskip(SKIP_1) | instid1(VALU_DEP_2)
	v_lshlrev_b64 v[36:37], 1, v[2:3]
	v_xor_b32_e32 v2, v153, v149
	v_add_co_u32 v36, s25, s40, v36
	s_delay_alu instid0(VALU_DEP_1) | instskip(SKIP_3) | instid1(VALU_DEP_1)
	v_add_co_ci_u32_e64 v37, s25, s41, v37, s25
	global_store_b16 v[36:37], v2, off
	s_or_b32 exec_lo, exec_lo, s26
	v_cmp_lt_u32_e64 s25, v56, v145
	s_and_saveexec_b32 s27, s25
	s_cbranch_execnz .LBB1983_1093
.LBB1983_1078:                          ;   in Loop: Header=BB1983_990 Depth=2
	s_or_b32 exec_lo, exec_lo, s27
	v_cmp_lt_u32_e64 s26, v57, v145
	s_delay_alu instid0(VALU_DEP_1)
	s_and_saveexec_b32 s28, s26
	s_cbranch_execz .LBB1983_1094
.LBB1983_1079:                          ;   in Loop: Header=BB1983_990 Depth=2
	ds_load_u16 v149, v79 offset:5120
	s_waitcnt lgkmcnt(0)
	v_cmp_ne_u16_e64 s27, 0x8000, v149
	s_delay_alu instid0(VALU_DEP_1) | instskip(SKIP_1) | instid1(VALU_DEP_2)
	v_cndmask_b32_e64 v2, 0x7fff, v149, s27
	v_cmp_gt_i16_e64 s27, 0, v149
	v_and_b32_e32 v2, 0xffff, v2
	s_delay_alu instid0(VALU_DEP_2) | instskip(NEXT) | instid1(VALU_DEP_2)
	v_cndmask_b32_e64 v153, 0x7fff, 0, s27
	v_lshrrev_b32_e32 v2, s49, v2
	s_delay_alu instid0(VALU_DEP_1) | instskip(NEXT) | instid1(VALU_DEP_1)
	v_and_b32_e32 v2, s55, v2
	v_lshlrev_b32_e32 v2, 2, v2
	ds_load_b32 v2, v2
	s_waitcnt lgkmcnt(0)
	v_add_nc_u32_e32 v2, v2, v57
	s_delay_alu instid0(VALU_DEP_1) | instskip(SKIP_1) | instid1(VALU_DEP_2)
	v_lshlrev_b64 v[36:37], 1, v[2:3]
	v_xor_b32_e32 v2, v153, v149
	v_add_co_u32 v36, s27, s40, v36
	s_delay_alu instid0(VALU_DEP_1) | instskip(SKIP_3) | instid1(VALU_DEP_1)
	v_add_co_ci_u32_e64 v37, s27, s41, v37, s27
	global_store_b16 v[36:37], v2, off
	s_or_b32 exec_lo, exec_lo, s28
	v_cmp_lt_u32_e64 s27, v58, v145
	s_and_saveexec_b32 s29, s27
	s_cbranch_execnz .LBB1983_1095
.LBB1983_1080:                          ;   in Loop: Header=BB1983_990 Depth=2
	s_or_b32 exec_lo, exec_lo, s29
	v_cmp_lt_u32_e64 s28, v59, v145
	s_delay_alu instid0(VALU_DEP_1)
	s_and_saveexec_b32 s30, s28
	s_cbranch_execz .LBB1983_1096
.LBB1983_1081:                          ;   in Loop: Header=BB1983_990 Depth=2
	ds_load_u16 v149, v79 offset:6144
	s_waitcnt lgkmcnt(0)
	v_cmp_ne_u16_e64 s29, 0x8000, v149
	s_delay_alu instid0(VALU_DEP_1) | instskip(SKIP_1) | instid1(VALU_DEP_2)
	v_cndmask_b32_e64 v2, 0x7fff, v149, s29
	v_cmp_gt_i16_e64 s29, 0, v149
	v_and_b32_e32 v2, 0xffff, v2
	s_delay_alu instid0(VALU_DEP_2) | instskip(NEXT) | instid1(VALU_DEP_2)
	v_cndmask_b32_e64 v153, 0x7fff, 0, s29
	v_lshrrev_b32_e32 v2, s49, v2
	s_delay_alu instid0(VALU_DEP_1) | instskip(NEXT) | instid1(VALU_DEP_1)
	v_and_b32_e32 v2, s55, v2
	v_lshlrev_b32_e32 v2, 2, v2
	ds_load_b32 v2, v2
	s_waitcnt lgkmcnt(0)
	v_add_nc_u32_e32 v2, v2, v59
	s_delay_alu instid0(VALU_DEP_1) | instskip(SKIP_1) | instid1(VALU_DEP_2)
	v_lshlrev_b64 v[36:37], 1, v[2:3]
	v_xor_b32_e32 v2, v153, v149
	v_add_co_u32 v36, s29, s40, v36
	s_delay_alu instid0(VALU_DEP_1) | instskip(SKIP_3) | instid1(VALU_DEP_1)
	v_add_co_ci_u32_e64 v37, s29, s41, v37, s29
	global_store_b16 v[36:37], v2, off
	s_or_b32 exec_lo, exec_lo, s30
	v_cmp_lt_u32_e64 s29, v60, v145
	s_and_saveexec_b32 s31, s29
	s_cbranch_execnz .LBB1983_1097
.LBB1983_1082:                          ;   in Loop: Header=BB1983_990 Depth=2
	s_or_b32 exec_lo, exec_lo, s31
	v_cmp_lt_u32_e64 s30, v61, v145
	s_delay_alu instid0(VALU_DEP_1)
	s_and_saveexec_b32 s33, s30
	s_cbranch_execz .LBB1983_1098
.LBB1983_1083:                          ;   in Loop: Header=BB1983_990 Depth=2
	ds_load_u16 v149, v79 offset:7168
	s_waitcnt lgkmcnt(0)
	v_cmp_ne_u16_e64 s31, 0x8000, v149
	s_delay_alu instid0(VALU_DEP_1) | instskip(SKIP_1) | instid1(VALU_DEP_2)
	v_cndmask_b32_e64 v2, 0x7fff, v149, s31
	v_cmp_gt_i16_e64 s31, 0, v149
	v_and_b32_e32 v2, 0xffff, v2
	s_delay_alu instid0(VALU_DEP_2) | instskip(NEXT) | instid1(VALU_DEP_2)
	v_cndmask_b32_e64 v153, 0x7fff, 0, s31
	v_lshrrev_b32_e32 v2, s49, v2
	s_delay_alu instid0(VALU_DEP_1) | instskip(NEXT) | instid1(VALU_DEP_1)
	v_and_b32_e32 v2, s55, v2
	v_lshlrev_b32_e32 v2, 2, v2
	ds_load_b32 v2, v2
	s_waitcnt lgkmcnt(0)
	v_add_nc_u32_e32 v2, v2, v61
	s_delay_alu instid0(VALU_DEP_1) | instskip(SKIP_1) | instid1(VALU_DEP_2)
	v_lshlrev_b64 v[36:37], 1, v[2:3]
	v_xor_b32_e32 v2, v153, v149
	v_add_co_u32 v36, s31, s40, v36
	s_delay_alu instid0(VALU_DEP_1) | instskip(SKIP_3) | instid1(VALU_DEP_1)
	v_add_co_ci_u32_e64 v37, s31, s41, v37, s31
	global_store_b16 v[36:37], v2, off
	s_or_b32 exec_lo, exec_lo, s33
	v_cmp_lt_u32_e64 s31, v63, v145
	s_and_saveexec_b32 s58, s31
	s_cbranch_execnz .LBB1983_1099
	s_branch .LBB1983_1100
.LBB1983_1084:                          ;   in Loop: Header=BB1983_990 Depth=2
	s_or_b32 exec_lo, exec_lo, s18
	v_cmp_lt_u32_e64 s17, v45, v145
	s_delay_alu instid0(VALU_DEP_1)
	s_and_saveexec_b32 s19, s17
	s_cbranch_execz .LBB1983_1070
.LBB1983_1085:                          ;   in Loop: Header=BB1983_990 Depth=2
	ds_load_u16 v149, v79 offset:512
	s_waitcnt lgkmcnt(0)
	v_cmp_ne_u16_e64 s18, 0x8000, v149
	s_delay_alu instid0(VALU_DEP_1) | instskip(SKIP_1) | instid1(VALU_DEP_2)
	v_cndmask_b32_e64 v2, 0x7fff, v149, s18
	v_cmp_gt_i16_e64 s18, 0, v149
	v_and_b32_e32 v2, 0xffff, v2
	s_delay_alu instid0(VALU_DEP_2) | instskip(NEXT) | instid1(VALU_DEP_2)
	v_cndmask_b32_e64 v153, 0x7fff, 0, s18
	v_lshrrev_b32_e32 v2, s49, v2
	s_delay_alu instid0(VALU_DEP_1) | instskip(NEXT) | instid1(VALU_DEP_1)
	v_and_b32_e32 v2, s55, v2
	v_lshlrev_b32_e32 v2, 2, v2
	ds_load_b32 v2, v2
	s_waitcnt lgkmcnt(0)
	v_add_nc_u32_e32 v2, v2, v45
	s_delay_alu instid0(VALU_DEP_1) | instskip(SKIP_1) | instid1(VALU_DEP_2)
	v_lshlrev_b64 v[36:37], 1, v[2:3]
	v_xor_b32_e32 v2, v153, v149
	v_add_co_u32 v36, s18, s40, v36
	s_delay_alu instid0(VALU_DEP_1) | instskip(SKIP_3) | instid1(VALU_DEP_1)
	v_add_co_ci_u32_e64 v37, s18, s41, v37, s18
	global_store_b16 v[36:37], v2, off
	s_or_b32 exec_lo, exec_lo, s19
	v_cmp_lt_u32_e64 s18, v46, v145
	s_and_saveexec_b32 s20, s18
	s_cbranch_execnz .LBB1983_1071
.LBB1983_1086:                          ;   in Loop: Header=BB1983_990 Depth=2
	s_or_b32 exec_lo, exec_lo, s20
	v_cmp_lt_u32_e64 s19, v47, v145
	s_delay_alu instid0(VALU_DEP_1)
	s_and_saveexec_b32 s21, s19
	s_cbranch_execz .LBB1983_1072
.LBB1983_1087:                          ;   in Loop: Header=BB1983_990 Depth=2
	ds_load_u16 v149, v79 offset:1536
	s_waitcnt lgkmcnt(0)
	v_cmp_ne_u16_e64 s20, 0x8000, v149
	s_delay_alu instid0(VALU_DEP_1) | instskip(SKIP_1) | instid1(VALU_DEP_2)
	v_cndmask_b32_e64 v2, 0x7fff, v149, s20
	v_cmp_gt_i16_e64 s20, 0, v149
	v_and_b32_e32 v2, 0xffff, v2
	s_delay_alu instid0(VALU_DEP_2) | instskip(NEXT) | instid1(VALU_DEP_2)
	v_cndmask_b32_e64 v153, 0x7fff, 0, s20
	v_lshrrev_b32_e32 v2, s49, v2
	s_delay_alu instid0(VALU_DEP_1) | instskip(NEXT) | instid1(VALU_DEP_1)
	v_and_b32_e32 v2, s55, v2
	v_lshlrev_b32_e32 v2, 2, v2
	ds_load_b32 v2, v2
	s_waitcnt lgkmcnt(0)
	v_add_nc_u32_e32 v2, v2, v47
	s_delay_alu instid0(VALU_DEP_1) | instskip(SKIP_1) | instid1(VALU_DEP_2)
	v_lshlrev_b64 v[36:37], 1, v[2:3]
	v_xor_b32_e32 v2, v153, v149
	v_add_co_u32 v36, s20, s40, v36
	s_delay_alu instid0(VALU_DEP_1) | instskip(SKIP_3) | instid1(VALU_DEP_1)
	v_add_co_ci_u32_e64 v37, s20, s41, v37, s20
	global_store_b16 v[36:37], v2, off
	s_or_b32 exec_lo, exec_lo, s21
	v_cmp_lt_u32_e64 s20, v51, v145
	s_and_saveexec_b32 s22, s20
	s_cbranch_execnz .LBB1983_1073
.LBB1983_1088:                          ;   in Loop: Header=BB1983_990 Depth=2
	s_or_b32 exec_lo, exec_lo, s22
	v_cmp_lt_u32_e64 s21, v52, v145
	s_delay_alu instid0(VALU_DEP_1)
	s_and_saveexec_b32 s23, s21
	s_cbranch_execz .LBB1983_1074
.LBB1983_1089:                          ;   in Loop: Header=BB1983_990 Depth=2
	ds_load_u16 v149, v79 offset:2560
	s_waitcnt lgkmcnt(0)
	v_cmp_ne_u16_e64 s22, 0x8000, v149
	s_delay_alu instid0(VALU_DEP_1) | instskip(SKIP_1) | instid1(VALU_DEP_2)
	v_cndmask_b32_e64 v2, 0x7fff, v149, s22
	v_cmp_gt_i16_e64 s22, 0, v149
	v_and_b32_e32 v2, 0xffff, v2
	s_delay_alu instid0(VALU_DEP_2) | instskip(NEXT) | instid1(VALU_DEP_2)
	v_cndmask_b32_e64 v153, 0x7fff, 0, s22
	v_lshrrev_b32_e32 v2, s49, v2
	s_delay_alu instid0(VALU_DEP_1) | instskip(NEXT) | instid1(VALU_DEP_1)
	v_and_b32_e32 v2, s55, v2
	v_lshlrev_b32_e32 v2, 2, v2
	ds_load_b32 v2, v2
	s_waitcnt lgkmcnt(0)
	v_add_nc_u32_e32 v2, v2, v52
	s_delay_alu instid0(VALU_DEP_1) | instskip(SKIP_1) | instid1(VALU_DEP_2)
	v_lshlrev_b64 v[36:37], 1, v[2:3]
	v_xor_b32_e32 v2, v153, v149
	v_add_co_u32 v36, s22, s40, v36
	s_delay_alu instid0(VALU_DEP_1) | instskip(SKIP_3) | instid1(VALU_DEP_1)
	v_add_co_ci_u32_e64 v37, s22, s41, v37, s22
	global_store_b16 v[36:37], v2, off
	s_or_b32 exec_lo, exec_lo, s23
	v_cmp_lt_u32_e64 s22, v53, v145
	s_and_saveexec_b32 s24, s22
	s_cbranch_execnz .LBB1983_1075
.LBB1983_1090:                          ;   in Loop: Header=BB1983_990 Depth=2
	s_or_b32 exec_lo, exec_lo, s24
	v_cmp_lt_u32_e64 s23, v54, v145
	s_delay_alu instid0(VALU_DEP_1)
	s_and_saveexec_b32 s25, s23
	s_cbranch_execz .LBB1983_1076
.LBB1983_1091:                          ;   in Loop: Header=BB1983_990 Depth=2
	ds_load_u16 v149, v79 offset:3584
	s_waitcnt lgkmcnt(0)
	v_cmp_ne_u16_e64 s24, 0x8000, v149
	s_delay_alu instid0(VALU_DEP_1) | instskip(SKIP_1) | instid1(VALU_DEP_2)
	v_cndmask_b32_e64 v2, 0x7fff, v149, s24
	v_cmp_gt_i16_e64 s24, 0, v149
	v_and_b32_e32 v2, 0xffff, v2
	s_delay_alu instid0(VALU_DEP_2) | instskip(NEXT) | instid1(VALU_DEP_2)
	v_cndmask_b32_e64 v153, 0x7fff, 0, s24
	v_lshrrev_b32_e32 v2, s49, v2
	s_delay_alu instid0(VALU_DEP_1) | instskip(NEXT) | instid1(VALU_DEP_1)
	v_and_b32_e32 v2, s55, v2
	v_lshlrev_b32_e32 v2, 2, v2
	ds_load_b32 v2, v2
	s_waitcnt lgkmcnt(0)
	v_add_nc_u32_e32 v2, v2, v54
	s_delay_alu instid0(VALU_DEP_1) | instskip(SKIP_1) | instid1(VALU_DEP_2)
	v_lshlrev_b64 v[36:37], 1, v[2:3]
	v_xor_b32_e32 v2, v153, v149
	v_add_co_u32 v36, s24, s40, v36
	s_delay_alu instid0(VALU_DEP_1) | instskip(SKIP_3) | instid1(VALU_DEP_1)
	v_add_co_ci_u32_e64 v37, s24, s41, v37, s24
	global_store_b16 v[36:37], v2, off
	s_or_b32 exec_lo, exec_lo, s25
	v_cmp_lt_u32_e64 s24, v55, v145
	s_and_saveexec_b32 s26, s24
	s_cbranch_execnz .LBB1983_1077
.LBB1983_1092:                          ;   in Loop: Header=BB1983_990 Depth=2
	s_or_b32 exec_lo, exec_lo, s26
	v_cmp_lt_u32_e64 s25, v56, v145
	s_delay_alu instid0(VALU_DEP_1)
	s_and_saveexec_b32 s27, s25
	s_cbranch_execz .LBB1983_1078
.LBB1983_1093:                          ;   in Loop: Header=BB1983_990 Depth=2
	ds_load_u16 v149, v79 offset:4608
	s_waitcnt lgkmcnt(0)
	v_cmp_ne_u16_e64 s26, 0x8000, v149
	s_delay_alu instid0(VALU_DEP_1) | instskip(SKIP_1) | instid1(VALU_DEP_2)
	v_cndmask_b32_e64 v2, 0x7fff, v149, s26
	v_cmp_gt_i16_e64 s26, 0, v149
	v_and_b32_e32 v2, 0xffff, v2
	s_delay_alu instid0(VALU_DEP_2) | instskip(NEXT) | instid1(VALU_DEP_2)
	v_cndmask_b32_e64 v153, 0x7fff, 0, s26
	v_lshrrev_b32_e32 v2, s49, v2
	s_delay_alu instid0(VALU_DEP_1) | instskip(NEXT) | instid1(VALU_DEP_1)
	v_and_b32_e32 v2, s55, v2
	v_lshlrev_b32_e32 v2, 2, v2
	ds_load_b32 v2, v2
	s_waitcnt lgkmcnt(0)
	v_add_nc_u32_e32 v2, v2, v56
	s_delay_alu instid0(VALU_DEP_1) | instskip(SKIP_1) | instid1(VALU_DEP_2)
	v_lshlrev_b64 v[36:37], 1, v[2:3]
	v_xor_b32_e32 v2, v153, v149
	v_add_co_u32 v36, s26, s40, v36
	s_delay_alu instid0(VALU_DEP_1) | instskip(SKIP_3) | instid1(VALU_DEP_1)
	v_add_co_ci_u32_e64 v37, s26, s41, v37, s26
	global_store_b16 v[36:37], v2, off
	s_or_b32 exec_lo, exec_lo, s27
	v_cmp_lt_u32_e64 s26, v57, v145
	s_and_saveexec_b32 s28, s26
	s_cbranch_execnz .LBB1983_1079
.LBB1983_1094:                          ;   in Loop: Header=BB1983_990 Depth=2
	s_or_b32 exec_lo, exec_lo, s28
	v_cmp_lt_u32_e64 s27, v58, v145
	s_delay_alu instid0(VALU_DEP_1)
	s_and_saveexec_b32 s29, s27
	s_cbranch_execz .LBB1983_1080
.LBB1983_1095:                          ;   in Loop: Header=BB1983_990 Depth=2
	ds_load_u16 v149, v79 offset:5632
	s_waitcnt lgkmcnt(0)
	v_cmp_ne_u16_e64 s28, 0x8000, v149
	s_delay_alu instid0(VALU_DEP_1) | instskip(SKIP_1) | instid1(VALU_DEP_2)
	v_cndmask_b32_e64 v2, 0x7fff, v149, s28
	v_cmp_gt_i16_e64 s28, 0, v149
	v_and_b32_e32 v2, 0xffff, v2
	s_delay_alu instid0(VALU_DEP_2) | instskip(NEXT) | instid1(VALU_DEP_2)
	v_cndmask_b32_e64 v153, 0x7fff, 0, s28
	v_lshrrev_b32_e32 v2, s49, v2
	s_delay_alu instid0(VALU_DEP_1) | instskip(NEXT) | instid1(VALU_DEP_1)
	v_and_b32_e32 v2, s55, v2
	v_lshlrev_b32_e32 v2, 2, v2
	ds_load_b32 v2, v2
	s_waitcnt lgkmcnt(0)
	v_add_nc_u32_e32 v2, v2, v58
	s_delay_alu instid0(VALU_DEP_1) | instskip(SKIP_1) | instid1(VALU_DEP_2)
	v_lshlrev_b64 v[36:37], 1, v[2:3]
	v_xor_b32_e32 v2, v153, v149
	v_add_co_u32 v36, s28, s40, v36
	s_delay_alu instid0(VALU_DEP_1) | instskip(SKIP_3) | instid1(VALU_DEP_1)
	v_add_co_ci_u32_e64 v37, s28, s41, v37, s28
	global_store_b16 v[36:37], v2, off
	s_or_b32 exec_lo, exec_lo, s29
	v_cmp_lt_u32_e64 s28, v59, v145
	s_and_saveexec_b32 s30, s28
	s_cbranch_execnz .LBB1983_1081
.LBB1983_1096:                          ;   in Loop: Header=BB1983_990 Depth=2
	s_or_b32 exec_lo, exec_lo, s30
	v_cmp_lt_u32_e64 s29, v60, v145
	s_delay_alu instid0(VALU_DEP_1)
	s_and_saveexec_b32 s31, s29
	s_cbranch_execz .LBB1983_1082
.LBB1983_1097:                          ;   in Loop: Header=BB1983_990 Depth=2
	ds_load_u16 v149, v79 offset:6656
	s_waitcnt lgkmcnt(0)
	v_cmp_ne_u16_e64 s30, 0x8000, v149
	s_delay_alu instid0(VALU_DEP_1) | instskip(SKIP_1) | instid1(VALU_DEP_2)
	v_cndmask_b32_e64 v2, 0x7fff, v149, s30
	v_cmp_gt_i16_e64 s30, 0, v149
	v_and_b32_e32 v2, 0xffff, v2
	s_delay_alu instid0(VALU_DEP_2) | instskip(NEXT) | instid1(VALU_DEP_2)
	v_cndmask_b32_e64 v153, 0x7fff, 0, s30
	v_lshrrev_b32_e32 v2, s49, v2
	s_delay_alu instid0(VALU_DEP_1) | instskip(NEXT) | instid1(VALU_DEP_1)
	v_and_b32_e32 v2, s55, v2
	v_lshlrev_b32_e32 v2, 2, v2
	ds_load_b32 v2, v2
	s_waitcnt lgkmcnt(0)
	v_add_nc_u32_e32 v2, v2, v60
	s_delay_alu instid0(VALU_DEP_1) | instskip(SKIP_1) | instid1(VALU_DEP_2)
	v_lshlrev_b64 v[36:37], 1, v[2:3]
	v_xor_b32_e32 v2, v153, v149
	v_add_co_u32 v36, s30, s40, v36
	s_delay_alu instid0(VALU_DEP_1) | instskip(SKIP_3) | instid1(VALU_DEP_1)
	v_add_co_ci_u32_e64 v37, s30, s41, v37, s30
	global_store_b16 v[36:37], v2, off
	s_or_b32 exec_lo, exec_lo, s31
	v_cmp_lt_u32_e64 s30, v61, v145
	s_and_saveexec_b32 s33, s30
	s_cbranch_execnz .LBB1983_1083
.LBB1983_1098:                          ;   in Loop: Header=BB1983_990 Depth=2
	s_or_b32 exec_lo, exec_lo, s33
	v_cmp_lt_u32_e64 s31, v63, v145
	s_delay_alu instid0(VALU_DEP_1)
	s_and_saveexec_b32 s58, s31
	s_cbranch_execz .LBB1983_1100
.LBB1983_1099:                          ;   in Loop: Header=BB1983_990 Depth=2
	ds_load_u16 v149, v79 offset:7680
	s_waitcnt lgkmcnt(0)
	v_cmp_ne_u16_e64 s33, 0x8000, v149
	s_delay_alu instid0(VALU_DEP_1) | instskip(SKIP_1) | instid1(VALU_DEP_2)
	v_cndmask_b32_e64 v2, 0x7fff, v149, s33
	v_cmp_gt_i16_e64 s33, 0, v149
	v_and_b32_e32 v2, 0xffff, v2
	s_delay_alu instid0(VALU_DEP_2) | instskip(NEXT) | instid1(VALU_DEP_2)
	v_cndmask_b32_e64 v153, 0x7fff, 0, s33
	v_lshrrev_b32_e32 v2, s49, v2
	s_delay_alu instid0(VALU_DEP_1) | instskip(NEXT) | instid1(VALU_DEP_1)
	v_and_b32_e32 v2, s55, v2
	v_lshlrev_b32_e32 v2, 2, v2
	ds_load_b32 v2, v2
	s_waitcnt lgkmcnt(0)
	v_add_nc_u32_e32 v2, v2, v63
	s_delay_alu instid0(VALU_DEP_1) | instskip(SKIP_1) | instid1(VALU_DEP_2)
	v_lshlrev_b64 v[36:37], 1, v[2:3]
	v_xor_b32_e32 v2, v153, v149
	v_add_co_u32 v36, s33, s40, v36
	s_delay_alu instid0(VALU_DEP_1)
	v_add_co_ci_u32_e64 v37, s33, s41, v37, s33
	global_store_b16 v[36:37], v2, off
.LBB1983_1100:                          ;   in Loop: Header=BB1983_990 Depth=2
	s_or_b32 exec_lo, exec_lo, s58
	s_lshl_b64 s[58:59], s[34:35], 3
	s_delay_alu instid0(SALU_CYCLE_1) | instskip(NEXT) | instid1(VALU_DEP_1)
	v_add_co_u32 v36, s33, v107, s58
	v_add_co_ci_u32_e64 v37, s33, s59, v108, s33
	v_cmp_lt_u32_e64 s33, v106, v145
	s_delay_alu instid0(VALU_DEP_1) | instskip(NEXT) | instid1(SALU_CYCLE_1)
	s_and_saveexec_b32 s34, s33
	s_xor_b32 s33, exec_lo, s34
	s_cbranch_execz .LBB1983_1132
; %bb.1101:                             ;   in Loop: Header=BB1983_990 Depth=2
	global_load_b64 v[34:35], v[36:37], off
	s_or_b32 exec_lo, exec_lo, s33
	s_delay_alu instid0(SALU_CYCLE_1)
	s_mov_b32 s34, exec_lo
	v_cmpx_lt_u32_e64 v109, v145
	s_cbranch_execnz .LBB1983_1133
.LBB1983_1102:                          ;   in Loop: Header=BB1983_990 Depth=2
	s_or_b32 exec_lo, exec_lo, s34
	s_delay_alu instid0(SALU_CYCLE_1)
	s_mov_b32 s34, exec_lo
	v_cmpx_lt_u32_e64 v110, v145
	s_cbranch_execz .LBB1983_1134
.LBB1983_1103:                          ;   in Loop: Header=BB1983_990 Depth=2
	global_load_b64 v[30:31], v[36:37], off offset:512
	s_or_b32 exec_lo, exec_lo, s34
	s_delay_alu instid0(SALU_CYCLE_1)
	s_mov_b32 s34, exec_lo
	v_cmpx_lt_u32_e64 v111, v145
	s_cbranch_execnz .LBB1983_1135
.LBB1983_1104:                          ;   in Loop: Header=BB1983_990 Depth=2
	s_or_b32 exec_lo, exec_lo, s34
	s_delay_alu instid0(SALU_CYCLE_1)
	s_mov_b32 s34, exec_lo
	v_cmpx_lt_u32_e64 v112, v145
	s_cbranch_execz .LBB1983_1136
.LBB1983_1105:                          ;   in Loop: Header=BB1983_990 Depth=2
	global_load_b64 v[26:27], v[36:37], off offset:1024
	s_or_b32 exec_lo, exec_lo, s34
	s_delay_alu instid0(SALU_CYCLE_1)
	s_mov_b32 s34, exec_lo
	v_cmpx_lt_u32_e64 v113, v145
	s_cbranch_execnz .LBB1983_1137
.LBB1983_1106:                          ;   in Loop: Header=BB1983_990 Depth=2
	s_or_b32 exec_lo, exec_lo, s34
	s_delay_alu instid0(SALU_CYCLE_1)
	s_mov_b32 s34, exec_lo
	v_cmpx_lt_u32_e64 v114, v145
	s_cbranch_execz .LBB1983_1138
.LBB1983_1107:                          ;   in Loop: Header=BB1983_990 Depth=2
	global_load_b64 v[22:23], v[36:37], off offset:1536
	s_or_b32 exec_lo, exec_lo, s34
	s_delay_alu instid0(SALU_CYCLE_1)
	s_mov_b32 s34, exec_lo
	v_cmpx_lt_u32_e64 v115, v145
	s_cbranch_execnz .LBB1983_1139
.LBB1983_1108:                          ;   in Loop: Header=BB1983_990 Depth=2
	s_or_b32 exec_lo, exec_lo, s34
	s_delay_alu instid0(SALU_CYCLE_1)
	s_mov_b32 s34, exec_lo
	v_cmpx_lt_u32_e64 v116, v145
	s_cbranch_execz .LBB1983_1140
.LBB1983_1109:                          ;   in Loop: Header=BB1983_990 Depth=2
	global_load_b64 v[18:19], v[36:37], off offset:2048
	s_or_b32 exec_lo, exec_lo, s34
	s_delay_alu instid0(SALU_CYCLE_1)
	s_mov_b32 s34, exec_lo
	v_cmpx_lt_u32_e64 v117, v145
	s_cbranch_execnz .LBB1983_1141
.LBB1983_1110:                          ;   in Loop: Header=BB1983_990 Depth=2
	s_or_b32 exec_lo, exec_lo, s34
	s_delay_alu instid0(SALU_CYCLE_1)
	s_mov_b32 s34, exec_lo
	v_cmpx_lt_u32_e64 v118, v145
	s_cbranch_execz .LBB1983_1142
.LBB1983_1111:                          ;   in Loop: Header=BB1983_990 Depth=2
	global_load_b64 v[14:15], v[36:37], off offset:2560
	s_or_b32 exec_lo, exec_lo, s34
	s_delay_alu instid0(SALU_CYCLE_1)
	s_mov_b32 s34, exec_lo
	v_cmpx_lt_u32_e64 v119, v145
	s_cbranch_execnz .LBB1983_1143
.LBB1983_1112:                          ;   in Loop: Header=BB1983_990 Depth=2
	s_or_b32 exec_lo, exec_lo, s34
	s_delay_alu instid0(SALU_CYCLE_1)
	s_mov_b32 s34, exec_lo
	v_cmpx_lt_u32_e64 v120, v145
	s_cbranch_execz .LBB1983_1144
.LBB1983_1113:                          ;   in Loop: Header=BB1983_990 Depth=2
	global_load_b64 v[10:11], v[36:37], off offset:3072
	s_or_b32 exec_lo, exec_lo, s34
	s_delay_alu instid0(SALU_CYCLE_1)
	s_mov_b32 s34, exec_lo
	v_cmpx_lt_u32_e64 v121, v145
	s_cbranch_execnz .LBB1983_1145
.LBB1983_1114:                          ;   in Loop: Header=BB1983_990 Depth=2
	s_or_b32 exec_lo, exec_lo, s34
	s_delay_alu instid0(SALU_CYCLE_1)
	s_mov_b32 s34, exec_lo
	v_cmpx_lt_u32_e64 v122, v145
	s_cbranch_execz .LBB1983_1146
.LBB1983_1115:                          ;   in Loop: Header=BB1983_990 Depth=2
	global_load_b64 v[6:7], v[36:37], off offset:3584
	s_or_b32 exec_lo, exec_lo, s34
	s_delay_alu instid0(SALU_CYCLE_1)
	s_mov_b32 s34, exec_lo
	v_cmpx_lt_u32_e64 v123, v145
	s_cbranch_execnz .LBB1983_1147
.LBB1983_1116:                          ;   in Loop: Header=BB1983_990 Depth=2
	s_or_b32 exec_lo, exec_lo, s34
	s_and_saveexec_b32 s34, vcc_lo
	s_cbranch_execz .LBB1983_1148
.LBB1983_1117:                          ;   in Loop: Header=BB1983_990 Depth=2
	ds_load_u16 v2, v147 offset:1024
	s_waitcnt lgkmcnt(0)
	v_cmp_ne_u16_e64 s33, 0x8000, v2
	s_delay_alu instid0(VALU_DEP_1) | instskip(NEXT) | instid1(VALU_DEP_1)
	v_cndmask_b32_e64 v2, 0x7fff, v2, s33
	v_and_b32_e32 v2, 0xffff, v2
	s_delay_alu instid0(VALU_DEP_1) | instskip(NEXT) | instid1(VALU_DEP_1)
	v_lshrrev_b32_e32 v2, s49, v2
	v_and_b32_e32 v144, s55, v2
	s_or_b32 exec_lo, exec_lo, s34
	s_and_saveexec_b32 s34, s17
	s_cbranch_execnz .LBB1983_1149
.LBB1983_1118:                          ;   in Loop: Header=BB1983_990 Depth=2
	s_or_b32 exec_lo, exec_lo, s34
	s_and_saveexec_b32 s34, s18
	s_cbranch_execz .LBB1983_1150
.LBB1983_1119:                          ;   in Loop: Header=BB1983_990 Depth=2
	ds_load_u16 v2, v79 offset:1024
	s_waitcnt lgkmcnt(0)
	v_cmp_ne_u16_e64 s33, 0x8000, v2
	s_delay_alu instid0(VALU_DEP_1) | instskip(NEXT) | instid1(VALU_DEP_1)
	v_cndmask_b32_e64 v2, 0x7fff, v2, s33
	v_and_b32_e32 v2, 0xffff, v2
	s_delay_alu instid0(VALU_DEP_1) | instskip(NEXT) | instid1(VALU_DEP_1)
	v_lshrrev_b32_e32 v2, s49, v2
	v_and_b32_e32 v142, s55, v2
	s_or_b32 exec_lo, exec_lo, s34
	s_and_saveexec_b32 s34, s19
	s_cbranch_execnz .LBB1983_1151
.LBB1983_1120:                          ;   in Loop: Header=BB1983_990 Depth=2
	s_or_b32 exec_lo, exec_lo, s34
	s_and_saveexec_b32 s34, s20
	s_cbranch_execz .LBB1983_1152
.LBB1983_1121:                          ;   in Loop: Header=BB1983_990 Depth=2
	ds_load_u16 v2, v79 offset:2048
	s_waitcnt lgkmcnt(0)
	v_cmp_ne_u16_e64 s33, 0x8000, v2
	s_delay_alu instid0(VALU_DEP_1) | instskip(NEXT) | instid1(VALU_DEP_1)
	v_cndmask_b32_e64 v2, 0x7fff, v2, s33
	v_and_b32_e32 v2, 0xffff, v2
	s_delay_alu instid0(VALU_DEP_1) | instskip(NEXT) | instid1(VALU_DEP_1)
	v_lshrrev_b32_e32 v2, s49, v2
	v_and_b32_e32 v140, s55, v2
	s_or_b32 exec_lo, exec_lo, s34
	s_and_saveexec_b32 s34, s21
	s_cbranch_execnz .LBB1983_1153
.LBB1983_1122:                          ;   in Loop: Header=BB1983_990 Depth=2
	s_or_b32 exec_lo, exec_lo, s34
	s_and_saveexec_b32 s34, s22
	s_cbranch_execz .LBB1983_1154
.LBB1983_1123:                          ;   in Loop: Header=BB1983_990 Depth=2
	ds_load_u16 v2, v79 offset:3072
	s_waitcnt lgkmcnt(0)
	v_cmp_ne_u16_e64 s33, 0x8000, v2
	s_delay_alu instid0(VALU_DEP_1) | instskip(NEXT) | instid1(VALU_DEP_1)
	v_cndmask_b32_e64 v2, 0x7fff, v2, s33
	v_and_b32_e32 v2, 0xffff, v2
	s_delay_alu instid0(VALU_DEP_1) | instskip(NEXT) | instid1(VALU_DEP_1)
	v_lshrrev_b32_e32 v2, s49, v2
	v_and_b32_e32 v138, s55, v2
	s_or_b32 exec_lo, exec_lo, s34
	s_and_saveexec_b32 s34, s23
	s_cbranch_execnz .LBB1983_1155
.LBB1983_1124:                          ;   in Loop: Header=BB1983_990 Depth=2
	s_or_b32 exec_lo, exec_lo, s34
	s_and_saveexec_b32 s34, s24
	s_cbranch_execz .LBB1983_1156
.LBB1983_1125:                          ;   in Loop: Header=BB1983_990 Depth=2
	ds_load_u16 v2, v79 offset:4096
	s_waitcnt lgkmcnt(0)
	v_cmp_ne_u16_e64 s33, 0x8000, v2
	s_delay_alu instid0(VALU_DEP_1) | instskip(NEXT) | instid1(VALU_DEP_1)
	v_cndmask_b32_e64 v2, 0x7fff, v2, s33
	v_and_b32_e32 v2, 0xffff, v2
	s_delay_alu instid0(VALU_DEP_1) | instskip(NEXT) | instid1(VALU_DEP_1)
	v_lshrrev_b32_e32 v2, s49, v2
	v_and_b32_e32 v136, s55, v2
	s_or_b32 exec_lo, exec_lo, s34
	s_and_saveexec_b32 s34, s25
	s_cbranch_execnz .LBB1983_1157
.LBB1983_1126:                          ;   in Loop: Header=BB1983_990 Depth=2
	s_or_b32 exec_lo, exec_lo, s34
	s_and_saveexec_b32 s34, s26
	s_cbranch_execz .LBB1983_1158
.LBB1983_1127:                          ;   in Loop: Header=BB1983_990 Depth=2
	ds_load_u16 v2, v79 offset:5120
	s_waitcnt lgkmcnt(0)
	v_cmp_ne_u16_e64 s33, 0x8000, v2
	s_delay_alu instid0(VALU_DEP_1) | instskip(NEXT) | instid1(VALU_DEP_1)
	v_cndmask_b32_e64 v2, 0x7fff, v2, s33
	v_and_b32_e32 v2, 0xffff, v2
	s_delay_alu instid0(VALU_DEP_1) | instskip(NEXT) | instid1(VALU_DEP_1)
	v_lshrrev_b32_e32 v2, s49, v2
	v_and_b32_e32 v134, s55, v2
	s_or_b32 exec_lo, exec_lo, s34
	s_and_saveexec_b32 s34, s27
	s_cbranch_execnz .LBB1983_1159
.LBB1983_1128:                          ;   in Loop: Header=BB1983_990 Depth=2
	s_or_b32 exec_lo, exec_lo, s34
	s_and_saveexec_b32 s34, s28
	s_cbranch_execz .LBB1983_1160
.LBB1983_1129:                          ;   in Loop: Header=BB1983_990 Depth=2
	ds_load_u16 v2, v79 offset:6144
	s_waitcnt lgkmcnt(0)
	v_cmp_ne_u16_e64 s33, 0x8000, v2
	s_delay_alu instid0(VALU_DEP_1) | instskip(NEXT) | instid1(VALU_DEP_1)
	v_cndmask_b32_e64 v2, 0x7fff, v2, s33
	v_and_b32_e32 v2, 0xffff, v2
	s_delay_alu instid0(VALU_DEP_1) | instskip(NEXT) | instid1(VALU_DEP_1)
	v_lshrrev_b32_e32 v2, s49, v2
	v_and_b32_e32 v132, s55, v2
	s_or_b32 exec_lo, exec_lo, s34
	s_and_saveexec_b32 s34, s29
	s_cbranch_execnz .LBB1983_1161
.LBB1983_1130:                          ;   in Loop: Header=BB1983_990 Depth=2
	s_or_b32 exec_lo, exec_lo, s34
	s_and_saveexec_b32 s34, s30
	s_cbranch_execz .LBB1983_1162
.LBB1983_1131:                          ;   in Loop: Header=BB1983_990 Depth=2
	ds_load_u16 v2, v79 offset:7168
	s_waitcnt lgkmcnt(0)
	v_cmp_ne_u16_e64 s33, 0x8000, v2
	s_delay_alu instid0(VALU_DEP_1) | instskip(NEXT) | instid1(VALU_DEP_1)
	v_cndmask_b32_e64 v2, 0x7fff, v2, s33
	v_and_b32_e32 v2, 0xffff, v2
	s_delay_alu instid0(VALU_DEP_1) | instskip(NEXT) | instid1(VALU_DEP_1)
	v_lshrrev_b32_e32 v2, s49, v2
	v_and_b32_e32 v130, s55, v2
	s_or_b32 exec_lo, exec_lo, s34
	s_and_saveexec_b32 s34, s31
	s_cbranch_execnz .LBB1983_1163
	s_branch .LBB1983_1164
.LBB1983_1132:                          ;   in Loop: Header=BB1983_990 Depth=2
	s_or_b32 exec_lo, exec_lo, s33
	s_delay_alu instid0(SALU_CYCLE_1)
	s_mov_b32 s34, exec_lo
	v_cmpx_lt_u32_e64 v109, v145
	s_cbranch_execz .LBB1983_1102
.LBB1983_1133:                          ;   in Loop: Header=BB1983_990 Depth=2
	global_load_b64 v[32:33], v[36:37], off offset:256
	s_or_b32 exec_lo, exec_lo, s34
	s_delay_alu instid0(SALU_CYCLE_1)
	s_mov_b32 s34, exec_lo
	v_cmpx_lt_u32_e64 v110, v145
	s_cbranch_execnz .LBB1983_1103
.LBB1983_1134:                          ;   in Loop: Header=BB1983_990 Depth=2
	s_or_b32 exec_lo, exec_lo, s34
	s_delay_alu instid0(SALU_CYCLE_1)
	s_mov_b32 s34, exec_lo
	v_cmpx_lt_u32_e64 v111, v145
	s_cbranch_execz .LBB1983_1104
.LBB1983_1135:                          ;   in Loop: Header=BB1983_990 Depth=2
	global_load_b64 v[28:29], v[36:37], off offset:768
	s_or_b32 exec_lo, exec_lo, s34
	s_delay_alu instid0(SALU_CYCLE_1)
	s_mov_b32 s34, exec_lo
	v_cmpx_lt_u32_e64 v112, v145
	s_cbranch_execnz .LBB1983_1105
.LBB1983_1136:                          ;   in Loop: Header=BB1983_990 Depth=2
	s_or_b32 exec_lo, exec_lo, s34
	s_delay_alu instid0(SALU_CYCLE_1)
	s_mov_b32 s34, exec_lo
	v_cmpx_lt_u32_e64 v113, v145
	s_cbranch_execz .LBB1983_1106
.LBB1983_1137:                          ;   in Loop: Header=BB1983_990 Depth=2
	global_load_b64 v[24:25], v[36:37], off offset:1280
	s_or_b32 exec_lo, exec_lo, s34
	s_delay_alu instid0(SALU_CYCLE_1)
	s_mov_b32 s34, exec_lo
	v_cmpx_lt_u32_e64 v114, v145
	s_cbranch_execnz .LBB1983_1107
.LBB1983_1138:                          ;   in Loop: Header=BB1983_990 Depth=2
	s_or_b32 exec_lo, exec_lo, s34
	s_delay_alu instid0(SALU_CYCLE_1)
	s_mov_b32 s34, exec_lo
	v_cmpx_lt_u32_e64 v115, v145
	s_cbranch_execz .LBB1983_1108
.LBB1983_1139:                          ;   in Loop: Header=BB1983_990 Depth=2
	global_load_b64 v[20:21], v[36:37], off offset:1792
	s_or_b32 exec_lo, exec_lo, s34
	s_delay_alu instid0(SALU_CYCLE_1)
	s_mov_b32 s34, exec_lo
	v_cmpx_lt_u32_e64 v116, v145
	s_cbranch_execnz .LBB1983_1109
.LBB1983_1140:                          ;   in Loop: Header=BB1983_990 Depth=2
	s_or_b32 exec_lo, exec_lo, s34
	s_delay_alu instid0(SALU_CYCLE_1)
	s_mov_b32 s34, exec_lo
	v_cmpx_lt_u32_e64 v117, v145
	s_cbranch_execz .LBB1983_1110
.LBB1983_1141:                          ;   in Loop: Header=BB1983_990 Depth=2
	global_load_b64 v[16:17], v[36:37], off offset:2304
	s_or_b32 exec_lo, exec_lo, s34
	s_delay_alu instid0(SALU_CYCLE_1)
	s_mov_b32 s34, exec_lo
	v_cmpx_lt_u32_e64 v118, v145
	s_cbranch_execnz .LBB1983_1111
.LBB1983_1142:                          ;   in Loop: Header=BB1983_990 Depth=2
	s_or_b32 exec_lo, exec_lo, s34
	s_delay_alu instid0(SALU_CYCLE_1)
	s_mov_b32 s34, exec_lo
	v_cmpx_lt_u32_e64 v119, v145
	s_cbranch_execz .LBB1983_1112
.LBB1983_1143:                          ;   in Loop: Header=BB1983_990 Depth=2
	global_load_b64 v[12:13], v[36:37], off offset:2816
	s_or_b32 exec_lo, exec_lo, s34
	s_delay_alu instid0(SALU_CYCLE_1)
	s_mov_b32 s34, exec_lo
	v_cmpx_lt_u32_e64 v120, v145
	s_cbranch_execnz .LBB1983_1113
.LBB1983_1144:                          ;   in Loop: Header=BB1983_990 Depth=2
	s_or_b32 exec_lo, exec_lo, s34
	s_delay_alu instid0(SALU_CYCLE_1)
	s_mov_b32 s34, exec_lo
	v_cmpx_lt_u32_e64 v121, v145
	s_cbranch_execz .LBB1983_1114
.LBB1983_1145:                          ;   in Loop: Header=BB1983_990 Depth=2
	global_load_b64 v[8:9], v[36:37], off offset:3328
	s_or_b32 exec_lo, exec_lo, s34
	s_delay_alu instid0(SALU_CYCLE_1)
	s_mov_b32 s34, exec_lo
	v_cmpx_lt_u32_e64 v122, v145
	s_cbranch_execnz .LBB1983_1115
.LBB1983_1146:                          ;   in Loop: Header=BB1983_990 Depth=2
	s_or_b32 exec_lo, exec_lo, s34
	s_delay_alu instid0(SALU_CYCLE_1)
	s_mov_b32 s34, exec_lo
	v_cmpx_lt_u32_e64 v123, v145
	s_cbranch_execz .LBB1983_1116
.LBB1983_1147:                          ;   in Loop: Header=BB1983_990 Depth=2
	global_load_b64 v[4:5], v[36:37], off offset:3840
	s_or_b32 exec_lo, exec_lo, s34
	s_and_saveexec_b32 s34, vcc_lo
	s_cbranch_execnz .LBB1983_1117
.LBB1983_1148:                          ;   in Loop: Header=BB1983_990 Depth=2
	s_or_b32 exec_lo, exec_lo, s34
	s_and_saveexec_b32 s34, s17
	s_cbranch_execz .LBB1983_1118
.LBB1983_1149:                          ;   in Loop: Header=BB1983_990 Depth=2
	ds_load_u16 v2, v79 offset:512
	s_waitcnt lgkmcnt(0)
	v_cmp_ne_u16_e64 s33, 0x8000, v2
	s_delay_alu instid0(VALU_DEP_1) | instskip(NEXT) | instid1(VALU_DEP_1)
	v_cndmask_b32_e64 v2, 0x7fff, v2, s33
	v_and_b32_e32 v2, 0xffff, v2
	s_delay_alu instid0(VALU_DEP_1) | instskip(NEXT) | instid1(VALU_DEP_1)
	v_lshrrev_b32_e32 v2, s49, v2
	v_and_b32_e32 v143, s55, v2
	s_or_b32 exec_lo, exec_lo, s34
	s_and_saveexec_b32 s34, s18
	s_cbranch_execnz .LBB1983_1119
.LBB1983_1150:                          ;   in Loop: Header=BB1983_990 Depth=2
	s_or_b32 exec_lo, exec_lo, s34
	s_and_saveexec_b32 s34, s19
	s_cbranch_execz .LBB1983_1120
.LBB1983_1151:                          ;   in Loop: Header=BB1983_990 Depth=2
	ds_load_u16 v2, v79 offset:1536
	s_waitcnt lgkmcnt(0)
	v_cmp_ne_u16_e64 s33, 0x8000, v2
	s_delay_alu instid0(VALU_DEP_1) | instskip(NEXT) | instid1(VALU_DEP_1)
	v_cndmask_b32_e64 v2, 0x7fff, v2, s33
	v_and_b32_e32 v2, 0xffff, v2
	s_delay_alu instid0(VALU_DEP_1) | instskip(NEXT) | instid1(VALU_DEP_1)
	v_lshrrev_b32_e32 v2, s49, v2
	v_and_b32_e32 v141, s55, v2
	s_or_b32 exec_lo, exec_lo, s34
	s_and_saveexec_b32 s34, s20
	s_cbranch_execnz .LBB1983_1121
.LBB1983_1152:                          ;   in Loop: Header=BB1983_990 Depth=2
	s_or_b32 exec_lo, exec_lo, s34
	s_and_saveexec_b32 s34, s21
	s_cbranch_execz .LBB1983_1122
.LBB1983_1153:                          ;   in Loop: Header=BB1983_990 Depth=2
	ds_load_u16 v2, v79 offset:2560
	s_waitcnt lgkmcnt(0)
	v_cmp_ne_u16_e64 s33, 0x8000, v2
	s_delay_alu instid0(VALU_DEP_1) | instskip(NEXT) | instid1(VALU_DEP_1)
	v_cndmask_b32_e64 v2, 0x7fff, v2, s33
	v_and_b32_e32 v2, 0xffff, v2
	s_delay_alu instid0(VALU_DEP_1) | instskip(NEXT) | instid1(VALU_DEP_1)
	v_lshrrev_b32_e32 v2, s49, v2
	v_and_b32_e32 v139, s55, v2
	s_or_b32 exec_lo, exec_lo, s34
	s_and_saveexec_b32 s34, s22
	s_cbranch_execnz .LBB1983_1123
.LBB1983_1154:                          ;   in Loop: Header=BB1983_990 Depth=2
	s_or_b32 exec_lo, exec_lo, s34
	s_and_saveexec_b32 s34, s23
	s_cbranch_execz .LBB1983_1124
.LBB1983_1155:                          ;   in Loop: Header=BB1983_990 Depth=2
	ds_load_u16 v2, v79 offset:3584
	s_waitcnt lgkmcnt(0)
	v_cmp_ne_u16_e64 s33, 0x8000, v2
	s_delay_alu instid0(VALU_DEP_1) | instskip(NEXT) | instid1(VALU_DEP_1)
	v_cndmask_b32_e64 v2, 0x7fff, v2, s33
	v_and_b32_e32 v2, 0xffff, v2
	s_delay_alu instid0(VALU_DEP_1) | instskip(NEXT) | instid1(VALU_DEP_1)
	v_lshrrev_b32_e32 v2, s49, v2
	v_and_b32_e32 v137, s55, v2
	s_or_b32 exec_lo, exec_lo, s34
	s_and_saveexec_b32 s34, s24
	s_cbranch_execnz .LBB1983_1125
.LBB1983_1156:                          ;   in Loop: Header=BB1983_990 Depth=2
	s_or_b32 exec_lo, exec_lo, s34
	s_and_saveexec_b32 s34, s25
	s_cbranch_execz .LBB1983_1126
.LBB1983_1157:                          ;   in Loop: Header=BB1983_990 Depth=2
	ds_load_u16 v2, v79 offset:4608
	s_waitcnt lgkmcnt(0)
	v_cmp_ne_u16_e64 s33, 0x8000, v2
	s_delay_alu instid0(VALU_DEP_1) | instskip(NEXT) | instid1(VALU_DEP_1)
	v_cndmask_b32_e64 v2, 0x7fff, v2, s33
	v_and_b32_e32 v2, 0xffff, v2
	s_delay_alu instid0(VALU_DEP_1) | instskip(NEXT) | instid1(VALU_DEP_1)
	v_lshrrev_b32_e32 v2, s49, v2
	v_and_b32_e32 v135, s55, v2
	s_or_b32 exec_lo, exec_lo, s34
	s_and_saveexec_b32 s34, s26
	s_cbranch_execnz .LBB1983_1127
.LBB1983_1158:                          ;   in Loop: Header=BB1983_990 Depth=2
	s_or_b32 exec_lo, exec_lo, s34
	s_and_saveexec_b32 s34, s27
	s_cbranch_execz .LBB1983_1128
.LBB1983_1159:                          ;   in Loop: Header=BB1983_990 Depth=2
	ds_load_u16 v2, v79 offset:5632
	s_waitcnt lgkmcnt(0)
	v_cmp_ne_u16_e64 s33, 0x8000, v2
	s_delay_alu instid0(VALU_DEP_1) | instskip(NEXT) | instid1(VALU_DEP_1)
	v_cndmask_b32_e64 v2, 0x7fff, v2, s33
	v_and_b32_e32 v2, 0xffff, v2
	s_delay_alu instid0(VALU_DEP_1) | instskip(NEXT) | instid1(VALU_DEP_1)
	v_lshrrev_b32_e32 v2, s49, v2
	v_and_b32_e32 v133, s55, v2
	s_or_b32 exec_lo, exec_lo, s34
	s_and_saveexec_b32 s34, s28
	s_cbranch_execnz .LBB1983_1129
.LBB1983_1160:                          ;   in Loop: Header=BB1983_990 Depth=2
	s_or_b32 exec_lo, exec_lo, s34
	s_and_saveexec_b32 s34, s29
	s_cbranch_execz .LBB1983_1130
.LBB1983_1161:                          ;   in Loop: Header=BB1983_990 Depth=2
	ds_load_u16 v2, v79 offset:6656
	s_waitcnt lgkmcnt(0)
	v_cmp_ne_u16_e64 s33, 0x8000, v2
	s_delay_alu instid0(VALU_DEP_1) | instskip(NEXT) | instid1(VALU_DEP_1)
	v_cndmask_b32_e64 v2, 0x7fff, v2, s33
	v_and_b32_e32 v2, 0xffff, v2
	s_delay_alu instid0(VALU_DEP_1) | instskip(NEXT) | instid1(VALU_DEP_1)
	v_lshrrev_b32_e32 v2, s49, v2
	v_and_b32_e32 v131, s55, v2
	s_or_b32 exec_lo, exec_lo, s34
	s_and_saveexec_b32 s34, s30
	s_cbranch_execnz .LBB1983_1131
.LBB1983_1162:                          ;   in Loop: Header=BB1983_990 Depth=2
	s_or_b32 exec_lo, exec_lo, s34
	s_and_saveexec_b32 s34, s31
	s_cbranch_execz .LBB1983_1164
.LBB1983_1163:                          ;   in Loop: Header=BB1983_990 Depth=2
	ds_load_u16 v2, v79 offset:7680
	s_waitcnt lgkmcnt(0)
	v_cmp_ne_u16_e64 s33, 0x8000, v2
	s_delay_alu instid0(VALU_DEP_1) | instskip(NEXT) | instid1(VALU_DEP_1)
	v_cndmask_b32_e64 v2, 0x7fff, v2, s33
	v_and_b32_e32 v2, 0xffff, v2
	s_delay_alu instid0(VALU_DEP_1) | instskip(NEXT) | instid1(VALU_DEP_1)
	v_lshrrev_b32_e32 v2, s49, v2
	v_and_b32_e32 v129, s55, v2
.LBB1983_1164:                          ;   in Loop: Header=BB1983_990 Depth=2
	s_or_b32 exec_lo, exec_lo, s34
	v_lshlrev_b32_e32 v2, 3, v168
	v_lshlrev_b32_e32 v36, 3, v164
	s_waitcnt vmcnt(0)
	s_waitcnt_vscnt null, 0x0
	s_barrier
	buffer_gl0_inv
	ds_store_b64 v2, v[34:35] offset:1024
	v_lshlrev_b32_e32 v2, 3, v160
	v_lshlrev_b32_e32 v37, 3, v156
	;; [unrolled: 1-line block ×4, first 2 shown]
	ds_store_b64 v36, v[32:33] offset:1024
	ds_store_b64 v2, v[30:31] offset:1024
	;; [unrolled: 1-line block ×5, first 2 shown]
	v_lshlrev_b32_e32 v2, 3, v152
	v_lshlrev_b32_e32 v36, 3, v151
	;; [unrolled: 1-line block ×5, first 2 shown]
	ds_store_b64 v2, v[22:23] offset:1024
	ds_store_b64 v36, v[20:21] offset:1024
	;; [unrolled: 1-line block ×5, first 2 shown]
	v_lshlrev_b32_e32 v2, 3, v42
	v_lshlrev_b32_e32 v36, 3, v40
	;; [unrolled: 1-line block ×5, first 2 shown]
	ds_store_b64 v2, v[12:13] offset:1024
	ds_store_b64 v36, v[10:11] offset:1024
	;; [unrolled: 1-line block ×5, first 2 shown]
	s_waitcnt lgkmcnt(0)
	s_barrier
	buffer_gl0_inv
	s_and_saveexec_b32 s33, vcc_lo
	s_cbranch_execz .LBB1983_1180
; %bb.1165:                             ;   in Loop: Header=BB1983_990 Depth=2
	v_lshlrev_b32_e32 v2, 2, v144
	ds_load_b32 v2, v2
	ds_load_b64 v[36:37], v80 offset:1024
	s_waitcnt lgkmcnt(1)
	v_add_nc_u32_e32 v2, v2, v1
	s_delay_alu instid0(VALU_DEP_1) | instskip(NEXT) | instid1(VALU_DEP_1)
	v_lshlrev_b64 v[39:40], 3, v[2:3]
	v_add_co_u32 v39, vcc_lo, s46, v39
	s_delay_alu instid0(VALU_DEP_2)
	v_add_co_ci_u32_e32 v40, vcc_lo, s47, v40, vcc_lo
	s_waitcnt lgkmcnt(0)
	global_store_b64 v[39:40], v[36:37], off
	s_or_b32 exec_lo, exec_lo, s33
	v_add_nc_u32_e32 v36, v79, v81
	s_and_saveexec_b32 s33, s17
	s_cbranch_execnz .LBB1983_1181
.LBB1983_1166:                          ;   in Loop: Header=BB1983_990 Depth=2
	s_or_b32 exec_lo, exec_lo, s33
	s_and_saveexec_b32 s17, s18
	s_cbranch_execz .LBB1983_1182
.LBB1983_1167:                          ;   in Loop: Header=BB1983_990 Depth=2
	v_lshlrev_b32_e32 v2, 2, v142
	ds_load_b32 v2, v2
	ds_load_b64 v[39:40], v36 offset:4096
	s_waitcnt lgkmcnt(1)
	v_add_nc_u32_e32 v2, v2, v46
	s_delay_alu instid0(VALU_DEP_1) | instskip(NEXT) | instid1(VALU_DEP_1)
	v_lshlrev_b64 v[41:42], 3, v[2:3]
	v_add_co_u32 v41, vcc_lo, s46, v41
	s_delay_alu instid0(VALU_DEP_2)
	v_add_co_ci_u32_e32 v42, vcc_lo, s47, v42, vcc_lo
	s_waitcnt lgkmcnt(0)
	global_store_b64 v[41:42], v[39:40], off
	s_or_b32 exec_lo, exec_lo, s17
	s_and_saveexec_b32 s17, s19
	s_cbranch_execnz .LBB1983_1183
.LBB1983_1168:                          ;   in Loop: Header=BB1983_990 Depth=2
	s_or_b32 exec_lo, exec_lo, s17
	s_and_saveexec_b32 s17, s20
	s_cbranch_execz .LBB1983_1184
.LBB1983_1169:                          ;   in Loop: Header=BB1983_990 Depth=2
	v_lshlrev_b32_e32 v2, 2, v140
	ds_load_b32 v2, v2
	ds_load_b64 v[39:40], v36 offset:8192
	s_waitcnt lgkmcnt(1)
	v_add_nc_u32_e32 v2, v2, v51
	s_delay_alu instid0(VALU_DEP_1) | instskip(NEXT) | instid1(VALU_DEP_1)
	v_lshlrev_b64 v[41:42], 3, v[2:3]
	v_add_co_u32 v41, vcc_lo, s46, v41
	s_delay_alu instid0(VALU_DEP_2)
	v_add_co_ci_u32_e32 v42, vcc_lo, s47, v42, vcc_lo
	s_waitcnt lgkmcnt(0)
	global_store_b64 v[41:42], v[39:40], off
	s_or_b32 exec_lo, exec_lo, s17
	s_and_saveexec_b32 s17, s21
	s_cbranch_execnz .LBB1983_1185
.LBB1983_1170:                          ;   in Loop: Header=BB1983_990 Depth=2
	s_or_b32 exec_lo, exec_lo, s17
	s_and_saveexec_b32 s17, s22
	s_cbranch_execz .LBB1983_1186
.LBB1983_1171:                          ;   in Loop: Header=BB1983_990 Depth=2
	v_lshlrev_b32_e32 v2, 2, v138
	ds_load_b32 v2, v2
	ds_load_b64 v[39:40], v36 offset:12288
	s_waitcnt lgkmcnt(1)
	v_add_nc_u32_e32 v2, v2, v53
	s_delay_alu instid0(VALU_DEP_1) | instskip(NEXT) | instid1(VALU_DEP_1)
	v_lshlrev_b64 v[41:42], 3, v[2:3]
	v_add_co_u32 v41, vcc_lo, s46, v41
	s_delay_alu instid0(VALU_DEP_2)
	v_add_co_ci_u32_e32 v42, vcc_lo, s47, v42, vcc_lo
	s_waitcnt lgkmcnt(0)
	global_store_b64 v[41:42], v[39:40], off
	s_or_b32 exec_lo, exec_lo, s17
	s_and_saveexec_b32 s17, s23
	s_cbranch_execnz .LBB1983_1187
.LBB1983_1172:                          ;   in Loop: Header=BB1983_990 Depth=2
	s_or_b32 exec_lo, exec_lo, s17
	s_and_saveexec_b32 s17, s24
	s_cbranch_execz .LBB1983_1188
.LBB1983_1173:                          ;   in Loop: Header=BB1983_990 Depth=2
	v_lshlrev_b32_e32 v2, 2, v136
	ds_load_b32 v2, v2
	ds_load_b64 v[39:40], v36 offset:16384
	s_waitcnt lgkmcnt(1)
	v_add_nc_u32_e32 v2, v2, v55
	s_delay_alu instid0(VALU_DEP_1) | instskip(NEXT) | instid1(VALU_DEP_1)
	v_lshlrev_b64 v[41:42], 3, v[2:3]
	v_add_co_u32 v41, vcc_lo, s46, v41
	s_delay_alu instid0(VALU_DEP_2)
	v_add_co_ci_u32_e32 v42, vcc_lo, s47, v42, vcc_lo
	s_waitcnt lgkmcnt(0)
	global_store_b64 v[41:42], v[39:40], off
	s_or_b32 exec_lo, exec_lo, s17
	s_and_saveexec_b32 s17, s25
	s_cbranch_execnz .LBB1983_1189
.LBB1983_1174:                          ;   in Loop: Header=BB1983_990 Depth=2
	s_or_b32 exec_lo, exec_lo, s17
	s_and_saveexec_b32 s17, s26
	s_cbranch_execz .LBB1983_1190
.LBB1983_1175:                          ;   in Loop: Header=BB1983_990 Depth=2
	v_lshlrev_b32_e32 v2, 2, v134
	ds_load_b32 v2, v2
	ds_load_b64 v[39:40], v36 offset:20480
	s_waitcnt lgkmcnt(1)
	v_add_nc_u32_e32 v2, v2, v57
	s_delay_alu instid0(VALU_DEP_1) | instskip(NEXT) | instid1(VALU_DEP_1)
	v_lshlrev_b64 v[41:42], 3, v[2:3]
	v_add_co_u32 v41, vcc_lo, s46, v41
	s_delay_alu instid0(VALU_DEP_2)
	v_add_co_ci_u32_e32 v42, vcc_lo, s47, v42, vcc_lo
	s_waitcnt lgkmcnt(0)
	global_store_b64 v[41:42], v[39:40], off
	s_or_b32 exec_lo, exec_lo, s17
	s_and_saveexec_b32 s17, s27
	s_cbranch_execnz .LBB1983_1191
.LBB1983_1176:                          ;   in Loop: Header=BB1983_990 Depth=2
	s_or_b32 exec_lo, exec_lo, s17
	s_and_saveexec_b32 s17, s28
	s_cbranch_execz .LBB1983_1192
.LBB1983_1177:                          ;   in Loop: Header=BB1983_990 Depth=2
	v_lshlrev_b32_e32 v2, 2, v132
	ds_load_b32 v2, v2
	ds_load_b64 v[39:40], v36 offset:24576
	s_waitcnt lgkmcnt(1)
	v_add_nc_u32_e32 v2, v2, v59
	s_delay_alu instid0(VALU_DEP_1) | instskip(NEXT) | instid1(VALU_DEP_1)
	v_lshlrev_b64 v[41:42], 3, v[2:3]
	v_add_co_u32 v41, vcc_lo, s46, v41
	s_delay_alu instid0(VALU_DEP_2)
	v_add_co_ci_u32_e32 v42, vcc_lo, s47, v42, vcc_lo
	s_waitcnt lgkmcnt(0)
	global_store_b64 v[41:42], v[39:40], off
	s_or_b32 exec_lo, exec_lo, s17
	s_and_saveexec_b32 s17, s29
	s_cbranch_execnz .LBB1983_1193
.LBB1983_1178:                          ;   in Loop: Header=BB1983_990 Depth=2
	s_or_b32 exec_lo, exec_lo, s17
	s_and_saveexec_b32 s17, s30
	s_cbranch_execz .LBB1983_1194
.LBB1983_1179:                          ;   in Loop: Header=BB1983_990 Depth=2
	v_lshlrev_b32_e32 v2, 2, v130
	ds_load_b32 v2, v2
	ds_load_b64 v[39:40], v36 offset:28672
	s_waitcnt lgkmcnt(1)
	v_add_nc_u32_e32 v2, v2, v61
	s_delay_alu instid0(VALU_DEP_1) | instskip(NEXT) | instid1(VALU_DEP_1)
	v_lshlrev_b64 v[41:42], 3, v[2:3]
	v_add_co_u32 v41, vcc_lo, s46, v41
	s_delay_alu instid0(VALU_DEP_2)
	v_add_co_ci_u32_e32 v42, vcc_lo, s47, v42, vcc_lo
	s_waitcnt lgkmcnt(0)
	global_store_b64 v[41:42], v[39:40], off
	s_or_b32 exec_lo, exec_lo, s17
	s_and_saveexec_b32 s17, s31
	s_cbranch_execnz .LBB1983_1195
	s_branch .LBB1983_1196
.LBB1983_1180:                          ;   in Loop: Header=BB1983_990 Depth=2
	s_or_b32 exec_lo, exec_lo, s33
	v_add_nc_u32_e32 v36, v79, v81
	s_and_saveexec_b32 s33, s17
	s_cbranch_execz .LBB1983_1166
.LBB1983_1181:                          ;   in Loop: Header=BB1983_990 Depth=2
	v_lshlrev_b32_e32 v2, 2, v143
	ds_load_b32 v2, v2
	ds_load_b64 v[39:40], v36 offset:2048
	s_waitcnt lgkmcnt(1)
	v_add_nc_u32_e32 v2, v2, v45
	s_delay_alu instid0(VALU_DEP_1) | instskip(NEXT) | instid1(VALU_DEP_1)
	v_lshlrev_b64 v[41:42], 3, v[2:3]
	v_add_co_u32 v41, vcc_lo, s46, v41
	s_delay_alu instid0(VALU_DEP_2)
	v_add_co_ci_u32_e32 v42, vcc_lo, s47, v42, vcc_lo
	s_waitcnt lgkmcnt(0)
	global_store_b64 v[41:42], v[39:40], off
	s_or_b32 exec_lo, exec_lo, s33
	s_and_saveexec_b32 s17, s18
	s_cbranch_execnz .LBB1983_1167
.LBB1983_1182:                          ;   in Loop: Header=BB1983_990 Depth=2
	s_or_b32 exec_lo, exec_lo, s17
	s_and_saveexec_b32 s17, s19
	s_cbranch_execz .LBB1983_1168
.LBB1983_1183:                          ;   in Loop: Header=BB1983_990 Depth=2
	v_lshlrev_b32_e32 v2, 2, v141
	ds_load_b32 v2, v2
	ds_load_b64 v[39:40], v36 offset:6144
	s_waitcnt lgkmcnt(1)
	v_add_nc_u32_e32 v2, v2, v47
	s_delay_alu instid0(VALU_DEP_1) | instskip(NEXT) | instid1(VALU_DEP_1)
	v_lshlrev_b64 v[41:42], 3, v[2:3]
	v_add_co_u32 v41, vcc_lo, s46, v41
	s_delay_alu instid0(VALU_DEP_2)
	v_add_co_ci_u32_e32 v42, vcc_lo, s47, v42, vcc_lo
	s_waitcnt lgkmcnt(0)
	global_store_b64 v[41:42], v[39:40], off
	s_or_b32 exec_lo, exec_lo, s17
	s_and_saveexec_b32 s17, s20
	s_cbranch_execnz .LBB1983_1169
.LBB1983_1184:                          ;   in Loop: Header=BB1983_990 Depth=2
	s_or_b32 exec_lo, exec_lo, s17
	s_and_saveexec_b32 s17, s21
	s_cbranch_execz .LBB1983_1170
.LBB1983_1185:                          ;   in Loop: Header=BB1983_990 Depth=2
	v_lshlrev_b32_e32 v2, 2, v139
	ds_load_b32 v2, v2
	ds_load_b64 v[39:40], v36 offset:10240
	s_waitcnt lgkmcnt(1)
	v_add_nc_u32_e32 v2, v2, v52
	s_delay_alu instid0(VALU_DEP_1) | instskip(NEXT) | instid1(VALU_DEP_1)
	v_lshlrev_b64 v[41:42], 3, v[2:3]
	v_add_co_u32 v41, vcc_lo, s46, v41
	s_delay_alu instid0(VALU_DEP_2)
	v_add_co_ci_u32_e32 v42, vcc_lo, s47, v42, vcc_lo
	s_waitcnt lgkmcnt(0)
	global_store_b64 v[41:42], v[39:40], off
	s_or_b32 exec_lo, exec_lo, s17
	s_and_saveexec_b32 s17, s22
	s_cbranch_execnz .LBB1983_1171
.LBB1983_1186:                          ;   in Loop: Header=BB1983_990 Depth=2
	s_or_b32 exec_lo, exec_lo, s17
	s_and_saveexec_b32 s17, s23
	s_cbranch_execz .LBB1983_1172
.LBB1983_1187:                          ;   in Loop: Header=BB1983_990 Depth=2
	v_lshlrev_b32_e32 v2, 2, v137
	ds_load_b32 v2, v2
	ds_load_b64 v[39:40], v36 offset:14336
	s_waitcnt lgkmcnt(1)
	v_add_nc_u32_e32 v2, v2, v54
	s_delay_alu instid0(VALU_DEP_1) | instskip(NEXT) | instid1(VALU_DEP_1)
	v_lshlrev_b64 v[41:42], 3, v[2:3]
	v_add_co_u32 v41, vcc_lo, s46, v41
	s_delay_alu instid0(VALU_DEP_2)
	v_add_co_ci_u32_e32 v42, vcc_lo, s47, v42, vcc_lo
	s_waitcnt lgkmcnt(0)
	global_store_b64 v[41:42], v[39:40], off
	s_or_b32 exec_lo, exec_lo, s17
	s_and_saveexec_b32 s17, s24
	s_cbranch_execnz .LBB1983_1173
.LBB1983_1188:                          ;   in Loop: Header=BB1983_990 Depth=2
	s_or_b32 exec_lo, exec_lo, s17
	s_and_saveexec_b32 s17, s25
	s_cbranch_execz .LBB1983_1174
.LBB1983_1189:                          ;   in Loop: Header=BB1983_990 Depth=2
	v_lshlrev_b32_e32 v2, 2, v135
	ds_load_b32 v2, v2
	ds_load_b64 v[39:40], v36 offset:18432
	s_waitcnt lgkmcnt(1)
	v_add_nc_u32_e32 v2, v2, v56
	s_delay_alu instid0(VALU_DEP_1) | instskip(NEXT) | instid1(VALU_DEP_1)
	v_lshlrev_b64 v[41:42], 3, v[2:3]
	v_add_co_u32 v41, vcc_lo, s46, v41
	s_delay_alu instid0(VALU_DEP_2)
	v_add_co_ci_u32_e32 v42, vcc_lo, s47, v42, vcc_lo
	s_waitcnt lgkmcnt(0)
	global_store_b64 v[41:42], v[39:40], off
	s_or_b32 exec_lo, exec_lo, s17
	s_and_saveexec_b32 s17, s26
	s_cbranch_execnz .LBB1983_1175
.LBB1983_1190:                          ;   in Loop: Header=BB1983_990 Depth=2
	s_or_b32 exec_lo, exec_lo, s17
	s_and_saveexec_b32 s17, s27
	s_cbranch_execz .LBB1983_1176
.LBB1983_1191:                          ;   in Loop: Header=BB1983_990 Depth=2
	v_lshlrev_b32_e32 v2, 2, v133
	ds_load_b32 v2, v2
	ds_load_b64 v[39:40], v36 offset:22528
	s_waitcnt lgkmcnt(1)
	v_add_nc_u32_e32 v2, v2, v58
	s_delay_alu instid0(VALU_DEP_1) | instskip(NEXT) | instid1(VALU_DEP_1)
	v_lshlrev_b64 v[41:42], 3, v[2:3]
	v_add_co_u32 v41, vcc_lo, s46, v41
	s_delay_alu instid0(VALU_DEP_2)
	v_add_co_ci_u32_e32 v42, vcc_lo, s47, v42, vcc_lo
	s_waitcnt lgkmcnt(0)
	global_store_b64 v[41:42], v[39:40], off
	s_or_b32 exec_lo, exec_lo, s17
	s_and_saveexec_b32 s17, s28
	s_cbranch_execnz .LBB1983_1177
.LBB1983_1192:                          ;   in Loop: Header=BB1983_990 Depth=2
	s_or_b32 exec_lo, exec_lo, s17
	s_and_saveexec_b32 s17, s29
	s_cbranch_execz .LBB1983_1178
.LBB1983_1193:                          ;   in Loop: Header=BB1983_990 Depth=2
	v_lshlrev_b32_e32 v2, 2, v131
	ds_load_b32 v2, v2
	ds_load_b64 v[39:40], v36 offset:26624
	s_waitcnt lgkmcnt(1)
	v_add_nc_u32_e32 v2, v2, v60
	s_delay_alu instid0(VALU_DEP_1) | instskip(NEXT) | instid1(VALU_DEP_1)
	v_lshlrev_b64 v[41:42], 3, v[2:3]
	v_add_co_u32 v41, vcc_lo, s46, v41
	s_delay_alu instid0(VALU_DEP_2)
	v_add_co_ci_u32_e32 v42, vcc_lo, s47, v42, vcc_lo
	s_waitcnt lgkmcnt(0)
	global_store_b64 v[41:42], v[39:40], off
	s_or_b32 exec_lo, exec_lo, s17
	s_and_saveexec_b32 s17, s30
	s_cbranch_execnz .LBB1983_1179
.LBB1983_1194:                          ;   in Loop: Header=BB1983_990 Depth=2
	s_or_b32 exec_lo, exec_lo, s17
	s_and_saveexec_b32 s17, s31
	s_cbranch_execz .LBB1983_1196
.LBB1983_1195:                          ;   in Loop: Header=BB1983_990 Depth=2
	v_lshlrev_b32_e32 v2, 2, v129
	ds_load_b32 v2, v2
	ds_load_b64 v[36:37], v36 offset:30720
	s_waitcnt lgkmcnt(1)
	v_add_nc_u32_e32 v2, v2, v63
	s_delay_alu instid0(VALU_DEP_1) | instskip(NEXT) | instid1(VALU_DEP_1)
	v_lshlrev_b64 v[39:40], 3, v[2:3]
	v_add_co_u32 v39, vcc_lo, s46, v39
	s_delay_alu instid0(VALU_DEP_2)
	v_add_co_ci_u32_e32 v40, vcc_lo, s47, v40, vcc_lo
	s_waitcnt lgkmcnt(0)
	global_store_b64 v[39:40], v[36:37], off
.LBB1983_1196:                          ;   in Loop: Header=BB1983_990 Depth=2
	s_or_b32 exec_lo, exec_lo, s17
	s_waitcnt_vscnt null, 0x0
	s_barrier
	buffer_gl0_inv
	s_and_saveexec_b32 s17, s2
	s_cbranch_execz .LBB1983_989
; %bb.1197:                             ;   in Loop: Header=BB1983_990 Depth=2
	ds_load_b32 v2, v44
	s_waitcnt lgkmcnt(0)
	v_add_nc_u32_e32 v2, v2, v38
	ds_store_b32 v44, v2
	s_branch .LBB1983_989
.LBB1983_1198:
	s_endpgm
	.section	.rodata,"a",@progbits
	.p2align	6, 0x0
	.amdhsa_kernel _ZN7rocprim17ROCPRIM_400000_NS6detail17trampoline_kernelINS0_14default_configENS1_36segmented_radix_sort_config_selectorI12hip_bfloat16lEEZNS1_25segmented_radix_sort_implIS3_Lb1EPKS5_PS5_PKlPlN2at6native12_GLOBAL__N_18offset_tEEE10hipError_tPvRmT1_PNSt15iterator_traitsISL_E10value_typeET2_T3_PNSM_ISR_E10value_typeET4_jRbjT5_SX_jjP12ihipStream_tbEUlT_E2_NS1_11comp_targetILNS1_3genE9ELNS1_11target_archE1100ELNS1_3gpuE3ELNS1_3repE0EEENS1_30default_config_static_selectorELNS0_4arch9wavefront6targetE0EEEvSL_
		.amdhsa_group_segment_fixed_size 33824
		.amdhsa_private_segment_fixed_size 220
		.amdhsa_kernarg_size 336
		.amdhsa_user_sgpr_count 14
		.amdhsa_user_sgpr_dispatch_ptr 0
		.amdhsa_user_sgpr_queue_ptr 0
		.amdhsa_user_sgpr_kernarg_segment_ptr 1
		.amdhsa_user_sgpr_dispatch_id 0
		.amdhsa_user_sgpr_private_segment_size 0
		.amdhsa_wavefront_size32 1
		.amdhsa_uses_dynamic_stack 0
		.amdhsa_enable_private_segment 1
		.amdhsa_system_sgpr_workgroup_id_x 1
		.amdhsa_system_sgpr_workgroup_id_y 1
		.amdhsa_system_sgpr_workgroup_id_z 0
		.amdhsa_system_sgpr_workgroup_info 0
		.amdhsa_system_vgpr_workitem_id 2
		.amdhsa_next_free_vgpr 248
		.amdhsa_next_free_sgpr 60
		.amdhsa_reserve_vcc 1
		.amdhsa_float_round_mode_32 0
		.amdhsa_float_round_mode_16_64 0
		.amdhsa_float_denorm_mode_32 3
		.amdhsa_float_denorm_mode_16_64 3
		.amdhsa_dx10_clamp 1
		.amdhsa_ieee_mode 1
		.amdhsa_fp16_overflow 0
		.amdhsa_workgroup_processor_mode 1
		.amdhsa_memory_ordered 1
		.amdhsa_forward_progress 0
		.amdhsa_shared_vgpr_count 0
		.amdhsa_exception_fp_ieee_invalid_op 0
		.amdhsa_exception_fp_denorm_src 0
		.amdhsa_exception_fp_ieee_div_zero 0
		.amdhsa_exception_fp_ieee_overflow 0
		.amdhsa_exception_fp_ieee_underflow 0
		.amdhsa_exception_fp_ieee_inexact 0
		.amdhsa_exception_int_div_zero 0
	.end_amdhsa_kernel
	.section	.text._ZN7rocprim17ROCPRIM_400000_NS6detail17trampoline_kernelINS0_14default_configENS1_36segmented_radix_sort_config_selectorI12hip_bfloat16lEEZNS1_25segmented_radix_sort_implIS3_Lb1EPKS5_PS5_PKlPlN2at6native12_GLOBAL__N_18offset_tEEE10hipError_tPvRmT1_PNSt15iterator_traitsISL_E10value_typeET2_T3_PNSM_ISR_E10value_typeET4_jRbjT5_SX_jjP12ihipStream_tbEUlT_E2_NS1_11comp_targetILNS1_3genE9ELNS1_11target_archE1100ELNS1_3gpuE3ELNS1_3repE0EEENS1_30default_config_static_selectorELNS0_4arch9wavefront6targetE0EEEvSL_,"axG",@progbits,_ZN7rocprim17ROCPRIM_400000_NS6detail17trampoline_kernelINS0_14default_configENS1_36segmented_radix_sort_config_selectorI12hip_bfloat16lEEZNS1_25segmented_radix_sort_implIS3_Lb1EPKS5_PS5_PKlPlN2at6native12_GLOBAL__N_18offset_tEEE10hipError_tPvRmT1_PNSt15iterator_traitsISL_E10value_typeET2_T3_PNSM_ISR_E10value_typeET4_jRbjT5_SX_jjP12ihipStream_tbEUlT_E2_NS1_11comp_targetILNS1_3genE9ELNS1_11target_archE1100ELNS1_3gpuE3ELNS1_3repE0EEENS1_30default_config_static_selectorELNS0_4arch9wavefront6targetE0EEEvSL_,comdat
.Lfunc_end1983:
	.size	_ZN7rocprim17ROCPRIM_400000_NS6detail17trampoline_kernelINS0_14default_configENS1_36segmented_radix_sort_config_selectorI12hip_bfloat16lEEZNS1_25segmented_radix_sort_implIS3_Lb1EPKS5_PS5_PKlPlN2at6native12_GLOBAL__N_18offset_tEEE10hipError_tPvRmT1_PNSt15iterator_traitsISL_E10value_typeET2_T3_PNSM_ISR_E10value_typeET4_jRbjT5_SX_jjP12ihipStream_tbEUlT_E2_NS1_11comp_targetILNS1_3genE9ELNS1_11target_archE1100ELNS1_3gpuE3ELNS1_3repE0EEENS1_30default_config_static_selectorELNS0_4arch9wavefront6targetE0EEEvSL_, .Lfunc_end1983-_ZN7rocprim17ROCPRIM_400000_NS6detail17trampoline_kernelINS0_14default_configENS1_36segmented_radix_sort_config_selectorI12hip_bfloat16lEEZNS1_25segmented_radix_sort_implIS3_Lb1EPKS5_PS5_PKlPlN2at6native12_GLOBAL__N_18offset_tEEE10hipError_tPvRmT1_PNSt15iterator_traitsISL_E10value_typeET2_T3_PNSM_ISR_E10value_typeET4_jRbjT5_SX_jjP12ihipStream_tbEUlT_E2_NS1_11comp_targetILNS1_3genE9ELNS1_11target_archE1100ELNS1_3gpuE3ELNS1_3repE0EEENS1_30default_config_static_selectorELNS0_4arch9wavefront6targetE0EEEvSL_
                                        ; -- End function
	.section	.AMDGPU.csdata,"",@progbits
; Kernel info:
; codeLenInByte = 79924
; NumSgprs: 62
; NumVgprs: 248
; ScratchSize: 220
; MemoryBound: 0
; FloatMode: 240
; IeeeMode: 1
; LDSByteSize: 33824 bytes/workgroup (compile time only)
; SGPRBlocks: 7
; VGPRBlocks: 30
; NumSGPRsForWavesPerEU: 62
; NumVGPRsForWavesPerEU: 248
; Occupancy: 5
; WaveLimiterHint : 1
; COMPUTE_PGM_RSRC2:SCRATCH_EN: 1
; COMPUTE_PGM_RSRC2:USER_SGPR: 14
; COMPUTE_PGM_RSRC2:TRAP_HANDLER: 0
; COMPUTE_PGM_RSRC2:TGID_X_EN: 1
; COMPUTE_PGM_RSRC2:TGID_Y_EN: 1
; COMPUTE_PGM_RSRC2:TGID_Z_EN: 0
; COMPUTE_PGM_RSRC2:TIDIG_COMP_CNT: 2
	.section	.text._ZN7rocprim17ROCPRIM_400000_NS6detail17trampoline_kernelINS0_14default_configENS1_36segmented_radix_sort_config_selectorI12hip_bfloat16lEEZNS1_25segmented_radix_sort_implIS3_Lb1EPKS5_PS5_PKlPlN2at6native12_GLOBAL__N_18offset_tEEE10hipError_tPvRmT1_PNSt15iterator_traitsISL_E10value_typeET2_T3_PNSM_ISR_E10value_typeET4_jRbjT5_SX_jjP12ihipStream_tbEUlT_E2_NS1_11comp_targetILNS1_3genE8ELNS1_11target_archE1030ELNS1_3gpuE2ELNS1_3repE0EEENS1_30default_config_static_selectorELNS0_4arch9wavefront6targetE0EEEvSL_,"axG",@progbits,_ZN7rocprim17ROCPRIM_400000_NS6detail17trampoline_kernelINS0_14default_configENS1_36segmented_radix_sort_config_selectorI12hip_bfloat16lEEZNS1_25segmented_radix_sort_implIS3_Lb1EPKS5_PS5_PKlPlN2at6native12_GLOBAL__N_18offset_tEEE10hipError_tPvRmT1_PNSt15iterator_traitsISL_E10value_typeET2_T3_PNSM_ISR_E10value_typeET4_jRbjT5_SX_jjP12ihipStream_tbEUlT_E2_NS1_11comp_targetILNS1_3genE8ELNS1_11target_archE1030ELNS1_3gpuE2ELNS1_3repE0EEENS1_30default_config_static_selectorELNS0_4arch9wavefront6targetE0EEEvSL_,comdat
	.globl	_ZN7rocprim17ROCPRIM_400000_NS6detail17trampoline_kernelINS0_14default_configENS1_36segmented_radix_sort_config_selectorI12hip_bfloat16lEEZNS1_25segmented_radix_sort_implIS3_Lb1EPKS5_PS5_PKlPlN2at6native12_GLOBAL__N_18offset_tEEE10hipError_tPvRmT1_PNSt15iterator_traitsISL_E10value_typeET2_T3_PNSM_ISR_E10value_typeET4_jRbjT5_SX_jjP12ihipStream_tbEUlT_E2_NS1_11comp_targetILNS1_3genE8ELNS1_11target_archE1030ELNS1_3gpuE2ELNS1_3repE0EEENS1_30default_config_static_selectorELNS0_4arch9wavefront6targetE0EEEvSL_ ; -- Begin function _ZN7rocprim17ROCPRIM_400000_NS6detail17trampoline_kernelINS0_14default_configENS1_36segmented_radix_sort_config_selectorI12hip_bfloat16lEEZNS1_25segmented_radix_sort_implIS3_Lb1EPKS5_PS5_PKlPlN2at6native12_GLOBAL__N_18offset_tEEE10hipError_tPvRmT1_PNSt15iterator_traitsISL_E10value_typeET2_T3_PNSM_ISR_E10value_typeET4_jRbjT5_SX_jjP12ihipStream_tbEUlT_E2_NS1_11comp_targetILNS1_3genE8ELNS1_11target_archE1030ELNS1_3gpuE2ELNS1_3repE0EEENS1_30default_config_static_selectorELNS0_4arch9wavefront6targetE0EEEvSL_
	.p2align	8
	.type	_ZN7rocprim17ROCPRIM_400000_NS6detail17trampoline_kernelINS0_14default_configENS1_36segmented_radix_sort_config_selectorI12hip_bfloat16lEEZNS1_25segmented_radix_sort_implIS3_Lb1EPKS5_PS5_PKlPlN2at6native12_GLOBAL__N_18offset_tEEE10hipError_tPvRmT1_PNSt15iterator_traitsISL_E10value_typeET2_T3_PNSM_ISR_E10value_typeET4_jRbjT5_SX_jjP12ihipStream_tbEUlT_E2_NS1_11comp_targetILNS1_3genE8ELNS1_11target_archE1030ELNS1_3gpuE2ELNS1_3repE0EEENS1_30default_config_static_selectorELNS0_4arch9wavefront6targetE0EEEvSL_,@function
_ZN7rocprim17ROCPRIM_400000_NS6detail17trampoline_kernelINS0_14default_configENS1_36segmented_radix_sort_config_selectorI12hip_bfloat16lEEZNS1_25segmented_radix_sort_implIS3_Lb1EPKS5_PS5_PKlPlN2at6native12_GLOBAL__N_18offset_tEEE10hipError_tPvRmT1_PNSt15iterator_traitsISL_E10value_typeET2_T3_PNSM_ISR_E10value_typeET4_jRbjT5_SX_jjP12ihipStream_tbEUlT_E2_NS1_11comp_targetILNS1_3genE8ELNS1_11target_archE1030ELNS1_3gpuE2ELNS1_3repE0EEENS1_30default_config_static_selectorELNS0_4arch9wavefront6targetE0EEEvSL_: ; @_ZN7rocprim17ROCPRIM_400000_NS6detail17trampoline_kernelINS0_14default_configENS1_36segmented_radix_sort_config_selectorI12hip_bfloat16lEEZNS1_25segmented_radix_sort_implIS3_Lb1EPKS5_PS5_PKlPlN2at6native12_GLOBAL__N_18offset_tEEE10hipError_tPvRmT1_PNSt15iterator_traitsISL_E10value_typeET2_T3_PNSM_ISR_E10value_typeET4_jRbjT5_SX_jjP12ihipStream_tbEUlT_E2_NS1_11comp_targetILNS1_3genE8ELNS1_11target_archE1030ELNS1_3gpuE2ELNS1_3repE0EEENS1_30default_config_static_selectorELNS0_4arch9wavefront6targetE0EEEvSL_
; %bb.0:
	.section	.rodata,"a",@progbits
	.p2align	6, 0x0
	.amdhsa_kernel _ZN7rocprim17ROCPRIM_400000_NS6detail17trampoline_kernelINS0_14default_configENS1_36segmented_radix_sort_config_selectorI12hip_bfloat16lEEZNS1_25segmented_radix_sort_implIS3_Lb1EPKS5_PS5_PKlPlN2at6native12_GLOBAL__N_18offset_tEEE10hipError_tPvRmT1_PNSt15iterator_traitsISL_E10value_typeET2_T3_PNSM_ISR_E10value_typeET4_jRbjT5_SX_jjP12ihipStream_tbEUlT_E2_NS1_11comp_targetILNS1_3genE8ELNS1_11target_archE1030ELNS1_3gpuE2ELNS1_3repE0EEENS1_30default_config_static_selectorELNS0_4arch9wavefront6targetE0EEEvSL_
		.amdhsa_group_segment_fixed_size 0
		.amdhsa_private_segment_fixed_size 0
		.amdhsa_kernarg_size 80
		.amdhsa_user_sgpr_count 15
		.amdhsa_user_sgpr_dispatch_ptr 0
		.amdhsa_user_sgpr_queue_ptr 0
		.amdhsa_user_sgpr_kernarg_segment_ptr 1
		.amdhsa_user_sgpr_dispatch_id 0
		.amdhsa_user_sgpr_private_segment_size 0
		.amdhsa_wavefront_size32 1
		.amdhsa_uses_dynamic_stack 0
		.amdhsa_enable_private_segment 0
		.amdhsa_system_sgpr_workgroup_id_x 1
		.amdhsa_system_sgpr_workgroup_id_y 0
		.amdhsa_system_sgpr_workgroup_id_z 0
		.amdhsa_system_sgpr_workgroup_info 0
		.amdhsa_system_vgpr_workitem_id 0
		.amdhsa_next_free_vgpr 1
		.amdhsa_next_free_sgpr 1
		.amdhsa_reserve_vcc 0
		.amdhsa_float_round_mode_32 0
		.amdhsa_float_round_mode_16_64 0
		.amdhsa_float_denorm_mode_32 3
		.amdhsa_float_denorm_mode_16_64 3
		.amdhsa_dx10_clamp 1
		.amdhsa_ieee_mode 1
		.amdhsa_fp16_overflow 0
		.amdhsa_workgroup_processor_mode 1
		.amdhsa_memory_ordered 1
		.amdhsa_forward_progress 0
		.amdhsa_shared_vgpr_count 0
		.amdhsa_exception_fp_ieee_invalid_op 0
		.amdhsa_exception_fp_denorm_src 0
		.amdhsa_exception_fp_ieee_div_zero 0
		.amdhsa_exception_fp_ieee_overflow 0
		.amdhsa_exception_fp_ieee_underflow 0
		.amdhsa_exception_fp_ieee_inexact 0
		.amdhsa_exception_int_div_zero 0
	.end_amdhsa_kernel
	.section	.text._ZN7rocprim17ROCPRIM_400000_NS6detail17trampoline_kernelINS0_14default_configENS1_36segmented_radix_sort_config_selectorI12hip_bfloat16lEEZNS1_25segmented_radix_sort_implIS3_Lb1EPKS5_PS5_PKlPlN2at6native12_GLOBAL__N_18offset_tEEE10hipError_tPvRmT1_PNSt15iterator_traitsISL_E10value_typeET2_T3_PNSM_ISR_E10value_typeET4_jRbjT5_SX_jjP12ihipStream_tbEUlT_E2_NS1_11comp_targetILNS1_3genE8ELNS1_11target_archE1030ELNS1_3gpuE2ELNS1_3repE0EEENS1_30default_config_static_selectorELNS0_4arch9wavefront6targetE0EEEvSL_,"axG",@progbits,_ZN7rocprim17ROCPRIM_400000_NS6detail17trampoline_kernelINS0_14default_configENS1_36segmented_radix_sort_config_selectorI12hip_bfloat16lEEZNS1_25segmented_radix_sort_implIS3_Lb1EPKS5_PS5_PKlPlN2at6native12_GLOBAL__N_18offset_tEEE10hipError_tPvRmT1_PNSt15iterator_traitsISL_E10value_typeET2_T3_PNSM_ISR_E10value_typeET4_jRbjT5_SX_jjP12ihipStream_tbEUlT_E2_NS1_11comp_targetILNS1_3genE8ELNS1_11target_archE1030ELNS1_3gpuE2ELNS1_3repE0EEENS1_30default_config_static_selectorELNS0_4arch9wavefront6targetE0EEEvSL_,comdat
.Lfunc_end1984:
	.size	_ZN7rocprim17ROCPRIM_400000_NS6detail17trampoline_kernelINS0_14default_configENS1_36segmented_radix_sort_config_selectorI12hip_bfloat16lEEZNS1_25segmented_radix_sort_implIS3_Lb1EPKS5_PS5_PKlPlN2at6native12_GLOBAL__N_18offset_tEEE10hipError_tPvRmT1_PNSt15iterator_traitsISL_E10value_typeET2_T3_PNSM_ISR_E10value_typeET4_jRbjT5_SX_jjP12ihipStream_tbEUlT_E2_NS1_11comp_targetILNS1_3genE8ELNS1_11target_archE1030ELNS1_3gpuE2ELNS1_3repE0EEENS1_30default_config_static_selectorELNS0_4arch9wavefront6targetE0EEEvSL_, .Lfunc_end1984-_ZN7rocprim17ROCPRIM_400000_NS6detail17trampoline_kernelINS0_14default_configENS1_36segmented_radix_sort_config_selectorI12hip_bfloat16lEEZNS1_25segmented_radix_sort_implIS3_Lb1EPKS5_PS5_PKlPlN2at6native12_GLOBAL__N_18offset_tEEE10hipError_tPvRmT1_PNSt15iterator_traitsISL_E10value_typeET2_T3_PNSM_ISR_E10value_typeET4_jRbjT5_SX_jjP12ihipStream_tbEUlT_E2_NS1_11comp_targetILNS1_3genE8ELNS1_11target_archE1030ELNS1_3gpuE2ELNS1_3repE0EEENS1_30default_config_static_selectorELNS0_4arch9wavefront6targetE0EEEvSL_
                                        ; -- End function
	.section	.AMDGPU.csdata,"",@progbits
; Kernel info:
; codeLenInByte = 0
; NumSgprs: 0
; NumVgprs: 0
; ScratchSize: 0
; MemoryBound: 0
; FloatMode: 240
; IeeeMode: 1
; LDSByteSize: 0 bytes/workgroup (compile time only)
; SGPRBlocks: 0
; VGPRBlocks: 0
; NumSGPRsForWavesPerEU: 1
; NumVGPRsForWavesPerEU: 1
; Occupancy: 16
; WaveLimiterHint : 0
; COMPUTE_PGM_RSRC2:SCRATCH_EN: 0
; COMPUTE_PGM_RSRC2:USER_SGPR: 15
; COMPUTE_PGM_RSRC2:TRAP_HANDLER: 0
; COMPUTE_PGM_RSRC2:TGID_X_EN: 1
; COMPUTE_PGM_RSRC2:TGID_Y_EN: 0
; COMPUTE_PGM_RSRC2:TGID_Z_EN: 0
; COMPUTE_PGM_RSRC2:TIDIG_COMP_CNT: 0
	.section	.text._ZN7rocprim17ROCPRIM_400000_NS6detail17trampoline_kernelINS0_13select_configILj256ELj13ELNS0_17block_load_methodE3ELS4_3ELS4_3ELNS0_20block_scan_algorithmE0ELj4294967295EEENS1_25partition_config_selectorILNS1_17partition_subalgoE4EjNS0_10empty_typeEbEEZZNS1_14partition_implILS8_4ELb0ES6_15HIP_vector_typeIjLj2EENS0_17counting_iteratorIjlEEPS9_SG_NS0_5tupleIJPjSI_NS0_16reverse_iteratorISI_EEEEENSH_IJSG_SG_SG_EEES9_SI_JZNS1_25segmented_radix_sort_implINS0_14default_configELb0EPK12hip_bfloat16PSP_PKlPlN2at6native12_GLOBAL__N_18offset_tEEE10hipError_tPvRmT1_PNSt15iterator_traitsIS13_E10value_typeET2_T3_PNS14_IS19_E10value_typeET4_jRbjT5_S1F_jjP12ihipStream_tbEUljE_ZNSN_ISO_Lb0ESR_SS_SU_SV_SZ_EES10_S11_S12_S13_S17_S18_S19_S1C_S1D_jS1E_jS1F_S1F_jjS1H_bEUljE0_EEES10_S11_S12_S19_S1D_S1F_T6_T7_T9_mT8_S1H_bDpT10_ENKUlT_T0_E_clISt17integral_constantIbLb0EES1V_EEDaS1Q_S1R_EUlS1Q_E_NS1_11comp_targetILNS1_3genE0ELNS1_11target_archE4294967295ELNS1_3gpuE0ELNS1_3repE0EEENS1_30default_config_static_selectorELNS0_4arch9wavefront6targetE0EEEvS13_,"axG",@progbits,_ZN7rocprim17ROCPRIM_400000_NS6detail17trampoline_kernelINS0_13select_configILj256ELj13ELNS0_17block_load_methodE3ELS4_3ELS4_3ELNS0_20block_scan_algorithmE0ELj4294967295EEENS1_25partition_config_selectorILNS1_17partition_subalgoE4EjNS0_10empty_typeEbEEZZNS1_14partition_implILS8_4ELb0ES6_15HIP_vector_typeIjLj2EENS0_17counting_iteratorIjlEEPS9_SG_NS0_5tupleIJPjSI_NS0_16reverse_iteratorISI_EEEEENSH_IJSG_SG_SG_EEES9_SI_JZNS1_25segmented_radix_sort_implINS0_14default_configELb0EPK12hip_bfloat16PSP_PKlPlN2at6native12_GLOBAL__N_18offset_tEEE10hipError_tPvRmT1_PNSt15iterator_traitsIS13_E10value_typeET2_T3_PNS14_IS19_E10value_typeET4_jRbjT5_S1F_jjP12ihipStream_tbEUljE_ZNSN_ISO_Lb0ESR_SS_SU_SV_SZ_EES10_S11_S12_S13_S17_S18_S19_S1C_S1D_jS1E_jS1F_S1F_jjS1H_bEUljE0_EEES10_S11_S12_S19_S1D_S1F_T6_T7_T9_mT8_S1H_bDpT10_ENKUlT_T0_E_clISt17integral_constantIbLb0EES1V_EEDaS1Q_S1R_EUlS1Q_E_NS1_11comp_targetILNS1_3genE0ELNS1_11target_archE4294967295ELNS1_3gpuE0ELNS1_3repE0EEENS1_30default_config_static_selectorELNS0_4arch9wavefront6targetE0EEEvS13_,comdat
	.globl	_ZN7rocprim17ROCPRIM_400000_NS6detail17trampoline_kernelINS0_13select_configILj256ELj13ELNS0_17block_load_methodE3ELS4_3ELS4_3ELNS0_20block_scan_algorithmE0ELj4294967295EEENS1_25partition_config_selectorILNS1_17partition_subalgoE4EjNS0_10empty_typeEbEEZZNS1_14partition_implILS8_4ELb0ES6_15HIP_vector_typeIjLj2EENS0_17counting_iteratorIjlEEPS9_SG_NS0_5tupleIJPjSI_NS0_16reverse_iteratorISI_EEEEENSH_IJSG_SG_SG_EEES9_SI_JZNS1_25segmented_radix_sort_implINS0_14default_configELb0EPK12hip_bfloat16PSP_PKlPlN2at6native12_GLOBAL__N_18offset_tEEE10hipError_tPvRmT1_PNSt15iterator_traitsIS13_E10value_typeET2_T3_PNS14_IS19_E10value_typeET4_jRbjT5_S1F_jjP12ihipStream_tbEUljE_ZNSN_ISO_Lb0ESR_SS_SU_SV_SZ_EES10_S11_S12_S13_S17_S18_S19_S1C_S1D_jS1E_jS1F_S1F_jjS1H_bEUljE0_EEES10_S11_S12_S19_S1D_S1F_T6_T7_T9_mT8_S1H_bDpT10_ENKUlT_T0_E_clISt17integral_constantIbLb0EES1V_EEDaS1Q_S1R_EUlS1Q_E_NS1_11comp_targetILNS1_3genE0ELNS1_11target_archE4294967295ELNS1_3gpuE0ELNS1_3repE0EEENS1_30default_config_static_selectorELNS0_4arch9wavefront6targetE0EEEvS13_ ; -- Begin function _ZN7rocprim17ROCPRIM_400000_NS6detail17trampoline_kernelINS0_13select_configILj256ELj13ELNS0_17block_load_methodE3ELS4_3ELS4_3ELNS0_20block_scan_algorithmE0ELj4294967295EEENS1_25partition_config_selectorILNS1_17partition_subalgoE4EjNS0_10empty_typeEbEEZZNS1_14partition_implILS8_4ELb0ES6_15HIP_vector_typeIjLj2EENS0_17counting_iteratorIjlEEPS9_SG_NS0_5tupleIJPjSI_NS0_16reverse_iteratorISI_EEEEENSH_IJSG_SG_SG_EEES9_SI_JZNS1_25segmented_radix_sort_implINS0_14default_configELb0EPK12hip_bfloat16PSP_PKlPlN2at6native12_GLOBAL__N_18offset_tEEE10hipError_tPvRmT1_PNSt15iterator_traitsIS13_E10value_typeET2_T3_PNS14_IS19_E10value_typeET4_jRbjT5_S1F_jjP12ihipStream_tbEUljE_ZNSN_ISO_Lb0ESR_SS_SU_SV_SZ_EES10_S11_S12_S13_S17_S18_S19_S1C_S1D_jS1E_jS1F_S1F_jjS1H_bEUljE0_EEES10_S11_S12_S19_S1D_S1F_T6_T7_T9_mT8_S1H_bDpT10_ENKUlT_T0_E_clISt17integral_constantIbLb0EES1V_EEDaS1Q_S1R_EUlS1Q_E_NS1_11comp_targetILNS1_3genE0ELNS1_11target_archE4294967295ELNS1_3gpuE0ELNS1_3repE0EEENS1_30default_config_static_selectorELNS0_4arch9wavefront6targetE0EEEvS13_
	.p2align	8
	.type	_ZN7rocprim17ROCPRIM_400000_NS6detail17trampoline_kernelINS0_13select_configILj256ELj13ELNS0_17block_load_methodE3ELS4_3ELS4_3ELNS0_20block_scan_algorithmE0ELj4294967295EEENS1_25partition_config_selectorILNS1_17partition_subalgoE4EjNS0_10empty_typeEbEEZZNS1_14partition_implILS8_4ELb0ES6_15HIP_vector_typeIjLj2EENS0_17counting_iteratorIjlEEPS9_SG_NS0_5tupleIJPjSI_NS0_16reverse_iteratorISI_EEEEENSH_IJSG_SG_SG_EEES9_SI_JZNS1_25segmented_radix_sort_implINS0_14default_configELb0EPK12hip_bfloat16PSP_PKlPlN2at6native12_GLOBAL__N_18offset_tEEE10hipError_tPvRmT1_PNSt15iterator_traitsIS13_E10value_typeET2_T3_PNS14_IS19_E10value_typeET4_jRbjT5_S1F_jjP12ihipStream_tbEUljE_ZNSN_ISO_Lb0ESR_SS_SU_SV_SZ_EES10_S11_S12_S13_S17_S18_S19_S1C_S1D_jS1E_jS1F_S1F_jjS1H_bEUljE0_EEES10_S11_S12_S19_S1D_S1F_T6_T7_T9_mT8_S1H_bDpT10_ENKUlT_T0_E_clISt17integral_constantIbLb0EES1V_EEDaS1Q_S1R_EUlS1Q_E_NS1_11comp_targetILNS1_3genE0ELNS1_11target_archE4294967295ELNS1_3gpuE0ELNS1_3repE0EEENS1_30default_config_static_selectorELNS0_4arch9wavefront6targetE0EEEvS13_,@function
_ZN7rocprim17ROCPRIM_400000_NS6detail17trampoline_kernelINS0_13select_configILj256ELj13ELNS0_17block_load_methodE3ELS4_3ELS4_3ELNS0_20block_scan_algorithmE0ELj4294967295EEENS1_25partition_config_selectorILNS1_17partition_subalgoE4EjNS0_10empty_typeEbEEZZNS1_14partition_implILS8_4ELb0ES6_15HIP_vector_typeIjLj2EENS0_17counting_iteratorIjlEEPS9_SG_NS0_5tupleIJPjSI_NS0_16reverse_iteratorISI_EEEEENSH_IJSG_SG_SG_EEES9_SI_JZNS1_25segmented_radix_sort_implINS0_14default_configELb0EPK12hip_bfloat16PSP_PKlPlN2at6native12_GLOBAL__N_18offset_tEEE10hipError_tPvRmT1_PNSt15iterator_traitsIS13_E10value_typeET2_T3_PNS14_IS19_E10value_typeET4_jRbjT5_S1F_jjP12ihipStream_tbEUljE_ZNSN_ISO_Lb0ESR_SS_SU_SV_SZ_EES10_S11_S12_S13_S17_S18_S19_S1C_S1D_jS1E_jS1F_S1F_jjS1H_bEUljE0_EEES10_S11_S12_S19_S1D_S1F_T6_T7_T9_mT8_S1H_bDpT10_ENKUlT_T0_E_clISt17integral_constantIbLb0EES1V_EEDaS1Q_S1R_EUlS1Q_E_NS1_11comp_targetILNS1_3genE0ELNS1_11target_archE4294967295ELNS1_3gpuE0ELNS1_3repE0EEENS1_30default_config_static_selectorELNS0_4arch9wavefront6targetE0EEEvS13_: ; @_ZN7rocprim17ROCPRIM_400000_NS6detail17trampoline_kernelINS0_13select_configILj256ELj13ELNS0_17block_load_methodE3ELS4_3ELS4_3ELNS0_20block_scan_algorithmE0ELj4294967295EEENS1_25partition_config_selectorILNS1_17partition_subalgoE4EjNS0_10empty_typeEbEEZZNS1_14partition_implILS8_4ELb0ES6_15HIP_vector_typeIjLj2EENS0_17counting_iteratorIjlEEPS9_SG_NS0_5tupleIJPjSI_NS0_16reverse_iteratorISI_EEEEENSH_IJSG_SG_SG_EEES9_SI_JZNS1_25segmented_radix_sort_implINS0_14default_configELb0EPK12hip_bfloat16PSP_PKlPlN2at6native12_GLOBAL__N_18offset_tEEE10hipError_tPvRmT1_PNSt15iterator_traitsIS13_E10value_typeET2_T3_PNS14_IS19_E10value_typeET4_jRbjT5_S1F_jjP12ihipStream_tbEUljE_ZNSN_ISO_Lb0ESR_SS_SU_SV_SZ_EES10_S11_S12_S13_S17_S18_S19_S1C_S1D_jS1E_jS1F_S1F_jjS1H_bEUljE0_EEES10_S11_S12_S19_S1D_S1F_T6_T7_T9_mT8_S1H_bDpT10_ENKUlT_T0_E_clISt17integral_constantIbLb0EES1V_EEDaS1Q_S1R_EUlS1Q_E_NS1_11comp_targetILNS1_3genE0ELNS1_11target_archE4294967295ELNS1_3gpuE0ELNS1_3repE0EEENS1_30default_config_static_selectorELNS0_4arch9wavefront6targetE0EEEvS13_
; %bb.0:
	.section	.rodata,"a",@progbits
	.p2align	6, 0x0
	.amdhsa_kernel _ZN7rocprim17ROCPRIM_400000_NS6detail17trampoline_kernelINS0_13select_configILj256ELj13ELNS0_17block_load_methodE3ELS4_3ELS4_3ELNS0_20block_scan_algorithmE0ELj4294967295EEENS1_25partition_config_selectorILNS1_17partition_subalgoE4EjNS0_10empty_typeEbEEZZNS1_14partition_implILS8_4ELb0ES6_15HIP_vector_typeIjLj2EENS0_17counting_iteratorIjlEEPS9_SG_NS0_5tupleIJPjSI_NS0_16reverse_iteratorISI_EEEEENSH_IJSG_SG_SG_EEES9_SI_JZNS1_25segmented_radix_sort_implINS0_14default_configELb0EPK12hip_bfloat16PSP_PKlPlN2at6native12_GLOBAL__N_18offset_tEEE10hipError_tPvRmT1_PNSt15iterator_traitsIS13_E10value_typeET2_T3_PNS14_IS19_E10value_typeET4_jRbjT5_S1F_jjP12ihipStream_tbEUljE_ZNSN_ISO_Lb0ESR_SS_SU_SV_SZ_EES10_S11_S12_S13_S17_S18_S19_S1C_S1D_jS1E_jS1F_S1F_jjS1H_bEUljE0_EEES10_S11_S12_S19_S1D_S1F_T6_T7_T9_mT8_S1H_bDpT10_ENKUlT_T0_E_clISt17integral_constantIbLb0EES1V_EEDaS1Q_S1R_EUlS1Q_E_NS1_11comp_targetILNS1_3genE0ELNS1_11target_archE4294967295ELNS1_3gpuE0ELNS1_3repE0EEENS1_30default_config_static_selectorELNS0_4arch9wavefront6targetE0EEEvS13_
		.amdhsa_group_segment_fixed_size 0
		.amdhsa_private_segment_fixed_size 0
		.amdhsa_kernarg_size 176
		.amdhsa_user_sgpr_count 15
		.amdhsa_user_sgpr_dispatch_ptr 0
		.amdhsa_user_sgpr_queue_ptr 0
		.amdhsa_user_sgpr_kernarg_segment_ptr 1
		.amdhsa_user_sgpr_dispatch_id 0
		.amdhsa_user_sgpr_private_segment_size 0
		.amdhsa_wavefront_size32 1
		.amdhsa_uses_dynamic_stack 0
		.amdhsa_enable_private_segment 0
		.amdhsa_system_sgpr_workgroup_id_x 1
		.amdhsa_system_sgpr_workgroup_id_y 0
		.amdhsa_system_sgpr_workgroup_id_z 0
		.amdhsa_system_sgpr_workgroup_info 0
		.amdhsa_system_vgpr_workitem_id 0
		.amdhsa_next_free_vgpr 1
		.amdhsa_next_free_sgpr 1
		.amdhsa_reserve_vcc 0
		.amdhsa_float_round_mode_32 0
		.amdhsa_float_round_mode_16_64 0
		.amdhsa_float_denorm_mode_32 3
		.amdhsa_float_denorm_mode_16_64 3
		.amdhsa_dx10_clamp 1
		.amdhsa_ieee_mode 1
		.amdhsa_fp16_overflow 0
		.amdhsa_workgroup_processor_mode 1
		.amdhsa_memory_ordered 1
		.amdhsa_forward_progress 0
		.amdhsa_shared_vgpr_count 0
		.amdhsa_exception_fp_ieee_invalid_op 0
		.amdhsa_exception_fp_denorm_src 0
		.amdhsa_exception_fp_ieee_div_zero 0
		.amdhsa_exception_fp_ieee_overflow 0
		.amdhsa_exception_fp_ieee_underflow 0
		.amdhsa_exception_fp_ieee_inexact 0
		.amdhsa_exception_int_div_zero 0
	.end_amdhsa_kernel
	.section	.text._ZN7rocprim17ROCPRIM_400000_NS6detail17trampoline_kernelINS0_13select_configILj256ELj13ELNS0_17block_load_methodE3ELS4_3ELS4_3ELNS0_20block_scan_algorithmE0ELj4294967295EEENS1_25partition_config_selectorILNS1_17partition_subalgoE4EjNS0_10empty_typeEbEEZZNS1_14partition_implILS8_4ELb0ES6_15HIP_vector_typeIjLj2EENS0_17counting_iteratorIjlEEPS9_SG_NS0_5tupleIJPjSI_NS0_16reverse_iteratorISI_EEEEENSH_IJSG_SG_SG_EEES9_SI_JZNS1_25segmented_radix_sort_implINS0_14default_configELb0EPK12hip_bfloat16PSP_PKlPlN2at6native12_GLOBAL__N_18offset_tEEE10hipError_tPvRmT1_PNSt15iterator_traitsIS13_E10value_typeET2_T3_PNS14_IS19_E10value_typeET4_jRbjT5_S1F_jjP12ihipStream_tbEUljE_ZNSN_ISO_Lb0ESR_SS_SU_SV_SZ_EES10_S11_S12_S13_S17_S18_S19_S1C_S1D_jS1E_jS1F_S1F_jjS1H_bEUljE0_EEES10_S11_S12_S19_S1D_S1F_T6_T7_T9_mT8_S1H_bDpT10_ENKUlT_T0_E_clISt17integral_constantIbLb0EES1V_EEDaS1Q_S1R_EUlS1Q_E_NS1_11comp_targetILNS1_3genE0ELNS1_11target_archE4294967295ELNS1_3gpuE0ELNS1_3repE0EEENS1_30default_config_static_selectorELNS0_4arch9wavefront6targetE0EEEvS13_,"axG",@progbits,_ZN7rocprim17ROCPRIM_400000_NS6detail17trampoline_kernelINS0_13select_configILj256ELj13ELNS0_17block_load_methodE3ELS4_3ELS4_3ELNS0_20block_scan_algorithmE0ELj4294967295EEENS1_25partition_config_selectorILNS1_17partition_subalgoE4EjNS0_10empty_typeEbEEZZNS1_14partition_implILS8_4ELb0ES6_15HIP_vector_typeIjLj2EENS0_17counting_iteratorIjlEEPS9_SG_NS0_5tupleIJPjSI_NS0_16reverse_iteratorISI_EEEEENSH_IJSG_SG_SG_EEES9_SI_JZNS1_25segmented_radix_sort_implINS0_14default_configELb0EPK12hip_bfloat16PSP_PKlPlN2at6native12_GLOBAL__N_18offset_tEEE10hipError_tPvRmT1_PNSt15iterator_traitsIS13_E10value_typeET2_T3_PNS14_IS19_E10value_typeET4_jRbjT5_S1F_jjP12ihipStream_tbEUljE_ZNSN_ISO_Lb0ESR_SS_SU_SV_SZ_EES10_S11_S12_S13_S17_S18_S19_S1C_S1D_jS1E_jS1F_S1F_jjS1H_bEUljE0_EEES10_S11_S12_S19_S1D_S1F_T6_T7_T9_mT8_S1H_bDpT10_ENKUlT_T0_E_clISt17integral_constantIbLb0EES1V_EEDaS1Q_S1R_EUlS1Q_E_NS1_11comp_targetILNS1_3genE0ELNS1_11target_archE4294967295ELNS1_3gpuE0ELNS1_3repE0EEENS1_30default_config_static_selectorELNS0_4arch9wavefront6targetE0EEEvS13_,comdat
.Lfunc_end1985:
	.size	_ZN7rocprim17ROCPRIM_400000_NS6detail17trampoline_kernelINS0_13select_configILj256ELj13ELNS0_17block_load_methodE3ELS4_3ELS4_3ELNS0_20block_scan_algorithmE0ELj4294967295EEENS1_25partition_config_selectorILNS1_17partition_subalgoE4EjNS0_10empty_typeEbEEZZNS1_14partition_implILS8_4ELb0ES6_15HIP_vector_typeIjLj2EENS0_17counting_iteratorIjlEEPS9_SG_NS0_5tupleIJPjSI_NS0_16reverse_iteratorISI_EEEEENSH_IJSG_SG_SG_EEES9_SI_JZNS1_25segmented_radix_sort_implINS0_14default_configELb0EPK12hip_bfloat16PSP_PKlPlN2at6native12_GLOBAL__N_18offset_tEEE10hipError_tPvRmT1_PNSt15iterator_traitsIS13_E10value_typeET2_T3_PNS14_IS19_E10value_typeET4_jRbjT5_S1F_jjP12ihipStream_tbEUljE_ZNSN_ISO_Lb0ESR_SS_SU_SV_SZ_EES10_S11_S12_S13_S17_S18_S19_S1C_S1D_jS1E_jS1F_S1F_jjS1H_bEUljE0_EEES10_S11_S12_S19_S1D_S1F_T6_T7_T9_mT8_S1H_bDpT10_ENKUlT_T0_E_clISt17integral_constantIbLb0EES1V_EEDaS1Q_S1R_EUlS1Q_E_NS1_11comp_targetILNS1_3genE0ELNS1_11target_archE4294967295ELNS1_3gpuE0ELNS1_3repE0EEENS1_30default_config_static_selectorELNS0_4arch9wavefront6targetE0EEEvS13_, .Lfunc_end1985-_ZN7rocprim17ROCPRIM_400000_NS6detail17trampoline_kernelINS0_13select_configILj256ELj13ELNS0_17block_load_methodE3ELS4_3ELS4_3ELNS0_20block_scan_algorithmE0ELj4294967295EEENS1_25partition_config_selectorILNS1_17partition_subalgoE4EjNS0_10empty_typeEbEEZZNS1_14partition_implILS8_4ELb0ES6_15HIP_vector_typeIjLj2EENS0_17counting_iteratorIjlEEPS9_SG_NS0_5tupleIJPjSI_NS0_16reverse_iteratorISI_EEEEENSH_IJSG_SG_SG_EEES9_SI_JZNS1_25segmented_radix_sort_implINS0_14default_configELb0EPK12hip_bfloat16PSP_PKlPlN2at6native12_GLOBAL__N_18offset_tEEE10hipError_tPvRmT1_PNSt15iterator_traitsIS13_E10value_typeET2_T3_PNS14_IS19_E10value_typeET4_jRbjT5_S1F_jjP12ihipStream_tbEUljE_ZNSN_ISO_Lb0ESR_SS_SU_SV_SZ_EES10_S11_S12_S13_S17_S18_S19_S1C_S1D_jS1E_jS1F_S1F_jjS1H_bEUljE0_EEES10_S11_S12_S19_S1D_S1F_T6_T7_T9_mT8_S1H_bDpT10_ENKUlT_T0_E_clISt17integral_constantIbLb0EES1V_EEDaS1Q_S1R_EUlS1Q_E_NS1_11comp_targetILNS1_3genE0ELNS1_11target_archE4294967295ELNS1_3gpuE0ELNS1_3repE0EEENS1_30default_config_static_selectorELNS0_4arch9wavefront6targetE0EEEvS13_
                                        ; -- End function
	.section	.AMDGPU.csdata,"",@progbits
; Kernel info:
; codeLenInByte = 0
; NumSgprs: 0
; NumVgprs: 0
; ScratchSize: 0
; MemoryBound: 0
; FloatMode: 240
; IeeeMode: 1
; LDSByteSize: 0 bytes/workgroup (compile time only)
; SGPRBlocks: 0
; VGPRBlocks: 0
; NumSGPRsForWavesPerEU: 1
; NumVGPRsForWavesPerEU: 1
; Occupancy: 16
; WaveLimiterHint : 0
; COMPUTE_PGM_RSRC2:SCRATCH_EN: 0
; COMPUTE_PGM_RSRC2:USER_SGPR: 15
; COMPUTE_PGM_RSRC2:TRAP_HANDLER: 0
; COMPUTE_PGM_RSRC2:TGID_X_EN: 1
; COMPUTE_PGM_RSRC2:TGID_Y_EN: 0
; COMPUTE_PGM_RSRC2:TGID_Z_EN: 0
; COMPUTE_PGM_RSRC2:TIDIG_COMP_CNT: 0
	.section	.text._ZN7rocprim17ROCPRIM_400000_NS6detail17trampoline_kernelINS0_13select_configILj256ELj13ELNS0_17block_load_methodE3ELS4_3ELS4_3ELNS0_20block_scan_algorithmE0ELj4294967295EEENS1_25partition_config_selectorILNS1_17partition_subalgoE4EjNS0_10empty_typeEbEEZZNS1_14partition_implILS8_4ELb0ES6_15HIP_vector_typeIjLj2EENS0_17counting_iteratorIjlEEPS9_SG_NS0_5tupleIJPjSI_NS0_16reverse_iteratorISI_EEEEENSH_IJSG_SG_SG_EEES9_SI_JZNS1_25segmented_radix_sort_implINS0_14default_configELb0EPK12hip_bfloat16PSP_PKlPlN2at6native12_GLOBAL__N_18offset_tEEE10hipError_tPvRmT1_PNSt15iterator_traitsIS13_E10value_typeET2_T3_PNS14_IS19_E10value_typeET4_jRbjT5_S1F_jjP12ihipStream_tbEUljE_ZNSN_ISO_Lb0ESR_SS_SU_SV_SZ_EES10_S11_S12_S13_S17_S18_S19_S1C_S1D_jS1E_jS1F_S1F_jjS1H_bEUljE0_EEES10_S11_S12_S19_S1D_S1F_T6_T7_T9_mT8_S1H_bDpT10_ENKUlT_T0_E_clISt17integral_constantIbLb0EES1V_EEDaS1Q_S1R_EUlS1Q_E_NS1_11comp_targetILNS1_3genE5ELNS1_11target_archE942ELNS1_3gpuE9ELNS1_3repE0EEENS1_30default_config_static_selectorELNS0_4arch9wavefront6targetE0EEEvS13_,"axG",@progbits,_ZN7rocprim17ROCPRIM_400000_NS6detail17trampoline_kernelINS0_13select_configILj256ELj13ELNS0_17block_load_methodE3ELS4_3ELS4_3ELNS0_20block_scan_algorithmE0ELj4294967295EEENS1_25partition_config_selectorILNS1_17partition_subalgoE4EjNS0_10empty_typeEbEEZZNS1_14partition_implILS8_4ELb0ES6_15HIP_vector_typeIjLj2EENS0_17counting_iteratorIjlEEPS9_SG_NS0_5tupleIJPjSI_NS0_16reverse_iteratorISI_EEEEENSH_IJSG_SG_SG_EEES9_SI_JZNS1_25segmented_radix_sort_implINS0_14default_configELb0EPK12hip_bfloat16PSP_PKlPlN2at6native12_GLOBAL__N_18offset_tEEE10hipError_tPvRmT1_PNSt15iterator_traitsIS13_E10value_typeET2_T3_PNS14_IS19_E10value_typeET4_jRbjT5_S1F_jjP12ihipStream_tbEUljE_ZNSN_ISO_Lb0ESR_SS_SU_SV_SZ_EES10_S11_S12_S13_S17_S18_S19_S1C_S1D_jS1E_jS1F_S1F_jjS1H_bEUljE0_EEES10_S11_S12_S19_S1D_S1F_T6_T7_T9_mT8_S1H_bDpT10_ENKUlT_T0_E_clISt17integral_constantIbLb0EES1V_EEDaS1Q_S1R_EUlS1Q_E_NS1_11comp_targetILNS1_3genE5ELNS1_11target_archE942ELNS1_3gpuE9ELNS1_3repE0EEENS1_30default_config_static_selectorELNS0_4arch9wavefront6targetE0EEEvS13_,comdat
	.globl	_ZN7rocprim17ROCPRIM_400000_NS6detail17trampoline_kernelINS0_13select_configILj256ELj13ELNS0_17block_load_methodE3ELS4_3ELS4_3ELNS0_20block_scan_algorithmE0ELj4294967295EEENS1_25partition_config_selectorILNS1_17partition_subalgoE4EjNS0_10empty_typeEbEEZZNS1_14partition_implILS8_4ELb0ES6_15HIP_vector_typeIjLj2EENS0_17counting_iteratorIjlEEPS9_SG_NS0_5tupleIJPjSI_NS0_16reverse_iteratorISI_EEEEENSH_IJSG_SG_SG_EEES9_SI_JZNS1_25segmented_radix_sort_implINS0_14default_configELb0EPK12hip_bfloat16PSP_PKlPlN2at6native12_GLOBAL__N_18offset_tEEE10hipError_tPvRmT1_PNSt15iterator_traitsIS13_E10value_typeET2_T3_PNS14_IS19_E10value_typeET4_jRbjT5_S1F_jjP12ihipStream_tbEUljE_ZNSN_ISO_Lb0ESR_SS_SU_SV_SZ_EES10_S11_S12_S13_S17_S18_S19_S1C_S1D_jS1E_jS1F_S1F_jjS1H_bEUljE0_EEES10_S11_S12_S19_S1D_S1F_T6_T7_T9_mT8_S1H_bDpT10_ENKUlT_T0_E_clISt17integral_constantIbLb0EES1V_EEDaS1Q_S1R_EUlS1Q_E_NS1_11comp_targetILNS1_3genE5ELNS1_11target_archE942ELNS1_3gpuE9ELNS1_3repE0EEENS1_30default_config_static_selectorELNS0_4arch9wavefront6targetE0EEEvS13_ ; -- Begin function _ZN7rocprim17ROCPRIM_400000_NS6detail17trampoline_kernelINS0_13select_configILj256ELj13ELNS0_17block_load_methodE3ELS4_3ELS4_3ELNS0_20block_scan_algorithmE0ELj4294967295EEENS1_25partition_config_selectorILNS1_17partition_subalgoE4EjNS0_10empty_typeEbEEZZNS1_14partition_implILS8_4ELb0ES6_15HIP_vector_typeIjLj2EENS0_17counting_iteratorIjlEEPS9_SG_NS0_5tupleIJPjSI_NS0_16reverse_iteratorISI_EEEEENSH_IJSG_SG_SG_EEES9_SI_JZNS1_25segmented_radix_sort_implINS0_14default_configELb0EPK12hip_bfloat16PSP_PKlPlN2at6native12_GLOBAL__N_18offset_tEEE10hipError_tPvRmT1_PNSt15iterator_traitsIS13_E10value_typeET2_T3_PNS14_IS19_E10value_typeET4_jRbjT5_S1F_jjP12ihipStream_tbEUljE_ZNSN_ISO_Lb0ESR_SS_SU_SV_SZ_EES10_S11_S12_S13_S17_S18_S19_S1C_S1D_jS1E_jS1F_S1F_jjS1H_bEUljE0_EEES10_S11_S12_S19_S1D_S1F_T6_T7_T9_mT8_S1H_bDpT10_ENKUlT_T0_E_clISt17integral_constantIbLb0EES1V_EEDaS1Q_S1R_EUlS1Q_E_NS1_11comp_targetILNS1_3genE5ELNS1_11target_archE942ELNS1_3gpuE9ELNS1_3repE0EEENS1_30default_config_static_selectorELNS0_4arch9wavefront6targetE0EEEvS13_
	.p2align	8
	.type	_ZN7rocprim17ROCPRIM_400000_NS6detail17trampoline_kernelINS0_13select_configILj256ELj13ELNS0_17block_load_methodE3ELS4_3ELS4_3ELNS0_20block_scan_algorithmE0ELj4294967295EEENS1_25partition_config_selectorILNS1_17partition_subalgoE4EjNS0_10empty_typeEbEEZZNS1_14partition_implILS8_4ELb0ES6_15HIP_vector_typeIjLj2EENS0_17counting_iteratorIjlEEPS9_SG_NS0_5tupleIJPjSI_NS0_16reverse_iteratorISI_EEEEENSH_IJSG_SG_SG_EEES9_SI_JZNS1_25segmented_radix_sort_implINS0_14default_configELb0EPK12hip_bfloat16PSP_PKlPlN2at6native12_GLOBAL__N_18offset_tEEE10hipError_tPvRmT1_PNSt15iterator_traitsIS13_E10value_typeET2_T3_PNS14_IS19_E10value_typeET4_jRbjT5_S1F_jjP12ihipStream_tbEUljE_ZNSN_ISO_Lb0ESR_SS_SU_SV_SZ_EES10_S11_S12_S13_S17_S18_S19_S1C_S1D_jS1E_jS1F_S1F_jjS1H_bEUljE0_EEES10_S11_S12_S19_S1D_S1F_T6_T7_T9_mT8_S1H_bDpT10_ENKUlT_T0_E_clISt17integral_constantIbLb0EES1V_EEDaS1Q_S1R_EUlS1Q_E_NS1_11comp_targetILNS1_3genE5ELNS1_11target_archE942ELNS1_3gpuE9ELNS1_3repE0EEENS1_30default_config_static_selectorELNS0_4arch9wavefront6targetE0EEEvS13_,@function
_ZN7rocprim17ROCPRIM_400000_NS6detail17trampoline_kernelINS0_13select_configILj256ELj13ELNS0_17block_load_methodE3ELS4_3ELS4_3ELNS0_20block_scan_algorithmE0ELj4294967295EEENS1_25partition_config_selectorILNS1_17partition_subalgoE4EjNS0_10empty_typeEbEEZZNS1_14partition_implILS8_4ELb0ES6_15HIP_vector_typeIjLj2EENS0_17counting_iteratorIjlEEPS9_SG_NS0_5tupleIJPjSI_NS0_16reverse_iteratorISI_EEEEENSH_IJSG_SG_SG_EEES9_SI_JZNS1_25segmented_radix_sort_implINS0_14default_configELb0EPK12hip_bfloat16PSP_PKlPlN2at6native12_GLOBAL__N_18offset_tEEE10hipError_tPvRmT1_PNSt15iterator_traitsIS13_E10value_typeET2_T3_PNS14_IS19_E10value_typeET4_jRbjT5_S1F_jjP12ihipStream_tbEUljE_ZNSN_ISO_Lb0ESR_SS_SU_SV_SZ_EES10_S11_S12_S13_S17_S18_S19_S1C_S1D_jS1E_jS1F_S1F_jjS1H_bEUljE0_EEES10_S11_S12_S19_S1D_S1F_T6_T7_T9_mT8_S1H_bDpT10_ENKUlT_T0_E_clISt17integral_constantIbLb0EES1V_EEDaS1Q_S1R_EUlS1Q_E_NS1_11comp_targetILNS1_3genE5ELNS1_11target_archE942ELNS1_3gpuE9ELNS1_3repE0EEENS1_30default_config_static_selectorELNS0_4arch9wavefront6targetE0EEEvS13_: ; @_ZN7rocprim17ROCPRIM_400000_NS6detail17trampoline_kernelINS0_13select_configILj256ELj13ELNS0_17block_load_methodE3ELS4_3ELS4_3ELNS0_20block_scan_algorithmE0ELj4294967295EEENS1_25partition_config_selectorILNS1_17partition_subalgoE4EjNS0_10empty_typeEbEEZZNS1_14partition_implILS8_4ELb0ES6_15HIP_vector_typeIjLj2EENS0_17counting_iteratorIjlEEPS9_SG_NS0_5tupleIJPjSI_NS0_16reverse_iteratorISI_EEEEENSH_IJSG_SG_SG_EEES9_SI_JZNS1_25segmented_radix_sort_implINS0_14default_configELb0EPK12hip_bfloat16PSP_PKlPlN2at6native12_GLOBAL__N_18offset_tEEE10hipError_tPvRmT1_PNSt15iterator_traitsIS13_E10value_typeET2_T3_PNS14_IS19_E10value_typeET4_jRbjT5_S1F_jjP12ihipStream_tbEUljE_ZNSN_ISO_Lb0ESR_SS_SU_SV_SZ_EES10_S11_S12_S13_S17_S18_S19_S1C_S1D_jS1E_jS1F_S1F_jjS1H_bEUljE0_EEES10_S11_S12_S19_S1D_S1F_T6_T7_T9_mT8_S1H_bDpT10_ENKUlT_T0_E_clISt17integral_constantIbLb0EES1V_EEDaS1Q_S1R_EUlS1Q_E_NS1_11comp_targetILNS1_3genE5ELNS1_11target_archE942ELNS1_3gpuE9ELNS1_3repE0EEENS1_30default_config_static_selectorELNS0_4arch9wavefront6targetE0EEEvS13_
; %bb.0:
	.section	.rodata,"a",@progbits
	.p2align	6, 0x0
	.amdhsa_kernel _ZN7rocprim17ROCPRIM_400000_NS6detail17trampoline_kernelINS0_13select_configILj256ELj13ELNS0_17block_load_methodE3ELS4_3ELS4_3ELNS0_20block_scan_algorithmE0ELj4294967295EEENS1_25partition_config_selectorILNS1_17partition_subalgoE4EjNS0_10empty_typeEbEEZZNS1_14partition_implILS8_4ELb0ES6_15HIP_vector_typeIjLj2EENS0_17counting_iteratorIjlEEPS9_SG_NS0_5tupleIJPjSI_NS0_16reverse_iteratorISI_EEEEENSH_IJSG_SG_SG_EEES9_SI_JZNS1_25segmented_radix_sort_implINS0_14default_configELb0EPK12hip_bfloat16PSP_PKlPlN2at6native12_GLOBAL__N_18offset_tEEE10hipError_tPvRmT1_PNSt15iterator_traitsIS13_E10value_typeET2_T3_PNS14_IS19_E10value_typeET4_jRbjT5_S1F_jjP12ihipStream_tbEUljE_ZNSN_ISO_Lb0ESR_SS_SU_SV_SZ_EES10_S11_S12_S13_S17_S18_S19_S1C_S1D_jS1E_jS1F_S1F_jjS1H_bEUljE0_EEES10_S11_S12_S19_S1D_S1F_T6_T7_T9_mT8_S1H_bDpT10_ENKUlT_T0_E_clISt17integral_constantIbLb0EES1V_EEDaS1Q_S1R_EUlS1Q_E_NS1_11comp_targetILNS1_3genE5ELNS1_11target_archE942ELNS1_3gpuE9ELNS1_3repE0EEENS1_30default_config_static_selectorELNS0_4arch9wavefront6targetE0EEEvS13_
		.amdhsa_group_segment_fixed_size 0
		.amdhsa_private_segment_fixed_size 0
		.amdhsa_kernarg_size 176
		.amdhsa_user_sgpr_count 15
		.amdhsa_user_sgpr_dispatch_ptr 0
		.amdhsa_user_sgpr_queue_ptr 0
		.amdhsa_user_sgpr_kernarg_segment_ptr 1
		.amdhsa_user_sgpr_dispatch_id 0
		.amdhsa_user_sgpr_private_segment_size 0
		.amdhsa_wavefront_size32 1
		.amdhsa_uses_dynamic_stack 0
		.amdhsa_enable_private_segment 0
		.amdhsa_system_sgpr_workgroup_id_x 1
		.amdhsa_system_sgpr_workgroup_id_y 0
		.amdhsa_system_sgpr_workgroup_id_z 0
		.amdhsa_system_sgpr_workgroup_info 0
		.amdhsa_system_vgpr_workitem_id 0
		.amdhsa_next_free_vgpr 1
		.amdhsa_next_free_sgpr 1
		.amdhsa_reserve_vcc 0
		.amdhsa_float_round_mode_32 0
		.amdhsa_float_round_mode_16_64 0
		.amdhsa_float_denorm_mode_32 3
		.amdhsa_float_denorm_mode_16_64 3
		.amdhsa_dx10_clamp 1
		.amdhsa_ieee_mode 1
		.amdhsa_fp16_overflow 0
		.amdhsa_workgroup_processor_mode 1
		.amdhsa_memory_ordered 1
		.amdhsa_forward_progress 0
		.amdhsa_shared_vgpr_count 0
		.amdhsa_exception_fp_ieee_invalid_op 0
		.amdhsa_exception_fp_denorm_src 0
		.amdhsa_exception_fp_ieee_div_zero 0
		.amdhsa_exception_fp_ieee_overflow 0
		.amdhsa_exception_fp_ieee_underflow 0
		.amdhsa_exception_fp_ieee_inexact 0
		.amdhsa_exception_int_div_zero 0
	.end_amdhsa_kernel
	.section	.text._ZN7rocprim17ROCPRIM_400000_NS6detail17trampoline_kernelINS0_13select_configILj256ELj13ELNS0_17block_load_methodE3ELS4_3ELS4_3ELNS0_20block_scan_algorithmE0ELj4294967295EEENS1_25partition_config_selectorILNS1_17partition_subalgoE4EjNS0_10empty_typeEbEEZZNS1_14partition_implILS8_4ELb0ES6_15HIP_vector_typeIjLj2EENS0_17counting_iteratorIjlEEPS9_SG_NS0_5tupleIJPjSI_NS0_16reverse_iteratorISI_EEEEENSH_IJSG_SG_SG_EEES9_SI_JZNS1_25segmented_radix_sort_implINS0_14default_configELb0EPK12hip_bfloat16PSP_PKlPlN2at6native12_GLOBAL__N_18offset_tEEE10hipError_tPvRmT1_PNSt15iterator_traitsIS13_E10value_typeET2_T3_PNS14_IS19_E10value_typeET4_jRbjT5_S1F_jjP12ihipStream_tbEUljE_ZNSN_ISO_Lb0ESR_SS_SU_SV_SZ_EES10_S11_S12_S13_S17_S18_S19_S1C_S1D_jS1E_jS1F_S1F_jjS1H_bEUljE0_EEES10_S11_S12_S19_S1D_S1F_T6_T7_T9_mT8_S1H_bDpT10_ENKUlT_T0_E_clISt17integral_constantIbLb0EES1V_EEDaS1Q_S1R_EUlS1Q_E_NS1_11comp_targetILNS1_3genE5ELNS1_11target_archE942ELNS1_3gpuE9ELNS1_3repE0EEENS1_30default_config_static_selectorELNS0_4arch9wavefront6targetE0EEEvS13_,"axG",@progbits,_ZN7rocprim17ROCPRIM_400000_NS6detail17trampoline_kernelINS0_13select_configILj256ELj13ELNS0_17block_load_methodE3ELS4_3ELS4_3ELNS0_20block_scan_algorithmE0ELj4294967295EEENS1_25partition_config_selectorILNS1_17partition_subalgoE4EjNS0_10empty_typeEbEEZZNS1_14partition_implILS8_4ELb0ES6_15HIP_vector_typeIjLj2EENS0_17counting_iteratorIjlEEPS9_SG_NS0_5tupleIJPjSI_NS0_16reverse_iteratorISI_EEEEENSH_IJSG_SG_SG_EEES9_SI_JZNS1_25segmented_radix_sort_implINS0_14default_configELb0EPK12hip_bfloat16PSP_PKlPlN2at6native12_GLOBAL__N_18offset_tEEE10hipError_tPvRmT1_PNSt15iterator_traitsIS13_E10value_typeET2_T3_PNS14_IS19_E10value_typeET4_jRbjT5_S1F_jjP12ihipStream_tbEUljE_ZNSN_ISO_Lb0ESR_SS_SU_SV_SZ_EES10_S11_S12_S13_S17_S18_S19_S1C_S1D_jS1E_jS1F_S1F_jjS1H_bEUljE0_EEES10_S11_S12_S19_S1D_S1F_T6_T7_T9_mT8_S1H_bDpT10_ENKUlT_T0_E_clISt17integral_constantIbLb0EES1V_EEDaS1Q_S1R_EUlS1Q_E_NS1_11comp_targetILNS1_3genE5ELNS1_11target_archE942ELNS1_3gpuE9ELNS1_3repE0EEENS1_30default_config_static_selectorELNS0_4arch9wavefront6targetE0EEEvS13_,comdat
.Lfunc_end1986:
	.size	_ZN7rocprim17ROCPRIM_400000_NS6detail17trampoline_kernelINS0_13select_configILj256ELj13ELNS0_17block_load_methodE3ELS4_3ELS4_3ELNS0_20block_scan_algorithmE0ELj4294967295EEENS1_25partition_config_selectorILNS1_17partition_subalgoE4EjNS0_10empty_typeEbEEZZNS1_14partition_implILS8_4ELb0ES6_15HIP_vector_typeIjLj2EENS0_17counting_iteratorIjlEEPS9_SG_NS0_5tupleIJPjSI_NS0_16reverse_iteratorISI_EEEEENSH_IJSG_SG_SG_EEES9_SI_JZNS1_25segmented_radix_sort_implINS0_14default_configELb0EPK12hip_bfloat16PSP_PKlPlN2at6native12_GLOBAL__N_18offset_tEEE10hipError_tPvRmT1_PNSt15iterator_traitsIS13_E10value_typeET2_T3_PNS14_IS19_E10value_typeET4_jRbjT5_S1F_jjP12ihipStream_tbEUljE_ZNSN_ISO_Lb0ESR_SS_SU_SV_SZ_EES10_S11_S12_S13_S17_S18_S19_S1C_S1D_jS1E_jS1F_S1F_jjS1H_bEUljE0_EEES10_S11_S12_S19_S1D_S1F_T6_T7_T9_mT8_S1H_bDpT10_ENKUlT_T0_E_clISt17integral_constantIbLb0EES1V_EEDaS1Q_S1R_EUlS1Q_E_NS1_11comp_targetILNS1_3genE5ELNS1_11target_archE942ELNS1_3gpuE9ELNS1_3repE0EEENS1_30default_config_static_selectorELNS0_4arch9wavefront6targetE0EEEvS13_, .Lfunc_end1986-_ZN7rocprim17ROCPRIM_400000_NS6detail17trampoline_kernelINS0_13select_configILj256ELj13ELNS0_17block_load_methodE3ELS4_3ELS4_3ELNS0_20block_scan_algorithmE0ELj4294967295EEENS1_25partition_config_selectorILNS1_17partition_subalgoE4EjNS0_10empty_typeEbEEZZNS1_14partition_implILS8_4ELb0ES6_15HIP_vector_typeIjLj2EENS0_17counting_iteratorIjlEEPS9_SG_NS0_5tupleIJPjSI_NS0_16reverse_iteratorISI_EEEEENSH_IJSG_SG_SG_EEES9_SI_JZNS1_25segmented_radix_sort_implINS0_14default_configELb0EPK12hip_bfloat16PSP_PKlPlN2at6native12_GLOBAL__N_18offset_tEEE10hipError_tPvRmT1_PNSt15iterator_traitsIS13_E10value_typeET2_T3_PNS14_IS19_E10value_typeET4_jRbjT5_S1F_jjP12ihipStream_tbEUljE_ZNSN_ISO_Lb0ESR_SS_SU_SV_SZ_EES10_S11_S12_S13_S17_S18_S19_S1C_S1D_jS1E_jS1F_S1F_jjS1H_bEUljE0_EEES10_S11_S12_S19_S1D_S1F_T6_T7_T9_mT8_S1H_bDpT10_ENKUlT_T0_E_clISt17integral_constantIbLb0EES1V_EEDaS1Q_S1R_EUlS1Q_E_NS1_11comp_targetILNS1_3genE5ELNS1_11target_archE942ELNS1_3gpuE9ELNS1_3repE0EEENS1_30default_config_static_selectorELNS0_4arch9wavefront6targetE0EEEvS13_
                                        ; -- End function
	.section	.AMDGPU.csdata,"",@progbits
; Kernel info:
; codeLenInByte = 0
; NumSgprs: 0
; NumVgprs: 0
; ScratchSize: 0
; MemoryBound: 0
; FloatMode: 240
; IeeeMode: 1
; LDSByteSize: 0 bytes/workgroup (compile time only)
; SGPRBlocks: 0
; VGPRBlocks: 0
; NumSGPRsForWavesPerEU: 1
; NumVGPRsForWavesPerEU: 1
; Occupancy: 16
; WaveLimiterHint : 0
; COMPUTE_PGM_RSRC2:SCRATCH_EN: 0
; COMPUTE_PGM_RSRC2:USER_SGPR: 15
; COMPUTE_PGM_RSRC2:TRAP_HANDLER: 0
; COMPUTE_PGM_RSRC2:TGID_X_EN: 1
; COMPUTE_PGM_RSRC2:TGID_Y_EN: 0
; COMPUTE_PGM_RSRC2:TGID_Z_EN: 0
; COMPUTE_PGM_RSRC2:TIDIG_COMP_CNT: 0
	.section	.text._ZN7rocprim17ROCPRIM_400000_NS6detail17trampoline_kernelINS0_13select_configILj256ELj13ELNS0_17block_load_methodE3ELS4_3ELS4_3ELNS0_20block_scan_algorithmE0ELj4294967295EEENS1_25partition_config_selectorILNS1_17partition_subalgoE4EjNS0_10empty_typeEbEEZZNS1_14partition_implILS8_4ELb0ES6_15HIP_vector_typeIjLj2EENS0_17counting_iteratorIjlEEPS9_SG_NS0_5tupleIJPjSI_NS0_16reverse_iteratorISI_EEEEENSH_IJSG_SG_SG_EEES9_SI_JZNS1_25segmented_radix_sort_implINS0_14default_configELb0EPK12hip_bfloat16PSP_PKlPlN2at6native12_GLOBAL__N_18offset_tEEE10hipError_tPvRmT1_PNSt15iterator_traitsIS13_E10value_typeET2_T3_PNS14_IS19_E10value_typeET4_jRbjT5_S1F_jjP12ihipStream_tbEUljE_ZNSN_ISO_Lb0ESR_SS_SU_SV_SZ_EES10_S11_S12_S13_S17_S18_S19_S1C_S1D_jS1E_jS1F_S1F_jjS1H_bEUljE0_EEES10_S11_S12_S19_S1D_S1F_T6_T7_T9_mT8_S1H_bDpT10_ENKUlT_T0_E_clISt17integral_constantIbLb0EES1V_EEDaS1Q_S1R_EUlS1Q_E_NS1_11comp_targetILNS1_3genE4ELNS1_11target_archE910ELNS1_3gpuE8ELNS1_3repE0EEENS1_30default_config_static_selectorELNS0_4arch9wavefront6targetE0EEEvS13_,"axG",@progbits,_ZN7rocprim17ROCPRIM_400000_NS6detail17trampoline_kernelINS0_13select_configILj256ELj13ELNS0_17block_load_methodE3ELS4_3ELS4_3ELNS0_20block_scan_algorithmE0ELj4294967295EEENS1_25partition_config_selectorILNS1_17partition_subalgoE4EjNS0_10empty_typeEbEEZZNS1_14partition_implILS8_4ELb0ES6_15HIP_vector_typeIjLj2EENS0_17counting_iteratorIjlEEPS9_SG_NS0_5tupleIJPjSI_NS0_16reverse_iteratorISI_EEEEENSH_IJSG_SG_SG_EEES9_SI_JZNS1_25segmented_radix_sort_implINS0_14default_configELb0EPK12hip_bfloat16PSP_PKlPlN2at6native12_GLOBAL__N_18offset_tEEE10hipError_tPvRmT1_PNSt15iterator_traitsIS13_E10value_typeET2_T3_PNS14_IS19_E10value_typeET4_jRbjT5_S1F_jjP12ihipStream_tbEUljE_ZNSN_ISO_Lb0ESR_SS_SU_SV_SZ_EES10_S11_S12_S13_S17_S18_S19_S1C_S1D_jS1E_jS1F_S1F_jjS1H_bEUljE0_EEES10_S11_S12_S19_S1D_S1F_T6_T7_T9_mT8_S1H_bDpT10_ENKUlT_T0_E_clISt17integral_constantIbLb0EES1V_EEDaS1Q_S1R_EUlS1Q_E_NS1_11comp_targetILNS1_3genE4ELNS1_11target_archE910ELNS1_3gpuE8ELNS1_3repE0EEENS1_30default_config_static_selectorELNS0_4arch9wavefront6targetE0EEEvS13_,comdat
	.globl	_ZN7rocprim17ROCPRIM_400000_NS6detail17trampoline_kernelINS0_13select_configILj256ELj13ELNS0_17block_load_methodE3ELS4_3ELS4_3ELNS0_20block_scan_algorithmE0ELj4294967295EEENS1_25partition_config_selectorILNS1_17partition_subalgoE4EjNS0_10empty_typeEbEEZZNS1_14partition_implILS8_4ELb0ES6_15HIP_vector_typeIjLj2EENS0_17counting_iteratorIjlEEPS9_SG_NS0_5tupleIJPjSI_NS0_16reverse_iteratorISI_EEEEENSH_IJSG_SG_SG_EEES9_SI_JZNS1_25segmented_radix_sort_implINS0_14default_configELb0EPK12hip_bfloat16PSP_PKlPlN2at6native12_GLOBAL__N_18offset_tEEE10hipError_tPvRmT1_PNSt15iterator_traitsIS13_E10value_typeET2_T3_PNS14_IS19_E10value_typeET4_jRbjT5_S1F_jjP12ihipStream_tbEUljE_ZNSN_ISO_Lb0ESR_SS_SU_SV_SZ_EES10_S11_S12_S13_S17_S18_S19_S1C_S1D_jS1E_jS1F_S1F_jjS1H_bEUljE0_EEES10_S11_S12_S19_S1D_S1F_T6_T7_T9_mT8_S1H_bDpT10_ENKUlT_T0_E_clISt17integral_constantIbLb0EES1V_EEDaS1Q_S1R_EUlS1Q_E_NS1_11comp_targetILNS1_3genE4ELNS1_11target_archE910ELNS1_3gpuE8ELNS1_3repE0EEENS1_30default_config_static_selectorELNS0_4arch9wavefront6targetE0EEEvS13_ ; -- Begin function _ZN7rocprim17ROCPRIM_400000_NS6detail17trampoline_kernelINS0_13select_configILj256ELj13ELNS0_17block_load_methodE3ELS4_3ELS4_3ELNS0_20block_scan_algorithmE0ELj4294967295EEENS1_25partition_config_selectorILNS1_17partition_subalgoE4EjNS0_10empty_typeEbEEZZNS1_14partition_implILS8_4ELb0ES6_15HIP_vector_typeIjLj2EENS0_17counting_iteratorIjlEEPS9_SG_NS0_5tupleIJPjSI_NS0_16reverse_iteratorISI_EEEEENSH_IJSG_SG_SG_EEES9_SI_JZNS1_25segmented_radix_sort_implINS0_14default_configELb0EPK12hip_bfloat16PSP_PKlPlN2at6native12_GLOBAL__N_18offset_tEEE10hipError_tPvRmT1_PNSt15iterator_traitsIS13_E10value_typeET2_T3_PNS14_IS19_E10value_typeET4_jRbjT5_S1F_jjP12ihipStream_tbEUljE_ZNSN_ISO_Lb0ESR_SS_SU_SV_SZ_EES10_S11_S12_S13_S17_S18_S19_S1C_S1D_jS1E_jS1F_S1F_jjS1H_bEUljE0_EEES10_S11_S12_S19_S1D_S1F_T6_T7_T9_mT8_S1H_bDpT10_ENKUlT_T0_E_clISt17integral_constantIbLb0EES1V_EEDaS1Q_S1R_EUlS1Q_E_NS1_11comp_targetILNS1_3genE4ELNS1_11target_archE910ELNS1_3gpuE8ELNS1_3repE0EEENS1_30default_config_static_selectorELNS0_4arch9wavefront6targetE0EEEvS13_
	.p2align	8
	.type	_ZN7rocprim17ROCPRIM_400000_NS6detail17trampoline_kernelINS0_13select_configILj256ELj13ELNS0_17block_load_methodE3ELS4_3ELS4_3ELNS0_20block_scan_algorithmE0ELj4294967295EEENS1_25partition_config_selectorILNS1_17partition_subalgoE4EjNS0_10empty_typeEbEEZZNS1_14partition_implILS8_4ELb0ES6_15HIP_vector_typeIjLj2EENS0_17counting_iteratorIjlEEPS9_SG_NS0_5tupleIJPjSI_NS0_16reverse_iteratorISI_EEEEENSH_IJSG_SG_SG_EEES9_SI_JZNS1_25segmented_radix_sort_implINS0_14default_configELb0EPK12hip_bfloat16PSP_PKlPlN2at6native12_GLOBAL__N_18offset_tEEE10hipError_tPvRmT1_PNSt15iterator_traitsIS13_E10value_typeET2_T3_PNS14_IS19_E10value_typeET4_jRbjT5_S1F_jjP12ihipStream_tbEUljE_ZNSN_ISO_Lb0ESR_SS_SU_SV_SZ_EES10_S11_S12_S13_S17_S18_S19_S1C_S1D_jS1E_jS1F_S1F_jjS1H_bEUljE0_EEES10_S11_S12_S19_S1D_S1F_T6_T7_T9_mT8_S1H_bDpT10_ENKUlT_T0_E_clISt17integral_constantIbLb0EES1V_EEDaS1Q_S1R_EUlS1Q_E_NS1_11comp_targetILNS1_3genE4ELNS1_11target_archE910ELNS1_3gpuE8ELNS1_3repE0EEENS1_30default_config_static_selectorELNS0_4arch9wavefront6targetE0EEEvS13_,@function
_ZN7rocprim17ROCPRIM_400000_NS6detail17trampoline_kernelINS0_13select_configILj256ELj13ELNS0_17block_load_methodE3ELS4_3ELS4_3ELNS0_20block_scan_algorithmE0ELj4294967295EEENS1_25partition_config_selectorILNS1_17partition_subalgoE4EjNS0_10empty_typeEbEEZZNS1_14partition_implILS8_4ELb0ES6_15HIP_vector_typeIjLj2EENS0_17counting_iteratorIjlEEPS9_SG_NS0_5tupleIJPjSI_NS0_16reverse_iteratorISI_EEEEENSH_IJSG_SG_SG_EEES9_SI_JZNS1_25segmented_radix_sort_implINS0_14default_configELb0EPK12hip_bfloat16PSP_PKlPlN2at6native12_GLOBAL__N_18offset_tEEE10hipError_tPvRmT1_PNSt15iterator_traitsIS13_E10value_typeET2_T3_PNS14_IS19_E10value_typeET4_jRbjT5_S1F_jjP12ihipStream_tbEUljE_ZNSN_ISO_Lb0ESR_SS_SU_SV_SZ_EES10_S11_S12_S13_S17_S18_S19_S1C_S1D_jS1E_jS1F_S1F_jjS1H_bEUljE0_EEES10_S11_S12_S19_S1D_S1F_T6_T7_T9_mT8_S1H_bDpT10_ENKUlT_T0_E_clISt17integral_constantIbLb0EES1V_EEDaS1Q_S1R_EUlS1Q_E_NS1_11comp_targetILNS1_3genE4ELNS1_11target_archE910ELNS1_3gpuE8ELNS1_3repE0EEENS1_30default_config_static_selectorELNS0_4arch9wavefront6targetE0EEEvS13_: ; @_ZN7rocprim17ROCPRIM_400000_NS6detail17trampoline_kernelINS0_13select_configILj256ELj13ELNS0_17block_load_methodE3ELS4_3ELS4_3ELNS0_20block_scan_algorithmE0ELj4294967295EEENS1_25partition_config_selectorILNS1_17partition_subalgoE4EjNS0_10empty_typeEbEEZZNS1_14partition_implILS8_4ELb0ES6_15HIP_vector_typeIjLj2EENS0_17counting_iteratorIjlEEPS9_SG_NS0_5tupleIJPjSI_NS0_16reverse_iteratorISI_EEEEENSH_IJSG_SG_SG_EEES9_SI_JZNS1_25segmented_radix_sort_implINS0_14default_configELb0EPK12hip_bfloat16PSP_PKlPlN2at6native12_GLOBAL__N_18offset_tEEE10hipError_tPvRmT1_PNSt15iterator_traitsIS13_E10value_typeET2_T3_PNS14_IS19_E10value_typeET4_jRbjT5_S1F_jjP12ihipStream_tbEUljE_ZNSN_ISO_Lb0ESR_SS_SU_SV_SZ_EES10_S11_S12_S13_S17_S18_S19_S1C_S1D_jS1E_jS1F_S1F_jjS1H_bEUljE0_EEES10_S11_S12_S19_S1D_S1F_T6_T7_T9_mT8_S1H_bDpT10_ENKUlT_T0_E_clISt17integral_constantIbLb0EES1V_EEDaS1Q_S1R_EUlS1Q_E_NS1_11comp_targetILNS1_3genE4ELNS1_11target_archE910ELNS1_3gpuE8ELNS1_3repE0EEENS1_30default_config_static_selectorELNS0_4arch9wavefront6targetE0EEEvS13_
; %bb.0:
	.section	.rodata,"a",@progbits
	.p2align	6, 0x0
	.amdhsa_kernel _ZN7rocprim17ROCPRIM_400000_NS6detail17trampoline_kernelINS0_13select_configILj256ELj13ELNS0_17block_load_methodE3ELS4_3ELS4_3ELNS0_20block_scan_algorithmE0ELj4294967295EEENS1_25partition_config_selectorILNS1_17partition_subalgoE4EjNS0_10empty_typeEbEEZZNS1_14partition_implILS8_4ELb0ES6_15HIP_vector_typeIjLj2EENS0_17counting_iteratorIjlEEPS9_SG_NS0_5tupleIJPjSI_NS0_16reverse_iteratorISI_EEEEENSH_IJSG_SG_SG_EEES9_SI_JZNS1_25segmented_radix_sort_implINS0_14default_configELb0EPK12hip_bfloat16PSP_PKlPlN2at6native12_GLOBAL__N_18offset_tEEE10hipError_tPvRmT1_PNSt15iterator_traitsIS13_E10value_typeET2_T3_PNS14_IS19_E10value_typeET4_jRbjT5_S1F_jjP12ihipStream_tbEUljE_ZNSN_ISO_Lb0ESR_SS_SU_SV_SZ_EES10_S11_S12_S13_S17_S18_S19_S1C_S1D_jS1E_jS1F_S1F_jjS1H_bEUljE0_EEES10_S11_S12_S19_S1D_S1F_T6_T7_T9_mT8_S1H_bDpT10_ENKUlT_T0_E_clISt17integral_constantIbLb0EES1V_EEDaS1Q_S1R_EUlS1Q_E_NS1_11comp_targetILNS1_3genE4ELNS1_11target_archE910ELNS1_3gpuE8ELNS1_3repE0EEENS1_30default_config_static_selectorELNS0_4arch9wavefront6targetE0EEEvS13_
		.amdhsa_group_segment_fixed_size 0
		.amdhsa_private_segment_fixed_size 0
		.amdhsa_kernarg_size 176
		.amdhsa_user_sgpr_count 15
		.amdhsa_user_sgpr_dispatch_ptr 0
		.amdhsa_user_sgpr_queue_ptr 0
		.amdhsa_user_sgpr_kernarg_segment_ptr 1
		.amdhsa_user_sgpr_dispatch_id 0
		.amdhsa_user_sgpr_private_segment_size 0
		.amdhsa_wavefront_size32 1
		.amdhsa_uses_dynamic_stack 0
		.amdhsa_enable_private_segment 0
		.amdhsa_system_sgpr_workgroup_id_x 1
		.amdhsa_system_sgpr_workgroup_id_y 0
		.amdhsa_system_sgpr_workgroup_id_z 0
		.amdhsa_system_sgpr_workgroup_info 0
		.amdhsa_system_vgpr_workitem_id 0
		.amdhsa_next_free_vgpr 1
		.amdhsa_next_free_sgpr 1
		.amdhsa_reserve_vcc 0
		.amdhsa_float_round_mode_32 0
		.amdhsa_float_round_mode_16_64 0
		.amdhsa_float_denorm_mode_32 3
		.amdhsa_float_denorm_mode_16_64 3
		.amdhsa_dx10_clamp 1
		.amdhsa_ieee_mode 1
		.amdhsa_fp16_overflow 0
		.amdhsa_workgroup_processor_mode 1
		.amdhsa_memory_ordered 1
		.amdhsa_forward_progress 0
		.amdhsa_shared_vgpr_count 0
		.amdhsa_exception_fp_ieee_invalid_op 0
		.amdhsa_exception_fp_denorm_src 0
		.amdhsa_exception_fp_ieee_div_zero 0
		.amdhsa_exception_fp_ieee_overflow 0
		.amdhsa_exception_fp_ieee_underflow 0
		.amdhsa_exception_fp_ieee_inexact 0
		.amdhsa_exception_int_div_zero 0
	.end_amdhsa_kernel
	.section	.text._ZN7rocprim17ROCPRIM_400000_NS6detail17trampoline_kernelINS0_13select_configILj256ELj13ELNS0_17block_load_methodE3ELS4_3ELS4_3ELNS0_20block_scan_algorithmE0ELj4294967295EEENS1_25partition_config_selectorILNS1_17partition_subalgoE4EjNS0_10empty_typeEbEEZZNS1_14partition_implILS8_4ELb0ES6_15HIP_vector_typeIjLj2EENS0_17counting_iteratorIjlEEPS9_SG_NS0_5tupleIJPjSI_NS0_16reverse_iteratorISI_EEEEENSH_IJSG_SG_SG_EEES9_SI_JZNS1_25segmented_radix_sort_implINS0_14default_configELb0EPK12hip_bfloat16PSP_PKlPlN2at6native12_GLOBAL__N_18offset_tEEE10hipError_tPvRmT1_PNSt15iterator_traitsIS13_E10value_typeET2_T3_PNS14_IS19_E10value_typeET4_jRbjT5_S1F_jjP12ihipStream_tbEUljE_ZNSN_ISO_Lb0ESR_SS_SU_SV_SZ_EES10_S11_S12_S13_S17_S18_S19_S1C_S1D_jS1E_jS1F_S1F_jjS1H_bEUljE0_EEES10_S11_S12_S19_S1D_S1F_T6_T7_T9_mT8_S1H_bDpT10_ENKUlT_T0_E_clISt17integral_constantIbLb0EES1V_EEDaS1Q_S1R_EUlS1Q_E_NS1_11comp_targetILNS1_3genE4ELNS1_11target_archE910ELNS1_3gpuE8ELNS1_3repE0EEENS1_30default_config_static_selectorELNS0_4arch9wavefront6targetE0EEEvS13_,"axG",@progbits,_ZN7rocprim17ROCPRIM_400000_NS6detail17trampoline_kernelINS0_13select_configILj256ELj13ELNS0_17block_load_methodE3ELS4_3ELS4_3ELNS0_20block_scan_algorithmE0ELj4294967295EEENS1_25partition_config_selectorILNS1_17partition_subalgoE4EjNS0_10empty_typeEbEEZZNS1_14partition_implILS8_4ELb0ES6_15HIP_vector_typeIjLj2EENS0_17counting_iteratorIjlEEPS9_SG_NS0_5tupleIJPjSI_NS0_16reverse_iteratorISI_EEEEENSH_IJSG_SG_SG_EEES9_SI_JZNS1_25segmented_radix_sort_implINS0_14default_configELb0EPK12hip_bfloat16PSP_PKlPlN2at6native12_GLOBAL__N_18offset_tEEE10hipError_tPvRmT1_PNSt15iterator_traitsIS13_E10value_typeET2_T3_PNS14_IS19_E10value_typeET4_jRbjT5_S1F_jjP12ihipStream_tbEUljE_ZNSN_ISO_Lb0ESR_SS_SU_SV_SZ_EES10_S11_S12_S13_S17_S18_S19_S1C_S1D_jS1E_jS1F_S1F_jjS1H_bEUljE0_EEES10_S11_S12_S19_S1D_S1F_T6_T7_T9_mT8_S1H_bDpT10_ENKUlT_T0_E_clISt17integral_constantIbLb0EES1V_EEDaS1Q_S1R_EUlS1Q_E_NS1_11comp_targetILNS1_3genE4ELNS1_11target_archE910ELNS1_3gpuE8ELNS1_3repE0EEENS1_30default_config_static_selectorELNS0_4arch9wavefront6targetE0EEEvS13_,comdat
.Lfunc_end1987:
	.size	_ZN7rocprim17ROCPRIM_400000_NS6detail17trampoline_kernelINS0_13select_configILj256ELj13ELNS0_17block_load_methodE3ELS4_3ELS4_3ELNS0_20block_scan_algorithmE0ELj4294967295EEENS1_25partition_config_selectorILNS1_17partition_subalgoE4EjNS0_10empty_typeEbEEZZNS1_14partition_implILS8_4ELb0ES6_15HIP_vector_typeIjLj2EENS0_17counting_iteratorIjlEEPS9_SG_NS0_5tupleIJPjSI_NS0_16reverse_iteratorISI_EEEEENSH_IJSG_SG_SG_EEES9_SI_JZNS1_25segmented_radix_sort_implINS0_14default_configELb0EPK12hip_bfloat16PSP_PKlPlN2at6native12_GLOBAL__N_18offset_tEEE10hipError_tPvRmT1_PNSt15iterator_traitsIS13_E10value_typeET2_T3_PNS14_IS19_E10value_typeET4_jRbjT5_S1F_jjP12ihipStream_tbEUljE_ZNSN_ISO_Lb0ESR_SS_SU_SV_SZ_EES10_S11_S12_S13_S17_S18_S19_S1C_S1D_jS1E_jS1F_S1F_jjS1H_bEUljE0_EEES10_S11_S12_S19_S1D_S1F_T6_T7_T9_mT8_S1H_bDpT10_ENKUlT_T0_E_clISt17integral_constantIbLb0EES1V_EEDaS1Q_S1R_EUlS1Q_E_NS1_11comp_targetILNS1_3genE4ELNS1_11target_archE910ELNS1_3gpuE8ELNS1_3repE0EEENS1_30default_config_static_selectorELNS0_4arch9wavefront6targetE0EEEvS13_, .Lfunc_end1987-_ZN7rocprim17ROCPRIM_400000_NS6detail17trampoline_kernelINS0_13select_configILj256ELj13ELNS0_17block_load_methodE3ELS4_3ELS4_3ELNS0_20block_scan_algorithmE0ELj4294967295EEENS1_25partition_config_selectorILNS1_17partition_subalgoE4EjNS0_10empty_typeEbEEZZNS1_14partition_implILS8_4ELb0ES6_15HIP_vector_typeIjLj2EENS0_17counting_iteratorIjlEEPS9_SG_NS0_5tupleIJPjSI_NS0_16reverse_iteratorISI_EEEEENSH_IJSG_SG_SG_EEES9_SI_JZNS1_25segmented_radix_sort_implINS0_14default_configELb0EPK12hip_bfloat16PSP_PKlPlN2at6native12_GLOBAL__N_18offset_tEEE10hipError_tPvRmT1_PNSt15iterator_traitsIS13_E10value_typeET2_T3_PNS14_IS19_E10value_typeET4_jRbjT5_S1F_jjP12ihipStream_tbEUljE_ZNSN_ISO_Lb0ESR_SS_SU_SV_SZ_EES10_S11_S12_S13_S17_S18_S19_S1C_S1D_jS1E_jS1F_S1F_jjS1H_bEUljE0_EEES10_S11_S12_S19_S1D_S1F_T6_T7_T9_mT8_S1H_bDpT10_ENKUlT_T0_E_clISt17integral_constantIbLb0EES1V_EEDaS1Q_S1R_EUlS1Q_E_NS1_11comp_targetILNS1_3genE4ELNS1_11target_archE910ELNS1_3gpuE8ELNS1_3repE0EEENS1_30default_config_static_selectorELNS0_4arch9wavefront6targetE0EEEvS13_
                                        ; -- End function
	.section	.AMDGPU.csdata,"",@progbits
; Kernel info:
; codeLenInByte = 0
; NumSgprs: 0
; NumVgprs: 0
; ScratchSize: 0
; MemoryBound: 0
; FloatMode: 240
; IeeeMode: 1
; LDSByteSize: 0 bytes/workgroup (compile time only)
; SGPRBlocks: 0
; VGPRBlocks: 0
; NumSGPRsForWavesPerEU: 1
; NumVGPRsForWavesPerEU: 1
; Occupancy: 16
; WaveLimiterHint : 0
; COMPUTE_PGM_RSRC2:SCRATCH_EN: 0
; COMPUTE_PGM_RSRC2:USER_SGPR: 15
; COMPUTE_PGM_RSRC2:TRAP_HANDLER: 0
; COMPUTE_PGM_RSRC2:TGID_X_EN: 1
; COMPUTE_PGM_RSRC2:TGID_Y_EN: 0
; COMPUTE_PGM_RSRC2:TGID_Z_EN: 0
; COMPUTE_PGM_RSRC2:TIDIG_COMP_CNT: 0
	.section	.text._ZN7rocprim17ROCPRIM_400000_NS6detail17trampoline_kernelINS0_13select_configILj256ELj13ELNS0_17block_load_methodE3ELS4_3ELS4_3ELNS0_20block_scan_algorithmE0ELj4294967295EEENS1_25partition_config_selectorILNS1_17partition_subalgoE4EjNS0_10empty_typeEbEEZZNS1_14partition_implILS8_4ELb0ES6_15HIP_vector_typeIjLj2EENS0_17counting_iteratorIjlEEPS9_SG_NS0_5tupleIJPjSI_NS0_16reverse_iteratorISI_EEEEENSH_IJSG_SG_SG_EEES9_SI_JZNS1_25segmented_radix_sort_implINS0_14default_configELb0EPK12hip_bfloat16PSP_PKlPlN2at6native12_GLOBAL__N_18offset_tEEE10hipError_tPvRmT1_PNSt15iterator_traitsIS13_E10value_typeET2_T3_PNS14_IS19_E10value_typeET4_jRbjT5_S1F_jjP12ihipStream_tbEUljE_ZNSN_ISO_Lb0ESR_SS_SU_SV_SZ_EES10_S11_S12_S13_S17_S18_S19_S1C_S1D_jS1E_jS1F_S1F_jjS1H_bEUljE0_EEES10_S11_S12_S19_S1D_S1F_T6_T7_T9_mT8_S1H_bDpT10_ENKUlT_T0_E_clISt17integral_constantIbLb0EES1V_EEDaS1Q_S1R_EUlS1Q_E_NS1_11comp_targetILNS1_3genE3ELNS1_11target_archE908ELNS1_3gpuE7ELNS1_3repE0EEENS1_30default_config_static_selectorELNS0_4arch9wavefront6targetE0EEEvS13_,"axG",@progbits,_ZN7rocprim17ROCPRIM_400000_NS6detail17trampoline_kernelINS0_13select_configILj256ELj13ELNS0_17block_load_methodE3ELS4_3ELS4_3ELNS0_20block_scan_algorithmE0ELj4294967295EEENS1_25partition_config_selectorILNS1_17partition_subalgoE4EjNS0_10empty_typeEbEEZZNS1_14partition_implILS8_4ELb0ES6_15HIP_vector_typeIjLj2EENS0_17counting_iteratorIjlEEPS9_SG_NS0_5tupleIJPjSI_NS0_16reverse_iteratorISI_EEEEENSH_IJSG_SG_SG_EEES9_SI_JZNS1_25segmented_radix_sort_implINS0_14default_configELb0EPK12hip_bfloat16PSP_PKlPlN2at6native12_GLOBAL__N_18offset_tEEE10hipError_tPvRmT1_PNSt15iterator_traitsIS13_E10value_typeET2_T3_PNS14_IS19_E10value_typeET4_jRbjT5_S1F_jjP12ihipStream_tbEUljE_ZNSN_ISO_Lb0ESR_SS_SU_SV_SZ_EES10_S11_S12_S13_S17_S18_S19_S1C_S1D_jS1E_jS1F_S1F_jjS1H_bEUljE0_EEES10_S11_S12_S19_S1D_S1F_T6_T7_T9_mT8_S1H_bDpT10_ENKUlT_T0_E_clISt17integral_constantIbLb0EES1V_EEDaS1Q_S1R_EUlS1Q_E_NS1_11comp_targetILNS1_3genE3ELNS1_11target_archE908ELNS1_3gpuE7ELNS1_3repE0EEENS1_30default_config_static_selectorELNS0_4arch9wavefront6targetE0EEEvS13_,comdat
	.globl	_ZN7rocprim17ROCPRIM_400000_NS6detail17trampoline_kernelINS0_13select_configILj256ELj13ELNS0_17block_load_methodE3ELS4_3ELS4_3ELNS0_20block_scan_algorithmE0ELj4294967295EEENS1_25partition_config_selectorILNS1_17partition_subalgoE4EjNS0_10empty_typeEbEEZZNS1_14partition_implILS8_4ELb0ES6_15HIP_vector_typeIjLj2EENS0_17counting_iteratorIjlEEPS9_SG_NS0_5tupleIJPjSI_NS0_16reverse_iteratorISI_EEEEENSH_IJSG_SG_SG_EEES9_SI_JZNS1_25segmented_radix_sort_implINS0_14default_configELb0EPK12hip_bfloat16PSP_PKlPlN2at6native12_GLOBAL__N_18offset_tEEE10hipError_tPvRmT1_PNSt15iterator_traitsIS13_E10value_typeET2_T3_PNS14_IS19_E10value_typeET4_jRbjT5_S1F_jjP12ihipStream_tbEUljE_ZNSN_ISO_Lb0ESR_SS_SU_SV_SZ_EES10_S11_S12_S13_S17_S18_S19_S1C_S1D_jS1E_jS1F_S1F_jjS1H_bEUljE0_EEES10_S11_S12_S19_S1D_S1F_T6_T7_T9_mT8_S1H_bDpT10_ENKUlT_T0_E_clISt17integral_constantIbLb0EES1V_EEDaS1Q_S1R_EUlS1Q_E_NS1_11comp_targetILNS1_3genE3ELNS1_11target_archE908ELNS1_3gpuE7ELNS1_3repE0EEENS1_30default_config_static_selectorELNS0_4arch9wavefront6targetE0EEEvS13_ ; -- Begin function _ZN7rocprim17ROCPRIM_400000_NS6detail17trampoline_kernelINS0_13select_configILj256ELj13ELNS0_17block_load_methodE3ELS4_3ELS4_3ELNS0_20block_scan_algorithmE0ELj4294967295EEENS1_25partition_config_selectorILNS1_17partition_subalgoE4EjNS0_10empty_typeEbEEZZNS1_14partition_implILS8_4ELb0ES6_15HIP_vector_typeIjLj2EENS0_17counting_iteratorIjlEEPS9_SG_NS0_5tupleIJPjSI_NS0_16reverse_iteratorISI_EEEEENSH_IJSG_SG_SG_EEES9_SI_JZNS1_25segmented_radix_sort_implINS0_14default_configELb0EPK12hip_bfloat16PSP_PKlPlN2at6native12_GLOBAL__N_18offset_tEEE10hipError_tPvRmT1_PNSt15iterator_traitsIS13_E10value_typeET2_T3_PNS14_IS19_E10value_typeET4_jRbjT5_S1F_jjP12ihipStream_tbEUljE_ZNSN_ISO_Lb0ESR_SS_SU_SV_SZ_EES10_S11_S12_S13_S17_S18_S19_S1C_S1D_jS1E_jS1F_S1F_jjS1H_bEUljE0_EEES10_S11_S12_S19_S1D_S1F_T6_T7_T9_mT8_S1H_bDpT10_ENKUlT_T0_E_clISt17integral_constantIbLb0EES1V_EEDaS1Q_S1R_EUlS1Q_E_NS1_11comp_targetILNS1_3genE3ELNS1_11target_archE908ELNS1_3gpuE7ELNS1_3repE0EEENS1_30default_config_static_selectorELNS0_4arch9wavefront6targetE0EEEvS13_
	.p2align	8
	.type	_ZN7rocprim17ROCPRIM_400000_NS6detail17trampoline_kernelINS0_13select_configILj256ELj13ELNS0_17block_load_methodE3ELS4_3ELS4_3ELNS0_20block_scan_algorithmE0ELj4294967295EEENS1_25partition_config_selectorILNS1_17partition_subalgoE4EjNS0_10empty_typeEbEEZZNS1_14partition_implILS8_4ELb0ES6_15HIP_vector_typeIjLj2EENS0_17counting_iteratorIjlEEPS9_SG_NS0_5tupleIJPjSI_NS0_16reverse_iteratorISI_EEEEENSH_IJSG_SG_SG_EEES9_SI_JZNS1_25segmented_radix_sort_implINS0_14default_configELb0EPK12hip_bfloat16PSP_PKlPlN2at6native12_GLOBAL__N_18offset_tEEE10hipError_tPvRmT1_PNSt15iterator_traitsIS13_E10value_typeET2_T3_PNS14_IS19_E10value_typeET4_jRbjT5_S1F_jjP12ihipStream_tbEUljE_ZNSN_ISO_Lb0ESR_SS_SU_SV_SZ_EES10_S11_S12_S13_S17_S18_S19_S1C_S1D_jS1E_jS1F_S1F_jjS1H_bEUljE0_EEES10_S11_S12_S19_S1D_S1F_T6_T7_T9_mT8_S1H_bDpT10_ENKUlT_T0_E_clISt17integral_constantIbLb0EES1V_EEDaS1Q_S1R_EUlS1Q_E_NS1_11comp_targetILNS1_3genE3ELNS1_11target_archE908ELNS1_3gpuE7ELNS1_3repE0EEENS1_30default_config_static_selectorELNS0_4arch9wavefront6targetE0EEEvS13_,@function
_ZN7rocprim17ROCPRIM_400000_NS6detail17trampoline_kernelINS0_13select_configILj256ELj13ELNS0_17block_load_methodE3ELS4_3ELS4_3ELNS0_20block_scan_algorithmE0ELj4294967295EEENS1_25partition_config_selectorILNS1_17partition_subalgoE4EjNS0_10empty_typeEbEEZZNS1_14partition_implILS8_4ELb0ES6_15HIP_vector_typeIjLj2EENS0_17counting_iteratorIjlEEPS9_SG_NS0_5tupleIJPjSI_NS0_16reverse_iteratorISI_EEEEENSH_IJSG_SG_SG_EEES9_SI_JZNS1_25segmented_radix_sort_implINS0_14default_configELb0EPK12hip_bfloat16PSP_PKlPlN2at6native12_GLOBAL__N_18offset_tEEE10hipError_tPvRmT1_PNSt15iterator_traitsIS13_E10value_typeET2_T3_PNS14_IS19_E10value_typeET4_jRbjT5_S1F_jjP12ihipStream_tbEUljE_ZNSN_ISO_Lb0ESR_SS_SU_SV_SZ_EES10_S11_S12_S13_S17_S18_S19_S1C_S1D_jS1E_jS1F_S1F_jjS1H_bEUljE0_EEES10_S11_S12_S19_S1D_S1F_T6_T7_T9_mT8_S1H_bDpT10_ENKUlT_T0_E_clISt17integral_constantIbLb0EES1V_EEDaS1Q_S1R_EUlS1Q_E_NS1_11comp_targetILNS1_3genE3ELNS1_11target_archE908ELNS1_3gpuE7ELNS1_3repE0EEENS1_30default_config_static_selectorELNS0_4arch9wavefront6targetE0EEEvS13_: ; @_ZN7rocprim17ROCPRIM_400000_NS6detail17trampoline_kernelINS0_13select_configILj256ELj13ELNS0_17block_load_methodE3ELS4_3ELS4_3ELNS0_20block_scan_algorithmE0ELj4294967295EEENS1_25partition_config_selectorILNS1_17partition_subalgoE4EjNS0_10empty_typeEbEEZZNS1_14partition_implILS8_4ELb0ES6_15HIP_vector_typeIjLj2EENS0_17counting_iteratorIjlEEPS9_SG_NS0_5tupleIJPjSI_NS0_16reverse_iteratorISI_EEEEENSH_IJSG_SG_SG_EEES9_SI_JZNS1_25segmented_radix_sort_implINS0_14default_configELb0EPK12hip_bfloat16PSP_PKlPlN2at6native12_GLOBAL__N_18offset_tEEE10hipError_tPvRmT1_PNSt15iterator_traitsIS13_E10value_typeET2_T3_PNS14_IS19_E10value_typeET4_jRbjT5_S1F_jjP12ihipStream_tbEUljE_ZNSN_ISO_Lb0ESR_SS_SU_SV_SZ_EES10_S11_S12_S13_S17_S18_S19_S1C_S1D_jS1E_jS1F_S1F_jjS1H_bEUljE0_EEES10_S11_S12_S19_S1D_S1F_T6_T7_T9_mT8_S1H_bDpT10_ENKUlT_T0_E_clISt17integral_constantIbLb0EES1V_EEDaS1Q_S1R_EUlS1Q_E_NS1_11comp_targetILNS1_3genE3ELNS1_11target_archE908ELNS1_3gpuE7ELNS1_3repE0EEENS1_30default_config_static_selectorELNS0_4arch9wavefront6targetE0EEEvS13_
; %bb.0:
	.section	.rodata,"a",@progbits
	.p2align	6, 0x0
	.amdhsa_kernel _ZN7rocprim17ROCPRIM_400000_NS6detail17trampoline_kernelINS0_13select_configILj256ELj13ELNS0_17block_load_methodE3ELS4_3ELS4_3ELNS0_20block_scan_algorithmE0ELj4294967295EEENS1_25partition_config_selectorILNS1_17partition_subalgoE4EjNS0_10empty_typeEbEEZZNS1_14partition_implILS8_4ELb0ES6_15HIP_vector_typeIjLj2EENS0_17counting_iteratorIjlEEPS9_SG_NS0_5tupleIJPjSI_NS0_16reverse_iteratorISI_EEEEENSH_IJSG_SG_SG_EEES9_SI_JZNS1_25segmented_radix_sort_implINS0_14default_configELb0EPK12hip_bfloat16PSP_PKlPlN2at6native12_GLOBAL__N_18offset_tEEE10hipError_tPvRmT1_PNSt15iterator_traitsIS13_E10value_typeET2_T3_PNS14_IS19_E10value_typeET4_jRbjT5_S1F_jjP12ihipStream_tbEUljE_ZNSN_ISO_Lb0ESR_SS_SU_SV_SZ_EES10_S11_S12_S13_S17_S18_S19_S1C_S1D_jS1E_jS1F_S1F_jjS1H_bEUljE0_EEES10_S11_S12_S19_S1D_S1F_T6_T7_T9_mT8_S1H_bDpT10_ENKUlT_T0_E_clISt17integral_constantIbLb0EES1V_EEDaS1Q_S1R_EUlS1Q_E_NS1_11comp_targetILNS1_3genE3ELNS1_11target_archE908ELNS1_3gpuE7ELNS1_3repE0EEENS1_30default_config_static_selectorELNS0_4arch9wavefront6targetE0EEEvS13_
		.amdhsa_group_segment_fixed_size 0
		.amdhsa_private_segment_fixed_size 0
		.amdhsa_kernarg_size 176
		.amdhsa_user_sgpr_count 15
		.amdhsa_user_sgpr_dispatch_ptr 0
		.amdhsa_user_sgpr_queue_ptr 0
		.amdhsa_user_sgpr_kernarg_segment_ptr 1
		.amdhsa_user_sgpr_dispatch_id 0
		.amdhsa_user_sgpr_private_segment_size 0
		.amdhsa_wavefront_size32 1
		.amdhsa_uses_dynamic_stack 0
		.amdhsa_enable_private_segment 0
		.amdhsa_system_sgpr_workgroup_id_x 1
		.amdhsa_system_sgpr_workgroup_id_y 0
		.amdhsa_system_sgpr_workgroup_id_z 0
		.amdhsa_system_sgpr_workgroup_info 0
		.amdhsa_system_vgpr_workitem_id 0
		.amdhsa_next_free_vgpr 1
		.amdhsa_next_free_sgpr 1
		.amdhsa_reserve_vcc 0
		.amdhsa_float_round_mode_32 0
		.amdhsa_float_round_mode_16_64 0
		.amdhsa_float_denorm_mode_32 3
		.amdhsa_float_denorm_mode_16_64 3
		.amdhsa_dx10_clamp 1
		.amdhsa_ieee_mode 1
		.amdhsa_fp16_overflow 0
		.amdhsa_workgroup_processor_mode 1
		.amdhsa_memory_ordered 1
		.amdhsa_forward_progress 0
		.amdhsa_shared_vgpr_count 0
		.amdhsa_exception_fp_ieee_invalid_op 0
		.amdhsa_exception_fp_denorm_src 0
		.amdhsa_exception_fp_ieee_div_zero 0
		.amdhsa_exception_fp_ieee_overflow 0
		.amdhsa_exception_fp_ieee_underflow 0
		.amdhsa_exception_fp_ieee_inexact 0
		.amdhsa_exception_int_div_zero 0
	.end_amdhsa_kernel
	.section	.text._ZN7rocprim17ROCPRIM_400000_NS6detail17trampoline_kernelINS0_13select_configILj256ELj13ELNS0_17block_load_methodE3ELS4_3ELS4_3ELNS0_20block_scan_algorithmE0ELj4294967295EEENS1_25partition_config_selectorILNS1_17partition_subalgoE4EjNS0_10empty_typeEbEEZZNS1_14partition_implILS8_4ELb0ES6_15HIP_vector_typeIjLj2EENS0_17counting_iteratorIjlEEPS9_SG_NS0_5tupleIJPjSI_NS0_16reverse_iteratorISI_EEEEENSH_IJSG_SG_SG_EEES9_SI_JZNS1_25segmented_radix_sort_implINS0_14default_configELb0EPK12hip_bfloat16PSP_PKlPlN2at6native12_GLOBAL__N_18offset_tEEE10hipError_tPvRmT1_PNSt15iterator_traitsIS13_E10value_typeET2_T3_PNS14_IS19_E10value_typeET4_jRbjT5_S1F_jjP12ihipStream_tbEUljE_ZNSN_ISO_Lb0ESR_SS_SU_SV_SZ_EES10_S11_S12_S13_S17_S18_S19_S1C_S1D_jS1E_jS1F_S1F_jjS1H_bEUljE0_EEES10_S11_S12_S19_S1D_S1F_T6_T7_T9_mT8_S1H_bDpT10_ENKUlT_T0_E_clISt17integral_constantIbLb0EES1V_EEDaS1Q_S1R_EUlS1Q_E_NS1_11comp_targetILNS1_3genE3ELNS1_11target_archE908ELNS1_3gpuE7ELNS1_3repE0EEENS1_30default_config_static_selectorELNS0_4arch9wavefront6targetE0EEEvS13_,"axG",@progbits,_ZN7rocprim17ROCPRIM_400000_NS6detail17trampoline_kernelINS0_13select_configILj256ELj13ELNS0_17block_load_methodE3ELS4_3ELS4_3ELNS0_20block_scan_algorithmE0ELj4294967295EEENS1_25partition_config_selectorILNS1_17partition_subalgoE4EjNS0_10empty_typeEbEEZZNS1_14partition_implILS8_4ELb0ES6_15HIP_vector_typeIjLj2EENS0_17counting_iteratorIjlEEPS9_SG_NS0_5tupleIJPjSI_NS0_16reverse_iteratorISI_EEEEENSH_IJSG_SG_SG_EEES9_SI_JZNS1_25segmented_radix_sort_implINS0_14default_configELb0EPK12hip_bfloat16PSP_PKlPlN2at6native12_GLOBAL__N_18offset_tEEE10hipError_tPvRmT1_PNSt15iterator_traitsIS13_E10value_typeET2_T3_PNS14_IS19_E10value_typeET4_jRbjT5_S1F_jjP12ihipStream_tbEUljE_ZNSN_ISO_Lb0ESR_SS_SU_SV_SZ_EES10_S11_S12_S13_S17_S18_S19_S1C_S1D_jS1E_jS1F_S1F_jjS1H_bEUljE0_EEES10_S11_S12_S19_S1D_S1F_T6_T7_T9_mT8_S1H_bDpT10_ENKUlT_T0_E_clISt17integral_constantIbLb0EES1V_EEDaS1Q_S1R_EUlS1Q_E_NS1_11comp_targetILNS1_3genE3ELNS1_11target_archE908ELNS1_3gpuE7ELNS1_3repE0EEENS1_30default_config_static_selectorELNS0_4arch9wavefront6targetE0EEEvS13_,comdat
.Lfunc_end1988:
	.size	_ZN7rocprim17ROCPRIM_400000_NS6detail17trampoline_kernelINS0_13select_configILj256ELj13ELNS0_17block_load_methodE3ELS4_3ELS4_3ELNS0_20block_scan_algorithmE0ELj4294967295EEENS1_25partition_config_selectorILNS1_17partition_subalgoE4EjNS0_10empty_typeEbEEZZNS1_14partition_implILS8_4ELb0ES6_15HIP_vector_typeIjLj2EENS0_17counting_iteratorIjlEEPS9_SG_NS0_5tupleIJPjSI_NS0_16reverse_iteratorISI_EEEEENSH_IJSG_SG_SG_EEES9_SI_JZNS1_25segmented_radix_sort_implINS0_14default_configELb0EPK12hip_bfloat16PSP_PKlPlN2at6native12_GLOBAL__N_18offset_tEEE10hipError_tPvRmT1_PNSt15iterator_traitsIS13_E10value_typeET2_T3_PNS14_IS19_E10value_typeET4_jRbjT5_S1F_jjP12ihipStream_tbEUljE_ZNSN_ISO_Lb0ESR_SS_SU_SV_SZ_EES10_S11_S12_S13_S17_S18_S19_S1C_S1D_jS1E_jS1F_S1F_jjS1H_bEUljE0_EEES10_S11_S12_S19_S1D_S1F_T6_T7_T9_mT8_S1H_bDpT10_ENKUlT_T0_E_clISt17integral_constantIbLb0EES1V_EEDaS1Q_S1R_EUlS1Q_E_NS1_11comp_targetILNS1_3genE3ELNS1_11target_archE908ELNS1_3gpuE7ELNS1_3repE0EEENS1_30default_config_static_selectorELNS0_4arch9wavefront6targetE0EEEvS13_, .Lfunc_end1988-_ZN7rocprim17ROCPRIM_400000_NS6detail17trampoline_kernelINS0_13select_configILj256ELj13ELNS0_17block_load_methodE3ELS4_3ELS4_3ELNS0_20block_scan_algorithmE0ELj4294967295EEENS1_25partition_config_selectorILNS1_17partition_subalgoE4EjNS0_10empty_typeEbEEZZNS1_14partition_implILS8_4ELb0ES6_15HIP_vector_typeIjLj2EENS0_17counting_iteratorIjlEEPS9_SG_NS0_5tupleIJPjSI_NS0_16reverse_iteratorISI_EEEEENSH_IJSG_SG_SG_EEES9_SI_JZNS1_25segmented_radix_sort_implINS0_14default_configELb0EPK12hip_bfloat16PSP_PKlPlN2at6native12_GLOBAL__N_18offset_tEEE10hipError_tPvRmT1_PNSt15iterator_traitsIS13_E10value_typeET2_T3_PNS14_IS19_E10value_typeET4_jRbjT5_S1F_jjP12ihipStream_tbEUljE_ZNSN_ISO_Lb0ESR_SS_SU_SV_SZ_EES10_S11_S12_S13_S17_S18_S19_S1C_S1D_jS1E_jS1F_S1F_jjS1H_bEUljE0_EEES10_S11_S12_S19_S1D_S1F_T6_T7_T9_mT8_S1H_bDpT10_ENKUlT_T0_E_clISt17integral_constantIbLb0EES1V_EEDaS1Q_S1R_EUlS1Q_E_NS1_11comp_targetILNS1_3genE3ELNS1_11target_archE908ELNS1_3gpuE7ELNS1_3repE0EEENS1_30default_config_static_selectorELNS0_4arch9wavefront6targetE0EEEvS13_
                                        ; -- End function
	.section	.AMDGPU.csdata,"",@progbits
; Kernel info:
; codeLenInByte = 0
; NumSgprs: 0
; NumVgprs: 0
; ScratchSize: 0
; MemoryBound: 0
; FloatMode: 240
; IeeeMode: 1
; LDSByteSize: 0 bytes/workgroup (compile time only)
; SGPRBlocks: 0
; VGPRBlocks: 0
; NumSGPRsForWavesPerEU: 1
; NumVGPRsForWavesPerEU: 1
; Occupancy: 16
; WaveLimiterHint : 0
; COMPUTE_PGM_RSRC2:SCRATCH_EN: 0
; COMPUTE_PGM_RSRC2:USER_SGPR: 15
; COMPUTE_PGM_RSRC2:TRAP_HANDLER: 0
; COMPUTE_PGM_RSRC2:TGID_X_EN: 1
; COMPUTE_PGM_RSRC2:TGID_Y_EN: 0
; COMPUTE_PGM_RSRC2:TGID_Z_EN: 0
; COMPUTE_PGM_RSRC2:TIDIG_COMP_CNT: 0
	.section	.text._ZN7rocprim17ROCPRIM_400000_NS6detail17trampoline_kernelINS0_13select_configILj256ELj13ELNS0_17block_load_methodE3ELS4_3ELS4_3ELNS0_20block_scan_algorithmE0ELj4294967295EEENS1_25partition_config_selectorILNS1_17partition_subalgoE4EjNS0_10empty_typeEbEEZZNS1_14partition_implILS8_4ELb0ES6_15HIP_vector_typeIjLj2EENS0_17counting_iteratorIjlEEPS9_SG_NS0_5tupleIJPjSI_NS0_16reverse_iteratorISI_EEEEENSH_IJSG_SG_SG_EEES9_SI_JZNS1_25segmented_radix_sort_implINS0_14default_configELb0EPK12hip_bfloat16PSP_PKlPlN2at6native12_GLOBAL__N_18offset_tEEE10hipError_tPvRmT1_PNSt15iterator_traitsIS13_E10value_typeET2_T3_PNS14_IS19_E10value_typeET4_jRbjT5_S1F_jjP12ihipStream_tbEUljE_ZNSN_ISO_Lb0ESR_SS_SU_SV_SZ_EES10_S11_S12_S13_S17_S18_S19_S1C_S1D_jS1E_jS1F_S1F_jjS1H_bEUljE0_EEES10_S11_S12_S19_S1D_S1F_T6_T7_T9_mT8_S1H_bDpT10_ENKUlT_T0_E_clISt17integral_constantIbLb0EES1V_EEDaS1Q_S1R_EUlS1Q_E_NS1_11comp_targetILNS1_3genE2ELNS1_11target_archE906ELNS1_3gpuE6ELNS1_3repE0EEENS1_30default_config_static_selectorELNS0_4arch9wavefront6targetE0EEEvS13_,"axG",@progbits,_ZN7rocprim17ROCPRIM_400000_NS6detail17trampoline_kernelINS0_13select_configILj256ELj13ELNS0_17block_load_methodE3ELS4_3ELS4_3ELNS0_20block_scan_algorithmE0ELj4294967295EEENS1_25partition_config_selectorILNS1_17partition_subalgoE4EjNS0_10empty_typeEbEEZZNS1_14partition_implILS8_4ELb0ES6_15HIP_vector_typeIjLj2EENS0_17counting_iteratorIjlEEPS9_SG_NS0_5tupleIJPjSI_NS0_16reverse_iteratorISI_EEEEENSH_IJSG_SG_SG_EEES9_SI_JZNS1_25segmented_radix_sort_implINS0_14default_configELb0EPK12hip_bfloat16PSP_PKlPlN2at6native12_GLOBAL__N_18offset_tEEE10hipError_tPvRmT1_PNSt15iterator_traitsIS13_E10value_typeET2_T3_PNS14_IS19_E10value_typeET4_jRbjT5_S1F_jjP12ihipStream_tbEUljE_ZNSN_ISO_Lb0ESR_SS_SU_SV_SZ_EES10_S11_S12_S13_S17_S18_S19_S1C_S1D_jS1E_jS1F_S1F_jjS1H_bEUljE0_EEES10_S11_S12_S19_S1D_S1F_T6_T7_T9_mT8_S1H_bDpT10_ENKUlT_T0_E_clISt17integral_constantIbLb0EES1V_EEDaS1Q_S1R_EUlS1Q_E_NS1_11comp_targetILNS1_3genE2ELNS1_11target_archE906ELNS1_3gpuE6ELNS1_3repE0EEENS1_30default_config_static_selectorELNS0_4arch9wavefront6targetE0EEEvS13_,comdat
	.globl	_ZN7rocprim17ROCPRIM_400000_NS6detail17trampoline_kernelINS0_13select_configILj256ELj13ELNS0_17block_load_methodE3ELS4_3ELS4_3ELNS0_20block_scan_algorithmE0ELj4294967295EEENS1_25partition_config_selectorILNS1_17partition_subalgoE4EjNS0_10empty_typeEbEEZZNS1_14partition_implILS8_4ELb0ES6_15HIP_vector_typeIjLj2EENS0_17counting_iteratorIjlEEPS9_SG_NS0_5tupleIJPjSI_NS0_16reverse_iteratorISI_EEEEENSH_IJSG_SG_SG_EEES9_SI_JZNS1_25segmented_radix_sort_implINS0_14default_configELb0EPK12hip_bfloat16PSP_PKlPlN2at6native12_GLOBAL__N_18offset_tEEE10hipError_tPvRmT1_PNSt15iterator_traitsIS13_E10value_typeET2_T3_PNS14_IS19_E10value_typeET4_jRbjT5_S1F_jjP12ihipStream_tbEUljE_ZNSN_ISO_Lb0ESR_SS_SU_SV_SZ_EES10_S11_S12_S13_S17_S18_S19_S1C_S1D_jS1E_jS1F_S1F_jjS1H_bEUljE0_EEES10_S11_S12_S19_S1D_S1F_T6_T7_T9_mT8_S1H_bDpT10_ENKUlT_T0_E_clISt17integral_constantIbLb0EES1V_EEDaS1Q_S1R_EUlS1Q_E_NS1_11comp_targetILNS1_3genE2ELNS1_11target_archE906ELNS1_3gpuE6ELNS1_3repE0EEENS1_30default_config_static_selectorELNS0_4arch9wavefront6targetE0EEEvS13_ ; -- Begin function _ZN7rocprim17ROCPRIM_400000_NS6detail17trampoline_kernelINS0_13select_configILj256ELj13ELNS0_17block_load_methodE3ELS4_3ELS4_3ELNS0_20block_scan_algorithmE0ELj4294967295EEENS1_25partition_config_selectorILNS1_17partition_subalgoE4EjNS0_10empty_typeEbEEZZNS1_14partition_implILS8_4ELb0ES6_15HIP_vector_typeIjLj2EENS0_17counting_iteratorIjlEEPS9_SG_NS0_5tupleIJPjSI_NS0_16reverse_iteratorISI_EEEEENSH_IJSG_SG_SG_EEES9_SI_JZNS1_25segmented_radix_sort_implINS0_14default_configELb0EPK12hip_bfloat16PSP_PKlPlN2at6native12_GLOBAL__N_18offset_tEEE10hipError_tPvRmT1_PNSt15iterator_traitsIS13_E10value_typeET2_T3_PNS14_IS19_E10value_typeET4_jRbjT5_S1F_jjP12ihipStream_tbEUljE_ZNSN_ISO_Lb0ESR_SS_SU_SV_SZ_EES10_S11_S12_S13_S17_S18_S19_S1C_S1D_jS1E_jS1F_S1F_jjS1H_bEUljE0_EEES10_S11_S12_S19_S1D_S1F_T6_T7_T9_mT8_S1H_bDpT10_ENKUlT_T0_E_clISt17integral_constantIbLb0EES1V_EEDaS1Q_S1R_EUlS1Q_E_NS1_11comp_targetILNS1_3genE2ELNS1_11target_archE906ELNS1_3gpuE6ELNS1_3repE0EEENS1_30default_config_static_selectorELNS0_4arch9wavefront6targetE0EEEvS13_
	.p2align	8
	.type	_ZN7rocprim17ROCPRIM_400000_NS6detail17trampoline_kernelINS0_13select_configILj256ELj13ELNS0_17block_load_methodE3ELS4_3ELS4_3ELNS0_20block_scan_algorithmE0ELj4294967295EEENS1_25partition_config_selectorILNS1_17partition_subalgoE4EjNS0_10empty_typeEbEEZZNS1_14partition_implILS8_4ELb0ES6_15HIP_vector_typeIjLj2EENS0_17counting_iteratorIjlEEPS9_SG_NS0_5tupleIJPjSI_NS0_16reverse_iteratorISI_EEEEENSH_IJSG_SG_SG_EEES9_SI_JZNS1_25segmented_radix_sort_implINS0_14default_configELb0EPK12hip_bfloat16PSP_PKlPlN2at6native12_GLOBAL__N_18offset_tEEE10hipError_tPvRmT1_PNSt15iterator_traitsIS13_E10value_typeET2_T3_PNS14_IS19_E10value_typeET4_jRbjT5_S1F_jjP12ihipStream_tbEUljE_ZNSN_ISO_Lb0ESR_SS_SU_SV_SZ_EES10_S11_S12_S13_S17_S18_S19_S1C_S1D_jS1E_jS1F_S1F_jjS1H_bEUljE0_EEES10_S11_S12_S19_S1D_S1F_T6_T7_T9_mT8_S1H_bDpT10_ENKUlT_T0_E_clISt17integral_constantIbLb0EES1V_EEDaS1Q_S1R_EUlS1Q_E_NS1_11comp_targetILNS1_3genE2ELNS1_11target_archE906ELNS1_3gpuE6ELNS1_3repE0EEENS1_30default_config_static_selectorELNS0_4arch9wavefront6targetE0EEEvS13_,@function
_ZN7rocprim17ROCPRIM_400000_NS6detail17trampoline_kernelINS0_13select_configILj256ELj13ELNS0_17block_load_methodE3ELS4_3ELS4_3ELNS0_20block_scan_algorithmE0ELj4294967295EEENS1_25partition_config_selectorILNS1_17partition_subalgoE4EjNS0_10empty_typeEbEEZZNS1_14partition_implILS8_4ELb0ES6_15HIP_vector_typeIjLj2EENS0_17counting_iteratorIjlEEPS9_SG_NS0_5tupleIJPjSI_NS0_16reverse_iteratorISI_EEEEENSH_IJSG_SG_SG_EEES9_SI_JZNS1_25segmented_radix_sort_implINS0_14default_configELb0EPK12hip_bfloat16PSP_PKlPlN2at6native12_GLOBAL__N_18offset_tEEE10hipError_tPvRmT1_PNSt15iterator_traitsIS13_E10value_typeET2_T3_PNS14_IS19_E10value_typeET4_jRbjT5_S1F_jjP12ihipStream_tbEUljE_ZNSN_ISO_Lb0ESR_SS_SU_SV_SZ_EES10_S11_S12_S13_S17_S18_S19_S1C_S1D_jS1E_jS1F_S1F_jjS1H_bEUljE0_EEES10_S11_S12_S19_S1D_S1F_T6_T7_T9_mT8_S1H_bDpT10_ENKUlT_T0_E_clISt17integral_constantIbLb0EES1V_EEDaS1Q_S1R_EUlS1Q_E_NS1_11comp_targetILNS1_3genE2ELNS1_11target_archE906ELNS1_3gpuE6ELNS1_3repE0EEENS1_30default_config_static_selectorELNS0_4arch9wavefront6targetE0EEEvS13_: ; @_ZN7rocprim17ROCPRIM_400000_NS6detail17trampoline_kernelINS0_13select_configILj256ELj13ELNS0_17block_load_methodE3ELS4_3ELS4_3ELNS0_20block_scan_algorithmE0ELj4294967295EEENS1_25partition_config_selectorILNS1_17partition_subalgoE4EjNS0_10empty_typeEbEEZZNS1_14partition_implILS8_4ELb0ES6_15HIP_vector_typeIjLj2EENS0_17counting_iteratorIjlEEPS9_SG_NS0_5tupleIJPjSI_NS0_16reverse_iteratorISI_EEEEENSH_IJSG_SG_SG_EEES9_SI_JZNS1_25segmented_radix_sort_implINS0_14default_configELb0EPK12hip_bfloat16PSP_PKlPlN2at6native12_GLOBAL__N_18offset_tEEE10hipError_tPvRmT1_PNSt15iterator_traitsIS13_E10value_typeET2_T3_PNS14_IS19_E10value_typeET4_jRbjT5_S1F_jjP12ihipStream_tbEUljE_ZNSN_ISO_Lb0ESR_SS_SU_SV_SZ_EES10_S11_S12_S13_S17_S18_S19_S1C_S1D_jS1E_jS1F_S1F_jjS1H_bEUljE0_EEES10_S11_S12_S19_S1D_S1F_T6_T7_T9_mT8_S1H_bDpT10_ENKUlT_T0_E_clISt17integral_constantIbLb0EES1V_EEDaS1Q_S1R_EUlS1Q_E_NS1_11comp_targetILNS1_3genE2ELNS1_11target_archE906ELNS1_3gpuE6ELNS1_3repE0EEENS1_30default_config_static_selectorELNS0_4arch9wavefront6targetE0EEEvS13_
; %bb.0:
	.section	.rodata,"a",@progbits
	.p2align	6, 0x0
	.amdhsa_kernel _ZN7rocprim17ROCPRIM_400000_NS6detail17trampoline_kernelINS0_13select_configILj256ELj13ELNS0_17block_load_methodE3ELS4_3ELS4_3ELNS0_20block_scan_algorithmE0ELj4294967295EEENS1_25partition_config_selectorILNS1_17partition_subalgoE4EjNS0_10empty_typeEbEEZZNS1_14partition_implILS8_4ELb0ES6_15HIP_vector_typeIjLj2EENS0_17counting_iteratorIjlEEPS9_SG_NS0_5tupleIJPjSI_NS0_16reverse_iteratorISI_EEEEENSH_IJSG_SG_SG_EEES9_SI_JZNS1_25segmented_radix_sort_implINS0_14default_configELb0EPK12hip_bfloat16PSP_PKlPlN2at6native12_GLOBAL__N_18offset_tEEE10hipError_tPvRmT1_PNSt15iterator_traitsIS13_E10value_typeET2_T3_PNS14_IS19_E10value_typeET4_jRbjT5_S1F_jjP12ihipStream_tbEUljE_ZNSN_ISO_Lb0ESR_SS_SU_SV_SZ_EES10_S11_S12_S13_S17_S18_S19_S1C_S1D_jS1E_jS1F_S1F_jjS1H_bEUljE0_EEES10_S11_S12_S19_S1D_S1F_T6_T7_T9_mT8_S1H_bDpT10_ENKUlT_T0_E_clISt17integral_constantIbLb0EES1V_EEDaS1Q_S1R_EUlS1Q_E_NS1_11comp_targetILNS1_3genE2ELNS1_11target_archE906ELNS1_3gpuE6ELNS1_3repE0EEENS1_30default_config_static_selectorELNS0_4arch9wavefront6targetE0EEEvS13_
		.amdhsa_group_segment_fixed_size 0
		.amdhsa_private_segment_fixed_size 0
		.amdhsa_kernarg_size 176
		.amdhsa_user_sgpr_count 15
		.amdhsa_user_sgpr_dispatch_ptr 0
		.amdhsa_user_sgpr_queue_ptr 0
		.amdhsa_user_sgpr_kernarg_segment_ptr 1
		.amdhsa_user_sgpr_dispatch_id 0
		.amdhsa_user_sgpr_private_segment_size 0
		.amdhsa_wavefront_size32 1
		.amdhsa_uses_dynamic_stack 0
		.amdhsa_enable_private_segment 0
		.amdhsa_system_sgpr_workgroup_id_x 1
		.amdhsa_system_sgpr_workgroup_id_y 0
		.amdhsa_system_sgpr_workgroup_id_z 0
		.amdhsa_system_sgpr_workgroup_info 0
		.amdhsa_system_vgpr_workitem_id 0
		.amdhsa_next_free_vgpr 1
		.amdhsa_next_free_sgpr 1
		.amdhsa_reserve_vcc 0
		.amdhsa_float_round_mode_32 0
		.amdhsa_float_round_mode_16_64 0
		.amdhsa_float_denorm_mode_32 3
		.amdhsa_float_denorm_mode_16_64 3
		.amdhsa_dx10_clamp 1
		.amdhsa_ieee_mode 1
		.amdhsa_fp16_overflow 0
		.amdhsa_workgroup_processor_mode 1
		.amdhsa_memory_ordered 1
		.amdhsa_forward_progress 0
		.amdhsa_shared_vgpr_count 0
		.amdhsa_exception_fp_ieee_invalid_op 0
		.amdhsa_exception_fp_denorm_src 0
		.amdhsa_exception_fp_ieee_div_zero 0
		.amdhsa_exception_fp_ieee_overflow 0
		.amdhsa_exception_fp_ieee_underflow 0
		.amdhsa_exception_fp_ieee_inexact 0
		.amdhsa_exception_int_div_zero 0
	.end_amdhsa_kernel
	.section	.text._ZN7rocprim17ROCPRIM_400000_NS6detail17trampoline_kernelINS0_13select_configILj256ELj13ELNS0_17block_load_methodE3ELS4_3ELS4_3ELNS0_20block_scan_algorithmE0ELj4294967295EEENS1_25partition_config_selectorILNS1_17partition_subalgoE4EjNS0_10empty_typeEbEEZZNS1_14partition_implILS8_4ELb0ES6_15HIP_vector_typeIjLj2EENS0_17counting_iteratorIjlEEPS9_SG_NS0_5tupleIJPjSI_NS0_16reverse_iteratorISI_EEEEENSH_IJSG_SG_SG_EEES9_SI_JZNS1_25segmented_radix_sort_implINS0_14default_configELb0EPK12hip_bfloat16PSP_PKlPlN2at6native12_GLOBAL__N_18offset_tEEE10hipError_tPvRmT1_PNSt15iterator_traitsIS13_E10value_typeET2_T3_PNS14_IS19_E10value_typeET4_jRbjT5_S1F_jjP12ihipStream_tbEUljE_ZNSN_ISO_Lb0ESR_SS_SU_SV_SZ_EES10_S11_S12_S13_S17_S18_S19_S1C_S1D_jS1E_jS1F_S1F_jjS1H_bEUljE0_EEES10_S11_S12_S19_S1D_S1F_T6_T7_T9_mT8_S1H_bDpT10_ENKUlT_T0_E_clISt17integral_constantIbLb0EES1V_EEDaS1Q_S1R_EUlS1Q_E_NS1_11comp_targetILNS1_3genE2ELNS1_11target_archE906ELNS1_3gpuE6ELNS1_3repE0EEENS1_30default_config_static_selectorELNS0_4arch9wavefront6targetE0EEEvS13_,"axG",@progbits,_ZN7rocprim17ROCPRIM_400000_NS6detail17trampoline_kernelINS0_13select_configILj256ELj13ELNS0_17block_load_methodE3ELS4_3ELS4_3ELNS0_20block_scan_algorithmE0ELj4294967295EEENS1_25partition_config_selectorILNS1_17partition_subalgoE4EjNS0_10empty_typeEbEEZZNS1_14partition_implILS8_4ELb0ES6_15HIP_vector_typeIjLj2EENS0_17counting_iteratorIjlEEPS9_SG_NS0_5tupleIJPjSI_NS0_16reverse_iteratorISI_EEEEENSH_IJSG_SG_SG_EEES9_SI_JZNS1_25segmented_radix_sort_implINS0_14default_configELb0EPK12hip_bfloat16PSP_PKlPlN2at6native12_GLOBAL__N_18offset_tEEE10hipError_tPvRmT1_PNSt15iterator_traitsIS13_E10value_typeET2_T3_PNS14_IS19_E10value_typeET4_jRbjT5_S1F_jjP12ihipStream_tbEUljE_ZNSN_ISO_Lb0ESR_SS_SU_SV_SZ_EES10_S11_S12_S13_S17_S18_S19_S1C_S1D_jS1E_jS1F_S1F_jjS1H_bEUljE0_EEES10_S11_S12_S19_S1D_S1F_T6_T7_T9_mT8_S1H_bDpT10_ENKUlT_T0_E_clISt17integral_constantIbLb0EES1V_EEDaS1Q_S1R_EUlS1Q_E_NS1_11comp_targetILNS1_3genE2ELNS1_11target_archE906ELNS1_3gpuE6ELNS1_3repE0EEENS1_30default_config_static_selectorELNS0_4arch9wavefront6targetE0EEEvS13_,comdat
.Lfunc_end1989:
	.size	_ZN7rocprim17ROCPRIM_400000_NS6detail17trampoline_kernelINS0_13select_configILj256ELj13ELNS0_17block_load_methodE3ELS4_3ELS4_3ELNS0_20block_scan_algorithmE0ELj4294967295EEENS1_25partition_config_selectorILNS1_17partition_subalgoE4EjNS0_10empty_typeEbEEZZNS1_14partition_implILS8_4ELb0ES6_15HIP_vector_typeIjLj2EENS0_17counting_iteratorIjlEEPS9_SG_NS0_5tupleIJPjSI_NS0_16reverse_iteratorISI_EEEEENSH_IJSG_SG_SG_EEES9_SI_JZNS1_25segmented_radix_sort_implINS0_14default_configELb0EPK12hip_bfloat16PSP_PKlPlN2at6native12_GLOBAL__N_18offset_tEEE10hipError_tPvRmT1_PNSt15iterator_traitsIS13_E10value_typeET2_T3_PNS14_IS19_E10value_typeET4_jRbjT5_S1F_jjP12ihipStream_tbEUljE_ZNSN_ISO_Lb0ESR_SS_SU_SV_SZ_EES10_S11_S12_S13_S17_S18_S19_S1C_S1D_jS1E_jS1F_S1F_jjS1H_bEUljE0_EEES10_S11_S12_S19_S1D_S1F_T6_T7_T9_mT8_S1H_bDpT10_ENKUlT_T0_E_clISt17integral_constantIbLb0EES1V_EEDaS1Q_S1R_EUlS1Q_E_NS1_11comp_targetILNS1_3genE2ELNS1_11target_archE906ELNS1_3gpuE6ELNS1_3repE0EEENS1_30default_config_static_selectorELNS0_4arch9wavefront6targetE0EEEvS13_, .Lfunc_end1989-_ZN7rocprim17ROCPRIM_400000_NS6detail17trampoline_kernelINS0_13select_configILj256ELj13ELNS0_17block_load_methodE3ELS4_3ELS4_3ELNS0_20block_scan_algorithmE0ELj4294967295EEENS1_25partition_config_selectorILNS1_17partition_subalgoE4EjNS0_10empty_typeEbEEZZNS1_14partition_implILS8_4ELb0ES6_15HIP_vector_typeIjLj2EENS0_17counting_iteratorIjlEEPS9_SG_NS0_5tupleIJPjSI_NS0_16reverse_iteratorISI_EEEEENSH_IJSG_SG_SG_EEES9_SI_JZNS1_25segmented_radix_sort_implINS0_14default_configELb0EPK12hip_bfloat16PSP_PKlPlN2at6native12_GLOBAL__N_18offset_tEEE10hipError_tPvRmT1_PNSt15iterator_traitsIS13_E10value_typeET2_T3_PNS14_IS19_E10value_typeET4_jRbjT5_S1F_jjP12ihipStream_tbEUljE_ZNSN_ISO_Lb0ESR_SS_SU_SV_SZ_EES10_S11_S12_S13_S17_S18_S19_S1C_S1D_jS1E_jS1F_S1F_jjS1H_bEUljE0_EEES10_S11_S12_S19_S1D_S1F_T6_T7_T9_mT8_S1H_bDpT10_ENKUlT_T0_E_clISt17integral_constantIbLb0EES1V_EEDaS1Q_S1R_EUlS1Q_E_NS1_11comp_targetILNS1_3genE2ELNS1_11target_archE906ELNS1_3gpuE6ELNS1_3repE0EEENS1_30default_config_static_selectorELNS0_4arch9wavefront6targetE0EEEvS13_
                                        ; -- End function
	.section	.AMDGPU.csdata,"",@progbits
; Kernel info:
; codeLenInByte = 0
; NumSgprs: 0
; NumVgprs: 0
; ScratchSize: 0
; MemoryBound: 0
; FloatMode: 240
; IeeeMode: 1
; LDSByteSize: 0 bytes/workgroup (compile time only)
; SGPRBlocks: 0
; VGPRBlocks: 0
; NumSGPRsForWavesPerEU: 1
; NumVGPRsForWavesPerEU: 1
; Occupancy: 16
; WaveLimiterHint : 0
; COMPUTE_PGM_RSRC2:SCRATCH_EN: 0
; COMPUTE_PGM_RSRC2:USER_SGPR: 15
; COMPUTE_PGM_RSRC2:TRAP_HANDLER: 0
; COMPUTE_PGM_RSRC2:TGID_X_EN: 1
; COMPUTE_PGM_RSRC2:TGID_Y_EN: 0
; COMPUTE_PGM_RSRC2:TGID_Z_EN: 0
; COMPUTE_PGM_RSRC2:TIDIG_COMP_CNT: 0
	.section	.text._ZN7rocprim17ROCPRIM_400000_NS6detail17trampoline_kernelINS0_13select_configILj256ELj13ELNS0_17block_load_methodE3ELS4_3ELS4_3ELNS0_20block_scan_algorithmE0ELj4294967295EEENS1_25partition_config_selectorILNS1_17partition_subalgoE4EjNS0_10empty_typeEbEEZZNS1_14partition_implILS8_4ELb0ES6_15HIP_vector_typeIjLj2EENS0_17counting_iteratorIjlEEPS9_SG_NS0_5tupleIJPjSI_NS0_16reverse_iteratorISI_EEEEENSH_IJSG_SG_SG_EEES9_SI_JZNS1_25segmented_radix_sort_implINS0_14default_configELb0EPK12hip_bfloat16PSP_PKlPlN2at6native12_GLOBAL__N_18offset_tEEE10hipError_tPvRmT1_PNSt15iterator_traitsIS13_E10value_typeET2_T3_PNS14_IS19_E10value_typeET4_jRbjT5_S1F_jjP12ihipStream_tbEUljE_ZNSN_ISO_Lb0ESR_SS_SU_SV_SZ_EES10_S11_S12_S13_S17_S18_S19_S1C_S1D_jS1E_jS1F_S1F_jjS1H_bEUljE0_EEES10_S11_S12_S19_S1D_S1F_T6_T7_T9_mT8_S1H_bDpT10_ENKUlT_T0_E_clISt17integral_constantIbLb0EES1V_EEDaS1Q_S1R_EUlS1Q_E_NS1_11comp_targetILNS1_3genE10ELNS1_11target_archE1200ELNS1_3gpuE4ELNS1_3repE0EEENS1_30default_config_static_selectorELNS0_4arch9wavefront6targetE0EEEvS13_,"axG",@progbits,_ZN7rocprim17ROCPRIM_400000_NS6detail17trampoline_kernelINS0_13select_configILj256ELj13ELNS0_17block_load_methodE3ELS4_3ELS4_3ELNS0_20block_scan_algorithmE0ELj4294967295EEENS1_25partition_config_selectorILNS1_17partition_subalgoE4EjNS0_10empty_typeEbEEZZNS1_14partition_implILS8_4ELb0ES6_15HIP_vector_typeIjLj2EENS0_17counting_iteratorIjlEEPS9_SG_NS0_5tupleIJPjSI_NS0_16reverse_iteratorISI_EEEEENSH_IJSG_SG_SG_EEES9_SI_JZNS1_25segmented_radix_sort_implINS0_14default_configELb0EPK12hip_bfloat16PSP_PKlPlN2at6native12_GLOBAL__N_18offset_tEEE10hipError_tPvRmT1_PNSt15iterator_traitsIS13_E10value_typeET2_T3_PNS14_IS19_E10value_typeET4_jRbjT5_S1F_jjP12ihipStream_tbEUljE_ZNSN_ISO_Lb0ESR_SS_SU_SV_SZ_EES10_S11_S12_S13_S17_S18_S19_S1C_S1D_jS1E_jS1F_S1F_jjS1H_bEUljE0_EEES10_S11_S12_S19_S1D_S1F_T6_T7_T9_mT8_S1H_bDpT10_ENKUlT_T0_E_clISt17integral_constantIbLb0EES1V_EEDaS1Q_S1R_EUlS1Q_E_NS1_11comp_targetILNS1_3genE10ELNS1_11target_archE1200ELNS1_3gpuE4ELNS1_3repE0EEENS1_30default_config_static_selectorELNS0_4arch9wavefront6targetE0EEEvS13_,comdat
	.globl	_ZN7rocprim17ROCPRIM_400000_NS6detail17trampoline_kernelINS0_13select_configILj256ELj13ELNS0_17block_load_methodE3ELS4_3ELS4_3ELNS0_20block_scan_algorithmE0ELj4294967295EEENS1_25partition_config_selectorILNS1_17partition_subalgoE4EjNS0_10empty_typeEbEEZZNS1_14partition_implILS8_4ELb0ES6_15HIP_vector_typeIjLj2EENS0_17counting_iteratorIjlEEPS9_SG_NS0_5tupleIJPjSI_NS0_16reverse_iteratorISI_EEEEENSH_IJSG_SG_SG_EEES9_SI_JZNS1_25segmented_radix_sort_implINS0_14default_configELb0EPK12hip_bfloat16PSP_PKlPlN2at6native12_GLOBAL__N_18offset_tEEE10hipError_tPvRmT1_PNSt15iterator_traitsIS13_E10value_typeET2_T3_PNS14_IS19_E10value_typeET4_jRbjT5_S1F_jjP12ihipStream_tbEUljE_ZNSN_ISO_Lb0ESR_SS_SU_SV_SZ_EES10_S11_S12_S13_S17_S18_S19_S1C_S1D_jS1E_jS1F_S1F_jjS1H_bEUljE0_EEES10_S11_S12_S19_S1D_S1F_T6_T7_T9_mT8_S1H_bDpT10_ENKUlT_T0_E_clISt17integral_constantIbLb0EES1V_EEDaS1Q_S1R_EUlS1Q_E_NS1_11comp_targetILNS1_3genE10ELNS1_11target_archE1200ELNS1_3gpuE4ELNS1_3repE0EEENS1_30default_config_static_selectorELNS0_4arch9wavefront6targetE0EEEvS13_ ; -- Begin function _ZN7rocprim17ROCPRIM_400000_NS6detail17trampoline_kernelINS0_13select_configILj256ELj13ELNS0_17block_load_methodE3ELS4_3ELS4_3ELNS0_20block_scan_algorithmE0ELj4294967295EEENS1_25partition_config_selectorILNS1_17partition_subalgoE4EjNS0_10empty_typeEbEEZZNS1_14partition_implILS8_4ELb0ES6_15HIP_vector_typeIjLj2EENS0_17counting_iteratorIjlEEPS9_SG_NS0_5tupleIJPjSI_NS0_16reverse_iteratorISI_EEEEENSH_IJSG_SG_SG_EEES9_SI_JZNS1_25segmented_radix_sort_implINS0_14default_configELb0EPK12hip_bfloat16PSP_PKlPlN2at6native12_GLOBAL__N_18offset_tEEE10hipError_tPvRmT1_PNSt15iterator_traitsIS13_E10value_typeET2_T3_PNS14_IS19_E10value_typeET4_jRbjT5_S1F_jjP12ihipStream_tbEUljE_ZNSN_ISO_Lb0ESR_SS_SU_SV_SZ_EES10_S11_S12_S13_S17_S18_S19_S1C_S1D_jS1E_jS1F_S1F_jjS1H_bEUljE0_EEES10_S11_S12_S19_S1D_S1F_T6_T7_T9_mT8_S1H_bDpT10_ENKUlT_T0_E_clISt17integral_constantIbLb0EES1V_EEDaS1Q_S1R_EUlS1Q_E_NS1_11comp_targetILNS1_3genE10ELNS1_11target_archE1200ELNS1_3gpuE4ELNS1_3repE0EEENS1_30default_config_static_selectorELNS0_4arch9wavefront6targetE0EEEvS13_
	.p2align	8
	.type	_ZN7rocprim17ROCPRIM_400000_NS6detail17trampoline_kernelINS0_13select_configILj256ELj13ELNS0_17block_load_methodE3ELS4_3ELS4_3ELNS0_20block_scan_algorithmE0ELj4294967295EEENS1_25partition_config_selectorILNS1_17partition_subalgoE4EjNS0_10empty_typeEbEEZZNS1_14partition_implILS8_4ELb0ES6_15HIP_vector_typeIjLj2EENS0_17counting_iteratorIjlEEPS9_SG_NS0_5tupleIJPjSI_NS0_16reverse_iteratorISI_EEEEENSH_IJSG_SG_SG_EEES9_SI_JZNS1_25segmented_radix_sort_implINS0_14default_configELb0EPK12hip_bfloat16PSP_PKlPlN2at6native12_GLOBAL__N_18offset_tEEE10hipError_tPvRmT1_PNSt15iterator_traitsIS13_E10value_typeET2_T3_PNS14_IS19_E10value_typeET4_jRbjT5_S1F_jjP12ihipStream_tbEUljE_ZNSN_ISO_Lb0ESR_SS_SU_SV_SZ_EES10_S11_S12_S13_S17_S18_S19_S1C_S1D_jS1E_jS1F_S1F_jjS1H_bEUljE0_EEES10_S11_S12_S19_S1D_S1F_T6_T7_T9_mT8_S1H_bDpT10_ENKUlT_T0_E_clISt17integral_constantIbLb0EES1V_EEDaS1Q_S1R_EUlS1Q_E_NS1_11comp_targetILNS1_3genE10ELNS1_11target_archE1200ELNS1_3gpuE4ELNS1_3repE0EEENS1_30default_config_static_selectorELNS0_4arch9wavefront6targetE0EEEvS13_,@function
_ZN7rocprim17ROCPRIM_400000_NS6detail17trampoline_kernelINS0_13select_configILj256ELj13ELNS0_17block_load_methodE3ELS4_3ELS4_3ELNS0_20block_scan_algorithmE0ELj4294967295EEENS1_25partition_config_selectorILNS1_17partition_subalgoE4EjNS0_10empty_typeEbEEZZNS1_14partition_implILS8_4ELb0ES6_15HIP_vector_typeIjLj2EENS0_17counting_iteratorIjlEEPS9_SG_NS0_5tupleIJPjSI_NS0_16reverse_iteratorISI_EEEEENSH_IJSG_SG_SG_EEES9_SI_JZNS1_25segmented_radix_sort_implINS0_14default_configELb0EPK12hip_bfloat16PSP_PKlPlN2at6native12_GLOBAL__N_18offset_tEEE10hipError_tPvRmT1_PNSt15iterator_traitsIS13_E10value_typeET2_T3_PNS14_IS19_E10value_typeET4_jRbjT5_S1F_jjP12ihipStream_tbEUljE_ZNSN_ISO_Lb0ESR_SS_SU_SV_SZ_EES10_S11_S12_S13_S17_S18_S19_S1C_S1D_jS1E_jS1F_S1F_jjS1H_bEUljE0_EEES10_S11_S12_S19_S1D_S1F_T6_T7_T9_mT8_S1H_bDpT10_ENKUlT_T0_E_clISt17integral_constantIbLb0EES1V_EEDaS1Q_S1R_EUlS1Q_E_NS1_11comp_targetILNS1_3genE10ELNS1_11target_archE1200ELNS1_3gpuE4ELNS1_3repE0EEENS1_30default_config_static_selectorELNS0_4arch9wavefront6targetE0EEEvS13_: ; @_ZN7rocprim17ROCPRIM_400000_NS6detail17trampoline_kernelINS0_13select_configILj256ELj13ELNS0_17block_load_methodE3ELS4_3ELS4_3ELNS0_20block_scan_algorithmE0ELj4294967295EEENS1_25partition_config_selectorILNS1_17partition_subalgoE4EjNS0_10empty_typeEbEEZZNS1_14partition_implILS8_4ELb0ES6_15HIP_vector_typeIjLj2EENS0_17counting_iteratorIjlEEPS9_SG_NS0_5tupleIJPjSI_NS0_16reverse_iteratorISI_EEEEENSH_IJSG_SG_SG_EEES9_SI_JZNS1_25segmented_radix_sort_implINS0_14default_configELb0EPK12hip_bfloat16PSP_PKlPlN2at6native12_GLOBAL__N_18offset_tEEE10hipError_tPvRmT1_PNSt15iterator_traitsIS13_E10value_typeET2_T3_PNS14_IS19_E10value_typeET4_jRbjT5_S1F_jjP12ihipStream_tbEUljE_ZNSN_ISO_Lb0ESR_SS_SU_SV_SZ_EES10_S11_S12_S13_S17_S18_S19_S1C_S1D_jS1E_jS1F_S1F_jjS1H_bEUljE0_EEES10_S11_S12_S19_S1D_S1F_T6_T7_T9_mT8_S1H_bDpT10_ENKUlT_T0_E_clISt17integral_constantIbLb0EES1V_EEDaS1Q_S1R_EUlS1Q_E_NS1_11comp_targetILNS1_3genE10ELNS1_11target_archE1200ELNS1_3gpuE4ELNS1_3repE0EEENS1_30default_config_static_selectorELNS0_4arch9wavefront6targetE0EEEvS13_
; %bb.0:
	.section	.rodata,"a",@progbits
	.p2align	6, 0x0
	.amdhsa_kernel _ZN7rocprim17ROCPRIM_400000_NS6detail17trampoline_kernelINS0_13select_configILj256ELj13ELNS0_17block_load_methodE3ELS4_3ELS4_3ELNS0_20block_scan_algorithmE0ELj4294967295EEENS1_25partition_config_selectorILNS1_17partition_subalgoE4EjNS0_10empty_typeEbEEZZNS1_14partition_implILS8_4ELb0ES6_15HIP_vector_typeIjLj2EENS0_17counting_iteratorIjlEEPS9_SG_NS0_5tupleIJPjSI_NS0_16reverse_iteratorISI_EEEEENSH_IJSG_SG_SG_EEES9_SI_JZNS1_25segmented_radix_sort_implINS0_14default_configELb0EPK12hip_bfloat16PSP_PKlPlN2at6native12_GLOBAL__N_18offset_tEEE10hipError_tPvRmT1_PNSt15iterator_traitsIS13_E10value_typeET2_T3_PNS14_IS19_E10value_typeET4_jRbjT5_S1F_jjP12ihipStream_tbEUljE_ZNSN_ISO_Lb0ESR_SS_SU_SV_SZ_EES10_S11_S12_S13_S17_S18_S19_S1C_S1D_jS1E_jS1F_S1F_jjS1H_bEUljE0_EEES10_S11_S12_S19_S1D_S1F_T6_T7_T9_mT8_S1H_bDpT10_ENKUlT_T0_E_clISt17integral_constantIbLb0EES1V_EEDaS1Q_S1R_EUlS1Q_E_NS1_11comp_targetILNS1_3genE10ELNS1_11target_archE1200ELNS1_3gpuE4ELNS1_3repE0EEENS1_30default_config_static_selectorELNS0_4arch9wavefront6targetE0EEEvS13_
		.amdhsa_group_segment_fixed_size 0
		.amdhsa_private_segment_fixed_size 0
		.amdhsa_kernarg_size 176
		.amdhsa_user_sgpr_count 15
		.amdhsa_user_sgpr_dispatch_ptr 0
		.amdhsa_user_sgpr_queue_ptr 0
		.amdhsa_user_sgpr_kernarg_segment_ptr 1
		.amdhsa_user_sgpr_dispatch_id 0
		.amdhsa_user_sgpr_private_segment_size 0
		.amdhsa_wavefront_size32 1
		.amdhsa_uses_dynamic_stack 0
		.amdhsa_enable_private_segment 0
		.amdhsa_system_sgpr_workgroup_id_x 1
		.amdhsa_system_sgpr_workgroup_id_y 0
		.amdhsa_system_sgpr_workgroup_id_z 0
		.amdhsa_system_sgpr_workgroup_info 0
		.amdhsa_system_vgpr_workitem_id 0
		.amdhsa_next_free_vgpr 1
		.amdhsa_next_free_sgpr 1
		.amdhsa_reserve_vcc 0
		.amdhsa_float_round_mode_32 0
		.amdhsa_float_round_mode_16_64 0
		.amdhsa_float_denorm_mode_32 3
		.amdhsa_float_denorm_mode_16_64 3
		.amdhsa_dx10_clamp 1
		.amdhsa_ieee_mode 1
		.amdhsa_fp16_overflow 0
		.amdhsa_workgroup_processor_mode 1
		.amdhsa_memory_ordered 1
		.amdhsa_forward_progress 0
		.amdhsa_shared_vgpr_count 0
		.amdhsa_exception_fp_ieee_invalid_op 0
		.amdhsa_exception_fp_denorm_src 0
		.amdhsa_exception_fp_ieee_div_zero 0
		.amdhsa_exception_fp_ieee_overflow 0
		.amdhsa_exception_fp_ieee_underflow 0
		.amdhsa_exception_fp_ieee_inexact 0
		.amdhsa_exception_int_div_zero 0
	.end_amdhsa_kernel
	.section	.text._ZN7rocprim17ROCPRIM_400000_NS6detail17trampoline_kernelINS0_13select_configILj256ELj13ELNS0_17block_load_methodE3ELS4_3ELS4_3ELNS0_20block_scan_algorithmE0ELj4294967295EEENS1_25partition_config_selectorILNS1_17partition_subalgoE4EjNS0_10empty_typeEbEEZZNS1_14partition_implILS8_4ELb0ES6_15HIP_vector_typeIjLj2EENS0_17counting_iteratorIjlEEPS9_SG_NS0_5tupleIJPjSI_NS0_16reverse_iteratorISI_EEEEENSH_IJSG_SG_SG_EEES9_SI_JZNS1_25segmented_radix_sort_implINS0_14default_configELb0EPK12hip_bfloat16PSP_PKlPlN2at6native12_GLOBAL__N_18offset_tEEE10hipError_tPvRmT1_PNSt15iterator_traitsIS13_E10value_typeET2_T3_PNS14_IS19_E10value_typeET4_jRbjT5_S1F_jjP12ihipStream_tbEUljE_ZNSN_ISO_Lb0ESR_SS_SU_SV_SZ_EES10_S11_S12_S13_S17_S18_S19_S1C_S1D_jS1E_jS1F_S1F_jjS1H_bEUljE0_EEES10_S11_S12_S19_S1D_S1F_T6_T7_T9_mT8_S1H_bDpT10_ENKUlT_T0_E_clISt17integral_constantIbLb0EES1V_EEDaS1Q_S1R_EUlS1Q_E_NS1_11comp_targetILNS1_3genE10ELNS1_11target_archE1200ELNS1_3gpuE4ELNS1_3repE0EEENS1_30default_config_static_selectorELNS0_4arch9wavefront6targetE0EEEvS13_,"axG",@progbits,_ZN7rocprim17ROCPRIM_400000_NS6detail17trampoline_kernelINS0_13select_configILj256ELj13ELNS0_17block_load_methodE3ELS4_3ELS4_3ELNS0_20block_scan_algorithmE0ELj4294967295EEENS1_25partition_config_selectorILNS1_17partition_subalgoE4EjNS0_10empty_typeEbEEZZNS1_14partition_implILS8_4ELb0ES6_15HIP_vector_typeIjLj2EENS0_17counting_iteratorIjlEEPS9_SG_NS0_5tupleIJPjSI_NS0_16reverse_iteratorISI_EEEEENSH_IJSG_SG_SG_EEES9_SI_JZNS1_25segmented_radix_sort_implINS0_14default_configELb0EPK12hip_bfloat16PSP_PKlPlN2at6native12_GLOBAL__N_18offset_tEEE10hipError_tPvRmT1_PNSt15iterator_traitsIS13_E10value_typeET2_T3_PNS14_IS19_E10value_typeET4_jRbjT5_S1F_jjP12ihipStream_tbEUljE_ZNSN_ISO_Lb0ESR_SS_SU_SV_SZ_EES10_S11_S12_S13_S17_S18_S19_S1C_S1D_jS1E_jS1F_S1F_jjS1H_bEUljE0_EEES10_S11_S12_S19_S1D_S1F_T6_T7_T9_mT8_S1H_bDpT10_ENKUlT_T0_E_clISt17integral_constantIbLb0EES1V_EEDaS1Q_S1R_EUlS1Q_E_NS1_11comp_targetILNS1_3genE10ELNS1_11target_archE1200ELNS1_3gpuE4ELNS1_3repE0EEENS1_30default_config_static_selectorELNS0_4arch9wavefront6targetE0EEEvS13_,comdat
.Lfunc_end1990:
	.size	_ZN7rocprim17ROCPRIM_400000_NS6detail17trampoline_kernelINS0_13select_configILj256ELj13ELNS0_17block_load_methodE3ELS4_3ELS4_3ELNS0_20block_scan_algorithmE0ELj4294967295EEENS1_25partition_config_selectorILNS1_17partition_subalgoE4EjNS0_10empty_typeEbEEZZNS1_14partition_implILS8_4ELb0ES6_15HIP_vector_typeIjLj2EENS0_17counting_iteratorIjlEEPS9_SG_NS0_5tupleIJPjSI_NS0_16reverse_iteratorISI_EEEEENSH_IJSG_SG_SG_EEES9_SI_JZNS1_25segmented_radix_sort_implINS0_14default_configELb0EPK12hip_bfloat16PSP_PKlPlN2at6native12_GLOBAL__N_18offset_tEEE10hipError_tPvRmT1_PNSt15iterator_traitsIS13_E10value_typeET2_T3_PNS14_IS19_E10value_typeET4_jRbjT5_S1F_jjP12ihipStream_tbEUljE_ZNSN_ISO_Lb0ESR_SS_SU_SV_SZ_EES10_S11_S12_S13_S17_S18_S19_S1C_S1D_jS1E_jS1F_S1F_jjS1H_bEUljE0_EEES10_S11_S12_S19_S1D_S1F_T6_T7_T9_mT8_S1H_bDpT10_ENKUlT_T0_E_clISt17integral_constantIbLb0EES1V_EEDaS1Q_S1R_EUlS1Q_E_NS1_11comp_targetILNS1_3genE10ELNS1_11target_archE1200ELNS1_3gpuE4ELNS1_3repE0EEENS1_30default_config_static_selectorELNS0_4arch9wavefront6targetE0EEEvS13_, .Lfunc_end1990-_ZN7rocprim17ROCPRIM_400000_NS6detail17trampoline_kernelINS0_13select_configILj256ELj13ELNS0_17block_load_methodE3ELS4_3ELS4_3ELNS0_20block_scan_algorithmE0ELj4294967295EEENS1_25partition_config_selectorILNS1_17partition_subalgoE4EjNS0_10empty_typeEbEEZZNS1_14partition_implILS8_4ELb0ES6_15HIP_vector_typeIjLj2EENS0_17counting_iteratorIjlEEPS9_SG_NS0_5tupleIJPjSI_NS0_16reverse_iteratorISI_EEEEENSH_IJSG_SG_SG_EEES9_SI_JZNS1_25segmented_radix_sort_implINS0_14default_configELb0EPK12hip_bfloat16PSP_PKlPlN2at6native12_GLOBAL__N_18offset_tEEE10hipError_tPvRmT1_PNSt15iterator_traitsIS13_E10value_typeET2_T3_PNS14_IS19_E10value_typeET4_jRbjT5_S1F_jjP12ihipStream_tbEUljE_ZNSN_ISO_Lb0ESR_SS_SU_SV_SZ_EES10_S11_S12_S13_S17_S18_S19_S1C_S1D_jS1E_jS1F_S1F_jjS1H_bEUljE0_EEES10_S11_S12_S19_S1D_S1F_T6_T7_T9_mT8_S1H_bDpT10_ENKUlT_T0_E_clISt17integral_constantIbLb0EES1V_EEDaS1Q_S1R_EUlS1Q_E_NS1_11comp_targetILNS1_3genE10ELNS1_11target_archE1200ELNS1_3gpuE4ELNS1_3repE0EEENS1_30default_config_static_selectorELNS0_4arch9wavefront6targetE0EEEvS13_
                                        ; -- End function
	.section	.AMDGPU.csdata,"",@progbits
; Kernel info:
; codeLenInByte = 0
; NumSgprs: 0
; NumVgprs: 0
; ScratchSize: 0
; MemoryBound: 0
; FloatMode: 240
; IeeeMode: 1
; LDSByteSize: 0 bytes/workgroup (compile time only)
; SGPRBlocks: 0
; VGPRBlocks: 0
; NumSGPRsForWavesPerEU: 1
; NumVGPRsForWavesPerEU: 1
; Occupancy: 16
; WaveLimiterHint : 0
; COMPUTE_PGM_RSRC2:SCRATCH_EN: 0
; COMPUTE_PGM_RSRC2:USER_SGPR: 15
; COMPUTE_PGM_RSRC2:TRAP_HANDLER: 0
; COMPUTE_PGM_RSRC2:TGID_X_EN: 1
; COMPUTE_PGM_RSRC2:TGID_Y_EN: 0
; COMPUTE_PGM_RSRC2:TGID_Z_EN: 0
; COMPUTE_PGM_RSRC2:TIDIG_COMP_CNT: 0
	.section	.text._ZN7rocprim17ROCPRIM_400000_NS6detail17trampoline_kernelINS0_13select_configILj256ELj13ELNS0_17block_load_methodE3ELS4_3ELS4_3ELNS0_20block_scan_algorithmE0ELj4294967295EEENS1_25partition_config_selectorILNS1_17partition_subalgoE4EjNS0_10empty_typeEbEEZZNS1_14partition_implILS8_4ELb0ES6_15HIP_vector_typeIjLj2EENS0_17counting_iteratorIjlEEPS9_SG_NS0_5tupleIJPjSI_NS0_16reverse_iteratorISI_EEEEENSH_IJSG_SG_SG_EEES9_SI_JZNS1_25segmented_radix_sort_implINS0_14default_configELb0EPK12hip_bfloat16PSP_PKlPlN2at6native12_GLOBAL__N_18offset_tEEE10hipError_tPvRmT1_PNSt15iterator_traitsIS13_E10value_typeET2_T3_PNS14_IS19_E10value_typeET4_jRbjT5_S1F_jjP12ihipStream_tbEUljE_ZNSN_ISO_Lb0ESR_SS_SU_SV_SZ_EES10_S11_S12_S13_S17_S18_S19_S1C_S1D_jS1E_jS1F_S1F_jjS1H_bEUljE0_EEES10_S11_S12_S19_S1D_S1F_T6_T7_T9_mT8_S1H_bDpT10_ENKUlT_T0_E_clISt17integral_constantIbLb0EES1V_EEDaS1Q_S1R_EUlS1Q_E_NS1_11comp_targetILNS1_3genE9ELNS1_11target_archE1100ELNS1_3gpuE3ELNS1_3repE0EEENS1_30default_config_static_selectorELNS0_4arch9wavefront6targetE0EEEvS13_,"axG",@progbits,_ZN7rocprim17ROCPRIM_400000_NS6detail17trampoline_kernelINS0_13select_configILj256ELj13ELNS0_17block_load_methodE3ELS4_3ELS4_3ELNS0_20block_scan_algorithmE0ELj4294967295EEENS1_25partition_config_selectorILNS1_17partition_subalgoE4EjNS0_10empty_typeEbEEZZNS1_14partition_implILS8_4ELb0ES6_15HIP_vector_typeIjLj2EENS0_17counting_iteratorIjlEEPS9_SG_NS0_5tupleIJPjSI_NS0_16reverse_iteratorISI_EEEEENSH_IJSG_SG_SG_EEES9_SI_JZNS1_25segmented_radix_sort_implINS0_14default_configELb0EPK12hip_bfloat16PSP_PKlPlN2at6native12_GLOBAL__N_18offset_tEEE10hipError_tPvRmT1_PNSt15iterator_traitsIS13_E10value_typeET2_T3_PNS14_IS19_E10value_typeET4_jRbjT5_S1F_jjP12ihipStream_tbEUljE_ZNSN_ISO_Lb0ESR_SS_SU_SV_SZ_EES10_S11_S12_S13_S17_S18_S19_S1C_S1D_jS1E_jS1F_S1F_jjS1H_bEUljE0_EEES10_S11_S12_S19_S1D_S1F_T6_T7_T9_mT8_S1H_bDpT10_ENKUlT_T0_E_clISt17integral_constantIbLb0EES1V_EEDaS1Q_S1R_EUlS1Q_E_NS1_11comp_targetILNS1_3genE9ELNS1_11target_archE1100ELNS1_3gpuE3ELNS1_3repE0EEENS1_30default_config_static_selectorELNS0_4arch9wavefront6targetE0EEEvS13_,comdat
	.globl	_ZN7rocprim17ROCPRIM_400000_NS6detail17trampoline_kernelINS0_13select_configILj256ELj13ELNS0_17block_load_methodE3ELS4_3ELS4_3ELNS0_20block_scan_algorithmE0ELj4294967295EEENS1_25partition_config_selectorILNS1_17partition_subalgoE4EjNS0_10empty_typeEbEEZZNS1_14partition_implILS8_4ELb0ES6_15HIP_vector_typeIjLj2EENS0_17counting_iteratorIjlEEPS9_SG_NS0_5tupleIJPjSI_NS0_16reverse_iteratorISI_EEEEENSH_IJSG_SG_SG_EEES9_SI_JZNS1_25segmented_radix_sort_implINS0_14default_configELb0EPK12hip_bfloat16PSP_PKlPlN2at6native12_GLOBAL__N_18offset_tEEE10hipError_tPvRmT1_PNSt15iterator_traitsIS13_E10value_typeET2_T3_PNS14_IS19_E10value_typeET4_jRbjT5_S1F_jjP12ihipStream_tbEUljE_ZNSN_ISO_Lb0ESR_SS_SU_SV_SZ_EES10_S11_S12_S13_S17_S18_S19_S1C_S1D_jS1E_jS1F_S1F_jjS1H_bEUljE0_EEES10_S11_S12_S19_S1D_S1F_T6_T7_T9_mT8_S1H_bDpT10_ENKUlT_T0_E_clISt17integral_constantIbLb0EES1V_EEDaS1Q_S1R_EUlS1Q_E_NS1_11comp_targetILNS1_3genE9ELNS1_11target_archE1100ELNS1_3gpuE3ELNS1_3repE0EEENS1_30default_config_static_selectorELNS0_4arch9wavefront6targetE0EEEvS13_ ; -- Begin function _ZN7rocprim17ROCPRIM_400000_NS6detail17trampoline_kernelINS0_13select_configILj256ELj13ELNS0_17block_load_methodE3ELS4_3ELS4_3ELNS0_20block_scan_algorithmE0ELj4294967295EEENS1_25partition_config_selectorILNS1_17partition_subalgoE4EjNS0_10empty_typeEbEEZZNS1_14partition_implILS8_4ELb0ES6_15HIP_vector_typeIjLj2EENS0_17counting_iteratorIjlEEPS9_SG_NS0_5tupleIJPjSI_NS0_16reverse_iteratorISI_EEEEENSH_IJSG_SG_SG_EEES9_SI_JZNS1_25segmented_radix_sort_implINS0_14default_configELb0EPK12hip_bfloat16PSP_PKlPlN2at6native12_GLOBAL__N_18offset_tEEE10hipError_tPvRmT1_PNSt15iterator_traitsIS13_E10value_typeET2_T3_PNS14_IS19_E10value_typeET4_jRbjT5_S1F_jjP12ihipStream_tbEUljE_ZNSN_ISO_Lb0ESR_SS_SU_SV_SZ_EES10_S11_S12_S13_S17_S18_S19_S1C_S1D_jS1E_jS1F_S1F_jjS1H_bEUljE0_EEES10_S11_S12_S19_S1D_S1F_T6_T7_T9_mT8_S1H_bDpT10_ENKUlT_T0_E_clISt17integral_constantIbLb0EES1V_EEDaS1Q_S1R_EUlS1Q_E_NS1_11comp_targetILNS1_3genE9ELNS1_11target_archE1100ELNS1_3gpuE3ELNS1_3repE0EEENS1_30default_config_static_selectorELNS0_4arch9wavefront6targetE0EEEvS13_
	.p2align	8
	.type	_ZN7rocprim17ROCPRIM_400000_NS6detail17trampoline_kernelINS0_13select_configILj256ELj13ELNS0_17block_load_methodE3ELS4_3ELS4_3ELNS0_20block_scan_algorithmE0ELj4294967295EEENS1_25partition_config_selectorILNS1_17partition_subalgoE4EjNS0_10empty_typeEbEEZZNS1_14partition_implILS8_4ELb0ES6_15HIP_vector_typeIjLj2EENS0_17counting_iteratorIjlEEPS9_SG_NS0_5tupleIJPjSI_NS0_16reverse_iteratorISI_EEEEENSH_IJSG_SG_SG_EEES9_SI_JZNS1_25segmented_radix_sort_implINS0_14default_configELb0EPK12hip_bfloat16PSP_PKlPlN2at6native12_GLOBAL__N_18offset_tEEE10hipError_tPvRmT1_PNSt15iterator_traitsIS13_E10value_typeET2_T3_PNS14_IS19_E10value_typeET4_jRbjT5_S1F_jjP12ihipStream_tbEUljE_ZNSN_ISO_Lb0ESR_SS_SU_SV_SZ_EES10_S11_S12_S13_S17_S18_S19_S1C_S1D_jS1E_jS1F_S1F_jjS1H_bEUljE0_EEES10_S11_S12_S19_S1D_S1F_T6_T7_T9_mT8_S1H_bDpT10_ENKUlT_T0_E_clISt17integral_constantIbLb0EES1V_EEDaS1Q_S1R_EUlS1Q_E_NS1_11comp_targetILNS1_3genE9ELNS1_11target_archE1100ELNS1_3gpuE3ELNS1_3repE0EEENS1_30default_config_static_selectorELNS0_4arch9wavefront6targetE0EEEvS13_,@function
_ZN7rocprim17ROCPRIM_400000_NS6detail17trampoline_kernelINS0_13select_configILj256ELj13ELNS0_17block_load_methodE3ELS4_3ELS4_3ELNS0_20block_scan_algorithmE0ELj4294967295EEENS1_25partition_config_selectorILNS1_17partition_subalgoE4EjNS0_10empty_typeEbEEZZNS1_14partition_implILS8_4ELb0ES6_15HIP_vector_typeIjLj2EENS0_17counting_iteratorIjlEEPS9_SG_NS0_5tupleIJPjSI_NS0_16reverse_iteratorISI_EEEEENSH_IJSG_SG_SG_EEES9_SI_JZNS1_25segmented_radix_sort_implINS0_14default_configELb0EPK12hip_bfloat16PSP_PKlPlN2at6native12_GLOBAL__N_18offset_tEEE10hipError_tPvRmT1_PNSt15iterator_traitsIS13_E10value_typeET2_T3_PNS14_IS19_E10value_typeET4_jRbjT5_S1F_jjP12ihipStream_tbEUljE_ZNSN_ISO_Lb0ESR_SS_SU_SV_SZ_EES10_S11_S12_S13_S17_S18_S19_S1C_S1D_jS1E_jS1F_S1F_jjS1H_bEUljE0_EEES10_S11_S12_S19_S1D_S1F_T6_T7_T9_mT8_S1H_bDpT10_ENKUlT_T0_E_clISt17integral_constantIbLb0EES1V_EEDaS1Q_S1R_EUlS1Q_E_NS1_11comp_targetILNS1_3genE9ELNS1_11target_archE1100ELNS1_3gpuE3ELNS1_3repE0EEENS1_30default_config_static_selectorELNS0_4arch9wavefront6targetE0EEEvS13_: ; @_ZN7rocprim17ROCPRIM_400000_NS6detail17trampoline_kernelINS0_13select_configILj256ELj13ELNS0_17block_load_methodE3ELS4_3ELS4_3ELNS0_20block_scan_algorithmE0ELj4294967295EEENS1_25partition_config_selectorILNS1_17partition_subalgoE4EjNS0_10empty_typeEbEEZZNS1_14partition_implILS8_4ELb0ES6_15HIP_vector_typeIjLj2EENS0_17counting_iteratorIjlEEPS9_SG_NS0_5tupleIJPjSI_NS0_16reverse_iteratorISI_EEEEENSH_IJSG_SG_SG_EEES9_SI_JZNS1_25segmented_radix_sort_implINS0_14default_configELb0EPK12hip_bfloat16PSP_PKlPlN2at6native12_GLOBAL__N_18offset_tEEE10hipError_tPvRmT1_PNSt15iterator_traitsIS13_E10value_typeET2_T3_PNS14_IS19_E10value_typeET4_jRbjT5_S1F_jjP12ihipStream_tbEUljE_ZNSN_ISO_Lb0ESR_SS_SU_SV_SZ_EES10_S11_S12_S13_S17_S18_S19_S1C_S1D_jS1E_jS1F_S1F_jjS1H_bEUljE0_EEES10_S11_S12_S19_S1D_S1F_T6_T7_T9_mT8_S1H_bDpT10_ENKUlT_T0_E_clISt17integral_constantIbLb0EES1V_EEDaS1Q_S1R_EUlS1Q_E_NS1_11comp_targetILNS1_3genE9ELNS1_11target_archE1100ELNS1_3gpuE3ELNS1_3repE0EEENS1_30default_config_static_selectorELNS0_4arch9wavefront6targetE0EEEvS13_
; %bb.0:
	s_clause 0x6
	s_load_b32 s5, s[0:1], 0x80
	s_load_b64 s[34:35], s[0:1], 0x10
	s_load_b64 s[2:3], s[0:1], 0x68
	s_load_b32 s8, s[0:1], 0x8
	s_load_b128 s[24:27], s[0:1], 0x58
	s_load_b64 s[40:41], s[0:1], 0xa8
	s_load_b256 s[16:23], s[0:1], 0x88
	s_mul_i32 s33, s15, 0xd00
	s_waitcnt lgkmcnt(0)
	s_mul_i32 s4, s5, 0xd00
	s_add_i32 s5, s5, -1
	s_add_u32 s6, s34, s4
	s_addc_u32 s7, s35, 0
	s_load_b128 s[28:31], s[26:27], 0x0
	s_cmp_eq_u32 s15, s5
	v_cmp_lt_u64_e64 s3, s[6:7], s[2:3]
	s_cselect_b32 s14, -1, 0
	s_cmp_lg_u32 s15, s5
	s_cselect_b32 s5, -1, 0
	s_add_i32 s6, s8, s33
	s_delay_alu instid0(VALU_DEP_1) | instskip(SKIP_4) | instid1(VALU_DEP_1)
	s_or_b32 s3, s5, s3
	s_add_i32 s6, s6, s34
	s_and_b32 vcc_lo, exec_lo, s3
	v_add_nc_u32_e32 v1, s6, v0
	s_mov_b32 s5, -1
	v_add_nc_u32_e32 v2, 0x100, v1
	v_add_nc_u32_e32 v3, 0x200, v1
	;; [unrolled: 1-line block ×12, first 2 shown]
	s_cbranch_vccz .LBB1991_2
; %bb.1:
	v_lshlrev_b32_e32 v14, 2, v0
	s_mov_b32 s5, 0
	ds_store_2addr_stride64_b32 v14, v1, v2 offset1:4
	ds_store_2addr_stride64_b32 v14, v3, v4 offset0:8 offset1:12
	ds_store_2addr_stride64_b32 v14, v5, v6 offset0:16 offset1:20
	;; [unrolled: 1-line block ×5, first 2 shown]
	ds_store_b32 v14, v13 offset:12288
	s_waitcnt lgkmcnt(0)
	s_barrier
.LBB1991_2:
	s_and_not1_b32 vcc_lo, exec_lo, s5
	s_add_i32 s4, s4, s34
	s_cbranch_vccnz .LBB1991_4
; %bb.3:
	v_lshlrev_b32_e32 v14, 2, v0
	ds_store_2addr_stride64_b32 v14, v1, v2 offset1:4
	ds_store_2addr_stride64_b32 v14, v3, v4 offset0:8 offset1:12
	ds_store_2addr_stride64_b32 v14, v5, v6 offset0:16 offset1:20
	;; [unrolled: 1-line block ×5, first 2 shown]
	ds_store_b32 v14, v13 offset:12288
	s_waitcnt lgkmcnt(0)
	s_barrier
.LBB1991_4:
	v_mul_u32_u24_e32 v28, 13, v0
	s_clause 0x1
	s_load_b128 s[36:39], s[0:1], 0x28
	s_load_b64 s[26:27], s[0:1], 0x38
	s_waitcnt lgkmcnt(0)
	buffer_gl0_inv
	v_cndmask_b32_e64 v26, 0, 1, s3
	s_sub_i32 s44, s2, s4
	v_lshlrev_b32_e32 v1, 2, v28
	s_and_not1_b32 vcc_lo, exec_lo, s3
	ds_load_2addr_b32 v[16:17], v1 offset1:1
	ds_load_2addr_b32 v[14:15], v1 offset0:2 offset1:3
	ds_load_2addr_b32 v[12:13], v1 offset0:4 offset1:5
	;; [unrolled: 1-line block ×5, first 2 shown]
	ds_load_b32 v27, v1 offset:48
	s_waitcnt lgkmcnt(0)
	s_barrier
	buffer_gl0_inv
	s_cbranch_vccnz .LBB1991_32
; %bb.5:
	v_add_nc_u32_e32 v1, s17, v16
	v_add_nc_u32_e32 v2, s19, v16
	s_mov_b32 s46, 0
	s_mov_b32 s45, 0
	s_mov_b32 s3, exec_lo
	v_mul_lo_u32 v1, v1, s16
	v_mul_lo_u32 v2, v2, s18
	s_delay_alu instid0(VALU_DEP_1) | instskip(NEXT) | instid1(VALU_DEP_1)
	v_sub_nc_u32_e32 v1, v1, v2
	v_cmp_lt_u32_e32 vcc_lo, s20, v1
	v_cmpx_ge_u32_e64 s20, v1
; %bb.6:
	v_add_nc_u32_e32 v1, s22, v16
	v_add_nc_u32_e32 v2, s40, v16
	s_delay_alu instid0(VALU_DEP_2) | instskip(NEXT) | instid1(VALU_DEP_2)
	v_mul_lo_u32 v1, v1, s21
	v_mul_lo_u32 v2, v2, s23
	s_delay_alu instid0(VALU_DEP_1) | instskip(NEXT) | instid1(VALU_DEP_1)
	v_sub_nc_u32_e32 v1, v1, v2
	v_cmp_lt_u32_e64 s2, s41, v1
	s_delay_alu instid0(VALU_DEP_1)
	s_and_b32 s45, s2, exec_lo
; %bb.7:
	s_or_b32 exec_lo, exec_lo, s3
	v_add_nc_u32_e32 v1, s17, v17
	v_add_nc_u32_e32 v2, s19, v17
	s_mov_b32 s4, exec_lo
	s_delay_alu instid0(VALU_DEP_2) | instskip(NEXT) | instid1(VALU_DEP_2)
	v_mul_lo_u32 v1, v1, s16
	v_mul_lo_u32 v2, v2, s18
	s_delay_alu instid0(VALU_DEP_1) | instskip(NEXT) | instid1(VALU_DEP_1)
	v_sub_nc_u32_e32 v1, v1, v2
	v_cmp_lt_u32_e64 s2, s20, v1
	v_cmpx_ge_u32_e64 s20, v1
; %bb.8:
	v_add_nc_u32_e32 v1, s22, v17
	v_add_nc_u32_e32 v2, s40, v17
	s_delay_alu instid0(VALU_DEP_2) | instskip(NEXT) | instid1(VALU_DEP_2)
	v_mul_lo_u32 v1, v1, s21
	v_mul_lo_u32 v2, v2, s23
	s_delay_alu instid0(VALU_DEP_1) | instskip(NEXT) | instid1(VALU_DEP_1)
	v_sub_nc_u32_e32 v1, v1, v2
	v_cmp_lt_u32_e64 s3, s41, v1
	s_delay_alu instid0(VALU_DEP_1)
	s_and_b32 s46, s3, exec_lo
; %bb.9:
	s_or_b32 exec_lo, exec_lo, s4
	v_add_nc_u32_e32 v1, s17, v14
	v_add_nc_u32_e32 v2, s19, v14
	s_mov_b32 s48, 0
	s_mov_b32 s47, 0
	s_mov_b32 s5, exec_lo
	v_mul_lo_u32 v1, v1, s16
	v_mul_lo_u32 v2, v2, s18
	s_delay_alu instid0(VALU_DEP_1) | instskip(NEXT) | instid1(VALU_DEP_1)
	v_sub_nc_u32_e32 v1, v1, v2
	v_cmp_lt_u32_e64 s3, s20, v1
	v_cmpx_ge_u32_e64 s20, v1
; %bb.10:
	v_add_nc_u32_e32 v1, s22, v14
	v_add_nc_u32_e32 v2, s40, v14
	s_delay_alu instid0(VALU_DEP_2) | instskip(NEXT) | instid1(VALU_DEP_2)
	v_mul_lo_u32 v1, v1, s21
	v_mul_lo_u32 v2, v2, s23
	s_delay_alu instid0(VALU_DEP_1) | instskip(NEXT) | instid1(VALU_DEP_1)
	v_sub_nc_u32_e32 v1, v1, v2
	v_cmp_lt_u32_e64 s4, s41, v1
	s_delay_alu instid0(VALU_DEP_1)
	s_and_b32 s47, s4, exec_lo
; %bb.11:
	s_or_b32 exec_lo, exec_lo, s5
	v_add_nc_u32_e32 v1, s17, v15
	v_add_nc_u32_e32 v2, s19, v15
	s_mov_b32 s6, exec_lo
	s_delay_alu instid0(VALU_DEP_2) | instskip(NEXT) | instid1(VALU_DEP_2)
	v_mul_lo_u32 v1, v1, s16
	v_mul_lo_u32 v2, v2, s18
	s_delay_alu instid0(VALU_DEP_1) | instskip(NEXT) | instid1(VALU_DEP_1)
	v_sub_nc_u32_e32 v1, v1, v2
	v_cmp_lt_u32_e64 s4, s20, v1
	v_cmpx_ge_u32_e64 s20, v1
; %bb.12:
	v_add_nc_u32_e32 v1, s22, v15
	v_add_nc_u32_e32 v2, s40, v15
	s_delay_alu instid0(VALU_DEP_2) | instskip(NEXT) | instid1(VALU_DEP_2)
	v_mul_lo_u32 v1, v1, s21
	v_mul_lo_u32 v2, v2, s23
	s_delay_alu instid0(VALU_DEP_1) | instskip(NEXT) | instid1(VALU_DEP_1)
	v_sub_nc_u32_e32 v1, v1, v2
	v_cmp_lt_u32_e64 s5, s41, v1
	s_delay_alu instid0(VALU_DEP_1)
	s_and_b32 s48, s5, exec_lo
; %bb.13:
	s_or_b32 exec_lo, exec_lo, s6
	v_add_nc_u32_e32 v1, s17, v12
	v_add_nc_u32_e32 v2, s19, v12
	s_mov_b32 s50, 0
	s_mov_b32 s49, 0
	s_mov_b32 s7, exec_lo
	v_mul_lo_u32 v1, v1, s16
	v_mul_lo_u32 v2, v2, s18
	s_delay_alu instid0(VALU_DEP_1) | instskip(NEXT) | instid1(VALU_DEP_1)
	v_sub_nc_u32_e32 v1, v1, v2
	v_cmp_lt_u32_e64 s5, s20, v1
	;; [unrolled: 47-line block ×5, first 2 shown]
	v_cmpx_ge_u32_e64 s20, v1
; %bb.26:
	v_add_nc_u32_e32 v1, s22, v6
	v_add_nc_u32_e32 v2, s40, v6
	s_delay_alu instid0(VALU_DEP_2) | instskip(NEXT) | instid1(VALU_DEP_2)
	v_mul_lo_u32 v1, v1, s21
	v_mul_lo_u32 v2, v2, s23
	s_delay_alu instid0(VALU_DEP_1) | instskip(NEXT) | instid1(VALU_DEP_1)
	v_sub_nc_u32_e32 v1, v1, v2
	v_cmp_lt_u32_e64 s12, s41, v1
	s_delay_alu instid0(VALU_DEP_1)
	s_and_b32 s57, s12, exec_lo
; %bb.27:
	s_or_b32 exec_lo, exec_lo, s13
	v_add_nc_u32_e32 v1, s17, v7
	v_add_nc_u32_e32 v2, s19, v7
	s_mov_b32 s42, exec_lo
	s_delay_alu instid0(VALU_DEP_2) | instskip(NEXT) | instid1(VALU_DEP_2)
	v_mul_lo_u32 v1, v1, s16
	v_mul_lo_u32 v2, v2, s18
	s_delay_alu instid0(VALU_DEP_1) | instskip(NEXT) | instid1(VALU_DEP_1)
	v_sub_nc_u32_e32 v1, v1, v2
	v_cmp_lt_u32_e64 s12, s20, v1
	v_cmpx_ge_u32_e64 s20, v1
; %bb.28:
	v_add_nc_u32_e32 v1, s22, v7
	v_add_nc_u32_e32 v2, s40, v7
	s_delay_alu instid0(VALU_DEP_2) | instskip(NEXT) | instid1(VALU_DEP_2)
	v_mul_lo_u32 v1, v1, s21
	v_mul_lo_u32 v2, v2, s23
	s_delay_alu instid0(VALU_DEP_1) | instskip(NEXT) | instid1(VALU_DEP_1)
	v_sub_nc_u32_e32 v1, v1, v2
	v_cmp_lt_u32_e64 s13, s41, v1
	s_delay_alu instid0(VALU_DEP_1)
	s_and_b32 s56, s13, exec_lo
; %bb.29:
	s_or_b32 exec_lo, exec_lo, s42
	v_add_nc_u32_e32 v1, s17, v27
	v_add_nc_u32_e32 v2, s19, v27
	s_mov_b32 s42, -1
	s_mov_b32 s53, 0
	s_mov_b32 s43, 0
	v_mul_lo_u32 v1, v1, s16
	v_mul_lo_u32 v2, v2, s18
	s_mov_b32 s58, exec_lo
	s_delay_alu instid0(VALU_DEP_1) | instskip(NEXT) | instid1(VALU_DEP_1)
	v_sub_nc_u32_e32 v1, v1, v2
	v_cmpx_ge_u32_e64 s20, v1
; %bb.30:
	v_add_nc_u32_e32 v1, s22, v27
	v_add_nc_u32_e32 v2, s40, v27
	s_xor_b32 s42, exec_lo, -1
	s_delay_alu instid0(VALU_DEP_2) | instskip(NEXT) | instid1(VALU_DEP_2)
	v_mul_lo_u32 v1, v1, s21
	v_mul_lo_u32 v2, v2, s23
	s_delay_alu instid0(VALU_DEP_1) | instskip(NEXT) | instid1(VALU_DEP_1)
	v_sub_nc_u32_e32 v1, v1, v2
	v_cmp_lt_u32_e64 s13, s41, v1
	s_delay_alu instid0(VALU_DEP_1)
	s_and_b32 s43, s13, exec_lo
; %bb.31:
	s_or_b32 exec_lo, exec_lo, s58
	v_cndmask_b32_e64 v48, 0, 1, s57
	v_cndmask_b32_e64 v51, 0, 1, s12
	;; [unrolled: 1-line block ×22, first 2 shown]
	v_cndmask_b32_e64 v29, 0, 1, vcc_lo
	v_cndmask_b32_e64 v52, 0, 1, s56
	s_load_b64 s[4:5], s[0:1], 0x78
	s_and_b32 vcc_lo, exec_lo, s53
	s_add_i32 s3, s44, 0xd00
	s_cbranch_vccnz .LBB1991_33
	s_branch .LBB1991_86
.LBB1991_32:
                                        ; implicit-def: $sgpr42
                                        ; implicit-def: $sgpr43
                                        ; implicit-def: $vgpr52
                                        ; implicit-def: $vgpr48
                                        ; implicit-def: $vgpr47
                                        ; implicit-def: $vgpr45
                                        ; implicit-def: $vgpr43
                                        ; implicit-def: $vgpr40
                                        ; implicit-def: $vgpr39
                                        ; implicit-def: $vgpr37
                                        ; implicit-def: $vgpr35
                                        ; implicit-def: $vgpr29
                                        ; implicit-def: $vgpr33
                                        ; implicit-def: $vgpr31
                                        ; implicit-def: $vgpr32
                                        ; implicit-def: $vgpr38
                                        ; implicit-def: $vgpr41
                                        ; implicit-def: $vgpr42
                                        ; implicit-def: $vgpr44
                                        ; implicit-def: $vgpr46
                                        ; implicit-def: $vgpr49
                                        ; implicit-def: $vgpr50
                                        ; implicit-def: $vgpr51
                                        ; implicit-def: $vgpr30
                                        ; implicit-def: $vgpr34
                                        ; implicit-def: $vgpr36
	s_load_b64 s[4:5], s[0:1], 0x78
	s_add_i32 s3, s44, 0xd00
	s_cbranch_execz .LBB1991_86
.LBB1991_33:
	v_dual_mov_b32 v30, 0 :: v_dual_mov_b32 v29, 0
	s_mov_b32 s2, 0
	s_mov_b32 s1, exec_lo
	v_cmpx_gt_u32_e64 s3, v28
	s_cbranch_execz .LBB1991_37
; %bb.34:
	v_add_nc_u32_e32 v1, s17, v16
	v_add_nc_u32_e32 v2, s19, v16
	s_mov_b32 s6, exec_lo
	s_delay_alu instid0(VALU_DEP_2) | instskip(NEXT) | instid1(VALU_DEP_2)
	v_mul_lo_u32 v1, v1, s16
	v_mul_lo_u32 v2, v2, s18
	s_delay_alu instid0(VALU_DEP_1) | instskip(NEXT) | instid1(VALU_DEP_1)
	v_sub_nc_u32_e32 v1, v1, v2
	v_cmp_lt_u32_e32 vcc_lo, s20, v1
	v_cmpx_ge_u32_e64 s20, v1
; %bb.35:
	v_add_nc_u32_e32 v1, s22, v16
	v_add_nc_u32_e32 v2, s40, v16
	s_delay_alu instid0(VALU_DEP_2) | instskip(NEXT) | instid1(VALU_DEP_2)
	v_mul_lo_u32 v1, v1, s21
	v_mul_lo_u32 v2, v2, s23
	s_delay_alu instid0(VALU_DEP_1) | instskip(NEXT) | instid1(VALU_DEP_1)
	v_sub_nc_u32_e32 v1, v1, v2
	v_cmp_lt_u32_e64 s0, s41, v1
	s_delay_alu instid0(VALU_DEP_1)
	s_and_b32 s2, s0, exec_lo
; %bb.36:
	s_or_b32 exec_lo, exec_lo, s6
	v_cndmask_b32_e64 v29, 0, 1, vcc_lo
	v_cndmask_b32_e64 v30, 0, 1, s2
.LBB1991_37:
	s_or_b32 exec_lo, exec_lo, s1
	v_dual_mov_b32 v34, 0 :: v_dual_add_nc_u32 v1, 1, v28
	v_mov_b32_e32 v33, 0
	s_mov_b32 s2, 0
	s_mov_b32 s1, exec_lo
	s_delay_alu instid0(VALU_DEP_2)
	v_cmpx_gt_u32_e64 s3, v1
	s_cbranch_execz .LBB1991_41
; %bb.38:
	v_add_nc_u32_e32 v1, s17, v17
	v_add_nc_u32_e32 v2, s19, v17
	s_mov_b32 s6, exec_lo
	s_delay_alu instid0(VALU_DEP_2) | instskip(NEXT) | instid1(VALU_DEP_2)
	v_mul_lo_u32 v1, v1, s16
	v_mul_lo_u32 v2, v2, s18
	s_delay_alu instid0(VALU_DEP_1) | instskip(NEXT) | instid1(VALU_DEP_1)
	v_sub_nc_u32_e32 v1, v1, v2
	v_cmp_lt_u32_e32 vcc_lo, s20, v1
	v_cmpx_ge_u32_e64 s20, v1
; %bb.39:
	v_add_nc_u32_e32 v1, s22, v17
	v_add_nc_u32_e32 v2, s40, v17
	s_delay_alu instid0(VALU_DEP_2) | instskip(NEXT) | instid1(VALU_DEP_2)
	v_mul_lo_u32 v1, v1, s21
	v_mul_lo_u32 v2, v2, s23
	s_delay_alu instid0(VALU_DEP_1) | instskip(NEXT) | instid1(VALU_DEP_1)
	v_sub_nc_u32_e32 v1, v1, v2
	v_cmp_lt_u32_e64 s0, s41, v1
	s_delay_alu instid0(VALU_DEP_1)
	s_and_b32 s2, s0, exec_lo
; %bb.40:
	s_or_b32 exec_lo, exec_lo, s6
	v_cndmask_b32_e64 v33, 0, 1, vcc_lo
	v_cndmask_b32_e64 v34, 0, 1, s2
.LBB1991_41:
	s_or_b32 exec_lo, exec_lo, s1
	v_dual_mov_b32 v36, 0 :: v_dual_add_nc_u32 v1, 2, v28
	v_mov_b32_e32 v31, 0
	s_mov_b32 s2, 0
	s_mov_b32 s1, exec_lo
	s_delay_alu instid0(VALU_DEP_2)
	;; [unrolled: 35-line block ×4, first 2 shown]
	v_cmpx_gt_u32_e64 s3, v1
	s_cbranch_execz .LBB1991_53
; %bb.50:
	v_add_nc_u32_e32 v1, s17, v12
	v_add_nc_u32_e32 v2, s19, v12
	s_mov_b32 s6, exec_lo
	s_delay_alu instid0(VALU_DEP_2) | instskip(NEXT) | instid1(VALU_DEP_2)
	v_mul_lo_u32 v1, v1, s16
	v_mul_lo_u32 v2, v2, s18
	s_delay_alu instid0(VALU_DEP_1) | instskip(NEXT) | instid1(VALU_DEP_1)
	v_sub_nc_u32_e32 v1, v1, v2
	v_cmp_lt_u32_e32 vcc_lo, s20, v1
	v_cmpx_ge_u32_e64 s20, v1
; %bb.51:
	v_add_nc_u32_e32 v1, s22, v12
	v_add_nc_u32_e32 v2, s40, v12
	s_delay_alu instid0(VALU_DEP_2) | instskip(NEXT) | instid1(VALU_DEP_2)
	v_mul_lo_u32 v1, v1, s21
	v_mul_lo_u32 v2, v2, s23
	s_delay_alu instid0(VALU_DEP_1) | instskip(NEXT) | instid1(VALU_DEP_1)
	v_sub_nc_u32_e32 v1, v1, v2
	v_cmp_lt_u32_e64 s0, s41, v1
	s_delay_alu instid0(VALU_DEP_1)
	s_and_b32 s2, s0, exec_lo
; %bb.52:
	s_or_b32 exec_lo, exec_lo, s6
	v_cndmask_b32_e64 v38, 0, 1, vcc_lo
	v_cndmask_b32_e64 v37, 0, 1, s2
.LBB1991_53:
	s_or_b32 exec_lo, exec_lo, s1
	v_add_nc_u32_e32 v1, 5, v28
	v_mov_b32_e32 v39, 0
	v_mov_b32_e32 v41, 0
	s_mov_b32 s2, 0
	s_mov_b32 s1, exec_lo
	v_cmpx_gt_u32_e64 s3, v1
	s_cbranch_execz .LBB1991_57
; %bb.54:
	v_add_nc_u32_e32 v1, s17, v13
	v_add_nc_u32_e32 v2, s19, v13
	s_mov_b32 s6, exec_lo
	s_delay_alu instid0(VALU_DEP_2) | instskip(NEXT) | instid1(VALU_DEP_2)
	v_mul_lo_u32 v1, v1, s16
	v_mul_lo_u32 v2, v2, s18
	s_delay_alu instid0(VALU_DEP_1) | instskip(NEXT) | instid1(VALU_DEP_1)
	v_sub_nc_u32_e32 v1, v1, v2
	v_cmp_lt_u32_e32 vcc_lo, s20, v1
	v_cmpx_ge_u32_e64 s20, v1
; %bb.55:
	v_add_nc_u32_e32 v1, s22, v13
	v_add_nc_u32_e32 v2, s40, v13
	s_delay_alu instid0(VALU_DEP_2) | instskip(NEXT) | instid1(VALU_DEP_2)
	v_mul_lo_u32 v1, v1, s21
	v_mul_lo_u32 v2, v2, s23
	s_delay_alu instid0(VALU_DEP_1) | instskip(NEXT) | instid1(VALU_DEP_1)
	v_sub_nc_u32_e32 v1, v1, v2
	v_cmp_lt_u32_e64 s0, s41, v1
	s_delay_alu instid0(VALU_DEP_1)
	s_and_b32 s2, s0, exec_lo
; %bb.56:
	s_or_b32 exec_lo, exec_lo, s6
	v_cndmask_b32_e64 v41, 0, 1, vcc_lo
	v_cndmask_b32_e64 v39, 0, 1, s2
.LBB1991_57:
	s_or_b32 exec_lo, exec_lo, s1
	v_dual_mov_b32 v40, 0 :: v_dual_add_nc_u32 v1, 6, v28
	v_mov_b32_e32 v42, 0
	s_mov_b32 s2, 0
	s_mov_b32 s1, exec_lo
	s_delay_alu instid0(VALU_DEP_2)
	v_cmpx_gt_u32_e64 s3, v1
	s_cbranch_execz .LBB1991_61
; %bb.58:
	v_add_nc_u32_e32 v1, s17, v10
	v_add_nc_u32_e32 v2, s19, v10
	s_mov_b32 s6, exec_lo
	s_delay_alu instid0(VALU_DEP_2) | instskip(NEXT) | instid1(VALU_DEP_2)
	v_mul_lo_u32 v1, v1, s16
	v_mul_lo_u32 v2, v2, s18
	s_delay_alu instid0(VALU_DEP_1) | instskip(NEXT) | instid1(VALU_DEP_1)
	v_sub_nc_u32_e32 v1, v1, v2
	v_cmp_lt_u32_e32 vcc_lo, s20, v1
	v_cmpx_ge_u32_e64 s20, v1
; %bb.59:
	v_add_nc_u32_e32 v1, s22, v10
	v_add_nc_u32_e32 v2, s40, v10
	s_delay_alu instid0(VALU_DEP_2) | instskip(NEXT) | instid1(VALU_DEP_2)
	v_mul_lo_u32 v1, v1, s21
	v_mul_lo_u32 v2, v2, s23
	s_delay_alu instid0(VALU_DEP_1) | instskip(NEXT) | instid1(VALU_DEP_1)
	v_sub_nc_u32_e32 v1, v1, v2
	v_cmp_lt_u32_e64 s0, s41, v1
	s_delay_alu instid0(VALU_DEP_1)
	s_and_b32 s2, s0, exec_lo
; %bb.60:
	s_or_b32 exec_lo, exec_lo, s6
	v_cndmask_b32_e64 v42, 0, 1, vcc_lo
	v_cndmask_b32_e64 v40, 0, 1, s2
.LBB1991_61:
	s_or_b32 exec_lo, exec_lo, s1
	v_dual_mov_b32 v44, 0 :: v_dual_add_nc_u32 v1, 7, v28
	v_mov_b32_e32 v43, 0
	s_mov_b32 s2, 0
	s_mov_b32 s1, exec_lo
	s_delay_alu instid0(VALU_DEP_2)
	;; [unrolled: 35-line block ×3, first 2 shown]
	v_cmpx_gt_u32_e64 s3, v1
	s_cbranch_execz .LBB1991_69
; %bb.66:
	v_add_nc_u32_e32 v1, s17, v8
	v_add_nc_u32_e32 v2, s19, v8
	s_mov_b32 s6, exec_lo
	s_delay_alu instid0(VALU_DEP_2) | instskip(NEXT) | instid1(VALU_DEP_2)
	v_mul_lo_u32 v1, v1, s16
	v_mul_lo_u32 v2, v2, s18
	s_delay_alu instid0(VALU_DEP_1) | instskip(NEXT) | instid1(VALU_DEP_1)
	v_sub_nc_u32_e32 v1, v1, v2
	v_cmp_lt_u32_e32 vcc_lo, s20, v1
	v_cmpx_ge_u32_e64 s20, v1
; %bb.67:
	v_add_nc_u32_e32 v1, s22, v8
	v_add_nc_u32_e32 v2, s40, v8
	s_delay_alu instid0(VALU_DEP_2) | instskip(NEXT) | instid1(VALU_DEP_2)
	v_mul_lo_u32 v1, v1, s21
	v_mul_lo_u32 v2, v2, s23
	s_delay_alu instid0(VALU_DEP_1) | instskip(NEXT) | instid1(VALU_DEP_1)
	v_sub_nc_u32_e32 v1, v1, v2
	v_cmp_lt_u32_e64 s0, s41, v1
	s_delay_alu instid0(VALU_DEP_1)
	s_and_b32 s2, s0, exec_lo
; %bb.68:
	s_or_b32 exec_lo, exec_lo, s6
	v_cndmask_b32_e64 v46, 0, 1, vcc_lo
	v_cndmask_b32_e64 v45, 0, 1, s2
.LBB1991_69:
	s_or_b32 exec_lo, exec_lo, s1
	v_add_nc_u32_e32 v1, 9, v28
	v_mov_b32_e32 v47, 0
	v_mov_b32_e32 v49, 0
	s_mov_b32 s2, 0
	s_mov_b32 s1, exec_lo
	v_cmpx_gt_u32_e64 s3, v1
	s_cbranch_execz .LBB1991_73
; %bb.70:
	v_add_nc_u32_e32 v1, s17, v9
	v_add_nc_u32_e32 v2, s19, v9
	s_mov_b32 s6, exec_lo
	s_delay_alu instid0(VALU_DEP_2) | instskip(NEXT) | instid1(VALU_DEP_2)
	v_mul_lo_u32 v1, v1, s16
	v_mul_lo_u32 v2, v2, s18
	s_delay_alu instid0(VALU_DEP_1) | instskip(NEXT) | instid1(VALU_DEP_1)
	v_sub_nc_u32_e32 v1, v1, v2
	v_cmp_lt_u32_e32 vcc_lo, s20, v1
	v_cmpx_ge_u32_e64 s20, v1
; %bb.71:
	v_add_nc_u32_e32 v1, s22, v9
	v_add_nc_u32_e32 v2, s40, v9
	s_delay_alu instid0(VALU_DEP_2) | instskip(NEXT) | instid1(VALU_DEP_2)
	v_mul_lo_u32 v1, v1, s21
	v_mul_lo_u32 v2, v2, s23
	s_delay_alu instid0(VALU_DEP_1) | instskip(NEXT) | instid1(VALU_DEP_1)
	v_sub_nc_u32_e32 v1, v1, v2
	v_cmp_lt_u32_e64 s0, s41, v1
	s_delay_alu instid0(VALU_DEP_1)
	s_and_b32 s2, s0, exec_lo
; %bb.72:
	s_or_b32 exec_lo, exec_lo, s6
	v_cndmask_b32_e64 v49, 0, 1, vcc_lo
	v_cndmask_b32_e64 v47, 0, 1, s2
.LBB1991_73:
	s_or_b32 exec_lo, exec_lo, s1
	v_dual_mov_b32 v48, 0 :: v_dual_add_nc_u32 v1, 10, v28
	v_mov_b32_e32 v50, 0
	s_mov_b32 s2, 0
	s_mov_b32 s1, exec_lo
	s_delay_alu instid0(VALU_DEP_2)
	v_cmpx_gt_u32_e64 s3, v1
	s_cbranch_execz .LBB1991_77
; %bb.74:
	v_add_nc_u32_e32 v1, s17, v6
	v_add_nc_u32_e32 v2, s19, v6
	s_mov_b32 s6, exec_lo
	s_delay_alu instid0(VALU_DEP_2) | instskip(NEXT) | instid1(VALU_DEP_2)
	v_mul_lo_u32 v1, v1, s16
	v_mul_lo_u32 v2, v2, s18
	s_delay_alu instid0(VALU_DEP_1) | instskip(NEXT) | instid1(VALU_DEP_1)
	v_sub_nc_u32_e32 v1, v1, v2
	v_cmp_lt_u32_e32 vcc_lo, s20, v1
	v_cmpx_ge_u32_e64 s20, v1
; %bb.75:
	v_add_nc_u32_e32 v1, s22, v6
	v_add_nc_u32_e32 v2, s40, v6
	s_delay_alu instid0(VALU_DEP_2) | instskip(NEXT) | instid1(VALU_DEP_2)
	v_mul_lo_u32 v1, v1, s21
	v_mul_lo_u32 v2, v2, s23
	s_delay_alu instid0(VALU_DEP_1) | instskip(NEXT) | instid1(VALU_DEP_1)
	v_sub_nc_u32_e32 v1, v1, v2
	v_cmp_lt_u32_e64 s0, s41, v1
	s_delay_alu instid0(VALU_DEP_1)
	s_and_b32 s2, s0, exec_lo
; %bb.76:
	s_or_b32 exec_lo, exec_lo, s6
	v_cndmask_b32_e64 v50, 0, 1, vcc_lo
	v_cndmask_b32_e64 v48, 0, 1, s2
.LBB1991_77:
	s_or_b32 exec_lo, exec_lo, s1
	v_dual_mov_b32 v52, 0 :: v_dual_add_nc_u32 v1, 11, v28
	v_mov_b32_e32 v51, 0
	s_mov_b32 s2, 0
	s_mov_b32 s1, exec_lo
	s_delay_alu instid0(VALU_DEP_2)
	v_cmpx_gt_u32_e64 s3, v1
	s_cbranch_execz .LBB1991_81
; %bb.78:
	v_add_nc_u32_e32 v1, s17, v7
	v_add_nc_u32_e32 v2, s19, v7
	s_mov_b32 s6, exec_lo
	s_delay_alu instid0(VALU_DEP_2) | instskip(NEXT) | instid1(VALU_DEP_2)
	v_mul_lo_u32 v1, v1, s16
	v_mul_lo_u32 v2, v2, s18
	s_delay_alu instid0(VALU_DEP_1) | instskip(NEXT) | instid1(VALU_DEP_1)
	v_sub_nc_u32_e32 v1, v1, v2
	v_cmp_lt_u32_e32 vcc_lo, s20, v1
	v_cmpx_ge_u32_e64 s20, v1
; %bb.79:
	v_add_nc_u32_e32 v1, s22, v7
	v_add_nc_u32_e32 v2, s40, v7
	s_delay_alu instid0(VALU_DEP_2) | instskip(NEXT) | instid1(VALU_DEP_2)
	v_mul_lo_u32 v1, v1, s21
	v_mul_lo_u32 v2, v2, s23
	s_delay_alu instid0(VALU_DEP_1) | instskip(NEXT) | instid1(VALU_DEP_1)
	v_sub_nc_u32_e32 v1, v1, v2
	v_cmp_lt_u32_e64 s0, s41, v1
	s_delay_alu instid0(VALU_DEP_1)
	s_and_b32 s2, s0, exec_lo
; %bb.80:
	s_or_b32 exec_lo, exec_lo, s6
	v_cndmask_b32_e64 v51, 0, 1, vcc_lo
	v_cndmask_b32_e64 v52, 0, 1, s2
.LBB1991_81:
	s_or_b32 exec_lo, exec_lo, s1
	v_add_nc_u32_e32 v1, 12, v28
	s_mov_b32 s42, 0
	s_mov_b32 s43, 0
	s_mov_b32 s0, exec_lo
	s_delay_alu instid0(VALU_DEP_1)
	v_cmpx_gt_u32_e64 s3, v1
	s_cbranch_execz .LBB1991_85
; %bb.82:
	v_add_nc_u32_e32 v1, s17, v27
	v_add_nc_u32_e32 v2, s19, v27
	s_mov_b32 s2, -1
	s_mov_b32 s6, 0
	s_mov_b32 s1, exec_lo
	v_mul_lo_u32 v1, v1, s16
	v_mul_lo_u32 v2, v2, s18
	s_delay_alu instid0(VALU_DEP_1) | instskip(NEXT) | instid1(VALU_DEP_1)
	v_sub_nc_u32_e32 v1, v1, v2
	v_cmpx_ge_u32_e64 s20, v1
; %bb.83:
	v_add_nc_u32_e32 v1, s22, v27
	v_add_nc_u32_e32 v2, s40, v27
	s_xor_b32 s2, exec_lo, -1
	s_delay_alu instid0(VALU_DEP_2) | instskip(NEXT) | instid1(VALU_DEP_2)
	v_mul_lo_u32 v1, v1, s21
	v_mul_lo_u32 v2, v2, s23
	s_delay_alu instid0(VALU_DEP_1) | instskip(NEXT) | instid1(VALU_DEP_1)
	v_sub_nc_u32_e32 v1, v1, v2
	v_cmp_lt_u32_e32 vcc_lo, s41, v1
	s_and_b32 s6, vcc_lo, exec_lo
; %bb.84:
	s_or_b32 exec_lo, exec_lo, s1
	s_delay_alu instid0(SALU_CYCLE_1)
	s_and_b32 s43, s6, exec_lo
	s_and_b32 s42, s2, exec_lo
.LBB1991_85:
	s_or_b32 exec_lo, exec_lo, s0
.LBB1991_86:
	v_and_b32_e32 v75, 0xff, v29
	v_and_b32_e32 v76, 0xff, v30
	;; [unrolled: 1-line block ×10, first 2 shown]
	v_add3_u32 v1, v71, v73, v75
	v_add3_u32 v2, v72, v74, v76
	v_and_b32_e32 v65, 0xff, v41
	v_and_b32_e32 v66, 0xff, v39
	v_and_b32_e32 v61, 0xff, v42
	v_and_b32_e32 v62, 0xff, v40
	v_add3_u32 v1, v1, v69, v67
	v_add3_u32 v2, v2, v70, v68
	v_and_b32_e32 v63, 0xff, v44
	v_and_b32_e32 v64, 0xff, v43
	v_and_b32_e32 v59, 0xff, v46
	v_and_b32_e32 v60, 0xff, v45
	;; [unrolled: 6-line block ×3, first 2 shown]
	v_add3_u32 v1, v1, v63, v59
	v_add3_u32 v2, v2, v64, v60
	v_mbcnt_lo_u32_b32 v77, -1, 0
	v_and_b32_e32 v53, 0xff, v51
	v_and_b32_e32 v54, 0xff, v52
	v_cndmask_b32_e64 v3, 0, 1, s43
	v_add3_u32 v1, v1, v57, v55
	v_cndmask_b32_e64 v4, 0, 1, s42
	v_add3_u32 v2, v2, v58, v56
	v_and_b32_e32 v81, 15, v77
	v_and_b32_e32 v80, 16, v77
	v_lshrrev_b32_e32 v78, 5, v0
	v_add3_u32 v82, v1, v53, v4
	v_add3_u32 v83, v2, v54, v3
	v_cmp_eq_u32_e64 s1, 0, v81
	v_cmp_lt_u32_e64 s0, 1, v81
	v_cmp_lt_u32_e64 s2, 3, v81
	v_cmp_lt_u32_e32 vcc_lo, 7, v81
	v_or_b32_e32 v79, 31, v0
	s_cmp_lg_u32 s15, 0
	s_mov_b32 s6, -1
	s_cbranch_scc0 .LBB1991_114
; %bb.87:
	v_mov_b32_dpp v1, v83 row_shr:1 row_mask:0xf bank_mask:0xf
	v_mov_b32_dpp v2, v82 row_shr:1 row_mask:0xf bank_mask:0xf
	s_delay_alu instid0(VALU_DEP_2) | instskip(NEXT) | instid1(VALU_DEP_1)
	v_add_nc_u32_e32 v1, v1, v83
	v_cndmask_b32_e64 v1, v1, v83, s1
	s_delay_alu instid0(VALU_DEP_1) | instskip(NEXT) | instid1(VALU_DEP_1)
	v_mov_b32_dpp v3, v1 row_shr:2 row_mask:0xf bank_mask:0xf
	v_add_nc_u32_e32 v3, v1, v3
	s_delay_alu instid0(VALU_DEP_1) | instskip(NEXT) | instid1(VALU_DEP_1)
	v_cndmask_b32_e64 v1, v1, v3, s0
	v_mov_b32_dpp v3, v1 row_shr:4 row_mask:0xf bank_mask:0xf
	s_delay_alu instid0(VALU_DEP_1) | instskip(NEXT) | instid1(VALU_DEP_1)
	v_add_nc_u32_e32 v3, v1, v3
	v_cndmask_b32_e64 v1, v1, v3, s2
	s_delay_alu instid0(VALU_DEP_1) | instskip(NEXT) | instid1(VALU_DEP_1)
	v_mov_b32_dpp v3, v1 row_shr:8 row_mask:0xf bank_mask:0xf
	v_add_nc_u32_e32 v3, v1, v3
	s_delay_alu instid0(VALU_DEP_1) | instskip(NEXT) | instid1(VALU_DEP_1)
	v_dual_cndmask_b32 v1, v1, v3 :: v_dual_add_nc_u32 v2, v2, v82
	v_cndmask_b32_e64 v2, v2, v82, s1
	s_delay_alu instid0(VALU_DEP_1) | instskip(NEXT) | instid1(VALU_DEP_1)
	v_mov_b32_dpp v4, v2 row_shr:2 row_mask:0xf bank_mask:0xf
	v_add_nc_u32_e32 v4, v2, v4
	s_delay_alu instid0(VALU_DEP_1) | instskip(NEXT) | instid1(VALU_DEP_1)
	v_cndmask_b32_e64 v2, v2, v4, s0
	v_mov_b32_dpp v4, v2 row_shr:4 row_mask:0xf bank_mask:0xf
	s_delay_alu instid0(VALU_DEP_1) | instskip(NEXT) | instid1(VALU_DEP_1)
	v_add_nc_u32_e32 v4, v2, v4
	v_cndmask_b32_e64 v2, v2, v4, s2
	s_mov_b32 s2, exec_lo
	s_delay_alu instid0(VALU_DEP_1) | instskip(NEXT) | instid1(VALU_DEP_1)
	v_mov_b32_dpp v4, v2 row_shr:8 row_mask:0xf bank_mask:0xf
	v_add_nc_u32_e32 v4, v2, v4
	s_delay_alu instid0(VALU_DEP_1)
	v_cndmask_b32_e32 v3, v2, v4, vcc_lo
	ds_swizzle_b32 v2, v1 offset:swizzle(BROADCAST,32,15)
	v_cmp_eq_u32_e32 vcc_lo, 0, v80
	s_waitcnt lgkmcnt(0)
	v_add_nc_u32_e32 v2, v1, v2
	ds_swizzle_b32 v4, v3 offset:swizzle(BROADCAST,32,15)
	v_cndmask_b32_e32 v2, v2, v1, vcc_lo
	s_waitcnt lgkmcnt(0)
	v_add_nc_u32_e32 v4, v3, v4
	s_delay_alu instid0(VALU_DEP_1)
	v_cndmask_b32_e32 v1, v4, v3, vcc_lo
	v_cmpx_eq_u32_e64 v79, v0
	s_cbranch_execz .LBB1991_89
; %bb.88:
	v_lshlrev_b32_e32 v3, 3, v78
	ds_store_b64 v3, v[1:2]
.LBB1991_89:
	s_or_b32 exec_lo, exec_lo, s2
	s_delay_alu instid0(SALU_CYCLE_1)
	s_mov_b32 s2, exec_lo
	s_waitcnt lgkmcnt(0)
	s_barrier
	buffer_gl0_inv
	v_cmpx_gt_u32_e32 8, v0
	s_cbranch_execz .LBB1991_91
; %bb.90:
	v_lshlrev_b32_e32 v5, 3, v0
	ds_load_b64 v[3:4], v5
	s_waitcnt lgkmcnt(0)
	v_mov_b32_dpp v18, v3 row_shr:1 row_mask:0xf bank_mask:0xf
	v_mov_b32_dpp v19, v4 row_shr:1 row_mask:0xf bank_mask:0xf
	s_delay_alu instid0(VALU_DEP_2) | instskip(SKIP_1) | instid1(VALU_DEP_3)
	v_add_nc_u32_e32 v18, v18, v3
	v_and_b32_e32 v20, 7, v77
	v_add_nc_u32_e32 v19, v19, v4
	s_delay_alu instid0(VALU_DEP_2) | instskip(NEXT) | instid1(VALU_DEP_2)
	v_cmp_eq_u32_e32 vcc_lo, 0, v20
	v_dual_cndmask_b32 v4, v19, v4 :: v_dual_cndmask_b32 v3, v18, v3
	v_cmp_lt_u32_e32 vcc_lo, 1, v20
	s_delay_alu instid0(VALU_DEP_2) | instskip(NEXT) | instid1(VALU_DEP_3)
	v_mov_b32_dpp v19, v4 row_shr:2 row_mask:0xf bank_mask:0xf
	v_mov_b32_dpp v18, v3 row_shr:2 row_mask:0xf bank_mask:0xf
	s_delay_alu instid0(VALU_DEP_2) | instskip(NEXT) | instid1(VALU_DEP_2)
	v_add_nc_u32_e32 v19, v4, v19
	v_add_nc_u32_e32 v18, v3, v18
	s_delay_alu instid0(VALU_DEP_1) | instskip(SKIP_1) | instid1(VALU_DEP_2)
	v_dual_cndmask_b32 v4, v4, v19 :: v_dual_cndmask_b32 v3, v3, v18
	v_cmp_lt_u32_e32 vcc_lo, 3, v20
	v_mov_b32_dpp v19, v4 row_shr:4 row_mask:0xf bank_mask:0xf
	s_delay_alu instid0(VALU_DEP_3) | instskip(NEXT) | instid1(VALU_DEP_1)
	v_mov_b32_dpp v18, v3 row_shr:4 row_mask:0xf bank_mask:0xf
	v_dual_cndmask_b32 v19, 0, v19 :: v_dual_cndmask_b32 v18, 0, v18
	s_delay_alu instid0(VALU_DEP_1) | instskip(NEXT) | instid1(VALU_DEP_2)
	v_add_nc_u32_e32 v4, v19, v4
	v_add_nc_u32_e32 v3, v18, v3
	ds_store_b64 v5, v[3:4]
.LBB1991_91:
	s_or_b32 exec_lo, exec_lo, s2
	v_cmp_gt_u32_e32 vcc_lo, 32, v0
	v_cmp_lt_u32_e64 s2, 31, v0
	s_waitcnt lgkmcnt(0)
	s_barrier
	buffer_gl0_inv
                                        ; implicit-def: $vgpr19
	s_and_saveexec_b32 s6, s2
	s_delay_alu instid0(SALU_CYCLE_1)
	s_xor_b32 s2, exec_lo, s6
	s_cbranch_execz .LBB1991_93
; %bb.92:
	v_lshl_add_u32 v3, v78, 3, -8
	ds_load_b64 v[18:19], v3
	s_waitcnt lgkmcnt(0)
	v_add_nc_u32_e32 v2, v19, v2
	v_add_nc_u32_e32 v1, v18, v1
.LBB1991_93:
	s_and_not1_saveexec_b32 s2, s2
; %bb.94:
                                        ; implicit-def: $vgpr18
; %bb.95:
	s_delay_alu instid0(SALU_CYCLE_1) | instskip(SKIP_1) | instid1(VALU_DEP_1)
	s_or_b32 exec_lo, exec_lo, s2
	v_add_nc_u32_e32 v3, -1, v77
	v_cmp_gt_i32_e64 s2, 0, v3
	s_delay_alu instid0(VALU_DEP_1) | instskip(SKIP_1) | instid1(VALU_DEP_2)
	v_cndmask_b32_e64 v3, v3, v77, s2
	v_cmp_eq_u32_e64 s2, 0, v77
	v_lshlrev_b32_e32 v3, 2, v3
	ds_bpermute_b32 v84, v3, v1
	ds_bpermute_b32 v85, v3, v2
	s_and_saveexec_b32 s6, vcc_lo
	s_cbranch_execz .LBB1991_113
; %bb.96:
	v_mov_b32_e32 v4, 0
	ds_load_b64 v[1:2], v4 offset:56
	s_waitcnt lgkmcnt(0)
	v_readfirstlane_b32 s7, v2
	s_and_saveexec_b32 s8, s2
	s_cbranch_execz .LBB1991_98
; %bb.97:
	s_add_i32 s10, s15, 32
	s_mov_b32 s11, 0
	v_mov_b32_e32 v3, 1
	s_lshl_b64 s[12:13], s[10:11], 4
	s_mov_b32 s16, s11
	s_add_u32 s12, s4, s12
	s_addc_u32 s13, s5, s13
	s_and_b32 s17, s7, 0xff000000
	s_and_b32 s19, s7, 0xff0000
	s_mov_b32 s18, s11
	v_dual_mov_b32 v21, s13 :: v_dual_mov_b32 v20, s12
	s_or_b64 s[16:17], s[18:19], s[16:17]
	s_and_b32 s19, s7, 0xff00
	s_delay_alu instid0(SALU_CYCLE_1) | instskip(SKIP_1) | instid1(SALU_CYCLE_1)
	s_or_b64 s[16:17], s[16:17], s[18:19]
	s_and_b32 s19, s7, 0xff
	s_or_b64 s[10:11], s[16:17], s[18:19]
	s_delay_alu instid0(SALU_CYCLE_1)
	v_mov_b32_e32 v2, s11
	;;#ASMSTART
	global_store_dwordx4 v[20:21], v[1:4] off	
s_waitcnt vmcnt(0)
	;;#ASMEND
.LBB1991_98:
	s_or_b32 exec_lo, exec_lo, s8
	v_xad_u32 v20, v77, -1, s15
	s_mov_b32 s9, 0
	s_mov_b32 s8, exec_lo
	s_delay_alu instid0(VALU_DEP_1) | instskip(NEXT) | instid1(VALU_DEP_1)
	v_add_nc_u32_e32 v3, 32, v20
	v_lshlrev_b64 v[2:3], 4, v[3:4]
	s_delay_alu instid0(VALU_DEP_1) | instskip(NEXT) | instid1(VALU_DEP_2)
	v_add_co_u32 v21, vcc_lo, s4, v2
	v_add_co_ci_u32_e32 v22, vcc_lo, s5, v3, vcc_lo
	;;#ASMSTART
	global_load_dwordx4 v[2:5], v[21:22] off glc	
s_waitcnt vmcnt(0)
	;;#ASMEND
	v_and_b32_e32 v5, 0xff, v3
	v_and_b32_e32 v23, 0xff00, v3
	v_or3_b32 v2, v2, 0, 0
	v_and_b32_e32 v24, 0xff000000, v3
	v_and_b32_e32 v3, 0xff0000, v3
	s_delay_alu instid0(VALU_DEP_4) | instskip(SKIP_2) | instid1(VALU_DEP_3)
	v_or3_b32 v5, 0, v5, v23
	v_and_b32_e32 v23, 0xff, v4
	v_or3_b32 v2, v2, 0, 0
	v_or3_b32 v3, v5, v3, v24
	s_delay_alu instid0(VALU_DEP_3)
	v_cmpx_eq_u16_e32 0, v23
	s_cbranch_execz .LBB1991_101
.LBB1991_99:                            ; =>This Inner Loop Header: Depth=1
	;;#ASMSTART
	global_load_dwordx4 v[2:5], v[21:22] off glc	
s_waitcnt vmcnt(0)
	;;#ASMEND
	v_and_b32_e32 v5, 0xff, v4
	s_delay_alu instid0(VALU_DEP_1) | instskip(SKIP_1) | instid1(SALU_CYCLE_1)
	v_cmp_ne_u16_e32 vcc_lo, 0, v5
	s_or_b32 s9, vcc_lo, s9
	s_and_not1_b32 exec_lo, exec_lo, s9
	s_cbranch_execnz .LBB1991_99
; %bb.100:
	s_or_b32 exec_lo, exec_lo, s9
.LBB1991_101:
	s_delay_alu instid0(SALU_CYCLE_1)
	s_or_b32 exec_lo, exec_lo, s8
	v_cmp_ne_u32_e32 vcc_lo, 31, v77
	v_lshlrev_b32_e64 v87, v77, -1
	v_add_nc_u32_e32 v91, 4, v77
	v_add_nc_u32_e32 v93, 8, v77
	;; [unrolled: 1-line block ×3, first 2 shown]
	v_add_co_ci_u32_e32 v5, vcc_lo, 0, v77, vcc_lo
	s_delay_alu instid0(VALU_DEP_1)
	v_lshlrev_b32_e32 v86, 2, v5
	ds_bpermute_b32 v21, v86, v3
	ds_bpermute_b32 v5, v86, v2
	s_waitcnt lgkmcnt(1)
	v_add_nc_u32_e32 v21, v21, v3
	v_and_b32_e32 v22, 0xff, v4
	s_waitcnt lgkmcnt(0)
	v_add_nc_u32_e32 v5, v5, v2
	s_delay_alu instid0(VALU_DEP_2) | instskip(SKIP_2) | instid1(VALU_DEP_2)
	v_cmp_eq_u16_e32 vcc_lo, 2, v22
	v_and_or_b32 v22, vcc_lo, v87, 0x80000000
	v_cmp_gt_u32_e32 vcc_lo, 30, v77
	v_ctz_i32_b32_e32 v22, v22
	v_cndmask_b32_e64 v23, 0, 1, vcc_lo
	s_delay_alu instid0(VALU_DEP_2) | instskip(NEXT) | instid1(VALU_DEP_2)
	v_cmp_lt_u32_e32 vcc_lo, v77, v22
	v_dual_cndmask_b32 v2, v2, v5 :: v_dual_lshlrev_b32 v23, 1, v23
	s_delay_alu instid0(VALU_DEP_1)
	v_add_lshl_u32 v88, v23, v77, 2
	v_cndmask_b32_e32 v3, v3, v21, vcc_lo
	v_cmp_gt_u32_e32 vcc_lo, 28, v77
	ds_bpermute_b32 v5, v88, v2
	ds_bpermute_b32 v21, v88, v3
	v_cndmask_b32_e64 v23, 0, 1, vcc_lo
	s_waitcnt lgkmcnt(1)
	v_add_nc_u32_e32 v5, v2, v5
	v_add_nc_u32_e32 v89, 2, v77
	s_waitcnt lgkmcnt(0)
	v_add_nc_u32_e32 v21, v3, v21
	s_delay_alu instid0(VALU_DEP_2) | instskip(SKIP_1) | instid1(VALU_DEP_3)
	v_cmp_gt_u32_e32 vcc_lo, v89, v22
	v_dual_cndmask_b32 v2, v5, v2 :: v_dual_lshlrev_b32 v23, 2, v23
	v_cndmask_b32_e32 v3, v21, v3, vcc_lo
	v_cmp_gt_u32_e32 vcc_lo, 24, v77
	s_delay_alu instid0(VALU_DEP_3)
	v_add_lshl_u32 v90, v23, v77, 2
	v_cndmask_b32_e64 v23, 0, 1, vcc_lo
	v_cmp_gt_u32_e32 vcc_lo, v91, v22
	ds_bpermute_b32 v5, v90, v2
	ds_bpermute_b32 v21, v90, v3
	v_lshlrev_b32_e32 v23, 3, v23
	s_delay_alu instid0(VALU_DEP_1) | instskip(SKIP_3) | instid1(VALU_DEP_1)
	v_add_lshl_u32 v92, v23, v77, 2
	s_waitcnt lgkmcnt(1)
	v_add_nc_u32_e32 v5, v2, v5
	s_waitcnt lgkmcnt(0)
	v_dual_cndmask_b32 v2, v5, v2 :: v_dual_add_nc_u32 v21, v3, v21
	s_delay_alu instid0(VALU_DEP_1)
	v_cndmask_b32_e32 v3, v21, v3, vcc_lo
	v_cmp_gt_u32_e32 vcc_lo, 16, v77
	ds_bpermute_b32 v5, v92, v2
	ds_bpermute_b32 v21, v92, v3
	v_cndmask_b32_e64 v23, 0, 1, vcc_lo
	v_cmp_gt_u32_e32 vcc_lo, v93, v22
	s_delay_alu instid0(VALU_DEP_2) | instskip(NEXT) | instid1(VALU_DEP_1)
	v_lshlrev_b32_e32 v23, 4, v23
	v_add_lshl_u32 v94, v23, v77, 2
	s_waitcnt lgkmcnt(1)
	v_add_nc_u32_e32 v5, v2, v5
	s_waitcnt lgkmcnt(0)
	s_delay_alu instid0(VALU_DEP_1) | instskip(NEXT) | instid1(VALU_DEP_1)
	v_dual_cndmask_b32 v2, v5, v2 :: v_dual_add_nc_u32 v21, v3, v21
	v_cndmask_b32_e32 v3, v21, v3, vcc_lo
	v_cmp_le_u32_e32 vcc_lo, v95, v22
	ds_bpermute_b32 v5, v94, v2
	ds_bpermute_b32 v21, v94, v3
	s_waitcnt lgkmcnt(1)
	v_cndmask_b32_e32 v5, 0, v5, vcc_lo
	s_waitcnt lgkmcnt(0)
	s_delay_alu instid0(VALU_DEP_1) | instskip(NEXT) | instid1(VALU_DEP_1)
	v_dual_cndmask_b32 v21, 0, v21 :: v_dual_add_nc_u32 v2, v5, v2
	v_add_nc_u32_e32 v3, v21, v3
	v_mov_b32_e32 v21, 0
	s_branch .LBB1991_103
.LBB1991_102:                           ;   in Loop: Header=BB1991_103 Depth=1
	s_or_b32 exec_lo, exec_lo, s8
	ds_bpermute_b32 v5, v86, v2
	ds_bpermute_b32 v24, v86, v3
	v_subrev_nc_u32_e32 v20, 32, v20
	s_waitcnt lgkmcnt(1)
	v_add_nc_u32_e32 v5, v5, v2
	v_and_b32_e32 v25, 0xff, v4
	s_waitcnt lgkmcnt(0)
	v_add_nc_u32_e32 v24, v24, v3
	s_delay_alu instid0(VALU_DEP_2) | instskip(SKIP_1) | instid1(VALU_DEP_1)
	v_cmp_eq_u16_e32 vcc_lo, 2, v25
	v_and_or_b32 v25, vcc_lo, v87, 0x80000000
	v_ctz_i32_b32_e32 v25, v25
	s_delay_alu instid0(VALU_DEP_1)
	v_cmp_lt_u32_e32 vcc_lo, v77, v25
	v_cndmask_b32_e32 v2, v2, v5, vcc_lo
	ds_bpermute_b32 v5, v88, v2
	s_waitcnt lgkmcnt(0)
	v_add_nc_u32_e32 v5, v2, v5
	v_cndmask_b32_e32 v3, v3, v24, vcc_lo
	v_cmp_gt_u32_e32 vcc_lo, v89, v25
	s_delay_alu instid0(VALU_DEP_3)
	v_cndmask_b32_e32 v2, v5, v2, vcc_lo
	ds_bpermute_b32 v24, v88, v3
	ds_bpermute_b32 v5, v90, v2
	s_waitcnt lgkmcnt(1)
	v_add_nc_u32_e32 v24, v3, v24
	s_waitcnt lgkmcnt(0)
	v_add_nc_u32_e32 v5, v2, v5
	s_delay_alu instid0(VALU_DEP_2) | instskip(SKIP_1) | instid1(VALU_DEP_3)
	v_cndmask_b32_e32 v3, v24, v3, vcc_lo
	v_cmp_gt_u32_e32 vcc_lo, v91, v25
	v_cndmask_b32_e32 v2, v5, v2, vcc_lo
	ds_bpermute_b32 v24, v90, v3
	ds_bpermute_b32 v5, v92, v2
	s_waitcnt lgkmcnt(1)
	v_add_nc_u32_e32 v24, v3, v24
	s_waitcnt lgkmcnt(0)
	v_add_nc_u32_e32 v5, v2, v5
	s_delay_alu instid0(VALU_DEP_2) | instskip(SKIP_1) | instid1(VALU_DEP_3)
	v_cndmask_b32_e32 v3, v24, v3, vcc_lo
	v_cmp_gt_u32_e32 vcc_lo, v93, v25
	v_cndmask_b32_e32 v2, v5, v2, vcc_lo
	ds_bpermute_b32 v24, v92, v3
	ds_bpermute_b32 v5, v94, v2
	s_waitcnt lgkmcnt(1)
	v_add_nc_u32_e32 v24, v3, v24
	s_delay_alu instid0(VALU_DEP_1) | instskip(SKIP_4) | instid1(VALU_DEP_1)
	v_cndmask_b32_e32 v3, v24, v3, vcc_lo
	v_cmp_le_u32_e32 vcc_lo, v95, v25
	ds_bpermute_b32 v24, v94, v3
	s_waitcnt lgkmcnt(1)
	v_cndmask_b32_e32 v5, 0, v5, vcc_lo
	v_add3_u32 v2, v2, v22, v5
	s_waitcnt lgkmcnt(0)
	v_cndmask_b32_e32 v24, 0, v24, vcc_lo
	s_delay_alu instid0(VALU_DEP_1)
	v_add3_u32 v3, v3, v23, v24
.LBB1991_103:                           ; =>This Loop Header: Depth=1
                                        ;     Child Loop BB1991_106 Depth 2
	s_delay_alu instid0(VALU_DEP_1) | instskip(SKIP_1) | instid1(VALU_DEP_2)
	v_dual_mov_b32 v23, v3 :: v_dual_and_b32 v4, 0xff, v4
	v_mov_b32_e32 v22, v2
	v_cmp_ne_u16_e32 vcc_lo, 2, v4
	v_cndmask_b32_e64 v4, 0, 1, vcc_lo
	;;#ASMSTART
	;;#ASMEND
	s_delay_alu instid0(VALU_DEP_1)
	v_cmp_ne_u32_e32 vcc_lo, 0, v4
	s_cmp_lg_u32 vcc_lo, exec_lo
	s_cbranch_scc1 .LBB1991_108
; %bb.104:                              ;   in Loop: Header=BB1991_103 Depth=1
	v_lshlrev_b64 v[2:3], 4, v[20:21]
	s_mov_b32 s8, exec_lo
	s_delay_alu instid0(VALU_DEP_1) | instskip(NEXT) | instid1(VALU_DEP_2)
	v_add_co_u32 v24, vcc_lo, s4, v2
	v_add_co_ci_u32_e32 v25, vcc_lo, s5, v3, vcc_lo
	;;#ASMSTART
	global_load_dwordx4 v[2:5], v[24:25] off glc	
s_waitcnt vmcnt(0)
	;;#ASMEND
	v_and_b32_e32 v5, 0xff, v3
	v_and_b32_e32 v96, 0xff00, v3
	v_or3_b32 v2, v2, 0, 0
	v_and_b32_e32 v97, 0xff000000, v3
	v_and_b32_e32 v3, 0xff0000, v3
	s_delay_alu instid0(VALU_DEP_4) | instskip(SKIP_2) | instid1(VALU_DEP_3)
	v_or3_b32 v5, 0, v5, v96
	v_and_b32_e32 v96, 0xff, v4
	v_or3_b32 v2, v2, 0, 0
	v_or3_b32 v3, v5, v3, v97
	s_delay_alu instid0(VALU_DEP_3)
	v_cmpx_eq_u16_e32 0, v96
	s_cbranch_execz .LBB1991_102
; %bb.105:                              ;   in Loop: Header=BB1991_103 Depth=1
	s_mov_b32 s9, 0
.LBB1991_106:                           ;   Parent Loop BB1991_103 Depth=1
                                        ; =>  This Inner Loop Header: Depth=2
	;;#ASMSTART
	global_load_dwordx4 v[2:5], v[24:25] off glc	
s_waitcnt vmcnt(0)
	;;#ASMEND
	v_and_b32_e32 v5, 0xff, v4
	s_delay_alu instid0(VALU_DEP_1) | instskip(SKIP_1) | instid1(SALU_CYCLE_1)
	v_cmp_ne_u16_e32 vcc_lo, 0, v5
	s_or_b32 s9, vcc_lo, s9
	s_and_not1_b32 exec_lo, exec_lo, s9
	s_cbranch_execnz .LBB1991_106
; %bb.107:                              ;   in Loop: Header=BB1991_103 Depth=1
	s_or_b32 exec_lo, exec_lo, s9
	s_branch .LBB1991_102
.LBB1991_108:                           ;   in Loop: Header=BB1991_103 Depth=1
                                        ; implicit-def: $vgpr4
                                        ; implicit-def: $vgpr2_vgpr3
	s_cbranch_execz .LBB1991_103
; %bb.109:
	s_and_saveexec_b32 s8, s2
	s_cbranch_execnz .LBB1991_352
; %bb.110:
	s_or_b32 exec_lo, exec_lo, s8
	s_and_saveexec_b32 s8, s2
	s_cbranch_execnz .LBB1991_353
.LBB1991_111:
	s_or_b32 exec_lo, exec_lo, s8
	v_cmp_eq_u32_e32 vcc_lo, 0, v0
	s_and_b32 exec_lo, exec_lo, vcc_lo
	s_cbranch_execz .LBB1991_113
.LBB1991_112:
	v_mov_b32_e32 v1, 0
	ds_store_b64 v1, v[22:23] offset:56
.LBB1991_113:
	s_or_b32 exec_lo, exec_lo, s6
	v_cmp_eq_u32_e32 vcc_lo, 0, v0
	v_mov_b32_e32 v1, 0
	s_waitcnt lgkmcnt(0)
	s_barrier
	buffer_gl0_inv
	v_add_nc_u32_e64 v3, 0x3400, 0
	ds_load_b64 v[20:21], v1 offset:56
	s_waitcnt lgkmcnt(0)
	s_barrier
	buffer_gl0_inv
	ds_load_2addr_b32 v[1:2], v3 offset1:2
	ds_load_2addr_b32 v[3:4], v3 offset0:4 offset1:6
	v_cndmask_b32_e64 v5, v84, v18, s2
	v_cndmask_b32_e64 v18, v85, v19, s2
	s_delay_alu instid0(VALU_DEP_2) | instskip(NEXT) | instid1(VALU_DEP_1)
	v_add_nc_u32_e32 v19, v20, v5
	v_dual_cndmask_b32 v20, v19, v20 :: v_dual_add_nc_u32 v5, v21, v18
	s_delay_alu instid0(VALU_DEP_1)
	v_cndmask_b32_e32 v5, v5, v21, vcc_lo
	s_branch .LBB1991_124
.LBB1991_114:
                                        ; implicit-def: $vgpr5
                                        ; implicit-def: $vgpr3
                                        ; implicit-def: $vgpr1
                                        ; implicit-def: $vgpr20_vgpr21
	s_and_b32 vcc_lo, exec_lo, s6
	s_cbranch_vccz .LBB1991_124
; %bb.115:
	s_waitcnt lgkmcnt(0)
	v_mov_b32_dpp v2, v83 row_shr:1 row_mask:0xf bank_mask:0xf
	v_cmp_lt_u32_e32 vcc_lo, 3, v81
	v_mov_b32_dpp v1, v82 row_shr:1 row_mask:0xf bank_mask:0xf
	s_delay_alu instid0(VALU_DEP_3) | instskip(NEXT) | instid1(VALU_DEP_1)
	v_add_nc_u32_e32 v2, v2, v83
	v_cndmask_b32_e64 v2, v2, v83, s1
	s_delay_alu instid0(VALU_DEP_1) | instskip(NEXT) | instid1(VALU_DEP_1)
	v_mov_b32_dpp v4, v2 row_shr:2 row_mask:0xf bank_mask:0xf
	v_add_nc_u32_e32 v4, v2, v4
	s_delay_alu instid0(VALU_DEP_1) | instskip(NEXT) | instid1(VALU_DEP_1)
	v_cndmask_b32_e64 v2, v2, v4, s0
	v_mov_b32_dpp v4, v2 row_shr:4 row_mask:0xf bank_mask:0xf
	s_delay_alu instid0(VALU_DEP_1) | instskip(NEXT) | instid1(VALU_DEP_1)
	v_add_nc_u32_e32 v4, v2, v4
	v_dual_cndmask_b32 v2, v2, v4 :: v_dual_add_nc_u32 v1, v1, v82
	s_delay_alu instid0(VALU_DEP_1) | instskip(NEXT) | instid1(VALU_DEP_2)
	v_cndmask_b32_e64 v1, v1, v82, s1
	v_mov_b32_dpp v4, v2 row_shr:8 row_mask:0xf bank_mask:0xf
	s_delay_alu instid0(VALU_DEP_2) | instskip(NEXT) | instid1(VALU_DEP_2)
	v_mov_b32_dpp v3, v1 row_shr:2 row_mask:0xf bank_mask:0xf
	v_add_nc_u32_e32 v4, v2, v4
	s_delay_alu instid0(VALU_DEP_2) | instskip(NEXT) | instid1(VALU_DEP_1)
	v_add_nc_u32_e32 v3, v1, v3
	v_cndmask_b32_e64 v1, v1, v3, s0
	s_mov_b32 s0, exec_lo
	s_delay_alu instid0(VALU_DEP_1) | instskip(NEXT) | instid1(VALU_DEP_1)
	v_mov_b32_dpp v3, v1 row_shr:4 row_mask:0xf bank_mask:0xf
	v_add_nc_u32_e32 v3, v1, v3
	s_delay_alu instid0(VALU_DEP_1) | instskip(SKIP_1) | instid1(VALU_DEP_2)
	v_cndmask_b32_e32 v1, v1, v3, vcc_lo
	v_cmp_lt_u32_e32 vcc_lo, 7, v81
	v_mov_b32_dpp v3, v1 row_shr:8 row_mask:0xf bank_mask:0xf
	s_delay_alu instid0(VALU_DEP_1) | instskip(NEXT) | instid1(VALU_DEP_1)
	v_dual_cndmask_b32 v2, v2, v4 :: v_dual_add_nc_u32 v3, v1, v3
	v_cndmask_b32_e32 v1, v1, v3, vcc_lo
	ds_swizzle_b32 v3, v2 offset:swizzle(BROADCAST,32,15)
	v_cmp_eq_u32_e32 vcc_lo, 0, v80
	ds_swizzle_b32 v4, v1 offset:swizzle(BROADCAST,32,15)
	s_waitcnt lgkmcnt(1)
	v_add_nc_u32_e32 v3, v2, v3
	s_waitcnt lgkmcnt(0)
	v_add_nc_u32_e32 v4, v1, v4
	s_delay_alu instid0(VALU_DEP_1)
	v_dual_cndmask_b32 v2, v3, v2 :: v_dual_cndmask_b32 v1, v4, v1
	v_cmpx_eq_u32_e64 v79, v0
	s_cbranch_execz .LBB1991_117
; %bb.116:
	v_lshlrev_b32_e32 v3, 3, v78
	ds_store_b64 v3, v[1:2]
.LBB1991_117:
	s_or_b32 exec_lo, exec_lo, s0
	s_delay_alu instid0(SALU_CYCLE_1)
	s_mov_b32 s0, exec_lo
	s_waitcnt lgkmcnt(0)
	s_barrier
	buffer_gl0_inv
	v_cmpx_gt_u32_e32 8, v0
	s_cbranch_execz .LBB1991_119
; %bb.118:
	v_lshlrev_b32_e32 v5, 3, v0
	ds_load_b64 v[3:4], v5
	s_waitcnt lgkmcnt(0)
	v_mov_b32_dpp v18, v3 row_shr:1 row_mask:0xf bank_mask:0xf
	v_mov_b32_dpp v19, v4 row_shr:1 row_mask:0xf bank_mask:0xf
	s_delay_alu instid0(VALU_DEP_2) | instskip(SKIP_1) | instid1(VALU_DEP_3)
	v_add_nc_u32_e32 v18, v18, v3
	v_and_b32_e32 v20, 7, v77
	v_add_nc_u32_e32 v19, v19, v4
	s_delay_alu instid0(VALU_DEP_2) | instskip(NEXT) | instid1(VALU_DEP_2)
	v_cmp_eq_u32_e32 vcc_lo, 0, v20
	v_dual_cndmask_b32 v4, v19, v4 :: v_dual_cndmask_b32 v3, v18, v3
	v_cmp_lt_u32_e32 vcc_lo, 1, v20
	s_delay_alu instid0(VALU_DEP_2) | instskip(NEXT) | instid1(VALU_DEP_3)
	v_mov_b32_dpp v19, v4 row_shr:2 row_mask:0xf bank_mask:0xf
	v_mov_b32_dpp v18, v3 row_shr:2 row_mask:0xf bank_mask:0xf
	s_delay_alu instid0(VALU_DEP_2) | instskip(NEXT) | instid1(VALU_DEP_2)
	v_add_nc_u32_e32 v19, v4, v19
	v_add_nc_u32_e32 v18, v3, v18
	s_delay_alu instid0(VALU_DEP_1) | instskip(SKIP_1) | instid1(VALU_DEP_2)
	v_dual_cndmask_b32 v4, v4, v19 :: v_dual_cndmask_b32 v3, v3, v18
	v_cmp_lt_u32_e32 vcc_lo, 3, v20
	v_mov_b32_dpp v19, v4 row_shr:4 row_mask:0xf bank_mask:0xf
	s_delay_alu instid0(VALU_DEP_3) | instskip(NEXT) | instid1(VALU_DEP_1)
	v_mov_b32_dpp v18, v3 row_shr:4 row_mask:0xf bank_mask:0xf
	v_dual_cndmask_b32 v19, 0, v19 :: v_dual_cndmask_b32 v18, 0, v18
	s_delay_alu instid0(VALU_DEP_1) | instskip(NEXT) | instid1(VALU_DEP_2)
	v_add_nc_u32_e32 v4, v19, v4
	v_add_nc_u32_e32 v3, v18, v3
	ds_store_b64 v5, v[3:4]
.LBB1991_119:
	s_or_b32 exec_lo, exec_lo, s0
	v_dual_mov_b32 v3, 0 :: v_dual_mov_b32 v18, 0
	v_mov_b32_e32 v19, 0
	s_mov_b32 s0, exec_lo
	s_waitcnt lgkmcnt(0)
	s_barrier
	buffer_gl0_inv
	v_cmpx_lt_u32_e32 31, v0
	s_cbranch_execz .LBB1991_121
; %bb.120:
	v_lshl_add_u32 v4, v78, 3, -8
	ds_load_b64 v[18:19], v4
.LBB1991_121:
	s_or_b32 exec_lo, exec_lo, s0
	v_add_nc_u32_e32 v4, -1, v77
	s_waitcnt lgkmcnt(0)
	v_add_nc_u32_e32 v20, v19, v2
	v_add_nc_u32_e32 v5, v18, v1
	ds_load_b64 v[1:2], v3 offset:56
	v_cmp_gt_i32_e32 vcc_lo, 0, v4
	v_cndmask_b32_e32 v4, v4, v77, vcc_lo
	v_cmp_eq_u32_e32 vcc_lo, 0, v0
	s_delay_alu instid0(VALU_DEP_2)
	v_lshlrev_b32_e32 v4, 2, v4
	ds_bpermute_b32 v5, v4, v5
	ds_bpermute_b32 v20, v4, v20
	s_waitcnt lgkmcnt(2)
	v_readfirstlane_b32 s1, v2
	s_and_saveexec_b32 s0, vcc_lo
	s_cbranch_execz .LBB1991_123
; %bb.122:
	s_mov_b32 s6, 0
	s_add_u32 s4, s4, 0x200
	s_addc_u32 s5, s5, 0
	s_and_b32 s7, s1, 0xff000000
	s_and_b32 s9, s1, 0xff0000
	s_mov_b32 s8, s6
	v_mov_b32_e32 v22, s5
	s_or_b64 s[8:9], s[8:9], s[6:7]
	s_and_b32 s7, s1, 0xff00
	v_dual_mov_b32 v4, 0 :: v_dual_mov_b32 v21, s4
	s_or_b64 s[8:9], s[8:9], s[6:7]
	s_and_b32 s7, s1, 0xff
	v_mov_b32_e32 v3, 2
	s_or_b64 s[6:7], s[8:9], s[6:7]
	s_delay_alu instid0(SALU_CYCLE_1)
	v_mov_b32_e32 v2, s7
	;;#ASMSTART
	global_store_dwordx4 v[21:22], v[1:4] off	
s_waitcnt vmcnt(0)
	;;#ASMEND
.LBB1991_123:
	s_or_b32 exec_lo, exec_lo, s0
	v_cmp_eq_u32_e64 s0, 0, v77
	v_dual_mov_b32 v3, 0 :: v_dual_mov_b32 v2, s1
	s_waitcnt lgkmcnt(0)
	s_barrier
	s_delay_alu instid0(VALU_DEP_2)
	v_cndmask_b32_e64 v4, v5, v18, s0
	v_cndmask_b32_e64 v5, v20, v19, s0
	buffer_gl0_inv
	v_cndmask_b32_e64 v20, v4, 0, vcc_lo
	v_cndmask_b32_e64 v5, v5, 0, vcc_lo
	v_mov_b32_e32 v4, 0
.LBB1991_124:
	v_and_b32_e32 v30, 1, v30
	v_and_b32_e32 v34, 1, v34
	;; [unrolled: 1-line block ×4, first 2 shown]
	s_waitcnt lgkmcnt(0)
	v_add_co_u32 v18, s0, s28, v3
	v_cmp_eq_u32_e32 vcc_lo, 1, v30
	v_add_nc_u32_e32 v22, v5, v76
	v_sub_nc_u32_e32 v5, v5, v4
	v_add_co_ci_u32_e64 v19, null, s29, 0, s0
	s_mov_b32 s2, -1
	s_delay_alu instid0(VALU_DEP_3) | instskip(SKIP_3) | instid1(VALU_DEP_3)
	v_add_nc_u32_e32 v24, v22, v72
	v_sub_nc_u32_e32 v22, v22, v4
	v_add_nc_u32_e32 v5, v5, v1
	v_sub_co_u32 v72, s0, s30, v1
	v_add_nc_u32_e32 v22, v22, v1
	v_add_nc_u32_e32 v21, v20, v75
	v_sub_nc_u32_e32 v20, v20, v3
	s_delay_alu instid0(VALU_DEP_2)
	v_add_nc_u32_e32 v23, v21, v71
	v_add_nc_u32_e32 v71, v24, v74
	v_lshlrev_b32_e32 v74, 1, v1
	v_sub_nc_u32_e32 v21, v21, v3
	v_add_nc_u32_e32 v75, v20, v5
	v_sub_nc_u32_e32 v24, v24, v4
	s_delay_alu instid0(VALU_DEP_4) | instskip(NEXT) | instid1(VALU_DEP_4)
	v_add3_u32 v28, v74, v2, v28
	v_add_nc_u32_e32 v76, v22, v21
	s_delay_alu instid0(VALU_DEP_3) | instskip(NEXT) | instid1(VALU_DEP_3)
	v_add_nc_u32_e32 v24, v24, v1
	v_sub_nc_u32_e32 v75, v28, v75
	s_delay_alu instid0(VALU_DEP_3) | instskip(NEXT) | instid1(VALU_DEP_1)
	v_sub_nc_u32_e32 v76, v28, v76
	v_dual_cndmask_b32 v5, v75, v5 :: v_dual_add_nc_u32 v30, 1, v76
	v_cmp_eq_u32_e32 vcc_lo, 1, v34
	s_delay_alu instid0(VALU_DEP_2) | instskip(SKIP_1) | instid1(VALU_DEP_4)
	v_cndmask_b32_e32 v22, v30, v22, vcc_lo
	v_cmp_eq_u32_e32 vcc_lo, 1, v29
	v_cndmask_b32_e32 v5, v5, v20, vcc_lo
	v_and_b32_e32 v20, 1, v36
	v_cmp_eq_u32_e32 vcc_lo, 1, v33
	s_delay_alu instid0(VALU_DEP_3) | instskip(SKIP_1) | instid1(VALU_DEP_4)
	v_lshlrev_b32_e32 v5, 2, v5
	v_cndmask_b32_e32 v21, v22, v21, vcc_lo
	v_cmp_eq_u32_e32 vcc_lo, 1, v20
	v_add_nc_u32_e32 v25, v23, v73
	v_sub_nc_u32_e32 v23, v23, v3
	v_and_b32_e32 v22, 1, v31
	v_sub_co_ci_u32_e64 v73, null, s31, 0, s0
	v_and_b32_e32 v31, 1, v32
	s_delay_alu instid0(VALU_DEP_4) | instskip(NEXT) | instid1(VALU_DEP_1)
	v_add_nc_u32_e32 v77, v24, v23
	v_sub_nc_u32_e32 v75, v28, v77
	s_delay_alu instid0(VALU_DEP_1) | instskip(NEXT) | instid1(VALU_DEP_1)
	v_add_nc_u32_e32 v29, 2, v75
	v_cndmask_b32_e32 v20, v29, v24, vcc_lo
	v_sub_nc_u32_e32 v24, v71, v4
	v_cmp_eq_u32_e32 vcc_lo, 1, v22
	v_add_nc_u32_e32 v69, v25, v69
	v_lshlrev_b32_e32 v29, 2, v21
	ds_store_b32 v5, v16
	ds_store_b32 v29, v17
	v_cndmask_b32_e32 v22, v20, v23, vcc_lo
	v_sub_nc_u32_e32 v23, v25, v3
	v_add_nc_u32_e32 v24, v24, v1
	v_add_co_u32 v20, vcc_lo, v72, v4
	s_delay_alu instid0(VALU_DEP_4) | instskip(SKIP_1) | instid1(VALU_DEP_4)
	v_lshlrev_b32_e32 v5, 2, v22
	v_and_b32_e32 v22, 1, v35
	v_add_nc_u32_e32 v25, v23, v24
	v_add_co_ci_u32_e32 v21, vcc_lo, 0, v73, vcc_lo
	ds_store_b32 v5, v14
	v_cmp_eq_u32_e32 vcc_lo, 1, v22
	v_sub_nc_u32_e32 v17, v28, v25
	v_sub_nc_u32_e32 v29, v69, v3
	v_add_nc_u32_e32 v67, v69, v67
	s_delay_alu instid0(VALU_DEP_3) | instskip(NEXT) | instid1(VALU_DEP_2)
	v_add_nc_u32_e32 v17, 3, v17
	v_sub_nc_u32_e32 v30, v67, v3
	s_delay_alu instid0(VALU_DEP_2) | instskip(SKIP_2) | instid1(VALU_DEP_3)
	v_cndmask_b32_e32 v17, v17, v24, vcc_lo
	v_cmp_eq_u32_e32 vcc_lo, 1, v31
	v_and_b32_e32 v24, 1, v39
	v_cndmask_b32_e32 v14, v17, v23, vcc_lo
	v_add_nc_u32_e32 v70, v71, v70
	v_and_b32_e32 v23, 1, v38
	s_delay_alu instid0(VALU_DEP_3) | instskip(NEXT) | instid1(VALU_DEP_3)
	v_lshlrev_b32_e32 v14, 2, v14
	v_add_nc_u32_e32 v68, v70, v68
	v_sub_nc_u32_e32 v16, v70, v4
	ds_store_b32 v14, v15
	v_sub_nc_u32_e32 v25, v68, v4
	v_add_nc_u32_e32 v16, v16, v1
	s_delay_alu instid0(VALU_DEP_2) | instskip(NEXT) | instid1(VALU_DEP_2)
	v_add_nc_u32_e32 v25, v25, v1
	v_add_nc_u32_e32 v32, v29, v16
	s_delay_alu instid0(VALU_DEP_2) | instskip(NEXT) | instid1(VALU_DEP_2)
	v_add_nc_u32_e32 v22, v30, v25
	v_sub_nc_u32_e32 v5, v28, v32
	s_delay_alu instid0(VALU_DEP_2) | instskip(SKIP_1) | instid1(VALU_DEP_3)
	v_sub_nc_u32_e32 v17, v28, v22
	v_and_b32_e32 v22, 1, v37
	v_add_nc_u32_e32 v5, 4, v5
	s_delay_alu instid0(VALU_DEP_3) | instskip(NEXT) | instid1(VALU_DEP_3)
	v_add_nc_u32_e32 v17, 5, v17
	v_cmp_eq_u32_e32 vcc_lo, 1, v22
	s_delay_alu instid0(VALU_DEP_3)
	v_cndmask_b32_e32 v5, v5, v16, vcc_lo
	v_cmp_eq_u32_e32 vcc_lo, 1, v24
	v_and_b32_e32 v16, 1, v41
	v_cndmask_b32_e32 v17, v17, v25, vcc_lo
	v_cmp_eq_u32_e32 vcc_lo, 1, v23
	v_cndmask_b32_e32 v5, v5, v29, vcc_lo
	s_delay_alu instid0(VALU_DEP_4) | instskip(SKIP_1) | instid1(VALU_DEP_3)
	v_cmp_eq_u32_e32 vcc_lo, 1, v16
	v_add_nc_u32_e32 v66, v68, v66
	v_dual_cndmask_b32 v16, v17, v30 :: v_dual_lshlrev_b32 v5, 2, v5
	s_delay_alu instid0(VALU_DEP_2) | instskip(SKIP_1) | instid1(VALU_DEP_3)
	v_sub_nc_u32_e32 v22, v66, v4
	v_add_nc_u32_e32 v62, v66, v62
	v_lshlrev_b32_e32 v16, 2, v16
	ds_store_b32 v5, v12
	ds_store_b32 v16, v13
	v_and_b32_e32 v12, 1, v40
	v_add_nc_u32_e32 v22, v22, v1
	v_add_nc_u32_e32 v64, v62, v64
	v_sub_nc_u32_e32 v17, v62, v4
	v_and_b32_e32 v16, 1, v43
	v_cmp_eq_u32_e32 vcc_lo, 1, v12
	v_add_nc_u32_e32 v65, v67, v65
	v_sub_nc_u32_e32 v15, v64, v4
	v_add_nc_u32_e32 v17, v17, v1
	s_delay_alu instid0(VALU_DEP_3) | instskip(NEXT) | instid1(VALU_DEP_3)
	v_sub_nc_u32_e32 v23, v65, v3
	v_add_nc_u32_e32 v15, v15, v1
	s_delay_alu instid0(VALU_DEP_2) | instskip(NEXT) | instid1(VALU_DEP_1)
	v_add_nc_u32_e32 v24, v23, v22
	v_sub_nc_u32_e32 v14, v28, v24
	v_and_b32_e32 v24, 1, v48
	s_delay_alu instid0(VALU_DEP_2) | instskip(SKIP_1) | instid1(VALU_DEP_2)
	v_add_nc_u32_e32 v13, 6, v14
	v_and_b32_e32 v14, 1, v42
	v_cndmask_b32_e32 v12, v13, v22, vcc_lo
	v_add_nc_u32_e32 v61, v65, v61
	s_delay_alu instid0(VALU_DEP_3) | instskip(SKIP_1) | instid1(VALU_DEP_3)
	v_cmp_eq_u32_e32 vcc_lo, 1, v14
	v_and_b32_e32 v22, 1, v44
	v_sub_nc_u32_e32 v25, v61, v3
	v_add_nc_u32_e32 v63, v61, v63
	v_cndmask_b32_e32 v12, v12, v23, vcc_lo
	v_cmp_eq_u32_e32 vcc_lo, 1, v16
	v_and_b32_e32 v23, 1, v46
	v_add_nc_u32_e32 v5, v25, v17
	v_sub_nc_u32_e32 v13, v63, v3
	v_lshlrev_b32_e32 v12, 2, v12
	v_add_nc_u32_e32 v59, v63, v59
	s_delay_alu instid0(VALU_DEP_4) | instskip(NEXT) | instid1(VALU_DEP_4)
	v_sub_nc_u32_e32 v5, v28, v5
	v_add_nc_u32_e32 v14, v13, v15
	s_delay_alu instid0(VALU_DEP_3) | instskip(NEXT) | instid1(VALU_DEP_3)
	v_add_nc_u32_e32 v57, v59, v57
	v_add_nc_u32_e32 v5, 7, v5
	s_delay_alu instid0(VALU_DEP_3) | instskip(NEXT) | instid1(VALU_DEP_3)
	v_sub_nc_u32_e32 v14, v28, v14
	v_add_nc_u32_e32 v55, v57, v55
	s_delay_alu instid0(VALU_DEP_3)
	v_cndmask_b32_e32 v5, v5, v17, vcc_lo
	v_cmp_eq_u32_e32 vcc_lo, 1, v22
	v_and_b32_e32 v17, 1, v45
	v_add_nc_u32_e32 v14, 8, v14
	v_sub_nc_u32_e32 v22, v59, v3
	v_add_nc_u32_e32 v53, v55, v53
	v_cndmask_b32_e32 v5, v5, v25, vcc_lo
	v_cmp_eq_u32_e32 vcc_lo, 1, v17
	v_sub_nc_u32_e32 v17, v55, v3
	v_and_b32_e32 v25, 1, v52
	s_delay_alu instid0(VALU_DEP_4)
	v_dual_cndmask_b32 v14, v14, v15 :: v_dual_lshlrev_b32 v5, 2, v5
	v_cmp_eq_u32_e32 vcc_lo, 1, v23
	v_add_nc_u32_e32 v60, v64, v60
	ds_store_b32 v12, v10
	ds_store_b32 v5, v11
	v_and_b32_e32 v11, 1, v49
	v_cndmask_b32_e32 v5, v14, v13, vcc_lo
	v_sub_nc_u32_e32 v16, v60, v4
	v_add_nc_u32_e32 v58, v60, v58
	v_and_b32_e32 v13, 1, v47
	s_delay_alu instid0(VALU_DEP_4) | instskip(NEXT) | instid1(VALU_DEP_4)
	v_lshlrev_b32_e32 v5, 2, v5
	v_add_nc_u32_e32 v16, v16, v1
	s_delay_alu instid0(VALU_DEP_4) | instskip(SKIP_2) | instid1(VALU_DEP_4)
	v_add_nc_u32_e32 v56, v58, v56
	v_sub_nc_u32_e32 v12, v58, v4
	v_cmp_eq_u32_e32 vcc_lo, 1, v13
	v_add_nc_u32_e32 v15, v22, v16
	s_delay_alu instid0(VALU_DEP_4) | instskip(NEXT) | instid1(VALU_DEP_4)
	v_sub_nc_u32_e32 v14, v56, v4
	v_add_nc_u32_e32 v12, v12, v1
	v_add_nc_u32_e32 v54, v56, v54
	s_delay_alu instid0(VALU_DEP_4) | instskip(SKIP_2) | instid1(VALU_DEP_4)
	v_sub_nc_u32_e32 v10, v28, v15
	v_sub_nc_u32_e32 v15, v57, v3
	v_add_nc_u32_e32 v14, v14, v1
	v_sub_nc_u32_e32 v23, v54, v4
	v_sub_nc_u32_e32 v3, v53, v3
	v_add_nc_u32_e32 v10, 9, v10
	v_add_nc_u32_e32 v13, v15, v12
	s_delay_alu instid0(VALU_DEP_2) | instskip(SKIP_2) | instid1(VALU_DEP_4)
	v_dual_cndmask_b32 v10, v10, v16 :: v_dual_add_nc_u32 v23, v23, v1
	v_add_nc_u32_e32 v16, v17, v14
	v_cmp_eq_u32_e32 vcc_lo, 1, v11
	v_sub_nc_u32_e32 v11, v28, v13
	v_and_b32_e32 v13, 1, v50
	s_delay_alu instid0(VALU_DEP_4) | instskip(NEXT) | instid1(VALU_DEP_3)
	v_sub_nc_u32_e32 v16, v28, v16
	v_dual_cndmask_b32 v10, v10, v22 :: v_dual_add_nc_u32 v11, 10, v11
	v_cmp_eq_u32_e32 vcc_lo, 1, v24
	v_add_nc_u32_e32 v22, v3, v23
	s_delay_alu instid0(VALU_DEP_4) | instskip(NEXT) | instid1(VALU_DEP_4)
	v_add_nc_u32_e32 v16, 11, v16
	v_dual_cndmask_b32 v11, v11, v12 :: v_dual_lshlrev_b32 v10, 2, v10
	v_cmp_eq_u32_e32 vcc_lo, 1, v25
	s_delay_alu instid0(VALU_DEP_4) | instskip(SKIP_3) | instid1(VALU_DEP_4)
	v_sub_nc_u32_e32 v22, v28, v22
	v_and_b32_e32 v12, 1, v51
	v_cndmask_b32_e32 v14, v16, v14, vcc_lo
	v_cmp_eq_u32_e32 vcc_lo, 1, v13
	v_dual_cndmask_b32 v11, v11, v15 :: v_dual_add_nc_u32 v16, 12, v22
	s_delay_alu instid0(VALU_DEP_4) | instskip(NEXT) | instid1(VALU_DEP_2)
	v_cmp_eq_u32_e32 vcc_lo, 1, v12
	v_cndmask_b32_e64 v13, v16, v23, s43
	s_delay_alu instid0(VALU_DEP_3) | instskip(NEXT) | instid1(VALU_DEP_2)
	v_dual_cndmask_b32 v12, v14, v17 :: v_dual_lshlrev_b32 v11, 2, v11
	v_cndmask_b32_e64 v3, v13, v3, s42
	s_delay_alu instid0(VALU_DEP_2)
	v_lshlrev_b32_e32 v12, 2, v12
	ds_store_b32 v5, v8
	ds_store_b32 v10, v9
	;; [unrolled: 1-line block ×4, first 2 shown]
	v_lshlrev_b32_e32 v3, 2, v3
	v_add_co_u32 v5, s0, v2, v74
	s_delay_alu instid0(VALU_DEP_1) | instskip(SKIP_4) | instid1(VALU_DEP_2)
	v_add_co_ci_u32_e64 v6, null, 0, 0, s0
	ds_store_b32 v3, v27
	v_add_co_u32 v3, vcc_lo, v5, v20
	v_add_co_ci_u32_e32 v5, vcc_lo, v6, v21, vcc_lo
	s_add_u32 s0, s34, s33
	v_add_co_u32 v3, vcc_lo, v3, v18
	s_delay_alu instid0(VALU_DEP_2) | instskip(SKIP_1) | instid1(VALU_DEP_2)
	v_add_co_ci_u32_e32 v5, vcc_lo, v5, v19, vcc_lo
	s_addc_u32 s1, s35, 0
	v_sub_co_u32 v3, vcc_lo, s0, v3
	s_delay_alu instid0(VALU_DEP_2)
	v_sub_co_ci_u32_e32 v9, vcc_lo, s1, v5, vcc_lo
	v_lshlrev_b64 v[5:6], 2, v[20:21]
	v_lshlrev_b64 v[7:8], 2, v[18:19]
	v_add_nc_u32_e32 v10, v1, v2
	s_add_u32 s1, s26, -4
	s_waitcnt lgkmcnt(0)
	s_barrier
	v_add_co_u32 v5, vcc_lo, s38, v5
	v_add_co_ci_u32_e32 v6, vcc_lo, s39, v6, vcc_lo
	v_cmp_ne_u32_e32 vcc_lo, 1, v26
	v_add_co_u32 v7, s0, s36, v7
	s_delay_alu instid0(VALU_DEP_1)
	v_add_co_ci_u32_e64 v8, s0, s37, v8, s0
	s_addc_u32 s0, s27, -1
	buffer_gl0_inv
	s_cbranch_vccz .LBB1991_128
; %bb.125:
	s_and_b32 vcc_lo, exec_lo, s2
	s_cbranch_vccnz .LBB1991_233
.LBB1991_126:
	v_cmp_eq_u32_e32 vcc_lo, 0, v0
	s_and_b32 s0, vcc_lo, s14
	s_delay_alu instid0(SALU_CYCLE_1)
	s_and_saveexec_b32 s1, s0
	s_cbranch_execnz .LBB1991_351
.LBB1991_127:
	s_nop 0
	s_sendmsg sendmsg(MSG_DEALLOC_VGPRS)
	s_endpgm
.LBB1991_128:
	s_mov_b32 s2, exec_lo
	v_cmpx_le_u32_e64 v1, v0
	s_xor_b32 s2, exec_lo, s2
	s_cbranch_execz .LBB1991_134
; %bb.129:
	s_mov_b32 s4, exec_lo
	v_cmpx_le_u32_e64 v10, v0
	s_xor_b32 s4, exec_lo, s4
	s_cbranch_execz .LBB1991_131
; %bb.130:
	v_lshlrev_b32_e32 v11, 2, v0
	ds_load_b32 v13, v11
	v_add_co_u32 v11, vcc_lo, v3, v0
	v_add_co_ci_u32_e32 v12, vcc_lo, 0, v9, vcc_lo
	s_delay_alu instid0(VALU_DEP_1) | instskip(NEXT) | instid1(VALU_DEP_1)
	v_lshlrev_b64 v[11:12], 2, v[11:12]
	v_sub_co_u32 v11, vcc_lo, s26, v11
	s_delay_alu instid0(VALU_DEP_2)
	v_sub_co_ci_u32_e32 v12, vcc_lo, s27, v12, vcc_lo
	s_waitcnt lgkmcnt(0)
	global_store_b32 v[11:12], v13, off offset:-4
.LBB1991_131:
	s_and_not1_saveexec_b32 s4, s4
	s_cbranch_execz .LBB1991_133
; %bb.132:
	v_lshlrev_b32_e32 v11, 2, v0
	v_readfirstlane_b32 s6, v5
	v_readfirstlane_b32 s7, v6
	ds_load_b32 v12, v11
	s_waitcnt lgkmcnt(0)
	global_store_b32 v11, v12, s[6:7]
.LBB1991_133:
	s_or_b32 exec_lo, exec_lo, s4
.LBB1991_134:
	s_and_not1_saveexec_b32 s2, s2
	s_cbranch_execz .LBB1991_136
; %bb.135:
	v_lshlrev_b32_e32 v11, 2, v0
	v_readfirstlane_b32 s4, v7
	v_readfirstlane_b32 s5, v8
	ds_load_b32 v12, v11
	s_waitcnt lgkmcnt(0)
	global_store_b32 v11, v12, s[4:5]
.LBB1991_136:
	s_or_b32 exec_lo, exec_lo, s2
	v_or_b32_e32 v11, 0x100, v0
	s_mov_b32 s2, exec_lo
	s_delay_alu instid0(VALU_DEP_1)
	v_cmpx_le_u32_e64 v1, v11
	s_xor_b32 s2, exec_lo, s2
	s_cbranch_execz .LBB1991_142
; %bb.137:
	s_mov_b32 s4, exec_lo
	v_cmpx_le_u32_e64 v10, v11
	s_xor_b32 s4, exec_lo, s4
	s_cbranch_execz .LBB1991_139
; %bb.138:
	v_lshlrev_b32_e32 v11, 2, v0
	ds_load_b32 v13, v11 offset:1024
	v_add_co_u32 v11, vcc_lo, v3, v0
	v_add_co_ci_u32_e32 v12, vcc_lo, 0, v9, vcc_lo
	s_delay_alu instid0(VALU_DEP_1) | instskip(NEXT) | instid1(VALU_DEP_1)
	v_lshlrev_b64 v[11:12], 2, v[11:12]
	v_sub_co_u32 v11, vcc_lo, s1, v11
	s_delay_alu instid0(VALU_DEP_2)
	v_sub_co_ci_u32_e32 v12, vcc_lo, s0, v12, vcc_lo
	s_waitcnt lgkmcnt(0)
	global_store_b32 v[11:12], v13, off offset:-1024
.LBB1991_139:
	s_and_not1_saveexec_b32 s4, s4
	s_cbranch_execz .LBB1991_141
; %bb.140:
	v_lshlrev_b32_e32 v11, 2, v0
	v_readfirstlane_b32 s6, v5
	v_readfirstlane_b32 s7, v6
	ds_load_b32 v12, v11 offset:1024
	s_waitcnt lgkmcnt(0)
	global_store_b32 v11, v12, s[6:7] offset:1024
.LBB1991_141:
	s_or_b32 exec_lo, exec_lo, s4
.LBB1991_142:
	s_and_not1_saveexec_b32 s2, s2
	s_cbranch_execz .LBB1991_144
; %bb.143:
	v_lshlrev_b32_e32 v11, 2, v0
	v_readfirstlane_b32 s4, v7
	v_readfirstlane_b32 s5, v8
	ds_load_b32 v12, v11 offset:1024
	s_waitcnt lgkmcnt(0)
	global_store_b32 v11, v12, s[4:5] offset:1024
.LBB1991_144:
	s_or_b32 exec_lo, exec_lo, s2
	v_or_b32_e32 v11, 0x200, v0
	s_mov_b32 s2, exec_lo
	s_delay_alu instid0(VALU_DEP_1)
	v_cmpx_le_u32_e64 v1, v11
	s_xor_b32 s2, exec_lo, s2
	s_cbranch_execz .LBB1991_150
; %bb.145:
	s_mov_b32 s4, exec_lo
	v_cmpx_le_u32_e64 v10, v11
	s_xor_b32 s4, exec_lo, s4
	s_cbranch_execz .LBB1991_147
; %bb.146:
	v_lshlrev_b32_e32 v11, 2, v0
	ds_load_b32 v13, v11 offset:2048
	v_add_co_u32 v11, vcc_lo, v3, v0
	v_add_co_ci_u32_e32 v12, vcc_lo, 0, v9, vcc_lo
	s_delay_alu instid0(VALU_DEP_1) | instskip(NEXT) | instid1(VALU_DEP_1)
	v_lshlrev_b64 v[11:12], 2, v[11:12]
	v_sub_co_u32 v11, vcc_lo, s1, v11
	s_delay_alu instid0(VALU_DEP_2)
	v_sub_co_ci_u32_e32 v12, vcc_lo, s0, v12, vcc_lo
	s_waitcnt lgkmcnt(0)
	global_store_b32 v[11:12], v13, off offset:-2048
.LBB1991_147:
	s_and_not1_saveexec_b32 s4, s4
	s_cbranch_execz .LBB1991_149
; %bb.148:
	v_lshlrev_b32_e32 v11, 2, v0
	v_readfirstlane_b32 s6, v5
	v_readfirstlane_b32 s7, v6
	ds_load_b32 v12, v11 offset:2048
	s_waitcnt lgkmcnt(0)
	global_store_b32 v11, v12, s[6:7] offset:2048
.LBB1991_149:
	s_or_b32 exec_lo, exec_lo, s4
.LBB1991_150:
	s_and_not1_saveexec_b32 s2, s2
	s_cbranch_execz .LBB1991_152
; %bb.151:
	v_lshlrev_b32_e32 v11, 2, v0
	v_readfirstlane_b32 s4, v7
	v_readfirstlane_b32 s5, v8
	ds_load_b32 v12, v11 offset:2048
	s_waitcnt lgkmcnt(0)
	global_store_b32 v11, v12, s[4:5] offset:2048
.LBB1991_152:
	;; [unrolled: 47-line block ×3, first 2 shown]
	s_or_b32 exec_lo, exec_lo, s2
	v_or_b32_e32 v11, 0x400, v0
	s_mov_b32 s2, exec_lo
	s_delay_alu instid0(VALU_DEP_1)
	v_cmpx_le_u32_e64 v1, v11
	s_xor_b32 s2, exec_lo, s2
	s_cbranch_execz .LBB1991_166
; %bb.161:
	s_mov_b32 s4, exec_lo
	v_cmpx_le_u32_e64 v10, v11
	s_xor_b32 s4, exec_lo, s4
	s_cbranch_execz .LBB1991_163
; %bb.162:
	v_lshlrev_b32_e32 v11, 2, v0
	ds_load_b32 v13, v11 offset:4096
	v_add_co_u32 v11, vcc_lo, v3, v0
	v_add_co_ci_u32_e32 v12, vcc_lo, 0, v9, vcc_lo
	s_delay_alu instid0(VALU_DEP_1) | instskip(NEXT) | instid1(VALU_DEP_1)
	v_lshlrev_b64 v[11:12], 2, v[11:12]
	v_sub_co_u32 v11, vcc_lo, s1, v11
	s_delay_alu instid0(VALU_DEP_2)
	v_sub_co_ci_u32_e32 v12, vcc_lo, s0, v12, vcc_lo
	s_waitcnt lgkmcnt(0)
	global_store_b32 v[11:12], v13, off offset:-4096
                                        ; implicit-def: $vgpr11
.LBB1991_163:
	s_and_not1_saveexec_b32 s4, s4
	s_cbranch_execz .LBB1991_165
; %bb.164:
	v_lshlrev_b32_e32 v12, 2, v0
	v_lshlrev_b32_e32 v11, 2, v11
	v_readfirstlane_b32 s6, v5
	v_readfirstlane_b32 s7, v6
	ds_load_b32 v12, v12 offset:4096
	s_waitcnt lgkmcnt(0)
	global_store_b32 v11, v12, s[6:7]
.LBB1991_165:
	s_or_b32 exec_lo, exec_lo, s4
                                        ; implicit-def: $vgpr11
.LBB1991_166:
	s_and_not1_saveexec_b32 s2, s2
	s_cbranch_execz .LBB1991_168
; %bb.167:
	v_lshlrev_b32_e32 v12, 2, v0
	v_lshlrev_b32_e32 v11, 2, v11
	v_readfirstlane_b32 s4, v7
	v_readfirstlane_b32 s5, v8
	ds_load_b32 v12, v12 offset:4096
	s_waitcnt lgkmcnt(0)
	global_store_b32 v11, v12, s[4:5]
.LBB1991_168:
	s_or_b32 exec_lo, exec_lo, s2
	v_or_b32_e32 v11, 0x500, v0
	s_mov_b32 s2, exec_lo
	s_delay_alu instid0(VALU_DEP_1)
	v_cmpx_le_u32_e64 v1, v11
	s_xor_b32 s2, exec_lo, s2
	s_cbranch_execz .LBB1991_174
; %bb.169:
	s_mov_b32 s4, exec_lo
	v_cmpx_le_u32_e64 v10, v11
	s_xor_b32 s4, exec_lo, s4
	s_cbranch_execz .LBB1991_171
; %bb.170:
	v_lshlrev_b32_e32 v12, 2, v0
	v_add_co_u32 v11, vcc_lo, v3, v11
	ds_load_b32 v13, v12 offset:5120
	v_add_co_ci_u32_e32 v12, vcc_lo, 0, v9, vcc_lo
	s_delay_alu instid0(VALU_DEP_1) | instskip(NEXT) | instid1(VALU_DEP_1)
	v_lshlrev_b64 v[11:12], 2, v[11:12]
	v_sub_co_u32 v11, vcc_lo, s1, v11
	s_delay_alu instid0(VALU_DEP_2)
	v_sub_co_ci_u32_e32 v12, vcc_lo, s0, v12, vcc_lo
	s_waitcnt lgkmcnt(0)
	global_store_b32 v[11:12], v13, off
                                        ; implicit-def: $vgpr11
.LBB1991_171:
	s_and_not1_saveexec_b32 s4, s4
	s_cbranch_execz .LBB1991_173
; %bb.172:
	v_lshlrev_b32_e32 v12, 2, v0
	v_lshlrev_b32_e32 v11, 2, v11
	v_readfirstlane_b32 s6, v5
	v_readfirstlane_b32 s7, v6
	ds_load_b32 v12, v12 offset:5120
	s_waitcnt lgkmcnt(0)
	global_store_b32 v11, v12, s[6:7]
.LBB1991_173:
	s_or_b32 exec_lo, exec_lo, s4
                                        ; implicit-def: $vgpr11
.LBB1991_174:
	s_and_not1_saveexec_b32 s2, s2
	s_cbranch_execz .LBB1991_176
; %bb.175:
	v_lshlrev_b32_e32 v12, 2, v0
	v_lshlrev_b32_e32 v11, 2, v11
	v_readfirstlane_b32 s4, v7
	v_readfirstlane_b32 s5, v8
	ds_load_b32 v12, v12 offset:5120
	s_waitcnt lgkmcnt(0)
	global_store_b32 v11, v12, s[4:5]
.LBB1991_176:
	s_or_b32 exec_lo, exec_lo, s2
	v_or_b32_e32 v11, 0x600, v0
	s_mov_b32 s2, exec_lo
	s_delay_alu instid0(VALU_DEP_1)
	v_cmpx_le_u32_e64 v1, v11
	s_xor_b32 s2, exec_lo, s2
	s_cbranch_execz .LBB1991_182
; %bb.177:
	s_mov_b32 s4, exec_lo
	v_cmpx_le_u32_e64 v10, v11
	s_xor_b32 s4, exec_lo, s4
	s_cbranch_execz .LBB1991_179
; %bb.178:
	v_lshlrev_b32_e32 v12, 2, v0
	v_add_co_u32 v11, vcc_lo, v3, v11
	ds_load_b32 v13, v12 offset:6144
	v_add_co_ci_u32_e32 v12, vcc_lo, 0, v9, vcc_lo
	s_delay_alu instid0(VALU_DEP_1) | instskip(NEXT) | instid1(VALU_DEP_1)
	v_lshlrev_b64 v[11:12], 2, v[11:12]
	v_sub_co_u32 v11, vcc_lo, s1, v11
	s_delay_alu instid0(VALU_DEP_2)
	v_sub_co_ci_u32_e32 v12, vcc_lo, s0, v12, vcc_lo
	s_waitcnt lgkmcnt(0)
	global_store_b32 v[11:12], v13, off
                                        ; implicit-def: $vgpr11
.LBB1991_179:
	s_and_not1_saveexec_b32 s4, s4
	s_cbranch_execz .LBB1991_181
; %bb.180:
	v_lshlrev_b32_e32 v12, 2, v0
	v_lshlrev_b32_e32 v11, 2, v11
	v_readfirstlane_b32 s6, v5
	v_readfirstlane_b32 s7, v6
	ds_load_b32 v12, v12 offset:6144
	s_waitcnt lgkmcnt(0)
	global_store_b32 v11, v12, s[6:7]
.LBB1991_181:
	s_or_b32 exec_lo, exec_lo, s4
                                        ; implicit-def: $vgpr11
.LBB1991_182:
	;; [unrolled: 51-line block ×8, first 2 shown]
	s_and_not1_saveexec_b32 s2, s2
	s_cbranch_execz .LBB1991_232
; %bb.231:
	v_lshlrev_b32_e32 v12, 2, v0
	v_lshlrev_b32_e32 v11, 2, v11
	v_readfirstlane_b32 s4, v7
	v_readfirstlane_b32 s5, v8
	ds_load_b32 v12, v12 offset:12288
	s_waitcnt lgkmcnt(0)
	global_store_b32 v11, v12, s[4:5]
.LBB1991_232:
	s_or_b32 exec_lo, exec_lo, s2
	s_branch .LBB1991_126
.LBB1991_233:
	s_mov_b32 s2, exec_lo
	v_cmpx_gt_u32_e64 s3, v0
	s_cbranch_execz .LBB1991_242
; %bb.234:
	s_mov_b32 s4, exec_lo
	v_cmpx_le_u32_e64 v1, v0
	s_xor_b32 s4, exec_lo, s4
	s_cbranch_execz .LBB1991_240
; %bb.235:
	s_mov_b32 s5, exec_lo
	v_cmpx_le_u32_e64 v10, v0
	s_xor_b32 s5, exec_lo, s5
	s_cbranch_execz .LBB1991_237
; %bb.236:
	v_lshlrev_b32_e32 v11, 2, v0
	ds_load_b32 v13, v11
	v_add_co_u32 v11, vcc_lo, v3, v0
	v_add_co_ci_u32_e32 v12, vcc_lo, 0, v9, vcc_lo
	s_delay_alu instid0(VALU_DEP_1) | instskip(NEXT) | instid1(VALU_DEP_1)
	v_lshlrev_b64 v[11:12], 2, v[11:12]
	v_sub_co_u32 v11, vcc_lo, s26, v11
	s_delay_alu instid0(VALU_DEP_2)
	v_sub_co_ci_u32_e32 v12, vcc_lo, s27, v12, vcc_lo
	s_waitcnt lgkmcnt(0)
	global_store_b32 v[11:12], v13, off offset:-4
.LBB1991_237:
	s_and_not1_saveexec_b32 s5, s5
	s_cbranch_execz .LBB1991_239
; %bb.238:
	v_lshlrev_b32_e32 v11, 2, v0
	v_readfirstlane_b32 s6, v5
	v_readfirstlane_b32 s7, v6
	ds_load_b32 v12, v11
	s_waitcnt lgkmcnt(0)
	global_store_b32 v11, v12, s[6:7]
.LBB1991_239:
	s_or_b32 exec_lo, exec_lo, s5
.LBB1991_240:
	s_and_not1_saveexec_b32 s4, s4
	s_cbranch_execz .LBB1991_242
; %bb.241:
	v_lshlrev_b32_e32 v11, 2, v0
	v_readfirstlane_b32 s4, v7
	v_readfirstlane_b32 s5, v8
	ds_load_b32 v12, v11
	s_waitcnt lgkmcnt(0)
	global_store_b32 v11, v12, s[4:5]
.LBB1991_242:
	s_or_b32 exec_lo, exec_lo, s2
	v_or_b32_e32 v11, 0x100, v0
	s_mov_b32 s2, exec_lo
	s_delay_alu instid0(VALU_DEP_1)
	v_cmpx_gt_u32_e64 s3, v11
	s_cbranch_execz .LBB1991_251
; %bb.243:
	s_mov_b32 s4, exec_lo
	v_cmpx_le_u32_e64 v1, v11
	s_xor_b32 s4, exec_lo, s4
	s_cbranch_execz .LBB1991_249
; %bb.244:
	s_mov_b32 s5, exec_lo
	v_cmpx_le_u32_e64 v10, v11
	s_xor_b32 s5, exec_lo, s5
	s_cbranch_execz .LBB1991_246
; %bb.245:
	v_lshlrev_b32_e32 v11, 2, v0
	ds_load_b32 v13, v11 offset:1024
	v_add_co_u32 v11, vcc_lo, v3, v0
	v_add_co_ci_u32_e32 v12, vcc_lo, 0, v9, vcc_lo
	s_delay_alu instid0(VALU_DEP_1) | instskip(NEXT) | instid1(VALU_DEP_1)
	v_lshlrev_b64 v[11:12], 2, v[11:12]
	v_sub_co_u32 v11, vcc_lo, s1, v11
	s_delay_alu instid0(VALU_DEP_2)
	v_sub_co_ci_u32_e32 v12, vcc_lo, s0, v12, vcc_lo
	s_waitcnt lgkmcnt(0)
	global_store_b32 v[11:12], v13, off offset:-1024
.LBB1991_246:
	s_and_not1_saveexec_b32 s5, s5
	s_cbranch_execz .LBB1991_248
; %bb.247:
	v_lshlrev_b32_e32 v11, 2, v0
	v_readfirstlane_b32 s6, v5
	v_readfirstlane_b32 s7, v6
	ds_load_b32 v12, v11 offset:1024
	s_waitcnt lgkmcnt(0)
	global_store_b32 v11, v12, s[6:7] offset:1024
.LBB1991_248:
	s_or_b32 exec_lo, exec_lo, s5
.LBB1991_249:
	s_and_not1_saveexec_b32 s4, s4
	s_cbranch_execz .LBB1991_251
; %bb.250:
	v_lshlrev_b32_e32 v11, 2, v0
	v_readfirstlane_b32 s4, v7
	v_readfirstlane_b32 s5, v8
	ds_load_b32 v12, v11 offset:1024
	s_waitcnt lgkmcnt(0)
	global_store_b32 v11, v12, s[4:5] offset:1024
.LBB1991_251:
	s_or_b32 exec_lo, exec_lo, s2
	v_or_b32_e32 v11, 0x200, v0
	s_mov_b32 s2, exec_lo
	s_delay_alu instid0(VALU_DEP_1)
	v_cmpx_gt_u32_e64 s3, v11
	s_cbranch_execz .LBB1991_260
; %bb.252:
	s_mov_b32 s4, exec_lo
	v_cmpx_le_u32_e64 v1, v11
	s_xor_b32 s4, exec_lo, s4
	s_cbranch_execz .LBB1991_258
; %bb.253:
	s_mov_b32 s5, exec_lo
	v_cmpx_le_u32_e64 v10, v11
	s_xor_b32 s5, exec_lo, s5
	s_cbranch_execz .LBB1991_255
; %bb.254:
	v_lshlrev_b32_e32 v11, 2, v0
	ds_load_b32 v13, v11 offset:2048
	v_add_co_u32 v11, vcc_lo, v3, v0
	v_add_co_ci_u32_e32 v12, vcc_lo, 0, v9, vcc_lo
	s_delay_alu instid0(VALU_DEP_1) | instskip(NEXT) | instid1(VALU_DEP_1)
	v_lshlrev_b64 v[11:12], 2, v[11:12]
	v_sub_co_u32 v11, vcc_lo, s1, v11
	s_delay_alu instid0(VALU_DEP_2)
	v_sub_co_ci_u32_e32 v12, vcc_lo, s0, v12, vcc_lo
	s_waitcnt lgkmcnt(0)
	global_store_b32 v[11:12], v13, off offset:-2048
.LBB1991_255:
	s_and_not1_saveexec_b32 s5, s5
	s_cbranch_execz .LBB1991_257
; %bb.256:
	v_lshlrev_b32_e32 v11, 2, v0
	v_readfirstlane_b32 s6, v5
	v_readfirstlane_b32 s7, v6
	ds_load_b32 v12, v11 offset:2048
	s_waitcnt lgkmcnt(0)
	global_store_b32 v11, v12, s[6:7] offset:2048
.LBB1991_257:
	s_or_b32 exec_lo, exec_lo, s5
.LBB1991_258:
	s_and_not1_saveexec_b32 s4, s4
	s_cbranch_execz .LBB1991_260
; %bb.259:
	v_lshlrev_b32_e32 v11, 2, v0
	v_readfirstlane_b32 s4, v7
	v_readfirstlane_b32 s5, v8
	ds_load_b32 v12, v11 offset:2048
	s_waitcnt lgkmcnt(0)
	global_store_b32 v11, v12, s[4:5] offset:2048
.LBB1991_260:
	;; [unrolled: 51-line block ×3, first 2 shown]
	s_or_b32 exec_lo, exec_lo, s2
	v_or_b32_e32 v11, 0x400, v0
	s_mov_b32 s2, exec_lo
	s_delay_alu instid0(VALU_DEP_1)
	v_cmpx_gt_u32_e64 s3, v11
	s_cbranch_execz .LBB1991_278
; %bb.270:
	s_mov_b32 s4, exec_lo
	v_cmpx_le_u32_e64 v1, v11
	s_xor_b32 s4, exec_lo, s4
	s_cbranch_execz .LBB1991_276
; %bb.271:
	s_mov_b32 s5, exec_lo
	v_cmpx_le_u32_e64 v10, v11
	s_xor_b32 s5, exec_lo, s5
	s_cbranch_execz .LBB1991_273
; %bb.272:
	v_lshlrev_b32_e32 v11, 2, v0
	ds_load_b32 v13, v11 offset:4096
	v_add_co_u32 v11, vcc_lo, v3, v0
	v_add_co_ci_u32_e32 v12, vcc_lo, 0, v9, vcc_lo
	s_delay_alu instid0(VALU_DEP_1) | instskip(NEXT) | instid1(VALU_DEP_1)
	v_lshlrev_b64 v[11:12], 2, v[11:12]
	v_sub_co_u32 v11, vcc_lo, s1, v11
	s_delay_alu instid0(VALU_DEP_2)
	v_sub_co_ci_u32_e32 v12, vcc_lo, s0, v12, vcc_lo
	s_waitcnt lgkmcnt(0)
	global_store_b32 v[11:12], v13, off offset:-4096
                                        ; implicit-def: $vgpr11
.LBB1991_273:
	s_and_not1_saveexec_b32 s5, s5
	s_cbranch_execz .LBB1991_275
; %bb.274:
	v_lshlrev_b32_e32 v12, 2, v0
	v_lshlrev_b32_e32 v11, 2, v11
	v_readfirstlane_b32 s6, v5
	v_readfirstlane_b32 s7, v6
	ds_load_b32 v12, v12 offset:4096
	s_waitcnt lgkmcnt(0)
	global_store_b32 v11, v12, s[6:7]
.LBB1991_275:
	s_or_b32 exec_lo, exec_lo, s5
                                        ; implicit-def: $vgpr11
.LBB1991_276:
	s_and_not1_saveexec_b32 s4, s4
	s_cbranch_execz .LBB1991_278
; %bb.277:
	v_lshlrev_b32_e32 v12, 2, v0
	v_lshlrev_b32_e32 v11, 2, v11
	v_readfirstlane_b32 s4, v7
	v_readfirstlane_b32 s5, v8
	ds_load_b32 v12, v12 offset:4096
	s_waitcnt lgkmcnt(0)
	global_store_b32 v11, v12, s[4:5]
.LBB1991_278:
	s_or_b32 exec_lo, exec_lo, s2
	v_or_b32_e32 v11, 0x500, v0
	s_mov_b32 s2, exec_lo
	s_delay_alu instid0(VALU_DEP_1)
	v_cmpx_gt_u32_e64 s3, v11
	s_cbranch_execz .LBB1991_287
; %bb.279:
	s_mov_b32 s4, exec_lo
	v_cmpx_le_u32_e64 v1, v11
	s_xor_b32 s4, exec_lo, s4
	s_cbranch_execz .LBB1991_285
; %bb.280:
	s_mov_b32 s5, exec_lo
	v_cmpx_le_u32_e64 v10, v11
	s_xor_b32 s5, exec_lo, s5
	s_cbranch_execz .LBB1991_282
; %bb.281:
	v_lshlrev_b32_e32 v12, 2, v0
	v_add_co_u32 v11, vcc_lo, v3, v11
	ds_load_b32 v13, v12 offset:5120
	v_add_co_ci_u32_e32 v12, vcc_lo, 0, v9, vcc_lo
	s_delay_alu instid0(VALU_DEP_1) | instskip(NEXT) | instid1(VALU_DEP_1)
	v_lshlrev_b64 v[11:12], 2, v[11:12]
	v_sub_co_u32 v11, vcc_lo, s1, v11
	s_delay_alu instid0(VALU_DEP_2)
	v_sub_co_ci_u32_e32 v12, vcc_lo, s0, v12, vcc_lo
	s_waitcnt lgkmcnt(0)
	global_store_b32 v[11:12], v13, off
                                        ; implicit-def: $vgpr11
.LBB1991_282:
	s_and_not1_saveexec_b32 s5, s5
	s_cbranch_execz .LBB1991_284
; %bb.283:
	v_lshlrev_b32_e32 v12, 2, v0
	v_lshlrev_b32_e32 v11, 2, v11
	v_readfirstlane_b32 s6, v5
	v_readfirstlane_b32 s7, v6
	ds_load_b32 v12, v12 offset:5120
	s_waitcnt lgkmcnt(0)
	global_store_b32 v11, v12, s[6:7]
.LBB1991_284:
	s_or_b32 exec_lo, exec_lo, s5
                                        ; implicit-def: $vgpr11
.LBB1991_285:
	s_and_not1_saveexec_b32 s4, s4
	s_cbranch_execz .LBB1991_287
; %bb.286:
	v_lshlrev_b32_e32 v12, 2, v0
	v_lshlrev_b32_e32 v11, 2, v11
	v_readfirstlane_b32 s4, v7
	v_readfirstlane_b32 s5, v8
	ds_load_b32 v12, v12 offset:5120
	s_waitcnt lgkmcnt(0)
	global_store_b32 v11, v12, s[4:5]
.LBB1991_287:
	s_or_b32 exec_lo, exec_lo, s2
	v_or_b32_e32 v11, 0x600, v0
	s_mov_b32 s2, exec_lo
	s_delay_alu instid0(VALU_DEP_1)
	v_cmpx_gt_u32_e64 s3, v11
	s_cbranch_execz .LBB1991_296
; %bb.288:
	s_mov_b32 s4, exec_lo
	v_cmpx_le_u32_e64 v1, v11
	s_xor_b32 s4, exec_lo, s4
	s_cbranch_execz .LBB1991_294
; %bb.289:
	s_mov_b32 s5, exec_lo
	v_cmpx_le_u32_e64 v10, v11
	s_xor_b32 s5, exec_lo, s5
	s_cbranch_execz .LBB1991_291
; %bb.290:
	v_lshlrev_b32_e32 v12, 2, v0
	v_add_co_u32 v11, vcc_lo, v3, v11
	ds_load_b32 v13, v12 offset:6144
	v_add_co_ci_u32_e32 v12, vcc_lo, 0, v9, vcc_lo
	s_delay_alu instid0(VALU_DEP_1) | instskip(NEXT) | instid1(VALU_DEP_1)
	v_lshlrev_b64 v[11:12], 2, v[11:12]
	v_sub_co_u32 v11, vcc_lo, s1, v11
	s_delay_alu instid0(VALU_DEP_2)
	v_sub_co_ci_u32_e32 v12, vcc_lo, s0, v12, vcc_lo
	s_waitcnt lgkmcnt(0)
	global_store_b32 v[11:12], v13, off
                                        ; implicit-def: $vgpr11
.LBB1991_291:
	s_and_not1_saveexec_b32 s5, s5
	s_cbranch_execz .LBB1991_293
; %bb.292:
	v_lshlrev_b32_e32 v12, 2, v0
	v_lshlrev_b32_e32 v11, 2, v11
	v_readfirstlane_b32 s6, v5
	v_readfirstlane_b32 s7, v6
	ds_load_b32 v12, v12 offset:6144
	s_waitcnt lgkmcnt(0)
	global_store_b32 v11, v12, s[6:7]
.LBB1991_293:
	s_or_b32 exec_lo, exec_lo, s5
                                        ; implicit-def: $vgpr11
.LBB1991_294:
	s_and_not1_saveexec_b32 s4, s4
	s_cbranch_execz .LBB1991_296
; %bb.295:
	v_lshlrev_b32_e32 v12, 2, v0
	v_lshlrev_b32_e32 v11, 2, v11
	v_readfirstlane_b32 s4, v7
	v_readfirstlane_b32 s5, v8
	ds_load_b32 v12, v12 offset:6144
	s_waitcnt lgkmcnt(0)
	global_store_b32 v11, v12, s[4:5]
.LBB1991_296:
	s_or_b32 exec_lo, exec_lo, s2
	v_or_b32_e32 v11, 0x700, v0
	s_mov_b32 s2, exec_lo
	s_delay_alu instid0(VALU_DEP_1)
	v_cmpx_gt_u32_e64 s3, v11
	s_cbranch_execz .LBB1991_305
; %bb.297:
	s_mov_b32 s4, exec_lo
	v_cmpx_le_u32_e64 v1, v11
	s_xor_b32 s4, exec_lo, s4
	s_cbranch_execz .LBB1991_303
; %bb.298:
	s_mov_b32 s5, exec_lo
	v_cmpx_le_u32_e64 v10, v11
	s_xor_b32 s5, exec_lo, s5
	s_cbranch_execz .LBB1991_300
; %bb.299:
	v_lshlrev_b32_e32 v12, 2, v0
	v_add_co_u32 v11, vcc_lo, v3, v11
	ds_load_b32 v13, v12 offset:7168
	v_add_co_ci_u32_e32 v12, vcc_lo, 0, v9, vcc_lo
	s_delay_alu instid0(VALU_DEP_1) | instskip(NEXT) | instid1(VALU_DEP_1)
	v_lshlrev_b64 v[11:12], 2, v[11:12]
	v_sub_co_u32 v11, vcc_lo, s1, v11
	s_delay_alu instid0(VALU_DEP_2)
	v_sub_co_ci_u32_e32 v12, vcc_lo, s0, v12, vcc_lo
	s_waitcnt lgkmcnt(0)
	global_store_b32 v[11:12], v13, off
                                        ; implicit-def: $vgpr11
.LBB1991_300:
	s_and_not1_saveexec_b32 s5, s5
	s_cbranch_execz .LBB1991_302
; %bb.301:
	v_lshlrev_b32_e32 v12, 2, v0
	v_lshlrev_b32_e32 v11, 2, v11
	v_readfirstlane_b32 s6, v5
	v_readfirstlane_b32 s7, v6
	ds_load_b32 v12, v12 offset:7168
	s_waitcnt lgkmcnt(0)
	global_store_b32 v11, v12, s[6:7]
.LBB1991_302:
	s_or_b32 exec_lo, exec_lo, s5
                                        ; implicit-def: $vgpr11
.LBB1991_303:
	s_and_not1_saveexec_b32 s4, s4
	s_cbranch_execz .LBB1991_305
; %bb.304:
	v_lshlrev_b32_e32 v12, 2, v0
	v_lshlrev_b32_e32 v11, 2, v11
	v_readfirstlane_b32 s4, v7
	v_readfirstlane_b32 s5, v8
	ds_load_b32 v12, v12 offset:7168
	s_waitcnt lgkmcnt(0)
	global_store_b32 v11, v12, s[4:5]
.LBB1991_305:
	s_or_b32 exec_lo, exec_lo, s2
	v_or_b32_e32 v11, 0x800, v0
	s_mov_b32 s2, exec_lo
	s_delay_alu instid0(VALU_DEP_1)
	v_cmpx_gt_u32_e64 s3, v11
	s_cbranch_execz .LBB1991_314
; %bb.306:
	s_mov_b32 s4, exec_lo
	v_cmpx_le_u32_e64 v1, v11
	s_xor_b32 s4, exec_lo, s4
	s_cbranch_execz .LBB1991_312
; %bb.307:
	s_mov_b32 s5, exec_lo
	v_cmpx_le_u32_e64 v10, v11
	s_xor_b32 s5, exec_lo, s5
	s_cbranch_execz .LBB1991_309
; %bb.308:
	v_lshlrev_b32_e32 v12, 2, v0
	v_add_co_u32 v11, vcc_lo, v3, v11
	ds_load_b32 v13, v12 offset:8192
	v_add_co_ci_u32_e32 v12, vcc_lo, 0, v9, vcc_lo
	s_delay_alu instid0(VALU_DEP_1) | instskip(NEXT) | instid1(VALU_DEP_1)
	v_lshlrev_b64 v[11:12], 2, v[11:12]
	v_sub_co_u32 v11, vcc_lo, s1, v11
	s_delay_alu instid0(VALU_DEP_2)
	v_sub_co_ci_u32_e32 v12, vcc_lo, s0, v12, vcc_lo
	s_waitcnt lgkmcnt(0)
	global_store_b32 v[11:12], v13, off
                                        ; implicit-def: $vgpr11
.LBB1991_309:
	s_and_not1_saveexec_b32 s5, s5
	s_cbranch_execz .LBB1991_311
; %bb.310:
	v_lshlrev_b32_e32 v12, 2, v0
	v_lshlrev_b32_e32 v11, 2, v11
	v_readfirstlane_b32 s6, v5
	v_readfirstlane_b32 s7, v6
	ds_load_b32 v12, v12 offset:8192
	s_waitcnt lgkmcnt(0)
	global_store_b32 v11, v12, s[6:7]
.LBB1991_311:
	s_or_b32 exec_lo, exec_lo, s5
                                        ; implicit-def: $vgpr11
.LBB1991_312:
	s_and_not1_saveexec_b32 s4, s4
	s_cbranch_execz .LBB1991_314
; %bb.313:
	v_lshlrev_b32_e32 v12, 2, v0
	v_lshlrev_b32_e32 v11, 2, v11
	v_readfirstlane_b32 s4, v7
	v_readfirstlane_b32 s5, v8
	ds_load_b32 v12, v12 offset:8192
	s_waitcnt lgkmcnt(0)
	global_store_b32 v11, v12, s[4:5]
.LBB1991_314:
	s_or_b32 exec_lo, exec_lo, s2
	v_or_b32_e32 v11, 0x900, v0
	s_mov_b32 s2, exec_lo
	s_delay_alu instid0(VALU_DEP_1)
	v_cmpx_gt_u32_e64 s3, v11
	s_cbranch_execz .LBB1991_323
; %bb.315:
	s_mov_b32 s4, exec_lo
	v_cmpx_le_u32_e64 v1, v11
	s_xor_b32 s4, exec_lo, s4
	s_cbranch_execz .LBB1991_321
; %bb.316:
	s_mov_b32 s5, exec_lo
	v_cmpx_le_u32_e64 v10, v11
	s_xor_b32 s5, exec_lo, s5
	s_cbranch_execz .LBB1991_318
; %bb.317:
	v_lshlrev_b32_e32 v12, 2, v0
	v_add_co_u32 v11, vcc_lo, v3, v11
	ds_load_b32 v13, v12 offset:9216
	v_add_co_ci_u32_e32 v12, vcc_lo, 0, v9, vcc_lo
	s_delay_alu instid0(VALU_DEP_1) | instskip(NEXT) | instid1(VALU_DEP_1)
	v_lshlrev_b64 v[11:12], 2, v[11:12]
	v_sub_co_u32 v11, vcc_lo, s1, v11
	s_delay_alu instid0(VALU_DEP_2)
	v_sub_co_ci_u32_e32 v12, vcc_lo, s0, v12, vcc_lo
	s_waitcnt lgkmcnt(0)
	global_store_b32 v[11:12], v13, off
                                        ; implicit-def: $vgpr11
.LBB1991_318:
	s_and_not1_saveexec_b32 s5, s5
	s_cbranch_execz .LBB1991_320
; %bb.319:
	v_lshlrev_b32_e32 v12, 2, v0
	v_lshlrev_b32_e32 v11, 2, v11
	v_readfirstlane_b32 s6, v5
	v_readfirstlane_b32 s7, v6
	ds_load_b32 v12, v12 offset:9216
	s_waitcnt lgkmcnt(0)
	global_store_b32 v11, v12, s[6:7]
.LBB1991_320:
	s_or_b32 exec_lo, exec_lo, s5
                                        ; implicit-def: $vgpr11
.LBB1991_321:
	s_and_not1_saveexec_b32 s4, s4
	s_cbranch_execz .LBB1991_323
; %bb.322:
	v_lshlrev_b32_e32 v12, 2, v0
	v_lshlrev_b32_e32 v11, 2, v11
	v_readfirstlane_b32 s4, v7
	v_readfirstlane_b32 s5, v8
	ds_load_b32 v12, v12 offset:9216
	s_waitcnt lgkmcnt(0)
	global_store_b32 v11, v12, s[4:5]
.LBB1991_323:
	s_or_b32 exec_lo, exec_lo, s2
	v_or_b32_e32 v11, 0xa00, v0
	s_mov_b32 s2, exec_lo
	s_delay_alu instid0(VALU_DEP_1)
	v_cmpx_gt_u32_e64 s3, v11
	s_cbranch_execz .LBB1991_332
; %bb.324:
	s_mov_b32 s4, exec_lo
	v_cmpx_le_u32_e64 v1, v11
	s_xor_b32 s4, exec_lo, s4
	s_cbranch_execz .LBB1991_330
; %bb.325:
	s_mov_b32 s5, exec_lo
	v_cmpx_le_u32_e64 v10, v11
	s_xor_b32 s5, exec_lo, s5
	s_cbranch_execz .LBB1991_327
; %bb.326:
	v_lshlrev_b32_e32 v12, 2, v0
	v_add_co_u32 v11, vcc_lo, v3, v11
	ds_load_b32 v13, v12 offset:10240
	v_add_co_ci_u32_e32 v12, vcc_lo, 0, v9, vcc_lo
	s_delay_alu instid0(VALU_DEP_1) | instskip(NEXT) | instid1(VALU_DEP_1)
	v_lshlrev_b64 v[11:12], 2, v[11:12]
	v_sub_co_u32 v11, vcc_lo, s1, v11
	s_delay_alu instid0(VALU_DEP_2)
	v_sub_co_ci_u32_e32 v12, vcc_lo, s0, v12, vcc_lo
	s_waitcnt lgkmcnt(0)
	global_store_b32 v[11:12], v13, off
                                        ; implicit-def: $vgpr11
.LBB1991_327:
	s_and_not1_saveexec_b32 s5, s5
	s_cbranch_execz .LBB1991_329
; %bb.328:
	v_lshlrev_b32_e32 v12, 2, v0
	v_lshlrev_b32_e32 v11, 2, v11
	v_readfirstlane_b32 s6, v5
	v_readfirstlane_b32 s7, v6
	ds_load_b32 v12, v12 offset:10240
	s_waitcnt lgkmcnt(0)
	global_store_b32 v11, v12, s[6:7]
.LBB1991_329:
	s_or_b32 exec_lo, exec_lo, s5
                                        ; implicit-def: $vgpr11
.LBB1991_330:
	s_and_not1_saveexec_b32 s4, s4
	s_cbranch_execz .LBB1991_332
; %bb.331:
	v_lshlrev_b32_e32 v12, 2, v0
	v_lshlrev_b32_e32 v11, 2, v11
	v_readfirstlane_b32 s4, v7
	v_readfirstlane_b32 s5, v8
	ds_load_b32 v12, v12 offset:10240
	s_waitcnt lgkmcnt(0)
	global_store_b32 v11, v12, s[4:5]
.LBB1991_332:
	s_or_b32 exec_lo, exec_lo, s2
	v_or_b32_e32 v11, 0xb00, v0
	s_mov_b32 s2, exec_lo
	s_delay_alu instid0(VALU_DEP_1)
	v_cmpx_gt_u32_e64 s3, v11
	s_cbranch_execz .LBB1991_341
; %bb.333:
	s_mov_b32 s4, exec_lo
	v_cmpx_le_u32_e64 v1, v11
	s_xor_b32 s4, exec_lo, s4
	s_cbranch_execz .LBB1991_339
; %bb.334:
	s_mov_b32 s5, exec_lo
	v_cmpx_le_u32_e64 v10, v11
	s_xor_b32 s5, exec_lo, s5
	s_cbranch_execz .LBB1991_336
; %bb.335:
	v_lshlrev_b32_e32 v12, 2, v0
	v_add_co_u32 v11, vcc_lo, v3, v11
	ds_load_b32 v13, v12 offset:11264
	v_add_co_ci_u32_e32 v12, vcc_lo, 0, v9, vcc_lo
	s_delay_alu instid0(VALU_DEP_1) | instskip(NEXT) | instid1(VALU_DEP_1)
	v_lshlrev_b64 v[11:12], 2, v[11:12]
	v_sub_co_u32 v11, vcc_lo, s1, v11
	s_delay_alu instid0(VALU_DEP_2)
	v_sub_co_ci_u32_e32 v12, vcc_lo, s0, v12, vcc_lo
	s_waitcnt lgkmcnt(0)
	global_store_b32 v[11:12], v13, off
                                        ; implicit-def: $vgpr11
.LBB1991_336:
	s_and_not1_saveexec_b32 s5, s5
	s_cbranch_execz .LBB1991_338
; %bb.337:
	v_lshlrev_b32_e32 v12, 2, v0
	v_lshlrev_b32_e32 v11, 2, v11
	v_readfirstlane_b32 s6, v5
	v_readfirstlane_b32 s7, v6
	ds_load_b32 v12, v12 offset:11264
	s_waitcnt lgkmcnt(0)
	global_store_b32 v11, v12, s[6:7]
.LBB1991_338:
	s_or_b32 exec_lo, exec_lo, s5
                                        ; implicit-def: $vgpr11
.LBB1991_339:
	s_and_not1_saveexec_b32 s4, s4
	s_cbranch_execz .LBB1991_341
; %bb.340:
	v_lshlrev_b32_e32 v12, 2, v0
	v_lshlrev_b32_e32 v11, 2, v11
	v_readfirstlane_b32 s4, v7
	v_readfirstlane_b32 s5, v8
	ds_load_b32 v12, v12 offset:11264
	s_waitcnt lgkmcnt(0)
	global_store_b32 v11, v12, s[4:5]
.LBB1991_341:
	s_or_b32 exec_lo, exec_lo, s2
	v_or_b32_e32 v11, 0xc00, v0
	s_mov_b32 s2, exec_lo
	s_delay_alu instid0(VALU_DEP_1)
	v_cmpx_gt_u32_e64 s3, v11
	s_cbranch_execz .LBB1991_350
; %bb.342:
	s_mov_b32 s3, exec_lo
	v_cmpx_le_u32_e64 v1, v11
	s_xor_b32 s3, exec_lo, s3
	s_cbranch_execz .LBB1991_348
; %bb.343:
	s_mov_b32 s4, exec_lo
	v_cmpx_le_u32_e64 v10, v11
	s_xor_b32 s4, exec_lo, s4
	s_cbranch_execz .LBB1991_345
; %bb.344:
	v_lshlrev_b32_e32 v5, 2, v0
	ds_load_b32 v7, v5 offset:12288
	v_add_co_u32 v5, vcc_lo, v3, v11
	v_add_co_ci_u32_e32 v6, vcc_lo, 0, v9, vcc_lo
                                        ; implicit-def: $vgpr11
	s_delay_alu instid0(VALU_DEP_1) | instskip(NEXT) | instid1(VALU_DEP_1)
	v_lshlrev_b64 v[5:6], 2, v[5:6]
	v_sub_co_u32 v5, vcc_lo, s1, v5
	s_delay_alu instid0(VALU_DEP_2)
	v_sub_co_ci_u32_e32 v6, vcc_lo, s0, v6, vcc_lo
	s_waitcnt lgkmcnt(0)
	global_store_b32 v[5:6], v7, off
                                        ; implicit-def: $vgpr5_vgpr6
.LBB1991_345:
	s_and_not1_saveexec_b32 s0, s4
	s_cbranch_execz .LBB1991_347
; %bb.346:
	v_lshlrev_b32_e32 v3, 2, v0
	v_lshlrev_b32_e32 v7, 2, v11
	v_readfirstlane_b32 s4, v5
	v_readfirstlane_b32 s5, v6
	ds_load_b32 v3, v3 offset:12288
	s_waitcnt lgkmcnt(0)
	global_store_b32 v7, v3, s[4:5]
.LBB1991_347:
	s_or_b32 exec_lo, exec_lo, s0
                                        ; implicit-def: $vgpr11
                                        ; implicit-def: $vgpr7_vgpr8
.LBB1991_348:
	s_and_not1_saveexec_b32 s0, s3
	s_cbranch_execz .LBB1991_350
; %bb.349:
	v_lshlrev_b32_e32 v3, 2, v0
	v_lshlrev_b32_e32 v5, 2, v11
	v_readfirstlane_b32 s0, v7
	v_readfirstlane_b32 s1, v8
	ds_load_b32 v3, v3 offset:12288
	s_waitcnt lgkmcnt(0)
	global_store_b32 v5, v3, s[0:1]
.LBB1991_350:
	s_or_b32 exec_lo, exec_lo, s2
	v_cmp_eq_u32_e32 vcc_lo, 0, v0
	s_and_b32 s0, vcc_lo, s14
	s_delay_alu instid0(SALU_CYCLE_1)
	s_and_saveexec_b32 s1, s0
	s_cbranch_execz .LBB1991_127
.LBB1991_351:
	v_add_co_u32 v2, s0, s30, v2
	s_delay_alu instid0(VALU_DEP_1) | instskip(SKIP_2) | instid1(VALU_DEP_4)
	v_add_co_ci_u32_e64 v3, null, s31, 0, s0
	v_add_co_u32 v0, vcc_lo, v18, v1
	v_add_co_ci_u32_e32 v1, vcc_lo, 0, v19, vcc_lo
	v_add_co_u32 v2, vcc_lo, v2, v4
	v_mov_b32_e32 v5, 0
	v_add_co_ci_u32_e32 v3, vcc_lo, 0, v3, vcc_lo
	global_store_b128 v5, v[0:3], s[24:25]
	s_nop 0
	s_sendmsg sendmsg(MSG_DEALLOC_VGPRS)
	s_endpgm
.LBB1991_352:
	v_add_nc_u32_e32 v3, s7, v23
	s_add_i32 s10, s15, 32
	s_mov_b32 s11, 0
	v_dual_mov_b32 v5, 0 :: v_dual_add_nc_u32 v2, v22, v1
	s_lshl_b64 s[10:11], s[10:11], 4
	v_and_b32_e32 v20, 0xff0000, v3
	s_add_u32 s10, s4, s10
	s_addc_u32 s11, s5, s11
	v_and_b32_e32 v4, 0xff000000, v3
	s_delay_alu instid0(VALU_DEP_1) | instskip(SKIP_2) | instid1(VALU_DEP_1)
	v_or_b32_e32 v20, v20, v4
	v_dual_mov_b32 v4, 2 :: v_dual_and_b32 v21, 0xff00, v3
	v_and_b32_e32 v3, 0xff, v3
	v_or3_b32 v3, v20, v21, v3
	v_dual_mov_b32 v21, s11 :: v_dual_mov_b32 v20, s10
	;;#ASMSTART
	global_store_dwordx4 v[20:21], v[2:5] off	
s_waitcnt vmcnt(0)
	;;#ASMEND
	s_or_b32 exec_lo, exec_lo, s8
	s_and_saveexec_b32 s8, s2
	s_cbranch_execz .LBB1991_111
.LBB1991_353:
	v_mov_b32_e32 v2, s7
	v_add_nc_u32_e64 v3, 0x3400, 0
	ds_store_2addr_b32 v3, v1, v2 offset1:2
	ds_store_2addr_b32 v3, v22, v23 offset0:4 offset1:6
	s_or_b32 exec_lo, exec_lo, s8
	v_cmp_eq_u32_e32 vcc_lo, 0, v0
	s_and_b32 exec_lo, exec_lo, vcc_lo
	s_cbranch_execnz .LBB1991_112
	s_branch .LBB1991_113
	.section	.rodata,"a",@progbits
	.p2align	6, 0x0
	.amdhsa_kernel _ZN7rocprim17ROCPRIM_400000_NS6detail17trampoline_kernelINS0_13select_configILj256ELj13ELNS0_17block_load_methodE3ELS4_3ELS4_3ELNS0_20block_scan_algorithmE0ELj4294967295EEENS1_25partition_config_selectorILNS1_17partition_subalgoE4EjNS0_10empty_typeEbEEZZNS1_14partition_implILS8_4ELb0ES6_15HIP_vector_typeIjLj2EENS0_17counting_iteratorIjlEEPS9_SG_NS0_5tupleIJPjSI_NS0_16reverse_iteratorISI_EEEEENSH_IJSG_SG_SG_EEES9_SI_JZNS1_25segmented_radix_sort_implINS0_14default_configELb0EPK12hip_bfloat16PSP_PKlPlN2at6native12_GLOBAL__N_18offset_tEEE10hipError_tPvRmT1_PNSt15iterator_traitsIS13_E10value_typeET2_T3_PNS14_IS19_E10value_typeET4_jRbjT5_S1F_jjP12ihipStream_tbEUljE_ZNSN_ISO_Lb0ESR_SS_SU_SV_SZ_EES10_S11_S12_S13_S17_S18_S19_S1C_S1D_jS1E_jS1F_S1F_jjS1H_bEUljE0_EEES10_S11_S12_S19_S1D_S1F_T6_T7_T9_mT8_S1H_bDpT10_ENKUlT_T0_E_clISt17integral_constantIbLb0EES1V_EEDaS1Q_S1R_EUlS1Q_E_NS1_11comp_targetILNS1_3genE9ELNS1_11target_archE1100ELNS1_3gpuE3ELNS1_3repE0EEENS1_30default_config_static_selectorELNS0_4arch9wavefront6targetE0EEEvS13_
		.amdhsa_group_segment_fixed_size 13340
		.amdhsa_private_segment_fixed_size 0
		.amdhsa_kernarg_size 176
		.amdhsa_user_sgpr_count 15
		.amdhsa_user_sgpr_dispatch_ptr 0
		.amdhsa_user_sgpr_queue_ptr 0
		.amdhsa_user_sgpr_kernarg_segment_ptr 1
		.amdhsa_user_sgpr_dispatch_id 0
		.amdhsa_user_sgpr_private_segment_size 0
		.amdhsa_wavefront_size32 1
		.amdhsa_uses_dynamic_stack 0
		.amdhsa_enable_private_segment 0
		.amdhsa_system_sgpr_workgroup_id_x 1
		.amdhsa_system_sgpr_workgroup_id_y 0
		.amdhsa_system_sgpr_workgroup_id_z 0
		.amdhsa_system_sgpr_workgroup_info 0
		.amdhsa_system_vgpr_workitem_id 0
		.amdhsa_next_free_vgpr 98
		.amdhsa_next_free_sgpr 59
		.amdhsa_reserve_vcc 1
		.amdhsa_float_round_mode_32 0
		.amdhsa_float_round_mode_16_64 0
		.amdhsa_float_denorm_mode_32 3
		.amdhsa_float_denorm_mode_16_64 3
		.amdhsa_dx10_clamp 1
		.amdhsa_ieee_mode 1
		.amdhsa_fp16_overflow 0
		.amdhsa_workgroup_processor_mode 1
		.amdhsa_memory_ordered 1
		.amdhsa_forward_progress 0
		.amdhsa_shared_vgpr_count 0
		.amdhsa_exception_fp_ieee_invalid_op 0
		.amdhsa_exception_fp_denorm_src 0
		.amdhsa_exception_fp_ieee_div_zero 0
		.amdhsa_exception_fp_ieee_overflow 0
		.amdhsa_exception_fp_ieee_underflow 0
		.amdhsa_exception_fp_ieee_inexact 0
		.amdhsa_exception_int_div_zero 0
	.end_amdhsa_kernel
	.section	.text._ZN7rocprim17ROCPRIM_400000_NS6detail17trampoline_kernelINS0_13select_configILj256ELj13ELNS0_17block_load_methodE3ELS4_3ELS4_3ELNS0_20block_scan_algorithmE0ELj4294967295EEENS1_25partition_config_selectorILNS1_17partition_subalgoE4EjNS0_10empty_typeEbEEZZNS1_14partition_implILS8_4ELb0ES6_15HIP_vector_typeIjLj2EENS0_17counting_iteratorIjlEEPS9_SG_NS0_5tupleIJPjSI_NS0_16reverse_iteratorISI_EEEEENSH_IJSG_SG_SG_EEES9_SI_JZNS1_25segmented_radix_sort_implINS0_14default_configELb0EPK12hip_bfloat16PSP_PKlPlN2at6native12_GLOBAL__N_18offset_tEEE10hipError_tPvRmT1_PNSt15iterator_traitsIS13_E10value_typeET2_T3_PNS14_IS19_E10value_typeET4_jRbjT5_S1F_jjP12ihipStream_tbEUljE_ZNSN_ISO_Lb0ESR_SS_SU_SV_SZ_EES10_S11_S12_S13_S17_S18_S19_S1C_S1D_jS1E_jS1F_S1F_jjS1H_bEUljE0_EEES10_S11_S12_S19_S1D_S1F_T6_T7_T9_mT8_S1H_bDpT10_ENKUlT_T0_E_clISt17integral_constantIbLb0EES1V_EEDaS1Q_S1R_EUlS1Q_E_NS1_11comp_targetILNS1_3genE9ELNS1_11target_archE1100ELNS1_3gpuE3ELNS1_3repE0EEENS1_30default_config_static_selectorELNS0_4arch9wavefront6targetE0EEEvS13_,"axG",@progbits,_ZN7rocprim17ROCPRIM_400000_NS6detail17trampoline_kernelINS0_13select_configILj256ELj13ELNS0_17block_load_methodE3ELS4_3ELS4_3ELNS0_20block_scan_algorithmE0ELj4294967295EEENS1_25partition_config_selectorILNS1_17partition_subalgoE4EjNS0_10empty_typeEbEEZZNS1_14partition_implILS8_4ELb0ES6_15HIP_vector_typeIjLj2EENS0_17counting_iteratorIjlEEPS9_SG_NS0_5tupleIJPjSI_NS0_16reverse_iteratorISI_EEEEENSH_IJSG_SG_SG_EEES9_SI_JZNS1_25segmented_radix_sort_implINS0_14default_configELb0EPK12hip_bfloat16PSP_PKlPlN2at6native12_GLOBAL__N_18offset_tEEE10hipError_tPvRmT1_PNSt15iterator_traitsIS13_E10value_typeET2_T3_PNS14_IS19_E10value_typeET4_jRbjT5_S1F_jjP12ihipStream_tbEUljE_ZNSN_ISO_Lb0ESR_SS_SU_SV_SZ_EES10_S11_S12_S13_S17_S18_S19_S1C_S1D_jS1E_jS1F_S1F_jjS1H_bEUljE0_EEES10_S11_S12_S19_S1D_S1F_T6_T7_T9_mT8_S1H_bDpT10_ENKUlT_T0_E_clISt17integral_constantIbLb0EES1V_EEDaS1Q_S1R_EUlS1Q_E_NS1_11comp_targetILNS1_3genE9ELNS1_11target_archE1100ELNS1_3gpuE3ELNS1_3repE0EEENS1_30default_config_static_selectorELNS0_4arch9wavefront6targetE0EEEvS13_,comdat
.Lfunc_end1991:
	.size	_ZN7rocprim17ROCPRIM_400000_NS6detail17trampoline_kernelINS0_13select_configILj256ELj13ELNS0_17block_load_methodE3ELS4_3ELS4_3ELNS0_20block_scan_algorithmE0ELj4294967295EEENS1_25partition_config_selectorILNS1_17partition_subalgoE4EjNS0_10empty_typeEbEEZZNS1_14partition_implILS8_4ELb0ES6_15HIP_vector_typeIjLj2EENS0_17counting_iteratorIjlEEPS9_SG_NS0_5tupleIJPjSI_NS0_16reverse_iteratorISI_EEEEENSH_IJSG_SG_SG_EEES9_SI_JZNS1_25segmented_radix_sort_implINS0_14default_configELb0EPK12hip_bfloat16PSP_PKlPlN2at6native12_GLOBAL__N_18offset_tEEE10hipError_tPvRmT1_PNSt15iterator_traitsIS13_E10value_typeET2_T3_PNS14_IS19_E10value_typeET4_jRbjT5_S1F_jjP12ihipStream_tbEUljE_ZNSN_ISO_Lb0ESR_SS_SU_SV_SZ_EES10_S11_S12_S13_S17_S18_S19_S1C_S1D_jS1E_jS1F_S1F_jjS1H_bEUljE0_EEES10_S11_S12_S19_S1D_S1F_T6_T7_T9_mT8_S1H_bDpT10_ENKUlT_T0_E_clISt17integral_constantIbLb0EES1V_EEDaS1Q_S1R_EUlS1Q_E_NS1_11comp_targetILNS1_3genE9ELNS1_11target_archE1100ELNS1_3gpuE3ELNS1_3repE0EEENS1_30default_config_static_selectorELNS0_4arch9wavefront6targetE0EEEvS13_, .Lfunc_end1991-_ZN7rocprim17ROCPRIM_400000_NS6detail17trampoline_kernelINS0_13select_configILj256ELj13ELNS0_17block_load_methodE3ELS4_3ELS4_3ELNS0_20block_scan_algorithmE0ELj4294967295EEENS1_25partition_config_selectorILNS1_17partition_subalgoE4EjNS0_10empty_typeEbEEZZNS1_14partition_implILS8_4ELb0ES6_15HIP_vector_typeIjLj2EENS0_17counting_iteratorIjlEEPS9_SG_NS0_5tupleIJPjSI_NS0_16reverse_iteratorISI_EEEEENSH_IJSG_SG_SG_EEES9_SI_JZNS1_25segmented_radix_sort_implINS0_14default_configELb0EPK12hip_bfloat16PSP_PKlPlN2at6native12_GLOBAL__N_18offset_tEEE10hipError_tPvRmT1_PNSt15iterator_traitsIS13_E10value_typeET2_T3_PNS14_IS19_E10value_typeET4_jRbjT5_S1F_jjP12ihipStream_tbEUljE_ZNSN_ISO_Lb0ESR_SS_SU_SV_SZ_EES10_S11_S12_S13_S17_S18_S19_S1C_S1D_jS1E_jS1F_S1F_jjS1H_bEUljE0_EEES10_S11_S12_S19_S1D_S1F_T6_T7_T9_mT8_S1H_bDpT10_ENKUlT_T0_E_clISt17integral_constantIbLb0EES1V_EEDaS1Q_S1R_EUlS1Q_E_NS1_11comp_targetILNS1_3genE9ELNS1_11target_archE1100ELNS1_3gpuE3ELNS1_3repE0EEENS1_30default_config_static_selectorELNS0_4arch9wavefront6targetE0EEEvS13_
                                        ; -- End function
	.section	.AMDGPU.csdata,"",@progbits
; Kernel info:
; codeLenInByte = 14984
; NumSgprs: 61
; NumVgprs: 98
; ScratchSize: 0
; MemoryBound: 0
; FloatMode: 240
; IeeeMode: 1
; LDSByteSize: 13340 bytes/workgroup (compile time only)
; SGPRBlocks: 7
; VGPRBlocks: 12
; NumSGPRsForWavesPerEU: 61
; NumVGPRsForWavesPerEU: 98
; Occupancy: 12
; WaveLimiterHint : 1
; COMPUTE_PGM_RSRC2:SCRATCH_EN: 0
; COMPUTE_PGM_RSRC2:USER_SGPR: 15
; COMPUTE_PGM_RSRC2:TRAP_HANDLER: 0
; COMPUTE_PGM_RSRC2:TGID_X_EN: 1
; COMPUTE_PGM_RSRC2:TGID_Y_EN: 0
; COMPUTE_PGM_RSRC2:TGID_Z_EN: 0
; COMPUTE_PGM_RSRC2:TIDIG_COMP_CNT: 0
	.section	.text._ZN7rocprim17ROCPRIM_400000_NS6detail17trampoline_kernelINS0_13select_configILj256ELj13ELNS0_17block_load_methodE3ELS4_3ELS4_3ELNS0_20block_scan_algorithmE0ELj4294967295EEENS1_25partition_config_selectorILNS1_17partition_subalgoE4EjNS0_10empty_typeEbEEZZNS1_14partition_implILS8_4ELb0ES6_15HIP_vector_typeIjLj2EENS0_17counting_iteratorIjlEEPS9_SG_NS0_5tupleIJPjSI_NS0_16reverse_iteratorISI_EEEEENSH_IJSG_SG_SG_EEES9_SI_JZNS1_25segmented_radix_sort_implINS0_14default_configELb0EPK12hip_bfloat16PSP_PKlPlN2at6native12_GLOBAL__N_18offset_tEEE10hipError_tPvRmT1_PNSt15iterator_traitsIS13_E10value_typeET2_T3_PNS14_IS19_E10value_typeET4_jRbjT5_S1F_jjP12ihipStream_tbEUljE_ZNSN_ISO_Lb0ESR_SS_SU_SV_SZ_EES10_S11_S12_S13_S17_S18_S19_S1C_S1D_jS1E_jS1F_S1F_jjS1H_bEUljE0_EEES10_S11_S12_S19_S1D_S1F_T6_T7_T9_mT8_S1H_bDpT10_ENKUlT_T0_E_clISt17integral_constantIbLb0EES1V_EEDaS1Q_S1R_EUlS1Q_E_NS1_11comp_targetILNS1_3genE8ELNS1_11target_archE1030ELNS1_3gpuE2ELNS1_3repE0EEENS1_30default_config_static_selectorELNS0_4arch9wavefront6targetE0EEEvS13_,"axG",@progbits,_ZN7rocprim17ROCPRIM_400000_NS6detail17trampoline_kernelINS0_13select_configILj256ELj13ELNS0_17block_load_methodE3ELS4_3ELS4_3ELNS0_20block_scan_algorithmE0ELj4294967295EEENS1_25partition_config_selectorILNS1_17partition_subalgoE4EjNS0_10empty_typeEbEEZZNS1_14partition_implILS8_4ELb0ES6_15HIP_vector_typeIjLj2EENS0_17counting_iteratorIjlEEPS9_SG_NS0_5tupleIJPjSI_NS0_16reverse_iteratorISI_EEEEENSH_IJSG_SG_SG_EEES9_SI_JZNS1_25segmented_radix_sort_implINS0_14default_configELb0EPK12hip_bfloat16PSP_PKlPlN2at6native12_GLOBAL__N_18offset_tEEE10hipError_tPvRmT1_PNSt15iterator_traitsIS13_E10value_typeET2_T3_PNS14_IS19_E10value_typeET4_jRbjT5_S1F_jjP12ihipStream_tbEUljE_ZNSN_ISO_Lb0ESR_SS_SU_SV_SZ_EES10_S11_S12_S13_S17_S18_S19_S1C_S1D_jS1E_jS1F_S1F_jjS1H_bEUljE0_EEES10_S11_S12_S19_S1D_S1F_T6_T7_T9_mT8_S1H_bDpT10_ENKUlT_T0_E_clISt17integral_constantIbLb0EES1V_EEDaS1Q_S1R_EUlS1Q_E_NS1_11comp_targetILNS1_3genE8ELNS1_11target_archE1030ELNS1_3gpuE2ELNS1_3repE0EEENS1_30default_config_static_selectorELNS0_4arch9wavefront6targetE0EEEvS13_,comdat
	.globl	_ZN7rocprim17ROCPRIM_400000_NS6detail17trampoline_kernelINS0_13select_configILj256ELj13ELNS0_17block_load_methodE3ELS4_3ELS4_3ELNS0_20block_scan_algorithmE0ELj4294967295EEENS1_25partition_config_selectorILNS1_17partition_subalgoE4EjNS0_10empty_typeEbEEZZNS1_14partition_implILS8_4ELb0ES6_15HIP_vector_typeIjLj2EENS0_17counting_iteratorIjlEEPS9_SG_NS0_5tupleIJPjSI_NS0_16reverse_iteratorISI_EEEEENSH_IJSG_SG_SG_EEES9_SI_JZNS1_25segmented_radix_sort_implINS0_14default_configELb0EPK12hip_bfloat16PSP_PKlPlN2at6native12_GLOBAL__N_18offset_tEEE10hipError_tPvRmT1_PNSt15iterator_traitsIS13_E10value_typeET2_T3_PNS14_IS19_E10value_typeET4_jRbjT5_S1F_jjP12ihipStream_tbEUljE_ZNSN_ISO_Lb0ESR_SS_SU_SV_SZ_EES10_S11_S12_S13_S17_S18_S19_S1C_S1D_jS1E_jS1F_S1F_jjS1H_bEUljE0_EEES10_S11_S12_S19_S1D_S1F_T6_T7_T9_mT8_S1H_bDpT10_ENKUlT_T0_E_clISt17integral_constantIbLb0EES1V_EEDaS1Q_S1R_EUlS1Q_E_NS1_11comp_targetILNS1_3genE8ELNS1_11target_archE1030ELNS1_3gpuE2ELNS1_3repE0EEENS1_30default_config_static_selectorELNS0_4arch9wavefront6targetE0EEEvS13_ ; -- Begin function _ZN7rocprim17ROCPRIM_400000_NS6detail17trampoline_kernelINS0_13select_configILj256ELj13ELNS0_17block_load_methodE3ELS4_3ELS4_3ELNS0_20block_scan_algorithmE0ELj4294967295EEENS1_25partition_config_selectorILNS1_17partition_subalgoE4EjNS0_10empty_typeEbEEZZNS1_14partition_implILS8_4ELb0ES6_15HIP_vector_typeIjLj2EENS0_17counting_iteratorIjlEEPS9_SG_NS0_5tupleIJPjSI_NS0_16reverse_iteratorISI_EEEEENSH_IJSG_SG_SG_EEES9_SI_JZNS1_25segmented_radix_sort_implINS0_14default_configELb0EPK12hip_bfloat16PSP_PKlPlN2at6native12_GLOBAL__N_18offset_tEEE10hipError_tPvRmT1_PNSt15iterator_traitsIS13_E10value_typeET2_T3_PNS14_IS19_E10value_typeET4_jRbjT5_S1F_jjP12ihipStream_tbEUljE_ZNSN_ISO_Lb0ESR_SS_SU_SV_SZ_EES10_S11_S12_S13_S17_S18_S19_S1C_S1D_jS1E_jS1F_S1F_jjS1H_bEUljE0_EEES10_S11_S12_S19_S1D_S1F_T6_T7_T9_mT8_S1H_bDpT10_ENKUlT_T0_E_clISt17integral_constantIbLb0EES1V_EEDaS1Q_S1R_EUlS1Q_E_NS1_11comp_targetILNS1_3genE8ELNS1_11target_archE1030ELNS1_3gpuE2ELNS1_3repE0EEENS1_30default_config_static_selectorELNS0_4arch9wavefront6targetE0EEEvS13_
	.p2align	8
	.type	_ZN7rocprim17ROCPRIM_400000_NS6detail17trampoline_kernelINS0_13select_configILj256ELj13ELNS0_17block_load_methodE3ELS4_3ELS4_3ELNS0_20block_scan_algorithmE0ELj4294967295EEENS1_25partition_config_selectorILNS1_17partition_subalgoE4EjNS0_10empty_typeEbEEZZNS1_14partition_implILS8_4ELb0ES6_15HIP_vector_typeIjLj2EENS0_17counting_iteratorIjlEEPS9_SG_NS0_5tupleIJPjSI_NS0_16reverse_iteratorISI_EEEEENSH_IJSG_SG_SG_EEES9_SI_JZNS1_25segmented_radix_sort_implINS0_14default_configELb0EPK12hip_bfloat16PSP_PKlPlN2at6native12_GLOBAL__N_18offset_tEEE10hipError_tPvRmT1_PNSt15iterator_traitsIS13_E10value_typeET2_T3_PNS14_IS19_E10value_typeET4_jRbjT5_S1F_jjP12ihipStream_tbEUljE_ZNSN_ISO_Lb0ESR_SS_SU_SV_SZ_EES10_S11_S12_S13_S17_S18_S19_S1C_S1D_jS1E_jS1F_S1F_jjS1H_bEUljE0_EEES10_S11_S12_S19_S1D_S1F_T6_T7_T9_mT8_S1H_bDpT10_ENKUlT_T0_E_clISt17integral_constantIbLb0EES1V_EEDaS1Q_S1R_EUlS1Q_E_NS1_11comp_targetILNS1_3genE8ELNS1_11target_archE1030ELNS1_3gpuE2ELNS1_3repE0EEENS1_30default_config_static_selectorELNS0_4arch9wavefront6targetE0EEEvS13_,@function
_ZN7rocprim17ROCPRIM_400000_NS6detail17trampoline_kernelINS0_13select_configILj256ELj13ELNS0_17block_load_methodE3ELS4_3ELS4_3ELNS0_20block_scan_algorithmE0ELj4294967295EEENS1_25partition_config_selectorILNS1_17partition_subalgoE4EjNS0_10empty_typeEbEEZZNS1_14partition_implILS8_4ELb0ES6_15HIP_vector_typeIjLj2EENS0_17counting_iteratorIjlEEPS9_SG_NS0_5tupleIJPjSI_NS0_16reverse_iteratorISI_EEEEENSH_IJSG_SG_SG_EEES9_SI_JZNS1_25segmented_radix_sort_implINS0_14default_configELb0EPK12hip_bfloat16PSP_PKlPlN2at6native12_GLOBAL__N_18offset_tEEE10hipError_tPvRmT1_PNSt15iterator_traitsIS13_E10value_typeET2_T3_PNS14_IS19_E10value_typeET4_jRbjT5_S1F_jjP12ihipStream_tbEUljE_ZNSN_ISO_Lb0ESR_SS_SU_SV_SZ_EES10_S11_S12_S13_S17_S18_S19_S1C_S1D_jS1E_jS1F_S1F_jjS1H_bEUljE0_EEES10_S11_S12_S19_S1D_S1F_T6_T7_T9_mT8_S1H_bDpT10_ENKUlT_T0_E_clISt17integral_constantIbLb0EES1V_EEDaS1Q_S1R_EUlS1Q_E_NS1_11comp_targetILNS1_3genE8ELNS1_11target_archE1030ELNS1_3gpuE2ELNS1_3repE0EEENS1_30default_config_static_selectorELNS0_4arch9wavefront6targetE0EEEvS13_: ; @_ZN7rocprim17ROCPRIM_400000_NS6detail17trampoline_kernelINS0_13select_configILj256ELj13ELNS0_17block_load_methodE3ELS4_3ELS4_3ELNS0_20block_scan_algorithmE0ELj4294967295EEENS1_25partition_config_selectorILNS1_17partition_subalgoE4EjNS0_10empty_typeEbEEZZNS1_14partition_implILS8_4ELb0ES6_15HIP_vector_typeIjLj2EENS0_17counting_iteratorIjlEEPS9_SG_NS0_5tupleIJPjSI_NS0_16reverse_iteratorISI_EEEEENSH_IJSG_SG_SG_EEES9_SI_JZNS1_25segmented_radix_sort_implINS0_14default_configELb0EPK12hip_bfloat16PSP_PKlPlN2at6native12_GLOBAL__N_18offset_tEEE10hipError_tPvRmT1_PNSt15iterator_traitsIS13_E10value_typeET2_T3_PNS14_IS19_E10value_typeET4_jRbjT5_S1F_jjP12ihipStream_tbEUljE_ZNSN_ISO_Lb0ESR_SS_SU_SV_SZ_EES10_S11_S12_S13_S17_S18_S19_S1C_S1D_jS1E_jS1F_S1F_jjS1H_bEUljE0_EEES10_S11_S12_S19_S1D_S1F_T6_T7_T9_mT8_S1H_bDpT10_ENKUlT_T0_E_clISt17integral_constantIbLb0EES1V_EEDaS1Q_S1R_EUlS1Q_E_NS1_11comp_targetILNS1_3genE8ELNS1_11target_archE1030ELNS1_3gpuE2ELNS1_3repE0EEENS1_30default_config_static_selectorELNS0_4arch9wavefront6targetE0EEEvS13_
; %bb.0:
	.section	.rodata,"a",@progbits
	.p2align	6, 0x0
	.amdhsa_kernel _ZN7rocprim17ROCPRIM_400000_NS6detail17trampoline_kernelINS0_13select_configILj256ELj13ELNS0_17block_load_methodE3ELS4_3ELS4_3ELNS0_20block_scan_algorithmE0ELj4294967295EEENS1_25partition_config_selectorILNS1_17partition_subalgoE4EjNS0_10empty_typeEbEEZZNS1_14partition_implILS8_4ELb0ES6_15HIP_vector_typeIjLj2EENS0_17counting_iteratorIjlEEPS9_SG_NS0_5tupleIJPjSI_NS0_16reverse_iteratorISI_EEEEENSH_IJSG_SG_SG_EEES9_SI_JZNS1_25segmented_radix_sort_implINS0_14default_configELb0EPK12hip_bfloat16PSP_PKlPlN2at6native12_GLOBAL__N_18offset_tEEE10hipError_tPvRmT1_PNSt15iterator_traitsIS13_E10value_typeET2_T3_PNS14_IS19_E10value_typeET4_jRbjT5_S1F_jjP12ihipStream_tbEUljE_ZNSN_ISO_Lb0ESR_SS_SU_SV_SZ_EES10_S11_S12_S13_S17_S18_S19_S1C_S1D_jS1E_jS1F_S1F_jjS1H_bEUljE0_EEES10_S11_S12_S19_S1D_S1F_T6_T7_T9_mT8_S1H_bDpT10_ENKUlT_T0_E_clISt17integral_constantIbLb0EES1V_EEDaS1Q_S1R_EUlS1Q_E_NS1_11comp_targetILNS1_3genE8ELNS1_11target_archE1030ELNS1_3gpuE2ELNS1_3repE0EEENS1_30default_config_static_selectorELNS0_4arch9wavefront6targetE0EEEvS13_
		.amdhsa_group_segment_fixed_size 0
		.amdhsa_private_segment_fixed_size 0
		.amdhsa_kernarg_size 176
		.amdhsa_user_sgpr_count 15
		.amdhsa_user_sgpr_dispatch_ptr 0
		.amdhsa_user_sgpr_queue_ptr 0
		.amdhsa_user_sgpr_kernarg_segment_ptr 1
		.amdhsa_user_sgpr_dispatch_id 0
		.amdhsa_user_sgpr_private_segment_size 0
		.amdhsa_wavefront_size32 1
		.amdhsa_uses_dynamic_stack 0
		.amdhsa_enable_private_segment 0
		.amdhsa_system_sgpr_workgroup_id_x 1
		.amdhsa_system_sgpr_workgroup_id_y 0
		.amdhsa_system_sgpr_workgroup_id_z 0
		.amdhsa_system_sgpr_workgroup_info 0
		.amdhsa_system_vgpr_workitem_id 0
		.amdhsa_next_free_vgpr 1
		.amdhsa_next_free_sgpr 1
		.amdhsa_reserve_vcc 0
		.amdhsa_float_round_mode_32 0
		.amdhsa_float_round_mode_16_64 0
		.amdhsa_float_denorm_mode_32 3
		.amdhsa_float_denorm_mode_16_64 3
		.amdhsa_dx10_clamp 1
		.amdhsa_ieee_mode 1
		.amdhsa_fp16_overflow 0
		.amdhsa_workgroup_processor_mode 1
		.amdhsa_memory_ordered 1
		.amdhsa_forward_progress 0
		.amdhsa_shared_vgpr_count 0
		.amdhsa_exception_fp_ieee_invalid_op 0
		.amdhsa_exception_fp_denorm_src 0
		.amdhsa_exception_fp_ieee_div_zero 0
		.amdhsa_exception_fp_ieee_overflow 0
		.amdhsa_exception_fp_ieee_underflow 0
		.amdhsa_exception_fp_ieee_inexact 0
		.amdhsa_exception_int_div_zero 0
	.end_amdhsa_kernel
	.section	.text._ZN7rocprim17ROCPRIM_400000_NS6detail17trampoline_kernelINS0_13select_configILj256ELj13ELNS0_17block_load_methodE3ELS4_3ELS4_3ELNS0_20block_scan_algorithmE0ELj4294967295EEENS1_25partition_config_selectorILNS1_17partition_subalgoE4EjNS0_10empty_typeEbEEZZNS1_14partition_implILS8_4ELb0ES6_15HIP_vector_typeIjLj2EENS0_17counting_iteratorIjlEEPS9_SG_NS0_5tupleIJPjSI_NS0_16reverse_iteratorISI_EEEEENSH_IJSG_SG_SG_EEES9_SI_JZNS1_25segmented_radix_sort_implINS0_14default_configELb0EPK12hip_bfloat16PSP_PKlPlN2at6native12_GLOBAL__N_18offset_tEEE10hipError_tPvRmT1_PNSt15iterator_traitsIS13_E10value_typeET2_T3_PNS14_IS19_E10value_typeET4_jRbjT5_S1F_jjP12ihipStream_tbEUljE_ZNSN_ISO_Lb0ESR_SS_SU_SV_SZ_EES10_S11_S12_S13_S17_S18_S19_S1C_S1D_jS1E_jS1F_S1F_jjS1H_bEUljE0_EEES10_S11_S12_S19_S1D_S1F_T6_T7_T9_mT8_S1H_bDpT10_ENKUlT_T0_E_clISt17integral_constantIbLb0EES1V_EEDaS1Q_S1R_EUlS1Q_E_NS1_11comp_targetILNS1_3genE8ELNS1_11target_archE1030ELNS1_3gpuE2ELNS1_3repE0EEENS1_30default_config_static_selectorELNS0_4arch9wavefront6targetE0EEEvS13_,"axG",@progbits,_ZN7rocprim17ROCPRIM_400000_NS6detail17trampoline_kernelINS0_13select_configILj256ELj13ELNS0_17block_load_methodE3ELS4_3ELS4_3ELNS0_20block_scan_algorithmE0ELj4294967295EEENS1_25partition_config_selectorILNS1_17partition_subalgoE4EjNS0_10empty_typeEbEEZZNS1_14partition_implILS8_4ELb0ES6_15HIP_vector_typeIjLj2EENS0_17counting_iteratorIjlEEPS9_SG_NS0_5tupleIJPjSI_NS0_16reverse_iteratorISI_EEEEENSH_IJSG_SG_SG_EEES9_SI_JZNS1_25segmented_radix_sort_implINS0_14default_configELb0EPK12hip_bfloat16PSP_PKlPlN2at6native12_GLOBAL__N_18offset_tEEE10hipError_tPvRmT1_PNSt15iterator_traitsIS13_E10value_typeET2_T3_PNS14_IS19_E10value_typeET4_jRbjT5_S1F_jjP12ihipStream_tbEUljE_ZNSN_ISO_Lb0ESR_SS_SU_SV_SZ_EES10_S11_S12_S13_S17_S18_S19_S1C_S1D_jS1E_jS1F_S1F_jjS1H_bEUljE0_EEES10_S11_S12_S19_S1D_S1F_T6_T7_T9_mT8_S1H_bDpT10_ENKUlT_T0_E_clISt17integral_constantIbLb0EES1V_EEDaS1Q_S1R_EUlS1Q_E_NS1_11comp_targetILNS1_3genE8ELNS1_11target_archE1030ELNS1_3gpuE2ELNS1_3repE0EEENS1_30default_config_static_selectorELNS0_4arch9wavefront6targetE0EEEvS13_,comdat
.Lfunc_end1992:
	.size	_ZN7rocprim17ROCPRIM_400000_NS6detail17trampoline_kernelINS0_13select_configILj256ELj13ELNS0_17block_load_methodE3ELS4_3ELS4_3ELNS0_20block_scan_algorithmE0ELj4294967295EEENS1_25partition_config_selectorILNS1_17partition_subalgoE4EjNS0_10empty_typeEbEEZZNS1_14partition_implILS8_4ELb0ES6_15HIP_vector_typeIjLj2EENS0_17counting_iteratorIjlEEPS9_SG_NS0_5tupleIJPjSI_NS0_16reverse_iteratorISI_EEEEENSH_IJSG_SG_SG_EEES9_SI_JZNS1_25segmented_radix_sort_implINS0_14default_configELb0EPK12hip_bfloat16PSP_PKlPlN2at6native12_GLOBAL__N_18offset_tEEE10hipError_tPvRmT1_PNSt15iterator_traitsIS13_E10value_typeET2_T3_PNS14_IS19_E10value_typeET4_jRbjT5_S1F_jjP12ihipStream_tbEUljE_ZNSN_ISO_Lb0ESR_SS_SU_SV_SZ_EES10_S11_S12_S13_S17_S18_S19_S1C_S1D_jS1E_jS1F_S1F_jjS1H_bEUljE0_EEES10_S11_S12_S19_S1D_S1F_T6_T7_T9_mT8_S1H_bDpT10_ENKUlT_T0_E_clISt17integral_constantIbLb0EES1V_EEDaS1Q_S1R_EUlS1Q_E_NS1_11comp_targetILNS1_3genE8ELNS1_11target_archE1030ELNS1_3gpuE2ELNS1_3repE0EEENS1_30default_config_static_selectorELNS0_4arch9wavefront6targetE0EEEvS13_, .Lfunc_end1992-_ZN7rocprim17ROCPRIM_400000_NS6detail17trampoline_kernelINS0_13select_configILj256ELj13ELNS0_17block_load_methodE3ELS4_3ELS4_3ELNS0_20block_scan_algorithmE0ELj4294967295EEENS1_25partition_config_selectorILNS1_17partition_subalgoE4EjNS0_10empty_typeEbEEZZNS1_14partition_implILS8_4ELb0ES6_15HIP_vector_typeIjLj2EENS0_17counting_iteratorIjlEEPS9_SG_NS0_5tupleIJPjSI_NS0_16reverse_iteratorISI_EEEEENSH_IJSG_SG_SG_EEES9_SI_JZNS1_25segmented_radix_sort_implINS0_14default_configELb0EPK12hip_bfloat16PSP_PKlPlN2at6native12_GLOBAL__N_18offset_tEEE10hipError_tPvRmT1_PNSt15iterator_traitsIS13_E10value_typeET2_T3_PNS14_IS19_E10value_typeET4_jRbjT5_S1F_jjP12ihipStream_tbEUljE_ZNSN_ISO_Lb0ESR_SS_SU_SV_SZ_EES10_S11_S12_S13_S17_S18_S19_S1C_S1D_jS1E_jS1F_S1F_jjS1H_bEUljE0_EEES10_S11_S12_S19_S1D_S1F_T6_T7_T9_mT8_S1H_bDpT10_ENKUlT_T0_E_clISt17integral_constantIbLb0EES1V_EEDaS1Q_S1R_EUlS1Q_E_NS1_11comp_targetILNS1_3genE8ELNS1_11target_archE1030ELNS1_3gpuE2ELNS1_3repE0EEENS1_30default_config_static_selectorELNS0_4arch9wavefront6targetE0EEEvS13_
                                        ; -- End function
	.section	.AMDGPU.csdata,"",@progbits
; Kernel info:
; codeLenInByte = 0
; NumSgprs: 0
; NumVgprs: 0
; ScratchSize: 0
; MemoryBound: 0
; FloatMode: 240
; IeeeMode: 1
; LDSByteSize: 0 bytes/workgroup (compile time only)
; SGPRBlocks: 0
; VGPRBlocks: 0
; NumSGPRsForWavesPerEU: 1
; NumVGPRsForWavesPerEU: 1
; Occupancy: 16
; WaveLimiterHint : 0
; COMPUTE_PGM_RSRC2:SCRATCH_EN: 0
; COMPUTE_PGM_RSRC2:USER_SGPR: 15
; COMPUTE_PGM_RSRC2:TRAP_HANDLER: 0
; COMPUTE_PGM_RSRC2:TGID_X_EN: 1
; COMPUTE_PGM_RSRC2:TGID_Y_EN: 0
; COMPUTE_PGM_RSRC2:TGID_Z_EN: 0
; COMPUTE_PGM_RSRC2:TIDIG_COMP_CNT: 0
	.section	.text._ZN7rocprim17ROCPRIM_400000_NS6detail17trampoline_kernelINS0_13select_configILj256ELj13ELNS0_17block_load_methodE3ELS4_3ELS4_3ELNS0_20block_scan_algorithmE0ELj4294967295EEENS1_25partition_config_selectorILNS1_17partition_subalgoE4EjNS0_10empty_typeEbEEZZNS1_14partition_implILS8_4ELb0ES6_15HIP_vector_typeIjLj2EENS0_17counting_iteratorIjlEEPS9_SG_NS0_5tupleIJPjSI_NS0_16reverse_iteratorISI_EEEEENSH_IJSG_SG_SG_EEES9_SI_JZNS1_25segmented_radix_sort_implINS0_14default_configELb0EPK12hip_bfloat16PSP_PKlPlN2at6native12_GLOBAL__N_18offset_tEEE10hipError_tPvRmT1_PNSt15iterator_traitsIS13_E10value_typeET2_T3_PNS14_IS19_E10value_typeET4_jRbjT5_S1F_jjP12ihipStream_tbEUljE_ZNSN_ISO_Lb0ESR_SS_SU_SV_SZ_EES10_S11_S12_S13_S17_S18_S19_S1C_S1D_jS1E_jS1F_S1F_jjS1H_bEUljE0_EEES10_S11_S12_S19_S1D_S1F_T6_T7_T9_mT8_S1H_bDpT10_ENKUlT_T0_E_clISt17integral_constantIbLb1EES1V_EEDaS1Q_S1R_EUlS1Q_E_NS1_11comp_targetILNS1_3genE0ELNS1_11target_archE4294967295ELNS1_3gpuE0ELNS1_3repE0EEENS1_30default_config_static_selectorELNS0_4arch9wavefront6targetE0EEEvS13_,"axG",@progbits,_ZN7rocprim17ROCPRIM_400000_NS6detail17trampoline_kernelINS0_13select_configILj256ELj13ELNS0_17block_load_methodE3ELS4_3ELS4_3ELNS0_20block_scan_algorithmE0ELj4294967295EEENS1_25partition_config_selectorILNS1_17partition_subalgoE4EjNS0_10empty_typeEbEEZZNS1_14partition_implILS8_4ELb0ES6_15HIP_vector_typeIjLj2EENS0_17counting_iteratorIjlEEPS9_SG_NS0_5tupleIJPjSI_NS0_16reverse_iteratorISI_EEEEENSH_IJSG_SG_SG_EEES9_SI_JZNS1_25segmented_radix_sort_implINS0_14default_configELb0EPK12hip_bfloat16PSP_PKlPlN2at6native12_GLOBAL__N_18offset_tEEE10hipError_tPvRmT1_PNSt15iterator_traitsIS13_E10value_typeET2_T3_PNS14_IS19_E10value_typeET4_jRbjT5_S1F_jjP12ihipStream_tbEUljE_ZNSN_ISO_Lb0ESR_SS_SU_SV_SZ_EES10_S11_S12_S13_S17_S18_S19_S1C_S1D_jS1E_jS1F_S1F_jjS1H_bEUljE0_EEES10_S11_S12_S19_S1D_S1F_T6_T7_T9_mT8_S1H_bDpT10_ENKUlT_T0_E_clISt17integral_constantIbLb1EES1V_EEDaS1Q_S1R_EUlS1Q_E_NS1_11comp_targetILNS1_3genE0ELNS1_11target_archE4294967295ELNS1_3gpuE0ELNS1_3repE0EEENS1_30default_config_static_selectorELNS0_4arch9wavefront6targetE0EEEvS13_,comdat
	.globl	_ZN7rocprim17ROCPRIM_400000_NS6detail17trampoline_kernelINS0_13select_configILj256ELj13ELNS0_17block_load_methodE3ELS4_3ELS4_3ELNS0_20block_scan_algorithmE0ELj4294967295EEENS1_25partition_config_selectorILNS1_17partition_subalgoE4EjNS0_10empty_typeEbEEZZNS1_14partition_implILS8_4ELb0ES6_15HIP_vector_typeIjLj2EENS0_17counting_iteratorIjlEEPS9_SG_NS0_5tupleIJPjSI_NS0_16reverse_iteratorISI_EEEEENSH_IJSG_SG_SG_EEES9_SI_JZNS1_25segmented_radix_sort_implINS0_14default_configELb0EPK12hip_bfloat16PSP_PKlPlN2at6native12_GLOBAL__N_18offset_tEEE10hipError_tPvRmT1_PNSt15iterator_traitsIS13_E10value_typeET2_T3_PNS14_IS19_E10value_typeET4_jRbjT5_S1F_jjP12ihipStream_tbEUljE_ZNSN_ISO_Lb0ESR_SS_SU_SV_SZ_EES10_S11_S12_S13_S17_S18_S19_S1C_S1D_jS1E_jS1F_S1F_jjS1H_bEUljE0_EEES10_S11_S12_S19_S1D_S1F_T6_T7_T9_mT8_S1H_bDpT10_ENKUlT_T0_E_clISt17integral_constantIbLb1EES1V_EEDaS1Q_S1R_EUlS1Q_E_NS1_11comp_targetILNS1_3genE0ELNS1_11target_archE4294967295ELNS1_3gpuE0ELNS1_3repE0EEENS1_30default_config_static_selectorELNS0_4arch9wavefront6targetE0EEEvS13_ ; -- Begin function _ZN7rocprim17ROCPRIM_400000_NS6detail17trampoline_kernelINS0_13select_configILj256ELj13ELNS0_17block_load_methodE3ELS4_3ELS4_3ELNS0_20block_scan_algorithmE0ELj4294967295EEENS1_25partition_config_selectorILNS1_17partition_subalgoE4EjNS0_10empty_typeEbEEZZNS1_14partition_implILS8_4ELb0ES6_15HIP_vector_typeIjLj2EENS0_17counting_iteratorIjlEEPS9_SG_NS0_5tupleIJPjSI_NS0_16reverse_iteratorISI_EEEEENSH_IJSG_SG_SG_EEES9_SI_JZNS1_25segmented_radix_sort_implINS0_14default_configELb0EPK12hip_bfloat16PSP_PKlPlN2at6native12_GLOBAL__N_18offset_tEEE10hipError_tPvRmT1_PNSt15iterator_traitsIS13_E10value_typeET2_T3_PNS14_IS19_E10value_typeET4_jRbjT5_S1F_jjP12ihipStream_tbEUljE_ZNSN_ISO_Lb0ESR_SS_SU_SV_SZ_EES10_S11_S12_S13_S17_S18_S19_S1C_S1D_jS1E_jS1F_S1F_jjS1H_bEUljE0_EEES10_S11_S12_S19_S1D_S1F_T6_T7_T9_mT8_S1H_bDpT10_ENKUlT_T0_E_clISt17integral_constantIbLb1EES1V_EEDaS1Q_S1R_EUlS1Q_E_NS1_11comp_targetILNS1_3genE0ELNS1_11target_archE4294967295ELNS1_3gpuE0ELNS1_3repE0EEENS1_30default_config_static_selectorELNS0_4arch9wavefront6targetE0EEEvS13_
	.p2align	8
	.type	_ZN7rocprim17ROCPRIM_400000_NS6detail17trampoline_kernelINS0_13select_configILj256ELj13ELNS0_17block_load_methodE3ELS4_3ELS4_3ELNS0_20block_scan_algorithmE0ELj4294967295EEENS1_25partition_config_selectorILNS1_17partition_subalgoE4EjNS0_10empty_typeEbEEZZNS1_14partition_implILS8_4ELb0ES6_15HIP_vector_typeIjLj2EENS0_17counting_iteratorIjlEEPS9_SG_NS0_5tupleIJPjSI_NS0_16reverse_iteratorISI_EEEEENSH_IJSG_SG_SG_EEES9_SI_JZNS1_25segmented_radix_sort_implINS0_14default_configELb0EPK12hip_bfloat16PSP_PKlPlN2at6native12_GLOBAL__N_18offset_tEEE10hipError_tPvRmT1_PNSt15iterator_traitsIS13_E10value_typeET2_T3_PNS14_IS19_E10value_typeET4_jRbjT5_S1F_jjP12ihipStream_tbEUljE_ZNSN_ISO_Lb0ESR_SS_SU_SV_SZ_EES10_S11_S12_S13_S17_S18_S19_S1C_S1D_jS1E_jS1F_S1F_jjS1H_bEUljE0_EEES10_S11_S12_S19_S1D_S1F_T6_T7_T9_mT8_S1H_bDpT10_ENKUlT_T0_E_clISt17integral_constantIbLb1EES1V_EEDaS1Q_S1R_EUlS1Q_E_NS1_11comp_targetILNS1_3genE0ELNS1_11target_archE4294967295ELNS1_3gpuE0ELNS1_3repE0EEENS1_30default_config_static_selectorELNS0_4arch9wavefront6targetE0EEEvS13_,@function
_ZN7rocprim17ROCPRIM_400000_NS6detail17trampoline_kernelINS0_13select_configILj256ELj13ELNS0_17block_load_methodE3ELS4_3ELS4_3ELNS0_20block_scan_algorithmE0ELj4294967295EEENS1_25partition_config_selectorILNS1_17partition_subalgoE4EjNS0_10empty_typeEbEEZZNS1_14partition_implILS8_4ELb0ES6_15HIP_vector_typeIjLj2EENS0_17counting_iteratorIjlEEPS9_SG_NS0_5tupleIJPjSI_NS0_16reverse_iteratorISI_EEEEENSH_IJSG_SG_SG_EEES9_SI_JZNS1_25segmented_radix_sort_implINS0_14default_configELb0EPK12hip_bfloat16PSP_PKlPlN2at6native12_GLOBAL__N_18offset_tEEE10hipError_tPvRmT1_PNSt15iterator_traitsIS13_E10value_typeET2_T3_PNS14_IS19_E10value_typeET4_jRbjT5_S1F_jjP12ihipStream_tbEUljE_ZNSN_ISO_Lb0ESR_SS_SU_SV_SZ_EES10_S11_S12_S13_S17_S18_S19_S1C_S1D_jS1E_jS1F_S1F_jjS1H_bEUljE0_EEES10_S11_S12_S19_S1D_S1F_T6_T7_T9_mT8_S1H_bDpT10_ENKUlT_T0_E_clISt17integral_constantIbLb1EES1V_EEDaS1Q_S1R_EUlS1Q_E_NS1_11comp_targetILNS1_3genE0ELNS1_11target_archE4294967295ELNS1_3gpuE0ELNS1_3repE0EEENS1_30default_config_static_selectorELNS0_4arch9wavefront6targetE0EEEvS13_: ; @_ZN7rocprim17ROCPRIM_400000_NS6detail17trampoline_kernelINS0_13select_configILj256ELj13ELNS0_17block_load_methodE3ELS4_3ELS4_3ELNS0_20block_scan_algorithmE0ELj4294967295EEENS1_25partition_config_selectorILNS1_17partition_subalgoE4EjNS0_10empty_typeEbEEZZNS1_14partition_implILS8_4ELb0ES6_15HIP_vector_typeIjLj2EENS0_17counting_iteratorIjlEEPS9_SG_NS0_5tupleIJPjSI_NS0_16reverse_iteratorISI_EEEEENSH_IJSG_SG_SG_EEES9_SI_JZNS1_25segmented_radix_sort_implINS0_14default_configELb0EPK12hip_bfloat16PSP_PKlPlN2at6native12_GLOBAL__N_18offset_tEEE10hipError_tPvRmT1_PNSt15iterator_traitsIS13_E10value_typeET2_T3_PNS14_IS19_E10value_typeET4_jRbjT5_S1F_jjP12ihipStream_tbEUljE_ZNSN_ISO_Lb0ESR_SS_SU_SV_SZ_EES10_S11_S12_S13_S17_S18_S19_S1C_S1D_jS1E_jS1F_S1F_jjS1H_bEUljE0_EEES10_S11_S12_S19_S1D_S1F_T6_T7_T9_mT8_S1H_bDpT10_ENKUlT_T0_E_clISt17integral_constantIbLb1EES1V_EEDaS1Q_S1R_EUlS1Q_E_NS1_11comp_targetILNS1_3genE0ELNS1_11target_archE4294967295ELNS1_3gpuE0ELNS1_3repE0EEENS1_30default_config_static_selectorELNS0_4arch9wavefront6targetE0EEEvS13_
; %bb.0:
	.section	.rodata,"a",@progbits
	.p2align	6, 0x0
	.amdhsa_kernel _ZN7rocprim17ROCPRIM_400000_NS6detail17trampoline_kernelINS0_13select_configILj256ELj13ELNS0_17block_load_methodE3ELS4_3ELS4_3ELNS0_20block_scan_algorithmE0ELj4294967295EEENS1_25partition_config_selectorILNS1_17partition_subalgoE4EjNS0_10empty_typeEbEEZZNS1_14partition_implILS8_4ELb0ES6_15HIP_vector_typeIjLj2EENS0_17counting_iteratorIjlEEPS9_SG_NS0_5tupleIJPjSI_NS0_16reverse_iteratorISI_EEEEENSH_IJSG_SG_SG_EEES9_SI_JZNS1_25segmented_radix_sort_implINS0_14default_configELb0EPK12hip_bfloat16PSP_PKlPlN2at6native12_GLOBAL__N_18offset_tEEE10hipError_tPvRmT1_PNSt15iterator_traitsIS13_E10value_typeET2_T3_PNS14_IS19_E10value_typeET4_jRbjT5_S1F_jjP12ihipStream_tbEUljE_ZNSN_ISO_Lb0ESR_SS_SU_SV_SZ_EES10_S11_S12_S13_S17_S18_S19_S1C_S1D_jS1E_jS1F_S1F_jjS1H_bEUljE0_EEES10_S11_S12_S19_S1D_S1F_T6_T7_T9_mT8_S1H_bDpT10_ENKUlT_T0_E_clISt17integral_constantIbLb1EES1V_EEDaS1Q_S1R_EUlS1Q_E_NS1_11comp_targetILNS1_3genE0ELNS1_11target_archE4294967295ELNS1_3gpuE0ELNS1_3repE0EEENS1_30default_config_static_selectorELNS0_4arch9wavefront6targetE0EEEvS13_
		.amdhsa_group_segment_fixed_size 0
		.amdhsa_private_segment_fixed_size 0
		.amdhsa_kernarg_size 184
		.amdhsa_user_sgpr_count 15
		.amdhsa_user_sgpr_dispatch_ptr 0
		.amdhsa_user_sgpr_queue_ptr 0
		.amdhsa_user_sgpr_kernarg_segment_ptr 1
		.amdhsa_user_sgpr_dispatch_id 0
		.amdhsa_user_sgpr_private_segment_size 0
		.amdhsa_wavefront_size32 1
		.amdhsa_uses_dynamic_stack 0
		.amdhsa_enable_private_segment 0
		.amdhsa_system_sgpr_workgroup_id_x 1
		.amdhsa_system_sgpr_workgroup_id_y 0
		.amdhsa_system_sgpr_workgroup_id_z 0
		.amdhsa_system_sgpr_workgroup_info 0
		.amdhsa_system_vgpr_workitem_id 0
		.amdhsa_next_free_vgpr 1
		.amdhsa_next_free_sgpr 1
		.amdhsa_reserve_vcc 0
		.amdhsa_float_round_mode_32 0
		.amdhsa_float_round_mode_16_64 0
		.amdhsa_float_denorm_mode_32 3
		.amdhsa_float_denorm_mode_16_64 3
		.amdhsa_dx10_clamp 1
		.amdhsa_ieee_mode 1
		.amdhsa_fp16_overflow 0
		.amdhsa_workgroup_processor_mode 1
		.amdhsa_memory_ordered 1
		.amdhsa_forward_progress 0
		.amdhsa_shared_vgpr_count 0
		.amdhsa_exception_fp_ieee_invalid_op 0
		.amdhsa_exception_fp_denorm_src 0
		.amdhsa_exception_fp_ieee_div_zero 0
		.amdhsa_exception_fp_ieee_overflow 0
		.amdhsa_exception_fp_ieee_underflow 0
		.amdhsa_exception_fp_ieee_inexact 0
		.amdhsa_exception_int_div_zero 0
	.end_amdhsa_kernel
	.section	.text._ZN7rocprim17ROCPRIM_400000_NS6detail17trampoline_kernelINS0_13select_configILj256ELj13ELNS0_17block_load_methodE3ELS4_3ELS4_3ELNS0_20block_scan_algorithmE0ELj4294967295EEENS1_25partition_config_selectorILNS1_17partition_subalgoE4EjNS0_10empty_typeEbEEZZNS1_14partition_implILS8_4ELb0ES6_15HIP_vector_typeIjLj2EENS0_17counting_iteratorIjlEEPS9_SG_NS0_5tupleIJPjSI_NS0_16reverse_iteratorISI_EEEEENSH_IJSG_SG_SG_EEES9_SI_JZNS1_25segmented_radix_sort_implINS0_14default_configELb0EPK12hip_bfloat16PSP_PKlPlN2at6native12_GLOBAL__N_18offset_tEEE10hipError_tPvRmT1_PNSt15iterator_traitsIS13_E10value_typeET2_T3_PNS14_IS19_E10value_typeET4_jRbjT5_S1F_jjP12ihipStream_tbEUljE_ZNSN_ISO_Lb0ESR_SS_SU_SV_SZ_EES10_S11_S12_S13_S17_S18_S19_S1C_S1D_jS1E_jS1F_S1F_jjS1H_bEUljE0_EEES10_S11_S12_S19_S1D_S1F_T6_T7_T9_mT8_S1H_bDpT10_ENKUlT_T0_E_clISt17integral_constantIbLb1EES1V_EEDaS1Q_S1R_EUlS1Q_E_NS1_11comp_targetILNS1_3genE0ELNS1_11target_archE4294967295ELNS1_3gpuE0ELNS1_3repE0EEENS1_30default_config_static_selectorELNS0_4arch9wavefront6targetE0EEEvS13_,"axG",@progbits,_ZN7rocprim17ROCPRIM_400000_NS6detail17trampoline_kernelINS0_13select_configILj256ELj13ELNS0_17block_load_methodE3ELS4_3ELS4_3ELNS0_20block_scan_algorithmE0ELj4294967295EEENS1_25partition_config_selectorILNS1_17partition_subalgoE4EjNS0_10empty_typeEbEEZZNS1_14partition_implILS8_4ELb0ES6_15HIP_vector_typeIjLj2EENS0_17counting_iteratorIjlEEPS9_SG_NS0_5tupleIJPjSI_NS0_16reverse_iteratorISI_EEEEENSH_IJSG_SG_SG_EEES9_SI_JZNS1_25segmented_radix_sort_implINS0_14default_configELb0EPK12hip_bfloat16PSP_PKlPlN2at6native12_GLOBAL__N_18offset_tEEE10hipError_tPvRmT1_PNSt15iterator_traitsIS13_E10value_typeET2_T3_PNS14_IS19_E10value_typeET4_jRbjT5_S1F_jjP12ihipStream_tbEUljE_ZNSN_ISO_Lb0ESR_SS_SU_SV_SZ_EES10_S11_S12_S13_S17_S18_S19_S1C_S1D_jS1E_jS1F_S1F_jjS1H_bEUljE0_EEES10_S11_S12_S19_S1D_S1F_T6_T7_T9_mT8_S1H_bDpT10_ENKUlT_T0_E_clISt17integral_constantIbLb1EES1V_EEDaS1Q_S1R_EUlS1Q_E_NS1_11comp_targetILNS1_3genE0ELNS1_11target_archE4294967295ELNS1_3gpuE0ELNS1_3repE0EEENS1_30default_config_static_selectorELNS0_4arch9wavefront6targetE0EEEvS13_,comdat
.Lfunc_end1993:
	.size	_ZN7rocprim17ROCPRIM_400000_NS6detail17trampoline_kernelINS0_13select_configILj256ELj13ELNS0_17block_load_methodE3ELS4_3ELS4_3ELNS0_20block_scan_algorithmE0ELj4294967295EEENS1_25partition_config_selectorILNS1_17partition_subalgoE4EjNS0_10empty_typeEbEEZZNS1_14partition_implILS8_4ELb0ES6_15HIP_vector_typeIjLj2EENS0_17counting_iteratorIjlEEPS9_SG_NS0_5tupleIJPjSI_NS0_16reverse_iteratorISI_EEEEENSH_IJSG_SG_SG_EEES9_SI_JZNS1_25segmented_radix_sort_implINS0_14default_configELb0EPK12hip_bfloat16PSP_PKlPlN2at6native12_GLOBAL__N_18offset_tEEE10hipError_tPvRmT1_PNSt15iterator_traitsIS13_E10value_typeET2_T3_PNS14_IS19_E10value_typeET4_jRbjT5_S1F_jjP12ihipStream_tbEUljE_ZNSN_ISO_Lb0ESR_SS_SU_SV_SZ_EES10_S11_S12_S13_S17_S18_S19_S1C_S1D_jS1E_jS1F_S1F_jjS1H_bEUljE0_EEES10_S11_S12_S19_S1D_S1F_T6_T7_T9_mT8_S1H_bDpT10_ENKUlT_T0_E_clISt17integral_constantIbLb1EES1V_EEDaS1Q_S1R_EUlS1Q_E_NS1_11comp_targetILNS1_3genE0ELNS1_11target_archE4294967295ELNS1_3gpuE0ELNS1_3repE0EEENS1_30default_config_static_selectorELNS0_4arch9wavefront6targetE0EEEvS13_, .Lfunc_end1993-_ZN7rocprim17ROCPRIM_400000_NS6detail17trampoline_kernelINS0_13select_configILj256ELj13ELNS0_17block_load_methodE3ELS4_3ELS4_3ELNS0_20block_scan_algorithmE0ELj4294967295EEENS1_25partition_config_selectorILNS1_17partition_subalgoE4EjNS0_10empty_typeEbEEZZNS1_14partition_implILS8_4ELb0ES6_15HIP_vector_typeIjLj2EENS0_17counting_iteratorIjlEEPS9_SG_NS0_5tupleIJPjSI_NS0_16reverse_iteratorISI_EEEEENSH_IJSG_SG_SG_EEES9_SI_JZNS1_25segmented_radix_sort_implINS0_14default_configELb0EPK12hip_bfloat16PSP_PKlPlN2at6native12_GLOBAL__N_18offset_tEEE10hipError_tPvRmT1_PNSt15iterator_traitsIS13_E10value_typeET2_T3_PNS14_IS19_E10value_typeET4_jRbjT5_S1F_jjP12ihipStream_tbEUljE_ZNSN_ISO_Lb0ESR_SS_SU_SV_SZ_EES10_S11_S12_S13_S17_S18_S19_S1C_S1D_jS1E_jS1F_S1F_jjS1H_bEUljE0_EEES10_S11_S12_S19_S1D_S1F_T6_T7_T9_mT8_S1H_bDpT10_ENKUlT_T0_E_clISt17integral_constantIbLb1EES1V_EEDaS1Q_S1R_EUlS1Q_E_NS1_11comp_targetILNS1_3genE0ELNS1_11target_archE4294967295ELNS1_3gpuE0ELNS1_3repE0EEENS1_30default_config_static_selectorELNS0_4arch9wavefront6targetE0EEEvS13_
                                        ; -- End function
	.section	.AMDGPU.csdata,"",@progbits
; Kernel info:
; codeLenInByte = 0
; NumSgprs: 0
; NumVgprs: 0
; ScratchSize: 0
; MemoryBound: 0
; FloatMode: 240
; IeeeMode: 1
; LDSByteSize: 0 bytes/workgroup (compile time only)
; SGPRBlocks: 0
; VGPRBlocks: 0
; NumSGPRsForWavesPerEU: 1
; NumVGPRsForWavesPerEU: 1
; Occupancy: 16
; WaveLimiterHint : 0
; COMPUTE_PGM_RSRC2:SCRATCH_EN: 0
; COMPUTE_PGM_RSRC2:USER_SGPR: 15
; COMPUTE_PGM_RSRC2:TRAP_HANDLER: 0
; COMPUTE_PGM_RSRC2:TGID_X_EN: 1
; COMPUTE_PGM_RSRC2:TGID_Y_EN: 0
; COMPUTE_PGM_RSRC2:TGID_Z_EN: 0
; COMPUTE_PGM_RSRC2:TIDIG_COMP_CNT: 0
	.section	.text._ZN7rocprim17ROCPRIM_400000_NS6detail17trampoline_kernelINS0_13select_configILj256ELj13ELNS0_17block_load_methodE3ELS4_3ELS4_3ELNS0_20block_scan_algorithmE0ELj4294967295EEENS1_25partition_config_selectorILNS1_17partition_subalgoE4EjNS0_10empty_typeEbEEZZNS1_14partition_implILS8_4ELb0ES6_15HIP_vector_typeIjLj2EENS0_17counting_iteratorIjlEEPS9_SG_NS0_5tupleIJPjSI_NS0_16reverse_iteratorISI_EEEEENSH_IJSG_SG_SG_EEES9_SI_JZNS1_25segmented_radix_sort_implINS0_14default_configELb0EPK12hip_bfloat16PSP_PKlPlN2at6native12_GLOBAL__N_18offset_tEEE10hipError_tPvRmT1_PNSt15iterator_traitsIS13_E10value_typeET2_T3_PNS14_IS19_E10value_typeET4_jRbjT5_S1F_jjP12ihipStream_tbEUljE_ZNSN_ISO_Lb0ESR_SS_SU_SV_SZ_EES10_S11_S12_S13_S17_S18_S19_S1C_S1D_jS1E_jS1F_S1F_jjS1H_bEUljE0_EEES10_S11_S12_S19_S1D_S1F_T6_T7_T9_mT8_S1H_bDpT10_ENKUlT_T0_E_clISt17integral_constantIbLb1EES1V_EEDaS1Q_S1R_EUlS1Q_E_NS1_11comp_targetILNS1_3genE5ELNS1_11target_archE942ELNS1_3gpuE9ELNS1_3repE0EEENS1_30default_config_static_selectorELNS0_4arch9wavefront6targetE0EEEvS13_,"axG",@progbits,_ZN7rocprim17ROCPRIM_400000_NS6detail17trampoline_kernelINS0_13select_configILj256ELj13ELNS0_17block_load_methodE3ELS4_3ELS4_3ELNS0_20block_scan_algorithmE0ELj4294967295EEENS1_25partition_config_selectorILNS1_17partition_subalgoE4EjNS0_10empty_typeEbEEZZNS1_14partition_implILS8_4ELb0ES6_15HIP_vector_typeIjLj2EENS0_17counting_iteratorIjlEEPS9_SG_NS0_5tupleIJPjSI_NS0_16reverse_iteratorISI_EEEEENSH_IJSG_SG_SG_EEES9_SI_JZNS1_25segmented_radix_sort_implINS0_14default_configELb0EPK12hip_bfloat16PSP_PKlPlN2at6native12_GLOBAL__N_18offset_tEEE10hipError_tPvRmT1_PNSt15iterator_traitsIS13_E10value_typeET2_T3_PNS14_IS19_E10value_typeET4_jRbjT5_S1F_jjP12ihipStream_tbEUljE_ZNSN_ISO_Lb0ESR_SS_SU_SV_SZ_EES10_S11_S12_S13_S17_S18_S19_S1C_S1D_jS1E_jS1F_S1F_jjS1H_bEUljE0_EEES10_S11_S12_S19_S1D_S1F_T6_T7_T9_mT8_S1H_bDpT10_ENKUlT_T0_E_clISt17integral_constantIbLb1EES1V_EEDaS1Q_S1R_EUlS1Q_E_NS1_11comp_targetILNS1_3genE5ELNS1_11target_archE942ELNS1_3gpuE9ELNS1_3repE0EEENS1_30default_config_static_selectorELNS0_4arch9wavefront6targetE0EEEvS13_,comdat
	.globl	_ZN7rocprim17ROCPRIM_400000_NS6detail17trampoline_kernelINS0_13select_configILj256ELj13ELNS0_17block_load_methodE3ELS4_3ELS4_3ELNS0_20block_scan_algorithmE0ELj4294967295EEENS1_25partition_config_selectorILNS1_17partition_subalgoE4EjNS0_10empty_typeEbEEZZNS1_14partition_implILS8_4ELb0ES6_15HIP_vector_typeIjLj2EENS0_17counting_iteratorIjlEEPS9_SG_NS0_5tupleIJPjSI_NS0_16reverse_iteratorISI_EEEEENSH_IJSG_SG_SG_EEES9_SI_JZNS1_25segmented_radix_sort_implINS0_14default_configELb0EPK12hip_bfloat16PSP_PKlPlN2at6native12_GLOBAL__N_18offset_tEEE10hipError_tPvRmT1_PNSt15iterator_traitsIS13_E10value_typeET2_T3_PNS14_IS19_E10value_typeET4_jRbjT5_S1F_jjP12ihipStream_tbEUljE_ZNSN_ISO_Lb0ESR_SS_SU_SV_SZ_EES10_S11_S12_S13_S17_S18_S19_S1C_S1D_jS1E_jS1F_S1F_jjS1H_bEUljE0_EEES10_S11_S12_S19_S1D_S1F_T6_T7_T9_mT8_S1H_bDpT10_ENKUlT_T0_E_clISt17integral_constantIbLb1EES1V_EEDaS1Q_S1R_EUlS1Q_E_NS1_11comp_targetILNS1_3genE5ELNS1_11target_archE942ELNS1_3gpuE9ELNS1_3repE0EEENS1_30default_config_static_selectorELNS0_4arch9wavefront6targetE0EEEvS13_ ; -- Begin function _ZN7rocprim17ROCPRIM_400000_NS6detail17trampoline_kernelINS0_13select_configILj256ELj13ELNS0_17block_load_methodE3ELS4_3ELS4_3ELNS0_20block_scan_algorithmE0ELj4294967295EEENS1_25partition_config_selectorILNS1_17partition_subalgoE4EjNS0_10empty_typeEbEEZZNS1_14partition_implILS8_4ELb0ES6_15HIP_vector_typeIjLj2EENS0_17counting_iteratorIjlEEPS9_SG_NS0_5tupleIJPjSI_NS0_16reverse_iteratorISI_EEEEENSH_IJSG_SG_SG_EEES9_SI_JZNS1_25segmented_radix_sort_implINS0_14default_configELb0EPK12hip_bfloat16PSP_PKlPlN2at6native12_GLOBAL__N_18offset_tEEE10hipError_tPvRmT1_PNSt15iterator_traitsIS13_E10value_typeET2_T3_PNS14_IS19_E10value_typeET4_jRbjT5_S1F_jjP12ihipStream_tbEUljE_ZNSN_ISO_Lb0ESR_SS_SU_SV_SZ_EES10_S11_S12_S13_S17_S18_S19_S1C_S1D_jS1E_jS1F_S1F_jjS1H_bEUljE0_EEES10_S11_S12_S19_S1D_S1F_T6_T7_T9_mT8_S1H_bDpT10_ENKUlT_T0_E_clISt17integral_constantIbLb1EES1V_EEDaS1Q_S1R_EUlS1Q_E_NS1_11comp_targetILNS1_3genE5ELNS1_11target_archE942ELNS1_3gpuE9ELNS1_3repE0EEENS1_30default_config_static_selectorELNS0_4arch9wavefront6targetE0EEEvS13_
	.p2align	8
	.type	_ZN7rocprim17ROCPRIM_400000_NS6detail17trampoline_kernelINS0_13select_configILj256ELj13ELNS0_17block_load_methodE3ELS4_3ELS4_3ELNS0_20block_scan_algorithmE0ELj4294967295EEENS1_25partition_config_selectorILNS1_17partition_subalgoE4EjNS0_10empty_typeEbEEZZNS1_14partition_implILS8_4ELb0ES6_15HIP_vector_typeIjLj2EENS0_17counting_iteratorIjlEEPS9_SG_NS0_5tupleIJPjSI_NS0_16reverse_iteratorISI_EEEEENSH_IJSG_SG_SG_EEES9_SI_JZNS1_25segmented_radix_sort_implINS0_14default_configELb0EPK12hip_bfloat16PSP_PKlPlN2at6native12_GLOBAL__N_18offset_tEEE10hipError_tPvRmT1_PNSt15iterator_traitsIS13_E10value_typeET2_T3_PNS14_IS19_E10value_typeET4_jRbjT5_S1F_jjP12ihipStream_tbEUljE_ZNSN_ISO_Lb0ESR_SS_SU_SV_SZ_EES10_S11_S12_S13_S17_S18_S19_S1C_S1D_jS1E_jS1F_S1F_jjS1H_bEUljE0_EEES10_S11_S12_S19_S1D_S1F_T6_T7_T9_mT8_S1H_bDpT10_ENKUlT_T0_E_clISt17integral_constantIbLb1EES1V_EEDaS1Q_S1R_EUlS1Q_E_NS1_11comp_targetILNS1_3genE5ELNS1_11target_archE942ELNS1_3gpuE9ELNS1_3repE0EEENS1_30default_config_static_selectorELNS0_4arch9wavefront6targetE0EEEvS13_,@function
_ZN7rocprim17ROCPRIM_400000_NS6detail17trampoline_kernelINS0_13select_configILj256ELj13ELNS0_17block_load_methodE3ELS4_3ELS4_3ELNS0_20block_scan_algorithmE0ELj4294967295EEENS1_25partition_config_selectorILNS1_17partition_subalgoE4EjNS0_10empty_typeEbEEZZNS1_14partition_implILS8_4ELb0ES6_15HIP_vector_typeIjLj2EENS0_17counting_iteratorIjlEEPS9_SG_NS0_5tupleIJPjSI_NS0_16reverse_iteratorISI_EEEEENSH_IJSG_SG_SG_EEES9_SI_JZNS1_25segmented_radix_sort_implINS0_14default_configELb0EPK12hip_bfloat16PSP_PKlPlN2at6native12_GLOBAL__N_18offset_tEEE10hipError_tPvRmT1_PNSt15iterator_traitsIS13_E10value_typeET2_T3_PNS14_IS19_E10value_typeET4_jRbjT5_S1F_jjP12ihipStream_tbEUljE_ZNSN_ISO_Lb0ESR_SS_SU_SV_SZ_EES10_S11_S12_S13_S17_S18_S19_S1C_S1D_jS1E_jS1F_S1F_jjS1H_bEUljE0_EEES10_S11_S12_S19_S1D_S1F_T6_T7_T9_mT8_S1H_bDpT10_ENKUlT_T0_E_clISt17integral_constantIbLb1EES1V_EEDaS1Q_S1R_EUlS1Q_E_NS1_11comp_targetILNS1_3genE5ELNS1_11target_archE942ELNS1_3gpuE9ELNS1_3repE0EEENS1_30default_config_static_selectorELNS0_4arch9wavefront6targetE0EEEvS13_: ; @_ZN7rocprim17ROCPRIM_400000_NS6detail17trampoline_kernelINS0_13select_configILj256ELj13ELNS0_17block_load_methodE3ELS4_3ELS4_3ELNS0_20block_scan_algorithmE0ELj4294967295EEENS1_25partition_config_selectorILNS1_17partition_subalgoE4EjNS0_10empty_typeEbEEZZNS1_14partition_implILS8_4ELb0ES6_15HIP_vector_typeIjLj2EENS0_17counting_iteratorIjlEEPS9_SG_NS0_5tupleIJPjSI_NS0_16reverse_iteratorISI_EEEEENSH_IJSG_SG_SG_EEES9_SI_JZNS1_25segmented_radix_sort_implINS0_14default_configELb0EPK12hip_bfloat16PSP_PKlPlN2at6native12_GLOBAL__N_18offset_tEEE10hipError_tPvRmT1_PNSt15iterator_traitsIS13_E10value_typeET2_T3_PNS14_IS19_E10value_typeET4_jRbjT5_S1F_jjP12ihipStream_tbEUljE_ZNSN_ISO_Lb0ESR_SS_SU_SV_SZ_EES10_S11_S12_S13_S17_S18_S19_S1C_S1D_jS1E_jS1F_S1F_jjS1H_bEUljE0_EEES10_S11_S12_S19_S1D_S1F_T6_T7_T9_mT8_S1H_bDpT10_ENKUlT_T0_E_clISt17integral_constantIbLb1EES1V_EEDaS1Q_S1R_EUlS1Q_E_NS1_11comp_targetILNS1_3genE5ELNS1_11target_archE942ELNS1_3gpuE9ELNS1_3repE0EEENS1_30default_config_static_selectorELNS0_4arch9wavefront6targetE0EEEvS13_
; %bb.0:
	.section	.rodata,"a",@progbits
	.p2align	6, 0x0
	.amdhsa_kernel _ZN7rocprim17ROCPRIM_400000_NS6detail17trampoline_kernelINS0_13select_configILj256ELj13ELNS0_17block_load_methodE3ELS4_3ELS4_3ELNS0_20block_scan_algorithmE0ELj4294967295EEENS1_25partition_config_selectorILNS1_17partition_subalgoE4EjNS0_10empty_typeEbEEZZNS1_14partition_implILS8_4ELb0ES6_15HIP_vector_typeIjLj2EENS0_17counting_iteratorIjlEEPS9_SG_NS0_5tupleIJPjSI_NS0_16reverse_iteratorISI_EEEEENSH_IJSG_SG_SG_EEES9_SI_JZNS1_25segmented_radix_sort_implINS0_14default_configELb0EPK12hip_bfloat16PSP_PKlPlN2at6native12_GLOBAL__N_18offset_tEEE10hipError_tPvRmT1_PNSt15iterator_traitsIS13_E10value_typeET2_T3_PNS14_IS19_E10value_typeET4_jRbjT5_S1F_jjP12ihipStream_tbEUljE_ZNSN_ISO_Lb0ESR_SS_SU_SV_SZ_EES10_S11_S12_S13_S17_S18_S19_S1C_S1D_jS1E_jS1F_S1F_jjS1H_bEUljE0_EEES10_S11_S12_S19_S1D_S1F_T6_T7_T9_mT8_S1H_bDpT10_ENKUlT_T0_E_clISt17integral_constantIbLb1EES1V_EEDaS1Q_S1R_EUlS1Q_E_NS1_11comp_targetILNS1_3genE5ELNS1_11target_archE942ELNS1_3gpuE9ELNS1_3repE0EEENS1_30default_config_static_selectorELNS0_4arch9wavefront6targetE0EEEvS13_
		.amdhsa_group_segment_fixed_size 0
		.amdhsa_private_segment_fixed_size 0
		.amdhsa_kernarg_size 184
		.amdhsa_user_sgpr_count 15
		.amdhsa_user_sgpr_dispatch_ptr 0
		.amdhsa_user_sgpr_queue_ptr 0
		.amdhsa_user_sgpr_kernarg_segment_ptr 1
		.amdhsa_user_sgpr_dispatch_id 0
		.amdhsa_user_sgpr_private_segment_size 0
		.amdhsa_wavefront_size32 1
		.amdhsa_uses_dynamic_stack 0
		.amdhsa_enable_private_segment 0
		.amdhsa_system_sgpr_workgroup_id_x 1
		.amdhsa_system_sgpr_workgroup_id_y 0
		.amdhsa_system_sgpr_workgroup_id_z 0
		.amdhsa_system_sgpr_workgroup_info 0
		.amdhsa_system_vgpr_workitem_id 0
		.amdhsa_next_free_vgpr 1
		.amdhsa_next_free_sgpr 1
		.amdhsa_reserve_vcc 0
		.amdhsa_float_round_mode_32 0
		.amdhsa_float_round_mode_16_64 0
		.amdhsa_float_denorm_mode_32 3
		.amdhsa_float_denorm_mode_16_64 3
		.amdhsa_dx10_clamp 1
		.amdhsa_ieee_mode 1
		.amdhsa_fp16_overflow 0
		.amdhsa_workgroup_processor_mode 1
		.amdhsa_memory_ordered 1
		.amdhsa_forward_progress 0
		.amdhsa_shared_vgpr_count 0
		.amdhsa_exception_fp_ieee_invalid_op 0
		.amdhsa_exception_fp_denorm_src 0
		.amdhsa_exception_fp_ieee_div_zero 0
		.amdhsa_exception_fp_ieee_overflow 0
		.amdhsa_exception_fp_ieee_underflow 0
		.amdhsa_exception_fp_ieee_inexact 0
		.amdhsa_exception_int_div_zero 0
	.end_amdhsa_kernel
	.section	.text._ZN7rocprim17ROCPRIM_400000_NS6detail17trampoline_kernelINS0_13select_configILj256ELj13ELNS0_17block_load_methodE3ELS4_3ELS4_3ELNS0_20block_scan_algorithmE0ELj4294967295EEENS1_25partition_config_selectorILNS1_17partition_subalgoE4EjNS0_10empty_typeEbEEZZNS1_14partition_implILS8_4ELb0ES6_15HIP_vector_typeIjLj2EENS0_17counting_iteratorIjlEEPS9_SG_NS0_5tupleIJPjSI_NS0_16reverse_iteratorISI_EEEEENSH_IJSG_SG_SG_EEES9_SI_JZNS1_25segmented_radix_sort_implINS0_14default_configELb0EPK12hip_bfloat16PSP_PKlPlN2at6native12_GLOBAL__N_18offset_tEEE10hipError_tPvRmT1_PNSt15iterator_traitsIS13_E10value_typeET2_T3_PNS14_IS19_E10value_typeET4_jRbjT5_S1F_jjP12ihipStream_tbEUljE_ZNSN_ISO_Lb0ESR_SS_SU_SV_SZ_EES10_S11_S12_S13_S17_S18_S19_S1C_S1D_jS1E_jS1F_S1F_jjS1H_bEUljE0_EEES10_S11_S12_S19_S1D_S1F_T6_T7_T9_mT8_S1H_bDpT10_ENKUlT_T0_E_clISt17integral_constantIbLb1EES1V_EEDaS1Q_S1R_EUlS1Q_E_NS1_11comp_targetILNS1_3genE5ELNS1_11target_archE942ELNS1_3gpuE9ELNS1_3repE0EEENS1_30default_config_static_selectorELNS0_4arch9wavefront6targetE0EEEvS13_,"axG",@progbits,_ZN7rocprim17ROCPRIM_400000_NS6detail17trampoline_kernelINS0_13select_configILj256ELj13ELNS0_17block_load_methodE3ELS4_3ELS4_3ELNS0_20block_scan_algorithmE0ELj4294967295EEENS1_25partition_config_selectorILNS1_17partition_subalgoE4EjNS0_10empty_typeEbEEZZNS1_14partition_implILS8_4ELb0ES6_15HIP_vector_typeIjLj2EENS0_17counting_iteratorIjlEEPS9_SG_NS0_5tupleIJPjSI_NS0_16reverse_iteratorISI_EEEEENSH_IJSG_SG_SG_EEES9_SI_JZNS1_25segmented_radix_sort_implINS0_14default_configELb0EPK12hip_bfloat16PSP_PKlPlN2at6native12_GLOBAL__N_18offset_tEEE10hipError_tPvRmT1_PNSt15iterator_traitsIS13_E10value_typeET2_T3_PNS14_IS19_E10value_typeET4_jRbjT5_S1F_jjP12ihipStream_tbEUljE_ZNSN_ISO_Lb0ESR_SS_SU_SV_SZ_EES10_S11_S12_S13_S17_S18_S19_S1C_S1D_jS1E_jS1F_S1F_jjS1H_bEUljE0_EEES10_S11_S12_S19_S1D_S1F_T6_T7_T9_mT8_S1H_bDpT10_ENKUlT_T0_E_clISt17integral_constantIbLb1EES1V_EEDaS1Q_S1R_EUlS1Q_E_NS1_11comp_targetILNS1_3genE5ELNS1_11target_archE942ELNS1_3gpuE9ELNS1_3repE0EEENS1_30default_config_static_selectorELNS0_4arch9wavefront6targetE0EEEvS13_,comdat
.Lfunc_end1994:
	.size	_ZN7rocprim17ROCPRIM_400000_NS6detail17trampoline_kernelINS0_13select_configILj256ELj13ELNS0_17block_load_methodE3ELS4_3ELS4_3ELNS0_20block_scan_algorithmE0ELj4294967295EEENS1_25partition_config_selectorILNS1_17partition_subalgoE4EjNS0_10empty_typeEbEEZZNS1_14partition_implILS8_4ELb0ES6_15HIP_vector_typeIjLj2EENS0_17counting_iteratorIjlEEPS9_SG_NS0_5tupleIJPjSI_NS0_16reverse_iteratorISI_EEEEENSH_IJSG_SG_SG_EEES9_SI_JZNS1_25segmented_radix_sort_implINS0_14default_configELb0EPK12hip_bfloat16PSP_PKlPlN2at6native12_GLOBAL__N_18offset_tEEE10hipError_tPvRmT1_PNSt15iterator_traitsIS13_E10value_typeET2_T3_PNS14_IS19_E10value_typeET4_jRbjT5_S1F_jjP12ihipStream_tbEUljE_ZNSN_ISO_Lb0ESR_SS_SU_SV_SZ_EES10_S11_S12_S13_S17_S18_S19_S1C_S1D_jS1E_jS1F_S1F_jjS1H_bEUljE0_EEES10_S11_S12_S19_S1D_S1F_T6_T7_T9_mT8_S1H_bDpT10_ENKUlT_T0_E_clISt17integral_constantIbLb1EES1V_EEDaS1Q_S1R_EUlS1Q_E_NS1_11comp_targetILNS1_3genE5ELNS1_11target_archE942ELNS1_3gpuE9ELNS1_3repE0EEENS1_30default_config_static_selectorELNS0_4arch9wavefront6targetE0EEEvS13_, .Lfunc_end1994-_ZN7rocprim17ROCPRIM_400000_NS6detail17trampoline_kernelINS0_13select_configILj256ELj13ELNS0_17block_load_methodE3ELS4_3ELS4_3ELNS0_20block_scan_algorithmE0ELj4294967295EEENS1_25partition_config_selectorILNS1_17partition_subalgoE4EjNS0_10empty_typeEbEEZZNS1_14partition_implILS8_4ELb0ES6_15HIP_vector_typeIjLj2EENS0_17counting_iteratorIjlEEPS9_SG_NS0_5tupleIJPjSI_NS0_16reverse_iteratorISI_EEEEENSH_IJSG_SG_SG_EEES9_SI_JZNS1_25segmented_radix_sort_implINS0_14default_configELb0EPK12hip_bfloat16PSP_PKlPlN2at6native12_GLOBAL__N_18offset_tEEE10hipError_tPvRmT1_PNSt15iterator_traitsIS13_E10value_typeET2_T3_PNS14_IS19_E10value_typeET4_jRbjT5_S1F_jjP12ihipStream_tbEUljE_ZNSN_ISO_Lb0ESR_SS_SU_SV_SZ_EES10_S11_S12_S13_S17_S18_S19_S1C_S1D_jS1E_jS1F_S1F_jjS1H_bEUljE0_EEES10_S11_S12_S19_S1D_S1F_T6_T7_T9_mT8_S1H_bDpT10_ENKUlT_T0_E_clISt17integral_constantIbLb1EES1V_EEDaS1Q_S1R_EUlS1Q_E_NS1_11comp_targetILNS1_3genE5ELNS1_11target_archE942ELNS1_3gpuE9ELNS1_3repE0EEENS1_30default_config_static_selectorELNS0_4arch9wavefront6targetE0EEEvS13_
                                        ; -- End function
	.section	.AMDGPU.csdata,"",@progbits
; Kernel info:
; codeLenInByte = 0
; NumSgprs: 0
; NumVgprs: 0
; ScratchSize: 0
; MemoryBound: 0
; FloatMode: 240
; IeeeMode: 1
; LDSByteSize: 0 bytes/workgroup (compile time only)
; SGPRBlocks: 0
; VGPRBlocks: 0
; NumSGPRsForWavesPerEU: 1
; NumVGPRsForWavesPerEU: 1
; Occupancy: 16
; WaveLimiterHint : 0
; COMPUTE_PGM_RSRC2:SCRATCH_EN: 0
; COMPUTE_PGM_RSRC2:USER_SGPR: 15
; COMPUTE_PGM_RSRC2:TRAP_HANDLER: 0
; COMPUTE_PGM_RSRC2:TGID_X_EN: 1
; COMPUTE_PGM_RSRC2:TGID_Y_EN: 0
; COMPUTE_PGM_RSRC2:TGID_Z_EN: 0
; COMPUTE_PGM_RSRC2:TIDIG_COMP_CNT: 0
	.section	.text._ZN7rocprim17ROCPRIM_400000_NS6detail17trampoline_kernelINS0_13select_configILj256ELj13ELNS0_17block_load_methodE3ELS4_3ELS4_3ELNS0_20block_scan_algorithmE0ELj4294967295EEENS1_25partition_config_selectorILNS1_17partition_subalgoE4EjNS0_10empty_typeEbEEZZNS1_14partition_implILS8_4ELb0ES6_15HIP_vector_typeIjLj2EENS0_17counting_iteratorIjlEEPS9_SG_NS0_5tupleIJPjSI_NS0_16reverse_iteratorISI_EEEEENSH_IJSG_SG_SG_EEES9_SI_JZNS1_25segmented_radix_sort_implINS0_14default_configELb0EPK12hip_bfloat16PSP_PKlPlN2at6native12_GLOBAL__N_18offset_tEEE10hipError_tPvRmT1_PNSt15iterator_traitsIS13_E10value_typeET2_T3_PNS14_IS19_E10value_typeET4_jRbjT5_S1F_jjP12ihipStream_tbEUljE_ZNSN_ISO_Lb0ESR_SS_SU_SV_SZ_EES10_S11_S12_S13_S17_S18_S19_S1C_S1D_jS1E_jS1F_S1F_jjS1H_bEUljE0_EEES10_S11_S12_S19_S1D_S1F_T6_T7_T9_mT8_S1H_bDpT10_ENKUlT_T0_E_clISt17integral_constantIbLb1EES1V_EEDaS1Q_S1R_EUlS1Q_E_NS1_11comp_targetILNS1_3genE4ELNS1_11target_archE910ELNS1_3gpuE8ELNS1_3repE0EEENS1_30default_config_static_selectorELNS0_4arch9wavefront6targetE0EEEvS13_,"axG",@progbits,_ZN7rocprim17ROCPRIM_400000_NS6detail17trampoline_kernelINS0_13select_configILj256ELj13ELNS0_17block_load_methodE3ELS4_3ELS4_3ELNS0_20block_scan_algorithmE0ELj4294967295EEENS1_25partition_config_selectorILNS1_17partition_subalgoE4EjNS0_10empty_typeEbEEZZNS1_14partition_implILS8_4ELb0ES6_15HIP_vector_typeIjLj2EENS0_17counting_iteratorIjlEEPS9_SG_NS0_5tupleIJPjSI_NS0_16reverse_iteratorISI_EEEEENSH_IJSG_SG_SG_EEES9_SI_JZNS1_25segmented_radix_sort_implINS0_14default_configELb0EPK12hip_bfloat16PSP_PKlPlN2at6native12_GLOBAL__N_18offset_tEEE10hipError_tPvRmT1_PNSt15iterator_traitsIS13_E10value_typeET2_T3_PNS14_IS19_E10value_typeET4_jRbjT5_S1F_jjP12ihipStream_tbEUljE_ZNSN_ISO_Lb0ESR_SS_SU_SV_SZ_EES10_S11_S12_S13_S17_S18_S19_S1C_S1D_jS1E_jS1F_S1F_jjS1H_bEUljE0_EEES10_S11_S12_S19_S1D_S1F_T6_T7_T9_mT8_S1H_bDpT10_ENKUlT_T0_E_clISt17integral_constantIbLb1EES1V_EEDaS1Q_S1R_EUlS1Q_E_NS1_11comp_targetILNS1_3genE4ELNS1_11target_archE910ELNS1_3gpuE8ELNS1_3repE0EEENS1_30default_config_static_selectorELNS0_4arch9wavefront6targetE0EEEvS13_,comdat
	.globl	_ZN7rocprim17ROCPRIM_400000_NS6detail17trampoline_kernelINS0_13select_configILj256ELj13ELNS0_17block_load_methodE3ELS4_3ELS4_3ELNS0_20block_scan_algorithmE0ELj4294967295EEENS1_25partition_config_selectorILNS1_17partition_subalgoE4EjNS0_10empty_typeEbEEZZNS1_14partition_implILS8_4ELb0ES6_15HIP_vector_typeIjLj2EENS0_17counting_iteratorIjlEEPS9_SG_NS0_5tupleIJPjSI_NS0_16reverse_iteratorISI_EEEEENSH_IJSG_SG_SG_EEES9_SI_JZNS1_25segmented_radix_sort_implINS0_14default_configELb0EPK12hip_bfloat16PSP_PKlPlN2at6native12_GLOBAL__N_18offset_tEEE10hipError_tPvRmT1_PNSt15iterator_traitsIS13_E10value_typeET2_T3_PNS14_IS19_E10value_typeET4_jRbjT5_S1F_jjP12ihipStream_tbEUljE_ZNSN_ISO_Lb0ESR_SS_SU_SV_SZ_EES10_S11_S12_S13_S17_S18_S19_S1C_S1D_jS1E_jS1F_S1F_jjS1H_bEUljE0_EEES10_S11_S12_S19_S1D_S1F_T6_T7_T9_mT8_S1H_bDpT10_ENKUlT_T0_E_clISt17integral_constantIbLb1EES1V_EEDaS1Q_S1R_EUlS1Q_E_NS1_11comp_targetILNS1_3genE4ELNS1_11target_archE910ELNS1_3gpuE8ELNS1_3repE0EEENS1_30default_config_static_selectorELNS0_4arch9wavefront6targetE0EEEvS13_ ; -- Begin function _ZN7rocprim17ROCPRIM_400000_NS6detail17trampoline_kernelINS0_13select_configILj256ELj13ELNS0_17block_load_methodE3ELS4_3ELS4_3ELNS0_20block_scan_algorithmE0ELj4294967295EEENS1_25partition_config_selectorILNS1_17partition_subalgoE4EjNS0_10empty_typeEbEEZZNS1_14partition_implILS8_4ELb0ES6_15HIP_vector_typeIjLj2EENS0_17counting_iteratorIjlEEPS9_SG_NS0_5tupleIJPjSI_NS0_16reverse_iteratorISI_EEEEENSH_IJSG_SG_SG_EEES9_SI_JZNS1_25segmented_radix_sort_implINS0_14default_configELb0EPK12hip_bfloat16PSP_PKlPlN2at6native12_GLOBAL__N_18offset_tEEE10hipError_tPvRmT1_PNSt15iterator_traitsIS13_E10value_typeET2_T3_PNS14_IS19_E10value_typeET4_jRbjT5_S1F_jjP12ihipStream_tbEUljE_ZNSN_ISO_Lb0ESR_SS_SU_SV_SZ_EES10_S11_S12_S13_S17_S18_S19_S1C_S1D_jS1E_jS1F_S1F_jjS1H_bEUljE0_EEES10_S11_S12_S19_S1D_S1F_T6_T7_T9_mT8_S1H_bDpT10_ENKUlT_T0_E_clISt17integral_constantIbLb1EES1V_EEDaS1Q_S1R_EUlS1Q_E_NS1_11comp_targetILNS1_3genE4ELNS1_11target_archE910ELNS1_3gpuE8ELNS1_3repE0EEENS1_30default_config_static_selectorELNS0_4arch9wavefront6targetE0EEEvS13_
	.p2align	8
	.type	_ZN7rocprim17ROCPRIM_400000_NS6detail17trampoline_kernelINS0_13select_configILj256ELj13ELNS0_17block_load_methodE3ELS4_3ELS4_3ELNS0_20block_scan_algorithmE0ELj4294967295EEENS1_25partition_config_selectorILNS1_17partition_subalgoE4EjNS0_10empty_typeEbEEZZNS1_14partition_implILS8_4ELb0ES6_15HIP_vector_typeIjLj2EENS0_17counting_iteratorIjlEEPS9_SG_NS0_5tupleIJPjSI_NS0_16reverse_iteratorISI_EEEEENSH_IJSG_SG_SG_EEES9_SI_JZNS1_25segmented_radix_sort_implINS0_14default_configELb0EPK12hip_bfloat16PSP_PKlPlN2at6native12_GLOBAL__N_18offset_tEEE10hipError_tPvRmT1_PNSt15iterator_traitsIS13_E10value_typeET2_T3_PNS14_IS19_E10value_typeET4_jRbjT5_S1F_jjP12ihipStream_tbEUljE_ZNSN_ISO_Lb0ESR_SS_SU_SV_SZ_EES10_S11_S12_S13_S17_S18_S19_S1C_S1D_jS1E_jS1F_S1F_jjS1H_bEUljE0_EEES10_S11_S12_S19_S1D_S1F_T6_T7_T9_mT8_S1H_bDpT10_ENKUlT_T0_E_clISt17integral_constantIbLb1EES1V_EEDaS1Q_S1R_EUlS1Q_E_NS1_11comp_targetILNS1_3genE4ELNS1_11target_archE910ELNS1_3gpuE8ELNS1_3repE0EEENS1_30default_config_static_selectorELNS0_4arch9wavefront6targetE0EEEvS13_,@function
_ZN7rocprim17ROCPRIM_400000_NS6detail17trampoline_kernelINS0_13select_configILj256ELj13ELNS0_17block_load_methodE3ELS4_3ELS4_3ELNS0_20block_scan_algorithmE0ELj4294967295EEENS1_25partition_config_selectorILNS1_17partition_subalgoE4EjNS0_10empty_typeEbEEZZNS1_14partition_implILS8_4ELb0ES6_15HIP_vector_typeIjLj2EENS0_17counting_iteratorIjlEEPS9_SG_NS0_5tupleIJPjSI_NS0_16reverse_iteratorISI_EEEEENSH_IJSG_SG_SG_EEES9_SI_JZNS1_25segmented_radix_sort_implINS0_14default_configELb0EPK12hip_bfloat16PSP_PKlPlN2at6native12_GLOBAL__N_18offset_tEEE10hipError_tPvRmT1_PNSt15iterator_traitsIS13_E10value_typeET2_T3_PNS14_IS19_E10value_typeET4_jRbjT5_S1F_jjP12ihipStream_tbEUljE_ZNSN_ISO_Lb0ESR_SS_SU_SV_SZ_EES10_S11_S12_S13_S17_S18_S19_S1C_S1D_jS1E_jS1F_S1F_jjS1H_bEUljE0_EEES10_S11_S12_S19_S1D_S1F_T6_T7_T9_mT8_S1H_bDpT10_ENKUlT_T0_E_clISt17integral_constantIbLb1EES1V_EEDaS1Q_S1R_EUlS1Q_E_NS1_11comp_targetILNS1_3genE4ELNS1_11target_archE910ELNS1_3gpuE8ELNS1_3repE0EEENS1_30default_config_static_selectorELNS0_4arch9wavefront6targetE0EEEvS13_: ; @_ZN7rocprim17ROCPRIM_400000_NS6detail17trampoline_kernelINS0_13select_configILj256ELj13ELNS0_17block_load_methodE3ELS4_3ELS4_3ELNS0_20block_scan_algorithmE0ELj4294967295EEENS1_25partition_config_selectorILNS1_17partition_subalgoE4EjNS0_10empty_typeEbEEZZNS1_14partition_implILS8_4ELb0ES6_15HIP_vector_typeIjLj2EENS0_17counting_iteratorIjlEEPS9_SG_NS0_5tupleIJPjSI_NS0_16reverse_iteratorISI_EEEEENSH_IJSG_SG_SG_EEES9_SI_JZNS1_25segmented_radix_sort_implINS0_14default_configELb0EPK12hip_bfloat16PSP_PKlPlN2at6native12_GLOBAL__N_18offset_tEEE10hipError_tPvRmT1_PNSt15iterator_traitsIS13_E10value_typeET2_T3_PNS14_IS19_E10value_typeET4_jRbjT5_S1F_jjP12ihipStream_tbEUljE_ZNSN_ISO_Lb0ESR_SS_SU_SV_SZ_EES10_S11_S12_S13_S17_S18_S19_S1C_S1D_jS1E_jS1F_S1F_jjS1H_bEUljE0_EEES10_S11_S12_S19_S1D_S1F_T6_T7_T9_mT8_S1H_bDpT10_ENKUlT_T0_E_clISt17integral_constantIbLb1EES1V_EEDaS1Q_S1R_EUlS1Q_E_NS1_11comp_targetILNS1_3genE4ELNS1_11target_archE910ELNS1_3gpuE8ELNS1_3repE0EEENS1_30default_config_static_selectorELNS0_4arch9wavefront6targetE0EEEvS13_
; %bb.0:
	.section	.rodata,"a",@progbits
	.p2align	6, 0x0
	.amdhsa_kernel _ZN7rocprim17ROCPRIM_400000_NS6detail17trampoline_kernelINS0_13select_configILj256ELj13ELNS0_17block_load_methodE3ELS4_3ELS4_3ELNS0_20block_scan_algorithmE0ELj4294967295EEENS1_25partition_config_selectorILNS1_17partition_subalgoE4EjNS0_10empty_typeEbEEZZNS1_14partition_implILS8_4ELb0ES6_15HIP_vector_typeIjLj2EENS0_17counting_iteratorIjlEEPS9_SG_NS0_5tupleIJPjSI_NS0_16reverse_iteratorISI_EEEEENSH_IJSG_SG_SG_EEES9_SI_JZNS1_25segmented_radix_sort_implINS0_14default_configELb0EPK12hip_bfloat16PSP_PKlPlN2at6native12_GLOBAL__N_18offset_tEEE10hipError_tPvRmT1_PNSt15iterator_traitsIS13_E10value_typeET2_T3_PNS14_IS19_E10value_typeET4_jRbjT5_S1F_jjP12ihipStream_tbEUljE_ZNSN_ISO_Lb0ESR_SS_SU_SV_SZ_EES10_S11_S12_S13_S17_S18_S19_S1C_S1D_jS1E_jS1F_S1F_jjS1H_bEUljE0_EEES10_S11_S12_S19_S1D_S1F_T6_T7_T9_mT8_S1H_bDpT10_ENKUlT_T0_E_clISt17integral_constantIbLb1EES1V_EEDaS1Q_S1R_EUlS1Q_E_NS1_11comp_targetILNS1_3genE4ELNS1_11target_archE910ELNS1_3gpuE8ELNS1_3repE0EEENS1_30default_config_static_selectorELNS0_4arch9wavefront6targetE0EEEvS13_
		.amdhsa_group_segment_fixed_size 0
		.amdhsa_private_segment_fixed_size 0
		.amdhsa_kernarg_size 184
		.amdhsa_user_sgpr_count 15
		.amdhsa_user_sgpr_dispatch_ptr 0
		.amdhsa_user_sgpr_queue_ptr 0
		.amdhsa_user_sgpr_kernarg_segment_ptr 1
		.amdhsa_user_sgpr_dispatch_id 0
		.amdhsa_user_sgpr_private_segment_size 0
		.amdhsa_wavefront_size32 1
		.amdhsa_uses_dynamic_stack 0
		.amdhsa_enable_private_segment 0
		.amdhsa_system_sgpr_workgroup_id_x 1
		.amdhsa_system_sgpr_workgroup_id_y 0
		.amdhsa_system_sgpr_workgroup_id_z 0
		.amdhsa_system_sgpr_workgroup_info 0
		.amdhsa_system_vgpr_workitem_id 0
		.amdhsa_next_free_vgpr 1
		.amdhsa_next_free_sgpr 1
		.amdhsa_reserve_vcc 0
		.amdhsa_float_round_mode_32 0
		.amdhsa_float_round_mode_16_64 0
		.amdhsa_float_denorm_mode_32 3
		.amdhsa_float_denorm_mode_16_64 3
		.amdhsa_dx10_clamp 1
		.amdhsa_ieee_mode 1
		.amdhsa_fp16_overflow 0
		.amdhsa_workgroup_processor_mode 1
		.amdhsa_memory_ordered 1
		.amdhsa_forward_progress 0
		.amdhsa_shared_vgpr_count 0
		.amdhsa_exception_fp_ieee_invalid_op 0
		.amdhsa_exception_fp_denorm_src 0
		.amdhsa_exception_fp_ieee_div_zero 0
		.amdhsa_exception_fp_ieee_overflow 0
		.amdhsa_exception_fp_ieee_underflow 0
		.amdhsa_exception_fp_ieee_inexact 0
		.amdhsa_exception_int_div_zero 0
	.end_amdhsa_kernel
	.section	.text._ZN7rocprim17ROCPRIM_400000_NS6detail17trampoline_kernelINS0_13select_configILj256ELj13ELNS0_17block_load_methodE3ELS4_3ELS4_3ELNS0_20block_scan_algorithmE0ELj4294967295EEENS1_25partition_config_selectorILNS1_17partition_subalgoE4EjNS0_10empty_typeEbEEZZNS1_14partition_implILS8_4ELb0ES6_15HIP_vector_typeIjLj2EENS0_17counting_iteratorIjlEEPS9_SG_NS0_5tupleIJPjSI_NS0_16reverse_iteratorISI_EEEEENSH_IJSG_SG_SG_EEES9_SI_JZNS1_25segmented_radix_sort_implINS0_14default_configELb0EPK12hip_bfloat16PSP_PKlPlN2at6native12_GLOBAL__N_18offset_tEEE10hipError_tPvRmT1_PNSt15iterator_traitsIS13_E10value_typeET2_T3_PNS14_IS19_E10value_typeET4_jRbjT5_S1F_jjP12ihipStream_tbEUljE_ZNSN_ISO_Lb0ESR_SS_SU_SV_SZ_EES10_S11_S12_S13_S17_S18_S19_S1C_S1D_jS1E_jS1F_S1F_jjS1H_bEUljE0_EEES10_S11_S12_S19_S1D_S1F_T6_T7_T9_mT8_S1H_bDpT10_ENKUlT_T0_E_clISt17integral_constantIbLb1EES1V_EEDaS1Q_S1R_EUlS1Q_E_NS1_11comp_targetILNS1_3genE4ELNS1_11target_archE910ELNS1_3gpuE8ELNS1_3repE0EEENS1_30default_config_static_selectorELNS0_4arch9wavefront6targetE0EEEvS13_,"axG",@progbits,_ZN7rocprim17ROCPRIM_400000_NS6detail17trampoline_kernelINS0_13select_configILj256ELj13ELNS0_17block_load_methodE3ELS4_3ELS4_3ELNS0_20block_scan_algorithmE0ELj4294967295EEENS1_25partition_config_selectorILNS1_17partition_subalgoE4EjNS0_10empty_typeEbEEZZNS1_14partition_implILS8_4ELb0ES6_15HIP_vector_typeIjLj2EENS0_17counting_iteratorIjlEEPS9_SG_NS0_5tupleIJPjSI_NS0_16reverse_iteratorISI_EEEEENSH_IJSG_SG_SG_EEES9_SI_JZNS1_25segmented_radix_sort_implINS0_14default_configELb0EPK12hip_bfloat16PSP_PKlPlN2at6native12_GLOBAL__N_18offset_tEEE10hipError_tPvRmT1_PNSt15iterator_traitsIS13_E10value_typeET2_T3_PNS14_IS19_E10value_typeET4_jRbjT5_S1F_jjP12ihipStream_tbEUljE_ZNSN_ISO_Lb0ESR_SS_SU_SV_SZ_EES10_S11_S12_S13_S17_S18_S19_S1C_S1D_jS1E_jS1F_S1F_jjS1H_bEUljE0_EEES10_S11_S12_S19_S1D_S1F_T6_T7_T9_mT8_S1H_bDpT10_ENKUlT_T0_E_clISt17integral_constantIbLb1EES1V_EEDaS1Q_S1R_EUlS1Q_E_NS1_11comp_targetILNS1_3genE4ELNS1_11target_archE910ELNS1_3gpuE8ELNS1_3repE0EEENS1_30default_config_static_selectorELNS0_4arch9wavefront6targetE0EEEvS13_,comdat
.Lfunc_end1995:
	.size	_ZN7rocprim17ROCPRIM_400000_NS6detail17trampoline_kernelINS0_13select_configILj256ELj13ELNS0_17block_load_methodE3ELS4_3ELS4_3ELNS0_20block_scan_algorithmE0ELj4294967295EEENS1_25partition_config_selectorILNS1_17partition_subalgoE4EjNS0_10empty_typeEbEEZZNS1_14partition_implILS8_4ELb0ES6_15HIP_vector_typeIjLj2EENS0_17counting_iteratorIjlEEPS9_SG_NS0_5tupleIJPjSI_NS0_16reverse_iteratorISI_EEEEENSH_IJSG_SG_SG_EEES9_SI_JZNS1_25segmented_radix_sort_implINS0_14default_configELb0EPK12hip_bfloat16PSP_PKlPlN2at6native12_GLOBAL__N_18offset_tEEE10hipError_tPvRmT1_PNSt15iterator_traitsIS13_E10value_typeET2_T3_PNS14_IS19_E10value_typeET4_jRbjT5_S1F_jjP12ihipStream_tbEUljE_ZNSN_ISO_Lb0ESR_SS_SU_SV_SZ_EES10_S11_S12_S13_S17_S18_S19_S1C_S1D_jS1E_jS1F_S1F_jjS1H_bEUljE0_EEES10_S11_S12_S19_S1D_S1F_T6_T7_T9_mT8_S1H_bDpT10_ENKUlT_T0_E_clISt17integral_constantIbLb1EES1V_EEDaS1Q_S1R_EUlS1Q_E_NS1_11comp_targetILNS1_3genE4ELNS1_11target_archE910ELNS1_3gpuE8ELNS1_3repE0EEENS1_30default_config_static_selectorELNS0_4arch9wavefront6targetE0EEEvS13_, .Lfunc_end1995-_ZN7rocprim17ROCPRIM_400000_NS6detail17trampoline_kernelINS0_13select_configILj256ELj13ELNS0_17block_load_methodE3ELS4_3ELS4_3ELNS0_20block_scan_algorithmE0ELj4294967295EEENS1_25partition_config_selectorILNS1_17partition_subalgoE4EjNS0_10empty_typeEbEEZZNS1_14partition_implILS8_4ELb0ES6_15HIP_vector_typeIjLj2EENS0_17counting_iteratorIjlEEPS9_SG_NS0_5tupleIJPjSI_NS0_16reverse_iteratorISI_EEEEENSH_IJSG_SG_SG_EEES9_SI_JZNS1_25segmented_radix_sort_implINS0_14default_configELb0EPK12hip_bfloat16PSP_PKlPlN2at6native12_GLOBAL__N_18offset_tEEE10hipError_tPvRmT1_PNSt15iterator_traitsIS13_E10value_typeET2_T3_PNS14_IS19_E10value_typeET4_jRbjT5_S1F_jjP12ihipStream_tbEUljE_ZNSN_ISO_Lb0ESR_SS_SU_SV_SZ_EES10_S11_S12_S13_S17_S18_S19_S1C_S1D_jS1E_jS1F_S1F_jjS1H_bEUljE0_EEES10_S11_S12_S19_S1D_S1F_T6_T7_T9_mT8_S1H_bDpT10_ENKUlT_T0_E_clISt17integral_constantIbLb1EES1V_EEDaS1Q_S1R_EUlS1Q_E_NS1_11comp_targetILNS1_3genE4ELNS1_11target_archE910ELNS1_3gpuE8ELNS1_3repE0EEENS1_30default_config_static_selectorELNS0_4arch9wavefront6targetE0EEEvS13_
                                        ; -- End function
	.section	.AMDGPU.csdata,"",@progbits
; Kernel info:
; codeLenInByte = 0
; NumSgprs: 0
; NumVgprs: 0
; ScratchSize: 0
; MemoryBound: 0
; FloatMode: 240
; IeeeMode: 1
; LDSByteSize: 0 bytes/workgroup (compile time only)
; SGPRBlocks: 0
; VGPRBlocks: 0
; NumSGPRsForWavesPerEU: 1
; NumVGPRsForWavesPerEU: 1
; Occupancy: 16
; WaveLimiterHint : 0
; COMPUTE_PGM_RSRC2:SCRATCH_EN: 0
; COMPUTE_PGM_RSRC2:USER_SGPR: 15
; COMPUTE_PGM_RSRC2:TRAP_HANDLER: 0
; COMPUTE_PGM_RSRC2:TGID_X_EN: 1
; COMPUTE_PGM_RSRC2:TGID_Y_EN: 0
; COMPUTE_PGM_RSRC2:TGID_Z_EN: 0
; COMPUTE_PGM_RSRC2:TIDIG_COMP_CNT: 0
	.section	.text._ZN7rocprim17ROCPRIM_400000_NS6detail17trampoline_kernelINS0_13select_configILj256ELj13ELNS0_17block_load_methodE3ELS4_3ELS4_3ELNS0_20block_scan_algorithmE0ELj4294967295EEENS1_25partition_config_selectorILNS1_17partition_subalgoE4EjNS0_10empty_typeEbEEZZNS1_14partition_implILS8_4ELb0ES6_15HIP_vector_typeIjLj2EENS0_17counting_iteratorIjlEEPS9_SG_NS0_5tupleIJPjSI_NS0_16reverse_iteratorISI_EEEEENSH_IJSG_SG_SG_EEES9_SI_JZNS1_25segmented_radix_sort_implINS0_14default_configELb0EPK12hip_bfloat16PSP_PKlPlN2at6native12_GLOBAL__N_18offset_tEEE10hipError_tPvRmT1_PNSt15iterator_traitsIS13_E10value_typeET2_T3_PNS14_IS19_E10value_typeET4_jRbjT5_S1F_jjP12ihipStream_tbEUljE_ZNSN_ISO_Lb0ESR_SS_SU_SV_SZ_EES10_S11_S12_S13_S17_S18_S19_S1C_S1D_jS1E_jS1F_S1F_jjS1H_bEUljE0_EEES10_S11_S12_S19_S1D_S1F_T6_T7_T9_mT8_S1H_bDpT10_ENKUlT_T0_E_clISt17integral_constantIbLb1EES1V_EEDaS1Q_S1R_EUlS1Q_E_NS1_11comp_targetILNS1_3genE3ELNS1_11target_archE908ELNS1_3gpuE7ELNS1_3repE0EEENS1_30default_config_static_selectorELNS0_4arch9wavefront6targetE0EEEvS13_,"axG",@progbits,_ZN7rocprim17ROCPRIM_400000_NS6detail17trampoline_kernelINS0_13select_configILj256ELj13ELNS0_17block_load_methodE3ELS4_3ELS4_3ELNS0_20block_scan_algorithmE0ELj4294967295EEENS1_25partition_config_selectorILNS1_17partition_subalgoE4EjNS0_10empty_typeEbEEZZNS1_14partition_implILS8_4ELb0ES6_15HIP_vector_typeIjLj2EENS0_17counting_iteratorIjlEEPS9_SG_NS0_5tupleIJPjSI_NS0_16reverse_iteratorISI_EEEEENSH_IJSG_SG_SG_EEES9_SI_JZNS1_25segmented_radix_sort_implINS0_14default_configELb0EPK12hip_bfloat16PSP_PKlPlN2at6native12_GLOBAL__N_18offset_tEEE10hipError_tPvRmT1_PNSt15iterator_traitsIS13_E10value_typeET2_T3_PNS14_IS19_E10value_typeET4_jRbjT5_S1F_jjP12ihipStream_tbEUljE_ZNSN_ISO_Lb0ESR_SS_SU_SV_SZ_EES10_S11_S12_S13_S17_S18_S19_S1C_S1D_jS1E_jS1F_S1F_jjS1H_bEUljE0_EEES10_S11_S12_S19_S1D_S1F_T6_T7_T9_mT8_S1H_bDpT10_ENKUlT_T0_E_clISt17integral_constantIbLb1EES1V_EEDaS1Q_S1R_EUlS1Q_E_NS1_11comp_targetILNS1_3genE3ELNS1_11target_archE908ELNS1_3gpuE7ELNS1_3repE0EEENS1_30default_config_static_selectorELNS0_4arch9wavefront6targetE0EEEvS13_,comdat
	.globl	_ZN7rocprim17ROCPRIM_400000_NS6detail17trampoline_kernelINS0_13select_configILj256ELj13ELNS0_17block_load_methodE3ELS4_3ELS4_3ELNS0_20block_scan_algorithmE0ELj4294967295EEENS1_25partition_config_selectorILNS1_17partition_subalgoE4EjNS0_10empty_typeEbEEZZNS1_14partition_implILS8_4ELb0ES6_15HIP_vector_typeIjLj2EENS0_17counting_iteratorIjlEEPS9_SG_NS0_5tupleIJPjSI_NS0_16reverse_iteratorISI_EEEEENSH_IJSG_SG_SG_EEES9_SI_JZNS1_25segmented_radix_sort_implINS0_14default_configELb0EPK12hip_bfloat16PSP_PKlPlN2at6native12_GLOBAL__N_18offset_tEEE10hipError_tPvRmT1_PNSt15iterator_traitsIS13_E10value_typeET2_T3_PNS14_IS19_E10value_typeET4_jRbjT5_S1F_jjP12ihipStream_tbEUljE_ZNSN_ISO_Lb0ESR_SS_SU_SV_SZ_EES10_S11_S12_S13_S17_S18_S19_S1C_S1D_jS1E_jS1F_S1F_jjS1H_bEUljE0_EEES10_S11_S12_S19_S1D_S1F_T6_T7_T9_mT8_S1H_bDpT10_ENKUlT_T0_E_clISt17integral_constantIbLb1EES1V_EEDaS1Q_S1R_EUlS1Q_E_NS1_11comp_targetILNS1_3genE3ELNS1_11target_archE908ELNS1_3gpuE7ELNS1_3repE0EEENS1_30default_config_static_selectorELNS0_4arch9wavefront6targetE0EEEvS13_ ; -- Begin function _ZN7rocprim17ROCPRIM_400000_NS6detail17trampoline_kernelINS0_13select_configILj256ELj13ELNS0_17block_load_methodE3ELS4_3ELS4_3ELNS0_20block_scan_algorithmE0ELj4294967295EEENS1_25partition_config_selectorILNS1_17partition_subalgoE4EjNS0_10empty_typeEbEEZZNS1_14partition_implILS8_4ELb0ES6_15HIP_vector_typeIjLj2EENS0_17counting_iteratorIjlEEPS9_SG_NS0_5tupleIJPjSI_NS0_16reverse_iteratorISI_EEEEENSH_IJSG_SG_SG_EEES9_SI_JZNS1_25segmented_radix_sort_implINS0_14default_configELb0EPK12hip_bfloat16PSP_PKlPlN2at6native12_GLOBAL__N_18offset_tEEE10hipError_tPvRmT1_PNSt15iterator_traitsIS13_E10value_typeET2_T3_PNS14_IS19_E10value_typeET4_jRbjT5_S1F_jjP12ihipStream_tbEUljE_ZNSN_ISO_Lb0ESR_SS_SU_SV_SZ_EES10_S11_S12_S13_S17_S18_S19_S1C_S1D_jS1E_jS1F_S1F_jjS1H_bEUljE0_EEES10_S11_S12_S19_S1D_S1F_T6_T7_T9_mT8_S1H_bDpT10_ENKUlT_T0_E_clISt17integral_constantIbLb1EES1V_EEDaS1Q_S1R_EUlS1Q_E_NS1_11comp_targetILNS1_3genE3ELNS1_11target_archE908ELNS1_3gpuE7ELNS1_3repE0EEENS1_30default_config_static_selectorELNS0_4arch9wavefront6targetE0EEEvS13_
	.p2align	8
	.type	_ZN7rocprim17ROCPRIM_400000_NS6detail17trampoline_kernelINS0_13select_configILj256ELj13ELNS0_17block_load_methodE3ELS4_3ELS4_3ELNS0_20block_scan_algorithmE0ELj4294967295EEENS1_25partition_config_selectorILNS1_17partition_subalgoE4EjNS0_10empty_typeEbEEZZNS1_14partition_implILS8_4ELb0ES6_15HIP_vector_typeIjLj2EENS0_17counting_iteratorIjlEEPS9_SG_NS0_5tupleIJPjSI_NS0_16reverse_iteratorISI_EEEEENSH_IJSG_SG_SG_EEES9_SI_JZNS1_25segmented_radix_sort_implINS0_14default_configELb0EPK12hip_bfloat16PSP_PKlPlN2at6native12_GLOBAL__N_18offset_tEEE10hipError_tPvRmT1_PNSt15iterator_traitsIS13_E10value_typeET2_T3_PNS14_IS19_E10value_typeET4_jRbjT5_S1F_jjP12ihipStream_tbEUljE_ZNSN_ISO_Lb0ESR_SS_SU_SV_SZ_EES10_S11_S12_S13_S17_S18_S19_S1C_S1D_jS1E_jS1F_S1F_jjS1H_bEUljE0_EEES10_S11_S12_S19_S1D_S1F_T6_T7_T9_mT8_S1H_bDpT10_ENKUlT_T0_E_clISt17integral_constantIbLb1EES1V_EEDaS1Q_S1R_EUlS1Q_E_NS1_11comp_targetILNS1_3genE3ELNS1_11target_archE908ELNS1_3gpuE7ELNS1_3repE0EEENS1_30default_config_static_selectorELNS0_4arch9wavefront6targetE0EEEvS13_,@function
_ZN7rocprim17ROCPRIM_400000_NS6detail17trampoline_kernelINS0_13select_configILj256ELj13ELNS0_17block_load_methodE3ELS4_3ELS4_3ELNS0_20block_scan_algorithmE0ELj4294967295EEENS1_25partition_config_selectorILNS1_17partition_subalgoE4EjNS0_10empty_typeEbEEZZNS1_14partition_implILS8_4ELb0ES6_15HIP_vector_typeIjLj2EENS0_17counting_iteratorIjlEEPS9_SG_NS0_5tupleIJPjSI_NS0_16reverse_iteratorISI_EEEEENSH_IJSG_SG_SG_EEES9_SI_JZNS1_25segmented_radix_sort_implINS0_14default_configELb0EPK12hip_bfloat16PSP_PKlPlN2at6native12_GLOBAL__N_18offset_tEEE10hipError_tPvRmT1_PNSt15iterator_traitsIS13_E10value_typeET2_T3_PNS14_IS19_E10value_typeET4_jRbjT5_S1F_jjP12ihipStream_tbEUljE_ZNSN_ISO_Lb0ESR_SS_SU_SV_SZ_EES10_S11_S12_S13_S17_S18_S19_S1C_S1D_jS1E_jS1F_S1F_jjS1H_bEUljE0_EEES10_S11_S12_S19_S1D_S1F_T6_T7_T9_mT8_S1H_bDpT10_ENKUlT_T0_E_clISt17integral_constantIbLb1EES1V_EEDaS1Q_S1R_EUlS1Q_E_NS1_11comp_targetILNS1_3genE3ELNS1_11target_archE908ELNS1_3gpuE7ELNS1_3repE0EEENS1_30default_config_static_selectorELNS0_4arch9wavefront6targetE0EEEvS13_: ; @_ZN7rocprim17ROCPRIM_400000_NS6detail17trampoline_kernelINS0_13select_configILj256ELj13ELNS0_17block_load_methodE3ELS4_3ELS4_3ELNS0_20block_scan_algorithmE0ELj4294967295EEENS1_25partition_config_selectorILNS1_17partition_subalgoE4EjNS0_10empty_typeEbEEZZNS1_14partition_implILS8_4ELb0ES6_15HIP_vector_typeIjLj2EENS0_17counting_iteratorIjlEEPS9_SG_NS0_5tupleIJPjSI_NS0_16reverse_iteratorISI_EEEEENSH_IJSG_SG_SG_EEES9_SI_JZNS1_25segmented_radix_sort_implINS0_14default_configELb0EPK12hip_bfloat16PSP_PKlPlN2at6native12_GLOBAL__N_18offset_tEEE10hipError_tPvRmT1_PNSt15iterator_traitsIS13_E10value_typeET2_T3_PNS14_IS19_E10value_typeET4_jRbjT5_S1F_jjP12ihipStream_tbEUljE_ZNSN_ISO_Lb0ESR_SS_SU_SV_SZ_EES10_S11_S12_S13_S17_S18_S19_S1C_S1D_jS1E_jS1F_S1F_jjS1H_bEUljE0_EEES10_S11_S12_S19_S1D_S1F_T6_T7_T9_mT8_S1H_bDpT10_ENKUlT_T0_E_clISt17integral_constantIbLb1EES1V_EEDaS1Q_S1R_EUlS1Q_E_NS1_11comp_targetILNS1_3genE3ELNS1_11target_archE908ELNS1_3gpuE7ELNS1_3repE0EEENS1_30default_config_static_selectorELNS0_4arch9wavefront6targetE0EEEvS13_
; %bb.0:
	.section	.rodata,"a",@progbits
	.p2align	6, 0x0
	.amdhsa_kernel _ZN7rocprim17ROCPRIM_400000_NS6detail17trampoline_kernelINS0_13select_configILj256ELj13ELNS0_17block_load_methodE3ELS4_3ELS4_3ELNS0_20block_scan_algorithmE0ELj4294967295EEENS1_25partition_config_selectorILNS1_17partition_subalgoE4EjNS0_10empty_typeEbEEZZNS1_14partition_implILS8_4ELb0ES6_15HIP_vector_typeIjLj2EENS0_17counting_iteratorIjlEEPS9_SG_NS0_5tupleIJPjSI_NS0_16reverse_iteratorISI_EEEEENSH_IJSG_SG_SG_EEES9_SI_JZNS1_25segmented_radix_sort_implINS0_14default_configELb0EPK12hip_bfloat16PSP_PKlPlN2at6native12_GLOBAL__N_18offset_tEEE10hipError_tPvRmT1_PNSt15iterator_traitsIS13_E10value_typeET2_T3_PNS14_IS19_E10value_typeET4_jRbjT5_S1F_jjP12ihipStream_tbEUljE_ZNSN_ISO_Lb0ESR_SS_SU_SV_SZ_EES10_S11_S12_S13_S17_S18_S19_S1C_S1D_jS1E_jS1F_S1F_jjS1H_bEUljE0_EEES10_S11_S12_S19_S1D_S1F_T6_T7_T9_mT8_S1H_bDpT10_ENKUlT_T0_E_clISt17integral_constantIbLb1EES1V_EEDaS1Q_S1R_EUlS1Q_E_NS1_11comp_targetILNS1_3genE3ELNS1_11target_archE908ELNS1_3gpuE7ELNS1_3repE0EEENS1_30default_config_static_selectorELNS0_4arch9wavefront6targetE0EEEvS13_
		.amdhsa_group_segment_fixed_size 0
		.amdhsa_private_segment_fixed_size 0
		.amdhsa_kernarg_size 184
		.amdhsa_user_sgpr_count 15
		.amdhsa_user_sgpr_dispatch_ptr 0
		.amdhsa_user_sgpr_queue_ptr 0
		.amdhsa_user_sgpr_kernarg_segment_ptr 1
		.amdhsa_user_sgpr_dispatch_id 0
		.amdhsa_user_sgpr_private_segment_size 0
		.amdhsa_wavefront_size32 1
		.amdhsa_uses_dynamic_stack 0
		.amdhsa_enable_private_segment 0
		.amdhsa_system_sgpr_workgroup_id_x 1
		.amdhsa_system_sgpr_workgroup_id_y 0
		.amdhsa_system_sgpr_workgroup_id_z 0
		.amdhsa_system_sgpr_workgroup_info 0
		.amdhsa_system_vgpr_workitem_id 0
		.amdhsa_next_free_vgpr 1
		.amdhsa_next_free_sgpr 1
		.amdhsa_reserve_vcc 0
		.amdhsa_float_round_mode_32 0
		.amdhsa_float_round_mode_16_64 0
		.amdhsa_float_denorm_mode_32 3
		.amdhsa_float_denorm_mode_16_64 3
		.amdhsa_dx10_clamp 1
		.amdhsa_ieee_mode 1
		.amdhsa_fp16_overflow 0
		.amdhsa_workgroup_processor_mode 1
		.amdhsa_memory_ordered 1
		.amdhsa_forward_progress 0
		.amdhsa_shared_vgpr_count 0
		.amdhsa_exception_fp_ieee_invalid_op 0
		.amdhsa_exception_fp_denorm_src 0
		.amdhsa_exception_fp_ieee_div_zero 0
		.amdhsa_exception_fp_ieee_overflow 0
		.amdhsa_exception_fp_ieee_underflow 0
		.amdhsa_exception_fp_ieee_inexact 0
		.amdhsa_exception_int_div_zero 0
	.end_amdhsa_kernel
	.section	.text._ZN7rocprim17ROCPRIM_400000_NS6detail17trampoline_kernelINS0_13select_configILj256ELj13ELNS0_17block_load_methodE3ELS4_3ELS4_3ELNS0_20block_scan_algorithmE0ELj4294967295EEENS1_25partition_config_selectorILNS1_17partition_subalgoE4EjNS0_10empty_typeEbEEZZNS1_14partition_implILS8_4ELb0ES6_15HIP_vector_typeIjLj2EENS0_17counting_iteratorIjlEEPS9_SG_NS0_5tupleIJPjSI_NS0_16reverse_iteratorISI_EEEEENSH_IJSG_SG_SG_EEES9_SI_JZNS1_25segmented_radix_sort_implINS0_14default_configELb0EPK12hip_bfloat16PSP_PKlPlN2at6native12_GLOBAL__N_18offset_tEEE10hipError_tPvRmT1_PNSt15iterator_traitsIS13_E10value_typeET2_T3_PNS14_IS19_E10value_typeET4_jRbjT5_S1F_jjP12ihipStream_tbEUljE_ZNSN_ISO_Lb0ESR_SS_SU_SV_SZ_EES10_S11_S12_S13_S17_S18_S19_S1C_S1D_jS1E_jS1F_S1F_jjS1H_bEUljE0_EEES10_S11_S12_S19_S1D_S1F_T6_T7_T9_mT8_S1H_bDpT10_ENKUlT_T0_E_clISt17integral_constantIbLb1EES1V_EEDaS1Q_S1R_EUlS1Q_E_NS1_11comp_targetILNS1_3genE3ELNS1_11target_archE908ELNS1_3gpuE7ELNS1_3repE0EEENS1_30default_config_static_selectorELNS0_4arch9wavefront6targetE0EEEvS13_,"axG",@progbits,_ZN7rocprim17ROCPRIM_400000_NS6detail17trampoline_kernelINS0_13select_configILj256ELj13ELNS0_17block_load_methodE3ELS4_3ELS4_3ELNS0_20block_scan_algorithmE0ELj4294967295EEENS1_25partition_config_selectorILNS1_17partition_subalgoE4EjNS0_10empty_typeEbEEZZNS1_14partition_implILS8_4ELb0ES6_15HIP_vector_typeIjLj2EENS0_17counting_iteratorIjlEEPS9_SG_NS0_5tupleIJPjSI_NS0_16reverse_iteratorISI_EEEEENSH_IJSG_SG_SG_EEES9_SI_JZNS1_25segmented_radix_sort_implINS0_14default_configELb0EPK12hip_bfloat16PSP_PKlPlN2at6native12_GLOBAL__N_18offset_tEEE10hipError_tPvRmT1_PNSt15iterator_traitsIS13_E10value_typeET2_T3_PNS14_IS19_E10value_typeET4_jRbjT5_S1F_jjP12ihipStream_tbEUljE_ZNSN_ISO_Lb0ESR_SS_SU_SV_SZ_EES10_S11_S12_S13_S17_S18_S19_S1C_S1D_jS1E_jS1F_S1F_jjS1H_bEUljE0_EEES10_S11_S12_S19_S1D_S1F_T6_T7_T9_mT8_S1H_bDpT10_ENKUlT_T0_E_clISt17integral_constantIbLb1EES1V_EEDaS1Q_S1R_EUlS1Q_E_NS1_11comp_targetILNS1_3genE3ELNS1_11target_archE908ELNS1_3gpuE7ELNS1_3repE0EEENS1_30default_config_static_selectorELNS0_4arch9wavefront6targetE0EEEvS13_,comdat
.Lfunc_end1996:
	.size	_ZN7rocprim17ROCPRIM_400000_NS6detail17trampoline_kernelINS0_13select_configILj256ELj13ELNS0_17block_load_methodE3ELS4_3ELS4_3ELNS0_20block_scan_algorithmE0ELj4294967295EEENS1_25partition_config_selectorILNS1_17partition_subalgoE4EjNS0_10empty_typeEbEEZZNS1_14partition_implILS8_4ELb0ES6_15HIP_vector_typeIjLj2EENS0_17counting_iteratorIjlEEPS9_SG_NS0_5tupleIJPjSI_NS0_16reverse_iteratorISI_EEEEENSH_IJSG_SG_SG_EEES9_SI_JZNS1_25segmented_radix_sort_implINS0_14default_configELb0EPK12hip_bfloat16PSP_PKlPlN2at6native12_GLOBAL__N_18offset_tEEE10hipError_tPvRmT1_PNSt15iterator_traitsIS13_E10value_typeET2_T3_PNS14_IS19_E10value_typeET4_jRbjT5_S1F_jjP12ihipStream_tbEUljE_ZNSN_ISO_Lb0ESR_SS_SU_SV_SZ_EES10_S11_S12_S13_S17_S18_S19_S1C_S1D_jS1E_jS1F_S1F_jjS1H_bEUljE0_EEES10_S11_S12_S19_S1D_S1F_T6_T7_T9_mT8_S1H_bDpT10_ENKUlT_T0_E_clISt17integral_constantIbLb1EES1V_EEDaS1Q_S1R_EUlS1Q_E_NS1_11comp_targetILNS1_3genE3ELNS1_11target_archE908ELNS1_3gpuE7ELNS1_3repE0EEENS1_30default_config_static_selectorELNS0_4arch9wavefront6targetE0EEEvS13_, .Lfunc_end1996-_ZN7rocprim17ROCPRIM_400000_NS6detail17trampoline_kernelINS0_13select_configILj256ELj13ELNS0_17block_load_methodE3ELS4_3ELS4_3ELNS0_20block_scan_algorithmE0ELj4294967295EEENS1_25partition_config_selectorILNS1_17partition_subalgoE4EjNS0_10empty_typeEbEEZZNS1_14partition_implILS8_4ELb0ES6_15HIP_vector_typeIjLj2EENS0_17counting_iteratorIjlEEPS9_SG_NS0_5tupleIJPjSI_NS0_16reverse_iteratorISI_EEEEENSH_IJSG_SG_SG_EEES9_SI_JZNS1_25segmented_radix_sort_implINS0_14default_configELb0EPK12hip_bfloat16PSP_PKlPlN2at6native12_GLOBAL__N_18offset_tEEE10hipError_tPvRmT1_PNSt15iterator_traitsIS13_E10value_typeET2_T3_PNS14_IS19_E10value_typeET4_jRbjT5_S1F_jjP12ihipStream_tbEUljE_ZNSN_ISO_Lb0ESR_SS_SU_SV_SZ_EES10_S11_S12_S13_S17_S18_S19_S1C_S1D_jS1E_jS1F_S1F_jjS1H_bEUljE0_EEES10_S11_S12_S19_S1D_S1F_T6_T7_T9_mT8_S1H_bDpT10_ENKUlT_T0_E_clISt17integral_constantIbLb1EES1V_EEDaS1Q_S1R_EUlS1Q_E_NS1_11comp_targetILNS1_3genE3ELNS1_11target_archE908ELNS1_3gpuE7ELNS1_3repE0EEENS1_30default_config_static_selectorELNS0_4arch9wavefront6targetE0EEEvS13_
                                        ; -- End function
	.section	.AMDGPU.csdata,"",@progbits
; Kernel info:
; codeLenInByte = 0
; NumSgprs: 0
; NumVgprs: 0
; ScratchSize: 0
; MemoryBound: 0
; FloatMode: 240
; IeeeMode: 1
; LDSByteSize: 0 bytes/workgroup (compile time only)
; SGPRBlocks: 0
; VGPRBlocks: 0
; NumSGPRsForWavesPerEU: 1
; NumVGPRsForWavesPerEU: 1
; Occupancy: 16
; WaveLimiterHint : 0
; COMPUTE_PGM_RSRC2:SCRATCH_EN: 0
; COMPUTE_PGM_RSRC2:USER_SGPR: 15
; COMPUTE_PGM_RSRC2:TRAP_HANDLER: 0
; COMPUTE_PGM_RSRC2:TGID_X_EN: 1
; COMPUTE_PGM_RSRC2:TGID_Y_EN: 0
; COMPUTE_PGM_RSRC2:TGID_Z_EN: 0
; COMPUTE_PGM_RSRC2:TIDIG_COMP_CNT: 0
	.section	.text._ZN7rocprim17ROCPRIM_400000_NS6detail17trampoline_kernelINS0_13select_configILj256ELj13ELNS0_17block_load_methodE3ELS4_3ELS4_3ELNS0_20block_scan_algorithmE0ELj4294967295EEENS1_25partition_config_selectorILNS1_17partition_subalgoE4EjNS0_10empty_typeEbEEZZNS1_14partition_implILS8_4ELb0ES6_15HIP_vector_typeIjLj2EENS0_17counting_iteratorIjlEEPS9_SG_NS0_5tupleIJPjSI_NS0_16reverse_iteratorISI_EEEEENSH_IJSG_SG_SG_EEES9_SI_JZNS1_25segmented_radix_sort_implINS0_14default_configELb0EPK12hip_bfloat16PSP_PKlPlN2at6native12_GLOBAL__N_18offset_tEEE10hipError_tPvRmT1_PNSt15iterator_traitsIS13_E10value_typeET2_T3_PNS14_IS19_E10value_typeET4_jRbjT5_S1F_jjP12ihipStream_tbEUljE_ZNSN_ISO_Lb0ESR_SS_SU_SV_SZ_EES10_S11_S12_S13_S17_S18_S19_S1C_S1D_jS1E_jS1F_S1F_jjS1H_bEUljE0_EEES10_S11_S12_S19_S1D_S1F_T6_T7_T9_mT8_S1H_bDpT10_ENKUlT_T0_E_clISt17integral_constantIbLb1EES1V_EEDaS1Q_S1R_EUlS1Q_E_NS1_11comp_targetILNS1_3genE2ELNS1_11target_archE906ELNS1_3gpuE6ELNS1_3repE0EEENS1_30default_config_static_selectorELNS0_4arch9wavefront6targetE0EEEvS13_,"axG",@progbits,_ZN7rocprim17ROCPRIM_400000_NS6detail17trampoline_kernelINS0_13select_configILj256ELj13ELNS0_17block_load_methodE3ELS4_3ELS4_3ELNS0_20block_scan_algorithmE0ELj4294967295EEENS1_25partition_config_selectorILNS1_17partition_subalgoE4EjNS0_10empty_typeEbEEZZNS1_14partition_implILS8_4ELb0ES6_15HIP_vector_typeIjLj2EENS0_17counting_iteratorIjlEEPS9_SG_NS0_5tupleIJPjSI_NS0_16reverse_iteratorISI_EEEEENSH_IJSG_SG_SG_EEES9_SI_JZNS1_25segmented_radix_sort_implINS0_14default_configELb0EPK12hip_bfloat16PSP_PKlPlN2at6native12_GLOBAL__N_18offset_tEEE10hipError_tPvRmT1_PNSt15iterator_traitsIS13_E10value_typeET2_T3_PNS14_IS19_E10value_typeET4_jRbjT5_S1F_jjP12ihipStream_tbEUljE_ZNSN_ISO_Lb0ESR_SS_SU_SV_SZ_EES10_S11_S12_S13_S17_S18_S19_S1C_S1D_jS1E_jS1F_S1F_jjS1H_bEUljE0_EEES10_S11_S12_S19_S1D_S1F_T6_T7_T9_mT8_S1H_bDpT10_ENKUlT_T0_E_clISt17integral_constantIbLb1EES1V_EEDaS1Q_S1R_EUlS1Q_E_NS1_11comp_targetILNS1_3genE2ELNS1_11target_archE906ELNS1_3gpuE6ELNS1_3repE0EEENS1_30default_config_static_selectorELNS0_4arch9wavefront6targetE0EEEvS13_,comdat
	.globl	_ZN7rocprim17ROCPRIM_400000_NS6detail17trampoline_kernelINS0_13select_configILj256ELj13ELNS0_17block_load_methodE3ELS4_3ELS4_3ELNS0_20block_scan_algorithmE0ELj4294967295EEENS1_25partition_config_selectorILNS1_17partition_subalgoE4EjNS0_10empty_typeEbEEZZNS1_14partition_implILS8_4ELb0ES6_15HIP_vector_typeIjLj2EENS0_17counting_iteratorIjlEEPS9_SG_NS0_5tupleIJPjSI_NS0_16reverse_iteratorISI_EEEEENSH_IJSG_SG_SG_EEES9_SI_JZNS1_25segmented_radix_sort_implINS0_14default_configELb0EPK12hip_bfloat16PSP_PKlPlN2at6native12_GLOBAL__N_18offset_tEEE10hipError_tPvRmT1_PNSt15iterator_traitsIS13_E10value_typeET2_T3_PNS14_IS19_E10value_typeET4_jRbjT5_S1F_jjP12ihipStream_tbEUljE_ZNSN_ISO_Lb0ESR_SS_SU_SV_SZ_EES10_S11_S12_S13_S17_S18_S19_S1C_S1D_jS1E_jS1F_S1F_jjS1H_bEUljE0_EEES10_S11_S12_S19_S1D_S1F_T6_T7_T9_mT8_S1H_bDpT10_ENKUlT_T0_E_clISt17integral_constantIbLb1EES1V_EEDaS1Q_S1R_EUlS1Q_E_NS1_11comp_targetILNS1_3genE2ELNS1_11target_archE906ELNS1_3gpuE6ELNS1_3repE0EEENS1_30default_config_static_selectorELNS0_4arch9wavefront6targetE0EEEvS13_ ; -- Begin function _ZN7rocprim17ROCPRIM_400000_NS6detail17trampoline_kernelINS0_13select_configILj256ELj13ELNS0_17block_load_methodE3ELS4_3ELS4_3ELNS0_20block_scan_algorithmE0ELj4294967295EEENS1_25partition_config_selectorILNS1_17partition_subalgoE4EjNS0_10empty_typeEbEEZZNS1_14partition_implILS8_4ELb0ES6_15HIP_vector_typeIjLj2EENS0_17counting_iteratorIjlEEPS9_SG_NS0_5tupleIJPjSI_NS0_16reverse_iteratorISI_EEEEENSH_IJSG_SG_SG_EEES9_SI_JZNS1_25segmented_radix_sort_implINS0_14default_configELb0EPK12hip_bfloat16PSP_PKlPlN2at6native12_GLOBAL__N_18offset_tEEE10hipError_tPvRmT1_PNSt15iterator_traitsIS13_E10value_typeET2_T3_PNS14_IS19_E10value_typeET4_jRbjT5_S1F_jjP12ihipStream_tbEUljE_ZNSN_ISO_Lb0ESR_SS_SU_SV_SZ_EES10_S11_S12_S13_S17_S18_S19_S1C_S1D_jS1E_jS1F_S1F_jjS1H_bEUljE0_EEES10_S11_S12_S19_S1D_S1F_T6_T7_T9_mT8_S1H_bDpT10_ENKUlT_T0_E_clISt17integral_constantIbLb1EES1V_EEDaS1Q_S1R_EUlS1Q_E_NS1_11comp_targetILNS1_3genE2ELNS1_11target_archE906ELNS1_3gpuE6ELNS1_3repE0EEENS1_30default_config_static_selectorELNS0_4arch9wavefront6targetE0EEEvS13_
	.p2align	8
	.type	_ZN7rocprim17ROCPRIM_400000_NS6detail17trampoline_kernelINS0_13select_configILj256ELj13ELNS0_17block_load_methodE3ELS4_3ELS4_3ELNS0_20block_scan_algorithmE0ELj4294967295EEENS1_25partition_config_selectorILNS1_17partition_subalgoE4EjNS0_10empty_typeEbEEZZNS1_14partition_implILS8_4ELb0ES6_15HIP_vector_typeIjLj2EENS0_17counting_iteratorIjlEEPS9_SG_NS0_5tupleIJPjSI_NS0_16reverse_iteratorISI_EEEEENSH_IJSG_SG_SG_EEES9_SI_JZNS1_25segmented_radix_sort_implINS0_14default_configELb0EPK12hip_bfloat16PSP_PKlPlN2at6native12_GLOBAL__N_18offset_tEEE10hipError_tPvRmT1_PNSt15iterator_traitsIS13_E10value_typeET2_T3_PNS14_IS19_E10value_typeET4_jRbjT5_S1F_jjP12ihipStream_tbEUljE_ZNSN_ISO_Lb0ESR_SS_SU_SV_SZ_EES10_S11_S12_S13_S17_S18_S19_S1C_S1D_jS1E_jS1F_S1F_jjS1H_bEUljE0_EEES10_S11_S12_S19_S1D_S1F_T6_T7_T9_mT8_S1H_bDpT10_ENKUlT_T0_E_clISt17integral_constantIbLb1EES1V_EEDaS1Q_S1R_EUlS1Q_E_NS1_11comp_targetILNS1_3genE2ELNS1_11target_archE906ELNS1_3gpuE6ELNS1_3repE0EEENS1_30default_config_static_selectorELNS0_4arch9wavefront6targetE0EEEvS13_,@function
_ZN7rocprim17ROCPRIM_400000_NS6detail17trampoline_kernelINS0_13select_configILj256ELj13ELNS0_17block_load_methodE3ELS4_3ELS4_3ELNS0_20block_scan_algorithmE0ELj4294967295EEENS1_25partition_config_selectorILNS1_17partition_subalgoE4EjNS0_10empty_typeEbEEZZNS1_14partition_implILS8_4ELb0ES6_15HIP_vector_typeIjLj2EENS0_17counting_iteratorIjlEEPS9_SG_NS0_5tupleIJPjSI_NS0_16reverse_iteratorISI_EEEEENSH_IJSG_SG_SG_EEES9_SI_JZNS1_25segmented_radix_sort_implINS0_14default_configELb0EPK12hip_bfloat16PSP_PKlPlN2at6native12_GLOBAL__N_18offset_tEEE10hipError_tPvRmT1_PNSt15iterator_traitsIS13_E10value_typeET2_T3_PNS14_IS19_E10value_typeET4_jRbjT5_S1F_jjP12ihipStream_tbEUljE_ZNSN_ISO_Lb0ESR_SS_SU_SV_SZ_EES10_S11_S12_S13_S17_S18_S19_S1C_S1D_jS1E_jS1F_S1F_jjS1H_bEUljE0_EEES10_S11_S12_S19_S1D_S1F_T6_T7_T9_mT8_S1H_bDpT10_ENKUlT_T0_E_clISt17integral_constantIbLb1EES1V_EEDaS1Q_S1R_EUlS1Q_E_NS1_11comp_targetILNS1_3genE2ELNS1_11target_archE906ELNS1_3gpuE6ELNS1_3repE0EEENS1_30default_config_static_selectorELNS0_4arch9wavefront6targetE0EEEvS13_: ; @_ZN7rocprim17ROCPRIM_400000_NS6detail17trampoline_kernelINS0_13select_configILj256ELj13ELNS0_17block_load_methodE3ELS4_3ELS4_3ELNS0_20block_scan_algorithmE0ELj4294967295EEENS1_25partition_config_selectorILNS1_17partition_subalgoE4EjNS0_10empty_typeEbEEZZNS1_14partition_implILS8_4ELb0ES6_15HIP_vector_typeIjLj2EENS0_17counting_iteratorIjlEEPS9_SG_NS0_5tupleIJPjSI_NS0_16reverse_iteratorISI_EEEEENSH_IJSG_SG_SG_EEES9_SI_JZNS1_25segmented_radix_sort_implINS0_14default_configELb0EPK12hip_bfloat16PSP_PKlPlN2at6native12_GLOBAL__N_18offset_tEEE10hipError_tPvRmT1_PNSt15iterator_traitsIS13_E10value_typeET2_T3_PNS14_IS19_E10value_typeET4_jRbjT5_S1F_jjP12ihipStream_tbEUljE_ZNSN_ISO_Lb0ESR_SS_SU_SV_SZ_EES10_S11_S12_S13_S17_S18_S19_S1C_S1D_jS1E_jS1F_S1F_jjS1H_bEUljE0_EEES10_S11_S12_S19_S1D_S1F_T6_T7_T9_mT8_S1H_bDpT10_ENKUlT_T0_E_clISt17integral_constantIbLb1EES1V_EEDaS1Q_S1R_EUlS1Q_E_NS1_11comp_targetILNS1_3genE2ELNS1_11target_archE906ELNS1_3gpuE6ELNS1_3repE0EEENS1_30default_config_static_selectorELNS0_4arch9wavefront6targetE0EEEvS13_
; %bb.0:
	.section	.rodata,"a",@progbits
	.p2align	6, 0x0
	.amdhsa_kernel _ZN7rocprim17ROCPRIM_400000_NS6detail17trampoline_kernelINS0_13select_configILj256ELj13ELNS0_17block_load_methodE3ELS4_3ELS4_3ELNS0_20block_scan_algorithmE0ELj4294967295EEENS1_25partition_config_selectorILNS1_17partition_subalgoE4EjNS0_10empty_typeEbEEZZNS1_14partition_implILS8_4ELb0ES6_15HIP_vector_typeIjLj2EENS0_17counting_iteratorIjlEEPS9_SG_NS0_5tupleIJPjSI_NS0_16reverse_iteratorISI_EEEEENSH_IJSG_SG_SG_EEES9_SI_JZNS1_25segmented_radix_sort_implINS0_14default_configELb0EPK12hip_bfloat16PSP_PKlPlN2at6native12_GLOBAL__N_18offset_tEEE10hipError_tPvRmT1_PNSt15iterator_traitsIS13_E10value_typeET2_T3_PNS14_IS19_E10value_typeET4_jRbjT5_S1F_jjP12ihipStream_tbEUljE_ZNSN_ISO_Lb0ESR_SS_SU_SV_SZ_EES10_S11_S12_S13_S17_S18_S19_S1C_S1D_jS1E_jS1F_S1F_jjS1H_bEUljE0_EEES10_S11_S12_S19_S1D_S1F_T6_T7_T9_mT8_S1H_bDpT10_ENKUlT_T0_E_clISt17integral_constantIbLb1EES1V_EEDaS1Q_S1R_EUlS1Q_E_NS1_11comp_targetILNS1_3genE2ELNS1_11target_archE906ELNS1_3gpuE6ELNS1_3repE0EEENS1_30default_config_static_selectorELNS0_4arch9wavefront6targetE0EEEvS13_
		.amdhsa_group_segment_fixed_size 0
		.amdhsa_private_segment_fixed_size 0
		.amdhsa_kernarg_size 184
		.amdhsa_user_sgpr_count 15
		.amdhsa_user_sgpr_dispatch_ptr 0
		.amdhsa_user_sgpr_queue_ptr 0
		.amdhsa_user_sgpr_kernarg_segment_ptr 1
		.amdhsa_user_sgpr_dispatch_id 0
		.amdhsa_user_sgpr_private_segment_size 0
		.amdhsa_wavefront_size32 1
		.amdhsa_uses_dynamic_stack 0
		.amdhsa_enable_private_segment 0
		.amdhsa_system_sgpr_workgroup_id_x 1
		.amdhsa_system_sgpr_workgroup_id_y 0
		.amdhsa_system_sgpr_workgroup_id_z 0
		.amdhsa_system_sgpr_workgroup_info 0
		.amdhsa_system_vgpr_workitem_id 0
		.amdhsa_next_free_vgpr 1
		.amdhsa_next_free_sgpr 1
		.amdhsa_reserve_vcc 0
		.amdhsa_float_round_mode_32 0
		.amdhsa_float_round_mode_16_64 0
		.amdhsa_float_denorm_mode_32 3
		.amdhsa_float_denorm_mode_16_64 3
		.amdhsa_dx10_clamp 1
		.amdhsa_ieee_mode 1
		.amdhsa_fp16_overflow 0
		.amdhsa_workgroup_processor_mode 1
		.amdhsa_memory_ordered 1
		.amdhsa_forward_progress 0
		.amdhsa_shared_vgpr_count 0
		.amdhsa_exception_fp_ieee_invalid_op 0
		.amdhsa_exception_fp_denorm_src 0
		.amdhsa_exception_fp_ieee_div_zero 0
		.amdhsa_exception_fp_ieee_overflow 0
		.amdhsa_exception_fp_ieee_underflow 0
		.amdhsa_exception_fp_ieee_inexact 0
		.amdhsa_exception_int_div_zero 0
	.end_amdhsa_kernel
	.section	.text._ZN7rocprim17ROCPRIM_400000_NS6detail17trampoline_kernelINS0_13select_configILj256ELj13ELNS0_17block_load_methodE3ELS4_3ELS4_3ELNS0_20block_scan_algorithmE0ELj4294967295EEENS1_25partition_config_selectorILNS1_17partition_subalgoE4EjNS0_10empty_typeEbEEZZNS1_14partition_implILS8_4ELb0ES6_15HIP_vector_typeIjLj2EENS0_17counting_iteratorIjlEEPS9_SG_NS0_5tupleIJPjSI_NS0_16reverse_iteratorISI_EEEEENSH_IJSG_SG_SG_EEES9_SI_JZNS1_25segmented_radix_sort_implINS0_14default_configELb0EPK12hip_bfloat16PSP_PKlPlN2at6native12_GLOBAL__N_18offset_tEEE10hipError_tPvRmT1_PNSt15iterator_traitsIS13_E10value_typeET2_T3_PNS14_IS19_E10value_typeET4_jRbjT5_S1F_jjP12ihipStream_tbEUljE_ZNSN_ISO_Lb0ESR_SS_SU_SV_SZ_EES10_S11_S12_S13_S17_S18_S19_S1C_S1D_jS1E_jS1F_S1F_jjS1H_bEUljE0_EEES10_S11_S12_S19_S1D_S1F_T6_T7_T9_mT8_S1H_bDpT10_ENKUlT_T0_E_clISt17integral_constantIbLb1EES1V_EEDaS1Q_S1R_EUlS1Q_E_NS1_11comp_targetILNS1_3genE2ELNS1_11target_archE906ELNS1_3gpuE6ELNS1_3repE0EEENS1_30default_config_static_selectorELNS0_4arch9wavefront6targetE0EEEvS13_,"axG",@progbits,_ZN7rocprim17ROCPRIM_400000_NS6detail17trampoline_kernelINS0_13select_configILj256ELj13ELNS0_17block_load_methodE3ELS4_3ELS4_3ELNS0_20block_scan_algorithmE0ELj4294967295EEENS1_25partition_config_selectorILNS1_17partition_subalgoE4EjNS0_10empty_typeEbEEZZNS1_14partition_implILS8_4ELb0ES6_15HIP_vector_typeIjLj2EENS0_17counting_iteratorIjlEEPS9_SG_NS0_5tupleIJPjSI_NS0_16reverse_iteratorISI_EEEEENSH_IJSG_SG_SG_EEES9_SI_JZNS1_25segmented_radix_sort_implINS0_14default_configELb0EPK12hip_bfloat16PSP_PKlPlN2at6native12_GLOBAL__N_18offset_tEEE10hipError_tPvRmT1_PNSt15iterator_traitsIS13_E10value_typeET2_T3_PNS14_IS19_E10value_typeET4_jRbjT5_S1F_jjP12ihipStream_tbEUljE_ZNSN_ISO_Lb0ESR_SS_SU_SV_SZ_EES10_S11_S12_S13_S17_S18_S19_S1C_S1D_jS1E_jS1F_S1F_jjS1H_bEUljE0_EEES10_S11_S12_S19_S1D_S1F_T6_T7_T9_mT8_S1H_bDpT10_ENKUlT_T0_E_clISt17integral_constantIbLb1EES1V_EEDaS1Q_S1R_EUlS1Q_E_NS1_11comp_targetILNS1_3genE2ELNS1_11target_archE906ELNS1_3gpuE6ELNS1_3repE0EEENS1_30default_config_static_selectorELNS0_4arch9wavefront6targetE0EEEvS13_,comdat
.Lfunc_end1997:
	.size	_ZN7rocprim17ROCPRIM_400000_NS6detail17trampoline_kernelINS0_13select_configILj256ELj13ELNS0_17block_load_methodE3ELS4_3ELS4_3ELNS0_20block_scan_algorithmE0ELj4294967295EEENS1_25partition_config_selectorILNS1_17partition_subalgoE4EjNS0_10empty_typeEbEEZZNS1_14partition_implILS8_4ELb0ES6_15HIP_vector_typeIjLj2EENS0_17counting_iteratorIjlEEPS9_SG_NS0_5tupleIJPjSI_NS0_16reverse_iteratorISI_EEEEENSH_IJSG_SG_SG_EEES9_SI_JZNS1_25segmented_radix_sort_implINS0_14default_configELb0EPK12hip_bfloat16PSP_PKlPlN2at6native12_GLOBAL__N_18offset_tEEE10hipError_tPvRmT1_PNSt15iterator_traitsIS13_E10value_typeET2_T3_PNS14_IS19_E10value_typeET4_jRbjT5_S1F_jjP12ihipStream_tbEUljE_ZNSN_ISO_Lb0ESR_SS_SU_SV_SZ_EES10_S11_S12_S13_S17_S18_S19_S1C_S1D_jS1E_jS1F_S1F_jjS1H_bEUljE0_EEES10_S11_S12_S19_S1D_S1F_T6_T7_T9_mT8_S1H_bDpT10_ENKUlT_T0_E_clISt17integral_constantIbLb1EES1V_EEDaS1Q_S1R_EUlS1Q_E_NS1_11comp_targetILNS1_3genE2ELNS1_11target_archE906ELNS1_3gpuE6ELNS1_3repE0EEENS1_30default_config_static_selectorELNS0_4arch9wavefront6targetE0EEEvS13_, .Lfunc_end1997-_ZN7rocprim17ROCPRIM_400000_NS6detail17trampoline_kernelINS0_13select_configILj256ELj13ELNS0_17block_load_methodE3ELS4_3ELS4_3ELNS0_20block_scan_algorithmE0ELj4294967295EEENS1_25partition_config_selectorILNS1_17partition_subalgoE4EjNS0_10empty_typeEbEEZZNS1_14partition_implILS8_4ELb0ES6_15HIP_vector_typeIjLj2EENS0_17counting_iteratorIjlEEPS9_SG_NS0_5tupleIJPjSI_NS0_16reverse_iteratorISI_EEEEENSH_IJSG_SG_SG_EEES9_SI_JZNS1_25segmented_radix_sort_implINS0_14default_configELb0EPK12hip_bfloat16PSP_PKlPlN2at6native12_GLOBAL__N_18offset_tEEE10hipError_tPvRmT1_PNSt15iterator_traitsIS13_E10value_typeET2_T3_PNS14_IS19_E10value_typeET4_jRbjT5_S1F_jjP12ihipStream_tbEUljE_ZNSN_ISO_Lb0ESR_SS_SU_SV_SZ_EES10_S11_S12_S13_S17_S18_S19_S1C_S1D_jS1E_jS1F_S1F_jjS1H_bEUljE0_EEES10_S11_S12_S19_S1D_S1F_T6_T7_T9_mT8_S1H_bDpT10_ENKUlT_T0_E_clISt17integral_constantIbLb1EES1V_EEDaS1Q_S1R_EUlS1Q_E_NS1_11comp_targetILNS1_3genE2ELNS1_11target_archE906ELNS1_3gpuE6ELNS1_3repE0EEENS1_30default_config_static_selectorELNS0_4arch9wavefront6targetE0EEEvS13_
                                        ; -- End function
	.section	.AMDGPU.csdata,"",@progbits
; Kernel info:
; codeLenInByte = 0
; NumSgprs: 0
; NumVgprs: 0
; ScratchSize: 0
; MemoryBound: 0
; FloatMode: 240
; IeeeMode: 1
; LDSByteSize: 0 bytes/workgroup (compile time only)
; SGPRBlocks: 0
; VGPRBlocks: 0
; NumSGPRsForWavesPerEU: 1
; NumVGPRsForWavesPerEU: 1
; Occupancy: 16
; WaveLimiterHint : 0
; COMPUTE_PGM_RSRC2:SCRATCH_EN: 0
; COMPUTE_PGM_RSRC2:USER_SGPR: 15
; COMPUTE_PGM_RSRC2:TRAP_HANDLER: 0
; COMPUTE_PGM_RSRC2:TGID_X_EN: 1
; COMPUTE_PGM_RSRC2:TGID_Y_EN: 0
; COMPUTE_PGM_RSRC2:TGID_Z_EN: 0
; COMPUTE_PGM_RSRC2:TIDIG_COMP_CNT: 0
	.section	.text._ZN7rocprim17ROCPRIM_400000_NS6detail17trampoline_kernelINS0_13select_configILj256ELj13ELNS0_17block_load_methodE3ELS4_3ELS4_3ELNS0_20block_scan_algorithmE0ELj4294967295EEENS1_25partition_config_selectorILNS1_17partition_subalgoE4EjNS0_10empty_typeEbEEZZNS1_14partition_implILS8_4ELb0ES6_15HIP_vector_typeIjLj2EENS0_17counting_iteratorIjlEEPS9_SG_NS0_5tupleIJPjSI_NS0_16reverse_iteratorISI_EEEEENSH_IJSG_SG_SG_EEES9_SI_JZNS1_25segmented_radix_sort_implINS0_14default_configELb0EPK12hip_bfloat16PSP_PKlPlN2at6native12_GLOBAL__N_18offset_tEEE10hipError_tPvRmT1_PNSt15iterator_traitsIS13_E10value_typeET2_T3_PNS14_IS19_E10value_typeET4_jRbjT5_S1F_jjP12ihipStream_tbEUljE_ZNSN_ISO_Lb0ESR_SS_SU_SV_SZ_EES10_S11_S12_S13_S17_S18_S19_S1C_S1D_jS1E_jS1F_S1F_jjS1H_bEUljE0_EEES10_S11_S12_S19_S1D_S1F_T6_T7_T9_mT8_S1H_bDpT10_ENKUlT_T0_E_clISt17integral_constantIbLb1EES1V_EEDaS1Q_S1R_EUlS1Q_E_NS1_11comp_targetILNS1_3genE10ELNS1_11target_archE1200ELNS1_3gpuE4ELNS1_3repE0EEENS1_30default_config_static_selectorELNS0_4arch9wavefront6targetE0EEEvS13_,"axG",@progbits,_ZN7rocprim17ROCPRIM_400000_NS6detail17trampoline_kernelINS0_13select_configILj256ELj13ELNS0_17block_load_methodE3ELS4_3ELS4_3ELNS0_20block_scan_algorithmE0ELj4294967295EEENS1_25partition_config_selectorILNS1_17partition_subalgoE4EjNS0_10empty_typeEbEEZZNS1_14partition_implILS8_4ELb0ES6_15HIP_vector_typeIjLj2EENS0_17counting_iteratorIjlEEPS9_SG_NS0_5tupleIJPjSI_NS0_16reverse_iteratorISI_EEEEENSH_IJSG_SG_SG_EEES9_SI_JZNS1_25segmented_radix_sort_implINS0_14default_configELb0EPK12hip_bfloat16PSP_PKlPlN2at6native12_GLOBAL__N_18offset_tEEE10hipError_tPvRmT1_PNSt15iterator_traitsIS13_E10value_typeET2_T3_PNS14_IS19_E10value_typeET4_jRbjT5_S1F_jjP12ihipStream_tbEUljE_ZNSN_ISO_Lb0ESR_SS_SU_SV_SZ_EES10_S11_S12_S13_S17_S18_S19_S1C_S1D_jS1E_jS1F_S1F_jjS1H_bEUljE0_EEES10_S11_S12_S19_S1D_S1F_T6_T7_T9_mT8_S1H_bDpT10_ENKUlT_T0_E_clISt17integral_constantIbLb1EES1V_EEDaS1Q_S1R_EUlS1Q_E_NS1_11comp_targetILNS1_3genE10ELNS1_11target_archE1200ELNS1_3gpuE4ELNS1_3repE0EEENS1_30default_config_static_selectorELNS0_4arch9wavefront6targetE0EEEvS13_,comdat
	.globl	_ZN7rocprim17ROCPRIM_400000_NS6detail17trampoline_kernelINS0_13select_configILj256ELj13ELNS0_17block_load_methodE3ELS4_3ELS4_3ELNS0_20block_scan_algorithmE0ELj4294967295EEENS1_25partition_config_selectorILNS1_17partition_subalgoE4EjNS0_10empty_typeEbEEZZNS1_14partition_implILS8_4ELb0ES6_15HIP_vector_typeIjLj2EENS0_17counting_iteratorIjlEEPS9_SG_NS0_5tupleIJPjSI_NS0_16reverse_iteratorISI_EEEEENSH_IJSG_SG_SG_EEES9_SI_JZNS1_25segmented_radix_sort_implINS0_14default_configELb0EPK12hip_bfloat16PSP_PKlPlN2at6native12_GLOBAL__N_18offset_tEEE10hipError_tPvRmT1_PNSt15iterator_traitsIS13_E10value_typeET2_T3_PNS14_IS19_E10value_typeET4_jRbjT5_S1F_jjP12ihipStream_tbEUljE_ZNSN_ISO_Lb0ESR_SS_SU_SV_SZ_EES10_S11_S12_S13_S17_S18_S19_S1C_S1D_jS1E_jS1F_S1F_jjS1H_bEUljE0_EEES10_S11_S12_S19_S1D_S1F_T6_T7_T9_mT8_S1H_bDpT10_ENKUlT_T0_E_clISt17integral_constantIbLb1EES1V_EEDaS1Q_S1R_EUlS1Q_E_NS1_11comp_targetILNS1_3genE10ELNS1_11target_archE1200ELNS1_3gpuE4ELNS1_3repE0EEENS1_30default_config_static_selectorELNS0_4arch9wavefront6targetE0EEEvS13_ ; -- Begin function _ZN7rocprim17ROCPRIM_400000_NS6detail17trampoline_kernelINS0_13select_configILj256ELj13ELNS0_17block_load_methodE3ELS4_3ELS4_3ELNS0_20block_scan_algorithmE0ELj4294967295EEENS1_25partition_config_selectorILNS1_17partition_subalgoE4EjNS0_10empty_typeEbEEZZNS1_14partition_implILS8_4ELb0ES6_15HIP_vector_typeIjLj2EENS0_17counting_iteratorIjlEEPS9_SG_NS0_5tupleIJPjSI_NS0_16reverse_iteratorISI_EEEEENSH_IJSG_SG_SG_EEES9_SI_JZNS1_25segmented_radix_sort_implINS0_14default_configELb0EPK12hip_bfloat16PSP_PKlPlN2at6native12_GLOBAL__N_18offset_tEEE10hipError_tPvRmT1_PNSt15iterator_traitsIS13_E10value_typeET2_T3_PNS14_IS19_E10value_typeET4_jRbjT5_S1F_jjP12ihipStream_tbEUljE_ZNSN_ISO_Lb0ESR_SS_SU_SV_SZ_EES10_S11_S12_S13_S17_S18_S19_S1C_S1D_jS1E_jS1F_S1F_jjS1H_bEUljE0_EEES10_S11_S12_S19_S1D_S1F_T6_T7_T9_mT8_S1H_bDpT10_ENKUlT_T0_E_clISt17integral_constantIbLb1EES1V_EEDaS1Q_S1R_EUlS1Q_E_NS1_11comp_targetILNS1_3genE10ELNS1_11target_archE1200ELNS1_3gpuE4ELNS1_3repE0EEENS1_30default_config_static_selectorELNS0_4arch9wavefront6targetE0EEEvS13_
	.p2align	8
	.type	_ZN7rocprim17ROCPRIM_400000_NS6detail17trampoline_kernelINS0_13select_configILj256ELj13ELNS0_17block_load_methodE3ELS4_3ELS4_3ELNS0_20block_scan_algorithmE0ELj4294967295EEENS1_25partition_config_selectorILNS1_17partition_subalgoE4EjNS0_10empty_typeEbEEZZNS1_14partition_implILS8_4ELb0ES6_15HIP_vector_typeIjLj2EENS0_17counting_iteratorIjlEEPS9_SG_NS0_5tupleIJPjSI_NS0_16reverse_iteratorISI_EEEEENSH_IJSG_SG_SG_EEES9_SI_JZNS1_25segmented_radix_sort_implINS0_14default_configELb0EPK12hip_bfloat16PSP_PKlPlN2at6native12_GLOBAL__N_18offset_tEEE10hipError_tPvRmT1_PNSt15iterator_traitsIS13_E10value_typeET2_T3_PNS14_IS19_E10value_typeET4_jRbjT5_S1F_jjP12ihipStream_tbEUljE_ZNSN_ISO_Lb0ESR_SS_SU_SV_SZ_EES10_S11_S12_S13_S17_S18_S19_S1C_S1D_jS1E_jS1F_S1F_jjS1H_bEUljE0_EEES10_S11_S12_S19_S1D_S1F_T6_T7_T9_mT8_S1H_bDpT10_ENKUlT_T0_E_clISt17integral_constantIbLb1EES1V_EEDaS1Q_S1R_EUlS1Q_E_NS1_11comp_targetILNS1_3genE10ELNS1_11target_archE1200ELNS1_3gpuE4ELNS1_3repE0EEENS1_30default_config_static_selectorELNS0_4arch9wavefront6targetE0EEEvS13_,@function
_ZN7rocprim17ROCPRIM_400000_NS6detail17trampoline_kernelINS0_13select_configILj256ELj13ELNS0_17block_load_methodE3ELS4_3ELS4_3ELNS0_20block_scan_algorithmE0ELj4294967295EEENS1_25partition_config_selectorILNS1_17partition_subalgoE4EjNS0_10empty_typeEbEEZZNS1_14partition_implILS8_4ELb0ES6_15HIP_vector_typeIjLj2EENS0_17counting_iteratorIjlEEPS9_SG_NS0_5tupleIJPjSI_NS0_16reverse_iteratorISI_EEEEENSH_IJSG_SG_SG_EEES9_SI_JZNS1_25segmented_radix_sort_implINS0_14default_configELb0EPK12hip_bfloat16PSP_PKlPlN2at6native12_GLOBAL__N_18offset_tEEE10hipError_tPvRmT1_PNSt15iterator_traitsIS13_E10value_typeET2_T3_PNS14_IS19_E10value_typeET4_jRbjT5_S1F_jjP12ihipStream_tbEUljE_ZNSN_ISO_Lb0ESR_SS_SU_SV_SZ_EES10_S11_S12_S13_S17_S18_S19_S1C_S1D_jS1E_jS1F_S1F_jjS1H_bEUljE0_EEES10_S11_S12_S19_S1D_S1F_T6_T7_T9_mT8_S1H_bDpT10_ENKUlT_T0_E_clISt17integral_constantIbLb1EES1V_EEDaS1Q_S1R_EUlS1Q_E_NS1_11comp_targetILNS1_3genE10ELNS1_11target_archE1200ELNS1_3gpuE4ELNS1_3repE0EEENS1_30default_config_static_selectorELNS0_4arch9wavefront6targetE0EEEvS13_: ; @_ZN7rocprim17ROCPRIM_400000_NS6detail17trampoline_kernelINS0_13select_configILj256ELj13ELNS0_17block_load_methodE3ELS4_3ELS4_3ELNS0_20block_scan_algorithmE0ELj4294967295EEENS1_25partition_config_selectorILNS1_17partition_subalgoE4EjNS0_10empty_typeEbEEZZNS1_14partition_implILS8_4ELb0ES6_15HIP_vector_typeIjLj2EENS0_17counting_iteratorIjlEEPS9_SG_NS0_5tupleIJPjSI_NS0_16reverse_iteratorISI_EEEEENSH_IJSG_SG_SG_EEES9_SI_JZNS1_25segmented_radix_sort_implINS0_14default_configELb0EPK12hip_bfloat16PSP_PKlPlN2at6native12_GLOBAL__N_18offset_tEEE10hipError_tPvRmT1_PNSt15iterator_traitsIS13_E10value_typeET2_T3_PNS14_IS19_E10value_typeET4_jRbjT5_S1F_jjP12ihipStream_tbEUljE_ZNSN_ISO_Lb0ESR_SS_SU_SV_SZ_EES10_S11_S12_S13_S17_S18_S19_S1C_S1D_jS1E_jS1F_S1F_jjS1H_bEUljE0_EEES10_S11_S12_S19_S1D_S1F_T6_T7_T9_mT8_S1H_bDpT10_ENKUlT_T0_E_clISt17integral_constantIbLb1EES1V_EEDaS1Q_S1R_EUlS1Q_E_NS1_11comp_targetILNS1_3genE10ELNS1_11target_archE1200ELNS1_3gpuE4ELNS1_3repE0EEENS1_30default_config_static_selectorELNS0_4arch9wavefront6targetE0EEEvS13_
; %bb.0:
	.section	.rodata,"a",@progbits
	.p2align	6, 0x0
	.amdhsa_kernel _ZN7rocprim17ROCPRIM_400000_NS6detail17trampoline_kernelINS0_13select_configILj256ELj13ELNS0_17block_load_methodE3ELS4_3ELS4_3ELNS0_20block_scan_algorithmE0ELj4294967295EEENS1_25partition_config_selectorILNS1_17partition_subalgoE4EjNS0_10empty_typeEbEEZZNS1_14partition_implILS8_4ELb0ES6_15HIP_vector_typeIjLj2EENS0_17counting_iteratorIjlEEPS9_SG_NS0_5tupleIJPjSI_NS0_16reverse_iteratorISI_EEEEENSH_IJSG_SG_SG_EEES9_SI_JZNS1_25segmented_radix_sort_implINS0_14default_configELb0EPK12hip_bfloat16PSP_PKlPlN2at6native12_GLOBAL__N_18offset_tEEE10hipError_tPvRmT1_PNSt15iterator_traitsIS13_E10value_typeET2_T3_PNS14_IS19_E10value_typeET4_jRbjT5_S1F_jjP12ihipStream_tbEUljE_ZNSN_ISO_Lb0ESR_SS_SU_SV_SZ_EES10_S11_S12_S13_S17_S18_S19_S1C_S1D_jS1E_jS1F_S1F_jjS1H_bEUljE0_EEES10_S11_S12_S19_S1D_S1F_T6_T7_T9_mT8_S1H_bDpT10_ENKUlT_T0_E_clISt17integral_constantIbLb1EES1V_EEDaS1Q_S1R_EUlS1Q_E_NS1_11comp_targetILNS1_3genE10ELNS1_11target_archE1200ELNS1_3gpuE4ELNS1_3repE0EEENS1_30default_config_static_selectorELNS0_4arch9wavefront6targetE0EEEvS13_
		.amdhsa_group_segment_fixed_size 0
		.amdhsa_private_segment_fixed_size 0
		.amdhsa_kernarg_size 184
		.amdhsa_user_sgpr_count 15
		.amdhsa_user_sgpr_dispatch_ptr 0
		.amdhsa_user_sgpr_queue_ptr 0
		.amdhsa_user_sgpr_kernarg_segment_ptr 1
		.amdhsa_user_sgpr_dispatch_id 0
		.amdhsa_user_sgpr_private_segment_size 0
		.amdhsa_wavefront_size32 1
		.amdhsa_uses_dynamic_stack 0
		.amdhsa_enable_private_segment 0
		.amdhsa_system_sgpr_workgroup_id_x 1
		.amdhsa_system_sgpr_workgroup_id_y 0
		.amdhsa_system_sgpr_workgroup_id_z 0
		.amdhsa_system_sgpr_workgroup_info 0
		.amdhsa_system_vgpr_workitem_id 0
		.amdhsa_next_free_vgpr 1
		.amdhsa_next_free_sgpr 1
		.amdhsa_reserve_vcc 0
		.amdhsa_float_round_mode_32 0
		.amdhsa_float_round_mode_16_64 0
		.amdhsa_float_denorm_mode_32 3
		.amdhsa_float_denorm_mode_16_64 3
		.amdhsa_dx10_clamp 1
		.amdhsa_ieee_mode 1
		.amdhsa_fp16_overflow 0
		.amdhsa_workgroup_processor_mode 1
		.amdhsa_memory_ordered 1
		.amdhsa_forward_progress 0
		.amdhsa_shared_vgpr_count 0
		.amdhsa_exception_fp_ieee_invalid_op 0
		.amdhsa_exception_fp_denorm_src 0
		.amdhsa_exception_fp_ieee_div_zero 0
		.amdhsa_exception_fp_ieee_overflow 0
		.amdhsa_exception_fp_ieee_underflow 0
		.amdhsa_exception_fp_ieee_inexact 0
		.amdhsa_exception_int_div_zero 0
	.end_amdhsa_kernel
	.section	.text._ZN7rocprim17ROCPRIM_400000_NS6detail17trampoline_kernelINS0_13select_configILj256ELj13ELNS0_17block_load_methodE3ELS4_3ELS4_3ELNS0_20block_scan_algorithmE0ELj4294967295EEENS1_25partition_config_selectorILNS1_17partition_subalgoE4EjNS0_10empty_typeEbEEZZNS1_14partition_implILS8_4ELb0ES6_15HIP_vector_typeIjLj2EENS0_17counting_iteratorIjlEEPS9_SG_NS0_5tupleIJPjSI_NS0_16reverse_iteratorISI_EEEEENSH_IJSG_SG_SG_EEES9_SI_JZNS1_25segmented_radix_sort_implINS0_14default_configELb0EPK12hip_bfloat16PSP_PKlPlN2at6native12_GLOBAL__N_18offset_tEEE10hipError_tPvRmT1_PNSt15iterator_traitsIS13_E10value_typeET2_T3_PNS14_IS19_E10value_typeET4_jRbjT5_S1F_jjP12ihipStream_tbEUljE_ZNSN_ISO_Lb0ESR_SS_SU_SV_SZ_EES10_S11_S12_S13_S17_S18_S19_S1C_S1D_jS1E_jS1F_S1F_jjS1H_bEUljE0_EEES10_S11_S12_S19_S1D_S1F_T6_T7_T9_mT8_S1H_bDpT10_ENKUlT_T0_E_clISt17integral_constantIbLb1EES1V_EEDaS1Q_S1R_EUlS1Q_E_NS1_11comp_targetILNS1_3genE10ELNS1_11target_archE1200ELNS1_3gpuE4ELNS1_3repE0EEENS1_30default_config_static_selectorELNS0_4arch9wavefront6targetE0EEEvS13_,"axG",@progbits,_ZN7rocprim17ROCPRIM_400000_NS6detail17trampoline_kernelINS0_13select_configILj256ELj13ELNS0_17block_load_methodE3ELS4_3ELS4_3ELNS0_20block_scan_algorithmE0ELj4294967295EEENS1_25partition_config_selectorILNS1_17partition_subalgoE4EjNS0_10empty_typeEbEEZZNS1_14partition_implILS8_4ELb0ES6_15HIP_vector_typeIjLj2EENS0_17counting_iteratorIjlEEPS9_SG_NS0_5tupleIJPjSI_NS0_16reverse_iteratorISI_EEEEENSH_IJSG_SG_SG_EEES9_SI_JZNS1_25segmented_radix_sort_implINS0_14default_configELb0EPK12hip_bfloat16PSP_PKlPlN2at6native12_GLOBAL__N_18offset_tEEE10hipError_tPvRmT1_PNSt15iterator_traitsIS13_E10value_typeET2_T3_PNS14_IS19_E10value_typeET4_jRbjT5_S1F_jjP12ihipStream_tbEUljE_ZNSN_ISO_Lb0ESR_SS_SU_SV_SZ_EES10_S11_S12_S13_S17_S18_S19_S1C_S1D_jS1E_jS1F_S1F_jjS1H_bEUljE0_EEES10_S11_S12_S19_S1D_S1F_T6_T7_T9_mT8_S1H_bDpT10_ENKUlT_T0_E_clISt17integral_constantIbLb1EES1V_EEDaS1Q_S1R_EUlS1Q_E_NS1_11comp_targetILNS1_3genE10ELNS1_11target_archE1200ELNS1_3gpuE4ELNS1_3repE0EEENS1_30default_config_static_selectorELNS0_4arch9wavefront6targetE0EEEvS13_,comdat
.Lfunc_end1998:
	.size	_ZN7rocprim17ROCPRIM_400000_NS6detail17trampoline_kernelINS0_13select_configILj256ELj13ELNS0_17block_load_methodE3ELS4_3ELS4_3ELNS0_20block_scan_algorithmE0ELj4294967295EEENS1_25partition_config_selectorILNS1_17partition_subalgoE4EjNS0_10empty_typeEbEEZZNS1_14partition_implILS8_4ELb0ES6_15HIP_vector_typeIjLj2EENS0_17counting_iteratorIjlEEPS9_SG_NS0_5tupleIJPjSI_NS0_16reverse_iteratorISI_EEEEENSH_IJSG_SG_SG_EEES9_SI_JZNS1_25segmented_radix_sort_implINS0_14default_configELb0EPK12hip_bfloat16PSP_PKlPlN2at6native12_GLOBAL__N_18offset_tEEE10hipError_tPvRmT1_PNSt15iterator_traitsIS13_E10value_typeET2_T3_PNS14_IS19_E10value_typeET4_jRbjT5_S1F_jjP12ihipStream_tbEUljE_ZNSN_ISO_Lb0ESR_SS_SU_SV_SZ_EES10_S11_S12_S13_S17_S18_S19_S1C_S1D_jS1E_jS1F_S1F_jjS1H_bEUljE0_EEES10_S11_S12_S19_S1D_S1F_T6_T7_T9_mT8_S1H_bDpT10_ENKUlT_T0_E_clISt17integral_constantIbLb1EES1V_EEDaS1Q_S1R_EUlS1Q_E_NS1_11comp_targetILNS1_3genE10ELNS1_11target_archE1200ELNS1_3gpuE4ELNS1_3repE0EEENS1_30default_config_static_selectorELNS0_4arch9wavefront6targetE0EEEvS13_, .Lfunc_end1998-_ZN7rocprim17ROCPRIM_400000_NS6detail17trampoline_kernelINS0_13select_configILj256ELj13ELNS0_17block_load_methodE3ELS4_3ELS4_3ELNS0_20block_scan_algorithmE0ELj4294967295EEENS1_25partition_config_selectorILNS1_17partition_subalgoE4EjNS0_10empty_typeEbEEZZNS1_14partition_implILS8_4ELb0ES6_15HIP_vector_typeIjLj2EENS0_17counting_iteratorIjlEEPS9_SG_NS0_5tupleIJPjSI_NS0_16reverse_iteratorISI_EEEEENSH_IJSG_SG_SG_EEES9_SI_JZNS1_25segmented_radix_sort_implINS0_14default_configELb0EPK12hip_bfloat16PSP_PKlPlN2at6native12_GLOBAL__N_18offset_tEEE10hipError_tPvRmT1_PNSt15iterator_traitsIS13_E10value_typeET2_T3_PNS14_IS19_E10value_typeET4_jRbjT5_S1F_jjP12ihipStream_tbEUljE_ZNSN_ISO_Lb0ESR_SS_SU_SV_SZ_EES10_S11_S12_S13_S17_S18_S19_S1C_S1D_jS1E_jS1F_S1F_jjS1H_bEUljE0_EEES10_S11_S12_S19_S1D_S1F_T6_T7_T9_mT8_S1H_bDpT10_ENKUlT_T0_E_clISt17integral_constantIbLb1EES1V_EEDaS1Q_S1R_EUlS1Q_E_NS1_11comp_targetILNS1_3genE10ELNS1_11target_archE1200ELNS1_3gpuE4ELNS1_3repE0EEENS1_30default_config_static_selectorELNS0_4arch9wavefront6targetE0EEEvS13_
                                        ; -- End function
	.section	.AMDGPU.csdata,"",@progbits
; Kernel info:
; codeLenInByte = 0
; NumSgprs: 0
; NumVgprs: 0
; ScratchSize: 0
; MemoryBound: 0
; FloatMode: 240
; IeeeMode: 1
; LDSByteSize: 0 bytes/workgroup (compile time only)
; SGPRBlocks: 0
; VGPRBlocks: 0
; NumSGPRsForWavesPerEU: 1
; NumVGPRsForWavesPerEU: 1
; Occupancy: 16
; WaveLimiterHint : 0
; COMPUTE_PGM_RSRC2:SCRATCH_EN: 0
; COMPUTE_PGM_RSRC2:USER_SGPR: 15
; COMPUTE_PGM_RSRC2:TRAP_HANDLER: 0
; COMPUTE_PGM_RSRC2:TGID_X_EN: 1
; COMPUTE_PGM_RSRC2:TGID_Y_EN: 0
; COMPUTE_PGM_RSRC2:TGID_Z_EN: 0
; COMPUTE_PGM_RSRC2:TIDIG_COMP_CNT: 0
	.section	.text._ZN7rocprim17ROCPRIM_400000_NS6detail17trampoline_kernelINS0_13select_configILj256ELj13ELNS0_17block_load_methodE3ELS4_3ELS4_3ELNS0_20block_scan_algorithmE0ELj4294967295EEENS1_25partition_config_selectorILNS1_17partition_subalgoE4EjNS0_10empty_typeEbEEZZNS1_14partition_implILS8_4ELb0ES6_15HIP_vector_typeIjLj2EENS0_17counting_iteratorIjlEEPS9_SG_NS0_5tupleIJPjSI_NS0_16reverse_iteratorISI_EEEEENSH_IJSG_SG_SG_EEES9_SI_JZNS1_25segmented_radix_sort_implINS0_14default_configELb0EPK12hip_bfloat16PSP_PKlPlN2at6native12_GLOBAL__N_18offset_tEEE10hipError_tPvRmT1_PNSt15iterator_traitsIS13_E10value_typeET2_T3_PNS14_IS19_E10value_typeET4_jRbjT5_S1F_jjP12ihipStream_tbEUljE_ZNSN_ISO_Lb0ESR_SS_SU_SV_SZ_EES10_S11_S12_S13_S17_S18_S19_S1C_S1D_jS1E_jS1F_S1F_jjS1H_bEUljE0_EEES10_S11_S12_S19_S1D_S1F_T6_T7_T9_mT8_S1H_bDpT10_ENKUlT_T0_E_clISt17integral_constantIbLb1EES1V_EEDaS1Q_S1R_EUlS1Q_E_NS1_11comp_targetILNS1_3genE9ELNS1_11target_archE1100ELNS1_3gpuE3ELNS1_3repE0EEENS1_30default_config_static_selectorELNS0_4arch9wavefront6targetE0EEEvS13_,"axG",@progbits,_ZN7rocprim17ROCPRIM_400000_NS6detail17trampoline_kernelINS0_13select_configILj256ELj13ELNS0_17block_load_methodE3ELS4_3ELS4_3ELNS0_20block_scan_algorithmE0ELj4294967295EEENS1_25partition_config_selectorILNS1_17partition_subalgoE4EjNS0_10empty_typeEbEEZZNS1_14partition_implILS8_4ELb0ES6_15HIP_vector_typeIjLj2EENS0_17counting_iteratorIjlEEPS9_SG_NS0_5tupleIJPjSI_NS0_16reverse_iteratorISI_EEEEENSH_IJSG_SG_SG_EEES9_SI_JZNS1_25segmented_radix_sort_implINS0_14default_configELb0EPK12hip_bfloat16PSP_PKlPlN2at6native12_GLOBAL__N_18offset_tEEE10hipError_tPvRmT1_PNSt15iterator_traitsIS13_E10value_typeET2_T3_PNS14_IS19_E10value_typeET4_jRbjT5_S1F_jjP12ihipStream_tbEUljE_ZNSN_ISO_Lb0ESR_SS_SU_SV_SZ_EES10_S11_S12_S13_S17_S18_S19_S1C_S1D_jS1E_jS1F_S1F_jjS1H_bEUljE0_EEES10_S11_S12_S19_S1D_S1F_T6_T7_T9_mT8_S1H_bDpT10_ENKUlT_T0_E_clISt17integral_constantIbLb1EES1V_EEDaS1Q_S1R_EUlS1Q_E_NS1_11comp_targetILNS1_3genE9ELNS1_11target_archE1100ELNS1_3gpuE3ELNS1_3repE0EEENS1_30default_config_static_selectorELNS0_4arch9wavefront6targetE0EEEvS13_,comdat
	.globl	_ZN7rocprim17ROCPRIM_400000_NS6detail17trampoline_kernelINS0_13select_configILj256ELj13ELNS0_17block_load_methodE3ELS4_3ELS4_3ELNS0_20block_scan_algorithmE0ELj4294967295EEENS1_25partition_config_selectorILNS1_17partition_subalgoE4EjNS0_10empty_typeEbEEZZNS1_14partition_implILS8_4ELb0ES6_15HIP_vector_typeIjLj2EENS0_17counting_iteratorIjlEEPS9_SG_NS0_5tupleIJPjSI_NS0_16reverse_iteratorISI_EEEEENSH_IJSG_SG_SG_EEES9_SI_JZNS1_25segmented_radix_sort_implINS0_14default_configELb0EPK12hip_bfloat16PSP_PKlPlN2at6native12_GLOBAL__N_18offset_tEEE10hipError_tPvRmT1_PNSt15iterator_traitsIS13_E10value_typeET2_T3_PNS14_IS19_E10value_typeET4_jRbjT5_S1F_jjP12ihipStream_tbEUljE_ZNSN_ISO_Lb0ESR_SS_SU_SV_SZ_EES10_S11_S12_S13_S17_S18_S19_S1C_S1D_jS1E_jS1F_S1F_jjS1H_bEUljE0_EEES10_S11_S12_S19_S1D_S1F_T6_T7_T9_mT8_S1H_bDpT10_ENKUlT_T0_E_clISt17integral_constantIbLb1EES1V_EEDaS1Q_S1R_EUlS1Q_E_NS1_11comp_targetILNS1_3genE9ELNS1_11target_archE1100ELNS1_3gpuE3ELNS1_3repE0EEENS1_30default_config_static_selectorELNS0_4arch9wavefront6targetE0EEEvS13_ ; -- Begin function _ZN7rocprim17ROCPRIM_400000_NS6detail17trampoline_kernelINS0_13select_configILj256ELj13ELNS0_17block_load_methodE3ELS4_3ELS4_3ELNS0_20block_scan_algorithmE0ELj4294967295EEENS1_25partition_config_selectorILNS1_17partition_subalgoE4EjNS0_10empty_typeEbEEZZNS1_14partition_implILS8_4ELb0ES6_15HIP_vector_typeIjLj2EENS0_17counting_iteratorIjlEEPS9_SG_NS0_5tupleIJPjSI_NS0_16reverse_iteratorISI_EEEEENSH_IJSG_SG_SG_EEES9_SI_JZNS1_25segmented_radix_sort_implINS0_14default_configELb0EPK12hip_bfloat16PSP_PKlPlN2at6native12_GLOBAL__N_18offset_tEEE10hipError_tPvRmT1_PNSt15iterator_traitsIS13_E10value_typeET2_T3_PNS14_IS19_E10value_typeET4_jRbjT5_S1F_jjP12ihipStream_tbEUljE_ZNSN_ISO_Lb0ESR_SS_SU_SV_SZ_EES10_S11_S12_S13_S17_S18_S19_S1C_S1D_jS1E_jS1F_S1F_jjS1H_bEUljE0_EEES10_S11_S12_S19_S1D_S1F_T6_T7_T9_mT8_S1H_bDpT10_ENKUlT_T0_E_clISt17integral_constantIbLb1EES1V_EEDaS1Q_S1R_EUlS1Q_E_NS1_11comp_targetILNS1_3genE9ELNS1_11target_archE1100ELNS1_3gpuE3ELNS1_3repE0EEENS1_30default_config_static_selectorELNS0_4arch9wavefront6targetE0EEEvS13_
	.p2align	8
	.type	_ZN7rocprim17ROCPRIM_400000_NS6detail17trampoline_kernelINS0_13select_configILj256ELj13ELNS0_17block_load_methodE3ELS4_3ELS4_3ELNS0_20block_scan_algorithmE0ELj4294967295EEENS1_25partition_config_selectorILNS1_17partition_subalgoE4EjNS0_10empty_typeEbEEZZNS1_14partition_implILS8_4ELb0ES6_15HIP_vector_typeIjLj2EENS0_17counting_iteratorIjlEEPS9_SG_NS0_5tupleIJPjSI_NS0_16reverse_iteratorISI_EEEEENSH_IJSG_SG_SG_EEES9_SI_JZNS1_25segmented_radix_sort_implINS0_14default_configELb0EPK12hip_bfloat16PSP_PKlPlN2at6native12_GLOBAL__N_18offset_tEEE10hipError_tPvRmT1_PNSt15iterator_traitsIS13_E10value_typeET2_T3_PNS14_IS19_E10value_typeET4_jRbjT5_S1F_jjP12ihipStream_tbEUljE_ZNSN_ISO_Lb0ESR_SS_SU_SV_SZ_EES10_S11_S12_S13_S17_S18_S19_S1C_S1D_jS1E_jS1F_S1F_jjS1H_bEUljE0_EEES10_S11_S12_S19_S1D_S1F_T6_T7_T9_mT8_S1H_bDpT10_ENKUlT_T0_E_clISt17integral_constantIbLb1EES1V_EEDaS1Q_S1R_EUlS1Q_E_NS1_11comp_targetILNS1_3genE9ELNS1_11target_archE1100ELNS1_3gpuE3ELNS1_3repE0EEENS1_30default_config_static_selectorELNS0_4arch9wavefront6targetE0EEEvS13_,@function
_ZN7rocprim17ROCPRIM_400000_NS6detail17trampoline_kernelINS0_13select_configILj256ELj13ELNS0_17block_load_methodE3ELS4_3ELS4_3ELNS0_20block_scan_algorithmE0ELj4294967295EEENS1_25partition_config_selectorILNS1_17partition_subalgoE4EjNS0_10empty_typeEbEEZZNS1_14partition_implILS8_4ELb0ES6_15HIP_vector_typeIjLj2EENS0_17counting_iteratorIjlEEPS9_SG_NS0_5tupleIJPjSI_NS0_16reverse_iteratorISI_EEEEENSH_IJSG_SG_SG_EEES9_SI_JZNS1_25segmented_radix_sort_implINS0_14default_configELb0EPK12hip_bfloat16PSP_PKlPlN2at6native12_GLOBAL__N_18offset_tEEE10hipError_tPvRmT1_PNSt15iterator_traitsIS13_E10value_typeET2_T3_PNS14_IS19_E10value_typeET4_jRbjT5_S1F_jjP12ihipStream_tbEUljE_ZNSN_ISO_Lb0ESR_SS_SU_SV_SZ_EES10_S11_S12_S13_S17_S18_S19_S1C_S1D_jS1E_jS1F_S1F_jjS1H_bEUljE0_EEES10_S11_S12_S19_S1D_S1F_T6_T7_T9_mT8_S1H_bDpT10_ENKUlT_T0_E_clISt17integral_constantIbLb1EES1V_EEDaS1Q_S1R_EUlS1Q_E_NS1_11comp_targetILNS1_3genE9ELNS1_11target_archE1100ELNS1_3gpuE3ELNS1_3repE0EEENS1_30default_config_static_selectorELNS0_4arch9wavefront6targetE0EEEvS13_: ; @_ZN7rocprim17ROCPRIM_400000_NS6detail17trampoline_kernelINS0_13select_configILj256ELj13ELNS0_17block_load_methodE3ELS4_3ELS4_3ELNS0_20block_scan_algorithmE0ELj4294967295EEENS1_25partition_config_selectorILNS1_17partition_subalgoE4EjNS0_10empty_typeEbEEZZNS1_14partition_implILS8_4ELb0ES6_15HIP_vector_typeIjLj2EENS0_17counting_iteratorIjlEEPS9_SG_NS0_5tupleIJPjSI_NS0_16reverse_iteratorISI_EEEEENSH_IJSG_SG_SG_EEES9_SI_JZNS1_25segmented_radix_sort_implINS0_14default_configELb0EPK12hip_bfloat16PSP_PKlPlN2at6native12_GLOBAL__N_18offset_tEEE10hipError_tPvRmT1_PNSt15iterator_traitsIS13_E10value_typeET2_T3_PNS14_IS19_E10value_typeET4_jRbjT5_S1F_jjP12ihipStream_tbEUljE_ZNSN_ISO_Lb0ESR_SS_SU_SV_SZ_EES10_S11_S12_S13_S17_S18_S19_S1C_S1D_jS1E_jS1F_S1F_jjS1H_bEUljE0_EEES10_S11_S12_S19_S1D_S1F_T6_T7_T9_mT8_S1H_bDpT10_ENKUlT_T0_E_clISt17integral_constantIbLb1EES1V_EEDaS1Q_S1R_EUlS1Q_E_NS1_11comp_targetILNS1_3genE9ELNS1_11target_archE1100ELNS1_3gpuE3ELNS1_3repE0EEENS1_30default_config_static_selectorELNS0_4arch9wavefront6targetE0EEEvS13_
; %bb.0:
	s_clause 0x7
	s_load_b64 s[34:35], s[0:1], 0x10
	s_load_b128 s[28:31], s[0:1], 0x28
	s_load_b64 s[14:15], s[0:1], 0x38
	s_load_b128 s[24:27], s[0:1], 0x58
	s_load_b64 s[4:5], s[0:1], 0x68
	s_load_b64 s[36:37], s[0:1], 0x78
	;; [unrolled: 1-line block ×3, first 2 shown]
	s_load_b256 s[16:23], s[0:1], 0x90
	v_cmp_eq_u32_e64 s2, 0, v0
	s_delay_alu instid0(VALU_DEP_1)
	s_and_saveexec_b32 s3, s2
	s_cbranch_execz .LBB1999_4
; %bb.1:
	s_mov_b32 s7, exec_lo
	s_mov_b32 s6, exec_lo
	v_mbcnt_lo_u32_b32 v1, s7, 0
                                        ; implicit-def: $vgpr2
	s_delay_alu instid0(VALU_DEP_1)
	v_cmpx_eq_u32_e32 0, v1
	s_cbranch_execz .LBB1999_3
; %bb.2:
	s_load_b64 s[8:9], s[0:1], 0x88
	s_bcnt1_i32_b32 s7, s7
	s_delay_alu instid0(SALU_CYCLE_1)
	v_dual_mov_b32 v2, 0 :: v_dual_mov_b32 v3, s7
	s_waitcnt lgkmcnt(0)
	global_atomic_add_u32 v2, v2, v3, s[8:9] glc
.LBB1999_3:
	s_or_b32 exec_lo, exec_lo, s6
	s_waitcnt vmcnt(0)
	v_readfirstlane_b32 s6, v2
	s_delay_alu instid0(VALU_DEP_1)
	v_dual_mov_b32 v2, 0 :: v_dual_add_nc_u32 v1, s6, v1
	ds_store_b32 v2, v1
.LBB1999_4:
	s_or_b32 exec_lo, exec_lo, s3
	v_mov_b32_e32 v1, 0
	s_clause 0x1
	s_load_b32 s3, s[0:1], 0x8
	s_load_b32 s0, s[0:1], 0x80
	s_waitcnt lgkmcnt(0)
	s_barrier
	buffer_gl0_inv
	ds_load_b32 v5, v1
	s_waitcnt lgkmcnt(0)
	s_barrier
	buffer_gl0_inv
	global_load_b128 v[1:4], v1, s[26:27]
	s_add_i32 s3, s3, s34
	s_mul_i32 s1, s0, 0xd00
	s_add_i32 s0, s0, -1
	s_add_u32 s6, s34, s1
	s_addc_u32 s7, s35, 0
	v_mul_lo_u32 v30, 0xd00, v5
	v_readfirstlane_b32 s26, v5
	v_cmp_lt_u64_e64 s5, s[6:7], s[4:5]
	v_cmp_ne_u32_e32 vcc_lo, s0, v5
	s_delay_alu instid0(VALU_DEP_3) | instskip(SKIP_1) | instid1(VALU_DEP_4)
	s_cmp_eq_u32 s26, s0
	s_cselect_b32 s13, -1, 0
	v_add3_u32 v5, v30, s3, v0
	s_delay_alu instid0(VALU_DEP_3) | instskip(SKIP_2) | instid1(VALU_DEP_1)
	s_or_b32 s0, s5, vcc_lo
	s_mov_b32 s3, -1
	s_and_b32 vcc_lo, exec_lo, s0
	v_add_nc_u32_e32 v6, 0x100, v5
	v_add_nc_u32_e32 v7, 0x200, v5
	;; [unrolled: 1-line block ×12, first 2 shown]
	s_cbranch_vccz .LBB1999_6
; %bb.5:
	v_lshlrev_b32_e32 v18, 2, v0
	s_mov_b32 s3, 0
	ds_store_2addr_stride64_b32 v18, v5, v6 offset1:4
	ds_store_2addr_stride64_b32 v18, v7, v8 offset0:8 offset1:12
	ds_store_2addr_stride64_b32 v18, v9, v10 offset0:16 offset1:20
	;; [unrolled: 1-line block ×5, first 2 shown]
	ds_store_b32 v18, v17 offset:12288
	s_waitcnt vmcnt(0) lgkmcnt(0)
	s_barrier
.LBB1999_6:
	s_and_not1_b32 vcc_lo, exec_lo, s3
	s_add_i32 s1, s1, s34
	s_cbranch_vccnz .LBB1999_8
; %bb.7:
	v_lshlrev_b32_e32 v18, 2, v0
	ds_store_2addr_stride64_b32 v18, v5, v6 offset1:4
	ds_store_2addr_stride64_b32 v18, v7, v8 offset0:8 offset1:12
	ds_store_2addr_stride64_b32 v18, v9, v10 offset0:16 offset1:20
	;; [unrolled: 1-line block ×5, first 2 shown]
	ds_store_b32 v18, v17 offset:12288
	s_waitcnt vmcnt(0) lgkmcnt(0)
	s_barrier
.LBB1999_8:
	v_mul_u32_u24_e32 v33, 13, v0
	s_waitcnt vmcnt(0)
	buffer_gl0_inv
	v_cndmask_b32_e64 v31, 0, 1, s0
	s_sub_i32 s40, s4, s1
	s_and_not1_b32 vcc_lo, exec_lo, s0
	v_lshlrev_b32_e32 v5, 2, v33
	ds_load_2addr_b32 v[20:21], v5 offset1:1
	ds_load_2addr_b32 v[18:19], v5 offset0:2 offset1:3
	ds_load_2addr_b32 v[16:17], v5 offset0:4 offset1:5
	;; [unrolled: 1-line block ×5, first 2 shown]
	ds_load_b32 v32, v5 offset:48
	s_waitcnt lgkmcnt(0)
	s_barrier
	buffer_gl0_inv
	s_cbranch_vccnz .LBB1999_36
; %bb.9:
	v_add_nc_u32_e32 v5, s17, v20
	v_add_nc_u32_e32 v6, s19, v20
	s_mov_b32 s42, 0
	s_mov_b32 s41, 0
	s_mov_b32 s1, exec_lo
	v_mul_lo_u32 v5, v5, s16
	v_mul_lo_u32 v6, v6, s18
	s_delay_alu instid0(VALU_DEP_1) | instskip(NEXT) | instid1(VALU_DEP_1)
	v_sub_nc_u32_e32 v5, v5, v6
	v_cmp_lt_u32_e32 vcc_lo, s20, v5
	v_cmpx_ge_u32_e64 s20, v5
; %bb.10:
	v_add_nc_u32_e32 v5, s22, v20
	v_add_nc_u32_e32 v6, s38, v20
	s_delay_alu instid0(VALU_DEP_2) | instskip(NEXT) | instid1(VALU_DEP_2)
	v_mul_lo_u32 v5, v5, s21
	v_mul_lo_u32 v6, v6, s23
	s_delay_alu instid0(VALU_DEP_1) | instskip(NEXT) | instid1(VALU_DEP_1)
	v_sub_nc_u32_e32 v5, v5, v6
	v_cmp_lt_u32_e64 s0, s39, v5
	s_delay_alu instid0(VALU_DEP_1)
	s_and_b32 s41, s0, exec_lo
; %bb.11:
	s_or_b32 exec_lo, exec_lo, s1
	v_add_nc_u32_e32 v5, s17, v21
	v_add_nc_u32_e32 v6, s19, v21
	s_mov_b32 s3, exec_lo
	s_delay_alu instid0(VALU_DEP_2) | instskip(NEXT) | instid1(VALU_DEP_2)
	v_mul_lo_u32 v5, v5, s16
	v_mul_lo_u32 v6, v6, s18
	s_delay_alu instid0(VALU_DEP_1) | instskip(NEXT) | instid1(VALU_DEP_1)
	v_sub_nc_u32_e32 v5, v5, v6
	v_cmp_lt_u32_e64 s0, s20, v5
	v_cmpx_ge_u32_e64 s20, v5
; %bb.12:
	v_add_nc_u32_e32 v5, s22, v21
	v_add_nc_u32_e32 v6, s38, v21
	s_delay_alu instid0(VALU_DEP_2) | instskip(NEXT) | instid1(VALU_DEP_2)
	v_mul_lo_u32 v5, v5, s21
	v_mul_lo_u32 v6, v6, s23
	s_delay_alu instid0(VALU_DEP_1) | instskip(NEXT) | instid1(VALU_DEP_1)
	v_sub_nc_u32_e32 v5, v5, v6
	v_cmp_lt_u32_e64 s1, s39, v5
	s_delay_alu instid0(VALU_DEP_1)
	s_and_b32 s42, s1, exec_lo
; %bb.13:
	s_or_b32 exec_lo, exec_lo, s3
	v_add_nc_u32_e32 v5, s17, v18
	v_add_nc_u32_e32 v6, s19, v18
	s_mov_b32 s44, 0
	s_mov_b32 s43, 0
	s_mov_b32 s4, exec_lo
	v_mul_lo_u32 v5, v5, s16
	v_mul_lo_u32 v6, v6, s18
	s_delay_alu instid0(VALU_DEP_1) | instskip(NEXT) | instid1(VALU_DEP_1)
	v_sub_nc_u32_e32 v5, v5, v6
	v_cmp_lt_u32_e64 s1, s20, v5
	v_cmpx_ge_u32_e64 s20, v5
; %bb.14:
	v_add_nc_u32_e32 v5, s22, v18
	v_add_nc_u32_e32 v6, s38, v18
	s_delay_alu instid0(VALU_DEP_2) | instskip(NEXT) | instid1(VALU_DEP_2)
	v_mul_lo_u32 v5, v5, s21
	v_mul_lo_u32 v6, v6, s23
	s_delay_alu instid0(VALU_DEP_1) | instskip(NEXT) | instid1(VALU_DEP_1)
	v_sub_nc_u32_e32 v5, v5, v6
	v_cmp_lt_u32_e64 s3, s39, v5
	s_delay_alu instid0(VALU_DEP_1)
	s_and_b32 s43, s3, exec_lo
; %bb.15:
	s_or_b32 exec_lo, exec_lo, s4
	v_add_nc_u32_e32 v5, s17, v19
	v_add_nc_u32_e32 v6, s19, v19
	s_mov_b32 s5, exec_lo
	s_delay_alu instid0(VALU_DEP_2) | instskip(NEXT) | instid1(VALU_DEP_2)
	v_mul_lo_u32 v5, v5, s16
	v_mul_lo_u32 v6, v6, s18
	s_delay_alu instid0(VALU_DEP_1) | instskip(NEXT) | instid1(VALU_DEP_1)
	v_sub_nc_u32_e32 v5, v5, v6
	v_cmp_lt_u32_e64 s3, s20, v5
	v_cmpx_ge_u32_e64 s20, v5
; %bb.16:
	v_add_nc_u32_e32 v5, s22, v19
	v_add_nc_u32_e32 v6, s38, v19
	s_delay_alu instid0(VALU_DEP_2) | instskip(NEXT) | instid1(VALU_DEP_2)
	v_mul_lo_u32 v5, v5, s21
	v_mul_lo_u32 v6, v6, s23
	s_delay_alu instid0(VALU_DEP_1) | instskip(NEXT) | instid1(VALU_DEP_1)
	v_sub_nc_u32_e32 v5, v5, v6
	v_cmp_lt_u32_e64 s4, s39, v5
	s_delay_alu instid0(VALU_DEP_1)
	s_and_b32 s44, s4, exec_lo
; %bb.17:
	s_or_b32 exec_lo, exec_lo, s5
	v_add_nc_u32_e32 v5, s17, v16
	v_add_nc_u32_e32 v6, s19, v16
	s_mov_b32 s46, 0
	s_mov_b32 s45, 0
	s_mov_b32 s6, exec_lo
	v_mul_lo_u32 v5, v5, s16
	v_mul_lo_u32 v6, v6, s18
	s_delay_alu instid0(VALU_DEP_1) | instskip(NEXT) | instid1(VALU_DEP_1)
	v_sub_nc_u32_e32 v5, v5, v6
	v_cmp_lt_u32_e64 s4, s20, v5
	;; [unrolled: 47-line block ×5, first 2 shown]
	v_cmpx_ge_u32_e64 s20, v5
; %bb.30:
	v_add_nc_u32_e32 v5, s22, v10
	v_add_nc_u32_e32 v6, s38, v10
	s_delay_alu instid0(VALU_DEP_2) | instskip(NEXT) | instid1(VALU_DEP_2)
	v_mul_lo_u32 v5, v5, s21
	v_mul_lo_u32 v6, v6, s23
	s_delay_alu instid0(VALU_DEP_1) | instskip(NEXT) | instid1(VALU_DEP_1)
	v_sub_nc_u32_e32 v5, v5, v6
	v_cmp_lt_u32_e64 s11, s39, v5
	s_delay_alu instid0(VALU_DEP_1)
	s_and_b32 s53, s11, exec_lo
; %bb.31:
	s_or_b32 exec_lo, exec_lo, s12
	v_add_nc_u32_e32 v5, s17, v11
	v_add_nc_u32_e32 v6, s19, v11
	s_mov_b32 s27, exec_lo
	s_delay_alu instid0(VALU_DEP_2) | instskip(NEXT) | instid1(VALU_DEP_2)
	v_mul_lo_u32 v5, v5, s16
	v_mul_lo_u32 v6, v6, s18
	s_delay_alu instid0(VALU_DEP_1) | instskip(NEXT) | instid1(VALU_DEP_1)
	v_sub_nc_u32_e32 v5, v5, v6
	v_cmp_lt_u32_e64 s11, s20, v5
	v_cmpx_ge_u32_e64 s20, v5
; %bb.32:
	v_add_nc_u32_e32 v5, s22, v11
	v_add_nc_u32_e32 v6, s38, v11
	s_delay_alu instid0(VALU_DEP_2) | instskip(NEXT) | instid1(VALU_DEP_2)
	v_mul_lo_u32 v5, v5, s21
	v_mul_lo_u32 v6, v6, s23
	s_delay_alu instid0(VALU_DEP_1) | instskip(NEXT) | instid1(VALU_DEP_1)
	v_sub_nc_u32_e32 v5, v5, v6
	v_cmp_lt_u32_e64 s12, s39, v5
	s_delay_alu instid0(VALU_DEP_1)
	s_and_b32 s52, s12, exec_lo
; %bb.33:
	s_or_b32 exec_lo, exec_lo, s27
	v_add_nc_u32_e32 v5, s17, v32
	v_add_nc_u32_e32 v6, s19, v32
	s_mov_b32 s27, -1
	s_mov_b32 s49, 0
	s_mov_b32 s33, 0
	v_mul_lo_u32 v5, v5, s16
	v_mul_lo_u32 v6, v6, s18
	s_mov_b32 s54, exec_lo
	s_delay_alu instid0(VALU_DEP_1) | instskip(NEXT) | instid1(VALU_DEP_1)
	v_sub_nc_u32_e32 v5, v5, v6
	v_cmpx_ge_u32_e64 s20, v5
; %bb.34:
	v_add_nc_u32_e32 v5, s22, v32
	v_add_nc_u32_e32 v6, s38, v32
	s_xor_b32 s27, exec_lo, -1
	s_delay_alu instid0(VALU_DEP_2) | instskip(NEXT) | instid1(VALU_DEP_2)
	v_mul_lo_u32 v5, v5, s21
	v_mul_lo_u32 v6, v6, s23
	s_delay_alu instid0(VALU_DEP_1) | instskip(NEXT) | instid1(VALU_DEP_1)
	v_sub_nc_u32_e32 v5, v5, v6
	v_cmp_lt_u32_e64 s12, s39, v5
	s_delay_alu instid0(VALU_DEP_1)
	s_and_b32 s33, s12, exec_lo
; %bb.35:
	s_or_b32 exec_lo, exec_lo, s54
	v_cndmask_b32_e64 v53, 0, 1, s53
	v_cndmask_b32_e64 v56, 0, 1, s11
	;; [unrolled: 1-line block ×22, first 2 shown]
	v_cndmask_b32_e64 v34, 0, 1, vcc_lo
	v_cndmask_b32_e64 v57, 0, 1, s52
	s_and_b32 vcc_lo, exec_lo, s49
	s_add_i32 s4, s40, 0xd00
	s_cbranch_vccnz .LBB1999_37
	s_branch .LBB1999_90
.LBB1999_36:
                                        ; implicit-def: $sgpr27
                                        ; implicit-def: $sgpr33
                                        ; implicit-def: $vgpr57
                                        ; implicit-def: $vgpr53
                                        ; implicit-def: $vgpr52
                                        ; implicit-def: $vgpr50
                                        ; implicit-def: $vgpr48
                                        ; implicit-def: $vgpr46
                                        ; implicit-def: $vgpr44
                                        ; implicit-def: $vgpr42
                                        ; implicit-def: $vgpr39
                                        ; implicit-def: $vgpr34
                                        ; implicit-def: $vgpr37
                                        ; implicit-def: $vgpr36
                                        ; implicit-def: $vgpr41
                                        ; implicit-def: $vgpr43
                                        ; implicit-def: $vgpr45
                                        ; implicit-def: $vgpr47
                                        ; implicit-def: $vgpr49
                                        ; implicit-def: $vgpr51
                                        ; implicit-def: $vgpr54
                                        ; implicit-def: $vgpr55
                                        ; implicit-def: $vgpr56
                                        ; implicit-def: $vgpr35
                                        ; implicit-def: $vgpr40
                                        ; implicit-def: $vgpr38
	s_add_i32 s4, s40, 0xd00
	s_cbranch_execz .LBB1999_90
.LBB1999_37:
	v_dual_mov_b32 v35, 0 :: v_dual_mov_b32 v34, 0
	s_mov_b32 s3, 0
	s_mov_b32 s1, exec_lo
	v_cmpx_gt_u32_e64 s4, v33
	s_cbranch_execz .LBB1999_41
; %bb.38:
	v_add_nc_u32_e32 v5, s17, v20
	v_add_nc_u32_e32 v6, s19, v20
	s_mov_b32 s5, exec_lo
	s_delay_alu instid0(VALU_DEP_2) | instskip(NEXT) | instid1(VALU_DEP_2)
	v_mul_lo_u32 v5, v5, s16
	v_mul_lo_u32 v6, v6, s18
	s_delay_alu instid0(VALU_DEP_1) | instskip(NEXT) | instid1(VALU_DEP_1)
	v_sub_nc_u32_e32 v5, v5, v6
	v_cmp_lt_u32_e32 vcc_lo, s20, v5
	v_cmpx_ge_u32_e64 s20, v5
; %bb.39:
	v_add_nc_u32_e32 v5, s22, v20
	v_add_nc_u32_e32 v6, s38, v20
	s_delay_alu instid0(VALU_DEP_2) | instskip(NEXT) | instid1(VALU_DEP_2)
	v_mul_lo_u32 v5, v5, s21
	v_mul_lo_u32 v6, v6, s23
	s_delay_alu instid0(VALU_DEP_1) | instskip(NEXT) | instid1(VALU_DEP_1)
	v_sub_nc_u32_e32 v5, v5, v6
	v_cmp_lt_u32_e64 s0, s39, v5
	s_delay_alu instid0(VALU_DEP_1)
	s_and_b32 s3, s0, exec_lo
; %bb.40:
	s_or_b32 exec_lo, exec_lo, s5
	v_cndmask_b32_e64 v34, 0, 1, vcc_lo
	v_cndmask_b32_e64 v35, 0, 1, s3
.LBB1999_41:
	s_or_b32 exec_lo, exec_lo, s1
	v_dual_mov_b32 v40, 0 :: v_dual_add_nc_u32 v5, 1, v33
	v_mov_b32_e32 v37, 0
	s_mov_b32 s3, 0
	s_mov_b32 s1, exec_lo
	s_delay_alu instid0(VALU_DEP_2)
	v_cmpx_gt_u32_e64 s4, v5
	s_cbranch_execz .LBB1999_45
; %bb.42:
	v_add_nc_u32_e32 v5, s17, v21
	v_add_nc_u32_e32 v6, s19, v21
	s_mov_b32 s5, exec_lo
	s_delay_alu instid0(VALU_DEP_2) | instskip(NEXT) | instid1(VALU_DEP_2)
	v_mul_lo_u32 v5, v5, s16
	v_mul_lo_u32 v6, v6, s18
	s_delay_alu instid0(VALU_DEP_1) | instskip(NEXT) | instid1(VALU_DEP_1)
	v_sub_nc_u32_e32 v5, v5, v6
	v_cmp_lt_u32_e32 vcc_lo, s20, v5
	v_cmpx_ge_u32_e64 s20, v5
; %bb.43:
	v_add_nc_u32_e32 v5, s22, v21
	v_add_nc_u32_e32 v6, s38, v21
	s_delay_alu instid0(VALU_DEP_2) | instskip(NEXT) | instid1(VALU_DEP_2)
	v_mul_lo_u32 v5, v5, s21
	v_mul_lo_u32 v6, v6, s23
	s_delay_alu instid0(VALU_DEP_1) | instskip(NEXT) | instid1(VALU_DEP_1)
	v_sub_nc_u32_e32 v5, v5, v6
	v_cmp_lt_u32_e64 s0, s39, v5
	s_delay_alu instid0(VALU_DEP_1)
	s_and_b32 s3, s0, exec_lo
; %bb.44:
	s_or_b32 exec_lo, exec_lo, s5
	v_cndmask_b32_e64 v37, 0, 1, vcc_lo
	v_cndmask_b32_e64 v40, 0, 1, s3
.LBB1999_45:
	s_or_b32 exec_lo, exec_lo, s1
	v_dual_mov_b32 v36, 0 :: v_dual_add_nc_u32 v5, 2, v33
	v_mov_b32_e32 v38, 0
	s_mov_b32 s3, 0
	s_mov_b32 s1, exec_lo
	s_delay_alu instid0(VALU_DEP_2)
	v_cmpx_gt_u32_e64 s4, v5
	s_cbranch_execz .LBB1999_49
; %bb.46:
	v_add_nc_u32_e32 v5, s17, v18
	v_add_nc_u32_e32 v6, s19, v18
	s_mov_b32 s5, exec_lo
	s_delay_alu instid0(VALU_DEP_2) | instskip(NEXT) | instid1(VALU_DEP_2)
	v_mul_lo_u32 v5, v5, s16
	v_mul_lo_u32 v6, v6, s18
	s_delay_alu instid0(VALU_DEP_1) | instskip(NEXT) | instid1(VALU_DEP_1)
	v_sub_nc_u32_e32 v5, v5, v6
	v_cmp_lt_u32_e32 vcc_lo, s20, v5
	v_cmpx_ge_u32_e64 s20, v5
; %bb.47:
	v_add_nc_u32_e32 v5, s22, v18
	v_add_nc_u32_e32 v6, s38, v18
	s_delay_alu instid0(VALU_DEP_2) | instskip(NEXT) | instid1(VALU_DEP_2)
	v_mul_lo_u32 v5, v5, s21
	v_mul_lo_u32 v6, v6, s23
	s_delay_alu instid0(VALU_DEP_1) | instskip(NEXT) | instid1(VALU_DEP_1)
	v_sub_nc_u32_e32 v5, v5, v6
	v_cmp_lt_u32_e64 s0, s39, v5
	s_delay_alu instid0(VALU_DEP_1)
	s_and_b32 s3, s0, exec_lo
; %bb.48:
	s_or_b32 exec_lo, exec_lo, s5
	v_cndmask_b32_e64 v36, 0, 1, vcc_lo
	v_cndmask_b32_e64 v38, 0, 1, s3
.LBB1999_49:
	s_or_b32 exec_lo, exec_lo, s1
	v_add_nc_u32_e32 v5, 3, v33
	v_mov_b32_e32 v39, 0
	v_mov_b32_e32 v41, 0
	s_mov_b32 s3, 0
	s_mov_b32 s1, exec_lo
	v_cmpx_gt_u32_e64 s4, v5
	s_cbranch_execz .LBB1999_53
; %bb.50:
	v_add_nc_u32_e32 v5, s17, v19
	v_add_nc_u32_e32 v6, s19, v19
	s_mov_b32 s5, exec_lo
	s_delay_alu instid0(VALU_DEP_2) | instskip(NEXT) | instid1(VALU_DEP_2)
	v_mul_lo_u32 v5, v5, s16
	v_mul_lo_u32 v6, v6, s18
	s_delay_alu instid0(VALU_DEP_1) | instskip(NEXT) | instid1(VALU_DEP_1)
	v_sub_nc_u32_e32 v5, v5, v6
	v_cmp_lt_u32_e32 vcc_lo, s20, v5
	v_cmpx_ge_u32_e64 s20, v5
; %bb.51:
	v_add_nc_u32_e32 v5, s22, v19
	v_add_nc_u32_e32 v6, s38, v19
	s_delay_alu instid0(VALU_DEP_2) | instskip(NEXT) | instid1(VALU_DEP_2)
	v_mul_lo_u32 v5, v5, s21
	v_mul_lo_u32 v6, v6, s23
	s_delay_alu instid0(VALU_DEP_1) | instskip(NEXT) | instid1(VALU_DEP_1)
	v_sub_nc_u32_e32 v5, v5, v6
	v_cmp_lt_u32_e64 s0, s39, v5
	s_delay_alu instid0(VALU_DEP_1)
	s_and_b32 s3, s0, exec_lo
; %bb.52:
	s_or_b32 exec_lo, exec_lo, s5
	v_cndmask_b32_e64 v41, 0, 1, vcc_lo
	v_cndmask_b32_e64 v39, 0, 1, s3
.LBB1999_53:
	s_or_b32 exec_lo, exec_lo, s1
	v_dual_mov_b32 v42, 0 :: v_dual_add_nc_u32 v5, 4, v33
	v_mov_b32_e32 v43, 0
	s_mov_b32 s3, 0
	s_mov_b32 s1, exec_lo
	s_delay_alu instid0(VALU_DEP_2)
	v_cmpx_gt_u32_e64 s4, v5
	s_cbranch_execz .LBB1999_57
; %bb.54:
	v_add_nc_u32_e32 v5, s17, v16
	v_add_nc_u32_e32 v6, s19, v16
	s_mov_b32 s5, exec_lo
	s_delay_alu instid0(VALU_DEP_2) | instskip(NEXT) | instid1(VALU_DEP_2)
	v_mul_lo_u32 v5, v5, s16
	v_mul_lo_u32 v6, v6, s18
	s_delay_alu instid0(VALU_DEP_1) | instskip(NEXT) | instid1(VALU_DEP_1)
	v_sub_nc_u32_e32 v5, v5, v6
	v_cmp_lt_u32_e32 vcc_lo, s20, v5
	v_cmpx_ge_u32_e64 s20, v5
; %bb.55:
	v_add_nc_u32_e32 v5, s22, v16
	v_add_nc_u32_e32 v6, s38, v16
	s_delay_alu instid0(VALU_DEP_2) | instskip(NEXT) | instid1(VALU_DEP_2)
	v_mul_lo_u32 v5, v5, s21
	v_mul_lo_u32 v6, v6, s23
	s_delay_alu instid0(VALU_DEP_1) | instskip(NEXT) | instid1(VALU_DEP_1)
	v_sub_nc_u32_e32 v5, v5, v6
	v_cmp_lt_u32_e64 s0, s39, v5
	s_delay_alu instid0(VALU_DEP_1)
	s_and_b32 s3, s0, exec_lo
; %bb.56:
	s_or_b32 exec_lo, exec_lo, s5
	v_cndmask_b32_e64 v43, 0, 1, vcc_lo
	v_cndmask_b32_e64 v42, 0, 1, s3
.LBB1999_57:
	s_or_b32 exec_lo, exec_lo, s1
	v_dual_mov_b32 v44, 0 :: v_dual_add_nc_u32 v5, 5, v33
	v_mov_b32_e32 v45, 0
	s_mov_b32 s3, 0
	s_mov_b32 s1, exec_lo
	s_delay_alu instid0(VALU_DEP_2)
	;; [unrolled: 35-line block ×6, first 2 shown]
	v_cmpx_gt_u32_e64 s4, v5
	s_cbranch_execz .LBB1999_77
; %bb.74:
	v_add_nc_u32_e32 v5, s17, v13
	v_add_nc_u32_e32 v6, s19, v13
	s_mov_b32 s5, exec_lo
	s_delay_alu instid0(VALU_DEP_2) | instskip(NEXT) | instid1(VALU_DEP_2)
	v_mul_lo_u32 v5, v5, s16
	v_mul_lo_u32 v6, v6, s18
	s_delay_alu instid0(VALU_DEP_1) | instskip(NEXT) | instid1(VALU_DEP_1)
	v_sub_nc_u32_e32 v5, v5, v6
	v_cmp_lt_u32_e32 vcc_lo, s20, v5
	v_cmpx_ge_u32_e64 s20, v5
; %bb.75:
	v_add_nc_u32_e32 v5, s22, v13
	v_add_nc_u32_e32 v6, s38, v13
	s_delay_alu instid0(VALU_DEP_2) | instskip(NEXT) | instid1(VALU_DEP_2)
	v_mul_lo_u32 v5, v5, s21
	v_mul_lo_u32 v6, v6, s23
	s_delay_alu instid0(VALU_DEP_1) | instskip(NEXT) | instid1(VALU_DEP_1)
	v_sub_nc_u32_e32 v5, v5, v6
	v_cmp_lt_u32_e64 s0, s39, v5
	s_delay_alu instid0(VALU_DEP_1)
	s_and_b32 s3, s0, exec_lo
; %bb.76:
	s_or_b32 exec_lo, exec_lo, s5
	v_cndmask_b32_e64 v54, 0, 1, vcc_lo
	v_cndmask_b32_e64 v52, 0, 1, s3
.LBB1999_77:
	s_or_b32 exec_lo, exec_lo, s1
	v_add_nc_u32_e32 v5, 10, v33
	v_mov_b32_e32 v53, 0
	v_mov_b32_e32 v55, 0
	s_mov_b32 s3, 0
	s_mov_b32 s1, exec_lo
	v_cmpx_gt_u32_e64 s4, v5
	s_cbranch_execz .LBB1999_81
; %bb.78:
	v_add_nc_u32_e32 v5, s17, v10
	v_add_nc_u32_e32 v6, s19, v10
	s_mov_b32 s5, exec_lo
	s_delay_alu instid0(VALU_DEP_2) | instskip(NEXT) | instid1(VALU_DEP_2)
	v_mul_lo_u32 v5, v5, s16
	v_mul_lo_u32 v6, v6, s18
	s_delay_alu instid0(VALU_DEP_1) | instskip(NEXT) | instid1(VALU_DEP_1)
	v_sub_nc_u32_e32 v5, v5, v6
	v_cmp_lt_u32_e32 vcc_lo, s20, v5
	v_cmpx_ge_u32_e64 s20, v5
; %bb.79:
	v_add_nc_u32_e32 v5, s22, v10
	v_add_nc_u32_e32 v6, s38, v10
	s_delay_alu instid0(VALU_DEP_2) | instskip(NEXT) | instid1(VALU_DEP_2)
	v_mul_lo_u32 v5, v5, s21
	v_mul_lo_u32 v6, v6, s23
	s_delay_alu instid0(VALU_DEP_1) | instskip(NEXT) | instid1(VALU_DEP_1)
	v_sub_nc_u32_e32 v5, v5, v6
	v_cmp_lt_u32_e64 s0, s39, v5
	s_delay_alu instid0(VALU_DEP_1)
	s_and_b32 s3, s0, exec_lo
; %bb.80:
	s_or_b32 exec_lo, exec_lo, s5
	v_cndmask_b32_e64 v55, 0, 1, vcc_lo
	v_cndmask_b32_e64 v53, 0, 1, s3
.LBB1999_81:
	s_or_b32 exec_lo, exec_lo, s1
	v_dual_mov_b32 v56, 0 :: v_dual_add_nc_u32 v5, 11, v33
	v_mov_b32_e32 v57, 0
	s_mov_b32 s3, 0
	s_mov_b32 s1, exec_lo
	s_delay_alu instid0(VALU_DEP_2)
	v_cmpx_gt_u32_e64 s4, v5
	s_cbranch_execz .LBB1999_85
; %bb.82:
	v_add_nc_u32_e32 v5, s17, v11
	v_add_nc_u32_e32 v6, s19, v11
	s_mov_b32 s5, exec_lo
	s_delay_alu instid0(VALU_DEP_2) | instskip(NEXT) | instid1(VALU_DEP_2)
	v_mul_lo_u32 v5, v5, s16
	v_mul_lo_u32 v6, v6, s18
	s_delay_alu instid0(VALU_DEP_1) | instskip(NEXT) | instid1(VALU_DEP_1)
	v_sub_nc_u32_e32 v5, v5, v6
	v_cmp_lt_u32_e32 vcc_lo, s20, v5
	v_cmpx_ge_u32_e64 s20, v5
; %bb.83:
	v_add_nc_u32_e32 v5, s22, v11
	v_add_nc_u32_e32 v6, s38, v11
	s_delay_alu instid0(VALU_DEP_2) | instskip(NEXT) | instid1(VALU_DEP_2)
	v_mul_lo_u32 v5, v5, s21
	v_mul_lo_u32 v6, v6, s23
	s_delay_alu instid0(VALU_DEP_1) | instskip(NEXT) | instid1(VALU_DEP_1)
	v_sub_nc_u32_e32 v5, v5, v6
	v_cmp_lt_u32_e64 s0, s39, v5
	s_delay_alu instid0(VALU_DEP_1)
	s_and_b32 s3, s0, exec_lo
; %bb.84:
	s_or_b32 exec_lo, exec_lo, s5
	v_cndmask_b32_e64 v56, 0, 1, vcc_lo
	v_cndmask_b32_e64 v57, 0, 1, s3
.LBB1999_85:
	s_or_b32 exec_lo, exec_lo, s1
	v_add_nc_u32_e32 v5, 12, v33
	s_mov_b32 s27, 0
	s_mov_b32 s33, 0
	s_mov_b32 s0, exec_lo
	s_delay_alu instid0(VALU_DEP_1)
	v_cmpx_gt_u32_e64 s4, v5
	s_cbranch_execz .LBB1999_89
; %bb.86:
	v_add_nc_u32_e32 v5, s17, v32
	v_add_nc_u32_e32 v6, s19, v32
	s_mov_b32 s3, -1
	s_mov_b32 s5, 0
	s_mov_b32 s1, exec_lo
	v_mul_lo_u32 v5, v5, s16
	v_mul_lo_u32 v6, v6, s18
	s_delay_alu instid0(VALU_DEP_1) | instskip(NEXT) | instid1(VALU_DEP_1)
	v_sub_nc_u32_e32 v5, v5, v6
	v_cmpx_ge_u32_e64 s20, v5
; %bb.87:
	v_add_nc_u32_e32 v5, s22, v32
	v_add_nc_u32_e32 v6, s38, v32
	s_xor_b32 s3, exec_lo, -1
	s_delay_alu instid0(VALU_DEP_2) | instskip(NEXT) | instid1(VALU_DEP_2)
	v_mul_lo_u32 v5, v5, s21
	v_mul_lo_u32 v6, v6, s23
	s_delay_alu instid0(VALU_DEP_1) | instskip(NEXT) | instid1(VALU_DEP_1)
	v_sub_nc_u32_e32 v5, v5, v6
	v_cmp_lt_u32_e32 vcc_lo, s39, v5
	s_and_b32 s5, vcc_lo, exec_lo
; %bb.88:
	s_or_b32 exec_lo, exec_lo, s1
	s_delay_alu instid0(SALU_CYCLE_1)
	s_and_b32 s33, s5, exec_lo
	s_and_b32 s27, s3, exec_lo
.LBB1999_89:
	s_or_b32 exec_lo, exec_lo, s0
.LBB1999_90:
	v_and_b32_e32 v80, 0xff, v34
	v_and_b32_e32 v81, 0xff, v35
	;; [unrolled: 1-line block ×10, first 2 shown]
	v_add3_u32 v5, v76, v78, v80
	v_add3_u32 v6, v77, v79, v81
	v_and_b32_e32 v70, 0xff, v45
	v_and_b32_e32 v71, 0xff, v44
	v_and_b32_e32 v64, 0xff, v47
	v_and_b32_e32 v65, 0xff, v46
	v_add3_u32 v5, v5, v74, v72
	v_add3_u32 v6, v6, v75, v73
	v_and_b32_e32 v68, 0xff, v49
	v_and_b32_e32 v69, 0xff, v48
	v_and_b32_e32 v66, 0xff, v51
	v_and_b32_e32 v67, 0xff, v50
	;; [unrolled: 6-line block ×3, first 2 shown]
	v_add3_u32 v5, v5, v68, v66
	v_add3_u32 v6, v6, v69, v67
	v_mbcnt_lo_u32_b32 v82, -1, 0
	v_and_b32_e32 v58, 0xff, v56
	v_and_b32_e32 v59, 0xff, v57
	v_cndmask_b32_e64 v7, 0, 1, s33
	v_add3_u32 v5, v5, v61, v60
	v_cndmask_b32_e64 v8, 0, 1, s27
	v_add3_u32 v6, v6, v62, v63
	v_and_b32_e32 v86, 15, v82
	v_and_b32_e32 v85, 16, v82
	v_lshrrev_b32_e32 v83, 5, v0
	v_add3_u32 v87, v5, v58, v8
	v_add3_u32 v88, v6, v59, v7
	v_cmp_eq_u32_e64 s1, 0, v86
	v_cmp_lt_u32_e64 s0, 1, v86
	v_cmp_lt_u32_e64 s3, 3, v86
	v_cmp_lt_u32_e32 vcc_lo, 7, v86
	v_or_b32_e32 v84, 31, v0
	s_cmp_lg_u32 s26, 0
	s_mov_b32 s5, -1
	s_cbranch_scc0 .LBB1999_123
; %bb.91:
	v_mov_b32_dpp v5, v88 row_shr:1 row_mask:0xf bank_mask:0xf
	v_mov_b32_dpp v6, v87 row_shr:1 row_mask:0xf bank_mask:0xf
	s_delay_alu instid0(VALU_DEP_2) | instskip(NEXT) | instid1(VALU_DEP_2)
	v_add_nc_u32_e32 v5, v5, v88
	v_add_nc_u32_e32 v6, v6, v87
	s_delay_alu instid0(VALU_DEP_2) | instskip(NEXT) | instid1(VALU_DEP_2)
	v_cndmask_b32_e64 v5, v5, v88, s1
	v_cndmask_b32_e64 v6, v6, v87, s1
	s_delay_alu instid0(VALU_DEP_2) | instskip(NEXT) | instid1(VALU_DEP_2)
	v_mov_b32_dpp v7, v5 row_shr:2 row_mask:0xf bank_mask:0xf
	v_mov_b32_dpp v8, v6 row_shr:2 row_mask:0xf bank_mask:0xf
	s_delay_alu instid0(VALU_DEP_2) | instskip(NEXT) | instid1(VALU_DEP_1)
	v_add_nc_u32_e32 v7, v5, v7
	v_cndmask_b32_e64 v5, v5, v7, s0
	s_delay_alu instid0(VALU_DEP_1) | instskip(NEXT) | instid1(VALU_DEP_1)
	v_mov_b32_dpp v7, v5 row_shr:4 row_mask:0xf bank_mask:0xf
	v_add_nc_u32_e32 v7, v5, v7
	s_delay_alu instid0(VALU_DEP_1) | instskip(NEXT) | instid1(VALU_DEP_1)
	v_cndmask_b32_e64 v5, v5, v7, s3
	v_mov_b32_dpp v7, v5 row_shr:8 row_mask:0xf bank_mask:0xf
	s_delay_alu instid0(VALU_DEP_1) | instskip(NEXT) | instid1(VALU_DEP_1)
	v_add_nc_u32_e32 v7, v5, v7
	v_dual_cndmask_b32 v5, v5, v7 :: v_dual_add_nc_u32 v8, v6, v8
	s_delay_alu instid0(VALU_DEP_1) | instskip(NEXT) | instid1(VALU_DEP_1)
	v_cndmask_b32_e64 v6, v6, v8, s0
	v_mov_b32_dpp v8, v6 row_shr:4 row_mask:0xf bank_mask:0xf
	s_delay_alu instid0(VALU_DEP_1) | instskip(NEXT) | instid1(VALU_DEP_1)
	v_add_nc_u32_e32 v8, v6, v8
	v_cndmask_b32_e64 v6, v6, v8, s3
	s_mov_b32 s3, exec_lo
	s_delay_alu instid0(VALU_DEP_1) | instskip(NEXT) | instid1(VALU_DEP_1)
	v_mov_b32_dpp v8, v6 row_shr:8 row_mask:0xf bank_mask:0xf
	v_add_nc_u32_e32 v8, v6, v8
	s_delay_alu instid0(VALU_DEP_1)
	v_cndmask_b32_e32 v7, v6, v8, vcc_lo
	ds_swizzle_b32 v6, v5 offset:swizzle(BROADCAST,32,15)
	v_cmp_eq_u32_e32 vcc_lo, 0, v85
	s_waitcnt lgkmcnt(0)
	v_add_nc_u32_e32 v6, v5, v6
	ds_swizzle_b32 v8, v7 offset:swizzle(BROADCAST,32,15)
	v_cndmask_b32_e32 v6, v6, v5, vcc_lo
	s_waitcnt lgkmcnt(0)
	v_add_nc_u32_e32 v8, v7, v8
	s_delay_alu instid0(VALU_DEP_1)
	v_cndmask_b32_e32 v5, v8, v7, vcc_lo
	v_cmpx_eq_u32_e64 v84, v0
	s_cbranch_execz .LBB1999_93
; %bb.92:
	v_lshlrev_b32_e32 v7, 3, v83
	ds_store_b64 v7, v[5:6]
.LBB1999_93:
	s_or_b32 exec_lo, exec_lo, s3
	s_delay_alu instid0(SALU_CYCLE_1)
	s_mov_b32 s3, exec_lo
	s_waitcnt lgkmcnt(0)
	s_barrier
	buffer_gl0_inv
	v_cmpx_gt_u32_e32 8, v0
	s_cbranch_execz .LBB1999_95
; %bb.94:
	v_lshlrev_b32_e32 v9, 3, v0
	ds_load_b64 v[7:8], v9
	s_waitcnt lgkmcnt(0)
	v_mov_b32_dpp v22, v7 row_shr:1 row_mask:0xf bank_mask:0xf
	v_mov_b32_dpp v23, v8 row_shr:1 row_mask:0xf bank_mask:0xf
	s_delay_alu instid0(VALU_DEP_2) | instskip(SKIP_1) | instid1(VALU_DEP_3)
	v_add_nc_u32_e32 v22, v22, v7
	v_and_b32_e32 v24, 7, v82
	v_add_nc_u32_e32 v23, v23, v8
	s_delay_alu instid0(VALU_DEP_2) | instskip(NEXT) | instid1(VALU_DEP_2)
	v_cmp_eq_u32_e32 vcc_lo, 0, v24
	v_dual_cndmask_b32 v8, v23, v8 :: v_dual_cndmask_b32 v7, v22, v7
	v_cmp_lt_u32_e32 vcc_lo, 1, v24
	s_delay_alu instid0(VALU_DEP_2) | instskip(NEXT) | instid1(VALU_DEP_3)
	v_mov_b32_dpp v23, v8 row_shr:2 row_mask:0xf bank_mask:0xf
	v_mov_b32_dpp v22, v7 row_shr:2 row_mask:0xf bank_mask:0xf
	s_delay_alu instid0(VALU_DEP_2) | instskip(NEXT) | instid1(VALU_DEP_2)
	v_add_nc_u32_e32 v23, v8, v23
	v_add_nc_u32_e32 v22, v7, v22
	s_delay_alu instid0(VALU_DEP_1) | instskip(SKIP_1) | instid1(VALU_DEP_2)
	v_dual_cndmask_b32 v8, v8, v23 :: v_dual_cndmask_b32 v7, v7, v22
	v_cmp_lt_u32_e32 vcc_lo, 3, v24
	v_mov_b32_dpp v23, v8 row_shr:4 row_mask:0xf bank_mask:0xf
	s_delay_alu instid0(VALU_DEP_3) | instskip(NEXT) | instid1(VALU_DEP_1)
	v_mov_b32_dpp v22, v7 row_shr:4 row_mask:0xf bank_mask:0xf
	v_dual_cndmask_b32 v23, 0, v23 :: v_dual_cndmask_b32 v22, 0, v22
	s_delay_alu instid0(VALU_DEP_1) | instskip(NEXT) | instid1(VALU_DEP_2)
	v_add_nc_u32_e32 v8, v23, v8
	v_add_nc_u32_e32 v7, v22, v7
	ds_store_b64 v9, v[7:8]
.LBB1999_95:
	s_or_b32 exec_lo, exec_lo, s3
	v_cmp_gt_u32_e32 vcc_lo, 32, v0
	v_cmp_lt_u32_e64 s3, 31, v0
	s_waitcnt lgkmcnt(0)
	s_barrier
	buffer_gl0_inv
                                        ; implicit-def: $vgpr23
	s_and_saveexec_b32 s5, s3
	s_delay_alu instid0(SALU_CYCLE_1)
	s_xor_b32 s3, exec_lo, s5
	s_cbranch_execz .LBB1999_97
; %bb.96:
	v_lshl_add_u32 v7, v83, 3, -8
	ds_load_b64 v[22:23], v7
	s_waitcnt lgkmcnt(0)
	v_add_nc_u32_e32 v6, v23, v6
	v_add_nc_u32_e32 v5, v22, v5
.LBB1999_97:
	s_and_not1_saveexec_b32 s3, s3
; %bb.98:
                                        ; implicit-def: $vgpr22
; %bb.99:
	s_delay_alu instid0(SALU_CYCLE_1) | instskip(SKIP_1) | instid1(VALU_DEP_1)
	s_or_b32 exec_lo, exec_lo, s3
	v_add_nc_u32_e32 v7, -1, v82
	v_cmp_gt_i32_e64 s3, 0, v7
	s_delay_alu instid0(VALU_DEP_1) | instskip(SKIP_1) | instid1(VALU_DEP_2)
	v_cndmask_b32_e64 v7, v7, v82, s3
	v_cmp_eq_u32_e64 s3, 0, v82
	v_lshlrev_b32_e32 v7, 2, v7
	ds_bpermute_b32 v89, v7, v5
	ds_bpermute_b32 v90, v7, v6
	s_and_saveexec_b32 s5, vcc_lo
	s_cbranch_execz .LBB1999_122
; %bb.100:
	v_mov_b32_e32 v8, 0
	ds_load_b64 v[5:6], v8 offset:56
	s_waitcnt lgkmcnt(0)
	v_readfirstlane_b32 s6, v6
	s_and_saveexec_b32 s7, s3
	s_cbranch_execz .LBB1999_102
; %bb.101:
	s_add_i32 s8, s26, 32
	s_mov_b32 s9, 0
	v_mov_b32_e32 v7, 1
	s_lshl_b64 s[10:11], s[8:9], 4
	s_mov_b32 s16, s9
	s_add_u32 s10, s36, s10
	s_addc_u32 s11, s37, s11
	s_and_b32 s17, s6, 0xff000000
	s_and_b32 s19, s6, 0xff0000
	s_mov_b32 s18, s9
	v_dual_mov_b32 v25, s11 :: v_dual_mov_b32 v24, s10
	s_or_b64 s[16:17], s[18:19], s[16:17]
	s_and_b32 s19, s6, 0xff00
	s_delay_alu instid0(SALU_CYCLE_1) | instskip(SKIP_1) | instid1(SALU_CYCLE_1)
	s_or_b64 s[16:17], s[16:17], s[18:19]
	s_and_b32 s19, s6, 0xff
	s_or_b64 s[8:9], s[16:17], s[18:19]
	s_delay_alu instid0(SALU_CYCLE_1)
	v_mov_b32_e32 v6, s9
	;;#ASMSTART
	global_store_dwordx4 v[24:25], v[5:8] off	
s_waitcnt vmcnt(0)
	;;#ASMEND
.LBB1999_102:
	s_or_b32 exec_lo, exec_lo, s7
	v_xad_u32 v24, v82, -1, s26
	s_mov_b32 s8, 0
	s_mov_b32 s7, exec_lo
	s_delay_alu instid0(VALU_DEP_1) | instskip(NEXT) | instid1(VALU_DEP_1)
	v_add_nc_u32_e32 v7, 32, v24
	v_lshlrev_b64 v[6:7], 4, v[7:8]
	s_delay_alu instid0(VALU_DEP_1) | instskip(NEXT) | instid1(VALU_DEP_2)
	v_add_co_u32 v25, vcc_lo, s36, v6
	v_add_co_ci_u32_e32 v26, vcc_lo, s37, v7, vcc_lo
	;;#ASMSTART
	global_load_dwordx4 v[6:9], v[25:26] off glc	
s_waitcnt vmcnt(0)
	;;#ASMEND
	v_and_b32_e32 v9, 0xff, v7
	v_and_b32_e32 v27, 0xff00, v7
	v_or3_b32 v6, v6, 0, 0
	v_and_b32_e32 v28, 0xff000000, v7
	v_and_b32_e32 v7, 0xff0000, v7
	s_delay_alu instid0(VALU_DEP_4) | instskip(SKIP_2) | instid1(VALU_DEP_3)
	v_or3_b32 v9, 0, v9, v27
	v_and_b32_e32 v27, 0xff, v8
	v_or3_b32 v6, v6, 0, 0
	v_or3_b32 v7, v9, v7, v28
	s_delay_alu instid0(VALU_DEP_3)
	v_cmpx_eq_u16_e32 0, v27
	s_cbranch_execz .LBB1999_108
; %bb.103:
	s_mov_b32 s9, 1
	.p2align	6
.LBB1999_104:                           ; =>This Loop Header: Depth=1
                                        ;     Child Loop BB1999_105 Depth 2
	s_delay_alu instid0(SALU_CYCLE_1)
	s_max_u32 s10, s9, 1
.LBB1999_105:                           ;   Parent Loop BB1999_104 Depth=1
                                        ; =>  This Inner Loop Header: Depth=2
	s_delay_alu instid0(SALU_CYCLE_1)
	s_add_i32 s10, s10, -1
	s_sleep 1
	s_cmp_eq_u32 s10, 0
	s_cbranch_scc0 .LBB1999_105
; %bb.106:                              ;   in Loop: Header=BB1999_104 Depth=1
	;;#ASMSTART
	global_load_dwordx4 v[6:9], v[25:26] off glc	
s_waitcnt vmcnt(0)
	;;#ASMEND
	v_and_b32_e32 v9, 0xff, v8
	s_cmp_lt_u32 s9, 32
	s_cselect_b32 s10, -1, 0
	s_delay_alu instid0(SALU_CYCLE_1) | instskip(NEXT) | instid1(VALU_DEP_1)
	s_cmp_lg_u32 s10, 0
	v_cmp_ne_u16_e32 vcc_lo, 0, v9
	s_addc_u32 s9, s9, 0
	s_or_b32 s8, vcc_lo, s8
	s_delay_alu instid0(SALU_CYCLE_1)
	s_and_not1_b32 exec_lo, exec_lo, s8
	s_cbranch_execnz .LBB1999_104
; %bb.107:
	s_or_b32 exec_lo, exec_lo, s8
.LBB1999_108:
	s_delay_alu instid0(SALU_CYCLE_1) | instskip(SKIP_3) | instid1(VALU_DEP_1)
	s_or_b32 exec_lo, exec_lo, s7
	v_cmp_ne_u32_e32 vcc_lo, 31, v82
	v_lshlrev_b32_e64 v92, v82, -1
	v_add_co_ci_u32_e32 v9, vcc_lo, 0, v82, vcc_lo
	v_lshlrev_b32_e32 v91, 2, v9
	ds_bpermute_b32 v25, v91, v7
	ds_bpermute_b32 v9, v91, v6
	s_waitcnt lgkmcnt(1)
	v_add_nc_u32_e32 v25, v25, v7
	v_and_b32_e32 v26, 0xff, v8
	s_waitcnt lgkmcnt(0)
	v_add_nc_u32_e32 v9, v9, v6
	s_delay_alu instid0(VALU_DEP_2) | instskip(SKIP_2) | instid1(VALU_DEP_2)
	v_cmp_eq_u16_e32 vcc_lo, 2, v26
	v_and_or_b32 v26, vcc_lo, v92, 0x80000000
	v_cmp_gt_u32_e32 vcc_lo, 30, v82
	v_ctz_i32_b32_e32 v26, v26
	v_cndmask_b32_e64 v27, 0, 1, vcc_lo
	s_delay_alu instid0(VALU_DEP_2) | instskip(NEXT) | instid1(VALU_DEP_2)
	v_cmp_lt_u32_e32 vcc_lo, v82, v26
	v_dual_cndmask_b32 v6, v6, v9 :: v_dual_lshlrev_b32 v27, 1, v27
	s_delay_alu instid0(VALU_DEP_1)
	v_add_lshl_u32 v93, v27, v82, 2
	v_cndmask_b32_e32 v7, v7, v25, vcc_lo
	v_cmp_gt_u32_e32 vcc_lo, 28, v82
	ds_bpermute_b32 v9, v93, v6
	ds_bpermute_b32 v25, v93, v7
	v_cndmask_b32_e64 v27, 0, 1, vcc_lo
	s_waitcnt lgkmcnt(1)
	v_add_nc_u32_e32 v9, v6, v9
	s_waitcnt lgkmcnt(0)
	v_add_nc_u32_e32 v25, v7, v25
	v_add_nc_u32_e32 v94, 2, v82
	s_delay_alu instid0(VALU_DEP_1) | instskip(NEXT) | instid1(VALU_DEP_3)
	v_cmp_gt_u32_e32 vcc_lo, v94, v26
	v_cndmask_b32_e32 v7, v25, v7, vcc_lo
	v_dual_cndmask_b32 v6, v9, v6 :: v_dual_lshlrev_b32 v27, 2, v27
	v_cmp_gt_u32_e32 vcc_lo, 24, v82
	s_delay_alu instid0(VALU_DEP_2) | instskip(SKIP_4) | instid1(VALU_DEP_1)
	v_add_lshl_u32 v95, v27, v82, 2
	v_cndmask_b32_e64 v27, 0, 1, vcc_lo
	ds_bpermute_b32 v25, v95, v7
	ds_bpermute_b32 v9, v95, v6
	v_lshlrev_b32_e32 v27, 3, v27
	v_add_lshl_u32 v97, v27, v82, 2
	s_waitcnt lgkmcnt(1)
	v_add_nc_u32_e32 v25, v7, v25
	v_add_nc_u32_e32 v96, 4, v82
	s_waitcnt lgkmcnt(0)
	v_add_nc_u32_e32 v9, v6, v9
	s_delay_alu instid0(VALU_DEP_2) | instskip(SKIP_1) | instid1(VALU_DEP_3)
	v_cmp_gt_u32_e32 vcc_lo, v96, v26
	v_cndmask_b32_e32 v7, v25, v7, vcc_lo
	v_cndmask_b32_e32 v6, v9, v6, vcc_lo
	v_cmp_gt_u32_e32 vcc_lo, 16, v82
	ds_bpermute_b32 v25, v97, v7
	ds_bpermute_b32 v9, v97, v6
	v_cndmask_b32_e64 v27, 0, 1, vcc_lo
	s_delay_alu instid0(VALU_DEP_1) | instskip(NEXT) | instid1(VALU_DEP_1)
	v_lshlrev_b32_e32 v27, 4, v27
	v_add_lshl_u32 v99, v27, v82, 2
	s_waitcnt lgkmcnt(1)
	v_add_nc_u32_e32 v25, v7, v25
	v_add_nc_u32_e32 v98, 8, v82
	s_waitcnt lgkmcnt(0)
	v_add_nc_u32_e32 v9, v6, v9
	s_delay_alu instid0(VALU_DEP_2) | instskip(SKIP_1) | instid1(VALU_DEP_3)
	v_cmp_gt_u32_e32 vcc_lo, v98, v26
	v_cndmask_b32_e32 v7, v25, v7, vcc_lo
	v_cndmask_b32_e32 v6, v9, v6, vcc_lo
	ds_bpermute_b32 v25, v99, v7
	ds_bpermute_b32 v9, v99, v6
	v_add_nc_u32_e32 v100, 16, v82
	s_delay_alu instid0(VALU_DEP_1) | instskip(SKIP_2) | instid1(VALU_DEP_1)
	v_cmp_le_u32_e32 vcc_lo, v100, v26
	s_waitcnt lgkmcnt(0)
	v_cndmask_b32_e32 v9, 0, v9, vcc_lo
	v_dual_cndmask_b32 v25, 0, v25 :: v_dual_add_nc_u32 v6, v9, v6
	s_delay_alu instid0(VALU_DEP_1)
	v_add_nc_u32_e32 v7, v25, v7
	v_mov_b32_e32 v25, 0
	s_branch .LBB1999_110
.LBB1999_109:                           ;   in Loop: Header=BB1999_110 Depth=1
	s_or_b32 exec_lo, exec_lo, s7
	ds_bpermute_b32 v9, v91, v6
	ds_bpermute_b32 v28, v91, v7
	v_subrev_nc_u32_e32 v24, 32, v24
	s_waitcnt lgkmcnt(1)
	v_add_nc_u32_e32 v9, v9, v6
	v_and_b32_e32 v29, 0xff, v8
	s_waitcnt lgkmcnt(0)
	v_add_nc_u32_e32 v28, v28, v7
	s_delay_alu instid0(VALU_DEP_2) | instskip(SKIP_1) | instid1(VALU_DEP_1)
	v_cmp_eq_u16_e32 vcc_lo, 2, v29
	v_and_or_b32 v29, vcc_lo, v92, 0x80000000
	v_ctz_i32_b32_e32 v29, v29
	s_delay_alu instid0(VALU_DEP_1)
	v_cmp_lt_u32_e32 vcc_lo, v82, v29
	v_cndmask_b32_e32 v6, v6, v9, vcc_lo
	ds_bpermute_b32 v9, v93, v6
	s_waitcnt lgkmcnt(0)
	v_add_nc_u32_e32 v9, v6, v9
	v_cndmask_b32_e32 v7, v7, v28, vcc_lo
	v_cmp_gt_u32_e32 vcc_lo, v94, v29
	s_delay_alu instid0(VALU_DEP_3)
	v_cndmask_b32_e32 v6, v9, v6, vcc_lo
	ds_bpermute_b32 v28, v93, v7
	ds_bpermute_b32 v9, v95, v6
	s_waitcnt lgkmcnt(1)
	v_add_nc_u32_e32 v28, v7, v28
	s_waitcnt lgkmcnt(0)
	v_add_nc_u32_e32 v9, v6, v9
	s_delay_alu instid0(VALU_DEP_2) | instskip(SKIP_1) | instid1(VALU_DEP_3)
	v_cndmask_b32_e32 v7, v28, v7, vcc_lo
	v_cmp_gt_u32_e32 vcc_lo, v96, v29
	v_cndmask_b32_e32 v6, v9, v6, vcc_lo
	ds_bpermute_b32 v28, v95, v7
	ds_bpermute_b32 v9, v97, v6
	s_waitcnt lgkmcnt(1)
	v_add_nc_u32_e32 v28, v7, v28
	s_waitcnt lgkmcnt(0)
	v_add_nc_u32_e32 v9, v6, v9
	s_delay_alu instid0(VALU_DEP_2) | instskip(SKIP_1) | instid1(VALU_DEP_3)
	v_cndmask_b32_e32 v7, v28, v7, vcc_lo
	v_cmp_gt_u32_e32 vcc_lo, v98, v29
	v_cndmask_b32_e32 v6, v9, v6, vcc_lo
	ds_bpermute_b32 v28, v97, v7
	ds_bpermute_b32 v9, v99, v6
	s_waitcnt lgkmcnt(1)
	v_add_nc_u32_e32 v28, v7, v28
	s_delay_alu instid0(VALU_DEP_1) | instskip(SKIP_4) | instid1(VALU_DEP_1)
	v_cndmask_b32_e32 v7, v28, v7, vcc_lo
	v_cmp_le_u32_e32 vcc_lo, v100, v29
	ds_bpermute_b32 v28, v99, v7
	s_waitcnt lgkmcnt(1)
	v_cndmask_b32_e32 v9, 0, v9, vcc_lo
	v_add3_u32 v6, v6, v26, v9
	s_waitcnt lgkmcnt(0)
	v_cndmask_b32_e32 v28, 0, v28, vcc_lo
	s_delay_alu instid0(VALU_DEP_1)
	v_add3_u32 v7, v7, v27, v28
.LBB1999_110:                           ; =>This Loop Header: Depth=1
                                        ;     Child Loop BB1999_113 Depth 2
                                        ;       Child Loop BB1999_114 Depth 3
	s_delay_alu instid0(VALU_DEP_1) | instskip(SKIP_1) | instid1(VALU_DEP_2)
	v_dual_mov_b32 v27, v7 :: v_dual_and_b32 v8, 0xff, v8
	v_mov_b32_e32 v26, v6
	v_cmp_ne_u16_e32 vcc_lo, 2, v8
	v_cndmask_b32_e64 v8, 0, 1, vcc_lo
	;;#ASMSTART
	;;#ASMEND
	s_delay_alu instid0(VALU_DEP_1)
	v_cmp_ne_u32_e32 vcc_lo, 0, v8
	s_cmp_lg_u32 vcc_lo, exec_lo
	s_cbranch_scc1 .LBB1999_117
; %bb.111:                              ;   in Loop: Header=BB1999_110 Depth=1
	v_lshlrev_b64 v[6:7], 4, v[24:25]
	s_mov_b32 s7, exec_lo
	s_delay_alu instid0(VALU_DEP_1) | instskip(NEXT) | instid1(VALU_DEP_2)
	v_add_co_u32 v28, vcc_lo, s36, v6
	v_add_co_ci_u32_e32 v29, vcc_lo, s37, v7, vcc_lo
	;;#ASMSTART
	global_load_dwordx4 v[6:9], v[28:29] off glc	
s_waitcnt vmcnt(0)
	;;#ASMEND
	v_and_b32_e32 v9, 0xff, v7
	v_and_b32_e32 v101, 0xff00, v7
	v_or3_b32 v6, v6, 0, 0
	v_and_b32_e32 v102, 0xff000000, v7
	v_and_b32_e32 v7, 0xff0000, v7
	s_delay_alu instid0(VALU_DEP_4) | instskip(SKIP_2) | instid1(VALU_DEP_3)
	v_or3_b32 v9, 0, v9, v101
	v_and_b32_e32 v101, 0xff, v8
	v_or3_b32 v6, v6, 0, 0
	v_or3_b32 v7, v9, v7, v102
	s_delay_alu instid0(VALU_DEP_3)
	v_cmpx_eq_u16_e32 0, v101
	s_cbranch_execz .LBB1999_109
; %bb.112:                              ;   in Loop: Header=BB1999_110 Depth=1
	s_mov_b32 s9, 1
	s_mov_b32 s8, 0
	.p2align	6
.LBB1999_113:                           ;   Parent Loop BB1999_110 Depth=1
                                        ; =>  This Loop Header: Depth=2
                                        ;       Child Loop BB1999_114 Depth 3
	s_max_u32 s10, s9, 1
.LBB1999_114:                           ;   Parent Loop BB1999_110 Depth=1
                                        ;     Parent Loop BB1999_113 Depth=2
                                        ; =>    This Inner Loop Header: Depth=3
	s_delay_alu instid0(SALU_CYCLE_1)
	s_add_i32 s10, s10, -1
	s_sleep 1
	s_cmp_eq_u32 s10, 0
	s_cbranch_scc0 .LBB1999_114
; %bb.115:                              ;   in Loop: Header=BB1999_113 Depth=2
	;;#ASMSTART
	global_load_dwordx4 v[6:9], v[28:29] off glc	
s_waitcnt vmcnt(0)
	;;#ASMEND
	v_and_b32_e32 v9, 0xff, v8
	s_cmp_lt_u32 s9, 32
	s_cselect_b32 s10, -1, 0
	s_delay_alu instid0(SALU_CYCLE_1) | instskip(NEXT) | instid1(VALU_DEP_1)
	s_cmp_lg_u32 s10, 0
	v_cmp_ne_u16_e32 vcc_lo, 0, v9
	s_addc_u32 s9, s9, 0
	s_or_b32 s8, vcc_lo, s8
	s_delay_alu instid0(SALU_CYCLE_1)
	s_and_not1_b32 exec_lo, exec_lo, s8
	s_cbranch_execnz .LBB1999_113
; %bb.116:                              ;   in Loop: Header=BB1999_110 Depth=1
	s_or_b32 exec_lo, exec_lo, s8
	s_branch .LBB1999_109
.LBB1999_117:                           ;   in Loop: Header=BB1999_110 Depth=1
                                        ; implicit-def: $vgpr8
                                        ; implicit-def: $vgpr6_vgpr7
	s_cbranch_execz .LBB1999_110
; %bb.118:
	s_and_saveexec_b32 s7, s3
	s_cbranch_execnz .LBB1999_361
; %bb.119:
	s_or_b32 exec_lo, exec_lo, s7
	s_and_saveexec_b32 s7, s3
	s_cbranch_execnz .LBB1999_362
.LBB1999_120:
	s_or_b32 exec_lo, exec_lo, s7
	s_delay_alu instid0(SALU_CYCLE_1)
	s_and_b32 exec_lo, exec_lo, s2
	s_cbranch_execz .LBB1999_122
.LBB1999_121:
	v_mov_b32_e32 v5, 0
	ds_store_b64 v5, v[26:27] offset:56
.LBB1999_122:
	s_or_b32 exec_lo, exec_lo, s5
	s_waitcnt lgkmcnt(1)
	v_cndmask_b32_e64 v22, v89, v22, s3
	v_mov_b32_e32 v5, 0
	s_waitcnt lgkmcnt(0)
	s_barrier
	buffer_gl0_inv
	v_add_nc_u32_e64 v7, 0x3400, 0
	ds_load_b64 v[24:25], v5 offset:56
	s_waitcnt lgkmcnt(0)
	s_barrier
	buffer_gl0_inv
	ds_load_2addr_b32 v[5:6], v7 offset1:2
	ds_load_2addr_b32 v[7:8], v7 offset0:4 offset1:6
	v_cndmask_b32_e64 v9, v90, v23, s3
	v_add_nc_u32_e32 v22, v24, v22
	s_delay_alu instid0(VALU_DEP_2) | instskip(NEXT) | instid1(VALU_DEP_2)
	v_add_nc_u32_e32 v9, v25, v9
	v_cndmask_b32_e64 v22, v22, v24, s2
	s_delay_alu instid0(VALU_DEP_2)
	v_cndmask_b32_e64 v9, v9, v25, s2
	s_branch .LBB1999_133
.LBB1999_123:
                                        ; implicit-def: $vgpr9
                                        ; implicit-def: $vgpr7
                                        ; implicit-def: $vgpr5
                                        ; implicit-def: $vgpr22_vgpr23
	s_and_b32 vcc_lo, exec_lo, s5
	s_cbranch_vccz .LBB1999_133
; %bb.124:
	s_waitcnt lgkmcnt(1)
	v_mov_b32_dpp v6, v88 row_shr:1 row_mask:0xf bank_mask:0xf
	v_cmp_lt_u32_e32 vcc_lo, 3, v86
	v_mov_b32_dpp v5, v87 row_shr:1 row_mask:0xf bank_mask:0xf
	s_delay_alu instid0(VALU_DEP_3) | instskip(NEXT) | instid1(VALU_DEP_1)
	v_add_nc_u32_e32 v6, v6, v88
	v_cndmask_b32_e64 v6, v6, v88, s1
	s_waitcnt lgkmcnt(0)
	s_delay_alu instid0(VALU_DEP_1) | instskip(NEXT) | instid1(VALU_DEP_1)
	v_mov_b32_dpp v8, v6 row_shr:2 row_mask:0xf bank_mask:0xf
	v_add_nc_u32_e32 v8, v6, v8
	s_delay_alu instid0(VALU_DEP_1) | instskip(NEXT) | instid1(VALU_DEP_1)
	v_cndmask_b32_e64 v6, v6, v8, s0
	v_mov_b32_dpp v8, v6 row_shr:4 row_mask:0xf bank_mask:0xf
	s_delay_alu instid0(VALU_DEP_1) | instskip(NEXT) | instid1(VALU_DEP_1)
	v_add_nc_u32_e32 v8, v6, v8
	v_dual_cndmask_b32 v6, v6, v8 :: v_dual_add_nc_u32 v5, v5, v87
	s_delay_alu instid0(VALU_DEP_1) | instskip(NEXT) | instid1(VALU_DEP_2)
	v_cndmask_b32_e64 v5, v5, v87, s1
	v_mov_b32_dpp v8, v6 row_shr:8 row_mask:0xf bank_mask:0xf
	s_delay_alu instid0(VALU_DEP_2) | instskip(NEXT) | instid1(VALU_DEP_2)
	v_mov_b32_dpp v7, v5 row_shr:2 row_mask:0xf bank_mask:0xf
	v_add_nc_u32_e32 v8, v6, v8
	s_delay_alu instid0(VALU_DEP_2) | instskip(NEXT) | instid1(VALU_DEP_1)
	v_add_nc_u32_e32 v7, v5, v7
	v_cndmask_b32_e64 v5, v5, v7, s0
	s_mov_b32 s0, exec_lo
	s_delay_alu instid0(VALU_DEP_1) | instskip(NEXT) | instid1(VALU_DEP_1)
	v_mov_b32_dpp v7, v5 row_shr:4 row_mask:0xf bank_mask:0xf
	v_add_nc_u32_e32 v7, v5, v7
	s_delay_alu instid0(VALU_DEP_1) | instskip(SKIP_1) | instid1(VALU_DEP_2)
	v_cndmask_b32_e32 v5, v5, v7, vcc_lo
	v_cmp_lt_u32_e32 vcc_lo, 7, v86
	v_mov_b32_dpp v7, v5 row_shr:8 row_mask:0xf bank_mask:0xf
	s_delay_alu instid0(VALU_DEP_1) | instskip(NEXT) | instid1(VALU_DEP_1)
	v_dual_cndmask_b32 v6, v6, v8 :: v_dual_add_nc_u32 v7, v5, v7
	v_cndmask_b32_e32 v5, v5, v7, vcc_lo
	ds_swizzle_b32 v7, v6 offset:swizzle(BROADCAST,32,15)
	v_cmp_eq_u32_e32 vcc_lo, 0, v85
	ds_swizzle_b32 v8, v5 offset:swizzle(BROADCAST,32,15)
	s_waitcnt lgkmcnt(1)
	v_add_nc_u32_e32 v7, v6, v7
	s_waitcnt lgkmcnt(0)
	v_add_nc_u32_e32 v8, v5, v8
	s_delay_alu instid0(VALU_DEP_1)
	v_dual_cndmask_b32 v6, v7, v6 :: v_dual_cndmask_b32 v5, v8, v5
	v_cmpx_eq_u32_e64 v84, v0
	s_cbranch_execz .LBB1999_126
; %bb.125:
	v_lshlrev_b32_e32 v7, 3, v83
	ds_store_b64 v7, v[5:6]
.LBB1999_126:
	s_or_b32 exec_lo, exec_lo, s0
	s_delay_alu instid0(SALU_CYCLE_1)
	s_mov_b32 s0, exec_lo
	s_waitcnt lgkmcnt(0)
	s_barrier
	buffer_gl0_inv
	v_cmpx_gt_u32_e32 8, v0
	s_cbranch_execz .LBB1999_128
; %bb.127:
	v_lshlrev_b32_e32 v9, 3, v0
	ds_load_b64 v[7:8], v9
	s_waitcnt lgkmcnt(0)
	v_mov_b32_dpp v22, v7 row_shr:1 row_mask:0xf bank_mask:0xf
	v_mov_b32_dpp v23, v8 row_shr:1 row_mask:0xf bank_mask:0xf
	s_delay_alu instid0(VALU_DEP_2) | instskip(SKIP_1) | instid1(VALU_DEP_3)
	v_add_nc_u32_e32 v22, v22, v7
	v_and_b32_e32 v24, 7, v82
	v_add_nc_u32_e32 v23, v23, v8
	s_delay_alu instid0(VALU_DEP_2) | instskip(NEXT) | instid1(VALU_DEP_2)
	v_cmp_eq_u32_e32 vcc_lo, 0, v24
	v_dual_cndmask_b32 v8, v23, v8 :: v_dual_cndmask_b32 v7, v22, v7
	v_cmp_lt_u32_e32 vcc_lo, 1, v24
	s_delay_alu instid0(VALU_DEP_2) | instskip(NEXT) | instid1(VALU_DEP_3)
	v_mov_b32_dpp v23, v8 row_shr:2 row_mask:0xf bank_mask:0xf
	v_mov_b32_dpp v22, v7 row_shr:2 row_mask:0xf bank_mask:0xf
	s_delay_alu instid0(VALU_DEP_2) | instskip(NEXT) | instid1(VALU_DEP_2)
	v_add_nc_u32_e32 v23, v8, v23
	v_add_nc_u32_e32 v22, v7, v22
	s_delay_alu instid0(VALU_DEP_1) | instskip(SKIP_1) | instid1(VALU_DEP_2)
	v_dual_cndmask_b32 v8, v8, v23 :: v_dual_cndmask_b32 v7, v7, v22
	v_cmp_lt_u32_e32 vcc_lo, 3, v24
	v_mov_b32_dpp v23, v8 row_shr:4 row_mask:0xf bank_mask:0xf
	s_delay_alu instid0(VALU_DEP_3) | instskip(NEXT) | instid1(VALU_DEP_1)
	v_mov_b32_dpp v22, v7 row_shr:4 row_mask:0xf bank_mask:0xf
	v_dual_cndmask_b32 v23, 0, v23 :: v_dual_cndmask_b32 v22, 0, v22
	s_delay_alu instid0(VALU_DEP_1) | instskip(NEXT) | instid1(VALU_DEP_2)
	v_add_nc_u32_e32 v8, v23, v8
	v_add_nc_u32_e32 v7, v22, v7
	ds_store_b64 v9, v[7:8]
.LBB1999_128:
	s_or_b32 exec_lo, exec_lo, s0
	v_dual_mov_b32 v7, 0 :: v_dual_mov_b32 v22, 0
	v_mov_b32_e32 v23, 0
	s_mov_b32 s0, exec_lo
	s_waitcnt lgkmcnt(0)
	s_barrier
	buffer_gl0_inv
	v_cmpx_lt_u32_e32 31, v0
	s_cbranch_execz .LBB1999_130
; %bb.129:
	v_lshl_add_u32 v8, v83, 3, -8
	ds_load_b64 v[22:23], v8
.LBB1999_130:
	s_or_b32 exec_lo, exec_lo, s0
	v_add_nc_u32_e32 v8, -1, v82
	s_waitcnt lgkmcnt(0)
	v_add_nc_u32_e32 v24, v23, v6
	v_add_nc_u32_e32 v9, v22, v5
	ds_load_b64 v[5:6], v7 offset:56
	v_cmp_gt_i32_e32 vcc_lo, 0, v8
	v_cndmask_b32_e32 v8, v8, v82, vcc_lo
	s_delay_alu instid0(VALU_DEP_1)
	v_lshlrev_b32_e32 v8, 2, v8
	ds_bpermute_b32 v9, v8, v9
	ds_bpermute_b32 v24, v8, v24
	s_waitcnt lgkmcnt(2)
	v_readfirstlane_b32 s0, v6
	s_and_saveexec_b32 s1, s2
	s_cbranch_execz .LBB1999_132
; %bb.131:
	s_mov_b32 s8, 0
	s_add_u32 s6, s36, 0x200
	s_addc_u32 s7, s37, 0
	s_and_b32 s9, s0, 0xff000000
	s_and_b32 s11, s0, 0xff0000
	s_mov_b32 s10, s8
	v_mov_b32_e32 v26, s7
	s_or_b64 s[10:11], s[10:11], s[8:9]
	s_and_b32 s9, s0, 0xff00
	v_dual_mov_b32 v8, 0 :: v_dual_mov_b32 v25, s6
	s_or_b64 s[10:11], s[10:11], s[8:9]
	s_and_b32 s9, s0, 0xff
	v_mov_b32_e32 v7, 2
	s_or_b64 s[8:9], s[10:11], s[8:9]
	s_delay_alu instid0(SALU_CYCLE_1)
	v_mov_b32_e32 v6, s9
	;;#ASMSTART
	global_store_dwordx4 v[25:26], v[5:8] off	
s_waitcnt vmcnt(0)
	;;#ASMEND
.LBB1999_132:
	s_or_b32 exec_lo, exec_lo, s1
	v_cmp_eq_u32_e32 vcc_lo, 0, v82
	v_dual_mov_b32 v7, 0 :: v_dual_mov_b32 v6, s0
	s_waitcnt lgkmcnt(0)
	s_barrier
	v_dual_cndmask_b32 v8, v9, v22 :: v_dual_cndmask_b32 v9, v24, v23
	buffer_gl0_inv
	v_cndmask_b32_e64 v22, v8, 0, s2
	v_cndmask_b32_e64 v9, v9, 0, s2
	v_mov_b32_e32 v8, 0
.LBB1999_133:
	s_delay_alu instid0(VALU_DEP_1) | instskip(SKIP_1) | instid1(VALU_DEP_2)
	v_add_nc_u32_e32 v24, v9, v81
	s_waitcnt lgkmcnt(0)
	v_sub_nc_u32_e32 v9, v9, v8
	v_add_co_u32 v1, vcc_lo, v1, v7
	v_and_b32_e32 v35, 1, v35
	v_add_nc_u32_e32 v26, v24, v77
	v_sub_nc_u32_e32 v24, v24, v8
	v_lshlrev_b32_e32 v77, 1, v5
	v_add_nc_u32_e32 v9, v9, v5
	v_add_co_ci_u32_e32 v2, vcc_lo, 0, v2, vcc_lo
	v_add_nc_u32_e32 v28, v26, v79
	s_delay_alu instid0(VALU_DEP_4)
	v_add3_u32 v33, v77, v6, v33
	v_and_b32_e32 v40, 1, v40
	v_and_b32_e32 v37, 1, v37
	;; [unrolled: 1-line block ×3, first 2 shown]
	v_add_nc_u32_e32 v29, v28, v75
	v_sub_nc_u32_e32 v28, v28, v8
	v_sub_co_u32 v75, vcc_lo, v3, v5
	s_add_u32 s1, s14, -4
	s_delay_alu instid0(VALU_DEP_3) | instskip(SKIP_4) | instid1(VALU_DEP_3)
	v_add_nc_u32_e32 v73, v29, v73
	v_sub_nc_u32_e32 v29, v29, v8
	v_add_nc_u32_e32 v28, v28, v5
	v_add_nc_u32_e32 v24, v24, v5
	s_mov_b32 s3, -1
	v_add_nc_u32_e32 v29, v29, v5
	v_add_nc_u32_e32 v23, v22, v80
	v_sub_nc_u32_e32 v22, v22, v7
	s_delay_alu instid0(VALU_DEP_2) | instskip(SKIP_3) | instid1(VALU_DEP_3)
	v_add_nc_u32_e32 v25, v23, v76
	v_sub_nc_u32_e32 v23, v23, v7
	v_subrev_co_ci_u32_e32 v76, vcc_lo, 0, v4, vcc_lo
	v_cmp_eq_u32_e32 vcc_lo, 1, v35
	v_add_nc_u32_e32 v79, v24, v23
	s_delay_alu instid0(VALU_DEP_1) | instskip(NEXT) | instid1(VALU_DEP_1)
	v_sub_nc_u32_e32 v79, v33, v79
	v_add_nc_u32_e32 v79, 1, v79
	v_add_nc_u32_e32 v27, v25, v78
	;; [unrolled: 1-line block ×3, first 2 shown]
	s_delay_alu instid0(VALU_DEP_1) | instskip(NEXT) | instid1(VALU_DEP_1)
	v_sub_nc_u32_e32 v78, v33, v78
	v_dual_cndmask_b32 v9, v78, v9 :: v_dual_and_b32 v34, 1, v34
	v_cmp_eq_u32_e32 vcc_lo, 1, v40
	v_cndmask_b32_e32 v24, v79, v24, vcc_lo
	s_delay_alu instid0(VALU_DEP_3) | instskip(NEXT) | instid1(VALU_DEP_4)
	v_cmp_eq_u32_e32 vcc_lo, 1, v34
	v_cndmask_b32_e32 v9, v9, v22, vcc_lo
	v_sub_nc_u32_e32 v26, v26, v8
	v_cmp_eq_u32_e32 vcc_lo, 1, v37
	v_and_b32_e32 v37, 1, v38
	s_delay_alu instid0(VALU_DEP_4) | instskip(NEXT) | instid1(VALU_DEP_4)
	v_lshlrev_b32_e32 v9, 2, v9
	v_add_nc_u32_e32 v26, v26, v5
	v_cndmask_b32_e32 v24, v24, v23, vcc_lo
	v_sub_nc_u32_e32 v25, v25, v7
	v_add_co_u32 v22, vcc_lo, v75, v8
	v_add_co_ci_u32_e32 v23, vcc_lo, 0, v76, vcc_lo
	s_delay_alu instid0(VALU_DEP_3)
	v_add_nc_u32_e32 v34, v26, v25
	v_cmp_eq_u32_e32 vcc_lo, 1, v37
	v_lshlrev_b32_e32 v24, 2, v24
	ds_store_b32 v9, v20
	v_sub_nc_u32_e32 v34, v33, v34
	ds_store_b32 v24, v21
	v_and_b32_e32 v24, 1, v39
	v_add_nc_u32_e32 v34, 2, v34
	s_delay_alu instid0(VALU_DEP_1) | instskip(SKIP_3) | instid1(VALU_DEP_4)
	v_cndmask_b32_e32 v26, v34, v26, vcc_lo
	v_cmp_eq_u32_e32 vcc_lo, 1, v36
	v_add_nc_u32_e32 v74, v27, v74
	v_sub_nc_u32_e32 v27, v27, v7
	v_cndmask_b32_e32 v25, v26, v25, vcc_lo
	s_delay_alu instid0(VALU_DEP_3) | instskip(NEXT) | instid1(VALU_DEP_3)
	v_sub_nc_u32_e32 v37, v74, v7
	v_add_nc_u32_e32 v34, v27, v28
	v_cmp_eq_u32_e32 vcc_lo, 1, v24
	v_sub_nc_u32_e32 v26, v73, v8
	v_lshlrev_b32_e32 v21, 2, v25
	v_and_b32_e32 v25, 1, v41
	v_sub_nc_u32_e32 v9, v33, v34
	v_add_nc_u32_e32 v20, v37, v29
	v_and_b32_e32 v24, 1, v42
	v_add_nc_u32_e32 v26, v26, v5
	ds_store_b32 v21, v18
	v_add_nc_u32_e32 v9, 3, v9
	v_sub_nc_u32_e32 v20, v33, v20
	s_delay_alu instid0(VALU_DEP_2) | instskip(SKIP_2) | instid1(VALU_DEP_4)
	v_cndmask_b32_e32 v9, v9, v28, vcc_lo
	v_cmp_eq_u32_e32 vcc_lo, 1, v25
	v_add_nc_u32_e32 v72, v74, v72
	v_add_nc_u32_e32 v20, 4, v20
	v_and_b32_e32 v25, 1, v43
	v_cndmask_b32_e32 v9, v9, v27, vcc_lo
	s_delay_alu instid0(VALU_DEP_4)
	v_sub_nc_u32_e32 v28, v72, v7
	v_cmp_eq_u32_e32 vcc_lo, 1, v24
	v_and_b32_e32 v24, 1, v44
	v_add_nc_u32_e32 v70, v72, v70
	v_lshlrev_b32_e32 v9, 2, v9
	v_add_nc_u32_e32 v27, v28, v26
	v_cndmask_b32_e32 v20, v20, v29, vcc_lo
	v_cmp_eq_u32_e32 vcc_lo, 1, v25
	v_and_b32_e32 v25, 1, v45
	v_add_nc_u32_e32 v64, v70, v64
	v_sub_nc_u32_e32 v18, v33, v27
	v_sub_nc_u32_e32 v27, v70, v7
	v_cndmask_b32_e32 v20, v20, v37, vcc_lo
	v_cmp_eq_u32_e32 vcc_lo, 1, v24
	ds_store_b32 v9, v19
	v_add_nc_u32_e32 v18, 5, v18
	v_and_b32_e32 v19, 1, v46
	v_lshlrev_b32_e32 v20, 2, v20
	v_add_nc_u32_e32 v68, v64, v68
	s_delay_alu instid0(VALU_DEP_4)
	v_cndmask_b32_e32 v18, v18, v26, vcc_lo
	v_cmp_eq_u32_e32 vcc_lo, 1, v25
	v_sub_nc_u32_e32 v25, v64, v7
	ds_store_b32 v20, v16
	v_and_b32_e32 v20, 1, v49
	v_add_nc_u32_e32 v66, v68, v66
	v_dual_cndmask_b32 v18, v18, v28 :: v_dual_add_nc_u32 v71, v73, v71
	v_cmp_eq_u32_e32 vcc_lo, 1, v19
	v_and_b32_e32 v19, 1, v48
	s_delay_alu instid0(VALU_DEP_4) | instskip(NEXT) | instid1(VALU_DEP_4)
	v_add_nc_u32_e32 v61, v66, v61
	v_lshlrev_b32_e32 v18, 2, v18
	v_add_nc_u32_e32 v65, v71, v65
	v_sub_nc_u32_e32 v21, v71, v8
	s_delay_alu instid0(VALU_DEP_4)
	v_add_nc_u32_e32 v60, v61, v60
	ds_store_b32 v18, v17
	v_sub_nc_u32_e32 v24, v65, v8
	v_add_nc_u32_e32 v21, v21, v5
	v_add_nc_u32_e32 v69, v65, v69
	v_and_b32_e32 v17, 1, v47
	s_delay_alu instid0(VALU_DEP_4) | instskip(NEXT) | instid1(VALU_DEP_4)
	v_add_nc_u32_e32 v24, v24, v5
	v_add_nc_u32_e32 v26, v27, v21
	s_delay_alu instid0(VALU_DEP_4) | instskip(NEXT) | instid1(VALU_DEP_3)
	v_sub_nc_u32_e32 v18, v69, v8
	v_add_nc_u32_e32 v16, v25, v24
	s_delay_alu instid0(VALU_DEP_3) | instskip(NEXT) | instid1(VALU_DEP_3)
	v_sub_nc_u32_e32 v9, v33, v26
	v_add_nc_u32_e32 v18, v18, v5
	v_sub_nc_u32_e32 v26, v60, v7
	s_delay_alu instid0(VALU_DEP_4) | instskip(NEXT) | instid1(VALU_DEP_4)
	v_sub_nc_u32_e32 v16, v33, v16
	v_add_nc_u32_e32 v9, 6, v9
	s_delay_alu instid0(VALU_DEP_1) | instskip(SKIP_2) | instid1(VALU_DEP_3)
	v_dual_cndmask_b32 v9, v9, v21 :: v_dual_add_nc_u32 v16, 7, v16
	v_cmp_eq_u32_e32 vcc_lo, 1, v19
	v_sub_nc_u32_e32 v21, v68, v7
	v_cndmask_b32_e32 v16, v16, v24, vcc_lo
	v_cmp_eq_u32_e32 vcc_lo, 1, v17
	s_delay_alu instid0(VALU_DEP_3) | instskip(SKIP_3) | instid1(VALU_DEP_4)
	v_add_nc_u32_e32 v17, v21, v18
	v_cndmask_b32_e32 v9, v9, v27, vcc_lo
	v_cmp_eq_u32_e32 vcc_lo, 1, v20
	v_add_nc_u32_e32 v67, v69, v67
	v_sub_nc_u32_e32 v17, v33, v17
	v_sub_nc_u32_e32 v20, v66, v7
	v_lshlrev_b32_e32 v9, 2, v9
	v_cndmask_b32_e32 v16, v16, v25, vcc_lo
	v_sub_nc_u32_e32 v19, v67, v8
	v_add_nc_u32_e32 v62, v67, v62
	v_sub_nc_u32_e32 v25, v61, v7
	ds_store_b32 v9, v14
	v_and_b32_e32 v9, 1, v50
	v_add_nc_u32_e32 v19, v19, v5
	v_add_nc_u32_e32 v14, 8, v17
	v_lshlrev_b32_e32 v16, 2, v16
	v_add_nc_u32_e32 v63, v62, v63
	v_cmp_eq_u32_e32 vcc_lo, 1, v9
	v_add_nc_u32_e32 v17, v20, v19
	ds_store_b32 v16, v15
	v_and_b32_e32 v15, 1, v51
	v_cndmask_b32_e32 v9, v14, v18, vcc_lo
	v_sub_nc_u32_e32 v14, v33, v17
	v_and_b32_e32 v18, 1, v52
	v_sub_nc_u32_e32 v17, v62, v8
	v_and_b32_e32 v16, 1, v54
	v_sub_nc_u32_e32 v24, v63, v8
	v_add_nc_u32_e32 v14, 9, v14
	v_cmp_eq_u32_e32 vcc_lo, 1, v18
	v_add_nc_u32_e32 v17, v17, v5
	v_add_nc_u32_e32 v35, v63, v59
	;; [unrolled: 1-line block ×3, first 2 shown]
	v_cndmask_b32_e32 v14, v14, v19, vcc_lo
	v_cmp_eq_u32_e32 vcc_lo, 1, v15
	v_add_nc_u32_e32 v15, v25, v17
	s_delay_alu instid0(VALU_DEP_4)
	v_add_nc_u32_e32 v18, v26, v24
	v_and_b32_e32 v19, 1, v55
	v_cndmask_b32_e32 v9, v9, v21, vcc_lo
	v_cmp_eq_u32_e32 vcc_lo, 1, v16
	v_sub_nc_u32_e32 v15, v33, v15
	v_sub_nc_u32_e32 v18, v33, v18
	v_and_b32_e32 v21, 1, v57
	v_sub_nc_u32_e32 v16, v35, v8
	v_cndmask_b32_e32 v14, v14, v20, vcc_lo
	v_and_b32_e32 v20, 1, v53
	v_add_nc_u32_e32 v15, 10, v15
	v_add_nc_u32_e32 v18, 11, v18
	;; [unrolled: 1-line block ×3, first 2 shown]
	v_lshlrev_b32_e32 v9, 2, v9
	v_cmp_eq_u32_e32 vcc_lo, 1, v20
	v_dual_cndmask_b32 v15, v15, v17 :: v_dual_lshlrev_b32 v14, 2, v14
	v_cmp_eq_u32_e32 vcc_lo, 1, v21
	v_and_b32_e32 v17, 1, v56
	v_cndmask_b32_e32 v18, v18, v24, vcc_lo
	v_cmp_eq_u32_e32 vcc_lo, 1, v19
	v_cndmask_b32_e32 v15, v15, v25, vcc_lo
	s_delay_alu instid0(VALU_DEP_4) | instskip(NEXT) | instid1(VALU_DEP_2)
	v_cmp_eq_u32_e32 vcc_lo, 1, v17
	v_lshlrev_b32_e32 v15, 2, v15
	v_cndmask_b32_e32 v17, v18, v26, vcc_lo
	v_add_nc_u32_e32 v40, v60, v58
	s_delay_alu instid0(VALU_DEP_2) | instskip(NEXT) | instid1(VALU_DEP_2)
	v_lshlrev_b32_e32 v17, 2, v17
	v_sub_nc_u32_e32 v7, v40, v7
	ds_store_b32 v9, v12
	ds_store_b32 v14, v13
	;; [unrolled: 1-line block ×4, first 2 shown]
	v_add_co_u32 v9, s0, v6, v77
	s_delay_alu instid0(VALU_DEP_1) | instskip(SKIP_1) | instid1(VALU_DEP_3)
	v_add_co_ci_u32_e64 v10, null, 0, 0, s0
	v_add_nc_u32_e32 v27, v7, v16
	v_add_co_u32 v9, vcc_lo, v9, v22
	s_delay_alu instid0(VALU_DEP_3) | instskip(NEXT) | instid1(VALU_DEP_3)
	v_add_co_ci_u32_e32 v10, vcc_lo, v10, v23, vcc_lo
	v_sub_nc_u32_e32 v20, v33, v27
	v_add_co_u32 v11, s0, s34, v30
	s_delay_alu instid0(VALU_DEP_4) | instskip(NEXT) | instid1(VALU_DEP_3)
	v_add_co_u32 v9, vcc_lo, v9, v1
	v_add_nc_u32_e32 v18, 12, v20
	v_add_co_ci_u32_e64 v12, null, s35, 0, s0
	v_add_co_ci_u32_e32 v10, vcc_lo, v10, v2, vcc_lo
	s_delay_alu instid0(VALU_DEP_3) | instskip(SKIP_1) | instid1(VALU_DEP_2)
	v_cndmask_b32_e64 v16, v18, v16, s33
	v_add_nc_u32_e32 v14, v5, v6
	v_cndmask_b32_e64 v7, v16, v7, s27
	s_delay_alu instid0(VALU_DEP_1)
	v_lshlrev_b32_e32 v7, 2, v7
	ds_store_b32 v7, v32
	v_sub_co_u32 v7, vcc_lo, v11, v9
	v_sub_co_ci_u32_e32 v13, vcc_lo, v12, v10, vcc_lo
	v_lshlrev_b64 v[9:10], 2, v[22:23]
	v_lshlrev_b64 v[11:12], 2, v[1:2]
	s_waitcnt lgkmcnt(0)
	s_barrier
	buffer_gl0_inv
	v_add_co_u32 v9, vcc_lo, s30, v9
	v_add_co_ci_u32_e32 v10, vcc_lo, s31, v10, vcc_lo
	v_cmp_ne_u32_e32 vcc_lo, 1, v31
	v_add_co_u32 v11, s0, s28, v11
	s_delay_alu instid0(VALU_DEP_1)
	v_add_co_ci_u32_e64 v12, s0, s29, v12, s0
	s_addc_u32 s0, s15, -1
	s_cbranch_vccz .LBB1999_137
; %bb.134:
	s_and_b32 vcc_lo, exec_lo, s3
	s_cbranch_vccnz .LBB1999_242
.LBB1999_135:
	s_and_b32 s0, s2, s13
	s_delay_alu instid0(SALU_CYCLE_1)
	s_and_saveexec_b32 s1, s0
	s_cbranch_execnz .LBB1999_360
.LBB1999_136:
	s_nop 0
	s_sendmsg sendmsg(MSG_DEALLOC_VGPRS)
	s_endpgm
.LBB1999_137:
	s_mov_b32 s3, exec_lo
	v_cmpx_le_u32_e64 v5, v0
	s_xor_b32 s3, exec_lo, s3
	s_cbranch_execz .LBB1999_143
; %bb.138:
	s_mov_b32 s5, exec_lo
	v_cmpx_le_u32_e64 v14, v0
	s_xor_b32 s5, exec_lo, s5
	s_cbranch_execz .LBB1999_140
; %bb.139:
	v_lshlrev_b32_e32 v15, 2, v0
	ds_load_b32 v17, v15
	v_add_co_u32 v15, vcc_lo, v7, v0
	v_add_co_ci_u32_e32 v16, vcc_lo, 0, v13, vcc_lo
	s_delay_alu instid0(VALU_DEP_1) | instskip(NEXT) | instid1(VALU_DEP_1)
	v_lshlrev_b64 v[15:16], 2, v[15:16]
	v_sub_co_u32 v15, vcc_lo, s14, v15
	s_delay_alu instid0(VALU_DEP_2)
	v_sub_co_ci_u32_e32 v16, vcc_lo, s15, v16, vcc_lo
	s_waitcnt lgkmcnt(0)
	global_store_b32 v[15:16], v17, off offset:-4
.LBB1999_140:
	s_and_not1_saveexec_b32 s5, s5
	s_cbranch_execz .LBB1999_142
; %bb.141:
	v_lshlrev_b32_e32 v15, 2, v0
	v_readfirstlane_b32 s6, v9
	v_readfirstlane_b32 s7, v10
	ds_load_b32 v16, v15
	s_waitcnt lgkmcnt(0)
	global_store_b32 v15, v16, s[6:7]
.LBB1999_142:
	s_or_b32 exec_lo, exec_lo, s5
.LBB1999_143:
	s_and_not1_saveexec_b32 s3, s3
	s_cbranch_execz .LBB1999_145
; %bb.144:
	v_lshlrev_b32_e32 v15, 2, v0
	v_readfirstlane_b32 s6, v11
	v_readfirstlane_b32 s7, v12
	ds_load_b32 v16, v15
	s_waitcnt lgkmcnt(0)
	global_store_b32 v15, v16, s[6:7]
.LBB1999_145:
	s_or_b32 exec_lo, exec_lo, s3
	v_or_b32_e32 v15, 0x100, v0
	s_mov_b32 s3, exec_lo
	s_delay_alu instid0(VALU_DEP_1)
	v_cmpx_le_u32_e64 v5, v15
	s_xor_b32 s3, exec_lo, s3
	s_cbranch_execz .LBB1999_151
; %bb.146:
	s_mov_b32 s5, exec_lo
	v_cmpx_le_u32_e64 v14, v15
	s_xor_b32 s5, exec_lo, s5
	s_cbranch_execz .LBB1999_148
; %bb.147:
	v_lshlrev_b32_e32 v15, 2, v0
	ds_load_b32 v17, v15 offset:1024
	v_add_co_u32 v15, vcc_lo, v7, v0
	v_add_co_ci_u32_e32 v16, vcc_lo, 0, v13, vcc_lo
	s_delay_alu instid0(VALU_DEP_1) | instskip(NEXT) | instid1(VALU_DEP_1)
	v_lshlrev_b64 v[15:16], 2, v[15:16]
	v_sub_co_u32 v15, vcc_lo, s1, v15
	s_delay_alu instid0(VALU_DEP_2)
	v_sub_co_ci_u32_e32 v16, vcc_lo, s0, v16, vcc_lo
	s_waitcnt lgkmcnt(0)
	global_store_b32 v[15:16], v17, off offset:-1024
.LBB1999_148:
	s_and_not1_saveexec_b32 s5, s5
	s_cbranch_execz .LBB1999_150
; %bb.149:
	v_lshlrev_b32_e32 v15, 2, v0
	v_readfirstlane_b32 s6, v9
	v_readfirstlane_b32 s7, v10
	ds_load_b32 v16, v15 offset:1024
	s_waitcnt lgkmcnt(0)
	global_store_b32 v15, v16, s[6:7] offset:1024
.LBB1999_150:
	s_or_b32 exec_lo, exec_lo, s5
.LBB1999_151:
	s_and_not1_saveexec_b32 s3, s3
	s_cbranch_execz .LBB1999_153
; %bb.152:
	v_lshlrev_b32_e32 v15, 2, v0
	v_readfirstlane_b32 s6, v11
	v_readfirstlane_b32 s7, v12
	ds_load_b32 v16, v15 offset:1024
	s_waitcnt lgkmcnt(0)
	global_store_b32 v15, v16, s[6:7] offset:1024
.LBB1999_153:
	s_or_b32 exec_lo, exec_lo, s3
	v_or_b32_e32 v15, 0x200, v0
	s_mov_b32 s3, exec_lo
	s_delay_alu instid0(VALU_DEP_1)
	v_cmpx_le_u32_e64 v5, v15
	s_xor_b32 s3, exec_lo, s3
	s_cbranch_execz .LBB1999_159
; %bb.154:
	s_mov_b32 s5, exec_lo
	v_cmpx_le_u32_e64 v14, v15
	s_xor_b32 s5, exec_lo, s5
	s_cbranch_execz .LBB1999_156
; %bb.155:
	v_lshlrev_b32_e32 v15, 2, v0
	ds_load_b32 v17, v15 offset:2048
	v_add_co_u32 v15, vcc_lo, v7, v0
	v_add_co_ci_u32_e32 v16, vcc_lo, 0, v13, vcc_lo
	s_delay_alu instid0(VALU_DEP_1) | instskip(NEXT) | instid1(VALU_DEP_1)
	v_lshlrev_b64 v[15:16], 2, v[15:16]
	v_sub_co_u32 v15, vcc_lo, s1, v15
	s_delay_alu instid0(VALU_DEP_2)
	v_sub_co_ci_u32_e32 v16, vcc_lo, s0, v16, vcc_lo
	s_waitcnt lgkmcnt(0)
	global_store_b32 v[15:16], v17, off offset:-2048
.LBB1999_156:
	s_and_not1_saveexec_b32 s5, s5
	s_cbranch_execz .LBB1999_158
; %bb.157:
	v_lshlrev_b32_e32 v15, 2, v0
	v_readfirstlane_b32 s6, v9
	v_readfirstlane_b32 s7, v10
	ds_load_b32 v16, v15 offset:2048
	s_waitcnt lgkmcnt(0)
	global_store_b32 v15, v16, s[6:7] offset:2048
.LBB1999_158:
	s_or_b32 exec_lo, exec_lo, s5
.LBB1999_159:
	s_and_not1_saveexec_b32 s3, s3
	s_cbranch_execz .LBB1999_161
; %bb.160:
	v_lshlrev_b32_e32 v15, 2, v0
	v_readfirstlane_b32 s6, v11
	v_readfirstlane_b32 s7, v12
	ds_load_b32 v16, v15 offset:2048
	s_waitcnt lgkmcnt(0)
	global_store_b32 v15, v16, s[6:7] offset:2048
.LBB1999_161:
	;; [unrolled: 47-line block ×3, first 2 shown]
	s_or_b32 exec_lo, exec_lo, s3
	v_or_b32_e32 v15, 0x400, v0
	s_mov_b32 s3, exec_lo
	s_delay_alu instid0(VALU_DEP_1)
	v_cmpx_le_u32_e64 v5, v15
	s_xor_b32 s3, exec_lo, s3
	s_cbranch_execz .LBB1999_175
; %bb.170:
	s_mov_b32 s5, exec_lo
	v_cmpx_le_u32_e64 v14, v15
	s_xor_b32 s5, exec_lo, s5
	s_cbranch_execz .LBB1999_172
; %bb.171:
	v_lshlrev_b32_e32 v15, 2, v0
	ds_load_b32 v17, v15 offset:4096
	v_add_co_u32 v15, vcc_lo, v7, v0
	v_add_co_ci_u32_e32 v16, vcc_lo, 0, v13, vcc_lo
	s_delay_alu instid0(VALU_DEP_1) | instskip(NEXT) | instid1(VALU_DEP_1)
	v_lshlrev_b64 v[15:16], 2, v[15:16]
	v_sub_co_u32 v15, vcc_lo, s1, v15
	s_delay_alu instid0(VALU_DEP_2)
	v_sub_co_ci_u32_e32 v16, vcc_lo, s0, v16, vcc_lo
	s_waitcnt lgkmcnt(0)
	global_store_b32 v[15:16], v17, off offset:-4096
                                        ; implicit-def: $vgpr15
.LBB1999_172:
	s_and_not1_saveexec_b32 s5, s5
	s_cbranch_execz .LBB1999_174
; %bb.173:
	v_lshlrev_b32_e32 v16, 2, v0
	v_lshlrev_b32_e32 v15, 2, v15
	v_readfirstlane_b32 s6, v9
	v_readfirstlane_b32 s7, v10
	ds_load_b32 v16, v16 offset:4096
	s_waitcnt lgkmcnt(0)
	global_store_b32 v15, v16, s[6:7]
.LBB1999_174:
	s_or_b32 exec_lo, exec_lo, s5
                                        ; implicit-def: $vgpr15
.LBB1999_175:
	s_and_not1_saveexec_b32 s3, s3
	s_cbranch_execz .LBB1999_177
; %bb.176:
	v_lshlrev_b32_e32 v16, 2, v0
	v_lshlrev_b32_e32 v15, 2, v15
	v_readfirstlane_b32 s6, v11
	v_readfirstlane_b32 s7, v12
	ds_load_b32 v16, v16 offset:4096
	s_waitcnt lgkmcnt(0)
	global_store_b32 v15, v16, s[6:7]
.LBB1999_177:
	s_or_b32 exec_lo, exec_lo, s3
	v_or_b32_e32 v15, 0x500, v0
	s_mov_b32 s3, exec_lo
	s_delay_alu instid0(VALU_DEP_1)
	v_cmpx_le_u32_e64 v5, v15
	s_xor_b32 s3, exec_lo, s3
	s_cbranch_execz .LBB1999_183
; %bb.178:
	s_mov_b32 s5, exec_lo
	v_cmpx_le_u32_e64 v14, v15
	s_xor_b32 s5, exec_lo, s5
	s_cbranch_execz .LBB1999_180
; %bb.179:
	v_lshlrev_b32_e32 v16, 2, v0
	v_add_co_u32 v15, vcc_lo, v7, v15
	ds_load_b32 v17, v16 offset:5120
	v_add_co_ci_u32_e32 v16, vcc_lo, 0, v13, vcc_lo
	s_delay_alu instid0(VALU_DEP_1) | instskip(NEXT) | instid1(VALU_DEP_1)
	v_lshlrev_b64 v[15:16], 2, v[15:16]
	v_sub_co_u32 v15, vcc_lo, s1, v15
	s_delay_alu instid0(VALU_DEP_2)
	v_sub_co_ci_u32_e32 v16, vcc_lo, s0, v16, vcc_lo
	s_waitcnt lgkmcnt(0)
	global_store_b32 v[15:16], v17, off
                                        ; implicit-def: $vgpr15
.LBB1999_180:
	s_and_not1_saveexec_b32 s5, s5
	s_cbranch_execz .LBB1999_182
; %bb.181:
	v_lshlrev_b32_e32 v16, 2, v0
	v_lshlrev_b32_e32 v15, 2, v15
	v_readfirstlane_b32 s6, v9
	v_readfirstlane_b32 s7, v10
	ds_load_b32 v16, v16 offset:5120
	s_waitcnt lgkmcnt(0)
	global_store_b32 v15, v16, s[6:7]
.LBB1999_182:
	s_or_b32 exec_lo, exec_lo, s5
                                        ; implicit-def: $vgpr15
.LBB1999_183:
	s_and_not1_saveexec_b32 s3, s3
	s_cbranch_execz .LBB1999_185
; %bb.184:
	v_lshlrev_b32_e32 v16, 2, v0
	v_lshlrev_b32_e32 v15, 2, v15
	v_readfirstlane_b32 s6, v11
	v_readfirstlane_b32 s7, v12
	ds_load_b32 v16, v16 offset:5120
	s_waitcnt lgkmcnt(0)
	global_store_b32 v15, v16, s[6:7]
.LBB1999_185:
	s_or_b32 exec_lo, exec_lo, s3
	v_or_b32_e32 v15, 0x600, v0
	s_mov_b32 s3, exec_lo
	s_delay_alu instid0(VALU_DEP_1)
	v_cmpx_le_u32_e64 v5, v15
	s_xor_b32 s3, exec_lo, s3
	s_cbranch_execz .LBB1999_191
; %bb.186:
	s_mov_b32 s5, exec_lo
	v_cmpx_le_u32_e64 v14, v15
	s_xor_b32 s5, exec_lo, s5
	s_cbranch_execz .LBB1999_188
; %bb.187:
	v_lshlrev_b32_e32 v16, 2, v0
	v_add_co_u32 v15, vcc_lo, v7, v15
	ds_load_b32 v17, v16 offset:6144
	v_add_co_ci_u32_e32 v16, vcc_lo, 0, v13, vcc_lo
	s_delay_alu instid0(VALU_DEP_1) | instskip(NEXT) | instid1(VALU_DEP_1)
	v_lshlrev_b64 v[15:16], 2, v[15:16]
	v_sub_co_u32 v15, vcc_lo, s1, v15
	s_delay_alu instid0(VALU_DEP_2)
	v_sub_co_ci_u32_e32 v16, vcc_lo, s0, v16, vcc_lo
	s_waitcnt lgkmcnt(0)
	global_store_b32 v[15:16], v17, off
                                        ; implicit-def: $vgpr15
.LBB1999_188:
	s_and_not1_saveexec_b32 s5, s5
	s_cbranch_execz .LBB1999_190
; %bb.189:
	v_lshlrev_b32_e32 v16, 2, v0
	v_lshlrev_b32_e32 v15, 2, v15
	v_readfirstlane_b32 s6, v9
	v_readfirstlane_b32 s7, v10
	ds_load_b32 v16, v16 offset:6144
	s_waitcnt lgkmcnt(0)
	global_store_b32 v15, v16, s[6:7]
.LBB1999_190:
	s_or_b32 exec_lo, exec_lo, s5
                                        ; implicit-def: $vgpr15
.LBB1999_191:
	;; [unrolled: 51-line block ×8, first 2 shown]
	s_and_not1_saveexec_b32 s3, s3
	s_cbranch_execz .LBB1999_241
; %bb.240:
	v_lshlrev_b32_e32 v16, 2, v0
	v_lshlrev_b32_e32 v15, 2, v15
	v_readfirstlane_b32 s6, v11
	v_readfirstlane_b32 s7, v12
	ds_load_b32 v16, v16 offset:12288
	s_waitcnt lgkmcnt(0)
	global_store_b32 v15, v16, s[6:7]
.LBB1999_241:
	s_or_b32 exec_lo, exec_lo, s3
	s_branch .LBB1999_135
.LBB1999_242:
	s_mov_b32 s3, exec_lo
	v_cmpx_gt_u32_e64 s4, v0
	s_cbranch_execz .LBB1999_251
; %bb.243:
	s_mov_b32 s5, exec_lo
	v_cmpx_le_u32_e64 v5, v0
	s_xor_b32 s5, exec_lo, s5
	s_cbranch_execz .LBB1999_249
; %bb.244:
	s_mov_b32 s6, exec_lo
	v_cmpx_le_u32_e64 v14, v0
	s_xor_b32 s6, exec_lo, s6
	s_cbranch_execz .LBB1999_246
; %bb.245:
	v_lshlrev_b32_e32 v15, 2, v0
	ds_load_b32 v17, v15
	v_add_co_u32 v15, vcc_lo, v7, v0
	v_add_co_ci_u32_e32 v16, vcc_lo, 0, v13, vcc_lo
	s_delay_alu instid0(VALU_DEP_1) | instskip(NEXT) | instid1(VALU_DEP_1)
	v_lshlrev_b64 v[15:16], 2, v[15:16]
	v_sub_co_u32 v15, vcc_lo, s14, v15
	s_delay_alu instid0(VALU_DEP_2)
	v_sub_co_ci_u32_e32 v16, vcc_lo, s15, v16, vcc_lo
	s_waitcnt lgkmcnt(0)
	global_store_b32 v[15:16], v17, off offset:-4
.LBB1999_246:
	s_and_not1_saveexec_b32 s6, s6
	s_cbranch_execz .LBB1999_248
; %bb.247:
	v_lshlrev_b32_e32 v15, 2, v0
	v_readfirstlane_b32 s8, v9
	v_readfirstlane_b32 s9, v10
	ds_load_b32 v16, v15
	s_waitcnt lgkmcnt(0)
	global_store_b32 v15, v16, s[8:9]
.LBB1999_248:
	s_or_b32 exec_lo, exec_lo, s6
.LBB1999_249:
	s_and_not1_saveexec_b32 s5, s5
	s_cbranch_execz .LBB1999_251
; %bb.250:
	v_lshlrev_b32_e32 v15, 2, v0
	v_readfirstlane_b32 s6, v11
	v_readfirstlane_b32 s7, v12
	ds_load_b32 v16, v15
	s_waitcnt lgkmcnt(0)
	global_store_b32 v15, v16, s[6:7]
.LBB1999_251:
	s_or_b32 exec_lo, exec_lo, s3
	v_or_b32_e32 v15, 0x100, v0
	s_mov_b32 s3, exec_lo
	s_delay_alu instid0(VALU_DEP_1)
	v_cmpx_gt_u32_e64 s4, v15
	s_cbranch_execz .LBB1999_260
; %bb.252:
	s_mov_b32 s5, exec_lo
	v_cmpx_le_u32_e64 v5, v15
	s_xor_b32 s5, exec_lo, s5
	s_cbranch_execz .LBB1999_258
; %bb.253:
	s_mov_b32 s6, exec_lo
	v_cmpx_le_u32_e64 v14, v15
	s_xor_b32 s6, exec_lo, s6
	s_cbranch_execz .LBB1999_255
; %bb.254:
	v_lshlrev_b32_e32 v15, 2, v0
	ds_load_b32 v17, v15 offset:1024
	v_add_co_u32 v15, vcc_lo, v7, v0
	v_add_co_ci_u32_e32 v16, vcc_lo, 0, v13, vcc_lo
	s_delay_alu instid0(VALU_DEP_1) | instskip(NEXT) | instid1(VALU_DEP_1)
	v_lshlrev_b64 v[15:16], 2, v[15:16]
	v_sub_co_u32 v15, vcc_lo, s1, v15
	s_delay_alu instid0(VALU_DEP_2)
	v_sub_co_ci_u32_e32 v16, vcc_lo, s0, v16, vcc_lo
	s_waitcnt lgkmcnt(0)
	global_store_b32 v[15:16], v17, off offset:-1024
.LBB1999_255:
	s_and_not1_saveexec_b32 s6, s6
	s_cbranch_execz .LBB1999_257
; %bb.256:
	v_lshlrev_b32_e32 v15, 2, v0
	v_readfirstlane_b32 s8, v9
	v_readfirstlane_b32 s9, v10
	ds_load_b32 v16, v15 offset:1024
	s_waitcnt lgkmcnt(0)
	global_store_b32 v15, v16, s[8:9] offset:1024
.LBB1999_257:
	s_or_b32 exec_lo, exec_lo, s6
.LBB1999_258:
	s_and_not1_saveexec_b32 s5, s5
	s_cbranch_execz .LBB1999_260
; %bb.259:
	v_lshlrev_b32_e32 v15, 2, v0
	v_readfirstlane_b32 s6, v11
	v_readfirstlane_b32 s7, v12
	ds_load_b32 v16, v15 offset:1024
	s_waitcnt lgkmcnt(0)
	global_store_b32 v15, v16, s[6:7] offset:1024
.LBB1999_260:
	s_or_b32 exec_lo, exec_lo, s3
	v_or_b32_e32 v15, 0x200, v0
	s_mov_b32 s3, exec_lo
	s_delay_alu instid0(VALU_DEP_1)
	v_cmpx_gt_u32_e64 s4, v15
	s_cbranch_execz .LBB1999_269
; %bb.261:
	s_mov_b32 s5, exec_lo
	v_cmpx_le_u32_e64 v5, v15
	s_xor_b32 s5, exec_lo, s5
	s_cbranch_execz .LBB1999_267
; %bb.262:
	s_mov_b32 s6, exec_lo
	v_cmpx_le_u32_e64 v14, v15
	s_xor_b32 s6, exec_lo, s6
	s_cbranch_execz .LBB1999_264
; %bb.263:
	v_lshlrev_b32_e32 v15, 2, v0
	ds_load_b32 v17, v15 offset:2048
	v_add_co_u32 v15, vcc_lo, v7, v0
	v_add_co_ci_u32_e32 v16, vcc_lo, 0, v13, vcc_lo
	s_delay_alu instid0(VALU_DEP_1) | instskip(NEXT) | instid1(VALU_DEP_1)
	v_lshlrev_b64 v[15:16], 2, v[15:16]
	v_sub_co_u32 v15, vcc_lo, s1, v15
	s_delay_alu instid0(VALU_DEP_2)
	v_sub_co_ci_u32_e32 v16, vcc_lo, s0, v16, vcc_lo
	s_waitcnt lgkmcnt(0)
	global_store_b32 v[15:16], v17, off offset:-2048
.LBB1999_264:
	s_and_not1_saveexec_b32 s6, s6
	s_cbranch_execz .LBB1999_266
; %bb.265:
	v_lshlrev_b32_e32 v15, 2, v0
	v_readfirstlane_b32 s8, v9
	v_readfirstlane_b32 s9, v10
	ds_load_b32 v16, v15 offset:2048
	s_waitcnt lgkmcnt(0)
	global_store_b32 v15, v16, s[8:9] offset:2048
.LBB1999_266:
	s_or_b32 exec_lo, exec_lo, s6
.LBB1999_267:
	s_and_not1_saveexec_b32 s5, s5
	s_cbranch_execz .LBB1999_269
; %bb.268:
	v_lshlrev_b32_e32 v15, 2, v0
	v_readfirstlane_b32 s6, v11
	v_readfirstlane_b32 s7, v12
	ds_load_b32 v16, v15 offset:2048
	s_waitcnt lgkmcnt(0)
	global_store_b32 v15, v16, s[6:7] offset:2048
.LBB1999_269:
	;; [unrolled: 51-line block ×3, first 2 shown]
	s_or_b32 exec_lo, exec_lo, s3
	v_or_b32_e32 v15, 0x400, v0
	s_mov_b32 s3, exec_lo
	s_delay_alu instid0(VALU_DEP_1)
	v_cmpx_gt_u32_e64 s4, v15
	s_cbranch_execz .LBB1999_287
; %bb.279:
	s_mov_b32 s5, exec_lo
	v_cmpx_le_u32_e64 v5, v15
	s_xor_b32 s5, exec_lo, s5
	s_cbranch_execz .LBB1999_285
; %bb.280:
	s_mov_b32 s6, exec_lo
	v_cmpx_le_u32_e64 v14, v15
	s_xor_b32 s6, exec_lo, s6
	s_cbranch_execz .LBB1999_282
; %bb.281:
	v_lshlrev_b32_e32 v15, 2, v0
	ds_load_b32 v17, v15 offset:4096
	v_add_co_u32 v15, vcc_lo, v7, v0
	v_add_co_ci_u32_e32 v16, vcc_lo, 0, v13, vcc_lo
	s_delay_alu instid0(VALU_DEP_1) | instskip(NEXT) | instid1(VALU_DEP_1)
	v_lshlrev_b64 v[15:16], 2, v[15:16]
	v_sub_co_u32 v15, vcc_lo, s1, v15
	s_delay_alu instid0(VALU_DEP_2)
	v_sub_co_ci_u32_e32 v16, vcc_lo, s0, v16, vcc_lo
	s_waitcnt lgkmcnt(0)
	global_store_b32 v[15:16], v17, off offset:-4096
                                        ; implicit-def: $vgpr15
.LBB1999_282:
	s_and_not1_saveexec_b32 s6, s6
	s_cbranch_execz .LBB1999_284
; %bb.283:
	v_lshlrev_b32_e32 v16, 2, v0
	v_lshlrev_b32_e32 v15, 2, v15
	v_readfirstlane_b32 s8, v9
	v_readfirstlane_b32 s9, v10
	ds_load_b32 v16, v16 offset:4096
	s_waitcnt lgkmcnt(0)
	global_store_b32 v15, v16, s[8:9]
.LBB1999_284:
	s_or_b32 exec_lo, exec_lo, s6
                                        ; implicit-def: $vgpr15
.LBB1999_285:
	s_and_not1_saveexec_b32 s5, s5
	s_cbranch_execz .LBB1999_287
; %bb.286:
	v_lshlrev_b32_e32 v16, 2, v0
	v_lshlrev_b32_e32 v15, 2, v15
	v_readfirstlane_b32 s6, v11
	v_readfirstlane_b32 s7, v12
	ds_load_b32 v16, v16 offset:4096
	s_waitcnt lgkmcnt(0)
	global_store_b32 v15, v16, s[6:7]
.LBB1999_287:
	s_or_b32 exec_lo, exec_lo, s3
	v_or_b32_e32 v15, 0x500, v0
	s_mov_b32 s3, exec_lo
	s_delay_alu instid0(VALU_DEP_1)
	v_cmpx_gt_u32_e64 s4, v15
	s_cbranch_execz .LBB1999_296
; %bb.288:
	s_mov_b32 s5, exec_lo
	v_cmpx_le_u32_e64 v5, v15
	s_xor_b32 s5, exec_lo, s5
	s_cbranch_execz .LBB1999_294
; %bb.289:
	s_mov_b32 s6, exec_lo
	v_cmpx_le_u32_e64 v14, v15
	s_xor_b32 s6, exec_lo, s6
	s_cbranch_execz .LBB1999_291
; %bb.290:
	v_lshlrev_b32_e32 v16, 2, v0
	v_add_co_u32 v15, vcc_lo, v7, v15
	ds_load_b32 v17, v16 offset:5120
	v_add_co_ci_u32_e32 v16, vcc_lo, 0, v13, vcc_lo
	s_delay_alu instid0(VALU_DEP_1) | instskip(NEXT) | instid1(VALU_DEP_1)
	v_lshlrev_b64 v[15:16], 2, v[15:16]
	v_sub_co_u32 v15, vcc_lo, s1, v15
	s_delay_alu instid0(VALU_DEP_2)
	v_sub_co_ci_u32_e32 v16, vcc_lo, s0, v16, vcc_lo
	s_waitcnt lgkmcnt(0)
	global_store_b32 v[15:16], v17, off
                                        ; implicit-def: $vgpr15
.LBB1999_291:
	s_and_not1_saveexec_b32 s6, s6
	s_cbranch_execz .LBB1999_293
; %bb.292:
	v_lshlrev_b32_e32 v16, 2, v0
	v_lshlrev_b32_e32 v15, 2, v15
	v_readfirstlane_b32 s8, v9
	v_readfirstlane_b32 s9, v10
	ds_load_b32 v16, v16 offset:5120
	s_waitcnt lgkmcnt(0)
	global_store_b32 v15, v16, s[8:9]
.LBB1999_293:
	s_or_b32 exec_lo, exec_lo, s6
                                        ; implicit-def: $vgpr15
.LBB1999_294:
	s_and_not1_saveexec_b32 s5, s5
	s_cbranch_execz .LBB1999_296
; %bb.295:
	v_lshlrev_b32_e32 v16, 2, v0
	v_lshlrev_b32_e32 v15, 2, v15
	v_readfirstlane_b32 s6, v11
	v_readfirstlane_b32 s7, v12
	ds_load_b32 v16, v16 offset:5120
	s_waitcnt lgkmcnt(0)
	global_store_b32 v15, v16, s[6:7]
.LBB1999_296:
	s_or_b32 exec_lo, exec_lo, s3
	v_or_b32_e32 v15, 0x600, v0
	s_mov_b32 s3, exec_lo
	s_delay_alu instid0(VALU_DEP_1)
	v_cmpx_gt_u32_e64 s4, v15
	s_cbranch_execz .LBB1999_305
; %bb.297:
	s_mov_b32 s5, exec_lo
	v_cmpx_le_u32_e64 v5, v15
	s_xor_b32 s5, exec_lo, s5
	s_cbranch_execz .LBB1999_303
; %bb.298:
	s_mov_b32 s6, exec_lo
	v_cmpx_le_u32_e64 v14, v15
	s_xor_b32 s6, exec_lo, s6
	s_cbranch_execz .LBB1999_300
; %bb.299:
	v_lshlrev_b32_e32 v16, 2, v0
	v_add_co_u32 v15, vcc_lo, v7, v15
	ds_load_b32 v17, v16 offset:6144
	v_add_co_ci_u32_e32 v16, vcc_lo, 0, v13, vcc_lo
	s_delay_alu instid0(VALU_DEP_1) | instskip(NEXT) | instid1(VALU_DEP_1)
	v_lshlrev_b64 v[15:16], 2, v[15:16]
	v_sub_co_u32 v15, vcc_lo, s1, v15
	s_delay_alu instid0(VALU_DEP_2)
	v_sub_co_ci_u32_e32 v16, vcc_lo, s0, v16, vcc_lo
	s_waitcnt lgkmcnt(0)
	global_store_b32 v[15:16], v17, off
                                        ; implicit-def: $vgpr15
.LBB1999_300:
	s_and_not1_saveexec_b32 s6, s6
	s_cbranch_execz .LBB1999_302
; %bb.301:
	v_lshlrev_b32_e32 v16, 2, v0
	v_lshlrev_b32_e32 v15, 2, v15
	v_readfirstlane_b32 s8, v9
	v_readfirstlane_b32 s9, v10
	ds_load_b32 v16, v16 offset:6144
	s_waitcnt lgkmcnt(0)
	global_store_b32 v15, v16, s[8:9]
.LBB1999_302:
	s_or_b32 exec_lo, exec_lo, s6
                                        ; implicit-def: $vgpr15
.LBB1999_303:
	s_and_not1_saveexec_b32 s5, s5
	s_cbranch_execz .LBB1999_305
; %bb.304:
	v_lshlrev_b32_e32 v16, 2, v0
	v_lshlrev_b32_e32 v15, 2, v15
	v_readfirstlane_b32 s6, v11
	v_readfirstlane_b32 s7, v12
	ds_load_b32 v16, v16 offset:6144
	s_waitcnt lgkmcnt(0)
	global_store_b32 v15, v16, s[6:7]
.LBB1999_305:
	;; [unrolled: 55-line block ×7, first 2 shown]
	s_or_b32 exec_lo, exec_lo, s3
	v_or_b32_e32 v15, 0xc00, v0
	s_mov_b32 s3, exec_lo
	s_delay_alu instid0(VALU_DEP_1)
	v_cmpx_gt_u32_e64 s4, v15
	s_cbranch_execz .LBB1999_359
; %bb.351:
	s_mov_b32 s4, exec_lo
	v_cmpx_le_u32_e64 v5, v15
	s_xor_b32 s4, exec_lo, s4
	s_cbranch_execz .LBB1999_357
; %bb.352:
	s_mov_b32 s5, exec_lo
	v_cmpx_le_u32_e64 v14, v15
	s_xor_b32 s5, exec_lo, s5
	s_cbranch_execz .LBB1999_354
; %bb.353:
	v_lshlrev_b32_e32 v0, 2, v0
	v_add_co_u32 v9, vcc_lo, v7, v15
	v_add_co_ci_u32_e32 v10, vcc_lo, 0, v13, vcc_lo
	ds_load_b32 v0, v0 offset:12288
                                        ; implicit-def: $vgpr15
	v_lshlrev_b64 v[9:10], 2, v[9:10]
	s_delay_alu instid0(VALU_DEP_1) | instskip(NEXT) | instid1(VALU_DEP_2)
	v_sub_co_u32 v9, vcc_lo, s1, v9
	v_sub_co_ci_u32_e32 v10, vcc_lo, s0, v10, vcc_lo
	s_waitcnt lgkmcnt(0)
	global_store_b32 v[9:10], v0, off
                                        ; implicit-def: $vgpr0
                                        ; implicit-def: $vgpr9_vgpr10
.LBB1999_354:
	s_and_not1_saveexec_b32 s0, s5
	s_cbranch_execz .LBB1999_356
; %bb.355:
	v_lshlrev_b32_e32 v0, 2, v0
	v_lshlrev_b32_e32 v7, 2, v15
	v_readfirstlane_b32 s6, v9
	v_readfirstlane_b32 s7, v10
	ds_load_b32 v0, v0 offset:12288
	s_waitcnt lgkmcnt(0)
	global_store_b32 v7, v0, s[6:7]
.LBB1999_356:
	s_or_b32 exec_lo, exec_lo, s0
                                        ; implicit-def: $vgpr0
                                        ; implicit-def: $vgpr15
                                        ; implicit-def: $vgpr11_vgpr12
.LBB1999_357:
	s_and_not1_saveexec_b32 s0, s4
	s_cbranch_execz .LBB1999_359
; %bb.358:
	v_lshlrev_b32_e32 v0, 2, v0
	v_lshlrev_b32_e32 v7, 2, v15
	v_readfirstlane_b32 s0, v11
	v_readfirstlane_b32 s1, v12
	ds_load_b32 v0, v0 offset:12288
	s_waitcnt lgkmcnt(0)
	global_store_b32 v7, v0, s[0:1]
.LBB1999_359:
	s_or_b32 exec_lo, exec_lo, s3
	s_and_b32 s0, s2, s13
	s_delay_alu instid0(SALU_CYCLE_1)
	s_and_saveexec_b32 s1, s0
	s_cbranch_execz .LBB1999_136
.LBB1999_360:
	v_add_co_u32 v3, vcc_lo, v3, v6
	v_add_co_ci_u32_e32 v4, vcc_lo, 0, v4, vcc_lo
	v_add_co_u32 v0, vcc_lo, v1, v5
	v_add_co_ci_u32_e32 v1, vcc_lo, 0, v2, vcc_lo
	s_delay_alu instid0(VALU_DEP_4)
	v_add_co_u32 v2, vcc_lo, v3, v8
	v_mov_b32_e32 v7, 0
	v_add_co_ci_u32_e32 v3, vcc_lo, 0, v4, vcc_lo
	global_store_b128 v7, v[0:3], s[24:25]
	s_nop 0
	s_sendmsg sendmsg(MSG_DEALLOC_VGPRS)
	s_endpgm
.LBB1999_361:
	v_add_nc_u32_e32 v7, s6, v27
	s_add_i32 s8, s26, 32
	s_mov_b32 s9, 0
	v_dual_mov_b32 v9, 0 :: v_dual_add_nc_u32 v6, v26, v5
	s_lshl_b64 s[8:9], s[8:9], 4
	v_and_b32_e32 v24, 0xff0000, v7
	s_add_u32 s8, s36, s8
	s_addc_u32 s9, s37, s9
	v_and_b32_e32 v8, 0xff000000, v7
	s_delay_alu instid0(VALU_DEP_1) | instskip(SKIP_2) | instid1(VALU_DEP_1)
	v_or_b32_e32 v24, v24, v8
	v_dual_mov_b32 v8, 2 :: v_dual_and_b32 v25, 0xff00, v7
	v_and_b32_e32 v7, 0xff, v7
	v_or3_b32 v7, v24, v25, v7
	v_dual_mov_b32 v25, s9 :: v_dual_mov_b32 v24, s8
	;;#ASMSTART
	global_store_dwordx4 v[24:25], v[6:9] off	
s_waitcnt vmcnt(0)
	;;#ASMEND
	s_or_b32 exec_lo, exec_lo, s7
	s_and_saveexec_b32 s7, s3
	s_cbranch_execz .LBB1999_120
.LBB1999_362:
	v_mov_b32_e32 v6, s6
	v_add_nc_u32_e64 v7, 0x3400, 0
	ds_store_2addr_b32 v7, v5, v6 offset1:2
	ds_store_2addr_b32 v7, v26, v27 offset0:4 offset1:6
	s_or_b32 exec_lo, exec_lo, s7
	s_delay_alu instid0(SALU_CYCLE_1)
	s_and_b32 exec_lo, exec_lo, s2
	s_cbranch_execnz .LBB1999_121
	s_branch .LBB1999_122
	.section	.rodata,"a",@progbits
	.p2align	6, 0x0
	.amdhsa_kernel _ZN7rocprim17ROCPRIM_400000_NS6detail17trampoline_kernelINS0_13select_configILj256ELj13ELNS0_17block_load_methodE3ELS4_3ELS4_3ELNS0_20block_scan_algorithmE0ELj4294967295EEENS1_25partition_config_selectorILNS1_17partition_subalgoE4EjNS0_10empty_typeEbEEZZNS1_14partition_implILS8_4ELb0ES6_15HIP_vector_typeIjLj2EENS0_17counting_iteratorIjlEEPS9_SG_NS0_5tupleIJPjSI_NS0_16reverse_iteratorISI_EEEEENSH_IJSG_SG_SG_EEES9_SI_JZNS1_25segmented_radix_sort_implINS0_14default_configELb0EPK12hip_bfloat16PSP_PKlPlN2at6native12_GLOBAL__N_18offset_tEEE10hipError_tPvRmT1_PNSt15iterator_traitsIS13_E10value_typeET2_T3_PNS14_IS19_E10value_typeET4_jRbjT5_S1F_jjP12ihipStream_tbEUljE_ZNSN_ISO_Lb0ESR_SS_SU_SV_SZ_EES10_S11_S12_S13_S17_S18_S19_S1C_S1D_jS1E_jS1F_S1F_jjS1H_bEUljE0_EEES10_S11_S12_S19_S1D_S1F_T6_T7_T9_mT8_S1H_bDpT10_ENKUlT_T0_E_clISt17integral_constantIbLb1EES1V_EEDaS1Q_S1R_EUlS1Q_E_NS1_11comp_targetILNS1_3genE9ELNS1_11target_archE1100ELNS1_3gpuE3ELNS1_3repE0EEENS1_30default_config_static_selectorELNS0_4arch9wavefront6targetE0EEEvS13_
		.amdhsa_group_segment_fixed_size 13340
		.amdhsa_private_segment_fixed_size 0
		.amdhsa_kernarg_size 184
		.amdhsa_user_sgpr_count 15
		.amdhsa_user_sgpr_dispatch_ptr 0
		.amdhsa_user_sgpr_queue_ptr 0
		.amdhsa_user_sgpr_kernarg_segment_ptr 1
		.amdhsa_user_sgpr_dispatch_id 0
		.amdhsa_user_sgpr_private_segment_size 0
		.amdhsa_wavefront_size32 1
		.amdhsa_uses_dynamic_stack 0
		.amdhsa_enable_private_segment 0
		.amdhsa_system_sgpr_workgroup_id_x 1
		.amdhsa_system_sgpr_workgroup_id_y 0
		.amdhsa_system_sgpr_workgroup_id_z 0
		.amdhsa_system_sgpr_workgroup_info 0
		.amdhsa_system_vgpr_workitem_id 0
		.amdhsa_next_free_vgpr 103
		.amdhsa_next_free_sgpr 55
		.amdhsa_reserve_vcc 1
		.amdhsa_float_round_mode_32 0
		.amdhsa_float_round_mode_16_64 0
		.amdhsa_float_denorm_mode_32 3
		.amdhsa_float_denorm_mode_16_64 3
		.amdhsa_dx10_clamp 1
		.amdhsa_ieee_mode 1
		.amdhsa_fp16_overflow 0
		.amdhsa_workgroup_processor_mode 1
		.amdhsa_memory_ordered 1
		.amdhsa_forward_progress 0
		.amdhsa_shared_vgpr_count 0
		.amdhsa_exception_fp_ieee_invalid_op 0
		.amdhsa_exception_fp_denorm_src 0
		.amdhsa_exception_fp_ieee_div_zero 0
		.amdhsa_exception_fp_ieee_overflow 0
		.amdhsa_exception_fp_ieee_underflow 0
		.amdhsa_exception_fp_ieee_inexact 0
		.amdhsa_exception_int_div_zero 0
	.end_amdhsa_kernel
	.section	.text._ZN7rocprim17ROCPRIM_400000_NS6detail17trampoline_kernelINS0_13select_configILj256ELj13ELNS0_17block_load_methodE3ELS4_3ELS4_3ELNS0_20block_scan_algorithmE0ELj4294967295EEENS1_25partition_config_selectorILNS1_17partition_subalgoE4EjNS0_10empty_typeEbEEZZNS1_14partition_implILS8_4ELb0ES6_15HIP_vector_typeIjLj2EENS0_17counting_iteratorIjlEEPS9_SG_NS0_5tupleIJPjSI_NS0_16reverse_iteratorISI_EEEEENSH_IJSG_SG_SG_EEES9_SI_JZNS1_25segmented_radix_sort_implINS0_14default_configELb0EPK12hip_bfloat16PSP_PKlPlN2at6native12_GLOBAL__N_18offset_tEEE10hipError_tPvRmT1_PNSt15iterator_traitsIS13_E10value_typeET2_T3_PNS14_IS19_E10value_typeET4_jRbjT5_S1F_jjP12ihipStream_tbEUljE_ZNSN_ISO_Lb0ESR_SS_SU_SV_SZ_EES10_S11_S12_S13_S17_S18_S19_S1C_S1D_jS1E_jS1F_S1F_jjS1H_bEUljE0_EEES10_S11_S12_S19_S1D_S1F_T6_T7_T9_mT8_S1H_bDpT10_ENKUlT_T0_E_clISt17integral_constantIbLb1EES1V_EEDaS1Q_S1R_EUlS1Q_E_NS1_11comp_targetILNS1_3genE9ELNS1_11target_archE1100ELNS1_3gpuE3ELNS1_3repE0EEENS1_30default_config_static_selectorELNS0_4arch9wavefront6targetE0EEEvS13_,"axG",@progbits,_ZN7rocprim17ROCPRIM_400000_NS6detail17trampoline_kernelINS0_13select_configILj256ELj13ELNS0_17block_load_methodE3ELS4_3ELS4_3ELNS0_20block_scan_algorithmE0ELj4294967295EEENS1_25partition_config_selectorILNS1_17partition_subalgoE4EjNS0_10empty_typeEbEEZZNS1_14partition_implILS8_4ELb0ES6_15HIP_vector_typeIjLj2EENS0_17counting_iteratorIjlEEPS9_SG_NS0_5tupleIJPjSI_NS0_16reverse_iteratorISI_EEEEENSH_IJSG_SG_SG_EEES9_SI_JZNS1_25segmented_radix_sort_implINS0_14default_configELb0EPK12hip_bfloat16PSP_PKlPlN2at6native12_GLOBAL__N_18offset_tEEE10hipError_tPvRmT1_PNSt15iterator_traitsIS13_E10value_typeET2_T3_PNS14_IS19_E10value_typeET4_jRbjT5_S1F_jjP12ihipStream_tbEUljE_ZNSN_ISO_Lb0ESR_SS_SU_SV_SZ_EES10_S11_S12_S13_S17_S18_S19_S1C_S1D_jS1E_jS1F_S1F_jjS1H_bEUljE0_EEES10_S11_S12_S19_S1D_S1F_T6_T7_T9_mT8_S1H_bDpT10_ENKUlT_T0_E_clISt17integral_constantIbLb1EES1V_EEDaS1Q_S1R_EUlS1Q_E_NS1_11comp_targetILNS1_3genE9ELNS1_11target_archE1100ELNS1_3gpuE3ELNS1_3repE0EEENS1_30default_config_static_selectorELNS0_4arch9wavefront6targetE0EEEvS13_,comdat
.Lfunc_end1999:
	.size	_ZN7rocprim17ROCPRIM_400000_NS6detail17trampoline_kernelINS0_13select_configILj256ELj13ELNS0_17block_load_methodE3ELS4_3ELS4_3ELNS0_20block_scan_algorithmE0ELj4294967295EEENS1_25partition_config_selectorILNS1_17partition_subalgoE4EjNS0_10empty_typeEbEEZZNS1_14partition_implILS8_4ELb0ES6_15HIP_vector_typeIjLj2EENS0_17counting_iteratorIjlEEPS9_SG_NS0_5tupleIJPjSI_NS0_16reverse_iteratorISI_EEEEENSH_IJSG_SG_SG_EEES9_SI_JZNS1_25segmented_radix_sort_implINS0_14default_configELb0EPK12hip_bfloat16PSP_PKlPlN2at6native12_GLOBAL__N_18offset_tEEE10hipError_tPvRmT1_PNSt15iterator_traitsIS13_E10value_typeET2_T3_PNS14_IS19_E10value_typeET4_jRbjT5_S1F_jjP12ihipStream_tbEUljE_ZNSN_ISO_Lb0ESR_SS_SU_SV_SZ_EES10_S11_S12_S13_S17_S18_S19_S1C_S1D_jS1E_jS1F_S1F_jjS1H_bEUljE0_EEES10_S11_S12_S19_S1D_S1F_T6_T7_T9_mT8_S1H_bDpT10_ENKUlT_T0_E_clISt17integral_constantIbLb1EES1V_EEDaS1Q_S1R_EUlS1Q_E_NS1_11comp_targetILNS1_3genE9ELNS1_11target_archE1100ELNS1_3gpuE3ELNS1_3repE0EEENS1_30default_config_static_selectorELNS0_4arch9wavefront6targetE0EEEvS13_, .Lfunc_end1999-_ZN7rocprim17ROCPRIM_400000_NS6detail17trampoline_kernelINS0_13select_configILj256ELj13ELNS0_17block_load_methodE3ELS4_3ELS4_3ELNS0_20block_scan_algorithmE0ELj4294967295EEENS1_25partition_config_selectorILNS1_17partition_subalgoE4EjNS0_10empty_typeEbEEZZNS1_14partition_implILS8_4ELb0ES6_15HIP_vector_typeIjLj2EENS0_17counting_iteratorIjlEEPS9_SG_NS0_5tupleIJPjSI_NS0_16reverse_iteratorISI_EEEEENSH_IJSG_SG_SG_EEES9_SI_JZNS1_25segmented_radix_sort_implINS0_14default_configELb0EPK12hip_bfloat16PSP_PKlPlN2at6native12_GLOBAL__N_18offset_tEEE10hipError_tPvRmT1_PNSt15iterator_traitsIS13_E10value_typeET2_T3_PNS14_IS19_E10value_typeET4_jRbjT5_S1F_jjP12ihipStream_tbEUljE_ZNSN_ISO_Lb0ESR_SS_SU_SV_SZ_EES10_S11_S12_S13_S17_S18_S19_S1C_S1D_jS1E_jS1F_S1F_jjS1H_bEUljE0_EEES10_S11_S12_S19_S1D_S1F_T6_T7_T9_mT8_S1H_bDpT10_ENKUlT_T0_E_clISt17integral_constantIbLb1EES1V_EEDaS1Q_S1R_EUlS1Q_E_NS1_11comp_targetILNS1_3genE9ELNS1_11target_archE1100ELNS1_3gpuE3ELNS1_3repE0EEENS1_30default_config_static_selectorELNS0_4arch9wavefront6targetE0EEEvS13_
                                        ; -- End function
	.section	.AMDGPU.csdata,"",@progbits
; Kernel info:
; codeLenInByte = 15160
; NumSgprs: 57
; NumVgprs: 103
; ScratchSize: 0
; MemoryBound: 0
; FloatMode: 240
; IeeeMode: 1
; LDSByteSize: 13340 bytes/workgroup (compile time only)
; SGPRBlocks: 7
; VGPRBlocks: 12
; NumSGPRsForWavesPerEU: 57
; NumVGPRsForWavesPerEU: 103
; Occupancy: 12
; WaveLimiterHint : 1
; COMPUTE_PGM_RSRC2:SCRATCH_EN: 0
; COMPUTE_PGM_RSRC2:USER_SGPR: 15
; COMPUTE_PGM_RSRC2:TRAP_HANDLER: 0
; COMPUTE_PGM_RSRC2:TGID_X_EN: 1
; COMPUTE_PGM_RSRC2:TGID_Y_EN: 0
; COMPUTE_PGM_RSRC2:TGID_Z_EN: 0
; COMPUTE_PGM_RSRC2:TIDIG_COMP_CNT: 0
	.section	.text._ZN7rocprim17ROCPRIM_400000_NS6detail17trampoline_kernelINS0_13select_configILj256ELj13ELNS0_17block_load_methodE3ELS4_3ELS4_3ELNS0_20block_scan_algorithmE0ELj4294967295EEENS1_25partition_config_selectorILNS1_17partition_subalgoE4EjNS0_10empty_typeEbEEZZNS1_14partition_implILS8_4ELb0ES6_15HIP_vector_typeIjLj2EENS0_17counting_iteratorIjlEEPS9_SG_NS0_5tupleIJPjSI_NS0_16reverse_iteratorISI_EEEEENSH_IJSG_SG_SG_EEES9_SI_JZNS1_25segmented_radix_sort_implINS0_14default_configELb0EPK12hip_bfloat16PSP_PKlPlN2at6native12_GLOBAL__N_18offset_tEEE10hipError_tPvRmT1_PNSt15iterator_traitsIS13_E10value_typeET2_T3_PNS14_IS19_E10value_typeET4_jRbjT5_S1F_jjP12ihipStream_tbEUljE_ZNSN_ISO_Lb0ESR_SS_SU_SV_SZ_EES10_S11_S12_S13_S17_S18_S19_S1C_S1D_jS1E_jS1F_S1F_jjS1H_bEUljE0_EEES10_S11_S12_S19_S1D_S1F_T6_T7_T9_mT8_S1H_bDpT10_ENKUlT_T0_E_clISt17integral_constantIbLb1EES1V_EEDaS1Q_S1R_EUlS1Q_E_NS1_11comp_targetILNS1_3genE8ELNS1_11target_archE1030ELNS1_3gpuE2ELNS1_3repE0EEENS1_30default_config_static_selectorELNS0_4arch9wavefront6targetE0EEEvS13_,"axG",@progbits,_ZN7rocprim17ROCPRIM_400000_NS6detail17trampoline_kernelINS0_13select_configILj256ELj13ELNS0_17block_load_methodE3ELS4_3ELS4_3ELNS0_20block_scan_algorithmE0ELj4294967295EEENS1_25partition_config_selectorILNS1_17partition_subalgoE4EjNS0_10empty_typeEbEEZZNS1_14partition_implILS8_4ELb0ES6_15HIP_vector_typeIjLj2EENS0_17counting_iteratorIjlEEPS9_SG_NS0_5tupleIJPjSI_NS0_16reverse_iteratorISI_EEEEENSH_IJSG_SG_SG_EEES9_SI_JZNS1_25segmented_radix_sort_implINS0_14default_configELb0EPK12hip_bfloat16PSP_PKlPlN2at6native12_GLOBAL__N_18offset_tEEE10hipError_tPvRmT1_PNSt15iterator_traitsIS13_E10value_typeET2_T3_PNS14_IS19_E10value_typeET4_jRbjT5_S1F_jjP12ihipStream_tbEUljE_ZNSN_ISO_Lb0ESR_SS_SU_SV_SZ_EES10_S11_S12_S13_S17_S18_S19_S1C_S1D_jS1E_jS1F_S1F_jjS1H_bEUljE0_EEES10_S11_S12_S19_S1D_S1F_T6_T7_T9_mT8_S1H_bDpT10_ENKUlT_T0_E_clISt17integral_constantIbLb1EES1V_EEDaS1Q_S1R_EUlS1Q_E_NS1_11comp_targetILNS1_3genE8ELNS1_11target_archE1030ELNS1_3gpuE2ELNS1_3repE0EEENS1_30default_config_static_selectorELNS0_4arch9wavefront6targetE0EEEvS13_,comdat
	.globl	_ZN7rocprim17ROCPRIM_400000_NS6detail17trampoline_kernelINS0_13select_configILj256ELj13ELNS0_17block_load_methodE3ELS4_3ELS4_3ELNS0_20block_scan_algorithmE0ELj4294967295EEENS1_25partition_config_selectorILNS1_17partition_subalgoE4EjNS0_10empty_typeEbEEZZNS1_14partition_implILS8_4ELb0ES6_15HIP_vector_typeIjLj2EENS0_17counting_iteratorIjlEEPS9_SG_NS0_5tupleIJPjSI_NS0_16reverse_iteratorISI_EEEEENSH_IJSG_SG_SG_EEES9_SI_JZNS1_25segmented_radix_sort_implINS0_14default_configELb0EPK12hip_bfloat16PSP_PKlPlN2at6native12_GLOBAL__N_18offset_tEEE10hipError_tPvRmT1_PNSt15iterator_traitsIS13_E10value_typeET2_T3_PNS14_IS19_E10value_typeET4_jRbjT5_S1F_jjP12ihipStream_tbEUljE_ZNSN_ISO_Lb0ESR_SS_SU_SV_SZ_EES10_S11_S12_S13_S17_S18_S19_S1C_S1D_jS1E_jS1F_S1F_jjS1H_bEUljE0_EEES10_S11_S12_S19_S1D_S1F_T6_T7_T9_mT8_S1H_bDpT10_ENKUlT_T0_E_clISt17integral_constantIbLb1EES1V_EEDaS1Q_S1R_EUlS1Q_E_NS1_11comp_targetILNS1_3genE8ELNS1_11target_archE1030ELNS1_3gpuE2ELNS1_3repE0EEENS1_30default_config_static_selectorELNS0_4arch9wavefront6targetE0EEEvS13_ ; -- Begin function _ZN7rocprim17ROCPRIM_400000_NS6detail17trampoline_kernelINS0_13select_configILj256ELj13ELNS0_17block_load_methodE3ELS4_3ELS4_3ELNS0_20block_scan_algorithmE0ELj4294967295EEENS1_25partition_config_selectorILNS1_17partition_subalgoE4EjNS0_10empty_typeEbEEZZNS1_14partition_implILS8_4ELb0ES6_15HIP_vector_typeIjLj2EENS0_17counting_iteratorIjlEEPS9_SG_NS0_5tupleIJPjSI_NS0_16reverse_iteratorISI_EEEEENSH_IJSG_SG_SG_EEES9_SI_JZNS1_25segmented_radix_sort_implINS0_14default_configELb0EPK12hip_bfloat16PSP_PKlPlN2at6native12_GLOBAL__N_18offset_tEEE10hipError_tPvRmT1_PNSt15iterator_traitsIS13_E10value_typeET2_T3_PNS14_IS19_E10value_typeET4_jRbjT5_S1F_jjP12ihipStream_tbEUljE_ZNSN_ISO_Lb0ESR_SS_SU_SV_SZ_EES10_S11_S12_S13_S17_S18_S19_S1C_S1D_jS1E_jS1F_S1F_jjS1H_bEUljE0_EEES10_S11_S12_S19_S1D_S1F_T6_T7_T9_mT8_S1H_bDpT10_ENKUlT_T0_E_clISt17integral_constantIbLb1EES1V_EEDaS1Q_S1R_EUlS1Q_E_NS1_11comp_targetILNS1_3genE8ELNS1_11target_archE1030ELNS1_3gpuE2ELNS1_3repE0EEENS1_30default_config_static_selectorELNS0_4arch9wavefront6targetE0EEEvS13_
	.p2align	8
	.type	_ZN7rocprim17ROCPRIM_400000_NS6detail17trampoline_kernelINS0_13select_configILj256ELj13ELNS0_17block_load_methodE3ELS4_3ELS4_3ELNS0_20block_scan_algorithmE0ELj4294967295EEENS1_25partition_config_selectorILNS1_17partition_subalgoE4EjNS0_10empty_typeEbEEZZNS1_14partition_implILS8_4ELb0ES6_15HIP_vector_typeIjLj2EENS0_17counting_iteratorIjlEEPS9_SG_NS0_5tupleIJPjSI_NS0_16reverse_iteratorISI_EEEEENSH_IJSG_SG_SG_EEES9_SI_JZNS1_25segmented_radix_sort_implINS0_14default_configELb0EPK12hip_bfloat16PSP_PKlPlN2at6native12_GLOBAL__N_18offset_tEEE10hipError_tPvRmT1_PNSt15iterator_traitsIS13_E10value_typeET2_T3_PNS14_IS19_E10value_typeET4_jRbjT5_S1F_jjP12ihipStream_tbEUljE_ZNSN_ISO_Lb0ESR_SS_SU_SV_SZ_EES10_S11_S12_S13_S17_S18_S19_S1C_S1D_jS1E_jS1F_S1F_jjS1H_bEUljE0_EEES10_S11_S12_S19_S1D_S1F_T6_T7_T9_mT8_S1H_bDpT10_ENKUlT_T0_E_clISt17integral_constantIbLb1EES1V_EEDaS1Q_S1R_EUlS1Q_E_NS1_11comp_targetILNS1_3genE8ELNS1_11target_archE1030ELNS1_3gpuE2ELNS1_3repE0EEENS1_30default_config_static_selectorELNS0_4arch9wavefront6targetE0EEEvS13_,@function
_ZN7rocprim17ROCPRIM_400000_NS6detail17trampoline_kernelINS0_13select_configILj256ELj13ELNS0_17block_load_methodE3ELS4_3ELS4_3ELNS0_20block_scan_algorithmE0ELj4294967295EEENS1_25partition_config_selectorILNS1_17partition_subalgoE4EjNS0_10empty_typeEbEEZZNS1_14partition_implILS8_4ELb0ES6_15HIP_vector_typeIjLj2EENS0_17counting_iteratorIjlEEPS9_SG_NS0_5tupleIJPjSI_NS0_16reverse_iteratorISI_EEEEENSH_IJSG_SG_SG_EEES9_SI_JZNS1_25segmented_radix_sort_implINS0_14default_configELb0EPK12hip_bfloat16PSP_PKlPlN2at6native12_GLOBAL__N_18offset_tEEE10hipError_tPvRmT1_PNSt15iterator_traitsIS13_E10value_typeET2_T3_PNS14_IS19_E10value_typeET4_jRbjT5_S1F_jjP12ihipStream_tbEUljE_ZNSN_ISO_Lb0ESR_SS_SU_SV_SZ_EES10_S11_S12_S13_S17_S18_S19_S1C_S1D_jS1E_jS1F_S1F_jjS1H_bEUljE0_EEES10_S11_S12_S19_S1D_S1F_T6_T7_T9_mT8_S1H_bDpT10_ENKUlT_T0_E_clISt17integral_constantIbLb1EES1V_EEDaS1Q_S1R_EUlS1Q_E_NS1_11comp_targetILNS1_3genE8ELNS1_11target_archE1030ELNS1_3gpuE2ELNS1_3repE0EEENS1_30default_config_static_selectorELNS0_4arch9wavefront6targetE0EEEvS13_: ; @_ZN7rocprim17ROCPRIM_400000_NS6detail17trampoline_kernelINS0_13select_configILj256ELj13ELNS0_17block_load_methodE3ELS4_3ELS4_3ELNS0_20block_scan_algorithmE0ELj4294967295EEENS1_25partition_config_selectorILNS1_17partition_subalgoE4EjNS0_10empty_typeEbEEZZNS1_14partition_implILS8_4ELb0ES6_15HIP_vector_typeIjLj2EENS0_17counting_iteratorIjlEEPS9_SG_NS0_5tupleIJPjSI_NS0_16reverse_iteratorISI_EEEEENSH_IJSG_SG_SG_EEES9_SI_JZNS1_25segmented_radix_sort_implINS0_14default_configELb0EPK12hip_bfloat16PSP_PKlPlN2at6native12_GLOBAL__N_18offset_tEEE10hipError_tPvRmT1_PNSt15iterator_traitsIS13_E10value_typeET2_T3_PNS14_IS19_E10value_typeET4_jRbjT5_S1F_jjP12ihipStream_tbEUljE_ZNSN_ISO_Lb0ESR_SS_SU_SV_SZ_EES10_S11_S12_S13_S17_S18_S19_S1C_S1D_jS1E_jS1F_S1F_jjS1H_bEUljE0_EEES10_S11_S12_S19_S1D_S1F_T6_T7_T9_mT8_S1H_bDpT10_ENKUlT_T0_E_clISt17integral_constantIbLb1EES1V_EEDaS1Q_S1R_EUlS1Q_E_NS1_11comp_targetILNS1_3genE8ELNS1_11target_archE1030ELNS1_3gpuE2ELNS1_3repE0EEENS1_30default_config_static_selectorELNS0_4arch9wavefront6targetE0EEEvS13_
; %bb.0:
	.section	.rodata,"a",@progbits
	.p2align	6, 0x0
	.amdhsa_kernel _ZN7rocprim17ROCPRIM_400000_NS6detail17trampoline_kernelINS0_13select_configILj256ELj13ELNS0_17block_load_methodE3ELS4_3ELS4_3ELNS0_20block_scan_algorithmE0ELj4294967295EEENS1_25partition_config_selectorILNS1_17partition_subalgoE4EjNS0_10empty_typeEbEEZZNS1_14partition_implILS8_4ELb0ES6_15HIP_vector_typeIjLj2EENS0_17counting_iteratorIjlEEPS9_SG_NS0_5tupleIJPjSI_NS0_16reverse_iteratorISI_EEEEENSH_IJSG_SG_SG_EEES9_SI_JZNS1_25segmented_radix_sort_implINS0_14default_configELb0EPK12hip_bfloat16PSP_PKlPlN2at6native12_GLOBAL__N_18offset_tEEE10hipError_tPvRmT1_PNSt15iterator_traitsIS13_E10value_typeET2_T3_PNS14_IS19_E10value_typeET4_jRbjT5_S1F_jjP12ihipStream_tbEUljE_ZNSN_ISO_Lb0ESR_SS_SU_SV_SZ_EES10_S11_S12_S13_S17_S18_S19_S1C_S1D_jS1E_jS1F_S1F_jjS1H_bEUljE0_EEES10_S11_S12_S19_S1D_S1F_T6_T7_T9_mT8_S1H_bDpT10_ENKUlT_T0_E_clISt17integral_constantIbLb1EES1V_EEDaS1Q_S1R_EUlS1Q_E_NS1_11comp_targetILNS1_3genE8ELNS1_11target_archE1030ELNS1_3gpuE2ELNS1_3repE0EEENS1_30default_config_static_selectorELNS0_4arch9wavefront6targetE0EEEvS13_
		.amdhsa_group_segment_fixed_size 0
		.amdhsa_private_segment_fixed_size 0
		.amdhsa_kernarg_size 184
		.amdhsa_user_sgpr_count 15
		.amdhsa_user_sgpr_dispatch_ptr 0
		.amdhsa_user_sgpr_queue_ptr 0
		.amdhsa_user_sgpr_kernarg_segment_ptr 1
		.amdhsa_user_sgpr_dispatch_id 0
		.amdhsa_user_sgpr_private_segment_size 0
		.amdhsa_wavefront_size32 1
		.amdhsa_uses_dynamic_stack 0
		.amdhsa_enable_private_segment 0
		.amdhsa_system_sgpr_workgroup_id_x 1
		.amdhsa_system_sgpr_workgroup_id_y 0
		.amdhsa_system_sgpr_workgroup_id_z 0
		.amdhsa_system_sgpr_workgroup_info 0
		.amdhsa_system_vgpr_workitem_id 0
		.amdhsa_next_free_vgpr 1
		.amdhsa_next_free_sgpr 1
		.amdhsa_reserve_vcc 0
		.amdhsa_float_round_mode_32 0
		.amdhsa_float_round_mode_16_64 0
		.amdhsa_float_denorm_mode_32 3
		.amdhsa_float_denorm_mode_16_64 3
		.amdhsa_dx10_clamp 1
		.amdhsa_ieee_mode 1
		.amdhsa_fp16_overflow 0
		.amdhsa_workgroup_processor_mode 1
		.amdhsa_memory_ordered 1
		.amdhsa_forward_progress 0
		.amdhsa_shared_vgpr_count 0
		.amdhsa_exception_fp_ieee_invalid_op 0
		.amdhsa_exception_fp_denorm_src 0
		.amdhsa_exception_fp_ieee_div_zero 0
		.amdhsa_exception_fp_ieee_overflow 0
		.amdhsa_exception_fp_ieee_underflow 0
		.amdhsa_exception_fp_ieee_inexact 0
		.amdhsa_exception_int_div_zero 0
	.end_amdhsa_kernel
	.section	.text._ZN7rocprim17ROCPRIM_400000_NS6detail17trampoline_kernelINS0_13select_configILj256ELj13ELNS0_17block_load_methodE3ELS4_3ELS4_3ELNS0_20block_scan_algorithmE0ELj4294967295EEENS1_25partition_config_selectorILNS1_17partition_subalgoE4EjNS0_10empty_typeEbEEZZNS1_14partition_implILS8_4ELb0ES6_15HIP_vector_typeIjLj2EENS0_17counting_iteratorIjlEEPS9_SG_NS0_5tupleIJPjSI_NS0_16reverse_iteratorISI_EEEEENSH_IJSG_SG_SG_EEES9_SI_JZNS1_25segmented_radix_sort_implINS0_14default_configELb0EPK12hip_bfloat16PSP_PKlPlN2at6native12_GLOBAL__N_18offset_tEEE10hipError_tPvRmT1_PNSt15iterator_traitsIS13_E10value_typeET2_T3_PNS14_IS19_E10value_typeET4_jRbjT5_S1F_jjP12ihipStream_tbEUljE_ZNSN_ISO_Lb0ESR_SS_SU_SV_SZ_EES10_S11_S12_S13_S17_S18_S19_S1C_S1D_jS1E_jS1F_S1F_jjS1H_bEUljE0_EEES10_S11_S12_S19_S1D_S1F_T6_T7_T9_mT8_S1H_bDpT10_ENKUlT_T0_E_clISt17integral_constantIbLb1EES1V_EEDaS1Q_S1R_EUlS1Q_E_NS1_11comp_targetILNS1_3genE8ELNS1_11target_archE1030ELNS1_3gpuE2ELNS1_3repE0EEENS1_30default_config_static_selectorELNS0_4arch9wavefront6targetE0EEEvS13_,"axG",@progbits,_ZN7rocprim17ROCPRIM_400000_NS6detail17trampoline_kernelINS0_13select_configILj256ELj13ELNS0_17block_load_methodE3ELS4_3ELS4_3ELNS0_20block_scan_algorithmE0ELj4294967295EEENS1_25partition_config_selectorILNS1_17partition_subalgoE4EjNS0_10empty_typeEbEEZZNS1_14partition_implILS8_4ELb0ES6_15HIP_vector_typeIjLj2EENS0_17counting_iteratorIjlEEPS9_SG_NS0_5tupleIJPjSI_NS0_16reverse_iteratorISI_EEEEENSH_IJSG_SG_SG_EEES9_SI_JZNS1_25segmented_radix_sort_implINS0_14default_configELb0EPK12hip_bfloat16PSP_PKlPlN2at6native12_GLOBAL__N_18offset_tEEE10hipError_tPvRmT1_PNSt15iterator_traitsIS13_E10value_typeET2_T3_PNS14_IS19_E10value_typeET4_jRbjT5_S1F_jjP12ihipStream_tbEUljE_ZNSN_ISO_Lb0ESR_SS_SU_SV_SZ_EES10_S11_S12_S13_S17_S18_S19_S1C_S1D_jS1E_jS1F_S1F_jjS1H_bEUljE0_EEES10_S11_S12_S19_S1D_S1F_T6_T7_T9_mT8_S1H_bDpT10_ENKUlT_T0_E_clISt17integral_constantIbLb1EES1V_EEDaS1Q_S1R_EUlS1Q_E_NS1_11comp_targetILNS1_3genE8ELNS1_11target_archE1030ELNS1_3gpuE2ELNS1_3repE0EEENS1_30default_config_static_selectorELNS0_4arch9wavefront6targetE0EEEvS13_,comdat
.Lfunc_end2000:
	.size	_ZN7rocprim17ROCPRIM_400000_NS6detail17trampoline_kernelINS0_13select_configILj256ELj13ELNS0_17block_load_methodE3ELS4_3ELS4_3ELNS0_20block_scan_algorithmE0ELj4294967295EEENS1_25partition_config_selectorILNS1_17partition_subalgoE4EjNS0_10empty_typeEbEEZZNS1_14partition_implILS8_4ELb0ES6_15HIP_vector_typeIjLj2EENS0_17counting_iteratorIjlEEPS9_SG_NS0_5tupleIJPjSI_NS0_16reverse_iteratorISI_EEEEENSH_IJSG_SG_SG_EEES9_SI_JZNS1_25segmented_radix_sort_implINS0_14default_configELb0EPK12hip_bfloat16PSP_PKlPlN2at6native12_GLOBAL__N_18offset_tEEE10hipError_tPvRmT1_PNSt15iterator_traitsIS13_E10value_typeET2_T3_PNS14_IS19_E10value_typeET4_jRbjT5_S1F_jjP12ihipStream_tbEUljE_ZNSN_ISO_Lb0ESR_SS_SU_SV_SZ_EES10_S11_S12_S13_S17_S18_S19_S1C_S1D_jS1E_jS1F_S1F_jjS1H_bEUljE0_EEES10_S11_S12_S19_S1D_S1F_T6_T7_T9_mT8_S1H_bDpT10_ENKUlT_T0_E_clISt17integral_constantIbLb1EES1V_EEDaS1Q_S1R_EUlS1Q_E_NS1_11comp_targetILNS1_3genE8ELNS1_11target_archE1030ELNS1_3gpuE2ELNS1_3repE0EEENS1_30default_config_static_selectorELNS0_4arch9wavefront6targetE0EEEvS13_, .Lfunc_end2000-_ZN7rocprim17ROCPRIM_400000_NS6detail17trampoline_kernelINS0_13select_configILj256ELj13ELNS0_17block_load_methodE3ELS4_3ELS4_3ELNS0_20block_scan_algorithmE0ELj4294967295EEENS1_25partition_config_selectorILNS1_17partition_subalgoE4EjNS0_10empty_typeEbEEZZNS1_14partition_implILS8_4ELb0ES6_15HIP_vector_typeIjLj2EENS0_17counting_iteratorIjlEEPS9_SG_NS0_5tupleIJPjSI_NS0_16reverse_iteratorISI_EEEEENSH_IJSG_SG_SG_EEES9_SI_JZNS1_25segmented_radix_sort_implINS0_14default_configELb0EPK12hip_bfloat16PSP_PKlPlN2at6native12_GLOBAL__N_18offset_tEEE10hipError_tPvRmT1_PNSt15iterator_traitsIS13_E10value_typeET2_T3_PNS14_IS19_E10value_typeET4_jRbjT5_S1F_jjP12ihipStream_tbEUljE_ZNSN_ISO_Lb0ESR_SS_SU_SV_SZ_EES10_S11_S12_S13_S17_S18_S19_S1C_S1D_jS1E_jS1F_S1F_jjS1H_bEUljE0_EEES10_S11_S12_S19_S1D_S1F_T6_T7_T9_mT8_S1H_bDpT10_ENKUlT_T0_E_clISt17integral_constantIbLb1EES1V_EEDaS1Q_S1R_EUlS1Q_E_NS1_11comp_targetILNS1_3genE8ELNS1_11target_archE1030ELNS1_3gpuE2ELNS1_3repE0EEENS1_30default_config_static_selectorELNS0_4arch9wavefront6targetE0EEEvS13_
                                        ; -- End function
	.section	.AMDGPU.csdata,"",@progbits
; Kernel info:
; codeLenInByte = 0
; NumSgprs: 0
; NumVgprs: 0
; ScratchSize: 0
; MemoryBound: 0
; FloatMode: 240
; IeeeMode: 1
; LDSByteSize: 0 bytes/workgroup (compile time only)
; SGPRBlocks: 0
; VGPRBlocks: 0
; NumSGPRsForWavesPerEU: 1
; NumVGPRsForWavesPerEU: 1
; Occupancy: 16
; WaveLimiterHint : 0
; COMPUTE_PGM_RSRC2:SCRATCH_EN: 0
; COMPUTE_PGM_RSRC2:USER_SGPR: 15
; COMPUTE_PGM_RSRC2:TRAP_HANDLER: 0
; COMPUTE_PGM_RSRC2:TGID_X_EN: 1
; COMPUTE_PGM_RSRC2:TGID_Y_EN: 0
; COMPUTE_PGM_RSRC2:TGID_Z_EN: 0
; COMPUTE_PGM_RSRC2:TIDIG_COMP_CNT: 0
	.section	.text._ZN7rocprim17ROCPRIM_400000_NS6detail17trampoline_kernelINS0_13select_configILj256ELj13ELNS0_17block_load_methodE3ELS4_3ELS4_3ELNS0_20block_scan_algorithmE0ELj4294967295EEENS1_25partition_config_selectorILNS1_17partition_subalgoE4EjNS0_10empty_typeEbEEZZNS1_14partition_implILS8_4ELb0ES6_15HIP_vector_typeIjLj2EENS0_17counting_iteratorIjlEEPS9_SG_NS0_5tupleIJPjSI_NS0_16reverse_iteratorISI_EEEEENSH_IJSG_SG_SG_EEES9_SI_JZNS1_25segmented_radix_sort_implINS0_14default_configELb0EPK12hip_bfloat16PSP_PKlPlN2at6native12_GLOBAL__N_18offset_tEEE10hipError_tPvRmT1_PNSt15iterator_traitsIS13_E10value_typeET2_T3_PNS14_IS19_E10value_typeET4_jRbjT5_S1F_jjP12ihipStream_tbEUljE_ZNSN_ISO_Lb0ESR_SS_SU_SV_SZ_EES10_S11_S12_S13_S17_S18_S19_S1C_S1D_jS1E_jS1F_S1F_jjS1H_bEUljE0_EEES10_S11_S12_S19_S1D_S1F_T6_T7_T9_mT8_S1H_bDpT10_ENKUlT_T0_E_clISt17integral_constantIbLb1EES1U_IbLb0EEEEDaS1Q_S1R_EUlS1Q_E_NS1_11comp_targetILNS1_3genE0ELNS1_11target_archE4294967295ELNS1_3gpuE0ELNS1_3repE0EEENS1_30default_config_static_selectorELNS0_4arch9wavefront6targetE0EEEvS13_,"axG",@progbits,_ZN7rocprim17ROCPRIM_400000_NS6detail17trampoline_kernelINS0_13select_configILj256ELj13ELNS0_17block_load_methodE3ELS4_3ELS4_3ELNS0_20block_scan_algorithmE0ELj4294967295EEENS1_25partition_config_selectorILNS1_17partition_subalgoE4EjNS0_10empty_typeEbEEZZNS1_14partition_implILS8_4ELb0ES6_15HIP_vector_typeIjLj2EENS0_17counting_iteratorIjlEEPS9_SG_NS0_5tupleIJPjSI_NS0_16reverse_iteratorISI_EEEEENSH_IJSG_SG_SG_EEES9_SI_JZNS1_25segmented_radix_sort_implINS0_14default_configELb0EPK12hip_bfloat16PSP_PKlPlN2at6native12_GLOBAL__N_18offset_tEEE10hipError_tPvRmT1_PNSt15iterator_traitsIS13_E10value_typeET2_T3_PNS14_IS19_E10value_typeET4_jRbjT5_S1F_jjP12ihipStream_tbEUljE_ZNSN_ISO_Lb0ESR_SS_SU_SV_SZ_EES10_S11_S12_S13_S17_S18_S19_S1C_S1D_jS1E_jS1F_S1F_jjS1H_bEUljE0_EEES10_S11_S12_S19_S1D_S1F_T6_T7_T9_mT8_S1H_bDpT10_ENKUlT_T0_E_clISt17integral_constantIbLb1EES1U_IbLb0EEEEDaS1Q_S1R_EUlS1Q_E_NS1_11comp_targetILNS1_3genE0ELNS1_11target_archE4294967295ELNS1_3gpuE0ELNS1_3repE0EEENS1_30default_config_static_selectorELNS0_4arch9wavefront6targetE0EEEvS13_,comdat
	.globl	_ZN7rocprim17ROCPRIM_400000_NS6detail17trampoline_kernelINS0_13select_configILj256ELj13ELNS0_17block_load_methodE3ELS4_3ELS4_3ELNS0_20block_scan_algorithmE0ELj4294967295EEENS1_25partition_config_selectorILNS1_17partition_subalgoE4EjNS0_10empty_typeEbEEZZNS1_14partition_implILS8_4ELb0ES6_15HIP_vector_typeIjLj2EENS0_17counting_iteratorIjlEEPS9_SG_NS0_5tupleIJPjSI_NS0_16reverse_iteratorISI_EEEEENSH_IJSG_SG_SG_EEES9_SI_JZNS1_25segmented_radix_sort_implINS0_14default_configELb0EPK12hip_bfloat16PSP_PKlPlN2at6native12_GLOBAL__N_18offset_tEEE10hipError_tPvRmT1_PNSt15iterator_traitsIS13_E10value_typeET2_T3_PNS14_IS19_E10value_typeET4_jRbjT5_S1F_jjP12ihipStream_tbEUljE_ZNSN_ISO_Lb0ESR_SS_SU_SV_SZ_EES10_S11_S12_S13_S17_S18_S19_S1C_S1D_jS1E_jS1F_S1F_jjS1H_bEUljE0_EEES10_S11_S12_S19_S1D_S1F_T6_T7_T9_mT8_S1H_bDpT10_ENKUlT_T0_E_clISt17integral_constantIbLb1EES1U_IbLb0EEEEDaS1Q_S1R_EUlS1Q_E_NS1_11comp_targetILNS1_3genE0ELNS1_11target_archE4294967295ELNS1_3gpuE0ELNS1_3repE0EEENS1_30default_config_static_selectorELNS0_4arch9wavefront6targetE0EEEvS13_ ; -- Begin function _ZN7rocprim17ROCPRIM_400000_NS6detail17trampoline_kernelINS0_13select_configILj256ELj13ELNS0_17block_load_methodE3ELS4_3ELS4_3ELNS0_20block_scan_algorithmE0ELj4294967295EEENS1_25partition_config_selectorILNS1_17partition_subalgoE4EjNS0_10empty_typeEbEEZZNS1_14partition_implILS8_4ELb0ES6_15HIP_vector_typeIjLj2EENS0_17counting_iteratorIjlEEPS9_SG_NS0_5tupleIJPjSI_NS0_16reverse_iteratorISI_EEEEENSH_IJSG_SG_SG_EEES9_SI_JZNS1_25segmented_radix_sort_implINS0_14default_configELb0EPK12hip_bfloat16PSP_PKlPlN2at6native12_GLOBAL__N_18offset_tEEE10hipError_tPvRmT1_PNSt15iterator_traitsIS13_E10value_typeET2_T3_PNS14_IS19_E10value_typeET4_jRbjT5_S1F_jjP12ihipStream_tbEUljE_ZNSN_ISO_Lb0ESR_SS_SU_SV_SZ_EES10_S11_S12_S13_S17_S18_S19_S1C_S1D_jS1E_jS1F_S1F_jjS1H_bEUljE0_EEES10_S11_S12_S19_S1D_S1F_T6_T7_T9_mT8_S1H_bDpT10_ENKUlT_T0_E_clISt17integral_constantIbLb1EES1U_IbLb0EEEEDaS1Q_S1R_EUlS1Q_E_NS1_11comp_targetILNS1_3genE0ELNS1_11target_archE4294967295ELNS1_3gpuE0ELNS1_3repE0EEENS1_30default_config_static_selectorELNS0_4arch9wavefront6targetE0EEEvS13_
	.p2align	8
	.type	_ZN7rocprim17ROCPRIM_400000_NS6detail17trampoline_kernelINS0_13select_configILj256ELj13ELNS0_17block_load_methodE3ELS4_3ELS4_3ELNS0_20block_scan_algorithmE0ELj4294967295EEENS1_25partition_config_selectorILNS1_17partition_subalgoE4EjNS0_10empty_typeEbEEZZNS1_14partition_implILS8_4ELb0ES6_15HIP_vector_typeIjLj2EENS0_17counting_iteratorIjlEEPS9_SG_NS0_5tupleIJPjSI_NS0_16reverse_iteratorISI_EEEEENSH_IJSG_SG_SG_EEES9_SI_JZNS1_25segmented_radix_sort_implINS0_14default_configELb0EPK12hip_bfloat16PSP_PKlPlN2at6native12_GLOBAL__N_18offset_tEEE10hipError_tPvRmT1_PNSt15iterator_traitsIS13_E10value_typeET2_T3_PNS14_IS19_E10value_typeET4_jRbjT5_S1F_jjP12ihipStream_tbEUljE_ZNSN_ISO_Lb0ESR_SS_SU_SV_SZ_EES10_S11_S12_S13_S17_S18_S19_S1C_S1D_jS1E_jS1F_S1F_jjS1H_bEUljE0_EEES10_S11_S12_S19_S1D_S1F_T6_T7_T9_mT8_S1H_bDpT10_ENKUlT_T0_E_clISt17integral_constantIbLb1EES1U_IbLb0EEEEDaS1Q_S1R_EUlS1Q_E_NS1_11comp_targetILNS1_3genE0ELNS1_11target_archE4294967295ELNS1_3gpuE0ELNS1_3repE0EEENS1_30default_config_static_selectorELNS0_4arch9wavefront6targetE0EEEvS13_,@function
_ZN7rocprim17ROCPRIM_400000_NS6detail17trampoline_kernelINS0_13select_configILj256ELj13ELNS0_17block_load_methodE3ELS4_3ELS4_3ELNS0_20block_scan_algorithmE0ELj4294967295EEENS1_25partition_config_selectorILNS1_17partition_subalgoE4EjNS0_10empty_typeEbEEZZNS1_14partition_implILS8_4ELb0ES6_15HIP_vector_typeIjLj2EENS0_17counting_iteratorIjlEEPS9_SG_NS0_5tupleIJPjSI_NS0_16reverse_iteratorISI_EEEEENSH_IJSG_SG_SG_EEES9_SI_JZNS1_25segmented_radix_sort_implINS0_14default_configELb0EPK12hip_bfloat16PSP_PKlPlN2at6native12_GLOBAL__N_18offset_tEEE10hipError_tPvRmT1_PNSt15iterator_traitsIS13_E10value_typeET2_T3_PNS14_IS19_E10value_typeET4_jRbjT5_S1F_jjP12ihipStream_tbEUljE_ZNSN_ISO_Lb0ESR_SS_SU_SV_SZ_EES10_S11_S12_S13_S17_S18_S19_S1C_S1D_jS1E_jS1F_S1F_jjS1H_bEUljE0_EEES10_S11_S12_S19_S1D_S1F_T6_T7_T9_mT8_S1H_bDpT10_ENKUlT_T0_E_clISt17integral_constantIbLb1EES1U_IbLb0EEEEDaS1Q_S1R_EUlS1Q_E_NS1_11comp_targetILNS1_3genE0ELNS1_11target_archE4294967295ELNS1_3gpuE0ELNS1_3repE0EEENS1_30default_config_static_selectorELNS0_4arch9wavefront6targetE0EEEvS13_: ; @_ZN7rocprim17ROCPRIM_400000_NS6detail17trampoline_kernelINS0_13select_configILj256ELj13ELNS0_17block_load_methodE3ELS4_3ELS4_3ELNS0_20block_scan_algorithmE0ELj4294967295EEENS1_25partition_config_selectorILNS1_17partition_subalgoE4EjNS0_10empty_typeEbEEZZNS1_14partition_implILS8_4ELb0ES6_15HIP_vector_typeIjLj2EENS0_17counting_iteratorIjlEEPS9_SG_NS0_5tupleIJPjSI_NS0_16reverse_iteratorISI_EEEEENSH_IJSG_SG_SG_EEES9_SI_JZNS1_25segmented_radix_sort_implINS0_14default_configELb0EPK12hip_bfloat16PSP_PKlPlN2at6native12_GLOBAL__N_18offset_tEEE10hipError_tPvRmT1_PNSt15iterator_traitsIS13_E10value_typeET2_T3_PNS14_IS19_E10value_typeET4_jRbjT5_S1F_jjP12ihipStream_tbEUljE_ZNSN_ISO_Lb0ESR_SS_SU_SV_SZ_EES10_S11_S12_S13_S17_S18_S19_S1C_S1D_jS1E_jS1F_S1F_jjS1H_bEUljE0_EEES10_S11_S12_S19_S1D_S1F_T6_T7_T9_mT8_S1H_bDpT10_ENKUlT_T0_E_clISt17integral_constantIbLb1EES1U_IbLb0EEEEDaS1Q_S1R_EUlS1Q_E_NS1_11comp_targetILNS1_3genE0ELNS1_11target_archE4294967295ELNS1_3gpuE0ELNS1_3repE0EEENS1_30default_config_static_selectorELNS0_4arch9wavefront6targetE0EEEvS13_
; %bb.0:
	.section	.rodata,"a",@progbits
	.p2align	6, 0x0
	.amdhsa_kernel _ZN7rocprim17ROCPRIM_400000_NS6detail17trampoline_kernelINS0_13select_configILj256ELj13ELNS0_17block_load_methodE3ELS4_3ELS4_3ELNS0_20block_scan_algorithmE0ELj4294967295EEENS1_25partition_config_selectorILNS1_17partition_subalgoE4EjNS0_10empty_typeEbEEZZNS1_14partition_implILS8_4ELb0ES6_15HIP_vector_typeIjLj2EENS0_17counting_iteratorIjlEEPS9_SG_NS0_5tupleIJPjSI_NS0_16reverse_iteratorISI_EEEEENSH_IJSG_SG_SG_EEES9_SI_JZNS1_25segmented_radix_sort_implINS0_14default_configELb0EPK12hip_bfloat16PSP_PKlPlN2at6native12_GLOBAL__N_18offset_tEEE10hipError_tPvRmT1_PNSt15iterator_traitsIS13_E10value_typeET2_T3_PNS14_IS19_E10value_typeET4_jRbjT5_S1F_jjP12ihipStream_tbEUljE_ZNSN_ISO_Lb0ESR_SS_SU_SV_SZ_EES10_S11_S12_S13_S17_S18_S19_S1C_S1D_jS1E_jS1F_S1F_jjS1H_bEUljE0_EEES10_S11_S12_S19_S1D_S1F_T6_T7_T9_mT8_S1H_bDpT10_ENKUlT_T0_E_clISt17integral_constantIbLb1EES1U_IbLb0EEEEDaS1Q_S1R_EUlS1Q_E_NS1_11comp_targetILNS1_3genE0ELNS1_11target_archE4294967295ELNS1_3gpuE0ELNS1_3repE0EEENS1_30default_config_static_selectorELNS0_4arch9wavefront6targetE0EEEvS13_
		.amdhsa_group_segment_fixed_size 0
		.amdhsa_private_segment_fixed_size 0
		.amdhsa_kernarg_size 176
		.amdhsa_user_sgpr_count 15
		.amdhsa_user_sgpr_dispatch_ptr 0
		.amdhsa_user_sgpr_queue_ptr 0
		.amdhsa_user_sgpr_kernarg_segment_ptr 1
		.amdhsa_user_sgpr_dispatch_id 0
		.amdhsa_user_sgpr_private_segment_size 0
		.amdhsa_wavefront_size32 1
		.amdhsa_uses_dynamic_stack 0
		.amdhsa_enable_private_segment 0
		.amdhsa_system_sgpr_workgroup_id_x 1
		.amdhsa_system_sgpr_workgroup_id_y 0
		.amdhsa_system_sgpr_workgroup_id_z 0
		.amdhsa_system_sgpr_workgroup_info 0
		.amdhsa_system_vgpr_workitem_id 0
		.amdhsa_next_free_vgpr 1
		.amdhsa_next_free_sgpr 1
		.amdhsa_reserve_vcc 0
		.amdhsa_float_round_mode_32 0
		.amdhsa_float_round_mode_16_64 0
		.amdhsa_float_denorm_mode_32 3
		.amdhsa_float_denorm_mode_16_64 3
		.amdhsa_dx10_clamp 1
		.amdhsa_ieee_mode 1
		.amdhsa_fp16_overflow 0
		.amdhsa_workgroup_processor_mode 1
		.amdhsa_memory_ordered 1
		.amdhsa_forward_progress 0
		.amdhsa_shared_vgpr_count 0
		.amdhsa_exception_fp_ieee_invalid_op 0
		.amdhsa_exception_fp_denorm_src 0
		.amdhsa_exception_fp_ieee_div_zero 0
		.amdhsa_exception_fp_ieee_overflow 0
		.amdhsa_exception_fp_ieee_underflow 0
		.amdhsa_exception_fp_ieee_inexact 0
		.amdhsa_exception_int_div_zero 0
	.end_amdhsa_kernel
	.section	.text._ZN7rocprim17ROCPRIM_400000_NS6detail17trampoline_kernelINS0_13select_configILj256ELj13ELNS0_17block_load_methodE3ELS4_3ELS4_3ELNS0_20block_scan_algorithmE0ELj4294967295EEENS1_25partition_config_selectorILNS1_17partition_subalgoE4EjNS0_10empty_typeEbEEZZNS1_14partition_implILS8_4ELb0ES6_15HIP_vector_typeIjLj2EENS0_17counting_iteratorIjlEEPS9_SG_NS0_5tupleIJPjSI_NS0_16reverse_iteratorISI_EEEEENSH_IJSG_SG_SG_EEES9_SI_JZNS1_25segmented_radix_sort_implINS0_14default_configELb0EPK12hip_bfloat16PSP_PKlPlN2at6native12_GLOBAL__N_18offset_tEEE10hipError_tPvRmT1_PNSt15iterator_traitsIS13_E10value_typeET2_T3_PNS14_IS19_E10value_typeET4_jRbjT5_S1F_jjP12ihipStream_tbEUljE_ZNSN_ISO_Lb0ESR_SS_SU_SV_SZ_EES10_S11_S12_S13_S17_S18_S19_S1C_S1D_jS1E_jS1F_S1F_jjS1H_bEUljE0_EEES10_S11_S12_S19_S1D_S1F_T6_T7_T9_mT8_S1H_bDpT10_ENKUlT_T0_E_clISt17integral_constantIbLb1EES1U_IbLb0EEEEDaS1Q_S1R_EUlS1Q_E_NS1_11comp_targetILNS1_3genE0ELNS1_11target_archE4294967295ELNS1_3gpuE0ELNS1_3repE0EEENS1_30default_config_static_selectorELNS0_4arch9wavefront6targetE0EEEvS13_,"axG",@progbits,_ZN7rocprim17ROCPRIM_400000_NS6detail17trampoline_kernelINS0_13select_configILj256ELj13ELNS0_17block_load_methodE3ELS4_3ELS4_3ELNS0_20block_scan_algorithmE0ELj4294967295EEENS1_25partition_config_selectorILNS1_17partition_subalgoE4EjNS0_10empty_typeEbEEZZNS1_14partition_implILS8_4ELb0ES6_15HIP_vector_typeIjLj2EENS0_17counting_iteratorIjlEEPS9_SG_NS0_5tupleIJPjSI_NS0_16reverse_iteratorISI_EEEEENSH_IJSG_SG_SG_EEES9_SI_JZNS1_25segmented_radix_sort_implINS0_14default_configELb0EPK12hip_bfloat16PSP_PKlPlN2at6native12_GLOBAL__N_18offset_tEEE10hipError_tPvRmT1_PNSt15iterator_traitsIS13_E10value_typeET2_T3_PNS14_IS19_E10value_typeET4_jRbjT5_S1F_jjP12ihipStream_tbEUljE_ZNSN_ISO_Lb0ESR_SS_SU_SV_SZ_EES10_S11_S12_S13_S17_S18_S19_S1C_S1D_jS1E_jS1F_S1F_jjS1H_bEUljE0_EEES10_S11_S12_S19_S1D_S1F_T6_T7_T9_mT8_S1H_bDpT10_ENKUlT_T0_E_clISt17integral_constantIbLb1EES1U_IbLb0EEEEDaS1Q_S1R_EUlS1Q_E_NS1_11comp_targetILNS1_3genE0ELNS1_11target_archE4294967295ELNS1_3gpuE0ELNS1_3repE0EEENS1_30default_config_static_selectorELNS0_4arch9wavefront6targetE0EEEvS13_,comdat
.Lfunc_end2001:
	.size	_ZN7rocprim17ROCPRIM_400000_NS6detail17trampoline_kernelINS0_13select_configILj256ELj13ELNS0_17block_load_methodE3ELS4_3ELS4_3ELNS0_20block_scan_algorithmE0ELj4294967295EEENS1_25partition_config_selectorILNS1_17partition_subalgoE4EjNS0_10empty_typeEbEEZZNS1_14partition_implILS8_4ELb0ES6_15HIP_vector_typeIjLj2EENS0_17counting_iteratorIjlEEPS9_SG_NS0_5tupleIJPjSI_NS0_16reverse_iteratorISI_EEEEENSH_IJSG_SG_SG_EEES9_SI_JZNS1_25segmented_radix_sort_implINS0_14default_configELb0EPK12hip_bfloat16PSP_PKlPlN2at6native12_GLOBAL__N_18offset_tEEE10hipError_tPvRmT1_PNSt15iterator_traitsIS13_E10value_typeET2_T3_PNS14_IS19_E10value_typeET4_jRbjT5_S1F_jjP12ihipStream_tbEUljE_ZNSN_ISO_Lb0ESR_SS_SU_SV_SZ_EES10_S11_S12_S13_S17_S18_S19_S1C_S1D_jS1E_jS1F_S1F_jjS1H_bEUljE0_EEES10_S11_S12_S19_S1D_S1F_T6_T7_T9_mT8_S1H_bDpT10_ENKUlT_T0_E_clISt17integral_constantIbLb1EES1U_IbLb0EEEEDaS1Q_S1R_EUlS1Q_E_NS1_11comp_targetILNS1_3genE0ELNS1_11target_archE4294967295ELNS1_3gpuE0ELNS1_3repE0EEENS1_30default_config_static_selectorELNS0_4arch9wavefront6targetE0EEEvS13_, .Lfunc_end2001-_ZN7rocprim17ROCPRIM_400000_NS6detail17trampoline_kernelINS0_13select_configILj256ELj13ELNS0_17block_load_methodE3ELS4_3ELS4_3ELNS0_20block_scan_algorithmE0ELj4294967295EEENS1_25partition_config_selectorILNS1_17partition_subalgoE4EjNS0_10empty_typeEbEEZZNS1_14partition_implILS8_4ELb0ES6_15HIP_vector_typeIjLj2EENS0_17counting_iteratorIjlEEPS9_SG_NS0_5tupleIJPjSI_NS0_16reverse_iteratorISI_EEEEENSH_IJSG_SG_SG_EEES9_SI_JZNS1_25segmented_radix_sort_implINS0_14default_configELb0EPK12hip_bfloat16PSP_PKlPlN2at6native12_GLOBAL__N_18offset_tEEE10hipError_tPvRmT1_PNSt15iterator_traitsIS13_E10value_typeET2_T3_PNS14_IS19_E10value_typeET4_jRbjT5_S1F_jjP12ihipStream_tbEUljE_ZNSN_ISO_Lb0ESR_SS_SU_SV_SZ_EES10_S11_S12_S13_S17_S18_S19_S1C_S1D_jS1E_jS1F_S1F_jjS1H_bEUljE0_EEES10_S11_S12_S19_S1D_S1F_T6_T7_T9_mT8_S1H_bDpT10_ENKUlT_T0_E_clISt17integral_constantIbLb1EES1U_IbLb0EEEEDaS1Q_S1R_EUlS1Q_E_NS1_11comp_targetILNS1_3genE0ELNS1_11target_archE4294967295ELNS1_3gpuE0ELNS1_3repE0EEENS1_30default_config_static_selectorELNS0_4arch9wavefront6targetE0EEEvS13_
                                        ; -- End function
	.section	.AMDGPU.csdata,"",@progbits
; Kernel info:
; codeLenInByte = 0
; NumSgprs: 0
; NumVgprs: 0
; ScratchSize: 0
; MemoryBound: 0
; FloatMode: 240
; IeeeMode: 1
; LDSByteSize: 0 bytes/workgroup (compile time only)
; SGPRBlocks: 0
; VGPRBlocks: 0
; NumSGPRsForWavesPerEU: 1
; NumVGPRsForWavesPerEU: 1
; Occupancy: 16
; WaveLimiterHint : 0
; COMPUTE_PGM_RSRC2:SCRATCH_EN: 0
; COMPUTE_PGM_RSRC2:USER_SGPR: 15
; COMPUTE_PGM_RSRC2:TRAP_HANDLER: 0
; COMPUTE_PGM_RSRC2:TGID_X_EN: 1
; COMPUTE_PGM_RSRC2:TGID_Y_EN: 0
; COMPUTE_PGM_RSRC2:TGID_Z_EN: 0
; COMPUTE_PGM_RSRC2:TIDIG_COMP_CNT: 0
	.section	.text._ZN7rocprim17ROCPRIM_400000_NS6detail17trampoline_kernelINS0_13select_configILj256ELj13ELNS0_17block_load_methodE3ELS4_3ELS4_3ELNS0_20block_scan_algorithmE0ELj4294967295EEENS1_25partition_config_selectorILNS1_17partition_subalgoE4EjNS0_10empty_typeEbEEZZNS1_14partition_implILS8_4ELb0ES6_15HIP_vector_typeIjLj2EENS0_17counting_iteratorIjlEEPS9_SG_NS0_5tupleIJPjSI_NS0_16reverse_iteratorISI_EEEEENSH_IJSG_SG_SG_EEES9_SI_JZNS1_25segmented_radix_sort_implINS0_14default_configELb0EPK12hip_bfloat16PSP_PKlPlN2at6native12_GLOBAL__N_18offset_tEEE10hipError_tPvRmT1_PNSt15iterator_traitsIS13_E10value_typeET2_T3_PNS14_IS19_E10value_typeET4_jRbjT5_S1F_jjP12ihipStream_tbEUljE_ZNSN_ISO_Lb0ESR_SS_SU_SV_SZ_EES10_S11_S12_S13_S17_S18_S19_S1C_S1D_jS1E_jS1F_S1F_jjS1H_bEUljE0_EEES10_S11_S12_S19_S1D_S1F_T6_T7_T9_mT8_S1H_bDpT10_ENKUlT_T0_E_clISt17integral_constantIbLb1EES1U_IbLb0EEEEDaS1Q_S1R_EUlS1Q_E_NS1_11comp_targetILNS1_3genE5ELNS1_11target_archE942ELNS1_3gpuE9ELNS1_3repE0EEENS1_30default_config_static_selectorELNS0_4arch9wavefront6targetE0EEEvS13_,"axG",@progbits,_ZN7rocprim17ROCPRIM_400000_NS6detail17trampoline_kernelINS0_13select_configILj256ELj13ELNS0_17block_load_methodE3ELS4_3ELS4_3ELNS0_20block_scan_algorithmE0ELj4294967295EEENS1_25partition_config_selectorILNS1_17partition_subalgoE4EjNS0_10empty_typeEbEEZZNS1_14partition_implILS8_4ELb0ES6_15HIP_vector_typeIjLj2EENS0_17counting_iteratorIjlEEPS9_SG_NS0_5tupleIJPjSI_NS0_16reverse_iteratorISI_EEEEENSH_IJSG_SG_SG_EEES9_SI_JZNS1_25segmented_radix_sort_implINS0_14default_configELb0EPK12hip_bfloat16PSP_PKlPlN2at6native12_GLOBAL__N_18offset_tEEE10hipError_tPvRmT1_PNSt15iterator_traitsIS13_E10value_typeET2_T3_PNS14_IS19_E10value_typeET4_jRbjT5_S1F_jjP12ihipStream_tbEUljE_ZNSN_ISO_Lb0ESR_SS_SU_SV_SZ_EES10_S11_S12_S13_S17_S18_S19_S1C_S1D_jS1E_jS1F_S1F_jjS1H_bEUljE0_EEES10_S11_S12_S19_S1D_S1F_T6_T7_T9_mT8_S1H_bDpT10_ENKUlT_T0_E_clISt17integral_constantIbLb1EES1U_IbLb0EEEEDaS1Q_S1R_EUlS1Q_E_NS1_11comp_targetILNS1_3genE5ELNS1_11target_archE942ELNS1_3gpuE9ELNS1_3repE0EEENS1_30default_config_static_selectorELNS0_4arch9wavefront6targetE0EEEvS13_,comdat
	.globl	_ZN7rocprim17ROCPRIM_400000_NS6detail17trampoline_kernelINS0_13select_configILj256ELj13ELNS0_17block_load_methodE3ELS4_3ELS4_3ELNS0_20block_scan_algorithmE0ELj4294967295EEENS1_25partition_config_selectorILNS1_17partition_subalgoE4EjNS0_10empty_typeEbEEZZNS1_14partition_implILS8_4ELb0ES6_15HIP_vector_typeIjLj2EENS0_17counting_iteratorIjlEEPS9_SG_NS0_5tupleIJPjSI_NS0_16reverse_iteratorISI_EEEEENSH_IJSG_SG_SG_EEES9_SI_JZNS1_25segmented_radix_sort_implINS0_14default_configELb0EPK12hip_bfloat16PSP_PKlPlN2at6native12_GLOBAL__N_18offset_tEEE10hipError_tPvRmT1_PNSt15iterator_traitsIS13_E10value_typeET2_T3_PNS14_IS19_E10value_typeET4_jRbjT5_S1F_jjP12ihipStream_tbEUljE_ZNSN_ISO_Lb0ESR_SS_SU_SV_SZ_EES10_S11_S12_S13_S17_S18_S19_S1C_S1D_jS1E_jS1F_S1F_jjS1H_bEUljE0_EEES10_S11_S12_S19_S1D_S1F_T6_T7_T9_mT8_S1H_bDpT10_ENKUlT_T0_E_clISt17integral_constantIbLb1EES1U_IbLb0EEEEDaS1Q_S1R_EUlS1Q_E_NS1_11comp_targetILNS1_3genE5ELNS1_11target_archE942ELNS1_3gpuE9ELNS1_3repE0EEENS1_30default_config_static_selectorELNS0_4arch9wavefront6targetE0EEEvS13_ ; -- Begin function _ZN7rocprim17ROCPRIM_400000_NS6detail17trampoline_kernelINS0_13select_configILj256ELj13ELNS0_17block_load_methodE3ELS4_3ELS4_3ELNS0_20block_scan_algorithmE0ELj4294967295EEENS1_25partition_config_selectorILNS1_17partition_subalgoE4EjNS0_10empty_typeEbEEZZNS1_14partition_implILS8_4ELb0ES6_15HIP_vector_typeIjLj2EENS0_17counting_iteratorIjlEEPS9_SG_NS0_5tupleIJPjSI_NS0_16reverse_iteratorISI_EEEEENSH_IJSG_SG_SG_EEES9_SI_JZNS1_25segmented_radix_sort_implINS0_14default_configELb0EPK12hip_bfloat16PSP_PKlPlN2at6native12_GLOBAL__N_18offset_tEEE10hipError_tPvRmT1_PNSt15iterator_traitsIS13_E10value_typeET2_T3_PNS14_IS19_E10value_typeET4_jRbjT5_S1F_jjP12ihipStream_tbEUljE_ZNSN_ISO_Lb0ESR_SS_SU_SV_SZ_EES10_S11_S12_S13_S17_S18_S19_S1C_S1D_jS1E_jS1F_S1F_jjS1H_bEUljE0_EEES10_S11_S12_S19_S1D_S1F_T6_T7_T9_mT8_S1H_bDpT10_ENKUlT_T0_E_clISt17integral_constantIbLb1EES1U_IbLb0EEEEDaS1Q_S1R_EUlS1Q_E_NS1_11comp_targetILNS1_3genE5ELNS1_11target_archE942ELNS1_3gpuE9ELNS1_3repE0EEENS1_30default_config_static_selectorELNS0_4arch9wavefront6targetE0EEEvS13_
	.p2align	8
	.type	_ZN7rocprim17ROCPRIM_400000_NS6detail17trampoline_kernelINS0_13select_configILj256ELj13ELNS0_17block_load_methodE3ELS4_3ELS4_3ELNS0_20block_scan_algorithmE0ELj4294967295EEENS1_25partition_config_selectorILNS1_17partition_subalgoE4EjNS0_10empty_typeEbEEZZNS1_14partition_implILS8_4ELb0ES6_15HIP_vector_typeIjLj2EENS0_17counting_iteratorIjlEEPS9_SG_NS0_5tupleIJPjSI_NS0_16reverse_iteratorISI_EEEEENSH_IJSG_SG_SG_EEES9_SI_JZNS1_25segmented_radix_sort_implINS0_14default_configELb0EPK12hip_bfloat16PSP_PKlPlN2at6native12_GLOBAL__N_18offset_tEEE10hipError_tPvRmT1_PNSt15iterator_traitsIS13_E10value_typeET2_T3_PNS14_IS19_E10value_typeET4_jRbjT5_S1F_jjP12ihipStream_tbEUljE_ZNSN_ISO_Lb0ESR_SS_SU_SV_SZ_EES10_S11_S12_S13_S17_S18_S19_S1C_S1D_jS1E_jS1F_S1F_jjS1H_bEUljE0_EEES10_S11_S12_S19_S1D_S1F_T6_T7_T9_mT8_S1H_bDpT10_ENKUlT_T0_E_clISt17integral_constantIbLb1EES1U_IbLb0EEEEDaS1Q_S1R_EUlS1Q_E_NS1_11comp_targetILNS1_3genE5ELNS1_11target_archE942ELNS1_3gpuE9ELNS1_3repE0EEENS1_30default_config_static_selectorELNS0_4arch9wavefront6targetE0EEEvS13_,@function
_ZN7rocprim17ROCPRIM_400000_NS6detail17trampoline_kernelINS0_13select_configILj256ELj13ELNS0_17block_load_methodE3ELS4_3ELS4_3ELNS0_20block_scan_algorithmE0ELj4294967295EEENS1_25partition_config_selectorILNS1_17partition_subalgoE4EjNS0_10empty_typeEbEEZZNS1_14partition_implILS8_4ELb0ES6_15HIP_vector_typeIjLj2EENS0_17counting_iteratorIjlEEPS9_SG_NS0_5tupleIJPjSI_NS0_16reverse_iteratorISI_EEEEENSH_IJSG_SG_SG_EEES9_SI_JZNS1_25segmented_radix_sort_implINS0_14default_configELb0EPK12hip_bfloat16PSP_PKlPlN2at6native12_GLOBAL__N_18offset_tEEE10hipError_tPvRmT1_PNSt15iterator_traitsIS13_E10value_typeET2_T3_PNS14_IS19_E10value_typeET4_jRbjT5_S1F_jjP12ihipStream_tbEUljE_ZNSN_ISO_Lb0ESR_SS_SU_SV_SZ_EES10_S11_S12_S13_S17_S18_S19_S1C_S1D_jS1E_jS1F_S1F_jjS1H_bEUljE0_EEES10_S11_S12_S19_S1D_S1F_T6_T7_T9_mT8_S1H_bDpT10_ENKUlT_T0_E_clISt17integral_constantIbLb1EES1U_IbLb0EEEEDaS1Q_S1R_EUlS1Q_E_NS1_11comp_targetILNS1_3genE5ELNS1_11target_archE942ELNS1_3gpuE9ELNS1_3repE0EEENS1_30default_config_static_selectorELNS0_4arch9wavefront6targetE0EEEvS13_: ; @_ZN7rocprim17ROCPRIM_400000_NS6detail17trampoline_kernelINS0_13select_configILj256ELj13ELNS0_17block_load_methodE3ELS4_3ELS4_3ELNS0_20block_scan_algorithmE0ELj4294967295EEENS1_25partition_config_selectorILNS1_17partition_subalgoE4EjNS0_10empty_typeEbEEZZNS1_14partition_implILS8_4ELb0ES6_15HIP_vector_typeIjLj2EENS0_17counting_iteratorIjlEEPS9_SG_NS0_5tupleIJPjSI_NS0_16reverse_iteratorISI_EEEEENSH_IJSG_SG_SG_EEES9_SI_JZNS1_25segmented_radix_sort_implINS0_14default_configELb0EPK12hip_bfloat16PSP_PKlPlN2at6native12_GLOBAL__N_18offset_tEEE10hipError_tPvRmT1_PNSt15iterator_traitsIS13_E10value_typeET2_T3_PNS14_IS19_E10value_typeET4_jRbjT5_S1F_jjP12ihipStream_tbEUljE_ZNSN_ISO_Lb0ESR_SS_SU_SV_SZ_EES10_S11_S12_S13_S17_S18_S19_S1C_S1D_jS1E_jS1F_S1F_jjS1H_bEUljE0_EEES10_S11_S12_S19_S1D_S1F_T6_T7_T9_mT8_S1H_bDpT10_ENKUlT_T0_E_clISt17integral_constantIbLb1EES1U_IbLb0EEEEDaS1Q_S1R_EUlS1Q_E_NS1_11comp_targetILNS1_3genE5ELNS1_11target_archE942ELNS1_3gpuE9ELNS1_3repE0EEENS1_30default_config_static_selectorELNS0_4arch9wavefront6targetE0EEEvS13_
; %bb.0:
	.section	.rodata,"a",@progbits
	.p2align	6, 0x0
	.amdhsa_kernel _ZN7rocprim17ROCPRIM_400000_NS6detail17trampoline_kernelINS0_13select_configILj256ELj13ELNS0_17block_load_methodE3ELS4_3ELS4_3ELNS0_20block_scan_algorithmE0ELj4294967295EEENS1_25partition_config_selectorILNS1_17partition_subalgoE4EjNS0_10empty_typeEbEEZZNS1_14partition_implILS8_4ELb0ES6_15HIP_vector_typeIjLj2EENS0_17counting_iteratorIjlEEPS9_SG_NS0_5tupleIJPjSI_NS0_16reverse_iteratorISI_EEEEENSH_IJSG_SG_SG_EEES9_SI_JZNS1_25segmented_radix_sort_implINS0_14default_configELb0EPK12hip_bfloat16PSP_PKlPlN2at6native12_GLOBAL__N_18offset_tEEE10hipError_tPvRmT1_PNSt15iterator_traitsIS13_E10value_typeET2_T3_PNS14_IS19_E10value_typeET4_jRbjT5_S1F_jjP12ihipStream_tbEUljE_ZNSN_ISO_Lb0ESR_SS_SU_SV_SZ_EES10_S11_S12_S13_S17_S18_S19_S1C_S1D_jS1E_jS1F_S1F_jjS1H_bEUljE0_EEES10_S11_S12_S19_S1D_S1F_T6_T7_T9_mT8_S1H_bDpT10_ENKUlT_T0_E_clISt17integral_constantIbLb1EES1U_IbLb0EEEEDaS1Q_S1R_EUlS1Q_E_NS1_11comp_targetILNS1_3genE5ELNS1_11target_archE942ELNS1_3gpuE9ELNS1_3repE0EEENS1_30default_config_static_selectorELNS0_4arch9wavefront6targetE0EEEvS13_
		.amdhsa_group_segment_fixed_size 0
		.amdhsa_private_segment_fixed_size 0
		.amdhsa_kernarg_size 176
		.amdhsa_user_sgpr_count 15
		.amdhsa_user_sgpr_dispatch_ptr 0
		.amdhsa_user_sgpr_queue_ptr 0
		.amdhsa_user_sgpr_kernarg_segment_ptr 1
		.amdhsa_user_sgpr_dispatch_id 0
		.amdhsa_user_sgpr_private_segment_size 0
		.amdhsa_wavefront_size32 1
		.amdhsa_uses_dynamic_stack 0
		.amdhsa_enable_private_segment 0
		.amdhsa_system_sgpr_workgroup_id_x 1
		.amdhsa_system_sgpr_workgroup_id_y 0
		.amdhsa_system_sgpr_workgroup_id_z 0
		.amdhsa_system_sgpr_workgroup_info 0
		.amdhsa_system_vgpr_workitem_id 0
		.amdhsa_next_free_vgpr 1
		.amdhsa_next_free_sgpr 1
		.amdhsa_reserve_vcc 0
		.amdhsa_float_round_mode_32 0
		.amdhsa_float_round_mode_16_64 0
		.amdhsa_float_denorm_mode_32 3
		.amdhsa_float_denorm_mode_16_64 3
		.amdhsa_dx10_clamp 1
		.amdhsa_ieee_mode 1
		.amdhsa_fp16_overflow 0
		.amdhsa_workgroup_processor_mode 1
		.amdhsa_memory_ordered 1
		.amdhsa_forward_progress 0
		.amdhsa_shared_vgpr_count 0
		.amdhsa_exception_fp_ieee_invalid_op 0
		.amdhsa_exception_fp_denorm_src 0
		.amdhsa_exception_fp_ieee_div_zero 0
		.amdhsa_exception_fp_ieee_overflow 0
		.amdhsa_exception_fp_ieee_underflow 0
		.amdhsa_exception_fp_ieee_inexact 0
		.amdhsa_exception_int_div_zero 0
	.end_amdhsa_kernel
	.section	.text._ZN7rocprim17ROCPRIM_400000_NS6detail17trampoline_kernelINS0_13select_configILj256ELj13ELNS0_17block_load_methodE3ELS4_3ELS4_3ELNS0_20block_scan_algorithmE0ELj4294967295EEENS1_25partition_config_selectorILNS1_17partition_subalgoE4EjNS0_10empty_typeEbEEZZNS1_14partition_implILS8_4ELb0ES6_15HIP_vector_typeIjLj2EENS0_17counting_iteratorIjlEEPS9_SG_NS0_5tupleIJPjSI_NS0_16reverse_iteratorISI_EEEEENSH_IJSG_SG_SG_EEES9_SI_JZNS1_25segmented_radix_sort_implINS0_14default_configELb0EPK12hip_bfloat16PSP_PKlPlN2at6native12_GLOBAL__N_18offset_tEEE10hipError_tPvRmT1_PNSt15iterator_traitsIS13_E10value_typeET2_T3_PNS14_IS19_E10value_typeET4_jRbjT5_S1F_jjP12ihipStream_tbEUljE_ZNSN_ISO_Lb0ESR_SS_SU_SV_SZ_EES10_S11_S12_S13_S17_S18_S19_S1C_S1D_jS1E_jS1F_S1F_jjS1H_bEUljE0_EEES10_S11_S12_S19_S1D_S1F_T6_T7_T9_mT8_S1H_bDpT10_ENKUlT_T0_E_clISt17integral_constantIbLb1EES1U_IbLb0EEEEDaS1Q_S1R_EUlS1Q_E_NS1_11comp_targetILNS1_3genE5ELNS1_11target_archE942ELNS1_3gpuE9ELNS1_3repE0EEENS1_30default_config_static_selectorELNS0_4arch9wavefront6targetE0EEEvS13_,"axG",@progbits,_ZN7rocprim17ROCPRIM_400000_NS6detail17trampoline_kernelINS0_13select_configILj256ELj13ELNS0_17block_load_methodE3ELS4_3ELS4_3ELNS0_20block_scan_algorithmE0ELj4294967295EEENS1_25partition_config_selectorILNS1_17partition_subalgoE4EjNS0_10empty_typeEbEEZZNS1_14partition_implILS8_4ELb0ES6_15HIP_vector_typeIjLj2EENS0_17counting_iteratorIjlEEPS9_SG_NS0_5tupleIJPjSI_NS0_16reverse_iteratorISI_EEEEENSH_IJSG_SG_SG_EEES9_SI_JZNS1_25segmented_radix_sort_implINS0_14default_configELb0EPK12hip_bfloat16PSP_PKlPlN2at6native12_GLOBAL__N_18offset_tEEE10hipError_tPvRmT1_PNSt15iterator_traitsIS13_E10value_typeET2_T3_PNS14_IS19_E10value_typeET4_jRbjT5_S1F_jjP12ihipStream_tbEUljE_ZNSN_ISO_Lb0ESR_SS_SU_SV_SZ_EES10_S11_S12_S13_S17_S18_S19_S1C_S1D_jS1E_jS1F_S1F_jjS1H_bEUljE0_EEES10_S11_S12_S19_S1D_S1F_T6_T7_T9_mT8_S1H_bDpT10_ENKUlT_T0_E_clISt17integral_constantIbLb1EES1U_IbLb0EEEEDaS1Q_S1R_EUlS1Q_E_NS1_11comp_targetILNS1_3genE5ELNS1_11target_archE942ELNS1_3gpuE9ELNS1_3repE0EEENS1_30default_config_static_selectorELNS0_4arch9wavefront6targetE0EEEvS13_,comdat
.Lfunc_end2002:
	.size	_ZN7rocprim17ROCPRIM_400000_NS6detail17trampoline_kernelINS0_13select_configILj256ELj13ELNS0_17block_load_methodE3ELS4_3ELS4_3ELNS0_20block_scan_algorithmE0ELj4294967295EEENS1_25partition_config_selectorILNS1_17partition_subalgoE4EjNS0_10empty_typeEbEEZZNS1_14partition_implILS8_4ELb0ES6_15HIP_vector_typeIjLj2EENS0_17counting_iteratorIjlEEPS9_SG_NS0_5tupleIJPjSI_NS0_16reverse_iteratorISI_EEEEENSH_IJSG_SG_SG_EEES9_SI_JZNS1_25segmented_radix_sort_implINS0_14default_configELb0EPK12hip_bfloat16PSP_PKlPlN2at6native12_GLOBAL__N_18offset_tEEE10hipError_tPvRmT1_PNSt15iterator_traitsIS13_E10value_typeET2_T3_PNS14_IS19_E10value_typeET4_jRbjT5_S1F_jjP12ihipStream_tbEUljE_ZNSN_ISO_Lb0ESR_SS_SU_SV_SZ_EES10_S11_S12_S13_S17_S18_S19_S1C_S1D_jS1E_jS1F_S1F_jjS1H_bEUljE0_EEES10_S11_S12_S19_S1D_S1F_T6_T7_T9_mT8_S1H_bDpT10_ENKUlT_T0_E_clISt17integral_constantIbLb1EES1U_IbLb0EEEEDaS1Q_S1R_EUlS1Q_E_NS1_11comp_targetILNS1_3genE5ELNS1_11target_archE942ELNS1_3gpuE9ELNS1_3repE0EEENS1_30default_config_static_selectorELNS0_4arch9wavefront6targetE0EEEvS13_, .Lfunc_end2002-_ZN7rocprim17ROCPRIM_400000_NS6detail17trampoline_kernelINS0_13select_configILj256ELj13ELNS0_17block_load_methodE3ELS4_3ELS4_3ELNS0_20block_scan_algorithmE0ELj4294967295EEENS1_25partition_config_selectorILNS1_17partition_subalgoE4EjNS0_10empty_typeEbEEZZNS1_14partition_implILS8_4ELb0ES6_15HIP_vector_typeIjLj2EENS0_17counting_iteratorIjlEEPS9_SG_NS0_5tupleIJPjSI_NS0_16reverse_iteratorISI_EEEEENSH_IJSG_SG_SG_EEES9_SI_JZNS1_25segmented_radix_sort_implINS0_14default_configELb0EPK12hip_bfloat16PSP_PKlPlN2at6native12_GLOBAL__N_18offset_tEEE10hipError_tPvRmT1_PNSt15iterator_traitsIS13_E10value_typeET2_T3_PNS14_IS19_E10value_typeET4_jRbjT5_S1F_jjP12ihipStream_tbEUljE_ZNSN_ISO_Lb0ESR_SS_SU_SV_SZ_EES10_S11_S12_S13_S17_S18_S19_S1C_S1D_jS1E_jS1F_S1F_jjS1H_bEUljE0_EEES10_S11_S12_S19_S1D_S1F_T6_T7_T9_mT8_S1H_bDpT10_ENKUlT_T0_E_clISt17integral_constantIbLb1EES1U_IbLb0EEEEDaS1Q_S1R_EUlS1Q_E_NS1_11comp_targetILNS1_3genE5ELNS1_11target_archE942ELNS1_3gpuE9ELNS1_3repE0EEENS1_30default_config_static_selectorELNS0_4arch9wavefront6targetE0EEEvS13_
                                        ; -- End function
	.section	.AMDGPU.csdata,"",@progbits
; Kernel info:
; codeLenInByte = 0
; NumSgprs: 0
; NumVgprs: 0
; ScratchSize: 0
; MemoryBound: 0
; FloatMode: 240
; IeeeMode: 1
; LDSByteSize: 0 bytes/workgroup (compile time only)
; SGPRBlocks: 0
; VGPRBlocks: 0
; NumSGPRsForWavesPerEU: 1
; NumVGPRsForWavesPerEU: 1
; Occupancy: 16
; WaveLimiterHint : 0
; COMPUTE_PGM_RSRC2:SCRATCH_EN: 0
; COMPUTE_PGM_RSRC2:USER_SGPR: 15
; COMPUTE_PGM_RSRC2:TRAP_HANDLER: 0
; COMPUTE_PGM_RSRC2:TGID_X_EN: 1
; COMPUTE_PGM_RSRC2:TGID_Y_EN: 0
; COMPUTE_PGM_RSRC2:TGID_Z_EN: 0
; COMPUTE_PGM_RSRC2:TIDIG_COMP_CNT: 0
	.section	.text._ZN7rocprim17ROCPRIM_400000_NS6detail17trampoline_kernelINS0_13select_configILj256ELj13ELNS0_17block_load_methodE3ELS4_3ELS4_3ELNS0_20block_scan_algorithmE0ELj4294967295EEENS1_25partition_config_selectorILNS1_17partition_subalgoE4EjNS0_10empty_typeEbEEZZNS1_14partition_implILS8_4ELb0ES6_15HIP_vector_typeIjLj2EENS0_17counting_iteratorIjlEEPS9_SG_NS0_5tupleIJPjSI_NS0_16reverse_iteratorISI_EEEEENSH_IJSG_SG_SG_EEES9_SI_JZNS1_25segmented_radix_sort_implINS0_14default_configELb0EPK12hip_bfloat16PSP_PKlPlN2at6native12_GLOBAL__N_18offset_tEEE10hipError_tPvRmT1_PNSt15iterator_traitsIS13_E10value_typeET2_T3_PNS14_IS19_E10value_typeET4_jRbjT5_S1F_jjP12ihipStream_tbEUljE_ZNSN_ISO_Lb0ESR_SS_SU_SV_SZ_EES10_S11_S12_S13_S17_S18_S19_S1C_S1D_jS1E_jS1F_S1F_jjS1H_bEUljE0_EEES10_S11_S12_S19_S1D_S1F_T6_T7_T9_mT8_S1H_bDpT10_ENKUlT_T0_E_clISt17integral_constantIbLb1EES1U_IbLb0EEEEDaS1Q_S1R_EUlS1Q_E_NS1_11comp_targetILNS1_3genE4ELNS1_11target_archE910ELNS1_3gpuE8ELNS1_3repE0EEENS1_30default_config_static_selectorELNS0_4arch9wavefront6targetE0EEEvS13_,"axG",@progbits,_ZN7rocprim17ROCPRIM_400000_NS6detail17trampoline_kernelINS0_13select_configILj256ELj13ELNS0_17block_load_methodE3ELS4_3ELS4_3ELNS0_20block_scan_algorithmE0ELj4294967295EEENS1_25partition_config_selectorILNS1_17partition_subalgoE4EjNS0_10empty_typeEbEEZZNS1_14partition_implILS8_4ELb0ES6_15HIP_vector_typeIjLj2EENS0_17counting_iteratorIjlEEPS9_SG_NS0_5tupleIJPjSI_NS0_16reverse_iteratorISI_EEEEENSH_IJSG_SG_SG_EEES9_SI_JZNS1_25segmented_radix_sort_implINS0_14default_configELb0EPK12hip_bfloat16PSP_PKlPlN2at6native12_GLOBAL__N_18offset_tEEE10hipError_tPvRmT1_PNSt15iterator_traitsIS13_E10value_typeET2_T3_PNS14_IS19_E10value_typeET4_jRbjT5_S1F_jjP12ihipStream_tbEUljE_ZNSN_ISO_Lb0ESR_SS_SU_SV_SZ_EES10_S11_S12_S13_S17_S18_S19_S1C_S1D_jS1E_jS1F_S1F_jjS1H_bEUljE0_EEES10_S11_S12_S19_S1D_S1F_T6_T7_T9_mT8_S1H_bDpT10_ENKUlT_T0_E_clISt17integral_constantIbLb1EES1U_IbLb0EEEEDaS1Q_S1R_EUlS1Q_E_NS1_11comp_targetILNS1_3genE4ELNS1_11target_archE910ELNS1_3gpuE8ELNS1_3repE0EEENS1_30default_config_static_selectorELNS0_4arch9wavefront6targetE0EEEvS13_,comdat
	.globl	_ZN7rocprim17ROCPRIM_400000_NS6detail17trampoline_kernelINS0_13select_configILj256ELj13ELNS0_17block_load_methodE3ELS4_3ELS4_3ELNS0_20block_scan_algorithmE0ELj4294967295EEENS1_25partition_config_selectorILNS1_17partition_subalgoE4EjNS0_10empty_typeEbEEZZNS1_14partition_implILS8_4ELb0ES6_15HIP_vector_typeIjLj2EENS0_17counting_iteratorIjlEEPS9_SG_NS0_5tupleIJPjSI_NS0_16reverse_iteratorISI_EEEEENSH_IJSG_SG_SG_EEES9_SI_JZNS1_25segmented_radix_sort_implINS0_14default_configELb0EPK12hip_bfloat16PSP_PKlPlN2at6native12_GLOBAL__N_18offset_tEEE10hipError_tPvRmT1_PNSt15iterator_traitsIS13_E10value_typeET2_T3_PNS14_IS19_E10value_typeET4_jRbjT5_S1F_jjP12ihipStream_tbEUljE_ZNSN_ISO_Lb0ESR_SS_SU_SV_SZ_EES10_S11_S12_S13_S17_S18_S19_S1C_S1D_jS1E_jS1F_S1F_jjS1H_bEUljE0_EEES10_S11_S12_S19_S1D_S1F_T6_T7_T9_mT8_S1H_bDpT10_ENKUlT_T0_E_clISt17integral_constantIbLb1EES1U_IbLb0EEEEDaS1Q_S1R_EUlS1Q_E_NS1_11comp_targetILNS1_3genE4ELNS1_11target_archE910ELNS1_3gpuE8ELNS1_3repE0EEENS1_30default_config_static_selectorELNS0_4arch9wavefront6targetE0EEEvS13_ ; -- Begin function _ZN7rocprim17ROCPRIM_400000_NS6detail17trampoline_kernelINS0_13select_configILj256ELj13ELNS0_17block_load_methodE3ELS4_3ELS4_3ELNS0_20block_scan_algorithmE0ELj4294967295EEENS1_25partition_config_selectorILNS1_17partition_subalgoE4EjNS0_10empty_typeEbEEZZNS1_14partition_implILS8_4ELb0ES6_15HIP_vector_typeIjLj2EENS0_17counting_iteratorIjlEEPS9_SG_NS0_5tupleIJPjSI_NS0_16reverse_iteratorISI_EEEEENSH_IJSG_SG_SG_EEES9_SI_JZNS1_25segmented_radix_sort_implINS0_14default_configELb0EPK12hip_bfloat16PSP_PKlPlN2at6native12_GLOBAL__N_18offset_tEEE10hipError_tPvRmT1_PNSt15iterator_traitsIS13_E10value_typeET2_T3_PNS14_IS19_E10value_typeET4_jRbjT5_S1F_jjP12ihipStream_tbEUljE_ZNSN_ISO_Lb0ESR_SS_SU_SV_SZ_EES10_S11_S12_S13_S17_S18_S19_S1C_S1D_jS1E_jS1F_S1F_jjS1H_bEUljE0_EEES10_S11_S12_S19_S1D_S1F_T6_T7_T9_mT8_S1H_bDpT10_ENKUlT_T0_E_clISt17integral_constantIbLb1EES1U_IbLb0EEEEDaS1Q_S1R_EUlS1Q_E_NS1_11comp_targetILNS1_3genE4ELNS1_11target_archE910ELNS1_3gpuE8ELNS1_3repE0EEENS1_30default_config_static_selectorELNS0_4arch9wavefront6targetE0EEEvS13_
	.p2align	8
	.type	_ZN7rocprim17ROCPRIM_400000_NS6detail17trampoline_kernelINS0_13select_configILj256ELj13ELNS0_17block_load_methodE3ELS4_3ELS4_3ELNS0_20block_scan_algorithmE0ELj4294967295EEENS1_25partition_config_selectorILNS1_17partition_subalgoE4EjNS0_10empty_typeEbEEZZNS1_14partition_implILS8_4ELb0ES6_15HIP_vector_typeIjLj2EENS0_17counting_iteratorIjlEEPS9_SG_NS0_5tupleIJPjSI_NS0_16reverse_iteratorISI_EEEEENSH_IJSG_SG_SG_EEES9_SI_JZNS1_25segmented_radix_sort_implINS0_14default_configELb0EPK12hip_bfloat16PSP_PKlPlN2at6native12_GLOBAL__N_18offset_tEEE10hipError_tPvRmT1_PNSt15iterator_traitsIS13_E10value_typeET2_T3_PNS14_IS19_E10value_typeET4_jRbjT5_S1F_jjP12ihipStream_tbEUljE_ZNSN_ISO_Lb0ESR_SS_SU_SV_SZ_EES10_S11_S12_S13_S17_S18_S19_S1C_S1D_jS1E_jS1F_S1F_jjS1H_bEUljE0_EEES10_S11_S12_S19_S1D_S1F_T6_T7_T9_mT8_S1H_bDpT10_ENKUlT_T0_E_clISt17integral_constantIbLb1EES1U_IbLb0EEEEDaS1Q_S1R_EUlS1Q_E_NS1_11comp_targetILNS1_3genE4ELNS1_11target_archE910ELNS1_3gpuE8ELNS1_3repE0EEENS1_30default_config_static_selectorELNS0_4arch9wavefront6targetE0EEEvS13_,@function
_ZN7rocprim17ROCPRIM_400000_NS6detail17trampoline_kernelINS0_13select_configILj256ELj13ELNS0_17block_load_methodE3ELS4_3ELS4_3ELNS0_20block_scan_algorithmE0ELj4294967295EEENS1_25partition_config_selectorILNS1_17partition_subalgoE4EjNS0_10empty_typeEbEEZZNS1_14partition_implILS8_4ELb0ES6_15HIP_vector_typeIjLj2EENS0_17counting_iteratorIjlEEPS9_SG_NS0_5tupleIJPjSI_NS0_16reverse_iteratorISI_EEEEENSH_IJSG_SG_SG_EEES9_SI_JZNS1_25segmented_radix_sort_implINS0_14default_configELb0EPK12hip_bfloat16PSP_PKlPlN2at6native12_GLOBAL__N_18offset_tEEE10hipError_tPvRmT1_PNSt15iterator_traitsIS13_E10value_typeET2_T3_PNS14_IS19_E10value_typeET4_jRbjT5_S1F_jjP12ihipStream_tbEUljE_ZNSN_ISO_Lb0ESR_SS_SU_SV_SZ_EES10_S11_S12_S13_S17_S18_S19_S1C_S1D_jS1E_jS1F_S1F_jjS1H_bEUljE0_EEES10_S11_S12_S19_S1D_S1F_T6_T7_T9_mT8_S1H_bDpT10_ENKUlT_T0_E_clISt17integral_constantIbLb1EES1U_IbLb0EEEEDaS1Q_S1R_EUlS1Q_E_NS1_11comp_targetILNS1_3genE4ELNS1_11target_archE910ELNS1_3gpuE8ELNS1_3repE0EEENS1_30default_config_static_selectorELNS0_4arch9wavefront6targetE0EEEvS13_: ; @_ZN7rocprim17ROCPRIM_400000_NS6detail17trampoline_kernelINS0_13select_configILj256ELj13ELNS0_17block_load_methodE3ELS4_3ELS4_3ELNS0_20block_scan_algorithmE0ELj4294967295EEENS1_25partition_config_selectorILNS1_17partition_subalgoE4EjNS0_10empty_typeEbEEZZNS1_14partition_implILS8_4ELb0ES6_15HIP_vector_typeIjLj2EENS0_17counting_iteratorIjlEEPS9_SG_NS0_5tupleIJPjSI_NS0_16reverse_iteratorISI_EEEEENSH_IJSG_SG_SG_EEES9_SI_JZNS1_25segmented_radix_sort_implINS0_14default_configELb0EPK12hip_bfloat16PSP_PKlPlN2at6native12_GLOBAL__N_18offset_tEEE10hipError_tPvRmT1_PNSt15iterator_traitsIS13_E10value_typeET2_T3_PNS14_IS19_E10value_typeET4_jRbjT5_S1F_jjP12ihipStream_tbEUljE_ZNSN_ISO_Lb0ESR_SS_SU_SV_SZ_EES10_S11_S12_S13_S17_S18_S19_S1C_S1D_jS1E_jS1F_S1F_jjS1H_bEUljE0_EEES10_S11_S12_S19_S1D_S1F_T6_T7_T9_mT8_S1H_bDpT10_ENKUlT_T0_E_clISt17integral_constantIbLb1EES1U_IbLb0EEEEDaS1Q_S1R_EUlS1Q_E_NS1_11comp_targetILNS1_3genE4ELNS1_11target_archE910ELNS1_3gpuE8ELNS1_3repE0EEENS1_30default_config_static_selectorELNS0_4arch9wavefront6targetE0EEEvS13_
; %bb.0:
	.section	.rodata,"a",@progbits
	.p2align	6, 0x0
	.amdhsa_kernel _ZN7rocprim17ROCPRIM_400000_NS6detail17trampoline_kernelINS0_13select_configILj256ELj13ELNS0_17block_load_methodE3ELS4_3ELS4_3ELNS0_20block_scan_algorithmE0ELj4294967295EEENS1_25partition_config_selectorILNS1_17partition_subalgoE4EjNS0_10empty_typeEbEEZZNS1_14partition_implILS8_4ELb0ES6_15HIP_vector_typeIjLj2EENS0_17counting_iteratorIjlEEPS9_SG_NS0_5tupleIJPjSI_NS0_16reverse_iteratorISI_EEEEENSH_IJSG_SG_SG_EEES9_SI_JZNS1_25segmented_radix_sort_implINS0_14default_configELb0EPK12hip_bfloat16PSP_PKlPlN2at6native12_GLOBAL__N_18offset_tEEE10hipError_tPvRmT1_PNSt15iterator_traitsIS13_E10value_typeET2_T3_PNS14_IS19_E10value_typeET4_jRbjT5_S1F_jjP12ihipStream_tbEUljE_ZNSN_ISO_Lb0ESR_SS_SU_SV_SZ_EES10_S11_S12_S13_S17_S18_S19_S1C_S1D_jS1E_jS1F_S1F_jjS1H_bEUljE0_EEES10_S11_S12_S19_S1D_S1F_T6_T7_T9_mT8_S1H_bDpT10_ENKUlT_T0_E_clISt17integral_constantIbLb1EES1U_IbLb0EEEEDaS1Q_S1R_EUlS1Q_E_NS1_11comp_targetILNS1_3genE4ELNS1_11target_archE910ELNS1_3gpuE8ELNS1_3repE0EEENS1_30default_config_static_selectorELNS0_4arch9wavefront6targetE0EEEvS13_
		.amdhsa_group_segment_fixed_size 0
		.amdhsa_private_segment_fixed_size 0
		.amdhsa_kernarg_size 176
		.amdhsa_user_sgpr_count 15
		.amdhsa_user_sgpr_dispatch_ptr 0
		.amdhsa_user_sgpr_queue_ptr 0
		.amdhsa_user_sgpr_kernarg_segment_ptr 1
		.amdhsa_user_sgpr_dispatch_id 0
		.amdhsa_user_sgpr_private_segment_size 0
		.amdhsa_wavefront_size32 1
		.amdhsa_uses_dynamic_stack 0
		.amdhsa_enable_private_segment 0
		.amdhsa_system_sgpr_workgroup_id_x 1
		.amdhsa_system_sgpr_workgroup_id_y 0
		.amdhsa_system_sgpr_workgroup_id_z 0
		.amdhsa_system_sgpr_workgroup_info 0
		.amdhsa_system_vgpr_workitem_id 0
		.amdhsa_next_free_vgpr 1
		.amdhsa_next_free_sgpr 1
		.amdhsa_reserve_vcc 0
		.amdhsa_float_round_mode_32 0
		.amdhsa_float_round_mode_16_64 0
		.amdhsa_float_denorm_mode_32 3
		.amdhsa_float_denorm_mode_16_64 3
		.amdhsa_dx10_clamp 1
		.amdhsa_ieee_mode 1
		.amdhsa_fp16_overflow 0
		.amdhsa_workgroup_processor_mode 1
		.amdhsa_memory_ordered 1
		.amdhsa_forward_progress 0
		.amdhsa_shared_vgpr_count 0
		.amdhsa_exception_fp_ieee_invalid_op 0
		.amdhsa_exception_fp_denorm_src 0
		.amdhsa_exception_fp_ieee_div_zero 0
		.amdhsa_exception_fp_ieee_overflow 0
		.amdhsa_exception_fp_ieee_underflow 0
		.amdhsa_exception_fp_ieee_inexact 0
		.amdhsa_exception_int_div_zero 0
	.end_amdhsa_kernel
	.section	.text._ZN7rocprim17ROCPRIM_400000_NS6detail17trampoline_kernelINS0_13select_configILj256ELj13ELNS0_17block_load_methodE3ELS4_3ELS4_3ELNS0_20block_scan_algorithmE0ELj4294967295EEENS1_25partition_config_selectorILNS1_17partition_subalgoE4EjNS0_10empty_typeEbEEZZNS1_14partition_implILS8_4ELb0ES6_15HIP_vector_typeIjLj2EENS0_17counting_iteratorIjlEEPS9_SG_NS0_5tupleIJPjSI_NS0_16reverse_iteratorISI_EEEEENSH_IJSG_SG_SG_EEES9_SI_JZNS1_25segmented_radix_sort_implINS0_14default_configELb0EPK12hip_bfloat16PSP_PKlPlN2at6native12_GLOBAL__N_18offset_tEEE10hipError_tPvRmT1_PNSt15iterator_traitsIS13_E10value_typeET2_T3_PNS14_IS19_E10value_typeET4_jRbjT5_S1F_jjP12ihipStream_tbEUljE_ZNSN_ISO_Lb0ESR_SS_SU_SV_SZ_EES10_S11_S12_S13_S17_S18_S19_S1C_S1D_jS1E_jS1F_S1F_jjS1H_bEUljE0_EEES10_S11_S12_S19_S1D_S1F_T6_T7_T9_mT8_S1H_bDpT10_ENKUlT_T0_E_clISt17integral_constantIbLb1EES1U_IbLb0EEEEDaS1Q_S1R_EUlS1Q_E_NS1_11comp_targetILNS1_3genE4ELNS1_11target_archE910ELNS1_3gpuE8ELNS1_3repE0EEENS1_30default_config_static_selectorELNS0_4arch9wavefront6targetE0EEEvS13_,"axG",@progbits,_ZN7rocprim17ROCPRIM_400000_NS6detail17trampoline_kernelINS0_13select_configILj256ELj13ELNS0_17block_load_methodE3ELS4_3ELS4_3ELNS0_20block_scan_algorithmE0ELj4294967295EEENS1_25partition_config_selectorILNS1_17partition_subalgoE4EjNS0_10empty_typeEbEEZZNS1_14partition_implILS8_4ELb0ES6_15HIP_vector_typeIjLj2EENS0_17counting_iteratorIjlEEPS9_SG_NS0_5tupleIJPjSI_NS0_16reverse_iteratorISI_EEEEENSH_IJSG_SG_SG_EEES9_SI_JZNS1_25segmented_radix_sort_implINS0_14default_configELb0EPK12hip_bfloat16PSP_PKlPlN2at6native12_GLOBAL__N_18offset_tEEE10hipError_tPvRmT1_PNSt15iterator_traitsIS13_E10value_typeET2_T3_PNS14_IS19_E10value_typeET4_jRbjT5_S1F_jjP12ihipStream_tbEUljE_ZNSN_ISO_Lb0ESR_SS_SU_SV_SZ_EES10_S11_S12_S13_S17_S18_S19_S1C_S1D_jS1E_jS1F_S1F_jjS1H_bEUljE0_EEES10_S11_S12_S19_S1D_S1F_T6_T7_T9_mT8_S1H_bDpT10_ENKUlT_T0_E_clISt17integral_constantIbLb1EES1U_IbLb0EEEEDaS1Q_S1R_EUlS1Q_E_NS1_11comp_targetILNS1_3genE4ELNS1_11target_archE910ELNS1_3gpuE8ELNS1_3repE0EEENS1_30default_config_static_selectorELNS0_4arch9wavefront6targetE0EEEvS13_,comdat
.Lfunc_end2003:
	.size	_ZN7rocprim17ROCPRIM_400000_NS6detail17trampoline_kernelINS0_13select_configILj256ELj13ELNS0_17block_load_methodE3ELS4_3ELS4_3ELNS0_20block_scan_algorithmE0ELj4294967295EEENS1_25partition_config_selectorILNS1_17partition_subalgoE4EjNS0_10empty_typeEbEEZZNS1_14partition_implILS8_4ELb0ES6_15HIP_vector_typeIjLj2EENS0_17counting_iteratorIjlEEPS9_SG_NS0_5tupleIJPjSI_NS0_16reverse_iteratorISI_EEEEENSH_IJSG_SG_SG_EEES9_SI_JZNS1_25segmented_radix_sort_implINS0_14default_configELb0EPK12hip_bfloat16PSP_PKlPlN2at6native12_GLOBAL__N_18offset_tEEE10hipError_tPvRmT1_PNSt15iterator_traitsIS13_E10value_typeET2_T3_PNS14_IS19_E10value_typeET4_jRbjT5_S1F_jjP12ihipStream_tbEUljE_ZNSN_ISO_Lb0ESR_SS_SU_SV_SZ_EES10_S11_S12_S13_S17_S18_S19_S1C_S1D_jS1E_jS1F_S1F_jjS1H_bEUljE0_EEES10_S11_S12_S19_S1D_S1F_T6_T7_T9_mT8_S1H_bDpT10_ENKUlT_T0_E_clISt17integral_constantIbLb1EES1U_IbLb0EEEEDaS1Q_S1R_EUlS1Q_E_NS1_11comp_targetILNS1_3genE4ELNS1_11target_archE910ELNS1_3gpuE8ELNS1_3repE0EEENS1_30default_config_static_selectorELNS0_4arch9wavefront6targetE0EEEvS13_, .Lfunc_end2003-_ZN7rocprim17ROCPRIM_400000_NS6detail17trampoline_kernelINS0_13select_configILj256ELj13ELNS0_17block_load_methodE3ELS4_3ELS4_3ELNS0_20block_scan_algorithmE0ELj4294967295EEENS1_25partition_config_selectorILNS1_17partition_subalgoE4EjNS0_10empty_typeEbEEZZNS1_14partition_implILS8_4ELb0ES6_15HIP_vector_typeIjLj2EENS0_17counting_iteratorIjlEEPS9_SG_NS0_5tupleIJPjSI_NS0_16reverse_iteratorISI_EEEEENSH_IJSG_SG_SG_EEES9_SI_JZNS1_25segmented_radix_sort_implINS0_14default_configELb0EPK12hip_bfloat16PSP_PKlPlN2at6native12_GLOBAL__N_18offset_tEEE10hipError_tPvRmT1_PNSt15iterator_traitsIS13_E10value_typeET2_T3_PNS14_IS19_E10value_typeET4_jRbjT5_S1F_jjP12ihipStream_tbEUljE_ZNSN_ISO_Lb0ESR_SS_SU_SV_SZ_EES10_S11_S12_S13_S17_S18_S19_S1C_S1D_jS1E_jS1F_S1F_jjS1H_bEUljE0_EEES10_S11_S12_S19_S1D_S1F_T6_T7_T9_mT8_S1H_bDpT10_ENKUlT_T0_E_clISt17integral_constantIbLb1EES1U_IbLb0EEEEDaS1Q_S1R_EUlS1Q_E_NS1_11comp_targetILNS1_3genE4ELNS1_11target_archE910ELNS1_3gpuE8ELNS1_3repE0EEENS1_30default_config_static_selectorELNS0_4arch9wavefront6targetE0EEEvS13_
                                        ; -- End function
	.section	.AMDGPU.csdata,"",@progbits
; Kernel info:
; codeLenInByte = 0
; NumSgprs: 0
; NumVgprs: 0
; ScratchSize: 0
; MemoryBound: 0
; FloatMode: 240
; IeeeMode: 1
; LDSByteSize: 0 bytes/workgroup (compile time only)
; SGPRBlocks: 0
; VGPRBlocks: 0
; NumSGPRsForWavesPerEU: 1
; NumVGPRsForWavesPerEU: 1
; Occupancy: 16
; WaveLimiterHint : 0
; COMPUTE_PGM_RSRC2:SCRATCH_EN: 0
; COMPUTE_PGM_RSRC2:USER_SGPR: 15
; COMPUTE_PGM_RSRC2:TRAP_HANDLER: 0
; COMPUTE_PGM_RSRC2:TGID_X_EN: 1
; COMPUTE_PGM_RSRC2:TGID_Y_EN: 0
; COMPUTE_PGM_RSRC2:TGID_Z_EN: 0
; COMPUTE_PGM_RSRC2:TIDIG_COMP_CNT: 0
	.section	.text._ZN7rocprim17ROCPRIM_400000_NS6detail17trampoline_kernelINS0_13select_configILj256ELj13ELNS0_17block_load_methodE3ELS4_3ELS4_3ELNS0_20block_scan_algorithmE0ELj4294967295EEENS1_25partition_config_selectorILNS1_17partition_subalgoE4EjNS0_10empty_typeEbEEZZNS1_14partition_implILS8_4ELb0ES6_15HIP_vector_typeIjLj2EENS0_17counting_iteratorIjlEEPS9_SG_NS0_5tupleIJPjSI_NS0_16reverse_iteratorISI_EEEEENSH_IJSG_SG_SG_EEES9_SI_JZNS1_25segmented_radix_sort_implINS0_14default_configELb0EPK12hip_bfloat16PSP_PKlPlN2at6native12_GLOBAL__N_18offset_tEEE10hipError_tPvRmT1_PNSt15iterator_traitsIS13_E10value_typeET2_T3_PNS14_IS19_E10value_typeET4_jRbjT5_S1F_jjP12ihipStream_tbEUljE_ZNSN_ISO_Lb0ESR_SS_SU_SV_SZ_EES10_S11_S12_S13_S17_S18_S19_S1C_S1D_jS1E_jS1F_S1F_jjS1H_bEUljE0_EEES10_S11_S12_S19_S1D_S1F_T6_T7_T9_mT8_S1H_bDpT10_ENKUlT_T0_E_clISt17integral_constantIbLb1EES1U_IbLb0EEEEDaS1Q_S1R_EUlS1Q_E_NS1_11comp_targetILNS1_3genE3ELNS1_11target_archE908ELNS1_3gpuE7ELNS1_3repE0EEENS1_30default_config_static_selectorELNS0_4arch9wavefront6targetE0EEEvS13_,"axG",@progbits,_ZN7rocprim17ROCPRIM_400000_NS6detail17trampoline_kernelINS0_13select_configILj256ELj13ELNS0_17block_load_methodE3ELS4_3ELS4_3ELNS0_20block_scan_algorithmE0ELj4294967295EEENS1_25partition_config_selectorILNS1_17partition_subalgoE4EjNS0_10empty_typeEbEEZZNS1_14partition_implILS8_4ELb0ES6_15HIP_vector_typeIjLj2EENS0_17counting_iteratorIjlEEPS9_SG_NS0_5tupleIJPjSI_NS0_16reverse_iteratorISI_EEEEENSH_IJSG_SG_SG_EEES9_SI_JZNS1_25segmented_radix_sort_implINS0_14default_configELb0EPK12hip_bfloat16PSP_PKlPlN2at6native12_GLOBAL__N_18offset_tEEE10hipError_tPvRmT1_PNSt15iterator_traitsIS13_E10value_typeET2_T3_PNS14_IS19_E10value_typeET4_jRbjT5_S1F_jjP12ihipStream_tbEUljE_ZNSN_ISO_Lb0ESR_SS_SU_SV_SZ_EES10_S11_S12_S13_S17_S18_S19_S1C_S1D_jS1E_jS1F_S1F_jjS1H_bEUljE0_EEES10_S11_S12_S19_S1D_S1F_T6_T7_T9_mT8_S1H_bDpT10_ENKUlT_T0_E_clISt17integral_constantIbLb1EES1U_IbLb0EEEEDaS1Q_S1R_EUlS1Q_E_NS1_11comp_targetILNS1_3genE3ELNS1_11target_archE908ELNS1_3gpuE7ELNS1_3repE0EEENS1_30default_config_static_selectorELNS0_4arch9wavefront6targetE0EEEvS13_,comdat
	.globl	_ZN7rocprim17ROCPRIM_400000_NS6detail17trampoline_kernelINS0_13select_configILj256ELj13ELNS0_17block_load_methodE3ELS4_3ELS4_3ELNS0_20block_scan_algorithmE0ELj4294967295EEENS1_25partition_config_selectorILNS1_17partition_subalgoE4EjNS0_10empty_typeEbEEZZNS1_14partition_implILS8_4ELb0ES6_15HIP_vector_typeIjLj2EENS0_17counting_iteratorIjlEEPS9_SG_NS0_5tupleIJPjSI_NS0_16reverse_iteratorISI_EEEEENSH_IJSG_SG_SG_EEES9_SI_JZNS1_25segmented_radix_sort_implINS0_14default_configELb0EPK12hip_bfloat16PSP_PKlPlN2at6native12_GLOBAL__N_18offset_tEEE10hipError_tPvRmT1_PNSt15iterator_traitsIS13_E10value_typeET2_T3_PNS14_IS19_E10value_typeET4_jRbjT5_S1F_jjP12ihipStream_tbEUljE_ZNSN_ISO_Lb0ESR_SS_SU_SV_SZ_EES10_S11_S12_S13_S17_S18_S19_S1C_S1D_jS1E_jS1F_S1F_jjS1H_bEUljE0_EEES10_S11_S12_S19_S1D_S1F_T6_T7_T9_mT8_S1H_bDpT10_ENKUlT_T0_E_clISt17integral_constantIbLb1EES1U_IbLb0EEEEDaS1Q_S1R_EUlS1Q_E_NS1_11comp_targetILNS1_3genE3ELNS1_11target_archE908ELNS1_3gpuE7ELNS1_3repE0EEENS1_30default_config_static_selectorELNS0_4arch9wavefront6targetE0EEEvS13_ ; -- Begin function _ZN7rocprim17ROCPRIM_400000_NS6detail17trampoline_kernelINS0_13select_configILj256ELj13ELNS0_17block_load_methodE3ELS4_3ELS4_3ELNS0_20block_scan_algorithmE0ELj4294967295EEENS1_25partition_config_selectorILNS1_17partition_subalgoE4EjNS0_10empty_typeEbEEZZNS1_14partition_implILS8_4ELb0ES6_15HIP_vector_typeIjLj2EENS0_17counting_iteratorIjlEEPS9_SG_NS0_5tupleIJPjSI_NS0_16reverse_iteratorISI_EEEEENSH_IJSG_SG_SG_EEES9_SI_JZNS1_25segmented_radix_sort_implINS0_14default_configELb0EPK12hip_bfloat16PSP_PKlPlN2at6native12_GLOBAL__N_18offset_tEEE10hipError_tPvRmT1_PNSt15iterator_traitsIS13_E10value_typeET2_T3_PNS14_IS19_E10value_typeET4_jRbjT5_S1F_jjP12ihipStream_tbEUljE_ZNSN_ISO_Lb0ESR_SS_SU_SV_SZ_EES10_S11_S12_S13_S17_S18_S19_S1C_S1D_jS1E_jS1F_S1F_jjS1H_bEUljE0_EEES10_S11_S12_S19_S1D_S1F_T6_T7_T9_mT8_S1H_bDpT10_ENKUlT_T0_E_clISt17integral_constantIbLb1EES1U_IbLb0EEEEDaS1Q_S1R_EUlS1Q_E_NS1_11comp_targetILNS1_3genE3ELNS1_11target_archE908ELNS1_3gpuE7ELNS1_3repE0EEENS1_30default_config_static_selectorELNS0_4arch9wavefront6targetE0EEEvS13_
	.p2align	8
	.type	_ZN7rocprim17ROCPRIM_400000_NS6detail17trampoline_kernelINS0_13select_configILj256ELj13ELNS0_17block_load_methodE3ELS4_3ELS4_3ELNS0_20block_scan_algorithmE0ELj4294967295EEENS1_25partition_config_selectorILNS1_17partition_subalgoE4EjNS0_10empty_typeEbEEZZNS1_14partition_implILS8_4ELb0ES6_15HIP_vector_typeIjLj2EENS0_17counting_iteratorIjlEEPS9_SG_NS0_5tupleIJPjSI_NS0_16reverse_iteratorISI_EEEEENSH_IJSG_SG_SG_EEES9_SI_JZNS1_25segmented_radix_sort_implINS0_14default_configELb0EPK12hip_bfloat16PSP_PKlPlN2at6native12_GLOBAL__N_18offset_tEEE10hipError_tPvRmT1_PNSt15iterator_traitsIS13_E10value_typeET2_T3_PNS14_IS19_E10value_typeET4_jRbjT5_S1F_jjP12ihipStream_tbEUljE_ZNSN_ISO_Lb0ESR_SS_SU_SV_SZ_EES10_S11_S12_S13_S17_S18_S19_S1C_S1D_jS1E_jS1F_S1F_jjS1H_bEUljE0_EEES10_S11_S12_S19_S1D_S1F_T6_T7_T9_mT8_S1H_bDpT10_ENKUlT_T0_E_clISt17integral_constantIbLb1EES1U_IbLb0EEEEDaS1Q_S1R_EUlS1Q_E_NS1_11comp_targetILNS1_3genE3ELNS1_11target_archE908ELNS1_3gpuE7ELNS1_3repE0EEENS1_30default_config_static_selectorELNS0_4arch9wavefront6targetE0EEEvS13_,@function
_ZN7rocprim17ROCPRIM_400000_NS6detail17trampoline_kernelINS0_13select_configILj256ELj13ELNS0_17block_load_methodE3ELS4_3ELS4_3ELNS0_20block_scan_algorithmE0ELj4294967295EEENS1_25partition_config_selectorILNS1_17partition_subalgoE4EjNS0_10empty_typeEbEEZZNS1_14partition_implILS8_4ELb0ES6_15HIP_vector_typeIjLj2EENS0_17counting_iteratorIjlEEPS9_SG_NS0_5tupleIJPjSI_NS0_16reverse_iteratorISI_EEEEENSH_IJSG_SG_SG_EEES9_SI_JZNS1_25segmented_radix_sort_implINS0_14default_configELb0EPK12hip_bfloat16PSP_PKlPlN2at6native12_GLOBAL__N_18offset_tEEE10hipError_tPvRmT1_PNSt15iterator_traitsIS13_E10value_typeET2_T3_PNS14_IS19_E10value_typeET4_jRbjT5_S1F_jjP12ihipStream_tbEUljE_ZNSN_ISO_Lb0ESR_SS_SU_SV_SZ_EES10_S11_S12_S13_S17_S18_S19_S1C_S1D_jS1E_jS1F_S1F_jjS1H_bEUljE0_EEES10_S11_S12_S19_S1D_S1F_T6_T7_T9_mT8_S1H_bDpT10_ENKUlT_T0_E_clISt17integral_constantIbLb1EES1U_IbLb0EEEEDaS1Q_S1R_EUlS1Q_E_NS1_11comp_targetILNS1_3genE3ELNS1_11target_archE908ELNS1_3gpuE7ELNS1_3repE0EEENS1_30default_config_static_selectorELNS0_4arch9wavefront6targetE0EEEvS13_: ; @_ZN7rocprim17ROCPRIM_400000_NS6detail17trampoline_kernelINS0_13select_configILj256ELj13ELNS0_17block_load_methodE3ELS4_3ELS4_3ELNS0_20block_scan_algorithmE0ELj4294967295EEENS1_25partition_config_selectorILNS1_17partition_subalgoE4EjNS0_10empty_typeEbEEZZNS1_14partition_implILS8_4ELb0ES6_15HIP_vector_typeIjLj2EENS0_17counting_iteratorIjlEEPS9_SG_NS0_5tupleIJPjSI_NS0_16reverse_iteratorISI_EEEEENSH_IJSG_SG_SG_EEES9_SI_JZNS1_25segmented_radix_sort_implINS0_14default_configELb0EPK12hip_bfloat16PSP_PKlPlN2at6native12_GLOBAL__N_18offset_tEEE10hipError_tPvRmT1_PNSt15iterator_traitsIS13_E10value_typeET2_T3_PNS14_IS19_E10value_typeET4_jRbjT5_S1F_jjP12ihipStream_tbEUljE_ZNSN_ISO_Lb0ESR_SS_SU_SV_SZ_EES10_S11_S12_S13_S17_S18_S19_S1C_S1D_jS1E_jS1F_S1F_jjS1H_bEUljE0_EEES10_S11_S12_S19_S1D_S1F_T6_T7_T9_mT8_S1H_bDpT10_ENKUlT_T0_E_clISt17integral_constantIbLb1EES1U_IbLb0EEEEDaS1Q_S1R_EUlS1Q_E_NS1_11comp_targetILNS1_3genE3ELNS1_11target_archE908ELNS1_3gpuE7ELNS1_3repE0EEENS1_30default_config_static_selectorELNS0_4arch9wavefront6targetE0EEEvS13_
; %bb.0:
	.section	.rodata,"a",@progbits
	.p2align	6, 0x0
	.amdhsa_kernel _ZN7rocprim17ROCPRIM_400000_NS6detail17trampoline_kernelINS0_13select_configILj256ELj13ELNS0_17block_load_methodE3ELS4_3ELS4_3ELNS0_20block_scan_algorithmE0ELj4294967295EEENS1_25partition_config_selectorILNS1_17partition_subalgoE4EjNS0_10empty_typeEbEEZZNS1_14partition_implILS8_4ELb0ES6_15HIP_vector_typeIjLj2EENS0_17counting_iteratorIjlEEPS9_SG_NS0_5tupleIJPjSI_NS0_16reverse_iteratorISI_EEEEENSH_IJSG_SG_SG_EEES9_SI_JZNS1_25segmented_radix_sort_implINS0_14default_configELb0EPK12hip_bfloat16PSP_PKlPlN2at6native12_GLOBAL__N_18offset_tEEE10hipError_tPvRmT1_PNSt15iterator_traitsIS13_E10value_typeET2_T3_PNS14_IS19_E10value_typeET4_jRbjT5_S1F_jjP12ihipStream_tbEUljE_ZNSN_ISO_Lb0ESR_SS_SU_SV_SZ_EES10_S11_S12_S13_S17_S18_S19_S1C_S1D_jS1E_jS1F_S1F_jjS1H_bEUljE0_EEES10_S11_S12_S19_S1D_S1F_T6_T7_T9_mT8_S1H_bDpT10_ENKUlT_T0_E_clISt17integral_constantIbLb1EES1U_IbLb0EEEEDaS1Q_S1R_EUlS1Q_E_NS1_11comp_targetILNS1_3genE3ELNS1_11target_archE908ELNS1_3gpuE7ELNS1_3repE0EEENS1_30default_config_static_selectorELNS0_4arch9wavefront6targetE0EEEvS13_
		.amdhsa_group_segment_fixed_size 0
		.amdhsa_private_segment_fixed_size 0
		.amdhsa_kernarg_size 176
		.amdhsa_user_sgpr_count 15
		.amdhsa_user_sgpr_dispatch_ptr 0
		.amdhsa_user_sgpr_queue_ptr 0
		.amdhsa_user_sgpr_kernarg_segment_ptr 1
		.amdhsa_user_sgpr_dispatch_id 0
		.amdhsa_user_sgpr_private_segment_size 0
		.amdhsa_wavefront_size32 1
		.amdhsa_uses_dynamic_stack 0
		.amdhsa_enable_private_segment 0
		.amdhsa_system_sgpr_workgroup_id_x 1
		.amdhsa_system_sgpr_workgroup_id_y 0
		.amdhsa_system_sgpr_workgroup_id_z 0
		.amdhsa_system_sgpr_workgroup_info 0
		.amdhsa_system_vgpr_workitem_id 0
		.amdhsa_next_free_vgpr 1
		.amdhsa_next_free_sgpr 1
		.amdhsa_reserve_vcc 0
		.amdhsa_float_round_mode_32 0
		.amdhsa_float_round_mode_16_64 0
		.amdhsa_float_denorm_mode_32 3
		.amdhsa_float_denorm_mode_16_64 3
		.amdhsa_dx10_clamp 1
		.amdhsa_ieee_mode 1
		.amdhsa_fp16_overflow 0
		.amdhsa_workgroup_processor_mode 1
		.amdhsa_memory_ordered 1
		.amdhsa_forward_progress 0
		.amdhsa_shared_vgpr_count 0
		.amdhsa_exception_fp_ieee_invalid_op 0
		.amdhsa_exception_fp_denorm_src 0
		.amdhsa_exception_fp_ieee_div_zero 0
		.amdhsa_exception_fp_ieee_overflow 0
		.amdhsa_exception_fp_ieee_underflow 0
		.amdhsa_exception_fp_ieee_inexact 0
		.amdhsa_exception_int_div_zero 0
	.end_amdhsa_kernel
	.section	.text._ZN7rocprim17ROCPRIM_400000_NS6detail17trampoline_kernelINS0_13select_configILj256ELj13ELNS0_17block_load_methodE3ELS4_3ELS4_3ELNS0_20block_scan_algorithmE0ELj4294967295EEENS1_25partition_config_selectorILNS1_17partition_subalgoE4EjNS0_10empty_typeEbEEZZNS1_14partition_implILS8_4ELb0ES6_15HIP_vector_typeIjLj2EENS0_17counting_iteratorIjlEEPS9_SG_NS0_5tupleIJPjSI_NS0_16reverse_iteratorISI_EEEEENSH_IJSG_SG_SG_EEES9_SI_JZNS1_25segmented_radix_sort_implINS0_14default_configELb0EPK12hip_bfloat16PSP_PKlPlN2at6native12_GLOBAL__N_18offset_tEEE10hipError_tPvRmT1_PNSt15iterator_traitsIS13_E10value_typeET2_T3_PNS14_IS19_E10value_typeET4_jRbjT5_S1F_jjP12ihipStream_tbEUljE_ZNSN_ISO_Lb0ESR_SS_SU_SV_SZ_EES10_S11_S12_S13_S17_S18_S19_S1C_S1D_jS1E_jS1F_S1F_jjS1H_bEUljE0_EEES10_S11_S12_S19_S1D_S1F_T6_T7_T9_mT8_S1H_bDpT10_ENKUlT_T0_E_clISt17integral_constantIbLb1EES1U_IbLb0EEEEDaS1Q_S1R_EUlS1Q_E_NS1_11comp_targetILNS1_3genE3ELNS1_11target_archE908ELNS1_3gpuE7ELNS1_3repE0EEENS1_30default_config_static_selectorELNS0_4arch9wavefront6targetE0EEEvS13_,"axG",@progbits,_ZN7rocprim17ROCPRIM_400000_NS6detail17trampoline_kernelINS0_13select_configILj256ELj13ELNS0_17block_load_methodE3ELS4_3ELS4_3ELNS0_20block_scan_algorithmE0ELj4294967295EEENS1_25partition_config_selectorILNS1_17partition_subalgoE4EjNS0_10empty_typeEbEEZZNS1_14partition_implILS8_4ELb0ES6_15HIP_vector_typeIjLj2EENS0_17counting_iteratorIjlEEPS9_SG_NS0_5tupleIJPjSI_NS0_16reverse_iteratorISI_EEEEENSH_IJSG_SG_SG_EEES9_SI_JZNS1_25segmented_radix_sort_implINS0_14default_configELb0EPK12hip_bfloat16PSP_PKlPlN2at6native12_GLOBAL__N_18offset_tEEE10hipError_tPvRmT1_PNSt15iterator_traitsIS13_E10value_typeET2_T3_PNS14_IS19_E10value_typeET4_jRbjT5_S1F_jjP12ihipStream_tbEUljE_ZNSN_ISO_Lb0ESR_SS_SU_SV_SZ_EES10_S11_S12_S13_S17_S18_S19_S1C_S1D_jS1E_jS1F_S1F_jjS1H_bEUljE0_EEES10_S11_S12_S19_S1D_S1F_T6_T7_T9_mT8_S1H_bDpT10_ENKUlT_T0_E_clISt17integral_constantIbLb1EES1U_IbLb0EEEEDaS1Q_S1R_EUlS1Q_E_NS1_11comp_targetILNS1_3genE3ELNS1_11target_archE908ELNS1_3gpuE7ELNS1_3repE0EEENS1_30default_config_static_selectorELNS0_4arch9wavefront6targetE0EEEvS13_,comdat
.Lfunc_end2004:
	.size	_ZN7rocprim17ROCPRIM_400000_NS6detail17trampoline_kernelINS0_13select_configILj256ELj13ELNS0_17block_load_methodE3ELS4_3ELS4_3ELNS0_20block_scan_algorithmE0ELj4294967295EEENS1_25partition_config_selectorILNS1_17partition_subalgoE4EjNS0_10empty_typeEbEEZZNS1_14partition_implILS8_4ELb0ES6_15HIP_vector_typeIjLj2EENS0_17counting_iteratorIjlEEPS9_SG_NS0_5tupleIJPjSI_NS0_16reverse_iteratorISI_EEEEENSH_IJSG_SG_SG_EEES9_SI_JZNS1_25segmented_radix_sort_implINS0_14default_configELb0EPK12hip_bfloat16PSP_PKlPlN2at6native12_GLOBAL__N_18offset_tEEE10hipError_tPvRmT1_PNSt15iterator_traitsIS13_E10value_typeET2_T3_PNS14_IS19_E10value_typeET4_jRbjT5_S1F_jjP12ihipStream_tbEUljE_ZNSN_ISO_Lb0ESR_SS_SU_SV_SZ_EES10_S11_S12_S13_S17_S18_S19_S1C_S1D_jS1E_jS1F_S1F_jjS1H_bEUljE0_EEES10_S11_S12_S19_S1D_S1F_T6_T7_T9_mT8_S1H_bDpT10_ENKUlT_T0_E_clISt17integral_constantIbLb1EES1U_IbLb0EEEEDaS1Q_S1R_EUlS1Q_E_NS1_11comp_targetILNS1_3genE3ELNS1_11target_archE908ELNS1_3gpuE7ELNS1_3repE0EEENS1_30default_config_static_selectorELNS0_4arch9wavefront6targetE0EEEvS13_, .Lfunc_end2004-_ZN7rocprim17ROCPRIM_400000_NS6detail17trampoline_kernelINS0_13select_configILj256ELj13ELNS0_17block_load_methodE3ELS4_3ELS4_3ELNS0_20block_scan_algorithmE0ELj4294967295EEENS1_25partition_config_selectorILNS1_17partition_subalgoE4EjNS0_10empty_typeEbEEZZNS1_14partition_implILS8_4ELb0ES6_15HIP_vector_typeIjLj2EENS0_17counting_iteratorIjlEEPS9_SG_NS0_5tupleIJPjSI_NS0_16reverse_iteratorISI_EEEEENSH_IJSG_SG_SG_EEES9_SI_JZNS1_25segmented_radix_sort_implINS0_14default_configELb0EPK12hip_bfloat16PSP_PKlPlN2at6native12_GLOBAL__N_18offset_tEEE10hipError_tPvRmT1_PNSt15iterator_traitsIS13_E10value_typeET2_T3_PNS14_IS19_E10value_typeET4_jRbjT5_S1F_jjP12ihipStream_tbEUljE_ZNSN_ISO_Lb0ESR_SS_SU_SV_SZ_EES10_S11_S12_S13_S17_S18_S19_S1C_S1D_jS1E_jS1F_S1F_jjS1H_bEUljE0_EEES10_S11_S12_S19_S1D_S1F_T6_T7_T9_mT8_S1H_bDpT10_ENKUlT_T0_E_clISt17integral_constantIbLb1EES1U_IbLb0EEEEDaS1Q_S1R_EUlS1Q_E_NS1_11comp_targetILNS1_3genE3ELNS1_11target_archE908ELNS1_3gpuE7ELNS1_3repE0EEENS1_30default_config_static_selectorELNS0_4arch9wavefront6targetE0EEEvS13_
                                        ; -- End function
	.section	.AMDGPU.csdata,"",@progbits
; Kernel info:
; codeLenInByte = 0
; NumSgprs: 0
; NumVgprs: 0
; ScratchSize: 0
; MemoryBound: 0
; FloatMode: 240
; IeeeMode: 1
; LDSByteSize: 0 bytes/workgroup (compile time only)
; SGPRBlocks: 0
; VGPRBlocks: 0
; NumSGPRsForWavesPerEU: 1
; NumVGPRsForWavesPerEU: 1
; Occupancy: 16
; WaveLimiterHint : 0
; COMPUTE_PGM_RSRC2:SCRATCH_EN: 0
; COMPUTE_PGM_RSRC2:USER_SGPR: 15
; COMPUTE_PGM_RSRC2:TRAP_HANDLER: 0
; COMPUTE_PGM_RSRC2:TGID_X_EN: 1
; COMPUTE_PGM_RSRC2:TGID_Y_EN: 0
; COMPUTE_PGM_RSRC2:TGID_Z_EN: 0
; COMPUTE_PGM_RSRC2:TIDIG_COMP_CNT: 0
	.section	.text._ZN7rocprim17ROCPRIM_400000_NS6detail17trampoline_kernelINS0_13select_configILj256ELj13ELNS0_17block_load_methodE3ELS4_3ELS4_3ELNS0_20block_scan_algorithmE0ELj4294967295EEENS1_25partition_config_selectorILNS1_17partition_subalgoE4EjNS0_10empty_typeEbEEZZNS1_14partition_implILS8_4ELb0ES6_15HIP_vector_typeIjLj2EENS0_17counting_iteratorIjlEEPS9_SG_NS0_5tupleIJPjSI_NS0_16reverse_iteratorISI_EEEEENSH_IJSG_SG_SG_EEES9_SI_JZNS1_25segmented_radix_sort_implINS0_14default_configELb0EPK12hip_bfloat16PSP_PKlPlN2at6native12_GLOBAL__N_18offset_tEEE10hipError_tPvRmT1_PNSt15iterator_traitsIS13_E10value_typeET2_T3_PNS14_IS19_E10value_typeET4_jRbjT5_S1F_jjP12ihipStream_tbEUljE_ZNSN_ISO_Lb0ESR_SS_SU_SV_SZ_EES10_S11_S12_S13_S17_S18_S19_S1C_S1D_jS1E_jS1F_S1F_jjS1H_bEUljE0_EEES10_S11_S12_S19_S1D_S1F_T6_T7_T9_mT8_S1H_bDpT10_ENKUlT_T0_E_clISt17integral_constantIbLb1EES1U_IbLb0EEEEDaS1Q_S1R_EUlS1Q_E_NS1_11comp_targetILNS1_3genE2ELNS1_11target_archE906ELNS1_3gpuE6ELNS1_3repE0EEENS1_30default_config_static_selectorELNS0_4arch9wavefront6targetE0EEEvS13_,"axG",@progbits,_ZN7rocprim17ROCPRIM_400000_NS6detail17trampoline_kernelINS0_13select_configILj256ELj13ELNS0_17block_load_methodE3ELS4_3ELS4_3ELNS0_20block_scan_algorithmE0ELj4294967295EEENS1_25partition_config_selectorILNS1_17partition_subalgoE4EjNS0_10empty_typeEbEEZZNS1_14partition_implILS8_4ELb0ES6_15HIP_vector_typeIjLj2EENS0_17counting_iteratorIjlEEPS9_SG_NS0_5tupleIJPjSI_NS0_16reverse_iteratorISI_EEEEENSH_IJSG_SG_SG_EEES9_SI_JZNS1_25segmented_radix_sort_implINS0_14default_configELb0EPK12hip_bfloat16PSP_PKlPlN2at6native12_GLOBAL__N_18offset_tEEE10hipError_tPvRmT1_PNSt15iterator_traitsIS13_E10value_typeET2_T3_PNS14_IS19_E10value_typeET4_jRbjT5_S1F_jjP12ihipStream_tbEUljE_ZNSN_ISO_Lb0ESR_SS_SU_SV_SZ_EES10_S11_S12_S13_S17_S18_S19_S1C_S1D_jS1E_jS1F_S1F_jjS1H_bEUljE0_EEES10_S11_S12_S19_S1D_S1F_T6_T7_T9_mT8_S1H_bDpT10_ENKUlT_T0_E_clISt17integral_constantIbLb1EES1U_IbLb0EEEEDaS1Q_S1R_EUlS1Q_E_NS1_11comp_targetILNS1_3genE2ELNS1_11target_archE906ELNS1_3gpuE6ELNS1_3repE0EEENS1_30default_config_static_selectorELNS0_4arch9wavefront6targetE0EEEvS13_,comdat
	.globl	_ZN7rocprim17ROCPRIM_400000_NS6detail17trampoline_kernelINS0_13select_configILj256ELj13ELNS0_17block_load_methodE3ELS4_3ELS4_3ELNS0_20block_scan_algorithmE0ELj4294967295EEENS1_25partition_config_selectorILNS1_17partition_subalgoE4EjNS0_10empty_typeEbEEZZNS1_14partition_implILS8_4ELb0ES6_15HIP_vector_typeIjLj2EENS0_17counting_iteratorIjlEEPS9_SG_NS0_5tupleIJPjSI_NS0_16reverse_iteratorISI_EEEEENSH_IJSG_SG_SG_EEES9_SI_JZNS1_25segmented_radix_sort_implINS0_14default_configELb0EPK12hip_bfloat16PSP_PKlPlN2at6native12_GLOBAL__N_18offset_tEEE10hipError_tPvRmT1_PNSt15iterator_traitsIS13_E10value_typeET2_T3_PNS14_IS19_E10value_typeET4_jRbjT5_S1F_jjP12ihipStream_tbEUljE_ZNSN_ISO_Lb0ESR_SS_SU_SV_SZ_EES10_S11_S12_S13_S17_S18_S19_S1C_S1D_jS1E_jS1F_S1F_jjS1H_bEUljE0_EEES10_S11_S12_S19_S1D_S1F_T6_T7_T9_mT8_S1H_bDpT10_ENKUlT_T0_E_clISt17integral_constantIbLb1EES1U_IbLb0EEEEDaS1Q_S1R_EUlS1Q_E_NS1_11comp_targetILNS1_3genE2ELNS1_11target_archE906ELNS1_3gpuE6ELNS1_3repE0EEENS1_30default_config_static_selectorELNS0_4arch9wavefront6targetE0EEEvS13_ ; -- Begin function _ZN7rocprim17ROCPRIM_400000_NS6detail17trampoline_kernelINS0_13select_configILj256ELj13ELNS0_17block_load_methodE3ELS4_3ELS4_3ELNS0_20block_scan_algorithmE0ELj4294967295EEENS1_25partition_config_selectorILNS1_17partition_subalgoE4EjNS0_10empty_typeEbEEZZNS1_14partition_implILS8_4ELb0ES6_15HIP_vector_typeIjLj2EENS0_17counting_iteratorIjlEEPS9_SG_NS0_5tupleIJPjSI_NS0_16reverse_iteratorISI_EEEEENSH_IJSG_SG_SG_EEES9_SI_JZNS1_25segmented_radix_sort_implINS0_14default_configELb0EPK12hip_bfloat16PSP_PKlPlN2at6native12_GLOBAL__N_18offset_tEEE10hipError_tPvRmT1_PNSt15iterator_traitsIS13_E10value_typeET2_T3_PNS14_IS19_E10value_typeET4_jRbjT5_S1F_jjP12ihipStream_tbEUljE_ZNSN_ISO_Lb0ESR_SS_SU_SV_SZ_EES10_S11_S12_S13_S17_S18_S19_S1C_S1D_jS1E_jS1F_S1F_jjS1H_bEUljE0_EEES10_S11_S12_S19_S1D_S1F_T6_T7_T9_mT8_S1H_bDpT10_ENKUlT_T0_E_clISt17integral_constantIbLb1EES1U_IbLb0EEEEDaS1Q_S1R_EUlS1Q_E_NS1_11comp_targetILNS1_3genE2ELNS1_11target_archE906ELNS1_3gpuE6ELNS1_3repE0EEENS1_30default_config_static_selectorELNS0_4arch9wavefront6targetE0EEEvS13_
	.p2align	8
	.type	_ZN7rocprim17ROCPRIM_400000_NS6detail17trampoline_kernelINS0_13select_configILj256ELj13ELNS0_17block_load_methodE3ELS4_3ELS4_3ELNS0_20block_scan_algorithmE0ELj4294967295EEENS1_25partition_config_selectorILNS1_17partition_subalgoE4EjNS0_10empty_typeEbEEZZNS1_14partition_implILS8_4ELb0ES6_15HIP_vector_typeIjLj2EENS0_17counting_iteratorIjlEEPS9_SG_NS0_5tupleIJPjSI_NS0_16reverse_iteratorISI_EEEEENSH_IJSG_SG_SG_EEES9_SI_JZNS1_25segmented_radix_sort_implINS0_14default_configELb0EPK12hip_bfloat16PSP_PKlPlN2at6native12_GLOBAL__N_18offset_tEEE10hipError_tPvRmT1_PNSt15iterator_traitsIS13_E10value_typeET2_T3_PNS14_IS19_E10value_typeET4_jRbjT5_S1F_jjP12ihipStream_tbEUljE_ZNSN_ISO_Lb0ESR_SS_SU_SV_SZ_EES10_S11_S12_S13_S17_S18_S19_S1C_S1D_jS1E_jS1F_S1F_jjS1H_bEUljE0_EEES10_S11_S12_S19_S1D_S1F_T6_T7_T9_mT8_S1H_bDpT10_ENKUlT_T0_E_clISt17integral_constantIbLb1EES1U_IbLb0EEEEDaS1Q_S1R_EUlS1Q_E_NS1_11comp_targetILNS1_3genE2ELNS1_11target_archE906ELNS1_3gpuE6ELNS1_3repE0EEENS1_30default_config_static_selectorELNS0_4arch9wavefront6targetE0EEEvS13_,@function
_ZN7rocprim17ROCPRIM_400000_NS6detail17trampoline_kernelINS0_13select_configILj256ELj13ELNS0_17block_load_methodE3ELS4_3ELS4_3ELNS0_20block_scan_algorithmE0ELj4294967295EEENS1_25partition_config_selectorILNS1_17partition_subalgoE4EjNS0_10empty_typeEbEEZZNS1_14partition_implILS8_4ELb0ES6_15HIP_vector_typeIjLj2EENS0_17counting_iteratorIjlEEPS9_SG_NS0_5tupleIJPjSI_NS0_16reverse_iteratorISI_EEEEENSH_IJSG_SG_SG_EEES9_SI_JZNS1_25segmented_radix_sort_implINS0_14default_configELb0EPK12hip_bfloat16PSP_PKlPlN2at6native12_GLOBAL__N_18offset_tEEE10hipError_tPvRmT1_PNSt15iterator_traitsIS13_E10value_typeET2_T3_PNS14_IS19_E10value_typeET4_jRbjT5_S1F_jjP12ihipStream_tbEUljE_ZNSN_ISO_Lb0ESR_SS_SU_SV_SZ_EES10_S11_S12_S13_S17_S18_S19_S1C_S1D_jS1E_jS1F_S1F_jjS1H_bEUljE0_EEES10_S11_S12_S19_S1D_S1F_T6_T7_T9_mT8_S1H_bDpT10_ENKUlT_T0_E_clISt17integral_constantIbLb1EES1U_IbLb0EEEEDaS1Q_S1R_EUlS1Q_E_NS1_11comp_targetILNS1_3genE2ELNS1_11target_archE906ELNS1_3gpuE6ELNS1_3repE0EEENS1_30default_config_static_selectorELNS0_4arch9wavefront6targetE0EEEvS13_: ; @_ZN7rocprim17ROCPRIM_400000_NS6detail17trampoline_kernelINS0_13select_configILj256ELj13ELNS0_17block_load_methodE3ELS4_3ELS4_3ELNS0_20block_scan_algorithmE0ELj4294967295EEENS1_25partition_config_selectorILNS1_17partition_subalgoE4EjNS0_10empty_typeEbEEZZNS1_14partition_implILS8_4ELb0ES6_15HIP_vector_typeIjLj2EENS0_17counting_iteratorIjlEEPS9_SG_NS0_5tupleIJPjSI_NS0_16reverse_iteratorISI_EEEEENSH_IJSG_SG_SG_EEES9_SI_JZNS1_25segmented_radix_sort_implINS0_14default_configELb0EPK12hip_bfloat16PSP_PKlPlN2at6native12_GLOBAL__N_18offset_tEEE10hipError_tPvRmT1_PNSt15iterator_traitsIS13_E10value_typeET2_T3_PNS14_IS19_E10value_typeET4_jRbjT5_S1F_jjP12ihipStream_tbEUljE_ZNSN_ISO_Lb0ESR_SS_SU_SV_SZ_EES10_S11_S12_S13_S17_S18_S19_S1C_S1D_jS1E_jS1F_S1F_jjS1H_bEUljE0_EEES10_S11_S12_S19_S1D_S1F_T6_T7_T9_mT8_S1H_bDpT10_ENKUlT_T0_E_clISt17integral_constantIbLb1EES1U_IbLb0EEEEDaS1Q_S1R_EUlS1Q_E_NS1_11comp_targetILNS1_3genE2ELNS1_11target_archE906ELNS1_3gpuE6ELNS1_3repE0EEENS1_30default_config_static_selectorELNS0_4arch9wavefront6targetE0EEEvS13_
; %bb.0:
	.section	.rodata,"a",@progbits
	.p2align	6, 0x0
	.amdhsa_kernel _ZN7rocprim17ROCPRIM_400000_NS6detail17trampoline_kernelINS0_13select_configILj256ELj13ELNS0_17block_load_methodE3ELS4_3ELS4_3ELNS0_20block_scan_algorithmE0ELj4294967295EEENS1_25partition_config_selectorILNS1_17partition_subalgoE4EjNS0_10empty_typeEbEEZZNS1_14partition_implILS8_4ELb0ES6_15HIP_vector_typeIjLj2EENS0_17counting_iteratorIjlEEPS9_SG_NS0_5tupleIJPjSI_NS0_16reverse_iteratorISI_EEEEENSH_IJSG_SG_SG_EEES9_SI_JZNS1_25segmented_radix_sort_implINS0_14default_configELb0EPK12hip_bfloat16PSP_PKlPlN2at6native12_GLOBAL__N_18offset_tEEE10hipError_tPvRmT1_PNSt15iterator_traitsIS13_E10value_typeET2_T3_PNS14_IS19_E10value_typeET4_jRbjT5_S1F_jjP12ihipStream_tbEUljE_ZNSN_ISO_Lb0ESR_SS_SU_SV_SZ_EES10_S11_S12_S13_S17_S18_S19_S1C_S1D_jS1E_jS1F_S1F_jjS1H_bEUljE0_EEES10_S11_S12_S19_S1D_S1F_T6_T7_T9_mT8_S1H_bDpT10_ENKUlT_T0_E_clISt17integral_constantIbLb1EES1U_IbLb0EEEEDaS1Q_S1R_EUlS1Q_E_NS1_11comp_targetILNS1_3genE2ELNS1_11target_archE906ELNS1_3gpuE6ELNS1_3repE0EEENS1_30default_config_static_selectorELNS0_4arch9wavefront6targetE0EEEvS13_
		.amdhsa_group_segment_fixed_size 0
		.amdhsa_private_segment_fixed_size 0
		.amdhsa_kernarg_size 176
		.amdhsa_user_sgpr_count 15
		.amdhsa_user_sgpr_dispatch_ptr 0
		.amdhsa_user_sgpr_queue_ptr 0
		.amdhsa_user_sgpr_kernarg_segment_ptr 1
		.amdhsa_user_sgpr_dispatch_id 0
		.amdhsa_user_sgpr_private_segment_size 0
		.amdhsa_wavefront_size32 1
		.amdhsa_uses_dynamic_stack 0
		.amdhsa_enable_private_segment 0
		.amdhsa_system_sgpr_workgroup_id_x 1
		.amdhsa_system_sgpr_workgroup_id_y 0
		.amdhsa_system_sgpr_workgroup_id_z 0
		.amdhsa_system_sgpr_workgroup_info 0
		.amdhsa_system_vgpr_workitem_id 0
		.amdhsa_next_free_vgpr 1
		.amdhsa_next_free_sgpr 1
		.amdhsa_reserve_vcc 0
		.amdhsa_float_round_mode_32 0
		.amdhsa_float_round_mode_16_64 0
		.amdhsa_float_denorm_mode_32 3
		.amdhsa_float_denorm_mode_16_64 3
		.amdhsa_dx10_clamp 1
		.amdhsa_ieee_mode 1
		.amdhsa_fp16_overflow 0
		.amdhsa_workgroup_processor_mode 1
		.amdhsa_memory_ordered 1
		.amdhsa_forward_progress 0
		.amdhsa_shared_vgpr_count 0
		.amdhsa_exception_fp_ieee_invalid_op 0
		.amdhsa_exception_fp_denorm_src 0
		.amdhsa_exception_fp_ieee_div_zero 0
		.amdhsa_exception_fp_ieee_overflow 0
		.amdhsa_exception_fp_ieee_underflow 0
		.amdhsa_exception_fp_ieee_inexact 0
		.amdhsa_exception_int_div_zero 0
	.end_amdhsa_kernel
	.section	.text._ZN7rocprim17ROCPRIM_400000_NS6detail17trampoline_kernelINS0_13select_configILj256ELj13ELNS0_17block_load_methodE3ELS4_3ELS4_3ELNS0_20block_scan_algorithmE0ELj4294967295EEENS1_25partition_config_selectorILNS1_17partition_subalgoE4EjNS0_10empty_typeEbEEZZNS1_14partition_implILS8_4ELb0ES6_15HIP_vector_typeIjLj2EENS0_17counting_iteratorIjlEEPS9_SG_NS0_5tupleIJPjSI_NS0_16reverse_iteratorISI_EEEEENSH_IJSG_SG_SG_EEES9_SI_JZNS1_25segmented_radix_sort_implINS0_14default_configELb0EPK12hip_bfloat16PSP_PKlPlN2at6native12_GLOBAL__N_18offset_tEEE10hipError_tPvRmT1_PNSt15iterator_traitsIS13_E10value_typeET2_T3_PNS14_IS19_E10value_typeET4_jRbjT5_S1F_jjP12ihipStream_tbEUljE_ZNSN_ISO_Lb0ESR_SS_SU_SV_SZ_EES10_S11_S12_S13_S17_S18_S19_S1C_S1D_jS1E_jS1F_S1F_jjS1H_bEUljE0_EEES10_S11_S12_S19_S1D_S1F_T6_T7_T9_mT8_S1H_bDpT10_ENKUlT_T0_E_clISt17integral_constantIbLb1EES1U_IbLb0EEEEDaS1Q_S1R_EUlS1Q_E_NS1_11comp_targetILNS1_3genE2ELNS1_11target_archE906ELNS1_3gpuE6ELNS1_3repE0EEENS1_30default_config_static_selectorELNS0_4arch9wavefront6targetE0EEEvS13_,"axG",@progbits,_ZN7rocprim17ROCPRIM_400000_NS6detail17trampoline_kernelINS0_13select_configILj256ELj13ELNS0_17block_load_methodE3ELS4_3ELS4_3ELNS0_20block_scan_algorithmE0ELj4294967295EEENS1_25partition_config_selectorILNS1_17partition_subalgoE4EjNS0_10empty_typeEbEEZZNS1_14partition_implILS8_4ELb0ES6_15HIP_vector_typeIjLj2EENS0_17counting_iteratorIjlEEPS9_SG_NS0_5tupleIJPjSI_NS0_16reverse_iteratorISI_EEEEENSH_IJSG_SG_SG_EEES9_SI_JZNS1_25segmented_radix_sort_implINS0_14default_configELb0EPK12hip_bfloat16PSP_PKlPlN2at6native12_GLOBAL__N_18offset_tEEE10hipError_tPvRmT1_PNSt15iterator_traitsIS13_E10value_typeET2_T3_PNS14_IS19_E10value_typeET4_jRbjT5_S1F_jjP12ihipStream_tbEUljE_ZNSN_ISO_Lb0ESR_SS_SU_SV_SZ_EES10_S11_S12_S13_S17_S18_S19_S1C_S1D_jS1E_jS1F_S1F_jjS1H_bEUljE0_EEES10_S11_S12_S19_S1D_S1F_T6_T7_T9_mT8_S1H_bDpT10_ENKUlT_T0_E_clISt17integral_constantIbLb1EES1U_IbLb0EEEEDaS1Q_S1R_EUlS1Q_E_NS1_11comp_targetILNS1_3genE2ELNS1_11target_archE906ELNS1_3gpuE6ELNS1_3repE0EEENS1_30default_config_static_selectorELNS0_4arch9wavefront6targetE0EEEvS13_,comdat
.Lfunc_end2005:
	.size	_ZN7rocprim17ROCPRIM_400000_NS6detail17trampoline_kernelINS0_13select_configILj256ELj13ELNS0_17block_load_methodE3ELS4_3ELS4_3ELNS0_20block_scan_algorithmE0ELj4294967295EEENS1_25partition_config_selectorILNS1_17partition_subalgoE4EjNS0_10empty_typeEbEEZZNS1_14partition_implILS8_4ELb0ES6_15HIP_vector_typeIjLj2EENS0_17counting_iteratorIjlEEPS9_SG_NS0_5tupleIJPjSI_NS0_16reverse_iteratorISI_EEEEENSH_IJSG_SG_SG_EEES9_SI_JZNS1_25segmented_radix_sort_implINS0_14default_configELb0EPK12hip_bfloat16PSP_PKlPlN2at6native12_GLOBAL__N_18offset_tEEE10hipError_tPvRmT1_PNSt15iterator_traitsIS13_E10value_typeET2_T3_PNS14_IS19_E10value_typeET4_jRbjT5_S1F_jjP12ihipStream_tbEUljE_ZNSN_ISO_Lb0ESR_SS_SU_SV_SZ_EES10_S11_S12_S13_S17_S18_S19_S1C_S1D_jS1E_jS1F_S1F_jjS1H_bEUljE0_EEES10_S11_S12_S19_S1D_S1F_T6_T7_T9_mT8_S1H_bDpT10_ENKUlT_T0_E_clISt17integral_constantIbLb1EES1U_IbLb0EEEEDaS1Q_S1R_EUlS1Q_E_NS1_11comp_targetILNS1_3genE2ELNS1_11target_archE906ELNS1_3gpuE6ELNS1_3repE0EEENS1_30default_config_static_selectorELNS0_4arch9wavefront6targetE0EEEvS13_, .Lfunc_end2005-_ZN7rocprim17ROCPRIM_400000_NS6detail17trampoline_kernelINS0_13select_configILj256ELj13ELNS0_17block_load_methodE3ELS4_3ELS4_3ELNS0_20block_scan_algorithmE0ELj4294967295EEENS1_25partition_config_selectorILNS1_17partition_subalgoE4EjNS0_10empty_typeEbEEZZNS1_14partition_implILS8_4ELb0ES6_15HIP_vector_typeIjLj2EENS0_17counting_iteratorIjlEEPS9_SG_NS0_5tupleIJPjSI_NS0_16reverse_iteratorISI_EEEEENSH_IJSG_SG_SG_EEES9_SI_JZNS1_25segmented_radix_sort_implINS0_14default_configELb0EPK12hip_bfloat16PSP_PKlPlN2at6native12_GLOBAL__N_18offset_tEEE10hipError_tPvRmT1_PNSt15iterator_traitsIS13_E10value_typeET2_T3_PNS14_IS19_E10value_typeET4_jRbjT5_S1F_jjP12ihipStream_tbEUljE_ZNSN_ISO_Lb0ESR_SS_SU_SV_SZ_EES10_S11_S12_S13_S17_S18_S19_S1C_S1D_jS1E_jS1F_S1F_jjS1H_bEUljE0_EEES10_S11_S12_S19_S1D_S1F_T6_T7_T9_mT8_S1H_bDpT10_ENKUlT_T0_E_clISt17integral_constantIbLb1EES1U_IbLb0EEEEDaS1Q_S1R_EUlS1Q_E_NS1_11comp_targetILNS1_3genE2ELNS1_11target_archE906ELNS1_3gpuE6ELNS1_3repE0EEENS1_30default_config_static_selectorELNS0_4arch9wavefront6targetE0EEEvS13_
                                        ; -- End function
	.section	.AMDGPU.csdata,"",@progbits
; Kernel info:
; codeLenInByte = 0
; NumSgprs: 0
; NumVgprs: 0
; ScratchSize: 0
; MemoryBound: 0
; FloatMode: 240
; IeeeMode: 1
; LDSByteSize: 0 bytes/workgroup (compile time only)
; SGPRBlocks: 0
; VGPRBlocks: 0
; NumSGPRsForWavesPerEU: 1
; NumVGPRsForWavesPerEU: 1
; Occupancy: 16
; WaveLimiterHint : 0
; COMPUTE_PGM_RSRC2:SCRATCH_EN: 0
; COMPUTE_PGM_RSRC2:USER_SGPR: 15
; COMPUTE_PGM_RSRC2:TRAP_HANDLER: 0
; COMPUTE_PGM_RSRC2:TGID_X_EN: 1
; COMPUTE_PGM_RSRC2:TGID_Y_EN: 0
; COMPUTE_PGM_RSRC2:TGID_Z_EN: 0
; COMPUTE_PGM_RSRC2:TIDIG_COMP_CNT: 0
	.section	.text._ZN7rocprim17ROCPRIM_400000_NS6detail17trampoline_kernelINS0_13select_configILj256ELj13ELNS0_17block_load_methodE3ELS4_3ELS4_3ELNS0_20block_scan_algorithmE0ELj4294967295EEENS1_25partition_config_selectorILNS1_17partition_subalgoE4EjNS0_10empty_typeEbEEZZNS1_14partition_implILS8_4ELb0ES6_15HIP_vector_typeIjLj2EENS0_17counting_iteratorIjlEEPS9_SG_NS0_5tupleIJPjSI_NS0_16reverse_iteratorISI_EEEEENSH_IJSG_SG_SG_EEES9_SI_JZNS1_25segmented_radix_sort_implINS0_14default_configELb0EPK12hip_bfloat16PSP_PKlPlN2at6native12_GLOBAL__N_18offset_tEEE10hipError_tPvRmT1_PNSt15iterator_traitsIS13_E10value_typeET2_T3_PNS14_IS19_E10value_typeET4_jRbjT5_S1F_jjP12ihipStream_tbEUljE_ZNSN_ISO_Lb0ESR_SS_SU_SV_SZ_EES10_S11_S12_S13_S17_S18_S19_S1C_S1D_jS1E_jS1F_S1F_jjS1H_bEUljE0_EEES10_S11_S12_S19_S1D_S1F_T6_T7_T9_mT8_S1H_bDpT10_ENKUlT_T0_E_clISt17integral_constantIbLb1EES1U_IbLb0EEEEDaS1Q_S1R_EUlS1Q_E_NS1_11comp_targetILNS1_3genE10ELNS1_11target_archE1200ELNS1_3gpuE4ELNS1_3repE0EEENS1_30default_config_static_selectorELNS0_4arch9wavefront6targetE0EEEvS13_,"axG",@progbits,_ZN7rocprim17ROCPRIM_400000_NS6detail17trampoline_kernelINS0_13select_configILj256ELj13ELNS0_17block_load_methodE3ELS4_3ELS4_3ELNS0_20block_scan_algorithmE0ELj4294967295EEENS1_25partition_config_selectorILNS1_17partition_subalgoE4EjNS0_10empty_typeEbEEZZNS1_14partition_implILS8_4ELb0ES6_15HIP_vector_typeIjLj2EENS0_17counting_iteratorIjlEEPS9_SG_NS0_5tupleIJPjSI_NS0_16reverse_iteratorISI_EEEEENSH_IJSG_SG_SG_EEES9_SI_JZNS1_25segmented_radix_sort_implINS0_14default_configELb0EPK12hip_bfloat16PSP_PKlPlN2at6native12_GLOBAL__N_18offset_tEEE10hipError_tPvRmT1_PNSt15iterator_traitsIS13_E10value_typeET2_T3_PNS14_IS19_E10value_typeET4_jRbjT5_S1F_jjP12ihipStream_tbEUljE_ZNSN_ISO_Lb0ESR_SS_SU_SV_SZ_EES10_S11_S12_S13_S17_S18_S19_S1C_S1D_jS1E_jS1F_S1F_jjS1H_bEUljE0_EEES10_S11_S12_S19_S1D_S1F_T6_T7_T9_mT8_S1H_bDpT10_ENKUlT_T0_E_clISt17integral_constantIbLb1EES1U_IbLb0EEEEDaS1Q_S1R_EUlS1Q_E_NS1_11comp_targetILNS1_3genE10ELNS1_11target_archE1200ELNS1_3gpuE4ELNS1_3repE0EEENS1_30default_config_static_selectorELNS0_4arch9wavefront6targetE0EEEvS13_,comdat
	.globl	_ZN7rocprim17ROCPRIM_400000_NS6detail17trampoline_kernelINS0_13select_configILj256ELj13ELNS0_17block_load_methodE3ELS4_3ELS4_3ELNS0_20block_scan_algorithmE0ELj4294967295EEENS1_25partition_config_selectorILNS1_17partition_subalgoE4EjNS0_10empty_typeEbEEZZNS1_14partition_implILS8_4ELb0ES6_15HIP_vector_typeIjLj2EENS0_17counting_iteratorIjlEEPS9_SG_NS0_5tupleIJPjSI_NS0_16reverse_iteratorISI_EEEEENSH_IJSG_SG_SG_EEES9_SI_JZNS1_25segmented_radix_sort_implINS0_14default_configELb0EPK12hip_bfloat16PSP_PKlPlN2at6native12_GLOBAL__N_18offset_tEEE10hipError_tPvRmT1_PNSt15iterator_traitsIS13_E10value_typeET2_T3_PNS14_IS19_E10value_typeET4_jRbjT5_S1F_jjP12ihipStream_tbEUljE_ZNSN_ISO_Lb0ESR_SS_SU_SV_SZ_EES10_S11_S12_S13_S17_S18_S19_S1C_S1D_jS1E_jS1F_S1F_jjS1H_bEUljE0_EEES10_S11_S12_S19_S1D_S1F_T6_T7_T9_mT8_S1H_bDpT10_ENKUlT_T0_E_clISt17integral_constantIbLb1EES1U_IbLb0EEEEDaS1Q_S1R_EUlS1Q_E_NS1_11comp_targetILNS1_3genE10ELNS1_11target_archE1200ELNS1_3gpuE4ELNS1_3repE0EEENS1_30default_config_static_selectorELNS0_4arch9wavefront6targetE0EEEvS13_ ; -- Begin function _ZN7rocprim17ROCPRIM_400000_NS6detail17trampoline_kernelINS0_13select_configILj256ELj13ELNS0_17block_load_methodE3ELS4_3ELS4_3ELNS0_20block_scan_algorithmE0ELj4294967295EEENS1_25partition_config_selectorILNS1_17partition_subalgoE4EjNS0_10empty_typeEbEEZZNS1_14partition_implILS8_4ELb0ES6_15HIP_vector_typeIjLj2EENS0_17counting_iteratorIjlEEPS9_SG_NS0_5tupleIJPjSI_NS0_16reverse_iteratorISI_EEEEENSH_IJSG_SG_SG_EEES9_SI_JZNS1_25segmented_radix_sort_implINS0_14default_configELb0EPK12hip_bfloat16PSP_PKlPlN2at6native12_GLOBAL__N_18offset_tEEE10hipError_tPvRmT1_PNSt15iterator_traitsIS13_E10value_typeET2_T3_PNS14_IS19_E10value_typeET4_jRbjT5_S1F_jjP12ihipStream_tbEUljE_ZNSN_ISO_Lb0ESR_SS_SU_SV_SZ_EES10_S11_S12_S13_S17_S18_S19_S1C_S1D_jS1E_jS1F_S1F_jjS1H_bEUljE0_EEES10_S11_S12_S19_S1D_S1F_T6_T7_T9_mT8_S1H_bDpT10_ENKUlT_T0_E_clISt17integral_constantIbLb1EES1U_IbLb0EEEEDaS1Q_S1R_EUlS1Q_E_NS1_11comp_targetILNS1_3genE10ELNS1_11target_archE1200ELNS1_3gpuE4ELNS1_3repE0EEENS1_30default_config_static_selectorELNS0_4arch9wavefront6targetE0EEEvS13_
	.p2align	8
	.type	_ZN7rocprim17ROCPRIM_400000_NS6detail17trampoline_kernelINS0_13select_configILj256ELj13ELNS0_17block_load_methodE3ELS4_3ELS4_3ELNS0_20block_scan_algorithmE0ELj4294967295EEENS1_25partition_config_selectorILNS1_17partition_subalgoE4EjNS0_10empty_typeEbEEZZNS1_14partition_implILS8_4ELb0ES6_15HIP_vector_typeIjLj2EENS0_17counting_iteratorIjlEEPS9_SG_NS0_5tupleIJPjSI_NS0_16reverse_iteratorISI_EEEEENSH_IJSG_SG_SG_EEES9_SI_JZNS1_25segmented_radix_sort_implINS0_14default_configELb0EPK12hip_bfloat16PSP_PKlPlN2at6native12_GLOBAL__N_18offset_tEEE10hipError_tPvRmT1_PNSt15iterator_traitsIS13_E10value_typeET2_T3_PNS14_IS19_E10value_typeET4_jRbjT5_S1F_jjP12ihipStream_tbEUljE_ZNSN_ISO_Lb0ESR_SS_SU_SV_SZ_EES10_S11_S12_S13_S17_S18_S19_S1C_S1D_jS1E_jS1F_S1F_jjS1H_bEUljE0_EEES10_S11_S12_S19_S1D_S1F_T6_T7_T9_mT8_S1H_bDpT10_ENKUlT_T0_E_clISt17integral_constantIbLb1EES1U_IbLb0EEEEDaS1Q_S1R_EUlS1Q_E_NS1_11comp_targetILNS1_3genE10ELNS1_11target_archE1200ELNS1_3gpuE4ELNS1_3repE0EEENS1_30default_config_static_selectorELNS0_4arch9wavefront6targetE0EEEvS13_,@function
_ZN7rocprim17ROCPRIM_400000_NS6detail17trampoline_kernelINS0_13select_configILj256ELj13ELNS0_17block_load_methodE3ELS4_3ELS4_3ELNS0_20block_scan_algorithmE0ELj4294967295EEENS1_25partition_config_selectorILNS1_17partition_subalgoE4EjNS0_10empty_typeEbEEZZNS1_14partition_implILS8_4ELb0ES6_15HIP_vector_typeIjLj2EENS0_17counting_iteratorIjlEEPS9_SG_NS0_5tupleIJPjSI_NS0_16reverse_iteratorISI_EEEEENSH_IJSG_SG_SG_EEES9_SI_JZNS1_25segmented_radix_sort_implINS0_14default_configELb0EPK12hip_bfloat16PSP_PKlPlN2at6native12_GLOBAL__N_18offset_tEEE10hipError_tPvRmT1_PNSt15iterator_traitsIS13_E10value_typeET2_T3_PNS14_IS19_E10value_typeET4_jRbjT5_S1F_jjP12ihipStream_tbEUljE_ZNSN_ISO_Lb0ESR_SS_SU_SV_SZ_EES10_S11_S12_S13_S17_S18_S19_S1C_S1D_jS1E_jS1F_S1F_jjS1H_bEUljE0_EEES10_S11_S12_S19_S1D_S1F_T6_T7_T9_mT8_S1H_bDpT10_ENKUlT_T0_E_clISt17integral_constantIbLb1EES1U_IbLb0EEEEDaS1Q_S1R_EUlS1Q_E_NS1_11comp_targetILNS1_3genE10ELNS1_11target_archE1200ELNS1_3gpuE4ELNS1_3repE0EEENS1_30default_config_static_selectorELNS0_4arch9wavefront6targetE0EEEvS13_: ; @_ZN7rocprim17ROCPRIM_400000_NS6detail17trampoline_kernelINS0_13select_configILj256ELj13ELNS0_17block_load_methodE3ELS4_3ELS4_3ELNS0_20block_scan_algorithmE0ELj4294967295EEENS1_25partition_config_selectorILNS1_17partition_subalgoE4EjNS0_10empty_typeEbEEZZNS1_14partition_implILS8_4ELb0ES6_15HIP_vector_typeIjLj2EENS0_17counting_iteratorIjlEEPS9_SG_NS0_5tupleIJPjSI_NS0_16reverse_iteratorISI_EEEEENSH_IJSG_SG_SG_EEES9_SI_JZNS1_25segmented_radix_sort_implINS0_14default_configELb0EPK12hip_bfloat16PSP_PKlPlN2at6native12_GLOBAL__N_18offset_tEEE10hipError_tPvRmT1_PNSt15iterator_traitsIS13_E10value_typeET2_T3_PNS14_IS19_E10value_typeET4_jRbjT5_S1F_jjP12ihipStream_tbEUljE_ZNSN_ISO_Lb0ESR_SS_SU_SV_SZ_EES10_S11_S12_S13_S17_S18_S19_S1C_S1D_jS1E_jS1F_S1F_jjS1H_bEUljE0_EEES10_S11_S12_S19_S1D_S1F_T6_T7_T9_mT8_S1H_bDpT10_ENKUlT_T0_E_clISt17integral_constantIbLb1EES1U_IbLb0EEEEDaS1Q_S1R_EUlS1Q_E_NS1_11comp_targetILNS1_3genE10ELNS1_11target_archE1200ELNS1_3gpuE4ELNS1_3repE0EEENS1_30default_config_static_selectorELNS0_4arch9wavefront6targetE0EEEvS13_
; %bb.0:
	.section	.rodata,"a",@progbits
	.p2align	6, 0x0
	.amdhsa_kernel _ZN7rocprim17ROCPRIM_400000_NS6detail17trampoline_kernelINS0_13select_configILj256ELj13ELNS0_17block_load_methodE3ELS4_3ELS4_3ELNS0_20block_scan_algorithmE0ELj4294967295EEENS1_25partition_config_selectorILNS1_17partition_subalgoE4EjNS0_10empty_typeEbEEZZNS1_14partition_implILS8_4ELb0ES6_15HIP_vector_typeIjLj2EENS0_17counting_iteratorIjlEEPS9_SG_NS0_5tupleIJPjSI_NS0_16reverse_iteratorISI_EEEEENSH_IJSG_SG_SG_EEES9_SI_JZNS1_25segmented_radix_sort_implINS0_14default_configELb0EPK12hip_bfloat16PSP_PKlPlN2at6native12_GLOBAL__N_18offset_tEEE10hipError_tPvRmT1_PNSt15iterator_traitsIS13_E10value_typeET2_T3_PNS14_IS19_E10value_typeET4_jRbjT5_S1F_jjP12ihipStream_tbEUljE_ZNSN_ISO_Lb0ESR_SS_SU_SV_SZ_EES10_S11_S12_S13_S17_S18_S19_S1C_S1D_jS1E_jS1F_S1F_jjS1H_bEUljE0_EEES10_S11_S12_S19_S1D_S1F_T6_T7_T9_mT8_S1H_bDpT10_ENKUlT_T0_E_clISt17integral_constantIbLb1EES1U_IbLb0EEEEDaS1Q_S1R_EUlS1Q_E_NS1_11comp_targetILNS1_3genE10ELNS1_11target_archE1200ELNS1_3gpuE4ELNS1_3repE0EEENS1_30default_config_static_selectorELNS0_4arch9wavefront6targetE0EEEvS13_
		.amdhsa_group_segment_fixed_size 0
		.amdhsa_private_segment_fixed_size 0
		.amdhsa_kernarg_size 176
		.amdhsa_user_sgpr_count 15
		.amdhsa_user_sgpr_dispatch_ptr 0
		.amdhsa_user_sgpr_queue_ptr 0
		.amdhsa_user_sgpr_kernarg_segment_ptr 1
		.amdhsa_user_sgpr_dispatch_id 0
		.amdhsa_user_sgpr_private_segment_size 0
		.amdhsa_wavefront_size32 1
		.amdhsa_uses_dynamic_stack 0
		.amdhsa_enable_private_segment 0
		.amdhsa_system_sgpr_workgroup_id_x 1
		.amdhsa_system_sgpr_workgroup_id_y 0
		.amdhsa_system_sgpr_workgroup_id_z 0
		.amdhsa_system_sgpr_workgroup_info 0
		.amdhsa_system_vgpr_workitem_id 0
		.amdhsa_next_free_vgpr 1
		.amdhsa_next_free_sgpr 1
		.amdhsa_reserve_vcc 0
		.amdhsa_float_round_mode_32 0
		.amdhsa_float_round_mode_16_64 0
		.amdhsa_float_denorm_mode_32 3
		.amdhsa_float_denorm_mode_16_64 3
		.amdhsa_dx10_clamp 1
		.amdhsa_ieee_mode 1
		.amdhsa_fp16_overflow 0
		.amdhsa_workgroup_processor_mode 1
		.amdhsa_memory_ordered 1
		.amdhsa_forward_progress 0
		.amdhsa_shared_vgpr_count 0
		.amdhsa_exception_fp_ieee_invalid_op 0
		.amdhsa_exception_fp_denorm_src 0
		.amdhsa_exception_fp_ieee_div_zero 0
		.amdhsa_exception_fp_ieee_overflow 0
		.amdhsa_exception_fp_ieee_underflow 0
		.amdhsa_exception_fp_ieee_inexact 0
		.amdhsa_exception_int_div_zero 0
	.end_amdhsa_kernel
	.section	.text._ZN7rocprim17ROCPRIM_400000_NS6detail17trampoline_kernelINS0_13select_configILj256ELj13ELNS0_17block_load_methodE3ELS4_3ELS4_3ELNS0_20block_scan_algorithmE0ELj4294967295EEENS1_25partition_config_selectorILNS1_17partition_subalgoE4EjNS0_10empty_typeEbEEZZNS1_14partition_implILS8_4ELb0ES6_15HIP_vector_typeIjLj2EENS0_17counting_iteratorIjlEEPS9_SG_NS0_5tupleIJPjSI_NS0_16reverse_iteratorISI_EEEEENSH_IJSG_SG_SG_EEES9_SI_JZNS1_25segmented_radix_sort_implINS0_14default_configELb0EPK12hip_bfloat16PSP_PKlPlN2at6native12_GLOBAL__N_18offset_tEEE10hipError_tPvRmT1_PNSt15iterator_traitsIS13_E10value_typeET2_T3_PNS14_IS19_E10value_typeET4_jRbjT5_S1F_jjP12ihipStream_tbEUljE_ZNSN_ISO_Lb0ESR_SS_SU_SV_SZ_EES10_S11_S12_S13_S17_S18_S19_S1C_S1D_jS1E_jS1F_S1F_jjS1H_bEUljE0_EEES10_S11_S12_S19_S1D_S1F_T6_T7_T9_mT8_S1H_bDpT10_ENKUlT_T0_E_clISt17integral_constantIbLb1EES1U_IbLb0EEEEDaS1Q_S1R_EUlS1Q_E_NS1_11comp_targetILNS1_3genE10ELNS1_11target_archE1200ELNS1_3gpuE4ELNS1_3repE0EEENS1_30default_config_static_selectorELNS0_4arch9wavefront6targetE0EEEvS13_,"axG",@progbits,_ZN7rocprim17ROCPRIM_400000_NS6detail17trampoline_kernelINS0_13select_configILj256ELj13ELNS0_17block_load_methodE3ELS4_3ELS4_3ELNS0_20block_scan_algorithmE0ELj4294967295EEENS1_25partition_config_selectorILNS1_17partition_subalgoE4EjNS0_10empty_typeEbEEZZNS1_14partition_implILS8_4ELb0ES6_15HIP_vector_typeIjLj2EENS0_17counting_iteratorIjlEEPS9_SG_NS0_5tupleIJPjSI_NS0_16reverse_iteratorISI_EEEEENSH_IJSG_SG_SG_EEES9_SI_JZNS1_25segmented_radix_sort_implINS0_14default_configELb0EPK12hip_bfloat16PSP_PKlPlN2at6native12_GLOBAL__N_18offset_tEEE10hipError_tPvRmT1_PNSt15iterator_traitsIS13_E10value_typeET2_T3_PNS14_IS19_E10value_typeET4_jRbjT5_S1F_jjP12ihipStream_tbEUljE_ZNSN_ISO_Lb0ESR_SS_SU_SV_SZ_EES10_S11_S12_S13_S17_S18_S19_S1C_S1D_jS1E_jS1F_S1F_jjS1H_bEUljE0_EEES10_S11_S12_S19_S1D_S1F_T6_T7_T9_mT8_S1H_bDpT10_ENKUlT_T0_E_clISt17integral_constantIbLb1EES1U_IbLb0EEEEDaS1Q_S1R_EUlS1Q_E_NS1_11comp_targetILNS1_3genE10ELNS1_11target_archE1200ELNS1_3gpuE4ELNS1_3repE0EEENS1_30default_config_static_selectorELNS0_4arch9wavefront6targetE0EEEvS13_,comdat
.Lfunc_end2006:
	.size	_ZN7rocprim17ROCPRIM_400000_NS6detail17trampoline_kernelINS0_13select_configILj256ELj13ELNS0_17block_load_methodE3ELS4_3ELS4_3ELNS0_20block_scan_algorithmE0ELj4294967295EEENS1_25partition_config_selectorILNS1_17partition_subalgoE4EjNS0_10empty_typeEbEEZZNS1_14partition_implILS8_4ELb0ES6_15HIP_vector_typeIjLj2EENS0_17counting_iteratorIjlEEPS9_SG_NS0_5tupleIJPjSI_NS0_16reverse_iteratorISI_EEEEENSH_IJSG_SG_SG_EEES9_SI_JZNS1_25segmented_radix_sort_implINS0_14default_configELb0EPK12hip_bfloat16PSP_PKlPlN2at6native12_GLOBAL__N_18offset_tEEE10hipError_tPvRmT1_PNSt15iterator_traitsIS13_E10value_typeET2_T3_PNS14_IS19_E10value_typeET4_jRbjT5_S1F_jjP12ihipStream_tbEUljE_ZNSN_ISO_Lb0ESR_SS_SU_SV_SZ_EES10_S11_S12_S13_S17_S18_S19_S1C_S1D_jS1E_jS1F_S1F_jjS1H_bEUljE0_EEES10_S11_S12_S19_S1D_S1F_T6_T7_T9_mT8_S1H_bDpT10_ENKUlT_T0_E_clISt17integral_constantIbLb1EES1U_IbLb0EEEEDaS1Q_S1R_EUlS1Q_E_NS1_11comp_targetILNS1_3genE10ELNS1_11target_archE1200ELNS1_3gpuE4ELNS1_3repE0EEENS1_30default_config_static_selectorELNS0_4arch9wavefront6targetE0EEEvS13_, .Lfunc_end2006-_ZN7rocprim17ROCPRIM_400000_NS6detail17trampoline_kernelINS0_13select_configILj256ELj13ELNS0_17block_load_methodE3ELS4_3ELS4_3ELNS0_20block_scan_algorithmE0ELj4294967295EEENS1_25partition_config_selectorILNS1_17partition_subalgoE4EjNS0_10empty_typeEbEEZZNS1_14partition_implILS8_4ELb0ES6_15HIP_vector_typeIjLj2EENS0_17counting_iteratorIjlEEPS9_SG_NS0_5tupleIJPjSI_NS0_16reverse_iteratorISI_EEEEENSH_IJSG_SG_SG_EEES9_SI_JZNS1_25segmented_radix_sort_implINS0_14default_configELb0EPK12hip_bfloat16PSP_PKlPlN2at6native12_GLOBAL__N_18offset_tEEE10hipError_tPvRmT1_PNSt15iterator_traitsIS13_E10value_typeET2_T3_PNS14_IS19_E10value_typeET4_jRbjT5_S1F_jjP12ihipStream_tbEUljE_ZNSN_ISO_Lb0ESR_SS_SU_SV_SZ_EES10_S11_S12_S13_S17_S18_S19_S1C_S1D_jS1E_jS1F_S1F_jjS1H_bEUljE0_EEES10_S11_S12_S19_S1D_S1F_T6_T7_T9_mT8_S1H_bDpT10_ENKUlT_T0_E_clISt17integral_constantIbLb1EES1U_IbLb0EEEEDaS1Q_S1R_EUlS1Q_E_NS1_11comp_targetILNS1_3genE10ELNS1_11target_archE1200ELNS1_3gpuE4ELNS1_3repE0EEENS1_30default_config_static_selectorELNS0_4arch9wavefront6targetE0EEEvS13_
                                        ; -- End function
	.section	.AMDGPU.csdata,"",@progbits
; Kernel info:
; codeLenInByte = 0
; NumSgprs: 0
; NumVgprs: 0
; ScratchSize: 0
; MemoryBound: 0
; FloatMode: 240
; IeeeMode: 1
; LDSByteSize: 0 bytes/workgroup (compile time only)
; SGPRBlocks: 0
; VGPRBlocks: 0
; NumSGPRsForWavesPerEU: 1
; NumVGPRsForWavesPerEU: 1
; Occupancy: 16
; WaveLimiterHint : 0
; COMPUTE_PGM_RSRC2:SCRATCH_EN: 0
; COMPUTE_PGM_RSRC2:USER_SGPR: 15
; COMPUTE_PGM_RSRC2:TRAP_HANDLER: 0
; COMPUTE_PGM_RSRC2:TGID_X_EN: 1
; COMPUTE_PGM_RSRC2:TGID_Y_EN: 0
; COMPUTE_PGM_RSRC2:TGID_Z_EN: 0
; COMPUTE_PGM_RSRC2:TIDIG_COMP_CNT: 0
	.section	.text._ZN7rocprim17ROCPRIM_400000_NS6detail17trampoline_kernelINS0_13select_configILj256ELj13ELNS0_17block_load_methodE3ELS4_3ELS4_3ELNS0_20block_scan_algorithmE0ELj4294967295EEENS1_25partition_config_selectorILNS1_17partition_subalgoE4EjNS0_10empty_typeEbEEZZNS1_14partition_implILS8_4ELb0ES6_15HIP_vector_typeIjLj2EENS0_17counting_iteratorIjlEEPS9_SG_NS0_5tupleIJPjSI_NS0_16reverse_iteratorISI_EEEEENSH_IJSG_SG_SG_EEES9_SI_JZNS1_25segmented_radix_sort_implINS0_14default_configELb0EPK12hip_bfloat16PSP_PKlPlN2at6native12_GLOBAL__N_18offset_tEEE10hipError_tPvRmT1_PNSt15iterator_traitsIS13_E10value_typeET2_T3_PNS14_IS19_E10value_typeET4_jRbjT5_S1F_jjP12ihipStream_tbEUljE_ZNSN_ISO_Lb0ESR_SS_SU_SV_SZ_EES10_S11_S12_S13_S17_S18_S19_S1C_S1D_jS1E_jS1F_S1F_jjS1H_bEUljE0_EEES10_S11_S12_S19_S1D_S1F_T6_T7_T9_mT8_S1H_bDpT10_ENKUlT_T0_E_clISt17integral_constantIbLb1EES1U_IbLb0EEEEDaS1Q_S1R_EUlS1Q_E_NS1_11comp_targetILNS1_3genE9ELNS1_11target_archE1100ELNS1_3gpuE3ELNS1_3repE0EEENS1_30default_config_static_selectorELNS0_4arch9wavefront6targetE0EEEvS13_,"axG",@progbits,_ZN7rocprim17ROCPRIM_400000_NS6detail17trampoline_kernelINS0_13select_configILj256ELj13ELNS0_17block_load_methodE3ELS4_3ELS4_3ELNS0_20block_scan_algorithmE0ELj4294967295EEENS1_25partition_config_selectorILNS1_17partition_subalgoE4EjNS0_10empty_typeEbEEZZNS1_14partition_implILS8_4ELb0ES6_15HIP_vector_typeIjLj2EENS0_17counting_iteratorIjlEEPS9_SG_NS0_5tupleIJPjSI_NS0_16reverse_iteratorISI_EEEEENSH_IJSG_SG_SG_EEES9_SI_JZNS1_25segmented_radix_sort_implINS0_14default_configELb0EPK12hip_bfloat16PSP_PKlPlN2at6native12_GLOBAL__N_18offset_tEEE10hipError_tPvRmT1_PNSt15iterator_traitsIS13_E10value_typeET2_T3_PNS14_IS19_E10value_typeET4_jRbjT5_S1F_jjP12ihipStream_tbEUljE_ZNSN_ISO_Lb0ESR_SS_SU_SV_SZ_EES10_S11_S12_S13_S17_S18_S19_S1C_S1D_jS1E_jS1F_S1F_jjS1H_bEUljE0_EEES10_S11_S12_S19_S1D_S1F_T6_T7_T9_mT8_S1H_bDpT10_ENKUlT_T0_E_clISt17integral_constantIbLb1EES1U_IbLb0EEEEDaS1Q_S1R_EUlS1Q_E_NS1_11comp_targetILNS1_3genE9ELNS1_11target_archE1100ELNS1_3gpuE3ELNS1_3repE0EEENS1_30default_config_static_selectorELNS0_4arch9wavefront6targetE0EEEvS13_,comdat
	.globl	_ZN7rocprim17ROCPRIM_400000_NS6detail17trampoline_kernelINS0_13select_configILj256ELj13ELNS0_17block_load_methodE3ELS4_3ELS4_3ELNS0_20block_scan_algorithmE0ELj4294967295EEENS1_25partition_config_selectorILNS1_17partition_subalgoE4EjNS0_10empty_typeEbEEZZNS1_14partition_implILS8_4ELb0ES6_15HIP_vector_typeIjLj2EENS0_17counting_iteratorIjlEEPS9_SG_NS0_5tupleIJPjSI_NS0_16reverse_iteratorISI_EEEEENSH_IJSG_SG_SG_EEES9_SI_JZNS1_25segmented_radix_sort_implINS0_14default_configELb0EPK12hip_bfloat16PSP_PKlPlN2at6native12_GLOBAL__N_18offset_tEEE10hipError_tPvRmT1_PNSt15iterator_traitsIS13_E10value_typeET2_T3_PNS14_IS19_E10value_typeET4_jRbjT5_S1F_jjP12ihipStream_tbEUljE_ZNSN_ISO_Lb0ESR_SS_SU_SV_SZ_EES10_S11_S12_S13_S17_S18_S19_S1C_S1D_jS1E_jS1F_S1F_jjS1H_bEUljE0_EEES10_S11_S12_S19_S1D_S1F_T6_T7_T9_mT8_S1H_bDpT10_ENKUlT_T0_E_clISt17integral_constantIbLb1EES1U_IbLb0EEEEDaS1Q_S1R_EUlS1Q_E_NS1_11comp_targetILNS1_3genE9ELNS1_11target_archE1100ELNS1_3gpuE3ELNS1_3repE0EEENS1_30default_config_static_selectorELNS0_4arch9wavefront6targetE0EEEvS13_ ; -- Begin function _ZN7rocprim17ROCPRIM_400000_NS6detail17trampoline_kernelINS0_13select_configILj256ELj13ELNS0_17block_load_methodE3ELS4_3ELS4_3ELNS0_20block_scan_algorithmE0ELj4294967295EEENS1_25partition_config_selectorILNS1_17partition_subalgoE4EjNS0_10empty_typeEbEEZZNS1_14partition_implILS8_4ELb0ES6_15HIP_vector_typeIjLj2EENS0_17counting_iteratorIjlEEPS9_SG_NS0_5tupleIJPjSI_NS0_16reverse_iteratorISI_EEEEENSH_IJSG_SG_SG_EEES9_SI_JZNS1_25segmented_radix_sort_implINS0_14default_configELb0EPK12hip_bfloat16PSP_PKlPlN2at6native12_GLOBAL__N_18offset_tEEE10hipError_tPvRmT1_PNSt15iterator_traitsIS13_E10value_typeET2_T3_PNS14_IS19_E10value_typeET4_jRbjT5_S1F_jjP12ihipStream_tbEUljE_ZNSN_ISO_Lb0ESR_SS_SU_SV_SZ_EES10_S11_S12_S13_S17_S18_S19_S1C_S1D_jS1E_jS1F_S1F_jjS1H_bEUljE0_EEES10_S11_S12_S19_S1D_S1F_T6_T7_T9_mT8_S1H_bDpT10_ENKUlT_T0_E_clISt17integral_constantIbLb1EES1U_IbLb0EEEEDaS1Q_S1R_EUlS1Q_E_NS1_11comp_targetILNS1_3genE9ELNS1_11target_archE1100ELNS1_3gpuE3ELNS1_3repE0EEENS1_30default_config_static_selectorELNS0_4arch9wavefront6targetE0EEEvS13_
	.p2align	8
	.type	_ZN7rocprim17ROCPRIM_400000_NS6detail17trampoline_kernelINS0_13select_configILj256ELj13ELNS0_17block_load_methodE3ELS4_3ELS4_3ELNS0_20block_scan_algorithmE0ELj4294967295EEENS1_25partition_config_selectorILNS1_17partition_subalgoE4EjNS0_10empty_typeEbEEZZNS1_14partition_implILS8_4ELb0ES6_15HIP_vector_typeIjLj2EENS0_17counting_iteratorIjlEEPS9_SG_NS0_5tupleIJPjSI_NS0_16reverse_iteratorISI_EEEEENSH_IJSG_SG_SG_EEES9_SI_JZNS1_25segmented_radix_sort_implINS0_14default_configELb0EPK12hip_bfloat16PSP_PKlPlN2at6native12_GLOBAL__N_18offset_tEEE10hipError_tPvRmT1_PNSt15iterator_traitsIS13_E10value_typeET2_T3_PNS14_IS19_E10value_typeET4_jRbjT5_S1F_jjP12ihipStream_tbEUljE_ZNSN_ISO_Lb0ESR_SS_SU_SV_SZ_EES10_S11_S12_S13_S17_S18_S19_S1C_S1D_jS1E_jS1F_S1F_jjS1H_bEUljE0_EEES10_S11_S12_S19_S1D_S1F_T6_T7_T9_mT8_S1H_bDpT10_ENKUlT_T0_E_clISt17integral_constantIbLb1EES1U_IbLb0EEEEDaS1Q_S1R_EUlS1Q_E_NS1_11comp_targetILNS1_3genE9ELNS1_11target_archE1100ELNS1_3gpuE3ELNS1_3repE0EEENS1_30default_config_static_selectorELNS0_4arch9wavefront6targetE0EEEvS13_,@function
_ZN7rocprim17ROCPRIM_400000_NS6detail17trampoline_kernelINS0_13select_configILj256ELj13ELNS0_17block_load_methodE3ELS4_3ELS4_3ELNS0_20block_scan_algorithmE0ELj4294967295EEENS1_25partition_config_selectorILNS1_17partition_subalgoE4EjNS0_10empty_typeEbEEZZNS1_14partition_implILS8_4ELb0ES6_15HIP_vector_typeIjLj2EENS0_17counting_iteratorIjlEEPS9_SG_NS0_5tupleIJPjSI_NS0_16reverse_iteratorISI_EEEEENSH_IJSG_SG_SG_EEES9_SI_JZNS1_25segmented_radix_sort_implINS0_14default_configELb0EPK12hip_bfloat16PSP_PKlPlN2at6native12_GLOBAL__N_18offset_tEEE10hipError_tPvRmT1_PNSt15iterator_traitsIS13_E10value_typeET2_T3_PNS14_IS19_E10value_typeET4_jRbjT5_S1F_jjP12ihipStream_tbEUljE_ZNSN_ISO_Lb0ESR_SS_SU_SV_SZ_EES10_S11_S12_S13_S17_S18_S19_S1C_S1D_jS1E_jS1F_S1F_jjS1H_bEUljE0_EEES10_S11_S12_S19_S1D_S1F_T6_T7_T9_mT8_S1H_bDpT10_ENKUlT_T0_E_clISt17integral_constantIbLb1EES1U_IbLb0EEEEDaS1Q_S1R_EUlS1Q_E_NS1_11comp_targetILNS1_3genE9ELNS1_11target_archE1100ELNS1_3gpuE3ELNS1_3repE0EEENS1_30default_config_static_selectorELNS0_4arch9wavefront6targetE0EEEvS13_: ; @_ZN7rocprim17ROCPRIM_400000_NS6detail17trampoline_kernelINS0_13select_configILj256ELj13ELNS0_17block_load_methodE3ELS4_3ELS4_3ELNS0_20block_scan_algorithmE0ELj4294967295EEENS1_25partition_config_selectorILNS1_17partition_subalgoE4EjNS0_10empty_typeEbEEZZNS1_14partition_implILS8_4ELb0ES6_15HIP_vector_typeIjLj2EENS0_17counting_iteratorIjlEEPS9_SG_NS0_5tupleIJPjSI_NS0_16reverse_iteratorISI_EEEEENSH_IJSG_SG_SG_EEES9_SI_JZNS1_25segmented_radix_sort_implINS0_14default_configELb0EPK12hip_bfloat16PSP_PKlPlN2at6native12_GLOBAL__N_18offset_tEEE10hipError_tPvRmT1_PNSt15iterator_traitsIS13_E10value_typeET2_T3_PNS14_IS19_E10value_typeET4_jRbjT5_S1F_jjP12ihipStream_tbEUljE_ZNSN_ISO_Lb0ESR_SS_SU_SV_SZ_EES10_S11_S12_S13_S17_S18_S19_S1C_S1D_jS1E_jS1F_S1F_jjS1H_bEUljE0_EEES10_S11_S12_S19_S1D_S1F_T6_T7_T9_mT8_S1H_bDpT10_ENKUlT_T0_E_clISt17integral_constantIbLb1EES1U_IbLb0EEEEDaS1Q_S1R_EUlS1Q_E_NS1_11comp_targetILNS1_3genE9ELNS1_11target_archE1100ELNS1_3gpuE3ELNS1_3repE0EEENS1_30default_config_static_selectorELNS0_4arch9wavefront6targetE0EEEvS13_
; %bb.0:
	s_clause 0x6
	s_load_b32 s5, s[0:1], 0x80
	s_load_b64 s[34:35], s[0:1], 0x10
	s_load_b64 s[2:3], s[0:1], 0x68
	s_load_b32 s8, s[0:1], 0x8
	s_load_b128 s[24:27], s[0:1], 0x58
	s_load_b64 s[40:41], s[0:1], 0xa8
	s_load_b256 s[16:23], s[0:1], 0x88
	s_mul_i32 s33, s15, 0xd00
	s_waitcnt lgkmcnt(0)
	s_mul_i32 s4, s5, 0xd00
	s_add_i32 s5, s5, -1
	s_add_u32 s6, s34, s4
	s_addc_u32 s7, s35, 0
	s_load_b128 s[28:31], s[26:27], 0x0
	s_cmp_eq_u32 s15, s5
	v_cmp_lt_u64_e64 s3, s[6:7], s[2:3]
	s_cselect_b32 s14, -1, 0
	s_cmp_lg_u32 s15, s5
	s_cselect_b32 s5, -1, 0
	s_add_i32 s6, s8, s33
	s_delay_alu instid0(VALU_DEP_1) | instskip(SKIP_4) | instid1(VALU_DEP_1)
	s_or_b32 s3, s5, s3
	s_add_i32 s6, s6, s34
	s_and_b32 vcc_lo, exec_lo, s3
	v_add_nc_u32_e32 v1, s6, v0
	s_mov_b32 s5, -1
	v_add_nc_u32_e32 v2, 0x100, v1
	v_add_nc_u32_e32 v3, 0x200, v1
	;; [unrolled: 1-line block ×12, first 2 shown]
	s_cbranch_vccz .LBB2007_2
; %bb.1:
	v_lshlrev_b32_e32 v14, 2, v0
	s_mov_b32 s5, 0
	ds_store_2addr_stride64_b32 v14, v1, v2 offset1:4
	ds_store_2addr_stride64_b32 v14, v3, v4 offset0:8 offset1:12
	ds_store_2addr_stride64_b32 v14, v5, v6 offset0:16 offset1:20
	ds_store_2addr_stride64_b32 v14, v7, v8 offset0:24 offset1:28
	ds_store_2addr_stride64_b32 v14, v9, v10 offset0:32 offset1:36
	ds_store_2addr_stride64_b32 v14, v11, v12 offset0:40 offset1:44
	ds_store_b32 v14, v13 offset:12288
	s_waitcnt lgkmcnt(0)
	s_barrier
.LBB2007_2:
	s_and_not1_b32 vcc_lo, exec_lo, s5
	s_add_i32 s4, s4, s34
	s_cbranch_vccnz .LBB2007_4
; %bb.3:
	v_lshlrev_b32_e32 v14, 2, v0
	ds_store_2addr_stride64_b32 v14, v1, v2 offset1:4
	ds_store_2addr_stride64_b32 v14, v3, v4 offset0:8 offset1:12
	ds_store_2addr_stride64_b32 v14, v5, v6 offset0:16 offset1:20
	;; [unrolled: 1-line block ×5, first 2 shown]
	ds_store_b32 v14, v13 offset:12288
	s_waitcnt lgkmcnt(0)
	s_barrier
.LBB2007_4:
	v_mul_u32_u24_e32 v28, 13, v0
	s_clause 0x1
	s_load_b128 s[36:39], s[0:1], 0x28
	s_load_b64 s[26:27], s[0:1], 0x38
	s_waitcnt lgkmcnt(0)
	buffer_gl0_inv
	v_cndmask_b32_e64 v26, 0, 1, s3
	s_sub_i32 s44, s2, s4
	v_lshlrev_b32_e32 v1, 2, v28
	s_and_not1_b32 vcc_lo, exec_lo, s3
	ds_load_2addr_b32 v[16:17], v1 offset1:1
	ds_load_2addr_b32 v[14:15], v1 offset0:2 offset1:3
	ds_load_2addr_b32 v[12:13], v1 offset0:4 offset1:5
	;; [unrolled: 1-line block ×5, first 2 shown]
	ds_load_b32 v27, v1 offset:48
	s_waitcnt lgkmcnt(0)
	s_barrier
	buffer_gl0_inv
	s_cbranch_vccnz .LBB2007_32
; %bb.5:
	v_add_nc_u32_e32 v1, s17, v16
	v_add_nc_u32_e32 v2, s19, v16
	s_mov_b32 s46, 0
	s_mov_b32 s45, 0
	s_mov_b32 s3, exec_lo
	v_mul_lo_u32 v1, v1, s16
	v_mul_lo_u32 v2, v2, s18
	s_delay_alu instid0(VALU_DEP_1) | instskip(NEXT) | instid1(VALU_DEP_1)
	v_sub_nc_u32_e32 v1, v1, v2
	v_cmp_lt_u32_e32 vcc_lo, s20, v1
	v_cmpx_ge_u32_e64 s20, v1
; %bb.6:
	v_add_nc_u32_e32 v1, s22, v16
	v_add_nc_u32_e32 v2, s40, v16
	s_delay_alu instid0(VALU_DEP_2) | instskip(NEXT) | instid1(VALU_DEP_2)
	v_mul_lo_u32 v1, v1, s21
	v_mul_lo_u32 v2, v2, s23
	s_delay_alu instid0(VALU_DEP_1) | instskip(NEXT) | instid1(VALU_DEP_1)
	v_sub_nc_u32_e32 v1, v1, v2
	v_cmp_lt_u32_e64 s2, s41, v1
	s_delay_alu instid0(VALU_DEP_1)
	s_and_b32 s45, s2, exec_lo
; %bb.7:
	s_or_b32 exec_lo, exec_lo, s3
	v_add_nc_u32_e32 v1, s17, v17
	v_add_nc_u32_e32 v2, s19, v17
	s_mov_b32 s4, exec_lo
	s_delay_alu instid0(VALU_DEP_2) | instskip(NEXT) | instid1(VALU_DEP_2)
	v_mul_lo_u32 v1, v1, s16
	v_mul_lo_u32 v2, v2, s18
	s_delay_alu instid0(VALU_DEP_1) | instskip(NEXT) | instid1(VALU_DEP_1)
	v_sub_nc_u32_e32 v1, v1, v2
	v_cmp_lt_u32_e64 s2, s20, v1
	v_cmpx_ge_u32_e64 s20, v1
; %bb.8:
	v_add_nc_u32_e32 v1, s22, v17
	v_add_nc_u32_e32 v2, s40, v17
	s_delay_alu instid0(VALU_DEP_2) | instskip(NEXT) | instid1(VALU_DEP_2)
	v_mul_lo_u32 v1, v1, s21
	v_mul_lo_u32 v2, v2, s23
	s_delay_alu instid0(VALU_DEP_1) | instskip(NEXT) | instid1(VALU_DEP_1)
	v_sub_nc_u32_e32 v1, v1, v2
	v_cmp_lt_u32_e64 s3, s41, v1
	s_delay_alu instid0(VALU_DEP_1)
	s_and_b32 s46, s3, exec_lo
; %bb.9:
	s_or_b32 exec_lo, exec_lo, s4
	v_add_nc_u32_e32 v1, s17, v14
	v_add_nc_u32_e32 v2, s19, v14
	s_mov_b32 s48, 0
	s_mov_b32 s47, 0
	s_mov_b32 s5, exec_lo
	v_mul_lo_u32 v1, v1, s16
	v_mul_lo_u32 v2, v2, s18
	s_delay_alu instid0(VALU_DEP_1) | instskip(NEXT) | instid1(VALU_DEP_1)
	v_sub_nc_u32_e32 v1, v1, v2
	v_cmp_lt_u32_e64 s3, s20, v1
	v_cmpx_ge_u32_e64 s20, v1
; %bb.10:
	v_add_nc_u32_e32 v1, s22, v14
	v_add_nc_u32_e32 v2, s40, v14
	s_delay_alu instid0(VALU_DEP_2) | instskip(NEXT) | instid1(VALU_DEP_2)
	v_mul_lo_u32 v1, v1, s21
	v_mul_lo_u32 v2, v2, s23
	s_delay_alu instid0(VALU_DEP_1) | instskip(NEXT) | instid1(VALU_DEP_1)
	v_sub_nc_u32_e32 v1, v1, v2
	v_cmp_lt_u32_e64 s4, s41, v1
	s_delay_alu instid0(VALU_DEP_1)
	s_and_b32 s47, s4, exec_lo
; %bb.11:
	s_or_b32 exec_lo, exec_lo, s5
	v_add_nc_u32_e32 v1, s17, v15
	v_add_nc_u32_e32 v2, s19, v15
	s_mov_b32 s6, exec_lo
	s_delay_alu instid0(VALU_DEP_2) | instskip(NEXT) | instid1(VALU_DEP_2)
	v_mul_lo_u32 v1, v1, s16
	v_mul_lo_u32 v2, v2, s18
	s_delay_alu instid0(VALU_DEP_1) | instskip(NEXT) | instid1(VALU_DEP_1)
	v_sub_nc_u32_e32 v1, v1, v2
	v_cmp_lt_u32_e64 s4, s20, v1
	v_cmpx_ge_u32_e64 s20, v1
; %bb.12:
	v_add_nc_u32_e32 v1, s22, v15
	v_add_nc_u32_e32 v2, s40, v15
	s_delay_alu instid0(VALU_DEP_2) | instskip(NEXT) | instid1(VALU_DEP_2)
	v_mul_lo_u32 v1, v1, s21
	v_mul_lo_u32 v2, v2, s23
	s_delay_alu instid0(VALU_DEP_1) | instskip(NEXT) | instid1(VALU_DEP_1)
	v_sub_nc_u32_e32 v1, v1, v2
	v_cmp_lt_u32_e64 s5, s41, v1
	s_delay_alu instid0(VALU_DEP_1)
	s_and_b32 s48, s5, exec_lo
; %bb.13:
	s_or_b32 exec_lo, exec_lo, s6
	v_add_nc_u32_e32 v1, s17, v12
	v_add_nc_u32_e32 v2, s19, v12
	s_mov_b32 s50, 0
	s_mov_b32 s49, 0
	s_mov_b32 s7, exec_lo
	v_mul_lo_u32 v1, v1, s16
	v_mul_lo_u32 v2, v2, s18
	s_delay_alu instid0(VALU_DEP_1) | instskip(NEXT) | instid1(VALU_DEP_1)
	v_sub_nc_u32_e32 v1, v1, v2
	v_cmp_lt_u32_e64 s5, s20, v1
	v_cmpx_ge_u32_e64 s20, v1
; %bb.14:
	v_add_nc_u32_e32 v1, s22, v12
	v_add_nc_u32_e32 v2, s40, v12
	s_delay_alu instid0(VALU_DEP_2) | instskip(NEXT) | instid1(VALU_DEP_2)
	v_mul_lo_u32 v1, v1, s21
	v_mul_lo_u32 v2, v2, s23
	s_delay_alu instid0(VALU_DEP_1) | instskip(NEXT) | instid1(VALU_DEP_1)
	v_sub_nc_u32_e32 v1, v1, v2
	v_cmp_lt_u32_e64 s6, s41, v1
	s_delay_alu instid0(VALU_DEP_1)
	s_and_b32 s49, s6, exec_lo
; %bb.15:
	s_or_b32 exec_lo, exec_lo, s7
	v_add_nc_u32_e32 v1, s17, v13
	v_add_nc_u32_e32 v2, s19, v13
	s_mov_b32 s8, exec_lo
	s_delay_alu instid0(VALU_DEP_2) | instskip(NEXT) | instid1(VALU_DEP_2)
	v_mul_lo_u32 v1, v1, s16
	v_mul_lo_u32 v2, v2, s18
	s_delay_alu instid0(VALU_DEP_1) | instskip(NEXT) | instid1(VALU_DEP_1)
	v_sub_nc_u32_e32 v1, v1, v2
	v_cmp_lt_u32_e64 s6, s20, v1
	v_cmpx_ge_u32_e64 s20, v1
; %bb.16:
	v_add_nc_u32_e32 v1, s22, v13
	v_add_nc_u32_e32 v2, s40, v13
	s_delay_alu instid0(VALU_DEP_2) | instskip(NEXT) | instid1(VALU_DEP_2)
	v_mul_lo_u32 v1, v1, s21
	v_mul_lo_u32 v2, v2, s23
	s_delay_alu instid0(VALU_DEP_1) | instskip(NEXT) | instid1(VALU_DEP_1)
	v_sub_nc_u32_e32 v1, v1, v2
	v_cmp_lt_u32_e64 s7, s41, v1
	s_delay_alu instid0(VALU_DEP_1)
	s_and_b32 s50, s7, exec_lo
; %bb.17:
	s_or_b32 exec_lo, exec_lo, s8
	v_add_nc_u32_e32 v1, s17, v10
	v_add_nc_u32_e32 v2, s19, v10
	s_mov_b32 s52, 0
	s_mov_b32 s51, 0
	s_mov_b32 s9, exec_lo
	v_mul_lo_u32 v1, v1, s16
	v_mul_lo_u32 v2, v2, s18
	s_delay_alu instid0(VALU_DEP_1) | instskip(NEXT) | instid1(VALU_DEP_1)
	v_sub_nc_u32_e32 v1, v1, v2
	v_cmp_lt_u32_e64 s7, s20, v1
	v_cmpx_ge_u32_e64 s20, v1
; %bb.18:
	v_add_nc_u32_e32 v1, s22, v10
	v_add_nc_u32_e32 v2, s40, v10
	s_delay_alu instid0(VALU_DEP_2) | instskip(NEXT) | instid1(VALU_DEP_2)
	v_mul_lo_u32 v1, v1, s21
	v_mul_lo_u32 v2, v2, s23
	s_delay_alu instid0(VALU_DEP_1) | instskip(NEXT) | instid1(VALU_DEP_1)
	v_sub_nc_u32_e32 v1, v1, v2
	v_cmp_lt_u32_e64 s8, s41, v1
	s_delay_alu instid0(VALU_DEP_1)
	s_and_b32 s51, s8, exec_lo
; %bb.19:
	s_or_b32 exec_lo, exec_lo, s9
	v_add_nc_u32_e32 v1, s17, v11
	v_add_nc_u32_e32 v2, s19, v11
	s_mov_b32 s10, exec_lo
	s_delay_alu instid0(VALU_DEP_2) | instskip(NEXT) | instid1(VALU_DEP_2)
	v_mul_lo_u32 v1, v1, s16
	v_mul_lo_u32 v2, v2, s18
	s_delay_alu instid0(VALU_DEP_1) | instskip(NEXT) | instid1(VALU_DEP_1)
	v_sub_nc_u32_e32 v1, v1, v2
	v_cmp_lt_u32_e64 s8, s20, v1
	v_cmpx_ge_u32_e64 s20, v1
; %bb.20:
	v_add_nc_u32_e32 v1, s22, v11
	v_add_nc_u32_e32 v2, s40, v11
	s_delay_alu instid0(VALU_DEP_2) | instskip(NEXT) | instid1(VALU_DEP_2)
	v_mul_lo_u32 v1, v1, s21
	v_mul_lo_u32 v2, v2, s23
	s_delay_alu instid0(VALU_DEP_1) | instskip(NEXT) | instid1(VALU_DEP_1)
	v_sub_nc_u32_e32 v1, v1, v2
	v_cmp_lt_u32_e64 s9, s41, v1
	s_delay_alu instid0(VALU_DEP_1)
	s_and_b32 s52, s9, exec_lo
; %bb.21:
	s_or_b32 exec_lo, exec_lo, s10
	v_add_nc_u32_e32 v1, s17, v8
	v_add_nc_u32_e32 v2, s19, v8
	s_mov_b32 s55, 0
	s_mov_b32 s54, 0
	s_mov_b32 s11, exec_lo
	v_mul_lo_u32 v1, v1, s16
	v_mul_lo_u32 v2, v2, s18
	s_delay_alu instid0(VALU_DEP_1) | instskip(NEXT) | instid1(VALU_DEP_1)
	v_sub_nc_u32_e32 v1, v1, v2
	v_cmp_lt_u32_e64 s9, s20, v1
	v_cmpx_ge_u32_e64 s20, v1
; %bb.22:
	v_add_nc_u32_e32 v1, s22, v8
	v_add_nc_u32_e32 v2, s40, v8
	s_delay_alu instid0(VALU_DEP_2) | instskip(NEXT) | instid1(VALU_DEP_2)
	v_mul_lo_u32 v1, v1, s21
	v_mul_lo_u32 v2, v2, s23
	s_delay_alu instid0(VALU_DEP_1) | instskip(NEXT) | instid1(VALU_DEP_1)
	v_sub_nc_u32_e32 v1, v1, v2
	v_cmp_lt_u32_e64 s10, s41, v1
	s_delay_alu instid0(VALU_DEP_1)
	s_and_b32 s54, s10, exec_lo
; %bb.23:
	s_or_b32 exec_lo, exec_lo, s11
	v_add_nc_u32_e32 v1, s17, v9
	v_add_nc_u32_e32 v2, s19, v9
	s_mov_b32 s12, exec_lo
	s_delay_alu instid0(VALU_DEP_2) | instskip(NEXT) | instid1(VALU_DEP_2)
	v_mul_lo_u32 v1, v1, s16
	v_mul_lo_u32 v2, v2, s18
	s_delay_alu instid0(VALU_DEP_1) | instskip(NEXT) | instid1(VALU_DEP_1)
	v_sub_nc_u32_e32 v1, v1, v2
	v_cmp_lt_u32_e64 s10, s20, v1
	v_cmpx_ge_u32_e64 s20, v1
; %bb.24:
	v_add_nc_u32_e32 v1, s22, v9
	v_add_nc_u32_e32 v2, s40, v9
	s_delay_alu instid0(VALU_DEP_2) | instskip(NEXT) | instid1(VALU_DEP_2)
	v_mul_lo_u32 v1, v1, s21
	v_mul_lo_u32 v2, v2, s23
	s_delay_alu instid0(VALU_DEP_1) | instskip(NEXT) | instid1(VALU_DEP_1)
	v_sub_nc_u32_e32 v1, v1, v2
	v_cmp_lt_u32_e64 s11, s41, v1
	s_delay_alu instid0(VALU_DEP_1)
	s_and_b32 s55, s11, exec_lo
; %bb.25:
	s_or_b32 exec_lo, exec_lo, s12
	v_add_nc_u32_e32 v1, s17, v6
	v_add_nc_u32_e32 v2, s19, v6
	s_mov_b32 s56, 0
	s_mov_b32 s57, 0
	s_mov_b32 s13, exec_lo
	v_mul_lo_u32 v1, v1, s16
	v_mul_lo_u32 v2, v2, s18
	s_delay_alu instid0(VALU_DEP_1) | instskip(NEXT) | instid1(VALU_DEP_1)
	v_sub_nc_u32_e32 v1, v1, v2
	v_cmp_lt_u32_e64 s11, s20, v1
	v_cmpx_ge_u32_e64 s20, v1
; %bb.26:
	v_add_nc_u32_e32 v1, s22, v6
	v_add_nc_u32_e32 v2, s40, v6
	s_delay_alu instid0(VALU_DEP_2) | instskip(NEXT) | instid1(VALU_DEP_2)
	v_mul_lo_u32 v1, v1, s21
	v_mul_lo_u32 v2, v2, s23
	s_delay_alu instid0(VALU_DEP_1) | instskip(NEXT) | instid1(VALU_DEP_1)
	v_sub_nc_u32_e32 v1, v1, v2
	v_cmp_lt_u32_e64 s12, s41, v1
	s_delay_alu instid0(VALU_DEP_1)
	s_and_b32 s57, s12, exec_lo
; %bb.27:
	s_or_b32 exec_lo, exec_lo, s13
	v_add_nc_u32_e32 v1, s17, v7
	v_add_nc_u32_e32 v2, s19, v7
	s_mov_b32 s42, exec_lo
	s_delay_alu instid0(VALU_DEP_2) | instskip(NEXT) | instid1(VALU_DEP_2)
	v_mul_lo_u32 v1, v1, s16
	v_mul_lo_u32 v2, v2, s18
	s_delay_alu instid0(VALU_DEP_1) | instskip(NEXT) | instid1(VALU_DEP_1)
	v_sub_nc_u32_e32 v1, v1, v2
	v_cmp_lt_u32_e64 s12, s20, v1
	v_cmpx_ge_u32_e64 s20, v1
; %bb.28:
	v_add_nc_u32_e32 v1, s22, v7
	v_add_nc_u32_e32 v2, s40, v7
	s_delay_alu instid0(VALU_DEP_2) | instskip(NEXT) | instid1(VALU_DEP_2)
	v_mul_lo_u32 v1, v1, s21
	v_mul_lo_u32 v2, v2, s23
	s_delay_alu instid0(VALU_DEP_1) | instskip(NEXT) | instid1(VALU_DEP_1)
	v_sub_nc_u32_e32 v1, v1, v2
	v_cmp_lt_u32_e64 s13, s41, v1
	s_delay_alu instid0(VALU_DEP_1)
	s_and_b32 s56, s13, exec_lo
; %bb.29:
	s_or_b32 exec_lo, exec_lo, s42
	v_add_nc_u32_e32 v1, s17, v27
	v_add_nc_u32_e32 v2, s19, v27
	s_mov_b32 s42, -1
	s_mov_b32 s53, 0
	s_mov_b32 s43, 0
	v_mul_lo_u32 v1, v1, s16
	v_mul_lo_u32 v2, v2, s18
	s_mov_b32 s58, exec_lo
	s_delay_alu instid0(VALU_DEP_1) | instskip(NEXT) | instid1(VALU_DEP_1)
	v_sub_nc_u32_e32 v1, v1, v2
	v_cmpx_ge_u32_e64 s20, v1
; %bb.30:
	v_add_nc_u32_e32 v1, s22, v27
	v_add_nc_u32_e32 v2, s40, v27
	s_xor_b32 s42, exec_lo, -1
	s_delay_alu instid0(VALU_DEP_2) | instskip(NEXT) | instid1(VALU_DEP_2)
	v_mul_lo_u32 v1, v1, s21
	v_mul_lo_u32 v2, v2, s23
	s_delay_alu instid0(VALU_DEP_1) | instskip(NEXT) | instid1(VALU_DEP_1)
	v_sub_nc_u32_e32 v1, v1, v2
	v_cmp_lt_u32_e64 s13, s41, v1
	s_delay_alu instid0(VALU_DEP_1)
	s_and_b32 s43, s13, exec_lo
; %bb.31:
	s_or_b32 exec_lo, exec_lo, s58
	v_cndmask_b32_e64 v48, 0, 1, s57
	v_cndmask_b32_e64 v51, 0, 1, s12
	v_cndmask_b32_e64 v47, 0, 1, s55
	v_cndmask_b32_e64 v50, 0, 1, s11
	v_cndmask_b32_e64 v45, 0, 1, s54
	v_cndmask_b32_e64 v49, 0, 1, s10
	v_cndmask_b32_e64 v43, 0, 1, s52
	v_cndmask_b32_e64 v46, 0, 1, s9
	v_cndmask_b32_e64 v40, 0, 1, s51
	v_cndmask_b32_e64 v44, 0, 1, s8
	v_cndmask_b32_e64 v39, 0, 1, s50
	v_cndmask_b32_e64 v42, 0, 1, s7
	v_cndmask_b32_e64 v37, 0, 1, s49
	v_cndmask_b32_e64 v41, 0, 1, s6
	v_cndmask_b32_e64 v35, 0, 1, s48
	v_cndmask_b32_e64 v38, 0, 1, s5
	v_cndmask_b32_e64 v36, 0, 1, s47
	v_cndmask_b32_e64 v32, 0, 1, s4
	v_cndmask_b32_e64 v34, 0, 1, s46
	v_cndmask_b32_e64 v31, 0, 1, s3
	v_cndmask_b32_e64 v30, 0, 1, s45
	v_cndmask_b32_e64 v33, 0, 1, s2
	v_cndmask_b32_e64 v29, 0, 1, vcc_lo
	v_cndmask_b32_e64 v52, 0, 1, s56
	s_load_b64 s[4:5], s[0:1], 0x78
	s_and_b32 vcc_lo, exec_lo, s53
	s_add_i32 s3, s44, 0xd00
	s_cbranch_vccnz .LBB2007_33
	s_branch .LBB2007_86
.LBB2007_32:
                                        ; implicit-def: $sgpr42
                                        ; implicit-def: $sgpr43
                                        ; implicit-def: $vgpr52
                                        ; implicit-def: $vgpr48
                                        ; implicit-def: $vgpr47
                                        ; implicit-def: $vgpr45
                                        ; implicit-def: $vgpr43
                                        ; implicit-def: $vgpr40
                                        ; implicit-def: $vgpr39
                                        ; implicit-def: $vgpr37
                                        ; implicit-def: $vgpr35
                                        ; implicit-def: $vgpr29
                                        ; implicit-def: $vgpr33
                                        ; implicit-def: $vgpr31
                                        ; implicit-def: $vgpr32
                                        ; implicit-def: $vgpr38
                                        ; implicit-def: $vgpr41
                                        ; implicit-def: $vgpr42
                                        ; implicit-def: $vgpr44
                                        ; implicit-def: $vgpr46
                                        ; implicit-def: $vgpr49
                                        ; implicit-def: $vgpr50
                                        ; implicit-def: $vgpr51
                                        ; implicit-def: $vgpr30
                                        ; implicit-def: $vgpr34
                                        ; implicit-def: $vgpr36
	s_load_b64 s[4:5], s[0:1], 0x78
	s_add_i32 s3, s44, 0xd00
	s_cbranch_execz .LBB2007_86
.LBB2007_33:
	v_dual_mov_b32 v30, 0 :: v_dual_mov_b32 v29, 0
	s_mov_b32 s2, 0
	s_mov_b32 s1, exec_lo
	v_cmpx_gt_u32_e64 s3, v28
	s_cbranch_execz .LBB2007_37
; %bb.34:
	v_add_nc_u32_e32 v1, s17, v16
	v_add_nc_u32_e32 v2, s19, v16
	s_mov_b32 s6, exec_lo
	s_delay_alu instid0(VALU_DEP_2) | instskip(NEXT) | instid1(VALU_DEP_2)
	v_mul_lo_u32 v1, v1, s16
	v_mul_lo_u32 v2, v2, s18
	s_delay_alu instid0(VALU_DEP_1) | instskip(NEXT) | instid1(VALU_DEP_1)
	v_sub_nc_u32_e32 v1, v1, v2
	v_cmp_lt_u32_e32 vcc_lo, s20, v1
	v_cmpx_ge_u32_e64 s20, v1
; %bb.35:
	v_add_nc_u32_e32 v1, s22, v16
	v_add_nc_u32_e32 v2, s40, v16
	s_delay_alu instid0(VALU_DEP_2) | instskip(NEXT) | instid1(VALU_DEP_2)
	v_mul_lo_u32 v1, v1, s21
	v_mul_lo_u32 v2, v2, s23
	s_delay_alu instid0(VALU_DEP_1) | instskip(NEXT) | instid1(VALU_DEP_1)
	v_sub_nc_u32_e32 v1, v1, v2
	v_cmp_lt_u32_e64 s0, s41, v1
	s_delay_alu instid0(VALU_DEP_1)
	s_and_b32 s2, s0, exec_lo
; %bb.36:
	s_or_b32 exec_lo, exec_lo, s6
	v_cndmask_b32_e64 v29, 0, 1, vcc_lo
	v_cndmask_b32_e64 v30, 0, 1, s2
.LBB2007_37:
	s_or_b32 exec_lo, exec_lo, s1
	v_dual_mov_b32 v34, 0 :: v_dual_add_nc_u32 v1, 1, v28
	v_mov_b32_e32 v33, 0
	s_mov_b32 s2, 0
	s_mov_b32 s1, exec_lo
	s_delay_alu instid0(VALU_DEP_2)
	v_cmpx_gt_u32_e64 s3, v1
	s_cbranch_execz .LBB2007_41
; %bb.38:
	v_add_nc_u32_e32 v1, s17, v17
	v_add_nc_u32_e32 v2, s19, v17
	s_mov_b32 s6, exec_lo
	s_delay_alu instid0(VALU_DEP_2) | instskip(NEXT) | instid1(VALU_DEP_2)
	v_mul_lo_u32 v1, v1, s16
	v_mul_lo_u32 v2, v2, s18
	s_delay_alu instid0(VALU_DEP_1) | instskip(NEXT) | instid1(VALU_DEP_1)
	v_sub_nc_u32_e32 v1, v1, v2
	v_cmp_lt_u32_e32 vcc_lo, s20, v1
	v_cmpx_ge_u32_e64 s20, v1
; %bb.39:
	v_add_nc_u32_e32 v1, s22, v17
	v_add_nc_u32_e32 v2, s40, v17
	s_delay_alu instid0(VALU_DEP_2) | instskip(NEXT) | instid1(VALU_DEP_2)
	v_mul_lo_u32 v1, v1, s21
	v_mul_lo_u32 v2, v2, s23
	s_delay_alu instid0(VALU_DEP_1) | instskip(NEXT) | instid1(VALU_DEP_1)
	v_sub_nc_u32_e32 v1, v1, v2
	v_cmp_lt_u32_e64 s0, s41, v1
	s_delay_alu instid0(VALU_DEP_1)
	s_and_b32 s2, s0, exec_lo
; %bb.40:
	s_or_b32 exec_lo, exec_lo, s6
	v_cndmask_b32_e64 v33, 0, 1, vcc_lo
	v_cndmask_b32_e64 v34, 0, 1, s2
.LBB2007_41:
	s_or_b32 exec_lo, exec_lo, s1
	v_dual_mov_b32 v36, 0 :: v_dual_add_nc_u32 v1, 2, v28
	v_mov_b32_e32 v31, 0
	s_mov_b32 s2, 0
	s_mov_b32 s1, exec_lo
	s_delay_alu instid0(VALU_DEP_2)
	;; [unrolled: 35-line block ×4, first 2 shown]
	v_cmpx_gt_u32_e64 s3, v1
	s_cbranch_execz .LBB2007_53
; %bb.50:
	v_add_nc_u32_e32 v1, s17, v12
	v_add_nc_u32_e32 v2, s19, v12
	s_mov_b32 s6, exec_lo
	s_delay_alu instid0(VALU_DEP_2) | instskip(NEXT) | instid1(VALU_DEP_2)
	v_mul_lo_u32 v1, v1, s16
	v_mul_lo_u32 v2, v2, s18
	s_delay_alu instid0(VALU_DEP_1) | instskip(NEXT) | instid1(VALU_DEP_1)
	v_sub_nc_u32_e32 v1, v1, v2
	v_cmp_lt_u32_e32 vcc_lo, s20, v1
	v_cmpx_ge_u32_e64 s20, v1
; %bb.51:
	v_add_nc_u32_e32 v1, s22, v12
	v_add_nc_u32_e32 v2, s40, v12
	s_delay_alu instid0(VALU_DEP_2) | instskip(NEXT) | instid1(VALU_DEP_2)
	v_mul_lo_u32 v1, v1, s21
	v_mul_lo_u32 v2, v2, s23
	s_delay_alu instid0(VALU_DEP_1) | instskip(NEXT) | instid1(VALU_DEP_1)
	v_sub_nc_u32_e32 v1, v1, v2
	v_cmp_lt_u32_e64 s0, s41, v1
	s_delay_alu instid0(VALU_DEP_1)
	s_and_b32 s2, s0, exec_lo
; %bb.52:
	s_or_b32 exec_lo, exec_lo, s6
	v_cndmask_b32_e64 v38, 0, 1, vcc_lo
	v_cndmask_b32_e64 v37, 0, 1, s2
.LBB2007_53:
	s_or_b32 exec_lo, exec_lo, s1
	v_add_nc_u32_e32 v1, 5, v28
	v_mov_b32_e32 v39, 0
	v_mov_b32_e32 v41, 0
	s_mov_b32 s2, 0
	s_mov_b32 s1, exec_lo
	v_cmpx_gt_u32_e64 s3, v1
	s_cbranch_execz .LBB2007_57
; %bb.54:
	v_add_nc_u32_e32 v1, s17, v13
	v_add_nc_u32_e32 v2, s19, v13
	s_mov_b32 s6, exec_lo
	s_delay_alu instid0(VALU_DEP_2) | instskip(NEXT) | instid1(VALU_DEP_2)
	v_mul_lo_u32 v1, v1, s16
	v_mul_lo_u32 v2, v2, s18
	s_delay_alu instid0(VALU_DEP_1) | instskip(NEXT) | instid1(VALU_DEP_1)
	v_sub_nc_u32_e32 v1, v1, v2
	v_cmp_lt_u32_e32 vcc_lo, s20, v1
	v_cmpx_ge_u32_e64 s20, v1
; %bb.55:
	v_add_nc_u32_e32 v1, s22, v13
	v_add_nc_u32_e32 v2, s40, v13
	s_delay_alu instid0(VALU_DEP_2) | instskip(NEXT) | instid1(VALU_DEP_2)
	v_mul_lo_u32 v1, v1, s21
	v_mul_lo_u32 v2, v2, s23
	s_delay_alu instid0(VALU_DEP_1) | instskip(NEXT) | instid1(VALU_DEP_1)
	v_sub_nc_u32_e32 v1, v1, v2
	v_cmp_lt_u32_e64 s0, s41, v1
	s_delay_alu instid0(VALU_DEP_1)
	s_and_b32 s2, s0, exec_lo
; %bb.56:
	s_or_b32 exec_lo, exec_lo, s6
	v_cndmask_b32_e64 v41, 0, 1, vcc_lo
	v_cndmask_b32_e64 v39, 0, 1, s2
.LBB2007_57:
	s_or_b32 exec_lo, exec_lo, s1
	v_dual_mov_b32 v40, 0 :: v_dual_add_nc_u32 v1, 6, v28
	v_mov_b32_e32 v42, 0
	s_mov_b32 s2, 0
	s_mov_b32 s1, exec_lo
	s_delay_alu instid0(VALU_DEP_2)
	v_cmpx_gt_u32_e64 s3, v1
	s_cbranch_execz .LBB2007_61
; %bb.58:
	v_add_nc_u32_e32 v1, s17, v10
	v_add_nc_u32_e32 v2, s19, v10
	s_mov_b32 s6, exec_lo
	s_delay_alu instid0(VALU_DEP_2) | instskip(NEXT) | instid1(VALU_DEP_2)
	v_mul_lo_u32 v1, v1, s16
	v_mul_lo_u32 v2, v2, s18
	s_delay_alu instid0(VALU_DEP_1) | instskip(NEXT) | instid1(VALU_DEP_1)
	v_sub_nc_u32_e32 v1, v1, v2
	v_cmp_lt_u32_e32 vcc_lo, s20, v1
	v_cmpx_ge_u32_e64 s20, v1
; %bb.59:
	v_add_nc_u32_e32 v1, s22, v10
	v_add_nc_u32_e32 v2, s40, v10
	s_delay_alu instid0(VALU_DEP_2) | instskip(NEXT) | instid1(VALU_DEP_2)
	v_mul_lo_u32 v1, v1, s21
	v_mul_lo_u32 v2, v2, s23
	s_delay_alu instid0(VALU_DEP_1) | instskip(NEXT) | instid1(VALU_DEP_1)
	v_sub_nc_u32_e32 v1, v1, v2
	v_cmp_lt_u32_e64 s0, s41, v1
	s_delay_alu instid0(VALU_DEP_1)
	s_and_b32 s2, s0, exec_lo
; %bb.60:
	s_or_b32 exec_lo, exec_lo, s6
	v_cndmask_b32_e64 v42, 0, 1, vcc_lo
	v_cndmask_b32_e64 v40, 0, 1, s2
.LBB2007_61:
	s_or_b32 exec_lo, exec_lo, s1
	v_dual_mov_b32 v44, 0 :: v_dual_add_nc_u32 v1, 7, v28
	v_mov_b32_e32 v43, 0
	s_mov_b32 s2, 0
	s_mov_b32 s1, exec_lo
	s_delay_alu instid0(VALU_DEP_2)
	;; [unrolled: 35-line block ×3, first 2 shown]
	v_cmpx_gt_u32_e64 s3, v1
	s_cbranch_execz .LBB2007_69
; %bb.66:
	v_add_nc_u32_e32 v1, s17, v8
	v_add_nc_u32_e32 v2, s19, v8
	s_mov_b32 s6, exec_lo
	s_delay_alu instid0(VALU_DEP_2) | instskip(NEXT) | instid1(VALU_DEP_2)
	v_mul_lo_u32 v1, v1, s16
	v_mul_lo_u32 v2, v2, s18
	s_delay_alu instid0(VALU_DEP_1) | instskip(NEXT) | instid1(VALU_DEP_1)
	v_sub_nc_u32_e32 v1, v1, v2
	v_cmp_lt_u32_e32 vcc_lo, s20, v1
	v_cmpx_ge_u32_e64 s20, v1
; %bb.67:
	v_add_nc_u32_e32 v1, s22, v8
	v_add_nc_u32_e32 v2, s40, v8
	s_delay_alu instid0(VALU_DEP_2) | instskip(NEXT) | instid1(VALU_DEP_2)
	v_mul_lo_u32 v1, v1, s21
	v_mul_lo_u32 v2, v2, s23
	s_delay_alu instid0(VALU_DEP_1) | instskip(NEXT) | instid1(VALU_DEP_1)
	v_sub_nc_u32_e32 v1, v1, v2
	v_cmp_lt_u32_e64 s0, s41, v1
	s_delay_alu instid0(VALU_DEP_1)
	s_and_b32 s2, s0, exec_lo
; %bb.68:
	s_or_b32 exec_lo, exec_lo, s6
	v_cndmask_b32_e64 v46, 0, 1, vcc_lo
	v_cndmask_b32_e64 v45, 0, 1, s2
.LBB2007_69:
	s_or_b32 exec_lo, exec_lo, s1
	v_add_nc_u32_e32 v1, 9, v28
	v_mov_b32_e32 v47, 0
	v_mov_b32_e32 v49, 0
	s_mov_b32 s2, 0
	s_mov_b32 s1, exec_lo
	v_cmpx_gt_u32_e64 s3, v1
	s_cbranch_execz .LBB2007_73
; %bb.70:
	v_add_nc_u32_e32 v1, s17, v9
	v_add_nc_u32_e32 v2, s19, v9
	s_mov_b32 s6, exec_lo
	s_delay_alu instid0(VALU_DEP_2) | instskip(NEXT) | instid1(VALU_DEP_2)
	v_mul_lo_u32 v1, v1, s16
	v_mul_lo_u32 v2, v2, s18
	s_delay_alu instid0(VALU_DEP_1) | instskip(NEXT) | instid1(VALU_DEP_1)
	v_sub_nc_u32_e32 v1, v1, v2
	v_cmp_lt_u32_e32 vcc_lo, s20, v1
	v_cmpx_ge_u32_e64 s20, v1
; %bb.71:
	v_add_nc_u32_e32 v1, s22, v9
	v_add_nc_u32_e32 v2, s40, v9
	s_delay_alu instid0(VALU_DEP_2) | instskip(NEXT) | instid1(VALU_DEP_2)
	v_mul_lo_u32 v1, v1, s21
	v_mul_lo_u32 v2, v2, s23
	s_delay_alu instid0(VALU_DEP_1) | instskip(NEXT) | instid1(VALU_DEP_1)
	v_sub_nc_u32_e32 v1, v1, v2
	v_cmp_lt_u32_e64 s0, s41, v1
	s_delay_alu instid0(VALU_DEP_1)
	s_and_b32 s2, s0, exec_lo
; %bb.72:
	s_or_b32 exec_lo, exec_lo, s6
	v_cndmask_b32_e64 v49, 0, 1, vcc_lo
	v_cndmask_b32_e64 v47, 0, 1, s2
.LBB2007_73:
	s_or_b32 exec_lo, exec_lo, s1
	v_dual_mov_b32 v48, 0 :: v_dual_add_nc_u32 v1, 10, v28
	v_mov_b32_e32 v50, 0
	s_mov_b32 s2, 0
	s_mov_b32 s1, exec_lo
	s_delay_alu instid0(VALU_DEP_2)
	v_cmpx_gt_u32_e64 s3, v1
	s_cbranch_execz .LBB2007_77
; %bb.74:
	v_add_nc_u32_e32 v1, s17, v6
	v_add_nc_u32_e32 v2, s19, v6
	s_mov_b32 s6, exec_lo
	s_delay_alu instid0(VALU_DEP_2) | instskip(NEXT) | instid1(VALU_DEP_2)
	v_mul_lo_u32 v1, v1, s16
	v_mul_lo_u32 v2, v2, s18
	s_delay_alu instid0(VALU_DEP_1) | instskip(NEXT) | instid1(VALU_DEP_1)
	v_sub_nc_u32_e32 v1, v1, v2
	v_cmp_lt_u32_e32 vcc_lo, s20, v1
	v_cmpx_ge_u32_e64 s20, v1
; %bb.75:
	v_add_nc_u32_e32 v1, s22, v6
	v_add_nc_u32_e32 v2, s40, v6
	s_delay_alu instid0(VALU_DEP_2) | instskip(NEXT) | instid1(VALU_DEP_2)
	v_mul_lo_u32 v1, v1, s21
	v_mul_lo_u32 v2, v2, s23
	s_delay_alu instid0(VALU_DEP_1) | instskip(NEXT) | instid1(VALU_DEP_1)
	v_sub_nc_u32_e32 v1, v1, v2
	v_cmp_lt_u32_e64 s0, s41, v1
	s_delay_alu instid0(VALU_DEP_1)
	s_and_b32 s2, s0, exec_lo
; %bb.76:
	s_or_b32 exec_lo, exec_lo, s6
	v_cndmask_b32_e64 v50, 0, 1, vcc_lo
	v_cndmask_b32_e64 v48, 0, 1, s2
.LBB2007_77:
	s_or_b32 exec_lo, exec_lo, s1
	v_dual_mov_b32 v52, 0 :: v_dual_add_nc_u32 v1, 11, v28
	v_mov_b32_e32 v51, 0
	s_mov_b32 s2, 0
	s_mov_b32 s1, exec_lo
	s_delay_alu instid0(VALU_DEP_2)
	v_cmpx_gt_u32_e64 s3, v1
	s_cbranch_execz .LBB2007_81
; %bb.78:
	v_add_nc_u32_e32 v1, s17, v7
	v_add_nc_u32_e32 v2, s19, v7
	s_mov_b32 s6, exec_lo
	s_delay_alu instid0(VALU_DEP_2) | instskip(NEXT) | instid1(VALU_DEP_2)
	v_mul_lo_u32 v1, v1, s16
	v_mul_lo_u32 v2, v2, s18
	s_delay_alu instid0(VALU_DEP_1) | instskip(NEXT) | instid1(VALU_DEP_1)
	v_sub_nc_u32_e32 v1, v1, v2
	v_cmp_lt_u32_e32 vcc_lo, s20, v1
	v_cmpx_ge_u32_e64 s20, v1
; %bb.79:
	v_add_nc_u32_e32 v1, s22, v7
	v_add_nc_u32_e32 v2, s40, v7
	s_delay_alu instid0(VALU_DEP_2) | instskip(NEXT) | instid1(VALU_DEP_2)
	v_mul_lo_u32 v1, v1, s21
	v_mul_lo_u32 v2, v2, s23
	s_delay_alu instid0(VALU_DEP_1) | instskip(NEXT) | instid1(VALU_DEP_1)
	v_sub_nc_u32_e32 v1, v1, v2
	v_cmp_lt_u32_e64 s0, s41, v1
	s_delay_alu instid0(VALU_DEP_1)
	s_and_b32 s2, s0, exec_lo
; %bb.80:
	s_or_b32 exec_lo, exec_lo, s6
	v_cndmask_b32_e64 v51, 0, 1, vcc_lo
	v_cndmask_b32_e64 v52, 0, 1, s2
.LBB2007_81:
	s_or_b32 exec_lo, exec_lo, s1
	v_add_nc_u32_e32 v1, 12, v28
	s_mov_b32 s42, 0
	s_mov_b32 s43, 0
	s_mov_b32 s0, exec_lo
	s_delay_alu instid0(VALU_DEP_1)
	v_cmpx_gt_u32_e64 s3, v1
	s_cbranch_execz .LBB2007_85
; %bb.82:
	v_add_nc_u32_e32 v1, s17, v27
	v_add_nc_u32_e32 v2, s19, v27
	s_mov_b32 s2, -1
	s_mov_b32 s6, 0
	s_mov_b32 s1, exec_lo
	v_mul_lo_u32 v1, v1, s16
	v_mul_lo_u32 v2, v2, s18
	s_delay_alu instid0(VALU_DEP_1) | instskip(NEXT) | instid1(VALU_DEP_1)
	v_sub_nc_u32_e32 v1, v1, v2
	v_cmpx_ge_u32_e64 s20, v1
; %bb.83:
	v_add_nc_u32_e32 v1, s22, v27
	v_add_nc_u32_e32 v2, s40, v27
	s_xor_b32 s2, exec_lo, -1
	s_delay_alu instid0(VALU_DEP_2) | instskip(NEXT) | instid1(VALU_DEP_2)
	v_mul_lo_u32 v1, v1, s21
	v_mul_lo_u32 v2, v2, s23
	s_delay_alu instid0(VALU_DEP_1) | instskip(NEXT) | instid1(VALU_DEP_1)
	v_sub_nc_u32_e32 v1, v1, v2
	v_cmp_lt_u32_e32 vcc_lo, s41, v1
	s_and_b32 s6, vcc_lo, exec_lo
; %bb.84:
	s_or_b32 exec_lo, exec_lo, s1
	s_delay_alu instid0(SALU_CYCLE_1)
	s_and_b32 s43, s6, exec_lo
	s_and_b32 s42, s2, exec_lo
.LBB2007_85:
	s_or_b32 exec_lo, exec_lo, s0
.LBB2007_86:
	v_and_b32_e32 v75, 0xff, v29
	v_and_b32_e32 v76, 0xff, v30
	v_and_b32_e32 v71, 0xff, v33
	v_and_b32_e32 v72, 0xff, v34
	v_and_b32_e32 v73, 0xff, v31
	v_and_b32_e32 v74, 0xff, v36
	v_and_b32_e32 v69, 0xff, v32
	v_and_b32_e32 v70, 0xff, v35
	v_and_b32_e32 v67, 0xff, v38
	v_and_b32_e32 v68, 0xff, v37
	v_add3_u32 v1, v71, v73, v75
	v_add3_u32 v2, v72, v74, v76
	v_and_b32_e32 v65, 0xff, v41
	v_and_b32_e32 v66, 0xff, v39
	v_and_b32_e32 v61, 0xff, v42
	v_and_b32_e32 v62, 0xff, v40
	v_add3_u32 v1, v1, v69, v67
	v_add3_u32 v2, v2, v70, v68
	v_and_b32_e32 v63, 0xff, v44
	v_and_b32_e32 v64, 0xff, v43
	v_and_b32_e32 v59, 0xff, v46
	v_and_b32_e32 v60, 0xff, v45
	;; [unrolled: 6-line block ×3, first 2 shown]
	v_add3_u32 v1, v1, v63, v59
	v_add3_u32 v2, v2, v64, v60
	v_mbcnt_lo_u32_b32 v77, -1, 0
	v_and_b32_e32 v53, 0xff, v51
	v_and_b32_e32 v54, 0xff, v52
	v_cndmask_b32_e64 v3, 0, 1, s43
	v_add3_u32 v1, v1, v57, v55
	v_cndmask_b32_e64 v4, 0, 1, s42
	v_add3_u32 v2, v2, v58, v56
	v_and_b32_e32 v81, 15, v77
	v_and_b32_e32 v80, 16, v77
	v_lshrrev_b32_e32 v78, 5, v0
	v_add3_u32 v82, v1, v53, v4
	v_add3_u32 v83, v2, v54, v3
	v_cmp_eq_u32_e64 s1, 0, v81
	v_cmp_lt_u32_e64 s0, 1, v81
	v_cmp_lt_u32_e64 s2, 3, v81
	v_cmp_lt_u32_e32 vcc_lo, 7, v81
	v_or_b32_e32 v79, 31, v0
	s_cmp_lg_u32 s15, 0
	s_mov_b32 s6, -1
	s_cbranch_scc0 .LBB2007_119
; %bb.87:
	v_mov_b32_dpp v1, v83 row_shr:1 row_mask:0xf bank_mask:0xf
	v_mov_b32_dpp v2, v82 row_shr:1 row_mask:0xf bank_mask:0xf
	s_delay_alu instid0(VALU_DEP_2) | instskip(NEXT) | instid1(VALU_DEP_1)
	v_add_nc_u32_e32 v1, v1, v83
	v_cndmask_b32_e64 v1, v1, v83, s1
	s_delay_alu instid0(VALU_DEP_1) | instskip(NEXT) | instid1(VALU_DEP_1)
	v_mov_b32_dpp v3, v1 row_shr:2 row_mask:0xf bank_mask:0xf
	v_add_nc_u32_e32 v3, v1, v3
	s_delay_alu instid0(VALU_DEP_1) | instskip(NEXT) | instid1(VALU_DEP_1)
	v_cndmask_b32_e64 v1, v1, v3, s0
	v_mov_b32_dpp v3, v1 row_shr:4 row_mask:0xf bank_mask:0xf
	s_delay_alu instid0(VALU_DEP_1) | instskip(NEXT) | instid1(VALU_DEP_1)
	v_add_nc_u32_e32 v3, v1, v3
	v_cndmask_b32_e64 v1, v1, v3, s2
	s_delay_alu instid0(VALU_DEP_1) | instskip(NEXT) | instid1(VALU_DEP_1)
	v_mov_b32_dpp v3, v1 row_shr:8 row_mask:0xf bank_mask:0xf
	v_add_nc_u32_e32 v3, v1, v3
	s_delay_alu instid0(VALU_DEP_1) | instskip(NEXT) | instid1(VALU_DEP_1)
	v_dual_cndmask_b32 v1, v1, v3 :: v_dual_add_nc_u32 v2, v2, v82
	v_cndmask_b32_e64 v2, v2, v82, s1
	s_delay_alu instid0(VALU_DEP_1) | instskip(NEXT) | instid1(VALU_DEP_1)
	v_mov_b32_dpp v4, v2 row_shr:2 row_mask:0xf bank_mask:0xf
	v_add_nc_u32_e32 v4, v2, v4
	s_delay_alu instid0(VALU_DEP_1) | instskip(NEXT) | instid1(VALU_DEP_1)
	v_cndmask_b32_e64 v2, v2, v4, s0
	v_mov_b32_dpp v4, v2 row_shr:4 row_mask:0xf bank_mask:0xf
	s_delay_alu instid0(VALU_DEP_1) | instskip(NEXT) | instid1(VALU_DEP_1)
	v_add_nc_u32_e32 v4, v2, v4
	v_cndmask_b32_e64 v2, v2, v4, s2
	s_mov_b32 s2, exec_lo
	s_delay_alu instid0(VALU_DEP_1) | instskip(NEXT) | instid1(VALU_DEP_1)
	v_mov_b32_dpp v4, v2 row_shr:8 row_mask:0xf bank_mask:0xf
	v_add_nc_u32_e32 v4, v2, v4
	s_delay_alu instid0(VALU_DEP_1)
	v_cndmask_b32_e32 v3, v2, v4, vcc_lo
	ds_swizzle_b32 v2, v1 offset:swizzle(BROADCAST,32,15)
	v_cmp_eq_u32_e32 vcc_lo, 0, v80
	s_waitcnt lgkmcnt(0)
	v_add_nc_u32_e32 v2, v1, v2
	ds_swizzle_b32 v4, v3 offset:swizzle(BROADCAST,32,15)
	v_cndmask_b32_e32 v2, v2, v1, vcc_lo
	s_waitcnt lgkmcnt(0)
	v_add_nc_u32_e32 v4, v3, v4
	s_delay_alu instid0(VALU_DEP_1)
	v_cndmask_b32_e32 v1, v4, v3, vcc_lo
	v_cmpx_eq_u32_e64 v79, v0
	s_cbranch_execz .LBB2007_89
; %bb.88:
	v_lshlrev_b32_e32 v3, 3, v78
	ds_store_b64 v3, v[1:2]
.LBB2007_89:
	s_or_b32 exec_lo, exec_lo, s2
	s_delay_alu instid0(SALU_CYCLE_1)
	s_mov_b32 s2, exec_lo
	s_waitcnt lgkmcnt(0)
	s_barrier
	buffer_gl0_inv
	v_cmpx_gt_u32_e32 8, v0
	s_cbranch_execz .LBB2007_91
; %bb.90:
	v_lshlrev_b32_e32 v5, 3, v0
	ds_load_b64 v[3:4], v5
	s_waitcnt lgkmcnt(0)
	v_mov_b32_dpp v18, v3 row_shr:1 row_mask:0xf bank_mask:0xf
	v_mov_b32_dpp v19, v4 row_shr:1 row_mask:0xf bank_mask:0xf
	s_delay_alu instid0(VALU_DEP_2) | instskip(SKIP_1) | instid1(VALU_DEP_3)
	v_add_nc_u32_e32 v18, v18, v3
	v_and_b32_e32 v20, 7, v77
	v_add_nc_u32_e32 v19, v19, v4
	s_delay_alu instid0(VALU_DEP_2) | instskip(NEXT) | instid1(VALU_DEP_2)
	v_cmp_eq_u32_e32 vcc_lo, 0, v20
	v_dual_cndmask_b32 v4, v19, v4 :: v_dual_cndmask_b32 v3, v18, v3
	v_cmp_lt_u32_e32 vcc_lo, 1, v20
	s_delay_alu instid0(VALU_DEP_2) | instskip(NEXT) | instid1(VALU_DEP_3)
	v_mov_b32_dpp v19, v4 row_shr:2 row_mask:0xf bank_mask:0xf
	v_mov_b32_dpp v18, v3 row_shr:2 row_mask:0xf bank_mask:0xf
	s_delay_alu instid0(VALU_DEP_2) | instskip(NEXT) | instid1(VALU_DEP_2)
	v_add_nc_u32_e32 v19, v4, v19
	v_add_nc_u32_e32 v18, v3, v18
	s_delay_alu instid0(VALU_DEP_1) | instskip(SKIP_1) | instid1(VALU_DEP_2)
	v_dual_cndmask_b32 v4, v4, v19 :: v_dual_cndmask_b32 v3, v3, v18
	v_cmp_lt_u32_e32 vcc_lo, 3, v20
	v_mov_b32_dpp v19, v4 row_shr:4 row_mask:0xf bank_mask:0xf
	s_delay_alu instid0(VALU_DEP_3) | instskip(NEXT) | instid1(VALU_DEP_1)
	v_mov_b32_dpp v18, v3 row_shr:4 row_mask:0xf bank_mask:0xf
	v_dual_cndmask_b32 v19, 0, v19 :: v_dual_cndmask_b32 v18, 0, v18
	s_delay_alu instid0(VALU_DEP_1) | instskip(NEXT) | instid1(VALU_DEP_2)
	v_add_nc_u32_e32 v4, v19, v4
	v_add_nc_u32_e32 v3, v18, v3
	ds_store_b64 v5, v[3:4]
.LBB2007_91:
	s_or_b32 exec_lo, exec_lo, s2
	v_cmp_gt_u32_e32 vcc_lo, 32, v0
	v_cmp_lt_u32_e64 s2, 31, v0
	s_waitcnt lgkmcnt(0)
	s_barrier
	buffer_gl0_inv
                                        ; implicit-def: $vgpr19
	s_and_saveexec_b32 s6, s2
	s_delay_alu instid0(SALU_CYCLE_1)
	s_xor_b32 s2, exec_lo, s6
	s_cbranch_execz .LBB2007_93
; %bb.92:
	v_lshl_add_u32 v3, v78, 3, -8
	ds_load_b64 v[18:19], v3
	s_waitcnt lgkmcnt(0)
	v_add_nc_u32_e32 v2, v19, v2
	v_add_nc_u32_e32 v1, v18, v1
.LBB2007_93:
	s_and_not1_saveexec_b32 s2, s2
; %bb.94:
                                        ; implicit-def: $vgpr18
; %bb.95:
	s_delay_alu instid0(SALU_CYCLE_1) | instskip(SKIP_1) | instid1(VALU_DEP_1)
	s_or_b32 exec_lo, exec_lo, s2
	v_add_nc_u32_e32 v3, -1, v77
	v_cmp_gt_i32_e64 s2, 0, v3
	s_delay_alu instid0(VALU_DEP_1) | instskip(SKIP_1) | instid1(VALU_DEP_2)
	v_cndmask_b32_e64 v3, v3, v77, s2
	v_cmp_eq_u32_e64 s2, 0, v77
	v_lshlrev_b32_e32 v3, 2, v3
	ds_bpermute_b32 v84, v3, v1
	ds_bpermute_b32 v85, v3, v2
	s_and_saveexec_b32 s6, vcc_lo
	s_cbranch_execz .LBB2007_118
; %bb.96:
	v_mov_b32_e32 v4, 0
	ds_load_b64 v[1:2], v4 offset:56
	s_waitcnt lgkmcnt(0)
	v_readfirstlane_b32 s7, v2
	s_and_saveexec_b32 s8, s2
	s_cbranch_execz .LBB2007_98
; %bb.97:
	s_add_i32 s10, s15, 32
	s_mov_b32 s11, 0
	v_mov_b32_e32 v3, 1
	s_lshl_b64 s[12:13], s[10:11], 4
	s_mov_b32 s16, s11
	s_add_u32 s12, s4, s12
	s_addc_u32 s13, s5, s13
	s_and_b32 s17, s7, 0xff000000
	s_and_b32 s19, s7, 0xff0000
	s_mov_b32 s18, s11
	v_dual_mov_b32 v21, s13 :: v_dual_mov_b32 v20, s12
	s_or_b64 s[16:17], s[18:19], s[16:17]
	s_and_b32 s19, s7, 0xff00
	s_delay_alu instid0(SALU_CYCLE_1) | instskip(SKIP_1) | instid1(SALU_CYCLE_1)
	s_or_b64 s[16:17], s[16:17], s[18:19]
	s_and_b32 s19, s7, 0xff
	s_or_b64 s[10:11], s[16:17], s[18:19]
	s_delay_alu instid0(SALU_CYCLE_1)
	v_mov_b32_e32 v2, s11
	;;#ASMSTART
	global_store_dwordx4 v[20:21], v[1:4] off	
s_waitcnt vmcnt(0)
	;;#ASMEND
.LBB2007_98:
	s_or_b32 exec_lo, exec_lo, s8
	v_xad_u32 v20, v77, -1, s15
	s_mov_b32 s9, 0
	s_mov_b32 s8, exec_lo
	s_delay_alu instid0(VALU_DEP_1) | instskip(NEXT) | instid1(VALU_DEP_1)
	v_add_nc_u32_e32 v3, 32, v20
	v_lshlrev_b64 v[2:3], 4, v[3:4]
	s_delay_alu instid0(VALU_DEP_1) | instskip(NEXT) | instid1(VALU_DEP_2)
	v_add_co_u32 v21, vcc_lo, s4, v2
	v_add_co_ci_u32_e32 v22, vcc_lo, s5, v3, vcc_lo
	;;#ASMSTART
	global_load_dwordx4 v[2:5], v[21:22] off glc	
s_waitcnt vmcnt(0)
	;;#ASMEND
	v_and_b32_e32 v5, 0xff, v3
	v_and_b32_e32 v23, 0xff00, v3
	v_or3_b32 v2, v2, 0, 0
	v_and_b32_e32 v24, 0xff000000, v3
	v_and_b32_e32 v3, 0xff0000, v3
	s_delay_alu instid0(VALU_DEP_4) | instskip(SKIP_2) | instid1(VALU_DEP_3)
	v_or3_b32 v5, 0, v5, v23
	v_and_b32_e32 v23, 0xff, v4
	v_or3_b32 v2, v2, 0, 0
	v_or3_b32 v3, v5, v3, v24
	s_delay_alu instid0(VALU_DEP_3)
	v_cmpx_eq_u16_e32 0, v23
	s_cbranch_execz .LBB2007_104
; %bb.99:
	s_mov_b32 s10, 1
	.p2align	6
.LBB2007_100:                           ; =>This Loop Header: Depth=1
                                        ;     Child Loop BB2007_101 Depth 2
	s_delay_alu instid0(SALU_CYCLE_1)
	s_max_u32 s11, s10, 1
.LBB2007_101:                           ;   Parent Loop BB2007_100 Depth=1
                                        ; =>  This Inner Loop Header: Depth=2
	s_delay_alu instid0(SALU_CYCLE_1)
	s_add_i32 s11, s11, -1
	s_sleep 1
	s_cmp_eq_u32 s11, 0
	s_cbranch_scc0 .LBB2007_101
; %bb.102:                              ;   in Loop: Header=BB2007_100 Depth=1
	;;#ASMSTART
	global_load_dwordx4 v[2:5], v[21:22] off glc	
s_waitcnt vmcnt(0)
	;;#ASMEND
	v_and_b32_e32 v5, 0xff, v4
	s_cmp_lt_u32 s10, 32
	s_cselect_b32 s11, -1, 0
	s_delay_alu instid0(SALU_CYCLE_1) | instskip(NEXT) | instid1(VALU_DEP_1)
	s_cmp_lg_u32 s11, 0
	v_cmp_ne_u16_e32 vcc_lo, 0, v5
	s_addc_u32 s10, s10, 0
	s_or_b32 s9, vcc_lo, s9
	s_delay_alu instid0(SALU_CYCLE_1)
	s_and_not1_b32 exec_lo, exec_lo, s9
	s_cbranch_execnz .LBB2007_100
; %bb.103:
	s_or_b32 exec_lo, exec_lo, s9
.LBB2007_104:
	s_delay_alu instid0(SALU_CYCLE_1)
	s_or_b32 exec_lo, exec_lo, s8
	v_cmp_ne_u32_e32 vcc_lo, 31, v77
	v_lshlrev_b32_e64 v87, v77, -1
	v_add_nc_u32_e32 v91, 4, v77
	v_add_nc_u32_e32 v93, 8, v77
	;; [unrolled: 1-line block ×3, first 2 shown]
	v_add_co_ci_u32_e32 v5, vcc_lo, 0, v77, vcc_lo
	s_delay_alu instid0(VALU_DEP_1)
	v_lshlrev_b32_e32 v86, 2, v5
	ds_bpermute_b32 v21, v86, v3
	ds_bpermute_b32 v5, v86, v2
	s_waitcnt lgkmcnt(1)
	v_add_nc_u32_e32 v21, v21, v3
	v_and_b32_e32 v22, 0xff, v4
	s_waitcnt lgkmcnt(0)
	v_add_nc_u32_e32 v5, v5, v2
	s_delay_alu instid0(VALU_DEP_2) | instskip(SKIP_2) | instid1(VALU_DEP_2)
	v_cmp_eq_u16_e32 vcc_lo, 2, v22
	v_and_or_b32 v22, vcc_lo, v87, 0x80000000
	v_cmp_gt_u32_e32 vcc_lo, 30, v77
	v_ctz_i32_b32_e32 v22, v22
	v_cndmask_b32_e64 v23, 0, 1, vcc_lo
	s_delay_alu instid0(VALU_DEP_2) | instskip(NEXT) | instid1(VALU_DEP_2)
	v_cmp_lt_u32_e32 vcc_lo, v77, v22
	v_dual_cndmask_b32 v2, v2, v5 :: v_dual_lshlrev_b32 v23, 1, v23
	s_delay_alu instid0(VALU_DEP_1)
	v_add_lshl_u32 v88, v23, v77, 2
	v_cndmask_b32_e32 v3, v3, v21, vcc_lo
	v_cmp_gt_u32_e32 vcc_lo, 28, v77
	ds_bpermute_b32 v5, v88, v2
	ds_bpermute_b32 v21, v88, v3
	v_cndmask_b32_e64 v23, 0, 1, vcc_lo
	s_waitcnt lgkmcnt(1)
	v_add_nc_u32_e32 v5, v2, v5
	v_add_nc_u32_e32 v89, 2, v77
	s_waitcnt lgkmcnt(0)
	v_add_nc_u32_e32 v21, v3, v21
	s_delay_alu instid0(VALU_DEP_2) | instskip(SKIP_1) | instid1(VALU_DEP_3)
	v_cmp_gt_u32_e32 vcc_lo, v89, v22
	v_dual_cndmask_b32 v2, v5, v2 :: v_dual_lshlrev_b32 v23, 2, v23
	v_cndmask_b32_e32 v3, v21, v3, vcc_lo
	v_cmp_gt_u32_e32 vcc_lo, 24, v77
	s_delay_alu instid0(VALU_DEP_3)
	v_add_lshl_u32 v90, v23, v77, 2
	v_cndmask_b32_e64 v23, 0, 1, vcc_lo
	v_cmp_gt_u32_e32 vcc_lo, v91, v22
	ds_bpermute_b32 v5, v90, v2
	ds_bpermute_b32 v21, v90, v3
	v_lshlrev_b32_e32 v23, 3, v23
	s_delay_alu instid0(VALU_DEP_1) | instskip(SKIP_3) | instid1(VALU_DEP_1)
	v_add_lshl_u32 v92, v23, v77, 2
	s_waitcnt lgkmcnt(1)
	v_add_nc_u32_e32 v5, v2, v5
	s_waitcnt lgkmcnt(0)
	v_dual_cndmask_b32 v2, v5, v2 :: v_dual_add_nc_u32 v21, v3, v21
	s_delay_alu instid0(VALU_DEP_1)
	v_cndmask_b32_e32 v3, v21, v3, vcc_lo
	v_cmp_gt_u32_e32 vcc_lo, 16, v77
	ds_bpermute_b32 v5, v92, v2
	ds_bpermute_b32 v21, v92, v3
	v_cndmask_b32_e64 v23, 0, 1, vcc_lo
	v_cmp_gt_u32_e32 vcc_lo, v93, v22
	s_delay_alu instid0(VALU_DEP_2) | instskip(NEXT) | instid1(VALU_DEP_1)
	v_lshlrev_b32_e32 v23, 4, v23
	v_add_lshl_u32 v94, v23, v77, 2
	s_waitcnt lgkmcnt(1)
	v_add_nc_u32_e32 v5, v2, v5
	s_waitcnt lgkmcnt(0)
	s_delay_alu instid0(VALU_DEP_1) | instskip(NEXT) | instid1(VALU_DEP_1)
	v_dual_cndmask_b32 v2, v5, v2 :: v_dual_add_nc_u32 v21, v3, v21
	v_cndmask_b32_e32 v3, v21, v3, vcc_lo
	v_cmp_le_u32_e32 vcc_lo, v95, v22
	ds_bpermute_b32 v5, v94, v2
	ds_bpermute_b32 v21, v94, v3
	s_waitcnt lgkmcnt(1)
	v_cndmask_b32_e32 v5, 0, v5, vcc_lo
	s_waitcnt lgkmcnt(0)
	s_delay_alu instid0(VALU_DEP_1) | instskip(NEXT) | instid1(VALU_DEP_1)
	v_dual_cndmask_b32 v21, 0, v21 :: v_dual_add_nc_u32 v2, v5, v2
	v_add_nc_u32_e32 v3, v21, v3
	v_mov_b32_e32 v21, 0
	s_branch .LBB2007_106
.LBB2007_105:                           ;   in Loop: Header=BB2007_106 Depth=1
	s_or_b32 exec_lo, exec_lo, s8
	ds_bpermute_b32 v5, v86, v2
	ds_bpermute_b32 v24, v86, v3
	v_subrev_nc_u32_e32 v20, 32, v20
	s_waitcnt lgkmcnt(1)
	v_add_nc_u32_e32 v5, v5, v2
	v_and_b32_e32 v25, 0xff, v4
	s_waitcnt lgkmcnt(0)
	v_add_nc_u32_e32 v24, v24, v3
	s_delay_alu instid0(VALU_DEP_2) | instskip(SKIP_1) | instid1(VALU_DEP_1)
	v_cmp_eq_u16_e32 vcc_lo, 2, v25
	v_and_or_b32 v25, vcc_lo, v87, 0x80000000
	v_ctz_i32_b32_e32 v25, v25
	s_delay_alu instid0(VALU_DEP_1)
	v_cmp_lt_u32_e32 vcc_lo, v77, v25
	v_cndmask_b32_e32 v2, v2, v5, vcc_lo
	ds_bpermute_b32 v5, v88, v2
	s_waitcnt lgkmcnt(0)
	v_add_nc_u32_e32 v5, v2, v5
	v_cndmask_b32_e32 v3, v3, v24, vcc_lo
	v_cmp_gt_u32_e32 vcc_lo, v89, v25
	s_delay_alu instid0(VALU_DEP_3)
	v_cndmask_b32_e32 v2, v5, v2, vcc_lo
	ds_bpermute_b32 v24, v88, v3
	ds_bpermute_b32 v5, v90, v2
	s_waitcnt lgkmcnt(1)
	v_add_nc_u32_e32 v24, v3, v24
	s_waitcnt lgkmcnt(0)
	v_add_nc_u32_e32 v5, v2, v5
	s_delay_alu instid0(VALU_DEP_2) | instskip(SKIP_1) | instid1(VALU_DEP_3)
	v_cndmask_b32_e32 v3, v24, v3, vcc_lo
	v_cmp_gt_u32_e32 vcc_lo, v91, v25
	v_cndmask_b32_e32 v2, v5, v2, vcc_lo
	ds_bpermute_b32 v24, v90, v3
	ds_bpermute_b32 v5, v92, v2
	s_waitcnt lgkmcnt(1)
	v_add_nc_u32_e32 v24, v3, v24
	s_waitcnt lgkmcnt(0)
	v_add_nc_u32_e32 v5, v2, v5
	s_delay_alu instid0(VALU_DEP_2) | instskip(SKIP_1) | instid1(VALU_DEP_3)
	v_cndmask_b32_e32 v3, v24, v3, vcc_lo
	v_cmp_gt_u32_e32 vcc_lo, v93, v25
	v_cndmask_b32_e32 v2, v5, v2, vcc_lo
	ds_bpermute_b32 v24, v92, v3
	ds_bpermute_b32 v5, v94, v2
	s_waitcnt lgkmcnt(1)
	v_add_nc_u32_e32 v24, v3, v24
	s_delay_alu instid0(VALU_DEP_1) | instskip(SKIP_4) | instid1(VALU_DEP_1)
	v_cndmask_b32_e32 v3, v24, v3, vcc_lo
	v_cmp_le_u32_e32 vcc_lo, v95, v25
	ds_bpermute_b32 v24, v94, v3
	s_waitcnt lgkmcnt(1)
	v_cndmask_b32_e32 v5, 0, v5, vcc_lo
	v_add3_u32 v2, v2, v22, v5
	s_waitcnt lgkmcnt(0)
	v_cndmask_b32_e32 v24, 0, v24, vcc_lo
	s_delay_alu instid0(VALU_DEP_1)
	v_add3_u32 v3, v3, v23, v24
.LBB2007_106:                           ; =>This Loop Header: Depth=1
                                        ;     Child Loop BB2007_109 Depth 2
                                        ;       Child Loop BB2007_110 Depth 3
	s_delay_alu instid0(VALU_DEP_1) | instskip(SKIP_1) | instid1(VALU_DEP_2)
	v_dual_mov_b32 v23, v3 :: v_dual_and_b32 v4, 0xff, v4
	v_mov_b32_e32 v22, v2
	v_cmp_ne_u16_e32 vcc_lo, 2, v4
	v_cndmask_b32_e64 v4, 0, 1, vcc_lo
	;;#ASMSTART
	;;#ASMEND
	s_delay_alu instid0(VALU_DEP_1)
	v_cmp_ne_u32_e32 vcc_lo, 0, v4
	s_cmp_lg_u32 vcc_lo, exec_lo
	s_cbranch_scc1 .LBB2007_113
; %bb.107:                              ;   in Loop: Header=BB2007_106 Depth=1
	v_lshlrev_b64 v[2:3], 4, v[20:21]
	s_mov_b32 s8, exec_lo
	s_delay_alu instid0(VALU_DEP_1) | instskip(NEXT) | instid1(VALU_DEP_2)
	v_add_co_u32 v24, vcc_lo, s4, v2
	v_add_co_ci_u32_e32 v25, vcc_lo, s5, v3, vcc_lo
	;;#ASMSTART
	global_load_dwordx4 v[2:5], v[24:25] off glc	
s_waitcnt vmcnt(0)
	;;#ASMEND
	v_and_b32_e32 v5, 0xff, v3
	v_and_b32_e32 v96, 0xff00, v3
	v_or3_b32 v2, v2, 0, 0
	v_and_b32_e32 v97, 0xff000000, v3
	v_and_b32_e32 v3, 0xff0000, v3
	s_delay_alu instid0(VALU_DEP_4) | instskip(SKIP_2) | instid1(VALU_DEP_3)
	v_or3_b32 v5, 0, v5, v96
	v_and_b32_e32 v96, 0xff, v4
	v_or3_b32 v2, v2, 0, 0
	v_or3_b32 v3, v5, v3, v97
	s_delay_alu instid0(VALU_DEP_3)
	v_cmpx_eq_u16_e32 0, v96
	s_cbranch_execz .LBB2007_105
; %bb.108:                              ;   in Loop: Header=BB2007_106 Depth=1
	s_mov_b32 s10, 1
	s_mov_b32 s9, 0
	.p2align	6
.LBB2007_109:                           ;   Parent Loop BB2007_106 Depth=1
                                        ; =>  This Loop Header: Depth=2
                                        ;       Child Loop BB2007_110 Depth 3
	s_max_u32 s11, s10, 1
.LBB2007_110:                           ;   Parent Loop BB2007_106 Depth=1
                                        ;     Parent Loop BB2007_109 Depth=2
                                        ; =>    This Inner Loop Header: Depth=3
	s_delay_alu instid0(SALU_CYCLE_1)
	s_add_i32 s11, s11, -1
	s_sleep 1
	s_cmp_eq_u32 s11, 0
	s_cbranch_scc0 .LBB2007_110
; %bb.111:                              ;   in Loop: Header=BB2007_109 Depth=2
	;;#ASMSTART
	global_load_dwordx4 v[2:5], v[24:25] off glc	
s_waitcnt vmcnt(0)
	;;#ASMEND
	v_and_b32_e32 v5, 0xff, v4
	s_cmp_lt_u32 s10, 32
	s_cselect_b32 s11, -1, 0
	s_delay_alu instid0(SALU_CYCLE_1) | instskip(NEXT) | instid1(VALU_DEP_1)
	s_cmp_lg_u32 s11, 0
	v_cmp_ne_u16_e32 vcc_lo, 0, v5
	s_addc_u32 s10, s10, 0
	s_or_b32 s9, vcc_lo, s9
	s_delay_alu instid0(SALU_CYCLE_1)
	s_and_not1_b32 exec_lo, exec_lo, s9
	s_cbranch_execnz .LBB2007_109
; %bb.112:                              ;   in Loop: Header=BB2007_106 Depth=1
	s_or_b32 exec_lo, exec_lo, s9
	s_branch .LBB2007_105
.LBB2007_113:                           ;   in Loop: Header=BB2007_106 Depth=1
                                        ; implicit-def: $vgpr4
                                        ; implicit-def: $vgpr2_vgpr3
	s_cbranch_execz .LBB2007_106
; %bb.114:
	s_and_saveexec_b32 s8, s2
	s_cbranch_execnz .LBB2007_357
; %bb.115:
	s_or_b32 exec_lo, exec_lo, s8
	s_and_saveexec_b32 s8, s2
	s_cbranch_execnz .LBB2007_358
.LBB2007_116:
	s_or_b32 exec_lo, exec_lo, s8
	v_cmp_eq_u32_e32 vcc_lo, 0, v0
	s_and_b32 exec_lo, exec_lo, vcc_lo
	s_cbranch_execz .LBB2007_118
.LBB2007_117:
	v_mov_b32_e32 v1, 0
	ds_store_b64 v1, v[22:23] offset:56
.LBB2007_118:
	s_or_b32 exec_lo, exec_lo, s6
	v_cmp_eq_u32_e32 vcc_lo, 0, v0
	v_mov_b32_e32 v1, 0
	s_waitcnt lgkmcnt(0)
	s_barrier
	buffer_gl0_inv
	v_add_nc_u32_e64 v3, 0x3400, 0
	ds_load_b64 v[20:21], v1 offset:56
	s_waitcnt lgkmcnt(0)
	s_barrier
	buffer_gl0_inv
	ds_load_2addr_b32 v[1:2], v3 offset1:2
	ds_load_2addr_b32 v[3:4], v3 offset0:4 offset1:6
	v_cndmask_b32_e64 v5, v84, v18, s2
	v_cndmask_b32_e64 v18, v85, v19, s2
	s_delay_alu instid0(VALU_DEP_2) | instskip(NEXT) | instid1(VALU_DEP_1)
	v_add_nc_u32_e32 v19, v20, v5
	v_dual_cndmask_b32 v20, v19, v20 :: v_dual_add_nc_u32 v5, v21, v18
	s_delay_alu instid0(VALU_DEP_1)
	v_cndmask_b32_e32 v5, v5, v21, vcc_lo
	s_branch .LBB2007_129
.LBB2007_119:
                                        ; implicit-def: $vgpr5
                                        ; implicit-def: $vgpr3
                                        ; implicit-def: $vgpr1
                                        ; implicit-def: $vgpr20_vgpr21
	s_and_b32 vcc_lo, exec_lo, s6
	s_cbranch_vccz .LBB2007_129
; %bb.120:
	s_waitcnt lgkmcnt(0)
	v_mov_b32_dpp v2, v83 row_shr:1 row_mask:0xf bank_mask:0xf
	v_cmp_lt_u32_e32 vcc_lo, 3, v81
	v_mov_b32_dpp v1, v82 row_shr:1 row_mask:0xf bank_mask:0xf
	s_delay_alu instid0(VALU_DEP_3) | instskip(NEXT) | instid1(VALU_DEP_1)
	v_add_nc_u32_e32 v2, v2, v83
	v_cndmask_b32_e64 v2, v2, v83, s1
	s_delay_alu instid0(VALU_DEP_1) | instskip(NEXT) | instid1(VALU_DEP_1)
	v_mov_b32_dpp v4, v2 row_shr:2 row_mask:0xf bank_mask:0xf
	v_add_nc_u32_e32 v4, v2, v4
	s_delay_alu instid0(VALU_DEP_1) | instskip(NEXT) | instid1(VALU_DEP_1)
	v_cndmask_b32_e64 v2, v2, v4, s0
	v_mov_b32_dpp v4, v2 row_shr:4 row_mask:0xf bank_mask:0xf
	s_delay_alu instid0(VALU_DEP_1) | instskip(NEXT) | instid1(VALU_DEP_1)
	v_add_nc_u32_e32 v4, v2, v4
	v_dual_cndmask_b32 v2, v2, v4 :: v_dual_add_nc_u32 v1, v1, v82
	s_delay_alu instid0(VALU_DEP_1) | instskip(NEXT) | instid1(VALU_DEP_2)
	v_cndmask_b32_e64 v1, v1, v82, s1
	v_mov_b32_dpp v4, v2 row_shr:8 row_mask:0xf bank_mask:0xf
	s_delay_alu instid0(VALU_DEP_2) | instskip(NEXT) | instid1(VALU_DEP_2)
	v_mov_b32_dpp v3, v1 row_shr:2 row_mask:0xf bank_mask:0xf
	v_add_nc_u32_e32 v4, v2, v4
	s_delay_alu instid0(VALU_DEP_2) | instskip(NEXT) | instid1(VALU_DEP_1)
	v_add_nc_u32_e32 v3, v1, v3
	v_cndmask_b32_e64 v1, v1, v3, s0
	s_mov_b32 s0, exec_lo
	s_delay_alu instid0(VALU_DEP_1) | instskip(NEXT) | instid1(VALU_DEP_1)
	v_mov_b32_dpp v3, v1 row_shr:4 row_mask:0xf bank_mask:0xf
	v_add_nc_u32_e32 v3, v1, v3
	s_delay_alu instid0(VALU_DEP_1) | instskip(SKIP_1) | instid1(VALU_DEP_2)
	v_cndmask_b32_e32 v1, v1, v3, vcc_lo
	v_cmp_lt_u32_e32 vcc_lo, 7, v81
	v_mov_b32_dpp v3, v1 row_shr:8 row_mask:0xf bank_mask:0xf
	s_delay_alu instid0(VALU_DEP_1) | instskip(NEXT) | instid1(VALU_DEP_1)
	v_dual_cndmask_b32 v2, v2, v4 :: v_dual_add_nc_u32 v3, v1, v3
	v_cndmask_b32_e32 v1, v1, v3, vcc_lo
	ds_swizzle_b32 v3, v2 offset:swizzle(BROADCAST,32,15)
	v_cmp_eq_u32_e32 vcc_lo, 0, v80
	ds_swizzle_b32 v4, v1 offset:swizzle(BROADCAST,32,15)
	s_waitcnt lgkmcnt(1)
	v_add_nc_u32_e32 v3, v2, v3
	s_waitcnt lgkmcnt(0)
	v_add_nc_u32_e32 v4, v1, v4
	s_delay_alu instid0(VALU_DEP_1)
	v_dual_cndmask_b32 v2, v3, v2 :: v_dual_cndmask_b32 v1, v4, v1
	v_cmpx_eq_u32_e64 v79, v0
	s_cbranch_execz .LBB2007_122
; %bb.121:
	v_lshlrev_b32_e32 v3, 3, v78
	ds_store_b64 v3, v[1:2]
.LBB2007_122:
	s_or_b32 exec_lo, exec_lo, s0
	s_delay_alu instid0(SALU_CYCLE_1)
	s_mov_b32 s0, exec_lo
	s_waitcnt lgkmcnt(0)
	s_barrier
	buffer_gl0_inv
	v_cmpx_gt_u32_e32 8, v0
	s_cbranch_execz .LBB2007_124
; %bb.123:
	v_lshlrev_b32_e32 v5, 3, v0
	ds_load_b64 v[3:4], v5
	s_waitcnt lgkmcnt(0)
	v_mov_b32_dpp v18, v3 row_shr:1 row_mask:0xf bank_mask:0xf
	v_mov_b32_dpp v19, v4 row_shr:1 row_mask:0xf bank_mask:0xf
	s_delay_alu instid0(VALU_DEP_2) | instskip(SKIP_1) | instid1(VALU_DEP_3)
	v_add_nc_u32_e32 v18, v18, v3
	v_and_b32_e32 v20, 7, v77
	v_add_nc_u32_e32 v19, v19, v4
	s_delay_alu instid0(VALU_DEP_2) | instskip(NEXT) | instid1(VALU_DEP_2)
	v_cmp_eq_u32_e32 vcc_lo, 0, v20
	v_dual_cndmask_b32 v4, v19, v4 :: v_dual_cndmask_b32 v3, v18, v3
	v_cmp_lt_u32_e32 vcc_lo, 1, v20
	s_delay_alu instid0(VALU_DEP_2) | instskip(NEXT) | instid1(VALU_DEP_3)
	v_mov_b32_dpp v19, v4 row_shr:2 row_mask:0xf bank_mask:0xf
	v_mov_b32_dpp v18, v3 row_shr:2 row_mask:0xf bank_mask:0xf
	s_delay_alu instid0(VALU_DEP_2) | instskip(NEXT) | instid1(VALU_DEP_2)
	v_add_nc_u32_e32 v19, v4, v19
	v_add_nc_u32_e32 v18, v3, v18
	s_delay_alu instid0(VALU_DEP_1) | instskip(SKIP_1) | instid1(VALU_DEP_2)
	v_dual_cndmask_b32 v4, v4, v19 :: v_dual_cndmask_b32 v3, v3, v18
	v_cmp_lt_u32_e32 vcc_lo, 3, v20
	v_mov_b32_dpp v19, v4 row_shr:4 row_mask:0xf bank_mask:0xf
	s_delay_alu instid0(VALU_DEP_3) | instskip(NEXT) | instid1(VALU_DEP_1)
	v_mov_b32_dpp v18, v3 row_shr:4 row_mask:0xf bank_mask:0xf
	v_dual_cndmask_b32 v19, 0, v19 :: v_dual_cndmask_b32 v18, 0, v18
	s_delay_alu instid0(VALU_DEP_1) | instskip(NEXT) | instid1(VALU_DEP_2)
	v_add_nc_u32_e32 v4, v19, v4
	v_add_nc_u32_e32 v3, v18, v3
	ds_store_b64 v5, v[3:4]
.LBB2007_124:
	s_or_b32 exec_lo, exec_lo, s0
	v_dual_mov_b32 v3, 0 :: v_dual_mov_b32 v18, 0
	v_mov_b32_e32 v19, 0
	s_mov_b32 s0, exec_lo
	s_waitcnt lgkmcnt(0)
	s_barrier
	buffer_gl0_inv
	v_cmpx_lt_u32_e32 31, v0
	s_cbranch_execz .LBB2007_126
; %bb.125:
	v_lshl_add_u32 v4, v78, 3, -8
	ds_load_b64 v[18:19], v4
.LBB2007_126:
	s_or_b32 exec_lo, exec_lo, s0
	v_add_nc_u32_e32 v4, -1, v77
	s_waitcnt lgkmcnt(0)
	v_add_nc_u32_e32 v20, v19, v2
	v_add_nc_u32_e32 v5, v18, v1
	ds_load_b64 v[1:2], v3 offset:56
	v_cmp_gt_i32_e32 vcc_lo, 0, v4
	v_cndmask_b32_e32 v4, v4, v77, vcc_lo
	v_cmp_eq_u32_e32 vcc_lo, 0, v0
	s_delay_alu instid0(VALU_DEP_2)
	v_lshlrev_b32_e32 v4, 2, v4
	ds_bpermute_b32 v5, v4, v5
	ds_bpermute_b32 v20, v4, v20
	s_waitcnt lgkmcnt(2)
	v_readfirstlane_b32 s1, v2
	s_and_saveexec_b32 s0, vcc_lo
	s_cbranch_execz .LBB2007_128
; %bb.127:
	s_mov_b32 s6, 0
	s_add_u32 s4, s4, 0x200
	s_addc_u32 s5, s5, 0
	s_and_b32 s7, s1, 0xff000000
	s_and_b32 s9, s1, 0xff0000
	s_mov_b32 s8, s6
	v_mov_b32_e32 v22, s5
	s_or_b64 s[8:9], s[8:9], s[6:7]
	s_and_b32 s7, s1, 0xff00
	v_dual_mov_b32 v4, 0 :: v_dual_mov_b32 v21, s4
	s_or_b64 s[8:9], s[8:9], s[6:7]
	s_and_b32 s7, s1, 0xff
	v_mov_b32_e32 v3, 2
	s_or_b64 s[6:7], s[8:9], s[6:7]
	s_delay_alu instid0(SALU_CYCLE_1)
	v_mov_b32_e32 v2, s7
	;;#ASMSTART
	global_store_dwordx4 v[21:22], v[1:4] off	
s_waitcnt vmcnt(0)
	;;#ASMEND
.LBB2007_128:
	s_or_b32 exec_lo, exec_lo, s0
	v_cmp_eq_u32_e64 s0, 0, v77
	v_dual_mov_b32 v3, 0 :: v_dual_mov_b32 v2, s1
	s_waitcnt lgkmcnt(0)
	s_barrier
	s_delay_alu instid0(VALU_DEP_2)
	v_cndmask_b32_e64 v4, v5, v18, s0
	v_cndmask_b32_e64 v5, v20, v19, s0
	buffer_gl0_inv
	v_cndmask_b32_e64 v20, v4, 0, vcc_lo
	v_cndmask_b32_e64 v5, v5, 0, vcc_lo
	v_mov_b32_e32 v4, 0
.LBB2007_129:
	v_and_b32_e32 v30, 1, v30
	v_and_b32_e32 v34, 1, v34
	;; [unrolled: 1-line block ×4, first 2 shown]
	s_waitcnt lgkmcnt(0)
	v_add_co_u32 v18, s0, s28, v3
	v_cmp_eq_u32_e32 vcc_lo, 1, v30
	v_add_nc_u32_e32 v22, v5, v76
	v_sub_nc_u32_e32 v5, v5, v4
	v_add_co_ci_u32_e64 v19, null, s29, 0, s0
	s_mov_b32 s2, -1
	s_delay_alu instid0(VALU_DEP_3) | instskip(SKIP_3) | instid1(VALU_DEP_3)
	v_add_nc_u32_e32 v24, v22, v72
	v_sub_nc_u32_e32 v22, v22, v4
	v_add_nc_u32_e32 v5, v5, v1
	v_sub_co_u32 v72, s0, s30, v1
	v_add_nc_u32_e32 v22, v22, v1
	v_add_nc_u32_e32 v21, v20, v75
	v_sub_nc_u32_e32 v20, v20, v3
	s_delay_alu instid0(VALU_DEP_2)
	v_add_nc_u32_e32 v23, v21, v71
	v_add_nc_u32_e32 v71, v24, v74
	v_lshlrev_b32_e32 v74, 1, v1
	v_sub_nc_u32_e32 v21, v21, v3
	v_add_nc_u32_e32 v75, v20, v5
	v_sub_nc_u32_e32 v24, v24, v4
	s_delay_alu instid0(VALU_DEP_4) | instskip(NEXT) | instid1(VALU_DEP_4)
	v_add3_u32 v28, v74, v2, v28
	v_add_nc_u32_e32 v76, v22, v21
	s_delay_alu instid0(VALU_DEP_3) | instskip(NEXT) | instid1(VALU_DEP_3)
	v_add_nc_u32_e32 v24, v24, v1
	v_sub_nc_u32_e32 v75, v28, v75
	s_delay_alu instid0(VALU_DEP_3) | instskip(NEXT) | instid1(VALU_DEP_1)
	v_sub_nc_u32_e32 v76, v28, v76
	v_dual_cndmask_b32 v5, v75, v5 :: v_dual_add_nc_u32 v30, 1, v76
	v_cmp_eq_u32_e32 vcc_lo, 1, v34
	s_delay_alu instid0(VALU_DEP_2) | instskip(SKIP_1) | instid1(VALU_DEP_4)
	v_cndmask_b32_e32 v22, v30, v22, vcc_lo
	v_cmp_eq_u32_e32 vcc_lo, 1, v29
	v_cndmask_b32_e32 v5, v5, v20, vcc_lo
	v_and_b32_e32 v20, 1, v36
	v_cmp_eq_u32_e32 vcc_lo, 1, v33
	s_delay_alu instid0(VALU_DEP_3) | instskip(SKIP_1) | instid1(VALU_DEP_4)
	v_lshlrev_b32_e32 v5, 2, v5
	v_cndmask_b32_e32 v21, v22, v21, vcc_lo
	v_cmp_eq_u32_e32 vcc_lo, 1, v20
	v_add_nc_u32_e32 v25, v23, v73
	v_sub_nc_u32_e32 v23, v23, v3
	v_and_b32_e32 v22, 1, v31
	v_sub_co_ci_u32_e64 v73, null, s31, 0, s0
	v_and_b32_e32 v31, 1, v32
	s_delay_alu instid0(VALU_DEP_4) | instskip(NEXT) | instid1(VALU_DEP_1)
	v_add_nc_u32_e32 v77, v24, v23
	v_sub_nc_u32_e32 v75, v28, v77
	s_delay_alu instid0(VALU_DEP_1) | instskip(NEXT) | instid1(VALU_DEP_1)
	v_add_nc_u32_e32 v29, 2, v75
	v_cndmask_b32_e32 v20, v29, v24, vcc_lo
	v_sub_nc_u32_e32 v24, v71, v4
	v_cmp_eq_u32_e32 vcc_lo, 1, v22
	v_add_nc_u32_e32 v69, v25, v69
	v_lshlrev_b32_e32 v29, 2, v21
	ds_store_b32 v5, v16
	ds_store_b32 v29, v17
	v_cndmask_b32_e32 v22, v20, v23, vcc_lo
	v_sub_nc_u32_e32 v23, v25, v3
	v_add_nc_u32_e32 v24, v24, v1
	v_add_co_u32 v20, vcc_lo, v72, v4
	s_delay_alu instid0(VALU_DEP_4) | instskip(SKIP_1) | instid1(VALU_DEP_4)
	v_lshlrev_b32_e32 v5, 2, v22
	v_and_b32_e32 v22, 1, v35
	v_add_nc_u32_e32 v25, v23, v24
	v_add_co_ci_u32_e32 v21, vcc_lo, 0, v73, vcc_lo
	ds_store_b32 v5, v14
	v_cmp_eq_u32_e32 vcc_lo, 1, v22
	v_sub_nc_u32_e32 v17, v28, v25
	v_sub_nc_u32_e32 v29, v69, v3
	v_add_nc_u32_e32 v67, v69, v67
	s_delay_alu instid0(VALU_DEP_3) | instskip(NEXT) | instid1(VALU_DEP_2)
	v_add_nc_u32_e32 v17, 3, v17
	v_sub_nc_u32_e32 v30, v67, v3
	s_delay_alu instid0(VALU_DEP_2) | instskip(SKIP_2) | instid1(VALU_DEP_3)
	v_cndmask_b32_e32 v17, v17, v24, vcc_lo
	v_cmp_eq_u32_e32 vcc_lo, 1, v31
	v_and_b32_e32 v24, 1, v39
	v_cndmask_b32_e32 v14, v17, v23, vcc_lo
	v_add_nc_u32_e32 v70, v71, v70
	v_and_b32_e32 v23, 1, v38
	s_delay_alu instid0(VALU_DEP_3) | instskip(NEXT) | instid1(VALU_DEP_3)
	v_lshlrev_b32_e32 v14, 2, v14
	v_add_nc_u32_e32 v68, v70, v68
	v_sub_nc_u32_e32 v16, v70, v4
	ds_store_b32 v14, v15
	v_sub_nc_u32_e32 v25, v68, v4
	v_add_nc_u32_e32 v16, v16, v1
	s_delay_alu instid0(VALU_DEP_2) | instskip(NEXT) | instid1(VALU_DEP_2)
	v_add_nc_u32_e32 v25, v25, v1
	v_add_nc_u32_e32 v32, v29, v16
	s_delay_alu instid0(VALU_DEP_2) | instskip(NEXT) | instid1(VALU_DEP_2)
	v_add_nc_u32_e32 v22, v30, v25
	v_sub_nc_u32_e32 v5, v28, v32
	s_delay_alu instid0(VALU_DEP_2) | instskip(SKIP_1) | instid1(VALU_DEP_3)
	v_sub_nc_u32_e32 v17, v28, v22
	v_and_b32_e32 v22, 1, v37
	v_add_nc_u32_e32 v5, 4, v5
	s_delay_alu instid0(VALU_DEP_3) | instskip(NEXT) | instid1(VALU_DEP_3)
	v_add_nc_u32_e32 v17, 5, v17
	v_cmp_eq_u32_e32 vcc_lo, 1, v22
	s_delay_alu instid0(VALU_DEP_3)
	v_cndmask_b32_e32 v5, v5, v16, vcc_lo
	v_cmp_eq_u32_e32 vcc_lo, 1, v24
	v_and_b32_e32 v16, 1, v41
	v_cndmask_b32_e32 v17, v17, v25, vcc_lo
	v_cmp_eq_u32_e32 vcc_lo, 1, v23
	v_cndmask_b32_e32 v5, v5, v29, vcc_lo
	s_delay_alu instid0(VALU_DEP_4) | instskip(SKIP_1) | instid1(VALU_DEP_3)
	v_cmp_eq_u32_e32 vcc_lo, 1, v16
	v_add_nc_u32_e32 v66, v68, v66
	v_dual_cndmask_b32 v16, v17, v30 :: v_dual_lshlrev_b32 v5, 2, v5
	s_delay_alu instid0(VALU_DEP_2) | instskip(SKIP_1) | instid1(VALU_DEP_3)
	v_sub_nc_u32_e32 v22, v66, v4
	v_add_nc_u32_e32 v62, v66, v62
	v_lshlrev_b32_e32 v16, 2, v16
	ds_store_b32 v5, v12
	ds_store_b32 v16, v13
	v_and_b32_e32 v12, 1, v40
	v_add_nc_u32_e32 v22, v22, v1
	v_add_nc_u32_e32 v64, v62, v64
	v_sub_nc_u32_e32 v17, v62, v4
	v_and_b32_e32 v16, 1, v43
	v_cmp_eq_u32_e32 vcc_lo, 1, v12
	v_add_nc_u32_e32 v65, v67, v65
	v_sub_nc_u32_e32 v15, v64, v4
	v_add_nc_u32_e32 v17, v17, v1
	s_delay_alu instid0(VALU_DEP_3) | instskip(NEXT) | instid1(VALU_DEP_3)
	v_sub_nc_u32_e32 v23, v65, v3
	v_add_nc_u32_e32 v15, v15, v1
	s_delay_alu instid0(VALU_DEP_2) | instskip(NEXT) | instid1(VALU_DEP_1)
	v_add_nc_u32_e32 v24, v23, v22
	v_sub_nc_u32_e32 v14, v28, v24
	v_and_b32_e32 v24, 1, v48
	s_delay_alu instid0(VALU_DEP_2) | instskip(SKIP_1) | instid1(VALU_DEP_2)
	v_add_nc_u32_e32 v13, 6, v14
	v_and_b32_e32 v14, 1, v42
	v_cndmask_b32_e32 v12, v13, v22, vcc_lo
	v_add_nc_u32_e32 v61, v65, v61
	s_delay_alu instid0(VALU_DEP_3) | instskip(SKIP_1) | instid1(VALU_DEP_3)
	v_cmp_eq_u32_e32 vcc_lo, 1, v14
	v_and_b32_e32 v22, 1, v44
	v_sub_nc_u32_e32 v25, v61, v3
	v_add_nc_u32_e32 v63, v61, v63
	v_cndmask_b32_e32 v12, v12, v23, vcc_lo
	v_cmp_eq_u32_e32 vcc_lo, 1, v16
	v_and_b32_e32 v23, 1, v46
	v_add_nc_u32_e32 v5, v25, v17
	v_sub_nc_u32_e32 v13, v63, v3
	v_lshlrev_b32_e32 v12, 2, v12
	v_add_nc_u32_e32 v59, v63, v59
	s_delay_alu instid0(VALU_DEP_4) | instskip(NEXT) | instid1(VALU_DEP_4)
	v_sub_nc_u32_e32 v5, v28, v5
	v_add_nc_u32_e32 v14, v13, v15
	s_delay_alu instid0(VALU_DEP_3) | instskip(NEXT) | instid1(VALU_DEP_3)
	v_add_nc_u32_e32 v57, v59, v57
	v_add_nc_u32_e32 v5, 7, v5
	s_delay_alu instid0(VALU_DEP_3) | instskip(NEXT) | instid1(VALU_DEP_3)
	v_sub_nc_u32_e32 v14, v28, v14
	v_add_nc_u32_e32 v55, v57, v55
	s_delay_alu instid0(VALU_DEP_3)
	v_cndmask_b32_e32 v5, v5, v17, vcc_lo
	v_cmp_eq_u32_e32 vcc_lo, 1, v22
	v_and_b32_e32 v17, 1, v45
	v_add_nc_u32_e32 v14, 8, v14
	v_sub_nc_u32_e32 v22, v59, v3
	v_add_nc_u32_e32 v53, v55, v53
	v_cndmask_b32_e32 v5, v5, v25, vcc_lo
	v_cmp_eq_u32_e32 vcc_lo, 1, v17
	v_sub_nc_u32_e32 v17, v55, v3
	v_and_b32_e32 v25, 1, v52
	s_delay_alu instid0(VALU_DEP_4)
	v_dual_cndmask_b32 v14, v14, v15 :: v_dual_lshlrev_b32 v5, 2, v5
	v_cmp_eq_u32_e32 vcc_lo, 1, v23
	v_add_nc_u32_e32 v60, v64, v60
	ds_store_b32 v12, v10
	ds_store_b32 v5, v11
	v_and_b32_e32 v11, 1, v49
	v_cndmask_b32_e32 v5, v14, v13, vcc_lo
	v_sub_nc_u32_e32 v16, v60, v4
	v_add_nc_u32_e32 v58, v60, v58
	v_and_b32_e32 v13, 1, v47
	s_delay_alu instid0(VALU_DEP_4) | instskip(NEXT) | instid1(VALU_DEP_4)
	v_lshlrev_b32_e32 v5, 2, v5
	v_add_nc_u32_e32 v16, v16, v1
	s_delay_alu instid0(VALU_DEP_4) | instskip(SKIP_2) | instid1(VALU_DEP_4)
	v_add_nc_u32_e32 v56, v58, v56
	v_sub_nc_u32_e32 v12, v58, v4
	v_cmp_eq_u32_e32 vcc_lo, 1, v13
	v_add_nc_u32_e32 v15, v22, v16
	s_delay_alu instid0(VALU_DEP_4) | instskip(NEXT) | instid1(VALU_DEP_4)
	v_sub_nc_u32_e32 v14, v56, v4
	v_add_nc_u32_e32 v12, v12, v1
	v_add_nc_u32_e32 v54, v56, v54
	s_delay_alu instid0(VALU_DEP_4) | instskip(SKIP_2) | instid1(VALU_DEP_4)
	v_sub_nc_u32_e32 v10, v28, v15
	v_sub_nc_u32_e32 v15, v57, v3
	v_add_nc_u32_e32 v14, v14, v1
	v_sub_nc_u32_e32 v23, v54, v4
	v_sub_nc_u32_e32 v3, v53, v3
	v_add_nc_u32_e32 v10, 9, v10
	v_add_nc_u32_e32 v13, v15, v12
	s_delay_alu instid0(VALU_DEP_2) | instskip(SKIP_2) | instid1(VALU_DEP_4)
	v_dual_cndmask_b32 v10, v10, v16 :: v_dual_add_nc_u32 v23, v23, v1
	v_add_nc_u32_e32 v16, v17, v14
	v_cmp_eq_u32_e32 vcc_lo, 1, v11
	v_sub_nc_u32_e32 v11, v28, v13
	v_and_b32_e32 v13, 1, v50
	s_delay_alu instid0(VALU_DEP_4) | instskip(NEXT) | instid1(VALU_DEP_3)
	v_sub_nc_u32_e32 v16, v28, v16
	v_dual_cndmask_b32 v10, v10, v22 :: v_dual_add_nc_u32 v11, 10, v11
	v_cmp_eq_u32_e32 vcc_lo, 1, v24
	v_add_nc_u32_e32 v22, v3, v23
	s_delay_alu instid0(VALU_DEP_4) | instskip(NEXT) | instid1(VALU_DEP_4)
	v_add_nc_u32_e32 v16, 11, v16
	v_dual_cndmask_b32 v11, v11, v12 :: v_dual_lshlrev_b32 v10, 2, v10
	v_cmp_eq_u32_e32 vcc_lo, 1, v25
	s_delay_alu instid0(VALU_DEP_4) | instskip(SKIP_3) | instid1(VALU_DEP_4)
	v_sub_nc_u32_e32 v22, v28, v22
	v_and_b32_e32 v12, 1, v51
	v_cndmask_b32_e32 v14, v16, v14, vcc_lo
	v_cmp_eq_u32_e32 vcc_lo, 1, v13
	v_dual_cndmask_b32 v11, v11, v15 :: v_dual_add_nc_u32 v16, 12, v22
	s_delay_alu instid0(VALU_DEP_4) | instskip(NEXT) | instid1(VALU_DEP_2)
	v_cmp_eq_u32_e32 vcc_lo, 1, v12
	v_cndmask_b32_e64 v13, v16, v23, s43
	s_delay_alu instid0(VALU_DEP_3) | instskip(NEXT) | instid1(VALU_DEP_2)
	v_dual_cndmask_b32 v12, v14, v17 :: v_dual_lshlrev_b32 v11, 2, v11
	v_cndmask_b32_e64 v3, v13, v3, s42
	s_delay_alu instid0(VALU_DEP_2)
	v_lshlrev_b32_e32 v12, 2, v12
	ds_store_b32 v5, v8
	ds_store_b32 v10, v9
	;; [unrolled: 1-line block ×4, first 2 shown]
	v_lshlrev_b32_e32 v3, 2, v3
	v_add_co_u32 v5, s0, v2, v74
	s_delay_alu instid0(VALU_DEP_1) | instskip(SKIP_4) | instid1(VALU_DEP_2)
	v_add_co_ci_u32_e64 v6, null, 0, 0, s0
	ds_store_b32 v3, v27
	v_add_co_u32 v3, vcc_lo, v5, v20
	v_add_co_ci_u32_e32 v5, vcc_lo, v6, v21, vcc_lo
	s_add_u32 s0, s34, s33
	v_add_co_u32 v3, vcc_lo, v3, v18
	s_delay_alu instid0(VALU_DEP_2) | instskip(SKIP_1) | instid1(VALU_DEP_2)
	v_add_co_ci_u32_e32 v5, vcc_lo, v5, v19, vcc_lo
	s_addc_u32 s1, s35, 0
	v_sub_co_u32 v3, vcc_lo, s0, v3
	s_delay_alu instid0(VALU_DEP_2)
	v_sub_co_ci_u32_e32 v9, vcc_lo, s1, v5, vcc_lo
	v_lshlrev_b64 v[5:6], 2, v[20:21]
	v_lshlrev_b64 v[7:8], 2, v[18:19]
	v_add_nc_u32_e32 v10, v1, v2
	s_add_u32 s1, s26, -4
	s_waitcnt lgkmcnt(0)
	s_barrier
	v_add_co_u32 v5, vcc_lo, s38, v5
	v_add_co_ci_u32_e32 v6, vcc_lo, s39, v6, vcc_lo
	v_cmp_ne_u32_e32 vcc_lo, 1, v26
	v_add_co_u32 v7, s0, s36, v7
	s_delay_alu instid0(VALU_DEP_1)
	v_add_co_ci_u32_e64 v8, s0, s37, v8, s0
	s_addc_u32 s0, s27, -1
	buffer_gl0_inv
	s_cbranch_vccz .LBB2007_133
; %bb.130:
	s_and_b32 vcc_lo, exec_lo, s2
	s_cbranch_vccnz .LBB2007_238
.LBB2007_131:
	v_cmp_eq_u32_e32 vcc_lo, 0, v0
	s_and_b32 s0, vcc_lo, s14
	s_delay_alu instid0(SALU_CYCLE_1)
	s_and_saveexec_b32 s1, s0
	s_cbranch_execnz .LBB2007_356
.LBB2007_132:
	s_nop 0
	s_sendmsg sendmsg(MSG_DEALLOC_VGPRS)
	s_endpgm
.LBB2007_133:
	s_mov_b32 s2, exec_lo
	v_cmpx_le_u32_e64 v1, v0
	s_xor_b32 s2, exec_lo, s2
	s_cbranch_execz .LBB2007_139
; %bb.134:
	s_mov_b32 s4, exec_lo
	v_cmpx_le_u32_e64 v10, v0
	s_xor_b32 s4, exec_lo, s4
	s_cbranch_execz .LBB2007_136
; %bb.135:
	v_lshlrev_b32_e32 v11, 2, v0
	ds_load_b32 v13, v11
	v_add_co_u32 v11, vcc_lo, v3, v0
	v_add_co_ci_u32_e32 v12, vcc_lo, 0, v9, vcc_lo
	s_delay_alu instid0(VALU_DEP_1) | instskip(NEXT) | instid1(VALU_DEP_1)
	v_lshlrev_b64 v[11:12], 2, v[11:12]
	v_sub_co_u32 v11, vcc_lo, s26, v11
	s_delay_alu instid0(VALU_DEP_2)
	v_sub_co_ci_u32_e32 v12, vcc_lo, s27, v12, vcc_lo
	s_waitcnt lgkmcnt(0)
	global_store_b32 v[11:12], v13, off offset:-4
.LBB2007_136:
	s_and_not1_saveexec_b32 s4, s4
	s_cbranch_execz .LBB2007_138
; %bb.137:
	v_lshlrev_b32_e32 v11, 2, v0
	v_readfirstlane_b32 s6, v5
	v_readfirstlane_b32 s7, v6
	ds_load_b32 v12, v11
	s_waitcnt lgkmcnt(0)
	global_store_b32 v11, v12, s[6:7]
.LBB2007_138:
	s_or_b32 exec_lo, exec_lo, s4
.LBB2007_139:
	s_and_not1_saveexec_b32 s2, s2
	s_cbranch_execz .LBB2007_141
; %bb.140:
	v_lshlrev_b32_e32 v11, 2, v0
	v_readfirstlane_b32 s4, v7
	v_readfirstlane_b32 s5, v8
	ds_load_b32 v12, v11
	s_waitcnt lgkmcnt(0)
	global_store_b32 v11, v12, s[4:5]
.LBB2007_141:
	s_or_b32 exec_lo, exec_lo, s2
	v_or_b32_e32 v11, 0x100, v0
	s_mov_b32 s2, exec_lo
	s_delay_alu instid0(VALU_DEP_1)
	v_cmpx_le_u32_e64 v1, v11
	s_xor_b32 s2, exec_lo, s2
	s_cbranch_execz .LBB2007_147
; %bb.142:
	s_mov_b32 s4, exec_lo
	v_cmpx_le_u32_e64 v10, v11
	s_xor_b32 s4, exec_lo, s4
	s_cbranch_execz .LBB2007_144
; %bb.143:
	v_lshlrev_b32_e32 v11, 2, v0
	ds_load_b32 v13, v11 offset:1024
	v_add_co_u32 v11, vcc_lo, v3, v0
	v_add_co_ci_u32_e32 v12, vcc_lo, 0, v9, vcc_lo
	s_delay_alu instid0(VALU_DEP_1) | instskip(NEXT) | instid1(VALU_DEP_1)
	v_lshlrev_b64 v[11:12], 2, v[11:12]
	v_sub_co_u32 v11, vcc_lo, s1, v11
	s_delay_alu instid0(VALU_DEP_2)
	v_sub_co_ci_u32_e32 v12, vcc_lo, s0, v12, vcc_lo
	s_waitcnt lgkmcnt(0)
	global_store_b32 v[11:12], v13, off offset:-1024
.LBB2007_144:
	s_and_not1_saveexec_b32 s4, s4
	s_cbranch_execz .LBB2007_146
; %bb.145:
	v_lshlrev_b32_e32 v11, 2, v0
	v_readfirstlane_b32 s6, v5
	v_readfirstlane_b32 s7, v6
	ds_load_b32 v12, v11 offset:1024
	s_waitcnt lgkmcnt(0)
	global_store_b32 v11, v12, s[6:7] offset:1024
.LBB2007_146:
	s_or_b32 exec_lo, exec_lo, s4
.LBB2007_147:
	s_and_not1_saveexec_b32 s2, s2
	s_cbranch_execz .LBB2007_149
; %bb.148:
	v_lshlrev_b32_e32 v11, 2, v0
	v_readfirstlane_b32 s4, v7
	v_readfirstlane_b32 s5, v8
	ds_load_b32 v12, v11 offset:1024
	s_waitcnt lgkmcnt(0)
	global_store_b32 v11, v12, s[4:5] offset:1024
.LBB2007_149:
	s_or_b32 exec_lo, exec_lo, s2
	v_or_b32_e32 v11, 0x200, v0
	s_mov_b32 s2, exec_lo
	s_delay_alu instid0(VALU_DEP_1)
	v_cmpx_le_u32_e64 v1, v11
	s_xor_b32 s2, exec_lo, s2
	s_cbranch_execz .LBB2007_155
; %bb.150:
	s_mov_b32 s4, exec_lo
	v_cmpx_le_u32_e64 v10, v11
	s_xor_b32 s4, exec_lo, s4
	s_cbranch_execz .LBB2007_152
; %bb.151:
	v_lshlrev_b32_e32 v11, 2, v0
	ds_load_b32 v13, v11 offset:2048
	v_add_co_u32 v11, vcc_lo, v3, v0
	v_add_co_ci_u32_e32 v12, vcc_lo, 0, v9, vcc_lo
	s_delay_alu instid0(VALU_DEP_1) | instskip(NEXT) | instid1(VALU_DEP_1)
	v_lshlrev_b64 v[11:12], 2, v[11:12]
	v_sub_co_u32 v11, vcc_lo, s1, v11
	s_delay_alu instid0(VALU_DEP_2)
	v_sub_co_ci_u32_e32 v12, vcc_lo, s0, v12, vcc_lo
	s_waitcnt lgkmcnt(0)
	global_store_b32 v[11:12], v13, off offset:-2048
.LBB2007_152:
	s_and_not1_saveexec_b32 s4, s4
	s_cbranch_execz .LBB2007_154
; %bb.153:
	v_lshlrev_b32_e32 v11, 2, v0
	v_readfirstlane_b32 s6, v5
	v_readfirstlane_b32 s7, v6
	ds_load_b32 v12, v11 offset:2048
	s_waitcnt lgkmcnt(0)
	global_store_b32 v11, v12, s[6:7] offset:2048
.LBB2007_154:
	s_or_b32 exec_lo, exec_lo, s4
.LBB2007_155:
	s_and_not1_saveexec_b32 s2, s2
	s_cbranch_execz .LBB2007_157
; %bb.156:
	v_lshlrev_b32_e32 v11, 2, v0
	v_readfirstlane_b32 s4, v7
	v_readfirstlane_b32 s5, v8
	ds_load_b32 v12, v11 offset:2048
	s_waitcnt lgkmcnt(0)
	global_store_b32 v11, v12, s[4:5] offset:2048
.LBB2007_157:
	;; [unrolled: 47-line block ×3, first 2 shown]
	s_or_b32 exec_lo, exec_lo, s2
	v_or_b32_e32 v11, 0x400, v0
	s_mov_b32 s2, exec_lo
	s_delay_alu instid0(VALU_DEP_1)
	v_cmpx_le_u32_e64 v1, v11
	s_xor_b32 s2, exec_lo, s2
	s_cbranch_execz .LBB2007_171
; %bb.166:
	s_mov_b32 s4, exec_lo
	v_cmpx_le_u32_e64 v10, v11
	s_xor_b32 s4, exec_lo, s4
	s_cbranch_execz .LBB2007_168
; %bb.167:
	v_lshlrev_b32_e32 v11, 2, v0
	ds_load_b32 v13, v11 offset:4096
	v_add_co_u32 v11, vcc_lo, v3, v0
	v_add_co_ci_u32_e32 v12, vcc_lo, 0, v9, vcc_lo
	s_delay_alu instid0(VALU_DEP_1) | instskip(NEXT) | instid1(VALU_DEP_1)
	v_lshlrev_b64 v[11:12], 2, v[11:12]
	v_sub_co_u32 v11, vcc_lo, s1, v11
	s_delay_alu instid0(VALU_DEP_2)
	v_sub_co_ci_u32_e32 v12, vcc_lo, s0, v12, vcc_lo
	s_waitcnt lgkmcnt(0)
	global_store_b32 v[11:12], v13, off offset:-4096
                                        ; implicit-def: $vgpr11
.LBB2007_168:
	s_and_not1_saveexec_b32 s4, s4
	s_cbranch_execz .LBB2007_170
; %bb.169:
	v_lshlrev_b32_e32 v12, 2, v0
	v_lshlrev_b32_e32 v11, 2, v11
	v_readfirstlane_b32 s6, v5
	v_readfirstlane_b32 s7, v6
	ds_load_b32 v12, v12 offset:4096
	s_waitcnt lgkmcnt(0)
	global_store_b32 v11, v12, s[6:7]
.LBB2007_170:
	s_or_b32 exec_lo, exec_lo, s4
                                        ; implicit-def: $vgpr11
.LBB2007_171:
	s_and_not1_saveexec_b32 s2, s2
	s_cbranch_execz .LBB2007_173
; %bb.172:
	v_lshlrev_b32_e32 v12, 2, v0
	v_lshlrev_b32_e32 v11, 2, v11
	v_readfirstlane_b32 s4, v7
	v_readfirstlane_b32 s5, v8
	ds_load_b32 v12, v12 offset:4096
	s_waitcnt lgkmcnt(0)
	global_store_b32 v11, v12, s[4:5]
.LBB2007_173:
	s_or_b32 exec_lo, exec_lo, s2
	v_or_b32_e32 v11, 0x500, v0
	s_mov_b32 s2, exec_lo
	s_delay_alu instid0(VALU_DEP_1)
	v_cmpx_le_u32_e64 v1, v11
	s_xor_b32 s2, exec_lo, s2
	s_cbranch_execz .LBB2007_179
; %bb.174:
	s_mov_b32 s4, exec_lo
	v_cmpx_le_u32_e64 v10, v11
	s_xor_b32 s4, exec_lo, s4
	s_cbranch_execz .LBB2007_176
; %bb.175:
	v_lshlrev_b32_e32 v12, 2, v0
	v_add_co_u32 v11, vcc_lo, v3, v11
	ds_load_b32 v13, v12 offset:5120
	v_add_co_ci_u32_e32 v12, vcc_lo, 0, v9, vcc_lo
	s_delay_alu instid0(VALU_DEP_1) | instskip(NEXT) | instid1(VALU_DEP_1)
	v_lshlrev_b64 v[11:12], 2, v[11:12]
	v_sub_co_u32 v11, vcc_lo, s1, v11
	s_delay_alu instid0(VALU_DEP_2)
	v_sub_co_ci_u32_e32 v12, vcc_lo, s0, v12, vcc_lo
	s_waitcnt lgkmcnt(0)
	global_store_b32 v[11:12], v13, off
                                        ; implicit-def: $vgpr11
.LBB2007_176:
	s_and_not1_saveexec_b32 s4, s4
	s_cbranch_execz .LBB2007_178
; %bb.177:
	v_lshlrev_b32_e32 v12, 2, v0
	v_lshlrev_b32_e32 v11, 2, v11
	v_readfirstlane_b32 s6, v5
	v_readfirstlane_b32 s7, v6
	ds_load_b32 v12, v12 offset:5120
	s_waitcnt lgkmcnt(0)
	global_store_b32 v11, v12, s[6:7]
.LBB2007_178:
	s_or_b32 exec_lo, exec_lo, s4
                                        ; implicit-def: $vgpr11
.LBB2007_179:
	s_and_not1_saveexec_b32 s2, s2
	s_cbranch_execz .LBB2007_181
; %bb.180:
	v_lshlrev_b32_e32 v12, 2, v0
	v_lshlrev_b32_e32 v11, 2, v11
	v_readfirstlane_b32 s4, v7
	v_readfirstlane_b32 s5, v8
	ds_load_b32 v12, v12 offset:5120
	s_waitcnt lgkmcnt(0)
	global_store_b32 v11, v12, s[4:5]
.LBB2007_181:
	s_or_b32 exec_lo, exec_lo, s2
	v_or_b32_e32 v11, 0x600, v0
	s_mov_b32 s2, exec_lo
	s_delay_alu instid0(VALU_DEP_1)
	v_cmpx_le_u32_e64 v1, v11
	s_xor_b32 s2, exec_lo, s2
	s_cbranch_execz .LBB2007_187
; %bb.182:
	s_mov_b32 s4, exec_lo
	v_cmpx_le_u32_e64 v10, v11
	s_xor_b32 s4, exec_lo, s4
	s_cbranch_execz .LBB2007_184
; %bb.183:
	v_lshlrev_b32_e32 v12, 2, v0
	v_add_co_u32 v11, vcc_lo, v3, v11
	ds_load_b32 v13, v12 offset:6144
	v_add_co_ci_u32_e32 v12, vcc_lo, 0, v9, vcc_lo
	s_delay_alu instid0(VALU_DEP_1) | instskip(NEXT) | instid1(VALU_DEP_1)
	v_lshlrev_b64 v[11:12], 2, v[11:12]
	v_sub_co_u32 v11, vcc_lo, s1, v11
	s_delay_alu instid0(VALU_DEP_2)
	v_sub_co_ci_u32_e32 v12, vcc_lo, s0, v12, vcc_lo
	s_waitcnt lgkmcnt(0)
	global_store_b32 v[11:12], v13, off
                                        ; implicit-def: $vgpr11
.LBB2007_184:
	s_and_not1_saveexec_b32 s4, s4
	s_cbranch_execz .LBB2007_186
; %bb.185:
	v_lshlrev_b32_e32 v12, 2, v0
	v_lshlrev_b32_e32 v11, 2, v11
	v_readfirstlane_b32 s6, v5
	v_readfirstlane_b32 s7, v6
	ds_load_b32 v12, v12 offset:6144
	s_waitcnt lgkmcnt(0)
	global_store_b32 v11, v12, s[6:7]
.LBB2007_186:
	s_or_b32 exec_lo, exec_lo, s4
                                        ; implicit-def: $vgpr11
.LBB2007_187:
	s_and_not1_saveexec_b32 s2, s2
	s_cbranch_execz .LBB2007_189
; %bb.188:
	v_lshlrev_b32_e32 v12, 2, v0
	v_lshlrev_b32_e32 v11, 2, v11
	v_readfirstlane_b32 s4, v7
	v_readfirstlane_b32 s5, v8
	ds_load_b32 v12, v12 offset:6144
	s_waitcnt lgkmcnt(0)
	global_store_b32 v11, v12, s[4:5]
.LBB2007_189:
	s_or_b32 exec_lo, exec_lo, s2
	v_or_b32_e32 v11, 0x700, v0
	s_mov_b32 s2, exec_lo
	s_delay_alu instid0(VALU_DEP_1)
	v_cmpx_le_u32_e64 v1, v11
	s_xor_b32 s2, exec_lo, s2
	s_cbranch_execz .LBB2007_195
; %bb.190:
	s_mov_b32 s4, exec_lo
	v_cmpx_le_u32_e64 v10, v11
	s_xor_b32 s4, exec_lo, s4
	s_cbranch_execz .LBB2007_192
; %bb.191:
	v_lshlrev_b32_e32 v12, 2, v0
	v_add_co_u32 v11, vcc_lo, v3, v11
	ds_load_b32 v13, v12 offset:7168
	v_add_co_ci_u32_e32 v12, vcc_lo, 0, v9, vcc_lo
	s_delay_alu instid0(VALU_DEP_1) | instskip(NEXT) | instid1(VALU_DEP_1)
	v_lshlrev_b64 v[11:12], 2, v[11:12]
	v_sub_co_u32 v11, vcc_lo, s1, v11
	s_delay_alu instid0(VALU_DEP_2)
	v_sub_co_ci_u32_e32 v12, vcc_lo, s0, v12, vcc_lo
	s_waitcnt lgkmcnt(0)
	global_store_b32 v[11:12], v13, off
                                        ; implicit-def: $vgpr11
.LBB2007_192:
	s_and_not1_saveexec_b32 s4, s4
	s_cbranch_execz .LBB2007_194
; %bb.193:
	v_lshlrev_b32_e32 v12, 2, v0
	v_lshlrev_b32_e32 v11, 2, v11
	v_readfirstlane_b32 s6, v5
	v_readfirstlane_b32 s7, v6
	ds_load_b32 v12, v12 offset:7168
	s_waitcnt lgkmcnt(0)
	global_store_b32 v11, v12, s[6:7]
.LBB2007_194:
	s_or_b32 exec_lo, exec_lo, s4
                                        ; implicit-def: $vgpr11
.LBB2007_195:
	s_and_not1_saveexec_b32 s2, s2
	s_cbranch_execz .LBB2007_197
; %bb.196:
	v_lshlrev_b32_e32 v12, 2, v0
	v_lshlrev_b32_e32 v11, 2, v11
	v_readfirstlane_b32 s4, v7
	v_readfirstlane_b32 s5, v8
	ds_load_b32 v12, v12 offset:7168
	s_waitcnt lgkmcnt(0)
	global_store_b32 v11, v12, s[4:5]
.LBB2007_197:
	s_or_b32 exec_lo, exec_lo, s2
	v_or_b32_e32 v11, 0x800, v0
	s_mov_b32 s2, exec_lo
	s_delay_alu instid0(VALU_DEP_1)
	v_cmpx_le_u32_e64 v1, v11
	s_xor_b32 s2, exec_lo, s2
	s_cbranch_execz .LBB2007_203
; %bb.198:
	s_mov_b32 s4, exec_lo
	v_cmpx_le_u32_e64 v10, v11
	s_xor_b32 s4, exec_lo, s4
	s_cbranch_execz .LBB2007_200
; %bb.199:
	v_lshlrev_b32_e32 v12, 2, v0
	v_add_co_u32 v11, vcc_lo, v3, v11
	ds_load_b32 v13, v12 offset:8192
	v_add_co_ci_u32_e32 v12, vcc_lo, 0, v9, vcc_lo
	s_delay_alu instid0(VALU_DEP_1) | instskip(NEXT) | instid1(VALU_DEP_1)
	v_lshlrev_b64 v[11:12], 2, v[11:12]
	v_sub_co_u32 v11, vcc_lo, s1, v11
	s_delay_alu instid0(VALU_DEP_2)
	v_sub_co_ci_u32_e32 v12, vcc_lo, s0, v12, vcc_lo
	s_waitcnt lgkmcnt(0)
	global_store_b32 v[11:12], v13, off
                                        ; implicit-def: $vgpr11
.LBB2007_200:
	s_and_not1_saveexec_b32 s4, s4
	s_cbranch_execz .LBB2007_202
; %bb.201:
	v_lshlrev_b32_e32 v12, 2, v0
	v_lshlrev_b32_e32 v11, 2, v11
	v_readfirstlane_b32 s6, v5
	v_readfirstlane_b32 s7, v6
	ds_load_b32 v12, v12 offset:8192
	s_waitcnt lgkmcnt(0)
	global_store_b32 v11, v12, s[6:7]
.LBB2007_202:
	s_or_b32 exec_lo, exec_lo, s4
                                        ; implicit-def: $vgpr11
.LBB2007_203:
	s_and_not1_saveexec_b32 s2, s2
	s_cbranch_execz .LBB2007_205
; %bb.204:
	v_lshlrev_b32_e32 v12, 2, v0
	v_lshlrev_b32_e32 v11, 2, v11
	v_readfirstlane_b32 s4, v7
	v_readfirstlane_b32 s5, v8
	ds_load_b32 v12, v12 offset:8192
	s_waitcnt lgkmcnt(0)
	global_store_b32 v11, v12, s[4:5]
.LBB2007_205:
	s_or_b32 exec_lo, exec_lo, s2
	v_or_b32_e32 v11, 0x900, v0
	s_mov_b32 s2, exec_lo
	s_delay_alu instid0(VALU_DEP_1)
	v_cmpx_le_u32_e64 v1, v11
	s_xor_b32 s2, exec_lo, s2
	s_cbranch_execz .LBB2007_211
; %bb.206:
	s_mov_b32 s4, exec_lo
	v_cmpx_le_u32_e64 v10, v11
	s_xor_b32 s4, exec_lo, s4
	s_cbranch_execz .LBB2007_208
; %bb.207:
	v_lshlrev_b32_e32 v12, 2, v0
	v_add_co_u32 v11, vcc_lo, v3, v11
	ds_load_b32 v13, v12 offset:9216
	v_add_co_ci_u32_e32 v12, vcc_lo, 0, v9, vcc_lo
	s_delay_alu instid0(VALU_DEP_1) | instskip(NEXT) | instid1(VALU_DEP_1)
	v_lshlrev_b64 v[11:12], 2, v[11:12]
	v_sub_co_u32 v11, vcc_lo, s1, v11
	s_delay_alu instid0(VALU_DEP_2)
	v_sub_co_ci_u32_e32 v12, vcc_lo, s0, v12, vcc_lo
	s_waitcnt lgkmcnt(0)
	global_store_b32 v[11:12], v13, off
                                        ; implicit-def: $vgpr11
.LBB2007_208:
	s_and_not1_saveexec_b32 s4, s4
	s_cbranch_execz .LBB2007_210
; %bb.209:
	v_lshlrev_b32_e32 v12, 2, v0
	v_lshlrev_b32_e32 v11, 2, v11
	v_readfirstlane_b32 s6, v5
	v_readfirstlane_b32 s7, v6
	ds_load_b32 v12, v12 offset:9216
	s_waitcnt lgkmcnt(0)
	global_store_b32 v11, v12, s[6:7]
.LBB2007_210:
	s_or_b32 exec_lo, exec_lo, s4
                                        ; implicit-def: $vgpr11
.LBB2007_211:
	s_and_not1_saveexec_b32 s2, s2
	s_cbranch_execz .LBB2007_213
; %bb.212:
	v_lshlrev_b32_e32 v12, 2, v0
	v_lshlrev_b32_e32 v11, 2, v11
	v_readfirstlane_b32 s4, v7
	v_readfirstlane_b32 s5, v8
	ds_load_b32 v12, v12 offset:9216
	s_waitcnt lgkmcnt(0)
	global_store_b32 v11, v12, s[4:5]
.LBB2007_213:
	s_or_b32 exec_lo, exec_lo, s2
	v_or_b32_e32 v11, 0xa00, v0
	s_mov_b32 s2, exec_lo
	s_delay_alu instid0(VALU_DEP_1)
	v_cmpx_le_u32_e64 v1, v11
	s_xor_b32 s2, exec_lo, s2
	s_cbranch_execz .LBB2007_219
; %bb.214:
	s_mov_b32 s4, exec_lo
	v_cmpx_le_u32_e64 v10, v11
	s_xor_b32 s4, exec_lo, s4
	s_cbranch_execz .LBB2007_216
; %bb.215:
	v_lshlrev_b32_e32 v12, 2, v0
	v_add_co_u32 v11, vcc_lo, v3, v11
	ds_load_b32 v13, v12 offset:10240
	v_add_co_ci_u32_e32 v12, vcc_lo, 0, v9, vcc_lo
	s_delay_alu instid0(VALU_DEP_1) | instskip(NEXT) | instid1(VALU_DEP_1)
	v_lshlrev_b64 v[11:12], 2, v[11:12]
	v_sub_co_u32 v11, vcc_lo, s1, v11
	s_delay_alu instid0(VALU_DEP_2)
	v_sub_co_ci_u32_e32 v12, vcc_lo, s0, v12, vcc_lo
	s_waitcnt lgkmcnt(0)
	global_store_b32 v[11:12], v13, off
                                        ; implicit-def: $vgpr11
.LBB2007_216:
	s_and_not1_saveexec_b32 s4, s4
	s_cbranch_execz .LBB2007_218
; %bb.217:
	v_lshlrev_b32_e32 v12, 2, v0
	v_lshlrev_b32_e32 v11, 2, v11
	v_readfirstlane_b32 s6, v5
	v_readfirstlane_b32 s7, v6
	ds_load_b32 v12, v12 offset:10240
	s_waitcnt lgkmcnt(0)
	global_store_b32 v11, v12, s[6:7]
.LBB2007_218:
	s_or_b32 exec_lo, exec_lo, s4
                                        ; implicit-def: $vgpr11
.LBB2007_219:
	s_and_not1_saveexec_b32 s2, s2
	s_cbranch_execz .LBB2007_221
; %bb.220:
	v_lshlrev_b32_e32 v12, 2, v0
	v_lshlrev_b32_e32 v11, 2, v11
	v_readfirstlane_b32 s4, v7
	v_readfirstlane_b32 s5, v8
	ds_load_b32 v12, v12 offset:10240
	s_waitcnt lgkmcnt(0)
	global_store_b32 v11, v12, s[4:5]
.LBB2007_221:
	s_or_b32 exec_lo, exec_lo, s2
	v_or_b32_e32 v11, 0xb00, v0
	s_mov_b32 s2, exec_lo
	s_delay_alu instid0(VALU_DEP_1)
	v_cmpx_le_u32_e64 v1, v11
	s_xor_b32 s2, exec_lo, s2
	s_cbranch_execz .LBB2007_227
; %bb.222:
	s_mov_b32 s4, exec_lo
	v_cmpx_le_u32_e64 v10, v11
	s_xor_b32 s4, exec_lo, s4
	s_cbranch_execz .LBB2007_224
; %bb.223:
	v_lshlrev_b32_e32 v12, 2, v0
	v_add_co_u32 v11, vcc_lo, v3, v11
	ds_load_b32 v13, v12 offset:11264
	v_add_co_ci_u32_e32 v12, vcc_lo, 0, v9, vcc_lo
	s_delay_alu instid0(VALU_DEP_1) | instskip(NEXT) | instid1(VALU_DEP_1)
	v_lshlrev_b64 v[11:12], 2, v[11:12]
	v_sub_co_u32 v11, vcc_lo, s1, v11
	s_delay_alu instid0(VALU_DEP_2)
	v_sub_co_ci_u32_e32 v12, vcc_lo, s0, v12, vcc_lo
	s_waitcnt lgkmcnt(0)
	global_store_b32 v[11:12], v13, off
                                        ; implicit-def: $vgpr11
.LBB2007_224:
	s_and_not1_saveexec_b32 s4, s4
	s_cbranch_execz .LBB2007_226
; %bb.225:
	v_lshlrev_b32_e32 v12, 2, v0
	v_lshlrev_b32_e32 v11, 2, v11
	v_readfirstlane_b32 s6, v5
	v_readfirstlane_b32 s7, v6
	ds_load_b32 v12, v12 offset:11264
	s_waitcnt lgkmcnt(0)
	global_store_b32 v11, v12, s[6:7]
.LBB2007_226:
	s_or_b32 exec_lo, exec_lo, s4
                                        ; implicit-def: $vgpr11
.LBB2007_227:
	s_and_not1_saveexec_b32 s2, s2
	s_cbranch_execz .LBB2007_229
; %bb.228:
	v_lshlrev_b32_e32 v12, 2, v0
	v_lshlrev_b32_e32 v11, 2, v11
	v_readfirstlane_b32 s4, v7
	v_readfirstlane_b32 s5, v8
	ds_load_b32 v12, v12 offset:11264
	s_waitcnt lgkmcnt(0)
	global_store_b32 v11, v12, s[4:5]
.LBB2007_229:
	s_or_b32 exec_lo, exec_lo, s2
	v_or_b32_e32 v11, 0xc00, v0
	s_mov_b32 s2, exec_lo
	s_delay_alu instid0(VALU_DEP_1)
	v_cmpx_le_u32_e64 v1, v11
	s_xor_b32 s2, exec_lo, s2
	s_cbranch_execz .LBB2007_235
; %bb.230:
	s_mov_b32 s4, exec_lo
	v_cmpx_le_u32_e64 v10, v11
	s_xor_b32 s4, exec_lo, s4
	s_cbranch_execz .LBB2007_232
; %bb.231:
	v_lshlrev_b32_e32 v12, 2, v0
	v_add_co_u32 v11, vcc_lo, v3, v11
	ds_load_b32 v13, v12 offset:12288
	v_add_co_ci_u32_e32 v12, vcc_lo, 0, v9, vcc_lo
	s_delay_alu instid0(VALU_DEP_1) | instskip(NEXT) | instid1(VALU_DEP_1)
	v_lshlrev_b64 v[11:12], 2, v[11:12]
	v_sub_co_u32 v11, vcc_lo, s1, v11
	s_delay_alu instid0(VALU_DEP_2)
	v_sub_co_ci_u32_e32 v12, vcc_lo, s0, v12, vcc_lo
	s_waitcnt lgkmcnt(0)
	global_store_b32 v[11:12], v13, off
                                        ; implicit-def: $vgpr11
.LBB2007_232:
	s_and_not1_saveexec_b32 s4, s4
	s_cbranch_execz .LBB2007_234
; %bb.233:
	v_lshlrev_b32_e32 v12, 2, v0
	v_lshlrev_b32_e32 v11, 2, v11
	v_readfirstlane_b32 s6, v5
	v_readfirstlane_b32 s7, v6
	ds_load_b32 v12, v12 offset:12288
	s_waitcnt lgkmcnt(0)
	global_store_b32 v11, v12, s[6:7]
.LBB2007_234:
	s_or_b32 exec_lo, exec_lo, s4
                                        ; implicit-def: $vgpr11
.LBB2007_235:
	s_and_not1_saveexec_b32 s2, s2
	s_cbranch_execz .LBB2007_237
; %bb.236:
	v_lshlrev_b32_e32 v12, 2, v0
	v_lshlrev_b32_e32 v11, 2, v11
	v_readfirstlane_b32 s4, v7
	v_readfirstlane_b32 s5, v8
	ds_load_b32 v12, v12 offset:12288
	s_waitcnt lgkmcnt(0)
	global_store_b32 v11, v12, s[4:5]
.LBB2007_237:
	s_or_b32 exec_lo, exec_lo, s2
	s_branch .LBB2007_131
.LBB2007_238:
	s_mov_b32 s2, exec_lo
	v_cmpx_gt_u32_e64 s3, v0
	s_cbranch_execz .LBB2007_247
; %bb.239:
	s_mov_b32 s4, exec_lo
	v_cmpx_le_u32_e64 v1, v0
	s_xor_b32 s4, exec_lo, s4
	s_cbranch_execz .LBB2007_245
; %bb.240:
	s_mov_b32 s5, exec_lo
	v_cmpx_le_u32_e64 v10, v0
	s_xor_b32 s5, exec_lo, s5
	s_cbranch_execz .LBB2007_242
; %bb.241:
	v_lshlrev_b32_e32 v11, 2, v0
	ds_load_b32 v13, v11
	v_add_co_u32 v11, vcc_lo, v3, v0
	v_add_co_ci_u32_e32 v12, vcc_lo, 0, v9, vcc_lo
	s_delay_alu instid0(VALU_DEP_1) | instskip(NEXT) | instid1(VALU_DEP_1)
	v_lshlrev_b64 v[11:12], 2, v[11:12]
	v_sub_co_u32 v11, vcc_lo, s26, v11
	s_delay_alu instid0(VALU_DEP_2)
	v_sub_co_ci_u32_e32 v12, vcc_lo, s27, v12, vcc_lo
	s_waitcnt lgkmcnt(0)
	global_store_b32 v[11:12], v13, off offset:-4
.LBB2007_242:
	s_and_not1_saveexec_b32 s5, s5
	s_cbranch_execz .LBB2007_244
; %bb.243:
	v_lshlrev_b32_e32 v11, 2, v0
	v_readfirstlane_b32 s6, v5
	v_readfirstlane_b32 s7, v6
	ds_load_b32 v12, v11
	s_waitcnt lgkmcnt(0)
	global_store_b32 v11, v12, s[6:7]
.LBB2007_244:
	s_or_b32 exec_lo, exec_lo, s5
.LBB2007_245:
	s_and_not1_saveexec_b32 s4, s4
	s_cbranch_execz .LBB2007_247
; %bb.246:
	v_lshlrev_b32_e32 v11, 2, v0
	v_readfirstlane_b32 s4, v7
	v_readfirstlane_b32 s5, v8
	ds_load_b32 v12, v11
	s_waitcnt lgkmcnt(0)
	global_store_b32 v11, v12, s[4:5]
.LBB2007_247:
	s_or_b32 exec_lo, exec_lo, s2
	v_or_b32_e32 v11, 0x100, v0
	s_mov_b32 s2, exec_lo
	s_delay_alu instid0(VALU_DEP_1)
	v_cmpx_gt_u32_e64 s3, v11
	s_cbranch_execz .LBB2007_256
; %bb.248:
	s_mov_b32 s4, exec_lo
	v_cmpx_le_u32_e64 v1, v11
	s_xor_b32 s4, exec_lo, s4
	s_cbranch_execz .LBB2007_254
; %bb.249:
	s_mov_b32 s5, exec_lo
	v_cmpx_le_u32_e64 v10, v11
	s_xor_b32 s5, exec_lo, s5
	s_cbranch_execz .LBB2007_251
; %bb.250:
	v_lshlrev_b32_e32 v11, 2, v0
	ds_load_b32 v13, v11 offset:1024
	v_add_co_u32 v11, vcc_lo, v3, v0
	v_add_co_ci_u32_e32 v12, vcc_lo, 0, v9, vcc_lo
	s_delay_alu instid0(VALU_DEP_1) | instskip(NEXT) | instid1(VALU_DEP_1)
	v_lshlrev_b64 v[11:12], 2, v[11:12]
	v_sub_co_u32 v11, vcc_lo, s1, v11
	s_delay_alu instid0(VALU_DEP_2)
	v_sub_co_ci_u32_e32 v12, vcc_lo, s0, v12, vcc_lo
	s_waitcnt lgkmcnt(0)
	global_store_b32 v[11:12], v13, off offset:-1024
.LBB2007_251:
	s_and_not1_saveexec_b32 s5, s5
	s_cbranch_execz .LBB2007_253
; %bb.252:
	v_lshlrev_b32_e32 v11, 2, v0
	v_readfirstlane_b32 s6, v5
	v_readfirstlane_b32 s7, v6
	ds_load_b32 v12, v11 offset:1024
	s_waitcnt lgkmcnt(0)
	global_store_b32 v11, v12, s[6:7] offset:1024
.LBB2007_253:
	s_or_b32 exec_lo, exec_lo, s5
.LBB2007_254:
	s_and_not1_saveexec_b32 s4, s4
	s_cbranch_execz .LBB2007_256
; %bb.255:
	v_lshlrev_b32_e32 v11, 2, v0
	v_readfirstlane_b32 s4, v7
	v_readfirstlane_b32 s5, v8
	ds_load_b32 v12, v11 offset:1024
	s_waitcnt lgkmcnt(0)
	global_store_b32 v11, v12, s[4:5] offset:1024
.LBB2007_256:
	s_or_b32 exec_lo, exec_lo, s2
	v_or_b32_e32 v11, 0x200, v0
	s_mov_b32 s2, exec_lo
	s_delay_alu instid0(VALU_DEP_1)
	v_cmpx_gt_u32_e64 s3, v11
	s_cbranch_execz .LBB2007_265
; %bb.257:
	s_mov_b32 s4, exec_lo
	v_cmpx_le_u32_e64 v1, v11
	s_xor_b32 s4, exec_lo, s4
	s_cbranch_execz .LBB2007_263
; %bb.258:
	s_mov_b32 s5, exec_lo
	v_cmpx_le_u32_e64 v10, v11
	s_xor_b32 s5, exec_lo, s5
	s_cbranch_execz .LBB2007_260
; %bb.259:
	v_lshlrev_b32_e32 v11, 2, v0
	ds_load_b32 v13, v11 offset:2048
	v_add_co_u32 v11, vcc_lo, v3, v0
	v_add_co_ci_u32_e32 v12, vcc_lo, 0, v9, vcc_lo
	s_delay_alu instid0(VALU_DEP_1) | instskip(NEXT) | instid1(VALU_DEP_1)
	v_lshlrev_b64 v[11:12], 2, v[11:12]
	v_sub_co_u32 v11, vcc_lo, s1, v11
	s_delay_alu instid0(VALU_DEP_2)
	v_sub_co_ci_u32_e32 v12, vcc_lo, s0, v12, vcc_lo
	s_waitcnt lgkmcnt(0)
	global_store_b32 v[11:12], v13, off offset:-2048
.LBB2007_260:
	s_and_not1_saveexec_b32 s5, s5
	s_cbranch_execz .LBB2007_262
; %bb.261:
	v_lshlrev_b32_e32 v11, 2, v0
	v_readfirstlane_b32 s6, v5
	v_readfirstlane_b32 s7, v6
	ds_load_b32 v12, v11 offset:2048
	s_waitcnt lgkmcnt(0)
	global_store_b32 v11, v12, s[6:7] offset:2048
.LBB2007_262:
	s_or_b32 exec_lo, exec_lo, s5
.LBB2007_263:
	s_and_not1_saveexec_b32 s4, s4
	s_cbranch_execz .LBB2007_265
; %bb.264:
	v_lshlrev_b32_e32 v11, 2, v0
	v_readfirstlane_b32 s4, v7
	v_readfirstlane_b32 s5, v8
	ds_load_b32 v12, v11 offset:2048
	s_waitcnt lgkmcnt(0)
	global_store_b32 v11, v12, s[4:5] offset:2048
.LBB2007_265:
	;; [unrolled: 51-line block ×3, first 2 shown]
	s_or_b32 exec_lo, exec_lo, s2
	v_or_b32_e32 v11, 0x400, v0
	s_mov_b32 s2, exec_lo
	s_delay_alu instid0(VALU_DEP_1)
	v_cmpx_gt_u32_e64 s3, v11
	s_cbranch_execz .LBB2007_283
; %bb.275:
	s_mov_b32 s4, exec_lo
	v_cmpx_le_u32_e64 v1, v11
	s_xor_b32 s4, exec_lo, s4
	s_cbranch_execz .LBB2007_281
; %bb.276:
	s_mov_b32 s5, exec_lo
	v_cmpx_le_u32_e64 v10, v11
	s_xor_b32 s5, exec_lo, s5
	s_cbranch_execz .LBB2007_278
; %bb.277:
	v_lshlrev_b32_e32 v11, 2, v0
	ds_load_b32 v13, v11 offset:4096
	v_add_co_u32 v11, vcc_lo, v3, v0
	v_add_co_ci_u32_e32 v12, vcc_lo, 0, v9, vcc_lo
	s_delay_alu instid0(VALU_DEP_1) | instskip(NEXT) | instid1(VALU_DEP_1)
	v_lshlrev_b64 v[11:12], 2, v[11:12]
	v_sub_co_u32 v11, vcc_lo, s1, v11
	s_delay_alu instid0(VALU_DEP_2)
	v_sub_co_ci_u32_e32 v12, vcc_lo, s0, v12, vcc_lo
	s_waitcnt lgkmcnt(0)
	global_store_b32 v[11:12], v13, off offset:-4096
                                        ; implicit-def: $vgpr11
.LBB2007_278:
	s_and_not1_saveexec_b32 s5, s5
	s_cbranch_execz .LBB2007_280
; %bb.279:
	v_lshlrev_b32_e32 v12, 2, v0
	v_lshlrev_b32_e32 v11, 2, v11
	v_readfirstlane_b32 s6, v5
	v_readfirstlane_b32 s7, v6
	ds_load_b32 v12, v12 offset:4096
	s_waitcnt lgkmcnt(0)
	global_store_b32 v11, v12, s[6:7]
.LBB2007_280:
	s_or_b32 exec_lo, exec_lo, s5
                                        ; implicit-def: $vgpr11
.LBB2007_281:
	s_and_not1_saveexec_b32 s4, s4
	s_cbranch_execz .LBB2007_283
; %bb.282:
	v_lshlrev_b32_e32 v12, 2, v0
	v_lshlrev_b32_e32 v11, 2, v11
	v_readfirstlane_b32 s4, v7
	v_readfirstlane_b32 s5, v8
	ds_load_b32 v12, v12 offset:4096
	s_waitcnt lgkmcnt(0)
	global_store_b32 v11, v12, s[4:5]
.LBB2007_283:
	s_or_b32 exec_lo, exec_lo, s2
	v_or_b32_e32 v11, 0x500, v0
	s_mov_b32 s2, exec_lo
	s_delay_alu instid0(VALU_DEP_1)
	v_cmpx_gt_u32_e64 s3, v11
	s_cbranch_execz .LBB2007_292
; %bb.284:
	s_mov_b32 s4, exec_lo
	v_cmpx_le_u32_e64 v1, v11
	s_xor_b32 s4, exec_lo, s4
	s_cbranch_execz .LBB2007_290
; %bb.285:
	s_mov_b32 s5, exec_lo
	v_cmpx_le_u32_e64 v10, v11
	s_xor_b32 s5, exec_lo, s5
	s_cbranch_execz .LBB2007_287
; %bb.286:
	v_lshlrev_b32_e32 v12, 2, v0
	v_add_co_u32 v11, vcc_lo, v3, v11
	ds_load_b32 v13, v12 offset:5120
	v_add_co_ci_u32_e32 v12, vcc_lo, 0, v9, vcc_lo
	s_delay_alu instid0(VALU_DEP_1) | instskip(NEXT) | instid1(VALU_DEP_1)
	v_lshlrev_b64 v[11:12], 2, v[11:12]
	v_sub_co_u32 v11, vcc_lo, s1, v11
	s_delay_alu instid0(VALU_DEP_2)
	v_sub_co_ci_u32_e32 v12, vcc_lo, s0, v12, vcc_lo
	s_waitcnt lgkmcnt(0)
	global_store_b32 v[11:12], v13, off
                                        ; implicit-def: $vgpr11
.LBB2007_287:
	s_and_not1_saveexec_b32 s5, s5
	s_cbranch_execz .LBB2007_289
; %bb.288:
	v_lshlrev_b32_e32 v12, 2, v0
	v_lshlrev_b32_e32 v11, 2, v11
	v_readfirstlane_b32 s6, v5
	v_readfirstlane_b32 s7, v6
	ds_load_b32 v12, v12 offset:5120
	s_waitcnt lgkmcnt(0)
	global_store_b32 v11, v12, s[6:7]
.LBB2007_289:
	s_or_b32 exec_lo, exec_lo, s5
                                        ; implicit-def: $vgpr11
.LBB2007_290:
	s_and_not1_saveexec_b32 s4, s4
	s_cbranch_execz .LBB2007_292
; %bb.291:
	v_lshlrev_b32_e32 v12, 2, v0
	v_lshlrev_b32_e32 v11, 2, v11
	v_readfirstlane_b32 s4, v7
	v_readfirstlane_b32 s5, v8
	ds_load_b32 v12, v12 offset:5120
	s_waitcnt lgkmcnt(0)
	global_store_b32 v11, v12, s[4:5]
.LBB2007_292:
	s_or_b32 exec_lo, exec_lo, s2
	v_or_b32_e32 v11, 0x600, v0
	s_mov_b32 s2, exec_lo
	s_delay_alu instid0(VALU_DEP_1)
	v_cmpx_gt_u32_e64 s3, v11
	s_cbranch_execz .LBB2007_301
; %bb.293:
	s_mov_b32 s4, exec_lo
	v_cmpx_le_u32_e64 v1, v11
	s_xor_b32 s4, exec_lo, s4
	s_cbranch_execz .LBB2007_299
; %bb.294:
	s_mov_b32 s5, exec_lo
	v_cmpx_le_u32_e64 v10, v11
	s_xor_b32 s5, exec_lo, s5
	s_cbranch_execz .LBB2007_296
; %bb.295:
	v_lshlrev_b32_e32 v12, 2, v0
	v_add_co_u32 v11, vcc_lo, v3, v11
	ds_load_b32 v13, v12 offset:6144
	v_add_co_ci_u32_e32 v12, vcc_lo, 0, v9, vcc_lo
	s_delay_alu instid0(VALU_DEP_1) | instskip(NEXT) | instid1(VALU_DEP_1)
	v_lshlrev_b64 v[11:12], 2, v[11:12]
	v_sub_co_u32 v11, vcc_lo, s1, v11
	s_delay_alu instid0(VALU_DEP_2)
	v_sub_co_ci_u32_e32 v12, vcc_lo, s0, v12, vcc_lo
	s_waitcnt lgkmcnt(0)
	global_store_b32 v[11:12], v13, off
                                        ; implicit-def: $vgpr11
.LBB2007_296:
	s_and_not1_saveexec_b32 s5, s5
	s_cbranch_execz .LBB2007_298
; %bb.297:
	v_lshlrev_b32_e32 v12, 2, v0
	v_lshlrev_b32_e32 v11, 2, v11
	v_readfirstlane_b32 s6, v5
	v_readfirstlane_b32 s7, v6
	ds_load_b32 v12, v12 offset:6144
	s_waitcnt lgkmcnt(0)
	global_store_b32 v11, v12, s[6:7]
.LBB2007_298:
	s_or_b32 exec_lo, exec_lo, s5
                                        ; implicit-def: $vgpr11
.LBB2007_299:
	s_and_not1_saveexec_b32 s4, s4
	s_cbranch_execz .LBB2007_301
; %bb.300:
	v_lshlrev_b32_e32 v12, 2, v0
	v_lshlrev_b32_e32 v11, 2, v11
	v_readfirstlane_b32 s4, v7
	v_readfirstlane_b32 s5, v8
	ds_load_b32 v12, v12 offset:6144
	s_waitcnt lgkmcnt(0)
	global_store_b32 v11, v12, s[4:5]
.LBB2007_301:
	;; [unrolled: 55-line block ×7, first 2 shown]
	s_or_b32 exec_lo, exec_lo, s2
	v_or_b32_e32 v11, 0xc00, v0
	s_mov_b32 s2, exec_lo
	s_delay_alu instid0(VALU_DEP_1)
	v_cmpx_gt_u32_e64 s3, v11
	s_cbranch_execz .LBB2007_355
; %bb.347:
	s_mov_b32 s3, exec_lo
	v_cmpx_le_u32_e64 v1, v11
	s_xor_b32 s3, exec_lo, s3
	s_cbranch_execz .LBB2007_353
; %bb.348:
	s_mov_b32 s4, exec_lo
	v_cmpx_le_u32_e64 v10, v11
	s_xor_b32 s4, exec_lo, s4
	s_cbranch_execz .LBB2007_350
; %bb.349:
	v_lshlrev_b32_e32 v5, 2, v0
	ds_load_b32 v7, v5 offset:12288
	v_add_co_u32 v5, vcc_lo, v3, v11
	v_add_co_ci_u32_e32 v6, vcc_lo, 0, v9, vcc_lo
                                        ; implicit-def: $vgpr11
	s_delay_alu instid0(VALU_DEP_1) | instskip(NEXT) | instid1(VALU_DEP_1)
	v_lshlrev_b64 v[5:6], 2, v[5:6]
	v_sub_co_u32 v5, vcc_lo, s1, v5
	s_delay_alu instid0(VALU_DEP_2)
	v_sub_co_ci_u32_e32 v6, vcc_lo, s0, v6, vcc_lo
	s_waitcnt lgkmcnt(0)
	global_store_b32 v[5:6], v7, off
                                        ; implicit-def: $vgpr5_vgpr6
.LBB2007_350:
	s_and_not1_saveexec_b32 s0, s4
	s_cbranch_execz .LBB2007_352
; %bb.351:
	v_lshlrev_b32_e32 v3, 2, v0
	v_lshlrev_b32_e32 v7, 2, v11
	v_readfirstlane_b32 s4, v5
	v_readfirstlane_b32 s5, v6
	ds_load_b32 v3, v3 offset:12288
	s_waitcnt lgkmcnt(0)
	global_store_b32 v7, v3, s[4:5]
.LBB2007_352:
	s_or_b32 exec_lo, exec_lo, s0
                                        ; implicit-def: $vgpr11
                                        ; implicit-def: $vgpr7_vgpr8
.LBB2007_353:
	s_and_not1_saveexec_b32 s0, s3
	s_cbranch_execz .LBB2007_355
; %bb.354:
	v_lshlrev_b32_e32 v3, 2, v0
	v_lshlrev_b32_e32 v5, 2, v11
	v_readfirstlane_b32 s0, v7
	v_readfirstlane_b32 s1, v8
	ds_load_b32 v3, v3 offset:12288
	s_waitcnt lgkmcnt(0)
	global_store_b32 v5, v3, s[0:1]
.LBB2007_355:
	s_or_b32 exec_lo, exec_lo, s2
	v_cmp_eq_u32_e32 vcc_lo, 0, v0
	s_and_b32 s0, vcc_lo, s14
	s_delay_alu instid0(SALU_CYCLE_1)
	s_and_saveexec_b32 s1, s0
	s_cbranch_execz .LBB2007_132
.LBB2007_356:
	v_add_co_u32 v2, s0, s30, v2
	s_delay_alu instid0(VALU_DEP_1) | instskip(SKIP_2) | instid1(VALU_DEP_4)
	v_add_co_ci_u32_e64 v3, null, s31, 0, s0
	v_add_co_u32 v0, vcc_lo, v18, v1
	v_add_co_ci_u32_e32 v1, vcc_lo, 0, v19, vcc_lo
	v_add_co_u32 v2, vcc_lo, v2, v4
	v_mov_b32_e32 v5, 0
	v_add_co_ci_u32_e32 v3, vcc_lo, 0, v3, vcc_lo
	global_store_b128 v5, v[0:3], s[24:25]
	s_nop 0
	s_sendmsg sendmsg(MSG_DEALLOC_VGPRS)
	s_endpgm
.LBB2007_357:
	v_add_nc_u32_e32 v3, s7, v23
	s_add_i32 s10, s15, 32
	s_mov_b32 s11, 0
	v_dual_mov_b32 v5, 0 :: v_dual_add_nc_u32 v2, v22, v1
	s_lshl_b64 s[10:11], s[10:11], 4
	v_and_b32_e32 v20, 0xff0000, v3
	s_add_u32 s10, s4, s10
	s_addc_u32 s11, s5, s11
	v_and_b32_e32 v4, 0xff000000, v3
	s_delay_alu instid0(VALU_DEP_1) | instskip(SKIP_2) | instid1(VALU_DEP_1)
	v_or_b32_e32 v20, v20, v4
	v_dual_mov_b32 v4, 2 :: v_dual_and_b32 v21, 0xff00, v3
	v_and_b32_e32 v3, 0xff, v3
	v_or3_b32 v3, v20, v21, v3
	v_dual_mov_b32 v21, s11 :: v_dual_mov_b32 v20, s10
	;;#ASMSTART
	global_store_dwordx4 v[20:21], v[2:5] off	
s_waitcnt vmcnt(0)
	;;#ASMEND
	s_or_b32 exec_lo, exec_lo, s8
	s_and_saveexec_b32 s8, s2
	s_cbranch_execz .LBB2007_116
.LBB2007_358:
	v_mov_b32_e32 v2, s7
	v_add_nc_u32_e64 v3, 0x3400, 0
	ds_store_2addr_b32 v3, v1, v2 offset1:2
	ds_store_2addr_b32 v3, v22, v23 offset0:4 offset1:6
	s_or_b32 exec_lo, exec_lo, s8
	v_cmp_eq_u32_e32 vcc_lo, 0, v0
	s_and_b32 exec_lo, exec_lo, vcc_lo
	s_cbranch_execnz .LBB2007_117
	s_branch .LBB2007_118
	.section	.rodata,"a",@progbits
	.p2align	6, 0x0
	.amdhsa_kernel _ZN7rocprim17ROCPRIM_400000_NS6detail17trampoline_kernelINS0_13select_configILj256ELj13ELNS0_17block_load_methodE3ELS4_3ELS4_3ELNS0_20block_scan_algorithmE0ELj4294967295EEENS1_25partition_config_selectorILNS1_17partition_subalgoE4EjNS0_10empty_typeEbEEZZNS1_14partition_implILS8_4ELb0ES6_15HIP_vector_typeIjLj2EENS0_17counting_iteratorIjlEEPS9_SG_NS0_5tupleIJPjSI_NS0_16reverse_iteratorISI_EEEEENSH_IJSG_SG_SG_EEES9_SI_JZNS1_25segmented_radix_sort_implINS0_14default_configELb0EPK12hip_bfloat16PSP_PKlPlN2at6native12_GLOBAL__N_18offset_tEEE10hipError_tPvRmT1_PNSt15iterator_traitsIS13_E10value_typeET2_T3_PNS14_IS19_E10value_typeET4_jRbjT5_S1F_jjP12ihipStream_tbEUljE_ZNSN_ISO_Lb0ESR_SS_SU_SV_SZ_EES10_S11_S12_S13_S17_S18_S19_S1C_S1D_jS1E_jS1F_S1F_jjS1H_bEUljE0_EEES10_S11_S12_S19_S1D_S1F_T6_T7_T9_mT8_S1H_bDpT10_ENKUlT_T0_E_clISt17integral_constantIbLb1EES1U_IbLb0EEEEDaS1Q_S1R_EUlS1Q_E_NS1_11comp_targetILNS1_3genE9ELNS1_11target_archE1100ELNS1_3gpuE3ELNS1_3repE0EEENS1_30default_config_static_selectorELNS0_4arch9wavefront6targetE0EEEvS13_
		.amdhsa_group_segment_fixed_size 13340
		.amdhsa_private_segment_fixed_size 0
		.amdhsa_kernarg_size 176
		.amdhsa_user_sgpr_count 15
		.amdhsa_user_sgpr_dispatch_ptr 0
		.amdhsa_user_sgpr_queue_ptr 0
		.amdhsa_user_sgpr_kernarg_segment_ptr 1
		.amdhsa_user_sgpr_dispatch_id 0
		.amdhsa_user_sgpr_private_segment_size 0
		.amdhsa_wavefront_size32 1
		.amdhsa_uses_dynamic_stack 0
		.amdhsa_enable_private_segment 0
		.amdhsa_system_sgpr_workgroup_id_x 1
		.amdhsa_system_sgpr_workgroup_id_y 0
		.amdhsa_system_sgpr_workgroup_id_z 0
		.amdhsa_system_sgpr_workgroup_info 0
		.amdhsa_system_vgpr_workitem_id 0
		.amdhsa_next_free_vgpr 98
		.amdhsa_next_free_sgpr 59
		.amdhsa_reserve_vcc 1
		.amdhsa_float_round_mode_32 0
		.amdhsa_float_round_mode_16_64 0
		.amdhsa_float_denorm_mode_32 3
		.amdhsa_float_denorm_mode_16_64 3
		.amdhsa_dx10_clamp 1
		.amdhsa_ieee_mode 1
		.amdhsa_fp16_overflow 0
		.amdhsa_workgroup_processor_mode 1
		.amdhsa_memory_ordered 1
		.amdhsa_forward_progress 0
		.amdhsa_shared_vgpr_count 0
		.amdhsa_exception_fp_ieee_invalid_op 0
		.amdhsa_exception_fp_denorm_src 0
		.amdhsa_exception_fp_ieee_div_zero 0
		.amdhsa_exception_fp_ieee_overflow 0
		.amdhsa_exception_fp_ieee_underflow 0
		.amdhsa_exception_fp_ieee_inexact 0
		.amdhsa_exception_int_div_zero 0
	.end_amdhsa_kernel
	.section	.text._ZN7rocprim17ROCPRIM_400000_NS6detail17trampoline_kernelINS0_13select_configILj256ELj13ELNS0_17block_load_methodE3ELS4_3ELS4_3ELNS0_20block_scan_algorithmE0ELj4294967295EEENS1_25partition_config_selectorILNS1_17partition_subalgoE4EjNS0_10empty_typeEbEEZZNS1_14partition_implILS8_4ELb0ES6_15HIP_vector_typeIjLj2EENS0_17counting_iteratorIjlEEPS9_SG_NS0_5tupleIJPjSI_NS0_16reverse_iteratorISI_EEEEENSH_IJSG_SG_SG_EEES9_SI_JZNS1_25segmented_radix_sort_implINS0_14default_configELb0EPK12hip_bfloat16PSP_PKlPlN2at6native12_GLOBAL__N_18offset_tEEE10hipError_tPvRmT1_PNSt15iterator_traitsIS13_E10value_typeET2_T3_PNS14_IS19_E10value_typeET4_jRbjT5_S1F_jjP12ihipStream_tbEUljE_ZNSN_ISO_Lb0ESR_SS_SU_SV_SZ_EES10_S11_S12_S13_S17_S18_S19_S1C_S1D_jS1E_jS1F_S1F_jjS1H_bEUljE0_EEES10_S11_S12_S19_S1D_S1F_T6_T7_T9_mT8_S1H_bDpT10_ENKUlT_T0_E_clISt17integral_constantIbLb1EES1U_IbLb0EEEEDaS1Q_S1R_EUlS1Q_E_NS1_11comp_targetILNS1_3genE9ELNS1_11target_archE1100ELNS1_3gpuE3ELNS1_3repE0EEENS1_30default_config_static_selectorELNS0_4arch9wavefront6targetE0EEEvS13_,"axG",@progbits,_ZN7rocprim17ROCPRIM_400000_NS6detail17trampoline_kernelINS0_13select_configILj256ELj13ELNS0_17block_load_methodE3ELS4_3ELS4_3ELNS0_20block_scan_algorithmE0ELj4294967295EEENS1_25partition_config_selectorILNS1_17partition_subalgoE4EjNS0_10empty_typeEbEEZZNS1_14partition_implILS8_4ELb0ES6_15HIP_vector_typeIjLj2EENS0_17counting_iteratorIjlEEPS9_SG_NS0_5tupleIJPjSI_NS0_16reverse_iteratorISI_EEEEENSH_IJSG_SG_SG_EEES9_SI_JZNS1_25segmented_radix_sort_implINS0_14default_configELb0EPK12hip_bfloat16PSP_PKlPlN2at6native12_GLOBAL__N_18offset_tEEE10hipError_tPvRmT1_PNSt15iterator_traitsIS13_E10value_typeET2_T3_PNS14_IS19_E10value_typeET4_jRbjT5_S1F_jjP12ihipStream_tbEUljE_ZNSN_ISO_Lb0ESR_SS_SU_SV_SZ_EES10_S11_S12_S13_S17_S18_S19_S1C_S1D_jS1E_jS1F_S1F_jjS1H_bEUljE0_EEES10_S11_S12_S19_S1D_S1F_T6_T7_T9_mT8_S1H_bDpT10_ENKUlT_T0_E_clISt17integral_constantIbLb1EES1U_IbLb0EEEEDaS1Q_S1R_EUlS1Q_E_NS1_11comp_targetILNS1_3genE9ELNS1_11target_archE1100ELNS1_3gpuE3ELNS1_3repE0EEENS1_30default_config_static_selectorELNS0_4arch9wavefront6targetE0EEEvS13_,comdat
.Lfunc_end2007:
	.size	_ZN7rocprim17ROCPRIM_400000_NS6detail17trampoline_kernelINS0_13select_configILj256ELj13ELNS0_17block_load_methodE3ELS4_3ELS4_3ELNS0_20block_scan_algorithmE0ELj4294967295EEENS1_25partition_config_selectorILNS1_17partition_subalgoE4EjNS0_10empty_typeEbEEZZNS1_14partition_implILS8_4ELb0ES6_15HIP_vector_typeIjLj2EENS0_17counting_iteratorIjlEEPS9_SG_NS0_5tupleIJPjSI_NS0_16reverse_iteratorISI_EEEEENSH_IJSG_SG_SG_EEES9_SI_JZNS1_25segmented_radix_sort_implINS0_14default_configELb0EPK12hip_bfloat16PSP_PKlPlN2at6native12_GLOBAL__N_18offset_tEEE10hipError_tPvRmT1_PNSt15iterator_traitsIS13_E10value_typeET2_T3_PNS14_IS19_E10value_typeET4_jRbjT5_S1F_jjP12ihipStream_tbEUljE_ZNSN_ISO_Lb0ESR_SS_SU_SV_SZ_EES10_S11_S12_S13_S17_S18_S19_S1C_S1D_jS1E_jS1F_S1F_jjS1H_bEUljE0_EEES10_S11_S12_S19_S1D_S1F_T6_T7_T9_mT8_S1H_bDpT10_ENKUlT_T0_E_clISt17integral_constantIbLb1EES1U_IbLb0EEEEDaS1Q_S1R_EUlS1Q_E_NS1_11comp_targetILNS1_3genE9ELNS1_11target_archE1100ELNS1_3gpuE3ELNS1_3repE0EEENS1_30default_config_static_selectorELNS0_4arch9wavefront6targetE0EEEvS13_, .Lfunc_end2007-_ZN7rocprim17ROCPRIM_400000_NS6detail17trampoline_kernelINS0_13select_configILj256ELj13ELNS0_17block_load_methodE3ELS4_3ELS4_3ELNS0_20block_scan_algorithmE0ELj4294967295EEENS1_25partition_config_selectorILNS1_17partition_subalgoE4EjNS0_10empty_typeEbEEZZNS1_14partition_implILS8_4ELb0ES6_15HIP_vector_typeIjLj2EENS0_17counting_iteratorIjlEEPS9_SG_NS0_5tupleIJPjSI_NS0_16reverse_iteratorISI_EEEEENSH_IJSG_SG_SG_EEES9_SI_JZNS1_25segmented_radix_sort_implINS0_14default_configELb0EPK12hip_bfloat16PSP_PKlPlN2at6native12_GLOBAL__N_18offset_tEEE10hipError_tPvRmT1_PNSt15iterator_traitsIS13_E10value_typeET2_T3_PNS14_IS19_E10value_typeET4_jRbjT5_S1F_jjP12ihipStream_tbEUljE_ZNSN_ISO_Lb0ESR_SS_SU_SV_SZ_EES10_S11_S12_S13_S17_S18_S19_S1C_S1D_jS1E_jS1F_S1F_jjS1H_bEUljE0_EEES10_S11_S12_S19_S1D_S1F_T6_T7_T9_mT8_S1H_bDpT10_ENKUlT_T0_E_clISt17integral_constantIbLb1EES1U_IbLb0EEEEDaS1Q_S1R_EUlS1Q_E_NS1_11comp_targetILNS1_3genE9ELNS1_11target_archE1100ELNS1_3gpuE3ELNS1_3repE0EEENS1_30default_config_static_selectorELNS0_4arch9wavefront6targetE0EEEvS13_
                                        ; -- End function
	.section	.AMDGPU.csdata,"",@progbits
; Kernel info:
; codeLenInByte = 15084
; NumSgprs: 61
; NumVgprs: 98
; ScratchSize: 0
; MemoryBound: 0
; FloatMode: 240
; IeeeMode: 1
; LDSByteSize: 13340 bytes/workgroup (compile time only)
; SGPRBlocks: 7
; VGPRBlocks: 12
; NumSGPRsForWavesPerEU: 61
; NumVGPRsForWavesPerEU: 98
; Occupancy: 12
; WaveLimiterHint : 1
; COMPUTE_PGM_RSRC2:SCRATCH_EN: 0
; COMPUTE_PGM_RSRC2:USER_SGPR: 15
; COMPUTE_PGM_RSRC2:TRAP_HANDLER: 0
; COMPUTE_PGM_RSRC2:TGID_X_EN: 1
; COMPUTE_PGM_RSRC2:TGID_Y_EN: 0
; COMPUTE_PGM_RSRC2:TGID_Z_EN: 0
; COMPUTE_PGM_RSRC2:TIDIG_COMP_CNT: 0
	.section	.text._ZN7rocprim17ROCPRIM_400000_NS6detail17trampoline_kernelINS0_13select_configILj256ELj13ELNS0_17block_load_methodE3ELS4_3ELS4_3ELNS0_20block_scan_algorithmE0ELj4294967295EEENS1_25partition_config_selectorILNS1_17partition_subalgoE4EjNS0_10empty_typeEbEEZZNS1_14partition_implILS8_4ELb0ES6_15HIP_vector_typeIjLj2EENS0_17counting_iteratorIjlEEPS9_SG_NS0_5tupleIJPjSI_NS0_16reverse_iteratorISI_EEEEENSH_IJSG_SG_SG_EEES9_SI_JZNS1_25segmented_radix_sort_implINS0_14default_configELb0EPK12hip_bfloat16PSP_PKlPlN2at6native12_GLOBAL__N_18offset_tEEE10hipError_tPvRmT1_PNSt15iterator_traitsIS13_E10value_typeET2_T3_PNS14_IS19_E10value_typeET4_jRbjT5_S1F_jjP12ihipStream_tbEUljE_ZNSN_ISO_Lb0ESR_SS_SU_SV_SZ_EES10_S11_S12_S13_S17_S18_S19_S1C_S1D_jS1E_jS1F_S1F_jjS1H_bEUljE0_EEES10_S11_S12_S19_S1D_S1F_T6_T7_T9_mT8_S1H_bDpT10_ENKUlT_T0_E_clISt17integral_constantIbLb1EES1U_IbLb0EEEEDaS1Q_S1R_EUlS1Q_E_NS1_11comp_targetILNS1_3genE8ELNS1_11target_archE1030ELNS1_3gpuE2ELNS1_3repE0EEENS1_30default_config_static_selectorELNS0_4arch9wavefront6targetE0EEEvS13_,"axG",@progbits,_ZN7rocprim17ROCPRIM_400000_NS6detail17trampoline_kernelINS0_13select_configILj256ELj13ELNS0_17block_load_methodE3ELS4_3ELS4_3ELNS0_20block_scan_algorithmE0ELj4294967295EEENS1_25partition_config_selectorILNS1_17partition_subalgoE4EjNS0_10empty_typeEbEEZZNS1_14partition_implILS8_4ELb0ES6_15HIP_vector_typeIjLj2EENS0_17counting_iteratorIjlEEPS9_SG_NS0_5tupleIJPjSI_NS0_16reverse_iteratorISI_EEEEENSH_IJSG_SG_SG_EEES9_SI_JZNS1_25segmented_radix_sort_implINS0_14default_configELb0EPK12hip_bfloat16PSP_PKlPlN2at6native12_GLOBAL__N_18offset_tEEE10hipError_tPvRmT1_PNSt15iterator_traitsIS13_E10value_typeET2_T3_PNS14_IS19_E10value_typeET4_jRbjT5_S1F_jjP12ihipStream_tbEUljE_ZNSN_ISO_Lb0ESR_SS_SU_SV_SZ_EES10_S11_S12_S13_S17_S18_S19_S1C_S1D_jS1E_jS1F_S1F_jjS1H_bEUljE0_EEES10_S11_S12_S19_S1D_S1F_T6_T7_T9_mT8_S1H_bDpT10_ENKUlT_T0_E_clISt17integral_constantIbLb1EES1U_IbLb0EEEEDaS1Q_S1R_EUlS1Q_E_NS1_11comp_targetILNS1_3genE8ELNS1_11target_archE1030ELNS1_3gpuE2ELNS1_3repE0EEENS1_30default_config_static_selectorELNS0_4arch9wavefront6targetE0EEEvS13_,comdat
	.globl	_ZN7rocprim17ROCPRIM_400000_NS6detail17trampoline_kernelINS0_13select_configILj256ELj13ELNS0_17block_load_methodE3ELS4_3ELS4_3ELNS0_20block_scan_algorithmE0ELj4294967295EEENS1_25partition_config_selectorILNS1_17partition_subalgoE4EjNS0_10empty_typeEbEEZZNS1_14partition_implILS8_4ELb0ES6_15HIP_vector_typeIjLj2EENS0_17counting_iteratorIjlEEPS9_SG_NS0_5tupleIJPjSI_NS0_16reverse_iteratorISI_EEEEENSH_IJSG_SG_SG_EEES9_SI_JZNS1_25segmented_radix_sort_implINS0_14default_configELb0EPK12hip_bfloat16PSP_PKlPlN2at6native12_GLOBAL__N_18offset_tEEE10hipError_tPvRmT1_PNSt15iterator_traitsIS13_E10value_typeET2_T3_PNS14_IS19_E10value_typeET4_jRbjT5_S1F_jjP12ihipStream_tbEUljE_ZNSN_ISO_Lb0ESR_SS_SU_SV_SZ_EES10_S11_S12_S13_S17_S18_S19_S1C_S1D_jS1E_jS1F_S1F_jjS1H_bEUljE0_EEES10_S11_S12_S19_S1D_S1F_T6_T7_T9_mT8_S1H_bDpT10_ENKUlT_T0_E_clISt17integral_constantIbLb1EES1U_IbLb0EEEEDaS1Q_S1R_EUlS1Q_E_NS1_11comp_targetILNS1_3genE8ELNS1_11target_archE1030ELNS1_3gpuE2ELNS1_3repE0EEENS1_30default_config_static_selectorELNS0_4arch9wavefront6targetE0EEEvS13_ ; -- Begin function _ZN7rocprim17ROCPRIM_400000_NS6detail17trampoline_kernelINS0_13select_configILj256ELj13ELNS0_17block_load_methodE3ELS4_3ELS4_3ELNS0_20block_scan_algorithmE0ELj4294967295EEENS1_25partition_config_selectorILNS1_17partition_subalgoE4EjNS0_10empty_typeEbEEZZNS1_14partition_implILS8_4ELb0ES6_15HIP_vector_typeIjLj2EENS0_17counting_iteratorIjlEEPS9_SG_NS0_5tupleIJPjSI_NS0_16reverse_iteratorISI_EEEEENSH_IJSG_SG_SG_EEES9_SI_JZNS1_25segmented_radix_sort_implINS0_14default_configELb0EPK12hip_bfloat16PSP_PKlPlN2at6native12_GLOBAL__N_18offset_tEEE10hipError_tPvRmT1_PNSt15iterator_traitsIS13_E10value_typeET2_T3_PNS14_IS19_E10value_typeET4_jRbjT5_S1F_jjP12ihipStream_tbEUljE_ZNSN_ISO_Lb0ESR_SS_SU_SV_SZ_EES10_S11_S12_S13_S17_S18_S19_S1C_S1D_jS1E_jS1F_S1F_jjS1H_bEUljE0_EEES10_S11_S12_S19_S1D_S1F_T6_T7_T9_mT8_S1H_bDpT10_ENKUlT_T0_E_clISt17integral_constantIbLb1EES1U_IbLb0EEEEDaS1Q_S1R_EUlS1Q_E_NS1_11comp_targetILNS1_3genE8ELNS1_11target_archE1030ELNS1_3gpuE2ELNS1_3repE0EEENS1_30default_config_static_selectorELNS0_4arch9wavefront6targetE0EEEvS13_
	.p2align	8
	.type	_ZN7rocprim17ROCPRIM_400000_NS6detail17trampoline_kernelINS0_13select_configILj256ELj13ELNS0_17block_load_methodE3ELS4_3ELS4_3ELNS0_20block_scan_algorithmE0ELj4294967295EEENS1_25partition_config_selectorILNS1_17partition_subalgoE4EjNS0_10empty_typeEbEEZZNS1_14partition_implILS8_4ELb0ES6_15HIP_vector_typeIjLj2EENS0_17counting_iteratorIjlEEPS9_SG_NS0_5tupleIJPjSI_NS0_16reverse_iteratorISI_EEEEENSH_IJSG_SG_SG_EEES9_SI_JZNS1_25segmented_radix_sort_implINS0_14default_configELb0EPK12hip_bfloat16PSP_PKlPlN2at6native12_GLOBAL__N_18offset_tEEE10hipError_tPvRmT1_PNSt15iterator_traitsIS13_E10value_typeET2_T3_PNS14_IS19_E10value_typeET4_jRbjT5_S1F_jjP12ihipStream_tbEUljE_ZNSN_ISO_Lb0ESR_SS_SU_SV_SZ_EES10_S11_S12_S13_S17_S18_S19_S1C_S1D_jS1E_jS1F_S1F_jjS1H_bEUljE0_EEES10_S11_S12_S19_S1D_S1F_T6_T7_T9_mT8_S1H_bDpT10_ENKUlT_T0_E_clISt17integral_constantIbLb1EES1U_IbLb0EEEEDaS1Q_S1R_EUlS1Q_E_NS1_11comp_targetILNS1_3genE8ELNS1_11target_archE1030ELNS1_3gpuE2ELNS1_3repE0EEENS1_30default_config_static_selectorELNS0_4arch9wavefront6targetE0EEEvS13_,@function
_ZN7rocprim17ROCPRIM_400000_NS6detail17trampoline_kernelINS0_13select_configILj256ELj13ELNS0_17block_load_methodE3ELS4_3ELS4_3ELNS0_20block_scan_algorithmE0ELj4294967295EEENS1_25partition_config_selectorILNS1_17partition_subalgoE4EjNS0_10empty_typeEbEEZZNS1_14partition_implILS8_4ELb0ES6_15HIP_vector_typeIjLj2EENS0_17counting_iteratorIjlEEPS9_SG_NS0_5tupleIJPjSI_NS0_16reverse_iteratorISI_EEEEENSH_IJSG_SG_SG_EEES9_SI_JZNS1_25segmented_radix_sort_implINS0_14default_configELb0EPK12hip_bfloat16PSP_PKlPlN2at6native12_GLOBAL__N_18offset_tEEE10hipError_tPvRmT1_PNSt15iterator_traitsIS13_E10value_typeET2_T3_PNS14_IS19_E10value_typeET4_jRbjT5_S1F_jjP12ihipStream_tbEUljE_ZNSN_ISO_Lb0ESR_SS_SU_SV_SZ_EES10_S11_S12_S13_S17_S18_S19_S1C_S1D_jS1E_jS1F_S1F_jjS1H_bEUljE0_EEES10_S11_S12_S19_S1D_S1F_T6_T7_T9_mT8_S1H_bDpT10_ENKUlT_T0_E_clISt17integral_constantIbLb1EES1U_IbLb0EEEEDaS1Q_S1R_EUlS1Q_E_NS1_11comp_targetILNS1_3genE8ELNS1_11target_archE1030ELNS1_3gpuE2ELNS1_3repE0EEENS1_30default_config_static_selectorELNS0_4arch9wavefront6targetE0EEEvS13_: ; @_ZN7rocprim17ROCPRIM_400000_NS6detail17trampoline_kernelINS0_13select_configILj256ELj13ELNS0_17block_load_methodE3ELS4_3ELS4_3ELNS0_20block_scan_algorithmE0ELj4294967295EEENS1_25partition_config_selectorILNS1_17partition_subalgoE4EjNS0_10empty_typeEbEEZZNS1_14partition_implILS8_4ELb0ES6_15HIP_vector_typeIjLj2EENS0_17counting_iteratorIjlEEPS9_SG_NS0_5tupleIJPjSI_NS0_16reverse_iteratorISI_EEEEENSH_IJSG_SG_SG_EEES9_SI_JZNS1_25segmented_radix_sort_implINS0_14default_configELb0EPK12hip_bfloat16PSP_PKlPlN2at6native12_GLOBAL__N_18offset_tEEE10hipError_tPvRmT1_PNSt15iterator_traitsIS13_E10value_typeET2_T3_PNS14_IS19_E10value_typeET4_jRbjT5_S1F_jjP12ihipStream_tbEUljE_ZNSN_ISO_Lb0ESR_SS_SU_SV_SZ_EES10_S11_S12_S13_S17_S18_S19_S1C_S1D_jS1E_jS1F_S1F_jjS1H_bEUljE0_EEES10_S11_S12_S19_S1D_S1F_T6_T7_T9_mT8_S1H_bDpT10_ENKUlT_T0_E_clISt17integral_constantIbLb1EES1U_IbLb0EEEEDaS1Q_S1R_EUlS1Q_E_NS1_11comp_targetILNS1_3genE8ELNS1_11target_archE1030ELNS1_3gpuE2ELNS1_3repE0EEENS1_30default_config_static_selectorELNS0_4arch9wavefront6targetE0EEEvS13_
; %bb.0:
	.section	.rodata,"a",@progbits
	.p2align	6, 0x0
	.amdhsa_kernel _ZN7rocprim17ROCPRIM_400000_NS6detail17trampoline_kernelINS0_13select_configILj256ELj13ELNS0_17block_load_methodE3ELS4_3ELS4_3ELNS0_20block_scan_algorithmE0ELj4294967295EEENS1_25partition_config_selectorILNS1_17partition_subalgoE4EjNS0_10empty_typeEbEEZZNS1_14partition_implILS8_4ELb0ES6_15HIP_vector_typeIjLj2EENS0_17counting_iteratorIjlEEPS9_SG_NS0_5tupleIJPjSI_NS0_16reverse_iteratorISI_EEEEENSH_IJSG_SG_SG_EEES9_SI_JZNS1_25segmented_radix_sort_implINS0_14default_configELb0EPK12hip_bfloat16PSP_PKlPlN2at6native12_GLOBAL__N_18offset_tEEE10hipError_tPvRmT1_PNSt15iterator_traitsIS13_E10value_typeET2_T3_PNS14_IS19_E10value_typeET4_jRbjT5_S1F_jjP12ihipStream_tbEUljE_ZNSN_ISO_Lb0ESR_SS_SU_SV_SZ_EES10_S11_S12_S13_S17_S18_S19_S1C_S1D_jS1E_jS1F_S1F_jjS1H_bEUljE0_EEES10_S11_S12_S19_S1D_S1F_T6_T7_T9_mT8_S1H_bDpT10_ENKUlT_T0_E_clISt17integral_constantIbLb1EES1U_IbLb0EEEEDaS1Q_S1R_EUlS1Q_E_NS1_11comp_targetILNS1_3genE8ELNS1_11target_archE1030ELNS1_3gpuE2ELNS1_3repE0EEENS1_30default_config_static_selectorELNS0_4arch9wavefront6targetE0EEEvS13_
		.amdhsa_group_segment_fixed_size 0
		.amdhsa_private_segment_fixed_size 0
		.amdhsa_kernarg_size 176
		.amdhsa_user_sgpr_count 15
		.amdhsa_user_sgpr_dispatch_ptr 0
		.amdhsa_user_sgpr_queue_ptr 0
		.amdhsa_user_sgpr_kernarg_segment_ptr 1
		.amdhsa_user_sgpr_dispatch_id 0
		.amdhsa_user_sgpr_private_segment_size 0
		.amdhsa_wavefront_size32 1
		.amdhsa_uses_dynamic_stack 0
		.amdhsa_enable_private_segment 0
		.amdhsa_system_sgpr_workgroup_id_x 1
		.amdhsa_system_sgpr_workgroup_id_y 0
		.amdhsa_system_sgpr_workgroup_id_z 0
		.amdhsa_system_sgpr_workgroup_info 0
		.amdhsa_system_vgpr_workitem_id 0
		.amdhsa_next_free_vgpr 1
		.amdhsa_next_free_sgpr 1
		.amdhsa_reserve_vcc 0
		.amdhsa_float_round_mode_32 0
		.amdhsa_float_round_mode_16_64 0
		.amdhsa_float_denorm_mode_32 3
		.amdhsa_float_denorm_mode_16_64 3
		.amdhsa_dx10_clamp 1
		.amdhsa_ieee_mode 1
		.amdhsa_fp16_overflow 0
		.amdhsa_workgroup_processor_mode 1
		.amdhsa_memory_ordered 1
		.amdhsa_forward_progress 0
		.amdhsa_shared_vgpr_count 0
		.amdhsa_exception_fp_ieee_invalid_op 0
		.amdhsa_exception_fp_denorm_src 0
		.amdhsa_exception_fp_ieee_div_zero 0
		.amdhsa_exception_fp_ieee_overflow 0
		.amdhsa_exception_fp_ieee_underflow 0
		.amdhsa_exception_fp_ieee_inexact 0
		.amdhsa_exception_int_div_zero 0
	.end_amdhsa_kernel
	.section	.text._ZN7rocprim17ROCPRIM_400000_NS6detail17trampoline_kernelINS0_13select_configILj256ELj13ELNS0_17block_load_methodE3ELS4_3ELS4_3ELNS0_20block_scan_algorithmE0ELj4294967295EEENS1_25partition_config_selectorILNS1_17partition_subalgoE4EjNS0_10empty_typeEbEEZZNS1_14partition_implILS8_4ELb0ES6_15HIP_vector_typeIjLj2EENS0_17counting_iteratorIjlEEPS9_SG_NS0_5tupleIJPjSI_NS0_16reverse_iteratorISI_EEEEENSH_IJSG_SG_SG_EEES9_SI_JZNS1_25segmented_radix_sort_implINS0_14default_configELb0EPK12hip_bfloat16PSP_PKlPlN2at6native12_GLOBAL__N_18offset_tEEE10hipError_tPvRmT1_PNSt15iterator_traitsIS13_E10value_typeET2_T3_PNS14_IS19_E10value_typeET4_jRbjT5_S1F_jjP12ihipStream_tbEUljE_ZNSN_ISO_Lb0ESR_SS_SU_SV_SZ_EES10_S11_S12_S13_S17_S18_S19_S1C_S1D_jS1E_jS1F_S1F_jjS1H_bEUljE0_EEES10_S11_S12_S19_S1D_S1F_T6_T7_T9_mT8_S1H_bDpT10_ENKUlT_T0_E_clISt17integral_constantIbLb1EES1U_IbLb0EEEEDaS1Q_S1R_EUlS1Q_E_NS1_11comp_targetILNS1_3genE8ELNS1_11target_archE1030ELNS1_3gpuE2ELNS1_3repE0EEENS1_30default_config_static_selectorELNS0_4arch9wavefront6targetE0EEEvS13_,"axG",@progbits,_ZN7rocprim17ROCPRIM_400000_NS6detail17trampoline_kernelINS0_13select_configILj256ELj13ELNS0_17block_load_methodE3ELS4_3ELS4_3ELNS0_20block_scan_algorithmE0ELj4294967295EEENS1_25partition_config_selectorILNS1_17partition_subalgoE4EjNS0_10empty_typeEbEEZZNS1_14partition_implILS8_4ELb0ES6_15HIP_vector_typeIjLj2EENS0_17counting_iteratorIjlEEPS9_SG_NS0_5tupleIJPjSI_NS0_16reverse_iteratorISI_EEEEENSH_IJSG_SG_SG_EEES9_SI_JZNS1_25segmented_radix_sort_implINS0_14default_configELb0EPK12hip_bfloat16PSP_PKlPlN2at6native12_GLOBAL__N_18offset_tEEE10hipError_tPvRmT1_PNSt15iterator_traitsIS13_E10value_typeET2_T3_PNS14_IS19_E10value_typeET4_jRbjT5_S1F_jjP12ihipStream_tbEUljE_ZNSN_ISO_Lb0ESR_SS_SU_SV_SZ_EES10_S11_S12_S13_S17_S18_S19_S1C_S1D_jS1E_jS1F_S1F_jjS1H_bEUljE0_EEES10_S11_S12_S19_S1D_S1F_T6_T7_T9_mT8_S1H_bDpT10_ENKUlT_T0_E_clISt17integral_constantIbLb1EES1U_IbLb0EEEEDaS1Q_S1R_EUlS1Q_E_NS1_11comp_targetILNS1_3genE8ELNS1_11target_archE1030ELNS1_3gpuE2ELNS1_3repE0EEENS1_30default_config_static_selectorELNS0_4arch9wavefront6targetE0EEEvS13_,comdat
.Lfunc_end2008:
	.size	_ZN7rocprim17ROCPRIM_400000_NS6detail17trampoline_kernelINS0_13select_configILj256ELj13ELNS0_17block_load_methodE3ELS4_3ELS4_3ELNS0_20block_scan_algorithmE0ELj4294967295EEENS1_25partition_config_selectorILNS1_17partition_subalgoE4EjNS0_10empty_typeEbEEZZNS1_14partition_implILS8_4ELb0ES6_15HIP_vector_typeIjLj2EENS0_17counting_iteratorIjlEEPS9_SG_NS0_5tupleIJPjSI_NS0_16reverse_iteratorISI_EEEEENSH_IJSG_SG_SG_EEES9_SI_JZNS1_25segmented_radix_sort_implINS0_14default_configELb0EPK12hip_bfloat16PSP_PKlPlN2at6native12_GLOBAL__N_18offset_tEEE10hipError_tPvRmT1_PNSt15iterator_traitsIS13_E10value_typeET2_T3_PNS14_IS19_E10value_typeET4_jRbjT5_S1F_jjP12ihipStream_tbEUljE_ZNSN_ISO_Lb0ESR_SS_SU_SV_SZ_EES10_S11_S12_S13_S17_S18_S19_S1C_S1D_jS1E_jS1F_S1F_jjS1H_bEUljE0_EEES10_S11_S12_S19_S1D_S1F_T6_T7_T9_mT8_S1H_bDpT10_ENKUlT_T0_E_clISt17integral_constantIbLb1EES1U_IbLb0EEEEDaS1Q_S1R_EUlS1Q_E_NS1_11comp_targetILNS1_3genE8ELNS1_11target_archE1030ELNS1_3gpuE2ELNS1_3repE0EEENS1_30default_config_static_selectorELNS0_4arch9wavefront6targetE0EEEvS13_, .Lfunc_end2008-_ZN7rocprim17ROCPRIM_400000_NS6detail17trampoline_kernelINS0_13select_configILj256ELj13ELNS0_17block_load_methodE3ELS4_3ELS4_3ELNS0_20block_scan_algorithmE0ELj4294967295EEENS1_25partition_config_selectorILNS1_17partition_subalgoE4EjNS0_10empty_typeEbEEZZNS1_14partition_implILS8_4ELb0ES6_15HIP_vector_typeIjLj2EENS0_17counting_iteratorIjlEEPS9_SG_NS0_5tupleIJPjSI_NS0_16reverse_iteratorISI_EEEEENSH_IJSG_SG_SG_EEES9_SI_JZNS1_25segmented_radix_sort_implINS0_14default_configELb0EPK12hip_bfloat16PSP_PKlPlN2at6native12_GLOBAL__N_18offset_tEEE10hipError_tPvRmT1_PNSt15iterator_traitsIS13_E10value_typeET2_T3_PNS14_IS19_E10value_typeET4_jRbjT5_S1F_jjP12ihipStream_tbEUljE_ZNSN_ISO_Lb0ESR_SS_SU_SV_SZ_EES10_S11_S12_S13_S17_S18_S19_S1C_S1D_jS1E_jS1F_S1F_jjS1H_bEUljE0_EEES10_S11_S12_S19_S1D_S1F_T6_T7_T9_mT8_S1H_bDpT10_ENKUlT_T0_E_clISt17integral_constantIbLb1EES1U_IbLb0EEEEDaS1Q_S1R_EUlS1Q_E_NS1_11comp_targetILNS1_3genE8ELNS1_11target_archE1030ELNS1_3gpuE2ELNS1_3repE0EEENS1_30default_config_static_selectorELNS0_4arch9wavefront6targetE0EEEvS13_
                                        ; -- End function
	.section	.AMDGPU.csdata,"",@progbits
; Kernel info:
; codeLenInByte = 0
; NumSgprs: 0
; NumVgprs: 0
; ScratchSize: 0
; MemoryBound: 0
; FloatMode: 240
; IeeeMode: 1
; LDSByteSize: 0 bytes/workgroup (compile time only)
; SGPRBlocks: 0
; VGPRBlocks: 0
; NumSGPRsForWavesPerEU: 1
; NumVGPRsForWavesPerEU: 1
; Occupancy: 16
; WaveLimiterHint : 0
; COMPUTE_PGM_RSRC2:SCRATCH_EN: 0
; COMPUTE_PGM_RSRC2:USER_SGPR: 15
; COMPUTE_PGM_RSRC2:TRAP_HANDLER: 0
; COMPUTE_PGM_RSRC2:TGID_X_EN: 1
; COMPUTE_PGM_RSRC2:TGID_Y_EN: 0
; COMPUTE_PGM_RSRC2:TGID_Z_EN: 0
; COMPUTE_PGM_RSRC2:TIDIG_COMP_CNT: 0
	.section	.text._ZN7rocprim17ROCPRIM_400000_NS6detail17trampoline_kernelINS0_13select_configILj256ELj13ELNS0_17block_load_methodE3ELS4_3ELS4_3ELNS0_20block_scan_algorithmE0ELj4294967295EEENS1_25partition_config_selectorILNS1_17partition_subalgoE4EjNS0_10empty_typeEbEEZZNS1_14partition_implILS8_4ELb0ES6_15HIP_vector_typeIjLj2EENS0_17counting_iteratorIjlEEPS9_SG_NS0_5tupleIJPjSI_NS0_16reverse_iteratorISI_EEEEENSH_IJSG_SG_SG_EEES9_SI_JZNS1_25segmented_radix_sort_implINS0_14default_configELb0EPK12hip_bfloat16PSP_PKlPlN2at6native12_GLOBAL__N_18offset_tEEE10hipError_tPvRmT1_PNSt15iterator_traitsIS13_E10value_typeET2_T3_PNS14_IS19_E10value_typeET4_jRbjT5_S1F_jjP12ihipStream_tbEUljE_ZNSN_ISO_Lb0ESR_SS_SU_SV_SZ_EES10_S11_S12_S13_S17_S18_S19_S1C_S1D_jS1E_jS1F_S1F_jjS1H_bEUljE0_EEES10_S11_S12_S19_S1D_S1F_T6_T7_T9_mT8_S1H_bDpT10_ENKUlT_T0_E_clISt17integral_constantIbLb0EES1U_IbLb1EEEEDaS1Q_S1R_EUlS1Q_E_NS1_11comp_targetILNS1_3genE0ELNS1_11target_archE4294967295ELNS1_3gpuE0ELNS1_3repE0EEENS1_30default_config_static_selectorELNS0_4arch9wavefront6targetE0EEEvS13_,"axG",@progbits,_ZN7rocprim17ROCPRIM_400000_NS6detail17trampoline_kernelINS0_13select_configILj256ELj13ELNS0_17block_load_methodE3ELS4_3ELS4_3ELNS0_20block_scan_algorithmE0ELj4294967295EEENS1_25partition_config_selectorILNS1_17partition_subalgoE4EjNS0_10empty_typeEbEEZZNS1_14partition_implILS8_4ELb0ES6_15HIP_vector_typeIjLj2EENS0_17counting_iteratorIjlEEPS9_SG_NS0_5tupleIJPjSI_NS0_16reverse_iteratorISI_EEEEENSH_IJSG_SG_SG_EEES9_SI_JZNS1_25segmented_radix_sort_implINS0_14default_configELb0EPK12hip_bfloat16PSP_PKlPlN2at6native12_GLOBAL__N_18offset_tEEE10hipError_tPvRmT1_PNSt15iterator_traitsIS13_E10value_typeET2_T3_PNS14_IS19_E10value_typeET4_jRbjT5_S1F_jjP12ihipStream_tbEUljE_ZNSN_ISO_Lb0ESR_SS_SU_SV_SZ_EES10_S11_S12_S13_S17_S18_S19_S1C_S1D_jS1E_jS1F_S1F_jjS1H_bEUljE0_EEES10_S11_S12_S19_S1D_S1F_T6_T7_T9_mT8_S1H_bDpT10_ENKUlT_T0_E_clISt17integral_constantIbLb0EES1U_IbLb1EEEEDaS1Q_S1R_EUlS1Q_E_NS1_11comp_targetILNS1_3genE0ELNS1_11target_archE4294967295ELNS1_3gpuE0ELNS1_3repE0EEENS1_30default_config_static_selectorELNS0_4arch9wavefront6targetE0EEEvS13_,comdat
	.globl	_ZN7rocprim17ROCPRIM_400000_NS6detail17trampoline_kernelINS0_13select_configILj256ELj13ELNS0_17block_load_methodE3ELS4_3ELS4_3ELNS0_20block_scan_algorithmE0ELj4294967295EEENS1_25partition_config_selectorILNS1_17partition_subalgoE4EjNS0_10empty_typeEbEEZZNS1_14partition_implILS8_4ELb0ES6_15HIP_vector_typeIjLj2EENS0_17counting_iteratorIjlEEPS9_SG_NS0_5tupleIJPjSI_NS0_16reverse_iteratorISI_EEEEENSH_IJSG_SG_SG_EEES9_SI_JZNS1_25segmented_radix_sort_implINS0_14default_configELb0EPK12hip_bfloat16PSP_PKlPlN2at6native12_GLOBAL__N_18offset_tEEE10hipError_tPvRmT1_PNSt15iterator_traitsIS13_E10value_typeET2_T3_PNS14_IS19_E10value_typeET4_jRbjT5_S1F_jjP12ihipStream_tbEUljE_ZNSN_ISO_Lb0ESR_SS_SU_SV_SZ_EES10_S11_S12_S13_S17_S18_S19_S1C_S1D_jS1E_jS1F_S1F_jjS1H_bEUljE0_EEES10_S11_S12_S19_S1D_S1F_T6_T7_T9_mT8_S1H_bDpT10_ENKUlT_T0_E_clISt17integral_constantIbLb0EES1U_IbLb1EEEEDaS1Q_S1R_EUlS1Q_E_NS1_11comp_targetILNS1_3genE0ELNS1_11target_archE4294967295ELNS1_3gpuE0ELNS1_3repE0EEENS1_30default_config_static_selectorELNS0_4arch9wavefront6targetE0EEEvS13_ ; -- Begin function _ZN7rocprim17ROCPRIM_400000_NS6detail17trampoline_kernelINS0_13select_configILj256ELj13ELNS0_17block_load_methodE3ELS4_3ELS4_3ELNS0_20block_scan_algorithmE0ELj4294967295EEENS1_25partition_config_selectorILNS1_17partition_subalgoE4EjNS0_10empty_typeEbEEZZNS1_14partition_implILS8_4ELb0ES6_15HIP_vector_typeIjLj2EENS0_17counting_iteratorIjlEEPS9_SG_NS0_5tupleIJPjSI_NS0_16reverse_iteratorISI_EEEEENSH_IJSG_SG_SG_EEES9_SI_JZNS1_25segmented_radix_sort_implINS0_14default_configELb0EPK12hip_bfloat16PSP_PKlPlN2at6native12_GLOBAL__N_18offset_tEEE10hipError_tPvRmT1_PNSt15iterator_traitsIS13_E10value_typeET2_T3_PNS14_IS19_E10value_typeET4_jRbjT5_S1F_jjP12ihipStream_tbEUljE_ZNSN_ISO_Lb0ESR_SS_SU_SV_SZ_EES10_S11_S12_S13_S17_S18_S19_S1C_S1D_jS1E_jS1F_S1F_jjS1H_bEUljE0_EEES10_S11_S12_S19_S1D_S1F_T6_T7_T9_mT8_S1H_bDpT10_ENKUlT_T0_E_clISt17integral_constantIbLb0EES1U_IbLb1EEEEDaS1Q_S1R_EUlS1Q_E_NS1_11comp_targetILNS1_3genE0ELNS1_11target_archE4294967295ELNS1_3gpuE0ELNS1_3repE0EEENS1_30default_config_static_selectorELNS0_4arch9wavefront6targetE0EEEvS13_
	.p2align	8
	.type	_ZN7rocprim17ROCPRIM_400000_NS6detail17trampoline_kernelINS0_13select_configILj256ELj13ELNS0_17block_load_methodE3ELS4_3ELS4_3ELNS0_20block_scan_algorithmE0ELj4294967295EEENS1_25partition_config_selectorILNS1_17partition_subalgoE4EjNS0_10empty_typeEbEEZZNS1_14partition_implILS8_4ELb0ES6_15HIP_vector_typeIjLj2EENS0_17counting_iteratorIjlEEPS9_SG_NS0_5tupleIJPjSI_NS0_16reverse_iteratorISI_EEEEENSH_IJSG_SG_SG_EEES9_SI_JZNS1_25segmented_radix_sort_implINS0_14default_configELb0EPK12hip_bfloat16PSP_PKlPlN2at6native12_GLOBAL__N_18offset_tEEE10hipError_tPvRmT1_PNSt15iterator_traitsIS13_E10value_typeET2_T3_PNS14_IS19_E10value_typeET4_jRbjT5_S1F_jjP12ihipStream_tbEUljE_ZNSN_ISO_Lb0ESR_SS_SU_SV_SZ_EES10_S11_S12_S13_S17_S18_S19_S1C_S1D_jS1E_jS1F_S1F_jjS1H_bEUljE0_EEES10_S11_S12_S19_S1D_S1F_T6_T7_T9_mT8_S1H_bDpT10_ENKUlT_T0_E_clISt17integral_constantIbLb0EES1U_IbLb1EEEEDaS1Q_S1R_EUlS1Q_E_NS1_11comp_targetILNS1_3genE0ELNS1_11target_archE4294967295ELNS1_3gpuE0ELNS1_3repE0EEENS1_30default_config_static_selectorELNS0_4arch9wavefront6targetE0EEEvS13_,@function
_ZN7rocprim17ROCPRIM_400000_NS6detail17trampoline_kernelINS0_13select_configILj256ELj13ELNS0_17block_load_methodE3ELS4_3ELS4_3ELNS0_20block_scan_algorithmE0ELj4294967295EEENS1_25partition_config_selectorILNS1_17partition_subalgoE4EjNS0_10empty_typeEbEEZZNS1_14partition_implILS8_4ELb0ES6_15HIP_vector_typeIjLj2EENS0_17counting_iteratorIjlEEPS9_SG_NS0_5tupleIJPjSI_NS0_16reverse_iteratorISI_EEEEENSH_IJSG_SG_SG_EEES9_SI_JZNS1_25segmented_radix_sort_implINS0_14default_configELb0EPK12hip_bfloat16PSP_PKlPlN2at6native12_GLOBAL__N_18offset_tEEE10hipError_tPvRmT1_PNSt15iterator_traitsIS13_E10value_typeET2_T3_PNS14_IS19_E10value_typeET4_jRbjT5_S1F_jjP12ihipStream_tbEUljE_ZNSN_ISO_Lb0ESR_SS_SU_SV_SZ_EES10_S11_S12_S13_S17_S18_S19_S1C_S1D_jS1E_jS1F_S1F_jjS1H_bEUljE0_EEES10_S11_S12_S19_S1D_S1F_T6_T7_T9_mT8_S1H_bDpT10_ENKUlT_T0_E_clISt17integral_constantIbLb0EES1U_IbLb1EEEEDaS1Q_S1R_EUlS1Q_E_NS1_11comp_targetILNS1_3genE0ELNS1_11target_archE4294967295ELNS1_3gpuE0ELNS1_3repE0EEENS1_30default_config_static_selectorELNS0_4arch9wavefront6targetE0EEEvS13_: ; @_ZN7rocprim17ROCPRIM_400000_NS6detail17trampoline_kernelINS0_13select_configILj256ELj13ELNS0_17block_load_methodE3ELS4_3ELS4_3ELNS0_20block_scan_algorithmE0ELj4294967295EEENS1_25partition_config_selectorILNS1_17partition_subalgoE4EjNS0_10empty_typeEbEEZZNS1_14partition_implILS8_4ELb0ES6_15HIP_vector_typeIjLj2EENS0_17counting_iteratorIjlEEPS9_SG_NS0_5tupleIJPjSI_NS0_16reverse_iteratorISI_EEEEENSH_IJSG_SG_SG_EEES9_SI_JZNS1_25segmented_radix_sort_implINS0_14default_configELb0EPK12hip_bfloat16PSP_PKlPlN2at6native12_GLOBAL__N_18offset_tEEE10hipError_tPvRmT1_PNSt15iterator_traitsIS13_E10value_typeET2_T3_PNS14_IS19_E10value_typeET4_jRbjT5_S1F_jjP12ihipStream_tbEUljE_ZNSN_ISO_Lb0ESR_SS_SU_SV_SZ_EES10_S11_S12_S13_S17_S18_S19_S1C_S1D_jS1E_jS1F_S1F_jjS1H_bEUljE0_EEES10_S11_S12_S19_S1D_S1F_T6_T7_T9_mT8_S1H_bDpT10_ENKUlT_T0_E_clISt17integral_constantIbLb0EES1U_IbLb1EEEEDaS1Q_S1R_EUlS1Q_E_NS1_11comp_targetILNS1_3genE0ELNS1_11target_archE4294967295ELNS1_3gpuE0ELNS1_3repE0EEENS1_30default_config_static_selectorELNS0_4arch9wavefront6targetE0EEEvS13_
; %bb.0:
	.section	.rodata,"a",@progbits
	.p2align	6, 0x0
	.amdhsa_kernel _ZN7rocprim17ROCPRIM_400000_NS6detail17trampoline_kernelINS0_13select_configILj256ELj13ELNS0_17block_load_methodE3ELS4_3ELS4_3ELNS0_20block_scan_algorithmE0ELj4294967295EEENS1_25partition_config_selectorILNS1_17partition_subalgoE4EjNS0_10empty_typeEbEEZZNS1_14partition_implILS8_4ELb0ES6_15HIP_vector_typeIjLj2EENS0_17counting_iteratorIjlEEPS9_SG_NS0_5tupleIJPjSI_NS0_16reverse_iteratorISI_EEEEENSH_IJSG_SG_SG_EEES9_SI_JZNS1_25segmented_radix_sort_implINS0_14default_configELb0EPK12hip_bfloat16PSP_PKlPlN2at6native12_GLOBAL__N_18offset_tEEE10hipError_tPvRmT1_PNSt15iterator_traitsIS13_E10value_typeET2_T3_PNS14_IS19_E10value_typeET4_jRbjT5_S1F_jjP12ihipStream_tbEUljE_ZNSN_ISO_Lb0ESR_SS_SU_SV_SZ_EES10_S11_S12_S13_S17_S18_S19_S1C_S1D_jS1E_jS1F_S1F_jjS1H_bEUljE0_EEES10_S11_S12_S19_S1D_S1F_T6_T7_T9_mT8_S1H_bDpT10_ENKUlT_T0_E_clISt17integral_constantIbLb0EES1U_IbLb1EEEEDaS1Q_S1R_EUlS1Q_E_NS1_11comp_targetILNS1_3genE0ELNS1_11target_archE4294967295ELNS1_3gpuE0ELNS1_3repE0EEENS1_30default_config_static_selectorELNS0_4arch9wavefront6targetE0EEEvS13_
		.amdhsa_group_segment_fixed_size 0
		.amdhsa_private_segment_fixed_size 0
		.amdhsa_kernarg_size 184
		.amdhsa_user_sgpr_count 15
		.amdhsa_user_sgpr_dispatch_ptr 0
		.amdhsa_user_sgpr_queue_ptr 0
		.amdhsa_user_sgpr_kernarg_segment_ptr 1
		.amdhsa_user_sgpr_dispatch_id 0
		.amdhsa_user_sgpr_private_segment_size 0
		.amdhsa_wavefront_size32 1
		.amdhsa_uses_dynamic_stack 0
		.amdhsa_enable_private_segment 0
		.amdhsa_system_sgpr_workgroup_id_x 1
		.amdhsa_system_sgpr_workgroup_id_y 0
		.amdhsa_system_sgpr_workgroup_id_z 0
		.amdhsa_system_sgpr_workgroup_info 0
		.amdhsa_system_vgpr_workitem_id 0
		.amdhsa_next_free_vgpr 1
		.amdhsa_next_free_sgpr 1
		.amdhsa_reserve_vcc 0
		.amdhsa_float_round_mode_32 0
		.amdhsa_float_round_mode_16_64 0
		.amdhsa_float_denorm_mode_32 3
		.amdhsa_float_denorm_mode_16_64 3
		.amdhsa_dx10_clamp 1
		.amdhsa_ieee_mode 1
		.amdhsa_fp16_overflow 0
		.amdhsa_workgroup_processor_mode 1
		.amdhsa_memory_ordered 1
		.amdhsa_forward_progress 0
		.amdhsa_shared_vgpr_count 0
		.amdhsa_exception_fp_ieee_invalid_op 0
		.amdhsa_exception_fp_denorm_src 0
		.amdhsa_exception_fp_ieee_div_zero 0
		.amdhsa_exception_fp_ieee_overflow 0
		.amdhsa_exception_fp_ieee_underflow 0
		.amdhsa_exception_fp_ieee_inexact 0
		.amdhsa_exception_int_div_zero 0
	.end_amdhsa_kernel
	.section	.text._ZN7rocprim17ROCPRIM_400000_NS6detail17trampoline_kernelINS0_13select_configILj256ELj13ELNS0_17block_load_methodE3ELS4_3ELS4_3ELNS0_20block_scan_algorithmE0ELj4294967295EEENS1_25partition_config_selectorILNS1_17partition_subalgoE4EjNS0_10empty_typeEbEEZZNS1_14partition_implILS8_4ELb0ES6_15HIP_vector_typeIjLj2EENS0_17counting_iteratorIjlEEPS9_SG_NS0_5tupleIJPjSI_NS0_16reverse_iteratorISI_EEEEENSH_IJSG_SG_SG_EEES9_SI_JZNS1_25segmented_radix_sort_implINS0_14default_configELb0EPK12hip_bfloat16PSP_PKlPlN2at6native12_GLOBAL__N_18offset_tEEE10hipError_tPvRmT1_PNSt15iterator_traitsIS13_E10value_typeET2_T3_PNS14_IS19_E10value_typeET4_jRbjT5_S1F_jjP12ihipStream_tbEUljE_ZNSN_ISO_Lb0ESR_SS_SU_SV_SZ_EES10_S11_S12_S13_S17_S18_S19_S1C_S1D_jS1E_jS1F_S1F_jjS1H_bEUljE0_EEES10_S11_S12_S19_S1D_S1F_T6_T7_T9_mT8_S1H_bDpT10_ENKUlT_T0_E_clISt17integral_constantIbLb0EES1U_IbLb1EEEEDaS1Q_S1R_EUlS1Q_E_NS1_11comp_targetILNS1_3genE0ELNS1_11target_archE4294967295ELNS1_3gpuE0ELNS1_3repE0EEENS1_30default_config_static_selectorELNS0_4arch9wavefront6targetE0EEEvS13_,"axG",@progbits,_ZN7rocprim17ROCPRIM_400000_NS6detail17trampoline_kernelINS0_13select_configILj256ELj13ELNS0_17block_load_methodE3ELS4_3ELS4_3ELNS0_20block_scan_algorithmE0ELj4294967295EEENS1_25partition_config_selectorILNS1_17partition_subalgoE4EjNS0_10empty_typeEbEEZZNS1_14partition_implILS8_4ELb0ES6_15HIP_vector_typeIjLj2EENS0_17counting_iteratorIjlEEPS9_SG_NS0_5tupleIJPjSI_NS0_16reverse_iteratorISI_EEEEENSH_IJSG_SG_SG_EEES9_SI_JZNS1_25segmented_radix_sort_implINS0_14default_configELb0EPK12hip_bfloat16PSP_PKlPlN2at6native12_GLOBAL__N_18offset_tEEE10hipError_tPvRmT1_PNSt15iterator_traitsIS13_E10value_typeET2_T3_PNS14_IS19_E10value_typeET4_jRbjT5_S1F_jjP12ihipStream_tbEUljE_ZNSN_ISO_Lb0ESR_SS_SU_SV_SZ_EES10_S11_S12_S13_S17_S18_S19_S1C_S1D_jS1E_jS1F_S1F_jjS1H_bEUljE0_EEES10_S11_S12_S19_S1D_S1F_T6_T7_T9_mT8_S1H_bDpT10_ENKUlT_T0_E_clISt17integral_constantIbLb0EES1U_IbLb1EEEEDaS1Q_S1R_EUlS1Q_E_NS1_11comp_targetILNS1_3genE0ELNS1_11target_archE4294967295ELNS1_3gpuE0ELNS1_3repE0EEENS1_30default_config_static_selectorELNS0_4arch9wavefront6targetE0EEEvS13_,comdat
.Lfunc_end2009:
	.size	_ZN7rocprim17ROCPRIM_400000_NS6detail17trampoline_kernelINS0_13select_configILj256ELj13ELNS0_17block_load_methodE3ELS4_3ELS4_3ELNS0_20block_scan_algorithmE0ELj4294967295EEENS1_25partition_config_selectorILNS1_17partition_subalgoE4EjNS0_10empty_typeEbEEZZNS1_14partition_implILS8_4ELb0ES6_15HIP_vector_typeIjLj2EENS0_17counting_iteratorIjlEEPS9_SG_NS0_5tupleIJPjSI_NS0_16reverse_iteratorISI_EEEEENSH_IJSG_SG_SG_EEES9_SI_JZNS1_25segmented_radix_sort_implINS0_14default_configELb0EPK12hip_bfloat16PSP_PKlPlN2at6native12_GLOBAL__N_18offset_tEEE10hipError_tPvRmT1_PNSt15iterator_traitsIS13_E10value_typeET2_T3_PNS14_IS19_E10value_typeET4_jRbjT5_S1F_jjP12ihipStream_tbEUljE_ZNSN_ISO_Lb0ESR_SS_SU_SV_SZ_EES10_S11_S12_S13_S17_S18_S19_S1C_S1D_jS1E_jS1F_S1F_jjS1H_bEUljE0_EEES10_S11_S12_S19_S1D_S1F_T6_T7_T9_mT8_S1H_bDpT10_ENKUlT_T0_E_clISt17integral_constantIbLb0EES1U_IbLb1EEEEDaS1Q_S1R_EUlS1Q_E_NS1_11comp_targetILNS1_3genE0ELNS1_11target_archE4294967295ELNS1_3gpuE0ELNS1_3repE0EEENS1_30default_config_static_selectorELNS0_4arch9wavefront6targetE0EEEvS13_, .Lfunc_end2009-_ZN7rocprim17ROCPRIM_400000_NS6detail17trampoline_kernelINS0_13select_configILj256ELj13ELNS0_17block_load_methodE3ELS4_3ELS4_3ELNS0_20block_scan_algorithmE0ELj4294967295EEENS1_25partition_config_selectorILNS1_17partition_subalgoE4EjNS0_10empty_typeEbEEZZNS1_14partition_implILS8_4ELb0ES6_15HIP_vector_typeIjLj2EENS0_17counting_iteratorIjlEEPS9_SG_NS0_5tupleIJPjSI_NS0_16reverse_iteratorISI_EEEEENSH_IJSG_SG_SG_EEES9_SI_JZNS1_25segmented_radix_sort_implINS0_14default_configELb0EPK12hip_bfloat16PSP_PKlPlN2at6native12_GLOBAL__N_18offset_tEEE10hipError_tPvRmT1_PNSt15iterator_traitsIS13_E10value_typeET2_T3_PNS14_IS19_E10value_typeET4_jRbjT5_S1F_jjP12ihipStream_tbEUljE_ZNSN_ISO_Lb0ESR_SS_SU_SV_SZ_EES10_S11_S12_S13_S17_S18_S19_S1C_S1D_jS1E_jS1F_S1F_jjS1H_bEUljE0_EEES10_S11_S12_S19_S1D_S1F_T6_T7_T9_mT8_S1H_bDpT10_ENKUlT_T0_E_clISt17integral_constantIbLb0EES1U_IbLb1EEEEDaS1Q_S1R_EUlS1Q_E_NS1_11comp_targetILNS1_3genE0ELNS1_11target_archE4294967295ELNS1_3gpuE0ELNS1_3repE0EEENS1_30default_config_static_selectorELNS0_4arch9wavefront6targetE0EEEvS13_
                                        ; -- End function
	.section	.AMDGPU.csdata,"",@progbits
; Kernel info:
; codeLenInByte = 0
; NumSgprs: 0
; NumVgprs: 0
; ScratchSize: 0
; MemoryBound: 0
; FloatMode: 240
; IeeeMode: 1
; LDSByteSize: 0 bytes/workgroup (compile time only)
; SGPRBlocks: 0
; VGPRBlocks: 0
; NumSGPRsForWavesPerEU: 1
; NumVGPRsForWavesPerEU: 1
; Occupancy: 16
; WaveLimiterHint : 0
; COMPUTE_PGM_RSRC2:SCRATCH_EN: 0
; COMPUTE_PGM_RSRC2:USER_SGPR: 15
; COMPUTE_PGM_RSRC2:TRAP_HANDLER: 0
; COMPUTE_PGM_RSRC2:TGID_X_EN: 1
; COMPUTE_PGM_RSRC2:TGID_Y_EN: 0
; COMPUTE_PGM_RSRC2:TGID_Z_EN: 0
; COMPUTE_PGM_RSRC2:TIDIG_COMP_CNT: 0
	.section	.text._ZN7rocprim17ROCPRIM_400000_NS6detail17trampoline_kernelINS0_13select_configILj256ELj13ELNS0_17block_load_methodE3ELS4_3ELS4_3ELNS0_20block_scan_algorithmE0ELj4294967295EEENS1_25partition_config_selectorILNS1_17partition_subalgoE4EjNS0_10empty_typeEbEEZZNS1_14partition_implILS8_4ELb0ES6_15HIP_vector_typeIjLj2EENS0_17counting_iteratorIjlEEPS9_SG_NS0_5tupleIJPjSI_NS0_16reverse_iteratorISI_EEEEENSH_IJSG_SG_SG_EEES9_SI_JZNS1_25segmented_radix_sort_implINS0_14default_configELb0EPK12hip_bfloat16PSP_PKlPlN2at6native12_GLOBAL__N_18offset_tEEE10hipError_tPvRmT1_PNSt15iterator_traitsIS13_E10value_typeET2_T3_PNS14_IS19_E10value_typeET4_jRbjT5_S1F_jjP12ihipStream_tbEUljE_ZNSN_ISO_Lb0ESR_SS_SU_SV_SZ_EES10_S11_S12_S13_S17_S18_S19_S1C_S1D_jS1E_jS1F_S1F_jjS1H_bEUljE0_EEES10_S11_S12_S19_S1D_S1F_T6_T7_T9_mT8_S1H_bDpT10_ENKUlT_T0_E_clISt17integral_constantIbLb0EES1U_IbLb1EEEEDaS1Q_S1R_EUlS1Q_E_NS1_11comp_targetILNS1_3genE5ELNS1_11target_archE942ELNS1_3gpuE9ELNS1_3repE0EEENS1_30default_config_static_selectorELNS0_4arch9wavefront6targetE0EEEvS13_,"axG",@progbits,_ZN7rocprim17ROCPRIM_400000_NS6detail17trampoline_kernelINS0_13select_configILj256ELj13ELNS0_17block_load_methodE3ELS4_3ELS4_3ELNS0_20block_scan_algorithmE0ELj4294967295EEENS1_25partition_config_selectorILNS1_17partition_subalgoE4EjNS0_10empty_typeEbEEZZNS1_14partition_implILS8_4ELb0ES6_15HIP_vector_typeIjLj2EENS0_17counting_iteratorIjlEEPS9_SG_NS0_5tupleIJPjSI_NS0_16reverse_iteratorISI_EEEEENSH_IJSG_SG_SG_EEES9_SI_JZNS1_25segmented_radix_sort_implINS0_14default_configELb0EPK12hip_bfloat16PSP_PKlPlN2at6native12_GLOBAL__N_18offset_tEEE10hipError_tPvRmT1_PNSt15iterator_traitsIS13_E10value_typeET2_T3_PNS14_IS19_E10value_typeET4_jRbjT5_S1F_jjP12ihipStream_tbEUljE_ZNSN_ISO_Lb0ESR_SS_SU_SV_SZ_EES10_S11_S12_S13_S17_S18_S19_S1C_S1D_jS1E_jS1F_S1F_jjS1H_bEUljE0_EEES10_S11_S12_S19_S1D_S1F_T6_T7_T9_mT8_S1H_bDpT10_ENKUlT_T0_E_clISt17integral_constantIbLb0EES1U_IbLb1EEEEDaS1Q_S1R_EUlS1Q_E_NS1_11comp_targetILNS1_3genE5ELNS1_11target_archE942ELNS1_3gpuE9ELNS1_3repE0EEENS1_30default_config_static_selectorELNS0_4arch9wavefront6targetE0EEEvS13_,comdat
	.globl	_ZN7rocprim17ROCPRIM_400000_NS6detail17trampoline_kernelINS0_13select_configILj256ELj13ELNS0_17block_load_methodE3ELS4_3ELS4_3ELNS0_20block_scan_algorithmE0ELj4294967295EEENS1_25partition_config_selectorILNS1_17partition_subalgoE4EjNS0_10empty_typeEbEEZZNS1_14partition_implILS8_4ELb0ES6_15HIP_vector_typeIjLj2EENS0_17counting_iteratorIjlEEPS9_SG_NS0_5tupleIJPjSI_NS0_16reverse_iteratorISI_EEEEENSH_IJSG_SG_SG_EEES9_SI_JZNS1_25segmented_radix_sort_implINS0_14default_configELb0EPK12hip_bfloat16PSP_PKlPlN2at6native12_GLOBAL__N_18offset_tEEE10hipError_tPvRmT1_PNSt15iterator_traitsIS13_E10value_typeET2_T3_PNS14_IS19_E10value_typeET4_jRbjT5_S1F_jjP12ihipStream_tbEUljE_ZNSN_ISO_Lb0ESR_SS_SU_SV_SZ_EES10_S11_S12_S13_S17_S18_S19_S1C_S1D_jS1E_jS1F_S1F_jjS1H_bEUljE0_EEES10_S11_S12_S19_S1D_S1F_T6_T7_T9_mT8_S1H_bDpT10_ENKUlT_T0_E_clISt17integral_constantIbLb0EES1U_IbLb1EEEEDaS1Q_S1R_EUlS1Q_E_NS1_11comp_targetILNS1_3genE5ELNS1_11target_archE942ELNS1_3gpuE9ELNS1_3repE0EEENS1_30default_config_static_selectorELNS0_4arch9wavefront6targetE0EEEvS13_ ; -- Begin function _ZN7rocprim17ROCPRIM_400000_NS6detail17trampoline_kernelINS0_13select_configILj256ELj13ELNS0_17block_load_methodE3ELS4_3ELS4_3ELNS0_20block_scan_algorithmE0ELj4294967295EEENS1_25partition_config_selectorILNS1_17partition_subalgoE4EjNS0_10empty_typeEbEEZZNS1_14partition_implILS8_4ELb0ES6_15HIP_vector_typeIjLj2EENS0_17counting_iteratorIjlEEPS9_SG_NS0_5tupleIJPjSI_NS0_16reverse_iteratorISI_EEEEENSH_IJSG_SG_SG_EEES9_SI_JZNS1_25segmented_radix_sort_implINS0_14default_configELb0EPK12hip_bfloat16PSP_PKlPlN2at6native12_GLOBAL__N_18offset_tEEE10hipError_tPvRmT1_PNSt15iterator_traitsIS13_E10value_typeET2_T3_PNS14_IS19_E10value_typeET4_jRbjT5_S1F_jjP12ihipStream_tbEUljE_ZNSN_ISO_Lb0ESR_SS_SU_SV_SZ_EES10_S11_S12_S13_S17_S18_S19_S1C_S1D_jS1E_jS1F_S1F_jjS1H_bEUljE0_EEES10_S11_S12_S19_S1D_S1F_T6_T7_T9_mT8_S1H_bDpT10_ENKUlT_T0_E_clISt17integral_constantIbLb0EES1U_IbLb1EEEEDaS1Q_S1R_EUlS1Q_E_NS1_11comp_targetILNS1_3genE5ELNS1_11target_archE942ELNS1_3gpuE9ELNS1_3repE0EEENS1_30default_config_static_selectorELNS0_4arch9wavefront6targetE0EEEvS13_
	.p2align	8
	.type	_ZN7rocprim17ROCPRIM_400000_NS6detail17trampoline_kernelINS0_13select_configILj256ELj13ELNS0_17block_load_methodE3ELS4_3ELS4_3ELNS0_20block_scan_algorithmE0ELj4294967295EEENS1_25partition_config_selectorILNS1_17partition_subalgoE4EjNS0_10empty_typeEbEEZZNS1_14partition_implILS8_4ELb0ES6_15HIP_vector_typeIjLj2EENS0_17counting_iteratorIjlEEPS9_SG_NS0_5tupleIJPjSI_NS0_16reverse_iteratorISI_EEEEENSH_IJSG_SG_SG_EEES9_SI_JZNS1_25segmented_radix_sort_implINS0_14default_configELb0EPK12hip_bfloat16PSP_PKlPlN2at6native12_GLOBAL__N_18offset_tEEE10hipError_tPvRmT1_PNSt15iterator_traitsIS13_E10value_typeET2_T3_PNS14_IS19_E10value_typeET4_jRbjT5_S1F_jjP12ihipStream_tbEUljE_ZNSN_ISO_Lb0ESR_SS_SU_SV_SZ_EES10_S11_S12_S13_S17_S18_S19_S1C_S1D_jS1E_jS1F_S1F_jjS1H_bEUljE0_EEES10_S11_S12_S19_S1D_S1F_T6_T7_T9_mT8_S1H_bDpT10_ENKUlT_T0_E_clISt17integral_constantIbLb0EES1U_IbLb1EEEEDaS1Q_S1R_EUlS1Q_E_NS1_11comp_targetILNS1_3genE5ELNS1_11target_archE942ELNS1_3gpuE9ELNS1_3repE0EEENS1_30default_config_static_selectorELNS0_4arch9wavefront6targetE0EEEvS13_,@function
_ZN7rocprim17ROCPRIM_400000_NS6detail17trampoline_kernelINS0_13select_configILj256ELj13ELNS0_17block_load_methodE3ELS4_3ELS4_3ELNS0_20block_scan_algorithmE0ELj4294967295EEENS1_25partition_config_selectorILNS1_17partition_subalgoE4EjNS0_10empty_typeEbEEZZNS1_14partition_implILS8_4ELb0ES6_15HIP_vector_typeIjLj2EENS0_17counting_iteratorIjlEEPS9_SG_NS0_5tupleIJPjSI_NS0_16reverse_iteratorISI_EEEEENSH_IJSG_SG_SG_EEES9_SI_JZNS1_25segmented_radix_sort_implINS0_14default_configELb0EPK12hip_bfloat16PSP_PKlPlN2at6native12_GLOBAL__N_18offset_tEEE10hipError_tPvRmT1_PNSt15iterator_traitsIS13_E10value_typeET2_T3_PNS14_IS19_E10value_typeET4_jRbjT5_S1F_jjP12ihipStream_tbEUljE_ZNSN_ISO_Lb0ESR_SS_SU_SV_SZ_EES10_S11_S12_S13_S17_S18_S19_S1C_S1D_jS1E_jS1F_S1F_jjS1H_bEUljE0_EEES10_S11_S12_S19_S1D_S1F_T6_T7_T9_mT8_S1H_bDpT10_ENKUlT_T0_E_clISt17integral_constantIbLb0EES1U_IbLb1EEEEDaS1Q_S1R_EUlS1Q_E_NS1_11comp_targetILNS1_3genE5ELNS1_11target_archE942ELNS1_3gpuE9ELNS1_3repE0EEENS1_30default_config_static_selectorELNS0_4arch9wavefront6targetE0EEEvS13_: ; @_ZN7rocprim17ROCPRIM_400000_NS6detail17trampoline_kernelINS0_13select_configILj256ELj13ELNS0_17block_load_methodE3ELS4_3ELS4_3ELNS0_20block_scan_algorithmE0ELj4294967295EEENS1_25partition_config_selectorILNS1_17partition_subalgoE4EjNS0_10empty_typeEbEEZZNS1_14partition_implILS8_4ELb0ES6_15HIP_vector_typeIjLj2EENS0_17counting_iteratorIjlEEPS9_SG_NS0_5tupleIJPjSI_NS0_16reverse_iteratorISI_EEEEENSH_IJSG_SG_SG_EEES9_SI_JZNS1_25segmented_radix_sort_implINS0_14default_configELb0EPK12hip_bfloat16PSP_PKlPlN2at6native12_GLOBAL__N_18offset_tEEE10hipError_tPvRmT1_PNSt15iterator_traitsIS13_E10value_typeET2_T3_PNS14_IS19_E10value_typeET4_jRbjT5_S1F_jjP12ihipStream_tbEUljE_ZNSN_ISO_Lb0ESR_SS_SU_SV_SZ_EES10_S11_S12_S13_S17_S18_S19_S1C_S1D_jS1E_jS1F_S1F_jjS1H_bEUljE0_EEES10_S11_S12_S19_S1D_S1F_T6_T7_T9_mT8_S1H_bDpT10_ENKUlT_T0_E_clISt17integral_constantIbLb0EES1U_IbLb1EEEEDaS1Q_S1R_EUlS1Q_E_NS1_11comp_targetILNS1_3genE5ELNS1_11target_archE942ELNS1_3gpuE9ELNS1_3repE0EEENS1_30default_config_static_selectorELNS0_4arch9wavefront6targetE0EEEvS13_
; %bb.0:
	.section	.rodata,"a",@progbits
	.p2align	6, 0x0
	.amdhsa_kernel _ZN7rocprim17ROCPRIM_400000_NS6detail17trampoline_kernelINS0_13select_configILj256ELj13ELNS0_17block_load_methodE3ELS4_3ELS4_3ELNS0_20block_scan_algorithmE0ELj4294967295EEENS1_25partition_config_selectorILNS1_17partition_subalgoE4EjNS0_10empty_typeEbEEZZNS1_14partition_implILS8_4ELb0ES6_15HIP_vector_typeIjLj2EENS0_17counting_iteratorIjlEEPS9_SG_NS0_5tupleIJPjSI_NS0_16reverse_iteratorISI_EEEEENSH_IJSG_SG_SG_EEES9_SI_JZNS1_25segmented_radix_sort_implINS0_14default_configELb0EPK12hip_bfloat16PSP_PKlPlN2at6native12_GLOBAL__N_18offset_tEEE10hipError_tPvRmT1_PNSt15iterator_traitsIS13_E10value_typeET2_T3_PNS14_IS19_E10value_typeET4_jRbjT5_S1F_jjP12ihipStream_tbEUljE_ZNSN_ISO_Lb0ESR_SS_SU_SV_SZ_EES10_S11_S12_S13_S17_S18_S19_S1C_S1D_jS1E_jS1F_S1F_jjS1H_bEUljE0_EEES10_S11_S12_S19_S1D_S1F_T6_T7_T9_mT8_S1H_bDpT10_ENKUlT_T0_E_clISt17integral_constantIbLb0EES1U_IbLb1EEEEDaS1Q_S1R_EUlS1Q_E_NS1_11comp_targetILNS1_3genE5ELNS1_11target_archE942ELNS1_3gpuE9ELNS1_3repE0EEENS1_30default_config_static_selectorELNS0_4arch9wavefront6targetE0EEEvS13_
		.amdhsa_group_segment_fixed_size 0
		.amdhsa_private_segment_fixed_size 0
		.amdhsa_kernarg_size 184
		.amdhsa_user_sgpr_count 15
		.amdhsa_user_sgpr_dispatch_ptr 0
		.amdhsa_user_sgpr_queue_ptr 0
		.amdhsa_user_sgpr_kernarg_segment_ptr 1
		.amdhsa_user_sgpr_dispatch_id 0
		.amdhsa_user_sgpr_private_segment_size 0
		.amdhsa_wavefront_size32 1
		.amdhsa_uses_dynamic_stack 0
		.amdhsa_enable_private_segment 0
		.amdhsa_system_sgpr_workgroup_id_x 1
		.amdhsa_system_sgpr_workgroup_id_y 0
		.amdhsa_system_sgpr_workgroup_id_z 0
		.amdhsa_system_sgpr_workgroup_info 0
		.amdhsa_system_vgpr_workitem_id 0
		.amdhsa_next_free_vgpr 1
		.amdhsa_next_free_sgpr 1
		.amdhsa_reserve_vcc 0
		.amdhsa_float_round_mode_32 0
		.amdhsa_float_round_mode_16_64 0
		.amdhsa_float_denorm_mode_32 3
		.amdhsa_float_denorm_mode_16_64 3
		.amdhsa_dx10_clamp 1
		.amdhsa_ieee_mode 1
		.amdhsa_fp16_overflow 0
		.amdhsa_workgroup_processor_mode 1
		.amdhsa_memory_ordered 1
		.amdhsa_forward_progress 0
		.amdhsa_shared_vgpr_count 0
		.amdhsa_exception_fp_ieee_invalid_op 0
		.amdhsa_exception_fp_denorm_src 0
		.amdhsa_exception_fp_ieee_div_zero 0
		.amdhsa_exception_fp_ieee_overflow 0
		.amdhsa_exception_fp_ieee_underflow 0
		.amdhsa_exception_fp_ieee_inexact 0
		.amdhsa_exception_int_div_zero 0
	.end_amdhsa_kernel
	.section	.text._ZN7rocprim17ROCPRIM_400000_NS6detail17trampoline_kernelINS0_13select_configILj256ELj13ELNS0_17block_load_methodE3ELS4_3ELS4_3ELNS0_20block_scan_algorithmE0ELj4294967295EEENS1_25partition_config_selectorILNS1_17partition_subalgoE4EjNS0_10empty_typeEbEEZZNS1_14partition_implILS8_4ELb0ES6_15HIP_vector_typeIjLj2EENS0_17counting_iteratorIjlEEPS9_SG_NS0_5tupleIJPjSI_NS0_16reverse_iteratorISI_EEEEENSH_IJSG_SG_SG_EEES9_SI_JZNS1_25segmented_radix_sort_implINS0_14default_configELb0EPK12hip_bfloat16PSP_PKlPlN2at6native12_GLOBAL__N_18offset_tEEE10hipError_tPvRmT1_PNSt15iterator_traitsIS13_E10value_typeET2_T3_PNS14_IS19_E10value_typeET4_jRbjT5_S1F_jjP12ihipStream_tbEUljE_ZNSN_ISO_Lb0ESR_SS_SU_SV_SZ_EES10_S11_S12_S13_S17_S18_S19_S1C_S1D_jS1E_jS1F_S1F_jjS1H_bEUljE0_EEES10_S11_S12_S19_S1D_S1F_T6_T7_T9_mT8_S1H_bDpT10_ENKUlT_T0_E_clISt17integral_constantIbLb0EES1U_IbLb1EEEEDaS1Q_S1R_EUlS1Q_E_NS1_11comp_targetILNS1_3genE5ELNS1_11target_archE942ELNS1_3gpuE9ELNS1_3repE0EEENS1_30default_config_static_selectorELNS0_4arch9wavefront6targetE0EEEvS13_,"axG",@progbits,_ZN7rocprim17ROCPRIM_400000_NS6detail17trampoline_kernelINS0_13select_configILj256ELj13ELNS0_17block_load_methodE3ELS4_3ELS4_3ELNS0_20block_scan_algorithmE0ELj4294967295EEENS1_25partition_config_selectorILNS1_17partition_subalgoE4EjNS0_10empty_typeEbEEZZNS1_14partition_implILS8_4ELb0ES6_15HIP_vector_typeIjLj2EENS0_17counting_iteratorIjlEEPS9_SG_NS0_5tupleIJPjSI_NS0_16reverse_iteratorISI_EEEEENSH_IJSG_SG_SG_EEES9_SI_JZNS1_25segmented_radix_sort_implINS0_14default_configELb0EPK12hip_bfloat16PSP_PKlPlN2at6native12_GLOBAL__N_18offset_tEEE10hipError_tPvRmT1_PNSt15iterator_traitsIS13_E10value_typeET2_T3_PNS14_IS19_E10value_typeET4_jRbjT5_S1F_jjP12ihipStream_tbEUljE_ZNSN_ISO_Lb0ESR_SS_SU_SV_SZ_EES10_S11_S12_S13_S17_S18_S19_S1C_S1D_jS1E_jS1F_S1F_jjS1H_bEUljE0_EEES10_S11_S12_S19_S1D_S1F_T6_T7_T9_mT8_S1H_bDpT10_ENKUlT_T0_E_clISt17integral_constantIbLb0EES1U_IbLb1EEEEDaS1Q_S1R_EUlS1Q_E_NS1_11comp_targetILNS1_3genE5ELNS1_11target_archE942ELNS1_3gpuE9ELNS1_3repE0EEENS1_30default_config_static_selectorELNS0_4arch9wavefront6targetE0EEEvS13_,comdat
.Lfunc_end2010:
	.size	_ZN7rocprim17ROCPRIM_400000_NS6detail17trampoline_kernelINS0_13select_configILj256ELj13ELNS0_17block_load_methodE3ELS4_3ELS4_3ELNS0_20block_scan_algorithmE0ELj4294967295EEENS1_25partition_config_selectorILNS1_17partition_subalgoE4EjNS0_10empty_typeEbEEZZNS1_14partition_implILS8_4ELb0ES6_15HIP_vector_typeIjLj2EENS0_17counting_iteratorIjlEEPS9_SG_NS0_5tupleIJPjSI_NS0_16reverse_iteratorISI_EEEEENSH_IJSG_SG_SG_EEES9_SI_JZNS1_25segmented_radix_sort_implINS0_14default_configELb0EPK12hip_bfloat16PSP_PKlPlN2at6native12_GLOBAL__N_18offset_tEEE10hipError_tPvRmT1_PNSt15iterator_traitsIS13_E10value_typeET2_T3_PNS14_IS19_E10value_typeET4_jRbjT5_S1F_jjP12ihipStream_tbEUljE_ZNSN_ISO_Lb0ESR_SS_SU_SV_SZ_EES10_S11_S12_S13_S17_S18_S19_S1C_S1D_jS1E_jS1F_S1F_jjS1H_bEUljE0_EEES10_S11_S12_S19_S1D_S1F_T6_T7_T9_mT8_S1H_bDpT10_ENKUlT_T0_E_clISt17integral_constantIbLb0EES1U_IbLb1EEEEDaS1Q_S1R_EUlS1Q_E_NS1_11comp_targetILNS1_3genE5ELNS1_11target_archE942ELNS1_3gpuE9ELNS1_3repE0EEENS1_30default_config_static_selectorELNS0_4arch9wavefront6targetE0EEEvS13_, .Lfunc_end2010-_ZN7rocprim17ROCPRIM_400000_NS6detail17trampoline_kernelINS0_13select_configILj256ELj13ELNS0_17block_load_methodE3ELS4_3ELS4_3ELNS0_20block_scan_algorithmE0ELj4294967295EEENS1_25partition_config_selectorILNS1_17partition_subalgoE4EjNS0_10empty_typeEbEEZZNS1_14partition_implILS8_4ELb0ES6_15HIP_vector_typeIjLj2EENS0_17counting_iteratorIjlEEPS9_SG_NS0_5tupleIJPjSI_NS0_16reverse_iteratorISI_EEEEENSH_IJSG_SG_SG_EEES9_SI_JZNS1_25segmented_radix_sort_implINS0_14default_configELb0EPK12hip_bfloat16PSP_PKlPlN2at6native12_GLOBAL__N_18offset_tEEE10hipError_tPvRmT1_PNSt15iterator_traitsIS13_E10value_typeET2_T3_PNS14_IS19_E10value_typeET4_jRbjT5_S1F_jjP12ihipStream_tbEUljE_ZNSN_ISO_Lb0ESR_SS_SU_SV_SZ_EES10_S11_S12_S13_S17_S18_S19_S1C_S1D_jS1E_jS1F_S1F_jjS1H_bEUljE0_EEES10_S11_S12_S19_S1D_S1F_T6_T7_T9_mT8_S1H_bDpT10_ENKUlT_T0_E_clISt17integral_constantIbLb0EES1U_IbLb1EEEEDaS1Q_S1R_EUlS1Q_E_NS1_11comp_targetILNS1_3genE5ELNS1_11target_archE942ELNS1_3gpuE9ELNS1_3repE0EEENS1_30default_config_static_selectorELNS0_4arch9wavefront6targetE0EEEvS13_
                                        ; -- End function
	.section	.AMDGPU.csdata,"",@progbits
; Kernel info:
; codeLenInByte = 0
; NumSgprs: 0
; NumVgprs: 0
; ScratchSize: 0
; MemoryBound: 0
; FloatMode: 240
; IeeeMode: 1
; LDSByteSize: 0 bytes/workgroup (compile time only)
; SGPRBlocks: 0
; VGPRBlocks: 0
; NumSGPRsForWavesPerEU: 1
; NumVGPRsForWavesPerEU: 1
; Occupancy: 16
; WaveLimiterHint : 0
; COMPUTE_PGM_RSRC2:SCRATCH_EN: 0
; COMPUTE_PGM_RSRC2:USER_SGPR: 15
; COMPUTE_PGM_RSRC2:TRAP_HANDLER: 0
; COMPUTE_PGM_RSRC2:TGID_X_EN: 1
; COMPUTE_PGM_RSRC2:TGID_Y_EN: 0
; COMPUTE_PGM_RSRC2:TGID_Z_EN: 0
; COMPUTE_PGM_RSRC2:TIDIG_COMP_CNT: 0
	.section	.text._ZN7rocprim17ROCPRIM_400000_NS6detail17trampoline_kernelINS0_13select_configILj256ELj13ELNS0_17block_load_methodE3ELS4_3ELS4_3ELNS0_20block_scan_algorithmE0ELj4294967295EEENS1_25partition_config_selectorILNS1_17partition_subalgoE4EjNS0_10empty_typeEbEEZZNS1_14partition_implILS8_4ELb0ES6_15HIP_vector_typeIjLj2EENS0_17counting_iteratorIjlEEPS9_SG_NS0_5tupleIJPjSI_NS0_16reverse_iteratorISI_EEEEENSH_IJSG_SG_SG_EEES9_SI_JZNS1_25segmented_radix_sort_implINS0_14default_configELb0EPK12hip_bfloat16PSP_PKlPlN2at6native12_GLOBAL__N_18offset_tEEE10hipError_tPvRmT1_PNSt15iterator_traitsIS13_E10value_typeET2_T3_PNS14_IS19_E10value_typeET4_jRbjT5_S1F_jjP12ihipStream_tbEUljE_ZNSN_ISO_Lb0ESR_SS_SU_SV_SZ_EES10_S11_S12_S13_S17_S18_S19_S1C_S1D_jS1E_jS1F_S1F_jjS1H_bEUljE0_EEES10_S11_S12_S19_S1D_S1F_T6_T7_T9_mT8_S1H_bDpT10_ENKUlT_T0_E_clISt17integral_constantIbLb0EES1U_IbLb1EEEEDaS1Q_S1R_EUlS1Q_E_NS1_11comp_targetILNS1_3genE4ELNS1_11target_archE910ELNS1_3gpuE8ELNS1_3repE0EEENS1_30default_config_static_selectorELNS0_4arch9wavefront6targetE0EEEvS13_,"axG",@progbits,_ZN7rocprim17ROCPRIM_400000_NS6detail17trampoline_kernelINS0_13select_configILj256ELj13ELNS0_17block_load_methodE3ELS4_3ELS4_3ELNS0_20block_scan_algorithmE0ELj4294967295EEENS1_25partition_config_selectorILNS1_17partition_subalgoE4EjNS0_10empty_typeEbEEZZNS1_14partition_implILS8_4ELb0ES6_15HIP_vector_typeIjLj2EENS0_17counting_iteratorIjlEEPS9_SG_NS0_5tupleIJPjSI_NS0_16reverse_iteratorISI_EEEEENSH_IJSG_SG_SG_EEES9_SI_JZNS1_25segmented_radix_sort_implINS0_14default_configELb0EPK12hip_bfloat16PSP_PKlPlN2at6native12_GLOBAL__N_18offset_tEEE10hipError_tPvRmT1_PNSt15iterator_traitsIS13_E10value_typeET2_T3_PNS14_IS19_E10value_typeET4_jRbjT5_S1F_jjP12ihipStream_tbEUljE_ZNSN_ISO_Lb0ESR_SS_SU_SV_SZ_EES10_S11_S12_S13_S17_S18_S19_S1C_S1D_jS1E_jS1F_S1F_jjS1H_bEUljE0_EEES10_S11_S12_S19_S1D_S1F_T6_T7_T9_mT8_S1H_bDpT10_ENKUlT_T0_E_clISt17integral_constantIbLb0EES1U_IbLb1EEEEDaS1Q_S1R_EUlS1Q_E_NS1_11comp_targetILNS1_3genE4ELNS1_11target_archE910ELNS1_3gpuE8ELNS1_3repE0EEENS1_30default_config_static_selectorELNS0_4arch9wavefront6targetE0EEEvS13_,comdat
	.globl	_ZN7rocprim17ROCPRIM_400000_NS6detail17trampoline_kernelINS0_13select_configILj256ELj13ELNS0_17block_load_methodE3ELS4_3ELS4_3ELNS0_20block_scan_algorithmE0ELj4294967295EEENS1_25partition_config_selectorILNS1_17partition_subalgoE4EjNS0_10empty_typeEbEEZZNS1_14partition_implILS8_4ELb0ES6_15HIP_vector_typeIjLj2EENS0_17counting_iteratorIjlEEPS9_SG_NS0_5tupleIJPjSI_NS0_16reverse_iteratorISI_EEEEENSH_IJSG_SG_SG_EEES9_SI_JZNS1_25segmented_radix_sort_implINS0_14default_configELb0EPK12hip_bfloat16PSP_PKlPlN2at6native12_GLOBAL__N_18offset_tEEE10hipError_tPvRmT1_PNSt15iterator_traitsIS13_E10value_typeET2_T3_PNS14_IS19_E10value_typeET4_jRbjT5_S1F_jjP12ihipStream_tbEUljE_ZNSN_ISO_Lb0ESR_SS_SU_SV_SZ_EES10_S11_S12_S13_S17_S18_S19_S1C_S1D_jS1E_jS1F_S1F_jjS1H_bEUljE0_EEES10_S11_S12_S19_S1D_S1F_T6_T7_T9_mT8_S1H_bDpT10_ENKUlT_T0_E_clISt17integral_constantIbLb0EES1U_IbLb1EEEEDaS1Q_S1R_EUlS1Q_E_NS1_11comp_targetILNS1_3genE4ELNS1_11target_archE910ELNS1_3gpuE8ELNS1_3repE0EEENS1_30default_config_static_selectorELNS0_4arch9wavefront6targetE0EEEvS13_ ; -- Begin function _ZN7rocprim17ROCPRIM_400000_NS6detail17trampoline_kernelINS0_13select_configILj256ELj13ELNS0_17block_load_methodE3ELS4_3ELS4_3ELNS0_20block_scan_algorithmE0ELj4294967295EEENS1_25partition_config_selectorILNS1_17partition_subalgoE4EjNS0_10empty_typeEbEEZZNS1_14partition_implILS8_4ELb0ES6_15HIP_vector_typeIjLj2EENS0_17counting_iteratorIjlEEPS9_SG_NS0_5tupleIJPjSI_NS0_16reverse_iteratorISI_EEEEENSH_IJSG_SG_SG_EEES9_SI_JZNS1_25segmented_radix_sort_implINS0_14default_configELb0EPK12hip_bfloat16PSP_PKlPlN2at6native12_GLOBAL__N_18offset_tEEE10hipError_tPvRmT1_PNSt15iterator_traitsIS13_E10value_typeET2_T3_PNS14_IS19_E10value_typeET4_jRbjT5_S1F_jjP12ihipStream_tbEUljE_ZNSN_ISO_Lb0ESR_SS_SU_SV_SZ_EES10_S11_S12_S13_S17_S18_S19_S1C_S1D_jS1E_jS1F_S1F_jjS1H_bEUljE0_EEES10_S11_S12_S19_S1D_S1F_T6_T7_T9_mT8_S1H_bDpT10_ENKUlT_T0_E_clISt17integral_constantIbLb0EES1U_IbLb1EEEEDaS1Q_S1R_EUlS1Q_E_NS1_11comp_targetILNS1_3genE4ELNS1_11target_archE910ELNS1_3gpuE8ELNS1_3repE0EEENS1_30default_config_static_selectorELNS0_4arch9wavefront6targetE0EEEvS13_
	.p2align	8
	.type	_ZN7rocprim17ROCPRIM_400000_NS6detail17trampoline_kernelINS0_13select_configILj256ELj13ELNS0_17block_load_methodE3ELS4_3ELS4_3ELNS0_20block_scan_algorithmE0ELj4294967295EEENS1_25partition_config_selectorILNS1_17partition_subalgoE4EjNS0_10empty_typeEbEEZZNS1_14partition_implILS8_4ELb0ES6_15HIP_vector_typeIjLj2EENS0_17counting_iteratorIjlEEPS9_SG_NS0_5tupleIJPjSI_NS0_16reverse_iteratorISI_EEEEENSH_IJSG_SG_SG_EEES9_SI_JZNS1_25segmented_radix_sort_implINS0_14default_configELb0EPK12hip_bfloat16PSP_PKlPlN2at6native12_GLOBAL__N_18offset_tEEE10hipError_tPvRmT1_PNSt15iterator_traitsIS13_E10value_typeET2_T3_PNS14_IS19_E10value_typeET4_jRbjT5_S1F_jjP12ihipStream_tbEUljE_ZNSN_ISO_Lb0ESR_SS_SU_SV_SZ_EES10_S11_S12_S13_S17_S18_S19_S1C_S1D_jS1E_jS1F_S1F_jjS1H_bEUljE0_EEES10_S11_S12_S19_S1D_S1F_T6_T7_T9_mT8_S1H_bDpT10_ENKUlT_T0_E_clISt17integral_constantIbLb0EES1U_IbLb1EEEEDaS1Q_S1R_EUlS1Q_E_NS1_11comp_targetILNS1_3genE4ELNS1_11target_archE910ELNS1_3gpuE8ELNS1_3repE0EEENS1_30default_config_static_selectorELNS0_4arch9wavefront6targetE0EEEvS13_,@function
_ZN7rocprim17ROCPRIM_400000_NS6detail17trampoline_kernelINS0_13select_configILj256ELj13ELNS0_17block_load_methodE3ELS4_3ELS4_3ELNS0_20block_scan_algorithmE0ELj4294967295EEENS1_25partition_config_selectorILNS1_17partition_subalgoE4EjNS0_10empty_typeEbEEZZNS1_14partition_implILS8_4ELb0ES6_15HIP_vector_typeIjLj2EENS0_17counting_iteratorIjlEEPS9_SG_NS0_5tupleIJPjSI_NS0_16reverse_iteratorISI_EEEEENSH_IJSG_SG_SG_EEES9_SI_JZNS1_25segmented_radix_sort_implINS0_14default_configELb0EPK12hip_bfloat16PSP_PKlPlN2at6native12_GLOBAL__N_18offset_tEEE10hipError_tPvRmT1_PNSt15iterator_traitsIS13_E10value_typeET2_T3_PNS14_IS19_E10value_typeET4_jRbjT5_S1F_jjP12ihipStream_tbEUljE_ZNSN_ISO_Lb0ESR_SS_SU_SV_SZ_EES10_S11_S12_S13_S17_S18_S19_S1C_S1D_jS1E_jS1F_S1F_jjS1H_bEUljE0_EEES10_S11_S12_S19_S1D_S1F_T6_T7_T9_mT8_S1H_bDpT10_ENKUlT_T0_E_clISt17integral_constantIbLb0EES1U_IbLb1EEEEDaS1Q_S1R_EUlS1Q_E_NS1_11comp_targetILNS1_3genE4ELNS1_11target_archE910ELNS1_3gpuE8ELNS1_3repE0EEENS1_30default_config_static_selectorELNS0_4arch9wavefront6targetE0EEEvS13_: ; @_ZN7rocprim17ROCPRIM_400000_NS6detail17trampoline_kernelINS0_13select_configILj256ELj13ELNS0_17block_load_methodE3ELS4_3ELS4_3ELNS0_20block_scan_algorithmE0ELj4294967295EEENS1_25partition_config_selectorILNS1_17partition_subalgoE4EjNS0_10empty_typeEbEEZZNS1_14partition_implILS8_4ELb0ES6_15HIP_vector_typeIjLj2EENS0_17counting_iteratorIjlEEPS9_SG_NS0_5tupleIJPjSI_NS0_16reverse_iteratorISI_EEEEENSH_IJSG_SG_SG_EEES9_SI_JZNS1_25segmented_radix_sort_implINS0_14default_configELb0EPK12hip_bfloat16PSP_PKlPlN2at6native12_GLOBAL__N_18offset_tEEE10hipError_tPvRmT1_PNSt15iterator_traitsIS13_E10value_typeET2_T3_PNS14_IS19_E10value_typeET4_jRbjT5_S1F_jjP12ihipStream_tbEUljE_ZNSN_ISO_Lb0ESR_SS_SU_SV_SZ_EES10_S11_S12_S13_S17_S18_S19_S1C_S1D_jS1E_jS1F_S1F_jjS1H_bEUljE0_EEES10_S11_S12_S19_S1D_S1F_T6_T7_T9_mT8_S1H_bDpT10_ENKUlT_T0_E_clISt17integral_constantIbLb0EES1U_IbLb1EEEEDaS1Q_S1R_EUlS1Q_E_NS1_11comp_targetILNS1_3genE4ELNS1_11target_archE910ELNS1_3gpuE8ELNS1_3repE0EEENS1_30default_config_static_selectorELNS0_4arch9wavefront6targetE0EEEvS13_
; %bb.0:
	.section	.rodata,"a",@progbits
	.p2align	6, 0x0
	.amdhsa_kernel _ZN7rocprim17ROCPRIM_400000_NS6detail17trampoline_kernelINS0_13select_configILj256ELj13ELNS0_17block_load_methodE3ELS4_3ELS4_3ELNS0_20block_scan_algorithmE0ELj4294967295EEENS1_25partition_config_selectorILNS1_17partition_subalgoE4EjNS0_10empty_typeEbEEZZNS1_14partition_implILS8_4ELb0ES6_15HIP_vector_typeIjLj2EENS0_17counting_iteratorIjlEEPS9_SG_NS0_5tupleIJPjSI_NS0_16reverse_iteratorISI_EEEEENSH_IJSG_SG_SG_EEES9_SI_JZNS1_25segmented_radix_sort_implINS0_14default_configELb0EPK12hip_bfloat16PSP_PKlPlN2at6native12_GLOBAL__N_18offset_tEEE10hipError_tPvRmT1_PNSt15iterator_traitsIS13_E10value_typeET2_T3_PNS14_IS19_E10value_typeET4_jRbjT5_S1F_jjP12ihipStream_tbEUljE_ZNSN_ISO_Lb0ESR_SS_SU_SV_SZ_EES10_S11_S12_S13_S17_S18_S19_S1C_S1D_jS1E_jS1F_S1F_jjS1H_bEUljE0_EEES10_S11_S12_S19_S1D_S1F_T6_T7_T9_mT8_S1H_bDpT10_ENKUlT_T0_E_clISt17integral_constantIbLb0EES1U_IbLb1EEEEDaS1Q_S1R_EUlS1Q_E_NS1_11comp_targetILNS1_3genE4ELNS1_11target_archE910ELNS1_3gpuE8ELNS1_3repE0EEENS1_30default_config_static_selectorELNS0_4arch9wavefront6targetE0EEEvS13_
		.amdhsa_group_segment_fixed_size 0
		.amdhsa_private_segment_fixed_size 0
		.amdhsa_kernarg_size 184
		.amdhsa_user_sgpr_count 15
		.amdhsa_user_sgpr_dispatch_ptr 0
		.amdhsa_user_sgpr_queue_ptr 0
		.amdhsa_user_sgpr_kernarg_segment_ptr 1
		.amdhsa_user_sgpr_dispatch_id 0
		.amdhsa_user_sgpr_private_segment_size 0
		.amdhsa_wavefront_size32 1
		.amdhsa_uses_dynamic_stack 0
		.amdhsa_enable_private_segment 0
		.amdhsa_system_sgpr_workgroup_id_x 1
		.amdhsa_system_sgpr_workgroup_id_y 0
		.amdhsa_system_sgpr_workgroup_id_z 0
		.amdhsa_system_sgpr_workgroup_info 0
		.amdhsa_system_vgpr_workitem_id 0
		.amdhsa_next_free_vgpr 1
		.amdhsa_next_free_sgpr 1
		.amdhsa_reserve_vcc 0
		.amdhsa_float_round_mode_32 0
		.amdhsa_float_round_mode_16_64 0
		.amdhsa_float_denorm_mode_32 3
		.amdhsa_float_denorm_mode_16_64 3
		.amdhsa_dx10_clamp 1
		.amdhsa_ieee_mode 1
		.amdhsa_fp16_overflow 0
		.amdhsa_workgroup_processor_mode 1
		.amdhsa_memory_ordered 1
		.amdhsa_forward_progress 0
		.amdhsa_shared_vgpr_count 0
		.amdhsa_exception_fp_ieee_invalid_op 0
		.amdhsa_exception_fp_denorm_src 0
		.amdhsa_exception_fp_ieee_div_zero 0
		.amdhsa_exception_fp_ieee_overflow 0
		.amdhsa_exception_fp_ieee_underflow 0
		.amdhsa_exception_fp_ieee_inexact 0
		.amdhsa_exception_int_div_zero 0
	.end_amdhsa_kernel
	.section	.text._ZN7rocprim17ROCPRIM_400000_NS6detail17trampoline_kernelINS0_13select_configILj256ELj13ELNS0_17block_load_methodE3ELS4_3ELS4_3ELNS0_20block_scan_algorithmE0ELj4294967295EEENS1_25partition_config_selectorILNS1_17partition_subalgoE4EjNS0_10empty_typeEbEEZZNS1_14partition_implILS8_4ELb0ES6_15HIP_vector_typeIjLj2EENS0_17counting_iteratorIjlEEPS9_SG_NS0_5tupleIJPjSI_NS0_16reverse_iteratorISI_EEEEENSH_IJSG_SG_SG_EEES9_SI_JZNS1_25segmented_radix_sort_implINS0_14default_configELb0EPK12hip_bfloat16PSP_PKlPlN2at6native12_GLOBAL__N_18offset_tEEE10hipError_tPvRmT1_PNSt15iterator_traitsIS13_E10value_typeET2_T3_PNS14_IS19_E10value_typeET4_jRbjT5_S1F_jjP12ihipStream_tbEUljE_ZNSN_ISO_Lb0ESR_SS_SU_SV_SZ_EES10_S11_S12_S13_S17_S18_S19_S1C_S1D_jS1E_jS1F_S1F_jjS1H_bEUljE0_EEES10_S11_S12_S19_S1D_S1F_T6_T7_T9_mT8_S1H_bDpT10_ENKUlT_T0_E_clISt17integral_constantIbLb0EES1U_IbLb1EEEEDaS1Q_S1R_EUlS1Q_E_NS1_11comp_targetILNS1_3genE4ELNS1_11target_archE910ELNS1_3gpuE8ELNS1_3repE0EEENS1_30default_config_static_selectorELNS0_4arch9wavefront6targetE0EEEvS13_,"axG",@progbits,_ZN7rocprim17ROCPRIM_400000_NS6detail17trampoline_kernelINS0_13select_configILj256ELj13ELNS0_17block_load_methodE3ELS4_3ELS4_3ELNS0_20block_scan_algorithmE0ELj4294967295EEENS1_25partition_config_selectorILNS1_17partition_subalgoE4EjNS0_10empty_typeEbEEZZNS1_14partition_implILS8_4ELb0ES6_15HIP_vector_typeIjLj2EENS0_17counting_iteratorIjlEEPS9_SG_NS0_5tupleIJPjSI_NS0_16reverse_iteratorISI_EEEEENSH_IJSG_SG_SG_EEES9_SI_JZNS1_25segmented_radix_sort_implINS0_14default_configELb0EPK12hip_bfloat16PSP_PKlPlN2at6native12_GLOBAL__N_18offset_tEEE10hipError_tPvRmT1_PNSt15iterator_traitsIS13_E10value_typeET2_T3_PNS14_IS19_E10value_typeET4_jRbjT5_S1F_jjP12ihipStream_tbEUljE_ZNSN_ISO_Lb0ESR_SS_SU_SV_SZ_EES10_S11_S12_S13_S17_S18_S19_S1C_S1D_jS1E_jS1F_S1F_jjS1H_bEUljE0_EEES10_S11_S12_S19_S1D_S1F_T6_T7_T9_mT8_S1H_bDpT10_ENKUlT_T0_E_clISt17integral_constantIbLb0EES1U_IbLb1EEEEDaS1Q_S1R_EUlS1Q_E_NS1_11comp_targetILNS1_3genE4ELNS1_11target_archE910ELNS1_3gpuE8ELNS1_3repE0EEENS1_30default_config_static_selectorELNS0_4arch9wavefront6targetE0EEEvS13_,comdat
.Lfunc_end2011:
	.size	_ZN7rocprim17ROCPRIM_400000_NS6detail17trampoline_kernelINS0_13select_configILj256ELj13ELNS0_17block_load_methodE3ELS4_3ELS4_3ELNS0_20block_scan_algorithmE0ELj4294967295EEENS1_25partition_config_selectorILNS1_17partition_subalgoE4EjNS0_10empty_typeEbEEZZNS1_14partition_implILS8_4ELb0ES6_15HIP_vector_typeIjLj2EENS0_17counting_iteratorIjlEEPS9_SG_NS0_5tupleIJPjSI_NS0_16reverse_iteratorISI_EEEEENSH_IJSG_SG_SG_EEES9_SI_JZNS1_25segmented_radix_sort_implINS0_14default_configELb0EPK12hip_bfloat16PSP_PKlPlN2at6native12_GLOBAL__N_18offset_tEEE10hipError_tPvRmT1_PNSt15iterator_traitsIS13_E10value_typeET2_T3_PNS14_IS19_E10value_typeET4_jRbjT5_S1F_jjP12ihipStream_tbEUljE_ZNSN_ISO_Lb0ESR_SS_SU_SV_SZ_EES10_S11_S12_S13_S17_S18_S19_S1C_S1D_jS1E_jS1F_S1F_jjS1H_bEUljE0_EEES10_S11_S12_S19_S1D_S1F_T6_T7_T9_mT8_S1H_bDpT10_ENKUlT_T0_E_clISt17integral_constantIbLb0EES1U_IbLb1EEEEDaS1Q_S1R_EUlS1Q_E_NS1_11comp_targetILNS1_3genE4ELNS1_11target_archE910ELNS1_3gpuE8ELNS1_3repE0EEENS1_30default_config_static_selectorELNS0_4arch9wavefront6targetE0EEEvS13_, .Lfunc_end2011-_ZN7rocprim17ROCPRIM_400000_NS6detail17trampoline_kernelINS0_13select_configILj256ELj13ELNS0_17block_load_methodE3ELS4_3ELS4_3ELNS0_20block_scan_algorithmE0ELj4294967295EEENS1_25partition_config_selectorILNS1_17partition_subalgoE4EjNS0_10empty_typeEbEEZZNS1_14partition_implILS8_4ELb0ES6_15HIP_vector_typeIjLj2EENS0_17counting_iteratorIjlEEPS9_SG_NS0_5tupleIJPjSI_NS0_16reverse_iteratorISI_EEEEENSH_IJSG_SG_SG_EEES9_SI_JZNS1_25segmented_radix_sort_implINS0_14default_configELb0EPK12hip_bfloat16PSP_PKlPlN2at6native12_GLOBAL__N_18offset_tEEE10hipError_tPvRmT1_PNSt15iterator_traitsIS13_E10value_typeET2_T3_PNS14_IS19_E10value_typeET4_jRbjT5_S1F_jjP12ihipStream_tbEUljE_ZNSN_ISO_Lb0ESR_SS_SU_SV_SZ_EES10_S11_S12_S13_S17_S18_S19_S1C_S1D_jS1E_jS1F_S1F_jjS1H_bEUljE0_EEES10_S11_S12_S19_S1D_S1F_T6_T7_T9_mT8_S1H_bDpT10_ENKUlT_T0_E_clISt17integral_constantIbLb0EES1U_IbLb1EEEEDaS1Q_S1R_EUlS1Q_E_NS1_11comp_targetILNS1_3genE4ELNS1_11target_archE910ELNS1_3gpuE8ELNS1_3repE0EEENS1_30default_config_static_selectorELNS0_4arch9wavefront6targetE0EEEvS13_
                                        ; -- End function
	.section	.AMDGPU.csdata,"",@progbits
; Kernel info:
; codeLenInByte = 0
; NumSgprs: 0
; NumVgprs: 0
; ScratchSize: 0
; MemoryBound: 0
; FloatMode: 240
; IeeeMode: 1
; LDSByteSize: 0 bytes/workgroup (compile time only)
; SGPRBlocks: 0
; VGPRBlocks: 0
; NumSGPRsForWavesPerEU: 1
; NumVGPRsForWavesPerEU: 1
; Occupancy: 16
; WaveLimiterHint : 0
; COMPUTE_PGM_RSRC2:SCRATCH_EN: 0
; COMPUTE_PGM_RSRC2:USER_SGPR: 15
; COMPUTE_PGM_RSRC2:TRAP_HANDLER: 0
; COMPUTE_PGM_RSRC2:TGID_X_EN: 1
; COMPUTE_PGM_RSRC2:TGID_Y_EN: 0
; COMPUTE_PGM_RSRC2:TGID_Z_EN: 0
; COMPUTE_PGM_RSRC2:TIDIG_COMP_CNT: 0
	.section	.text._ZN7rocprim17ROCPRIM_400000_NS6detail17trampoline_kernelINS0_13select_configILj256ELj13ELNS0_17block_load_methodE3ELS4_3ELS4_3ELNS0_20block_scan_algorithmE0ELj4294967295EEENS1_25partition_config_selectorILNS1_17partition_subalgoE4EjNS0_10empty_typeEbEEZZNS1_14partition_implILS8_4ELb0ES6_15HIP_vector_typeIjLj2EENS0_17counting_iteratorIjlEEPS9_SG_NS0_5tupleIJPjSI_NS0_16reverse_iteratorISI_EEEEENSH_IJSG_SG_SG_EEES9_SI_JZNS1_25segmented_radix_sort_implINS0_14default_configELb0EPK12hip_bfloat16PSP_PKlPlN2at6native12_GLOBAL__N_18offset_tEEE10hipError_tPvRmT1_PNSt15iterator_traitsIS13_E10value_typeET2_T3_PNS14_IS19_E10value_typeET4_jRbjT5_S1F_jjP12ihipStream_tbEUljE_ZNSN_ISO_Lb0ESR_SS_SU_SV_SZ_EES10_S11_S12_S13_S17_S18_S19_S1C_S1D_jS1E_jS1F_S1F_jjS1H_bEUljE0_EEES10_S11_S12_S19_S1D_S1F_T6_T7_T9_mT8_S1H_bDpT10_ENKUlT_T0_E_clISt17integral_constantIbLb0EES1U_IbLb1EEEEDaS1Q_S1R_EUlS1Q_E_NS1_11comp_targetILNS1_3genE3ELNS1_11target_archE908ELNS1_3gpuE7ELNS1_3repE0EEENS1_30default_config_static_selectorELNS0_4arch9wavefront6targetE0EEEvS13_,"axG",@progbits,_ZN7rocprim17ROCPRIM_400000_NS6detail17trampoline_kernelINS0_13select_configILj256ELj13ELNS0_17block_load_methodE3ELS4_3ELS4_3ELNS0_20block_scan_algorithmE0ELj4294967295EEENS1_25partition_config_selectorILNS1_17partition_subalgoE4EjNS0_10empty_typeEbEEZZNS1_14partition_implILS8_4ELb0ES6_15HIP_vector_typeIjLj2EENS0_17counting_iteratorIjlEEPS9_SG_NS0_5tupleIJPjSI_NS0_16reverse_iteratorISI_EEEEENSH_IJSG_SG_SG_EEES9_SI_JZNS1_25segmented_radix_sort_implINS0_14default_configELb0EPK12hip_bfloat16PSP_PKlPlN2at6native12_GLOBAL__N_18offset_tEEE10hipError_tPvRmT1_PNSt15iterator_traitsIS13_E10value_typeET2_T3_PNS14_IS19_E10value_typeET4_jRbjT5_S1F_jjP12ihipStream_tbEUljE_ZNSN_ISO_Lb0ESR_SS_SU_SV_SZ_EES10_S11_S12_S13_S17_S18_S19_S1C_S1D_jS1E_jS1F_S1F_jjS1H_bEUljE0_EEES10_S11_S12_S19_S1D_S1F_T6_T7_T9_mT8_S1H_bDpT10_ENKUlT_T0_E_clISt17integral_constantIbLb0EES1U_IbLb1EEEEDaS1Q_S1R_EUlS1Q_E_NS1_11comp_targetILNS1_3genE3ELNS1_11target_archE908ELNS1_3gpuE7ELNS1_3repE0EEENS1_30default_config_static_selectorELNS0_4arch9wavefront6targetE0EEEvS13_,comdat
	.globl	_ZN7rocprim17ROCPRIM_400000_NS6detail17trampoline_kernelINS0_13select_configILj256ELj13ELNS0_17block_load_methodE3ELS4_3ELS4_3ELNS0_20block_scan_algorithmE0ELj4294967295EEENS1_25partition_config_selectorILNS1_17partition_subalgoE4EjNS0_10empty_typeEbEEZZNS1_14partition_implILS8_4ELb0ES6_15HIP_vector_typeIjLj2EENS0_17counting_iteratorIjlEEPS9_SG_NS0_5tupleIJPjSI_NS0_16reverse_iteratorISI_EEEEENSH_IJSG_SG_SG_EEES9_SI_JZNS1_25segmented_radix_sort_implINS0_14default_configELb0EPK12hip_bfloat16PSP_PKlPlN2at6native12_GLOBAL__N_18offset_tEEE10hipError_tPvRmT1_PNSt15iterator_traitsIS13_E10value_typeET2_T3_PNS14_IS19_E10value_typeET4_jRbjT5_S1F_jjP12ihipStream_tbEUljE_ZNSN_ISO_Lb0ESR_SS_SU_SV_SZ_EES10_S11_S12_S13_S17_S18_S19_S1C_S1D_jS1E_jS1F_S1F_jjS1H_bEUljE0_EEES10_S11_S12_S19_S1D_S1F_T6_T7_T9_mT8_S1H_bDpT10_ENKUlT_T0_E_clISt17integral_constantIbLb0EES1U_IbLb1EEEEDaS1Q_S1R_EUlS1Q_E_NS1_11comp_targetILNS1_3genE3ELNS1_11target_archE908ELNS1_3gpuE7ELNS1_3repE0EEENS1_30default_config_static_selectorELNS0_4arch9wavefront6targetE0EEEvS13_ ; -- Begin function _ZN7rocprim17ROCPRIM_400000_NS6detail17trampoline_kernelINS0_13select_configILj256ELj13ELNS0_17block_load_methodE3ELS4_3ELS4_3ELNS0_20block_scan_algorithmE0ELj4294967295EEENS1_25partition_config_selectorILNS1_17partition_subalgoE4EjNS0_10empty_typeEbEEZZNS1_14partition_implILS8_4ELb0ES6_15HIP_vector_typeIjLj2EENS0_17counting_iteratorIjlEEPS9_SG_NS0_5tupleIJPjSI_NS0_16reverse_iteratorISI_EEEEENSH_IJSG_SG_SG_EEES9_SI_JZNS1_25segmented_radix_sort_implINS0_14default_configELb0EPK12hip_bfloat16PSP_PKlPlN2at6native12_GLOBAL__N_18offset_tEEE10hipError_tPvRmT1_PNSt15iterator_traitsIS13_E10value_typeET2_T3_PNS14_IS19_E10value_typeET4_jRbjT5_S1F_jjP12ihipStream_tbEUljE_ZNSN_ISO_Lb0ESR_SS_SU_SV_SZ_EES10_S11_S12_S13_S17_S18_S19_S1C_S1D_jS1E_jS1F_S1F_jjS1H_bEUljE0_EEES10_S11_S12_S19_S1D_S1F_T6_T7_T9_mT8_S1H_bDpT10_ENKUlT_T0_E_clISt17integral_constantIbLb0EES1U_IbLb1EEEEDaS1Q_S1R_EUlS1Q_E_NS1_11comp_targetILNS1_3genE3ELNS1_11target_archE908ELNS1_3gpuE7ELNS1_3repE0EEENS1_30default_config_static_selectorELNS0_4arch9wavefront6targetE0EEEvS13_
	.p2align	8
	.type	_ZN7rocprim17ROCPRIM_400000_NS6detail17trampoline_kernelINS0_13select_configILj256ELj13ELNS0_17block_load_methodE3ELS4_3ELS4_3ELNS0_20block_scan_algorithmE0ELj4294967295EEENS1_25partition_config_selectorILNS1_17partition_subalgoE4EjNS0_10empty_typeEbEEZZNS1_14partition_implILS8_4ELb0ES6_15HIP_vector_typeIjLj2EENS0_17counting_iteratorIjlEEPS9_SG_NS0_5tupleIJPjSI_NS0_16reverse_iteratorISI_EEEEENSH_IJSG_SG_SG_EEES9_SI_JZNS1_25segmented_radix_sort_implINS0_14default_configELb0EPK12hip_bfloat16PSP_PKlPlN2at6native12_GLOBAL__N_18offset_tEEE10hipError_tPvRmT1_PNSt15iterator_traitsIS13_E10value_typeET2_T3_PNS14_IS19_E10value_typeET4_jRbjT5_S1F_jjP12ihipStream_tbEUljE_ZNSN_ISO_Lb0ESR_SS_SU_SV_SZ_EES10_S11_S12_S13_S17_S18_S19_S1C_S1D_jS1E_jS1F_S1F_jjS1H_bEUljE0_EEES10_S11_S12_S19_S1D_S1F_T6_T7_T9_mT8_S1H_bDpT10_ENKUlT_T0_E_clISt17integral_constantIbLb0EES1U_IbLb1EEEEDaS1Q_S1R_EUlS1Q_E_NS1_11comp_targetILNS1_3genE3ELNS1_11target_archE908ELNS1_3gpuE7ELNS1_3repE0EEENS1_30default_config_static_selectorELNS0_4arch9wavefront6targetE0EEEvS13_,@function
_ZN7rocprim17ROCPRIM_400000_NS6detail17trampoline_kernelINS0_13select_configILj256ELj13ELNS0_17block_load_methodE3ELS4_3ELS4_3ELNS0_20block_scan_algorithmE0ELj4294967295EEENS1_25partition_config_selectorILNS1_17partition_subalgoE4EjNS0_10empty_typeEbEEZZNS1_14partition_implILS8_4ELb0ES6_15HIP_vector_typeIjLj2EENS0_17counting_iteratorIjlEEPS9_SG_NS0_5tupleIJPjSI_NS0_16reverse_iteratorISI_EEEEENSH_IJSG_SG_SG_EEES9_SI_JZNS1_25segmented_radix_sort_implINS0_14default_configELb0EPK12hip_bfloat16PSP_PKlPlN2at6native12_GLOBAL__N_18offset_tEEE10hipError_tPvRmT1_PNSt15iterator_traitsIS13_E10value_typeET2_T3_PNS14_IS19_E10value_typeET4_jRbjT5_S1F_jjP12ihipStream_tbEUljE_ZNSN_ISO_Lb0ESR_SS_SU_SV_SZ_EES10_S11_S12_S13_S17_S18_S19_S1C_S1D_jS1E_jS1F_S1F_jjS1H_bEUljE0_EEES10_S11_S12_S19_S1D_S1F_T6_T7_T9_mT8_S1H_bDpT10_ENKUlT_T0_E_clISt17integral_constantIbLb0EES1U_IbLb1EEEEDaS1Q_S1R_EUlS1Q_E_NS1_11comp_targetILNS1_3genE3ELNS1_11target_archE908ELNS1_3gpuE7ELNS1_3repE0EEENS1_30default_config_static_selectorELNS0_4arch9wavefront6targetE0EEEvS13_: ; @_ZN7rocprim17ROCPRIM_400000_NS6detail17trampoline_kernelINS0_13select_configILj256ELj13ELNS0_17block_load_methodE3ELS4_3ELS4_3ELNS0_20block_scan_algorithmE0ELj4294967295EEENS1_25partition_config_selectorILNS1_17partition_subalgoE4EjNS0_10empty_typeEbEEZZNS1_14partition_implILS8_4ELb0ES6_15HIP_vector_typeIjLj2EENS0_17counting_iteratorIjlEEPS9_SG_NS0_5tupleIJPjSI_NS0_16reverse_iteratorISI_EEEEENSH_IJSG_SG_SG_EEES9_SI_JZNS1_25segmented_radix_sort_implINS0_14default_configELb0EPK12hip_bfloat16PSP_PKlPlN2at6native12_GLOBAL__N_18offset_tEEE10hipError_tPvRmT1_PNSt15iterator_traitsIS13_E10value_typeET2_T3_PNS14_IS19_E10value_typeET4_jRbjT5_S1F_jjP12ihipStream_tbEUljE_ZNSN_ISO_Lb0ESR_SS_SU_SV_SZ_EES10_S11_S12_S13_S17_S18_S19_S1C_S1D_jS1E_jS1F_S1F_jjS1H_bEUljE0_EEES10_S11_S12_S19_S1D_S1F_T6_T7_T9_mT8_S1H_bDpT10_ENKUlT_T0_E_clISt17integral_constantIbLb0EES1U_IbLb1EEEEDaS1Q_S1R_EUlS1Q_E_NS1_11comp_targetILNS1_3genE3ELNS1_11target_archE908ELNS1_3gpuE7ELNS1_3repE0EEENS1_30default_config_static_selectorELNS0_4arch9wavefront6targetE0EEEvS13_
; %bb.0:
	.section	.rodata,"a",@progbits
	.p2align	6, 0x0
	.amdhsa_kernel _ZN7rocprim17ROCPRIM_400000_NS6detail17trampoline_kernelINS0_13select_configILj256ELj13ELNS0_17block_load_methodE3ELS4_3ELS4_3ELNS0_20block_scan_algorithmE0ELj4294967295EEENS1_25partition_config_selectorILNS1_17partition_subalgoE4EjNS0_10empty_typeEbEEZZNS1_14partition_implILS8_4ELb0ES6_15HIP_vector_typeIjLj2EENS0_17counting_iteratorIjlEEPS9_SG_NS0_5tupleIJPjSI_NS0_16reverse_iteratorISI_EEEEENSH_IJSG_SG_SG_EEES9_SI_JZNS1_25segmented_radix_sort_implINS0_14default_configELb0EPK12hip_bfloat16PSP_PKlPlN2at6native12_GLOBAL__N_18offset_tEEE10hipError_tPvRmT1_PNSt15iterator_traitsIS13_E10value_typeET2_T3_PNS14_IS19_E10value_typeET4_jRbjT5_S1F_jjP12ihipStream_tbEUljE_ZNSN_ISO_Lb0ESR_SS_SU_SV_SZ_EES10_S11_S12_S13_S17_S18_S19_S1C_S1D_jS1E_jS1F_S1F_jjS1H_bEUljE0_EEES10_S11_S12_S19_S1D_S1F_T6_T7_T9_mT8_S1H_bDpT10_ENKUlT_T0_E_clISt17integral_constantIbLb0EES1U_IbLb1EEEEDaS1Q_S1R_EUlS1Q_E_NS1_11comp_targetILNS1_3genE3ELNS1_11target_archE908ELNS1_3gpuE7ELNS1_3repE0EEENS1_30default_config_static_selectorELNS0_4arch9wavefront6targetE0EEEvS13_
		.amdhsa_group_segment_fixed_size 0
		.amdhsa_private_segment_fixed_size 0
		.amdhsa_kernarg_size 184
		.amdhsa_user_sgpr_count 15
		.amdhsa_user_sgpr_dispatch_ptr 0
		.amdhsa_user_sgpr_queue_ptr 0
		.amdhsa_user_sgpr_kernarg_segment_ptr 1
		.amdhsa_user_sgpr_dispatch_id 0
		.amdhsa_user_sgpr_private_segment_size 0
		.amdhsa_wavefront_size32 1
		.amdhsa_uses_dynamic_stack 0
		.amdhsa_enable_private_segment 0
		.amdhsa_system_sgpr_workgroup_id_x 1
		.amdhsa_system_sgpr_workgroup_id_y 0
		.amdhsa_system_sgpr_workgroup_id_z 0
		.amdhsa_system_sgpr_workgroup_info 0
		.amdhsa_system_vgpr_workitem_id 0
		.amdhsa_next_free_vgpr 1
		.amdhsa_next_free_sgpr 1
		.amdhsa_reserve_vcc 0
		.amdhsa_float_round_mode_32 0
		.amdhsa_float_round_mode_16_64 0
		.amdhsa_float_denorm_mode_32 3
		.amdhsa_float_denorm_mode_16_64 3
		.amdhsa_dx10_clamp 1
		.amdhsa_ieee_mode 1
		.amdhsa_fp16_overflow 0
		.amdhsa_workgroup_processor_mode 1
		.amdhsa_memory_ordered 1
		.amdhsa_forward_progress 0
		.amdhsa_shared_vgpr_count 0
		.amdhsa_exception_fp_ieee_invalid_op 0
		.amdhsa_exception_fp_denorm_src 0
		.amdhsa_exception_fp_ieee_div_zero 0
		.amdhsa_exception_fp_ieee_overflow 0
		.amdhsa_exception_fp_ieee_underflow 0
		.amdhsa_exception_fp_ieee_inexact 0
		.amdhsa_exception_int_div_zero 0
	.end_amdhsa_kernel
	.section	.text._ZN7rocprim17ROCPRIM_400000_NS6detail17trampoline_kernelINS0_13select_configILj256ELj13ELNS0_17block_load_methodE3ELS4_3ELS4_3ELNS0_20block_scan_algorithmE0ELj4294967295EEENS1_25partition_config_selectorILNS1_17partition_subalgoE4EjNS0_10empty_typeEbEEZZNS1_14partition_implILS8_4ELb0ES6_15HIP_vector_typeIjLj2EENS0_17counting_iteratorIjlEEPS9_SG_NS0_5tupleIJPjSI_NS0_16reverse_iteratorISI_EEEEENSH_IJSG_SG_SG_EEES9_SI_JZNS1_25segmented_radix_sort_implINS0_14default_configELb0EPK12hip_bfloat16PSP_PKlPlN2at6native12_GLOBAL__N_18offset_tEEE10hipError_tPvRmT1_PNSt15iterator_traitsIS13_E10value_typeET2_T3_PNS14_IS19_E10value_typeET4_jRbjT5_S1F_jjP12ihipStream_tbEUljE_ZNSN_ISO_Lb0ESR_SS_SU_SV_SZ_EES10_S11_S12_S13_S17_S18_S19_S1C_S1D_jS1E_jS1F_S1F_jjS1H_bEUljE0_EEES10_S11_S12_S19_S1D_S1F_T6_T7_T9_mT8_S1H_bDpT10_ENKUlT_T0_E_clISt17integral_constantIbLb0EES1U_IbLb1EEEEDaS1Q_S1R_EUlS1Q_E_NS1_11comp_targetILNS1_3genE3ELNS1_11target_archE908ELNS1_3gpuE7ELNS1_3repE0EEENS1_30default_config_static_selectorELNS0_4arch9wavefront6targetE0EEEvS13_,"axG",@progbits,_ZN7rocprim17ROCPRIM_400000_NS6detail17trampoline_kernelINS0_13select_configILj256ELj13ELNS0_17block_load_methodE3ELS4_3ELS4_3ELNS0_20block_scan_algorithmE0ELj4294967295EEENS1_25partition_config_selectorILNS1_17partition_subalgoE4EjNS0_10empty_typeEbEEZZNS1_14partition_implILS8_4ELb0ES6_15HIP_vector_typeIjLj2EENS0_17counting_iteratorIjlEEPS9_SG_NS0_5tupleIJPjSI_NS0_16reverse_iteratorISI_EEEEENSH_IJSG_SG_SG_EEES9_SI_JZNS1_25segmented_radix_sort_implINS0_14default_configELb0EPK12hip_bfloat16PSP_PKlPlN2at6native12_GLOBAL__N_18offset_tEEE10hipError_tPvRmT1_PNSt15iterator_traitsIS13_E10value_typeET2_T3_PNS14_IS19_E10value_typeET4_jRbjT5_S1F_jjP12ihipStream_tbEUljE_ZNSN_ISO_Lb0ESR_SS_SU_SV_SZ_EES10_S11_S12_S13_S17_S18_S19_S1C_S1D_jS1E_jS1F_S1F_jjS1H_bEUljE0_EEES10_S11_S12_S19_S1D_S1F_T6_T7_T9_mT8_S1H_bDpT10_ENKUlT_T0_E_clISt17integral_constantIbLb0EES1U_IbLb1EEEEDaS1Q_S1R_EUlS1Q_E_NS1_11comp_targetILNS1_3genE3ELNS1_11target_archE908ELNS1_3gpuE7ELNS1_3repE0EEENS1_30default_config_static_selectorELNS0_4arch9wavefront6targetE0EEEvS13_,comdat
.Lfunc_end2012:
	.size	_ZN7rocprim17ROCPRIM_400000_NS6detail17trampoline_kernelINS0_13select_configILj256ELj13ELNS0_17block_load_methodE3ELS4_3ELS4_3ELNS0_20block_scan_algorithmE0ELj4294967295EEENS1_25partition_config_selectorILNS1_17partition_subalgoE4EjNS0_10empty_typeEbEEZZNS1_14partition_implILS8_4ELb0ES6_15HIP_vector_typeIjLj2EENS0_17counting_iteratorIjlEEPS9_SG_NS0_5tupleIJPjSI_NS0_16reverse_iteratorISI_EEEEENSH_IJSG_SG_SG_EEES9_SI_JZNS1_25segmented_radix_sort_implINS0_14default_configELb0EPK12hip_bfloat16PSP_PKlPlN2at6native12_GLOBAL__N_18offset_tEEE10hipError_tPvRmT1_PNSt15iterator_traitsIS13_E10value_typeET2_T3_PNS14_IS19_E10value_typeET4_jRbjT5_S1F_jjP12ihipStream_tbEUljE_ZNSN_ISO_Lb0ESR_SS_SU_SV_SZ_EES10_S11_S12_S13_S17_S18_S19_S1C_S1D_jS1E_jS1F_S1F_jjS1H_bEUljE0_EEES10_S11_S12_S19_S1D_S1F_T6_T7_T9_mT8_S1H_bDpT10_ENKUlT_T0_E_clISt17integral_constantIbLb0EES1U_IbLb1EEEEDaS1Q_S1R_EUlS1Q_E_NS1_11comp_targetILNS1_3genE3ELNS1_11target_archE908ELNS1_3gpuE7ELNS1_3repE0EEENS1_30default_config_static_selectorELNS0_4arch9wavefront6targetE0EEEvS13_, .Lfunc_end2012-_ZN7rocprim17ROCPRIM_400000_NS6detail17trampoline_kernelINS0_13select_configILj256ELj13ELNS0_17block_load_methodE3ELS4_3ELS4_3ELNS0_20block_scan_algorithmE0ELj4294967295EEENS1_25partition_config_selectorILNS1_17partition_subalgoE4EjNS0_10empty_typeEbEEZZNS1_14partition_implILS8_4ELb0ES6_15HIP_vector_typeIjLj2EENS0_17counting_iteratorIjlEEPS9_SG_NS0_5tupleIJPjSI_NS0_16reverse_iteratorISI_EEEEENSH_IJSG_SG_SG_EEES9_SI_JZNS1_25segmented_radix_sort_implINS0_14default_configELb0EPK12hip_bfloat16PSP_PKlPlN2at6native12_GLOBAL__N_18offset_tEEE10hipError_tPvRmT1_PNSt15iterator_traitsIS13_E10value_typeET2_T3_PNS14_IS19_E10value_typeET4_jRbjT5_S1F_jjP12ihipStream_tbEUljE_ZNSN_ISO_Lb0ESR_SS_SU_SV_SZ_EES10_S11_S12_S13_S17_S18_S19_S1C_S1D_jS1E_jS1F_S1F_jjS1H_bEUljE0_EEES10_S11_S12_S19_S1D_S1F_T6_T7_T9_mT8_S1H_bDpT10_ENKUlT_T0_E_clISt17integral_constantIbLb0EES1U_IbLb1EEEEDaS1Q_S1R_EUlS1Q_E_NS1_11comp_targetILNS1_3genE3ELNS1_11target_archE908ELNS1_3gpuE7ELNS1_3repE0EEENS1_30default_config_static_selectorELNS0_4arch9wavefront6targetE0EEEvS13_
                                        ; -- End function
	.section	.AMDGPU.csdata,"",@progbits
; Kernel info:
; codeLenInByte = 0
; NumSgprs: 0
; NumVgprs: 0
; ScratchSize: 0
; MemoryBound: 0
; FloatMode: 240
; IeeeMode: 1
; LDSByteSize: 0 bytes/workgroup (compile time only)
; SGPRBlocks: 0
; VGPRBlocks: 0
; NumSGPRsForWavesPerEU: 1
; NumVGPRsForWavesPerEU: 1
; Occupancy: 16
; WaveLimiterHint : 0
; COMPUTE_PGM_RSRC2:SCRATCH_EN: 0
; COMPUTE_PGM_RSRC2:USER_SGPR: 15
; COMPUTE_PGM_RSRC2:TRAP_HANDLER: 0
; COMPUTE_PGM_RSRC2:TGID_X_EN: 1
; COMPUTE_PGM_RSRC2:TGID_Y_EN: 0
; COMPUTE_PGM_RSRC2:TGID_Z_EN: 0
; COMPUTE_PGM_RSRC2:TIDIG_COMP_CNT: 0
	.section	.text._ZN7rocprim17ROCPRIM_400000_NS6detail17trampoline_kernelINS0_13select_configILj256ELj13ELNS0_17block_load_methodE3ELS4_3ELS4_3ELNS0_20block_scan_algorithmE0ELj4294967295EEENS1_25partition_config_selectorILNS1_17partition_subalgoE4EjNS0_10empty_typeEbEEZZNS1_14partition_implILS8_4ELb0ES6_15HIP_vector_typeIjLj2EENS0_17counting_iteratorIjlEEPS9_SG_NS0_5tupleIJPjSI_NS0_16reverse_iteratorISI_EEEEENSH_IJSG_SG_SG_EEES9_SI_JZNS1_25segmented_radix_sort_implINS0_14default_configELb0EPK12hip_bfloat16PSP_PKlPlN2at6native12_GLOBAL__N_18offset_tEEE10hipError_tPvRmT1_PNSt15iterator_traitsIS13_E10value_typeET2_T3_PNS14_IS19_E10value_typeET4_jRbjT5_S1F_jjP12ihipStream_tbEUljE_ZNSN_ISO_Lb0ESR_SS_SU_SV_SZ_EES10_S11_S12_S13_S17_S18_S19_S1C_S1D_jS1E_jS1F_S1F_jjS1H_bEUljE0_EEES10_S11_S12_S19_S1D_S1F_T6_T7_T9_mT8_S1H_bDpT10_ENKUlT_T0_E_clISt17integral_constantIbLb0EES1U_IbLb1EEEEDaS1Q_S1R_EUlS1Q_E_NS1_11comp_targetILNS1_3genE2ELNS1_11target_archE906ELNS1_3gpuE6ELNS1_3repE0EEENS1_30default_config_static_selectorELNS0_4arch9wavefront6targetE0EEEvS13_,"axG",@progbits,_ZN7rocprim17ROCPRIM_400000_NS6detail17trampoline_kernelINS0_13select_configILj256ELj13ELNS0_17block_load_methodE3ELS4_3ELS4_3ELNS0_20block_scan_algorithmE0ELj4294967295EEENS1_25partition_config_selectorILNS1_17partition_subalgoE4EjNS0_10empty_typeEbEEZZNS1_14partition_implILS8_4ELb0ES6_15HIP_vector_typeIjLj2EENS0_17counting_iteratorIjlEEPS9_SG_NS0_5tupleIJPjSI_NS0_16reverse_iteratorISI_EEEEENSH_IJSG_SG_SG_EEES9_SI_JZNS1_25segmented_radix_sort_implINS0_14default_configELb0EPK12hip_bfloat16PSP_PKlPlN2at6native12_GLOBAL__N_18offset_tEEE10hipError_tPvRmT1_PNSt15iterator_traitsIS13_E10value_typeET2_T3_PNS14_IS19_E10value_typeET4_jRbjT5_S1F_jjP12ihipStream_tbEUljE_ZNSN_ISO_Lb0ESR_SS_SU_SV_SZ_EES10_S11_S12_S13_S17_S18_S19_S1C_S1D_jS1E_jS1F_S1F_jjS1H_bEUljE0_EEES10_S11_S12_S19_S1D_S1F_T6_T7_T9_mT8_S1H_bDpT10_ENKUlT_T0_E_clISt17integral_constantIbLb0EES1U_IbLb1EEEEDaS1Q_S1R_EUlS1Q_E_NS1_11comp_targetILNS1_3genE2ELNS1_11target_archE906ELNS1_3gpuE6ELNS1_3repE0EEENS1_30default_config_static_selectorELNS0_4arch9wavefront6targetE0EEEvS13_,comdat
	.globl	_ZN7rocprim17ROCPRIM_400000_NS6detail17trampoline_kernelINS0_13select_configILj256ELj13ELNS0_17block_load_methodE3ELS4_3ELS4_3ELNS0_20block_scan_algorithmE0ELj4294967295EEENS1_25partition_config_selectorILNS1_17partition_subalgoE4EjNS0_10empty_typeEbEEZZNS1_14partition_implILS8_4ELb0ES6_15HIP_vector_typeIjLj2EENS0_17counting_iteratorIjlEEPS9_SG_NS0_5tupleIJPjSI_NS0_16reverse_iteratorISI_EEEEENSH_IJSG_SG_SG_EEES9_SI_JZNS1_25segmented_radix_sort_implINS0_14default_configELb0EPK12hip_bfloat16PSP_PKlPlN2at6native12_GLOBAL__N_18offset_tEEE10hipError_tPvRmT1_PNSt15iterator_traitsIS13_E10value_typeET2_T3_PNS14_IS19_E10value_typeET4_jRbjT5_S1F_jjP12ihipStream_tbEUljE_ZNSN_ISO_Lb0ESR_SS_SU_SV_SZ_EES10_S11_S12_S13_S17_S18_S19_S1C_S1D_jS1E_jS1F_S1F_jjS1H_bEUljE0_EEES10_S11_S12_S19_S1D_S1F_T6_T7_T9_mT8_S1H_bDpT10_ENKUlT_T0_E_clISt17integral_constantIbLb0EES1U_IbLb1EEEEDaS1Q_S1R_EUlS1Q_E_NS1_11comp_targetILNS1_3genE2ELNS1_11target_archE906ELNS1_3gpuE6ELNS1_3repE0EEENS1_30default_config_static_selectorELNS0_4arch9wavefront6targetE0EEEvS13_ ; -- Begin function _ZN7rocprim17ROCPRIM_400000_NS6detail17trampoline_kernelINS0_13select_configILj256ELj13ELNS0_17block_load_methodE3ELS4_3ELS4_3ELNS0_20block_scan_algorithmE0ELj4294967295EEENS1_25partition_config_selectorILNS1_17partition_subalgoE4EjNS0_10empty_typeEbEEZZNS1_14partition_implILS8_4ELb0ES6_15HIP_vector_typeIjLj2EENS0_17counting_iteratorIjlEEPS9_SG_NS0_5tupleIJPjSI_NS0_16reverse_iteratorISI_EEEEENSH_IJSG_SG_SG_EEES9_SI_JZNS1_25segmented_radix_sort_implINS0_14default_configELb0EPK12hip_bfloat16PSP_PKlPlN2at6native12_GLOBAL__N_18offset_tEEE10hipError_tPvRmT1_PNSt15iterator_traitsIS13_E10value_typeET2_T3_PNS14_IS19_E10value_typeET4_jRbjT5_S1F_jjP12ihipStream_tbEUljE_ZNSN_ISO_Lb0ESR_SS_SU_SV_SZ_EES10_S11_S12_S13_S17_S18_S19_S1C_S1D_jS1E_jS1F_S1F_jjS1H_bEUljE0_EEES10_S11_S12_S19_S1D_S1F_T6_T7_T9_mT8_S1H_bDpT10_ENKUlT_T0_E_clISt17integral_constantIbLb0EES1U_IbLb1EEEEDaS1Q_S1R_EUlS1Q_E_NS1_11comp_targetILNS1_3genE2ELNS1_11target_archE906ELNS1_3gpuE6ELNS1_3repE0EEENS1_30default_config_static_selectorELNS0_4arch9wavefront6targetE0EEEvS13_
	.p2align	8
	.type	_ZN7rocprim17ROCPRIM_400000_NS6detail17trampoline_kernelINS0_13select_configILj256ELj13ELNS0_17block_load_methodE3ELS4_3ELS4_3ELNS0_20block_scan_algorithmE0ELj4294967295EEENS1_25partition_config_selectorILNS1_17partition_subalgoE4EjNS0_10empty_typeEbEEZZNS1_14partition_implILS8_4ELb0ES6_15HIP_vector_typeIjLj2EENS0_17counting_iteratorIjlEEPS9_SG_NS0_5tupleIJPjSI_NS0_16reverse_iteratorISI_EEEEENSH_IJSG_SG_SG_EEES9_SI_JZNS1_25segmented_radix_sort_implINS0_14default_configELb0EPK12hip_bfloat16PSP_PKlPlN2at6native12_GLOBAL__N_18offset_tEEE10hipError_tPvRmT1_PNSt15iterator_traitsIS13_E10value_typeET2_T3_PNS14_IS19_E10value_typeET4_jRbjT5_S1F_jjP12ihipStream_tbEUljE_ZNSN_ISO_Lb0ESR_SS_SU_SV_SZ_EES10_S11_S12_S13_S17_S18_S19_S1C_S1D_jS1E_jS1F_S1F_jjS1H_bEUljE0_EEES10_S11_S12_S19_S1D_S1F_T6_T7_T9_mT8_S1H_bDpT10_ENKUlT_T0_E_clISt17integral_constantIbLb0EES1U_IbLb1EEEEDaS1Q_S1R_EUlS1Q_E_NS1_11comp_targetILNS1_3genE2ELNS1_11target_archE906ELNS1_3gpuE6ELNS1_3repE0EEENS1_30default_config_static_selectorELNS0_4arch9wavefront6targetE0EEEvS13_,@function
_ZN7rocprim17ROCPRIM_400000_NS6detail17trampoline_kernelINS0_13select_configILj256ELj13ELNS0_17block_load_methodE3ELS4_3ELS4_3ELNS0_20block_scan_algorithmE0ELj4294967295EEENS1_25partition_config_selectorILNS1_17partition_subalgoE4EjNS0_10empty_typeEbEEZZNS1_14partition_implILS8_4ELb0ES6_15HIP_vector_typeIjLj2EENS0_17counting_iteratorIjlEEPS9_SG_NS0_5tupleIJPjSI_NS0_16reverse_iteratorISI_EEEEENSH_IJSG_SG_SG_EEES9_SI_JZNS1_25segmented_radix_sort_implINS0_14default_configELb0EPK12hip_bfloat16PSP_PKlPlN2at6native12_GLOBAL__N_18offset_tEEE10hipError_tPvRmT1_PNSt15iterator_traitsIS13_E10value_typeET2_T3_PNS14_IS19_E10value_typeET4_jRbjT5_S1F_jjP12ihipStream_tbEUljE_ZNSN_ISO_Lb0ESR_SS_SU_SV_SZ_EES10_S11_S12_S13_S17_S18_S19_S1C_S1D_jS1E_jS1F_S1F_jjS1H_bEUljE0_EEES10_S11_S12_S19_S1D_S1F_T6_T7_T9_mT8_S1H_bDpT10_ENKUlT_T0_E_clISt17integral_constantIbLb0EES1U_IbLb1EEEEDaS1Q_S1R_EUlS1Q_E_NS1_11comp_targetILNS1_3genE2ELNS1_11target_archE906ELNS1_3gpuE6ELNS1_3repE0EEENS1_30default_config_static_selectorELNS0_4arch9wavefront6targetE0EEEvS13_: ; @_ZN7rocprim17ROCPRIM_400000_NS6detail17trampoline_kernelINS0_13select_configILj256ELj13ELNS0_17block_load_methodE3ELS4_3ELS4_3ELNS0_20block_scan_algorithmE0ELj4294967295EEENS1_25partition_config_selectorILNS1_17partition_subalgoE4EjNS0_10empty_typeEbEEZZNS1_14partition_implILS8_4ELb0ES6_15HIP_vector_typeIjLj2EENS0_17counting_iteratorIjlEEPS9_SG_NS0_5tupleIJPjSI_NS0_16reverse_iteratorISI_EEEEENSH_IJSG_SG_SG_EEES9_SI_JZNS1_25segmented_radix_sort_implINS0_14default_configELb0EPK12hip_bfloat16PSP_PKlPlN2at6native12_GLOBAL__N_18offset_tEEE10hipError_tPvRmT1_PNSt15iterator_traitsIS13_E10value_typeET2_T3_PNS14_IS19_E10value_typeET4_jRbjT5_S1F_jjP12ihipStream_tbEUljE_ZNSN_ISO_Lb0ESR_SS_SU_SV_SZ_EES10_S11_S12_S13_S17_S18_S19_S1C_S1D_jS1E_jS1F_S1F_jjS1H_bEUljE0_EEES10_S11_S12_S19_S1D_S1F_T6_T7_T9_mT8_S1H_bDpT10_ENKUlT_T0_E_clISt17integral_constantIbLb0EES1U_IbLb1EEEEDaS1Q_S1R_EUlS1Q_E_NS1_11comp_targetILNS1_3genE2ELNS1_11target_archE906ELNS1_3gpuE6ELNS1_3repE0EEENS1_30default_config_static_selectorELNS0_4arch9wavefront6targetE0EEEvS13_
; %bb.0:
	.section	.rodata,"a",@progbits
	.p2align	6, 0x0
	.amdhsa_kernel _ZN7rocprim17ROCPRIM_400000_NS6detail17trampoline_kernelINS0_13select_configILj256ELj13ELNS0_17block_load_methodE3ELS4_3ELS4_3ELNS0_20block_scan_algorithmE0ELj4294967295EEENS1_25partition_config_selectorILNS1_17partition_subalgoE4EjNS0_10empty_typeEbEEZZNS1_14partition_implILS8_4ELb0ES6_15HIP_vector_typeIjLj2EENS0_17counting_iteratorIjlEEPS9_SG_NS0_5tupleIJPjSI_NS0_16reverse_iteratorISI_EEEEENSH_IJSG_SG_SG_EEES9_SI_JZNS1_25segmented_radix_sort_implINS0_14default_configELb0EPK12hip_bfloat16PSP_PKlPlN2at6native12_GLOBAL__N_18offset_tEEE10hipError_tPvRmT1_PNSt15iterator_traitsIS13_E10value_typeET2_T3_PNS14_IS19_E10value_typeET4_jRbjT5_S1F_jjP12ihipStream_tbEUljE_ZNSN_ISO_Lb0ESR_SS_SU_SV_SZ_EES10_S11_S12_S13_S17_S18_S19_S1C_S1D_jS1E_jS1F_S1F_jjS1H_bEUljE0_EEES10_S11_S12_S19_S1D_S1F_T6_T7_T9_mT8_S1H_bDpT10_ENKUlT_T0_E_clISt17integral_constantIbLb0EES1U_IbLb1EEEEDaS1Q_S1R_EUlS1Q_E_NS1_11comp_targetILNS1_3genE2ELNS1_11target_archE906ELNS1_3gpuE6ELNS1_3repE0EEENS1_30default_config_static_selectorELNS0_4arch9wavefront6targetE0EEEvS13_
		.amdhsa_group_segment_fixed_size 0
		.amdhsa_private_segment_fixed_size 0
		.amdhsa_kernarg_size 184
		.amdhsa_user_sgpr_count 15
		.amdhsa_user_sgpr_dispatch_ptr 0
		.amdhsa_user_sgpr_queue_ptr 0
		.amdhsa_user_sgpr_kernarg_segment_ptr 1
		.amdhsa_user_sgpr_dispatch_id 0
		.amdhsa_user_sgpr_private_segment_size 0
		.amdhsa_wavefront_size32 1
		.amdhsa_uses_dynamic_stack 0
		.amdhsa_enable_private_segment 0
		.amdhsa_system_sgpr_workgroup_id_x 1
		.amdhsa_system_sgpr_workgroup_id_y 0
		.amdhsa_system_sgpr_workgroup_id_z 0
		.amdhsa_system_sgpr_workgroup_info 0
		.amdhsa_system_vgpr_workitem_id 0
		.amdhsa_next_free_vgpr 1
		.amdhsa_next_free_sgpr 1
		.amdhsa_reserve_vcc 0
		.amdhsa_float_round_mode_32 0
		.amdhsa_float_round_mode_16_64 0
		.amdhsa_float_denorm_mode_32 3
		.amdhsa_float_denorm_mode_16_64 3
		.amdhsa_dx10_clamp 1
		.amdhsa_ieee_mode 1
		.amdhsa_fp16_overflow 0
		.amdhsa_workgroup_processor_mode 1
		.amdhsa_memory_ordered 1
		.amdhsa_forward_progress 0
		.amdhsa_shared_vgpr_count 0
		.amdhsa_exception_fp_ieee_invalid_op 0
		.amdhsa_exception_fp_denorm_src 0
		.amdhsa_exception_fp_ieee_div_zero 0
		.amdhsa_exception_fp_ieee_overflow 0
		.amdhsa_exception_fp_ieee_underflow 0
		.amdhsa_exception_fp_ieee_inexact 0
		.amdhsa_exception_int_div_zero 0
	.end_amdhsa_kernel
	.section	.text._ZN7rocprim17ROCPRIM_400000_NS6detail17trampoline_kernelINS0_13select_configILj256ELj13ELNS0_17block_load_methodE3ELS4_3ELS4_3ELNS0_20block_scan_algorithmE0ELj4294967295EEENS1_25partition_config_selectorILNS1_17partition_subalgoE4EjNS0_10empty_typeEbEEZZNS1_14partition_implILS8_4ELb0ES6_15HIP_vector_typeIjLj2EENS0_17counting_iteratorIjlEEPS9_SG_NS0_5tupleIJPjSI_NS0_16reverse_iteratorISI_EEEEENSH_IJSG_SG_SG_EEES9_SI_JZNS1_25segmented_radix_sort_implINS0_14default_configELb0EPK12hip_bfloat16PSP_PKlPlN2at6native12_GLOBAL__N_18offset_tEEE10hipError_tPvRmT1_PNSt15iterator_traitsIS13_E10value_typeET2_T3_PNS14_IS19_E10value_typeET4_jRbjT5_S1F_jjP12ihipStream_tbEUljE_ZNSN_ISO_Lb0ESR_SS_SU_SV_SZ_EES10_S11_S12_S13_S17_S18_S19_S1C_S1D_jS1E_jS1F_S1F_jjS1H_bEUljE0_EEES10_S11_S12_S19_S1D_S1F_T6_T7_T9_mT8_S1H_bDpT10_ENKUlT_T0_E_clISt17integral_constantIbLb0EES1U_IbLb1EEEEDaS1Q_S1R_EUlS1Q_E_NS1_11comp_targetILNS1_3genE2ELNS1_11target_archE906ELNS1_3gpuE6ELNS1_3repE0EEENS1_30default_config_static_selectorELNS0_4arch9wavefront6targetE0EEEvS13_,"axG",@progbits,_ZN7rocprim17ROCPRIM_400000_NS6detail17trampoline_kernelINS0_13select_configILj256ELj13ELNS0_17block_load_methodE3ELS4_3ELS4_3ELNS0_20block_scan_algorithmE0ELj4294967295EEENS1_25partition_config_selectorILNS1_17partition_subalgoE4EjNS0_10empty_typeEbEEZZNS1_14partition_implILS8_4ELb0ES6_15HIP_vector_typeIjLj2EENS0_17counting_iteratorIjlEEPS9_SG_NS0_5tupleIJPjSI_NS0_16reverse_iteratorISI_EEEEENSH_IJSG_SG_SG_EEES9_SI_JZNS1_25segmented_radix_sort_implINS0_14default_configELb0EPK12hip_bfloat16PSP_PKlPlN2at6native12_GLOBAL__N_18offset_tEEE10hipError_tPvRmT1_PNSt15iterator_traitsIS13_E10value_typeET2_T3_PNS14_IS19_E10value_typeET4_jRbjT5_S1F_jjP12ihipStream_tbEUljE_ZNSN_ISO_Lb0ESR_SS_SU_SV_SZ_EES10_S11_S12_S13_S17_S18_S19_S1C_S1D_jS1E_jS1F_S1F_jjS1H_bEUljE0_EEES10_S11_S12_S19_S1D_S1F_T6_T7_T9_mT8_S1H_bDpT10_ENKUlT_T0_E_clISt17integral_constantIbLb0EES1U_IbLb1EEEEDaS1Q_S1R_EUlS1Q_E_NS1_11comp_targetILNS1_3genE2ELNS1_11target_archE906ELNS1_3gpuE6ELNS1_3repE0EEENS1_30default_config_static_selectorELNS0_4arch9wavefront6targetE0EEEvS13_,comdat
.Lfunc_end2013:
	.size	_ZN7rocprim17ROCPRIM_400000_NS6detail17trampoline_kernelINS0_13select_configILj256ELj13ELNS0_17block_load_methodE3ELS4_3ELS4_3ELNS0_20block_scan_algorithmE0ELj4294967295EEENS1_25partition_config_selectorILNS1_17partition_subalgoE4EjNS0_10empty_typeEbEEZZNS1_14partition_implILS8_4ELb0ES6_15HIP_vector_typeIjLj2EENS0_17counting_iteratorIjlEEPS9_SG_NS0_5tupleIJPjSI_NS0_16reverse_iteratorISI_EEEEENSH_IJSG_SG_SG_EEES9_SI_JZNS1_25segmented_radix_sort_implINS0_14default_configELb0EPK12hip_bfloat16PSP_PKlPlN2at6native12_GLOBAL__N_18offset_tEEE10hipError_tPvRmT1_PNSt15iterator_traitsIS13_E10value_typeET2_T3_PNS14_IS19_E10value_typeET4_jRbjT5_S1F_jjP12ihipStream_tbEUljE_ZNSN_ISO_Lb0ESR_SS_SU_SV_SZ_EES10_S11_S12_S13_S17_S18_S19_S1C_S1D_jS1E_jS1F_S1F_jjS1H_bEUljE0_EEES10_S11_S12_S19_S1D_S1F_T6_T7_T9_mT8_S1H_bDpT10_ENKUlT_T0_E_clISt17integral_constantIbLb0EES1U_IbLb1EEEEDaS1Q_S1R_EUlS1Q_E_NS1_11comp_targetILNS1_3genE2ELNS1_11target_archE906ELNS1_3gpuE6ELNS1_3repE0EEENS1_30default_config_static_selectorELNS0_4arch9wavefront6targetE0EEEvS13_, .Lfunc_end2013-_ZN7rocprim17ROCPRIM_400000_NS6detail17trampoline_kernelINS0_13select_configILj256ELj13ELNS0_17block_load_methodE3ELS4_3ELS4_3ELNS0_20block_scan_algorithmE0ELj4294967295EEENS1_25partition_config_selectorILNS1_17partition_subalgoE4EjNS0_10empty_typeEbEEZZNS1_14partition_implILS8_4ELb0ES6_15HIP_vector_typeIjLj2EENS0_17counting_iteratorIjlEEPS9_SG_NS0_5tupleIJPjSI_NS0_16reverse_iteratorISI_EEEEENSH_IJSG_SG_SG_EEES9_SI_JZNS1_25segmented_radix_sort_implINS0_14default_configELb0EPK12hip_bfloat16PSP_PKlPlN2at6native12_GLOBAL__N_18offset_tEEE10hipError_tPvRmT1_PNSt15iterator_traitsIS13_E10value_typeET2_T3_PNS14_IS19_E10value_typeET4_jRbjT5_S1F_jjP12ihipStream_tbEUljE_ZNSN_ISO_Lb0ESR_SS_SU_SV_SZ_EES10_S11_S12_S13_S17_S18_S19_S1C_S1D_jS1E_jS1F_S1F_jjS1H_bEUljE0_EEES10_S11_S12_S19_S1D_S1F_T6_T7_T9_mT8_S1H_bDpT10_ENKUlT_T0_E_clISt17integral_constantIbLb0EES1U_IbLb1EEEEDaS1Q_S1R_EUlS1Q_E_NS1_11comp_targetILNS1_3genE2ELNS1_11target_archE906ELNS1_3gpuE6ELNS1_3repE0EEENS1_30default_config_static_selectorELNS0_4arch9wavefront6targetE0EEEvS13_
                                        ; -- End function
	.section	.AMDGPU.csdata,"",@progbits
; Kernel info:
; codeLenInByte = 0
; NumSgprs: 0
; NumVgprs: 0
; ScratchSize: 0
; MemoryBound: 0
; FloatMode: 240
; IeeeMode: 1
; LDSByteSize: 0 bytes/workgroup (compile time only)
; SGPRBlocks: 0
; VGPRBlocks: 0
; NumSGPRsForWavesPerEU: 1
; NumVGPRsForWavesPerEU: 1
; Occupancy: 16
; WaveLimiterHint : 0
; COMPUTE_PGM_RSRC2:SCRATCH_EN: 0
; COMPUTE_PGM_RSRC2:USER_SGPR: 15
; COMPUTE_PGM_RSRC2:TRAP_HANDLER: 0
; COMPUTE_PGM_RSRC2:TGID_X_EN: 1
; COMPUTE_PGM_RSRC2:TGID_Y_EN: 0
; COMPUTE_PGM_RSRC2:TGID_Z_EN: 0
; COMPUTE_PGM_RSRC2:TIDIG_COMP_CNT: 0
	.section	.text._ZN7rocprim17ROCPRIM_400000_NS6detail17trampoline_kernelINS0_13select_configILj256ELj13ELNS0_17block_load_methodE3ELS4_3ELS4_3ELNS0_20block_scan_algorithmE0ELj4294967295EEENS1_25partition_config_selectorILNS1_17partition_subalgoE4EjNS0_10empty_typeEbEEZZNS1_14partition_implILS8_4ELb0ES6_15HIP_vector_typeIjLj2EENS0_17counting_iteratorIjlEEPS9_SG_NS0_5tupleIJPjSI_NS0_16reverse_iteratorISI_EEEEENSH_IJSG_SG_SG_EEES9_SI_JZNS1_25segmented_radix_sort_implINS0_14default_configELb0EPK12hip_bfloat16PSP_PKlPlN2at6native12_GLOBAL__N_18offset_tEEE10hipError_tPvRmT1_PNSt15iterator_traitsIS13_E10value_typeET2_T3_PNS14_IS19_E10value_typeET4_jRbjT5_S1F_jjP12ihipStream_tbEUljE_ZNSN_ISO_Lb0ESR_SS_SU_SV_SZ_EES10_S11_S12_S13_S17_S18_S19_S1C_S1D_jS1E_jS1F_S1F_jjS1H_bEUljE0_EEES10_S11_S12_S19_S1D_S1F_T6_T7_T9_mT8_S1H_bDpT10_ENKUlT_T0_E_clISt17integral_constantIbLb0EES1U_IbLb1EEEEDaS1Q_S1R_EUlS1Q_E_NS1_11comp_targetILNS1_3genE10ELNS1_11target_archE1200ELNS1_3gpuE4ELNS1_3repE0EEENS1_30default_config_static_selectorELNS0_4arch9wavefront6targetE0EEEvS13_,"axG",@progbits,_ZN7rocprim17ROCPRIM_400000_NS6detail17trampoline_kernelINS0_13select_configILj256ELj13ELNS0_17block_load_methodE3ELS4_3ELS4_3ELNS0_20block_scan_algorithmE0ELj4294967295EEENS1_25partition_config_selectorILNS1_17partition_subalgoE4EjNS0_10empty_typeEbEEZZNS1_14partition_implILS8_4ELb0ES6_15HIP_vector_typeIjLj2EENS0_17counting_iteratorIjlEEPS9_SG_NS0_5tupleIJPjSI_NS0_16reverse_iteratorISI_EEEEENSH_IJSG_SG_SG_EEES9_SI_JZNS1_25segmented_radix_sort_implINS0_14default_configELb0EPK12hip_bfloat16PSP_PKlPlN2at6native12_GLOBAL__N_18offset_tEEE10hipError_tPvRmT1_PNSt15iterator_traitsIS13_E10value_typeET2_T3_PNS14_IS19_E10value_typeET4_jRbjT5_S1F_jjP12ihipStream_tbEUljE_ZNSN_ISO_Lb0ESR_SS_SU_SV_SZ_EES10_S11_S12_S13_S17_S18_S19_S1C_S1D_jS1E_jS1F_S1F_jjS1H_bEUljE0_EEES10_S11_S12_S19_S1D_S1F_T6_T7_T9_mT8_S1H_bDpT10_ENKUlT_T0_E_clISt17integral_constantIbLb0EES1U_IbLb1EEEEDaS1Q_S1R_EUlS1Q_E_NS1_11comp_targetILNS1_3genE10ELNS1_11target_archE1200ELNS1_3gpuE4ELNS1_3repE0EEENS1_30default_config_static_selectorELNS0_4arch9wavefront6targetE0EEEvS13_,comdat
	.globl	_ZN7rocprim17ROCPRIM_400000_NS6detail17trampoline_kernelINS0_13select_configILj256ELj13ELNS0_17block_load_methodE3ELS4_3ELS4_3ELNS0_20block_scan_algorithmE0ELj4294967295EEENS1_25partition_config_selectorILNS1_17partition_subalgoE4EjNS0_10empty_typeEbEEZZNS1_14partition_implILS8_4ELb0ES6_15HIP_vector_typeIjLj2EENS0_17counting_iteratorIjlEEPS9_SG_NS0_5tupleIJPjSI_NS0_16reverse_iteratorISI_EEEEENSH_IJSG_SG_SG_EEES9_SI_JZNS1_25segmented_radix_sort_implINS0_14default_configELb0EPK12hip_bfloat16PSP_PKlPlN2at6native12_GLOBAL__N_18offset_tEEE10hipError_tPvRmT1_PNSt15iterator_traitsIS13_E10value_typeET2_T3_PNS14_IS19_E10value_typeET4_jRbjT5_S1F_jjP12ihipStream_tbEUljE_ZNSN_ISO_Lb0ESR_SS_SU_SV_SZ_EES10_S11_S12_S13_S17_S18_S19_S1C_S1D_jS1E_jS1F_S1F_jjS1H_bEUljE0_EEES10_S11_S12_S19_S1D_S1F_T6_T7_T9_mT8_S1H_bDpT10_ENKUlT_T0_E_clISt17integral_constantIbLb0EES1U_IbLb1EEEEDaS1Q_S1R_EUlS1Q_E_NS1_11comp_targetILNS1_3genE10ELNS1_11target_archE1200ELNS1_3gpuE4ELNS1_3repE0EEENS1_30default_config_static_selectorELNS0_4arch9wavefront6targetE0EEEvS13_ ; -- Begin function _ZN7rocprim17ROCPRIM_400000_NS6detail17trampoline_kernelINS0_13select_configILj256ELj13ELNS0_17block_load_methodE3ELS4_3ELS4_3ELNS0_20block_scan_algorithmE0ELj4294967295EEENS1_25partition_config_selectorILNS1_17partition_subalgoE4EjNS0_10empty_typeEbEEZZNS1_14partition_implILS8_4ELb0ES6_15HIP_vector_typeIjLj2EENS0_17counting_iteratorIjlEEPS9_SG_NS0_5tupleIJPjSI_NS0_16reverse_iteratorISI_EEEEENSH_IJSG_SG_SG_EEES9_SI_JZNS1_25segmented_radix_sort_implINS0_14default_configELb0EPK12hip_bfloat16PSP_PKlPlN2at6native12_GLOBAL__N_18offset_tEEE10hipError_tPvRmT1_PNSt15iterator_traitsIS13_E10value_typeET2_T3_PNS14_IS19_E10value_typeET4_jRbjT5_S1F_jjP12ihipStream_tbEUljE_ZNSN_ISO_Lb0ESR_SS_SU_SV_SZ_EES10_S11_S12_S13_S17_S18_S19_S1C_S1D_jS1E_jS1F_S1F_jjS1H_bEUljE0_EEES10_S11_S12_S19_S1D_S1F_T6_T7_T9_mT8_S1H_bDpT10_ENKUlT_T0_E_clISt17integral_constantIbLb0EES1U_IbLb1EEEEDaS1Q_S1R_EUlS1Q_E_NS1_11comp_targetILNS1_3genE10ELNS1_11target_archE1200ELNS1_3gpuE4ELNS1_3repE0EEENS1_30default_config_static_selectorELNS0_4arch9wavefront6targetE0EEEvS13_
	.p2align	8
	.type	_ZN7rocprim17ROCPRIM_400000_NS6detail17trampoline_kernelINS0_13select_configILj256ELj13ELNS0_17block_load_methodE3ELS4_3ELS4_3ELNS0_20block_scan_algorithmE0ELj4294967295EEENS1_25partition_config_selectorILNS1_17partition_subalgoE4EjNS0_10empty_typeEbEEZZNS1_14partition_implILS8_4ELb0ES6_15HIP_vector_typeIjLj2EENS0_17counting_iteratorIjlEEPS9_SG_NS0_5tupleIJPjSI_NS0_16reverse_iteratorISI_EEEEENSH_IJSG_SG_SG_EEES9_SI_JZNS1_25segmented_radix_sort_implINS0_14default_configELb0EPK12hip_bfloat16PSP_PKlPlN2at6native12_GLOBAL__N_18offset_tEEE10hipError_tPvRmT1_PNSt15iterator_traitsIS13_E10value_typeET2_T3_PNS14_IS19_E10value_typeET4_jRbjT5_S1F_jjP12ihipStream_tbEUljE_ZNSN_ISO_Lb0ESR_SS_SU_SV_SZ_EES10_S11_S12_S13_S17_S18_S19_S1C_S1D_jS1E_jS1F_S1F_jjS1H_bEUljE0_EEES10_S11_S12_S19_S1D_S1F_T6_T7_T9_mT8_S1H_bDpT10_ENKUlT_T0_E_clISt17integral_constantIbLb0EES1U_IbLb1EEEEDaS1Q_S1R_EUlS1Q_E_NS1_11comp_targetILNS1_3genE10ELNS1_11target_archE1200ELNS1_3gpuE4ELNS1_3repE0EEENS1_30default_config_static_selectorELNS0_4arch9wavefront6targetE0EEEvS13_,@function
_ZN7rocprim17ROCPRIM_400000_NS6detail17trampoline_kernelINS0_13select_configILj256ELj13ELNS0_17block_load_methodE3ELS4_3ELS4_3ELNS0_20block_scan_algorithmE0ELj4294967295EEENS1_25partition_config_selectorILNS1_17partition_subalgoE4EjNS0_10empty_typeEbEEZZNS1_14partition_implILS8_4ELb0ES6_15HIP_vector_typeIjLj2EENS0_17counting_iteratorIjlEEPS9_SG_NS0_5tupleIJPjSI_NS0_16reverse_iteratorISI_EEEEENSH_IJSG_SG_SG_EEES9_SI_JZNS1_25segmented_radix_sort_implINS0_14default_configELb0EPK12hip_bfloat16PSP_PKlPlN2at6native12_GLOBAL__N_18offset_tEEE10hipError_tPvRmT1_PNSt15iterator_traitsIS13_E10value_typeET2_T3_PNS14_IS19_E10value_typeET4_jRbjT5_S1F_jjP12ihipStream_tbEUljE_ZNSN_ISO_Lb0ESR_SS_SU_SV_SZ_EES10_S11_S12_S13_S17_S18_S19_S1C_S1D_jS1E_jS1F_S1F_jjS1H_bEUljE0_EEES10_S11_S12_S19_S1D_S1F_T6_T7_T9_mT8_S1H_bDpT10_ENKUlT_T0_E_clISt17integral_constantIbLb0EES1U_IbLb1EEEEDaS1Q_S1R_EUlS1Q_E_NS1_11comp_targetILNS1_3genE10ELNS1_11target_archE1200ELNS1_3gpuE4ELNS1_3repE0EEENS1_30default_config_static_selectorELNS0_4arch9wavefront6targetE0EEEvS13_: ; @_ZN7rocprim17ROCPRIM_400000_NS6detail17trampoline_kernelINS0_13select_configILj256ELj13ELNS0_17block_load_methodE3ELS4_3ELS4_3ELNS0_20block_scan_algorithmE0ELj4294967295EEENS1_25partition_config_selectorILNS1_17partition_subalgoE4EjNS0_10empty_typeEbEEZZNS1_14partition_implILS8_4ELb0ES6_15HIP_vector_typeIjLj2EENS0_17counting_iteratorIjlEEPS9_SG_NS0_5tupleIJPjSI_NS0_16reverse_iteratorISI_EEEEENSH_IJSG_SG_SG_EEES9_SI_JZNS1_25segmented_radix_sort_implINS0_14default_configELb0EPK12hip_bfloat16PSP_PKlPlN2at6native12_GLOBAL__N_18offset_tEEE10hipError_tPvRmT1_PNSt15iterator_traitsIS13_E10value_typeET2_T3_PNS14_IS19_E10value_typeET4_jRbjT5_S1F_jjP12ihipStream_tbEUljE_ZNSN_ISO_Lb0ESR_SS_SU_SV_SZ_EES10_S11_S12_S13_S17_S18_S19_S1C_S1D_jS1E_jS1F_S1F_jjS1H_bEUljE0_EEES10_S11_S12_S19_S1D_S1F_T6_T7_T9_mT8_S1H_bDpT10_ENKUlT_T0_E_clISt17integral_constantIbLb0EES1U_IbLb1EEEEDaS1Q_S1R_EUlS1Q_E_NS1_11comp_targetILNS1_3genE10ELNS1_11target_archE1200ELNS1_3gpuE4ELNS1_3repE0EEENS1_30default_config_static_selectorELNS0_4arch9wavefront6targetE0EEEvS13_
; %bb.0:
	.section	.rodata,"a",@progbits
	.p2align	6, 0x0
	.amdhsa_kernel _ZN7rocprim17ROCPRIM_400000_NS6detail17trampoline_kernelINS0_13select_configILj256ELj13ELNS0_17block_load_methodE3ELS4_3ELS4_3ELNS0_20block_scan_algorithmE0ELj4294967295EEENS1_25partition_config_selectorILNS1_17partition_subalgoE4EjNS0_10empty_typeEbEEZZNS1_14partition_implILS8_4ELb0ES6_15HIP_vector_typeIjLj2EENS0_17counting_iteratorIjlEEPS9_SG_NS0_5tupleIJPjSI_NS0_16reverse_iteratorISI_EEEEENSH_IJSG_SG_SG_EEES9_SI_JZNS1_25segmented_radix_sort_implINS0_14default_configELb0EPK12hip_bfloat16PSP_PKlPlN2at6native12_GLOBAL__N_18offset_tEEE10hipError_tPvRmT1_PNSt15iterator_traitsIS13_E10value_typeET2_T3_PNS14_IS19_E10value_typeET4_jRbjT5_S1F_jjP12ihipStream_tbEUljE_ZNSN_ISO_Lb0ESR_SS_SU_SV_SZ_EES10_S11_S12_S13_S17_S18_S19_S1C_S1D_jS1E_jS1F_S1F_jjS1H_bEUljE0_EEES10_S11_S12_S19_S1D_S1F_T6_T7_T9_mT8_S1H_bDpT10_ENKUlT_T0_E_clISt17integral_constantIbLb0EES1U_IbLb1EEEEDaS1Q_S1R_EUlS1Q_E_NS1_11comp_targetILNS1_3genE10ELNS1_11target_archE1200ELNS1_3gpuE4ELNS1_3repE0EEENS1_30default_config_static_selectorELNS0_4arch9wavefront6targetE0EEEvS13_
		.amdhsa_group_segment_fixed_size 0
		.amdhsa_private_segment_fixed_size 0
		.amdhsa_kernarg_size 184
		.amdhsa_user_sgpr_count 15
		.amdhsa_user_sgpr_dispatch_ptr 0
		.amdhsa_user_sgpr_queue_ptr 0
		.amdhsa_user_sgpr_kernarg_segment_ptr 1
		.amdhsa_user_sgpr_dispatch_id 0
		.amdhsa_user_sgpr_private_segment_size 0
		.amdhsa_wavefront_size32 1
		.amdhsa_uses_dynamic_stack 0
		.amdhsa_enable_private_segment 0
		.amdhsa_system_sgpr_workgroup_id_x 1
		.amdhsa_system_sgpr_workgroup_id_y 0
		.amdhsa_system_sgpr_workgroup_id_z 0
		.amdhsa_system_sgpr_workgroup_info 0
		.amdhsa_system_vgpr_workitem_id 0
		.amdhsa_next_free_vgpr 1
		.amdhsa_next_free_sgpr 1
		.amdhsa_reserve_vcc 0
		.amdhsa_float_round_mode_32 0
		.amdhsa_float_round_mode_16_64 0
		.amdhsa_float_denorm_mode_32 3
		.amdhsa_float_denorm_mode_16_64 3
		.amdhsa_dx10_clamp 1
		.amdhsa_ieee_mode 1
		.amdhsa_fp16_overflow 0
		.amdhsa_workgroup_processor_mode 1
		.amdhsa_memory_ordered 1
		.amdhsa_forward_progress 0
		.amdhsa_shared_vgpr_count 0
		.amdhsa_exception_fp_ieee_invalid_op 0
		.amdhsa_exception_fp_denorm_src 0
		.amdhsa_exception_fp_ieee_div_zero 0
		.amdhsa_exception_fp_ieee_overflow 0
		.amdhsa_exception_fp_ieee_underflow 0
		.amdhsa_exception_fp_ieee_inexact 0
		.amdhsa_exception_int_div_zero 0
	.end_amdhsa_kernel
	.section	.text._ZN7rocprim17ROCPRIM_400000_NS6detail17trampoline_kernelINS0_13select_configILj256ELj13ELNS0_17block_load_methodE3ELS4_3ELS4_3ELNS0_20block_scan_algorithmE0ELj4294967295EEENS1_25partition_config_selectorILNS1_17partition_subalgoE4EjNS0_10empty_typeEbEEZZNS1_14partition_implILS8_4ELb0ES6_15HIP_vector_typeIjLj2EENS0_17counting_iteratorIjlEEPS9_SG_NS0_5tupleIJPjSI_NS0_16reverse_iteratorISI_EEEEENSH_IJSG_SG_SG_EEES9_SI_JZNS1_25segmented_radix_sort_implINS0_14default_configELb0EPK12hip_bfloat16PSP_PKlPlN2at6native12_GLOBAL__N_18offset_tEEE10hipError_tPvRmT1_PNSt15iterator_traitsIS13_E10value_typeET2_T3_PNS14_IS19_E10value_typeET4_jRbjT5_S1F_jjP12ihipStream_tbEUljE_ZNSN_ISO_Lb0ESR_SS_SU_SV_SZ_EES10_S11_S12_S13_S17_S18_S19_S1C_S1D_jS1E_jS1F_S1F_jjS1H_bEUljE0_EEES10_S11_S12_S19_S1D_S1F_T6_T7_T9_mT8_S1H_bDpT10_ENKUlT_T0_E_clISt17integral_constantIbLb0EES1U_IbLb1EEEEDaS1Q_S1R_EUlS1Q_E_NS1_11comp_targetILNS1_3genE10ELNS1_11target_archE1200ELNS1_3gpuE4ELNS1_3repE0EEENS1_30default_config_static_selectorELNS0_4arch9wavefront6targetE0EEEvS13_,"axG",@progbits,_ZN7rocprim17ROCPRIM_400000_NS6detail17trampoline_kernelINS0_13select_configILj256ELj13ELNS0_17block_load_methodE3ELS4_3ELS4_3ELNS0_20block_scan_algorithmE0ELj4294967295EEENS1_25partition_config_selectorILNS1_17partition_subalgoE4EjNS0_10empty_typeEbEEZZNS1_14partition_implILS8_4ELb0ES6_15HIP_vector_typeIjLj2EENS0_17counting_iteratorIjlEEPS9_SG_NS0_5tupleIJPjSI_NS0_16reverse_iteratorISI_EEEEENSH_IJSG_SG_SG_EEES9_SI_JZNS1_25segmented_radix_sort_implINS0_14default_configELb0EPK12hip_bfloat16PSP_PKlPlN2at6native12_GLOBAL__N_18offset_tEEE10hipError_tPvRmT1_PNSt15iterator_traitsIS13_E10value_typeET2_T3_PNS14_IS19_E10value_typeET4_jRbjT5_S1F_jjP12ihipStream_tbEUljE_ZNSN_ISO_Lb0ESR_SS_SU_SV_SZ_EES10_S11_S12_S13_S17_S18_S19_S1C_S1D_jS1E_jS1F_S1F_jjS1H_bEUljE0_EEES10_S11_S12_S19_S1D_S1F_T6_T7_T9_mT8_S1H_bDpT10_ENKUlT_T0_E_clISt17integral_constantIbLb0EES1U_IbLb1EEEEDaS1Q_S1R_EUlS1Q_E_NS1_11comp_targetILNS1_3genE10ELNS1_11target_archE1200ELNS1_3gpuE4ELNS1_3repE0EEENS1_30default_config_static_selectorELNS0_4arch9wavefront6targetE0EEEvS13_,comdat
.Lfunc_end2014:
	.size	_ZN7rocprim17ROCPRIM_400000_NS6detail17trampoline_kernelINS0_13select_configILj256ELj13ELNS0_17block_load_methodE3ELS4_3ELS4_3ELNS0_20block_scan_algorithmE0ELj4294967295EEENS1_25partition_config_selectorILNS1_17partition_subalgoE4EjNS0_10empty_typeEbEEZZNS1_14partition_implILS8_4ELb0ES6_15HIP_vector_typeIjLj2EENS0_17counting_iteratorIjlEEPS9_SG_NS0_5tupleIJPjSI_NS0_16reverse_iteratorISI_EEEEENSH_IJSG_SG_SG_EEES9_SI_JZNS1_25segmented_radix_sort_implINS0_14default_configELb0EPK12hip_bfloat16PSP_PKlPlN2at6native12_GLOBAL__N_18offset_tEEE10hipError_tPvRmT1_PNSt15iterator_traitsIS13_E10value_typeET2_T3_PNS14_IS19_E10value_typeET4_jRbjT5_S1F_jjP12ihipStream_tbEUljE_ZNSN_ISO_Lb0ESR_SS_SU_SV_SZ_EES10_S11_S12_S13_S17_S18_S19_S1C_S1D_jS1E_jS1F_S1F_jjS1H_bEUljE0_EEES10_S11_S12_S19_S1D_S1F_T6_T7_T9_mT8_S1H_bDpT10_ENKUlT_T0_E_clISt17integral_constantIbLb0EES1U_IbLb1EEEEDaS1Q_S1R_EUlS1Q_E_NS1_11comp_targetILNS1_3genE10ELNS1_11target_archE1200ELNS1_3gpuE4ELNS1_3repE0EEENS1_30default_config_static_selectorELNS0_4arch9wavefront6targetE0EEEvS13_, .Lfunc_end2014-_ZN7rocprim17ROCPRIM_400000_NS6detail17trampoline_kernelINS0_13select_configILj256ELj13ELNS0_17block_load_methodE3ELS4_3ELS4_3ELNS0_20block_scan_algorithmE0ELj4294967295EEENS1_25partition_config_selectorILNS1_17partition_subalgoE4EjNS0_10empty_typeEbEEZZNS1_14partition_implILS8_4ELb0ES6_15HIP_vector_typeIjLj2EENS0_17counting_iteratorIjlEEPS9_SG_NS0_5tupleIJPjSI_NS0_16reverse_iteratorISI_EEEEENSH_IJSG_SG_SG_EEES9_SI_JZNS1_25segmented_radix_sort_implINS0_14default_configELb0EPK12hip_bfloat16PSP_PKlPlN2at6native12_GLOBAL__N_18offset_tEEE10hipError_tPvRmT1_PNSt15iterator_traitsIS13_E10value_typeET2_T3_PNS14_IS19_E10value_typeET4_jRbjT5_S1F_jjP12ihipStream_tbEUljE_ZNSN_ISO_Lb0ESR_SS_SU_SV_SZ_EES10_S11_S12_S13_S17_S18_S19_S1C_S1D_jS1E_jS1F_S1F_jjS1H_bEUljE0_EEES10_S11_S12_S19_S1D_S1F_T6_T7_T9_mT8_S1H_bDpT10_ENKUlT_T0_E_clISt17integral_constantIbLb0EES1U_IbLb1EEEEDaS1Q_S1R_EUlS1Q_E_NS1_11comp_targetILNS1_3genE10ELNS1_11target_archE1200ELNS1_3gpuE4ELNS1_3repE0EEENS1_30default_config_static_selectorELNS0_4arch9wavefront6targetE0EEEvS13_
                                        ; -- End function
	.section	.AMDGPU.csdata,"",@progbits
; Kernel info:
; codeLenInByte = 0
; NumSgprs: 0
; NumVgprs: 0
; ScratchSize: 0
; MemoryBound: 0
; FloatMode: 240
; IeeeMode: 1
; LDSByteSize: 0 bytes/workgroup (compile time only)
; SGPRBlocks: 0
; VGPRBlocks: 0
; NumSGPRsForWavesPerEU: 1
; NumVGPRsForWavesPerEU: 1
; Occupancy: 16
; WaveLimiterHint : 0
; COMPUTE_PGM_RSRC2:SCRATCH_EN: 0
; COMPUTE_PGM_RSRC2:USER_SGPR: 15
; COMPUTE_PGM_RSRC2:TRAP_HANDLER: 0
; COMPUTE_PGM_RSRC2:TGID_X_EN: 1
; COMPUTE_PGM_RSRC2:TGID_Y_EN: 0
; COMPUTE_PGM_RSRC2:TGID_Z_EN: 0
; COMPUTE_PGM_RSRC2:TIDIG_COMP_CNT: 0
	.section	.text._ZN7rocprim17ROCPRIM_400000_NS6detail17trampoline_kernelINS0_13select_configILj256ELj13ELNS0_17block_load_methodE3ELS4_3ELS4_3ELNS0_20block_scan_algorithmE0ELj4294967295EEENS1_25partition_config_selectorILNS1_17partition_subalgoE4EjNS0_10empty_typeEbEEZZNS1_14partition_implILS8_4ELb0ES6_15HIP_vector_typeIjLj2EENS0_17counting_iteratorIjlEEPS9_SG_NS0_5tupleIJPjSI_NS0_16reverse_iteratorISI_EEEEENSH_IJSG_SG_SG_EEES9_SI_JZNS1_25segmented_radix_sort_implINS0_14default_configELb0EPK12hip_bfloat16PSP_PKlPlN2at6native12_GLOBAL__N_18offset_tEEE10hipError_tPvRmT1_PNSt15iterator_traitsIS13_E10value_typeET2_T3_PNS14_IS19_E10value_typeET4_jRbjT5_S1F_jjP12ihipStream_tbEUljE_ZNSN_ISO_Lb0ESR_SS_SU_SV_SZ_EES10_S11_S12_S13_S17_S18_S19_S1C_S1D_jS1E_jS1F_S1F_jjS1H_bEUljE0_EEES10_S11_S12_S19_S1D_S1F_T6_T7_T9_mT8_S1H_bDpT10_ENKUlT_T0_E_clISt17integral_constantIbLb0EES1U_IbLb1EEEEDaS1Q_S1R_EUlS1Q_E_NS1_11comp_targetILNS1_3genE9ELNS1_11target_archE1100ELNS1_3gpuE3ELNS1_3repE0EEENS1_30default_config_static_selectorELNS0_4arch9wavefront6targetE0EEEvS13_,"axG",@progbits,_ZN7rocprim17ROCPRIM_400000_NS6detail17trampoline_kernelINS0_13select_configILj256ELj13ELNS0_17block_load_methodE3ELS4_3ELS4_3ELNS0_20block_scan_algorithmE0ELj4294967295EEENS1_25partition_config_selectorILNS1_17partition_subalgoE4EjNS0_10empty_typeEbEEZZNS1_14partition_implILS8_4ELb0ES6_15HIP_vector_typeIjLj2EENS0_17counting_iteratorIjlEEPS9_SG_NS0_5tupleIJPjSI_NS0_16reverse_iteratorISI_EEEEENSH_IJSG_SG_SG_EEES9_SI_JZNS1_25segmented_radix_sort_implINS0_14default_configELb0EPK12hip_bfloat16PSP_PKlPlN2at6native12_GLOBAL__N_18offset_tEEE10hipError_tPvRmT1_PNSt15iterator_traitsIS13_E10value_typeET2_T3_PNS14_IS19_E10value_typeET4_jRbjT5_S1F_jjP12ihipStream_tbEUljE_ZNSN_ISO_Lb0ESR_SS_SU_SV_SZ_EES10_S11_S12_S13_S17_S18_S19_S1C_S1D_jS1E_jS1F_S1F_jjS1H_bEUljE0_EEES10_S11_S12_S19_S1D_S1F_T6_T7_T9_mT8_S1H_bDpT10_ENKUlT_T0_E_clISt17integral_constantIbLb0EES1U_IbLb1EEEEDaS1Q_S1R_EUlS1Q_E_NS1_11comp_targetILNS1_3genE9ELNS1_11target_archE1100ELNS1_3gpuE3ELNS1_3repE0EEENS1_30default_config_static_selectorELNS0_4arch9wavefront6targetE0EEEvS13_,comdat
	.globl	_ZN7rocprim17ROCPRIM_400000_NS6detail17trampoline_kernelINS0_13select_configILj256ELj13ELNS0_17block_load_methodE3ELS4_3ELS4_3ELNS0_20block_scan_algorithmE0ELj4294967295EEENS1_25partition_config_selectorILNS1_17partition_subalgoE4EjNS0_10empty_typeEbEEZZNS1_14partition_implILS8_4ELb0ES6_15HIP_vector_typeIjLj2EENS0_17counting_iteratorIjlEEPS9_SG_NS0_5tupleIJPjSI_NS0_16reverse_iteratorISI_EEEEENSH_IJSG_SG_SG_EEES9_SI_JZNS1_25segmented_radix_sort_implINS0_14default_configELb0EPK12hip_bfloat16PSP_PKlPlN2at6native12_GLOBAL__N_18offset_tEEE10hipError_tPvRmT1_PNSt15iterator_traitsIS13_E10value_typeET2_T3_PNS14_IS19_E10value_typeET4_jRbjT5_S1F_jjP12ihipStream_tbEUljE_ZNSN_ISO_Lb0ESR_SS_SU_SV_SZ_EES10_S11_S12_S13_S17_S18_S19_S1C_S1D_jS1E_jS1F_S1F_jjS1H_bEUljE0_EEES10_S11_S12_S19_S1D_S1F_T6_T7_T9_mT8_S1H_bDpT10_ENKUlT_T0_E_clISt17integral_constantIbLb0EES1U_IbLb1EEEEDaS1Q_S1R_EUlS1Q_E_NS1_11comp_targetILNS1_3genE9ELNS1_11target_archE1100ELNS1_3gpuE3ELNS1_3repE0EEENS1_30default_config_static_selectorELNS0_4arch9wavefront6targetE0EEEvS13_ ; -- Begin function _ZN7rocprim17ROCPRIM_400000_NS6detail17trampoline_kernelINS0_13select_configILj256ELj13ELNS0_17block_load_methodE3ELS4_3ELS4_3ELNS0_20block_scan_algorithmE0ELj4294967295EEENS1_25partition_config_selectorILNS1_17partition_subalgoE4EjNS0_10empty_typeEbEEZZNS1_14partition_implILS8_4ELb0ES6_15HIP_vector_typeIjLj2EENS0_17counting_iteratorIjlEEPS9_SG_NS0_5tupleIJPjSI_NS0_16reverse_iteratorISI_EEEEENSH_IJSG_SG_SG_EEES9_SI_JZNS1_25segmented_radix_sort_implINS0_14default_configELb0EPK12hip_bfloat16PSP_PKlPlN2at6native12_GLOBAL__N_18offset_tEEE10hipError_tPvRmT1_PNSt15iterator_traitsIS13_E10value_typeET2_T3_PNS14_IS19_E10value_typeET4_jRbjT5_S1F_jjP12ihipStream_tbEUljE_ZNSN_ISO_Lb0ESR_SS_SU_SV_SZ_EES10_S11_S12_S13_S17_S18_S19_S1C_S1D_jS1E_jS1F_S1F_jjS1H_bEUljE0_EEES10_S11_S12_S19_S1D_S1F_T6_T7_T9_mT8_S1H_bDpT10_ENKUlT_T0_E_clISt17integral_constantIbLb0EES1U_IbLb1EEEEDaS1Q_S1R_EUlS1Q_E_NS1_11comp_targetILNS1_3genE9ELNS1_11target_archE1100ELNS1_3gpuE3ELNS1_3repE0EEENS1_30default_config_static_selectorELNS0_4arch9wavefront6targetE0EEEvS13_
	.p2align	8
	.type	_ZN7rocprim17ROCPRIM_400000_NS6detail17trampoline_kernelINS0_13select_configILj256ELj13ELNS0_17block_load_methodE3ELS4_3ELS4_3ELNS0_20block_scan_algorithmE0ELj4294967295EEENS1_25partition_config_selectorILNS1_17partition_subalgoE4EjNS0_10empty_typeEbEEZZNS1_14partition_implILS8_4ELb0ES6_15HIP_vector_typeIjLj2EENS0_17counting_iteratorIjlEEPS9_SG_NS0_5tupleIJPjSI_NS0_16reverse_iteratorISI_EEEEENSH_IJSG_SG_SG_EEES9_SI_JZNS1_25segmented_radix_sort_implINS0_14default_configELb0EPK12hip_bfloat16PSP_PKlPlN2at6native12_GLOBAL__N_18offset_tEEE10hipError_tPvRmT1_PNSt15iterator_traitsIS13_E10value_typeET2_T3_PNS14_IS19_E10value_typeET4_jRbjT5_S1F_jjP12ihipStream_tbEUljE_ZNSN_ISO_Lb0ESR_SS_SU_SV_SZ_EES10_S11_S12_S13_S17_S18_S19_S1C_S1D_jS1E_jS1F_S1F_jjS1H_bEUljE0_EEES10_S11_S12_S19_S1D_S1F_T6_T7_T9_mT8_S1H_bDpT10_ENKUlT_T0_E_clISt17integral_constantIbLb0EES1U_IbLb1EEEEDaS1Q_S1R_EUlS1Q_E_NS1_11comp_targetILNS1_3genE9ELNS1_11target_archE1100ELNS1_3gpuE3ELNS1_3repE0EEENS1_30default_config_static_selectorELNS0_4arch9wavefront6targetE0EEEvS13_,@function
_ZN7rocprim17ROCPRIM_400000_NS6detail17trampoline_kernelINS0_13select_configILj256ELj13ELNS0_17block_load_methodE3ELS4_3ELS4_3ELNS0_20block_scan_algorithmE0ELj4294967295EEENS1_25partition_config_selectorILNS1_17partition_subalgoE4EjNS0_10empty_typeEbEEZZNS1_14partition_implILS8_4ELb0ES6_15HIP_vector_typeIjLj2EENS0_17counting_iteratorIjlEEPS9_SG_NS0_5tupleIJPjSI_NS0_16reverse_iteratorISI_EEEEENSH_IJSG_SG_SG_EEES9_SI_JZNS1_25segmented_radix_sort_implINS0_14default_configELb0EPK12hip_bfloat16PSP_PKlPlN2at6native12_GLOBAL__N_18offset_tEEE10hipError_tPvRmT1_PNSt15iterator_traitsIS13_E10value_typeET2_T3_PNS14_IS19_E10value_typeET4_jRbjT5_S1F_jjP12ihipStream_tbEUljE_ZNSN_ISO_Lb0ESR_SS_SU_SV_SZ_EES10_S11_S12_S13_S17_S18_S19_S1C_S1D_jS1E_jS1F_S1F_jjS1H_bEUljE0_EEES10_S11_S12_S19_S1D_S1F_T6_T7_T9_mT8_S1H_bDpT10_ENKUlT_T0_E_clISt17integral_constantIbLb0EES1U_IbLb1EEEEDaS1Q_S1R_EUlS1Q_E_NS1_11comp_targetILNS1_3genE9ELNS1_11target_archE1100ELNS1_3gpuE3ELNS1_3repE0EEENS1_30default_config_static_selectorELNS0_4arch9wavefront6targetE0EEEvS13_: ; @_ZN7rocprim17ROCPRIM_400000_NS6detail17trampoline_kernelINS0_13select_configILj256ELj13ELNS0_17block_load_methodE3ELS4_3ELS4_3ELNS0_20block_scan_algorithmE0ELj4294967295EEENS1_25partition_config_selectorILNS1_17partition_subalgoE4EjNS0_10empty_typeEbEEZZNS1_14partition_implILS8_4ELb0ES6_15HIP_vector_typeIjLj2EENS0_17counting_iteratorIjlEEPS9_SG_NS0_5tupleIJPjSI_NS0_16reverse_iteratorISI_EEEEENSH_IJSG_SG_SG_EEES9_SI_JZNS1_25segmented_radix_sort_implINS0_14default_configELb0EPK12hip_bfloat16PSP_PKlPlN2at6native12_GLOBAL__N_18offset_tEEE10hipError_tPvRmT1_PNSt15iterator_traitsIS13_E10value_typeET2_T3_PNS14_IS19_E10value_typeET4_jRbjT5_S1F_jjP12ihipStream_tbEUljE_ZNSN_ISO_Lb0ESR_SS_SU_SV_SZ_EES10_S11_S12_S13_S17_S18_S19_S1C_S1D_jS1E_jS1F_S1F_jjS1H_bEUljE0_EEES10_S11_S12_S19_S1D_S1F_T6_T7_T9_mT8_S1H_bDpT10_ENKUlT_T0_E_clISt17integral_constantIbLb0EES1U_IbLb1EEEEDaS1Q_S1R_EUlS1Q_E_NS1_11comp_targetILNS1_3genE9ELNS1_11target_archE1100ELNS1_3gpuE3ELNS1_3repE0EEENS1_30default_config_static_selectorELNS0_4arch9wavefront6targetE0EEEvS13_
; %bb.0:
	s_clause 0x7
	s_load_b64 s[34:35], s[0:1], 0x10
	s_load_b128 s[28:31], s[0:1], 0x28
	s_load_b64 s[14:15], s[0:1], 0x38
	s_load_b128 s[24:27], s[0:1], 0x58
	s_load_b64 s[4:5], s[0:1], 0x68
	s_load_b64 s[36:37], s[0:1], 0x78
	;; [unrolled: 1-line block ×3, first 2 shown]
	s_load_b256 s[16:23], s[0:1], 0x90
	v_cmp_eq_u32_e64 s2, 0, v0
	s_delay_alu instid0(VALU_DEP_1)
	s_and_saveexec_b32 s3, s2
	s_cbranch_execz .LBB2015_4
; %bb.1:
	s_mov_b32 s7, exec_lo
	s_mov_b32 s6, exec_lo
	v_mbcnt_lo_u32_b32 v1, s7, 0
                                        ; implicit-def: $vgpr2
	s_delay_alu instid0(VALU_DEP_1)
	v_cmpx_eq_u32_e32 0, v1
	s_cbranch_execz .LBB2015_3
; %bb.2:
	s_load_b64 s[8:9], s[0:1], 0x88
	s_bcnt1_i32_b32 s7, s7
	s_delay_alu instid0(SALU_CYCLE_1)
	v_dual_mov_b32 v2, 0 :: v_dual_mov_b32 v3, s7
	s_waitcnt lgkmcnt(0)
	global_atomic_add_u32 v2, v2, v3, s[8:9] glc
.LBB2015_3:
	s_or_b32 exec_lo, exec_lo, s6
	s_waitcnt vmcnt(0)
	v_readfirstlane_b32 s6, v2
	s_delay_alu instid0(VALU_DEP_1)
	v_dual_mov_b32 v2, 0 :: v_dual_add_nc_u32 v1, s6, v1
	ds_store_b32 v2, v1
.LBB2015_4:
	s_or_b32 exec_lo, exec_lo, s3
	v_mov_b32_e32 v1, 0
	s_clause 0x1
	s_load_b32 s3, s[0:1], 0x8
	s_load_b32 s0, s[0:1], 0x80
	s_waitcnt lgkmcnt(0)
	s_barrier
	buffer_gl0_inv
	ds_load_b32 v5, v1
	s_waitcnt lgkmcnt(0)
	s_barrier
	buffer_gl0_inv
	global_load_b128 v[1:4], v1, s[26:27]
	s_add_i32 s3, s3, s34
	s_mul_i32 s1, s0, 0xd00
	s_add_i32 s0, s0, -1
	s_add_u32 s6, s34, s1
	s_addc_u32 s7, s35, 0
	v_mul_lo_u32 v30, 0xd00, v5
	v_readfirstlane_b32 s26, v5
	v_cmp_lt_u64_e64 s5, s[6:7], s[4:5]
	v_cmp_ne_u32_e32 vcc_lo, s0, v5
	s_delay_alu instid0(VALU_DEP_3) | instskip(SKIP_1) | instid1(VALU_DEP_4)
	s_cmp_eq_u32 s26, s0
	s_cselect_b32 s13, -1, 0
	v_add3_u32 v5, v30, s3, v0
	s_delay_alu instid0(VALU_DEP_3) | instskip(SKIP_2) | instid1(VALU_DEP_1)
	s_or_b32 s0, s5, vcc_lo
	s_mov_b32 s3, -1
	s_and_b32 vcc_lo, exec_lo, s0
	v_add_nc_u32_e32 v6, 0x100, v5
	v_add_nc_u32_e32 v7, 0x200, v5
	;; [unrolled: 1-line block ×12, first 2 shown]
	s_cbranch_vccz .LBB2015_6
; %bb.5:
	v_lshlrev_b32_e32 v18, 2, v0
	s_mov_b32 s3, 0
	ds_store_2addr_stride64_b32 v18, v5, v6 offset1:4
	ds_store_2addr_stride64_b32 v18, v7, v8 offset0:8 offset1:12
	ds_store_2addr_stride64_b32 v18, v9, v10 offset0:16 offset1:20
	;; [unrolled: 1-line block ×5, first 2 shown]
	ds_store_b32 v18, v17 offset:12288
	s_waitcnt vmcnt(0) lgkmcnt(0)
	s_barrier
.LBB2015_6:
	s_and_not1_b32 vcc_lo, exec_lo, s3
	s_add_i32 s1, s1, s34
	s_cbranch_vccnz .LBB2015_8
; %bb.7:
	v_lshlrev_b32_e32 v18, 2, v0
	ds_store_2addr_stride64_b32 v18, v5, v6 offset1:4
	ds_store_2addr_stride64_b32 v18, v7, v8 offset0:8 offset1:12
	ds_store_2addr_stride64_b32 v18, v9, v10 offset0:16 offset1:20
	;; [unrolled: 1-line block ×5, first 2 shown]
	ds_store_b32 v18, v17 offset:12288
	s_waitcnt vmcnt(0) lgkmcnt(0)
	s_barrier
.LBB2015_8:
	v_mul_u32_u24_e32 v33, 13, v0
	s_waitcnt vmcnt(0)
	buffer_gl0_inv
	v_cndmask_b32_e64 v31, 0, 1, s0
	s_sub_i32 s40, s4, s1
	s_and_not1_b32 vcc_lo, exec_lo, s0
	v_lshlrev_b32_e32 v5, 2, v33
	ds_load_2addr_b32 v[20:21], v5 offset1:1
	ds_load_2addr_b32 v[18:19], v5 offset0:2 offset1:3
	ds_load_2addr_b32 v[16:17], v5 offset0:4 offset1:5
	;; [unrolled: 1-line block ×5, first 2 shown]
	ds_load_b32 v32, v5 offset:48
	s_waitcnt lgkmcnt(0)
	s_barrier
	buffer_gl0_inv
	s_cbranch_vccnz .LBB2015_36
; %bb.9:
	v_add_nc_u32_e32 v5, s17, v20
	v_add_nc_u32_e32 v6, s19, v20
	s_mov_b32 s42, 0
	s_mov_b32 s41, 0
	s_mov_b32 s1, exec_lo
	v_mul_lo_u32 v5, v5, s16
	v_mul_lo_u32 v6, v6, s18
	s_delay_alu instid0(VALU_DEP_1) | instskip(NEXT) | instid1(VALU_DEP_1)
	v_sub_nc_u32_e32 v5, v5, v6
	v_cmp_lt_u32_e32 vcc_lo, s20, v5
	v_cmpx_ge_u32_e64 s20, v5
; %bb.10:
	v_add_nc_u32_e32 v5, s22, v20
	v_add_nc_u32_e32 v6, s38, v20
	s_delay_alu instid0(VALU_DEP_2) | instskip(NEXT) | instid1(VALU_DEP_2)
	v_mul_lo_u32 v5, v5, s21
	v_mul_lo_u32 v6, v6, s23
	s_delay_alu instid0(VALU_DEP_1) | instskip(NEXT) | instid1(VALU_DEP_1)
	v_sub_nc_u32_e32 v5, v5, v6
	v_cmp_lt_u32_e64 s0, s39, v5
	s_delay_alu instid0(VALU_DEP_1)
	s_and_b32 s41, s0, exec_lo
; %bb.11:
	s_or_b32 exec_lo, exec_lo, s1
	v_add_nc_u32_e32 v5, s17, v21
	v_add_nc_u32_e32 v6, s19, v21
	s_mov_b32 s3, exec_lo
	s_delay_alu instid0(VALU_DEP_2) | instskip(NEXT) | instid1(VALU_DEP_2)
	v_mul_lo_u32 v5, v5, s16
	v_mul_lo_u32 v6, v6, s18
	s_delay_alu instid0(VALU_DEP_1) | instskip(NEXT) | instid1(VALU_DEP_1)
	v_sub_nc_u32_e32 v5, v5, v6
	v_cmp_lt_u32_e64 s0, s20, v5
	v_cmpx_ge_u32_e64 s20, v5
; %bb.12:
	v_add_nc_u32_e32 v5, s22, v21
	v_add_nc_u32_e32 v6, s38, v21
	s_delay_alu instid0(VALU_DEP_2) | instskip(NEXT) | instid1(VALU_DEP_2)
	v_mul_lo_u32 v5, v5, s21
	v_mul_lo_u32 v6, v6, s23
	s_delay_alu instid0(VALU_DEP_1) | instskip(NEXT) | instid1(VALU_DEP_1)
	v_sub_nc_u32_e32 v5, v5, v6
	v_cmp_lt_u32_e64 s1, s39, v5
	s_delay_alu instid0(VALU_DEP_1)
	s_and_b32 s42, s1, exec_lo
; %bb.13:
	s_or_b32 exec_lo, exec_lo, s3
	v_add_nc_u32_e32 v5, s17, v18
	v_add_nc_u32_e32 v6, s19, v18
	s_mov_b32 s44, 0
	s_mov_b32 s43, 0
	s_mov_b32 s4, exec_lo
	v_mul_lo_u32 v5, v5, s16
	v_mul_lo_u32 v6, v6, s18
	s_delay_alu instid0(VALU_DEP_1) | instskip(NEXT) | instid1(VALU_DEP_1)
	v_sub_nc_u32_e32 v5, v5, v6
	v_cmp_lt_u32_e64 s1, s20, v5
	v_cmpx_ge_u32_e64 s20, v5
; %bb.14:
	v_add_nc_u32_e32 v5, s22, v18
	v_add_nc_u32_e32 v6, s38, v18
	s_delay_alu instid0(VALU_DEP_2) | instskip(NEXT) | instid1(VALU_DEP_2)
	v_mul_lo_u32 v5, v5, s21
	v_mul_lo_u32 v6, v6, s23
	s_delay_alu instid0(VALU_DEP_1) | instskip(NEXT) | instid1(VALU_DEP_1)
	v_sub_nc_u32_e32 v5, v5, v6
	v_cmp_lt_u32_e64 s3, s39, v5
	s_delay_alu instid0(VALU_DEP_1)
	s_and_b32 s43, s3, exec_lo
; %bb.15:
	s_or_b32 exec_lo, exec_lo, s4
	v_add_nc_u32_e32 v5, s17, v19
	v_add_nc_u32_e32 v6, s19, v19
	s_mov_b32 s5, exec_lo
	s_delay_alu instid0(VALU_DEP_2) | instskip(NEXT) | instid1(VALU_DEP_2)
	v_mul_lo_u32 v5, v5, s16
	v_mul_lo_u32 v6, v6, s18
	s_delay_alu instid0(VALU_DEP_1) | instskip(NEXT) | instid1(VALU_DEP_1)
	v_sub_nc_u32_e32 v5, v5, v6
	v_cmp_lt_u32_e64 s3, s20, v5
	v_cmpx_ge_u32_e64 s20, v5
; %bb.16:
	v_add_nc_u32_e32 v5, s22, v19
	v_add_nc_u32_e32 v6, s38, v19
	s_delay_alu instid0(VALU_DEP_2) | instskip(NEXT) | instid1(VALU_DEP_2)
	v_mul_lo_u32 v5, v5, s21
	v_mul_lo_u32 v6, v6, s23
	s_delay_alu instid0(VALU_DEP_1) | instskip(NEXT) | instid1(VALU_DEP_1)
	v_sub_nc_u32_e32 v5, v5, v6
	v_cmp_lt_u32_e64 s4, s39, v5
	s_delay_alu instid0(VALU_DEP_1)
	s_and_b32 s44, s4, exec_lo
; %bb.17:
	s_or_b32 exec_lo, exec_lo, s5
	v_add_nc_u32_e32 v5, s17, v16
	v_add_nc_u32_e32 v6, s19, v16
	s_mov_b32 s46, 0
	s_mov_b32 s45, 0
	s_mov_b32 s6, exec_lo
	v_mul_lo_u32 v5, v5, s16
	v_mul_lo_u32 v6, v6, s18
	s_delay_alu instid0(VALU_DEP_1) | instskip(NEXT) | instid1(VALU_DEP_1)
	v_sub_nc_u32_e32 v5, v5, v6
	v_cmp_lt_u32_e64 s4, s20, v5
	;; [unrolled: 47-line block ×5, first 2 shown]
	v_cmpx_ge_u32_e64 s20, v5
; %bb.30:
	v_add_nc_u32_e32 v5, s22, v10
	v_add_nc_u32_e32 v6, s38, v10
	s_delay_alu instid0(VALU_DEP_2) | instskip(NEXT) | instid1(VALU_DEP_2)
	v_mul_lo_u32 v5, v5, s21
	v_mul_lo_u32 v6, v6, s23
	s_delay_alu instid0(VALU_DEP_1) | instskip(NEXT) | instid1(VALU_DEP_1)
	v_sub_nc_u32_e32 v5, v5, v6
	v_cmp_lt_u32_e64 s11, s39, v5
	s_delay_alu instid0(VALU_DEP_1)
	s_and_b32 s53, s11, exec_lo
; %bb.31:
	s_or_b32 exec_lo, exec_lo, s12
	v_add_nc_u32_e32 v5, s17, v11
	v_add_nc_u32_e32 v6, s19, v11
	s_mov_b32 s27, exec_lo
	s_delay_alu instid0(VALU_DEP_2) | instskip(NEXT) | instid1(VALU_DEP_2)
	v_mul_lo_u32 v5, v5, s16
	v_mul_lo_u32 v6, v6, s18
	s_delay_alu instid0(VALU_DEP_1) | instskip(NEXT) | instid1(VALU_DEP_1)
	v_sub_nc_u32_e32 v5, v5, v6
	v_cmp_lt_u32_e64 s11, s20, v5
	v_cmpx_ge_u32_e64 s20, v5
; %bb.32:
	v_add_nc_u32_e32 v5, s22, v11
	v_add_nc_u32_e32 v6, s38, v11
	s_delay_alu instid0(VALU_DEP_2) | instskip(NEXT) | instid1(VALU_DEP_2)
	v_mul_lo_u32 v5, v5, s21
	v_mul_lo_u32 v6, v6, s23
	s_delay_alu instid0(VALU_DEP_1) | instskip(NEXT) | instid1(VALU_DEP_1)
	v_sub_nc_u32_e32 v5, v5, v6
	v_cmp_lt_u32_e64 s12, s39, v5
	s_delay_alu instid0(VALU_DEP_1)
	s_and_b32 s52, s12, exec_lo
; %bb.33:
	s_or_b32 exec_lo, exec_lo, s27
	v_add_nc_u32_e32 v5, s17, v32
	v_add_nc_u32_e32 v6, s19, v32
	s_mov_b32 s27, -1
	s_mov_b32 s49, 0
	s_mov_b32 s33, 0
	v_mul_lo_u32 v5, v5, s16
	v_mul_lo_u32 v6, v6, s18
	s_mov_b32 s54, exec_lo
	s_delay_alu instid0(VALU_DEP_1) | instskip(NEXT) | instid1(VALU_DEP_1)
	v_sub_nc_u32_e32 v5, v5, v6
	v_cmpx_ge_u32_e64 s20, v5
; %bb.34:
	v_add_nc_u32_e32 v5, s22, v32
	v_add_nc_u32_e32 v6, s38, v32
	s_xor_b32 s27, exec_lo, -1
	s_delay_alu instid0(VALU_DEP_2) | instskip(NEXT) | instid1(VALU_DEP_2)
	v_mul_lo_u32 v5, v5, s21
	v_mul_lo_u32 v6, v6, s23
	s_delay_alu instid0(VALU_DEP_1) | instskip(NEXT) | instid1(VALU_DEP_1)
	v_sub_nc_u32_e32 v5, v5, v6
	v_cmp_lt_u32_e64 s12, s39, v5
	s_delay_alu instid0(VALU_DEP_1)
	s_and_b32 s33, s12, exec_lo
; %bb.35:
	s_or_b32 exec_lo, exec_lo, s54
	v_cndmask_b32_e64 v53, 0, 1, s53
	v_cndmask_b32_e64 v56, 0, 1, s11
	;; [unrolled: 1-line block ×22, first 2 shown]
	v_cndmask_b32_e64 v34, 0, 1, vcc_lo
	v_cndmask_b32_e64 v57, 0, 1, s52
	s_and_b32 vcc_lo, exec_lo, s49
	s_add_i32 s4, s40, 0xd00
	s_cbranch_vccnz .LBB2015_37
	s_branch .LBB2015_90
.LBB2015_36:
                                        ; implicit-def: $sgpr27
                                        ; implicit-def: $sgpr33
                                        ; implicit-def: $vgpr57
                                        ; implicit-def: $vgpr53
                                        ; implicit-def: $vgpr52
                                        ; implicit-def: $vgpr50
                                        ; implicit-def: $vgpr48
                                        ; implicit-def: $vgpr46
                                        ; implicit-def: $vgpr44
                                        ; implicit-def: $vgpr42
                                        ; implicit-def: $vgpr39
                                        ; implicit-def: $vgpr34
                                        ; implicit-def: $vgpr37
                                        ; implicit-def: $vgpr36
                                        ; implicit-def: $vgpr41
                                        ; implicit-def: $vgpr43
                                        ; implicit-def: $vgpr45
                                        ; implicit-def: $vgpr47
                                        ; implicit-def: $vgpr49
                                        ; implicit-def: $vgpr51
                                        ; implicit-def: $vgpr54
                                        ; implicit-def: $vgpr55
                                        ; implicit-def: $vgpr56
                                        ; implicit-def: $vgpr35
                                        ; implicit-def: $vgpr40
                                        ; implicit-def: $vgpr38
	s_add_i32 s4, s40, 0xd00
	s_cbranch_execz .LBB2015_90
.LBB2015_37:
	v_dual_mov_b32 v35, 0 :: v_dual_mov_b32 v34, 0
	s_mov_b32 s3, 0
	s_mov_b32 s1, exec_lo
	v_cmpx_gt_u32_e64 s4, v33
	s_cbranch_execz .LBB2015_41
; %bb.38:
	v_add_nc_u32_e32 v5, s17, v20
	v_add_nc_u32_e32 v6, s19, v20
	s_mov_b32 s5, exec_lo
	s_delay_alu instid0(VALU_DEP_2) | instskip(NEXT) | instid1(VALU_DEP_2)
	v_mul_lo_u32 v5, v5, s16
	v_mul_lo_u32 v6, v6, s18
	s_delay_alu instid0(VALU_DEP_1) | instskip(NEXT) | instid1(VALU_DEP_1)
	v_sub_nc_u32_e32 v5, v5, v6
	v_cmp_lt_u32_e32 vcc_lo, s20, v5
	v_cmpx_ge_u32_e64 s20, v5
; %bb.39:
	v_add_nc_u32_e32 v5, s22, v20
	v_add_nc_u32_e32 v6, s38, v20
	s_delay_alu instid0(VALU_DEP_2) | instskip(NEXT) | instid1(VALU_DEP_2)
	v_mul_lo_u32 v5, v5, s21
	v_mul_lo_u32 v6, v6, s23
	s_delay_alu instid0(VALU_DEP_1) | instskip(NEXT) | instid1(VALU_DEP_1)
	v_sub_nc_u32_e32 v5, v5, v6
	v_cmp_lt_u32_e64 s0, s39, v5
	s_delay_alu instid0(VALU_DEP_1)
	s_and_b32 s3, s0, exec_lo
; %bb.40:
	s_or_b32 exec_lo, exec_lo, s5
	v_cndmask_b32_e64 v34, 0, 1, vcc_lo
	v_cndmask_b32_e64 v35, 0, 1, s3
.LBB2015_41:
	s_or_b32 exec_lo, exec_lo, s1
	v_dual_mov_b32 v40, 0 :: v_dual_add_nc_u32 v5, 1, v33
	v_mov_b32_e32 v37, 0
	s_mov_b32 s3, 0
	s_mov_b32 s1, exec_lo
	s_delay_alu instid0(VALU_DEP_2)
	v_cmpx_gt_u32_e64 s4, v5
	s_cbranch_execz .LBB2015_45
; %bb.42:
	v_add_nc_u32_e32 v5, s17, v21
	v_add_nc_u32_e32 v6, s19, v21
	s_mov_b32 s5, exec_lo
	s_delay_alu instid0(VALU_DEP_2) | instskip(NEXT) | instid1(VALU_DEP_2)
	v_mul_lo_u32 v5, v5, s16
	v_mul_lo_u32 v6, v6, s18
	s_delay_alu instid0(VALU_DEP_1) | instskip(NEXT) | instid1(VALU_DEP_1)
	v_sub_nc_u32_e32 v5, v5, v6
	v_cmp_lt_u32_e32 vcc_lo, s20, v5
	v_cmpx_ge_u32_e64 s20, v5
; %bb.43:
	v_add_nc_u32_e32 v5, s22, v21
	v_add_nc_u32_e32 v6, s38, v21
	s_delay_alu instid0(VALU_DEP_2) | instskip(NEXT) | instid1(VALU_DEP_2)
	v_mul_lo_u32 v5, v5, s21
	v_mul_lo_u32 v6, v6, s23
	s_delay_alu instid0(VALU_DEP_1) | instskip(NEXT) | instid1(VALU_DEP_1)
	v_sub_nc_u32_e32 v5, v5, v6
	v_cmp_lt_u32_e64 s0, s39, v5
	s_delay_alu instid0(VALU_DEP_1)
	s_and_b32 s3, s0, exec_lo
; %bb.44:
	s_or_b32 exec_lo, exec_lo, s5
	v_cndmask_b32_e64 v37, 0, 1, vcc_lo
	v_cndmask_b32_e64 v40, 0, 1, s3
.LBB2015_45:
	s_or_b32 exec_lo, exec_lo, s1
	v_dual_mov_b32 v36, 0 :: v_dual_add_nc_u32 v5, 2, v33
	v_mov_b32_e32 v38, 0
	s_mov_b32 s3, 0
	s_mov_b32 s1, exec_lo
	s_delay_alu instid0(VALU_DEP_2)
	v_cmpx_gt_u32_e64 s4, v5
	s_cbranch_execz .LBB2015_49
; %bb.46:
	v_add_nc_u32_e32 v5, s17, v18
	v_add_nc_u32_e32 v6, s19, v18
	s_mov_b32 s5, exec_lo
	s_delay_alu instid0(VALU_DEP_2) | instskip(NEXT) | instid1(VALU_DEP_2)
	v_mul_lo_u32 v5, v5, s16
	v_mul_lo_u32 v6, v6, s18
	s_delay_alu instid0(VALU_DEP_1) | instskip(NEXT) | instid1(VALU_DEP_1)
	v_sub_nc_u32_e32 v5, v5, v6
	v_cmp_lt_u32_e32 vcc_lo, s20, v5
	v_cmpx_ge_u32_e64 s20, v5
; %bb.47:
	v_add_nc_u32_e32 v5, s22, v18
	v_add_nc_u32_e32 v6, s38, v18
	s_delay_alu instid0(VALU_DEP_2) | instskip(NEXT) | instid1(VALU_DEP_2)
	v_mul_lo_u32 v5, v5, s21
	v_mul_lo_u32 v6, v6, s23
	s_delay_alu instid0(VALU_DEP_1) | instskip(NEXT) | instid1(VALU_DEP_1)
	v_sub_nc_u32_e32 v5, v5, v6
	v_cmp_lt_u32_e64 s0, s39, v5
	s_delay_alu instid0(VALU_DEP_1)
	s_and_b32 s3, s0, exec_lo
; %bb.48:
	s_or_b32 exec_lo, exec_lo, s5
	v_cndmask_b32_e64 v36, 0, 1, vcc_lo
	v_cndmask_b32_e64 v38, 0, 1, s3
.LBB2015_49:
	s_or_b32 exec_lo, exec_lo, s1
	v_add_nc_u32_e32 v5, 3, v33
	v_mov_b32_e32 v39, 0
	v_mov_b32_e32 v41, 0
	s_mov_b32 s3, 0
	s_mov_b32 s1, exec_lo
	v_cmpx_gt_u32_e64 s4, v5
	s_cbranch_execz .LBB2015_53
; %bb.50:
	v_add_nc_u32_e32 v5, s17, v19
	v_add_nc_u32_e32 v6, s19, v19
	s_mov_b32 s5, exec_lo
	s_delay_alu instid0(VALU_DEP_2) | instskip(NEXT) | instid1(VALU_DEP_2)
	v_mul_lo_u32 v5, v5, s16
	v_mul_lo_u32 v6, v6, s18
	s_delay_alu instid0(VALU_DEP_1) | instskip(NEXT) | instid1(VALU_DEP_1)
	v_sub_nc_u32_e32 v5, v5, v6
	v_cmp_lt_u32_e32 vcc_lo, s20, v5
	v_cmpx_ge_u32_e64 s20, v5
; %bb.51:
	v_add_nc_u32_e32 v5, s22, v19
	v_add_nc_u32_e32 v6, s38, v19
	s_delay_alu instid0(VALU_DEP_2) | instskip(NEXT) | instid1(VALU_DEP_2)
	v_mul_lo_u32 v5, v5, s21
	v_mul_lo_u32 v6, v6, s23
	s_delay_alu instid0(VALU_DEP_1) | instskip(NEXT) | instid1(VALU_DEP_1)
	v_sub_nc_u32_e32 v5, v5, v6
	v_cmp_lt_u32_e64 s0, s39, v5
	s_delay_alu instid0(VALU_DEP_1)
	s_and_b32 s3, s0, exec_lo
; %bb.52:
	s_or_b32 exec_lo, exec_lo, s5
	v_cndmask_b32_e64 v41, 0, 1, vcc_lo
	v_cndmask_b32_e64 v39, 0, 1, s3
.LBB2015_53:
	s_or_b32 exec_lo, exec_lo, s1
	v_dual_mov_b32 v42, 0 :: v_dual_add_nc_u32 v5, 4, v33
	v_mov_b32_e32 v43, 0
	s_mov_b32 s3, 0
	s_mov_b32 s1, exec_lo
	s_delay_alu instid0(VALU_DEP_2)
	v_cmpx_gt_u32_e64 s4, v5
	s_cbranch_execz .LBB2015_57
; %bb.54:
	v_add_nc_u32_e32 v5, s17, v16
	v_add_nc_u32_e32 v6, s19, v16
	s_mov_b32 s5, exec_lo
	s_delay_alu instid0(VALU_DEP_2) | instskip(NEXT) | instid1(VALU_DEP_2)
	v_mul_lo_u32 v5, v5, s16
	v_mul_lo_u32 v6, v6, s18
	s_delay_alu instid0(VALU_DEP_1) | instskip(NEXT) | instid1(VALU_DEP_1)
	v_sub_nc_u32_e32 v5, v5, v6
	v_cmp_lt_u32_e32 vcc_lo, s20, v5
	v_cmpx_ge_u32_e64 s20, v5
; %bb.55:
	v_add_nc_u32_e32 v5, s22, v16
	v_add_nc_u32_e32 v6, s38, v16
	s_delay_alu instid0(VALU_DEP_2) | instskip(NEXT) | instid1(VALU_DEP_2)
	v_mul_lo_u32 v5, v5, s21
	v_mul_lo_u32 v6, v6, s23
	s_delay_alu instid0(VALU_DEP_1) | instskip(NEXT) | instid1(VALU_DEP_1)
	v_sub_nc_u32_e32 v5, v5, v6
	v_cmp_lt_u32_e64 s0, s39, v5
	s_delay_alu instid0(VALU_DEP_1)
	s_and_b32 s3, s0, exec_lo
; %bb.56:
	s_or_b32 exec_lo, exec_lo, s5
	v_cndmask_b32_e64 v43, 0, 1, vcc_lo
	v_cndmask_b32_e64 v42, 0, 1, s3
.LBB2015_57:
	s_or_b32 exec_lo, exec_lo, s1
	v_dual_mov_b32 v44, 0 :: v_dual_add_nc_u32 v5, 5, v33
	v_mov_b32_e32 v45, 0
	s_mov_b32 s3, 0
	s_mov_b32 s1, exec_lo
	s_delay_alu instid0(VALU_DEP_2)
	;; [unrolled: 35-line block ×6, first 2 shown]
	v_cmpx_gt_u32_e64 s4, v5
	s_cbranch_execz .LBB2015_77
; %bb.74:
	v_add_nc_u32_e32 v5, s17, v13
	v_add_nc_u32_e32 v6, s19, v13
	s_mov_b32 s5, exec_lo
	s_delay_alu instid0(VALU_DEP_2) | instskip(NEXT) | instid1(VALU_DEP_2)
	v_mul_lo_u32 v5, v5, s16
	v_mul_lo_u32 v6, v6, s18
	s_delay_alu instid0(VALU_DEP_1) | instskip(NEXT) | instid1(VALU_DEP_1)
	v_sub_nc_u32_e32 v5, v5, v6
	v_cmp_lt_u32_e32 vcc_lo, s20, v5
	v_cmpx_ge_u32_e64 s20, v5
; %bb.75:
	v_add_nc_u32_e32 v5, s22, v13
	v_add_nc_u32_e32 v6, s38, v13
	s_delay_alu instid0(VALU_DEP_2) | instskip(NEXT) | instid1(VALU_DEP_2)
	v_mul_lo_u32 v5, v5, s21
	v_mul_lo_u32 v6, v6, s23
	s_delay_alu instid0(VALU_DEP_1) | instskip(NEXT) | instid1(VALU_DEP_1)
	v_sub_nc_u32_e32 v5, v5, v6
	v_cmp_lt_u32_e64 s0, s39, v5
	s_delay_alu instid0(VALU_DEP_1)
	s_and_b32 s3, s0, exec_lo
; %bb.76:
	s_or_b32 exec_lo, exec_lo, s5
	v_cndmask_b32_e64 v54, 0, 1, vcc_lo
	v_cndmask_b32_e64 v52, 0, 1, s3
.LBB2015_77:
	s_or_b32 exec_lo, exec_lo, s1
	v_add_nc_u32_e32 v5, 10, v33
	v_mov_b32_e32 v53, 0
	v_mov_b32_e32 v55, 0
	s_mov_b32 s3, 0
	s_mov_b32 s1, exec_lo
	v_cmpx_gt_u32_e64 s4, v5
	s_cbranch_execz .LBB2015_81
; %bb.78:
	v_add_nc_u32_e32 v5, s17, v10
	v_add_nc_u32_e32 v6, s19, v10
	s_mov_b32 s5, exec_lo
	s_delay_alu instid0(VALU_DEP_2) | instskip(NEXT) | instid1(VALU_DEP_2)
	v_mul_lo_u32 v5, v5, s16
	v_mul_lo_u32 v6, v6, s18
	s_delay_alu instid0(VALU_DEP_1) | instskip(NEXT) | instid1(VALU_DEP_1)
	v_sub_nc_u32_e32 v5, v5, v6
	v_cmp_lt_u32_e32 vcc_lo, s20, v5
	v_cmpx_ge_u32_e64 s20, v5
; %bb.79:
	v_add_nc_u32_e32 v5, s22, v10
	v_add_nc_u32_e32 v6, s38, v10
	s_delay_alu instid0(VALU_DEP_2) | instskip(NEXT) | instid1(VALU_DEP_2)
	v_mul_lo_u32 v5, v5, s21
	v_mul_lo_u32 v6, v6, s23
	s_delay_alu instid0(VALU_DEP_1) | instskip(NEXT) | instid1(VALU_DEP_1)
	v_sub_nc_u32_e32 v5, v5, v6
	v_cmp_lt_u32_e64 s0, s39, v5
	s_delay_alu instid0(VALU_DEP_1)
	s_and_b32 s3, s0, exec_lo
; %bb.80:
	s_or_b32 exec_lo, exec_lo, s5
	v_cndmask_b32_e64 v55, 0, 1, vcc_lo
	v_cndmask_b32_e64 v53, 0, 1, s3
.LBB2015_81:
	s_or_b32 exec_lo, exec_lo, s1
	v_dual_mov_b32 v56, 0 :: v_dual_add_nc_u32 v5, 11, v33
	v_mov_b32_e32 v57, 0
	s_mov_b32 s3, 0
	s_mov_b32 s1, exec_lo
	s_delay_alu instid0(VALU_DEP_2)
	v_cmpx_gt_u32_e64 s4, v5
	s_cbranch_execz .LBB2015_85
; %bb.82:
	v_add_nc_u32_e32 v5, s17, v11
	v_add_nc_u32_e32 v6, s19, v11
	s_mov_b32 s5, exec_lo
	s_delay_alu instid0(VALU_DEP_2) | instskip(NEXT) | instid1(VALU_DEP_2)
	v_mul_lo_u32 v5, v5, s16
	v_mul_lo_u32 v6, v6, s18
	s_delay_alu instid0(VALU_DEP_1) | instskip(NEXT) | instid1(VALU_DEP_1)
	v_sub_nc_u32_e32 v5, v5, v6
	v_cmp_lt_u32_e32 vcc_lo, s20, v5
	v_cmpx_ge_u32_e64 s20, v5
; %bb.83:
	v_add_nc_u32_e32 v5, s22, v11
	v_add_nc_u32_e32 v6, s38, v11
	s_delay_alu instid0(VALU_DEP_2) | instskip(NEXT) | instid1(VALU_DEP_2)
	v_mul_lo_u32 v5, v5, s21
	v_mul_lo_u32 v6, v6, s23
	s_delay_alu instid0(VALU_DEP_1) | instskip(NEXT) | instid1(VALU_DEP_1)
	v_sub_nc_u32_e32 v5, v5, v6
	v_cmp_lt_u32_e64 s0, s39, v5
	s_delay_alu instid0(VALU_DEP_1)
	s_and_b32 s3, s0, exec_lo
; %bb.84:
	s_or_b32 exec_lo, exec_lo, s5
	v_cndmask_b32_e64 v56, 0, 1, vcc_lo
	v_cndmask_b32_e64 v57, 0, 1, s3
.LBB2015_85:
	s_or_b32 exec_lo, exec_lo, s1
	v_add_nc_u32_e32 v5, 12, v33
	s_mov_b32 s27, 0
	s_mov_b32 s33, 0
	s_mov_b32 s0, exec_lo
	s_delay_alu instid0(VALU_DEP_1)
	v_cmpx_gt_u32_e64 s4, v5
	s_cbranch_execz .LBB2015_89
; %bb.86:
	v_add_nc_u32_e32 v5, s17, v32
	v_add_nc_u32_e32 v6, s19, v32
	s_mov_b32 s3, -1
	s_mov_b32 s5, 0
	s_mov_b32 s1, exec_lo
	v_mul_lo_u32 v5, v5, s16
	v_mul_lo_u32 v6, v6, s18
	s_delay_alu instid0(VALU_DEP_1) | instskip(NEXT) | instid1(VALU_DEP_1)
	v_sub_nc_u32_e32 v5, v5, v6
	v_cmpx_ge_u32_e64 s20, v5
; %bb.87:
	v_add_nc_u32_e32 v5, s22, v32
	v_add_nc_u32_e32 v6, s38, v32
	s_xor_b32 s3, exec_lo, -1
	s_delay_alu instid0(VALU_DEP_2) | instskip(NEXT) | instid1(VALU_DEP_2)
	v_mul_lo_u32 v5, v5, s21
	v_mul_lo_u32 v6, v6, s23
	s_delay_alu instid0(VALU_DEP_1) | instskip(NEXT) | instid1(VALU_DEP_1)
	v_sub_nc_u32_e32 v5, v5, v6
	v_cmp_lt_u32_e32 vcc_lo, s39, v5
	s_and_b32 s5, vcc_lo, exec_lo
; %bb.88:
	s_or_b32 exec_lo, exec_lo, s1
	s_delay_alu instid0(SALU_CYCLE_1)
	s_and_b32 s33, s5, exec_lo
	s_and_b32 s27, s3, exec_lo
.LBB2015_89:
	s_or_b32 exec_lo, exec_lo, s0
.LBB2015_90:
	v_and_b32_e32 v80, 0xff, v34
	v_and_b32_e32 v81, 0xff, v35
	;; [unrolled: 1-line block ×10, first 2 shown]
	v_add3_u32 v5, v76, v78, v80
	v_add3_u32 v6, v77, v79, v81
	v_and_b32_e32 v70, 0xff, v45
	v_and_b32_e32 v71, 0xff, v44
	v_and_b32_e32 v64, 0xff, v47
	v_and_b32_e32 v65, 0xff, v46
	v_add3_u32 v5, v5, v74, v72
	v_add3_u32 v6, v6, v75, v73
	v_and_b32_e32 v68, 0xff, v49
	v_and_b32_e32 v69, 0xff, v48
	v_and_b32_e32 v66, 0xff, v51
	v_and_b32_e32 v67, 0xff, v50
	;; [unrolled: 6-line block ×3, first 2 shown]
	v_add3_u32 v5, v5, v68, v66
	v_add3_u32 v6, v6, v69, v67
	v_mbcnt_lo_u32_b32 v82, -1, 0
	v_and_b32_e32 v58, 0xff, v56
	v_and_b32_e32 v59, 0xff, v57
	v_cndmask_b32_e64 v7, 0, 1, s33
	v_add3_u32 v5, v5, v61, v60
	v_cndmask_b32_e64 v8, 0, 1, s27
	v_add3_u32 v6, v6, v62, v63
	v_and_b32_e32 v86, 15, v82
	v_and_b32_e32 v85, 16, v82
	v_lshrrev_b32_e32 v83, 5, v0
	v_add3_u32 v87, v5, v58, v8
	v_add3_u32 v88, v6, v59, v7
	v_cmp_eq_u32_e64 s1, 0, v86
	v_cmp_lt_u32_e64 s0, 1, v86
	v_cmp_lt_u32_e64 s3, 3, v86
	v_cmp_lt_u32_e32 vcc_lo, 7, v86
	v_or_b32_e32 v84, 31, v0
	s_cmp_lg_u32 s26, 0
	s_mov_b32 s5, -1
	s_cbranch_scc0 .LBB2015_118
; %bb.91:
	v_mov_b32_dpp v5, v88 row_shr:1 row_mask:0xf bank_mask:0xf
	v_mov_b32_dpp v6, v87 row_shr:1 row_mask:0xf bank_mask:0xf
	s_delay_alu instid0(VALU_DEP_2) | instskip(NEXT) | instid1(VALU_DEP_2)
	v_add_nc_u32_e32 v5, v5, v88
	v_add_nc_u32_e32 v6, v6, v87
	s_delay_alu instid0(VALU_DEP_2) | instskip(NEXT) | instid1(VALU_DEP_2)
	v_cndmask_b32_e64 v5, v5, v88, s1
	v_cndmask_b32_e64 v6, v6, v87, s1
	s_delay_alu instid0(VALU_DEP_2) | instskip(NEXT) | instid1(VALU_DEP_2)
	v_mov_b32_dpp v7, v5 row_shr:2 row_mask:0xf bank_mask:0xf
	v_mov_b32_dpp v8, v6 row_shr:2 row_mask:0xf bank_mask:0xf
	s_delay_alu instid0(VALU_DEP_2) | instskip(NEXT) | instid1(VALU_DEP_1)
	v_add_nc_u32_e32 v7, v5, v7
	v_cndmask_b32_e64 v5, v5, v7, s0
	s_delay_alu instid0(VALU_DEP_1) | instskip(NEXT) | instid1(VALU_DEP_1)
	v_mov_b32_dpp v7, v5 row_shr:4 row_mask:0xf bank_mask:0xf
	v_add_nc_u32_e32 v7, v5, v7
	s_delay_alu instid0(VALU_DEP_1) | instskip(NEXT) | instid1(VALU_DEP_1)
	v_cndmask_b32_e64 v5, v5, v7, s3
	v_mov_b32_dpp v7, v5 row_shr:8 row_mask:0xf bank_mask:0xf
	s_delay_alu instid0(VALU_DEP_1) | instskip(NEXT) | instid1(VALU_DEP_1)
	v_add_nc_u32_e32 v7, v5, v7
	v_dual_cndmask_b32 v5, v5, v7 :: v_dual_add_nc_u32 v8, v6, v8
	s_delay_alu instid0(VALU_DEP_1) | instskip(NEXT) | instid1(VALU_DEP_1)
	v_cndmask_b32_e64 v6, v6, v8, s0
	v_mov_b32_dpp v8, v6 row_shr:4 row_mask:0xf bank_mask:0xf
	s_delay_alu instid0(VALU_DEP_1) | instskip(NEXT) | instid1(VALU_DEP_1)
	v_add_nc_u32_e32 v8, v6, v8
	v_cndmask_b32_e64 v6, v6, v8, s3
	s_mov_b32 s3, exec_lo
	s_delay_alu instid0(VALU_DEP_1) | instskip(NEXT) | instid1(VALU_DEP_1)
	v_mov_b32_dpp v8, v6 row_shr:8 row_mask:0xf bank_mask:0xf
	v_add_nc_u32_e32 v8, v6, v8
	s_delay_alu instid0(VALU_DEP_1)
	v_cndmask_b32_e32 v7, v6, v8, vcc_lo
	ds_swizzle_b32 v6, v5 offset:swizzle(BROADCAST,32,15)
	v_cmp_eq_u32_e32 vcc_lo, 0, v85
	s_waitcnt lgkmcnt(0)
	v_add_nc_u32_e32 v6, v5, v6
	ds_swizzle_b32 v8, v7 offset:swizzle(BROADCAST,32,15)
	v_cndmask_b32_e32 v6, v6, v5, vcc_lo
	s_waitcnt lgkmcnt(0)
	v_add_nc_u32_e32 v8, v7, v8
	s_delay_alu instid0(VALU_DEP_1)
	v_cndmask_b32_e32 v5, v8, v7, vcc_lo
	v_cmpx_eq_u32_e64 v84, v0
	s_cbranch_execz .LBB2015_93
; %bb.92:
	v_lshlrev_b32_e32 v7, 3, v83
	ds_store_b64 v7, v[5:6]
.LBB2015_93:
	s_or_b32 exec_lo, exec_lo, s3
	s_delay_alu instid0(SALU_CYCLE_1)
	s_mov_b32 s3, exec_lo
	s_waitcnt lgkmcnt(0)
	s_barrier
	buffer_gl0_inv
	v_cmpx_gt_u32_e32 8, v0
	s_cbranch_execz .LBB2015_95
; %bb.94:
	v_lshlrev_b32_e32 v9, 3, v0
	ds_load_b64 v[7:8], v9
	s_waitcnt lgkmcnt(0)
	v_mov_b32_dpp v22, v7 row_shr:1 row_mask:0xf bank_mask:0xf
	v_mov_b32_dpp v23, v8 row_shr:1 row_mask:0xf bank_mask:0xf
	s_delay_alu instid0(VALU_DEP_2) | instskip(SKIP_1) | instid1(VALU_DEP_3)
	v_add_nc_u32_e32 v22, v22, v7
	v_and_b32_e32 v24, 7, v82
	v_add_nc_u32_e32 v23, v23, v8
	s_delay_alu instid0(VALU_DEP_2) | instskip(NEXT) | instid1(VALU_DEP_2)
	v_cmp_eq_u32_e32 vcc_lo, 0, v24
	v_dual_cndmask_b32 v8, v23, v8 :: v_dual_cndmask_b32 v7, v22, v7
	v_cmp_lt_u32_e32 vcc_lo, 1, v24
	s_delay_alu instid0(VALU_DEP_2) | instskip(NEXT) | instid1(VALU_DEP_3)
	v_mov_b32_dpp v23, v8 row_shr:2 row_mask:0xf bank_mask:0xf
	v_mov_b32_dpp v22, v7 row_shr:2 row_mask:0xf bank_mask:0xf
	s_delay_alu instid0(VALU_DEP_2) | instskip(NEXT) | instid1(VALU_DEP_2)
	v_add_nc_u32_e32 v23, v8, v23
	v_add_nc_u32_e32 v22, v7, v22
	s_delay_alu instid0(VALU_DEP_1) | instskip(SKIP_1) | instid1(VALU_DEP_2)
	v_dual_cndmask_b32 v8, v8, v23 :: v_dual_cndmask_b32 v7, v7, v22
	v_cmp_lt_u32_e32 vcc_lo, 3, v24
	v_mov_b32_dpp v23, v8 row_shr:4 row_mask:0xf bank_mask:0xf
	s_delay_alu instid0(VALU_DEP_3) | instskip(NEXT) | instid1(VALU_DEP_1)
	v_mov_b32_dpp v22, v7 row_shr:4 row_mask:0xf bank_mask:0xf
	v_dual_cndmask_b32 v23, 0, v23 :: v_dual_cndmask_b32 v22, 0, v22
	s_delay_alu instid0(VALU_DEP_1) | instskip(NEXT) | instid1(VALU_DEP_2)
	v_add_nc_u32_e32 v8, v23, v8
	v_add_nc_u32_e32 v7, v22, v7
	ds_store_b64 v9, v[7:8]
.LBB2015_95:
	s_or_b32 exec_lo, exec_lo, s3
	v_cmp_gt_u32_e32 vcc_lo, 32, v0
	v_cmp_lt_u32_e64 s3, 31, v0
	s_waitcnt lgkmcnt(0)
	s_barrier
	buffer_gl0_inv
                                        ; implicit-def: $vgpr23
	s_and_saveexec_b32 s5, s3
	s_delay_alu instid0(SALU_CYCLE_1)
	s_xor_b32 s3, exec_lo, s5
	s_cbranch_execz .LBB2015_97
; %bb.96:
	v_lshl_add_u32 v7, v83, 3, -8
	ds_load_b64 v[22:23], v7
	s_waitcnt lgkmcnt(0)
	v_add_nc_u32_e32 v6, v23, v6
	v_add_nc_u32_e32 v5, v22, v5
.LBB2015_97:
	s_and_not1_saveexec_b32 s3, s3
; %bb.98:
                                        ; implicit-def: $vgpr22
; %bb.99:
	s_delay_alu instid0(SALU_CYCLE_1) | instskip(SKIP_1) | instid1(VALU_DEP_1)
	s_or_b32 exec_lo, exec_lo, s3
	v_add_nc_u32_e32 v7, -1, v82
	v_cmp_gt_i32_e64 s3, 0, v7
	s_delay_alu instid0(VALU_DEP_1) | instskip(SKIP_1) | instid1(VALU_DEP_2)
	v_cndmask_b32_e64 v7, v7, v82, s3
	v_cmp_eq_u32_e64 s3, 0, v82
	v_lshlrev_b32_e32 v7, 2, v7
	ds_bpermute_b32 v89, v7, v5
	ds_bpermute_b32 v90, v7, v6
	s_and_saveexec_b32 s5, vcc_lo
	s_cbranch_execz .LBB2015_117
; %bb.100:
	v_mov_b32_e32 v8, 0
	ds_load_b64 v[5:6], v8 offset:56
	s_waitcnt lgkmcnt(0)
	v_readfirstlane_b32 s6, v6
	s_and_saveexec_b32 s7, s3
	s_cbranch_execz .LBB2015_102
; %bb.101:
	s_add_i32 s8, s26, 32
	s_mov_b32 s9, 0
	v_mov_b32_e32 v7, 1
	s_lshl_b64 s[10:11], s[8:9], 4
	s_mov_b32 s16, s9
	s_add_u32 s10, s36, s10
	s_addc_u32 s11, s37, s11
	s_and_b32 s17, s6, 0xff000000
	s_and_b32 s19, s6, 0xff0000
	s_mov_b32 s18, s9
	v_dual_mov_b32 v25, s11 :: v_dual_mov_b32 v24, s10
	s_or_b64 s[16:17], s[18:19], s[16:17]
	s_and_b32 s19, s6, 0xff00
	s_delay_alu instid0(SALU_CYCLE_1) | instskip(SKIP_1) | instid1(SALU_CYCLE_1)
	s_or_b64 s[16:17], s[16:17], s[18:19]
	s_and_b32 s19, s6, 0xff
	s_or_b64 s[8:9], s[16:17], s[18:19]
	s_delay_alu instid0(SALU_CYCLE_1)
	v_mov_b32_e32 v6, s9
	;;#ASMSTART
	global_store_dwordx4 v[24:25], v[5:8] off	
s_waitcnt vmcnt(0)
	;;#ASMEND
.LBB2015_102:
	s_or_b32 exec_lo, exec_lo, s7
	v_xad_u32 v24, v82, -1, s26
	s_mov_b32 s8, 0
	s_mov_b32 s7, exec_lo
	s_delay_alu instid0(VALU_DEP_1) | instskip(NEXT) | instid1(VALU_DEP_1)
	v_add_nc_u32_e32 v7, 32, v24
	v_lshlrev_b64 v[6:7], 4, v[7:8]
	s_delay_alu instid0(VALU_DEP_1) | instskip(NEXT) | instid1(VALU_DEP_2)
	v_add_co_u32 v25, vcc_lo, s36, v6
	v_add_co_ci_u32_e32 v26, vcc_lo, s37, v7, vcc_lo
	;;#ASMSTART
	global_load_dwordx4 v[6:9], v[25:26] off glc	
s_waitcnt vmcnt(0)
	;;#ASMEND
	v_and_b32_e32 v9, 0xff, v7
	v_and_b32_e32 v27, 0xff00, v7
	v_or3_b32 v6, v6, 0, 0
	v_and_b32_e32 v28, 0xff000000, v7
	v_and_b32_e32 v7, 0xff0000, v7
	s_delay_alu instid0(VALU_DEP_4) | instskip(SKIP_2) | instid1(VALU_DEP_3)
	v_or3_b32 v9, 0, v9, v27
	v_and_b32_e32 v27, 0xff, v8
	v_or3_b32 v6, v6, 0, 0
	v_or3_b32 v7, v9, v7, v28
	s_delay_alu instid0(VALU_DEP_3)
	v_cmpx_eq_u16_e32 0, v27
	s_cbranch_execz .LBB2015_105
.LBB2015_103:                           ; =>This Inner Loop Header: Depth=1
	;;#ASMSTART
	global_load_dwordx4 v[6:9], v[25:26] off glc	
s_waitcnt vmcnt(0)
	;;#ASMEND
	v_and_b32_e32 v9, 0xff, v8
	s_delay_alu instid0(VALU_DEP_1) | instskip(SKIP_1) | instid1(SALU_CYCLE_1)
	v_cmp_ne_u16_e32 vcc_lo, 0, v9
	s_or_b32 s8, vcc_lo, s8
	s_and_not1_b32 exec_lo, exec_lo, s8
	s_cbranch_execnz .LBB2015_103
; %bb.104:
	s_or_b32 exec_lo, exec_lo, s8
.LBB2015_105:
	s_delay_alu instid0(SALU_CYCLE_1) | instskip(SKIP_3) | instid1(VALU_DEP_1)
	s_or_b32 exec_lo, exec_lo, s7
	v_cmp_ne_u32_e32 vcc_lo, 31, v82
	v_lshlrev_b32_e64 v92, v82, -1
	v_add_co_ci_u32_e32 v9, vcc_lo, 0, v82, vcc_lo
	v_lshlrev_b32_e32 v91, 2, v9
	ds_bpermute_b32 v25, v91, v7
	ds_bpermute_b32 v9, v91, v6
	s_waitcnt lgkmcnt(1)
	v_add_nc_u32_e32 v25, v25, v7
	v_and_b32_e32 v26, 0xff, v8
	s_waitcnt lgkmcnt(0)
	v_add_nc_u32_e32 v9, v9, v6
	s_delay_alu instid0(VALU_DEP_2) | instskip(SKIP_2) | instid1(VALU_DEP_2)
	v_cmp_eq_u16_e32 vcc_lo, 2, v26
	v_and_or_b32 v26, vcc_lo, v92, 0x80000000
	v_cmp_gt_u32_e32 vcc_lo, 30, v82
	v_ctz_i32_b32_e32 v26, v26
	v_cndmask_b32_e64 v27, 0, 1, vcc_lo
	s_delay_alu instid0(VALU_DEP_2) | instskip(NEXT) | instid1(VALU_DEP_2)
	v_cmp_lt_u32_e32 vcc_lo, v82, v26
	v_dual_cndmask_b32 v6, v6, v9 :: v_dual_lshlrev_b32 v27, 1, v27
	s_delay_alu instid0(VALU_DEP_1)
	v_add_lshl_u32 v93, v27, v82, 2
	v_cndmask_b32_e32 v7, v7, v25, vcc_lo
	v_cmp_gt_u32_e32 vcc_lo, 28, v82
	ds_bpermute_b32 v9, v93, v6
	ds_bpermute_b32 v25, v93, v7
	v_cndmask_b32_e64 v27, 0, 1, vcc_lo
	s_waitcnt lgkmcnt(1)
	v_add_nc_u32_e32 v9, v6, v9
	s_waitcnt lgkmcnt(0)
	v_add_nc_u32_e32 v25, v7, v25
	v_add_nc_u32_e32 v94, 2, v82
	s_delay_alu instid0(VALU_DEP_1) | instskip(NEXT) | instid1(VALU_DEP_3)
	v_cmp_gt_u32_e32 vcc_lo, v94, v26
	v_cndmask_b32_e32 v7, v25, v7, vcc_lo
	v_dual_cndmask_b32 v6, v9, v6 :: v_dual_lshlrev_b32 v27, 2, v27
	v_cmp_gt_u32_e32 vcc_lo, 24, v82
	s_delay_alu instid0(VALU_DEP_2) | instskip(SKIP_4) | instid1(VALU_DEP_1)
	v_add_lshl_u32 v95, v27, v82, 2
	v_cndmask_b32_e64 v27, 0, 1, vcc_lo
	ds_bpermute_b32 v25, v95, v7
	ds_bpermute_b32 v9, v95, v6
	v_lshlrev_b32_e32 v27, 3, v27
	v_add_lshl_u32 v97, v27, v82, 2
	s_waitcnt lgkmcnt(1)
	v_add_nc_u32_e32 v25, v7, v25
	v_add_nc_u32_e32 v96, 4, v82
	s_waitcnt lgkmcnt(0)
	v_add_nc_u32_e32 v9, v6, v9
	s_delay_alu instid0(VALU_DEP_2) | instskip(SKIP_1) | instid1(VALU_DEP_3)
	v_cmp_gt_u32_e32 vcc_lo, v96, v26
	v_cndmask_b32_e32 v7, v25, v7, vcc_lo
	v_cndmask_b32_e32 v6, v9, v6, vcc_lo
	v_cmp_gt_u32_e32 vcc_lo, 16, v82
	ds_bpermute_b32 v25, v97, v7
	ds_bpermute_b32 v9, v97, v6
	v_cndmask_b32_e64 v27, 0, 1, vcc_lo
	s_delay_alu instid0(VALU_DEP_1) | instskip(NEXT) | instid1(VALU_DEP_1)
	v_lshlrev_b32_e32 v27, 4, v27
	v_add_lshl_u32 v99, v27, v82, 2
	s_waitcnt lgkmcnt(1)
	v_add_nc_u32_e32 v25, v7, v25
	v_add_nc_u32_e32 v98, 8, v82
	s_waitcnt lgkmcnt(0)
	v_add_nc_u32_e32 v9, v6, v9
	s_delay_alu instid0(VALU_DEP_2) | instskip(SKIP_1) | instid1(VALU_DEP_3)
	v_cmp_gt_u32_e32 vcc_lo, v98, v26
	v_cndmask_b32_e32 v7, v25, v7, vcc_lo
	v_cndmask_b32_e32 v6, v9, v6, vcc_lo
	ds_bpermute_b32 v25, v99, v7
	ds_bpermute_b32 v9, v99, v6
	v_add_nc_u32_e32 v100, 16, v82
	s_delay_alu instid0(VALU_DEP_1) | instskip(SKIP_2) | instid1(VALU_DEP_1)
	v_cmp_le_u32_e32 vcc_lo, v100, v26
	s_waitcnt lgkmcnt(0)
	v_cndmask_b32_e32 v9, 0, v9, vcc_lo
	v_dual_cndmask_b32 v25, 0, v25 :: v_dual_add_nc_u32 v6, v9, v6
	s_delay_alu instid0(VALU_DEP_1)
	v_add_nc_u32_e32 v7, v25, v7
	v_mov_b32_e32 v25, 0
	s_branch .LBB2015_107
.LBB2015_106:                           ;   in Loop: Header=BB2015_107 Depth=1
	s_or_b32 exec_lo, exec_lo, s7
	ds_bpermute_b32 v9, v91, v6
	ds_bpermute_b32 v28, v91, v7
	v_subrev_nc_u32_e32 v24, 32, v24
	s_waitcnt lgkmcnt(1)
	v_add_nc_u32_e32 v9, v9, v6
	v_and_b32_e32 v29, 0xff, v8
	s_waitcnt lgkmcnt(0)
	v_add_nc_u32_e32 v28, v28, v7
	s_delay_alu instid0(VALU_DEP_2) | instskip(SKIP_1) | instid1(VALU_DEP_1)
	v_cmp_eq_u16_e32 vcc_lo, 2, v29
	v_and_or_b32 v29, vcc_lo, v92, 0x80000000
	v_ctz_i32_b32_e32 v29, v29
	s_delay_alu instid0(VALU_DEP_1)
	v_cmp_lt_u32_e32 vcc_lo, v82, v29
	v_cndmask_b32_e32 v6, v6, v9, vcc_lo
	ds_bpermute_b32 v9, v93, v6
	s_waitcnt lgkmcnt(0)
	v_add_nc_u32_e32 v9, v6, v9
	v_cndmask_b32_e32 v7, v7, v28, vcc_lo
	v_cmp_gt_u32_e32 vcc_lo, v94, v29
	s_delay_alu instid0(VALU_DEP_3)
	v_cndmask_b32_e32 v6, v9, v6, vcc_lo
	ds_bpermute_b32 v28, v93, v7
	ds_bpermute_b32 v9, v95, v6
	s_waitcnt lgkmcnt(1)
	v_add_nc_u32_e32 v28, v7, v28
	s_waitcnt lgkmcnt(0)
	v_add_nc_u32_e32 v9, v6, v9
	s_delay_alu instid0(VALU_DEP_2) | instskip(SKIP_1) | instid1(VALU_DEP_3)
	v_cndmask_b32_e32 v7, v28, v7, vcc_lo
	v_cmp_gt_u32_e32 vcc_lo, v96, v29
	v_cndmask_b32_e32 v6, v9, v6, vcc_lo
	ds_bpermute_b32 v28, v95, v7
	ds_bpermute_b32 v9, v97, v6
	s_waitcnt lgkmcnt(1)
	v_add_nc_u32_e32 v28, v7, v28
	s_waitcnt lgkmcnt(0)
	v_add_nc_u32_e32 v9, v6, v9
	s_delay_alu instid0(VALU_DEP_2) | instskip(SKIP_1) | instid1(VALU_DEP_3)
	v_cndmask_b32_e32 v7, v28, v7, vcc_lo
	v_cmp_gt_u32_e32 vcc_lo, v98, v29
	v_cndmask_b32_e32 v6, v9, v6, vcc_lo
	ds_bpermute_b32 v28, v97, v7
	ds_bpermute_b32 v9, v99, v6
	s_waitcnt lgkmcnt(1)
	v_add_nc_u32_e32 v28, v7, v28
	s_delay_alu instid0(VALU_DEP_1) | instskip(SKIP_4) | instid1(VALU_DEP_1)
	v_cndmask_b32_e32 v7, v28, v7, vcc_lo
	v_cmp_le_u32_e32 vcc_lo, v100, v29
	ds_bpermute_b32 v28, v99, v7
	s_waitcnt lgkmcnt(1)
	v_cndmask_b32_e32 v9, 0, v9, vcc_lo
	v_add3_u32 v6, v6, v26, v9
	s_waitcnt lgkmcnt(0)
	v_cndmask_b32_e32 v28, 0, v28, vcc_lo
	s_delay_alu instid0(VALU_DEP_1)
	v_add3_u32 v7, v7, v27, v28
.LBB2015_107:                           ; =>This Loop Header: Depth=1
                                        ;     Child Loop BB2015_110 Depth 2
	s_delay_alu instid0(VALU_DEP_1) | instskip(SKIP_1) | instid1(VALU_DEP_2)
	v_dual_mov_b32 v27, v7 :: v_dual_and_b32 v8, 0xff, v8
	v_mov_b32_e32 v26, v6
	v_cmp_ne_u16_e32 vcc_lo, 2, v8
	v_cndmask_b32_e64 v8, 0, 1, vcc_lo
	;;#ASMSTART
	;;#ASMEND
	s_delay_alu instid0(VALU_DEP_1)
	v_cmp_ne_u32_e32 vcc_lo, 0, v8
	s_cmp_lg_u32 vcc_lo, exec_lo
	s_cbranch_scc1 .LBB2015_112
; %bb.108:                              ;   in Loop: Header=BB2015_107 Depth=1
	v_lshlrev_b64 v[6:7], 4, v[24:25]
	s_mov_b32 s7, exec_lo
	s_delay_alu instid0(VALU_DEP_1) | instskip(NEXT) | instid1(VALU_DEP_2)
	v_add_co_u32 v28, vcc_lo, s36, v6
	v_add_co_ci_u32_e32 v29, vcc_lo, s37, v7, vcc_lo
	;;#ASMSTART
	global_load_dwordx4 v[6:9], v[28:29] off glc	
s_waitcnt vmcnt(0)
	;;#ASMEND
	v_and_b32_e32 v9, 0xff, v7
	v_and_b32_e32 v101, 0xff00, v7
	v_or3_b32 v6, v6, 0, 0
	v_and_b32_e32 v102, 0xff000000, v7
	v_and_b32_e32 v7, 0xff0000, v7
	s_delay_alu instid0(VALU_DEP_4) | instskip(SKIP_2) | instid1(VALU_DEP_3)
	v_or3_b32 v9, 0, v9, v101
	v_and_b32_e32 v101, 0xff, v8
	v_or3_b32 v6, v6, 0, 0
	v_or3_b32 v7, v9, v7, v102
	s_delay_alu instid0(VALU_DEP_3)
	v_cmpx_eq_u16_e32 0, v101
	s_cbranch_execz .LBB2015_106
; %bb.109:                              ;   in Loop: Header=BB2015_107 Depth=1
	s_mov_b32 s8, 0
.LBB2015_110:                           ;   Parent Loop BB2015_107 Depth=1
                                        ; =>  This Inner Loop Header: Depth=2
	;;#ASMSTART
	global_load_dwordx4 v[6:9], v[28:29] off glc	
s_waitcnt vmcnt(0)
	;;#ASMEND
	v_and_b32_e32 v9, 0xff, v8
	s_delay_alu instid0(VALU_DEP_1) | instskip(SKIP_1) | instid1(SALU_CYCLE_1)
	v_cmp_ne_u16_e32 vcc_lo, 0, v9
	s_or_b32 s8, vcc_lo, s8
	s_and_not1_b32 exec_lo, exec_lo, s8
	s_cbranch_execnz .LBB2015_110
; %bb.111:                              ;   in Loop: Header=BB2015_107 Depth=1
	s_or_b32 exec_lo, exec_lo, s8
	s_branch .LBB2015_106
.LBB2015_112:                           ;   in Loop: Header=BB2015_107 Depth=1
                                        ; implicit-def: $vgpr8
                                        ; implicit-def: $vgpr6_vgpr7
	s_cbranch_execz .LBB2015_107
; %bb.113:
	s_and_saveexec_b32 s7, s3
	s_cbranch_execnz .LBB2015_356
; %bb.114:
	s_or_b32 exec_lo, exec_lo, s7
	s_and_saveexec_b32 s7, s3
	s_cbranch_execnz .LBB2015_357
.LBB2015_115:
	s_or_b32 exec_lo, exec_lo, s7
	s_delay_alu instid0(SALU_CYCLE_1)
	s_and_b32 exec_lo, exec_lo, s2
	s_cbranch_execz .LBB2015_117
.LBB2015_116:
	v_mov_b32_e32 v5, 0
	ds_store_b64 v5, v[26:27] offset:56
.LBB2015_117:
	s_or_b32 exec_lo, exec_lo, s5
	s_waitcnt lgkmcnt(1)
	v_cndmask_b32_e64 v22, v89, v22, s3
	v_mov_b32_e32 v5, 0
	s_waitcnt lgkmcnt(0)
	s_barrier
	buffer_gl0_inv
	v_add_nc_u32_e64 v7, 0x3400, 0
	ds_load_b64 v[24:25], v5 offset:56
	s_waitcnt lgkmcnt(0)
	s_barrier
	buffer_gl0_inv
	ds_load_2addr_b32 v[5:6], v7 offset1:2
	ds_load_2addr_b32 v[7:8], v7 offset0:4 offset1:6
	v_cndmask_b32_e64 v9, v90, v23, s3
	v_add_nc_u32_e32 v22, v24, v22
	s_delay_alu instid0(VALU_DEP_2) | instskip(NEXT) | instid1(VALU_DEP_2)
	v_add_nc_u32_e32 v9, v25, v9
	v_cndmask_b32_e64 v22, v22, v24, s2
	s_delay_alu instid0(VALU_DEP_2)
	v_cndmask_b32_e64 v9, v9, v25, s2
	s_branch .LBB2015_128
.LBB2015_118:
                                        ; implicit-def: $vgpr9
                                        ; implicit-def: $vgpr7
                                        ; implicit-def: $vgpr5
                                        ; implicit-def: $vgpr22_vgpr23
	s_and_b32 vcc_lo, exec_lo, s5
	s_cbranch_vccz .LBB2015_128
; %bb.119:
	s_waitcnt lgkmcnt(1)
	v_mov_b32_dpp v6, v88 row_shr:1 row_mask:0xf bank_mask:0xf
	v_cmp_lt_u32_e32 vcc_lo, 3, v86
	v_mov_b32_dpp v5, v87 row_shr:1 row_mask:0xf bank_mask:0xf
	s_delay_alu instid0(VALU_DEP_3) | instskip(NEXT) | instid1(VALU_DEP_1)
	v_add_nc_u32_e32 v6, v6, v88
	v_cndmask_b32_e64 v6, v6, v88, s1
	s_waitcnt lgkmcnt(0)
	s_delay_alu instid0(VALU_DEP_1) | instskip(NEXT) | instid1(VALU_DEP_1)
	v_mov_b32_dpp v8, v6 row_shr:2 row_mask:0xf bank_mask:0xf
	v_add_nc_u32_e32 v8, v6, v8
	s_delay_alu instid0(VALU_DEP_1) | instskip(NEXT) | instid1(VALU_DEP_1)
	v_cndmask_b32_e64 v6, v6, v8, s0
	v_mov_b32_dpp v8, v6 row_shr:4 row_mask:0xf bank_mask:0xf
	s_delay_alu instid0(VALU_DEP_1) | instskip(NEXT) | instid1(VALU_DEP_1)
	v_add_nc_u32_e32 v8, v6, v8
	v_dual_cndmask_b32 v6, v6, v8 :: v_dual_add_nc_u32 v5, v5, v87
	s_delay_alu instid0(VALU_DEP_1) | instskip(NEXT) | instid1(VALU_DEP_2)
	v_cndmask_b32_e64 v5, v5, v87, s1
	v_mov_b32_dpp v8, v6 row_shr:8 row_mask:0xf bank_mask:0xf
	s_delay_alu instid0(VALU_DEP_2) | instskip(NEXT) | instid1(VALU_DEP_2)
	v_mov_b32_dpp v7, v5 row_shr:2 row_mask:0xf bank_mask:0xf
	v_add_nc_u32_e32 v8, v6, v8
	s_delay_alu instid0(VALU_DEP_2) | instskip(NEXT) | instid1(VALU_DEP_1)
	v_add_nc_u32_e32 v7, v5, v7
	v_cndmask_b32_e64 v5, v5, v7, s0
	s_mov_b32 s0, exec_lo
	s_delay_alu instid0(VALU_DEP_1) | instskip(NEXT) | instid1(VALU_DEP_1)
	v_mov_b32_dpp v7, v5 row_shr:4 row_mask:0xf bank_mask:0xf
	v_add_nc_u32_e32 v7, v5, v7
	s_delay_alu instid0(VALU_DEP_1) | instskip(SKIP_1) | instid1(VALU_DEP_2)
	v_cndmask_b32_e32 v5, v5, v7, vcc_lo
	v_cmp_lt_u32_e32 vcc_lo, 7, v86
	v_mov_b32_dpp v7, v5 row_shr:8 row_mask:0xf bank_mask:0xf
	s_delay_alu instid0(VALU_DEP_1) | instskip(NEXT) | instid1(VALU_DEP_1)
	v_dual_cndmask_b32 v6, v6, v8 :: v_dual_add_nc_u32 v7, v5, v7
	v_cndmask_b32_e32 v5, v5, v7, vcc_lo
	ds_swizzle_b32 v7, v6 offset:swizzle(BROADCAST,32,15)
	v_cmp_eq_u32_e32 vcc_lo, 0, v85
	ds_swizzle_b32 v8, v5 offset:swizzle(BROADCAST,32,15)
	s_waitcnt lgkmcnt(1)
	v_add_nc_u32_e32 v7, v6, v7
	s_waitcnt lgkmcnt(0)
	v_add_nc_u32_e32 v8, v5, v8
	s_delay_alu instid0(VALU_DEP_1)
	v_dual_cndmask_b32 v6, v7, v6 :: v_dual_cndmask_b32 v5, v8, v5
	v_cmpx_eq_u32_e64 v84, v0
	s_cbranch_execz .LBB2015_121
; %bb.120:
	v_lshlrev_b32_e32 v7, 3, v83
	ds_store_b64 v7, v[5:6]
.LBB2015_121:
	s_or_b32 exec_lo, exec_lo, s0
	s_delay_alu instid0(SALU_CYCLE_1)
	s_mov_b32 s0, exec_lo
	s_waitcnt lgkmcnt(0)
	s_barrier
	buffer_gl0_inv
	v_cmpx_gt_u32_e32 8, v0
	s_cbranch_execz .LBB2015_123
; %bb.122:
	v_lshlrev_b32_e32 v9, 3, v0
	ds_load_b64 v[7:8], v9
	s_waitcnt lgkmcnt(0)
	v_mov_b32_dpp v22, v7 row_shr:1 row_mask:0xf bank_mask:0xf
	v_mov_b32_dpp v23, v8 row_shr:1 row_mask:0xf bank_mask:0xf
	s_delay_alu instid0(VALU_DEP_2) | instskip(SKIP_1) | instid1(VALU_DEP_3)
	v_add_nc_u32_e32 v22, v22, v7
	v_and_b32_e32 v24, 7, v82
	v_add_nc_u32_e32 v23, v23, v8
	s_delay_alu instid0(VALU_DEP_2) | instskip(NEXT) | instid1(VALU_DEP_2)
	v_cmp_eq_u32_e32 vcc_lo, 0, v24
	v_dual_cndmask_b32 v8, v23, v8 :: v_dual_cndmask_b32 v7, v22, v7
	v_cmp_lt_u32_e32 vcc_lo, 1, v24
	s_delay_alu instid0(VALU_DEP_2) | instskip(NEXT) | instid1(VALU_DEP_3)
	v_mov_b32_dpp v23, v8 row_shr:2 row_mask:0xf bank_mask:0xf
	v_mov_b32_dpp v22, v7 row_shr:2 row_mask:0xf bank_mask:0xf
	s_delay_alu instid0(VALU_DEP_2) | instskip(NEXT) | instid1(VALU_DEP_2)
	v_add_nc_u32_e32 v23, v8, v23
	v_add_nc_u32_e32 v22, v7, v22
	s_delay_alu instid0(VALU_DEP_1) | instskip(SKIP_1) | instid1(VALU_DEP_2)
	v_dual_cndmask_b32 v8, v8, v23 :: v_dual_cndmask_b32 v7, v7, v22
	v_cmp_lt_u32_e32 vcc_lo, 3, v24
	v_mov_b32_dpp v23, v8 row_shr:4 row_mask:0xf bank_mask:0xf
	s_delay_alu instid0(VALU_DEP_3) | instskip(NEXT) | instid1(VALU_DEP_1)
	v_mov_b32_dpp v22, v7 row_shr:4 row_mask:0xf bank_mask:0xf
	v_dual_cndmask_b32 v23, 0, v23 :: v_dual_cndmask_b32 v22, 0, v22
	s_delay_alu instid0(VALU_DEP_1) | instskip(NEXT) | instid1(VALU_DEP_2)
	v_add_nc_u32_e32 v8, v23, v8
	v_add_nc_u32_e32 v7, v22, v7
	ds_store_b64 v9, v[7:8]
.LBB2015_123:
	s_or_b32 exec_lo, exec_lo, s0
	v_dual_mov_b32 v7, 0 :: v_dual_mov_b32 v22, 0
	v_mov_b32_e32 v23, 0
	s_mov_b32 s0, exec_lo
	s_waitcnt lgkmcnt(0)
	s_barrier
	buffer_gl0_inv
	v_cmpx_lt_u32_e32 31, v0
	s_cbranch_execz .LBB2015_125
; %bb.124:
	v_lshl_add_u32 v8, v83, 3, -8
	ds_load_b64 v[22:23], v8
.LBB2015_125:
	s_or_b32 exec_lo, exec_lo, s0
	v_add_nc_u32_e32 v8, -1, v82
	s_waitcnt lgkmcnt(0)
	v_add_nc_u32_e32 v24, v23, v6
	v_add_nc_u32_e32 v9, v22, v5
	ds_load_b64 v[5:6], v7 offset:56
	v_cmp_gt_i32_e32 vcc_lo, 0, v8
	v_cndmask_b32_e32 v8, v8, v82, vcc_lo
	s_delay_alu instid0(VALU_DEP_1)
	v_lshlrev_b32_e32 v8, 2, v8
	ds_bpermute_b32 v9, v8, v9
	ds_bpermute_b32 v24, v8, v24
	s_waitcnt lgkmcnt(2)
	v_readfirstlane_b32 s0, v6
	s_and_saveexec_b32 s1, s2
	s_cbranch_execz .LBB2015_127
; %bb.126:
	s_mov_b32 s8, 0
	s_add_u32 s6, s36, 0x200
	s_addc_u32 s7, s37, 0
	s_and_b32 s9, s0, 0xff000000
	s_and_b32 s11, s0, 0xff0000
	s_mov_b32 s10, s8
	v_mov_b32_e32 v26, s7
	s_or_b64 s[10:11], s[10:11], s[8:9]
	s_and_b32 s9, s0, 0xff00
	v_dual_mov_b32 v8, 0 :: v_dual_mov_b32 v25, s6
	s_or_b64 s[10:11], s[10:11], s[8:9]
	s_and_b32 s9, s0, 0xff
	v_mov_b32_e32 v7, 2
	s_or_b64 s[8:9], s[10:11], s[8:9]
	s_delay_alu instid0(SALU_CYCLE_1)
	v_mov_b32_e32 v6, s9
	;;#ASMSTART
	global_store_dwordx4 v[25:26], v[5:8] off	
s_waitcnt vmcnt(0)
	;;#ASMEND
.LBB2015_127:
	s_or_b32 exec_lo, exec_lo, s1
	v_cmp_eq_u32_e32 vcc_lo, 0, v82
	v_dual_mov_b32 v7, 0 :: v_dual_mov_b32 v6, s0
	s_waitcnt lgkmcnt(0)
	s_barrier
	v_dual_cndmask_b32 v8, v9, v22 :: v_dual_cndmask_b32 v9, v24, v23
	buffer_gl0_inv
	v_cndmask_b32_e64 v22, v8, 0, s2
	v_cndmask_b32_e64 v9, v9, 0, s2
	v_mov_b32_e32 v8, 0
.LBB2015_128:
	s_delay_alu instid0(VALU_DEP_1) | instskip(SKIP_1) | instid1(VALU_DEP_2)
	v_add_nc_u32_e32 v24, v9, v81
	s_waitcnt lgkmcnt(0)
	v_sub_nc_u32_e32 v9, v9, v8
	v_add_co_u32 v1, vcc_lo, v1, v7
	v_and_b32_e32 v35, 1, v35
	v_add_nc_u32_e32 v26, v24, v77
	v_sub_nc_u32_e32 v24, v24, v8
	v_lshlrev_b32_e32 v77, 1, v5
	v_add_nc_u32_e32 v9, v9, v5
	v_add_co_ci_u32_e32 v2, vcc_lo, 0, v2, vcc_lo
	v_add_nc_u32_e32 v28, v26, v79
	s_delay_alu instid0(VALU_DEP_4)
	v_add3_u32 v33, v77, v6, v33
	v_and_b32_e32 v40, 1, v40
	v_and_b32_e32 v37, 1, v37
	;; [unrolled: 1-line block ×3, first 2 shown]
	v_add_nc_u32_e32 v29, v28, v75
	v_sub_nc_u32_e32 v28, v28, v8
	v_sub_co_u32 v75, vcc_lo, v3, v5
	s_add_u32 s1, s14, -4
	s_delay_alu instid0(VALU_DEP_3) | instskip(SKIP_4) | instid1(VALU_DEP_3)
	v_add_nc_u32_e32 v73, v29, v73
	v_sub_nc_u32_e32 v29, v29, v8
	v_add_nc_u32_e32 v28, v28, v5
	v_add_nc_u32_e32 v24, v24, v5
	s_mov_b32 s3, -1
	v_add_nc_u32_e32 v29, v29, v5
	v_add_nc_u32_e32 v23, v22, v80
	v_sub_nc_u32_e32 v22, v22, v7
	s_delay_alu instid0(VALU_DEP_2) | instskip(SKIP_3) | instid1(VALU_DEP_3)
	v_add_nc_u32_e32 v25, v23, v76
	v_sub_nc_u32_e32 v23, v23, v7
	v_subrev_co_ci_u32_e32 v76, vcc_lo, 0, v4, vcc_lo
	v_cmp_eq_u32_e32 vcc_lo, 1, v35
	v_add_nc_u32_e32 v79, v24, v23
	s_delay_alu instid0(VALU_DEP_1) | instskip(NEXT) | instid1(VALU_DEP_1)
	v_sub_nc_u32_e32 v79, v33, v79
	v_add_nc_u32_e32 v79, 1, v79
	v_add_nc_u32_e32 v27, v25, v78
	;; [unrolled: 1-line block ×3, first 2 shown]
	s_delay_alu instid0(VALU_DEP_1) | instskip(NEXT) | instid1(VALU_DEP_1)
	v_sub_nc_u32_e32 v78, v33, v78
	v_dual_cndmask_b32 v9, v78, v9 :: v_dual_and_b32 v34, 1, v34
	v_cmp_eq_u32_e32 vcc_lo, 1, v40
	v_cndmask_b32_e32 v24, v79, v24, vcc_lo
	s_delay_alu instid0(VALU_DEP_3) | instskip(NEXT) | instid1(VALU_DEP_4)
	v_cmp_eq_u32_e32 vcc_lo, 1, v34
	v_cndmask_b32_e32 v9, v9, v22, vcc_lo
	v_sub_nc_u32_e32 v26, v26, v8
	v_cmp_eq_u32_e32 vcc_lo, 1, v37
	v_and_b32_e32 v37, 1, v38
	s_delay_alu instid0(VALU_DEP_4) | instskip(NEXT) | instid1(VALU_DEP_4)
	v_lshlrev_b32_e32 v9, 2, v9
	v_add_nc_u32_e32 v26, v26, v5
	v_cndmask_b32_e32 v24, v24, v23, vcc_lo
	v_sub_nc_u32_e32 v25, v25, v7
	v_add_co_u32 v22, vcc_lo, v75, v8
	v_add_co_ci_u32_e32 v23, vcc_lo, 0, v76, vcc_lo
	s_delay_alu instid0(VALU_DEP_3)
	v_add_nc_u32_e32 v34, v26, v25
	v_cmp_eq_u32_e32 vcc_lo, 1, v37
	v_lshlrev_b32_e32 v24, 2, v24
	ds_store_b32 v9, v20
	v_sub_nc_u32_e32 v34, v33, v34
	ds_store_b32 v24, v21
	v_and_b32_e32 v24, 1, v39
	v_add_nc_u32_e32 v34, 2, v34
	s_delay_alu instid0(VALU_DEP_1) | instskip(SKIP_3) | instid1(VALU_DEP_4)
	v_cndmask_b32_e32 v26, v34, v26, vcc_lo
	v_cmp_eq_u32_e32 vcc_lo, 1, v36
	v_add_nc_u32_e32 v74, v27, v74
	v_sub_nc_u32_e32 v27, v27, v7
	v_cndmask_b32_e32 v25, v26, v25, vcc_lo
	s_delay_alu instid0(VALU_DEP_3) | instskip(NEXT) | instid1(VALU_DEP_3)
	v_sub_nc_u32_e32 v37, v74, v7
	v_add_nc_u32_e32 v34, v27, v28
	v_cmp_eq_u32_e32 vcc_lo, 1, v24
	v_sub_nc_u32_e32 v26, v73, v8
	v_lshlrev_b32_e32 v21, 2, v25
	v_and_b32_e32 v25, 1, v41
	v_sub_nc_u32_e32 v9, v33, v34
	v_add_nc_u32_e32 v20, v37, v29
	v_and_b32_e32 v24, 1, v42
	v_add_nc_u32_e32 v26, v26, v5
	ds_store_b32 v21, v18
	v_add_nc_u32_e32 v9, 3, v9
	v_sub_nc_u32_e32 v20, v33, v20
	s_delay_alu instid0(VALU_DEP_2) | instskip(SKIP_2) | instid1(VALU_DEP_4)
	v_cndmask_b32_e32 v9, v9, v28, vcc_lo
	v_cmp_eq_u32_e32 vcc_lo, 1, v25
	v_add_nc_u32_e32 v72, v74, v72
	v_add_nc_u32_e32 v20, 4, v20
	v_and_b32_e32 v25, 1, v43
	v_cndmask_b32_e32 v9, v9, v27, vcc_lo
	s_delay_alu instid0(VALU_DEP_4)
	v_sub_nc_u32_e32 v28, v72, v7
	v_cmp_eq_u32_e32 vcc_lo, 1, v24
	v_and_b32_e32 v24, 1, v44
	v_add_nc_u32_e32 v70, v72, v70
	v_lshlrev_b32_e32 v9, 2, v9
	v_add_nc_u32_e32 v27, v28, v26
	v_cndmask_b32_e32 v20, v20, v29, vcc_lo
	v_cmp_eq_u32_e32 vcc_lo, 1, v25
	v_and_b32_e32 v25, 1, v45
	v_add_nc_u32_e32 v64, v70, v64
	v_sub_nc_u32_e32 v18, v33, v27
	v_sub_nc_u32_e32 v27, v70, v7
	v_cndmask_b32_e32 v20, v20, v37, vcc_lo
	v_cmp_eq_u32_e32 vcc_lo, 1, v24
	ds_store_b32 v9, v19
	v_add_nc_u32_e32 v18, 5, v18
	v_and_b32_e32 v19, 1, v46
	v_lshlrev_b32_e32 v20, 2, v20
	v_add_nc_u32_e32 v68, v64, v68
	s_delay_alu instid0(VALU_DEP_4)
	v_cndmask_b32_e32 v18, v18, v26, vcc_lo
	v_cmp_eq_u32_e32 vcc_lo, 1, v25
	v_sub_nc_u32_e32 v25, v64, v7
	ds_store_b32 v20, v16
	v_and_b32_e32 v20, 1, v49
	v_add_nc_u32_e32 v66, v68, v66
	v_dual_cndmask_b32 v18, v18, v28 :: v_dual_add_nc_u32 v71, v73, v71
	v_cmp_eq_u32_e32 vcc_lo, 1, v19
	v_and_b32_e32 v19, 1, v48
	s_delay_alu instid0(VALU_DEP_4) | instskip(NEXT) | instid1(VALU_DEP_4)
	v_add_nc_u32_e32 v61, v66, v61
	v_lshlrev_b32_e32 v18, 2, v18
	v_add_nc_u32_e32 v65, v71, v65
	v_sub_nc_u32_e32 v21, v71, v8
	s_delay_alu instid0(VALU_DEP_4)
	v_add_nc_u32_e32 v60, v61, v60
	ds_store_b32 v18, v17
	v_sub_nc_u32_e32 v24, v65, v8
	v_add_nc_u32_e32 v21, v21, v5
	v_add_nc_u32_e32 v69, v65, v69
	v_and_b32_e32 v17, 1, v47
	s_delay_alu instid0(VALU_DEP_4) | instskip(NEXT) | instid1(VALU_DEP_4)
	v_add_nc_u32_e32 v24, v24, v5
	v_add_nc_u32_e32 v26, v27, v21
	s_delay_alu instid0(VALU_DEP_4) | instskip(NEXT) | instid1(VALU_DEP_3)
	v_sub_nc_u32_e32 v18, v69, v8
	v_add_nc_u32_e32 v16, v25, v24
	s_delay_alu instid0(VALU_DEP_3) | instskip(NEXT) | instid1(VALU_DEP_3)
	v_sub_nc_u32_e32 v9, v33, v26
	v_add_nc_u32_e32 v18, v18, v5
	v_sub_nc_u32_e32 v26, v60, v7
	s_delay_alu instid0(VALU_DEP_4) | instskip(NEXT) | instid1(VALU_DEP_4)
	v_sub_nc_u32_e32 v16, v33, v16
	v_add_nc_u32_e32 v9, 6, v9
	s_delay_alu instid0(VALU_DEP_1) | instskip(SKIP_2) | instid1(VALU_DEP_3)
	v_dual_cndmask_b32 v9, v9, v21 :: v_dual_add_nc_u32 v16, 7, v16
	v_cmp_eq_u32_e32 vcc_lo, 1, v19
	v_sub_nc_u32_e32 v21, v68, v7
	v_cndmask_b32_e32 v16, v16, v24, vcc_lo
	v_cmp_eq_u32_e32 vcc_lo, 1, v17
	s_delay_alu instid0(VALU_DEP_3) | instskip(SKIP_3) | instid1(VALU_DEP_4)
	v_add_nc_u32_e32 v17, v21, v18
	v_cndmask_b32_e32 v9, v9, v27, vcc_lo
	v_cmp_eq_u32_e32 vcc_lo, 1, v20
	v_add_nc_u32_e32 v67, v69, v67
	v_sub_nc_u32_e32 v17, v33, v17
	v_sub_nc_u32_e32 v20, v66, v7
	v_lshlrev_b32_e32 v9, 2, v9
	v_cndmask_b32_e32 v16, v16, v25, vcc_lo
	v_sub_nc_u32_e32 v19, v67, v8
	v_add_nc_u32_e32 v62, v67, v62
	v_sub_nc_u32_e32 v25, v61, v7
	ds_store_b32 v9, v14
	v_and_b32_e32 v9, 1, v50
	v_add_nc_u32_e32 v19, v19, v5
	v_add_nc_u32_e32 v14, 8, v17
	v_lshlrev_b32_e32 v16, 2, v16
	v_add_nc_u32_e32 v63, v62, v63
	v_cmp_eq_u32_e32 vcc_lo, 1, v9
	v_add_nc_u32_e32 v17, v20, v19
	ds_store_b32 v16, v15
	v_and_b32_e32 v15, 1, v51
	v_cndmask_b32_e32 v9, v14, v18, vcc_lo
	v_sub_nc_u32_e32 v14, v33, v17
	v_and_b32_e32 v18, 1, v52
	v_sub_nc_u32_e32 v17, v62, v8
	v_and_b32_e32 v16, 1, v54
	v_sub_nc_u32_e32 v24, v63, v8
	v_add_nc_u32_e32 v14, 9, v14
	v_cmp_eq_u32_e32 vcc_lo, 1, v18
	v_add_nc_u32_e32 v17, v17, v5
	v_add_nc_u32_e32 v35, v63, v59
	;; [unrolled: 1-line block ×3, first 2 shown]
	v_cndmask_b32_e32 v14, v14, v19, vcc_lo
	v_cmp_eq_u32_e32 vcc_lo, 1, v15
	v_add_nc_u32_e32 v15, v25, v17
	s_delay_alu instid0(VALU_DEP_4)
	v_add_nc_u32_e32 v18, v26, v24
	v_and_b32_e32 v19, 1, v55
	v_cndmask_b32_e32 v9, v9, v21, vcc_lo
	v_cmp_eq_u32_e32 vcc_lo, 1, v16
	v_sub_nc_u32_e32 v15, v33, v15
	v_sub_nc_u32_e32 v18, v33, v18
	v_and_b32_e32 v21, 1, v57
	v_sub_nc_u32_e32 v16, v35, v8
	v_cndmask_b32_e32 v14, v14, v20, vcc_lo
	v_and_b32_e32 v20, 1, v53
	v_add_nc_u32_e32 v15, 10, v15
	v_add_nc_u32_e32 v18, 11, v18
	v_add_nc_u32_e32 v16, v16, v5
	v_lshlrev_b32_e32 v9, 2, v9
	v_cmp_eq_u32_e32 vcc_lo, 1, v20
	v_dual_cndmask_b32 v15, v15, v17 :: v_dual_lshlrev_b32 v14, 2, v14
	v_cmp_eq_u32_e32 vcc_lo, 1, v21
	v_and_b32_e32 v17, 1, v56
	v_cndmask_b32_e32 v18, v18, v24, vcc_lo
	v_cmp_eq_u32_e32 vcc_lo, 1, v19
	v_cndmask_b32_e32 v15, v15, v25, vcc_lo
	s_delay_alu instid0(VALU_DEP_4) | instskip(NEXT) | instid1(VALU_DEP_2)
	v_cmp_eq_u32_e32 vcc_lo, 1, v17
	v_lshlrev_b32_e32 v15, 2, v15
	v_cndmask_b32_e32 v17, v18, v26, vcc_lo
	v_add_nc_u32_e32 v40, v60, v58
	s_delay_alu instid0(VALU_DEP_2) | instskip(NEXT) | instid1(VALU_DEP_2)
	v_lshlrev_b32_e32 v17, 2, v17
	v_sub_nc_u32_e32 v7, v40, v7
	ds_store_b32 v9, v12
	ds_store_b32 v14, v13
	;; [unrolled: 1-line block ×4, first 2 shown]
	v_add_co_u32 v9, s0, v6, v77
	s_delay_alu instid0(VALU_DEP_1) | instskip(SKIP_1) | instid1(VALU_DEP_3)
	v_add_co_ci_u32_e64 v10, null, 0, 0, s0
	v_add_nc_u32_e32 v27, v7, v16
	v_add_co_u32 v9, vcc_lo, v9, v22
	s_delay_alu instid0(VALU_DEP_3) | instskip(NEXT) | instid1(VALU_DEP_3)
	v_add_co_ci_u32_e32 v10, vcc_lo, v10, v23, vcc_lo
	v_sub_nc_u32_e32 v20, v33, v27
	v_add_co_u32 v11, s0, s34, v30
	s_delay_alu instid0(VALU_DEP_4) | instskip(NEXT) | instid1(VALU_DEP_3)
	v_add_co_u32 v9, vcc_lo, v9, v1
	v_add_nc_u32_e32 v18, 12, v20
	v_add_co_ci_u32_e64 v12, null, s35, 0, s0
	v_add_co_ci_u32_e32 v10, vcc_lo, v10, v2, vcc_lo
	s_delay_alu instid0(VALU_DEP_3) | instskip(SKIP_1) | instid1(VALU_DEP_2)
	v_cndmask_b32_e64 v16, v18, v16, s33
	v_add_nc_u32_e32 v14, v5, v6
	v_cndmask_b32_e64 v7, v16, v7, s27
	s_delay_alu instid0(VALU_DEP_1)
	v_lshlrev_b32_e32 v7, 2, v7
	ds_store_b32 v7, v32
	v_sub_co_u32 v7, vcc_lo, v11, v9
	v_sub_co_ci_u32_e32 v13, vcc_lo, v12, v10, vcc_lo
	v_lshlrev_b64 v[9:10], 2, v[22:23]
	v_lshlrev_b64 v[11:12], 2, v[1:2]
	s_waitcnt lgkmcnt(0)
	s_barrier
	buffer_gl0_inv
	v_add_co_u32 v9, vcc_lo, s30, v9
	v_add_co_ci_u32_e32 v10, vcc_lo, s31, v10, vcc_lo
	v_cmp_ne_u32_e32 vcc_lo, 1, v31
	v_add_co_u32 v11, s0, s28, v11
	s_delay_alu instid0(VALU_DEP_1)
	v_add_co_ci_u32_e64 v12, s0, s29, v12, s0
	s_addc_u32 s0, s15, -1
	s_cbranch_vccz .LBB2015_132
; %bb.129:
	s_and_b32 vcc_lo, exec_lo, s3
	s_cbranch_vccnz .LBB2015_237
.LBB2015_130:
	s_and_b32 s0, s2, s13
	s_delay_alu instid0(SALU_CYCLE_1)
	s_and_saveexec_b32 s1, s0
	s_cbranch_execnz .LBB2015_355
.LBB2015_131:
	s_nop 0
	s_sendmsg sendmsg(MSG_DEALLOC_VGPRS)
	s_endpgm
.LBB2015_132:
	s_mov_b32 s3, exec_lo
	v_cmpx_le_u32_e64 v5, v0
	s_xor_b32 s3, exec_lo, s3
	s_cbranch_execz .LBB2015_138
; %bb.133:
	s_mov_b32 s5, exec_lo
	v_cmpx_le_u32_e64 v14, v0
	s_xor_b32 s5, exec_lo, s5
	s_cbranch_execz .LBB2015_135
; %bb.134:
	v_lshlrev_b32_e32 v15, 2, v0
	ds_load_b32 v17, v15
	v_add_co_u32 v15, vcc_lo, v7, v0
	v_add_co_ci_u32_e32 v16, vcc_lo, 0, v13, vcc_lo
	s_delay_alu instid0(VALU_DEP_1) | instskip(NEXT) | instid1(VALU_DEP_1)
	v_lshlrev_b64 v[15:16], 2, v[15:16]
	v_sub_co_u32 v15, vcc_lo, s14, v15
	s_delay_alu instid0(VALU_DEP_2)
	v_sub_co_ci_u32_e32 v16, vcc_lo, s15, v16, vcc_lo
	s_waitcnt lgkmcnt(0)
	global_store_b32 v[15:16], v17, off offset:-4
.LBB2015_135:
	s_and_not1_saveexec_b32 s5, s5
	s_cbranch_execz .LBB2015_137
; %bb.136:
	v_lshlrev_b32_e32 v15, 2, v0
	v_readfirstlane_b32 s6, v9
	v_readfirstlane_b32 s7, v10
	ds_load_b32 v16, v15
	s_waitcnt lgkmcnt(0)
	global_store_b32 v15, v16, s[6:7]
.LBB2015_137:
	s_or_b32 exec_lo, exec_lo, s5
.LBB2015_138:
	s_and_not1_saveexec_b32 s3, s3
	s_cbranch_execz .LBB2015_140
; %bb.139:
	v_lshlrev_b32_e32 v15, 2, v0
	v_readfirstlane_b32 s6, v11
	v_readfirstlane_b32 s7, v12
	ds_load_b32 v16, v15
	s_waitcnt lgkmcnt(0)
	global_store_b32 v15, v16, s[6:7]
.LBB2015_140:
	s_or_b32 exec_lo, exec_lo, s3
	v_or_b32_e32 v15, 0x100, v0
	s_mov_b32 s3, exec_lo
	s_delay_alu instid0(VALU_DEP_1)
	v_cmpx_le_u32_e64 v5, v15
	s_xor_b32 s3, exec_lo, s3
	s_cbranch_execz .LBB2015_146
; %bb.141:
	s_mov_b32 s5, exec_lo
	v_cmpx_le_u32_e64 v14, v15
	s_xor_b32 s5, exec_lo, s5
	s_cbranch_execz .LBB2015_143
; %bb.142:
	v_lshlrev_b32_e32 v15, 2, v0
	ds_load_b32 v17, v15 offset:1024
	v_add_co_u32 v15, vcc_lo, v7, v0
	v_add_co_ci_u32_e32 v16, vcc_lo, 0, v13, vcc_lo
	s_delay_alu instid0(VALU_DEP_1) | instskip(NEXT) | instid1(VALU_DEP_1)
	v_lshlrev_b64 v[15:16], 2, v[15:16]
	v_sub_co_u32 v15, vcc_lo, s1, v15
	s_delay_alu instid0(VALU_DEP_2)
	v_sub_co_ci_u32_e32 v16, vcc_lo, s0, v16, vcc_lo
	s_waitcnt lgkmcnt(0)
	global_store_b32 v[15:16], v17, off offset:-1024
.LBB2015_143:
	s_and_not1_saveexec_b32 s5, s5
	s_cbranch_execz .LBB2015_145
; %bb.144:
	v_lshlrev_b32_e32 v15, 2, v0
	v_readfirstlane_b32 s6, v9
	v_readfirstlane_b32 s7, v10
	ds_load_b32 v16, v15 offset:1024
	s_waitcnt lgkmcnt(0)
	global_store_b32 v15, v16, s[6:7] offset:1024
.LBB2015_145:
	s_or_b32 exec_lo, exec_lo, s5
.LBB2015_146:
	s_and_not1_saveexec_b32 s3, s3
	s_cbranch_execz .LBB2015_148
; %bb.147:
	v_lshlrev_b32_e32 v15, 2, v0
	v_readfirstlane_b32 s6, v11
	v_readfirstlane_b32 s7, v12
	ds_load_b32 v16, v15 offset:1024
	s_waitcnt lgkmcnt(0)
	global_store_b32 v15, v16, s[6:7] offset:1024
.LBB2015_148:
	s_or_b32 exec_lo, exec_lo, s3
	v_or_b32_e32 v15, 0x200, v0
	s_mov_b32 s3, exec_lo
	s_delay_alu instid0(VALU_DEP_1)
	v_cmpx_le_u32_e64 v5, v15
	s_xor_b32 s3, exec_lo, s3
	s_cbranch_execz .LBB2015_154
; %bb.149:
	s_mov_b32 s5, exec_lo
	v_cmpx_le_u32_e64 v14, v15
	s_xor_b32 s5, exec_lo, s5
	s_cbranch_execz .LBB2015_151
; %bb.150:
	v_lshlrev_b32_e32 v15, 2, v0
	ds_load_b32 v17, v15 offset:2048
	v_add_co_u32 v15, vcc_lo, v7, v0
	v_add_co_ci_u32_e32 v16, vcc_lo, 0, v13, vcc_lo
	s_delay_alu instid0(VALU_DEP_1) | instskip(NEXT) | instid1(VALU_DEP_1)
	v_lshlrev_b64 v[15:16], 2, v[15:16]
	v_sub_co_u32 v15, vcc_lo, s1, v15
	s_delay_alu instid0(VALU_DEP_2)
	v_sub_co_ci_u32_e32 v16, vcc_lo, s0, v16, vcc_lo
	s_waitcnt lgkmcnt(0)
	global_store_b32 v[15:16], v17, off offset:-2048
.LBB2015_151:
	s_and_not1_saveexec_b32 s5, s5
	s_cbranch_execz .LBB2015_153
; %bb.152:
	v_lshlrev_b32_e32 v15, 2, v0
	v_readfirstlane_b32 s6, v9
	v_readfirstlane_b32 s7, v10
	ds_load_b32 v16, v15 offset:2048
	s_waitcnt lgkmcnt(0)
	global_store_b32 v15, v16, s[6:7] offset:2048
.LBB2015_153:
	s_or_b32 exec_lo, exec_lo, s5
.LBB2015_154:
	s_and_not1_saveexec_b32 s3, s3
	s_cbranch_execz .LBB2015_156
; %bb.155:
	v_lshlrev_b32_e32 v15, 2, v0
	v_readfirstlane_b32 s6, v11
	v_readfirstlane_b32 s7, v12
	ds_load_b32 v16, v15 offset:2048
	s_waitcnt lgkmcnt(0)
	global_store_b32 v15, v16, s[6:7] offset:2048
.LBB2015_156:
	;; [unrolled: 47-line block ×3, first 2 shown]
	s_or_b32 exec_lo, exec_lo, s3
	v_or_b32_e32 v15, 0x400, v0
	s_mov_b32 s3, exec_lo
	s_delay_alu instid0(VALU_DEP_1)
	v_cmpx_le_u32_e64 v5, v15
	s_xor_b32 s3, exec_lo, s3
	s_cbranch_execz .LBB2015_170
; %bb.165:
	s_mov_b32 s5, exec_lo
	v_cmpx_le_u32_e64 v14, v15
	s_xor_b32 s5, exec_lo, s5
	s_cbranch_execz .LBB2015_167
; %bb.166:
	v_lshlrev_b32_e32 v15, 2, v0
	ds_load_b32 v17, v15 offset:4096
	v_add_co_u32 v15, vcc_lo, v7, v0
	v_add_co_ci_u32_e32 v16, vcc_lo, 0, v13, vcc_lo
	s_delay_alu instid0(VALU_DEP_1) | instskip(NEXT) | instid1(VALU_DEP_1)
	v_lshlrev_b64 v[15:16], 2, v[15:16]
	v_sub_co_u32 v15, vcc_lo, s1, v15
	s_delay_alu instid0(VALU_DEP_2)
	v_sub_co_ci_u32_e32 v16, vcc_lo, s0, v16, vcc_lo
	s_waitcnt lgkmcnt(0)
	global_store_b32 v[15:16], v17, off offset:-4096
                                        ; implicit-def: $vgpr15
.LBB2015_167:
	s_and_not1_saveexec_b32 s5, s5
	s_cbranch_execz .LBB2015_169
; %bb.168:
	v_lshlrev_b32_e32 v16, 2, v0
	v_lshlrev_b32_e32 v15, 2, v15
	v_readfirstlane_b32 s6, v9
	v_readfirstlane_b32 s7, v10
	ds_load_b32 v16, v16 offset:4096
	s_waitcnt lgkmcnt(0)
	global_store_b32 v15, v16, s[6:7]
.LBB2015_169:
	s_or_b32 exec_lo, exec_lo, s5
                                        ; implicit-def: $vgpr15
.LBB2015_170:
	s_and_not1_saveexec_b32 s3, s3
	s_cbranch_execz .LBB2015_172
; %bb.171:
	v_lshlrev_b32_e32 v16, 2, v0
	v_lshlrev_b32_e32 v15, 2, v15
	v_readfirstlane_b32 s6, v11
	v_readfirstlane_b32 s7, v12
	ds_load_b32 v16, v16 offset:4096
	s_waitcnt lgkmcnt(0)
	global_store_b32 v15, v16, s[6:7]
.LBB2015_172:
	s_or_b32 exec_lo, exec_lo, s3
	v_or_b32_e32 v15, 0x500, v0
	s_mov_b32 s3, exec_lo
	s_delay_alu instid0(VALU_DEP_1)
	v_cmpx_le_u32_e64 v5, v15
	s_xor_b32 s3, exec_lo, s3
	s_cbranch_execz .LBB2015_178
; %bb.173:
	s_mov_b32 s5, exec_lo
	v_cmpx_le_u32_e64 v14, v15
	s_xor_b32 s5, exec_lo, s5
	s_cbranch_execz .LBB2015_175
; %bb.174:
	v_lshlrev_b32_e32 v16, 2, v0
	v_add_co_u32 v15, vcc_lo, v7, v15
	ds_load_b32 v17, v16 offset:5120
	v_add_co_ci_u32_e32 v16, vcc_lo, 0, v13, vcc_lo
	s_delay_alu instid0(VALU_DEP_1) | instskip(NEXT) | instid1(VALU_DEP_1)
	v_lshlrev_b64 v[15:16], 2, v[15:16]
	v_sub_co_u32 v15, vcc_lo, s1, v15
	s_delay_alu instid0(VALU_DEP_2)
	v_sub_co_ci_u32_e32 v16, vcc_lo, s0, v16, vcc_lo
	s_waitcnt lgkmcnt(0)
	global_store_b32 v[15:16], v17, off
                                        ; implicit-def: $vgpr15
.LBB2015_175:
	s_and_not1_saveexec_b32 s5, s5
	s_cbranch_execz .LBB2015_177
; %bb.176:
	v_lshlrev_b32_e32 v16, 2, v0
	v_lshlrev_b32_e32 v15, 2, v15
	v_readfirstlane_b32 s6, v9
	v_readfirstlane_b32 s7, v10
	ds_load_b32 v16, v16 offset:5120
	s_waitcnt lgkmcnt(0)
	global_store_b32 v15, v16, s[6:7]
.LBB2015_177:
	s_or_b32 exec_lo, exec_lo, s5
                                        ; implicit-def: $vgpr15
.LBB2015_178:
	s_and_not1_saveexec_b32 s3, s3
	s_cbranch_execz .LBB2015_180
; %bb.179:
	v_lshlrev_b32_e32 v16, 2, v0
	v_lshlrev_b32_e32 v15, 2, v15
	v_readfirstlane_b32 s6, v11
	v_readfirstlane_b32 s7, v12
	ds_load_b32 v16, v16 offset:5120
	s_waitcnt lgkmcnt(0)
	global_store_b32 v15, v16, s[6:7]
.LBB2015_180:
	s_or_b32 exec_lo, exec_lo, s3
	v_or_b32_e32 v15, 0x600, v0
	s_mov_b32 s3, exec_lo
	s_delay_alu instid0(VALU_DEP_1)
	v_cmpx_le_u32_e64 v5, v15
	s_xor_b32 s3, exec_lo, s3
	s_cbranch_execz .LBB2015_186
; %bb.181:
	s_mov_b32 s5, exec_lo
	v_cmpx_le_u32_e64 v14, v15
	s_xor_b32 s5, exec_lo, s5
	s_cbranch_execz .LBB2015_183
; %bb.182:
	v_lshlrev_b32_e32 v16, 2, v0
	v_add_co_u32 v15, vcc_lo, v7, v15
	ds_load_b32 v17, v16 offset:6144
	v_add_co_ci_u32_e32 v16, vcc_lo, 0, v13, vcc_lo
	s_delay_alu instid0(VALU_DEP_1) | instskip(NEXT) | instid1(VALU_DEP_1)
	v_lshlrev_b64 v[15:16], 2, v[15:16]
	v_sub_co_u32 v15, vcc_lo, s1, v15
	s_delay_alu instid0(VALU_DEP_2)
	v_sub_co_ci_u32_e32 v16, vcc_lo, s0, v16, vcc_lo
	s_waitcnt lgkmcnt(0)
	global_store_b32 v[15:16], v17, off
                                        ; implicit-def: $vgpr15
.LBB2015_183:
	s_and_not1_saveexec_b32 s5, s5
	s_cbranch_execz .LBB2015_185
; %bb.184:
	v_lshlrev_b32_e32 v16, 2, v0
	v_lshlrev_b32_e32 v15, 2, v15
	v_readfirstlane_b32 s6, v9
	v_readfirstlane_b32 s7, v10
	ds_load_b32 v16, v16 offset:6144
	s_waitcnt lgkmcnt(0)
	global_store_b32 v15, v16, s[6:7]
.LBB2015_185:
	s_or_b32 exec_lo, exec_lo, s5
                                        ; implicit-def: $vgpr15
.LBB2015_186:
	;; [unrolled: 51-line block ×8, first 2 shown]
	s_and_not1_saveexec_b32 s3, s3
	s_cbranch_execz .LBB2015_236
; %bb.235:
	v_lshlrev_b32_e32 v16, 2, v0
	v_lshlrev_b32_e32 v15, 2, v15
	v_readfirstlane_b32 s6, v11
	v_readfirstlane_b32 s7, v12
	ds_load_b32 v16, v16 offset:12288
	s_waitcnt lgkmcnt(0)
	global_store_b32 v15, v16, s[6:7]
.LBB2015_236:
	s_or_b32 exec_lo, exec_lo, s3
	s_branch .LBB2015_130
.LBB2015_237:
	s_mov_b32 s3, exec_lo
	v_cmpx_gt_u32_e64 s4, v0
	s_cbranch_execz .LBB2015_246
; %bb.238:
	s_mov_b32 s5, exec_lo
	v_cmpx_le_u32_e64 v5, v0
	s_xor_b32 s5, exec_lo, s5
	s_cbranch_execz .LBB2015_244
; %bb.239:
	s_mov_b32 s6, exec_lo
	v_cmpx_le_u32_e64 v14, v0
	s_xor_b32 s6, exec_lo, s6
	s_cbranch_execz .LBB2015_241
; %bb.240:
	v_lshlrev_b32_e32 v15, 2, v0
	ds_load_b32 v17, v15
	v_add_co_u32 v15, vcc_lo, v7, v0
	v_add_co_ci_u32_e32 v16, vcc_lo, 0, v13, vcc_lo
	s_delay_alu instid0(VALU_DEP_1) | instskip(NEXT) | instid1(VALU_DEP_1)
	v_lshlrev_b64 v[15:16], 2, v[15:16]
	v_sub_co_u32 v15, vcc_lo, s14, v15
	s_delay_alu instid0(VALU_DEP_2)
	v_sub_co_ci_u32_e32 v16, vcc_lo, s15, v16, vcc_lo
	s_waitcnt lgkmcnt(0)
	global_store_b32 v[15:16], v17, off offset:-4
.LBB2015_241:
	s_and_not1_saveexec_b32 s6, s6
	s_cbranch_execz .LBB2015_243
; %bb.242:
	v_lshlrev_b32_e32 v15, 2, v0
	v_readfirstlane_b32 s8, v9
	v_readfirstlane_b32 s9, v10
	ds_load_b32 v16, v15
	s_waitcnt lgkmcnt(0)
	global_store_b32 v15, v16, s[8:9]
.LBB2015_243:
	s_or_b32 exec_lo, exec_lo, s6
.LBB2015_244:
	s_and_not1_saveexec_b32 s5, s5
	s_cbranch_execz .LBB2015_246
; %bb.245:
	v_lshlrev_b32_e32 v15, 2, v0
	v_readfirstlane_b32 s6, v11
	v_readfirstlane_b32 s7, v12
	ds_load_b32 v16, v15
	s_waitcnt lgkmcnt(0)
	global_store_b32 v15, v16, s[6:7]
.LBB2015_246:
	s_or_b32 exec_lo, exec_lo, s3
	v_or_b32_e32 v15, 0x100, v0
	s_mov_b32 s3, exec_lo
	s_delay_alu instid0(VALU_DEP_1)
	v_cmpx_gt_u32_e64 s4, v15
	s_cbranch_execz .LBB2015_255
; %bb.247:
	s_mov_b32 s5, exec_lo
	v_cmpx_le_u32_e64 v5, v15
	s_xor_b32 s5, exec_lo, s5
	s_cbranch_execz .LBB2015_253
; %bb.248:
	s_mov_b32 s6, exec_lo
	v_cmpx_le_u32_e64 v14, v15
	s_xor_b32 s6, exec_lo, s6
	s_cbranch_execz .LBB2015_250
; %bb.249:
	v_lshlrev_b32_e32 v15, 2, v0
	ds_load_b32 v17, v15 offset:1024
	v_add_co_u32 v15, vcc_lo, v7, v0
	v_add_co_ci_u32_e32 v16, vcc_lo, 0, v13, vcc_lo
	s_delay_alu instid0(VALU_DEP_1) | instskip(NEXT) | instid1(VALU_DEP_1)
	v_lshlrev_b64 v[15:16], 2, v[15:16]
	v_sub_co_u32 v15, vcc_lo, s1, v15
	s_delay_alu instid0(VALU_DEP_2)
	v_sub_co_ci_u32_e32 v16, vcc_lo, s0, v16, vcc_lo
	s_waitcnt lgkmcnt(0)
	global_store_b32 v[15:16], v17, off offset:-1024
.LBB2015_250:
	s_and_not1_saveexec_b32 s6, s6
	s_cbranch_execz .LBB2015_252
; %bb.251:
	v_lshlrev_b32_e32 v15, 2, v0
	v_readfirstlane_b32 s8, v9
	v_readfirstlane_b32 s9, v10
	ds_load_b32 v16, v15 offset:1024
	s_waitcnt lgkmcnt(0)
	global_store_b32 v15, v16, s[8:9] offset:1024
.LBB2015_252:
	s_or_b32 exec_lo, exec_lo, s6
.LBB2015_253:
	s_and_not1_saveexec_b32 s5, s5
	s_cbranch_execz .LBB2015_255
; %bb.254:
	v_lshlrev_b32_e32 v15, 2, v0
	v_readfirstlane_b32 s6, v11
	v_readfirstlane_b32 s7, v12
	ds_load_b32 v16, v15 offset:1024
	s_waitcnt lgkmcnt(0)
	global_store_b32 v15, v16, s[6:7] offset:1024
.LBB2015_255:
	s_or_b32 exec_lo, exec_lo, s3
	v_or_b32_e32 v15, 0x200, v0
	s_mov_b32 s3, exec_lo
	s_delay_alu instid0(VALU_DEP_1)
	v_cmpx_gt_u32_e64 s4, v15
	s_cbranch_execz .LBB2015_264
; %bb.256:
	s_mov_b32 s5, exec_lo
	v_cmpx_le_u32_e64 v5, v15
	s_xor_b32 s5, exec_lo, s5
	s_cbranch_execz .LBB2015_262
; %bb.257:
	s_mov_b32 s6, exec_lo
	v_cmpx_le_u32_e64 v14, v15
	s_xor_b32 s6, exec_lo, s6
	s_cbranch_execz .LBB2015_259
; %bb.258:
	v_lshlrev_b32_e32 v15, 2, v0
	ds_load_b32 v17, v15 offset:2048
	v_add_co_u32 v15, vcc_lo, v7, v0
	v_add_co_ci_u32_e32 v16, vcc_lo, 0, v13, vcc_lo
	s_delay_alu instid0(VALU_DEP_1) | instskip(NEXT) | instid1(VALU_DEP_1)
	v_lshlrev_b64 v[15:16], 2, v[15:16]
	v_sub_co_u32 v15, vcc_lo, s1, v15
	s_delay_alu instid0(VALU_DEP_2)
	v_sub_co_ci_u32_e32 v16, vcc_lo, s0, v16, vcc_lo
	s_waitcnt lgkmcnt(0)
	global_store_b32 v[15:16], v17, off offset:-2048
.LBB2015_259:
	s_and_not1_saveexec_b32 s6, s6
	s_cbranch_execz .LBB2015_261
; %bb.260:
	v_lshlrev_b32_e32 v15, 2, v0
	v_readfirstlane_b32 s8, v9
	v_readfirstlane_b32 s9, v10
	ds_load_b32 v16, v15 offset:2048
	s_waitcnt lgkmcnt(0)
	global_store_b32 v15, v16, s[8:9] offset:2048
.LBB2015_261:
	s_or_b32 exec_lo, exec_lo, s6
.LBB2015_262:
	s_and_not1_saveexec_b32 s5, s5
	s_cbranch_execz .LBB2015_264
; %bb.263:
	v_lshlrev_b32_e32 v15, 2, v0
	v_readfirstlane_b32 s6, v11
	v_readfirstlane_b32 s7, v12
	ds_load_b32 v16, v15 offset:2048
	s_waitcnt lgkmcnt(0)
	global_store_b32 v15, v16, s[6:7] offset:2048
.LBB2015_264:
	;; [unrolled: 51-line block ×3, first 2 shown]
	s_or_b32 exec_lo, exec_lo, s3
	v_or_b32_e32 v15, 0x400, v0
	s_mov_b32 s3, exec_lo
	s_delay_alu instid0(VALU_DEP_1)
	v_cmpx_gt_u32_e64 s4, v15
	s_cbranch_execz .LBB2015_282
; %bb.274:
	s_mov_b32 s5, exec_lo
	v_cmpx_le_u32_e64 v5, v15
	s_xor_b32 s5, exec_lo, s5
	s_cbranch_execz .LBB2015_280
; %bb.275:
	s_mov_b32 s6, exec_lo
	v_cmpx_le_u32_e64 v14, v15
	s_xor_b32 s6, exec_lo, s6
	s_cbranch_execz .LBB2015_277
; %bb.276:
	v_lshlrev_b32_e32 v15, 2, v0
	ds_load_b32 v17, v15 offset:4096
	v_add_co_u32 v15, vcc_lo, v7, v0
	v_add_co_ci_u32_e32 v16, vcc_lo, 0, v13, vcc_lo
	s_delay_alu instid0(VALU_DEP_1) | instskip(NEXT) | instid1(VALU_DEP_1)
	v_lshlrev_b64 v[15:16], 2, v[15:16]
	v_sub_co_u32 v15, vcc_lo, s1, v15
	s_delay_alu instid0(VALU_DEP_2)
	v_sub_co_ci_u32_e32 v16, vcc_lo, s0, v16, vcc_lo
	s_waitcnt lgkmcnt(0)
	global_store_b32 v[15:16], v17, off offset:-4096
                                        ; implicit-def: $vgpr15
.LBB2015_277:
	s_and_not1_saveexec_b32 s6, s6
	s_cbranch_execz .LBB2015_279
; %bb.278:
	v_lshlrev_b32_e32 v16, 2, v0
	v_lshlrev_b32_e32 v15, 2, v15
	v_readfirstlane_b32 s8, v9
	v_readfirstlane_b32 s9, v10
	ds_load_b32 v16, v16 offset:4096
	s_waitcnt lgkmcnt(0)
	global_store_b32 v15, v16, s[8:9]
.LBB2015_279:
	s_or_b32 exec_lo, exec_lo, s6
                                        ; implicit-def: $vgpr15
.LBB2015_280:
	s_and_not1_saveexec_b32 s5, s5
	s_cbranch_execz .LBB2015_282
; %bb.281:
	v_lshlrev_b32_e32 v16, 2, v0
	v_lshlrev_b32_e32 v15, 2, v15
	v_readfirstlane_b32 s6, v11
	v_readfirstlane_b32 s7, v12
	ds_load_b32 v16, v16 offset:4096
	s_waitcnt lgkmcnt(0)
	global_store_b32 v15, v16, s[6:7]
.LBB2015_282:
	s_or_b32 exec_lo, exec_lo, s3
	v_or_b32_e32 v15, 0x500, v0
	s_mov_b32 s3, exec_lo
	s_delay_alu instid0(VALU_DEP_1)
	v_cmpx_gt_u32_e64 s4, v15
	s_cbranch_execz .LBB2015_291
; %bb.283:
	s_mov_b32 s5, exec_lo
	v_cmpx_le_u32_e64 v5, v15
	s_xor_b32 s5, exec_lo, s5
	s_cbranch_execz .LBB2015_289
; %bb.284:
	s_mov_b32 s6, exec_lo
	v_cmpx_le_u32_e64 v14, v15
	s_xor_b32 s6, exec_lo, s6
	s_cbranch_execz .LBB2015_286
; %bb.285:
	v_lshlrev_b32_e32 v16, 2, v0
	v_add_co_u32 v15, vcc_lo, v7, v15
	ds_load_b32 v17, v16 offset:5120
	v_add_co_ci_u32_e32 v16, vcc_lo, 0, v13, vcc_lo
	s_delay_alu instid0(VALU_DEP_1) | instskip(NEXT) | instid1(VALU_DEP_1)
	v_lshlrev_b64 v[15:16], 2, v[15:16]
	v_sub_co_u32 v15, vcc_lo, s1, v15
	s_delay_alu instid0(VALU_DEP_2)
	v_sub_co_ci_u32_e32 v16, vcc_lo, s0, v16, vcc_lo
	s_waitcnt lgkmcnt(0)
	global_store_b32 v[15:16], v17, off
                                        ; implicit-def: $vgpr15
.LBB2015_286:
	s_and_not1_saveexec_b32 s6, s6
	s_cbranch_execz .LBB2015_288
; %bb.287:
	v_lshlrev_b32_e32 v16, 2, v0
	v_lshlrev_b32_e32 v15, 2, v15
	v_readfirstlane_b32 s8, v9
	v_readfirstlane_b32 s9, v10
	ds_load_b32 v16, v16 offset:5120
	s_waitcnt lgkmcnt(0)
	global_store_b32 v15, v16, s[8:9]
.LBB2015_288:
	s_or_b32 exec_lo, exec_lo, s6
                                        ; implicit-def: $vgpr15
.LBB2015_289:
	s_and_not1_saveexec_b32 s5, s5
	s_cbranch_execz .LBB2015_291
; %bb.290:
	v_lshlrev_b32_e32 v16, 2, v0
	v_lshlrev_b32_e32 v15, 2, v15
	v_readfirstlane_b32 s6, v11
	v_readfirstlane_b32 s7, v12
	ds_load_b32 v16, v16 offset:5120
	s_waitcnt lgkmcnt(0)
	global_store_b32 v15, v16, s[6:7]
.LBB2015_291:
	s_or_b32 exec_lo, exec_lo, s3
	v_or_b32_e32 v15, 0x600, v0
	s_mov_b32 s3, exec_lo
	s_delay_alu instid0(VALU_DEP_1)
	v_cmpx_gt_u32_e64 s4, v15
	s_cbranch_execz .LBB2015_300
; %bb.292:
	s_mov_b32 s5, exec_lo
	v_cmpx_le_u32_e64 v5, v15
	s_xor_b32 s5, exec_lo, s5
	s_cbranch_execz .LBB2015_298
; %bb.293:
	s_mov_b32 s6, exec_lo
	v_cmpx_le_u32_e64 v14, v15
	s_xor_b32 s6, exec_lo, s6
	s_cbranch_execz .LBB2015_295
; %bb.294:
	v_lshlrev_b32_e32 v16, 2, v0
	v_add_co_u32 v15, vcc_lo, v7, v15
	ds_load_b32 v17, v16 offset:6144
	v_add_co_ci_u32_e32 v16, vcc_lo, 0, v13, vcc_lo
	s_delay_alu instid0(VALU_DEP_1) | instskip(NEXT) | instid1(VALU_DEP_1)
	v_lshlrev_b64 v[15:16], 2, v[15:16]
	v_sub_co_u32 v15, vcc_lo, s1, v15
	s_delay_alu instid0(VALU_DEP_2)
	v_sub_co_ci_u32_e32 v16, vcc_lo, s0, v16, vcc_lo
	s_waitcnt lgkmcnt(0)
	global_store_b32 v[15:16], v17, off
                                        ; implicit-def: $vgpr15
.LBB2015_295:
	s_and_not1_saveexec_b32 s6, s6
	s_cbranch_execz .LBB2015_297
; %bb.296:
	v_lshlrev_b32_e32 v16, 2, v0
	v_lshlrev_b32_e32 v15, 2, v15
	v_readfirstlane_b32 s8, v9
	v_readfirstlane_b32 s9, v10
	ds_load_b32 v16, v16 offset:6144
	s_waitcnt lgkmcnt(0)
	global_store_b32 v15, v16, s[8:9]
.LBB2015_297:
	s_or_b32 exec_lo, exec_lo, s6
                                        ; implicit-def: $vgpr15
.LBB2015_298:
	s_and_not1_saveexec_b32 s5, s5
	s_cbranch_execz .LBB2015_300
; %bb.299:
	v_lshlrev_b32_e32 v16, 2, v0
	v_lshlrev_b32_e32 v15, 2, v15
	v_readfirstlane_b32 s6, v11
	v_readfirstlane_b32 s7, v12
	ds_load_b32 v16, v16 offset:6144
	s_waitcnt lgkmcnt(0)
	global_store_b32 v15, v16, s[6:7]
.LBB2015_300:
	;; [unrolled: 55-line block ×7, first 2 shown]
	s_or_b32 exec_lo, exec_lo, s3
	v_or_b32_e32 v15, 0xc00, v0
	s_mov_b32 s3, exec_lo
	s_delay_alu instid0(VALU_DEP_1)
	v_cmpx_gt_u32_e64 s4, v15
	s_cbranch_execz .LBB2015_354
; %bb.346:
	s_mov_b32 s4, exec_lo
	v_cmpx_le_u32_e64 v5, v15
	s_xor_b32 s4, exec_lo, s4
	s_cbranch_execz .LBB2015_352
; %bb.347:
	s_mov_b32 s5, exec_lo
	v_cmpx_le_u32_e64 v14, v15
	s_xor_b32 s5, exec_lo, s5
	s_cbranch_execz .LBB2015_349
; %bb.348:
	v_lshlrev_b32_e32 v0, 2, v0
	v_add_co_u32 v9, vcc_lo, v7, v15
	v_add_co_ci_u32_e32 v10, vcc_lo, 0, v13, vcc_lo
	ds_load_b32 v0, v0 offset:12288
                                        ; implicit-def: $vgpr15
	v_lshlrev_b64 v[9:10], 2, v[9:10]
	s_delay_alu instid0(VALU_DEP_1) | instskip(NEXT) | instid1(VALU_DEP_2)
	v_sub_co_u32 v9, vcc_lo, s1, v9
	v_sub_co_ci_u32_e32 v10, vcc_lo, s0, v10, vcc_lo
	s_waitcnt lgkmcnt(0)
	global_store_b32 v[9:10], v0, off
                                        ; implicit-def: $vgpr0
                                        ; implicit-def: $vgpr9_vgpr10
.LBB2015_349:
	s_and_not1_saveexec_b32 s0, s5
	s_cbranch_execz .LBB2015_351
; %bb.350:
	v_lshlrev_b32_e32 v0, 2, v0
	v_lshlrev_b32_e32 v7, 2, v15
	v_readfirstlane_b32 s6, v9
	v_readfirstlane_b32 s7, v10
	ds_load_b32 v0, v0 offset:12288
	s_waitcnt lgkmcnt(0)
	global_store_b32 v7, v0, s[6:7]
.LBB2015_351:
	s_or_b32 exec_lo, exec_lo, s0
                                        ; implicit-def: $vgpr0
                                        ; implicit-def: $vgpr15
                                        ; implicit-def: $vgpr11_vgpr12
.LBB2015_352:
	s_and_not1_saveexec_b32 s0, s4
	s_cbranch_execz .LBB2015_354
; %bb.353:
	v_lshlrev_b32_e32 v0, 2, v0
	v_lshlrev_b32_e32 v7, 2, v15
	v_readfirstlane_b32 s0, v11
	v_readfirstlane_b32 s1, v12
	ds_load_b32 v0, v0 offset:12288
	s_waitcnt lgkmcnt(0)
	global_store_b32 v7, v0, s[0:1]
.LBB2015_354:
	s_or_b32 exec_lo, exec_lo, s3
	s_and_b32 s0, s2, s13
	s_delay_alu instid0(SALU_CYCLE_1)
	s_and_saveexec_b32 s1, s0
	s_cbranch_execz .LBB2015_131
.LBB2015_355:
	v_add_co_u32 v3, vcc_lo, v3, v6
	v_add_co_ci_u32_e32 v4, vcc_lo, 0, v4, vcc_lo
	v_add_co_u32 v0, vcc_lo, v1, v5
	v_add_co_ci_u32_e32 v1, vcc_lo, 0, v2, vcc_lo
	s_delay_alu instid0(VALU_DEP_4)
	v_add_co_u32 v2, vcc_lo, v3, v8
	v_mov_b32_e32 v7, 0
	v_add_co_ci_u32_e32 v3, vcc_lo, 0, v4, vcc_lo
	global_store_b128 v7, v[0:3], s[24:25]
	s_nop 0
	s_sendmsg sendmsg(MSG_DEALLOC_VGPRS)
	s_endpgm
.LBB2015_356:
	v_add_nc_u32_e32 v7, s6, v27
	s_add_i32 s8, s26, 32
	s_mov_b32 s9, 0
	v_dual_mov_b32 v9, 0 :: v_dual_add_nc_u32 v6, v26, v5
	s_lshl_b64 s[8:9], s[8:9], 4
	v_and_b32_e32 v24, 0xff0000, v7
	s_add_u32 s8, s36, s8
	s_addc_u32 s9, s37, s9
	v_and_b32_e32 v8, 0xff000000, v7
	s_delay_alu instid0(VALU_DEP_1) | instskip(SKIP_2) | instid1(VALU_DEP_1)
	v_or_b32_e32 v24, v24, v8
	v_dual_mov_b32 v8, 2 :: v_dual_and_b32 v25, 0xff00, v7
	v_and_b32_e32 v7, 0xff, v7
	v_or3_b32 v7, v24, v25, v7
	v_dual_mov_b32 v25, s9 :: v_dual_mov_b32 v24, s8
	;;#ASMSTART
	global_store_dwordx4 v[24:25], v[6:9] off	
s_waitcnt vmcnt(0)
	;;#ASMEND
	s_or_b32 exec_lo, exec_lo, s7
	s_and_saveexec_b32 s7, s3
	s_cbranch_execz .LBB2015_115
.LBB2015_357:
	v_mov_b32_e32 v6, s6
	v_add_nc_u32_e64 v7, 0x3400, 0
	ds_store_2addr_b32 v7, v5, v6 offset1:2
	ds_store_2addr_b32 v7, v26, v27 offset0:4 offset1:6
	s_or_b32 exec_lo, exec_lo, s7
	s_delay_alu instid0(SALU_CYCLE_1)
	s_and_b32 exec_lo, exec_lo, s2
	s_cbranch_execnz .LBB2015_116
	s_branch .LBB2015_117
	.section	.rodata,"a",@progbits
	.p2align	6, 0x0
	.amdhsa_kernel _ZN7rocprim17ROCPRIM_400000_NS6detail17trampoline_kernelINS0_13select_configILj256ELj13ELNS0_17block_load_methodE3ELS4_3ELS4_3ELNS0_20block_scan_algorithmE0ELj4294967295EEENS1_25partition_config_selectorILNS1_17partition_subalgoE4EjNS0_10empty_typeEbEEZZNS1_14partition_implILS8_4ELb0ES6_15HIP_vector_typeIjLj2EENS0_17counting_iteratorIjlEEPS9_SG_NS0_5tupleIJPjSI_NS0_16reverse_iteratorISI_EEEEENSH_IJSG_SG_SG_EEES9_SI_JZNS1_25segmented_radix_sort_implINS0_14default_configELb0EPK12hip_bfloat16PSP_PKlPlN2at6native12_GLOBAL__N_18offset_tEEE10hipError_tPvRmT1_PNSt15iterator_traitsIS13_E10value_typeET2_T3_PNS14_IS19_E10value_typeET4_jRbjT5_S1F_jjP12ihipStream_tbEUljE_ZNSN_ISO_Lb0ESR_SS_SU_SV_SZ_EES10_S11_S12_S13_S17_S18_S19_S1C_S1D_jS1E_jS1F_S1F_jjS1H_bEUljE0_EEES10_S11_S12_S19_S1D_S1F_T6_T7_T9_mT8_S1H_bDpT10_ENKUlT_T0_E_clISt17integral_constantIbLb0EES1U_IbLb1EEEEDaS1Q_S1R_EUlS1Q_E_NS1_11comp_targetILNS1_3genE9ELNS1_11target_archE1100ELNS1_3gpuE3ELNS1_3repE0EEENS1_30default_config_static_selectorELNS0_4arch9wavefront6targetE0EEEvS13_
		.amdhsa_group_segment_fixed_size 13340
		.amdhsa_private_segment_fixed_size 0
		.amdhsa_kernarg_size 184
		.amdhsa_user_sgpr_count 15
		.amdhsa_user_sgpr_dispatch_ptr 0
		.amdhsa_user_sgpr_queue_ptr 0
		.amdhsa_user_sgpr_kernarg_segment_ptr 1
		.amdhsa_user_sgpr_dispatch_id 0
		.amdhsa_user_sgpr_private_segment_size 0
		.amdhsa_wavefront_size32 1
		.amdhsa_uses_dynamic_stack 0
		.amdhsa_enable_private_segment 0
		.amdhsa_system_sgpr_workgroup_id_x 1
		.amdhsa_system_sgpr_workgroup_id_y 0
		.amdhsa_system_sgpr_workgroup_id_z 0
		.amdhsa_system_sgpr_workgroup_info 0
		.amdhsa_system_vgpr_workitem_id 0
		.amdhsa_next_free_vgpr 103
		.amdhsa_next_free_sgpr 55
		.amdhsa_reserve_vcc 1
		.amdhsa_float_round_mode_32 0
		.amdhsa_float_round_mode_16_64 0
		.amdhsa_float_denorm_mode_32 3
		.amdhsa_float_denorm_mode_16_64 3
		.amdhsa_dx10_clamp 1
		.amdhsa_ieee_mode 1
		.amdhsa_fp16_overflow 0
		.amdhsa_workgroup_processor_mode 1
		.amdhsa_memory_ordered 1
		.amdhsa_forward_progress 0
		.amdhsa_shared_vgpr_count 0
		.amdhsa_exception_fp_ieee_invalid_op 0
		.amdhsa_exception_fp_denorm_src 0
		.amdhsa_exception_fp_ieee_div_zero 0
		.amdhsa_exception_fp_ieee_overflow 0
		.amdhsa_exception_fp_ieee_underflow 0
		.amdhsa_exception_fp_ieee_inexact 0
		.amdhsa_exception_int_div_zero 0
	.end_amdhsa_kernel
	.section	.text._ZN7rocprim17ROCPRIM_400000_NS6detail17trampoline_kernelINS0_13select_configILj256ELj13ELNS0_17block_load_methodE3ELS4_3ELS4_3ELNS0_20block_scan_algorithmE0ELj4294967295EEENS1_25partition_config_selectorILNS1_17partition_subalgoE4EjNS0_10empty_typeEbEEZZNS1_14partition_implILS8_4ELb0ES6_15HIP_vector_typeIjLj2EENS0_17counting_iteratorIjlEEPS9_SG_NS0_5tupleIJPjSI_NS0_16reverse_iteratorISI_EEEEENSH_IJSG_SG_SG_EEES9_SI_JZNS1_25segmented_radix_sort_implINS0_14default_configELb0EPK12hip_bfloat16PSP_PKlPlN2at6native12_GLOBAL__N_18offset_tEEE10hipError_tPvRmT1_PNSt15iterator_traitsIS13_E10value_typeET2_T3_PNS14_IS19_E10value_typeET4_jRbjT5_S1F_jjP12ihipStream_tbEUljE_ZNSN_ISO_Lb0ESR_SS_SU_SV_SZ_EES10_S11_S12_S13_S17_S18_S19_S1C_S1D_jS1E_jS1F_S1F_jjS1H_bEUljE0_EEES10_S11_S12_S19_S1D_S1F_T6_T7_T9_mT8_S1H_bDpT10_ENKUlT_T0_E_clISt17integral_constantIbLb0EES1U_IbLb1EEEEDaS1Q_S1R_EUlS1Q_E_NS1_11comp_targetILNS1_3genE9ELNS1_11target_archE1100ELNS1_3gpuE3ELNS1_3repE0EEENS1_30default_config_static_selectorELNS0_4arch9wavefront6targetE0EEEvS13_,"axG",@progbits,_ZN7rocprim17ROCPRIM_400000_NS6detail17trampoline_kernelINS0_13select_configILj256ELj13ELNS0_17block_load_methodE3ELS4_3ELS4_3ELNS0_20block_scan_algorithmE0ELj4294967295EEENS1_25partition_config_selectorILNS1_17partition_subalgoE4EjNS0_10empty_typeEbEEZZNS1_14partition_implILS8_4ELb0ES6_15HIP_vector_typeIjLj2EENS0_17counting_iteratorIjlEEPS9_SG_NS0_5tupleIJPjSI_NS0_16reverse_iteratorISI_EEEEENSH_IJSG_SG_SG_EEES9_SI_JZNS1_25segmented_radix_sort_implINS0_14default_configELb0EPK12hip_bfloat16PSP_PKlPlN2at6native12_GLOBAL__N_18offset_tEEE10hipError_tPvRmT1_PNSt15iterator_traitsIS13_E10value_typeET2_T3_PNS14_IS19_E10value_typeET4_jRbjT5_S1F_jjP12ihipStream_tbEUljE_ZNSN_ISO_Lb0ESR_SS_SU_SV_SZ_EES10_S11_S12_S13_S17_S18_S19_S1C_S1D_jS1E_jS1F_S1F_jjS1H_bEUljE0_EEES10_S11_S12_S19_S1D_S1F_T6_T7_T9_mT8_S1H_bDpT10_ENKUlT_T0_E_clISt17integral_constantIbLb0EES1U_IbLb1EEEEDaS1Q_S1R_EUlS1Q_E_NS1_11comp_targetILNS1_3genE9ELNS1_11target_archE1100ELNS1_3gpuE3ELNS1_3repE0EEENS1_30default_config_static_selectorELNS0_4arch9wavefront6targetE0EEEvS13_,comdat
.Lfunc_end2015:
	.size	_ZN7rocprim17ROCPRIM_400000_NS6detail17trampoline_kernelINS0_13select_configILj256ELj13ELNS0_17block_load_methodE3ELS4_3ELS4_3ELNS0_20block_scan_algorithmE0ELj4294967295EEENS1_25partition_config_selectorILNS1_17partition_subalgoE4EjNS0_10empty_typeEbEEZZNS1_14partition_implILS8_4ELb0ES6_15HIP_vector_typeIjLj2EENS0_17counting_iteratorIjlEEPS9_SG_NS0_5tupleIJPjSI_NS0_16reverse_iteratorISI_EEEEENSH_IJSG_SG_SG_EEES9_SI_JZNS1_25segmented_radix_sort_implINS0_14default_configELb0EPK12hip_bfloat16PSP_PKlPlN2at6native12_GLOBAL__N_18offset_tEEE10hipError_tPvRmT1_PNSt15iterator_traitsIS13_E10value_typeET2_T3_PNS14_IS19_E10value_typeET4_jRbjT5_S1F_jjP12ihipStream_tbEUljE_ZNSN_ISO_Lb0ESR_SS_SU_SV_SZ_EES10_S11_S12_S13_S17_S18_S19_S1C_S1D_jS1E_jS1F_S1F_jjS1H_bEUljE0_EEES10_S11_S12_S19_S1D_S1F_T6_T7_T9_mT8_S1H_bDpT10_ENKUlT_T0_E_clISt17integral_constantIbLb0EES1U_IbLb1EEEEDaS1Q_S1R_EUlS1Q_E_NS1_11comp_targetILNS1_3genE9ELNS1_11target_archE1100ELNS1_3gpuE3ELNS1_3repE0EEENS1_30default_config_static_selectorELNS0_4arch9wavefront6targetE0EEEvS13_, .Lfunc_end2015-_ZN7rocprim17ROCPRIM_400000_NS6detail17trampoline_kernelINS0_13select_configILj256ELj13ELNS0_17block_load_methodE3ELS4_3ELS4_3ELNS0_20block_scan_algorithmE0ELj4294967295EEENS1_25partition_config_selectorILNS1_17partition_subalgoE4EjNS0_10empty_typeEbEEZZNS1_14partition_implILS8_4ELb0ES6_15HIP_vector_typeIjLj2EENS0_17counting_iteratorIjlEEPS9_SG_NS0_5tupleIJPjSI_NS0_16reverse_iteratorISI_EEEEENSH_IJSG_SG_SG_EEES9_SI_JZNS1_25segmented_radix_sort_implINS0_14default_configELb0EPK12hip_bfloat16PSP_PKlPlN2at6native12_GLOBAL__N_18offset_tEEE10hipError_tPvRmT1_PNSt15iterator_traitsIS13_E10value_typeET2_T3_PNS14_IS19_E10value_typeET4_jRbjT5_S1F_jjP12ihipStream_tbEUljE_ZNSN_ISO_Lb0ESR_SS_SU_SV_SZ_EES10_S11_S12_S13_S17_S18_S19_S1C_S1D_jS1E_jS1F_S1F_jjS1H_bEUljE0_EEES10_S11_S12_S19_S1D_S1F_T6_T7_T9_mT8_S1H_bDpT10_ENKUlT_T0_E_clISt17integral_constantIbLb0EES1U_IbLb1EEEEDaS1Q_S1R_EUlS1Q_E_NS1_11comp_targetILNS1_3genE9ELNS1_11target_archE1100ELNS1_3gpuE3ELNS1_3repE0EEENS1_30default_config_static_selectorELNS0_4arch9wavefront6targetE0EEEvS13_
                                        ; -- End function
	.section	.AMDGPU.csdata,"",@progbits
; Kernel info:
; codeLenInByte = 15060
; NumSgprs: 57
; NumVgprs: 103
; ScratchSize: 0
; MemoryBound: 0
; FloatMode: 240
; IeeeMode: 1
; LDSByteSize: 13340 bytes/workgroup (compile time only)
; SGPRBlocks: 7
; VGPRBlocks: 12
; NumSGPRsForWavesPerEU: 57
; NumVGPRsForWavesPerEU: 103
; Occupancy: 12
; WaveLimiterHint : 1
; COMPUTE_PGM_RSRC2:SCRATCH_EN: 0
; COMPUTE_PGM_RSRC2:USER_SGPR: 15
; COMPUTE_PGM_RSRC2:TRAP_HANDLER: 0
; COMPUTE_PGM_RSRC2:TGID_X_EN: 1
; COMPUTE_PGM_RSRC2:TGID_Y_EN: 0
; COMPUTE_PGM_RSRC2:TGID_Z_EN: 0
; COMPUTE_PGM_RSRC2:TIDIG_COMP_CNT: 0
	.section	.text._ZN7rocprim17ROCPRIM_400000_NS6detail17trampoline_kernelINS0_13select_configILj256ELj13ELNS0_17block_load_methodE3ELS4_3ELS4_3ELNS0_20block_scan_algorithmE0ELj4294967295EEENS1_25partition_config_selectorILNS1_17partition_subalgoE4EjNS0_10empty_typeEbEEZZNS1_14partition_implILS8_4ELb0ES6_15HIP_vector_typeIjLj2EENS0_17counting_iteratorIjlEEPS9_SG_NS0_5tupleIJPjSI_NS0_16reverse_iteratorISI_EEEEENSH_IJSG_SG_SG_EEES9_SI_JZNS1_25segmented_radix_sort_implINS0_14default_configELb0EPK12hip_bfloat16PSP_PKlPlN2at6native12_GLOBAL__N_18offset_tEEE10hipError_tPvRmT1_PNSt15iterator_traitsIS13_E10value_typeET2_T3_PNS14_IS19_E10value_typeET4_jRbjT5_S1F_jjP12ihipStream_tbEUljE_ZNSN_ISO_Lb0ESR_SS_SU_SV_SZ_EES10_S11_S12_S13_S17_S18_S19_S1C_S1D_jS1E_jS1F_S1F_jjS1H_bEUljE0_EEES10_S11_S12_S19_S1D_S1F_T6_T7_T9_mT8_S1H_bDpT10_ENKUlT_T0_E_clISt17integral_constantIbLb0EES1U_IbLb1EEEEDaS1Q_S1R_EUlS1Q_E_NS1_11comp_targetILNS1_3genE8ELNS1_11target_archE1030ELNS1_3gpuE2ELNS1_3repE0EEENS1_30default_config_static_selectorELNS0_4arch9wavefront6targetE0EEEvS13_,"axG",@progbits,_ZN7rocprim17ROCPRIM_400000_NS6detail17trampoline_kernelINS0_13select_configILj256ELj13ELNS0_17block_load_methodE3ELS4_3ELS4_3ELNS0_20block_scan_algorithmE0ELj4294967295EEENS1_25partition_config_selectorILNS1_17partition_subalgoE4EjNS0_10empty_typeEbEEZZNS1_14partition_implILS8_4ELb0ES6_15HIP_vector_typeIjLj2EENS0_17counting_iteratorIjlEEPS9_SG_NS0_5tupleIJPjSI_NS0_16reverse_iteratorISI_EEEEENSH_IJSG_SG_SG_EEES9_SI_JZNS1_25segmented_radix_sort_implINS0_14default_configELb0EPK12hip_bfloat16PSP_PKlPlN2at6native12_GLOBAL__N_18offset_tEEE10hipError_tPvRmT1_PNSt15iterator_traitsIS13_E10value_typeET2_T3_PNS14_IS19_E10value_typeET4_jRbjT5_S1F_jjP12ihipStream_tbEUljE_ZNSN_ISO_Lb0ESR_SS_SU_SV_SZ_EES10_S11_S12_S13_S17_S18_S19_S1C_S1D_jS1E_jS1F_S1F_jjS1H_bEUljE0_EEES10_S11_S12_S19_S1D_S1F_T6_T7_T9_mT8_S1H_bDpT10_ENKUlT_T0_E_clISt17integral_constantIbLb0EES1U_IbLb1EEEEDaS1Q_S1R_EUlS1Q_E_NS1_11comp_targetILNS1_3genE8ELNS1_11target_archE1030ELNS1_3gpuE2ELNS1_3repE0EEENS1_30default_config_static_selectorELNS0_4arch9wavefront6targetE0EEEvS13_,comdat
	.globl	_ZN7rocprim17ROCPRIM_400000_NS6detail17trampoline_kernelINS0_13select_configILj256ELj13ELNS0_17block_load_methodE3ELS4_3ELS4_3ELNS0_20block_scan_algorithmE0ELj4294967295EEENS1_25partition_config_selectorILNS1_17partition_subalgoE4EjNS0_10empty_typeEbEEZZNS1_14partition_implILS8_4ELb0ES6_15HIP_vector_typeIjLj2EENS0_17counting_iteratorIjlEEPS9_SG_NS0_5tupleIJPjSI_NS0_16reverse_iteratorISI_EEEEENSH_IJSG_SG_SG_EEES9_SI_JZNS1_25segmented_radix_sort_implINS0_14default_configELb0EPK12hip_bfloat16PSP_PKlPlN2at6native12_GLOBAL__N_18offset_tEEE10hipError_tPvRmT1_PNSt15iterator_traitsIS13_E10value_typeET2_T3_PNS14_IS19_E10value_typeET4_jRbjT5_S1F_jjP12ihipStream_tbEUljE_ZNSN_ISO_Lb0ESR_SS_SU_SV_SZ_EES10_S11_S12_S13_S17_S18_S19_S1C_S1D_jS1E_jS1F_S1F_jjS1H_bEUljE0_EEES10_S11_S12_S19_S1D_S1F_T6_T7_T9_mT8_S1H_bDpT10_ENKUlT_T0_E_clISt17integral_constantIbLb0EES1U_IbLb1EEEEDaS1Q_S1R_EUlS1Q_E_NS1_11comp_targetILNS1_3genE8ELNS1_11target_archE1030ELNS1_3gpuE2ELNS1_3repE0EEENS1_30default_config_static_selectorELNS0_4arch9wavefront6targetE0EEEvS13_ ; -- Begin function _ZN7rocprim17ROCPRIM_400000_NS6detail17trampoline_kernelINS0_13select_configILj256ELj13ELNS0_17block_load_methodE3ELS4_3ELS4_3ELNS0_20block_scan_algorithmE0ELj4294967295EEENS1_25partition_config_selectorILNS1_17partition_subalgoE4EjNS0_10empty_typeEbEEZZNS1_14partition_implILS8_4ELb0ES6_15HIP_vector_typeIjLj2EENS0_17counting_iteratorIjlEEPS9_SG_NS0_5tupleIJPjSI_NS0_16reverse_iteratorISI_EEEEENSH_IJSG_SG_SG_EEES9_SI_JZNS1_25segmented_radix_sort_implINS0_14default_configELb0EPK12hip_bfloat16PSP_PKlPlN2at6native12_GLOBAL__N_18offset_tEEE10hipError_tPvRmT1_PNSt15iterator_traitsIS13_E10value_typeET2_T3_PNS14_IS19_E10value_typeET4_jRbjT5_S1F_jjP12ihipStream_tbEUljE_ZNSN_ISO_Lb0ESR_SS_SU_SV_SZ_EES10_S11_S12_S13_S17_S18_S19_S1C_S1D_jS1E_jS1F_S1F_jjS1H_bEUljE0_EEES10_S11_S12_S19_S1D_S1F_T6_T7_T9_mT8_S1H_bDpT10_ENKUlT_T0_E_clISt17integral_constantIbLb0EES1U_IbLb1EEEEDaS1Q_S1R_EUlS1Q_E_NS1_11comp_targetILNS1_3genE8ELNS1_11target_archE1030ELNS1_3gpuE2ELNS1_3repE0EEENS1_30default_config_static_selectorELNS0_4arch9wavefront6targetE0EEEvS13_
	.p2align	8
	.type	_ZN7rocprim17ROCPRIM_400000_NS6detail17trampoline_kernelINS0_13select_configILj256ELj13ELNS0_17block_load_methodE3ELS4_3ELS4_3ELNS0_20block_scan_algorithmE0ELj4294967295EEENS1_25partition_config_selectorILNS1_17partition_subalgoE4EjNS0_10empty_typeEbEEZZNS1_14partition_implILS8_4ELb0ES6_15HIP_vector_typeIjLj2EENS0_17counting_iteratorIjlEEPS9_SG_NS0_5tupleIJPjSI_NS0_16reverse_iteratorISI_EEEEENSH_IJSG_SG_SG_EEES9_SI_JZNS1_25segmented_radix_sort_implINS0_14default_configELb0EPK12hip_bfloat16PSP_PKlPlN2at6native12_GLOBAL__N_18offset_tEEE10hipError_tPvRmT1_PNSt15iterator_traitsIS13_E10value_typeET2_T3_PNS14_IS19_E10value_typeET4_jRbjT5_S1F_jjP12ihipStream_tbEUljE_ZNSN_ISO_Lb0ESR_SS_SU_SV_SZ_EES10_S11_S12_S13_S17_S18_S19_S1C_S1D_jS1E_jS1F_S1F_jjS1H_bEUljE0_EEES10_S11_S12_S19_S1D_S1F_T6_T7_T9_mT8_S1H_bDpT10_ENKUlT_T0_E_clISt17integral_constantIbLb0EES1U_IbLb1EEEEDaS1Q_S1R_EUlS1Q_E_NS1_11comp_targetILNS1_3genE8ELNS1_11target_archE1030ELNS1_3gpuE2ELNS1_3repE0EEENS1_30default_config_static_selectorELNS0_4arch9wavefront6targetE0EEEvS13_,@function
_ZN7rocprim17ROCPRIM_400000_NS6detail17trampoline_kernelINS0_13select_configILj256ELj13ELNS0_17block_load_methodE3ELS4_3ELS4_3ELNS0_20block_scan_algorithmE0ELj4294967295EEENS1_25partition_config_selectorILNS1_17partition_subalgoE4EjNS0_10empty_typeEbEEZZNS1_14partition_implILS8_4ELb0ES6_15HIP_vector_typeIjLj2EENS0_17counting_iteratorIjlEEPS9_SG_NS0_5tupleIJPjSI_NS0_16reverse_iteratorISI_EEEEENSH_IJSG_SG_SG_EEES9_SI_JZNS1_25segmented_radix_sort_implINS0_14default_configELb0EPK12hip_bfloat16PSP_PKlPlN2at6native12_GLOBAL__N_18offset_tEEE10hipError_tPvRmT1_PNSt15iterator_traitsIS13_E10value_typeET2_T3_PNS14_IS19_E10value_typeET4_jRbjT5_S1F_jjP12ihipStream_tbEUljE_ZNSN_ISO_Lb0ESR_SS_SU_SV_SZ_EES10_S11_S12_S13_S17_S18_S19_S1C_S1D_jS1E_jS1F_S1F_jjS1H_bEUljE0_EEES10_S11_S12_S19_S1D_S1F_T6_T7_T9_mT8_S1H_bDpT10_ENKUlT_T0_E_clISt17integral_constantIbLb0EES1U_IbLb1EEEEDaS1Q_S1R_EUlS1Q_E_NS1_11comp_targetILNS1_3genE8ELNS1_11target_archE1030ELNS1_3gpuE2ELNS1_3repE0EEENS1_30default_config_static_selectorELNS0_4arch9wavefront6targetE0EEEvS13_: ; @_ZN7rocprim17ROCPRIM_400000_NS6detail17trampoline_kernelINS0_13select_configILj256ELj13ELNS0_17block_load_methodE3ELS4_3ELS4_3ELNS0_20block_scan_algorithmE0ELj4294967295EEENS1_25partition_config_selectorILNS1_17partition_subalgoE4EjNS0_10empty_typeEbEEZZNS1_14partition_implILS8_4ELb0ES6_15HIP_vector_typeIjLj2EENS0_17counting_iteratorIjlEEPS9_SG_NS0_5tupleIJPjSI_NS0_16reverse_iteratorISI_EEEEENSH_IJSG_SG_SG_EEES9_SI_JZNS1_25segmented_radix_sort_implINS0_14default_configELb0EPK12hip_bfloat16PSP_PKlPlN2at6native12_GLOBAL__N_18offset_tEEE10hipError_tPvRmT1_PNSt15iterator_traitsIS13_E10value_typeET2_T3_PNS14_IS19_E10value_typeET4_jRbjT5_S1F_jjP12ihipStream_tbEUljE_ZNSN_ISO_Lb0ESR_SS_SU_SV_SZ_EES10_S11_S12_S13_S17_S18_S19_S1C_S1D_jS1E_jS1F_S1F_jjS1H_bEUljE0_EEES10_S11_S12_S19_S1D_S1F_T6_T7_T9_mT8_S1H_bDpT10_ENKUlT_T0_E_clISt17integral_constantIbLb0EES1U_IbLb1EEEEDaS1Q_S1R_EUlS1Q_E_NS1_11comp_targetILNS1_3genE8ELNS1_11target_archE1030ELNS1_3gpuE2ELNS1_3repE0EEENS1_30default_config_static_selectorELNS0_4arch9wavefront6targetE0EEEvS13_
; %bb.0:
	.section	.rodata,"a",@progbits
	.p2align	6, 0x0
	.amdhsa_kernel _ZN7rocprim17ROCPRIM_400000_NS6detail17trampoline_kernelINS0_13select_configILj256ELj13ELNS0_17block_load_methodE3ELS4_3ELS4_3ELNS0_20block_scan_algorithmE0ELj4294967295EEENS1_25partition_config_selectorILNS1_17partition_subalgoE4EjNS0_10empty_typeEbEEZZNS1_14partition_implILS8_4ELb0ES6_15HIP_vector_typeIjLj2EENS0_17counting_iteratorIjlEEPS9_SG_NS0_5tupleIJPjSI_NS0_16reverse_iteratorISI_EEEEENSH_IJSG_SG_SG_EEES9_SI_JZNS1_25segmented_radix_sort_implINS0_14default_configELb0EPK12hip_bfloat16PSP_PKlPlN2at6native12_GLOBAL__N_18offset_tEEE10hipError_tPvRmT1_PNSt15iterator_traitsIS13_E10value_typeET2_T3_PNS14_IS19_E10value_typeET4_jRbjT5_S1F_jjP12ihipStream_tbEUljE_ZNSN_ISO_Lb0ESR_SS_SU_SV_SZ_EES10_S11_S12_S13_S17_S18_S19_S1C_S1D_jS1E_jS1F_S1F_jjS1H_bEUljE0_EEES10_S11_S12_S19_S1D_S1F_T6_T7_T9_mT8_S1H_bDpT10_ENKUlT_T0_E_clISt17integral_constantIbLb0EES1U_IbLb1EEEEDaS1Q_S1R_EUlS1Q_E_NS1_11comp_targetILNS1_3genE8ELNS1_11target_archE1030ELNS1_3gpuE2ELNS1_3repE0EEENS1_30default_config_static_selectorELNS0_4arch9wavefront6targetE0EEEvS13_
		.amdhsa_group_segment_fixed_size 0
		.amdhsa_private_segment_fixed_size 0
		.amdhsa_kernarg_size 184
		.amdhsa_user_sgpr_count 15
		.amdhsa_user_sgpr_dispatch_ptr 0
		.amdhsa_user_sgpr_queue_ptr 0
		.amdhsa_user_sgpr_kernarg_segment_ptr 1
		.amdhsa_user_sgpr_dispatch_id 0
		.amdhsa_user_sgpr_private_segment_size 0
		.amdhsa_wavefront_size32 1
		.amdhsa_uses_dynamic_stack 0
		.amdhsa_enable_private_segment 0
		.amdhsa_system_sgpr_workgroup_id_x 1
		.amdhsa_system_sgpr_workgroup_id_y 0
		.amdhsa_system_sgpr_workgroup_id_z 0
		.amdhsa_system_sgpr_workgroup_info 0
		.amdhsa_system_vgpr_workitem_id 0
		.amdhsa_next_free_vgpr 1
		.amdhsa_next_free_sgpr 1
		.amdhsa_reserve_vcc 0
		.amdhsa_float_round_mode_32 0
		.amdhsa_float_round_mode_16_64 0
		.amdhsa_float_denorm_mode_32 3
		.amdhsa_float_denorm_mode_16_64 3
		.amdhsa_dx10_clamp 1
		.amdhsa_ieee_mode 1
		.amdhsa_fp16_overflow 0
		.amdhsa_workgroup_processor_mode 1
		.amdhsa_memory_ordered 1
		.amdhsa_forward_progress 0
		.amdhsa_shared_vgpr_count 0
		.amdhsa_exception_fp_ieee_invalid_op 0
		.amdhsa_exception_fp_denorm_src 0
		.amdhsa_exception_fp_ieee_div_zero 0
		.amdhsa_exception_fp_ieee_overflow 0
		.amdhsa_exception_fp_ieee_underflow 0
		.amdhsa_exception_fp_ieee_inexact 0
		.amdhsa_exception_int_div_zero 0
	.end_amdhsa_kernel
	.section	.text._ZN7rocprim17ROCPRIM_400000_NS6detail17trampoline_kernelINS0_13select_configILj256ELj13ELNS0_17block_load_methodE3ELS4_3ELS4_3ELNS0_20block_scan_algorithmE0ELj4294967295EEENS1_25partition_config_selectorILNS1_17partition_subalgoE4EjNS0_10empty_typeEbEEZZNS1_14partition_implILS8_4ELb0ES6_15HIP_vector_typeIjLj2EENS0_17counting_iteratorIjlEEPS9_SG_NS0_5tupleIJPjSI_NS0_16reverse_iteratorISI_EEEEENSH_IJSG_SG_SG_EEES9_SI_JZNS1_25segmented_radix_sort_implINS0_14default_configELb0EPK12hip_bfloat16PSP_PKlPlN2at6native12_GLOBAL__N_18offset_tEEE10hipError_tPvRmT1_PNSt15iterator_traitsIS13_E10value_typeET2_T3_PNS14_IS19_E10value_typeET4_jRbjT5_S1F_jjP12ihipStream_tbEUljE_ZNSN_ISO_Lb0ESR_SS_SU_SV_SZ_EES10_S11_S12_S13_S17_S18_S19_S1C_S1D_jS1E_jS1F_S1F_jjS1H_bEUljE0_EEES10_S11_S12_S19_S1D_S1F_T6_T7_T9_mT8_S1H_bDpT10_ENKUlT_T0_E_clISt17integral_constantIbLb0EES1U_IbLb1EEEEDaS1Q_S1R_EUlS1Q_E_NS1_11comp_targetILNS1_3genE8ELNS1_11target_archE1030ELNS1_3gpuE2ELNS1_3repE0EEENS1_30default_config_static_selectorELNS0_4arch9wavefront6targetE0EEEvS13_,"axG",@progbits,_ZN7rocprim17ROCPRIM_400000_NS6detail17trampoline_kernelINS0_13select_configILj256ELj13ELNS0_17block_load_methodE3ELS4_3ELS4_3ELNS0_20block_scan_algorithmE0ELj4294967295EEENS1_25partition_config_selectorILNS1_17partition_subalgoE4EjNS0_10empty_typeEbEEZZNS1_14partition_implILS8_4ELb0ES6_15HIP_vector_typeIjLj2EENS0_17counting_iteratorIjlEEPS9_SG_NS0_5tupleIJPjSI_NS0_16reverse_iteratorISI_EEEEENSH_IJSG_SG_SG_EEES9_SI_JZNS1_25segmented_radix_sort_implINS0_14default_configELb0EPK12hip_bfloat16PSP_PKlPlN2at6native12_GLOBAL__N_18offset_tEEE10hipError_tPvRmT1_PNSt15iterator_traitsIS13_E10value_typeET2_T3_PNS14_IS19_E10value_typeET4_jRbjT5_S1F_jjP12ihipStream_tbEUljE_ZNSN_ISO_Lb0ESR_SS_SU_SV_SZ_EES10_S11_S12_S13_S17_S18_S19_S1C_S1D_jS1E_jS1F_S1F_jjS1H_bEUljE0_EEES10_S11_S12_S19_S1D_S1F_T6_T7_T9_mT8_S1H_bDpT10_ENKUlT_T0_E_clISt17integral_constantIbLb0EES1U_IbLb1EEEEDaS1Q_S1R_EUlS1Q_E_NS1_11comp_targetILNS1_3genE8ELNS1_11target_archE1030ELNS1_3gpuE2ELNS1_3repE0EEENS1_30default_config_static_selectorELNS0_4arch9wavefront6targetE0EEEvS13_,comdat
.Lfunc_end2016:
	.size	_ZN7rocprim17ROCPRIM_400000_NS6detail17trampoline_kernelINS0_13select_configILj256ELj13ELNS0_17block_load_methodE3ELS4_3ELS4_3ELNS0_20block_scan_algorithmE0ELj4294967295EEENS1_25partition_config_selectorILNS1_17partition_subalgoE4EjNS0_10empty_typeEbEEZZNS1_14partition_implILS8_4ELb0ES6_15HIP_vector_typeIjLj2EENS0_17counting_iteratorIjlEEPS9_SG_NS0_5tupleIJPjSI_NS0_16reverse_iteratorISI_EEEEENSH_IJSG_SG_SG_EEES9_SI_JZNS1_25segmented_radix_sort_implINS0_14default_configELb0EPK12hip_bfloat16PSP_PKlPlN2at6native12_GLOBAL__N_18offset_tEEE10hipError_tPvRmT1_PNSt15iterator_traitsIS13_E10value_typeET2_T3_PNS14_IS19_E10value_typeET4_jRbjT5_S1F_jjP12ihipStream_tbEUljE_ZNSN_ISO_Lb0ESR_SS_SU_SV_SZ_EES10_S11_S12_S13_S17_S18_S19_S1C_S1D_jS1E_jS1F_S1F_jjS1H_bEUljE0_EEES10_S11_S12_S19_S1D_S1F_T6_T7_T9_mT8_S1H_bDpT10_ENKUlT_T0_E_clISt17integral_constantIbLb0EES1U_IbLb1EEEEDaS1Q_S1R_EUlS1Q_E_NS1_11comp_targetILNS1_3genE8ELNS1_11target_archE1030ELNS1_3gpuE2ELNS1_3repE0EEENS1_30default_config_static_selectorELNS0_4arch9wavefront6targetE0EEEvS13_, .Lfunc_end2016-_ZN7rocprim17ROCPRIM_400000_NS6detail17trampoline_kernelINS0_13select_configILj256ELj13ELNS0_17block_load_methodE3ELS4_3ELS4_3ELNS0_20block_scan_algorithmE0ELj4294967295EEENS1_25partition_config_selectorILNS1_17partition_subalgoE4EjNS0_10empty_typeEbEEZZNS1_14partition_implILS8_4ELb0ES6_15HIP_vector_typeIjLj2EENS0_17counting_iteratorIjlEEPS9_SG_NS0_5tupleIJPjSI_NS0_16reverse_iteratorISI_EEEEENSH_IJSG_SG_SG_EEES9_SI_JZNS1_25segmented_radix_sort_implINS0_14default_configELb0EPK12hip_bfloat16PSP_PKlPlN2at6native12_GLOBAL__N_18offset_tEEE10hipError_tPvRmT1_PNSt15iterator_traitsIS13_E10value_typeET2_T3_PNS14_IS19_E10value_typeET4_jRbjT5_S1F_jjP12ihipStream_tbEUljE_ZNSN_ISO_Lb0ESR_SS_SU_SV_SZ_EES10_S11_S12_S13_S17_S18_S19_S1C_S1D_jS1E_jS1F_S1F_jjS1H_bEUljE0_EEES10_S11_S12_S19_S1D_S1F_T6_T7_T9_mT8_S1H_bDpT10_ENKUlT_T0_E_clISt17integral_constantIbLb0EES1U_IbLb1EEEEDaS1Q_S1R_EUlS1Q_E_NS1_11comp_targetILNS1_3genE8ELNS1_11target_archE1030ELNS1_3gpuE2ELNS1_3repE0EEENS1_30default_config_static_selectorELNS0_4arch9wavefront6targetE0EEEvS13_
                                        ; -- End function
	.section	.AMDGPU.csdata,"",@progbits
; Kernel info:
; codeLenInByte = 0
; NumSgprs: 0
; NumVgprs: 0
; ScratchSize: 0
; MemoryBound: 0
; FloatMode: 240
; IeeeMode: 1
; LDSByteSize: 0 bytes/workgroup (compile time only)
; SGPRBlocks: 0
; VGPRBlocks: 0
; NumSGPRsForWavesPerEU: 1
; NumVGPRsForWavesPerEU: 1
; Occupancy: 16
; WaveLimiterHint : 0
; COMPUTE_PGM_RSRC2:SCRATCH_EN: 0
; COMPUTE_PGM_RSRC2:USER_SGPR: 15
; COMPUTE_PGM_RSRC2:TRAP_HANDLER: 0
; COMPUTE_PGM_RSRC2:TGID_X_EN: 1
; COMPUTE_PGM_RSRC2:TGID_Y_EN: 0
; COMPUTE_PGM_RSRC2:TGID_Z_EN: 0
; COMPUTE_PGM_RSRC2:TIDIG_COMP_CNT: 0
	.section	.text._ZN7rocprim17ROCPRIM_400000_NS6detail17trampoline_kernelINS0_13select_configILj256ELj13ELNS0_17block_load_methodE3ELS4_3ELS4_3ELNS0_20block_scan_algorithmE0ELj4294967295EEENS1_25partition_config_selectorILNS1_17partition_subalgoE3EjNS0_10empty_typeEbEEZZNS1_14partition_implILS8_3ELb0ES6_jNS0_17counting_iteratorIjlEEPS9_SE_NS0_5tupleIJPjSE_EEENSF_IJSE_SE_EEES9_SG_JZNS1_25segmented_radix_sort_implINS0_14default_configELb0EPK12hip_bfloat16PSL_PKlPlN2at6native12_GLOBAL__N_18offset_tEEE10hipError_tPvRmT1_PNSt15iterator_traitsISZ_E10value_typeET2_T3_PNS10_IS15_E10value_typeET4_jRbjT5_S1B_jjP12ihipStream_tbEUljE_EEESW_SX_SY_S15_S19_S1B_T6_T7_T9_mT8_S1D_bDpT10_ENKUlT_T0_E_clISt17integral_constantIbLb0EES1Q_EEDaS1L_S1M_EUlS1L_E_NS1_11comp_targetILNS1_3genE0ELNS1_11target_archE4294967295ELNS1_3gpuE0ELNS1_3repE0EEENS1_30default_config_static_selectorELNS0_4arch9wavefront6targetE0EEEvSZ_,"axG",@progbits,_ZN7rocprim17ROCPRIM_400000_NS6detail17trampoline_kernelINS0_13select_configILj256ELj13ELNS0_17block_load_methodE3ELS4_3ELS4_3ELNS0_20block_scan_algorithmE0ELj4294967295EEENS1_25partition_config_selectorILNS1_17partition_subalgoE3EjNS0_10empty_typeEbEEZZNS1_14partition_implILS8_3ELb0ES6_jNS0_17counting_iteratorIjlEEPS9_SE_NS0_5tupleIJPjSE_EEENSF_IJSE_SE_EEES9_SG_JZNS1_25segmented_radix_sort_implINS0_14default_configELb0EPK12hip_bfloat16PSL_PKlPlN2at6native12_GLOBAL__N_18offset_tEEE10hipError_tPvRmT1_PNSt15iterator_traitsISZ_E10value_typeET2_T3_PNS10_IS15_E10value_typeET4_jRbjT5_S1B_jjP12ihipStream_tbEUljE_EEESW_SX_SY_S15_S19_S1B_T6_T7_T9_mT8_S1D_bDpT10_ENKUlT_T0_E_clISt17integral_constantIbLb0EES1Q_EEDaS1L_S1M_EUlS1L_E_NS1_11comp_targetILNS1_3genE0ELNS1_11target_archE4294967295ELNS1_3gpuE0ELNS1_3repE0EEENS1_30default_config_static_selectorELNS0_4arch9wavefront6targetE0EEEvSZ_,comdat
	.globl	_ZN7rocprim17ROCPRIM_400000_NS6detail17trampoline_kernelINS0_13select_configILj256ELj13ELNS0_17block_load_methodE3ELS4_3ELS4_3ELNS0_20block_scan_algorithmE0ELj4294967295EEENS1_25partition_config_selectorILNS1_17partition_subalgoE3EjNS0_10empty_typeEbEEZZNS1_14partition_implILS8_3ELb0ES6_jNS0_17counting_iteratorIjlEEPS9_SE_NS0_5tupleIJPjSE_EEENSF_IJSE_SE_EEES9_SG_JZNS1_25segmented_radix_sort_implINS0_14default_configELb0EPK12hip_bfloat16PSL_PKlPlN2at6native12_GLOBAL__N_18offset_tEEE10hipError_tPvRmT1_PNSt15iterator_traitsISZ_E10value_typeET2_T3_PNS10_IS15_E10value_typeET4_jRbjT5_S1B_jjP12ihipStream_tbEUljE_EEESW_SX_SY_S15_S19_S1B_T6_T7_T9_mT8_S1D_bDpT10_ENKUlT_T0_E_clISt17integral_constantIbLb0EES1Q_EEDaS1L_S1M_EUlS1L_E_NS1_11comp_targetILNS1_3genE0ELNS1_11target_archE4294967295ELNS1_3gpuE0ELNS1_3repE0EEENS1_30default_config_static_selectorELNS0_4arch9wavefront6targetE0EEEvSZ_ ; -- Begin function _ZN7rocprim17ROCPRIM_400000_NS6detail17trampoline_kernelINS0_13select_configILj256ELj13ELNS0_17block_load_methodE3ELS4_3ELS4_3ELNS0_20block_scan_algorithmE0ELj4294967295EEENS1_25partition_config_selectorILNS1_17partition_subalgoE3EjNS0_10empty_typeEbEEZZNS1_14partition_implILS8_3ELb0ES6_jNS0_17counting_iteratorIjlEEPS9_SE_NS0_5tupleIJPjSE_EEENSF_IJSE_SE_EEES9_SG_JZNS1_25segmented_radix_sort_implINS0_14default_configELb0EPK12hip_bfloat16PSL_PKlPlN2at6native12_GLOBAL__N_18offset_tEEE10hipError_tPvRmT1_PNSt15iterator_traitsISZ_E10value_typeET2_T3_PNS10_IS15_E10value_typeET4_jRbjT5_S1B_jjP12ihipStream_tbEUljE_EEESW_SX_SY_S15_S19_S1B_T6_T7_T9_mT8_S1D_bDpT10_ENKUlT_T0_E_clISt17integral_constantIbLb0EES1Q_EEDaS1L_S1M_EUlS1L_E_NS1_11comp_targetILNS1_3genE0ELNS1_11target_archE4294967295ELNS1_3gpuE0ELNS1_3repE0EEENS1_30default_config_static_selectorELNS0_4arch9wavefront6targetE0EEEvSZ_
	.p2align	8
	.type	_ZN7rocprim17ROCPRIM_400000_NS6detail17trampoline_kernelINS0_13select_configILj256ELj13ELNS0_17block_load_methodE3ELS4_3ELS4_3ELNS0_20block_scan_algorithmE0ELj4294967295EEENS1_25partition_config_selectorILNS1_17partition_subalgoE3EjNS0_10empty_typeEbEEZZNS1_14partition_implILS8_3ELb0ES6_jNS0_17counting_iteratorIjlEEPS9_SE_NS0_5tupleIJPjSE_EEENSF_IJSE_SE_EEES9_SG_JZNS1_25segmented_radix_sort_implINS0_14default_configELb0EPK12hip_bfloat16PSL_PKlPlN2at6native12_GLOBAL__N_18offset_tEEE10hipError_tPvRmT1_PNSt15iterator_traitsISZ_E10value_typeET2_T3_PNS10_IS15_E10value_typeET4_jRbjT5_S1B_jjP12ihipStream_tbEUljE_EEESW_SX_SY_S15_S19_S1B_T6_T7_T9_mT8_S1D_bDpT10_ENKUlT_T0_E_clISt17integral_constantIbLb0EES1Q_EEDaS1L_S1M_EUlS1L_E_NS1_11comp_targetILNS1_3genE0ELNS1_11target_archE4294967295ELNS1_3gpuE0ELNS1_3repE0EEENS1_30default_config_static_selectorELNS0_4arch9wavefront6targetE0EEEvSZ_,@function
_ZN7rocprim17ROCPRIM_400000_NS6detail17trampoline_kernelINS0_13select_configILj256ELj13ELNS0_17block_load_methodE3ELS4_3ELS4_3ELNS0_20block_scan_algorithmE0ELj4294967295EEENS1_25partition_config_selectorILNS1_17partition_subalgoE3EjNS0_10empty_typeEbEEZZNS1_14partition_implILS8_3ELb0ES6_jNS0_17counting_iteratorIjlEEPS9_SE_NS0_5tupleIJPjSE_EEENSF_IJSE_SE_EEES9_SG_JZNS1_25segmented_radix_sort_implINS0_14default_configELb0EPK12hip_bfloat16PSL_PKlPlN2at6native12_GLOBAL__N_18offset_tEEE10hipError_tPvRmT1_PNSt15iterator_traitsISZ_E10value_typeET2_T3_PNS10_IS15_E10value_typeET4_jRbjT5_S1B_jjP12ihipStream_tbEUljE_EEESW_SX_SY_S15_S19_S1B_T6_T7_T9_mT8_S1D_bDpT10_ENKUlT_T0_E_clISt17integral_constantIbLb0EES1Q_EEDaS1L_S1M_EUlS1L_E_NS1_11comp_targetILNS1_3genE0ELNS1_11target_archE4294967295ELNS1_3gpuE0ELNS1_3repE0EEENS1_30default_config_static_selectorELNS0_4arch9wavefront6targetE0EEEvSZ_: ; @_ZN7rocprim17ROCPRIM_400000_NS6detail17trampoline_kernelINS0_13select_configILj256ELj13ELNS0_17block_load_methodE3ELS4_3ELS4_3ELNS0_20block_scan_algorithmE0ELj4294967295EEENS1_25partition_config_selectorILNS1_17partition_subalgoE3EjNS0_10empty_typeEbEEZZNS1_14partition_implILS8_3ELb0ES6_jNS0_17counting_iteratorIjlEEPS9_SE_NS0_5tupleIJPjSE_EEENSF_IJSE_SE_EEES9_SG_JZNS1_25segmented_radix_sort_implINS0_14default_configELb0EPK12hip_bfloat16PSL_PKlPlN2at6native12_GLOBAL__N_18offset_tEEE10hipError_tPvRmT1_PNSt15iterator_traitsISZ_E10value_typeET2_T3_PNS10_IS15_E10value_typeET4_jRbjT5_S1B_jjP12ihipStream_tbEUljE_EEESW_SX_SY_S15_S19_S1B_T6_T7_T9_mT8_S1D_bDpT10_ENKUlT_T0_E_clISt17integral_constantIbLb0EES1Q_EEDaS1L_S1M_EUlS1L_E_NS1_11comp_targetILNS1_3genE0ELNS1_11target_archE4294967295ELNS1_3gpuE0ELNS1_3repE0EEENS1_30default_config_static_selectorELNS0_4arch9wavefront6targetE0EEEvSZ_
; %bb.0:
	.section	.rodata,"a",@progbits
	.p2align	6, 0x0
	.amdhsa_kernel _ZN7rocprim17ROCPRIM_400000_NS6detail17trampoline_kernelINS0_13select_configILj256ELj13ELNS0_17block_load_methodE3ELS4_3ELS4_3ELNS0_20block_scan_algorithmE0ELj4294967295EEENS1_25partition_config_selectorILNS1_17partition_subalgoE3EjNS0_10empty_typeEbEEZZNS1_14partition_implILS8_3ELb0ES6_jNS0_17counting_iteratorIjlEEPS9_SE_NS0_5tupleIJPjSE_EEENSF_IJSE_SE_EEES9_SG_JZNS1_25segmented_radix_sort_implINS0_14default_configELb0EPK12hip_bfloat16PSL_PKlPlN2at6native12_GLOBAL__N_18offset_tEEE10hipError_tPvRmT1_PNSt15iterator_traitsISZ_E10value_typeET2_T3_PNS10_IS15_E10value_typeET4_jRbjT5_S1B_jjP12ihipStream_tbEUljE_EEESW_SX_SY_S15_S19_S1B_T6_T7_T9_mT8_S1D_bDpT10_ENKUlT_T0_E_clISt17integral_constantIbLb0EES1Q_EEDaS1L_S1M_EUlS1L_E_NS1_11comp_targetILNS1_3genE0ELNS1_11target_archE4294967295ELNS1_3gpuE0ELNS1_3repE0EEENS1_30default_config_static_selectorELNS0_4arch9wavefront6targetE0EEEvSZ_
		.amdhsa_group_segment_fixed_size 0
		.amdhsa_private_segment_fixed_size 0
		.amdhsa_kernarg_size 144
		.amdhsa_user_sgpr_count 15
		.amdhsa_user_sgpr_dispatch_ptr 0
		.amdhsa_user_sgpr_queue_ptr 0
		.amdhsa_user_sgpr_kernarg_segment_ptr 1
		.amdhsa_user_sgpr_dispatch_id 0
		.amdhsa_user_sgpr_private_segment_size 0
		.amdhsa_wavefront_size32 1
		.amdhsa_uses_dynamic_stack 0
		.amdhsa_enable_private_segment 0
		.amdhsa_system_sgpr_workgroup_id_x 1
		.amdhsa_system_sgpr_workgroup_id_y 0
		.amdhsa_system_sgpr_workgroup_id_z 0
		.amdhsa_system_sgpr_workgroup_info 0
		.amdhsa_system_vgpr_workitem_id 0
		.amdhsa_next_free_vgpr 1
		.amdhsa_next_free_sgpr 1
		.amdhsa_reserve_vcc 0
		.amdhsa_float_round_mode_32 0
		.amdhsa_float_round_mode_16_64 0
		.amdhsa_float_denorm_mode_32 3
		.amdhsa_float_denorm_mode_16_64 3
		.amdhsa_dx10_clamp 1
		.amdhsa_ieee_mode 1
		.amdhsa_fp16_overflow 0
		.amdhsa_workgroup_processor_mode 1
		.amdhsa_memory_ordered 1
		.amdhsa_forward_progress 0
		.amdhsa_shared_vgpr_count 0
		.amdhsa_exception_fp_ieee_invalid_op 0
		.amdhsa_exception_fp_denorm_src 0
		.amdhsa_exception_fp_ieee_div_zero 0
		.amdhsa_exception_fp_ieee_overflow 0
		.amdhsa_exception_fp_ieee_underflow 0
		.amdhsa_exception_fp_ieee_inexact 0
		.amdhsa_exception_int_div_zero 0
	.end_amdhsa_kernel
	.section	.text._ZN7rocprim17ROCPRIM_400000_NS6detail17trampoline_kernelINS0_13select_configILj256ELj13ELNS0_17block_load_methodE3ELS4_3ELS4_3ELNS0_20block_scan_algorithmE0ELj4294967295EEENS1_25partition_config_selectorILNS1_17partition_subalgoE3EjNS0_10empty_typeEbEEZZNS1_14partition_implILS8_3ELb0ES6_jNS0_17counting_iteratorIjlEEPS9_SE_NS0_5tupleIJPjSE_EEENSF_IJSE_SE_EEES9_SG_JZNS1_25segmented_radix_sort_implINS0_14default_configELb0EPK12hip_bfloat16PSL_PKlPlN2at6native12_GLOBAL__N_18offset_tEEE10hipError_tPvRmT1_PNSt15iterator_traitsISZ_E10value_typeET2_T3_PNS10_IS15_E10value_typeET4_jRbjT5_S1B_jjP12ihipStream_tbEUljE_EEESW_SX_SY_S15_S19_S1B_T6_T7_T9_mT8_S1D_bDpT10_ENKUlT_T0_E_clISt17integral_constantIbLb0EES1Q_EEDaS1L_S1M_EUlS1L_E_NS1_11comp_targetILNS1_3genE0ELNS1_11target_archE4294967295ELNS1_3gpuE0ELNS1_3repE0EEENS1_30default_config_static_selectorELNS0_4arch9wavefront6targetE0EEEvSZ_,"axG",@progbits,_ZN7rocprim17ROCPRIM_400000_NS6detail17trampoline_kernelINS0_13select_configILj256ELj13ELNS0_17block_load_methodE3ELS4_3ELS4_3ELNS0_20block_scan_algorithmE0ELj4294967295EEENS1_25partition_config_selectorILNS1_17partition_subalgoE3EjNS0_10empty_typeEbEEZZNS1_14partition_implILS8_3ELb0ES6_jNS0_17counting_iteratorIjlEEPS9_SE_NS0_5tupleIJPjSE_EEENSF_IJSE_SE_EEES9_SG_JZNS1_25segmented_radix_sort_implINS0_14default_configELb0EPK12hip_bfloat16PSL_PKlPlN2at6native12_GLOBAL__N_18offset_tEEE10hipError_tPvRmT1_PNSt15iterator_traitsISZ_E10value_typeET2_T3_PNS10_IS15_E10value_typeET4_jRbjT5_S1B_jjP12ihipStream_tbEUljE_EEESW_SX_SY_S15_S19_S1B_T6_T7_T9_mT8_S1D_bDpT10_ENKUlT_T0_E_clISt17integral_constantIbLb0EES1Q_EEDaS1L_S1M_EUlS1L_E_NS1_11comp_targetILNS1_3genE0ELNS1_11target_archE4294967295ELNS1_3gpuE0ELNS1_3repE0EEENS1_30default_config_static_selectorELNS0_4arch9wavefront6targetE0EEEvSZ_,comdat
.Lfunc_end2017:
	.size	_ZN7rocprim17ROCPRIM_400000_NS6detail17trampoline_kernelINS0_13select_configILj256ELj13ELNS0_17block_load_methodE3ELS4_3ELS4_3ELNS0_20block_scan_algorithmE0ELj4294967295EEENS1_25partition_config_selectorILNS1_17partition_subalgoE3EjNS0_10empty_typeEbEEZZNS1_14partition_implILS8_3ELb0ES6_jNS0_17counting_iteratorIjlEEPS9_SE_NS0_5tupleIJPjSE_EEENSF_IJSE_SE_EEES9_SG_JZNS1_25segmented_radix_sort_implINS0_14default_configELb0EPK12hip_bfloat16PSL_PKlPlN2at6native12_GLOBAL__N_18offset_tEEE10hipError_tPvRmT1_PNSt15iterator_traitsISZ_E10value_typeET2_T3_PNS10_IS15_E10value_typeET4_jRbjT5_S1B_jjP12ihipStream_tbEUljE_EEESW_SX_SY_S15_S19_S1B_T6_T7_T9_mT8_S1D_bDpT10_ENKUlT_T0_E_clISt17integral_constantIbLb0EES1Q_EEDaS1L_S1M_EUlS1L_E_NS1_11comp_targetILNS1_3genE0ELNS1_11target_archE4294967295ELNS1_3gpuE0ELNS1_3repE0EEENS1_30default_config_static_selectorELNS0_4arch9wavefront6targetE0EEEvSZ_, .Lfunc_end2017-_ZN7rocprim17ROCPRIM_400000_NS6detail17trampoline_kernelINS0_13select_configILj256ELj13ELNS0_17block_load_methodE3ELS4_3ELS4_3ELNS0_20block_scan_algorithmE0ELj4294967295EEENS1_25partition_config_selectorILNS1_17partition_subalgoE3EjNS0_10empty_typeEbEEZZNS1_14partition_implILS8_3ELb0ES6_jNS0_17counting_iteratorIjlEEPS9_SE_NS0_5tupleIJPjSE_EEENSF_IJSE_SE_EEES9_SG_JZNS1_25segmented_radix_sort_implINS0_14default_configELb0EPK12hip_bfloat16PSL_PKlPlN2at6native12_GLOBAL__N_18offset_tEEE10hipError_tPvRmT1_PNSt15iterator_traitsISZ_E10value_typeET2_T3_PNS10_IS15_E10value_typeET4_jRbjT5_S1B_jjP12ihipStream_tbEUljE_EEESW_SX_SY_S15_S19_S1B_T6_T7_T9_mT8_S1D_bDpT10_ENKUlT_T0_E_clISt17integral_constantIbLb0EES1Q_EEDaS1L_S1M_EUlS1L_E_NS1_11comp_targetILNS1_3genE0ELNS1_11target_archE4294967295ELNS1_3gpuE0ELNS1_3repE0EEENS1_30default_config_static_selectorELNS0_4arch9wavefront6targetE0EEEvSZ_
                                        ; -- End function
	.section	.AMDGPU.csdata,"",@progbits
; Kernel info:
; codeLenInByte = 0
; NumSgprs: 0
; NumVgprs: 0
; ScratchSize: 0
; MemoryBound: 0
; FloatMode: 240
; IeeeMode: 1
; LDSByteSize: 0 bytes/workgroup (compile time only)
; SGPRBlocks: 0
; VGPRBlocks: 0
; NumSGPRsForWavesPerEU: 1
; NumVGPRsForWavesPerEU: 1
; Occupancy: 16
; WaveLimiterHint : 0
; COMPUTE_PGM_RSRC2:SCRATCH_EN: 0
; COMPUTE_PGM_RSRC2:USER_SGPR: 15
; COMPUTE_PGM_RSRC2:TRAP_HANDLER: 0
; COMPUTE_PGM_RSRC2:TGID_X_EN: 1
; COMPUTE_PGM_RSRC2:TGID_Y_EN: 0
; COMPUTE_PGM_RSRC2:TGID_Z_EN: 0
; COMPUTE_PGM_RSRC2:TIDIG_COMP_CNT: 0
	.section	.text._ZN7rocprim17ROCPRIM_400000_NS6detail17trampoline_kernelINS0_13select_configILj256ELj13ELNS0_17block_load_methodE3ELS4_3ELS4_3ELNS0_20block_scan_algorithmE0ELj4294967295EEENS1_25partition_config_selectorILNS1_17partition_subalgoE3EjNS0_10empty_typeEbEEZZNS1_14partition_implILS8_3ELb0ES6_jNS0_17counting_iteratorIjlEEPS9_SE_NS0_5tupleIJPjSE_EEENSF_IJSE_SE_EEES9_SG_JZNS1_25segmented_radix_sort_implINS0_14default_configELb0EPK12hip_bfloat16PSL_PKlPlN2at6native12_GLOBAL__N_18offset_tEEE10hipError_tPvRmT1_PNSt15iterator_traitsISZ_E10value_typeET2_T3_PNS10_IS15_E10value_typeET4_jRbjT5_S1B_jjP12ihipStream_tbEUljE_EEESW_SX_SY_S15_S19_S1B_T6_T7_T9_mT8_S1D_bDpT10_ENKUlT_T0_E_clISt17integral_constantIbLb0EES1Q_EEDaS1L_S1M_EUlS1L_E_NS1_11comp_targetILNS1_3genE5ELNS1_11target_archE942ELNS1_3gpuE9ELNS1_3repE0EEENS1_30default_config_static_selectorELNS0_4arch9wavefront6targetE0EEEvSZ_,"axG",@progbits,_ZN7rocprim17ROCPRIM_400000_NS6detail17trampoline_kernelINS0_13select_configILj256ELj13ELNS0_17block_load_methodE3ELS4_3ELS4_3ELNS0_20block_scan_algorithmE0ELj4294967295EEENS1_25partition_config_selectorILNS1_17partition_subalgoE3EjNS0_10empty_typeEbEEZZNS1_14partition_implILS8_3ELb0ES6_jNS0_17counting_iteratorIjlEEPS9_SE_NS0_5tupleIJPjSE_EEENSF_IJSE_SE_EEES9_SG_JZNS1_25segmented_radix_sort_implINS0_14default_configELb0EPK12hip_bfloat16PSL_PKlPlN2at6native12_GLOBAL__N_18offset_tEEE10hipError_tPvRmT1_PNSt15iterator_traitsISZ_E10value_typeET2_T3_PNS10_IS15_E10value_typeET4_jRbjT5_S1B_jjP12ihipStream_tbEUljE_EEESW_SX_SY_S15_S19_S1B_T6_T7_T9_mT8_S1D_bDpT10_ENKUlT_T0_E_clISt17integral_constantIbLb0EES1Q_EEDaS1L_S1M_EUlS1L_E_NS1_11comp_targetILNS1_3genE5ELNS1_11target_archE942ELNS1_3gpuE9ELNS1_3repE0EEENS1_30default_config_static_selectorELNS0_4arch9wavefront6targetE0EEEvSZ_,comdat
	.globl	_ZN7rocprim17ROCPRIM_400000_NS6detail17trampoline_kernelINS0_13select_configILj256ELj13ELNS0_17block_load_methodE3ELS4_3ELS4_3ELNS0_20block_scan_algorithmE0ELj4294967295EEENS1_25partition_config_selectorILNS1_17partition_subalgoE3EjNS0_10empty_typeEbEEZZNS1_14partition_implILS8_3ELb0ES6_jNS0_17counting_iteratorIjlEEPS9_SE_NS0_5tupleIJPjSE_EEENSF_IJSE_SE_EEES9_SG_JZNS1_25segmented_radix_sort_implINS0_14default_configELb0EPK12hip_bfloat16PSL_PKlPlN2at6native12_GLOBAL__N_18offset_tEEE10hipError_tPvRmT1_PNSt15iterator_traitsISZ_E10value_typeET2_T3_PNS10_IS15_E10value_typeET4_jRbjT5_S1B_jjP12ihipStream_tbEUljE_EEESW_SX_SY_S15_S19_S1B_T6_T7_T9_mT8_S1D_bDpT10_ENKUlT_T0_E_clISt17integral_constantIbLb0EES1Q_EEDaS1L_S1M_EUlS1L_E_NS1_11comp_targetILNS1_3genE5ELNS1_11target_archE942ELNS1_3gpuE9ELNS1_3repE0EEENS1_30default_config_static_selectorELNS0_4arch9wavefront6targetE0EEEvSZ_ ; -- Begin function _ZN7rocprim17ROCPRIM_400000_NS6detail17trampoline_kernelINS0_13select_configILj256ELj13ELNS0_17block_load_methodE3ELS4_3ELS4_3ELNS0_20block_scan_algorithmE0ELj4294967295EEENS1_25partition_config_selectorILNS1_17partition_subalgoE3EjNS0_10empty_typeEbEEZZNS1_14partition_implILS8_3ELb0ES6_jNS0_17counting_iteratorIjlEEPS9_SE_NS0_5tupleIJPjSE_EEENSF_IJSE_SE_EEES9_SG_JZNS1_25segmented_radix_sort_implINS0_14default_configELb0EPK12hip_bfloat16PSL_PKlPlN2at6native12_GLOBAL__N_18offset_tEEE10hipError_tPvRmT1_PNSt15iterator_traitsISZ_E10value_typeET2_T3_PNS10_IS15_E10value_typeET4_jRbjT5_S1B_jjP12ihipStream_tbEUljE_EEESW_SX_SY_S15_S19_S1B_T6_T7_T9_mT8_S1D_bDpT10_ENKUlT_T0_E_clISt17integral_constantIbLb0EES1Q_EEDaS1L_S1M_EUlS1L_E_NS1_11comp_targetILNS1_3genE5ELNS1_11target_archE942ELNS1_3gpuE9ELNS1_3repE0EEENS1_30default_config_static_selectorELNS0_4arch9wavefront6targetE0EEEvSZ_
	.p2align	8
	.type	_ZN7rocprim17ROCPRIM_400000_NS6detail17trampoline_kernelINS0_13select_configILj256ELj13ELNS0_17block_load_methodE3ELS4_3ELS4_3ELNS0_20block_scan_algorithmE0ELj4294967295EEENS1_25partition_config_selectorILNS1_17partition_subalgoE3EjNS0_10empty_typeEbEEZZNS1_14partition_implILS8_3ELb0ES6_jNS0_17counting_iteratorIjlEEPS9_SE_NS0_5tupleIJPjSE_EEENSF_IJSE_SE_EEES9_SG_JZNS1_25segmented_radix_sort_implINS0_14default_configELb0EPK12hip_bfloat16PSL_PKlPlN2at6native12_GLOBAL__N_18offset_tEEE10hipError_tPvRmT1_PNSt15iterator_traitsISZ_E10value_typeET2_T3_PNS10_IS15_E10value_typeET4_jRbjT5_S1B_jjP12ihipStream_tbEUljE_EEESW_SX_SY_S15_S19_S1B_T6_T7_T9_mT8_S1D_bDpT10_ENKUlT_T0_E_clISt17integral_constantIbLb0EES1Q_EEDaS1L_S1M_EUlS1L_E_NS1_11comp_targetILNS1_3genE5ELNS1_11target_archE942ELNS1_3gpuE9ELNS1_3repE0EEENS1_30default_config_static_selectorELNS0_4arch9wavefront6targetE0EEEvSZ_,@function
_ZN7rocprim17ROCPRIM_400000_NS6detail17trampoline_kernelINS0_13select_configILj256ELj13ELNS0_17block_load_methodE3ELS4_3ELS4_3ELNS0_20block_scan_algorithmE0ELj4294967295EEENS1_25partition_config_selectorILNS1_17partition_subalgoE3EjNS0_10empty_typeEbEEZZNS1_14partition_implILS8_3ELb0ES6_jNS0_17counting_iteratorIjlEEPS9_SE_NS0_5tupleIJPjSE_EEENSF_IJSE_SE_EEES9_SG_JZNS1_25segmented_radix_sort_implINS0_14default_configELb0EPK12hip_bfloat16PSL_PKlPlN2at6native12_GLOBAL__N_18offset_tEEE10hipError_tPvRmT1_PNSt15iterator_traitsISZ_E10value_typeET2_T3_PNS10_IS15_E10value_typeET4_jRbjT5_S1B_jjP12ihipStream_tbEUljE_EEESW_SX_SY_S15_S19_S1B_T6_T7_T9_mT8_S1D_bDpT10_ENKUlT_T0_E_clISt17integral_constantIbLb0EES1Q_EEDaS1L_S1M_EUlS1L_E_NS1_11comp_targetILNS1_3genE5ELNS1_11target_archE942ELNS1_3gpuE9ELNS1_3repE0EEENS1_30default_config_static_selectorELNS0_4arch9wavefront6targetE0EEEvSZ_: ; @_ZN7rocprim17ROCPRIM_400000_NS6detail17trampoline_kernelINS0_13select_configILj256ELj13ELNS0_17block_load_methodE3ELS4_3ELS4_3ELNS0_20block_scan_algorithmE0ELj4294967295EEENS1_25partition_config_selectorILNS1_17partition_subalgoE3EjNS0_10empty_typeEbEEZZNS1_14partition_implILS8_3ELb0ES6_jNS0_17counting_iteratorIjlEEPS9_SE_NS0_5tupleIJPjSE_EEENSF_IJSE_SE_EEES9_SG_JZNS1_25segmented_radix_sort_implINS0_14default_configELb0EPK12hip_bfloat16PSL_PKlPlN2at6native12_GLOBAL__N_18offset_tEEE10hipError_tPvRmT1_PNSt15iterator_traitsISZ_E10value_typeET2_T3_PNS10_IS15_E10value_typeET4_jRbjT5_S1B_jjP12ihipStream_tbEUljE_EEESW_SX_SY_S15_S19_S1B_T6_T7_T9_mT8_S1D_bDpT10_ENKUlT_T0_E_clISt17integral_constantIbLb0EES1Q_EEDaS1L_S1M_EUlS1L_E_NS1_11comp_targetILNS1_3genE5ELNS1_11target_archE942ELNS1_3gpuE9ELNS1_3repE0EEENS1_30default_config_static_selectorELNS0_4arch9wavefront6targetE0EEEvSZ_
; %bb.0:
	.section	.rodata,"a",@progbits
	.p2align	6, 0x0
	.amdhsa_kernel _ZN7rocprim17ROCPRIM_400000_NS6detail17trampoline_kernelINS0_13select_configILj256ELj13ELNS0_17block_load_methodE3ELS4_3ELS4_3ELNS0_20block_scan_algorithmE0ELj4294967295EEENS1_25partition_config_selectorILNS1_17partition_subalgoE3EjNS0_10empty_typeEbEEZZNS1_14partition_implILS8_3ELb0ES6_jNS0_17counting_iteratorIjlEEPS9_SE_NS0_5tupleIJPjSE_EEENSF_IJSE_SE_EEES9_SG_JZNS1_25segmented_radix_sort_implINS0_14default_configELb0EPK12hip_bfloat16PSL_PKlPlN2at6native12_GLOBAL__N_18offset_tEEE10hipError_tPvRmT1_PNSt15iterator_traitsISZ_E10value_typeET2_T3_PNS10_IS15_E10value_typeET4_jRbjT5_S1B_jjP12ihipStream_tbEUljE_EEESW_SX_SY_S15_S19_S1B_T6_T7_T9_mT8_S1D_bDpT10_ENKUlT_T0_E_clISt17integral_constantIbLb0EES1Q_EEDaS1L_S1M_EUlS1L_E_NS1_11comp_targetILNS1_3genE5ELNS1_11target_archE942ELNS1_3gpuE9ELNS1_3repE0EEENS1_30default_config_static_selectorELNS0_4arch9wavefront6targetE0EEEvSZ_
		.amdhsa_group_segment_fixed_size 0
		.amdhsa_private_segment_fixed_size 0
		.amdhsa_kernarg_size 144
		.amdhsa_user_sgpr_count 15
		.amdhsa_user_sgpr_dispatch_ptr 0
		.amdhsa_user_sgpr_queue_ptr 0
		.amdhsa_user_sgpr_kernarg_segment_ptr 1
		.amdhsa_user_sgpr_dispatch_id 0
		.amdhsa_user_sgpr_private_segment_size 0
		.amdhsa_wavefront_size32 1
		.amdhsa_uses_dynamic_stack 0
		.amdhsa_enable_private_segment 0
		.amdhsa_system_sgpr_workgroup_id_x 1
		.amdhsa_system_sgpr_workgroup_id_y 0
		.amdhsa_system_sgpr_workgroup_id_z 0
		.amdhsa_system_sgpr_workgroup_info 0
		.amdhsa_system_vgpr_workitem_id 0
		.amdhsa_next_free_vgpr 1
		.amdhsa_next_free_sgpr 1
		.amdhsa_reserve_vcc 0
		.amdhsa_float_round_mode_32 0
		.amdhsa_float_round_mode_16_64 0
		.amdhsa_float_denorm_mode_32 3
		.amdhsa_float_denorm_mode_16_64 3
		.amdhsa_dx10_clamp 1
		.amdhsa_ieee_mode 1
		.amdhsa_fp16_overflow 0
		.amdhsa_workgroup_processor_mode 1
		.amdhsa_memory_ordered 1
		.amdhsa_forward_progress 0
		.amdhsa_shared_vgpr_count 0
		.amdhsa_exception_fp_ieee_invalid_op 0
		.amdhsa_exception_fp_denorm_src 0
		.amdhsa_exception_fp_ieee_div_zero 0
		.amdhsa_exception_fp_ieee_overflow 0
		.amdhsa_exception_fp_ieee_underflow 0
		.amdhsa_exception_fp_ieee_inexact 0
		.amdhsa_exception_int_div_zero 0
	.end_amdhsa_kernel
	.section	.text._ZN7rocprim17ROCPRIM_400000_NS6detail17trampoline_kernelINS0_13select_configILj256ELj13ELNS0_17block_load_methodE3ELS4_3ELS4_3ELNS0_20block_scan_algorithmE0ELj4294967295EEENS1_25partition_config_selectorILNS1_17partition_subalgoE3EjNS0_10empty_typeEbEEZZNS1_14partition_implILS8_3ELb0ES6_jNS0_17counting_iteratorIjlEEPS9_SE_NS0_5tupleIJPjSE_EEENSF_IJSE_SE_EEES9_SG_JZNS1_25segmented_radix_sort_implINS0_14default_configELb0EPK12hip_bfloat16PSL_PKlPlN2at6native12_GLOBAL__N_18offset_tEEE10hipError_tPvRmT1_PNSt15iterator_traitsISZ_E10value_typeET2_T3_PNS10_IS15_E10value_typeET4_jRbjT5_S1B_jjP12ihipStream_tbEUljE_EEESW_SX_SY_S15_S19_S1B_T6_T7_T9_mT8_S1D_bDpT10_ENKUlT_T0_E_clISt17integral_constantIbLb0EES1Q_EEDaS1L_S1M_EUlS1L_E_NS1_11comp_targetILNS1_3genE5ELNS1_11target_archE942ELNS1_3gpuE9ELNS1_3repE0EEENS1_30default_config_static_selectorELNS0_4arch9wavefront6targetE0EEEvSZ_,"axG",@progbits,_ZN7rocprim17ROCPRIM_400000_NS6detail17trampoline_kernelINS0_13select_configILj256ELj13ELNS0_17block_load_methodE3ELS4_3ELS4_3ELNS0_20block_scan_algorithmE0ELj4294967295EEENS1_25partition_config_selectorILNS1_17partition_subalgoE3EjNS0_10empty_typeEbEEZZNS1_14partition_implILS8_3ELb0ES6_jNS0_17counting_iteratorIjlEEPS9_SE_NS0_5tupleIJPjSE_EEENSF_IJSE_SE_EEES9_SG_JZNS1_25segmented_radix_sort_implINS0_14default_configELb0EPK12hip_bfloat16PSL_PKlPlN2at6native12_GLOBAL__N_18offset_tEEE10hipError_tPvRmT1_PNSt15iterator_traitsISZ_E10value_typeET2_T3_PNS10_IS15_E10value_typeET4_jRbjT5_S1B_jjP12ihipStream_tbEUljE_EEESW_SX_SY_S15_S19_S1B_T6_T7_T9_mT8_S1D_bDpT10_ENKUlT_T0_E_clISt17integral_constantIbLb0EES1Q_EEDaS1L_S1M_EUlS1L_E_NS1_11comp_targetILNS1_3genE5ELNS1_11target_archE942ELNS1_3gpuE9ELNS1_3repE0EEENS1_30default_config_static_selectorELNS0_4arch9wavefront6targetE0EEEvSZ_,comdat
.Lfunc_end2018:
	.size	_ZN7rocprim17ROCPRIM_400000_NS6detail17trampoline_kernelINS0_13select_configILj256ELj13ELNS0_17block_load_methodE3ELS4_3ELS4_3ELNS0_20block_scan_algorithmE0ELj4294967295EEENS1_25partition_config_selectorILNS1_17partition_subalgoE3EjNS0_10empty_typeEbEEZZNS1_14partition_implILS8_3ELb0ES6_jNS0_17counting_iteratorIjlEEPS9_SE_NS0_5tupleIJPjSE_EEENSF_IJSE_SE_EEES9_SG_JZNS1_25segmented_radix_sort_implINS0_14default_configELb0EPK12hip_bfloat16PSL_PKlPlN2at6native12_GLOBAL__N_18offset_tEEE10hipError_tPvRmT1_PNSt15iterator_traitsISZ_E10value_typeET2_T3_PNS10_IS15_E10value_typeET4_jRbjT5_S1B_jjP12ihipStream_tbEUljE_EEESW_SX_SY_S15_S19_S1B_T6_T7_T9_mT8_S1D_bDpT10_ENKUlT_T0_E_clISt17integral_constantIbLb0EES1Q_EEDaS1L_S1M_EUlS1L_E_NS1_11comp_targetILNS1_3genE5ELNS1_11target_archE942ELNS1_3gpuE9ELNS1_3repE0EEENS1_30default_config_static_selectorELNS0_4arch9wavefront6targetE0EEEvSZ_, .Lfunc_end2018-_ZN7rocprim17ROCPRIM_400000_NS6detail17trampoline_kernelINS0_13select_configILj256ELj13ELNS0_17block_load_methodE3ELS4_3ELS4_3ELNS0_20block_scan_algorithmE0ELj4294967295EEENS1_25partition_config_selectorILNS1_17partition_subalgoE3EjNS0_10empty_typeEbEEZZNS1_14partition_implILS8_3ELb0ES6_jNS0_17counting_iteratorIjlEEPS9_SE_NS0_5tupleIJPjSE_EEENSF_IJSE_SE_EEES9_SG_JZNS1_25segmented_radix_sort_implINS0_14default_configELb0EPK12hip_bfloat16PSL_PKlPlN2at6native12_GLOBAL__N_18offset_tEEE10hipError_tPvRmT1_PNSt15iterator_traitsISZ_E10value_typeET2_T3_PNS10_IS15_E10value_typeET4_jRbjT5_S1B_jjP12ihipStream_tbEUljE_EEESW_SX_SY_S15_S19_S1B_T6_T7_T9_mT8_S1D_bDpT10_ENKUlT_T0_E_clISt17integral_constantIbLb0EES1Q_EEDaS1L_S1M_EUlS1L_E_NS1_11comp_targetILNS1_3genE5ELNS1_11target_archE942ELNS1_3gpuE9ELNS1_3repE0EEENS1_30default_config_static_selectorELNS0_4arch9wavefront6targetE0EEEvSZ_
                                        ; -- End function
	.section	.AMDGPU.csdata,"",@progbits
; Kernel info:
; codeLenInByte = 0
; NumSgprs: 0
; NumVgprs: 0
; ScratchSize: 0
; MemoryBound: 0
; FloatMode: 240
; IeeeMode: 1
; LDSByteSize: 0 bytes/workgroup (compile time only)
; SGPRBlocks: 0
; VGPRBlocks: 0
; NumSGPRsForWavesPerEU: 1
; NumVGPRsForWavesPerEU: 1
; Occupancy: 16
; WaveLimiterHint : 0
; COMPUTE_PGM_RSRC2:SCRATCH_EN: 0
; COMPUTE_PGM_RSRC2:USER_SGPR: 15
; COMPUTE_PGM_RSRC2:TRAP_HANDLER: 0
; COMPUTE_PGM_RSRC2:TGID_X_EN: 1
; COMPUTE_PGM_RSRC2:TGID_Y_EN: 0
; COMPUTE_PGM_RSRC2:TGID_Z_EN: 0
; COMPUTE_PGM_RSRC2:TIDIG_COMP_CNT: 0
	.section	.text._ZN7rocprim17ROCPRIM_400000_NS6detail17trampoline_kernelINS0_13select_configILj256ELj13ELNS0_17block_load_methodE3ELS4_3ELS4_3ELNS0_20block_scan_algorithmE0ELj4294967295EEENS1_25partition_config_selectorILNS1_17partition_subalgoE3EjNS0_10empty_typeEbEEZZNS1_14partition_implILS8_3ELb0ES6_jNS0_17counting_iteratorIjlEEPS9_SE_NS0_5tupleIJPjSE_EEENSF_IJSE_SE_EEES9_SG_JZNS1_25segmented_radix_sort_implINS0_14default_configELb0EPK12hip_bfloat16PSL_PKlPlN2at6native12_GLOBAL__N_18offset_tEEE10hipError_tPvRmT1_PNSt15iterator_traitsISZ_E10value_typeET2_T3_PNS10_IS15_E10value_typeET4_jRbjT5_S1B_jjP12ihipStream_tbEUljE_EEESW_SX_SY_S15_S19_S1B_T6_T7_T9_mT8_S1D_bDpT10_ENKUlT_T0_E_clISt17integral_constantIbLb0EES1Q_EEDaS1L_S1M_EUlS1L_E_NS1_11comp_targetILNS1_3genE4ELNS1_11target_archE910ELNS1_3gpuE8ELNS1_3repE0EEENS1_30default_config_static_selectorELNS0_4arch9wavefront6targetE0EEEvSZ_,"axG",@progbits,_ZN7rocprim17ROCPRIM_400000_NS6detail17trampoline_kernelINS0_13select_configILj256ELj13ELNS0_17block_load_methodE3ELS4_3ELS4_3ELNS0_20block_scan_algorithmE0ELj4294967295EEENS1_25partition_config_selectorILNS1_17partition_subalgoE3EjNS0_10empty_typeEbEEZZNS1_14partition_implILS8_3ELb0ES6_jNS0_17counting_iteratorIjlEEPS9_SE_NS0_5tupleIJPjSE_EEENSF_IJSE_SE_EEES9_SG_JZNS1_25segmented_radix_sort_implINS0_14default_configELb0EPK12hip_bfloat16PSL_PKlPlN2at6native12_GLOBAL__N_18offset_tEEE10hipError_tPvRmT1_PNSt15iterator_traitsISZ_E10value_typeET2_T3_PNS10_IS15_E10value_typeET4_jRbjT5_S1B_jjP12ihipStream_tbEUljE_EEESW_SX_SY_S15_S19_S1B_T6_T7_T9_mT8_S1D_bDpT10_ENKUlT_T0_E_clISt17integral_constantIbLb0EES1Q_EEDaS1L_S1M_EUlS1L_E_NS1_11comp_targetILNS1_3genE4ELNS1_11target_archE910ELNS1_3gpuE8ELNS1_3repE0EEENS1_30default_config_static_selectorELNS0_4arch9wavefront6targetE0EEEvSZ_,comdat
	.globl	_ZN7rocprim17ROCPRIM_400000_NS6detail17trampoline_kernelINS0_13select_configILj256ELj13ELNS0_17block_load_methodE3ELS4_3ELS4_3ELNS0_20block_scan_algorithmE0ELj4294967295EEENS1_25partition_config_selectorILNS1_17partition_subalgoE3EjNS0_10empty_typeEbEEZZNS1_14partition_implILS8_3ELb0ES6_jNS0_17counting_iteratorIjlEEPS9_SE_NS0_5tupleIJPjSE_EEENSF_IJSE_SE_EEES9_SG_JZNS1_25segmented_radix_sort_implINS0_14default_configELb0EPK12hip_bfloat16PSL_PKlPlN2at6native12_GLOBAL__N_18offset_tEEE10hipError_tPvRmT1_PNSt15iterator_traitsISZ_E10value_typeET2_T3_PNS10_IS15_E10value_typeET4_jRbjT5_S1B_jjP12ihipStream_tbEUljE_EEESW_SX_SY_S15_S19_S1B_T6_T7_T9_mT8_S1D_bDpT10_ENKUlT_T0_E_clISt17integral_constantIbLb0EES1Q_EEDaS1L_S1M_EUlS1L_E_NS1_11comp_targetILNS1_3genE4ELNS1_11target_archE910ELNS1_3gpuE8ELNS1_3repE0EEENS1_30default_config_static_selectorELNS0_4arch9wavefront6targetE0EEEvSZ_ ; -- Begin function _ZN7rocprim17ROCPRIM_400000_NS6detail17trampoline_kernelINS0_13select_configILj256ELj13ELNS0_17block_load_methodE3ELS4_3ELS4_3ELNS0_20block_scan_algorithmE0ELj4294967295EEENS1_25partition_config_selectorILNS1_17partition_subalgoE3EjNS0_10empty_typeEbEEZZNS1_14partition_implILS8_3ELb0ES6_jNS0_17counting_iteratorIjlEEPS9_SE_NS0_5tupleIJPjSE_EEENSF_IJSE_SE_EEES9_SG_JZNS1_25segmented_radix_sort_implINS0_14default_configELb0EPK12hip_bfloat16PSL_PKlPlN2at6native12_GLOBAL__N_18offset_tEEE10hipError_tPvRmT1_PNSt15iterator_traitsISZ_E10value_typeET2_T3_PNS10_IS15_E10value_typeET4_jRbjT5_S1B_jjP12ihipStream_tbEUljE_EEESW_SX_SY_S15_S19_S1B_T6_T7_T9_mT8_S1D_bDpT10_ENKUlT_T0_E_clISt17integral_constantIbLb0EES1Q_EEDaS1L_S1M_EUlS1L_E_NS1_11comp_targetILNS1_3genE4ELNS1_11target_archE910ELNS1_3gpuE8ELNS1_3repE0EEENS1_30default_config_static_selectorELNS0_4arch9wavefront6targetE0EEEvSZ_
	.p2align	8
	.type	_ZN7rocprim17ROCPRIM_400000_NS6detail17trampoline_kernelINS0_13select_configILj256ELj13ELNS0_17block_load_methodE3ELS4_3ELS4_3ELNS0_20block_scan_algorithmE0ELj4294967295EEENS1_25partition_config_selectorILNS1_17partition_subalgoE3EjNS0_10empty_typeEbEEZZNS1_14partition_implILS8_3ELb0ES6_jNS0_17counting_iteratorIjlEEPS9_SE_NS0_5tupleIJPjSE_EEENSF_IJSE_SE_EEES9_SG_JZNS1_25segmented_radix_sort_implINS0_14default_configELb0EPK12hip_bfloat16PSL_PKlPlN2at6native12_GLOBAL__N_18offset_tEEE10hipError_tPvRmT1_PNSt15iterator_traitsISZ_E10value_typeET2_T3_PNS10_IS15_E10value_typeET4_jRbjT5_S1B_jjP12ihipStream_tbEUljE_EEESW_SX_SY_S15_S19_S1B_T6_T7_T9_mT8_S1D_bDpT10_ENKUlT_T0_E_clISt17integral_constantIbLb0EES1Q_EEDaS1L_S1M_EUlS1L_E_NS1_11comp_targetILNS1_3genE4ELNS1_11target_archE910ELNS1_3gpuE8ELNS1_3repE0EEENS1_30default_config_static_selectorELNS0_4arch9wavefront6targetE0EEEvSZ_,@function
_ZN7rocprim17ROCPRIM_400000_NS6detail17trampoline_kernelINS0_13select_configILj256ELj13ELNS0_17block_load_methodE3ELS4_3ELS4_3ELNS0_20block_scan_algorithmE0ELj4294967295EEENS1_25partition_config_selectorILNS1_17partition_subalgoE3EjNS0_10empty_typeEbEEZZNS1_14partition_implILS8_3ELb0ES6_jNS0_17counting_iteratorIjlEEPS9_SE_NS0_5tupleIJPjSE_EEENSF_IJSE_SE_EEES9_SG_JZNS1_25segmented_radix_sort_implINS0_14default_configELb0EPK12hip_bfloat16PSL_PKlPlN2at6native12_GLOBAL__N_18offset_tEEE10hipError_tPvRmT1_PNSt15iterator_traitsISZ_E10value_typeET2_T3_PNS10_IS15_E10value_typeET4_jRbjT5_S1B_jjP12ihipStream_tbEUljE_EEESW_SX_SY_S15_S19_S1B_T6_T7_T9_mT8_S1D_bDpT10_ENKUlT_T0_E_clISt17integral_constantIbLb0EES1Q_EEDaS1L_S1M_EUlS1L_E_NS1_11comp_targetILNS1_3genE4ELNS1_11target_archE910ELNS1_3gpuE8ELNS1_3repE0EEENS1_30default_config_static_selectorELNS0_4arch9wavefront6targetE0EEEvSZ_: ; @_ZN7rocprim17ROCPRIM_400000_NS6detail17trampoline_kernelINS0_13select_configILj256ELj13ELNS0_17block_load_methodE3ELS4_3ELS4_3ELNS0_20block_scan_algorithmE0ELj4294967295EEENS1_25partition_config_selectorILNS1_17partition_subalgoE3EjNS0_10empty_typeEbEEZZNS1_14partition_implILS8_3ELb0ES6_jNS0_17counting_iteratorIjlEEPS9_SE_NS0_5tupleIJPjSE_EEENSF_IJSE_SE_EEES9_SG_JZNS1_25segmented_radix_sort_implINS0_14default_configELb0EPK12hip_bfloat16PSL_PKlPlN2at6native12_GLOBAL__N_18offset_tEEE10hipError_tPvRmT1_PNSt15iterator_traitsISZ_E10value_typeET2_T3_PNS10_IS15_E10value_typeET4_jRbjT5_S1B_jjP12ihipStream_tbEUljE_EEESW_SX_SY_S15_S19_S1B_T6_T7_T9_mT8_S1D_bDpT10_ENKUlT_T0_E_clISt17integral_constantIbLb0EES1Q_EEDaS1L_S1M_EUlS1L_E_NS1_11comp_targetILNS1_3genE4ELNS1_11target_archE910ELNS1_3gpuE8ELNS1_3repE0EEENS1_30default_config_static_selectorELNS0_4arch9wavefront6targetE0EEEvSZ_
; %bb.0:
	.section	.rodata,"a",@progbits
	.p2align	6, 0x0
	.amdhsa_kernel _ZN7rocprim17ROCPRIM_400000_NS6detail17trampoline_kernelINS0_13select_configILj256ELj13ELNS0_17block_load_methodE3ELS4_3ELS4_3ELNS0_20block_scan_algorithmE0ELj4294967295EEENS1_25partition_config_selectorILNS1_17partition_subalgoE3EjNS0_10empty_typeEbEEZZNS1_14partition_implILS8_3ELb0ES6_jNS0_17counting_iteratorIjlEEPS9_SE_NS0_5tupleIJPjSE_EEENSF_IJSE_SE_EEES9_SG_JZNS1_25segmented_radix_sort_implINS0_14default_configELb0EPK12hip_bfloat16PSL_PKlPlN2at6native12_GLOBAL__N_18offset_tEEE10hipError_tPvRmT1_PNSt15iterator_traitsISZ_E10value_typeET2_T3_PNS10_IS15_E10value_typeET4_jRbjT5_S1B_jjP12ihipStream_tbEUljE_EEESW_SX_SY_S15_S19_S1B_T6_T7_T9_mT8_S1D_bDpT10_ENKUlT_T0_E_clISt17integral_constantIbLb0EES1Q_EEDaS1L_S1M_EUlS1L_E_NS1_11comp_targetILNS1_3genE4ELNS1_11target_archE910ELNS1_3gpuE8ELNS1_3repE0EEENS1_30default_config_static_selectorELNS0_4arch9wavefront6targetE0EEEvSZ_
		.amdhsa_group_segment_fixed_size 0
		.amdhsa_private_segment_fixed_size 0
		.amdhsa_kernarg_size 144
		.amdhsa_user_sgpr_count 15
		.amdhsa_user_sgpr_dispatch_ptr 0
		.amdhsa_user_sgpr_queue_ptr 0
		.amdhsa_user_sgpr_kernarg_segment_ptr 1
		.amdhsa_user_sgpr_dispatch_id 0
		.amdhsa_user_sgpr_private_segment_size 0
		.amdhsa_wavefront_size32 1
		.amdhsa_uses_dynamic_stack 0
		.amdhsa_enable_private_segment 0
		.amdhsa_system_sgpr_workgroup_id_x 1
		.amdhsa_system_sgpr_workgroup_id_y 0
		.amdhsa_system_sgpr_workgroup_id_z 0
		.amdhsa_system_sgpr_workgroup_info 0
		.amdhsa_system_vgpr_workitem_id 0
		.amdhsa_next_free_vgpr 1
		.amdhsa_next_free_sgpr 1
		.amdhsa_reserve_vcc 0
		.amdhsa_float_round_mode_32 0
		.amdhsa_float_round_mode_16_64 0
		.amdhsa_float_denorm_mode_32 3
		.amdhsa_float_denorm_mode_16_64 3
		.amdhsa_dx10_clamp 1
		.amdhsa_ieee_mode 1
		.amdhsa_fp16_overflow 0
		.amdhsa_workgroup_processor_mode 1
		.amdhsa_memory_ordered 1
		.amdhsa_forward_progress 0
		.amdhsa_shared_vgpr_count 0
		.amdhsa_exception_fp_ieee_invalid_op 0
		.amdhsa_exception_fp_denorm_src 0
		.amdhsa_exception_fp_ieee_div_zero 0
		.amdhsa_exception_fp_ieee_overflow 0
		.amdhsa_exception_fp_ieee_underflow 0
		.amdhsa_exception_fp_ieee_inexact 0
		.amdhsa_exception_int_div_zero 0
	.end_amdhsa_kernel
	.section	.text._ZN7rocprim17ROCPRIM_400000_NS6detail17trampoline_kernelINS0_13select_configILj256ELj13ELNS0_17block_load_methodE3ELS4_3ELS4_3ELNS0_20block_scan_algorithmE0ELj4294967295EEENS1_25partition_config_selectorILNS1_17partition_subalgoE3EjNS0_10empty_typeEbEEZZNS1_14partition_implILS8_3ELb0ES6_jNS0_17counting_iteratorIjlEEPS9_SE_NS0_5tupleIJPjSE_EEENSF_IJSE_SE_EEES9_SG_JZNS1_25segmented_radix_sort_implINS0_14default_configELb0EPK12hip_bfloat16PSL_PKlPlN2at6native12_GLOBAL__N_18offset_tEEE10hipError_tPvRmT1_PNSt15iterator_traitsISZ_E10value_typeET2_T3_PNS10_IS15_E10value_typeET4_jRbjT5_S1B_jjP12ihipStream_tbEUljE_EEESW_SX_SY_S15_S19_S1B_T6_T7_T9_mT8_S1D_bDpT10_ENKUlT_T0_E_clISt17integral_constantIbLb0EES1Q_EEDaS1L_S1M_EUlS1L_E_NS1_11comp_targetILNS1_3genE4ELNS1_11target_archE910ELNS1_3gpuE8ELNS1_3repE0EEENS1_30default_config_static_selectorELNS0_4arch9wavefront6targetE0EEEvSZ_,"axG",@progbits,_ZN7rocprim17ROCPRIM_400000_NS6detail17trampoline_kernelINS0_13select_configILj256ELj13ELNS0_17block_load_methodE3ELS4_3ELS4_3ELNS0_20block_scan_algorithmE0ELj4294967295EEENS1_25partition_config_selectorILNS1_17partition_subalgoE3EjNS0_10empty_typeEbEEZZNS1_14partition_implILS8_3ELb0ES6_jNS0_17counting_iteratorIjlEEPS9_SE_NS0_5tupleIJPjSE_EEENSF_IJSE_SE_EEES9_SG_JZNS1_25segmented_radix_sort_implINS0_14default_configELb0EPK12hip_bfloat16PSL_PKlPlN2at6native12_GLOBAL__N_18offset_tEEE10hipError_tPvRmT1_PNSt15iterator_traitsISZ_E10value_typeET2_T3_PNS10_IS15_E10value_typeET4_jRbjT5_S1B_jjP12ihipStream_tbEUljE_EEESW_SX_SY_S15_S19_S1B_T6_T7_T9_mT8_S1D_bDpT10_ENKUlT_T0_E_clISt17integral_constantIbLb0EES1Q_EEDaS1L_S1M_EUlS1L_E_NS1_11comp_targetILNS1_3genE4ELNS1_11target_archE910ELNS1_3gpuE8ELNS1_3repE0EEENS1_30default_config_static_selectorELNS0_4arch9wavefront6targetE0EEEvSZ_,comdat
.Lfunc_end2019:
	.size	_ZN7rocprim17ROCPRIM_400000_NS6detail17trampoline_kernelINS0_13select_configILj256ELj13ELNS0_17block_load_methodE3ELS4_3ELS4_3ELNS0_20block_scan_algorithmE0ELj4294967295EEENS1_25partition_config_selectorILNS1_17partition_subalgoE3EjNS0_10empty_typeEbEEZZNS1_14partition_implILS8_3ELb0ES6_jNS0_17counting_iteratorIjlEEPS9_SE_NS0_5tupleIJPjSE_EEENSF_IJSE_SE_EEES9_SG_JZNS1_25segmented_radix_sort_implINS0_14default_configELb0EPK12hip_bfloat16PSL_PKlPlN2at6native12_GLOBAL__N_18offset_tEEE10hipError_tPvRmT1_PNSt15iterator_traitsISZ_E10value_typeET2_T3_PNS10_IS15_E10value_typeET4_jRbjT5_S1B_jjP12ihipStream_tbEUljE_EEESW_SX_SY_S15_S19_S1B_T6_T7_T9_mT8_S1D_bDpT10_ENKUlT_T0_E_clISt17integral_constantIbLb0EES1Q_EEDaS1L_S1M_EUlS1L_E_NS1_11comp_targetILNS1_3genE4ELNS1_11target_archE910ELNS1_3gpuE8ELNS1_3repE0EEENS1_30default_config_static_selectorELNS0_4arch9wavefront6targetE0EEEvSZ_, .Lfunc_end2019-_ZN7rocprim17ROCPRIM_400000_NS6detail17trampoline_kernelINS0_13select_configILj256ELj13ELNS0_17block_load_methodE3ELS4_3ELS4_3ELNS0_20block_scan_algorithmE0ELj4294967295EEENS1_25partition_config_selectorILNS1_17partition_subalgoE3EjNS0_10empty_typeEbEEZZNS1_14partition_implILS8_3ELb0ES6_jNS0_17counting_iteratorIjlEEPS9_SE_NS0_5tupleIJPjSE_EEENSF_IJSE_SE_EEES9_SG_JZNS1_25segmented_radix_sort_implINS0_14default_configELb0EPK12hip_bfloat16PSL_PKlPlN2at6native12_GLOBAL__N_18offset_tEEE10hipError_tPvRmT1_PNSt15iterator_traitsISZ_E10value_typeET2_T3_PNS10_IS15_E10value_typeET4_jRbjT5_S1B_jjP12ihipStream_tbEUljE_EEESW_SX_SY_S15_S19_S1B_T6_T7_T9_mT8_S1D_bDpT10_ENKUlT_T0_E_clISt17integral_constantIbLb0EES1Q_EEDaS1L_S1M_EUlS1L_E_NS1_11comp_targetILNS1_3genE4ELNS1_11target_archE910ELNS1_3gpuE8ELNS1_3repE0EEENS1_30default_config_static_selectorELNS0_4arch9wavefront6targetE0EEEvSZ_
                                        ; -- End function
	.section	.AMDGPU.csdata,"",@progbits
; Kernel info:
; codeLenInByte = 0
; NumSgprs: 0
; NumVgprs: 0
; ScratchSize: 0
; MemoryBound: 0
; FloatMode: 240
; IeeeMode: 1
; LDSByteSize: 0 bytes/workgroup (compile time only)
; SGPRBlocks: 0
; VGPRBlocks: 0
; NumSGPRsForWavesPerEU: 1
; NumVGPRsForWavesPerEU: 1
; Occupancy: 16
; WaveLimiterHint : 0
; COMPUTE_PGM_RSRC2:SCRATCH_EN: 0
; COMPUTE_PGM_RSRC2:USER_SGPR: 15
; COMPUTE_PGM_RSRC2:TRAP_HANDLER: 0
; COMPUTE_PGM_RSRC2:TGID_X_EN: 1
; COMPUTE_PGM_RSRC2:TGID_Y_EN: 0
; COMPUTE_PGM_RSRC2:TGID_Z_EN: 0
; COMPUTE_PGM_RSRC2:TIDIG_COMP_CNT: 0
	.section	.text._ZN7rocprim17ROCPRIM_400000_NS6detail17trampoline_kernelINS0_13select_configILj256ELj13ELNS0_17block_load_methodE3ELS4_3ELS4_3ELNS0_20block_scan_algorithmE0ELj4294967295EEENS1_25partition_config_selectorILNS1_17partition_subalgoE3EjNS0_10empty_typeEbEEZZNS1_14partition_implILS8_3ELb0ES6_jNS0_17counting_iteratorIjlEEPS9_SE_NS0_5tupleIJPjSE_EEENSF_IJSE_SE_EEES9_SG_JZNS1_25segmented_radix_sort_implINS0_14default_configELb0EPK12hip_bfloat16PSL_PKlPlN2at6native12_GLOBAL__N_18offset_tEEE10hipError_tPvRmT1_PNSt15iterator_traitsISZ_E10value_typeET2_T3_PNS10_IS15_E10value_typeET4_jRbjT5_S1B_jjP12ihipStream_tbEUljE_EEESW_SX_SY_S15_S19_S1B_T6_T7_T9_mT8_S1D_bDpT10_ENKUlT_T0_E_clISt17integral_constantIbLb0EES1Q_EEDaS1L_S1M_EUlS1L_E_NS1_11comp_targetILNS1_3genE3ELNS1_11target_archE908ELNS1_3gpuE7ELNS1_3repE0EEENS1_30default_config_static_selectorELNS0_4arch9wavefront6targetE0EEEvSZ_,"axG",@progbits,_ZN7rocprim17ROCPRIM_400000_NS6detail17trampoline_kernelINS0_13select_configILj256ELj13ELNS0_17block_load_methodE3ELS4_3ELS4_3ELNS0_20block_scan_algorithmE0ELj4294967295EEENS1_25partition_config_selectorILNS1_17partition_subalgoE3EjNS0_10empty_typeEbEEZZNS1_14partition_implILS8_3ELb0ES6_jNS0_17counting_iteratorIjlEEPS9_SE_NS0_5tupleIJPjSE_EEENSF_IJSE_SE_EEES9_SG_JZNS1_25segmented_radix_sort_implINS0_14default_configELb0EPK12hip_bfloat16PSL_PKlPlN2at6native12_GLOBAL__N_18offset_tEEE10hipError_tPvRmT1_PNSt15iterator_traitsISZ_E10value_typeET2_T3_PNS10_IS15_E10value_typeET4_jRbjT5_S1B_jjP12ihipStream_tbEUljE_EEESW_SX_SY_S15_S19_S1B_T6_T7_T9_mT8_S1D_bDpT10_ENKUlT_T0_E_clISt17integral_constantIbLb0EES1Q_EEDaS1L_S1M_EUlS1L_E_NS1_11comp_targetILNS1_3genE3ELNS1_11target_archE908ELNS1_3gpuE7ELNS1_3repE0EEENS1_30default_config_static_selectorELNS0_4arch9wavefront6targetE0EEEvSZ_,comdat
	.globl	_ZN7rocprim17ROCPRIM_400000_NS6detail17trampoline_kernelINS0_13select_configILj256ELj13ELNS0_17block_load_methodE3ELS4_3ELS4_3ELNS0_20block_scan_algorithmE0ELj4294967295EEENS1_25partition_config_selectorILNS1_17partition_subalgoE3EjNS0_10empty_typeEbEEZZNS1_14partition_implILS8_3ELb0ES6_jNS0_17counting_iteratorIjlEEPS9_SE_NS0_5tupleIJPjSE_EEENSF_IJSE_SE_EEES9_SG_JZNS1_25segmented_radix_sort_implINS0_14default_configELb0EPK12hip_bfloat16PSL_PKlPlN2at6native12_GLOBAL__N_18offset_tEEE10hipError_tPvRmT1_PNSt15iterator_traitsISZ_E10value_typeET2_T3_PNS10_IS15_E10value_typeET4_jRbjT5_S1B_jjP12ihipStream_tbEUljE_EEESW_SX_SY_S15_S19_S1B_T6_T7_T9_mT8_S1D_bDpT10_ENKUlT_T0_E_clISt17integral_constantIbLb0EES1Q_EEDaS1L_S1M_EUlS1L_E_NS1_11comp_targetILNS1_3genE3ELNS1_11target_archE908ELNS1_3gpuE7ELNS1_3repE0EEENS1_30default_config_static_selectorELNS0_4arch9wavefront6targetE0EEEvSZ_ ; -- Begin function _ZN7rocprim17ROCPRIM_400000_NS6detail17trampoline_kernelINS0_13select_configILj256ELj13ELNS0_17block_load_methodE3ELS4_3ELS4_3ELNS0_20block_scan_algorithmE0ELj4294967295EEENS1_25partition_config_selectorILNS1_17partition_subalgoE3EjNS0_10empty_typeEbEEZZNS1_14partition_implILS8_3ELb0ES6_jNS0_17counting_iteratorIjlEEPS9_SE_NS0_5tupleIJPjSE_EEENSF_IJSE_SE_EEES9_SG_JZNS1_25segmented_radix_sort_implINS0_14default_configELb0EPK12hip_bfloat16PSL_PKlPlN2at6native12_GLOBAL__N_18offset_tEEE10hipError_tPvRmT1_PNSt15iterator_traitsISZ_E10value_typeET2_T3_PNS10_IS15_E10value_typeET4_jRbjT5_S1B_jjP12ihipStream_tbEUljE_EEESW_SX_SY_S15_S19_S1B_T6_T7_T9_mT8_S1D_bDpT10_ENKUlT_T0_E_clISt17integral_constantIbLb0EES1Q_EEDaS1L_S1M_EUlS1L_E_NS1_11comp_targetILNS1_3genE3ELNS1_11target_archE908ELNS1_3gpuE7ELNS1_3repE0EEENS1_30default_config_static_selectorELNS0_4arch9wavefront6targetE0EEEvSZ_
	.p2align	8
	.type	_ZN7rocprim17ROCPRIM_400000_NS6detail17trampoline_kernelINS0_13select_configILj256ELj13ELNS0_17block_load_methodE3ELS4_3ELS4_3ELNS0_20block_scan_algorithmE0ELj4294967295EEENS1_25partition_config_selectorILNS1_17partition_subalgoE3EjNS0_10empty_typeEbEEZZNS1_14partition_implILS8_3ELb0ES6_jNS0_17counting_iteratorIjlEEPS9_SE_NS0_5tupleIJPjSE_EEENSF_IJSE_SE_EEES9_SG_JZNS1_25segmented_radix_sort_implINS0_14default_configELb0EPK12hip_bfloat16PSL_PKlPlN2at6native12_GLOBAL__N_18offset_tEEE10hipError_tPvRmT1_PNSt15iterator_traitsISZ_E10value_typeET2_T3_PNS10_IS15_E10value_typeET4_jRbjT5_S1B_jjP12ihipStream_tbEUljE_EEESW_SX_SY_S15_S19_S1B_T6_T7_T9_mT8_S1D_bDpT10_ENKUlT_T0_E_clISt17integral_constantIbLb0EES1Q_EEDaS1L_S1M_EUlS1L_E_NS1_11comp_targetILNS1_3genE3ELNS1_11target_archE908ELNS1_3gpuE7ELNS1_3repE0EEENS1_30default_config_static_selectorELNS0_4arch9wavefront6targetE0EEEvSZ_,@function
_ZN7rocprim17ROCPRIM_400000_NS6detail17trampoline_kernelINS0_13select_configILj256ELj13ELNS0_17block_load_methodE3ELS4_3ELS4_3ELNS0_20block_scan_algorithmE0ELj4294967295EEENS1_25partition_config_selectorILNS1_17partition_subalgoE3EjNS0_10empty_typeEbEEZZNS1_14partition_implILS8_3ELb0ES6_jNS0_17counting_iteratorIjlEEPS9_SE_NS0_5tupleIJPjSE_EEENSF_IJSE_SE_EEES9_SG_JZNS1_25segmented_radix_sort_implINS0_14default_configELb0EPK12hip_bfloat16PSL_PKlPlN2at6native12_GLOBAL__N_18offset_tEEE10hipError_tPvRmT1_PNSt15iterator_traitsISZ_E10value_typeET2_T3_PNS10_IS15_E10value_typeET4_jRbjT5_S1B_jjP12ihipStream_tbEUljE_EEESW_SX_SY_S15_S19_S1B_T6_T7_T9_mT8_S1D_bDpT10_ENKUlT_T0_E_clISt17integral_constantIbLb0EES1Q_EEDaS1L_S1M_EUlS1L_E_NS1_11comp_targetILNS1_3genE3ELNS1_11target_archE908ELNS1_3gpuE7ELNS1_3repE0EEENS1_30default_config_static_selectorELNS0_4arch9wavefront6targetE0EEEvSZ_: ; @_ZN7rocprim17ROCPRIM_400000_NS6detail17trampoline_kernelINS0_13select_configILj256ELj13ELNS0_17block_load_methodE3ELS4_3ELS4_3ELNS0_20block_scan_algorithmE0ELj4294967295EEENS1_25partition_config_selectorILNS1_17partition_subalgoE3EjNS0_10empty_typeEbEEZZNS1_14partition_implILS8_3ELb0ES6_jNS0_17counting_iteratorIjlEEPS9_SE_NS0_5tupleIJPjSE_EEENSF_IJSE_SE_EEES9_SG_JZNS1_25segmented_radix_sort_implINS0_14default_configELb0EPK12hip_bfloat16PSL_PKlPlN2at6native12_GLOBAL__N_18offset_tEEE10hipError_tPvRmT1_PNSt15iterator_traitsISZ_E10value_typeET2_T3_PNS10_IS15_E10value_typeET4_jRbjT5_S1B_jjP12ihipStream_tbEUljE_EEESW_SX_SY_S15_S19_S1B_T6_T7_T9_mT8_S1D_bDpT10_ENKUlT_T0_E_clISt17integral_constantIbLb0EES1Q_EEDaS1L_S1M_EUlS1L_E_NS1_11comp_targetILNS1_3genE3ELNS1_11target_archE908ELNS1_3gpuE7ELNS1_3repE0EEENS1_30default_config_static_selectorELNS0_4arch9wavefront6targetE0EEEvSZ_
; %bb.0:
	.section	.rodata,"a",@progbits
	.p2align	6, 0x0
	.amdhsa_kernel _ZN7rocprim17ROCPRIM_400000_NS6detail17trampoline_kernelINS0_13select_configILj256ELj13ELNS0_17block_load_methodE3ELS4_3ELS4_3ELNS0_20block_scan_algorithmE0ELj4294967295EEENS1_25partition_config_selectorILNS1_17partition_subalgoE3EjNS0_10empty_typeEbEEZZNS1_14partition_implILS8_3ELb0ES6_jNS0_17counting_iteratorIjlEEPS9_SE_NS0_5tupleIJPjSE_EEENSF_IJSE_SE_EEES9_SG_JZNS1_25segmented_radix_sort_implINS0_14default_configELb0EPK12hip_bfloat16PSL_PKlPlN2at6native12_GLOBAL__N_18offset_tEEE10hipError_tPvRmT1_PNSt15iterator_traitsISZ_E10value_typeET2_T3_PNS10_IS15_E10value_typeET4_jRbjT5_S1B_jjP12ihipStream_tbEUljE_EEESW_SX_SY_S15_S19_S1B_T6_T7_T9_mT8_S1D_bDpT10_ENKUlT_T0_E_clISt17integral_constantIbLb0EES1Q_EEDaS1L_S1M_EUlS1L_E_NS1_11comp_targetILNS1_3genE3ELNS1_11target_archE908ELNS1_3gpuE7ELNS1_3repE0EEENS1_30default_config_static_selectorELNS0_4arch9wavefront6targetE0EEEvSZ_
		.amdhsa_group_segment_fixed_size 0
		.amdhsa_private_segment_fixed_size 0
		.amdhsa_kernarg_size 144
		.amdhsa_user_sgpr_count 15
		.amdhsa_user_sgpr_dispatch_ptr 0
		.amdhsa_user_sgpr_queue_ptr 0
		.amdhsa_user_sgpr_kernarg_segment_ptr 1
		.amdhsa_user_sgpr_dispatch_id 0
		.amdhsa_user_sgpr_private_segment_size 0
		.amdhsa_wavefront_size32 1
		.amdhsa_uses_dynamic_stack 0
		.amdhsa_enable_private_segment 0
		.amdhsa_system_sgpr_workgroup_id_x 1
		.amdhsa_system_sgpr_workgroup_id_y 0
		.amdhsa_system_sgpr_workgroup_id_z 0
		.amdhsa_system_sgpr_workgroup_info 0
		.amdhsa_system_vgpr_workitem_id 0
		.amdhsa_next_free_vgpr 1
		.amdhsa_next_free_sgpr 1
		.amdhsa_reserve_vcc 0
		.amdhsa_float_round_mode_32 0
		.amdhsa_float_round_mode_16_64 0
		.amdhsa_float_denorm_mode_32 3
		.amdhsa_float_denorm_mode_16_64 3
		.amdhsa_dx10_clamp 1
		.amdhsa_ieee_mode 1
		.amdhsa_fp16_overflow 0
		.amdhsa_workgroup_processor_mode 1
		.amdhsa_memory_ordered 1
		.amdhsa_forward_progress 0
		.amdhsa_shared_vgpr_count 0
		.amdhsa_exception_fp_ieee_invalid_op 0
		.amdhsa_exception_fp_denorm_src 0
		.amdhsa_exception_fp_ieee_div_zero 0
		.amdhsa_exception_fp_ieee_overflow 0
		.amdhsa_exception_fp_ieee_underflow 0
		.amdhsa_exception_fp_ieee_inexact 0
		.amdhsa_exception_int_div_zero 0
	.end_amdhsa_kernel
	.section	.text._ZN7rocprim17ROCPRIM_400000_NS6detail17trampoline_kernelINS0_13select_configILj256ELj13ELNS0_17block_load_methodE3ELS4_3ELS4_3ELNS0_20block_scan_algorithmE0ELj4294967295EEENS1_25partition_config_selectorILNS1_17partition_subalgoE3EjNS0_10empty_typeEbEEZZNS1_14partition_implILS8_3ELb0ES6_jNS0_17counting_iteratorIjlEEPS9_SE_NS0_5tupleIJPjSE_EEENSF_IJSE_SE_EEES9_SG_JZNS1_25segmented_radix_sort_implINS0_14default_configELb0EPK12hip_bfloat16PSL_PKlPlN2at6native12_GLOBAL__N_18offset_tEEE10hipError_tPvRmT1_PNSt15iterator_traitsISZ_E10value_typeET2_T3_PNS10_IS15_E10value_typeET4_jRbjT5_S1B_jjP12ihipStream_tbEUljE_EEESW_SX_SY_S15_S19_S1B_T6_T7_T9_mT8_S1D_bDpT10_ENKUlT_T0_E_clISt17integral_constantIbLb0EES1Q_EEDaS1L_S1M_EUlS1L_E_NS1_11comp_targetILNS1_3genE3ELNS1_11target_archE908ELNS1_3gpuE7ELNS1_3repE0EEENS1_30default_config_static_selectorELNS0_4arch9wavefront6targetE0EEEvSZ_,"axG",@progbits,_ZN7rocprim17ROCPRIM_400000_NS6detail17trampoline_kernelINS0_13select_configILj256ELj13ELNS0_17block_load_methodE3ELS4_3ELS4_3ELNS0_20block_scan_algorithmE0ELj4294967295EEENS1_25partition_config_selectorILNS1_17partition_subalgoE3EjNS0_10empty_typeEbEEZZNS1_14partition_implILS8_3ELb0ES6_jNS0_17counting_iteratorIjlEEPS9_SE_NS0_5tupleIJPjSE_EEENSF_IJSE_SE_EEES9_SG_JZNS1_25segmented_radix_sort_implINS0_14default_configELb0EPK12hip_bfloat16PSL_PKlPlN2at6native12_GLOBAL__N_18offset_tEEE10hipError_tPvRmT1_PNSt15iterator_traitsISZ_E10value_typeET2_T3_PNS10_IS15_E10value_typeET4_jRbjT5_S1B_jjP12ihipStream_tbEUljE_EEESW_SX_SY_S15_S19_S1B_T6_T7_T9_mT8_S1D_bDpT10_ENKUlT_T0_E_clISt17integral_constantIbLb0EES1Q_EEDaS1L_S1M_EUlS1L_E_NS1_11comp_targetILNS1_3genE3ELNS1_11target_archE908ELNS1_3gpuE7ELNS1_3repE0EEENS1_30default_config_static_selectorELNS0_4arch9wavefront6targetE0EEEvSZ_,comdat
.Lfunc_end2020:
	.size	_ZN7rocprim17ROCPRIM_400000_NS6detail17trampoline_kernelINS0_13select_configILj256ELj13ELNS0_17block_load_methodE3ELS4_3ELS4_3ELNS0_20block_scan_algorithmE0ELj4294967295EEENS1_25partition_config_selectorILNS1_17partition_subalgoE3EjNS0_10empty_typeEbEEZZNS1_14partition_implILS8_3ELb0ES6_jNS0_17counting_iteratorIjlEEPS9_SE_NS0_5tupleIJPjSE_EEENSF_IJSE_SE_EEES9_SG_JZNS1_25segmented_radix_sort_implINS0_14default_configELb0EPK12hip_bfloat16PSL_PKlPlN2at6native12_GLOBAL__N_18offset_tEEE10hipError_tPvRmT1_PNSt15iterator_traitsISZ_E10value_typeET2_T3_PNS10_IS15_E10value_typeET4_jRbjT5_S1B_jjP12ihipStream_tbEUljE_EEESW_SX_SY_S15_S19_S1B_T6_T7_T9_mT8_S1D_bDpT10_ENKUlT_T0_E_clISt17integral_constantIbLb0EES1Q_EEDaS1L_S1M_EUlS1L_E_NS1_11comp_targetILNS1_3genE3ELNS1_11target_archE908ELNS1_3gpuE7ELNS1_3repE0EEENS1_30default_config_static_selectorELNS0_4arch9wavefront6targetE0EEEvSZ_, .Lfunc_end2020-_ZN7rocprim17ROCPRIM_400000_NS6detail17trampoline_kernelINS0_13select_configILj256ELj13ELNS0_17block_load_methodE3ELS4_3ELS4_3ELNS0_20block_scan_algorithmE0ELj4294967295EEENS1_25partition_config_selectorILNS1_17partition_subalgoE3EjNS0_10empty_typeEbEEZZNS1_14partition_implILS8_3ELb0ES6_jNS0_17counting_iteratorIjlEEPS9_SE_NS0_5tupleIJPjSE_EEENSF_IJSE_SE_EEES9_SG_JZNS1_25segmented_radix_sort_implINS0_14default_configELb0EPK12hip_bfloat16PSL_PKlPlN2at6native12_GLOBAL__N_18offset_tEEE10hipError_tPvRmT1_PNSt15iterator_traitsISZ_E10value_typeET2_T3_PNS10_IS15_E10value_typeET4_jRbjT5_S1B_jjP12ihipStream_tbEUljE_EEESW_SX_SY_S15_S19_S1B_T6_T7_T9_mT8_S1D_bDpT10_ENKUlT_T0_E_clISt17integral_constantIbLb0EES1Q_EEDaS1L_S1M_EUlS1L_E_NS1_11comp_targetILNS1_3genE3ELNS1_11target_archE908ELNS1_3gpuE7ELNS1_3repE0EEENS1_30default_config_static_selectorELNS0_4arch9wavefront6targetE0EEEvSZ_
                                        ; -- End function
	.section	.AMDGPU.csdata,"",@progbits
; Kernel info:
; codeLenInByte = 0
; NumSgprs: 0
; NumVgprs: 0
; ScratchSize: 0
; MemoryBound: 0
; FloatMode: 240
; IeeeMode: 1
; LDSByteSize: 0 bytes/workgroup (compile time only)
; SGPRBlocks: 0
; VGPRBlocks: 0
; NumSGPRsForWavesPerEU: 1
; NumVGPRsForWavesPerEU: 1
; Occupancy: 16
; WaveLimiterHint : 0
; COMPUTE_PGM_RSRC2:SCRATCH_EN: 0
; COMPUTE_PGM_RSRC2:USER_SGPR: 15
; COMPUTE_PGM_RSRC2:TRAP_HANDLER: 0
; COMPUTE_PGM_RSRC2:TGID_X_EN: 1
; COMPUTE_PGM_RSRC2:TGID_Y_EN: 0
; COMPUTE_PGM_RSRC2:TGID_Z_EN: 0
; COMPUTE_PGM_RSRC2:TIDIG_COMP_CNT: 0
	.section	.text._ZN7rocprim17ROCPRIM_400000_NS6detail17trampoline_kernelINS0_13select_configILj256ELj13ELNS0_17block_load_methodE3ELS4_3ELS4_3ELNS0_20block_scan_algorithmE0ELj4294967295EEENS1_25partition_config_selectorILNS1_17partition_subalgoE3EjNS0_10empty_typeEbEEZZNS1_14partition_implILS8_3ELb0ES6_jNS0_17counting_iteratorIjlEEPS9_SE_NS0_5tupleIJPjSE_EEENSF_IJSE_SE_EEES9_SG_JZNS1_25segmented_radix_sort_implINS0_14default_configELb0EPK12hip_bfloat16PSL_PKlPlN2at6native12_GLOBAL__N_18offset_tEEE10hipError_tPvRmT1_PNSt15iterator_traitsISZ_E10value_typeET2_T3_PNS10_IS15_E10value_typeET4_jRbjT5_S1B_jjP12ihipStream_tbEUljE_EEESW_SX_SY_S15_S19_S1B_T6_T7_T9_mT8_S1D_bDpT10_ENKUlT_T0_E_clISt17integral_constantIbLb0EES1Q_EEDaS1L_S1M_EUlS1L_E_NS1_11comp_targetILNS1_3genE2ELNS1_11target_archE906ELNS1_3gpuE6ELNS1_3repE0EEENS1_30default_config_static_selectorELNS0_4arch9wavefront6targetE0EEEvSZ_,"axG",@progbits,_ZN7rocprim17ROCPRIM_400000_NS6detail17trampoline_kernelINS0_13select_configILj256ELj13ELNS0_17block_load_methodE3ELS4_3ELS4_3ELNS0_20block_scan_algorithmE0ELj4294967295EEENS1_25partition_config_selectorILNS1_17partition_subalgoE3EjNS0_10empty_typeEbEEZZNS1_14partition_implILS8_3ELb0ES6_jNS0_17counting_iteratorIjlEEPS9_SE_NS0_5tupleIJPjSE_EEENSF_IJSE_SE_EEES9_SG_JZNS1_25segmented_radix_sort_implINS0_14default_configELb0EPK12hip_bfloat16PSL_PKlPlN2at6native12_GLOBAL__N_18offset_tEEE10hipError_tPvRmT1_PNSt15iterator_traitsISZ_E10value_typeET2_T3_PNS10_IS15_E10value_typeET4_jRbjT5_S1B_jjP12ihipStream_tbEUljE_EEESW_SX_SY_S15_S19_S1B_T6_T7_T9_mT8_S1D_bDpT10_ENKUlT_T0_E_clISt17integral_constantIbLb0EES1Q_EEDaS1L_S1M_EUlS1L_E_NS1_11comp_targetILNS1_3genE2ELNS1_11target_archE906ELNS1_3gpuE6ELNS1_3repE0EEENS1_30default_config_static_selectorELNS0_4arch9wavefront6targetE0EEEvSZ_,comdat
	.globl	_ZN7rocprim17ROCPRIM_400000_NS6detail17trampoline_kernelINS0_13select_configILj256ELj13ELNS0_17block_load_methodE3ELS4_3ELS4_3ELNS0_20block_scan_algorithmE0ELj4294967295EEENS1_25partition_config_selectorILNS1_17partition_subalgoE3EjNS0_10empty_typeEbEEZZNS1_14partition_implILS8_3ELb0ES6_jNS0_17counting_iteratorIjlEEPS9_SE_NS0_5tupleIJPjSE_EEENSF_IJSE_SE_EEES9_SG_JZNS1_25segmented_radix_sort_implINS0_14default_configELb0EPK12hip_bfloat16PSL_PKlPlN2at6native12_GLOBAL__N_18offset_tEEE10hipError_tPvRmT1_PNSt15iterator_traitsISZ_E10value_typeET2_T3_PNS10_IS15_E10value_typeET4_jRbjT5_S1B_jjP12ihipStream_tbEUljE_EEESW_SX_SY_S15_S19_S1B_T6_T7_T9_mT8_S1D_bDpT10_ENKUlT_T0_E_clISt17integral_constantIbLb0EES1Q_EEDaS1L_S1M_EUlS1L_E_NS1_11comp_targetILNS1_3genE2ELNS1_11target_archE906ELNS1_3gpuE6ELNS1_3repE0EEENS1_30default_config_static_selectorELNS0_4arch9wavefront6targetE0EEEvSZ_ ; -- Begin function _ZN7rocprim17ROCPRIM_400000_NS6detail17trampoline_kernelINS0_13select_configILj256ELj13ELNS0_17block_load_methodE3ELS4_3ELS4_3ELNS0_20block_scan_algorithmE0ELj4294967295EEENS1_25partition_config_selectorILNS1_17partition_subalgoE3EjNS0_10empty_typeEbEEZZNS1_14partition_implILS8_3ELb0ES6_jNS0_17counting_iteratorIjlEEPS9_SE_NS0_5tupleIJPjSE_EEENSF_IJSE_SE_EEES9_SG_JZNS1_25segmented_radix_sort_implINS0_14default_configELb0EPK12hip_bfloat16PSL_PKlPlN2at6native12_GLOBAL__N_18offset_tEEE10hipError_tPvRmT1_PNSt15iterator_traitsISZ_E10value_typeET2_T3_PNS10_IS15_E10value_typeET4_jRbjT5_S1B_jjP12ihipStream_tbEUljE_EEESW_SX_SY_S15_S19_S1B_T6_T7_T9_mT8_S1D_bDpT10_ENKUlT_T0_E_clISt17integral_constantIbLb0EES1Q_EEDaS1L_S1M_EUlS1L_E_NS1_11comp_targetILNS1_3genE2ELNS1_11target_archE906ELNS1_3gpuE6ELNS1_3repE0EEENS1_30default_config_static_selectorELNS0_4arch9wavefront6targetE0EEEvSZ_
	.p2align	8
	.type	_ZN7rocprim17ROCPRIM_400000_NS6detail17trampoline_kernelINS0_13select_configILj256ELj13ELNS0_17block_load_methodE3ELS4_3ELS4_3ELNS0_20block_scan_algorithmE0ELj4294967295EEENS1_25partition_config_selectorILNS1_17partition_subalgoE3EjNS0_10empty_typeEbEEZZNS1_14partition_implILS8_3ELb0ES6_jNS0_17counting_iteratorIjlEEPS9_SE_NS0_5tupleIJPjSE_EEENSF_IJSE_SE_EEES9_SG_JZNS1_25segmented_radix_sort_implINS0_14default_configELb0EPK12hip_bfloat16PSL_PKlPlN2at6native12_GLOBAL__N_18offset_tEEE10hipError_tPvRmT1_PNSt15iterator_traitsISZ_E10value_typeET2_T3_PNS10_IS15_E10value_typeET4_jRbjT5_S1B_jjP12ihipStream_tbEUljE_EEESW_SX_SY_S15_S19_S1B_T6_T7_T9_mT8_S1D_bDpT10_ENKUlT_T0_E_clISt17integral_constantIbLb0EES1Q_EEDaS1L_S1M_EUlS1L_E_NS1_11comp_targetILNS1_3genE2ELNS1_11target_archE906ELNS1_3gpuE6ELNS1_3repE0EEENS1_30default_config_static_selectorELNS0_4arch9wavefront6targetE0EEEvSZ_,@function
_ZN7rocprim17ROCPRIM_400000_NS6detail17trampoline_kernelINS0_13select_configILj256ELj13ELNS0_17block_load_methodE3ELS4_3ELS4_3ELNS0_20block_scan_algorithmE0ELj4294967295EEENS1_25partition_config_selectorILNS1_17partition_subalgoE3EjNS0_10empty_typeEbEEZZNS1_14partition_implILS8_3ELb0ES6_jNS0_17counting_iteratorIjlEEPS9_SE_NS0_5tupleIJPjSE_EEENSF_IJSE_SE_EEES9_SG_JZNS1_25segmented_radix_sort_implINS0_14default_configELb0EPK12hip_bfloat16PSL_PKlPlN2at6native12_GLOBAL__N_18offset_tEEE10hipError_tPvRmT1_PNSt15iterator_traitsISZ_E10value_typeET2_T3_PNS10_IS15_E10value_typeET4_jRbjT5_S1B_jjP12ihipStream_tbEUljE_EEESW_SX_SY_S15_S19_S1B_T6_T7_T9_mT8_S1D_bDpT10_ENKUlT_T0_E_clISt17integral_constantIbLb0EES1Q_EEDaS1L_S1M_EUlS1L_E_NS1_11comp_targetILNS1_3genE2ELNS1_11target_archE906ELNS1_3gpuE6ELNS1_3repE0EEENS1_30default_config_static_selectorELNS0_4arch9wavefront6targetE0EEEvSZ_: ; @_ZN7rocprim17ROCPRIM_400000_NS6detail17trampoline_kernelINS0_13select_configILj256ELj13ELNS0_17block_load_methodE3ELS4_3ELS4_3ELNS0_20block_scan_algorithmE0ELj4294967295EEENS1_25partition_config_selectorILNS1_17partition_subalgoE3EjNS0_10empty_typeEbEEZZNS1_14partition_implILS8_3ELb0ES6_jNS0_17counting_iteratorIjlEEPS9_SE_NS0_5tupleIJPjSE_EEENSF_IJSE_SE_EEES9_SG_JZNS1_25segmented_radix_sort_implINS0_14default_configELb0EPK12hip_bfloat16PSL_PKlPlN2at6native12_GLOBAL__N_18offset_tEEE10hipError_tPvRmT1_PNSt15iterator_traitsISZ_E10value_typeET2_T3_PNS10_IS15_E10value_typeET4_jRbjT5_S1B_jjP12ihipStream_tbEUljE_EEESW_SX_SY_S15_S19_S1B_T6_T7_T9_mT8_S1D_bDpT10_ENKUlT_T0_E_clISt17integral_constantIbLb0EES1Q_EEDaS1L_S1M_EUlS1L_E_NS1_11comp_targetILNS1_3genE2ELNS1_11target_archE906ELNS1_3gpuE6ELNS1_3repE0EEENS1_30default_config_static_selectorELNS0_4arch9wavefront6targetE0EEEvSZ_
; %bb.0:
	.section	.rodata,"a",@progbits
	.p2align	6, 0x0
	.amdhsa_kernel _ZN7rocprim17ROCPRIM_400000_NS6detail17trampoline_kernelINS0_13select_configILj256ELj13ELNS0_17block_load_methodE3ELS4_3ELS4_3ELNS0_20block_scan_algorithmE0ELj4294967295EEENS1_25partition_config_selectorILNS1_17partition_subalgoE3EjNS0_10empty_typeEbEEZZNS1_14partition_implILS8_3ELb0ES6_jNS0_17counting_iteratorIjlEEPS9_SE_NS0_5tupleIJPjSE_EEENSF_IJSE_SE_EEES9_SG_JZNS1_25segmented_radix_sort_implINS0_14default_configELb0EPK12hip_bfloat16PSL_PKlPlN2at6native12_GLOBAL__N_18offset_tEEE10hipError_tPvRmT1_PNSt15iterator_traitsISZ_E10value_typeET2_T3_PNS10_IS15_E10value_typeET4_jRbjT5_S1B_jjP12ihipStream_tbEUljE_EEESW_SX_SY_S15_S19_S1B_T6_T7_T9_mT8_S1D_bDpT10_ENKUlT_T0_E_clISt17integral_constantIbLb0EES1Q_EEDaS1L_S1M_EUlS1L_E_NS1_11comp_targetILNS1_3genE2ELNS1_11target_archE906ELNS1_3gpuE6ELNS1_3repE0EEENS1_30default_config_static_selectorELNS0_4arch9wavefront6targetE0EEEvSZ_
		.amdhsa_group_segment_fixed_size 0
		.amdhsa_private_segment_fixed_size 0
		.amdhsa_kernarg_size 144
		.amdhsa_user_sgpr_count 15
		.amdhsa_user_sgpr_dispatch_ptr 0
		.amdhsa_user_sgpr_queue_ptr 0
		.amdhsa_user_sgpr_kernarg_segment_ptr 1
		.amdhsa_user_sgpr_dispatch_id 0
		.amdhsa_user_sgpr_private_segment_size 0
		.amdhsa_wavefront_size32 1
		.amdhsa_uses_dynamic_stack 0
		.amdhsa_enable_private_segment 0
		.amdhsa_system_sgpr_workgroup_id_x 1
		.amdhsa_system_sgpr_workgroup_id_y 0
		.amdhsa_system_sgpr_workgroup_id_z 0
		.amdhsa_system_sgpr_workgroup_info 0
		.amdhsa_system_vgpr_workitem_id 0
		.amdhsa_next_free_vgpr 1
		.amdhsa_next_free_sgpr 1
		.amdhsa_reserve_vcc 0
		.amdhsa_float_round_mode_32 0
		.amdhsa_float_round_mode_16_64 0
		.amdhsa_float_denorm_mode_32 3
		.amdhsa_float_denorm_mode_16_64 3
		.amdhsa_dx10_clamp 1
		.amdhsa_ieee_mode 1
		.amdhsa_fp16_overflow 0
		.amdhsa_workgroup_processor_mode 1
		.amdhsa_memory_ordered 1
		.amdhsa_forward_progress 0
		.amdhsa_shared_vgpr_count 0
		.amdhsa_exception_fp_ieee_invalid_op 0
		.amdhsa_exception_fp_denorm_src 0
		.amdhsa_exception_fp_ieee_div_zero 0
		.amdhsa_exception_fp_ieee_overflow 0
		.amdhsa_exception_fp_ieee_underflow 0
		.amdhsa_exception_fp_ieee_inexact 0
		.amdhsa_exception_int_div_zero 0
	.end_amdhsa_kernel
	.section	.text._ZN7rocprim17ROCPRIM_400000_NS6detail17trampoline_kernelINS0_13select_configILj256ELj13ELNS0_17block_load_methodE3ELS4_3ELS4_3ELNS0_20block_scan_algorithmE0ELj4294967295EEENS1_25partition_config_selectorILNS1_17partition_subalgoE3EjNS0_10empty_typeEbEEZZNS1_14partition_implILS8_3ELb0ES6_jNS0_17counting_iteratorIjlEEPS9_SE_NS0_5tupleIJPjSE_EEENSF_IJSE_SE_EEES9_SG_JZNS1_25segmented_radix_sort_implINS0_14default_configELb0EPK12hip_bfloat16PSL_PKlPlN2at6native12_GLOBAL__N_18offset_tEEE10hipError_tPvRmT1_PNSt15iterator_traitsISZ_E10value_typeET2_T3_PNS10_IS15_E10value_typeET4_jRbjT5_S1B_jjP12ihipStream_tbEUljE_EEESW_SX_SY_S15_S19_S1B_T6_T7_T9_mT8_S1D_bDpT10_ENKUlT_T0_E_clISt17integral_constantIbLb0EES1Q_EEDaS1L_S1M_EUlS1L_E_NS1_11comp_targetILNS1_3genE2ELNS1_11target_archE906ELNS1_3gpuE6ELNS1_3repE0EEENS1_30default_config_static_selectorELNS0_4arch9wavefront6targetE0EEEvSZ_,"axG",@progbits,_ZN7rocprim17ROCPRIM_400000_NS6detail17trampoline_kernelINS0_13select_configILj256ELj13ELNS0_17block_load_methodE3ELS4_3ELS4_3ELNS0_20block_scan_algorithmE0ELj4294967295EEENS1_25partition_config_selectorILNS1_17partition_subalgoE3EjNS0_10empty_typeEbEEZZNS1_14partition_implILS8_3ELb0ES6_jNS0_17counting_iteratorIjlEEPS9_SE_NS0_5tupleIJPjSE_EEENSF_IJSE_SE_EEES9_SG_JZNS1_25segmented_radix_sort_implINS0_14default_configELb0EPK12hip_bfloat16PSL_PKlPlN2at6native12_GLOBAL__N_18offset_tEEE10hipError_tPvRmT1_PNSt15iterator_traitsISZ_E10value_typeET2_T3_PNS10_IS15_E10value_typeET4_jRbjT5_S1B_jjP12ihipStream_tbEUljE_EEESW_SX_SY_S15_S19_S1B_T6_T7_T9_mT8_S1D_bDpT10_ENKUlT_T0_E_clISt17integral_constantIbLb0EES1Q_EEDaS1L_S1M_EUlS1L_E_NS1_11comp_targetILNS1_3genE2ELNS1_11target_archE906ELNS1_3gpuE6ELNS1_3repE0EEENS1_30default_config_static_selectorELNS0_4arch9wavefront6targetE0EEEvSZ_,comdat
.Lfunc_end2021:
	.size	_ZN7rocprim17ROCPRIM_400000_NS6detail17trampoline_kernelINS0_13select_configILj256ELj13ELNS0_17block_load_methodE3ELS4_3ELS4_3ELNS0_20block_scan_algorithmE0ELj4294967295EEENS1_25partition_config_selectorILNS1_17partition_subalgoE3EjNS0_10empty_typeEbEEZZNS1_14partition_implILS8_3ELb0ES6_jNS0_17counting_iteratorIjlEEPS9_SE_NS0_5tupleIJPjSE_EEENSF_IJSE_SE_EEES9_SG_JZNS1_25segmented_radix_sort_implINS0_14default_configELb0EPK12hip_bfloat16PSL_PKlPlN2at6native12_GLOBAL__N_18offset_tEEE10hipError_tPvRmT1_PNSt15iterator_traitsISZ_E10value_typeET2_T3_PNS10_IS15_E10value_typeET4_jRbjT5_S1B_jjP12ihipStream_tbEUljE_EEESW_SX_SY_S15_S19_S1B_T6_T7_T9_mT8_S1D_bDpT10_ENKUlT_T0_E_clISt17integral_constantIbLb0EES1Q_EEDaS1L_S1M_EUlS1L_E_NS1_11comp_targetILNS1_3genE2ELNS1_11target_archE906ELNS1_3gpuE6ELNS1_3repE0EEENS1_30default_config_static_selectorELNS0_4arch9wavefront6targetE0EEEvSZ_, .Lfunc_end2021-_ZN7rocprim17ROCPRIM_400000_NS6detail17trampoline_kernelINS0_13select_configILj256ELj13ELNS0_17block_load_methodE3ELS4_3ELS4_3ELNS0_20block_scan_algorithmE0ELj4294967295EEENS1_25partition_config_selectorILNS1_17partition_subalgoE3EjNS0_10empty_typeEbEEZZNS1_14partition_implILS8_3ELb0ES6_jNS0_17counting_iteratorIjlEEPS9_SE_NS0_5tupleIJPjSE_EEENSF_IJSE_SE_EEES9_SG_JZNS1_25segmented_radix_sort_implINS0_14default_configELb0EPK12hip_bfloat16PSL_PKlPlN2at6native12_GLOBAL__N_18offset_tEEE10hipError_tPvRmT1_PNSt15iterator_traitsISZ_E10value_typeET2_T3_PNS10_IS15_E10value_typeET4_jRbjT5_S1B_jjP12ihipStream_tbEUljE_EEESW_SX_SY_S15_S19_S1B_T6_T7_T9_mT8_S1D_bDpT10_ENKUlT_T0_E_clISt17integral_constantIbLb0EES1Q_EEDaS1L_S1M_EUlS1L_E_NS1_11comp_targetILNS1_3genE2ELNS1_11target_archE906ELNS1_3gpuE6ELNS1_3repE0EEENS1_30default_config_static_selectorELNS0_4arch9wavefront6targetE0EEEvSZ_
                                        ; -- End function
	.section	.AMDGPU.csdata,"",@progbits
; Kernel info:
; codeLenInByte = 0
; NumSgprs: 0
; NumVgprs: 0
; ScratchSize: 0
; MemoryBound: 0
; FloatMode: 240
; IeeeMode: 1
; LDSByteSize: 0 bytes/workgroup (compile time only)
; SGPRBlocks: 0
; VGPRBlocks: 0
; NumSGPRsForWavesPerEU: 1
; NumVGPRsForWavesPerEU: 1
; Occupancy: 16
; WaveLimiterHint : 0
; COMPUTE_PGM_RSRC2:SCRATCH_EN: 0
; COMPUTE_PGM_RSRC2:USER_SGPR: 15
; COMPUTE_PGM_RSRC2:TRAP_HANDLER: 0
; COMPUTE_PGM_RSRC2:TGID_X_EN: 1
; COMPUTE_PGM_RSRC2:TGID_Y_EN: 0
; COMPUTE_PGM_RSRC2:TGID_Z_EN: 0
; COMPUTE_PGM_RSRC2:TIDIG_COMP_CNT: 0
	.section	.text._ZN7rocprim17ROCPRIM_400000_NS6detail17trampoline_kernelINS0_13select_configILj256ELj13ELNS0_17block_load_methodE3ELS4_3ELS4_3ELNS0_20block_scan_algorithmE0ELj4294967295EEENS1_25partition_config_selectorILNS1_17partition_subalgoE3EjNS0_10empty_typeEbEEZZNS1_14partition_implILS8_3ELb0ES6_jNS0_17counting_iteratorIjlEEPS9_SE_NS0_5tupleIJPjSE_EEENSF_IJSE_SE_EEES9_SG_JZNS1_25segmented_radix_sort_implINS0_14default_configELb0EPK12hip_bfloat16PSL_PKlPlN2at6native12_GLOBAL__N_18offset_tEEE10hipError_tPvRmT1_PNSt15iterator_traitsISZ_E10value_typeET2_T3_PNS10_IS15_E10value_typeET4_jRbjT5_S1B_jjP12ihipStream_tbEUljE_EEESW_SX_SY_S15_S19_S1B_T6_T7_T9_mT8_S1D_bDpT10_ENKUlT_T0_E_clISt17integral_constantIbLb0EES1Q_EEDaS1L_S1M_EUlS1L_E_NS1_11comp_targetILNS1_3genE10ELNS1_11target_archE1200ELNS1_3gpuE4ELNS1_3repE0EEENS1_30default_config_static_selectorELNS0_4arch9wavefront6targetE0EEEvSZ_,"axG",@progbits,_ZN7rocprim17ROCPRIM_400000_NS6detail17trampoline_kernelINS0_13select_configILj256ELj13ELNS0_17block_load_methodE3ELS4_3ELS4_3ELNS0_20block_scan_algorithmE0ELj4294967295EEENS1_25partition_config_selectorILNS1_17partition_subalgoE3EjNS0_10empty_typeEbEEZZNS1_14partition_implILS8_3ELb0ES6_jNS0_17counting_iteratorIjlEEPS9_SE_NS0_5tupleIJPjSE_EEENSF_IJSE_SE_EEES9_SG_JZNS1_25segmented_radix_sort_implINS0_14default_configELb0EPK12hip_bfloat16PSL_PKlPlN2at6native12_GLOBAL__N_18offset_tEEE10hipError_tPvRmT1_PNSt15iterator_traitsISZ_E10value_typeET2_T3_PNS10_IS15_E10value_typeET4_jRbjT5_S1B_jjP12ihipStream_tbEUljE_EEESW_SX_SY_S15_S19_S1B_T6_T7_T9_mT8_S1D_bDpT10_ENKUlT_T0_E_clISt17integral_constantIbLb0EES1Q_EEDaS1L_S1M_EUlS1L_E_NS1_11comp_targetILNS1_3genE10ELNS1_11target_archE1200ELNS1_3gpuE4ELNS1_3repE0EEENS1_30default_config_static_selectorELNS0_4arch9wavefront6targetE0EEEvSZ_,comdat
	.globl	_ZN7rocprim17ROCPRIM_400000_NS6detail17trampoline_kernelINS0_13select_configILj256ELj13ELNS0_17block_load_methodE3ELS4_3ELS4_3ELNS0_20block_scan_algorithmE0ELj4294967295EEENS1_25partition_config_selectorILNS1_17partition_subalgoE3EjNS0_10empty_typeEbEEZZNS1_14partition_implILS8_3ELb0ES6_jNS0_17counting_iteratorIjlEEPS9_SE_NS0_5tupleIJPjSE_EEENSF_IJSE_SE_EEES9_SG_JZNS1_25segmented_radix_sort_implINS0_14default_configELb0EPK12hip_bfloat16PSL_PKlPlN2at6native12_GLOBAL__N_18offset_tEEE10hipError_tPvRmT1_PNSt15iterator_traitsISZ_E10value_typeET2_T3_PNS10_IS15_E10value_typeET4_jRbjT5_S1B_jjP12ihipStream_tbEUljE_EEESW_SX_SY_S15_S19_S1B_T6_T7_T9_mT8_S1D_bDpT10_ENKUlT_T0_E_clISt17integral_constantIbLb0EES1Q_EEDaS1L_S1M_EUlS1L_E_NS1_11comp_targetILNS1_3genE10ELNS1_11target_archE1200ELNS1_3gpuE4ELNS1_3repE0EEENS1_30default_config_static_selectorELNS0_4arch9wavefront6targetE0EEEvSZ_ ; -- Begin function _ZN7rocprim17ROCPRIM_400000_NS6detail17trampoline_kernelINS0_13select_configILj256ELj13ELNS0_17block_load_methodE3ELS4_3ELS4_3ELNS0_20block_scan_algorithmE0ELj4294967295EEENS1_25partition_config_selectorILNS1_17partition_subalgoE3EjNS0_10empty_typeEbEEZZNS1_14partition_implILS8_3ELb0ES6_jNS0_17counting_iteratorIjlEEPS9_SE_NS0_5tupleIJPjSE_EEENSF_IJSE_SE_EEES9_SG_JZNS1_25segmented_radix_sort_implINS0_14default_configELb0EPK12hip_bfloat16PSL_PKlPlN2at6native12_GLOBAL__N_18offset_tEEE10hipError_tPvRmT1_PNSt15iterator_traitsISZ_E10value_typeET2_T3_PNS10_IS15_E10value_typeET4_jRbjT5_S1B_jjP12ihipStream_tbEUljE_EEESW_SX_SY_S15_S19_S1B_T6_T7_T9_mT8_S1D_bDpT10_ENKUlT_T0_E_clISt17integral_constantIbLb0EES1Q_EEDaS1L_S1M_EUlS1L_E_NS1_11comp_targetILNS1_3genE10ELNS1_11target_archE1200ELNS1_3gpuE4ELNS1_3repE0EEENS1_30default_config_static_selectorELNS0_4arch9wavefront6targetE0EEEvSZ_
	.p2align	8
	.type	_ZN7rocprim17ROCPRIM_400000_NS6detail17trampoline_kernelINS0_13select_configILj256ELj13ELNS0_17block_load_methodE3ELS4_3ELS4_3ELNS0_20block_scan_algorithmE0ELj4294967295EEENS1_25partition_config_selectorILNS1_17partition_subalgoE3EjNS0_10empty_typeEbEEZZNS1_14partition_implILS8_3ELb0ES6_jNS0_17counting_iteratorIjlEEPS9_SE_NS0_5tupleIJPjSE_EEENSF_IJSE_SE_EEES9_SG_JZNS1_25segmented_radix_sort_implINS0_14default_configELb0EPK12hip_bfloat16PSL_PKlPlN2at6native12_GLOBAL__N_18offset_tEEE10hipError_tPvRmT1_PNSt15iterator_traitsISZ_E10value_typeET2_T3_PNS10_IS15_E10value_typeET4_jRbjT5_S1B_jjP12ihipStream_tbEUljE_EEESW_SX_SY_S15_S19_S1B_T6_T7_T9_mT8_S1D_bDpT10_ENKUlT_T0_E_clISt17integral_constantIbLb0EES1Q_EEDaS1L_S1M_EUlS1L_E_NS1_11comp_targetILNS1_3genE10ELNS1_11target_archE1200ELNS1_3gpuE4ELNS1_3repE0EEENS1_30default_config_static_selectorELNS0_4arch9wavefront6targetE0EEEvSZ_,@function
_ZN7rocprim17ROCPRIM_400000_NS6detail17trampoline_kernelINS0_13select_configILj256ELj13ELNS0_17block_load_methodE3ELS4_3ELS4_3ELNS0_20block_scan_algorithmE0ELj4294967295EEENS1_25partition_config_selectorILNS1_17partition_subalgoE3EjNS0_10empty_typeEbEEZZNS1_14partition_implILS8_3ELb0ES6_jNS0_17counting_iteratorIjlEEPS9_SE_NS0_5tupleIJPjSE_EEENSF_IJSE_SE_EEES9_SG_JZNS1_25segmented_radix_sort_implINS0_14default_configELb0EPK12hip_bfloat16PSL_PKlPlN2at6native12_GLOBAL__N_18offset_tEEE10hipError_tPvRmT1_PNSt15iterator_traitsISZ_E10value_typeET2_T3_PNS10_IS15_E10value_typeET4_jRbjT5_S1B_jjP12ihipStream_tbEUljE_EEESW_SX_SY_S15_S19_S1B_T6_T7_T9_mT8_S1D_bDpT10_ENKUlT_T0_E_clISt17integral_constantIbLb0EES1Q_EEDaS1L_S1M_EUlS1L_E_NS1_11comp_targetILNS1_3genE10ELNS1_11target_archE1200ELNS1_3gpuE4ELNS1_3repE0EEENS1_30default_config_static_selectorELNS0_4arch9wavefront6targetE0EEEvSZ_: ; @_ZN7rocprim17ROCPRIM_400000_NS6detail17trampoline_kernelINS0_13select_configILj256ELj13ELNS0_17block_load_methodE3ELS4_3ELS4_3ELNS0_20block_scan_algorithmE0ELj4294967295EEENS1_25partition_config_selectorILNS1_17partition_subalgoE3EjNS0_10empty_typeEbEEZZNS1_14partition_implILS8_3ELb0ES6_jNS0_17counting_iteratorIjlEEPS9_SE_NS0_5tupleIJPjSE_EEENSF_IJSE_SE_EEES9_SG_JZNS1_25segmented_radix_sort_implINS0_14default_configELb0EPK12hip_bfloat16PSL_PKlPlN2at6native12_GLOBAL__N_18offset_tEEE10hipError_tPvRmT1_PNSt15iterator_traitsISZ_E10value_typeET2_T3_PNS10_IS15_E10value_typeET4_jRbjT5_S1B_jjP12ihipStream_tbEUljE_EEESW_SX_SY_S15_S19_S1B_T6_T7_T9_mT8_S1D_bDpT10_ENKUlT_T0_E_clISt17integral_constantIbLb0EES1Q_EEDaS1L_S1M_EUlS1L_E_NS1_11comp_targetILNS1_3genE10ELNS1_11target_archE1200ELNS1_3gpuE4ELNS1_3repE0EEENS1_30default_config_static_selectorELNS0_4arch9wavefront6targetE0EEEvSZ_
; %bb.0:
	.section	.rodata,"a",@progbits
	.p2align	6, 0x0
	.amdhsa_kernel _ZN7rocprim17ROCPRIM_400000_NS6detail17trampoline_kernelINS0_13select_configILj256ELj13ELNS0_17block_load_methodE3ELS4_3ELS4_3ELNS0_20block_scan_algorithmE0ELj4294967295EEENS1_25partition_config_selectorILNS1_17partition_subalgoE3EjNS0_10empty_typeEbEEZZNS1_14partition_implILS8_3ELb0ES6_jNS0_17counting_iteratorIjlEEPS9_SE_NS0_5tupleIJPjSE_EEENSF_IJSE_SE_EEES9_SG_JZNS1_25segmented_radix_sort_implINS0_14default_configELb0EPK12hip_bfloat16PSL_PKlPlN2at6native12_GLOBAL__N_18offset_tEEE10hipError_tPvRmT1_PNSt15iterator_traitsISZ_E10value_typeET2_T3_PNS10_IS15_E10value_typeET4_jRbjT5_S1B_jjP12ihipStream_tbEUljE_EEESW_SX_SY_S15_S19_S1B_T6_T7_T9_mT8_S1D_bDpT10_ENKUlT_T0_E_clISt17integral_constantIbLb0EES1Q_EEDaS1L_S1M_EUlS1L_E_NS1_11comp_targetILNS1_3genE10ELNS1_11target_archE1200ELNS1_3gpuE4ELNS1_3repE0EEENS1_30default_config_static_selectorELNS0_4arch9wavefront6targetE0EEEvSZ_
		.amdhsa_group_segment_fixed_size 0
		.amdhsa_private_segment_fixed_size 0
		.amdhsa_kernarg_size 144
		.amdhsa_user_sgpr_count 15
		.amdhsa_user_sgpr_dispatch_ptr 0
		.amdhsa_user_sgpr_queue_ptr 0
		.amdhsa_user_sgpr_kernarg_segment_ptr 1
		.amdhsa_user_sgpr_dispatch_id 0
		.amdhsa_user_sgpr_private_segment_size 0
		.amdhsa_wavefront_size32 1
		.amdhsa_uses_dynamic_stack 0
		.amdhsa_enable_private_segment 0
		.amdhsa_system_sgpr_workgroup_id_x 1
		.amdhsa_system_sgpr_workgroup_id_y 0
		.amdhsa_system_sgpr_workgroup_id_z 0
		.amdhsa_system_sgpr_workgroup_info 0
		.amdhsa_system_vgpr_workitem_id 0
		.amdhsa_next_free_vgpr 1
		.amdhsa_next_free_sgpr 1
		.amdhsa_reserve_vcc 0
		.amdhsa_float_round_mode_32 0
		.amdhsa_float_round_mode_16_64 0
		.amdhsa_float_denorm_mode_32 3
		.amdhsa_float_denorm_mode_16_64 3
		.amdhsa_dx10_clamp 1
		.amdhsa_ieee_mode 1
		.amdhsa_fp16_overflow 0
		.amdhsa_workgroup_processor_mode 1
		.amdhsa_memory_ordered 1
		.amdhsa_forward_progress 0
		.amdhsa_shared_vgpr_count 0
		.amdhsa_exception_fp_ieee_invalid_op 0
		.amdhsa_exception_fp_denorm_src 0
		.amdhsa_exception_fp_ieee_div_zero 0
		.amdhsa_exception_fp_ieee_overflow 0
		.amdhsa_exception_fp_ieee_underflow 0
		.amdhsa_exception_fp_ieee_inexact 0
		.amdhsa_exception_int_div_zero 0
	.end_amdhsa_kernel
	.section	.text._ZN7rocprim17ROCPRIM_400000_NS6detail17trampoline_kernelINS0_13select_configILj256ELj13ELNS0_17block_load_methodE3ELS4_3ELS4_3ELNS0_20block_scan_algorithmE0ELj4294967295EEENS1_25partition_config_selectorILNS1_17partition_subalgoE3EjNS0_10empty_typeEbEEZZNS1_14partition_implILS8_3ELb0ES6_jNS0_17counting_iteratorIjlEEPS9_SE_NS0_5tupleIJPjSE_EEENSF_IJSE_SE_EEES9_SG_JZNS1_25segmented_radix_sort_implINS0_14default_configELb0EPK12hip_bfloat16PSL_PKlPlN2at6native12_GLOBAL__N_18offset_tEEE10hipError_tPvRmT1_PNSt15iterator_traitsISZ_E10value_typeET2_T3_PNS10_IS15_E10value_typeET4_jRbjT5_S1B_jjP12ihipStream_tbEUljE_EEESW_SX_SY_S15_S19_S1B_T6_T7_T9_mT8_S1D_bDpT10_ENKUlT_T0_E_clISt17integral_constantIbLb0EES1Q_EEDaS1L_S1M_EUlS1L_E_NS1_11comp_targetILNS1_3genE10ELNS1_11target_archE1200ELNS1_3gpuE4ELNS1_3repE0EEENS1_30default_config_static_selectorELNS0_4arch9wavefront6targetE0EEEvSZ_,"axG",@progbits,_ZN7rocprim17ROCPRIM_400000_NS6detail17trampoline_kernelINS0_13select_configILj256ELj13ELNS0_17block_load_methodE3ELS4_3ELS4_3ELNS0_20block_scan_algorithmE0ELj4294967295EEENS1_25partition_config_selectorILNS1_17partition_subalgoE3EjNS0_10empty_typeEbEEZZNS1_14partition_implILS8_3ELb0ES6_jNS0_17counting_iteratorIjlEEPS9_SE_NS0_5tupleIJPjSE_EEENSF_IJSE_SE_EEES9_SG_JZNS1_25segmented_radix_sort_implINS0_14default_configELb0EPK12hip_bfloat16PSL_PKlPlN2at6native12_GLOBAL__N_18offset_tEEE10hipError_tPvRmT1_PNSt15iterator_traitsISZ_E10value_typeET2_T3_PNS10_IS15_E10value_typeET4_jRbjT5_S1B_jjP12ihipStream_tbEUljE_EEESW_SX_SY_S15_S19_S1B_T6_T7_T9_mT8_S1D_bDpT10_ENKUlT_T0_E_clISt17integral_constantIbLb0EES1Q_EEDaS1L_S1M_EUlS1L_E_NS1_11comp_targetILNS1_3genE10ELNS1_11target_archE1200ELNS1_3gpuE4ELNS1_3repE0EEENS1_30default_config_static_selectorELNS0_4arch9wavefront6targetE0EEEvSZ_,comdat
.Lfunc_end2022:
	.size	_ZN7rocprim17ROCPRIM_400000_NS6detail17trampoline_kernelINS0_13select_configILj256ELj13ELNS0_17block_load_methodE3ELS4_3ELS4_3ELNS0_20block_scan_algorithmE0ELj4294967295EEENS1_25partition_config_selectorILNS1_17partition_subalgoE3EjNS0_10empty_typeEbEEZZNS1_14partition_implILS8_3ELb0ES6_jNS0_17counting_iteratorIjlEEPS9_SE_NS0_5tupleIJPjSE_EEENSF_IJSE_SE_EEES9_SG_JZNS1_25segmented_radix_sort_implINS0_14default_configELb0EPK12hip_bfloat16PSL_PKlPlN2at6native12_GLOBAL__N_18offset_tEEE10hipError_tPvRmT1_PNSt15iterator_traitsISZ_E10value_typeET2_T3_PNS10_IS15_E10value_typeET4_jRbjT5_S1B_jjP12ihipStream_tbEUljE_EEESW_SX_SY_S15_S19_S1B_T6_T7_T9_mT8_S1D_bDpT10_ENKUlT_T0_E_clISt17integral_constantIbLb0EES1Q_EEDaS1L_S1M_EUlS1L_E_NS1_11comp_targetILNS1_3genE10ELNS1_11target_archE1200ELNS1_3gpuE4ELNS1_3repE0EEENS1_30default_config_static_selectorELNS0_4arch9wavefront6targetE0EEEvSZ_, .Lfunc_end2022-_ZN7rocprim17ROCPRIM_400000_NS6detail17trampoline_kernelINS0_13select_configILj256ELj13ELNS0_17block_load_methodE3ELS4_3ELS4_3ELNS0_20block_scan_algorithmE0ELj4294967295EEENS1_25partition_config_selectorILNS1_17partition_subalgoE3EjNS0_10empty_typeEbEEZZNS1_14partition_implILS8_3ELb0ES6_jNS0_17counting_iteratorIjlEEPS9_SE_NS0_5tupleIJPjSE_EEENSF_IJSE_SE_EEES9_SG_JZNS1_25segmented_radix_sort_implINS0_14default_configELb0EPK12hip_bfloat16PSL_PKlPlN2at6native12_GLOBAL__N_18offset_tEEE10hipError_tPvRmT1_PNSt15iterator_traitsISZ_E10value_typeET2_T3_PNS10_IS15_E10value_typeET4_jRbjT5_S1B_jjP12ihipStream_tbEUljE_EEESW_SX_SY_S15_S19_S1B_T6_T7_T9_mT8_S1D_bDpT10_ENKUlT_T0_E_clISt17integral_constantIbLb0EES1Q_EEDaS1L_S1M_EUlS1L_E_NS1_11comp_targetILNS1_3genE10ELNS1_11target_archE1200ELNS1_3gpuE4ELNS1_3repE0EEENS1_30default_config_static_selectorELNS0_4arch9wavefront6targetE0EEEvSZ_
                                        ; -- End function
	.section	.AMDGPU.csdata,"",@progbits
; Kernel info:
; codeLenInByte = 0
; NumSgprs: 0
; NumVgprs: 0
; ScratchSize: 0
; MemoryBound: 0
; FloatMode: 240
; IeeeMode: 1
; LDSByteSize: 0 bytes/workgroup (compile time only)
; SGPRBlocks: 0
; VGPRBlocks: 0
; NumSGPRsForWavesPerEU: 1
; NumVGPRsForWavesPerEU: 1
; Occupancy: 16
; WaveLimiterHint : 0
; COMPUTE_PGM_RSRC2:SCRATCH_EN: 0
; COMPUTE_PGM_RSRC2:USER_SGPR: 15
; COMPUTE_PGM_RSRC2:TRAP_HANDLER: 0
; COMPUTE_PGM_RSRC2:TGID_X_EN: 1
; COMPUTE_PGM_RSRC2:TGID_Y_EN: 0
; COMPUTE_PGM_RSRC2:TGID_Z_EN: 0
; COMPUTE_PGM_RSRC2:TIDIG_COMP_CNT: 0
	.section	.text._ZN7rocprim17ROCPRIM_400000_NS6detail17trampoline_kernelINS0_13select_configILj256ELj13ELNS0_17block_load_methodE3ELS4_3ELS4_3ELNS0_20block_scan_algorithmE0ELj4294967295EEENS1_25partition_config_selectorILNS1_17partition_subalgoE3EjNS0_10empty_typeEbEEZZNS1_14partition_implILS8_3ELb0ES6_jNS0_17counting_iteratorIjlEEPS9_SE_NS0_5tupleIJPjSE_EEENSF_IJSE_SE_EEES9_SG_JZNS1_25segmented_radix_sort_implINS0_14default_configELb0EPK12hip_bfloat16PSL_PKlPlN2at6native12_GLOBAL__N_18offset_tEEE10hipError_tPvRmT1_PNSt15iterator_traitsISZ_E10value_typeET2_T3_PNS10_IS15_E10value_typeET4_jRbjT5_S1B_jjP12ihipStream_tbEUljE_EEESW_SX_SY_S15_S19_S1B_T6_T7_T9_mT8_S1D_bDpT10_ENKUlT_T0_E_clISt17integral_constantIbLb0EES1Q_EEDaS1L_S1M_EUlS1L_E_NS1_11comp_targetILNS1_3genE9ELNS1_11target_archE1100ELNS1_3gpuE3ELNS1_3repE0EEENS1_30default_config_static_selectorELNS0_4arch9wavefront6targetE0EEEvSZ_,"axG",@progbits,_ZN7rocprim17ROCPRIM_400000_NS6detail17trampoline_kernelINS0_13select_configILj256ELj13ELNS0_17block_load_methodE3ELS4_3ELS4_3ELNS0_20block_scan_algorithmE0ELj4294967295EEENS1_25partition_config_selectorILNS1_17partition_subalgoE3EjNS0_10empty_typeEbEEZZNS1_14partition_implILS8_3ELb0ES6_jNS0_17counting_iteratorIjlEEPS9_SE_NS0_5tupleIJPjSE_EEENSF_IJSE_SE_EEES9_SG_JZNS1_25segmented_radix_sort_implINS0_14default_configELb0EPK12hip_bfloat16PSL_PKlPlN2at6native12_GLOBAL__N_18offset_tEEE10hipError_tPvRmT1_PNSt15iterator_traitsISZ_E10value_typeET2_T3_PNS10_IS15_E10value_typeET4_jRbjT5_S1B_jjP12ihipStream_tbEUljE_EEESW_SX_SY_S15_S19_S1B_T6_T7_T9_mT8_S1D_bDpT10_ENKUlT_T0_E_clISt17integral_constantIbLb0EES1Q_EEDaS1L_S1M_EUlS1L_E_NS1_11comp_targetILNS1_3genE9ELNS1_11target_archE1100ELNS1_3gpuE3ELNS1_3repE0EEENS1_30default_config_static_selectorELNS0_4arch9wavefront6targetE0EEEvSZ_,comdat
	.globl	_ZN7rocprim17ROCPRIM_400000_NS6detail17trampoline_kernelINS0_13select_configILj256ELj13ELNS0_17block_load_methodE3ELS4_3ELS4_3ELNS0_20block_scan_algorithmE0ELj4294967295EEENS1_25partition_config_selectorILNS1_17partition_subalgoE3EjNS0_10empty_typeEbEEZZNS1_14partition_implILS8_3ELb0ES6_jNS0_17counting_iteratorIjlEEPS9_SE_NS0_5tupleIJPjSE_EEENSF_IJSE_SE_EEES9_SG_JZNS1_25segmented_radix_sort_implINS0_14default_configELb0EPK12hip_bfloat16PSL_PKlPlN2at6native12_GLOBAL__N_18offset_tEEE10hipError_tPvRmT1_PNSt15iterator_traitsISZ_E10value_typeET2_T3_PNS10_IS15_E10value_typeET4_jRbjT5_S1B_jjP12ihipStream_tbEUljE_EEESW_SX_SY_S15_S19_S1B_T6_T7_T9_mT8_S1D_bDpT10_ENKUlT_T0_E_clISt17integral_constantIbLb0EES1Q_EEDaS1L_S1M_EUlS1L_E_NS1_11comp_targetILNS1_3genE9ELNS1_11target_archE1100ELNS1_3gpuE3ELNS1_3repE0EEENS1_30default_config_static_selectorELNS0_4arch9wavefront6targetE0EEEvSZ_ ; -- Begin function _ZN7rocprim17ROCPRIM_400000_NS6detail17trampoline_kernelINS0_13select_configILj256ELj13ELNS0_17block_load_methodE3ELS4_3ELS4_3ELNS0_20block_scan_algorithmE0ELj4294967295EEENS1_25partition_config_selectorILNS1_17partition_subalgoE3EjNS0_10empty_typeEbEEZZNS1_14partition_implILS8_3ELb0ES6_jNS0_17counting_iteratorIjlEEPS9_SE_NS0_5tupleIJPjSE_EEENSF_IJSE_SE_EEES9_SG_JZNS1_25segmented_radix_sort_implINS0_14default_configELb0EPK12hip_bfloat16PSL_PKlPlN2at6native12_GLOBAL__N_18offset_tEEE10hipError_tPvRmT1_PNSt15iterator_traitsISZ_E10value_typeET2_T3_PNS10_IS15_E10value_typeET4_jRbjT5_S1B_jjP12ihipStream_tbEUljE_EEESW_SX_SY_S15_S19_S1B_T6_T7_T9_mT8_S1D_bDpT10_ENKUlT_T0_E_clISt17integral_constantIbLb0EES1Q_EEDaS1L_S1M_EUlS1L_E_NS1_11comp_targetILNS1_3genE9ELNS1_11target_archE1100ELNS1_3gpuE3ELNS1_3repE0EEENS1_30default_config_static_selectorELNS0_4arch9wavefront6targetE0EEEvSZ_
	.p2align	8
	.type	_ZN7rocprim17ROCPRIM_400000_NS6detail17trampoline_kernelINS0_13select_configILj256ELj13ELNS0_17block_load_methodE3ELS4_3ELS4_3ELNS0_20block_scan_algorithmE0ELj4294967295EEENS1_25partition_config_selectorILNS1_17partition_subalgoE3EjNS0_10empty_typeEbEEZZNS1_14partition_implILS8_3ELb0ES6_jNS0_17counting_iteratorIjlEEPS9_SE_NS0_5tupleIJPjSE_EEENSF_IJSE_SE_EEES9_SG_JZNS1_25segmented_radix_sort_implINS0_14default_configELb0EPK12hip_bfloat16PSL_PKlPlN2at6native12_GLOBAL__N_18offset_tEEE10hipError_tPvRmT1_PNSt15iterator_traitsISZ_E10value_typeET2_T3_PNS10_IS15_E10value_typeET4_jRbjT5_S1B_jjP12ihipStream_tbEUljE_EEESW_SX_SY_S15_S19_S1B_T6_T7_T9_mT8_S1D_bDpT10_ENKUlT_T0_E_clISt17integral_constantIbLb0EES1Q_EEDaS1L_S1M_EUlS1L_E_NS1_11comp_targetILNS1_3genE9ELNS1_11target_archE1100ELNS1_3gpuE3ELNS1_3repE0EEENS1_30default_config_static_selectorELNS0_4arch9wavefront6targetE0EEEvSZ_,@function
_ZN7rocprim17ROCPRIM_400000_NS6detail17trampoline_kernelINS0_13select_configILj256ELj13ELNS0_17block_load_methodE3ELS4_3ELS4_3ELNS0_20block_scan_algorithmE0ELj4294967295EEENS1_25partition_config_selectorILNS1_17partition_subalgoE3EjNS0_10empty_typeEbEEZZNS1_14partition_implILS8_3ELb0ES6_jNS0_17counting_iteratorIjlEEPS9_SE_NS0_5tupleIJPjSE_EEENSF_IJSE_SE_EEES9_SG_JZNS1_25segmented_radix_sort_implINS0_14default_configELb0EPK12hip_bfloat16PSL_PKlPlN2at6native12_GLOBAL__N_18offset_tEEE10hipError_tPvRmT1_PNSt15iterator_traitsISZ_E10value_typeET2_T3_PNS10_IS15_E10value_typeET4_jRbjT5_S1B_jjP12ihipStream_tbEUljE_EEESW_SX_SY_S15_S19_S1B_T6_T7_T9_mT8_S1D_bDpT10_ENKUlT_T0_E_clISt17integral_constantIbLb0EES1Q_EEDaS1L_S1M_EUlS1L_E_NS1_11comp_targetILNS1_3genE9ELNS1_11target_archE1100ELNS1_3gpuE3ELNS1_3repE0EEENS1_30default_config_static_selectorELNS0_4arch9wavefront6targetE0EEEvSZ_: ; @_ZN7rocprim17ROCPRIM_400000_NS6detail17trampoline_kernelINS0_13select_configILj256ELj13ELNS0_17block_load_methodE3ELS4_3ELS4_3ELNS0_20block_scan_algorithmE0ELj4294967295EEENS1_25partition_config_selectorILNS1_17partition_subalgoE3EjNS0_10empty_typeEbEEZZNS1_14partition_implILS8_3ELb0ES6_jNS0_17counting_iteratorIjlEEPS9_SE_NS0_5tupleIJPjSE_EEENSF_IJSE_SE_EEES9_SG_JZNS1_25segmented_radix_sort_implINS0_14default_configELb0EPK12hip_bfloat16PSL_PKlPlN2at6native12_GLOBAL__N_18offset_tEEE10hipError_tPvRmT1_PNSt15iterator_traitsISZ_E10value_typeET2_T3_PNS10_IS15_E10value_typeET4_jRbjT5_S1B_jjP12ihipStream_tbEUljE_EEESW_SX_SY_S15_S19_S1B_T6_T7_T9_mT8_S1D_bDpT10_ENKUlT_T0_E_clISt17integral_constantIbLb0EES1Q_EEDaS1L_S1M_EUlS1L_E_NS1_11comp_targetILNS1_3genE9ELNS1_11target_archE1100ELNS1_3gpuE3ELNS1_3repE0EEENS1_30default_config_static_selectorELNS0_4arch9wavefront6targetE0EEEvSZ_
; %bb.0:
	s_clause 0x5
	s_load_b32 s2, s[0:1], 0x70
	s_load_b64 s[16:17], s[0:1], 0x10
	s_load_b64 s[12:13], s[0:1], 0x58
	s_load_b32 s18, s[0:1], 0x8
	s_load_b128 s[8:11], s[0:1], 0x48
	s_load_b128 s[4:7], s[0:1], 0x78
	s_mul_i32 s23, s15, 0xd00
	v_lshlrev_b32_e32 v30, 2, v0
	s_waitcnt lgkmcnt(0)
	s_mul_i32 s20, s2, 0xd00
	s_add_i32 s19, s2, -1
	s_add_u32 s2, s16, s20
	s_addc_u32 s3, s17, 0
	s_cmp_eq_u32 s15, s19
	v_cmp_lt_u64_e64 s3, s[2:3], s[12:13]
	s_cselect_b32 s14, -1, 0
	s_cmp_lg_u32 s15, s19
	s_cselect_b32 s21, -1, 0
	s_add_i32 s2, s18, s23
	s_delay_alu instid0(VALU_DEP_1)
	s_or_b32 s3, s21, s3
	s_add_i32 s18, s2, s16
	s_load_b32 s2, s[0:1], 0x88
	v_add_nc_u32_e32 v1, s18, v0
	s_load_b64 s[18:19], s[10:11], 0x0
	s_and_b32 vcc_lo, exec_lo, s3
	s_mov_b32 s10, -1
	s_delay_alu instid0(VALU_DEP_1)
	v_add_nc_u32_e32 v2, 0x100, v1
	v_add_nc_u32_e32 v3, 0x200, v1
	;; [unrolled: 1-line block ×12, first 2 shown]
	s_cbranch_vccz .LBB2023_2
; %bb.1:
	ds_store_2addr_stride64_b32 v30, v1, v2 offset1:4
	ds_store_2addr_stride64_b32 v30, v3, v4 offset0:8 offset1:12
	ds_store_2addr_stride64_b32 v30, v5, v6 offset0:16 offset1:20
	;; [unrolled: 1-line block ×5, first 2 shown]
	ds_store_b32 v30, v13 offset:12288
	s_waitcnt lgkmcnt(0)
	s_mov_b32 s10, 0
	s_barrier
.LBB2023_2:
	s_and_not1_b32 vcc_lo, exec_lo, s10
	s_add_i32 s20, s20, s16
	s_cbranch_vccnz .LBB2023_4
; %bb.3:
	ds_store_2addr_stride64_b32 v30, v1, v2 offset1:4
	ds_store_2addr_stride64_b32 v30, v3, v4 offset0:8 offset1:12
	ds_store_2addr_stride64_b32 v30, v5, v6 offset0:16 offset1:20
	;; [unrolled: 1-line block ×5, first 2 shown]
	ds_store_b32 v30, v13 offset:12288
	s_waitcnt lgkmcnt(0)
	s_barrier
.LBB2023_4:
	v_mul_u32_u24_e32 v33, 13, v0
	s_waitcnt lgkmcnt(0)
	buffer_gl0_inv
	v_cndmask_b32_e64 v31, 0, 1, s3
	s_sub_i32 s22, s12, s20
	s_and_not1_b32 vcc_lo, exec_lo, s3
	v_lshlrev_b32_e32 v1, 2, v33
	ds_load_2addr_b32 v[28:29], v1 offset1:1
	ds_load_2addr_b32 v[26:27], v1 offset0:2 offset1:3
	ds_load_2addr_b32 v[24:25], v1 offset0:4 offset1:5
	;; [unrolled: 1-line block ×5, first 2 shown]
	ds_load_b32 v32, v1 offset:48
	s_waitcnt lgkmcnt(0)
	s_barrier
	buffer_gl0_inv
	s_cbranch_vccnz .LBB2023_6
; %bb.5:
	v_add_nc_u32_e32 v1, s5, v28
	v_add_nc_u32_e32 v2, s7, v28
	;; [unrolled: 1-line block ×5, first 2 shown]
	v_mul_lo_u32 v1, v1, s4
	v_mul_lo_u32 v2, v2, s6
	;; [unrolled: 1-line block ×4, first 2 shown]
	v_add_nc_u32_e32 v6, s7, v26
	v_add_nc_u32_e32 v7, s5, v27
	v_add_nc_u32_e32 v8, s7, v27
	v_mul_lo_u32 v5, v5, s4
	v_add_nc_u32_e32 v9, s5, v22
	v_sub_nc_u32_e32 v1, v1, v2
	v_mul_lo_u32 v2, v6, s6
	v_sub_nc_u32_e32 v3, v3, v4
	v_mul_lo_u32 v4, v7, s4
	v_mul_lo_u32 v6, v8, s6
	v_add_nc_u32_e32 v7, s5, v24
	v_cmp_lt_u32_e32 vcc_lo, s2, v1
	v_add_nc_u32_e32 v8, s5, v25
	v_add_nc_u32_e32 v10, s7, v22
	v_sub_nc_u32_e32 v2, v5, v2
	v_add_nc_u32_e32 v5, s7, v24
	v_cndmask_b32_e64 v1, 0, 1, vcc_lo
	v_sub_nc_u32_e32 v4, v4, v6
	v_mul_lo_u32 v6, v7, s4
	v_add_nc_u32_e32 v7, s7, v25
	v_cmp_lt_u32_e32 vcc_lo, s2, v3
	v_mul_lo_u32 v5, v5, s6
	v_mul_lo_u32 v8, v8, s4
	;; [unrolled: 1-line block ×4, first 2 shown]
	v_cndmask_b32_e64 v3, 0, 1, vcc_lo
	v_cmp_lt_u32_e32 vcc_lo, s2, v2
	v_mul_lo_u32 v10, v10, s6
	v_add_nc_u32_e32 v11, s5, v20
	v_sub_nc_u32_e32 v5, v6, v5
	v_add_nc_u32_e32 v12, s7, v20
	v_cndmask_b32_e64 v2, 0, 1, vcc_lo
	v_sub_nc_u32_e32 v6, v8, v7
	v_add_nc_u32_e32 v7, s5, v23
	v_add_nc_u32_e32 v8, s7, v23
	v_cmp_lt_u32_e32 vcc_lo, s2, v4
	v_sub_nc_u32_e32 v9, v9, v10
	v_mul_lo_u32 v10, v11, s4
	v_mul_lo_u32 v7, v7, s4
	;; [unrolled: 1-line block ×4, first 2 shown]
	v_cndmask_b32_e64 v4, 0, 1, vcc_lo
	v_cmp_lt_u32_e32 vcc_lo, s2, v5
	v_add_nc_u32_e32 v12, s5, v21
	v_add_nc_u32_e32 v13, s7, v18
	;; [unrolled: 1-line block ×4, first 2 shown]
	v_cndmask_b32_e64 v5, 0, 1, vcc_lo
	v_cmp_lt_u32_e32 vcc_lo, s2, v6
	v_sub_nc_u32_e32 v7, v7, v8
	v_sub_nc_u32_e32 v8, v10, v11
	v_add_nc_u32_e32 v11, s7, v21
	v_mul_lo_u32 v10, v12, s4
	v_cndmask_b32_e64 v6, 0, 1, vcc_lo
	v_cmp_lt_u32_e32 vcc_lo, s2, v9
	v_add_nc_u32_e32 v12, s5, v18
	v_mul_lo_u32 v11, v11, s6
	v_mul_lo_u32 v13, v13, s6
	;; [unrolled: 1-line block ×3, first 2 shown]
	v_cndmask_b32_e64 v9, 0, 1, vcc_lo
	v_cmp_lt_u32_e32 vcc_lo, s2, v7
	v_mul_lo_u32 v12, v12, s4
	v_mul_lo_u32 v15, v15, s6
	v_lshlrev_b16 v3, 8, v3
	v_sub_nc_u32_e32 v10, v10, v11
	v_cndmask_b32_e64 v7, 0, 1, vcc_lo
	v_cmp_lt_u32_e32 vcc_lo, s2, v8
	v_add_nc_u32_e32 v11, s5, v32
	v_or_b32_e32 v1, v1, v3
	v_sub_nc_u32_e32 v12, v12, v13
	v_sub_nc_u32_e32 v13, v14, v15
	v_cndmask_b32_e64 v8, 0, 1, vcc_lo
	v_cmp_lt_u32_e32 vcc_lo, s2, v10
	v_add_nc_u32_e32 v16, s7, v32
	v_mul_lo_u32 v11, v11, s4
	v_lshlrev_b16 v4, 8, v4
	v_lshlrev_b16 v6, 8, v6
	v_cndmask_b32_e64 v10, 0, 1, vcc_lo
	v_cmp_lt_u32_e32 vcc_lo, s2, v12
	v_mul_lo_u32 v14, v16, s6
	v_lshlrev_b16 v7, 8, v7
	v_or_b32_e32 v2, v2, v4
	v_lshlrev_b16 v10, 8, v10
	v_cndmask_b32_e64 v3, 0, 1, vcc_lo
	v_cmp_lt_u32_e32 vcc_lo, s2, v13
	v_or_b32_e32 v4, v5, v6
	v_or_b32_e32 v5, v9, v7
	v_sub_nc_u32_e32 v11, v11, v14
	v_or_b32_e32 v6, v8, v10
	v_cndmask_b32_e64 v12, 0, 1, vcc_lo
	v_and_b32_e32 v1, 0xffff, v1
	v_lshlrev_b32_e32 v2, 16, v2
	v_and_b32_e32 v4, 0xffff, v4
	v_lshlrev_b32_e32 v5, 16, v5
	v_lshlrev_b16 v12, 8, v12
	v_and_b32_e32 v6, 0xffff, v6
	v_cmp_lt_u32_e32 vcc_lo, s2, v11
	v_or_b32_e32 v39, v1, v2
	v_or_b32_e32 v37, v4, v5
	;; [unrolled: 1-line block ×3, first 2 shown]
	s_mov_b32 s3, 0
	v_cndmask_b32_e64 v34, 0, 1, vcc_lo
	s_delay_alu instid0(VALU_DEP_2) | instskip(NEXT) | instid1(VALU_DEP_1)
	v_lshlrev_b32_e32 v3, 16, v3
	v_or_b32_e32 v35, v6, v3
	s_branch .LBB2023_7
.LBB2023_6:
	s_mov_b32 s3, -1
                                        ; implicit-def: $vgpr34
                                        ; implicit-def: $vgpr35
                                        ; implicit-def: $vgpr37
                                        ; implicit-def: $vgpr39
.LBB2023_7:
	s_clause 0x1
	s_load_b64 s[10:11], s[0:1], 0x28
	s_load_b64 s[20:21], s[0:1], 0x68
	s_and_not1_b32 vcc_lo, exec_lo, s3
	s_addk_i32 s22, 0xd00
	s_cbranch_vccnz .LBB2023_35
; %bb.8:
	v_dual_mov_b32 v2, 0 :: v_dual_mov_b32 v1, 0
	s_mov_b32 s0, exec_lo
	v_cmpx_gt_u32_e64 s22, v33
; %bb.9:
	v_add_nc_u32_e32 v1, s5, v28
	v_add_nc_u32_e32 v3, s7, v28
	s_delay_alu instid0(VALU_DEP_2) | instskip(NEXT) | instid1(VALU_DEP_2)
	v_mul_lo_u32 v1, v1, s4
	v_mul_lo_u32 v3, v3, s6
	s_delay_alu instid0(VALU_DEP_1) | instskip(NEXT) | instid1(VALU_DEP_1)
	v_sub_nc_u32_e32 v1, v1, v3
	v_cmp_lt_u32_e32 vcc_lo, s2, v1
	v_cndmask_b32_e64 v1, 0, 1, vcc_lo
; %bb.10:
	s_or_b32 exec_lo, exec_lo, s0
	v_add_nc_u32_e32 v3, 1, v33
	s_mov_b32 s0, exec_lo
	s_delay_alu instid0(VALU_DEP_1)
	v_cmpx_gt_u32_e64 s22, v3
; %bb.11:
	v_add_nc_u32_e32 v2, s5, v29
	v_add_nc_u32_e32 v3, s7, v29
	s_delay_alu instid0(VALU_DEP_2) | instskip(NEXT) | instid1(VALU_DEP_2)
	v_mul_lo_u32 v2, v2, s4
	v_mul_lo_u32 v3, v3, s6
	s_delay_alu instid0(VALU_DEP_1) | instskip(NEXT) | instid1(VALU_DEP_1)
	v_sub_nc_u32_e32 v2, v2, v3
	v_cmp_lt_u32_e32 vcc_lo, s2, v2
	v_cndmask_b32_e64 v2, 0, 1, vcc_lo
; %bb.12:
	s_or_b32 exec_lo, exec_lo, s0
	v_dual_mov_b32 v4, 0 :: v_dual_add_nc_u32 v3, 2, v33
	s_delay_alu instid0(VALU_DEP_1)
	v_cmp_gt_u32_e32 vcc_lo, s22, v3
	v_mov_b32_e32 v3, 0
	s_and_saveexec_b32 s0, vcc_lo
; %bb.13:
	v_add_nc_u32_e32 v3, s5, v26
	v_add_nc_u32_e32 v5, s7, v26
	s_delay_alu instid0(VALU_DEP_2) | instskip(NEXT) | instid1(VALU_DEP_2)
	v_mul_lo_u32 v3, v3, s4
	v_mul_lo_u32 v5, v5, s6
	s_delay_alu instid0(VALU_DEP_1) | instskip(NEXT) | instid1(VALU_DEP_1)
	v_sub_nc_u32_e32 v3, v3, v5
	v_cmp_lt_u32_e32 vcc_lo, s2, v3
	v_cndmask_b32_e64 v3, 0, 1, vcc_lo
; %bb.14:
	s_or_b32 exec_lo, exec_lo, s0
	v_add_nc_u32_e32 v5, 3, v33
	s_mov_b32 s0, exec_lo
	s_delay_alu instid0(VALU_DEP_1)
	v_cmpx_gt_u32_e64 s22, v5
; %bb.15:
	v_add_nc_u32_e32 v4, s5, v27
	v_add_nc_u32_e32 v5, s7, v27
	s_delay_alu instid0(VALU_DEP_2) | instskip(NEXT) | instid1(VALU_DEP_2)
	v_mul_lo_u32 v4, v4, s4
	v_mul_lo_u32 v5, v5, s6
	s_delay_alu instid0(VALU_DEP_1) | instskip(NEXT) | instid1(VALU_DEP_1)
	v_sub_nc_u32_e32 v4, v4, v5
	v_cmp_lt_u32_e32 vcc_lo, s2, v4
	v_cndmask_b32_e64 v4, 0, 1, vcc_lo
; %bb.16:
	s_or_b32 exec_lo, exec_lo, s0
	v_dual_mov_b32 v6, 0 :: v_dual_add_nc_u32 v5, 4, v33
	s_delay_alu instid0(VALU_DEP_1)
	v_cmp_gt_u32_e32 vcc_lo, s22, v5
	v_mov_b32_e32 v5, 0
	s_and_saveexec_b32 s0, vcc_lo
	;; [unrolled: 33-line block ×5, first 2 shown]
; %bb.29:
	v_add_nc_u32_e32 v11, s5, v18
	v_add_nc_u32_e32 v13, s7, v18
	s_delay_alu instid0(VALU_DEP_2) | instskip(NEXT) | instid1(VALU_DEP_2)
	v_mul_lo_u32 v11, v11, s4
	v_mul_lo_u32 v13, v13, s6
	s_delay_alu instid0(VALU_DEP_1) | instskip(NEXT) | instid1(VALU_DEP_1)
	v_sub_nc_u32_e32 v11, v11, v13
	v_cmp_lt_u32_e32 vcc_lo, s2, v11
	v_cndmask_b32_e64 v11, 0, 1, vcc_lo
; %bb.30:
	s_or_b32 exec_lo, exec_lo, s0
	v_add_nc_u32_e32 v13, 11, v33
	s_mov_b32 s0, exec_lo
	s_delay_alu instid0(VALU_DEP_1)
	v_cmpx_gt_u32_e64 s22, v13
; %bb.31:
	v_add_nc_u32_e32 v12, s5, v19
	v_add_nc_u32_e32 v13, s7, v19
	s_delay_alu instid0(VALU_DEP_2) | instskip(NEXT) | instid1(VALU_DEP_2)
	v_mul_lo_u32 v12, v12, s4
	v_mul_lo_u32 v13, v13, s6
	s_delay_alu instid0(VALU_DEP_1) | instskip(NEXT) | instid1(VALU_DEP_1)
	v_sub_nc_u32_e32 v12, v12, v13
	v_cmp_lt_u32_e32 vcc_lo, s2, v12
	v_cndmask_b32_e64 v12, 0, 1, vcc_lo
; %bb.32:
	s_or_b32 exec_lo, exec_lo, s0
	v_dual_mov_b32 v34, 0 :: v_dual_add_nc_u32 v13, 12, v33
	s_mov_b32 s0, exec_lo
	s_delay_alu instid0(VALU_DEP_1)
	v_cmpx_gt_u32_e64 s22, v13
; %bb.33:
	v_add_nc_u32_e32 v13, s5, v32
	v_add_nc_u32_e32 v14, s7, v32
	s_delay_alu instid0(VALU_DEP_2) | instskip(NEXT) | instid1(VALU_DEP_2)
	v_mul_lo_u32 v13, v13, s4
	v_mul_lo_u32 v14, v14, s6
	s_delay_alu instid0(VALU_DEP_1) | instskip(NEXT) | instid1(VALU_DEP_1)
	v_sub_nc_u32_e32 v13, v13, v14
	v_cmp_lt_u32_e32 vcc_lo, s2, v13
	v_cndmask_b32_e64 v34, 0, 1, vcc_lo
; %bb.34:
	s_or_b32 exec_lo, exec_lo, s0
	v_lshlrev_b16 v2, 8, v2
	v_lshlrev_b16 v4, 8, v4
	;; [unrolled: 1-line block ×5, first 2 shown]
	v_or_b32_e32 v1, v1, v2
	v_lshlrev_b16 v2, 8, v12
	v_or_b32_e32 v3, v3, v4
	v_or_b32_e32 v4, v5, v6
	;; [unrolled: 1-line block ×5, first 2 shown]
	v_and_b32_e32 v1, 0xffff, v1
	v_lshlrev_b32_e32 v3, 16, v3
	v_and_b32_e32 v4, 0xffff, v4
	v_lshlrev_b32_e32 v5, 16, v5
	;; [unrolled: 2-line block ×3, first 2 shown]
	v_or_b32_e32 v39, v1, v3
	s_delay_alu instid0(VALU_DEP_4) | instskip(NEXT) | instid1(VALU_DEP_3)
	v_or_b32_e32 v37, v4, v5
	v_or_b32_e32 v35, v6, v2
.LBB2023_35:
	s_delay_alu instid0(VALU_DEP_3)
	v_and_b32_e32 v41, 0xff, v39
	v_bfe_u32 v42, v39, 8, 8
	v_bfe_u32 v43, v39, 16, 8
	v_lshrrev_b32_e32 v40, 24, v39
	v_and_b32_e32 v44, 0xff, v37
	v_bfe_u32 v45, v37, 8, 8
	v_bfe_u32 v46, v37, 16, 8
	v_add3_u32 v1, v42, v41, v43
	v_lshrrev_b32_e32 v38, 24, v37
	v_and_b32_e32 v47, 0xff, v35
	v_bfe_u32 v48, v35, 8, 8
	v_mbcnt_lo_u32_b32 v50, -1, 0
	v_add3_u32 v1, v1, v40, v44
	v_bfe_u32 v49, v35, 16, 8
	v_lshrrev_b32_e32 v36, 24, v35
	v_and_b32_e32 v2, 0xff, v34
	v_and_b32_e32 v3, 15, v50
	v_add3_u32 v1, v1, v45, v46
	v_or_b32_e32 v4, 31, v0
	v_and_b32_e32 v5, 16, v50
	v_lshrrev_b32_e32 v51, 5, v0
	v_cmp_eq_u32_e64 s5, 0, v3
	v_add3_u32 v1, v1, v38, v47
	v_cmp_lt_u32_e64 s4, 1, v3
	v_cmp_lt_u32_e64 s3, 3, v3
	;; [unrolled: 1-line block ×3, first 2 shown]
	v_cmp_eq_u32_e64 s1, 0, v5
	v_add3_u32 v1, v1, v48, v49
	v_cmp_eq_u32_e64 s0, v4, v0
	s_cmp_lg_u32 s15, 0
	s_mov_b32 s6, -1
	s_delay_alu instid0(VALU_DEP_2)
	v_add3_u32 v52, v1, v36, v2
	s_cbranch_scc0 .LBB2023_61
; %bb.36:
	s_delay_alu instid0(VALU_DEP_1) | instskip(NEXT) | instid1(VALU_DEP_1)
	v_mov_b32_dpp v1, v52 row_shr:1 row_mask:0xf bank_mask:0xf
	v_cndmask_b32_e64 v1, v1, 0, s5
	s_delay_alu instid0(VALU_DEP_1) | instskip(NEXT) | instid1(VALU_DEP_1)
	v_add_nc_u32_e32 v1, v1, v52
	v_mov_b32_dpp v2, v1 row_shr:2 row_mask:0xf bank_mask:0xf
	s_delay_alu instid0(VALU_DEP_1) | instskip(NEXT) | instid1(VALU_DEP_1)
	v_cndmask_b32_e64 v2, 0, v2, s4
	v_add_nc_u32_e32 v1, v1, v2
	s_delay_alu instid0(VALU_DEP_1) | instskip(NEXT) | instid1(VALU_DEP_1)
	v_mov_b32_dpp v2, v1 row_shr:4 row_mask:0xf bank_mask:0xf
	v_cndmask_b32_e64 v2, 0, v2, s3
	s_delay_alu instid0(VALU_DEP_1) | instskip(NEXT) | instid1(VALU_DEP_1)
	v_add_nc_u32_e32 v1, v1, v2
	v_mov_b32_dpp v2, v1 row_shr:8 row_mask:0xf bank_mask:0xf
	s_delay_alu instid0(VALU_DEP_1) | instskip(NEXT) | instid1(VALU_DEP_1)
	v_cndmask_b32_e64 v2, 0, v2, s2
	v_add_nc_u32_e32 v1, v1, v2
	ds_swizzle_b32 v2, v1 offset:swizzle(BROADCAST,32,15)
	s_waitcnt lgkmcnt(0)
	v_cndmask_b32_e64 v2, v2, 0, s1
	s_delay_alu instid0(VALU_DEP_1)
	v_add_nc_u32_e32 v1, v1, v2
	s_and_saveexec_b32 s6, s0
	s_cbranch_execz .LBB2023_38
; %bb.37:
	v_lshlrev_b32_e32 v2, 2, v51
	ds_store_b32 v2, v1
.LBB2023_38:
	s_or_b32 exec_lo, exec_lo, s6
	s_delay_alu instid0(SALU_CYCLE_1)
	s_mov_b32 s6, exec_lo
	s_waitcnt lgkmcnt(0)
	s_barrier
	buffer_gl0_inv
	v_cmpx_gt_u32_e32 8, v0
	s_cbranch_execz .LBB2023_40
; %bb.39:
	ds_load_b32 v2, v30
	s_waitcnt lgkmcnt(0)
	v_mov_b32_dpp v4, v2 row_shr:1 row_mask:0xf bank_mask:0xf
	v_and_b32_e32 v3, 7, v50
	s_delay_alu instid0(VALU_DEP_1) | instskip(NEXT) | instid1(VALU_DEP_3)
	v_cmp_ne_u32_e32 vcc_lo, 0, v3
	v_cndmask_b32_e32 v4, 0, v4, vcc_lo
	v_cmp_lt_u32_e32 vcc_lo, 1, v3
	s_delay_alu instid0(VALU_DEP_2) | instskip(NEXT) | instid1(VALU_DEP_1)
	v_add_nc_u32_e32 v2, v4, v2
	v_mov_b32_dpp v4, v2 row_shr:2 row_mask:0xf bank_mask:0xf
	s_delay_alu instid0(VALU_DEP_1) | instskip(SKIP_1) | instid1(VALU_DEP_2)
	v_cndmask_b32_e32 v4, 0, v4, vcc_lo
	v_cmp_lt_u32_e32 vcc_lo, 3, v3
	v_add_nc_u32_e32 v2, v2, v4
	s_delay_alu instid0(VALU_DEP_1) | instskip(NEXT) | instid1(VALU_DEP_1)
	v_mov_b32_dpp v4, v2 row_shr:4 row_mask:0xf bank_mask:0xf
	v_cndmask_b32_e32 v3, 0, v4, vcc_lo
	s_delay_alu instid0(VALU_DEP_1)
	v_add_nc_u32_e32 v2, v2, v3
	ds_store_b32 v30, v2
.LBB2023_40:
	s_or_b32 exec_lo, exec_lo, s6
	v_cmp_gt_u32_e32 vcc_lo, 32, v0
	s_mov_b32 s7, exec_lo
	s_waitcnt lgkmcnt(0)
	s_barrier
	buffer_gl0_inv
                                        ; implicit-def: $vgpr8
	v_cmpx_lt_u32_e32 31, v0
	s_cbranch_execz .LBB2023_42
; %bb.41:
	v_lshl_add_u32 v2, v51, 2, -4
	ds_load_b32 v8, v2
	s_waitcnt lgkmcnt(0)
	v_add_nc_u32_e32 v1, v8, v1
.LBB2023_42:
	s_or_b32 exec_lo, exec_lo, s7
	v_add_nc_u32_e32 v2, -1, v50
	s_delay_alu instid0(VALU_DEP_1) | instskip(NEXT) | instid1(VALU_DEP_1)
	v_cmp_gt_i32_e64 s6, 0, v2
	v_cndmask_b32_e64 v2, v2, v50, s6
	v_cmp_eq_u32_e64 s6, 0, v50
	s_delay_alu instid0(VALU_DEP_2)
	v_lshlrev_b32_e32 v2, 2, v2
	ds_bpermute_b32 v9, v2, v1
	s_and_saveexec_b32 s7, vcc_lo
	s_cbranch_execz .LBB2023_60
; %bb.43:
	v_mov_b32_e32 v4, 0
	ds_load_b32 v1, v4 offset:28
	s_and_saveexec_b32 s24, s6
	s_cbranch_execz .LBB2023_45
; %bb.44:
	s_add_i32 s26, s15, 32
	s_mov_b32 s27, 0
	v_mov_b32_e32 v2, 1
	s_lshl_b64 s[26:27], s[26:27], 3
	s_delay_alu instid0(SALU_CYCLE_1)
	s_add_u32 s26, s20, s26
	s_addc_u32 s27, s21, s27
	s_waitcnt lgkmcnt(0)
	global_store_b64 v4, v[1:2], s[26:27]
.LBB2023_45:
	s_or_b32 exec_lo, exec_lo, s24
	v_xad_u32 v2, v50, -1, s15
	s_mov_b32 s25, 0
	s_mov_b32 s24, exec_lo
	s_delay_alu instid0(VALU_DEP_1) | instskip(NEXT) | instid1(VALU_DEP_1)
	v_add_nc_u32_e32 v3, 32, v2
	v_lshlrev_b64 v[3:4], 3, v[3:4]
	s_delay_alu instid0(VALU_DEP_1) | instskip(NEXT) | instid1(VALU_DEP_2)
	v_add_co_u32 v6, vcc_lo, s20, v3
	v_add_co_ci_u32_e32 v7, vcc_lo, s21, v4, vcc_lo
	global_load_b64 v[4:5], v[6:7], off glc
	s_waitcnt vmcnt(0)
	v_and_b32_e32 v3, 0xff, v5
	s_delay_alu instid0(VALU_DEP_1)
	v_cmpx_eq_u16_e32 0, v3
	s_cbranch_execz .LBB2023_48
.LBB2023_46:                            ; =>This Inner Loop Header: Depth=1
	global_load_b64 v[4:5], v[6:7], off glc
	s_waitcnt vmcnt(0)
	v_and_b32_e32 v3, 0xff, v5
	s_delay_alu instid0(VALU_DEP_1) | instskip(SKIP_1) | instid1(SALU_CYCLE_1)
	v_cmp_ne_u16_e32 vcc_lo, 0, v3
	s_or_b32 s25, vcc_lo, s25
	s_and_not1_b32 exec_lo, exec_lo, s25
	s_cbranch_execnz .LBB2023_46
; %bb.47:
	s_or_b32 exec_lo, exec_lo, s25
.LBB2023_48:
	s_delay_alu instid0(SALU_CYCLE_1)
	s_or_b32 exec_lo, exec_lo, s24
	v_cmp_ne_u32_e32 vcc_lo, 31, v50
	v_lshlrev_b32_e64 v11, v50, -1
	v_add_nc_u32_e32 v13, 2, v50
	v_add_nc_u32_e32 v16, 4, v50
	v_add_nc_u32_e32 v53, 8, v50
	v_add_co_ci_u32_e32 v3, vcc_lo, 0, v50, vcc_lo
	v_add_nc_u32_e32 v55, 16, v50
	s_delay_alu instid0(VALU_DEP_2) | instskip(SKIP_2) | instid1(VALU_DEP_1)
	v_lshlrev_b32_e32 v10, 2, v3
	ds_bpermute_b32 v6, v10, v4
	v_and_b32_e32 v3, 0xff, v5
	v_cmp_eq_u16_e32 vcc_lo, 2, v3
	v_and_or_b32 v3, vcc_lo, v11, 0x80000000
	v_cmp_gt_u32_e32 vcc_lo, 30, v50
	s_delay_alu instid0(VALU_DEP_2) | instskip(SKIP_1) | instid1(VALU_DEP_2)
	v_ctz_i32_b32_e32 v3, v3
	v_cndmask_b32_e64 v7, 0, 1, vcc_lo
	v_cmp_lt_u32_e32 vcc_lo, v50, v3
	s_waitcnt lgkmcnt(0)
	s_delay_alu instid0(VALU_DEP_2) | instskip(NEXT) | instid1(VALU_DEP_1)
	v_dual_cndmask_b32 v6, 0, v6 :: v_dual_lshlrev_b32 v7, 1, v7
	v_add_lshl_u32 v12, v7, v50, 2
	v_cmp_gt_u32_e32 vcc_lo, 28, v50
	s_delay_alu instid0(VALU_DEP_3) | instskip(SKIP_4) | instid1(VALU_DEP_1)
	v_add_nc_u32_e32 v4, v6, v4
	v_cndmask_b32_e64 v7, 0, 1, vcc_lo
	v_cmp_le_u32_e32 vcc_lo, v13, v3
	ds_bpermute_b32 v6, v12, v4
	v_lshlrev_b32_e32 v7, 2, v7
	v_add_lshl_u32 v14, v7, v50, 2
	s_waitcnt lgkmcnt(0)
	v_cndmask_b32_e32 v6, 0, v6, vcc_lo
	v_cmp_gt_u32_e32 vcc_lo, 24, v50
	s_delay_alu instid0(VALU_DEP_2) | instskip(SKIP_4) | instid1(VALU_DEP_1)
	v_add_nc_u32_e32 v4, v4, v6
	v_cndmask_b32_e64 v7, 0, 1, vcc_lo
	v_cmp_le_u32_e32 vcc_lo, v16, v3
	ds_bpermute_b32 v6, v14, v4
	v_lshlrev_b32_e32 v7, 3, v7
	v_add_lshl_u32 v17, v7, v50, 2
	s_waitcnt lgkmcnt(0)
	v_cndmask_b32_e32 v6, 0, v6, vcc_lo
	v_cmp_gt_u32_e32 vcc_lo, 16, v50
	s_delay_alu instid0(VALU_DEP_2) | instskip(SKIP_4) | instid1(VALU_DEP_1)
	v_add_nc_u32_e32 v4, v4, v6
	v_cndmask_b32_e64 v7, 0, 1, vcc_lo
	v_cmp_le_u32_e32 vcc_lo, v53, v3
	ds_bpermute_b32 v6, v17, v4
	v_lshlrev_b32_e32 v7, 4, v7
	v_add_lshl_u32 v54, v7, v50, 2
	s_waitcnt lgkmcnt(0)
	v_cndmask_b32_e32 v6, 0, v6, vcc_lo
	v_cmp_le_u32_e32 vcc_lo, v55, v3
	s_delay_alu instid0(VALU_DEP_2) | instskip(SKIP_3) | instid1(VALU_DEP_1)
	v_add_nc_u32_e32 v4, v4, v6
	ds_bpermute_b32 v6, v54, v4
	s_waitcnt lgkmcnt(0)
	v_cndmask_b32_e32 v3, 0, v6, vcc_lo
	v_dual_mov_b32 v3, 0 :: v_dual_add_nc_u32 v4, v4, v3
	s_branch .LBB2023_50
.LBB2023_49:                            ;   in Loop: Header=BB2023_50 Depth=1
	s_or_b32 exec_lo, exec_lo, s24
	ds_bpermute_b32 v7, v10, v4
	v_and_b32_e32 v6, 0xff, v5
	v_subrev_nc_u32_e32 v2, 32, v2
	s_delay_alu instid0(VALU_DEP_2) | instskip(SKIP_1) | instid1(VALU_DEP_1)
	v_cmp_eq_u16_e32 vcc_lo, 2, v6
	v_and_or_b32 v6, vcc_lo, v11, 0x80000000
	v_ctz_i32_b32_e32 v6, v6
	s_delay_alu instid0(VALU_DEP_1) | instskip(SKIP_3) | instid1(VALU_DEP_2)
	v_cmp_lt_u32_e32 vcc_lo, v50, v6
	s_waitcnt lgkmcnt(0)
	v_cndmask_b32_e32 v7, 0, v7, vcc_lo
	v_cmp_le_u32_e32 vcc_lo, v13, v6
	v_add_nc_u32_e32 v4, v7, v4
	ds_bpermute_b32 v7, v12, v4
	s_waitcnt lgkmcnt(0)
	v_cndmask_b32_e32 v7, 0, v7, vcc_lo
	v_cmp_le_u32_e32 vcc_lo, v16, v6
	s_delay_alu instid0(VALU_DEP_2) | instskip(SKIP_4) | instid1(VALU_DEP_2)
	v_add_nc_u32_e32 v4, v4, v7
	ds_bpermute_b32 v7, v14, v4
	s_waitcnt lgkmcnt(0)
	v_cndmask_b32_e32 v7, 0, v7, vcc_lo
	v_cmp_le_u32_e32 vcc_lo, v53, v6
	v_add_nc_u32_e32 v4, v4, v7
	ds_bpermute_b32 v7, v17, v4
	s_waitcnt lgkmcnt(0)
	v_cndmask_b32_e32 v7, 0, v7, vcc_lo
	v_cmp_le_u32_e32 vcc_lo, v55, v6
	s_delay_alu instid0(VALU_DEP_2) | instskip(SKIP_3) | instid1(VALU_DEP_1)
	v_add_nc_u32_e32 v4, v4, v7
	ds_bpermute_b32 v7, v54, v4
	s_waitcnt lgkmcnt(0)
	v_cndmask_b32_e32 v6, 0, v7, vcc_lo
	v_add3_u32 v4, v6, v15, v4
.LBB2023_50:                            ; =>This Loop Header: Depth=1
                                        ;     Child Loop BB2023_53 Depth 2
	v_and_b32_e32 v5, 0xff, v5
	s_delay_alu instid0(VALU_DEP_2) | instskip(NEXT) | instid1(VALU_DEP_2)
	v_mov_b32_e32 v15, v4
	v_cmp_ne_u16_e32 vcc_lo, 2, v5
	v_cndmask_b32_e64 v5, 0, 1, vcc_lo
	;;#ASMSTART
	;;#ASMEND
	s_delay_alu instid0(VALU_DEP_1)
	v_cmp_ne_u32_e32 vcc_lo, 0, v5
	s_cmp_lg_u32 vcc_lo, exec_lo
	s_cbranch_scc1 .LBB2023_55
; %bb.51:                               ;   in Loop: Header=BB2023_50 Depth=1
	v_lshlrev_b64 v[4:5], 3, v[2:3]
	s_mov_b32 s24, exec_lo
	s_delay_alu instid0(VALU_DEP_1) | instskip(NEXT) | instid1(VALU_DEP_2)
	v_add_co_u32 v6, vcc_lo, s20, v4
	v_add_co_ci_u32_e32 v7, vcc_lo, s21, v5, vcc_lo
	global_load_b64 v[4:5], v[6:7], off glc
	s_waitcnt vmcnt(0)
	v_and_b32_e32 v56, 0xff, v5
	s_delay_alu instid0(VALU_DEP_1)
	v_cmpx_eq_u16_e32 0, v56
	s_cbranch_execz .LBB2023_49
; %bb.52:                               ;   in Loop: Header=BB2023_50 Depth=1
	s_mov_b32 s25, 0
.LBB2023_53:                            ;   Parent Loop BB2023_50 Depth=1
                                        ; =>  This Inner Loop Header: Depth=2
	global_load_b64 v[4:5], v[6:7], off glc
	s_waitcnt vmcnt(0)
	v_and_b32_e32 v56, 0xff, v5
	s_delay_alu instid0(VALU_DEP_1) | instskip(SKIP_1) | instid1(SALU_CYCLE_1)
	v_cmp_ne_u16_e32 vcc_lo, 0, v56
	s_or_b32 s25, vcc_lo, s25
	s_and_not1_b32 exec_lo, exec_lo, s25
	s_cbranch_execnz .LBB2023_53
; %bb.54:                               ;   in Loop: Header=BB2023_50 Depth=1
	s_or_b32 exec_lo, exec_lo, s25
	s_branch .LBB2023_49
.LBB2023_55:                            ;   in Loop: Header=BB2023_50 Depth=1
                                        ; implicit-def: $vgpr4
                                        ; implicit-def: $vgpr5
	s_cbranch_execz .LBB2023_50
; %bb.56:
	s_and_saveexec_b32 s24, s6
	s_cbranch_execz .LBB2023_58
; %bb.57:
	s_add_i32 s26, s15, 32
	s_mov_b32 s27, 0
	v_dual_mov_b32 v3, 2 :: v_dual_add_nc_u32 v2, v15, v1
	s_lshl_b64 s[26:27], s[26:27], 3
	v_mov_b32_e32 v4, 0
	v_add_nc_u32_e64 v5, 0x3400, 0
	s_add_u32 s26, s20, s26
	s_addc_u32 s27, s21, s27
	global_store_b64 v4, v[2:3], s[26:27]
	ds_store_2addr_b32 v5, v1, v15 offset1:2
.LBB2023_58:
	s_or_b32 exec_lo, exec_lo, s24
	v_cmp_eq_u32_e32 vcc_lo, 0, v0
	s_and_b32 exec_lo, exec_lo, vcc_lo
	s_cbranch_execz .LBB2023_60
; %bb.59:
	v_mov_b32_e32 v1, 0
	ds_store_b32 v1, v15 offset:28
.LBB2023_60:
	s_or_b32 exec_lo, exec_lo, s7
	s_waitcnt lgkmcnt(0)
	v_cndmask_b32_e64 v2, v9, v8, s6
	v_cmp_ne_u32_e32 vcc_lo, 0, v0
	v_mov_b32_e32 v1, 0
	s_waitcnt_vscnt null, 0x0
	s_barrier
	buffer_gl0_inv
	v_cndmask_b32_e32 v2, 0, v2, vcc_lo
	ds_load_b32 v1, v1 offset:28
	v_add_nc_u32_e64 v11, 0x3400, 0
	s_waitcnt lgkmcnt(0)
	s_barrier
	buffer_gl0_inv
	ds_load_2addr_b32 v[16:17], v11 offset1:2
	v_add_nc_u32_e32 v1, v1, v2
	s_delay_alu instid0(VALU_DEP_1) | instskip(NEXT) | instid1(VALU_DEP_1)
	v_add_nc_u32_e32 v2, v1, v41
	v_add_nc_u32_e32 v3, v2, v42
	s_delay_alu instid0(VALU_DEP_1) | instskip(NEXT) | instid1(VALU_DEP_1)
	v_add_nc_u32_e32 v4, v3, v43
	;; [unrolled: 3-line block ×6, first 2 shown]
	v_add_nc_u32_e32 v13, v12, v36
	s_branch .LBB2023_71
.LBB2023_61:
                                        ; implicit-def: $vgpr17
                                        ; implicit-def: $vgpr1_vgpr2_vgpr3_vgpr4_vgpr5_vgpr6_vgpr7_vgpr8_vgpr9_vgpr10_vgpr11_vgpr12_vgpr13_vgpr14_vgpr15_vgpr16
	s_and_b32 vcc_lo, exec_lo, s6
	s_cbranch_vccz .LBB2023_71
; %bb.62:
	s_delay_alu instid0(VALU_DEP_1) | instskip(NEXT) | instid1(VALU_DEP_1)
	v_mov_b32_dpp v1, v52 row_shr:1 row_mask:0xf bank_mask:0xf
	v_cndmask_b32_e64 v1, v1, 0, s5
	s_delay_alu instid0(VALU_DEP_1) | instskip(NEXT) | instid1(VALU_DEP_1)
	v_add_nc_u32_e32 v1, v1, v52
	v_mov_b32_dpp v2, v1 row_shr:2 row_mask:0xf bank_mask:0xf
	s_delay_alu instid0(VALU_DEP_1) | instskip(NEXT) | instid1(VALU_DEP_1)
	v_cndmask_b32_e64 v2, 0, v2, s4
	v_add_nc_u32_e32 v1, v1, v2
	s_delay_alu instid0(VALU_DEP_1) | instskip(NEXT) | instid1(VALU_DEP_1)
	v_mov_b32_dpp v2, v1 row_shr:4 row_mask:0xf bank_mask:0xf
	v_cndmask_b32_e64 v2, 0, v2, s3
	s_delay_alu instid0(VALU_DEP_1) | instskip(NEXT) | instid1(VALU_DEP_1)
	v_add_nc_u32_e32 v1, v1, v2
	v_mov_b32_dpp v2, v1 row_shr:8 row_mask:0xf bank_mask:0xf
	s_delay_alu instid0(VALU_DEP_1) | instskip(NEXT) | instid1(VALU_DEP_1)
	v_cndmask_b32_e64 v2, 0, v2, s2
	v_add_nc_u32_e32 v1, v1, v2
	ds_swizzle_b32 v2, v1 offset:swizzle(BROADCAST,32,15)
	s_waitcnt lgkmcnt(0)
	v_cndmask_b32_e64 v2, v2, 0, s1
	s_delay_alu instid0(VALU_DEP_1)
	v_add_nc_u32_e32 v1, v1, v2
	s_and_saveexec_b32 s1, s0
	s_cbranch_execz .LBB2023_64
; %bb.63:
	v_lshlrev_b32_e32 v2, 2, v51
	ds_store_b32 v2, v1
.LBB2023_64:
	s_or_b32 exec_lo, exec_lo, s1
	s_delay_alu instid0(SALU_CYCLE_1)
	s_mov_b32 s0, exec_lo
	s_waitcnt lgkmcnt(0)
	s_barrier
	buffer_gl0_inv
	v_cmpx_gt_u32_e32 8, v0
	s_cbranch_execz .LBB2023_66
; %bb.65:
	ds_load_b32 v2, v30
	s_waitcnt lgkmcnt(0)
	v_mov_b32_dpp v4, v2 row_shr:1 row_mask:0xf bank_mask:0xf
	v_and_b32_e32 v3, 7, v50
	s_delay_alu instid0(VALU_DEP_1) | instskip(NEXT) | instid1(VALU_DEP_3)
	v_cmp_ne_u32_e32 vcc_lo, 0, v3
	v_cndmask_b32_e32 v4, 0, v4, vcc_lo
	v_cmp_lt_u32_e32 vcc_lo, 1, v3
	s_delay_alu instid0(VALU_DEP_2) | instskip(NEXT) | instid1(VALU_DEP_1)
	v_add_nc_u32_e32 v2, v4, v2
	v_mov_b32_dpp v4, v2 row_shr:2 row_mask:0xf bank_mask:0xf
	s_delay_alu instid0(VALU_DEP_1) | instskip(SKIP_1) | instid1(VALU_DEP_2)
	v_cndmask_b32_e32 v4, 0, v4, vcc_lo
	v_cmp_lt_u32_e32 vcc_lo, 3, v3
	v_add_nc_u32_e32 v2, v2, v4
	s_delay_alu instid0(VALU_DEP_1) | instskip(NEXT) | instid1(VALU_DEP_1)
	v_mov_b32_dpp v4, v2 row_shr:4 row_mask:0xf bank_mask:0xf
	v_cndmask_b32_e32 v3, 0, v4, vcc_lo
	s_delay_alu instid0(VALU_DEP_1)
	v_add_nc_u32_e32 v2, v2, v3
	ds_store_b32 v30, v2
.LBB2023_66:
	s_or_b32 exec_lo, exec_lo, s0
	v_dual_mov_b32 v3, 0 :: v_dual_mov_b32 v2, 0
	s_mov_b32 s0, exec_lo
	s_waitcnt lgkmcnt(0)
	s_barrier
	buffer_gl0_inv
	v_cmpx_lt_u32_e32 31, v0
	s_cbranch_execz .LBB2023_68
; %bb.67:
	v_lshl_add_u32 v2, v51, 2, -4
	ds_load_b32 v2, v2
.LBB2023_68:
	s_or_b32 exec_lo, exec_lo, s0
	v_add_nc_u32_e32 v4, -1, v50
	ds_load_b32 v16, v3 offset:28
	s_waitcnt lgkmcnt(1)
	v_add_nc_u32_e32 v1, v2, v1
	v_cmp_gt_i32_e32 vcc_lo, 0, v4
	v_cndmask_b32_e32 v4, v4, v50, vcc_lo
	v_cmp_eq_u32_e32 vcc_lo, 0, v0
	s_delay_alu instid0(VALU_DEP_2)
	v_lshlrev_b32_e32 v4, 2, v4
	ds_bpermute_b32 v1, v4, v1
	s_and_saveexec_b32 s0, vcc_lo
	s_cbranch_execz .LBB2023_70
; %bb.69:
	v_mov_b32_e32 v3, 0
	v_mov_b32_e32 v17, 2
	s_waitcnt lgkmcnt(1)
	global_store_b64 v3, v[16:17], s[20:21] offset:256
.LBB2023_70:
	s_or_b32 exec_lo, exec_lo, s0
	v_cmp_eq_u32_e64 s0, 0, v50
	s_waitcnt lgkmcnt(0)
	s_waitcnt_vscnt null, 0x0
	s_barrier
	buffer_gl0_inv
	v_mov_b32_e32 v17, 0
	v_cndmask_b32_e64 v1, v1, v2, s0
	s_delay_alu instid0(VALU_DEP_1) | instskip(NEXT) | instid1(VALU_DEP_1)
	v_cndmask_b32_e64 v1, v1, 0, vcc_lo
	v_add_nc_u32_e32 v2, v1, v41
	s_delay_alu instid0(VALU_DEP_1) | instskip(NEXT) | instid1(VALU_DEP_1)
	v_add_nc_u32_e32 v3, v2, v42
	v_add_nc_u32_e32 v4, v3, v43
	s_delay_alu instid0(VALU_DEP_1) | instskip(NEXT) | instid1(VALU_DEP_1)
	v_add_nc_u32_e32 v5, v4, v40
	;; [unrolled: 3-line block ×5, first 2 shown]
	v_add_nc_u32_e32 v12, v11, v49
	s_delay_alu instid0(VALU_DEP_1)
	v_add_nc_u32_e32 v13, v12, v36
.LBB2023_71:
	v_lshrrev_b32_e32 v44, 8, v39
	v_lshrrev_b32_e32 v43, 16, v39
	s_waitcnt lgkmcnt(0)
	v_sub_nc_u32_e32 v1, v1, v17
	v_and_b32_e32 v39, 1, v39
	v_sub_nc_u32_e32 v3, v3, v17
	v_add_nc_u32_e32 v33, v16, v33
	v_sub_nc_u32_e32 v2, v2, v17
	v_sub_nc_u32_e32 v4, v4, v17
	v_cmp_eq_u32_e32 vcc_lo, 1, v39
	v_and_b32_e32 v39, 1, v43
	v_sub_nc_u32_e32 v45, v33, v1
	v_and_b32_e32 v44, 1, v44
	v_sub_nc_u32_e32 v43, v33, v2
	v_lshrrev_b32_e32 v42, 8, v37
	v_lshrrev_b32_e32 v41, 16, v37
	v_cndmask_b32_e32 v1, v45, v1, vcc_lo
	v_sub_nc_u32_e32 v45, v33, v3
	v_add_nc_u32_e32 v43, 1, v43
	v_cmp_eq_u32_e32 vcc_lo, 1, v44
	v_and_b32_e32 v40, 1, v40
	v_lshlrev_b32_e32 v1, 2, v1
	v_add_nc_u32_e32 v45, 2, v45
	v_lshrrev_b32_e32 v15, 8, v35
	v_lshrrev_b32_e32 v14, 16, v35
	ds_store_b32 v1, v28
	v_cndmask_b32_e32 v1, v43, v2, vcc_lo
	v_cmp_eq_u32_e32 vcc_lo, 1, v39
	v_or_b32_e32 v28, 0x500, v0
	s_delay_alu instid0(VALU_DEP_3)
	v_dual_cndmask_b32 v2, v45, v3 :: v_dual_lshlrev_b32 v1, 2, v1
	v_sub_nc_u32_e32 v46, v33, v4
	v_cmp_eq_u32_e32 vcc_lo, 1, v40
	ds_store_b32 v1, v29
	v_lshlrev_b32_e32 v2, 2, v2
	v_add_nc_u32_e32 v46, 3, v46
	v_or_b32_e32 v29, 0x400, v0
	s_delay_alu instid0(VALU_DEP_2) | instskip(SKIP_2) | instid1(VALU_DEP_3)
	v_cndmask_b32_e32 v3, v46, v4, vcc_lo
	v_sub_nc_u32_e32 v4, v5, v17
	v_sub_nc_u32_e32 v5, v6, v17
	v_lshlrev_b32_e32 v3, 2, v3
	s_delay_alu instid0(VALU_DEP_3) | instskip(NEXT) | instid1(VALU_DEP_3)
	v_sub_nc_u32_e32 v1, v33, v4
	v_sub_nc_u32_e32 v6, v33, v5
	ds_store_b32 v2, v26
	ds_store_b32 v3, v27
	v_and_b32_e32 v2, 1, v37
	v_add_nc_u32_e32 v1, 4, v1
	v_add_nc_u32_e32 v3, 5, v6
	v_sub_nc_u32_e32 v6, v7, v17
	v_and_b32_e32 v7, 1, v42
	v_cmp_eq_u32_e32 vcc_lo, 1, v2
	v_sub_nc_u32_e32 v2, v8, v17
	v_and_b32_e32 v8, 1, v38
	v_or_b32_e32 v27, 0x600, v0
	v_or_b32_e32 v26, 0x700, v0
	v_cndmask_b32_e32 v1, v1, v4, vcc_lo
	v_sub_nc_u32_e32 v4, v33, v6
	v_cmp_eq_u32_e32 vcc_lo, 1, v7
	v_and_b32_e32 v7, 1, v41
	s_delay_alu instid0(VALU_DEP_4) | instskip(NEXT) | instid1(VALU_DEP_4)
	v_lshlrev_b32_e32 v1, 2, v1
	v_dual_cndmask_b32 v3, v3, v5 :: v_dual_add_nc_u32 v4, 6, v4
	v_sub_nc_u32_e32 v5, v33, v2
	s_delay_alu instid0(VALU_DEP_4) | instskip(SKIP_1) | instid1(VALU_DEP_4)
	v_cmp_eq_u32_e32 vcc_lo, 1, v7
	v_sub_nc_u32_e32 v7, v13, v17
	v_lshlrev_b32_e32 v3, 2, v3
	s_delay_alu instid0(VALU_DEP_4)
	v_dual_cndmask_b32 v4, v4, v6 :: v_dual_add_nc_u32 v5, 7, v5
	v_cmp_eq_u32_e32 vcc_lo, 1, v8
	v_sub_nc_u32_e32 v6, v9, v17
	ds_store_b32 v1, v24
	ds_store_b32 v3, v25
	v_or_b32_e32 v25, 0x800, v0
	v_dual_cndmask_b32 v2, v5, v2 :: v_dual_lshlrev_b32 v3, 2, v4
	v_and_b32_e32 v5, 1, v35
	v_sub_nc_u32_e32 v1, v33, v6
	v_sub_nc_u32_e32 v4, v10, v17
	v_and_b32_e32 v10, 1, v36
	v_or_b32_e32 v24, 0x900, v0
	v_cmp_eq_u32_e32 vcc_lo, 1, v5
	v_sub_nc_u32_e32 v5, v12, v17
	v_add_nc_u32_e32 v1, 8, v1
	s_delay_alu instid0(VALU_DEP_2) | instskip(NEXT) | instid1(VALU_DEP_2)
	v_sub_nc_u32_e32 v9, v33, v5
	v_dual_cndmask_b32 v1, v1, v6 :: v_dual_and_b32 v6, 1, v15
	v_add_co_u32 v15, s0, s18, v17
	s_delay_alu instid0(VALU_DEP_3)
	v_add_nc_u32_e32 v9, 11, v9
	v_lshlrev_b32_e32 v2, 2, v2
	ds_store_b32 v3, v22
	ds_store_b32 v2, v23
	v_sub_nc_u32_e32 v3, v11, v17
	v_sub_nc_u32_e32 v2, v33, v4
	v_cmp_eq_u32_e32 vcc_lo, 1, v6
	v_and_b32_e32 v11, 1, v34
	v_lshlrev_b32_e32 v1, 2, v1
	v_sub_nc_u32_e32 v8, v33, v3
	v_add_nc_u32_e32 v2, 9, v2
	v_add_co_ci_u32_e64 v17, null, s19, 0, s0
	s_add_u32 s0, s16, s23
	s_delay_alu instid0(VALU_DEP_3)
	v_add_nc_u32_e32 v6, 10, v8
	v_and_b32_e32 v8, 1, v14
	v_cndmask_b32_e32 v2, v2, v4, vcc_lo
	v_sub_nc_u32_e32 v4, v33, v7
	s_addc_u32 s1, s17, 0
	s_sub_u32 s0, s12, s0
	v_cmp_eq_u32_e32 vcc_lo, 1, v8
	v_lshlrev_b32_e32 v2, 2, v2
	v_add_nc_u32_e32 v4, 12, v4
	s_subb_u32 s1, s13, s1
	v_add_co_u32 v13, s0, s0, v16
	v_cndmask_b32_e32 v3, v6, v3, vcc_lo
	v_cmp_eq_u32_e32 vcc_lo, 1, v10
	v_add_co_ci_u32_e64 v14, null, s1, 0, s0
	v_or_b32_e32 v34, 0x100, v0
	s_delay_alu instid0(VALU_DEP_4)
	v_lshlrev_b32_e32 v3, 2, v3
	v_cndmask_b32_e32 v5, v9, v5, vcc_lo
	v_cmp_eq_u32_e32 vcc_lo, 1, v11
	v_or_b32_e32 v33, 0x200, v0
	v_or_b32_e32 v23, 0xa00, v0
	v_or_b32_e32 v22, 0xb00, v0
	v_dual_cndmask_b32 v4, v4, v7 :: v_dual_lshlrev_b32 v5, 2, v5
	v_cmp_ne_u32_e32 vcc_lo, 1, v31
	s_delay_alu instid0(VALU_DEP_2)
	v_lshlrev_b32_e32 v4, 2, v4
	ds_store_b32 v1, v20
	ds_store_b32 v2, v21
	;; [unrolled: 1-line block ×5, first 2 shown]
	s_waitcnt lgkmcnt(0)
	s_barrier
	buffer_gl0_inv
	ds_load_2addr_stride64_b32 v[11:12], v30 offset1:4
	ds_load_2addr_stride64_b32 v[9:10], v30 offset0:8 offset1:12
	ds_load_2addr_stride64_b32 v[7:8], v30 offset0:16 offset1:20
	;; [unrolled: 1-line block ×5, first 2 shown]
	ds_load_b32 v18, v30 offset:12288
	v_add_co_u32 v20, s0, v13, v15
	v_or_b32_e32 v32, 0x300, v0
	v_or_b32_e32 v19, 0xc00, v0
	v_add_co_ci_u32_e64 v21, s0, v14, v17, s0
	s_mov_b32 s0, 0
	s_cbranch_vccnz .LBB2023_125
; %bb.72:
	s_mov_b32 s0, exec_lo
                                        ; implicit-def: $vgpr13_vgpr14
	v_cmpx_ge_u32_e64 v0, v16
	s_xor_b32 s0, exec_lo, s0
; %bb.73:
	v_not_b32_e32 v13, v0
	s_delay_alu instid0(VALU_DEP_1) | instskip(SKIP_1) | instid1(VALU_DEP_2)
	v_ashrrev_i32_e32 v14, 31, v13
	v_add_co_u32 v13, vcc_lo, v20, v13
	v_add_co_ci_u32_e32 v14, vcc_lo, v21, v14, vcc_lo
; %bb.74:
	s_and_not1_saveexec_b32 s0, s0
; %bb.75:
	v_add_co_u32 v13, vcc_lo, v15, v0
	v_add_co_ci_u32_e32 v14, vcc_lo, 0, v17, vcc_lo
; %bb.76:
	s_or_b32 exec_lo, exec_lo, s0
	s_delay_alu instid0(VALU_DEP_1) | instskip(SKIP_1) | instid1(VALU_DEP_1)
	v_lshlrev_b64 v[13:14], 2, v[13:14]
	s_mov_b32 s0, exec_lo
	v_add_co_u32 v13, vcc_lo, s10, v13
	s_delay_alu instid0(VALU_DEP_2)
	v_add_co_ci_u32_e32 v14, vcc_lo, s11, v14, vcc_lo
	s_waitcnt lgkmcnt(6)
	global_store_b32 v[13:14], v11, off
                                        ; implicit-def: $vgpr13_vgpr14
	v_cmpx_ge_u32_e64 v34, v16
	s_xor_b32 s0, exec_lo, s0
; %bb.77:
	v_xor_b32_e32 v13, 0xfffffeff, v0
	s_delay_alu instid0(VALU_DEP_1) | instskip(SKIP_1) | instid1(VALU_DEP_2)
	v_ashrrev_i32_e32 v14, 31, v13
	v_add_co_u32 v13, vcc_lo, v20, v13
	v_add_co_ci_u32_e32 v14, vcc_lo, v21, v14, vcc_lo
; %bb.78:
	s_and_not1_saveexec_b32 s0, s0
; %bb.79:
	v_add_co_u32 v13, vcc_lo, v15, v34
	v_add_co_ci_u32_e32 v14, vcc_lo, 0, v17, vcc_lo
; %bb.80:
	s_or_b32 exec_lo, exec_lo, s0
	s_delay_alu instid0(VALU_DEP_1) | instskip(SKIP_1) | instid1(VALU_DEP_1)
	v_lshlrev_b64 v[13:14], 2, v[13:14]
	s_mov_b32 s0, exec_lo
	v_add_co_u32 v13, vcc_lo, s10, v13
	s_delay_alu instid0(VALU_DEP_2)
	v_add_co_ci_u32_e32 v14, vcc_lo, s11, v14, vcc_lo
	global_store_b32 v[13:14], v12, off
                                        ; implicit-def: $vgpr13_vgpr14
	v_cmpx_ge_u32_e64 v33, v16
	s_xor_b32 s0, exec_lo, s0
; %bb.81:
	v_xor_b32_e32 v13, 0xfffffdff, v0
	s_delay_alu instid0(VALU_DEP_1) | instskip(SKIP_1) | instid1(VALU_DEP_2)
	v_ashrrev_i32_e32 v14, 31, v13
	v_add_co_u32 v13, vcc_lo, v20, v13
	v_add_co_ci_u32_e32 v14, vcc_lo, v21, v14, vcc_lo
; %bb.82:
	s_and_not1_saveexec_b32 s0, s0
; %bb.83:
	v_add_co_u32 v13, vcc_lo, v15, v33
	v_add_co_ci_u32_e32 v14, vcc_lo, 0, v17, vcc_lo
; %bb.84:
	s_or_b32 exec_lo, exec_lo, s0
	s_delay_alu instid0(VALU_DEP_1) | instskip(SKIP_1) | instid1(VALU_DEP_1)
	v_lshlrev_b64 v[13:14], 2, v[13:14]
	s_mov_b32 s0, exec_lo
	v_add_co_u32 v13, vcc_lo, s10, v13
	s_delay_alu instid0(VALU_DEP_2)
	v_add_co_ci_u32_e32 v14, vcc_lo, s11, v14, vcc_lo
	s_waitcnt lgkmcnt(5)
	global_store_b32 v[13:14], v9, off
                                        ; implicit-def: $vgpr13_vgpr14
	v_cmpx_ge_u32_e64 v32, v16
	s_xor_b32 s0, exec_lo, s0
; %bb.85:
	v_xor_b32_e32 v13, 0xfffffcff, v0
	s_delay_alu instid0(VALU_DEP_1) | instskip(SKIP_1) | instid1(VALU_DEP_2)
	v_ashrrev_i32_e32 v14, 31, v13
	v_add_co_u32 v13, vcc_lo, v20, v13
	v_add_co_ci_u32_e32 v14, vcc_lo, v21, v14, vcc_lo
; %bb.86:
	s_and_not1_saveexec_b32 s0, s0
; %bb.87:
	v_add_co_u32 v13, vcc_lo, v15, v32
	v_add_co_ci_u32_e32 v14, vcc_lo, 0, v17, vcc_lo
; %bb.88:
	s_or_b32 exec_lo, exec_lo, s0
	s_delay_alu instid0(VALU_DEP_1) | instskip(SKIP_1) | instid1(VALU_DEP_1)
	v_lshlrev_b64 v[13:14], 2, v[13:14]
	s_mov_b32 s0, exec_lo
	v_add_co_u32 v13, vcc_lo, s10, v13
	s_delay_alu instid0(VALU_DEP_2)
	v_add_co_ci_u32_e32 v14, vcc_lo, s11, v14, vcc_lo
	global_store_b32 v[13:14], v10, off
                                        ; implicit-def: $vgpr13_vgpr14
	v_cmpx_ge_u32_e64 v29, v16
	s_xor_b32 s0, exec_lo, s0
; %bb.89:
	v_xor_b32_e32 v13, 0xfffffbff, v0
	;; [unrolled: 47-line block ×6, first 2 shown]
	s_delay_alu instid0(VALU_DEP_1) | instskip(SKIP_1) | instid1(VALU_DEP_2)
	v_ashrrev_i32_e32 v14, 31, v13
	v_add_co_u32 v13, vcc_lo, v20, v13
	v_add_co_ci_u32_e32 v14, vcc_lo, v21, v14, vcc_lo
; %bb.122:
	s_and_not1_saveexec_b32 s0, s0
; %bb.123:
	v_add_co_u32 v13, vcc_lo, v15, v19
	v_add_co_ci_u32_e32 v14, vcc_lo, 0, v17, vcc_lo
; %bb.124:
	s_or_b32 exec_lo, exec_lo, s0
	s_mov_b32 s0, -1
	s_branch .LBB2023_205
.LBB2023_125:
                                        ; implicit-def: $vgpr13_vgpr14
	s_cbranch_execz .LBB2023_205
; %bb.126:
	s_mov_b32 s1, exec_lo
	v_cmpx_gt_u32_e64 s22, v0
	s_cbranch_execz .LBB2023_162
; %bb.127:
	s_mov_b32 s2, exec_lo
                                        ; implicit-def: $vgpr13_vgpr14
	v_cmpx_ge_u32_e64 v0, v16
	s_xor_b32 s2, exec_lo, s2
; %bb.128:
	v_not_b32_e32 v13, v0
	s_delay_alu instid0(VALU_DEP_1) | instskip(SKIP_1) | instid1(VALU_DEP_2)
	v_ashrrev_i32_e32 v14, 31, v13
	v_add_co_u32 v13, vcc_lo, v20, v13
	v_add_co_ci_u32_e32 v14, vcc_lo, v21, v14, vcc_lo
; %bb.129:
	s_and_not1_saveexec_b32 s2, s2
; %bb.130:
	v_add_co_u32 v13, vcc_lo, v15, v0
	v_add_co_ci_u32_e32 v14, vcc_lo, 0, v17, vcc_lo
; %bb.131:
	s_or_b32 exec_lo, exec_lo, s2
	s_delay_alu instid0(VALU_DEP_1) | instskip(NEXT) | instid1(VALU_DEP_1)
	v_lshlrev_b64 v[13:14], 2, v[13:14]
	v_add_co_u32 v13, vcc_lo, s10, v13
	s_delay_alu instid0(VALU_DEP_2) | instskip(SKIP_3) | instid1(SALU_CYCLE_1)
	v_add_co_ci_u32_e32 v14, vcc_lo, s11, v14, vcc_lo
	s_waitcnt lgkmcnt(6)
	global_store_b32 v[13:14], v11, off
	s_or_b32 exec_lo, exec_lo, s1
	s_mov_b32 s1, exec_lo
	v_cmpx_gt_u32_e64 s22, v34
	s_cbranch_execnz .LBB2023_163
.LBB2023_132:
	s_or_b32 exec_lo, exec_lo, s1
	s_delay_alu instid0(SALU_CYCLE_1)
	s_mov_b32 s1, exec_lo
	v_cmpx_gt_u32_e64 s22, v33
	s_cbranch_execz .LBB2023_168
.LBB2023_133:
	s_mov_b32 s2, exec_lo
                                        ; implicit-def: $vgpr11_vgpr12
	v_cmpx_ge_u32_e64 v33, v16
	s_xor_b32 s2, exec_lo, s2
	s_cbranch_execz .LBB2023_135
; %bb.134:
	s_waitcnt lgkmcnt(6)
	v_xor_b32_e32 v11, 0xfffffdff, v0
                                        ; implicit-def: $vgpr33
	s_delay_alu instid0(VALU_DEP_1) | instskip(SKIP_1) | instid1(VALU_DEP_2)
	v_ashrrev_i32_e32 v12, 31, v11
	v_add_co_u32 v11, vcc_lo, v20, v11
	v_add_co_ci_u32_e32 v12, vcc_lo, v21, v12, vcc_lo
.LBB2023_135:
	s_and_not1_saveexec_b32 s2, s2
	s_cbranch_execz .LBB2023_137
; %bb.136:
	s_waitcnt lgkmcnt(6)
	v_add_co_u32 v11, vcc_lo, v15, v33
	v_add_co_ci_u32_e32 v12, vcc_lo, 0, v17, vcc_lo
.LBB2023_137:
	s_or_b32 exec_lo, exec_lo, s2
	s_waitcnt lgkmcnt(6)
	s_delay_alu instid0(VALU_DEP_1) | instskip(NEXT) | instid1(VALU_DEP_1)
	v_lshlrev_b64 v[11:12], 2, v[11:12]
	v_add_co_u32 v11, vcc_lo, s10, v11
	s_delay_alu instid0(VALU_DEP_2) | instskip(SKIP_3) | instid1(SALU_CYCLE_1)
	v_add_co_ci_u32_e32 v12, vcc_lo, s11, v12, vcc_lo
	s_waitcnt lgkmcnt(5)
	global_store_b32 v[11:12], v9, off
	s_or_b32 exec_lo, exec_lo, s1
	s_mov_b32 s1, exec_lo
	v_cmpx_gt_u32_e64 s22, v32
	s_cbranch_execnz .LBB2023_169
.LBB2023_138:
	s_or_b32 exec_lo, exec_lo, s1
	s_delay_alu instid0(SALU_CYCLE_1)
	s_mov_b32 s1, exec_lo
	v_cmpx_gt_u32_e64 s22, v29
	s_cbranch_execz .LBB2023_174
.LBB2023_139:
	s_mov_b32 s2, exec_lo
                                        ; implicit-def: $vgpr9_vgpr10
	v_cmpx_ge_u32_e64 v29, v16
	s_xor_b32 s2, exec_lo, s2
	s_cbranch_execz .LBB2023_141
; %bb.140:
	s_waitcnt lgkmcnt(5)
	v_xor_b32_e32 v9, 0xfffffbff, v0
                                        ; implicit-def: $vgpr29
	s_delay_alu instid0(VALU_DEP_1) | instskip(SKIP_1) | instid1(VALU_DEP_2)
	v_ashrrev_i32_e32 v10, 31, v9
	v_add_co_u32 v9, vcc_lo, v20, v9
	v_add_co_ci_u32_e32 v10, vcc_lo, v21, v10, vcc_lo
.LBB2023_141:
	s_and_not1_saveexec_b32 s2, s2
	s_cbranch_execz .LBB2023_143
; %bb.142:
	s_waitcnt lgkmcnt(5)
	v_add_co_u32 v9, vcc_lo, v15, v29
	v_add_co_ci_u32_e32 v10, vcc_lo, 0, v17, vcc_lo
.LBB2023_143:
	s_or_b32 exec_lo, exec_lo, s2
	s_waitcnt lgkmcnt(5)
	s_delay_alu instid0(VALU_DEP_1) | instskip(NEXT) | instid1(VALU_DEP_1)
	v_lshlrev_b64 v[9:10], 2, v[9:10]
	v_add_co_u32 v9, vcc_lo, s10, v9
	s_delay_alu instid0(VALU_DEP_2) | instskip(SKIP_3) | instid1(SALU_CYCLE_1)
	v_add_co_ci_u32_e32 v10, vcc_lo, s11, v10, vcc_lo
	s_waitcnt lgkmcnt(4)
	global_store_b32 v[9:10], v7, off
	s_or_b32 exec_lo, exec_lo, s1
	s_mov_b32 s1, exec_lo
	v_cmpx_gt_u32_e64 s22, v28
	s_cbranch_execnz .LBB2023_175
.LBB2023_144:
	s_or_b32 exec_lo, exec_lo, s1
	s_delay_alu instid0(SALU_CYCLE_1)
	s_mov_b32 s1, exec_lo
	v_cmpx_gt_u32_e64 s22, v27
	s_cbranch_execz .LBB2023_180
.LBB2023_145:
	s_mov_b32 s2, exec_lo
                                        ; implicit-def: $vgpr7_vgpr8
	v_cmpx_ge_u32_e64 v27, v16
	s_xor_b32 s2, exec_lo, s2
	s_cbranch_execz .LBB2023_147
; %bb.146:
	s_waitcnt lgkmcnt(4)
	v_xor_b32_e32 v7, 0xfffff9ff, v0
                                        ; implicit-def: $vgpr27
	s_delay_alu instid0(VALU_DEP_1) | instskip(SKIP_1) | instid1(VALU_DEP_2)
	v_ashrrev_i32_e32 v8, 31, v7
	v_add_co_u32 v7, vcc_lo, v20, v7
	v_add_co_ci_u32_e32 v8, vcc_lo, v21, v8, vcc_lo
.LBB2023_147:
	s_and_not1_saveexec_b32 s2, s2
	s_cbranch_execz .LBB2023_149
; %bb.148:
	s_waitcnt lgkmcnt(4)
	v_add_co_u32 v7, vcc_lo, v15, v27
	v_add_co_ci_u32_e32 v8, vcc_lo, 0, v17, vcc_lo
.LBB2023_149:
	s_or_b32 exec_lo, exec_lo, s2
	s_waitcnt lgkmcnt(4)
	s_delay_alu instid0(VALU_DEP_1) | instskip(NEXT) | instid1(VALU_DEP_1)
	v_lshlrev_b64 v[7:8], 2, v[7:8]
	v_add_co_u32 v7, vcc_lo, s10, v7
	s_delay_alu instid0(VALU_DEP_2) | instskip(SKIP_3) | instid1(SALU_CYCLE_1)
	v_add_co_ci_u32_e32 v8, vcc_lo, s11, v8, vcc_lo
	s_waitcnt lgkmcnt(3)
	global_store_b32 v[7:8], v5, off
	s_or_b32 exec_lo, exec_lo, s1
	s_mov_b32 s1, exec_lo
	v_cmpx_gt_u32_e64 s22, v26
	s_cbranch_execnz .LBB2023_181
.LBB2023_150:
	s_or_b32 exec_lo, exec_lo, s1
	s_delay_alu instid0(SALU_CYCLE_1)
	s_mov_b32 s1, exec_lo
	v_cmpx_gt_u32_e64 s22, v25
	s_cbranch_execz .LBB2023_186
.LBB2023_151:
	s_mov_b32 s2, exec_lo
                                        ; implicit-def: $vgpr5_vgpr6
	v_cmpx_ge_u32_e64 v25, v16
	s_xor_b32 s2, exec_lo, s2
	s_cbranch_execz .LBB2023_153
; %bb.152:
	s_waitcnt lgkmcnt(3)
	v_xor_b32_e32 v5, 0xfffff7ff, v0
                                        ; implicit-def: $vgpr25
	s_delay_alu instid0(VALU_DEP_1) | instskip(SKIP_1) | instid1(VALU_DEP_2)
	v_ashrrev_i32_e32 v6, 31, v5
	v_add_co_u32 v5, vcc_lo, v20, v5
	v_add_co_ci_u32_e32 v6, vcc_lo, v21, v6, vcc_lo
.LBB2023_153:
	s_and_not1_saveexec_b32 s2, s2
	s_cbranch_execz .LBB2023_155
; %bb.154:
	s_waitcnt lgkmcnt(3)
	v_add_co_u32 v5, vcc_lo, v15, v25
	v_add_co_ci_u32_e32 v6, vcc_lo, 0, v17, vcc_lo
.LBB2023_155:
	s_or_b32 exec_lo, exec_lo, s2
	s_waitcnt lgkmcnt(3)
	s_delay_alu instid0(VALU_DEP_1) | instskip(NEXT) | instid1(VALU_DEP_1)
	v_lshlrev_b64 v[5:6], 2, v[5:6]
	v_add_co_u32 v5, vcc_lo, s10, v5
	s_delay_alu instid0(VALU_DEP_2) | instskip(SKIP_3) | instid1(SALU_CYCLE_1)
	v_add_co_ci_u32_e32 v6, vcc_lo, s11, v6, vcc_lo
	s_waitcnt lgkmcnt(2)
	global_store_b32 v[5:6], v3, off
	s_or_b32 exec_lo, exec_lo, s1
	s_mov_b32 s1, exec_lo
	v_cmpx_gt_u32_e64 s22, v24
	s_cbranch_execnz .LBB2023_187
.LBB2023_156:
	s_or_b32 exec_lo, exec_lo, s1
	s_delay_alu instid0(SALU_CYCLE_1)
	s_mov_b32 s1, exec_lo
	v_cmpx_gt_u32_e64 s22, v23
	s_cbranch_execz .LBB2023_192
.LBB2023_157:
	s_mov_b32 s2, exec_lo
                                        ; implicit-def: $vgpr3_vgpr4
	v_cmpx_ge_u32_e64 v23, v16
	s_xor_b32 s2, exec_lo, s2
	s_cbranch_execz .LBB2023_159
; %bb.158:
	s_waitcnt lgkmcnt(2)
	v_xor_b32_e32 v3, 0xfffff5ff, v0
                                        ; implicit-def: $vgpr23
	s_delay_alu instid0(VALU_DEP_1) | instskip(SKIP_1) | instid1(VALU_DEP_2)
	v_ashrrev_i32_e32 v4, 31, v3
	v_add_co_u32 v3, vcc_lo, v20, v3
	v_add_co_ci_u32_e32 v4, vcc_lo, v21, v4, vcc_lo
.LBB2023_159:
	s_and_not1_saveexec_b32 s2, s2
	s_cbranch_execz .LBB2023_161
; %bb.160:
	s_waitcnt lgkmcnt(2)
	v_add_co_u32 v3, vcc_lo, v15, v23
	v_add_co_ci_u32_e32 v4, vcc_lo, 0, v17, vcc_lo
.LBB2023_161:
	s_or_b32 exec_lo, exec_lo, s2
	s_waitcnt lgkmcnt(2)
	s_delay_alu instid0(VALU_DEP_1) | instskip(NEXT) | instid1(VALU_DEP_1)
	v_lshlrev_b64 v[3:4], 2, v[3:4]
	v_add_co_u32 v3, vcc_lo, s10, v3
	s_delay_alu instid0(VALU_DEP_2) | instskip(SKIP_3) | instid1(SALU_CYCLE_1)
	v_add_co_ci_u32_e32 v4, vcc_lo, s11, v4, vcc_lo
	s_waitcnt lgkmcnt(1)
	global_store_b32 v[3:4], v1, off
	s_or_b32 exec_lo, exec_lo, s1
	s_mov_b32 s1, exec_lo
	v_cmpx_gt_u32_e64 s22, v22
	s_cbranch_execz .LBB2023_198
	s_branch .LBB2023_193
.LBB2023_162:
	s_or_b32 exec_lo, exec_lo, s1
	s_delay_alu instid0(SALU_CYCLE_1)
	s_mov_b32 s1, exec_lo
	v_cmpx_gt_u32_e64 s22, v34
	s_cbranch_execz .LBB2023_132
.LBB2023_163:
	s_mov_b32 s2, exec_lo
                                        ; implicit-def: $vgpr13_vgpr14
	v_cmpx_ge_u32_e64 v34, v16
	s_xor_b32 s2, exec_lo, s2
	s_cbranch_execz .LBB2023_165
; %bb.164:
	s_waitcnt lgkmcnt(6)
	v_xor_b32_e32 v11, 0xfffffeff, v0
                                        ; implicit-def: $vgpr34
	s_delay_alu instid0(VALU_DEP_1) | instskip(SKIP_1) | instid1(VALU_DEP_2)
	v_ashrrev_i32_e32 v14, 31, v11
	v_add_co_u32 v13, vcc_lo, v20, v11
	v_add_co_ci_u32_e32 v14, vcc_lo, v21, v14, vcc_lo
.LBB2023_165:
	s_and_not1_saveexec_b32 s2, s2
; %bb.166:
	v_add_co_u32 v13, vcc_lo, v15, v34
	v_add_co_ci_u32_e32 v14, vcc_lo, 0, v17, vcc_lo
; %bb.167:
	s_or_b32 exec_lo, exec_lo, s2
	s_delay_alu instid0(VALU_DEP_1) | instskip(NEXT) | instid1(VALU_DEP_1)
	v_lshlrev_b64 v[13:14], 2, v[13:14]
	v_add_co_u32 v13, vcc_lo, s10, v13
	s_delay_alu instid0(VALU_DEP_2) | instskip(SKIP_3) | instid1(SALU_CYCLE_1)
	v_add_co_ci_u32_e32 v14, vcc_lo, s11, v14, vcc_lo
	s_waitcnt lgkmcnt(6)
	global_store_b32 v[13:14], v12, off
	s_or_b32 exec_lo, exec_lo, s1
	s_mov_b32 s1, exec_lo
	v_cmpx_gt_u32_e64 s22, v33
	s_cbranch_execnz .LBB2023_133
.LBB2023_168:
	s_or_b32 exec_lo, exec_lo, s1
	s_delay_alu instid0(SALU_CYCLE_1)
	s_mov_b32 s1, exec_lo
	v_cmpx_gt_u32_e64 s22, v32
	s_cbranch_execz .LBB2023_138
.LBB2023_169:
	s_mov_b32 s2, exec_lo
                                        ; implicit-def: $vgpr11_vgpr12
	v_cmpx_ge_u32_e64 v32, v16
	s_xor_b32 s2, exec_lo, s2
	s_cbranch_execz .LBB2023_171
; %bb.170:
	s_waitcnt lgkmcnt(5)
	v_xor_b32_e32 v9, 0xfffffcff, v0
                                        ; implicit-def: $vgpr32
	s_delay_alu instid0(VALU_DEP_1) | instskip(SKIP_1) | instid1(VALU_DEP_2)
	v_ashrrev_i32_e32 v12, 31, v9
	v_add_co_u32 v11, vcc_lo, v20, v9
	v_add_co_ci_u32_e32 v12, vcc_lo, v21, v12, vcc_lo
.LBB2023_171:
	s_and_not1_saveexec_b32 s2, s2
	s_cbranch_execz .LBB2023_173
; %bb.172:
	s_waitcnt lgkmcnt(6)
	v_add_co_u32 v11, vcc_lo, v15, v32
	v_add_co_ci_u32_e32 v12, vcc_lo, 0, v17, vcc_lo
.LBB2023_173:
	s_or_b32 exec_lo, exec_lo, s2
	s_waitcnt lgkmcnt(6)
	s_delay_alu instid0(VALU_DEP_1) | instskip(NEXT) | instid1(VALU_DEP_1)
	v_lshlrev_b64 v[11:12], 2, v[11:12]
	v_add_co_u32 v11, vcc_lo, s10, v11
	s_delay_alu instid0(VALU_DEP_2) | instskip(SKIP_3) | instid1(SALU_CYCLE_1)
	v_add_co_ci_u32_e32 v12, vcc_lo, s11, v12, vcc_lo
	s_waitcnt lgkmcnt(5)
	global_store_b32 v[11:12], v10, off
	s_or_b32 exec_lo, exec_lo, s1
	s_mov_b32 s1, exec_lo
	v_cmpx_gt_u32_e64 s22, v29
	s_cbranch_execnz .LBB2023_139
.LBB2023_174:
	s_or_b32 exec_lo, exec_lo, s1
	s_delay_alu instid0(SALU_CYCLE_1)
	s_mov_b32 s1, exec_lo
	v_cmpx_gt_u32_e64 s22, v28
	s_cbranch_execz .LBB2023_144
.LBB2023_175:
	s_mov_b32 s2, exec_lo
                                        ; implicit-def: $vgpr9_vgpr10
	v_cmpx_ge_u32_e64 v28, v16
	s_xor_b32 s2, exec_lo, s2
	s_cbranch_execz .LBB2023_177
; %bb.176:
	s_waitcnt lgkmcnt(4)
	v_xor_b32_e32 v7, 0xfffffaff, v0
                                        ; implicit-def: $vgpr28
	s_delay_alu instid0(VALU_DEP_1) | instskip(SKIP_1) | instid1(VALU_DEP_2)
	v_ashrrev_i32_e32 v10, 31, v7
	v_add_co_u32 v9, vcc_lo, v20, v7
	v_add_co_ci_u32_e32 v10, vcc_lo, v21, v10, vcc_lo
.LBB2023_177:
	s_and_not1_saveexec_b32 s2, s2
	s_cbranch_execz .LBB2023_179
; %bb.178:
	s_waitcnt lgkmcnt(5)
	v_add_co_u32 v9, vcc_lo, v15, v28
	v_add_co_ci_u32_e32 v10, vcc_lo, 0, v17, vcc_lo
.LBB2023_179:
	s_or_b32 exec_lo, exec_lo, s2
	s_waitcnt lgkmcnt(5)
	s_delay_alu instid0(VALU_DEP_1) | instskip(NEXT) | instid1(VALU_DEP_1)
	v_lshlrev_b64 v[9:10], 2, v[9:10]
	v_add_co_u32 v9, vcc_lo, s10, v9
	s_delay_alu instid0(VALU_DEP_2) | instskip(SKIP_3) | instid1(SALU_CYCLE_1)
	v_add_co_ci_u32_e32 v10, vcc_lo, s11, v10, vcc_lo
	s_waitcnt lgkmcnt(4)
	global_store_b32 v[9:10], v8, off
	s_or_b32 exec_lo, exec_lo, s1
	s_mov_b32 s1, exec_lo
	v_cmpx_gt_u32_e64 s22, v27
	s_cbranch_execnz .LBB2023_145
.LBB2023_180:
	s_or_b32 exec_lo, exec_lo, s1
	s_delay_alu instid0(SALU_CYCLE_1)
	s_mov_b32 s1, exec_lo
	v_cmpx_gt_u32_e64 s22, v26
	s_cbranch_execz .LBB2023_150
.LBB2023_181:
	s_mov_b32 s2, exec_lo
                                        ; implicit-def: $vgpr7_vgpr8
	v_cmpx_ge_u32_e64 v26, v16
	s_xor_b32 s2, exec_lo, s2
	s_cbranch_execz .LBB2023_183
; %bb.182:
	s_waitcnt lgkmcnt(3)
	v_xor_b32_e32 v5, 0xfffff8ff, v0
                                        ; implicit-def: $vgpr26
	s_delay_alu instid0(VALU_DEP_1) | instskip(SKIP_1) | instid1(VALU_DEP_2)
	v_ashrrev_i32_e32 v8, 31, v5
	v_add_co_u32 v7, vcc_lo, v20, v5
	v_add_co_ci_u32_e32 v8, vcc_lo, v21, v8, vcc_lo
.LBB2023_183:
	s_and_not1_saveexec_b32 s2, s2
	s_cbranch_execz .LBB2023_185
; %bb.184:
	s_waitcnt lgkmcnt(4)
	v_add_co_u32 v7, vcc_lo, v15, v26
	v_add_co_ci_u32_e32 v8, vcc_lo, 0, v17, vcc_lo
.LBB2023_185:
	s_or_b32 exec_lo, exec_lo, s2
	s_waitcnt lgkmcnt(4)
	s_delay_alu instid0(VALU_DEP_1) | instskip(NEXT) | instid1(VALU_DEP_1)
	v_lshlrev_b64 v[7:8], 2, v[7:8]
	v_add_co_u32 v7, vcc_lo, s10, v7
	s_delay_alu instid0(VALU_DEP_2) | instskip(SKIP_3) | instid1(SALU_CYCLE_1)
	v_add_co_ci_u32_e32 v8, vcc_lo, s11, v8, vcc_lo
	s_waitcnt lgkmcnt(3)
	global_store_b32 v[7:8], v6, off
	s_or_b32 exec_lo, exec_lo, s1
	s_mov_b32 s1, exec_lo
	v_cmpx_gt_u32_e64 s22, v25
	s_cbranch_execnz .LBB2023_151
.LBB2023_186:
	s_or_b32 exec_lo, exec_lo, s1
	s_delay_alu instid0(SALU_CYCLE_1)
	s_mov_b32 s1, exec_lo
	v_cmpx_gt_u32_e64 s22, v24
	s_cbranch_execz .LBB2023_156
.LBB2023_187:
	s_mov_b32 s2, exec_lo
                                        ; implicit-def: $vgpr5_vgpr6
	v_cmpx_ge_u32_e64 v24, v16
	s_xor_b32 s2, exec_lo, s2
	s_cbranch_execz .LBB2023_189
; %bb.188:
	s_waitcnt lgkmcnt(2)
	v_xor_b32_e32 v3, 0xfffff6ff, v0
                                        ; implicit-def: $vgpr24
	s_delay_alu instid0(VALU_DEP_1) | instskip(SKIP_1) | instid1(VALU_DEP_2)
	v_ashrrev_i32_e32 v6, 31, v3
	v_add_co_u32 v5, vcc_lo, v20, v3
	v_add_co_ci_u32_e32 v6, vcc_lo, v21, v6, vcc_lo
.LBB2023_189:
	s_and_not1_saveexec_b32 s2, s2
	s_cbranch_execz .LBB2023_191
; %bb.190:
	s_waitcnt lgkmcnt(3)
	v_add_co_u32 v5, vcc_lo, v15, v24
	v_add_co_ci_u32_e32 v6, vcc_lo, 0, v17, vcc_lo
.LBB2023_191:
	s_or_b32 exec_lo, exec_lo, s2
	s_waitcnt lgkmcnt(3)
	s_delay_alu instid0(VALU_DEP_1) | instskip(NEXT) | instid1(VALU_DEP_1)
	v_lshlrev_b64 v[5:6], 2, v[5:6]
	v_add_co_u32 v5, vcc_lo, s10, v5
	s_delay_alu instid0(VALU_DEP_2) | instskip(SKIP_3) | instid1(SALU_CYCLE_1)
	v_add_co_ci_u32_e32 v6, vcc_lo, s11, v6, vcc_lo
	s_waitcnt lgkmcnt(2)
	global_store_b32 v[5:6], v4, off
	s_or_b32 exec_lo, exec_lo, s1
	s_mov_b32 s1, exec_lo
	v_cmpx_gt_u32_e64 s22, v23
	s_cbranch_execnz .LBB2023_157
.LBB2023_192:
	s_or_b32 exec_lo, exec_lo, s1
	s_delay_alu instid0(SALU_CYCLE_1)
	s_mov_b32 s1, exec_lo
	v_cmpx_gt_u32_e64 s22, v22
	s_cbranch_execz .LBB2023_198
.LBB2023_193:
	s_mov_b32 s2, exec_lo
                                        ; implicit-def: $vgpr3_vgpr4
	v_cmpx_ge_u32_e64 v22, v16
	s_xor_b32 s2, exec_lo, s2
	s_cbranch_execz .LBB2023_195
; %bb.194:
	s_waitcnt lgkmcnt(1)
	v_xor_b32_e32 v1, 0xfffff4ff, v0
                                        ; implicit-def: $vgpr22
	s_delay_alu instid0(VALU_DEP_1) | instskip(SKIP_1) | instid1(VALU_DEP_2)
	v_ashrrev_i32_e32 v4, 31, v1
	v_add_co_u32 v3, vcc_lo, v20, v1
	v_add_co_ci_u32_e32 v4, vcc_lo, v21, v4, vcc_lo
.LBB2023_195:
	s_and_not1_saveexec_b32 s2, s2
	s_cbranch_execz .LBB2023_197
; %bb.196:
	s_waitcnt lgkmcnt(2)
	v_add_co_u32 v3, vcc_lo, v15, v22
	v_add_co_ci_u32_e32 v4, vcc_lo, 0, v17, vcc_lo
.LBB2023_197:
	s_or_b32 exec_lo, exec_lo, s2
	s_waitcnt lgkmcnt(2)
	s_delay_alu instid0(VALU_DEP_1) | instskip(NEXT) | instid1(VALU_DEP_1)
	v_lshlrev_b64 v[3:4], 2, v[3:4]
	v_add_co_u32 v3, vcc_lo, s10, v3
	s_delay_alu instid0(VALU_DEP_2)
	v_add_co_ci_u32_e32 v4, vcc_lo, s11, v4, vcc_lo
	s_waitcnt lgkmcnt(1)
	global_store_b32 v[3:4], v2, off
.LBB2023_198:
	s_or_b32 exec_lo, exec_lo, s1
	s_delay_alu instid0(SALU_CYCLE_1)
	s_mov_b32 s1, exec_lo
                                        ; implicit-def: $vgpr13_vgpr14
	v_cmpx_gt_u32_e64 s22, v19
	s_cbranch_execz .LBB2023_204
; %bb.199:
	s_mov_b32 s2, exec_lo
                                        ; implicit-def: $vgpr13_vgpr14
	v_cmpx_ge_u32_e64 v19, v16
	s_xor_b32 s2, exec_lo, s2
	s_cbranch_execz .LBB2023_201
; %bb.200:
	s_waitcnt lgkmcnt(1)
	v_xor_b32_e32 v1, 0xfffff3ff, v0
                                        ; implicit-def: $vgpr19
	s_delay_alu instid0(VALU_DEP_1) | instskip(SKIP_1) | instid1(VALU_DEP_2)
	v_ashrrev_i32_e32 v2, 31, v1
	v_add_co_u32 v13, vcc_lo, v20, v1
	v_add_co_ci_u32_e32 v14, vcc_lo, v21, v2, vcc_lo
.LBB2023_201:
	s_and_not1_saveexec_b32 s2, s2
; %bb.202:
	v_add_co_u32 v13, vcc_lo, v15, v19
	v_add_co_ci_u32_e32 v14, vcc_lo, 0, v17, vcc_lo
; %bb.203:
	s_or_b32 exec_lo, exec_lo, s2
	s_delay_alu instid0(SALU_CYCLE_1)
	s_or_b32 s0, s0, exec_lo
.LBB2023_204:
	s_or_b32 exec_lo, exec_lo, s1
.LBB2023_205:
	s_and_saveexec_b32 s1, s0
	s_cbranch_execz .LBB2023_207
; %bb.206:
	s_waitcnt lgkmcnt(1)
	v_lshlrev_b64 v[1:2], 2, v[13:14]
	s_delay_alu instid0(VALU_DEP_1) | instskip(NEXT) | instid1(VALU_DEP_2)
	v_add_co_u32 v1, vcc_lo, s10, v1
	v_add_co_ci_u32_e32 v2, vcc_lo, s11, v2, vcc_lo
	s_waitcnt lgkmcnt(0)
	global_store_b32 v[1:2], v18, off
.LBB2023_207:
	s_or_b32 exec_lo, exec_lo, s1
	v_cmp_eq_u32_e32 vcc_lo, 0, v0
	s_and_b32 s0, vcc_lo, s14
	s_delay_alu instid0(SALU_CYCLE_1)
	s_and_saveexec_b32 s1, s0
	s_cbranch_execz .LBB2023_209
; %bb.208:
	v_add_co_u32 v0, vcc_lo, v15, v16
	s_waitcnt lgkmcnt(1)
	v_mov_b32_e32 v2, 0
	v_add_co_ci_u32_e32 v1, vcc_lo, 0, v17, vcc_lo
	global_store_b64 v2, v[0:1], s[8:9]
.LBB2023_209:
	s_nop 0
	s_sendmsg sendmsg(MSG_DEALLOC_VGPRS)
	s_endpgm
	.section	.rodata,"a",@progbits
	.p2align	6, 0x0
	.amdhsa_kernel _ZN7rocprim17ROCPRIM_400000_NS6detail17trampoline_kernelINS0_13select_configILj256ELj13ELNS0_17block_load_methodE3ELS4_3ELS4_3ELNS0_20block_scan_algorithmE0ELj4294967295EEENS1_25partition_config_selectorILNS1_17partition_subalgoE3EjNS0_10empty_typeEbEEZZNS1_14partition_implILS8_3ELb0ES6_jNS0_17counting_iteratorIjlEEPS9_SE_NS0_5tupleIJPjSE_EEENSF_IJSE_SE_EEES9_SG_JZNS1_25segmented_radix_sort_implINS0_14default_configELb0EPK12hip_bfloat16PSL_PKlPlN2at6native12_GLOBAL__N_18offset_tEEE10hipError_tPvRmT1_PNSt15iterator_traitsISZ_E10value_typeET2_T3_PNS10_IS15_E10value_typeET4_jRbjT5_S1B_jjP12ihipStream_tbEUljE_EEESW_SX_SY_S15_S19_S1B_T6_T7_T9_mT8_S1D_bDpT10_ENKUlT_T0_E_clISt17integral_constantIbLb0EES1Q_EEDaS1L_S1M_EUlS1L_E_NS1_11comp_targetILNS1_3genE9ELNS1_11target_archE1100ELNS1_3gpuE3ELNS1_3repE0EEENS1_30default_config_static_selectorELNS0_4arch9wavefront6targetE0EEEvSZ_
		.amdhsa_group_segment_fixed_size 13324
		.amdhsa_private_segment_fixed_size 0
		.amdhsa_kernarg_size 144
		.amdhsa_user_sgpr_count 15
		.amdhsa_user_sgpr_dispatch_ptr 0
		.amdhsa_user_sgpr_queue_ptr 0
		.amdhsa_user_sgpr_kernarg_segment_ptr 1
		.amdhsa_user_sgpr_dispatch_id 0
		.amdhsa_user_sgpr_private_segment_size 0
		.amdhsa_wavefront_size32 1
		.amdhsa_uses_dynamic_stack 0
		.amdhsa_enable_private_segment 0
		.amdhsa_system_sgpr_workgroup_id_x 1
		.amdhsa_system_sgpr_workgroup_id_y 0
		.amdhsa_system_sgpr_workgroup_id_z 0
		.amdhsa_system_sgpr_workgroup_info 0
		.amdhsa_system_vgpr_workitem_id 0
		.amdhsa_next_free_vgpr 57
		.amdhsa_next_free_sgpr 28
		.amdhsa_reserve_vcc 1
		.amdhsa_float_round_mode_32 0
		.amdhsa_float_round_mode_16_64 0
		.amdhsa_float_denorm_mode_32 3
		.amdhsa_float_denorm_mode_16_64 3
		.amdhsa_dx10_clamp 1
		.amdhsa_ieee_mode 1
		.amdhsa_fp16_overflow 0
		.amdhsa_workgroup_processor_mode 1
		.amdhsa_memory_ordered 1
		.amdhsa_forward_progress 0
		.amdhsa_shared_vgpr_count 0
		.amdhsa_exception_fp_ieee_invalid_op 0
		.amdhsa_exception_fp_denorm_src 0
		.amdhsa_exception_fp_ieee_div_zero 0
		.amdhsa_exception_fp_ieee_overflow 0
		.amdhsa_exception_fp_ieee_underflow 0
		.amdhsa_exception_fp_ieee_inexact 0
		.amdhsa_exception_int_div_zero 0
	.end_amdhsa_kernel
	.section	.text._ZN7rocprim17ROCPRIM_400000_NS6detail17trampoline_kernelINS0_13select_configILj256ELj13ELNS0_17block_load_methodE3ELS4_3ELS4_3ELNS0_20block_scan_algorithmE0ELj4294967295EEENS1_25partition_config_selectorILNS1_17partition_subalgoE3EjNS0_10empty_typeEbEEZZNS1_14partition_implILS8_3ELb0ES6_jNS0_17counting_iteratorIjlEEPS9_SE_NS0_5tupleIJPjSE_EEENSF_IJSE_SE_EEES9_SG_JZNS1_25segmented_radix_sort_implINS0_14default_configELb0EPK12hip_bfloat16PSL_PKlPlN2at6native12_GLOBAL__N_18offset_tEEE10hipError_tPvRmT1_PNSt15iterator_traitsISZ_E10value_typeET2_T3_PNS10_IS15_E10value_typeET4_jRbjT5_S1B_jjP12ihipStream_tbEUljE_EEESW_SX_SY_S15_S19_S1B_T6_T7_T9_mT8_S1D_bDpT10_ENKUlT_T0_E_clISt17integral_constantIbLb0EES1Q_EEDaS1L_S1M_EUlS1L_E_NS1_11comp_targetILNS1_3genE9ELNS1_11target_archE1100ELNS1_3gpuE3ELNS1_3repE0EEENS1_30default_config_static_selectorELNS0_4arch9wavefront6targetE0EEEvSZ_,"axG",@progbits,_ZN7rocprim17ROCPRIM_400000_NS6detail17trampoline_kernelINS0_13select_configILj256ELj13ELNS0_17block_load_methodE3ELS4_3ELS4_3ELNS0_20block_scan_algorithmE0ELj4294967295EEENS1_25partition_config_selectorILNS1_17partition_subalgoE3EjNS0_10empty_typeEbEEZZNS1_14partition_implILS8_3ELb0ES6_jNS0_17counting_iteratorIjlEEPS9_SE_NS0_5tupleIJPjSE_EEENSF_IJSE_SE_EEES9_SG_JZNS1_25segmented_radix_sort_implINS0_14default_configELb0EPK12hip_bfloat16PSL_PKlPlN2at6native12_GLOBAL__N_18offset_tEEE10hipError_tPvRmT1_PNSt15iterator_traitsISZ_E10value_typeET2_T3_PNS10_IS15_E10value_typeET4_jRbjT5_S1B_jjP12ihipStream_tbEUljE_EEESW_SX_SY_S15_S19_S1B_T6_T7_T9_mT8_S1D_bDpT10_ENKUlT_T0_E_clISt17integral_constantIbLb0EES1Q_EEDaS1L_S1M_EUlS1L_E_NS1_11comp_targetILNS1_3genE9ELNS1_11target_archE1100ELNS1_3gpuE3ELNS1_3repE0EEENS1_30default_config_static_selectorELNS0_4arch9wavefront6targetE0EEEvSZ_,comdat
.Lfunc_end2023:
	.size	_ZN7rocprim17ROCPRIM_400000_NS6detail17trampoline_kernelINS0_13select_configILj256ELj13ELNS0_17block_load_methodE3ELS4_3ELS4_3ELNS0_20block_scan_algorithmE0ELj4294967295EEENS1_25partition_config_selectorILNS1_17partition_subalgoE3EjNS0_10empty_typeEbEEZZNS1_14partition_implILS8_3ELb0ES6_jNS0_17counting_iteratorIjlEEPS9_SE_NS0_5tupleIJPjSE_EEENSF_IJSE_SE_EEES9_SG_JZNS1_25segmented_radix_sort_implINS0_14default_configELb0EPK12hip_bfloat16PSL_PKlPlN2at6native12_GLOBAL__N_18offset_tEEE10hipError_tPvRmT1_PNSt15iterator_traitsISZ_E10value_typeET2_T3_PNS10_IS15_E10value_typeET4_jRbjT5_S1B_jjP12ihipStream_tbEUljE_EEESW_SX_SY_S15_S19_S1B_T6_T7_T9_mT8_S1D_bDpT10_ENKUlT_T0_E_clISt17integral_constantIbLb0EES1Q_EEDaS1L_S1M_EUlS1L_E_NS1_11comp_targetILNS1_3genE9ELNS1_11target_archE1100ELNS1_3gpuE3ELNS1_3repE0EEENS1_30default_config_static_selectorELNS0_4arch9wavefront6targetE0EEEvSZ_, .Lfunc_end2023-_ZN7rocprim17ROCPRIM_400000_NS6detail17trampoline_kernelINS0_13select_configILj256ELj13ELNS0_17block_load_methodE3ELS4_3ELS4_3ELNS0_20block_scan_algorithmE0ELj4294967295EEENS1_25partition_config_selectorILNS1_17partition_subalgoE3EjNS0_10empty_typeEbEEZZNS1_14partition_implILS8_3ELb0ES6_jNS0_17counting_iteratorIjlEEPS9_SE_NS0_5tupleIJPjSE_EEENSF_IJSE_SE_EEES9_SG_JZNS1_25segmented_radix_sort_implINS0_14default_configELb0EPK12hip_bfloat16PSL_PKlPlN2at6native12_GLOBAL__N_18offset_tEEE10hipError_tPvRmT1_PNSt15iterator_traitsISZ_E10value_typeET2_T3_PNS10_IS15_E10value_typeET4_jRbjT5_S1B_jjP12ihipStream_tbEUljE_EEESW_SX_SY_S15_S19_S1B_T6_T7_T9_mT8_S1D_bDpT10_ENKUlT_T0_E_clISt17integral_constantIbLb0EES1Q_EEDaS1L_S1M_EUlS1L_E_NS1_11comp_targetILNS1_3genE9ELNS1_11target_archE1100ELNS1_3gpuE3ELNS1_3repE0EEENS1_30default_config_static_selectorELNS0_4arch9wavefront6targetE0EEEvSZ_
                                        ; -- End function
	.section	.AMDGPU.csdata,"",@progbits
; Kernel info:
; codeLenInByte = 8864
; NumSgprs: 30
; NumVgprs: 57
; ScratchSize: 0
; MemoryBound: 0
; FloatMode: 240
; IeeeMode: 1
; LDSByteSize: 13324 bytes/workgroup (compile time only)
; SGPRBlocks: 3
; VGPRBlocks: 7
; NumSGPRsForWavesPerEU: 30
; NumVGPRsForWavesPerEU: 57
; Occupancy: 16
; WaveLimiterHint : 0
; COMPUTE_PGM_RSRC2:SCRATCH_EN: 0
; COMPUTE_PGM_RSRC2:USER_SGPR: 15
; COMPUTE_PGM_RSRC2:TRAP_HANDLER: 0
; COMPUTE_PGM_RSRC2:TGID_X_EN: 1
; COMPUTE_PGM_RSRC2:TGID_Y_EN: 0
; COMPUTE_PGM_RSRC2:TGID_Z_EN: 0
; COMPUTE_PGM_RSRC2:TIDIG_COMP_CNT: 0
	.section	.text._ZN7rocprim17ROCPRIM_400000_NS6detail17trampoline_kernelINS0_13select_configILj256ELj13ELNS0_17block_load_methodE3ELS4_3ELS4_3ELNS0_20block_scan_algorithmE0ELj4294967295EEENS1_25partition_config_selectorILNS1_17partition_subalgoE3EjNS0_10empty_typeEbEEZZNS1_14partition_implILS8_3ELb0ES6_jNS0_17counting_iteratorIjlEEPS9_SE_NS0_5tupleIJPjSE_EEENSF_IJSE_SE_EEES9_SG_JZNS1_25segmented_radix_sort_implINS0_14default_configELb0EPK12hip_bfloat16PSL_PKlPlN2at6native12_GLOBAL__N_18offset_tEEE10hipError_tPvRmT1_PNSt15iterator_traitsISZ_E10value_typeET2_T3_PNS10_IS15_E10value_typeET4_jRbjT5_S1B_jjP12ihipStream_tbEUljE_EEESW_SX_SY_S15_S19_S1B_T6_T7_T9_mT8_S1D_bDpT10_ENKUlT_T0_E_clISt17integral_constantIbLb0EES1Q_EEDaS1L_S1M_EUlS1L_E_NS1_11comp_targetILNS1_3genE8ELNS1_11target_archE1030ELNS1_3gpuE2ELNS1_3repE0EEENS1_30default_config_static_selectorELNS0_4arch9wavefront6targetE0EEEvSZ_,"axG",@progbits,_ZN7rocprim17ROCPRIM_400000_NS6detail17trampoline_kernelINS0_13select_configILj256ELj13ELNS0_17block_load_methodE3ELS4_3ELS4_3ELNS0_20block_scan_algorithmE0ELj4294967295EEENS1_25partition_config_selectorILNS1_17partition_subalgoE3EjNS0_10empty_typeEbEEZZNS1_14partition_implILS8_3ELb0ES6_jNS0_17counting_iteratorIjlEEPS9_SE_NS0_5tupleIJPjSE_EEENSF_IJSE_SE_EEES9_SG_JZNS1_25segmented_radix_sort_implINS0_14default_configELb0EPK12hip_bfloat16PSL_PKlPlN2at6native12_GLOBAL__N_18offset_tEEE10hipError_tPvRmT1_PNSt15iterator_traitsISZ_E10value_typeET2_T3_PNS10_IS15_E10value_typeET4_jRbjT5_S1B_jjP12ihipStream_tbEUljE_EEESW_SX_SY_S15_S19_S1B_T6_T7_T9_mT8_S1D_bDpT10_ENKUlT_T0_E_clISt17integral_constantIbLb0EES1Q_EEDaS1L_S1M_EUlS1L_E_NS1_11comp_targetILNS1_3genE8ELNS1_11target_archE1030ELNS1_3gpuE2ELNS1_3repE0EEENS1_30default_config_static_selectorELNS0_4arch9wavefront6targetE0EEEvSZ_,comdat
	.globl	_ZN7rocprim17ROCPRIM_400000_NS6detail17trampoline_kernelINS0_13select_configILj256ELj13ELNS0_17block_load_methodE3ELS4_3ELS4_3ELNS0_20block_scan_algorithmE0ELj4294967295EEENS1_25partition_config_selectorILNS1_17partition_subalgoE3EjNS0_10empty_typeEbEEZZNS1_14partition_implILS8_3ELb0ES6_jNS0_17counting_iteratorIjlEEPS9_SE_NS0_5tupleIJPjSE_EEENSF_IJSE_SE_EEES9_SG_JZNS1_25segmented_radix_sort_implINS0_14default_configELb0EPK12hip_bfloat16PSL_PKlPlN2at6native12_GLOBAL__N_18offset_tEEE10hipError_tPvRmT1_PNSt15iterator_traitsISZ_E10value_typeET2_T3_PNS10_IS15_E10value_typeET4_jRbjT5_S1B_jjP12ihipStream_tbEUljE_EEESW_SX_SY_S15_S19_S1B_T6_T7_T9_mT8_S1D_bDpT10_ENKUlT_T0_E_clISt17integral_constantIbLb0EES1Q_EEDaS1L_S1M_EUlS1L_E_NS1_11comp_targetILNS1_3genE8ELNS1_11target_archE1030ELNS1_3gpuE2ELNS1_3repE0EEENS1_30default_config_static_selectorELNS0_4arch9wavefront6targetE0EEEvSZ_ ; -- Begin function _ZN7rocprim17ROCPRIM_400000_NS6detail17trampoline_kernelINS0_13select_configILj256ELj13ELNS0_17block_load_methodE3ELS4_3ELS4_3ELNS0_20block_scan_algorithmE0ELj4294967295EEENS1_25partition_config_selectorILNS1_17partition_subalgoE3EjNS0_10empty_typeEbEEZZNS1_14partition_implILS8_3ELb0ES6_jNS0_17counting_iteratorIjlEEPS9_SE_NS0_5tupleIJPjSE_EEENSF_IJSE_SE_EEES9_SG_JZNS1_25segmented_radix_sort_implINS0_14default_configELb0EPK12hip_bfloat16PSL_PKlPlN2at6native12_GLOBAL__N_18offset_tEEE10hipError_tPvRmT1_PNSt15iterator_traitsISZ_E10value_typeET2_T3_PNS10_IS15_E10value_typeET4_jRbjT5_S1B_jjP12ihipStream_tbEUljE_EEESW_SX_SY_S15_S19_S1B_T6_T7_T9_mT8_S1D_bDpT10_ENKUlT_T0_E_clISt17integral_constantIbLb0EES1Q_EEDaS1L_S1M_EUlS1L_E_NS1_11comp_targetILNS1_3genE8ELNS1_11target_archE1030ELNS1_3gpuE2ELNS1_3repE0EEENS1_30default_config_static_selectorELNS0_4arch9wavefront6targetE0EEEvSZ_
	.p2align	8
	.type	_ZN7rocprim17ROCPRIM_400000_NS6detail17trampoline_kernelINS0_13select_configILj256ELj13ELNS0_17block_load_methodE3ELS4_3ELS4_3ELNS0_20block_scan_algorithmE0ELj4294967295EEENS1_25partition_config_selectorILNS1_17partition_subalgoE3EjNS0_10empty_typeEbEEZZNS1_14partition_implILS8_3ELb0ES6_jNS0_17counting_iteratorIjlEEPS9_SE_NS0_5tupleIJPjSE_EEENSF_IJSE_SE_EEES9_SG_JZNS1_25segmented_radix_sort_implINS0_14default_configELb0EPK12hip_bfloat16PSL_PKlPlN2at6native12_GLOBAL__N_18offset_tEEE10hipError_tPvRmT1_PNSt15iterator_traitsISZ_E10value_typeET2_T3_PNS10_IS15_E10value_typeET4_jRbjT5_S1B_jjP12ihipStream_tbEUljE_EEESW_SX_SY_S15_S19_S1B_T6_T7_T9_mT8_S1D_bDpT10_ENKUlT_T0_E_clISt17integral_constantIbLb0EES1Q_EEDaS1L_S1M_EUlS1L_E_NS1_11comp_targetILNS1_3genE8ELNS1_11target_archE1030ELNS1_3gpuE2ELNS1_3repE0EEENS1_30default_config_static_selectorELNS0_4arch9wavefront6targetE0EEEvSZ_,@function
_ZN7rocprim17ROCPRIM_400000_NS6detail17trampoline_kernelINS0_13select_configILj256ELj13ELNS0_17block_load_methodE3ELS4_3ELS4_3ELNS0_20block_scan_algorithmE0ELj4294967295EEENS1_25partition_config_selectorILNS1_17partition_subalgoE3EjNS0_10empty_typeEbEEZZNS1_14partition_implILS8_3ELb0ES6_jNS0_17counting_iteratorIjlEEPS9_SE_NS0_5tupleIJPjSE_EEENSF_IJSE_SE_EEES9_SG_JZNS1_25segmented_radix_sort_implINS0_14default_configELb0EPK12hip_bfloat16PSL_PKlPlN2at6native12_GLOBAL__N_18offset_tEEE10hipError_tPvRmT1_PNSt15iterator_traitsISZ_E10value_typeET2_T3_PNS10_IS15_E10value_typeET4_jRbjT5_S1B_jjP12ihipStream_tbEUljE_EEESW_SX_SY_S15_S19_S1B_T6_T7_T9_mT8_S1D_bDpT10_ENKUlT_T0_E_clISt17integral_constantIbLb0EES1Q_EEDaS1L_S1M_EUlS1L_E_NS1_11comp_targetILNS1_3genE8ELNS1_11target_archE1030ELNS1_3gpuE2ELNS1_3repE0EEENS1_30default_config_static_selectorELNS0_4arch9wavefront6targetE0EEEvSZ_: ; @_ZN7rocprim17ROCPRIM_400000_NS6detail17trampoline_kernelINS0_13select_configILj256ELj13ELNS0_17block_load_methodE3ELS4_3ELS4_3ELNS0_20block_scan_algorithmE0ELj4294967295EEENS1_25partition_config_selectorILNS1_17partition_subalgoE3EjNS0_10empty_typeEbEEZZNS1_14partition_implILS8_3ELb0ES6_jNS0_17counting_iteratorIjlEEPS9_SE_NS0_5tupleIJPjSE_EEENSF_IJSE_SE_EEES9_SG_JZNS1_25segmented_radix_sort_implINS0_14default_configELb0EPK12hip_bfloat16PSL_PKlPlN2at6native12_GLOBAL__N_18offset_tEEE10hipError_tPvRmT1_PNSt15iterator_traitsISZ_E10value_typeET2_T3_PNS10_IS15_E10value_typeET4_jRbjT5_S1B_jjP12ihipStream_tbEUljE_EEESW_SX_SY_S15_S19_S1B_T6_T7_T9_mT8_S1D_bDpT10_ENKUlT_T0_E_clISt17integral_constantIbLb0EES1Q_EEDaS1L_S1M_EUlS1L_E_NS1_11comp_targetILNS1_3genE8ELNS1_11target_archE1030ELNS1_3gpuE2ELNS1_3repE0EEENS1_30default_config_static_selectorELNS0_4arch9wavefront6targetE0EEEvSZ_
; %bb.0:
	.section	.rodata,"a",@progbits
	.p2align	6, 0x0
	.amdhsa_kernel _ZN7rocprim17ROCPRIM_400000_NS6detail17trampoline_kernelINS0_13select_configILj256ELj13ELNS0_17block_load_methodE3ELS4_3ELS4_3ELNS0_20block_scan_algorithmE0ELj4294967295EEENS1_25partition_config_selectorILNS1_17partition_subalgoE3EjNS0_10empty_typeEbEEZZNS1_14partition_implILS8_3ELb0ES6_jNS0_17counting_iteratorIjlEEPS9_SE_NS0_5tupleIJPjSE_EEENSF_IJSE_SE_EEES9_SG_JZNS1_25segmented_radix_sort_implINS0_14default_configELb0EPK12hip_bfloat16PSL_PKlPlN2at6native12_GLOBAL__N_18offset_tEEE10hipError_tPvRmT1_PNSt15iterator_traitsISZ_E10value_typeET2_T3_PNS10_IS15_E10value_typeET4_jRbjT5_S1B_jjP12ihipStream_tbEUljE_EEESW_SX_SY_S15_S19_S1B_T6_T7_T9_mT8_S1D_bDpT10_ENKUlT_T0_E_clISt17integral_constantIbLb0EES1Q_EEDaS1L_S1M_EUlS1L_E_NS1_11comp_targetILNS1_3genE8ELNS1_11target_archE1030ELNS1_3gpuE2ELNS1_3repE0EEENS1_30default_config_static_selectorELNS0_4arch9wavefront6targetE0EEEvSZ_
		.amdhsa_group_segment_fixed_size 0
		.amdhsa_private_segment_fixed_size 0
		.amdhsa_kernarg_size 144
		.amdhsa_user_sgpr_count 15
		.amdhsa_user_sgpr_dispatch_ptr 0
		.amdhsa_user_sgpr_queue_ptr 0
		.amdhsa_user_sgpr_kernarg_segment_ptr 1
		.amdhsa_user_sgpr_dispatch_id 0
		.amdhsa_user_sgpr_private_segment_size 0
		.amdhsa_wavefront_size32 1
		.amdhsa_uses_dynamic_stack 0
		.amdhsa_enable_private_segment 0
		.amdhsa_system_sgpr_workgroup_id_x 1
		.amdhsa_system_sgpr_workgroup_id_y 0
		.amdhsa_system_sgpr_workgroup_id_z 0
		.amdhsa_system_sgpr_workgroup_info 0
		.amdhsa_system_vgpr_workitem_id 0
		.amdhsa_next_free_vgpr 1
		.amdhsa_next_free_sgpr 1
		.amdhsa_reserve_vcc 0
		.amdhsa_float_round_mode_32 0
		.amdhsa_float_round_mode_16_64 0
		.amdhsa_float_denorm_mode_32 3
		.amdhsa_float_denorm_mode_16_64 3
		.amdhsa_dx10_clamp 1
		.amdhsa_ieee_mode 1
		.amdhsa_fp16_overflow 0
		.amdhsa_workgroup_processor_mode 1
		.amdhsa_memory_ordered 1
		.amdhsa_forward_progress 0
		.amdhsa_shared_vgpr_count 0
		.amdhsa_exception_fp_ieee_invalid_op 0
		.amdhsa_exception_fp_denorm_src 0
		.amdhsa_exception_fp_ieee_div_zero 0
		.amdhsa_exception_fp_ieee_overflow 0
		.amdhsa_exception_fp_ieee_underflow 0
		.amdhsa_exception_fp_ieee_inexact 0
		.amdhsa_exception_int_div_zero 0
	.end_amdhsa_kernel
	.section	.text._ZN7rocprim17ROCPRIM_400000_NS6detail17trampoline_kernelINS0_13select_configILj256ELj13ELNS0_17block_load_methodE3ELS4_3ELS4_3ELNS0_20block_scan_algorithmE0ELj4294967295EEENS1_25partition_config_selectorILNS1_17partition_subalgoE3EjNS0_10empty_typeEbEEZZNS1_14partition_implILS8_3ELb0ES6_jNS0_17counting_iteratorIjlEEPS9_SE_NS0_5tupleIJPjSE_EEENSF_IJSE_SE_EEES9_SG_JZNS1_25segmented_radix_sort_implINS0_14default_configELb0EPK12hip_bfloat16PSL_PKlPlN2at6native12_GLOBAL__N_18offset_tEEE10hipError_tPvRmT1_PNSt15iterator_traitsISZ_E10value_typeET2_T3_PNS10_IS15_E10value_typeET4_jRbjT5_S1B_jjP12ihipStream_tbEUljE_EEESW_SX_SY_S15_S19_S1B_T6_T7_T9_mT8_S1D_bDpT10_ENKUlT_T0_E_clISt17integral_constantIbLb0EES1Q_EEDaS1L_S1M_EUlS1L_E_NS1_11comp_targetILNS1_3genE8ELNS1_11target_archE1030ELNS1_3gpuE2ELNS1_3repE0EEENS1_30default_config_static_selectorELNS0_4arch9wavefront6targetE0EEEvSZ_,"axG",@progbits,_ZN7rocprim17ROCPRIM_400000_NS6detail17trampoline_kernelINS0_13select_configILj256ELj13ELNS0_17block_load_methodE3ELS4_3ELS4_3ELNS0_20block_scan_algorithmE0ELj4294967295EEENS1_25partition_config_selectorILNS1_17partition_subalgoE3EjNS0_10empty_typeEbEEZZNS1_14partition_implILS8_3ELb0ES6_jNS0_17counting_iteratorIjlEEPS9_SE_NS0_5tupleIJPjSE_EEENSF_IJSE_SE_EEES9_SG_JZNS1_25segmented_radix_sort_implINS0_14default_configELb0EPK12hip_bfloat16PSL_PKlPlN2at6native12_GLOBAL__N_18offset_tEEE10hipError_tPvRmT1_PNSt15iterator_traitsISZ_E10value_typeET2_T3_PNS10_IS15_E10value_typeET4_jRbjT5_S1B_jjP12ihipStream_tbEUljE_EEESW_SX_SY_S15_S19_S1B_T6_T7_T9_mT8_S1D_bDpT10_ENKUlT_T0_E_clISt17integral_constantIbLb0EES1Q_EEDaS1L_S1M_EUlS1L_E_NS1_11comp_targetILNS1_3genE8ELNS1_11target_archE1030ELNS1_3gpuE2ELNS1_3repE0EEENS1_30default_config_static_selectorELNS0_4arch9wavefront6targetE0EEEvSZ_,comdat
.Lfunc_end2024:
	.size	_ZN7rocprim17ROCPRIM_400000_NS6detail17trampoline_kernelINS0_13select_configILj256ELj13ELNS0_17block_load_methodE3ELS4_3ELS4_3ELNS0_20block_scan_algorithmE0ELj4294967295EEENS1_25partition_config_selectorILNS1_17partition_subalgoE3EjNS0_10empty_typeEbEEZZNS1_14partition_implILS8_3ELb0ES6_jNS0_17counting_iteratorIjlEEPS9_SE_NS0_5tupleIJPjSE_EEENSF_IJSE_SE_EEES9_SG_JZNS1_25segmented_radix_sort_implINS0_14default_configELb0EPK12hip_bfloat16PSL_PKlPlN2at6native12_GLOBAL__N_18offset_tEEE10hipError_tPvRmT1_PNSt15iterator_traitsISZ_E10value_typeET2_T3_PNS10_IS15_E10value_typeET4_jRbjT5_S1B_jjP12ihipStream_tbEUljE_EEESW_SX_SY_S15_S19_S1B_T6_T7_T9_mT8_S1D_bDpT10_ENKUlT_T0_E_clISt17integral_constantIbLb0EES1Q_EEDaS1L_S1M_EUlS1L_E_NS1_11comp_targetILNS1_3genE8ELNS1_11target_archE1030ELNS1_3gpuE2ELNS1_3repE0EEENS1_30default_config_static_selectorELNS0_4arch9wavefront6targetE0EEEvSZ_, .Lfunc_end2024-_ZN7rocprim17ROCPRIM_400000_NS6detail17trampoline_kernelINS0_13select_configILj256ELj13ELNS0_17block_load_methodE3ELS4_3ELS4_3ELNS0_20block_scan_algorithmE0ELj4294967295EEENS1_25partition_config_selectorILNS1_17partition_subalgoE3EjNS0_10empty_typeEbEEZZNS1_14partition_implILS8_3ELb0ES6_jNS0_17counting_iteratorIjlEEPS9_SE_NS0_5tupleIJPjSE_EEENSF_IJSE_SE_EEES9_SG_JZNS1_25segmented_radix_sort_implINS0_14default_configELb0EPK12hip_bfloat16PSL_PKlPlN2at6native12_GLOBAL__N_18offset_tEEE10hipError_tPvRmT1_PNSt15iterator_traitsISZ_E10value_typeET2_T3_PNS10_IS15_E10value_typeET4_jRbjT5_S1B_jjP12ihipStream_tbEUljE_EEESW_SX_SY_S15_S19_S1B_T6_T7_T9_mT8_S1D_bDpT10_ENKUlT_T0_E_clISt17integral_constantIbLb0EES1Q_EEDaS1L_S1M_EUlS1L_E_NS1_11comp_targetILNS1_3genE8ELNS1_11target_archE1030ELNS1_3gpuE2ELNS1_3repE0EEENS1_30default_config_static_selectorELNS0_4arch9wavefront6targetE0EEEvSZ_
                                        ; -- End function
	.section	.AMDGPU.csdata,"",@progbits
; Kernel info:
; codeLenInByte = 0
; NumSgprs: 0
; NumVgprs: 0
; ScratchSize: 0
; MemoryBound: 0
; FloatMode: 240
; IeeeMode: 1
; LDSByteSize: 0 bytes/workgroup (compile time only)
; SGPRBlocks: 0
; VGPRBlocks: 0
; NumSGPRsForWavesPerEU: 1
; NumVGPRsForWavesPerEU: 1
; Occupancy: 16
; WaveLimiterHint : 0
; COMPUTE_PGM_RSRC2:SCRATCH_EN: 0
; COMPUTE_PGM_RSRC2:USER_SGPR: 15
; COMPUTE_PGM_RSRC2:TRAP_HANDLER: 0
; COMPUTE_PGM_RSRC2:TGID_X_EN: 1
; COMPUTE_PGM_RSRC2:TGID_Y_EN: 0
; COMPUTE_PGM_RSRC2:TGID_Z_EN: 0
; COMPUTE_PGM_RSRC2:TIDIG_COMP_CNT: 0
	.section	.text._ZN7rocprim17ROCPRIM_400000_NS6detail17trampoline_kernelINS0_13select_configILj256ELj13ELNS0_17block_load_methodE3ELS4_3ELS4_3ELNS0_20block_scan_algorithmE0ELj4294967295EEENS1_25partition_config_selectorILNS1_17partition_subalgoE3EjNS0_10empty_typeEbEEZZNS1_14partition_implILS8_3ELb0ES6_jNS0_17counting_iteratorIjlEEPS9_SE_NS0_5tupleIJPjSE_EEENSF_IJSE_SE_EEES9_SG_JZNS1_25segmented_radix_sort_implINS0_14default_configELb0EPK12hip_bfloat16PSL_PKlPlN2at6native12_GLOBAL__N_18offset_tEEE10hipError_tPvRmT1_PNSt15iterator_traitsISZ_E10value_typeET2_T3_PNS10_IS15_E10value_typeET4_jRbjT5_S1B_jjP12ihipStream_tbEUljE_EEESW_SX_SY_S15_S19_S1B_T6_T7_T9_mT8_S1D_bDpT10_ENKUlT_T0_E_clISt17integral_constantIbLb1EES1Q_EEDaS1L_S1M_EUlS1L_E_NS1_11comp_targetILNS1_3genE0ELNS1_11target_archE4294967295ELNS1_3gpuE0ELNS1_3repE0EEENS1_30default_config_static_selectorELNS0_4arch9wavefront6targetE0EEEvSZ_,"axG",@progbits,_ZN7rocprim17ROCPRIM_400000_NS6detail17trampoline_kernelINS0_13select_configILj256ELj13ELNS0_17block_load_methodE3ELS4_3ELS4_3ELNS0_20block_scan_algorithmE0ELj4294967295EEENS1_25partition_config_selectorILNS1_17partition_subalgoE3EjNS0_10empty_typeEbEEZZNS1_14partition_implILS8_3ELb0ES6_jNS0_17counting_iteratorIjlEEPS9_SE_NS0_5tupleIJPjSE_EEENSF_IJSE_SE_EEES9_SG_JZNS1_25segmented_radix_sort_implINS0_14default_configELb0EPK12hip_bfloat16PSL_PKlPlN2at6native12_GLOBAL__N_18offset_tEEE10hipError_tPvRmT1_PNSt15iterator_traitsISZ_E10value_typeET2_T3_PNS10_IS15_E10value_typeET4_jRbjT5_S1B_jjP12ihipStream_tbEUljE_EEESW_SX_SY_S15_S19_S1B_T6_T7_T9_mT8_S1D_bDpT10_ENKUlT_T0_E_clISt17integral_constantIbLb1EES1Q_EEDaS1L_S1M_EUlS1L_E_NS1_11comp_targetILNS1_3genE0ELNS1_11target_archE4294967295ELNS1_3gpuE0ELNS1_3repE0EEENS1_30default_config_static_selectorELNS0_4arch9wavefront6targetE0EEEvSZ_,comdat
	.globl	_ZN7rocprim17ROCPRIM_400000_NS6detail17trampoline_kernelINS0_13select_configILj256ELj13ELNS0_17block_load_methodE3ELS4_3ELS4_3ELNS0_20block_scan_algorithmE0ELj4294967295EEENS1_25partition_config_selectorILNS1_17partition_subalgoE3EjNS0_10empty_typeEbEEZZNS1_14partition_implILS8_3ELb0ES6_jNS0_17counting_iteratorIjlEEPS9_SE_NS0_5tupleIJPjSE_EEENSF_IJSE_SE_EEES9_SG_JZNS1_25segmented_radix_sort_implINS0_14default_configELb0EPK12hip_bfloat16PSL_PKlPlN2at6native12_GLOBAL__N_18offset_tEEE10hipError_tPvRmT1_PNSt15iterator_traitsISZ_E10value_typeET2_T3_PNS10_IS15_E10value_typeET4_jRbjT5_S1B_jjP12ihipStream_tbEUljE_EEESW_SX_SY_S15_S19_S1B_T6_T7_T9_mT8_S1D_bDpT10_ENKUlT_T0_E_clISt17integral_constantIbLb1EES1Q_EEDaS1L_S1M_EUlS1L_E_NS1_11comp_targetILNS1_3genE0ELNS1_11target_archE4294967295ELNS1_3gpuE0ELNS1_3repE0EEENS1_30default_config_static_selectorELNS0_4arch9wavefront6targetE0EEEvSZ_ ; -- Begin function _ZN7rocprim17ROCPRIM_400000_NS6detail17trampoline_kernelINS0_13select_configILj256ELj13ELNS0_17block_load_methodE3ELS4_3ELS4_3ELNS0_20block_scan_algorithmE0ELj4294967295EEENS1_25partition_config_selectorILNS1_17partition_subalgoE3EjNS0_10empty_typeEbEEZZNS1_14partition_implILS8_3ELb0ES6_jNS0_17counting_iteratorIjlEEPS9_SE_NS0_5tupleIJPjSE_EEENSF_IJSE_SE_EEES9_SG_JZNS1_25segmented_radix_sort_implINS0_14default_configELb0EPK12hip_bfloat16PSL_PKlPlN2at6native12_GLOBAL__N_18offset_tEEE10hipError_tPvRmT1_PNSt15iterator_traitsISZ_E10value_typeET2_T3_PNS10_IS15_E10value_typeET4_jRbjT5_S1B_jjP12ihipStream_tbEUljE_EEESW_SX_SY_S15_S19_S1B_T6_T7_T9_mT8_S1D_bDpT10_ENKUlT_T0_E_clISt17integral_constantIbLb1EES1Q_EEDaS1L_S1M_EUlS1L_E_NS1_11comp_targetILNS1_3genE0ELNS1_11target_archE4294967295ELNS1_3gpuE0ELNS1_3repE0EEENS1_30default_config_static_selectorELNS0_4arch9wavefront6targetE0EEEvSZ_
	.p2align	8
	.type	_ZN7rocprim17ROCPRIM_400000_NS6detail17trampoline_kernelINS0_13select_configILj256ELj13ELNS0_17block_load_methodE3ELS4_3ELS4_3ELNS0_20block_scan_algorithmE0ELj4294967295EEENS1_25partition_config_selectorILNS1_17partition_subalgoE3EjNS0_10empty_typeEbEEZZNS1_14partition_implILS8_3ELb0ES6_jNS0_17counting_iteratorIjlEEPS9_SE_NS0_5tupleIJPjSE_EEENSF_IJSE_SE_EEES9_SG_JZNS1_25segmented_radix_sort_implINS0_14default_configELb0EPK12hip_bfloat16PSL_PKlPlN2at6native12_GLOBAL__N_18offset_tEEE10hipError_tPvRmT1_PNSt15iterator_traitsISZ_E10value_typeET2_T3_PNS10_IS15_E10value_typeET4_jRbjT5_S1B_jjP12ihipStream_tbEUljE_EEESW_SX_SY_S15_S19_S1B_T6_T7_T9_mT8_S1D_bDpT10_ENKUlT_T0_E_clISt17integral_constantIbLb1EES1Q_EEDaS1L_S1M_EUlS1L_E_NS1_11comp_targetILNS1_3genE0ELNS1_11target_archE4294967295ELNS1_3gpuE0ELNS1_3repE0EEENS1_30default_config_static_selectorELNS0_4arch9wavefront6targetE0EEEvSZ_,@function
_ZN7rocprim17ROCPRIM_400000_NS6detail17trampoline_kernelINS0_13select_configILj256ELj13ELNS0_17block_load_methodE3ELS4_3ELS4_3ELNS0_20block_scan_algorithmE0ELj4294967295EEENS1_25partition_config_selectorILNS1_17partition_subalgoE3EjNS0_10empty_typeEbEEZZNS1_14partition_implILS8_3ELb0ES6_jNS0_17counting_iteratorIjlEEPS9_SE_NS0_5tupleIJPjSE_EEENSF_IJSE_SE_EEES9_SG_JZNS1_25segmented_radix_sort_implINS0_14default_configELb0EPK12hip_bfloat16PSL_PKlPlN2at6native12_GLOBAL__N_18offset_tEEE10hipError_tPvRmT1_PNSt15iterator_traitsISZ_E10value_typeET2_T3_PNS10_IS15_E10value_typeET4_jRbjT5_S1B_jjP12ihipStream_tbEUljE_EEESW_SX_SY_S15_S19_S1B_T6_T7_T9_mT8_S1D_bDpT10_ENKUlT_T0_E_clISt17integral_constantIbLb1EES1Q_EEDaS1L_S1M_EUlS1L_E_NS1_11comp_targetILNS1_3genE0ELNS1_11target_archE4294967295ELNS1_3gpuE0ELNS1_3repE0EEENS1_30default_config_static_selectorELNS0_4arch9wavefront6targetE0EEEvSZ_: ; @_ZN7rocprim17ROCPRIM_400000_NS6detail17trampoline_kernelINS0_13select_configILj256ELj13ELNS0_17block_load_methodE3ELS4_3ELS4_3ELNS0_20block_scan_algorithmE0ELj4294967295EEENS1_25partition_config_selectorILNS1_17partition_subalgoE3EjNS0_10empty_typeEbEEZZNS1_14partition_implILS8_3ELb0ES6_jNS0_17counting_iteratorIjlEEPS9_SE_NS0_5tupleIJPjSE_EEENSF_IJSE_SE_EEES9_SG_JZNS1_25segmented_radix_sort_implINS0_14default_configELb0EPK12hip_bfloat16PSL_PKlPlN2at6native12_GLOBAL__N_18offset_tEEE10hipError_tPvRmT1_PNSt15iterator_traitsISZ_E10value_typeET2_T3_PNS10_IS15_E10value_typeET4_jRbjT5_S1B_jjP12ihipStream_tbEUljE_EEESW_SX_SY_S15_S19_S1B_T6_T7_T9_mT8_S1D_bDpT10_ENKUlT_T0_E_clISt17integral_constantIbLb1EES1Q_EEDaS1L_S1M_EUlS1L_E_NS1_11comp_targetILNS1_3genE0ELNS1_11target_archE4294967295ELNS1_3gpuE0ELNS1_3repE0EEENS1_30default_config_static_selectorELNS0_4arch9wavefront6targetE0EEEvSZ_
; %bb.0:
	.section	.rodata,"a",@progbits
	.p2align	6, 0x0
	.amdhsa_kernel _ZN7rocprim17ROCPRIM_400000_NS6detail17trampoline_kernelINS0_13select_configILj256ELj13ELNS0_17block_load_methodE3ELS4_3ELS4_3ELNS0_20block_scan_algorithmE0ELj4294967295EEENS1_25partition_config_selectorILNS1_17partition_subalgoE3EjNS0_10empty_typeEbEEZZNS1_14partition_implILS8_3ELb0ES6_jNS0_17counting_iteratorIjlEEPS9_SE_NS0_5tupleIJPjSE_EEENSF_IJSE_SE_EEES9_SG_JZNS1_25segmented_radix_sort_implINS0_14default_configELb0EPK12hip_bfloat16PSL_PKlPlN2at6native12_GLOBAL__N_18offset_tEEE10hipError_tPvRmT1_PNSt15iterator_traitsISZ_E10value_typeET2_T3_PNS10_IS15_E10value_typeET4_jRbjT5_S1B_jjP12ihipStream_tbEUljE_EEESW_SX_SY_S15_S19_S1B_T6_T7_T9_mT8_S1D_bDpT10_ENKUlT_T0_E_clISt17integral_constantIbLb1EES1Q_EEDaS1L_S1M_EUlS1L_E_NS1_11comp_targetILNS1_3genE0ELNS1_11target_archE4294967295ELNS1_3gpuE0ELNS1_3repE0EEENS1_30default_config_static_selectorELNS0_4arch9wavefront6targetE0EEEvSZ_
		.amdhsa_group_segment_fixed_size 0
		.amdhsa_private_segment_fixed_size 0
		.amdhsa_kernarg_size 152
		.amdhsa_user_sgpr_count 15
		.amdhsa_user_sgpr_dispatch_ptr 0
		.amdhsa_user_sgpr_queue_ptr 0
		.amdhsa_user_sgpr_kernarg_segment_ptr 1
		.amdhsa_user_sgpr_dispatch_id 0
		.amdhsa_user_sgpr_private_segment_size 0
		.amdhsa_wavefront_size32 1
		.amdhsa_uses_dynamic_stack 0
		.amdhsa_enable_private_segment 0
		.amdhsa_system_sgpr_workgroup_id_x 1
		.amdhsa_system_sgpr_workgroup_id_y 0
		.amdhsa_system_sgpr_workgroup_id_z 0
		.amdhsa_system_sgpr_workgroup_info 0
		.amdhsa_system_vgpr_workitem_id 0
		.amdhsa_next_free_vgpr 1
		.amdhsa_next_free_sgpr 1
		.amdhsa_reserve_vcc 0
		.amdhsa_float_round_mode_32 0
		.amdhsa_float_round_mode_16_64 0
		.amdhsa_float_denorm_mode_32 3
		.amdhsa_float_denorm_mode_16_64 3
		.amdhsa_dx10_clamp 1
		.amdhsa_ieee_mode 1
		.amdhsa_fp16_overflow 0
		.amdhsa_workgroup_processor_mode 1
		.amdhsa_memory_ordered 1
		.amdhsa_forward_progress 0
		.amdhsa_shared_vgpr_count 0
		.amdhsa_exception_fp_ieee_invalid_op 0
		.amdhsa_exception_fp_denorm_src 0
		.amdhsa_exception_fp_ieee_div_zero 0
		.amdhsa_exception_fp_ieee_overflow 0
		.amdhsa_exception_fp_ieee_underflow 0
		.amdhsa_exception_fp_ieee_inexact 0
		.amdhsa_exception_int_div_zero 0
	.end_amdhsa_kernel
	.section	.text._ZN7rocprim17ROCPRIM_400000_NS6detail17trampoline_kernelINS0_13select_configILj256ELj13ELNS0_17block_load_methodE3ELS4_3ELS4_3ELNS0_20block_scan_algorithmE0ELj4294967295EEENS1_25partition_config_selectorILNS1_17partition_subalgoE3EjNS0_10empty_typeEbEEZZNS1_14partition_implILS8_3ELb0ES6_jNS0_17counting_iteratorIjlEEPS9_SE_NS0_5tupleIJPjSE_EEENSF_IJSE_SE_EEES9_SG_JZNS1_25segmented_radix_sort_implINS0_14default_configELb0EPK12hip_bfloat16PSL_PKlPlN2at6native12_GLOBAL__N_18offset_tEEE10hipError_tPvRmT1_PNSt15iterator_traitsISZ_E10value_typeET2_T3_PNS10_IS15_E10value_typeET4_jRbjT5_S1B_jjP12ihipStream_tbEUljE_EEESW_SX_SY_S15_S19_S1B_T6_T7_T9_mT8_S1D_bDpT10_ENKUlT_T0_E_clISt17integral_constantIbLb1EES1Q_EEDaS1L_S1M_EUlS1L_E_NS1_11comp_targetILNS1_3genE0ELNS1_11target_archE4294967295ELNS1_3gpuE0ELNS1_3repE0EEENS1_30default_config_static_selectorELNS0_4arch9wavefront6targetE0EEEvSZ_,"axG",@progbits,_ZN7rocprim17ROCPRIM_400000_NS6detail17trampoline_kernelINS0_13select_configILj256ELj13ELNS0_17block_load_methodE3ELS4_3ELS4_3ELNS0_20block_scan_algorithmE0ELj4294967295EEENS1_25partition_config_selectorILNS1_17partition_subalgoE3EjNS0_10empty_typeEbEEZZNS1_14partition_implILS8_3ELb0ES6_jNS0_17counting_iteratorIjlEEPS9_SE_NS0_5tupleIJPjSE_EEENSF_IJSE_SE_EEES9_SG_JZNS1_25segmented_radix_sort_implINS0_14default_configELb0EPK12hip_bfloat16PSL_PKlPlN2at6native12_GLOBAL__N_18offset_tEEE10hipError_tPvRmT1_PNSt15iterator_traitsISZ_E10value_typeET2_T3_PNS10_IS15_E10value_typeET4_jRbjT5_S1B_jjP12ihipStream_tbEUljE_EEESW_SX_SY_S15_S19_S1B_T6_T7_T9_mT8_S1D_bDpT10_ENKUlT_T0_E_clISt17integral_constantIbLb1EES1Q_EEDaS1L_S1M_EUlS1L_E_NS1_11comp_targetILNS1_3genE0ELNS1_11target_archE4294967295ELNS1_3gpuE0ELNS1_3repE0EEENS1_30default_config_static_selectorELNS0_4arch9wavefront6targetE0EEEvSZ_,comdat
.Lfunc_end2025:
	.size	_ZN7rocprim17ROCPRIM_400000_NS6detail17trampoline_kernelINS0_13select_configILj256ELj13ELNS0_17block_load_methodE3ELS4_3ELS4_3ELNS0_20block_scan_algorithmE0ELj4294967295EEENS1_25partition_config_selectorILNS1_17partition_subalgoE3EjNS0_10empty_typeEbEEZZNS1_14partition_implILS8_3ELb0ES6_jNS0_17counting_iteratorIjlEEPS9_SE_NS0_5tupleIJPjSE_EEENSF_IJSE_SE_EEES9_SG_JZNS1_25segmented_radix_sort_implINS0_14default_configELb0EPK12hip_bfloat16PSL_PKlPlN2at6native12_GLOBAL__N_18offset_tEEE10hipError_tPvRmT1_PNSt15iterator_traitsISZ_E10value_typeET2_T3_PNS10_IS15_E10value_typeET4_jRbjT5_S1B_jjP12ihipStream_tbEUljE_EEESW_SX_SY_S15_S19_S1B_T6_T7_T9_mT8_S1D_bDpT10_ENKUlT_T0_E_clISt17integral_constantIbLb1EES1Q_EEDaS1L_S1M_EUlS1L_E_NS1_11comp_targetILNS1_3genE0ELNS1_11target_archE4294967295ELNS1_3gpuE0ELNS1_3repE0EEENS1_30default_config_static_selectorELNS0_4arch9wavefront6targetE0EEEvSZ_, .Lfunc_end2025-_ZN7rocprim17ROCPRIM_400000_NS6detail17trampoline_kernelINS0_13select_configILj256ELj13ELNS0_17block_load_methodE3ELS4_3ELS4_3ELNS0_20block_scan_algorithmE0ELj4294967295EEENS1_25partition_config_selectorILNS1_17partition_subalgoE3EjNS0_10empty_typeEbEEZZNS1_14partition_implILS8_3ELb0ES6_jNS0_17counting_iteratorIjlEEPS9_SE_NS0_5tupleIJPjSE_EEENSF_IJSE_SE_EEES9_SG_JZNS1_25segmented_radix_sort_implINS0_14default_configELb0EPK12hip_bfloat16PSL_PKlPlN2at6native12_GLOBAL__N_18offset_tEEE10hipError_tPvRmT1_PNSt15iterator_traitsISZ_E10value_typeET2_T3_PNS10_IS15_E10value_typeET4_jRbjT5_S1B_jjP12ihipStream_tbEUljE_EEESW_SX_SY_S15_S19_S1B_T6_T7_T9_mT8_S1D_bDpT10_ENKUlT_T0_E_clISt17integral_constantIbLb1EES1Q_EEDaS1L_S1M_EUlS1L_E_NS1_11comp_targetILNS1_3genE0ELNS1_11target_archE4294967295ELNS1_3gpuE0ELNS1_3repE0EEENS1_30default_config_static_selectorELNS0_4arch9wavefront6targetE0EEEvSZ_
                                        ; -- End function
	.section	.AMDGPU.csdata,"",@progbits
; Kernel info:
; codeLenInByte = 0
; NumSgprs: 0
; NumVgprs: 0
; ScratchSize: 0
; MemoryBound: 0
; FloatMode: 240
; IeeeMode: 1
; LDSByteSize: 0 bytes/workgroup (compile time only)
; SGPRBlocks: 0
; VGPRBlocks: 0
; NumSGPRsForWavesPerEU: 1
; NumVGPRsForWavesPerEU: 1
; Occupancy: 16
; WaveLimiterHint : 0
; COMPUTE_PGM_RSRC2:SCRATCH_EN: 0
; COMPUTE_PGM_RSRC2:USER_SGPR: 15
; COMPUTE_PGM_RSRC2:TRAP_HANDLER: 0
; COMPUTE_PGM_RSRC2:TGID_X_EN: 1
; COMPUTE_PGM_RSRC2:TGID_Y_EN: 0
; COMPUTE_PGM_RSRC2:TGID_Z_EN: 0
; COMPUTE_PGM_RSRC2:TIDIG_COMP_CNT: 0
	.section	.text._ZN7rocprim17ROCPRIM_400000_NS6detail17trampoline_kernelINS0_13select_configILj256ELj13ELNS0_17block_load_methodE3ELS4_3ELS4_3ELNS0_20block_scan_algorithmE0ELj4294967295EEENS1_25partition_config_selectorILNS1_17partition_subalgoE3EjNS0_10empty_typeEbEEZZNS1_14partition_implILS8_3ELb0ES6_jNS0_17counting_iteratorIjlEEPS9_SE_NS0_5tupleIJPjSE_EEENSF_IJSE_SE_EEES9_SG_JZNS1_25segmented_radix_sort_implINS0_14default_configELb0EPK12hip_bfloat16PSL_PKlPlN2at6native12_GLOBAL__N_18offset_tEEE10hipError_tPvRmT1_PNSt15iterator_traitsISZ_E10value_typeET2_T3_PNS10_IS15_E10value_typeET4_jRbjT5_S1B_jjP12ihipStream_tbEUljE_EEESW_SX_SY_S15_S19_S1B_T6_T7_T9_mT8_S1D_bDpT10_ENKUlT_T0_E_clISt17integral_constantIbLb1EES1Q_EEDaS1L_S1M_EUlS1L_E_NS1_11comp_targetILNS1_3genE5ELNS1_11target_archE942ELNS1_3gpuE9ELNS1_3repE0EEENS1_30default_config_static_selectorELNS0_4arch9wavefront6targetE0EEEvSZ_,"axG",@progbits,_ZN7rocprim17ROCPRIM_400000_NS6detail17trampoline_kernelINS0_13select_configILj256ELj13ELNS0_17block_load_methodE3ELS4_3ELS4_3ELNS0_20block_scan_algorithmE0ELj4294967295EEENS1_25partition_config_selectorILNS1_17partition_subalgoE3EjNS0_10empty_typeEbEEZZNS1_14partition_implILS8_3ELb0ES6_jNS0_17counting_iteratorIjlEEPS9_SE_NS0_5tupleIJPjSE_EEENSF_IJSE_SE_EEES9_SG_JZNS1_25segmented_radix_sort_implINS0_14default_configELb0EPK12hip_bfloat16PSL_PKlPlN2at6native12_GLOBAL__N_18offset_tEEE10hipError_tPvRmT1_PNSt15iterator_traitsISZ_E10value_typeET2_T3_PNS10_IS15_E10value_typeET4_jRbjT5_S1B_jjP12ihipStream_tbEUljE_EEESW_SX_SY_S15_S19_S1B_T6_T7_T9_mT8_S1D_bDpT10_ENKUlT_T0_E_clISt17integral_constantIbLb1EES1Q_EEDaS1L_S1M_EUlS1L_E_NS1_11comp_targetILNS1_3genE5ELNS1_11target_archE942ELNS1_3gpuE9ELNS1_3repE0EEENS1_30default_config_static_selectorELNS0_4arch9wavefront6targetE0EEEvSZ_,comdat
	.globl	_ZN7rocprim17ROCPRIM_400000_NS6detail17trampoline_kernelINS0_13select_configILj256ELj13ELNS0_17block_load_methodE3ELS4_3ELS4_3ELNS0_20block_scan_algorithmE0ELj4294967295EEENS1_25partition_config_selectorILNS1_17partition_subalgoE3EjNS0_10empty_typeEbEEZZNS1_14partition_implILS8_3ELb0ES6_jNS0_17counting_iteratorIjlEEPS9_SE_NS0_5tupleIJPjSE_EEENSF_IJSE_SE_EEES9_SG_JZNS1_25segmented_radix_sort_implINS0_14default_configELb0EPK12hip_bfloat16PSL_PKlPlN2at6native12_GLOBAL__N_18offset_tEEE10hipError_tPvRmT1_PNSt15iterator_traitsISZ_E10value_typeET2_T3_PNS10_IS15_E10value_typeET4_jRbjT5_S1B_jjP12ihipStream_tbEUljE_EEESW_SX_SY_S15_S19_S1B_T6_T7_T9_mT8_S1D_bDpT10_ENKUlT_T0_E_clISt17integral_constantIbLb1EES1Q_EEDaS1L_S1M_EUlS1L_E_NS1_11comp_targetILNS1_3genE5ELNS1_11target_archE942ELNS1_3gpuE9ELNS1_3repE0EEENS1_30default_config_static_selectorELNS0_4arch9wavefront6targetE0EEEvSZ_ ; -- Begin function _ZN7rocprim17ROCPRIM_400000_NS6detail17trampoline_kernelINS0_13select_configILj256ELj13ELNS0_17block_load_methodE3ELS4_3ELS4_3ELNS0_20block_scan_algorithmE0ELj4294967295EEENS1_25partition_config_selectorILNS1_17partition_subalgoE3EjNS0_10empty_typeEbEEZZNS1_14partition_implILS8_3ELb0ES6_jNS0_17counting_iteratorIjlEEPS9_SE_NS0_5tupleIJPjSE_EEENSF_IJSE_SE_EEES9_SG_JZNS1_25segmented_radix_sort_implINS0_14default_configELb0EPK12hip_bfloat16PSL_PKlPlN2at6native12_GLOBAL__N_18offset_tEEE10hipError_tPvRmT1_PNSt15iterator_traitsISZ_E10value_typeET2_T3_PNS10_IS15_E10value_typeET4_jRbjT5_S1B_jjP12ihipStream_tbEUljE_EEESW_SX_SY_S15_S19_S1B_T6_T7_T9_mT8_S1D_bDpT10_ENKUlT_T0_E_clISt17integral_constantIbLb1EES1Q_EEDaS1L_S1M_EUlS1L_E_NS1_11comp_targetILNS1_3genE5ELNS1_11target_archE942ELNS1_3gpuE9ELNS1_3repE0EEENS1_30default_config_static_selectorELNS0_4arch9wavefront6targetE0EEEvSZ_
	.p2align	8
	.type	_ZN7rocprim17ROCPRIM_400000_NS6detail17trampoline_kernelINS0_13select_configILj256ELj13ELNS0_17block_load_methodE3ELS4_3ELS4_3ELNS0_20block_scan_algorithmE0ELj4294967295EEENS1_25partition_config_selectorILNS1_17partition_subalgoE3EjNS0_10empty_typeEbEEZZNS1_14partition_implILS8_3ELb0ES6_jNS0_17counting_iteratorIjlEEPS9_SE_NS0_5tupleIJPjSE_EEENSF_IJSE_SE_EEES9_SG_JZNS1_25segmented_radix_sort_implINS0_14default_configELb0EPK12hip_bfloat16PSL_PKlPlN2at6native12_GLOBAL__N_18offset_tEEE10hipError_tPvRmT1_PNSt15iterator_traitsISZ_E10value_typeET2_T3_PNS10_IS15_E10value_typeET4_jRbjT5_S1B_jjP12ihipStream_tbEUljE_EEESW_SX_SY_S15_S19_S1B_T6_T7_T9_mT8_S1D_bDpT10_ENKUlT_T0_E_clISt17integral_constantIbLb1EES1Q_EEDaS1L_S1M_EUlS1L_E_NS1_11comp_targetILNS1_3genE5ELNS1_11target_archE942ELNS1_3gpuE9ELNS1_3repE0EEENS1_30default_config_static_selectorELNS0_4arch9wavefront6targetE0EEEvSZ_,@function
_ZN7rocprim17ROCPRIM_400000_NS6detail17trampoline_kernelINS0_13select_configILj256ELj13ELNS0_17block_load_methodE3ELS4_3ELS4_3ELNS0_20block_scan_algorithmE0ELj4294967295EEENS1_25partition_config_selectorILNS1_17partition_subalgoE3EjNS0_10empty_typeEbEEZZNS1_14partition_implILS8_3ELb0ES6_jNS0_17counting_iteratorIjlEEPS9_SE_NS0_5tupleIJPjSE_EEENSF_IJSE_SE_EEES9_SG_JZNS1_25segmented_radix_sort_implINS0_14default_configELb0EPK12hip_bfloat16PSL_PKlPlN2at6native12_GLOBAL__N_18offset_tEEE10hipError_tPvRmT1_PNSt15iterator_traitsISZ_E10value_typeET2_T3_PNS10_IS15_E10value_typeET4_jRbjT5_S1B_jjP12ihipStream_tbEUljE_EEESW_SX_SY_S15_S19_S1B_T6_T7_T9_mT8_S1D_bDpT10_ENKUlT_T0_E_clISt17integral_constantIbLb1EES1Q_EEDaS1L_S1M_EUlS1L_E_NS1_11comp_targetILNS1_3genE5ELNS1_11target_archE942ELNS1_3gpuE9ELNS1_3repE0EEENS1_30default_config_static_selectorELNS0_4arch9wavefront6targetE0EEEvSZ_: ; @_ZN7rocprim17ROCPRIM_400000_NS6detail17trampoline_kernelINS0_13select_configILj256ELj13ELNS0_17block_load_methodE3ELS4_3ELS4_3ELNS0_20block_scan_algorithmE0ELj4294967295EEENS1_25partition_config_selectorILNS1_17partition_subalgoE3EjNS0_10empty_typeEbEEZZNS1_14partition_implILS8_3ELb0ES6_jNS0_17counting_iteratorIjlEEPS9_SE_NS0_5tupleIJPjSE_EEENSF_IJSE_SE_EEES9_SG_JZNS1_25segmented_radix_sort_implINS0_14default_configELb0EPK12hip_bfloat16PSL_PKlPlN2at6native12_GLOBAL__N_18offset_tEEE10hipError_tPvRmT1_PNSt15iterator_traitsISZ_E10value_typeET2_T3_PNS10_IS15_E10value_typeET4_jRbjT5_S1B_jjP12ihipStream_tbEUljE_EEESW_SX_SY_S15_S19_S1B_T6_T7_T9_mT8_S1D_bDpT10_ENKUlT_T0_E_clISt17integral_constantIbLb1EES1Q_EEDaS1L_S1M_EUlS1L_E_NS1_11comp_targetILNS1_3genE5ELNS1_11target_archE942ELNS1_3gpuE9ELNS1_3repE0EEENS1_30default_config_static_selectorELNS0_4arch9wavefront6targetE0EEEvSZ_
; %bb.0:
	.section	.rodata,"a",@progbits
	.p2align	6, 0x0
	.amdhsa_kernel _ZN7rocprim17ROCPRIM_400000_NS6detail17trampoline_kernelINS0_13select_configILj256ELj13ELNS0_17block_load_methodE3ELS4_3ELS4_3ELNS0_20block_scan_algorithmE0ELj4294967295EEENS1_25partition_config_selectorILNS1_17partition_subalgoE3EjNS0_10empty_typeEbEEZZNS1_14partition_implILS8_3ELb0ES6_jNS0_17counting_iteratorIjlEEPS9_SE_NS0_5tupleIJPjSE_EEENSF_IJSE_SE_EEES9_SG_JZNS1_25segmented_radix_sort_implINS0_14default_configELb0EPK12hip_bfloat16PSL_PKlPlN2at6native12_GLOBAL__N_18offset_tEEE10hipError_tPvRmT1_PNSt15iterator_traitsISZ_E10value_typeET2_T3_PNS10_IS15_E10value_typeET4_jRbjT5_S1B_jjP12ihipStream_tbEUljE_EEESW_SX_SY_S15_S19_S1B_T6_T7_T9_mT8_S1D_bDpT10_ENKUlT_T0_E_clISt17integral_constantIbLb1EES1Q_EEDaS1L_S1M_EUlS1L_E_NS1_11comp_targetILNS1_3genE5ELNS1_11target_archE942ELNS1_3gpuE9ELNS1_3repE0EEENS1_30default_config_static_selectorELNS0_4arch9wavefront6targetE0EEEvSZ_
		.amdhsa_group_segment_fixed_size 0
		.amdhsa_private_segment_fixed_size 0
		.amdhsa_kernarg_size 152
		.amdhsa_user_sgpr_count 15
		.amdhsa_user_sgpr_dispatch_ptr 0
		.amdhsa_user_sgpr_queue_ptr 0
		.amdhsa_user_sgpr_kernarg_segment_ptr 1
		.amdhsa_user_sgpr_dispatch_id 0
		.amdhsa_user_sgpr_private_segment_size 0
		.amdhsa_wavefront_size32 1
		.amdhsa_uses_dynamic_stack 0
		.amdhsa_enable_private_segment 0
		.amdhsa_system_sgpr_workgroup_id_x 1
		.amdhsa_system_sgpr_workgroup_id_y 0
		.amdhsa_system_sgpr_workgroup_id_z 0
		.amdhsa_system_sgpr_workgroup_info 0
		.amdhsa_system_vgpr_workitem_id 0
		.amdhsa_next_free_vgpr 1
		.amdhsa_next_free_sgpr 1
		.amdhsa_reserve_vcc 0
		.amdhsa_float_round_mode_32 0
		.amdhsa_float_round_mode_16_64 0
		.amdhsa_float_denorm_mode_32 3
		.amdhsa_float_denorm_mode_16_64 3
		.amdhsa_dx10_clamp 1
		.amdhsa_ieee_mode 1
		.amdhsa_fp16_overflow 0
		.amdhsa_workgroup_processor_mode 1
		.amdhsa_memory_ordered 1
		.amdhsa_forward_progress 0
		.amdhsa_shared_vgpr_count 0
		.amdhsa_exception_fp_ieee_invalid_op 0
		.amdhsa_exception_fp_denorm_src 0
		.amdhsa_exception_fp_ieee_div_zero 0
		.amdhsa_exception_fp_ieee_overflow 0
		.amdhsa_exception_fp_ieee_underflow 0
		.amdhsa_exception_fp_ieee_inexact 0
		.amdhsa_exception_int_div_zero 0
	.end_amdhsa_kernel
	.section	.text._ZN7rocprim17ROCPRIM_400000_NS6detail17trampoline_kernelINS0_13select_configILj256ELj13ELNS0_17block_load_methodE3ELS4_3ELS4_3ELNS0_20block_scan_algorithmE0ELj4294967295EEENS1_25partition_config_selectorILNS1_17partition_subalgoE3EjNS0_10empty_typeEbEEZZNS1_14partition_implILS8_3ELb0ES6_jNS0_17counting_iteratorIjlEEPS9_SE_NS0_5tupleIJPjSE_EEENSF_IJSE_SE_EEES9_SG_JZNS1_25segmented_radix_sort_implINS0_14default_configELb0EPK12hip_bfloat16PSL_PKlPlN2at6native12_GLOBAL__N_18offset_tEEE10hipError_tPvRmT1_PNSt15iterator_traitsISZ_E10value_typeET2_T3_PNS10_IS15_E10value_typeET4_jRbjT5_S1B_jjP12ihipStream_tbEUljE_EEESW_SX_SY_S15_S19_S1B_T6_T7_T9_mT8_S1D_bDpT10_ENKUlT_T0_E_clISt17integral_constantIbLb1EES1Q_EEDaS1L_S1M_EUlS1L_E_NS1_11comp_targetILNS1_3genE5ELNS1_11target_archE942ELNS1_3gpuE9ELNS1_3repE0EEENS1_30default_config_static_selectorELNS0_4arch9wavefront6targetE0EEEvSZ_,"axG",@progbits,_ZN7rocprim17ROCPRIM_400000_NS6detail17trampoline_kernelINS0_13select_configILj256ELj13ELNS0_17block_load_methodE3ELS4_3ELS4_3ELNS0_20block_scan_algorithmE0ELj4294967295EEENS1_25partition_config_selectorILNS1_17partition_subalgoE3EjNS0_10empty_typeEbEEZZNS1_14partition_implILS8_3ELb0ES6_jNS0_17counting_iteratorIjlEEPS9_SE_NS0_5tupleIJPjSE_EEENSF_IJSE_SE_EEES9_SG_JZNS1_25segmented_radix_sort_implINS0_14default_configELb0EPK12hip_bfloat16PSL_PKlPlN2at6native12_GLOBAL__N_18offset_tEEE10hipError_tPvRmT1_PNSt15iterator_traitsISZ_E10value_typeET2_T3_PNS10_IS15_E10value_typeET4_jRbjT5_S1B_jjP12ihipStream_tbEUljE_EEESW_SX_SY_S15_S19_S1B_T6_T7_T9_mT8_S1D_bDpT10_ENKUlT_T0_E_clISt17integral_constantIbLb1EES1Q_EEDaS1L_S1M_EUlS1L_E_NS1_11comp_targetILNS1_3genE5ELNS1_11target_archE942ELNS1_3gpuE9ELNS1_3repE0EEENS1_30default_config_static_selectorELNS0_4arch9wavefront6targetE0EEEvSZ_,comdat
.Lfunc_end2026:
	.size	_ZN7rocprim17ROCPRIM_400000_NS6detail17trampoline_kernelINS0_13select_configILj256ELj13ELNS0_17block_load_methodE3ELS4_3ELS4_3ELNS0_20block_scan_algorithmE0ELj4294967295EEENS1_25partition_config_selectorILNS1_17partition_subalgoE3EjNS0_10empty_typeEbEEZZNS1_14partition_implILS8_3ELb0ES6_jNS0_17counting_iteratorIjlEEPS9_SE_NS0_5tupleIJPjSE_EEENSF_IJSE_SE_EEES9_SG_JZNS1_25segmented_radix_sort_implINS0_14default_configELb0EPK12hip_bfloat16PSL_PKlPlN2at6native12_GLOBAL__N_18offset_tEEE10hipError_tPvRmT1_PNSt15iterator_traitsISZ_E10value_typeET2_T3_PNS10_IS15_E10value_typeET4_jRbjT5_S1B_jjP12ihipStream_tbEUljE_EEESW_SX_SY_S15_S19_S1B_T6_T7_T9_mT8_S1D_bDpT10_ENKUlT_T0_E_clISt17integral_constantIbLb1EES1Q_EEDaS1L_S1M_EUlS1L_E_NS1_11comp_targetILNS1_3genE5ELNS1_11target_archE942ELNS1_3gpuE9ELNS1_3repE0EEENS1_30default_config_static_selectorELNS0_4arch9wavefront6targetE0EEEvSZ_, .Lfunc_end2026-_ZN7rocprim17ROCPRIM_400000_NS6detail17trampoline_kernelINS0_13select_configILj256ELj13ELNS0_17block_load_methodE3ELS4_3ELS4_3ELNS0_20block_scan_algorithmE0ELj4294967295EEENS1_25partition_config_selectorILNS1_17partition_subalgoE3EjNS0_10empty_typeEbEEZZNS1_14partition_implILS8_3ELb0ES6_jNS0_17counting_iteratorIjlEEPS9_SE_NS0_5tupleIJPjSE_EEENSF_IJSE_SE_EEES9_SG_JZNS1_25segmented_radix_sort_implINS0_14default_configELb0EPK12hip_bfloat16PSL_PKlPlN2at6native12_GLOBAL__N_18offset_tEEE10hipError_tPvRmT1_PNSt15iterator_traitsISZ_E10value_typeET2_T3_PNS10_IS15_E10value_typeET4_jRbjT5_S1B_jjP12ihipStream_tbEUljE_EEESW_SX_SY_S15_S19_S1B_T6_T7_T9_mT8_S1D_bDpT10_ENKUlT_T0_E_clISt17integral_constantIbLb1EES1Q_EEDaS1L_S1M_EUlS1L_E_NS1_11comp_targetILNS1_3genE5ELNS1_11target_archE942ELNS1_3gpuE9ELNS1_3repE0EEENS1_30default_config_static_selectorELNS0_4arch9wavefront6targetE0EEEvSZ_
                                        ; -- End function
	.section	.AMDGPU.csdata,"",@progbits
; Kernel info:
; codeLenInByte = 0
; NumSgprs: 0
; NumVgprs: 0
; ScratchSize: 0
; MemoryBound: 0
; FloatMode: 240
; IeeeMode: 1
; LDSByteSize: 0 bytes/workgroup (compile time only)
; SGPRBlocks: 0
; VGPRBlocks: 0
; NumSGPRsForWavesPerEU: 1
; NumVGPRsForWavesPerEU: 1
; Occupancy: 16
; WaveLimiterHint : 0
; COMPUTE_PGM_RSRC2:SCRATCH_EN: 0
; COMPUTE_PGM_RSRC2:USER_SGPR: 15
; COMPUTE_PGM_RSRC2:TRAP_HANDLER: 0
; COMPUTE_PGM_RSRC2:TGID_X_EN: 1
; COMPUTE_PGM_RSRC2:TGID_Y_EN: 0
; COMPUTE_PGM_RSRC2:TGID_Z_EN: 0
; COMPUTE_PGM_RSRC2:TIDIG_COMP_CNT: 0
	.section	.text._ZN7rocprim17ROCPRIM_400000_NS6detail17trampoline_kernelINS0_13select_configILj256ELj13ELNS0_17block_load_methodE3ELS4_3ELS4_3ELNS0_20block_scan_algorithmE0ELj4294967295EEENS1_25partition_config_selectorILNS1_17partition_subalgoE3EjNS0_10empty_typeEbEEZZNS1_14partition_implILS8_3ELb0ES6_jNS0_17counting_iteratorIjlEEPS9_SE_NS0_5tupleIJPjSE_EEENSF_IJSE_SE_EEES9_SG_JZNS1_25segmented_radix_sort_implINS0_14default_configELb0EPK12hip_bfloat16PSL_PKlPlN2at6native12_GLOBAL__N_18offset_tEEE10hipError_tPvRmT1_PNSt15iterator_traitsISZ_E10value_typeET2_T3_PNS10_IS15_E10value_typeET4_jRbjT5_S1B_jjP12ihipStream_tbEUljE_EEESW_SX_SY_S15_S19_S1B_T6_T7_T9_mT8_S1D_bDpT10_ENKUlT_T0_E_clISt17integral_constantIbLb1EES1Q_EEDaS1L_S1M_EUlS1L_E_NS1_11comp_targetILNS1_3genE4ELNS1_11target_archE910ELNS1_3gpuE8ELNS1_3repE0EEENS1_30default_config_static_selectorELNS0_4arch9wavefront6targetE0EEEvSZ_,"axG",@progbits,_ZN7rocprim17ROCPRIM_400000_NS6detail17trampoline_kernelINS0_13select_configILj256ELj13ELNS0_17block_load_methodE3ELS4_3ELS4_3ELNS0_20block_scan_algorithmE0ELj4294967295EEENS1_25partition_config_selectorILNS1_17partition_subalgoE3EjNS0_10empty_typeEbEEZZNS1_14partition_implILS8_3ELb0ES6_jNS0_17counting_iteratorIjlEEPS9_SE_NS0_5tupleIJPjSE_EEENSF_IJSE_SE_EEES9_SG_JZNS1_25segmented_radix_sort_implINS0_14default_configELb0EPK12hip_bfloat16PSL_PKlPlN2at6native12_GLOBAL__N_18offset_tEEE10hipError_tPvRmT1_PNSt15iterator_traitsISZ_E10value_typeET2_T3_PNS10_IS15_E10value_typeET4_jRbjT5_S1B_jjP12ihipStream_tbEUljE_EEESW_SX_SY_S15_S19_S1B_T6_T7_T9_mT8_S1D_bDpT10_ENKUlT_T0_E_clISt17integral_constantIbLb1EES1Q_EEDaS1L_S1M_EUlS1L_E_NS1_11comp_targetILNS1_3genE4ELNS1_11target_archE910ELNS1_3gpuE8ELNS1_3repE0EEENS1_30default_config_static_selectorELNS0_4arch9wavefront6targetE0EEEvSZ_,comdat
	.globl	_ZN7rocprim17ROCPRIM_400000_NS6detail17trampoline_kernelINS0_13select_configILj256ELj13ELNS0_17block_load_methodE3ELS4_3ELS4_3ELNS0_20block_scan_algorithmE0ELj4294967295EEENS1_25partition_config_selectorILNS1_17partition_subalgoE3EjNS0_10empty_typeEbEEZZNS1_14partition_implILS8_3ELb0ES6_jNS0_17counting_iteratorIjlEEPS9_SE_NS0_5tupleIJPjSE_EEENSF_IJSE_SE_EEES9_SG_JZNS1_25segmented_radix_sort_implINS0_14default_configELb0EPK12hip_bfloat16PSL_PKlPlN2at6native12_GLOBAL__N_18offset_tEEE10hipError_tPvRmT1_PNSt15iterator_traitsISZ_E10value_typeET2_T3_PNS10_IS15_E10value_typeET4_jRbjT5_S1B_jjP12ihipStream_tbEUljE_EEESW_SX_SY_S15_S19_S1B_T6_T7_T9_mT8_S1D_bDpT10_ENKUlT_T0_E_clISt17integral_constantIbLb1EES1Q_EEDaS1L_S1M_EUlS1L_E_NS1_11comp_targetILNS1_3genE4ELNS1_11target_archE910ELNS1_3gpuE8ELNS1_3repE0EEENS1_30default_config_static_selectorELNS0_4arch9wavefront6targetE0EEEvSZ_ ; -- Begin function _ZN7rocprim17ROCPRIM_400000_NS6detail17trampoline_kernelINS0_13select_configILj256ELj13ELNS0_17block_load_methodE3ELS4_3ELS4_3ELNS0_20block_scan_algorithmE0ELj4294967295EEENS1_25partition_config_selectorILNS1_17partition_subalgoE3EjNS0_10empty_typeEbEEZZNS1_14partition_implILS8_3ELb0ES6_jNS0_17counting_iteratorIjlEEPS9_SE_NS0_5tupleIJPjSE_EEENSF_IJSE_SE_EEES9_SG_JZNS1_25segmented_radix_sort_implINS0_14default_configELb0EPK12hip_bfloat16PSL_PKlPlN2at6native12_GLOBAL__N_18offset_tEEE10hipError_tPvRmT1_PNSt15iterator_traitsISZ_E10value_typeET2_T3_PNS10_IS15_E10value_typeET4_jRbjT5_S1B_jjP12ihipStream_tbEUljE_EEESW_SX_SY_S15_S19_S1B_T6_T7_T9_mT8_S1D_bDpT10_ENKUlT_T0_E_clISt17integral_constantIbLb1EES1Q_EEDaS1L_S1M_EUlS1L_E_NS1_11comp_targetILNS1_3genE4ELNS1_11target_archE910ELNS1_3gpuE8ELNS1_3repE0EEENS1_30default_config_static_selectorELNS0_4arch9wavefront6targetE0EEEvSZ_
	.p2align	8
	.type	_ZN7rocprim17ROCPRIM_400000_NS6detail17trampoline_kernelINS0_13select_configILj256ELj13ELNS0_17block_load_methodE3ELS4_3ELS4_3ELNS0_20block_scan_algorithmE0ELj4294967295EEENS1_25partition_config_selectorILNS1_17partition_subalgoE3EjNS0_10empty_typeEbEEZZNS1_14partition_implILS8_3ELb0ES6_jNS0_17counting_iteratorIjlEEPS9_SE_NS0_5tupleIJPjSE_EEENSF_IJSE_SE_EEES9_SG_JZNS1_25segmented_radix_sort_implINS0_14default_configELb0EPK12hip_bfloat16PSL_PKlPlN2at6native12_GLOBAL__N_18offset_tEEE10hipError_tPvRmT1_PNSt15iterator_traitsISZ_E10value_typeET2_T3_PNS10_IS15_E10value_typeET4_jRbjT5_S1B_jjP12ihipStream_tbEUljE_EEESW_SX_SY_S15_S19_S1B_T6_T7_T9_mT8_S1D_bDpT10_ENKUlT_T0_E_clISt17integral_constantIbLb1EES1Q_EEDaS1L_S1M_EUlS1L_E_NS1_11comp_targetILNS1_3genE4ELNS1_11target_archE910ELNS1_3gpuE8ELNS1_3repE0EEENS1_30default_config_static_selectorELNS0_4arch9wavefront6targetE0EEEvSZ_,@function
_ZN7rocprim17ROCPRIM_400000_NS6detail17trampoline_kernelINS0_13select_configILj256ELj13ELNS0_17block_load_methodE3ELS4_3ELS4_3ELNS0_20block_scan_algorithmE0ELj4294967295EEENS1_25partition_config_selectorILNS1_17partition_subalgoE3EjNS0_10empty_typeEbEEZZNS1_14partition_implILS8_3ELb0ES6_jNS0_17counting_iteratorIjlEEPS9_SE_NS0_5tupleIJPjSE_EEENSF_IJSE_SE_EEES9_SG_JZNS1_25segmented_radix_sort_implINS0_14default_configELb0EPK12hip_bfloat16PSL_PKlPlN2at6native12_GLOBAL__N_18offset_tEEE10hipError_tPvRmT1_PNSt15iterator_traitsISZ_E10value_typeET2_T3_PNS10_IS15_E10value_typeET4_jRbjT5_S1B_jjP12ihipStream_tbEUljE_EEESW_SX_SY_S15_S19_S1B_T6_T7_T9_mT8_S1D_bDpT10_ENKUlT_T0_E_clISt17integral_constantIbLb1EES1Q_EEDaS1L_S1M_EUlS1L_E_NS1_11comp_targetILNS1_3genE4ELNS1_11target_archE910ELNS1_3gpuE8ELNS1_3repE0EEENS1_30default_config_static_selectorELNS0_4arch9wavefront6targetE0EEEvSZ_: ; @_ZN7rocprim17ROCPRIM_400000_NS6detail17trampoline_kernelINS0_13select_configILj256ELj13ELNS0_17block_load_methodE3ELS4_3ELS4_3ELNS0_20block_scan_algorithmE0ELj4294967295EEENS1_25partition_config_selectorILNS1_17partition_subalgoE3EjNS0_10empty_typeEbEEZZNS1_14partition_implILS8_3ELb0ES6_jNS0_17counting_iteratorIjlEEPS9_SE_NS0_5tupleIJPjSE_EEENSF_IJSE_SE_EEES9_SG_JZNS1_25segmented_radix_sort_implINS0_14default_configELb0EPK12hip_bfloat16PSL_PKlPlN2at6native12_GLOBAL__N_18offset_tEEE10hipError_tPvRmT1_PNSt15iterator_traitsISZ_E10value_typeET2_T3_PNS10_IS15_E10value_typeET4_jRbjT5_S1B_jjP12ihipStream_tbEUljE_EEESW_SX_SY_S15_S19_S1B_T6_T7_T9_mT8_S1D_bDpT10_ENKUlT_T0_E_clISt17integral_constantIbLb1EES1Q_EEDaS1L_S1M_EUlS1L_E_NS1_11comp_targetILNS1_3genE4ELNS1_11target_archE910ELNS1_3gpuE8ELNS1_3repE0EEENS1_30default_config_static_selectorELNS0_4arch9wavefront6targetE0EEEvSZ_
; %bb.0:
	.section	.rodata,"a",@progbits
	.p2align	6, 0x0
	.amdhsa_kernel _ZN7rocprim17ROCPRIM_400000_NS6detail17trampoline_kernelINS0_13select_configILj256ELj13ELNS0_17block_load_methodE3ELS4_3ELS4_3ELNS0_20block_scan_algorithmE0ELj4294967295EEENS1_25partition_config_selectorILNS1_17partition_subalgoE3EjNS0_10empty_typeEbEEZZNS1_14partition_implILS8_3ELb0ES6_jNS0_17counting_iteratorIjlEEPS9_SE_NS0_5tupleIJPjSE_EEENSF_IJSE_SE_EEES9_SG_JZNS1_25segmented_radix_sort_implINS0_14default_configELb0EPK12hip_bfloat16PSL_PKlPlN2at6native12_GLOBAL__N_18offset_tEEE10hipError_tPvRmT1_PNSt15iterator_traitsISZ_E10value_typeET2_T3_PNS10_IS15_E10value_typeET4_jRbjT5_S1B_jjP12ihipStream_tbEUljE_EEESW_SX_SY_S15_S19_S1B_T6_T7_T9_mT8_S1D_bDpT10_ENKUlT_T0_E_clISt17integral_constantIbLb1EES1Q_EEDaS1L_S1M_EUlS1L_E_NS1_11comp_targetILNS1_3genE4ELNS1_11target_archE910ELNS1_3gpuE8ELNS1_3repE0EEENS1_30default_config_static_selectorELNS0_4arch9wavefront6targetE0EEEvSZ_
		.amdhsa_group_segment_fixed_size 0
		.amdhsa_private_segment_fixed_size 0
		.amdhsa_kernarg_size 152
		.amdhsa_user_sgpr_count 15
		.amdhsa_user_sgpr_dispatch_ptr 0
		.amdhsa_user_sgpr_queue_ptr 0
		.amdhsa_user_sgpr_kernarg_segment_ptr 1
		.amdhsa_user_sgpr_dispatch_id 0
		.amdhsa_user_sgpr_private_segment_size 0
		.amdhsa_wavefront_size32 1
		.amdhsa_uses_dynamic_stack 0
		.amdhsa_enable_private_segment 0
		.amdhsa_system_sgpr_workgroup_id_x 1
		.amdhsa_system_sgpr_workgroup_id_y 0
		.amdhsa_system_sgpr_workgroup_id_z 0
		.amdhsa_system_sgpr_workgroup_info 0
		.amdhsa_system_vgpr_workitem_id 0
		.amdhsa_next_free_vgpr 1
		.amdhsa_next_free_sgpr 1
		.amdhsa_reserve_vcc 0
		.amdhsa_float_round_mode_32 0
		.amdhsa_float_round_mode_16_64 0
		.amdhsa_float_denorm_mode_32 3
		.amdhsa_float_denorm_mode_16_64 3
		.amdhsa_dx10_clamp 1
		.amdhsa_ieee_mode 1
		.amdhsa_fp16_overflow 0
		.amdhsa_workgroup_processor_mode 1
		.amdhsa_memory_ordered 1
		.amdhsa_forward_progress 0
		.amdhsa_shared_vgpr_count 0
		.amdhsa_exception_fp_ieee_invalid_op 0
		.amdhsa_exception_fp_denorm_src 0
		.amdhsa_exception_fp_ieee_div_zero 0
		.amdhsa_exception_fp_ieee_overflow 0
		.amdhsa_exception_fp_ieee_underflow 0
		.amdhsa_exception_fp_ieee_inexact 0
		.amdhsa_exception_int_div_zero 0
	.end_amdhsa_kernel
	.section	.text._ZN7rocprim17ROCPRIM_400000_NS6detail17trampoline_kernelINS0_13select_configILj256ELj13ELNS0_17block_load_methodE3ELS4_3ELS4_3ELNS0_20block_scan_algorithmE0ELj4294967295EEENS1_25partition_config_selectorILNS1_17partition_subalgoE3EjNS0_10empty_typeEbEEZZNS1_14partition_implILS8_3ELb0ES6_jNS0_17counting_iteratorIjlEEPS9_SE_NS0_5tupleIJPjSE_EEENSF_IJSE_SE_EEES9_SG_JZNS1_25segmented_radix_sort_implINS0_14default_configELb0EPK12hip_bfloat16PSL_PKlPlN2at6native12_GLOBAL__N_18offset_tEEE10hipError_tPvRmT1_PNSt15iterator_traitsISZ_E10value_typeET2_T3_PNS10_IS15_E10value_typeET4_jRbjT5_S1B_jjP12ihipStream_tbEUljE_EEESW_SX_SY_S15_S19_S1B_T6_T7_T9_mT8_S1D_bDpT10_ENKUlT_T0_E_clISt17integral_constantIbLb1EES1Q_EEDaS1L_S1M_EUlS1L_E_NS1_11comp_targetILNS1_3genE4ELNS1_11target_archE910ELNS1_3gpuE8ELNS1_3repE0EEENS1_30default_config_static_selectorELNS0_4arch9wavefront6targetE0EEEvSZ_,"axG",@progbits,_ZN7rocprim17ROCPRIM_400000_NS6detail17trampoline_kernelINS0_13select_configILj256ELj13ELNS0_17block_load_methodE3ELS4_3ELS4_3ELNS0_20block_scan_algorithmE0ELj4294967295EEENS1_25partition_config_selectorILNS1_17partition_subalgoE3EjNS0_10empty_typeEbEEZZNS1_14partition_implILS8_3ELb0ES6_jNS0_17counting_iteratorIjlEEPS9_SE_NS0_5tupleIJPjSE_EEENSF_IJSE_SE_EEES9_SG_JZNS1_25segmented_radix_sort_implINS0_14default_configELb0EPK12hip_bfloat16PSL_PKlPlN2at6native12_GLOBAL__N_18offset_tEEE10hipError_tPvRmT1_PNSt15iterator_traitsISZ_E10value_typeET2_T3_PNS10_IS15_E10value_typeET4_jRbjT5_S1B_jjP12ihipStream_tbEUljE_EEESW_SX_SY_S15_S19_S1B_T6_T7_T9_mT8_S1D_bDpT10_ENKUlT_T0_E_clISt17integral_constantIbLb1EES1Q_EEDaS1L_S1M_EUlS1L_E_NS1_11comp_targetILNS1_3genE4ELNS1_11target_archE910ELNS1_3gpuE8ELNS1_3repE0EEENS1_30default_config_static_selectorELNS0_4arch9wavefront6targetE0EEEvSZ_,comdat
.Lfunc_end2027:
	.size	_ZN7rocprim17ROCPRIM_400000_NS6detail17trampoline_kernelINS0_13select_configILj256ELj13ELNS0_17block_load_methodE3ELS4_3ELS4_3ELNS0_20block_scan_algorithmE0ELj4294967295EEENS1_25partition_config_selectorILNS1_17partition_subalgoE3EjNS0_10empty_typeEbEEZZNS1_14partition_implILS8_3ELb0ES6_jNS0_17counting_iteratorIjlEEPS9_SE_NS0_5tupleIJPjSE_EEENSF_IJSE_SE_EEES9_SG_JZNS1_25segmented_radix_sort_implINS0_14default_configELb0EPK12hip_bfloat16PSL_PKlPlN2at6native12_GLOBAL__N_18offset_tEEE10hipError_tPvRmT1_PNSt15iterator_traitsISZ_E10value_typeET2_T3_PNS10_IS15_E10value_typeET4_jRbjT5_S1B_jjP12ihipStream_tbEUljE_EEESW_SX_SY_S15_S19_S1B_T6_T7_T9_mT8_S1D_bDpT10_ENKUlT_T0_E_clISt17integral_constantIbLb1EES1Q_EEDaS1L_S1M_EUlS1L_E_NS1_11comp_targetILNS1_3genE4ELNS1_11target_archE910ELNS1_3gpuE8ELNS1_3repE0EEENS1_30default_config_static_selectorELNS0_4arch9wavefront6targetE0EEEvSZ_, .Lfunc_end2027-_ZN7rocprim17ROCPRIM_400000_NS6detail17trampoline_kernelINS0_13select_configILj256ELj13ELNS0_17block_load_methodE3ELS4_3ELS4_3ELNS0_20block_scan_algorithmE0ELj4294967295EEENS1_25partition_config_selectorILNS1_17partition_subalgoE3EjNS0_10empty_typeEbEEZZNS1_14partition_implILS8_3ELb0ES6_jNS0_17counting_iteratorIjlEEPS9_SE_NS0_5tupleIJPjSE_EEENSF_IJSE_SE_EEES9_SG_JZNS1_25segmented_radix_sort_implINS0_14default_configELb0EPK12hip_bfloat16PSL_PKlPlN2at6native12_GLOBAL__N_18offset_tEEE10hipError_tPvRmT1_PNSt15iterator_traitsISZ_E10value_typeET2_T3_PNS10_IS15_E10value_typeET4_jRbjT5_S1B_jjP12ihipStream_tbEUljE_EEESW_SX_SY_S15_S19_S1B_T6_T7_T9_mT8_S1D_bDpT10_ENKUlT_T0_E_clISt17integral_constantIbLb1EES1Q_EEDaS1L_S1M_EUlS1L_E_NS1_11comp_targetILNS1_3genE4ELNS1_11target_archE910ELNS1_3gpuE8ELNS1_3repE0EEENS1_30default_config_static_selectorELNS0_4arch9wavefront6targetE0EEEvSZ_
                                        ; -- End function
	.section	.AMDGPU.csdata,"",@progbits
; Kernel info:
; codeLenInByte = 0
; NumSgprs: 0
; NumVgprs: 0
; ScratchSize: 0
; MemoryBound: 0
; FloatMode: 240
; IeeeMode: 1
; LDSByteSize: 0 bytes/workgroup (compile time only)
; SGPRBlocks: 0
; VGPRBlocks: 0
; NumSGPRsForWavesPerEU: 1
; NumVGPRsForWavesPerEU: 1
; Occupancy: 16
; WaveLimiterHint : 0
; COMPUTE_PGM_RSRC2:SCRATCH_EN: 0
; COMPUTE_PGM_RSRC2:USER_SGPR: 15
; COMPUTE_PGM_RSRC2:TRAP_HANDLER: 0
; COMPUTE_PGM_RSRC2:TGID_X_EN: 1
; COMPUTE_PGM_RSRC2:TGID_Y_EN: 0
; COMPUTE_PGM_RSRC2:TGID_Z_EN: 0
; COMPUTE_PGM_RSRC2:TIDIG_COMP_CNT: 0
	.section	.text._ZN7rocprim17ROCPRIM_400000_NS6detail17trampoline_kernelINS0_13select_configILj256ELj13ELNS0_17block_load_methodE3ELS4_3ELS4_3ELNS0_20block_scan_algorithmE0ELj4294967295EEENS1_25partition_config_selectorILNS1_17partition_subalgoE3EjNS0_10empty_typeEbEEZZNS1_14partition_implILS8_3ELb0ES6_jNS0_17counting_iteratorIjlEEPS9_SE_NS0_5tupleIJPjSE_EEENSF_IJSE_SE_EEES9_SG_JZNS1_25segmented_radix_sort_implINS0_14default_configELb0EPK12hip_bfloat16PSL_PKlPlN2at6native12_GLOBAL__N_18offset_tEEE10hipError_tPvRmT1_PNSt15iterator_traitsISZ_E10value_typeET2_T3_PNS10_IS15_E10value_typeET4_jRbjT5_S1B_jjP12ihipStream_tbEUljE_EEESW_SX_SY_S15_S19_S1B_T6_T7_T9_mT8_S1D_bDpT10_ENKUlT_T0_E_clISt17integral_constantIbLb1EES1Q_EEDaS1L_S1M_EUlS1L_E_NS1_11comp_targetILNS1_3genE3ELNS1_11target_archE908ELNS1_3gpuE7ELNS1_3repE0EEENS1_30default_config_static_selectorELNS0_4arch9wavefront6targetE0EEEvSZ_,"axG",@progbits,_ZN7rocprim17ROCPRIM_400000_NS6detail17trampoline_kernelINS0_13select_configILj256ELj13ELNS0_17block_load_methodE3ELS4_3ELS4_3ELNS0_20block_scan_algorithmE0ELj4294967295EEENS1_25partition_config_selectorILNS1_17partition_subalgoE3EjNS0_10empty_typeEbEEZZNS1_14partition_implILS8_3ELb0ES6_jNS0_17counting_iteratorIjlEEPS9_SE_NS0_5tupleIJPjSE_EEENSF_IJSE_SE_EEES9_SG_JZNS1_25segmented_radix_sort_implINS0_14default_configELb0EPK12hip_bfloat16PSL_PKlPlN2at6native12_GLOBAL__N_18offset_tEEE10hipError_tPvRmT1_PNSt15iterator_traitsISZ_E10value_typeET2_T3_PNS10_IS15_E10value_typeET4_jRbjT5_S1B_jjP12ihipStream_tbEUljE_EEESW_SX_SY_S15_S19_S1B_T6_T7_T9_mT8_S1D_bDpT10_ENKUlT_T0_E_clISt17integral_constantIbLb1EES1Q_EEDaS1L_S1M_EUlS1L_E_NS1_11comp_targetILNS1_3genE3ELNS1_11target_archE908ELNS1_3gpuE7ELNS1_3repE0EEENS1_30default_config_static_selectorELNS0_4arch9wavefront6targetE0EEEvSZ_,comdat
	.globl	_ZN7rocprim17ROCPRIM_400000_NS6detail17trampoline_kernelINS0_13select_configILj256ELj13ELNS0_17block_load_methodE3ELS4_3ELS4_3ELNS0_20block_scan_algorithmE0ELj4294967295EEENS1_25partition_config_selectorILNS1_17partition_subalgoE3EjNS0_10empty_typeEbEEZZNS1_14partition_implILS8_3ELb0ES6_jNS0_17counting_iteratorIjlEEPS9_SE_NS0_5tupleIJPjSE_EEENSF_IJSE_SE_EEES9_SG_JZNS1_25segmented_radix_sort_implINS0_14default_configELb0EPK12hip_bfloat16PSL_PKlPlN2at6native12_GLOBAL__N_18offset_tEEE10hipError_tPvRmT1_PNSt15iterator_traitsISZ_E10value_typeET2_T3_PNS10_IS15_E10value_typeET4_jRbjT5_S1B_jjP12ihipStream_tbEUljE_EEESW_SX_SY_S15_S19_S1B_T6_T7_T9_mT8_S1D_bDpT10_ENKUlT_T0_E_clISt17integral_constantIbLb1EES1Q_EEDaS1L_S1M_EUlS1L_E_NS1_11comp_targetILNS1_3genE3ELNS1_11target_archE908ELNS1_3gpuE7ELNS1_3repE0EEENS1_30default_config_static_selectorELNS0_4arch9wavefront6targetE0EEEvSZ_ ; -- Begin function _ZN7rocprim17ROCPRIM_400000_NS6detail17trampoline_kernelINS0_13select_configILj256ELj13ELNS0_17block_load_methodE3ELS4_3ELS4_3ELNS0_20block_scan_algorithmE0ELj4294967295EEENS1_25partition_config_selectorILNS1_17partition_subalgoE3EjNS0_10empty_typeEbEEZZNS1_14partition_implILS8_3ELb0ES6_jNS0_17counting_iteratorIjlEEPS9_SE_NS0_5tupleIJPjSE_EEENSF_IJSE_SE_EEES9_SG_JZNS1_25segmented_radix_sort_implINS0_14default_configELb0EPK12hip_bfloat16PSL_PKlPlN2at6native12_GLOBAL__N_18offset_tEEE10hipError_tPvRmT1_PNSt15iterator_traitsISZ_E10value_typeET2_T3_PNS10_IS15_E10value_typeET4_jRbjT5_S1B_jjP12ihipStream_tbEUljE_EEESW_SX_SY_S15_S19_S1B_T6_T7_T9_mT8_S1D_bDpT10_ENKUlT_T0_E_clISt17integral_constantIbLb1EES1Q_EEDaS1L_S1M_EUlS1L_E_NS1_11comp_targetILNS1_3genE3ELNS1_11target_archE908ELNS1_3gpuE7ELNS1_3repE0EEENS1_30default_config_static_selectorELNS0_4arch9wavefront6targetE0EEEvSZ_
	.p2align	8
	.type	_ZN7rocprim17ROCPRIM_400000_NS6detail17trampoline_kernelINS0_13select_configILj256ELj13ELNS0_17block_load_methodE3ELS4_3ELS4_3ELNS0_20block_scan_algorithmE0ELj4294967295EEENS1_25partition_config_selectorILNS1_17partition_subalgoE3EjNS0_10empty_typeEbEEZZNS1_14partition_implILS8_3ELb0ES6_jNS0_17counting_iteratorIjlEEPS9_SE_NS0_5tupleIJPjSE_EEENSF_IJSE_SE_EEES9_SG_JZNS1_25segmented_radix_sort_implINS0_14default_configELb0EPK12hip_bfloat16PSL_PKlPlN2at6native12_GLOBAL__N_18offset_tEEE10hipError_tPvRmT1_PNSt15iterator_traitsISZ_E10value_typeET2_T3_PNS10_IS15_E10value_typeET4_jRbjT5_S1B_jjP12ihipStream_tbEUljE_EEESW_SX_SY_S15_S19_S1B_T6_T7_T9_mT8_S1D_bDpT10_ENKUlT_T0_E_clISt17integral_constantIbLb1EES1Q_EEDaS1L_S1M_EUlS1L_E_NS1_11comp_targetILNS1_3genE3ELNS1_11target_archE908ELNS1_3gpuE7ELNS1_3repE0EEENS1_30default_config_static_selectorELNS0_4arch9wavefront6targetE0EEEvSZ_,@function
_ZN7rocprim17ROCPRIM_400000_NS6detail17trampoline_kernelINS0_13select_configILj256ELj13ELNS0_17block_load_methodE3ELS4_3ELS4_3ELNS0_20block_scan_algorithmE0ELj4294967295EEENS1_25partition_config_selectorILNS1_17partition_subalgoE3EjNS0_10empty_typeEbEEZZNS1_14partition_implILS8_3ELb0ES6_jNS0_17counting_iteratorIjlEEPS9_SE_NS0_5tupleIJPjSE_EEENSF_IJSE_SE_EEES9_SG_JZNS1_25segmented_radix_sort_implINS0_14default_configELb0EPK12hip_bfloat16PSL_PKlPlN2at6native12_GLOBAL__N_18offset_tEEE10hipError_tPvRmT1_PNSt15iterator_traitsISZ_E10value_typeET2_T3_PNS10_IS15_E10value_typeET4_jRbjT5_S1B_jjP12ihipStream_tbEUljE_EEESW_SX_SY_S15_S19_S1B_T6_T7_T9_mT8_S1D_bDpT10_ENKUlT_T0_E_clISt17integral_constantIbLb1EES1Q_EEDaS1L_S1M_EUlS1L_E_NS1_11comp_targetILNS1_3genE3ELNS1_11target_archE908ELNS1_3gpuE7ELNS1_3repE0EEENS1_30default_config_static_selectorELNS0_4arch9wavefront6targetE0EEEvSZ_: ; @_ZN7rocprim17ROCPRIM_400000_NS6detail17trampoline_kernelINS0_13select_configILj256ELj13ELNS0_17block_load_methodE3ELS4_3ELS4_3ELNS0_20block_scan_algorithmE0ELj4294967295EEENS1_25partition_config_selectorILNS1_17partition_subalgoE3EjNS0_10empty_typeEbEEZZNS1_14partition_implILS8_3ELb0ES6_jNS0_17counting_iteratorIjlEEPS9_SE_NS0_5tupleIJPjSE_EEENSF_IJSE_SE_EEES9_SG_JZNS1_25segmented_radix_sort_implINS0_14default_configELb0EPK12hip_bfloat16PSL_PKlPlN2at6native12_GLOBAL__N_18offset_tEEE10hipError_tPvRmT1_PNSt15iterator_traitsISZ_E10value_typeET2_T3_PNS10_IS15_E10value_typeET4_jRbjT5_S1B_jjP12ihipStream_tbEUljE_EEESW_SX_SY_S15_S19_S1B_T6_T7_T9_mT8_S1D_bDpT10_ENKUlT_T0_E_clISt17integral_constantIbLb1EES1Q_EEDaS1L_S1M_EUlS1L_E_NS1_11comp_targetILNS1_3genE3ELNS1_11target_archE908ELNS1_3gpuE7ELNS1_3repE0EEENS1_30default_config_static_selectorELNS0_4arch9wavefront6targetE0EEEvSZ_
; %bb.0:
	.section	.rodata,"a",@progbits
	.p2align	6, 0x0
	.amdhsa_kernel _ZN7rocprim17ROCPRIM_400000_NS6detail17trampoline_kernelINS0_13select_configILj256ELj13ELNS0_17block_load_methodE3ELS4_3ELS4_3ELNS0_20block_scan_algorithmE0ELj4294967295EEENS1_25partition_config_selectorILNS1_17partition_subalgoE3EjNS0_10empty_typeEbEEZZNS1_14partition_implILS8_3ELb0ES6_jNS0_17counting_iteratorIjlEEPS9_SE_NS0_5tupleIJPjSE_EEENSF_IJSE_SE_EEES9_SG_JZNS1_25segmented_radix_sort_implINS0_14default_configELb0EPK12hip_bfloat16PSL_PKlPlN2at6native12_GLOBAL__N_18offset_tEEE10hipError_tPvRmT1_PNSt15iterator_traitsISZ_E10value_typeET2_T3_PNS10_IS15_E10value_typeET4_jRbjT5_S1B_jjP12ihipStream_tbEUljE_EEESW_SX_SY_S15_S19_S1B_T6_T7_T9_mT8_S1D_bDpT10_ENKUlT_T0_E_clISt17integral_constantIbLb1EES1Q_EEDaS1L_S1M_EUlS1L_E_NS1_11comp_targetILNS1_3genE3ELNS1_11target_archE908ELNS1_3gpuE7ELNS1_3repE0EEENS1_30default_config_static_selectorELNS0_4arch9wavefront6targetE0EEEvSZ_
		.amdhsa_group_segment_fixed_size 0
		.amdhsa_private_segment_fixed_size 0
		.amdhsa_kernarg_size 152
		.amdhsa_user_sgpr_count 15
		.amdhsa_user_sgpr_dispatch_ptr 0
		.amdhsa_user_sgpr_queue_ptr 0
		.amdhsa_user_sgpr_kernarg_segment_ptr 1
		.amdhsa_user_sgpr_dispatch_id 0
		.amdhsa_user_sgpr_private_segment_size 0
		.amdhsa_wavefront_size32 1
		.amdhsa_uses_dynamic_stack 0
		.amdhsa_enable_private_segment 0
		.amdhsa_system_sgpr_workgroup_id_x 1
		.amdhsa_system_sgpr_workgroup_id_y 0
		.amdhsa_system_sgpr_workgroup_id_z 0
		.amdhsa_system_sgpr_workgroup_info 0
		.amdhsa_system_vgpr_workitem_id 0
		.amdhsa_next_free_vgpr 1
		.amdhsa_next_free_sgpr 1
		.amdhsa_reserve_vcc 0
		.amdhsa_float_round_mode_32 0
		.amdhsa_float_round_mode_16_64 0
		.amdhsa_float_denorm_mode_32 3
		.amdhsa_float_denorm_mode_16_64 3
		.amdhsa_dx10_clamp 1
		.amdhsa_ieee_mode 1
		.amdhsa_fp16_overflow 0
		.amdhsa_workgroup_processor_mode 1
		.amdhsa_memory_ordered 1
		.amdhsa_forward_progress 0
		.amdhsa_shared_vgpr_count 0
		.amdhsa_exception_fp_ieee_invalid_op 0
		.amdhsa_exception_fp_denorm_src 0
		.amdhsa_exception_fp_ieee_div_zero 0
		.amdhsa_exception_fp_ieee_overflow 0
		.amdhsa_exception_fp_ieee_underflow 0
		.amdhsa_exception_fp_ieee_inexact 0
		.amdhsa_exception_int_div_zero 0
	.end_amdhsa_kernel
	.section	.text._ZN7rocprim17ROCPRIM_400000_NS6detail17trampoline_kernelINS0_13select_configILj256ELj13ELNS0_17block_load_methodE3ELS4_3ELS4_3ELNS0_20block_scan_algorithmE0ELj4294967295EEENS1_25partition_config_selectorILNS1_17partition_subalgoE3EjNS0_10empty_typeEbEEZZNS1_14partition_implILS8_3ELb0ES6_jNS0_17counting_iteratorIjlEEPS9_SE_NS0_5tupleIJPjSE_EEENSF_IJSE_SE_EEES9_SG_JZNS1_25segmented_radix_sort_implINS0_14default_configELb0EPK12hip_bfloat16PSL_PKlPlN2at6native12_GLOBAL__N_18offset_tEEE10hipError_tPvRmT1_PNSt15iterator_traitsISZ_E10value_typeET2_T3_PNS10_IS15_E10value_typeET4_jRbjT5_S1B_jjP12ihipStream_tbEUljE_EEESW_SX_SY_S15_S19_S1B_T6_T7_T9_mT8_S1D_bDpT10_ENKUlT_T0_E_clISt17integral_constantIbLb1EES1Q_EEDaS1L_S1M_EUlS1L_E_NS1_11comp_targetILNS1_3genE3ELNS1_11target_archE908ELNS1_3gpuE7ELNS1_3repE0EEENS1_30default_config_static_selectorELNS0_4arch9wavefront6targetE0EEEvSZ_,"axG",@progbits,_ZN7rocprim17ROCPRIM_400000_NS6detail17trampoline_kernelINS0_13select_configILj256ELj13ELNS0_17block_load_methodE3ELS4_3ELS4_3ELNS0_20block_scan_algorithmE0ELj4294967295EEENS1_25partition_config_selectorILNS1_17partition_subalgoE3EjNS0_10empty_typeEbEEZZNS1_14partition_implILS8_3ELb0ES6_jNS0_17counting_iteratorIjlEEPS9_SE_NS0_5tupleIJPjSE_EEENSF_IJSE_SE_EEES9_SG_JZNS1_25segmented_radix_sort_implINS0_14default_configELb0EPK12hip_bfloat16PSL_PKlPlN2at6native12_GLOBAL__N_18offset_tEEE10hipError_tPvRmT1_PNSt15iterator_traitsISZ_E10value_typeET2_T3_PNS10_IS15_E10value_typeET4_jRbjT5_S1B_jjP12ihipStream_tbEUljE_EEESW_SX_SY_S15_S19_S1B_T6_T7_T9_mT8_S1D_bDpT10_ENKUlT_T0_E_clISt17integral_constantIbLb1EES1Q_EEDaS1L_S1M_EUlS1L_E_NS1_11comp_targetILNS1_3genE3ELNS1_11target_archE908ELNS1_3gpuE7ELNS1_3repE0EEENS1_30default_config_static_selectorELNS0_4arch9wavefront6targetE0EEEvSZ_,comdat
.Lfunc_end2028:
	.size	_ZN7rocprim17ROCPRIM_400000_NS6detail17trampoline_kernelINS0_13select_configILj256ELj13ELNS0_17block_load_methodE3ELS4_3ELS4_3ELNS0_20block_scan_algorithmE0ELj4294967295EEENS1_25partition_config_selectorILNS1_17partition_subalgoE3EjNS0_10empty_typeEbEEZZNS1_14partition_implILS8_3ELb0ES6_jNS0_17counting_iteratorIjlEEPS9_SE_NS0_5tupleIJPjSE_EEENSF_IJSE_SE_EEES9_SG_JZNS1_25segmented_radix_sort_implINS0_14default_configELb0EPK12hip_bfloat16PSL_PKlPlN2at6native12_GLOBAL__N_18offset_tEEE10hipError_tPvRmT1_PNSt15iterator_traitsISZ_E10value_typeET2_T3_PNS10_IS15_E10value_typeET4_jRbjT5_S1B_jjP12ihipStream_tbEUljE_EEESW_SX_SY_S15_S19_S1B_T6_T7_T9_mT8_S1D_bDpT10_ENKUlT_T0_E_clISt17integral_constantIbLb1EES1Q_EEDaS1L_S1M_EUlS1L_E_NS1_11comp_targetILNS1_3genE3ELNS1_11target_archE908ELNS1_3gpuE7ELNS1_3repE0EEENS1_30default_config_static_selectorELNS0_4arch9wavefront6targetE0EEEvSZ_, .Lfunc_end2028-_ZN7rocprim17ROCPRIM_400000_NS6detail17trampoline_kernelINS0_13select_configILj256ELj13ELNS0_17block_load_methodE3ELS4_3ELS4_3ELNS0_20block_scan_algorithmE0ELj4294967295EEENS1_25partition_config_selectorILNS1_17partition_subalgoE3EjNS0_10empty_typeEbEEZZNS1_14partition_implILS8_3ELb0ES6_jNS0_17counting_iteratorIjlEEPS9_SE_NS0_5tupleIJPjSE_EEENSF_IJSE_SE_EEES9_SG_JZNS1_25segmented_radix_sort_implINS0_14default_configELb0EPK12hip_bfloat16PSL_PKlPlN2at6native12_GLOBAL__N_18offset_tEEE10hipError_tPvRmT1_PNSt15iterator_traitsISZ_E10value_typeET2_T3_PNS10_IS15_E10value_typeET4_jRbjT5_S1B_jjP12ihipStream_tbEUljE_EEESW_SX_SY_S15_S19_S1B_T6_T7_T9_mT8_S1D_bDpT10_ENKUlT_T0_E_clISt17integral_constantIbLb1EES1Q_EEDaS1L_S1M_EUlS1L_E_NS1_11comp_targetILNS1_3genE3ELNS1_11target_archE908ELNS1_3gpuE7ELNS1_3repE0EEENS1_30default_config_static_selectorELNS0_4arch9wavefront6targetE0EEEvSZ_
                                        ; -- End function
	.section	.AMDGPU.csdata,"",@progbits
; Kernel info:
; codeLenInByte = 0
; NumSgprs: 0
; NumVgprs: 0
; ScratchSize: 0
; MemoryBound: 0
; FloatMode: 240
; IeeeMode: 1
; LDSByteSize: 0 bytes/workgroup (compile time only)
; SGPRBlocks: 0
; VGPRBlocks: 0
; NumSGPRsForWavesPerEU: 1
; NumVGPRsForWavesPerEU: 1
; Occupancy: 16
; WaveLimiterHint : 0
; COMPUTE_PGM_RSRC2:SCRATCH_EN: 0
; COMPUTE_PGM_RSRC2:USER_SGPR: 15
; COMPUTE_PGM_RSRC2:TRAP_HANDLER: 0
; COMPUTE_PGM_RSRC2:TGID_X_EN: 1
; COMPUTE_PGM_RSRC2:TGID_Y_EN: 0
; COMPUTE_PGM_RSRC2:TGID_Z_EN: 0
; COMPUTE_PGM_RSRC2:TIDIG_COMP_CNT: 0
	.section	.text._ZN7rocprim17ROCPRIM_400000_NS6detail17trampoline_kernelINS0_13select_configILj256ELj13ELNS0_17block_load_methodE3ELS4_3ELS4_3ELNS0_20block_scan_algorithmE0ELj4294967295EEENS1_25partition_config_selectorILNS1_17partition_subalgoE3EjNS0_10empty_typeEbEEZZNS1_14partition_implILS8_3ELb0ES6_jNS0_17counting_iteratorIjlEEPS9_SE_NS0_5tupleIJPjSE_EEENSF_IJSE_SE_EEES9_SG_JZNS1_25segmented_radix_sort_implINS0_14default_configELb0EPK12hip_bfloat16PSL_PKlPlN2at6native12_GLOBAL__N_18offset_tEEE10hipError_tPvRmT1_PNSt15iterator_traitsISZ_E10value_typeET2_T3_PNS10_IS15_E10value_typeET4_jRbjT5_S1B_jjP12ihipStream_tbEUljE_EEESW_SX_SY_S15_S19_S1B_T6_T7_T9_mT8_S1D_bDpT10_ENKUlT_T0_E_clISt17integral_constantIbLb1EES1Q_EEDaS1L_S1M_EUlS1L_E_NS1_11comp_targetILNS1_3genE2ELNS1_11target_archE906ELNS1_3gpuE6ELNS1_3repE0EEENS1_30default_config_static_selectorELNS0_4arch9wavefront6targetE0EEEvSZ_,"axG",@progbits,_ZN7rocprim17ROCPRIM_400000_NS6detail17trampoline_kernelINS0_13select_configILj256ELj13ELNS0_17block_load_methodE3ELS4_3ELS4_3ELNS0_20block_scan_algorithmE0ELj4294967295EEENS1_25partition_config_selectorILNS1_17partition_subalgoE3EjNS0_10empty_typeEbEEZZNS1_14partition_implILS8_3ELb0ES6_jNS0_17counting_iteratorIjlEEPS9_SE_NS0_5tupleIJPjSE_EEENSF_IJSE_SE_EEES9_SG_JZNS1_25segmented_radix_sort_implINS0_14default_configELb0EPK12hip_bfloat16PSL_PKlPlN2at6native12_GLOBAL__N_18offset_tEEE10hipError_tPvRmT1_PNSt15iterator_traitsISZ_E10value_typeET2_T3_PNS10_IS15_E10value_typeET4_jRbjT5_S1B_jjP12ihipStream_tbEUljE_EEESW_SX_SY_S15_S19_S1B_T6_T7_T9_mT8_S1D_bDpT10_ENKUlT_T0_E_clISt17integral_constantIbLb1EES1Q_EEDaS1L_S1M_EUlS1L_E_NS1_11comp_targetILNS1_3genE2ELNS1_11target_archE906ELNS1_3gpuE6ELNS1_3repE0EEENS1_30default_config_static_selectorELNS0_4arch9wavefront6targetE0EEEvSZ_,comdat
	.globl	_ZN7rocprim17ROCPRIM_400000_NS6detail17trampoline_kernelINS0_13select_configILj256ELj13ELNS0_17block_load_methodE3ELS4_3ELS4_3ELNS0_20block_scan_algorithmE0ELj4294967295EEENS1_25partition_config_selectorILNS1_17partition_subalgoE3EjNS0_10empty_typeEbEEZZNS1_14partition_implILS8_3ELb0ES6_jNS0_17counting_iteratorIjlEEPS9_SE_NS0_5tupleIJPjSE_EEENSF_IJSE_SE_EEES9_SG_JZNS1_25segmented_radix_sort_implINS0_14default_configELb0EPK12hip_bfloat16PSL_PKlPlN2at6native12_GLOBAL__N_18offset_tEEE10hipError_tPvRmT1_PNSt15iterator_traitsISZ_E10value_typeET2_T3_PNS10_IS15_E10value_typeET4_jRbjT5_S1B_jjP12ihipStream_tbEUljE_EEESW_SX_SY_S15_S19_S1B_T6_T7_T9_mT8_S1D_bDpT10_ENKUlT_T0_E_clISt17integral_constantIbLb1EES1Q_EEDaS1L_S1M_EUlS1L_E_NS1_11comp_targetILNS1_3genE2ELNS1_11target_archE906ELNS1_3gpuE6ELNS1_3repE0EEENS1_30default_config_static_selectorELNS0_4arch9wavefront6targetE0EEEvSZ_ ; -- Begin function _ZN7rocprim17ROCPRIM_400000_NS6detail17trampoline_kernelINS0_13select_configILj256ELj13ELNS0_17block_load_methodE3ELS4_3ELS4_3ELNS0_20block_scan_algorithmE0ELj4294967295EEENS1_25partition_config_selectorILNS1_17partition_subalgoE3EjNS0_10empty_typeEbEEZZNS1_14partition_implILS8_3ELb0ES6_jNS0_17counting_iteratorIjlEEPS9_SE_NS0_5tupleIJPjSE_EEENSF_IJSE_SE_EEES9_SG_JZNS1_25segmented_radix_sort_implINS0_14default_configELb0EPK12hip_bfloat16PSL_PKlPlN2at6native12_GLOBAL__N_18offset_tEEE10hipError_tPvRmT1_PNSt15iterator_traitsISZ_E10value_typeET2_T3_PNS10_IS15_E10value_typeET4_jRbjT5_S1B_jjP12ihipStream_tbEUljE_EEESW_SX_SY_S15_S19_S1B_T6_T7_T9_mT8_S1D_bDpT10_ENKUlT_T0_E_clISt17integral_constantIbLb1EES1Q_EEDaS1L_S1M_EUlS1L_E_NS1_11comp_targetILNS1_3genE2ELNS1_11target_archE906ELNS1_3gpuE6ELNS1_3repE0EEENS1_30default_config_static_selectorELNS0_4arch9wavefront6targetE0EEEvSZ_
	.p2align	8
	.type	_ZN7rocprim17ROCPRIM_400000_NS6detail17trampoline_kernelINS0_13select_configILj256ELj13ELNS0_17block_load_methodE3ELS4_3ELS4_3ELNS0_20block_scan_algorithmE0ELj4294967295EEENS1_25partition_config_selectorILNS1_17partition_subalgoE3EjNS0_10empty_typeEbEEZZNS1_14partition_implILS8_3ELb0ES6_jNS0_17counting_iteratorIjlEEPS9_SE_NS0_5tupleIJPjSE_EEENSF_IJSE_SE_EEES9_SG_JZNS1_25segmented_radix_sort_implINS0_14default_configELb0EPK12hip_bfloat16PSL_PKlPlN2at6native12_GLOBAL__N_18offset_tEEE10hipError_tPvRmT1_PNSt15iterator_traitsISZ_E10value_typeET2_T3_PNS10_IS15_E10value_typeET4_jRbjT5_S1B_jjP12ihipStream_tbEUljE_EEESW_SX_SY_S15_S19_S1B_T6_T7_T9_mT8_S1D_bDpT10_ENKUlT_T0_E_clISt17integral_constantIbLb1EES1Q_EEDaS1L_S1M_EUlS1L_E_NS1_11comp_targetILNS1_3genE2ELNS1_11target_archE906ELNS1_3gpuE6ELNS1_3repE0EEENS1_30default_config_static_selectorELNS0_4arch9wavefront6targetE0EEEvSZ_,@function
_ZN7rocprim17ROCPRIM_400000_NS6detail17trampoline_kernelINS0_13select_configILj256ELj13ELNS0_17block_load_methodE3ELS4_3ELS4_3ELNS0_20block_scan_algorithmE0ELj4294967295EEENS1_25partition_config_selectorILNS1_17partition_subalgoE3EjNS0_10empty_typeEbEEZZNS1_14partition_implILS8_3ELb0ES6_jNS0_17counting_iteratorIjlEEPS9_SE_NS0_5tupleIJPjSE_EEENSF_IJSE_SE_EEES9_SG_JZNS1_25segmented_radix_sort_implINS0_14default_configELb0EPK12hip_bfloat16PSL_PKlPlN2at6native12_GLOBAL__N_18offset_tEEE10hipError_tPvRmT1_PNSt15iterator_traitsISZ_E10value_typeET2_T3_PNS10_IS15_E10value_typeET4_jRbjT5_S1B_jjP12ihipStream_tbEUljE_EEESW_SX_SY_S15_S19_S1B_T6_T7_T9_mT8_S1D_bDpT10_ENKUlT_T0_E_clISt17integral_constantIbLb1EES1Q_EEDaS1L_S1M_EUlS1L_E_NS1_11comp_targetILNS1_3genE2ELNS1_11target_archE906ELNS1_3gpuE6ELNS1_3repE0EEENS1_30default_config_static_selectorELNS0_4arch9wavefront6targetE0EEEvSZ_: ; @_ZN7rocprim17ROCPRIM_400000_NS6detail17trampoline_kernelINS0_13select_configILj256ELj13ELNS0_17block_load_methodE3ELS4_3ELS4_3ELNS0_20block_scan_algorithmE0ELj4294967295EEENS1_25partition_config_selectorILNS1_17partition_subalgoE3EjNS0_10empty_typeEbEEZZNS1_14partition_implILS8_3ELb0ES6_jNS0_17counting_iteratorIjlEEPS9_SE_NS0_5tupleIJPjSE_EEENSF_IJSE_SE_EEES9_SG_JZNS1_25segmented_radix_sort_implINS0_14default_configELb0EPK12hip_bfloat16PSL_PKlPlN2at6native12_GLOBAL__N_18offset_tEEE10hipError_tPvRmT1_PNSt15iterator_traitsISZ_E10value_typeET2_T3_PNS10_IS15_E10value_typeET4_jRbjT5_S1B_jjP12ihipStream_tbEUljE_EEESW_SX_SY_S15_S19_S1B_T6_T7_T9_mT8_S1D_bDpT10_ENKUlT_T0_E_clISt17integral_constantIbLb1EES1Q_EEDaS1L_S1M_EUlS1L_E_NS1_11comp_targetILNS1_3genE2ELNS1_11target_archE906ELNS1_3gpuE6ELNS1_3repE0EEENS1_30default_config_static_selectorELNS0_4arch9wavefront6targetE0EEEvSZ_
; %bb.0:
	.section	.rodata,"a",@progbits
	.p2align	6, 0x0
	.amdhsa_kernel _ZN7rocprim17ROCPRIM_400000_NS6detail17trampoline_kernelINS0_13select_configILj256ELj13ELNS0_17block_load_methodE3ELS4_3ELS4_3ELNS0_20block_scan_algorithmE0ELj4294967295EEENS1_25partition_config_selectorILNS1_17partition_subalgoE3EjNS0_10empty_typeEbEEZZNS1_14partition_implILS8_3ELb0ES6_jNS0_17counting_iteratorIjlEEPS9_SE_NS0_5tupleIJPjSE_EEENSF_IJSE_SE_EEES9_SG_JZNS1_25segmented_radix_sort_implINS0_14default_configELb0EPK12hip_bfloat16PSL_PKlPlN2at6native12_GLOBAL__N_18offset_tEEE10hipError_tPvRmT1_PNSt15iterator_traitsISZ_E10value_typeET2_T3_PNS10_IS15_E10value_typeET4_jRbjT5_S1B_jjP12ihipStream_tbEUljE_EEESW_SX_SY_S15_S19_S1B_T6_T7_T9_mT8_S1D_bDpT10_ENKUlT_T0_E_clISt17integral_constantIbLb1EES1Q_EEDaS1L_S1M_EUlS1L_E_NS1_11comp_targetILNS1_3genE2ELNS1_11target_archE906ELNS1_3gpuE6ELNS1_3repE0EEENS1_30default_config_static_selectorELNS0_4arch9wavefront6targetE0EEEvSZ_
		.amdhsa_group_segment_fixed_size 0
		.amdhsa_private_segment_fixed_size 0
		.amdhsa_kernarg_size 152
		.amdhsa_user_sgpr_count 15
		.amdhsa_user_sgpr_dispatch_ptr 0
		.amdhsa_user_sgpr_queue_ptr 0
		.amdhsa_user_sgpr_kernarg_segment_ptr 1
		.amdhsa_user_sgpr_dispatch_id 0
		.amdhsa_user_sgpr_private_segment_size 0
		.amdhsa_wavefront_size32 1
		.amdhsa_uses_dynamic_stack 0
		.amdhsa_enable_private_segment 0
		.amdhsa_system_sgpr_workgroup_id_x 1
		.amdhsa_system_sgpr_workgroup_id_y 0
		.amdhsa_system_sgpr_workgroup_id_z 0
		.amdhsa_system_sgpr_workgroup_info 0
		.amdhsa_system_vgpr_workitem_id 0
		.amdhsa_next_free_vgpr 1
		.amdhsa_next_free_sgpr 1
		.amdhsa_reserve_vcc 0
		.amdhsa_float_round_mode_32 0
		.amdhsa_float_round_mode_16_64 0
		.amdhsa_float_denorm_mode_32 3
		.amdhsa_float_denorm_mode_16_64 3
		.amdhsa_dx10_clamp 1
		.amdhsa_ieee_mode 1
		.amdhsa_fp16_overflow 0
		.amdhsa_workgroup_processor_mode 1
		.amdhsa_memory_ordered 1
		.amdhsa_forward_progress 0
		.amdhsa_shared_vgpr_count 0
		.amdhsa_exception_fp_ieee_invalid_op 0
		.amdhsa_exception_fp_denorm_src 0
		.amdhsa_exception_fp_ieee_div_zero 0
		.amdhsa_exception_fp_ieee_overflow 0
		.amdhsa_exception_fp_ieee_underflow 0
		.amdhsa_exception_fp_ieee_inexact 0
		.amdhsa_exception_int_div_zero 0
	.end_amdhsa_kernel
	.section	.text._ZN7rocprim17ROCPRIM_400000_NS6detail17trampoline_kernelINS0_13select_configILj256ELj13ELNS0_17block_load_methodE3ELS4_3ELS4_3ELNS0_20block_scan_algorithmE0ELj4294967295EEENS1_25partition_config_selectorILNS1_17partition_subalgoE3EjNS0_10empty_typeEbEEZZNS1_14partition_implILS8_3ELb0ES6_jNS0_17counting_iteratorIjlEEPS9_SE_NS0_5tupleIJPjSE_EEENSF_IJSE_SE_EEES9_SG_JZNS1_25segmented_radix_sort_implINS0_14default_configELb0EPK12hip_bfloat16PSL_PKlPlN2at6native12_GLOBAL__N_18offset_tEEE10hipError_tPvRmT1_PNSt15iterator_traitsISZ_E10value_typeET2_T3_PNS10_IS15_E10value_typeET4_jRbjT5_S1B_jjP12ihipStream_tbEUljE_EEESW_SX_SY_S15_S19_S1B_T6_T7_T9_mT8_S1D_bDpT10_ENKUlT_T0_E_clISt17integral_constantIbLb1EES1Q_EEDaS1L_S1M_EUlS1L_E_NS1_11comp_targetILNS1_3genE2ELNS1_11target_archE906ELNS1_3gpuE6ELNS1_3repE0EEENS1_30default_config_static_selectorELNS0_4arch9wavefront6targetE0EEEvSZ_,"axG",@progbits,_ZN7rocprim17ROCPRIM_400000_NS6detail17trampoline_kernelINS0_13select_configILj256ELj13ELNS0_17block_load_methodE3ELS4_3ELS4_3ELNS0_20block_scan_algorithmE0ELj4294967295EEENS1_25partition_config_selectorILNS1_17partition_subalgoE3EjNS0_10empty_typeEbEEZZNS1_14partition_implILS8_3ELb0ES6_jNS0_17counting_iteratorIjlEEPS9_SE_NS0_5tupleIJPjSE_EEENSF_IJSE_SE_EEES9_SG_JZNS1_25segmented_radix_sort_implINS0_14default_configELb0EPK12hip_bfloat16PSL_PKlPlN2at6native12_GLOBAL__N_18offset_tEEE10hipError_tPvRmT1_PNSt15iterator_traitsISZ_E10value_typeET2_T3_PNS10_IS15_E10value_typeET4_jRbjT5_S1B_jjP12ihipStream_tbEUljE_EEESW_SX_SY_S15_S19_S1B_T6_T7_T9_mT8_S1D_bDpT10_ENKUlT_T0_E_clISt17integral_constantIbLb1EES1Q_EEDaS1L_S1M_EUlS1L_E_NS1_11comp_targetILNS1_3genE2ELNS1_11target_archE906ELNS1_3gpuE6ELNS1_3repE0EEENS1_30default_config_static_selectorELNS0_4arch9wavefront6targetE0EEEvSZ_,comdat
.Lfunc_end2029:
	.size	_ZN7rocprim17ROCPRIM_400000_NS6detail17trampoline_kernelINS0_13select_configILj256ELj13ELNS0_17block_load_methodE3ELS4_3ELS4_3ELNS0_20block_scan_algorithmE0ELj4294967295EEENS1_25partition_config_selectorILNS1_17partition_subalgoE3EjNS0_10empty_typeEbEEZZNS1_14partition_implILS8_3ELb0ES6_jNS0_17counting_iteratorIjlEEPS9_SE_NS0_5tupleIJPjSE_EEENSF_IJSE_SE_EEES9_SG_JZNS1_25segmented_radix_sort_implINS0_14default_configELb0EPK12hip_bfloat16PSL_PKlPlN2at6native12_GLOBAL__N_18offset_tEEE10hipError_tPvRmT1_PNSt15iterator_traitsISZ_E10value_typeET2_T3_PNS10_IS15_E10value_typeET4_jRbjT5_S1B_jjP12ihipStream_tbEUljE_EEESW_SX_SY_S15_S19_S1B_T6_T7_T9_mT8_S1D_bDpT10_ENKUlT_T0_E_clISt17integral_constantIbLb1EES1Q_EEDaS1L_S1M_EUlS1L_E_NS1_11comp_targetILNS1_3genE2ELNS1_11target_archE906ELNS1_3gpuE6ELNS1_3repE0EEENS1_30default_config_static_selectorELNS0_4arch9wavefront6targetE0EEEvSZ_, .Lfunc_end2029-_ZN7rocprim17ROCPRIM_400000_NS6detail17trampoline_kernelINS0_13select_configILj256ELj13ELNS0_17block_load_methodE3ELS4_3ELS4_3ELNS0_20block_scan_algorithmE0ELj4294967295EEENS1_25partition_config_selectorILNS1_17partition_subalgoE3EjNS0_10empty_typeEbEEZZNS1_14partition_implILS8_3ELb0ES6_jNS0_17counting_iteratorIjlEEPS9_SE_NS0_5tupleIJPjSE_EEENSF_IJSE_SE_EEES9_SG_JZNS1_25segmented_radix_sort_implINS0_14default_configELb0EPK12hip_bfloat16PSL_PKlPlN2at6native12_GLOBAL__N_18offset_tEEE10hipError_tPvRmT1_PNSt15iterator_traitsISZ_E10value_typeET2_T3_PNS10_IS15_E10value_typeET4_jRbjT5_S1B_jjP12ihipStream_tbEUljE_EEESW_SX_SY_S15_S19_S1B_T6_T7_T9_mT8_S1D_bDpT10_ENKUlT_T0_E_clISt17integral_constantIbLb1EES1Q_EEDaS1L_S1M_EUlS1L_E_NS1_11comp_targetILNS1_3genE2ELNS1_11target_archE906ELNS1_3gpuE6ELNS1_3repE0EEENS1_30default_config_static_selectorELNS0_4arch9wavefront6targetE0EEEvSZ_
                                        ; -- End function
	.section	.AMDGPU.csdata,"",@progbits
; Kernel info:
; codeLenInByte = 0
; NumSgprs: 0
; NumVgprs: 0
; ScratchSize: 0
; MemoryBound: 0
; FloatMode: 240
; IeeeMode: 1
; LDSByteSize: 0 bytes/workgroup (compile time only)
; SGPRBlocks: 0
; VGPRBlocks: 0
; NumSGPRsForWavesPerEU: 1
; NumVGPRsForWavesPerEU: 1
; Occupancy: 16
; WaveLimiterHint : 0
; COMPUTE_PGM_RSRC2:SCRATCH_EN: 0
; COMPUTE_PGM_RSRC2:USER_SGPR: 15
; COMPUTE_PGM_RSRC2:TRAP_HANDLER: 0
; COMPUTE_PGM_RSRC2:TGID_X_EN: 1
; COMPUTE_PGM_RSRC2:TGID_Y_EN: 0
; COMPUTE_PGM_RSRC2:TGID_Z_EN: 0
; COMPUTE_PGM_RSRC2:TIDIG_COMP_CNT: 0
	.section	.text._ZN7rocprim17ROCPRIM_400000_NS6detail17trampoline_kernelINS0_13select_configILj256ELj13ELNS0_17block_load_methodE3ELS4_3ELS4_3ELNS0_20block_scan_algorithmE0ELj4294967295EEENS1_25partition_config_selectorILNS1_17partition_subalgoE3EjNS0_10empty_typeEbEEZZNS1_14partition_implILS8_3ELb0ES6_jNS0_17counting_iteratorIjlEEPS9_SE_NS0_5tupleIJPjSE_EEENSF_IJSE_SE_EEES9_SG_JZNS1_25segmented_radix_sort_implINS0_14default_configELb0EPK12hip_bfloat16PSL_PKlPlN2at6native12_GLOBAL__N_18offset_tEEE10hipError_tPvRmT1_PNSt15iterator_traitsISZ_E10value_typeET2_T3_PNS10_IS15_E10value_typeET4_jRbjT5_S1B_jjP12ihipStream_tbEUljE_EEESW_SX_SY_S15_S19_S1B_T6_T7_T9_mT8_S1D_bDpT10_ENKUlT_T0_E_clISt17integral_constantIbLb1EES1Q_EEDaS1L_S1M_EUlS1L_E_NS1_11comp_targetILNS1_3genE10ELNS1_11target_archE1200ELNS1_3gpuE4ELNS1_3repE0EEENS1_30default_config_static_selectorELNS0_4arch9wavefront6targetE0EEEvSZ_,"axG",@progbits,_ZN7rocprim17ROCPRIM_400000_NS6detail17trampoline_kernelINS0_13select_configILj256ELj13ELNS0_17block_load_methodE3ELS4_3ELS4_3ELNS0_20block_scan_algorithmE0ELj4294967295EEENS1_25partition_config_selectorILNS1_17partition_subalgoE3EjNS0_10empty_typeEbEEZZNS1_14partition_implILS8_3ELb0ES6_jNS0_17counting_iteratorIjlEEPS9_SE_NS0_5tupleIJPjSE_EEENSF_IJSE_SE_EEES9_SG_JZNS1_25segmented_radix_sort_implINS0_14default_configELb0EPK12hip_bfloat16PSL_PKlPlN2at6native12_GLOBAL__N_18offset_tEEE10hipError_tPvRmT1_PNSt15iterator_traitsISZ_E10value_typeET2_T3_PNS10_IS15_E10value_typeET4_jRbjT5_S1B_jjP12ihipStream_tbEUljE_EEESW_SX_SY_S15_S19_S1B_T6_T7_T9_mT8_S1D_bDpT10_ENKUlT_T0_E_clISt17integral_constantIbLb1EES1Q_EEDaS1L_S1M_EUlS1L_E_NS1_11comp_targetILNS1_3genE10ELNS1_11target_archE1200ELNS1_3gpuE4ELNS1_3repE0EEENS1_30default_config_static_selectorELNS0_4arch9wavefront6targetE0EEEvSZ_,comdat
	.globl	_ZN7rocprim17ROCPRIM_400000_NS6detail17trampoline_kernelINS0_13select_configILj256ELj13ELNS0_17block_load_methodE3ELS4_3ELS4_3ELNS0_20block_scan_algorithmE0ELj4294967295EEENS1_25partition_config_selectorILNS1_17partition_subalgoE3EjNS0_10empty_typeEbEEZZNS1_14partition_implILS8_3ELb0ES6_jNS0_17counting_iteratorIjlEEPS9_SE_NS0_5tupleIJPjSE_EEENSF_IJSE_SE_EEES9_SG_JZNS1_25segmented_radix_sort_implINS0_14default_configELb0EPK12hip_bfloat16PSL_PKlPlN2at6native12_GLOBAL__N_18offset_tEEE10hipError_tPvRmT1_PNSt15iterator_traitsISZ_E10value_typeET2_T3_PNS10_IS15_E10value_typeET4_jRbjT5_S1B_jjP12ihipStream_tbEUljE_EEESW_SX_SY_S15_S19_S1B_T6_T7_T9_mT8_S1D_bDpT10_ENKUlT_T0_E_clISt17integral_constantIbLb1EES1Q_EEDaS1L_S1M_EUlS1L_E_NS1_11comp_targetILNS1_3genE10ELNS1_11target_archE1200ELNS1_3gpuE4ELNS1_3repE0EEENS1_30default_config_static_selectorELNS0_4arch9wavefront6targetE0EEEvSZ_ ; -- Begin function _ZN7rocprim17ROCPRIM_400000_NS6detail17trampoline_kernelINS0_13select_configILj256ELj13ELNS0_17block_load_methodE3ELS4_3ELS4_3ELNS0_20block_scan_algorithmE0ELj4294967295EEENS1_25partition_config_selectorILNS1_17partition_subalgoE3EjNS0_10empty_typeEbEEZZNS1_14partition_implILS8_3ELb0ES6_jNS0_17counting_iteratorIjlEEPS9_SE_NS0_5tupleIJPjSE_EEENSF_IJSE_SE_EEES9_SG_JZNS1_25segmented_radix_sort_implINS0_14default_configELb0EPK12hip_bfloat16PSL_PKlPlN2at6native12_GLOBAL__N_18offset_tEEE10hipError_tPvRmT1_PNSt15iterator_traitsISZ_E10value_typeET2_T3_PNS10_IS15_E10value_typeET4_jRbjT5_S1B_jjP12ihipStream_tbEUljE_EEESW_SX_SY_S15_S19_S1B_T6_T7_T9_mT8_S1D_bDpT10_ENKUlT_T0_E_clISt17integral_constantIbLb1EES1Q_EEDaS1L_S1M_EUlS1L_E_NS1_11comp_targetILNS1_3genE10ELNS1_11target_archE1200ELNS1_3gpuE4ELNS1_3repE0EEENS1_30default_config_static_selectorELNS0_4arch9wavefront6targetE0EEEvSZ_
	.p2align	8
	.type	_ZN7rocprim17ROCPRIM_400000_NS6detail17trampoline_kernelINS0_13select_configILj256ELj13ELNS0_17block_load_methodE3ELS4_3ELS4_3ELNS0_20block_scan_algorithmE0ELj4294967295EEENS1_25partition_config_selectorILNS1_17partition_subalgoE3EjNS0_10empty_typeEbEEZZNS1_14partition_implILS8_3ELb0ES6_jNS0_17counting_iteratorIjlEEPS9_SE_NS0_5tupleIJPjSE_EEENSF_IJSE_SE_EEES9_SG_JZNS1_25segmented_radix_sort_implINS0_14default_configELb0EPK12hip_bfloat16PSL_PKlPlN2at6native12_GLOBAL__N_18offset_tEEE10hipError_tPvRmT1_PNSt15iterator_traitsISZ_E10value_typeET2_T3_PNS10_IS15_E10value_typeET4_jRbjT5_S1B_jjP12ihipStream_tbEUljE_EEESW_SX_SY_S15_S19_S1B_T6_T7_T9_mT8_S1D_bDpT10_ENKUlT_T0_E_clISt17integral_constantIbLb1EES1Q_EEDaS1L_S1M_EUlS1L_E_NS1_11comp_targetILNS1_3genE10ELNS1_11target_archE1200ELNS1_3gpuE4ELNS1_3repE0EEENS1_30default_config_static_selectorELNS0_4arch9wavefront6targetE0EEEvSZ_,@function
_ZN7rocprim17ROCPRIM_400000_NS6detail17trampoline_kernelINS0_13select_configILj256ELj13ELNS0_17block_load_methodE3ELS4_3ELS4_3ELNS0_20block_scan_algorithmE0ELj4294967295EEENS1_25partition_config_selectorILNS1_17partition_subalgoE3EjNS0_10empty_typeEbEEZZNS1_14partition_implILS8_3ELb0ES6_jNS0_17counting_iteratorIjlEEPS9_SE_NS0_5tupleIJPjSE_EEENSF_IJSE_SE_EEES9_SG_JZNS1_25segmented_radix_sort_implINS0_14default_configELb0EPK12hip_bfloat16PSL_PKlPlN2at6native12_GLOBAL__N_18offset_tEEE10hipError_tPvRmT1_PNSt15iterator_traitsISZ_E10value_typeET2_T3_PNS10_IS15_E10value_typeET4_jRbjT5_S1B_jjP12ihipStream_tbEUljE_EEESW_SX_SY_S15_S19_S1B_T6_T7_T9_mT8_S1D_bDpT10_ENKUlT_T0_E_clISt17integral_constantIbLb1EES1Q_EEDaS1L_S1M_EUlS1L_E_NS1_11comp_targetILNS1_3genE10ELNS1_11target_archE1200ELNS1_3gpuE4ELNS1_3repE0EEENS1_30default_config_static_selectorELNS0_4arch9wavefront6targetE0EEEvSZ_: ; @_ZN7rocprim17ROCPRIM_400000_NS6detail17trampoline_kernelINS0_13select_configILj256ELj13ELNS0_17block_load_methodE3ELS4_3ELS4_3ELNS0_20block_scan_algorithmE0ELj4294967295EEENS1_25partition_config_selectorILNS1_17partition_subalgoE3EjNS0_10empty_typeEbEEZZNS1_14partition_implILS8_3ELb0ES6_jNS0_17counting_iteratorIjlEEPS9_SE_NS0_5tupleIJPjSE_EEENSF_IJSE_SE_EEES9_SG_JZNS1_25segmented_radix_sort_implINS0_14default_configELb0EPK12hip_bfloat16PSL_PKlPlN2at6native12_GLOBAL__N_18offset_tEEE10hipError_tPvRmT1_PNSt15iterator_traitsISZ_E10value_typeET2_T3_PNS10_IS15_E10value_typeET4_jRbjT5_S1B_jjP12ihipStream_tbEUljE_EEESW_SX_SY_S15_S19_S1B_T6_T7_T9_mT8_S1D_bDpT10_ENKUlT_T0_E_clISt17integral_constantIbLb1EES1Q_EEDaS1L_S1M_EUlS1L_E_NS1_11comp_targetILNS1_3genE10ELNS1_11target_archE1200ELNS1_3gpuE4ELNS1_3repE0EEENS1_30default_config_static_selectorELNS0_4arch9wavefront6targetE0EEEvSZ_
; %bb.0:
	.section	.rodata,"a",@progbits
	.p2align	6, 0x0
	.amdhsa_kernel _ZN7rocprim17ROCPRIM_400000_NS6detail17trampoline_kernelINS0_13select_configILj256ELj13ELNS0_17block_load_methodE3ELS4_3ELS4_3ELNS0_20block_scan_algorithmE0ELj4294967295EEENS1_25partition_config_selectorILNS1_17partition_subalgoE3EjNS0_10empty_typeEbEEZZNS1_14partition_implILS8_3ELb0ES6_jNS0_17counting_iteratorIjlEEPS9_SE_NS0_5tupleIJPjSE_EEENSF_IJSE_SE_EEES9_SG_JZNS1_25segmented_radix_sort_implINS0_14default_configELb0EPK12hip_bfloat16PSL_PKlPlN2at6native12_GLOBAL__N_18offset_tEEE10hipError_tPvRmT1_PNSt15iterator_traitsISZ_E10value_typeET2_T3_PNS10_IS15_E10value_typeET4_jRbjT5_S1B_jjP12ihipStream_tbEUljE_EEESW_SX_SY_S15_S19_S1B_T6_T7_T9_mT8_S1D_bDpT10_ENKUlT_T0_E_clISt17integral_constantIbLb1EES1Q_EEDaS1L_S1M_EUlS1L_E_NS1_11comp_targetILNS1_3genE10ELNS1_11target_archE1200ELNS1_3gpuE4ELNS1_3repE0EEENS1_30default_config_static_selectorELNS0_4arch9wavefront6targetE0EEEvSZ_
		.amdhsa_group_segment_fixed_size 0
		.amdhsa_private_segment_fixed_size 0
		.amdhsa_kernarg_size 152
		.amdhsa_user_sgpr_count 15
		.amdhsa_user_sgpr_dispatch_ptr 0
		.amdhsa_user_sgpr_queue_ptr 0
		.amdhsa_user_sgpr_kernarg_segment_ptr 1
		.amdhsa_user_sgpr_dispatch_id 0
		.amdhsa_user_sgpr_private_segment_size 0
		.amdhsa_wavefront_size32 1
		.amdhsa_uses_dynamic_stack 0
		.amdhsa_enable_private_segment 0
		.amdhsa_system_sgpr_workgroup_id_x 1
		.amdhsa_system_sgpr_workgroup_id_y 0
		.amdhsa_system_sgpr_workgroup_id_z 0
		.amdhsa_system_sgpr_workgroup_info 0
		.amdhsa_system_vgpr_workitem_id 0
		.amdhsa_next_free_vgpr 1
		.amdhsa_next_free_sgpr 1
		.amdhsa_reserve_vcc 0
		.amdhsa_float_round_mode_32 0
		.amdhsa_float_round_mode_16_64 0
		.amdhsa_float_denorm_mode_32 3
		.amdhsa_float_denorm_mode_16_64 3
		.amdhsa_dx10_clamp 1
		.amdhsa_ieee_mode 1
		.amdhsa_fp16_overflow 0
		.amdhsa_workgroup_processor_mode 1
		.amdhsa_memory_ordered 1
		.amdhsa_forward_progress 0
		.amdhsa_shared_vgpr_count 0
		.amdhsa_exception_fp_ieee_invalid_op 0
		.amdhsa_exception_fp_denorm_src 0
		.amdhsa_exception_fp_ieee_div_zero 0
		.amdhsa_exception_fp_ieee_overflow 0
		.amdhsa_exception_fp_ieee_underflow 0
		.amdhsa_exception_fp_ieee_inexact 0
		.amdhsa_exception_int_div_zero 0
	.end_amdhsa_kernel
	.section	.text._ZN7rocprim17ROCPRIM_400000_NS6detail17trampoline_kernelINS0_13select_configILj256ELj13ELNS0_17block_load_methodE3ELS4_3ELS4_3ELNS0_20block_scan_algorithmE0ELj4294967295EEENS1_25partition_config_selectorILNS1_17partition_subalgoE3EjNS0_10empty_typeEbEEZZNS1_14partition_implILS8_3ELb0ES6_jNS0_17counting_iteratorIjlEEPS9_SE_NS0_5tupleIJPjSE_EEENSF_IJSE_SE_EEES9_SG_JZNS1_25segmented_radix_sort_implINS0_14default_configELb0EPK12hip_bfloat16PSL_PKlPlN2at6native12_GLOBAL__N_18offset_tEEE10hipError_tPvRmT1_PNSt15iterator_traitsISZ_E10value_typeET2_T3_PNS10_IS15_E10value_typeET4_jRbjT5_S1B_jjP12ihipStream_tbEUljE_EEESW_SX_SY_S15_S19_S1B_T6_T7_T9_mT8_S1D_bDpT10_ENKUlT_T0_E_clISt17integral_constantIbLb1EES1Q_EEDaS1L_S1M_EUlS1L_E_NS1_11comp_targetILNS1_3genE10ELNS1_11target_archE1200ELNS1_3gpuE4ELNS1_3repE0EEENS1_30default_config_static_selectorELNS0_4arch9wavefront6targetE0EEEvSZ_,"axG",@progbits,_ZN7rocprim17ROCPRIM_400000_NS6detail17trampoline_kernelINS0_13select_configILj256ELj13ELNS0_17block_load_methodE3ELS4_3ELS4_3ELNS0_20block_scan_algorithmE0ELj4294967295EEENS1_25partition_config_selectorILNS1_17partition_subalgoE3EjNS0_10empty_typeEbEEZZNS1_14partition_implILS8_3ELb0ES6_jNS0_17counting_iteratorIjlEEPS9_SE_NS0_5tupleIJPjSE_EEENSF_IJSE_SE_EEES9_SG_JZNS1_25segmented_radix_sort_implINS0_14default_configELb0EPK12hip_bfloat16PSL_PKlPlN2at6native12_GLOBAL__N_18offset_tEEE10hipError_tPvRmT1_PNSt15iterator_traitsISZ_E10value_typeET2_T3_PNS10_IS15_E10value_typeET4_jRbjT5_S1B_jjP12ihipStream_tbEUljE_EEESW_SX_SY_S15_S19_S1B_T6_T7_T9_mT8_S1D_bDpT10_ENKUlT_T0_E_clISt17integral_constantIbLb1EES1Q_EEDaS1L_S1M_EUlS1L_E_NS1_11comp_targetILNS1_3genE10ELNS1_11target_archE1200ELNS1_3gpuE4ELNS1_3repE0EEENS1_30default_config_static_selectorELNS0_4arch9wavefront6targetE0EEEvSZ_,comdat
.Lfunc_end2030:
	.size	_ZN7rocprim17ROCPRIM_400000_NS6detail17trampoline_kernelINS0_13select_configILj256ELj13ELNS0_17block_load_methodE3ELS4_3ELS4_3ELNS0_20block_scan_algorithmE0ELj4294967295EEENS1_25partition_config_selectorILNS1_17partition_subalgoE3EjNS0_10empty_typeEbEEZZNS1_14partition_implILS8_3ELb0ES6_jNS0_17counting_iteratorIjlEEPS9_SE_NS0_5tupleIJPjSE_EEENSF_IJSE_SE_EEES9_SG_JZNS1_25segmented_radix_sort_implINS0_14default_configELb0EPK12hip_bfloat16PSL_PKlPlN2at6native12_GLOBAL__N_18offset_tEEE10hipError_tPvRmT1_PNSt15iterator_traitsISZ_E10value_typeET2_T3_PNS10_IS15_E10value_typeET4_jRbjT5_S1B_jjP12ihipStream_tbEUljE_EEESW_SX_SY_S15_S19_S1B_T6_T7_T9_mT8_S1D_bDpT10_ENKUlT_T0_E_clISt17integral_constantIbLb1EES1Q_EEDaS1L_S1M_EUlS1L_E_NS1_11comp_targetILNS1_3genE10ELNS1_11target_archE1200ELNS1_3gpuE4ELNS1_3repE0EEENS1_30default_config_static_selectorELNS0_4arch9wavefront6targetE0EEEvSZ_, .Lfunc_end2030-_ZN7rocprim17ROCPRIM_400000_NS6detail17trampoline_kernelINS0_13select_configILj256ELj13ELNS0_17block_load_methodE3ELS4_3ELS4_3ELNS0_20block_scan_algorithmE0ELj4294967295EEENS1_25partition_config_selectorILNS1_17partition_subalgoE3EjNS0_10empty_typeEbEEZZNS1_14partition_implILS8_3ELb0ES6_jNS0_17counting_iteratorIjlEEPS9_SE_NS0_5tupleIJPjSE_EEENSF_IJSE_SE_EEES9_SG_JZNS1_25segmented_radix_sort_implINS0_14default_configELb0EPK12hip_bfloat16PSL_PKlPlN2at6native12_GLOBAL__N_18offset_tEEE10hipError_tPvRmT1_PNSt15iterator_traitsISZ_E10value_typeET2_T3_PNS10_IS15_E10value_typeET4_jRbjT5_S1B_jjP12ihipStream_tbEUljE_EEESW_SX_SY_S15_S19_S1B_T6_T7_T9_mT8_S1D_bDpT10_ENKUlT_T0_E_clISt17integral_constantIbLb1EES1Q_EEDaS1L_S1M_EUlS1L_E_NS1_11comp_targetILNS1_3genE10ELNS1_11target_archE1200ELNS1_3gpuE4ELNS1_3repE0EEENS1_30default_config_static_selectorELNS0_4arch9wavefront6targetE0EEEvSZ_
                                        ; -- End function
	.section	.AMDGPU.csdata,"",@progbits
; Kernel info:
; codeLenInByte = 0
; NumSgprs: 0
; NumVgprs: 0
; ScratchSize: 0
; MemoryBound: 0
; FloatMode: 240
; IeeeMode: 1
; LDSByteSize: 0 bytes/workgroup (compile time only)
; SGPRBlocks: 0
; VGPRBlocks: 0
; NumSGPRsForWavesPerEU: 1
; NumVGPRsForWavesPerEU: 1
; Occupancy: 16
; WaveLimiterHint : 0
; COMPUTE_PGM_RSRC2:SCRATCH_EN: 0
; COMPUTE_PGM_RSRC2:USER_SGPR: 15
; COMPUTE_PGM_RSRC2:TRAP_HANDLER: 0
; COMPUTE_PGM_RSRC2:TGID_X_EN: 1
; COMPUTE_PGM_RSRC2:TGID_Y_EN: 0
; COMPUTE_PGM_RSRC2:TGID_Z_EN: 0
; COMPUTE_PGM_RSRC2:TIDIG_COMP_CNT: 0
	.section	.text._ZN7rocprim17ROCPRIM_400000_NS6detail17trampoline_kernelINS0_13select_configILj256ELj13ELNS0_17block_load_methodE3ELS4_3ELS4_3ELNS0_20block_scan_algorithmE0ELj4294967295EEENS1_25partition_config_selectorILNS1_17partition_subalgoE3EjNS0_10empty_typeEbEEZZNS1_14partition_implILS8_3ELb0ES6_jNS0_17counting_iteratorIjlEEPS9_SE_NS0_5tupleIJPjSE_EEENSF_IJSE_SE_EEES9_SG_JZNS1_25segmented_radix_sort_implINS0_14default_configELb0EPK12hip_bfloat16PSL_PKlPlN2at6native12_GLOBAL__N_18offset_tEEE10hipError_tPvRmT1_PNSt15iterator_traitsISZ_E10value_typeET2_T3_PNS10_IS15_E10value_typeET4_jRbjT5_S1B_jjP12ihipStream_tbEUljE_EEESW_SX_SY_S15_S19_S1B_T6_T7_T9_mT8_S1D_bDpT10_ENKUlT_T0_E_clISt17integral_constantIbLb1EES1Q_EEDaS1L_S1M_EUlS1L_E_NS1_11comp_targetILNS1_3genE9ELNS1_11target_archE1100ELNS1_3gpuE3ELNS1_3repE0EEENS1_30default_config_static_selectorELNS0_4arch9wavefront6targetE0EEEvSZ_,"axG",@progbits,_ZN7rocprim17ROCPRIM_400000_NS6detail17trampoline_kernelINS0_13select_configILj256ELj13ELNS0_17block_load_methodE3ELS4_3ELS4_3ELNS0_20block_scan_algorithmE0ELj4294967295EEENS1_25partition_config_selectorILNS1_17partition_subalgoE3EjNS0_10empty_typeEbEEZZNS1_14partition_implILS8_3ELb0ES6_jNS0_17counting_iteratorIjlEEPS9_SE_NS0_5tupleIJPjSE_EEENSF_IJSE_SE_EEES9_SG_JZNS1_25segmented_radix_sort_implINS0_14default_configELb0EPK12hip_bfloat16PSL_PKlPlN2at6native12_GLOBAL__N_18offset_tEEE10hipError_tPvRmT1_PNSt15iterator_traitsISZ_E10value_typeET2_T3_PNS10_IS15_E10value_typeET4_jRbjT5_S1B_jjP12ihipStream_tbEUljE_EEESW_SX_SY_S15_S19_S1B_T6_T7_T9_mT8_S1D_bDpT10_ENKUlT_T0_E_clISt17integral_constantIbLb1EES1Q_EEDaS1L_S1M_EUlS1L_E_NS1_11comp_targetILNS1_3genE9ELNS1_11target_archE1100ELNS1_3gpuE3ELNS1_3repE0EEENS1_30default_config_static_selectorELNS0_4arch9wavefront6targetE0EEEvSZ_,comdat
	.globl	_ZN7rocprim17ROCPRIM_400000_NS6detail17trampoline_kernelINS0_13select_configILj256ELj13ELNS0_17block_load_methodE3ELS4_3ELS4_3ELNS0_20block_scan_algorithmE0ELj4294967295EEENS1_25partition_config_selectorILNS1_17partition_subalgoE3EjNS0_10empty_typeEbEEZZNS1_14partition_implILS8_3ELb0ES6_jNS0_17counting_iteratorIjlEEPS9_SE_NS0_5tupleIJPjSE_EEENSF_IJSE_SE_EEES9_SG_JZNS1_25segmented_radix_sort_implINS0_14default_configELb0EPK12hip_bfloat16PSL_PKlPlN2at6native12_GLOBAL__N_18offset_tEEE10hipError_tPvRmT1_PNSt15iterator_traitsISZ_E10value_typeET2_T3_PNS10_IS15_E10value_typeET4_jRbjT5_S1B_jjP12ihipStream_tbEUljE_EEESW_SX_SY_S15_S19_S1B_T6_T7_T9_mT8_S1D_bDpT10_ENKUlT_T0_E_clISt17integral_constantIbLb1EES1Q_EEDaS1L_S1M_EUlS1L_E_NS1_11comp_targetILNS1_3genE9ELNS1_11target_archE1100ELNS1_3gpuE3ELNS1_3repE0EEENS1_30default_config_static_selectorELNS0_4arch9wavefront6targetE0EEEvSZ_ ; -- Begin function _ZN7rocprim17ROCPRIM_400000_NS6detail17trampoline_kernelINS0_13select_configILj256ELj13ELNS0_17block_load_methodE3ELS4_3ELS4_3ELNS0_20block_scan_algorithmE0ELj4294967295EEENS1_25partition_config_selectorILNS1_17partition_subalgoE3EjNS0_10empty_typeEbEEZZNS1_14partition_implILS8_3ELb0ES6_jNS0_17counting_iteratorIjlEEPS9_SE_NS0_5tupleIJPjSE_EEENSF_IJSE_SE_EEES9_SG_JZNS1_25segmented_radix_sort_implINS0_14default_configELb0EPK12hip_bfloat16PSL_PKlPlN2at6native12_GLOBAL__N_18offset_tEEE10hipError_tPvRmT1_PNSt15iterator_traitsISZ_E10value_typeET2_T3_PNS10_IS15_E10value_typeET4_jRbjT5_S1B_jjP12ihipStream_tbEUljE_EEESW_SX_SY_S15_S19_S1B_T6_T7_T9_mT8_S1D_bDpT10_ENKUlT_T0_E_clISt17integral_constantIbLb1EES1Q_EEDaS1L_S1M_EUlS1L_E_NS1_11comp_targetILNS1_3genE9ELNS1_11target_archE1100ELNS1_3gpuE3ELNS1_3repE0EEENS1_30default_config_static_selectorELNS0_4arch9wavefront6targetE0EEEvSZ_
	.p2align	8
	.type	_ZN7rocprim17ROCPRIM_400000_NS6detail17trampoline_kernelINS0_13select_configILj256ELj13ELNS0_17block_load_methodE3ELS4_3ELS4_3ELNS0_20block_scan_algorithmE0ELj4294967295EEENS1_25partition_config_selectorILNS1_17partition_subalgoE3EjNS0_10empty_typeEbEEZZNS1_14partition_implILS8_3ELb0ES6_jNS0_17counting_iteratorIjlEEPS9_SE_NS0_5tupleIJPjSE_EEENSF_IJSE_SE_EEES9_SG_JZNS1_25segmented_radix_sort_implINS0_14default_configELb0EPK12hip_bfloat16PSL_PKlPlN2at6native12_GLOBAL__N_18offset_tEEE10hipError_tPvRmT1_PNSt15iterator_traitsISZ_E10value_typeET2_T3_PNS10_IS15_E10value_typeET4_jRbjT5_S1B_jjP12ihipStream_tbEUljE_EEESW_SX_SY_S15_S19_S1B_T6_T7_T9_mT8_S1D_bDpT10_ENKUlT_T0_E_clISt17integral_constantIbLb1EES1Q_EEDaS1L_S1M_EUlS1L_E_NS1_11comp_targetILNS1_3genE9ELNS1_11target_archE1100ELNS1_3gpuE3ELNS1_3repE0EEENS1_30default_config_static_selectorELNS0_4arch9wavefront6targetE0EEEvSZ_,@function
_ZN7rocprim17ROCPRIM_400000_NS6detail17trampoline_kernelINS0_13select_configILj256ELj13ELNS0_17block_load_methodE3ELS4_3ELS4_3ELNS0_20block_scan_algorithmE0ELj4294967295EEENS1_25partition_config_selectorILNS1_17partition_subalgoE3EjNS0_10empty_typeEbEEZZNS1_14partition_implILS8_3ELb0ES6_jNS0_17counting_iteratorIjlEEPS9_SE_NS0_5tupleIJPjSE_EEENSF_IJSE_SE_EEES9_SG_JZNS1_25segmented_radix_sort_implINS0_14default_configELb0EPK12hip_bfloat16PSL_PKlPlN2at6native12_GLOBAL__N_18offset_tEEE10hipError_tPvRmT1_PNSt15iterator_traitsISZ_E10value_typeET2_T3_PNS10_IS15_E10value_typeET4_jRbjT5_S1B_jjP12ihipStream_tbEUljE_EEESW_SX_SY_S15_S19_S1B_T6_T7_T9_mT8_S1D_bDpT10_ENKUlT_T0_E_clISt17integral_constantIbLb1EES1Q_EEDaS1L_S1M_EUlS1L_E_NS1_11comp_targetILNS1_3genE9ELNS1_11target_archE1100ELNS1_3gpuE3ELNS1_3repE0EEENS1_30default_config_static_selectorELNS0_4arch9wavefront6targetE0EEEvSZ_: ; @_ZN7rocprim17ROCPRIM_400000_NS6detail17trampoline_kernelINS0_13select_configILj256ELj13ELNS0_17block_load_methodE3ELS4_3ELS4_3ELNS0_20block_scan_algorithmE0ELj4294967295EEENS1_25partition_config_selectorILNS1_17partition_subalgoE3EjNS0_10empty_typeEbEEZZNS1_14partition_implILS8_3ELb0ES6_jNS0_17counting_iteratorIjlEEPS9_SE_NS0_5tupleIJPjSE_EEENSF_IJSE_SE_EEES9_SG_JZNS1_25segmented_radix_sort_implINS0_14default_configELb0EPK12hip_bfloat16PSL_PKlPlN2at6native12_GLOBAL__N_18offset_tEEE10hipError_tPvRmT1_PNSt15iterator_traitsISZ_E10value_typeET2_T3_PNS10_IS15_E10value_typeET4_jRbjT5_S1B_jjP12ihipStream_tbEUljE_EEESW_SX_SY_S15_S19_S1B_T6_T7_T9_mT8_S1D_bDpT10_ENKUlT_T0_E_clISt17integral_constantIbLb1EES1Q_EEDaS1L_S1M_EUlS1L_E_NS1_11comp_targetILNS1_3genE9ELNS1_11target_archE1100ELNS1_3gpuE3ELNS1_3repE0EEENS1_30default_config_static_selectorELNS0_4arch9wavefront6targetE0EEEvSZ_
; %bb.0:
	s_clause 0x6
	s_load_b64 s[16:17], s[0:1], 0x10
	s_load_b64 s[12:13], s[0:1], 0x28
	;; [unrolled: 1-line block ×3, first 2 shown]
	s_load_b128 s[8:11], s[0:1], 0x48
	s_load_b32 s3, s[0:1], 0x90
	s_load_b64 s[18:19], s[0:1], 0x68
	s_load_b128 s[4:7], s[0:1], 0x80
	v_cmp_eq_u32_e64 s2, 0, v0
	s_delay_alu instid0(VALU_DEP_1)
	s_and_saveexec_b32 s20, s2
	s_cbranch_execz .LBB2031_4
; %bb.1:
	s_mov_b32 s22, exec_lo
	s_mov_b32 s21, exec_lo
	v_mbcnt_lo_u32_b32 v1, s22, 0
                                        ; implicit-def: $vgpr2
	s_delay_alu instid0(VALU_DEP_1)
	v_cmpx_eq_u32_e32 0, v1
	s_cbranch_execz .LBB2031_3
; %bb.2:
	s_load_b64 s[24:25], s[0:1], 0x78
	s_bcnt1_i32_b32 s22, s22
	s_delay_alu instid0(SALU_CYCLE_1)
	v_dual_mov_b32 v2, 0 :: v_dual_mov_b32 v3, s22
	s_waitcnt lgkmcnt(0)
	global_atomic_add_u32 v2, v2, v3, s[24:25] glc
.LBB2031_3:
	s_or_b32 exec_lo, exec_lo, s21
	s_waitcnt vmcnt(0)
	v_readfirstlane_b32 s21, v2
	s_delay_alu instid0(VALU_DEP_1)
	v_dual_mov_b32 v2, 0 :: v_dual_add_nc_u32 v1, s21, v1
	ds_store_b32 v2, v1
.LBB2031_4:
	s_or_b32 exec_lo, exec_lo, s20
	v_mov_b32_e32 v1, 0
	s_clause 0x1
	s_load_b32 s20, s[0:1], 0x8
	s_load_b32 s0, s[0:1], 0x70
	s_waitcnt lgkmcnt(0)
	s_barrier
	buffer_gl0_inv
	ds_load_b32 v2, v1
	s_waitcnt lgkmcnt(0)
	s_barrier
	buffer_gl0_inv
	global_load_b64 v[18:19], v1, s[10:11]
	v_lshlrev_b32_e32 v33, 2, v0
	s_add_i32 s21, s20, s16
	s_mul_i32 s1, s0, 0xd00
	s_add_i32 s0, s0, -1
	s_add_u32 s10, s16, s1
	s_addc_u32 s11, s17, 0
	v_mul_lo_u32 v32, 0xd00, v2
	v_readfirstlane_b32 s20, v2
	v_cmp_lt_u64_e64 s11, s[10:11], s[14:15]
	v_cmp_ne_u32_e32 vcc_lo, s0, v2
	s_delay_alu instid0(VALU_DEP_3) | instskip(SKIP_1) | instid1(VALU_DEP_4)
	s_cmp_eq_u32 s20, s0
	s_cselect_b32 s10, -1, 0
	v_add3_u32 v1, v32, s21, v0
	s_delay_alu instid0(VALU_DEP_3) | instskip(SKIP_2) | instid1(VALU_DEP_1)
	s_or_b32 s0, s11, vcc_lo
	s_mov_b32 s11, -1
	s_and_b32 vcc_lo, exec_lo, s0
	v_add_nc_u32_e32 v2, 0x100, v1
	v_add_nc_u32_e32 v3, 0x200, v1
	;; [unrolled: 1-line block ×12, first 2 shown]
	s_cbranch_vccz .LBB2031_6
; %bb.5:
	ds_store_2addr_stride64_b32 v33, v1, v2 offset1:4
	ds_store_2addr_stride64_b32 v33, v3, v4 offset0:8 offset1:12
	ds_store_2addr_stride64_b32 v33, v5, v6 offset0:16 offset1:20
	;; [unrolled: 1-line block ×5, first 2 shown]
	ds_store_b32 v33, v13 offset:12288
	s_waitcnt vmcnt(0) lgkmcnt(0)
	s_mov_b32 s11, 0
	s_barrier
.LBB2031_6:
	s_and_not1_b32 vcc_lo, exec_lo, s11
	s_add_i32 s1, s1, s16
	s_cbranch_vccnz .LBB2031_8
; %bb.7:
	ds_store_2addr_stride64_b32 v33, v1, v2 offset1:4
	ds_store_2addr_stride64_b32 v33, v3, v4 offset0:8 offset1:12
	ds_store_2addr_stride64_b32 v33, v5, v6 offset0:16 offset1:20
	;; [unrolled: 1-line block ×5, first 2 shown]
	ds_store_b32 v33, v13 offset:12288
	s_waitcnt vmcnt(0) lgkmcnt(0)
	s_barrier
.LBB2031_8:
	v_mul_u32_u24_e32 v36, 13, v0
	s_waitcnt vmcnt(0)
	buffer_gl0_inv
	v_cndmask_b32_e64 v34, 0, 1, s0
	s_sub_i32 s11, s14, s1
	s_and_not1_b32 vcc_lo, exec_lo, s0
	v_lshlrev_b32_e32 v1, 2, v36
	ds_load_2addr_b32 v[30:31], v1 offset1:1
	ds_load_2addr_b32 v[28:29], v1 offset0:2 offset1:3
	ds_load_2addr_b32 v[26:27], v1 offset0:4 offset1:5
	;; [unrolled: 1-line block ×5, first 2 shown]
	ds_load_b32 v35, v1 offset:48
	s_waitcnt lgkmcnt(0)
	s_barrier
	buffer_gl0_inv
	s_cbranch_vccnz .LBB2031_10
; %bb.9:
	v_add_nc_u32_e32 v1, s5, v30
	v_add_nc_u32_e32 v2, s7, v30
	;; [unrolled: 1-line block ×5, first 2 shown]
	v_mul_lo_u32 v1, v1, s4
	v_mul_lo_u32 v2, v2, s6
	;; [unrolled: 1-line block ×4, first 2 shown]
	v_add_nc_u32_e32 v6, s7, v28
	v_add_nc_u32_e32 v7, s5, v29
	;; [unrolled: 1-line block ×3, first 2 shown]
	v_mul_lo_u32 v5, v5, s4
	v_add_nc_u32_e32 v9, s5, v24
	v_sub_nc_u32_e32 v1, v1, v2
	v_mul_lo_u32 v2, v6, s6
	v_sub_nc_u32_e32 v3, v3, v4
	v_mul_lo_u32 v4, v7, s4
	v_mul_lo_u32 v6, v8, s6
	v_add_nc_u32_e32 v7, s5, v26
	v_cmp_lt_u32_e32 vcc_lo, s3, v1
	v_add_nc_u32_e32 v8, s5, v27
	v_add_nc_u32_e32 v10, s7, v24
	v_sub_nc_u32_e32 v2, v5, v2
	v_add_nc_u32_e32 v5, s7, v26
	v_cndmask_b32_e64 v1, 0, 1, vcc_lo
	v_sub_nc_u32_e32 v4, v4, v6
	v_mul_lo_u32 v6, v7, s4
	v_add_nc_u32_e32 v7, s7, v27
	v_cmp_lt_u32_e32 vcc_lo, s3, v3
	v_mul_lo_u32 v5, v5, s6
	v_mul_lo_u32 v8, v8, s4
	;; [unrolled: 1-line block ×4, first 2 shown]
	v_cndmask_b32_e64 v3, 0, 1, vcc_lo
	v_cmp_lt_u32_e32 vcc_lo, s3, v2
	v_mul_lo_u32 v10, v10, s6
	v_add_nc_u32_e32 v11, s5, v22
	v_sub_nc_u32_e32 v5, v6, v5
	v_add_nc_u32_e32 v12, s7, v22
	v_cndmask_b32_e64 v2, 0, 1, vcc_lo
	v_sub_nc_u32_e32 v6, v8, v7
	v_add_nc_u32_e32 v7, s5, v25
	v_add_nc_u32_e32 v8, s7, v25
	v_cmp_lt_u32_e32 vcc_lo, s3, v4
	v_sub_nc_u32_e32 v9, v9, v10
	v_mul_lo_u32 v10, v11, s4
	v_mul_lo_u32 v7, v7, s4
	;; [unrolled: 1-line block ×4, first 2 shown]
	v_cndmask_b32_e64 v4, 0, 1, vcc_lo
	v_cmp_lt_u32_e32 vcc_lo, s3, v5
	v_add_nc_u32_e32 v12, s5, v23
	v_add_nc_u32_e32 v13, s7, v20
	;; [unrolled: 1-line block ×4, first 2 shown]
	v_cndmask_b32_e64 v5, 0, 1, vcc_lo
	v_cmp_lt_u32_e32 vcc_lo, s3, v6
	v_sub_nc_u32_e32 v7, v7, v8
	v_sub_nc_u32_e32 v8, v10, v11
	v_add_nc_u32_e32 v11, s7, v23
	v_mul_lo_u32 v10, v12, s4
	v_cndmask_b32_e64 v6, 0, 1, vcc_lo
	v_cmp_lt_u32_e32 vcc_lo, s3, v9
	v_add_nc_u32_e32 v12, s5, v20
	v_mul_lo_u32 v11, v11, s6
	v_mul_lo_u32 v13, v13, s6
	;; [unrolled: 1-line block ×3, first 2 shown]
	v_cndmask_b32_e64 v9, 0, 1, vcc_lo
	v_cmp_lt_u32_e32 vcc_lo, s3, v7
	v_mul_lo_u32 v12, v12, s4
	v_mul_lo_u32 v15, v15, s6
	v_lshlrev_b16 v3, 8, v3
	v_sub_nc_u32_e32 v10, v10, v11
	v_cndmask_b32_e64 v7, 0, 1, vcc_lo
	v_cmp_lt_u32_e32 vcc_lo, s3, v8
	v_add_nc_u32_e32 v11, s5, v35
	v_or_b32_e32 v1, v1, v3
	v_sub_nc_u32_e32 v12, v12, v13
	v_sub_nc_u32_e32 v13, v14, v15
	v_cndmask_b32_e64 v8, 0, 1, vcc_lo
	v_cmp_lt_u32_e32 vcc_lo, s3, v10
	v_add_nc_u32_e32 v16, s7, v35
	v_mul_lo_u32 v11, v11, s4
	v_lshlrev_b16 v4, 8, v4
	v_lshlrev_b16 v6, 8, v6
	v_cndmask_b32_e64 v10, 0, 1, vcc_lo
	v_cmp_lt_u32_e32 vcc_lo, s3, v12
	v_mul_lo_u32 v14, v16, s6
	v_lshlrev_b16 v7, 8, v7
	v_or_b32_e32 v2, v2, v4
	v_lshlrev_b16 v10, 8, v10
	v_cndmask_b32_e64 v3, 0, 1, vcc_lo
	v_cmp_lt_u32_e32 vcc_lo, s3, v13
	v_or_b32_e32 v4, v5, v6
	v_or_b32_e32 v5, v9, v7
	v_sub_nc_u32_e32 v11, v11, v14
	v_or_b32_e32 v6, v8, v10
	v_cndmask_b32_e64 v12, 0, 1, vcc_lo
	v_and_b32_e32 v1, 0xffff, v1
	v_lshlrev_b32_e32 v2, 16, v2
	v_and_b32_e32 v4, 0xffff, v4
	v_lshlrev_b32_e32 v5, 16, v5
	v_lshlrev_b16 v12, 8, v12
	v_and_b32_e32 v6, 0xffff, v6
	v_cmp_lt_u32_e32 vcc_lo, s3, v11
	v_or_b32_e32 v42, v1, v2
	v_or_b32_e32 v40, v4, v5
	;; [unrolled: 1-line block ×3, first 2 shown]
	v_cndmask_b32_e64 v37, 0, 1, vcc_lo
	s_delay_alu instid0(VALU_DEP_2) | instskip(NEXT) | instid1(VALU_DEP_1)
	v_lshlrev_b32_e32 v3, 16, v3
	v_or_b32_e32 v38, v6, v3
	s_addk_i32 s11, 0xd00
	s_cbranch_execz .LBB2031_11
	s_branch .LBB2031_38
.LBB2031_10:
                                        ; implicit-def: $vgpr37
                                        ; implicit-def: $vgpr38
                                        ; implicit-def: $vgpr40
                                        ; implicit-def: $vgpr42
	s_addk_i32 s11, 0xd00
.LBB2031_11:
	v_dual_mov_b32 v2, 0 :: v_dual_mov_b32 v1, 0
	s_mov_b32 s0, exec_lo
	v_cmpx_gt_u32_e64 s11, v36
; %bb.12:
	v_add_nc_u32_e32 v1, s5, v30
	v_add_nc_u32_e32 v3, s7, v30
	s_delay_alu instid0(VALU_DEP_2) | instskip(NEXT) | instid1(VALU_DEP_2)
	v_mul_lo_u32 v1, v1, s4
	v_mul_lo_u32 v3, v3, s6
	s_delay_alu instid0(VALU_DEP_1) | instskip(NEXT) | instid1(VALU_DEP_1)
	v_sub_nc_u32_e32 v1, v1, v3
	v_cmp_lt_u32_e32 vcc_lo, s3, v1
	v_cndmask_b32_e64 v1, 0, 1, vcc_lo
; %bb.13:
	s_or_b32 exec_lo, exec_lo, s0
	v_add_nc_u32_e32 v3, 1, v36
	s_mov_b32 s0, exec_lo
	s_delay_alu instid0(VALU_DEP_1)
	v_cmpx_gt_u32_e64 s11, v3
; %bb.14:
	v_add_nc_u32_e32 v2, s5, v31
	v_add_nc_u32_e32 v3, s7, v31
	s_delay_alu instid0(VALU_DEP_2) | instskip(NEXT) | instid1(VALU_DEP_2)
	v_mul_lo_u32 v2, v2, s4
	v_mul_lo_u32 v3, v3, s6
	s_delay_alu instid0(VALU_DEP_1) | instskip(NEXT) | instid1(VALU_DEP_1)
	v_sub_nc_u32_e32 v2, v2, v3
	v_cmp_lt_u32_e32 vcc_lo, s3, v2
	v_cndmask_b32_e64 v2, 0, 1, vcc_lo
; %bb.15:
	s_or_b32 exec_lo, exec_lo, s0
	v_dual_mov_b32 v4, 0 :: v_dual_add_nc_u32 v3, 2, v36
	s_delay_alu instid0(VALU_DEP_1)
	v_cmp_gt_u32_e32 vcc_lo, s11, v3
	v_mov_b32_e32 v3, 0
	s_and_saveexec_b32 s0, vcc_lo
; %bb.16:
	v_add_nc_u32_e32 v3, s5, v28
	v_add_nc_u32_e32 v5, s7, v28
	s_delay_alu instid0(VALU_DEP_2) | instskip(NEXT) | instid1(VALU_DEP_2)
	v_mul_lo_u32 v3, v3, s4
	v_mul_lo_u32 v5, v5, s6
	s_delay_alu instid0(VALU_DEP_1) | instskip(NEXT) | instid1(VALU_DEP_1)
	v_sub_nc_u32_e32 v3, v3, v5
	v_cmp_lt_u32_e32 vcc_lo, s3, v3
	v_cndmask_b32_e64 v3, 0, 1, vcc_lo
; %bb.17:
	s_or_b32 exec_lo, exec_lo, s0
	v_add_nc_u32_e32 v5, 3, v36
	s_mov_b32 s0, exec_lo
	s_delay_alu instid0(VALU_DEP_1)
	v_cmpx_gt_u32_e64 s11, v5
; %bb.18:
	v_add_nc_u32_e32 v4, s5, v29
	v_add_nc_u32_e32 v5, s7, v29
	s_delay_alu instid0(VALU_DEP_2) | instskip(NEXT) | instid1(VALU_DEP_2)
	v_mul_lo_u32 v4, v4, s4
	v_mul_lo_u32 v5, v5, s6
	s_delay_alu instid0(VALU_DEP_1) | instskip(NEXT) | instid1(VALU_DEP_1)
	v_sub_nc_u32_e32 v4, v4, v5
	v_cmp_lt_u32_e32 vcc_lo, s3, v4
	v_cndmask_b32_e64 v4, 0, 1, vcc_lo
; %bb.19:
	s_or_b32 exec_lo, exec_lo, s0
	v_dual_mov_b32 v6, 0 :: v_dual_add_nc_u32 v5, 4, v36
	s_delay_alu instid0(VALU_DEP_1)
	v_cmp_gt_u32_e32 vcc_lo, s11, v5
	v_mov_b32_e32 v5, 0
	s_and_saveexec_b32 s0, vcc_lo
	;; [unrolled: 33-line block ×5, first 2 shown]
; %bb.32:
	v_add_nc_u32_e32 v11, s5, v20
	v_add_nc_u32_e32 v13, s7, v20
	s_delay_alu instid0(VALU_DEP_2) | instskip(NEXT) | instid1(VALU_DEP_2)
	v_mul_lo_u32 v11, v11, s4
	v_mul_lo_u32 v13, v13, s6
	s_delay_alu instid0(VALU_DEP_1) | instskip(NEXT) | instid1(VALU_DEP_1)
	v_sub_nc_u32_e32 v11, v11, v13
	v_cmp_lt_u32_e32 vcc_lo, s3, v11
	v_cndmask_b32_e64 v11, 0, 1, vcc_lo
; %bb.33:
	s_or_b32 exec_lo, exec_lo, s0
	v_add_nc_u32_e32 v13, 11, v36
	s_mov_b32 s0, exec_lo
	s_delay_alu instid0(VALU_DEP_1)
	v_cmpx_gt_u32_e64 s11, v13
; %bb.34:
	v_add_nc_u32_e32 v12, s5, v21
	v_add_nc_u32_e32 v13, s7, v21
	s_delay_alu instid0(VALU_DEP_2) | instskip(NEXT) | instid1(VALU_DEP_2)
	v_mul_lo_u32 v12, v12, s4
	v_mul_lo_u32 v13, v13, s6
	s_delay_alu instid0(VALU_DEP_1) | instskip(NEXT) | instid1(VALU_DEP_1)
	v_sub_nc_u32_e32 v12, v12, v13
	v_cmp_lt_u32_e32 vcc_lo, s3, v12
	v_cndmask_b32_e64 v12, 0, 1, vcc_lo
; %bb.35:
	s_or_b32 exec_lo, exec_lo, s0
	v_add_nc_u32_e32 v13, 12, v36
	v_mov_b32_e32 v37, 0
	s_mov_b32 s0, exec_lo
	s_delay_alu instid0(VALU_DEP_2)
	v_cmpx_gt_u32_e64 s11, v13
; %bb.36:
	v_add_nc_u32_e32 v13, s5, v35
	v_add_nc_u32_e32 v14, s7, v35
	s_delay_alu instid0(VALU_DEP_2) | instskip(NEXT) | instid1(VALU_DEP_2)
	v_mul_lo_u32 v13, v13, s4
	v_mul_lo_u32 v14, v14, s6
	s_delay_alu instid0(VALU_DEP_1) | instskip(NEXT) | instid1(VALU_DEP_1)
	v_sub_nc_u32_e32 v13, v13, v14
	v_cmp_lt_u32_e32 vcc_lo, s3, v13
	v_cndmask_b32_e64 v37, 0, 1, vcc_lo
; %bb.37:
	s_or_b32 exec_lo, exec_lo, s0
	v_lshlrev_b16 v2, 8, v2
	v_lshlrev_b16 v4, 8, v4
	;; [unrolled: 1-line block ×5, first 2 shown]
	v_or_b32_e32 v1, v1, v2
	v_lshlrev_b16 v2, 8, v12
	v_or_b32_e32 v3, v3, v4
	v_or_b32_e32 v4, v5, v6
	;; [unrolled: 1-line block ×5, first 2 shown]
	v_and_b32_e32 v1, 0xffff, v1
	v_lshlrev_b32_e32 v3, 16, v3
	v_and_b32_e32 v4, 0xffff, v4
	v_lshlrev_b32_e32 v5, 16, v5
	;; [unrolled: 2-line block ×3, first 2 shown]
	v_or_b32_e32 v42, v1, v3
	s_delay_alu instid0(VALU_DEP_4) | instskip(NEXT) | instid1(VALU_DEP_3)
	v_or_b32_e32 v40, v4, v5
	v_or_b32_e32 v38, v6, v2
.LBB2031_38:
	s_delay_alu instid0(VALU_DEP_3)
	v_and_b32_e32 v44, 0xff, v42
	v_bfe_u32 v45, v42, 8, 8
	v_bfe_u32 v46, v42, 16, 8
	v_lshrrev_b32_e32 v43, 24, v42
	v_and_b32_e32 v47, 0xff, v40
	v_bfe_u32 v48, v40, 8, 8
	v_bfe_u32 v49, v40, 16, 8
	v_add3_u32 v1, v45, v44, v46
	v_lshrrev_b32_e32 v41, 24, v40
	v_and_b32_e32 v50, 0xff, v38
	v_bfe_u32 v51, v38, 8, 8
	v_mbcnt_lo_u32_b32 v53, -1, 0
	v_add3_u32 v1, v1, v43, v47
	v_bfe_u32 v52, v38, 16, 8
	v_lshrrev_b32_e32 v39, 24, v38
	v_and_b32_e32 v2, 0xff, v37
	v_and_b32_e32 v3, 15, v53
	v_add3_u32 v1, v1, v48, v49
	v_or_b32_e32 v4, 31, v0
	v_and_b32_e32 v5, 16, v53
	v_lshrrev_b32_e32 v54, 5, v0
	v_cmp_eq_u32_e64 s6, 0, v3
	v_add3_u32 v1, v1, v41, v50
	v_cmp_lt_u32_e64 s5, 1, v3
	v_cmp_lt_u32_e64 s4, 3, v3
	;; [unrolled: 1-line block ×3, first 2 shown]
	v_cmp_eq_u32_e64 s1, 0, v5
	v_add3_u32 v1, v1, v51, v52
	v_cmp_eq_u32_e64 s0, v4, v0
	s_cmp_lg_u32 s20, 0
	s_mov_b32 s7, -1
	s_delay_alu instid0(VALU_DEP_2)
	v_add3_u32 v55, v1, v39, v2
	s_cbranch_scc0 .LBB2031_69
; %bb.39:
	s_delay_alu instid0(VALU_DEP_1) | instskip(NEXT) | instid1(VALU_DEP_1)
	v_mov_b32_dpp v1, v55 row_shr:1 row_mask:0xf bank_mask:0xf
	v_cndmask_b32_e64 v1, v1, 0, s6
	s_delay_alu instid0(VALU_DEP_1) | instskip(NEXT) | instid1(VALU_DEP_1)
	v_add_nc_u32_e32 v1, v1, v55
	v_mov_b32_dpp v2, v1 row_shr:2 row_mask:0xf bank_mask:0xf
	s_delay_alu instid0(VALU_DEP_1) | instskip(NEXT) | instid1(VALU_DEP_1)
	v_cndmask_b32_e64 v2, 0, v2, s5
	v_add_nc_u32_e32 v1, v1, v2
	s_delay_alu instid0(VALU_DEP_1) | instskip(NEXT) | instid1(VALU_DEP_1)
	v_mov_b32_dpp v2, v1 row_shr:4 row_mask:0xf bank_mask:0xf
	v_cndmask_b32_e64 v2, 0, v2, s4
	s_delay_alu instid0(VALU_DEP_1) | instskip(NEXT) | instid1(VALU_DEP_1)
	v_add_nc_u32_e32 v1, v1, v2
	v_mov_b32_dpp v2, v1 row_shr:8 row_mask:0xf bank_mask:0xf
	s_delay_alu instid0(VALU_DEP_1) | instskip(NEXT) | instid1(VALU_DEP_1)
	v_cndmask_b32_e64 v2, 0, v2, s3
	v_add_nc_u32_e32 v1, v1, v2
	ds_swizzle_b32 v2, v1 offset:swizzle(BROADCAST,32,15)
	s_waitcnt lgkmcnt(0)
	v_cndmask_b32_e64 v2, v2, 0, s1
	s_delay_alu instid0(VALU_DEP_1)
	v_add_nc_u32_e32 v1, v1, v2
	s_and_saveexec_b32 s7, s0
	s_cbranch_execz .LBB2031_41
; %bb.40:
	v_lshlrev_b32_e32 v2, 2, v54
	ds_store_b32 v2, v1
.LBB2031_41:
	s_or_b32 exec_lo, exec_lo, s7
	s_delay_alu instid0(SALU_CYCLE_1)
	s_mov_b32 s7, exec_lo
	s_waitcnt lgkmcnt(0)
	s_barrier
	buffer_gl0_inv
	v_cmpx_gt_u32_e32 8, v0
	s_cbranch_execz .LBB2031_43
; %bb.42:
	ds_load_b32 v2, v33
	s_waitcnt lgkmcnt(0)
	v_mov_b32_dpp v4, v2 row_shr:1 row_mask:0xf bank_mask:0xf
	v_and_b32_e32 v3, 7, v53
	s_delay_alu instid0(VALU_DEP_1) | instskip(NEXT) | instid1(VALU_DEP_3)
	v_cmp_ne_u32_e32 vcc_lo, 0, v3
	v_cndmask_b32_e32 v4, 0, v4, vcc_lo
	v_cmp_lt_u32_e32 vcc_lo, 1, v3
	s_delay_alu instid0(VALU_DEP_2) | instskip(NEXT) | instid1(VALU_DEP_1)
	v_add_nc_u32_e32 v2, v4, v2
	v_mov_b32_dpp v4, v2 row_shr:2 row_mask:0xf bank_mask:0xf
	s_delay_alu instid0(VALU_DEP_1) | instskip(SKIP_1) | instid1(VALU_DEP_2)
	v_cndmask_b32_e32 v4, 0, v4, vcc_lo
	v_cmp_lt_u32_e32 vcc_lo, 3, v3
	v_add_nc_u32_e32 v2, v2, v4
	s_delay_alu instid0(VALU_DEP_1) | instskip(NEXT) | instid1(VALU_DEP_1)
	v_mov_b32_dpp v4, v2 row_shr:4 row_mask:0xf bank_mask:0xf
	v_cndmask_b32_e32 v3, 0, v4, vcc_lo
	s_delay_alu instid0(VALU_DEP_1)
	v_add_nc_u32_e32 v2, v2, v3
	ds_store_b32 v33, v2
.LBB2031_43:
	s_or_b32 exec_lo, exec_lo, s7
	v_cmp_gt_u32_e32 vcc_lo, 32, v0
	s_mov_b32 s21, exec_lo
	s_waitcnt lgkmcnt(0)
	s_barrier
	buffer_gl0_inv
                                        ; implicit-def: $vgpr8
	v_cmpx_lt_u32_e32 31, v0
	s_cbranch_execz .LBB2031_45
; %bb.44:
	v_lshl_add_u32 v2, v54, 2, -4
	ds_load_b32 v8, v2
	s_waitcnt lgkmcnt(0)
	v_add_nc_u32_e32 v1, v8, v1
.LBB2031_45:
	s_or_b32 exec_lo, exec_lo, s21
	v_add_nc_u32_e32 v2, -1, v53
	s_delay_alu instid0(VALU_DEP_1) | instskip(NEXT) | instid1(VALU_DEP_1)
	v_cmp_gt_i32_e64 s7, 0, v2
	v_cndmask_b32_e64 v2, v2, v53, s7
	v_cmp_eq_u32_e64 s7, 0, v53
	s_delay_alu instid0(VALU_DEP_2)
	v_lshlrev_b32_e32 v2, 2, v2
	ds_bpermute_b32 v9, v2, v1
	s_and_saveexec_b32 s21, vcc_lo
	s_cbranch_execz .LBB2031_68
; %bb.46:
	v_mov_b32_e32 v4, 0
	ds_load_b32 v1, v4 offset:28
	s_and_saveexec_b32 s22, s7
	s_cbranch_execz .LBB2031_48
; %bb.47:
	s_add_i32 s24, s20, 32
	s_mov_b32 s25, 0
	v_mov_b32_e32 v2, 1
	s_lshl_b64 s[24:25], s[24:25], 3
	s_delay_alu instid0(SALU_CYCLE_1)
	s_add_u32 s24, s18, s24
	s_addc_u32 s25, s19, s25
	s_waitcnt lgkmcnt(0)
	global_store_b64 v4, v[1:2], s[24:25]
.LBB2031_48:
	s_or_b32 exec_lo, exec_lo, s22
	v_xad_u32 v2, v53, -1, s20
	s_mov_b32 s23, 0
	s_mov_b32 s22, exec_lo
	s_delay_alu instid0(VALU_DEP_1) | instskip(NEXT) | instid1(VALU_DEP_1)
	v_add_nc_u32_e32 v3, 32, v2
	v_lshlrev_b64 v[3:4], 3, v[3:4]
	s_delay_alu instid0(VALU_DEP_1) | instskip(NEXT) | instid1(VALU_DEP_2)
	v_add_co_u32 v6, vcc_lo, s18, v3
	v_add_co_ci_u32_e32 v7, vcc_lo, s19, v4, vcc_lo
	global_load_b64 v[4:5], v[6:7], off glc
	s_waitcnt vmcnt(0)
	v_and_b32_e32 v3, 0xff, v5
	s_delay_alu instid0(VALU_DEP_1)
	v_cmpx_eq_u16_e32 0, v3
	s_cbranch_execz .LBB2031_54
; %bb.49:
	s_mov_b32 s24, 1
	.p2align	6
.LBB2031_50:                            ; =>This Loop Header: Depth=1
                                        ;     Child Loop BB2031_51 Depth 2
	s_delay_alu instid0(SALU_CYCLE_1)
	s_max_u32 s25, s24, 1
.LBB2031_51:                            ;   Parent Loop BB2031_50 Depth=1
                                        ; =>  This Inner Loop Header: Depth=2
	s_delay_alu instid0(SALU_CYCLE_1)
	s_add_i32 s25, s25, -1
	s_sleep 1
	s_cmp_eq_u32 s25, 0
	s_cbranch_scc0 .LBB2031_51
; %bb.52:                               ;   in Loop: Header=BB2031_50 Depth=1
	global_load_b64 v[4:5], v[6:7], off glc
	s_cmp_lt_u32 s24, 32
	s_cselect_b32 s25, -1, 0
	s_delay_alu instid0(SALU_CYCLE_1) | instskip(SKIP_3) | instid1(VALU_DEP_1)
	s_cmp_lg_u32 s25, 0
	s_addc_u32 s24, s24, 0
	s_waitcnt vmcnt(0)
	v_and_b32_e32 v3, 0xff, v5
	v_cmp_ne_u16_e32 vcc_lo, 0, v3
	s_or_b32 s23, vcc_lo, s23
	s_delay_alu instid0(SALU_CYCLE_1)
	s_and_not1_b32 exec_lo, exec_lo, s23
	s_cbranch_execnz .LBB2031_50
; %bb.53:
	s_or_b32 exec_lo, exec_lo, s23
.LBB2031_54:
	s_delay_alu instid0(SALU_CYCLE_1)
	s_or_b32 exec_lo, exec_lo, s22
	v_cmp_ne_u32_e32 vcc_lo, 31, v53
	v_lshlrev_b32_e64 v11, v53, -1
	v_add_nc_u32_e32 v13, 2, v53
	v_add_nc_u32_e32 v15, 4, v53
	;; [unrolled: 1-line block ×3, first 2 shown]
	v_add_co_ci_u32_e32 v3, vcc_lo, 0, v53, vcc_lo
	v_add_nc_u32_e32 v58, 16, v53
	s_delay_alu instid0(VALU_DEP_2) | instskip(SKIP_2) | instid1(VALU_DEP_1)
	v_lshlrev_b32_e32 v10, 2, v3
	ds_bpermute_b32 v6, v10, v4
	v_and_b32_e32 v3, 0xff, v5
	v_cmp_eq_u16_e32 vcc_lo, 2, v3
	v_and_or_b32 v3, vcc_lo, v11, 0x80000000
	v_cmp_gt_u32_e32 vcc_lo, 30, v53
	s_delay_alu instid0(VALU_DEP_2) | instskip(SKIP_1) | instid1(VALU_DEP_2)
	v_ctz_i32_b32_e32 v3, v3
	v_cndmask_b32_e64 v7, 0, 1, vcc_lo
	v_cmp_lt_u32_e32 vcc_lo, v53, v3
	s_waitcnt lgkmcnt(0)
	s_delay_alu instid0(VALU_DEP_2) | instskip(NEXT) | instid1(VALU_DEP_1)
	v_dual_cndmask_b32 v6, 0, v6 :: v_dual_lshlrev_b32 v7, 1, v7
	v_add_lshl_u32 v12, v7, v53, 2
	v_cmp_gt_u32_e32 vcc_lo, 28, v53
	s_delay_alu instid0(VALU_DEP_3) | instskip(SKIP_4) | instid1(VALU_DEP_1)
	v_add_nc_u32_e32 v4, v6, v4
	v_cndmask_b32_e64 v7, 0, 1, vcc_lo
	v_cmp_le_u32_e32 vcc_lo, v13, v3
	ds_bpermute_b32 v6, v12, v4
	v_lshlrev_b32_e32 v7, 2, v7
	v_add_lshl_u32 v14, v7, v53, 2
	s_waitcnt lgkmcnt(0)
	v_cndmask_b32_e32 v6, 0, v6, vcc_lo
	v_cmp_gt_u32_e32 vcc_lo, 24, v53
	s_delay_alu instid0(VALU_DEP_2) | instskip(SKIP_4) | instid1(VALU_DEP_1)
	v_add_nc_u32_e32 v4, v4, v6
	v_cndmask_b32_e64 v7, 0, 1, vcc_lo
	v_cmp_le_u32_e32 vcc_lo, v15, v3
	ds_bpermute_b32 v6, v14, v4
	v_lshlrev_b32_e32 v7, 3, v7
	v_add_lshl_u32 v17, v7, v53, 2
	s_waitcnt lgkmcnt(0)
	v_cndmask_b32_e32 v6, 0, v6, vcc_lo
	v_cmp_gt_u32_e32 vcc_lo, 16, v53
	s_delay_alu instid0(VALU_DEP_2) | instskip(SKIP_4) | instid1(VALU_DEP_1)
	v_add_nc_u32_e32 v4, v4, v6
	v_cndmask_b32_e64 v7, 0, 1, vcc_lo
	v_cmp_le_u32_e32 vcc_lo, v56, v3
	ds_bpermute_b32 v6, v17, v4
	v_lshlrev_b32_e32 v7, 4, v7
	v_add_lshl_u32 v57, v7, v53, 2
	s_waitcnt lgkmcnt(0)
	v_cndmask_b32_e32 v6, 0, v6, vcc_lo
	v_cmp_le_u32_e32 vcc_lo, v58, v3
	s_delay_alu instid0(VALU_DEP_2) | instskip(SKIP_3) | instid1(VALU_DEP_1)
	v_add_nc_u32_e32 v4, v4, v6
	ds_bpermute_b32 v6, v57, v4
	s_waitcnt lgkmcnt(0)
	v_cndmask_b32_e32 v3, 0, v6, vcc_lo
	v_dual_mov_b32 v3, 0 :: v_dual_add_nc_u32 v4, v4, v3
	s_branch .LBB2031_56
.LBB2031_55:                            ;   in Loop: Header=BB2031_56 Depth=1
	s_or_b32 exec_lo, exec_lo, s22
	ds_bpermute_b32 v7, v10, v4
	v_and_b32_e32 v6, 0xff, v5
	v_subrev_nc_u32_e32 v2, 32, v2
	s_delay_alu instid0(VALU_DEP_2) | instskip(SKIP_1) | instid1(VALU_DEP_1)
	v_cmp_eq_u16_e32 vcc_lo, 2, v6
	v_and_or_b32 v6, vcc_lo, v11, 0x80000000
	v_ctz_i32_b32_e32 v6, v6
	s_delay_alu instid0(VALU_DEP_1) | instskip(SKIP_3) | instid1(VALU_DEP_2)
	v_cmp_lt_u32_e32 vcc_lo, v53, v6
	s_waitcnt lgkmcnt(0)
	v_cndmask_b32_e32 v7, 0, v7, vcc_lo
	v_cmp_le_u32_e32 vcc_lo, v13, v6
	v_add_nc_u32_e32 v4, v7, v4
	ds_bpermute_b32 v7, v12, v4
	s_waitcnt lgkmcnt(0)
	v_cndmask_b32_e32 v7, 0, v7, vcc_lo
	v_cmp_le_u32_e32 vcc_lo, v15, v6
	s_delay_alu instid0(VALU_DEP_2) | instskip(SKIP_4) | instid1(VALU_DEP_2)
	v_add_nc_u32_e32 v4, v4, v7
	ds_bpermute_b32 v7, v14, v4
	s_waitcnt lgkmcnt(0)
	v_cndmask_b32_e32 v7, 0, v7, vcc_lo
	v_cmp_le_u32_e32 vcc_lo, v56, v6
	v_add_nc_u32_e32 v4, v4, v7
	ds_bpermute_b32 v7, v17, v4
	s_waitcnt lgkmcnt(0)
	v_cndmask_b32_e32 v7, 0, v7, vcc_lo
	v_cmp_le_u32_e32 vcc_lo, v58, v6
	s_delay_alu instid0(VALU_DEP_2) | instskip(SKIP_3) | instid1(VALU_DEP_1)
	v_add_nc_u32_e32 v4, v4, v7
	ds_bpermute_b32 v7, v57, v4
	s_waitcnt lgkmcnt(0)
	v_cndmask_b32_e32 v6, 0, v7, vcc_lo
	v_add3_u32 v4, v6, v16, v4
.LBB2031_56:                            ; =>This Loop Header: Depth=1
                                        ;     Child Loop BB2031_59 Depth 2
                                        ;       Child Loop BB2031_60 Depth 3
	s_delay_alu instid0(VALU_DEP_1) | instskip(NEXT) | instid1(VALU_DEP_1)
	v_dual_mov_b32 v16, v4 :: v_dual_and_b32 v5, 0xff, v5
	v_cmp_ne_u16_e32 vcc_lo, 2, v5
	v_cndmask_b32_e64 v5, 0, 1, vcc_lo
	;;#ASMSTART
	;;#ASMEND
	s_delay_alu instid0(VALU_DEP_1)
	v_cmp_ne_u32_e32 vcc_lo, 0, v5
	s_cmp_lg_u32 vcc_lo, exec_lo
	s_cbranch_scc1 .LBB2031_63
; %bb.57:                               ;   in Loop: Header=BB2031_56 Depth=1
	v_lshlrev_b64 v[4:5], 3, v[2:3]
	s_mov_b32 s22, exec_lo
	s_delay_alu instid0(VALU_DEP_1) | instskip(NEXT) | instid1(VALU_DEP_2)
	v_add_co_u32 v6, vcc_lo, s18, v4
	v_add_co_ci_u32_e32 v7, vcc_lo, s19, v5, vcc_lo
	global_load_b64 v[4:5], v[6:7], off glc
	s_waitcnt vmcnt(0)
	v_and_b32_e32 v59, 0xff, v5
	s_delay_alu instid0(VALU_DEP_1)
	v_cmpx_eq_u16_e32 0, v59
	s_cbranch_execz .LBB2031_55
; %bb.58:                               ;   in Loop: Header=BB2031_56 Depth=1
	s_mov_b32 s24, 1
	s_mov_b32 s23, 0
	.p2align	6
.LBB2031_59:                            ;   Parent Loop BB2031_56 Depth=1
                                        ; =>  This Loop Header: Depth=2
                                        ;       Child Loop BB2031_60 Depth 3
	s_max_u32 s25, s24, 1
.LBB2031_60:                            ;   Parent Loop BB2031_56 Depth=1
                                        ;     Parent Loop BB2031_59 Depth=2
                                        ; =>    This Inner Loop Header: Depth=3
	s_delay_alu instid0(SALU_CYCLE_1)
	s_add_i32 s25, s25, -1
	s_sleep 1
	s_cmp_eq_u32 s25, 0
	s_cbranch_scc0 .LBB2031_60
; %bb.61:                               ;   in Loop: Header=BB2031_59 Depth=2
	global_load_b64 v[4:5], v[6:7], off glc
	s_cmp_lt_u32 s24, 32
	s_cselect_b32 s25, -1, 0
	s_delay_alu instid0(SALU_CYCLE_1) | instskip(SKIP_3) | instid1(VALU_DEP_1)
	s_cmp_lg_u32 s25, 0
	s_addc_u32 s24, s24, 0
	s_waitcnt vmcnt(0)
	v_and_b32_e32 v59, 0xff, v5
	v_cmp_ne_u16_e32 vcc_lo, 0, v59
	s_or_b32 s23, vcc_lo, s23
	s_delay_alu instid0(SALU_CYCLE_1)
	s_and_not1_b32 exec_lo, exec_lo, s23
	s_cbranch_execnz .LBB2031_59
; %bb.62:                               ;   in Loop: Header=BB2031_56 Depth=1
	s_or_b32 exec_lo, exec_lo, s23
	s_branch .LBB2031_55
.LBB2031_63:                            ;   in Loop: Header=BB2031_56 Depth=1
                                        ; implicit-def: $vgpr4
                                        ; implicit-def: $vgpr5
	s_cbranch_execz .LBB2031_56
; %bb.64:
	s_and_saveexec_b32 s22, s7
	s_cbranch_execz .LBB2031_66
; %bb.65:
	s_add_i32 s24, s20, 32
	s_mov_b32 s25, 0
	v_dual_mov_b32 v3, 2 :: v_dual_add_nc_u32 v2, v16, v1
	s_lshl_b64 s[24:25], s[24:25], 3
	v_mov_b32_e32 v4, 0
	v_add_nc_u32_e64 v5, 0x3400, 0
	s_add_u32 s24, s18, s24
	s_addc_u32 s25, s19, s25
	global_store_b64 v4, v[2:3], s[24:25]
	ds_store_2addr_b32 v5, v1, v16 offset1:2
.LBB2031_66:
	s_or_b32 exec_lo, exec_lo, s22
	s_delay_alu instid0(SALU_CYCLE_1)
	s_and_b32 exec_lo, exec_lo, s2
	s_cbranch_execz .LBB2031_68
; %bb.67:
	v_mov_b32_e32 v1, 0
	ds_store_b32 v1, v16 offset:28
.LBB2031_68:
	s_or_b32 exec_lo, exec_lo, s21
	v_mov_b32_e32 v1, 0
	s_waitcnt lgkmcnt(0)
	s_waitcnt_vscnt null, 0x0
	s_barrier
	buffer_gl0_inv
	v_cndmask_b32_e64 v2, v9, v8, s7
	ds_load_b32 v1, v1 offset:28
	v_add_nc_u32_e64 v11, 0x3400, 0
	s_waitcnt lgkmcnt(0)
	s_barrier
	v_cndmask_b32_e64 v2, v2, 0, s2
	buffer_gl0_inv
	ds_load_2addr_b32 v[16:17], v11 offset1:2
	v_add_nc_u32_e32 v1, v1, v2
	s_delay_alu instid0(VALU_DEP_1) | instskip(NEXT) | instid1(VALU_DEP_1)
	v_add_nc_u32_e32 v2, v1, v44
	v_add_nc_u32_e32 v3, v2, v45
	s_delay_alu instid0(VALU_DEP_1) | instskip(NEXT) | instid1(VALU_DEP_1)
	v_add_nc_u32_e32 v4, v3, v46
	;; [unrolled: 3-line block ×6, first 2 shown]
	v_add_nc_u32_e32 v13, v12, v39
	s_branch .LBB2031_79
.LBB2031_69:
                                        ; implicit-def: $vgpr17
                                        ; implicit-def: $vgpr1_vgpr2_vgpr3_vgpr4_vgpr5_vgpr6_vgpr7_vgpr8_vgpr9_vgpr10_vgpr11_vgpr12_vgpr13_vgpr14_vgpr15_vgpr16
	s_and_b32 vcc_lo, exec_lo, s7
	s_cbranch_vccz .LBB2031_79
; %bb.70:
	s_delay_alu instid0(VALU_DEP_1) | instskip(NEXT) | instid1(VALU_DEP_1)
	v_mov_b32_dpp v1, v55 row_shr:1 row_mask:0xf bank_mask:0xf
	v_cndmask_b32_e64 v1, v1, 0, s6
	s_delay_alu instid0(VALU_DEP_1) | instskip(NEXT) | instid1(VALU_DEP_1)
	v_add_nc_u32_e32 v1, v1, v55
	v_mov_b32_dpp v2, v1 row_shr:2 row_mask:0xf bank_mask:0xf
	s_delay_alu instid0(VALU_DEP_1) | instskip(NEXT) | instid1(VALU_DEP_1)
	v_cndmask_b32_e64 v2, 0, v2, s5
	v_add_nc_u32_e32 v1, v1, v2
	s_delay_alu instid0(VALU_DEP_1) | instskip(NEXT) | instid1(VALU_DEP_1)
	v_mov_b32_dpp v2, v1 row_shr:4 row_mask:0xf bank_mask:0xf
	v_cndmask_b32_e64 v2, 0, v2, s4
	s_delay_alu instid0(VALU_DEP_1) | instskip(NEXT) | instid1(VALU_DEP_1)
	v_add_nc_u32_e32 v1, v1, v2
	v_mov_b32_dpp v2, v1 row_shr:8 row_mask:0xf bank_mask:0xf
	s_delay_alu instid0(VALU_DEP_1) | instskip(NEXT) | instid1(VALU_DEP_1)
	v_cndmask_b32_e64 v2, 0, v2, s3
	v_add_nc_u32_e32 v1, v1, v2
	ds_swizzle_b32 v2, v1 offset:swizzle(BROADCAST,32,15)
	s_waitcnt lgkmcnt(0)
	v_cndmask_b32_e64 v2, v2, 0, s1
	s_delay_alu instid0(VALU_DEP_1)
	v_add_nc_u32_e32 v1, v1, v2
	s_and_saveexec_b32 s1, s0
	s_cbranch_execz .LBB2031_72
; %bb.71:
	v_lshlrev_b32_e32 v2, 2, v54
	ds_store_b32 v2, v1
.LBB2031_72:
	s_or_b32 exec_lo, exec_lo, s1
	s_delay_alu instid0(SALU_CYCLE_1)
	s_mov_b32 s0, exec_lo
	s_waitcnt lgkmcnt(0)
	s_barrier
	buffer_gl0_inv
	v_cmpx_gt_u32_e32 8, v0
	s_cbranch_execz .LBB2031_74
; %bb.73:
	ds_load_b32 v2, v33
	s_waitcnt lgkmcnt(0)
	v_mov_b32_dpp v4, v2 row_shr:1 row_mask:0xf bank_mask:0xf
	v_and_b32_e32 v3, 7, v53
	s_delay_alu instid0(VALU_DEP_1) | instskip(NEXT) | instid1(VALU_DEP_3)
	v_cmp_ne_u32_e32 vcc_lo, 0, v3
	v_cndmask_b32_e32 v4, 0, v4, vcc_lo
	v_cmp_lt_u32_e32 vcc_lo, 1, v3
	s_delay_alu instid0(VALU_DEP_2) | instskip(NEXT) | instid1(VALU_DEP_1)
	v_add_nc_u32_e32 v2, v4, v2
	v_mov_b32_dpp v4, v2 row_shr:2 row_mask:0xf bank_mask:0xf
	s_delay_alu instid0(VALU_DEP_1) | instskip(SKIP_1) | instid1(VALU_DEP_2)
	v_cndmask_b32_e32 v4, 0, v4, vcc_lo
	v_cmp_lt_u32_e32 vcc_lo, 3, v3
	v_add_nc_u32_e32 v2, v2, v4
	s_delay_alu instid0(VALU_DEP_1) | instskip(NEXT) | instid1(VALU_DEP_1)
	v_mov_b32_dpp v4, v2 row_shr:4 row_mask:0xf bank_mask:0xf
	v_cndmask_b32_e32 v3, 0, v4, vcc_lo
	s_delay_alu instid0(VALU_DEP_1)
	v_add_nc_u32_e32 v2, v2, v3
	ds_store_b32 v33, v2
.LBB2031_74:
	s_or_b32 exec_lo, exec_lo, s0
	v_dual_mov_b32 v3, 0 :: v_dual_mov_b32 v2, 0
	s_mov_b32 s0, exec_lo
	s_waitcnt lgkmcnt(0)
	s_barrier
	buffer_gl0_inv
	v_cmpx_lt_u32_e32 31, v0
	s_cbranch_execz .LBB2031_76
; %bb.75:
	v_lshl_add_u32 v2, v54, 2, -4
	ds_load_b32 v2, v2
.LBB2031_76:
	s_or_b32 exec_lo, exec_lo, s0
	v_add_nc_u32_e32 v4, -1, v53
	s_waitcnt lgkmcnt(0)
	v_add_nc_u32_e32 v1, v2, v1
	ds_load_b32 v16, v3 offset:28
	v_cmp_gt_i32_e32 vcc_lo, 0, v4
	v_cndmask_b32_e32 v4, v4, v53, vcc_lo
	s_delay_alu instid0(VALU_DEP_1)
	v_lshlrev_b32_e32 v4, 2, v4
	ds_bpermute_b32 v1, v4, v1
	s_and_saveexec_b32 s0, s2
	s_cbranch_execz .LBB2031_78
; %bb.77:
	v_mov_b32_e32 v3, 0
	v_mov_b32_e32 v17, 2
	s_waitcnt lgkmcnt(1)
	global_store_b64 v3, v[16:17], s[18:19] offset:256
.LBB2031_78:
	s_or_b32 exec_lo, exec_lo, s0
	v_cmp_eq_u32_e32 vcc_lo, 0, v53
	s_waitcnt lgkmcnt(0)
	s_waitcnt_vscnt null, 0x0
	s_barrier
	buffer_gl0_inv
	v_mov_b32_e32 v17, 0
	v_cndmask_b32_e32 v1, v1, v2, vcc_lo
	s_delay_alu instid0(VALU_DEP_1) | instskip(NEXT) | instid1(VALU_DEP_1)
	v_cndmask_b32_e64 v1, v1, 0, s2
	v_add_nc_u32_e32 v2, v1, v44
	s_delay_alu instid0(VALU_DEP_1) | instskip(NEXT) | instid1(VALU_DEP_1)
	v_add_nc_u32_e32 v3, v2, v45
	v_add_nc_u32_e32 v4, v3, v46
	s_delay_alu instid0(VALU_DEP_1) | instskip(NEXT) | instid1(VALU_DEP_1)
	v_add_nc_u32_e32 v5, v4, v43
	;; [unrolled: 3-line block ×5, first 2 shown]
	v_add_nc_u32_e32 v12, v11, v52
	s_delay_alu instid0(VALU_DEP_1)
	v_add_nc_u32_e32 v13, v12, v39
.LBB2031_79:
	s_waitcnt lgkmcnt(0)
	v_sub_nc_u32_e32 v1, v1, v17
	v_sub_nc_u32_e32 v2, v2, v17
	v_add_nc_u32_e32 v36, v16, v36
	v_lshrrev_b32_e32 v47, 8, v42
	v_lshrrev_b32_e32 v46, 16, v42
	v_sub_nc_u32_e32 v4, v4, v17
	v_sub_nc_u32_e32 v3, v3, v17
	;; [unrolled: 1-line block ×3, first 2 shown]
	v_and_b32_e32 v42, 1, v42
	v_and_b32_e32 v47, 1, v47
	;; [unrolled: 1-line block ×3, first 2 shown]
	v_lshrrev_b32_e32 v45, 8, v40
	v_lshrrev_b32_e32 v44, 16, v40
	v_cmp_eq_u32_e32 vcc_lo, 1, v42
	v_and_b32_e32 v42, 1, v46
	v_sub_nc_u32_e32 v46, v36, v2
	v_lshrrev_b32_e32 v15, 8, v38
	v_lshrrev_b32_e32 v14, 16, v38
	v_cndmask_b32_e32 v1, v48, v1, vcc_lo
	v_cmp_eq_u32_e32 vcc_lo, 1, v47
	v_add_nc_u32_e32 v46, 1, v46
	s_delay_alu instid0(VALU_DEP_3)
	v_lshlrev_b32_e32 v1, 2, v1
	ds_store_b32 v1, v30
	v_cndmask_b32_e32 v1, v46, v2, vcc_lo
	v_sub_nc_u32_e32 v48, v36, v3
	v_sub_nc_u32_e32 v49, v36, v4
	v_cmp_eq_u32_e32 vcc_lo, 1, v42
	v_or_b32_e32 v30, 0x300, v0
	v_lshlrev_b32_e32 v1, 2, v1
	v_add_nc_u32_e32 v48, 2, v48
	v_add_nc_u32_e32 v49, 3, v49
	ds_store_b32 v1, v31
	v_cndmask_b32_e32 v2, v48, v3, vcc_lo
	v_cmp_eq_u32_e32 vcc_lo, 1, v43
	v_or_b32_e32 v31, 0x200, v0
	s_delay_alu instid0(VALU_DEP_3) | instskip(SKIP_2) | instid1(VALU_DEP_3)
	v_dual_cndmask_b32 v3, v49, v4 :: v_dual_lshlrev_b32 v2, 2, v2
	v_sub_nc_u32_e32 v4, v5, v17
	v_sub_nc_u32_e32 v5, v6, v17
	v_lshlrev_b32_e32 v3, 2, v3
	s_delay_alu instid0(VALU_DEP_3) | instskip(NEXT) | instid1(VALU_DEP_3)
	v_sub_nc_u32_e32 v1, v36, v4
	v_sub_nc_u32_e32 v6, v36, v5
	ds_store_b32 v2, v28
	ds_store_b32 v3, v29
	v_and_b32_e32 v2, 1, v40
	v_add_nc_u32_e32 v1, 4, v1
	v_add_nc_u32_e32 v3, 5, v6
	v_sub_nc_u32_e32 v6, v7, v17
	v_and_b32_e32 v7, 1, v45
	v_cmp_eq_u32_e32 vcc_lo, 1, v2
	v_sub_nc_u32_e32 v2, v8, v17
	v_and_b32_e32 v8, 1, v41
	v_or_b32_e32 v29, 0x400, v0
	v_or_b32_e32 v28, 0x500, v0
	v_cndmask_b32_e32 v1, v1, v4, vcc_lo
	v_sub_nc_u32_e32 v4, v36, v6
	v_cmp_eq_u32_e32 vcc_lo, 1, v7
	v_and_b32_e32 v7, 1, v44
	s_delay_alu instid0(VALU_DEP_4) | instskip(NEXT) | instid1(VALU_DEP_4)
	v_lshlrev_b32_e32 v1, 2, v1
	v_dual_cndmask_b32 v3, v3, v5 :: v_dual_add_nc_u32 v4, 6, v4
	v_sub_nc_u32_e32 v5, v36, v2
	s_delay_alu instid0(VALU_DEP_4) | instskip(SKIP_2) | instid1(VALU_DEP_4)
	v_cmp_eq_u32_e32 vcc_lo, 1, v7
	v_sub_nc_u32_e32 v7, v13, v17
	v_add_co_u32 v13, s0, s16, v32
	v_dual_cndmask_b32 v4, v4, v6 :: v_dual_add_nc_u32 v5, 7, v5
	v_cmp_eq_u32_e32 vcc_lo, 1, v8
	v_sub_nc_u32_e32 v6, v9, v17
	v_lshlrev_b32_e32 v3, 2, v3
	ds_store_b32 v1, v26
	ds_store_b32 v3, v27
	v_cndmask_b32_e32 v2, v5, v2, vcc_lo
	v_sub_nc_u32_e32 v1, v36, v6
	v_lshlrev_b32_e32 v3, 2, v4
	v_and_b32_e32 v5, 1, v38
	v_sub_nc_u32_e32 v4, v10, v17
	v_lshlrev_b32_e32 v2, 2, v2
	v_add_nc_u32_e32 v1, 8, v1
	ds_store_b32 v3, v24
	ds_store_b32 v2, v25
	v_cmp_eq_u32_e32 vcc_lo, 1, v5
	v_sub_nc_u32_e32 v3, v11, v17
	v_sub_nc_u32_e32 v2, v36, v4
	;; [unrolled: 1-line block ×3, first 2 shown]
	v_dual_cndmask_b32 v1, v1, v6 :: v_dual_and_b32 v10, 1, v39
	v_and_b32_e32 v6, 1, v15
	v_sub_nc_u32_e32 v8, v36, v3
	v_add_nc_u32_e32 v2, 9, v2
	v_sub_nc_u32_e32 v9, v36, v5
	v_and_b32_e32 v11, 1, v37
	v_cmp_eq_u32_e32 vcc_lo, 1, v6
	v_add_nc_u32_e32 v6, 10, v8
	v_and_b32_e32 v8, 1, v14
	v_add_nc_u32_e32 v9, 11, v9
	v_dual_cndmask_b32 v2, v2, v4 :: v_dual_lshlrev_b32 v1, 2, v1
	v_sub_nc_u32_e32 v4, v36, v7
	s_delay_alu instid0(VALU_DEP_4) | instskip(SKIP_1) | instid1(VALU_DEP_4)
	v_cmp_eq_u32_e32 vcc_lo, 1, v8
	v_add_co_ci_u32_e64 v14, null, s17, 0, s0
	v_lshlrev_b32_e32 v2, 2, v2
	s_delay_alu instid0(VALU_DEP_4)
	v_dual_cndmask_b32 v3, v6, v3 :: v_dual_add_nc_u32 v4, 12, v4
	v_cmp_eq_u32_e32 vcc_lo, 1, v10
	v_or_b32_e32 v27, 0x600, v0
	v_or_b32_e32 v26, 0x700, v0
	;; [unrolled: 1-line block ×3, first 2 shown]
	v_lshlrev_b32_e32 v3, 2, v3
	v_cndmask_b32_e32 v5, v9, v5, vcc_lo
	v_cmp_eq_u32_e32 vcc_lo, 1, v11
	v_or_b32_e32 v24, 0x900, v0
	s_delay_alu instid0(VALU_DEP_3) | instskip(SKIP_2) | instid1(VALU_DEP_3)
	v_dual_cndmask_b32 v4, v4, v7 :: v_dual_lshlrev_b32 v5, 2, v5
	v_sub_co_u32 v13, vcc_lo, s14, v13
	v_sub_co_ci_u32_e32 v14, vcc_lo, s15, v14, vcc_lo
	v_lshlrev_b32_e32 v4, 2, v4
	ds_store_b32 v1, v22
	ds_store_b32 v2, v23
	;; [unrolled: 1-line block ×5, first 2 shown]
	s_waitcnt lgkmcnt(0)
	s_barrier
	buffer_gl0_inv
	ds_load_2addr_stride64_b32 v[11:12], v33 offset1:4
	ds_load_2addr_stride64_b32 v[9:10], v33 offset0:8 offset1:12
	ds_load_2addr_stride64_b32 v[7:8], v33 offset0:16 offset1:20
	;; [unrolled: 1-line block ×5, first 2 shown]
	ds_load_b32 v20, v33 offset:12288
	v_add_co_u32 v15, vcc_lo, v18, v17
	v_add_co_ci_u32_e32 v17, vcc_lo, 0, v19, vcc_lo
	v_add_co_u32 v13, vcc_lo, v13, v16
	v_add_co_ci_u32_e32 v14, vcc_lo, 0, v14, vcc_lo
	v_cmp_ne_u32_e32 vcc_lo, 1, v34
	s_delay_alu instid0(VALU_DEP_3)
	v_add_co_u32 v18, s0, v13, v15
	v_or_b32_e32 v35, 0x100, v0
	v_or_b32_e32 v23, 0xa00, v0
	;; [unrolled: 1-line block ×4, first 2 shown]
	v_add_co_ci_u32_e64 v19, s0, v14, v17, s0
	s_mov_b32 s0, 0
	s_cbranch_vccnz .LBB2031_136
; %bb.80:
	s_mov_b32 s0, exec_lo
                                        ; implicit-def: $vgpr13_vgpr14
	v_cmpx_ge_u32_e64 v0, v16
	s_xor_b32 s0, exec_lo, s0
; %bb.81:
	v_not_b32_e32 v13, v0
	s_delay_alu instid0(VALU_DEP_1) | instskip(SKIP_1) | instid1(VALU_DEP_2)
	v_ashrrev_i32_e32 v14, 31, v13
	v_add_co_u32 v13, vcc_lo, v18, v13
	v_add_co_ci_u32_e32 v14, vcc_lo, v19, v14, vcc_lo
; %bb.82:
	s_and_not1_saveexec_b32 s0, s0
; %bb.83:
	v_add_co_u32 v13, vcc_lo, v15, v0
	v_add_co_ci_u32_e32 v14, vcc_lo, 0, v17, vcc_lo
; %bb.84:
	s_or_b32 exec_lo, exec_lo, s0
	s_delay_alu instid0(VALU_DEP_1) | instskip(SKIP_1) | instid1(VALU_DEP_1)
	v_lshlrev_b64 v[13:14], 2, v[13:14]
	s_mov_b32 s0, exec_lo
	v_add_co_u32 v13, vcc_lo, s12, v13
	s_delay_alu instid0(VALU_DEP_2)
	v_add_co_ci_u32_e32 v14, vcc_lo, s13, v14, vcc_lo
	s_waitcnt lgkmcnt(6)
	global_store_b32 v[13:14], v11, off
                                        ; implicit-def: $vgpr13_vgpr14
	v_cmpx_ge_u32_e64 v35, v16
	s_xor_b32 s0, exec_lo, s0
; %bb.85:
	v_xor_b32_e32 v13, 0xfffffeff, v0
	s_delay_alu instid0(VALU_DEP_1) | instskip(SKIP_1) | instid1(VALU_DEP_2)
	v_ashrrev_i32_e32 v14, 31, v13
	v_add_co_u32 v13, vcc_lo, v18, v13
	v_add_co_ci_u32_e32 v14, vcc_lo, v19, v14, vcc_lo
; %bb.86:
	s_and_not1_saveexec_b32 s0, s0
; %bb.87:
	v_add_co_u32 v13, vcc_lo, v15, v35
	v_add_co_ci_u32_e32 v14, vcc_lo, 0, v17, vcc_lo
; %bb.88:
	s_or_b32 exec_lo, exec_lo, s0
	s_delay_alu instid0(VALU_DEP_1) | instskip(SKIP_1) | instid1(VALU_DEP_1)
	v_lshlrev_b64 v[13:14], 2, v[13:14]
	s_mov_b32 s0, exec_lo
	v_add_co_u32 v13, vcc_lo, s12, v13
	s_delay_alu instid0(VALU_DEP_2)
	v_add_co_ci_u32_e32 v14, vcc_lo, s13, v14, vcc_lo
	global_store_b32 v[13:14], v12, off
                                        ; implicit-def: $vgpr13_vgpr14
	v_cmpx_ge_u32_e64 v31, v16
	s_xor_b32 s0, exec_lo, s0
; %bb.89:
	v_xor_b32_e32 v13, 0xfffffdff, v0
	s_delay_alu instid0(VALU_DEP_1) | instskip(SKIP_1) | instid1(VALU_DEP_2)
	v_ashrrev_i32_e32 v14, 31, v13
	v_add_co_u32 v13, vcc_lo, v18, v13
	v_add_co_ci_u32_e32 v14, vcc_lo, v19, v14, vcc_lo
; %bb.90:
	s_and_not1_saveexec_b32 s0, s0
; %bb.91:
	v_add_co_u32 v13, vcc_lo, v15, v31
	v_add_co_ci_u32_e32 v14, vcc_lo, 0, v17, vcc_lo
; %bb.92:
	s_or_b32 exec_lo, exec_lo, s0
	s_delay_alu instid0(VALU_DEP_1) | instskip(SKIP_1) | instid1(VALU_DEP_1)
	v_lshlrev_b64 v[13:14], 2, v[13:14]
	s_mov_b32 s0, exec_lo
	v_add_co_u32 v13, vcc_lo, s12, v13
	s_delay_alu instid0(VALU_DEP_2)
	v_add_co_ci_u32_e32 v14, vcc_lo, s13, v14, vcc_lo
	s_waitcnt lgkmcnt(5)
	global_store_b32 v[13:14], v9, off
                                        ; implicit-def: $vgpr13_vgpr14
	v_cmpx_ge_u32_e64 v30, v16
	s_xor_b32 s0, exec_lo, s0
; %bb.93:
	v_xor_b32_e32 v13, 0xfffffcff, v0
	s_delay_alu instid0(VALU_DEP_1) | instskip(SKIP_1) | instid1(VALU_DEP_2)
	v_ashrrev_i32_e32 v14, 31, v13
	v_add_co_u32 v13, vcc_lo, v18, v13
	v_add_co_ci_u32_e32 v14, vcc_lo, v19, v14, vcc_lo
; %bb.94:
	s_and_not1_saveexec_b32 s0, s0
; %bb.95:
	v_add_co_u32 v13, vcc_lo, v15, v30
	v_add_co_ci_u32_e32 v14, vcc_lo, 0, v17, vcc_lo
; %bb.96:
	s_or_b32 exec_lo, exec_lo, s0
	s_delay_alu instid0(VALU_DEP_1) | instskip(SKIP_1) | instid1(VALU_DEP_1)
	v_lshlrev_b64 v[13:14], 2, v[13:14]
	s_mov_b32 s0, exec_lo
	v_add_co_u32 v13, vcc_lo, s12, v13
	s_delay_alu instid0(VALU_DEP_2)
	v_add_co_ci_u32_e32 v14, vcc_lo, s13, v14, vcc_lo
	global_store_b32 v[13:14], v10, off
                                        ; implicit-def: $vgpr13_vgpr14
	v_cmpx_ge_u32_e64 v29, v16
	s_xor_b32 s0, exec_lo, s0
; %bb.97:
	v_xor_b32_e32 v13, 0xfffffbff, v0
	;; [unrolled: 47-line block ×6, first 2 shown]
	s_delay_alu instid0(VALU_DEP_1) | instskip(SKIP_1) | instid1(VALU_DEP_2)
	v_ashrrev_i32_e32 v14, 31, v13
	v_add_co_u32 v13, vcc_lo, v18, v13
	v_add_co_ci_u32_e32 v14, vcc_lo, v19, v14, vcc_lo
; %bb.130:
	s_and_not1_saveexec_b32 s0, s0
; %bb.131:
	v_add_co_u32 v13, vcc_lo, v15, v21
	v_add_co_ci_u32_e32 v14, vcc_lo, 0, v17, vcc_lo
; %bb.132:
	s_or_b32 exec_lo, exec_lo, s0
	s_mov_b32 s0, -1
.LBB2031_133:
	s_delay_alu instid0(SALU_CYCLE_1)
	s_and_saveexec_b32 s1, s0
	s_cbranch_execz .LBB2031_216
.LBB2031_134:
	s_waitcnt lgkmcnt(1)
	v_lshlrev_b64 v[0:1], 2, v[13:14]
	s_delay_alu instid0(VALU_DEP_1) | instskip(NEXT) | instid1(VALU_DEP_2)
	v_add_co_u32 v0, vcc_lo, s12, v0
	v_add_co_ci_u32_e32 v1, vcc_lo, s13, v1, vcc_lo
	s_waitcnt lgkmcnt(0)
	global_store_b32 v[0:1], v20, off
	s_or_b32 exec_lo, exec_lo, s1
	s_and_b32 s0, s2, s10
	s_delay_alu instid0(SALU_CYCLE_1)
	s_and_saveexec_b32 s1, s0
	s_cbranch_execnz .LBB2031_217
.LBB2031_135:
	s_nop 0
	s_sendmsg sendmsg(MSG_DEALLOC_VGPRS)
	s_endpgm
.LBB2031_136:
                                        ; implicit-def: $vgpr13_vgpr14
	s_cbranch_execz .LBB2031_133
; %bb.137:
	s_mov_b32 s1, exec_lo
	v_cmpx_gt_u32_e64 s11, v0
	s_cbranch_execz .LBB2031_173
; %bb.138:
	s_mov_b32 s3, exec_lo
                                        ; implicit-def: $vgpr13_vgpr14
	v_cmpx_ge_u32_e64 v0, v16
	s_xor_b32 s3, exec_lo, s3
; %bb.139:
	v_not_b32_e32 v13, v0
	s_delay_alu instid0(VALU_DEP_1) | instskip(SKIP_1) | instid1(VALU_DEP_2)
	v_ashrrev_i32_e32 v14, 31, v13
	v_add_co_u32 v13, vcc_lo, v18, v13
	v_add_co_ci_u32_e32 v14, vcc_lo, v19, v14, vcc_lo
; %bb.140:
	s_and_not1_saveexec_b32 s3, s3
; %bb.141:
	v_add_co_u32 v13, vcc_lo, v15, v0
	v_add_co_ci_u32_e32 v14, vcc_lo, 0, v17, vcc_lo
; %bb.142:
	s_or_b32 exec_lo, exec_lo, s3
	s_delay_alu instid0(VALU_DEP_1) | instskip(NEXT) | instid1(VALU_DEP_1)
	v_lshlrev_b64 v[13:14], 2, v[13:14]
	v_add_co_u32 v13, vcc_lo, s12, v13
	s_delay_alu instid0(VALU_DEP_2) | instskip(SKIP_3) | instid1(SALU_CYCLE_1)
	v_add_co_ci_u32_e32 v14, vcc_lo, s13, v14, vcc_lo
	s_waitcnt lgkmcnt(6)
	global_store_b32 v[13:14], v11, off
	s_or_b32 exec_lo, exec_lo, s1
	s_mov_b32 s1, exec_lo
	v_cmpx_gt_u32_e64 s11, v35
	s_cbranch_execnz .LBB2031_174
.LBB2031_143:
	s_or_b32 exec_lo, exec_lo, s1
	s_delay_alu instid0(SALU_CYCLE_1)
	s_mov_b32 s1, exec_lo
	v_cmpx_gt_u32_e64 s11, v31
	s_cbranch_execz .LBB2031_179
.LBB2031_144:
	s_mov_b32 s3, exec_lo
                                        ; implicit-def: $vgpr11_vgpr12
	v_cmpx_ge_u32_e64 v31, v16
	s_xor_b32 s3, exec_lo, s3
	s_cbranch_execz .LBB2031_146
; %bb.145:
	s_waitcnt lgkmcnt(6)
	v_xor_b32_e32 v11, 0xfffffdff, v0
                                        ; implicit-def: $vgpr31
	s_delay_alu instid0(VALU_DEP_1) | instskip(SKIP_1) | instid1(VALU_DEP_2)
	v_ashrrev_i32_e32 v12, 31, v11
	v_add_co_u32 v11, vcc_lo, v18, v11
	v_add_co_ci_u32_e32 v12, vcc_lo, v19, v12, vcc_lo
.LBB2031_146:
	s_and_not1_saveexec_b32 s3, s3
	s_cbranch_execz .LBB2031_148
; %bb.147:
	s_waitcnt lgkmcnt(6)
	v_add_co_u32 v11, vcc_lo, v15, v31
	v_add_co_ci_u32_e32 v12, vcc_lo, 0, v17, vcc_lo
.LBB2031_148:
	s_or_b32 exec_lo, exec_lo, s3
	s_waitcnt lgkmcnt(6)
	s_delay_alu instid0(VALU_DEP_1) | instskip(NEXT) | instid1(VALU_DEP_1)
	v_lshlrev_b64 v[11:12], 2, v[11:12]
	v_add_co_u32 v11, vcc_lo, s12, v11
	s_delay_alu instid0(VALU_DEP_2) | instskip(SKIP_3) | instid1(SALU_CYCLE_1)
	v_add_co_ci_u32_e32 v12, vcc_lo, s13, v12, vcc_lo
	s_waitcnt lgkmcnt(5)
	global_store_b32 v[11:12], v9, off
	s_or_b32 exec_lo, exec_lo, s1
	s_mov_b32 s1, exec_lo
	v_cmpx_gt_u32_e64 s11, v30
	s_cbranch_execnz .LBB2031_180
.LBB2031_149:
	s_or_b32 exec_lo, exec_lo, s1
	s_delay_alu instid0(SALU_CYCLE_1)
	s_mov_b32 s1, exec_lo
	v_cmpx_gt_u32_e64 s11, v29
	s_cbranch_execz .LBB2031_185
.LBB2031_150:
	s_mov_b32 s3, exec_lo
                                        ; implicit-def: $vgpr9_vgpr10
	v_cmpx_ge_u32_e64 v29, v16
	s_xor_b32 s3, exec_lo, s3
	s_cbranch_execz .LBB2031_152
; %bb.151:
	s_waitcnt lgkmcnt(5)
	v_xor_b32_e32 v9, 0xfffffbff, v0
                                        ; implicit-def: $vgpr29
	s_delay_alu instid0(VALU_DEP_1) | instskip(SKIP_1) | instid1(VALU_DEP_2)
	v_ashrrev_i32_e32 v10, 31, v9
	v_add_co_u32 v9, vcc_lo, v18, v9
	v_add_co_ci_u32_e32 v10, vcc_lo, v19, v10, vcc_lo
.LBB2031_152:
	s_and_not1_saveexec_b32 s3, s3
	s_cbranch_execz .LBB2031_154
; %bb.153:
	s_waitcnt lgkmcnt(5)
	v_add_co_u32 v9, vcc_lo, v15, v29
	v_add_co_ci_u32_e32 v10, vcc_lo, 0, v17, vcc_lo
.LBB2031_154:
	s_or_b32 exec_lo, exec_lo, s3
	s_waitcnt lgkmcnt(5)
	s_delay_alu instid0(VALU_DEP_1) | instskip(NEXT) | instid1(VALU_DEP_1)
	v_lshlrev_b64 v[9:10], 2, v[9:10]
	v_add_co_u32 v9, vcc_lo, s12, v9
	s_delay_alu instid0(VALU_DEP_2) | instskip(SKIP_3) | instid1(SALU_CYCLE_1)
	v_add_co_ci_u32_e32 v10, vcc_lo, s13, v10, vcc_lo
	s_waitcnt lgkmcnt(4)
	global_store_b32 v[9:10], v7, off
	s_or_b32 exec_lo, exec_lo, s1
	s_mov_b32 s1, exec_lo
	v_cmpx_gt_u32_e64 s11, v28
	s_cbranch_execnz .LBB2031_186
.LBB2031_155:
	s_or_b32 exec_lo, exec_lo, s1
	s_delay_alu instid0(SALU_CYCLE_1)
	s_mov_b32 s1, exec_lo
	v_cmpx_gt_u32_e64 s11, v27
	s_cbranch_execz .LBB2031_191
.LBB2031_156:
	s_mov_b32 s3, exec_lo
                                        ; implicit-def: $vgpr7_vgpr8
	v_cmpx_ge_u32_e64 v27, v16
	s_xor_b32 s3, exec_lo, s3
	s_cbranch_execz .LBB2031_158
; %bb.157:
	s_waitcnt lgkmcnt(4)
	v_xor_b32_e32 v7, 0xfffff9ff, v0
                                        ; implicit-def: $vgpr27
	s_delay_alu instid0(VALU_DEP_1) | instskip(SKIP_1) | instid1(VALU_DEP_2)
	v_ashrrev_i32_e32 v8, 31, v7
	v_add_co_u32 v7, vcc_lo, v18, v7
	v_add_co_ci_u32_e32 v8, vcc_lo, v19, v8, vcc_lo
.LBB2031_158:
	s_and_not1_saveexec_b32 s3, s3
	s_cbranch_execz .LBB2031_160
; %bb.159:
	s_waitcnt lgkmcnt(4)
	v_add_co_u32 v7, vcc_lo, v15, v27
	v_add_co_ci_u32_e32 v8, vcc_lo, 0, v17, vcc_lo
.LBB2031_160:
	s_or_b32 exec_lo, exec_lo, s3
	s_waitcnt lgkmcnt(4)
	s_delay_alu instid0(VALU_DEP_1) | instskip(NEXT) | instid1(VALU_DEP_1)
	v_lshlrev_b64 v[7:8], 2, v[7:8]
	v_add_co_u32 v7, vcc_lo, s12, v7
	s_delay_alu instid0(VALU_DEP_2) | instskip(SKIP_3) | instid1(SALU_CYCLE_1)
	v_add_co_ci_u32_e32 v8, vcc_lo, s13, v8, vcc_lo
	s_waitcnt lgkmcnt(3)
	global_store_b32 v[7:8], v5, off
	s_or_b32 exec_lo, exec_lo, s1
	s_mov_b32 s1, exec_lo
	v_cmpx_gt_u32_e64 s11, v26
	s_cbranch_execnz .LBB2031_192
.LBB2031_161:
	s_or_b32 exec_lo, exec_lo, s1
	s_delay_alu instid0(SALU_CYCLE_1)
	s_mov_b32 s1, exec_lo
	v_cmpx_gt_u32_e64 s11, v25
	s_cbranch_execz .LBB2031_197
.LBB2031_162:
	s_mov_b32 s3, exec_lo
                                        ; implicit-def: $vgpr5_vgpr6
	v_cmpx_ge_u32_e64 v25, v16
	s_xor_b32 s3, exec_lo, s3
	s_cbranch_execz .LBB2031_164
; %bb.163:
	s_waitcnt lgkmcnt(3)
	v_xor_b32_e32 v5, 0xfffff7ff, v0
                                        ; implicit-def: $vgpr25
	s_delay_alu instid0(VALU_DEP_1) | instskip(SKIP_1) | instid1(VALU_DEP_2)
	v_ashrrev_i32_e32 v6, 31, v5
	v_add_co_u32 v5, vcc_lo, v18, v5
	v_add_co_ci_u32_e32 v6, vcc_lo, v19, v6, vcc_lo
.LBB2031_164:
	s_and_not1_saveexec_b32 s3, s3
	s_cbranch_execz .LBB2031_166
; %bb.165:
	s_waitcnt lgkmcnt(3)
	v_add_co_u32 v5, vcc_lo, v15, v25
	v_add_co_ci_u32_e32 v6, vcc_lo, 0, v17, vcc_lo
.LBB2031_166:
	s_or_b32 exec_lo, exec_lo, s3
	s_waitcnt lgkmcnt(3)
	s_delay_alu instid0(VALU_DEP_1) | instskip(NEXT) | instid1(VALU_DEP_1)
	v_lshlrev_b64 v[5:6], 2, v[5:6]
	v_add_co_u32 v5, vcc_lo, s12, v5
	s_delay_alu instid0(VALU_DEP_2) | instskip(SKIP_3) | instid1(SALU_CYCLE_1)
	v_add_co_ci_u32_e32 v6, vcc_lo, s13, v6, vcc_lo
	s_waitcnt lgkmcnt(2)
	global_store_b32 v[5:6], v3, off
	s_or_b32 exec_lo, exec_lo, s1
	s_mov_b32 s1, exec_lo
	v_cmpx_gt_u32_e64 s11, v24
	s_cbranch_execnz .LBB2031_198
.LBB2031_167:
	s_or_b32 exec_lo, exec_lo, s1
	s_delay_alu instid0(SALU_CYCLE_1)
	s_mov_b32 s1, exec_lo
	v_cmpx_gt_u32_e64 s11, v23
	s_cbranch_execz .LBB2031_203
.LBB2031_168:
	s_mov_b32 s3, exec_lo
                                        ; implicit-def: $vgpr3_vgpr4
	v_cmpx_ge_u32_e64 v23, v16
	s_xor_b32 s3, exec_lo, s3
	s_cbranch_execz .LBB2031_170
; %bb.169:
	s_waitcnt lgkmcnt(2)
	v_xor_b32_e32 v3, 0xfffff5ff, v0
                                        ; implicit-def: $vgpr23
	s_delay_alu instid0(VALU_DEP_1) | instskip(SKIP_1) | instid1(VALU_DEP_2)
	v_ashrrev_i32_e32 v4, 31, v3
	v_add_co_u32 v3, vcc_lo, v18, v3
	v_add_co_ci_u32_e32 v4, vcc_lo, v19, v4, vcc_lo
.LBB2031_170:
	s_and_not1_saveexec_b32 s3, s3
	s_cbranch_execz .LBB2031_172
; %bb.171:
	s_waitcnt lgkmcnt(2)
	v_add_co_u32 v3, vcc_lo, v15, v23
	v_add_co_ci_u32_e32 v4, vcc_lo, 0, v17, vcc_lo
.LBB2031_172:
	s_or_b32 exec_lo, exec_lo, s3
	s_waitcnt lgkmcnt(2)
	s_delay_alu instid0(VALU_DEP_1) | instskip(NEXT) | instid1(VALU_DEP_1)
	v_lshlrev_b64 v[3:4], 2, v[3:4]
	v_add_co_u32 v3, vcc_lo, s12, v3
	s_delay_alu instid0(VALU_DEP_2) | instskip(SKIP_3) | instid1(SALU_CYCLE_1)
	v_add_co_ci_u32_e32 v4, vcc_lo, s13, v4, vcc_lo
	s_waitcnt lgkmcnt(1)
	global_store_b32 v[3:4], v1, off
	s_or_b32 exec_lo, exec_lo, s1
	s_mov_b32 s1, exec_lo
	v_cmpx_gt_u32_e64 s11, v22
	s_cbranch_execz .LBB2031_209
	s_branch .LBB2031_204
.LBB2031_173:
	s_or_b32 exec_lo, exec_lo, s1
	s_delay_alu instid0(SALU_CYCLE_1)
	s_mov_b32 s1, exec_lo
	v_cmpx_gt_u32_e64 s11, v35
	s_cbranch_execz .LBB2031_143
.LBB2031_174:
	s_mov_b32 s3, exec_lo
                                        ; implicit-def: $vgpr13_vgpr14
	v_cmpx_ge_u32_e64 v35, v16
	s_xor_b32 s3, exec_lo, s3
	s_cbranch_execz .LBB2031_176
; %bb.175:
	s_waitcnt lgkmcnt(6)
	v_xor_b32_e32 v11, 0xfffffeff, v0
                                        ; implicit-def: $vgpr35
	s_delay_alu instid0(VALU_DEP_1) | instskip(SKIP_1) | instid1(VALU_DEP_2)
	v_ashrrev_i32_e32 v14, 31, v11
	v_add_co_u32 v13, vcc_lo, v18, v11
	v_add_co_ci_u32_e32 v14, vcc_lo, v19, v14, vcc_lo
.LBB2031_176:
	s_and_not1_saveexec_b32 s3, s3
; %bb.177:
	v_add_co_u32 v13, vcc_lo, v15, v35
	v_add_co_ci_u32_e32 v14, vcc_lo, 0, v17, vcc_lo
; %bb.178:
	s_or_b32 exec_lo, exec_lo, s3
	s_delay_alu instid0(VALU_DEP_1) | instskip(NEXT) | instid1(VALU_DEP_1)
	v_lshlrev_b64 v[13:14], 2, v[13:14]
	v_add_co_u32 v13, vcc_lo, s12, v13
	s_delay_alu instid0(VALU_DEP_2) | instskip(SKIP_3) | instid1(SALU_CYCLE_1)
	v_add_co_ci_u32_e32 v14, vcc_lo, s13, v14, vcc_lo
	s_waitcnt lgkmcnt(6)
	global_store_b32 v[13:14], v12, off
	s_or_b32 exec_lo, exec_lo, s1
	s_mov_b32 s1, exec_lo
	v_cmpx_gt_u32_e64 s11, v31
	s_cbranch_execnz .LBB2031_144
.LBB2031_179:
	s_or_b32 exec_lo, exec_lo, s1
	s_delay_alu instid0(SALU_CYCLE_1)
	s_mov_b32 s1, exec_lo
	v_cmpx_gt_u32_e64 s11, v30
	s_cbranch_execz .LBB2031_149
.LBB2031_180:
	s_mov_b32 s3, exec_lo
                                        ; implicit-def: $vgpr11_vgpr12
	v_cmpx_ge_u32_e64 v30, v16
	s_xor_b32 s3, exec_lo, s3
	s_cbranch_execz .LBB2031_182
; %bb.181:
	s_waitcnt lgkmcnt(5)
	v_xor_b32_e32 v9, 0xfffffcff, v0
                                        ; implicit-def: $vgpr30
	s_delay_alu instid0(VALU_DEP_1) | instskip(SKIP_1) | instid1(VALU_DEP_2)
	v_ashrrev_i32_e32 v12, 31, v9
	v_add_co_u32 v11, vcc_lo, v18, v9
	v_add_co_ci_u32_e32 v12, vcc_lo, v19, v12, vcc_lo
.LBB2031_182:
	s_and_not1_saveexec_b32 s3, s3
	s_cbranch_execz .LBB2031_184
; %bb.183:
	s_waitcnt lgkmcnt(6)
	v_add_co_u32 v11, vcc_lo, v15, v30
	v_add_co_ci_u32_e32 v12, vcc_lo, 0, v17, vcc_lo
.LBB2031_184:
	s_or_b32 exec_lo, exec_lo, s3
	s_waitcnt lgkmcnt(6)
	s_delay_alu instid0(VALU_DEP_1) | instskip(NEXT) | instid1(VALU_DEP_1)
	v_lshlrev_b64 v[11:12], 2, v[11:12]
	v_add_co_u32 v11, vcc_lo, s12, v11
	s_delay_alu instid0(VALU_DEP_2) | instskip(SKIP_3) | instid1(SALU_CYCLE_1)
	v_add_co_ci_u32_e32 v12, vcc_lo, s13, v12, vcc_lo
	s_waitcnt lgkmcnt(5)
	global_store_b32 v[11:12], v10, off
	s_or_b32 exec_lo, exec_lo, s1
	s_mov_b32 s1, exec_lo
	v_cmpx_gt_u32_e64 s11, v29
	s_cbranch_execnz .LBB2031_150
.LBB2031_185:
	s_or_b32 exec_lo, exec_lo, s1
	s_delay_alu instid0(SALU_CYCLE_1)
	s_mov_b32 s1, exec_lo
	v_cmpx_gt_u32_e64 s11, v28
	s_cbranch_execz .LBB2031_155
.LBB2031_186:
	s_mov_b32 s3, exec_lo
                                        ; implicit-def: $vgpr9_vgpr10
	v_cmpx_ge_u32_e64 v28, v16
	s_xor_b32 s3, exec_lo, s3
	s_cbranch_execz .LBB2031_188
; %bb.187:
	s_waitcnt lgkmcnt(4)
	v_xor_b32_e32 v7, 0xfffffaff, v0
                                        ; implicit-def: $vgpr28
	s_delay_alu instid0(VALU_DEP_1) | instskip(SKIP_1) | instid1(VALU_DEP_2)
	v_ashrrev_i32_e32 v10, 31, v7
	v_add_co_u32 v9, vcc_lo, v18, v7
	v_add_co_ci_u32_e32 v10, vcc_lo, v19, v10, vcc_lo
.LBB2031_188:
	s_and_not1_saveexec_b32 s3, s3
	s_cbranch_execz .LBB2031_190
; %bb.189:
	s_waitcnt lgkmcnt(5)
	v_add_co_u32 v9, vcc_lo, v15, v28
	v_add_co_ci_u32_e32 v10, vcc_lo, 0, v17, vcc_lo
.LBB2031_190:
	s_or_b32 exec_lo, exec_lo, s3
	s_waitcnt lgkmcnt(5)
	s_delay_alu instid0(VALU_DEP_1) | instskip(NEXT) | instid1(VALU_DEP_1)
	v_lshlrev_b64 v[9:10], 2, v[9:10]
	v_add_co_u32 v9, vcc_lo, s12, v9
	s_delay_alu instid0(VALU_DEP_2) | instskip(SKIP_3) | instid1(SALU_CYCLE_1)
	v_add_co_ci_u32_e32 v10, vcc_lo, s13, v10, vcc_lo
	s_waitcnt lgkmcnt(4)
	global_store_b32 v[9:10], v8, off
	s_or_b32 exec_lo, exec_lo, s1
	s_mov_b32 s1, exec_lo
	v_cmpx_gt_u32_e64 s11, v27
	s_cbranch_execnz .LBB2031_156
.LBB2031_191:
	s_or_b32 exec_lo, exec_lo, s1
	s_delay_alu instid0(SALU_CYCLE_1)
	s_mov_b32 s1, exec_lo
	v_cmpx_gt_u32_e64 s11, v26
	s_cbranch_execz .LBB2031_161
.LBB2031_192:
	s_mov_b32 s3, exec_lo
                                        ; implicit-def: $vgpr7_vgpr8
	v_cmpx_ge_u32_e64 v26, v16
	s_xor_b32 s3, exec_lo, s3
	s_cbranch_execz .LBB2031_194
; %bb.193:
	s_waitcnt lgkmcnt(3)
	v_xor_b32_e32 v5, 0xfffff8ff, v0
                                        ; implicit-def: $vgpr26
	s_delay_alu instid0(VALU_DEP_1) | instskip(SKIP_1) | instid1(VALU_DEP_2)
	v_ashrrev_i32_e32 v8, 31, v5
	v_add_co_u32 v7, vcc_lo, v18, v5
	v_add_co_ci_u32_e32 v8, vcc_lo, v19, v8, vcc_lo
.LBB2031_194:
	s_and_not1_saveexec_b32 s3, s3
	s_cbranch_execz .LBB2031_196
; %bb.195:
	s_waitcnt lgkmcnt(4)
	v_add_co_u32 v7, vcc_lo, v15, v26
	v_add_co_ci_u32_e32 v8, vcc_lo, 0, v17, vcc_lo
.LBB2031_196:
	s_or_b32 exec_lo, exec_lo, s3
	s_waitcnt lgkmcnt(4)
	s_delay_alu instid0(VALU_DEP_1) | instskip(NEXT) | instid1(VALU_DEP_1)
	v_lshlrev_b64 v[7:8], 2, v[7:8]
	v_add_co_u32 v7, vcc_lo, s12, v7
	s_delay_alu instid0(VALU_DEP_2) | instskip(SKIP_3) | instid1(SALU_CYCLE_1)
	v_add_co_ci_u32_e32 v8, vcc_lo, s13, v8, vcc_lo
	s_waitcnt lgkmcnt(3)
	global_store_b32 v[7:8], v6, off
	s_or_b32 exec_lo, exec_lo, s1
	s_mov_b32 s1, exec_lo
	v_cmpx_gt_u32_e64 s11, v25
	s_cbranch_execnz .LBB2031_162
.LBB2031_197:
	s_or_b32 exec_lo, exec_lo, s1
	s_delay_alu instid0(SALU_CYCLE_1)
	s_mov_b32 s1, exec_lo
	v_cmpx_gt_u32_e64 s11, v24
	s_cbranch_execz .LBB2031_167
.LBB2031_198:
	s_mov_b32 s3, exec_lo
                                        ; implicit-def: $vgpr5_vgpr6
	v_cmpx_ge_u32_e64 v24, v16
	s_xor_b32 s3, exec_lo, s3
	s_cbranch_execz .LBB2031_200
; %bb.199:
	s_waitcnt lgkmcnt(2)
	v_xor_b32_e32 v3, 0xfffff6ff, v0
                                        ; implicit-def: $vgpr24
	s_delay_alu instid0(VALU_DEP_1) | instskip(SKIP_1) | instid1(VALU_DEP_2)
	v_ashrrev_i32_e32 v6, 31, v3
	v_add_co_u32 v5, vcc_lo, v18, v3
	v_add_co_ci_u32_e32 v6, vcc_lo, v19, v6, vcc_lo
.LBB2031_200:
	s_and_not1_saveexec_b32 s3, s3
	s_cbranch_execz .LBB2031_202
; %bb.201:
	s_waitcnt lgkmcnt(3)
	v_add_co_u32 v5, vcc_lo, v15, v24
	v_add_co_ci_u32_e32 v6, vcc_lo, 0, v17, vcc_lo
.LBB2031_202:
	s_or_b32 exec_lo, exec_lo, s3
	s_waitcnt lgkmcnt(3)
	s_delay_alu instid0(VALU_DEP_1) | instskip(NEXT) | instid1(VALU_DEP_1)
	v_lshlrev_b64 v[5:6], 2, v[5:6]
	v_add_co_u32 v5, vcc_lo, s12, v5
	s_delay_alu instid0(VALU_DEP_2) | instskip(SKIP_3) | instid1(SALU_CYCLE_1)
	v_add_co_ci_u32_e32 v6, vcc_lo, s13, v6, vcc_lo
	s_waitcnt lgkmcnt(2)
	global_store_b32 v[5:6], v4, off
	s_or_b32 exec_lo, exec_lo, s1
	s_mov_b32 s1, exec_lo
	v_cmpx_gt_u32_e64 s11, v23
	s_cbranch_execnz .LBB2031_168
.LBB2031_203:
	s_or_b32 exec_lo, exec_lo, s1
	s_delay_alu instid0(SALU_CYCLE_1)
	s_mov_b32 s1, exec_lo
	v_cmpx_gt_u32_e64 s11, v22
	s_cbranch_execz .LBB2031_209
.LBB2031_204:
	s_mov_b32 s3, exec_lo
                                        ; implicit-def: $vgpr3_vgpr4
	v_cmpx_ge_u32_e64 v22, v16
	s_xor_b32 s3, exec_lo, s3
	s_cbranch_execz .LBB2031_206
; %bb.205:
	s_waitcnt lgkmcnt(1)
	v_xor_b32_e32 v1, 0xfffff4ff, v0
                                        ; implicit-def: $vgpr22
	s_delay_alu instid0(VALU_DEP_1) | instskip(SKIP_1) | instid1(VALU_DEP_2)
	v_ashrrev_i32_e32 v4, 31, v1
	v_add_co_u32 v3, vcc_lo, v18, v1
	v_add_co_ci_u32_e32 v4, vcc_lo, v19, v4, vcc_lo
.LBB2031_206:
	s_and_not1_saveexec_b32 s3, s3
	s_cbranch_execz .LBB2031_208
; %bb.207:
	s_waitcnt lgkmcnt(2)
	v_add_co_u32 v3, vcc_lo, v15, v22
	v_add_co_ci_u32_e32 v4, vcc_lo, 0, v17, vcc_lo
.LBB2031_208:
	s_or_b32 exec_lo, exec_lo, s3
	s_waitcnt lgkmcnt(2)
	s_delay_alu instid0(VALU_DEP_1) | instskip(NEXT) | instid1(VALU_DEP_1)
	v_lshlrev_b64 v[3:4], 2, v[3:4]
	v_add_co_u32 v3, vcc_lo, s12, v3
	s_delay_alu instid0(VALU_DEP_2)
	v_add_co_ci_u32_e32 v4, vcc_lo, s13, v4, vcc_lo
	s_waitcnt lgkmcnt(1)
	global_store_b32 v[3:4], v2, off
.LBB2031_209:
	s_or_b32 exec_lo, exec_lo, s1
	s_delay_alu instid0(SALU_CYCLE_1)
	s_mov_b32 s1, exec_lo
                                        ; implicit-def: $vgpr13_vgpr14
	v_cmpx_gt_u32_e64 s11, v21
	s_cbranch_execz .LBB2031_215
; %bb.210:
	s_mov_b32 s3, exec_lo
                                        ; implicit-def: $vgpr13_vgpr14
	v_cmpx_ge_u32_e64 v21, v16
	s_xor_b32 s3, exec_lo, s3
	s_cbranch_execz .LBB2031_212
; %bb.211:
	v_xor_b32_e32 v0, 0xfffff3ff, v0
                                        ; implicit-def: $vgpr21
	s_waitcnt lgkmcnt(1)
	s_delay_alu instid0(VALU_DEP_1) | instskip(SKIP_1) | instid1(VALU_DEP_2)
	v_ashrrev_i32_e32 v1, 31, v0
	v_add_co_u32 v13, vcc_lo, v18, v0
	v_add_co_ci_u32_e32 v14, vcc_lo, v19, v1, vcc_lo
.LBB2031_212:
	s_and_not1_saveexec_b32 s3, s3
; %bb.213:
	v_add_co_u32 v13, vcc_lo, v15, v21
	v_add_co_ci_u32_e32 v14, vcc_lo, 0, v17, vcc_lo
; %bb.214:
	s_or_b32 exec_lo, exec_lo, s3
	s_delay_alu instid0(SALU_CYCLE_1)
	s_or_b32 s0, s0, exec_lo
.LBB2031_215:
	s_or_b32 exec_lo, exec_lo, s1
	s_and_saveexec_b32 s1, s0
	s_cbranch_execnz .LBB2031_134
.LBB2031_216:
	s_or_b32 exec_lo, exec_lo, s1
	s_and_b32 s0, s2, s10
	s_delay_alu instid0(SALU_CYCLE_1)
	s_and_saveexec_b32 s1, s0
	s_cbranch_execz .LBB2031_135
.LBB2031_217:
	v_add_co_u32 v0, vcc_lo, v15, v16
	s_waitcnt lgkmcnt(1)
	v_mov_b32_e32 v2, 0
	v_add_co_ci_u32_e32 v1, vcc_lo, 0, v17, vcc_lo
	global_store_b64 v2, v[0:1], s[8:9]
	s_nop 0
	s_sendmsg sendmsg(MSG_DEALLOC_VGPRS)
	s_endpgm
	.section	.rodata,"a",@progbits
	.p2align	6, 0x0
	.amdhsa_kernel _ZN7rocprim17ROCPRIM_400000_NS6detail17trampoline_kernelINS0_13select_configILj256ELj13ELNS0_17block_load_methodE3ELS4_3ELS4_3ELNS0_20block_scan_algorithmE0ELj4294967295EEENS1_25partition_config_selectorILNS1_17partition_subalgoE3EjNS0_10empty_typeEbEEZZNS1_14partition_implILS8_3ELb0ES6_jNS0_17counting_iteratorIjlEEPS9_SE_NS0_5tupleIJPjSE_EEENSF_IJSE_SE_EEES9_SG_JZNS1_25segmented_radix_sort_implINS0_14default_configELb0EPK12hip_bfloat16PSL_PKlPlN2at6native12_GLOBAL__N_18offset_tEEE10hipError_tPvRmT1_PNSt15iterator_traitsISZ_E10value_typeET2_T3_PNS10_IS15_E10value_typeET4_jRbjT5_S1B_jjP12ihipStream_tbEUljE_EEESW_SX_SY_S15_S19_S1B_T6_T7_T9_mT8_S1D_bDpT10_ENKUlT_T0_E_clISt17integral_constantIbLb1EES1Q_EEDaS1L_S1M_EUlS1L_E_NS1_11comp_targetILNS1_3genE9ELNS1_11target_archE1100ELNS1_3gpuE3ELNS1_3repE0EEENS1_30default_config_static_selectorELNS0_4arch9wavefront6targetE0EEEvSZ_
		.amdhsa_group_segment_fixed_size 13324
		.amdhsa_private_segment_fixed_size 0
		.amdhsa_kernarg_size 152
		.amdhsa_user_sgpr_count 15
		.amdhsa_user_sgpr_dispatch_ptr 0
		.amdhsa_user_sgpr_queue_ptr 0
		.amdhsa_user_sgpr_kernarg_segment_ptr 1
		.amdhsa_user_sgpr_dispatch_id 0
		.amdhsa_user_sgpr_private_segment_size 0
		.amdhsa_wavefront_size32 1
		.amdhsa_uses_dynamic_stack 0
		.amdhsa_enable_private_segment 0
		.amdhsa_system_sgpr_workgroup_id_x 1
		.amdhsa_system_sgpr_workgroup_id_y 0
		.amdhsa_system_sgpr_workgroup_id_z 0
		.amdhsa_system_sgpr_workgroup_info 0
		.amdhsa_system_vgpr_workitem_id 0
		.amdhsa_next_free_vgpr 60
		.amdhsa_next_free_sgpr 26
		.amdhsa_reserve_vcc 1
		.amdhsa_float_round_mode_32 0
		.amdhsa_float_round_mode_16_64 0
		.amdhsa_float_denorm_mode_32 3
		.amdhsa_float_denorm_mode_16_64 3
		.amdhsa_dx10_clamp 1
		.amdhsa_ieee_mode 1
		.amdhsa_fp16_overflow 0
		.amdhsa_workgroup_processor_mode 1
		.amdhsa_memory_ordered 1
		.amdhsa_forward_progress 0
		.amdhsa_shared_vgpr_count 0
		.amdhsa_exception_fp_ieee_invalid_op 0
		.amdhsa_exception_fp_denorm_src 0
		.amdhsa_exception_fp_ieee_div_zero 0
		.amdhsa_exception_fp_ieee_overflow 0
		.amdhsa_exception_fp_ieee_underflow 0
		.amdhsa_exception_fp_ieee_inexact 0
		.amdhsa_exception_int_div_zero 0
	.end_amdhsa_kernel
	.section	.text._ZN7rocprim17ROCPRIM_400000_NS6detail17trampoline_kernelINS0_13select_configILj256ELj13ELNS0_17block_load_methodE3ELS4_3ELS4_3ELNS0_20block_scan_algorithmE0ELj4294967295EEENS1_25partition_config_selectorILNS1_17partition_subalgoE3EjNS0_10empty_typeEbEEZZNS1_14partition_implILS8_3ELb0ES6_jNS0_17counting_iteratorIjlEEPS9_SE_NS0_5tupleIJPjSE_EEENSF_IJSE_SE_EEES9_SG_JZNS1_25segmented_radix_sort_implINS0_14default_configELb0EPK12hip_bfloat16PSL_PKlPlN2at6native12_GLOBAL__N_18offset_tEEE10hipError_tPvRmT1_PNSt15iterator_traitsISZ_E10value_typeET2_T3_PNS10_IS15_E10value_typeET4_jRbjT5_S1B_jjP12ihipStream_tbEUljE_EEESW_SX_SY_S15_S19_S1B_T6_T7_T9_mT8_S1D_bDpT10_ENKUlT_T0_E_clISt17integral_constantIbLb1EES1Q_EEDaS1L_S1M_EUlS1L_E_NS1_11comp_targetILNS1_3genE9ELNS1_11target_archE1100ELNS1_3gpuE3ELNS1_3repE0EEENS1_30default_config_static_selectorELNS0_4arch9wavefront6targetE0EEEvSZ_,"axG",@progbits,_ZN7rocprim17ROCPRIM_400000_NS6detail17trampoline_kernelINS0_13select_configILj256ELj13ELNS0_17block_load_methodE3ELS4_3ELS4_3ELNS0_20block_scan_algorithmE0ELj4294967295EEENS1_25partition_config_selectorILNS1_17partition_subalgoE3EjNS0_10empty_typeEbEEZZNS1_14partition_implILS8_3ELb0ES6_jNS0_17counting_iteratorIjlEEPS9_SE_NS0_5tupleIJPjSE_EEENSF_IJSE_SE_EEES9_SG_JZNS1_25segmented_radix_sort_implINS0_14default_configELb0EPK12hip_bfloat16PSL_PKlPlN2at6native12_GLOBAL__N_18offset_tEEE10hipError_tPvRmT1_PNSt15iterator_traitsISZ_E10value_typeET2_T3_PNS10_IS15_E10value_typeET4_jRbjT5_S1B_jjP12ihipStream_tbEUljE_EEESW_SX_SY_S15_S19_S1B_T6_T7_T9_mT8_S1D_bDpT10_ENKUlT_T0_E_clISt17integral_constantIbLb1EES1Q_EEDaS1L_S1M_EUlS1L_E_NS1_11comp_targetILNS1_3genE9ELNS1_11target_archE1100ELNS1_3gpuE3ELNS1_3repE0EEENS1_30default_config_static_selectorELNS0_4arch9wavefront6targetE0EEEvSZ_,comdat
.Lfunc_end2031:
	.size	_ZN7rocprim17ROCPRIM_400000_NS6detail17trampoline_kernelINS0_13select_configILj256ELj13ELNS0_17block_load_methodE3ELS4_3ELS4_3ELNS0_20block_scan_algorithmE0ELj4294967295EEENS1_25partition_config_selectorILNS1_17partition_subalgoE3EjNS0_10empty_typeEbEEZZNS1_14partition_implILS8_3ELb0ES6_jNS0_17counting_iteratorIjlEEPS9_SE_NS0_5tupleIJPjSE_EEENSF_IJSE_SE_EEES9_SG_JZNS1_25segmented_radix_sort_implINS0_14default_configELb0EPK12hip_bfloat16PSL_PKlPlN2at6native12_GLOBAL__N_18offset_tEEE10hipError_tPvRmT1_PNSt15iterator_traitsISZ_E10value_typeET2_T3_PNS10_IS15_E10value_typeET4_jRbjT5_S1B_jjP12ihipStream_tbEUljE_EEESW_SX_SY_S15_S19_S1B_T6_T7_T9_mT8_S1D_bDpT10_ENKUlT_T0_E_clISt17integral_constantIbLb1EES1Q_EEDaS1L_S1M_EUlS1L_E_NS1_11comp_targetILNS1_3genE9ELNS1_11target_archE1100ELNS1_3gpuE3ELNS1_3repE0EEENS1_30default_config_static_selectorELNS0_4arch9wavefront6targetE0EEEvSZ_, .Lfunc_end2031-_ZN7rocprim17ROCPRIM_400000_NS6detail17trampoline_kernelINS0_13select_configILj256ELj13ELNS0_17block_load_methodE3ELS4_3ELS4_3ELNS0_20block_scan_algorithmE0ELj4294967295EEENS1_25partition_config_selectorILNS1_17partition_subalgoE3EjNS0_10empty_typeEbEEZZNS1_14partition_implILS8_3ELb0ES6_jNS0_17counting_iteratorIjlEEPS9_SE_NS0_5tupleIJPjSE_EEENSF_IJSE_SE_EEES9_SG_JZNS1_25segmented_radix_sort_implINS0_14default_configELb0EPK12hip_bfloat16PSL_PKlPlN2at6native12_GLOBAL__N_18offset_tEEE10hipError_tPvRmT1_PNSt15iterator_traitsISZ_E10value_typeET2_T3_PNS10_IS15_E10value_typeET4_jRbjT5_S1B_jjP12ihipStream_tbEUljE_EEESW_SX_SY_S15_S19_S1B_T6_T7_T9_mT8_S1D_bDpT10_ENKUlT_T0_E_clISt17integral_constantIbLb1EES1Q_EEDaS1L_S1M_EUlS1L_E_NS1_11comp_targetILNS1_3genE9ELNS1_11target_archE1100ELNS1_3gpuE3ELNS1_3repE0EEENS1_30default_config_static_selectorELNS0_4arch9wavefront6targetE0EEEvSZ_
                                        ; -- End function
	.section	.AMDGPU.csdata,"",@progbits
; Kernel info:
; codeLenInByte = 9140
; NumSgprs: 28
; NumVgprs: 60
; ScratchSize: 0
; MemoryBound: 0
; FloatMode: 240
; IeeeMode: 1
; LDSByteSize: 13324 bytes/workgroup (compile time only)
; SGPRBlocks: 3
; VGPRBlocks: 7
; NumSGPRsForWavesPerEU: 28
; NumVGPRsForWavesPerEU: 60
; Occupancy: 16
; WaveLimiterHint : 0
; COMPUTE_PGM_RSRC2:SCRATCH_EN: 0
; COMPUTE_PGM_RSRC2:USER_SGPR: 15
; COMPUTE_PGM_RSRC2:TRAP_HANDLER: 0
; COMPUTE_PGM_RSRC2:TGID_X_EN: 1
; COMPUTE_PGM_RSRC2:TGID_Y_EN: 0
; COMPUTE_PGM_RSRC2:TGID_Z_EN: 0
; COMPUTE_PGM_RSRC2:TIDIG_COMP_CNT: 0
	.section	.text._ZN7rocprim17ROCPRIM_400000_NS6detail17trampoline_kernelINS0_13select_configILj256ELj13ELNS0_17block_load_methodE3ELS4_3ELS4_3ELNS0_20block_scan_algorithmE0ELj4294967295EEENS1_25partition_config_selectorILNS1_17partition_subalgoE3EjNS0_10empty_typeEbEEZZNS1_14partition_implILS8_3ELb0ES6_jNS0_17counting_iteratorIjlEEPS9_SE_NS0_5tupleIJPjSE_EEENSF_IJSE_SE_EEES9_SG_JZNS1_25segmented_radix_sort_implINS0_14default_configELb0EPK12hip_bfloat16PSL_PKlPlN2at6native12_GLOBAL__N_18offset_tEEE10hipError_tPvRmT1_PNSt15iterator_traitsISZ_E10value_typeET2_T3_PNS10_IS15_E10value_typeET4_jRbjT5_S1B_jjP12ihipStream_tbEUljE_EEESW_SX_SY_S15_S19_S1B_T6_T7_T9_mT8_S1D_bDpT10_ENKUlT_T0_E_clISt17integral_constantIbLb1EES1Q_EEDaS1L_S1M_EUlS1L_E_NS1_11comp_targetILNS1_3genE8ELNS1_11target_archE1030ELNS1_3gpuE2ELNS1_3repE0EEENS1_30default_config_static_selectorELNS0_4arch9wavefront6targetE0EEEvSZ_,"axG",@progbits,_ZN7rocprim17ROCPRIM_400000_NS6detail17trampoline_kernelINS0_13select_configILj256ELj13ELNS0_17block_load_methodE3ELS4_3ELS4_3ELNS0_20block_scan_algorithmE0ELj4294967295EEENS1_25partition_config_selectorILNS1_17partition_subalgoE3EjNS0_10empty_typeEbEEZZNS1_14partition_implILS8_3ELb0ES6_jNS0_17counting_iteratorIjlEEPS9_SE_NS0_5tupleIJPjSE_EEENSF_IJSE_SE_EEES9_SG_JZNS1_25segmented_radix_sort_implINS0_14default_configELb0EPK12hip_bfloat16PSL_PKlPlN2at6native12_GLOBAL__N_18offset_tEEE10hipError_tPvRmT1_PNSt15iterator_traitsISZ_E10value_typeET2_T3_PNS10_IS15_E10value_typeET4_jRbjT5_S1B_jjP12ihipStream_tbEUljE_EEESW_SX_SY_S15_S19_S1B_T6_T7_T9_mT8_S1D_bDpT10_ENKUlT_T0_E_clISt17integral_constantIbLb1EES1Q_EEDaS1L_S1M_EUlS1L_E_NS1_11comp_targetILNS1_3genE8ELNS1_11target_archE1030ELNS1_3gpuE2ELNS1_3repE0EEENS1_30default_config_static_selectorELNS0_4arch9wavefront6targetE0EEEvSZ_,comdat
	.globl	_ZN7rocprim17ROCPRIM_400000_NS6detail17trampoline_kernelINS0_13select_configILj256ELj13ELNS0_17block_load_methodE3ELS4_3ELS4_3ELNS0_20block_scan_algorithmE0ELj4294967295EEENS1_25partition_config_selectorILNS1_17partition_subalgoE3EjNS0_10empty_typeEbEEZZNS1_14partition_implILS8_3ELb0ES6_jNS0_17counting_iteratorIjlEEPS9_SE_NS0_5tupleIJPjSE_EEENSF_IJSE_SE_EEES9_SG_JZNS1_25segmented_radix_sort_implINS0_14default_configELb0EPK12hip_bfloat16PSL_PKlPlN2at6native12_GLOBAL__N_18offset_tEEE10hipError_tPvRmT1_PNSt15iterator_traitsISZ_E10value_typeET2_T3_PNS10_IS15_E10value_typeET4_jRbjT5_S1B_jjP12ihipStream_tbEUljE_EEESW_SX_SY_S15_S19_S1B_T6_T7_T9_mT8_S1D_bDpT10_ENKUlT_T0_E_clISt17integral_constantIbLb1EES1Q_EEDaS1L_S1M_EUlS1L_E_NS1_11comp_targetILNS1_3genE8ELNS1_11target_archE1030ELNS1_3gpuE2ELNS1_3repE0EEENS1_30default_config_static_selectorELNS0_4arch9wavefront6targetE0EEEvSZ_ ; -- Begin function _ZN7rocprim17ROCPRIM_400000_NS6detail17trampoline_kernelINS0_13select_configILj256ELj13ELNS0_17block_load_methodE3ELS4_3ELS4_3ELNS0_20block_scan_algorithmE0ELj4294967295EEENS1_25partition_config_selectorILNS1_17partition_subalgoE3EjNS0_10empty_typeEbEEZZNS1_14partition_implILS8_3ELb0ES6_jNS0_17counting_iteratorIjlEEPS9_SE_NS0_5tupleIJPjSE_EEENSF_IJSE_SE_EEES9_SG_JZNS1_25segmented_radix_sort_implINS0_14default_configELb0EPK12hip_bfloat16PSL_PKlPlN2at6native12_GLOBAL__N_18offset_tEEE10hipError_tPvRmT1_PNSt15iterator_traitsISZ_E10value_typeET2_T3_PNS10_IS15_E10value_typeET4_jRbjT5_S1B_jjP12ihipStream_tbEUljE_EEESW_SX_SY_S15_S19_S1B_T6_T7_T9_mT8_S1D_bDpT10_ENKUlT_T0_E_clISt17integral_constantIbLb1EES1Q_EEDaS1L_S1M_EUlS1L_E_NS1_11comp_targetILNS1_3genE8ELNS1_11target_archE1030ELNS1_3gpuE2ELNS1_3repE0EEENS1_30default_config_static_selectorELNS0_4arch9wavefront6targetE0EEEvSZ_
	.p2align	8
	.type	_ZN7rocprim17ROCPRIM_400000_NS6detail17trampoline_kernelINS0_13select_configILj256ELj13ELNS0_17block_load_methodE3ELS4_3ELS4_3ELNS0_20block_scan_algorithmE0ELj4294967295EEENS1_25partition_config_selectorILNS1_17partition_subalgoE3EjNS0_10empty_typeEbEEZZNS1_14partition_implILS8_3ELb0ES6_jNS0_17counting_iteratorIjlEEPS9_SE_NS0_5tupleIJPjSE_EEENSF_IJSE_SE_EEES9_SG_JZNS1_25segmented_radix_sort_implINS0_14default_configELb0EPK12hip_bfloat16PSL_PKlPlN2at6native12_GLOBAL__N_18offset_tEEE10hipError_tPvRmT1_PNSt15iterator_traitsISZ_E10value_typeET2_T3_PNS10_IS15_E10value_typeET4_jRbjT5_S1B_jjP12ihipStream_tbEUljE_EEESW_SX_SY_S15_S19_S1B_T6_T7_T9_mT8_S1D_bDpT10_ENKUlT_T0_E_clISt17integral_constantIbLb1EES1Q_EEDaS1L_S1M_EUlS1L_E_NS1_11comp_targetILNS1_3genE8ELNS1_11target_archE1030ELNS1_3gpuE2ELNS1_3repE0EEENS1_30default_config_static_selectorELNS0_4arch9wavefront6targetE0EEEvSZ_,@function
_ZN7rocprim17ROCPRIM_400000_NS6detail17trampoline_kernelINS0_13select_configILj256ELj13ELNS0_17block_load_methodE3ELS4_3ELS4_3ELNS0_20block_scan_algorithmE0ELj4294967295EEENS1_25partition_config_selectorILNS1_17partition_subalgoE3EjNS0_10empty_typeEbEEZZNS1_14partition_implILS8_3ELb0ES6_jNS0_17counting_iteratorIjlEEPS9_SE_NS0_5tupleIJPjSE_EEENSF_IJSE_SE_EEES9_SG_JZNS1_25segmented_radix_sort_implINS0_14default_configELb0EPK12hip_bfloat16PSL_PKlPlN2at6native12_GLOBAL__N_18offset_tEEE10hipError_tPvRmT1_PNSt15iterator_traitsISZ_E10value_typeET2_T3_PNS10_IS15_E10value_typeET4_jRbjT5_S1B_jjP12ihipStream_tbEUljE_EEESW_SX_SY_S15_S19_S1B_T6_T7_T9_mT8_S1D_bDpT10_ENKUlT_T0_E_clISt17integral_constantIbLb1EES1Q_EEDaS1L_S1M_EUlS1L_E_NS1_11comp_targetILNS1_3genE8ELNS1_11target_archE1030ELNS1_3gpuE2ELNS1_3repE0EEENS1_30default_config_static_selectorELNS0_4arch9wavefront6targetE0EEEvSZ_: ; @_ZN7rocprim17ROCPRIM_400000_NS6detail17trampoline_kernelINS0_13select_configILj256ELj13ELNS0_17block_load_methodE3ELS4_3ELS4_3ELNS0_20block_scan_algorithmE0ELj4294967295EEENS1_25partition_config_selectorILNS1_17partition_subalgoE3EjNS0_10empty_typeEbEEZZNS1_14partition_implILS8_3ELb0ES6_jNS0_17counting_iteratorIjlEEPS9_SE_NS0_5tupleIJPjSE_EEENSF_IJSE_SE_EEES9_SG_JZNS1_25segmented_radix_sort_implINS0_14default_configELb0EPK12hip_bfloat16PSL_PKlPlN2at6native12_GLOBAL__N_18offset_tEEE10hipError_tPvRmT1_PNSt15iterator_traitsISZ_E10value_typeET2_T3_PNS10_IS15_E10value_typeET4_jRbjT5_S1B_jjP12ihipStream_tbEUljE_EEESW_SX_SY_S15_S19_S1B_T6_T7_T9_mT8_S1D_bDpT10_ENKUlT_T0_E_clISt17integral_constantIbLb1EES1Q_EEDaS1L_S1M_EUlS1L_E_NS1_11comp_targetILNS1_3genE8ELNS1_11target_archE1030ELNS1_3gpuE2ELNS1_3repE0EEENS1_30default_config_static_selectorELNS0_4arch9wavefront6targetE0EEEvSZ_
; %bb.0:
	.section	.rodata,"a",@progbits
	.p2align	6, 0x0
	.amdhsa_kernel _ZN7rocprim17ROCPRIM_400000_NS6detail17trampoline_kernelINS0_13select_configILj256ELj13ELNS0_17block_load_methodE3ELS4_3ELS4_3ELNS0_20block_scan_algorithmE0ELj4294967295EEENS1_25partition_config_selectorILNS1_17partition_subalgoE3EjNS0_10empty_typeEbEEZZNS1_14partition_implILS8_3ELb0ES6_jNS0_17counting_iteratorIjlEEPS9_SE_NS0_5tupleIJPjSE_EEENSF_IJSE_SE_EEES9_SG_JZNS1_25segmented_radix_sort_implINS0_14default_configELb0EPK12hip_bfloat16PSL_PKlPlN2at6native12_GLOBAL__N_18offset_tEEE10hipError_tPvRmT1_PNSt15iterator_traitsISZ_E10value_typeET2_T3_PNS10_IS15_E10value_typeET4_jRbjT5_S1B_jjP12ihipStream_tbEUljE_EEESW_SX_SY_S15_S19_S1B_T6_T7_T9_mT8_S1D_bDpT10_ENKUlT_T0_E_clISt17integral_constantIbLb1EES1Q_EEDaS1L_S1M_EUlS1L_E_NS1_11comp_targetILNS1_3genE8ELNS1_11target_archE1030ELNS1_3gpuE2ELNS1_3repE0EEENS1_30default_config_static_selectorELNS0_4arch9wavefront6targetE0EEEvSZ_
		.amdhsa_group_segment_fixed_size 0
		.amdhsa_private_segment_fixed_size 0
		.amdhsa_kernarg_size 152
		.amdhsa_user_sgpr_count 15
		.amdhsa_user_sgpr_dispatch_ptr 0
		.amdhsa_user_sgpr_queue_ptr 0
		.amdhsa_user_sgpr_kernarg_segment_ptr 1
		.amdhsa_user_sgpr_dispatch_id 0
		.amdhsa_user_sgpr_private_segment_size 0
		.amdhsa_wavefront_size32 1
		.amdhsa_uses_dynamic_stack 0
		.amdhsa_enable_private_segment 0
		.amdhsa_system_sgpr_workgroup_id_x 1
		.amdhsa_system_sgpr_workgroup_id_y 0
		.amdhsa_system_sgpr_workgroup_id_z 0
		.amdhsa_system_sgpr_workgroup_info 0
		.amdhsa_system_vgpr_workitem_id 0
		.amdhsa_next_free_vgpr 1
		.amdhsa_next_free_sgpr 1
		.amdhsa_reserve_vcc 0
		.amdhsa_float_round_mode_32 0
		.amdhsa_float_round_mode_16_64 0
		.amdhsa_float_denorm_mode_32 3
		.amdhsa_float_denorm_mode_16_64 3
		.amdhsa_dx10_clamp 1
		.amdhsa_ieee_mode 1
		.amdhsa_fp16_overflow 0
		.amdhsa_workgroup_processor_mode 1
		.amdhsa_memory_ordered 1
		.amdhsa_forward_progress 0
		.amdhsa_shared_vgpr_count 0
		.amdhsa_exception_fp_ieee_invalid_op 0
		.amdhsa_exception_fp_denorm_src 0
		.amdhsa_exception_fp_ieee_div_zero 0
		.amdhsa_exception_fp_ieee_overflow 0
		.amdhsa_exception_fp_ieee_underflow 0
		.amdhsa_exception_fp_ieee_inexact 0
		.amdhsa_exception_int_div_zero 0
	.end_amdhsa_kernel
	.section	.text._ZN7rocprim17ROCPRIM_400000_NS6detail17trampoline_kernelINS0_13select_configILj256ELj13ELNS0_17block_load_methodE3ELS4_3ELS4_3ELNS0_20block_scan_algorithmE0ELj4294967295EEENS1_25partition_config_selectorILNS1_17partition_subalgoE3EjNS0_10empty_typeEbEEZZNS1_14partition_implILS8_3ELb0ES6_jNS0_17counting_iteratorIjlEEPS9_SE_NS0_5tupleIJPjSE_EEENSF_IJSE_SE_EEES9_SG_JZNS1_25segmented_radix_sort_implINS0_14default_configELb0EPK12hip_bfloat16PSL_PKlPlN2at6native12_GLOBAL__N_18offset_tEEE10hipError_tPvRmT1_PNSt15iterator_traitsISZ_E10value_typeET2_T3_PNS10_IS15_E10value_typeET4_jRbjT5_S1B_jjP12ihipStream_tbEUljE_EEESW_SX_SY_S15_S19_S1B_T6_T7_T9_mT8_S1D_bDpT10_ENKUlT_T0_E_clISt17integral_constantIbLb1EES1Q_EEDaS1L_S1M_EUlS1L_E_NS1_11comp_targetILNS1_3genE8ELNS1_11target_archE1030ELNS1_3gpuE2ELNS1_3repE0EEENS1_30default_config_static_selectorELNS0_4arch9wavefront6targetE0EEEvSZ_,"axG",@progbits,_ZN7rocprim17ROCPRIM_400000_NS6detail17trampoline_kernelINS0_13select_configILj256ELj13ELNS0_17block_load_methodE3ELS4_3ELS4_3ELNS0_20block_scan_algorithmE0ELj4294967295EEENS1_25partition_config_selectorILNS1_17partition_subalgoE3EjNS0_10empty_typeEbEEZZNS1_14partition_implILS8_3ELb0ES6_jNS0_17counting_iteratorIjlEEPS9_SE_NS0_5tupleIJPjSE_EEENSF_IJSE_SE_EEES9_SG_JZNS1_25segmented_radix_sort_implINS0_14default_configELb0EPK12hip_bfloat16PSL_PKlPlN2at6native12_GLOBAL__N_18offset_tEEE10hipError_tPvRmT1_PNSt15iterator_traitsISZ_E10value_typeET2_T3_PNS10_IS15_E10value_typeET4_jRbjT5_S1B_jjP12ihipStream_tbEUljE_EEESW_SX_SY_S15_S19_S1B_T6_T7_T9_mT8_S1D_bDpT10_ENKUlT_T0_E_clISt17integral_constantIbLb1EES1Q_EEDaS1L_S1M_EUlS1L_E_NS1_11comp_targetILNS1_3genE8ELNS1_11target_archE1030ELNS1_3gpuE2ELNS1_3repE0EEENS1_30default_config_static_selectorELNS0_4arch9wavefront6targetE0EEEvSZ_,comdat
.Lfunc_end2032:
	.size	_ZN7rocprim17ROCPRIM_400000_NS6detail17trampoline_kernelINS0_13select_configILj256ELj13ELNS0_17block_load_methodE3ELS4_3ELS4_3ELNS0_20block_scan_algorithmE0ELj4294967295EEENS1_25partition_config_selectorILNS1_17partition_subalgoE3EjNS0_10empty_typeEbEEZZNS1_14partition_implILS8_3ELb0ES6_jNS0_17counting_iteratorIjlEEPS9_SE_NS0_5tupleIJPjSE_EEENSF_IJSE_SE_EEES9_SG_JZNS1_25segmented_radix_sort_implINS0_14default_configELb0EPK12hip_bfloat16PSL_PKlPlN2at6native12_GLOBAL__N_18offset_tEEE10hipError_tPvRmT1_PNSt15iterator_traitsISZ_E10value_typeET2_T3_PNS10_IS15_E10value_typeET4_jRbjT5_S1B_jjP12ihipStream_tbEUljE_EEESW_SX_SY_S15_S19_S1B_T6_T7_T9_mT8_S1D_bDpT10_ENKUlT_T0_E_clISt17integral_constantIbLb1EES1Q_EEDaS1L_S1M_EUlS1L_E_NS1_11comp_targetILNS1_3genE8ELNS1_11target_archE1030ELNS1_3gpuE2ELNS1_3repE0EEENS1_30default_config_static_selectorELNS0_4arch9wavefront6targetE0EEEvSZ_, .Lfunc_end2032-_ZN7rocprim17ROCPRIM_400000_NS6detail17trampoline_kernelINS0_13select_configILj256ELj13ELNS0_17block_load_methodE3ELS4_3ELS4_3ELNS0_20block_scan_algorithmE0ELj4294967295EEENS1_25partition_config_selectorILNS1_17partition_subalgoE3EjNS0_10empty_typeEbEEZZNS1_14partition_implILS8_3ELb0ES6_jNS0_17counting_iteratorIjlEEPS9_SE_NS0_5tupleIJPjSE_EEENSF_IJSE_SE_EEES9_SG_JZNS1_25segmented_radix_sort_implINS0_14default_configELb0EPK12hip_bfloat16PSL_PKlPlN2at6native12_GLOBAL__N_18offset_tEEE10hipError_tPvRmT1_PNSt15iterator_traitsISZ_E10value_typeET2_T3_PNS10_IS15_E10value_typeET4_jRbjT5_S1B_jjP12ihipStream_tbEUljE_EEESW_SX_SY_S15_S19_S1B_T6_T7_T9_mT8_S1D_bDpT10_ENKUlT_T0_E_clISt17integral_constantIbLb1EES1Q_EEDaS1L_S1M_EUlS1L_E_NS1_11comp_targetILNS1_3genE8ELNS1_11target_archE1030ELNS1_3gpuE2ELNS1_3repE0EEENS1_30default_config_static_selectorELNS0_4arch9wavefront6targetE0EEEvSZ_
                                        ; -- End function
	.section	.AMDGPU.csdata,"",@progbits
; Kernel info:
; codeLenInByte = 0
; NumSgprs: 0
; NumVgprs: 0
; ScratchSize: 0
; MemoryBound: 0
; FloatMode: 240
; IeeeMode: 1
; LDSByteSize: 0 bytes/workgroup (compile time only)
; SGPRBlocks: 0
; VGPRBlocks: 0
; NumSGPRsForWavesPerEU: 1
; NumVGPRsForWavesPerEU: 1
; Occupancy: 16
; WaveLimiterHint : 0
; COMPUTE_PGM_RSRC2:SCRATCH_EN: 0
; COMPUTE_PGM_RSRC2:USER_SGPR: 15
; COMPUTE_PGM_RSRC2:TRAP_HANDLER: 0
; COMPUTE_PGM_RSRC2:TGID_X_EN: 1
; COMPUTE_PGM_RSRC2:TGID_Y_EN: 0
; COMPUTE_PGM_RSRC2:TGID_Z_EN: 0
; COMPUTE_PGM_RSRC2:TIDIG_COMP_CNT: 0
	.section	.text._ZN7rocprim17ROCPRIM_400000_NS6detail17trampoline_kernelINS0_13select_configILj256ELj13ELNS0_17block_load_methodE3ELS4_3ELS4_3ELNS0_20block_scan_algorithmE0ELj4294967295EEENS1_25partition_config_selectorILNS1_17partition_subalgoE3EjNS0_10empty_typeEbEEZZNS1_14partition_implILS8_3ELb0ES6_jNS0_17counting_iteratorIjlEEPS9_SE_NS0_5tupleIJPjSE_EEENSF_IJSE_SE_EEES9_SG_JZNS1_25segmented_radix_sort_implINS0_14default_configELb0EPK12hip_bfloat16PSL_PKlPlN2at6native12_GLOBAL__N_18offset_tEEE10hipError_tPvRmT1_PNSt15iterator_traitsISZ_E10value_typeET2_T3_PNS10_IS15_E10value_typeET4_jRbjT5_S1B_jjP12ihipStream_tbEUljE_EEESW_SX_SY_S15_S19_S1B_T6_T7_T9_mT8_S1D_bDpT10_ENKUlT_T0_E_clISt17integral_constantIbLb1EES1P_IbLb0EEEEDaS1L_S1M_EUlS1L_E_NS1_11comp_targetILNS1_3genE0ELNS1_11target_archE4294967295ELNS1_3gpuE0ELNS1_3repE0EEENS1_30default_config_static_selectorELNS0_4arch9wavefront6targetE0EEEvSZ_,"axG",@progbits,_ZN7rocprim17ROCPRIM_400000_NS6detail17trampoline_kernelINS0_13select_configILj256ELj13ELNS0_17block_load_methodE3ELS4_3ELS4_3ELNS0_20block_scan_algorithmE0ELj4294967295EEENS1_25partition_config_selectorILNS1_17partition_subalgoE3EjNS0_10empty_typeEbEEZZNS1_14partition_implILS8_3ELb0ES6_jNS0_17counting_iteratorIjlEEPS9_SE_NS0_5tupleIJPjSE_EEENSF_IJSE_SE_EEES9_SG_JZNS1_25segmented_radix_sort_implINS0_14default_configELb0EPK12hip_bfloat16PSL_PKlPlN2at6native12_GLOBAL__N_18offset_tEEE10hipError_tPvRmT1_PNSt15iterator_traitsISZ_E10value_typeET2_T3_PNS10_IS15_E10value_typeET4_jRbjT5_S1B_jjP12ihipStream_tbEUljE_EEESW_SX_SY_S15_S19_S1B_T6_T7_T9_mT8_S1D_bDpT10_ENKUlT_T0_E_clISt17integral_constantIbLb1EES1P_IbLb0EEEEDaS1L_S1M_EUlS1L_E_NS1_11comp_targetILNS1_3genE0ELNS1_11target_archE4294967295ELNS1_3gpuE0ELNS1_3repE0EEENS1_30default_config_static_selectorELNS0_4arch9wavefront6targetE0EEEvSZ_,comdat
	.globl	_ZN7rocprim17ROCPRIM_400000_NS6detail17trampoline_kernelINS0_13select_configILj256ELj13ELNS0_17block_load_methodE3ELS4_3ELS4_3ELNS0_20block_scan_algorithmE0ELj4294967295EEENS1_25partition_config_selectorILNS1_17partition_subalgoE3EjNS0_10empty_typeEbEEZZNS1_14partition_implILS8_3ELb0ES6_jNS0_17counting_iteratorIjlEEPS9_SE_NS0_5tupleIJPjSE_EEENSF_IJSE_SE_EEES9_SG_JZNS1_25segmented_radix_sort_implINS0_14default_configELb0EPK12hip_bfloat16PSL_PKlPlN2at6native12_GLOBAL__N_18offset_tEEE10hipError_tPvRmT1_PNSt15iterator_traitsISZ_E10value_typeET2_T3_PNS10_IS15_E10value_typeET4_jRbjT5_S1B_jjP12ihipStream_tbEUljE_EEESW_SX_SY_S15_S19_S1B_T6_T7_T9_mT8_S1D_bDpT10_ENKUlT_T0_E_clISt17integral_constantIbLb1EES1P_IbLb0EEEEDaS1L_S1M_EUlS1L_E_NS1_11comp_targetILNS1_3genE0ELNS1_11target_archE4294967295ELNS1_3gpuE0ELNS1_3repE0EEENS1_30default_config_static_selectorELNS0_4arch9wavefront6targetE0EEEvSZ_ ; -- Begin function _ZN7rocprim17ROCPRIM_400000_NS6detail17trampoline_kernelINS0_13select_configILj256ELj13ELNS0_17block_load_methodE3ELS4_3ELS4_3ELNS0_20block_scan_algorithmE0ELj4294967295EEENS1_25partition_config_selectorILNS1_17partition_subalgoE3EjNS0_10empty_typeEbEEZZNS1_14partition_implILS8_3ELb0ES6_jNS0_17counting_iteratorIjlEEPS9_SE_NS0_5tupleIJPjSE_EEENSF_IJSE_SE_EEES9_SG_JZNS1_25segmented_radix_sort_implINS0_14default_configELb0EPK12hip_bfloat16PSL_PKlPlN2at6native12_GLOBAL__N_18offset_tEEE10hipError_tPvRmT1_PNSt15iterator_traitsISZ_E10value_typeET2_T3_PNS10_IS15_E10value_typeET4_jRbjT5_S1B_jjP12ihipStream_tbEUljE_EEESW_SX_SY_S15_S19_S1B_T6_T7_T9_mT8_S1D_bDpT10_ENKUlT_T0_E_clISt17integral_constantIbLb1EES1P_IbLb0EEEEDaS1L_S1M_EUlS1L_E_NS1_11comp_targetILNS1_3genE0ELNS1_11target_archE4294967295ELNS1_3gpuE0ELNS1_3repE0EEENS1_30default_config_static_selectorELNS0_4arch9wavefront6targetE0EEEvSZ_
	.p2align	8
	.type	_ZN7rocprim17ROCPRIM_400000_NS6detail17trampoline_kernelINS0_13select_configILj256ELj13ELNS0_17block_load_methodE3ELS4_3ELS4_3ELNS0_20block_scan_algorithmE0ELj4294967295EEENS1_25partition_config_selectorILNS1_17partition_subalgoE3EjNS0_10empty_typeEbEEZZNS1_14partition_implILS8_3ELb0ES6_jNS0_17counting_iteratorIjlEEPS9_SE_NS0_5tupleIJPjSE_EEENSF_IJSE_SE_EEES9_SG_JZNS1_25segmented_radix_sort_implINS0_14default_configELb0EPK12hip_bfloat16PSL_PKlPlN2at6native12_GLOBAL__N_18offset_tEEE10hipError_tPvRmT1_PNSt15iterator_traitsISZ_E10value_typeET2_T3_PNS10_IS15_E10value_typeET4_jRbjT5_S1B_jjP12ihipStream_tbEUljE_EEESW_SX_SY_S15_S19_S1B_T6_T7_T9_mT8_S1D_bDpT10_ENKUlT_T0_E_clISt17integral_constantIbLb1EES1P_IbLb0EEEEDaS1L_S1M_EUlS1L_E_NS1_11comp_targetILNS1_3genE0ELNS1_11target_archE4294967295ELNS1_3gpuE0ELNS1_3repE0EEENS1_30default_config_static_selectorELNS0_4arch9wavefront6targetE0EEEvSZ_,@function
_ZN7rocprim17ROCPRIM_400000_NS6detail17trampoline_kernelINS0_13select_configILj256ELj13ELNS0_17block_load_methodE3ELS4_3ELS4_3ELNS0_20block_scan_algorithmE0ELj4294967295EEENS1_25partition_config_selectorILNS1_17partition_subalgoE3EjNS0_10empty_typeEbEEZZNS1_14partition_implILS8_3ELb0ES6_jNS0_17counting_iteratorIjlEEPS9_SE_NS0_5tupleIJPjSE_EEENSF_IJSE_SE_EEES9_SG_JZNS1_25segmented_radix_sort_implINS0_14default_configELb0EPK12hip_bfloat16PSL_PKlPlN2at6native12_GLOBAL__N_18offset_tEEE10hipError_tPvRmT1_PNSt15iterator_traitsISZ_E10value_typeET2_T3_PNS10_IS15_E10value_typeET4_jRbjT5_S1B_jjP12ihipStream_tbEUljE_EEESW_SX_SY_S15_S19_S1B_T6_T7_T9_mT8_S1D_bDpT10_ENKUlT_T0_E_clISt17integral_constantIbLb1EES1P_IbLb0EEEEDaS1L_S1M_EUlS1L_E_NS1_11comp_targetILNS1_3genE0ELNS1_11target_archE4294967295ELNS1_3gpuE0ELNS1_3repE0EEENS1_30default_config_static_selectorELNS0_4arch9wavefront6targetE0EEEvSZ_: ; @_ZN7rocprim17ROCPRIM_400000_NS6detail17trampoline_kernelINS0_13select_configILj256ELj13ELNS0_17block_load_methodE3ELS4_3ELS4_3ELNS0_20block_scan_algorithmE0ELj4294967295EEENS1_25partition_config_selectorILNS1_17partition_subalgoE3EjNS0_10empty_typeEbEEZZNS1_14partition_implILS8_3ELb0ES6_jNS0_17counting_iteratorIjlEEPS9_SE_NS0_5tupleIJPjSE_EEENSF_IJSE_SE_EEES9_SG_JZNS1_25segmented_radix_sort_implINS0_14default_configELb0EPK12hip_bfloat16PSL_PKlPlN2at6native12_GLOBAL__N_18offset_tEEE10hipError_tPvRmT1_PNSt15iterator_traitsISZ_E10value_typeET2_T3_PNS10_IS15_E10value_typeET4_jRbjT5_S1B_jjP12ihipStream_tbEUljE_EEESW_SX_SY_S15_S19_S1B_T6_T7_T9_mT8_S1D_bDpT10_ENKUlT_T0_E_clISt17integral_constantIbLb1EES1P_IbLb0EEEEDaS1L_S1M_EUlS1L_E_NS1_11comp_targetILNS1_3genE0ELNS1_11target_archE4294967295ELNS1_3gpuE0ELNS1_3repE0EEENS1_30default_config_static_selectorELNS0_4arch9wavefront6targetE0EEEvSZ_
; %bb.0:
	.section	.rodata,"a",@progbits
	.p2align	6, 0x0
	.amdhsa_kernel _ZN7rocprim17ROCPRIM_400000_NS6detail17trampoline_kernelINS0_13select_configILj256ELj13ELNS0_17block_load_methodE3ELS4_3ELS4_3ELNS0_20block_scan_algorithmE0ELj4294967295EEENS1_25partition_config_selectorILNS1_17partition_subalgoE3EjNS0_10empty_typeEbEEZZNS1_14partition_implILS8_3ELb0ES6_jNS0_17counting_iteratorIjlEEPS9_SE_NS0_5tupleIJPjSE_EEENSF_IJSE_SE_EEES9_SG_JZNS1_25segmented_radix_sort_implINS0_14default_configELb0EPK12hip_bfloat16PSL_PKlPlN2at6native12_GLOBAL__N_18offset_tEEE10hipError_tPvRmT1_PNSt15iterator_traitsISZ_E10value_typeET2_T3_PNS10_IS15_E10value_typeET4_jRbjT5_S1B_jjP12ihipStream_tbEUljE_EEESW_SX_SY_S15_S19_S1B_T6_T7_T9_mT8_S1D_bDpT10_ENKUlT_T0_E_clISt17integral_constantIbLb1EES1P_IbLb0EEEEDaS1L_S1M_EUlS1L_E_NS1_11comp_targetILNS1_3genE0ELNS1_11target_archE4294967295ELNS1_3gpuE0ELNS1_3repE0EEENS1_30default_config_static_selectorELNS0_4arch9wavefront6targetE0EEEvSZ_
		.amdhsa_group_segment_fixed_size 0
		.amdhsa_private_segment_fixed_size 0
		.amdhsa_kernarg_size 144
		.amdhsa_user_sgpr_count 15
		.amdhsa_user_sgpr_dispatch_ptr 0
		.amdhsa_user_sgpr_queue_ptr 0
		.amdhsa_user_sgpr_kernarg_segment_ptr 1
		.amdhsa_user_sgpr_dispatch_id 0
		.amdhsa_user_sgpr_private_segment_size 0
		.amdhsa_wavefront_size32 1
		.amdhsa_uses_dynamic_stack 0
		.amdhsa_enable_private_segment 0
		.amdhsa_system_sgpr_workgroup_id_x 1
		.amdhsa_system_sgpr_workgroup_id_y 0
		.amdhsa_system_sgpr_workgroup_id_z 0
		.amdhsa_system_sgpr_workgroup_info 0
		.amdhsa_system_vgpr_workitem_id 0
		.amdhsa_next_free_vgpr 1
		.amdhsa_next_free_sgpr 1
		.amdhsa_reserve_vcc 0
		.amdhsa_float_round_mode_32 0
		.amdhsa_float_round_mode_16_64 0
		.amdhsa_float_denorm_mode_32 3
		.amdhsa_float_denorm_mode_16_64 3
		.amdhsa_dx10_clamp 1
		.amdhsa_ieee_mode 1
		.amdhsa_fp16_overflow 0
		.amdhsa_workgroup_processor_mode 1
		.amdhsa_memory_ordered 1
		.amdhsa_forward_progress 0
		.amdhsa_shared_vgpr_count 0
		.amdhsa_exception_fp_ieee_invalid_op 0
		.amdhsa_exception_fp_denorm_src 0
		.amdhsa_exception_fp_ieee_div_zero 0
		.amdhsa_exception_fp_ieee_overflow 0
		.amdhsa_exception_fp_ieee_underflow 0
		.amdhsa_exception_fp_ieee_inexact 0
		.amdhsa_exception_int_div_zero 0
	.end_amdhsa_kernel
	.section	.text._ZN7rocprim17ROCPRIM_400000_NS6detail17trampoline_kernelINS0_13select_configILj256ELj13ELNS0_17block_load_methodE3ELS4_3ELS4_3ELNS0_20block_scan_algorithmE0ELj4294967295EEENS1_25partition_config_selectorILNS1_17partition_subalgoE3EjNS0_10empty_typeEbEEZZNS1_14partition_implILS8_3ELb0ES6_jNS0_17counting_iteratorIjlEEPS9_SE_NS0_5tupleIJPjSE_EEENSF_IJSE_SE_EEES9_SG_JZNS1_25segmented_radix_sort_implINS0_14default_configELb0EPK12hip_bfloat16PSL_PKlPlN2at6native12_GLOBAL__N_18offset_tEEE10hipError_tPvRmT1_PNSt15iterator_traitsISZ_E10value_typeET2_T3_PNS10_IS15_E10value_typeET4_jRbjT5_S1B_jjP12ihipStream_tbEUljE_EEESW_SX_SY_S15_S19_S1B_T6_T7_T9_mT8_S1D_bDpT10_ENKUlT_T0_E_clISt17integral_constantIbLb1EES1P_IbLb0EEEEDaS1L_S1M_EUlS1L_E_NS1_11comp_targetILNS1_3genE0ELNS1_11target_archE4294967295ELNS1_3gpuE0ELNS1_3repE0EEENS1_30default_config_static_selectorELNS0_4arch9wavefront6targetE0EEEvSZ_,"axG",@progbits,_ZN7rocprim17ROCPRIM_400000_NS6detail17trampoline_kernelINS0_13select_configILj256ELj13ELNS0_17block_load_methodE3ELS4_3ELS4_3ELNS0_20block_scan_algorithmE0ELj4294967295EEENS1_25partition_config_selectorILNS1_17partition_subalgoE3EjNS0_10empty_typeEbEEZZNS1_14partition_implILS8_3ELb0ES6_jNS0_17counting_iteratorIjlEEPS9_SE_NS0_5tupleIJPjSE_EEENSF_IJSE_SE_EEES9_SG_JZNS1_25segmented_radix_sort_implINS0_14default_configELb0EPK12hip_bfloat16PSL_PKlPlN2at6native12_GLOBAL__N_18offset_tEEE10hipError_tPvRmT1_PNSt15iterator_traitsISZ_E10value_typeET2_T3_PNS10_IS15_E10value_typeET4_jRbjT5_S1B_jjP12ihipStream_tbEUljE_EEESW_SX_SY_S15_S19_S1B_T6_T7_T9_mT8_S1D_bDpT10_ENKUlT_T0_E_clISt17integral_constantIbLb1EES1P_IbLb0EEEEDaS1L_S1M_EUlS1L_E_NS1_11comp_targetILNS1_3genE0ELNS1_11target_archE4294967295ELNS1_3gpuE0ELNS1_3repE0EEENS1_30default_config_static_selectorELNS0_4arch9wavefront6targetE0EEEvSZ_,comdat
.Lfunc_end2033:
	.size	_ZN7rocprim17ROCPRIM_400000_NS6detail17trampoline_kernelINS0_13select_configILj256ELj13ELNS0_17block_load_methodE3ELS4_3ELS4_3ELNS0_20block_scan_algorithmE0ELj4294967295EEENS1_25partition_config_selectorILNS1_17partition_subalgoE3EjNS0_10empty_typeEbEEZZNS1_14partition_implILS8_3ELb0ES6_jNS0_17counting_iteratorIjlEEPS9_SE_NS0_5tupleIJPjSE_EEENSF_IJSE_SE_EEES9_SG_JZNS1_25segmented_radix_sort_implINS0_14default_configELb0EPK12hip_bfloat16PSL_PKlPlN2at6native12_GLOBAL__N_18offset_tEEE10hipError_tPvRmT1_PNSt15iterator_traitsISZ_E10value_typeET2_T3_PNS10_IS15_E10value_typeET4_jRbjT5_S1B_jjP12ihipStream_tbEUljE_EEESW_SX_SY_S15_S19_S1B_T6_T7_T9_mT8_S1D_bDpT10_ENKUlT_T0_E_clISt17integral_constantIbLb1EES1P_IbLb0EEEEDaS1L_S1M_EUlS1L_E_NS1_11comp_targetILNS1_3genE0ELNS1_11target_archE4294967295ELNS1_3gpuE0ELNS1_3repE0EEENS1_30default_config_static_selectorELNS0_4arch9wavefront6targetE0EEEvSZ_, .Lfunc_end2033-_ZN7rocprim17ROCPRIM_400000_NS6detail17trampoline_kernelINS0_13select_configILj256ELj13ELNS0_17block_load_methodE3ELS4_3ELS4_3ELNS0_20block_scan_algorithmE0ELj4294967295EEENS1_25partition_config_selectorILNS1_17partition_subalgoE3EjNS0_10empty_typeEbEEZZNS1_14partition_implILS8_3ELb0ES6_jNS0_17counting_iteratorIjlEEPS9_SE_NS0_5tupleIJPjSE_EEENSF_IJSE_SE_EEES9_SG_JZNS1_25segmented_radix_sort_implINS0_14default_configELb0EPK12hip_bfloat16PSL_PKlPlN2at6native12_GLOBAL__N_18offset_tEEE10hipError_tPvRmT1_PNSt15iterator_traitsISZ_E10value_typeET2_T3_PNS10_IS15_E10value_typeET4_jRbjT5_S1B_jjP12ihipStream_tbEUljE_EEESW_SX_SY_S15_S19_S1B_T6_T7_T9_mT8_S1D_bDpT10_ENKUlT_T0_E_clISt17integral_constantIbLb1EES1P_IbLb0EEEEDaS1L_S1M_EUlS1L_E_NS1_11comp_targetILNS1_3genE0ELNS1_11target_archE4294967295ELNS1_3gpuE0ELNS1_3repE0EEENS1_30default_config_static_selectorELNS0_4arch9wavefront6targetE0EEEvSZ_
                                        ; -- End function
	.section	.AMDGPU.csdata,"",@progbits
; Kernel info:
; codeLenInByte = 0
; NumSgprs: 0
; NumVgprs: 0
; ScratchSize: 0
; MemoryBound: 0
; FloatMode: 240
; IeeeMode: 1
; LDSByteSize: 0 bytes/workgroup (compile time only)
; SGPRBlocks: 0
; VGPRBlocks: 0
; NumSGPRsForWavesPerEU: 1
; NumVGPRsForWavesPerEU: 1
; Occupancy: 16
; WaveLimiterHint : 0
; COMPUTE_PGM_RSRC2:SCRATCH_EN: 0
; COMPUTE_PGM_RSRC2:USER_SGPR: 15
; COMPUTE_PGM_RSRC2:TRAP_HANDLER: 0
; COMPUTE_PGM_RSRC2:TGID_X_EN: 1
; COMPUTE_PGM_RSRC2:TGID_Y_EN: 0
; COMPUTE_PGM_RSRC2:TGID_Z_EN: 0
; COMPUTE_PGM_RSRC2:TIDIG_COMP_CNT: 0
	.section	.text._ZN7rocprim17ROCPRIM_400000_NS6detail17trampoline_kernelINS0_13select_configILj256ELj13ELNS0_17block_load_methodE3ELS4_3ELS4_3ELNS0_20block_scan_algorithmE0ELj4294967295EEENS1_25partition_config_selectorILNS1_17partition_subalgoE3EjNS0_10empty_typeEbEEZZNS1_14partition_implILS8_3ELb0ES6_jNS0_17counting_iteratorIjlEEPS9_SE_NS0_5tupleIJPjSE_EEENSF_IJSE_SE_EEES9_SG_JZNS1_25segmented_radix_sort_implINS0_14default_configELb0EPK12hip_bfloat16PSL_PKlPlN2at6native12_GLOBAL__N_18offset_tEEE10hipError_tPvRmT1_PNSt15iterator_traitsISZ_E10value_typeET2_T3_PNS10_IS15_E10value_typeET4_jRbjT5_S1B_jjP12ihipStream_tbEUljE_EEESW_SX_SY_S15_S19_S1B_T6_T7_T9_mT8_S1D_bDpT10_ENKUlT_T0_E_clISt17integral_constantIbLb1EES1P_IbLb0EEEEDaS1L_S1M_EUlS1L_E_NS1_11comp_targetILNS1_3genE5ELNS1_11target_archE942ELNS1_3gpuE9ELNS1_3repE0EEENS1_30default_config_static_selectorELNS0_4arch9wavefront6targetE0EEEvSZ_,"axG",@progbits,_ZN7rocprim17ROCPRIM_400000_NS6detail17trampoline_kernelINS0_13select_configILj256ELj13ELNS0_17block_load_methodE3ELS4_3ELS4_3ELNS0_20block_scan_algorithmE0ELj4294967295EEENS1_25partition_config_selectorILNS1_17partition_subalgoE3EjNS0_10empty_typeEbEEZZNS1_14partition_implILS8_3ELb0ES6_jNS0_17counting_iteratorIjlEEPS9_SE_NS0_5tupleIJPjSE_EEENSF_IJSE_SE_EEES9_SG_JZNS1_25segmented_radix_sort_implINS0_14default_configELb0EPK12hip_bfloat16PSL_PKlPlN2at6native12_GLOBAL__N_18offset_tEEE10hipError_tPvRmT1_PNSt15iterator_traitsISZ_E10value_typeET2_T3_PNS10_IS15_E10value_typeET4_jRbjT5_S1B_jjP12ihipStream_tbEUljE_EEESW_SX_SY_S15_S19_S1B_T6_T7_T9_mT8_S1D_bDpT10_ENKUlT_T0_E_clISt17integral_constantIbLb1EES1P_IbLb0EEEEDaS1L_S1M_EUlS1L_E_NS1_11comp_targetILNS1_3genE5ELNS1_11target_archE942ELNS1_3gpuE9ELNS1_3repE0EEENS1_30default_config_static_selectorELNS0_4arch9wavefront6targetE0EEEvSZ_,comdat
	.globl	_ZN7rocprim17ROCPRIM_400000_NS6detail17trampoline_kernelINS0_13select_configILj256ELj13ELNS0_17block_load_methodE3ELS4_3ELS4_3ELNS0_20block_scan_algorithmE0ELj4294967295EEENS1_25partition_config_selectorILNS1_17partition_subalgoE3EjNS0_10empty_typeEbEEZZNS1_14partition_implILS8_3ELb0ES6_jNS0_17counting_iteratorIjlEEPS9_SE_NS0_5tupleIJPjSE_EEENSF_IJSE_SE_EEES9_SG_JZNS1_25segmented_radix_sort_implINS0_14default_configELb0EPK12hip_bfloat16PSL_PKlPlN2at6native12_GLOBAL__N_18offset_tEEE10hipError_tPvRmT1_PNSt15iterator_traitsISZ_E10value_typeET2_T3_PNS10_IS15_E10value_typeET4_jRbjT5_S1B_jjP12ihipStream_tbEUljE_EEESW_SX_SY_S15_S19_S1B_T6_T7_T9_mT8_S1D_bDpT10_ENKUlT_T0_E_clISt17integral_constantIbLb1EES1P_IbLb0EEEEDaS1L_S1M_EUlS1L_E_NS1_11comp_targetILNS1_3genE5ELNS1_11target_archE942ELNS1_3gpuE9ELNS1_3repE0EEENS1_30default_config_static_selectorELNS0_4arch9wavefront6targetE0EEEvSZ_ ; -- Begin function _ZN7rocprim17ROCPRIM_400000_NS6detail17trampoline_kernelINS0_13select_configILj256ELj13ELNS0_17block_load_methodE3ELS4_3ELS4_3ELNS0_20block_scan_algorithmE0ELj4294967295EEENS1_25partition_config_selectorILNS1_17partition_subalgoE3EjNS0_10empty_typeEbEEZZNS1_14partition_implILS8_3ELb0ES6_jNS0_17counting_iteratorIjlEEPS9_SE_NS0_5tupleIJPjSE_EEENSF_IJSE_SE_EEES9_SG_JZNS1_25segmented_radix_sort_implINS0_14default_configELb0EPK12hip_bfloat16PSL_PKlPlN2at6native12_GLOBAL__N_18offset_tEEE10hipError_tPvRmT1_PNSt15iterator_traitsISZ_E10value_typeET2_T3_PNS10_IS15_E10value_typeET4_jRbjT5_S1B_jjP12ihipStream_tbEUljE_EEESW_SX_SY_S15_S19_S1B_T6_T7_T9_mT8_S1D_bDpT10_ENKUlT_T0_E_clISt17integral_constantIbLb1EES1P_IbLb0EEEEDaS1L_S1M_EUlS1L_E_NS1_11comp_targetILNS1_3genE5ELNS1_11target_archE942ELNS1_3gpuE9ELNS1_3repE0EEENS1_30default_config_static_selectorELNS0_4arch9wavefront6targetE0EEEvSZ_
	.p2align	8
	.type	_ZN7rocprim17ROCPRIM_400000_NS6detail17trampoline_kernelINS0_13select_configILj256ELj13ELNS0_17block_load_methodE3ELS4_3ELS4_3ELNS0_20block_scan_algorithmE0ELj4294967295EEENS1_25partition_config_selectorILNS1_17partition_subalgoE3EjNS0_10empty_typeEbEEZZNS1_14partition_implILS8_3ELb0ES6_jNS0_17counting_iteratorIjlEEPS9_SE_NS0_5tupleIJPjSE_EEENSF_IJSE_SE_EEES9_SG_JZNS1_25segmented_radix_sort_implINS0_14default_configELb0EPK12hip_bfloat16PSL_PKlPlN2at6native12_GLOBAL__N_18offset_tEEE10hipError_tPvRmT1_PNSt15iterator_traitsISZ_E10value_typeET2_T3_PNS10_IS15_E10value_typeET4_jRbjT5_S1B_jjP12ihipStream_tbEUljE_EEESW_SX_SY_S15_S19_S1B_T6_T7_T9_mT8_S1D_bDpT10_ENKUlT_T0_E_clISt17integral_constantIbLb1EES1P_IbLb0EEEEDaS1L_S1M_EUlS1L_E_NS1_11comp_targetILNS1_3genE5ELNS1_11target_archE942ELNS1_3gpuE9ELNS1_3repE0EEENS1_30default_config_static_selectorELNS0_4arch9wavefront6targetE0EEEvSZ_,@function
_ZN7rocprim17ROCPRIM_400000_NS6detail17trampoline_kernelINS0_13select_configILj256ELj13ELNS0_17block_load_methodE3ELS4_3ELS4_3ELNS0_20block_scan_algorithmE0ELj4294967295EEENS1_25partition_config_selectorILNS1_17partition_subalgoE3EjNS0_10empty_typeEbEEZZNS1_14partition_implILS8_3ELb0ES6_jNS0_17counting_iteratorIjlEEPS9_SE_NS0_5tupleIJPjSE_EEENSF_IJSE_SE_EEES9_SG_JZNS1_25segmented_radix_sort_implINS0_14default_configELb0EPK12hip_bfloat16PSL_PKlPlN2at6native12_GLOBAL__N_18offset_tEEE10hipError_tPvRmT1_PNSt15iterator_traitsISZ_E10value_typeET2_T3_PNS10_IS15_E10value_typeET4_jRbjT5_S1B_jjP12ihipStream_tbEUljE_EEESW_SX_SY_S15_S19_S1B_T6_T7_T9_mT8_S1D_bDpT10_ENKUlT_T0_E_clISt17integral_constantIbLb1EES1P_IbLb0EEEEDaS1L_S1M_EUlS1L_E_NS1_11comp_targetILNS1_3genE5ELNS1_11target_archE942ELNS1_3gpuE9ELNS1_3repE0EEENS1_30default_config_static_selectorELNS0_4arch9wavefront6targetE0EEEvSZ_: ; @_ZN7rocprim17ROCPRIM_400000_NS6detail17trampoline_kernelINS0_13select_configILj256ELj13ELNS0_17block_load_methodE3ELS4_3ELS4_3ELNS0_20block_scan_algorithmE0ELj4294967295EEENS1_25partition_config_selectorILNS1_17partition_subalgoE3EjNS0_10empty_typeEbEEZZNS1_14partition_implILS8_3ELb0ES6_jNS0_17counting_iteratorIjlEEPS9_SE_NS0_5tupleIJPjSE_EEENSF_IJSE_SE_EEES9_SG_JZNS1_25segmented_radix_sort_implINS0_14default_configELb0EPK12hip_bfloat16PSL_PKlPlN2at6native12_GLOBAL__N_18offset_tEEE10hipError_tPvRmT1_PNSt15iterator_traitsISZ_E10value_typeET2_T3_PNS10_IS15_E10value_typeET4_jRbjT5_S1B_jjP12ihipStream_tbEUljE_EEESW_SX_SY_S15_S19_S1B_T6_T7_T9_mT8_S1D_bDpT10_ENKUlT_T0_E_clISt17integral_constantIbLb1EES1P_IbLb0EEEEDaS1L_S1M_EUlS1L_E_NS1_11comp_targetILNS1_3genE5ELNS1_11target_archE942ELNS1_3gpuE9ELNS1_3repE0EEENS1_30default_config_static_selectorELNS0_4arch9wavefront6targetE0EEEvSZ_
; %bb.0:
	.section	.rodata,"a",@progbits
	.p2align	6, 0x0
	.amdhsa_kernel _ZN7rocprim17ROCPRIM_400000_NS6detail17trampoline_kernelINS0_13select_configILj256ELj13ELNS0_17block_load_methodE3ELS4_3ELS4_3ELNS0_20block_scan_algorithmE0ELj4294967295EEENS1_25partition_config_selectorILNS1_17partition_subalgoE3EjNS0_10empty_typeEbEEZZNS1_14partition_implILS8_3ELb0ES6_jNS0_17counting_iteratorIjlEEPS9_SE_NS0_5tupleIJPjSE_EEENSF_IJSE_SE_EEES9_SG_JZNS1_25segmented_radix_sort_implINS0_14default_configELb0EPK12hip_bfloat16PSL_PKlPlN2at6native12_GLOBAL__N_18offset_tEEE10hipError_tPvRmT1_PNSt15iterator_traitsISZ_E10value_typeET2_T3_PNS10_IS15_E10value_typeET4_jRbjT5_S1B_jjP12ihipStream_tbEUljE_EEESW_SX_SY_S15_S19_S1B_T6_T7_T9_mT8_S1D_bDpT10_ENKUlT_T0_E_clISt17integral_constantIbLb1EES1P_IbLb0EEEEDaS1L_S1M_EUlS1L_E_NS1_11comp_targetILNS1_3genE5ELNS1_11target_archE942ELNS1_3gpuE9ELNS1_3repE0EEENS1_30default_config_static_selectorELNS0_4arch9wavefront6targetE0EEEvSZ_
		.amdhsa_group_segment_fixed_size 0
		.amdhsa_private_segment_fixed_size 0
		.amdhsa_kernarg_size 144
		.amdhsa_user_sgpr_count 15
		.amdhsa_user_sgpr_dispatch_ptr 0
		.amdhsa_user_sgpr_queue_ptr 0
		.amdhsa_user_sgpr_kernarg_segment_ptr 1
		.amdhsa_user_sgpr_dispatch_id 0
		.amdhsa_user_sgpr_private_segment_size 0
		.amdhsa_wavefront_size32 1
		.amdhsa_uses_dynamic_stack 0
		.amdhsa_enable_private_segment 0
		.amdhsa_system_sgpr_workgroup_id_x 1
		.amdhsa_system_sgpr_workgroup_id_y 0
		.amdhsa_system_sgpr_workgroup_id_z 0
		.amdhsa_system_sgpr_workgroup_info 0
		.amdhsa_system_vgpr_workitem_id 0
		.amdhsa_next_free_vgpr 1
		.amdhsa_next_free_sgpr 1
		.amdhsa_reserve_vcc 0
		.amdhsa_float_round_mode_32 0
		.amdhsa_float_round_mode_16_64 0
		.amdhsa_float_denorm_mode_32 3
		.amdhsa_float_denorm_mode_16_64 3
		.amdhsa_dx10_clamp 1
		.amdhsa_ieee_mode 1
		.amdhsa_fp16_overflow 0
		.amdhsa_workgroup_processor_mode 1
		.amdhsa_memory_ordered 1
		.amdhsa_forward_progress 0
		.amdhsa_shared_vgpr_count 0
		.amdhsa_exception_fp_ieee_invalid_op 0
		.amdhsa_exception_fp_denorm_src 0
		.amdhsa_exception_fp_ieee_div_zero 0
		.amdhsa_exception_fp_ieee_overflow 0
		.amdhsa_exception_fp_ieee_underflow 0
		.amdhsa_exception_fp_ieee_inexact 0
		.amdhsa_exception_int_div_zero 0
	.end_amdhsa_kernel
	.section	.text._ZN7rocprim17ROCPRIM_400000_NS6detail17trampoline_kernelINS0_13select_configILj256ELj13ELNS0_17block_load_methodE3ELS4_3ELS4_3ELNS0_20block_scan_algorithmE0ELj4294967295EEENS1_25partition_config_selectorILNS1_17partition_subalgoE3EjNS0_10empty_typeEbEEZZNS1_14partition_implILS8_3ELb0ES6_jNS0_17counting_iteratorIjlEEPS9_SE_NS0_5tupleIJPjSE_EEENSF_IJSE_SE_EEES9_SG_JZNS1_25segmented_radix_sort_implINS0_14default_configELb0EPK12hip_bfloat16PSL_PKlPlN2at6native12_GLOBAL__N_18offset_tEEE10hipError_tPvRmT1_PNSt15iterator_traitsISZ_E10value_typeET2_T3_PNS10_IS15_E10value_typeET4_jRbjT5_S1B_jjP12ihipStream_tbEUljE_EEESW_SX_SY_S15_S19_S1B_T6_T7_T9_mT8_S1D_bDpT10_ENKUlT_T0_E_clISt17integral_constantIbLb1EES1P_IbLb0EEEEDaS1L_S1M_EUlS1L_E_NS1_11comp_targetILNS1_3genE5ELNS1_11target_archE942ELNS1_3gpuE9ELNS1_3repE0EEENS1_30default_config_static_selectorELNS0_4arch9wavefront6targetE0EEEvSZ_,"axG",@progbits,_ZN7rocprim17ROCPRIM_400000_NS6detail17trampoline_kernelINS0_13select_configILj256ELj13ELNS0_17block_load_methodE3ELS4_3ELS4_3ELNS0_20block_scan_algorithmE0ELj4294967295EEENS1_25partition_config_selectorILNS1_17partition_subalgoE3EjNS0_10empty_typeEbEEZZNS1_14partition_implILS8_3ELb0ES6_jNS0_17counting_iteratorIjlEEPS9_SE_NS0_5tupleIJPjSE_EEENSF_IJSE_SE_EEES9_SG_JZNS1_25segmented_radix_sort_implINS0_14default_configELb0EPK12hip_bfloat16PSL_PKlPlN2at6native12_GLOBAL__N_18offset_tEEE10hipError_tPvRmT1_PNSt15iterator_traitsISZ_E10value_typeET2_T3_PNS10_IS15_E10value_typeET4_jRbjT5_S1B_jjP12ihipStream_tbEUljE_EEESW_SX_SY_S15_S19_S1B_T6_T7_T9_mT8_S1D_bDpT10_ENKUlT_T0_E_clISt17integral_constantIbLb1EES1P_IbLb0EEEEDaS1L_S1M_EUlS1L_E_NS1_11comp_targetILNS1_3genE5ELNS1_11target_archE942ELNS1_3gpuE9ELNS1_3repE0EEENS1_30default_config_static_selectorELNS0_4arch9wavefront6targetE0EEEvSZ_,comdat
.Lfunc_end2034:
	.size	_ZN7rocprim17ROCPRIM_400000_NS6detail17trampoline_kernelINS0_13select_configILj256ELj13ELNS0_17block_load_methodE3ELS4_3ELS4_3ELNS0_20block_scan_algorithmE0ELj4294967295EEENS1_25partition_config_selectorILNS1_17partition_subalgoE3EjNS0_10empty_typeEbEEZZNS1_14partition_implILS8_3ELb0ES6_jNS0_17counting_iteratorIjlEEPS9_SE_NS0_5tupleIJPjSE_EEENSF_IJSE_SE_EEES9_SG_JZNS1_25segmented_radix_sort_implINS0_14default_configELb0EPK12hip_bfloat16PSL_PKlPlN2at6native12_GLOBAL__N_18offset_tEEE10hipError_tPvRmT1_PNSt15iterator_traitsISZ_E10value_typeET2_T3_PNS10_IS15_E10value_typeET4_jRbjT5_S1B_jjP12ihipStream_tbEUljE_EEESW_SX_SY_S15_S19_S1B_T6_T7_T9_mT8_S1D_bDpT10_ENKUlT_T0_E_clISt17integral_constantIbLb1EES1P_IbLb0EEEEDaS1L_S1M_EUlS1L_E_NS1_11comp_targetILNS1_3genE5ELNS1_11target_archE942ELNS1_3gpuE9ELNS1_3repE0EEENS1_30default_config_static_selectorELNS0_4arch9wavefront6targetE0EEEvSZ_, .Lfunc_end2034-_ZN7rocprim17ROCPRIM_400000_NS6detail17trampoline_kernelINS0_13select_configILj256ELj13ELNS0_17block_load_methodE3ELS4_3ELS4_3ELNS0_20block_scan_algorithmE0ELj4294967295EEENS1_25partition_config_selectorILNS1_17partition_subalgoE3EjNS0_10empty_typeEbEEZZNS1_14partition_implILS8_3ELb0ES6_jNS0_17counting_iteratorIjlEEPS9_SE_NS0_5tupleIJPjSE_EEENSF_IJSE_SE_EEES9_SG_JZNS1_25segmented_radix_sort_implINS0_14default_configELb0EPK12hip_bfloat16PSL_PKlPlN2at6native12_GLOBAL__N_18offset_tEEE10hipError_tPvRmT1_PNSt15iterator_traitsISZ_E10value_typeET2_T3_PNS10_IS15_E10value_typeET4_jRbjT5_S1B_jjP12ihipStream_tbEUljE_EEESW_SX_SY_S15_S19_S1B_T6_T7_T9_mT8_S1D_bDpT10_ENKUlT_T0_E_clISt17integral_constantIbLb1EES1P_IbLb0EEEEDaS1L_S1M_EUlS1L_E_NS1_11comp_targetILNS1_3genE5ELNS1_11target_archE942ELNS1_3gpuE9ELNS1_3repE0EEENS1_30default_config_static_selectorELNS0_4arch9wavefront6targetE0EEEvSZ_
                                        ; -- End function
	.section	.AMDGPU.csdata,"",@progbits
; Kernel info:
; codeLenInByte = 0
; NumSgprs: 0
; NumVgprs: 0
; ScratchSize: 0
; MemoryBound: 0
; FloatMode: 240
; IeeeMode: 1
; LDSByteSize: 0 bytes/workgroup (compile time only)
; SGPRBlocks: 0
; VGPRBlocks: 0
; NumSGPRsForWavesPerEU: 1
; NumVGPRsForWavesPerEU: 1
; Occupancy: 16
; WaveLimiterHint : 0
; COMPUTE_PGM_RSRC2:SCRATCH_EN: 0
; COMPUTE_PGM_RSRC2:USER_SGPR: 15
; COMPUTE_PGM_RSRC2:TRAP_HANDLER: 0
; COMPUTE_PGM_RSRC2:TGID_X_EN: 1
; COMPUTE_PGM_RSRC2:TGID_Y_EN: 0
; COMPUTE_PGM_RSRC2:TGID_Z_EN: 0
; COMPUTE_PGM_RSRC2:TIDIG_COMP_CNT: 0
	.section	.text._ZN7rocprim17ROCPRIM_400000_NS6detail17trampoline_kernelINS0_13select_configILj256ELj13ELNS0_17block_load_methodE3ELS4_3ELS4_3ELNS0_20block_scan_algorithmE0ELj4294967295EEENS1_25partition_config_selectorILNS1_17partition_subalgoE3EjNS0_10empty_typeEbEEZZNS1_14partition_implILS8_3ELb0ES6_jNS0_17counting_iteratorIjlEEPS9_SE_NS0_5tupleIJPjSE_EEENSF_IJSE_SE_EEES9_SG_JZNS1_25segmented_radix_sort_implINS0_14default_configELb0EPK12hip_bfloat16PSL_PKlPlN2at6native12_GLOBAL__N_18offset_tEEE10hipError_tPvRmT1_PNSt15iterator_traitsISZ_E10value_typeET2_T3_PNS10_IS15_E10value_typeET4_jRbjT5_S1B_jjP12ihipStream_tbEUljE_EEESW_SX_SY_S15_S19_S1B_T6_T7_T9_mT8_S1D_bDpT10_ENKUlT_T0_E_clISt17integral_constantIbLb1EES1P_IbLb0EEEEDaS1L_S1M_EUlS1L_E_NS1_11comp_targetILNS1_3genE4ELNS1_11target_archE910ELNS1_3gpuE8ELNS1_3repE0EEENS1_30default_config_static_selectorELNS0_4arch9wavefront6targetE0EEEvSZ_,"axG",@progbits,_ZN7rocprim17ROCPRIM_400000_NS6detail17trampoline_kernelINS0_13select_configILj256ELj13ELNS0_17block_load_methodE3ELS4_3ELS4_3ELNS0_20block_scan_algorithmE0ELj4294967295EEENS1_25partition_config_selectorILNS1_17partition_subalgoE3EjNS0_10empty_typeEbEEZZNS1_14partition_implILS8_3ELb0ES6_jNS0_17counting_iteratorIjlEEPS9_SE_NS0_5tupleIJPjSE_EEENSF_IJSE_SE_EEES9_SG_JZNS1_25segmented_radix_sort_implINS0_14default_configELb0EPK12hip_bfloat16PSL_PKlPlN2at6native12_GLOBAL__N_18offset_tEEE10hipError_tPvRmT1_PNSt15iterator_traitsISZ_E10value_typeET2_T3_PNS10_IS15_E10value_typeET4_jRbjT5_S1B_jjP12ihipStream_tbEUljE_EEESW_SX_SY_S15_S19_S1B_T6_T7_T9_mT8_S1D_bDpT10_ENKUlT_T0_E_clISt17integral_constantIbLb1EES1P_IbLb0EEEEDaS1L_S1M_EUlS1L_E_NS1_11comp_targetILNS1_3genE4ELNS1_11target_archE910ELNS1_3gpuE8ELNS1_3repE0EEENS1_30default_config_static_selectorELNS0_4arch9wavefront6targetE0EEEvSZ_,comdat
	.globl	_ZN7rocprim17ROCPRIM_400000_NS6detail17trampoline_kernelINS0_13select_configILj256ELj13ELNS0_17block_load_methodE3ELS4_3ELS4_3ELNS0_20block_scan_algorithmE0ELj4294967295EEENS1_25partition_config_selectorILNS1_17partition_subalgoE3EjNS0_10empty_typeEbEEZZNS1_14partition_implILS8_3ELb0ES6_jNS0_17counting_iteratorIjlEEPS9_SE_NS0_5tupleIJPjSE_EEENSF_IJSE_SE_EEES9_SG_JZNS1_25segmented_radix_sort_implINS0_14default_configELb0EPK12hip_bfloat16PSL_PKlPlN2at6native12_GLOBAL__N_18offset_tEEE10hipError_tPvRmT1_PNSt15iterator_traitsISZ_E10value_typeET2_T3_PNS10_IS15_E10value_typeET4_jRbjT5_S1B_jjP12ihipStream_tbEUljE_EEESW_SX_SY_S15_S19_S1B_T6_T7_T9_mT8_S1D_bDpT10_ENKUlT_T0_E_clISt17integral_constantIbLb1EES1P_IbLb0EEEEDaS1L_S1M_EUlS1L_E_NS1_11comp_targetILNS1_3genE4ELNS1_11target_archE910ELNS1_3gpuE8ELNS1_3repE0EEENS1_30default_config_static_selectorELNS0_4arch9wavefront6targetE0EEEvSZ_ ; -- Begin function _ZN7rocprim17ROCPRIM_400000_NS6detail17trampoline_kernelINS0_13select_configILj256ELj13ELNS0_17block_load_methodE3ELS4_3ELS4_3ELNS0_20block_scan_algorithmE0ELj4294967295EEENS1_25partition_config_selectorILNS1_17partition_subalgoE3EjNS0_10empty_typeEbEEZZNS1_14partition_implILS8_3ELb0ES6_jNS0_17counting_iteratorIjlEEPS9_SE_NS0_5tupleIJPjSE_EEENSF_IJSE_SE_EEES9_SG_JZNS1_25segmented_radix_sort_implINS0_14default_configELb0EPK12hip_bfloat16PSL_PKlPlN2at6native12_GLOBAL__N_18offset_tEEE10hipError_tPvRmT1_PNSt15iterator_traitsISZ_E10value_typeET2_T3_PNS10_IS15_E10value_typeET4_jRbjT5_S1B_jjP12ihipStream_tbEUljE_EEESW_SX_SY_S15_S19_S1B_T6_T7_T9_mT8_S1D_bDpT10_ENKUlT_T0_E_clISt17integral_constantIbLb1EES1P_IbLb0EEEEDaS1L_S1M_EUlS1L_E_NS1_11comp_targetILNS1_3genE4ELNS1_11target_archE910ELNS1_3gpuE8ELNS1_3repE0EEENS1_30default_config_static_selectorELNS0_4arch9wavefront6targetE0EEEvSZ_
	.p2align	8
	.type	_ZN7rocprim17ROCPRIM_400000_NS6detail17trampoline_kernelINS0_13select_configILj256ELj13ELNS0_17block_load_methodE3ELS4_3ELS4_3ELNS0_20block_scan_algorithmE0ELj4294967295EEENS1_25partition_config_selectorILNS1_17partition_subalgoE3EjNS0_10empty_typeEbEEZZNS1_14partition_implILS8_3ELb0ES6_jNS0_17counting_iteratorIjlEEPS9_SE_NS0_5tupleIJPjSE_EEENSF_IJSE_SE_EEES9_SG_JZNS1_25segmented_radix_sort_implINS0_14default_configELb0EPK12hip_bfloat16PSL_PKlPlN2at6native12_GLOBAL__N_18offset_tEEE10hipError_tPvRmT1_PNSt15iterator_traitsISZ_E10value_typeET2_T3_PNS10_IS15_E10value_typeET4_jRbjT5_S1B_jjP12ihipStream_tbEUljE_EEESW_SX_SY_S15_S19_S1B_T6_T7_T9_mT8_S1D_bDpT10_ENKUlT_T0_E_clISt17integral_constantIbLb1EES1P_IbLb0EEEEDaS1L_S1M_EUlS1L_E_NS1_11comp_targetILNS1_3genE4ELNS1_11target_archE910ELNS1_3gpuE8ELNS1_3repE0EEENS1_30default_config_static_selectorELNS0_4arch9wavefront6targetE0EEEvSZ_,@function
_ZN7rocprim17ROCPRIM_400000_NS6detail17trampoline_kernelINS0_13select_configILj256ELj13ELNS0_17block_load_methodE3ELS4_3ELS4_3ELNS0_20block_scan_algorithmE0ELj4294967295EEENS1_25partition_config_selectorILNS1_17partition_subalgoE3EjNS0_10empty_typeEbEEZZNS1_14partition_implILS8_3ELb0ES6_jNS0_17counting_iteratorIjlEEPS9_SE_NS0_5tupleIJPjSE_EEENSF_IJSE_SE_EEES9_SG_JZNS1_25segmented_radix_sort_implINS0_14default_configELb0EPK12hip_bfloat16PSL_PKlPlN2at6native12_GLOBAL__N_18offset_tEEE10hipError_tPvRmT1_PNSt15iterator_traitsISZ_E10value_typeET2_T3_PNS10_IS15_E10value_typeET4_jRbjT5_S1B_jjP12ihipStream_tbEUljE_EEESW_SX_SY_S15_S19_S1B_T6_T7_T9_mT8_S1D_bDpT10_ENKUlT_T0_E_clISt17integral_constantIbLb1EES1P_IbLb0EEEEDaS1L_S1M_EUlS1L_E_NS1_11comp_targetILNS1_3genE4ELNS1_11target_archE910ELNS1_3gpuE8ELNS1_3repE0EEENS1_30default_config_static_selectorELNS0_4arch9wavefront6targetE0EEEvSZ_: ; @_ZN7rocprim17ROCPRIM_400000_NS6detail17trampoline_kernelINS0_13select_configILj256ELj13ELNS0_17block_load_methodE3ELS4_3ELS4_3ELNS0_20block_scan_algorithmE0ELj4294967295EEENS1_25partition_config_selectorILNS1_17partition_subalgoE3EjNS0_10empty_typeEbEEZZNS1_14partition_implILS8_3ELb0ES6_jNS0_17counting_iteratorIjlEEPS9_SE_NS0_5tupleIJPjSE_EEENSF_IJSE_SE_EEES9_SG_JZNS1_25segmented_radix_sort_implINS0_14default_configELb0EPK12hip_bfloat16PSL_PKlPlN2at6native12_GLOBAL__N_18offset_tEEE10hipError_tPvRmT1_PNSt15iterator_traitsISZ_E10value_typeET2_T3_PNS10_IS15_E10value_typeET4_jRbjT5_S1B_jjP12ihipStream_tbEUljE_EEESW_SX_SY_S15_S19_S1B_T6_T7_T9_mT8_S1D_bDpT10_ENKUlT_T0_E_clISt17integral_constantIbLb1EES1P_IbLb0EEEEDaS1L_S1M_EUlS1L_E_NS1_11comp_targetILNS1_3genE4ELNS1_11target_archE910ELNS1_3gpuE8ELNS1_3repE0EEENS1_30default_config_static_selectorELNS0_4arch9wavefront6targetE0EEEvSZ_
; %bb.0:
	.section	.rodata,"a",@progbits
	.p2align	6, 0x0
	.amdhsa_kernel _ZN7rocprim17ROCPRIM_400000_NS6detail17trampoline_kernelINS0_13select_configILj256ELj13ELNS0_17block_load_methodE3ELS4_3ELS4_3ELNS0_20block_scan_algorithmE0ELj4294967295EEENS1_25partition_config_selectorILNS1_17partition_subalgoE3EjNS0_10empty_typeEbEEZZNS1_14partition_implILS8_3ELb0ES6_jNS0_17counting_iteratorIjlEEPS9_SE_NS0_5tupleIJPjSE_EEENSF_IJSE_SE_EEES9_SG_JZNS1_25segmented_radix_sort_implINS0_14default_configELb0EPK12hip_bfloat16PSL_PKlPlN2at6native12_GLOBAL__N_18offset_tEEE10hipError_tPvRmT1_PNSt15iterator_traitsISZ_E10value_typeET2_T3_PNS10_IS15_E10value_typeET4_jRbjT5_S1B_jjP12ihipStream_tbEUljE_EEESW_SX_SY_S15_S19_S1B_T6_T7_T9_mT8_S1D_bDpT10_ENKUlT_T0_E_clISt17integral_constantIbLb1EES1P_IbLb0EEEEDaS1L_S1M_EUlS1L_E_NS1_11comp_targetILNS1_3genE4ELNS1_11target_archE910ELNS1_3gpuE8ELNS1_3repE0EEENS1_30default_config_static_selectorELNS0_4arch9wavefront6targetE0EEEvSZ_
		.amdhsa_group_segment_fixed_size 0
		.amdhsa_private_segment_fixed_size 0
		.amdhsa_kernarg_size 144
		.amdhsa_user_sgpr_count 15
		.amdhsa_user_sgpr_dispatch_ptr 0
		.amdhsa_user_sgpr_queue_ptr 0
		.amdhsa_user_sgpr_kernarg_segment_ptr 1
		.amdhsa_user_sgpr_dispatch_id 0
		.amdhsa_user_sgpr_private_segment_size 0
		.amdhsa_wavefront_size32 1
		.amdhsa_uses_dynamic_stack 0
		.amdhsa_enable_private_segment 0
		.amdhsa_system_sgpr_workgroup_id_x 1
		.amdhsa_system_sgpr_workgroup_id_y 0
		.amdhsa_system_sgpr_workgroup_id_z 0
		.amdhsa_system_sgpr_workgroup_info 0
		.amdhsa_system_vgpr_workitem_id 0
		.amdhsa_next_free_vgpr 1
		.amdhsa_next_free_sgpr 1
		.amdhsa_reserve_vcc 0
		.amdhsa_float_round_mode_32 0
		.amdhsa_float_round_mode_16_64 0
		.amdhsa_float_denorm_mode_32 3
		.amdhsa_float_denorm_mode_16_64 3
		.amdhsa_dx10_clamp 1
		.amdhsa_ieee_mode 1
		.amdhsa_fp16_overflow 0
		.amdhsa_workgroup_processor_mode 1
		.amdhsa_memory_ordered 1
		.amdhsa_forward_progress 0
		.amdhsa_shared_vgpr_count 0
		.amdhsa_exception_fp_ieee_invalid_op 0
		.amdhsa_exception_fp_denorm_src 0
		.amdhsa_exception_fp_ieee_div_zero 0
		.amdhsa_exception_fp_ieee_overflow 0
		.amdhsa_exception_fp_ieee_underflow 0
		.amdhsa_exception_fp_ieee_inexact 0
		.amdhsa_exception_int_div_zero 0
	.end_amdhsa_kernel
	.section	.text._ZN7rocprim17ROCPRIM_400000_NS6detail17trampoline_kernelINS0_13select_configILj256ELj13ELNS0_17block_load_methodE3ELS4_3ELS4_3ELNS0_20block_scan_algorithmE0ELj4294967295EEENS1_25partition_config_selectorILNS1_17partition_subalgoE3EjNS0_10empty_typeEbEEZZNS1_14partition_implILS8_3ELb0ES6_jNS0_17counting_iteratorIjlEEPS9_SE_NS0_5tupleIJPjSE_EEENSF_IJSE_SE_EEES9_SG_JZNS1_25segmented_radix_sort_implINS0_14default_configELb0EPK12hip_bfloat16PSL_PKlPlN2at6native12_GLOBAL__N_18offset_tEEE10hipError_tPvRmT1_PNSt15iterator_traitsISZ_E10value_typeET2_T3_PNS10_IS15_E10value_typeET4_jRbjT5_S1B_jjP12ihipStream_tbEUljE_EEESW_SX_SY_S15_S19_S1B_T6_T7_T9_mT8_S1D_bDpT10_ENKUlT_T0_E_clISt17integral_constantIbLb1EES1P_IbLb0EEEEDaS1L_S1M_EUlS1L_E_NS1_11comp_targetILNS1_3genE4ELNS1_11target_archE910ELNS1_3gpuE8ELNS1_3repE0EEENS1_30default_config_static_selectorELNS0_4arch9wavefront6targetE0EEEvSZ_,"axG",@progbits,_ZN7rocprim17ROCPRIM_400000_NS6detail17trampoline_kernelINS0_13select_configILj256ELj13ELNS0_17block_load_methodE3ELS4_3ELS4_3ELNS0_20block_scan_algorithmE0ELj4294967295EEENS1_25partition_config_selectorILNS1_17partition_subalgoE3EjNS0_10empty_typeEbEEZZNS1_14partition_implILS8_3ELb0ES6_jNS0_17counting_iteratorIjlEEPS9_SE_NS0_5tupleIJPjSE_EEENSF_IJSE_SE_EEES9_SG_JZNS1_25segmented_radix_sort_implINS0_14default_configELb0EPK12hip_bfloat16PSL_PKlPlN2at6native12_GLOBAL__N_18offset_tEEE10hipError_tPvRmT1_PNSt15iterator_traitsISZ_E10value_typeET2_T3_PNS10_IS15_E10value_typeET4_jRbjT5_S1B_jjP12ihipStream_tbEUljE_EEESW_SX_SY_S15_S19_S1B_T6_T7_T9_mT8_S1D_bDpT10_ENKUlT_T0_E_clISt17integral_constantIbLb1EES1P_IbLb0EEEEDaS1L_S1M_EUlS1L_E_NS1_11comp_targetILNS1_3genE4ELNS1_11target_archE910ELNS1_3gpuE8ELNS1_3repE0EEENS1_30default_config_static_selectorELNS0_4arch9wavefront6targetE0EEEvSZ_,comdat
.Lfunc_end2035:
	.size	_ZN7rocprim17ROCPRIM_400000_NS6detail17trampoline_kernelINS0_13select_configILj256ELj13ELNS0_17block_load_methodE3ELS4_3ELS4_3ELNS0_20block_scan_algorithmE0ELj4294967295EEENS1_25partition_config_selectorILNS1_17partition_subalgoE3EjNS0_10empty_typeEbEEZZNS1_14partition_implILS8_3ELb0ES6_jNS0_17counting_iteratorIjlEEPS9_SE_NS0_5tupleIJPjSE_EEENSF_IJSE_SE_EEES9_SG_JZNS1_25segmented_radix_sort_implINS0_14default_configELb0EPK12hip_bfloat16PSL_PKlPlN2at6native12_GLOBAL__N_18offset_tEEE10hipError_tPvRmT1_PNSt15iterator_traitsISZ_E10value_typeET2_T3_PNS10_IS15_E10value_typeET4_jRbjT5_S1B_jjP12ihipStream_tbEUljE_EEESW_SX_SY_S15_S19_S1B_T6_T7_T9_mT8_S1D_bDpT10_ENKUlT_T0_E_clISt17integral_constantIbLb1EES1P_IbLb0EEEEDaS1L_S1M_EUlS1L_E_NS1_11comp_targetILNS1_3genE4ELNS1_11target_archE910ELNS1_3gpuE8ELNS1_3repE0EEENS1_30default_config_static_selectorELNS0_4arch9wavefront6targetE0EEEvSZ_, .Lfunc_end2035-_ZN7rocprim17ROCPRIM_400000_NS6detail17trampoline_kernelINS0_13select_configILj256ELj13ELNS0_17block_load_methodE3ELS4_3ELS4_3ELNS0_20block_scan_algorithmE0ELj4294967295EEENS1_25partition_config_selectorILNS1_17partition_subalgoE3EjNS0_10empty_typeEbEEZZNS1_14partition_implILS8_3ELb0ES6_jNS0_17counting_iteratorIjlEEPS9_SE_NS0_5tupleIJPjSE_EEENSF_IJSE_SE_EEES9_SG_JZNS1_25segmented_radix_sort_implINS0_14default_configELb0EPK12hip_bfloat16PSL_PKlPlN2at6native12_GLOBAL__N_18offset_tEEE10hipError_tPvRmT1_PNSt15iterator_traitsISZ_E10value_typeET2_T3_PNS10_IS15_E10value_typeET4_jRbjT5_S1B_jjP12ihipStream_tbEUljE_EEESW_SX_SY_S15_S19_S1B_T6_T7_T9_mT8_S1D_bDpT10_ENKUlT_T0_E_clISt17integral_constantIbLb1EES1P_IbLb0EEEEDaS1L_S1M_EUlS1L_E_NS1_11comp_targetILNS1_3genE4ELNS1_11target_archE910ELNS1_3gpuE8ELNS1_3repE0EEENS1_30default_config_static_selectorELNS0_4arch9wavefront6targetE0EEEvSZ_
                                        ; -- End function
	.section	.AMDGPU.csdata,"",@progbits
; Kernel info:
; codeLenInByte = 0
; NumSgprs: 0
; NumVgprs: 0
; ScratchSize: 0
; MemoryBound: 0
; FloatMode: 240
; IeeeMode: 1
; LDSByteSize: 0 bytes/workgroup (compile time only)
; SGPRBlocks: 0
; VGPRBlocks: 0
; NumSGPRsForWavesPerEU: 1
; NumVGPRsForWavesPerEU: 1
; Occupancy: 16
; WaveLimiterHint : 0
; COMPUTE_PGM_RSRC2:SCRATCH_EN: 0
; COMPUTE_PGM_RSRC2:USER_SGPR: 15
; COMPUTE_PGM_RSRC2:TRAP_HANDLER: 0
; COMPUTE_PGM_RSRC2:TGID_X_EN: 1
; COMPUTE_PGM_RSRC2:TGID_Y_EN: 0
; COMPUTE_PGM_RSRC2:TGID_Z_EN: 0
; COMPUTE_PGM_RSRC2:TIDIG_COMP_CNT: 0
	.section	.text._ZN7rocprim17ROCPRIM_400000_NS6detail17trampoline_kernelINS0_13select_configILj256ELj13ELNS0_17block_load_methodE3ELS4_3ELS4_3ELNS0_20block_scan_algorithmE0ELj4294967295EEENS1_25partition_config_selectorILNS1_17partition_subalgoE3EjNS0_10empty_typeEbEEZZNS1_14partition_implILS8_3ELb0ES6_jNS0_17counting_iteratorIjlEEPS9_SE_NS0_5tupleIJPjSE_EEENSF_IJSE_SE_EEES9_SG_JZNS1_25segmented_radix_sort_implINS0_14default_configELb0EPK12hip_bfloat16PSL_PKlPlN2at6native12_GLOBAL__N_18offset_tEEE10hipError_tPvRmT1_PNSt15iterator_traitsISZ_E10value_typeET2_T3_PNS10_IS15_E10value_typeET4_jRbjT5_S1B_jjP12ihipStream_tbEUljE_EEESW_SX_SY_S15_S19_S1B_T6_T7_T9_mT8_S1D_bDpT10_ENKUlT_T0_E_clISt17integral_constantIbLb1EES1P_IbLb0EEEEDaS1L_S1M_EUlS1L_E_NS1_11comp_targetILNS1_3genE3ELNS1_11target_archE908ELNS1_3gpuE7ELNS1_3repE0EEENS1_30default_config_static_selectorELNS0_4arch9wavefront6targetE0EEEvSZ_,"axG",@progbits,_ZN7rocprim17ROCPRIM_400000_NS6detail17trampoline_kernelINS0_13select_configILj256ELj13ELNS0_17block_load_methodE3ELS4_3ELS4_3ELNS0_20block_scan_algorithmE0ELj4294967295EEENS1_25partition_config_selectorILNS1_17partition_subalgoE3EjNS0_10empty_typeEbEEZZNS1_14partition_implILS8_3ELb0ES6_jNS0_17counting_iteratorIjlEEPS9_SE_NS0_5tupleIJPjSE_EEENSF_IJSE_SE_EEES9_SG_JZNS1_25segmented_radix_sort_implINS0_14default_configELb0EPK12hip_bfloat16PSL_PKlPlN2at6native12_GLOBAL__N_18offset_tEEE10hipError_tPvRmT1_PNSt15iterator_traitsISZ_E10value_typeET2_T3_PNS10_IS15_E10value_typeET4_jRbjT5_S1B_jjP12ihipStream_tbEUljE_EEESW_SX_SY_S15_S19_S1B_T6_T7_T9_mT8_S1D_bDpT10_ENKUlT_T0_E_clISt17integral_constantIbLb1EES1P_IbLb0EEEEDaS1L_S1M_EUlS1L_E_NS1_11comp_targetILNS1_3genE3ELNS1_11target_archE908ELNS1_3gpuE7ELNS1_3repE0EEENS1_30default_config_static_selectorELNS0_4arch9wavefront6targetE0EEEvSZ_,comdat
	.globl	_ZN7rocprim17ROCPRIM_400000_NS6detail17trampoline_kernelINS0_13select_configILj256ELj13ELNS0_17block_load_methodE3ELS4_3ELS4_3ELNS0_20block_scan_algorithmE0ELj4294967295EEENS1_25partition_config_selectorILNS1_17partition_subalgoE3EjNS0_10empty_typeEbEEZZNS1_14partition_implILS8_3ELb0ES6_jNS0_17counting_iteratorIjlEEPS9_SE_NS0_5tupleIJPjSE_EEENSF_IJSE_SE_EEES9_SG_JZNS1_25segmented_radix_sort_implINS0_14default_configELb0EPK12hip_bfloat16PSL_PKlPlN2at6native12_GLOBAL__N_18offset_tEEE10hipError_tPvRmT1_PNSt15iterator_traitsISZ_E10value_typeET2_T3_PNS10_IS15_E10value_typeET4_jRbjT5_S1B_jjP12ihipStream_tbEUljE_EEESW_SX_SY_S15_S19_S1B_T6_T7_T9_mT8_S1D_bDpT10_ENKUlT_T0_E_clISt17integral_constantIbLb1EES1P_IbLb0EEEEDaS1L_S1M_EUlS1L_E_NS1_11comp_targetILNS1_3genE3ELNS1_11target_archE908ELNS1_3gpuE7ELNS1_3repE0EEENS1_30default_config_static_selectorELNS0_4arch9wavefront6targetE0EEEvSZ_ ; -- Begin function _ZN7rocprim17ROCPRIM_400000_NS6detail17trampoline_kernelINS0_13select_configILj256ELj13ELNS0_17block_load_methodE3ELS4_3ELS4_3ELNS0_20block_scan_algorithmE0ELj4294967295EEENS1_25partition_config_selectorILNS1_17partition_subalgoE3EjNS0_10empty_typeEbEEZZNS1_14partition_implILS8_3ELb0ES6_jNS0_17counting_iteratorIjlEEPS9_SE_NS0_5tupleIJPjSE_EEENSF_IJSE_SE_EEES9_SG_JZNS1_25segmented_radix_sort_implINS0_14default_configELb0EPK12hip_bfloat16PSL_PKlPlN2at6native12_GLOBAL__N_18offset_tEEE10hipError_tPvRmT1_PNSt15iterator_traitsISZ_E10value_typeET2_T3_PNS10_IS15_E10value_typeET4_jRbjT5_S1B_jjP12ihipStream_tbEUljE_EEESW_SX_SY_S15_S19_S1B_T6_T7_T9_mT8_S1D_bDpT10_ENKUlT_T0_E_clISt17integral_constantIbLb1EES1P_IbLb0EEEEDaS1L_S1M_EUlS1L_E_NS1_11comp_targetILNS1_3genE3ELNS1_11target_archE908ELNS1_3gpuE7ELNS1_3repE0EEENS1_30default_config_static_selectorELNS0_4arch9wavefront6targetE0EEEvSZ_
	.p2align	8
	.type	_ZN7rocprim17ROCPRIM_400000_NS6detail17trampoline_kernelINS0_13select_configILj256ELj13ELNS0_17block_load_methodE3ELS4_3ELS4_3ELNS0_20block_scan_algorithmE0ELj4294967295EEENS1_25partition_config_selectorILNS1_17partition_subalgoE3EjNS0_10empty_typeEbEEZZNS1_14partition_implILS8_3ELb0ES6_jNS0_17counting_iteratorIjlEEPS9_SE_NS0_5tupleIJPjSE_EEENSF_IJSE_SE_EEES9_SG_JZNS1_25segmented_radix_sort_implINS0_14default_configELb0EPK12hip_bfloat16PSL_PKlPlN2at6native12_GLOBAL__N_18offset_tEEE10hipError_tPvRmT1_PNSt15iterator_traitsISZ_E10value_typeET2_T3_PNS10_IS15_E10value_typeET4_jRbjT5_S1B_jjP12ihipStream_tbEUljE_EEESW_SX_SY_S15_S19_S1B_T6_T7_T9_mT8_S1D_bDpT10_ENKUlT_T0_E_clISt17integral_constantIbLb1EES1P_IbLb0EEEEDaS1L_S1M_EUlS1L_E_NS1_11comp_targetILNS1_3genE3ELNS1_11target_archE908ELNS1_3gpuE7ELNS1_3repE0EEENS1_30default_config_static_selectorELNS0_4arch9wavefront6targetE0EEEvSZ_,@function
_ZN7rocprim17ROCPRIM_400000_NS6detail17trampoline_kernelINS0_13select_configILj256ELj13ELNS0_17block_load_methodE3ELS4_3ELS4_3ELNS0_20block_scan_algorithmE0ELj4294967295EEENS1_25partition_config_selectorILNS1_17partition_subalgoE3EjNS0_10empty_typeEbEEZZNS1_14partition_implILS8_3ELb0ES6_jNS0_17counting_iteratorIjlEEPS9_SE_NS0_5tupleIJPjSE_EEENSF_IJSE_SE_EEES9_SG_JZNS1_25segmented_radix_sort_implINS0_14default_configELb0EPK12hip_bfloat16PSL_PKlPlN2at6native12_GLOBAL__N_18offset_tEEE10hipError_tPvRmT1_PNSt15iterator_traitsISZ_E10value_typeET2_T3_PNS10_IS15_E10value_typeET4_jRbjT5_S1B_jjP12ihipStream_tbEUljE_EEESW_SX_SY_S15_S19_S1B_T6_T7_T9_mT8_S1D_bDpT10_ENKUlT_T0_E_clISt17integral_constantIbLb1EES1P_IbLb0EEEEDaS1L_S1M_EUlS1L_E_NS1_11comp_targetILNS1_3genE3ELNS1_11target_archE908ELNS1_3gpuE7ELNS1_3repE0EEENS1_30default_config_static_selectorELNS0_4arch9wavefront6targetE0EEEvSZ_: ; @_ZN7rocprim17ROCPRIM_400000_NS6detail17trampoline_kernelINS0_13select_configILj256ELj13ELNS0_17block_load_methodE3ELS4_3ELS4_3ELNS0_20block_scan_algorithmE0ELj4294967295EEENS1_25partition_config_selectorILNS1_17partition_subalgoE3EjNS0_10empty_typeEbEEZZNS1_14partition_implILS8_3ELb0ES6_jNS0_17counting_iteratorIjlEEPS9_SE_NS0_5tupleIJPjSE_EEENSF_IJSE_SE_EEES9_SG_JZNS1_25segmented_radix_sort_implINS0_14default_configELb0EPK12hip_bfloat16PSL_PKlPlN2at6native12_GLOBAL__N_18offset_tEEE10hipError_tPvRmT1_PNSt15iterator_traitsISZ_E10value_typeET2_T3_PNS10_IS15_E10value_typeET4_jRbjT5_S1B_jjP12ihipStream_tbEUljE_EEESW_SX_SY_S15_S19_S1B_T6_T7_T9_mT8_S1D_bDpT10_ENKUlT_T0_E_clISt17integral_constantIbLb1EES1P_IbLb0EEEEDaS1L_S1M_EUlS1L_E_NS1_11comp_targetILNS1_3genE3ELNS1_11target_archE908ELNS1_3gpuE7ELNS1_3repE0EEENS1_30default_config_static_selectorELNS0_4arch9wavefront6targetE0EEEvSZ_
; %bb.0:
	.section	.rodata,"a",@progbits
	.p2align	6, 0x0
	.amdhsa_kernel _ZN7rocprim17ROCPRIM_400000_NS6detail17trampoline_kernelINS0_13select_configILj256ELj13ELNS0_17block_load_methodE3ELS4_3ELS4_3ELNS0_20block_scan_algorithmE0ELj4294967295EEENS1_25partition_config_selectorILNS1_17partition_subalgoE3EjNS0_10empty_typeEbEEZZNS1_14partition_implILS8_3ELb0ES6_jNS0_17counting_iteratorIjlEEPS9_SE_NS0_5tupleIJPjSE_EEENSF_IJSE_SE_EEES9_SG_JZNS1_25segmented_radix_sort_implINS0_14default_configELb0EPK12hip_bfloat16PSL_PKlPlN2at6native12_GLOBAL__N_18offset_tEEE10hipError_tPvRmT1_PNSt15iterator_traitsISZ_E10value_typeET2_T3_PNS10_IS15_E10value_typeET4_jRbjT5_S1B_jjP12ihipStream_tbEUljE_EEESW_SX_SY_S15_S19_S1B_T6_T7_T9_mT8_S1D_bDpT10_ENKUlT_T0_E_clISt17integral_constantIbLb1EES1P_IbLb0EEEEDaS1L_S1M_EUlS1L_E_NS1_11comp_targetILNS1_3genE3ELNS1_11target_archE908ELNS1_3gpuE7ELNS1_3repE0EEENS1_30default_config_static_selectorELNS0_4arch9wavefront6targetE0EEEvSZ_
		.amdhsa_group_segment_fixed_size 0
		.amdhsa_private_segment_fixed_size 0
		.amdhsa_kernarg_size 144
		.amdhsa_user_sgpr_count 15
		.amdhsa_user_sgpr_dispatch_ptr 0
		.amdhsa_user_sgpr_queue_ptr 0
		.amdhsa_user_sgpr_kernarg_segment_ptr 1
		.amdhsa_user_sgpr_dispatch_id 0
		.amdhsa_user_sgpr_private_segment_size 0
		.amdhsa_wavefront_size32 1
		.amdhsa_uses_dynamic_stack 0
		.amdhsa_enable_private_segment 0
		.amdhsa_system_sgpr_workgroup_id_x 1
		.amdhsa_system_sgpr_workgroup_id_y 0
		.amdhsa_system_sgpr_workgroup_id_z 0
		.amdhsa_system_sgpr_workgroup_info 0
		.amdhsa_system_vgpr_workitem_id 0
		.amdhsa_next_free_vgpr 1
		.amdhsa_next_free_sgpr 1
		.amdhsa_reserve_vcc 0
		.amdhsa_float_round_mode_32 0
		.amdhsa_float_round_mode_16_64 0
		.amdhsa_float_denorm_mode_32 3
		.amdhsa_float_denorm_mode_16_64 3
		.amdhsa_dx10_clamp 1
		.amdhsa_ieee_mode 1
		.amdhsa_fp16_overflow 0
		.amdhsa_workgroup_processor_mode 1
		.amdhsa_memory_ordered 1
		.amdhsa_forward_progress 0
		.amdhsa_shared_vgpr_count 0
		.amdhsa_exception_fp_ieee_invalid_op 0
		.amdhsa_exception_fp_denorm_src 0
		.amdhsa_exception_fp_ieee_div_zero 0
		.amdhsa_exception_fp_ieee_overflow 0
		.amdhsa_exception_fp_ieee_underflow 0
		.amdhsa_exception_fp_ieee_inexact 0
		.amdhsa_exception_int_div_zero 0
	.end_amdhsa_kernel
	.section	.text._ZN7rocprim17ROCPRIM_400000_NS6detail17trampoline_kernelINS0_13select_configILj256ELj13ELNS0_17block_load_methodE3ELS4_3ELS4_3ELNS0_20block_scan_algorithmE0ELj4294967295EEENS1_25partition_config_selectorILNS1_17partition_subalgoE3EjNS0_10empty_typeEbEEZZNS1_14partition_implILS8_3ELb0ES6_jNS0_17counting_iteratorIjlEEPS9_SE_NS0_5tupleIJPjSE_EEENSF_IJSE_SE_EEES9_SG_JZNS1_25segmented_radix_sort_implINS0_14default_configELb0EPK12hip_bfloat16PSL_PKlPlN2at6native12_GLOBAL__N_18offset_tEEE10hipError_tPvRmT1_PNSt15iterator_traitsISZ_E10value_typeET2_T3_PNS10_IS15_E10value_typeET4_jRbjT5_S1B_jjP12ihipStream_tbEUljE_EEESW_SX_SY_S15_S19_S1B_T6_T7_T9_mT8_S1D_bDpT10_ENKUlT_T0_E_clISt17integral_constantIbLb1EES1P_IbLb0EEEEDaS1L_S1M_EUlS1L_E_NS1_11comp_targetILNS1_3genE3ELNS1_11target_archE908ELNS1_3gpuE7ELNS1_3repE0EEENS1_30default_config_static_selectorELNS0_4arch9wavefront6targetE0EEEvSZ_,"axG",@progbits,_ZN7rocprim17ROCPRIM_400000_NS6detail17trampoline_kernelINS0_13select_configILj256ELj13ELNS0_17block_load_methodE3ELS4_3ELS4_3ELNS0_20block_scan_algorithmE0ELj4294967295EEENS1_25partition_config_selectorILNS1_17partition_subalgoE3EjNS0_10empty_typeEbEEZZNS1_14partition_implILS8_3ELb0ES6_jNS0_17counting_iteratorIjlEEPS9_SE_NS0_5tupleIJPjSE_EEENSF_IJSE_SE_EEES9_SG_JZNS1_25segmented_radix_sort_implINS0_14default_configELb0EPK12hip_bfloat16PSL_PKlPlN2at6native12_GLOBAL__N_18offset_tEEE10hipError_tPvRmT1_PNSt15iterator_traitsISZ_E10value_typeET2_T3_PNS10_IS15_E10value_typeET4_jRbjT5_S1B_jjP12ihipStream_tbEUljE_EEESW_SX_SY_S15_S19_S1B_T6_T7_T9_mT8_S1D_bDpT10_ENKUlT_T0_E_clISt17integral_constantIbLb1EES1P_IbLb0EEEEDaS1L_S1M_EUlS1L_E_NS1_11comp_targetILNS1_3genE3ELNS1_11target_archE908ELNS1_3gpuE7ELNS1_3repE0EEENS1_30default_config_static_selectorELNS0_4arch9wavefront6targetE0EEEvSZ_,comdat
.Lfunc_end2036:
	.size	_ZN7rocprim17ROCPRIM_400000_NS6detail17trampoline_kernelINS0_13select_configILj256ELj13ELNS0_17block_load_methodE3ELS4_3ELS4_3ELNS0_20block_scan_algorithmE0ELj4294967295EEENS1_25partition_config_selectorILNS1_17partition_subalgoE3EjNS0_10empty_typeEbEEZZNS1_14partition_implILS8_3ELb0ES6_jNS0_17counting_iteratorIjlEEPS9_SE_NS0_5tupleIJPjSE_EEENSF_IJSE_SE_EEES9_SG_JZNS1_25segmented_radix_sort_implINS0_14default_configELb0EPK12hip_bfloat16PSL_PKlPlN2at6native12_GLOBAL__N_18offset_tEEE10hipError_tPvRmT1_PNSt15iterator_traitsISZ_E10value_typeET2_T3_PNS10_IS15_E10value_typeET4_jRbjT5_S1B_jjP12ihipStream_tbEUljE_EEESW_SX_SY_S15_S19_S1B_T6_T7_T9_mT8_S1D_bDpT10_ENKUlT_T0_E_clISt17integral_constantIbLb1EES1P_IbLb0EEEEDaS1L_S1M_EUlS1L_E_NS1_11comp_targetILNS1_3genE3ELNS1_11target_archE908ELNS1_3gpuE7ELNS1_3repE0EEENS1_30default_config_static_selectorELNS0_4arch9wavefront6targetE0EEEvSZ_, .Lfunc_end2036-_ZN7rocprim17ROCPRIM_400000_NS6detail17trampoline_kernelINS0_13select_configILj256ELj13ELNS0_17block_load_methodE3ELS4_3ELS4_3ELNS0_20block_scan_algorithmE0ELj4294967295EEENS1_25partition_config_selectorILNS1_17partition_subalgoE3EjNS0_10empty_typeEbEEZZNS1_14partition_implILS8_3ELb0ES6_jNS0_17counting_iteratorIjlEEPS9_SE_NS0_5tupleIJPjSE_EEENSF_IJSE_SE_EEES9_SG_JZNS1_25segmented_radix_sort_implINS0_14default_configELb0EPK12hip_bfloat16PSL_PKlPlN2at6native12_GLOBAL__N_18offset_tEEE10hipError_tPvRmT1_PNSt15iterator_traitsISZ_E10value_typeET2_T3_PNS10_IS15_E10value_typeET4_jRbjT5_S1B_jjP12ihipStream_tbEUljE_EEESW_SX_SY_S15_S19_S1B_T6_T7_T9_mT8_S1D_bDpT10_ENKUlT_T0_E_clISt17integral_constantIbLb1EES1P_IbLb0EEEEDaS1L_S1M_EUlS1L_E_NS1_11comp_targetILNS1_3genE3ELNS1_11target_archE908ELNS1_3gpuE7ELNS1_3repE0EEENS1_30default_config_static_selectorELNS0_4arch9wavefront6targetE0EEEvSZ_
                                        ; -- End function
	.section	.AMDGPU.csdata,"",@progbits
; Kernel info:
; codeLenInByte = 0
; NumSgprs: 0
; NumVgprs: 0
; ScratchSize: 0
; MemoryBound: 0
; FloatMode: 240
; IeeeMode: 1
; LDSByteSize: 0 bytes/workgroup (compile time only)
; SGPRBlocks: 0
; VGPRBlocks: 0
; NumSGPRsForWavesPerEU: 1
; NumVGPRsForWavesPerEU: 1
; Occupancy: 16
; WaveLimiterHint : 0
; COMPUTE_PGM_RSRC2:SCRATCH_EN: 0
; COMPUTE_PGM_RSRC2:USER_SGPR: 15
; COMPUTE_PGM_RSRC2:TRAP_HANDLER: 0
; COMPUTE_PGM_RSRC2:TGID_X_EN: 1
; COMPUTE_PGM_RSRC2:TGID_Y_EN: 0
; COMPUTE_PGM_RSRC2:TGID_Z_EN: 0
; COMPUTE_PGM_RSRC2:TIDIG_COMP_CNT: 0
	.section	.text._ZN7rocprim17ROCPRIM_400000_NS6detail17trampoline_kernelINS0_13select_configILj256ELj13ELNS0_17block_load_methodE3ELS4_3ELS4_3ELNS0_20block_scan_algorithmE0ELj4294967295EEENS1_25partition_config_selectorILNS1_17partition_subalgoE3EjNS0_10empty_typeEbEEZZNS1_14partition_implILS8_3ELb0ES6_jNS0_17counting_iteratorIjlEEPS9_SE_NS0_5tupleIJPjSE_EEENSF_IJSE_SE_EEES9_SG_JZNS1_25segmented_radix_sort_implINS0_14default_configELb0EPK12hip_bfloat16PSL_PKlPlN2at6native12_GLOBAL__N_18offset_tEEE10hipError_tPvRmT1_PNSt15iterator_traitsISZ_E10value_typeET2_T3_PNS10_IS15_E10value_typeET4_jRbjT5_S1B_jjP12ihipStream_tbEUljE_EEESW_SX_SY_S15_S19_S1B_T6_T7_T9_mT8_S1D_bDpT10_ENKUlT_T0_E_clISt17integral_constantIbLb1EES1P_IbLb0EEEEDaS1L_S1M_EUlS1L_E_NS1_11comp_targetILNS1_3genE2ELNS1_11target_archE906ELNS1_3gpuE6ELNS1_3repE0EEENS1_30default_config_static_selectorELNS0_4arch9wavefront6targetE0EEEvSZ_,"axG",@progbits,_ZN7rocprim17ROCPRIM_400000_NS6detail17trampoline_kernelINS0_13select_configILj256ELj13ELNS0_17block_load_methodE3ELS4_3ELS4_3ELNS0_20block_scan_algorithmE0ELj4294967295EEENS1_25partition_config_selectorILNS1_17partition_subalgoE3EjNS0_10empty_typeEbEEZZNS1_14partition_implILS8_3ELb0ES6_jNS0_17counting_iteratorIjlEEPS9_SE_NS0_5tupleIJPjSE_EEENSF_IJSE_SE_EEES9_SG_JZNS1_25segmented_radix_sort_implINS0_14default_configELb0EPK12hip_bfloat16PSL_PKlPlN2at6native12_GLOBAL__N_18offset_tEEE10hipError_tPvRmT1_PNSt15iterator_traitsISZ_E10value_typeET2_T3_PNS10_IS15_E10value_typeET4_jRbjT5_S1B_jjP12ihipStream_tbEUljE_EEESW_SX_SY_S15_S19_S1B_T6_T7_T9_mT8_S1D_bDpT10_ENKUlT_T0_E_clISt17integral_constantIbLb1EES1P_IbLb0EEEEDaS1L_S1M_EUlS1L_E_NS1_11comp_targetILNS1_3genE2ELNS1_11target_archE906ELNS1_3gpuE6ELNS1_3repE0EEENS1_30default_config_static_selectorELNS0_4arch9wavefront6targetE0EEEvSZ_,comdat
	.globl	_ZN7rocprim17ROCPRIM_400000_NS6detail17trampoline_kernelINS0_13select_configILj256ELj13ELNS0_17block_load_methodE3ELS4_3ELS4_3ELNS0_20block_scan_algorithmE0ELj4294967295EEENS1_25partition_config_selectorILNS1_17partition_subalgoE3EjNS0_10empty_typeEbEEZZNS1_14partition_implILS8_3ELb0ES6_jNS0_17counting_iteratorIjlEEPS9_SE_NS0_5tupleIJPjSE_EEENSF_IJSE_SE_EEES9_SG_JZNS1_25segmented_radix_sort_implINS0_14default_configELb0EPK12hip_bfloat16PSL_PKlPlN2at6native12_GLOBAL__N_18offset_tEEE10hipError_tPvRmT1_PNSt15iterator_traitsISZ_E10value_typeET2_T3_PNS10_IS15_E10value_typeET4_jRbjT5_S1B_jjP12ihipStream_tbEUljE_EEESW_SX_SY_S15_S19_S1B_T6_T7_T9_mT8_S1D_bDpT10_ENKUlT_T0_E_clISt17integral_constantIbLb1EES1P_IbLb0EEEEDaS1L_S1M_EUlS1L_E_NS1_11comp_targetILNS1_3genE2ELNS1_11target_archE906ELNS1_3gpuE6ELNS1_3repE0EEENS1_30default_config_static_selectorELNS0_4arch9wavefront6targetE0EEEvSZ_ ; -- Begin function _ZN7rocprim17ROCPRIM_400000_NS6detail17trampoline_kernelINS0_13select_configILj256ELj13ELNS0_17block_load_methodE3ELS4_3ELS4_3ELNS0_20block_scan_algorithmE0ELj4294967295EEENS1_25partition_config_selectorILNS1_17partition_subalgoE3EjNS0_10empty_typeEbEEZZNS1_14partition_implILS8_3ELb0ES6_jNS0_17counting_iteratorIjlEEPS9_SE_NS0_5tupleIJPjSE_EEENSF_IJSE_SE_EEES9_SG_JZNS1_25segmented_radix_sort_implINS0_14default_configELb0EPK12hip_bfloat16PSL_PKlPlN2at6native12_GLOBAL__N_18offset_tEEE10hipError_tPvRmT1_PNSt15iterator_traitsISZ_E10value_typeET2_T3_PNS10_IS15_E10value_typeET4_jRbjT5_S1B_jjP12ihipStream_tbEUljE_EEESW_SX_SY_S15_S19_S1B_T6_T7_T9_mT8_S1D_bDpT10_ENKUlT_T0_E_clISt17integral_constantIbLb1EES1P_IbLb0EEEEDaS1L_S1M_EUlS1L_E_NS1_11comp_targetILNS1_3genE2ELNS1_11target_archE906ELNS1_3gpuE6ELNS1_3repE0EEENS1_30default_config_static_selectorELNS0_4arch9wavefront6targetE0EEEvSZ_
	.p2align	8
	.type	_ZN7rocprim17ROCPRIM_400000_NS6detail17trampoline_kernelINS0_13select_configILj256ELj13ELNS0_17block_load_methodE3ELS4_3ELS4_3ELNS0_20block_scan_algorithmE0ELj4294967295EEENS1_25partition_config_selectorILNS1_17partition_subalgoE3EjNS0_10empty_typeEbEEZZNS1_14partition_implILS8_3ELb0ES6_jNS0_17counting_iteratorIjlEEPS9_SE_NS0_5tupleIJPjSE_EEENSF_IJSE_SE_EEES9_SG_JZNS1_25segmented_radix_sort_implINS0_14default_configELb0EPK12hip_bfloat16PSL_PKlPlN2at6native12_GLOBAL__N_18offset_tEEE10hipError_tPvRmT1_PNSt15iterator_traitsISZ_E10value_typeET2_T3_PNS10_IS15_E10value_typeET4_jRbjT5_S1B_jjP12ihipStream_tbEUljE_EEESW_SX_SY_S15_S19_S1B_T6_T7_T9_mT8_S1D_bDpT10_ENKUlT_T0_E_clISt17integral_constantIbLb1EES1P_IbLb0EEEEDaS1L_S1M_EUlS1L_E_NS1_11comp_targetILNS1_3genE2ELNS1_11target_archE906ELNS1_3gpuE6ELNS1_3repE0EEENS1_30default_config_static_selectorELNS0_4arch9wavefront6targetE0EEEvSZ_,@function
_ZN7rocprim17ROCPRIM_400000_NS6detail17trampoline_kernelINS0_13select_configILj256ELj13ELNS0_17block_load_methodE3ELS4_3ELS4_3ELNS0_20block_scan_algorithmE0ELj4294967295EEENS1_25partition_config_selectorILNS1_17partition_subalgoE3EjNS0_10empty_typeEbEEZZNS1_14partition_implILS8_3ELb0ES6_jNS0_17counting_iteratorIjlEEPS9_SE_NS0_5tupleIJPjSE_EEENSF_IJSE_SE_EEES9_SG_JZNS1_25segmented_radix_sort_implINS0_14default_configELb0EPK12hip_bfloat16PSL_PKlPlN2at6native12_GLOBAL__N_18offset_tEEE10hipError_tPvRmT1_PNSt15iterator_traitsISZ_E10value_typeET2_T3_PNS10_IS15_E10value_typeET4_jRbjT5_S1B_jjP12ihipStream_tbEUljE_EEESW_SX_SY_S15_S19_S1B_T6_T7_T9_mT8_S1D_bDpT10_ENKUlT_T0_E_clISt17integral_constantIbLb1EES1P_IbLb0EEEEDaS1L_S1M_EUlS1L_E_NS1_11comp_targetILNS1_3genE2ELNS1_11target_archE906ELNS1_3gpuE6ELNS1_3repE0EEENS1_30default_config_static_selectorELNS0_4arch9wavefront6targetE0EEEvSZ_: ; @_ZN7rocprim17ROCPRIM_400000_NS6detail17trampoline_kernelINS0_13select_configILj256ELj13ELNS0_17block_load_methodE3ELS4_3ELS4_3ELNS0_20block_scan_algorithmE0ELj4294967295EEENS1_25partition_config_selectorILNS1_17partition_subalgoE3EjNS0_10empty_typeEbEEZZNS1_14partition_implILS8_3ELb0ES6_jNS0_17counting_iteratorIjlEEPS9_SE_NS0_5tupleIJPjSE_EEENSF_IJSE_SE_EEES9_SG_JZNS1_25segmented_radix_sort_implINS0_14default_configELb0EPK12hip_bfloat16PSL_PKlPlN2at6native12_GLOBAL__N_18offset_tEEE10hipError_tPvRmT1_PNSt15iterator_traitsISZ_E10value_typeET2_T3_PNS10_IS15_E10value_typeET4_jRbjT5_S1B_jjP12ihipStream_tbEUljE_EEESW_SX_SY_S15_S19_S1B_T6_T7_T9_mT8_S1D_bDpT10_ENKUlT_T0_E_clISt17integral_constantIbLb1EES1P_IbLb0EEEEDaS1L_S1M_EUlS1L_E_NS1_11comp_targetILNS1_3genE2ELNS1_11target_archE906ELNS1_3gpuE6ELNS1_3repE0EEENS1_30default_config_static_selectorELNS0_4arch9wavefront6targetE0EEEvSZ_
; %bb.0:
	.section	.rodata,"a",@progbits
	.p2align	6, 0x0
	.amdhsa_kernel _ZN7rocprim17ROCPRIM_400000_NS6detail17trampoline_kernelINS0_13select_configILj256ELj13ELNS0_17block_load_methodE3ELS4_3ELS4_3ELNS0_20block_scan_algorithmE0ELj4294967295EEENS1_25partition_config_selectorILNS1_17partition_subalgoE3EjNS0_10empty_typeEbEEZZNS1_14partition_implILS8_3ELb0ES6_jNS0_17counting_iteratorIjlEEPS9_SE_NS0_5tupleIJPjSE_EEENSF_IJSE_SE_EEES9_SG_JZNS1_25segmented_radix_sort_implINS0_14default_configELb0EPK12hip_bfloat16PSL_PKlPlN2at6native12_GLOBAL__N_18offset_tEEE10hipError_tPvRmT1_PNSt15iterator_traitsISZ_E10value_typeET2_T3_PNS10_IS15_E10value_typeET4_jRbjT5_S1B_jjP12ihipStream_tbEUljE_EEESW_SX_SY_S15_S19_S1B_T6_T7_T9_mT8_S1D_bDpT10_ENKUlT_T0_E_clISt17integral_constantIbLb1EES1P_IbLb0EEEEDaS1L_S1M_EUlS1L_E_NS1_11comp_targetILNS1_3genE2ELNS1_11target_archE906ELNS1_3gpuE6ELNS1_3repE0EEENS1_30default_config_static_selectorELNS0_4arch9wavefront6targetE0EEEvSZ_
		.amdhsa_group_segment_fixed_size 0
		.amdhsa_private_segment_fixed_size 0
		.amdhsa_kernarg_size 144
		.amdhsa_user_sgpr_count 15
		.amdhsa_user_sgpr_dispatch_ptr 0
		.amdhsa_user_sgpr_queue_ptr 0
		.amdhsa_user_sgpr_kernarg_segment_ptr 1
		.amdhsa_user_sgpr_dispatch_id 0
		.amdhsa_user_sgpr_private_segment_size 0
		.amdhsa_wavefront_size32 1
		.amdhsa_uses_dynamic_stack 0
		.amdhsa_enable_private_segment 0
		.amdhsa_system_sgpr_workgroup_id_x 1
		.amdhsa_system_sgpr_workgroup_id_y 0
		.amdhsa_system_sgpr_workgroup_id_z 0
		.amdhsa_system_sgpr_workgroup_info 0
		.amdhsa_system_vgpr_workitem_id 0
		.amdhsa_next_free_vgpr 1
		.amdhsa_next_free_sgpr 1
		.amdhsa_reserve_vcc 0
		.amdhsa_float_round_mode_32 0
		.amdhsa_float_round_mode_16_64 0
		.amdhsa_float_denorm_mode_32 3
		.amdhsa_float_denorm_mode_16_64 3
		.amdhsa_dx10_clamp 1
		.amdhsa_ieee_mode 1
		.amdhsa_fp16_overflow 0
		.amdhsa_workgroup_processor_mode 1
		.amdhsa_memory_ordered 1
		.amdhsa_forward_progress 0
		.amdhsa_shared_vgpr_count 0
		.amdhsa_exception_fp_ieee_invalid_op 0
		.amdhsa_exception_fp_denorm_src 0
		.amdhsa_exception_fp_ieee_div_zero 0
		.amdhsa_exception_fp_ieee_overflow 0
		.amdhsa_exception_fp_ieee_underflow 0
		.amdhsa_exception_fp_ieee_inexact 0
		.amdhsa_exception_int_div_zero 0
	.end_amdhsa_kernel
	.section	.text._ZN7rocprim17ROCPRIM_400000_NS6detail17trampoline_kernelINS0_13select_configILj256ELj13ELNS0_17block_load_methodE3ELS4_3ELS4_3ELNS0_20block_scan_algorithmE0ELj4294967295EEENS1_25partition_config_selectorILNS1_17partition_subalgoE3EjNS0_10empty_typeEbEEZZNS1_14partition_implILS8_3ELb0ES6_jNS0_17counting_iteratorIjlEEPS9_SE_NS0_5tupleIJPjSE_EEENSF_IJSE_SE_EEES9_SG_JZNS1_25segmented_radix_sort_implINS0_14default_configELb0EPK12hip_bfloat16PSL_PKlPlN2at6native12_GLOBAL__N_18offset_tEEE10hipError_tPvRmT1_PNSt15iterator_traitsISZ_E10value_typeET2_T3_PNS10_IS15_E10value_typeET4_jRbjT5_S1B_jjP12ihipStream_tbEUljE_EEESW_SX_SY_S15_S19_S1B_T6_T7_T9_mT8_S1D_bDpT10_ENKUlT_T0_E_clISt17integral_constantIbLb1EES1P_IbLb0EEEEDaS1L_S1M_EUlS1L_E_NS1_11comp_targetILNS1_3genE2ELNS1_11target_archE906ELNS1_3gpuE6ELNS1_3repE0EEENS1_30default_config_static_selectorELNS0_4arch9wavefront6targetE0EEEvSZ_,"axG",@progbits,_ZN7rocprim17ROCPRIM_400000_NS6detail17trampoline_kernelINS0_13select_configILj256ELj13ELNS0_17block_load_methodE3ELS4_3ELS4_3ELNS0_20block_scan_algorithmE0ELj4294967295EEENS1_25partition_config_selectorILNS1_17partition_subalgoE3EjNS0_10empty_typeEbEEZZNS1_14partition_implILS8_3ELb0ES6_jNS0_17counting_iteratorIjlEEPS9_SE_NS0_5tupleIJPjSE_EEENSF_IJSE_SE_EEES9_SG_JZNS1_25segmented_radix_sort_implINS0_14default_configELb0EPK12hip_bfloat16PSL_PKlPlN2at6native12_GLOBAL__N_18offset_tEEE10hipError_tPvRmT1_PNSt15iterator_traitsISZ_E10value_typeET2_T3_PNS10_IS15_E10value_typeET4_jRbjT5_S1B_jjP12ihipStream_tbEUljE_EEESW_SX_SY_S15_S19_S1B_T6_T7_T9_mT8_S1D_bDpT10_ENKUlT_T0_E_clISt17integral_constantIbLb1EES1P_IbLb0EEEEDaS1L_S1M_EUlS1L_E_NS1_11comp_targetILNS1_3genE2ELNS1_11target_archE906ELNS1_3gpuE6ELNS1_3repE0EEENS1_30default_config_static_selectorELNS0_4arch9wavefront6targetE0EEEvSZ_,comdat
.Lfunc_end2037:
	.size	_ZN7rocprim17ROCPRIM_400000_NS6detail17trampoline_kernelINS0_13select_configILj256ELj13ELNS0_17block_load_methodE3ELS4_3ELS4_3ELNS0_20block_scan_algorithmE0ELj4294967295EEENS1_25partition_config_selectorILNS1_17partition_subalgoE3EjNS0_10empty_typeEbEEZZNS1_14partition_implILS8_3ELb0ES6_jNS0_17counting_iteratorIjlEEPS9_SE_NS0_5tupleIJPjSE_EEENSF_IJSE_SE_EEES9_SG_JZNS1_25segmented_radix_sort_implINS0_14default_configELb0EPK12hip_bfloat16PSL_PKlPlN2at6native12_GLOBAL__N_18offset_tEEE10hipError_tPvRmT1_PNSt15iterator_traitsISZ_E10value_typeET2_T3_PNS10_IS15_E10value_typeET4_jRbjT5_S1B_jjP12ihipStream_tbEUljE_EEESW_SX_SY_S15_S19_S1B_T6_T7_T9_mT8_S1D_bDpT10_ENKUlT_T0_E_clISt17integral_constantIbLb1EES1P_IbLb0EEEEDaS1L_S1M_EUlS1L_E_NS1_11comp_targetILNS1_3genE2ELNS1_11target_archE906ELNS1_3gpuE6ELNS1_3repE0EEENS1_30default_config_static_selectorELNS0_4arch9wavefront6targetE0EEEvSZ_, .Lfunc_end2037-_ZN7rocprim17ROCPRIM_400000_NS6detail17trampoline_kernelINS0_13select_configILj256ELj13ELNS0_17block_load_methodE3ELS4_3ELS4_3ELNS0_20block_scan_algorithmE0ELj4294967295EEENS1_25partition_config_selectorILNS1_17partition_subalgoE3EjNS0_10empty_typeEbEEZZNS1_14partition_implILS8_3ELb0ES6_jNS0_17counting_iteratorIjlEEPS9_SE_NS0_5tupleIJPjSE_EEENSF_IJSE_SE_EEES9_SG_JZNS1_25segmented_radix_sort_implINS0_14default_configELb0EPK12hip_bfloat16PSL_PKlPlN2at6native12_GLOBAL__N_18offset_tEEE10hipError_tPvRmT1_PNSt15iterator_traitsISZ_E10value_typeET2_T3_PNS10_IS15_E10value_typeET4_jRbjT5_S1B_jjP12ihipStream_tbEUljE_EEESW_SX_SY_S15_S19_S1B_T6_T7_T9_mT8_S1D_bDpT10_ENKUlT_T0_E_clISt17integral_constantIbLb1EES1P_IbLb0EEEEDaS1L_S1M_EUlS1L_E_NS1_11comp_targetILNS1_3genE2ELNS1_11target_archE906ELNS1_3gpuE6ELNS1_3repE0EEENS1_30default_config_static_selectorELNS0_4arch9wavefront6targetE0EEEvSZ_
                                        ; -- End function
	.section	.AMDGPU.csdata,"",@progbits
; Kernel info:
; codeLenInByte = 0
; NumSgprs: 0
; NumVgprs: 0
; ScratchSize: 0
; MemoryBound: 0
; FloatMode: 240
; IeeeMode: 1
; LDSByteSize: 0 bytes/workgroup (compile time only)
; SGPRBlocks: 0
; VGPRBlocks: 0
; NumSGPRsForWavesPerEU: 1
; NumVGPRsForWavesPerEU: 1
; Occupancy: 16
; WaveLimiterHint : 0
; COMPUTE_PGM_RSRC2:SCRATCH_EN: 0
; COMPUTE_PGM_RSRC2:USER_SGPR: 15
; COMPUTE_PGM_RSRC2:TRAP_HANDLER: 0
; COMPUTE_PGM_RSRC2:TGID_X_EN: 1
; COMPUTE_PGM_RSRC2:TGID_Y_EN: 0
; COMPUTE_PGM_RSRC2:TGID_Z_EN: 0
; COMPUTE_PGM_RSRC2:TIDIG_COMP_CNT: 0
	.section	.text._ZN7rocprim17ROCPRIM_400000_NS6detail17trampoline_kernelINS0_13select_configILj256ELj13ELNS0_17block_load_methodE3ELS4_3ELS4_3ELNS0_20block_scan_algorithmE0ELj4294967295EEENS1_25partition_config_selectorILNS1_17partition_subalgoE3EjNS0_10empty_typeEbEEZZNS1_14partition_implILS8_3ELb0ES6_jNS0_17counting_iteratorIjlEEPS9_SE_NS0_5tupleIJPjSE_EEENSF_IJSE_SE_EEES9_SG_JZNS1_25segmented_radix_sort_implINS0_14default_configELb0EPK12hip_bfloat16PSL_PKlPlN2at6native12_GLOBAL__N_18offset_tEEE10hipError_tPvRmT1_PNSt15iterator_traitsISZ_E10value_typeET2_T3_PNS10_IS15_E10value_typeET4_jRbjT5_S1B_jjP12ihipStream_tbEUljE_EEESW_SX_SY_S15_S19_S1B_T6_T7_T9_mT8_S1D_bDpT10_ENKUlT_T0_E_clISt17integral_constantIbLb1EES1P_IbLb0EEEEDaS1L_S1M_EUlS1L_E_NS1_11comp_targetILNS1_3genE10ELNS1_11target_archE1200ELNS1_3gpuE4ELNS1_3repE0EEENS1_30default_config_static_selectorELNS0_4arch9wavefront6targetE0EEEvSZ_,"axG",@progbits,_ZN7rocprim17ROCPRIM_400000_NS6detail17trampoline_kernelINS0_13select_configILj256ELj13ELNS0_17block_load_methodE3ELS4_3ELS4_3ELNS0_20block_scan_algorithmE0ELj4294967295EEENS1_25partition_config_selectorILNS1_17partition_subalgoE3EjNS0_10empty_typeEbEEZZNS1_14partition_implILS8_3ELb0ES6_jNS0_17counting_iteratorIjlEEPS9_SE_NS0_5tupleIJPjSE_EEENSF_IJSE_SE_EEES9_SG_JZNS1_25segmented_radix_sort_implINS0_14default_configELb0EPK12hip_bfloat16PSL_PKlPlN2at6native12_GLOBAL__N_18offset_tEEE10hipError_tPvRmT1_PNSt15iterator_traitsISZ_E10value_typeET2_T3_PNS10_IS15_E10value_typeET4_jRbjT5_S1B_jjP12ihipStream_tbEUljE_EEESW_SX_SY_S15_S19_S1B_T6_T7_T9_mT8_S1D_bDpT10_ENKUlT_T0_E_clISt17integral_constantIbLb1EES1P_IbLb0EEEEDaS1L_S1M_EUlS1L_E_NS1_11comp_targetILNS1_3genE10ELNS1_11target_archE1200ELNS1_3gpuE4ELNS1_3repE0EEENS1_30default_config_static_selectorELNS0_4arch9wavefront6targetE0EEEvSZ_,comdat
	.globl	_ZN7rocprim17ROCPRIM_400000_NS6detail17trampoline_kernelINS0_13select_configILj256ELj13ELNS0_17block_load_methodE3ELS4_3ELS4_3ELNS0_20block_scan_algorithmE0ELj4294967295EEENS1_25partition_config_selectorILNS1_17partition_subalgoE3EjNS0_10empty_typeEbEEZZNS1_14partition_implILS8_3ELb0ES6_jNS0_17counting_iteratorIjlEEPS9_SE_NS0_5tupleIJPjSE_EEENSF_IJSE_SE_EEES9_SG_JZNS1_25segmented_radix_sort_implINS0_14default_configELb0EPK12hip_bfloat16PSL_PKlPlN2at6native12_GLOBAL__N_18offset_tEEE10hipError_tPvRmT1_PNSt15iterator_traitsISZ_E10value_typeET2_T3_PNS10_IS15_E10value_typeET4_jRbjT5_S1B_jjP12ihipStream_tbEUljE_EEESW_SX_SY_S15_S19_S1B_T6_T7_T9_mT8_S1D_bDpT10_ENKUlT_T0_E_clISt17integral_constantIbLb1EES1P_IbLb0EEEEDaS1L_S1M_EUlS1L_E_NS1_11comp_targetILNS1_3genE10ELNS1_11target_archE1200ELNS1_3gpuE4ELNS1_3repE0EEENS1_30default_config_static_selectorELNS0_4arch9wavefront6targetE0EEEvSZ_ ; -- Begin function _ZN7rocprim17ROCPRIM_400000_NS6detail17trampoline_kernelINS0_13select_configILj256ELj13ELNS0_17block_load_methodE3ELS4_3ELS4_3ELNS0_20block_scan_algorithmE0ELj4294967295EEENS1_25partition_config_selectorILNS1_17partition_subalgoE3EjNS0_10empty_typeEbEEZZNS1_14partition_implILS8_3ELb0ES6_jNS0_17counting_iteratorIjlEEPS9_SE_NS0_5tupleIJPjSE_EEENSF_IJSE_SE_EEES9_SG_JZNS1_25segmented_radix_sort_implINS0_14default_configELb0EPK12hip_bfloat16PSL_PKlPlN2at6native12_GLOBAL__N_18offset_tEEE10hipError_tPvRmT1_PNSt15iterator_traitsISZ_E10value_typeET2_T3_PNS10_IS15_E10value_typeET4_jRbjT5_S1B_jjP12ihipStream_tbEUljE_EEESW_SX_SY_S15_S19_S1B_T6_T7_T9_mT8_S1D_bDpT10_ENKUlT_T0_E_clISt17integral_constantIbLb1EES1P_IbLb0EEEEDaS1L_S1M_EUlS1L_E_NS1_11comp_targetILNS1_3genE10ELNS1_11target_archE1200ELNS1_3gpuE4ELNS1_3repE0EEENS1_30default_config_static_selectorELNS0_4arch9wavefront6targetE0EEEvSZ_
	.p2align	8
	.type	_ZN7rocprim17ROCPRIM_400000_NS6detail17trampoline_kernelINS0_13select_configILj256ELj13ELNS0_17block_load_methodE3ELS4_3ELS4_3ELNS0_20block_scan_algorithmE0ELj4294967295EEENS1_25partition_config_selectorILNS1_17partition_subalgoE3EjNS0_10empty_typeEbEEZZNS1_14partition_implILS8_3ELb0ES6_jNS0_17counting_iteratorIjlEEPS9_SE_NS0_5tupleIJPjSE_EEENSF_IJSE_SE_EEES9_SG_JZNS1_25segmented_radix_sort_implINS0_14default_configELb0EPK12hip_bfloat16PSL_PKlPlN2at6native12_GLOBAL__N_18offset_tEEE10hipError_tPvRmT1_PNSt15iterator_traitsISZ_E10value_typeET2_T3_PNS10_IS15_E10value_typeET4_jRbjT5_S1B_jjP12ihipStream_tbEUljE_EEESW_SX_SY_S15_S19_S1B_T6_T7_T9_mT8_S1D_bDpT10_ENKUlT_T0_E_clISt17integral_constantIbLb1EES1P_IbLb0EEEEDaS1L_S1M_EUlS1L_E_NS1_11comp_targetILNS1_3genE10ELNS1_11target_archE1200ELNS1_3gpuE4ELNS1_3repE0EEENS1_30default_config_static_selectorELNS0_4arch9wavefront6targetE0EEEvSZ_,@function
_ZN7rocprim17ROCPRIM_400000_NS6detail17trampoline_kernelINS0_13select_configILj256ELj13ELNS0_17block_load_methodE3ELS4_3ELS4_3ELNS0_20block_scan_algorithmE0ELj4294967295EEENS1_25partition_config_selectorILNS1_17partition_subalgoE3EjNS0_10empty_typeEbEEZZNS1_14partition_implILS8_3ELb0ES6_jNS0_17counting_iteratorIjlEEPS9_SE_NS0_5tupleIJPjSE_EEENSF_IJSE_SE_EEES9_SG_JZNS1_25segmented_radix_sort_implINS0_14default_configELb0EPK12hip_bfloat16PSL_PKlPlN2at6native12_GLOBAL__N_18offset_tEEE10hipError_tPvRmT1_PNSt15iterator_traitsISZ_E10value_typeET2_T3_PNS10_IS15_E10value_typeET4_jRbjT5_S1B_jjP12ihipStream_tbEUljE_EEESW_SX_SY_S15_S19_S1B_T6_T7_T9_mT8_S1D_bDpT10_ENKUlT_T0_E_clISt17integral_constantIbLb1EES1P_IbLb0EEEEDaS1L_S1M_EUlS1L_E_NS1_11comp_targetILNS1_3genE10ELNS1_11target_archE1200ELNS1_3gpuE4ELNS1_3repE0EEENS1_30default_config_static_selectorELNS0_4arch9wavefront6targetE0EEEvSZ_: ; @_ZN7rocprim17ROCPRIM_400000_NS6detail17trampoline_kernelINS0_13select_configILj256ELj13ELNS0_17block_load_methodE3ELS4_3ELS4_3ELNS0_20block_scan_algorithmE0ELj4294967295EEENS1_25partition_config_selectorILNS1_17partition_subalgoE3EjNS0_10empty_typeEbEEZZNS1_14partition_implILS8_3ELb0ES6_jNS0_17counting_iteratorIjlEEPS9_SE_NS0_5tupleIJPjSE_EEENSF_IJSE_SE_EEES9_SG_JZNS1_25segmented_radix_sort_implINS0_14default_configELb0EPK12hip_bfloat16PSL_PKlPlN2at6native12_GLOBAL__N_18offset_tEEE10hipError_tPvRmT1_PNSt15iterator_traitsISZ_E10value_typeET2_T3_PNS10_IS15_E10value_typeET4_jRbjT5_S1B_jjP12ihipStream_tbEUljE_EEESW_SX_SY_S15_S19_S1B_T6_T7_T9_mT8_S1D_bDpT10_ENKUlT_T0_E_clISt17integral_constantIbLb1EES1P_IbLb0EEEEDaS1L_S1M_EUlS1L_E_NS1_11comp_targetILNS1_3genE10ELNS1_11target_archE1200ELNS1_3gpuE4ELNS1_3repE0EEENS1_30default_config_static_selectorELNS0_4arch9wavefront6targetE0EEEvSZ_
; %bb.0:
	.section	.rodata,"a",@progbits
	.p2align	6, 0x0
	.amdhsa_kernel _ZN7rocprim17ROCPRIM_400000_NS6detail17trampoline_kernelINS0_13select_configILj256ELj13ELNS0_17block_load_methodE3ELS4_3ELS4_3ELNS0_20block_scan_algorithmE0ELj4294967295EEENS1_25partition_config_selectorILNS1_17partition_subalgoE3EjNS0_10empty_typeEbEEZZNS1_14partition_implILS8_3ELb0ES6_jNS0_17counting_iteratorIjlEEPS9_SE_NS0_5tupleIJPjSE_EEENSF_IJSE_SE_EEES9_SG_JZNS1_25segmented_radix_sort_implINS0_14default_configELb0EPK12hip_bfloat16PSL_PKlPlN2at6native12_GLOBAL__N_18offset_tEEE10hipError_tPvRmT1_PNSt15iterator_traitsISZ_E10value_typeET2_T3_PNS10_IS15_E10value_typeET4_jRbjT5_S1B_jjP12ihipStream_tbEUljE_EEESW_SX_SY_S15_S19_S1B_T6_T7_T9_mT8_S1D_bDpT10_ENKUlT_T0_E_clISt17integral_constantIbLb1EES1P_IbLb0EEEEDaS1L_S1M_EUlS1L_E_NS1_11comp_targetILNS1_3genE10ELNS1_11target_archE1200ELNS1_3gpuE4ELNS1_3repE0EEENS1_30default_config_static_selectorELNS0_4arch9wavefront6targetE0EEEvSZ_
		.amdhsa_group_segment_fixed_size 0
		.amdhsa_private_segment_fixed_size 0
		.amdhsa_kernarg_size 144
		.amdhsa_user_sgpr_count 15
		.amdhsa_user_sgpr_dispatch_ptr 0
		.amdhsa_user_sgpr_queue_ptr 0
		.amdhsa_user_sgpr_kernarg_segment_ptr 1
		.amdhsa_user_sgpr_dispatch_id 0
		.amdhsa_user_sgpr_private_segment_size 0
		.amdhsa_wavefront_size32 1
		.amdhsa_uses_dynamic_stack 0
		.amdhsa_enable_private_segment 0
		.amdhsa_system_sgpr_workgroup_id_x 1
		.amdhsa_system_sgpr_workgroup_id_y 0
		.amdhsa_system_sgpr_workgroup_id_z 0
		.amdhsa_system_sgpr_workgroup_info 0
		.amdhsa_system_vgpr_workitem_id 0
		.amdhsa_next_free_vgpr 1
		.amdhsa_next_free_sgpr 1
		.amdhsa_reserve_vcc 0
		.amdhsa_float_round_mode_32 0
		.amdhsa_float_round_mode_16_64 0
		.amdhsa_float_denorm_mode_32 3
		.amdhsa_float_denorm_mode_16_64 3
		.amdhsa_dx10_clamp 1
		.amdhsa_ieee_mode 1
		.amdhsa_fp16_overflow 0
		.amdhsa_workgroup_processor_mode 1
		.amdhsa_memory_ordered 1
		.amdhsa_forward_progress 0
		.amdhsa_shared_vgpr_count 0
		.amdhsa_exception_fp_ieee_invalid_op 0
		.amdhsa_exception_fp_denorm_src 0
		.amdhsa_exception_fp_ieee_div_zero 0
		.amdhsa_exception_fp_ieee_overflow 0
		.amdhsa_exception_fp_ieee_underflow 0
		.amdhsa_exception_fp_ieee_inexact 0
		.amdhsa_exception_int_div_zero 0
	.end_amdhsa_kernel
	.section	.text._ZN7rocprim17ROCPRIM_400000_NS6detail17trampoline_kernelINS0_13select_configILj256ELj13ELNS0_17block_load_methodE3ELS4_3ELS4_3ELNS0_20block_scan_algorithmE0ELj4294967295EEENS1_25partition_config_selectorILNS1_17partition_subalgoE3EjNS0_10empty_typeEbEEZZNS1_14partition_implILS8_3ELb0ES6_jNS0_17counting_iteratorIjlEEPS9_SE_NS0_5tupleIJPjSE_EEENSF_IJSE_SE_EEES9_SG_JZNS1_25segmented_radix_sort_implINS0_14default_configELb0EPK12hip_bfloat16PSL_PKlPlN2at6native12_GLOBAL__N_18offset_tEEE10hipError_tPvRmT1_PNSt15iterator_traitsISZ_E10value_typeET2_T3_PNS10_IS15_E10value_typeET4_jRbjT5_S1B_jjP12ihipStream_tbEUljE_EEESW_SX_SY_S15_S19_S1B_T6_T7_T9_mT8_S1D_bDpT10_ENKUlT_T0_E_clISt17integral_constantIbLb1EES1P_IbLb0EEEEDaS1L_S1M_EUlS1L_E_NS1_11comp_targetILNS1_3genE10ELNS1_11target_archE1200ELNS1_3gpuE4ELNS1_3repE0EEENS1_30default_config_static_selectorELNS0_4arch9wavefront6targetE0EEEvSZ_,"axG",@progbits,_ZN7rocprim17ROCPRIM_400000_NS6detail17trampoline_kernelINS0_13select_configILj256ELj13ELNS0_17block_load_methodE3ELS4_3ELS4_3ELNS0_20block_scan_algorithmE0ELj4294967295EEENS1_25partition_config_selectorILNS1_17partition_subalgoE3EjNS0_10empty_typeEbEEZZNS1_14partition_implILS8_3ELb0ES6_jNS0_17counting_iteratorIjlEEPS9_SE_NS0_5tupleIJPjSE_EEENSF_IJSE_SE_EEES9_SG_JZNS1_25segmented_radix_sort_implINS0_14default_configELb0EPK12hip_bfloat16PSL_PKlPlN2at6native12_GLOBAL__N_18offset_tEEE10hipError_tPvRmT1_PNSt15iterator_traitsISZ_E10value_typeET2_T3_PNS10_IS15_E10value_typeET4_jRbjT5_S1B_jjP12ihipStream_tbEUljE_EEESW_SX_SY_S15_S19_S1B_T6_T7_T9_mT8_S1D_bDpT10_ENKUlT_T0_E_clISt17integral_constantIbLb1EES1P_IbLb0EEEEDaS1L_S1M_EUlS1L_E_NS1_11comp_targetILNS1_3genE10ELNS1_11target_archE1200ELNS1_3gpuE4ELNS1_3repE0EEENS1_30default_config_static_selectorELNS0_4arch9wavefront6targetE0EEEvSZ_,comdat
.Lfunc_end2038:
	.size	_ZN7rocprim17ROCPRIM_400000_NS6detail17trampoline_kernelINS0_13select_configILj256ELj13ELNS0_17block_load_methodE3ELS4_3ELS4_3ELNS0_20block_scan_algorithmE0ELj4294967295EEENS1_25partition_config_selectorILNS1_17partition_subalgoE3EjNS0_10empty_typeEbEEZZNS1_14partition_implILS8_3ELb0ES6_jNS0_17counting_iteratorIjlEEPS9_SE_NS0_5tupleIJPjSE_EEENSF_IJSE_SE_EEES9_SG_JZNS1_25segmented_radix_sort_implINS0_14default_configELb0EPK12hip_bfloat16PSL_PKlPlN2at6native12_GLOBAL__N_18offset_tEEE10hipError_tPvRmT1_PNSt15iterator_traitsISZ_E10value_typeET2_T3_PNS10_IS15_E10value_typeET4_jRbjT5_S1B_jjP12ihipStream_tbEUljE_EEESW_SX_SY_S15_S19_S1B_T6_T7_T9_mT8_S1D_bDpT10_ENKUlT_T0_E_clISt17integral_constantIbLb1EES1P_IbLb0EEEEDaS1L_S1M_EUlS1L_E_NS1_11comp_targetILNS1_3genE10ELNS1_11target_archE1200ELNS1_3gpuE4ELNS1_3repE0EEENS1_30default_config_static_selectorELNS0_4arch9wavefront6targetE0EEEvSZ_, .Lfunc_end2038-_ZN7rocprim17ROCPRIM_400000_NS6detail17trampoline_kernelINS0_13select_configILj256ELj13ELNS0_17block_load_methodE3ELS4_3ELS4_3ELNS0_20block_scan_algorithmE0ELj4294967295EEENS1_25partition_config_selectorILNS1_17partition_subalgoE3EjNS0_10empty_typeEbEEZZNS1_14partition_implILS8_3ELb0ES6_jNS0_17counting_iteratorIjlEEPS9_SE_NS0_5tupleIJPjSE_EEENSF_IJSE_SE_EEES9_SG_JZNS1_25segmented_radix_sort_implINS0_14default_configELb0EPK12hip_bfloat16PSL_PKlPlN2at6native12_GLOBAL__N_18offset_tEEE10hipError_tPvRmT1_PNSt15iterator_traitsISZ_E10value_typeET2_T3_PNS10_IS15_E10value_typeET4_jRbjT5_S1B_jjP12ihipStream_tbEUljE_EEESW_SX_SY_S15_S19_S1B_T6_T7_T9_mT8_S1D_bDpT10_ENKUlT_T0_E_clISt17integral_constantIbLb1EES1P_IbLb0EEEEDaS1L_S1M_EUlS1L_E_NS1_11comp_targetILNS1_3genE10ELNS1_11target_archE1200ELNS1_3gpuE4ELNS1_3repE0EEENS1_30default_config_static_selectorELNS0_4arch9wavefront6targetE0EEEvSZ_
                                        ; -- End function
	.section	.AMDGPU.csdata,"",@progbits
; Kernel info:
; codeLenInByte = 0
; NumSgprs: 0
; NumVgprs: 0
; ScratchSize: 0
; MemoryBound: 0
; FloatMode: 240
; IeeeMode: 1
; LDSByteSize: 0 bytes/workgroup (compile time only)
; SGPRBlocks: 0
; VGPRBlocks: 0
; NumSGPRsForWavesPerEU: 1
; NumVGPRsForWavesPerEU: 1
; Occupancy: 16
; WaveLimiterHint : 0
; COMPUTE_PGM_RSRC2:SCRATCH_EN: 0
; COMPUTE_PGM_RSRC2:USER_SGPR: 15
; COMPUTE_PGM_RSRC2:TRAP_HANDLER: 0
; COMPUTE_PGM_RSRC2:TGID_X_EN: 1
; COMPUTE_PGM_RSRC2:TGID_Y_EN: 0
; COMPUTE_PGM_RSRC2:TGID_Z_EN: 0
; COMPUTE_PGM_RSRC2:TIDIG_COMP_CNT: 0
	.section	.text._ZN7rocprim17ROCPRIM_400000_NS6detail17trampoline_kernelINS0_13select_configILj256ELj13ELNS0_17block_load_methodE3ELS4_3ELS4_3ELNS0_20block_scan_algorithmE0ELj4294967295EEENS1_25partition_config_selectorILNS1_17partition_subalgoE3EjNS0_10empty_typeEbEEZZNS1_14partition_implILS8_3ELb0ES6_jNS0_17counting_iteratorIjlEEPS9_SE_NS0_5tupleIJPjSE_EEENSF_IJSE_SE_EEES9_SG_JZNS1_25segmented_radix_sort_implINS0_14default_configELb0EPK12hip_bfloat16PSL_PKlPlN2at6native12_GLOBAL__N_18offset_tEEE10hipError_tPvRmT1_PNSt15iterator_traitsISZ_E10value_typeET2_T3_PNS10_IS15_E10value_typeET4_jRbjT5_S1B_jjP12ihipStream_tbEUljE_EEESW_SX_SY_S15_S19_S1B_T6_T7_T9_mT8_S1D_bDpT10_ENKUlT_T0_E_clISt17integral_constantIbLb1EES1P_IbLb0EEEEDaS1L_S1M_EUlS1L_E_NS1_11comp_targetILNS1_3genE9ELNS1_11target_archE1100ELNS1_3gpuE3ELNS1_3repE0EEENS1_30default_config_static_selectorELNS0_4arch9wavefront6targetE0EEEvSZ_,"axG",@progbits,_ZN7rocprim17ROCPRIM_400000_NS6detail17trampoline_kernelINS0_13select_configILj256ELj13ELNS0_17block_load_methodE3ELS4_3ELS4_3ELNS0_20block_scan_algorithmE0ELj4294967295EEENS1_25partition_config_selectorILNS1_17partition_subalgoE3EjNS0_10empty_typeEbEEZZNS1_14partition_implILS8_3ELb0ES6_jNS0_17counting_iteratorIjlEEPS9_SE_NS0_5tupleIJPjSE_EEENSF_IJSE_SE_EEES9_SG_JZNS1_25segmented_radix_sort_implINS0_14default_configELb0EPK12hip_bfloat16PSL_PKlPlN2at6native12_GLOBAL__N_18offset_tEEE10hipError_tPvRmT1_PNSt15iterator_traitsISZ_E10value_typeET2_T3_PNS10_IS15_E10value_typeET4_jRbjT5_S1B_jjP12ihipStream_tbEUljE_EEESW_SX_SY_S15_S19_S1B_T6_T7_T9_mT8_S1D_bDpT10_ENKUlT_T0_E_clISt17integral_constantIbLb1EES1P_IbLb0EEEEDaS1L_S1M_EUlS1L_E_NS1_11comp_targetILNS1_3genE9ELNS1_11target_archE1100ELNS1_3gpuE3ELNS1_3repE0EEENS1_30default_config_static_selectorELNS0_4arch9wavefront6targetE0EEEvSZ_,comdat
	.globl	_ZN7rocprim17ROCPRIM_400000_NS6detail17trampoline_kernelINS0_13select_configILj256ELj13ELNS0_17block_load_methodE3ELS4_3ELS4_3ELNS0_20block_scan_algorithmE0ELj4294967295EEENS1_25partition_config_selectorILNS1_17partition_subalgoE3EjNS0_10empty_typeEbEEZZNS1_14partition_implILS8_3ELb0ES6_jNS0_17counting_iteratorIjlEEPS9_SE_NS0_5tupleIJPjSE_EEENSF_IJSE_SE_EEES9_SG_JZNS1_25segmented_radix_sort_implINS0_14default_configELb0EPK12hip_bfloat16PSL_PKlPlN2at6native12_GLOBAL__N_18offset_tEEE10hipError_tPvRmT1_PNSt15iterator_traitsISZ_E10value_typeET2_T3_PNS10_IS15_E10value_typeET4_jRbjT5_S1B_jjP12ihipStream_tbEUljE_EEESW_SX_SY_S15_S19_S1B_T6_T7_T9_mT8_S1D_bDpT10_ENKUlT_T0_E_clISt17integral_constantIbLb1EES1P_IbLb0EEEEDaS1L_S1M_EUlS1L_E_NS1_11comp_targetILNS1_3genE9ELNS1_11target_archE1100ELNS1_3gpuE3ELNS1_3repE0EEENS1_30default_config_static_selectorELNS0_4arch9wavefront6targetE0EEEvSZ_ ; -- Begin function _ZN7rocprim17ROCPRIM_400000_NS6detail17trampoline_kernelINS0_13select_configILj256ELj13ELNS0_17block_load_methodE3ELS4_3ELS4_3ELNS0_20block_scan_algorithmE0ELj4294967295EEENS1_25partition_config_selectorILNS1_17partition_subalgoE3EjNS0_10empty_typeEbEEZZNS1_14partition_implILS8_3ELb0ES6_jNS0_17counting_iteratorIjlEEPS9_SE_NS0_5tupleIJPjSE_EEENSF_IJSE_SE_EEES9_SG_JZNS1_25segmented_radix_sort_implINS0_14default_configELb0EPK12hip_bfloat16PSL_PKlPlN2at6native12_GLOBAL__N_18offset_tEEE10hipError_tPvRmT1_PNSt15iterator_traitsISZ_E10value_typeET2_T3_PNS10_IS15_E10value_typeET4_jRbjT5_S1B_jjP12ihipStream_tbEUljE_EEESW_SX_SY_S15_S19_S1B_T6_T7_T9_mT8_S1D_bDpT10_ENKUlT_T0_E_clISt17integral_constantIbLb1EES1P_IbLb0EEEEDaS1L_S1M_EUlS1L_E_NS1_11comp_targetILNS1_3genE9ELNS1_11target_archE1100ELNS1_3gpuE3ELNS1_3repE0EEENS1_30default_config_static_selectorELNS0_4arch9wavefront6targetE0EEEvSZ_
	.p2align	8
	.type	_ZN7rocprim17ROCPRIM_400000_NS6detail17trampoline_kernelINS0_13select_configILj256ELj13ELNS0_17block_load_methodE3ELS4_3ELS4_3ELNS0_20block_scan_algorithmE0ELj4294967295EEENS1_25partition_config_selectorILNS1_17partition_subalgoE3EjNS0_10empty_typeEbEEZZNS1_14partition_implILS8_3ELb0ES6_jNS0_17counting_iteratorIjlEEPS9_SE_NS0_5tupleIJPjSE_EEENSF_IJSE_SE_EEES9_SG_JZNS1_25segmented_radix_sort_implINS0_14default_configELb0EPK12hip_bfloat16PSL_PKlPlN2at6native12_GLOBAL__N_18offset_tEEE10hipError_tPvRmT1_PNSt15iterator_traitsISZ_E10value_typeET2_T3_PNS10_IS15_E10value_typeET4_jRbjT5_S1B_jjP12ihipStream_tbEUljE_EEESW_SX_SY_S15_S19_S1B_T6_T7_T9_mT8_S1D_bDpT10_ENKUlT_T0_E_clISt17integral_constantIbLb1EES1P_IbLb0EEEEDaS1L_S1M_EUlS1L_E_NS1_11comp_targetILNS1_3genE9ELNS1_11target_archE1100ELNS1_3gpuE3ELNS1_3repE0EEENS1_30default_config_static_selectorELNS0_4arch9wavefront6targetE0EEEvSZ_,@function
_ZN7rocprim17ROCPRIM_400000_NS6detail17trampoline_kernelINS0_13select_configILj256ELj13ELNS0_17block_load_methodE3ELS4_3ELS4_3ELNS0_20block_scan_algorithmE0ELj4294967295EEENS1_25partition_config_selectorILNS1_17partition_subalgoE3EjNS0_10empty_typeEbEEZZNS1_14partition_implILS8_3ELb0ES6_jNS0_17counting_iteratorIjlEEPS9_SE_NS0_5tupleIJPjSE_EEENSF_IJSE_SE_EEES9_SG_JZNS1_25segmented_radix_sort_implINS0_14default_configELb0EPK12hip_bfloat16PSL_PKlPlN2at6native12_GLOBAL__N_18offset_tEEE10hipError_tPvRmT1_PNSt15iterator_traitsISZ_E10value_typeET2_T3_PNS10_IS15_E10value_typeET4_jRbjT5_S1B_jjP12ihipStream_tbEUljE_EEESW_SX_SY_S15_S19_S1B_T6_T7_T9_mT8_S1D_bDpT10_ENKUlT_T0_E_clISt17integral_constantIbLb1EES1P_IbLb0EEEEDaS1L_S1M_EUlS1L_E_NS1_11comp_targetILNS1_3genE9ELNS1_11target_archE1100ELNS1_3gpuE3ELNS1_3repE0EEENS1_30default_config_static_selectorELNS0_4arch9wavefront6targetE0EEEvSZ_: ; @_ZN7rocprim17ROCPRIM_400000_NS6detail17trampoline_kernelINS0_13select_configILj256ELj13ELNS0_17block_load_methodE3ELS4_3ELS4_3ELNS0_20block_scan_algorithmE0ELj4294967295EEENS1_25partition_config_selectorILNS1_17partition_subalgoE3EjNS0_10empty_typeEbEEZZNS1_14partition_implILS8_3ELb0ES6_jNS0_17counting_iteratorIjlEEPS9_SE_NS0_5tupleIJPjSE_EEENSF_IJSE_SE_EEES9_SG_JZNS1_25segmented_radix_sort_implINS0_14default_configELb0EPK12hip_bfloat16PSL_PKlPlN2at6native12_GLOBAL__N_18offset_tEEE10hipError_tPvRmT1_PNSt15iterator_traitsISZ_E10value_typeET2_T3_PNS10_IS15_E10value_typeET4_jRbjT5_S1B_jjP12ihipStream_tbEUljE_EEESW_SX_SY_S15_S19_S1B_T6_T7_T9_mT8_S1D_bDpT10_ENKUlT_T0_E_clISt17integral_constantIbLb1EES1P_IbLb0EEEEDaS1L_S1M_EUlS1L_E_NS1_11comp_targetILNS1_3genE9ELNS1_11target_archE1100ELNS1_3gpuE3ELNS1_3repE0EEENS1_30default_config_static_selectorELNS0_4arch9wavefront6targetE0EEEvSZ_
; %bb.0:
	s_clause 0x5
	s_load_b32 s2, s[0:1], 0x70
	s_load_b64 s[16:17], s[0:1], 0x10
	s_load_b64 s[12:13], s[0:1], 0x58
	s_load_b32 s18, s[0:1], 0x8
	s_load_b128 s[8:11], s[0:1], 0x48
	s_load_b128 s[4:7], s[0:1], 0x78
	s_mul_i32 s23, s15, 0xd00
	v_lshlrev_b32_e32 v30, 2, v0
	s_waitcnt lgkmcnt(0)
	s_mul_i32 s20, s2, 0xd00
	s_add_i32 s19, s2, -1
	s_add_u32 s2, s16, s20
	s_addc_u32 s3, s17, 0
	s_cmp_eq_u32 s15, s19
	v_cmp_lt_u64_e64 s3, s[2:3], s[12:13]
	s_cselect_b32 s14, -1, 0
	s_cmp_lg_u32 s15, s19
	s_cselect_b32 s21, -1, 0
	s_add_i32 s2, s18, s23
	s_delay_alu instid0(VALU_DEP_1)
	s_or_b32 s3, s21, s3
	s_add_i32 s18, s2, s16
	s_load_b32 s2, s[0:1], 0x88
	v_add_nc_u32_e32 v1, s18, v0
	s_load_b64 s[18:19], s[10:11], 0x0
	s_and_b32 vcc_lo, exec_lo, s3
	s_mov_b32 s10, -1
	s_delay_alu instid0(VALU_DEP_1)
	v_add_nc_u32_e32 v2, 0x100, v1
	v_add_nc_u32_e32 v3, 0x200, v1
	;; [unrolled: 1-line block ×12, first 2 shown]
	s_cbranch_vccz .LBB2039_2
; %bb.1:
	ds_store_2addr_stride64_b32 v30, v1, v2 offset1:4
	ds_store_2addr_stride64_b32 v30, v3, v4 offset0:8 offset1:12
	ds_store_2addr_stride64_b32 v30, v5, v6 offset0:16 offset1:20
	;; [unrolled: 1-line block ×5, first 2 shown]
	ds_store_b32 v30, v13 offset:12288
	s_waitcnt lgkmcnt(0)
	s_mov_b32 s10, 0
	s_barrier
.LBB2039_2:
	s_and_not1_b32 vcc_lo, exec_lo, s10
	s_add_i32 s20, s20, s16
	s_cbranch_vccnz .LBB2039_4
; %bb.3:
	ds_store_2addr_stride64_b32 v30, v1, v2 offset1:4
	ds_store_2addr_stride64_b32 v30, v3, v4 offset0:8 offset1:12
	ds_store_2addr_stride64_b32 v30, v5, v6 offset0:16 offset1:20
	;; [unrolled: 1-line block ×5, first 2 shown]
	ds_store_b32 v30, v13 offset:12288
	s_waitcnt lgkmcnt(0)
	s_barrier
.LBB2039_4:
	v_mul_u32_u24_e32 v33, 13, v0
	s_waitcnt lgkmcnt(0)
	buffer_gl0_inv
	v_cndmask_b32_e64 v31, 0, 1, s3
	s_sub_i32 s22, s12, s20
	s_and_not1_b32 vcc_lo, exec_lo, s3
	v_lshlrev_b32_e32 v1, 2, v33
	ds_load_2addr_b32 v[28:29], v1 offset1:1
	ds_load_2addr_b32 v[26:27], v1 offset0:2 offset1:3
	ds_load_2addr_b32 v[24:25], v1 offset0:4 offset1:5
	;; [unrolled: 1-line block ×5, first 2 shown]
	ds_load_b32 v32, v1 offset:48
	s_waitcnt lgkmcnt(0)
	s_barrier
	buffer_gl0_inv
	s_cbranch_vccnz .LBB2039_6
; %bb.5:
	v_add_nc_u32_e32 v1, s5, v28
	v_add_nc_u32_e32 v2, s7, v28
	;; [unrolled: 1-line block ×5, first 2 shown]
	v_mul_lo_u32 v1, v1, s4
	v_mul_lo_u32 v2, v2, s6
	;; [unrolled: 1-line block ×4, first 2 shown]
	v_add_nc_u32_e32 v6, s7, v26
	v_add_nc_u32_e32 v7, s5, v27
	;; [unrolled: 1-line block ×3, first 2 shown]
	v_mul_lo_u32 v5, v5, s4
	v_add_nc_u32_e32 v9, s5, v22
	v_sub_nc_u32_e32 v1, v1, v2
	v_mul_lo_u32 v2, v6, s6
	v_sub_nc_u32_e32 v3, v3, v4
	v_mul_lo_u32 v4, v7, s4
	v_mul_lo_u32 v6, v8, s6
	v_add_nc_u32_e32 v7, s5, v24
	v_cmp_lt_u32_e32 vcc_lo, s2, v1
	v_add_nc_u32_e32 v8, s5, v25
	v_add_nc_u32_e32 v10, s7, v22
	v_sub_nc_u32_e32 v2, v5, v2
	v_add_nc_u32_e32 v5, s7, v24
	v_cndmask_b32_e64 v1, 0, 1, vcc_lo
	v_sub_nc_u32_e32 v4, v4, v6
	v_mul_lo_u32 v6, v7, s4
	v_add_nc_u32_e32 v7, s7, v25
	v_cmp_lt_u32_e32 vcc_lo, s2, v3
	v_mul_lo_u32 v5, v5, s6
	v_mul_lo_u32 v8, v8, s4
	;; [unrolled: 1-line block ×4, first 2 shown]
	v_cndmask_b32_e64 v3, 0, 1, vcc_lo
	v_cmp_lt_u32_e32 vcc_lo, s2, v2
	v_mul_lo_u32 v10, v10, s6
	v_add_nc_u32_e32 v11, s5, v20
	v_sub_nc_u32_e32 v5, v6, v5
	v_add_nc_u32_e32 v12, s7, v20
	v_cndmask_b32_e64 v2, 0, 1, vcc_lo
	v_sub_nc_u32_e32 v6, v8, v7
	v_add_nc_u32_e32 v7, s5, v23
	v_add_nc_u32_e32 v8, s7, v23
	v_cmp_lt_u32_e32 vcc_lo, s2, v4
	v_sub_nc_u32_e32 v9, v9, v10
	v_mul_lo_u32 v10, v11, s4
	v_mul_lo_u32 v7, v7, s4
	;; [unrolled: 1-line block ×4, first 2 shown]
	v_cndmask_b32_e64 v4, 0, 1, vcc_lo
	v_cmp_lt_u32_e32 vcc_lo, s2, v5
	v_add_nc_u32_e32 v12, s5, v21
	v_add_nc_u32_e32 v13, s7, v18
	;; [unrolled: 1-line block ×4, first 2 shown]
	v_cndmask_b32_e64 v5, 0, 1, vcc_lo
	v_cmp_lt_u32_e32 vcc_lo, s2, v6
	v_sub_nc_u32_e32 v7, v7, v8
	v_sub_nc_u32_e32 v8, v10, v11
	v_add_nc_u32_e32 v11, s7, v21
	v_mul_lo_u32 v10, v12, s4
	v_cndmask_b32_e64 v6, 0, 1, vcc_lo
	v_cmp_lt_u32_e32 vcc_lo, s2, v9
	v_add_nc_u32_e32 v12, s5, v18
	v_mul_lo_u32 v11, v11, s6
	v_mul_lo_u32 v13, v13, s6
	;; [unrolled: 1-line block ×3, first 2 shown]
	v_cndmask_b32_e64 v9, 0, 1, vcc_lo
	v_cmp_lt_u32_e32 vcc_lo, s2, v7
	v_mul_lo_u32 v12, v12, s4
	v_mul_lo_u32 v15, v15, s6
	v_lshlrev_b16 v3, 8, v3
	v_sub_nc_u32_e32 v10, v10, v11
	v_cndmask_b32_e64 v7, 0, 1, vcc_lo
	v_cmp_lt_u32_e32 vcc_lo, s2, v8
	v_add_nc_u32_e32 v11, s5, v32
	v_or_b32_e32 v1, v1, v3
	v_sub_nc_u32_e32 v12, v12, v13
	v_sub_nc_u32_e32 v13, v14, v15
	v_cndmask_b32_e64 v8, 0, 1, vcc_lo
	v_cmp_lt_u32_e32 vcc_lo, s2, v10
	v_add_nc_u32_e32 v16, s7, v32
	v_mul_lo_u32 v11, v11, s4
	v_lshlrev_b16 v4, 8, v4
	v_lshlrev_b16 v6, 8, v6
	v_cndmask_b32_e64 v10, 0, 1, vcc_lo
	v_cmp_lt_u32_e32 vcc_lo, s2, v12
	v_mul_lo_u32 v14, v16, s6
	v_lshlrev_b16 v7, 8, v7
	v_or_b32_e32 v2, v2, v4
	v_lshlrev_b16 v10, 8, v10
	v_cndmask_b32_e64 v3, 0, 1, vcc_lo
	v_cmp_lt_u32_e32 vcc_lo, s2, v13
	v_or_b32_e32 v4, v5, v6
	v_or_b32_e32 v5, v9, v7
	v_sub_nc_u32_e32 v11, v11, v14
	v_or_b32_e32 v6, v8, v10
	v_cndmask_b32_e64 v12, 0, 1, vcc_lo
	v_and_b32_e32 v1, 0xffff, v1
	v_lshlrev_b32_e32 v2, 16, v2
	v_and_b32_e32 v4, 0xffff, v4
	v_lshlrev_b32_e32 v5, 16, v5
	v_lshlrev_b16 v12, 8, v12
	v_and_b32_e32 v6, 0xffff, v6
	v_cmp_lt_u32_e32 vcc_lo, s2, v11
	v_or_b32_e32 v39, v1, v2
	v_or_b32_e32 v37, v4, v5
	v_or_b32_e32 v3, v3, v12
	s_mov_b32 s3, 0
	v_cndmask_b32_e64 v34, 0, 1, vcc_lo
	s_delay_alu instid0(VALU_DEP_2) | instskip(NEXT) | instid1(VALU_DEP_1)
	v_lshlrev_b32_e32 v3, 16, v3
	v_or_b32_e32 v35, v6, v3
	s_branch .LBB2039_7
.LBB2039_6:
	s_mov_b32 s3, -1
                                        ; implicit-def: $vgpr34
                                        ; implicit-def: $vgpr35
                                        ; implicit-def: $vgpr37
                                        ; implicit-def: $vgpr39
.LBB2039_7:
	s_clause 0x1
	s_load_b64 s[10:11], s[0:1], 0x28
	s_load_b64 s[20:21], s[0:1], 0x68
	s_and_not1_b32 vcc_lo, exec_lo, s3
	s_addk_i32 s22, 0xd00
	s_cbranch_vccnz .LBB2039_35
; %bb.8:
	v_dual_mov_b32 v2, 0 :: v_dual_mov_b32 v1, 0
	s_mov_b32 s0, exec_lo
	v_cmpx_gt_u32_e64 s22, v33
; %bb.9:
	v_add_nc_u32_e32 v1, s5, v28
	v_add_nc_u32_e32 v3, s7, v28
	s_delay_alu instid0(VALU_DEP_2) | instskip(NEXT) | instid1(VALU_DEP_2)
	v_mul_lo_u32 v1, v1, s4
	v_mul_lo_u32 v3, v3, s6
	s_delay_alu instid0(VALU_DEP_1) | instskip(NEXT) | instid1(VALU_DEP_1)
	v_sub_nc_u32_e32 v1, v1, v3
	v_cmp_lt_u32_e32 vcc_lo, s2, v1
	v_cndmask_b32_e64 v1, 0, 1, vcc_lo
; %bb.10:
	s_or_b32 exec_lo, exec_lo, s0
	v_add_nc_u32_e32 v3, 1, v33
	s_mov_b32 s0, exec_lo
	s_delay_alu instid0(VALU_DEP_1)
	v_cmpx_gt_u32_e64 s22, v3
; %bb.11:
	v_add_nc_u32_e32 v2, s5, v29
	v_add_nc_u32_e32 v3, s7, v29
	s_delay_alu instid0(VALU_DEP_2) | instskip(NEXT) | instid1(VALU_DEP_2)
	v_mul_lo_u32 v2, v2, s4
	v_mul_lo_u32 v3, v3, s6
	s_delay_alu instid0(VALU_DEP_1) | instskip(NEXT) | instid1(VALU_DEP_1)
	v_sub_nc_u32_e32 v2, v2, v3
	v_cmp_lt_u32_e32 vcc_lo, s2, v2
	v_cndmask_b32_e64 v2, 0, 1, vcc_lo
; %bb.12:
	s_or_b32 exec_lo, exec_lo, s0
	v_dual_mov_b32 v4, 0 :: v_dual_add_nc_u32 v3, 2, v33
	s_delay_alu instid0(VALU_DEP_1)
	v_cmp_gt_u32_e32 vcc_lo, s22, v3
	v_mov_b32_e32 v3, 0
	s_and_saveexec_b32 s0, vcc_lo
; %bb.13:
	v_add_nc_u32_e32 v3, s5, v26
	v_add_nc_u32_e32 v5, s7, v26
	s_delay_alu instid0(VALU_DEP_2) | instskip(NEXT) | instid1(VALU_DEP_2)
	v_mul_lo_u32 v3, v3, s4
	v_mul_lo_u32 v5, v5, s6
	s_delay_alu instid0(VALU_DEP_1) | instskip(NEXT) | instid1(VALU_DEP_1)
	v_sub_nc_u32_e32 v3, v3, v5
	v_cmp_lt_u32_e32 vcc_lo, s2, v3
	v_cndmask_b32_e64 v3, 0, 1, vcc_lo
; %bb.14:
	s_or_b32 exec_lo, exec_lo, s0
	v_add_nc_u32_e32 v5, 3, v33
	s_mov_b32 s0, exec_lo
	s_delay_alu instid0(VALU_DEP_1)
	v_cmpx_gt_u32_e64 s22, v5
; %bb.15:
	v_add_nc_u32_e32 v4, s5, v27
	v_add_nc_u32_e32 v5, s7, v27
	s_delay_alu instid0(VALU_DEP_2) | instskip(NEXT) | instid1(VALU_DEP_2)
	v_mul_lo_u32 v4, v4, s4
	v_mul_lo_u32 v5, v5, s6
	s_delay_alu instid0(VALU_DEP_1) | instskip(NEXT) | instid1(VALU_DEP_1)
	v_sub_nc_u32_e32 v4, v4, v5
	v_cmp_lt_u32_e32 vcc_lo, s2, v4
	v_cndmask_b32_e64 v4, 0, 1, vcc_lo
; %bb.16:
	s_or_b32 exec_lo, exec_lo, s0
	v_dual_mov_b32 v6, 0 :: v_dual_add_nc_u32 v5, 4, v33
	s_delay_alu instid0(VALU_DEP_1)
	v_cmp_gt_u32_e32 vcc_lo, s22, v5
	v_mov_b32_e32 v5, 0
	s_and_saveexec_b32 s0, vcc_lo
	;; [unrolled: 33-line block ×5, first 2 shown]
; %bb.29:
	v_add_nc_u32_e32 v11, s5, v18
	v_add_nc_u32_e32 v13, s7, v18
	s_delay_alu instid0(VALU_DEP_2) | instskip(NEXT) | instid1(VALU_DEP_2)
	v_mul_lo_u32 v11, v11, s4
	v_mul_lo_u32 v13, v13, s6
	s_delay_alu instid0(VALU_DEP_1) | instskip(NEXT) | instid1(VALU_DEP_1)
	v_sub_nc_u32_e32 v11, v11, v13
	v_cmp_lt_u32_e32 vcc_lo, s2, v11
	v_cndmask_b32_e64 v11, 0, 1, vcc_lo
; %bb.30:
	s_or_b32 exec_lo, exec_lo, s0
	v_add_nc_u32_e32 v13, 11, v33
	s_mov_b32 s0, exec_lo
	s_delay_alu instid0(VALU_DEP_1)
	v_cmpx_gt_u32_e64 s22, v13
; %bb.31:
	v_add_nc_u32_e32 v12, s5, v19
	v_add_nc_u32_e32 v13, s7, v19
	s_delay_alu instid0(VALU_DEP_2) | instskip(NEXT) | instid1(VALU_DEP_2)
	v_mul_lo_u32 v12, v12, s4
	v_mul_lo_u32 v13, v13, s6
	s_delay_alu instid0(VALU_DEP_1) | instskip(NEXT) | instid1(VALU_DEP_1)
	v_sub_nc_u32_e32 v12, v12, v13
	v_cmp_lt_u32_e32 vcc_lo, s2, v12
	v_cndmask_b32_e64 v12, 0, 1, vcc_lo
; %bb.32:
	s_or_b32 exec_lo, exec_lo, s0
	v_dual_mov_b32 v34, 0 :: v_dual_add_nc_u32 v13, 12, v33
	s_mov_b32 s0, exec_lo
	s_delay_alu instid0(VALU_DEP_1)
	v_cmpx_gt_u32_e64 s22, v13
; %bb.33:
	v_add_nc_u32_e32 v13, s5, v32
	v_add_nc_u32_e32 v14, s7, v32
	s_delay_alu instid0(VALU_DEP_2) | instskip(NEXT) | instid1(VALU_DEP_2)
	v_mul_lo_u32 v13, v13, s4
	v_mul_lo_u32 v14, v14, s6
	s_delay_alu instid0(VALU_DEP_1) | instskip(NEXT) | instid1(VALU_DEP_1)
	v_sub_nc_u32_e32 v13, v13, v14
	v_cmp_lt_u32_e32 vcc_lo, s2, v13
	v_cndmask_b32_e64 v34, 0, 1, vcc_lo
; %bb.34:
	s_or_b32 exec_lo, exec_lo, s0
	v_lshlrev_b16 v2, 8, v2
	v_lshlrev_b16 v4, 8, v4
	v_lshlrev_b16 v6, 8, v6
	v_lshlrev_b16 v8, 8, v8
	v_lshlrev_b16 v10, 8, v10
	v_or_b32_e32 v1, v1, v2
	v_lshlrev_b16 v2, 8, v12
	v_or_b32_e32 v3, v3, v4
	v_or_b32_e32 v4, v5, v6
	;; [unrolled: 1-line block ×5, first 2 shown]
	v_and_b32_e32 v1, 0xffff, v1
	v_lshlrev_b32_e32 v3, 16, v3
	v_and_b32_e32 v4, 0xffff, v4
	v_lshlrev_b32_e32 v5, 16, v5
	;; [unrolled: 2-line block ×3, first 2 shown]
	v_or_b32_e32 v39, v1, v3
	s_delay_alu instid0(VALU_DEP_4) | instskip(NEXT) | instid1(VALU_DEP_3)
	v_or_b32_e32 v37, v4, v5
	v_or_b32_e32 v35, v6, v2
.LBB2039_35:
	s_delay_alu instid0(VALU_DEP_3)
	v_and_b32_e32 v41, 0xff, v39
	v_bfe_u32 v42, v39, 8, 8
	v_bfe_u32 v43, v39, 16, 8
	v_lshrrev_b32_e32 v40, 24, v39
	v_and_b32_e32 v44, 0xff, v37
	v_bfe_u32 v45, v37, 8, 8
	v_bfe_u32 v46, v37, 16, 8
	v_add3_u32 v1, v42, v41, v43
	v_lshrrev_b32_e32 v38, 24, v37
	v_and_b32_e32 v47, 0xff, v35
	v_bfe_u32 v48, v35, 8, 8
	v_mbcnt_lo_u32_b32 v50, -1, 0
	v_add3_u32 v1, v1, v40, v44
	v_bfe_u32 v49, v35, 16, 8
	v_lshrrev_b32_e32 v36, 24, v35
	v_and_b32_e32 v2, 0xff, v34
	v_and_b32_e32 v3, 15, v50
	v_add3_u32 v1, v1, v45, v46
	v_or_b32_e32 v4, 31, v0
	v_and_b32_e32 v5, 16, v50
	v_lshrrev_b32_e32 v51, 5, v0
	v_cmp_eq_u32_e64 s5, 0, v3
	v_add3_u32 v1, v1, v38, v47
	v_cmp_lt_u32_e64 s4, 1, v3
	v_cmp_lt_u32_e64 s3, 3, v3
	;; [unrolled: 1-line block ×3, first 2 shown]
	v_cmp_eq_u32_e64 s1, 0, v5
	v_add3_u32 v1, v1, v48, v49
	v_cmp_eq_u32_e64 s0, v4, v0
	s_cmp_lg_u32 s15, 0
	s_mov_b32 s6, -1
	s_delay_alu instid0(VALU_DEP_2)
	v_add3_u32 v52, v1, v36, v2
	s_cbranch_scc0 .LBB2039_66
; %bb.36:
	s_delay_alu instid0(VALU_DEP_1) | instskip(NEXT) | instid1(VALU_DEP_1)
	v_mov_b32_dpp v1, v52 row_shr:1 row_mask:0xf bank_mask:0xf
	v_cndmask_b32_e64 v1, v1, 0, s5
	s_delay_alu instid0(VALU_DEP_1) | instskip(NEXT) | instid1(VALU_DEP_1)
	v_add_nc_u32_e32 v1, v1, v52
	v_mov_b32_dpp v2, v1 row_shr:2 row_mask:0xf bank_mask:0xf
	s_delay_alu instid0(VALU_DEP_1) | instskip(NEXT) | instid1(VALU_DEP_1)
	v_cndmask_b32_e64 v2, 0, v2, s4
	v_add_nc_u32_e32 v1, v1, v2
	s_delay_alu instid0(VALU_DEP_1) | instskip(NEXT) | instid1(VALU_DEP_1)
	v_mov_b32_dpp v2, v1 row_shr:4 row_mask:0xf bank_mask:0xf
	v_cndmask_b32_e64 v2, 0, v2, s3
	s_delay_alu instid0(VALU_DEP_1) | instskip(NEXT) | instid1(VALU_DEP_1)
	v_add_nc_u32_e32 v1, v1, v2
	v_mov_b32_dpp v2, v1 row_shr:8 row_mask:0xf bank_mask:0xf
	s_delay_alu instid0(VALU_DEP_1) | instskip(NEXT) | instid1(VALU_DEP_1)
	v_cndmask_b32_e64 v2, 0, v2, s2
	v_add_nc_u32_e32 v1, v1, v2
	ds_swizzle_b32 v2, v1 offset:swizzle(BROADCAST,32,15)
	s_waitcnt lgkmcnt(0)
	v_cndmask_b32_e64 v2, v2, 0, s1
	s_delay_alu instid0(VALU_DEP_1)
	v_add_nc_u32_e32 v1, v1, v2
	s_and_saveexec_b32 s6, s0
	s_cbranch_execz .LBB2039_38
; %bb.37:
	v_lshlrev_b32_e32 v2, 2, v51
	ds_store_b32 v2, v1
.LBB2039_38:
	s_or_b32 exec_lo, exec_lo, s6
	s_delay_alu instid0(SALU_CYCLE_1)
	s_mov_b32 s6, exec_lo
	s_waitcnt lgkmcnt(0)
	s_barrier
	buffer_gl0_inv
	v_cmpx_gt_u32_e32 8, v0
	s_cbranch_execz .LBB2039_40
; %bb.39:
	ds_load_b32 v2, v30
	s_waitcnt lgkmcnt(0)
	v_mov_b32_dpp v4, v2 row_shr:1 row_mask:0xf bank_mask:0xf
	v_and_b32_e32 v3, 7, v50
	s_delay_alu instid0(VALU_DEP_1) | instskip(NEXT) | instid1(VALU_DEP_3)
	v_cmp_ne_u32_e32 vcc_lo, 0, v3
	v_cndmask_b32_e32 v4, 0, v4, vcc_lo
	v_cmp_lt_u32_e32 vcc_lo, 1, v3
	s_delay_alu instid0(VALU_DEP_2) | instskip(NEXT) | instid1(VALU_DEP_1)
	v_add_nc_u32_e32 v2, v4, v2
	v_mov_b32_dpp v4, v2 row_shr:2 row_mask:0xf bank_mask:0xf
	s_delay_alu instid0(VALU_DEP_1) | instskip(SKIP_1) | instid1(VALU_DEP_2)
	v_cndmask_b32_e32 v4, 0, v4, vcc_lo
	v_cmp_lt_u32_e32 vcc_lo, 3, v3
	v_add_nc_u32_e32 v2, v2, v4
	s_delay_alu instid0(VALU_DEP_1) | instskip(NEXT) | instid1(VALU_DEP_1)
	v_mov_b32_dpp v4, v2 row_shr:4 row_mask:0xf bank_mask:0xf
	v_cndmask_b32_e32 v3, 0, v4, vcc_lo
	s_delay_alu instid0(VALU_DEP_1)
	v_add_nc_u32_e32 v2, v2, v3
	ds_store_b32 v30, v2
.LBB2039_40:
	s_or_b32 exec_lo, exec_lo, s6
	v_cmp_gt_u32_e32 vcc_lo, 32, v0
	s_mov_b32 s7, exec_lo
	s_waitcnt lgkmcnt(0)
	s_barrier
	buffer_gl0_inv
                                        ; implicit-def: $vgpr8
	v_cmpx_lt_u32_e32 31, v0
	s_cbranch_execz .LBB2039_42
; %bb.41:
	v_lshl_add_u32 v2, v51, 2, -4
	ds_load_b32 v8, v2
	s_waitcnt lgkmcnt(0)
	v_add_nc_u32_e32 v1, v8, v1
.LBB2039_42:
	s_or_b32 exec_lo, exec_lo, s7
	v_add_nc_u32_e32 v2, -1, v50
	s_delay_alu instid0(VALU_DEP_1) | instskip(NEXT) | instid1(VALU_DEP_1)
	v_cmp_gt_i32_e64 s6, 0, v2
	v_cndmask_b32_e64 v2, v2, v50, s6
	v_cmp_eq_u32_e64 s6, 0, v50
	s_delay_alu instid0(VALU_DEP_2)
	v_lshlrev_b32_e32 v2, 2, v2
	ds_bpermute_b32 v9, v2, v1
	s_and_saveexec_b32 s7, vcc_lo
	s_cbranch_execz .LBB2039_65
; %bb.43:
	v_mov_b32_e32 v4, 0
	ds_load_b32 v1, v4 offset:28
	s_and_saveexec_b32 s24, s6
	s_cbranch_execz .LBB2039_45
; %bb.44:
	s_add_i32 s26, s15, 32
	s_mov_b32 s27, 0
	v_mov_b32_e32 v2, 1
	s_lshl_b64 s[26:27], s[26:27], 3
	s_delay_alu instid0(SALU_CYCLE_1)
	s_add_u32 s26, s20, s26
	s_addc_u32 s27, s21, s27
	s_waitcnt lgkmcnt(0)
	global_store_b64 v4, v[1:2], s[26:27]
.LBB2039_45:
	s_or_b32 exec_lo, exec_lo, s24
	v_xad_u32 v2, v50, -1, s15
	s_mov_b32 s25, 0
	s_mov_b32 s24, exec_lo
	s_delay_alu instid0(VALU_DEP_1) | instskip(NEXT) | instid1(VALU_DEP_1)
	v_add_nc_u32_e32 v3, 32, v2
	v_lshlrev_b64 v[3:4], 3, v[3:4]
	s_delay_alu instid0(VALU_DEP_1) | instskip(NEXT) | instid1(VALU_DEP_2)
	v_add_co_u32 v6, vcc_lo, s20, v3
	v_add_co_ci_u32_e32 v7, vcc_lo, s21, v4, vcc_lo
	global_load_b64 v[4:5], v[6:7], off glc
	s_waitcnt vmcnt(0)
	v_and_b32_e32 v3, 0xff, v5
	s_delay_alu instid0(VALU_DEP_1)
	v_cmpx_eq_u16_e32 0, v3
	s_cbranch_execz .LBB2039_51
; %bb.46:
	s_mov_b32 s26, 1
	.p2align	6
.LBB2039_47:                            ; =>This Loop Header: Depth=1
                                        ;     Child Loop BB2039_48 Depth 2
	s_delay_alu instid0(SALU_CYCLE_1)
	s_max_u32 s27, s26, 1
.LBB2039_48:                            ;   Parent Loop BB2039_47 Depth=1
                                        ; =>  This Inner Loop Header: Depth=2
	s_delay_alu instid0(SALU_CYCLE_1)
	s_add_i32 s27, s27, -1
	s_sleep 1
	s_cmp_eq_u32 s27, 0
	s_cbranch_scc0 .LBB2039_48
; %bb.49:                               ;   in Loop: Header=BB2039_47 Depth=1
	global_load_b64 v[4:5], v[6:7], off glc
	s_cmp_lt_u32 s26, 32
	s_cselect_b32 s27, -1, 0
	s_delay_alu instid0(SALU_CYCLE_1) | instskip(SKIP_3) | instid1(VALU_DEP_1)
	s_cmp_lg_u32 s27, 0
	s_addc_u32 s26, s26, 0
	s_waitcnt vmcnt(0)
	v_and_b32_e32 v3, 0xff, v5
	v_cmp_ne_u16_e32 vcc_lo, 0, v3
	s_or_b32 s25, vcc_lo, s25
	s_delay_alu instid0(SALU_CYCLE_1)
	s_and_not1_b32 exec_lo, exec_lo, s25
	s_cbranch_execnz .LBB2039_47
; %bb.50:
	s_or_b32 exec_lo, exec_lo, s25
.LBB2039_51:
	s_delay_alu instid0(SALU_CYCLE_1)
	s_or_b32 exec_lo, exec_lo, s24
	v_cmp_ne_u32_e32 vcc_lo, 31, v50
	v_lshlrev_b32_e64 v11, v50, -1
	v_add_nc_u32_e32 v13, 2, v50
	v_add_nc_u32_e32 v16, 4, v50
	;; [unrolled: 1-line block ×3, first 2 shown]
	v_add_co_ci_u32_e32 v3, vcc_lo, 0, v50, vcc_lo
	v_add_nc_u32_e32 v55, 16, v50
	s_delay_alu instid0(VALU_DEP_2) | instskip(SKIP_2) | instid1(VALU_DEP_1)
	v_lshlrev_b32_e32 v10, 2, v3
	ds_bpermute_b32 v6, v10, v4
	v_and_b32_e32 v3, 0xff, v5
	v_cmp_eq_u16_e32 vcc_lo, 2, v3
	v_and_or_b32 v3, vcc_lo, v11, 0x80000000
	v_cmp_gt_u32_e32 vcc_lo, 30, v50
	s_delay_alu instid0(VALU_DEP_2) | instskip(SKIP_1) | instid1(VALU_DEP_2)
	v_ctz_i32_b32_e32 v3, v3
	v_cndmask_b32_e64 v7, 0, 1, vcc_lo
	v_cmp_lt_u32_e32 vcc_lo, v50, v3
	s_waitcnt lgkmcnt(0)
	s_delay_alu instid0(VALU_DEP_2) | instskip(NEXT) | instid1(VALU_DEP_1)
	v_dual_cndmask_b32 v6, 0, v6 :: v_dual_lshlrev_b32 v7, 1, v7
	v_add_lshl_u32 v12, v7, v50, 2
	v_cmp_gt_u32_e32 vcc_lo, 28, v50
	s_delay_alu instid0(VALU_DEP_3) | instskip(SKIP_4) | instid1(VALU_DEP_1)
	v_add_nc_u32_e32 v4, v6, v4
	v_cndmask_b32_e64 v7, 0, 1, vcc_lo
	v_cmp_le_u32_e32 vcc_lo, v13, v3
	ds_bpermute_b32 v6, v12, v4
	v_lshlrev_b32_e32 v7, 2, v7
	v_add_lshl_u32 v14, v7, v50, 2
	s_waitcnt lgkmcnt(0)
	v_cndmask_b32_e32 v6, 0, v6, vcc_lo
	v_cmp_gt_u32_e32 vcc_lo, 24, v50
	s_delay_alu instid0(VALU_DEP_2) | instskip(SKIP_4) | instid1(VALU_DEP_1)
	v_add_nc_u32_e32 v4, v4, v6
	v_cndmask_b32_e64 v7, 0, 1, vcc_lo
	v_cmp_le_u32_e32 vcc_lo, v16, v3
	ds_bpermute_b32 v6, v14, v4
	v_lshlrev_b32_e32 v7, 3, v7
	v_add_lshl_u32 v17, v7, v50, 2
	s_waitcnt lgkmcnt(0)
	v_cndmask_b32_e32 v6, 0, v6, vcc_lo
	v_cmp_gt_u32_e32 vcc_lo, 16, v50
	s_delay_alu instid0(VALU_DEP_2) | instskip(SKIP_4) | instid1(VALU_DEP_1)
	v_add_nc_u32_e32 v4, v4, v6
	v_cndmask_b32_e64 v7, 0, 1, vcc_lo
	v_cmp_le_u32_e32 vcc_lo, v53, v3
	ds_bpermute_b32 v6, v17, v4
	v_lshlrev_b32_e32 v7, 4, v7
	v_add_lshl_u32 v54, v7, v50, 2
	s_waitcnt lgkmcnt(0)
	v_cndmask_b32_e32 v6, 0, v6, vcc_lo
	v_cmp_le_u32_e32 vcc_lo, v55, v3
	s_delay_alu instid0(VALU_DEP_2) | instskip(SKIP_3) | instid1(VALU_DEP_1)
	v_add_nc_u32_e32 v4, v4, v6
	ds_bpermute_b32 v6, v54, v4
	s_waitcnt lgkmcnt(0)
	v_cndmask_b32_e32 v3, 0, v6, vcc_lo
	v_dual_mov_b32 v3, 0 :: v_dual_add_nc_u32 v4, v4, v3
	s_branch .LBB2039_53
.LBB2039_52:                            ;   in Loop: Header=BB2039_53 Depth=1
	s_or_b32 exec_lo, exec_lo, s24
	ds_bpermute_b32 v7, v10, v4
	v_and_b32_e32 v6, 0xff, v5
	v_subrev_nc_u32_e32 v2, 32, v2
	s_delay_alu instid0(VALU_DEP_2) | instskip(SKIP_1) | instid1(VALU_DEP_1)
	v_cmp_eq_u16_e32 vcc_lo, 2, v6
	v_and_or_b32 v6, vcc_lo, v11, 0x80000000
	v_ctz_i32_b32_e32 v6, v6
	s_delay_alu instid0(VALU_DEP_1) | instskip(SKIP_3) | instid1(VALU_DEP_2)
	v_cmp_lt_u32_e32 vcc_lo, v50, v6
	s_waitcnt lgkmcnt(0)
	v_cndmask_b32_e32 v7, 0, v7, vcc_lo
	v_cmp_le_u32_e32 vcc_lo, v13, v6
	v_add_nc_u32_e32 v4, v7, v4
	ds_bpermute_b32 v7, v12, v4
	s_waitcnt lgkmcnt(0)
	v_cndmask_b32_e32 v7, 0, v7, vcc_lo
	v_cmp_le_u32_e32 vcc_lo, v16, v6
	s_delay_alu instid0(VALU_DEP_2) | instskip(SKIP_4) | instid1(VALU_DEP_2)
	v_add_nc_u32_e32 v4, v4, v7
	ds_bpermute_b32 v7, v14, v4
	s_waitcnt lgkmcnt(0)
	v_cndmask_b32_e32 v7, 0, v7, vcc_lo
	v_cmp_le_u32_e32 vcc_lo, v53, v6
	v_add_nc_u32_e32 v4, v4, v7
	ds_bpermute_b32 v7, v17, v4
	s_waitcnt lgkmcnt(0)
	v_cndmask_b32_e32 v7, 0, v7, vcc_lo
	v_cmp_le_u32_e32 vcc_lo, v55, v6
	s_delay_alu instid0(VALU_DEP_2) | instskip(SKIP_3) | instid1(VALU_DEP_1)
	v_add_nc_u32_e32 v4, v4, v7
	ds_bpermute_b32 v7, v54, v4
	s_waitcnt lgkmcnt(0)
	v_cndmask_b32_e32 v6, 0, v7, vcc_lo
	v_add3_u32 v4, v6, v15, v4
.LBB2039_53:                            ; =>This Loop Header: Depth=1
                                        ;     Child Loop BB2039_56 Depth 2
                                        ;       Child Loop BB2039_57 Depth 3
	v_and_b32_e32 v5, 0xff, v5
	s_delay_alu instid0(VALU_DEP_2) | instskip(NEXT) | instid1(VALU_DEP_2)
	v_mov_b32_e32 v15, v4
	v_cmp_ne_u16_e32 vcc_lo, 2, v5
	v_cndmask_b32_e64 v5, 0, 1, vcc_lo
	;;#ASMSTART
	;;#ASMEND
	s_delay_alu instid0(VALU_DEP_1)
	v_cmp_ne_u32_e32 vcc_lo, 0, v5
	s_cmp_lg_u32 vcc_lo, exec_lo
	s_cbranch_scc1 .LBB2039_60
; %bb.54:                               ;   in Loop: Header=BB2039_53 Depth=1
	v_lshlrev_b64 v[4:5], 3, v[2:3]
	s_mov_b32 s24, exec_lo
	s_delay_alu instid0(VALU_DEP_1) | instskip(NEXT) | instid1(VALU_DEP_2)
	v_add_co_u32 v6, vcc_lo, s20, v4
	v_add_co_ci_u32_e32 v7, vcc_lo, s21, v5, vcc_lo
	global_load_b64 v[4:5], v[6:7], off glc
	s_waitcnt vmcnt(0)
	v_and_b32_e32 v56, 0xff, v5
	s_delay_alu instid0(VALU_DEP_1)
	v_cmpx_eq_u16_e32 0, v56
	s_cbranch_execz .LBB2039_52
; %bb.55:                               ;   in Loop: Header=BB2039_53 Depth=1
	s_mov_b32 s26, 1
	s_mov_b32 s25, 0
	.p2align	6
.LBB2039_56:                            ;   Parent Loop BB2039_53 Depth=1
                                        ; =>  This Loop Header: Depth=2
                                        ;       Child Loop BB2039_57 Depth 3
	s_max_u32 s27, s26, 1
.LBB2039_57:                            ;   Parent Loop BB2039_53 Depth=1
                                        ;     Parent Loop BB2039_56 Depth=2
                                        ; =>    This Inner Loop Header: Depth=3
	s_delay_alu instid0(SALU_CYCLE_1)
	s_add_i32 s27, s27, -1
	s_sleep 1
	s_cmp_eq_u32 s27, 0
	s_cbranch_scc0 .LBB2039_57
; %bb.58:                               ;   in Loop: Header=BB2039_56 Depth=2
	global_load_b64 v[4:5], v[6:7], off glc
	s_cmp_lt_u32 s26, 32
	s_cselect_b32 s27, -1, 0
	s_delay_alu instid0(SALU_CYCLE_1) | instskip(SKIP_3) | instid1(VALU_DEP_1)
	s_cmp_lg_u32 s27, 0
	s_addc_u32 s26, s26, 0
	s_waitcnt vmcnt(0)
	v_and_b32_e32 v56, 0xff, v5
	v_cmp_ne_u16_e32 vcc_lo, 0, v56
	s_or_b32 s25, vcc_lo, s25
	s_delay_alu instid0(SALU_CYCLE_1)
	s_and_not1_b32 exec_lo, exec_lo, s25
	s_cbranch_execnz .LBB2039_56
; %bb.59:                               ;   in Loop: Header=BB2039_53 Depth=1
	s_or_b32 exec_lo, exec_lo, s25
	s_branch .LBB2039_52
.LBB2039_60:                            ;   in Loop: Header=BB2039_53 Depth=1
                                        ; implicit-def: $vgpr4
                                        ; implicit-def: $vgpr5
	s_cbranch_execz .LBB2039_53
; %bb.61:
	s_and_saveexec_b32 s24, s6
	s_cbranch_execz .LBB2039_63
; %bb.62:
	s_add_i32 s26, s15, 32
	s_mov_b32 s27, 0
	v_dual_mov_b32 v3, 2 :: v_dual_add_nc_u32 v2, v15, v1
	s_lshl_b64 s[26:27], s[26:27], 3
	v_mov_b32_e32 v4, 0
	v_add_nc_u32_e64 v5, 0x3400, 0
	s_add_u32 s26, s20, s26
	s_addc_u32 s27, s21, s27
	global_store_b64 v4, v[2:3], s[26:27]
	ds_store_2addr_b32 v5, v1, v15 offset1:2
.LBB2039_63:
	s_or_b32 exec_lo, exec_lo, s24
	v_cmp_eq_u32_e32 vcc_lo, 0, v0
	s_and_b32 exec_lo, exec_lo, vcc_lo
	s_cbranch_execz .LBB2039_65
; %bb.64:
	v_mov_b32_e32 v1, 0
	ds_store_b32 v1, v15 offset:28
.LBB2039_65:
	s_or_b32 exec_lo, exec_lo, s7
	s_waitcnt lgkmcnt(0)
	v_cndmask_b32_e64 v2, v9, v8, s6
	v_cmp_ne_u32_e32 vcc_lo, 0, v0
	v_mov_b32_e32 v1, 0
	s_waitcnt_vscnt null, 0x0
	s_barrier
	buffer_gl0_inv
	v_cndmask_b32_e32 v2, 0, v2, vcc_lo
	ds_load_b32 v1, v1 offset:28
	v_add_nc_u32_e64 v11, 0x3400, 0
	s_waitcnt lgkmcnt(0)
	s_barrier
	buffer_gl0_inv
	ds_load_2addr_b32 v[16:17], v11 offset1:2
	v_add_nc_u32_e32 v1, v1, v2
	s_delay_alu instid0(VALU_DEP_1) | instskip(NEXT) | instid1(VALU_DEP_1)
	v_add_nc_u32_e32 v2, v1, v41
	v_add_nc_u32_e32 v3, v2, v42
	s_delay_alu instid0(VALU_DEP_1) | instskip(NEXT) | instid1(VALU_DEP_1)
	v_add_nc_u32_e32 v4, v3, v43
	;; [unrolled: 3-line block ×6, first 2 shown]
	v_add_nc_u32_e32 v13, v12, v36
	s_branch .LBB2039_76
.LBB2039_66:
                                        ; implicit-def: $vgpr17
                                        ; implicit-def: $vgpr1_vgpr2_vgpr3_vgpr4_vgpr5_vgpr6_vgpr7_vgpr8_vgpr9_vgpr10_vgpr11_vgpr12_vgpr13_vgpr14_vgpr15_vgpr16
	s_and_b32 vcc_lo, exec_lo, s6
	s_cbranch_vccz .LBB2039_76
; %bb.67:
	s_delay_alu instid0(VALU_DEP_1) | instskip(NEXT) | instid1(VALU_DEP_1)
	v_mov_b32_dpp v1, v52 row_shr:1 row_mask:0xf bank_mask:0xf
	v_cndmask_b32_e64 v1, v1, 0, s5
	s_delay_alu instid0(VALU_DEP_1) | instskip(NEXT) | instid1(VALU_DEP_1)
	v_add_nc_u32_e32 v1, v1, v52
	v_mov_b32_dpp v2, v1 row_shr:2 row_mask:0xf bank_mask:0xf
	s_delay_alu instid0(VALU_DEP_1) | instskip(NEXT) | instid1(VALU_DEP_1)
	v_cndmask_b32_e64 v2, 0, v2, s4
	v_add_nc_u32_e32 v1, v1, v2
	s_delay_alu instid0(VALU_DEP_1) | instskip(NEXT) | instid1(VALU_DEP_1)
	v_mov_b32_dpp v2, v1 row_shr:4 row_mask:0xf bank_mask:0xf
	v_cndmask_b32_e64 v2, 0, v2, s3
	s_delay_alu instid0(VALU_DEP_1) | instskip(NEXT) | instid1(VALU_DEP_1)
	v_add_nc_u32_e32 v1, v1, v2
	v_mov_b32_dpp v2, v1 row_shr:8 row_mask:0xf bank_mask:0xf
	s_delay_alu instid0(VALU_DEP_1) | instskip(NEXT) | instid1(VALU_DEP_1)
	v_cndmask_b32_e64 v2, 0, v2, s2
	v_add_nc_u32_e32 v1, v1, v2
	ds_swizzle_b32 v2, v1 offset:swizzle(BROADCAST,32,15)
	s_waitcnt lgkmcnt(0)
	v_cndmask_b32_e64 v2, v2, 0, s1
	s_delay_alu instid0(VALU_DEP_1)
	v_add_nc_u32_e32 v1, v1, v2
	s_and_saveexec_b32 s1, s0
	s_cbranch_execz .LBB2039_69
; %bb.68:
	v_lshlrev_b32_e32 v2, 2, v51
	ds_store_b32 v2, v1
.LBB2039_69:
	s_or_b32 exec_lo, exec_lo, s1
	s_delay_alu instid0(SALU_CYCLE_1)
	s_mov_b32 s0, exec_lo
	s_waitcnt lgkmcnt(0)
	s_barrier
	buffer_gl0_inv
	v_cmpx_gt_u32_e32 8, v0
	s_cbranch_execz .LBB2039_71
; %bb.70:
	ds_load_b32 v2, v30
	s_waitcnt lgkmcnt(0)
	v_mov_b32_dpp v4, v2 row_shr:1 row_mask:0xf bank_mask:0xf
	v_and_b32_e32 v3, 7, v50
	s_delay_alu instid0(VALU_DEP_1) | instskip(NEXT) | instid1(VALU_DEP_3)
	v_cmp_ne_u32_e32 vcc_lo, 0, v3
	v_cndmask_b32_e32 v4, 0, v4, vcc_lo
	v_cmp_lt_u32_e32 vcc_lo, 1, v3
	s_delay_alu instid0(VALU_DEP_2) | instskip(NEXT) | instid1(VALU_DEP_1)
	v_add_nc_u32_e32 v2, v4, v2
	v_mov_b32_dpp v4, v2 row_shr:2 row_mask:0xf bank_mask:0xf
	s_delay_alu instid0(VALU_DEP_1) | instskip(SKIP_1) | instid1(VALU_DEP_2)
	v_cndmask_b32_e32 v4, 0, v4, vcc_lo
	v_cmp_lt_u32_e32 vcc_lo, 3, v3
	v_add_nc_u32_e32 v2, v2, v4
	s_delay_alu instid0(VALU_DEP_1) | instskip(NEXT) | instid1(VALU_DEP_1)
	v_mov_b32_dpp v4, v2 row_shr:4 row_mask:0xf bank_mask:0xf
	v_cndmask_b32_e32 v3, 0, v4, vcc_lo
	s_delay_alu instid0(VALU_DEP_1)
	v_add_nc_u32_e32 v2, v2, v3
	ds_store_b32 v30, v2
.LBB2039_71:
	s_or_b32 exec_lo, exec_lo, s0
	v_dual_mov_b32 v3, 0 :: v_dual_mov_b32 v2, 0
	s_mov_b32 s0, exec_lo
	s_waitcnt lgkmcnt(0)
	s_barrier
	buffer_gl0_inv
	v_cmpx_lt_u32_e32 31, v0
	s_cbranch_execz .LBB2039_73
; %bb.72:
	v_lshl_add_u32 v2, v51, 2, -4
	ds_load_b32 v2, v2
.LBB2039_73:
	s_or_b32 exec_lo, exec_lo, s0
	v_add_nc_u32_e32 v4, -1, v50
	ds_load_b32 v16, v3 offset:28
	s_waitcnt lgkmcnt(1)
	v_add_nc_u32_e32 v1, v2, v1
	v_cmp_gt_i32_e32 vcc_lo, 0, v4
	v_cndmask_b32_e32 v4, v4, v50, vcc_lo
	v_cmp_eq_u32_e32 vcc_lo, 0, v0
	s_delay_alu instid0(VALU_DEP_2)
	v_lshlrev_b32_e32 v4, 2, v4
	ds_bpermute_b32 v1, v4, v1
	s_and_saveexec_b32 s0, vcc_lo
	s_cbranch_execz .LBB2039_75
; %bb.74:
	v_mov_b32_e32 v3, 0
	v_mov_b32_e32 v17, 2
	s_waitcnt lgkmcnt(1)
	global_store_b64 v3, v[16:17], s[20:21] offset:256
.LBB2039_75:
	s_or_b32 exec_lo, exec_lo, s0
	v_cmp_eq_u32_e64 s0, 0, v50
	s_waitcnt lgkmcnt(0)
	s_waitcnt_vscnt null, 0x0
	s_barrier
	buffer_gl0_inv
	v_mov_b32_e32 v17, 0
	v_cndmask_b32_e64 v1, v1, v2, s0
	s_delay_alu instid0(VALU_DEP_1) | instskip(NEXT) | instid1(VALU_DEP_1)
	v_cndmask_b32_e64 v1, v1, 0, vcc_lo
	v_add_nc_u32_e32 v2, v1, v41
	s_delay_alu instid0(VALU_DEP_1) | instskip(NEXT) | instid1(VALU_DEP_1)
	v_add_nc_u32_e32 v3, v2, v42
	v_add_nc_u32_e32 v4, v3, v43
	s_delay_alu instid0(VALU_DEP_1) | instskip(NEXT) | instid1(VALU_DEP_1)
	v_add_nc_u32_e32 v5, v4, v40
	;; [unrolled: 3-line block ×5, first 2 shown]
	v_add_nc_u32_e32 v12, v11, v49
	s_delay_alu instid0(VALU_DEP_1)
	v_add_nc_u32_e32 v13, v12, v36
.LBB2039_76:
	v_lshrrev_b32_e32 v44, 8, v39
	v_lshrrev_b32_e32 v43, 16, v39
	s_waitcnt lgkmcnt(0)
	v_sub_nc_u32_e32 v1, v1, v17
	v_and_b32_e32 v39, 1, v39
	v_sub_nc_u32_e32 v3, v3, v17
	v_add_nc_u32_e32 v33, v16, v33
	v_sub_nc_u32_e32 v2, v2, v17
	v_sub_nc_u32_e32 v4, v4, v17
	v_cmp_eq_u32_e32 vcc_lo, 1, v39
	v_and_b32_e32 v39, 1, v43
	v_sub_nc_u32_e32 v45, v33, v1
	v_and_b32_e32 v44, 1, v44
	v_sub_nc_u32_e32 v43, v33, v2
	v_lshrrev_b32_e32 v42, 8, v37
	v_lshrrev_b32_e32 v41, 16, v37
	v_cndmask_b32_e32 v1, v45, v1, vcc_lo
	v_sub_nc_u32_e32 v45, v33, v3
	v_add_nc_u32_e32 v43, 1, v43
	v_cmp_eq_u32_e32 vcc_lo, 1, v44
	v_and_b32_e32 v40, 1, v40
	v_lshlrev_b32_e32 v1, 2, v1
	v_add_nc_u32_e32 v45, 2, v45
	v_lshrrev_b32_e32 v15, 8, v35
	v_lshrrev_b32_e32 v14, 16, v35
	ds_store_b32 v1, v28
	v_cndmask_b32_e32 v1, v43, v2, vcc_lo
	v_cmp_eq_u32_e32 vcc_lo, 1, v39
	v_or_b32_e32 v28, 0x500, v0
	s_delay_alu instid0(VALU_DEP_3)
	v_dual_cndmask_b32 v2, v45, v3 :: v_dual_lshlrev_b32 v1, 2, v1
	v_sub_nc_u32_e32 v46, v33, v4
	v_cmp_eq_u32_e32 vcc_lo, 1, v40
	ds_store_b32 v1, v29
	v_lshlrev_b32_e32 v2, 2, v2
	v_add_nc_u32_e32 v46, 3, v46
	v_or_b32_e32 v29, 0x400, v0
	s_delay_alu instid0(VALU_DEP_2) | instskip(SKIP_2) | instid1(VALU_DEP_3)
	v_cndmask_b32_e32 v3, v46, v4, vcc_lo
	v_sub_nc_u32_e32 v4, v5, v17
	v_sub_nc_u32_e32 v5, v6, v17
	v_lshlrev_b32_e32 v3, 2, v3
	s_delay_alu instid0(VALU_DEP_3) | instskip(NEXT) | instid1(VALU_DEP_3)
	v_sub_nc_u32_e32 v1, v33, v4
	v_sub_nc_u32_e32 v6, v33, v5
	ds_store_b32 v2, v26
	ds_store_b32 v3, v27
	v_and_b32_e32 v2, 1, v37
	v_add_nc_u32_e32 v1, 4, v1
	v_add_nc_u32_e32 v3, 5, v6
	v_sub_nc_u32_e32 v6, v7, v17
	v_and_b32_e32 v7, 1, v42
	v_cmp_eq_u32_e32 vcc_lo, 1, v2
	v_sub_nc_u32_e32 v2, v8, v17
	v_and_b32_e32 v8, 1, v38
	v_or_b32_e32 v27, 0x600, v0
	v_or_b32_e32 v26, 0x700, v0
	v_cndmask_b32_e32 v1, v1, v4, vcc_lo
	v_sub_nc_u32_e32 v4, v33, v6
	v_cmp_eq_u32_e32 vcc_lo, 1, v7
	v_and_b32_e32 v7, 1, v41
	s_delay_alu instid0(VALU_DEP_4) | instskip(NEXT) | instid1(VALU_DEP_4)
	v_lshlrev_b32_e32 v1, 2, v1
	v_dual_cndmask_b32 v3, v3, v5 :: v_dual_add_nc_u32 v4, 6, v4
	v_sub_nc_u32_e32 v5, v33, v2
	s_delay_alu instid0(VALU_DEP_4) | instskip(SKIP_1) | instid1(VALU_DEP_4)
	v_cmp_eq_u32_e32 vcc_lo, 1, v7
	v_sub_nc_u32_e32 v7, v13, v17
	v_lshlrev_b32_e32 v3, 2, v3
	s_delay_alu instid0(VALU_DEP_4)
	v_dual_cndmask_b32 v4, v4, v6 :: v_dual_add_nc_u32 v5, 7, v5
	v_cmp_eq_u32_e32 vcc_lo, 1, v8
	v_sub_nc_u32_e32 v6, v9, v17
	ds_store_b32 v1, v24
	ds_store_b32 v3, v25
	v_or_b32_e32 v25, 0x800, v0
	v_dual_cndmask_b32 v2, v5, v2 :: v_dual_lshlrev_b32 v3, 2, v4
	v_and_b32_e32 v5, 1, v35
	v_sub_nc_u32_e32 v1, v33, v6
	v_sub_nc_u32_e32 v4, v10, v17
	v_and_b32_e32 v10, 1, v36
	v_or_b32_e32 v24, 0x900, v0
	v_cmp_eq_u32_e32 vcc_lo, 1, v5
	v_sub_nc_u32_e32 v5, v12, v17
	v_add_nc_u32_e32 v1, 8, v1
	s_delay_alu instid0(VALU_DEP_2) | instskip(NEXT) | instid1(VALU_DEP_2)
	v_sub_nc_u32_e32 v9, v33, v5
	v_dual_cndmask_b32 v1, v1, v6 :: v_dual_and_b32 v6, 1, v15
	v_add_co_u32 v15, s0, s18, v17
	s_delay_alu instid0(VALU_DEP_3)
	v_add_nc_u32_e32 v9, 11, v9
	v_lshlrev_b32_e32 v2, 2, v2
	ds_store_b32 v3, v22
	ds_store_b32 v2, v23
	v_sub_nc_u32_e32 v3, v11, v17
	v_sub_nc_u32_e32 v2, v33, v4
	v_cmp_eq_u32_e32 vcc_lo, 1, v6
	v_and_b32_e32 v11, 1, v34
	v_lshlrev_b32_e32 v1, 2, v1
	v_sub_nc_u32_e32 v8, v33, v3
	v_add_nc_u32_e32 v2, 9, v2
	v_add_co_ci_u32_e64 v17, null, s19, 0, s0
	s_add_u32 s0, s16, s23
	s_delay_alu instid0(VALU_DEP_3)
	v_add_nc_u32_e32 v6, 10, v8
	v_and_b32_e32 v8, 1, v14
	v_cndmask_b32_e32 v2, v2, v4, vcc_lo
	v_sub_nc_u32_e32 v4, v33, v7
	s_addc_u32 s1, s17, 0
	s_sub_u32 s0, s12, s0
	v_cmp_eq_u32_e32 vcc_lo, 1, v8
	v_lshlrev_b32_e32 v2, 2, v2
	v_add_nc_u32_e32 v4, 12, v4
	s_subb_u32 s1, s13, s1
	v_add_co_u32 v13, s0, s0, v16
	v_cndmask_b32_e32 v3, v6, v3, vcc_lo
	v_cmp_eq_u32_e32 vcc_lo, 1, v10
	v_add_co_ci_u32_e64 v14, null, s1, 0, s0
	v_or_b32_e32 v34, 0x100, v0
	s_delay_alu instid0(VALU_DEP_4)
	v_lshlrev_b32_e32 v3, 2, v3
	v_cndmask_b32_e32 v5, v9, v5, vcc_lo
	v_cmp_eq_u32_e32 vcc_lo, 1, v11
	v_or_b32_e32 v33, 0x200, v0
	v_or_b32_e32 v23, 0xa00, v0
	;; [unrolled: 1-line block ×3, first 2 shown]
	v_dual_cndmask_b32 v4, v4, v7 :: v_dual_lshlrev_b32 v5, 2, v5
	v_cmp_ne_u32_e32 vcc_lo, 1, v31
	s_delay_alu instid0(VALU_DEP_2)
	v_lshlrev_b32_e32 v4, 2, v4
	ds_store_b32 v1, v20
	ds_store_b32 v2, v21
	;; [unrolled: 1-line block ×5, first 2 shown]
	s_waitcnt lgkmcnt(0)
	s_barrier
	buffer_gl0_inv
	ds_load_2addr_stride64_b32 v[11:12], v30 offset1:4
	ds_load_2addr_stride64_b32 v[9:10], v30 offset0:8 offset1:12
	ds_load_2addr_stride64_b32 v[7:8], v30 offset0:16 offset1:20
	;; [unrolled: 1-line block ×5, first 2 shown]
	ds_load_b32 v18, v30 offset:12288
	v_add_co_u32 v20, s0, v13, v15
	v_or_b32_e32 v32, 0x300, v0
	v_or_b32_e32 v19, 0xc00, v0
	v_add_co_ci_u32_e64 v21, s0, v14, v17, s0
	s_mov_b32 s0, 0
	s_cbranch_vccnz .LBB2039_130
; %bb.77:
	s_mov_b32 s0, exec_lo
                                        ; implicit-def: $vgpr13_vgpr14
	v_cmpx_ge_u32_e64 v0, v16
	s_xor_b32 s0, exec_lo, s0
; %bb.78:
	v_not_b32_e32 v13, v0
	s_delay_alu instid0(VALU_DEP_1) | instskip(SKIP_1) | instid1(VALU_DEP_2)
	v_ashrrev_i32_e32 v14, 31, v13
	v_add_co_u32 v13, vcc_lo, v20, v13
	v_add_co_ci_u32_e32 v14, vcc_lo, v21, v14, vcc_lo
; %bb.79:
	s_and_not1_saveexec_b32 s0, s0
; %bb.80:
	v_add_co_u32 v13, vcc_lo, v15, v0
	v_add_co_ci_u32_e32 v14, vcc_lo, 0, v17, vcc_lo
; %bb.81:
	s_or_b32 exec_lo, exec_lo, s0
	s_delay_alu instid0(VALU_DEP_1) | instskip(SKIP_1) | instid1(VALU_DEP_1)
	v_lshlrev_b64 v[13:14], 2, v[13:14]
	s_mov_b32 s0, exec_lo
	v_add_co_u32 v13, vcc_lo, s10, v13
	s_delay_alu instid0(VALU_DEP_2)
	v_add_co_ci_u32_e32 v14, vcc_lo, s11, v14, vcc_lo
	s_waitcnt lgkmcnt(6)
	global_store_b32 v[13:14], v11, off
                                        ; implicit-def: $vgpr13_vgpr14
	v_cmpx_ge_u32_e64 v34, v16
	s_xor_b32 s0, exec_lo, s0
; %bb.82:
	v_xor_b32_e32 v13, 0xfffffeff, v0
	s_delay_alu instid0(VALU_DEP_1) | instskip(SKIP_1) | instid1(VALU_DEP_2)
	v_ashrrev_i32_e32 v14, 31, v13
	v_add_co_u32 v13, vcc_lo, v20, v13
	v_add_co_ci_u32_e32 v14, vcc_lo, v21, v14, vcc_lo
; %bb.83:
	s_and_not1_saveexec_b32 s0, s0
; %bb.84:
	v_add_co_u32 v13, vcc_lo, v15, v34
	v_add_co_ci_u32_e32 v14, vcc_lo, 0, v17, vcc_lo
; %bb.85:
	s_or_b32 exec_lo, exec_lo, s0
	s_delay_alu instid0(VALU_DEP_1) | instskip(SKIP_1) | instid1(VALU_DEP_1)
	v_lshlrev_b64 v[13:14], 2, v[13:14]
	s_mov_b32 s0, exec_lo
	v_add_co_u32 v13, vcc_lo, s10, v13
	s_delay_alu instid0(VALU_DEP_2)
	v_add_co_ci_u32_e32 v14, vcc_lo, s11, v14, vcc_lo
	global_store_b32 v[13:14], v12, off
                                        ; implicit-def: $vgpr13_vgpr14
	v_cmpx_ge_u32_e64 v33, v16
	s_xor_b32 s0, exec_lo, s0
; %bb.86:
	v_xor_b32_e32 v13, 0xfffffdff, v0
	s_delay_alu instid0(VALU_DEP_1) | instskip(SKIP_1) | instid1(VALU_DEP_2)
	v_ashrrev_i32_e32 v14, 31, v13
	v_add_co_u32 v13, vcc_lo, v20, v13
	v_add_co_ci_u32_e32 v14, vcc_lo, v21, v14, vcc_lo
; %bb.87:
	s_and_not1_saveexec_b32 s0, s0
; %bb.88:
	v_add_co_u32 v13, vcc_lo, v15, v33
	v_add_co_ci_u32_e32 v14, vcc_lo, 0, v17, vcc_lo
; %bb.89:
	s_or_b32 exec_lo, exec_lo, s0
	s_delay_alu instid0(VALU_DEP_1) | instskip(SKIP_1) | instid1(VALU_DEP_1)
	v_lshlrev_b64 v[13:14], 2, v[13:14]
	s_mov_b32 s0, exec_lo
	v_add_co_u32 v13, vcc_lo, s10, v13
	s_delay_alu instid0(VALU_DEP_2)
	v_add_co_ci_u32_e32 v14, vcc_lo, s11, v14, vcc_lo
	s_waitcnt lgkmcnt(5)
	global_store_b32 v[13:14], v9, off
                                        ; implicit-def: $vgpr13_vgpr14
	v_cmpx_ge_u32_e64 v32, v16
	s_xor_b32 s0, exec_lo, s0
; %bb.90:
	v_xor_b32_e32 v13, 0xfffffcff, v0
	s_delay_alu instid0(VALU_DEP_1) | instskip(SKIP_1) | instid1(VALU_DEP_2)
	v_ashrrev_i32_e32 v14, 31, v13
	v_add_co_u32 v13, vcc_lo, v20, v13
	v_add_co_ci_u32_e32 v14, vcc_lo, v21, v14, vcc_lo
; %bb.91:
	s_and_not1_saveexec_b32 s0, s0
; %bb.92:
	v_add_co_u32 v13, vcc_lo, v15, v32
	v_add_co_ci_u32_e32 v14, vcc_lo, 0, v17, vcc_lo
; %bb.93:
	s_or_b32 exec_lo, exec_lo, s0
	s_delay_alu instid0(VALU_DEP_1) | instskip(SKIP_1) | instid1(VALU_DEP_1)
	v_lshlrev_b64 v[13:14], 2, v[13:14]
	s_mov_b32 s0, exec_lo
	v_add_co_u32 v13, vcc_lo, s10, v13
	s_delay_alu instid0(VALU_DEP_2)
	v_add_co_ci_u32_e32 v14, vcc_lo, s11, v14, vcc_lo
	global_store_b32 v[13:14], v10, off
                                        ; implicit-def: $vgpr13_vgpr14
	v_cmpx_ge_u32_e64 v29, v16
	s_xor_b32 s0, exec_lo, s0
; %bb.94:
	v_xor_b32_e32 v13, 0xfffffbff, v0
	;; [unrolled: 47-line block ×6, first 2 shown]
	s_delay_alu instid0(VALU_DEP_1) | instskip(SKIP_1) | instid1(VALU_DEP_2)
	v_ashrrev_i32_e32 v14, 31, v13
	v_add_co_u32 v13, vcc_lo, v20, v13
	v_add_co_ci_u32_e32 v14, vcc_lo, v21, v14, vcc_lo
; %bb.127:
	s_and_not1_saveexec_b32 s0, s0
; %bb.128:
	v_add_co_u32 v13, vcc_lo, v15, v19
	v_add_co_ci_u32_e32 v14, vcc_lo, 0, v17, vcc_lo
; %bb.129:
	s_or_b32 exec_lo, exec_lo, s0
	s_mov_b32 s0, -1
	s_branch .LBB2039_210
.LBB2039_130:
                                        ; implicit-def: $vgpr13_vgpr14
	s_cbranch_execz .LBB2039_210
; %bb.131:
	s_mov_b32 s1, exec_lo
	v_cmpx_gt_u32_e64 s22, v0
	s_cbranch_execz .LBB2039_167
; %bb.132:
	s_mov_b32 s2, exec_lo
                                        ; implicit-def: $vgpr13_vgpr14
	v_cmpx_ge_u32_e64 v0, v16
	s_xor_b32 s2, exec_lo, s2
; %bb.133:
	v_not_b32_e32 v13, v0
	s_delay_alu instid0(VALU_DEP_1) | instskip(SKIP_1) | instid1(VALU_DEP_2)
	v_ashrrev_i32_e32 v14, 31, v13
	v_add_co_u32 v13, vcc_lo, v20, v13
	v_add_co_ci_u32_e32 v14, vcc_lo, v21, v14, vcc_lo
; %bb.134:
	s_and_not1_saveexec_b32 s2, s2
; %bb.135:
	v_add_co_u32 v13, vcc_lo, v15, v0
	v_add_co_ci_u32_e32 v14, vcc_lo, 0, v17, vcc_lo
; %bb.136:
	s_or_b32 exec_lo, exec_lo, s2
	s_delay_alu instid0(VALU_DEP_1) | instskip(NEXT) | instid1(VALU_DEP_1)
	v_lshlrev_b64 v[13:14], 2, v[13:14]
	v_add_co_u32 v13, vcc_lo, s10, v13
	s_delay_alu instid0(VALU_DEP_2) | instskip(SKIP_3) | instid1(SALU_CYCLE_1)
	v_add_co_ci_u32_e32 v14, vcc_lo, s11, v14, vcc_lo
	s_waitcnt lgkmcnt(6)
	global_store_b32 v[13:14], v11, off
	s_or_b32 exec_lo, exec_lo, s1
	s_mov_b32 s1, exec_lo
	v_cmpx_gt_u32_e64 s22, v34
	s_cbranch_execnz .LBB2039_168
.LBB2039_137:
	s_or_b32 exec_lo, exec_lo, s1
	s_delay_alu instid0(SALU_CYCLE_1)
	s_mov_b32 s1, exec_lo
	v_cmpx_gt_u32_e64 s22, v33
	s_cbranch_execz .LBB2039_173
.LBB2039_138:
	s_mov_b32 s2, exec_lo
                                        ; implicit-def: $vgpr11_vgpr12
	v_cmpx_ge_u32_e64 v33, v16
	s_xor_b32 s2, exec_lo, s2
	s_cbranch_execz .LBB2039_140
; %bb.139:
	s_waitcnt lgkmcnt(6)
	v_xor_b32_e32 v11, 0xfffffdff, v0
                                        ; implicit-def: $vgpr33
	s_delay_alu instid0(VALU_DEP_1) | instskip(SKIP_1) | instid1(VALU_DEP_2)
	v_ashrrev_i32_e32 v12, 31, v11
	v_add_co_u32 v11, vcc_lo, v20, v11
	v_add_co_ci_u32_e32 v12, vcc_lo, v21, v12, vcc_lo
.LBB2039_140:
	s_and_not1_saveexec_b32 s2, s2
	s_cbranch_execz .LBB2039_142
; %bb.141:
	s_waitcnt lgkmcnt(6)
	v_add_co_u32 v11, vcc_lo, v15, v33
	v_add_co_ci_u32_e32 v12, vcc_lo, 0, v17, vcc_lo
.LBB2039_142:
	s_or_b32 exec_lo, exec_lo, s2
	s_waitcnt lgkmcnt(6)
	s_delay_alu instid0(VALU_DEP_1) | instskip(NEXT) | instid1(VALU_DEP_1)
	v_lshlrev_b64 v[11:12], 2, v[11:12]
	v_add_co_u32 v11, vcc_lo, s10, v11
	s_delay_alu instid0(VALU_DEP_2) | instskip(SKIP_3) | instid1(SALU_CYCLE_1)
	v_add_co_ci_u32_e32 v12, vcc_lo, s11, v12, vcc_lo
	s_waitcnt lgkmcnt(5)
	global_store_b32 v[11:12], v9, off
	s_or_b32 exec_lo, exec_lo, s1
	s_mov_b32 s1, exec_lo
	v_cmpx_gt_u32_e64 s22, v32
	s_cbranch_execnz .LBB2039_174
.LBB2039_143:
	s_or_b32 exec_lo, exec_lo, s1
	s_delay_alu instid0(SALU_CYCLE_1)
	s_mov_b32 s1, exec_lo
	v_cmpx_gt_u32_e64 s22, v29
	s_cbranch_execz .LBB2039_179
.LBB2039_144:
	s_mov_b32 s2, exec_lo
                                        ; implicit-def: $vgpr9_vgpr10
	v_cmpx_ge_u32_e64 v29, v16
	s_xor_b32 s2, exec_lo, s2
	s_cbranch_execz .LBB2039_146
; %bb.145:
	s_waitcnt lgkmcnt(5)
	v_xor_b32_e32 v9, 0xfffffbff, v0
                                        ; implicit-def: $vgpr29
	s_delay_alu instid0(VALU_DEP_1) | instskip(SKIP_1) | instid1(VALU_DEP_2)
	v_ashrrev_i32_e32 v10, 31, v9
	v_add_co_u32 v9, vcc_lo, v20, v9
	v_add_co_ci_u32_e32 v10, vcc_lo, v21, v10, vcc_lo
.LBB2039_146:
	s_and_not1_saveexec_b32 s2, s2
	s_cbranch_execz .LBB2039_148
; %bb.147:
	s_waitcnt lgkmcnt(5)
	v_add_co_u32 v9, vcc_lo, v15, v29
	v_add_co_ci_u32_e32 v10, vcc_lo, 0, v17, vcc_lo
.LBB2039_148:
	s_or_b32 exec_lo, exec_lo, s2
	s_waitcnt lgkmcnt(5)
	s_delay_alu instid0(VALU_DEP_1) | instskip(NEXT) | instid1(VALU_DEP_1)
	v_lshlrev_b64 v[9:10], 2, v[9:10]
	v_add_co_u32 v9, vcc_lo, s10, v9
	s_delay_alu instid0(VALU_DEP_2) | instskip(SKIP_3) | instid1(SALU_CYCLE_1)
	v_add_co_ci_u32_e32 v10, vcc_lo, s11, v10, vcc_lo
	s_waitcnt lgkmcnt(4)
	global_store_b32 v[9:10], v7, off
	s_or_b32 exec_lo, exec_lo, s1
	s_mov_b32 s1, exec_lo
	v_cmpx_gt_u32_e64 s22, v28
	s_cbranch_execnz .LBB2039_180
.LBB2039_149:
	s_or_b32 exec_lo, exec_lo, s1
	s_delay_alu instid0(SALU_CYCLE_1)
	s_mov_b32 s1, exec_lo
	v_cmpx_gt_u32_e64 s22, v27
	s_cbranch_execz .LBB2039_185
.LBB2039_150:
	s_mov_b32 s2, exec_lo
                                        ; implicit-def: $vgpr7_vgpr8
	v_cmpx_ge_u32_e64 v27, v16
	s_xor_b32 s2, exec_lo, s2
	s_cbranch_execz .LBB2039_152
; %bb.151:
	s_waitcnt lgkmcnt(4)
	v_xor_b32_e32 v7, 0xfffff9ff, v0
                                        ; implicit-def: $vgpr27
	s_delay_alu instid0(VALU_DEP_1) | instskip(SKIP_1) | instid1(VALU_DEP_2)
	v_ashrrev_i32_e32 v8, 31, v7
	v_add_co_u32 v7, vcc_lo, v20, v7
	v_add_co_ci_u32_e32 v8, vcc_lo, v21, v8, vcc_lo
.LBB2039_152:
	s_and_not1_saveexec_b32 s2, s2
	s_cbranch_execz .LBB2039_154
; %bb.153:
	s_waitcnt lgkmcnt(4)
	v_add_co_u32 v7, vcc_lo, v15, v27
	v_add_co_ci_u32_e32 v8, vcc_lo, 0, v17, vcc_lo
.LBB2039_154:
	s_or_b32 exec_lo, exec_lo, s2
	s_waitcnt lgkmcnt(4)
	s_delay_alu instid0(VALU_DEP_1) | instskip(NEXT) | instid1(VALU_DEP_1)
	v_lshlrev_b64 v[7:8], 2, v[7:8]
	v_add_co_u32 v7, vcc_lo, s10, v7
	s_delay_alu instid0(VALU_DEP_2) | instskip(SKIP_3) | instid1(SALU_CYCLE_1)
	v_add_co_ci_u32_e32 v8, vcc_lo, s11, v8, vcc_lo
	s_waitcnt lgkmcnt(3)
	global_store_b32 v[7:8], v5, off
	s_or_b32 exec_lo, exec_lo, s1
	s_mov_b32 s1, exec_lo
	v_cmpx_gt_u32_e64 s22, v26
	s_cbranch_execnz .LBB2039_186
.LBB2039_155:
	s_or_b32 exec_lo, exec_lo, s1
	s_delay_alu instid0(SALU_CYCLE_1)
	s_mov_b32 s1, exec_lo
	v_cmpx_gt_u32_e64 s22, v25
	s_cbranch_execz .LBB2039_191
.LBB2039_156:
	s_mov_b32 s2, exec_lo
                                        ; implicit-def: $vgpr5_vgpr6
	v_cmpx_ge_u32_e64 v25, v16
	s_xor_b32 s2, exec_lo, s2
	s_cbranch_execz .LBB2039_158
; %bb.157:
	s_waitcnt lgkmcnt(3)
	v_xor_b32_e32 v5, 0xfffff7ff, v0
                                        ; implicit-def: $vgpr25
	s_delay_alu instid0(VALU_DEP_1) | instskip(SKIP_1) | instid1(VALU_DEP_2)
	v_ashrrev_i32_e32 v6, 31, v5
	v_add_co_u32 v5, vcc_lo, v20, v5
	v_add_co_ci_u32_e32 v6, vcc_lo, v21, v6, vcc_lo
.LBB2039_158:
	s_and_not1_saveexec_b32 s2, s2
	s_cbranch_execz .LBB2039_160
; %bb.159:
	s_waitcnt lgkmcnt(3)
	v_add_co_u32 v5, vcc_lo, v15, v25
	v_add_co_ci_u32_e32 v6, vcc_lo, 0, v17, vcc_lo
.LBB2039_160:
	s_or_b32 exec_lo, exec_lo, s2
	s_waitcnt lgkmcnt(3)
	s_delay_alu instid0(VALU_DEP_1) | instskip(NEXT) | instid1(VALU_DEP_1)
	v_lshlrev_b64 v[5:6], 2, v[5:6]
	v_add_co_u32 v5, vcc_lo, s10, v5
	s_delay_alu instid0(VALU_DEP_2) | instskip(SKIP_3) | instid1(SALU_CYCLE_1)
	v_add_co_ci_u32_e32 v6, vcc_lo, s11, v6, vcc_lo
	s_waitcnt lgkmcnt(2)
	global_store_b32 v[5:6], v3, off
	s_or_b32 exec_lo, exec_lo, s1
	s_mov_b32 s1, exec_lo
	v_cmpx_gt_u32_e64 s22, v24
	s_cbranch_execnz .LBB2039_192
.LBB2039_161:
	s_or_b32 exec_lo, exec_lo, s1
	s_delay_alu instid0(SALU_CYCLE_1)
	s_mov_b32 s1, exec_lo
	v_cmpx_gt_u32_e64 s22, v23
	s_cbranch_execz .LBB2039_197
.LBB2039_162:
	s_mov_b32 s2, exec_lo
                                        ; implicit-def: $vgpr3_vgpr4
	v_cmpx_ge_u32_e64 v23, v16
	s_xor_b32 s2, exec_lo, s2
	s_cbranch_execz .LBB2039_164
; %bb.163:
	s_waitcnt lgkmcnt(2)
	v_xor_b32_e32 v3, 0xfffff5ff, v0
                                        ; implicit-def: $vgpr23
	s_delay_alu instid0(VALU_DEP_1) | instskip(SKIP_1) | instid1(VALU_DEP_2)
	v_ashrrev_i32_e32 v4, 31, v3
	v_add_co_u32 v3, vcc_lo, v20, v3
	v_add_co_ci_u32_e32 v4, vcc_lo, v21, v4, vcc_lo
.LBB2039_164:
	s_and_not1_saveexec_b32 s2, s2
	s_cbranch_execz .LBB2039_166
; %bb.165:
	s_waitcnt lgkmcnt(2)
	v_add_co_u32 v3, vcc_lo, v15, v23
	v_add_co_ci_u32_e32 v4, vcc_lo, 0, v17, vcc_lo
.LBB2039_166:
	s_or_b32 exec_lo, exec_lo, s2
	s_waitcnt lgkmcnt(2)
	s_delay_alu instid0(VALU_DEP_1) | instskip(NEXT) | instid1(VALU_DEP_1)
	v_lshlrev_b64 v[3:4], 2, v[3:4]
	v_add_co_u32 v3, vcc_lo, s10, v3
	s_delay_alu instid0(VALU_DEP_2) | instskip(SKIP_3) | instid1(SALU_CYCLE_1)
	v_add_co_ci_u32_e32 v4, vcc_lo, s11, v4, vcc_lo
	s_waitcnt lgkmcnt(1)
	global_store_b32 v[3:4], v1, off
	s_or_b32 exec_lo, exec_lo, s1
	s_mov_b32 s1, exec_lo
	v_cmpx_gt_u32_e64 s22, v22
	s_cbranch_execz .LBB2039_203
	s_branch .LBB2039_198
.LBB2039_167:
	s_or_b32 exec_lo, exec_lo, s1
	s_delay_alu instid0(SALU_CYCLE_1)
	s_mov_b32 s1, exec_lo
	v_cmpx_gt_u32_e64 s22, v34
	s_cbranch_execz .LBB2039_137
.LBB2039_168:
	s_mov_b32 s2, exec_lo
                                        ; implicit-def: $vgpr13_vgpr14
	v_cmpx_ge_u32_e64 v34, v16
	s_xor_b32 s2, exec_lo, s2
	s_cbranch_execz .LBB2039_170
; %bb.169:
	s_waitcnt lgkmcnt(6)
	v_xor_b32_e32 v11, 0xfffffeff, v0
                                        ; implicit-def: $vgpr34
	s_delay_alu instid0(VALU_DEP_1) | instskip(SKIP_1) | instid1(VALU_DEP_2)
	v_ashrrev_i32_e32 v14, 31, v11
	v_add_co_u32 v13, vcc_lo, v20, v11
	v_add_co_ci_u32_e32 v14, vcc_lo, v21, v14, vcc_lo
.LBB2039_170:
	s_and_not1_saveexec_b32 s2, s2
; %bb.171:
	v_add_co_u32 v13, vcc_lo, v15, v34
	v_add_co_ci_u32_e32 v14, vcc_lo, 0, v17, vcc_lo
; %bb.172:
	s_or_b32 exec_lo, exec_lo, s2
	s_delay_alu instid0(VALU_DEP_1) | instskip(NEXT) | instid1(VALU_DEP_1)
	v_lshlrev_b64 v[13:14], 2, v[13:14]
	v_add_co_u32 v13, vcc_lo, s10, v13
	s_delay_alu instid0(VALU_DEP_2) | instskip(SKIP_3) | instid1(SALU_CYCLE_1)
	v_add_co_ci_u32_e32 v14, vcc_lo, s11, v14, vcc_lo
	s_waitcnt lgkmcnt(6)
	global_store_b32 v[13:14], v12, off
	s_or_b32 exec_lo, exec_lo, s1
	s_mov_b32 s1, exec_lo
	v_cmpx_gt_u32_e64 s22, v33
	s_cbranch_execnz .LBB2039_138
.LBB2039_173:
	s_or_b32 exec_lo, exec_lo, s1
	s_delay_alu instid0(SALU_CYCLE_1)
	s_mov_b32 s1, exec_lo
	v_cmpx_gt_u32_e64 s22, v32
	s_cbranch_execz .LBB2039_143
.LBB2039_174:
	s_mov_b32 s2, exec_lo
                                        ; implicit-def: $vgpr11_vgpr12
	v_cmpx_ge_u32_e64 v32, v16
	s_xor_b32 s2, exec_lo, s2
	s_cbranch_execz .LBB2039_176
; %bb.175:
	s_waitcnt lgkmcnt(5)
	v_xor_b32_e32 v9, 0xfffffcff, v0
                                        ; implicit-def: $vgpr32
	s_delay_alu instid0(VALU_DEP_1) | instskip(SKIP_1) | instid1(VALU_DEP_2)
	v_ashrrev_i32_e32 v12, 31, v9
	v_add_co_u32 v11, vcc_lo, v20, v9
	v_add_co_ci_u32_e32 v12, vcc_lo, v21, v12, vcc_lo
.LBB2039_176:
	s_and_not1_saveexec_b32 s2, s2
	s_cbranch_execz .LBB2039_178
; %bb.177:
	s_waitcnt lgkmcnt(6)
	v_add_co_u32 v11, vcc_lo, v15, v32
	v_add_co_ci_u32_e32 v12, vcc_lo, 0, v17, vcc_lo
.LBB2039_178:
	s_or_b32 exec_lo, exec_lo, s2
	s_waitcnt lgkmcnt(6)
	s_delay_alu instid0(VALU_DEP_1) | instskip(NEXT) | instid1(VALU_DEP_1)
	v_lshlrev_b64 v[11:12], 2, v[11:12]
	v_add_co_u32 v11, vcc_lo, s10, v11
	s_delay_alu instid0(VALU_DEP_2) | instskip(SKIP_3) | instid1(SALU_CYCLE_1)
	v_add_co_ci_u32_e32 v12, vcc_lo, s11, v12, vcc_lo
	s_waitcnt lgkmcnt(5)
	global_store_b32 v[11:12], v10, off
	s_or_b32 exec_lo, exec_lo, s1
	s_mov_b32 s1, exec_lo
	v_cmpx_gt_u32_e64 s22, v29
	s_cbranch_execnz .LBB2039_144
.LBB2039_179:
	s_or_b32 exec_lo, exec_lo, s1
	s_delay_alu instid0(SALU_CYCLE_1)
	s_mov_b32 s1, exec_lo
	v_cmpx_gt_u32_e64 s22, v28
	s_cbranch_execz .LBB2039_149
.LBB2039_180:
	s_mov_b32 s2, exec_lo
                                        ; implicit-def: $vgpr9_vgpr10
	v_cmpx_ge_u32_e64 v28, v16
	s_xor_b32 s2, exec_lo, s2
	s_cbranch_execz .LBB2039_182
; %bb.181:
	s_waitcnt lgkmcnt(4)
	v_xor_b32_e32 v7, 0xfffffaff, v0
                                        ; implicit-def: $vgpr28
	s_delay_alu instid0(VALU_DEP_1) | instskip(SKIP_1) | instid1(VALU_DEP_2)
	v_ashrrev_i32_e32 v10, 31, v7
	v_add_co_u32 v9, vcc_lo, v20, v7
	v_add_co_ci_u32_e32 v10, vcc_lo, v21, v10, vcc_lo
.LBB2039_182:
	s_and_not1_saveexec_b32 s2, s2
	s_cbranch_execz .LBB2039_184
; %bb.183:
	s_waitcnt lgkmcnt(5)
	v_add_co_u32 v9, vcc_lo, v15, v28
	v_add_co_ci_u32_e32 v10, vcc_lo, 0, v17, vcc_lo
.LBB2039_184:
	s_or_b32 exec_lo, exec_lo, s2
	s_waitcnt lgkmcnt(5)
	s_delay_alu instid0(VALU_DEP_1) | instskip(NEXT) | instid1(VALU_DEP_1)
	v_lshlrev_b64 v[9:10], 2, v[9:10]
	v_add_co_u32 v9, vcc_lo, s10, v9
	s_delay_alu instid0(VALU_DEP_2) | instskip(SKIP_3) | instid1(SALU_CYCLE_1)
	v_add_co_ci_u32_e32 v10, vcc_lo, s11, v10, vcc_lo
	s_waitcnt lgkmcnt(4)
	global_store_b32 v[9:10], v8, off
	s_or_b32 exec_lo, exec_lo, s1
	s_mov_b32 s1, exec_lo
	v_cmpx_gt_u32_e64 s22, v27
	s_cbranch_execnz .LBB2039_150
.LBB2039_185:
	s_or_b32 exec_lo, exec_lo, s1
	s_delay_alu instid0(SALU_CYCLE_1)
	s_mov_b32 s1, exec_lo
	v_cmpx_gt_u32_e64 s22, v26
	s_cbranch_execz .LBB2039_155
.LBB2039_186:
	s_mov_b32 s2, exec_lo
                                        ; implicit-def: $vgpr7_vgpr8
	v_cmpx_ge_u32_e64 v26, v16
	s_xor_b32 s2, exec_lo, s2
	s_cbranch_execz .LBB2039_188
; %bb.187:
	s_waitcnt lgkmcnt(3)
	v_xor_b32_e32 v5, 0xfffff8ff, v0
                                        ; implicit-def: $vgpr26
	s_delay_alu instid0(VALU_DEP_1) | instskip(SKIP_1) | instid1(VALU_DEP_2)
	v_ashrrev_i32_e32 v8, 31, v5
	v_add_co_u32 v7, vcc_lo, v20, v5
	v_add_co_ci_u32_e32 v8, vcc_lo, v21, v8, vcc_lo
.LBB2039_188:
	s_and_not1_saveexec_b32 s2, s2
	s_cbranch_execz .LBB2039_190
; %bb.189:
	s_waitcnt lgkmcnt(4)
	v_add_co_u32 v7, vcc_lo, v15, v26
	v_add_co_ci_u32_e32 v8, vcc_lo, 0, v17, vcc_lo
.LBB2039_190:
	s_or_b32 exec_lo, exec_lo, s2
	s_waitcnt lgkmcnt(4)
	s_delay_alu instid0(VALU_DEP_1) | instskip(NEXT) | instid1(VALU_DEP_1)
	v_lshlrev_b64 v[7:8], 2, v[7:8]
	v_add_co_u32 v7, vcc_lo, s10, v7
	s_delay_alu instid0(VALU_DEP_2) | instskip(SKIP_3) | instid1(SALU_CYCLE_1)
	v_add_co_ci_u32_e32 v8, vcc_lo, s11, v8, vcc_lo
	s_waitcnt lgkmcnt(3)
	global_store_b32 v[7:8], v6, off
	s_or_b32 exec_lo, exec_lo, s1
	s_mov_b32 s1, exec_lo
	v_cmpx_gt_u32_e64 s22, v25
	s_cbranch_execnz .LBB2039_156
.LBB2039_191:
	s_or_b32 exec_lo, exec_lo, s1
	s_delay_alu instid0(SALU_CYCLE_1)
	s_mov_b32 s1, exec_lo
	v_cmpx_gt_u32_e64 s22, v24
	s_cbranch_execz .LBB2039_161
.LBB2039_192:
	s_mov_b32 s2, exec_lo
                                        ; implicit-def: $vgpr5_vgpr6
	v_cmpx_ge_u32_e64 v24, v16
	s_xor_b32 s2, exec_lo, s2
	s_cbranch_execz .LBB2039_194
; %bb.193:
	s_waitcnt lgkmcnt(2)
	v_xor_b32_e32 v3, 0xfffff6ff, v0
                                        ; implicit-def: $vgpr24
	s_delay_alu instid0(VALU_DEP_1) | instskip(SKIP_1) | instid1(VALU_DEP_2)
	v_ashrrev_i32_e32 v6, 31, v3
	v_add_co_u32 v5, vcc_lo, v20, v3
	v_add_co_ci_u32_e32 v6, vcc_lo, v21, v6, vcc_lo
.LBB2039_194:
	s_and_not1_saveexec_b32 s2, s2
	s_cbranch_execz .LBB2039_196
; %bb.195:
	s_waitcnt lgkmcnt(3)
	v_add_co_u32 v5, vcc_lo, v15, v24
	v_add_co_ci_u32_e32 v6, vcc_lo, 0, v17, vcc_lo
.LBB2039_196:
	s_or_b32 exec_lo, exec_lo, s2
	s_waitcnt lgkmcnt(3)
	s_delay_alu instid0(VALU_DEP_1) | instskip(NEXT) | instid1(VALU_DEP_1)
	v_lshlrev_b64 v[5:6], 2, v[5:6]
	v_add_co_u32 v5, vcc_lo, s10, v5
	s_delay_alu instid0(VALU_DEP_2) | instskip(SKIP_3) | instid1(SALU_CYCLE_1)
	v_add_co_ci_u32_e32 v6, vcc_lo, s11, v6, vcc_lo
	s_waitcnt lgkmcnt(2)
	global_store_b32 v[5:6], v4, off
	s_or_b32 exec_lo, exec_lo, s1
	s_mov_b32 s1, exec_lo
	v_cmpx_gt_u32_e64 s22, v23
	s_cbranch_execnz .LBB2039_162
.LBB2039_197:
	s_or_b32 exec_lo, exec_lo, s1
	s_delay_alu instid0(SALU_CYCLE_1)
	s_mov_b32 s1, exec_lo
	v_cmpx_gt_u32_e64 s22, v22
	s_cbranch_execz .LBB2039_203
.LBB2039_198:
	s_mov_b32 s2, exec_lo
                                        ; implicit-def: $vgpr3_vgpr4
	v_cmpx_ge_u32_e64 v22, v16
	s_xor_b32 s2, exec_lo, s2
	s_cbranch_execz .LBB2039_200
; %bb.199:
	s_waitcnt lgkmcnt(1)
	v_xor_b32_e32 v1, 0xfffff4ff, v0
                                        ; implicit-def: $vgpr22
	s_delay_alu instid0(VALU_DEP_1) | instskip(SKIP_1) | instid1(VALU_DEP_2)
	v_ashrrev_i32_e32 v4, 31, v1
	v_add_co_u32 v3, vcc_lo, v20, v1
	v_add_co_ci_u32_e32 v4, vcc_lo, v21, v4, vcc_lo
.LBB2039_200:
	s_and_not1_saveexec_b32 s2, s2
	s_cbranch_execz .LBB2039_202
; %bb.201:
	s_waitcnt lgkmcnt(2)
	v_add_co_u32 v3, vcc_lo, v15, v22
	v_add_co_ci_u32_e32 v4, vcc_lo, 0, v17, vcc_lo
.LBB2039_202:
	s_or_b32 exec_lo, exec_lo, s2
	s_waitcnt lgkmcnt(2)
	s_delay_alu instid0(VALU_DEP_1) | instskip(NEXT) | instid1(VALU_DEP_1)
	v_lshlrev_b64 v[3:4], 2, v[3:4]
	v_add_co_u32 v3, vcc_lo, s10, v3
	s_delay_alu instid0(VALU_DEP_2)
	v_add_co_ci_u32_e32 v4, vcc_lo, s11, v4, vcc_lo
	s_waitcnt lgkmcnt(1)
	global_store_b32 v[3:4], v2, off
.LBB2039_203:
	s_or_b32 exec_lo, exec_lo, s1
	s_delay_alu instid0(SALU_CYCLE_1)
	s_mov_b32 s1, exec_lo
                                        ; implicit-def: $vgpr13_vgpr14
	v_cmpx_gt_u32_e64 s22, v19
	s_cbranch_execz .LBB2039_209
; %bb.204:
	s_mov_b32 s2, exec_lo
                                        ; implicit-def: $vgpr13_vgpr14
	v_cmpx_ge_u32_e64 v19, v16
	s_xor_b32 s2, exec_lo, s2
	s_cbranch_execz .LBB2039_206
; %bb.205:
	s_waitcnt lgkmcnt(1)
	v_xor_b32_e32 v1, 0xfffff3ff, v0
                                        ; implicit-def: $vgpr19
	s_delay_alu instid0(VALU_DEP_1) | instskip(SKIP_1) | instid1(VALU_DEP_2)
	v_ashrrev_i32_e32 v2, 31, v1
	v_add_co_u32 v13, vcc_lo, v20, v1
	v_add_co_ci_u32_e32 v14, vcc_lo, v21, v2, vcc_lo
.LBB2039_206:
	s_and_not1_saveexec_b32 s2, s2
; %bb.207:
	v_add_co_u32 v13, vcc_lo, v15, v19
	v_add_co_ci_u32_e32 v14, vcc_lo, 0, v17, vcc_lo
; %bb.208:
	s_or_b32 exec_lo, exec_lo, s2
	s_delay_alu instid0(SALU_CYCLE_1)
	s_or_b32 s0, s0, exec_lo
.LBB2039_209:
	s_or_b32 exec_lo, exec_lo, s1
.LBB2039_210:
	s_and_saveexec_b32 s1, s0
	s_cbranch_execz .LBB2039_212
; %bb.211:
	s_waitcnt lgkmcnt(1)
	v_lshlrev_b64 v[1:2], 2, v[13:14]
	s_delay_alu instid0(VALU_DEP_1) | instskip(NEXT) | instid1(VALU_DEP_2)
	v_add_co_u32 v1, vcc_lo, s10, v1
	v_add_co_ci_u32_e32 v2, vcc_lo, s11, v2, vcc_lo
	s_waitcnt lgkmcnt(0)
	global_store_b32 v[1:2], v18, off
.LBB2039_212:
	s_or_b32 exec_lo, exec_lo, s1
	v_cmp_eq_u32_e32 vcc_lo, 0, v0
	s_and_b32 s0, vcc_lo, s14
	s_delay_alu instid0(SALU_CYCLE_1)
	s_and_saveexec_b32 s1, s0
	s_cbranch_execz .LBB2039_214
; %bb.213:
	v_add_co_u32 v0, vcc_lo, v15, v16
	s_waitcnt lgkmcnt(1)
	v_mov_b32_e32 v2, 0
	v_add_co_ci_u32_e32 v1, vcc_lo, 0, v17, vcc_lo
	global_store_b64 v2, v[0:1], s[8:9]
.LBB2039_214:
	s_nop 0
	s_sendmsg sendmsg(MSG_DEALLOC_VGPRS)
	s_endpgm
	.section	.rodata,"a",@progbits
	.p2align	6, 0x0
	.amdhsa_kernel _ZN7rocprim17ROCPRIM_400000_NS6detail17trampoline_kernelINS0_13select_configILj256ELj13ELNS0_17block_load_methodE3ELS4_3ELS4_3ELNS0_20block_scan_algorithmE0ELj4294967295EEENS1_25partition_config_selectorILNS1_17partition_subalgoE3EjNS0_10empty_typeEbEEZZNS1_14partition_implILS8_3ELb0ES6_jNS0_17counting_iteratorIjlEEPS9_SE_NS0_5tupleIJPjSE_EEENSF_IJSE_SE_EEES9_SG_JZNS1_25segmented_radix_sort_implINS0_14default_configELb0EPK12hip_bfloat16PSL_PKlPlN2at6native12_GLOBAL__N_18offset_tEEE10hipError_tPvRmT1_PNSt15iterator_traitsISZ_E10value_typeET2_T3_PNS10_IS15_E10value_typeET4_jRbjT5_S1B_jjP12ihipStream_tbEUljE_EEESW_SX_SY_S15_S19_S1B_T6_T7_T9_mT8_S1D_bDpT10_ENKUlT_T0_E_clISt17integral_constantIbLb1EES1P_IbLb0EEEEDaS1L_S1M_EUlS1L_E_NS1_11comp_targetILNS1_3genE9ELNS1_11target_archE1100ELNS1_3gpuE3ELNS1_3repE0EEENS1_30default_config_static_selectorELNS0_4arch9wavefront6targetE0EEEvSZ_
		.amdhsa_group_segment_fixed_size 13324
		.amdhsa_private_segment_fixed_size 0
		.amdhsa_kernarg_size 144
		.amdhsa_user_sgpr_count 15
		.amdhsa_user_sgpr_dispatch_ptr 0
		.amdhsa_user_sgpr_queue_ptr 0
		.amdhsa_user_sgpr_kernarg_segment_ptr 1
		.amdhsa_user_sgpr_dispatch_id 0
		.amdhsa_user_sgpr_private_segment_size 0
		.amdhsa_wavefront_size32 1
		.amdhsa_uses_dynamic_stack 0
		.amdhsa_enable_private_segment 0
		.amdhsa_system_sgpr_workgroup_id_x 1
		.amdhsa_system_sgpr_workgroup_id_y 0
		.amdhsa_system_sgpr_workgroup_id_z 0
		.amdhsa_system_sgpr_workgroup_info 0
		.amdhsa_system_vgpr_workitem_id 0
		.amdhsa_next_free_vgpr 57
		.amdhsa_next_free_sgpr 28
		.amdhsa_reserve_vcc 1
		.amdhsa_float_round_mode_32 0
		.amdhsa_float_round_mode_16_64 0
		.amdhsa_float_denorm_mode_32 3
		.amdhsa_float_denorm_mode_16_64 3
		.amdhsa_dx10_clamp 1
		.amdhsa_ieee_mode 1
		.amdhsa_fp16_overflow 0
		.amdhsa_workgroup_processor_mode 1
		.amdhsa_memory_ordered 1
		.amdhsa_forward_progress 0
		.amdhsa_shared_vgpr_count 0
		.amdhsa_exception_fp_ieee_invalid_op 0
		.amdhsa_exception_fp_denorm_src 0
		.amdhsa_exception_fp_ieee_div_zero 0
		.amdhsa_exception_fp_ieee_overflow 0
		.amdhsa_exception_fp_ieee_underflow 0
		.amdhsa_exception_fp_ieee_inexact 0
		.amdhsa_exception_int_div_zero 0
	.end_amdhsa_kernel
	.section	.text._ZN7rocprim17ROCPRIM_400000_NS6detail17trampoline_kernelINS0_13select_configILj256ELj13ELNS0_17block_load_methodE3ELS4_3ELS4_3ELNS0_20block_scan_algorithmE0ELj4294967295EEENS1_25partition_config_selectorILNS1_17partition_subalgoE3EjNS0_10empty_typeEbEEZZNS1_14partition_implILS8_3ELb0ES6_jNS0_17counting_iteratorIjlEEPS9_SE_NS0_5tupleIJPjSE_EEENSF_IJSE_SE_EEES9_SG_JZNS1_25segmented_radix_sort_implINS0_14default_configELb0EPK12hip_bfloat16PSL_PKlPlN2at6native12_GLOBAL__N_18offset_tEEE10hipError_tPvRmT1_PNSt15iterator_traitsISZ_E10value_typeET2_T3_PNS10_IS15_E10value_typeET4_jRbjT5_S1B_jjP12ihipStream_tbEUljE_EEESW_SX_SY_S15_S19_S1B_T6_T7_T9_mT8_S1D_bDpT10_ENKUlT_T0_E_clISt17integral_constantIbLb1EES1P_IbLb0EEEEDaS1L_S1M_EUlS1L_E_NS1_11comp_targetILNS1_3genE9ELNS1_11target_archE1100ELNS1_3gpuE3ELNS1_3repE0EEENS1_30default_config_static_selectorELNS0_4arch9wavefront6targetE0EEEvSZ_,"axG",@progbits,_ZN7rocprim17ROCPRIM_400000_NS6detail17trampoline_kernelINS0_13select_configILj256ELj13ELNS0_17block_load_methodE3ELS4_3ELS4_3ELNS0_20block_scan_algorithmE0ELj4294967295EEENS1_25partition_config_selectorILNS1_17partition_subalgoE3EjNS0_10empty_typeEbEEZZNS1_14partition_implILS8_3ELb0ES6_jNS0_17counting_iteratorIjlEEPS9_SE_NS0_5tupleIJPjSE_EEENSF_IJSE_SE_EEES9_SG_JZNS1_25segmented_radix_sort_implINS0_14default_configELb0EPK12hip_bfloat16PSL_PKlPlN2at6native12_GLOBAL__N_18offset_tEEE10hipError_tPvRmT1_PNSt15iterator_traitsISZ_E10value_typeET2_T3_PNS10_IS15_E10value_typeET4_jRbjT5_S1B_jjP12ihipStream_tbEUljE_EEESW_SX_SY_S15_S19_S1B_T6_T7_T9_mT8_S1D_bDpT10_ENKUlT_T0_E_clISt17integral_constantIbLb1EES1P_IbLb0EEEEDaS1L_S1M_EUlS1L_E_NS1_11comp_targetILNS1_3genE9ELNS1_11target_archE1100ELNS1_3gpuE3ELNS1_3repE0EEENS1_30default_config_static_selectorELNS0_4arch9wavefront6targetE0EEEvSZ_,comdat
.Lfunc_end2039:
	.size	_ZN7rocprim17ROCPRIM_400000_NS6detail17trampoline_kernelINS0_13select_configILj256ELj13ELNS0_17block_load_methodE3ELS4_3ELS4_3ELNS0_20block_scan_algorithmE0ELj4294967295EEENS1_25partition_config_selectorILNS1_17partition_subalgoE3EjNS0_10empty_typeEbEEZZNS1_14partition_implILS8_3ELb0ES6_jNS0_17counting_iteratorIjlEEPS9_SE_NS0_5tupleIJPjSE_EEENSF_IJSE_SE_EEES9_SG_JZNS1_25segmented_radix_sort_implINS0_14default_configELb0EPK12hip_bfloat16PSL_PKlPlN2at6native12_GLOBAL__N_18offset_tEEE10hipError_tPvRmT1_PNSt15iterator_traitsISZ_E10value_typeET2_T3_PNS10_IS15_E10value_typeET4_jRbjT5_S1B_jjP12ihipStream_tbEUljE_EEESW_SX_SY_S15_S19_S1B_T6_T7_T9_mT8_S1D_bDpT10_ENKUlT_T0_E_clISt17integral_constantIbLb1EES1P_IbLb0EEEEDaS1L_S1M_EUlS1L_E_NS1_11comp_targetILNS1_3genE9ELNS1_11target_archE1100ELNS1_3gpuE3ELNS1_3repE0EEENS1_30default_config_static_selectorELNS0_4arch9wavefront6targetE0EEEvSZ_, .Lfunc_end2039-_ZN7rocprim17ROCPRIM_400000_NS6detail17trampoline_kernelINS0_13select_configILj256ELj13ELNS0_17block_load_methodE3ELS4_3ELS4_3ELNS0_20block_scan_algorithmE0ELj4294967295EEENS1_25partition_config_selectorILNS1_17partition_subalgoE3EjNS0_10empty_typeEbEEZZNS1_14partition_implILS8_3ELb0ES6_jNS0_17counting_iteratorIjlEEPS9_SE_NS0_5tupleIJPjSE_EEENSF_IJSE_SE_EEES9_SG_JZNS1_25segmented_radix_sort_implINS0_14default_configELb0EPK12hip_bfloat16PSL_PKlPlN2at6native12_GLOBAL__N_18offset_tEEE10hipError_tPvRmT1_PNSt15iterator_traitsISZ_E10value_typeET2_T3_PNS10_IS15_E10value_typeET4_jRbjT5_S1B_jjP12ihipStream_tbEUljE_EEESW_SX_SY_S15_S19_S1B_T6_T7_T9_mT8_S1D_bDpT10_ENKUlT_T0_E_clISt17integral_constantIbLb1EES1P_IbLb0EEEEDaS1L_S1M_EUlS1L_E_NS1_11comp_targetILNS1_3genE9ELNS1_11target_archE1100ELNS1_3gpuE3ELNS1_3repE0EEENS1_30default_config_static_selectorELNS0_4arch9wavefront6targetE0EEEvSZ_
                                        ; -- End function
	.section	.AMDGPU.csdata,"",@progbits
; Kernel info:
; codeLenInByte = 8964
; NumSgprs: 30
; NumVgprs: 57
; ScratchSize: 0
; MemoryBound: 0
; FloatMode: 240
; IeeeMode: 1
; LDSByteSize: 13324 bytes/workgroup (compile time only)
; SGPRBlocks: 3
; VGPRBlocks: 7
; NumSGPRsForWavesPerEU: 30
; NumVGPRsForWavesPerEU: 57
; Occupancy: 16
; WaveLimiterHint : 0
; COMPUTE_PGM_RSRC2:SCRATCH_EN: 0
; COMPUTE_PGM_RSRC2:USER_SGPR: 15
; COMPUTE_PGM_RSRC2:TRAP_HANDLER: 0
; COMPUTE_PGM_RSRC2:TGID_X_EN: 1
; COMPUTE_PGM_RSRC2:TGID_Y_EN: 0
; COMPUTE_PGM_RSRC2:TGID_Z_EN: 0
; COMPUTE_PGM_RSRC2:TIDIG_COMP_CNT: 0
	.section	.text._ZN7rocprim17ROCPRIM_400000_NS6detail17trampoline_kernelINS0_13select_configILj256ELj13ELNS0_17block_load_methodE3ELS4_3ELS4_3ELNS0_20block_scan_algorithmE0ELj4294967295EEENS1_25partition_config_selectorILNS1_17partition_subalgoE3EjNS0_10empty_typeEbEEZZNS1_14partition_implILS8_3ELb0ES6_jNS0_17counting_iteratorIjlEEPS9_SE_NS0_5tupleIJPjSE_EEENSF_IJSE_SE_EEES9_SG_JZNS1_25segmented_radix_sort_implINS0_14default_configELb0EPK12hip_bfloat16PSL_PKlPlN2at6native12_GLOBAL__N_18offset_tEEE10hipError_tPvRmT1_PNSt15iterator_traitsISZ_E10value_typeET2_T3_PNS10_IS15_E10value_typeET4_jRbjT5_S1B_jjP12ihipStream_tbEUljE_EEESW_SX_SY_S15_S19_S1B_T6_T7_T9_mT8_S1D_bDpT10_ENKUlT_T0_E_clISt17integral_constantIbLb1EES1P_IbLb0EEEEDaS1L_S1M_EUlS1L_E_NS1_11comp_targetILNS1_3genE8ELNS1_11target_archE1030ELNS1_3gpuE2ELNS1_3repE0EEENS1_30default_config_static_selectorELNS0_4arch9wavefront6targetE0EEEvSZ_,"axG",@progbits,_ZN7rocprim17ROCPRIM_400000_NS6detail17trampoline_kernelINS0_13select_configILj256ELj13ELNS0_17block_load_methodE3ELS4_3ELS4_3ELNS0_20block_scan_algorithmE0ELj4294967295EEENS1_25partition_config_selectorILNS1_17partition_subalgoE3EjNS0_10empty_typeEbEEZZNS1_14partition_implILS8_3ELb0ES6_jNS0_17counting_iteratorIjlEEPS9_SE_NS0_5tupleIJPjSE_EEENSF_IJSE_SE_EEES9_SG_JZNS1_25segmented_radix_sort_implINS0_14default_configELb0EPK12hip_bfloat16PSL_PKlPlN2at6native12_GLOBAL__N_18offset_tEEE10hipError_tPvRmT1_PNSt15iterator_traitsISZ_E10value_typeET2_T3_PNS10_IS15_E10value_typeET4_jRbjT5_S1B_jjP12ihipStream_tbEUljE_EEESW_SX_SY_S15_S19_S1B_T6_T7_T9_mT8_S1D_bDpT10_ENKUlT_T0_E_clISt17integral_constantIbLb1EES1P_IbLb0EEEEDaS1L_S1M_EUlS1L_E_NS1_11comp_targetILNS1_3genE8ELNS1_11target_archE1030ELNS1_3gpuE2ELNS1_3repE0EEENS1_30default_config_static_selectorELNS0_4arch9wavefront6targetE0EEEvSZ_,comdat
	.globl	_ZN7rocprim17ROCPRIM_400000_NS6detail17trampoline_kernelINS0_13select_configILj256ELj13ELNS0_17block_load_methodE3ELS4_3ELS4_3ELNS0_20block_scan_algorithmE0ELj4294967295EEENS1_25partition_config_selectorILNS1_17partition_subalgoE3EjNS0_10empty_typeEbEEZZNS1_14partition_implILS8_3ELb0ES6_jNS0_17counting_iteratorIjlEEPS9_SE_NS0_5tupleIJPjSE_EEENSF_IJSE_SE_EEES9_SG_JZNS1_25segmented_radix_sort_implINS0_14default_configELb0EPK12hip_bfloat16PSL_PKlPlN2at6native12_GLOBAL__N_18offset_tEEE10hipError_tPvRmT1_PNSt15iterator_traitsISZ_E10value_typeET2_T3_PNS10_IS15_E10value_typeET4_jRbjT5_S1B_jjP12ihipStream_tbEUljE_EEESW_SX_SY_S15_S19_S1B_T6_T7_T9_mT8_S1D_bDpT10_ENKUlT_T0_E_clISt17integral_constantIbLb1EES1P_IbLb0EEEEDaS1L_S1M_EUlS1L_E_NS1_11comp_targetILNS1_3genE8ELNS1_11target_archE1030ELNS1_3gpuE2ELNS1_3repE0EEENS1_30default_config_static_selectorELNS0_4arch9wavefront6targetE0EEEvSZ_ ; -- Begin function _ZN7rocprim17ROCPRIM_400000_NS6detail17trampoline_kernelINS0_13select_configILj256ELj13ELNS0_17block_load_methodE3ELS4_3ELS4_3ELNS0_20block_scan_algorithmE0ELj4294967295EEENS1_25partition_config_selectorILNS1_17partition_subalgoE3EjNS0_10empty_typeEbEEZZNS1_14partition_implILS8_3ELb0ES6_jNS0_17counting_iteratorIjlEEPS9_SE_NS0_5tupleIJPjSE_EEENSF_IJSE_SE_EEES9_SG_JZNS1_25segmented_radix_sort_implINS0_14default_configELb0EPK12hip_bfloat16PSL_PKlPlN2at6native12_GLOBAL__N_18offset_tEEE10hipError_tPvRmT1_PNSt15iterator_traitsISZ_E10value_typeET2_T3_PNS10_IS15_E10value_typeET4_jRbjT5_S1B_jjP12ihipStream_tbEUljE_EEESW_SX_SY_S15_S19_S1B_T6_T7_T9_mT8_S1D_bDpT10_ENKUlT_T0_E_clISt17integral_constantIbLb1EES1P_IbLb0EEEEDaS1L_S1M_EUlS1L_E_NS1_11comp_targetILNS1_3genE8ELNS1_11target_archE1030ELNS1_3gpuE2ELNS1_3repE0EEENS1_30default_config_static_selectorELNS0_4arch9wavefront6targetE0EEEvSZ_
	.p2align	8
	.type	_ZN7rocprim17ROCPRIM_400000_NS6detail17trampoline_kernelINS0_13select_configILj256ELj13ELNS0_17block_load_methodE3ELS4_3ELS4_3ELNS0_20block_scan_algorithmE0ELj4294967295EEENS1_25partition_config_selectorILNS1_17partition_subalgoE3EjNS0_10empty_typeEbEEZZNS1_14partition_implILS8_3ELb0ES6_jNS0_17counting_iteratorIjlEEPS9_SE_NS0_5tupleIJPjSE_EEENSF_IJSE_SE_EEES9_SG_JZNS1_25segmented_radix_sort_implINS0_14default_configELb0EPK12hip_bfloat16PSL_PKlPlN2at6native12_GLOBAL__N_18offset_tEEE10hipError_tPvRmT1_PNSt15iterator_traitsISZ_E10value_typeET2_T3_PNS10_IS15_E10value_typeET4_jRbjT5_S1B_jjP12ihipStream_tbEUljE_EEESW_SX_SY_S15_S19_S1B_T6_T7_T9_mT8_S1D_bDpT10_ENKUlT_T0_E_clISt17integral_constantIbLb1EES1P_IbLb0EEEEDaS1L_S1M_EUlS1L_E_NS1_11comp_targetILNS1_3genE8ELNS1_11target_archE1030ELNS1_3gpuE2ELNS1_3repE0EEENS1_30default_config_static_selectorELNS0_4arch9wavefront6targetE0EEEvSZ_,@function
_ZN7rocprim17ROCPRIM_400000_NS6detail17trampoline_kernelINS0_13select_configILj256ELj13ELNS0_17block_load_methodE3ELS4_3ELS4_3ELNS0_20block_scan_algorithmE0ELj4294967295EEENS1_25partition_config_selectorILNS1_17partition_subalgoE3EjNS0_10empty_typeEbEEZZNS1_14partition_implILS8_3ELb0ES6_jNS0_17counting_iteratorIjlEEPS9_SE_NS0_5tupleIJPjSE_EEENSF_IJSE_SE_EEES9_SG_JZNS1_25segmented_radix_sort_implINS0_14default_configELb0EPK12hip_bfloat16PSL_PKlPlN2at6native12_GLOBAL__N_18offset_tEEE10hipError_tPvRmT1_PNSt15iterator_traitsISZ_E10value_typeET2_T3_PNS10_IS15_E10value_typeET4_jRbjT5_S1B_jjP12ihipStream_tbEUljE_EEESW_SX_SY_S15_S19_S1B_T6_T7_T9_mT8_S1D_bDpT10_ENKUlT_T0_E_clISt17integral_constantIbLb1EES1P_IbLb0EEEEDaS1L_S1M_EUlS1L_E_NS1_11comp_targetILNS1_3genE8ELNS1_11target_archE1030ELNS1_3gpuE2ELNS1_3repE0EEENS1_30default_config_static_selectorELNS0_4arch9wavefront6targetE0EEEvSZ_: ; @_ZN7rocprim17ROCPRIM_400000_NS6detail17trampoline_kernelINS0_13select_configILj256ELj13ELNS0_17block_load_methodE3ELS4_3ELS4_3ELNS0_20block_scan_algorithmE0ELj4294967295EEENS1_25partition_config_selectorILNS1_17partition_subalgoE3EjNS0_10empty_typeEbEEZZNS1_14partition_implILS8_3ELb0ES6_jNS0_17counting_iteratorIjlEEPS9_SE_NS0_5tupleIJPjSE_EEENSF_IJSE_SE_EEES9_SG_JZNS1_25segmented_radix_sort_implINS0_14default_configELb0EPK12hip_bfloat16PSL_PKlPlN2at6native12_GLOBAL__N_18offset_tEEE10hipError_tPvRmT1_PNSt15iterator_traitsISZ_E10value_typeET2_T3_PNS10_IS15_E10value_typeET4_jRbjT5_S1B_jjP12ihipStream_tbEUljE_EEESW_SX_SY_S15_S19_S1B_T6_T7_T9_mT8_S1D_bDpT10_ENKUlT_T0_E_clISt17integral_constantIbLb1EES1P_IbLb0EEEEDaS1L_S1M_EUlS1L_E_NS1_11comp_targetILNS1_3genE8ELNS1_11target_archE1030ELNS1_3gpuE2ELNS1_3repE0EEENS1_30default_config_static_selectorELNS0_4arch9wavefront6targetE0EEEvSZ_
; %bb.0:
	.section	.rodata,"a",@progbits
	.p2align	6, 0x0
	.amdhsa_kernel _ZN7rocprim17ROCPRIM_400000_NS6detail17trampoline_kernelINS0_13select_configILj256ELj13ELNS0_17block_load_methodE3ELS4_3ELS4_3ELNS0_20block_scan_algorithmE0ELj4294967295EEENS1_25partition_config_selectorILNS1_17partition_subalgoE3EjNS0_10empty_typeEbEEZZNS1_14partition_implILS8_3ELb0ES6_jNS0_17counting_iteratorIjlEEPS9_SE_NS0_5tupleIJPjSE_EEENSF_IJSE_SE_EEES9_SG_JZNS1_25segmented_radix_sort_implINS0_14default_configELb0EPK12hip_bfloat16PSL_PKlPlN2at6native12_GLOBAL__N_18offset_tEEE10hipError_tPvRmT1_PNSt15iterator_traitsISZ_E10value_typeET2_T3_PNS10_IS15_E10value_typeET4_jRbjT5_S1B_jjP12ihipStream_tbEUljE_EEESW_SX_SY_S15_S19_S1B_T6_T7_T9_mT8_S1D_bDpT10_ENKUlT_T0_E_clISt17integral_constantIbLb1EES1P_IbLb0EEEEDaS1L_S1M_EUlS1L_E_NS1_11comp_targetILNS1_3genE8ELNS1_11target_archE1030ELNS1_3gpuE2ELNS1_3repE0EEENS1_30default_config_static_selectorELNS0_4arch9wavefront6targetE0EEEvSZ_
		.amdhsa_group_segment_fixed_size 0
		.amdhsa_private_segment_fixed_size 0
		.amdhsa_kernarg_size 144
		.amdhsa_user_sgpr_count 15
		.amdhsa_user_sgpr_dispatch_ptr 0
		.amdhsa_user_sgpr_queue_ptr 0
		.amdhsa_user_sgpr_kernarg_segment_ptr 1
		.amdhsa_user_sgpr_dispatch_id 0
		.amdhsa_user_sgpr_private_segment_size 0
		.amdhsa_wavefront_size32 1
		.amdhsa_uses_dynamic_stack 0
		.amdhsa_enable_private_segment 0
		.amdhsa_system_sgpr_workgroup_id_x 1
		.amdhsa_system_sgpr_workgroup_id_y 0
		.amdhsa_system_sgpr_workgroup_id_z 0
		.amdhsa_system_sgpr_workgroup_info 0
		.amdhsa_system_vgpr_workitem_id 0
		.amdhsa_next_free_vgpr 1
		.amdhsa_next_free_sgpr 1
		.amdhsa_reserve_vcc 0
		.amdhsa_float_round_mode_32 0
		.amdhsa_float_round_mode_16_64 0
		.amdhsa_float_denorm_mode_32 3
		.amdhsa_float_denorm_mode_16_64 3
		.amdhsa_dx10_clamp 1
		.amdhsa_ieee_mode 1
		.amdhsa_fp16_overflow 0
		.amdhsa_workgroup_processor_mode 1
		.amdhsa_memory_ordered 1
		.amdhsa_forward_progress 0
		.amdhsa_shared_vgpr_count 0
		.amdhsa_exception_fp_ieee_invalid_op 0
		.amdhsa_exception_fp_denorm_src 0
		.amdhsa_exception_fp_ieee_div_zero 0
		.amdhsa_exception_fp_ieee_overflow 0
		.amdhsa_exception_fp_ieee_underflow 0
		.amdhsa_exception_fp_ieee_inexact 0
		.amdhsa_exception_int_div_zero 0
	.end_amdhsa_kernel
	.section	.text._ZN7rocprim17ROCPRIM_400000_NS6detail17trampoline_kernelINS0_13select_configILj256ELj13ELNS0_17block_load_methodE3ELS4_3ELS4_3ELNS0_20block_scan_algorithmE0ELj4294967295EEENS1_25partition_config_selectorILNS1_17partition_subalgoE3EjNS0_10empty_typeEbEEZZNS1_14partition_implILS8_3ELb0ES6_jNS0_17counting_iteratorIjlEEPS9_SE_NS0_5tupleIJPjSE_EEENSF_IJSE_SE_EEES9_SG_JZNS1_25segmented_radix_sort_implINS0_14default_configELb0EPK12hip_bfloat16PSL_PKlPlN2at6native12_GLOBAL__N_18offset_tEEE10hipError_tPvRmT1_PNSt15iterator_traitsISZ_E10value_typeET2_T3_PNS10_IS15_E10value_typeET4_jRbjT5_S1B_jjP12ihipStream_tbEUljE_EEESW_SX_SY_S15_S19_S1B_T6_T7_T9_mT8_S1D_bDpT10_ENKUlT_T0_E_clISt17integral_constantIbLb1EES1P_IbLb0EEEEDaS1L_S1M_EUlS1L_E_NS1_11comp_targetILNS1_3genE8ELNS1_11target_archE1030ELNS1_3gpuE2ELNS1_3repE0EEENS1_30default_config_static_selectorELNS0_4arch9wavefront6targetE0EEEvSZ_,"axG",@progbits,_ZN7rocprim17ROCPRIM_400000_NS6detail17trampoline_kernelINS0_13select_configILj256ELj13ELNS0_17block_load_methodE3ELS4_3ELS4_3ELNS0_20block_scan_algorithmE0ELj4294967295EEENS1_25partition_config_selectorILNS1_17partition_subalgoE3EjNS0_10empty_typeEbEEZZNS1_14partition_implILS8_3ELb0ES6_jNS0_17counting_iteratorIjlEEPS9_SE_NS0_5tupleIJPjSE_EEENSF_IJSE_SE_EEES9_SG_JZNS1_25segmented_radix_sort_implINS0_14default_configELb0EPK12hip_bfloat16PSL_PKlPlN2at6native12_GLOBAL__N_18offset_tEEE10hipError_tPvRmT1_PNSt15iterator_traitsISZ_E10value_typeET2_T3_PNS10_IS15_E10value_typeET4_jRbjT5_S1B_jjP12ihipStream_tbEUljE_EEESW_SX_SY_S15_S19_S1B_T6_T7_T9_mT8_S1D_bDpT10_ENKUlT_T0_E_clISt17integral_constantIbLb1EES1P_IbLb0EEEEDaS1L_S1M_EUlS1L_E_NS1_11comp_targetILNS1_3genE8ELNS1_11target_archE1030ELNS1_3gpuE2ELNS1_3repE0EEENS1_30default_config_static_selectorELNS0_4arch9wavefront6targetE0EEEvSZ_,comdat
.Lfunc_end2040:
	.size	_ZN7rocprim17ROCPRIM_400000_NS6detail17trampoline_kernelINS0_13select_configILj256ELj13ELNS0_17block_load_methodE3ELS4_3ELS4_3ELNS0_20block_scan_algorithmE0ELj4294967295EEENS1_25partition_config_selectorILNS1_17partition_subalgoE3EjNS0_10empty_typeEbEEZZNS1_14partition_implILS8_3ELb0ES6_jNS0_17counting_iteratorIjlEEPS9_SE_NS0_5tupleIJPjSE_EEENSF_IJSE_SE_EEES9_SG_JZNS1_25segmented_radix_sort_implINS0_14default_configELb0EPK12hip_bfloat16PSL_PKlPlN2at6native12_GLOBAL__N_18offset_tEEE10hipError_tPvRmT1_PNSt15iterator_traitsISZ_E10value_typeET2_T3_PNS10_IS15_E10value_typeET4_jRbjT5_S1B_jjP12ihipStream_tbEUljE_EEESW_SX_SY_S15_S19_S1B_T6_T7_T9_mT8_S1D_bDpT10_ENKUlT_T0_E_clISt17integral_constantIbLb1EES1P_IbLb0EEEEDaS1L_S1M_EUlS1L_E_NS1_11comp_targetILNS1_3genE8ELNS1_11target_archE1030ELNS1_3gpuE2ELNS1_3repE0EEENS1_30default_config_static_selectorELNS0_4arch9wavefront6targetE0EEEvSZ_, .Lfunc_end2040-_ZN7rocprim17ROCPRIM_400000_NS6detail17trampoline_kernelINS0_13select_configILj256ELj13ELNS0_17block_load_methodE3ELS4_3ELS4_3ELNS0_20block_scan_algorithmE0ELj4294967295EEENS1_25partition_config_selectorILNS1_17partition_subalgoE3EjNS0_10empty_typeEbEEZZNS1_14partition_implILS8_3ELb0ES6_jNS0_17counting_iteratorIjlEEPS9_SE_NS0_5tupleIJPjSE_EEENSF_IJSE_SE_EEES9_SG_JZNS1_25segmented_radix_sort_implINS0_14default_configELb0EPK12hip_bfloat16PSL_PKlPlN2at6native12_GLOBAL__N_18offset_tEEE10hipError_tPvRmT1_PNSt15iterator_traitsISZ_E10value_typeET2_T3_PNS10_IS15_E10value_typeET4_jRbjT5_S1B_jjP12ihipStream_tbEUljE_EEESW_SX_SY_S15_S19_S1B_T6_T7_T9_mT8_S1D_bDpT10_ENKUlT_T0_E_clISt17integral_constantIbLb1EES1P_IbLb0EEEEDaS1L_S1M_EUlS1L_E_NS1_11comp_targetILNS1_3genE8ELNS1_11target_archE1030ELNS1_3gpuE2ELNS1_3repE0EEENS1_30default_config_static_selectorELNS0_4arch9wavefront6targetE0EEEvSZ_
                                        ; -- End function
	.section	.AMDGPU.csdata,"",@progbits
; Kernel info:
; codeLenInByte = 0
; NumSgprs: 0
; NumVgprs: 0
; ScratchSize: 0
; MemoryBound: 0
; FloatMode: 240
; IeeeMode: 1
; LDSByteSize: 0 bytes/workgroup (compile time only)
; SGPRBlocks: 0
; VGPRBlocks: 0
; NumSGPRsForWavesPerEU: 1
; NumVGPRsForWavesPerEU: 1
; Occupancy: 16
; WaveLimiterHint : 0
; COMPUTE_PGM_RSRC2:SCRATCH_EN: 0
; COMPUTE_PGM_RSRC2:USER_SGPR: 15
; COMPUTE_PGM_RSRC2:TRAP_HANDLER: 0
; COMPUTE_PGM_RSRC2:TGID_X_EN: 1
; COMPUTE_PGM_RSRC2:TGID_Y_EN: 0
; COMPUTE_PGM_RSRC2:TGID_Z_EN: 0
; COMPUTE_PGM_RSRC2:TIDIG_COMP_CNT: 0
	.section	.text._ZN7rocprim17ROCPRIM_400000_NS6detail17trampoline_kernelINS0_13select_configILj256ELj13ELNS0_17block_load_methodE3ELS4_3ELS4_3ELNS0_20block_scan_algorithmE0ELj4294967295EEENS1_25partition_config_selectorILNS1_17partition_subalgoE3EjNS0_10empty_typeEbEEZZNS1_14partition_implILS8_3ELb0ES6_jNS0_17counting_iteratorIjlEEPS9_SE_NS0_5tupleIJPjSE_EEENSF_IJSE_SE_EEES9_SG_JZNS1_25segmented_radix_sort_implINS0_14default_configELb0EPK12hip_bfloat16PSL_PKlPlN2at6native12_GLOBAL__N_18offset_tEEE10hipError_tPvRmT1_PNSt15iterator_traitsISZ_E10value_typeET2_T3_PNS10_IS15_E10value_typeET4_jRbjT5_S1B_jjP12ihipStream_tbEUljE_EEESW_SX_SY_S15_S19_S1B_T6_T7_T9_mT8_S1D_bDpT10_ENKUlT_T0_E_clISt17integral_constantIbLb0EES1P_IbLb1EEEEDaS1L_S1M_EUlS1L_E_NS1_11comp_targetILNS1_3genE0ELNS1_11target_archE4294967295ELNS1_3gpuE0ELNS1_3repE0EEENS1_30default_config_static_selectorELNS0_4arch9wavefront6targetE0EEEvSZ_,"axG",@progbits,_ZN7rocprim17ROCPRIM_400000_NS6detail17trampoline_kernelINS0_13select_configILj256ELj13ELNS0_17block_load_methodE3ELS4_3ELS4_3ELNS0_20block_scan_algorithmE0ELj4294967295EEENS1_25partition_config_selectorILNS1_17partition_subalgoE3EjNS0_10empty_typeEbEEZZNS1_14partition_implILS8_3ELb0ES6_jNS0_17counting_iteratorIjlEEPS9_SE_NS0_5tupleIJPjSE_EEENSF_IJSE_SE_EEES9_SG_JZNS1_25segmented_radix_sort_implINS0_14default_configELb0EPK12hip_bfloat16PSL_PKlPlN2at6native12_GLOBAL__N_18offset_tEEE10hipError_tPvRmT1_PNSt15iterator_traitsISZ_E10value_typeET2_T3_PNS10_IS15_E10value_typeET4_jRbjT5_S1B_jjP12ihipStream_tbEUljE_EEESW_SX_SY_S15_S19_S1B_T6_T7_T9_mT8_S1D_bDpT10_ENKUlT_T0_E_clISt17integral_constantIbLb0EES1P_IbLb1EEEEDaS1L_S1M_EUlS1L_E_NS1_11comp_targetILNS1_3genE0ELNS1_11target_archE4294967295ELNS1_3gpuE0ELNS1_3repE0EEENS1_30default_config_static_selectorELNS0_4arch9wavefront6targetE0EEEvSZ_,comdat
	.globl	_ZN7rocprim17ROCPRIM_400000_NS6detail17trampoline_kernelINS0_13select_configILj256ELj13ELNS0_17block_load_methodE3ELS4_3ELS4_3ELNS0_20block_scan_algorithmE0ELj4294967295EEENS1_25partition_config_selectorILNS1_17partition_subalgoE3EjNS0_10empty_typeEbEEZZNS1_14partition_implILS8_3ELb0ES6_jNS0_17counting_iteratorIjlEEPS9_SE_NS0_5tupleIJPjSE_EEENSF_IJSE_SE_EEES9_SG_JZNS1_25segmented_radix_sort_implINS0_14default_configELb0EPK12hip_bfloat16PSL_PKlPlN2at6native12_GLOBAL__N_18offset_tEEE10hipError_tPvRmT1_PNSt15iterator_traitsISZ_E10value_typeET2_T3_PNS10_IS15_E10value_typeET4_jRbjT5_S1B_jjP12ihipStream_tbEUljE_EEESW_SX_SY_S15_S19_S1B_T6_T7_T9_mT8_S1D_bDpT10_ENKUlT_T0_E_clISt17integral_constantIbLb0EES1P_IbLb1EEEEDaS1L_S1M_EUlS1L_E_NS1_11comp_targetILNS1_3genE0ELNS1_11target_archE4294967295ELNS1_3gpuE0ELNS1_3repE0EEENS1_30default_config_static_selectorELNS0_4arch9wavefront6targetE0EEEvSZ_ ; -- Begin function _ZN7rocprim17ROCPRIM_400000_NS6detail17trampoline_kernelINS0_13select_configILj256ELj13ELNS0_17block_load_methodE3ELS4_3ELS4_3ELNS0_20block_scan_algorithmE0ELj4294967295EEENS1_25partition_config_selectorILNS1_17partition_subalgoE3EjNS0_10empty_typeEbEEZZNS1_14partition_implILS8_3ELb0ES6_jNS0_17counting_iteratorIjlEEPS9_SE_NS0_5tupleIJPjSE_EEENSF_IJSE_SE_EEES9_SG_JZNS1_25segmented_radix_sort_implINS0_14default_configELb0EPK12hip_bfloat16PSL_PKlPlN2at6native12_GLOBAL__N_18offset_tEEE10hipError_tPvRmT1_PNSt15iterator_traitsISZ_E10value_typeET2_T3_PNS10_IS15_E10value_typeET4_jRbjT5_S1B_jjP12ihipStream_tbEUljE_EEESW_SX_SY_S15_S19_S1B_T6_T7_T9_mT8_S1D_bDpT10_ENKUlT_T0_E_clISt17integral_constantIbLb0EES1P_IbLb1EEEEDaS1L_S1M_EUlS1L_E_NS1_11comp_targetILNS1_3genE0ELNS1_11target_archE4294967295ELNS1_3gpuE0ELNS1_3repE0EEENS1_30default_config_static_selectorELNS0_4arch9wavefront6targetE0EEEvSZ_
	.p2align	8
	.type	_ZN7rocprim17ROCPRIM_400000_NS6detail17trampoline_kernelINS0_13select_configILj256ELj13ELNS0_17block_load_methodE3ELS4_3ELS4_3ELNS0_20block_scan_algorithmE0ELj4294967295EEENS1_25partition_config_selectorILNS1_17partition_subalgoE3EjNS0_10empty_typeEbEEZZNS1_14partition_implILS8_3ELb0ES6_jNS0_17counting_iteratorIjlEEPS9_SE_NS0_5tupleIJPjSE_EEENSF_IJSE_SE_EEES9_SG_JZNS1_25segmented_radix_sort_implINS0_14default_configELb0EPK12hip_bfloat16PSL_PKlPlN2at6native12_GLOBAL__N_18offset_tEEE10hipError_tPvRmT1_PNSt15iterator_traitsISZ_E10value_typeET2_T3_PNS10_IS15_E10value_typeET4_jRbjT5_S1B_jjP12ihipStream_tbEUljE_EEESW_SX_SY_S15_S19_S1B_T6_T7_T9_mT8_S1D_bDpT10_ENKUlT_T0_E_clISt17integral_constantIbLb0EES1P_IbLb1EEEEDaS1L_S1M_EUlS1L_E_NS1_11comp_targetILNS1_3genE0ELNS1_11target_archE4294967295ELNS1_3gpuE0ELNS1_3repE0EEENS1_30default_config_static_selectorELNS0_4arch9wavefront6targetE0EEEvSZ_,@function
_ZN7rocprim17ROCPRIM_400000_NS6detail17trampoline_kernelINS0_13select_configILj256ELj13ELNS0_17block_load_methodE3ELS4_3ELS4_3ELNS0_20block_scan_algorithmE0ELj4294967295EEENS1_25partition_config_selectorILNS1_17partition_subalgoE3EjNS0_10empty_typeEbEEZZNS1_14partition_implILS8_3ELb0ES6_jNS0_17counting_iteratorIjlEEPS9_SE_NS0_5tupleIJPjSE_EEENSF_IJSE_SE_EEES9_SG_JZNS1_25segmented_radix_sort_implINS0_14default_configELb0EPK12hip_bfloat16PSL_PKlPlN2at6native12_GLOBAL__N_18offset_tEEE10hipError_tPvRmT1_PNSt15iterator_traitsISZ_E10value_typeET2_T3_PNS10_IS15_E10value_typeET4_jRbjT5_S1B_jjP12ihipStream_tbEUljE_EEESW_SX_SY_S15_S19_S1B_T6_T7_T9_mT8_S1D_bDpT10_ENKUlT_T0_E_clISt17integral_constantIbLb0EES1P_IbLb1EEEEDaS1L_S1M_EUlS1L_E_NS1_11comp_targetILNS1_3genE0ELNS1_11target_archE4294967295ELNS1_3gpuE0ELNS1_3repE0EEENS1_30default_config_static_selectorELNS0_4arch9wavefront6targetE0EEEvSZ_: ; @_ZN7rocprim17ROCPRIM_400000_NS6detail17trampoline_kernelINS0_13select_configILj256ELj13ELNS0_17block_load_methodE3ELS4_3ELS4_3ELNS0_20block_scan_algorithmE0ELj4294967295EEENS1_25partition_config_selectorILNS1_17partition_subalgoE3EjNS0_10empty_typeEbEEZZNS1_14partition_implILS8_3ELb0ES6_jNS0_17counting_iteratorIjlEEPS9_SE_NS0_5tupleIJPjSE_EEENSF_IJSE_SE_EEES9_SG_JZNS1_25segmented_radix_sort_implINS0_14default_configELb0EPK12hip_bfloat16PSL_PKlPlN2at6native12_GLOBAL__N_18offset_tEEE10hipError_tPvRmT1_PNSt15iterator_traitsISZ_E10value_typeET2_T3_PNS10_IS15_E10value_typeET4_jRbjT5_S1B_jjP12ihipStream_tbEUljE_EEESW_SX_SY_S15_S19_S1B_T6_T7_T9_mT8_S1D_bDpT10_ENKUlT_T0_E_clISt17integral_constantIbLb0EES1P_IbLb1EEEEDaS1L_S1M_EUlS1L_E_NS1_11comp_targetILNS1_3genE0ELNS1_11target_archE4294967295ELNS1_3gpuE0ELNS1_3repE0EEENS1_30default_config_static_selectorELNS0_4arch9wavefront6targetE0EEEvSZ_
; %bb.0:
	.section	.rodata,"a",@progbits
	.p2align	6, 0x0
	.amdhsa_kernel _ZN7rocprim17ROCPRIM_400000_NS6detail17trampoline_kernelINS0_13select_configILj256ELj13ELNS0_17block_load_methodE3ELS4_3ELS4_3ELNS0_20block_scan_algorithmE0ELj4294967295EEENS1_25partition_config_selectorILNS1_17partition_subalgoE3EjNS0_10empty_typeEbEEZZNS1_14partition_implILS8_3ELb0ES6_jNS0_17counting_iteratorIjlEEPS9_SE_NS0_5tupleIJPjSE_EEENSF_IJSE_SE_EEES9_SG_JZNS1_25segmented_radix_sort_implINS0_14default_configELb0EPK12hip_bfloat16PSL_PKlPlN2at6native12_GLOBAL__N_18offset_tEEE10hipError_tPvRmT1_PNSt15iterator_traitsISZ_E10value_typeET2_T3_PNS10_IS15_E10value_typeET4_jRbjT5_S1B_jjP12ihipStream_tbEUljE_EEESW_SX_SY_S15_S19_S1B_T6_T7_T9_mT8_S1D_bDpT10_ENKUlT_T0_E_clISt17integral_constantIbLb0EES1P_IbLb1EEEEDaS1L_S1M_EUlS1L_E_NS1_11comp_targetILNS1_3genE0ELNS1_11target_archE4294967295ELNS1_3gpuE0ELNS1_3repE0EEENS1_30default_config_static_selectorELNS0_4arch9wavefront6targetE0EEEvSZ_
		.amdhsa_group_segment_fixed_size 0
		.amdhsa_private_segment_fixed_size 0
		.amdhsa_kernarg_size 152
		.amdhsa_user_sgpr_count 15
		.amdhsa_user_sgpr_dispatch_ptr 0
		.amdhsa_user_sgpr_queue_ptr 0
		.amdhsa_user_sgpr_kernarg_segment_ptr 1
		.amdhsa_user_sgpr_dispatch_id 0
		.amdhsa_user_sgpr_private_segment_size 0
		.amdhsa_wavefront_size32 1
		.amdhsa_uses_dynamic_stack 0
		.amdhsa_enable_private_segment 0
		.amdhsa_system_sgpr_workgroup_id_x 1
		.amdhsa_system_sgpr_workgroup_id_y 0
		.amdhsa_system_sgpr_workgroup_id_z 0
		.amdhsa_system_sgpr_workgroup_info 0
		.amdhsa_system_vgpr_workitem_id 0
		.amdhsa_next_free_vgpr 1
		.amdhsa_next_free_sgpr 1
		.amdhsa_reserve_vcc 0
		.amdhsa_float_round_mode_32 0
		.amdhsa_float_round_mode_16_64 0
		.amdhsa_float_denorm_mode_32 3
		.amdhsa_float_denorm_mode_16_64 3
		.amdhsa_dx10_clamp 1
		.amdhsa_ieee_mode 1
		.amdhsa_fp16_overflow 0
		.amdhsa_workgroup_processor_mode 1
		.amdhsa_memory_ordered 1
		.amdhsa_forward_progress 0
		.amdhsa_shared_vgpr_count 0
		.amdhsa_exception_fp_ieee_invalid_op 0
		.amdhsa_exception_fp_denorm_src 0
		.amdhsa_exception_fp_ieee_div_zero 0
		.amdhsa_exception_fp_ieee_overflow 0
		.amdhsa_exception_fp_ieee_underflow 0
		.amdhsa_exception_fp_ieee_inexact 0
		.amdhsa_exception_int_div_zero 0
	.end_amdhsa_kernel
	.section	.text._ZN7rocprim17ROCPRIM_400000_NS6detail17trampoline_kernelINS0_13select_configILj256ELj13ELNS0_17block_load_methodE3ELS4_3ELS4_3ELNS0_20block_scan_algorithmE0ELj4294967295EEENS1_25partition_config_selectorILNS1_17partition_subalgoE3EjNS0_10empty_typeEbEEZZNS1_14partition_implILS8_3ELb0ES6_jNS0_17counting_iteratorIjlEEPS9_SE_NS0_5tupleIJPjSE_EEENSF_IJSE_SE_EEES9_SG_JZNS1_25segmented_radix_sort_implINS0_14default_configELb0EPK12hip_bfloat16PSL_PKlPlN2at6native12_GLOBAL__N_18offset_tEEE10hipError_tPvRmT1_PNSt15iterator_traitsISZ_E10value_typeET2_T3_PNS10_IS15_E10value_typeET4_jRbjT5_S1B_jjP12ihipStream_tbEUljE_EEESW_SX_SY_S15_S19_S1B_T6_T7_T9_mT8_S1D_bDpT10_ENKUlT_T0_E_clISt17integral_constantIbLb0EES1P_IbLb1EEEEDaS1L_S1M_EUlS1L_E_NS1_11comp_targetILNS1_3genE0ELNS1_11target_archE4294967295ELNS1_3gpuE0ELNS1_3repE0EEENS1_30default_config_static_selectorELNS0_4arch9wavefront6targetE0EEEvSZ_,"axG",@progbits,_ZN7rocprim17ROCPRIM_400000_NS6detail17trampoline_kernelINS0_13select_configILj256ELj13ELNS0_17block_load_methodE3ELS4_3ELS4_3ELNS0_20block_scan_algorithmE0ELj4294967295EEENS1_25partition_config_selectorILNS1_17partition_subalgoE3EjNS0_10empty_typeEbEEZZNS1_14partition_implILS8_3ELb0ES6_jNS0_17counting_iteratorIjlEEPS9_SE_NS0_5tupleIJPjSE_EEENSF_IJSE_SE_EEES9_SG_JZNS1_25segmented_radix_sort_implINS0_14default_configELb0EPK12hip_bfloat16PSL_PKlPlN2at6native12_GLOBAL__N_18offset_tEEE10hipError_tPvRmT1_PNSt15iterator_traitsISZ_E10value_typeET2_T3_PNS10_IS15_E10value_typeET4_jRbjT5_S1B_jjP12ihipStream_tbEUljE_EEESW_SX_SY_S15_S19_S1B_T6_T7_T9_mT8_S1D_bDpT10_ENKUlT_T0_E_clISt17integral_constantIbLb0EES1P_IbLb1EEEEDaS1L_S1M_EUlS1L_E_NS1_11comp_targetILNS1_3genE0ELNS1_11target_archE4294967295ELNS1_3gpuE0ELNS1_3repE0EEENS1_30default_config_static_selectorELNS0_4arch9wavefront6targetE0EEEvSZ_,comdat
.Lfunc_end2041:
	.size	_ZN7rocprim17ROCPRIM_400000_NS6detail17trampoline_kernelINS0_13select_configILj256ELj13ELNS0_17block_load_methodE3ELS4_3ELS4_3ELNS0_20block_scan_algorithmE0ELj4294967295EEENS1_25partition_config_selectorILNS1_17partition_subalgoE3EjNS0_10empty_typeEbEEZZNS1_14partition_implILS8_3ELb0ES6_jNS0_17counting_iteratorIjlEEPS9_SE_NS0_5tupleIJPjSE_EEENSF_IJSE_SE_EEES9_SG_JZNS1_25segmented_radix_sort_implINS0_14default_configELb0EPK12hip_bfloat16PSL_PKlPlN2at6native12_GLOBAL__N_18offset_tEEE10hipError_tPvRmT1_PNSt15iterator_traitsISZ_E10value_typeET2_T3_PNS10_IS15_E10value_typeET4_jRbjT5_S1B_jjP12ihipStream_tbEUljE_EEESW_SX_SY_S15_S19_S1B_T6_T7_T9_mT8_S1D_bDpT10_ENKUlT_T0_E_clISt17integral_constantIbLb0EES1P_IbLb1EEEEDaS1L_S1M_EUlS1L_E_NS1_11comp_targetILNS1_3genE0ELNS1_11target_archE4294967295ELNS1_3gpuE0ELNS1_3repE0EEENS1_30default_config_static_selectorELNS0_4arch9wavefront6targetE0EEEvSZ_, .Lfunc_end2041-_ZN7rocprim17ROCPRIM_400000_NS6detail17trampoline_kernelINS0_13select_configILj256ELj13ELNS0_17block_load_methodE3ELS4_3ELS4_3ELNS0_20block_scan_algorithmE0ELj4294967295EEENS1_25partition_config_selectorILNS1_17partition_subalgoE3EjNS0_10empty_typeEbEEZZNS1_14partition_implILS8_3ELb0ES6_jNS0_17counting_iteratorIjlEEPS9_SE_NS0_5tupleIJPjSE_EEENSF_IJSE_SE_EEES9_SG_JZNS1_25segmented_radix_sort_implINS0_14default_configELb0EPK12hip_bfloat16PSL_PKlPlN2at6native12_GLOBAL__N_18offset_tEEE10hipError_tPvRmT1_PNSt15iterator_traitsISZ_E10value_typeET2_T3_PNS10_IS15_E10value_typeET4_jRbjT5_S1B_jjP12ihipStream_tbEUljE_EEESW_SX_SY_S15_S19_S1B_T6_T7_T9_mT8_S1D_bDpT10_ENKUlT_T0_E_clISt17integral_constantIbLb0EES1P_IbLb1EEEEDaS1L_S1M_EUlS1L_E_NS1_11comp_targetILNS1_3genE0ELNS1_11target_archE4294967295ELNS1_3gpuE0ELNS1_3repE0EEENS1_30default_config_static_selectorELNS0_4arch9wavefront6targetE0EEEvSZ_
                                        ; -- End function
	.section	.AMDGPU.csdata,"",@progbits
; Kernel info:
; codeLenInByte = 0
; NumSgprs: 0
; NumVgprs: 0
; ScratchSize: 0
; MemoryBound: 0
; FloatMode: 240
; IeeeMode: 1
; LDSByteSize: 0 bytes/workgroup (compile time only)
; SGPRBlocks: 0
; VGPRBlocks: 0
; NumSGPRsForWavesPerEU: 1
; NumVGPRsForWavesPerEU: 1
; Occupancy: 16
; WaveLimiterHint : 0
; COMPUTE_PGM_RSRC2:SCRATCH_EN: 0
; COMPUTE_PGM_RSRC2:USER_SGPR: 15
; COMPUTE_PGM_RSRC2:TRAP_HANDLER: 0
; COMPUTE_PGM_RSRC2:TGID_X_EN: 1
; COMPUTE_PGM_RSRC2:TGID_Y_EN: 0
; COMPUTE_PGM_RSRC2:TGID_Z_EN: 0
; COMPUTE_PGM_RSRC2:TIDIG_COMP_CNT: 0
	.section	.text._ZN7rocprim17ROCPRIM_400000_NS6detail17trampoline_kernelINS0_13select_configILj256ELj13ELNS0_17block_load_methodE3ELS4_3ELS4_3ELNS0_20block_scan_algorithmE0ELj4294967295EEENS1_25partition_config_selectorILNS1_17partition_subalgoE3EjNS0_10empty_typeEbEEZZNS1_14partition_implILS8_3ELb0ES6_jNS0_17counting_iteratorIjlEEPS9_SE_NS0_5tupleIJPjSE_EEENSF_IJSE_SE_EEES9_SG_JZNS1_25segmented_radix_sort_implINS0_14default_configELb0EPK12hip_bfloat16PSL_PKlPlN2at6native12_GLOBAL__N_18offset_tEEE10hipError_tPvRmT1_PNSt15iterator_traitsISZ_E10value_typeET2_T3_PNS10_IS15_E10value_typeET4_jRbjT5_S1B_jjP12ihipStream_tbEUljE_EEESW_SX_SY_S15_S19_S1B_T6_T7_T9_mT8_S1D_bDpT10_ENKUlT_T0_E_clISt17integral_constantIbLb0EES1P_IbLb1EEEEDaS1L_S1M_EUlS1L_E_NS1_11comp_targetILNS1_3genE5ELNS1_11target_archE942ELNS1_3gpuE9ELNS1_3repE0EEENS1_30default_config_static_selectorELNS0_4arch9wavefront6targetE0EEEvSZ_,"axG",@progbits,_ZN7rocprim17ROCPRIM_400000_NS6detail17trampoline_kernelINS0_13select_configILj256ELj13ELNS0_17block_load_methodE3ELS4_3ELS4_3ELNS0_20block_scan_algorithmE0ELj4294967295EEENS1_25partition_config_selectorILNS1_17partition_subalgoE3EjNS0_10empty_typeEbEEZZNS1_14partition_implILS8_3ELb0ES6_jNS0_17counting_iteratorIjlEEPS9_SE_NS0_5tupleIJPjSE_EEENSF_IJSE_SE_EEES9_SG_JZNS1_25segmented_radix_sort_implINS0_14default_configELb0EPK12hip_bfloat16PSL_PKlPlN2at6native12_GLOBAL__N_18offset_tEEE10hipError_tPvRmT1_PNSt15iterator_traitsISZ_E10value_typeET2_T3_PNS10_IS15_E10value_typeET4_jRbjT5_S1B_jjP12ihipStream_tbEUljE_EEESW_SX_SY_S15_S19_S1B_T6_T7_T9_mT8_S1D_bDpT10_ENKUlT_T0_E_clISt17integral_constantIbLb0EES1P_IbLb1EEEEDaS1L_S1M_EUlS1L_E_NS1_11comp_targetILNS1_3genE5ELNS1_11target_archE942ELNS1_3gpuE9ELNS1_3repE0EEENS1_30default_config_static_selectorELNS0_4arch9wavefront6targetE0EEEvSZ_,comdat
	.globl	_ZN7rocprim17ROCPRIM_400000_NS6detail17trampoline_kernelINS0_13select_configILj256ELj13ELNS0_17block_load_methodE3ELS4_3ELS4_3ELNS0_20block_scan_algorithmE0ELj4294967295EEENS1_25partition_config_selectorILNS1_17partition_subalgoE3EjNS0_10empty_typeEbEEZZNS1_14partition_implILS8_3ELb0ES6_jNS0_17counting_iteratorIjlEEPS9_SE_NS0_5tupleIJPjSE_EEENSF_IJSE_SE_EEES9_SG_JZNS1_25segmented_radix_sort_implINS0_14default_configELb0EPK12hip_bfloat16PSL_PKlPlN2at6native12_GLOBAL__N_18offset_tEEE10hipError_tPvRmT1_PNSt15iterator_traitsISZ_E10value_typeET2_T3_PNS10_IS15_E10value_typeET4_jRbjT5_S1B_jjP12ihipStream_tbEUljE_EEESW_SX_SY_S15_S19_S1B_T6_T7_T9_mT8_S1D_bDpT10_ENKUlT_T0_E_clISt17integral_constantIbLb0EES1P_IbLb1EEEEDaS1L_S1M_EUlS1L_E_NS1_11comp_targetILNS1_3genE5ELNS1_11target_archE942ELNS1_3gpuE9ELNS1_3repE0EEENS1_30default_config_static_selectorELNS0_4arch9wavefront6targetE0EEEvSZ_ ; -- Begin function _ZN7rocprim17ROCPRIM_400000_NS6detail17trampoline_kernelINS0_13select_configILj256ELj13ELNS0_17block_load_methodE3ELS4_3ELS4_3ELNS0_20block_scan_algorithmE0ELj4294967295EEENS1_25partition_config_selectorILNS1_17partition_subalgoE3EjNS0_10empty_typeEbEEZZNS1_14partition_implILS8_3ELb0ES6_jNS0_17counting_iteratorIjlEEPS9_SE_NS0_5tupleIJPjSE_EEENSF_IJSE_SE_EEES9_SG_JZNS1_25segmented_radix_sort_implINS0_14default_configELb0EPK12hip_bfloat16PSL_PKlPlN2at6native12_GLOBAL__N_18offset_tEEE10hipError_tPvRmT1_PNSt15iterator_traitsISZ_E10value_typeET2_T3_PNS10_IS15_E10value_typeET4_jRbjT5_S1B_jjP12ihipStream_tbEUljE_EEESW_SX_SY_S15_S19_S1B_T6_T7_T9_mT8_S1D_bDpT10_ENKUlT_T0_E_clISt17integral_constantIbLb0EES1P_IbLb1EEEEDaS1L_S1M_EUlS1L_E_NS1_11comp_targetILNS1_3genE5ELNS1_11target_archE942ELNS1_3gpuE9ELNS1_3repE0EEENS1_30default_config_static_selectorELNS0_4arch9wavefront6targetE0EEEvSZ_
	.p2align	8
	.type	_ZN7rocprim17ROCPRIM_400000_NS6detail17trampoline_kernelINS0_13select_configILj256ELj13ELNS0_17block_load_methodE3ELS4_3ELS4_3ELNS0_20block_scan_algorithmE0ELj4294967295EEENS1_25partition_config_selectorILNS1_17partition_subalgoE3EjNS0_10empty_typeEbEEZZNS1_14partition_implILS8_3ELb0ES6_jNS0_17counting_iteratorIjlEEPS9_SE_NS0_5tupleIJPjSE_EEENSF_IJSE_SE_EEES9_SG_JZNS1_25segmented_radix_sort_implINS0_14default_configELb0EPK12hip_bfloat16PSL_PKlPlN2at6native12_GLOBAL__N_18offset_tEEE10hipError_tPvRmT1_PNSt15iterator_traitsISZ_E10value_typeET2_T3_PNS10_IS15_E10value_typeET4_jRbjT5_S1B_jjP12ihipStream_tbEUljE_EEESW_SX_SY_S15_S19_S1B_T6_T7_T9_mT8_S1D_bDpT10_ENKUlT_T0_E_clISt17integral_constantIbLb0EES1P_IbLb1EEEEDaS1L_S1M_EUlS1L_E_NS1_11comp_targetILNS1_3genE5ELNS1_11target_archE942ELNS1_3gpuE9ELNS1_3repE0EEENS1_30default_config_static_selectorELNS0_4arch9wavefront6targetE0EEEvSZ_,@function
_ZN7rocprim17ROCPRIM_400000_NS6detail17trampoline_kernelINS0_13select_configILj256ELj13ELNS0_17block_load_methodE3ELS4_3ELS4_3ELNS0_20block_scan_algorithmE0ELj4294967295EEENS1_25partition_config_selectorILNS1_17partition_subalgoE3EjNS0_10empty_typeEbEEZZNS1_14partition_implILS8_3ELb0ES6_jNS0_17counting_iteratorIjlEEPS9_SE_NS0_5tupleIJPjSE_EEENSF_IJSE_SE_EEES9_SG_JZNS1_25segmented_radix_sort_implINS0_14default_configELb0EPK12hip_bfloat16PSL_PKlPlN2at6native12_GLOBAL__N_18offset_tEEE10hipError_tPvRmT1_PNSt15iterator_traitsISZ_E10value_typeET2_T3_PNS10_IS15_E10value_typeET4_jRbjT5_S1B_jjP12ihipStream_tbEUljE_EEESW_SX_SY_S15_S19_S1B_T6_T7_T9_mT8_S1D_bDpT10_ENKUlT_T0_E_clISt17integral_constantIbLb0EES1P_IbLb1EEEEDaS1L_S1M_EUlS1L_E_NS1_11comp_targetILNS1_3genE5ELNS1_11target_archE942ELNS1_3gpuE9ELNS1_3repE0EEENS1_30default_config_static_selectorELNS0_4arch9wavefront6targetE0EEEvSZ_: ; @_ZN7rocprim17ROCPRIM_400000_NS6detail17trampoline_kernelINS0_13select_configILj256ELj13ELNS0_17block_load_methodE3ELS4_3ELS4_3ELNS0_20block_scan_algorithmE0ELj4294967295EEENS1_25partition_config_selectorILNS1_17partition_subalgoE3EjNS0_10empty_typeEbEEZZNS1_14partition_implILS8_3ELb0ES6_jNS0_17counting_iteratorIjlEEPS9_SE_NS0_5tupleIJPjSE_EEENSF_IJSE_SE_EEES9_SG_JZNS1_25segmented_radix_sort_implINS0_14default_configELb0EPK12hip_bfloat16PSL_PKlPlN2at6native12_GLOBAL__N_18offset_tEEE10hipError_tPvRmT1_PNSt15iterator_traitsISZ_E10value_typeET2_T3_PNS10_IS15_E10value_typeET4_jRbjT5_S1B_jjP12ihipStream_tbEUljE_EEESW_SX_SY_S15_S19_S1B_T6_T7_T9_mT8_S1D_bDpT10_ENKUlT_T0_E_clISt17integral_constantIbLb0EES1P_IbLb1EEEEDaS1L_S1M_EUlS1L_E_NS1_11comp_targetILNS1_3genE5ELNS1_11target_archE942ELNS1_3gpuE9ELNS1_3repE0EEENS1_30default_config_static_selectorELNS0_4arch9wavefront6targetE0EEEvSZ_
; %bb.0:
	.section	.rodata,"a",@progbits
	.p2align	6, 0x0
	.amdhsa_kernel _ZN7rocprim17ROCPRIM_400000_NS6detail17trampoline_kernelINS0_13select_configILj256ELj13ELNS0_17block_load_methodE3ELS4_3ELS4_3ELNS0_20block_scan_algorithmE0ELj4294967295EEENS1_25partition_config_selectorILNS1_17partition_subalgoE3EjNS0_10empty_typeEbEEZZNS1_14partition_implILS8_3ELb0ES6_jNS0_17counting_iteratorIjlEEPS9_SE_NS0_5tupleIJPjSE_EEENSF_IJSE_SE_EEES9_SG_JZNS1_25segmented_radix_sort_implINS0_14default_configELb0EPK12hip_bfloat16PSL_PKlPlN2at6native12_GLOBAL__N_18offset_tEEE10hipError_tPvRmT1_PNSt15iterator_traitsISZ_E10value_typeET2_T3_PNS10_IS15_E10value_typeET4_jRbjT5_S1B_jjP12ihipStream_tbEUljE_EEESW_SX_SY_S15_S19_S1B_T6_T7_T9_mT8_S1D_bDpT10_ENKUlT_T0_E_clISt17integral_constantIbLb0EES1P_IbLb1EEEEDaS1L_S1M_EUlS1L_E_NS1_11comp_targetILNS1_3genE5ELNS1_11target_archE942ELNS1_3gpuE9ELNS1_3repE0EEENS1_30default_config_static_selectorELNS0_4arch9wavefront6targetE0EEEvSZ_
		.amdhsa_group_segment_fixed_size 0
		.amdhsa_private_segment_fixed_size 0
		.amdhsa_kernarg_size 152
		.amdhsa_user_sgpr_count 15
		.amdhsa_user_sgpr_dispatch_ptr 0
		.amdhsa_user_sgpr_queue_ptr 0
		.amdhsa_user_sgpr_kernarg_segment_ptr 1
		.amdhsa_user_sgpr_dispatch_id 0
		.amdhsa_user_sgpr_private_segment_size 0
		.amdhsa_wavefront_size32 1
		.amdhsa_uses_dynamic_stack 0
		.amdhsa_enable_private_segment 0
		.amdhsa_system_sgpr_workgroup_id_x 1
		.amdhsa_system_sgpr_workgroup_id_y 0
		.amdhsa_system_sgpr_workgroup_id_z 0
		.amdhsa_system_sgpr_workgroup_info 0
		.amdhsa_system_vgpr_workitem_id 0
		.amdhsa_next_free_vgpr 1
		.amdhsa_next_free_sgpr 1
		.amdhsa_reserve_vcc 0
		.amdhsa_float_round_mode_32 0
		.amdhsa_float_round_mode_16_64 0
		.amdhsa_float_denorm_mode_32 3
		.amdhsa_float_denorm_mode_16_64 3
		.amdhsa_dx10_clamp 1
		.amdhsa_ieee_mode 1
		.amdhsa_fp16_overflow 0
		.amdhsa_workgroup_processor_mode 1
		.amdhsa_memory_ordered 1
		.amdhsa_forward_progress 0
		.amdhsa_shared_vgpr_count 0
		.amdhsa_exception_fp_ieee_invalid_op 0
		.amdhsa_exception_fp_denorm_src 0
		.amdhsa_exception_fp_ieee_div_zero 0
		.amdhsa_exception_fp_ieee_overflow 0
		.amdhsa_exception_fp_ieee_underflow 0
		.amdhsa_exception_fp_ieee_inexact 0
		.amdhsa_exception_int_div_zero 0
	.end_amdhsa_kernel
	.section	.text._ZN7rocprim17ROCPRIM_400000_NS6detail17trampoline_kernelINS0_13select_configILj256ELj13ELNS0_17block_load_methodE3ELS4_3ELS4_3ELNS0_20block_scan_algorithmE0ELj4294967295EEENS1_25partition_config_selectorILNS1_17partition_subalgoE3EjNS0_10empty_typeEbEEZZNS1_14partition_implILS8_3ELb0ES6_jNS0_17counting_iteratorIjlEEPS9_SE_NS0_5tupleIJPjSE_EEENSF_IJSE_SE_EEES9_SG_JZNS1_25segmented_radix_sort_implINS0_14default_configELb0EPK12hip_bfloat16PSL_PKlPlN2at6native12_GLOBAL__N_18offset_tEEE10hipError_tPvRmT1_PNSt15iterator_traitsISZ_E10value_typeET2_T3_PNS10_IS15_E10value_typeET4_jRbjT5_S1B_jjP12ihipStream_tbEUljE_EEESW_SX_SY_S15_S19_S1B_T6_T7_T9_mT8_S1D_bDpT10_ENKUlT_T0_E_clISt17integral_constantIbLb0EES1P_IbLb1EEEEDaS1L_S1M_EUlS1L_E_NS1_11comp_targetILNS1_3genE5ELNS1_11target_archE942ELNS1_3gpuE9ELNS1_3repE0EEENS1_30default_config_static_selectorELNS0_4arch9wavefront6targetE0EEEvSZ_,"axG",@progbits,_ZN7rocprim17ROCPRIM_400000_NS6detail17trampoline_kernelINS0_13select_configILj256ELj13ELNS0_17block_load_methodE3ELS4_3ELS4_3ELNS0_20block_scan_algorithmE0ELj4294967295EEENS1_25partition_config_selectorILNS1_17partition_subalgoE3EjNS0_10empty_typeEbEEZZNS1_14partition_implILS8_3ELb0ES6_jNS0_17counting_iteratorIjlEEPS9_SE_NS0_5tupleIJPjSE_EEENSF_IJSE_SE_EEES9_SG_JZNS1_25segmented_radix_sort_implINS0_14default_configELb0EPK12hip_bfloat16PSL_PKlPlN2at6native12_GLOBAL__N_18offset_tEEE10hipError_tPvRmT1_PNSt15iterator_traitsISZ_E10value_typeET2_T3_PNS10_IS15_E10value_typeET4_jRbjT5_S1B_jjP12ihipStream_tbEUljE_EEESW_SX_SY_S15_S19_S1B_T6_T7_T9_mT8_S1D_bDpT10_ENKUlT_T0_E_clISt17integral_constantIbLb0EES1P_IbLb1EEEEDaS1L_S1M_EUlS1L_E_NS1_11comp_targetILNS1_3genE5ELNS1_11target_archE942ELNS1_3gpuE9ELNS1_3repE0EEENS1_30default_config_static_selectorELNS0_4arch9wavefront6targetE0EEEvSZ_,comdat
.Lfunc_end2042:
	.size	_ZN7rocprim17ROCPRIM_400000_NS6detail17trampoline_kernelINS0_13select_configILj256ELj13ELNS0_17block_load_methodE3ELS4_3ELS4_3ELNS0_20block_scan_algorithmE0ELj4294967295EEENS1_25partition_config_selectorILNS1_17partition_subalgoE3EjNS0_10empty_typeEbEEZZNS1_14partition_implILS8_3ELb0ES6_jNS0_17counting_iteratorIjlEEPS9_SE_NS0_5tupleIJPjSE_EEENSF_IJSE_SE_EEES9_SG_JZNS1_25segmented_radix_sort_implINS0_14default_configELb0EPK12hip_bfloat16PSL_PKlPlN2at6native12_GLOBAL__N_18offset_tEEE10hipError_tPvRmT1_PNSt15iterator_traitsISZ_E10value_typeET2_T3_PNS10_IS15_E10value_typeET4_jRbjT5_S1B_jjP12ihipStream_tbEUljE_EEESW_SX_SY_S15_S19_S1B_T6_T7_T9_mT8_S1D_bDpT10_ENKUlT_T0_E_clISt17integral_constantIbLb0EES1P_IbLb1EEEEDaS1L_S1M_EUlS1L_E_NS1_11comp_targetILNS1_3genE5ELNS1_11target_archE942ELNS1_3gpuE9ELNS1_3repE0EEENS1_30default_config_static_selectorELNS0_4arch9wavefront6targetE0EEEvSZ_, .Lfunc_end2042-_ZN7rocprim17ROCPRIM_400000_NS6detail17trampoline_kernelINS0_13select_configILj256ELj13ELNS0_17block_load_methodE3ELS4_3ELS4_3ELNS0_20block_scan_algorithmE0ELj4294967295EEENS1_25partition_config_selectorILNS1_17partition_subalgoE3EjNS0_10empty_typeEbEEZZNS1_14partition_implILS8_3ELb0ES6_jNS0_17counting_iteratorIjlEEPS9_SE_NS0_5tupleIJPjSE_EEENSF_IJSE_SE_EEES9_SG_JZNS1_25segmented_radix_sort_implINS0_14default_configELb0EPK12hip_bfloat16PSL_PKlPlN2at6native12_GLOBAL__N_18offset_tEEE10hipError_tPvRmT1_PNSt15iterator_traitsISZ_E10value_typeET2_T3_PNS10_IS15_E10value_typeET4_jRbjT5_S1B_jjP12ihipStream_tbEUljE_EEESW_SX_SY_S15_S19_S1B_T6_T7_T9_mT8_S1D_bDpT10_ENKUlT_T0_E_clISt17integral_constantIbLb0EES1P_IbLb1EEEEDaS1L_S1M_EUlS1L_E_NS1_11comp_targetILNS1_3genE5ELNS1_11target_archE942ELNS1_3gpuE9ELNS1_3repE0EEENS1_30default_config_static_selectorELNS0_4arch9wavefront6targetE0EEEvSZ_
                                        ; -- End function
	.section	.AMDGPU.csdata,"",@progbits
; Kernel info:
; codeLenInByte = 0
; NumSgprs: 0
; NumVgprs: 0
; ScratchSize: 0
; MemoryBound: 0
; FloatMode: 240
; IeeeMode: 1
; LDSByteSize: 0 bytes/workgroup (compile time only)
; SGPRBlocks: 0
; VGPRBlocks: 0
; NumSGPRsForWavesPerEU: 1
; NumVGPRsForWavesPerEU: 1
; Occupancy: 16
; WaveLimiterHint : 0
; COMPUTE_PGM_RSRC2:SCRATCH_EN: 0
; COMPUTE_PGM_RSRC2:USER_SGPR: 15
; COMPUTE_PGM_RSRC2:TRAP_HANDLER: 0
; COMPUTE_PGM_RSRC2:TGID_X_EN: 1
; COMPUTE_PGM_RSRC2:TGID_Y_EN: 0
; COMPUTE_PGM_RSRC2:TGID_Z_EN: 0
; COMPUTE_PGM_RSRC2:TIDIG_COMP_CNT: 0
	.section	.text._ZN7rocprim17ROCPRIM_400000_NS6detail17trampoline_kernelINS0_13select_configILj256ELj13ELNS0_17block_load_methodE3ELS4_3ELS4_3ELNS0_20block_scan_algorithmE0ELj4294967295EEENS1_25partition_config_selectorILNS1_17partition_subalgoE3EjNS0_10empty_typeEbEEZZNS1_14partition_implILS8_3ELb0ES6_jNS0_17counting_iteratorIjlEEPS9_SE_NS0_5tupleIJPjSE_EEENSF_IJSE_SE_EEES9_SG_JZNS1_25segmented_radix_sort_implINS0_14default_configELb0EPK12hip_bfloat16PSL_PKlPlN2at6native12_GLOBAL__N_18offset_tEEE10hipError_tPvRmT1_PNSt15iterator_traitsISZ_E10value_typeET2_T3_PNS10_IS15_E10value_typeET4_jRbjT5_S1B_jjP12ihipStream_tbEUljE_EEESW_SX_SY_S15_S19_S1B_T6_T7_T9_mT8_S1D_bDpT10_ENKUlT_T0_E_clISt17integral_constantIbLb0EES1P_IbLb1EEEEDaS1L_S1M_EUlS1L_E_NS1_11comp_targetILNS1_3genE4ELNS1_11target_archE910ELNS1_3gpuE8ELNS1_3repE0EEENS1_30default_config_static_selectorELNS0_4arch9wavefront6targetE0EEEvSZ_,"axG",@progbits,_ZN7rocprim17ROCPRIM_400000_NS6detail17trampoline_kernelINS0_13select_configILj256ELj13ELNS0_17block_load_methodE3ELS4_3ELS4_3ELNS0_20block_scan_algorithmE0ELj4294967295EEENS1_25partition_config_selectorILNS1_17partition_subalgoE3EjNS0_10empty_typeEbEEZZNS1_14partition_implILS8_3ELb0ES6_jNS0_17counting_iteratorIjlEEPS9_SE_NS0_5tupleIJPjSE_EEENSF_IJSE_SE_EEES9_SG_JZNS1_25segmented_radix_sort_implINS0_14default_configELb0EPK12hip_bfloat16PSL_PKlPlN2at6native12_GLOBAL__N_18offset_tEEE10hipError_tPvRmT1_PNSt15iterator_traitsISZ_E10value_typeET2_T3_PNS10_IS15_E10value_typeET4_jRbjT5_S1B_jjP12ihipStream_tbEUljE_EEESW_SX_SY_S15_S19_S1B_T6_T7_T9_mT8_S1D_bDpT10_ENKUlT_T0_E_clISt17integral_constantIbLb0EES1P_IbLb1EEEEDaS1L_S1M_EUlS1L_E_NS1_11comp_targetILNS1_3genE4ELNS1_11target_archE910ELNS1_3gpuE8ELNS1_3repE0EEENS1_30default_config_static_selectorELNS0_4arch9wavefront6targetE0EEEvSZ_,comdat
	.globl	_ZN7rocprim17ROCPRIM_400000_NS6detail17trampoline_kernelINS0_13select_configILj256ELj13ELNS0_17block_load_methodE3ELS4_3ELS4_3ELNS0_20block_scan_algorithmE0ELj4294967295EEENS1_25partition_config_selectorILNS1_17partition_subalgoE3EjNS0_10empty_typeEbEEZZNS1_14partition_implILS8_3ELb0ES6_jNS0_17counting_iteratorIjlEEPS9_SE_NS0_5tupleIJPjSE_EEENSF_IJSE_SE_EEES9_SG_JZNS1_25segmented_radix_sort_implINS0_14default_configELb0EPK12hip_bfloat16PSL_PKlPlN2at6native12_GLOBAL__N_18offset_tEEE10hipError_tPvRmT1_PNSt15iterator_traitsISZ_E10value_typeET2_T3_PNS10_IS15_E10value_typeET4_jRbjT5_S1B_jjP12ihipStream_tbEUljE_EEESW_SX_SY_S15_S19_S1B_T6_T7_T9_mT8_S1D_bDpT10_ENKUlT_T0_E_clISt17integral_constantIbLb0EES1P_IbLb1EEEEDaS1L_S1M_EUlS1L_E_NS1_11comp_targetILNS1_3genE4ELNS1_11target_archE910ELNS1_3gpuE8ELNS1_3repE0EEENS1_30default_config_static_selectorELNS0_4arch9wavefront6targetE0EEEvSZ_ ; -- Begin function _ZN7rocprim17ROCPRIM_400000_NS6detail17trampoline_kernelINS0_13select_configILj256ELj13ELNS0_17block_load_methodE3ELS4_3ELS4_3ELNS0_20block_scan_algorithmE0ELj4294967295EEENS1_25partition_config_selectorILNS1_17partition_subalgoE3EjNS0_10empty_typeEbEEZZNS1_14partition_implILS8_3ELb0ES6_jNS0_17counting_iteratorIjlEEPS9_SE_NS0_5tupleIJPjSE_EEENSF_IJSE_SE_EEES9_SG_JZNS1_25segmented_radix_sort_implINS0_14default_configELb0EPK12hip_bfloat16PSL_PKlPlN2at6native12_GLOBAL__N_18offset_tEEE10hipError_tPvRmT1_PNSt15iterator_traitsISZ_E10value_typeET2_T3_PNS10_IS15_E10value_typeET4_jRbjT5_S1B_jjP12ihipStream_tbEUljE_EEESW_SX_SY_S15_S19_S1B_T6_T7_T9_mT8_S1D_bDpT10_ENKUlT_T0_E_clISt17integral_constantIbLb0EES1P_IbLb1EEEEDaS1L_S1M_EUlS1L_E_NS1_11comp_targetILNS1_3genE4ELNS1_11target_archE910ELNS1_3gpuE8ELNS1_3repE0EEENS1_30default_config_static_selectorELNS0_4arch9wavefront6targetE0EEEvSZ_
	.p2align	8
	.type	_ZN7rocprim17ROCPRIM_400000_NS6detail17trampoline_kernelINS0_13select_configILj256ELj13ELNS0_17block_load_methodE3ELS4_3ELS4_3ELNS0_20block_scan_algorithmE0ELj4294967295EEENS1_25partition_config_selectorILNS1_17partition_subalgoE3EjNS0_10empty_typeEbEEZZNS1_14partition_implILS8_3ELb0ES6_jNS0_17counting_iteratorIjlEEPS9_SE_NS0_5tupleIJPjSE_EEENSF_IJSE_SE_EEES9_SG_JZNS1_25segmented_radix_sort_implINS0_14default_configELb0EPK12hip_bfloat16PSL_PKlPlN2at6native12_GLOBAL__N_18offset_tEEE10hipError_tPvRmT1_PNSt15iterator_traitsISZ_E10value_typeET2_T3_PNS10_IS15_E10value_typeET4_jRbjT5_S1B_jjP12ihipStream_tbEUljE_EEESW_SX_SY_S15_S19_S1B_T6_T7_T9_mT8_S1D_bDpT10_ENKUlT_T0_E_clISt17integral_constantIbLb0EES1P_IbLb1EEEEDaS1L_S1M_EUlS1L_E_NS1_11comp_targetILNS1_3genE4ELNS1_11target_archE910ELNS1_3gpuE8ELNS1_3repE0EEENS1_30default_config_static_selectorELNS0_4arch9wavefront6targetE0EEEvSZ_,@function
_ZN7rocprim17ROCPRIM_400000_NS6detail17trampoline_kernelINS0_13select_configILj256ELj13ELNS0_17block_load_methodE3ELS4_3ELS4_3ELNS0_20block_scan_algorithmE0ELj4294967295EEENS1_25partition_config_selectorILNS1_17partition_subalgoE3EjNS0_10empty_typeEbEEZZNS1_14partition_implILS8_3ELb0ES6_jNS0_17counting_iteratorIjlEEPS9_SE_NS0_5tupleIJPjSE_EEENSF_IJSE_SE_EEES9_SG_JZNS1_25segmented_radix_sort_implINS0_14default_configELb0EPK12hip_bfloat16PSL_PKlPlN2at6native12_GLOBAL__N_18offset_tEEE10hipError_tPvRmT1_PNSt15iterator_traitsISZ_E10value_typeET2_T3_PNS10_IS15_E10value_typeET4_jRbjT5_S1B_jjP12ihipStream_tbEUljE_EEESW_SX_SY_S15_S19_S1B_T6_T7_T9_mT8_S1D_bDpT10_ENKUlT_T0_E_clISt17integral_constantIbLb0EES1P_IbLb1EEEEDaS1L_S1M_EUlS1L_E_NS1_11comp_targetILNS1_3genE4ELNS1_11target_archE910ELNS1_3gpuE8ELNS1_3repE0EEENS1_30default_config_static_selectorELNS0_4arch9wavefront6targetE0EEEvSZ_: ; @_ZN7rocprim17ROCPRIM_400000_NS6detail17trampoline_kernelINS0_13select_configILj256ELj13ELNS0_17block_load_methodE3ELS4_3ELS4_3ELNS0_20block_scan_algorithmE0ELj4294967295EEENS1_25partition_config_selectorILNS1_17partition_subalgoE3EjNS0_10empty_typeEbEEZZNS1_14partition_implILS8_3ELb0ES6_jNS0_17counting_iteratorIjlEEPS9_SE_NS0_5tupleIJPjSE_EEENSF_IJSE_SE_EEES9_SG_JZNS1_25segmented_radix_sort_implINS0_14default_configELb0EPK12hip_bfloat16PSL_PKlPlN2at6native12_GLOBAL__N_18offset_tEEE10hipError_tPvRmT1_PNSt15iterator_traitsISZ_E10value_typeET2_T3_PNS10_IS15_E10value_typeET4_jRbjT5_S1B_jjP12ihipStream_tbEUljE_EEESW_SX_SY_S15_S19_S1B_T6_T7_T9_mT8_S1D_bDpT10_ENKUlT_T0_E_clISt17integral_constantIbLb0EES1P_IbLb1EEEEDaS1L_S1M_EUlS1L_E_NS1_11comp_targetILNS1_3genE4ELNS1_11target_archE910ELNS1_3gpuE8ELNS1_3repE0EEENS1_30default_config_static_selectorELNS0_4arch9wavefront6targetE0EEEvSZ_
; %bb.0:
	.section	.rodata,"a",@progbits
	.p2align	6, 0x0
	.amdhsa_kernel _ZN7rocprim17ROCPRIM_400000_NS6detail17trampoline_kernelINS0_13select_configILj256ELj13ELNS0_17block_load_methodE3ELS4_3ELS4_3ELNS0_20block_scan_algorithmE0ELj4294967295EEENS1_25partition_config_selectorILNS1_17partition_subalgoE3EjNS0_10empty_typeEbEEZZNS1_14partition_implILS8_3ELb0ES6_jNS0_17counting_iteratorIjlEEPS9_SE_NS0_5tupleIJPjSE_EEENSF_IJSE_SE_EEES9_SG_JZNS1_25segmented_radix_sort_implINS0_14default_configELb0EPK12hip_bfloat16PSL_PKlPlN2at6native12_GLOBAL__N_18offset_tEEE10hipError_tPvRmT1_PNSt15iterator_traitsISZ_E10value_typeET2_T3_PNS10_IS15_E10value_typeET4_jRbjT5_S1B_jjP12ihipStream_tbEUljE_EEESW_SX_SY_S15_S19_S1B_T6_T7_T9_mT8_S1D_bDpT10_ENKUlT_T0_E_clISt17integral_constantIbLb0EES1P_IbLb1EEEEDaS1L_S1M_EUlS1L_E_NS1_11comp_targetILNS1_3genE4ELNS1_11target_archE910ELNS1_3gpuE8ELNS1_3repE0EEENS1_30default_config_static_selectorELNS0_4arch9wavefront6targetE0EEEvSZ_
		.amdhsa_group_segment_fixed_size 0
		.amdhsa_private_segment_fixed_size 0
		.amdhsa_kernarg_size 152
		.amdhsa_user_sgpr_count 15
		.amdhsa_user_sgpr_dispatch_ptr 0
		.amdhsa_user_sgpr_queue_ptr 0
		.amdhsa_user_sgpr_kernarg_segment_ptr 1
		.amdhsa_user_sgpr_dispatch_id 0
		.amdhsa_user_sgpr_private_segment_size 0
		.amdhsa_wavefront_size32 1
		.amdhsa_uses_dynamic_stack 0
		.amdhsa_enable_private_segment 0
		.amdhsa_system_sgpr_workgroup_id_x 1
		.amdhsa_system_sgpr_workgroup_id_y 0
		.amdhsa_system_sgpr_workgroup_id_z 0
		.amdhsa_system_sgpr_workgroup_info 0
		.amdhsa_system_vgpr_workitem_id 0
		.amdhsa_next_free_vgpr 1
		.amdhsa_next_free_sgpr 1
		.amdhsa_reserve_vcc 0
		.amdhsa_float_round_mode_32 0
		.amdhsa_float_round_mode_16_64 0
		.amdhsa_float_denorm_mode_32 3
		.amdhsa_float_denorm_mode_16_64 3
		.amdhsa_dx10_clamp 1
		.amdhsa_ieee_mode 1
		.amdhsa_fp16_overflow 0
		.amdhsa_workgroup_processor_mode 1
		.amdhsa_memory_ordered 1
		.amdhsa_forward_progress 0
		.amdhsa_shared_vgpr_count 0
		.amdhsa_exception_fp_ieee_invalid_op 0
		.amdhsa_exception_fp_denorm_src 0
		.amdhsa_exception_fp_ieee_div_zero 0
		.amdhsa_exception_fp_ieee_overflow 0
		.amdhsa_exception_fp_ieee_underflow 0
		.amdhsa_exception_fp_ieee_inexact 0
		.amdhsa_exception_int_div_zero 0
	.end_amdhsa_kernel
	.section	.text._ZN7rocprim17ROCPRIM_400000_NS6detail17trampoline_kernelINS0_13select_configILj256ELj13ELNS0_17block_load_methodE3ELS4_3ELS4_3ELNS0_20block_scan_algorithmE0ELj4294967295EEENS1_25partition_config_selectorILNS1_17partition_subalgoE3EjNS0_10empty_typeEbEEZZNS1_14partition_implILS8_3ELb0ES6_jNS0_17counting_iteratorIjlEEPS9_SE_NS0_5tupleIJPjSE_EEENSF_IJSE_SE_EEES9_SG_JZNS1_25segmented_radix_sort_implINS0_14default_configELb0EPK12hip_bfloat16PSL_PKlPlN2at6native12_GLOBAL__N_18offset_tEEE10hipError_tPvRmT1_PNSt15iterator_traitsISZ_E10value_typeET2_T3_PNS10_IS15_E10value_typeET4_jRbjT5_S1B_jjP12ihipStream_tbEUljE_EEESW_SX_SY_S15_S19_S1B_T6_T7_T9_mT8_S1D_bDpT10_ENKUlT_T0_E_clISt17integral_constantIbLb0EES1P_IbLb1EEEEDaS1L_S1M_EUlS1L_E_NS1_11comp_targetILNS1_3genE4ELNS1_11target_archE910ELNS1_3gpuE8ELNS1_3repE0EEENS1_30default_config_static_selectorELNS0_4arch9wavefront6targetE0EEEvSZ_,"axG",@progbits,_ZN7rocprim17ROCPRIM_400000_NS6detail17trampoline_kernelINS0_13select_configILj256ELj13ELNS0_17block_load_methodE3ELS4_3ELS4_3ELNS0_20block_scan_algorithmE0ELj4294967295EEENS1_25partition_config_selectorILNS1_17partition_subalgoE3EjNS0_10empty_typeEbEEZZNS1_14partition_implILS8_3ELb0ES6_jNS0_17counting_iteratorIjlEEPS9_SE_NS0_5tupleIJPjSE_EEENSF_IJSE_SE_EEES9_SG_JZNS1_25segmented_radix_sort_implINS0_14default_configELb0EPK12hip_bfloat16PSL_PKlPlN2at6native12_GLOBAL__N_18offset_tEEE10hipError_tPvRmT1_PNSt15iterator_traitsISZ_E10value_typeET2_T3_PNS10_IS15_E10value_typeET4_jRbjT5_S1B_jjP12ihipStream_tbEUljE_EEESW_SX_SY_S15_S19_S1B_T6_T7_T9_mT8_S1D_bDpT10_ENKUlT_T0_E_clISt17integral_constantIbLb0EES1P_IbLb1EEEEDaS1L_S1M_EUlS1L_E_NS1_11comp_targetILNS1_3genE4ELNS1_11target_archE910ELNS1_3gpuE8ELNS1_3repE0EEENS1_30default_config_static_selectorELNS0_4arch9wavefront6targetE0EEEvSZ_,comdat
.Lfunc_end2043:
	.size	_ZN7rocprim17ROCPRIM_400000_NS6detail17trampoline_kernelINS0_13select_configILj256ELj13ELNS0_17block_load_methodE3ELS4_3ELS4_3ELNS0_20block_scan_algorithmE0ELj4294967295EEENS1_25partition_config_selectorILNS1_17partition_subalgoE3EjNS0_10empty_typeEbEEZZNS1_14partition_implILS8_3ELb0ES6_jNS0_17counting_iteratorIjlEEPS9_SE_NS0_5tupleIJPjSE_EEENSF_IJSE_SE_EEES9_SG_JZNS1_25segmented_radix_sort_implINS0_14default_configELb0EPK12hip_bfloat16PSL_PKlPlN2at6native12_GLOBAL__N_18offset_tEEE10hipError_tPvRmT1_PNSt15iterator_traitsISZ_E10value_typeET2_T3_PNS10_IS15_E10value_typeET4_jRbjT5_S1B_jjP12ihipStream_tbEUljE_EEESW_SX_SY_S15_S19_S1B_T6_T7_T9_mT8_S1D_bDpT10_ENKUlT_T0_E_clISt17integral_constantIbLb0EES1P_IbLb1EEEEDaS1L_S1M_EUlS1L_E_NS1_11comp_targetILNS1_3genE4ELNS1_11target_archE910ELNS1_3gpuE8ELNS1_3repE0EEENS1_30default_config_static_selectorELNS0_4arch9wavefront6targetE0EEEvSZ_, .Lfunc_end2043-_ZN7rocprim17ROCPRIM_400000_NS6detail17trampoline_kernelINS0_13select_configILj256ELj13ELNS0_17block_load_methodE3ELS4_3ELS4_3ELNS0_20block_scan_algorithmE0ELj4294967295EEENS1_25partition_config_selectorILNS1_17partition_subalgoE3EjNS0_10empty_typeEbEEZZNS1_14partition_implILS8_3ELb0ES6_jNS0_17counting_iteratorIjlEEPS9_SE_NS0_5tupleIJPjSE_EEENSF_IJSE_SE_EEES9_SG_JZNS1_25segmented_radix_sort_implINS0_14default_configELb0EPK12hip_bfloat16PSL_PKlPlN2at6native12_GLOBAL__N_18offset_tEEE10hipError_tPvRmT1_PNSt15iterator_traitsISZ_E10value_typeET2_T3_PNS10_IS15_E10value_typeET4_jRbjT5_S1B_jjP12ihipStream_tbEUljE_EEESW_SX_SY_S15_S19_S1B_T6_T7_T9_mT8_S1D_bDpT10_ENKUlT_T0_E_clISt17integral_constantIbLb0EES1P_IbLb1EEEEDaS1L_S1M_EUlS1L_E_NS1_11comp_targetILNS1_3genE4ELNS1_11target_archE910ELNS1_3gpuE8ELNS1_3repE0EEENS1_30default_config_static_selectorELNS0_4arch9wavefront6targetE0EEEvSZ_
                                        ; -- End function
	.section	.AMDGPU.csdata,"",@progbits
; Kernel info:
; codeLenInByte = 0
; NumSgprs: 0
; NumVgprs: 0
; ScratchSize: 0
; MemoryBound: 0
; FloatMode: 240
; IeeeMode: 1
; LDSByteSize: 0 bytes/workgroup (compile time only)
; SGPRBlocks: 0
; VGPRBlocks: 0
; NumSGPRsForWavesPerEU: 1
; NumVGPRsForWavesPerEU: 1
; Occupancy: 16
; WaveLimiterHint : 0
; COMPUTE_PGM_RSRC2:SCRATCH_EN: 0
; COMPUTE_PGM_RSRC2:USER_SGPR: 15
; COMPUTE_PGM_RSRC2:TRAP_HANDLER: 0
; COMPUTE_PGM_RSRC2:TGID_X_EN: 1
; COMPUTE_PGM_RSRC2:TGID_Y_EN: 0
; COMPUTE_PGM_RSRC2:TGID_Z_EN: 0
; COMPUTE_PGM_RSRC2:TIDIG_COMP_CNT: 0
	.section	.text._ZN7rocprim17ROCPRIM_400000_NS6detail17trampoline_kernelINS0_13select_configILj256ELj13ELNS0_17block_load_methodE3ELS4_3ELS4_3ELNS0_20block_scan_algorithmE0ELj4294967295EEENS1_25partition_config_selectorILNS1_17partition_subalgoE3EjNS0_10empty_typeEbEEZZNS1_14partition_implILS8_3ELb0ES6_jNS0_17counting_iteratorIjlEEPS9_SE_NS0_5tupleIJPjSE_EEENSF_IJSE_SE_EEES9_SG_JZNS1_25segmented_radix_sort_implINS0_14default_configELb0EPK12hip_bfloat16PSL_PKlPlN2at6native12_GLOBAL__N_18offset_tEEE10hipError_tPvRmT1_PNSt15iterator_traitsISZ_E10value_typeET2_T3_PNS10_IS15_E10value_typeET4_jRbjT5_S1B_jjP12ihipStream_tbEUljE_EEESW_SX_SY_S15_S19_S1B_T6_T7_T9_mT8_S1D_bDpT10_ENKUlT_T0_E_clISt17integral_constantIbLb0EES1P_IbLb1EEEEDaS1L_S1M_EUlS1L_E_NS1_11comp_targetILNS1_3genE3ELNS1_11target_archE908ELNS1_3gpuE7ELNS1_3repE0EEENS1_30default_config_static_selectorELNS0_4arch9wavefront6targetE0EEEvSZ_,"axG",@progbits,_ZN7rocprim17ROCPRIM_400000_NS6detail17trampoline_kernelINS0_13select_configILj256ELj13ELNS0_17block_load_methodE3ELS4_3ELS4_3ELNS0_20block_scan_algorithmE0ELj4294967295EEENS1_25partition_config_selectorILNS1_17partition_subalgoE3EjNS0_10empty_typeEbEEZZNS1_14partition_implILS8_3ELb0ES6_jNS0_17counting_iteratorIjlEEPS9_SE_NS0_5tupleIJPjSE_EEENSF_IJSE_SE_EEES9_SG_JZNS1_25segmented_radix_sort_implINS0_14default_configELb0EPK12hip_bfloat16PSL_PKlPlN2at6native12_GLOBAL__N_18offset_tEEE10hipError_tPvRmT1_PNSt15iterator_traitsISZ_E10value_typeET2_T3_PNS10_IS15_E10value_typeET4_jRbjT5_S1B_jjP12ihipStream_tbEUljE_EEESW_SX_SY_S15_S19_S1B_T6_T7_T9_mT8_S1D_bDpT10_ENKUlT_T0_E_clISt17integral_constantIbLb0EES1P_IbLb1EEEEDaS1L_S1M_EUlS1L_E_NS1_11comp_targetILNS1_3genE3ELNS1_11target_archE908ELNS1_3gpuE7ELNS1_3repE0EEENS1_30default_config_static_selectorELNS0_4arch9wavefront6targetE0EEEvSZ_,comdat
	.globl	_ZN7rocprim17ROCPRIM_400000_NS6detail17trampoline_kernelINS0_13select_configILj256ELj13ELNS0_17block_load_methodE3ELS4_3ELS4_3ELNS0_20block_scan_algorithmE0ELj4294967295EEENS1_25partition_config_selectorILNS1_17partition_subalgoE3EjNS0_10empty_typeEbEEZZNS1_14partition_implILS8_3ELb0ES6_jNS0_17counting_iteratorIjlEEPS9_SE_NS0_5tupleIJPjSE_EEENSF_IJSE_SE_EEES9_SG_JZNS1_25segmented_radix_sort_implINS0_14default_configELb0EPK12hip_bfloat16PSL_PKlPlN2at6native12_GLOBAL__N_18offset_tEEE10hipError_tPvRmT1_PNSt15iterator_traitsISZ_E10value_typeET2_T3_PNS10_IS15_E10value_typeET4_jRbjT5_S1B_jjP12ihipStream_tbEUljE_EEESW_SX_SY_S15_S19_S1B_T6_T7_T9_mT8_S1D_bDpT10_ENKUlT_T0_E_clISt17integral_constantIbLb0EES1P_IbLb1EEEEDaS1L_S1M_EUlS1L_E_NS1_11comp_targetILNS1_3genE3ELNS1_11target_archE908ELNS1_3gpuE7ELNS1_3repE0EEENS1_30default_config_static_selectorELNS0_4arch9wavefront6targetE0EEEvSZ_ ; -- Begin function _ZN7rocprim17ROCPRIM_400000_NS6detail17trampoline_kernelINS0_13select_configILj256ELj13ELNS0_17block_load_methodE3ELS4_3ELS4_3ELNS0_20block_scan_algorithmE0ELj4294967295EEENS1_25partition_config_selectorILNS1_17partition_subalgoE3EjNS0_10empty_typeEbEEZZNS1_14partition_implILS8_3ELb0ES6_jNS0_17counting_iteratorIjlEEPS9_SE_NS0_5tupleIJPjSE_EEENSF_IJSE_SE_EEES9_SG_JZNS1_25segmented_radix_sort_implINS0_14default_configELb0EPK12hip_bfloat16PSL_PKlPlN2at6native12_GLOBAL__N_18offset_tEEE10hipError_tPvRmT1_PNSt15iterator_traitsISZ_E10value_typeET2_T3_PNS10_IS15_E10value_typeET4_jRbjT5_S1B_jjP12ihipStream_tbEUljE_EEESW_SX_SY_S15_S19_S1B_T6_T7_T9_mT8_S1D_bDpT10_ENKUlT_T0_E_clISt17integral_constantIbLb0EES1P_IbLb1EEEEDaS1L_S1M_EUlS1L_E_NS1_11comp_targetILNS1_3genE3ELNS1_11target_archE908ELNS1_3gpuE7ELNS1_3repE0EEENS1_30default_config_static_selectorELNS0_4arch9wavefront6targetE0EEEvSZ_
	.p2align	8
	.type	_ZN7rocprim17ROCPRIM_400000_NS6detail17trampoline_kernelINS0_13select_configILj256ELj13ELNS0_17block_load_methodE3ELS4_3ELS4_3ELNS0_20block_scan_algorithmE0ELj4294967295EEENS1_25partition_config_selectorILNS1_17partition_subalgoE3EjNS0_10empty_typeEbEEZZNS1_14partition_implILS8_3ELb0ES6_jNS0_17counting_iteratorIjlEEPS9_SE_NS0_5tupleIJPjSE_EEENSF_IJSE_SE_EEES9_SG_JZNS1_25segmented_radix_sort_implINS0_14default_configELb0EPK12hip_bfloat16PSL_PKlPlN2at6native12_GLOBAL__N_18offset_tEEE10hipError_tPvRmT1_PNSt15iterator_traitsISZ_E10value_typeET2_T3_PNS10_IS15_E10value_typeET4_jRbjT5_S1B_jjP12ihipStream_tbEUljE_EEESW_SX_SY_S15_S19_S1B_T6_T7_T9_mT8_S1D_bDpT10_ENKUlT_T0_E_clISt17integral_constantIbLb0EES1P_IbLb1EEEEDaS1L_S1M_EUlS1L_E_NS1_11comp_targetILNS1_3genE3ELNS1_11target_archE908ELNS1_3gpuE7ELNS1_3repE0EEENS1_30default_config_static_selectorELNS0_4arch9wavefront6targetE0EEEvSZ_,@function
_ZN7rocprim17ROCPRIM_400000_NS6detail17trampoline_kernelINS0_13select_configILj256ELj13ELNS0_17block_load_methodE3ELS4_3ELS4_3ELNS0_20block_scan_algorithmE0ELj4294967295EEENS1_25partition_config_selectorILNS1_17partition_subalgoE3EjNS0_10empty_typeEbEEZZNS1_14partition_implILS8_3ELb0ES6_jNS0_17counting_iteratorIjlEEPS9_SE_NS0_5tupleIJPjSE_EEENSF_IJSE_SE_EEES9_SG_JZNS1_25segmented_radix_sort_implINS0_14default_configELb0EPK12hip_bfloat16PSL_PKlPlN2at6native12_GLOBAL__N_18offset_tEEE10hipError_tPvRmT1_PNSt15iterator_traitsISZ_E10value_typeET2_T3_PNS10_IS15_E10value_typeET4_jRbjT5_S1B_jjP12ihipStream_tbEUljE_EEESW_SX_SY_S15_S19_S1B_T6_T7_T9_mT8_S1D_bDpT10_ENKUlT_T0_E_clISt17integral_constantIbLb0EES1P_IbLb1EEEEDaS1L_S1M_EUlS1L_E_NS1_11comp_targetILNS1_3genE3ELNS1_11target_archE908ELNS1_3gpuE7ELNS1_3repE0EEENS1_30default_config_static_selectorELNS0_4arch9wavefront6targetE0EEEvSZ_: ; @_ZN7rocprim17ROCPRIM_400000_NS6detail17trampoline_kernelINS0_13select_configILj256ELj13ELNS0_17block_load_methodE3ELS4_3ELS4_3ELNS0_20block_scan_algorithmE0ELj4294967295EEENS1_25partition_config_selectorILNS1_17partition_subalgoE3EjNS0_10empty_typeEbEEZZNS1_14partition_implILS8_3ELb0ES6_jNS0_17counting_iteratorIjlEEPS9_SE_NS0_5tupleIJPjSE_EEENSF_IJSE_SE_EEES9_SG_JZNS1_25segmented_radix_sort_implINS0_14default_configELb0EPK12hip_bfloat16PSL_PKlPlN2at6native12_GLOBAL__N_18offset_tEEE10hipError_tPvRmT1_PNSt15iterator_traitsISZ_E10value_typeET2_T3_PNS10_IS15_E10value_typeET4_jRbjT5_S1B_jjP12ihipStream_tbEUljE_EEESW_SX_SY_S15_S19_S1B_T6_T7_T9_mT8_S1D_bDpT10_ENKUlT_T0_E_clISt17integral_constantIbLb0EES1P_IbLb1EEEEDaS1L_S1M_EUlS1L_E_NS1_11comp_targetILNS1_3genE3ELNS1_11target_archE908ELNS1_3gpuE7ELNS1_3repE0EEENS1_30default_config_static_selectorELNS0_4arch9wavefront6targetE0EEEvSZ_
; %bb.0:
	.section	.rodata,"a",@progbits
	.p2align	6, 0x0
	.amdhsa_kernel _ZN7rocprim17ROCPRIM_400000_NS6detail17trampoline_kernelINS0_13select_configILj256ELj13ELNS0_17block_load_methodE3ELS4_3ELS4_3ELNS0_20block_scan_algorithmE0ELj4294967295EEENS1_25partition_config_selectorILNS1_17partition_subalgoE3EjNS0_10empty_typeEbEEZZNS1_14partition_implILS8_3ELb0ES6_jNS0_17counting_iteratorIjlEEPS9_SE_NS0_5tupleIJPjSE_EEENSF_IJSE_SE_EEES9_SG_JZNS1_25segmented_radix_sort_implINS0_14default_configELb0EPK12hip_bfloat16PSL_PKlPlN2at6native12_GLOBAL__N_18offset_tEEE10hipError_tPvRmT1_PNSt15iterator_traitsISZ_E10value_typeET2_T3_PNS10_IS15_E10value_typeET4_jRbjT5_S1B_jjP12ihipStream_tbEUljE_EEESW_SX_SY_S15_S19_S1B_T6_T7_T9_mT8_S1D_bDpT10_ENKUlT_T0_E_clISt17integral_constantIbLb0EES1P_IbLb1EEEEDaS1L_S1M_EUlS1L_E_NS1_11comp_targetILNS1_3genE3ELNS1_11target_archE908ELNS1_3gpuE7ELNS1_3repE0EEENS1_30default_config_static_selectorELNS0_4arch9wavefront6targetE0EEEvSZ_
		.amdhsa_group_segment_fixed_size 0
		.amdhsa_private_segment_fixed_size 0
		.amdhsa_kernarg_size 152
		.amdhsa_user_sgpr_count 15
		.amdhsa_user_sgpr_dispatch_ptr 0
		.amdhsa_user_sgpr_queue_ptr 0
		.amdhsa_user_sgpr_kernarg_segment_ptr 1
		.amdhsa_user_sgpr_dispatch_id 0
		.amdhsa_user_sgpr_private_segment_size 0
		.amdhsa_wavefront_size32 1
		.amdhsa_uses_dynamic_stack 0
		.amdhsa_enable_private_segment 0
		.amdhsa_system_sgpr_workgroup_id_x 1
		.amdhsa_system_sgpr_workgroup_id_y 0
		.amdhsa_system_sgpr_workgroup_id_z 0
		.amdhsa_system_sgpr_workgroup_info 0
		.amdhsa_system_vgpr_workitem_id 0
		.amdhsa_next_free_vgpr 1
		.amdhsa_next_free_sgpr 1
		.amdhsa_reserve_vcc 0
		.amdhsa_float_round_mode_32 0
		.amdhsa_float_round_mode_16_64 0
		.amdhsa_float_denorm_mode_32 3
		.amdhsa_float_denorm_mode_16_64 3
		.amdhsa_dx10_clamp 1
		.amdhsa_ieee_mode 1
		.amdhsa_fp16_overflow 0
		.amdhsa_workgroup_processor_mode 1
		.amdhsa_memory_ordered 1
		.amdhsa_forward_progress 0
		.amdhsa_shared_vgpr_count 0
		.amdhsa_exception_fp_ieee_invalid_op 0
		.amdhsa_exception_fp_denorm_src 0
		.amdhsa_exception_fp_ieee_div_zero 0
		.amdhsa_exception_fp_ieee_overflow 0
		.amdhsa_exception_fp_ieee_underflow 0
		.amdhsa_exception_fp_ieee_inexact 0
		.amdhsa_exception_int_div_zero 0
	.end_amdhsa_kernel
	.section	.text._ZN7rocprim17ROCPRIM_400000_NS6detail17trampoline_kernelINS0_13select_configILj256ELj13ELNS0_17block_load_methodE3ELS4_3ELS4_3ELNS0_20block_scan_algorithmE0ELj4294967295EEENS1_25partition_config_selectorILNS1_17partition_subalgoE3EjNS0_10empty_typeEbEEZZNS1_14partition_implILS8_3ELb0ES6_jNS0_17counting_iteratorIjlEEPS9_SE_NS0_5tupleIJPjSE_EEENSF_IJSE_SE_EEES9_SG_JZNS1_25segmented_radix_sort_implINS0_14default_configELb0EPK12hip_bfloat16PSL_PKlPlN2at6native12_GLOBAL__N_18offset_tEEE10hipError_tPvRmT1_PNSt15iterator_traitsISZ_E10value_typeET2_T3_PNS10_IS15_E10value_typeET4_jRbjT5_S1B_jjP12ihipStream_tbEUljE_EEESW_SX_SY_S15_S19_S1B_T6_T7_T9_mT8_S1D_bDpT10_ENKUlT_T0_E_clISt17integral_constantIbLb0EES1P_IbLb1EEEEDaS1L_S1M_EUlS1L_E_NS1_11comp_targetILNS1_3genE3ELNS1_11target_archE908ELNS1_3gpuE7ELNS1_3repE0EEENS1_30default_config_static_selectorELNS0_4arch9wavefront6targetE0EEEvSZ_,"axG",@progbits,_ZN7rocprim17ROCPRIM_400000_NS6detail17trampoline_kernelINS0_13select_configILj256ELj13ELNS0_17block_load_methodE3ELS4_3ELS4_3ELNS0_20block_scan_algorithmE0ELj4294967295EEENS1_25partition_config_selectorILNS1_17partition_subalgoE3EjNS0_10empty_typeEbEEZZNS1_14partition_implILS8_3ELb0ES6_jNS0_17counting_iteratorIjlEEPS9_SE_NS0_5tupleIJPjSE_EEENSF_IJSE_SE_EEES9_SG_JZNS1_25segmented_radix_sort_implINS0_14default_configELb0EPK12hip_bfloat16PSL_PKlPlN2at6native12_GLOBAL__N_18offset_tEEE10hipError_tPvRmT1_PNSt15iterator_traitsISZ_E10value_typeET2_T3_PNS10_IS15_E10value_typeET4_jRbjT5_S1B_jjP12ihipStream_tbEUljE_EEESW_SX_SY_S15_S19_S1B_T6_T7_T9_mT8_S1D_bDpT10_ENKUlT_T0_E_clISt17integral_constantIbLb0EES1P_IbLb1EEEEDaS1L_S1M_EUlS1L_E_NS1_11comp_targetILNS1_3genE3ELNS1_11target_archE908ELNS1_3gpuE7ELNS1_3repE0EEENS1_30default_config_static_selectorELNS0_4arch9wavefront6targetE0EEEvSZ_,comdat
.Lfunc_end2044:
	.size	_ZN7rocprim17ROCPRIM_400000_NS6detail17trampoline_kernelINS0_13select_configILj256ELj13ELNS0_17block_load_methodE3ELS4_3ELS4_3ELNS0_20block_scan_algorithmE0ELj4294967295EEENS1_25partition_config_selectorILNS1_17partition_subalgoE3EjNS0_10empty_typeEbEEZZNS1_14partition_implILS8_3ELb0ES6_jNS0_17counting_iteratorIjlEEPS9_SE_NS0_5tupleIJPjSE_EEENSF_IJSE_SE_EEES9_SG_JZNS1_25segmented_radix_sort_implINS0_14default_configELb0EPK12hip_bfloat16PSL_PKlPlN2at6native12_GLOBAL__N_18offset_tEEE10hipError_tPvRmT1_PNSt15iterator_traitsISZ_E10value_typeET2_T3_PNS10_IS15_E10value_typeET4_jRbjT5_S1B_jjP12ihipStream_tbEUljE_EEESW_SX_SY_S15_S19_S1B_T6_T7_T9_mT8_S1D_bDpT10_ENKUlT_T0_E_clISt17integral_constantIbLb0EES1P_IbLb1EEEEDaS1L_S1M_EUlS1L_E_NS1_11comp_targetILNS1_3genE3ELNS1_11target_archE908ELNS1_3gpuE7ELNS1_3repE0EEENS1_30default_config_static_selectorELNS0_4arch9wavefront6targetE0EEEvSZ_, .Lfunc_end2044-_ZN7rocprim17ROCPRIM_400000_NS6detail17trampoline_kernelINS0_13select_configILj256ELj13ELNS0_17block_load_methodE3ELS4_3ELS4_3ELNS0_20block_scan_algorithmE0ELj4294967295EEENS1_25partition_config_selectorILNS1_17partition_subalgoE3EjNS0_10empty_typeEbEEZZNS1_14partition_implILS8_3ELb0ES6_jNS0_17counting_iteratorIjlEEPS9_SE_NS0_5tupleIJPjSE_EEENSF_IJSE_SE_EEES9_SG_JZNS1_25segmented_radix_sort_implINS0_14default_configELb0EPK12hip_bfloat16PSL_PKlPlN2at6native12_GLOBAL__N_18offset_tEEE10hipError_tPvRmT1_PNSt15iterator_traitsISZ_E10value_typeET2_T3_PNS10_IS15_E10value_typeET4_jRbjT5_S1B_jjP12ihipStream_tbEUljE_EEESW_SX_SY_S15_S19_S1B_T6_T7_T9_mT8_S1D_bDpT10_ENKUlT_T0_E_clISt17integral_constantIbLb0EES1P_IbLb1EEEEDaS1L_S1M_EUlS1L_E_NS1_11comp_targetILNS1_3genE3ELNS1_11target_archE908ELNS1_3gpuE7ELNS1_3repE0EEENS1_30default_config_static_selectorELNS0_4arch9wavefront6targetE0EEEvSZ_
                                        ; -- End function
	.section	.AMDGPU.csdata,"",@progbits
; Kernel info:
; codeLenInByte = 0
; NumSgprs: 0
; NumVgprs: 0
; ScratchSize: 0
; MemoryBound: 0
; FloatMode: 240
; IeeeMode: 1
; LDSByteSize: 0 bytes/workgroup (compile time only)
; SGPRBlocks: 0
; VGPRBlocks: 0
; NumSGPRsForWavesPerEU: 1
; NumVGPRsForWavesPerEU: 1
; Occupancy: 16
; WaveLimiterHint : 0
; COMPUTE_PGM_RSRC2:SCRATCH_EN: 0
; COMPUTE_PGM_RSRC2:USER_SGPR: 15
; COMPUTE_PGM_RSRC2:TRAP_HANDLER: 0
; COMPUTE_PGM_RSRC2:TGID_X_EN: 1
; COMPUTE_PGM_RSRC2:TGID_Y_EN: 0
; COMPUTE_PGM_RSRC2:TGID_Z_EN: 0
; COMPUTE_PGM_RSRC2:TIDIG_COMP_CNT: 0
	.section	.text._ZN7rocprim17ROCPRIM_400000_NS6detail17trampoline_kernelINS0_13select_configILj256ELj13ELNS0_17block_load_methodE3ELS4_3ELS4_3ELNS0_20block_scan_algorithmE0ELj4294967295EEENS1_25partition_config_selectorILNS1_17partition_subalgoE3EjNS0_10empty_typeEbEEZZNS1_14partition_implILS8_3ELb0ES6_jNS0_17counting_iteratorIjlEEPS9_SE_NS0_5tupleIJPjSE_EEENSF_IJSE_SE_EEES9_SG_JZNS1_25segmented_radix_sort_implINS0_14default_configELb0EPK12hip_bfloat16PSL_PKlPlN2at6native12_GLOBAL__N_18offset_tEEE10hipError_tPvRmT1_PNSt15iterator_traitsISZ_E10value_typeET2_T3_PNS10_IS15_E10value_typeET4_jRbjT5_S1B_jjP12ihipStream_tbEUljE_EEESW_SX_SY_S15_S19_S1B_T6_T7_T9_mT8_S1D_bDpT10_ENKUlT_T0_E_clISt17integral_constantIbLb0EES1P_IbLb1EEEEDaS1L_S1M_EUlS1L_E_NS1_11comp_targetILNS1_3genE2ELNS1_11target_archE906ELNS1_3gpuE6ELNS1_3repE0EEENS1_30default_config_static_selectorELNS0_4arch9wavefront6targetE0EEEvSZ_,"axG",@progbits,_ZN7rocprim17ROCPRIM_400000_NS6detail17trampoline_kernelINS0_13select_configILj256ELj13ELNS0_17block_load_methodE3ELS4_3ELS4_3ELNS0_20block_scan_algorithmE0ELj4294967295EEENS1_25partition_config_selectorILNS1_17partition_subalgoE3EjNS0_10empty_typeEbEEZZNS1_14partition_implILS8_3ELb0ES6_jNS0_17counting_iteratorIjlEEPS9_SE_NS0_5tupleIJPjSE_EEENSF_IJSE_SE_EEES9_SG_JZNS1_25segmented_radix_sort_implINS0_14default_configELb0EPK12hip_bfloat16PSL_PKlPlN2at6native12_GLOBAL__N_18offset_tEEE10hipError_tPvRmT1_PNSt15iterator_traitsISZ_E10value_typeET2_T3_PNS10_IS15_E10value_typeET4_jRbjT5_S1B_jjP12ihipStream_tbEUljE_EEESW_SX_SY_S15_S19_S1B_T6_T7_T9_mT8_S1D_bDpT10_ENKUlT_T0_E_clISt17integral_constantIbLb0EES1P_IbLb1EEEEDaS1L_S1M_EUlS1L_E_NS1_11comp_targetILNS1_3genE2ELNS1_11target_archE906ELNS1_3gpuE6ELNS1_3repE0EEENS1_30default_config_static_selectorELNS0_4arch9wavefront6targetE0EEEvSZ_,comdat
	.globl	_ZN7rocprim17ROCPRIM_400000_NS6detail17trampoline_kernelINS0_13select_configILj256ELj13ELNS0_17block_load_methodE3ELS4_3ELS4_3ELNS0_20block_scan_algorithmE0ELj4294967295EEENS1_25partition_config_selectorILNS1_17partition_subalgoE3EjNS0_10empty_typeEbEEZZNS1_14partition_implILS8_3ELb0ES6_jNS0_17counting_iteratorIjlEEPS9_SE_NS0_5tupleIJPjSE_EEENSF_IJSE_SE_EEES9_SG_JZNS1_25segmented_radix_sort_implINS0_14default_configELb0EPK12hip_bfloat16PSL_PKlPlN2at6native12_GLOBAL__N_18offset_tEEE10hipError_tPvRmT1_PNSt15iterator_traitsISZ_E10value_typeET2_T3_PNS10_IS15_E10value_typeET4_jRbjT5_S1B_jjP12ihipStream_tbEUljE_EEESW_SX_SY_S15_S19_S1B_T6_T7_T9_mT8_S1D_bDpT10_ENKUlT_T0_E_clISt17integral_constantIbLb0EES1P_IbLb1EEEEDaS1L_S1M_EUlS1L_E_NS1_11comp_targetILNS1_3genE2ELNS1_11target_archE906ELNS1_3gpuE6ELNS1_3repE0EEENS1_30default_config_static_selectorELNS0_4arch9wavefront6targetE0EEEvSZ_ ; -- Begin function _ZN7rocprim17ROCPRIM_400000_NS6detail17trampoline_kernelINS0_13select_configILj256ELj13ELNS0_17block_load_methodE3ELS4_3ELS4_3ELNS0_20block_scan_algorithmE0ELj4294967295EEENS1_25partition_config_selectorILNS1_17partition_subalgoE3EjNS0_10empty_typeEbEEZZNS1_14partition_implILS8_3ELb0ES6_jNS0_17counting_iteratorIjlEEPS9_SE_NS0_5tupleIJPjSE_EEENSF_IJSE_SE_EEES9_SG_JZNS1_25segmented_radix_sort_implINS0_14default_configELb0EPK12hip_bfloat16PSL_PKlPlN2at6native12_GLOBAL__N_18offset_tEEE10hipError_tPvRmT1_PNSt15iterator_traitsISZ_E10value_typeET2_T3_PNS10_IS15_E10value_typeET4_jRbjT5_S1B_jjP12ihipStream_tbEUljE_EEESW_SX_SY_S15_S19_S1B_T6_T7_T9_mT8_S1D_bDpT10_ENKUlT_T0_E_clISt17integral_constantIbLb0EES1P_IbLb1EEEEDaS1L_S1M_EUlS1L_E_NS1_11comp_targetILNS1_3genE2ELNS1_11target_archE906ELNS1_3gpuE6ELNS1_3repE0EEENS1_30default_config_static_selectorELNS0_4arch9wavefront6targetE0EEEvSZ_
	.p2align	8
	.type	_ZN7rocprim17ROCPRIM_400000_NS6detail17trampoline_kernelINS0_13select_configILj256ELj13ELNS0_17block_load_methodE3ELS4_3ELS4_3ELNS0_20block_scan_algorithmE0ELj4294967295EEENS1_25partition_config_selectorILNS1_17partition_subalgoE3EjNS0_10empty_typeEbEEZZNS1_14partition_implILS8_3ELb0ES6_jNS0_17counting_iteratorIjlEEPS9_SE_NS0_5tupleIJPjSE_EEENSF_IJSE_SE_EEES9_SG_JZNS1_25segmented_radix_sort_implINS0_14default_configELb0EPK12hip_bfloat16PSL_PKlPlN2at6native12_GLOBAL__N_18offset_tEEE10hipError_tPvRmT1_PNSt15iterator_traitsISZ_E10value_typeET2_T3_PNS10_IS15_E10value_typeET4_jRbjT5_S1B_jjP12ihipStream_tbEUljE_EEESW_SX_SY_S15_S19_S1B_T6_T7_T9_mT8_S1D_bDpT10_ENKUlT_T0_E_clISt17integral_constantIbLb0EES1P_IbLb1EEEEDaS1L_S1M_EUlS1L_E_NS1_11comp_targetILNS1_3genE2ELNS1_11target_archE906ELNS1_3gpuE6ELNS1_3repE0EEENS1_30default_config_static_selectorELNS0_4arch9wavefront6targetE0EEEvSZ_,@function
_ZN7rocprim17ROCPRIM_400000_NS6detail17trampoline_kernelINS0_13select_configILj256ELj13ELNS0_17block_load_methodE3ELS4_3ELS4_3ELNS0_20block_scan_algorithmE0ELj4294967295EEENS1_25partition_config_selectorILNS1_17partition_subalgoE3EjNS0_10empty_typeEbEEZZNS1_14partition_implILS8_3ELb0ES6_jNS0_17counting_iteratorIjlEEPS9_SE_NS0_5tupleIJPjSE_EEENSF_IJSE_SE_EEES9_SG_JZNS1_25segmented_radix_sort_implINS0_14default_configELb0EPK12hip_bfloat16PSL_PKlPlN2at6native12_GLOBAL__N_18offset_tEEE10hipError_tPvRmT1_PNSt15iterator_traitsISZ_E10value_typeET2_T3_PNS10_IS15_E10value_typeET4_jRbjT5_S1B_jjP12ihipStream_tbEUljE_EEESW_SX_SY_S15_S19_S1B_T6_T7_T9_mT8_S1D_bDpT10_ENKUlT_T0_E_clISt17integral_constantIbLb0EES1P_IbLb1EEEEDaS1L_S1M_EUlS1L_E_NS1_11comp_targetILNS1_3genE2ELNS1_11target_archE906ELNS1_3gpuE6ELNS1_3repE0EEENS1_30default_config_static_selectorELNS0_4arch9wavefront6targetE0EEEvSZ_: ; @_ZN7rocprim17ROCPRIM_400000_NS6detail17trampoline_kernelINS0_13select_configILj256ELj13ELNS0_17block_load_methodE3ELS4_3ELS4_3ELNS0_20block_scan_algorithmE0ELj4294967295EEENS1_25partition_config_selectorILNS1_17partition_subalgoE3EjNS0_10empty_typeEbEEZZNS1_14partition_implILS8_3ELb0ES6_jNS0_17counting_iteratorIjlEEPS9_SE_NS0_5tupleIJPjSE_EEENSF_IJSE_SE_EEES9_SG_JZNS1_25segmented_radix_sort_implINS0_14default_configELb0EPK12hip_bfloat16PSL_PKlPlN2at6native12_GLOBAL__N_18offset_tEEE10hipError_tPvRmT1_PNSt15iterator_traitsISZ_E10value_typeET2_T3_PNS10_IS15_E10value_typeET4_jRbjT5_S1B_jjP12ihipStream_tbEUljE_EEESW_SX_SY_S15_S19_S1B_T6_T7_T9_mT8_S1D_bDpT10_ENKUlT_T0_E_clISt17integral_constantIbLb0EES1P_IbLb1EEEEDaS1L_S1M_EUlS1L_E_NS1_11comp_targetILNS1_3genE2ELNS1_11target_archE906ELNS1_3gpuE6ELNS1_3repE0EEENS1_30default_config_static_selectorELNS0_4arch9wavefront6targetE0EEEvSZ_
; %bb.0:
	.section	.rodata,"a",@progbits
	.p2align	6, 0x0
	.amdhsa_kernel _ZN7rocprim17ROCPRIM_400000_NS6detail17trampoline_kernelINS0_13select_configILj256ELj13ELNS0_17block_load_methodE3ELS4_3ELS4_3ELNS0_20block_scan_algorithmE0ELj4294967295EEENS1_25partition_config_selectorILNS1_17partition_subalgoE3EjNS0_10empty_typeEbEEZZNS1_14partition_implILS8_3ELb0ES6_jNS0_17counting_iteratorIjlEEPS9_SE_NS0_5tupleIJPjSE_EEENSF_IJSE_SE_EEES9_SG_JZNS1_25segmented_radix_sort_implINS0_14default_configELb0EPK12hip_bfloat16PSL_PKlPlN2at6native12_GLOBAL__N_18offset_tEEE10hipError_tPvRmT1_PNSt15iterator_traitsISZ_E10value_typeET2_T3_PNS10_IS15_E10value_typeET4_jRbjT5_S1B_jjP12ihipStream_tbEUljE_EEESW_SX_SY_S15_S19_S1B_T6_T7_T9_mT8_S1D_bDpT10_ENKUlT_T0_E_clISt17integral_constantIbLb0EES1P_IbLb1EEEEDaS1L_S1M_EUlS1L_E_NS1_11comp_targetILNS1_3genE2ELNS1_11target_archE906ELNS1_3gpuE6ELNS1_3repE0EEENS1_30default_config_static_selectorELNS0_4arch9wavefront6targetE0EEEvSZ_
		.amdhsa_group_segment_fixed_size 0
		.amdhsa_private_segment_fixed_size 0
		.amdhsa_kernarg_size 152
		.amdhsa_user_sgpr_count 15
		.amdhsa_user_sgpr_dispatch_ptr 0
		.amdhsa_user_sgpr_queue_ptr 0
		.amdhsa_user_sgpr_kernarg_segment_ptr 1
		.amdhsa_user_sgpr_dispatch_id 0
		.amdhsa_user_sgpr_private_segment_size 0
		.amdhsa_wavefront_size32 1
		.amdhsa_uses_dynamic_stack 0
		.amdhsa_enable_private_segment 0
		.amdhsa_system_sgpr_workgroup_id_x 1
		.amdhsa_system_sgpr_workgroup_id_y 0
		.amdhsa_system_sgpr_workgroup_id_z 0
		.amdhsa_system_sgpr_workgroup_info 0
		.amdhsa_system_vgpr_workitem_id 0
		.amdhsa_next_free_vgpr 1
		.amdhsa_next_free_sgpr 1
		.amdhsa_reserve_vcc 0
		.amdhsa_float_round_mode_32 0
		.amdhsa_float_round_mode_16_64 0
		.amdhsa_float_denorm_mode_32 3
		.amdhsa_float_denorm_mode_16_64 3
		.amdhsa_dx10_clamp 1
		.amdhsa_ieee_mode 1
		.amdhsa_fp16_overflow 0
		.amdhsa_workgroup_processor_mode 1
		.amdhsa_memory_ordered 1
		.amdhsa_forward_progress 0
		.amdhsa_shared_vgpr_count 0
		.amdhsa_exception_fp_ieee_invalid_op 0
		.amdhsa_exception_fp_denorm_src 0
		.amdhsa_exception_fp_ieee_div_zero 0
		.amdhsa_exception_fp_ieee_overflow 0
		.amdhsa_exception_fp_ieee_underflow 0
		.amdhsa_exception_fp_ieee_inexact 0
		.amdhsa_exception_int_div_zero 0
	.end_amdhsa_kernel
	.section	.text._ZN7rocprim17ROCPRIM_400000_NS6detail17trampoline_kernelINS0_13select_configILj256ELj13ELNS0_17block_load_methodE3ELS4_3ELS4_3ELNS0_20block_scan_algorithmE0ELj4294967295EEENS1_25partition_config_selectorILNS1_17partition_subalgoE3EjNS0_10empty_typeEbEEZZNS1_14partition_implILS8_3ELb0ES6_jNS0_17counting_iteratorIjlEEPS9_SE_NS0_5tupleIJPjSE_EEENSF_IJSE_SE_EEES9_SG_JZNS1_25segmented_radix_sort_implINS0_14default_configELb0EPK12hip_bfloat16PSL_PKlPlN2at6native12_GLOBAL__N_18offset_tEEE10hipError_tPvRmT1_PNSt15iterator_traitsISZ_E10value_typeET2_T3_PNS10_IS15_E10value_typeET4_jRbjT5_S1B_jjP12ihipStream_tbEUljE_EEESW_SX_SY_S15_S19_S1B_T6_T7_T9_mT8_S1D_bDpT10_ENKUlT_T0_E_clISt17integral_constantIbLb0EES1P_IbLb1EEEEDaS1L_S1M_EUlS1L_E_NS1_11comp_targetILNS1_3genE2ELNS1_11target_archE906ELNS1_3gpuE6ELNS1_3repE0EEENS1_30default_config_static_selectorELNS0_4arch9wavefront6targetE0EEEvSZ_,"axG",@progbits,_ZN7rocprim17ROCPRIM_400000_NS6detail17trampoline_kernelINS0_13select_configILj256ELj13ELNS0_17block_load_methodE3ELS4_3ELS4_3ELNS0_20block_scan_algorithmE0ELj4294967295EEENS1_25partition_config_selectorILNS1_17partition_subalgoE3EjNS0_10empty_typeEbEEZZNS1_14partition_implILS8_3ELb0ES6_jNS0_17counting_iteratorIjlEEPS9_SE_NS0_5tupleIJPjSE_EEENSF_IJSE_SE_EEES9_SG_JZNS1_25segmented_radix_sort_implINS0_14default_configELb0EPK12hip_bfloat16PSL_PKlPlN2at6native12_GLOBAL__N_18offset_tEEE10hipError_tPvRmT1_PNSt15iterator_traitsISZ_E10value_typeET2_T3_PNS10_IS15_E10value_typeET4_jRbjT5_S1B_jjP12ihipStream_tbEUljE_EEESW_SX_SY_S15_S19_S1B_T6_T7_T9_mT8_S1D_bDpT10_ENKUlT_T0_E_clISt17integral_constantIbLb0EES1P_IbLb1EEEEDaS1L_S1M_EUlS1L_E_NS1_11comp_targetILNS1_3genE2ELNS1_11target_archE906ELNS1_3gpuE6ELNS1_3repE0EEENS1_30default_config_static_selectorELNS0_4arch9wavefront6targetE0EEEvSZ_,comdat
.Lfunc_end2045:
	.size	_ZN7rocprim17ROCPRIM_400000_NS6detail17trampoline_kernelINS0_13select_configILj256ELj13ELNS0_17block_load_methodE3ELS4_3ELS4_3ELNS0_20block_scan_algorithmE0ELj4294967295EEENS1_25partition_config_selectorILNS1_17partition_subalgoE3EjNS0_10empty_typeEbEEZZNS1_14partition_implILS8_3ELb0ES6_jNS0_17counting_iteratorIjlEEPS9_SE_NS0_5tupleIJPjSE_EEENSF_IJSE_SE_EEES9_SG_JZNS1_25segmented_radix_sort_implINS0_14default_configELb0EPK12hip_bfloat16PSL_PKlPlN2at6native12_GLOBAL__N_18offset_tEEE10hipError_tPvRmT1_PNSt15iterator_traitsISZ_E10value_typeET2_T3_PNS10_IS15_E10value_typeET4_jRbjT5_S1B_jjP12ihipStream_tbEUljE_EEESW_SX_SY_S15_S19_S1B_T6_T7_T9_mT8_S1D_bDpT10_ENKUlT_T0_E_clISt17integral_constantIbLb0EES1P_IbLb1EEEEDaS1L_S1M_EUlS1L_E_NS1_11comp_targetILNS1_3genE2ELNS1_11target_archE906ELNS1_3gpuE6ELNS1_3repE0EEENS1_30default_config_static_selectorELNS0_4arch9wavefront6targetE0EEEvSZ_, .Lfunc_end2045-_ZN7rocprim17ROCPRIM_400000_NS6detail17trampoline_kernelINS0_13select_configILj256ELj13ELNS0_17block_load_methodE3ELS4_3ELS4_3ELNS0_20block_scan_algorithmE0ELj4294967295EEENS1_25partition_config_selectorILNS1_17partition_subalgoE3EjNS0_10empty_typeEbEEZZNS1_14partition_implILS8_3ELb0ES6_jNS0_17counting_iteratorIjlEEPS9_SE_NS0_5tupleIJPjSE_EEENSF_IJSE_SE_EEES9_SG_JZNS1_25segmented_radix_sort_implINS0_14default_configELb0EPK12hip_bfloat16PSL_PKlPlN2at6native12_GLOBAL__N_18offset_tEEE10hipError_tPvRmT1_PNSt15iterator_traitsISZ_E10value_typeET2_T3_PNS10_IS15_E10value_typeET4_jRbjT5_S1B_jjP12ihipStream_tbEUljE_EEESW_SX_SY_S15_S19_S1B_T6_T7_T9_mT8_S1D_bDpT10_ENKUlT_T0_E_clISt17integral_constantIbLb0EES1P_IbLb1EEEEDaS1L_S1M_EUlS1L_E_NS1_11comp_targetILNS1_3genE2ELNS1_11target_archE906ELNS1_3gpuE6ELNS1_3repE0EEENS1_30default_config_static_selectorELNS0_4arch9wavefront6targetE0EEEvSZ_
                                        ; -- End function
	.section	.AMDGPU.csdata,"",@progbits
; Kernel info:
; codeLenInByte = 0
; NumSgprs: 0
; NumVgprs: 0
; ScratchSize: 0
; MemoryBound: 0
; FloatMode: 240
; IeeeMode: 1
; LDSByteSize: 0 bytes/workgroup (compile time only)
; SGPRBlocks: 0
; VGPRBlocks: 0
; NumSGPRsForWavesPerEU: 1
; NumVGPRsForWavesPerEU: 1
; Occupancy: 16
; WaveLimiterHint : 0
; COMPUTE_PGM_RSRC2:SCRATCH_EN: 0
; COMPUTE_PGM_RSRC2:USER_SGPR: 15
; COMPUTE_PGM_RSRC2:TRAP_HANDLER: 0
; COMPUTE_PGM_RSRC2:TGID_X_EN: 1
; COMPUTE_PGM_RSRC2:TGID_Y_EN: 0
; COMPUTE_PGM_RSRC2:TGID_Z_EN: 0
; COMPUTE_PGM_RSRC2:TIDIG_COMP_CNT: 0
	.section	.text._ZN7rocprim17ROCPRIM_400000_NS6detail17trampoline_kernelINS0_13select_configILj256ELj13ELNS0_17block_load_methodE3ELS4_3ELS4_3ELNS0_20block_scan_algorithmE0ELj4294967295EEENS1_25partition_config_selectorILNS1_17partition_subalgoE3EjNS0_10empty_typeEbEEZZNS1_14partition_implILS8_3ELb0ES6_jNS0_17counting_iteratorIjlEEPS9_SE_NS0_5tupleIJPjSE_EEENSF_IJSE_SE_EEES9_SG_JZNS1_25segmented_radix_sort_implINS0_14default_configELb0EPK12hip_bfloat16PSL_PKlPlN2at6native12_GLOBAL__N_18offset_tEEE10hipError_tPvRmT1_PNSt15iterator_traitsISZ_E10value_typeET2_T3_PNS10_IS15_E10value_typeET4_jRbjT5_S1B_jjP12ihipStream_tbEUljE_EEESW_SX_SY_S15_S19_S1B_T6_T7_T9_mT8_S1D_bDpT10_ENKUlT_T0_E_clISt17integral_constantIbLb0EES1P_IbLb1EEEEDaS1L_S1M_EUlS1L_E_NS1_11comp_targetILNS1_3genE10ELNS1_11target_archE1200ELNS1_3gpuE4ELNS1_3repE0EEENS1_30default_config_static_selectorELNS0_4arch9wavefront6targetE0EEEvSZ_,"axG",@progbits,_ZN7rocprim17ROCPRIM_400000_NS6detail17trampoline_kernelINS0_13select_configILj256ELj13ELNS0_17block_load_methodE3ELS4_3ELS4_3ELNS0_20block_scan_algorithmE0ELj4294967295EEENS1_25partition_config_selectorILNS1_17partition_subalgoE3EjNS0_10empty_typeEbEEZZNS1_14partition_implILS8_3ELb0ES6_jNS0_17counting_iteratorIjlEEPS9_SE_NS0_5tupleIJPjSE_EEENSF_IJSE_SE_EEES9_SG_JZNS1_25segmented_radix_sort_implINS0_14default_configELb0EPK12hip_bfloat16PSL_PKlPlN2at6native12_GLOBAL__N_18offset_tEEE10hipError_tPvRmT1_PNSt15iterator_traitsISZ_E10value_typeET2_T3_PNS10_IS15_E10value_typeET4_jRbjT5_S1B_jjP12ihipStream_tbEUljE_EEESW_SX_SY_S15_S19_S1B_T6_T7_T9_mT8_S1D_bDpT10_ENKUlT_T0_E_clISt17integral_constantIbLb0EES1P_IbLb1EEEEDaS1L_S1M_EUlS1L_E_NS1_11comp_targetILNS1_3genE10ELNS1_11target_archE1200ELNS1_3gpuE4ELNS1_3repE0EEENS1_30default_config_static_selectorELNS0_4arch9wavefront6targetE0EEEvSZ_,comdat
	.globl	_ZN7rocprim17ROCPRIM_400000_NS6detail17trampoline_kernelINS0_13select_configILj256ELj13ELNS0_17block_load_methodE3ELS4_3ELS4_3ELNS0_20block_scan_algorithmE0ELj4294967295EEENS1_25partition_config_selectorILNS1_17partition_subalgoE3EjNS0_10empty_typeEbEEZZNS1_14partition_implILS8_3ELb0ES6_jNS0_17counting_iteratorIjlEEPS9_SE_NS0_5tupleIJPjSE_EEENSF_IJSE_SE_EEES9_SG_JZNS1_25segmented_radix_sort_implINS0_14default_configELb0EPK12hip_bfloat16PSL_PKlPlN2at6native12_GLOBAL__N_18offset_tEEE10hipError_tPvRmT1_PNSt15iterator_traitsISZ_E10value_typeET2_T3_PNS10_IS15_E10value_typeET4_jRbjT5_S1B_jjP12ihipStream_tbEUljE_EEESW_SX_SY_S15_S19_S1B_T6_T7_T9_mT8_S1D_bDpT10_ENKUlT_T0_E_clISt17integral_constantIbLb0EES1P_IbLb1EEEEDaS1L_S1M_EUlS1L_E_NS1_11comp_targetILNS1_3genE10ELNS1_11target_archE1200ELNS1_3gpuE4ELNS1_3repE0EEENS1_30default_config_static_selectorELNS0_4arch9wavefront6targetE0EEEvSZ_ ; -- Begin function _ZN7rocprim17ROCPRIM_400000_NS6detail17trampoline_kernelINS0_13select_configILj256ELj13ELNS0_17block_load_methodE3ELS4_3ELS4_3ELNS0_20block_scan_algorithmE0ELj4294967295EEENS1_25partition_config_selectorILNS1_17partition_subalgoE3EjNS0_10empty_typeEbEEZZNS1_14partition_implILS8_3ELb0ES6_jNS0_17counting_iteratorIjlEEPS9_SE_NS0_5tupleIJPjSE_EEENSF_IJSE_SE_EEES9_SG_JZNS1_25segmented_radix_sort_implINS0_14default_configELb0EPK12hip_bfloat16PSL_PKlPlN2at6native12_GLOBAL__N_18offset_tEEE10hipError_tPvRmT1_PNSt15iterator_traitsISZ_E10value_typeET2_T3_PNS10_IS15_E10value_typeET4_jRbjT5_S1B_jjP12ihipStream_tbEUljE_EEESW_SX_SY_S15_S19_S1B_T6_T7_T9_mT8_S1D_bDpT10_ENKUlT_T0_E_clISt17integral_constantIbLb0EES1P_IbLb1EEEEDaS1L_S1M_EUlS1L_E_NS1_11comp_targetILNS1_3genE10ELNS1_11target_archE1200ELNS1_3gpuE4ELNS1_3repE0EEENS1_30default_config_static_selectorELNS0_4arch9wavefront6targetE0EEEvSZ_
	.p2align	8
	.type	_ZN7rocprim17ROCPRIM_400000_NS6detail17trampoline_kernelINS0_13select_configILj256ELj13ELNS0_17block_load_methodE3ELS4_3ELS4_3ELNS0_20block_scan_algorithmE0ELj4294967295EEENS1_25partition_config_selectorILNS1_17partition_subalgoE3EjNS0_10empty_typeEbEEZZNS1_14partition_implILS8_3ELb0ES6_jNS0_17counting_iteratorIjlEEPS9_SE_NS0_5tupleIJPjSE_EEENSF_IJSE_SE_EEES9_SG_JZNS1_25segmented_radix_sort_implINS0_14default_configELb0EPK12hip_bfloat16PSL_PKlPlN2at6native12_GLOBAL__N_18offset_tEEE10hipError_tPvRmT1_PNSt15iterator_traitsISZ_E10value_typeET2_T3_PNS10_IS15_E10value_typeET4_jRbjT5_S1B_jjP12ihipStream_tbEUljE_EEESW_SX_SY_S15_S19_S1B_T6_T7_T9_mT8_S1D_bDpT10_ENKUlT_T0_E_clISt17integral_constantIbLb0EES1P_IbLb1EEEEDaS1L_S1M_EUlS1L_E_NS1_11comp_targetILNS1_3genE10ELNS1_11target_archE1200ELNS1_3gpuE4ELNS1_3repE0EEENS1_30default_config_static_selectorELNS0_4arch9wavefront6targetE0EEEvSZ_,@function
_ZN7rocprim17ROCPRIM_400000_NS6detail17trampoline_kernelINS0_13select_configILj256ELj13ELNS0_17block_load_methodE3ELS4_3ELS4_3ELNS0_20block_scan_algorithmE0ELj4294967295EEENS1_25partition_config_selectorILNS1_17partition_subalgoE3EjNS0_10empty_typeEbEEZZNS1_14partition_implILS8_3ELb0ES6_jNS0_17counting_iteratorIjlEEPS9_SE_NS0_5tupleIJPjSE_EEENSF_IJSE_SE_EEES9_SG_JZNS1_25segmented_radix_sort_implINS0_14default_configELb0EPK12hip_bfloat16PSL_PKlPlN2at6native12_GLOBAL__N_18offset_tEEE10hipError_tPvRmT1_PNSt15iterator_traitsISZ_E10value_typeET2_T3_PNS10_IS15_E10value_typeET4_jRbjT5_S1B_jjP12ihipStream_tbEUljE_EEESW_SX_SY_S15_S19_S1B_T6_T7_T9_mT8_S1D_bDpT10_ENKUlT_T0_E_clISt17integral_constantIbLb0EES1P_IbLb1EEEEDaS1L_S1M_EUlS1L_E_NS1_11comp_targetILNS1_3genE10ELNS1_11target_archE1200ELNS1_3gpuE4ELNS1_3repE0EEENS1_30default_config_static_selectorELNS0_4arch9wavefront6targetE0EEEvSZ_: ; @_ZN7rocprim17ROCPRIM_400000_NS6detail17trampoline_kernelINS0_13select_configILj256ELj13ELNS0_17block_load_methodE3ELS4_3ELS4_3ELNS0_20block_scan_algorithmE0ELj4294967295EEENS1_25partition_config_selectorILNS1_17partition_subalgoE3EjNS0_10empty_typeEbEEZZNS1_14partition_implILS8_3ELb0ES6_jNS0_17counting_iteratorIjlEEPS9_SE_NS0_5tupleIJPjSE_EEENSF_IJSE_SE_EEES9_SG_JZNS1_25segmented_radix_sort_implINS0_14default_configELb0EPK12hip_bfloat16PSL_PKlPlN2at6native12_GLOBAL__N_18offset_tEEE10hipError_tPvRmT1_PNSt15iterator_traitsISZ_E10value_typeET2_T3_PNS10_IS15_E10value_typeET4_jRbjT5_S1B_jjP12ihipStream_tbEUljE_EEESW_SX_SY_S15_S19_S1B_T6_T7_T9_mT8_S1D_bDpT10_ENKUlT_T0_E_clISt17integral_constantIbLb0EES1P_IbLb1EEEEDaS1L_S1M_EUlS1L_E_NS1_11comp_targetILNS1_3genE10ELNS1_11target_archE1200ELNS1_3gpuE4ELNS1_3repE0EEENS1_30default_config_static_selectorELNS0_4arch9wavefront6targetE0EEEvSZ_
; %bb.0:
	.section	.rodata,"a",@progbits
	.p2align	6, 0x0
	.amdhsa_kernel _ZN7rocprim17ROCPRIM_400000_NS6detail17trampoline_kernelINS0_13select_configILj256ELj13ELNS0_17block_load_methodE3ELS4_3ELS4_3ELNS0_20block_scan_algorithmE0ELj4294967295EEENS1_25partition_config_selectorILNS1_17partition_subalgoE3EjNS0_10empty_typeEbEEZZNS1_14partition_implILS8_3ELb0ES6_jNS0_17counting_iteratorIjlEEPS9_SE_NS0_5tupleIJPjSE_EEENSF_IJSE_SE_EEES9_SG_JZNS1_25segmented_radix_sort_implINS0_14default_configELb0EPK12hip_bfloat16PSL_PKlPlN2at6native12_GLOBAL__N_18offset_tEEE10hipError_tPvRmT1_PNSt15iterator_traitsISZ_E10value_typeET2_T3_PNS10_IS15_E10value_typeET4_jRbjT5_S1B_jjP12ihipStream_tbEUljE_EEESW_SX_SY_S15_S19_S1B_T6_T7_T9_mT8_S1D_bDpT10_ENKUlT_T0_E_clISt17integral_constantIbLb0EES1P_IbLb1EEEEDaS1L_S1M_EUlS1L_E_NS1_11comp_targetILNS1_3genE10ELNS1_11target_archE1200ELNS1_3gpuE4ELNS1_3repE0EEENS1_30default_config_static_selectorELNS0_4arch9wavefront6targetE0EEEvSZ_
		.amdhsa_group_segment_fixed_size 0
		.amdhsa_private_segment_fixed_size 0
		.amdhsa_kernarg_size 152
		.amdhsa_user_sgpr_count 15
		.amdhsa_user_sgpr_dispatch_ptr 0
		.amdhsa_user_sgpr_queue_ptr 0
		.amdhsa_user_sgpr_kernarg_segment_ptr 1
		.amdhsa_user_sgpr_dispatch_id 0
		.amdhsa_user_sgpr_private_segment_size 0
		.amdhsa_wavefront_size32 1
		.amdhsa_uses_dynamic_stack 0
		.amdhsa_enable_private_segment 0
		.amdhsa_system_sgpr_workgroup_id_x 1
		.amdhsa_system_sgpr_workgroup_id_y 0
		.amdhsa_system_sgpr_workgroup_id_z 0
		.amdhsa_system_sgpr_workgroup_info 0
		.amdhsa_system_vgpr_workitem_id 0
		.amdhsa_next_free_vgpr 1
		.amdhsa_next_free_sgpr 1
		.amdhsa_reserve_vcc 0
		.amdhsa_float_round_mode_32 0
		.amdhsa_float_round_mode_16_64 0
		.amdhsa_float_denorm_mode_32 3
		.amdhsa_float_denorm_mode_16_64 3
		.amdhsa_dx10_clamp 1
		.amdhsa_ieee_mode 1
		.amdhsa_fp16_overflow 0
		.amdhsa_workgroup_processor_mode 1
		.amdhsa_memory_ordered 1
		.amdhsa_forward_progress 0
		.amdhsa_shared_vgpr_count 0
		.amdhsa_exception_fp_ieee_invalid_op 0
		.amdhsa_exception_fp_denorm_src 0
		.amdhsa_exception_fp_ieee_div_zero 0
		.amdhsa_exception_fp_ieee_overflow 0
		.amdhsa_exception_fp_ieee_underflow 0
		.amdhsa_exception_fp_ieee_inexact 0
		.amdhsa_exception_int_div_zero 0
	.end_amdhsa_kernel
	.section	.text._ZN7rocprim17ROCPRIM_400000_NS6detail17trampoline_kernelINS0_13select_configILj256ELj13ELNS0_17block_load_methodE3ELS4_3ELS4_3ELNS0_20block_scan_algorithmE0ELj4294967295EEENS1_25partition_config_selectorILNS1_17partition_subalgoE3EjNS0_10empty_typeEbEEZZNS1_14partition_implILS8_3ELb0ES6_jNS0_17counting_iteratorIjlEEPS9_SE_NS0_5tupleIJPjSE_EEENSF_IJSE_SE_EEES9_SG_JZNS1_25segmented_radix_sort_implINS0_14default_configELb0EPK12hip_bfloat16PSL_PKlPlN2at6native12_GLOBAL__N_18offset_tEEE10hipError_tPvRmT1_PNSt15iterator_traitsISZ_E10value_typeET2_T3_PNS10_IS15_E10value_typeET4_jRbjT5_S1B_jjP12ihipStream_tbEUljE_EEESW_SX_SY_S15_S19_S1B_T6_T7_T9_mT8_S1D_bDpT10_ENKUlT_T0_E_clISt17integral_constantIbLb0EES1P_IbLb1EEEEDaS1L_S1M_EUlS1L_E_NS1_11comp_targetILNS1_3genE10ELNS1_11target_archE1200ELNS1_3gpuE4ELNS1_3repE0EEENS1_30default_config_static_selectorELNS0_4arch9wavefront6targetE0EEEvSZ_,"axG",@progbits,_ZN7rocprim17ROCPRIM_400000_NS6detail17trampoline_kernelINS0_13select_configILj256ELj13ELNS0_17block_load_methodE3ELS4_3ELS4_3ELNS0_20block_scan_algorithmE0ELj4294967295EEENS1_25partition_config_selectorILNS1_17partition_subalgoE3EjNS0_10empty_typeEbEEZZNS1_14partition_implILS8_3ELb0ES6_jNS0_17counting_iteratorIjlEEPS9_SE_NS0_5tupleIJPjSE_EEENSF_IJSE_SE_EEES9_SG_JZNS1_25segmented_radix_sort_implINS0_14default_configELb0EPK12hip_bfloat16PSL_PKlPlN2at6native12_GLOBAL__N_18offset_tEEE10hipError_tPvRmT1_PNSt15iterator_traitsISZ_E10value_typeET2_T3_PNS10_IS15_E10value_typeET4_jRbjT5_S1B_jjP12ihipStream_tbEUljE_EEESW_SX_SY_S15_S19_S1B_T6_T7_T9_mT8_S1D_bDpT10_ENKUlT_T0_E_clISt17integral_constantIbLb0EES1P_IbLb1EEEEDaS1L_S1M_EUlS1L_E_NS1_11comp_targetILNS1_3genE10ELNS1_11target_archE1200ELNS1_3gpuE4ELNS1_3repE0EEENS1_30default_config_static_selectorELNS0_4arch9wavefront6targetE0EEEvSZ_,comdat
.Lfunc_end2046:
	.size	_ZN7rocprim17ROCPRIM_400000_NS6detail17trampoline_kernelINS0_13select_configILj256ELj13ELNS0_17block_load_methodE3ELS4_3ELS4_3ELNS0_20block_scan_algorithmE0ELj4294967295EEENS1_25partition_config_selectorILNS1_17partition_subalgoE3EjNS0_10empty_typeEbEEZZNS1_14partition_implILS8_3ELb0ES6_jNS0_17counting_iteratorIjlEEPS9_SE_NS0_5tupleIJPjSE_EEENSF_IJSE_SE_EEES9_SG_JZNS1_25segmented_radix_sort_implINS0_14default_configELb0EPK12hip_bfloat16PSL_PKlPlN2at6native12_GLOBAL__N_18offset_tEEE10hipError_tPvRmT1_PNSt15iterator_traitsISZ_E10value_typeET2_T3_PNS10_IS15_E10value_typeET4_jRbjT5_S1B_jjP12ihipStream_tbEUljE_EEESW_SX_SY_S15_S19_S1B_T6_T7_T9_mT8_S1D_bDpT10_ENKUlT_T0_E_clISt17integral_constantIbLb0EES1P_IbLb1EEEEDaS1L_S1M_EUlS1L_E_NS1_11comp_targetILNS1_3genE10ELNS1_11target_archE1200ELNS1_3gpuE4ELNS1_3repE0EEENS1_30default_config_static_selectorELNS0_4arch9wavefront6targetE0EEEvSZ_, .Lfunc_end2046-_ZN7rocprim17ROCPRIM_400000_NS6detail17trampoline_kernelINS0_13select_configILj256ELj13ELNS0_17block_load_methodE3ELS4_3ELS4_3ELNS0_20block_scan_algorithmE0ELj4294967295EEENS1_25partition_config_selectorILNS1_17partition_subalgoE3EjNS0_10empty_typeEbEEZZNS1_14partition_implILS8_3ELb0ES6_jNS0_17counting_iteratorIjlEEPS9_SE_NS0_5tupleIJPjSE_EEENSF_IJSE_SE_EEES9_SG_JZNS1_25segmented_radix_sort_implINS0_14default_configELb0EPK12hip_bfloat16PSL_PKlPlN2at6native12_GLOBAL__N_18offset_tEEE10hipError_tPvRmT1_PNSt15iterator_traitsISZ_E10value_typeET2_T3_PNS10_IS15_E10value_typeET4_jRbjT5_S1B_jjP12ihipStream_tbEUljE_EEESW_SX_SY_S15_S19_S1B_T6_T7_T9_mT8_S1D_bDpT10_ENKUlT_T0_E_clISt17integral_constantIbLb0EES1P_IbLb1EEEEDaS1L_S1M_EUlS1L_E_NS1_11comp_targetILNS1_3genE10ELNS1_11target_archE1200ELNS1_3gpuE4ELNS1_3repE0EEENS1_30default_config_static_selectorELNS0_4arch9wavefront6targetE0EEEvSZ_
                                        ; -- End function
	.section	.AMDGPU.csdata,"",@progbits
; Kernel info:
; codeLenInByte = 0
; NumSgprs: 0
; NumVgprs: 0
; ScratchSize: 0
; MemoryBound: 0
; FloatMode: 240
; IeeeMode: 1
; LDSByteSize: 0 bytes/workgroup (compile time only)
; SGPRBlocks: 0
; VGPRBlocks: 0
; NumSGPRsForWavesPerEU: 1
; NumVGPRsForWavesPerEU: 1
; Occupancy: 16
; WaveLimiterHint : 0
; COMPUTE_PGM_RSRC2:SCRATCH_EN: 0
; COMPUTE_PGM_RSRC2:USER_SGPR: 15
; COMPUTE_PGM_RSRC2:TRAP_HANDLER: 0
; COMPUTE_PGM_RSRC2:TGID_X_EN: 1
; COMPUTE_PGM_RSRC2:TGID_Y_EN: 0
; COMPUTE_PGM_RSRC2:TGID_Z_EN: 0
; COMPUTE_PGM_RSRC2:TIDIG_COMP_CNT: 0
	.section	.text._ZN7rocprim17ROCPRIM_400000_NS6detail17trampoline_kernelINS0_13select_configILj256ELj13ELNS0_17block_load_methodE3ELS4_3ELS4_3ELNS0_20block_scan_algorithmE0ELj4294967295EEENS1_25partition_config_selectorILNS1_17partition_subalgoE3EjNS0_10empty_typeEbEEZZNS1_14partition_implILS8_3ELb0ES6_jNS0_17counting_iteratorIjlEEPS9_SE_NS0_5tupleIJPjSE_EEENSF_IJSE_SE_EEES9_SG_JZNS1_25segmented_radix_sort_implINS0_14default_configELb0EPK12hip_bfloat16PSL_PKlPlN2at6native12_GLOBAL__N_18offset_tEEE10hipError_tPvRmT1_PNSt15iterator_traitsISZ_E10value_typeET2_T3_PNS10_IS15_E10value_typeET4_jRbjT5_S1B_jjP12ihipStream_tbEUljE_EEESW_SX_SY_S15_S19_S1B_T6_T7_T9_mT8_S1D_bDpT10_ENKUlT_T0_E_clISt17integral_constantIbLb0EES1P_IbLb1EEEEDaS1L_S1M_EUlS1L_E_NS1_11comp_targetILNS1_3genE9ELNS1_11target_archE1100ELNS1_3gpuE3ELNS1_3repE0EEENS1_30default_config_static_selectorELNS0_4arch9wavefront6targetE0EEEvSZ_,"axG",@progbits,_ZN7rocprim17ROCPRIM_400000_NS6detail17trampoline_kernelINS0_13select_configILj256ELj13ELNS0_17block_load_methodE3ELS4_3ELS4_3ELNS0_20block_scan_algorithmE0ELj4294967295EEENS1_25partition_config_selectorILNS1_17partition_subalgoE3EjNS0_10empty_typeEbEEZZNS1_14partition_implILS8_3ELb0ES6_jNS0_17counting_iteratorIjlEEPS9_SE_NS0_5tupleIJPjSE_EEENSF_IJSE_SE_EEES9_SG_JZNS1_25segmented_radix_sort_implINS0_14default_configELb0EPK12hip_bfloat16PSL_PKlPlN2at6native12_GLOBAL__N_18offset_tEEE10hipError_tPvRmT1_PNSt15iterator_traitsISZ_E10value_typeET2_T3_PNS10_IS15_E10value_typeET4_jRbjT5_S1B_jjP12ihipStream_tbEUljE_EEESW_SX_SY_S15_S19_S1B_T6_T7_T9_mT8_S1D_bDpT10_ENKUlT_T0_E_clISt17integral_constantIbLb0EES1P_IbLb1EEEEDaS1L_S1M_EUlS1L_E_NS1_11comp_targetILNS1_3genE9ELNS1_11target_archE1100ELNS1_3gpuE3ELNS1_3repE0EEENS1_30default_config_static_selectorELNS0_4arch9wavefront6targetE0EEEvSZ_,comdat
	.globl	_ZN7rocprim17ROCPRIM_400000_NS6detail17trampoline_kernelINS0_13select_configILj256ELj13ELNS0_17block_load_methodE3ELS4_3ELS4_3ELNS0_20block_scan_algorithmE0ELj4294967295EEENS1_25partition_config_selectorILNS1_17partition_subalgoE3EjNS0_10empty_typeEbEEZZNS1_14partition_implILS8_3ELb0ES6_jNS0_17counting_iteratorIjlEEPS9_SE_NS0_5tupleIJPjSE_EEENSF_IJSE_SE_EEES9_SG_JZNS1_25segmented_radix_sort_implINS0_14default_configELb0EPK12hip_bfloat16PSL_PKlPlN2at6native12_GLOBAL__N_18offset_tEEE10hipError_tPvRmT1_PNSt15iterator_traitsISZ_E10value_typeET2_T3_PNS10_IS15_E10value_typeET4_jRbjT5_S1B_jjP12ihipStream_tbEUljE_EEESW_SX_SY_S15_S19_S1B_T6_T7_T9_mT8_S1D_bDpT10_ENKUlT_T0_E_clISt17integral_constantIbLb0EES1P_IbLb1EEEEDaS1L_S1M_EUlS1L_E_NS1_11comp_targetILNS1_3genE9ELNS1_11target_archE1100ELNS1_3gpuE3ELNS1_3repE0EEENS1_30default_config_static_selectorELNS0_4arch9wavefront6targetE0EEEvSZ_ ; -- Begin function _ZN7rocprim17ROCPRIM_400000_NS6detail17trampoline_kernelINS0_13select_configILj256ELj13ELNS0_17block_load_methodE3ELS4_3ELS4_3ELNS0_20block_scan_algorithmE0ELj4294967295EEENS1_25partition_config_selectorILNS1_17partition_subalgoE3EjNS0_10empty_typeEbEEZZNS1_14partition_implILS8_3ELb0ES6_jNS0_17counting_iteratorIjlEEPS9_SE_NS0_5tupleIJPjSE_EEENSF_IJSE_SE_EEES9_SG_JZNS1_25segmented_radix_sort_implINS0_14default_configELb0EPK12hip_bfloat16PSL_PKlPlN2at6native12_GLOBAL__N_18offset_tEEE10hipError_tPvRmT1_PNSt15iterator_traitsISZ_E10value_typeET2_T3_PNS10_IS15_E10value_typeET4_jRbjT5_S1B_jjP12ihipStream_tbEUljE_EEESW_SX_SY_S15_S19_S1B_T6_T7_T9_mT8_S1D_bDpT10_ENKUlT_T0_E_clISt17integral_constantIbLb0EES1P_IbLb1EEEEDaS1L_S1M_EUlS1L_E_NS1_11comp_targetILNS1_3genE9ELNS1_11target_archE1100ELNS1_3gpuE3ELNS1_3repE0EEENS1_30default_config_static_selectorELNS0_4arch9wavefront6targetE0EEEvSZ_
	.p2align	8
	.type	_ZN7rocprim17ROCPRIM_400000_NS6detail17trampoline_kernelINS0_13select_configILj256ELj13ELNS0_17block_load_methodE3ELS4_3ELS4_3ELNS0_20block_scan_algorithmE0ELj4294967295EEENS1_25partition_config_selectorILNS1_17partition_subalgoE3EjNS0_10empty_typeEbEEZZNS1_14partition_implILS8_3ELb0ES6_jNS0_17counting_iteratorIjlEEPS9_SE_NS0_5tupleIJPjSE_EEENSF_IJSE_SE_EEES9_SG_JZNS1_25segmented_radix_sort_implINS0_14default_configELb0EPK12hip_bfloat16PSL_PKlPlN2at6native12_GLOBAL__N_18offset_tEEE10hipError_tPvRmT1_PNSt15iterator_traitsISZ_E10value_typeET2_T3_PNS10_IS15_E10value_typeET4_jRbjT5_S1B_jjP12ihipStream_tbEUljE_EEESW_SX_SY_S15_S19_S1B_T6_T7_T9_mT8_S1D_bDpT10_ENKUlT_T0_E_clISt17integral_constantIbLb0EES1P_IbLb1EEEEDaS1L_S1M_EUlS1L_E_NS1_11comp_targetILNS1_3genE9ELNS1_11target_archE1100ELNS1_3gpuE3ELNS1_3repE0EEENS1_30default_config_static_selectorELNS0_4arch9wavefront6targetE0EEEvSZ_,@function
_ZN7rocprim17ROCPRIM_400000_NS6detail17trampoline_kernelINS0_13select_configILj256ELj13ELNS0_17block_load_methodE3ELS4_3ELS4_3ELNS0_20block_scan_algorithmE0ELj4294967295EEENS1_25partition_config_selectorILNS1_17partition_subalgoE3EjNS0_10empty_typeEbEEZZNS1_14partition_implILS8_3ELb0ES6_jNS0_17counting_iteratorIjlEEPS9_SE_NS0_5tupleIJPjSE_EEENSF_IJSE_SE_EEES9_SG_JZNS1_25segmented_radix_sort_implINS0_14default_configELb0EPK12hip_bfloat16PSL_PKlPlN2at6native12_GLOBAL__N_18offset_tEEE10hipError_tPvRmT1_PNSt15iterator_traitsISZ_E10value_typeET2_T3_PNS10_IS15_E10value_typeET4_jRbjT5_S1B_jjP12ihipStream_tbEUljE_EEESW_SX_SY_S15_S19_S1B_T6_T7_T9_mT8_S1D_bDpT10_ENKUlT_T0_E_clISt17integral_constantIbLb0EES1P_IbLb1EEEEDaS1L_S1M_EUlS1L_E_NS1_11comp_targetILNS1_3genE9ELNS1_11target_archE1100ELNS1_3gpuE3ELNS1_3repE0EEENS1_30default_config_static_selectorELNS0_4arch9wavefront6targetE0EEEvSZ_: ; @_ZN7rocprim17ROCPRIM_400000_NS6detail17trampoline_kernelINS0_13select_configILj256ELj13ELNS0_17block_load_methodE3ELS4_3ELS4_3ELNS0_20block_scan_algorithmE0ELj4294967295EEENS1_25partition_config_selectorILNS1_17partition_subalgoE3EjNS0_10empty_typeEbEEZZNS1_14partition_implILS8_3ELb0ES6_jNS0_17counting_iteratorIjlEEPS9_SE_NS0_5tupleIJPjSE_EEENSF_IJSE_SE_EEES9_SG_JZNS1_25segmented_radix_sort_implINS0_14default_configELb0EPK12hip_bfloat16PSL_PKlPlN2at6native12_GLOBAL__N_18offset_tEEE10hipError_tPvRmT1_PNSt15iterator_traitsISZ_E10value_typeET2_T3_PNS10_IS15_E10value_typeET4_jRbjT5_S1B_jjP12ihipStream_tbEUljE_EEESW_SX_SY_S15_S19_S1B_T6_T7_T9_mT8_S1D_bDpT10_ENKUlT_T0_E_clISt17integral_constantIbLb0EES1P_IbLb1EEEEDaS1L_S1M_EUlS1L_E_NS1_11comp_targetILNS1_3genE9ELNS1_11target_archE1100ELNS1_3gpuE3ELNS1_3repE0EEENS1_30default_config_static_selectorELNS0_4arch9wavefront6targetE0EEEvSZ_
; %bb.0:
	s_clause 0x6
	s_load_b64 s[16:17], s[0:1], 0x10
	s_load_b64 s[12:13], s[0:1], 0x28
	;; [unrolled: 1-line block ×3, first 2 shown]
	s_load_b128 s[8:11], s[0:1], 0x48
	s_load_b32 s3, s[0:1], 0x90
	s_load_b64 s[18:19], s[0:1], 0x68
	s_load_b128 s[4:7], s[0:1], 0x80
	v_cmp_eq_u32_e64 s2, 0, v0
	s_delay_alu instid0(VALU_DEP_1)
	s_and_saveexec_b32 s20, s2
	s_cbranch_execz .LBB2047_4
; %bb.1:
	s_mov_b32 s22, exec_lo
	s_mov_b32 s21, exec_lo
	v_mbcnt_lo_u32_b32 v1, s22, 0
                                        ; implicit-def: $vgpr2
	s_delay_alu instid0(VALU_DEP_1)
	v_cmpx_eq_u32_e32 0, v1
	s_cbranch_execz .LBB2047_3
; %bb.2:
	s_load_b64 s[24:25], s[0:1], 0x78
	s_bcnt1_i32_b32 s22, s22
	s_delay_alu instid0(SALU_CYCLE_1)
	v_dual_mov_b32 v2, 0 :: v_dual_mov_b32 v3, s22
	s_waitcnt lgkmcnt(0)
	global_atomic_add_u32 v2, v2, v3, s[24:25] glc
.LBB2047_3:
	s_or_b32 exec_lo, exec_lo, s21
	s_waitcnt vmcnt(0)
	v_readfirstlane_b32 s21, v2
	s_delay_alu instid0(VALU_DEP_1)
	v_dual_mov_b32 v2, 0 :: v_dual_add_nc_u32 v1, s21, v1
	ds_store_b32 v2, v1
.LBB2047_4:
	s_or_b32 exec_lo, exec_lo, s20
	v_mov_b32_e32 v1, 0
	s_clause 0x1
	s_load_b32 s20, s[0:1], 0x8
	s_load_b32 s0, s[0:1], 0x70
	s_waitcnt lgkmcnt(0)
	s_barrier
	buffer_gl0_inv
	ds_load_b32 v2, v1
	s_waitcnt lgkmcnt(0)
	s_barrier
	buffer_gl0_inv
	global_load_b64 v[18:19], v1, s[10:11]
	v_lshlrev_b32_e32 v33, 2, v0
	s_add_i32 s21, s20, s16
	s_mul_i32 s1, s0, 0xd00
	s_add_i32 s0, s0, -1
	s_add_u32 s10, s16, s1
	s_addc_u32 s11, s17, 0
	v_mul_lo_u32 v32, 0xd00, v2
	v_readfirstlane_b32 s20, v2
	v_cmp_lt_u64_e64 s11, s[10:11], s[14:15]
	v_cmp_ne_u32_e32 vcc_lo, s0, v2
	s_delay_alu instid0(VALU_DEP_3) | instskip(SKIP_1) | instid1(VALU_DEP_4)
	s_cmp_eq_u32 s20, s0
	s_cselect_b32 s10, -1, 0
	v_add3_u32 v1, v32, s21, v0
	s_delay_alu instid0(VALU_DEP_3) | instskip(SKIP_2) | instid1(VALU_DEP_1)
	s_or_b32 s0, s11, vcc_lo
	s_mov_b32 s11, -1
	s_and_b32 vcc_lo, exec_lo, s0
	v_add_nc_u32_e32 v2, 0x100, v1
	v_add_nc_u32_e32 v3, 0x200, v1
	;; [unrolled: 1-line block ×12, first 2 shown]
	s_cbranch_vccz .LBB2047_6
; %bb.5:
	ds_store_2addr_stride64_b32 v33, v1, v2 offset1:4
	ds_store_2addr_stride64_b32 v33, v3, v4 offset0:8 offset1:12
	ds_store_2addr_stride64_b32 v33, v5, v6 offset0:16 offset1:20
	;; [unrolled: 1-line block ×5, first 2 shown]
	ds_store_b32 v33, v13 offset:12288
	s_waitcnt vmcnt(0) lgkmcnt(0)
	s_mov_b32 s11, 0
	s_barrier
.LBB2047_6:
	s_and_not1_b32 vcc_lo, exec_lo, s11
	s_add_i32 s1, s1, s16
	s_cbranch_vccnz .LBB2047_8
; %bb.7:
	ds_store_2addr_stride64_b32 v33, v1, v2 offset1:4
	ds_store_2addr_stride64_b32 v33, v3, v4 offset0:8 offset1:12
	ds_store_2addr_stride64_b32 v33, v5, v6 offset0:16 offset1:20
	;; [unrolled: 1-line block ×5, first 2 shown]
	ds_store_b32 v33, v13 offset:12288
	s_waitcnt vmcnt(0) lgkmcnt(0)
	s_barrier
.LBB2047_8:
	v_mul_u32_u24_e32 v36, 13, v0
	s_waitcnt vmcnt(0)
	buffer_gl0_inv
	v_cndmask_b32_e64 v34, 0, 1, s0
	s_sub_i32 s11, s14, s1
	s_and_not1_b32 vcc_lo, exec_lo, s0
	v_lshlrev_b32_e32 v1, 2, v36
	ds_load_2addr_b32 v[30:31], v1 offset1:1
	ds_load_2addr_b32 v[28:29], v1 offset0:2 offset1:3
	ds_load_2addr_b32 v[26:27], v1 offset0:4 offset1:5
	;; [unrolled: 1-line block ×5, first 2 shown]
	ds_load_b32 v35, v1 offset:48
	s_waitcnt lgkmcnt(0)
	s_barrier
	buffer_gl0_inv
	s_cbranch_vccnz .LBB2047_10
; %bb.9:
	v_add_nc_u32_e32 v1, s5, v30
	v_add_nc_u32_e32 v2, s7, v30
	;; [unrolled: 1-line block ×5, first 2 shown]
	v_mul_lo_u32 v1, v1, s4
	v_mul_lo_u32 v2, v2, s6
	;; [unrolled: 1-line block ×4, first 2 shown]
	v_add_nc_u32_e32 v6, s7, v28
	v_add_nc_u32_e32 v7, s5, v29
	;; [unrolled: 1-line block ×3, first 2 shown]
	v_mul_lo_u32 v5, v5, s4
	v_add_nc_u32_e32 v9, s5, v24
	v_sub_nc_u32_e32 v1, v1, v2
	v_mul_lo_u32 v2, v6, s6
	v_sub_nc_u32_e32 v3, v3, v4
	v_mul_lo_u32 v4, v7, s4
	v_mul_lo_u32 v6, v8, s6
	v_add_nc_u32_e32 v7, s5, v26
	v_cmp_lt_u32_e32 vcc_lo, s3, v1
	v_add_nc_u32_e32 v8, s5, v27
	v_add_nc_u32_e32 v10, s7, v24
	v_sub_nc_u32_e32 v2, v5, v2
	v_add_nc_u32_e32 v5, s7, v26
	v_cndmask_b32_e64 v1, 0, 1, vcc_lo
	v_sub_nc_u32_e32 v4, v4, v6
	v_mul_lo_u32 v6, v7, s4
	v_add_nc_u32_e32 v7, s7, v27
	v_cmp_lt_u32_e32 vcc_lo, s3, v3
	v_mul_lo_u32 v5, v5, s6
	v_mul_lo_u32 v8, v8, s4
	;; [unrolled: 1-line block ×4, first 2 shown]
	v_cndmask_b32_e64 v3, 0, 1, vcc_lo
	v_cmp_lt_u32_e32 vcc_lo, s3, v2
	v_mul_lo_u32 v10, v10, s6
	v_add_nc_u32_e32 v11, s5, v22
	v_sub_nc_u32_e32 v5, v6, v5
	v_add_nc_u32_e32 v12, s7, v22
	v_cndmask_b32_e64 v2, 0, 1, vcc_lo
	v_sub_nc_u32_e32 v6, v8, v7
	v_add_nc_u32_e32 v7, s5, v25
	v_add_nc_u32_e32 v8, s7, v25
	v_cmp_lt_u32_e32 vcc_lo, s3, v4
	v_sub_nc_u32_e32 v9, v9, v10
	v_mul_lo_u32 v10, v11, s4
	v_mul_lo_u32 v7, v7, s4
	;; [unrolled: 1-line block ×4, first 2 shown]
	v_cndmask_b32_e64 v4, 0, 1, vcc_lo
	v_cmp_lt_u32_e32 vcc_lo, s3, v5
	v_add_nc_u32_e32 v12, s5, v23
	v_add_nc_u32_e32 v13, s7, v20
	v_add_nc_u32_e32 v14, s5, v21
	v_add_nc_u32_e32 v15, s7, v21
	v_cndmask_b32_e64 v5, 0, 1, vcc_lo
	v_cmp_lt_u32_e32 vcc_lo, s3, v6
	v_sub_nc_u32_e32 v7, v7, v8
	v_sub_nc_u32_e32 v8, v10, v11
	v_add_nc_u32_e32 v11, s7, v23
	v_mul_lo_u32 v10, v12, s4
	v_cndmask_b32_e64 v6, 0, 1, vcc_lo
	v_cmp_lt_u32_e32 vcc_lo, s3, v9
	v_add_nc_u32_e32 v12, s5, v20
	v_mul_lo_u32 v11, v11, s6
	v_mul_lo_u32 v13, v13, s6
	;; [unrolled: 1-line block ×3, first 2 shown]
	v_cndmask_b32_e64 v9, 0, 1, vcc_lo
	v_cmp_lt_u32_e32 vcc_lo, s3, v7
	v_mul_lo_u32 v12, v12, s4
	v_mul_lo_u32 v15, v15, s6
	v_lshlrev_b16 v3, 8, v3
	v_sub_nc_u32_e32 v10, v10, v11
	v_cndmask_b32_e64 v7, 0, 1, vcc_lo
	v_cmp_lt_u32_e32 vcc_lo, s3, v8
	v_add_nc_u32_e32 v11, s5, v35
	v_or_b32_e32 v1, v1, v3
	v_sub_nc_u32_e32 v12, v12, v13
	v_sub_nc_u32_e32 v13, v14, v15
	v_cndmask_b32_e64 v8, 0, 1, vcc_lo
	v_cmp_lt_u32_e32 vcc_lo, s3, v10
	v_add_nc_u32_e32 v16, s7, v35
	v_mul_lo_u32 v11, v11, s4
	v_lshlrev_b16 v4, 8, v4
	v_lshlrev_b16 v6, 8, v6
	v_cndmask_b32_e64 v10, 0, 1, vcc_lo
	v_cmp_lt_u32_e32 vcc_lo, s3, v12
	v_mul_lo_u32 v14, v16, s6
	v_lshlrev_b16 v7, 8, v7
	v_or_b32_e32 v2, v2, v4
	v_lshlrev_b16 v10, 8, v10
	v_cndmask_b32_e64 v3, 0, 1, vcc_lo
	v_cmp_lt_u32_e32 vcc_lo, s3, v13
	v_or_b32_e32 v4, v5, v6
	v_or_b32_e32 v5, v9, v7
	v_sub_nc_u32_e32 v11, v11, v14
	v_or_b32_e32 v6, v8, v10
	v_cndmask_b32_e64 v12, 0, 1, vcc_lo
	v_and_b32_e32 v1, 0xffff, v1
	v_lshlrev_b32_e32 v2, 16, v2
	v_and_b32_e32 v4, 0xffff, v4
	v_lshlrev_b32_e32 v5, 16, v5
	v_lshlrev_b16 v12, 8, v12
	v_and_b32_e32 v6, 0xffff, v6
	v_cmp_lt_u32_e32 vcc_lo, s3, v11
	v_or_b32_e32 v42, v1, v2
	v_or_b32_e32 v40, v4, v5
	v_or_b32_e32 v3, v3, v12
	v_cndmask_b32_e64 v37, 0, 1, vcc_lo
	s_delay_alu instid0(VALU_DEP_2) | instskip(NEXT) | instid1(VALU_DEP_1)
	v_lshlrev_b32_e32 v3, 16, v3
	v_or_b32_e32 v38, v6, v3
	s_addk_i32 s11, 0xd00
	s_cbranch_execz .LBB2047_11
	s_branch .LBB2047_38
.LBB2047_10:
                                        ; implicit-def: $vgpr37
                                        ; implicit-def: $vgpr38
                                        ; implicit-def: $vgpr40
                                        ; implicit-def: $vgpr42
	s_addk_i32 s11, 0xd00
.LBB2047_11:
	v_dual_mov_b32 v2, 0 :: v_dual_mov_b32 v1, 0
	s_mov_b32 s0, exec_lo
	v_cmpx_gt_u32_e64 s11, v36
; %bb.12:
	v_add_nc_u32_e32 v1, s5, v30
	v_add_nc_u32_e32 v3, s7, v30
	s_delay_alu instid0(VALU_DEP_2) | instskip(NEXT) | instid1(VALU_DEP_2)
	v_mul_lo_u32 v1, v1, s4
	v_mul_lo_u32 v3, v3, s6
	s_delay_alu instid0(VALU_DEP_1) | instskip(NEXT) | instid1(VALU_DEP_1)
	v_sub_nc_u32_e32 v1, v1, v3
	v_cmp_lt_u32_e32 vcc_lo, s3, v1
	v_cndmask_b32_e64 v1, 0, 1, vcc_lo
; %bb.13:
	s_or_b32 exec_lo, exec_lo, s0
	v_add_nc_u32_e32 v3, 1, v36
	s_mov_b32 s0, exec_lo
	s_delay_alu instid0(VALU_DEP_1)
	v_cmpx_gt_u32_e64 s11, v3
; %bb.14:
	v_add_nc_u32_e32 v2, s5, v31
	v_add_nc_u32_e32 v3, s7, v31
	s_delay_alu instid0(VALU_DEP_2) | instskip(NEXT) | instid1(VALU_DEP_2)
	v_mul_lo_u32 v2, v2, s4
	v_mul_lo_u32 v3, v3, s6
	s_delay_alu instid0(VALU_DEP_1) | instskip(NEXT) | instid1(VALU_DEP_1)
	v_sub_nc_u32_e32 v2, v2, v3
	v_cmp_lt_u32_e32 vcc_lo, s3, v2
	v_cndmask_b32_e64 v2, 0, 1, vcc_lo
; %bb.15:
	s_or_b32 exec_lo, exec_lo, s0
	v_dual_mov_b32 v4, 0 :: v_dual_add_nc_u32 v3, 2, v36
	s_delay_alu instid0(VALU_DEP_1)
	v_cmp_gt_u32_e32 vcc_lo, s11, v3
	v_mov_b32_e32 v3, 0
	s_and_saveexec_b32 s0, vcc_lo
; %bb.16:
	v_add_nc_u32_e32 v3, s5, v28
	v_add_nc_u32_e32 v5, s7, v28
	s_delay_alu instid0(VALU_DEP_2) | instskip(NEXT) | instid1(VALU_DEP_2)
	v_mul_lo_u32 v3, v3, s4
	v_mul_lo_u32 v5, v5, s6
	s_delay_alu instid0(VALU_DEP_1) | instskip(NEXT) | instid1(VALU_DEP_1)
	v_sub_nc_u32_e32 v3, v3, v5
	v_cmp_lt_u32_e32 vcc_lo, s3, v3
	v_cndmask_b32_e64 v3, 0, 1, vcc_lo
; %bb.17:
	s_or_b32 exec_lo, exec_lo, s0
	v_add_nc_u32_e32 v5, 3, v36
	s_mov_b32 s0, exec_lo
	s_delay_alu instid0(VALU_DEP_1)
	v_cmpx_gt_u32_e64 s11, v5
; %bb.18:
	v_add_nc_u32_e32 v4, s5, v29
	v_add_nc_u32_e32 v5, s7, v29
	s_delay_alu instid0(VALU_DEP_2) | instskip(NEXT) | instid1(VALU_DEP_2)
	v_mul_lo_u32 v4, v4, s4
	v_mul_lo_u32 v5, v5, s6
	s_delay_alu instid0(VALU_DEP_1) | instskip(NEXT) | instid1(VALU_DEP_1)
	v_sub_nc_u32_e32 v4, v4, v5
	v_cmp_lt_u32_e32 vcc_lo, s3, v4
	v_cndmask_b32_e64 v4, 0, 1, vcc_lo
; %bb.19:
	s_or_b32 exec_lo, exec_lo, s0
	v_dual_mov_b32 v6, 0 :: v_dual_add_nc_u32 v5, 4, v36
	s_delay_alu instid0(VALU_DEP_1)
	v_cmp_gt_u32_e32 vcc_lo, s11, v5
	v_mov_b32_e32 v5, 0
	s_and_saveexec_b32 s0, vcc_lo
	;; [unrolled: 33-line block ×5, first 2 shown]
; %bb.32:
	v_add_nc_u32_e32 v11, s5, v20
	v_add_nc_u32_e32 v13, s7, v20
	s_delay_alu instid0(VALU_DEP_2) | instskip(NEXT) | instid1(VALU_DEP_2)
	v_mul_lo_u32 v11, v11, s4
	v_mul_lo_u32 v13, v13, s6
	s_delay_alu instid0(VALU_DEP_1) | instskip(NEXT) | instid1(VALU_DEP_1)
	v_sub_nc_u32_e32 v11, v11, v13
	v_cmp_lt_u32_e32 vcc_lo, s3, v11
	v_cndmask_b32_e64 v11, 0, 1, vcc_lo
; %bb.33:
	s_or_b32 exec_lo, exec_lo, s0
	v_add_nc_u32_e32 v13, 11, v36
	s_mov_b32 s0, exec_lo
	s_delay_alu instid0(VALU_DEP_1)
	v_cmpx_gt_u32_e64 s11, v13
; %bb.34:
	v_add_nc_u32_e32 v12, s5, v21
	v_add_nc_u32_e32 v13, s7, v21
	s_delay_alu instid0(VALU_DEP_2) | instskip(NEXT) | instid1(VALU_DEP_2)
	v_mul_lo_u32 v12, v12, s4
	v_mul_lo_u32 v13, v13, s6
	s_delay_alu instid0(VALU_DEP_1) | instskip(NEXT) | instid1(VALU_DEP_1)
	v_sub_nc_u32_e32 v12, v12, v13
	v_cmp_lt_u32_e32 vcc_lo, s3, v12
	v_cndmask_b32_e64 v12, 0, 1, vcc_lo
; %bb.35:
	s_or_b32 exec_lo, exec_lo, s0
	v_add_nc_u32_e32 v13, 12, v36
	v_mov_b32_e32 v37, 0
	s_mov_b32 s0, exec_lo
	s_delay_alu instid0(VALU_DEP_2)
	v_cmpx_gt_u32_e64 s11, v13
; %bb.36:
	v_add_nc_u32_e32 v13, s5, v35
	v_add_nc_u32_e32 v14, s7, v35
	s_delay_alu instid0(VALU_DEP_2) | instskip(NEXT) | instid1(VALU_DEP_2)
	v_mul_lo_u32 v13, v13, s4
	v_mul_lo_u32 v14, v14, s6
	s_delay_alu instid0(VALU_DEP_1) | instskip(NEXT) | instid1(VALU_DEP_1)
	v_sub_nc_u32_e32 v13, v13, v14
	v_cmp_lt_u32_e32 vcc_lo, s3, v13
	v_cndmask_b32_e64 v37, 0, 1, vcc_lo
; %bb.37:
	s_or_b32 exec_lo, exec_lo, s0
	v_lshlrev_b16 v2, 8, v2
	v_lshlrev_b16 v4, 8, v4
	;; [unrolled: 1-line block ×5, first 2 shown]
	v_or_b32_e32 v1, v1, v2
	v_lshlrev_b16 v2, 8, v12
	v_or_b32_e32 v3, v3, v4
	v_or_b32_e32 v4, v5, v6
	;; [unrolled: 1-line block ×5, first 2 shown]
	v_and_b32_e32 v1, 0xffff, v1
	v_lshlrev_b32_e32 v3, 16, v3
	v_and_b32_e32 v4, 0xffff, v4
	v_lshlrev_b32_e32 v5, 16, v5
	;; [unrolled: 2-line block ×3, first 2 shown]
	v_or_b32_e32 v42, v1, v3
	s_delay_alu instid0(VALU_DEP_4) | instskip(NEXT) | instid1(VALU_DEP_3)
	v_or_b32_e32 v40, v4, v5
	v_or_b32_e32 v38, v6, v2
.LBB2047_38:
	s_delay_alu instid0(VALU_DEP_3)
	v_and_b32_e32 v44, 0xff, v42
	v_bfe_u32 v45, v42, 8, 8
	v_bfe_u32 v46, v42, 16, 8
	v_lshrrev_b32_e32 v43, 24, v42
	v_and_b32_e32 v47, 0xff, v40
	v_bfe_u32 v48, v40, 8, 8
	v_bfe_u32 v49, v40, 16, 8
	v_add3_u32 v1, v45, v44, v46
	v_lshrrev_b32_e32 v41, 24, v40
	v_and_b32_e32 v50, 0xff, v38
	v_bfe_u32 v51, v38, 8, 8
	v_mbcnt_lo_u32_b32 v53, -1, 0
	v_add3_u32 v1, v1, v43, v47
	v_bfe_u32 v52, v38, 16, 8
	v_lshrrev_b32_e32 v39, 24, v38
	v_and_b32_e32 v2, 0xff, v37
	v_and_b32_e32 v3, 15, v53
	v_add3_u32 v1, v1, v48, v49
	v_or_b32_e32 v4, 31, v0
	v_and_b32_e32 v5, 16, v53
	v_lshrrev_b32_e32 v54, 5, v0
	v_cmp_eq_u32_e64 s6, 0, v3
	v_add3_u32 v1, v1, v41, v50
	v_cmp_lt_u32_e64 s5, 1, v3
	v_cmp_lt_u32_e64 s4, 3, v3
	;; [unrolled: 1-line block ×3, first 2 shown]
	v_cmp_eq_u32_e64 s1, 0, v5
	v_add3_u32 v1, v1, v51, v52
	v_cmp_eq_u32_e64 s0, v4, v0
	s_cmp_lg_u32 s20, 0
	s_mov_b32 s7, -1
	s_delay_alu instid0(VALU_DEP_2)
	v_add3_u32 v55, v1, v39, v2
	s_cbranch_scc0 .LBB2047_64
; %bb.39:
	s_delay_alu instid0(VALU_DEP_1) | instskip(NEXT) | instid1(VALU_DEP_1)
	v_mov_b32_dpp v1, v55 row_shr:1 row_mask:0xf bank_mask:0xf
	v_cndmask_b32_e64 v1, v1, 0, s6
	s_delay_alu instid0(VALU_DEP_1) | instskip(NEXT) | instid1(VALU_DEP_1)
	v_add_nc_u32_e32 v1, v1, v55
	v_mov_b32_dpp v2, v1 row_shr:2 row_mask:0xf bank_mask:0xf
	s_delay_alu instid0(VALU_DEP_1) | instskip(NEXT) | instid1(VALU_DEP_1)
	v_cndmask_b32_e64 v2, 0, v2, s5
	v_add_nc_u32_e32 v1, v1, v2
	s_delay_alu instid0(VALU_DEP_1) | instskip(NEXT) | instid1(VALU_DEP_1)
	v_mov_b32_dpp v2, v1 row_shr:4 row_mask:0xf bank_mask:0xf
	v_cndmask_b32_e64 v2, 0, v2, s4
	s_delay_alu instid0(VALU_DEP_1) | instskip(NEXT) | instid1(VALU_DEP_1)
	v_add_nc_u32_e32 v1, v1, v2
	v_mov_b32_dpp v2, v1 row_shr:8 row_mask:0xf bank_mask:0xf
	s_delay_alu instid0(VALU_DEP_1) | instskip(NEXT) | instid1(VALU_DEP_1)
	v_cndmask_b32_e64 v2, 0, v2, s3
	v_add_nc_u32_e32 v1, v1, v2
	ds_swizzle_b32 v2, v1 offset:swizzle(BROADCAST,32,15)
	s_waitcnt lgkmcnt(0)
	v_cndmask_b32_e64 v2, v2, 0, s1
	s_delay_alu instid0(VALU_DEP_1)
	v_add_nc_u32_e32 v1, v1, v2
	s_and_saveexec_b32 s7, s0
	s_cbranch_execz .LBB2047_41
; %bb.40:
	v_lshlrev_b32_e32 v2, 2, v54
	ds_store_b32 v2, v1
.LBB2047_41:
	s_or_b32 exec_lo, exec_lo, s7
	s_delay_alu instid0(SALU_CYCLE_1)
	s_mov_b32 s7, exec_lo
	s_waitcnt lgkmcnt(0)
	s_barrier
	buffer_gl0_inv
	v_cmpx_gt_u32_e32 8, v0
	s_cbranch_execz .LBB2047_43
; %bb.42:
	ds_load_b32 v2, v33
	s_waitcnt lgkmcnt(0)
	v_mov_b32_dpp v4, v2 row_shr:1 row_mask:0xf bank_mask:0xf
	v_and_b32_e32 v3, 7, v53
	s_delay_alu instid0(VALU_DEP_1) | instskip(NEXT) | instid1(VALU_DEP_3)
	v_cmp_ne_u32_e32 vcc_lo, 0, v3
	v_cndmask_b32_e32 v4, 0, v4, vcc_lo
	v_cmp_lt_u32_e32 vcc_lo, 1, v3
	s_delay_alu instid0(VALU_DEP_2) | instskip(NEXT) | instid1(VALU_DEP_1)
	v_add_nc_u32_e32 v2, v4, v2
	v_mov_b32_dpp v4, v2 row_shr:2 row_mask:0xf bank_mask:0xf
	s_delay_alu instid0(VALU_DEP_1) | instskip(SKIP_1) | instid1(VALU_DEP_2)
	v_cndmask_b32_e32 v4, 0, v4, vcc_lo
	v_cmp_lt_u32_e32 vcc_lo, 3, v3
	v_add_nc_u32_e32 v2, v2, v4
	s_delay_alu instid0(VALU_DEP_1) | instskip(NEXT) | instid1(VALU_DEP_1)
	v_mov_b32_dpp v4, v2 row_shr:4 row_mask:0xf bank_mask:0xf
	v_cndmask_b32_e32 v3, 0, v4, vcc_lo
	s_delay_alu instid0(VALU_DEP_1)
	v_add_nc_u32_e32 v2, v2, v3
	ds_store_b32 v33, v2
.LBB2047_43:
	s_or_b32 exec_lo, exec_lo, s7
	v_cmp_gt_u32_e32 vcc_lo, 32, v0
	s_mov_b32 s21, exec_lo
	s_waitcnt lgkmcnt(0)
	s_barrier
	buffer_gl0_inv
                                        ; implicit-def: $vgpr8
	v_cmpx_lt_u32_e32 31, v0
	s_cbranch_execz .LBB2047_45
; %bb.44:
	v_lshl_add_u32 v2, v54, 2, -4
	ds_load_b32 v8, v2
	s_waitcnt lgkmcnt(0)
	v_add_nc_u32_e32 v1, v8, v1
.LBB2047_45:
	s_or_b32 exec_lo, exec_lo, s21
	v_add_nc_u32_e32 v2, -1, v53
	s_delay_alu instid0(VALU_DEP_1) | instskip(NEXT) | instid1(VALU_DEP_1)
	v_cmp_gt_i32_e64 s7, 0, v2
	v_cndmask_b32_e64 v2, v2, v53, s7
	v_cmp_eq_u32_e64 s7, 0, v53
	s_delay_alu instid0(VALU_DEP_2)
	v_lshlrev_b32_e32 v2, 2, v2
	ds_bpermute_b32 v9, v2, v1
	s_and_saveexec_b32 s21, vcc_lo
	s_cbranch_execz .LBB2047_63
; %bb.46:
	v_mov_b32_e32 v4, 0
	ds_load_b32 v1, v4 offset:28
	s_and_saveexec_b32 s22, s7
	s_cbranch_execz .LBB2047_48
; %bb.47:
	s_add_i32 s24, s20, 32
	s_mov_b32 s25, 0
	v_mov_b32_e32 v2, 1
	s_lshl_b64 s[24:25], s[24:25], 3
	s_delay_alu instid0(SALU_CYCLE_1)
	s_add_u32 s24, s18, s24
	s_addc_u32 s25, s19, s25
	s_waitcnt lgkmcnt(0)
	global_store_b64 v4, v[1:2], s[24:25]
.LBB2047_48:
	s_or_b32 exec_lo, exec_lo, s22
	v_xad_u32 v2, v53, -1, s20
	s_mov_b32 s23, 0
	s_mov_b32 s22, exec_lo
	s_delay_alu instid0(VALU_DEP_1) | instskip(NEXT) | instid1(VALU_DEP_1)
	v_add_nc_u32_e32 v3, 32, v2
	v_lshlrev_b64 v[3:4], 3, v[3:4]
	s_delay_alu instid0(VALU_DEP_1) | instskip(NEXT) | instid1(VALU_DEP_2)
	v_add_co_u32 v6, vcc_lo, s18, v3
	v_add_co_ci_u32_e32 v7, vcc_lo, s19, v4, vcc_lo
	global_load_b64 v[4:5], v[6:7], off glc
	s_waitcnt vmcnt(0)
	v_and_b32_e32 v3, 0xff, v5
	s_delay_alu instid0(VALU_DEP_1)
	v_cmpx_eq_u16_e32 0, v3
	s_cbranch_execz .LBB2047_51
.LBB2047_49:                            ; =>This Inner Loop Header: Depth=1
	global_load_b64 v[4:5], v[6:7], off glc
	s_waitcnt vmcnt(0)
	v_and_b32_e32 v3, 0xff, v5
	s_delay_alu instid0(VALU_DEP_1) | instskip(SKIP_1) | instid1(SALU_CYCLE_1)
	v_cmp_ne_u16_e32 vcc_lo, 0, v3
	s_or_b32 s23, vcc_lo, s23
	s_and_not1_b32 exec_lo, exec_lo, s23
	s_cbranch_execnz .LBB2047_49
; %bb.50:
	s_or_b32 exec_lo, exec_lo, s23
.LBB2047_51:
	s_delay_alu instid0(SALU_CYCLE_1)
	s_or_b32 exec_lo, exec_lo, s22
	v_cmp_ne_u32_e32 vcc_lo, 31, v53
	v_lshlrev_b32_e64 v11, v53, -1
	v_add_nc_u32_e32 v13, 2, v53
	v_add_nc_u32_e32 v15, 4, v53
	;; [unrolled: 1-line block ×3, first 2 shown]
	v_add_co_ci_u32_e32 v3, vcc_lo, 0, v53, vcc_lo
	v_add_nc_u32_e32 v58, 16, v53
	s_delay_alu instid0(VALU_DEP_2) | instskip(SKIP_2) | instid1(VALU_DEP_1)
	v_lshlrev_b32_e32 v10, 2, v3
	ds_bpermute_b32 v6, v10, v4
	v_and_b32_e32 v3, 0xff, v5
	v_cmp_eq_u16_e32 vcc_lo, 2, v3
	v_and_or_b32 v3, vcc_lo, v11, 0x80000000
	v_cmp_gt_u32_e32 vcc_lo, 30, v53
	s_delay_alu instid0(VALU_DEP_2) | instskip(SKIP_1) | instid1(VALU_DEP_2)
	v_ctz_i32_b32_e32 v3, v3
	v_cndmask_b32_e64 v7, 0, 1, vcc_lo
	v_cmp_lt_u32_e32 vcc_lo, v53, v3
	s_waitcnt lgkmcnt(0)
	s_delay_alu instid0(VALU_DEP_2) | instskip(NEXT) | instid1(VALU_DEP_1)
	v_dual_cndmask_b32 v6, 0, v6 :: v_dual_lshlrev_b32 v7, 1, v7
	v_add_lshl_u32 v12, v7, v53, 2
	v_cmp_gt_u32_e32 vcc_lo, 28, v53
	s_delay_alu instid0(VALU_DEP_3) | instskip(SKIP_4) | instid1(VALU_DEP_1)
	v_add_nc_u32_e32 v4, v6, v4
	v_cndmask_b32_e64 v7, 0, 1, vcc_lo
	v_cmp_le_u32_e32 vcc_lo, v13, v3
	ds_bpermute_b32 v6, v12, v4
	v_lshlrev_b32_e32 v7, 2, v7
	v_add_lshl_u32 v14, v7, v53, 2
	s_waitcnt lgkmcnt(0)
	v_cndmask_b32_e32 v6, 0, v6, vcc_lo
	v_cmp_gt_u32_e32 vcc_lo, 24, v53
	s_delay_alu instid0(VALU_DEP_2) | instskip(SKIP_4) | instid1(VALU_DEP_1)
	v_add_nc_u32_e32 v4, v4, v6
	v_cndmask_b32_e64 v7, 0, 1, vcc_lo
	v_cmp_le_u32_e32 vcc_lo, v15, v3
	ds_bpermute_b32 v6, v14, v4
	v_lshlrev_b32_e32 v7, 3, v7
	v_add_lshl_u32 v17, v7, v53, 2
	s_waitcnt lgkmcnt(0)
	v_cndmask_b32_e32 v6, 0, v6, vcc_lo
	v_cmp_gt_u32_e32 vcc_lo, 16, v53
	s_delay_alu instid0(VALU_DEP_2) | instskip(SKIP_4) | instid1(VALU_DEP_1)
	v_add_nc_u32_e32 v4, v4, v6
	v_cndmask_b32_e64 v7, 0, 1, vcc_lo
	v_cmp_le_u32_e32 vcc_lo, v56, v3
	ds_bpermute_b32 v6, v17, v4
	v_lshlrev_b32_e32 v7, 4, v7
	v_add_lshl_u32 v57, v7, v53, 2
	s_waitcnt lgkmcnt(0)
	v_cndmask_b32_e32 v6, 0, v6, vcc_lo
	v_cmp_le_u32_e32 vcc_lo, v58, v3
	s_delay_alu instid0(VALU_DEP_2) | instskip(SKIP_3) | instid1(VALU_DEP_1)
	v_add_nc_u32_e32 v4, v4, v6
	ds_bpermute_b32 v6, v57, v4
	s_waitcnt lgkmcnt(0)
	v_cndmask_b32_e32 v3, 0, v6, vcc_lo
	v_dual_mov_b32 v3, 0 :: v_dual_add_nc_u32 v4, v4, v3
	s_branch .LBB2047_53
.LBB2047_52:                            ;   in Loop: Header=BB2047_53 Depth=1
	s_or_b32 exec_lo, exec_lo, s22
	ds_bpermute_b32 v7, v10, v4
	v_and_b32_e32 v6, 0xff, v5
	v_subrev_nc_u32_e32 v2, 32, v2
	s_delay_alu instid0(VALU_DEP_2) | instskip(SKIP_1) | instid1(VALU_DEP_1)
	v_cmp_eq_u16_e32 vcc_lo, 2, v6
	v_and_or_b32 v6, vcc_lo, v11, 0x80000000
	v_ctz_i32_b32_e32 v6, v6
	s_delay_alu instid0(VALU_DEP_1) | instskip(SKIP_3) | instid1(VALU_DEP_2)
	v_cmp_lt_u32_e32 vcc_lo, v53, v6
	s_waitcnt lgkmcnt(0)
	v_cndmask_b32_e32 v7, 0, v7, vcc_lo
	v_cmp_le_u32_e32 vcc_lo, v13, v6
	v_add_nc_u32_e32 v4, v7, v4
	ds_bpermute_b32 v7, v12, v4
	s_waitcnt lgkmcnt(0)
	v_cndmask_b32_e32 v7, 0, v7, vcc_lo
	v_cmp_le_u32_e32 vcc_lo, v15, v6
	s_delay_alu instid0(VALU_DEP_2) | instskip(SKIP_4) | instid1(VALU_DEP_2)
	v_add_nc_u32_e32 v4, v4, v7
	ds_bpermute_b32 v7, v14, v4
	s_waitcnt lgkmcnt(0)
	v_cndmask_b32_e32 v7, 0, v7, vcc_lo
	v_cmp_le_u32_e32 vcc_lo, v56, v6
	v_add_nc_u32_e32 v4, v4, v7
	ds_bpermute_b32 v7, v17, v4
	s_waitcnt lgkmcnt(0)
	v_cndmask_b32_e32 v7, 0, v7, vcc_lo
	v_cmp_le_u32_e32 vcc_lo, v58, v6
	s_delay_alu instid0(VALU_DEP_2) | instskip(SKIP_3) | instid1(VALU_DEP_1)
	v_add_nc_u32_e32 v4, v4, v7
	ds_bpermute_b32 v7, v57, v4
	s_waitcnt lgkmcnt(0)
	v_cndmask_b32_e32 v6, 0, v7, vcc_lo
	v_add3_u32 v4, v6, v16, v4
.LBB2047_53:                            ; =>This Loop Header: Depth=1
                                        ;     Child Loop BB2047_56 Depth 2
	s_delay_alu instid0(VALU_DEP_1) | instskip(NEXT) | instid1(VALU_DEP_1)
	v_dual_mov_b32 v16, v4 :: v_dual_and_b32 v5, 0xff, v5
	v_cmp_ne_u16_e32 vcc_lo, 2, v5
	v_cndmask_b32_e64 v5, 0, 1, vcc_lo
	;;#ASMSTART
	;;#ASMEND
	s_delay_alu instid0(VALU_DEP_1)
	v_cmp_ne_u32_e32 vcc_lo, 0, v5
	s_cmp_lg_u32 vcc_lo, exec_lo
	s_cbranch_scc1 .LBB2047_58
; %bb.54:                               ;   in Loop: Header=BB2047_53 Depth=1
	v_lshlrev_b64 v[4:5], 3, v[2:3]
	s_mov_b32 s22, exec_lo
	s_delay_alu instid0(VALU_DEP_1) | instskip(NEXT) | instid1(VALU_DEP_2)
	v_add_co_u32 v6, vcc_lo, s18, v4
	v_add_co_ci_u32_e32 v7, vcc_lo, s19, v5, vcc_lo
	global_load_b64 v[4:5], v[6:7], off glc
	s_waitcnt vmcnt(0)
	v_and_b32_e32 v59, 0xff, v5
	s_delay_alu instid0(VALU_DEP_1)
	v_cmpx_eq_u16_e32 0, v59
	s_cbranch_execz .LBB2047_52
; %bb.55:                               ;   in Loop: Header=BB2047_53 Depth=1
	s_mov_b32 s23, 0
.LBB2047_56:                            ;   Parent Loop BB2047_53 Depth=1
                                        ; =>  This Inner Loop Header: Depth=2
	global_load_b64 v[4:5], v[6:7], off glc
	s_waitcnt vmcnt(0)
	v_and_b32_e32 v59, 0xff, v5
	s_delay_alu instid0(VALU_DEP_1) | instskip(SKIP_1) | instid1(SALU_CYCLE_1)
	v_cmp_ne_u16_e32 vcc_lo, 0, v59
	s_or_b32 s23, vcc_lo, s23
	s_and_not1_b32 exec_lo, exec_lo, s23
	s_cbranch_execnz .LBB2047_56
; %bb.57:                               ;   in Loop: Header=BB2047_53 Depth=1
	s_or_b32 exec_lo, exec_lo, s23
	s_branch .LBB2047_52
.LBB2047_58:                            ;   in Loop: Header=BB2047_53 Depth=1
                                        ; implicit-def: $vgpr4
                                        ; implicit-def: $vgpr5
	s_cbranch_execz .LBB2047_53
; %bb.59:
	s_and_saveexec_b32 s22, s7
	s_cbranch_execz .LBB2047_61
; %bb.60:
	s_add_i32 s24, s20, 32
	s_mov_b32 s25, 0
	v_dual_mov_b32 v3, 2 :: v_dual_add_nc_u32 v2, v16, v1
	s_lshl_b64 s[24:25], s[24:25], 3
	v_mov_b32_e32 v4, 0
	v_add_nc_u32_e64 v5, 0x3400, 0
	s_add_u32 s24, s18, s24
	s_addc_u32 s25, s19, s25
	global_store_b64 v4, v[2:3], s[24:25]
	ds_store_2addr_b32 v5, v1, v16 offset1:2
.LBB2047_61:
	s_or_b32 exec_lo, exec_lo, s22
	s_delay_alu instid0(SALU_CYCLE_1)
	s_and_b32 exec_lo, exec_lo, s2
	s_cbranch_execz .LBB2047_63
; %bb.62:
	v_mov_b32_e32 v1, 0
	ds_store_b32 v1, v16 offset:28
.LBB2047_63:
	s_or_b32 exec_lo, exec_lo, s21
	v_mov_b32_e32 v1, 0
	s_waitcnt lgkmcnt(0)
	s_waitcnt_vscnt null, 0x0
	s_barrier
	buffer_gl0_inv
	v_cndmask_b32_e64 v2, v9, v8, s7
	ds_load_b32 v1, v1 offset:28
	v_add_nc_u32_e64 v11, 0x3400, 0
	s_waitcnt lgkmcnt(0)
	s_barrier
	v_cndmask_b32_e64 v2, v2, 0, s2
	buffer_gl0_inv
	ds_load_2addr_b32 v[16:17], v11 offset1:2
	v_add_nc_u32_e32 v1, v1, v2
	s_delay_alu instid0(VALU_DEP_1) | instskip(NEXT) | instid1(VALU_DEP_1)
	v_add_nc_u32_e32 v2, v1, v44
	v_add_nc_u32_e32 v3, v2, v45
	s_delay_alu instid0(VALU_DEP_1) | instskip(NEXT) | instid1(VALU_DEP_1)
	v_add_nc_u32_e32 v4, v3, v46
	;; [unrolled: 3-line block ×6, first 2 shown]
	v_add_nc_u32_e32 v13, v12, v39
	s_branch .LBB2047_74
.LBB2047_64:
                                        ; implicit-def: $vgpr17
                                        ; implicit-def: $vgpr1_vgpr2_vgpr3_vgpr4_vgpr5_vgpr6_vgpr7_vgpr8_vgpr9_vgpr10_vgpr11_vgpr12_vgpr13_vgpr14_vgpr15_vgpr16
	s_and_b32 vcc_lo, exec_lo, s7
	s_cbranch_vccz .LBB2047_74
; %bb.65:
	s_delay_alu instid0(VALU_DEP_1) | instskip(NEXT) | instid1(VALU_DEP_1)
	v_mov_b32_dpp v1, v55 row_shr:1 row_mask:0xf bank_mask:0xf
	v_cndmask_b32_e64 v1, v1, 0, s6
	s_delay_alu instid0(VALU_DEP_1) | instskip(NEXT) | instid1(VALU_DEP_1)
	v_add_nc_u32_e32 v1, v1, v55
	v_mov_b32_dpp v2, v1 row_shr:2 row_mask:0xf bank_mask:0xf
	s_delay_alu instid0(VALU_DEP_1) | instskip(NEXT) | instid1(VALU_DEP_1)
	v_cndmask_b32_e64 v2, 0, v2, s5
	v_add_nc_u32_e32 v1, v1, v2
	s_delay_alu instid0(VALU_DEP_1) | instskip(NEXT) | instid1(VALU_DEP_1)
	v_mov_b32_dpp v2, v1 row_shr:4 row_mask:0xf bank_mask:0xf
	v_cndmask_b32_e64 v2, 0, v2, s4
	s_delay_alu instid0(VALU_DEP_1) | instskip(NEXT) | instid1(VALU_DEP_1)
	v_add_nc_u32_e32 v1, v1, v2
	v_mov_b32_dpp v2, v1 row_shr:8 row_mask:0xf bank_mask:0xf
	s_delay_alu instid0(VALU_DEP_1) | instskip(NEXT) | instid1(VALU_DEP_1)
	v_cndmask_b32_e64 v2, 0, v2, s3
	v_add_nc_u32_e32 v1, v1, v2
	ds_swizzle_b32 v2, v1 offset:swizzle(BROADCAST,32,15)
	s_waitcnt lgkmcnt(0)
	v_cndmask_b32_e64 v2, v2, 0, s1
	s_delay_alu instid0(VALU_DEP_1)
	v_add_nc_u32_e32 v1, v1, v2
	s_and_saveexec_b32 s1, s0
	s_cbranch_execz .LBB2047_67
; %bb.66:
	v_lshlrev_b32_e32 v2, 2, v54
	ds_store_b32 v2, v1
.LBB2047_67:
	s_or_b32 exec_lo, exec_lo, s1
	s_delay_alu instid0(SALU_CYCLE_1)
	s_mov_b32 s0, exec_lo
	s_waitcnt lgkmcnt(0)
	s_barrier
	buffer_gl0_inv
	v_cmpx_gt_u32_e32 8, v0
	s_cbranch_execz .LBB2047_69
; %bb.68:
	ds_load_b32 v2, v33
	s_waitcnt lgkmcnt(0)
	v_mov_b32_dpp v4, v2 row_shr:1 row_mask:0xf bank_mask:0xf
	v_and_b32_e32 v3, 7, v53
	s_delay_alu instid0(VALU_DEP_1) | instskip(NEXT) | instid1(VALU_DEP_3)
	v_cmp_ne_u32_e32 vcc_lo, 0, v3
	v_cndmask_b32_e32 v4, 0, v4, vcc_lo
	v_cmp_lt_u32_e32 vcc_lo, 1, v3
	s_delay_alu instid0(VALU_DEP_2) | instskip(NEXT) | instid1(VALU_DEP_1)
	v_add_nc_u32_e32 v2, v4, v2
	v_mov_b32_dpp v4, v2 row_shr:2 row_mask:0xf bank_mask:0xf
	s_delay_alu instid0(VALU_DEP_1) | instskip(SKIP_1) | instid1(VALU_DEP_2)
	v_cndmask_b32_e32 v4, 0, v4, vcc_lo
	v_cmp_lt_u32_e32 vcc_lo, 3, v3
	v_add_nc_u32_e32 v2, v2, v4
	s_delay_alu instid0(VALU_DEP_1) | instskip(NEXT) | instid1(VALU_DEP_1)
	v_mov_b32_dpp v4, v2 row_shr:4 row_mask:0xf bank_mask:0xf
	v_cndmask_b32_e32 v3, 0, v4, vcc_lo
	s_delay_alu instid0(VALU_DEP_1)
	v_add_nc_u32_e32 v2, v2, v3
	ds_store_b32 v33, v2
.LBB2047_69:
	s_or_b32 exec_lo, exec_lo, s0
	v_dual_mov_b32 v3, 0 :: v_dual_mov_b32 v2, 0
	s_mov_b32 s0, exec_lo
	s_waitcnt lgkmcnt(0)
	s_barrier
	buffer_gl0_inv
	v_cmpx_lt_u32_e32 31, v0
	s_cbranch_execz .LBB2047_71
; %bb.70:
	v_lshl_add_u32 v2, v54, 2, -4
	ds_load_b32 v2, v2
.LBB2047_71:
	s_or_b32 exec_lo, exec_lo, s0
	v_add_nc_u32_e32 v4, -1, v53
	s_waitcnt lgkmcnt(0)
	v_add_nc_u32_e32 v1, v2, v1
	ds_load_b32 v16, v3 offset:28
	v_cmp_gt_i32_e32 vcc_lo, 0, v4
	v_cndmask_b32_e32 v4, v4, v53, vcc_lo
	s_delay_alu instid0(VALU_DEP_1)
	v_lshlrev_b32_e32 v4, 2, v4
	ds_bpermute_b32 v1, v4, v1
	s_and_saveexec_b32 s0, s2
	s_cbranch_execz .LBB2047_73
; %bb.72:
	v_mov_b32_e32 v3, 0
	v_mov_b32_e32 v17, 2
	s_waitcnt lgkmcnt(1)
	global_store_b64 v3, v[16:17], s[18:19] offset:256
.LBB2047_73:
	s_or_b32 exec_lo, exec_lo, s0
	v_cmp_eq_u32_e32 vcc_lo, 0, v53
	s_waitcnt lgkmcnt(0)
	s_waitcnt_vscnt null, 0x0
	s_barrier
	buffer_gl0_inv
	v_mov_b32_e32 v17, 0
	v_cndmask_b32_e32 v1, v1, v2, vcc_lo
	s_delay_alu instid0(VALU_DEP_1) | instskip(NEXT) | instid1(VALU_DEP_1)
	v_cndmask_b32_e64 v1, v1, 0, s2
	v_add_nc_u32_e32 v2, v1, v44
	s_delay_alu instid0(VALU_DEP_1) | instskip(NEXT) | instid1(VALU_DEP_1)
	v_add_nc_u32_e32 v3, v2, v45
	v_add_nc_u32_e32 v4, v3, v46
	s_delay_alu instid0(VALU_DEP_1) | instskip(NEXT) | instid1(VALU_DEP_1)
	v_add_nc_u32_e32 v5, v4, v43
	;; [unrolled: 3-line block ×5, first 2 shown]
	v_add_nc_u32_e32 v12, v11, v52
	s_delay_alu instid0(VALU_DEP_1)
	v_add_nc_u32_e32 v13, v12, v39
.LBB2047_74:
	s_waitcnt lgkmcnt(0)
	v_sub_nc_u32_e32 v1, v1, v17
	v_sub_nc_u32_e32 v2, v2, v17
	v_add_nc_u32_e32 v36, v16, v36
	v_lshrrev_b32_e32 v47, 8, v42
	v_lshrrev_b32_e32 v46, 16, v42
	v_sub_nc_u32_e32 v4, v4, v17
	v_sub_nc_u32_e32 v3, v3, v17
	;; [unrolled: 1-line block ×3, first 2 shown]
	v_and_b32_e32 v42, 1, v42
	v_and_b32_e32 v47, 1, v47
	;; [unrolled: 1-line block ×3, first 2 shown]
	v_lshrrev_b32_e32 v45, 8, v40
	v_lshrrev_b32_e32 v44, 16, v40
	v_cmp_eq_u32_e32 vcc_lo, 1, v42
	v_and_b32_e32 v42, 1, v46
	v_sub_nc_u32_e32 v46, v36, v2
	v_lshrrev_b32_e32 v15, 8, v38
	v_lshrrev_b32_e32 v14, 16, v38
	v_cndmask_b32_e32 v1, v48, v1, vcc_lo
	v_cmp_eq_u32_e32 vcc_lo, 1, v47
	v_add_nc_u32_e32 v46, 1, v46
	s_delay_alu instid0(VALU_DEP_3)
	v_lshlrev_b32_e32 v1, 2, v1
	ds_store_b32 v1, v30
	v_cndmask_b32_e32 v1, v46, v2, vcc_lo
	v_sub_nc_u32_e32 v48, v36, v3
	v_sub_nc_u32_e32 v49, v36, v4
	v_cmp_eq_u32_e32 vcc_lo, 1, v42
	v_or_b32_e32 v30, 0x300, v0
	v_lshlrev_b32_e32 v1, 2, v1
	v_add_nc_u32_e32 v48, 2, v48
	v_add_nc_u32_e32 v49, 3, v49
	ds_store_b32 v1, v31
	v_cndmask_b32_e32 v2, v48, v3, vcc_lo
	v_cmp_eq_u32_e32 vcc_lo, 1, v43
	v_or_b32_e32 v31, 0x200, v0
	s_delay_alu instid0(VALU_DEP_3) | instskip(SKIP_2) | instid1(VALU_DEP_3)
	v_dual_cndmask_b32 v3, v49, v4 :: v_dual_lshlrev_b32 v2, 2, v2
	v_sub_nc_u32_e32 v4, v5, v17
	v_sub_nc_u32_e32 v5, v6, v17
	v_lshlrev_b32_e32 v3, 2, v3
	s_delay_alu instid0(VALU_DEP_3) | instskip(NEXT) | instid1(VALU_DEP_3)
	v_sub_nc_u32_e32 v1, v36, v4
	v_sub_nc_u32_e32 v6, v36, v5
	ds_store_b32 v2, v28
	ds_store_b32 v3, v29
	v_and_b32_e32 v2, 1, v40
	v_add_nc_u32_e32 v1, 4, v1
	v_add_nc_u32_e32 v3, 5, v6
	v_sub_nc_u32_e32 v6, v7, v17
	v_and_b32_e32 v7, 1, v45
	v_cmp_eq_u32_e32 vcc_lo, 1, v2
	v_sub_nc_u32_e32 v2, v8, v17
	v_and_b32_e32 v8, 1, v41
	v_or_b32_e32 v29, 0x400, v0
	v_or_b32_e32 v28, 0x500, v0
	v_cndmask_b32_e32 v1, v1, v4, vcc_lo
	v_sub_nc_u32_e32 v4, v36, v6
	v_cmp_eq_u32_e32 vcc_lo, 1, v7
	v_and_b32_e32 v7, 1, v44
	s_delay_alu instid0(VALU_DEP_4) | instskip(NEXT) | instid1(VALU_DEP_4)
	v_lshlrev_b32_e32 v1, 2, v1
	v_dual_cndmask_b32 v3, v3, v5 :: v_dual_add_nc_u32 v4, 6, v4
	v_sub_nc_u32_e32 v5, v36, v2
	s_delay_alu instid0(VALU_DEP_4) | instskip(SKIP_2) | instid1(VALU_DEP_4)
	v_cmp_eq_u32_e32 vcc_lo, 1, v7
	v_sub_nc_u32_e32 v7, v13, v17
	v_add_co_u32 v13, s0, s16, v32
	v_dual_cndmask_b32 v4, v4, v6 :: v_dual_add_nc_u32 v5, 7, v5
	v_cmp_eq_u32_e32 vcc_lo, 1, v8
	v_sub_nc_u32_e32 v6, v9, v17
	v_lshlrev_b32_e32 v3, 2, v3
	ds_store_b32 v1, v26
	ds_store_b32 v3, v27
	v_cndmask_b32_e32 v2, v5, v2, vcc_lo
	v_sub_nc_u32_e32 v1, v36, v6
	v_lshlrev_b32_e32 v3, 2, v4
	v_and_b32_e32 v5, 1, v38
	v_sub_nc_u32_e32 v4, v10, v17
	v_lshlrev_b32_e32 v2, 2, v2
	v_add_nc_u32_e32 v1, 8, v1
	ds_store_b32 v3, v24
	ds_store_b32 v2, v25
	v_cmp_eq_u32_e32 vcc_lo, 1, v5
	v_sub_nc_u32_e32 v3, v11, v17
	v_sub_nc_u32_e32 v2, v36, v4
	;; [unrolled: 1-line block ×3, first 2 shown]
	v_dual_cndmask_b32 v1, v1, v6 :: v_dual_and_b32 v10, 1, v39
	v_and_b32_e32 v6, 1, v15
	v_sub_nc_u32_e32 v8, v36, v3
	v_add_nc_u32_e32 v2, 9, v2
	v_sub_nc_u32_e32 v9, v36, v5
	v_and_b32_e32 v11, 1, v37
	v_cmp_eq_u32_e32 vcc_lo, 1, v6
	v_add_nc_u32_e32 v6, 10, v8
	v_and_b32_e32 v8, 1, v14
	v_add_nc_u32_e32 v9, 11, v9
	v_dual_cndmask_b32 v2, v2, v4 :: v_dual_lshlrev_b32 v1, 2, v1
	v_sub_nc_u32_e32 v4, v36, v7
	s_delay_alu instid0(VALU_DEP_4) | instskip(SKIP_1) | instid1(VALU_DEP_4)
	v_cmp_eq_u32_e32 vcc_lo, 1, v8
	v_add_co_ci_u32_e64 v14, null, s17, 0, s0
	v_lshlrev_b32_e32 v2, 2, v2
	s_delay_alu instid0(VALU_DEP_4)
	v_dual_cndmask_b32 v3, v6, v3 :: v_dual_add_nc_u32 v4, 12, v4
	v_cmp_eq_u32_e32 vcc_lo, 1, v10
	v_or_b32_e32 v27, 0x600, v0
	v_or_b32_e32 v26, 0x700, v0
	;; [unrolled: 1-line block ×3, first 2 shown]
	v_lshlrev_b32_e32 v3, 2, v3
	v_cndmask_b32_e32 v5, v9, v5, vcc_lo
	v_cmp_eq_u32_e32 vcc_lo, 1, v11
	v_or_b32_e32 v24, 0x900, v0
	s_delay_alu instid0(VALU_DEP_3) | instskip(SKIP_2) | instid1(VALU_DEP_3)
	v_dual_cndmask_b32 v4, v4, v7 :: v_dual_lshlrev_b32 v5, 2, v5
	v_sub_co_u32 v13, vcc_lo, s14, v13
	v_sub_co_ci_u32_e32 v14, vcc_lo, s15, v14, vcc_lo
	v_lshlrev_b32_e32 v4, 2, v4
	ds_store_b32 v1, v22
	ds_store_b32 v2, v23
	ds_store_b32 v3, v20
	ds_store_b32 v5, v21
	ds_store_b32 v4, v35
	s_waitcnt lgkmcnt(0)
	s_barrier
	buffer_gl0_inv
	ds_load_2addr_stride64_b32 v[11:12], v33 offset1:4
	ds_load_2addr_stride64_b32 v[9:10], v33 offset0:8 offset1:12
	ds_load_2addr_stride64_b32 v[7:8], v33 offset0:16 offset1:20
	;; [unrolled: 1-line block ×5, first 2 shown]
	ds_load_b32 v20, v33 offset:12288
	v_add_co_u32 v15, vcc_lo, v18, v17
	v_add_co_ci_u32_e32 v17, vcc_lo, 0, v19, vcc_lo
	v_add_co_u32 v13, vcc_lo, v13, v16
	v_add_co_ci_u32_e32 v14, vcc_lo, 0, v14, vcc_lo
	v_cmp_ne_u32_e32 vcc_lo, 1, v34
	s_delay_alu instid0(VALU_DEP_3)
	v_add_co_u32 v18, s0, v13, v15
	v_or_b32_e32 v35, 0x100, v0
	v_or_b32_e32 v23, 0xa00, v0
	;; [unrolled: 1-line block ×4, first 2 shown]
	v_add_co_ci_u32_e64 v19, s0, v14, v17, s0
	s_mov_b32 s0, 0
	s_cbranch_vccnz .LBB2047_131
; %bb.75:
	s_mov_b32 s0, exec_lo
                                        ; implicit-def: $vgpr13_vgpr14
	v_cmpx_ge_u32_e64 v0, v16
	s_xor_b32 s0, exec_lo, s0
; %bb.76:
	v_not_b32_e32 v13, v0
	s_delay_alu instid0(VALU_DEP_1) | instskip(SKIP_1) | instid1(VALU_DEP_2)
	v_ashrrev_i32_e32 v14, 31, v13
	v_add_co_u32 v13, vcc_lo, v18, v13
	v_add_co_ci_u32_e32 v14, vcc_lo, v19, v14, vcc_lo
; %bb.77:
	s_and_not1_saveexec_b32 s0, s0
; %bb.78:
	v_add_co_u32 v13, vcc_lo, v15, v0
	v_add_co_ci_u32_e32 v14, vcc_lo, 0, v17, vcc_lo
; %bb.79:
	s_or_b32 exec_lo, exec_lo, s0
	s_delay_alu instid0(VALU_DEP_1) | instskip(SKIP_1) | instid1(VALU_DEP_1)
	v_lshlrev_b64 v[13:14], 2, v[13:14]
	s_mov_b32 s0, exec_lo
	v_add_co_u32 v13, vcc_lo, s12, v13
	s_delay_alu instid0(VALU_DEP_2)
	v_add_co_ci_u32_e32 v14, vcc_lo, s13, v14, vcc_lo
	s_waitcnt lgkmcnt(6)
	global_store_b32 v[13:14], v11, off
                                        ; implicit-def: $vgpr13_vgpr14
	v_cmpx_ge_u32_e64 v35, v16
	s_xor_b32 s0, exec_lo, s0
; %bb.80:
	v_xor_b32_e32 v13, 0xfffffeff, v0
	s_delay_alu instid0(VALU_DEP_1) | instskip(SKIP_1) | instid1(VALU_DEP_2)
	v_ashrrev_i32_e32 v14, 31, v13
	v_add_co_u32 v13, vcc_lo, v18, v13
	v_add_co_ci_u32_e32 v14, vcc_lo, v19, v14, vcc_lo
; %bb.81:
	s_and_not1_saveexec_b32 s0, s0
; %bb.82:
	v_add_co_u32 v13, vcc_lo, v15, v35
	v_add_co_ci_u32_e32 v14, vcc_lo, 0, v17, vcc_lo
; %bb.83:
	s_or_b32 exec_lo, exec_lo, s0
	s_delay_alu instid0(VALU_DEP_1) | instskip(SKIP_1) | instid1(VALU_DEP_1)
	v_lshlrev_b64 v[13:14], 2, v[13:14]
	s_mov_b32 s0, exec_lo
	v_add_co_u32 v13, vcc_lo, s12, v13
	s_delay_alu instid0(VALU_DEP_2)
	v_add_co_ci_u32_e32 v14, vcc_lo, s13, v14, vcc_lo
	global_store_b32 v[13:14], v12, off
                                        ; implicit-def: $vgpr13_vgpr14
	v_cmpx_ge_u32_e64 v31, v16
	s_xor_b32 s0, exec_lo, s0
; %bb.84:
	v_xor_b32_e32 v13, 0xfffffdff, v0
	s_delay_alu instid0(VALU_DEP_1) | instskip(SKIP_1) | instid1(VALU_DEP_2)
	v_ashrrev_i32_e32 v14, 31, v13
	v_add_co_u32 v13, vcc_lo, v18, v13
	v_add_co_ci_u32_e32 v14, vcc_lo, v19, v14, vcc_lo
; %bb.85:
	s_and_not1_saveexec_b32 s0, s0
; %bb.86:
	v_add_co_u32 v13, vcc_lo, v15, v31
	v_add_co_ci_u32_e32 v14, vcc_lo, 0, v17, vcc_lo
; %bb.87:
	s_or_b32 exec_lo, exec_lo, s0
	s_delay_alu instid0(VALU_DEP_1) | instskip(SKIP_1) | instid1(VALU_DEP_1)
	v_lshlrev_b64 v[13:14], 2, v[13:14]
	s_mov_b32 s0, exec_lo
	v_add_co_u32 v13, vcc_lo, s12, v13
	s_delay_alu instid0(VALU_DEP_2)
	v_add_co_ci_u32_e32 v14, vcc_lo, s13, v14, vcc_lo
	s_waitcnt lgkmcnt(5)
	global_store_b32 v[13:14], v9, off
                                        ; implicit-def: $vgpr13_vgpr14
	v_cmpx_ge_u32_e64 v30, v16
	s_xor_b32 s0, exec_lo, s0
; %bb.88:
	v_xor_b32_e32 v13, 0xfffffcff, v0
	s_delay_alu instid0(VALU_DEP_1) | instskip(SKIP_1) | instid1(VALU_DEP_2)
	v_ashrrev_i32_e32 v14, 31, v13
	v_add_co_u32 v13, vcc_lo, v18, v13
	v_add_co_ci_u32_e32 v14, vcc_lo, v19, v14, vcc_lo
; %bb.89:
	s_and_not1_saveexec_b32 s0, s0
; %bb.90:
	v_add_co_u32 v13, vcc_lo, v15, v30
	v_add_co_ci_u32_e32 v14, vcc_lo, 0, v17, vcc_lo
; %bb.91:
	s_or_b32 exec_lo, exec_lo, s0
	s_delay_alu instid0(VALU_DEP_1) | instskip(SKIP_1) | instid1(VALU_DEP_1)
	v_lshlrev_b64 v[13:14], 2, v[13:14]
	s_mov_b32 s0, exec_lo
	v_add_co_u32 v13, vcc_lo, s12, v13
	s_delay_alu instid0(VALU_DEP_2)
	v_add_co_ci_u32_e32 v14, vcc_lo, s13, v14, vcc_lo
	global_store_b32 v[13:14], v10, off
                                        ; implicit-def: $vgpr13_vgpr14
	v_cmpx_ge_u32_e64 v29, v16
	s_xor_b32 s0, exec_lo, s0
; %bb.92:
	v_xor_b32_e32 v13, 0xfffffbff, v0
	;; [unrolled: 47-line block ×6, first 2 shown]
	s_delay_alu instid0(VALU_DEP_1) | instskip(SKIP_1) | instid1(VALU_DEP_2)
	v_ashrrev_i32_e32 v14, 31, v13
	v_add_co_u32 v13, vcc_lo, v18, v13
	v_add_co_ci_u32_e32 v14, vcc_lo, v19, v14, vcc_lo
; %bb.125:
	s_and_not1_saveexec_b32 s0, s0
; %bb.126:
	v_add_co_u32 v13, vcc_lo, v15, v21
	v_add_co_ci_u32_e32 v14, vcc_lo, 0, v17, vcc_lo
; %bb.127:
	s_or_b32 exec_lo, exec_lo, s0
	s_mov_b32 s0, -1
.LBB2047_128:
	s_delay_alu instid0(SALU_CYCLE_1)
	s_and_saveexec_b32 s1, s0
	s_cbranch_execz .LBB2047_211
.LBB2047_129:
	s_waitcnt lgkmcnt(1)
	v_lshlrev_b64 v[0:1], 2, v[13:14]
	s_delay_alu instid0(VALU_DEP_1) | instskip(NEXT) | instid1(VALU_DEP_2)
	v_add_co_u32 v0, vcc_lo, s12, v0
	v_add_co_ci_u32_e32 v1, vcc_lo, s13, v1, vcc_lo
	s_waitcnt lgkmcnt(0)
	global_store_b32 v[0:1], v20, off
	s_or_b32 exec_lo, exec_lo, s1
	s_and_b32 s0, s2, s10
	s_delay_alu instid0(SALU_CYCLE_1)
	s_and_saveexec_b32 s1, s0
	s_cbranch_execnz .LBB2047_212
.LBB2047_130:
	s_nop 0
	s_sendmsg sendmsg(MSG_DEALLOC_VGPRS)
	s_endpgm
.LBB2047_131:
                                        ; implicit-def: $vgpr13_vgpr14
	s_cbranch_execz .LBB2047_128
; %bb.132:
	s_mov_b32 s1, exec_lo
	v_cmpx_gt_u32_e64 s11, v0
	s_cbranch_execz .LBB2047_168
; %bb.133:
	s_mov_b32 s3, exec_lo
                                        ; implicit-def: $vgpr13_vgpr14
	v_cmpx_ge_u32_e64 v0, v16
	s_xor_b32 s3, exec_lo, s3
; %bb.134:
	v_not_b32_e32 v13, v0
	s_delay_alu instid0(VALU_DEP_1) | instskip(SKIP_1) | instid1(VALU_DEP_2)
	v_ashrrev_i32_e32 v14, 31, v13
	v_add_co_u32 v13, vcc_lo, v18, v13
	v_add_co_ci_u32_e32 v14, vcc_lo, v19, v14, vcc_lo
; %bb.135:
	s_and_not1_saveexec_b32 s3, s3
; %bb.136:
	v_add_co_u32 v13, vcc_lo, v15, v0
	v_add_co_ci_u32_e32 v14, vcc_lo, 0, v17, vcc_lo
; %bb.137:
	s_or_b32 exec_lo, exec_lo, s3
	s_delay_alu instid0(VALU_DEP_1) | instskip(NEXT) | instid1(VALU_DEP_1)
	v_lshlrev_b64 v[13:14], 2, v[13:14]
	v_add_co_u32 v13, vcc_lo, s12, v13
	s_delay_alu instid0(VALU_DEP_2) | instskip(SKIP_3) | instid1(SALU_CYCLE_1)
	v_add_co_ci_u32_e32 v14, vcc_lo, s13, v14, vcc_lo
	s_waitcnt lgkmcnt(6)
	global_store_b32 v[13:14], v11, off
	s_or_b32 exec_lo, exec_lo, s1
	s_mov_b32 s1, exec_lo
	v_cmpx_gt_u32_e64 s11, v35
	s_cbranch_execnz .LBB2047_169
.LBB2047_138:
	s_or_b32 exec_lo, exec_lo, s1
	s_delay_alu instid0(SALU_CYCLE_1)
	s_mov_b32 s1, exec_lo
	v_cmpx_gt_u32_e64 s11, v31
	s_cbranch_execz .LBB2047_174
.LBB2047_139:
	s_mov_b32 s3, exec_lo
                                        ; implicit-def: $vgpr11_vgpr12
	v_cmpx_ge_u32_e64 v31, v16
	s_xor_b32 s3, exec_lo, s3
	s_cbranch_execz .LBB2047_141
; %bb.140:
	s_waitcnt lgkmcnt(6)
	v_xor_b32_e32 v11, 0xfffffdff, v0
                                        ; implicit-def: $vgpr31
	s_delay_alu instid0(VALU_DEP_1) | instskip(SKIP_1) | instid1(VALU_DEP_2)
	v_ashrrev_i32_e32 v12, 31, v11
	v_add_co_u32 v11, vcc_lo, v18, v11
	v_add_co_ci_u32_e32 v12, vcc_lo, v19, v12, vcc_lo
.LBB2047_141:
	s_and_not1_saveexec_b32 s3, s3
	s_cbranch_execz .LBB2047_143
; %bb.142:
	s_waitcnt lgkmcnt(6)
	v_add_co_u32 v11, vcc_lo, v15, v31
	v_add_co_ci_u32_e32 v12, vcc_lo, 0, v17, vcc_lo
.LBB2047_143:
	s_or_b32 exec_lo, exec_lo, s3
	s_waitcnt lgkmcnt(6)
	s_delay_alu instid0(VALU_DEP_1) | instskip(NEXT) | instid1(VALU_DEP_1)
	v_lshlrev_b64 v[11:12], 2, v[11:12]
	v_add_co_u32 v11, vcc_lo, s12, v11
	s_delay_alu instid0(VALU_DEP_2) | instskip(SKIP_3) | instid1(SALU_CYCLE_1)
	v_add_co_ci_u32_e32 v12, vcc_lo, s13, v12, vcc_lo
	s_waitcnt lgkmcnt(5)
	global_store_b32 v[11:12], v9, off
	s_or_b32 exec_lo, exec_lo, s1
	s_mov_b32 s1, exec_lo
	v_cmpx_gt_u32_e64 s11, v30
	s_cbranch_execnz .LBB2047_175
.LBB2047_144:
	s_or_b32 exec_lo, exec_lo, s1
	s_delay_alu instid0(SALU_CYCLE_1)
	s_mov_b32 s1, exec_lo
	v_cmpx_gt_u32_e64 s11, v29
	s_cbranch_execz .LBB2047_180
.LBB2047_145:
	s_mov_b32 s3, exec_lo
                                        ; implicit-def: $vgpr9_vgpr10
	v_cmpx_ge_u32_e64 v29, v16
	s_xor_b32 s3, exec_lo, s3
	s_cbranch_execz .LBB2047_147
; %bb.146:
	s_waitcnt lgkmcnt(5)
	v_xor_b32_e32 v9, 0xfffffbff, v0
                                        ; implicit-def: $vgpr29
	s_delay_alu instid0(VALU_DEP_1) | instskip(SKIP_1) | instid1(VALU_DEP_2)
	v_ashrrev_i32_e32 v10, 31, v9
	v_add_co_u32 v9, vcc_lo, v18, v9
	v_add_co_ci_u32_e32 v10, vcc_lo, v19, v10, vcc_lo
.LBB2047_147:
	s_and_not1_saveexec_b32 s3, s3
	s_cbranch_execz .LBB2047_149
; %bb.148:
	s_waitcnt lgkmcnt(5)
	v_add_co_u32 v9, vcc_lo, v15, v29
	v_add_co_ci_u32_e32 v10, vcc_lo, 0, v17, vcc_lo
.LBB2047_149:
	s_or_b32 exec_lo, exec_lo, s3
	s_waitcnt lgkmcnt(5)
	s_delay_alu instid0(VALU_DEP_1) | instskip(NEXT) | instid1(VALU_DEP_1)
	v_lshlrev_b64 v[9:10], 2, v[9:10]
	v_add_co_u32 v9, vcc_lo, s12, v9
	s_delay_alu instid0(VALU_DEP_2) | instskip(SKIP_3) | instid1(SALU_CYCLE_1)
	v_add_co_ci_u32_e32 v10, vcc_lo, s13, v10, vcc_lo
	s_waitcnt lgkmcnt(4)
	global_store_b32 v[9:10], v7, off
	s_or_b32 exec_lo, exec_lo, s1
	s_mov_b32 s1, exec_lo
	v_cmpx_gt_u32_e64 s11, v28
	s_cbranch_execnz .LBB2047_181
.LBB2047_150:
	s_or_b32 exec_lo, exec_lo, s1
	s_delay_alu instid0(SALU_CYCLE_1)
	s_mov_b32 s1, exec_lo
	v_cmpx_gt_u32_e64 s11, v27
	s_cbranch_execz .LBB2047_186
.LBB2047_151:
	s_mov_b32 s3, exec_lo
                                        ; implicit-def: $vgpr7_vgpr8
	v_cmpx_ge_u32_e64 v27, v16
	s_xor_b32 s3, exec_lo, s3
	s_cbranch_execz .LBB2047_153
; %bb.152:
	s_waitcnt lgkmcnt(4)
	v_xor_b32_e32 v7, 0xfffff9ff, v0
                                        ; implicit-def: $vgpr27
	s_delay_alu instid0(VALU_DEP_1) | instskip(SKIP_1) | instid1(VALU_DEP_2)
	v_ashrrev_i32_e32 v8, 31, v7
	v_add_co_u32 v7, vcc_lo, v18, v7
	v_add_co_ci_u32_e32 v8, vcc_lo, v19, v8, vcc_lo
.LBB2047_153:
	s_and_not1_saveexec_b32 s3, s3
	s_cbranch_execz .LBB2047_155
; %bb.154:
	s_waitcnt lgkmcnt(4)
	v_add_co_u32 v7, vcc_lo, v15, v27
	v_add_co_ci_u32_e32 v8, vcc_lo, 0, v17, vcc_lo
.LBB2047_155:
	s_or_b32 exec_lo, exec_lo, s3
	s_waitcnt lgkmcnt(4)
	s_delay_alu instid0(VALU_DEP_1) | instskip(NEXT) | instid1(VALU_DEP_1)
	v_lshlrev_b64 v[7:8], 2, v[7:8]
	v_add_co_u32 v7, vcc_lo, s12, v7
	s_delay_alu instid0(VALU_DEP_2) | instskip(SKIP_3) | instid1(SALU_CYCLE_1)
	v_add_co_ci_u32_e32 v8, vcc_lo, s13, v8, vcc_lo
	s_waitcnt lgkmcnt(3)
	global_store_b32 v[7:8], v5, off
	s_or_b32 exec_lo, exec_lo, s1
	s_mov_b32 s1, exec_lo
	v_cmpx_gt_u32_e64 s11, v26
	s_cbranch_execnz .LBB2047_187
.LBB2047_156:
	s_or_b32 exec_lo, exec_lo, s1
	s_delay_alu instid0(SALU_CYCLE_1)
	s_mov_b32 s1, exec_lo
	v_cmpx_gt_u32_e64 s11, v25
	s_cbranch_execz .LBB2047_192
.LBB2047_157:
	s_mov_b32 s3, exec_lo
                                        ; implicit-def: $vgpr5_vgpr6
	v_cmpx_ge_u32_e64 v25, v16
	s_xor_b32 s3, exec_lo, s3
	s_cbranch_execz .LBB2047_159
; %bb.158:
	s_waitcnt lgkmcnt(3)
	v_xor_b32_e32 v5, 0xfffff7ff, v0
                                        ; implicit-def: $vgpr25
	s_delay_alu instid0(VALU_DEP_1) | instskip(SKIP_1) | instid1(VALU_DEP_2)
	v_ashrrev_i32_e32 v6, 31, v5
	v_add_co_u32 v5, vcc_lo, v18, v5
	v_add_co_ci_u32_e32 v6, vcc_lo, v19, v6, vcc_lo
.LBB2047_159:
	s_and_not1_saveexec_b32 s3, s3
	s_cbranch_execz .LBB2047_161
; %bb.160:
	s_waitcnt lgkmcnt(3)
	v_add_co_u32 v5, vcc_lo, v15, v25
	v_add_co_ci_u32_e32 v6, vcc_lo, 0, v17, vcc_lo
.LBB2047_161:
	s_or_b32 exec_lo, exec_lo, s3
	s_waitcnt lgkmcnt(3)
	s_delay_alu instid0(VALU_DEP_1) | instskip(NEXT) | instid1(VALU_DEP_1)
	v_lshlrev_b64 v[5:6], 2, v[5:6]
	v_add_co_u32 v5, vcc_lo, s12, v5
	s_delay_alu instid0(VALU_DEP_2) | instskip(SKIP_3) | instid1(SALU_CYCLE_1)
	v_add_co_ci_u32_e32 v6, vcc_lo, s13, v6, vcc_lo
	s_waitcnt lgkmcnt(2)
	global_store_b32 v[5:6], v3, off
	s_or_b32 exec_lo, exec_lo, s1
	s_mov_b32 s1, exec_lo
	v_cmpx_gt_u32_e64 s11, v24
	s_cbranch_execnz .LBB2047_193
.LBB2047_162:
	s_or_b32 exec_lo, exec_lo, s1
	s_delay_alu instid0(SALU_CYCLE_1)
	s_mov_b32 s1, exec_lo
	v_cmpx_gt_u32_e64 s11, v23
	s_cbranch_execz .LBB2047_198
.LBB2047_163:
	s_mov_b32 s3, exec_lo
                                        ; implicit-def: $vgpr3_vgpr4
	v_cmpx_ge_u32_e64 v23, v16
	s_xor_b32 s3, exec_lo, s3
	s_cbranch_execz .LBB2047_165
; %bb.164:
	s_waitcnt lgkmcnt(2)
	v_xor_b32_e32 v3, 0xfffff5ff, v0
                                        ; implicit-def: $vgpr23
	s_delay_alu instid0(VALU_DEP_1) | instskip(SKIP_1) | instid1(VALU_DEP_2)
	v_ashrrev_i32_e32 v4, 31, v3
	v_add_co_u32 v3, vcc_lo, v18, v3
	v_add_co_ci_u32_e32 v4, vcc_lo, v19, v4, vcc_lo
.LBB2047_165:
	s_and_not1_saveexec_b32 s3, s3
	s_cbranch_execz .LBB2047_167
; %bb.166:
	s_waitcnt lgkmcnt(2)
	v_add_co_u32 v3, vcc_lo, v15, v23
	v_add_co_ci_u32_e32 v4, vcc_lo, 0, v17, vcc_lo
.LBB2047_167:
	s_or_b32 exec_lo, exec_lo, s3
	s_waitcnt lgkmcnt(2)
	s_delay_alu instid0(VALU_DEP_1) | instskip(NEXT) | instid1(VALU_DEP_1)
	v_lshlrev_b64 v[3:4], 2, v[3:4]
	v_add_co_u32 v3, vcc_lo, s12, v3
	s_delay_alu instid0(VALU_DEP_2) | instskip(SKIP_3) | instid1(SALU_CYCLE_1)
	v_add_co_ci_u32_e32 v4, vcc_lo, s13, v4, vcc_lo
	s_waitcnt lgkmcnt(1)
	global_store_b32 v[3:4], v1, off
	s_or_b32 exec_lo, exec_lo, s1
	s_mov_b32 s1, exec_lo
	v_cmpx_gt_u32_e64 s11, v22
	s_cbranch_execz .LBB2047_204
	s_branch .LBB2047_199
.LBB2047_168:
	s_or_b32 exec_lo, exec_lo, s1
	s_delay_alu instid0(SALU_CYCLE_1)
	s_mov_b32 s1, exec_lo
	v_cmpx_gt_u32_e64 s11, v35
	s_cbranch_execz .LBB2047_138
.LBB2047_169:
	s_mov_b32 s3, exec_lo
                                        ; implicit-def: $vgpr13_vgpr14
	v_cmpx_ge_u32_e64 v35, v16
	s_xor_b32 s3, exec_lo, s3
	s_cbranch_execz .LBB2047_171
; %bb.170:
	s_waitcnt lgkmcnt(6)
	v_xor_b32_e32 v11, 0xfffffeff, v0
                                        ; implicit-def: $vgpr35
	s_delay_alu instid0(VALU_DEP_1) | instskip(SKIP_1) | instid1(VALU_DEP_2)
	v_ashrrev_i32_e32 v14, 31, v11
	v_add_co_u32 v13, vcc_lo, v18, v11
	v_add_co_ci_u32_e32 v14, vcc_lo, v19, v14, vcc_lo
.LBB2047_171:
	s_and_not1_saveexec_b32 s3, s3
; %bb.172:
	v_add_co_u32 v13, vcc_lo, v15, v35
	v_add_co_ci_u32_e32 v14, vcc_lo, 0, v17, vcc_lo
; %bb.173:
	s_or_b32 exec_lo, exec_lo, s3
	s_delay_alu instid0(VALU_DEP_1) | instskip(NEXT) | instid1(VALU_DEP_1)
	v_lshlrev_b64 v[13:14], 2, v[13:14]
	v_add_co_u32 v13, vcc_lo, s12, v13
	s_delay_alu instid0(VALU_DEP_2) | instskip(SKIP_3) | instid1(SALU_CYCLE_1)
	v_add_co_ci_u32_e32 v14, vcc_lo, s13, v14, vcc_lo
	s_waitcnt lgkmcnt(6)
	global_store_b32 v[13:14], v12, off
	s_or_b32 exec_lo, exec_lo, s1
	s_mov_b32 s1, exec_lo
	v_cmpx_gt_u32_e64 s11, v31
	s_cbranch_execnz .LBB2047_139
.LBB2047_174:
	s_or_b32 exec_lo, exec_lo, s1
	s_delay_alu instid0(SALU_CYCLE_1)
	s_mov_b32 s1, exec_lo
	v_cmpx_gt_u32_e64 s11, v30
	s_cbranch_execz .LBB2047_144
.LBB2047_175:
	s_mov_b32 s3, exec_lo
                                        ; implicit-def: $vgpr11_vgpr12
	v_cmpx_ge_u32_e64 v30, v16
	s_xor_b32 s3, exec_lo, s3
	s_cbranch_execz .LBB2047_177
; %bb.176:
	s_waitcnt lgkmcnt(5)
	v_xor_b32_e32 v9, 0xfffffcff, v0
                                        ; implicit-def: $vgpr30
	s_delay_alu instid0(VALU_DEP_1) | instskip(SKIP_1) | instid1(VALU_DEP_2)
	v_ashrrev_i32_e32 v12, 31, v9
	v_add_co_u32 v11, vcc_lo, v18, v9
	v_add_co_ci_u32_e32 v12, vcc_lo, v19, v12, vcc_lo
.LBB2047_177:
	s_and_not1_saveexec_b32 s3, s3
	s_cbranch_execz .LBB2047_179
; %bb.178:
	s_waitcnt lgkmcnt(6)
	v_add_co_u32 v11, vcc_lo, v15, v30
	v_add_co_ci_u32_e32 v12, vcc_lo, 0, v17, vcc_lo
.LBB2047_179:
	s_or_b32 exec_lo, exec_lo, s3
	s_waitcnt lgkmcnt(6)
	s_delay_alu instid0(VALU_DEP_1) | instskip(NEXT) | instid1(VALU_DEP_1)
	v_lshlrev_b64 v[11:12], 2, v[11:12]
	v_add_co_u32 v11, vcc_lo, s12, v11
	s_delay_alu instid0(VALU_DEP_2) | instskip(SKIP_3) | instid1(SALU_CYCLE_1)
	v_add_co_ci_u32_e32 v12, vcc_lo, s13, v12, vcc_lo
	s_waitcnt lgkmcnt(5)
	global_store_b32 v[11:12], v10, off
	s_or_b32 exec_lo, exec_lo, s1
	s_mov_b32 s1, exec_lo
	v_cmpx_gt_u32_e64 s11, v29
	s_cbranch_execnz .LBB2047_145
.LBB2047_180:
	s_or_b32 exec_lo, exec_lo, s1
	s_delay_alu instid0(SALU_CYCLE_1)
	s_mov_b32 s1, exec_lo
	v_cmpx_gt_u32_e64 s11, v28
	s_cbranch_execz .LBB2047_150
.LBB2047_181:
	s_mov_b32 s3, exec_lo
                                        ; implicit-def: $vgpr9_vgpr10
	v_cmpx_ge_u32_e64 v28, v16
	s_xor_b32 s3, exec_lo, s3
	s_cbranch_execz .LBB2047_183
; %bb.182:
	s_waitcnt lgkmcnt(4)
	v_xor_b32_e32 v7, 0xfffffaff, v0
                                        ; implicit-def: $vgpr28
	s_delay_alu instid0(VALU_DEP_1) | instskip(SKIP_1) | instid1(VALU_DEP_2)
	v_ashrrev_i32_e32 v10, 31, v7
	v_add_co_u32 v9, vcc_lo, v18, v7
	v_add_co_ci_u32_e32 v10, vcc_lo, v19, v10, vcc_lo
.LBB2047_183:
	s_and_not1_saveexec_b32 s3, s3
	s_cbranch_execz .LBB2047_185
; %bb.184:
	s_waitcnt lgkmcnt(5)
	v_add_co_u32 v9, vcc_lo, v15, v28
	v_add_co_ci_u32_e32 v10, vcc_lo, 0, v17, vcc_lo
.LBB2047_185:
	s_or_b32 exec_lo, exec_lo, s3
	s_waitcnt lgkmcnt(5)
	s_delay_alu instid0(VALU_DEP_1) | instskip(NEXT) | instid1(VALU_DEP_1)
	v_lshlrev_b64 v[9:10], 2, v[9:10]
	v_add_co_u32 v9, vcc_lo, s12, v9
	s_delay_alu instid0(VALU_DEP_2) | instskip(SKIP_3) | instid1(SALU_CYCLE_1)
	v_add_co_ci_u32_e32 v10, vcc_lo, s13, v10, vcc_lo
	s_waitcnt lgkmcnt(4)
	global_store_b32 v[9:10], v8, off
	s_or_b32 exec_lo, exec_lo, s1
	s_mov_b32 s1, exec_lo
	v_cmpx_gt_u32_e64 s11, v27
	s_cbranch_execnz .LBB2047_151
.LBB2047_186:
	s_or_b32 exec_lo, exec_lo, s1
	s_delay_alu instid0(SALU_CYCLE_1)
	s_mov_b32 s1, exec_lo
	v_cmpx_gt_u32_e64 s11, v26
	s_cbranch_execz .LBB2047_156
.LBB2047_187:
	s_mov_b32 s3, exec_lo
                                        ; implicit-def: $vgpr7_vgpr8
	v_cmpx_ge_u32_e64 v26, v16
	s_xor_b32 s3, exec_lo, s3
	s_cbranch_execz .LBB2047_189
; %bb.188:
	s_waitcnt lgkmcnt(3)
	v_xor_b32_e32 v5, 0xfffff8ff, v0
                                        ; implicit-def: $vgpr26
	s_delay_alu instid0(VALU_DEP_1) | instskip(SKIP_1) | instid1(VALU_DEP_2)
	v_ashrrev_i32_e32 v8, 31, v5
	v_add_co_u32 v7, vcc_lo, v18, v5
	v_add_co_ci_u32_e32 v8, vcc_lo, v19, v8, vcc_lo
.LBB2047_189:
	s_and_not1_saveexec_b32 s3, s3
	s_cbranch_execz .LBB2047_191
; %bb.190:
	s_waitcnt lgkmcnt(4)
	v_add_co_u32 v7, vcc_lo, v15, v26
	v_add_co_ci_u32_e32 v8, vcc_lo, 0, v17, vcc_lo
.LBB2047_191:
	s_or_b32 exec_lo, exec_lo, s3
	s_waitcnt lgkmcnt(4)
	s_delay_alu instid0(VALU_DEP_1) | instskip(NEXT) | instid1(VALU_DEP_1)
	v_lshlrev_b64 v[7:8], 2, v[7:8]
	v_add_co_u32 v7, vcc_lo, s12, v7
	s_delay_alu instid0(VALU_DEP_2) | instskip(SKIP_3) | instid1(SALU_CYCLE_1)
	v_add_co_ci_u32_e32 v8, vcc_lo, s13, v8, vcc_lo
	s_waitcnt lgkmcnt(3)
	global_store_b32 v[7:8], v6, off
	s_or_b32 exec_lo, exec_lo, s1
	s_mov_b32 s1, exec_lo
	v_cmpx_gt_u32_e64 s11, v25
	s_cbranch_execnz .LBB2047_157
.LBB2047_192:
	s_or_b32 exec_lo, exec_lo, s1
	s_delay_alu instid0(SALU_CYCLE_1)
	s_mov_b32 s1, exec_lo
	v_cmpx_gt_u32_e64 s11, v24
	s_cbranch_execz .LBB2047_162
.LBB2047_193:
	s_mov_b32 s3, exec_lo
                                        ; implicit-def: $vgpr5_vgpr6
	v_cmpx_ge_u32_e64 v24, v16
	s_xor_b32 s3, exec_lo, s3
	s_cbranch_execz .LBB2047_195
; %bb.194:
	s_waitcnt lgkmcnt(2)
	v_xor_b32_e32 v3, 0xfffff6ff, v0
                                        ; implicit-def: $vgpr24
	s_delay_alu instid0(VALU_DEP_1) | instskip(SKIP_1) | instid1(VALU_DEP_2)
	v_ashrrev_i32_e32 v6, 31, v3
	v_add_co_u32 v5, vcc_lo, v18, v3
	v_add_co_ci_u32_e32 v6, vcc_lo, v19, v6, vcc_lo
.LBB2047_195:
	s_and_not1_saveexec_b32 s3, s3
	s_cbranch_execz .LBB2047_197
; %bb.196:
	s_waitcnt lgkmcnt(3)
	v_add_co_u32 v5, vcc_lo, v15, v24
	v_add_co_ci_u32_e32 v6, vcc_lo, 0, v17, vcc_lo
.LBB2047_197:
	s_or_b32 exec_lo, exec_lo, s3
	s_waitcnt lgkmcnt(3)
	s_delay_alu instid0(VALU_DEP_1) | instskip(NEXT) | instid1(VALU_DEP_1)
	v_lshlrev_b64 v[5:6], 2, v[5:6]
	v_add_co_u32 v5, vcc_lo, s12, v5
	s_delay_alu instid0(VALU_DEP_2) | instskip(SKIP_3) | instid1(SALU_CYCLE_1)
	v_add_co_ci_u32_e32 v6, vcc_lo, s13, v6, vcc_lo
	s_waitcnt lgkmcnt(2)
	global_store_b32 v[5:6], v4, off
	s_or_b32 exec_lo, exec_lo, s1
	s_mov_b32 s1, exec_lo
	v_cmpx_gt_u32_e64 s11, v23
	s_cbranch_execnz .LBB2047_163
.LBB2047_198:
	s_or_b32 exec_lo, exec_lo, s1
	s_delay_alu instid0(SALU_CYCLE_1)
	s_mov_b32 s1, exec_lo
	v_cmpx_gt_u32_e64 s11, v22
	s_cbranch_execz .LBB2047_204
.LBB2047_199:
	s_mov_b32 s3, exec_lo
                                        ; implicit-def: $vgpr3_vgpr4
	v_cmpx_ge_u32_e64 v22, v16
	s_xor_b32 s3, exec_lo, s3
	s_cbranch_execz .LBB2047_201
; %bb.200:
	s_waitcnt lgkmcnt(1)
	v_xor_b32_e32 v1, 0xfffff4ff, v0
                                        ; implicit-def: $vgpr22
	s_delay_alu instid0(VALU_DEP_1) | instskip(SKIP_1) | instid1(VALU_DEP_2)
	v_ashrrev_i32_e32 v4, 31, v1
	v_add_co_u32 v3, vcc_lo, v18, v1
	v_add_co_ci_u32_e32 v4, vcc_lo, v19, v4, vcc_lo
.LBB2047_201:
	s_and_not1_saveexec_b32 s3, s3
	s_cbranch_execz .LBB2047_203
; %bb.202:
	s_waitcnt lgkmcnt(2)
	v_add_co_u32 v3, vcc_lo, v15, v22
	v_add_co_ci_u32_e32 v4, vcc_lo, 0, v17, vcc_lo
.LBB2047_203:
	s_or_b32 exec_lo, exec_lo, s3
	s_waitcnt lgkmcnt(2)
	s_delay_alu instid0(VALU_DEP_1) | instskip(NEXT) | instid1(VALU_DEP_1)
	v_lshlrev_b64 v[3:4], 2, v[3:4]
	v_add_co_u32 v3, vcc_lo, s12, v3
	s_delay_alu instid0(VALU_DEP_2)
	v_add_co_ci_u32_e32 v4, vcc_lo, s13, v4, vcc_lo
	s_waitcnt lgkmcnt(1)
	global_store_b32 v[3:4], v2, off
.LBB2047_204:
	s_or_b32 exec_lo, exec_lo, s1
	s_delay_alu instid0(SALU_CYCLE_1)
	s_mov_b32 s1, exec_lo
                                        ; implicit-def: $vgpr13_vgpr14
	v_cmpx_gt_u32_e64 s11, v21
	s_cbranch_execz .LBB2047_210
; %bb.205:
	s_mov_b32 s3, exec_lo
                                        ; implicit-def: $vgpr13_vgpr14
	v_cmpx_ge_u32_e64 v21, v16
	s_xor_b32 s3, exec_lo, s3
	s_cbranch_execz .LBB2047_207
; %bb.206:
	v_xor_b32_e32 v0, 0xfffff3ff, v0
                                        ; implicit-def: $vgpr21
	s_waitcnt lgkmcnt(1)
	s_delay_alu instid0(VALU_DEP_1) | instskip(SKIP_1) | instid1(VALU_DEP_2)
	v_ashrrev_i32_e32 v1, 31, v0
	v_add_co_u32 v13, vcc_lo, v18, v0
	v_add_co_ci_u32_e32 v14, vcc_lo, v19, v1, vcc_lo
.LBB2047_207:
	s_and_not1_saveexec_b32 s3, s3
; %bb.208:
	v_add_co_u32 v13, vcc_lo, v15, v21
	v_add_co_ci_u32_e32 v14, vcc_lo, 0, v17, vcc_lo
; %bb.209:
	s_or_b32 exec_lo, exec_lo, s3
	s_delay_alu instid0(SALU_CYCLE_1)
	s_or_b32 s0, s0, exec_lo
.LBB2047_210:
	s_or_b32 exec_lo, exec_lo, s1
	s_and_saveexec_b32 s1, s0
	s_cbranch_execnz .LBB2047_129
.LBB2047_211:
	s_or_b32 exec_lo, exec_lo, s1
	s_and_b32 s0, s2, s10
	s_delay_alu instid0(SALU_CYCLE_1)
	s_and_saveexec_b32 s1, s0
	s_cbranch_execz .LBB2047_130
.LBB2047_212:
	v_add_co_u32 v0, vcc_lo, v15, v16
	s_waitcnt lgkmcnt(1)
	v_mov_b32_e32 v2, 0
	v_add_co_ci_u32_e32 v1, vcc_lo, 0, v17, vcc_lo
	global_store_b64 v2, v[0:1], s[8:9]
	s_nop 0
	s_sendmsg sendmsg(MSG_DEALLOC_VGPRS)
	s_endpgm
	.section	.rodata,"a",@progbits
	.p2align	6, 0x0
	.amdhsa_kernel _ZN7rocprim17ROCPRIM_400000_NS6detail17trampoline_kernelINS0_13select_configILj256ELj13ELNS0_17block_load_methodE3ELS4_3ELS4_3ELNS0_20block_scan_algorithmE0ELj4294967295EEENS1_25partition_config_selectorILNS1_17partition_subalgoE3EjNS0_10empty_typeEbEEZZNS1_14partition_implILS8_3ELb0ES6_jNS0_17counting_iteratorIjlEEPS9_SE_NS0_5tupleIJPjSE_EEENSF_IJSE_SE_EEES9_SG_JZNS1_25segmented_radix_sort_implINS0_14default_configELb0EPK12hip_bfloat16PSL_PKlPlN2at6native12_GLOBAL__N_18offset_tEEE10hipError_tPvRmT1_PNSt15iterator_traitsISZ_E10value_typeET2_T3_PNS10_IS15_E10value_typeET4_jRbjT5_S1B_jjP12ihipStream_tbEUljE_EEESW_SX_SY_S15_S19_S1B_T6_T7_T9_mT8_S1D_bDpT10_ENKUlT_T0_E_clISt17integral_constantIbLb0EES1P_IbLb1EEEEDaS1L_S1M_EUlS1L_E_NS1_11comp_targetILNS1_3genE9ELNS1_11target_archE1100ELNS1_3gpuE3ELNS1_3repE0EEENS1_30default_config_static_selectorELNS0_4arch9wavefront6targetE0EEEvSZ_
		.amdhsa_group_segment_fixed_size 13324
		.amdhsa_private_segment_fixed_size 0
		.amdhsa_kernarg_size 152
		.amdhsa_user_sgpr_count 15
		.amdhsa_user_sgpr_dispatch_ptr 0
		.amdhsa_user_sgpr_queue_ptr 0
		.amdhsa_user_sgpr_kernarg_segment_ptr 1
		.amdhsa_user_sgpr_dispatch_id 0
		.amdhsa_user_sgpr_private_segment_size 0
		.amdhsa_wavefront_size32 1
		.amdhsa_uses_dynamic_stack 0
		.amdhsa_enable_private_segment 0
		.amdhsa_system_sgpr_workgroup_id_x 1
		.amdhsa_system_sgpr_workgroup_id_y 0
		.amdhsa_system_sgpr_workgroup_id_z 0
		.amdhsa_system_sgpr_workgroup_info 0
		.amdhsa_system_vgpr_workitem_id 0
		.amdhsa_next_free_vgpr 60
		.amdhsa_next_free_sgpr 26
		.amdhsa_reserve_vcc 1
		.amdhsa_float_round_mode_32 0
		.amdhsa_float_round_mode_16_64 0
		.amdhsa_float_denorm_mode_32 3
		.amdhsa_float_denorm_mode_16_64 3
		.amdhsa_dx10_clamp 1
		.amdhsa_ieee_mode 1
		.amdhsa_fp16_overflow 0
		.amdhsa_workgroup_processor_mode 1
		.amdhsa_memory_ordered 1
		.amdhsa_forward_progress 0
		.amdhsa_shared_vgpr_count 0
		.amdhsa_exception_fp_ieee_invalid_op 0
		.amdhsa_exception_fp_denorm_src 0
		.amdhsa_exception_fp_ieee_div_zero 0
		.amdhsa_exception_fp_ieee_overflow 0
		.amdhsa_exception_fp_ieee_underflow 0
		.amdhsa_exception_fp_ieee_inexact 0
		.amdhsa_exception_int_div_zero 0
	.end_amdhsa_kernel
	.section	.text._ZN7rocprim17ROCPRIM_400000_NS6detail17trampoline_kernelINS0_13select_configILj256ELj13ELNS0_17block_load_methodE3ELS4_3ELS4_3ELNS0_20block_scan_algorithmE0ELj4294967295EEENS1_25partition_config_selectorILNS1_17partition_subalgoE3EjNS0_10empty_typeEbEEZZNS1_14partition_implILS8_3ELb0ES6_jNS0_17counting_iteratorIjlEEPS9_SE_NS0_5tupleIJPjSE_EEENSF_IJSE_SE_EEES9_SG_JZNS1_25segmented_radix_sort_implINS0_14default_configELb0EPK12hip_bfloat16PSL_PKlPlN2at6native12_GLOBAL__N_18offset_tEEE10hipError_tPvRmT1_PNSt15iterator_traitsISZ_E10value_typeET2_T3_PNS10_IS15_E10value_typeET4_jRbjT5_S1B_jjP12ihipStream_tbEUljE_EEESW_SX_SY_S15_S19_S1B_T6_T7_T9_mT8_S1D_bDpT10_ENKUlT_T0_E_clISt17integral_constantIbLb0EES1P_IbLb1EEEEDaS1L_S1M_EUlS1L_E_NS1_11comp_targetILNS1_3genE9ELNS1_11target_archE1100ELNS1_3gpuE3ELNS1_3repE0EEENS1_30default_config_static_selectorELNS0_4arch9wavefront6targetE0EEEvSZ_,"axG",@progbits,_ZN7rocprim17ROCPRIM_400000_NS6detail17trampoline_kernelINS0_13select_configILj256ELj13ELNS0_17block_load_methodE3ELS4_3ELS4_3ELNS0_20block_scan_algorithmE0ELj4294967295EEENS1_25partition_config_selectorILNS1_17partition_subalgoE3EjNS0_10empty_typeEbEEZZNS1_14partition_implILS8_3ELb0ES6_jNS0_17counting_iteratorIjlEEPS9_SE_NS0_5tupleIJPjSE_EEENSF_IJSE_SE_EEES9_SG_JZNS1_25segmented_radix_sort_implINS0_14default_configELb0EPK12hip_bfloat16PSL_PKlPlN2at6native12_GLOBAL__N_18offset_tEEE10hipError_tPvRmT1_PNSt15iterator_traitsISZ_E10value_typeET2_T3_PNS10_IS15_E10value_typeET4_jRbjT5_S1B_jjP12ihipStream_tbEUljE_EEESW_SX_SY_S15_S19_S1B_T6_T7_T9_mT8_S1D_bDpT10_ENKUlT_T0_E_clISt17integral_constantIbLb0EES1P_IbLb1EEEEDaS1L_S1M_EUlS1L_E_NS1_11comp_targetILNS1_3genE9ELNS1_11target_archE1100ELNS1_3gpuE3ELNS1_3repE0EEENS1_30default_config_static_selectorELNS0_4arch9wavefront6targetE0EEEvSZ_,comdat
.Lfunc_end2047:
	.size	_ZN7rocprim17ROCPRIM_400000_NS6detail17trampoline_kernelINS0_13select_configILj256ELj13ELNS0_17block_load_methodE3ELS4_3ELS4_3ELNS0_20block_scan_algorithmE0ELj4294967295EEENS1_25partition_config_selectorILNS1_17partition_subalgoE3EjNS0_10empty_typeEbEEZZNS1_14partition_implILS8_3ELb0ES6_jNS0_17counting_iteratorIjlEEPS9_SE_NS0_5tupleIJPjSE_EEENSF_IJSE_SE_EEES9_SG_JZNS1_25segmented_radix_sort_implINS0_14default_configELb0EPK12hip_bfloat16PSL_PKlPlN2at6native12_GLOBAL__N_18offset_tEEE10hipError_tPvRmT1_PNSt15iterator_traitsISZ_E10value_typeET2_T3_PNS10_IS15_E10value_typeET4_jRbjT5_S1B_jjP12ihipStream_tbEUljE_EEESW_SX_SY_S15_S19_S1B_T6_T7_T9_mT8_S1D_bDpT10_ENKUlT_T0_E_clISt17integral_constantIbLb0EES1P_IbLb1EEEEDaS1L_S1M_EUlS1L_E_NS1_11comp_targetILNS1_3genE9ELNS1_11target_archE1100ELNS1_3gpuE3ELNS1_3repE0EEENS1_30default_config_static_selectorELNS0_4arch9wavefront6targetE0EEEvSZ_, .Lfunc_end2047-_ZN7rocprim17ROCPRIM_400000_NS6detail17trampoline_kernelINS0_13select_configILj256ELj13ELNS0_17block_load_methodE3ELS4_3ELS4_3ELNS0_20block_scan_algorithmE0ELj4294967295EEENS1_25partition_config_selectorILNS1_17partition_subalgoE3EjNS0_10empty_typeEbEEZZNS1_14partition_implILS8_3ELb0ES6_jNS0_17counting_iteratorIjlEEPS9_SE_NS0_5tupleIJPjSE_EEENSF_IJSE_SE_EEES9_SG_JZNS1_25segmented_radix_sort_implINS0_14default_configELb0EPK12hip_bfloat16PSL_PKlPlN2at6native12_GLOBAL__N_18offset_tEEE10hipError_tPvRmT1_PNSt15iterator_traitsISZ_E10value_typeET2_T3_PNS10_IS15_E10value_typeET4_jRbjT5_S1B_jjP12ihipStream_tbEUljE_EEESW_SX_SY_S15_S19_S1B_T6_T7_T9_mT8_S1D_bDpT10_ENKUlT_T0_E_clISt17integral_constantIbLb0EES1P_IbLb1EEEEDaS1L_S1M_EUlS1L_E_NS1_11comp_targetILNS1_3genE9ELNS1_11target_archE1100ELNS1_3gpuE3ELNS1_3repE0EEENS1_30default_config_static_selectorELNS0_4arch9wavefront6targetE0EEEvSZ_
                                        ; -- End function
	.section	.AMDGPU.csdata,"",@progbits
; Kernel info:
; codeLenInByte = 9040
; NumSgprs: 28
; NumVgprs: 60
; ScratchSize: 0
; MemoryBound: 0
; FloatMode: 240
; IeeeMode: 1
; LDSByteSize: 13324 bytes/workgroup (compile time only)
; SGPRBlocks: 3
; VGPRBlocks: 7
; NumSGPRsForWavesPerEU: 28
; NumVGPRsForWavesPerEU: 60
; Occupancy: 16
; WaveLimiterHint : 0
; COMPUTE_PGM_RSRC2:SCRATCH_EN: 0
; COMPUTE_PGM_RSRC2:USER_SGPR: 15
; COMPUTE_PGM_RSRC2:TRAP_HANDLER: 0
; COMPUTE_PGM_RSRC2:TGID_X_EN: 1
; COMPUTE_PGM_RSRC2:TGID_Y_EN: 0
; COMPUTE_PGM_RSRC2:TGID_Z_EN: 0
; COMPUTE_PGM_RSRC2:TIDIG_COMP_CNT: 0
	.section	.text._ZN7rocprim17ROCPRIM_400000_NS6detail17trampoline_kernelINS0_13select_configILj256ELj13ELNS0_17block_load_methodE3ELS4_3ELS4_3ELNS0_20block_scan_algorithmE0ELj4294967295EEENS1_25partition_config_selectorILNS1_17partition_subalgoE3EjNS0_10empty_typeEbEEZZNS1_14partition_implILS8_3ELb0ES6_jNS0_17counting_iteratorIjlEEPS9_SE_NS0_5tupleIJPjSE_EEENSF_IJSE_SE_EEES9_SG_JZNS1_25segmented_radix_sort_implINS0_14default_configELb0EPK12hip_bfloat16PSL_PKlPlN2at6native12_GLOBAL__N_18offset_tEEE10hipError_tPvRmT1_PNSt15iterator_traitsISZ_E10value_typeET2_T3_PNS10_IS15_E10value_typeET4_jRbjT5_S1B_jjP12ihipStream_tbEUljE_EEESW_SX_SY_S15_S19_S1B_T6_T7_T9_mT8_S1D_bDpT10_ENKUlT_T0_E_clISt17integral_constantIbLb0EES1P_IbLb1EEEEDaS1L_S1M_EUlS1L_E_NS1_11comp_targetILNS1_3genE8ELNS1_11target_archE1030ELNS1_3gpuE2ELNS1_3repE0EEENS1_30default_config_static_selectorELNS0_4arch9wavefront6targetE0EEEvSZ_,"axG",@progbits,_ZN7rocprim17ROCPRIM_400000_NS6detail17trampoline_kernelINS0_13select_configILj256ELj13ELNS0_17block_load_methodE3ELS4_3ELS4_3ELNS0_20block_scan_algorithmE0ELj4294967295EEENS1_25partition_config_selectorILNS1_17partition_subalgoE3EjNS0_10empty_typeEbEEZZNS1_14partition_implILS8_3ELb0ES6_jNS0_17counting_iteratorIjlEEPS9_SE_NS0_5tupleIJPjSE_EEENSF_IJSE_SE_EEES9_SG_JZNS1_25segmented_radix_sort_implINS0_14default_configELb0EPK12hip_bfloat16PSL_PKlPlN2at6native12_GLOBAL__N_18offset_tEEE10hipError_tPvRmT1_PNSt15iterator_traitsISZ_E10value_typeET2_T3_PNS10_IS15_E10value_typeET4_jRbjT5_S1B_jjP12ihipStream_tbEUljE_EEESW_SX_SY_S15_S19_S1B_T6_T7_T9_mT8_S1D_bDpT10_ENKUlT_T0_E_clISt17integral_constantIbLb0EES1P_IbLb1EEEEDaS1L_S1M_EUlS1L_E_NS1_11comp_targetILNS1_3genE8ELNS1_11target_archE1030ELNS1_3gpuE2ELNS1_3repE0EEENS1_30default_config_static_selectorELNS0_4arch9wavefront6targetE0EEEvSZ_,comdat
	.globl	_ZN7rocprim17ROCPRIM_400000_NS6detail17trampoline_kernelINS0_13select_configILj256ELj13ELNS0_17block_load_methodE3ELS4_3ELS4_3ELNS0_20block_scan_algorithmE0ELj4294967295EEENS1_25partition_config_selectorILNS1_17partition_subalgoE3EjNS0_10empty_typeEbEEZZNS1_14partition_implILS8_3ELb0ES6_jNS0_17counting_iteratorIjlEEPS9_SE_NS0_5tupleIJPjSE_EEENSF_IJSE_SE_EEES9_SG_JZNS1_25segmented_radix_sort_implINS0_14default_configELb0EPK12hip_bfloat16PSL_PKlPlN2at6native12_GLOBAL__N_18offset_tEEE10hipError_tPvRmT1_PNSt15iterator_traitsISZ_E10value_typeET2_T3_PNS10_IS15_E10value_typeET4_jRbjT5_S1B_jjP12ihipStream_tbEUljE_EEESW_SX_SY_S15_S19_S1B_T6_T7_T9_mT8_S1D_bDpT10_ENKUlT_T0_E_clISt17integral_constantIbLb0EES1P_IbLb1EEEEDaS1L_S1M_EUlS1L_E_NS1_11comp_targetILNS1_3genE8ELNS1_11target_archE1030ELNS1_3gpuE2ELNS1_3repE0EEENS1_30default_config_static_selectorELNS0_4arch9wavefront6targetE0EEEvSZ_ ; -- Begin function _ZN7rocprim17ROCPRIM_400000_NS6detail17trampoline_kernelINS0_13select_configILj256ELj13ELNS0_17block_load_methodE3ELS4_3ELS4_3ELNS0_20block_scan_algorithmE0ELj4294967295EEENS1_25partition_config_selectorILNS1_17partition_subalgoE3EjNS0_10empty_typeEbEEZZNS1_14partition_implILS8_3ELb0ES6_jNS0_17counting_iteratorIjlEEPS9_SE_NS0_5tupleIJPjSE_EEENSF_IJSE_SE_EEES9_SG_JZNS1_25segmented_radix_sort_implINS0_14default_configELb0EPK12hip_bfloat16PSL_PKlPlN2at6native12_GLOBAL__N_18offset_tEEE10hipError_tPvRmT1_PNSt15iterator_traitsISZ_E10value_typeET2_T3_PNS10_IS15_E10value_typeET4_jRbjT5_S1B_jjP12ihipStream_tbEUljE_EEESW_SX_SY_S15_S19_S1B_T6_T7_T9_mT8_S1D_bDpT10_ENKUlT_T0_E_clISt17integral_constantIbLb0EES1P_IbLb1EEEEDaS1L_S1M_EUlS1L_E_NS1_11comp_targetILNS1_3genE8ELNS1_11target_archE1030ELNS1_3gpuE2ELNS1_3repE0EEENS1_30default_config_static_selectorELNS0_4arch9wavefront6targetE0EEEvSZ_
	.p2align	8
	.type	_ZN7rocprim17ROCPRIM_400000_NS6detail17trampoline_kernelINS0_13select_configILj256ELj13ELNS0_17block_load_methodE3ELS4_3ELS4_3ELNS0_20block_scan_algorithmE0ELj4294967295EEENS1_25partition_config_selectorILNS1_17partition_subalgoE3EjNS0_10empty_typeEbEEZZNS1_14partition_implILS8_3ELb0ES6_jNS0_17counting_iteratorIjlEEPS9_SE_NS0_5tupleIJPjSE_EEENSF_IJSE_SE_EEES9_SG_JZNS1_25segmented_radix_sort_implINS0_14default_configELb0EPK12hip_bfloat16PSL_PKlPlN2at6native12_GLOBAL__N_18offset_tEEE10hipError_tPvRmT1_PNSt15iterator_traitsISZ_E10value_typeET2_T3_PNS10_IS15_E10value_typeET4_jRbjT5_S1B_jjP12ihipStream_tbEUljE_EEESW_SX_SY_S15_S19_S1B_T6_T7_T9_mT8_S1D_bDpT10_ENKUlT_T0_E_clISt17integral_constantIbLb0EES1P_IbLb1EEEEDaS1L_S1M_EUlS1L_E_NS1_11comp_targetILNS1_3genE8ELNS1_11target_archE1030ELNS1_3gpuE2ELNS1_3repE0EEENS1_30default_config_static_selectorELNS0_4arch9wavefront6targetE0EEEvSZ_,@function
_ZN7rocprim17ROCPRIM_400000_NS6detail17trampoline_kernelINS0_13select_configILj256ELj13ELNS0_17block_load_methodE3ELS4_3ELS4_3ELNS0_20block_scan_algorithmE0ELj4294967295EEENS1_25partition_config_selectorILNS1_17partition_subalgoE3EjNS0_10empty_typeEbEEZZNS1_14partition_implILS8_3ELb0ES6_jNS0_17counting_iteratorIjlEEPS9_SE_NS0_5tupleIJPjSE_EEENSF_IJSE_SE_EEES9_SG_JZNS1_25segmented_radix_sort_implINS0_14default_configELb0EPK12hip_bfloat16PSL_PKlPlN2at6native12_GLOBAL__N_18offset_tEEE10hipError_tPvRmT1_PNSt15iterator_traitsISZ_E10value_typeET2_T3_PNS10_IS15_E10value_typeET4_jRbjT5_S1B_jjP12ihipStream_tbEUljE_EEESW_SX_SY_S15_S19_S1B_T6_T7_T9_mT8_S1D_bDpT10_ENKUlT_T0_E_clISt17integral_constantIbLb0EES1P_IbLb1EEEEDaS1L_S1M_EUlS1L_E_NS1_11comp_targetILNS1_3genE8ELNS1_11target_archE1030ELNS1_3gpuE2ELNS1_3repE0EEENS1_30default_config_static_selectorELNS0_4arch9wavefront6targetE0EEEvSZ_: ; @_ZN7rocprim17ROCPRIM_400000_NS6detail17trampoline_kernelINS0_13select_configILj256ELj13ELNS0_17block_load_methodE3ELS4_3ELS4_3ELNS0_20block_scan_algorithmE0ELj4294967295EEENS1_25partition_config_selectorILNS1_17partition_subalgoE3EjNS0_10empty_typeEbEEZZNS1_14partition_implILS8_3ELb0ES6_jNS0_17counting_iteratorIjlEEPS9_SE_NS0_5tupleIJPjSE_EEENSF_IJSE_SE_EEES9_SG_JZNS1_25segmented_radix_sort_implINS0_14default_configELb0EPK12hip_bfloat16PSL_PKlPlN2at6native12_GLOBAL__N_18offset_tEEE10hipError_tPvRmT1_PNSt15iterator_traitsISZ_E10value_typeET2_T3_PNS10_IS15_E10value_typeET4_jRbjT5_S1B_jjP12ihipStream_tbEUljE_EEESW_SX_SY_S15_S19_S1B_T6_T7_T9_mT8_S1D_bDpT10_ENKUlT_T0_E_clISt17integral_constantIbLb0EES1P_IbLb1EEEEDaS1L_S1M_EUlS1L_E_NS1_11comp_targetILNS1_3genE8ELNS1_11target_archE1030ELNS1_3gpuE2ELNS1_3repE0EEENS1_30default_config_static_selectorELNS0_4arch9wavefront6targetE0EEEvSZ_
; %bb.0:
	.section	.rodata,"a",@progbits
	.p2align	6, 0x0
	.amdhsa_kernel _ZN7rocprim17ROCPRIM_400000_NS6detail17trampoline_kernelINS0_13select_configILj256ELj13ELNS0_17block_load_methodE3ELS4_3ELS4_3ELNS0_20block_scan_algorithmE0ELj4294967295EEENS1_25partition_config_selectorILNS1_17partition_subalgoE3EjNS0_10empty_typeEbEEZZNS1_14partition_implILS8_3ELb0ES6_jNS0_17counting_iteratorIjlEEPS9_SE_NS0_5tupleIJPjSE_EEENSF_IJSE_SE_EEES9_SG_JZNS1_25segmented_radix_sort_implINS0_14default_configELb0EPK12hip_bfloat16PSL_PKlPlN2at6native12_GLOBAL__N_18offset_tEEE10hipError_tPvRmT1_PNSt15iterator_traitsISZ_E10value_typeET2_T3_PNS10_IS15_E10value_typeET4_jRbjT5_S1B_jjP12ihipStream_tbEUljE_EEESW_SX_SY_S15_S19_S1B_T6_T7_T9_mT8_S1D_bDpT10_ENKUlT_T0_E_clISt17integral_constantIbLb0EES1P_IbLb1EEEEDaS1L_S1M_EUlS1L_E_NS1_11comp_targetILNS1_3genE8ELNS1_11target_archE1030ELNS1_3gpuE2ELNS1_3repE0EEENS1_30default_config_static_selectorELNS0_4arch9wavefront6targetE0EEEvSZ_
		.amdhsa_group_segment_fixed_size 0
		.amdhsa_private_segment_fixed_size 0
		.amdhsa_kernarg_size 152
		.amdhsa_user_sgpr_count 15
		.amdhsa_user_sgpr_dispatch_ptr 0
		.amdhsa_user_sgpr_queue_ptr 0
		.amdhsa_user_sgpr_kernarg_segment_ptr 1
		.amdhsa_user_sgpr_dispatch_id 0
		.amdhsa_user_sgpr_private_segment_size 0
		.amdhsa_wavefront_size32 1
		.amdhsa_uses_dynamic_stack 0
		.amdhsa_enable_private_segment 0
		.amdhsa_system_sgpr_workgroup_id_x 1
		.amdhsa_system_sgpr_workgroup_id_y 0
		.amdhsa_system_sgpr_workgroup_id_z 0
		.amdhsa_system_sgpr_workgroup_info 0
		.amdhsa_system_vgpr_workitem_id 0
		.amdhsa_next_free_vgpr 1
		.amdhsa_next_free_sgpr 1
		.amdhsa_reserve_vcc 0
		.amdhsa_float_round_mode_32 0
		.amdhsa_float_round_mode_16_64 0
		.amdhsa_float_denorm_mode_32 3
		.amdhsa_float_denorm_mode_16_64 3
		.amdhsa_dx10_clamp 1
		.amdhsa_ieee_mode 1
		.amdhsa_fp16_overflow 0
		.amdhsa_workgroup_processor_mode 1
		.amdhsa_memory_ordered 1
		.amdhsa_forward_progress 0
		.amdhsa_shared_vgpr_count 0
		.amdhsa_exception_fp_ieee_invalid_op 0
		.amdhsa_exception_fp_denorm_src 0
		.amdhsa_exception_fp_ieee_div_zero 0
		.amdhsa_exception_fp_ieee_overflow 0
		.amdhsa_exception_fp_ieee_underflow 0
		.amdhsa_exception_fp_ieee_inexact 0
		.amdhsa_exception_int_div_zero 0
	.end_amdhsa_kernel
	.section	.text._ZN7rocprim17ROCPRIM_400000_NS6detail17trampoline_kernelINS0_13select_configILj256ELj13ELNS0_17block_load_methodE3ELS4_3ELS4_3ELNS0_20block_scan_algorithmE0ELj4294967295EEENS1_25partition_config_selectorILNS1_17partition_subalgoE3EjNS0_10empty_typeEbEEZZNS1_14partition_implILS8_3ELb0ES6_jNS0_17counting_iteratorIjlEEPS9_SE_NS0_5tupleIJPjSE_EEENSF_IJSE_SE_EEES9_SG_JZNS1_25segmented_radix_sort_implINS0_14default_configELb0EPK12hip_bfloat16PSL_PKlPlN2at6native12_GLOBAL__N_18offset_tEEE10hipError_tPvRmT1_PNSt15iterator_traitsISZ_E10value_typeET2_T3_PNS10_IS15_E10value_typeET4_jRbjT5_S1B_jjP12ihipStream_tbEUljE_EEESW_SX_SY_S15_S19_S1B_T6_T7_T9_mT8_S1D_bDpT10_ENKUlT_T0_E_clISt17integral_constantIbLb0EES1P_IbLb1EEEEDaS1L_S1M_EUlS1L_E_NS1_11comp_targetILNS1_3genE8ELNS1_11target_archE1030ELNS1_3gpuE2ELNS1_3repE0EEENS1_30default_config_static_selectorELNS0_4arch9wavefront6targetE0EEEvSZ_,"axG",@progbits,_ZN7rocprim17ROCPRIM_400000_NS6detail17trampoline_kernelINS0_13select_configILj256ELj13ELNS0_17block_load_methodE3ELS4_3ELS4_3ELNS0_20block_scan_algorithmE0ELj4294967295EEENS1_25partition_config_selectorILNS1_17partition_subalgoE3EjNS0_10empty_typeEbEEZZNS1_14partition_implILS8_3ELb0ES6_jNS0_17counting_iteratorIjlEEPS9_SE_NS0_5tupleIJPjSE_EEENSF_IJSE_SE_EEES9_SG_JZNS1_25segmented_radix_sort_implINS0_14default_configELb0EPK12hip_bfloat16PSL_PKlPlN2at6native12_GLOBAL__N_18offset_tEEE10hipError_tPvRmT1_PNSt15iterator_traitsISZ_E10value_typeET2_T3_PNS10_IS15_E10value_typeET4_jRbjT5_S1B_jjP12ihipStream_tbEUljE_EEESW_SX_SY_S15_S19_S1B_T6_T7_T9_mT8_S1D_bDpT10_ENKUlT_T0_E_clISt17integral_constantIbLb0EES1P_IbLb1EEEEDaS1L_S1M_EUlS1L_E_NS1_11comp_targetILNS1_3genE8ELNS1_11target_archE1030ELNS1_3gpuE2ELNS1_3repE0EEENS1_30default_config_static_selectorELNS0_4arch9wavefront6targetE0EEEvSZ_,comdat
.Lfunc_end2048:
	.size	_ZN7rocprim17ROCPRIM_400000_NS6detail17trampoline_kernelINS0_13select_configILj256ELj13ELNS0_17block_load_methodE3ELS4_3ELS4_3ELNS0_20block_scan_algorithmE0ELj4294967295EEENS1_25partition_config_selectorILNS1_17partition_subalgoE3EjNS0_10empty_typeEbEEZZNS1_14partition_implILS8_3ELb0ES6_jNS0_17counting_iteratorIjlEEPS9_SE_NS0_5tupleIJPjSE_EEENSF_IJSE_SE_EEES9_SG_JZNS1_25segmented_radix_sort_implINS0_14default_configELb0EPK12hip_bfloat16PSL_PKlPlN2at6native12_GLOBAL__N_18offset_tEEE10hipError_tPvRmT1_PNSt15iterator_traitsISZ_E10value_typeET2_T3_PNS10_IS15_E10value_typeET4_jRbjT5_S1B_jjP12ihipStream_tbEUljE_EEESW_SX_SY_S15_S19_S1B_T6_T7_T9_mT8_S1D_bDpT10_ENKUlT_T0_E_clISt17integral_constantIbLb0EES1P_IbLb1EEEEDaS1L_S1M_EUlS1L_E_NS1_11comp_targetILNS1_3genE8ELNS1_11target_archE1030ELNS1_3gpuE2ELNS1_3repE0EEENS1_30default_config_static_selectorELNS0_4arch9wavefront6targetE0EEEvSZ_, .Lfunc_end2048-_ZN7rocprim17ROCPRIM_400000_NS6detail17trampoline_kernelINS0_13select_configILj256ELj13ELNS0_17block_load_methodE3ELS4_3ELS4_3ELNS0_20block_scan_algorithmE0ELj4294967295EEENS1_25partition_config_selectorILNS1_17partition_subalgoE3EjNS0_10empty_typeEbEEZZNS1_14partition_implILS8_3ELb0ES6_jNS0_17counting_iteratorIjlEEPS9_SE_NS0_5tupleIJPjSE_EEENSF_IJSE_SE_EEES9_SG_JZNS1_25segmented_radix_sort_implINS0_14default_configELb0EPK12hip_bfloat16PSL_PKlPlN2at6native12_GLOBAL__N_18offset_tEEE10hipError_tPvRmT1_PNSt15iterator_traitsISZ_E10value_typeET2_T3_PNS10_IS15_E10value_typeET4_jRbjT5_S1B_jjP12ihipStream_tbEUljE_EEESW_SX_SY_S15_S19_S1B_T6_T7_T9_mT8_S1D_bDpT10_ENKUlT_T0_E_clISt17integral_constantIbLb0EES1P_IbLb1EEEEDaS1L_S1M_EUlS1L_E_NS1_11comp_targetILNS1_3genE8ELNS1_11target_archE1030ELNS1_3gpuE2ELNS1_3repE0EEENS1_30default_config_static_selectorELNS0_4arch9wavefront6targetE0EEEvSZ_
                                        ; -- End function
	.section	.AMDGPU.csdata,"",@progbits
; Kernel info:
; codeLenInByte = 0
; NumSgprs: 0
; NumVgprs: 0
; ScratchSize: 0
; MemoryBound: 0
; FloatMode: 240
; IeeeMode: 1
; LDSByteSize: 0 bytes/workgroup (compile time only)
; SGPRBlocks: 0
; VGPRBlocks: 0
; NumSGPRsForWavesPerEU: 1
; NumVGPRsForWavesPerEU: 1
; Occupancy: 16
; WaveLimiterHint : 0
; COMPUTE_PGM_RSRC2:SCRATCH_EN: 0
; COMPUTE_PGM_RSRC2:USER_SGPR: 15
; COMPUTE_PGM_RSRC2:TRAP_HANDLER: 0
; COMPUTE_PGM_RSRC2:TGID_X_EN: 1
; COMPUTE_PGM_RSRC2:TGID_Y_EN: 0
; COMPUTE_PGM_RSRC2:TGID_Z_EN: 0
; COMPUTE_PGM_RSRC2:TIDIG_COMP_CNT: 0
	.section	.text._ZN7rocprim17ROCPRIM_400000_NS6detail17trampoline_kernelINS0_14default_configENS1_36segmented_radix_sort_config_selectorI12hip_bfloat16lEEZNS1_25segmented_radix_sort_implIS3_Lb0EPKS5_PS5_PKlPlN2at6native12_GLOBAL__N_18offset_tEEE10hipError_tPvRmT1_PNSt15iterator_traitsISL_E10value_typeET2_T3_PNSM_ISR_E10value_typeET4_jRbjT5_SX_jjP12ihipStream_tbEUlT_E_NS1_11comp_targetILNS1_3genE0ELNS1_11target_archE4294967295ELNS1_3gpuE0ELNS1_3repE0EEENS1_30default_config_static_selectorELNS0_4arch9wavefront6targetE0EEEvSL_,"axG",@progbits,_ZN7rocprim17ROCPRIM_400000_NS6detail17trampoline_kernelINS0_14default_configENS1_36segmented_radix_sort_config_selectorI12hip_bfloat16lEEZNS1_25segmented_radix_sort_implIS3_Lb0EPKS5_PS5_PKlPlN2at6native12_GLOBAL__N_18offset_tEEE10hipError_tPvRmT1_PNSt15iterator_traitsISL_E10value_typeET2_T3_PNSM_ISR_E10value_typeET4_jRbjT5_SX_jjP12ihipStream_tbEUlT_E_NS1_11comp_targetILNS1_3genE0ELNS1_11target_archE4294967295ELNS1_3gpuE0ELNS1_3repE0EEENS1_30default_config_static_selectorELNS0_4arch9wavefront6targetE0EEEvSL_,comdat
	.globl	_ZN7rocprim17ROCPRIM_400000_NS6detail17trampoline_kernelINS0_14default_configENS1_36segmented_radix_sort_config_selectorI12hip_bfloat16lEEZNS1_25segmented_radix_sort_implIS3_Lb0EPKS5_PS5_PKlPlN2at6native12_GLOBAL__N_18offset_tEEE10hipError_tPvRmT1_PNSt15iterator_traitsISL_E10value_typeET2_T3_PNSM_ISR_E10value_typeET4_jRbjT5_SX_jjP12ihipStream_tbEUlT_E_NS1_11comp_targetILNS1_3genE0ELNS1_11target_archE4294967295ELNS1_3gpuE0ELNS1_3repE0EEENS1_30default_config_static_selectorELNS0_4arch9wavefront6targetE0EEEvSL_ ; -- Begin function _ZN7rocprim17ROCPRIM_400000_NS6detail17trampoline_kernelINS0_14default_configENS1_36segmented_radix_sort_config_selectorI12hip_bfloat16lEEZNS1_25segmented_radix_sort_implIS3_Lb0EPKS5_PS5_PKlPlN2at6native12_GLOBAL__N_18offset_tEEE10hipError_tPvRmT1_PNSt15iterator_traitsISL_E10value_typeET2_T3_PNSM_ISR_E10value_typeET4_jRbjT5_SX_jjP12ihipStream_tbEUlT_E_NS1_11comp_targetILNS1_3genE0ELNS1_11target_archE4294967295ELNS1_3gpuE0ELNS1_3repE0EEENS1_30default_config_static_selectorELNS0_4arch9wavefront6targetE0EEEvSL_
	.p2align	8
	.type	_ZN7rocprim17ROCPRIM_400000_NS6detail17trampoline_kernelINS0_14default_configENS1_36segmented_radix_sort_config_selectorI12hip_bfloat16lEEZNS1_25segmented_radix_sort_implIS3_Lb0EPKS5_PS5_PKlPlN2at6native12_GLOBAL__N_18offset_tEEE10hipError_tPvRmT1_PNSt15iterator_traitsISL_E10value_typeET2_T3_PNSM_ISR_E10value_typeET4_jRbjT5_SX_jjP12ihipStream_tbEUlT_E_NS1_11comp_targetILNS1_3genE0ELNS1_11target_archE4294967295ELNS1_3gpuE0ELNS1_3repE0EEENS1_30default_config_static_selectorELNS0_4arch9wavefront6targetE0EEEvSL_,@function
_ZN7rocprim17ROCPRIM_400000_NS6detail17trampoline_kernelINS0_14default_configENS1_36segmented_radix_sort_config_selectorI12hip_bfloat16lEEZNS1_25segmented_radix_sort_implIS3_Lb0EPKS5_PS5_PKlPlN2at6native12_GLOBAL__N_18offset_tEEE10hipError_tPvRmT1_PNSt15iterator_traitsISL_E10value_typeET2_T3_PNSM_ISR_E10value_typeET4_jRbjT5_SX_jjP12ihipStream_tbEUlT_E_NS1_11comp_targetILNS1_3genE0ELNS1_11target_archE4294967295ELNS1_3gpuE0ELNS1_3repE0EEENS1_30default_config_static_selectorELNS0_4arch9wavefront6targetE0EEEvSL_: ; @_ZN7rocprim17ROCPRIM_400000_NS6detail17trampoline_kernelINS0_14default_configENS1_36segmented_radix_sort_config_selectorI12hip_bfloat16lEEZNS1_25segmented_radix_sort_implIS3_Lb0EPKS5_PS5_PKlPlN2at6native12_GLOBAL__N_18offset_tEEE10hipError_tPvRmT1_PNSt15iterator_traitsISL_E10value_typeET2_T3_PNSM_ISR_E10value_typeET4_jRbjT5_SX_jjP12ihipStream_tbEUlT_E_NS1_11comp_targetILNS1_3genE0ELNS1_11target_archE4294967295ELNS1_3gpuE0ELNS1_3repE0EEENS1_30default_config_static_selectorELNS0_4arch9wavefront6targetE0EEEvSL_
; %bb.0:
	.section	.rodata,"a",@progbits
	.p2align	6, 0x0
	.amdhsa_kernel _ZN7rocprim17ROCPRIM_400000_NS6detail17trampoline_kernelINS0_14default_configENS1_36segmented_radix_sort_config_selectorI12hip_bfloat16lEEZNS1_25segmented_radix_sort_implIS3_Lb0EPKS5_PS5_PKlPlN2at6native12_GLOBAL__N_18offset_tEEE10hipError_tPvRmT1_PNSt15iterator_traitsISL_E10value_typeET2_T3_PNSM_ISR_E10value_typeET4_jRbjT5_SX_jjP12ihipStream_tbEUlT_E_NS1_11comp_targetILNS1_3genE0ELNS1_11target_archE4294967295ELNS1_3gpuE0ELNS1_3repE0EEENS1_30default_config_static_selectorELNS0_4arch9wavefront6targetE0EEEvSL_
		.amdhsa_group_segment_fixed_size 0
		.amdhsa_private_segment_fixed_size 0
		.amdhsa_kernarg_size 96
		.amdhsa_user_sgpr_count 15
		.amdhsa_user_sgpr_dispatch_ptr 0
		.amdhsa_user_sgpr_queue_ptr 0
		.amdhsa_user_sgpr_kernarg_segment_ptr 1
		.amdhsa_user_sgpr_dispatch_id 0
		.amdhsa_user_sgpr_private_segment_size 0
		.amdhsa_wavefront_size32 1
		.amdhsa_uses_dynamic_stack 0
		.amdhsa_enable_private_segment 0
		.amdhsa_system_sgpr_workgroup_id_x 1
		.amdhsa_system_sgpr_workgroup_id_y 0
		.amdhsa_system_sgpr_workgroup_id_z 0
		.amdhsa_system_sgpr_workgroup_info 0
		.amdhsa_system_vgpr_workitem_id 0
		.amdhsa_next_free_vgpr 1
		.amdhsa_next_free_sgpr 1
		.amdhsa_reserve_vcc 0
		.amdhsa_float_round_mode_32 0
		.amdhsa_float_round_mode_16_64 0
		.amdhsa_float_denorm_mode_32 3
		.amdhsa_float_denorm_mode_16_64 3
		.amdhsa_dx10_clamp 1
		.amdhsa_ieee_mode 1
		.amdhsa_fp16_overflow 0
		.amdhsa_workgroup_processor_mode 1
		.amdhsa_memory_ordered 1
		.amdhsa_forward_progress 0
		.amdhsa_shared_vgpr_count 0
		.amdhsa_exception_fp_ieee_invalid_op 0
		.amdhsa_exception_fp_denorm_src 0
		.amdhsa_exception_fp_ieee_div_zero 0
		.amdhsa_exception_fp_ieee_overflow 0
		.amdhsa_exception_fp_ieee_underflow 0
		.amdhsa_exception_fp_ieee_inexact 0
		.amdhsa_exception_int_div_zero 0
	.end_amdhsa_kernel
	.section	.text._ZN7rocprim17ROCPRIM_400000_NS6detail17trampoline_kernelINS0_14default_configENS1_36segmented_radix_sort_config_selectorI12hip_bfloat16lEEZNS1_25segmented_radix_sort_implIS3_Lb0EPKS5_PS5_PKlPlN2at6native12_GLOBAL__N_18offset_tEEE10hipError_tPvRmT1_PNSt15iterator_traitsISL_E10value_typeET2_T3_PNSM_ISR_E10value_typeET4_jRbjT5_SX_jjP12ihipStream_tbEUlT_E_NS1_11comp_targetILNS1_3genE0ELNS1_11target_archE4294967295ELNS1_3gpuE0ELNS1_3repE0EEENS1_30default_config_static_selectorELNS0_4arch9wavefront6targetE0EEEvSL_,"axG",@progbits,_ZN7rocprim17ROCPRIM_400000_NS6detail17trampoline_kernelINS0_14default_configENS1_36segmented_radix_sort_config_selectorI12hip_bfloat16lEEZNS1_25segmented_radix_sort_implIS3_Lb0EPKS5_PS5_PKlPlN2at6native12_GLOBAL__N_18offset_tEEE10hipError_tPvRmT1_PNSt15iterator_traitsISL_E10value_typeET2_T3_PNSM_ISR_E10value_typeET4_jRbjT5_SX_jjP12ihipStream_tbEUlT_E_NS1_11comp_targetILNS1_3genE0ELNS1_11target_archE4294967295ELNS1_3gpuE0ELNS1_3repE0EEENS1_30default_config_static_selectorELNS0_4arch9wavefront6targetE0EEEvSL_,comdat
.Lfunc_end2049:
	.size	_ZN7rocprim17ROCPRIM_400000_NS6detail17trampoline_kernelINS0_14default_configENS1_36segmented_radix_sort_config_selectorI12hip_bfloat16lEEZNS1_25segmented_radix_sort_implIS3_Lb0EPKS5_PS5_PKlPlN2at6native12_GLOBAL__N_18offset_tEEE10hipError_tPvRmT1_PNSt15iterator_traitsISL_E10value_typeET2_T3_PNSM_ISR_E10value_typeET4_jRbjT5_SX_jjP12ihipStream_tbEUlT_E_NS1_11comp_targetILNS1_3genE0ELNS1_11target_archE4294967295ELNS1_3gpuE0ELNS1_3repE0EEENS1_30default_config_static_selectorELNS0_4arch9wavefront6targetE0EEEvSL_, .Lfunc_end2049-_ZN7rocprim17ROCPRIM_400000_NS6detail17trampoline_kernelINS0_14default_configENS1_36segmented_radix_sort_config_selectorI12hip_bfloat16lEEZNS1_25segmented_radix_sort_implIS3_Lb0EPKS5_PS5_PKlPlN2at6native12_GLOBAL__N_18offset_tEEE10hipError_tPvRmT1_PNSt15iterator_traitsISL_E10value_typeET2_T3_PNSM_ISR_E10value_typeET4_jRbjT5_SX_jjP12ihipStream_tbEUlT_E_NS1_11comp_targetILNS1_3genE0ELNS1_11target_archE4294967295ELNS1_3gpuE0ELNS1_3repE0EEENS1_30default_config_static_selectorELNS0_4arch9wavefront6targetE0EEEvSL_
                                        ; -- End function
	.section	.AMDGPU.csdata,"",@progbits
; Kernel info:
; codeLenInByte = 0
; NumSgprs: 0
; NumVgprs: 0
; ScratchSize: 0
; MemoryBound: 0
; FloatMode: 240
; IeeeMode: 1
; LDSByteSize: 0 bytes/workgroup (compile time only)
; SGPRBlocks: 0
; VGPRBlocks: 0
; NumSGPRsForWavesPerEU: 1
; NumVGPRsForWavesPerEU: 1
; Occupancy: 16
; WaveLimiterHint : 0
; COMPUTE_PGM_RSRC2:SCRATCH_EN: 0
; COMPUTE_PGM_RSRC2:USER_SGPR: 15
; COMPUTE_PGM_RSRC2:TRAP_HANDLER: 0
; COMPUTE_PGM_RSRC2:TGID_X_EN: 1
; COMPUTE_PGM_RSRC2:TGID_Y_EN: 0
; COMPUTE_PGM_RSRC2:TGID_Z_EN: 0
; COMPUTE_PGM_RSRC2:TIDIG_COMP_CNT: 0
	.section	.text._ZN7rocprim17ROCPRIM_400000_NS6detail17trampoline_kernelINS0_14default_configENS1_36segmented_radix_sort_config_selectorI12hip_bfloat16lEEZNS1_25segmented_radix_sort_implIS3_Lb0EPKS5_PS5_PKlPlN2at6native12_GLOBAL__N_18offset_tEEE10hipError_tPvRmT1_PNSt15iterator_traitsISL_E10value_typeET2_T3_PNSM_ISR_E10value_typeET4_jRbjT5_SX_jjP12ihipStream_tbEUlT_E_NS1_11comp_targetILNS1_3genE5ELNS1_11target_archE942ELNS1_3gpuE9ELNS1_3repE0EEENS1_30default_config_static_selectorELNS0_4arch9wavefront6targetE0EEEvSL_,"axG",@progbits,_ZN7rocprim17ROCPRIM_400000_NS6detail17trampoline_kernelINS0_14default_configENS1_36segmented_radix_sort_config_selectorI12hip_bfloat16lEEZNS1_25segmented_radix_sort_implIS3_Lb0EPKS5_PS5_PKlPlN2at6native12_GLOBAL__N_18offset_tEEE10hipError_tPvRmT1_PNSt15iterator_traitsISL_E10value_typeET2_T3_PNSM_ISR_E10value_typeET4_jRbjT5_SX_jjP12ihipStream_tbEUlT_E_NS1_11comp_targetILNS1_3genE5ELNS1_11target_archE942ELNS1_3gpuE9ELNS1_3repE0EEENS1_30default_config_static_selectorELNS0_4arch9wavefront6targetE0EEEvSL_,comdat
	.globl	_ZN7rocprim17ROCPRIM_400000_NS6detail17trampoline_kernelINS0_14default_configENS1_36segmented_radix_sort_config_selectorI12hip_bfloat16lEEZNS1_25segmented_radix_sort_implIS3_Lb0EPKS5_PS5_PKlPlN2at6native12_GLOBAL__N_18offset_tEEE10hipError_tPvRmT1_PNSt15iterator_traitsISL_E10value_typeET2_T3_PNSM_ISR_E10value_typeET4_jRbjT5_SX_jjP12ihipStream_tbEUlT_E_NS1_11comp_targetILNS1_3genE5ELNS1_11target_archE942ELNS1_3gpuE9ELNS1_3repE0EEENS1_30default_config_static_selectorELNS0_4arch9wavefront6targetE0EEEvSL_ ; -- Begin function _ZN7rocprim17ROCPRIM_400000_NS6detail17trampoline_kernelINS0_14default_configENS1_36segmented_radix_sort_config_selectorI12hip_bfloat16lEEZNS1_25segmented_radix_sort_implIS3_Lb0EPKS5_PS5_PKlPlN2at6native12_GLOBAL__N_18offset_tEEE10hipError_tPvRmT1_PNSt15iterator_traitsISL_E10value_typeET2_T3_PNSM_ISR_E10value_typeET4_jRbjT5_SX_jjP12ihipStream_tbEUlT_E_NS1_11comp_targetILNS1_3genE5ELNS1_11target_archE942ELNS1_3gpuE9ELNS1_3repE0EEENS1_30default_config_static_selectorELNS0_4arch9wavefront6targetE0EEEvSL_
	.p2align	8
	.type	_ZN7rocprim17ROCPRIM_400000_NS6detail17trampoline_kernelINS0_14default_configENS1_36segmented_radix_sort_config_selectorI12hip_bfloat16lEEZNS1_25segmented_radix_sort_implIS3_Lb0EPKS5_PS5_PKlPlN2at6native12_GLOBAL__N_18offset_tEEE10hipError_tPvRmT1_PNSt15iterator_traitsISL_E10value_typeET2_T3_PNSM_ISR_E10value_typeET4_jRbjT5_SX_jjP12ihipStream_tbEUlT_E_NS1_11comp_targetILNS1_3genE5ELNS1_11target_archE942ELNS1_3gpuE9ELNS1_3repE0EEENS1_30default_config_static_selectorELNS0_4arch9wavefront6targetE0EEEvSL_,@function
_ZN7rocprim17ROCPRIM_400000_NS6detail17trampoline_kernelINS0_14default_configENS1_36segmented_radix_sort_config_selectorI12hip_bfloat16lEEZNS1_25segmented_radix_sort_implIS3_Lb0EPKS5_PS5_PKlPlN2at6native12_GLOBAL__N_18offset_tEEE10hipError_tPvRmT1_PNSt15iterator_traitsISL_E10value_typeET2_T3_PNSM_ISR_E10value_typeET4_jRbjT5_SX_jjP12ihipStream_tbEUlT_E_NS1_11comp_targetILNS1_3genE5ELNS1_11target_archE942ELNS1_3gpuE9ELNS1_3repE0EEENS1_30default_config_static_selectorELNS0_4arch9wavefront6targetE0EEEvSL_: ; @_ZN7rocprim17ROCPRIM_400000_NS6detail17trampoline_kernelINS0_14default_configENS1_36segmented_radix_sort_config_selectorI12hip_bfloat16lEEZNS1_25segmented_radix_sort_implIS3_Lb0EPKS5_PS5_PKlPlN2at6native12_GLOBAL__N_18offset_tEEE10hipError_tPvRmT1_PNSt15iterator_traitsISL_E10value_typeET2_T3_PNSM_ISR_E10value_typeET4_jRbjT5_SX_jjP12ihipStream_tbEUlT_E_NS1_11comp_targetILNS1_3genE5ELNS1_11target_archE942ELNS1_3gpuE9ELNS1_3repE0EEENS1_30default_config_static_selectorELNS0_4arch9wavefront6targetE0EEEvSL_
; %bb.0:
	.section	.rodata,"a",@progbits
	.p2align	6, 0x0
	.amdhsa_kernel _ZN7rocprim17ROCPRIM_400000_NS6detail17trampoline_kernelINS0_14default_configENS1_36segmented_radix_sort_config_selectorI12hip_bfloat16lEEZNS1_25segmented_radix_sort_implIS3_Lb0EPKS5_PS5_PKlPlN2at6native12_GLOBAL__N_18offset_tEEE10hipError_tPvRmT1_PNSt15iterator_traitsISL_E10value_typeET2_T3_PNSM_ISR_E10value_typeET4_jRbjT5_SX_jjP12ihipStream_tbEUlT_E_NS1_11comp_targetILNS1_3genE5ELNS1_11target_archE942ELNS1_3gpuE9ELNS1_3repE0EEENS1_30default_config_static_selectorELNS0_4arch9wavefront6targetE0EEEvSL_
		.amdhsa_group_segment_fixed_size 0
		.amdhsa_private_segment_fixed_size 0
		.amdhsa_kernarg_size 96
		.amdhsa_user_sgpr_count 15
		.amdhsa_user_sgpr_dispatch_ptr 0
		.amdhsa_user_sgpr_queue_ptr 0
		.amdhsa_user_sgpr_kernarg_segment_ptr 1
		.amdhsa_user_sgpr_dispatch_id 0
		.amdhsa_user_sgpr_private_segment_size 0
		.amdhsa_wavefront_size32 1
		.amdhsa_uses_dynamic_stack 0
		.amdhsa_enable_private_segment 0
		.amdhsa_system_sgpr_workgroup_id_x 1
		.amdhsa_system_sgpr_workgroup_id_y 0
		.amdhsa_system_sgpr_workgroup_id_z 0
		.amdhsa_system_sgpr_workgroup_info 0
		.amdhsa_system_vgpr_workitem_id 0
		.amdhsa_next_free_vgpr 1
		.amdhsa_next_free_sgpr 1
		.amdhsa_reserve_vcc 0
		.amdhsa_float_round_mode_32 0
		.amdhsa_float_round_mode_16_64 0
		.amdhsa_float_denorm_mode_32 3
		.amdhsa_float_denorm_mode_16_64 3
		.amdhsa_dx10_clamp 1
		.amdhsa_ieee_mode 1
		.amdhsa_fp16_overflow 0
		.amdhsa_workgroup_processor_mode 1
		.amdhsa_memory_ordered 1
		.amdhsa_forward_progress 0
		.amdhsa_shared_vgpr_count 0
		.amdhsa_exception_fp_ieee_invalid_op 0
		.amdhsa_exception_fp_denorm_src 0
		.amdhsa_exception_fp_ieee_div_zero 0
		.amdhsa_exception_fp_ieee_overflow 0
		.amdhsa_exception_fp_ieee_underflow 0
		.amdhsa_exception_fp_ieee_inexact 0
		.amdhsa_exception_int_div_zero 0
	.end_amdhsa_kernel
	.section	.text._ZN7rocprim17ROCPRIM_400000_NS6detail17trampoline_kernelINS0_14default_configENS1_36segmented_radix_sort_config_selectorI12hip_bfloat16lEEZNS1_25segmented_radix_sort_implIS3_Lb0EPKS5_PS5_PKlPlN2at6native12_GLOBAL__N_18offset_tEEE10hipError_tPvRmT1_PNSt15iterator_traitsISL_E10value_typeET2_T3_PNSM_ISR_E10value_typeET4_jRbjT5_SX_jjP12ihipStream_tbEUlT_E_NS1_11comp_targetILNS1_3genE5ELNS1_11target_archE942ELNS1_3gpuE9ELNS1_3repE0EEENS1_30default_config_static_selectorELNS0_4arch9wavefront6targetE0EEEvSL_,"axG",@progbits,_ZN7rocprim17ROCPRIM_400000_NS6detail17trampoline_kernelINS0_14default_configENS1_36segmented_radix_sort_config_selectorI12hip_bfloat16lEEZNS1_25segmented_radix_sort_implIS3_Lb0EPKS5_PS5_PKlPlN2at6native12_GLOBAL__N_18offset_tEEE10hipError_tPvRmT1_PNSt15iterator_traitsISL_E10value_typeET2_T3_PNSM_ISR_E10value_typeET4_jRbjT5_SX_jjP12ihipStream_tbEUlT_E_NS1_11comp_targetILNS1_3genE5ELNS1_11target_archE942ELNS1_3gpuE9ELNS1_3repE0EEENS1_30default_config_static_selectorELNS0_4arch9wavefront6targetE0EEEvSL_,comdat
.Lfunc_end2050:
	.size	_ZN7rocprim17ROCPRIM_400000_NS6detail17trampoline_kernelINS0_14default_configENS1_36segmented_radix_sort_config_selectorI12hip_bfloat16lEEZNS1_25segmented_radix_sort_implIS3_Lb0EPKS5_PS5_PKlPlN2at6native12_GLOBAL__N_18offset_tEEE10hipError_tPvRmT1_PNSt15iterator_traitsISL_E10value_typeET2_T3_PNSM_ISR_E10value_typeET4_jRbjT5_SX_jjP12ihipStream_tbEUlT_E_NS1_11comp_targetILNS1_3genE5ELNS1_11target_archE942ELNS1_3gpuE9ELNS1_3repE0EEENS1_30default_config_static_selectorELNS0_4arch9wavefront6targetE0EEEvSL_, .Lfunc_end2050-_ZN7rocprim17ROCPRIM_400000_NS6detail17trampoline_kernelINS0_14default_configENS1_36segmented_radix_sort_config_selectorI12hip_bfloat16lEEZNS1_25segmented_radix_sort_implIS3_Lb0EPKS5_PS5_PKlPlN2at6native12_GLOBAL__N_18offset_tEEE10hipError_tPvRmT1_PNSt15iterator_traitsISL_E10value_typeET2_T3_PNSM_ISR_E10value_typeET4_jRbjT5_SX_jjP12ihipStream_tbEUlT_E_NS1_11comp_targetILNS1_3genE5ELNS1_11target_archE942ELNS1_3gpuE9ELNS1_3repE0EEENS1_30default_config_static_selectorELNS0_4arch9wavefront6targetE0EEEvSL_
                                        ; -- End function
	.section	.AMDGPU.csdata,"",@progbits
; Kernel info:
; codeLenInByte = 0
; NumSgprs: 0
; NumVgprs: 0
; ScratchSize: 0
; MemoryBound: 0
; FloatMode: 240
; IeeeMode: 1
; LDSByteSize: 0 bytes/workgroup (compile time only)
; SGPRBlocks: 0
; VGPRBlocks: 0
; NumSGPRsForWavesPerEU: 1
; NumVGPRsForWavesPerEU: 1
; Occupancy: 16
; WaveLimiterHint : 0
; COMPUTE_PGM_RSRC2:SCRATCH_EN: 0
; COMPUTE_PGM_RSRC2:USER_SGPR: 15
; COMPUTE_PGM_RSRC2:TRAP_HANDLER: 0
; COMPUTE_PGM_RSRC2:TGID_X_EN: 1
; COMPUTE_PGM_RSRC2:TGID_Y_EN: 0
; COMPUTE_PGM_RSRC2:TGID_Z_EN: 0
; COMPUTE_PGM_RSRC2:TIDIG_COMP_CNT: 0
	.section	.text._ZN7rocprim17ROCPRIM_400000_NS6detail17trampoline_kernelINS0_14default_configENS1_36segmented_radix_sort_config_selectorI12hip_bfloat16lEEZNS1_25segmented_radix_sort_implIS3_Lb0EPKS5_PS5_PKlPlN2at6native12_GLOBAL__N_18offset_tEEE10hipError_tPvRmT1_PNSt15iterator_traitsISL_E10value_typeET2_T3_PNSM_ISR_E10value_typeET4_jRbjT5_SX_jjP12ihipStream_tbEUlT_E_NS1_11comp_targetILNS1_3genE4ELNS1_11target_archE910ELNS1_3gpuE8ELNS1_3repE0EEENS1_30default_config_static_selectorELNS0_4arch9wavefront6targetE0EEEvSL_,"axG",@progbits,_ZN7rocprim17ROCPRIM_400000_NS6detail17trampoline_kernelINS0_14default_configENS1_36segmented_radix_sort_config_selectorI12hip_bfloat16lEEZNS1_25segmented_radix_sort_implIS3_Lb0EPKS5_PS5_PKlPlN2at6native12_GLOBAL__N_18offset_tEEE10hipError_tPvRmT1_PNSt15iterator_traitsISL_E10value_typeET2_T3_PNSM_ISR_E10value_typeET4_jRbjT5_SX_jjP12ihipStream_tbEUlT_E_NS1_11comp_targetILNS1_3genE4ELNS1_11target_archE910ELNS1_3gpuE8ELNS1_3repE0EEENS1_30default_config_static_selectorELNS0_4arch9wavefront6targetE0EEEvSL_,comdat
	.globl	_ZN7rocprim17ROCPRIM_400000_NS6detail17trampoline_kernelINS0_14default_configENS1_36segmented_radix_sort_config_selectorI12hip_bfloat16lEEZNS1_25segmented_radix_sort_implIS3_Lb0EPKS5_PS5_PKlPlN2at6native12_GLOBAL__N_18offset_tEEE10hipError_tPvRmT1_PNSt15iterator_traitsISL_E10value_typeET2_T3_PNSM_ISR_E10value_typeET4_jRbjT5_SX_jjP12ihipStream_tbEUlT_E_NS1_11comp_targetILNS1_3genE4ELNS1_11target_archE910ELNS1_3gpuE8ELNS1_3repE0EEENS1_30default_config_static_selectorELNS0_4arch9wavefront6targetE0EEEvSL_ ; -- Begin function _ZN7rocprim17ROCPRIM_400000_NS6detail17trampoline_kernelINS0_14default_configENS1_36segmented_radix_sort_config_selectorI12hip_bfloat16lEEZNS1_25segmented_radix_sort_implIS3_Lb0EPKS5_PS5_PKlPlN2at6native12_GLOBAL__N_18offset_tEEE10hipError_tPvRmT1_PNSt15iterator_traitsISL_E10value_typeET2_T3_PNSM_ISR_E10value_typeET4_jRbjT5_SX_jjP12ihipStream_tbEUlT_E_NS1_11comp_targetILNS1_3genE4ELNS1_11target_archE910ELNS1_3gpuE8ELNS1_3repE0EEENS1_30default_config_static_selectorELNS0_4arch9wavefront6targetE0EEEvSL_
	.p2align	8
	.type	_ZN7rocprim17ROCPRIM_400000_NS6detail17trampoline_kernelINS0_14default_configENS1_36segmented_radix_sort_config_selectorI12hip_bfloat16lEEZNS1_25segmented_radix_sort_implIS3_Lb0EPKS5_PS5_PKlPlN2at6native12_GLOBAL__N_18offset_tEEE10hipError_tPvRmT1_PNSt15iterator_traitsISL_E10value_typeET2_T3_PNSM_ISR_E10value_typeET4_jRbjT5_SX_jjP12ihipStream_tbEUlT_E_NS1_11comp_targetILNS1_3genE4ELNS1_11target_archE910ELNS1_3gpuE8ELNS1_3repE0EEENS1_30default_config_static_selectorELNS0_4arch9wavefront6targetE0EEEvSL_,@function
_ZN7rocprim17ROCPRIM_400000_NS6detail17trampoline_kernelINS0_14default_configENS1_36segmented_radix_sort_config_selectorI12hip_bfloat16lEEZNS1_25segmented_radix_sort_implIS3_Lb0EPKS5_PS5_PKlPlN2at6native12_GLOBAL__N_18offset_tEEE10hipError_tPvRmT1_PNSt15iterator_traitsISL_E10value_typeET2_T3_PNSM_ISR_E10value_typeET4_jRbjT5_SX_jjP12ihipStream_tbEUlT_E_NS1_11comp_targetILNS1_3genE4ELNS1_11target_archE910ELNS1_3gpuE8ELNS1_3repE0EEENS1_30default_config_static_selectorELNS0_4arch9wavefront6targetE0EEEvSL_: ; @_ZN7rocprim17ROCPRIM_400000_NS6detail17trampoline_kernelINS0_14default_configENS1_36segmented_radix_sort_config_selectorI12hip_bfloat16lEEZNS1_25segmented_radix_sort_implIS3_Lb0EPKS5_PS5_PKlPlN2at6native12_GLOBAL__N_18offset_tEEE10hipError_tPvRmT1_PNSt15iterator_traitsISL_E10value_typeET2_T3_PNSM_ISR_E10value_typeET4_jRbjT5_SX_jjP12ihipStream_tbEUlT_E_NS1_11comp_targetILNS1_3genE4ELNS1_11target_archE910ELNS1_3gpuE8ELNS1_3repE0EEENS1_30default_config_static_selectorELNS0_4arch9wavefront6targetE0EEEvSL_
; %bb.0:
	.section	.rodata,"a",@progbits
	.p2align	6, 0x0
	.amdhsa_kernel _ZN7rocprim17ROCPRIM_400000_NS6detail17trampoline_kernelINS0_14default_configENS1_36segmented_radix_sort_config_selectorI12hip_bfloat16lEEZNS1_25segmented_radix_sort_implIS3_Lb0EPKS5_PS5_PKlPlN2at6native12_GLOBAL__N_18offset_tEEE10hipError_tPvRmT1_PNSt15iterator_traitsISL_E10value_typeET2_T3_PNSM_ISR_E10value_typeET4_jRbjT5_SX_jjP12ihipStream_tbEUlT_E_NS1_11comp_targetILNS1_3genE4ELNS1_11target_archE910ELNS1_3gpuE8ELNS1_3repE0EEENS1_30default_config_static_selectorELNS0_4arch9wavefront6targetE0EEEvSL_
		.amdhsa_group_segment_fixed_size 0
		.amdhsa_private_segment_fixed_size 0
		.amdhsa_kernarg_size 96
		.amdhsa_user_sgpr_count 15
		.amdhsa_user_sgpr_dispatch_ptr 0
		.amdhsa_user_sgpr_queue_ptr 0
		.amdhsa_user_sgpr_kernarg_segment_ptr 1
		.amdhsa_user_sgpr_dispatch_id 0
		.amdhsa_user_sgpr_private_segment_size 0
		.amdhsa_wavefront_size32 1
		.amdhsa_uses_dynamic_stack 0
		.amdhsa_enable_private_segment 0
		.amdhsa_system_sgpr_workgroup_id_x 1
		.amdhsa_system_sgpr_workgroup_id_y 0
		.amdhsa_system_sgpr_workgroup_id_z 0
		.amdhsa_system_sgpr_workgroup_info 0
		.amdhsa_system_vgpr_workitem_id 0
		.amdhsa_next_free_vgpr 1
		.amdhsa_next_free_sgpr 1
		.amdhsa_reserve_vcc 0
		.amdhsa_float_round_mode_32 0
		.amdhsa_float_round_mode_16_64 0
		.amdhsa_float_denorm_mode_32 3
		.amdhsa_float_denorm_mode_16_64 3
		.amdhsa_dx10_clamp 1
		.amdhsa_ieee_mode 1
		.amdhsa_fp16_overflow 0
		.amdhsa_workgroup_processor_mode 1
		.amdhsa_memory_ordered 1
		.amdhsa_forward_progress 0
		.amdhsa_shared_vgpr_count 0
		.amdhsa_exception_fp_ieee_invalid_op 0
		.amdhsa_exception_fp_denorm_src 0
		.amdhsa_exception_fp_ieee_div_zero 0
		.amdhsa_exception_fp_ieee_overflow 0
		.amdhsa_exception_fp_ieee_underflow 0
		.amdhsa_exception_fp_ieee_inexact 0
		.amdhsa_exception_int_div_zero 0
	.end_amdhsa_kernel
	.section	.text._ZN7rocprim17ROCPRIM_400000_NS6detail17trampoline_kernelINS0_14default_configENS1_36segmented_radix_sort_config_selectorI12hip_bfloat16lEEZNS1_25segmented_radix_sort_implIS3_Lb0EPKS5_PS5_PKlPlN2at6native12_GLOBAL__N_18offset_tEEE10hipError_tPvRmT1_PNSt15iterator_traitsISL_E10value_typeET2_T3_PNSM_ISR_E10value_typeET4_jRbjT5_SX_jjP12ihipStream_tbEUlT_E_NS1_11comp_targetILNS1_3genE4ELNS1_11target_archE910ELNS1_3gpuE8ELNS1_3repE0EEENS1_30default_config_static_selectorELNS0_4arch9wavefront6targetE0EEEvSL_,"axG",@progbits,_ZN7rocprim17ROCPRIM_400000_NS6detail17trampoline_kernelINS0_14default_configENS1_36segmented_radix_sort_config_selectorI12hip_bfloat16lEEZNS1_25segmented_radix_sort_implIS3_Lb0EPKS5_PS5_PKlPlN2at6native12_GLOBAL__N_18offset_tEEE10hipError_tPvRmT1_PNSt15iterator_traitsISL_E10value_typeET2_T3_PNSM_ISR_E10value_typeET4_jRbjT5_SX_jjP12ihipStream_tbEUlT_E_NS1_11comp_targetILNS1_3genE4ELNS1_11target_archE910ELNS1_3gpuE8ELNS1_3repE0EEENS1_30default_config_static_selectorELNS0_4arch9wavefront6targetE0EEEvSL_,comdat
.Lfunc_end2051:
	.size	_ZN7rocprim17ROCPRIM_400000_NS6detail17trampoline_kernelINS0_14default_configENS1_36segmented_radix_sort_config_selectorI12hip_bfloat16lEEZNS1_25segmented_radix_sort_implIS3_Lb0EPKS5_PS5_PKlPlN2at6native12_GLOBAL__N_18offset_tEEE10hipError_tPvRmT1_PNSt15iterator_traitsISL_E10value_typeET2_T3_PNSM_ISR_E10value_typeET4_jRbjT5_SX_jjP12ihipStream_tbEUlT_E_NS1_11comp_targetILNS1_3genE4ELNS1_11target_archE910ELNS1_3gpuE8ELNS1_3repE0EEENS1_30default_config_static_selectorELNS0_4arch9wavefront6targetE0EEEvSL_, .Lfunc_end2051-_ZN7rocprim17ROCPRIM_400000_NS6detail17trampoline_kernelINS0_14default_configENS1_36segmented_radix_sort_config_selectorI12hip_bfloat16lEEZNS1_25segmented_radix_sort_implIS3_Lb0EPKS5_PS5_PKlPlN2at6native12_GLOBAL__N_18offset_tEEE10hipError_tPvRmT1_PNSt15iterator_traitsISL_E10value_typeET2_T3_PNSM_ISR_E10value_typeET4_jRbjT5_SX_jjP12ihipStream_tbEUlT_E_NS1_11comp_targetILNS1_3genE4ELNS1_11target_archE910ELNS1_3gpuE8ELNS1_3repE0EEENS1_30default_config_static_selectorELNS0_4arch9wavefront6targetE0EEEvSL_
                                        ; -- End function
	.section	.AMDGPU.csdata,"",@progbits
; Kernel info:
; codeLenInByte = 0
; NumSgprs: 0
; NumVgprs: 0
; ScratchSize: 0
; MemoryBound: 0
; FloatMode: 240
; IeeeMode: 1
; LDSByteSize: 0 bytes/workgroup (compile time only)
; SGPRBlocks: 0
; VGPRBlocks: 0
; NumSGPRsForWavesPerEU: 1
; NumVGPRsForWavesPerEU: 1
; Occupancy: 16
; WaveLimiterHint : 0
; COMPUTE_PGM_RSRC2:SCRATCH_EN: 0
; COMPUTE_PGM_RSRC2:USER_SGPR: 15
; COMPUTE_PGM_RSRC2:TRAP_HANDLER: 0
; COMPUTE_PGM_RSRC2:TGID_X_EN: 1
; COMPUTE_PGM_RSRC2:TGID_Y_EN: 0
; COMPUTE_PGM_RSRC2:TGID_Z_EN: 0
; COMPUTE_PGM_RSRC2:TIDIG_COMP_CNT: 0
	.section	.text._ZN7rocprim17ROCPRIM_400000_NS6detail17trampoline_kernelINS0_14default_configENS1_36segmented_radix_sort_config_selectorI12hip_bfloat16lEEZNS1_25segmented_radix_sort_implIS3_Lb0EPKS5_PS5_PKlPlN2at6native12_GLOBAL__N_18offset_tEEE10hipError_tPvRmT1_PNSt15iterator_traitsISL_E10value_typeET2_T3_PNSM_ISR_E10value_typeET4_jRbjT5_SX_jjP12ihipStream_tbEUlT_E_NS1_11comp_targetILNS1_3genE3ELNS1_11target_archE908ELNS1_3gpuE7ELNS1_3repE0EEENS1_30default_config_static_selectorELNS0_4arch9wavefront6targetE0EEEvSL_,"axG",@progbits,_ZN7rocprim17ROCPRIM_400000_NS6detail17trampoline_kernelINS0_14default_configENS1_36segmented_radix_sort_config_selectorI12hip_bfloat16lEEZNS1_25segmented_radix_sort_implIS3_Lb0EPKS5_PS5_PKlPlN2at6native12_GLOBAL__N_18offset_tEEE10hipError_tPvRmT1_PNSt15iterator_traitsISL_E10value_typeET2_T3_PNSM_ISR_E10value_typeET4_jRbjT5_SX_jjP12ihipStream_tbEUlT_E_NS1_11comp_targetILNS1_3genE3ELNS1_11target_archE908ELNS1_3gpuE7ELNS1_3repE0EEENS1_30default_config_static_selectorELNS0_4arch9wavefront6targetE0EEEvSL_,comdat
	.globl	_ZN7rocprim17ROCPRIM_400000_NS6detail17trampoline_kernelINS0_14default_configENS1_36segmented_radix_sort_config_selectorI12hip_bfloat16lEEZNS1_25segmented_radix_sort_implIS3_Lb0EPKS5_PS5_PKlPlN2at6native12_GLOBAL__N_18offset_tEEE10hipError_tPvRmT1_PNSt15iterator_traitsISL_E10value_typeET2_T3_PNSM_ISR_E10value_typeET4_jRbjT5_SX_jjP12ihipStream_tbEUlT_E_NS1_11comp_targetILNS1_3genE3ELNS1_11target_archE908ELNS1_3gpuE7ELNS1_3repE0EEENS1_30default_config_static_selectorELNS0_4arch9wavefront6targetE0EEEvSL_ ; -- Begin function _ZN7rocprim17ROCPRIM_400000_NS6detail17trampoline_kernelINS0_14default_configENS1_36segmented_radix_sort_config_selectorI12hip_bfloat16lEEZNS1_25segmented_radix_sort_implIS3_Lb0EPKS5_PS5_PKlPlN2at6native12_GLOBAL__N_18offset_tEEE10hipError_tPvRmT1_PNSt15iterator_traitsISL_E10value_typeET2_T3_PNSM_ISR_E10value_typeET4_jRbjT5_SX_jjP12ihipStream_tbEUlT_E_NS1_11comp_targetILNS1_3genE3ELNS1_11target_archE908ELNS1_3gpuE7ELNS1_3repE0EEENS1_30default_config_static_selectorELNS0_4arch9wavefront6targetE0EEEvSL_
	.p2align	8
	.type	_ZN7rocprim17ROCPRIM_400000_NS6detail17trampoline_kernelINS0_14default_configENS1_36segmented_radix_sort_config_selectorI12hip_bfloat16lEEZNS1_25segmented_radix_sort_implIS3_Lb0EPKS5_PS5_PKlPlN2at6native12_GLOBAL__N_18offset_tEEE10hipError_tPvRmT1_PNSt15iterator_traitsISL_E10value_typeET2_T3_PNSM_ISR_E10value_typeET4_jRbjT5_SX_jjP12ihipStream_tbEUlT_E_NS1_11comp_targetILNS1_3genE3ELNS1_11target_archE908ELNS1_3gpuE7ELNS1_3repE0EEENS1_30default_config_static_selectorELNS0_4arch9wavefront6targetE0EEEvSL_,@function
_ZN7rocprim17ROCPRIM_400000_NS6detail17trampoline_kernelINS0_14default_configENS1_36segmented_radix_sort_config_selectorI12hip_bfloat16lEEZNS1_25segmented_radix_sort_implIS3_Lb0EPKS5_PS5_PKlPlN2at6native12_GLOBAL__N_18offset_tEEE10hipError_tPvRmT1_PNSt15iterator_traitsISL_E10value_typeET2_T3_PNSM_ISR_E10value_typeET4_jRbjT5_SX_jjP12ihipStream_tbEUlT_E_NS1_11comp_targetILNS1_3genE3ELNS1_11target_archE908ELNS1_3gpuE7ELNS1_3repE0EEENS1_30default_config_static_selectorELNS0_4arch9wavefront6targetE0EEEvSL_: ; @_ZN7rocprim17ROCPRIM_400000_NS6detail17trampoline_kernelINS0_14default_configENS1_36segmented_radix_sort_config_selectorI12hip_bfloat16lEEZNS1_25segmented_radix_sort_implIS3_Lb0EPKS5_PS5_PKlPlN2at6native12_GLOBAL__N_18offset_tEEE10hipError_tPvRmT1_PNSt15iterator_traitsISL_E10value_typeET2_T3_PNSM_ISR_E10value_typeET4_jRbjT5_SX_jjP12ihipStream_tbEUlT_E_NS1_11comp_targetILNS1_3genE3ELNS1_11target_archE908ELNS1_3gpuE7ELNS1_3repE0EEENS1_30default_config_static_selectorELNS0_4arch9wavefront6targetE0EEEvSL_
; %bb.0:
	.section	.rodata,"a",@progbits
	.p2align	6, 0x0
	.amdhsa_kernel _ZN7rocprim17ROCPRIM_400000_NS6detail17trampoline_kernelINS0_14default_configENS1_36segmented_radix_sort_config_selectorI12hip_bfloat16lEEZNS1_25segmented_radix_sort_implIS3_Lb0EPKS5_PS5_PKlPlN2at6native12_GLOBAL__N_18offset_tEEE10hipError_tPvRmT1_PNSt15iterator_traitsISL_E10value_typeET2_T3_PNSM_ISR_E10value_typeET4_jRbjT5_SX_jjP12ihipStream_tbEUlT_E_NS1_11comp_targetILNS1_3genE3ELNS1_11target_archE908ELNS1_3gpuE7ELNS1_3repE0EEENS1_30default_config_static_selectorELNS0_4arch9wavefront6targetE0EEEvSL_
		.amdhsa_group_segment_fixed_size 0
		.amdhsa_private_segment_fixed_size 0
		.amdhsa_kernarg_size 96
		.amdhsa_user_sgpr_count 15
		.amdhsa_user_sgpr_dispatch_ptr 0
		.amdhsa_user_sgpr_queue_ptr 0
		.amdhsa_user_sgpr_kernarg_segment_ptr 1
		.amdhsa_user_sgpr_dispatch_id 0
		.amdhsa_user_sgpr_private_segment_size 0
		.amdhsa_wavefront_size32 1
		.amdhsa_uses_dynamic_stack 0
		.amdhsa_enable_private_segment 0
		.amdhsa_system_sgpr_workgroup_id_x 1
		.amdhsa_system_sgpr_workgroup_id_y 0
		.amdhsa_system_sgpr_workgroup_id_z 0
		.amdhsa_system_sgpr_workgroup_info 0
		.amdhsa_system_vgpr_workitem_id 0
		.amdhsa_next_free_vgpr 1
		.amdhsa_next_free_sgpr 1
		.amdhsa_reserve_vcc 0
		.amdhsa_float_round_mode_32 0
		.amdhsa_float_round_mode_16_64 0
		.amdhsa_float_denorm_mode_32 3
		.amdhsa_float_denorm_mode_16_64 3
		.amdhsa_dx10_clamp 1
		.amdhsa_ieee_mode 1
		.amdhsa_fp16_overflow 0
		.amdhsa_workgroup_processor_mode 1
		.amdhsa_memory_ordered 1
		.amdhsa_forward_progress 0
		.amdhsa_shared_vgpr_count 0
		.amdhsa_exception_fp_ieee_invalid_op 0
		.amdhsa_exception_fp_denorm_src 0
		.amdhsa_exception_fp_ieee_div_zero 0
		.amdhsa_exception_fp_ieee_overflow 0
		.amdhsa_exception_fp_ieee_underflow 0
		.amdhsa_exception_fp_ieee_inexact 0
		.amdhsa_exception_int_div_zero 0
	.end_amdhsa_kernel
	.section	.text._ZN7rocprim17ROCPRIM_400000_NS6detail17trampoline_kernelINS0_14default_configENS1_36segmented_radix_sort_config_selectorI12hip_bfloat16lEEZNS1_25segmented_radix_sort_implIS3_Lb0EPKS5_PS5_PKlPlN2at6native12_GLOBAL__N_18offset_tEEE10hipError_tPvRmT1_PNSt15iterator_traitsISL_E10value_typeET2_T3_PNSM_ISR_E10value_typeET4_jRbjT5_SX_jjP12ihipStream_tbEUlT_E_NS1_11comp_targetILNS1_3genE3ELNS1_11target_archE908ELNS1_3gpuE7ELNS1_3repE0EEENS1_30default_config_static_selectorELNS0_4arch9wavefront6targetE0EEEvSL_,"axG",@progbits,_ZN7rocprim17ROCPRIM_400000_NS6detail17trampoline_kernelINS0_14default_configENS1_36segmented_radix_sort_config_selectorI12hip_bfloat16lEEZNS1_25segmented_radix_sort_implIS3_Lb0EPKS5_PS5_PKlPlN2at6native12_GLOBAL__N_18offset_tEEE10hipError_tPvRmT1_PNSt15iterator_traitsISL_E10value_typeET2_T3_PNSM_ISR_E10value_typeET4_jRbjT5_SX_jjP12ihipStream_tbEUlT_E_NS1_11comp_targetILNS1_3genE3ELNS1_11target_archE908ELNS1_3gpuE7ELNS1_3repE0EEENS1_30default_config_static_selectorELNS0_4arch9wavefront6targetE0EEEvSL_,comdat
.Lfunc_end2052:
	.size	_ZN7rocprim17ROCPRIM_400000_NS6detail17trampoline_kernelINS0_14default_configENS1_36segmented_radix_sort_config_selectorI12hip_bfloat16lEEZNS1_25segmented_radix_sort_implIS3_Lb0EPKS5_PS5_PKlPlN2at6native12_GLOBAL__N_18offset_tEEE10hipError_tPvRmT1_PNSt15iterator_traitsISL_E10value_typeET2_T3_PNSM_ISR_E10value_typeET4_jRbjT5_SX_jjP12ihipStream_tbEUlT_E_NS1_11comp_targetILNS1_3genE3ELNS1_11target_archE908ELNS1_3gpuE7ELNS1_3repE0EEENS1_30default_config_static_selectorELNS0_4arch9wavefront6targetE0EEEvSL_, .Lfunc_end2052-_ZN7rocprim17ROCPRIM_400000_NS6detail17trampoline_kernelINS0_14default_configENS1_36segmented_radix_sort_config_selectorI12hip_bfloat16lEEZNS1_25segmented_radix_sort_implIS3_Lb0EPKS5_PS5_PKlPlN2at6native12_GLOBAL__N_18offset_tEEE10hipError_tPvRmT1_PNSt15iterator_traitsISL_E10value_typeET2_T3_PNSM_ISR_E10value_typeET4_jRbjT5_SX_jjP12ihipStream_tbEUlT_E_NS1_11comp_targetILNS1_3genE3ELNS1_11target_archE908ELNS1_3gpuE7ELNS1_3repE0EEENS1_30default_config_static_selectorELNS0_4arch9wavefront6targetE0EEEvSL_
                                        ; -- End function
	.section	.AMDGPU.csdata,"",@progbits
; Kernel info:
; codeLenInByte = 0
; NumSgprs: 0
; NumVgprs: 0
; ScratchSize: 0
; MemoryBound: 0
; FloatMode: 240
; IeeeMode: 1
; LDSByteSize: 0 bytes/workgroup (compile time only)
; SGPRBlocks: 0
; VGPRBlocks: 0
; NumSGPRsForWavesPerEU: 1
; NumVGPRsForWavesPerEU: 1
; Occupancy: 16
; WaveLimiterHint : 0
; COMPUTE_PGM_RSRC2:SCRATCH_EN: 0
; COMPUTE_PGM_RSRC2:USER_SGPR: 15
; COMPUTE_PGM_RSRC2:TRAP_HANDLER: 0
; COMPUTE_PGM_RSRC2:TGID_X_EN: 1
; COMPUTE_PGM_RSRC2:TGID_Y_EN: 0
; COMPUTE_PGM_RSRC2:TGID_Z_EN: 0
; COMPUTE_PGM_RSRC2:TIDIG_COMP_CNT: 0
	.section	.text._ZN7rocprim17ROCPRIM_400000_NS6detail17trampoline_kernelINS0_14default_configENS1_36segmented_radix_sort_config_selectorI12hip_bfloat16lEEZNS1_25segmented_radix_sort_implIS3_Lb0EPKS5_PS5_PKlPlN2at6native12_GLOBAL__N_18offset_tEEE10hipError_tPvRmT1_PNSt15iterator_traitsISL_E10value_typeET2_T3_PNSM_ISR_E10value_typeET4_jRbjT5_SX_jjP12ihipStream_tbEUlT_E_NS1_11comp_targetILNS1_3genE2ELNS1_11target_archE906ELNS1_3gpuE6ELNS1_3repE0EEENS1_30default_config_static_selectorELNS0_4arch9wavefront6targetE0EEEvSL_,"axG",@progbits,_ZN7rocprim17ROCPRIM_400000_NS6detail17trampoline_kernelINS0_14default_configENS1_36segmented_radix_sort_config_selectorI12hip_bfloat16lEEZNS1_25segmented_radix_sort_implIS3_Lb0EPKS5_PS5_PKlPlN2at6native12_GLOBAL__N_18offset_tEEE10hipError_tPvRmT1_PNSt15iterator_traitsISL_E10value_typeET2_T3_PNSM_ISR_E10value_typeET4_jRbjT5_SX_jjP12ihipStream_tbEUlT_E_NS1_11comp_targetILNS1_3genE2ELNS1_11target_archE906ELNS1_3gpuE6ELNS1_3repE0EEENS1_30default_config_static_selectorELNS0_4arch9wavefront6targetE0EEEvSL_,comdat
	.globl	_ZN7rocprim17ROCPRIM_400000_NS6detail17trampoline_kernelINS0_14default_configENS1_36segmented_radix_sort_config_selectorI12hip_bfloat16lEEZNS1_25segmented_radix_sort_implIS3_Lb0EPKS5_PS5_PKlPlN2at6native12_GLOBAL__N_18offset_tEEE10hipError_tPvRmT1_PNSt15iterator_traitsISL_E10value_typeET2_T3_PNSM_ISR_E10value_typeET4_jRbjT5_SX_jjP12ihipStream_tbEUlT_E_NS1_11comp_targetILNS1_3genE2ELNS1_11target_archE906ELNS1_3gpuE6ELNS1_3repE0EEENS1_30default_config_static_selectorELNS0_4arch9wavefront6targetE0EEEvSL_ ; -- Begin function _ZN7rocprim17ROCPRIM_400000_NS6detail17trampoline_kernelINS0_14default_configENS1_36segmented_radix_sort_config_selectorI12hip_bfloat16lEEZNS1_25segmented_radix_sort_implIS3_Lb0EPKS5_PS5_PKlPlN2at6native12_GLOBAL__N_18offset_tEEE10hipError_tPvRmT1_PNSt15iterator_traitsISL_E10value_typeET2_T3_PNSM_ISR_E10value_typeET4_jRbjT5_SX_jjP12ihipStream_tbEUlT_E_NS1_11comp_targetILNS1_3genE2ELNS1_11target_archE906ELNS1_3gpuE6ELNS1_3repE0EEENS1_30default_config_static_selectorELNS0_4arch9wavefront6targetE0EEEvSL_
	.p2align	8
	.type	_ZN7rocprim17ROCPRIM_400000_NS6detail17trampoline_kernelINS0_14default_configENS1_36segmented_radix_sort_config_selectorI12hip_bfloat16lEEZNS1_25segmented_radix_sort_implIS3_Lb0EPKS5_PS5_PKlPlN2at6native12_GLOBAL__N_18offset_tEEE10hipError_tPvRmT1_PNSt15iterator_traitsISL_E10value_typeET2_T3_PNSM_ISR_E10value_typeET4_jRbjT5_SX_jjP12ihipStream_tbEUlT_E_NS1_11comp_targetILNS1_3genE2ELNS1_11target_archE906ELNS1_3gpuE6ELNS1_3repE0EEENS1_30default_config_static_selectorELNS0_4arch9wavefront6targetE0EEEvSL_,@function
_ZN7rocprim17ROCPRIM_400000_NS6detail17trampoline_kernelINS0_14default_configENS1_36segmented_radix_sort_config_selectorI12hip_bfloat16lEEZNS1_25segmented_radix_sort_implIS3_Lb0EPKS5_PS5_PKlPlN2at6native12_GLOBAL__N_18offset_tEEE10hipError_tPvRmT1_PNSt15iterator_traitsISL_E10value_typeET2_T3_PNSM_ISR_E10value_typeET4_jRbjT5_SX_jjP12ihipStream_tbEUlT_E_NS1_11comp_targetILNS1_3genE2ELNS1_11target_archE906ELNS1_3gpuE6ELNS1_3repE0EEENS1_30default_config_static_selectorELNS0_4arch9wavefront6targetE0EEEvSL_: ; @_ZN7rocprim17ROCPRIM_400000_NS6detail17trampoline_kernelINS0_14default_configENS1_36segmented_radix_sort_config_selectorI12hip_bfloat16lEEZNS1_25segmented_radix_sort_implIS3_Lb0EPKS5_PS5_PKlPlN2at6native12_GLOBAL__N_18offset_tEEE10hipError_tPvRmT1_PNSt15iterator_traitsISL_E10value_typeET2_T3_PNSM_ISR_E10value_typeET4_jRbjT5_SX_jjP12ihipStream_tbEUlT_E_NS1_11comp_targetILNS1_3genE2ELNS1_11target_archE906ELNS1_3gpuE6ELNS1_3repE0EEENS1_30default_config_static_selectorELNS0_4arch9wavefront6targetE0EEEvSL_
; %bb.0:
	.section	.rodata,"a",@progbits
	.p2align	6, 0x0
	.amdhsa_kernel _ZN7rocprim17ROCPRIM_400000_NS6detail17trampoline_kernelINS0_14default_configENS1_36segmented_radix_sort_config_selectorI12hip_bfloat16lEEZNS1_25segmented_radix_sort_implIS3_Lb0EPKS5_PS5_PKlPlN2at6native12_GLOBAL__N_18offset_tEEE10hipError_tPvRmT1_PNSt15iterator_traitsISL_E10value_typeET2_T3_PNSM_ISR_E10value_typeET4_jRbjT5_SX_jjP12ihipStream_tbEUlT_E_NS1_11comp_targetILNS1_3genE2ELNS1_11target_archE906ELNS1_3gpuE6ELNS1_3repE0EEENS1_30default_config_static_selectorELNS0_4arch9wavefront6targetE0EEEvSL_
		.amdhsa_group_segment_fixed_size 0
		.amdhsa_private_segment_fixed_size 0
		.amdhsa_kernarg_size 96
		.amdhsa_user_sgpr_count 15
		.amdhsa_user_sgpr_dispatch_ptr 0
		.amdhsa_user_sgpr_queue_ptr 0
		.amdhsa_user_sgpr_kernarg_segment_ptr 1
		.amdhsa_user_sgpr_dispatch_id 0
		.amdhsa_user_sgpr_private_segment_size 0
		.amdhsa_wavefront_size32 1
		.amdhsa_uses_dynamic_stack 0
		.amdhsa_enable_private_segment 0
		.amdhsa_system_sgpr_workgroup_id_x 1
		.amdhsa_system_sgpr_workgroup_id_y 0
		.amdhsa_system_sgpr_workgroup_id_z 0
		.amdhsa_system_sgpr_workgroup_info 0
		.amdhsa_system_vgpr_workitem_id 0
		.amdhsa_next_free_vgpr 1
		.amdhsa_next_free_sgpr 1
		.amdhsa_reserve_vcc 0
		.amdhsa_float_round_mode_32 0
		.amdhsa_float_round_mode_16_64 0
		.amdhsa_float_denorm_mode_32 3
		.amdhsa_float_denorm_mode_16_64 3
		.amdhsa_dx10_clamp 1
		.amdhsa_ieee_mode 1
		.amdhsa_fp16_overflow 0
		.amdhsa_workgroup_processor_mode 1
		.amdhsa_memory_ordered 1
		.amdhsa_forward_progress 0
		.amdhsa_shared_vgpr_count 0
		.amdhsa_exception_fp_ieee_invalid_op 0
		.amdhsa_exception_fp_denorm_src 0
		.amdhsa_exception_fp_ieee_div_zero 0
		.amdhsa_exception_fp_ieee_overflow 0
		.amdhsa_exception_fp_ieee_underflow 0
		.amdhsa_exception_fp_ieee_inexact 0
		.amdhsa_exception_int_div_zero 0
	.end_amdhsa_kernel
	.section	.text._ZN7rocprim17ROCPRIM_400000_NS6detail17trampoline_kernelINS0_14default_configENS1_36segmented_radix_sort_config_selectorI12hip_bfloat16lEEZNS1_25segmented_radix_sort_implIS3_Lb0EPKS5_PS5_PKlPlN2at6native12_GLOBAL__N_18offset_tEEE10hipError_tPvRmT1_PNSt15iterator_traitsISL_E10value_typeET2_T3_PNSM_ISR_E10value_typeET4_jRbjT5_SX_jjP12ihipStream_tbEUlT_E_NS1_11comp_targetILNS1_3genE2ELNS1_11target_archE906ELNS1_3gpuE6ELNS1_3repE0EEENS1_30default_config_static_selectorELNS0_4arch9wavefront6targetE0EEEvSL_,"axG",@progbits,_ZN7rocprim17ROCPRIM_400000_NS6detail17trampoline_kernelINS0_14default_configENS1_36segmented_radix_sort_config_selectorI12hip_bfloat16lEEZNS1_25segmented_radix_sort_implIS3_Lb0EPKS5_PS5_PKlPlN2at6native12_GLOBAL__N_18offset_tEEE10hipError_tPvRmT1_PNSt15iterator_traitsISL_E10value_typeET2_T3_PNSM_ISR_E10value_typeET4_jRbjT5_SX_jjP12ihipStream_tbEUlT_E_NS1_11comp_targetILNS1_3genE2ELNS1_11target_archE906ELNS1_3gpuE6ELNS1_3repE0EEENS1_30default_config_static_selectorELNS0_4arch9wavefront6targetE0EEEvSL_,comdat
.Lfunc_end2053:
	.size	_ZN7rocprim17ROCPRIM_400000_NS6detail17trampoline_kernelINS0_14default_configENS1_36segmented_radix_sort_config_selectorI12hip_bfloat16lEEZNS1_25segmented_radix_sort_implIS3_Lb0EPKS5_PS5_PKlPlN2at6native12_GLOBAL__N_18offset_tEEE10hipError_tPvRmT1_PNSt15iterator_traitsISL_E10value_typeET2_T3_PNSM_ISR_E10value_typeET4_jRbjT5_SX_jjP12ihipStream_tbEUlT_E_NS1_11comp_targetILNS1_3genE2ELNS1_11target_archE906ELNS1_3gpuE6ELNS1_3repE0EEENS1_30default_config_static_selectorELNS0_4arch9wavefront6targetE0EEEvSL_, .Lfunc_end2053-_ZN7rocprim17ROCPRIM_400000_NS6detail17trampoline_kernelINS0_14default_configENS1_36segmented_radix_sort_config_selectorI12hip_bfloat16lEEZNS1_25segmented_radix_sort_implIS3_Lb0EPKS5_PS5_PKlPlN2at6native12_GLOBAL__N_18offset_tEEE10hipError_tPvRmT1_PNSt15iterator_traitsISL_E10value_typeET2_T3_PNSM_ISR_E10value_typeET4_jRbjT5_SX_jjP12ihipStream_tbEUlT_E_NS1_11comp_targetILNS1_3genE2ELNS1_11target_archE906ELNS1_3gpuE6ELNS1_3repE0EEENS1_30default_config_static_selectorELNS0_4arch9wavefront6targetE0EEEvSL_
                                        ; -- End function
	.section	.AMDGPU.csdata,"",@progbits
; Kernel info:
; codeLenInByte = 0
; NumSgprs: 0
; NumVgprs: 0
; ScratchSize: 0
; MemoryBound: 0
; FloatMode: 240
; IeeeMode: 1
; LDSByteSize: 0 bytes/workgroup (compile time only)
; SGPRBlocks: 0
; VGPRBlocks: 0
; NumSGPRsForWavesPerEU: 1
; NumVGPRsForWavesPerEU: 1
; Occupancy: 16
; WaveLimiterHint : 0
; COMPUTE_PGM_RSRC2:SCRATCH_EN: 0
; COMPUTE_PGM_RSRC2:USER_SGPR: 15
; COMPUTE_PGM_RSRC2:TRAP_HANDLER: 0
; COMPUTE_PGM_RSRC2:TGID_X_EN: 1
; COMPUTE_PGM_RSRC2:TGID_Y_EN: 0
; COMPUTE_PGM_RSRC2:TGID_Z_EN: 0
; COMPUTE_PGM_RSRC2:TIDIG_COMP_CNT: 0
	.section	.text._ZN7rocprim17ROCPRIM_400000_NS6detail17trampoline_kernelINS0_14default_configENS1_36segmented_radix_sort_config_selectorI12hip_bfloat16lEEZNS1_25segmented_radix_sort_implIS3_Lb0EPKS5_PS5_PKlPlN2at6native12_GLOBAL__N_18offset_tEEE10hipError_tPvRmT1_PNSt15iterator_traitsISL_E10value_typeET2_T3_PNSM_ISR_E10value_typeET4_jRbjT5_SX_jjP12ihipStream_tbEUlT_E_NS1_11comp_targetILNS1_3genE10ELNS1_11target_archE1201ELNS1_3gpuE5ELNS1_3repE0EEENS1_30default_config_static_selectorELNS0_4arch9wavefront6targetE0EEEvSL_,"axG",@progbits,_ZN7rocprim17ROCPRIM_400000_NS6detail17trampoline_kernelINS0_14default_configENS1_36segmented_radix_sort_config_selectorI12hip_bfloat16lEEZNS1_25segmented_radix_sort_implIS3_Lb0EPKS5_PS5_PKlPlN2at6native12_GLOBAL__N_18offset_tEEE10hipError_tPvRmT1_PNSt15iterator_traitsISL_E10value_typeET2_T3_PNSM_ISR_E10value_typeET4_jRbjT5_SX_jjP12ihipStream_tbEUlT_E_NS1_11comp_targetILNS1_3genE10ELNS1_11target_archE1201ELNS1_3gpuE5ELNS1_3repE0EEENS1_30default_config_static_selectorELNS0_4arch9wavefront6targetE0EEEvSL_,comdat
	.globl	_ZN7rocprim17ROCPRIM_400000_NS6detail17trampoline_kernelINS0_14default_configENS1_36segmented_radix_sort_config_selectorI12hip_bfloat16lEEZNS1_25segmented_radix_sort_implIS3_Lb0EPKS5_PS5_PKlPlN2at6native12_GLOBAL__N_18offset_tEEE10hipError_tPvRmT1_PNSt15iterator_traitsISL_E10value_typeET2_T3_PNSM_ISR_E10value_typeET4_jRbjT5_SX_jjP12ihipStream_tbEUlT_E_NS1_11comp_targetILNS1_3genE10ELNS1_11target_archE1201ELNS1_3gpuE5ELNS1_3repE0EEENS1_30default_config_static_selectorELNS0_4arch9wavefront6targetE0EEEvSL_ ; -- Begin function _ZN7rocprim17ROCPRIM_400000_NS6detail17trampoline_kernelINS0_14default_configENS1_36segmented_radix_sort_config_selectorI12hip_bfloat16lEEZNS1_25segmented_radix_sort_implIS3_Lb0EPKS5_PS5_PKlPlN2at6native12_GLOBAL__N_18offset_tEEE10hipError_tPvRmT1_PNSt15iterator_traitsISL_E10value_typeET2_T3_PNSM_ISR_E10value_typeET4_jRbjT5_SX_jjP12ihipStream_tbEUlT_E_NS1_11comp_targetILNS1_3genE10ELNS1_11target_archE1201ELNS1_3gpuE5ELNS1_3repE0EEENS1_30default_config_static_selectorELNS0_4arch9wavefront6targetE0EEEvSL_
	.p2align	8
	.type	_ZN7rocprim17ROCPRIM_400000_NS6detail17trampoline_kernelINS0_14default_configENS1_36segmented_radix_sort_config_selectorI12hip_bfloat16lEEZNS1_25segmented_radix_sort_implIS3_Lb0EPKS5_PS5_PKlPlN2at6native12_GLOBAL__N_18offset_tEEE10hipError_tPvRmT1_PNSt15iterator_traitsISL_E10value_typeET2_T3_PNSM_ISR_E10value_typeET4_jRbjT5_SX_jjP12ihipStream_tbEUlT_E_NS1_11comp_targetILNS1_3genE10ELNS1_11target_archE1201ELNS1_3gpuE5ELNS1_3repE0EEENS1_30default_config_static_selectorELNS0_4arch9wavefront6targetE0EEEvSL_,@function
_ZN7rocprim17ROCPRIM_400000_NS6detail17trampoline_kernelINS0_14default_configENS1_36segmented_radix_sort_config_selectorI12hip_bfloat16lEEZNS1_25segmented_radix_sort_implIS3_Lb0EPKS5_PS5_PKlPlN2at6native12_GLOBAL__N_18offset_tEEE10hipError_tPvRmT1_PNSt15iterator_traitsISL_E10value_typeET2_T3_PNSM_ISR_E10value_typeET4_jRbjT5_SX_jjP12ihipStream_tbEUlT_E_NS1_11comp_targetILNS1_3genE10ELNS1_11target_archE1201ELNS1_3gpuE5ELNS1_3repE0EEENS1_30default_config_static_selectorELNS0_4arch9wavefront6targetE0EEEvSL_: ; @_ZN7rocprim17ROCPRIM_400000_NS6detail17trampoline_kernelINS0_14default_configENS1_36segmented_radix_sort_config_selectorI12hip_bfloat16lEEZNS1_25segmented_radix_sort_implIS3_Lb0EPKS5_PS5_PKlPlN2at6native12_GLOBAL__N_18offset_tEEE10hipError_tPvRmT1_PNSt15iterator_traitsISL_E10value_typeET2_T3_PNSM_ISR_E10value_typeET4_jRbjT5_SX_jjP12ihipStream_tbEUlT_E_NS1_11comp_targetILNS1_3genE10ELNS1_11target_archE1201ELNS1_3gpuE5ELNS1_3repE0EEENS1_30default_config_static_selectorELNS0_4arch9wavefront6targetE0EEEvSL_
; %bb.0:
	.section	.rodata,"a",@progbits
	.p2align	6, 0x0
	.amdhsa_kernel _ZN7rocprim17ROCPRIM_400000_NS6detail17trampoline_kernelINS0_14default_configENS1_36segmented_radix_sort_config_selectorI12hip_bfloat16lEEZNS1_25segmented_radix_sort_implIS3_Lb0EPKS5_PS5_PKlPlN2at6native12_GLOBAL__N_18offset_tEEE10hipError_tPvRmT1_PNSt15iterator_traitsISL_E10value_typeET2_T3_PNSM_ISR_E10value_typeET4_jRbjT5_SX_jjP12ihipStream_tbEUlT_E_NS1_11comp_targetILNS1_3genE10ELNS1_11target_archE1201ELNS1_3gpuE5ELNS1_3repE0EEENS1_30default_config_static_selectorELNS0_4arch9wavefront6targetE0EEEvSL_
		.amdhsa_group_segment_fixed_size 0
		.amdhsa_private_segment_fixed_size 0
		.amdhsa_kernarg_size 96
		.amdhsa_user_sgpr_count 15
		.amdhsa_user_sgpr_dispatch_ptr 0
		.amdhsa_user_sgpr_queue_ptr 0
		.amdhsa_user_sgpr_kernarg_segment_ptr 1
		.amdhsa_user_sgpr_dispatch_id 0
		.amdhsa_user_sgpr_private_segment_size 0
		.amdhsa_wavefront_size32 1
		.amdhsa_uses_dynamic_stack 0
		.amdhsa_enable_private_segment 0
		.amdhsa_system_sgpr_workgroup_id_x 1
		.amdhsa_system_sgpr_workgroup_id_y 0
		.amdhsa_system_sgpr_workgroup_id_z 0
		.amdhsa_system_sgpr_workgroup_info 0
		.amdhsa_system_vgpr_workitem_id 0
		.amdhsa_next_free_vgpr 1
		.amdhsa_next_free_sgpr 1
		.amdhsa_reserve_vcc 0
		.amdhsa_float_round_mode_32 0
		.amdhsa_float_round_mode_16_64 0
		.amdhsa_float_denorm_mode_32 3
		.amdhsa_float_denorm_mode_16_64 3
		.amdhsa_dx10_clamp 1
		.amdhsa_ieee_mode 1
		.amdhsa_fp16_overflow 0
		.amdhsa_workgroup_processor_mode 1
		.amdhsa_memory_ordered 1
		.amdhsa_forward_progress 0
		.amdhsa_shared_vgpr_count 0
		.amdhsa_exception_fp_ieee_invalid_op 0
		.amdhsa_exception_fp_denorm_src 0
		.amdhsa_exception_fp_ieee_div_zero 0
		.amdhsa_exception_fp_ieee_overflow 0
		.amdhsa_exception_fp_ieee_underflow 0
		.amdhsa_exception_fp_ieee_inexact 0
		.amdhsa_exception_int_div_zero 0
	.end_amdhsa_kernel
	.section	.text._ZN7rocprim17ROCPRIM_400000_NS6detail17trampoline_kernelINS0_14default_configENS1_36segmented_radix_sort_config_selectorI12hip_bfloat16lEEZNS1_25segmented_radix_sort_implIS3_Lb0EPKS5_PS5_PKlPlN2at6native12_GLOBAL__N_18offset_tEEE10hipError_tPvRmT1_PNSt15iterator_traitsISL_E10value_typeET2_T3_PNSM_ISR_E10value_typeET4_jRbjT5_SX_jjP12ihipStream_tbEUlT_E_NS1_11comp_targetILNS1_3genE10ELNS1_11target_archE1201ELNS1_3gpuE5ELNS1_3repE0EEENS1_30default_config_static_selectorELNS0_4arch9wavefront6targetE0EEEvSL_,"axG",@progbits,_ZN7rocprim17ROCPRIM_400000_NS6detail17trampoline_kernelINS0_14default_configENS1_36segmented_radix_sort_config_selectorI12hip_bfloat16lEEZNS1_25segmented_radix_sort_implIS3_Lb0EPKS5_PS5_PKlPlN2at6native12_GLOBAL__N_18offset_tEEE10hipError_tPvRmT1_PNSt15iterator_traitsISL_E10value_typeET2_T3_PNSM_ISR_E10value_typeET4_jRbjT5_SX_jjP12ihipStream_tbEUlT_E_NS1_11comp_targetILNS1_3genE10ELNS1_11target_archE1201ELNS1_3gpuE5ELNS1_3repE0EEENS1_30default_config_static_selectorELNS0_4arch9wavefront6targetE0EEEvSL_,comdat
.Lfunc_end2054:
	.size	_ZN7rocprim17ROCPRIM_400000_NS6detail17trampoline_kernelINS0_14default_configENS1_36segmented_radix_sort_config_selectorI12hip_bfloat16lEEZNS1_25segmented_radix_sort_implIS3_Lb0EPKS5_PS5_PKlPlN2at6native12_GLOBAL__N_18offset_tEEE10hipError_tPvRmT1_PNSt15iterator_traitsISL_E10value_typeET2_T3_PNSM_ISR_E10value_typeET4_jRbjT5_SX_jjP12ihipStream_tbEUlT_E_NS1_11comp_targetILNS1_3genE10ELNS1_11target_archE1201ELNS1_3gpuE5ELNS1_3repE0EEENS1_30default_config_static_selectorELNS0_4arch9wavefront6targetE0EEEvSL_, .Lfunc_end2054-_ZN7rocprim17ROCPRIM_400000_NS6detail17trampoline_kernelINS0_14default_configENS1_36segmented_radix_sort_config_selectorI12hip_bfloat16lEEZNS1_25segmented_radix_sort_implIS3_Lb0EPKS5_PS5_PKlPlN2at6native12_GLOBAL__N_18offset_tEEE10hipError_tPvRmT1_PNSt15iterator_traitsISL_E10value_typeET2_T3_PNSM_ISR_E10value_typeET4_jRbjT5_SX_jjP12ihipStream_tbEUlT_E_NS1_11comp_targetILNS1_3genE10ELNS1_11target_archE1201ELNS1_3gpuE5ELNS1_3repE0EEENS1_30default_config_static_selectorELNS0_4arch9wavefront6targetE0EEEvSL_
                                        ; -- End function
	.section	.AMDGPU.csdata,"",@progbits
; Kernel info:
; codeLenInByte = 0
; NumSgprs: 0
; NumVgprs: 0
; ScratchSize: 0
; MemoryBound: 0
; FloatMode: 240
; IeeeMode: 1
; LDSByteSize: 0 bytes/workgroup (compile time only)
; SGPRBlocks: 0
; VGPRBlocks: 0
; NumSGPRsForWavesPerEU: 1
; NumVGPRsForWavesPerEU: 1
; Occupancy: 16
; WaveLimiterHint : 0
; COMPUTE_PGM_RSRC2:SCRATCH_EN: 0
; COMPUTE_PGM_RSRC2:USER_SGPR: 15
; COMPUTE_PGM_RSRC2:TRAP_HANDLER: 0
; COMPUTE_PGM_RSRC2:TGID_X_EN: 1
; COMPUTE_PGM_RSRC2:TGID_Y_EN: 0
; COMPUTE_PGM_RSRC2:TGID_Z_EN: 0
; COMPUTE_PGM_RSRC2:TIDIG_COMP_CNT: 0
	.section	.text._ZN7rocprim17ROCPRIM_400000_NS6detail17trampoline_kernelINS0_14default_configENS1_36segmented_radix_sort_config_selectorI12hip_bfloat16lEEZNS1_25segmented_radix_sort_implIS3_Lb0EPKS5_PS5_PKlPlN2at6native12_GLOBAL__N_18offset_tEEE10hipError_tPvRmT1_PNSt15iterator_traitsISL_E10value_typeET2_T3_PNSM_ISR_E10value_typeET4_jRbjT5_SX_jjP12ihipStream_tbEUlT_E_NS1_11comp_targetILNS1_3genE10ELNS1_11target_archE1200ELNS1_3gpuE4ELNS1_3repE0EEENS1_30default_config_static_selectorELNS0_4arch9wavefront6targetE0EEEvSL_,"axG",@progbits,_ZN7rocprim17ROCPRIM_400000_NS6detail17trampoline_kernelINS0_14default_configENS1_36segmented_radix_sort_config_selectorI12hip_bfloat16lEEZNS1_25segmented_radix_sort_implIS3_Lb0EPKS5_PS5_PKlPlN2at6native12_GLOBAL__N_18offset_tEEE10hipError_tPvRmT1_PNSt15iterator_traitsISL_E10value_typeET2_T3_PNSM_ISR_E10value_typeET4_jRbjT5_SX_jjP12ihipStream_tbEUlT_E_NS1_11comp_targetILNS1_3genE10ELNS1_11target_archE1200ELNS1_3gpuE4ELNS1_3repE0EEENS1_30default_config_static_selectorELNS0_4arch9wavefront6targetE0EEEvSL_,comdat
	.globl	_ZN7rocprim17ROCPRIM_400000_NS6detail17trampoline_kernelINS0_14default_configENS1_36segmented_radix_sort_config_selectorI12hip_bfloat16lEEZNS1_25segmented_radix_sort_implIS3_Lb0EPKS5_PS5_PKlPlN2at6native12_GLOBAL__N_18offset_tEEE10hipError_tPvRmT1_PNSt15iterator_traitsISL_E10value_typeET2_T3_PNSM_ISR_E10value_typeET4_jRbjT5_SX_jjP12ihipStream_tbEUlT_E_NS1_11comp_targetILNS1_3genE10ELNS1_11target_archE1200ELNS1_3gpuE4ELNS1_3repE0EEENS1_30default_config_static_selectorELNS0_4arch9wavefront6targetE0EEEvSL_ ; -- Begin function _ZN7rocprim17ROCPRIM_400000_NS6detail17trampoline_kernelINS0_14default_configENS1_36segmented_radix_sort_config_selectorI12hip_bfloat16lEEZNS1_25segmented_radix_sort_implIS3_Lb0EPKS5_PS5_PKlPlN2at6native12_GLOBAL__N_18offset_tEEE10hipError_tPvRmT1_PNSt15iterator_traitsISL_E10value_typeET2_T3_PNSM_ISR_E10value_typeET4_jRbjT5_SX_jjP12ihipStream_tbEUlT_E_NS1_11comp_targetILNS1_3genE10ELNS1_11target_archE1200ELNS1_3gpuE4ELNS1_3repE0EEENS1_30default_config_static_selectorELNS0_4arch9wavefront6targetE0EEEvSL_
	.p2align	8
	.type	_ZN7rocprim17ROCPRIM_400000_NS6detail17trampoline_kernelINS0_14default_configENS1_36segmented_radix_sort_config_selectorI12hip_bfloat16lEEZNS1_25segmented_radix_sort_implIS3_Lb0EPKS5_PS5_PKlPlN2at6native12_GLOBAL__N_18offset_tEEE10hipError_tPvRmT1_PNSt15iterator_traitsISL_E10value_typeET2_T3_PNSM_ISR_E10value_typeET4_jRbjT5_SX_jjP12ihipStream_tbEUlT_E_NS1_11comp_targetILNS1_3genE10ELNS1_11target_archE1200ELNS1_3gpuE4ELNS1_3repE0EEENS1_30default_config_static_selectorELNS0_4arch9wavefront6targetE0EEEvSL_,@function
_ZN7rocprim17ROCPRIM_400000_NS6detail17trampoline_kernelINS0_14default_configENS1_36segmented_radix_sort_config_selectorI12hip_bfloat16lEEZNS1_25segmented_radix_sort_implIS3_Lb0EPKS5_PS5_PKlPlN2at6native12_GLOBAL__N_18offset_tEEE10hipError_tPvRmT1_PNSt15iterator_traitsISL_E10value_typeET2_T3_PNSM_ISR_E10value_typeET4_jRbjT5_SX_jjP12ihipStream_tbEUlT_E_NS1_11comp_targetILNS1_3genE10ELNS1_11target_archE1200ELNS1_3gpuE4ELNS1_3repE0EEENS1_30default_config_static_selectorELNS0_4arch9wavefront6targetE0EEEvSL_: ; @_ZN7rocprim17ROCPRIM_400000_NS6detail17trampoline_kernelINS0_14default_configENS1_36segmented_radix_sort_config_selectorI12hip_bfloat16lEEZNS1_25segmented_radix_sort_implIS3_Lb0EPKS5_PS5_PKlPlN2at6native12_GLOBAL__N_18offset_tEEE10hipError_tPvRmT1_PNSt15iterator_traitsISL_E10value_typeET2_T3_PNSM_ISR_E10value_typeET4_jRbjT5_SX_jjP12ihipStream_tbEUlT_E_NS1_11comp_targetILNS1_3genE10ELNS1_11target_archE1200ELNS1_3gpuE4ELNS1_3repE0EEENS1_30default_config_static_selectorELNS0_4arch9wavefront6targetE0EEEvSL_
; %bb.0:
	.section	.rodata,"a",@progbits
	.p2align	6, 0x0
	.amdhsa_kernel _ZN7rocprim17ROCPRIM_400000_NS6detail17trampoline_kernelINS0_14default_configENS1_36segmented_radix_sort_config_selectorI12hip_bfloat16lEEZNS1_25segmented_radix_sort_implIS3_Lb0EPKS5_PS5_PKlPlN2at6native12_GLOBAL__N_18offset_tEEE10hipError_tPvRmT1_PNSt15iterator_traitsISL_E10value_typeET2_T3_PNSM_ISR_E10value_typeET4_jRbjT5_SX_jjP12ihipStream_tbEUlT_E_NS1_11comp_targetILNS1_3genE10ELNS1_11target_archE1200ELNS1_3gpuE4ELNS1_3repE0EEENS1_30default_config_static_selectorELNS0_4arch9wavefront6targetE0EEEvSL_
		.amdhsa_group_segment_fixed_size 0
		.amdhsa_private_segment_fixed_size 0
		.amdhsa_kernarg_size 96
		.amdhsa_user_sgpr_count 15
		.amdhsa_user_sgpr_dispatch_ptr 0
		.amdhsa_user_sgpr_queue_ptr 0
		.amdhsa_user_sgpr_kernarg_segment_ptr 1
		.amdhsa_user_sgpr_dispatch_id 0
		.amdhsa_user_sgpr_private_segment_size 0
		.amdhsa_wavefront_size32 1
		.amdhsa_uses_dynamic_stack 0
		.amdhsa_enable_private_segment 0
		.amdhsa_system_sgpr_workgroup_id_x 1
		.amdhsa_system_sgpr_workgroup_id_y 0
		.amdhsa_system_sgpr_workgroup_id_z 0
		.amdhsa_system_sgpr_workgroup_info 0
		.amdhsa_system_vgpr_workitem_id 0
		.amdhsa_next_free_vgpr 1
		.amdhsa_next_free_sgpr 1
		.amdhsa_reserve_vcc 0
		.amdhsa_float_round_mode_32 0
		.amdhsa_float_round_mode_16_64 0
		.amdhsa_float_denorm_mode_32 3
		.amdhsa_float_denorm_mode_16_64 3
		.amdhsa_dx10_clamp 1
		.amdhsa_ieee_mode 1
		.amdhsa_fp16_overflow 0
		.amdhsa_workgroup_processor_mode 1
		.amdhsa_memory_ordered 1
		.amdhsa_forward_progress 0
		.amdhsa_shared_vgpr_count 0
		.amdhsa_exception_fp_ieee_invalid_op 0
		.amdhsa_exception_fp_denorm_src 0
		.amdhsa_exception_fp_ieee_div_zero 0
		.amdhsa_exception_fp_ieee_overflow 0
		.amdhsa_exception_fp_ieee_underflow 0
		.amdhsa_exception_fp_ieee_inexact 0
		.amdhsa_exception_int_div_zero 0
	.end_amdhsa_kernel
	.section	.text._ZN7rocprim17ROCPRIM_400000_NS6detail17trampoline_kernelINS0_14default_configENS1_36segmented_radix_sort_config_selectorI12hip_bfloat16lEEZNS1_25segmented_radix_sort_implIS3_Lb0EPKS5_PS5_PKlPlN2at6native12_GLOBAL__N_18offset_tEEE10hipError_tPvRmT1_PNSt15iterator_traitsISL_E10value_typeET2_T3_PNSM_ISR_E10value_typeET4_jRbjT5_SX_jjP12ihipStream_tbEUlT_E_NS1_11comp_targetILNS1_3genE10ELNS1_11target_archE1200ELNS1_3gpuE4ELNS1_3repE0EEENS1_30default_config_static_selectorELNS0_4arch9wavefront6targetE0EEEvSL_,"axG",@progbits,_ZN7rocprim17ROCPRIM_400000_NS6detail17trampoline_kernelINS0_14default_configENS1_36segmented_radix_sort_config_selectorI12hip_bfloat16lEEZNS1_25segmented_radix_sort_implIS3_Lb0EPKS5_PS5_PKlPlN2at6native12_GLOBAL__N_18offset_tEEE10hipError_tPvRmT1_PNSt15iterator_traitsISL_E10value_typeET2_T3_PNSM_ISR_E10value_typeET4_jRbjT5_SX_jjP12ihipStream_tbEUlT_E_NS1_11comp_targetILNS1_3genE10ELNS1_11target_archE1200ELNS1_3gpuE4ELNS1_3repE0EEENS1_30default_config_static_selectorELNS0_4arch9wavefront6targetE0EEEvSL_,comdat
.Lfunc_end2055:
	.size	_ZN7rocprim17ROCPRIM_400000_NS6detail17trampoline_kernelINS0_14default_configENS1_36segmented_radix_sort_config_selectorI12hip_bfloat16lEEZNS1_25segmented_radix_sort_implIS3_Lb0EPKS5_PS5_PKlPlN2at6native12_GLOBAL__N_18offset_tEEE10hipError_tPvRmT1_PNSt15iterator_traitsISL_E10value_typeET2_T3_PNSM_ISR_E10value_typeET4_jRbjT5_SX_jjP12ihipStream_tbEUlT_E_NS1_11comp_targetILNS1_3genE10ELNS1_11target_archE1200ELNS1_3gpuE4ELNS1_3repE0EEENS1_30default_config_static_selectorELNS0_4arch9wavefront6targetE0EEEvSL_, .Lfunc_end2055-_ZN7rocprim17ROCPRIM_400000_NS6detail17trampoline_kernelINS0_14default_configENS1_36segmented_radix_sort_config_selectorI12hip_bfloat16lEEZNS1_25segmented_radix_sort_implIS3_Lb0EPKS5_PS5_PKlPlN2at6native12_GLOBAL__N_18offset_tEEE10hipError_tPvRmT1_PNSt15iterator_traitsISL_E10value_typeET2_T3_PNSM_ISR_E10value_typeET4_jRbjT5_SX_jjP12ihipStream_tbEUlT_E_NS1_11comp_targetILNS1_3genE10ELNS1_11target_archE1200ELNS1_3gpuE4ELNS1_3repE0EEENS1_30default_config_static_selectorELNS0_4arch9wavefront6targetE0EEEvSL_
                                        ; -- End function
	.section	.AMDGPU.csdata,"",@progbits
; Kernel info:
; codeLenInByte = 0
; NumSgprs: 0
; NumVgprs: 0
; ScratchSize: 0
; MemoryBound: 0
; FloatMode: 240
; IeeeMode: 1
; LDSByteSize: 0 bytes/workgroup (compile time only)
; SGPRBlocks: 0
; VGPRBlocks: 0
; NumSGPRsForWavesPerEU: 1
; NumVGPRsForWavesPerEU: 1
; Occupancy: 16
; WaveLimiterHint : 0
; COMPUTE_PGM_RSRC2:SCRATCH_EN: 0
; COMPUTE_PGM_RSRC2:USER_SGPR: 15
; COMPUTE_PGM_RSRC2:TRAP_HANDLER: 0
; COMPUTE_PGM_RSRC2:TGID_X_EN: 1
; COMPUTE_PGM_RSRC2:TGID_Y_EN: 0
; COMPUTE_PGM_RSRC2:TGID_Z_EN: 0
; COMPUTE_PGM_RSRC2:TIDIG_COMP_CNT: 0
	.text
	.p2align	2                               ; -- Begin function _ZN7rocprim17ROCPRIM_400000_NS6detail40segmented_radix_sort_single_block_helperI12hip_bfloat16lLj256ELj16ELb0EE4sortIPKS3_PS3_PKlPlEEbT_T0_T1_T2_jjjjRNS4_12storage_typeE
	.type	_ZN7rocprim17ROCPRIM_400000_NS6detail40segmented_radix_sort_single_block_helperI12hip_bfloat16lLj256ELj16ELb0EE4sortIPKS3_PS3_PKlPlEEbT_T0_T1_T2_jjjjRNS4_12storage_typeE,@function
_ZN7rocprim17ROCPRIM_400000_NS6detail40segmented_radix_sort_single_block_helperI12hip_bfloat16lLj256ELj16ELb0EE4sortIPKS3_PS3_PKlPlEEbT_T0_T1_T2_jjjjRNS4_12storage_typeE: ; @_ZN7rocprim17ROCPRIM_400000_NS6detail40segmented_radix_sort_single_block_helperI12hip_bfloat16lLj256ELj16ELb0EE4sortIPKS3_PS3_PKlPlEEbT_T0_T1_T2_jjjjRNS4_12storage_typeE
; %bb.0:
	s_waitcnt vmcnt(0) expcnt(0) lgkmcnt(0)
	s_clause 0x1f
	scratch_store_b32 off, v40, s32 offset:212
	; meta instruction
	scratch_store_b32 off, v41, s32 offset:208
	; meta instruction
	;; [unrolled: 2-line block ×31, first 2 shown]
	scratch_store_b32 off, v95, s32 offset:88
	s_clause 0x15
	scratch_store_b32 off, v104, s32 offset:84
	; meta instruction
	scratch_store_b32 off, v105, s32 offset:80
	; meta instruction
	;; [unrolled: 2-line block ×21, first 2 shown]
	scratch_store_b32 off, v141, s32
	v_sub_nc_u32_e32 v47, v9, v8
	s_mov_b32 s24, exec_lo
	s_delay_alu instid0(VALU_DEP_1)
	v_cmpx_gt_u32_e32 0x1001, v47
	s_cbranch_execz .LBB2056_372
; %bb.1:
	v_bfe_u32 v14, v31, 10, 10
	v_bfe_u32 v15, v31, 20, 10
	v_and_b32_e32 v34, 0x3ff, v31
	v_mbcnt_lo_u32_b32 v16, -1, 0
	s_mov_b32 s0, exec_lo
	v_cmpx_lt_u32_e32 0x800, v47
	s_xor_b32 s25, exec_lo, s0
	s_cbranch_execz .LBB2056_143
; %bb.2:
	s_load_b64 s[0:1], s[8:9], 0x0
	v_mov_b32_e32 v9, 0
	v_lshlrev_b32_e32 v19, 1, v16
	s_waitcnt lgkmcnt(0)
	s_cmp_lt_u32 s13, s1
	s_cselect_b32 s1, 14, 20
	s_delay_alu instid0(SALU_CYCLE_1) | instskip(SKIP_4) | instid1(SALU_CYCLE_1)
	s_add_u32 s2, s8, s1
	s_addc_u32 s3, s9, 0
	s_cmp_lt_u32 s12, s0
	global_load_u16 v17, v9, s[2:3]
	s_cselect_b32 s0, 12, 18
	s_add_u32 s0, s8, s0
	s_addc_u32 s1, s9, 0
	global_load_u16 v18, v9, s[0:1]
	s_waitcnt vmcnt(1)
	v_mad_u32_u24 v14, v15, v17, v14
	v_mov_b32_e32 v17, 0x7fff
	s_waitcnt vmcnt(0)
	s_delay_alu instid0(VALU_DEP_2) | instskip(NEXT) | instid1(VALU_DEP_1)
	v_mad_u64_u32 v[26:27], null, v14, v18, v[34:35]
	v_dual_mov_b32 v27, 0x7fff :: v_dual_lshlrev_b32 v14, 4, v26
	v_lshlrev_b64 v[28:29], 1, v[8:9]
	s_delay_alu instid0(VALU_DEP_2) | instskip(NEXT) | instid1(VALU_DEP_2)
	v_dual_mov_b32 v15, v9 :: v_dual_and_b32 v14, 0xfffffe00, v14
	v_add_co_u32 v20, vcc_lo, v0, v28
	s_delay_alu instid0(VALU_DEP_3) | instskip(NEXT) | instid1(VALU_DEP_3)
	v_add_co_ci_u32_e32 v21, vcc_lo, v1, v29, vcc_lo
	v_lshlrev_b64 v[0:1], 1, v[14:15]
	s_delay_alu instid0(VALU_DEP_3) | instskip(SKIP_1) | instid1(VALU_DEP_4)
	v_add_co_u32 v19, vcc_lo, v20, v19
	v_or_b32_e32 v18, v14, v16
	v_add_co_ci_u32_e32 v20, vcc_lo, 0, v21, vcc_lo
	s_delay_alu instid0(VALU_DEP_3) | instskip(NEXT) | instid1(VALU_DEP_3)
	v_add_co_u32 v0, s0, v19, v0
	v_cmp_lt_u32_e32 vcc_lo, v18, v47
	s_delay_alu instid0(VALU_DEP_3)
	v_add_co_ci_u32_e64 v1, s0, v20, v1, s0
	s_and_saveexec_b32 s0, vcc_lo
	s_cbranch_execz .LBB2056_4
; %bb.3:
	flat_load_u16 v27, v[0:1]
.LBB2056_4:
	s_or_b32 exec_lo, exec_lo, s0
	v_or_b32_e32 v19, 32, v18
	s_delay_alu instid0(VALU_DEP_1) | instskip(NEXT) | instid1(VALU_DEP_1)
	v_cmp_lt_u32_e64 s0, v19, v47
	s_and_saveexec_b32 s1, s0
	s_cbranch_execz .LBB2056_6
; %bb.5:
	flat_load_u16 v17, v[0:1] offset:64
.LBB2056_6:
	s_or_b32 exec_lo, exec_lo, s1
	v_or_b32_e32 v19, 64, v18
	v_dual_mov_b32 v30, 0x7fff :: v_dual_mov_b32 v31, 0x7fff
	s_delay_alu instid0(VALU_DEP_2) | instskip(NEXT) | instid1(VALU_DEP_1)
	v_cmp_lt_u32_e64 s1, v19, v47
	s_and_saveexec_b32 s2, s1
	s_cbranch_execz .LBB2056_8
; %bb.7:
	flat_load_u16 v31, v[0:1] offset:128
.LBB2056_8:
	s_or_b32 exec_lo, exec_lo, s2
	v_or_b32_e32 v19, 0x60, v18
	s_delay_alu instid0(VALU_DEP_1) | instskip(NEXT) | instid1(VALU_DEP_1)
	v_cmp_lt_u32_e64 s2, v19, v47
	s_and_saveexec_b32 s3, s2
	s_cbranch_execz .LBB2056_10
; %bb.9:
	flat_load_u16 v30, v[0:1] offset:192
.LBB2056_10:
	s_or_b32 exec_lo, exec_lo, s3
	v_or_b32_e32 v19, 0x80, v18
	v_dual_mov_b32 v32, 0x7fff :: v_dual_mov_b32 v33, 0x7fff
	s_delay_alu instid0(VALU_DEP_2) | instskip(NEXT) | instid1(VALU_DEP_1)
	v_cmp_lt_u32_e64 s3, v19, v47
	s_and_saveexec_b32 s4, s3
	s_cbranch_execz .LBB2056_12
; %bb.11:
	flat_load_u16 v33, v[0:1] offset:256
.LBB2056_12:
	;; [unrolled: 19-line block ×7, first 2 shown]
	s_or_b32 exec_lo, exec_lo, s18
	v_or_b32_e32 v18, 0x1e0, v18
	s_delay_alu instid0(VALU_DEP_1) | instskip(NEXT) | instid1(VALU_DEP_1)
	v_cmp_lt_u32_e64 s18, v18, v47
	s_and_saveexec_b32 s19, s18
	s_cbranch_execz .LBB2056_34
; %bb.33:
	flat_load_u16 v51, v[0:1] offset:960
.LBB2056_34:
	s_or_b32 exec_lo, exec_lo, s19
	v_lshlrev_b64 v[0:1], 3, v[8:9]
	v_lshlrev_b32_e32 v8, 3, v16
                                        ; implicit-def: $vgpr22_vgpr23
	s_delay_alu instid0(VALU_DEP_2) | instskip(NEXT) | instid1(VALU_DEP_1)
	v_add_co_u32 v9, s19, v4, v0
	v_add_co_ci_u32_e64 v18, s19, v5, v1, s19
	v_lshlrev_b64 v[4:5], 3, v[14:15]
	s_delay_alu instid0(VALU_DEP_3) | instskip(NEXT) | instid1(VALU_DEP_1)
	v_add_co_u32 v8, s19, v9, v8
	v_add_co_ci_u32_e64 v9, s19, 0, v18, s19
	s_delay_alu instid0(VALU_DEP_2) | instskip(NEXT) | instid1(VALU_DEP_1)
	v_add_co_u32 v4, s19, v8, v4
	v_add_co_ci_u32_e64 v5, s19, v9, v5, s19
	s_and_saveexec_b32 s19, vcc_lo
	s_cbranch_execnz .LBB2056_196
; %bb.35:
	s_or_b32 exec_lo, exec_lo, s19
                                        ; implicit-def: $vgpr18_vgpr19
	s_and_saveexec_b32 s19, s0
	s_cbranch_execnz .LBB2056_197
.LBB2056_36:
	s_or_b32 exec_lo, exec_lo, s19
                                        ; implicit-def: $vgpr20_vgpr21
	s_and_saveexec_b32 s0, s1
	s_cbranch_execnz .LBB2056_198
.LBB2056_37:
	s_or_b32 exec_lo, exec_lo, s0
                                        ; implicit-def: $vgpr24_vgpr25
	s_and_saveexec_b32 s0, s2
	s_cbranch_execnz .LBB2056_199
.LBB2056_38:
	s_or_b32 exec_lo, exec_lo, s0
                                        ; implicit-def: $vgpr116_vgpr117
	s_and_saveexec_b32 s0, s3
	s_cbranch_execnz .LBB2056_200
.LBB2056_39:
	s_or_b32 exec_lo, exec_lo, s0
                                        ; implicit-def: $vgpr134_vgpr135
	s_and_saveexec_b32 s0, s4
	s_cbranch_execnz .LBB2056_201
.LBB2056_40:
	s_or_b32 exec_lo, exec_lo, s0
                                        ; implicit-def: $vgpr178_vgpr179
	s_and_saveexec_b32 s0, s5
	s_cbranch_execnz .LBB2056_202
.LBB2056_41:
	s_or_b32 exec_lo, exec_lo, s0
                                        ; implicit-def: $vgpr192_vgpr193
	s_and_saveexec_b32 s0, s6
	s_cbranch_execnz .LBB2056_203
.LBB2056_42:
	s_or_b32 exec_lo, exec_lo, s0
                                        ; implicit-def: $vgpr194_vgpr195
	s_and_saveexec_b32 s0, s7
	s_cbranch_execnz .LBB2056_204
.LBB2056_43:
	s_or_b32 exec_lo, exec_lo, s0
                                        ; implicit-def: $vgpr196_vgpr197
	s_and_saveexec_b32 s0, s10
	s_cbranch_execnz .LBB2056_205
.LBB2056_44:
	s_or_b32 exec_lo, exec_lo, s0
                                        ; implicit-def: $vgpr198_vgpr199
	s_and_saveexec_b32 s0, s11
	s_cbranch_execnz .LBB2056_206
.LBB2056_45:
	s_or_b32 exec_lo, exec_lo, s0
                                        ; implicit-def: $vgpr208_vgpr209
	s_and_saveexec_b32 s0, s14
	s_cbranch_execnz .LBB2056_207
.LBB2056_46:
	s_or_b32 exec_lo, exec_lo, s0
                                        ; implicit-def: $vgpr210_vgpr211
	s_and_saveexec_b32 s0, s15
	s_cbranch_execnz .LBB2056_208
.LBB2056_47:
	s_or_b32 exec_lo, exec_lo, s0
                                        ; implicit-def: $vgpr212_vgpr213
	s_and_saveexec_b32 s0, s16
	s_cbranch_execnz .LBB2056_209
.LBB2056_48:
	s_or_b32 exec_lo, exec_lo, s0
                                        ; implicit-def: $vgpr214_vgpr215
	s_and_saveexec_b32 s0, s17
	s_cbranch_execnz .LBB2056_210
.LBB2056_49:
	s_or_b32 exec_lo, exec_lo, s0
                                        ; implicit-def: $vgpr224_vgpr225
	s_and_saveexec_b32 s0, s18
	s_cbranch_execz .LBB2056_51
.LBB2056_50:
	flat_load_b64 v[224:225], v[4:5] offset:3840
.LBB2056_51:
	s_or_b32 exec_lo, exec_lo, s0
	s_waitcnt vmcnt(0) lgkmcnt(0)
	v_cmp_lt_i16_e32 vcc_lo, -1, v27
	s_mov_b32 s20, 0
	s_getpc_b64 s[0:1]
	s_add_u32 s0, s0, _ZN7rocprim17ROCPRIM_400000_NS16block_radix_sortI12hip_bfloat16Lj256ELj16ElLj1ELj1ELj8ELNS0_26block_radix_rank_algorithmE2ELNS0_18block_padding_hintE2ELNS0_4arch9wavefront6targetE0EE19radix_bits_per_passE@rel32@lo+4
	s_addc_u32 s1, s1, _ZN7rocprim17ROCPRIM_400000_NS16block_radix_sortI12hip_bfloat16Lj256ELj16ElLj1ELj1ELj8ELNS0_26block_radix_rank_algorithmE2ELNS0_18block_padding_hintE2ELNS0_4arch9wavefront6targetE0EE19radix_bits_per_passE@rel32@hi+12
	s_mov_b32 s21, s20
	s_mov_b32 s22, s20
	v_cndmask_b32_e64 v4, -1, 0xffff8000, vcc_lo
	v_cmp_lt_i16_e32 vcc_lo, -1, v17
	s_mov_b32 s23, s20
	s_load_b32 s19, s[0:1], 0x0
	v_cmp_eq_u32_e64 s7, 0, v16
	v_xor_b32_e32 v141, v4, v27
	v_cndmask_b32_e64 v5, -1, 0xffff8000, vcc_lo
	v_cmp_lt_i16_e32 vcc_lo, -1, v31
	v_and_b32_e32 v15, 7, v16
	v_lshrrev_b32_e32 v75, 5, v26
	v_cmp_gt_u32_e64 s5, 8, v34
	v_xor_b32_e32 v139, v5, v17
	v_cndmask_b32_e64 v4, -1, 0xffff8000, vcc_lo
	v_cmp_lt_i16_e32 vcc_lo, -1, v30
	v_cmp_lt_u32_e64 s14, 1, v15
	v_cmp_lt_u32_e64 s15, 3, v15
	;; [unrolled: 1-line block ×3, first 2 shown]
	v_xor_b32_e32 v140, v4, v31
	v_cndmask_b32_e64 v5, -1, 0xffff8000, vcc_lo
	v_cmp_lt_i16_e32 vcc_lo, -1, v33
	v_cmp_eq_u32_e64 s10, 0, v34
	v_sub_nc_u32_e32 v77, v11, v10
	s_waitcnt lgkmcnt(0)
	s_waitcnt_vscnt null, 0x0
	v_xor_b32_e32 v121, v5, v30
	v_cndmask_b32_e64 v8, -1, 0xffff8000, vcc_lo
	v_cmp_lt_i16_e32 vcc_lo, -1, v32
	s_barrier
	buffer_gl0_inv
	v_xor_b32_e32 v120, v8, v33
	v_cndmask_b32_e64 v9, -1, 0xffff8000, vcc_lo
	v_cmp_lt_i16_e32 vcc_lo, -1, v36
	s_delay_alu instid0(VALU_DEP_2) | instskip(SKIP_2) | instid1(VALU_DEP_2)
	v_xor_b32_e32 v111, v9, v32
	v_cndmask_b32_e64 v14, -1, 0xffff8000, vcc_lo
	v_cmp_lt_i16_e32 vcc_lo, -1, v35
	v_xor_b32_e32 v110, v14, v36
	v_cndmask_b32_e64 v4, -1, 0xffff8000, vcc_lo
	v_cmp_lt_i16_e32 vcc_lo, -1, v38
	s_delay_alu instid0(VALU_DEP_2) | instskip(SKIP_2) | instid1(VALU_DEP_2)
	v_xor_b32_e32 v122, v4, v35
	v_cndmask_b32_e64 v5, -1, 0xffff8000, vcc_lo
	v_cmp_lt_i16_e32 vcc_lo, -1, v37
	;; [unrolled: 7-line block ×3, first 2 shown]
	v_xor_b32_e32 v125, v9, v48
	v_cndmask_b32_e64 v14, -1, 0xffff8000, vcc_lo
	v_cmp_lt_i16_e32 vcc_lo, -1, v50
	s_delay_alu instid0(VALU_DEP_2) | instskip(SKIP_3) | instid1(VALU_DEP_3)
	v_xor_b32_e32 v126, v14, v39
	v_cndmask_b32_e64 v4, -1, 0xffff8000, vcc_lo
	v_cmp_lt_i16_e32 vcc_lo, -1, v49
	v_add_nc_u32_e32 v14, -1, v16
	v_xor_b32_e32 v127, v4, v50
	v_cndmask_b32_e64 v5, -1, 0xffff8000, vcc_lo
	v_cmp_lt_i16_e32 vcc_lo, -1, v52
	v_lshlrev_b32_e32 v4, 5, v34
	v_cmp_gt_i32_e64 s4, 0, v14
	s_delay_alu instid0(VALU_DEP_4) | instskip(SKIP_3) | instid1(VALU_DEP_2)
	v_xor_b32_e32 v136, v5, v49
	v_mov_b32_e32 v5, 0
	v_cndmask_b32_e64 v8, -1, 0xffff8000, vcc_lo
	v_cmp_lt_i16_e32 vcc_lo, -1, v51
	v_xor_b32_e32 v137, v8, v52
	v_cndmask_b32_e64 v9, -1, 0xffff8000, vcc_lo
	v_add_co_u32 v27, vcc_lo, v12, 32
	v_add_co_ci_u32_e32 v74, vcc_lo, 0, v13, vcc_lo
	s_delay_alu instid0(VALU_DEP_3)
	v_xor_b32_e32 v138, v9, v51
	v_and_b32_e32 v9, 0x3e0, v34
	v_add_co_u32 v48, vcc_lo, v12, v4
	v_and_b32_e32 v8, 15, v16
	v_add_co_ci_u32_e32 v49, vcc_lo, 0, v13, vcc_lo
	v_add_co_u32 v66, vcc_lo, v27, v4
	v_min_u32_e32 v4, 0xe0, v9
	v_and_b32_e32 v9, 16, v16
	v_add_co_ci_u32_e32 v67, vcc_lo, 0, v74, vcc_lo
	v_cmp_eq_u32_e32 vcc_lo, 0, v8
	v_cmp_lt_u32_e64 s0, 1, v8
	v_cmp_lt_u32_e64 s1, 3, v8
	;; [unrolled: 1-line block ×3, first 2 shown]
	v_cndmask_b32_e64 v8, v14, v16, s4
	v_lshlrev_b32_e32 v14, 4, v34
	v_or_b32_e32 v4, 31, v4
	v_cmp_eq_u32_e64 s3, 0, v9
	v_lshrrev_b32_e32 v9, 5, v34
	v_lshlrev_b32_e32 v76, 2, v8
	v_and_or_b32 v14, 0x3e00, v14, v16
	v_cmp_eq_u32_e64 s4, v4, v34
	v_lshlrev_b32_e32 v8, 2, v34
	v_lshlrev_b32_e32 v4, 2, v9
	s_delay_alu instid0(VALU_DEP_4) | instskip(NEXT) | instid1(VALU_DEP_2)
	v_lshlrev_b32_e32 v16, 1, v14
	v_add_co_u32 v98, s11, v12, v4
	v_add_nc_u32_e32 v4, -1, v9
	s_delay_alu instid0(VALU_DEP_3) | instskip(SKIP_2) | instid1(VALU_DEP_4)
	v_add_co_u32 v102, s16, v12, v16
	v_add_co_ci_u32_e64 v99, s11, 0, v13, s11
	v_add_co_u32 v100, s11, v12, v8
	v_lshlrev_b64 v[8:9], 2, v[4:5]
	v_add_co_ci_u32_e64 v103, s16, 0, v13, s16
	v_add_co_ci_u32_e64 v101, s11, 0, v13, s11
	v_cmp_eq_u32_e64 s11, 0, v15
	s_delay_alu instid0(VALU_DEP_3)
	v_mad_u64_u32 v[114:115], null, v14, 6, v[102:103]
	v_add_co_u32 v112, s16, v12, v8
	v_mov_b32_e32 v14, s20
	v_mov_b32_e32 v16, s22
	v_add_co_ci_u32_e64 v113, s16, v13, v9, s16
	v_mov_b32_e32 v15, s21
	v_mov_b32_e32 v17, s23
	s_branch .LBB2056_53
.LBB2056_52:                            ;   in Loop: Header=BB2056_53 Depth=1
	s_or_b32 exec_lo, exec_lo, s17
	s_delay_alu instid0(SALU_CYCLE_1) | instskip(NEXT) | instid1(SALU_CYCLE_1)
	s_and_b32 s16, exec_lo, s18
	s_or_b32 s20, s16, s20
	s_delay_alu instid0(SALU_CYCLE_1)
	s_and_not1_b32 exec_lo, exec_lo, s20
	s_cbranch_execz .LBB2056_93
.LBB2056_53:                            ; =>This Inner Loop Header: Depth=1
	v_dual_mov_b32 v78, v141 :: v_dual_mov_b32 v83, v23
	v_min_u32_e32 v4, s19, v77
	v_dual_mov_b32 v82, v22 :: v_dual_mov_b32 v97, v19
	s_delay_alu instid0(VALU_DEP_3) | instskip(SKIP_1) | instid1(VALU_DEP_4)
	v_cmp_ne_u16_e64 s16, 0x7fff, v78
	v_mov_b32_e32 v70, v134
	v_lshlrev_b32_e64 v4, v4, -1
	v_dual_mov_b32 v96, v18 :: v_dual_mov_b32 v87, v21
	s_delay_alu instid0(VALU_DEP_4) | instskip(SKIP_1) | instid1(VALU_DEP_4)
	v_cndmask_b32_e64 v8, 0xffff8000, v78, s16
	v_dual_mov_b32 v30, v212 :: v_dual_mov_b32 v79, v139
	v_not_b32_e32 v18, v4
	v_dual_mov_b32 v86, v20 :: v_dual_mov_b32 v85, v25
	s_delay_alu instid0(VALU_DEP_4) | instskip(SKIP_3) | instid1(VALU_DEP_4)
	v_dual_mov_b32 v71, v135 :: v_dual_and_b32 v8, 0xffff, v8
	v_mov_b32_e32 v84, v24
	v_mov_b32_e32 v80, v116
	;; [unrolled: 1-line block ×3, first 2 shown]
	v_lshrrev_b32_e32 v4, v10, v8
	v_dual_mov_b32 v8, v214 :: v_dual_mov_b32 v81, v117
	v_dual_mov_b32 v68, v178 :: v_dual_mov_b32 v31, v213
	s_delay_alu instid0(VALU_DEP_3) | instskip(SKIP_3) | instid1(VALU_DEP_4)
	v_and_b32_e32 v4, v4, v18
	v_mov_b32_e32 v32, v210
	v_mov_b32_e32 v38, v225
	v_dual_mov_b32 v88, v140 :: v_dual_mov_b32 v89, v121
	v_and_b32_e32 v19, 1, v4
	v_lshlrev_b32_e32 v20, 30, v4
	v_dual_mov_b32 v91, v111 :: v_dual_lshlrev_b32 v22, 29, v4
	v_lshlrev_b32_e32 v23, 28, v4
	s_delay_alu instid0(VALU_DEP_4) | instskip(NEXT) | instid1(VALU_DEP_1)
	v_add_co_u32 v19, s16, v19, -1
	v_cndmask_b32_e64 v21, 0, 1, s16
	v_not_b32_e32 v24, v20
	v_cmp_gt_i32_e64 s17, 0, v20
	v_not_b32_e32 v20, v22
	v_mov_b32_e32 v105, v127
	v_cmp_ne_u32_e64 s16, 0, v21
	v_ashrrev_i32_e32 v24, 31, v24
	v_lshlrev_b32_e32 v21, 27, v4
	v_ashrrev_i32_e32 v20, 31, v20
	v_mov_b32_e32 v64, v192
	v_xor_b32_e32 v19, s16, v19
	v_cmp_gt_i32_e64 s16, 0, v22
	v_not_b32_e32 v22, v23
	v_xor_b32_e32 v24, s17, v24
	v_cmp_gt_i32_e64 s17, 0, v23
	v_dual_mov_b32 v90, v120 :: v_dual_and_b32 v19, exec_lo, v19
	v_not_b32_e32 v23, v21
	v_ashrrev_i32_e32 v22, 31, v22
	v_xor_b32_e32 v20, s16, v20
	s_delay_alu instid0(VALU_DEP_4)
	v_dual_mov_b32 v104, v110 :: v_dual_and_b32 v19, v19, v24
	v_dual_mov_b32 v95, v122 :: v_dual_lshlrev_b32 v24, 26, v4
	v_cmp_gt_i32_e64 s16, 0, v21
	v_ashrrev_i32_e32 v21, 31, v23
	v_xor_b32_e32 v22, s17, v22
	v_dual_mov_b32 v94, v124 :: v_dual_and_b32 v19, v19, v20
	v_not_b32_e32 v20, v24
	v_dual_mov_b32 v108, v123 :: v_dual_lshlrev_b32 v23, 25, v4
	v_cmp_gt_i32_e64 s17, 0, v24
	v_xor_b32_e32 v21, s16, v21
	v_dual_mov_b32 v106, v126 :: v_dual_and_b32 v19, v19, v22
	v_ashrrev_i32_e32 v20, 31, v20
	v_not_b32_e32 v22, v23
	v_dual_mov_b32 v107, v125 :: v_dual_lshlrev_b32 v24, 24, v4
	s_delay_alu instid0(VALU_DEP_4) | instskip(NEXT) | instid1(VALU_DEP_4)
	v_dual_mov_b32 v92, v138 :: v_dual_and_b32 v19, v19, v21
	v_xor_b32_e32 v20, s17, v20
	v_cmp_gt_i32_e64 s16, 0, v23
	v_ashrrev_i32_e32 v21, 31, v22
	v_not_b32_e32 v22, v24
	s_delay_alu instid0(VALU_DEP_4) | instskip(SKIP_1) | instid1(VALU_DEP_4)
	v_dual_mov_b32 v54, v194 :: v_dual_and_b32 v19, v19, v20
	v_dual_mov_b32 v52, v196 :: v_dual_mov_b32 v33, v211
	v_xor_b32_e32 v20, s16, v21
	v_cmp_gt_i32_e64 s16, 0, v24
	v_ashrrev_i32_e32 v21, 31, v22
	v_dual_mov_b32 v50, v198 :: v_dual_mov_b32 v35, v208
	s_delay_alu instid0(VALU_DEP_4) | instskip(SKIP_1) | instid1(VALU_DEP_4)
	v_and_b32_e32 v19, v19, v20
	v_mov_b32_e32 v69, v179
	v_xor_b32_e32 v20, s16, v21
	v_mov_b32_e32 v65, v193
	v_mov_b32_e32 v55, v195
	;; [unrolled: 1-line block ×4, first 2 shown]
	v_and_b32_e32 v19, v19, v20
	v_lshlrev_b32_e32 v20, 3, v4
	v_dual_mov_b32 v36, v209 :: v_dual_mov_b32 v9, v215
	v_mov_b32_e32 v109, v136
	s_delay_alu instid0(VALU_DEP_4) | instskip(NEXT) | instid1(VALU_DEP_4)
	v_mbcnt_lo_u32_b32 v4, v19, 0
	v_add_lshl_u32 v20, v20, v75, 2
	v_cmp_ne_u32_e64 s17, 0, v19
	v_mov_b32_e32 v93, v137
	s_clause 0x1
	flat_store_b128 v[48:49], v[14:17] offset:32
	flat_store_b128 v[66:67], v[14:17] offset:16
	v_cmp_eq_u32_e64 s16, 0, v4
	v_add_co_u32 v116, s18, v27, v20
	s_delay_alu instid0(VALU_DEP_1) | instskip(NEXT) | instid1(VALU_DEP_3)
	v_add_co_ci_u32_e64 v117, s18, 0, v74, s18
	s_and_b32 s17, s17, s16
	s_waitcnt lgkmcnt(0)
	s_waitcnt_vscnt null, 0x0
	s_barrier
	buffer_gl0_inv
	; wave barrier
	s_and_saveexec_b32 s16, s17
	s_cbranch_execz .LBB2056_55
; %bb.54:                               ;   in Loop: Header=BB2056_53 Depth=1
	v_bcnt_u32_b32 v19, v19, 0
	flat_store_b32 v[116:117], v19
.LBB2056_55:                            ;   in Loop: Header=BB2056_53 Depth=1
	s_or_b32 exec_lo, exec_lo, s16
	v_cmp_ne_u16_e64 s16, 0x7fff, v79
	; wave barrier
	s_delay_alu instid0(VALU_DEP_1) | instskip(NEXT) | instid1(VALU_DEP_1)
	v_cndmask_b32_e64 v19, 0xffff8000, v79, s16
	v_and_b32_e32 v19, 0xffff, v19
	s_delay_alu instid0(VALU_DEP_1) | instskip(NEXT) | instid1(VALU_DEP_1)
	v_lshrrev_b32_e32 v19, v10, v19
	v_and_b32_e32 v19, v19, v18
	s_delay_alu instid0(VALU_DEP_1) | instskip(SKIP_3) | instid1(VALU_DEP_4)
	v_lshlrev_b32_e32 v20, 3, v19
	v_lshlrev_b32_e32 v22, 30, v19
	;; [unrolled: 1-line block ×4, first 2 shown]
	v_add_lshl_u32 v20, v20, v75, 2
	s_delay_alu instid0(VALU_DEP_1) | instskip(NEXT) | instid1(VALU_DEP_1)
	v_add_co_u32 v118, s16, v27, v20
	v_add_co_ci_u32_e64 v119, s16, 0, v74, s16
	v_and_b32_e32 v20, 1, v19
	flat_load_b32 v39, v[118:119]
	v_add_co_u32 v20, s16, v20, -1
	s_delay_alu instid0(VALU_DEP_1) | instskip(NEXT) | instid1(VALU_DEP_1)
	v_cndmask_b32_e64 v21, 0, 1, s16
	; wave barrier
	v_cmp_ne_u32_e64 s16, 0, v21
	v_not_b32_e32 v21, v22
	s_delay_alu instid0(VALU_DEP_2) | instskip(SKIP_1) | instid1(VALU_DEP_3)
	v_xor_b32_e32 v20, s16, v20
	v_cmp_gt_i32_e64 s16, 0, v22
	v_ashrrev_i32_e32 v21, 31, v21
	v_not_b32_e32 v22, v23
	s_delay_alu instid0(VALU_DEP_4) | instskip(NEXT) | instid1(VALU_DEP_3)
	v_and_b32_e32 v20, exec_lo, v20
	v_xor_b32_e32 v21, s16, v21
	v_cmp_gt_i32_e64 s16, 0, v23
	s_delay_alu instid0(VALU_DEP_4) | instskip(SKIP_1) | instid1(VALU_DEP_4)
	v_ashrrev_i32_e32 v22, 31, v22
	v_not_b32_e32 v23, v24
	v_and_b32_e32 v20, v20, v21
	v_lshlrev_b32_e32 v21, 27, v19
	s_delay_alu instid0(VALU_DEP_4) | instskip(SKIP_2) | instid1(VALU_DEP_4)
	v_xor_b32_e32 v22, s16, v22
	v_cmp_gt_i32_e64 s16, 0, v24
	v_ashrrev_i32_e32 v23, 31, v23
	v_not_b32_e32 v24, v21
	s_delay_alu instid0(VALU_DEP_4) | instskip(SKIP_1) | instid1(VALU_DEP_4)
	v_and_b32_e32 v20, v20, v22
	v_lshlrev_b32_e32 v22, 26, v19
	v_xor_b32_e32 v23, s16, v23
	v_cmp_gt_i32_e64 s16, 0, v21
	v_ashrrev_i32_e32 v21, 31, v24
	s_delay_alu instid0(VALU_DEP_4) | instskip(NEXT) | instid1(VALU_DEP_4)
	v_not_b32_e32 v24, v22
	v_and_b32_e32 v20, v20, v23
	v_lshlrev_b32_e32 v23, 25, v19
	s_delay_alu instid0(VALU_DEP_4)
	v_xor_b32_e32 v21, s16, v21
	v_cmp_gt_i32_e64 s16, 0, v22
	v_ashrrev_i32_e32 v22, 31, v24
	v_lshlrev_b32_e32 v19, 24, v19
	v_not_b32_e32 v24, v23
	v_and_b32_e32 v20, v20, v21
	s_delay_alu instid0(VALU_DEP_4) | instskip(SKIP_1) | instid1(VALU_DEP_4)
	v_xor_b32_e32 v21, s16, v22
	v_cmp_gt_i32_e64 s16, 0, v23
	v_ashrrev_i32_e32 v22, 31, v24
	v_not_b32_e32 v23, v19
	s_delay_alu instid0(VALU_DEP_4) | instskip(NEXT) | instid1(VALU_DEP_3)
	v_and_b32_e32 v20, v20, v21
	v_xor_b32_e32 v21, s16, v22
	v_cmp_gt_i32_e64 s16, 0, v19
	s_delay_alu instid0(VALU_DEP_4) | instskip(NEXT) | instid1(VALU_DEP_3)
	v_ashrrev_i32_e32 v19, 31, v23
	v_and_b32_e32 v20, v20, v21
	s_delay_alu instid0(VALU_DEP_2) | instskip(NEXT) | instid1(VALU_DEP_1)
	v_xor_b32_e32 v19, s16, v19
	v_and_b32_e32 v19, v20, v19
	s_delay_alu instid0(VALU_DEP_1) | instskip(SKIP_1) | instid1(VALU_DEP_2)
	v_mbcnt_lo_u32_b32 v180, v19, 0
	v_cmp_ne_u32_e64 s17, 0, v19
	v_cmp_eq_u32_e64 s16, 0, v180
	s_delay_alu instid0(VALU_DEP_1) | instskip(NEXT) | instid1(SALU_CYCLE_1)
	s_and_b32 s17, s17, s16
	s_and_saveexec_b32 s16, s17
	s_cbranch_execz .LBB2056_57
; %bb.56:                               ;   in Loop: Header=BB2056_53 Depth=1
	s_waitcnt vmcnt(0) lgkmcnt(0)
	v_bcnt_u32_b32 v19, v19, v39
	flat_store_b32 v[118:119], v19
.LBB2056_57:                            ;   in Loop: Header=BB2056_53 Depth=1
	s_or_b32 exec_lo, exec_lo, s16
	v_cmp_ne_u16_e64 s16, 0x7fff, v88
	; wave barrier
	s_delay_alu instid0(VALU_DEP_1) | instskip(NEXT) | instid1(VALU_DEP_1)
	v_cndmask_b32_e64 v19, 0xffff8000, v88, s16
	v_and_b32_e32 v19, 0xffff, v19
	s_delay_alu instid0(VALU_DEP_1) | instskip(NEXT) | instid1(VALU_DEP_1)
	v_lshrrev_b32_e32 v19, v10, v19
	v_and_b32_e32 v19, v19, v18
	s_delay_alu instid0(VALU_DEP_1) | instskip(SKIP_3) | instid1(VALU_DEP_4)
	v_lshlrev_b32_e32 v20, 3, v19
	v_lshlrev_b32_e32 v22, 30, v19
	;; [unrolled: 1-line block ×4, first 2 shown]
	v_add_lshl_u32 v20, v20, v75, 2
	s_delay_alu instid0(VALU_DEP_1) | instskip(NEXT) | instid1(VALU_DEP_1)
	v_add_co_u32 v128, s16, v27, v20
	v_add_co_ci_u32_e64 v129, s16, 0, v74, s16
	v_and_b32_e32 v20, 1, v19
	flat_load_b32 v192, v[128:129]
	v_add_co_u32 v20, s16, v20, -1
	s_delay_alu instid0(VALU_DEP_1) | instskip(NEXT) | instid1(VALU_DEP_1)
	v_cndmask_b32_e64 v21, 0, 1, s16
	; wave barrier
	v_cmp_ne_u32_e64 s16, 0, v21
	v_not_b32_e32 v21, v22
	s_delay_alu instid0(VALU_DEP_2) | instskip(SKIP_1) | instid1(VALU_DEP_3)
	v_xor_b32_e32 v20, s16, v20
	v_cmp_gt_i32_e64 s16, 0, v22
	v_ashrrev_i32_e32 v21, 31, v21
	v_not_b32_e32 v22, v23
	s_delay_alu instid0(VALU_DEP_4) | instskip(NEXT) | instid1(VALU_DEP_3)
	v_and_b32_e32 v20, exec_lo, v20
	v_xor_b32_e32 v21, s16, v21
	v_cmp_gt_i32_e64 s16, 0, v23
	s_delay_alu instid0(VALU_DEP_4) | instskip(SKIP_1) | instid1(VALU_DEP_4)
	v_ashrrev_i32_e32 v22, 31, v22
	v_not_b32_e32 v23, v24
	v_and_b32_e32 v20, v20, v21
	v_lshlrev_b32_e32 v21, 27, v19
	s_delay_alu instid0(VALU_DEP_4) | instskip(SKIP_2) | instid1(VALU_DEP_4)
	v_xor_b32_e32 v22, s16, v22
	v_cmp_gt_i32_e64 s16, 0, v24
	v_ashrrev_i32_e32 v23, 31, v23
	v_not_b32_e32 v24, v21
	s_delay_alu instid0(VALU_DEP_4) | instskip(SKIP_1) | instid1(VALU_DEP_4)
	v_and_b32_e32 v20, v20, v22
	v_lshlrev_b32_e32 v22, 26, v19
	v_xor_b32_e32 v23, s16, v23
	v_cmp_gt_i32_e64 s16, 0, v21
	v_ashrrev_i32_e32 v21, 31, v24
	s_delay_alu instid0(VALU_DEP_4) | instskip(NEXT) | instid1(VALU_DEP_4)
	v_not_b32_e32 v24, v22
	v_and_b32_e32 v20, v20, v23
	v_lshlrev_b32_e32 v23, 25, v19
	s_delay_alu instid0(VALU_DEP_4)
	v_xor_b32_e32 v21, s16, v21
	v_cmp_gt_i32_e64 s16, 0, v22
	v_ashrrev_i32_e32 v22, 31, v24
	v_lshlrev_b32_e32 v19, 24, v19
	v_not_b32_e32 v24, v23
	v_and_b32_e32 v20, v20, v21
	s_delay_alu instid0(VALU_DEP_4) | instskip(SKIP_1) | instid1(VALU_DEP_4)
	v_xor_b32_e32 v21, s16, v22
	v_cmp_gt_i32_e64 s16, 0, v23
	v_ashrrev_i32_e32 v22, 31, v24
	v_not_b32_e32 v23, v19
	s_delay_alu instid0(VALU_DEP_4) | instskip(NEXT) | instid1(VALU_DEP_3)
	v_and_b32_e32 v20, v20, v21
	v_xor_b32_e32 v21, s16, v22
	v_cmp_gt_i32_e64 s16, 0, v19
	s_delay_alu instid0(VALU_DEP_4) | instskip(NEXT) | instid1(VALU_DEP_3)
	v_ashrrev_i32_e32 v19, 31, v23
	v_and_b32_e32 v20, v20, v21
	s_delay_alu instid0(VALU_DEP_2) | instskip(NEXT) | instid1(VALU_DEP_1)
	v_xor_b32_e32 v19, s16, v19
	v_and_b32_e32 v19, v20, v19
	s_delay_alu instid0(VALU_DEP_1) | instskip(SKIP_1) | instid1(VALU_DEP_2)
	v_mbcnt_lo_u32_b32 v193, v19, 0
	v_cmp_ne_u32_e64 s17, 0, v19
	v_cmp_eq_u32_e64 s16, 0, v193
	s_delay_alu instid0(VALU_DEP_1) | instskip(NEXT) | instid1(SALU_CYCLE_1)
	s_and_b32 s17, s17, s16
	s_and_saveexec_b32 s16, s17
	s_cbranch_execz .LBB2056_59
; %bb.58:                               ;   in Loop: Header=BB2056_53 Depth=1
	s_waitcnt vmcnt(0) lgkmcnt(0)
	v_bcnt_u32_b32 v19, v19, v192
	flat_store_b32 v[128:129], v19
.LBB2056_59:                            ;   in Loop: Header=BB2056_53 Depth=1
	s_or_b32 exec_lo, exec_lo, s16
	v_cmp_ne_u16_e64 s16, 0x7fff, v89
	; wave barrier
	s_delay_alu instid0(VALU_DEP_1) | instskip(NEXT) | instid1(VALU_DEP_1)
	v_cndmask_b32_e64 v19, 0xffff8000, v89, s16
	v_and_b32_e32 v19, 0xffff, v19
	s_delay_alu instid0(VALU_DEP_1) | instskip(NEXT) | instid1(VALU_DEP_1)
	v_lshrrev_b32_e32 v19, v10, v19
	v_and_b32_e32 v19, v19, v18
	s_delay_alu instid0(VALU_DEP_1) | instskip(SKIP_3) | instid1(VALU_DEP_4)
	v_lshlrev_b32_e32 v20, 3, v19
	v_lshlrev_b32_e32 v22, 30, v19
	;; [unrolled: 1-line block ×4, first 2 shown]
	v_add_lshl_u32 v20, v20, v75, 2
	s_delay_alu instid0(VALU_DEP_1) | instskip(NEXT) | instid1(VALU_DEP_1)
	v_add_co_u32 v130, s16, v27, v20
	v_add_co_ci_u32_e64 v131, s16, 0, v74, s16
	v_and_b32_e32 v20, 1, v19
	flat_load_b32 v194, v[130:131]
	v_add_co_u32 v20, s16, v20, -1
	s_delay_alu instid0(VALU_DEP_1) | instskip(NEXT) | instid1(VALU_DEP_1)
	v_cndmask_b32_e64 v21, 0, 1, s16
	; wave barrier
	v_cmp_ne_u32_e64 s16, 0, v21
	v_not_b32_e32 v21, v22
	s_delay_alu instid0(VALU_DEP_2) | instskip(SKIP_1) | instid1(VALU_DEP_3)
	v_xor_b32_e32 v20, s16, v20
	v_cmp_gt_i32_e64 s16, 0, v22
	v_ashrrev_i32_e32 v21, 31, v21
	v_not_b32_e32 v22, v23
	s_delay_alu instid0(VALU_DEP_4) | instskip(NEXT) | instid1(VALU_DEP_3)
	v_and_b32_e32 v20, exec_lo, v20
	v_xor_b32_e32 v21, s16, v21
	v_cmp_gt_i32_e64 s16, 0, v23
	s_delay_alu instid0(VALU_DEP_4) | instskip(SKIP_1) | instid1(VALU_DEP_4)
	v_ashrrev_i32_e32 v22, 31, v22
	v_not_b32_e32 v23, v24
	v_and_b32_e32 v20, v20, v21
	v_lshlrev_b32_e32 v21, 27, v19
	s_delay_alu instid0(VALU_DEP_4) | instskip(SKIP_2) | instid1(VALU_DEP_4)
	v_xor_b32_e32 v22, s16, v22
	v_cmp_gt_i32_e64 s16, 0, v24
	v_ashrrev_i32_e32 v23, 31, v23
	v_not_b32_e32 v24, v21
	s_delay_alu instid0(VALU_DEP_4) | instskip(SKIP_1) | instid1(VALU_DEP_4)
	v_and_b32_e32 v20, v20, v22
	v_lshlrev_b32_e32 v22, 26, v19
	v_xor_b32_e32 v23, s16, v23
	v_cmp_gt_i32_e64 s16, 0, v21
	v_ashrrev_i32_e32 v21, 31, v24
	s_delay_alu instid0(VALU_DEP_4) | instskip(NEXT) | instid1(VALU_DEP_4)
	v_not_b32_e32 v24, v22
	v_and_b32_e32 v20, v20, v23
	v_lshlrev_b32_e32 v23, 25, v19
	s_delay_alu instid0(VALU_DEP_4)
	v_xor_b32_e32 v21, s16, v21
	v_cmp_gt_i32_e64 s16, 0, v22
	v_ashrrev_i32_e32 v22, 31, v24
	v_lshlrev_b32_e32 v19, 24, v19
	v_not_b32_e32 v24, v23
	v_and_b32_e32 v20, v20, v21
	s_delay_alu instid0(VALU_DEP_4) | instskip(SKIP_1) | instid1(VALU_DEP_4)
	v_xor_b32_e32 v21, s16, v22
	v_cmp_gt_i32_e64 s16, 0, v23
	v_ashrrev_i32_e32 v22, 31, v24
	v_not_b32_e32 v23, v19
	s_delay_alu instid0(VALU_DEP_4) | instskip(NEXT) | instid1(VALU_DEP_3)
	v_and_b32_e32 v20, v20, v21
	v_xor_b32_e32 v21, s16, v22
	v_cmp_gt_i32_e64 s16, 0, v19
	s_delay_alu instid0(VALU_DEP_4) | instskip(NEXT) | instid1(VALU_DEP_3)
	v_ashrrev_i32_e32 v19, 31, v23
	v_and_b32_e32 v20, v20, v21
	s_delay_alu instid0(VALU_DEP_2) | instskip(NEXT) | instid1(VALU_DEP_1)
	v_xor_b32_e32 v19, s16, v19
	v_and_b32_e32 v19, v20, v19
	s_delay_alu instid0(VALU_DEP_1) | instskip(SKIP_1) | instid1(VALU_DEP_2)
	v_mbcnt_lo_u32_b32 v195, v19, 0
	v_cmp_ne_u32_e64 s17, 0, v19
	v_cmp_eq_u32_e64 s16, 0, v195
	s_delay_alu instid0(VALU_DEP_1) | instskip(NEXT) | instid1(SALU_CYCLE_1)
	s_and_b32 s17, s17, s16
	s_and_saveexec_b32 s16, s17
	s_cbranch_execz .LBB2056_61
; %bb.60:                               ;   in Loop: Header=BB2056_53 Depth=1
	s_waitcnt vmcnt(0) lgkmcnt(0)
	v_bcnt_u32_b32 v19, v19, v194
	flat_store_b32 v[130:131], v19
.LBB2056_61:                            ;   in Loop: Header=BB2056_53 Depth=1
	s_or_b32 exec_lo, exec_lo, s16
	v_cmp_ne_u16_e64 s16, 0x7fff, v90
	; wave barrier
	s_delay_alu instid0(VALU_DEP_1) | instskip(NEXT) | instid1(VALU_DEP_1)
	v_cndmask_b32_e64 v19, 0xffff8000, v90, s16
	v_and_b32_e32 v19, 0xffff, v19
	s_delay_alu instid0(VALU_DEP_1) | instskip(NEXT) | instid1(VALU_DEP_1)
	v_lshrrev_b32_e32 v19, v10, v19
	v_and_b32_e32 v19, v19, v18
	s_delay_alu instid0(VALU_DEP_1) | instskip(SKIP_3) | instid1(VALU_DEP_4)
	v_lshlrev_b32_e32 v20, 3, v19
	v_lshlrev_b32_e32 v22, 30, v19
	;; [unrolled: 1-line block ×4, first 2 shown]
	v_add_lshl_u32 v20, v20, v75, 2
	s_delay_alu instid0(VALU_DEP_1) | instskip(NEXT) | instid1(VALU_DEP_1)
	v_add_co_u32 v132, s16, v27, v20
	v_add_co_ci_u32_e64 v133, s16, 0, v74, s16
	v_and_b32_e32 v20, 1, v19
	flat_load_b32 v196, v[132:133]
	v_add_co_u32 v20, s16, v20, -1
	s_delay_alu instid0(VALU_DEP_1) | instskip(NEXT) | instid1(VALU_DEP_1)
	v_cndmask_b32_e64 v21, 0, 1, s16
	; wave barrier
	v_cmp_ne_u32_e64 s16, 0, v21
	v_not_b32_e32 v21, v22
	s_delay_alu instid0(VALU_DEP_2) | instskip(SKIP_1) | instid1(VALU_DEP_3)
	v_xor_b32_e32 v20, s16, v20
	v_cmp_gt_i32_e64 s16, 0, v22
	v_ashrrev_i32_e32 v21, 31, v21
	v_not_b32_e32 v22, v23
	s_delay_alu instid0(VALU_DEP_4) | instskip(NEXT) | instid1(VALU_DEP_3)
	v_and_b32_e32 v20, exec_lo, v20
	v_xor_b32_e32 v21, s16, v21
	v_cmp_gt_i32_e64 s16, 0, v23
	s_delay_alu instid0(VALU_DEP_4) | instskip(SKIP_1) | instid1(VALU_DEP_4)
	v_ashrrev_i32_e32 v22, 31, v22
	v_not_b32_e32 v23, v24
	v_and_b32_e32 v20, v20, v21
	v_lshlrev_b32_e32 v21, 27, v19
	s_delay_alu instid0(VALU_DEP_4) | instskip(SKIP_2) | instid1(VALU_DEP_4)
	v_xor_b32_e32 v22, s16, v22
	v_cmp_gt_i32_e64 s16, 0, v24
	v_ashrrev_i32_e32 v23, 31, v23
	v_not_b32_e32 v24, v21
	s_delay_alu instid0(VALU_DEP_4) | instskip(SKIP_1) | instid1(VALU_DEP_4)
	v_and_b32_e32 v20, v20, v22
	v_lshlrev_b32_e32 v22, 26, v19
	v_xor_b32_e32 v23, s16, v23
	v_cmp_gt_i32_e64 s16, 0, v21
	v_ashrrev_i32_e32 v21, 31, v24
	s_delay_alu instid0(VALU_DEP_4) | instskip(NEXT) | instid1(VALU_DEP_4)
	v_not_b32_e32 v24, v22
	v_and_b32_e32 v20, v20, v23
	v_lshlrev_b32_e32 v23, 25, v19
	s_delay_alu instid0(VALU_DEP_4)
	v_xor_b32_e32 v21, s16, v21
	v_cmp_gt_i32_e64 s16, 0, v22
	v_ashrrev_i32_e32 v22, 31, v24
	v_lshlrev_b32_e32 v19, 24, v19
	v_not_b32_e32 v24, v23
	v_and_b32_e32 v20, v20, v21
	s_delay_alu instid0(VALU_DEP_4) | instskip(SKIP_1) | instid1(VALU_DEP_4)
	v_xor_b32_e32 v21, s16, v22
	v_cmp_gt_i32_e64 s16, 0, v23
	v_ashrrev_i32_e32 v22, 31, v24
	v_not_b32_e32 v23, v19
	s_delay_alu instid0(VALU_DEP_4) | instskip(NEXT) | instid1(VALU_DEP_3)
	v_and_b32_e32 v20, v20, v21
	v_xor_b32_e32 v21, s16, v22
	v_cmp_gt_i32_e64 s16, 0, v19
	s_delay_alu instid0(VALU_DEP_4) | instskip(NEXT) | instid1(VALU_DEP_3)
	v_ashrrev_i32_e32 v19, 31, v23
	v_and_b32_e32 v20, v20, v21
	s_delay_alu instid0(VALU_DEP_2) | instskip(NEXT) | instid1(VALU_DEP_1)
	v_xor_b32_e32 v19, s16, v19
	v_and_b32_e32 v19, v20, v19
	s_delay_alu instid0(VALU_DEP_1) | instskip(SKIP_1) | instid1(VALU_DEP_2)
	v_mbcnt_lo_u32_b32 v197, v19, 0
	v_cmp_ne_u32_e64 s17, 0, v19
	v_cmp_eq_u32_e64 s16, 0, v197
	s_delay_alu instid0(VALU_DEP_1) | instskip(NEXT) | instid1(SALU_CYCLE_1)
	s_and_b32 s17, s17, s16
	s_and_saveexec_b32 s16, s17
	s_cbranch_execz .LBB2056_63
; %bb.62:                               ;   in Loop: Header=BB2056_53 Depth=1
	s_waitcnt vmcnt(0) lgkmcnt(0)
	v_bcnt_u32_b32 v19, v19, v196
	flat_store_b32 v[132:133], v19
.LBB2056_63:                            ;   in Loop: Header=BB2056_53 Depth=1
	s_or_b32 exec_lo, exec_lo, s16
	v_cmp_ne_u16_e64 s16, 0x7fff, v91
	; wave barrier
	s_delay_alu instid0(VALU_DEP_1) | instskip(NEXT) | instid1(VALU_DEP_1)
	v_cndmask_b32_e64 v19, 0xffff8000, v91, s16
	v_and_b32_e32 v19, 0xffff, v19
	s_delay_alu instid0(VALU_DEP_1) | instskip(NEXT) | instid1(VALU_DEP_1)
	v_lshrrev_b32_e32 v19, v10, v19
	v_and_b32_e32 v19, v19, v18
	s_delay_alu instid0(VALU_DEP_1) | instskip(SKIP_3) | instid1(VALU_DEP_4)
	v_lshlrev_b32_e32 v20, 3, v19
	v_lshlrev_b32_e32 v22, 30, v19
	v_lshlrev_b32_e32 v23, 29, v19
	v_lshlrev_b32_e32 v24, 28, v19
	v_add_lshl_u32 v20, v20, v75, 2
	s_delay_alu instid0(VALU_DEP_1) | instskip(NEXT) | instid1(VALU_DEP_1)
	v_add_co_u32 v134, s16, v27, v20
	v_add_co_ci_u32_e64 v135, s16, 0, v74, s16
	v_and_b32_e32 v20, 1, v19
	flat_load_b32 v198, v[134:135]
	v_add_co_u32 v20, s16, v20, -1
	s_delay_alu instid0(VALU_DEP_1) | instskip(NEXT) | instid1(VALU_DEP_1)
	v_cndmask_b32_e64 v21, 0, 1, s16
	; wave barrier
	v_cmp_ne_u32_e64 s16, 0, v21
	v_not_b32_e32 v21, v22
	s_delay_alu instid0(VALU_DEP_2) | instskip(SKIP_1) | instid1(VALU_DEP_3)
	v_xor_b32_e32 v20, s16, v20
	v_cmp_gt_i32_e64 s16, 0, v22
	v_ashrrev_i32_e32 v21, 31, v21
	v_not_b32_e32 v22, v23
	s_delay_alu instid0(VALU_DEP_4) | instskip(NEXT) | instid1(VALU_DEP_3)
	v_and_b32_e32 v20, exec_lo, v20
	v_xor_b32_e32 v21, s16, v21
	v_cmp_gt_i32_e64 s16, 0, v23
	s_delay_alu instid0(VALU_DEP_4) | instskip(SKIP_1) | instid1(VALU_DEP_4)
	v_ashrrev_i32_e32 v22, 31, v22
	v_not_b32_e32 v23, v24
	v_and_b32_e32 v20, v20, v21
	v_lshlrev_b32_e32 v21, 27, v19
	s_delay_alu instid0(VALU_DEP_4) | instskip(SKIP_2) | instid1(VALU_DEP_4)
	v_xor_b32_e32 v22, s16, v22
	v_cmp_gt_i32_e64 s16, 0, v24
	v_ashrrev_i32_e32 v23, 31, v23
	v_not_b32_e32 v24, v21
	s_delay_alu instid0(VALU_DEP_4) | instskip(SKIP_1) | instid1(VALU_DEP_4)
	v_and_b32_e32 v20, v20, v22
	v_lshlrev_b32_e32 v22, 26, v19
	v_xor_b32_e32 v23, s16, v23
	v_cmp_gt_i32_e64 s16, 0, v21
	v_ashrrev_i32_e32 v21, 31, v24
	s_delay_alu instid0(VALU_DEP_4) | instskip(NEXT) | instid1(VALU_DEP_4)
	v_not_b32_e32 v24, v22
	v_and_b32_e32 v20, v20, v23
	v_lshlrev_b32_e32 v23, 25, v19
	s_delay_alu instid0(VALU_DEP_4)
	v_xor_b32_e32 v21, s16, v21
	v_cmp_gt_i32_e64 s16, 0, v22
	v_ashrrev_i32_e32 v22, 31, v24
	v_lshlrev_b32_e32 v19, 24, v19
	v_not_b32_e32 v24, v23
	v_and_b32_e32 v20, v20, v21
	s_delay_alu instid0(VALU_DEP_4) | instskip(SKIP_1) | instid1(VALU_DEP_4)
	v_xor_b32_e32 v21, s16, v22
	v_cmp_gt_i32_e64 s16, 0, v23
	v_ashrrev_i32_e32 v22, 31, v24
	v_not_b32_e32 v23, v19
	s_delay_alu instid0(VALU_DEP_4) | instskip(NEXT) | instid1(VALU_DEP_3)
	v_and_b32_e32 v20, v20, v21
	v_xor_b32_e32 v21, s16, v22
	v_cmp_gt_i32_e64 s16, 0, v19
	s_delay_alu instid0(VALU_DEP_4) | instskip(NEXT) | instid1(VALU_DEP_3)
	v_ashrrev_i32_e32 v19, 31, v23
	v_and_b32_e32 v20, v20, v21
	s_delay_alu instid0(VALU_DEP_2) | instskip(NEXT) | instid1(VALU_DEP_1)
	v_xor_b32_e32 v19, s16, v19
	v_and_b32_e32 v19, v20, v19
	s_delay_alu instid0(VALU_DEP_1) | instskip(SKIP_1) | instid1(VALU_DEP_2)
	v_mbcnt_lo_u32_b32 v199, v19, 0
	v_cmp_ne_u32_e64 s17, 0, v19
	v_cmp_eq_u32_e64 s16, 0, v199
	s_delay_alu instid0(VALU_DEP_1) | instskip(NEXT) | instid1(SALU_CYCLE_1)
	s_and_b32 s17, s17, s16
	s_and_saveexec_b32 s16, s17
	s_cbranch_execz .LBB2056_65
; %bb.64:                               ;   in Loop: Header=BB2056_53 Depth=1
	s_waitcnt vmcnt(0) lgkmcnt(0)
	v_bcnt_u32_b32 v19, v19, v198
	flat_store_b32 v[134:135], v19
.LBB2056_65:                            ;   in Loop: Header=BB2056_53 Depth=1
	s_or_b32 exec_lo, exec_lo, s16
	v_cmp_ne_u16_e64 s16, 0x7fff, v104
	; wave barrier
	s_delay_alu instid0(VALU_DEP_1) | instskip(NEXT) | instid1(VALU_DEP_1)
	v_cndmask_b32_e64 v19, 0xffff8000, v104, s16
	v_and_b32_e32 v19, 0xffff, v19
	s_delay_alu instid0(VALU_DEP_1) | instskip(NEXT) | instid1(VALU_DEP_1)
	v_lshrrev_b32_e32 v19, v10, v19
	v_and_b32_e32 v19, v19, v18
	s_delay_alu instid0(VALU_DEP_1) | instskip(SKIP_3) | instid1(VALU_DEP_4)
	v_lshlrev_b32_e32 v20, 3, v19
	v_lshlrev_b32_e32 v22, 30, v19
	;; [unrolled: 1-line block ×4, first 2 shown]
	v_add_lshl_u32 v20, v20, v75, 2
	s_delay_alu instid0(VALU_DEP_1) | instskip(NEXT) | instid1(VALU_DEP_1)
	v_add_co_u32 v144, s16, v27, v20
	v_add_co_ci_u32_e64 v145, s16, 0, v74, s16
	v_and_b32_e32 v20, 1, v19
	flat_load_b32 v208, v[144:145]
	v_add_co_u32 v20, s16, v20, -1
	s_delay_alu instid0(VALU_DEP_1) | instskip(NEXT) | instid1(VALU_DEP_1)
	v_cndmask_b32_e64 v21, 0, 1, s16
	; wave barrier
	v_cmp_ne_u32_e64 s16, 0, v21
	v_not_b32_e32 v21, v22
	s_delay_alu instid0(VALU_DEP_2) | instskip(SKIP_1) | instid1(VALU_DEP_3)
	v_xor_b32_e32 v20, s16, v20
	v_cmp_gt_i32_e64 s16, 0, v22
	v_ashrrev_i32_e32 v21, 31, v21
	v_not_b32_e32 v22, v23
	s_delay_alu instid0(VALU_DEP_4) | instskip(NEXT) | instid1(VALU_DEP_3)
	v_and_b32_e32 v20, exec_lo, v20
	v_xor_b32_e32 v21, s16, v21
	v_cmp_gt_i32_e64 s16, 0, v23
	s_delay_alu instid0(VALU_DEP_4) | instskip(SKIP_1) | instid1(VALU_DEP_4)
	v_ashrrev_i32_e32 v22, 31, v22
	v_not_b32_e32 v23, v24
	v_and_b32_e32 v20, v20, v21
	v_lshlrev_b32_e32 v21, 27, v19
	s_delay_alu instid0(VALU_DEP_4) | instskip(SKIP_2) | instid1(VALU_DEP_4)
	v_xor_b32_e32 v22, s16, v22
	v_cmp_gt_i32_e64 s16, 0, v24
	v_ashrrev_i32_e32 v23, 31, v23
	v_not_b32_e32 v24, v21
	s_delay_alu instid0(VALU_DEP_4) | instskip(SKIP_1) | instid1(VALU_DEP_4)
	v_and_b32_e32 v20, v20, v22
	v_lshlrev_b32_e32 v22, 26, v19
	v_xor_b32_e32 v23, s16, v23
	v_cmp_gt_i32_e64 s16, 0, v21
	v_ashrrev_i32_e32 v21, 31, v24
	s_delay_alu instid0(VALU_DEP_4) | instskip(NEXT) | instid1(VALU_DEP_4)
	v_not_b32_e32 v24, v22
	v_and_b32_e32 v20, v20, v23
	v_lshlrev_b32_e32 v23, 25, v19
	s_delay_alu instid0(VALU_DEP_4)
	v_xor_b32_e32 v21, s16, v21
	v_cmp_gt_i32_e64 s16, 0, v22
	v_ashrrev_i32_e32 v22, 31, v24
	v_lshlrev_b32_e32 v19, 24, v19
	v_not_b32_e32 v24, v23
	v_and_b32_e32 v20, v20, v21
	s_delay_alu instid0(VALU_DEP_4) | instskip(SKIP_1) | instid1(VALU_DEP_4)
	v_xor_b32_e32 v21, s16, v22
	v_cmp_gt_i32_e64 s16, 0, v23
	v_ashrrev_i32_e32 v22, 31, v24
	v_not_b32_e32 v23, v19
	s_delay_alu instid0(VALU_DEP_4) | instskip(NEXT) | instid1(VALU_DEP_3)
	v_and_b32_e32 v20, v20, v21
	v_xor_b32_e32 v21, s16, v22
	v_cmp_gt_i32_e64 s16, 0, v19
	s_delay_alu instid0(VALU_DEP_4) | instskip(NEXT) | instid1(VALU_DEP_3)
	v_ashrrev_i32_e32 v19, 31, v23
	v_and_b32_e32 v20, v20, v21
	s_delay_alu instid0(VALU_DEP_2) | instskip(NEXT) | instid1(VALU_DEP_1)
	v_xor_b32_e32 v19, s16, v19
	v_and_b32_e32 v19, v20, v19
	s_delay_alu instid0(VALU_DEP_1) | instskip(SKIP_1) | instid1(VALU_DEP_2)
	v_mbcnt_lo_u32_b32 v209, v19, 0
	v_cmp_ne_u32_e64 s17, 0, v19
	v_cmp_eq_u32_e64 s16, 0, v209
	s_delay_alu instid0(VALU_DEP_1) | instskip(NEXT) | instid1(SALU_CYCLE_1)
	s_and_b32 s17, s17, s16
	s_and_saveexec_b32 s16, s17
	s_cbranch_execz .LBB2056_67
; %bb.66:                               ;   in Loop: Header=BB2056_53 Depth=1
	s_waitcnt vmcnt(0) lgkmcnt(0)
	v_bcnt_u32_b32 v19, v19, v208
	flat_store_b32 v[144:145], v19
.LBB2056_67:                            ;   in Loop: Header=BB2056_53 Depth=1
	s_or_b32 exec_lo, exec_lo, s16
	v_cmp_ne_u16_e64 s16, 0x7fff, v95
	; wave barrier
	s_delay_alu instid0(VALU_DEP_1) | instskip(NEXT) | instid1(VALU_DEP_1)
	v_cndmask_b32_e64 v19, 0xffff8000, v95, s16
	v_and_b32_e32 v19, 0xffff, v19
	s_delay_alu instid0(VALU_DEP_1) | instskip(NEXT) | instid1(VALU_DEP_1)
	v_lshrrev_b32_e32 v19, v10, v19
	v_and_b32_e32 v19, v19, v18
	s_delay_alu instid0(VALU_DEP_1) | instskip(SKIP_3) | instid1(VALU_DEP_4)
	v_lshlrev_b32_e32 v20, 3, v19
	v_lshlrev_b32_e32 v22, 30, v19
	;; [unrolled: 1-line block ×4, first 2 shown]
	v_add_lshl_u32 v20, v20, v75, 2
	s_delay_alu instid0(VALU_DEP_1) | instskip(NEXT) | instid1(VALU_DEP_1)
	v_add_co_u32 v146, s16, v27, v20
	v_add_co_ci_u32_e64 v147, s16, 0, v74, s16
	v_and_b32_e32 v20, 1, v19
	flat_load_b32 v210, v[146:147]
	v_add_co_u32 v20, s16, v20, -1
	s_delay_alu instid0(VALU_DEP_1) | instskip(NEXT) | instid1(VALU_DEP_1)
	v_cndmask_b32_e64 v21, 0, 1, s16
	; wave barrier
	v_cmp_ne_u32_e64 s16, 0, v21
	v_not_b32_e32 v21, v22
	s_delay_alu instid0(VALU_DEP_2) | instskip(SKIP_1) | instid1(VALU_DEP_3)
	v_xor_b32_e32 v20, s16, v20
	v_cmp_gt_i32_e64 s16, 0, v22
	v_ashrrev_i32_e32 v21, 31, v21
	v_not_b32_e32 v22, v23
	s_delay_alu instid0(VALU_DEP_4) | instskip(NEXT) | instid1(VALU_DEP_3)
	v_and_b32_e32 v20, exec_lo, v20
	v_xor_b32_e32 v21, s16, v21
	v_cmp_gt_i32_e64 s16, 0, v23
	s_delay_alu instid0(VALU_DEP_4) | instskip(SKIP_1) | instid1(VALU_DEP_4)
	v_ashrrev_i32_e32 v22, 31, v22
	v_not_b32_e32 v23, v24
	v_and_b32_e32 v20, v20, v21
	v_lshlrev_b32_e32 v21, 27, v19
	s_delay_alu instid0(VALU_DEP_4) | instskip(SKIP_2) | instid1(VALU_DEP_4)
	v_xor_b32_e32 v22, s16, v22
	v_cmp_gt_i32_e64 s16, 0, v24
	v_ashrrev_i32_e32 v23, 31, v23
	v_not_b32_e32 v24, v21
	s_delay_alu instid0(VALU_DEP_4) | instskip(SKIP_1) | instid1(VALU_DEP_4)
	v_and_b32_e32 v20, v20, v22
	v_lshlrev_b32_e32 v22, 26, v19
	v_xor_b32_e32 v23, s16, v23
	v_cmp_gt_i32_e64 s16, 0, v21
	v_ashrrev_i32_e32 v21, 31, v24
	s_delay_alu instid0(VALU_DEP_4) | instskip(NEXT) | instid1(VALU_DEP_4)
	v_not_b32_e32 v24, v22
	v_and_b32_e32 v20, v20, v23
	v_lshlrev_b32_e32 v23, 25, v19
	s_delay_alu instid0(VALU_DEP_4)
	v_xor_b32_e32 v21, s16, v21
	v_cmp_gt_i32_e64 s16, 0, v22
	v_ashrrev_i32_e32 v22, 31, v24
	v_lshlrev_b32_e32 v19, 24, v19
	v_not_b32_e32 v24, v23
	v_and_b32_e32 v20, v20, v21
	s_delay_alu instid0(VALU_DEP_4) | instskip(SKIP_1) | instid1(VALU_DEP_4)
	v_xor_b32_e32 v21, s16, v22
	v_cmp_gt_i32_e64 s16, 0, v23
	v_ashrrev_i32_e32 v22, 31, v24
	v_not_b32_e32 v23, v19
	s_delay_alu instid0(VALU_DEP_4) | instskip(NEXT) | instid1(VALU_DEP_3)
	v_and_b32_e32 v20, v20, v21
	v_xor_b32_e32 v21, s16, v22
	v_cmp_gt_i32_e64 s16, 0, v19
	s_delay_alu instid0(VALU_DEP_4) | instskip(NEXT) | instid1(VALU_DEP_3)
	v_ashrrev_i32_e32 v19, 31, v23
	v_and_b32_e32 v20, v20, v21
	s_delay_alu instid0(VALU_DEP_2) | instskip(NEXT) | instid1(VALU_DEP_1)
	v_xor_b32_e32 v19, s16, v19
	v_and_b32_e32 v19, v20, v19
	s_delay_alu instid0(VALU_DEP_1) | instskip(SKIP_1) | instid1(VALU_DEP_2)
	v_mbcnt_lo_u32_b32 v211, v19, 0
	v_cmp_ne_u32_e64 s17, 0, v19
	v_cmp_eq_u32_e64 s16, 0, v211
	s_delay_alu instid0(VALU_DEP_1) | instskip(NEXT) | instid1(SALU_CYCLE_1)
	s_and_b32 s17, s17, s16
	s_and_saveexec_b32 s16, s17
	s_cbranch_execz .LBB2056_69
; %bb.68:                               ;   in Loop: Header=BB2056_53 Depth=1
	s_waitcnt vmcnt(0) lgkmcnt(0)
	v_bcnt_u32_b32 v19, v19, v210
	flat_store_b32 v[146:147], v19
.LBB2056_69:                            ;   in Loop: Header=BB2056_53 Depth=1
	s_or_b32 exec_lo, exec_lo, s16
	v_cmp_ne_u16_e64 s16, 0x7fff, v94
	; wave barrier
	s_delay_alu instid0(VALU_DEP_1) | instskip(NEXT) | instid1(VALU_DEP_1)
	v_cndmask_b32_e64 v19, 0xffff8000, v94, s16
	v_and_b32_e32 v19, 0xffff, v19
	s_delay_alu instid0(VALU_DEP_1) | instskip(NEXT) | instid1(VALU_DEP_1)
	v_lshrrev_b32_e32 v19, v10, v19
	v_and_b32_e32 v19, v19, v18
	s_delay_alu instid0(VALU_DEP_1) | instskip(SKIP_3) | instid1(VALU_DEP_4)
	v_lshlrev_b32_e32 v20, 3, v19
	v_lshlrev_b32_e32 v22, 30, v19
	;; [unrolled: 1-line block ×4, first 2 shown]
	v_add_lshl_u32 v20, v20, v75, 2
	s_delay_alu instid0(VALU_DEP_1) | instskip(NEXT) | instid1(VALU_DEP_1)
	v_add_co_u32 v148, s16, v27, v20
	v_add_co_ci_u32_e64 v149, s16, 0, v74, s16
	v_and_b32_e32 v20, 1, v19
	flat_load_b32 v212, v[148:149]
	v_add_co_u32 v20, s16, v20, -1
	s_delay_alu instid0(VALU_DEP_1) | instskip(NEXT) | instid1(VALU_DEP_1)
	v_cndmask_b32_e64 v21, 0, 1, s16
	; wave barrier
	v_cmp_ne_u32_e64 s16, 0, v21
	v_not_b32_e32 v21, v22
	s_delay_alu instid0(VALU_DEP_2) | instskip(SKIP_1) | instid1(VALU_DEP_3)
	v_xor_b32_e32 v20, s16, v20
	v_cmp_gt_i32_e64 s16, 0, v22
	v_ashrrev_i32_e32 v21, 31, v21
	v_not_b32_e32 v22, v23
	s_delay_alu instid0(VALU_DEP_4) | instskip(NEXT) | instid1(VALU_DEP_3)
	v_and_b32_e32 v20, exec_lo, v20
	v_xor_b32_e32 v21, s16, v21
	v_cmp_gt_i32_e64 s16, 0, v23
	s_delay_alu instid0(VALU_DEP_4) | instskip(SKIP_1) | instid1(VALU_DEP_4)
	v_ashrrev_i32_e32 v22, 31, v22
	v_not_b32_e32 v23, v24
	v_and_b32_e32 v20, v20, v21
	v_lshlrev_b32_e32 v21, 27, v19
	s_delay_alu instid0(VALU_DEP_4) | instskip(SKIP_2) | instid1(VALU_DEP_4)
	v_xor_b32_e32 v22, s16, v22
	v_cmp_gt_i32_e64 s16, 0, v24
	v_ashrrev_i32_e32 v23, 31, v23
	v_not_b32_e32 v24, v21
	s_delay_alu instid0(VALU_DEP_4) | instskip(SKIP_1) | instid1(VALU_DEP_4)
	v_and_b32_e32 v20, v20, v22
	v_lshlrev_b32_e32 v22, 26, v19
	v_xor_b32_e32 v23, s16, v23
	v_cmp_gt_i32_e64 s16, 0, v21
	v_ashrrev_i32_e32 v21, 31, v24
	s_delay_alu instid0(VALU_DEP_4) | instskip(NEXT) | instid1(VALU_DEP_4)
	v_not_b32_e32 v24, v22
	v_and_b32_e32 v20, v20, v23
	v_lshlrev_b32_e32 v23, 25, v19
	s_delay_alu instid0(VALU_DEP_4)
	v_xor_b32_e32 v21, s16, v21
	v_cmp_gt_i32_e64 s16, 0, v22
	v_ashrrev_i32_e32 v22, 31, v24
	v_lshlrev_b32_e32 v19, 24, v19
	v_not_b32_e32 v24, v23
	v_and_b32_e32 v20, v20, v21
	s_delay_alu instid0(VALU_DEP_4) | instskip(SKIP_1) | instid1(VALU_DEP_4)
	v_xor_b32_e32 v21, s16, v22
	v_cmp_gt_i32_e64 s16, 0, v23
	v_ashrrev_i32_e32 v22, 31, v24
	v_not_b32_e32 v23, v19
	s_delay_alu instid0(VALU_DEP_4) | instskip(NEXT) | instid1(VALU_DEP_3)
	v_and_b32_e32 v20, v20, v21
	v_xor_b32_e32 v21, s16, v22
	v_cmp_gt_i32_e64 s16, 0, v19
	s_delay_alu instid0(VALU_DEP_4) | instskip(NEXT) | instid1(VALU_DEP_3)
	v_ashrrev_i32_e32 v19, 31, v23
	v_and_b32_e32 v20, v20, v21
	s_delay_alu instid0(VALU_DEP_2) | instskip(NEXT) | instid1(VALU_DEP_1)
	v_xor_b32_e32 v19, s16, v19
	v_and_b32_e32 v19, v20, v19
	s_delay_alu instid0(VALU_DEP_1) | instskip(SKIP_1) | instid1(VALU_DEP_2)
	v_mbcnt_lo_u32_b32 v213, v19, 0
	v_cmp_ne_u32_e64 s17, 0, v19
	v_cmp_eq_u32_e64 s16, 0, v213
	s_delay_alu instid0(VALU_DEP_1) | instskip(NEXT) | instid1(SALU_CYCLE_1)
	s_and_b32 s17, s17, s16
	s_and_saveexec_b32 s16, s17
	s_cbranch_execz .LBB2056_71
; %bb.70:                               ;   in Loop: Header=BB2056_53 Depth=1
	s_waitcnt vmcnt(0) lgkmcnt(0)
	v_bcnt_u32_b32 v19, v19, v212
	flat_store_b32 v[148:149], v19
.LBB2056_71:                            ;   in Loop: Header=BB2056_53 Depth=1
	s_or_b32 exec_lo, exec_lo, s16
	v_cmp_ne_u16_e64 s16, 0x7fff, v108
	; wave barrier
	s_delay_alu instid0(VALU_DEP_1) | instskip(NEXT) | instid1(VALU_DEP_1)
	v_cndmask_b32_e64 v19, 0xffff8000, v108, s16
	v_and_b32_e32 v19, 0xffff, v19
	s_delay_alu instid0(VALU_DEP_1) | instskip(NEXT) | instid1(VALU_DEP_1)
	v_lshrrev_b32_e32 v19, v10, v19
	v_and_b32_e32 v19, v19, v18
	s_delay_alu instid0(VALU_DEP_1) | instskip(SKIP_3) | instid1(VALU_DEP_4)
	v_lshlrev_b32_e32 v20, 3, v19
	v_lshlrev_b32_e32 v22, 30, v19
	;; [unrolled: 1-line block ×4, first 2 shown]
	v_add_lshl_u32 v20, v20, v75, 2
	s_delay_alu instid0(VALU_DEP_1) | instskip(NEXT) | instid1(VALU_DEP_1)
	v_add_co_u32 v150, s16, v27, v20
	v_add_co_ci_u32_e64 v151, s16, 0, v74, s16
	v_and_b32_e32 v20, 1, v19
	flat_load_b32 v214, v[150:151]
	v_add_co_u32 v20, s16, v20, -1
	s_delay_alu instid0(VALU_DEP_1) | instskip(NEXT) | instid1(VALU_DEP_1)
	v_cndmask_b32_e64 v21, 0, 1, s16
	; wave barrier
	v_cmp_ne_u32_e64 s16, 0, v21
	v_not_b32_e32 v21, v22
	s_delay_alu instid0(VALU_DEP_2) | instskip(SKIP_1) | instid1(VALU_DEP_3)
	v_xor_b32_e32 v20, s16, v20
	v_cmp_gt_i32_e64 s16, 0, v22
	v_ashrrev_i32_e32 v21, 31, v21
	v_not_b32_e32 v22, v23
	s_delay_alu instid0(VALU_DEP_4) | instskip(NEXT) | instid1(VALU_DEP_3)
	v_and_b32_e32 v20, exec_lo, v20
	v_xor_b32_e32 v21, s16, v21
	v_cmp_gt_i32_e64 s16, 0, v23
	s_delay_alu instid0(VALU_DEP_4) | instskip(SKIP_1) | instid1(VALU_DEP_4)
	v_ashrrev_i32_e32 v22, 31, v22
	v_not_b32_e32 v23, v24
	v_and_b32_e32 v20, v20, v21
	v_lshlrev_b32_e32 v21, 27, v19
	s_delay_alu instid0(VALU_DEP_4) | instskip(SKIP_2) | instid1(VALU_DEP_4)
	v_xor_b32_e32 v22, s16, v22
	v_cmp_gt_i32_e64 s16, 0, v24
	v_ashrrev_i32_e32 v23, 31, v23
	v_not_b32_e32 v24, v21
	s_delay_alu instid0(VALU_DEP_4) | instskip(SKIP_1) | instid1(VALU_DEP_4)
	v_and_b32_e32 v20, v20, v22
	v_lshlrev_b32_e32 v22, 26, v19
	v_xor_b32_e32 v23, s16, v23
	v_cmp_gt_i32_e64 s16, 0, v21
	v_ashrrev_i32_e32 v21, 31, v24
	s_delay_alu instid0(VALU_DEP_4) | instskip(NEXT) | instid1(VALU_DEP_4)
	v_not_b32_e32 v24, v22
	v_and_b32_e32 v20, v20, v23
	v_lshlrev_b32_e32 v23, 25, v19
	s_delay_alu instid0(VALU_DEP_4)
	v_xor_b32_e32 v21, s16, v21
	v_cmp_gt_i32_e64 s16, 0, v22
	v_ashrrev_i32_e32 v22, 31, v24
	v_lshlrev_b32_e32 v19, 24, v19
	v_not_b32_e32 v24, v23
	v_and_b32_e32 v20, v20, v21
	s_delay_alu instid0(VALU_DEP_4) | instskip(SKIP_1) | instid1(VALU_DEP_4)
	v_xor_b32_e32 v21, s16, v22
	v_cmp_gt_i32_e64 s16, 0, v23
	v_ashrrev_i32_e32 v22, 31, v24
	v_not_b32_e32 v23, v19
	s_delay_alu instid0(VALU_DEP_4) | instskip(NEXT) | instid1(VALU_DEP_3)
	v_and_b32_e32 v20, v20, v21
	v_xor_b32_e32 v21, s16, v22
	v_cmp_gt_i32_e64 s16, 0, v19
	s_delay_alu instid0(VALU_DEP_4) | instskip(NEXT) | instid1(VALU_DEP_3)
	v_ashrrev_i32_e32 v19, 31, v23
	v_and_b32_e32 v20, v20, v21
	s_delay_alu instid0(VALU_DEP_2) | instskip(NEXT) | instid1(VALU_DEP_1)
	v_xor_b32_e32 v19, s16, v19
	v_and_b32_e32 v19, v20, v19
	s_delay_alu instid0(VALU_DEP_1) | instskip(SKIP_1) | instid1(VALU_DEP_2)
	v_mbcnt_lo_u32_b32 v215, v19, 0
	v_cmp_ne_u32_e64 s17, 0, v19
	v_cmp_eq_u32_e64 s16, 0, v215
	s_delay_alu instid0(VALU_DEP_1) | instskip(NEXT) | instid1(SALU_CYCLE_1)
	s_and_b32 s17, s17, s16
	s_and_saveexec_b32 s16, s17
	s_cbranch_execz .LBB2056_73
; %bb.72:                               ;   in Loop: Header=BB2056_53 Depth=1
	s_waitcnt vmcnt(0) lgkmcnt(0)
	v_bcnt_u32_b32 v19, v19, v214
	flat_store_b32 v[150:151], v19
.LBB2056_73:                            ;   in Loop: Header=BB2056_53 Depth=1
	s_or_b32 exec_lo, exec_lo, s16
	v_cmp_ne_u16_e64 s16, 0x7fff, v107
	; wave barrier
	s_delay_alu instid0(VALU_DEP_1) | instskip(NEXT) | instid1(VALU_DEP_1)
	v_cndmask_b32_e64 v19, 0xffff8000, v107, s16
	v_and_b32_e32 v19, 0xffff, v19
	s_delay_alu instid0(VALU_DEP_1) | instskip(NEXT) | instid1(VALU_DEP_1)
	v_lshrrev_b32_e32 v19, v10, v19
	v_and_b32_e32 v19, v19, v18
	s_delay_alu instid0(VALU_DEP_1) | instskip(SKIP_3) | instid1(VALU_DEP_4)
	v_lshlrev_b32_e32 v20, 3, v19
	v_lshlrev_b32_e32 v22, 30, v19
	;; [unrolled: 1-line block ×4, first 2 shown]
	v_add_lshl_u32 v20, v20, v75, 2
	s_delay_alu instid0(VALU_DEP_1) | instskip(NEXT) | instid1(VALU_DEP_1)
	v_add_co_u32 v160, s16, v27, v20
	v_add_co_ci_u32_e64 v161, s16, 0, v74, s16
	v_and_b32_e32 v20, 1, v19
	flat_load_b32 v224, v[160:161]
	v_add_co_u32 v20, s16, v20, -1
	s_delay_alu instid0(VALU_DEP_1) | instskip(NEXT) | instid1(VALU_DEP_1)
	v_cndmask_b32_e64 v21, 0, 1, s16
	; wave barrier
	v_cmp_ne_u32_e64 s16, 0, v21
	v_not_b32_e32 v21, v22
	s_delay_alu instid0(VALU_DEP_2) | instskip(SKIP_1) | instid1(VALU_DEP_3)
	v_xor_b32_e32 v20, s16, v20
	v_cmp_gt_i32_e64 s16, 0, v22
	v_ashrrev_i32_e32 v21, 31, v21
	v_not_b32_e32 v22, v23
	s_delay_alu instid0(VALU_DEP_4) | instskip(NEXT) | instid1(VALU_DEP_3)
	v_and_b32_e32 v20, exec_lo, v20
	v_xor_b32_e32 v21, s16, v21
	v_cmp_gt_i32_e64 s16, 0, v23
	s_delay_alu instid0(VALU_DEP_4) | instskip(SKIP_1) | instid1(VALU_DEP_4)
	v_ashrrev_i32_e32 v22, 31, v22
	v_not_b32_e32 v23, v24
	v_and_b32_e32 v20, v20, v21
	v_lshlrev_b32_e32 v21, 27, v19
	s_delay_alu instid0(VALU_DEP_4) | instskip(SKIP_2) | instid1(VALU_DEP_4)
	v_xor_b32_e32 v22, s16, v22
	v_cmp_gt_i32_e64 s16, 0, v24
	v_ashrrev_i32_e32 v23, 31, v23
	v_not_b32_e32 v24, v21
	s_delay_alu instid0(VALU_DEP_4) | instskip(SKIP_1) | instid1(VALU_DEP_4)
	v_and_b32_e32 v20, v20, v22
	v_lshlrev_b32_e32 v22, 26, v19
	v_xor_b32_e32 v23, s16, v23
	v_cmp_gt_i32_e64 s16, 0, v21
	v_ashrrev_i32_e32 v21, 31, v24
	s_delay_alu instid0(VALU_DEP_4) | instskip(NEXT) | instid1(VALU_DEP_4)
	v_not_b32_e32 v24, v22
	v_and_b32_e32 v20, v20, v23
	v_lshlrev_b32_e32 v23, 25, v19
	s_delay_alu instid0(VALU_DEP_4)
	v_xor_b32_e32 v21, s16, v21
	v_cmp_gt_i32_e64 s16, 0, v22
	v_ashrrev_i32_e32 v22, 31, v24
	v_lshlrev_b32_e32 v19, 24, v19
	v_not_b32_e32 v24, v23
	v_and_b32_e32 v20, v20, v21
	s_delay_alu instid0(VALU_DEP_4) | instskip(SKIP_1) | instid1(VALU_DEP_4)
	v_xor_b32_e32 v21, s16, v22
	v_cmp_gt_i32_e64 s16, 0, v23
	v_ashrrev_i32_e32 v22, 31, v24
	v_not_b32_e32 v23, v19
	s_delay_alu instid0(VALU_DEP_4) | instskip(NEXT) | instid1(VALU_DEP_3)
	v_and_b32_e32 v20, v20, v21
	v_xor_b32_e32 v21, s16, v22
	v_cmp_gt_i32_e64 s16, 0, v19
	s_delay_alu instid0(VALU_DEP_4) | instskip(NEXT) | instid1(VALU_DEP_3)
	v_ashrrev_i32_e32 v19, 31, v23
	v_and_b32_e32 v20, v20, v21
	s_delay_alu instid0(VALU_DEP_2) | instskip(NEXT) | instid1(VALU_DEP_1)
	v_xor_b32_e32 v19, s16, v19
	v_and_b32_e32 v19, v20, v19
	s_delay_alu instid0(VALU_DEP_1) | instskip(SKIP_1) | instid1(VALU_DEP_2)
	v_mbcnt_lo_u32_b32 v225, v19, 0
	v_cmp_ne_u32_e64 s17, 0, v19
	v_cmp_eq_u32_e64 s16, 0, v225
	s_delay_alu instid0(VALU_DEP_1) | instskip(NEXT) | instid1(SALU_CYCLE_1)
	s_and_b32 s17, s17, s16
	s_and_saveexec_b32 s16, s17
	s_cbranch_execz .LBB2056_75
; %bb.74:                               ;   in Loop: Header=BB2056_53 Depth=1
	s_waitcnt vmcnt(0) lgkmcnt(0)
	v_bcnt_u32_b32 v19, v19, v224
	flat_store_b32 v[160:161], v19
.LBB2056_75:                            ;   in Loop: Header=BB2056_53 Depth=1
	s_or_b32 exec_lo, exec_lo, s16
	v_cmp_ne_u16_e64 s16, 0x7fff, v106
	; wave barrier
	s_delay_alu instid0(VALU_DEP_1) | instskip(NEXT) | instid1(VALU_DEP_1)
	v_cndmask_b32_e64 v19, 0xffff8000, v106, s16
	v_and_b32_e32 v19, 0xffff, v19
	s_delay_alu instid0(VALU_DEP_1) | instskip(NEXT) | instid1(VALU_DEP_1)
	v_lshrrev_b32_e32 v19, v10, v19
	v_and_b32_e32 v19, v19, v18
	s_delay_alu instid0(VALU_DEP_1) | instskip(SKIP_3) | instid1(VALU_DEP_4)
	v_lshlrev_b32_e32 v20, 3, v19
	v_lshlrev_b32_e32 v22, 30, v19
	;; [unrolled: 1-line block ×4, first 2 shown]
	v_add_lshl_u32 v20, v20, v75, 2
	s_delay_alu instid0(VALU_DEP_1) | instskip(NEXT) | instid1(VALU_DEP_1)
	v_add_co_u32 v162, s16, v27, v20
	v_add_co_ci_u32_e64 v163, s16, 0, v74, s16
	v_and_b32_e32 v20, 1, v19
	flat_load_b32 v226, v[162:163]
	v_add_co_u32 v20, s16, v20, -1
	s_delay_alu instid0(VALU_DEP_1) | instskip(NEXT) | instid1(VALU_DEP_1)
	v_cndmask_b32_e64 v21, 0, 1, s16
	; wave barrier
	v_cmp_ne_u32_e64 s16, 0, v21
	v_not_b32_e32 v21, v22
	s_delay_alu instid0(VALU_DEP_2) | instskip(SKIP_1) | instid1(VALU_DEP_3)
	v_xor_b32_e32 v20, s16, v20
	v_cmp_gt_i32_e64 s16, 0, v22
	v_ashrrev_i32_e32 v21, 31, v21
	v_not_b32_e32 v22, v23
	s_delay_alu instid0(VALU_DEP_4) | instskip(NEXT) | instid1(VALU_DEP_3)
	v_and_b32_e32 v20, exec_lo, v20
	v_xor_b32_e32 v21, s16, v21
	v_cmp_gt_i32_e64 s16, 0, v23
	s_delay_alu instid0(VALU_DEP_4) | instskip(SKIP_1) | instid1(VALU_DEP_4)
	v_ashrrev_i32_e32 v22, 31, v22
	v_not_b32_e32 v23, v24
	v_and_b32_e32 v20, v20, v21
	v_lshlrev_b32_e32 v21, 27, v19
	s_delay_alu instid0(VALU_DEP_4) | instskip(SKIP_2) | instid1(VALU_DEP_4)
	v_xor_b32_e32 v22, s16, v22
	v_cmp_gt_i32_e64 s16, 0, v24
	v_ashrrev_i32_e32 v23, 31, v23
	v_not_b32_e32 v24, v21
	s_delay_alu instid0(VALU_DEP_4) | instskip(SKIP_1) | instid1(VALU_DEP_4)
	v_and_b32_e32 v20, v20, v22
	v_lshlrev_b32_e32 v22, 26, v19
	v_xor_b32_e32 v23, s16, v23
	v_cmp_gt_i32_e64 s16, 0, v21
	v_ashrrev_i32_e32 v21, 31, v24
	s_delay_alu instid0(VALU_DEP_4) | instskip(NEXT) | instid1(VALU_DEP_4)
	v_not_b32_e32 v24, v22
	v_and_b32_e32 v20, v20, v23
	v_lshlrev_b32_e32 v23, 25, v19
	s_delay_alu instid0(VALU_DEP_4)
	v_xor_b32_e32 v21, s16, v21
	v_cmp_gt_i32_e64 s16, 0, v22
	v_ashrrev_i32_e32 v22, 31, v24
	v_lshlrev_b32_e32 v19, 24, v19
	v_not_b32_e32 v24, v23
	v_and_b32_e32 v20, v20, v21
	s_delay_alu instid0(VALU_DEP_4) | instskip(SKIP_1) | instid1(VALU_DEP_4)
	v_xor_b32_e32 v21, s16, v22
	v_cmp_gt_i32_e64 s16, 0, v23
	v_ashrrev_i32_e32 v22, 31, v24
	v_not_b32_e32 v23, v19
	s_delay_alu instid0(VALU_DEP_4) | instskip(NEXT) | instid1(VALU_DEP_3)
	v_and_b32_e32 v20, v20, v21
	v_xor_b32_e32 v21, s16, v22
	v_cmp_gt_i32_e64 s16, 0, v19
	s_delay_alu instid0(VALU_DEP_4) | instskip(NEXT) | instid1(VALU_DEP_3)
	v_ashrrev_i32_e32 v19, 31, v23
	v_and_b32_e32 v20, v20, v21
	s_delay_alu instid0(VALU_DEP_2) | instskip(NEXT) | instid1(VALU_DEP_1)
	v_xor_b32_e32 v19, s16, v19
	v_and_b32_e32 v19, v20, v19
	s_delay_alu instid0(VALU_DEP_1) | instskip(SKIP_1) | instid1(VALU_DEP_2)
	v_mbcnt_lo_u32_b32 v227, v19, 0
	v_cmp_ne_u32_e64 s17, 0, v19
	v_cmp_eq_u32_e64 s16, 0, v227
	s_delay_alu instid0(VALU_DEP_1) | instskip(NEXT) | instid1(SALU_CYCLE_1)
	s_and_b32 s17, s17, s16
	s_and_saveexec_b32 s16, s17
	s_cbranch_execz .LBB2056_77
; %bb.76:                               ;   in Loop: Header=BB2056_53 Depth=1
	s_waitcnt vmcnt(0) lgkmcnt(0)
	v_bcnt_u32_b32 v19, v19, v226
	flat_store_b32 v[162:163], v19
.LBB2056_77:                            ;   in Loop: Header=BB2056_53 Depth=1
	s_or_b32 exec_lo, exec_lo, s16
	v_cmp_ne_u16_e64 s16, 0x7fff, v105
	; wave barrier
	s_delay_alu instid0(VALU_DEP_1) | instskip(NEXT) | instid1(VALU_DEP_1)
	v_cndmask_b32_e64 v19, 0xffff8000, v105, s16
	v_and_b32_e32 v19, 0xffff, v19
	s_delay_alu instid0(VALU_DEP_1) | instskip(NEXT) | instid1(VALU_DEP_1)
	v_lshrrev_b32_e32 v19, v10, v19
	v_and_b32_e32 v19, v19, v18
	s_delay_alu instid0(VALU_DEP_1) | instskip(SKIP_3) | instid1(VALU_DEP_4)
	v_lshlrev_b32_e32 v20, 3, v19
	v_lshlrev_b32_e32 v22, 30, v19
	;; [unrolled: 1-line block ×4, first 2 shown]
	v_add_lshl_u32 v20, v20, v75, 2
	s_delay_alu instid0(VALU_DEP_1) | instskip(NEXT) | instid1(VALU_DEP_1)
	v_add_co_u32 v164, s16, v27, v20
	v_add_co_ci_u32_e64 v165, s16, 0, v74, s16
	v_and_b32_e32 v20, 1, v19
	flat_load_b32 v228, v[164:165]
	v_add_co_u32 v20, s16, v20, -1
	s_delay_alu instid0(VALU_DEP_1) | instskip(NEXT) | instid1(VALU_DEP_1)
	v_cndmask_b32_e64 v21, 0, 1, s16
	; wave barrier
	v_cmp_ne_u32_e64 s16, 0, v21
	v_not_b32_e32 v21, v22
	s_delay_alu instid0(VALU_DEP_2) | instskip(SKIP_1) | instid1(VALU_DEP_3)
	v_xor_b32_e32 v20, s16, v20
	v_cmp_gt_i32_e64 s16, 0, v22
	v_ashrrev_i32_e32 v21, 31, v21
	v_not_b32_e32 v22, v23
	s_delay_alu instid0(VALU_DEP_4) | instskip(NEXT) | instid1(VALU_DEP_3)
	v_and_b32_e32 v20, exec_lo, v20
	v_xor_b32_e32 v21, s16, v21
	v_cmp_gt_i32_e64 s16, 0, v23
	s_delay_alu instid0(VALU_DEP_4) | instskip(SKIP_1) | instid1(VALU_DEP_4)
	v_ashrrev_i32_e32 v22, 31, v22
	v_not_b32_e32 v23, v24
	v_and_b32_e32 v20, v20, v21
	v_lshlrev_b32_e32 v21, 27, v19
	s_delay_alu instid0(VALU_DEP_4) | instskip(SKIP_2) | instid1(VALU_DEP_4)
	v_xor_b32_e32 v22, s16, v22
	v_cmp_gt_i32_e64 s16, 0, v24
	v_ashrrev_i32_e32 v23, 31, v23
	v_not_b32_e32 v24, v21
	s_delay_alu instid0(VALU_DEP_4) | instskip(SKIP_1) | instid1(VALU_DEP_4)
	v_and_b32_e32 v20, v20, v22
	v_lshlrev_b32_e32 v22, 26, v19
	v_xor_b32_e32 v23, s16, v23
	v_cmp_gt_i32_e64 s16, 0, v21
	v_ashrrev_i32_e32 v21, 31, v24
	s_delay_alu instid0(VALU_DEP_4) | instskip(NEXT) | instid1(VALU_DEP_4)
	v_not_b32_e32 v24, v22
	v_and_b32_e32 v20, v20, v23
	v_lshlrev_b32_e32 v23, 25, v19
	s_delay_alu instid0(VALU_DEP_4)
	v_xor_b32_e32 v21, s16, v21
	v_cmp_gt_i32_e64 s16, 0, v22
	v_ashrrev_i32_e32 v22, 31, v24
	v_lshlrev_b32_e32 v19, 24, v19
	v_not_b32_e32 v24, v23
	v_and_b32_e32 v20, v20, v21
	s_delay_alu instid0(VALU_DEP_4) | instskip(SKIP_1) | instid1(VALU_DEP_4)
	v_xor_b32_e32 v21, s16, v22
	v_cmp_gt_i32_e64 s16, 0, v23
	v_ashrrev_i32_e32 v22, 31, v24
	v_not_b32_e32 v23, v19
	s_delay_alu instid0(VALU_DEP_4) | instskip(NEXT) | instid1(VALU_DEP_3)
	v_and_b32_e32 v20, v20, v21
	v_xor_b32_e32 v21, s16, v22
	v_cmp_gt_i32_e64 s16, 0, v19
	s_delay_alu instid0(VALU_DEP_4) | instskip(NEXT) | instid1(VALU_DEP_3)
	v_ashrrev_i32_e32 v19, 31, v23
	v_and_b32_e32 v20, v20, v21
	s_delay_alu instid0(VALU_DEP_2) | instskip(NEXT) | instid1(VALU_DEP_1)
	v_xor_b32_e32 v19, s16, v19
	v_and_b32_e32 v19, v20, v19
	s_delay_alu instid0(VALU_DEP_1) | instskip(SKIP_1) | instid1(VALU_DEP_2)
	v_mbcnt_lo_u32_b32 v229, v19, 0
	v_cmp_ne_u32_e64 s17, 0, v19
	v_cmp_eq_u32_e64 s16, 0, v229
	s_delay_alu instid0(VALU_DEP_1) | instskip(NEXT) | instid1(SALU_CYCLE_1)
	s_and_b32 s17, s17, s16
	s_and_saveexec_b32 s16, s17
	s_cbranch_execz .LBB2056_79
; %bb.78:                               ;   in Loop: Header=BB2056_53 Depth=1
	s_waitcnt vmcnt(0) lgkmcnt(0)
	v_bcnt_u32_b32 v19, v19, v228
	flat_store_b32 v[164:165], v19
.LBB2056_79:                            ;   in Loop: Header=BB2056_53 Depth=1
	s_or_b32 exec_lo, exec_lo, s16
	v_cmp_ne_u16_e64 s16, 0x7fff, v109
	; wave barrier
	s_delay_alu instid0(VALU_DEP_1) | instskip(NEXT) | instid1(VALU_DEP_1)
	v_cndmask_b32_e64 v19, 0xffff8000, v109, s16
	v_and_b32_e32 v19, 0xffff, v19
	s_delay_alu instid0(VALU_DEP_1) | instskip(NEXT) | instid1(VALU_DEP_1)
	v_lshrrev_b32_e32 v19, v10, v19
	v_and_b32_e32 v19, v19, v18
	s_delay_alu instid0(VALU_DEP_1) | instskip(SKIP_3) | instid1(VALU_DEP_4)
	v_lshlrev_b32_e32 v20, 3, v19
	v_lshlrev_b32_e32 v22, 30, v19
	;; [unrolled: 1-line block ×4, first 2 shown]
	v_add_lshl_u32 v20, v20, v75, 2
	s_delay_alu instid0(VALU_DEP_1) | instskip(NEXT) | instid1(VALU_DEP_1)
	v_add_co_u32 v166, s16, v27, v20
	v_add_co_ci_u32_e64 v167, s16, 0, v74, s16
	v_and_b32_e32 v20, 1, v19
	flat_load_b32 v230, v[166:167]
	v_add_co_u32 v20, s16, v20, -1
	s_delay_alu instid0(VALU_DEP_1) | instskip(NEXT) | instid1(VALU_DEP_1)
	v_cndmask_b32_e64 v21, 0, 1, s16
	; wave barrier
	v_cmp_ne_u32_e64 s16, 0, v21
	v_not_b32_e32 v21, v22
	s_delay_alu instid0(VALU_DEP_2) | instskip(SKIP_1) | instid1(VALU_DEP_3)
	v_xor_b32_e32 v20, s16, v20
	v_cmp_gt_i32_e64 s16, 0, v22
	v_ashrrev_i32_e32 v21, 31, v21
	v_not_b32_e32 v22, v23
	s_delay_alu instid0(VALU_DEP_4) | instskip(NEXT) | instid1(VALU_DEP_3)
	v_and_b32_e32 v20, exec_lo, v20
	v_xor_b32_e32 v21, s16, v21
	v_cmp_gt_i32_e64 s16, 0, v23
	s_delay_alu instid0(VALU_DEP_4) | instskip(SKIP_1) | instid1(VALU_DEP_4)
	v_ashrrev_i32_e32 v22, 31, v22
	v_not_b32_e32 v23, v24
	v_and_b32_e32 v20, v20, v21
	v_lshlrev_b32_e32 v21, 27, v19
	s_delay_alu instid0(VALU_DEP_4) | instskip(SKIP_2) | instid1(VALU_DEP_4)
	v_xor_b32_e32 v22, s16, v22
	v_cmp_gt_i32_e64 s16, 0, v24
	v_ashrrev_i32_e32 v23, 31, v23
	v_not_b32_e32 v24, v21
	s_delay_alu instid0(VALU_DEP_4) | instskip(SKIP_1) | instid1(VALU_DEP_4)
	v_and_b32_e32 v20, v20, v22
	v_lshlrev_b32_e32 v22, 26, v19
	v_xor_b32_e32 v23, s16, v23
	v_cmp_gt_i32_e64 s16, 0, v21
	v_ashrrev_i32_e32 v21, 31, v24
	s_delay_alu instid0(VALU_DEP_4) | instskip(NEXT) | instid1(VALU_DEP_4)
	v_not_b32_e32 v24, v22
	v_and_b32_e32 v20, v20, v23
	v_lshlrev_b32_e32 v23, 25, v19
	s_delay_alu instid0(VALU_DEP_4)
	v_xor_b32_e32 v21, s16, v21
	v_cmp_gt_i32_e64 s16, 0, v22
	v_ashrrev_i32_e32 v22, 31, v24
	v_lshlrev_b32_e32 v19, 24, v19
	v_not_b32_e32 v24, v23
	v_and_b32_e32 v20, v20, v21
	s_delay_alu instid0(VALU_DEP_4) | instskip(SKIP_1) | instid1(VALU_DEP_4)
	v_xor_b32_e32 v21, s16, v22
	v_cmp_gt_i32_e64 s16, 0, v23
	v_ashrrev_i32_e32 v22, 31, v24
	v_not_b32_e32 v23, v19
	s_delay_alu instid0(VALU_DEP_4) | instskip(NEXT) | instid1(VALU_DEP_3)
	v_and_b32_e32 v20, v20, v21
	v_xor_b32_e32 v21, s16, v22
	v_cmp_gt_i32_e64 s16, 0, v19
	s_delay_alu instid0(VALU_DEP_4) | instskip(NEXT) | instid1(VALU_DEP_3)
	v_ashrrev_i32_e32 v19, 31, v23
	v_and_b32_e32 v20, v20, v21
	s_delay_alu instid0(VALU_DEP_2) | instskip(NEXT) | instid1(VALU_DEP_1)
	v_xor_b32_e32 v19, s16, v19
	v_and_b32_e32 v19, v20, v19
	s_delay_alu instid0(VALU_DEP_1) | instskip(SKIP_1) | instid1(VALU_DEP_2)
	v_mbcnt_lo_u32_b32 v231, v19, 0
	v_cmp_ne_u32_e64 s17, 0, v19
	v_cmp_eq_u32_e64 s16, 0, v231
	s_delay_alu instid0(VALU_DEP_1) | instskip(NEXT) | instid1(SALU_CYCLE_1)
	s_and_b32 s17, s17, s16
	s_and_saveexec_b32 s16, s17
	s_cbranch_execz .LBB2056_81
; %bb.80:                               ;   in Loop: Header=BB2056_53 Depth=1
	s_waitcnt vmcnt(0) lgkmcnt(0)
	v_bcnt_u32_b32 v19, v19, v230
	flat_store_b32 v[166:167], v19
.LBB2056_81:                            ;   in Loop: Header=BB2056_53 Depth=1
	s_or_b32 exec_lo, exec_lo, s16
	v_cmp_ne_u16_e64 s16, 0x7fff, v93
	; wave barrier
	s_delay_alu instid0(VALU_DEP_1) | instskip(NEXT) | instid1(VALU_DEP_1)
	v_cndmask_b32_e64 v19, 0xffff8000, v93, s16
	v_and_b32_e32 v19, 0xffff, v19
	s_delay_alu instid0(VALU_DEP_1) | instskip(NEXT) | instid1(VALU_DEP_1)
	v_lshrrev_b32_e32 v19, v10, v19
	v_and_b32_e32 v19, v19, v18
	s_delay_alu instid0(VALU_DEP_1) | instskip(SKIP_3) | instid1(VALU_DEP_4)
	v_lshlrev_b32_e32 v20, 3, v19
	v_lshlrev_b32_e32 v22, 30, v19
	;; [unrolled: 1-line block ×4, first 2 shown]
	v_add_lshl_u32 v20, v20, v75, 2
	s_delay_alu instid0(VALU_DEP_1) | instskip(NEXT) | instid1(VALU_DEP_1)
	v_add_co_u32 v176, s16, v27, v20
	v_add_co_ci_u32_e64 v177, s16, 0, v74, s16
	v_and_b32_e32 v20, 1, v19
	flat_load_b32 v240, v[176:177]
	v_add_co_u32 v20, s16, v20, -1
	s_delay_alu instid0(VALU_DEP_1) | instskip(NEXT) | instid1(VALU_DEP_1)
	v_cndmask_b32_e64 v21, 0, 1, s16
	; wave barrier
	v_cmp_ne_u32_e64 s16, 0, v21
	v_not_b32_e32 v21, v22
	s_delay_alu instid0(VALU_DEP_2) | instskip(SKIP_1) | instid1(VALU_DEP_3)
	v_xor_b32_e32 v20, s16, v20
	v_cmp_gt_i32_e64 s16, 0, v22
	v_ashrrev_i32_e32 v21, 31, v21
	v_not_b32_e32 v22, v23
	s_delay_alu instid0(VALU_DEP_4) | instskip(NEXT) | instid1(VALU_DEP_3)
	v_and_b32_e32 v20, exec_lo, v20
	v_xor_b32_e32 v21, s16, v21
	v_cmp_gt_i32_e64 s16, 0, v23
	s_delay_alu instid0(VALU_DEP_4) | instskip(SKIP_1) | instid1(VALU_DEP_4)
	v_ashrrev_i32_e32 v22, 31, v22
	v_not_b32_e32 v23, v24
	v_and_b32_e32 v20, v20, v21
	v_lshlrev_b32_e32 v21, 27, v19
	s_delay_alu instid0(VALU_DEP_4) | instskip(SKIP_2) | instid1(VALU_DEP_4)
	v_xor_b32_e32 v22, s16, v22
	v_cmp_gt_i32_e64 s16, 0, v24
	v_ashrrev_i32_e32 v23, 31, v23
	v_not_b32_e32 v24, v21
	s_delay_alu instid0(VALU_DEP_4) | instskip(SKIP_1) | instid1(VALU_DEP_4)
	v_and_b32_e32 v20, v20, v22
	v_lshlrev_b32_e32 v22, 26, v19
	v_xor_b32_e32 v23, s16, v23
	v_cmp_gt_i32_e64 s16, 0, v21
	v_ashrrev_i32_e32 v21, 31, v24
	s_delay_alu instid0(VALU_DEP_4) | instskip(NEXT) | instid1(VALU_DEP_4)
	v_not_b32_e32 v24, v22
	v_and_b32_e32 v20, v20, v23
	v_lshlrev_b32_e32 v23, 25, v19
	s_delay_alu instid0(VALU_DEP_4)
	v_xor_b32_e32 v21, s16, v21
	v_cmp_gt_i32_e64 s16, 0, v22
	v_ashrrev_i32_e32 v22, 31, v24
	v_lshlrev_b32_e32 v19, 24, v19
	v_not_b32_e32 v24, v23
	v_and_b32_e32 v20, v20, v21
	s_delay_alu instid0(VALU_DEP_4) | instskip(SKIP_1) | instid1(VALU_DEP_4)
	v_xor_b32_e32 v21, s16, v22
	v_cmp_gt_i32_e64 s16, 0, v23
	v_ashrrev_i32_e32 v22, 31, v24
	v_not_b32_e32 v23, v19
	s_delay_alu instid0(VALU_DEP_4) | instskip(NEXT) | instid1(VALU_DEP_3)
	v_and_b32_e32 v20, v20, v21
	v_xor_b32_e32 v21, s16, v22
	v_cmp_gt_i32_e64 s16, 0, v19
	s_delay_alu instid0(VALU_DEP_4) | instskip(NEXT) | instid1(VALU_DEP_3)
	v_ashrrev_i32_e32 v19, 31, v23
	v_and_b32_e32 v20, v20, v21
	s_delay_alu instid0(VALU_DEP_2) | instskip(NEXT) | instid1(VALU_DEP_1)
	v_xor_b32_e32 v19, s16, v19
	v_and_b32_e32 v19, v20, v19
	s_delay_alu instid0(VALU_DEP_1) | instskip(SKIP_1) | instid1(VALU_DEP_2)
	v_mbcnt_lo_u32_b32 v241, v19, 0
	v_cmp_ne_u32_e64 s17, 0, v19
	v_cmp_eq_u32_e64 s16, 0, v241
	s_delay_alu instid0(VALU_DEP_1) | instskip(NEXT) | instid1(SALU_CYCLE_1)
	s_and_b32 s17, s17, s16
	s_and_saveexec_b32 s16, s17
	s_cbranch_execz .LBB2056_83
; %bb.82:                               ;   in Loop: Header=BB2056_53 Depth=1
	s_waitcnt vmcnt(0) lgkmcnt(0)
	v_bcnt_u32_b32 v19, v19, v240
	flat_store_b32 v[176:177], v19
.LBB2056_83:                            ;   in Loop: Header=BB2056_53 Depth=1
	s_or_b32 exec_lo, exec_lo, s16
	v_cmp_ne_u16_e64 s16, 0x7fff, v92
	; wave barrier
	s_delay_alu instid0(VALU_DEP_1) | instskip(NEXT) | instid1(VALU_DEP_1)
	v_cndmask_b32_e64 v19, 0xffff8000, v92, s16
	v_and_b32_e32 v19, 0xffff, v19
	s_delay_alu instid0(VALU_DEP_1) | instskip(NEXT) | instid1(VALU_DEP_1)
	v_lshrrev_b32_e32 v19, v10, v19
	v_and_b32_e32 v18, v19, v18
	s_delay_alu instid0(VALU_DEP_1) | instskip(SKIP_3) | instid1(VALU_DEP_4)
	v_lshlrev_b32_e32 v19, 3, v18
	v_lshlrev_b32_e32 v21, 30, v18
	;; [unrolled: 1-line block ×4, first 2 shown]
	v_add_lshl_u32 v19, v19, v75, 2
	s_delay_alu instid0(VALU_DEP_1) | instskip(NEXT) | instid1(VALU_DEP_1)
	v_add_co_u32 v178, s16, v27, v19
	v_add_co_ci_u32_e64 v179, s16, 0, v74, s16
	v_and_b32_e32 v19, 1, v18
	flat_load_b32 v242, v[178:179]
	v_add_co_u32 v19, s16, v19, -1
	s_delay_alu instid0(VALU_DEP_1) | instskip(NEXT) | instid1(VALU_DEP_1)
	v_cndmask_b32_e64 v20, 0, 1, s16
	; wave barrier
	v_cmp_ne_u32_e64 s16, 0, v20
	v_not_b32_e32 v20, v21
	s_delay_alu instid0(VALU_DEP_2) | instskip(SKIP_1) | instid1(VALU_DEP_3)
	v_xor_b32_e32 v19, s16, v19
	v_cmp_gt_i32_e64 s16, 0, v21
	v_ashrrev_i32_e32 v20, 31, v20
	v_not_b32_e32 v21, v22
	s_delay_alu instid0(VALU_DEP_4) | instskip(NEXT) | instid1(VALU_DEP_3)
	v_and_b32_e32 v19, exec_lo, v19
	v_xor_b32_e32 v20, s16, v20
	v_cmp_gt_i32_e64 s16, 0, v22
	s_delay_alu instid0(VALU_DEP_4) | instskip(SKIP_1) | instid1(VALU_DEP_4)
	v_ashrrev_i32_e32 v21, 31, v21
	v_not_b32_e32 v22, v23
	v_and_b32_e32 v19, v19, v20
	v_lshlrev_b32_e32 v20, 27, v18
	s_delay_alu instid0(VALU_DEP_4) | instskip(SKIP_2) | instid1(VALU_DEP_4)
	v_xor_b32_e32 v21, s16, v21
	v_cmp_gt_i32_e64 s16, 0, v23
	v_ashrrev_i32_e32 v22, 31, v22
	v_not_b32_e32 v23, v20
	s_delay_alu instid0(VALU_DEP_4) | instskip(SKIP_1) | instid1(VALU_DEP_4)
	v_and_b32_e32 v19, v19, v21
	v_lshlrev_b32_e32 v21, 26, v18
	v_xor_b32_e32 v22, s16, v22
	v_cmp_gt_i32_e64 s16, 0, v20
	v_ashrrev_i32_e32 v20, 31, v23
	s_delay_alu instid0(VALU_DEP_4) | instskip(NEXT) | instid1(VALU_DEP_4)
	v_not_b32_e32 v23, v21
	v_and_b32_e32 v19, v19, v22
	v_lshlrev_b32_e32 v22, 25, v18
	s_delay_alu instid0(VALU_DEP_4)
	v_xor_b32_e32 v20, s16, v20
	v_cmp_gt_i32_e64 s16, 0, v21
	v_ashrrev_i32_e32 v21, 31, v23
	v_lshlrev_b32_e32 v18, 24, v18
	v_not_b32_e32 v23, v22
	v_and_b32_e32 v19, v19, v20
	s_delay_alu instid0(VALU_DEP_4) | instskip(SKIP_1) | instid1(VALU_DEP_4)
	v_xor_b32_e32 v20, s16, v21
	v_cmp_gt_i32_e64 s16, 0, v22
	v_ashrrev_i32_e32 v21, 31, v23
	v_not_b32_e32 v22, v18
	s_delay_alu instid0(VALU_DEP_4) | instskip(NEXT) | instid1(VALU_DEP_3)
	v_and_b32_e32 v19, v19, v20
	v_xor_b32_e32 v20, s16, v21
	v_cmp_gt_i32_e64 s16, 0, v18
	s_delay_alu instid0(VALU_DEP_4) | instskip(NEXT) | instid1(VALU_DEP_3)
	v_ashrrev_i32_e32 v18, 31, v22
	v_and_b32_e32 v19, v19, v20
	s_delay_alu instid0(VALU_DEP_2) | instskip(NEXT) | instid1(VALU_DEP_1)
	v_xor_b32_e32 v18, s16, v18
	v_and_b32_e32 v18, v19, v18
	s_delay_alu instid0(VALU_DEP_1) | instskip(SKIP_1) | instid1(VALU_DEP_2)
	v_mbcnt_lo_u32_b32 v243, v18, 0
	v_cmp_ne_u32_e64 s17, 0, v18
	v_cmp_eq_u32_e64 s16, 0, v243
	s_delay_alu instid0(VALU_DEP_1) | instskip(NEXT) | instid1(SALU_CYCLE_1)
	s_and_b32 s17, s17, s16
	s_and_saveexec_b32 s16, s17
	s_cbranch_execz .LBB2056_85
; %bb.84:                               ;   in Loop: Header=BB2056_53 Depth=1
	s_waitcnt vmcnt(0) lgkmcnt(0)
	v_bcnt_u32_b32 v18, v18, v242
	flat_store_b32 v[178:179], v18
.LBB2056_85:                            ;   in Loop: Header=BB2056_53 Depth=1
	s_or_b32 exec_lo, exec_lo, s16
	; wave barrier
	s_waitcnt vmcnt(0) lgkmcnt(0)
	s_waitcnt_vscnt null, 0x0
	s_barrier
	buffer_gl0_inv
	s_clause 0x1
	flat_load_b128 v[22:25], v[48:49] offset:32
	flat_load_b128 v[18:21], v[66:67] offset:16
	s_waitcnt vmcnt(1) lgkmcnt(1)
	v_add_nc_u32_e32 v181, v23, v22
	s_delay_alu instid0(VALU_DEP_1) | instskip(SKIP_1) | instid1(VALU_DEP_1)
	v_add3_u32 v181, v181, v24, v25
	s_waitcnt vmcnt(0) lgkmcnt(0)
	v_add3_u32 v181, v181, v18, v19
	s_delay_alu instid0(VALU_DEP_1) | instskip(NEXT) | instid1(VALU_DEP_1)
	v_add3_u32 v21, v181, v20, v21
	v_mov_b32_dpp v181, v21 row_shr:1 row_mask:0xf bank_mask:0xf
	s_delay_alu instid0(VALU_DEP_1) | instskip(NEXT) | instid1(VALU_DEP_1)
	v_cndmask_b32_e64 v181, v181, 0, vcc_lo
	v_add_nc_u32_e32 v21, v181, v21
	s_delay_alu instid0(VALU_DEP_1) | instskip(NEXT) | instid1(VALU_DEP_1)
	v_mov_b32_dpp v181, v21 row_shr:2 row_mask:0xf bank_mask:0xf
	v_cndmask_b32_e64 v181, 0, v181, s0
	s_delay_alu instid0(VALU_DEP_1) | instskip(NEXT) | instid1(VALU_DEP_1)
	v_add_nc_u32_e32 v21, v21, v181
	v_mov_b32_dpp v181, v21 row_shr:4 row_mask:0xf bank_mask:0xf
	s_delay_alu instid0(VALU_DEP_1) | instskip(NEXT) | instid1(VALU_DEP_1)
	v_cndmask_b32_e64 v181, 0, v181, s1
	v_add_nc_u32_e32 v21, v21, v181
	s_delay_alu instid0(VALU_DEP_1) | instskip(NEXT) | instid1(VALU_DEP_1)
	v_mov_b32_dpp v181, v21 row_shr:8 row_mask:0xf bank_mask:0xf
	v_cndmask_b32_e64 v181, 0, v181, s2
	s_delay_alu instid0(VALU_DEP_1) | instskip(SKIP_3) | instid1(VALU_DEP_1)
	v_add_nc_u32_e32 v21, v21, v181
	ds_swizzle_b32 v181, v21 offset:swizzle(BROADCAST,32,15)
	s_waitcnt lgkmcnt(0)
	v_cndmask_b32_e64 v181, v181, 0, s3
	v_add_nc_u32_e32 v21, v21, v181
	s_and_saveexec_b32 s16, s4
	s_cbranch_execz .LBB2056_87
; %bb.86:                               ;   in Loop: Header=BB2056_53 Depth=1
	flat_store_b32 v[98:99], v21
.LBB2056_87:                            ;   in Loop: Header=BB2056_53 Depth=1
	s_or_b32 exec_lo, exec_lo, s16
	s_waitcnt lgkmcnt(0)
	s_waitcnt_vscnt null, 0x0
	s_barrier
	buffer_gl0_inv
	s_and_saveexec_b32 s16, s5
	s_cbranch_execz .LBB2056_89
; %bb.88:                               ;   in Loop: Header=BB2056_53 Depth=1
	flat_load_b32 v181, v[100:101]
	s_waitcnt vmcnt(0) lgkmcnt(0)
	v_mov_b32_dpp v182, v181 row_shr:1 row_mask:0xf bank_mask:0xf
	s_delay_alu instid0(VALU_DEP_1) | instskip(NEXT) | instid1(VALU_DEP_1)
	v_cndmask_b32_e64 v182, v182, 0, s11
	v_add_nc_u32_e32 v181, v182, v181
	s_delay_alu instid0(VALU_DEP_1) | instskip(NEXT) | instid1(VALU_DEP_1)
	v_mov_b32_dpp v182, v181 row_shr:2 row_mask:0xf bank_mask:0xf
	v_cndmask_b32_e64 v182, 0, v182, s14
	s_delay_alu instid0(VALU_DEP_1) | instskip(NEXT) | instid1(VALU_DEP_1)
	v_add_nc_u32_e32 v181, v181, v182
	v_mov_b32_dpp v182, v181 row_shr:4 row_mask:0xf bank_mask:0xf
	s_delay_alu instid0(VALU_DEP_1) | instskip(NEXT) | instid1(VALU_DEP_1)
	v_cndmask_b32_e64 v182, 0, v182, s15
	v_add_nc_u32_e32 v181, v181, v182
	flat_store_b32 v[100:101], v181
.LBB2056_89:                            ;   in Loop: Header=BB2056_53 Depth=1
	s_or_b32 exec_lo, exec_lo, s16
	v_mov_b32_e32 v181, 0
	s_waitcnt lgkmcnt(0)
	s_waitcnt_vscnt null, 0x0
	s_barrier
	buffer_gl0_inv
	s_and_saveexec_b32 s16, s6
	s_cbranch_execz .LBB2056_91
; %bb.90:                               ;   in Loop: Header=BB2056_53 Depth=1
	flat_load_b32 v181, v[112:113]
.LBB2056_91:                            ;   in Loop: Header=BB2056_53 Depth=1
	s_or_b32 exec_lo, exec_lo, s16
	s_waitcnt vmcnt(0) lgkmcnt(0)
	v_add_nc_u32_e32 v21, v181, v21
	v_add_nc_u32_e32 v10, 8, v10
	s_mov_b32 s18, -1
                                        ; implicit-def: $vgpr141
                                        ; implicit-def: $vgpr139
                                        ; implicit-def: $vgpr140
                                        ; implicit-def: $vgpr121
                                        ; implicit-def: $vgpr120
                                        ; implicit-def: $vgpr111
                                        ; implicit-def: $vgpr110
                                        ; implicit-def: $vgpr122
                                        ; implicit-def: $vgpr124
                                        ; implicit-def: $vgpr123
                                        ; implicit-def: $vgpr125
                                        ; implicit-def: $vgpr126
                                        ; implicit-def: $vgpr127
                                        ; implicit-def: $vgpr136
                                        ; implicit-def: $vgpr137
                                        ; implicit-def: $vgpr138
	v_mov_b32_e32 v183, v5
	ds_bpermute_b32 v21, v76, v21
	s_waitcnt lgkmcnt(0)
	v_cndmask_b32_e64 v21, v21, v181, s7
	v_mov_b32_e32 v181, v5
	s_delay_alu instid0(VALU_DEP_2) | instskip(NEXT) | instid1(VALU_DEP_1)
	v_cndmask_b32_e64 v21, v21, 0, s10
	v_add_nc_u32_e32 v22, v21, v22
	s_delay_alu instid0(VALU_DEP_1) | instskip(NEXT) | instid1(VALU_DEP_1)
	v_add_nc_u32_e32 v23, v22, v23
	v_add_nc_u32_e32 v24, v23, v24
	s_delay_alu instid0(VALU_DEP_1) | instskip(NEXT) | instid1(VALU_DEP_1)
	v_add_nc_u32_e32 v244, v24, v25
	;; [unrolled: 3-line block ×3, first 2 shown]
	v_add_nc_u32_e32 v247, v246, v20
	s_clause 0x1
	flat_store_b128 v[48:49], v[21:24] offset:32
	flat_store_b128 v[66:67], v[244:247] offset:16
	s_waitcnt lgkmcnt(0)
	s_waitcnt_vscnt null, 0x0
	s_barrier
	buffer_gl0_inv
	s_clause 0xf
	flat_load_b32 v18, v[116:117]
	flat_load_b32 v19, v[118:119]
	;; [unrolled: 1-line block ×16, first 2 shown]
	v_mov_b32_e32 v167, v5
	v_mov_b32_e32 v177, v5
	;; [unrolled: 1-line block ×13, first 2 shown]
	v_cmp_lt_u32_e64 s16, v10, v11
	s_waitcnt vmcnt(0) lgkmcnt(0)
	v_add_nc_u32_e32 v4, v18, v4
	v_add3_u32 v182, v180, v39, v19
	v_add3_u32 v180, v193, v192, v20
	;; [unrolled: 1-line block ×4, first 2 shown]
	v_lshlrev_b64 v[18:19], 1, v[4:5]
	v_lshlrev_b64 v[20:21], 1, v[182:183]
	v_add3_u32 v164, v199, v198, v23
	v_lshlrev_b64 v[22:23], 1, v[180:181]
	v_add3_u32 v162, v209, v208, v24
	v_add3_u32 v160, v211, v210, v25
	;; [unrolled: 1-line block ×3, first 2 shown]
	v_add_co_u32 v226, s17, v12, v18
	s_delay_alu instid0(VALU_DEP_1) | instskip(SKIP_3) | instid1(VALU_DEP_1)
	v_add_co_ci_u32_e64 v227, s17, v13, v19, s17
	v_add3_u32 v132, v229, v228, v130
	v_lshlrev_b64 v[24:25], 1, v[176:177]
	v_add_co_u32 v228, s17, v12, v20
	v_add_co_ci_u32_e64 v229, s17, v13, v21, s17
	v_add3_u32 v150, v213, v212, v116
	v_add3_u32 v148, v215, v214, v117
	;; [unrolled: 1-line block ×3, first 2 shown]
	v_lshlrev_b64 v[116:117], 1, v[166:167]
	v_add_co_u32 v230, s17, v12, v22
	s_delay_alu instid0(VALU_DEP_1) | instskip(SKIP_3) | instid1(VALU_DEP_1)
	v_add_co_ci_u32_e64 v231, s17, v13, v23, s17
	v_add3_u32 v128, v241, v240, v135
	v_lshlrev_b64 v[134:135], 1, v[164:165]
	v_add_co_u32 v240, s17, v12, v24
	v_add_co_ci_u32_e64 v241, s17, v13, v25, s17
	v_add3_u32 v146, v225, v224, v118
	v_add3_u32 v118, v243, v242, v178
	v_lshlrev_b64 v[178:179], 1, v[162:163]
	v_add_co_u32 v242, s17, v12, v116
	s_delay_alu instid0(VALU_DEP_1) | instskip(SKIP_2) | instid1(VALU_DEP_1)
	v_add_co_ci_u32_e64 v243, s17, v13, v117, s17
	v_lshlrev_b64 v[192:193], 1, v[160:161]
	v_add_co_u32 v244, s17, v12, v134
	v_add_co_ci_u32_e64 v245, s17, v13, v135, s17
	v_lshlrev_b64 v[194:195], 1, v[150:151]
	v_add_co_u32 v246, s17, v12, v178
	s_delay_alu instid0(VALU_DEP_1) | instskip(SKIP_2) | instid1(VALU_DEP_1)
	v_add_co_ci_u32_e64 v247, s17, v13, v179, s17
	v_lshlrev_b64 v[196:197], 1, v[148:149]
	v_add_co_u32 v39, s17, v12, v192
	v_add_co_ci_u32_e64 v40, s17, v13, v193, s17
	;; [unrolled: 7-line block ×5, first 2 shown]
	v_add_co_u32 v43, s17, v12, v214
	s_delay_alu instid0(VALU_DEP_1) | instskip(SKIP_1) | instid1(VALU_DEP_1)
	v_add_co_ci_u32_e64 v44, s17, v13, v215, s17
	v_add_co_u32 v56, s17, v12, v224
	v_add_co_ci_u32_e64 v57, s17, v13, v225, s17
                                        ; implicit-def: $vgpr22_vgpr23
                                        ; implicit-def: $vgpr18_vgpr19
                                        ; implicit-def: $vgpr20_vgpr21
                                        ; implicit-def: $vgpr24_vgpr25
                                        ; implicit-def: $vgpr116_vgpr117
                                        ; implicit-def: $vgpr134_vgpr135
                                        ; implicit-def: $vgpr178_vgpr179
                                        ; implicit-def: $vgpr192_vgpr193
                                        ; implicit-def: $vgpr194_vgpr195
                                        ; implicit-def: $vgpr196_vgpr197
                                        ; implicit-def: $vgpr198_vgpr199
                                        ; implicit-def: $vgpr208_vgpr209
                                        ; implicit-def: $vgpr210_vgpr211
                                        ; implicit-def: $vgpr212_vgpr213
                                        ; implicit-def: $vgpr214_vgpr215
                                        ; implicit-def: $vgpr224_vgpr225
	s_and_saveexec_b32 s17, s16
	s_cbranch_execz .LBB2056_52
; %bb.92:                               ;   in Loop: Header=BB2056_53 Depth=1
	v_mad_u64_u32 v[18:19], null, v4, 6, v[226:227]
	v_mad_u64_u32 v[20:21], null, v182, 6, v[228:229]
	;; [unrolled: 1-line block ×8, first 2 shown]
	s_barrier
	buffer_gl0_inv
	s_clause 0xf
	flat_store_b16 v[226:227], v78
	flat_store_b16 v[228:229], v79
	;; [unrolled: 1-line block ×16, first 2 shown]
	s_waitcnt lgkmcnt(0)
	s_waitcnt_vscnt null, 0x0
	s_barrier
	buffer_gl0_inv
	s_clause 0xf
	flat_load_u16 v141, v[102:103]
	flat_load_u16 v139, v[102:103] offset:64
	flat_load_u16 v140, v[102:103] offset:128
	;; [unrolled: 1-line block ×15, first 2 shown]
	s_waitcnt vmcnt(0) lgkmcnt(0)
	s_barrier
	buffer_gl0_inv
	s_clause 0x7
	flat_store_b64 v[18:19], v[82:83]
	flat_store_b64 v[20:21], v[96:97]
	;; [unrolled: 1-line block ×8, first 2 shown]
	v_mad_u64_u32 v[18:19], null, v150, 6, v[41:42]
	v_mad_u64_u32 v[20:21], null, v148, 6, v[45:46]
	;; [unrolled: 1-line block ×8, first 2 shown]
	s_clause 0x7
	flat_store_b64 v[18:19], v[54:55]
	flat_store_b64 v[20:21], v[52:53]
	;; [unrolled: 1-line block ×8, first 2 shown]
	s_waitcnt lgkmcnt(0)
	s_waitcnt_vscnt null, 0x0
	s_barrier
	buffer_gl0_inv
	s_clause 0xf
	flat_load_b64 v[22:23], v[114:115]
	flat_load_b64 v[18:19], v[114:115] offset:256
	flat_load_b64 v[20:21], v[114:115] offset:512
	;; [unrolled: 1-line block ×15, first 2 shown]
	v_add_nc_u32_e32 v77, -8, v77
	s_xor_b32 s18, exec_lo, -1
	s_waitcnt vmcnt(0) lgkmcnt(0)
	s_barrier
	buffer_gl0_inv
	s_branch .LBB2056_52
.LBB2056_93:
	s_or_b32 exec_lo, exec_lo, s20
	v_or_b32_e32 v22, 0x800, v34
	v_dual_mov_b32 v27, 0 :: v_dual_lshlrev_b32 v10, 1, v34
	v_or_b32_e32 v24, 0xc00, v34
	v_lshlrev_b64 v[4:5], 3, v[4:5]
	s_delay_alu instid0(VALU_DEP_4) | instskip(NEXT) | instid1(VALU_DEP_4)
	v_lshlrev_b32_e32 v14, 1, v22
	v_add_co_u32 v10, vcc_lo, v12, v10
	v_add_co_ci_u32_e32 v11, vcc_lo, 0, v13, vcc_lo
	s_delay_alu instid0(VALU_DEP_3) | instskip(SKIP_4) | instid1(VALU_DEP_4)
	v_add_co_u32 v14, vcc_lo, v12, v14
	v_lshlrev_b32_e32 v18, 1, v24
	v_add_co_ci_u32_e32 v15, vcc_lo, 0, v13, vcc_lo
	v_add_co_u32 v16, vcc_lo, 0x1000, v10
	v_add_co_ci_u32_e32 v17, vcc_lo, 0, v11, vcc_lo
	v_add_co_u32 v18, vcc_lo, v12, v18
	v_add_co_ci_u32_e32 v19, vcc_lo, 0, v13, vcc_lo
	s_barrier
	buffer_gl0_inv
	s_clause 0xf
	flat_store_b16 v[226:227], v78
	flat_store_b16 v[228:229], v79
	;; [unrolled: 1-line block ×16, first 2 shown]
	s_waitcnt lgkmcnt(0)
	s_waitcnt_vscnt null, 0x0
	s_barrier
	buffer_gl0_inv
	s_clause 0xd
	flat_load_u16 v135, v[10:11]
	flat_load_u16 v134, v[10:11] offset:512
	flat_load_u16 v117, v[10:11] offset:1024
	flat_load_u16 v116, v[10:11] offset:1536
	flat_load_u16 v115, v[10:11] offset:2048
	flat_load_u16 v114, v[10:11] offset:2560
	flat_load_u16 v113, v[10:11] offset:3072
	flat_load_u16 v103, v[10:11] offset:3584
	flat_load_u16 v112, v[14:15]
	flat_load_u16 v102, v[16:17] offset:512
	flat_load_u16 v101, v[16:17] offset:1024
	;; [unrolled: 1-line block ×5, first 2 shown]
	v_add_co_u32 v10, vcc_lo, 0x1e00, v10
	v_lshlrev_b64 v[14:15], 3, v[182:183]
	v_add_co_ci_u32_e32 v11, vcc_lo, 0, v11, vcc_lo
	s_clause 0x1
	flat_load_u16 v99, v[18:19]
	flat_load_u16 v66, v[16:17] offset:3584
	v_add_co_u32 v4, vcc_lo, v12, v4
	v_lshlrev_b64 v[16:17], 3, v[180:181]
	v_add_co_ci_u32_e32 v5, vcc_lo, v13, v5, vcc_lo
	v_add_co_u32 v14, vcc_lo, v12, v14
	v_add_co_ci_u32_e32 v15, vcc_lo, v13, v15, vcc_lo
	s_delay_alu instid0(VALU_DEP_4)
	v_add_co_u32 v16, vcc_lo, v12, v16
	v_add_co_ci_u32_e32 v17, vcc_lo, v13, v17, vcc_lo
	v_lshlrev_b64 v[18:19], 3, v[176:177]
	s_waitcnt vmcnt(0) lgkmcnt(0)
	s_barrier
	buffer_gl0_inv
	s_clause 0x2
	flat_store_b64 v[4:5], v[82:83]
	flat_store_b64 v[14:15], v[96:97]
	;; [unrolled: 1-line block ×3, first 2 shown]
	v_lshlrev_b64 v[4:5], 3, v[166:167]
	v_add_co_u32 v14, vcc_lo, v12, v18
	v_lshlrev_b64 v[16:17], 3, v[164:165]
	v_add_co_ci_u32_e32 v15, vcc_lo, v13, v19, vcc_lo
	s_delay_alu instid0(VALU_DEP_4) | instskip(SKIP_4) | instid1(VALU_DEP_4)
	v_add_co_u32 v4, vcc_lo, v12, v4
	v_lshlrev_b64 v[18:19], 3, v[162:163]
	v_add_co_ci_u32_e32 v5, vcc_lo, v13, v5, vcc_lo
	v_add_co_u32 v16, vcc_lo, v12, v16
	v_add_co_ci_u32_e32 v17, vcc_lo, v13, v17, vcc_lo
	v_add_co_u32 v18, vcc_lo, v12, v18
	v_add_co_ci_u32_e32 v19, vcc_lo, v13, v19, vcc_lo
	flat_store_b64 v[14:15], v[84:85]
	v_lshlrev_b64 v[14:15], 3, v[160:161]
	s_clause 0x2
	flat_store_b64 v[4:5], v[80:81]
	flat_store_b64 v[16:17], v[70:71]
	;; [unrolled: 1-line block ×3, first 2 shown]
	v_lshlrev_b64 v[4:5], 3, v[150:151]
	v_lshlrev_b64 v[16:17], 3, v[148:149]
	;; [unrolled: 1-line block ×4, first 2 shown]
	v_add_co_u32 v14, vcc_lo, v12, v14
	v_add_co_ci_u32_e32 v15, vcc_lo, v13, v15, vcc_lo
	v_add_co_u32 v4, vcc_lo, v12, v4
	v_add_co_ci_u32_e32 v5, vcc_lo, v13, v5, vcc_lo
	;; [unrolled: 2-line block ×4, first 2 shown]
	flat_store_b64 v[14:15], v[64:65]
	v_lshlrev_b64 v[14:15], 3, v[144:145]
	s_clause 0x2
	flat_store_b64 v[4:5], v[54:55]
	flat_store_b64 v[16:17], v[52:53]
	;; [unrolled: 1-line block ×3, first 2 shown]
	v_lshlrev_b64 v[4:5], 3, v[132:133]
	v_lshlrev_b64 v[16:17], 3, v[130:131]
	;; [unrolled: 1-line block ×3, first 2 shown]
	v_add_nc_u32_e32 v25, 0xf00, v34
	v_add_co_u32 v14, vcc_lo, v12, v14
	v_add_co_ci_u32_e32 v15, vcc_lo, v13, v15, vcc_lo
	v_add_co_u32 v4, vcc_lo, v12, v4
	v_add_co_ci_u32_e32 v5, vcc_lo, v13, v5, vcc_lo
	;; [unrolled: 2-line block ×5, first 2 shown]
	s_clause 0x4
	flat_store_b64 v[14:15], v[35:36]
	flat_store_b64 v[4:5], v[32:33]
	flat_store_b64 v[16:17], v[30:31]
	flat_store_b64 v[18:19], v[8:9]
	flat_store_b64 v[20:21], v[37:38]
	v_lshlrev_b32_e32 v4, 3, v34
	v_lshl_or_b32 v14, v34, 3, 0x2000
	s_waitcnt lgkmcnt(0)
	s_waitcnt_vscnt null, 0x0
	s_barrier
	buffer_gl0_inv
	v_add_co_u32 v4, vcc_lo, v12, v4
	v_add_co_ci_u32_e32 v5, vcc_lo, 0, v13, vcc_lo
	v_mad_u64_u32 v[54:55], null, v25, 6, v[10:11]
	s_delay_alu instid0(VALU_DEP_3) | instskip(NEXT) | instid1(VALU_DEP_3)
	v_add_co_u32 v8, vcc_lo, 0x1000, v4
	v_add_co_ci_u32_e32 v9, vcc_lo, 0, v5, vcc_lo
	v_add_co_u32 v14, vcc_lo, v12, v14
	v_add_co_ci_u32_e32 v15, vcc_lo, 0, v13, vcc_lo
	v_add_co_u32 v16, vcc_lo, 0x2000, v4
	s_clause 0x3
	flat_load_b64 v[48:49], v[4:5]
	flat_load_b64 v[38:39], v[4:5] offset:2048
	flat_load_b64 v[36:37], v[8:9]
	flat_load_b64 v[34:35], v[8:9] offset:2048
	v_lshlrev_b32_e32 v8, 3, v22
	v_add_co_ci_u32_e32 v17, vcc_lo, 0, v5, vcc_lo
	v_add_co_u32 v18, vcc_lo, 0x3000, v4
	v_add_co_ci_u32_e32 v19, vcc_lo, 0, v5, vcc_lo
	s_delay_alu instid0(VALU_DEP_4)
	v_add_co_u32 v8, vcc_lo, v12, v8
	v_add_co_ci_u32_e32 v9, vcc_lo, 0, v13, vcc_lo
	s_clause 0x3
	flat_load_b64 v[32:33], v[14:15]
	flat_load_b64 v[30:31], v[16:17] offset:2048
	flat_load_b64 v[22:23], v[18:19]
	flat_load_b64 v[18:19], v[18:19] offset:2048
	v_add_co_u32 v14, vcc_lo, 0x4000, v4
	v_lshlrev_b32_e32 v16, 3, v24
	v_add_co_ci_u32_e32 v15, vcc_lo, 0, v5, vcc_lo
	v_add_co_u32 v50, vcc_lo, 0x5000, v4
	v_add_co_ci_u32_e32 v51, vcc_lo, 0, v5, vcc_lo
	s_delay_alu instid0(VALU_DEP_4)
	v_add_co_u32 v12, vcc_lo, v12, v16
	v_add_co_ci_u32_e32 v13, vcc_lo, 0, v13, vcc_lo
	v_add_co_u32 v52, vcc_lo, 0x6000, v4
	v_add_co_ci_u32_e32 v53, vcc_lo, 0, v5, vcc_lo
	;; [unrolled: 2-line block ×3, first 2 shown]
	s_clause 0x7
	flat_load_b64 v[24:25], v[8:9]
	flat_load_b64 v[20:21], v[14:15] offset:2048
	flat_load_b64 v[16:17], v[50:51]
	flat_load_b64 v[14:15], v[50:51] offset:2048
	;; [unrolled: 2-line block ×3, first 2 shown]
	flat_load_b64 v[8:9], v[4:5]
	flat_load_b64 v[4:5], v[54:55]
	v_lshlrev_b64 v[50:51], 1, v[26:27]
	v_add_co_u32 v2, vcc_lo, v2, v28
	v_add_co_ci_u32_e32 v3, vcc_lo, v3, v29, vcc_lo
	s_waitcnt vmcnt(0) lgkmcnt(0)
	s_delay_alu instid0(VALU_DEP_2) | instskip(NEXT) | instid1(VALU_DEP_2)
	v_add_co_u32 v2, vcc_lo, v2, v50
	v_add_co_ci_u32_e32 v3, vcc_lo, v3, v51, vcc_lo
	v_cmp_lt_u32_e32 vcc_lo, v26, v47
	s_barrier
	buffer_gl0_inv
	s_and_saveexec_b32 s1, vcc_lo
	s_cbranch_execz .LBB2056_95
; %bb.94:
	v_cmp_lt_i16_e64 s0, -1, v135
	s_delay_alu instid0(VALU_DEP_1) | instskip(NEXT) | instid1(VALU_DEP_1)
	v_cndmask_b32_e64 v28, 0xffff8000, -1, s0
	v_xor_b32_e32 v28, v28, v135
	flat_store_b16 v[2:3], v28
.LBB2056_95:
	s_or_b32 exec_lo, exec_lo, s1
	v_add_nc_u32_e32 v28, 0x100, v26
	s_delay_alu instid0(VALU_DEP_1) | instskip(NEXT) | instid1(VALU_DEP_1)
	v_cmp_lt_u32_e64 s0, v28, v47
	s_and_saveexec_b32 s2, s0
	s_cbranch_execz .LBB2056_97
; %bb.96:
	v_cmp_lt_i16_e64 s1, -1, v134
	s_delay_alu instid0(VALU_DEP_1) | instskip(NEXT) | instid1(VALU_DEP_1)
	v_cndmask_b32_e64 v28, 0xffff8000, -1, s1
	v_xor_b32_e32 v28, v28, v134
	flat_store_b16 v[2:3], v28 offset:512
.LBB2056_97:
	s_or_b32 exec_lo, exec_lo, s2
	v_add_nc_u32_e32 v28, 0x200, v26
	s_delay_alu instid0(VALU_DEP_1) | instskip(NEXT) | instid1(VALU_DEP_1)
	v_cmp_lt_u32_e64 s1, v28, v47
	s_and_saveexec_b32 s3, s1
	s_cbranch_execz .LBB2056_99
; %bb.98:
	v_cmp_lt_i16_e64 s2, -1, v117
	s_delay_alu instid0(VALU_DEP_1) | instskip(NEXT) | instid1(VALU_DEP_1)
	v_cndmask_b32_e64 v28, 0xffff8000, -1, s2
	v_xor_b32_e32 v28, v28, v117
	flat_store_b16 v[2:3], v28 offset:1024
.LBB2056_99:
	;; [unrolled: 13-line block ×7, first 2 shown]
	s_or_b32 exec_lo, exec_lo, s10
	v_add_nc_u32_e32 v28, 0x800, v26
	s_delay_alu instid0(VALU_DEP_1) | instskip(NEXT) | instid1(VALU_DEP_1)
	v_cmp_lt_u32_e64 s7, v28, v47
	s_and_saveexec_b32 s11, s7
	s_cbranch_execz .LBB2056_111
; %bb.110:
	v_cmp_lt_i16_e64 s10, -1, v112
	s_delay_alu instid0(VALU_DEP_1) | instskip(NEXT) | instid1(VALU_DEP_1)
	v_cndmask_b32_e64 v28, 0xffff8000, -1, s10
	v_xor_b32_e32 v50, v28, v112
	v_add_co_u32 v28, s10, 0x1000, v2
	s_delay_alu instid0(VALU_DEP_1)
	v_add_co_ci_u32_e64 v29, s10, 0, v3, s10
	flat_store_b16 v[28:29], v50
.LBB2056_111:
	s_or_b32 exec_lo, exec_lo, s11
	v_add_nc_u32_e32 v28, 0x900, v26
	s_delay_alu instid0(VALU_DEP_1) | instskip(NEXT) | instid1(VALU_DEP_1)
	v_cmp_lt_u32_e64 s10, v28, v47
	s_and_saveexec_b32 s14, s10
	s_cbranch_execz .LBB2056_113
; %bb.112:
	v_cmp_lt_i16_e64 s11, -1, v102
	s_delay_alu instid0(VALU_DEP_1) | instskip(NEXT) | instid1(VALU_DEP_1)
	v_cndmask_b32_e64 v28, 0xffff8000, -1, s11
	v_xor_b32_e32 v50, v28, v102
	v_add_co_u32 v28, s11, 0x1000, v2
	s_delay_alu instid0(VALU_DEP_1)
	v_add_co_ci_u32_e64 v29, s11, 0, v3, s11
	flat_store_b16 v[28:29], v50 offset:512
.LBB2056_113:
	s_or_b32 exec_lo, exec_lo, s14
	v_add_nc_u32_e32 v28, 0xa00, v26
	s_delay_alu instid0(VALU_DEP_1) | instskip(NEXT) | instid1(VALU_DEP_1)
	v_cmp_lt_u32_e64 s11, v28, v47
	s_and_saveexec_b32 s15, s11
	s_cbranch_execz .LBB2056_115
; %bb.114:
	v_cmp_lt_i16_e64 s14, -1, v101
	s_delay_alu instid0(VALU_DEP_1) | instskip(NEXT) | instid1(VALU_DEP_1)
	v_cndmask_b32_e64 v28, 0xffff8000, -1, s14
	v_xor_b32_e32 v50, v28, v101
	v_add_co_u32 v28, s14, 0x1000, v2
	s_delay_alu instid0(VALU_DEP_1)
	v_add_co_ci_u32_e64 v29, s14, 0, v3, s14
	flat_store_b16 v[28:29], v50 offset:1024
.LBB2056_115:
	;; [unrolled: 16-line block ×6, first 2 shown]
	s_or_b32 exec_lo, exec_lo, s19
	v_add_nc_u32_e32 v28, 0xf00, v26
	s_delay_alu instid0(VALU_DEP_1) | instskip(NEXT) | instid1(VALU_DEP_1)
	v_cmp_lt_u32_e64 s18, v28, v47
	s_and_saveexec_b32 s20, s18
	s_cbranch_execz .LBB2056_125
; %bb.124:
	v_cmp_lt_i16_e64 s19, -1, v66
	s_delay_alu instid0(VALU_DEP_1) | instskip(SKIP_1) | instid1(VALU_DEP_1)
	v_cndmask_b32_e64 v28, 0xffff8000, -1, s19
	v_add_co_u32 v2, s19, 0x1000, v2
	v_add_co_ci_u32_e64 v3, s19, 0, v3, s19
	s_delay_alu instid0(VALU_DEP_3)
	v_xor_b32_e32 v28, v28, v66
	flat_store_b16 v[2:3], v28 offset:3584
.LBB2056_125:
	s_or_b32 exec_lo, exec_lo, s20
	v_lshlrev_b64 v[2:3], 3, v[26:27]
	v_add_co_u32 v0, s19, v6, v0
	s_delay_alu instid0(VALU_DEP_1) | instskip(NEXT) | instid1(VALU_DEP_2)
	v_add_co_ci_u32_e64 v1, s19, v7, v1, s19
	v_add_co_u32 v0, s19, v0, v2
	s_delay_alu instid0(VALU_DEP_1)
	v_add_co_ci_u32_e64 v1, s19, v1, v3, s19
	s_and_saveexec_b32 s19, vcc_lo
	s_cbranch_execnz .LBB2056_211
; %bb.126:
	s_or_b32 exec_lo, exec_lo, s19
	s_and_saveexec_b32 s19, s0
	s_cbranch_execnz .LBB2056_212
.LBB2056_127:
	s_or_b32 exec_lo, exec_lo, s19
	s_and_saveexec_b32 s0, s1
	s_cbranch_execnz .LBB2056_213
.LBB2056_128:
	s_or_b32 exec_lo, exec_lo, s0
	s_and_saveexec_b32 s0, s2
	s_cbranch_execnz .LBB2056_214
.LBB2056_129:
	s_or_b32 exec_lo, exec_lo, s0
	s_and_saveexec_b32 s0, s3
	s_cbranch_execnz .LBB2056_215
.LBB2056_130:
	s_or_b32 exec_lo, exec_lo, s0
	s_and_saveexec_b32 s0, s4
	s_cbranch_execnz .LBB2056_216
.LBB2056_131:
	s_or_b32 exec_lo, exec_lo, s0
	s_and_saveexec_b32 s0, s5
	s_cbranch_execnz .LBB2056_217
.LBB2056_132:
	s_or_b32 exec_lo, exec_lo, s0
	s_and_saveexec_b32 s0, s6
	s_cbranch_execnz .LBB2056_218
.LBB2056_133:
	s_or_b32 exec_lo, exec_lo, s0
	s_and_saveexec_b32 s0, s7
	s_cbranch_execnz .LBB2056_219
.LBB2056_134:
	s_or_b32 exec_lo, exec_lo, s0
	s_and_saveexec_b32 s0, s10
	s_cbranch_execnz .LBB2056_220
.LBB2056_135:
	s_or_b32 exec_lo, exec_lo, s0
	s_and_saveexec_b32 s0, s11
	s_cbranch_execnz .LBB2056_221
.LBB2056_136:
	s_or_b32 exec_lo, exec_lo, s0
	s_and_saveexec_b32 s0, s14
	s_cbranch_execnz .LBB2056_222
.LBB2056_137:
	s_or_b32 exec_lo, exec_lo, s0
	s_and_saveexec_b32 s0, s15
	s_cbranch_execnz .LBB2056_223
.LBB2056_138:
	s_or_b32 exec_lo, exec_lo, s0
	s_and_saveexec_b32 s0, s16
	s_cbranch_execnz .LBB2056_224
.LBB2056_139:
	s_or_b32 exec_lo, exec_lo, s0
	s_and_saveexec_b32 s0, s17
	s_cbranch_execnz .LBB2056_225
.LBB2056_140:
	s_or_b32 exec_lo, exec_lo, s0
	s_and_saveexec_b32 s0, s18
	s_cbranch_execz .LBB2056_142
.LBB2056_141:
	v_add_co_u32 v0, vcc_lo, 0x7000, v0
	v_add_co_ci_u32_e32 v1, vcc_lo, 0, v1, vcc_lo
	flat_store_b64 v[0:1], v[4:5] offset:2048
.LBB2056_142:
	s_or_b32 exec_lo, exec_lo, s0
                                        ; implicit-def: $vgpr47
                                        ; implicit-def: $vgpr0
                                        ; implicit-def: $vgpr1
                                        ; implicit-def: $vgpr2
                                        ; implicit-def: $vgpr3
                                        ; implicit-def: $vgpr4
                                        ; implicit-def: $vgpr5
                                        ; implicit-def: $vgpr6
                                        ; implicit-def: $vgpr7
                                        ; implicit-def: $vgpr8
                                        ; implicit-def: $vgpr10
                                        ; implicit-def: $vgpr11
                                        ; implicit-def: $vgpr12
                                        ; implicit-def: $vgpr13
                                        ; implicit-def: $vgpr14
                                        ; implicit-def: $vgpr15
                                        ; implicit-def: $vgpr34
                                        ; implicit-def: $vgpr16
.LBB2056_143:
	s_and_not1_saveexec_b32 s0, s25
	s_cbranch_execz .LBB2056_372
; %bb.144:
	s_mov_b32 s0, exec_lo
	v_cmpx_lt_u32_e32 0x400, v47
	s_xor_b32 s19, exec_lo, s0
	s_cbranch_execz .LBB2056_252
; %bb.145:
	s_load_b64 s[0:1], s[8:9], 0x0
	v_mov_b32_e32 v9, 0
	v_lshlrev_b32_e32 v19, 1, v16
	s_waitcnt lgkmcnt(0)
	s_cmp_lt_u32 s13, s1
	s_cselect_b32 s1, 14, 20
	s_delay_alu instid0(SALU_CYCLE_1) | instskip(SKIP_4) | instid1(SALU_CYCLE_1)
	s_add_u32 s2, s8, s1
	s_addc_u32 s3, s9, 0
	s_cmp_lt_u32 s12, s0
	global_load_u16 v17, v9, s[2:3]
	s_cselect_b32 s0, 12, 18
	s_add_u32 s0, s8, s0
	s_addc_u32 s1, s9, 0
	global_load_u16 v18, v9, s[0:1]
	s_waitcnt vmcnt(1)
	v_mad_u32_u24 v14, v15, v17, v14
	v_mov_b32_e32 v17, 0x7fff
	s_waitcnt vmcnt(0)
	s_delay_alu instid0(VALU_DEP_2) | instskip(NEXT) | instid1(VALU_DEP_1)
	v_mad_u64_u32 v[26:27], null, v14, v18, v[34:35]
	v_dual_mov_b32 v27, 0x7fff :: v_dual_lshlrev_b32 v14, 3, v26
	v_lshlrev_b64 v[28:29], 1, v[8:9]
	s_delay_alu instid0(VALU_DEP_2) | instskip(NEXT) | instid1(VALU_DEP_2)
	v_dual_mov_b32 v15, v9 :: v_dual_and_b32 v14, 0xffffff00, v14
	v_add_co_u32 v20, vcc_lo, v0, v28
	s_delay_alu instid0(VALU_DEP_3) | instskip(NEXT) | instid1(VALU_DEP_3)
	v_add_co_ci_u32_e32 v21, vcc_lo, v1, v29, vcc_lo
	v_lshlrev_b64 v[0:1], 1, v[14:15]
	s_delay_alu instid0(VALU_DEP_3) | instskip(SKIP_1) | instid1(VALU_DEP_4)
	v_add_co_u32 v19, vcc_lo, v20, v19
	v_or_b32_e32 v18, v14, v16
	v_add_co_ci_u32_e32 v20, vcc_lo, 0, v21, vcc_lo
	s_delay_alu instid0(VALU_DEP_3) | instskip(NEXT) | instid1(VALU_DEP_3)
	v_add_co_u32 v0, s0, v19, v0
	v_cmp_lt_u32_e32 vcc_lo, v18, v47
	s_delay_alu instid0(VALU_DEP_3)
	v_add_co_ci_u32_e64 v1, s0, v20, v1, s0
	s_and_saveexec_b32 s0, vcc_lo
	s_cbranch_execz .LBB2056_147
; %bb.146:
	flat_load_u16 v27, v[0:1]
.LBB2056_147:
	s_or_b32 exec_lo, exec_lo, s0
	v_or_b32_e32 v19, 32, v18
	s_delay_alu instid0(VALU_DEP_1) | instskip(NEXT) | instid1(VALU_DEP_1)
	v_cmp_lt_u32_e64 s0, v19, v47
	s_and_saveexec_b32 s1, s0
	s_cbranch_execz .LBB2056_149
; %bb.148:
	flat_load_u16 v17, v[0:1] offset:64
.LBB2056_149:
	s_or_b32 exec_lo, exec_lo, s1
	v_or_b32_e32 v19, 64, v18
	v_dual_mov_b32 v30, 0x7fff :: v_dual_mov_b32 v31, 0x7fff
	s_delay_alu instid0(VALU_DEP_2) | instskip(NEXT) | instid1(VALU_DEP_1)
	v_cmp_lt_u32_e64 s1, v19, v47
	s_and_saveexec_b32 s2, s1
	s_cbranch_execz .LBB2056_151
; %bb.150:
	flat_load_u16 v31, v[0:1] offset:128
.LBB2056_151:
	s_or_b32 exec_lo, exec_lo, s2
	v_or_b32_e32 v19, 0x60, v18
	s_delay_alu instid0(VALU_DEP_1) | instskip(NEXT) | instid1(VALU_DEP_1)
	v_cmp_lt_u32_e64 s2, v19, v47
	s_and_saveexec_b32 s3, s2
	s_cbranch_execz .LBB2056_153
; %bb.152:
	flat_load_u16 v30, v[0:1] offset:192
.LBB2056_153:
	s_or_b32 exec_lo, exec_lo, s3
	v_or_b32_e32 v19, 0x80, v18
	v_dual_mov_b32 v32, 0x7fff :: v_dual_mov_b32 v33, 0x7fff
	s_delay_alu instid0(VALU_DEP_2) | instskip(NEXT) | instid1(VALU_DEP_1)
	v_cmp_lt_u32_e64 s3, v19, v47
	s_and_saveexec_b32 s4, s3
	s_cbranch_execz .LBB2056_155
; %bb.154:
	flat_load_u16 v33, v[0:1] offset:256
.LBB2056_155:
	;; [unrolled: 19-line block ×3, first 2 shown]
	s_or_b32 exec_lo, exec_lo, s6
	v_or_b32_e32 v18, 0xe0, v18
	s_delay_alu instid0(VALU_DEP_1) | instskip(NEXT) | instid1(VALU_DEP_1)
	v_cmp_lt_u32_e64 s6, v18, v47
	s_and_saveexec_b32 s7, s6
	s_cbranch_execz .LBB2056_161
; %bb.160:
	flat_load_u16 v35, v[0:1] offset:448
.LBB2056_161:
	s_or_b32 exec_lo, exec_lo, s7
	v_lshlrev_b64 v[0:1], 3, v[8:9]
	v_lshlrev_b32_e32 v8, 3, v16
                                        ; implicit-def: $vgpr20_vgpr21
	s_delay_alu instid0(VALU_DEP_2) | instskip(NEXT) | instid1(VALU_DEP_1)
	v_add_co_u32 v9, s7, v4, v0
	v_add_co_ci_u32_e64 v18, s7, v5, v1, s7
	v_lshlrev_b64 v[4:5], 3, v[14:15]
	s_delay_alu instid0(VALU_DEP_3) | instskip(NEXT) | instid1(VALU_DEP_1)
	v_add_co_u32 v8, s7, v9, v8
	v_add_co_ci_u32_e64 v9, s7, 0, v18, s7
	s_delay_alu instid0(VALU_DEP_2) | instskip(NEXT) | instid1(VALU_DEP_1)
	v_add_co_u32 v4, s7, v8, v4
	v_add_co_ci_u32_e64 v5, s7, v9, v5, s7
	s_and_saveexec_b32 s7, vcc_lo
	s_cbranch_execnz .LBB2056_285
; %bb.162:
	s_or_b32 exec_lo, exec_lo, s7
                                        ; implicit-def: $vgpr24_vgpr25
	s_and_saveexec_b32 s7, s0
	s_cbranch_execnz .LBB2056_286
.LBB2056_163:
	s_or_b32 exec_lo, exec_lo, s7
                                        ; implicit-def: $vgpr84_vgpr85
	s_and_saveexec_b32 s0, s1
	s_cbranch_execnz .LBB2056_287
.LBB2056_164:
	s_or_b32 exec_lo, exec_lo, s0
                                        ; implicit-def: $vgpr86_vgpr87
	s_and_saveexec_b32 s0, s2
	s_cbranch_execnz .LBB2056_288
.LBB2056_165:
	s_or_b32 exec_lo, exec_lo, s0
                                        ; implicit-def: $vgpr96_vgpr97
	s_and_saveexec_b32 s0, s3
	s_cbranch_execnz .LBB2056_289
.LBB2056_166:
	s_or_b32 exec_lo, exec_lo, s0
                                        ; implicit-def: $vgpr98_vgpr99
	s_and_saveexec_b32 s0, s4
	s_cbranch_execnz .LBB2056_290
.LBB2056_167:
	s_or_b32 exec_lo, exec_lo, s0
                                        ; implicit-def: $vgpr18_vgpr19
	s_and_saveexec_b32 s0, s5
	s_cbranch_execnz .LBB2056_291
.LBB2056_168:
	s_or_b32 exec_lo, exec_lo, s0
                                        ; implicit-def: $vgpr22_vgpr23
	s_and_saveexec_b32 s0, s6
	s_cbranch_execz .LBB2056_170
.LBB2056_169:
	flat_load_b64 v[22:23], v[4:5] offset:1792
.LBB2056_170:
	s_or_b32 exec_lo, exec_lo, s0
	s_waitcnt vmcnt(0) lgkmcnt(0)
	v_cmp_lt_i16_e32 vcc_lo, -1, v27
	s_mov_b32 s20, 0
	s_getpc_b64 s[0:1]
	s_add_u32 s0, s0, _ZN7rocprim17ROCPRIM_400000_NS16block_radix_sortI12hip_bfloat16Lj256ELj8ElLj1ELj1ELj8ELNS0_26block_radix_rank_algorithmE2ELNS0_18block_padding_hintE2ELNS0_4arch9wavefront6targetE0EE19radix_bits_per_passE@rel32@lo+4
	s_addc_u32 s1, s1, _ZN7rocprim17ROCPRIM_400000_NS16block_radix_sortI12hip_bfloat16Lj256ELj8ElLj1ELj1ELj8ELNS0_26block_radix_rank_algorithmE2ELNS0_18block_padding_hintE2ELNS0_4arch9wavefront6targetE0EE19radix_bits_per_passE@rel32@hi+12
	s_mov_b32 s21, s20
	s_mov_b32 s22, s20
	v_cndmask_b32_e64 v4, -1, 0xffff8000, vcc_lo
	v_cmp_lt_i16_e32 vcc_lo, -1, v17
	s_mov_b32 s23, s20
	v_and_b32_e32 v15, 15, v16
	v_lshlrev_b32_e32 v14, 3, v34
	v_xor_b32_e32 v181, v4, v27
	v_cndmask_b32_e64 v5, -1, 0xffff8000, vcc_lo
	v_cmp_lt_i16_e32 vcc_lo, -1, v31
	s_load_b32 s25, s[0:1], 0x0
	v_cmp_lt_u32_e64 s0, 1, v15
	v_cmp_lt_u32_e64 s1, 3, v15
	v_xor_b32_e32 v101, v5, v17
	v_cndmask_b32_e64 v8, -1, 0xffff8000, vcc_lo
	v_cmp_lt_i16_e32 vcc_lo, -1, v30
	v_and_b32_e32 v17, 0x3e0, v34
	v_cmp_lt_u32_e64 s2, 7, v15
	v_cmp_eq_u32_e64 s7, 0, v16
	v_xor_b32_e32 v113, v8, v31
	v_cndmask_b32_e64 v9, -1, 0xffff8000, vcc_lo
	v_cmp_lt_i16_e32 vcc_lo, -1, v33
	v_and_b32_e32 v37, 7, v16
	v_lshrrev_b32_e32 v135, 5, v26
	v_cmp_gt_u32_e64 s5, 8, v34
	v_xor_b32_e32 v103, v9, v30
	v_cndmask_b32_e64 v4, -1, 0xffff8000, vcc_lo
	v_cmp_lt_i16_e32 vcc_lo, -1, v32
	v_cmp_lt_u32_e64 s14, 1, v37
	v_cmp_lt_u32_e64 s15, 3, v37
	;; [unrolled: 1-line block ×3, first 2 shown]
	v_xor_b32_e32 v115, v4, v33
	v_cndmask_b32_e64 v5, -1, 0xffff8000, vcc_lo
	v_cmp_lt_i16_e32 vcc_lo, -1, v36
	v_lshlrev_b32_e32 v4, 5, v34
	v_cmp_eq_u32_e64 s10, 0, v34
	v_sub_nc_u32_e32 v163, v11, v10
	v_xor_b32_e32 v117, v5, v32
	v_mov_b32_e32 v5, 0
	v_cndmask_b32_e64 v8, -1, 0xffff8000, vcc_lo
	v_cmp_lt_i16_e32 vcc_lo, -1, v35
	v_add_nc_u32_e32 v32, -1, v16
	s_waitcnt lgkmcnt(0)
	s_waitcnt_vscnt null, 0x0
	s_barrier
	v_xor_b32_e32 v119, v8, v36
	v_cndmask_b32_e64 v9, -1, 0xffff8000, vcc_lo
	v_add_co_u32 v27, vcc_lo, v12, 32
	v_add_co_ci_u32_e32 v39, vcc_lo, 0, v13, vcc_lo
	v_add_co_u32 v8, vcc_lo, v12, v4
	s_delay_alu instid0(VALU_DEP_4)
	v_xor_b32_e32 v180, v9, v35
	v_add_co_ci_u32_e32 v9, vcc_lo, 0, v13, vcc_lo
	v_add_co_u32 v30, vcc_lo, v27, v4
	v_min_u32_e32 v4, 0xe0, v17
	v_and_b32_e32 v17, 16, v16
	v_cmp_gt_i32_e64 s4, 0, v32
	v_add_co_ci_u32_e32 v31, vcc_lo, 0, v39, vcc_lo
	s_delay_alu instid0(VALU_DEP_4) | instskip(NEXT) | instid1(VALU_DEP_4)
	v_or_b32_e32 v4, 31, v4
	v_cmp_eq_u32_e64 s3, 0, v17
	v_lshrrev_b32_e32 v17, 5, v34
	v_cmp_eq_u32_e32 vcc_lo, 0, v15
	v_cndmask_b32_e64 v15, v32, v16, s4
	v_cmp_eq_u32_e64 s4, v4, v34
	v_and_or_b32 v16, 0x1f00, v14, v16
	v_lshlrev_b32_e32 v4, 2, v17
	buffer_gl0_inv
	v_lshlrev_b32_e32 v162, 2, v15
	v_lshlrev_b32_e32 v15, 2, v34
	v_add_co_u32 v32, s11, v12, v4
	v_add_nc_u32_e32 v4, -1, v17
	v_lshlrev_b32_e32 v17, 1, v16
	v_add_co_ci_u32_e64 v33, s11, 0, v13, s11
	v_add_co_u32 v35, s11, v12, v15
	s_delay_alu instid0(VALU_DEP_1) | instskip(SKIP_4) | instid1(VALU_DEP_2)
	v_add_co_ci_u32_e64 v36, s11, 0, v13, s11
	v_cmp_eq_u32_e64 s11, 0, v37
	v_add_co_u32 v37, s16, v12, v17
	v_lshlrev_b64 v[14:15], 2, v[4:5]
	v_add_co_ci_u32_e64 v38, s16, 0, v13, s16
	v_add_co_u32 v48, s16, v12, v14
	s_delay_alu instid0(VALU_DEP_2) | instskip(NEXT) | instid1(VALU_DEP_4)
	v_mad_u64_u32 v[50:51], null, v16, 6, v[37:38]
	v_add_co_ci_u32_e64 v49, s16, v13, v15, s16
	v_dual_mov_b32 v14, s20 :: v_dual_mov_b32 v17, s23
	v_dual_mov_b32 v15, s21 :: v_dual_mov_b32 v16, s22
	s_branch .LBB2056_172
.LBB2056_171:                           ;   in Loop: Header=BB2056_172 Depth=1
	s_or_b32 exec_lo, exec_lo, s17
	s_delay_alu instid0(SALU_CYCLE_1) | instskip(NEXT) | instid1(SALU_CYCLE_1)
	s_and_b32 s16, exec_lo, s18
	s_or_b32 s20, s16, s20
	s_delay_alu instid0(SALU_CYCLE_1)
	s_and_not1_b32 exec_lo, exec_lo, s20
	s_cbranch_execz .LBB2056_226
.LBB2056_172:                           ; =>This Inner Loop Header: Depth=1
	v_mov_b32_e32 v164, v181
	v_dual_mov_b32 v64, v86 :: v_dual_mov_b32 v65, v87
	v_min_u32_e32 v4, s25, v163
	v_mov_b32_e32 v66, v84
	s_delay_alu instid0(VALU_DEP_4) | instskip(SKIP_1) | instid1(VALU_DEP_4)
	v_cmp_ne_u16_e64 s16, 0x7fff, v164
	v_dual_mov_b32 v178, v103 :: v_dual_mov_b32 v179, v180
	v_lshlrev_b32_e64 v4, v4, -1
	s_clause 0x1
	flat_store_b128 v[8:9], v[14:17] offset:32
	flat_store_b128 v[30:31], v[14:17] offset:16
	v_cndmask_b32_e64 v52, 0xffff8000, v164, s16
	s_waitcnt lgkmcnt(0)
	s_waitcnt_vscnt null, 0x0
	s_barrier
	v_not_b32_e32 v114, v4
	buffer_gl0_inv
	v_dual_mov_b32 v71, v21 :: v_dual_and_b32 v52, 0xffff, v52
	v_dual_mov_b32 v70, v20 :: v_dual_mov_b32 v69, v25
	v_dual_mov_b32 v68, v24 :: v_dual_mov_b32 v67, v85
	s_delay_alu instid0(VALU_DEP_3) | instskip(SKIP_1) | instid1(VALU_DEP_2)
	v_lshrrev_b32_e32 v4, v10, v52
	; wave barrier
	v_mov_b32_e32 v165, v113
	v_dual_mov_b32 v177, v115 :: v_dual_and_b32 v4, v4, v114
	v_dual_mov_b32 v54, v96 :: v_dual_mov_b32 v55, v97
	v_mov_b32_e32 v52, v98
	v_mov_b32_e32 v176, v117
	s_delay_alu instid0(VALU_DEP_4)
	v_and_b32_e32 v20, 1, v4
	v_lshlrev_b32_e32 v21, 30, v4
	v_lshlrev_b32_e32 v24, 29, v4
	;; [unrolled: 1-line block ×4, first 2 shown]
	v_add_co_u32 v20, s16, v20, -1
	s_delay_alu instid0(VALU_DEP_1)
	v_cndmask_b32_e64 v80, 0, 1, s16
	v_not_b32_e32 v84, v21
	v_cmp_gt_i32_e64 s17, 0, v21
	v_not_b32_e32 v21, v24
	v_lshlrev_b32_e32 v82, 26, v4
	v_cmp_ne_u32_e64 s16, 0, v80
	v_ashrrev_i32_e32 v80, 31, v84
	v_lshlrev_b32_e32 v83, 25, v4
	v_ashrrev_i32_e32 v21, 31, v21
	v_lshlrev_b32_e32 v85, 24, v4
	v_xor_b32_e32 v20, s16, v20
	v_cmp_gt_i32_e64 s16, 0, v24
	v_not_b32_e32 v24, v25
	v_xor_b32_e32 v80, s17, v80
	v_cmp_gt_i32_e64 s17, 0, v25
	v_and_b32_e32 v20, exec_lo, v20
	v_not_b32_e32 v25, v81
	v_ashrrev_i32_e32 v24, 31, v24
	v_xor_b32_e32 v21, s16, v21
	v_cmp_gt_i32_e64 s16, 0, v81
	v_dual_mov_b32 v167, v119 :: v_dual_and_b32 v20, v20, v80
	v_not_b32_e32 v80, v82
	v_ashrrev_i32_e32 v25, 31, v25
	v_xor_b32_e32 v24, s17, v24
	s_delay_alu instid0(VALU_DEP_4) | instskip(SKIP_3) | instid1(VALU_DEP_4)
	v_and_b32_e32 v20, v20, v21
	v_cmp_gt_i32_e64 s17, 0, v82
	v_ashrrev_i32_e32 v80, 31, v80
	v_xor_b32_e32 v25, s16, v25
	v_dual_mov_b32 v53, v99 :: v_dual_and_b32 v20, v20, v24
	s_delay_alu instid0(VALU_DEP_3) | instskip(SKIP_1) | instid1(VALU_DEP_3)
	v_xor_b32_e32 v82, s17, v80
	v_dual_mov_b32 v81, v19 :: v_dual_mov_b32 v80, v18
	v_and_b32_e32 v20, v20, v25
	v_not_b32_e32 v21, v83
	v_cmp_gt_i32_e64 s16, 0, v83
	s_delay_alu instid0(VALU_DEP_3) | instskip(NEXT) | instid1(VALU_DEP_3)
	v_dual_mov_b32 v83, v23 :: v_dual_and_b32 v20, v20, v82
	v_ashrrev_i32_e32 v21, 31, v21
	v_mov_b32_e32 v82, v22
	v_not_b32_e32 v24, v85
	v_cmp_gt_i32_e64 s17, 0, v85
	s_delay_alu instid0(VALU_DEP_4) | instskip(SKIP_1) | instid1(VALU_DEP_4)
	v_xor_b32_e32 v19, s16, v21
	v_mov_b32_e32 v166, v101
	v_ashrrev_i32_e32 v18, 31, v24
	s_delay_alu instid0(VALU_DEP_3) | instskip(NEXT) | instid1(VALU_DEP_2)
	v_and_b32_e32 v19, v20, v19
	v_xor_b32_e32 v18, s17, v18
	s_delay_alu instid0(VALU_DEP_1) | instskip(SKIP_1) | instid1(VALU_DEP_2)
	v_and_b32_e32 v18, v19, v18
	v_lshlrev_b32_e32 v19, 3, v4
	v_mbcnt_lo_u32_b32 v4, v18, 0
	s_delay_alu instid0(VALU_DEP_2) | instskip(SKIP_1) | instid1(VALU_DEP_3)
	v_add_lshl_u32 v19, v19, v135, 2
	v_cmp_ne_u32_e64 s16, 0, v18
	v_cmp_eq_u32_e64 s17, 0, v4
	s_delay_alu instid0(VALU_DEP_3) | instskip(NEXT) | instid1(VALU_DEP_1)
	v_add_co_u32 v84, s18, v27, v19
	v_add_co_ci_u32_e64 v85, s18, 0, v39, s18
	s_delay_alu instid0(VALU_DEP_3) | instskip(NEXT) | instid1(SALU_CYCLE_1)
	s_and_b32 s17, s16, s17
	s_and_saveexec_b32 s16, s17
	s_cbranch_execz .LBB2056_174
; %bb.173:                              ;   in Loop: Header=BB2056_172 Depth=1
	v_bcnt_u32_b32 v18, v18, 0
	flat_store_b32 v[84:85], v18
.LBB2056_174:                           ;   in Loop: Header=BB2056_172 Depth=1
	s_or_b32 exec_lo, exec_lo, s16
	v_cmp_ne_u16_e64 s16, 0x7fff, v166
	; wave barrier
	s_delay_alu instid0(VALU_DEP_1) | instskip(NEXT) | instid1(VALU_DEP_1)
	v_cndmask_b32_e64 v18, 0xffff8000, v166, s16
	v_and_b32_e32 v18, 0xffff, v18
	s_delay_alu instid0(VALU_DEP_1) | instskip(NEXT) | instid1(VALU_DEP_1)
	v_lshrrev_b32_e32 v18, v10, v18
	v_and_b32_e32 v18, v18, v114
	s_delay_alu instid0(VALU_DEP_1) | instskip(SKIP_3) | instid1(VALU_DEP_4)
	v_lshlrev_b32_e32 v19, 3, v18
	v_lshlrev_b32_e32 v21, 30, v18
	;; [unrolled: 1-line block ×4, first 2 shown]
	v_add_lshl_u32 v19, v19, v135, 2
	s_delay_alu instid0(VALU_DEP_1) | instskip(NEXT) | instid1(VALU_DEP_1)
	v_add_co_u32 v86, s16, v27, v19
	v_add_co_ci_u32_e64 v87, s16, 0, v39, s16
	v_and_b32_e32 v19, 1, v18
	flat_load_b32 v116, v[86:87]
	v_add_co_u32 v19, s16, v19, -1
	s_delay_alu instid0(VALU_DEP_1) | instskip(NEXT) | instid1(VALU_DEP_1)
	v_cndmask_b32_e64 v20, 0, 1, s16
	; wave barrier
	v_cmp_ne_u32_e64 s16, 0, v20
	v_not_b32_e32 v20, v21
	s_delay_alu instid0(VALU_DEP_2) | instskip(SKIP_1) | instid1(VALU_DEP_3)
	v_xor_b32_e32 v19, s16, v19
	v_cmp_gt_i32_e64 s16, 0, v21
	v_ashrrev_i32_e32 v20, 31, v20
	v_not_b32_e32 v21, v22
	s_delay_alu instid0(VALU_DEP_4) | instskip(NEXT) | instid1(VALU_DEP_3)
	v_and_b32_e32 v19, exec_lo, v19
	v_xor_b32_e32 v20, s16, v20
	v_cmp_gt_i32_e64 s16, 0, v22
	s_delay_alu instid0(VALU_DEP_4) | instskip(SKIP_1) | instid1(VALU_DEP_4)
	v_ashrrev_i32_e32 v21, 31, v21
	v_not_b32_e32 v22, v23
	v_and_b32_e32 v19, v19, v20
	v_lshlrev_b32_e32 v20, 27, v18
	s_delay_alu instid0(VALU_DEP_4) | instskip(SKIP_2) | instid1(VALU_DEP_4)
	v_xor_b32_e32 v21, s16, v21
	v_cmp_gt_i32_e64 s16, 0, v23
	v_ashrrev_i32_e32 v22, 31, v22
	v_not_b32_e32 v23, v20
	s_delay_alu instid0(VALU_DEP_4) | instskip(SKIP_1) | instid1(VALU_DEP_4)
	v_and_b32_e32 v19, v19, v21
	v_lshlrev_b32_e32 v21, 26, v18
	v_xor_b32_e32 v22, s16, v22
	v_cmp_gt_i32_e64 s16, 0, v20
	v_ashrrev_i32_e32 v20, 31, v23
	s_delay_alu instid0(VALU_DEP_4) | instskip(NEXT) | instid1(VALU_DEP_4)
	v_not_b32_e32 v23, v21
	v_and_b32_e32 v19, v19, v22
	v_lshlrev_b32_e32 v22, 25, v18
	s_delay_alu instid0(VALU_DEP_4)
	v_xor_b32_e32 v20, s16, v20
	v_cmp_gt_i32_e64 s16, 0, v21
	v_ashrrev_i32_e32 v21, 31, v23
	v_lshlrev_b32_e32 v18, 24, v18
	v_not_b32_e32 v23, v22
	v_and_b32_e32 v19, v19, v20
	s_delay_alu instid0(VALU_DEP_4) | instskip(SKIP_1) | instid1(VALU_DEP_4)
	v_xor_b32_e32 v20, s16, v21
	v_cmp_gt_i32_e64 s16, 0, v22
	v_ashrrev_i32_e32 v21, 31, v23
	v_not_b32_e32 v22, v18
	s_delay_alu instid0(VALU_DEP_4) | instskip(NEXT) | instid1(VALU_DEP_3)
	v_and_b32_e32 v19, v19, v20
	v_xor_b32_e32 v20, s16, v21
	v_cmp_gt_i32_e64 s16, 0, v18
	s_delay_alu instid0(VALU_DEP_4) | instskip(NEXT) | instid1(VALU_DEP_3)
	v_ashrrev_i32_e32 v18, 31, v22
	v_and_b32_e32 v19, v19, v20
	s_delay_alu instid0(VALU_DEP_2) | instskip(NEXT) | instid1(VALU_DEP_1)
	v_xor_b32_e32 v18, s16, v18
	v_and_b32_e32 v18, v19, v18
	s_delay_alu instid0(VALU_DEP_1) | instskip(SKIP_1) | instid1(VALU_DEP_2)
	v_mbcnt_lo_u32_b32 v118, v18, 0
	v_cmp_ne_u32_e64 s17, 0, v18
	v_cmp_eq_u32_e64 s16, 0, v118
	s_delay_alu instid0(VALU_DEP_1) | instskip(NEXT) | instid1(SALU_CYCLE_1)
	s_and_b32 s17, s17, s16
	s_and_saveexec_b32 s16, s17
	s_cbranch_execz .LBB2056_176
; %bb.175:                              ;   in Loop: Header=BB2056_172 Depth=1
	s_waitcnt vmcnt(0) lgkmcnt(0)
	v_bcnt_u32_b32 v18, v18, v116
	flat_store_b32 v[86:87], v18
.LBB2056_176:                           ;   in Loop: Header=BB2056_172 Depth=1
	s_or_b32 exec_lo, exec_lo, s16
	v_cmp_ne_u16_e64 s16, 0x7fff, v165
	; wave barrier
	s_delay_alu instid0(VALU_DEP_1) | instskip(NEXT) | instid1(VALU_DEP_1)
	v_cndmask_b32_e64 v18, 0xffff8000, v165, s16
	v_and_b32_e32 v18, 0xffff, v18
	s_delay_alu instid0(VALU_DEP_1) | instskip(NEXT) | instid1(VALU_DEP_1)
	v_lshrrev_b32_e32 v18, v10, v18
	v_and_b32_e32 v18, v18, v114
	s_delay_alu instid0(VALU_DEP_1) | instskip(SKIP_3) | instid1(VALU_DEP_4)
	v_lshlrev_b32_e32 v19, 3, v18
	v_lshlrev_b32_e32 v21, 30, v18
	;; [unrolled: 1-line block ×4, first 2 shown]
	v_add_lshl_u32 v19, v19, v135, 2
	s_delay_alu instid0(VALU_DEP_1) | instskip(NEXT) | instid1(VALU_DEP_1)
	v_add_co_u32 v96, s16, v27, v19
	v_add_co_ci_u32_e64 v97, s16, 0, v39, s16
	v_and_b32_e32 v19, 1, v18
	flat_load_b32 v128, v[96:97]
	v_add_co_u32 v19, s16, v19, -1
	s_delay_alu instid0(VALU_DEP_1) | instskip(NEXT) | instid1(VALU_DEP_1)
	v_cndmask_b32_e64 v20, 0, 1, s16
	; wave barrier
	v_cmp_ne_u32_e64 s16, 0, v20
	v_not_b32_e32 v20, v21
	s_delay_alu instid0(VALU_DEP_2) | instskip(SKIP_1) | instid1(VALU_DEP_3)
	v_xor_b32_e32 v19, s16, v19
	v_cmp_gt_i32_e64 s16, 0, v21
	v_ashrrev_i32_e32 v20, 31, v20
	v_not_b32_e32 v21, v22
	s_delay_alu instid0(VALU_DEP_4) | instskip(NEXT) | instid1(VALU_DEP_3)
	v_and_b32_e32 v19, exec_lo, v19
	v_xor_b32_e32 v20, s16, v20
	v_cmp_gt_i32_e64 s16, 0, v22
	s_delay_alu instid0(VALU_DEP_4) | instskip(SKIP_1) | instid1(VALU_DEP_4)
	v_ashrrev_i32_e32 v21, 31, v21
	v_not_b32_e32 v22, v23
	v_and_b32_e32 v19, v19, v20
	v_lshlrev_b32_e32 v20, 27, v18
	s_delay_alu instid0(VALU_DEP_4) | instskip(SKIP_2) | instid1(VALU_DEP_4)
	v_xor_b32_e32 v21, s16, v21
	v_cmp_gt_i32_e64 s16, 0, v23
	v_ashrrev_i32_e32 v22, 31, v22
	v_not_b32_e32 v23, v20
	s_delay_alu instid0(VALU_DEP_4) | instskip(SKIP_1) | instid1(VALU_DEP_4)
	v_and_b32_e32 v19, v19, v21
	v_lshlrev_b32_e32 v21, 26, v18
	v_xor_b32_e32 v22, s16, v22
	v_cmp_gt_i32_e64 s16, 0, v20
	v_ashrrev_i32_e32 v20, 31, v23
	s_delay_alu instid0(VALU_DEP_4) | instskip(NEXT) | instid1(VALU_DEP_4)
	v_not_b32_e32 v23, v21
	v_and_b32_e32 v19, v19, v22
	v_lshlrev_b32_e32 v22, 25, v18
	s_delay_alu instid0(VALU_DEP_4)
	v_xor_b32_e32 v20, s16, v20
	v_cmp_gt_i32_e64 s16, 0, v21
	v_ashrrev_i32_e32 v21, 31, v23
	v_lshlrev_b32_e32 v18, 24, v18
	v_not_b32_e32 v23, v22
	v_and_b32_e32 v19, v19, v20
	s_delay_alu instid0(VALU_DEP_4) | instskip(SKIP_1) | instid1(VALU_DEP_4)
	v_xor_b32_e32 v20, s16, v21
	v_cmp_gt_i32_e64 s16, 0, v22
	v_ashrrev_i32_e32 v21, 31, v23
	v_not_b32_e32 v22, v18
	s_delay_alu instid0(VALU_DEP_4) | instskip(NEXT) | instid1(VALU_DEP_3)
	v_and_b32_e32 v19, v19, v20
	v_xor_b32_e32 v20, s16, v21
	v_cmp_gt_i32_e64 s16, 0, v18
	s_delay_alu instid0(VALU_DEP_4) | instskip(NEXT) | instid1(VALU_DEP_3)
	v_ashrrev_i32_e32 v18, 31, v22
	v_and_b32_e32 v19, v19, v20
	s_delay_alu instid0(VALU_DEP_2) | instskip(NEXT) | instid1(VALU_DEP_1)
	v_xor_b32_e32 v18, s16, v18
	v_and_b32_e32 v18, v19, v18
	s_delay_alu instid0(VALU_DEP_1) | instskip(SKIP_1) | instid1(VALU_DEP_2)
	v_mbcnt_lo_u32_b32 v130, v18, 0
	v_cmp_ne_u32_e64 s17, 0, v18
	v_cmp_eq_u32_e64 s16, 0, v130
	s_delay_alu instid0(VALU_DEP_1) | instskip(NEXT) | instid1(SALU_CYCLE_1)
	s_and_b32 s17, s17, s16
	s_and_saveexec_b32 s16, s17
	s_cbranch_execz .LBB2056_178
; %bb.177:                              ;   in Loop: Header=BB2056_172 Depth=1
	s_waitcnt vmcnt(0) lgkmcnt(0)
	v_bcnt_u32_b32 v18, v18, v128
	flat_store_b32 v[96:97], v18
.LBB2056_178:                           ;   in Loop: Header=BB2056_172 Depth=1
	s_or_b32 exec_lo, exec_lo, s16
	v_cmp_ne_u16_e64 s16, 0x7fff, v178
	; wave barrier
	s_delay_alu instid0(VALU_DEP_1) | instskip(NEXT) | instid1(VALU_DEP_1)
	v_cndmask_b32_e64 v18, 0xffff8000, v178, s16
	v_and_b32_e32 v18, 0xffff, v18
	s_delay_alu instid0(VALU_DEP_1) | instskip(NEXT) | instid1(VALU_DEP_1)
	v_lshrrev_b32_e32 v18, v10, v18
	v_and_b32_e32 v18, v18, v114
	s_delay_alu instid0(VALU_DEP_1) | instskip(SKIP_3) | instid1(VALU_DEP_4)
	v_lshlrev_b32_e32 v19, 3, v18
	v_lshlrev_b32_e32 v21, 30, v18
	;; [unrolled: 1-line block ×4, first 2 shown]
	v_add_lshl_u32 v19, v19, v135, 2
	s_delay_alu instid0(VALU_DEP_1) | instskip(NEXT) | instid1(VALU_DEP_1)
	v_add_co_u32 v98, s16, v27, v19
	v_add_co_ci_u32_e64 v99, s16, 0, v39, s16
	v_and_b32_e32 v19, 1, v18
	flat_load_b32 v131, v[98:99]
	v_add_co_u32 v19, s16, v19, -1
	s_delay_alu instid0(VALU_DEP_1) | instskip(NEXT) | instid1(VALU_DEP_1)
	v_cndmask_b32_e64 v20, 0, 1, s16
	; wave barrier
	v_cmp_ne_u32_e64 s16, 0, v20
	v_not_b32_e32 v20, v21
	s_delay_alu instid0(VALU_DEP_2) | instskip(SKIP_1) | instid1(VALU_DEP_3)
	v_xor_b32_e32 v19, s16, v19
	v_cmp_gt_i32_e64 s16, 0, v21
	v_ashrrev_i32_e32 v20, 31, v20
	v_not_b32_e32 v21, v22
	s_delay_alu instid0(VALU_DEP_4) | instskip(NEXT) | instid1(VALU_DEP_3)
	v_and_b32_e32 v19, exec_lo, v19
	v_xor_b32_e32 v20, s16, v20
	v_cmp_gt_i32_e64 s16, 0, v22
	s_delay_alu instid0(VALU_DEP_4) | instskip(SKIP_1) | instid1(VALU_DEP_4)
	v_ashrrev_i32_e32 v21, 31, v21
	v_not_b32_e32 v22, v23
	v_and_b32_e32 v19, v19, v20
	v_lshlrev_b32_e32 v20, 27, v18
	s_delay_alu instid0(VALU_DEP_4) | instskip(SKIP_2) | instid1(VALU_DEP_4)
	v_xor_b32_e32 v21, s16, v21
	v_cmp_gt_i32_e64 s16, 0, v23
	v_ashrrev_i32_e32 v22, 31, v22
	v_not_b32_e32 v23, v20
	s_delay_alu instid0(VALU_DEP_4) | instskip(SKIP_1) | instid1(VALU_DEP_4)
	v_and_b32_e32 v19, v19, v21
	v_lshlrev_b32_e32 v21, 26, v18
	v_xor_b32_e32 v22, s16, v22
	v_cmp_gt_i32_e64 s16, 0, v20
	v_ashrrev_i32_e32 v20, 31, v23
	s_delay_alu instid0(VALU_DEP_4) | instskip(NEXT) | instid1(VALU_DEP_4)
	v_not_b32_e32 v23, v21
	v_and_b32_e32 v19, v19, v22
	v_lshlrev_b32_e32 v22, 25, v18
	s_delay_alu instid0(VALU_DEP_4)
	v_xor_b32_e32 v20, s16, v20
	v_cmp_gt_i32_e64 s16, 0, v21
	v_ashrrev_i32_e32 v21, 31, v23
	v_lshlrev_b32_e32 v18, 24, v18
	v_not_b32_e32 v23, v22
	v_and_b32_e32 v19, v19, v20
	s_delay_alu instid0(VALU_DEP_4) | instskip(SKIP_1) | instid1(VALU_DEP_4)
	v_xor_b32_e32 v20, s16, v21
	v_cmp_gt_i32_e64 s16, 0, v22
	v_ashrrev_i32_e32 v21, 31, v23
	v_not_b32_e32 v22, v18
	s_delay_alu instid0(VALU_DEP_4) | instskip(NEXT) | instid1(VALU_DEP_3)
	v_and_b32_e32 v19, v19, v20
	v_xor_b32_e32 v20, s16, v21
	v_cmp_gt_i32_e64 s16, 0, v18
	s_delay_alu instid0(VALU_DEP_4) | instskip(NEXT) | instid1(VALU_DEP_3)
	v_ashrrev_i32_e32 v18, 31, v22
	v_and_b32_e32 v19, v19, v20
	s_delay_alu instid0(VALU_DEP_2) | instskip(NEXT) | instid1(VALU_DEP_1)
	v_xor_b32_e32 v18, s16, v18
	v_and_b32_e32 v18, v19, v18
	s_delay_alu instid0(VALU_DEP_1) | instskip(SKIP_1) | instid1(VALU_DEP_2)
	v_mbcnt_lo_u32_b32 v132, v18, 0
	v_cmp_ne_u32_e64 s17, 0, v18
	v_cmp_eq_u32_e64 s16, 0, v132
	s_delay_alu instid0(VALU_DEP_1) | instskip(NEXT) | instid1(SALU_CYCLE_1)
	s_and_b32 s17, s17, s16
	s_and_saveexec_b32 s16, s17
	s_cbranch_execz .LBB2056_180
; %bb.179:                              ;   in Loop: Header=BB2056_172 Depth=1
	s_waitcnt vmcnt(0) lgkmcnt(0)
	v_bcnt_u32_b32 v18, v18, v131
	flat_store_b32 v[98:99], v18
.LBB2056_180:                           ;   in Loop: Header=BB2056_172 Depth=1
	s_or_b32 exec_lo, exec_lo, s16
	v_cmp_ne_u16_e64 s16, 0x7fff, v177
	; wave barrier
	s_delay_alu instid0(VALU_DEP_1) | instskip(NEXT) | instid1(VALU_DEP_1)
	v_cndmask_b32_e64 v18, 0xffff8000, v177, s16
	v_and_b32_e32 v18, 0xffff, v18
	s_delay_alu instid0(VALU_DEP_1) | instskip(NEXT) | instid1(VALU_DEP_1)
	v_lshrrev_b32_e32 v18, v10, v18
	v_and_b32_e32 v18, v18, v114
	s_delay_alu instid0(VALU_DEP_1) | instskip(SKIP_3) | instid1(VALU_DEP_4)
	v_lshlrev_b32_e32 v19, 3, v18
	v_lshlrev_b32_e32 v21, 30, v18
	;; [unrolled: 1-line block ×4, first 2 shown]
	v_add_lshl_u32 v19, v19, v135, 2
	s_delay_alu instid0(VALU_DEP_1) | instskip(NEXT) | instid1(VALU_DEP_1)
	v_add_co_u32 v100, s16, v27, v19
	v_add_co_ci_u32_e64 v101, s16, 0, v39, s16
	v_and_b32_e32 v19, 1, v18
	flat_load_b32 v133, v[100:101]
	v_add_co_u32 v19, s16, v19, -1
	s_delay_alu instid0(VALU_DEP_1) | instskip(NEXT) | instid1(VALU_DEP_1)
	v_cndmask_b32_e64 v20, 0, 1, s16
	; wave barrier
	v_cmp_ne_u32_e64 s16, 0, v20
	v_not_b32_e32 v20, v21
	s_delay_alu instid0(VALU_DEP_2) | instskip(SKIP_1) | instid1(VALU_DEP_3)
	v_xor_b32_e32 v19, s16, v19
	v_cmp_gt_i32_e64 s16, 0, v21
	v_ashrrev_i32_e32 v20, 31, v20
	v_not_b32_e32 v21, v22
	s_delay_alu instid0(VALU_DEP_4) | instskip(NEXT) | instid1(VALU_DEP_3)
	v_and_b32_e32 v19, exec_lo, v19
	v_xor_b32_e32 v20, s16, v20
	v_cmp_gt_i32_e64 s16, 0, v22
	s_delay_alu instid0(VALU_DEP_4) | instskip(SKIP_1) | instid1(VALU_DEP_4)
	v_ashrrev_i32_e32 v21, 31, v21
	v_not_b32_e32 v22, v23
	v_and_b32_e32 v19, v19, v20
	v_lshlrev_b32_e32 v20, 27, v18
	s_delay_alu instid0(VALU_DEP_4) | instskip(SKIP_2) | instid1(VALU_DEP_4)
	v_xor_b32_e32 v21, s16, v21
	v_cmp_gt_i32_e64 s16, 0, v23
	v_ashrrev_i32_e32 v22, 31, v22
	v_not_b32_e32 v23, v20
	s_delay_alu instid0(VALU_DEP_4) | instskip(SKIP_1) | instid1(VALU_DEP_4)
	v_and_b32_e32 v19, v19, v21
	v_lshlrev_b32_e32 v21, 26, v18
	v_xor_b32_e32 v22, s16, v22
	v_cmp_gt_i32_e64 s16, 0, v20
	v_ashrrev_i32_e32 v20, 31, v23
	s_delay_alu instid0(VALU_DEP_4) | instskip(NEXT) | instid1(VALU_DEP_4)
	v_not_b32_e32 v23, v21
	v_and_b32_e32 v19, v19, v22
	v_lshlrev_b32_e32 v22, 25, v18
	s_delay_alu instid0(VALU_DEP_4)
	v_xor_b32_e32 v20, s16, v20
	v_cmp_gt_i32_e64 s16, 0, v21
	v_ashrrev_i32_e32 v21, 31, v23
	v_lshlrev_b32_e32 v18, 24, v18
	v_not_b32_e32 v23, v22
	v_and_b32_e32 v19, v19, v20
	s_delay_alu instid0(VALU_DEP_4) | instskip(SKIP_1) | instid1(VALU_DEP_4)
	v_xor_b32_e32 v20, s16, v21
	v_cmp_gt_i32_e64 s16, 0, v22
	v_ashrrev_i32_e32 v21, 31, v23
	v_not_b32_e32 v22, v18
	s_delay_alu instid0(VALU_DEP_4) | instskip(NEXT) | instid1(VALU_DEP_3)
	v_and_b32_e32 v19, v19, v20
	v_xor_b32_e32 v20, s16, v21
	v_cmp_gt_i32_e64 s16, 0, v18
	s_delay_alu instid0(VALU_DEP_4) | instskip(NEXT) | instid1(VALU_DEP_3)
	v_ashrrev_i32_e32 v18, 31, v22
	v_and_b32_e32 v19, v19, v20
	s_delay_alu instid0(VALU_DEP_2) | instskip(NEXT) | instid1(VALU_DEP_1)
	v_xor_b32_e32 v18, s16, v18
	v_and_b32_e32 v18, v19, v18
	s_delay_alu instid0(VALU_DEP_1) | instskip(SKIP_1) | instid1(VALU_DEP_2)
	v_mbcnt_lo_u32_b32 v134, v18, 0
	v_cmp_ne_u32_e64 s17, 0, v18
	v_cmp_eq_u32_e64 s16, 0, v134
	s_delay_alu instid0(VALU_DEP_1) | instskip(NEXT) | instid1(SALU_CYCLE_1)
	s_and_b32 s17, s17, s16
	s_and_saveexec_b32 s16, s17
	s_cbranch_execz .LBB2056_182
; %bb.181:                              ;   in Loop: Header=BB2056_172 Depth=1
	s_waitcnt vmcnt(0) lgkmcnt(0)
	v_bcnt_u32_b32 v18, v18, v133
	flat_store_b32 v[100:101], v18
.LBB2056_182:                           ;   in Loop: Header=BB2056_172 Depth=1
	s_or_b32 exec_lo, exec_lo, s16
	v_cmp_ne_u16_e64 s16, 0x7fff, v176
	; wave barrier
	s_delay_alu instid0(VALU_DEP_1) | instskip(NEXT) | instid1(VALU_DEP_1)
	v_cndmask_b32_e64 v18, 0xffff8000, v176, s16
	v_and_b32_e32 v18, 0xffff, v18
	s_delay_alu instid0(VALU_DEP_1) | instskip(NEXT) | instid1(VALU_DEP_1)
	v_lshrrev_b32_e32 v18, v10, v18
	v_and_b32_e32 v18, v18, v114
	s_delay_alu instid0(VALU_DEP_1) | instskip(SKIP_3) | instid1(VALU_DEP_4)
	v_lshlrev_b32_e32 v19, 3, v18
	v_lshlrev_b32_e32 v21, 30, v18
	;; [unrolled: 1-line block ×4, first 2 shown]
	v_add_lshl_u32 v19, v19, v135, 2
	s_delay_alu instid0(VALU_DEP_1) | instskip(NEXT) | instid1(VALU_DEP_1)
	v_add_co_u32 v102, s16, v27, v19
	v_add_co_ci_u32_e64 v103, s16, 0, v39, s16
	v_and_b32_e32 v19, 1, v18
	flat_load_b32 v144, v[102:103]
	v_add_co_u32 v19, s16, v19, -1
	s_delay_alu instid0(VALU_DEP_1) | instskip(NEXT) | instid1(VALU_DEP_1)
	v_cndmask_b32_e64 v20, 0, 1, s16
	; wave barrier
	v_cmp_ne_u32_e64 s16, 0, v20
	v_not_b32_e32 v20, v21
	s_delay_alu instid0(VALU_DEP_2) | instskip(SKIP_1) | instid1(VALU_DEP_3)
	v_xor_b32_e32 v19, s16, v19
	v_cmp_gt_i32_e64 s16, 0, v21
	v_ashrrev_i32_e32 v20, 31, v20
	v_not_b32_e32 v21, v22
	s_delay_alu instid0(VALU_DEP_4) | instskip(NEXT) | instid1(VALU_DEP_3)
	v_and_b32_e32 v19, exec_lo, v19
	v_xor_b32_e32 v20, s16, v20
	v_cmp_gt_i32_e64 s16, 0, v22
	s_delay_alu instid0(VALU_DEP_4) | instskip(SKIP_1) | instid1(VALU_DEP_4)
	v_ashrrev_i32_e32 v21, 31, v21
	v_not_b32_e32 v22, v23
	v_and_b32_e32 v19, v19, v20
	v_lshlrev_b32_e32 v20, 27, v18
	s_delay_alu instid0(VALU_DEP_4) | instskip(SKIP_2) | instid1(VALU_DEP_4)
	v_xor_b32_e32 v21, s16, v21
	v_cmp_gt_i32_e64 s16, 0, v23
	v_ashrrev_i32_e32 v22, 31, v22
	v_not_b32_e32 v23, v20
	s_delay_alu instid0(VALU_DEP_4) | instskip(SKIP_1) | instid1(VALU_DEP_4)
	v_and_b32_e32 v19, v19, v21
	v_lshlrev_b32_e32 v21, 26, v18
	v_xor_b32_e32 v22, s16, v22
	v_cmp_gt_i32_e64 s16, 0, v20
	v_ashrrev_i32_e32 v20, 31, v23
	s_delay_alu instid0(VALU_DEP_4) | instskip(NEXT) | instid1(VALU_DEP_4)
	v_not_b32_e32 v23, v21
	v_and_b32_e32 v19, v19, v22
	v_lshlrev_b32_e32 v22, 25, v18
	s_delay_alu instid0(VALU_DEP_4)
	v_xor_b32_e32 v20, s16, v20
	v_cmp_gt_i32_e64 s16, 0, v21
	v_ashrrev_i32_e32 v21, 31, v23
	v_lshlrev_b32_e32 v18, 24, v18
	v_not_b32_e32 v23, v22
	v_and_b32_e32 v19, v19, v20
	s_delay_alu instid0(VALU_DEP_4) | instskip(SKIP_1) | instid1(VALU_DEP_4)
	v_xor_b32_e32 v20, s16, v21
	v_cmp_gt_i32_e64 s16, 0, v22
	v_ashrrev_i32_e32 v21, 31, v23
	v_not_b32_e32 v22, v18
	s_delay_alu instid0(VALU_DEP_4) | instskip(NEXT) | instid1(VALU_DEP_3)
	v_and_b32_e32 v19, v19, v20
	v_xor_b32_e32 v20, s16, v21
	v_cmp_gt_i32_e64 s16, 0, v18
	s_delay_alu instid0(VALU_DEP_4) | instskip(NEXT) | instid1(VALU_DEP_3)
	v_ashrrev_i32_e32 v18, 31, v22
	v_and_b32_e32 v19, v19, v20
	s_delay_alu instid0(VALU_DEP_2) | instskip(NEXT) | instid1(VALU_DEP_1)
	v_xor_b32_e32 v18, s16, v18
	v_and_b32_e32 v18, v19, v18
	s_delay_alu instid0(VALU_DEP_1) | instskip(SKIP_1) | instid1(VALU_DEP_2)
	v_mbcnt_lo_u32_b32 v145, v18, 0
	v_cmp_ne_u32_e64 s17, 0, v18
	v_cmp_eq_u32_e64 s16, 0, v145
	s_delay_alu instid0(VALU_DEP_1) | instskip(NEXT) | instid1(SALU_CYCLE_1)
	s_and_b32 s17, s17, s16
	s_and_saveexec_b32 s16, s17
	s_cbranch_execz .LBB2056_184
; %bb.183:                              ;   in Loop: Header=BB2056_172 Depth=1
	s_waitcnt vmcnt(0) lgkmcnt(0)
	v_bcnt_u32_b32 v18, v18, v144
	flat_store_b32 v[102:103], v18
.LBB2056_184:                           ;   in Loop: Header=BB2056_172 Depth=1
	s_or_b32 exec_lo, exec_lo, s16
	v_cmp_ne_u16_e64 s16, 0x7fff, v167
	; wave barrier
	s_delay_alu instid0(VALU_DEP_1) | instskip(NEXT) | instid1(VALU_DEP_1)
	v_cndmask_b32_e64 v18, 0xffff8000, v167, s16
	v_and_b32_e32 v18, 0xffff, v18
	s_delay_alu instid0(VALU_DEP_1) | instskip(NEXT) | instid1(VALU_DEP_1)
	v_lshrrev_b32_e32 v18, v10, v18
	v_and_b32_e32 v18, v18, v114
	s_delay_alu instid0(VALU_DEP_1) | instskip(SKIP_3) | instid1(VALU_DEP_4)
	v_lshlrev_b32_e32 v19, 3, v18
	v_lshlrev_b32_e32 v21, 30, v18
	;; [unrolled: 1-line block ×4, first 2 shown]
	v_add_lshl_u32 v19, v19, v135, 2
	s_delay_alu instid0(VALU_DEP_1) | instskip(NEXT) | instid1(VALU_DEP_1)
	v_add_co_u32 v112, s16, v27, v19
	v_add_co_ci_u32_e64 v113, s16, 0, v39, s16
	v_and_b32_e32 v19, 1, v18
	flat_load_b32 v146, v[112:113]
	v_add_co_u32 v19, s16, v19, -1
	s_delay_alu instid0(VALU_DEP_1) | instskip(NEXT) | instid1(VALU_DEP_1)
	v_cndmask_b32_e64 v20, 0, 1, s16
	; wave barrier
	v_cmp_ne_u32_e64 s16, 0, v20
	v_not_b32_e32 v20, v21
	s_delay_alu instid0(VALU_DEP_2) | instskip(SKIP_1) | instid1(VALU_DEP_3)
	v_xor_b32_e32 v19, s16, v19
	v_cmp_gt_i32_e64 s16, 0, v21
	v_ashrrev_i32_e32 v20, 31, v20
	v_not_b32_e32 v21, v22
	s_delay_alu instid0(VALU_DEP_4) | instskip(NEXT) | instid1(VALU_DEP_3)
	v_and_b32_e32 v19, exec_lo, v19
	v_xor_b32_e32 v20, s16, v20
	v_cmp_gt_i32_e64 s16, 0, v22
	s_delay_alu instid0(VALU_DEP_4) | instskip(SKIP_1) | instid1(VALU_DEP_4)
	v_ashrrev_i32_e32 v21, 31, v21
	v_not_b32_e32 v22, v23
	v_and_b32_e32 v19, v19, v20
	v_lshlrev_b32_e32 v20, 27, v18
	s_delay_alu instid0(VALU_DEP_4) | instskip(SKIP_2) | instid1(VALU_DEP_4)
	v_xor_b32_e32 v21, s16, v21
	v_cmp_gt_i32_e64 s16, 0, v23
	v_ashrrev_i32_e32 v22, 31, v22
	v_not_b32_e32 v23, v20
	s_delay_alu instid0(VALU_DEP_4) | instskip(SKIP_1) | instid1(VALU_DEP_4)
	v_and_b32_e32 v19, v19, v21
	v_lshlrev_b32_e32 v21, 26, v18
	v_xor_b32_e32 v22, s16, v22
	v_cmp_gt_i32_e64 s16, 0, v20
	v_ashrrev_i32_e32 v20, 31, v23
	s_delay_alu instid0(VALU_DEP_4) | instskip(NEXT) | instid1(VALU_DEP_4)
	v_not_b32_e32 v23, v21
	v_and_b32_e32 v19, v19, v22
	v_lshlrev_b32_e32 v22, 25, v18
	s_delay_alu instid0(VALU_DEP_4)
	v_xor_b32_e32 v20, s16, v20
	v_cmp_gt_i32_e64 s16, 0, v21
	v_ashrrev_i32_e32 v21, 31, v23
	v_lshlrev_b32_e32 v18, 24, v18
	v_not_b32_e32 v23, v22
	v_and_b32_e32 v19, v19, v20
	s_delay_alu instid0(VALU_DEP_4) | instskip(SKIP_1) | instid1(VALU_DEP_4)
	v_xor_b32_e32 v20, s16, v21
	v_cmp_gt_i32_e64 s16, 0, v22
	v_ashrrev_i32_e32 v21, 31, v23
	v_not_b32_e32 v22, v18
	s_delay_alu instid0(VALU_DEP_4) | instskip(NEXT) | instid1(VALU_DEP_3)
	v_and_b32_e32 v19, v19, v20
	v_xor_b32_e32 v20, s16, v21
	v_cmp_gt_i32_e64 s16, 0, v18
	s_delay_alu instid0(VALU_DEP_4) | instskip(NEXT) | instid1(VALU_DEP_3)
	v_ashrrev_i32_e32 v18, 31, v22
	v_and_b32_e32 v19, v19, v20
	s_delay_alu instid0(VALU_DEP_2) | instskip(NEXT) | instid1(VALU_DEP_1)
	v_xor_b32_e32 v18, s16, v18
	v_and_b32_e32 v18, v19, v18
	s_delay_alu instid0(VALU_DEP_1) | instskip(SKIP_1) | instid1(VALU_DEP_2)
	v_mbcnt_lo_u32_b32 v147, v18, 0
	v_cmp_ne_u32_e64 s17, 0, v18
	v_cmp_eq_u32_e64 s16, 0, v147
	s_delay_alu instid0(VALU_DEP_1) | instskip(NEXT) | instid1(SALU_CYCLE_1)
	s_and_b32 s17, s17, s16
	s_and_saveexec_b32 s16, s17
	s_cbranch_execz .LBB2056_186
; %bb.185:                              ;   in Loop: Header=BB2056_172 Depth=1
	s_waitcnt vmcnt(0) lgkmcnt(0)
	v_bcnt_u32_b32 v18, v18, v146
	flat_store_b32 v[112:113], v18
.LBB2056_186:                           ;   in Loop: Header=BB2056_172 Depth=1
	s_or_b32 exec_lo, exec_lo, s16
	v_cmp_ne_u16_e64 s16, 0x7fff, v179
	; wave barrier
	s_delay_alu instid0(VALU_DEP_1) | instskip(NEXT) | instid1(VALU_DEP_1)
	v_cndmask_b32_e64 v18, 0xffff8000, v179, s16
	v_and_b32_e32 v18, 0xffff, v18
	s_delay_alu instid0(VALU_DEP_1) | instskip(NEXT) | instid1(VALU_DEP_1)
	v_lshrrev_b32_e32 v18, v10, v18
	v_and_b32_e32 v18, v18, v114
	s_delay_alu instid0(VALU_DEP_1) | instskip(SKIP_3) | instid1(VALU_DEP_4)
	v_lshlrev_b32_e32 v19, 3, v18
	v_lshlrev_b32_e32 v21, 30, v18
	;; [unrolled: 1-line block ×4, first 2 shown]
	v_add_lshl_u32 v19, v19, v135, 2
	s_delay_alu instid0(VALU_DEP_1) | instskip(NEXT) | instid1(VALU_DEP_1)
	v_add_co_u32 v114, s16, v27, v19
	v_add_co_ci_u32_e64 v115, s16, 0, v39, s16
	v_and_b32_e32 v19, 1, v18
	flat_load_b32 v148, v[114:115]
	v_add_co_u32 v19, s16, v19, -1
	s_delay_alu instid0(VALU_DEP_1) | instskip(NEXT) | instid1(VALU_DEP_1)
	v_cndmask_b32_e64 v20, 0, 1, s16
	; wave barrier
	v_cmp_ne_u32_e64 s16, 0, v20
	v_not_b32_e32 v20, v21
	s_delay_alu instid0(VALU_DEP_2) | instskip(SKIP_1) | instid1(VALU_DEP_3)
	v_xor_b32_e32 v19, s16, v19
	v_cmp_gt_i32_e64 s16, 0, v21
	v_ashrrev_i32_e32 v20, 31, v20
	v_not_b32_e32 v21, v22
	s_delay_alu instid0(VALU_DEP_4) | instskip(NEXT) | instid1(VALU_DEP_3)
	v_and_b32_e32 v19, exec_lo, v19
	v_xor_b32_e32 v20, s16, v20
	v_cmp_gt_i32_e64 s16, 0, v22
	s_delay_alu instid0(VALU_DEP_4) | instskip(SKIP_1) | instid1(VALU_DEP_4)
	v_ashrrev_i32_e32 v21, 31, v21
	v_not_b32_e32 v22, v23
	v_and_b32_e32 v19, v19, v20
	v_lshlrev_b32_e32 v20, 27, v18
	s_delay_alu instid0(VALU_DEP_4) | instskip(SKIP_2) | instid1(VALU_DEP_4)
	v_xor_b32_e32 v21, s16, v21
	v_cmp_gt_i32_e64 s16, 0, v23
	v_ashrrev_i32_e32 v22, 31, v22
	v_not_b32_e32 v23, v20
	s_delay_alu instid0(VALU_DEP_4) | instskip(SKIP_1) | instid1(VALU_DEP_4)
	v_and_b32_e32 v19, v19, v21
	v_lshlrev_b32_e32 v21, 26, v18
	v_xor_b32_e32 v22, s16, v22
	v_cmp_gt_i32_e64 s16, 0, v20
	v_ashrrev_i32_e32 v20, 31, v23
	s_delay_alu instid0(VALU_DEP_4) | instskip(NEXT) | instid1(VALU_DEP_4)
	v_not_b32_e32 v23, v21
	v_and_b32_e32 v19, v19, v22
	v_lshlrev_b32_e32 v22, 25, v18
	s_delay_alu instid0(VALU_DEP_4)
	v_xor_b32_e32 v20, s16, v20
	v_cmp_gt_i32_e64 s16, 0, v21
	v_ashrrev_i32_e32 v21, 31, v23
	v_lshlrev_b32_e32 v18, 24, v18
	v_not_b32_e32 v23, v22
	v_and_b32_e32 v19, v19, v20
	s_delay_alu instid0(VALU_DEP_4) | instskip(SKIP_1) | instid1(VALU_DEP_4)
	v_xor_b32_e32 v20, s16, v21
	v_cmp_gt_i32_e64 s16, 0, v22
	v_ashrrev_i32_e32 v21, 31, v23
	v_not_b32_e32 v22, v18
	s_delay_alu instid0(VALU_DEP_4) | instskip(NEXT) | instid1(VALU_DEP_3)
	v_and_b32_e32 v19, v19, v20
	v_xor_b32_e32 v20, s16, v21
	v_cmp_gt_i32_e64 s16, 0, v18
	s_delay_alu instid0(VALU_DEP_4) | instskip(NEXT) | instid1(VALU_DEP_3)
	v_ashrrev_i32_e32 v18, 31, v22
	v_and_b32_e32 v19, v19, v20
	s_delay_alu instid0(VALU_DEP_2) | instskip(NEXT) | instid1(VALU_DEP_1)
	v_xor_b32_e32 v18, s16, v18
	v_and_b32_e32 v18, v19, v18
	s_delay_alu instid0(VALU_DEP_1) | instskip(SKIP_1) | instid1(VALU_DEP_2)
	v_mbcnt_lo_u32_b32 v149, v18, 0
	v_cmp_ne_u32_e64 s17, 0, v18
	v_cmp_eq_u32_e64 s16, 0, v149
	s_delay_alu instid0(VALU_DEP_1) | instskip(NEXT) | instid1(SALU_CYCLE_1)
	s_and_b32 s17, s17, s16
	s_and_saveexec_b32 s16, s17
	s_cbranch_execz .LBB2056_188
; %bb.187:                              ;   in Loop: Header=BB2056_172 Depth=1
	s_waitcnt vmcnt(0) lgkmcnt(0)
	v_bcnt_u32_b32 v18, v18, v148
	flat_store_b32 v[114:115], v18
.LBB2056_188:                           ;   in Loop: Header=BB2056_172 Depth=1
	s_or_b32 exec_lo, exec_lo, s16
	; wave barrier
	s_waitcnt vmcnt(0) lgkmcnt(0)
	s_waitcnt_vscnt null, 0x0
	s_barrier
	buffer_gl0_inv
	s_clause 0x1
	flat_load_b128 v[22:25], v[8:9] offset:32
	flat_load_b128 v[18:21], v[30:31] offset:16
	s_waitcnt vmcnt(1) lgkmcnt(1)
	v_add_nc_u32_e32 v117, v23, v22
	s_delay_alu instid0(VALU_DEP_1) | instskip(SKIP_1) | instid1(VALU_DEP_1)
	v_add3_u32 v117, v117, v24, v25
	s_waitcnt vmcnt(0) lgkmcnt(0)
	v_add3_u32 v117, v117, v18, v19
	s_delay_alu instid0(VALU_DEP_1) | instskip(NEXT) | instid1(VALU_DEP_1)
	v_add3_u32 v21, v117, v20, v21
	v_mov_b32_dpp v117, v21 row_shr:1 row_mask:0xf bank_mask:0xf
	s_delay_alu instid0(VALU_DEP_1) | instskip(NEXT) | instid1(VALU_DEP_1)
	v_cndmask_b32_e64 v117, v117, 0, vcc_lo
	v_add_nc_u32_e32 v21, v117, v21
	s_delay_alu instid0(VALU_DEP_1) | instskip(NEXT) | instid1(VALU_DEP_1)
	v_mov_b32_dpp v117, v21 row_shr:2 row_mask:0xf bank_mask:0xf
	v_cndmask_b32_e64 v117, 0, v117, s0
	s_delay_alu instid0(VALU_DEP_1) | instskip(NEXT) | instid1(VALU_DEP_1)
	v_add_nc_u32_e32 v21, v21, v117
	v_mov_b32_dpp v117, v21 row_shr:4 row_mask:0xf bank_mask:0xf
	s_delay_alu instid0(VALU_DEP_1) | instskip(NEXT) | instid1(VALU_DEP_1)
	v_cndmask_b32_e64 v117, 0, v117, s1
	v_add_nc_u32_e32 v21, v21, v117
	s_delay_alu instid0(VALU_DEP_1) | instskip(NEXT) | instid1(VALU_DEP_1)
	v_mov_b32_dpp v117, v21 row_shr:8 row_mask:0xf bank_mask:0xf
	v_cndmask_b32_e64 v117, 0, v117, s2
	s_delay_alu instid0(VALU_DEP_1) | instskip(SKIP_3) | instid1(VALU_DEP_1)
	v_add_nc_u32_e32 v21, v21, v117
	ds_swizzle_b32 v117, v21 offset:swizzle(BROADCAST,32,15)
	s_waitcnt lgkmcnt(0)
	v_cndmask_b32_e64 v117, v117, 0, s3
	v_add_nc_u32_e32 v21, v21, v117
	s_and_saveexec_b32 s16, s4
	s_cbranch_execz .LBB2056_190
; %bb.189:                              ;   in Loop: Header=BB2056_172 Depth=1
	flat_store_b32 v[32:33], v21
.LBB2056_190:                           ;   in Loop: Header=BB2056_172 Depth=1
	s_or_b32 exec_lo, exec_lo, s16
	s_waitcnt lgkmcnt(0)
	s_waitcnt_vscnt null, 0x0
	s_barrier
	buffer_gl0_inv
	s_and_saveexec_b32 s16, s5
	s_cbranch_execz .LBB2056_192
; %bb.191:                              ;   in Loop: Header=BB2056_172 Depth=1
	flat_load_b32 v117, v[35:36]
	s_waitcnt vmcnt(0) lgkmcnt(0)
	v_mov_b32_dpp v119, v117 row_shr:1 row_mask:0xf bank_mask:0xf
	s_delay_alu instid0(VALU_DEP_1) | instskip(NEXT) | instid1(VALU_DEP_1)
	v_cndmask_b32_e64 v119, v119, 0, s11
	v_add_nc_u32_e32 v117, v119, v117
	s_delay_alu instid0(VALU_DEP_1) | instskip(NEXT) | instid1(VALU_DEP_1)
	v_mov_b32_dpp v119, v117 row_shr:2 row_mask:0xf bank_mask:0xf
	v_cndmask_b32_e64 v119, 0, v119, s14
	s_delay_alu instid0(VALU_DEP_1) | instskip(NEXT) | instid1(VALU_DEP_1)
	v_add_nc_u32_e32 v117, v117, v119
	v_mov_b32_dpp v119, v117 row_shr:4 row_mask:0xf bank_mask:0xf
	s_delay_alu instid0(VALU_DEP_1) | instskip(NEXT) | instid1(VALU_DEP_1)
	v_cndmask_b32_e64 v119, 0, v119, s15
	v_add_nc_u32_e32 v117, v117, v119
	flat_store_b32 v[35:36], v117
.LBB2056_192:                           ;   in Loop: Header=BB2056_172 Depth=1
	s_or_b32 exec_lo, exec_lo, s16
	v_mov_b32_e32 v117, 0
	s_waitcnt lgkmcnt(0)
	s_waitcnt_vscnt null, 0x0
	s_barrier
	buffer_gl0_inv
	s_and_saveexec_b32 s16, s6
	s_cbranch_execz .LBB2056_194
; %bb.193:                              ;   in Loop: Header=BB2056_172 Depth=1
	flat_load_b32 v117, v[48:49]
.LBB2056_194:                           ;   in Loop: Header=BB2056_172 Depth=1
	s_or_b32 exec_lo, exec_lo, s16
	s_waitcnt vmcnt(0) lgkmcnt(0)
	v_add_nc_u32_e32 v21, v117, v21
	v_dual_mov_b32 v129, v5 :: v_dual_add_nc_u32 v10, 8, v10
	v_mov_b32_e32 v119, v5
	s_mov_b32 s18, -1
	ds_bpermute_b32 v21, v162, v21
	s_waitcnt lgkmcnt(0)
	v_cndmask_b32_e64 v21, v21, v117, s7
	v_mov_b32_e32 v117, v5
	s_delay_alu instid0(VALU_DEP_2) | instskip(NEXT) | instid1(VALU_DEP_1)
	v_cndmask_b32_e64 v21, v21, 0, s10
	v_add_nc_u32_e32 v22, v21, v22
	s_delay_alu instid0(VALU_DEP_1) | instskip(NEXT) | instid1(VALU_DEP_1)
	v_add_nc_u32_e32 v23, v22, v23
	v_add_nc_u32_e32 v24, v23, v24
	s_delay_alu instid0(VALU_DEP_1) | instskip(NEXT) | instid1(VALU_DEP_1)
	v_add_nc_u32_e32 v180, v24, v25
	;; [unrolled: 3-line block ×3, first 2 shown]
	v_add_nc_u32_e32 v183, v182, v20
	s_clause 0x1
	flat_store_b128 v[8:9], v[21:24] offset:32
	flat_store_b128 v[30:31], v[180:183] offset:16
	s_waitcnt lgkmcnt(0)
	s_waitcnt_vscnt null, 0x0
	s_barrier
	buffer_gl0_inv
	s_clause 0x7
	flat_load_b32 v18, v[84:85]
	flat_load_b32 v19, v[86:87]
	;; [unrolled: 1-line block ×8, first 2 shown]
	v_mov_b32_e32 v101, v5
	v_mov_b32_e32 v115, v5
	;; [unrolled: 1-line block ×4, first 2 shown]
	v_cmp_lt_u32_e64 s16, v10, v11
	s_waitcnt vmcnt(0) lgkmcnt(0)
	s_waitcnt_vscnt null, 0x0
                                        ; implicit-def: $vgpr181
                                        ; implicit-def: $vgpr180
	s_waitcnt vmcnt(7) lgkmcnt(7)
	v_add_nc_u32_e32 v4, v18, v4
	s_waitcnt vmcnt(6) lgkmcnt(6)
	v_add3_u32 v112, v118, v116, v19
	s_waitcnt vmcnt(5) lgkmcnt(5)
	v_add3_u32 v100, v130, v128, v20
	;; [unrolled: 2-line block ×4, first 2 shown]
	v_lshlrev_b64 v[18:19], 1, v[4:5]
	v_lshlrev_b64 v[20:21], 1, v[112:113]
	s_waitcnt vmcnt(2) lgkmcnt(2)
	v_add3_u32 v116, v145, v144, v23
	v_lshlrev_b64 v[22:23], 1, v[100:101]
	s_waitcnt vmcnt(0) lgkmcnt(0)
	v_add3_u32 v128, v149, v148, v25
	v_add3_u32 v118, v147, v146, v24
	v_add_co_u32 v150, s17, v12, v18
	s_delay_alu instid0(VALU_DEP_1) | instskip(SKIP_2) | instid1(VALU_DEP_1)
	v_add_co_ci_u32_e64 v151, s17, v13, v19, s17
	v_lshlrev_b64 v[24:25], 1, v[102:103]
	v_add_co_u32 v160, s17, v12, v20
	v_add_co_ci_u32_e64 v161, s17, v13, v21, s17
	v_lshlrev_b64 v[84:85], 1, v[114:115]
	v_lshlrev_b64 v[98:99], 1, v[128:129]
	v_add_co_u32 v129, s17, v12, v22
	s_delay_alu instid0(VALU_DEP_1) | instskip(SKIP_2) | instid1(VALU_DEP_1)
	v_add_co_ci_u32_e64 v130, s17, v13, v23, s17
	v_lshlrev_b64 v[86:87], 1, v[116:117]
	v_add_co_u32 v131, s17, v12, v24
	v_add_co_ci_u32_e64 v132, s17, v13, v25, s17
	v_lshlrev_b64 v[96:97], 1, v[118:119]
	v_add_co_u32 v133, s17, v12, v84
	s_delay_alu instid0(VALU_DEP_1) | instskip(SKIP_1) | instid1(VALU_DEP_1)
	v_add_co_ci_u32_e64 v134, s17, v13, v85, s17
	v_add_co_u32 v144, s17, v12, v86
	v_add_co_ci_u32_e64 v145, s17, v13, v87, s17
	v_add_co_u32 v146, s17, v12, v96
	s_delay_alu instid0(VALU_DEP_1) | instskip(SKIP_1) | instid1(VALU_DEP_1)
	v_add_co_ci_u32_e64 v147, s17, v13, v97, s17
	v_add_co_u32 v148, s17, v12, v98
	v_add_co_ci_u32_e64 v149, s17, v13, v99, s17
                                        ; implicit-def: $vgpr20_vgpr21
                                        ; implicit-def: $vgpr24_vgpr25
                                        ; implicit-def: $vgpr84_vgpr85
                                        ; implicit-def: $vgpr86_vgpr87
                                        ; implicit-def: $vgpr96_vgpr97
                                        ; implicit-def: $vgpr98_vgpr99
                                        ; implicit-def: $vgpr18_vgpr19
                                        ; implicit-def: $vgpr22_vgpr23
                                        ; implicit-def: $vgpr101
                                        ; implicit-def: $vgpr113
                                        ; implicit-def: $vgpr103
                                        ; implicit-def: $vgpr115
                                        ; implicit-def: $vgpr117
                                        ; implicit-def: $vgpr119
	s_and_saveexec_b32 s17, s16
	s_cbranch_execz .LBB2056_171
; %bb.195:                              ;   in Loop: Header=BB2056_172 Depth=1
	v_mad_u64_u32 v[18:19], null, v4, 6, v[150:151]
	v_mad_u64_u32 v[20:21], null, v112, 6, v[160:161]
	;; [unrolled: 1-line block ×8, first 2 shown]
	s_barrier
	buffer_gl0_inv
	s_clause 0x7
	flat_store_b16 v[150:151], v164
	flat_store_b16 v[160:161], v166
	;; [unrolled: 1-line block ×8, first 2 shown]
	s_waitcnt lgkmcnt(0)
	s_waitcnt_vscnt null, 0x0
	s_barrier
	buffer_gl0_inv
	s_clause 0x7
	flat_load_u16 v181, v[37:38]
	flat_load_u16 v101, v[37:38] offset:64
	flat_load_u16 v113, v[37:38] offset:128
	;; [unrolled: 1-line block ×7, first 2 shown]
	s_waitcnt vmcnt(0) lgkmcnt(0)
	s_barrier
	buffer_gl0_inv
	s_clause 0x7
	flat_store_b64 v[18:19], v[70:71]
	flat_store_b64 v[20:21], v[68:69]
	;; [unrolled: 1-line block ×8, first 2 shown]
	s_waitcnt lgkmcnt(0)
	s_waitcnt_vscnt null, 0x0
	s_barrier
	buffer_gl0_inv
	s_clause 0x7
	flat_load_b64 v[20:21], v[50:51]
	flat_load_b64 v[24:25], v[50:51] offset:256
	flat_load_b64 v[84:85], v[50:51] offset:512
	;; [unrolled: 1-line block ×7, first 2 shown]
	v_add_nc_u32_e32 v163, -8, v163
	s_xor_b32 s18, exec_lo, -1
	s_waitcnt vmcnt(0) lgkmcnt(0)
	s_barrier
	buffer_gl0_inv
	s_branch .LBB2056_171
.LBB2056_196:
	flat_load_b64 v[22:23], v[4:5]
	s_or_b32 exec_lo, exec_lo, s19
                                        ; implicit-def: $vgpr18_vgpr19
	s_and_saveexec_b32 s19, s0
	s_cbranch_execz .LBB2056_36
.LBB2056_197:
	flat_load_b64 v[18:19], v[4:5] offset:256
	s_or_b32 exec_lo, exec_lo, s19
                                        ; implicit-def: $vgpr20_vgpr21
	s_and_saveexec_b32 s0, s1
	s_cbranch_execz .LBB2056_37
.LBB2056_198:
	flat_load_b64 v[20:21], v[4:5] offset:512
	s_or_b32 exec_lo, exec_lo, s0
                                        ; implicit-def: $vgpr24_vgpr25
	s_and_saveexec_b32 s0, s2
	s_cbranch_execz .LBB2056_38
.LBB2056_199:
	flat_load_b64 v[24:25], v[4:5] offset:768
	s_or_b32 exec_lo, exec_lo, s0
                                        ; implicit-def: $vgpr116_vgpr117
	s_and_saveexec_b32 s0, s3
	s_cbranch_execz .LBB2056_39
.LBB2056_200:
	flat_load_b64 v[116:117], v[4:5] offset:1024
	s_or_b32 exec_lo, exec_lo, s0
                                        ; implicit-def: $vgpr134_vgpr135
	s_and_saveexec_b32 s0, s4
	s_cbranch_execz .LBB2056_40
.LBB2056_201:
	flat_load_b64 v[134:135], v[4:5] offset:1280
	s_or_b32 exec_lo, exec_lo, s0
                                        ; implicit-def: $vgpr178_vgpr179
	s_and_saveexec_b32 s0, s5
	s_cbranch_execz .LBB2056_41
.LBB2056_202:
	flat_load_b64 v[178:179], v[4:5] offset:1536
	s_or_b32 exec_lo, exec_lo, s0
                                        ; implicit-def: $vgpr192_vgpr193
	s_and_saveexec_b32 s0, s6
	s_cbranch_execz .LBB2056_42
.LBB2056_203:
	flat_load_b64 v[192:193], v[4:5] offset:1792
	s_or_b32 exec_lo, exec_lo, s0
                                        ; implicit-def: $vgpr194_vgpr195
	s_and_saveexec_b32 s0, s7
	s_cbranch_execz .LBB2056_43
.LBB2056_204:
	flat_load_b64 v[194:195], v[4:5] offset:2048
	s_or_b32 exec_lo, exec_lo, s0
                                        ; implicit-def: $vgpr196_vgpr197
	s_and_saveexec_b32 s0, s10
	s_cbranch_execz .LBB2056_44
.LBB2056_205:
	flat_load_b64 v[196:197], v[4:5] offset:2304
	s_or_b32 exec_lo, exec_lo, s0
                                        ; implicit-def: $vgpr198_vgpr199
	s_and_saveexec_b32 s0, s11
	s_cbranch_execz .LBB2056_45
.LBB2056_206:
	flat_load_b64 v[198:199], v[4:5] offset:2560
	s_or_b32 exec_lo, exec_lo, s0
                                        ; implicit-def: $vgpr208_vgpr209
	s_and_saveexec_b32 s0, s14
	s_cbranch_execz .LBB2056_46
.LBB2056_207:
	flat_load_b64 v[208:209], v[4:5] offset:2816
	s_or_b32 exec_lo, exec_lo, s0
                                        ; implicit-def: $vgpr210_vgpr211
	s_and_saveexec_b32 s0, s15
	s_cbranch_execz .LBB2056_47
.LBB2056_208:
	flat_load_b64 v[210:211], v[4:5] offset:3072
	s_or_b32 exec_lo, exec_lo, s0
                                        ; implicit-def: $vgpr212_vgpr213
	s_and_saveexec_b32 s0, s16
	s_cbranch_execz .LBB2056_48
.LBB2056_209:
	flat_load_b64 v[212:213], v[4:5] offset:3328
	s_or_b32 exec_lo, exec_lo, s0
                                        ; implicit-def: $vgpr214_vgpr215
	s_and_saveexec_b32 s0, s17
	s_cbranch_execz .LBB2056_49
.LBB2056_210:
	flat_load_b64 v[214:215], v[4:5] offset:3584
	s_or_b32 exec_lo, exec_lo, s0
                                        ; implicit-def: $vgpr224_vgpr225
	s_and_saveexec_b32 s0, s18
	s_cbranch_execnz .LBB2056_50
	s_branch .LBB2056_51
.LBB2056_211:
	flat_store_b64 v[0:1], v[48:49]
	s_or_b32 exec_lo, exec_lo, s19
	s_and_saveexec_b32 s19, s0
	s_cbranch_execz .LBB2056_127
.LBB2056_212:
	flat_store_b64 v[0:1], v[38:39] offset:2048
	s_or_b32 exec_lo, exec_lo, s19
	s_and_saveexec_b32 s0, s1
	s_cbranch_execz .LBB2056_128
.LBB2056_213:
	v_add_co_u32 v2, vcc_lo, 0x1000, v0
	v_add_co_ci_u32_e32 v3, vcc_lo, 0, v1, vcc_lo
	flat_store_b64 v[2:3], v[36:37]
	s_or_b32 exec_lo, exec_lo, s0
	s_and_saveexec_b32 s0, s2
	s_cbranch_execz .LBB2056_129
.LBB2056_214:
	v_add_co_u32 v2, vcc_lo, 0x1000, v0
	v_add_co_ci_u32_e32 v3, vcc_lo, 0, v1, vcc_lo
	flat_store_b64 v[2:3], v[34:35] offset:2048
	s_or_b32 exec_lo, exec_lo, s0
	s_and_saveexec_b32 s0, s3
	s_cbranch_execz .LBB2056_130
.LBB2056_215:
	v_add_co_u32 v2, vcc_lo, 0x2000, v0
	v_add_co_ci_u32_e32 v3, vcc_lo, 0, v1, vcc_lo
	flat_store_b64 v[2:3], v[32:33]
	s_or_b32 exec_lo, exec_lo, s0
	s_and_saveexec_b32 s0, s4
	s_cbranch_execz .LBB2056_131
.LBB2056_216:
	v_add_co_u32 v2, vcc_lo, 0x2000, v0
	v_add_co_ci_u32_e32 v3, vcc_lo, 0, v1, vcc_lo
	flat_store_b64 v[2:3], v[30:31] offset:2048
	s_or_b32 exec_lo, exec_lo, s0
	s_and_saveexec_b32 s0, s5
	s_cbranch_execz .LBB2056_132
.LBB2056_217:
	v_add_co_u32 v2, vcc_lo, 0x3000, v0
	v_add_co_ci_u32_e32 v3, vcc_lo, 0, v1, vcc_lo
	flat_store_b64 v[2:3], v[22:23]
	s_or_b32 exec_lo, exec_lo, s0
	s_and_saveexec_b32 s0, s6
	s_cbranch_execz .LBB2056_133
.LBB2056_218:
	v_add_co_u32 v2, vcc_lo, 0x3000, v0
	v_add_co_ci_u32_e32 v3, vcc_lo, 0, v1, vcc_lo
	flat_store_b64 v[2:3], v[18:19] offset:2048
	s_or_b32 exec_lo, exec_lo, s0
	s_and_saveexec_b32 s0, s7
	s_cbranch_execz .LBB2056_134
.LBB2056_219:
	v_add_co_u32 v2, vcc_lo, 0x4000, v0
	v_add_co_ci_u32_e32 v3, vcc_lo, 0, v1, vcc_lo
	flat_store_b64 v[2:3], v[24:25]
	s_or_b32 exec_lo, exec_lo, s0
	s_and_saveexec_b32 s0, s10
	s_cbranch_execz .LBB2056_135
.LBB2056_220:
	v_add_co_u32 v2, vcc_lo, 0x4000, v0
	v_add_co_ci_u32_e32 v3, vcc_lo, 0, v1, vcc_lo
	flat_store_b64 v[2:3], v[20:21] offset:2048
	s_or_b32 exec_lo, exec_lo, s0
	s_and_saveexec_b32 s0, s11
	s_cbranch_execz .LBB2056_136
.LBB2056_221:
	v_add_co_u32 v2, vcc_lo, 0x5000, v0
	v_add_co_ci_u32_e32 v3, vcc_lo, 0, v1, vcc_lo
	flat_store_b64 v[2:3], v[16:17]
	s_or_b32 exec_lo, exec_lo, s0
	s_and_saveexec_b32 s0, s14
	s_cbranch_execz .LBB2056_137
.LBB2056_222:
	v_add_co_u32 v2, vcc_lo, 0x5000, v0
	v_add_co_ci_u32_e32 v3, vcc_lo, 0, v1, vcc_lo
	flat_store_b64 v[2:3], v[14:15] offset:2048
	s_or_b32 exec_lo, exec_lo, s0
	s_and_saveexec_b32 s0, s15
	s_cbranch_execz .LBB2056_138
.LBB2056_223:
	v_add_co_u32 v2, vcc_lo, 0x6000, v0
	v_add_co_ci_u32_e32 v3, vcc_lo, 0, v1, vcc_lo
	flat_store_b64 v[2:3], v[12:13]
	s_or_b32 exec_lo, exec_lo, s0
	s_and_saveexec_b32 s0, s16
	s_cbranch_execz .LBB2056_139
.LBB2056_224:
	v_add_co_u32 v2, vcc_lo, 0x6000, v0
	v_add_co_ci_u32_e32 v3, vcc_lo, 0, v1, vcc_lo
	flat_store_b64 v[2:3], v[10:11] offset:2048
	s_or_b32 exec_lo, exec_lo, s0
	s_and_saveexec_b32 s0, s17
	s_cbranch_execz .LBB2056_140
.LBB2056_225:
	v_add_co_u32 v2, vcc_lo, 0x7000, v0
	v_add_co_ci_u32_e32 v3, vcc_lo, 0, v1, vcc_lo
	flat_store_b64 v[2:3], v[8:9]
	s_or_b32 exec_lo, exec_lo, s0
	s_and_saveexec_b32 s0, s18
	s_cbranch_execnz .LBB2056_141
	s_branch .LBB2056_142
.LBB2056_226:
	s_or_b32 exec_lo, exec_lo, s20
	v_lshlrev_b32_e32 v5, 1, v34
	v_mad_u64_u32 v[10:11], null, v4, 6, v[150:151]
	s_barrier
	buffer_gl0_inv
	v_add_co_u32 v8, vcc_lo, v12, v5
	v_mad_u64_u32 v[4:5], null, v112, 6, v[160:161]
	v_add_co_ci_u32_e32 v9, vcc_lo, 0, v13, vcc_lo
	s_clause 0x7
	flat_store_b16 v[150:151], v164
	flat_store_b16 v[160:161], v166
	;; [unrolled: 1-line block ×8, first 2 shown]
	s_waitcnt lgkmcnt(0)
	s_waitcnt_vscnt null, 0x0
	s_barrier
	buffer_gl0_inv
	s_clause 0x7
	flat_load_u16 v33, v[8:9]
	flat_load_u16 v32, v[8:9] offset:512
	flat_load_u16 v31, v[8:9] offset:1024
	;; [unrolled: 1-line block ×7, first 2 shown]
	s_waitcnt vmcnt(0) lgkmcnt(0)
	s_barrier
	buffer_gl0_inv
	s_clause 0x1
	flat_store_b64 v[10:11], v[70:71]
	flat_store_b64 v[4:5], v[68:69]
	v_mad_u64_u32 v[4:5], null, v100, 6, v[129:130]
	v_mad_u64_u32 v[10:11], null, v102, 6, v[131:132]
	;; [unrolled: 1-line block ×4, first 2 shown]
	s_clause 0x3
	flat_store_b64 v[4:5], v[66:67]
	flat_store_b64 v[10:11], v[64:65]
	;; [unrolled: 1-line block ×4, first 2 shown]
	v_mad_u64_u32 v[4:5], null, v34, 6, v[8:9]
	v_lshl_or_b32 v10, v34, 3, 0x2000
	v_mad_u64_u32 v[18:19], null, v118, 6, v[146:147]
	v_mad_u64_u32 v[20:21], null, v128, 6, v[148:149]
	s_clause 0x1
	flat_store_b64 v[18:19], v[80:81]
	flat_store_b64 v[20:21], v[82:83]
	v_add_co_u32 v8, vcc_lo, 0x1000, v4
	v_add_co_ci_u32_e32 v9, vcc_lo, 0, v5, vcc_lo
	v_add_co_u32 v10, vcc_lo, v12, v10
	v_add_co_ci_u32_e32 v11, vcc_lo, 0, v13, vcc_lo
	;; [unrolled: 2-line block ×3, first 2 shown]
	v_add_co_u32 v36, vcc_lo, 0x3000, v4
	s_waitcnt lgkmcnt(0)
	s_waitcnt_vscnt null, 0x0
	s_barrier
	buffer_gl0_inv
	v_add_co_ci_u32_e32 v37, vcc_lo, 0, v5, vcc_lo
	s_clause 0x7
	flat_load_b64 v[20:21], v[4:5]
	flat_load_b64 v[18:19], v[4:5] offset:2048
	flat_load_b64 v[16:17], v[8:9]
	flat_load_b64 v[14:15], v[8:9] offset:2048
	;; [unrolled: 2-line block ×4, first 2 shown]
	v_mov_b32_e32 v27, 0
	v_add_co_u32 v2, vcc_lo, v2, v28
	v_add_co_ci_u32_e32 v3, vcc_lo, v3, v29, vcc_lo
	s_delay_alu instid0(VALU_DEP_3)
	v_lshlrev_b64 v[34:35], 1, v[26:27]
	s_waitcnt vmcnt(0) lgkmcnt(0)
	s_barrier
	buffer_gl0_inv
	v_add_co_u32 v2, vcc_lo, v2, v34
	v_add_co_ci_u32_e32 v3, vcc_lo, v3, v35, vcc_lo
	v_cmp_lt_u32_e32 vcc_lo, v26, v47
	s_and_saveexec_b32 s1, vcc_lo
	s_cbranch_execz .LBB2056_228
; %bb.227:
	v_cmp_lt_i16_e64 s0, -1, v33
	s_delay_alu instid0(VALU_DEP_1) | instskip(NEXT) | instid1(VALU_DEP_1)
	v_cndmask_b32_e64 v28, 0xffff8000, -1, s0
	v_xor_b32_e32 v28, v28, v33
	flat_store_b16 v[2:3], v28
.LBB2056_228:
	s_or_b32 exec_lo, exec_lo, s1
	v_add_nc_u32_e32 v28, 0x100, v26
	s_delay_alu instid0(VALU_DEP_1) | instskip(NEXT) | instid1(VALU_DEP_1)
	v_cmp_lt_u32_e64 s0, v28, v47
	s_and_saveexec_b32 s2, s0
	s_cbranch_execz .LBB2056_230
; %bb.229:
	v_cmp_lt_i16_e64 s1, -1, v32
	s_delay_alu instid0(VALU_DEP_1) | instskip(NEXT) | instid1(VALU_DEP_1)
	v_cndmask_b32_e64 v28, 0xffff8000, -1, s1
	v_xor_b32_e32 v28, v28, v32
	flat_store_b16 v[2:3], v28 offset:512
.LBB2056_230:
	s_or_b32 exec_lo, exec_lo, s2
	v_add_nc_u32_e32 v28, 0x200, v26
	s_delay_alu instid0(VALU_DEP_1) | instskip(NEXT) | instid1(VALU_DEP_1)
	v_cmp_lt_u32_e64 s1, v28, v47
	s_and_saveexec_b32 s3, s1
	s_cbranch_execz .LBB2056_232
; %bb.231:
	v_cmp_lt_i16_e64 s2, -1, v31
	s_delay_alu instid0(VALU_DEP_1) | instskip(NEXT) | instid1(VALU_DEP_1)
	v_cndmask_b32_e64 v28, 0xffff8000, -1, s2
	v_xor_b32_e32 v28, v28, v31
	flat_store_b16 v[2:3], v28 offset:1024
.LBB2056_232:
	;; [unrolled: 13-line block ×7, first 2 shown]
	s_or_b32 exec_lo, exec_lo, s10
	v_lshlrev_b64 v[2:3], 3, v[26:27]
	v_add_co_u32 v0, s7, v6, v0
	s_delay_alu instid0(VALU_DEP_1) | instskip(NEXT) | instid1(VALU_DEP_2)
	v_add_co_ci_u32_e64 v1, s7, v7, v1, s7
	v_add_co_u32 v0, s7, v0, v2
	s_delay_alu instid0(VALU_DEP_1)
	v_add_co_ci_u32_e64 v1, s7, v1, v3, s7
	s_and_saveexec_b32 s7, vcc_lo
	s_cbranch_execnz .LBB2056_292
; %bb.243:
	s_or_b32 exec_lo, exec_lo, s7
	s_and_saveexec_b32 s7, s0
	s_cbranch_execnz .LBB2056_293
.LBB2056_244:
	s_or_b32 exec_lo, exec_lo, s7
	s_and_saveexec_b32 s0, s1
	s_cbranch_execnz .LBB2056_294
.LBB2056_245:
	s_or_b32 exec_lo, exec_lo, s0
	s_and_saveexec_b32 s0, s2
	s_cbranch_execnz .LBB2056_295
.LBB2056_246:
	s_or_b32 exec_lo, exec_lo, s0
	s_and_saveexec_b32 s0, s3
	s_cbranch_execnz .LBB2056_296
.LBB2056_247:
	s_or_b32 exec_lo, exec_lo, s0
	s_and_saveexec_b32 s0, s4
	s_cbranch_execnz .LBB2056_297
.LBB2056_248:
	s_or_b32 exec_lo, exec_lo, s0
	s_and_saveexec_b32 s0, s5
	s_cbranch_execnz .LBB2056_298
.LBB2056_249:
	s_or_b32 exec_lo, exec_lo, s0
	s_and_saveexec_b32 s0, s6
	s_cbranch_execz .LBB2056_251
.LBB2056_250:
	v_add_co_u32 v0, vcc_lo, 0x3000, v0
	v_add_co_ci_u32_e32 v1, vcc_lo, 0, v1, vcc_lo
	flat_store_b64 v[0:1], v[4:5] offset:2048
.LBB2056_251:
	s_or_b32 exec_lo, exec_lo, s0
                                        ; implicit-def: $vgpr47
                                        ; implicit-def: $vgpr0
                                        ; implicit-def: $vgpr1
                                        ; implicit-def: $vgpr2
                                        ; implicit-def: $vgpr3
                                        ; implicit-def: $vgpr4
                                        ; implicit-def: $vgpr5
                                        ; implicit-def: $vgpr6
                                        ; implicit-def: $vgpr7
                                        ; implicit-def: $vgpr8
                                        ; implicit-def: $vgpr10
                                        ; implicit-def: $vgpr11
                                        ; implicit-def: $vgpr12
                                        ; implicit-def: $vgpr13
                                        ; implicit-def: $vgpr14
                                        ; implicit-def: $vgpr15
                                        ; implicit-def: $vgpr34
                                        ; implicit-def: $vgpr16
.LBB2056_252:
	s_and_not1_saveexec_b32 s0, s19
	s_cbranch_execz .LBB2056_372
; %bb.253:
	s_mov_b32 s0, exec_lo
	v_cmpx_lt_u32_e32 0x200, v47
	s_xor_b32 s19, exec_lo, s0
	s_cbranch_execz .LBB2056_313
; %bb.254:
	s_load_b64 s[0:1], s[8:9], 0x0
	v_mov_b32_e32 v9, 0
	s_waitcnt lgkmcnt(0)
	s_cmp_lt_u32 s13, s1
	s_cselect_b32 s1, 14, 20
	s_delay_alu instid0(SALU_CYCLE_1) | instskip(SKIP_4) | instid1(SALU_CYCLE_1)
	s_add_u32 s2, s8, s1
	s_addc_u32 s3, s9, 0
	s_cmp_lt_u32 s12, s0
	global_load_u16 v17, v9, s[2:3]
	s_cselect_b32 s0, 12, 18
	s_add_u32 s0, s8, s0
	s_addc_u32 s1, s9, 0
	global_load_u16 v18, v9, s[0:1]
	s_waitcnt vmcnt(1)
	v_mad_u32_u24 v14, v15, v17, v14
	v_mov_b32_e32 v17, 0x7fff
	s_waitcnt vmcnt(0)
	s_delay_alu instid0(VALU_DEP_2) | instskip(SKIP_1) | instid1(VALU_DEP_2)
	v_mad_u64_u32 v[35:36], null, v14, v18, v[34:35]
	v_lshlrev_b32_e32 v18, 1, v16
	v_lshlrev_b32_e32 v14, 2, v35
	v_lshlrev_b64 v[37:38], 1, v[8:9]
	s_delay_alu instid0(VALU_DEP_2) | instskip(NEXT) | instid1(VALU_DEP_2)
	v_dual_mov_b32 v15, v9 :: v_dual_and_b32 v14, 0xffffff80, v14
	v_add_co_u32 v19, vcc_lo, v0, v37
	s_delay_alu instid0(VALU_DEP_3) | instskip(NEXT) | instid1(VALU_DEP_3)
	v_add_co_ci_u32_e32 v20, vcc_lo, v1, v38, vcc_lo
	v_lshlrev_b64 v[0:1], 1, v[14:15]
	s_delay_alu instid0(VALU_DEP_3) | instskip(SKIP_1) | instid1(VALU_DEP_4)
	v_add_co_u32 v18, vcc_lo, v19, v18
	v_or_b32_e32 v21, v14, v16
	v_add_co_ci_u32_e32 v19, vcc_lo, 0, v20, vcc_lo
	s_delay_alu instid0(VALU_DEP_3) | instskip(NEXT) | instid1(VALU_DEP_3)
	v_add_co_u32 v0, vcc_lo, v18, v0
	v_cmp_lt_u32_e64 s1, v21, v47
	s_delay_alu instid0(VALU_DEP_3) | instskip(SKIP_1) | instid1(VALU_DEP_3)
	v_add_co_ci_u32_e32 v1, vcc_lo, v19, v1, vcc_lo
	v_mov_b32_e32 v18, 0x7fff
	s_and_saveexec_b32 s0, s1
	s_cbranch_execz .LBB2056_256
; %bb.255:
	flat_load_u16 v18, v[0:1]
.LBB2056_256:
	s_or_b32 exec_lo, exec_lo, s0
	v_or_b32_e32 v19, 32, v21
	s_delay_alu instid0(VALU_DEP_1) | instskip(NEXT) | instid1(VALU_DEP_1)
	v_cmp_lt_u32_e64 s2, v19, v47
	s_and_saveexec_b32 s0, s2
	s_cbranch_execz .LBB2056_258
; %bb.257:
	flat_load_u16 v17, v[0:1] offset:64
.LBB2056_258:
	s_or_b32 exec_lo, exec_lo, s0
	v_or_b32_e32 v20, 64, v21
	v_mov_b32_e32 v19, 0x7fff
	s_delay_alu instid0(VALU_DEP_2) | instskip(SKIP_1) | instid1(VALU_DEP_2)
	v_cmp_lt_u32_e64 s0, v20, v47
	v_mov_b32_e32 v20, 0x7fff
	s_and_saveexec_b32 s3, s0
	s_cbranch_execz .LBB2056_260
; %bb.259:
	flat_load_u16 v20, v[0:1] offset:128
.LBB2056_260:
	s_or_b32 exec_lo, exec_lo, s3
	v_or_b32_e32 v21, 0x60, v21
	s_delay_alu instid0(VALU_DEP_1)
	v_cmp_lt_u32_e32 vcc_lo, v21, v47
	s_and_saveexec_b32 s3, vcc_lo
	s_cbranch_execz .LBB2056_262
; %bb.261:
	flat_load_u16 v19, v[0:1] offset:192
.LBB2056_262:
	s_or_b32 exec_lo, exec_lo, s3
	v_lshlrev_b64 v[0:1], 3, v[8:9]
	v_lshlrev_b32_e32 v8, 3, v16
                                        ; implicit-def: $vgpr22_vgpr23_vgpr24_vgpr25_vgpr26_vgpr27_vgpr28_vgpr29
	s_delay_alu instid0(VALU_DEP_2) | instskip(NEXT) | instid1(VALU_DEP_1)
	v_add_co_u32 v9, s3, v4, v0
	v_add_co_ci_u32_e64 v21, s3, v5, v1, s3
	v_lshlrev_b64 v[4:5], 3, v[14:15]
	s_delay_alu instid0(VALU_DEP_3) | instskip(NEXT) | instid1(VALU_DEP_1)
	v_add_co_u32 v8, s3, v9, v8
	v_add_co_ci_u32_e64 v9, s3, 0, v21, s3
	s_delay_alu instid0(VALU_DEP_2) | instskip(NEXT) | instid1(VALU_DEP_1)
	v_add_co_u32 v4, s3, v8, v4
	v_add_co_ci_u32_e64 v5, s3, v9, v5, s3
	s_and_saveexec_b32 s3, s1
	s_cbranch_execnz .LBB2056_337
; %bb.263:
	s_or_b32 exec_lo, exec_lo, s3
	s_and_saveexec_b32 s1, s2
	s_cbranch_execnz .LBB2056_338
.LBB2056_264:
	s_or_b32 exec_lo, exec_lo, s1
	s_and_saveexec_b32 s1, s0
	s_cbranch_execnz .LBB2056_339
.LBB2056_265:
	s_or_b32 exec_lo, exec_lo, s1
	s_and_saveexec_b32 s0, vcc_lo
	s_cbranch_execz .LBB2056_267
.LBB2056_266:
	flat_load_b64 v[28:29], v[4:5] offset:768
.LBB2056_267:
	s_or_b32 exec_lo, exec_lo, s0
	s_waitcnt vmcnt(0) lgkmcnt(0)
	v_cmp_lt_i16_e32 vcc_lo, -1, v18
	s_mov_b32 s20, 0
	s_getpc_b64 s[0:1]
	s_add_u32 s0, s0, _ZN7rocprim17ROCPRIM_400000_NS16block_radix_sortI12hip_bfloat16Lj256ELj4ElLj1ELj1ELj8ELNS0_26block_radix_rank_algorithmE2ELNS0_18block_padding_hintE2ELNS0_4arch9wavefront6targetE0EE19radix_bits_per_passE@rel32@lo+4
	s_addc_u32 s1, s1, _ZN7rocprim17ROCPRIM_400000_NS16block_radix_sortI12hip_bfloat16Lj256ELj4ElLj1ELj1ELj8ELNS0_26block_radix_rank_algorithmE2ELNS0_18block_padding_hintE2ELNS0_4arch9wavefront6targetE0EE19radix_bits_per_passE@rel32@hi+12
	s_mov_b32 s21, s20
	s_mov_b32 s22, s20
	v_cndmask_b32_e64 v4, -1, 0xffff8000, vcc_lo
	v_cmp_lt_i16_e32 vcc_lo, -1, v17
	s_mov_b32 s23, s20
	s_delay_alu instid0(SALU_CYCLE_1) | instskip(NEXT) | instid1(VALU_DEP_3)
	v_dual_mov_b32 v33, s23 :: v_dual_and_b32 v14, 15, v16
	v_xor_b32_e32 v113, v4, v18
	v_cndmask_b32_e64 v5, -1, 0xffff8000, vcc_lo
	v_cmp_lt_i16_e32 vcc_lo, -1, v20
	v_lshlrev_b32_e32 v4, 5, v34
	v_dual_mov_b32 v32, s22 :: v_dual_and_b32 v15, 0x3e0, v34
	s_delay_alu instid0(VALU_DEP_4)
	v_xor_b32_e32 v69, v5, v17
	v_cndmask_b32_e64 v8, -1, 0xffff8000, vcc_lo
	v_cmp_lt_i16_e32 vcc_lo, -1, v19
	v_add_nc_u32_e32 v17, -1, v16
	v_mov_b32_e32 v5, 0
	s_load_b32 s25, s[0:1], 0x0
	v_xor_b32_e32 v71, v8, v20
	v_cndmask_b32_e64 v9, -1, 0xffff8000, vcc_lo
	v_add_co_u32 v36, vcc_lo, v12, 32
	v_add_co_ci_u32_e32 v39, vcc_lo, 0, v13, vcc_lo
	v_add_co_u32 v8, vcc_lo, v12, v4
	v_cmp_gt_i32_e64 s4, 0, v17
	v_xor_b32_e32 v112, v9, v19
	v_add_co_ci_u32_e32 v9, vcc_lo, 0, v13, vcc_lo
	v_add_co_u32 v48, vcc_lo, v36, v4
	v_add_co_ci_u32_e32 v49, vcc_lo, 0, v39, vcc_lo
	v_cmp_eq_u32_e32 vcc_lo, 0, v14
	v_cmp_lt_u32_e64 s0, 1, v14
	v_cmp_lt_u32_e64 s1, 3, v14
	;; [unrolled: 1-line block ×3, first 2 shown]
	v_cndmask_b32_e64 v14, v17, v16, s4
	v_min_u32_e32 v4, 0xe0, v15
	v_dual_mov_b32 v30, s20 :: v_dual_and_b32 v15, 16, v16
	v_cmp_eq_u32_e64 s7, 0, v16
	s_delay_alu instid0(VALU_DEP_4)
	v_dual_mov_b32 v31, s21 :: v_dual_lshlrev_b32 v98, 2, v14
	v_lshlrev_b32_e32 v14, 2, v34
	v_or_b32_e32 v4, 31, v4
	v_cmp_eq_u32_e64 s3, 0, v15
	v_lshrrev_b32_e32 v15, 5, v34
	v_and_b32_e32 v17, 7, v16
	v_and_or_b32 v16, 0xf80, v14, v16
	v_cmp_eq_u32_e64 s4, v4, v34
	v_lshrrev_b32_e32 v87, 5, v35
	v_lshlrev_b32_e32 v4, 2, v15
	v_cmp_gt_u32_e64 s5, 8, v34
	v_lshlrev_b32_e32 v18, 1, v16
	v_cmp_lt_u32_e64 s6, 31, v34
	v_cmp_eq_u32_e64 s10, 0, v34
	v_add_co_u32 v50, s11, v12, v4
	v_add_nc_u32_e32 v4, -1, v15
	v_add_co_u32 v54, s16, v12, v18
	v_add_co_ci_u32_e64 v51, s11, 0, v13, s11
	v_add_co_u32 v52, s11, v12, v14
	s_delay_alu instid0(VALU_DEP_4) | instskip(SKIP_3) | instid1(VALU_DEP_3)
	v_lshlrev_b64 v[14:15], 2, v[4:5]
	v_add_co_ci_u32_e64 v55, s16, 0, v13, s16
	v_add_co_ci_u32_e64 v53, s11, 0, v13, s11
	v_cmp_eq_u32_e64 s11, 0, v17
	v_mad_u64_u32 v[66:67], null, v16, 6, v[54:55]
	v_add_co_u32 v64, s16, v12, v14
	v_cmp_lt_u32_e64 s14, 1, v17
	v_cmp_lt_u32_e64 s15, 3, v17
	v_add_co_ci_u32_e64 v65, s16, v13, v15, s16
	v_sub_nc_u32_e32 v99, v11, v10
	s_waitcnt lgkmcnt(0)
	s_waitcnt_vscnt null, 0x0
	s_barrier
	buffer_gl0_inv
	s_branch .LBB2056_269
.LBB2056_268:                           ;   in Loop: Header=BB2056_269 Depth=1
	s_or_b32 exec_lo, exec_lo, s17
	s_delay_alu instid0(SALU_CYCLE_1) | instskip(NEXT) | instid1(SALU_CYCLE_1)
	s_and_b32 s16, exec_lo, s18
	s_or_b32 s20, s16, s20
	s_delay_alu instid0(SALU_CYCLE_1)
	s_and_not1_b32 exec_lo, exec_lo, s20
	s_cbranch_execz .LBB2056_299
.LBB2056_269:                           ; =>This Inner Loop Header: Depth=1
	v_mov_b32_e32 v100, v113
	v_min_u32_e32 v4, s25, v99
	v_mov_b32_e32 v102, v71
	s_clause 0x1
	flat_store_b128 v[8:9], v[30:33] offset:32
	flat_store_b128 v[48:49], v[30:33] offset:16
	s_waitcnt lgkmcnt(0)
	s_waitcnt_vscnt null, 0x0
	v_cmp_ne_u16_e64 s16, 0x7fff, v100
	v_lshlrev_b32_e64 v4, v4, -1
	s_barrier
	buffer_gl0_inv
	v_cndmask_b32_e64 v14, 0xffff8000, v100, s16
	v_not_b32_e32 v82, v4
	; wave barrier
	v_mov_b32_e32 v103, v69
	s_delay_alu instid0(VALU_DEP_3) | instskip(NEXT) | instid1(VALU_DEP_1)
	v_dual_mov_b32 v101, v112 :: v_dual_and_b32 v14, 0xffff, v14
	v_lshrrev_b32_e32 v4, v10, v14
	s_delay_alu instid0(VALU_DEP_1) | instskip(NEXT) | instid1(VALU_DEP_1)
	v_and_b32_e32 v4, v4, v82
	v_and_b32_e32 v14, 1, v4
	v_lshlrev_b32_e32 v15, 30, v4
	v_lshlrev_b32_e32 v16, 29, v4
	;; [unrolled: 1-line block ×4, first 2 shown]
	v_add_co_u32 v14, s16, v14, -1
	s_delay_alu instid0(VALU_DEP_1)
	v_cndmask_b32_e64 v18, 0, 1, s16
	v_not_b32_e32 v68, v15
	v_cmp_gt_i32_e64 s17, 0, v15
	v_not_b32_e32 v15, v16
	v_lshlrev_b32_e32 v20, 26, v4
	v_cmp_ne_u32_e64 s16, 0, v18
	v_ashrrev_i32_e32 v68, 31, v68
	v_lshlrev_b32_e32 v21, 25, v4
	v_ashrrev_i32_e32 v15, 31, v15
	v_lshlrev_b32_e32 v18, 24, v4
	v_xor_b32_e32 v14, s16, v14
	v_cmp_gt_i32_e64 s16, 0, v16
	v_not_b32_e32 v16, v17
	v_xor_b32_e32 v68, s17, v68
	v_cmp_gt_i32_e64 s17, 0, v17
	v_and_b32_e32 v14, exec_lo, v14
	v_not_b32_e32 v17, v19
	v_ashrrev_i32_e32 v16, 31, v16
	v_xor_b32_e32 v15, s16, v15
	v_cmp_gt_i32_e64 s16, 0, v19
	v_and_b32_e32 v14, v14, v68
	v_not_b32_e32 v19, v20
	v_ashrrev_i32_e32 v17, 31, v17
	v_xor_b32_e32 v16, s17, v16
	v_cmp_gt_i32_e64 s17, 0, v20
	v_and_b32_e32 v14, v14, v15
	;; [unrolled: 5-line block ×4, first 2 shown]
	v_ashrrev_i32_e32 v16, 31, v16
	v_xor_b32_e32 v15, s16, v15
	s_delay_alu instid0(VALU_DEP_3) | instskip(NEXT) | instid1(VALU_DEP_3)
	v_and_b32_e32 v14, v14, v19
	v_xor_b32_e32 v68, s17, v16
	s_delay_alu instid0(VALU_DEP_2)
	v_and_b32_e32 v70, v14, v15
	v_dual_mov_b32 v14, v22 :: v_dual_mov_b32 v15, v23
	v_dual_mov_b32 v16, v24 :: v_dual_mov_b32 v17, v25
	;; [unrolled: 1-line block ×4, first 2 shown]
	v_lshlrev_b32_e32 v23, 3, v4
	v_and_b32_e32 v22, v70, v68
	s_delay_alu instid0(VALU_DEP_2) | instskip(NEXT) | instid1(VALU_DEP_2)
	v_add_lshl_u32 v23, v23, v87, 2
	v_mbcnt_lo_u32_b32 v4, v22, 0
	v_cmp_ne_u32_e64 s16, 0, v22
	s_delay_alu instid0(VALU_DEP_3) | instskip(NEXT) | instid1(VALU_DEP_3)
	v_add_co_u32 v68, s18, v36, v23
	v_cmp_eq_u32_e64 s17, 0, v4
	v_add_co_ci_u32_e64 v69, s18, 0, v39, s18
	s_delay_alu instid0(VALU_DEP_2) | instskip(NEXT) | instid1(SALU_CYCLE_1)
	s_and_b32 s17, s16, s17
	s_and_saveexec_b32 s16, s17
	s_cbranch_execz .LBB2056_271
; %bb.270:                              ;   in Loop: Header=BB2056_269 Depth=1
	v_bcnt_u32_b32 v22, v22, 0
	flat_store_b32 v[68:69], v22
.LBB2056_271:                           ;   in Loop: Header=BB2056_269 Depth=1
	s_or_b32 exec_lo, exec_lo, s16
	v_cmp_ne_u16_e64 s16, 0x7fff, v103
	; wave barrier
	s_delay_alu instid0(VALU_DEP_1) | instskip(NEXT) | instid1(VALU_DEP_1)
	v_cndmask_b32_e64 v22, 0xffff8000, v103, s16
	v_and_b32_e32 v22, 0xffff, v22
	s_delay_alu instid0(VALU_DEP_1) | instskip(NEXT) | instid1(VALU_DEP_1)
	v_lshrrev_b32_e32 v22, v10, v22
	v_and_b32_e32 v22, v22, v82
	s_delay_alu instid0(VALU_DEP_1) | instskip(SKIP_3) | instid1(VALU_DEP_4)
	v_lshlrev_b32_e32 v23, 3, v22
	v_lshlrev_b32_e32 v25, 30, v22
	;; [unrolled: 1-line block ×4, first 2 shown]
	v_add_lshl_u32 v23, v23, v87, 2
	s_delay_alu instid0(VALU_DEP_1) | instskip(NEXT) | instid1(VALU_DEP_1)
	v_add_co_u32 v70, s16, v36, v23
	v_add_co_ci_u32_e64 v71, s16, 0, v39, s16
	v_and_b32_e32 v23, 1, v22
	flat_load_b32 v84, v[70:71]
	v_add_co_u32 v23, s16, v23, -1
	s_delay_alu instid0(VALU_DEP_1) | instskip(NEXT) | instid1(VALU_DEP_1)
	v_cndmask_b32_e64 v24, 0, 1, s16
	; wave barrier
	v_cmp_ne_u32_e64 s16, 0, v24
	v_not_b32_e32 v24, v25
	s_delay_alu instid0(VALU_DEP_2) | instskip(SKIP_1) | instid1(VALU_DEP_3)
	v_xor_b32_e32 v23, s16, v23
	v_cmp_gt_i32_e64 s16, 0, v25
	v_ashrrev_i32_e32 v24, 31, v24
	v_not_b32_e32 v25, v26
	s_delay_alu instid0(VALU_DEP_4) | instskip(NEXT) | instid1(VALU_DEP_3)
	v_and_b32_e32 v23, exec_lo, v23
	v_xor_b32_e32 v24, s16, v24
	v_cmp_gt_i32_e64 s16, 0, v26
	s_delay_alu instid0(VALU_DEP_4) | instskip(SKIP_1) | instid1(VALU_DEP_4)
	v_ashrrev_i32_e32 v25, 31, v25
	v_not_b32_e32 v26, v27
	v_and_b32_e32 v23, v23, v24
	v_lshlrev_b32_e32 v24, 27, v22
	s_delay_alu instid0(VALU_DEP_4) | instskip(SKIP_2) | instid1(VALU_DEP_4)
	v_xor_b32_e32 v25, s16, v25
	v_cmp_gt_i32_e64 s16, 0, v27
	v_ashrrev_i32_e32 v26, 31, v26
	v_not_b32_e32 v27, v24
	s_delay_alu instid0(VALU_DEP_4) | instskip(SKIP_1) | instid1(VALU_DEP_4)
	v_and_b32_e32 v23, v23, v25
	v_lshlrev_b32_e32 v25, 26, v22
	v_xor_b32_e32 v26, s16, v26
	v_cmp_gt_i32_e64 s16, 0, v24
	v_ashrrev_i32_e32 v24, 31, v27
	s_delay_alu instid0(VALU_DEP_4) | instskip(NEXT) | instid1(VALU_DEP_4)
	v_not_b32_e32 v27, v25
	v_and_b32_e32 v23, v23, v26
	v_lshlrev_b32_e32 v26, 25, v22
	s_delay_alu instid0(VALU_DEP_4)
	v_xor_b32_e32 v24, s16, v24
	v_cmp_gt_i32_e64 s16, 0, v25
	v_ashrrev_i32_e32 v25, 31, v27
	v_lshlrev_b32_e32 v22, 24, v22
	v_not_b32_e32 v27, v26
	v_and_b32_e32 v23, v23, v24
	s_delay_alu instid0(VALU_DEP_4) | instskip(SKIP_1) | instid1(VALU_DEP_4)
	v_xor_b32_e32 v24, s16, v25
	v_cmp_gt_i32_e64 s16, 0, v26
	v_ashrrev_i32_e32 v25, 31, v27
	v_not_b32_e32 v26, v22
	s_delay_alu instid0(VALU_DEP_4) | instskip(NEXT) | instid1(VALU_DEP_3)
	v_and_b32_e32 v23, v23, v24
	v_xor_b32_e32 v24, s16, v25
	v_cmp_gt_i32_e64 s16, 0, v22
	s_delay_alu instid0(VALU_DEP_4) | instskip(NEXT) | instid1(VALU_DEP_3)
	v_ashrrev_i32_e32 v22, 31, v26
	v_and_b32_e32 v23, v23, v24
	s_delay_alu instid0(VALU_DEP_2) | instskip(NEXT) | instid1(VALU_DEP_1)
	v_xor_b32_e32 v22, s16, v22
	v_and_b32_e32 v22, v23, v22
	s_delay_alu instid0(VALU_DEP_1) | instskip(SKIP_1) | instid1(VALU_DEP_2)
	v_mbcnt_lo_u32_b32 v85, v22, 0
	v_cmp_ne_u32_e64 s17, 0, v22
	v_cmp_eq_u32_e64 s16, 0, v85
	s_delay_alu instid0(VALU_DEP_1) | instskip(NEXT) | instid1(SALU_CYCLE_1)
	s_and_b32 s17, s17, s16
	s_and_saveexec_b32 s16, s17
	s_cbranch_execz .LBB2056_273
; %bb.272:                              ;   in Loop: Header=BB2056_269 Depth=1
	s_waitcnt vmcnt(0) lgkmcnt(0)
	v_bcnt_u32_b32 v22, v22, v84
	flat_store_b32 v[70:71], v22
.LBB2056_273:                           ;   in Loop: Header=BB2056_269 Depth=1
	s_or_b32 exec_lo, exec_lo, s16
	v_cmp_ne_u16_e64 s16, 0x7fff, v102
	; wave barrier
	s_delay_alu instid0(VALU_DEP_1) | instskip(NEXT) | instid1(VALU_DEP_1)
	v_cndmask_b32_e64 v22, 0xffff8000, v102, s16
	v_and_b32_e32 v22, 0xffff, v22
	s_delay_alu instid0(VALU_DEP_1) | instskip(NEXT) | instid1(VALU_DEP_1)
	v_lshrrev_b32_e32 v22, v10, v22
	v_and_b32_e32 v22, v22, v82
	s_delay_alu instid0(VALU_DEP_1) | instskip(SKIP_3) | instid1(VALU_DEP_4)
	v_lshlrev_b32_e32 v23, 3, v22
	v_lshlrev_b32_e32 v25, 30, v22
	;; [unrolled: 1-line block ×4, first 2 shown]
	v_add_lshl_u32 v23, v23, v87, 2
	s_delay_alu instid0(VALU_DEP_1) | instskip(NEXT) | instid1(VALU_DEP_1)
	v_add_co_u32 v80, s16, v36, v23
	v_add_co_ci_u32_e64 v81, s16, 0, v39, s16
	v_and_b32_e32 v23, 1, v22
	flat_load_b32 v86, v[80:81]
	v_add_co_u32 v23, s16, v23, -1
	s_delay_alu instid0(VALU_DEP_1) | instskip(NEXT) | instid1(VALU_DEP_1)
	v_cndmask_b32_e64 v24, 0, 1, s16
	; wave barrier
	v_cmp_ne_u32_e64 s16, 0, v24
	v_not_b32_e32 v24, v25
	s_delay_alu instid0(VALU_DEP_2) | instskip(SKIP_1) | instid1(VALU_DEP_3)
	v_xor_b32_e32 v23, s16, v23
	v_cmp_gt_i32_e64 s16, 0, v25
	v_ashrrev_i32_e32 v24, 31, v24
	v_not_b32_e32 v25, v26
	s_delay_alu instid0(VALU_DEP_4) | instskip(NEXT) | instid1(VALU_DEP_3)
	v_and_b32_e32 v23, exec_lo, v23
	v_xor_b32_e32 v24, s16, v24
	v_cmp_gt_i32_e64 s16, 0, v26
	s_delay_alu instid0(VALU_DEP_4) | instskip(SKIP_1) | instid1(VALU_DEP_4)
	v_ashrrev_i32_e32 v25, 31, v25
	v_not_b32_e32 v26, v27
	v_and_b32_e32 v23, v23, v24
	v_lshlrev_b32_e32 v24, 27, v22
	s_delay_alu instid0(VALU_DEP_4) | instskip(SKIP_2) | instid1(VALU_DEP_4)
	v_xor_b32_e32 v25, s16, v25
	v_cmp_gt_i32_e64 s16, 0, v27
	v_ashrrev_i32_e32 v26, 31, v26
	v_not_b32_e32 v27, v24
	s_delay_alu instid0(VALU_DEP_4) | instskip(SKIP_1) | instid1(VALU_DEP_4)
	v_and_b32_e32 v23, v23, v25
	v_lshlrev_b32_e32 v25, 26, v22
	v_xor_b32_e32 v26, s16, v26
	v_cmp_gt_i32_e64 s16, 0, v24
	v_ashrrev_i32_e32 v24, 31, v27
	s_delay_alu instid0(VALU_DEP_4) | instskip(NEXT) | instid1(VALU_DEP_4)
	v_not_b32_e32 v27, v25
	v_and_b32_e32 v23, v23, v26
	v_lshlrev_b32_e32 v26, 25, v22
	s_delay_alu instid0(VALU_DEP_4)
	v_xor_b32_e32 v24, s16, v24
	v_cmp_gt_i32_e64 s16, 0, v25
	v_ashrrev_i32_e32 v25, 31, v27
	v_lshlrev_b32_e32 v22, 24, v22
	v_not_b32_e32 v27, v26
	v_and_b32_e32 v23, v23, v24
	s_delay_alu instid0(VALU_DEP_4) | instskip(SKIP_1) | instid1(VALU_DEP_4)
	v_xor_b32_e32 v24, s16, v25
	v_cmp_gt_i32_e64 s16, 0, v26
	v_ashrrev_i32_e32 v25, 31, v27
	v_not_b32_e32 v26, v22
	s_delay_alu instid0(VALU_DEP_4) | instskip(NEXT) | instid1(VALU_DEP_3)
	v_and_b32_e32 v23, v23, v24
	v_xor_b32_e32 v24, s16, v25
	v_cmp_gt_i32_e64 s16, 0, v22
	s_delay_alu instid0(VALU_DEP_4) | instskip(NEXT) | instid1(VALU_DEP_3)
	v_ashrrev_i32_e32 v22, 31, v26
	v_and_b32_e32 v23, v23, v24
	s_delay_alu instid0(VALU_DEP_2) | instskip(NEXT) | instid1(VALU_DEP_1)
	v_xor_b32_e32 v22, s16, v22
	v_and_b32_e32 v22, v23, v22
	s_delay_alu instid0(VALU_DEP_1) | instskip(SKIP_1) | instid1(VALU_DEP_2)
	v_mbcnt_lo_u32_b32 v96, v22, 0
	v_cmp_ne_u32_e64 s17, 0, v22
	v_cmp_eq_u32_e64 s16, 0, v96
	s_delay_alu instid0(VALU_DEP_1) | instskip(NEXT) | instid1(SALU_CYCLE_1)
	s_and_b32 s17, s17, s16
	s_and_saveexec_b32 s16, s17
	s_cbranch_execz .LBB2056_275
; %bb.274:                              ;   in Loop: Header=BB2056_269 Depth=1
	s_waitcnt vmcnt(0) lgkmcnt(0)
	v_bcnt_u32_b32 v22, v22, v86
	flat_store_b32 v[80:81], v22
.LBB2056_275:                           ;   in Loop: Header=BB2056_269 Depth=1
	s_or_b32 exec_lo, exec_lo, s16
	v_cmp_ne_u16_e64 s16, 0x7fff, v101
	; wave barrier
	s_delay_alu instid0(VALU_DEP_1) | instskip(NEXT) | instid1(VALU_DEP_1)
	v_cndmask_b32_e64 v22, 0xffff8000, v101, s16
	v_and_b32_e32 v22, 0xffff, v22
	s_delay_alu instid0(VALU_DEP_1) | instskip(NEXT) | instid1(VALU_DEP_1)
	v_lshrrev_b32_e32 v22, v10, v22
	v_and_b32_e32 v22, v22, v82
	s_delay_alu instid0(VALU_DEP_1) | instskip(SKIP_3) | instid1(VALU_DEP_4)
	v_lshlrev_b32_e32 v23, 3, v22
	v_lshlrev_b32_e32 v25, 30, v22
	v_lshlrev_b32_e32 v26, 29, v22
	v_lshlrev_b32_e32 v27, 28, v22
	v_add_lshl_u32 v23, v23, v87, 2
	s_delay_alu instid0(VALU_DEP_1) | instskip(NEXT) | instid1(VALU_DEP_1)
	v_add_co_u32 v82, s16, v36, v23
	v_add_co_ci_u32_e64 v83, s16, 0, v39, s16
	v_and_b32_e32 v23, 1, v22
	flat_load_b32 v97, v[82:83]
	v_add_co_u32 v23, s16, v23, -1
	s_delay_alu instid0(VALU_DEP_1) | instskip(NEXT) | instid1(VALU_DEP_1)
	v_cndmask_b32_e64 v24, 0, 1, s16
	; wave barrier
	v_cmp_ne_u32_e64 s16, 0, v24
	v_not_b32_e32 v24, v25
	s_delay_alu instid0(VALU_DEP_2) | instskip(SKIP_1) | instid1(VALU_DEP_3)
	v_xor_b32_e32 v23, s16, v23
	v_cmp_gt_i32_e64 s16, 0, v25
	v_ashrrev_i32_e32 v24, 31, v24
	v_not_b32_e32 v25, v26
	s_delay_alu instid0(VALU_DEP_4) | instskip(NEXT) | instid1(VALU_DEP_3)
	v_and_b32_e32 v23, exec_lo, v23
	v_xor_b32_e32 v24, s16, v24
	v_cmp_gt_i32_e64 s16, 0, v26
	s_delay_alu instid0(VALU_DEP_4) | instskip(SKIP_1) | instid1(VALU_DEP_4)
	v_ashrrev_i32_e32 v25, 31, v25
	v_not_b32_e32 v26, v27
	v_and_b32_e32 v23, v23, v24
	v_lshlrev_b32_e32 v24, 27, v22
	s_delay_alu instid0(VALU_DEP_4) | instskip(SKIP_2) | instid1(VALU_DEP_4)
	v_xor_b32_e32 v25, s16, v25
	v_cmp_gt_i32_e64 s16, 0, v27
	v_ashrrev_i32_e32 v26, 31, v26
	v_not_b32_e32 v27, v24
	s_delay_alu instid0(VALU_DEP_4) | instskip(SKIP_1) | instid1(VALU_DEP_4)
	v_and_b32_e32 v23, v23, v25
	v_lshlrev_b32_e32 v25, 26, v22
	v_xor_b32_e32 v26, s16, v26
	v_cmp_gt_i32_e64 s16, 0, v24
	v_ashrrev_i32_e32 v24, 31, v27
	s_delay_alu instid0(VALU_DEP_4) | instskip(NEXT) | instid1(VALU_DEP_4)
	v_not_b32_e32 v27, v25
	v_and_b32_e32 v23, v23, v26
	v_lshlrev_b32_e32 v26, 25, v22
	s_delay_alu instid0(VALU_DEP_4)
	v_xor_b32_e32 v24, s16, v24
	v_cmp_gt_i32_e64 s16, 0, v25
	v_ashrrev_i32_e32 v25, 31, v27
	v_lshlrev_b32_e32 v22, 24, v22
	v_not_b32_e32 v27, v26
	v_and_b32_e32 v23, v23, v24
	s_delay_alu instid0(VALU_DEP_4) | instskip(SKIP_1) | instid1(VALU_DEP_4)
	v_xor_b32_e32 v24, s16, v25
	v_cmp_gt_i32_e64 s16, 0, v26
	v_ashrrev_i32_e32 v25, 31, v27
	v_not_b32_e32 v26, v22
	s_delay_alu instid0(VALU_DEP_4) | instskip(NEXT) | instid1(VALU_DEP_3)
	v_and_b32_e32 v23, v23, v24
	v_xor_b32_e32 v24, s16, v25
	v_cmp_gt_i32_e64 s16, 0, v22
	s_delay_alu instid0(VALU_DEP_4) | instskip(NEXT) | instid1(VALU_DEP_3)
	v_ashrrev_i32_e32 v22, 31, v26
	v_and_b32_e32 v23, v23, v24
	s_delay_alu instid0(VALU_DEP_2) | instskip(NEXT) | instid1(VALU_DEP_1)
	v_xor_b32_e32 v22, s16, v22
	v_and_b32_e32 v22, v23, v22
	s_delay_alu instid0(VALU_DEP_1) | instskip(SKIP_1) | instid1(VALU_DEP_2)
	v_mbcnt_lo_u32_b32 v112, v22, 0
	v_cmp_ne_u32_e64 s17, 0, v22
	v_cmp_eq_u32_e64 s16, 0, v112
	s_delay_alu instid0(VALU_DEP_1) | instskip(NEXT) | instid1(SALU_CYCLE_1)
	s_and_b32 s17, s17, s16
	s_and_saveexec_b32 s16, s17
	s_cbranch_execz .LBB2056_277
; %bb.276:                              ;   in Loop: Header=BB2056_269 Depth=1
	s_waitcnt vmcnt(0) lgkmcnt(0)
	v_bcnt_u32_b32 v22, v22, v97
	flat_store_b32 v[82:83], v22
.LBB2056_277:                           ;   in Loop: Header=BB2056_269 Depth=1
	s_or_b32 exec_lo, exec_lo, s16
	; wave barrier
	s_waitcnt vmcnt(0) lgkmcnt(0)
	s_waitcnt_vscnt null, 0x0
	s_barrier
	buffer_gl0_inv
	s_clause 0x1
	flat_load_b128 v[26:29], v[8:9] offset:32
	flat_load_b128 v[22:25], v[48:49] offset:16
	s_waitcnt vmcnt(1) lgkmcnt(1)
	v_add_nc_u32_e32 v113, v27, v26
	s_delay_alu instid0(VALU_DEP_1) | instskip(SKIP_1) | instid1(VALU_DEP_1)
	v_add3_u32 v113, v113, v28, v29
	s_waitcnt vmcnt(0) lgkmcnt(0)
	v_add3_u32 v113, v113, v22, v23
	s_delay_alu instid0(VALU_DEP_1) | instskip(NEXT) | instid1(VALU_DEP_1)
	v_add3_u32 v25, v113, v24, v25
	v_mov_b32_dpp v113, v25 row_shr:1 row_mask:0xf bank_mask:0xf
	s_delay_alu instid0(VALU_DEP_1) | instskip(NEXT) | instid1(VALU_DEP_1)
	v_cndmask_b32_e64 v113, v113, 0, vcc_lo
	v_add_nc_u32_e32 v25, v113, v25
	s_delay_alu instid0(VALU_DEP_1) | instskip(NEXT) | instid1(VALU_DEP_1)
	v_mov_b32_dpp v113, v25 row_shr:2 row_mask:0xf bank_mask:0xf
	v_cndmask_b32_e64 v113, 0, v113, s0
	s_delay_alu instid0(VALU_DEP_1) | instskip(NEXT) | instid1(VALU_DEP_1)
	v_add_nc_u32_e32 v25, v25, v113
	v_mov_b32_dpp v113, v25 row_shr:4 row_mask:0xf bank_mask:0xf
	s_delay_alu instid0(VALU_DEP_1) | instskip(NEXT) | instid1(VALU_DEP_1)
	v_cndmask_b32_e64 v113, 0, v113, s1
	v_add_nc_u32_e32 v25, v25, v113
	s_delay_alu instid0(VALU_DEP_1) | instskip(NEXT) | instid1(VALU_DEP_1)
	v_mov_b32_dpp v113, v25 row_shr:8 row_mask:0xf bank_mask:0xf
	v_cndmask_b32_e64 v113, 0, v113, s2
	s_delay_alu instid0(VALU_DEP_1) | instskip(SKIP_3) | instid1(VALU_DEP_1)
	v_add_nc_u32_e32 v25, v25, v113
	ds_swizzle_b32 v113, v25 offset:swizzle(BROADCAST,32,15)
	s_waitcnt lgkmcnt(0)
	v_cndmask_b32_e64 v113, v113, 0, s3
	v_add_nc_u32_e32 v25, v25, v113
	s_and_saveexec_b32 s16, s4
	s_cbranch_execz .LBB2056_279
; %bb.278:                              ;   in Loop: Header=BB2056_269 Depth=1
	flat_store_b32 v[50:51], v25
.LBB2056_279:                           ;   in Loop: Header=BB2056_269 Depth=1
	s_or_b32 exec_lo, exec_lo, s16
	s_waitcnt lgkmcnt(0)
	s_waitcnt_vscnt null, 0x0
	s_barrier
	buffer_gl0_inv
	s_and_saveexec_b32 s16, s5
	s_cbranch_execz .LBB2056_281
; %bb.280:                              ;   in Loop: Header=BB2056_269 Depth=1
	flat_load_b32 v113, v[52:53]
	s_waitcnt vmcnt(0) lgkmcnt(0)
	v_mov_b32_dpp v114, v113 row_shr:1 row_mask:0xf bank_mask:0xf
	s_delay_alu instid0(VALU_DEP_1) | instskip(NEXT) | instid1(VALU_DEP_1)
	v_cndmask_b32_e64 v114, v114, 0, s11
	v_add_nc_u32_e32 v113, v114, v113
	s_delay_alu instid0(VALU_DEP_1) | instskip(NEXT) | instid1(VALU_DEP_1)
	v_mov_b32_dpp v114, v113 row_shr:2 row_mask:0xf bank_mask:0xf
	v_cndmask_b32_e64 v114, 0, v114, s14
	s_delay_alu instid0(VALU_DEP_1) | instskip(NEXT) | instid1(VALU_DEP_1)
	v_add_nc_u32_e32 v113, v113, v114
	v_mov_b32_dpp v114, v113 row_shr:4 row_mask:0xf bank_mask:0xf
	s_delay_alu instid0(VALU_DEP_1) | instskip(NEXT) | instid1(VALU_DEP_1)
	v_cndmask_b32_e64 v114, 0, v114, s15
	v_add_nc_u32_e32 v113, v113, v114
	flat_store_b32 v[52:53], v113
.LBB2056_281:                           ;   in Loop: Header=BB2056_269 Depth=1
	s_or_b32 exec_lo, exec_lo, s16
	v_mov_b32_e32 v113, 0
	s_waitcnt lgkmcnt(0)
	s_waitcnt_vscnt null, 0x0
	s_barrier
	buffer_gl0_inv
	s_and_saveexec_b32 s16, s6
	s_cbranch_execz .LBB2056_283
; %bb.282:                              ;   in Loop: Header=BB2056_269 Depth=1
	flat_load_b32 v113, v[64:65]
.LBB2056_283:                           ;   in Loop: Header=BB2056_269 Depth=1
	s_or_b32 exec_lo, exec_lo, s16
	s_waitcnt vmcnt(0) lgkmcnt(0)
	v_add_nc_u32_e32 v25, v113, v25
	v_add_nc_u32_e32 v10, 8, v10
	s_mov_b32 s18, -1
	ds_bpermute_b32 v25, v98, v25
	s_waitcnt lgkmcnt(0)
	v_cndmask_b32_e64 v25, v25, v113, s7
	s_delay_alu instid0(VALU_DEP_1) | instskip(NEXT) | instid1(VALU_DEP_1)
	v_cndmask_b32_e64 v25, v25, 0, s10
	v_add_nc_u32_e32 v26, v25, v26
	s_delay_alu instid0(VALU_DEP_1) | instskip(NEXT) | instid1(VALU_DEP_1)
	v_add_nc_u32_e32 v27, v26, v27
	v_add_nc_u32_e32 v28, v27, v28
	s_delay_alu instid0(VALU_DEP_1) | instskip(NEXT) | instid1(VALU_DEP_1)
	v_add_nc_u32_e32 v113, v28, v29
	;; [unrolled: 3-line block ×3, first 2 shown]
	v_add_nc_u32_e32 v116, v115, v24
	s_clause 0x1
	flat_store_b128 v[8:9], v[25:28] offset:32
	flat_store_b128 v[48:49], v[113:116] offset:16
	s_waitcnt lgkmcnt(0)
	s_waitcnt_vscnt null, 0x0
	s_barrier
	buffer_gl0_inv
	s_clause 0x3
	flat_load_b32 v22, v[68:69]
	flat_load_b32 v23, v[70:71]
	;; [unrolled: 1-line block ×4, first 2 shown]
	v_mov_b32_e32 v71, v5
	v_mov_b32_e32 v69, v5
	;; [unrolled: 1-line block ×3, first 2 shown]
	s_waitcnt vmcnt(0) lgkmcnt(0)
	s_waitcnt_vscnt null, 0x0
                                        ; implicit-def: $vgpr113
	s_waitcnt vmcnt(3) lgkmcnt(3)
	v_add_nc_u32_e32 v4, v22, v4
	s_waitcnt vmcnt(2) lgkmcnt(2)
	v_add3_u32 v68, v85, v84, v23
	s_waitcnt vmcnt(1) lgkmcnt(1)
	v_add3_u32 v70, v96, v86, v24
	;; [unrolled: 2-line block ×3, first 2 shown]
                                        ; implicit-def: $vgpr112
	v_lshlrev_b64 v[22:23], 1, v[4:5]
	v_lshlrev_b64 v[24:25], 1, v[68:69]
	;; [unrolled: 1-line block ×3, first 2 shown]
	s_delay_alu instid0(VALU_DEP_4) | instskip(NEXT) | instid1(VALU_DEP_4)
	v_lshlrev_b64 v[28:29], 1, v[80:81]
                                        ; implicit-def: $vgpr69
                                        ; implicit-def: $vgpr71
	v_add_co_u32 v96, s17, v12, v22
	s_delay_alu instid0(VALU_DEP_1) | instskip(SKIP_1) | instid1(VALU_DEP_1)
	v_add_co_ci_u32_e64 v97, s17, v13, v23, s17
	v_add_co_u32 v85, s17, v12, v24
	v_add_co_ci_u32_e64 v86, s17, v13, v25, s17
	v_add_co_u32 v83, s17, v12, v26
	s_delay_alu instid0(VALU_DEP_1) | instskip(SKIP_1) | instid1(VALU_DEP_1)
	v_add_co_ci_u32_e64 v84, s17, v13, v27, s17
	v_add_co_u32 v81, s17, v12, v28
	v_add_co_ci_u32_e64 v82, s17, v13, v29, s17
	s_mov_b32 s17, exec_lo
                                        ; implicit-def: $vgpr22_vgpr23_vgpr24_vgpr25_vgpr26_vgpr27_vgpr28_vgpr29
	v_cmpx_lt_u32_e64 v10, v11
	s_cbranch_execz .LBB2056_268
; %bb.284:                              ;   in Loop: Header=BB2056_269 Depth=1
	v_mad_u64_u32 v[22:23], null, v4, 6, v[96:97]
	v_mad_u64_u32 v[24:25], null, v68, 6, v[85:86]
	;; [unrolled: 1-line block ×4, first 2 shown]
	s_barrier
	buffer_gl0_inv
	s_clause 0x3
	flat_store_b16 v[96:97], v100
	flat_store_b16 v[85:86], v103
	;; [unrolled: 1-line block ×4, first 2 shown]
	s_waitcnt lgkmcnt(0)
	s_waitcnt_vscnt null, 0x0
	s_barrier
	buffer_gl0_inv
	s_clause 0x3
	flat_load_u16 v113, v[54:55]
	flat_load_u16 v69, v[54:55] offset:64
	flat_load_u16 v71, v[54:55] offset:128
	;; [unrolled: 1-line block ×3, first 2 shown]
	s_waitcnt vmcnt(0) lgkmcnt(0)
	s_barrier
	buffer_gl0_inv
	s_clause 0x3
	flat_store_b64 v[22:23], v[14:15]
	flat_store_b64 v[24:25], v[16:17]
	;; [unrolled: 1-line block ×4, first 2 shown]
	s_waitcnt lgkmcnt(0)
	s_waitcnt_vscnt null, 0x0
	s_barrier
	buffer_gl0_inv
	s_clause 0x3
	flat_load_b64 v[22:23], v[66:67]
	flat_load_b64 v[24:25], v[66:67] offset:256
	flat_load_b64 v[26:27], v[66:67] offset:512
	;; [unrolled: 1-line block ×3, first 2 shown]
	v_add_nc_u32_e32 v99, -8, v99
	s_xor_b32 s18, exec_lo, -1
	s_waitcnt vmcnt(0) lgkmcnt(0)
	s_barrier
	buffer_gl0_inv
	s_branch .LBB2056_268
.LBB2056_285:
	flat_load_b64 v[20:21], v[4:5]
	s_or_b32 exec_lo, exec_lo, s7
                                        ; implicit-def: $vgpr24_vgpr25
	s_and_saveexec_b32 s7, s0
	s_cbranch_execz .LBB2056_163
.LBB2056_286:
	flat_load_b64 v[24:25], v[4:5] offset:256
	s_or_b32 exec_lo, exec_lo, s7
                                        ; implicit-def: $vgpr84_vgpr85
	s_and_saveexec_b32 s0, s1
	s_cbranch_execz .LBB2056_164
.LBB2056_287:
	flat_load_b64 v[84:85], v[4:5] offset:512
	s_or_b32 exec_lo, exec_lo, s0
                                        ; implicit-def: $vgpr86_vgpr87
	s_and_saveexec_b32 s0, s2
	s_cbranch_execz .LBB2056_165
.LBB2056_288:
	flat_load_b64 v[86:87], v[4:5] offset:768
	s_or_b32 exec_lo, exec_lo, s0
                                        ; implicit-def: $vgpr96_vgpr97
	s_and_saveexec_b32 s0, s3
	s_cbranch_execz .LBB2056_166
.LBB2056_289:
	flat_load_b64 v[96:97], v[4:5] offset:1024
	s_or_b32 exec_lo, exec_lo, s0
                                        ; implicit-def: $vgpr98_vgpr99
	s_and_saveexec_b32 s0, s4
	s_cbranch_execz .LBB2056_167
.LBB2056_290:
	flat_load_b64 v[98:99], v[4:5] offset:1280
	s_or_b32 exec_lo, exec_lo, s0
                                        ; implicit-def: $vgpr18_vgpr19
	s_and_saveexec_b32 s0, s5
	s_cbranch_execz .LBB2056_168
.LBB2056_291:
	flat_load_b64 v[18:19], v[4:5] offset:1536
	s_or_b32 exec_lo, exec_lo, s0
                                        ; implicit-def: $vgpr22_vgpr23
	s_and_saveexec_b32 s0, s6
	s_cbranch_execnz .LBB2056_169
	s_branch .LBB2056_170
.LBB2056_292:
	flat_store_b64 v[0:1], v[20:21]
	s_or_b32 exec_lo, exec_lo, s7
	s_and_saveexec_b32 s7, s0
	s_cbranch_execz .LBB2056_244
.LBB2056_293:
	flat_store_b64 v[0:1], v[18:19] offset:2048
	s_or_b32 exec_lo, exec_lo, s7
	s_and_saveexec_b32 s0, s1
	s_cbranch_execz .LBB2056_245
.LBB2056_294:
	v_add_co_u32 v2, vcc_lo, 0x1000, v0
	v_add_co_ci_u32_e32 v3, vcc_lo, 0, v1, vcc_lo
	flat_store_b64 v[2:3], v[16:17]
	s_or_b32 exec_lo, exec_lo, s0
	s_and_saveexec_b32 s0, s2
	s_cbranch_execz .LBB2056_246
.LBB2056_295:
	v_add_co_u32 v2, vcc_lo, 0x1000, v0
	v_add_co_ci_u32_e32 v3, vcc_lo, 0, v1, vcc_lo
	flat_store_b64 v[2:3], v[14:15] offset:2048
	s_or_b32 exec_lo, exec_lo, s0
	s_and_saveexec_b32 s0, s3
	s_cbranch_execz .LBB2056_247
.LBB2056_296:
	v_add_co_u32 v2, vcc_lo, 0x2000, v0
	v_add_co_ci_u32_e32 v3, vcc_lo, 0, v1, vcc_lo
	flat_store_b64 v[2:3], v[12:13]
	s_or_b32 exec_lo, exec_lo, s0
	s_and_saveexec_b32 s0, s4
	s_cbranch_execz .LBB2056_248
.LBB2056_297:
	v_add_co_u32 v2, vcc_lo, 0x2000, v0
	v_add_co_ci_u32_e32 v3, vcc_lo, 0, v1, vcc_lo
	flat_store_b64 v[2:3], v[10:11] offset:2048
	s_or_b32 exec_lo, exec_lo, s0
	s_and_saveexec_b32 s0, s5
	s_cbranch_execz .LBB2056_249
.LBB2056_298:
	v_add_co_u32 v2, vcc_lo, 0x3000, v0
	v_add_co_ci_u32_e32 v3, vcc_lo, 0, v1, vcc_lo
	flat_store_b64 v[2:3], v[8:9]
	s_or_b32 exec_lo, exec_lo, s0
	s_and_saveexec_b32 s0, s6
	s_cbranch_execnz .LBB2056_250
	s_branch .LBB2056_251
.LBB2056_299:
	s_or_b32 exec_lo, exec_lo, s20
	v_dual_mov_b32 v36, 0 :: v_dual_lshlrev_b32 v5, 1, v34
	v_mad_u64_u32 v[10:11], null, v4, 6, v[96:97]
	v_mad_u64_u32 v[26:27], null, v80, 6, v[81:82]
	s_delay_alu instid0(VALU_DEP_3) | instskip(SKIP_3) | instid1(VALU_DEP_3)
	v_add_co_u32 v8, vcc_lo, v12, v5
	v_add_co_ci_u32_e32 v9, vcc_lo, 0, v13, vcc_lo
	v_mad_u64_u32 v[4:5], null, v68, 6, v[85:86]
	v_mad_u64_u32 v[12:13], null, v70, 6, v[83:84]
	v_mad_u64_u32 v[28:29], null, v34, 6, v[8:9]
	s_barrier
	buffer_gl0_inv
	s_clause 0x3
	flat_store_b16 v[96:97], v100
	flat_store_b16 v[85:86], v103
	;; [unrolled: 1-line block ×4, first 2 shown]
	s_waitcnt lgkmcnt(0)
	s_waitcnt_vscnt null, 0x0
	s_barrier
	buffer_gl0_inv
	s_clause 0x3
	flat_load_u16 v25, v[8:9]
	flat_load_u16 v24, v[8:9] offset:512
	flat_load_u16 v23, v[8:9] offset:1024
	;; [unrolled: 1-line block ×3, first 2 shown]
	s_waitcnt vmcnt(0) lgkmcnt(0)
	s_barrier
	buffer_gl0_inv
	s_clause 0x3
	flat_store_b64 v[10:11], v[14:15]
	flat_store_b64 v[4:5], v[16:17]
	;; [unrolled: 1-line block ×4, first 2 shown]
	v_add_co_u32 v4, vcc_lo, 0x1000, v28
	v_add_co_ci_u32_e32 v5, vcc_lo, 0, v29, vcc_lo
	s_waitcnt lgkmcnt(0)
	s_waitcnt_vscnt null, 0x0
	s_barrier
	buffer_gl0_inv
	s_clause 0x3
	flat_load_b64 v[12:13], v[28:29]
	flat_load_b64 v[10:11], v[28:29] offset:2048
	flat_load_b64 v[8:9], v[4:5]
	flat_load_b64 v[4:5], v[4:5] offset:2048
	v_lshlrev_b64 v[14:15], 1, v[35:36]
	v_add_co_u32 v2, vcc_lo, v2, v37
	v_add_co_ci_u32_e32 v3, vcc_lo, v3, v38, vcc_lo
	s_waitcnt vmcnt(0) lgkmcnt(0)
	s_delay_alu instid0(VALU_DEP_2) | instskip(NEXT) | instid1(VALU_DEP_2)
	v_add_co_u32 v2, vcc_lo, v2, v14
	v_add_co_ci_u32_e32 v3, vcc_lo, v3, v15, vcc_lo
	v_cmp_lt_u32_e32 vcc_lo, v35, v47
	s_barrier
	buffer_gl0_inv
	s_and_saveexec_b32 s1, vcc_lo
	s_cbranch_execz .LBB2056_301
; %bb.300:
	v_cmp_lt_i16_e64 s0, -1, v25
	s_delay_alu instid0(VALU_DEP_1) | instskip(NEXT) | instid1(VALU_DEP_1)
	v_cndmask_b32_e64 v14, 0xffff8000, -1, s0
	v_xor_b32_e32 v14, v14, v25
	flat_store_b16 v[2:3], v14
.LBB2056_301:
	s_or_b32 exec_lo, exec_lo, s1
	v_add_nc_u32_e32 v14, 0x100, v35
	s_delay_alu instid0(VALU_DEP_1) | instskip(NEXT) | instid1(VALU_DEP_1)
	v_cmp_lt_u32_e64 s0, v14, v47
	s_and_saveexec_b32 s2, s0
	s_cbranch_execz .LBB2056_303
; %bb.302:
	v_cmp_lt_i16_e64 s1, -1, v24
	s_delay_alu instid0(VALU_DEP_1) | instskip(NEXT) | instid1(VALU_DEP_1)
	v_cndmask_b32_e64 v14, 0xffff8000, -1, s1
	v_xor_b32_e32 v14, v14, v24
	flat_store_b16 v[2:3], v14 offset:512
.LBB2056_303:
	s_or_b32 exec_lo, exec_lo, s2
	v_add_nc_u32_e32 v14, 0x200, v35
	s_delay_alu instid0(VALU_DEP_1) | instskip(NEXT) | instid1(VALU_DEP_1)
	v_cmp_lt_u32_e64 s1, v14, v47
	s_and_saveexec_b32 s3, s1
	s_cbranch_execz .LBB2056_305
; %bb.304:
	v_cmp_lt_i16_e64 s2, -1, v23
	s_delay_alu instid0(VALU_DEP_1) | instskip(NEXT) | instid1(VALU_DEP_1)
	v_cndmask_b32_e64 v14, 0xffff8000, -1, s2
	v_xor_b32_e32 v14, v14, v23
	flat_store_b16 v[2:3], v14 offset:1024
.LBB2056_305:
	;; [unrolled: 13-line block ×3, first 2 shown]
	s_or_b32 exec_lo, exec_lo, s4
	v_lshlrev_b64 v[2:3], 3, v[35:36]
	v_add_co_u32 v0, s3, v6, v0
	s_delay_alu instid0(VALU_DEP_1) | instskip(NEXT) | instid1(VALU_DEP_2)
	v_add_co_ci_u32_e64 v1, s3, v7, v1, s3
	v_add_co_u32 v0, s3, v0, v2
	s_delay_alu instid0(VALU_DEP_1)
	v_add_co_ci_u32_e64 v1, s3, v1, v3, s3
	s_and_saveexec_b32 s3, vcc_lo
	s_cbranch_execnz .LBB2056_340
; %bb.308:
	s_or_b32 exec_lo, exec_lo, s3
	s_and_saveexec_b32 s3, s0
	s_cbranch_execnz .LBB2056_341
.LBB2056_309:
	s_or_b32 exec_lo, exec_lo, s3
	s_and_saveexec_b32 s0, s1
	s_cbranch_execnz .LBB2056_342
.LBB2056_310:
	s_or_b32 exec_lo, exec_lo, s0
	s_and_saveexec_b32 s0, s2
	s_cbranch_execz .LBB2056_312
.LBB2056_311:
	v_add_co_u32 v0, vcc_lo, 0x1000, v0
	v_add_co_ci_u32_e32 v1, vcc_lo, 0, v1, vcc_lo
	flat_store_b64 v[0:1], v[4:5] offset:2048
.LBB2056_312:
	s_or_b32 exec_lo, exec_lo, s0
                                        ; implicit-def: $vgpr47
                                        ; implicit-def: $vgpr0
                                        ; implicit-def: $vgpr1
                                        ; implicit-def: $vgpr2
                                        ; implicit-def: $vgpr3
                                        ; implicit-def: $vgpr4
                                        ; implicit-def: $vgpr5
                                        ; implicit-def: $vgpr6
                                        ; implicit-def: $vgpr7
                                        ; implicit-def: $vgpr8
                                        ; implicit-def: $vgpr10
                                        ; implicit-def: $vgpr11
                                        ; implicit-def: $vgpr12
                                        ; implicit-def: $vgpr13
                                        ; implicit-def: $vgpr14
                                        ; implicit-def: $vgpr15
                                        ; implicit-def: $vgpr34
                                        ; implicit-def: $vgpr16
.LBB2056_313:
	s_and_not1_saveexec_b32 s0, s19
	s_cbranch_execz .LBB2056_372
; %bb.314:
	s_load_b64 s[0:1], s[8:9], 0x0
	v_mov_b32_e32 v9, 0
	s_delay_alu instid0(VALU_DEP_1) | instskip(SKIP_3) | instid1(SALU_CYCLE_1)
	v_lshlrev_b64 v[28:29], 1, v[8:9]
	s_waitcnt lgkmcnt(0)
	s_cmp_lt_u32 s13, s1
	s_cselect_b32 s1, 14, 20
	s_add_u32 s2, s8, s1
	s_addc_u32 s3, s9, 0
	s_cmp_lt_u32 s12, s0
	global_load_u16 v17, v9, s[2:3]
	s_cselect_b32 s0, 12, 18
	s_delay_alu instid0(SALU_CYCLE_1)
	s_add_u32 s0, s8, s0
	s_addc_u32 s1, s9, 0
	global_load_u16 v18, v9, s[0:1]
	s_mov_b32 s0, exec_lo
	s_waitcnt vmcnt(1)
	v_mad_u32_u24 v14, v15, v17, v14
	s_waitcnt vmcnt(0)
	s_delay_alu instid0(VALU_DEP_1)
	v_mad_u64_u32 v[26:27], null, v14, v18, v[34:35]
	v_cmpx_lt_u32_e32 0x100, v47
	s_xor_b32 s15, exec_lo, s0
	s_cbranch_execz .LBB2056_352
; %bb.315:
	s_delay_alu instid0(VALU_DEP_2) | instskip(SKIP_2) | instid1(VALU_DEP_3)
	v_dual_mov_b32 v15, v9 :: v_dual_lshlrev_b32 v14, 1, v26
	v_dual_mov_b32 v22, 0x7fff :: v_dual_lshlrev_b32 v17, 1, v16
	v_add_co_u32 v18, vcc_lo, v0, v28
	v_and_b32_e32 v14, 0xffffffc0, v14
	v_add_co_ci_u32_e32 v19, vcc_lo, v1, v29, vcc_lo
	s_delay_alu instid0(VALU_DEP_3) | instskip(NEXT) | instid1(VALU_DEP_3)
	v_add_co_u32 v17, vcc_lo, v18, v17
	v_lshlrev_b64 v[0:1], 1, v[14:15]
	s_delay_alu instid0(VALU_DEP_3) | instskip(SKIP_1) | instid1(VALU_DEP_3)
	v_add_co_ci_u32_e32 v19, vcc_lo, 0, v19, vcc_lo
	v_or_b32_e32 v18, v16, v14
	v_add_co_u32 v0, vcc_lo, v17, v0
	s_delay_alu instid0(VALU_DEP_3) | instskip(NEXT) | instid1(VALU_DEP_3)
	v_add_co_ci_u32_e32 v1, vcc_lo, v19, v1, vcc_lo
	v_cmp_lt_u32_e32 vcc_lo, v18, v47
	v_mov_b32_e32 v17, 0x7fff
	s_and_saveexec_b32 s0, vcc_lo
	s_cbranch_execz .LBB2056_317
; %bb.316:
	flat_load_u16 v22, v[0:1]
.LBB2056_317:
	s_or_b32 exec_lo, exec_lo, s0
	v_or_b32_e32 v18, 32, v18
	s_delay_alu instid0(VALU_DEP_1) | instskip(NEXT) | instid1(VALU_DEP_1)
	v_cmp_lt_u32_e64 s0, v18, v47
	s_and_saveexec_b32 s1, s0
	s_cbranch_execz .LBB2056_319
; %bb.318:
	flat_load_u16 v17, v[0:1] offset:64
.LBB2056_319:
	s_or_b32 exec_lo, exec_lo, s1
	v_lshlrev_b64 v[0:1], 3, v[8:9]
	v_lshlrev_b32_e32 v8, 3, v16
	s_delay_alu instid0(VALU_DEP_2) | instskip(NEXT) | instid1(VALU_DEP_1)
	v_add_co_u32 v9, s1, v4, v0
	v_add_co_ci_u32_e64 v18, s1, v5, v1, s1
	v_lshlrev_b64 v[4:5], 3, v[14:15]
	s_delay_alu instid0(VALU_DEP_3) | instskip(NEXT) | instid1(VALU_DEP_1)
	v_add_co_u32 v8, s1, v9, v8
	v_add_co_ci_u32_e64 v9, s1, 0, v18, s1
                                        ; implicit-def: $vgpr18_vgpr19
	s_delay_alu instid0(VALU_DEP_2) | instskip(NEXT) | instid1(VALU_DEP_1)
	v_add_co_u32 v4, s1, v8, v4
	v_add_co_ci_u32_e64 v5, s1, v9, v5, s1
	s_and_saveexec_b32 s1, vcc_lo
	s_cbranch_execz .LBB2056_321
; %bb.320:
	flat_load_b64 v[18:19], v[4:5]
.LBB2056_321:
	s_or_b32 exec_lo, exec_lo, s1
                                        ; implicit-def: $vgpr20_vgpr21
	s_and_saveexec_b32 s1, s0
	s_cbranch_execz .LBB2056_323
; %bb.322:
	flat_load_b64 v[20:21], v[4:5] offset:256
.LBB2056_323:
	s_or_b32 exec_lo, exec_lo, s1
	s_waitcnt vmcnt(0) lgkmcnt(0)
	v_cmp_lt_i16_e32 vcc_lo, -1, v22
	s_mov_b32 s16, 0
	s_getpc_b64 s[0:1]
	s_add_u32 s0, s0, _ZN7rocprim17ROCPRIM_400000_NS16block_radix_sortI12hip_bfloat16Lj256ELj2ElLj1ELj1ELj8ELNS0_26block_radix_rank_algorithmE2ELNS0_18block_padding_hintE2ELNS0_4arch9wavefront6targetE0EE19radix_bits_per_passE@rel32@lo+4
	s_addc_u32 s1, s1, _ZN7rocprim17ROCPRIM_400000_NS16block_radix_sortI12hip_bfloat16Lj256ELj2ElLj1ELj1ELj8ELNS0_26block_radix_rank_algorithmE2ELNS0_18block_padding_hintE2ELNS0_4arch9wavefront6targetE0EE19radix_bits_per_passE@rel32@hi+12
	s_mov_b32 s17, s16
	s_mov_b32 s18, s16
	v_cndmask_b32_e64 v4, -1, 0xffff8000, vcc_lo
	v_cmp_lt_i16_e32 vcc_lo, -1, v17
	s_mov_b32 s19, s16
	v_and_b32_e32 v15, 0x3e0, v34
	v_and_b32_e32 v14, 15, v16
	v_xor_b32_e32 v66, v4, v22
	v_cndmask_b32_e64 v5, -1, 0xffff8000, vcc_lo
	v_lshlrev_b32_e32 v4, 5, v34
	v_add_co_u32 v27, vcc_lo, v12, 32
	v_add_co_ci_u32_e32 v39, vcc_lo, 0, v13, vcc_lo
	s_delay_alu instid0(VALU_DEP_4) | instskip(SKIP_4) | instid1(VALU_DEP_3)
	v_xor_b32_e32 v25, v5, v17
	v_mov_b32_e32 v5, 0
	v_add_nc_u32_e32 v17, -1, v16
	v_add_co_u32 v8, vcc_lo, v12, v4
	v_add_co_ci_u32_e32 v9, vcc_lo, 0, v13, vcc_lo
	v_cmp_gt_i32_e64 s4, 0, v17
	v_add_co_u32 v30, vcc_lo, v27, v4
	v_min_u32_e32 v4, 0xe0, v15
	v_and_b32_e32 v15, 16, v16
	v_add_co_ci_u32_e32 v31, vcc_lo, 0, v39, vcc_lo
	s_load_b32 s20, s[0:1], 0x0
	v_cmp_eq_u32_e32 vcc_lo, 0, v14
	v_cmp_lt_u32_e64 s0, 1, v14
	v_cmp_lt_u32_e64 s1, 3, v14
	;; [unrolled: 1-line block ×3, first 2 shown]
	v_cndmask_b32_e64 v14, v17, v16, s4
	v_lshlrev_b32_e32 v17, 1, v34
	v_or_b32_e32 v4, 31, v4
	v_cmp_eq_u32_e64 s3, 0, v15
	v_lshrrev_b32_e32 v15, 5, v34
	v_cmp_eq_u32_e64 s7, 0, v16
	v_and_b32_e32 v22, 7, v16
	v_and_or_b32 v16, 0x7c0, v17, v16
	v_cmp_eq_u32_e64 s4, v4, v34
	v_lshlrev_b32_e32 v4, 2, v15
	v_lshlrev_b32_e32 v69, 2, v14
	;; [unrolled: 1-line block ×4, first 2 shown]
	v_lshrrev_b32_e32 v68, 5, v26
	v_add_co_u32 v32, s9, v12, v4
	v_add_nc_u32_e32 v4, -1, v15
	v_add_co_ci_u32_e64 v33, s9, 0, v13, s9
	v_add_co_u32 v37, s12, v12, v17
	v_add_co_u32 v35, s9, v12, v14
	s_delay_alu instid0(VALU_DEP_4) | instskip(SKIP_3) | instid1(VALU_DEP_4)
	v_lshlrev_b64 v[14:15], 2, v[4:5]
	v_add_co_ci_u32_e64 v38, s12, 0, v13, s12
	v_add_co_ci_u32_e64 v36, s9, 0, v13, s9
	v_cmp_gt_u32_e64 s5, 8, v34
	v_add_co_u32 v48, s12, v12, v14
	s_delay_alu instid0(VALU_DEP_4)
	v_mad_u64_u32 v[50:51], null, v16, 6, v[37:38]
	v_add_co_ci_u32_e64 v49, s12, v13, v15, s12
	v_mov_b32_e32 v14, s16
	v_cmp_lt_u32_e64 s6, 31, v34
	v_cmp_eq_u32_e64 s8, 0, v34
	v_cmp_eq_u32_e64 s9, 0, v22
	v_cmp_lt_u32_e64 s10, 1, v22
	v_cmp_lt_u32_e64 s11, 3, v22
	v_sub_nc_u32_e32 v70, v11, v10
	v_dual_mov_b32 v15, s17 :: v_dual_mov_b32 v16, s18
	v_mov_b32_e32 v17, s19
	s_waitcnt lgkmcnt(0)
	s_waitcnt_vscnt null, 0x0
	s_barrier
	buffer_gl0_inv
	s_branch .LBB2056_325
.LBB2056_324:                           ;   in Loop: Header=BB2056_325 Depth=1
	s_or_b32 exec_lo, exec_lo, s13
	s_delay_alu instid0(SALU_CYCLE_1) | instskip(NEXT) | instid1(SALU_CYCLE_1)
	s_and_b32 s12, exec_lo, s14
	s_or_b32 s16, s12, s16
	s_delay_alu instid0(SALU_CYCLE_1)
	s_and_not1_b32 exec_lo, exec_lo, s16
	s_cbranch_execz .LBB2056_343
.LBB2056_325:                           ; =>This Inner Loop Header: Depth=1
	v_mov_b32_e32 v71, v66
	v_min_u32_e32 v4, s20, v70
	s_clause 0x1
	flat_store_b128 v[8:9], v[14:17] offset:32
	flat_store_b128 v[30:31], v[14:17] offset:16
	s_waitcnt lgkmcnt(0)
	s_waitcnt_vscnt null, 0x0
	s_barrier
	v_cmp_ne_u16_e64 s12, 0x7fff, v71
	v_lshlrev_b32_e64 v4, v4, -1
	buffer_gl0_inv
	; wave barrier
	v_cndmask_b32_e64 v22, 0xffff8000, v71, s12
	s_delay_alu instid0(VALU_DEP_1) | instskip(SKIP_1) | instid1(VALU_DEP_2)
	v_dual_mov_b32 v80, v25 :: v_dual_and_b32 v23, 0xffff, v22
	v_not_b32_e32 v22, v4
	v_lshrrev_b32_e32 v4, v10, v23
	s_delay_alu instid0(VALU_DEP_1) | instskip(NEXT) | instid1(VALU_DEP_1)
	v_and_b32_e32 v4, v4, v22
	v_and_b32_e32 v23, 1, v4
	v_lshlrev_b32_e32 v24, 30, v4
	v_lshlrev_b32_e32 v52, 29, v4
	;; [unrolled: 1-line block ×4, first 2 shown]
	v_add_co_u32 v23, s12, v23, -1
	s_delay_alu instid0(VALU_DEP_1)
	v_cndmask_b32_e64 v54, 0, 1, s12
	v_not_b32_e32 v66, v24
	v_cmp_gt_i32_e64 s13, 0, v24
	v_not_b32_e32 v24, v52
	v_lshlrev_b32_e32 v64, 26, v4
	v_cmp_ne_u32_e64 s12, 0, v54
	v_ashrrev_i32_e32 v66, 31, v66
	v_lshlrev_b32_e32 v65, 25, v4
	v_ashrrev_i32_e32 v24, 31, v24
	v_lshlrev_b32_e32 v54, 24, v4
	v_xor_b32_e32 v23, s12, v23
	v_cmp_gt_i32_e64 s12, 0, v52
	v_not_b32_e32 v52, v53
	v_xor_b32_e32 v66, s13, v66
	v_cmp_gt_i32_e64 s13, 0, v53
	v_and_b32_e32 v23, exec_lo, v23
	v_not_b32_e32 v53, v55
	v_ashrrev_i32_e32 v52, 31, v52
	v_xor_b32_e32 v24, s12, v24
	v_cmp_gt_i32_e64 s12, 0, v55
	v_and_b32_e32 v23, v23, v66
	v_not_b32_e32 v55, v64
	v_ashrrev_i32_e32 v53, 31, v53
	v_xor_b32_e32 v52, s13, v52
	v_cmp_gt_i32_e64 s13, 0, v64
	v_and_b32_e32 v23, v23, v24
	v_not_b32_e32 v24, v65
	v_ashrrev_i32_e32 v55, 31, v55
	v_xor_b32_e32 v53, s12, v53
	v_cmp_gt_i32_e64 s12, 0, v65
	v_and_b32_e32 v23, v23, v52
	v_not_b32_e32 v52, v54
	v_ashrrev_i32_e32 v24, 31, v24
	v_xor_b32_e32 v55, s13, v55
	v_cmp_gt_i32_e64 s13, 0, v54
	v_and_b32_e32 v23, v23, v53
	v_ashrrev_i32_e32 v52, 31, v52
	v_xor_b32_e32 v24, s12, v24
	s_delay_alu instid0(VALU_DEP_3) | instskip(NEXT) | instid1(VALU_DEP_3)
	v_and_b32_e32 v23, v23, v55
	v_xor_b32_e32 v64, s13, v52
	v_dual_mov_b32 v55, v19 :: v_dual_mov_b32 v54, v18
	v_lshlrev_b32_e32 v19, 3, v4
	s_delay_alu instid0(VALU_DEP_4) | instskip(SKIP_1) | instid1(VALU_DEP_3)
	v_and_b32_e32 v23, v23, v24
	v_dual_mov_b32 v53, v21 :: v_dual_mov_b32 v52, v20
	v_add_lshl_u32 v19, v19, v68, 2
	s_delay_alu instid0(VALU_DEP_3) | instskip(NEXT) | instid1(VALU_DEP_2)
	v_and_b32_e32 v18, v23, v64
	v_add_co_u32 v64, s14, v27, v19
	s_delay_alu instid0(VALU_DEP_2) | instskip(SKIP_2) | instid1(VALU_DEP_3)
	v_mbcnt_lo_u32_b32 v4, v18, 0
	v_cmp_ne_u32_e64 s12, 0, v18
	v_add_co_ci_u32_e64 v65, s14, 0, v39, s14
	v_cmp_eq_u32_e64 s13, 0, v4
	s_delay_alu instid0(VALU_DEP_1) | instskip(NEXT) | instid1(SALU_CYCLE_1)
	s_and_b32 s13, s12, s13
	s_and_saveexec_b32 s12, s13
	s_cbranch_execz .LBB2056_327
; %bb.326:                              ;   in Loop: Header=BB2056_325 Depth=1
	v_bcnt_u32_b32 v18, v18, 0
	flat_store_b32 v[64:65], v18
.LBB2056_327:                           ;   in Loop: Header=BB2056_325 Depth=1
	s_or_b32 exec_lo, exec_lo, s12
	v_cmp_ne_u16_e64 s12, 0x7fff, v80
	; wave barrier
	s_delay_alu instid0(VALU_DEP_1) | instskip(NEXT) | instid1(VALU_DEP_1)
	v_cndmask_b32_e64 v18, 0xffff8000, v80, s12
	v_and_b32_e32 v18, 0xffff, v18
	s_delay_alu instid0(VALU_DEP_1) | instskip(NEXT) | instid1(VALU_DEP_1)
	v_lshrrev_b32_e32 v18, v10, v18
	v_and_b32_e32 v18, v18, v22
	s_delay_alu instid0(VALU_DEP_1) | instskip(SKIP_3) | instid1(VALU_DEP_4)
	v_lshlrev_b32_e32 v19, 3, v18
	v_lshlrev_b32_e32 v21, 30, v18
	;; [unrolled: 1-line block ×4, first 2 shown]
	v_add_lshl_u32 v19, v19, v68, 2
	s_delay_alu instid0(VALU_DEP_1) | instskip(NEXT) | instid1(VALU_DEP_1)
	v_add_co_u32 v66, s12, v27, v19
	v_add_co_ci_u32_e64 v67, s12, 0, v39, s12
	v_and_b32_e32 v19, 1, v18
	flat_load_b32 v81, v[66:67]
	v_add_co_u32 v19, s12, v19, -1
	s_delay_alu instid0(VALU_DEP_1) | instskip(NEXT) | instid1(VALU_DEP_1)
	v_cndmask_b32_e64 v20, 0, 1, s12
	; wave barrier
	v_cmp_ne_u32_e64 s12, 0, v20
	v_not_b32_e32 v20, v21
	s_delay_alu instid0(VALU_DEP_2) | instskip(SKIP_1) | instid1(VALU_DEP_3)
	v_xor_b32_e32 v19, s12, v19
	v_cmp_gt_i32_e64 s12, 0, v21
	v_ashrrev_i32_e32 v20, 31, v20
	v_not_b32_e32 v21, v22
	s_delay_alu instid0(VALU_DEP_4) | instskip(NEXT) | instid1(VALU_DEP_3)
	v_and_b32_e32 v19, exec_lo, v19
	v_xor_b32_e32 v20, s12, v20
	v_cmp_gt_i32_e64 s12, 0, v22
	s_delay_alu instid0(VALU_DEP_4) | instskip(SKIP_1) | instid1(VALU_DEP_4)
	v_ashrrev_i32_e32 v21, 31, v21
	v_not_b32_e32 v22, v23
	v_and_b32_e32 v19, v19, v20
	v_lshlrev_b32_e32 v20, 27, v18
	s_delay_alu instid0(VALU_DEP_4) | instskip(SKIP_2) | instid1(VALU_DEP_4)
	v_xor_b32_e32 v21, s12, v21
	v_cmp_gt_i32_e64 s12, 0, v23
	v_ashrrev_i32_e32 v22, 31, v22
	v_not_b32_e32 v23, v20
	s_delay_alu instid0(VALU_DEP_4) | instskip(SKIP_1) | instid1(VALU_DEP_4)
	v_and_b32_e32 v19, v19, v21
	v_lshlrev_b32_e32 v21, 26, v18
	v_xor_b32_e32 v22, s12, v22
	v_cmp_gt_i32_e64 s12, 0, v20
	v_ashrrev_i32_e32 v20, 31, v23
	s_delay_alu instid0(VALU_DEP_4) | instskip(NEXT) | instid1(VALU_DEP_4)
	v_not_b32_e32 v23, v21
	v_and_b32_e32 v19, v19, v22
	v_lshlrev_b32_e32 v22, 25, v18
	s_delay_alu instid0(VALU_DEP_4)
	v_xor_b32_e32 v20, s12, v20
	v_cmp_gt_i32_e64 s12, 0, v21
	v_ashrrev_i32_e32 v21, 31, v23
	v_lshlrev_b32_e32 v18, 24, v18
	v_not_b32_e32 v23, v22
	v_and_b32_e32 v19, v19, v20
	s_delay_alu instid0(VALU_DEP_4) | instskip(SKIP_1) | instid1(VALU_DEP_4)
	v_xor_b32_e32 v20, s12, v21
	v_cmp_gt_i32_e64 s12, 0, v22
	v_ashrrev_i32_e32 v21, 31, v23
	v_not_b32_e32 v22, v18
	s_delay_alu instid0(VALU_DEP_4) | instskip(NEXT) | instid1(VALU_DEP_3)
	v_and_b32_e32 v19, v19, v20
	v_xor_b32_e32 v20, s12, v21
	v_cmp_gt_i32_e64 s12, 0, v18
	s_delay_alu instid0(VALU_DEP_4) | instskip(NEXT) | instid1(VALU_DEP_3)
	v_ashrrev_i32_e32 v18, 31, v22
	v_and_b32_e32 v19, v19, v20
	s_delay_alu instid0(VALU_DEP_2) | instskip(NEXT) | instid1(VALU_DEP_1)
	v_xor_b32_e32 v18, s12, v18
	v_and_b32_e32 v18, v19, v18
	s_delay_alu instid0(VALU_DEP_1) | instskip(SKIP_1) | instid1(VALU_DEP_2)
	v_mbcnt_lo_u32_b32 v82, v18, 0
	v_cmp_ne_u32_e64 s13, 0, v18
	v_cmp_eq_u32_e64 s12, 0, v82
	s_delay_alu instid0(VALU_DEP_1) | instskip(NEXT) | instid1(SALU_CYCLE_1)
	s_and_b32 s13, s13, s12
	s_and_saveexec_b32 s12, s13
	s_cbranch_execz .LBB2056_329
; %bb.328:                              ;   in Loop: Header=BB2056_325 Depth=1
	s_waitcnt vmcnt(0) lgkmcnt(0)
	v_bcnt_u32_b32 v18, v18, v81
	flat_store_b32 v[66:67], v18
.LBB2056_329:                           ;   in Loop: Header=BB2056_325 Depth=1
	s_or_b32 exec_lo, exec_lo, s12
	; wave barrier
	s_waitcnt vmcnt(0) lgkmcnt(0)
	s_waitcnt_vscnt null, 0x0
	s_barrier
	buffer_gl0_inv
	s_clause 0x1
	flat_load_b128 v[22:25], v[8:9] offset:32
	flat_load_b128 v[18:21], v[30:31] offset:16
	s_waitcnt vmcnt(1) lgkmcnt(1)
	v_add_nc_u32_e32 v83, v23, v22
	s_delay_alu instid0(VALU_DEP_1) | instskip(SKIP_1) | instid1(VALU_DEP_1)
	v_add3_u32 v83, v83, v24, v25
	s_waitcnt vmcnt(0) lgkmcnt(0)
	v_add3_u32 v83, v83, v18, v19
	s_delay_alu instid0(VALU_DEP_1) | instskip(NEXT) | instid1(VALU_DEP_1)
	v_add3_u32 v21, v83, v20, v21
	v_mov_b32_dpp v83, v21 row_shr:1 row_mask:0xf bank_mask:0xf
	s_delay_alu instid0(VALU_DEP_1) | instskip(NEXT) | instid1(VALU_DEP_1)
	v_cndmask_b32_e64 v83, v83, 0, vcc_lo
	v_add_nc_u32_e32 v21, v83, v21
	s_delay_alu instid0(VALU_DEP_1) | instskip(NEXT) | instid1(VALU_DEP_1)
	v_mov_b32_dpp v83, v21 row_shr:2 row_mask:0xf bank_mask:0xf
	v_cndmask_b32_e64 v83, 0, v83, s0
	s_delay_alu instid0(VALU_DEP_1) | instskip(NEXT) | instid1(VALU_DEP_1)
	v_add_nc_u32_e32 v21, v21, v83
	v_mov_b32_dpp v83, v21 row_shr:4 row_mask:0xf bank_mask:0xf
	s_delay_alu instid0(VALU_DEP_1) | instskip(NEXT) | instid1(VALU_DEP_1)
	v_cndmask_b32_e64 v83, 0, v83, s1
	v_add_nc_u32_e32 v21, v21, v83
	s_delay_alu instid0(VALU_DEP_1) | instskip(NEXT) | instid1(VALU_DEP_1)
	v_mov_b32_dpp v83, v21 row_shr:8 row_mask:0xf bank_mask:0xf
	v_cndmask_b32_e64 v83, 0, v83, s2
	s_delay_alu instid0(VALU_DEP_1) | instskip(SKIP_3) | instid1(VALU_DEP_1)
	v_add_nc_u32_e32 v21, v21, v83
	ds_swizzle_b32 v83, v21 offset:swizzle(BROADCAST,32,15)
	s_waitcnt lgkmcnt(0)
	v_cndmask_b32_e64 v83, v83, 0, s3
	v_add_nc_u32_e32 v21, v21, v83
	s_and_saveexec_b32 s12, s4
	s_cbranch_execz .LBB2056_331
; %bb.330:                              ;   in Loop: Header=BB2056_325 Depth=1
	flat_store_b32 v[32:33], v21
.LBB2056_331:                           ;   in Loop: Header=BB2056_325 Depth=1
	s_or_b32 exec_lo, exec_lo, s12
	s_waitcnt lgkmcnt(0)
	s_waitcnt_vscnt null, 0x0
	s_barrier
	buffer_gl0_inv
	s_and_saveexec_b32 s12, s5
	s_cbranch_execz .LBB2056_333
; %bb.332:                              ;   in Loop: Header=BB2056_325 Depth=1
	flat_load_b32 v83, v[35:36]
	s_waitcnt vmcnt(0) lgkmcnt(0)
	v_mov_b32_dpp v84, v83 row_shr:1 row_mask:0xf bank_mask:0xf
	s_delay_alu instid0(VALU_DEP_1) | instskip(NEXT) | instid1(VALU_DEP_1)
	v_cndmask_b32_e64 v84, v84, 0, s9
	v_add_nc_u32_e32 v83, v84, v83
	s_delay_alu instid0(VALU_DEP_1) | instskip(NEXT) | instid1(VALU_DEP_1)
	v_mov_b32_dpp v84, v83 row_shr:2 row_mask:0xf bank_mask:0xf
	v_cndmask_b32_e64 v84, 0, v84, s10
	s_delay_alu instid0(VALU_DEP_1) | instskip(NEXT) | instid1(VALU_DEP_1)
	v_add_nc_u32_e32 v83, v83, v84
	v_mov_b32_dpp v84, v83 row_shr:4 row_mask:0xf bank_mask:0xf
	s_delay_alu instid0(VALU_DEP_1) | instskip(NEXT) | instid1(VALU_DEP_1)
	v_cndmask_b32_e64 v84, 0, v84, s11
	v_add_nc_u32_e32 v83, v83, v84
	flat_store_b32 v[35:36], v83
.LBB2056_333:                           ;   in Loop: Header=BB2056_325 Depth=1
	s_or_b32 exec_lo, exec_lo, s12
	v_mov_b32_e32 v83, 0
	s_waitcnt lgkmcnt(0)
	s_waitcnt_vscnt null, 0x0
	s_barrier
	buffer_gl0_inv
	s_and_saveexec_b32 s12, s6
	s_cbranch_execz .LBB2056_335
; %bb.334:                              ;   in Loop: Header=BB2056_325 Depth=1
	flat_load_b32 v83, v[48:49]
.LBB2056_335:                           ;   in Loop: Header=BB2056_325 Depth=1
	s_or_b32 exec_lo, exec_lo, s12
	s_waitcnt vmcnt(0) lgkmcnt(0)
	v_add_nc_u32_e32 v21, v83, v21
	v_add_nc_u32_e32 v10, 8, v10
	s_mov_b32 s14, -1
	ds_bpermute_b32 v21, v69, v21
	s_waitcnt lgkmcnt(0)
	v_cndmask_b32_e64 v21, v21, v83, s7
	s_delay_alu instid0(VALU_DEP_1) | instskip(NEXT) | instid1(VALU_DEP_1)
	v_cndmask_b32_e64 v21, v21, 0, s8
	v_add_nc_u32_e32 v22, v21, v22
	s_delay_alu instid0(VALU_DEP_1) | instskip(NEXT) | instid1(VALU_DEP_1)
	v_add_nc_u32_e32 v23, v22, v23
	v_add_nc_u32_e32 v24, v23, v24
	s_delay_alu instid0(VALU_DEP_1) | instskip(NEXT) | instid1(VALU_DEP_1)
	v_add_nc_u32_e32 v83, v24, v25
                                        ; implicit-def: $vgpr25
	v_add_nc_u32_e32 v84, v83, v18
	s_delay_alu instid0(VALU_DEP_1) | instskip(NEXT) | instid1(VALU_DEP_1)
	v_add_nc_u32_e32 v85, v84, v19
	v_add_nc_u32_e32 v86, v85, v20
	s_clause 0x1
	flat_store_b128 v[8:9], v[21:24] offset:32
	flat_store_b128 v[30:31], v[83:86] offset:16
	v_mov_b32_e32 v23, v5
	s_waitcnt lgkmcnt(0)
	s_waitcnt_vscnt null, 0x0
	s_barrier
	buffer_gl0_inv
	s_clause 0x1
	flat_load_b32 v18, v[64:65]
	flat_load_b32 v19, v[66:67]
	s_waitcnt vmcnt(0) lgkmcnt(0)
	s_waitcnt_vscnt null, 0x0
                                        ; implicit-def: $vgpr66
	s_waitcnt vmcnt(1) lgkmcnt(1)
	v_add_nc_u32_e32 v4, v18, v4
	s_waitcnt vmcnt(0) lgkmcnt(0)
	v_add3_u32 v22, v82, v81, v19
	s_delay_alu instid0(VALU_DEP_2) | instskip(NEXT) | instid1(VALU_DEP_2)
	v_lshlrev_b64 v[18:19], 1, v[4:5]
	v_lshlrev_b64 v[20:21], 1, v[22:23]
	s_delay_alu instid0(VALU_DEP_2) | instskip(NEXT) | instid1(VALU_DEP_1)
	v_add_co_u32 v23, s13, v12, v18
	v_add_co_ci_u32_e64 v24, s13, v13, v19, s13
	s_delay_alu instid0(VALU_DEP_3) | instskip(NEXT) | instid1(VALU_DEP_1)
	v_add_co_u32 v64, s13, v12, v20
	v_add_co_ci_u32_e64 v65, s13, v13, v21, s13
	s_mov_b32 s13, exec_lo
                                        ; implicit-def: $vgpr20_vgpr21
                                        ; implicit-def: $vgpr18_vgpr19
	v_cmpx_lt_u32_e64 v10, v11
	s_cbranch_execz .LBB2056_324
; %bb.336:                              ;   in Loop: Header=BB2056_325 Depth=1
	v_mad_u64_u32 v[18:19], null, v4, 6, v[23:24]
	v_mad_u64_u32 v[20:21], null, v22, 6, v[64:65]
	s_barrier
	buffer_gl0_inv
	s_clause 0x1
	flat_store_b16 v[23:24], v71
	flat_store_b16 v[64:65], v80
	s_waitcnt lgkmcnt(0)
	s_waitcnt_vscnt null, 0x0
	s_barrier
	buffer_gl0_inv
	s_clause 0x1
	flat_load_u16 v66, v[37:38]
	flat_load_u16 v25, v[37:38] offset:64
	s_waitcnt vmcnt(0) lgkmcnt(0)
	s_barrier
	buffer_gl0_inv
	s_clause 0x1
	flat_store_b64 v[18:19], v[54:55]
	flat_store_b64 v[20:21], v[52:53]
	s_waitcnt lgkmcnt(0)
	s_waitcnt_vscnt null, 0x0
	s_barrier
	buffer_gl0_inv
	s_clause 0x1
	flat_load_b64 v[18:19], v[50:51]
	flat_load_b64 v[20:21], v[50:51] offset:256
	v_add_nc_u32_e32 v70, -8, v70
	s_xor_b32 s14, exec_lo, -1
	s_waitcnt vmcnt(0) lgkmcnt(0)
	s_barrier
	buffer_gl0_inv
	s_branch .LBB2056_324
.LBB2056_337:
	flat_load_b64 v[22:23], v[4:5]
	s_or_b32 exec_lo, exec_lo, s3
	s_and_saveexec_b32 s1, s2
	s_cbranch_execz .LBB2056_264
.LBB2056_338:
	flat_load_b64 v[24:25], v[4:5] offset:256
	s_or_b32 exec_lo, exec_lo, s1
	s_and_saveexec_b32 s1, s0
	s_cbranch_execz .LBB2056_265
.LBB2056_339:
	flat_load_b64 v[26:27], v[4:5] offset:512
	s_or_b32 exec_lo, exec_lo, s1
	s_and_saveexec_b32 s0, vcc_lo
	s_cbranch_execnz .LBB2056_266
	s_branch .LBB2056_267
.LBB2056_340:
	flat_store_b64 v[0:1], v[12:13]
	s_or_b32 exec_lo, exec_lo, s3
	s_and_saveexec_b32 s3, s0
	s_cbranch_execz .LBB2056_309
.LBB2056_341:
	flat_store_b64 v[0:1], v[10:11] offset:2048
	s_or_b32 exec_lo, exec_lo, s3
	s_and_saveexec_b32 s0, s1
	s_cbranch_execz .LBB2056_310
.LBB2056_342:
	v_add_co_u32 v2, vcc_lo, 0x1000, v0
	v_add_co_ci_u32_e32 v3, vcc_lo, 0, v1, vcc_lo
	flat_store_b64 v[2:3], v[8:9]
	s_or_b32 exec_lo, exec_lo, s0
	s_and_saveexec_b32 s0, s2
	s_cbranch_execnz .LBB2056_311
	s_branch .LBB2056_312
.LBB2056_343:
	s_or_b32 exec_lo, exec_lo, s16
	v_lshlrev_b32_e32 v5, 1, v34
	s_barrier
	buffer_gl0_inv
	s_clause 0x1
	flat_store_b16 v[23:24], v71
	flat_store_b16 v[64:65], v80
	s_waitcnt lgkmcnt(0)
	s_waitcnt_vscnt null, 0x0
	v_add_co_u32 v8, vcc_lo, v12, v5
	v_add_co_ci_u32_e32 v9, vcc_lo, 0, v13, vcc_lo
	v_mad_u64_u32 v[12:13], null, v4, 6, v[23:24]
	v_mad_u64_u32 v[4:5], null, v22, 6, v[64:65]
	s_delay_alu instid0(VALU_DEP_3)
	v_mad_u64_u32 v[14:15], null, v34, 6, v[8:9]
	s_barrier
	buffer_gl0_inv
	s_clause 0x1
	flat_load_u16 v11, v[8:9]
	flat_load_u16 v10, v[8:9] offset:512
	s_waitcnt vmcnt(0) lgkmcnt(0)
	s_barrier
	buffer_gl0_inv
	s_clause 0x1
	flat_store_b64 v[12:13], v[54:55]
	flat_store_b64 v[4:5], v[52:53]
	s_waitcnt lgkmcnt(0)
	s_waitcnt_vscnt null, 0x0
	s_barrier
	buffer_gl0_inv
	s_clause 0x1
	flat_load_b64 v[8:9], v[14:15]
	flat_load_b64 v[4:5], v[14:15] offset:2048
	v_mov_b32_e32 v27, 0
	v_add_co_u32 v2, vcc_lo, v2, v28
	v_add_co_ci_u32_e32 v3, vcc_lo, v3, v29, vcc_lo
	s_delay_alu instid0(VALU_DEP_3)
	v_lshlrev_b64 v[12:13], 1, v[26:27]
	s_waitcnt vmcnt(0) lgkmcnt(0)
	s_barrier
	buffer_gl0_inv
	v_add_co_u32 v2, vcc_lo, v2, v12
	v_add_co_ci_u32_e32 v3, vcc_lo, v3, v13, vcc_lo
	v_cmp_lt_u32_e32 vcc_lo, v26, v47
	s_and_saveexec_b32 s1, vcc_lo
	s_cbranch_execz .LBB2056_345
; %bb.344:
	v_cmp_lt_i16_e64 s0, -1, v11
	s_delay_alu instid0(VALU_DEP_1) | instskip(NEXT) | instid1(VALU_DEP_1)
	v_cndmask_b32_e64 v12, 0xffff8000, -1, s0
	v_xor_b32_e32 v11, v12, v11
	flat_store_b16 v[2:3], v11
.LBB2056_345:
	s_or_b32 exec_lo, exec_lo, s1
	v_add_nc_u32_e32 v11, 0x100, v26
	s_delay_alu instid0(VALU_DEP_1) | instskip(NEXT) | instid1(VALU_DEP_1)
	v_cmp_lt_u32_e64 s0, v11, v47
	s_and_saveexec_b32 s2, s0
	s_cbranch_execz .LBB2056_347
; %bb.346:
	v_cmp_lt_i16_e64 s1, -1, v10
	s_delay_alu instid0(VALU_DEP_1) | instskip(NEXT) | instid1(VALU_DEP_1)
	v_cndmask_b32_e64 v11, 0xffff8000, -1, s1
	v_xor_b32_e32 v10, v11, v10
	flat_store_b16 v[2:3], v10 offset:512
.LBB2056_347:
	s_or_b32 exec_lo, exec_lo, s2
	v_lshlrev_b64 v[2:3], 3, v[26:27]
	v_add_co_u32 v0, s1, v6, v0
	s_delay_alu instid0(VALU_DEP_1) | instskip(NEXT) | instid1(VALU_DEP_2)
	v_add_co_ci_u32_e64 v1, s1, v7, v1, s1
	v_add_co_u32 v0, s1, v0, v2
	s_delay_alu instid0(VALU_DEP_1)
	v_add_co_ci_u32_e64 v1, s1, v1, v3, s1
	s_and_saveexec_b32 s1, vcc_lo
	s_cbranch_execz .LBB2056_349
; %bb.348:
	flat_store_b64 v[0:1], v[8:9]
.LBB2056_349:
	s_or_b32 exec_lo, exec_lo, s1
	s_and_saveexec_b32 s1, s0
	s_cbranch_execz .LBB2056_351
; %bb.350:
	flat_store_b64 v[0:1], v[4:5] offset:2048
.LBB2056_351:
	s_or_b32 exec_lo, exec_lo, s1
                                        ; implicit-def: $vgpr26_vgpr27
                                        ; implicit-def: $vgpr8_vgpr9
                                        ; implicit-def: $vgpr28_vgpr29
                                        ; implicit-def: $vgpr47
                                        ; implicit-def: $vgpr0
                                        ; implicit-def: $vgpr1
                                        ; implicit-def: $vgpr2
                                        ; implicit-def: $vgpr3
                                        ; implicit-def: $vgpr4
                                        ; implicit-def: $vgpr5
                                        ; implicit-def: $vgpr6
                                        ; implicit-def: $vgpr7
                                        ; implicit-def: $vgpr10
                                        ; implicit-def: $vgpr11
                                        ; implicit-def: $vgpr12
                                        ; implicit-def: $vgpr13
                                        ; implicit-def: $vgpr34
                                        ; implicit-def: $vgpr16
.LBB2056_352:
	s_and_not1_saveexec_b32 s0, s15
	s_cbranch_execz .LBB2056_372
; %bb.353:
	s_delay_alu instid0(VALU_DEP_2) | instskip(SKIP_1) | instid1(VALU_DEP_2)
	v_and_b32_e32 v14, 0xffffffe0, v26
	v_mov_b32_e32 v17, 0x7fff
	v_or_b32_e32 v15, v16, v14
	s_delay_alu instid0(VALU_DEP_1)
	v_cmp_lt_u32_e32 vcc_lo, v15, v47
	s_and_saveexec_b32 s1, vcc_lo
	s_cbranch_execz .LBB2056_355
; %bb.354:
	v_mov_b32_e32 v15, 0
	v_lshlrev_b32_e32 v17, 1, v16
	v_add_co_u32 v18, s0, v0, v28
	s_delay_alu instid0(VALU_DEP_1) | instskip(NEXT) | instid1(VALU_DEP_4)
	v_add_co_ci_u32_e64 v19, s0, v1, v29, s0
	v_lshlrev_b64 v[0:1], 1, v[14:15]
	s_delay_alu instid0(VALU_DEP_3) | instskip(NEXT) | instid1(VALU_DEP_1)
	v_add_co_u32 v15, s0, v18, v17
	v_add_co_ci_u32_e64 v17, s0, 0, v19, s0
	s_delay_alu instid0(VALU_DEP_2) | instskip(NEXT) | instid1(VALU_DEP_1)
	v_add_co_u32 v0, s0, v15, v0
	v_add_co_ci_u32_e64 v1, s0, v17, v1, s0
	flat_load_u16 v17, v[0:1]
.LBB2056_355:
	s_or_b32 exec_lo, exec_lo, s1
	v_lshlrev_b64 v[0:1], 3, v[8:9]
                                        ; implicit-def: $vgpr18_vgpr19
	s_and_saveexec_b32 s0, vcc_lo
	s_cbranch_execz .LBB2056_357
; %bb.356:
	v_dual_mov_b32 v15, 0 :: v_dual_lshlrev_b32 v8, 3, v16
	s_delay_alu instid0(VALU_DEP_2) | instskip(NEXT) | instid1(VALU_DEP_3)
	v_add_co_u32 v9, vcc_lo, v4, v0
	v_add_co_ci_u32_e32 v18, vcc_lo, v5, v1, vcc_lo
	s_delay_alu instid0(VALU_DEP_3) | instskip(NEXT) | instid1(VALU_DEP_3)
	v_lshlrev_b64 v[4:5], 3, v[14:15]
	v_add_co_u32 v8, vcc_lo, v9, v8
	s_delay_alu instid0(VALU_DEP_3) | instskip(NEXT) | instid1(VALU_DEP_2)
	v_add_co_ci_u32_e32 v9, vcc_lo, 0, v18, vcc_lo
	v_add_co_u32 v4, vcc_lo, v8, v4
	s_delay_alu instid0(VALU_DEP_2)
	v_add_co_ci_u32_e32 v5, vcc_lo, v9, v5, vcc_lo
	flat_load_b64 v[18:19], v[4:5]
.LBB2056_357:
	s_or_b32 exec_lo, exec_lo, s0
	s_waitcnt vmcnt(0) lgkmcnt(0)
	v_cmp_lt_i16_e32 vcc_lo, -1, v17
	v_dual_mov_b32 v5, 0 :: v_dual_lshlrev_b32 v14, 5, v34
	s_mov_b32 s16, 0
	s_getpc_b64 s[0:1]
	s_add_u32 s0, s0, _ZN7rocprim17ROCPRIM_400000_NS16block_radix_sortI12hip_bfloat16Lj256ELj1ElLj1ELj1ELj8ELNS0_26block_radix_rank_algorithmE2ELNS0_18block_padding_hintE2ELNS0_4arch9wavefront6targetE0EE19radix_bits_per_passE@rel32@lo+4
	s_addc_u32 s1, s1, _ZN7rocprim17ROCPRIM_400000_NS16block_radix_sortI12hip_bfloat16Lj256ELj1ElLj1ELj1ELj8ELNS0_26block_radix_rank_algorithmE2ELNS0_18block_padding_hintE2ELNS0_4arch9wavefront6targetE0EE19radix_bits_per_passE@rel32@hi+12
	v_cndmask_b32_e64 v4, -1, 0xffff8000, vcc_lo
	v_add_co_u32 v27, vcc_lo, v12, 32
	s_mov_b32 s17, s16
	s_mov_b32 s18, s16
	;; [unrolled: 1-line block ×3, first 2 shown]
	v_and_b32_e32 v15, 0x3e0, v34
	v_add_co_ci_u32_e32 v39, vcc_lo, 0, v13, vcc_lo
	v_add_co_u32 v8, vcc_lo, v12, v14
	v_add_co_ci_u32_e32 v9, vcc_lo, 0, v13, vcc_lo
	v_xor_b32_e32 v22, v4, v17
	v_and_b32_e32 v4, 15, v16
	v_add_co_u32 v30, vcc_lo, v27, v14
	v_min_u32_e32 v14, 0xe0, v15
	v_and_b32_e32 v17, 16, v16
	v_add_nc_u32_e32 v20, -1, v16
	v_add_co_ci_u32_e32 v31, vcc_lo, 0, v39, vcc_lo
	s_load_b32 s15, s[0:1], 0x0
	v_cmp_eq_u32_e32 vcc_lo, 0, v4
	v_cmp_lt_u32_e64 s0, 1, v4
	v_cmp_lt_u32_e64 s1, 3, v4
	;; [unrolled: 1-line block ×3, first 2 shown]
	v_or_b32_e32 v4, 31, v14
	v_cmp_eq_u32_e64 s3, 0, v17
	v_cmp_gt_i32_e64 s4, 0, v20
	v_lshrrev_b32_e32 v17, 5, v34
	v_cmp_eq_u32_e64 s7, 0, v16
	v_lshrrev_b32_e32 v64, 5, v26
	v_cmp_gt_u32_e64 s5, 8, v34
	v_cndmask_b32_e64 v14, v20, v16, s4
	v_cmp_eq_u32_e64 s4, v4, v34
	v_lshlrev_b32_e32 v4, 2, v17
	v_and_b32_e32 v20, 7, v16
	v_or_b32_e32 v16, v16, v15
	v_lshlrev_b32_e32 v65, 2, v14
	v_lshlrev_b32_e32 v14, 2, v34
	v_add_co_u32 v32, s9, v12, v4
	v_add_nc_u32_e32 v4, -1, v17
	v_lshlrev_b32_e32 v17, 1, v16
	v_add_co_ci_u32_e64 v33, s9, 0, v13, s9
	v_add_co_u32 v35, s9, v12, v14
	s_delay_alu instid0(VALU_DEP_3) | instskip(SKIP_4) | instid1(VALU_DEP_4)
	v_add_co_u32 v37, s12, v12, v17
	v_lshlrev_b64 v[14:15], 2, v[4:5]
	v_add_co_ci_u32_e64 v38, s12, 0, v13, s12
	v_add_co_ci_u32_e64 v36, s9, 0, v13, s9
	v_cmp_lt_u32_e64 s6, 31, v34
	v_add_co_u32 v48, s12, v12, v14
	s_delay_alu instid0(VALU_DEP_4)
	v_mad_u64_u32 v[50:51], null, v16, 6, v[37:38]
	v_add_co_ci_u32_e64 v49, s12, v13, v15, s12
	v_mov_b32_e32 v14, s16
	v_cmp_eq_u32_e64 s8, 0, v34
	v_cmp_eq_u32_e64 s9, 0, v20
	v_cmp_lt_u32_e64 s10, 1, v20
	v_cmp_lt_u32_e64 s11, 3, v20
	v_sub_nc_u32_e32 v66, v11, v10
	v_dual_mov_b32 v15, s17 :: v_dual_mov_b32 v16, s18
	v_mov_b32_e32 v17, s19
	s_waitcnt lgkmcnt(0)
	s_waitcnt_vscnt null, 0x0
	s_barrier
	buffer_gl0_inv
	s_branch .LBB2056_359
.LBB2056_358:                           ;   in Loop: Header=BB2056_359 Depth=1
	s_or_b32 exec_lo, exec_lo, s13
	s_delay_alu instid0(SALU_CYCLE_1) | instskip(NEXT) | instid1(SALU_CYCLE_1)
	s_and_b32 s12, exec_lo, s14
	s_or_b32 s16, s12, s16
	s_delay_alu instid0(SALU_CYCLE_1)
	s_and_not1_b32 exec_lo, exec_lo, s16
	s_cbranch_execz .LBB2056_369
.LBB2056_359:                           ; =>This Inner Loop Header: Depth=1
	v_mov_b32_e32 v67, v22
	v_min_u32_e32 v20, s15, v66
	s_clause 0x1
	flat_store_b128 v[8:9], v[14:17] offset:32
	flat_store_b128 v[30:31], v[14:17] offset:16
	s_waitcnt lgkmcnt(0)
	s_waitcnt_vscnt null, 0x0
	s_barrier
	v_cmp_ne_u16_e64 s12, 0x7fff, v67
	buffer_gl0_inv
	; wave barrier
	v_cndmask_b32_e64 v4, 0xffff8000, v67, s12
	s_delay_alu instid0(VALU_DEP_1) | instskip(NEXT) | instid1(VALU_DEP_1)
	v_and_b32_e32 v4, 0xffff, v4
	v_lshrrev_b32_e32 v4, v10, v4
	s_delay_alu instid0(VALU_DEP_1) | instskip(NEXT) | instid1(VALU_DEP_1)
	v_bfe_u32 v4, v4, 0, v20
	v_and_b32_e32 v20, 1, v4
	v_lshlrev_b32_e32 v21, 30, v4
	v_lshlrev_b32_e32 v22, 29, v4
	v_lshlrev_b32_e32 v23, 28, v4
	v_lshlrev_b32_e32 v25, 27, v4
	v_add_co_u32 v20, s12, v20, -1
	s_delay_alu instid0(VALU_DEP_1)
	v_cndmask_b32_e64 v24, 0, 1, s12
	v_not_b32_e32 v54, v21
	v_cmp_gt_i32_e64 s13, 0, v21
	v_not_b32_e32 v21, v22
	v_lshlrev_b32_e32 v52, 26, v4
	v_cmp_ne_u32_e64 s12, 0, v24
	v_ashrrev_i32_e32 v54, 31, v54
	v_lshlrev_b32_e32 v53, 25, v4
	v_ashrrev_i32_e32 v21, 31, v21
	v_lshlrev_b32_e32 v24, 24, v4
	v_xor_b32_e32 v20, s12, v20
	v_cmp_gt_i32_e64 s12, 0, v22
	v_not_b32_e32 v22, v23
	v_xor_b32_e32 v54, s13, v54
	v_cmp_gt_i32_e64 s13, 0, v23
	v_and_b32_e32 v20, exec_lo, v20
	v_not_b32_e32 v23, v25
	v_ashrrev_i32_e32 v22, 31, v22
	v_xor_b32_e32 v21, s12, v21
	v_cmp_gt_i32_e64 s12, 0, v25
	v_and_b32_e32 v20, v20, v54
	v_not_b32_e32 v25, v52
	v_ashrrev_i32_e32 v23, 31, v23
	v_xor_b32_e32 v22, s13, v22
	v_cmp_gt_i32_e64 s13, 0, v52
	v_and_b32_e32 v20, v20, v21
	;; [unrolled: 5-line block ×4, first 2 shown]
	v_ashrrev_i32_e32 v22, 31, v22
	v_xor_b32_e32 v21, s12, v21
	v_dual_mov_b32 v53, v19 :: v_dual_mov_b32 v52, v18
	s_delay_alu instid0(VALU_DEP_4) | instskip(NEXT) | instid1(VALU_DEP_4)
	v_and_b32_e32 v20, v20, v25
	v_xor_b32_e32 v22, s13, v22
	v_lshlrev_b32_e32 v18, 3, v4
	s_delay_alu instid0(VALU_DEP_3) | instskip(NEXT) | instid1(VALU_DEP_2)
	v_and_b32_e32 v20, v20, v21
	v_add_lshl_u32 v18, v18, v64, 2
	s_delay_alu instid0(VALU_DEP_2) | instskip(NEXT) | instid1(VALU_DEP_2)
	v_and_b32_e32 v20, v20, v22
	v_add_co_u32 v54, s14, v27, v18
	s_delay_alu instid0(VALU_DEP_1) | instskip(NEXT) | instid1(VALU_DEP_3)
	v_add_co_ci_u32_e64 v55, s14, 0, v39, s14
	v_mbcnt_lo_u32_b32 v4, v20, 0
	v_cmp_ne_u32_e64 s12, 0, v20
	s_delay_alu instid0(VALU_DEP_2) | instskip(NEXT) | instid1(VALU_DEP_1)
	v_cmp_eq_u32_e64 s13, 0, v4
	s_and_b32 s13, s12, s13
	s_delay_alu instid0(SALU_CYCLE_1)
	s_and_saveexec_b32 s12, s13
	s_cbranch_execz .LBB2056_361
; %bb.360:                              ;   in Loop: Header=BB2056_359 Depth=1
	v_bcnt_u32_b32 v18, v20, 0
	flat_store_b32 v[54:55], v18
.LBB2056_361:                           ;   in Loop: Header=BB2056_359 Depth=1
	s_or_b32 exec_lo, exec_lo, s12
	; wave barrier
	s_waitcnt lgkmcnt(0)
	s_waitcnt_vscnt null, 0x0
	s_barrier
	buffer_gl0_inv
	s_clause 0x1
	flat_load_b128 v[22:25], v[8:9] offset:32
	flat_load_b128 v[18:21], v[30:31] offset:16
	s_waitcnt vmcnt(1) lgkmcnt(1)
	v_add_nc_u32_e32 v68, v23, v22
	s_delay_alu instid0(VALU_DEP_1) | instskip(SKIP_1) | instid1(VALU_DEP_1)
	v_add3_u32 v68, v68, v24, v25
	s_waitcnt vmcnt(0) lgkmcnt(0)
	v_add3_u32 v68, v68, v18, v19
	s_delay_alu instid0(VALU_DEP_1) | instskip(NEXT) | instid1(VALU_DEP_1)
	v_add3_u32 v21, v68, v20, v21
	v_mov_b32_dpp v68, v21 row_shr:1 row_mask:0xf bank_mask:0xf
	s_delay_alu instid0(VALU_DEP_1) | instskip(NEXT) | instid1(VALU_DEP_1)
	v_cndmask_b32_e64 v68, v68, 0, vcc_lo
	v_add_nc_u32_e32 v21, v68, v21
	s_delay_alu instid0(VALU_DEP_1) | instskip(NEXT) | instid1(VALU_DEP_1)
	v_mov_b32_dpp v68, v21 row_shr:2 row_mask:0xf bank_mask:0xf
	v_cndmask_b32_e64 v68, 0, v68, s0
	s_delay_alu instid0(VALU_DEP_1) | instskip(NEXT) | instid1(VALU_DEP_1)
	v_add_nc_u32_e32 v21, v21, v68
	v_mov_b32_dpp v68, v21 row_shr:4 row_mask:0xf bank_mask:0xf
	s_delay_alu instid0(VALU_DEP_1) | instskip(NEXT) | instid1(VALU_DEP_1)
	v_cndmask_b32_e64 v68, 0, v68, s1
	v_add_nc_u32_e32 v21, v21, v68
	s_delay_alu instid0(VALU_DEP_1) | instskip(NEXT) | instid1(VALU_DEP_1)
	v_mov_b32_dpp v68, v21 row_shr:8 row_mask:0xf bank_mask:0xf
	v_cndmask_b32_e64 v68, 0, v68, s2
	s_delay_alu instid0(VALU_DEP_1) | instskip(SKIP_3) | instid1(VALU_DEP_1)
	v_add_nc_u32_e32 v21, v21, v68
	ds_swizzle_b32 v68, v21 offset:swizzle(BROADCAST,32,15)
	s_waitcnt lgkmcnt(0)
	v_cndmask_b32_e64 v68, v68, 0, s3
	v_add_nc_u32_e32 v21, v21, v68
	s_and_saveexec_b32 s12, s4
	s_cbranch_execz .LBB2056_363
; %bb.362:                              ;   in Loop: Header=BB2056_359 Depth=1
	flat_store_b32 v[32:33], v21
.LBB2056_363:                           ;   in Loop: Header=BB2056_359 Depth=1
	s_or_b32 exec_lo, exec_lo, s12
	s_waitcnt lgkmcnt(0)
	s_waitcnt_vscnt null, 0x0
	s_barrier
	buffer_gl0_inv
	s_and_saveexec_b32 s12, s5
	s_cbranch_execz .LBB2056_365
; %bb.364:                              ;   in Loop: Header=BB2056_359 Depth=1
	flat_load_b32 v68, v[35:36]
	s_waitcnt vmcnt(0) lgkmcnt(0)
	v_mov_b32_dpp v69, v68 row_shr:1 row_mask:0xf bank_mask:0xf
	s_delay_alu instid0(VALU_DEP_1) | instskip(NEXT) | instid1(VALU_DEP_1)
	v_cndmask_b32_e64 v69, v69, 0, s9
	v_add_nc_u32_e32 v68, v69, v68
	s_delay_alu instid0(VALU_DEP_1) | instskip(NEXT) | instid1(VALU_DEP_1)
	v_mov_b32_dpp v69, v68 row_shr:2 row_mask:0xf bank_mask:0xf
	v_cndmask_b32_e64 v69, 0, v69, s10
	s_delay_alu instid0(VALU_DEP_1) | instskip(NEXT) | instid1(VALU_DEP_1)
	v_add_nc_u32_e32 v68, v68, v69
	v_mov_b32_dpp v69, v68 row_shr:4 row_mask:0xf bank_mask:0xf
	s_delay_alu instid0(VALU_DEP_1) | instskip(NEXT) | instid1(VALU_DEP_1)
	v_cndmask_b32_e64 v69, 0, v69, s11
	v_add_nc_u32_e32 v68, v68, v69
	flat_store_b32 v[35:36], v68
.LBB2056_365:                           ;   in Loop: Header=BB2056_359 Depth=1
	s_or_b32 exec_lo, exec_lo, s12
	v_mov_b32_e32 v68, 0
	s_waitcnt lgkmcnt(0)
	s_waitcnt_vscnt null, 0x0
	s_barrier
	buffer_gl0_inv
	s_and_saveexec_b32 s12, s6
	s_cbranch_execz .LBB2056_367
; %bb.366:                              ;   in Loop: Header=BB2056_359 Depth=1
	flat_load_b32 v68, v[48:49]
.LBB2056_367:                           ;   in Loop: Header=BB2056_359 Depth=1
	s_or_b32 exec_lo, exec_lo, s12
	s_waitcnt vmcnt(0) lgkmcnt(0)
	v_add_nc_u32_e32 v21, v68, v21
	v_add_nc_u32_e32 v10, 8, v10
	s_mov_b32 s14, -1
	ds_bpermute_b32 v21, v65, v21
	s_waitcnt lgkmcnt(0)
	v_cndmask_b32_e64 v21, v21, v68, s7
	s_delay_alu instid0(VALU_DEP_1) | instskip(NEXT) | instid1(VALU_DEP_1)
	v_cndmask_b32_e64 v21, v21, 0, s8
	v_add_nc_u32_e32 v22, v21, v22
	s_delay_alu instid0(VALU_DEP_1) | instskip(NEXT) | instid1(VALU_DEP_1)
	v_add_nc_u32_e32 v23, v22, v23
	v_add_nc_u32_e32 v24, v23, v24
	s_delay_alu instid0(VALU_DEP_1) | instskip(NEXT) | instid1(VALU_DEP_1)
	v_add_nc_u32_e32 v68, v24, v25
	v_add_nc_u32_e32 v69, v68, v18
	s_delay_alu instid0(VALU_DEP_1) | instskip(NEXT) | instid1(VALU_DEP_1)
	v_add_nc_u32_e32 v70, v69, v19
	v_add_nc_u32_e32 v71, v70, v20
	s_clause 0x1
	flat_store_b128 v[8:9], v[21:24] offset:32
	flat_store_b128 v[30:31], v[68:71] offset:16
	s_waitcnt lgkmcnt(0)
	s_waitcnt_vscnt null, 0x0
	s_barrier
	buffer_gl0_inv
	flat_load_b32 v18, v[54:55]
	s_waitcnt vmcnt(0) lgkmcnt(0)
	s_waitcnt_vscnt null, 0x0
                                        ; implicit-def: $vgpr22
	s_waitcnt vmcnt(0) lgkmcnt(0)
	v_add_nc_u32_e32 v4, v18, v4
	s_delay_alu instid0(VALU_DEP_1) | instskip(NEXT) | instid1(VALU_DEP_1)
	v_lshlrev_b64 v[18:19], 1, v[4:5]
	v_add_co_u32 v20, s13, v12, v18
	s_delay_alu instid0(VALU_DEP_1)
	v_add_co_ci_u32_e64 v21, s13, v13, v19, s13
	s_mov_b32 s13, exec_lo
                                        ; implicit-def: $vgpr18_vgpr19
	v_cmpx_lt_u32_e64 v10, v11
	s_cbranch_execz .LBB2056_358
; %bb.368:                              ;   in Loop: Header=BB2056_359 Depth=1
	s_delay_alu instid0(VALU_DEP_2)
	v_mad_u64_u32 v[18:19], null, v4, 6, v[20:21]
	s_barrier
	buffer_gl0_inv
	flat_store_b16 v[20:21], v67
	s_waitcnt lgkmcnt(0)
	s_waitcnt_vscnt null, 0x0
	s_barrier
	buffer_gl0_inv
	flat_load_u16 v22, v[37:38]
	s_waitcnt vmcnt(0) lgkmcnt(0)
	s_barrier
	buffer_gl0_inv
	flat_store_b64 v[18:19], v[52:53]
	s_waitcnt lgkmcnt(0)
	s_waitcnt_vscnt null, 0x0
	s_barrier
	buffer_gl0_inv
	flat_load_b64 v[18:19], v[50:51]
	v_add_nc_u32_e32 v66, -8, v66
	s_xor_b32 s14, exec_lo, -1
	s_waitcnt vmcnt(0) lgkmcnt(0)
	s_barrier
	buffer_gl0_inv
	s_branch .LBB2056_358
.LBB2056_369:
	s_or_b32 exec_lo, exec_lo, s16
	v_lshlrev_b32_e32 v5, 1, v34
	s_barrier
	buffer_gl0_inv
	flat_store_b16 v[20:21], v67
	s_waitcnt lgkmcnt(0)
	s_waitcnt_vscnt null, 0x0
	v_add_co_u32 v9, vcc_lo, v12, v5
	v_add_co_ci_u32_e32 v10, vcc_lo, 0, v13, vcc_lo
	v_mad_u64_u32 v[11:12], null, v4, 6, v[20:21]
	s_barrier
	s_delay_alu instid0(VALU_DEP_2)
	v_mad_u64_u32 v[4:5], null, v34, 6, v[9:10]
	buffer_gl0_inv
	flat_load_u16 v8, v[9:10]
	s_waitcnt vmcnt(0) lgkmcnt(0)
	s_barrier
	buffer_gl0_inv
	flat_store_b64 v[11:12], v[52:53]
	s_waitcnt lgkmcnt(0)
	s_waitcnt_vscnt null, 0x0
	s_barrier
	buffer_gl0_inv
	flat_load_b64 v[4:5], v[4:5]
	v_mov_b32_e32 v27, 0
	s_mov_b32 s0, exec_lo
	s_waitcnt vmcnt(0) lgkmcnt(0)
	s_barrier
	buffer_gl0_inv
	v_cmpx_lt_u32_e64 v26, v47
	s_cbranch_execz .LBB2056_371
; %bb.370:
	v_lshlrev_b64 v[9:10], 1, v[26:27]
	v_add_co_u32 v2, vcc_lo, v2, v28
	v_add_co_ci_u32_e32 v3, vcc_lo, v3, v29, vcc_lo
	s_delay_alu instid0(VALU_DEP_2) | instskip(NEXT) | instid1(VALU_DEP_2)
	v_add_co_u32 v2, vcc_lo, v2, v9
	v_add_co_ci_u32_e32 v3, vcc_lo, v3, v10, vcc_lo
	v_cmp_lt_i16_e32 vcc_lo, -1, v8
	v_lshlrev_b64 v[9:10], 3, v[26:27]
	v_cndmask_b32_e64 v11, 0xffff8000, -1, vcc_lo
	v_add_co_u32 v0, vcc_lo, v6, v0
	v_add_co_ci_u32_e32 v1, vcc_lo, v7, v1, vcc_lo
	s_delay_alu instid0(VALU_DEP_3) | instskip(NEXT) | instid1(VALU_DEP_3)
	v_xor_b32_e32 v6, v11, v8
	v_add_co_u32 v0, vcc_lo, v0, v9
	s_delay_alu instid0(VALU_DEP_3)
	v_add_co_ci_u32_e32 v1, vcc_lo, v1, v10, vcc_lo
	flat_store_b16 v[2:3], v6
	flat_store_b64 v[0:1], v[4:5]
.LBB2056_371:
	s_or_b32 exec_lo, exec_lo, s0
.LBB2056_372:
	s_delay_alu instid0(SALU_CYCLE_1)
	s_or_b32 exec_lo, exec_lo, s24
	s_clause 0x1f
	scratch_load_b32 v141, off, s32
	scratch_load_b32 v140, off, s32 offset:4
	scratch_load_b32 v139, off, s32 offset:8
	scratch_load_b32 v138, off, s32 offset:12
	scratch_load_b32 v137, off, s32 offset:16
	scratch_load_b32 v136, off, s32 offset:20
	scratch_load_b32 v127, off, s32 offset:24
	scratch_load_b32 v126, off, s32 offset:28
	scratch_load_b32 v125, off, s32 offset:32
	scratch_load_b32 v124, off, s32 offset:36
	scratch_load_b32 v123, off, s32 offset:40
	scratch_load_b32 v122, off, s32 offset:44
	scratch_load_b32 v121, off, s32 offset:48
	scratch_load_b32 v120, off, s32 offset:52
	scratch_load_b32 v111, off, s32 offset:56
	scratch_load_b32 v110, off, s32 offset:60
	scratch_load_b32 v109, off, s32 offset:64
	scratch_load_b32 v108, off, s32 offset:68
	scratch_load_b32 v107, off, s32 offset:72
	scratch_load_b32 v106, off, s32 offset:76
	scratch_load_b32 v105, off, s32 offset:80
	scratch_load_b32 v104, off, s32 offset:84
	scratch_load_b32 v95, off, s32 offset:88
	scratch_load_b32 v94, off, s32 offset:92
	scratch_load_b32 v93, off, s32 offset:96
	scratch_load_b32 v92, off, s32 offset:100
	scratch_load_b32 v91, off, s32 offset:104
	scratch_load_b32 v90, off, s32 offset:108
	scratch_load_b32 v89, off, s32 offset:112
	scratch_load_b32 v88, off, s32 offset:116
	scratch_load_b32 v79, off, s32 offset:120
	scratch_load_b32 v78, off, s32 offset:124
	s_clause 0x15
	scratch_load_b32 v77, off, s32 offset:128
	scratch_load_b32 v76, off, s32 offset:132
	;; [unrolled: 1-line block ×22, first 2 shown]
	s_waitcnt vmcnt(0) lgkmcnt(0)
	s_setpc_b64 s[30:31]
.Lfunc_end2056:
	.size	_ZN7rocprim17ROCPRIM_400000_NS6detail40segmented_radix_sort_single_block_helperI12hip_bfloat16lLj256ELj16ELb0EE4sortIPKS3_PS3_PKlPlEEbT_T0_T1_T2_jjjjRNS4_12storage_typeE, .Lfunc_end2056-_ZN7rocprim17ROCPRIM_400000_NS6detail40segmented_radix_sort_single_block_helperI12hip_bfloat16lLj256ELj16ELb0EE4sortIPKS3_PS3_PKlPlEEbT_T0_T1_T2_jjjjRNS4_12storage_typeE
                                        ; -- End function
	.section	.AMDGPU.csdata,"",@progbits
; Function info:
; codeLenInByte = 34012
; NumSgprs: 35
; NumVgprs: 248
; ScratchSize: 220
; MemoryBound: 1
	.section	.text._ZN7rocprim17ROCPRIM_400000_NS6detail17trampoline_kernelINS0_14default_configENS1_36segmented_radix_sort_config_selectorI12hip_bfloat16lEEZNS1_25segmented_radix_sort_implIS3_Lb0EPKS5_PS5_PKlPlN2at6native12_GLOBAL__N_18offset_tEEE10hipError_tPvRmT1_PNSt15iterator_traitsISL_E10value_typeET2_T3_PNSM_ISR_E10value_typeET4_jRbjT5_SX_jjP12ihipStream_tbEUlT_E_NS1_11comp_targetILNS1_3genE9ELNS1_11target_archE1100ELNS1_3gpuE3ELNS1_3repE0EEENS1_30default_config_static_selectorELNS0_4arch9wavefront6targetE0EEEvSL_,"axG",@progbits,_ZN7rocprim17ROCPRIM_400000_NS6detail17trampoline_kernelINS0_14default_configENS1_36segmented_radix_sort_config_selectorI12hip_bfloat16lEEZNS1_25segmented_radix_sort_implIS3_Lb0EPKS5_PS5_PKlPlN2at6native12_GLOBAL__N_18offset_tEEE10hipError_tPvRmT1_PNSt15iterator_traitsISL_E10value_typeET2_T3_PNSM_ISR_E10value_typeET4_jRbjT5_SX_jjP12ihipStream_tbEUlT_E_NS1_11comp_targetILNS1_3genE9ELNS1_11target_archE1100ELNS1_3gpuE3ELNS1_3repE0EEENS1_30default_config_static_selectorELNS0_4arch9wavefront6targetE0EEEvSL_,comdat
	.globl	_ZN7rocprim17ROCPRIM_400000_NS6detail17trampoline_kernelINS0_14default_configENS1_36segmented_radix_sort_config_selectorI12hip_bfloat16lEEZNS1_25segmented_radix_sort_implIS3_Lb0EPKS5_PS5_PKlPlN2at6native12_GLOBAL__N_18offset_tEEE10hipError_tPvRmT1_PNSt15iterator_traitsISL_E10value_typeET2_T3_PNSM_ISR_E10value_typeET4_jRbjT5_SX_jjP12ihipStream_tbEUlT_E_NS1_11comp_targetILNS1_3genE9ELNS1_11target_archE1100ELNS1_3gpuE3ELNS1_3repE0EEENS1_30default_config_static_selectorELNS0_4arch9wavefront6targetE0EEEvSL_ ; -- Begin function _ZN7rocprim17ROCPRIM_400000_NS6detail17trampoline_kernelINS0_14default_configENS1_36segmented_radix_sort_config_selectorI12hip_bfloat16lEEZNS1_25segmented_radix_sort_implIS3_Lb0EPKS5_PS5_PKlPlN2at6native12_GLOBAL__N_18offset_tEEE10hipError_tPvRmT1_PNSt15iterator_traitsISL_E10value_typeET2_T3_PNSM_ISR_E10value_typeET4_jRbjT5_SX_jjP12ihipStream_tbEUlT_E_NS1_11comp_targetILNS1_3genE9ELNS1_11target_archE1100ELNS1_3gpuE3ELNS1_3repE0EEENS1_30default_config_static_selectorELNS0_4arch9wavefront6targetE0EEEvSL_
	.p2align	8
	.type	_ZN7rocprim17ROCPRIM_400000_NS6detail17trampoline_kernelINS0_14default_configENS1_36segmented_radix_sort_config_selectorI12hip_bfloat16lEEZNS1_25segmented_radix_sort_implIS3_Lb0EPKS5_PS5_PKlPlN2at6native12_GLOBAL__N_18offset_tEEE10hipError_tPvRmT1_PNSt15iterator_traitsISL_E10value_typeET2_T3_PNSM_ISR_E10value_typeET4_jRbjT5_SX_jjP12ihipStream_tbEUlT_E_NS1_11comp_targetILNS1_3genE9ELNS1_11target_archE1100ELNS1_3gpuE3ELNS1_3repE0EEENS1_30default_config_static_selectorELNS0_4arch9wavefront6targetE0EEEvSL_,@function
_ZN7rocprim17ROCPRIM_400000_NS6detail17trampoline_kernelINS0_14default_configENS1_36segmented_radix_sort_config_selectorI12hip_bfloat16lEEZNS1_25segmented_radix_sort_implIS3_Lb0EPKS5_PS5_PKlPlN2at6native12_GLOBAL__N_18offset_tEEE10hipError_tPvRmT1_PNSt15iterator_traitsISL_E10value_typeET2_T3_PNSM_ISR_E10value_typeET4_jRbjT5_SX_jjP12ihipStream_tbEUlT_E_NS1_11comp_targetILNS1_3genE9ELNS1_11target_archE1100ELNS1_3gpuE3ELNS1_3repE0EEENS1_30default_config_static_selectorELNS0_4arch9wavefront6targetE0EEEvSL_: ; @_ZN7rocprim17ROCPRIM_400000_NS6detail17trampoline_kernelINS0_14default_configENS1_36segmented_radix_sort_config_selectorI12hip_bfloat16lEEZNS1_25segmented_radix_sort_implIS3_Lb0EPKS5_PS5_PKlPlN2at6native12_GLOBAL__N_18offset_tEEE10hipError_tPvRmT1_PNSt15iterator_traitsISL_E10value_typeET2_T3_PNSM_ISR_E10value_typeET4_jRbjT5_SX_jjP12ihipStream_tbEUlT_E_NS1_11comp_targetILNS1_3genE9ELNS1_11target_archE1100ELNS1_3gpuE3ELNS1_3repE0EEENS1_30default_config_static_selectorELNS0_4arch9wavefront6targetE0EEEvSL_
; %bb.0:
	s_clause 0x1
	s_load_b64 s[2:3], s[0:1], 0x38
	s_load_b128 s[4:7], s[0:1], 0x40
	s_mov_b32 s26, s14
	s_mov_b32 s27, 0
	s_mov_b32 s32, 0
	s_lshl_b64 s[8:9], s[26:27], 2
	s_waitcnt lgkmcnt(0)
	s_add_u32 s2, s2, s8
	s_addc_u32 s3, s3, s9
	s_load_b32 s2, s[2:3], 0x0
	s_waitcnt lgkmcnt(0)
	s_add_i32 s52, s2, s5
	s_add_i32 s53, s2, s7
	s_mul_i32 s52, s52, s4
	s_mul_i32 s53, s53, s6
	s_delay_alu instid0(SALU_CYCLE_1)
	s_cmp_le_u32 s53, s52
	s_cbranch_scc1 .LBB2057_1190
; %bb.1:
	s_clause 0x3
	s_load_b32 s2, s[0:1], 0x30
	s_load_b128 s[44:47], s[0:1], 0x20
	s_load_b128 s[48:51], s[0:1], 0x50
	s_load_b256 s[36:43], s[0:1], 0x0
	s_waitcnt lgkmcnt(0)
	s_bitcmp1_b32 s2, 0
	s_mov_b32 s2, -1
	s_cselect_b32 s51, -1, 0
	s_sub_i32 s54, s53, s52
	s_delay_alu instid0(SALU_CYCLE_1)
	s_cmpk_lt_u32 s54, 0x1001
	s_cbranch_scc0 .LBB2057_7
; %bb.2:
	v_cndmask_b32_e64 v1, 0, 1, s51
	s_and_b32 s2, s48, 1
	s_delay_alu instid0(VALU_DEP_1) | instid1(SALU_CYCLE_1)
	v_cmp_ne_u32_e32 vcc_lo, s2, v1
	s_mov_b32 s2, -1
	s_cbranch_vccnz .LBB2057_4
; %bb.3:
	s_mov_b64 s[2:3], src_shared_base
	v_mov_b32_e32 v31, v0
	v_dual_mov_b32 v40, v0 :: v_dual_mov_b32 v1, s37
	v_mov_b32_e32 v0, s36
	v_dual_mov_b32 v2, s40 :: v_dual_mov_b32 v3, s41
	v_dual_mov_b32 v4, s42 :: v_dual_mov_b32 v5, s43
	;; [unrolled: 1-line block ×6, first 2 shown]
	s_add_u32 s8, s0, 0x60
	s_addc_u32 s9, s1, 0
	s_mov_b32 s12, s26
	s_mov_b32 s13, s15
	s_getpc_b64 s[4:5]
	s_add_u32 s4, s4, _ZN7rocprim17ROCPRIM_400000_NS6detail40segmented_radix_sort_single_block_helperI12hip_bfloat16lLj256ELj16ELb0EE4sortIPKS3_PS3_PKlPlEEbT_T0_T1_T2_jjjjRNS4_12storage_typeE@rel32@lo+4
	s_addc_u32 s5, s5, _ZN7rocprim17ROCPRIM_400000_NS6detail40segmented_radix_sort_single_block_helperI12hip_bfloat16lLj256ELj16ELb0EE4sortIPKS3_PS3_PKlPlEEbT_T0_T1_T2_jjjjRNS4_12storage_typeE@rel32@hi+12
	s_mov_b64 s[28:29], s[0:1]
	s_mov_b32 s27, s15
	s_swappc_b64 s[30:31], s[4:5]
	v_mov_b32_e32 v0, v40
	s_mov_b32 s15, s27
	s_mov_b64 s[0:1], s[28:29]
	s_mov_b32 s2, 0
.LBB2057_4:
	s_delay_alu instid0(SALU_CYCLE_1)
	s_and_not1_b32 vcc_lo, exec_lo, s2
	s_cbranch_vccnz .LBB2057_6
; %bb.5:
	s_mov_b64 s[2:3], src_shared_base
	v_mov_b32_e32 v31, v0
	v_dual_mov_b32 v40, v0 :: v_dual_mov_b32 v1, s37
	v_mov_b32_e32 v0, s36
	v_dual_mov_b32 v2, s38 :: v_dual_mov_b32 v3, s39
	v_dual_mov_b32 v4, s42 :: v_dual_mov_b32 v5, s43
	;; [unrolled: 1-line block ×6, first 2 shown]
	s_add_u32 s8, s0, 0x60
	s_addc_u32 s9, s1, 0
	s_mov_b32 s12, s26
	s_mov_b32 s13, s15
	s_getpc_b64 s[4:5]
	s_add_u32 s4, s4, _ZN7rocprim17ROCPRIM_400000_NS6detail40segmented_radix_sort_single_block_helperI12hip_bfloat16lLj256ELj16ELb0EE4sortIPKS3_PS3_PKlPlEEbT_T0_T1_T2_jjjjRNS4_12storage_typeE@rel32@lo+4
	s_addc_u32 s5, s5, _ZN7rocprim17ROCPRIM_400000_NS6detail40segmented_radix_sort_single_block_helperI12hip_bfloat16lLj256ELj16ELb0EE4sortIPKS3_PS3_PKlPlEEbT_T0_T1_T2_jjjjRNS4_12storage_typeE@rel32@hi+12
	s_mov_b64 s[28:29], s[0:1]
	s_mov_b32 s27, s15
	s_swappc_b64 s[30:31], s[4:5]
	v_mov_b32_e32 v0, v40
	s_mov_b32 s15, s27
	s_mov_b64 s[0:1], s[28:29]
.LBB2057_6:
	s_mov_b32 s2, 0
.LBB2057_7:
	s_delay_alu instid0(SALU_CYCLE_1)
	s_and_not1_b32 vcc_lo, exec_lo, s2
	s_cbranch_vccnz .LBB2057_1190
; %bb.8:
	s_cmp_ge_u32 s49, s50
	s_cbranch_scc1 .LBB2057_1190
; %bb.9:
	v_dual_mov_b32 v94, 1 :: v_dual_and_b32 v1, 0x3ff, v0
	v_mov_b32_e32 v3, 0
	v_bfe_u32 v70, v0, 20, 10
	v_bfe_u32 v0, v0, 10, 10
	s_delay_alu instid0(VALU_DEP_4)
	v_lshlrev_b32_e32 v44, 2, v1
	v_lshrrev_b32_e32 v4, 3, v1
	v_or_b32_e32 v5, 31, v1
	v_lshlrev_b32_e32 v6, 5, v1
	v_lshlrev_b32_e32 v2, 1, v1
	v_mad_u32_u24 v64, v1, 12, v44
	v_and_b32_e32 v62, 28, v4
	v_lshlrev_b32_e32 v4, 4, v1
	v_cmp_eq_u32_e64 s3, v5, v1
	v_add_nc_u32_e32 v5, 1, v1
	v_mad_u32_u24 v69, v1, 20, v64
	v_or_b32_e32 v55, 0x800, v1
	v_and_b32_e32 v68, 0xe00, v4
	v_mul_u32_u24_e32 v4, 9, v1
	v_or_b32_e32 v56, 0x900, v1
	v_sub_nc_u32_e32 v72, v69, v6
	v_or_b32_e32 v57, 0xa00, v1
	v_lshlrev_b32_e32 v6, 3, v68
	v_lshl_add_u32 v71, v4, 2, 0x420
	v_mul_u32_u24_e32 v4, 9, v5
	v_or_b32_e32 v58, 0xb00, v1
	v_or_b32_e32 v59, 0xc00, v1
	v_add_co_u32 v74, s8, s46, v6
	s_delay_alu instid0(VALU_DEP_4) | instskip(SKIP_4) | instid1(VALU_DEP_4)
	v_lshlrev_b32_e32 v73, 2, v4
	v_lshlrev_b32_e32 v4, 1, v68
	v_add_co_ci_u32_e64 v75, null, s47, 0, s8
	v_or_b32_e32 v60, 0xd00, v1
	v_or_b32_e32 v61, 0xe00, v1
	v_add_co_u32 v76, s8, s40, v4
	s_delay_alu instid0(VALU_DEP_1) | instskip(SKIP_1) | instid1(VALU_DEP_1)
	v_add_co_ci_u32_e64 v77, null, s41, 0, s8
	v_add_co_u32 v82, s8, s38, v2
	v_add_co_ci_u32_e64 v83, null, s39, 0, s8
	v_add_co_u32 v84, s8, s44, v6
	s_delay_alu instid0(VALU_DEP_1) | instskip(SKIP_1) | instid1(VALU_DEP_1)
	v_add_co_ci_u32_e64 v85, null, s45, 0, s8
	v_add_co_u32 v86, s8, s38, v4
	v_add_co_ci_u32_e64 v87, null, s39, 0, s8
	v_add_co_u32 v88, s8, s36, v2
	v_or_b32_e32 v63, 0xf00, v1
	v_add_co_ci_u32_e64 v89, null, s37, 0, s8
	v_add_co_u32 v90, s8, s42, v6
	v_add_co_u32 v49, s2, s40, v2
	v_add_co_ci_u32_e64 v91, null, s43, 0, s8
	v_add_co_u32 v92, s8, s36, v4
	v_or_b32_e32 v45, 0x100, v1
	v_or_b32_e32 v46, 0x200, v1
	;; [unrolled: 1-line block ×3, first 2 shown]
	v_and_b32_e32 v48, 3, v1
	v_add_co_ci_u32_e64 v50, null, s41, 0, s2
	v_or_b32_e32 v51, 0x400, v1
	v_or_b32_e32 v52, 0x500, v1
	;; [unrolled: 1-line block ×4, first 2 shown]
	v_cmp_gt_u32_e64 s2, 0x100, v1
	v_or_b32_e32 v65, 0x8400, v62
	v_cmp_gt_u32_e64 s4, 8, v1
	v_add_nc_u32_e32 v66, 0x8400, v44
	v_cmp_lt_u32_e64 s5, 31, v1
	v_add_nc_u32_e32 v67, 0x83fc, v62
	v_cmp_eq_u32_e64 s6, 0, v1
	v_cmp_ne_u32_e64 s7, 0x100, v5
	v_sub_nc_u32_e32 v78, 0, v2
	v_add_nc_u32_e32 v79, 0x400, v2
	v_lshlrev_b32_e32 v80, 3, v1
	v_mul_u32_u24_e32 v81, 6, v1
	v_add_co_ci_u32_e64 v93, null, s37, 0, s8
	v_lshlrev_b32_e32 v95, 1, v1
	v_lshlrev_b32_e32 v96, 1, v55
	;; [unrolled: 1-line block ×9, first 2 shown]
	v_mbcnt_lo_u32_b32 v104, -1, 0
	s_add_u32 s42, s0, 0x60
	s_mov_b32 s35, 0
	s_addc_u32 s43, s1, 0
	s_mov_b32 s48, s49
	s_branch .LBB2057_12
.LBB2057_10:                            ;   in Loop: Header=BB2057_12 Depth=1
	s_waitcnt lgkmcnt(0)
	s_barrier
.LBB2057_11:                            ;   in Loop: Header=BB2057_12 Depth=1
	s_add_i32 s48, s48, 8
	buffer_gl0_inv
	s_cmp_ge_u32 s48, s50
	s_cbranch_scc1 .LBB2057_1190
.LBB2057_12:                            ; =>This Loop Header: Depth=1
                                        ;     Child Loop BB2057_16 Depth 2
                                        ;     Child Loop BB2057_98 Depth 2
	;; [unrolled: 1-line block ×8, first 2 shown]
	s_sub_i32 s0, s50, s48
	s_xor_b32 s51, s51, -1
	s_min_u32 s0, s0, 8
	ds_store_2addr_stride64_b32 v44, v3, v3 offset1:4
	s_lshl_b32 s0, -1, s0
	ds_store_2addr_stride64_b32 v44, v3, v3 offset0:8 offset1:12
	s_not_b32 s55, s0
	s_cmp_lg_u32 s48, s49
	s_mov_b32 s0, -1
	s_waitcnt lgkmcnt(0)
	s_waitcnt_vscnt null, 0x0
	s_cbranch_scc0 .LBB2057_602
; %bb.13:                               ;   in Loop: Header=BB2057_12 Depth=1
	s_and_b32 vcc_lo, exec_lo, s51
	s_cbranch_vccz .LBB2057_307
; %bb.14:                               ;   in Loop: Header=BB2057_12 Depth=1
	s_mov_b32 s8, s54
	s_mov_b32 s34, s52
	s_barrier
	buffer_gl0_inv
                                        ; implicit-def: $vgpr20
                                        ; implicit-def: $vgpr2
                                        ; implicit-def: $vgpr6
                                        ; implicit-def: $vgpr7
                                        ; implicit-def: $vgpr8
                                        ; implicit-def: $vgpr9
                                        ; implicit-def: $vgpr10
                                        ; implicit-def: $vgpr11
                                        ; implicit-def: $vgpr12
                                        ; implicit-def: $vgpr13
                                        ; implicit-def: $vgpr14
                                        ; implicit-def: $vgpr15
                                        ; implicit-def: $vgpr16
                                        ; implicit-def: $vgpr17
                                        ; implicit-def: $vgpr18
                                        ; implicit-def: $vgpr19
	s_branch .LBB2057_16
.LBB2057_15:                            ;   in Loop: Header=BB2057_16 Depth=2
	s_or_b32 exec_lo, exec_lo, s0
	s_addk_i32 s8, 0xf000
	s_cmp_ge_u32 s9, s53
	s_mov_b32 s34, s9
	s_cbranch_scc1 .LBB2057_86
.LBB2057_16:                            ;   Parent Loop BB2057_12 Depth=1
                                        ; =>  This Inner Loop Header: Depth=2
	s_add_i32 s9, s34, 0x1000
	s_delay_alu instid0(SALU_CYCLE_1)
	s_cmp_gt_u32 s9, s53
	s_cbranch_scc1 .LBB2057_19
; %bb.17:                               ;   in Loop: Header=BB2057_16 Depth=2
	s_mov_b32 s1, 0
	s_mov_b32 s0, s34
	s_delay_alu instid0(SALU_CYCLE_1) | instskip(NEXT) | instid1(SALU_CYCLE_1)
	s_lshl_b64 s[10:11], s[0:1], 1
	v_add_co_u32 v4, vcc_lo, v49, s10
	v_add_co_ci_u32_e32 v5, vcc_lo, s11, v50, vcc_lo
	s_movk_i32 s11, 0x1000
	s_waitcnt vmcnt(0)
	s_delay_alu instid0(VALU_DEP_2) | instskip(NEXT) | instid1(VALU_DEP_2)
	v_add_co_u32 v36, vcc_lo, 0x1000, v4
	v_add_co_ci_u32_e32 v37, vcc_lo, 0, v5, vcc_lo
	s_clause 0xe
	global_load_u16 v22, v[4:5], off
	global_load_u16 v23, v[4:5], off offset:512
	global_load_u16 v24, v[4:5], off offset:1024
	;; [unrolled: 1-line block ×7, first 2 shown]
	global_load_u16 v30, v[36:37], off
	global_load_u16 v31, v[36:37], off offset:512
	global_load_u16 v32, v[36:37], off offset:1024
	;; [unrolled: 1-line block ×6, first 2 shown]
	v_add_co_u32 v4, vcc_lo, 0x1e00, v4
	v_add_co_ci_u32_e32 v5, vcc_lo, 0, v5, vcc_lo
	s_mov_b32 s10, -1
	s_cbranch_execz .LBB2057_20
; %bb.18:                               ;   in Loop: Header=BB2057_16 Depth=2
                                        ; implicit-def: $vgpr19
                                        ; implicit-def: $vgpr18
                                        ; implicit-def: $vgpr17
                                        ; implicit-def: $vgpr16
                                        ; implicit-def: $vgpr15
                                        ; implicit-def: $vgpr14
                                        ; implicit-def: $vgpr13
                                        ; implicit-def: $vgpr12
                                        ; implicit-def: $vgpr11
                                        ; implicit-def: $vgpr10
                                        ; implicit-def: $vgpr9
                                        ; implicit-def: $vgpr8
                                        ; implicit-def: $vgpr7
                                        ; implicit-def: $vgpr6
                                        ; implicit-def: $vgpr2
                                        ; implicit-def: $vgpr20
	v_mov_b32_e32 v21, s8
	s_and_saveexec_b32 s0, s10
	s_cbranch_execnz .LBB2057_39
	s_branch .LBB2057_40
.LBB2057_19:                            ;   in Loop: Header=BB2057_16 Depth=2
	s_mov_b32 s10, 0
                                        ; implicit-def: $sgpr11
                                        ; implicit-def: $vgpr22
                                        ; implicit-def: $vgpr23
                                        ; implicit-def: $vgpr24
                                        ; implicit-def: $vgpr25
                                        ; implicit-def: $vgpr26
                                        ; implicit-def: $vgpr27
                                        ; implicit-def: $vgpr28
                                        ; implicit-def: $vgpr29
                                        ; implicit-def: $vgpr30
                                        ; implicit-def: $vgpr31
                                        ; implicit-def: $vgpr32
                                        ; implicit-def: $vgpr33
                                        ; implicit-def: $vgpr34
                                        ; implicit-def: $vgpr35
                                        ; implicit-def: $vgpr36
                                        ; implicit-def: $vgpr4_vgpr5
.LBB2057_20:                            ;   in Loop: Header=BB2057_16 Depth=2
	s_lshl_b64 s[0:1], s[34:35], 1
	s_mov_b32 s11, exec_lo
	s_add_u32 s0, s40, s0
	s_addc_u32 s1, s41, s1
	v_cmpx_gt_u32_e64 s8, v1
	s_cbranch_execz .LBB2057_72
; %bb.21:                               ;   in Loop: Header=BB2057_16 Depth=2
	global_load_u16 v19, v95, s[0:1]
	s_or_b32 exec_lo, exec_lo, s11
	s_delay_alu instid0(SALU_CYCLE_1)
	s_mov_b32 s11, exec_lo
	v_cmpx_gt_u32_e64 s8, v45
	s_cbranch_execnz .LBB2057_73
.LBB2057_22:                            ;   in Loop: Header=BB2057_16 Depth=2
	s_or_b32 exec_lo, exec_lo, s11
	s_delay_alu instid0(SALU_CYCLE_1)
	s_mov_b32 s11, exec_lo
	v_cmpx_gt_u32_e64 s8, v46
	s_cbranch_execz .LBB2057_74
.LBB2057_23:                            ;   in Loop: Header=BB2057_16 Depth=2
	global_load_u16 v17, v95, s[0:1] offset:1024
	s_or_b32 exec_lo, exec_lo, s11
	s_delay_alu instid0(SALU_CYCLE_1)
	s_mov_b32 s11, exec_lo
	v_cmpx_gt_u32_e64 s8, v47
	s_cbranch_execnz .LBB2057_75
.LBB2057_24:                            ;   in Loop: Header=BB2057_16 Depth=2
	s_or_b32 exec_lo, exec_lo, s11
	s_delay_alu instid0(SALU_CYCLE_1)
	s_mov_b32 s11, exec_lo
	v_cmpx_gt_u32_e64 s8, v51
	s_cbranch_execz .LBB2057_76
.LBB2057_25:                            ;   in Loop: Header=BB2057_16 Depth=2
	global_load_u16 v15, v95, s[0:1] offset:2048
	s_or_b32 exec_lo, exec_lo, s11
	s_delay_alu instid0(SALU_CYCLE_1)
	s_mov_b32 s11, exec_lo
	v_cmpx_gt_u32_e64 s8, v52
	s_cbranch_execnz .LBB2057_77
.LBB2057_26:                            ;   in Loop: Header=BB2057_16 Depth=2
	s_or_b32 exec_lo, exec_lo, s11
	s_delay_alu instid0(SALU_CYCLE_1)
	s_mov_b32 s11, exec_lo
	v_cmpx_gt_u32_e64 s8, v53
	s_cbranch_execz .LBB2057_78
.LBB2057_27:                            ;   in Loop: Header=BB2057_16 Depth=2
	global_load_u16 v13, v95, s[0:1] offset:3072
	s_or_b32 exec_lo, exec_lo, s11
	s_delay_alu instid0(SALU_CYCLE_1)
	s_mov_b32 s11, exec_lo
	v_cmpx_gt_u32_e64 s8, v54
	s_cbranch_execnz .LBB2057_79
.LBB2057_28:                            ;   in Loop: Header=BB2057_16 Depth=2
	s_or_b32 exec_lo, exec_lo, s11
	s_delay_alu instid0(SALU_CYCLE_1)
	s_mov_b32 s11, exec_lo
	v_cmpx_gt_u32_e64 s8, v55
	s_cbranch_execz .LBB2057_80
.LBB2057_29:                            ;   in Loop: Header=BB2057_16 Depth=2
	global_load_u16 v11, v96, s[0:1]
	s_or_b32 exec_lo, exec_lo, s11
	s_delay_alu instid0(SALU_CYCLE_1)
	s_mov_b32 s11, exec_lo
	v_cmpx_gt_u32_e64 s8, v56
	s_cbranch_execnz .LBB2057_81
.LBB2057_30:                            ;   in Loop: Header=BB2057_16 Depth=2
	s_or_b32 exec_lo, exec_lo, s11
	s_delay_alu instid0(SALU_CYCLE_1)
	s_mov_b32 s11, exec_lo
	v_cmpx_gt_u32_e64 s8, v57
	s_cbranch_execz .LBB2057_82
.LBB2057_31:                            ;   in Loop: Header=BB2057_16 Depth=2
	global_load_u16 v9, v98, s[0:1]
	s_or_b32 exec_lo, exec_lo, s11
	s_delay_alu instid0(SALU_CYCLE_1)
	s_mov_b32 s11, exec_lo
	v_cmpx_gt_u32_e64 s8, v58
	s_cbranch_execnz .LBB2057_83
.LBB2057_32:                            ;   in Loop: Header=BB2057_16 Depth=2
	s_or_b32 exec_lo, exec_lo, s11
	s_delay_alu instid0(SALU_CYCLE_1)
	s_mov_b32 s11, exec_lo
	v_cmpx_gt_u32_e64 s8, v59
	s_cbranch_execz .LBB2057_84
.LBB2057_33:                            ;   in Loop: Header=BB2057_16 Depth=2
	global_load_u16 v7, v100, s[0:1]
	s_or_b32 exec_lo, exec_lo, s11
	s_delay_alu instid0(SALU_CYCLE_1)
	s_mov_b32 s11, exec_lo
	v_cmpx_gt_u32_e64 s8, v60
	s_cbranch_execnz .LBB2057_85
.LBB2057_34:                            ;   in Loop: Header=BB2057_16 Depth=2
	s_or_b32 exec_lo, exec_lo, s11
	s_delay_alu instid0(SALU_CYCLE_1)
	s_mov_b32 s11, exec_lo
	v_cmpx_gt_u32_e64 s8, v61
	s_cbranch_execz .LBB2057_36
.LBB2057_35:                            ;   in Loop: Header=BB2057_16 Depth=2
	global_load_u16 v2, v102, s[0:1]
.LBB2057_36:                            ;   in Loop: Header=BB2057_16 Depth=2
	s_or_b32 exec_lo, exec_lo, s11
	s_delay_alu instid0(SALU_CYCLE_1)
	s_mov_b32 s12, exec_lo
                                        ; implicit-def: $sgpr11
                                        ; implicit-def: $vgpr4_vgpr5
	v_cmpx_gt_u32_e64 s8, v63
; %bb.37:                               ;   in Loop: Header=BB2057_16 Depth=2
	v_add_co_u32 v4, s0, s0, v103
	s_delay_alu instid0(VALU_DEP_1)
	v_add_co_ci_u32_e64 v5, null, s1, 0, s0
	s_sub_i32 s11, s53, s34
	s_or_b32 s10, s10, exec_lo
                                        ; implicit-def: $vgpr20
; %bb.38:                               ;   in Loop: Header=BB2057_16 Depth=2
	s_or_b32 exec_lo, exec_lo, s12
	s_waitcnt vmcnt(0)
	v_dual_mov_b32 v22, v19 :: v_dual_mov_b32 v23, v18
	v_dual_mov_b32 v24, v17 :: v_dual_mov_b32 v25, v16
	;; [unrolled: 1-line block ×8, first 2 shown]
	s_and_saveexec_b32 s0, s10
	s_cbranch_execz .LBB2057_40
.LBB2057_39:                            ;   in Loop: Header=BB2057_16 Depth=2
	global_load_u16 v20, v[4:5], off
	s_waitcnt vmcnt(1)
	v_dual_mov_b32 v21, s11 :: v_dual_mov_b32 v2, v36
	v_dual_mov_b32 v6, v35 :: v_dual_mov_b32 v7, v34
	v_dual_mov_b32 v8, v33 :: v_dual_mov_b32 v9, v32
	v_dual_mov_b32 v10, v31 :: v_dual_mov_b32 v11, v30
	v_dual_mov_b32 v12, v29 :: v_dual_mov_b32 v13, v28
	v_dual_mov_b32 v14, v27 :: v_dual_mov_b32 v15, v26
	v_dual_mov_b32 v16, v25 :: v_dual_mov_b32 v17, v24
	v_dual_mov_b32 v18, v23 :: v_dual_mov_b32 v19, v22
.LBB2057_40:                            ;   in Loop: Header=BB2057_16 Depth=2
	s_or_b32 exec_lo, exec_lo, s0
	s_delay_alu instid0(SALU_CYCLE_1)
	s_mov_b32 s0, exec_lo
	v_cmpx_lt_u32_e64 v1, v21
	s_cbranch_execz .LBB2057_56
; %bb.41:                               ;   in Loop: Header=BB2057_16 Depth=2
	v_cmp_lt_i16_e32 vcc_lo, -1, v19
	v_lshlrev_b32_e32 v5, 2, v48
	v_cndmask_b32_e64 v4, -1, 0xffff8000, vcc_lo
	s_delay_alu instid0(VALU_DEP_1) | instskip(NEXT) | instid1(VALU_DEP_1)
	v_xor_b32_e32 v4, v4, v19
	v_cmp_ne_u16_e32 vcc_lo, 0x7fff, v4
	v_cndmask_b32_e32 v4, 0xffff8000, v4, vcc_lo
	s_delay_alu instid0(VALU_DEP_1) | instskip(NEXT) | instid1(VALU_DEP_1)
	v_and_b32_e32 v4, 0xffff, v4
	v_lshrrev_b32_e32 v4, s48, v4
	s_delay_alu instid0(VALU_DEP_1) | instskip(NEXT) | instid1(VALU_DEP_1)
	v_and_b32_e32 v4, s55, v4
	v_lshl_or_b32 v4, v4, 4, v5
	ds_add_u32 v4, v94
	s_or_b32 exec_lo, exec_lo, s0
	s_delay_alu instid0(SALU_CYCLE_1)
	s_mov_b32 s0, exec_lo
	v_cmpx_lt_u32_e64 v45, v21
	s_cbranch_execnz .LBB2057_57
.LBB2057_42:                            ;   in Loop: Header=BB2057_16 Depth=2
	s_or_b32 exec_lo, exec_lo, s0
	s_delay_alu instid0(SALU_CYCLE_1)
	s_mov_b32 s0, exec_lo
	v_cmpx_lt_u32_e64 v46, v21
	s_cbranch_execz .LBB2057_58
.LBB2057_43:                            ;   in Loop: Header=BB2057_16 Depth=2
	v_cmp_lt_i16_e32 vcc_lo, -1, v17
	v_lshlrev_b32_e32 v5, 2, v48
	v_cndmask_b32_e64 v4, -1, 0xffff8000, vcc_lo
	s_delay_alu instid0(VALU_DEP_1) | instskip(NEXT) | instid1(VALU_DEP_1)
	v_xor_b32_e32 v4, v4, v17
	v_cmp_ne_u16_e32 vcc_lo, 0x7fff, v4
	v_cndmask_b32_e32 v4, 0xffff8000, v4, vcc_lo
	s_delay_alu instid0(VALU_DEP_1) | instskip(NEXT) | instid1(VALU_DEP_1)
	v_and_b32_e32 v4, 0xffff, v4
	v_lshrrev_b32_e32 v4, s48, v4
	s_delay_alu instid0(VALU_DEP_1) | instskip(NEXT) | instid1(VALU_DEP_1)
	v_and_b32_e32 v4, s55, v4
	v_lshl_or_b32 v4, v4, 4, v5
	ds_add_u32 v4, v94
	s_or_b32 exec_lo, exec_lo, s0
	s_delay_alu instid0(SALU_CYCLE_1)
	s_mov_b32 s0, exec_lo
	v_cmpx_lt_u32_e64 v47, v21
	s_cbranch_execnz .LBB2057_59
.LBB2057_44:                            ;   in Loop: Header=BB2057_16 Depth=2
	s_or_b32 exec_lo, exec_lo, s0
	s_delay_alu instid0(SALU_CYCLE_1)
	s_mov_b32 s0, exec_lo
	v_cmpx_lt_u32_e64 v51, v21
	s_cbranch_execz .LBB2057_60
.LBB2057_45:                            ;   in Loop: Header=BB2057_16 Depth=2
	v_cmp_lt_i16_e32 vcc_lo, -1, v15
	v_lshlrev_b32_e32 v5, 2, v48
	v_cndmask_b32_e64 v4, -1, 0xffff8000, vcc_lo
	s_delay_alu instid0(VALU_DEP_1) | instskip(NEXT) | instid1(VALU_DEP_1)
	v_xor_b32_e32 v4, v4, v15
	v_cmp_ne_u16_e32 vcc_lo, 0x7fff, v4
	v_cndmask_b32_e32 v4, 0xffff8000, v4, vcc_lo
	s_delay_alu instid0(VALU_DEP_1) | instskip(NEXT) | instid1(VALU_DEP_1)
	v_and_b32_e32 v4, 0xffff, v4
	v_lshrrev_b32_e32 v4, s48, v4
	s_delay_alu instid0(VALU_DEP_1) | instskip(NEXT) | instid1(VALU_DEP_1)
	v_and_b32_e32 v4, s55, v4
	v_lshl_or_b32 v4, v4, 4, v5
	ds_add_u32 v4, v94
	s_or_b32 exec_lo, exec_lo, s0
	s_delay_alu instid0(SALU_CYCLE_1)
	s_mov_b32 s0, exec_lo
	v_cmpx_lt_u32_e64 v52, v21
	s_cbranch_execnz .LBB2057_61
.LBB2057_46:                            ;   in Loop: Header=BB2057_16 Depth=2
	s_or_b32 exec_lo, exec_lo, s0
	s_delay_alu instid0(SALU_CYCLE_1)
	s_mov_b32 s0, exec_lo
	v_cmpx_lt_u32_e64 v53, v21
	s_cbranch_execz .LBB2057_62
.LBB2057_47:                            ;   in Loop: Header=BB2057_16 Depth=2
	v_cmp_lt_i16_e32 vcc_lo, -1, v13
	v_lshlrev_b32_e32 v5, 2, v48
	v_cndmask_b32_e64 v4, -1, 0xffff8000, vcc_lo
	s_delay_alu instid0(VALU_DEP_1) | instskip(NEXT) | instid1(VALU_DEP_1)
	v_xor_b32_e32 v4, v4, v13
	v_cmp_ne_u16_e32 vcc_lo, 0x7fff, v4
	v_cndmask_b32_e32 v4, 0xffff8000, v4, vcc_lo
	s_delay_alu instid0(VALU_DEP_1) | instskip(NEXT) | instid1(VALU_DEP_1)
	v_and_b32_e32 v4, 0xffff, v4
	v_lshrrev_b32_e32 v4, s48, v4
	s_delay_alu instid0(VALU_DEP_1) | instskip(NEXT) | instid1(VALU_DEP_1)
	v_and_b32_e32 v4, s55, v4
	v_lshl_or_b32 v4, v4, 4, v5
	ds_add_u32 v4, v94
	s_or_b32 exec_lo, exec_lo, s0
	s_delay_alu instid0(SALU_CYCLE_1)
	s_mov_b32 s0, exec_lo
	v_cmpx_lt_u32_e64 v54, v21
	s_cbranch_execnz .LBB2057_63
.LBB2057_48:                            ;   in Loop: Header=BB2057_16 Depth=2
	s_or_b32 exec_lo, exec_lo, s0
	s_delay_alu instid0(SALU_CYCLE_1)
	s_mov_b32 s0, exec_lo
	v_cmpx_lt_u32_e64 v55, v21
	s_cbranch_execz .LBB2057_64
.LBB2057_49:                            ;   in Loop: Header=BB2057_16 Depth=2
	v_cmp_lt_i16_e32 vcc_lo, -1, v11
	v_lshlrev_b32_e32 v5, 2, v48
	v_cndmask_b32_e64 v4, -1, 0xffff8000, vcc_lo
	s_delay_alu instid0(VALU_DEP_1) | instskip(NEXT) | instid1(VALU_DEP_1)
	v_xor_b32_e32 v4, v4, v11
	v_cmp_ne_u16_e32 vcc_lo, 0x7fff, v4
	v_cndmask_b32_e32 v4, 0xffff8000, v4, vcc_lo
	s_delay_alu instid0(VALU_DEP_1) | instskip(NEXT) | instid1(VALU_DEP_1)
	v_and_b32_e32 v4, 0xffff, v4
	v_lshrrev_b32_e32 v4, s48, v4
	s_delay_alu instid0(VALU_DEP_1) | instskip(NEXT) | instid1(VALU_DEP_1)
	v_and_b32_e32 v4, s55, v4
	v_lshl_or_b32 v4, v4, 4, v5
	ds_add_u32 v4, v94
	s_or_b32 exec_lo, exec_lo, s0
	s_delay_alu instid0(SALU_CYCLE_1)
	s_mov_b32 s0, exec_lo
	v_cmpx_lt_u32_e64 v56, v21
	s_cbranch_execnz .LBB2057_65
.LBB2057_50:                            ;   in Loop: Header=BB2057_16 Depth=2
	s_or_b32 exec_lo, exec_lo, s0
	s_delay_alu instid0(SALU_CYCLE_1)
	s_mov_b32 s0, exec_lo
	v_cmpx_lt_u32_e64 v57, v21
	s_cbranch_execz .LBB2057_66
.LBB2057_51:                            ;   in Loop: Header=BB2057_16 Depth=2
	v_cmp_lt_i16_e32 vcc_lo, -1, v9
	v_lshlrev_b32_e32 v5, 2, v48
	v_cndmask_b32_e64 v4, -1, 0xffff8000, vcc_lo
	s_delay_alu instid0(VALU_DEP_1) | instskip(NEXT) | instid1(VALU_DEP_1)
	v_xor_b32_e32 v4, v4, v9
	v_cmp_ne_u16_e32 vcc_lo, 0x7fff, v4
	v_cndmask_b32_e32 v4, 0xffff8000, v4, vcc_lo
	s_delay_alu instid0(VALU_DEP_1) | instskip(NEXT) | instid1(VALU_DEP_1)
	v_and_b32_e32 v4, 0xffff, v4
	v_lshrrev_b32_e32 v4, s48, v4
	s_delay_alu instid0(VALU_DEP_1) | instskip(NEXT) | instid1(VALU_DEP_1)
	v_and_b32_e32 v4, s55, v4
	v_lshl_or_b32 v4, v4, 4, v5
	ds_add_u32 v4, v94
	s_or_b32 exec_lo, exec_lo, s0
	s_delay_alu instid0(SALU_CYCLE_1)
	s_mov_b32 s0, exec_lo
	v_cmpx_lt_u32_e64 v58, v21
	s_cbranch_execnz .LBB2057_67
.LBB2057_52:                            ;   in Loop: Header=BB2057_16 Depth=2
	s_or_b32 exec_lo, exec_lo, s0
	s_delay_alu instid0(SALU_CYCLE_1)
	s_mov_b32 s0, exec_lo
	v_cmpx_lt_u32_e64 v59, v21
	s_cbranch_execz .LBB2057_68
.LBB2057_53:                            ;   in Loop: Header=BB2057_16 Depth=2
	v_cmp_lt_i16_e32 vcc_lo, -1, v7
	v_lshlrev_b32_e32 v5, 2, v48
	v_cndmask_b32_e64 v4, -1, 0xffff8000, vcc_lo
	s_delay_alu instid0(VALU_DEP_1) | instskip(NEXT) | instid1(VALU_DEP_1)
	v_xor_b32_e32 v4, v4, v7
	v_cmp_ne_u16_e32 vcc_lo, 0x7fff, v4
	v_cndmask_b32_e32 v4, 0xffff8000, v4, vcc_lo
	s_delay_alu instid0(VALU_DEP_1) | instskip(NEXT) | instid1(VALU_DEP_1)
	v_and_b32_e32 v4, 0xffff, v4
	v_lshrrev_b32_e32 v4, s48, v4
	s_delay_alu instid0(VALU_DEP_1) | instskip(NEXT) | instid1(VALU_DEP_1)
	v_and_b32_e32 v4, s55, v4
	v_lshl_or_b32 v4, v4, 4, v5
	ds_add_u32 v4, v94
	s_or_b32 exec_lo, exec_lo, s0
	s_delay_alu instid0(SALU_CYCLE_1)
	s_mov_b32 s0, exec_lo
	v_cmpx_lt_u32_e64 v60, v21
	s_cbranch_execnz .LBB2057_69
.LBB2057_54:                            ;   in Loop: Header=BB2057_16 Depth=2
	s_or_b32 exec_lo, exec_lo, s0
	s_delay_alu instid0(SALU_CYCLE_1)
	s_mov_b32 s0, exec_lo
	v_cmpx_lt_u32_e64 v61, v21
	s_cbranch_execz .LBB2057_70
.LBB2057_55:                            ;   in Loop: Header=BB2057_16 Depth=2
	v_cmp_lt_i16_e32 vcc_lo, -1, v2
	v_lshlrev_b32_e32 v5, 2, v48
	v_cndmask_b32_e64 v4, -1, 0xffff8000, vcc_lo
	s_delay_alu instid0(VALU_DEP_1) | instskip(NEXT) | instid1(VALU_DEP_1)
	v_xor_b32_e32 v4, v4, v2
	v_cmp_ne_u16_e32 vcc_lo, 0x7fff, v4
	v_cndmask_b32_e32 v4, 0xffff8000, v4, vcc_lo
	s_delay_alu instid0(VALU_DEP_1) | instskip(NEXT) | instid1(VALU_DEP_1)
	v_and_b32_e32 v4, 0xffff, v4
	v_lshrrev_b32_e32 v4, s48, v4
	s_delay_alu instid0(VALU_DEP_1) | instskip(NEXT) | instid1(VALU_DEP_1)
	v_and_b32_e32 v4, s55, v4
	v_lshl_or_b32 v4, v4, 4, v5
	ds_add_u32 v4, v94
	s_or_b32 exec_lo, exec_lo, s0
	s_delay_alu instid0(SALU_CYCLE_1)
	s_mov_b32 s0, exec_lo
	v_cmpx_lt_u32_e64 v63, v21
	s_cbranch_execz .LBB2057_15
	s_branch .LBB2057_71
.LBB2057_56:                            ;   in Loop: Header=BB2057_16 Depth=2
	s_or_b32 exec_lo, exec_lo, s0
	s_delay_alu instid0(SALU_CYCLE_1)
	s_mov_b32 s0, exec_lo
	v_cmpx_lt_u32_e64 v45, v21
	s_cbranch_execz .LBB2057_42
.LBB2057_57:                            ;   in Loop: Header=BB2057_16 Depth=2
	v_cmp_lt_i16_e32 vcc_lo, -1, v18
	v_lshlrev_b32_e32 v5, 2, v48
	v_cndmask_b32_e64 v4, -1, 0xffff8000, vcc_lo
	s_delay_alu instid0(VALU_DEP_1) | instskip(NEXT) | instid1(VALU_DEP_1)
	v_xor_b32_e32 v4, v4, v18
	v_cmp_ne_u16_e32 vcc_lo, 0x7fff, v4
	v_cndmask_b32_e32 v4, 0xffff8000, v4, vcc_lo
	s_delay_alu instid0(VALU_DEP_1) | instskip(NEXT) | instid1(VALU_DEP_1)
	v_and_b32_e32 v4, 0xffff, v4
	v_lshrrev_b32_e32 v4, s48, v4
	s_delay_alu instid0(VALU_DEP_1) | instskip(NEXT) | instid1(VALU_DEP_1)
	v_and_b32_e32 v4, s55, v4
	v_lshl_or_b32 v4, v4, 4, v5
	ds_add_u32 v4, v94
	s_or_b32 exec_lo, exec_lo, s0
	s_delay_alu instid0(SALU_CYCLE_1)
	s_mov_b32 s0, exec_lo
	v_cmpx_lt_u32_e64 v46, v21
	s_cbranch_execnz .LBB2057_43
.LBB2057_58:                            ;   in Loop: Header=BB2057_16 Depth=2
	s_or_b32 exec_lo, exec_lo, s0
	s_delay_alu instid0(SALU_CYCLE_1)
	s_mov_b32 s0, exec_lo
	v_cmpx_lt_u32_e64 v47, v21
	s_cbranch_execz .LBB2057_44
.LBB2057_59:                            ;   in Loop: Header=BB2057_16 Depth=2
	v_cmp_lt_i16_e32 vcc_lo, -1, v16
	v_lshlrev_b32_e32 v5, 2, v48
	v_cndmask_b32_e64 v4, -1, 0xffff8000, vcc_lo
	s_delay_alu instid0(VALU_DEP_1) | instskip(NEXT) | instid1(VALU_DEP_1)
	v_xor_b32_e32 v4, v4, v16
	v_cmp_ne_u16_e32 vcc_lo, 0x7fff, v4
	v_cndmask_b32_e32 v4, 0xffff8000, v4, vcc_lo
	s_delay_alu instid0(VALU_DEP_1) | instskip(NEXT) | instid1(VALU_DEP_1)
	v_and_b32_e32 v4, 0xffff, v4
	v_lshrrev_b32_e32 v4, s48, v4
	s_delay_alu instid0(VALU_DEP_1) | instskip(NEXT) | instid1(VALU_DEP_1)
	v_and_b32_e32 v4, s55, v4
	v_lshl_or_b32 v4, v4, 4, v5
	ds_add_u32 v4, v94
	s_or_b32 exec_lo, exec_lo, s0
	s_delay_alu instid0(SALU_CYCLE_1)
	s_mov_b32 s0, exec_lo
	v_cmpx_lt_u32_e64 v51, v21
	s_cbranch_execnz .LBB2057_45
.LBB2057_60:                            ;   in Loop: Header=BB2057_16 Depth=2
	s_or_b32 exec_lo, exec_lo, s0
	s_delay_alu instid0(SALU_CYCLE_1)
	s_mov_b32 s0, exec_lo
	v_cmpx_lt_u32_e64 v52, v21
	s_cbranch_execz .LBB2057_46
.LBB2057_61:                            ;   in Loop: Header=BB2057_16 Depth=2
	v_cmp_lt_i16_e32 vcc_lo, -1, v14
	v_lshlrev_b32_e32 v5, 2, v48
	v_cndmask_b32_e64 v4, -1, 0xffff8000, vcc_lo
	s_delay_alu instid0(VALU_DEP_1) | instskip(NEXT) | instid1(VALU_DEP_1)
	v_xor_b32_e32 v4, v4, v14
	v_cmp_ne_u16_e32 vcc_lo, 0x7fff, v4
	v_cndmask_b32_e32 v4, 0xffff8000, v4, vcc_lo
	s_delay_alu instid0(VALU_DEP_1) | instskip(NEXT) | instid1(VALU_DEP_1)
	v_and_b32_e32 v4, 0xffff, v4
	v_lshrrev_b32_e32 v4, s48, v4
	s_delay_alu instid0(VALU_DEP_1) | instskip(NEXT) | instid1(VALU_DEP_1)
	v_and_b32_e32 v4, s55, v4
	v_lshl_or_b32 v4, v4, 4, v5
	ds_add_u32 v4, v94
	s_or_b32 exec_lo, exec_lo, s0
	s_delay_alu instid0(SALU_CYCLE_1)
	s_mov_b32 s0, exec_lo
	v_cmpx_lt_u32_e64 v53, v21
	s_cbranch_execnz .LBB2057_47
.LBB2057_62:                            ;   in Loop: Header=BB2057_16 Depth=2
	s_or_b32 exec_lo, exec_lo, s0
	s_delay_alu instid0(SALU_CYCLE_1)
	s_mov_b32 s0, exec_lo
	v_cmpx_lt_u32_e64 v54, v21
	s_cbranch_execz .LBB2057_48
.LBB2057_63:                            ;   in Loop: Header=BB2057_16 Depth=2
	v_cmp_lt_i16_e32 vcc_lo, -1, v12
	v_lshlrev_b32_e32 v5, 2, v48
	v_cndmask_b32_e64 v4, -1, 0xffff8000, vcc_lo
	s_delay_alu instid0(VALU_DEP_1) | instskip(NEXT) | instid1(VALU_DEP_1)
	v_xor_b32_e32 v4, v4, v12
	v_cmp_ne_u16_e32 vcc_lo, 0x7fff, v4
	v_cndmask_b32_e32 v4, 0xffff8000, v4, vcc_lo
	s_delay_alu instid0(VALU_DEP_1) | instskip(NEXT) | instid1(VALU_DEP_1)
	v_and_b32_e32 v4, 0xffff, v4
	v_lshrrev_b32_e32 v4, s48, v4
	s_delay_alu instid0(VALU_DEP_1) | instskip(NEXT) | instid1(VALU_DEP_1)
	v_and_b32_e32 v4, s55, v4
	v_lshl_or_b32 v4, v4, 4, v5
	ds_add_u32 v4, v94
	s_or_b32 exec_lo, exec_lo, s0
	s_delay_alu instid0(SALU_CYCLE_1)
	s_mov_b32 s0, exec_lo
	v_cmpx_lt_u32_e64 v55, v21
	s_cbranch_execnz .LBB2057_49
.LBB2057_64:                            ;   in Loop: Header=BB2057_16 Depth=2
	s_or_b32 exec_lo, exec_lo, s0
	s_delay_alu instid0(SALU_CYCLE_1)
	s_mov_b32 s0, exec_lo
	v_cmpx_lt_u32_e64 v56, v21
	s_cbranch_execz .LBB2057_50
.LBB2057_65:                            ;   in Loop: Header=BB2057_16 Depth=2
	v_cmp_lt_i16_e32 vcc_lo, -1, v10
	v_lshlrev_b32_e32 v5, 2, v48
	v_cndmask_b32_e64 v4, -1, 0xffff8000, vcc_lo
	s_delay_alu instid0(VALU_DEP_1) | instskip(NEXT) | instid1(VALU_DEP_1)
	v_xor_b32_e32 v4, v4, v10
	v_cmp_ne_u16_e32 vcc_lo, 0x7fff, v4
	v_cndmask_b32_e32 v4, 0xffff8000, v4, vcc_lo
	s_delay_alu instid0(VALU_DEP_1) | instskip(NEXT) | instid1(VALU_DEP_1)
	v_and_b32_e32 v4, 0xffff, v4
	v_lshrrev_b32_e32 v4, s48, v4
	s_delay_alu instid0(VALU_DEP_1) | instskip(NEXT) | instid1(VALU_DEP_1)
	v_and_b32_e32 v4, s55, v4
	v_lshl_or_b32 v4, v4, 4, v5
	ds_add_u32 v4, v94
	s_or_b32 exec_lo, exec_lo, s0
	s_delay_alu instid0(SALU_CYCLE_1)
	s_mov_b32 s0, exec_lo
	v_cmpx_lt_u32_e64 v57, v21
	s_cbranch_execnz .LBB2057_51
.LBB2057_66:                            ;   in Loop: Header=BB2057_16 Depth=2
	s_or_b32 exec_lo, exec_lo, s0
	s_delay_alu instid0(SALU_CYCLE_1)
	s_mov_b32 s0, exec_lo
	v_cmpx_lt_u32_e64 v58, v21
	s_cbranch_execz .LBB2057_52
.LBB2057_67:                            ;   in Loop: Header=BB2057_16 Depth=2
	v_cmp_lt_i16_e32 vcc_lo, -1, v8
	v_lshlrev_b32_e32 v5, 2, v48
	v_cndmask_b32_e64 v4, -1, 0xffff8000, vcc_lo
	s_delay_alu instid0(VALU_DEP_1) | instskip(NEXT) | instid1(VALU_DEP_1)
	v_xor_b32_e32 v4, v4, v8
	v_cmp_ne_u16_e32 vcc_lo, 0x7fff, v4
	v_cndmask_b32_e32 v4, 0xffff8000, v4, vcc_lo
	s_delay_alu instid0(VALU_DEP_1) | instskip(NEXT) | instid1(VALU_DEP_1)
	v_and_b32_e32 v4, 0xffff, v4
	v_lshrrev_b32_e32 v4, s48, v4
	s_delay_alu instid0(VALU_DEP_1) | instskip(NEXT) | instid1(VALU_DEP_1)
	v_and_b32_e32 v4, s55, v4
	v_lshl_or_b32 v4, v4, 4, v5
	ds_add_u32 v4, v94
	s_or_b32 exec_lo, exec_lo, s0
	s_delay_alu instid0(SALU_CYCLE_1)
	s_mov_b32 s0, exec_lo
	v_cmpx_lt_u32_e64 v59, v21
	s_cbranch_execnz .LBB2057_53
.LBB2057_68:                            ;   in Loop: Header=BB2057_16 Depth=2
	s_or_b32 exec_lo, exec_lo, s0
	s_delay_alu instid0(SALU_CYCLE_1)
	s_mov_b32 s0, exec_lo
	v_cmpx_lt_u32_e64 v60, v21
	s_cbranch_execz .LBB2057_54
.LBB2057_69:                            ;   in Loop: Header=BB2057_16 Depth=2
	v_cmp_lt_i16_e32 vcc_lo, -1, v6
	v_lshlrev_b32_e32 v5, 2, v48
	v_cndmask_b32_e64 v4, -1, 0xffff8000, vcc_lo
	s_delay_alu instid0(VALU_DEP_1) | instskip(NEXT) | instid1(VALU_DEP_1)
	v_xor_b32_e32 v4, v4, v6
	v_cmp_ne_u16_e32 vcc_lo, 0x7fff, v4
	v_cndmask_b32_e32 v4, 0xffff8000, v4, vcc_lo
	s_delay_alu instid0(VALU_DEP_1) | instskip(NEXT) | instid1(VALU_DEP_1)
	v_and_b32_e32 v4, 0xffff, v4
	v_lshrrev_b32_e32 v4, s48, v4
	s_delay_alu instid0(VALU_DEP_1) | instskip(NEXT) | instid1(VALU_DEP_1)
	v_and_b32_e32 v4, s55, v4
	v_lshl_or_b32 v4, v4, 4, v5
	ds_add_u32 v4, v94
	s_or_b32 exec_lo, exec_lo, s0
	s_delay_alu instid0(SALU_CYCLE_1)
	s_mov_b32 s0, exec_lo
	v_cmpx_lt_u32_e64 v61, v21
	s_cbranch_execnz .LBB2057_55
.LBB2057_70:                            ;   in Loop: Header=BB2057_16 Depth=2
	s_or_b32 exec_lo, exec_lo, s0
	s_delay_alu instid0(SALU_CYCLE_1)
	s_mov_b32 s0, exec_lo
	v_cmpx_lt_u32_e64 v63, v21
	s_cbranch_execz .LBB2057_15
.LBB2057_71:                            ;   in Loop: Header=BB2057_16 Depth=2
	s_waitcnt vmcnt(0)
	v_cmp_lt_i16_e32 vcc_lo, -1, v20
	v_lshlrev_b32_e32 v5, 2, v48
	v_cndmask_b32_e64 v4, -1, 0xffff8000, vcc_lo
	s_delay_alu instid0(VALU_DEP_1) | instskip(NEXT) | instid1(VALU_DEP_1)
	v_xor_b32_e32 v4, v4, v20
	v_cmp_ne_u16_e32 vcc_lo, 0x7fff, v4
	v_cndmask_b32_e32 v4, 0xffff8000, v4, vcc_lo
	s_delay_alu instid0(VALU_DEP_1) | instskip(NEXT) | instid1(VALU_DEP_1)
	v_and_b32_e32 v4, 0xffff, v4
	v_lshrrev_b32_e32 v4, s48, v4
	s_delay_alu instid0(VALU_DEP_1) | instskip(NEXT) | instid1(VALU_DEP_1)
	v_and_b32_e32 v4, s55, v4
	v_lshl_or_b32 v4, v4, 4, v5
	ds_add_u32 v4, v94
	s_branch .LBB2057_15
.LBB2057_72:                            ;   in Loop: Header=BB2057_16 Depth=2
	s_or_b32 exec_lo, exec_lo, s11
	s_delay_alu instid0(SALU_CYCLE_1)
	s_mov_b32 s11, exec_lo
	v_cmpx_gt_u32_e64 s8, v45
	s_cbranch_execz .LBB2057_22
.LBB2057_73:                            ;   in Loop: Header=BB2057_16 Depth=2
	global_load_u16 v18, v95, s[0:1] offset:512
	s_or_b32 exec_lo, exec_lo, s11
	s_delay_alu instid0(SALU_CYCLE_1)
	s_mov_b32 s11, exec_lo
	v_cmpx_gt_u32_e64 s8, v46
	s_cbranch_execnz .LBB2057_23
.LBB2057_74:                            ;   in Loop: Header=BB2057_16 Depth=2
	s_or_b32 exec_lo, exec_lo, s11
	s_delay_alu instid0(SALU_CYCLE_1)
	s_mov_b32 s11, exec_lo
	v_cmpx_gt_u32_e64 s8, v47
	s_cbranch_execz .LBB2057_24
.LBB2057_75:                            ;   in Loop: Header=BB2057_16 Depth=2
	global_load_u16 v16, v95, s[0:1] offset:1536
	s_or_b32 exec_lo, exec_lo, s11
	s_delay_alu instid0(SALU_CYCLE_1)
	s_mov_b32 s11, exec_lo
	v_cmpx_gt_u32_e64 s8, v51
	s_cbranch_execnz .LBB2057_25
.LBB2057_76:                            ;   in Loop: Header=BB2057_16 Depth=2
	s_or_b32 exec_lo, exec_lo, s11
	s_delay_alu instid0(SALU_CYCLE_1)
	s_mov_b32 s11, exec_lo
	v_cmpx_gt_u32_e64 s8, v52
	s_cbranch_execz .LBB2057_26
.LBB2057_77:                            ;   in Loop: Header=BB2057_16 Depth=2
	global_load_u16 v14, v95, s[0:1] offset:2560
	s_or_b32 exec_lo, exec_lo, s11
	s_delay_alu instid0(SALU_CYCLE_1)
	s_mov_b32 s11, exec_lo
	v_cmpx_gt_u32_e64 s8, v53
	s_cbranch_execnz .LBB2057_27
.LBB2057_78:                            ;   in Loop: Header=BB2057_16 Depth=2
	s_or_b32 exec_lo, exec_lo, s11
	s_delay_alu instid0(SALU_CYCLE_1)
	s_mov_b32 s11, exec_lo
	v_cmpx_gt_u32_e64 s8, v54
	s_cbranch_execz .LBB2057_28
.LBB2057_79:                            ;   in Loop: Header=BB2057_16 Depth=2
	global_load_u16 v12, v95, s[0:1] offset:3584
	s_or_b32 exec_lo, exec_lo, s11
	s_delay_alu instid0(SALU_CYCLE_1)
	s_mov_b32 s11, exec_lo
	v_cmpx_gt_u32_e64 s8, v55
	s_cbranch_execnz .LBB2057_29
.LBB2057_80:                            ;   in Loop: Header=BB2057_16 Depth=2
	s_or_b32 exec_lo, exec_lo, s11
	s_delay_alu instid0(SALU_CYCLE_1)
	s_mov_b32 s11, exec_lo
	v_cmpx_gt_u32_e64 s8, v56
	s_cbranch_execz .LBB2057_30
.LBB2057_81:                            ;   in Loop: Header=BB2057_16 Depth=2
	global_load_u16 v10, v97, s[0:1]
	s_or_b32 exec_lo, exec_lo, s11
	s_delay_alu instid0(SALU_CYCLE_1)
	s_mov_b32 s11, exec_lo
	v_cmpx_gt_u32_e64 s8, v57
	s_cbranch_execnz .LBB2057_31
.LBB2057_82:                            ;   in Loop: Header=BB2057_16 Depth=2
	s_or_b32 exec_lo, exec_lo, s11
	s_delay_alu instid0(SALU_CYCLE_1)
	s_mov_b32 s11, exec_lo
	v_cmpx_gt_u32_e64 s8, v58
	s_cbranch_execz .LBB2057_32
.LBB2057_83:                            ;   in Loop: Header=BB2057_16 Depth=2
	global_load_u16 v8, v99, s[0:1]
	s_or_b32 exec_lo, exec_lo, s11
	s_delay_alu instid0(SALU_CYCLE_1)
	s_mov_b32 s11, exec_lo
	v_cmpx_gt_u32_e64 s8, v59
	s_cbranch_execnz .LBB2057_33
.LBB2057_84:                            ;   in Loop: Header=BB2057_16 Depth=2
	s_or_b32 exec_lo, exec_lo, s11
	s_delay_alu instid0(SALU_CYCLE_1)
	s_mov_b32 s11, exec_lo
	v_cmpx_gt_u32_e64 s8, v60
	s_cbranch_execz .LBB2057_34
.LBB2057_85:                            ;   in Loop: Header=BB2057_16 Depth=2
	global_load_u16 v6, v101, s[0:1]
	s_or_b32 exec_lo, exec_lo, s11
	s_delay_alu instid0(SALU_CYCLE_1)
	s_mov_b32 s11, exec_lo
	v_cmpx_gt_u32_e64 s8, v61
	s_cbranch_execz .LBB2057_36
	s_branch .LBB2057_35
.LBB2057_86:                            ;   in Loop: Header=BB2057_12 Depth=1
	v_mov_b32_e32 v2, 0
	s_waitcnt vmcnt(0) lgkmcnt(0)
	s_barrier
	buffer_gl0_inv
	s_and_saveexec_b32 s0, s2
	s_cbranch_execz .LBB2057_88
; %bb.87:                               ;   in Loop: Header=BB2057_12 Depth=1
	ds_load_2addr_b64 v[4:7], v64 offset1:1
	s_waitcnt lgkmcnt(0)
	v_add_nc_u32_e32 v2, v5, v4
	s_delay_alu instid0(VALU_DEP_1)
	v_add3_u32 v2, v2, v6, v7
.LBB2057_88:                            ;   in Loop: Header=BB2057_12 Depth=1
	s_or_b32 exec_lo, exec_lo, s0
	v_and_b32_e32 v4, 15, v104
	s_delay_alu instid0(VALU_DEP_2) | instskip(SKIP_1) | instid1(VALU_DEP_3)
	v_mov_b32_dpp v5, v2 row_shr:1 row_mask:0xf bank_mask:0xf
	v_and_b32_e32 v6, 16, v104
	v_cmp_eq_u32_e64 s0, 0, v4
	v_cmp_lt_u32_e64 s1, 1, v4
	v_cmp_lt_u32_e64 s8, 3, v4
	;; [unrolled: 1-line block ×3, first 2 shown]
	v_cmp_eq_u32_e64 s10, 0, v6
	v_cndmask_b32_e64 v5, v5, 0, s0
	s_delay_alu instid0(VALU_DEP_1) | instskip(NEXT) | instid1(VALU_DEP_1)
	v_add_nc_u32_e32 v2, v5, v2
	v_mov_b32_dpp v5, v2 row_shr:2 row_mask:0xf bank_mask:0xf
	s_delay_alu instid0(VALU_DEP_1) | instskip(NEXT) | instid1(VALU_DEP_1)
	v_cndmask_b32_e64 v5, 0, v5, s1
	v_add_nc_u32_e32 v2, v2, v5
	s_delay_alu instid0(VALU_DEP_1) | instskip(NEXT) | instid1(VALU_DEP_1)
	v_mov_b32_dpp v5, v2 row_shr:4 row_mask:0xf bank_mask:0xf
	v_cndmask_b32_e64 v5, 0, v5, s8
	s_delay_alu instid0(VALU_DEP_1) | instskip(NEXT) | instid1(VALU_DEP_1)
	v_add_nc_u32_e32 v2, v2, v5
	v_mov_b32_dpp v5, v2 row_shr:8 row_mask:0xf bank_mask:0xf
	s_delay_alu instid0(VALU_DEP_1) | instskip(SKIP_1) | instid1(VALU_DEP_2)
	v_cndmask_b32_e64 v4, 0, v5, s9
	v_bfe_i32 v5, v104, 4, 1
	v_add_nc_u32_e32 v2, v2, v4
	ds_swizzle_b32 v4, v2 offset:swizzle(BROADCAST,32,15)
	s_waitcnt lgkmcnt(0)
	v_and_b32_e32 v4, v5, v4
	s_delay_alu instid0(VALU_DEP_1)
	v_add_nc_u32_e32 v4, v2, v4
	s_and_saveexec_b32 s11, s3
	s_cbranch_execz .LBB2057_90
; %bb.89:                               ;   in Loop: Header=BB2057_12 Depth=1
	ds_store_b32 v65, v4
.LBB2057_90:                            ;   in Loop: Header=BB2057_12 Depth=1
	s_or_b32 exec_lo, exec_lo, s11
	v_and_b32_e32 v2, 7, v104
	s_waitcnt lgkmcnt(0)
	s_barrier
	buffer_gl0_inv
	s_and_saveexec_b32 s11, s4
	s_cbranch_execz .LBB2057_92
; %bb.91:                               ;   in Loop: Header=BB2057_12 Depth=1
	ds_load_b32 v5, v66
	v_cmp_ne_u32_e32 vcc_lo, 0, v2
	s_waitcnt lgkmcnt(0)
	v_mov_b32_dpp v6, v5 row_shr:1 row_mask:0xf bank_mask:0xf
	s_delay_alu instid0(VALU_DEP_1) | instskip(SKIP_1) | instid1(VALU_DEP_2)
	v_cndmask_b32_e32 v6, 0, v6, vcc_lo
	v_cmp_lt_u32_e32 vcc_lo, 1, v2
	v_add_nc_u32_e32 v5, v6, v5
	s_delay_alu instid0(VALU_DEP_1) | instskip(NEXT) | instid1(VALU_DEP_1)
	v_mov_b32_dpp v6, v5 row_shr:2 row_mask:0xf bank_mask:0xf
	v_cndmask_b32_e32 v6, 0, v6, vcc_lo
	v_cmp_lt_u32_e32 vcc_lo, 3, v2
	s_delay_alu instid0(VALU_DEP_2) | instskip(NEXT) | instid1(VALU_DEP_1)
	v_add_nc_u32_e32 v5, v5, v6
	v_mov_b32_dpp v6, v5 row_shr:4 row_mask:0xf bank_mask:0xf
	s_delay_alu instid0(VALU_DEP_1) | instskip(NEXT) | instid1(VALU_DEP_1)
	v_cndmask_b32_e32 v6, 0, v6, vcc_lo
	v_add_nc_u32_e32 v5, v5, v6
	ds_store_b32 v66, v5
.LBB2057_92:                            ;   in Loop: Header=BB2057_12 Depth=1
	s_or_b32 exec_lo, exec_lo, s11
	v_mov_b32_e32 v5, 0
	s_waitcnt lgkmcnt(0)
	s_barrier
	buffer_gl0_inv
	s_and_saveexec_b32 s11, s5
	s_cbranch_execz .LBB2057_94
; %bb.93:                               ;   in Loop: Header=BB2057_12 Depth=1
	ds_load_b32 v5, v67
.LBB2057_94:                            ;   in Loop: Header=BB2057_12 Depth=1
	s_or_b32 exec_lo, exec_lo, s11
	v_add_nc_u32_e32 v6, -1, v104
	s_waitcnt lgkmcnt(0)
	v_add_nc_u32_e32 v4, v5, v4
	v_cmp_eq_u32_e64 s11, 0, v104
	s_barrier
	v_cmp_gt_i32_e32 vcc_lo, 0, v6
	buffer_gl0_inv
	v_cndmask_b32_e32 v6, v6, v104, vcc_lo
	s_delay_alu instid0(VALU_DEP_1)
	v_lshlrev_b32_e32 v105, 2, v6
	ds_bpermute_b32 v4, v105, v4
	s_and_saveexec_b32 s12, s2
	s_cbranch_execz .LBB2057_96
; %bb.95:                               ;   in Loop: Header=BB2057_12 Depth=1
	s_waitcnt lgkmcnt(0)
	v_cndmask_b32_e64 v4, v4, v5, s11
	s_delay_alu instid0(VALU_DEP_1)
	v_add_nc_u32_e32 v4, s52, v4
	ds_store_b32 v44, v4
.LBB2057_96:                            ;   in Loop: Header=BB2057_12 Depth=1
	s_or_b32 exec_lo, exec_lo, s12
	s_clause 0x1
	s_load_b32 s12, s[42:43], 0x4
	s_load_b32 s16, s[42:43], 0xc
	v_lshlrev_b32_e32 v5, 3, v104
	v_cmp_lt_u32_e64 s14, 3, v2
	v_or_b32_e32 v106, v104, v68
	s_mov_b32 s56, s54
	s_mov_b32 s34, s52
	v_add_co_u32 v107, vcc_lo, v74, v5
	v_add_co_ci_u32_e32 v108, vcc_lo, 0, v75, vcc_lo
	v_or_b32_e32 v109, 32, v106
	v_or_b32_e32 v110, 64, v106
	;; [unrolled: 1-line block ×9, first 2 shown]
	s_waitcnt lgkmcnt(0)
	s_cmp_lt_u32 s15, s12
	v_or_b32_e32 v118, 0x140, v106
	s_cselect_b32 s12, 14, 20
	v_or_b32_e32 v119, 0x160, v106
	s_add_u32 s12, s42, s12
	s_addc_u32 s13, s43, 0
	s_and_b32 s16, s16, 0xffff
	global_load_u16 v4, v3, s[12:13]
	v_cmp_eq_u32_e64 s12, 0, v2
	v_cmp_lt_u32_e64 s13, 1, v2
	v_lshlrev_b32_e32 v2, 1, v104
	v_or_b32_e32 v120, 0x180, v106
	v_or_b32_e32 v121, 0x1a0, v106
	;; [unrolled: 1-line block ×4, first 2 shown]
	v_add_co_u32 v124, vcc_lo, v76, v2
	v_add_co_ci_u32_e32 v125, vcc_lo, 0, v77, vcc_lo
                                        ; implicit-def: $vgpr8_vgpr9
                                        ; implicit-def: $vgpr10_vgpr11
                                        ; implicit-def: $vgpr12_vgpr13
                                        ; implicit-def: $vgpr14_vgpr15
                                        ; implicit-def: $vgpr16_vgpr17
                                        ; implicit-def: $vgpr18_vgpr19
                                        ; implicit-def: $vgpr20_vgpr21
                                        ; implicit-def: $vgpr22_vgpr23
                                        ; implicit-def: $vgpr24_vgpr25
                                        ; implicit-def: $vgpr26_vgpr27
                                        ; implicit-def: $vgpr28_vgpr29
                                        ; implicit-def: $vgpr30_vgpr31
                                        ; implicit-def: $vgpr32_vgpr33
                                        ; implicit-def: $vgpr34_vgpr35
                                        ; implicit-def: $vgpr129
                                        ; implicit-def: $vgpr130
                                        ; implicit-def: $vgpr131
                                        ; implicit-def: $vgpr132
                                        ; implicit-def: $vgpr133
                                        ; implicit-def: $vgpr134
                                        ; implicit-def: $vgpr135
                                        ; implicit-def: $vgpr136
                                        ; implicit-def: $vgpr137
                                        ; implicit-def: $vgpr138
                                        ; implicit-def: $vgpr139
                                        ; implicit-def: $vgpr140
                                        ; implicit-def: $vgpr141
                                        ; implicit-def: $vgpr142
                                        ; implicit-def: $vgpr143
                                        ; implicit-def: $vgpr144
	s_delay_alu instid0(VALU_DEP_2) | instskip(NEXT) | instid1(VALU_DEP_2)
	v_add_co_u32 v127, vcc_lo, 0x3c0, v124
	v_add_co_ci_u32_e32 v128, vcc_lo, 0, v125, vcc_lo
	s_waitcnt vmcnt(0)
	v_mad_u32_u24 v6, v70, v4, v0
	s_delay_alu instid0(VALU_DEP_1) | instskip(NEXT) | instid1(VALU_DEP_1)
	v_mad_u64_u32 v[4:5], null, v6, s16, v[1:2]
                                        ; implicit-def: $vgpr6_vgpr7
	v_lshrrev_b32_e32 v126, 5, v4
                                        ; implicit-def: $vgpr4_vgpr5
	s_branch .LBB2057_98
.LBB2057_97:                            ;   in Loop: Header=BB2057_98 Depth=2
	s_or_b32 exec_lo, exec_lo, s16
	s_addk_i32 s56, 0xf000
	s_cmp_lt_u32 s57, s53
	s_mov_b32 s34, s57
	s_cbranch_scc0 .LBB2057_306
.LBB2057_98:                            ;   Parent Loop BB2057_12 Depth=1
                                        ; =>  This Inner Loop Header: Depth=2
	s_add_i32 s57, s34, 0x1000
	s_delay_alu instid0(SALU_CYCLE_1)
	s_cmp_gt_u32 s57, s53
	s_cbranch_scc1 .LBB2057_101
; %bb.99:                               ;   in Loop: Header=BB2057_98 Depth=2
	s_mov_b32 s17, 0
	s_mov_b32 s16, s34
	s_delay_alu instid0(SALU_CYCLE_1) | instskip(NEXT) | instid1(SALU_CYCLE_1)
	s_lshl_b64 s[18:19], s[16:17], 1
	v_add_co_u32 v36, vcc_lo, v124, s18
	v_add_co_ci_u32_e32 v37, vcc_lo, s19, v125, vcc_lo
	s_mov_b32 s19, -1
	s_movk_i32 s18, 0x1000
	s_clause 0xe
	global_load_u16 v2, v[36:37], off
	global_load_u16 v146, v[36:37], off offset:64
	global_load_u16 v149, v[36:37], off offset:128
	;; [unrolled: 1-line block ×14, first 2 shown]
	s_cbranch_execz .LBB2057_102
; %bb.100:                              ;   in Loop: Header=BB2057_98 Depth=2
                                        ; implicit-def: $sgpr20
	v_dual_mov_b32 v36, s20 :: v_dual_mov_b32 v145, s56
	s_and_saveexec_b32 s20, s19
	s_cbranch_execnz .LBB2057_133
	s_branch .LBB2057_134
.LBB2057_101:                           ;   in Loop: Header=BB2057_98 Depth=2
	s_mov_b32 s17, -1
	s_mov_b32 s19, 0
                                        ; implicit-def: $sgpr18
                                        ; implicit-def: $vgpr2
                                        ; implicit-def: $vgpr146
                                        ; implicit-def: $vgpr149
                                        ; implicit-def: $vgpr153
                                        ; implicit-def: $vgpr157
                                        ; implicit-def: $vgpr161
                                        ; implicit-def: $vgpr165
                                        ; implicit-def: $vgpr170
                                        ; implicit-def: $vgpr169
                                        ; implicit-def: $vgpr43
                                        ; implicit-def: $vgpr42
                                        ; implicit-def: $vgpr41
                                        ; implicit-def: $vgpr40
                                        ; implicit-def: $vgpr39
                                        ; implicit-def: $vgpr38
.LBB2057_102:                           ;   in Loop: Header=BB2057_98 Depth=2
	s_lshl_b64 s[16:17], s[34:35], 1
	s_waitcnt vmcnt(13)
	v_mov_b32_e32 v146, 0x7fff
	v_add_co_u32 v36, vcc_lo, v124, s16
	v_add_co_ci_u32_e32 v37, vcc_lo, s17, v125, vcc_lo
	v_mov_b32_e32 v2, 0x7fff
	s_mov_b32 s16, exec_lo
	v_cmpx_gt_u32_e64 s56, v106
	s_cbranch_execz .LBB2057_104
; %bb.103:                              ;   in Loop: Header=BB2057_98 Depth=2
	global_load_u16 v2, v[36:37], off
.LBB2057_104:                           ;   in Loop: Header=BB2057_98 Depth=2
	s_or_b32 exec_lo, exec_lo, s16
	s_delay_alu instid0(SALU_CYCLE_1)
	s_mov_b32 s16, exec_lo
	v_cmpx_gt_u32_e64 s56, v109
	s_cbranch_execz .LBB2057_106
; %bb.105:                              ;   in Loop: Header=BB2057_98 Depth=2
	global_load_u16 v146, v[36:37], off offset:64
.LBB2057_106:                           ;   in Loop: Header=BB2057_98 Depth=2
	s_or_b32 exec_lo, exec_lo, s16
	s_waitcnt vmcnt(11)
	v_mov_b32_e32 v153, 0x7fff
	v_mov_b32_e32 v149, 0x7fff
	s_mov_b32 s16, exec_lo
	v_cmpx_gt_u32_e64 s56, v110
	s_cbranch_execz .LBB2057_108
; %bb.107:                              ;   in Loop: Header=BB2057_98 Depth=2
	global_load_u16 v149, v[36:37], off offset:128
.LBB2057_108:                           ;   in Loop: Header=BB2057_98 Depth=2
	s_or_b32 exec_lo, exec_lo, s16
	s_delay_alu instid0(SALU_CYCLE_1)
	s_mov_b32 s16, exec_lo
	v_cmpx_gt_u32_e64 s56, v111
	s_cbranch_execz .LBB2057_110
; %bb.109:                              ;   in Loop: Header=BB2057_98 Depth=2
	global_load_u16 v153, v[36:37], off offset:192
.LBB2057_110:                           ;   in Loop: Header=BB2057_98 Depth=2
	s_or_b32 exec_lo, exec_lo, s16
	s_waitcnt vmcnt(9)
	v_mov_b32_e32 v161, 0x7fff
	v_mov_b32_e32 v157, 0x7fff
	s_mov_b32 s16, exec_lo
	v_cmpx_gt_u32_e64 s56, v112
	s_cbranch_execz .LBB2057_112
; %bb.111:                              ;   in Loop: Header=BB2057_98 Depth=2
	global_load_u16 v157, v[36:37], off offset:256
.LBB2057_112:                           ;   in Loop: Header=BB2057_98 Depth=2
	s_or_b32 exec_lo, exec_lo, s16
	s_delay_alu instid0(SALU_CYCLE_1)
	s_mov_b32 s16, exec_lo
	v_cmpx_gt_u32_e64 s56, v113
	s_cbranch_execz .LBB2057_114
; %bb.113:                              ;   in Loop: Header=BB2057_98 Depth=2
	global_load_u16 v161, v[36:37], off offset:320
.LBB2057_114:                           ;   in Loop: Header=BB2057_98 Depth=2
	s_or_b32 exec_lo, exec_lo, s16
	s_waitcnt vmcnt(7)
	v_dual_mov_b32 v170, 0x7fff :: v_dual_mov_b32 v165, 0x7fff
	s_mov_b32 s16, exec_lo
	v_cmpx_gt_u32_e64 s56, v114
	s_cbranch_execz .LBB2057_116
; %bb.115:                              ;   in Loop: Header=BB2057_98 Depth=2
	global_load_u16 v165, v[36:37], off offset:384
.LBB2057_116:                           ;   in Loop: Header=BB2057_98 Depth=2
	s_or_b32 exec_lo, exec_lo, s16
	s_delay_alu instid0(SALU_CYCLE_1)
	s_mov_b32 s16, exec_lo
	v_cmpx_gt_u32_e64 s56, v115
	s_cbranch_execz .LBB2057_118
; %bb.117:                              ;   in Loop: Header=BB2057_98 Depth=2
	global_load_u16 v170, v[36:37], off offset:448
.LBB2057_118:                           ;   in Loop: Header=BB2057_98 Depth=2
	s_or_b32 exec_lo, exec_lo, s16
	s_waitcnt vmcnt(5)
	v_mov_b32_e32 v43, 0x7fff
	v_mov_b32_e32 v169, 0x7fff
	s_mov_b32 s16, exec_lo
	v_cmpx_gt_u32_e64 s56, v116
	s_cbranch_execz .LBB2057_120
; %bb.119:                              ;   in Loop: Header=BB2057_98 Depth=2
	global_load_u16 v169, v[36:37], off offset:512
.LBB2057_120:                           ;   in Loop: Header=BB2057_98 Depth=2
	s_or_b32 exec_lo, exec_lo, s16
	s_delay_alu instid0(SALU_CYCLE_1)
	s_mov_b32 s16, exec_lo
	v_cmpx_gt_u32_e64 s56, v117
	s_cbranch_execz .LBB2057_122
; %bb.121:                              ;   in Loop: Header=BB2057_98 Depth=2
	global_load_u16 v43, v[36:37], off offset:576
.LBB2057_122:                           ;   in Loop: Header=BB2057_98 Depth=2
	s_or_b32 exec_lo, exec_lo, s16
	s_waitcnt vmcnt(3)
	v_dual_mov_b32 v41, 0x7fff :: v_dual_mov_b32 v42, 0x7fff
	s_mov_b32 s16, exec_lo
	v_cmpx_gt_u32_e64 s56, v118
	s_cbranch_execz .LBB2057_124
; %bb.123:                              ;   in Loop: Header=BB2057_98 Depth=2
	global_load_u16 v42, v[36:37], off offset:640
.LBB2057_124:                           ;   in Loop: Header=BB2057_98 Depth=2
	s_or_b32 exec_lo, exec_lo, s16
	s_delay_alu instid0(SALU_CYCLE_1)
	s_mov_b32 s16, exec_lo
	v_cmpx_gt_u32_e64 s56, v119
	s_cbranch_execz .LBB2057_126
; %bb.125:                              ;   in Loop: Header=BB2057_98 Depth=2
	global_load_u16 v41, v[36:37], off offset:704
.LBB2057_126:                           ;   in Loop: Header=BB2057_98 Depth=2
	s_or_b32 exec_lo, exec_lo, s16
	s_waitcnt vmcnt(1)
	v_dual_mov_b32 v39, 0x7fff :: v_dual_mov_b32 v40, 0x7fff
	s_mov_b32 s16, exec_lo
	v_cmpx_gt_u32_e64 s56, v120
	s_cbranch_execz .LBB2057_128
; %bb.127:                              ;   in Loop: Header=BB2057_98 Depth=2
	global_load_u16 v40, v[36:37], off offset:768
.LBB2057_128:                           ;   in Loop: Header=BB2057_98 Depth=2
	s_or_b32 exec_lo, exec_lo, s16
	s_delay_alu instid0(SALU_CYCLE_1)
	s_mov_b32 s16, exec_lo
	v_cmpx_gt_u32_e64 s56, v121
	s_cbranch_execz .LBB2057_130
; %bb.129:                              ;   in Loop: Header=BB2057_98 Depth=2
	global_load_u16 v39, v[36:37], off offset:832
.LBB2057_130:                           ;   in Loop: Header=BB2057_98 Depth=2
	s_or_b32 exec_lo, exec_lo, s16
	s_waitcnt vmcnt(0)
	v_mov_b32_e32 v38, 0x7fff
	s_mov_b32 s16, exec_lo
	v_cmpx_gt_u32_e64 s56, v122
	s_cbranch_execz .LBB2057_132
; %bb.131:                              ;   in Loop: Header=BB2057_98 Depth=2
	global_load_u16 v38, v[36:37], off offset:896
.LBB2057_132:                           ;   in Loop: Header=BB2057_98 Depth=2
	s_or_b32 exec_lo, exec_lo, s16
	v_cmp_gt_u32_e64 s19, s56, v123
	s_sub_i32 s18, s53, s34
	s_movk_i32 s20, 0x7fff
	s_mov_b64 s[16:17], s[34:35]
	v_dual_mov_b32 v36, s20 :: v_dual_mov_b32 v145, s56
	s_and_saveexec_b32 s20, s19
	s_cbranch_execz .LBB2057_134
.LBB2057_133:                           ;   in Loop: Header=BB2057_98 Depth=2
	s_lshl_b64 s[16:17], s[16:17], 1
	v_mov_b32_e32 v145, s18
	v_add_co_u32 v36, vcc_lo, v127, s16
	v_add_co_ci_u32_e32 v37, vcc_lo, s17, v128, vcc_lo
	global_load_u16 v36, v[36:37], off
.LBB2057_134:                           ;   in Loop: Header=BB2057_98 Depth=2
	s_or_b32 exec_lo, exec_lo, s20
	s_waitcnt vmcnt(14)
	v_cmp_lt_i16_e32 vcc_lo, -1, v2
	ds_store_b32 v69, v3 offset:1056
	ds_store_2addr_b32 v71, v3, v3 offset0:1 offset1:2
	ds_store_2addr_b32 v71, v3, v3 offset0:3 offset1:4
	;; [unrolled: 1-line block ×4, first 2 shown]
	s_waitcnt vmcnt(0) lgkmcnt(0)
	s_barrier
	v_cndmask_b32_e64 v37, -1, 0xffff8000, vcc_lo
	buffer_gl0_inv
	; wave barrier
	v_xor_b32_e32 v2, v37, v2
	s_delay_alu instid0(VALU_DEP_1) | instskip(SKIP_1) | instid1(VALU_DEP_1)
	v_cmp_ne_u16_e32 vcc_lo, 0x7fff, v2
	v_cndmask_b32_e32 v37, 0xffff8000, v2, vcc_lo
	v_and_b32_e32 v37, 0xffff, v37
	s_delay_alu instid0(VALU_DEP_1) | instskip(NEXT) | instid1(VALU_DEP_1)
	v_lshrrev_b32_e32 v37, s48, v37
	v_and_b32_e32 v148, s55, v37
	s_delay_alu instid0(VALU_DEP_1)
	v_lshlrev_b32_e32 v150, 29, v148
	v_and_b32_e32 v37, 1, v148
	v_lshlrev_b32_e32 v147, 30, v148
	v_lshlrev_b32_e32 v151, 28, v148
	;; [unrolled: 1-line block ×4, first 2 shown]
	v_add_co_u32 v37, s16, v37, -1
	s_delay_alu instid0(VALU_DEP_1)
	v_cndmask_b32_e64 v152, 0, 1, s16
	v_not_b32_e32 v158, v147
	v_cmp_gt_i32_e64 s16, 0, v147
	v_not_b32_e32 v147, v150
	v_lshlrev_b32_e32 v156, 25, v148
	v_cmp_ne_u32_e32 vcc_lo, 0, v152
	v_ashrrev_i32_e32 v158, 31, v158
	v_lshlrev_b32_e32 v152, 24, v148
	v_ashrrev_i32_e32 v147, 31, v147
	v_mad_u32_u24 v148, v148, 9, v126
	v_xor_b32_e32 v37, vcc_lo, v37
	v_cmp_gt_i32_e32 vcc_lo, 0, v150
	v_not_b32_e32 v150, v151
	v_xor_b32_e32 v158, s16, v158
	v_cmp_gt_i32_e64 s16, 0, v151
	v_and_b32_e32 v37, exec_lo, v37
	v_not_b32_e32 v151, v154
	v_ashrrev_i32_e32 v150, 31, v150
	v_xor_b32_e32 v147, vcc_lo, v147
	v_cmp_gt_i32_e32 vcc_lo, 0, v154
	v_and_b32_e32 v37, v37, v158
	v_not_b32_e32 v154, v155
	v_ashrrev_i32_e32 v151, 31, v151
	v_xor_b32_e32 v150, s16, v150
	v_cmp_gt_i32_e64 s16, 0, v155
	v_and_b32_e32 v37, v37, v147
	v_not_b32_e32 v147, v156
	v_ashrrev_i32_e32 v154, 31, v154
	v_xor_b32_e32 v151, vcc_lo, v151
	v_cmp_gt_i32_e32 vcc_lo, 0, v156
	v_and_b32_e32 v37, v37, v150
	v_not_b32_e32 v150, v152
	v_ashrrev_i32_e32 v147, 31, v147
	v_xor_b32_e32 v154, s16, v154
	v_cmp_gt_i32_e64 s16, 0, v152
	v_and_b32_e32 v37, v37, v151
	v_ashrrev_i32_e32 v150, 31, v150
	v_xor_b32_e32 v147, vcc_lo, v147
	v_lshl_add_u32 v148, v148, 2, 0x420
	s_delay_alu instid0(VALU_DEP_4) | instskip(NEXT) | instid1(VALU_DEP_4)
	v_and_b32_e32 v37, v37, v154
	v_xor_b32_e32 v150, s16, v150
	s_delay_alu instid0(VALU_DEP_2) | instskip(NEXT) | instid1(VALU_DEP_1)
	v_and_b32_e32 v37, v37, v147
	v_and_b32_e32 v37, v37, v150
	s_delay_alu instid0(VALU_DEP_1) | instskip(SKIP_1) | instid1(VALU_DEP_2)
	v_mbcnt_lo_u32_b32 v147, v37, 0
	v_cmp_ne_u32_e64 s16, 0, v37
	v_cmp_eq_u32_e32 vcc_lo, 0, v147
	s_delay_alu instid0(VALU_DEP_2) | instskip(NEXT) | instid1(SALU_CYCLE_1)
	s_and_b32 s17, s16, vcc_lo
	s_and_saveexec_b32 s16, s17
	s_cbranch_execz .LBB2057_136
; %bb.135:                              ;   in Loop: Header=BB2057_98 Depth=2
	v_bcnt_u32_b32 v37, v37, 0
	ds_store_b32 v148, v37
.LBB2057_136:                           ;   in Loop: Header=BB2057_98 Depth=2
	s_or_b32 exec_lo, exec_lo, s16
	v_cmp_lt_i16_e64 vcc_lo, -1, v146
	; wave barrier
	s_delay_alu instid0(VALU_DEP_1) | instskip(NEXT) | instid1(VALU_DEP_1)
	v_cndmask_b32_e64 v37, -1, 0xffff8000, vcc_lo
	v_xor_b32_e32 v146, v37, v146
	s_delay_alu instid0(VALU_DEP_1) | instskip(SKIP_1) | instid1(VALU_DEP_1)
	v_cmp_ne_u16_e64 vcc_lo, 0x7fff, v146
	v_cndmask_b32_e32 v37, 0xffff8000, v146, vcc_lo
	v_and_b32_e32 v37, 0xffff, v37
	s_delay_alu instid0(VALU_DEP_1) | instskip(NEXT) | instid1(VALU_DEP_1)
	v_lshrrev_b32_e32 v37, s48, v37
	v_and_b32_e32 v37, s55, v37
	s_delay_alu instid0(VALU_DEP_1)
	v_and_b32_e32 v150, 1, v37
	v_lshlrev_b32_e32 v151, 30, v37
	v_lshlrev_b32_e32 v152, 29, v37
	;; [unrolled: 1-line block ×4, first 2 shown]
	v_add_co_u32 v150, s16, v150, -1
	s_delay_alu instid0(VALU_DEP_1)
	v_cndmask_b32_e64 v155, 0, 1, s16
	v_not_b32_e32 v160, v151
	v_cmp_gt_i32_e64 s16, 0, v151
	v_not_b32_e32 v151, v152
	v_lshlrev_b32_e32 v158, 26, v37
	v_cmp_ne_u32_e32 vcc_lo, 0, v155
	v_ashrrev_i32_e32 v160, 31, v160
	v_lshlrev_b32_e32 v159, 25, v37
	v_ashrrev_i32_e32 v151, 31, v151
	v_lshlrev_b32_e32 v155, 24, v37
	v_xor_b32_e32 v150, vcc_lo, v150
	v_cmp_gt_i32_e32 vcc_lo, 0, v152
	v_not_b32_e32 v152, v154
	v_xor_b32_e32 v160, s16, v160
	v_cmp_gt_i32_e64 s16, 0, v154
	v_and_b32_e32 v150, exec_lo, v150
	v_not_b32_e32 v154, v156
	v_ashrrev_i32_e32 v152, 31, v152
	v_xor_b32_e32 v151, vcc_lo, v151
	v_cmp_gt_i32_e32 vcc_lo, 0, v156
	v_and_b32_e32 v150, v150, v160
	v_not_b32_e32 v156, v158
	v_ashrrev_i32_e32 v154, 31, v154
	v_xor_b32_e32 v152, s16, v152
	v_cmp_gt_i32_e64 s16, 0, v158
	v_and_b32_e32 v150, v150, v151
	v_not_b32_e32 v151, v159
	v_ashrrev_i32_e32 v156, 31, v156
	v_xor_b32_e32 v154, vcc_lo, v154
	v_cmp_gt_i32_e32 vcc_lo, 0, v159
	v_and_b32_e32 v150, v150, v152
	v_not_b32_e32 v152, v155
	v_ashrrev_i32_e32 v151, 31, v151
	v_xor_b32_e32 v156, s16, v156
	v_mul_u32_u24_e32 v37, 9, v37
	v_and_b32_e32 v150, v150, v154
	v_cmp_gt_i32_e64 s16, 0, v155
	v_ashrrev_i32_e32 v152, 31, v152
	v_xor_b32_e32 v151, vcc_lo, v151
	v_add_lshl_u32 v154, v37, v126, 2
	v_and_b32_e32 v150, v150, v156
	s_delay_alu instid0(VALU_DEP_4) | instskip(NEXT) | instid1(VALU_DEP_3)
	v_xor_b32_e32 v37, s16, v152
	v_add_nc_u32_e32 v152, 0x420, v154
	s_delay_alu instid0(VALU_DEP_3) | instskip(SKIP_2) | instid1(VALU_DEP_1)
	v_and_b32_e32 v151, v150, v151
	ds_load_b32 v150, v154 offset:1056
	; wave barrier
	v_and_b32_e32 v37, v151, v37
	v_mbcnt_lo_u32_b32 v151, v37, 0
	v_cmp_ne_u32_e64 s16, 0, v37
	s_delay_alu instid0(VALU_DEP_2) | instskip(NEXT) | instid1(VALU_DEP_2)
	v_cmp_eq_u32_e32 vcc_lo, 0, v151
	s_and_b32 s17, s16, vcc_lo
	s_delay_alu instid0(SALU_CYCLE_1)
	s_and_saveexec_b32 s16, s17
	s_cbranch_execz .LBB2057_138
; %bb.137:                              ;   in Loop: Header=BB2057_98 Depth=2
	s_waitcnt lgkmcnt(0)
	v_bcnt_u32_b32 v37, v37, v150
	ds_store_b32 v152, v37
.LBB2057_138:                           ;   in Loop: Header=BB2057_98 Depth=2
	s_or_b32 exec_lo, exec_lo, s16
	v_cmp_lt_i16_e64 vcc_lo, -1, v149
	; wave barrier
	s_delay_alu instid0(VALU_DEP_1) | instskip(NEXT) | instid1(VALU_DEP_1)
	v_cndmask_b32_e64 v37, -1, 0xffff8000, vcc_lo
	v_xor_b32_e32 v149, v37, v149
	s_delay_alu instid0(VALU_DEP_1) | instskip(SKIP_1) | instid1(VALU_DEP_1)
	v_cmp_ne_u16_e64 vcc_lo, 0x7fff, v149
	v_cndmask_b32_e32 v37, 0xffff8000, v149, vcc_lo
	v_and_b32_e32 v37, 0xffff, v37
	s_delay_alu instid0(VALU_DEP_1) | instskip(NEXT) | instid1(VALU_DEP_1)
	v_lshrrev_b32_e32 v37, s48, v37
	v_and_b32_e32 v37, s55, v37
	s_delay_alu instid0(VALU_DEP_1)
	v_and_b32_e32 v154, 1, v37
	v_lshlrev_b32_e32 v155, 30, v37
	v_lshlrev_b32_e32 v156, 29, v37
	;; [unrolled: 1-line block ×4, first 2 shown]
	v_add_co_u32 v154, s16, v154, -1
	s_delay_alu instid0(VALU_DEP_1)
	v_cndmask_b32_e64 v159, 0, 1, s16
	v_not_b32_e32 v164, v155
	v_cmp_gt_i32_e64 s16, 0, v155
	v_not_b32_e32 v155, v156
	v_lshlrev_b32_e32 v162, 26, v37
	v_cmp_ne_u32_e32 vcc_lo, 0, v159
	v_ashrrev_i32_e32 v164, 31, v164
	v_lshlrev_b32_e32 v163, 25, v37
	v_ashrrev_i32_e32 v155, 31, v155
	v_lshlrev_b32_e32 v159, 24, v37
	v_xor_b32_e32 v154, vcc_lo, v154
	v_cmp_gt_i32_e32 vcc_lo, 0, v156
	v_not_b32_e32 v156, v158
	v_xor_b32_e32 v164, s16, v164
	v_cmp_gt_i32_e64 s16, 0, v158
	v_and_b32_e32 v154, exec_lo, v154
	v_not_b32_e32 v158, v160
	v_ashrrev_i32_e32 v156, 31, v156
	v_xor_b32_e32 v155, vcc_lo, v155
	v_cmp_gt_i32_e32 vcc_lo, 0, v160
	v_and_b32_e32 v154, v154, v164
	v_not_b32_e32 v160, v162
	v_ashrrev_i32_e32 v158, 31, v158
	v_xor_b32_e32 v156, s16, v156
	v_cmp_gt_i32_e64 s16, 0, v162
	v_and_b32_e32 v154, v154, v155
	v_not_b32_e32 v155, v163
	v_ashrrev_i32_e32 v160, 31, v160
	v_xor_b32_e32 v158, vcc_lo, v158
	v_cmp_gt_i32_e32 vcc_lo, 0, v163
	v_and_b32_e32 v154, v154, v156
	v_not_b32_e32 v156, v159
	v_ashrrev_i32_e32 v155, 31, v155
	v_xor_b32_e32 v160, s16, v160
	v_mul_u32_u24_e32 v37, 9, v37
	v_and_b32_e32 v154, v154, v158
	v_cmp_gt_i32_e64 s16, 0, v159
	v_ashrrev_i32_e32 v156, 31, v156
	v_xor_b32_e32 v155, vcc_lo, v155
	v_add_lshl_u32 v158, v37, v126, 2
	v_and_b32_e32 v154, v154, v160
	s_delay_alu instid0(VALU_DEP_4) | instskip(NEXT) | instid1(VALU_DEP_3)
	v_xor_b32_e32 v37, s16, v156
	v_add_nc_u32_e32 v156, 0x420, v158
	s_delay_alu instid0(VALU_DEP_3) | instskip(SKIP_2) | instid1(VALU_DEP_1)
	v_and_b32_e32 v155, v154, v155
	ds_load_b32 v154, v158 offset:1056
	; wave barrier
	v_and_b32_e32 v37, v155, v37
	v_mbcnt_lo_u32_b32 v155, v37, 0
	v_cmp_ne_u32_e64 s16, 0, v37
	s_delay_alu instid0(VALU_DEP_2) | instskip(NEXT) | instid1(VALU_DEP_2)
	v_cmp_eq_u32_e32 vcc_lo, 0, v155
	s_and_b32 s17, s16, vcc_lo
	s_delay_alu instid0(SALU_CYCLE_1)
	s_and_saveexec_b32 s16, s17
	s_cbranch_execz .LBB2057_140
; %bb.139:                              ;   in Loop: Header=BB2057_98 Depth=2
	s_waitcnt lgkmcnt(0)
	v_bcnt_u32_b32 v37, v37, v154
	ds_store_b32 v156, v37
.LBB2057_140:                           ;   in Loop: Header=BB2057_98 Depth=2
	s_or_b32 exec_lo, exec_lo, s16
	v_cmp_lt_i16_e64 vcc_lo, -1, v153
	; wave barrier
	s_delay_alu instid0(VALU_DEP_1) | instskip(NEXT) | instid1(VALU_DEP_1)
	v_cndmask_b32_e64 v37, -1, 0xffff8000, vcc_lo
	v_xor_b32_e32 v153, v37, v153
	s_delay_alu instid0(VALU_DEP_1) | instskip(SKIP_1) | instid1(VALU_DEP_1)
	v_cmp_ne_u16_e64 vcc_lo, 0x7fff, v153
	v_cndmask_b32_e32 v37, 0xffff8000, v153, vcc_lo
	v_and_b32_e32 v37, 0xffff, v37
	s_delay_alu instid0(VALU_DEP_1) | instskip(NEXT) | instid1(VALU_DEP_1)
	v_lshrrev_b32_e32 v37, s48, v37
	v_and_b32_e32 v37, s55, v37
	s_delay_alu instid0(VALU_DEP_1)
	v_and_b32_e32 v158, 1, v37
	v_lshlrev_b32_e32 v159, 30, v37
	v_lshlrev_b32_e32 v160, 29, v37
	;; [unrolled: 1-line block ×4, first 2 shown]
	v_add_co_u32 v158, s16, v158, -1
	s_delay_alu instid0(VALU_DEP_1)
	v_cndmask_b32_e64 v163, 0, 1, s16
	v_not_b32_e32 v168, v159
	v_cmp_gt_i32_e64 s16, 0, v159
	v_not_b32_e32 v159, v160
	v_lshlrev_b32_e32 v166, 26, v37
	v_cmp_ne_u32_e32 vcc_lo, 0, v163
	v_ashrrev_i32_e32 v168, 31, v168
	v_lshlrev_b32_e32 v167, 25, v37
	v_ashrrev_i32_e32 v159, 31, v159
	v_lshlrev_b32_e32 v163, 24, v37
	v_xor_b32_e32 v158, vcc_lo, v158
	v_cmp_gt_i32_e32 vcc_lo, 0, v160
	v_not_b32_e32 v160, v162
	v_xor_b32_e32 v168, s16, v168
	v_cmp_gt_i32_e64 s16, 0, v162
	v_and_b32_e32 v158, exec_lo, v158
	v_not_b32_e32 v162, v164
	v_ashrrev_i32_e32 v160, 31, v160
	v_xor_b32_e32 v159, vcc_lo, v159
	v_cmp_gt_i32_e32 vcc_lo, 0, v164
	v_and_b32_e32 v158, v158, v168
	v_not_b32_e32 v164, v166
	v_ashrrev_i32_e32 v162, 31, v162
	v_xor_b32_e32 v160, s16, v160
	v_cmp_gt_i32_e64 s16, 0, v166
	v_and_b32_e32 v158, v158, v159
	v_not_b32_e32 v159, v167
	v_ashrrev_i32_e32 v164, 31, v164
	v_xor_b32_e32 v162, vcc_lo, v162
	v_cmp_gt_i32_e32 vcc_lo, 0, v167
	v_and_b32_e32 v158, v158, v160
	v_not_b32_e32 v160, v163
	v_ashrrev_i32_e32 v159, 31, v159
	v_xor_b32_e32 v164, s16, v164
	v_mul_u32_u24_e32 v37, 9, v37
	v_and_b32_e32 v158, v158, v162
	v_cmp_gt_i32_e64 s16, 0, v163
	v_ashrrev_i32_e32 v160, 31, v160
	v_xor_b32_e32 v159, vcc_lo, v159
	v_add_lshl_u32 v162, v37, v126, 2
	v_and_b32_e32 v158, v158, v164
	s_delay_alu instid0(VALU_DEP_4) | instskip(NEXT) | instid1(VALU_DEP_3)
	v_xor_b32_e32 v37, s16, v160
	v_add_nc_u32_e32 v160, 0x420, v162
	s_delay_alu instid0(VALU_DEP_3) | instskip(SKIP_2) | instid1(VALU_DEP_1)
	v_and_b32_e32 v159, v158, v159
	ds_load_b32 v158, v162 offset:1056
	; wave barrier
	v_and_b32_e32 v37, v159, v37
	v_mbcnt_lo_u32_b32 v159, v37, 0
	v_cmp_ne_u32_e64 s16, 0, v37
	s_delay_alu instid0(VALU_DEP_2) | instskip(NEXT) | instid1(VALU_DEP_2)
	v_cmp_eq_u32_e32 vcc_lo, 0, v159
	s_and_b32 s17, s16, vcc_lo
	s_delay_alu instid0(SALU_CYCLE_1)
	s_and_saveexec_b32 s16, s17
	s_cbranch_execz .LBB2057_142
; %bb.141:                              ;   in Loop: Header=BB2057_98 Depth=2
	s_waitcnt lgkmcnt(0)
	v_bcnt_u32_b32 v37, v37, v158
	ds_store_b32 v160, v37
.LBB2057_142:                           ;   in Loop: Header=BB2057_98 Depth=2
	s_or_b32 exec_lo, exec_lo, s16
	v_cmp_lt_i16_e64 vcc_lo, -1, v157
	; wave barrier
	s_delay_alu instid0(VALU_DEP_1) | instskip(NEXT) | instid1(VALU_DEP_1)
	v_cndmask_b32_e64 v37, -1, 0xffff8000, vcc_lo
	v_xor_b32_e32 v157, v37, v157
	s_delay_alu instid0(VALU_DEP_1) | instskip(SKIP_1) | instid1(VALU_DEP_1)
	v_cmp_ne_u16_e64 vcc_lo, 0x7fff, v157
	v_cndmask_b32_e32 v37, 0xffff8000, v157, vcc_lo
	v_and_b32_e32 v37, 0xffff, v37
	s_delay_alu instid0(VALU_DEP_1) | instskip(NEXT) | instid1(VALU_DEP_1)
	v_lshrrev_b32_e32 v37, s48, v37
	v_and_b32_e32 v37, s55, v37
	s_delay_alu instid0(VALU_DEP_1)
	v_and_b32_e32 v162, 1, v37
	v_lshlrev_b32_e32 v163, 30, v37
	v_lshlrev_b32_e32 v164, 29, v37
	;; [unrolled: 1-line block ×4, first 2 shown]
	v_add_co_u32 v162, s16, v162, -1
	s_delay_alu instid0(VALU_DEP_1)
	v_cndmask_b32_e64 v167, 0, 1, s16
	v_not_b32_e32 v173, v163
	v_cmp_gt_i32_e64 s16, 0, v163
	v_not_b32_e32 v163, v164
	v_lshlrev_b32_e32 v171, 26, v37
	v_cmp_ne_u32_e32 vcc_lo, 0, v167
	v_ashrrev_i32_e32 v173, 31, v173
	v_lshlrev_b32_e32 v172, 25, v37
	v_ashrrev_i32_e32 v163, 31, v163
	v_lshlrev_b32_e32 v167, 24, v37
	v_xor_b32_e32 v162, vcc_lo, v162
	v_cmp_gt_i32_e32 vcc_lo, 0, v164
	v_not_b32_e32 v164, v166
	v_xor_b32_e32 v173, s16, v173
	v_cmp_gt_i32_e64 s16, 0, v166
	v_and_b32_e32 v162, exec_lo, v162
	v_not_b32_e32 v166, v168
	v_ashrrev_i32_e32 v164, 31, v164
	v_xor_b32_e32 v163, vcc_lo, v163
	v_cmp_gt_i32_e32 vcc_lo, 0, v168
	v_and_b32_e32 v162, v162, v173
	v_not_b32_e32 v168, v171
	v_ashrrev_i32_e32 v166, 31, v166
	v_xor_b32_e32 v164, s16, v164
	v_cmp_gt_i32_e64 s16, 0, v171
	v_and_b32_e32 v162, v162, v163
	v_not_b32_e32 v163, v172
	v_ashrrev_i32_e32 v168, 31, v168
	v_xor_b32_e32 v166, vcc_lo, v166
	v_cmp_gt_i32_e32 vcc_lo, 0, v172
	v_and_b32_e32 v162, v162, v164
	v_not_b32_e32 v164, v167
	v_ashrrev_i32_e32 v163, 31, v163
	v_xor_b32_e32 v168, s16, v168
	v_mul_u32_u24_e32 v37, 9, v37
	v_and_b32_e32 v162, v162, v166
	v_cmp_gt_i32_e64 s16, 0, v167
	v_ashrrev_i32_e32 v164, 31, v164
	v_xor_b32_e32 v163, vcc_lo, v163
	v_add_lshl_u32 v166, v37, v126, 2
	v_and_b32_e32 v162, v162, v168
	s_delay_alu instid0(VALU_DEP_4) | instskip(NEXT) | instid1(VALU_DEP_3)
	v_xor_b32_e32 v37, s16, v164
	v_add_nc_u32_e32 v164, 0x420, v166
	s_delay_alu instid0(VALU_DEP_3) | instskip(SKIP_2) | instid1(VALU_DEP_1)
	v_and_b32_e32 v163, v162, v163
	ds_load_b32 v162, v166 offset:1056
	; wave barrier
	v_and_b32_e32 v37, v163, v37
	v_mbcnt_lo_u32_b32 v163, v37, 0
	v_cmp_ne_u32_e64 s16, 0, v37
	s_delay_alu instid0(VALU_DEP_2) | instskip(NEXT) | instid1(VALU_DEP_2)
	v_cmp_eq_u32_e32 vcc_lo, 0, v163
	s_and_b32 s17, s16, vcc_lo
	s_delay_alu instid0(SALU_CYCLE_1)
	s_and_saveexec_b32 s16, s17
	s_cbranch_execz .LBB2057_144
; %bb.143:                              ;   in Loop: Header=BB2057_98 Depth=2
	s_waitcnt lgkmcnt(0)
	v_bcnt_u32_b32 v37, v37, v162
	ds_store_b32 v164, v37
.LBB2057_144:                           ;   in Loop: Header=BB2057_98 Depth=2
	s_or_b32 exec_lo, exec_lo, s16
	v_cmp_lt_i16_e64 vcc_lo, -1, v161
	; wave barrier
	s_delay_alu instid0(VALU_DEP_1) | instskip(NEXT) | instid1(VALU_DEP_1)
	v_cndmask_b32_e64 v37, -1, 0xffff8000, vcc_lo
	v_xor_b32_e32 v161, v37, v161
	s_delay_alu instid0(VALU_DEP_1) | instskip(SKIP_1) | instid1(VALU_DEP_1)
	v_cmp_ne_u16_e64 vcc_lo, 0x7fff, v161
	v_cndmask_b32_e32 v37, 0xffff8000, v161, vcc_lo
	v_and_b32_e32 v37, 0xffff, v37
	s_delay_alu instid0(VALU_DEP_1) | instskip(NEXT) | instid1(VALU_DEP_1)
	v_lshrrev_b32_e32 v37, s48, v37
	v_and_b32_e32 v37, s55, v37
	s_delay_alu instid0(VALU_DEP_1)
	v_and_b32_e32 v166, 1, v37
	v_lshlrev_b32_e32 v167, 30, v37
	v_lshlrev_b32_e32 v168, 29, v37
	;; [unrolled: 1-line block ×4, first 2 shown]
	v_add_co_u32 v166, s16, v166, -1
	s_delay_alu instid0(VALU_DEP_1)
	v_cndmask_b32_e64 v172, 0, 1, s16
	v_not_b32_e32 v176, v167
	v_cmp_gt_i32_e64 s16, 0, v167
	v_not_b32_e32 v167, v168
	v_lshlrev_b32_e32 v174, 26, v37
	v_cmp_ne_u32_e32 vcc_lo, 0, v172
	v_ashrrev_i32_e32 v176, 31, v176
	v_lshlrev_b32_e32 v175, 25, v37
	v_ashrrev_i32_e32 v167, 31, v167
	v_lshlrev_b32_e32 v172, 24, v37
	v_xor_b32_e32 v166, vcc_lo, v166
	v_cmp_gt_i32_e32 vcc_lo, 0, v168
	v_not_b32_e32 v168, v171
	v_xor_b32_e32 v176, s16, v176
	v_cmp_gt_i32_e64 s16, 0, v171
	v_and_b32_e32 v166, exec_lo, v166
	v_not_b32_e32 v171, v173
	v_ashrrev_i32_e32 v168, 31, v168
	v_xor_b32_e32 v167, vcc_lo, v167
	v_cmp_gt_i32_e32 vcc_lo, 0, v173
	v_and_b32_e32 v166, v166, v176
	v_not_b32_e32 v173, v174
	v_ashrrev_i32_e32 v171, 31, v171
	v_xor_b32_e32 v168, s16, v168
	v_cmp_gt_i32_e64 s16, 0, v174
	v_and_b32_e32 v166, v166, v167
	v_not_b32_e32 v167, v175
	v_ashrrev_i32_e32 v173, 31, v173
	v_xor_b32_e32 v171, vcc_lo, v171
	v_cmp_gt_i32_e32 vcc_lo, 0, v175
	v_and_b32_e32 v166, v166, v168
	v_not_b32_e32 v168, v172
	v_ashrrev_i32_e32 v167, 31, v167
	v_xor_b32_e32 v173, s16, v173
	v_mul_u32_u24_e32 v37, 9, v37
	v_and_b32_e32 v166, v166, v171
	v_cmp_gt_i32_e64 s16, 0, v172
	v_ashrrev_i32_e32 v168, 31, v168
	v_xor_b32_e32 v167, vcc_lo, v167
	v_add_lshl_u32 v171, v37, v126, 2
	v_and_b32_e32 v166, v166, v173
	s_delay_alu instid0(VALU_DEP_4) | instskip(NEXT) | instid1(VALU_DEP_3)
	v_xor_b32_e32 v37, s16, v168
	v_add_nc_u32_e32 v168, 0x420, v171
	s_delay_alu instid0(VALU_DEP_3) | instskip(SKIP_2) | instid1(VALU_DEP_1)
	v_and_b32_e32 v167, v166, v167
	ds_load_b32 v166, v171 offset:1056
	; wave barrier
	v_and_b32_e32 v37, v167, v37
	v_mbcnt_lo_u32_b32 v167, v37, 0
	v_cmp_ne_u32_e64 s16, 0, v37
	s_delay_alu instid0(VALU_DEP_2) | instskip(NEXT) | instid1(VALU_DEP_2)
	v_cmp_eq_u32_e32 vcc_lo, 0, v167
	s_and_b32 s17, s16, vcc_lo
	s_delay_alu instid0(SALU_CYCLE_1)
	s_and_saveexec_b32 s16, s17
	s_cbranch_execz .LBB2057_146
; %bb.145:                              ;   in Loop: Header=BB2057_98 Depth=2
	s_waitcnt lgkmcnt(0)
	v_bcnt_u32_b32 v37, v37, v166
	ds_store_b32 v168, v37
.LBB2057_146:                           ;   in Loop: Header=BB2057_98 Depth=2
	s_or_b32 exec_lo, exec_lo, s16
	v_cmp_lt_i16_e64 vcc_lo, -1, v165
	; wave barrier
	s_delay_alu instid0(VALU_DEP_1) | instskip(NEXT) | instid1(VALU_DEP_1)
	v_cndmask_b32_e64 v37, -1, 0xffff8000, vcc_lo
	v_xor_b32_e32 v165, v37, v165
	s_delay_alu instid0(VALU_DEP_1) | instskip(SKIP_1) | instid1(VALU_DEP_1)
	v_cmp_ne_u16_e64 vcc_lo, 0x7fff, v165
	v_cndmask_b32_e32 v37, 0xffff8000, v165, vcc_lo
	v_and_b32_e32 v37, 0xffff, v37
	s_delay_alu instid0(VALU_DEP_1) | instskip(NEXT) | instid1(VALU_DEP_1)
	v_lshrrev_b32_e32 v37, s48, v37
	v_and_b32_e32 v37, s55, v37
	s_delay_alu instid0(VALU_DEP_1)
	v_and_b32_e32 v171, 1, v37
	v_lshlrev_b32_e32 v172, 30, v37
	v_lshlrev_b32_e32 v173, 29, v37
	;; [unrolled: 1-line block ×4, first 2 shown]
	v_add_co_u32 v171, s16, v171, -1
	s_delay_alu instid0(VALU_DEP_1)
	v_cndmask_b32_e64 v175, 0, 1, s16
	v_not_b32_e32 v179, v172
	v_cmp_gt_i32_e64 s16, 0, v172
	v_not_b32_e32 v172, v173
	v_lshlrev_b32_e32 v177, 26, v37
	v_cmp_ne_u32_e32 vcc_lo, 0, v175
	v_ashrrev_i32_e32 v179, 31, v179
	v_lshlrev_b32_e32 v178, 25, v37
	v_ashrrev_i32_e32 v172, 31, v172
	v_lshlrev_b32_e32 v175, 24, v37
	v_xor_b32_e32 v171, vcc_lo, v171
	v_cmp_gt_i32_e32 vcc_lo, 0, v173
	v_not_b32_e32 v173, v174
	v_xor_b32_e32 v179, s16, v179
	v_cmp_gt_i32_e64 s16, 0, v174
	v_and_b32_e32 v171, exec_lo, v171
	v_not_b32_e32 v174, v176
	v_ashrrev_i32_e32 v173, 31, v173
	v_xor_b32_e32 v172, vcc_lo, v172
	v_cmp_gt_i32_e32 vcc_lo, 0, v176
	v_and_b32_e32 v171, v171, v179
	v_not_b32_e32 v176, v177
	v_ashrrev_i32_e32 v174, 31, v174
	v_xor_b32_e32 v173, s16, v173
	v_cmp_gt_i32_e64 s16, 0, v177
	v_and_b32_e32 v171, v171, v172
	v_not_b32_e32 v172, v178
	v_ashrrev_i32_e32 v176, 31, v176
	v_xor_b32_e32 v174, vcc_lo, v174
	v_cmp_gt_i32_e32 vcc_lo, 0, v178
	v_and_b32_e32 v171, v171, v173
	v_not_b32_e32 v173, v175
	v_ashrrev_i32_e32 v172, 31, v172
	v_xor_b32_e32 v176, s16, v176
	v_mul_u32_u24_e32 v37, 9, v37
	v_and_b32_e32 v171, v171, v174
	v_cmp_gt_i32_e64 s16, 0, v175
	v_ashrrev_i32_e32 v173, 31, v173
	v_xor_b32_e32 v172, vcc_lo, v172
	v_add_lshl_u32 v174, v37, v126, 2
	v_and_b32_e32 v171, v171, v176
	s_delay_alu instid0(VALU_DEP_4) | instskip(NEXT) | instid1(VALU_DEP_3)
	v_xor_b32_e32 v37, s16, v173
	v_add_nc_u32_e32 v173, 0x420, v174
	s_delay_alu instid0(VALU_DEP_3) | instskip(SKIP_2) | instid1(VALU_DEP_1)
	v_and_b32_e32 v172, v171, v172
	ds_load_b32 v171, v174 offset:1056
	; wave barrier
	v_and_b32_e32 v37, v172, v37
	v_mbcnt_lo_u32_b32 v172, v37, 0
	v_cmp_ne_u32_e64 s16, 0, v37
	s_delay_alu instid0(VALU_DEP_2) | instskip(NEXT) | instid1(VALU_DEP_2)
	v_cmp_eq_u32_e32 vcc_lo, 0, v172
	s_and_b32 s17, s16, vcc_lo
	s_delay_alu instid0(SALU_CYCLE_1)
	s_and_saveexec_b32 s16, s17
	s_cbranch_execz .LBB2057_148
; %bb.147:                              ;   in Loop: Header=BB2057_98 Depth=2
	s_waitcnt lgkmcnt(0)
	v_bcnt_u32_b32 v37, v37, v171
	ds_store_b32 v173, v37
.LBB2057_148:                           ;   in Loop: Header=BB2057_98 Depth=2
	s_or_b32 exec_lo, exec_lo, s16
	v_cmp_lt_i16_e64 vcc_lo, -1, v170
	; wave barrier
	s_delay_alu instid0(VALU_DEP_1) | instskip(NEXT) | instid1(VALU_DEP_1)
	v_cndmask_b32_e64 v37, -1, 0xffff8000, vcc_lo
	v_xor_b32_e32 v170, v37, v170
	s_delay_alu instid0(VALU_DEP_1) | instskip(SKIP_1) | instid1(VALU_DEP_1)
	v_cmp_ne_u16_e64 vcc_lo, 0x7fff, v170
	v_cndmask_b32_e32 v37, 0xffff8000, v170, vcc_lo
	v_and_b32_e32 v37, 0xffff, v37
	s_delay_alu instid0(VALU_DEP_1) | instskip(NEXT) | instid1(VALU_DEP_1)
	v_lshrrev_b32_e32 v37, s48, v37
	v_and_b32_e32 v37, s55, v37
	s_delay_alu instid0(VALU_DEP_1)
	v_and_b32_e32 v174, 1, v37
	v_lshlrev_b32_e32 v175, 30, v37
	v_lshlrev_b32_e32 v176, 29, v37
	;; [unrolled: 1-line block ×4, first 2 shown]
	v_add_co_u32 v174, s16, v174, -1
	s_delay_alu instid0(VALU_DEP_1)
	v_cndmask_b32_e64 v178, 0, 1, s16
	v_not_b32_e32 v182, v175
	v_cmp_gt_i32_e64 s16, 0, v175
	v_not_b32_e32 v175, v176
	v_lshlrev_b32_e32 v180, 26, v37
	v_cmp_ne_u32_e32 vcc_lo, 0, v178
	v_ashrrev_i32_e32 v182, 31, v182
	v_lshlrev_b32_e32 v181, 25, v37
	v_ashrrev_i32_e32 v175, 31, v175
	v_lshlrev_b32_e32 v178, 24, v37
	v_xor_b32_e32 v174, vcc_lo, v174
	v_cmp_gt_i32_e32 vcc_lo, 0, v176
	v_not_b32_e32 v176, v177
	v_xor_b32_e32 v182, s16, v182
	v_cmp_gt_i32_e64 s16, 0, v177
	v_and_b32_e32 v174, exec_lo, v174
	v_not_b32_e32 v177, v179
	v_ashrrev_i32_e32 v176, 31, v176
	v_xor_b32_e32 v175, vcc_lo, v175
	v_cmp_gt_i32_e32 vcc_lo, 0, v179
	v_and_b32_e32 v174, v174, v182
	v_not_b32_e32 v179, v180
	v_ashrrev_i32_e32 v177, 31, v177
	v_xor_b32_e32 v176, s16, v176
	v_cmp_gt_i32_e64 s16, 0, v180
	v_and_b32_e32 v174, v174, v175
	v_not_b32_e32 v175, v181
	v_ashrrev_i32_e32 v179, 31, v179
	v_xor_b32_e32 v177, vcc_lo, v177
	v_cmp_gt_i32_e32 vcc_lo, 0, v181
	v_and_b32_e32 v174, v174, v176
	v_not_b32_e32 v176, v178
	v_ashrrev_i32_e32 v175, 31, v175
	v_xor_b32_e32 v179, s16, v179
	v_mul_u32_u24_e32 v37, 9, v37
	v_and_b32_e32 v174, v174, v177
	v_cmp_gt_i32_e64 s16, 0, v178
	v_ashrrev_i32_e32 v176, 31, v176
	v_xor_b32_e32 v175, vcc_lo, v175
	v_add_lshl_u32 v177, v37, v126, 2
	v_and_b32_e32 v174, v174, v179
	s_delay_alu instid0(VALU_DEP_4) | instskip(NEXT) | instid1(VALU_DEP_3)
	v_xor_b32_e32 v37, s16, v176
	v_add_nc_u32_e32 v176, 0x420, v177
	s_delay_alu instid0(VALU_DEP_3) | instskip(SKIP_2) | instid1(VALU_DEP_1)
	v_and_b32_e32 v175, v174, v175
	ds_load_b32 v174, v177 offset:1056
	; wave barrier
	v_and_b32_e32 v37, v175, v37
	v_mbcnt_lo_u32_b32 v175, v37, 0
	v_cmp_ne_u32_e64 s16, 0, v37
	s_delay_alu instid0(VALU_DEP_2) | instskip(NEXT) | instid1(VALU_DEP_2)
	v_cmp_eq_u32_e32 vcc_lo, 0, v175
	s_and_b32 s17, s16, vcc_lo
	s_delay_alu instid0(SALU_CYCLE_1)
	s_and_saveexec_b32 s16, s17
	s_cbranch_execz .LBB2057_150
; %bb.149:                              ;   in Loop: Header=BB2057_98 Depth=2
	s_waitcnt lgkmcnt(0)
	v_bcnt_u32_b32 v37, v37, v174
	ds_store_b32 v176, v37
.LBB2057_150:                           ;   in Loop: Header=BB2057_98 Depth=2
	s_or_b32 exec_lo, exec_lo, s16
	v_cmp_lt_i16_e64 vcc_lo, -1, v169
	; wave barrier
	s_delay_alu instid0(VALU_DEP_1) | instskip(NEXT) | instid1(VALU_DEP_1)
	v_cndmask_b32_e64 v37, -1, 0xffff8000, vcc_lo
	v_xor_b32_e32 v169, v37, v169
	s_delay_alu instid0(VALU_DEP_1) | instskip(SKIP_1) | instid1(VALU_DEP_1)
	v_cmp_ne_u16_e64 vcc_lo, 0x7fff, v169
	v_cndmask_b32_e32 v37, 0xffff8000, v169, vcc_lo
	v_and_b32_e32 v37, 0xffff, v37
	s_delay_alu instid0(VALU_DEP_1) | instskip(NEXT) | instid1(VALU_DEP_1)
	v_lshrrev_b32_e32 v37, s48, v37
	v_and_b32_e32 v37, s55, v37
	s_delay_alu instid0(VALU_DEP_1)
	v_and_b32_e32 v177, 1, v37
	v_lshlrev_b32_e32 v178, 30, v37
	v_lshlrev_b32_e32 v179, 29, v37
	;; [unrolled: 1-line block ×4, first 2 shown]
	v_add_co_u32 v177, s16, v177, -1
	s_delay_alu instid0(VALU_DEP_1)
	v_cndmask_b32_e64 v181, 0, 1, s16
	v_not_b32_e32 v185, v178
	v_cmp_gt_i32_e64 s16, 0, v178
	v_not_b32_e32 v178, v179
	v_lshlrev_b32_e32 v183, 26, v37
	v_cmp_ne_u32_e32 vcc_lo, 0, v181
	v_ashrrev_i32_e32 v185, 31, v185
	v_lshlrev_b32_e32 v184, 25, v37
	v_ashrrev_i32_e32 v178, 31, v178
	v_lshlrev_b32_e32 v181, 24, v37
	v_xor_b32_e32 v177, vcc_lo, v177
	v_cmp_gt_i32_e32 vcc_lo, 0, v179
	v_not_b32_e32 v179, v180
	v_xor_b32_e32 v185, s16, v185
	v_cmp_gt_i32_e64 s16, 0, v180
	v_and_b32_e32 v177, exec_lo, v177
	v_not_b32_e32 v180, v182
	v_ashrrev_i32_e32 v179, 31, v179
	v_xor_b32_e32 v178, vcc_lo, v178
	v_cmp_gt_i32_e32 vcc_lo, 0, v182
	v_and_b32_e32 v177, v177, v185
	v_not_b32_e32 v182, v183
	v_ashrrev_i32_e32 v180, 31, v180
	v_xor_b32_e32 v179, s16, v179
	v_cmp_gt_i32_e64 s16, 0, v183
	v_and_b32_e32 v177, v177, v178
	v_not_b32_e32 v178, v184
	v_ashrrev_i32_e32 v182, 31, v182
	v_xor_b32_e32 v180, vcc_lo, v180
	v_cmp_gt_i32_e32 vcc_lo, 0, v184
	v_and_b32_e32 v177, v177, v179
	v_not_b32_e32 v179, v181
	v_ashrrev_i32_e32 v178, 31, v178
	v_xor_b32_e32 v182, s16, v182
	v_mul_u32_u24_e32 v37, 9, v37
	v_and_b32_e32 v177, v177, v180
	v_cmp_gt_i32_e64 s16, 0, v181
	v_ashrrev_i32_e32 v179, 31, v179
	v_xor_b32_e32 v178, vcc_lo, v178
	v_add_lshl_u32 v180, v37, v126, 2
	v_and_b32_e32 v177, v177, v182
	s_delay_alu instid0(VALU_DEP_4) | instskip(NEXT) | instid1(VALU_DEP_2)
	v_xor_b32_e32 v37, s16, v179
	v_and_b32_e32 v177, v177, v178
	ds_load_b32 v178, v180 offset:1056
	v_add_nc_u32_e32 v180, 0x420, v180
	; wave barrier
	v_and_b32_e32 v37, v177, v37
	s_delay_alu instid0(VALU_DEP_1) | instskip(SKIP_1) | instid1(VALU_DEP_2)
	v_mbcnt_lo_u32_b32 v179, v37, 0
	v_cmp_ne_u32_e64 s16, 0, v37
	v_cmp_eq_u32_e32 vcc_lo, 0, v179
	s_delay_alu instid0(VALU_DEP_2) | instskip(NEXT) | instid1(SALU_CYCLE_1)
	s_and_b32 s17, s16, vcc_lo
	s_and_saveexec_b32 s16, s17
	s_cbranch_execz .LBB2057_152
; %bb.151:                              ;   in Loop: Header=BB2057_98 Depth=2
	s_waitcnt lgkmcnt(0)
	v_bcnt_u32_b32 v37, v37, v178
	ds_store_b32 v180, v37
.LBB2057_152:                           ;   in Loop: Header=BB2057_98 Depth=2
	s_or_b32 exec_lo, exec_lo, s16
	v_cmp_lt_i16_e32 vcc_lo, -1, v43
	; wave barrier
	v_cndmask_b32_e64 v37, -1, 0xffff8000, vcc_lo
	s_delay_alu instid0(VALU_DEP_1) | instskip(NEXT) | instid1(VALU_DEP_1)
	v_xor_b32_e32 v177, v37, v43
	v_cmp_ne_u16_e64 vcc_lo, 0x7fff, v177
	v_cndmask_b32_e32 v37, 0xffff8000, v177, vcc_lo
	s_delay_alu instid0(VALU_DEP_1) | instskip(NEXT) | instid1(VALU_DEP_1)
	v_and_b32_e32 v37, 0xffff, v37
	v_lshrrev_b32_e32 v37, s48, v37
	s_delay_alu instid0(VALU_DEP_1) | instskip(NEXT) | instid1(VALU_DEP_1)
	v_and_b32_e32 v37, s55, v37
	v_and_b32_e32 v43, 1, v37
	v_lshlrev_b32_e32 v181, 30, v37
	v_lshlrev_b32_e32 v182, 29, v37
	;; [unrolled: 1-line block ×4, first 2 shown]
	v_add_co_u32 v43, s16, v43, -1
	s_delay_alu instid0(VALU_DEP_1)
	v_cndmask_b32_e64 v184, 0, 1, s16
	v_not_b32_e32 v188, v181
	v_cmp_gt_i32_e64 s16, 0, v181
	v_not_b32_e32 v181, v182
	v_lshlrev_b32_e32 v186, 26, v37
	v_cmp_ne_u32_e32 vcc_lo, 0, v184
	v_ashrrev_i32_e32 v188, 31, v188
	v_lshlrev_b32_e32 v187, 25, v37
	v_ashrrev_i32_e32 v181, 31, v181
	v_lshlrev_b32_e32 v184, 24, v37
	v_xor_b32_e32 v43, vcc_lo, v43
	v_cmp_gt_i32_e32 vcc_lo, 0, v182
	v_not_b32_e32 v182, v183
	v_xor_b32_e32 v188, s16, v188
	v_cmp_gt_i32_e64 s16, 0, v183
	v_and_b32_e32 v43, exec_lo, v43
	v_not_b32_e32 v183, v185
	v_ashrrev_i32_e32 v182, 31, v182
	v_xor_b32_e32 v181, vcc_lo, v181
	v_cmp_gt_i32_e32 vcc_lo, 0, v185
	v_and_b32_e32 v43, v43, v188
	v_not_b32_e32 v185, v186
	v_ashrrev_i32_e32 v183, 31, v183
	v_xor_b32_e32 v182, s16, v182
	v_cmp_gt_i32_e64 s16, 0, v186
	v_and_b32_e32 v43, v43, v181
	v_not_b32_e32 v181, v187
	v_ashrrev_i32_e32 v185, 31, v185
	v_xor_b32_e32 v183, vcc_lo, v183
	v_cmp_gt_i32_e32 vcc_lo, 0, v187
	v_and_b32_e32 v43, v43, v182
	v_not_b32_e32 v182, v184
	v_ashrrev_i32_e32 v181, 31, v181
	v_xor_b32_e32 v185, s16, v185
	v_mul_u32_u24_e32 v37, 9, v37
	v_and_b32_e32 v43, v43, v183
	v_cmp_gt_i32_e64 s16, 0, v184
	v_ashrrev_i32_e32 v182, 31, v182
	v_xor_b32_e32 v181, vcc_lo, v181
	v_add_lshl_u32 v184, v37, v126, 2
	v_and_b32_e32 v43, v43, v185
	s_delay_alu instid0(VALU_DEP_4) | instskip(SKIP_3) | instid1(VALU_DEP_2)
	v_xor_b32_e32 v37, s16, v182
	ds_load_b32 v182, v184 offset:1056
	v_and_b32_e32 v43, v43, v181
	v_add_nc_u32_e32 v184, 0x420, v184
	; wave barrier
	v_and_b32_e32 v37, v43, v37
	s_delay_alu instid0(VALU_DEP_1) | instskip(SKIP_1) | instid1(VALU_DEP_2)
	v_mbcnt_lo_u32_b32 v183, v37, 0
	v_cmp_ne_u32_e64 s16, 0, v37
	v_cmp_eq_u32_e32 vcc_lo, 0, v183
	s_delay_alu instid0(VALU_DEP_2) | instskip(NEXT) | instid1(SALU_CYCLE_1)
	s_and_b32 s17, s16, vcc_lo
	s_and_saveexec_b32 s16, s17
	s_cbranch_execz .LBB2057_154
; %bb.153:                              ;   in Loop: Header=BB2057_98 Depth=2
	s_waitcnt lgkmcnt(0)
	v_bcnt_u32_b32 v37, v37, v182
	ds_store_b32 v184, v37
.LBB2057_154:                           ;   in Loop: Header=BB2057_98 Depth=2
	s_or_b32 exec_lo, exec_lo, s16
	v_cmp_lt_i16_e32 vcc_lo, -1, v42
	; wave barrier
	v_cndmask_b32_e64 v37, -1, 0xffff8000, vcc_lo
	s_delay_alu instid0(VALU_DEP_1) | instskip(NEXT) | instid1(VALU_DEP_1)
	v_xor_b32_e32 v181, v37, v42
	v_cmp_ne_u16_e64 vcc_lo, 0x7fff, v181
	v_cndmask_b32_e32 v37, 0xffff8000, v181, vcc_lo
	s_delay_alu instid0(VALU_DEP_1) | instskip(NEXT) | instid1(VALU_DEP_1)
	v_and_b32_e32 v37, 0xffff, v37
	v_lshrrev_b32_e32 v37, s48, v37
	s_delay_alu instid0(VALU_DEP_1) | instskip(NEXT) | instid1(VALU_DEP_1)
	v_and_b32_e32 v37, s55, v37
	v_and_b32_e32 v42, 1, v37
	v_lshlrev_b32_e32 v43, 30, v37
	v_lshlrev_b32_e32 v185, 29, v37
	;; [unrolled: 1-line block ×4, first 2 shown]
	v_add_co_u32 v42, s16, v42, -1
	s_delay_alu instid0(VALU_DEP_1)
	v_cndmask_b32_e64 v187, 0, 1, s16
	v_not_b32_e32 v191, v43
	v_cmp_gt_i32_e64 s16, 0, v43
	v_not_b32_e32 v43, v185
	v_lshlrev_b32_e32 v189, 26, v37
	v_cmp_ne_u32_e32 vcc_lo, 0, v187
	v_ashrrev_i32_e32 v191, 31, v191
	v_lshlrev_b32_e32 v190, 25, v37
	v_ashrrev_i32_e32 v43, 31, v43
	v_lshlrev_b32_e32 v187, 24, v37
	v_xor_b32_e32 v42, vcc_lo, v42
	v_cmp_gt_i32_e32 vcc_lo, 0, v185
	v_not_b32_e32 v185, v186
	v_xor_b32_e32 v191, s16, v191
	v_cmp_gt_i32_e64 s16, 0, v186
	v_and_b32_e32 v42, exec_lo, v42
	v_not_b32_e32 v186, v188
	v_ashrrev_i32_e32 v185, 31, v185
	v_xor_b32_e32 v43, vcc_lo, v43
	v_cmp_gt_i32_e32 vcc_lo, 0, v188
	v_and_b32_e32 v42, v42, v191
	v_not_b32_e32 v188, v189
	v_ashrrev_i32_e32 v186, 31, v186
	v_xor_b32_e32 v185, s16, v185
	v_cmp_gt_i32_e64 s16, 0, v189
	v_and_b32_e32 v42, v42, v43
	v_not_b32_e32 v43, v190
	v_ashrrev_i32_e32 v188, 31, v188
	v_xor_b32_e32 v186, vcc_lo, v186
	v_cmp_gt_i32_e32 vcc_lo, 0, v190
	v_and_b32_e32 v42, v42, v185
	v_not_b32_e32 v185, v187
	v_ashrrev_i32_e32 v43, 31, v43
	v_xor_b32_e32 v188, s16, v188
	v_mul_u32_u24_e32 v37, 9, v37
	v_and_b32_e32 v42, v42, v186
	v_cmp_gt_i32_e64 s16, 0, v187
	v_ashrrev_i32_e32 v185, 31, v185
	v_xor_b32_e32 v43, vcc_lo, v43
	s_delay_alu instid0(VALU_DEP_4) | instskip(SKIP_1) | instid1(VALU_DEP_4)
	v_and_b32_e32 v42, v42, v188
	v_add_lshl_u32 v188, v37, v126, 2
	v_xor_b32_e32 v37, s16, v185
	s_delay_alu instid0(VALU_DEP_3) | instskip(SKIP_3) | instid1(VALU_DEP_1)
	v_and_b32_e32 v42, v42, v43
	ds_load_b32 v186, v188 offset:1056
	v_add_nc_u32_e32 v188, 0x420, v188
	; wave barrier
	v_and_b32_e32 v37, v42, v37
	v_mbcnt_lo_u32_b32 v187, v37, 0
	v_cmp_ne_u32_e64 s16, 0, v37
	s_delay_alu instid0(VALU_DEP_2) | instskip(NEXT) | instid1(VALU_DEP_2)
	v_cmp_eq_u32_e32 vcc_lo, 0, v187
	s_and_b32 s17, s16, vcc_lo
	s_delay_alu instid0(SALU_CYCLE_1)
	s_and_saveexec_b32 s16, s17
	s_cbranch_execz .LBB2057_156
; %bb.155:                              ;   in Loop: Header=BB2057_98 Depth=2
	s_waitcnt lgkmcnt(0)
	v_bcnt_u32_b32 v37, v37, v186
	ds_store_b32 v188, v37
.LBB2057_156:                           ;   in Loop: Header=BB2057_98 Depth=2
	s_or_b32 exec_lo, exec_lo, s16
	v_cmp_lt_i16_e32 vcc_lo, -1, v41
	; wave barrier
	v_cndmask_b32_e64 v37, -1, 0xffff8000, vcc_lo
	s_delay_alu instid0(VALU_DEP_1) | instskip(NEXT) | instid1(VALU_DEP_1)
	v_xor_b32_e32 v185, v37, v41
	v_cmp_ne_u16_e64 vcc_lo, 0x7fff, v185
	v_cndmask_b32_e32 v37, 0xffff8000, v185, vcc_lo
	s_delay_alu instid0(VALU_DEP_1) | instskip(NEXT) | instid1(VALU_DEP_1)
	v_and_b32_e32 v37, 0xffff, v37
	v_lshrrev_b32_e32 v37, s48, v37
	s_delay_alu instid0(VALU_DEP_1) | instskip(NEXT) | instid1(VALU_DEP_1)
	v_and_b32_e32 v37, s55, v37
	v_and_b32_e32 v41, 1, v37
	v_lshlrev_b32_e32 v42, 30, v37
	v_lshlrev_b32_e32 v43, 29, v37
	;; [unrolled: 1-line block ×4, first 2 shown]
	v_add_co_u32 v41, s16, v41, -1
	s_delay_alu instid0(VALU_DEP_1)
	v_cndmask_b32_e64 v190, 0, 1, s16
	v_not_b32_e32 v194, v42
	v_cmp_gt_i32_e64 s16, 0, v42
	v_not_b32_e32 v42, v43
	v_lshlrev_b32_e32 v192, 26, v37
	v_cmp_ne_u32_e32 vcc_lo, 0, v190
	v_ashrrev_i32_e32 v194, 31, v194
	v_lshlrev_b32_e32 v193, 25, v37
	v_ashrrev_i32_e32 v42, 31, v42
	v_lshlrev_b32_e32 v190, 24, v37
	v_xor_b32_e32 v41, vcc_lo, v41
	v_cmp_gt_i32_e32 vcc_lo, 0, v43
	v_not_b32_e32 v43, v189
	v_xor_b32_e32 v194, s16, v194
	v_cmp_gt_i32_e64 s16, 0, v189
	v_and_b32_e32 v41, exec_lo, v41
	v_not_b32_e32 v189, v191
	v_ashrrev_i32_e32 v43, 31, v43
	v_xor_b32_e32 v42, vcc_lo, v42
	v_cmp_gt_i32_e32 vcc_lo, 0, v191
	v_and_b32_e32 v41, v41, v194
	v_not_b32_e32 v191, v192
	v_ashrrev_i32_e32 v189, 31, v189
	v_xor_b32_e32 v43, s16, v43
	v_cmp_gt_i32_e64 s16, 0, v192
	v_and_b32_e32 v41, v41, v42
	v_not_b32_e32 v42, v193
	v_ashrrev_i32_e32 v191, 31, v191
	v_xor_b32_e32 v189, vcc_lo, v189
	v_cmp_gt_i32_e32 vcc_lo, 0, v193
	v_and_b32_e32 v41, v41, v43
	v_not_b32_e32 v43, v190
	v_ashrrev_i32_e32 v42, 31, v42
	v_xor_b32_e32 v191, s16, v191
	v_mul_u32_u24_e32 v37, 9, v37
	v_and_b32_e32 v41, v41, v189
	v_cmp_gt_i32_e64 s16, 0, v190
	v_ashrrev_i32_e32 v43, 31, v43
	v_xor_b32_e32 v42, vcc_lo, v42
	v_add_lshl_u32 v189, v37, v126, 2
	v_and_b32_e32 v41, v41, v191
	s_delay_alu instid0(VALU_DEP_4) | instskip(SKIP_3) | instid1(VALU_DEP_2)
	v_xor_b32_e32 v37, s16, v43
	ds_load_b32 v190, v189 offset:1056
	v_and_b32_e32 v41, v41, v42
	v_add_nc_u32_e32 v192, 0x420, v189
	; wave barrier
	v_and_b32_e32 v37, v41, v37
	s_delay_alu instid0(VALU_DEP_1) | instskip(SKIP_1) | instid1(VALU_DEP_2)
	v_mbcnt_lo_u32_b32 v191, v37, 0
	v_cmp_ne_u32_e64 s16, 0, v37
	v_cmp_eq_u32_e32 vcc_lo, 0, v191
	s_delay_alu instid0(VALU_DEP_2) | instskip(NEXT) | instid1(SALU_CYCLE_1)
	s_and_b32 s17, s16, vcc_lo
	s_and_saveexec_b32 s16, s17
	s_cbranch_execz .LBB2057_158
; %bb.157:                              ;   in Loop: Header=BB2057_98 Depth=2
	s_waitcnt lgkmcnt(0)
	v_bcnt_u32_b32 v37, v37, v190
	ds_store_b32 v192, v37
.LBB2057_158:                           ;   in Loop: Header=BB2057_98 Depth=2
	s_or_b32 exec_lo, exec_lo, s16
	v_cmp_lt_i16_e32 vcc_lo, -1, v40
	; wave barrier
	v_cndmask_b32_e64 v37, -1, 0xffff8000, vcc_lo
	s_delay_alu instid0(VALU_DEP_1) | instskip(NEXT) | instid1(VALU_DEP_1)
	v_xor_b32_e32 v189, v37, v40
	v_cmp_ne_u16_e64 vcc_lo, 0x7fff, v189
	v_cndmask_b32_e32 v37, 0xffff8000, v189, vcc_lo
	s_delay_alu instid0(VALU_DEP_1) | instskip(NEXT) | instid1(VALU_DEP_1)
	v_and_b32_e32 v37, 0xffff, v37
	v_lshrrev_b32_e32 v37, s48, v37
	s_delay_alu instid0(VALU_DEP_1) | instskip(NEXT) | instid1(VALU_DEP_1)
	v_and_b32_e32 v37, s55, v37
	v_and_b32_e32 v40, 1, v37
	v_lshlrev_b32_e32 v41, 30, v37
	v_lshlrev_b32_e32 v42, 29, v37
	;; [unrolled: 1-line block ×4, first 2 shown]
	v_add_co_u32 v40, s16, v40, -1
	s_delay_alu instid0(VALU_DEP_1)
	v_cndmask_b32_e64 v193, 0, 1, s16
	v_not_b32_e32 v197, v41
	v_cmp_gt_i32_e64 s16, 0, v41
	v_not_b32_e32 v41, v42
	v_lshlrev_b32_e32 v195, 26, v37
	v_cmp_ne_u32_e32 vcc_lo, 0, v193
	v_ashrrev_i32_e32 v197, 31, v197
	v_lshlrev_b32_e32 v196, 25, v37
	v_ashrrev_i32_e32 v41, 31, v41
	v_lshlrev_b32_e32 v193, 24, v37
	v_xor_b32_e32 v40, vcc_lo, v40
	v_cmp_gt_i32_e32 vcc_lo, 0, v42
	v_not_b32_e32 v42, v43
	v_xor_b32_e32 v197, s16, v197
	v_cmp_gt_i32_e64 s16, 0, v43
	v_and_b32_e32 v40, exec_lo, v40
	v_not_b32_e32 v43, v194
	v_ashrrev_i32_e32 v42, 31, v42
	v_xor_b32_e32 v41, vcc_lo, v41
	v_cmp_gt_i32_e32 vcc_lo, 0, v194
	v_and_b32_e32 v40, v40, v197
	v_not_b32_e32 v194, v195
	v_ashrrev_i32_e32 v43, 31, v43
	v_xor_b32_e32 v42, s16, v42
	v_cmp_gt_i32_e64 s16, 0, v195
	v_and_b32_e32 v40, v40, v41
	v_not_b32_e32 v41, v196
	v_ashrrev_i32_e32 v194, 31, v194
	v_xor_b32_e32 v43, vcc_lo, v43
	v_cmp_gt_i32_e32 vcc_lo, 0, v196
	v_and_b32_e32 v40, v40, v42
	v_not_b32_e32 v42, v193
	v_ashrrev_i32_e32 v41, 31, v41
	v_xor_b32_e32 v194, s16, v194
	v_mul_u32_u24_e32 v37, 9, v37
	v_and_b32_e32 v40, v40, v43
	v_cmp_gt_i32_e64 s16, 0, v193
	v_ashrrev_i32_e32 v42, 31, v42
	v_xor_b32_e32 v41, vcc_lo, v41
	v_add_lshl_u32 v43, v37, v126, 2
	v_and_b32_e32 v40, v40, v194
	s_delay_alu instid0(VALU_DEP_4) | instskip(SKIP_3) | instid1(VALU_DEP_2)
	v_xor_b32_e32 v37, s16, v42
	ds_load_b32 v194, v43 offset:1056
	v_and_b32_e32 v40, v40, v41
	v_add_nc_u32_e32 v196, 0x420, v43
	; wave barrier
	v_and_b32_e32 v37, v40, v37
	s_delay_alu instid0(VALU_DEP_1) | instskip(SKIP_1) | instid1(VALU_DEP_2)
	v_mbcnt_lo_u32_b32 v195, v37, 0
	v_cmp_ne_u32_e64 s16, 0, v37
	v_cmp_eq_u32_e32 vcc_lo, 0, v195
	s_delay_alu instid0(VALU_DEP_2) | instskip(NEXT) | instid1(SALU_CYCLE_1)
	s_and_b32 s17, s16, vcc_lo
	s_and_saveexec_b32 s16, s17
	s_cbranch_execz .LBB2057_160
; %bb.159:                              ;   in Loop: Header=BB2057_98 Depth=2
	s_waitcnt lgkmcnt(0)
	v_bcnt_u32_b32 v37, v37, v194
	ds_store_b32 v196, v37
.LBB2057_160:                           ;   in Loop: Header=BB2057_98 Depth=2
	s_or_b32 exec_lo, exec_lo, s16
	v_cmp_lt_i16_e32 vcc_lo, -1, v39
	; wave barrier
	v_cndmask_b32_e64 v37, -1, 0xffff8000, vcc_lo
	s_delay_alu instid0(VALU_DEP_1) | instskip(NEXT) | instid1(VALU_DEP_1)
	v_xor_b32_e32 v193, v37, v39
	v_cmp_ne_u16_e64 vcc_lo, 0x7fff, v193
	v_cndmask_b32_e32 v37, 0xffff8000, v193, vcc_lo
	s_delay_alu instid0(VALU_DEP_1) | instskip(NEXT) | instid1(VALU_DEP_1)
	v_and_b32_e32 v37, 0xffff, v37
	v_lshrrev_b32_e32 v37, s48, v37
	s_delay_alu instid0(VALU_DEP_1) | instskip(NEXT) | instid1(VALU_DEP_1)
	v_and_b32_e32 v37, s55, v37
	v_and_b32_e32 v39, 1, v37
	v_lshlrev_b32_e32 v40, 30, v37
	v_lshlrev_b32_e32 v41, 29, v37
	;; [unrolled: 1-line block ×4, first 2 shown]
	v_add_co_u32 v39, s16, v39, -1
	s_delay_alu instid0(VALU_DEP_1)
	v_cndmask_b32_e64 v43, 0, 1, s16
	v_not_b32_e32 v200, v40
	v_cmp_gt_i32_e64 s16, 0, v40
	v_not_b32_e32 v40, v41
	v_lshlrev_b32_e32 v198, 26, v37
	v_cmp_ne_u32_e32 vcc_lo, 0, v43
	v_ashrrev_i32_e32 v200, 31, v200
	v_lshlrev_b32_e32 v199, 25, v37
	v_ashrrev_i32_e32 v40, 31, v40
	v_lshlrev_b32_e32 v43, 24, v37
	v_xor_b32_e32 v39, vcc_lo, v39
	v_cmp_gt_i32_e32 vcc_lo, 0, v41
	v_not_b32_e32 v41, v42
	v_xor_b32_e32 v200, s16, v200
	v_cmp_gt_i32_e64 s16, 0, v42
	v_and_b32_e32 v39, exec_lo, v39
	v_not_b32_e32 v42, v197
	v_ashrrev_i32_e32 v41, 31, v41
	v_xor_b32_e32 v40, vcc_lo, v40
	v_cmp_gt_i32_e32 vcc_lo, 0, v197
	v_and_b32_e32 v39, v39, v200
	v_not_b32_e32 v197, v198
	v_ashrrev_i32_e32 v42, 31, v42
	v_xor_b32_e32 v41, s16, v41
	v_cmp_gt_i32_e64 s16, 0, v198
	v_and_b32_e32 v39, v39, v40
	v_not_b32_e32 v40, v199
	v_ashrrev_i32_e32 v197, 31, v197
	v_xor_b32_e32 v42, vcc_lo, v42
	v_cmp_gt_i32_e32 vcc_lo, 0, v199
	v_and_b32_e32 v39, v39, v41
	v_not_b32_e32 v41, v43
	v_ashrrev_i32_e32 v40, 31, v40
	v_xor_b32_e32 v197, s16, v197
	v_mul_u32_u24_e32 v37, 9, v37
	v_and_b32_e32 v39, v39, v42
	v_cmp_gt_i32_e64 s16, 0, v43
	v_ashrrev_i32_e32 v41, 31, v41
	v_xor_b32_e32 v40, vcc_lo, v40
	v_add_lshl_u32 v42, v37, v126, 2
	v_and_b32_e32 v39, v39, v197
	s_delay_alu instid0(VALU_DEP_4) | instskip(SKIP_3) | instid1(VALU_DEP_2)
	v_xor_b32_e32 v37, s16, v41
	ds_load_b32 v198, v42 offset:1056
	v_and_b32_e32 v39, v39, v40
	v_add_nc_u32_e32 v200, 0x420, v42
	; wave barrier
	v_and_b32_e32 v37, v39, v37
	s_delay_alu instid0(VALU_DEP_1) | instskip(SKIP_1) | instid1(VALU_DEP_2)
	v_mbcnt_lo_u32_b32 v199, v37, 0
	v_cmp_ne_u32_e64 s16, 0, v37
	v_cmp_eq_u32_e32 vcc_lo, 0, v199
	s_delay_alu instid0(VALU_DEP_2) | instskip(NEXT) | instid1(SALU_CYCLE_1)
	s_and_b32 s17, s16, vcc_lo
	s_and_saveexec_b32 s16, s17
	s_cbranch_execz .LBB2057_162
; %bb.161:                              ;   in Loop: Header=BB2057_98 Depth=2
	s_waitcnt lgkmcnt(0)
	v_bcnt_u32_b32 v37, v37, v198
	ds_store_b32 v200, v37
.LBB2057_162:                           ;   in Loop: Header=BB2057_98 Depth=2
	s_or_b32 exec_lo, exec_lo, s16
	v_cmp_lt_i16_e32 vcc_lo, -1, v38
	; wave barrier
	v_cndmask_b32_e64 v37, -1, 0xffff8000, vcc_lo
	s_delay_alu instid0(VALU_DEP_1) | instskip(NEXT) | instid1(VALU_DEP_1)
	v_xor_b32_e32 v197, v37, v38
	v_cmp_ne_u16_e64 vcc_lo, 0x7fff, v197
	v_cndmask_b32_e32 v37, 0xffff8000, v197, vcc_lo
	s_delay_alu instid0(VALU_DEP_1) | instskip(NEXT) | instid1(VALU_DEP_1)
	v_and_b32_e32 v37, 0xffff, v37
	v_lshrrev_b32_e32 v37, s48, v37
	s_delay_alu instid0(VALU_DEP_1) | instskip(NEXT) | instid1(VALU_DEP_1)
	v_and_b32_e32 v37, s55, v37
	v_and_b32_e32 v38, 1, v37
	v_lshlrev_b32_e32 v39, 30, v37
	v_lshlrev_b32_e32 v40, 29, v37
	;; [unrolled: 1-line block ×4, first 2 shown]
	v_add_co_u32 v38, s16, v38, -1
	s_delay_alu instid0(VALU_DEP_1)
	v_cndmask_b32_e64 v42, 0, 1, s16
	v_not_b32_e32 v203, v39
	v_cmp_gt_i32_e64 s16, 0, v39
	v_not_b32_e32 v39, v40
	v_lshlrev_b32_e32 v201, 26, v37
	v_cmp_ne_u32_e32 vcc_lo, 0, v42
	v_ashrrev_i32_e32 v203, 31, v203
	v_lshlrev_b32_e32 v202, 25, v37
	v_ashrrev_i32_e32 v39, 31, v39
	v_lshlrev_b32_e32 v42, 24, v37
	v_xor_b32_e32 v38, vcc_lo, v38
	v_cmp_gt_i32_e32 vcc_lo, 0, v40
	v_not_b32_e32 v40, v41
	v_xor_b32_e32 v203, s16, v203
	v_cmp_gt_i32_e64 s16, 0, v41
	v_and_b32_e32 v38, exec_lo, v38
	v_not_b32_e32 v41, v43
	v_ashrrev_i32_e32 v40, 31, v40
	v_xor_b32_e32 v39, vcc_lo, v39
	v_cmp_gt_i32_e32 vcc_lo, 0, v43
	v_and_b32_e32 v38, v38, v203
	v_not_b32_e32 v43, v201
	v_ashrrev_i32_e32 v41, 31, v41
	v_xor_b32_e32 v40, s16, v40
	v_cmp_gt_i32_e64 s16, 0, v201
	v_and_b32_e32 v38, v38, v39
	v_not_b32_e32 v39, v202
	v_ashrrev_i32_e32 v43, 31, v43
	v_xor_b32_e32 v41, vcc_lo, v41
	v_cmp_gt_i32_e32 vcc_lo, 0, v202
	v_and_b32_e32 v38, v38, v40
	v_not_b32_e32 v40, v42
	v_ashrrev_i32_e32 v39, 31, v39
	v_xor_b32_e32 v43, s16, v43
	v_mul_u32_u24_e32 v37, 9, v37
	v_and_b32_e32 v38, v38, v41
	v_cmp_gt_i32_e64 s16, 0, v42
	v_ashrrev_i32_e32 v40, 31, v40
	v_xor_b32_e32 v39, vcc_lo, v39
	v_add_lshl_u32 v41, v37, v126, 2
	v_and_b32_e32 v38, v38, v43
	s_delay_alu instid0(VALU_DEP_4) | instskip(SKIP_3) | instid1(VALU_DEP_2)
	v_xor_b32_e32 v37, s16, v40
	ds_load_b32 v202, v41 offset:1056
	v_and_b32_e32 v38, v38, v39
	v_add_nc_u32_e32 v204, 0x420, v41
	; wave barrier
	v_and_b32_e32 v37, v38, v37
	s_delay_alu instid0(VALU_DEP_1) | instskip(SKIP_1) | instid1(VALU_DEP_2)
	v_mbcnt_lo_u32_b32 v203, v37, 0
	v_cmp_ne_u32_e64 s16, 0, v37
	v_cmp_eq_u32_e32 vcc_lo, 0, v203
	s_delay_alu instid0(VALU_DEP_2) | instskip(NEXT) | instid1(SALU_CYCLE_1)
	s_and_b32 s17, s16, vcc_lo
	s_and_saveexec_b32 s16, s17
	s_cbranch_execz .LBB2057_164
; %bb.163:                              ;   in Loop: Header=BB2057_98 Depth=2
	s_waitcnt lgkmcnt(0)
	v_bcnt_u32_b32 v37, v37, v202
	ds_store_b32 v204, v37
.LBB2057_164:                           ;   in Loop: Header=BB2057_98 Depth=2
	s_or_b32 exec_lo, exec_lo, s16
	v_cmp_lt_i16_e32 vcc_lo, -1, v36
	; wave barrier
	v_cndmask_b32_e64 v37, -1, 0xffff8000, vcc_lo
	s_delay_alu instid0(VALU_DEP_1) | instskip(NEXT) | instid1(VALU_DEP_1)
	v_xor_b32_e32 v201, v37, v36
	v_cmp_ne_u16_e64 vcc_lo, 0x7fff, v201
	v_cndmask_b32_e32 v36, 0xffff8000, v201, vcc_lo
	s_delay_alu instid0(VALU_DEP_1) | instskip(NEXT) | instid1(VALU_DEP_1)
	v_and_b32_e32 v36, 0xffff, v36
	v_lshrrev_b32_e32 v36, s48, v36
	s_delay_alu instid0(VALU_DEP_1) | instskip(NEXT) | instid1(VALU_DEP_1)
	v_and_b32_e32 v36, s55, v36
	v_and_b32_e32 v37, 1, v36
	v_lshlrev_b32_e32 v38, 30, v36
	v_lshlrev_b32_e32 v39, 29, v36
	;; [unrolled: 1-line block ×4, first 2 shown]
	v_add_co_u32 v37, s16, v37, -1
	s_delay_alu instid0(VALU_DEP_1)
	v_cndmask_b32_e64 v41, 0, 1, s16
	v_not_b32_e32 v206, v38
	v_cmp_gt_i32_e64 s16, 0, v38
	v_not_b32_e32 v38, v39
	v_lshlrev_b32_e32 v43, 26, v36
	v_cmp_ne_u32_e32 vcc_lo, 0, v41
	v_ashrrev_i32_e32 v206, 31, v206
	v_lshlrev_b32_e32 v205, 25, v36
	v_ashrrev_i32_e32 v38, 31, v38
	v_lshlrev_b32_e32 v41, 24, v36
	v_xor_b32_e32 v37, vcc_lo, v37
	v_cmp_gt_i32_e32 vcc_lo, 0, v39
	v_not_b32_e32 v39, v40
	v_xor_b32_e32 v206, s16, v206
	v_cmp_gt_i32_e64 s16, 0, v40
	v_and_b32_e32 v37, exec_lo, v37
	v_not_b32_e32 v40, v42
	v_ashrrev_i32_e32 v39, 31, v39
	v_xor_b32_e32 v38, vcc_lo, v38
	v_cmp_gt_i32_e32 vcc_lo, 0, v42
	v_and_b32_e32 v37, v37, v206
	v_not_b32_e32 v42, v43
	v_ashrrev_i32_e32 v40, 31, v40
	v_xor_b32_e32 v39, s16, v39
	v_cmp_gt_i32_e64 s16, 0, v43
	v_and_b32_e32 v37, v37, v38
	v_not_b32_e32 v38, v205
	v_ashrrev_i32_e32 v42, 31, v42
	v_xor_b32_e32 v40, vcc_lo, v40
	v_cmp_gt_i32_e32 vcc_lo, 0, v205
	v_and_b32_e32 v37, v37, v39
	v_not_b32_e32 v39, v41
	v_ashrrev_i32_e32 v38, 31, v38
	v_xor_b32_e32 v42, s16, v42
	v_mul_u32_u24_e32 v36, 9, v36
	v_and_b32_e32 v37, v37, v40
	v_cmp_gt_i32_e64 s16, 0, v41
	v_ashrrev_i32_e32 v39, 31, v39
	v_xor_b32_e32 v38, vcc_lo, v38
	v_add_lshl_u32 v40, v36, v126, 2
	v_and_b32_e32 v37, v37, v42
	s_delay_alu instid0(VALU_DEP_4) | instskip(SKIP_3) | instid1(VALU_DEP_2)
	v_xor_b32_e32 v36, s16, v39
	ds_load_b32 v205, v40 offset:1056
	v_and_b32_e32 v37, v37, v38
	v_add_nc_u32_e32 v207, 0x420, v40
	; wave barrier
	v_and_b32_e32 v36, v37, v36
	s_delay_alu instid0(VALU_DEP_1) | instskip(SKIP_1) | instid1(VALU_DEP_2)
	v_mbcnt_lo_u32_b32 v206, v36, 0
	v_cmp_ne_u32_e64 s16, 0, v36
	v_cmp_eq_u32_e32 vcc_lo, 0, v206
	s_delay_alu instid0(VALU_DEP_2) | instskip(NEXT) | instid1(SALU_CYCLE_1)
	s_and_b32 s17, s16, vcc_lo
	s_and_saveexec_b32 s16, s17
	s_cbranch_execz .LBB2057_166
; %bb.165:                              ;   in Loop: Header=BB2057_98 Depth=2
	s_waitcnt lgkmcnt(0)
	v_bcnt_u32_b32 v36, v36, v205
	ds_store_b32 v207, v36
.LBB2057_166:                           ;   in Loop: Header=BB2057_98 Depth=2
	s_or_b32 exec_lo, exec_lo, s16
	; wave barrier
	s_waitcnt lgkmcnt(0)
	s_barrier
	buffer_gl0_inv
	ds_load_b32 v208, v69 offset:1056
	ds_load_2addr_b32 v[42:43], v71 offset0:1 offset1:2
	ds_load_2addr_b32 v[40:41], v71 offset0:3 offset1:4
	;; [unrolled: 1-line block ×4, first 2 shown]
	s_waitcnt lgkmcnt(3)
	v_add3_u32 v209, v42, v208, v43
	s_waitcnt lgkmcnt(2)
	s_delay_alu instid0(VALU_DEP_1) | instskip(SKIP_1) | instid1(VALU_DEP_1)
	v_add3_u32 v209, v209, v40, v41
	s_waitcnt lgkmcnt(1)
	v_add3_u32 v209, v209, v36, v37
	s_waitcnt lgkmcnt(0)
	s_delay_alu instid0(VALU_DEP_1) | instskip(NEXT) | instid1(VALU_DEP_1)
	v_add3_u32 v39, v209, v38, v39
	v_mov_b32_dpp v209, v39 row_shr:1 row_mask:0xf bank_mask:0xf
	s_delay_alu instid0(VALU_DEP_1) | instskip(NEXT) | instid1(VALU_DEP_1)
	v_cndmask_b32_e64 v209, v209, 0, s0
	v_add_nc_u32_e32 v39, v209, v39
	s_delay_alu instid0(VALU_DEP_1) | instskip(NEXT) | instid1(VALU_DEP_1)
	v_mov_b32_dpp v209, v39 row_shr:2 row_mask:0xf bank_mask:0xf
	v_cndmask_b32_e64 v209, 0, v209, s1
	s_delay_alu instid0(VALU_DEP_1) | instskip(NEXT) | instid1(VALU_DEP_1)
	v_add_nc_u32_e32 v39, v39, v209
	v_mov_b32_dpp v209, v39 row_shr:4 row_mask:0xf bank_mask:0xf
	s_delay_alu instid0(VALU_DEP_1) | instskip(NEXT) | instid1(VALU_DEP_1)
	v_cndmask_b32_e64 v209, 0, v209, s8
	v_add_nc_u32_e32 v39, v39, v209
	s_delay_alu instid0(VALU_DEP_1) | instskip(NEXT) | instid1(VALU_DEP_1)
	v_mov_b32_dpp v209, v39 row_shr:8 row_mask:0xf bank_mask:0xf
	v_cndmask_b32_e64 v209, 0, v209, s9
	s_delay_alu instid0(VALU_DEP_1) | instskip(SKIP_3) | instid1(VALU_DEP_1)
	v_add_nc_u32_e32 v39, v39, v209
	ds_swizzle_b32 v209, v39 offset:swizzle(BROADCAST,32,15)
	s_waitcnt lgkmcnt(0)
	v_cndmask_b32_e64 v209, v209, 0, s10
	v_add_nc_u32_e32 v39, v39, v209
	s_and_saveexec_b32 s16, s3
	s_cbranch_execz .LBB2057_168
; %bb.167:                              ;   in Loop: Header=BB2057_98 Depth=2
	ds_store_b32 v62, v39 offset:1024
.LBB2057_168:                           ;   in Loop: Header=BB2057_98 Depth=2
	s_or_b32 exec_lo, exec_lo, s16
	s_waitcnt lgkmcnt(0)
	s_barrier
	buffer_gl0_inv
	s_and_saveexec_b32 s16, s4
	s_cbranch_execz .LBB2057_170
; %bb.169:                              ;   in Loop: Header=BB2057_98 Depth=2
	ds_load_b32 v209, v72 offset:1024
	s_waitcnt lgkmcnt(0)
	v_mov_b32_dpp v210, v209 row_shr:1 row_mask:0xf bank_mask:0xf
	s_delay_alu instid0(VALU_DEP_1) | instskip(NEXT) | instid1(VALU_DEP_1)
	v_cndmask_b32_e64 v210, v210, 0, s12
	v_add_nc_u32_e32 v209, v210, v209
	s_delay_alu instid0(VALU_DEP_1) | instskip(NEXT) | instid1(VALU_DEP_1)
	v_mov_b32_dpp v210, v209 row_shr:2 row_mask:0xf bank_mask:0xf
	v_cndmask_b32_e64 v210, 0, v210, s13
	s_delay_alu instid0(VALU_DEP_1) | instskip(NEXT) | instid1(VALU_DEP_1)
	v_add_nc_u32_e32 v209, v209, v210
	v_mov_b32_dpp v210, v209 row_shr:4 row_mask:0xf bank_mask:0xf
	s_delay_alu instid0(VALU_DEP_1) | instskip(NEXT) | instid1(VALU_DEP_1)
	v_cndmask_b32_e64 v210, 0, v210, s14
	v_add_nc_u32_e32 v209, v209, v210
	ds_store_b32 v72, v209 offset:1024
.LBB2057_170:                           ;   in Loop: Header=BB2057_98 Depth=2
	s_or_b32 exec_lo, exec_lo, s16
	v_mov_b32_e32 v209, 0
	s_waitcnt lgkmcnt(0)
	s_barrier
	buffer_gl0_inv
	s_and_saveexec_b32 s16, s5
	s_cbranch_execz .LBB2057_172
; %bb.171:                              ;   in Loop: Header=BB2057_98 Depth=2
	ds_load_b32 v209, v62 offset:1020
.LBB2057_172:                           ;   in Loop: Header=BB2057_98 Depth=2
	s_or_b32 exec_lo, exec_lo, s16
	s_waitcnt lgkmcnt(0)
	v_add_nc_u32_e32 v39, v209, v39
	ds_bpermute_b32 v39, v105, v39
	s_waitcnt lgkmcnt(0)
	v_cndmask_b32_e64 v39, v39, v209, s11
	s_delay_alu instid0(VALU_DEP_1) | instskip(NEXT) | instid1(VALU_DEP_1)
	v_cndmask_b32_e64 v39, v39, 0, s6
	v_add_nc_u32_e32 v208, v39, v208
	s_delay_alu instid0(VALU_DEP_1) | instskip(NEXT) | instid1(VALU_DEP_1)
	v_add_nc_u32_e32 v42, v208, v42
	v_add_nc_u32_e32 v43, v42, v43
	s_delay_alu instid0(VALU_DEP_1) | instskip(NEXT) | instid1(VALU_DEP_1)
	v_add_nc_u32_e32 v40, v43, v40
	v_add_nc_u32_e32 v41, v40, v41
	s_delay_alu instid0(VALU_DEP_1) | instskip(NEXT) | instid1(VALU_DEP_1)
	v_add_nc_u32_e32 v36, v41, v36
	v_add_nc_u32_e32 v37, v36, v37
	s_delay_alu instid0(VALU_DEP_1)
	v_add_nc_u32_e32 v38, v37, v38
	ds_store_b32 v69, v39 offset:1056
	ds_store_2addr_b32 v71, v208, v42 offset0:1 offset1:2
	ds_store_2addr_b32 v71, v43, v40 offset0:3 offset1:4
	;; [unrolled: 1-line block ×4, first 2 shown]
	v_mov_b32_e32 v38, 0x1000
	s_waitcnt lgkmcnt(0)
	s_barrier
	buffer_gl0_inv
	ds_load_b32 v39, v152
	ds_load_b32 v40, v156
	;; [unrolled: 1-line block ×16, first 2 shown]
	ds_load_b32 v156, v69 offset:1056
	s_and_saveexec_b32 s16, s7
	s_cbranch_execz .LBB2057_174
; %bb.173:                              ;   in Loop: Header=BB2057_98 Depth=2
	ds_load_b32 v38, v73 offset:1056
.LBB2057_174:                           ;   in Loop: Header=BB2057_98 Depth=2
	s_or_b32 exec_lo, exec_lo, s16
	s_waitcnt lgkmcnt(0)
	s_barrier
	buffer_gl0_inv
	s_and_saveexec_b32 s16, s2
	s_cbranch_execz .LBB2057_176
; %bb.175:                              ;   in Loop: Header=BB2057_98 Depth=2
	ds_load_b32 v160, v44
	s_waitcnt lgkmcnt(0)
	v_sub_nc_u32_e32 v156, v160, v156
	ds_store_b32 v44, v156
.LBB2057_176:                           ;   in Loop: Header=BB2057_98 Depth=2
	s_or_b32 exec_lo, exec_lo, s16
	v_add_nc_u32_e32 v168, v148, v147
	v_add3_u32 v164, v151, v150, v39
	v_add3_u32 v160, v155, v154, v40
	;; [unrolled: 1-line block ×5, first 2 shown]
	v_lshlrev_b32_e32 v158, 1, v168
	v_add3_u32 v43, v199, v198, v36
	v_lshlrev_b32_e32 v36, 1, v164
	v_add3_u32 v152, v172, v171, v173
	v_add3_u32 v151, v175, v174, v176
	ds_store_b16 v158, v2 offset:1024
	v_lshlrev_b32_e32 v2, 1, v160
	ds_store_b16 v36, v146 offset:1024
	v_lshlrev_b32_e32 v36, 1, v154
	v_add3_u32 v150, v179, v178, v180
	v_add3_u32 v42, v203, v202, v37
	v_lshlrev_b32_e32 v37, 1, v156
	v_add3_u32 v148, v183, v182, v184
	v_lshlrev_b32_e32 v158, 1, v155
	v_add3_u32 v147, v187, v186, v188
	v_add3_u32 v40, v191, v190, v192
	ds_store_b16 v2, v149 offset:1024
	ds_store_b16 v37, v153 offset:1024
	;; [unrolled: 1-line block ×3, first 2 shown]
	v_lshlrev_b32_e32 v2, 1, v152
	ds_store_b16 v36, v161 offset:1024
	v_lshlrev_b32_e32 v36, 1, v151
	v_lshlrev_b32_e32 v37, 1, v150
	;; [unrolled: 1-line block ×3, first 2 shown]
	v_add3_u32 v39, v195, v194, v196
	v_add3_u32 v41, v206, v205, v41
	ds_store_b16 v2, v165 offset:1024
	v_lshlrev_b32_e32 v2, 1, v147
	ds_store_b16 v36, v170 offset:1024
	ds_store_b16 v37, v169 offset:1024
	;; [unrolled: 1-line block ×3, first 2 shown]
	v_lshlrev_b32_e32 v36, 1, v40
	v_cmp_lt_u32_e32 vcc_lo, v1, v145
	v_lshlrev_b32_e32 v37, 1, v43
	ds_store_b16 v2, v181 offset:1024
	v_lshlrev_b32_e32 v2, 1, v39
	ds_store_b16 v36, v185 offset:1024
	v_lshlrev_b32_e32 v36, 1, v41
	v_lshlrev_b32_e32 v146, 1, v42
	ds_store_b16 v2, v189 offset:1024
	ds_store_b16 v37, v193 offset:1024
	;; [unrolled: 1-line block ×4, first 2 shown]
	s_waitcnt lgkmcnt(0)
	s_barrier
	buffer_gl0_inv
	s_and_saveexec_b32 s17, vcc_lo
	s_cbranch_execz .LBB2057_192
; %bb.177:                              ;   in Loop: Header=BB2057_98 Depth=2
	v_add_nc_u32_e32 v2, v72, v78
	ds_load_u16 v146, v2 offset:1024
	s_waitcnt lgkmcnt(0)
	v_cmp_ne_u16_e64 s16, 0x7fff, v146
	s_delay_alu instid0(VALU_DEP_1) | instskip(SKIP_1) | instid1(VALU_DEP_2)
	v_cndmask_b32_e64 v2, 0xffff8000, v146, s16
	v_cmp_lt_i16_e64 s16, -1, v146
	v_and_b32_e32 v2, 0xffff, v2
	s_delay_alu instid0(VALU_DEP_2) | instskip(NEXT) | instid1(VALU_DEP_2)
	v_cndmask_b32_e64 v149, 0xffff8000, -1, s16
	v_lshrrev_b32_e32 v2, s48, v2
	s_delay_alu instid0(VALU_DEP_1) | instskip(NEXT) | instid1(VALU_DEP_1)
	v_and_b32_e32 v2, s55, v2
	v_lshlrev_b32_e32 v2, 2, v2
	ds_load_b32 v2, v2
	s_waitcnt lgkmcnt(0)
	v_add_nc_u32_e32 v2, v2, v1
	s_delay_alu instid0(VALU_DEP_1) | instskip(SKIP_1) | instid1(VALU_DEP_2)
	v_lshlrev_b64 v[36:37], 1, v[2:3]
	v_xor_b32_e32 v2, v149, v146
	v_add_co_u32 v36, s16, s38, v36
	s_delay_alu instid0(VALU_DEP_1) | instskip(SKIP_3) | instid1(VALU_DEP_1)
	v_add_co_ci_u32_e64 v37, s16, s39, v37, s16
	global_store_b16 v[36:37], v2, off
	s_or_b32 exec_lo, exec_lo, s17
	v_cmp_lt_u32_e64 s16, v45, v145
	s_and_saveexec_b32 s18, s16
	s_cbranch_execnz .LBB2057_193
.LBB2057_178:                           ;   in Loop: Header=BB2057_98 Depth=2
	s_or_b32 exec_lo, exec_lo, s18
	v_cmp_lt_u32_e64 s17, v46, v145
	s_delay_alu instid0(VALU_DEP_1)
	s_and_saveexec_b32 s19, s17
	s_cbranch_execz .LBB2057_194
.LBB2057_179:                           ;   in Loop: Header=BB2057_98 Depth=2
	ds_load_u16 v146, v79 offset:1024
	s_waitcnt lgkmcnt(0)
	v_cmp_ne_u16_e64 s18, 0x7fff, v146
	s_delay_alu instid0(VALU_DEP_1) | instskip(SKIP_1) | instid1(VALU_DEP_2)
	v_cndmask_b32_e64 v2, 0xffff8000, v146, s18
	v_cmp_lt_i16_e64 s18, -1, v146
	v_and_b32_e32 v2, 0xffff, v2
	s_delay_alu instid0(VALU_DEP_2) | instskip(NEXT) | instid1(VALU_DEP_2)
	v_cndmask_b32_e64 v149, 0xffff8000, -1, s18
	v_lshrrev_b32_e32 v2, s48, v2
	s_delay_alu instid0(VALU_DEP_1) | instskip(NEXT) | instid1(VALU_DEP_1)
	v_and_b32_e32 v2, s55, v2
	v_lshlrev_b32_e32 v2, 2, v2
	ds_load_b32 v2, v2
	s_waitcnt lgkmcnt(0)
	v_add_nc_u32_e32 v2, v2, v46
	s_delay_alu instid0(VALU_DEP_1) | instskip(SKIP_1) | instid1(VALU_DEP_2)
	v_lshlrev_b64 v[36:37], 1, v[2:3]
	v_xor_b32_e32 v2, v149, v146
	v_add_co_u32 v36, s18, s38, v36
	s_delay_alu instid0(VALU_DEP_1) | instskip(SKIP_3) | instid1(VALU_DEP_1)
	v_add_co_ci_u32_e64 v37, s18, s39, v37, s18
	global_store_b16 v[36:37], v2, off
	s_or_b32 exec_lo, exec_lo, s19
	v_cmp_lt_u32_e64 s18, v47, v145
	s_and_saveexec_b32 s20, s18
	s_cbranch_execnz .LBB2057_195
.LBB2057_180:                           ;   in Loop: Header=BB2057_98 Depth=2
	s_or_b32 exec_lo, exec_lo, s20
	v_cmp_lt_u32_e64 s19, v51, v145
	s_delay_alu instid0(VALU_DEP_1)
	s_and_saveexec_b32 s21, s19
	s_cbranch_execz .LBB2057_196
.LBB2057_181:                           ;   in Loop: Header=BB2057_98 Depth=2
	ds_load_u16 v146, v79 offset:2048
	s_waitcnt lgkmcnt(0)
	v_cmp_ne_u16_e64 s20, 0x7fff, v146
	s_delay_alu instid0(VALU_DEP_1) | instskip(SKIP_1) | instid1(VALU_DEP_2)
	v_cndmask_b32_e64 v2, 0xffff8000, v146, s20
	v_cmp_lt_i16_e64 s20, -1, v146
	v_and_b32_e32 v2, 0xffff, v2
	s_delay_alu instid0(VALU_DEP_2) | instskip(NEXT) | instid1(VALU_DEP_2)
	v_cndmask_b32_e64 v149, 0xffff8000, -1, s20
	v_lshrrev_b32_e32 v2, s48, v2
	s_delay_alu instid0(VALU_DEP_1) | instskip(NEXT) | instid1(VALU_DEP_1)
	v_and_b32_e32 v2, s55, v2
	v_lshlrev_b32_e32 v2, 2, v2
	ds_load_b32 v2, v2
	s_waitcnt lgkmcnt(0)
	v_add_nc_u32_e32 v2, v2, v51
	s_delay_alu instid0(VALU_DEP_1) | instskip(SKIP_1) | instid1(VALU_DEP_2)
	v_lshlrev_b64 v[36:37], 1, v[2:3]
	v_xor_b32_e32 v2, v149, v146
	v_add_co_u32 v36, s20, s38, v36
	s_delay_alu instid0(VALU_DEP_1) | instskip(SKIP_3) | instid1(VALU_DEP_1)
	v_add_co_ci_u32_e64 v37, s20, s39, v37, s20
	global_store_b16 v[36:37], v2, off
	s_or_b32 exec_lo, exec_lo, s21
	v_cmp_lt_u32_e64 s20, v52, v145
	s_and_saveexec_b32 s22, s20
	s_cbranch_execnz .LBB2057_197
.LBB2057_182:                           ;   in Loop: Header=BB2057_98 Depth=2
	s_or_b32 exec_lo, exec_lo, s22
	v_cmp_lt_u32_e64 s21, v53, v145
	s_delay_alu instid0(VALU_DEP_1)
	s_and_saveexec_b32 s23, s21
	s_cbranch_execz .LBB2057_198
.LBB2057_183:                           ;   in Loop: Header=BB2057_98 Depth=2
	ds_load_u16 v146, v79 offset:3072
	s_waitcnt lgkmcnt(0)
	v_cmp_ne_u16_e64 s22, 0x7fff, v146
	s_delay_alu instid0(VALU_DEP_1) | instskip(SKIP_1) | instid1(VALU_DEP_2)
	v_cndmask_b32_e64 v2, 0xffff8000, v146, s22
	v_cmp_lt_i16_e64 s22, -1, v146
	v_and_b32_e32 v2, 0xffff, v2
	s_delay_alu instid0(VALU_DEP_2) | instskip(NEXT) | instid1(VALU_DEP_2)
	v_cndmask_b32_e64 v149, 0xffff8000, -1, s22
	v_lshrrev_b32_e32 v2, s48, v2
	s_delay_alu instid0(VALU_DEP_1) | instskip(NEXT) | instid1(VALU_DEP_1)
	v_and_b32_e32 v2, s55, v2
	v_lshlrev_b32_e32 v2, 2, v2
	ds_load_b32 v2, v2
	s_waitcnt lgkmcnt(0)
	v_add_nc_u32_e32 v2, v2, v53
	s_delay_alu instid0(VALU_DEP_1) | instskip(SKIP_1) | instid1(VALU_DEP_2)
	v_lshlrev_b64 v[36:37], 1, v[2:3]
	v_xor_b32_e32 v2, v149, v146
	v_add_co_u32 v36, s22, s38, v36
	s_delay_alu instid0(VALU_DEP_1) | instskip(SKIP_3) | instid1(VALU_DEP_1)
	v_add_co_ci_u32_e64 v37, s22, s39, v37, s22
	global_store_b16 v[36:37], v2, off
	s_or_b32 exec_lo, exec_lo, s23
	v_cmp_lt_u32_e64 s22, v54, v145
	s_and_saveexec_b32 s24, s22
	s_cbranch_execnz .LBB2057_199
.LBB2057_184:                           ;   in Loop: Header=BB2057_98 Depth=2
	s_or_b32 exec_lo, exec_lo, s24
	v_cmp_lt_u32_e64 s23, v55, v145
	s_delay_alu instid0(VALU_DEP_1)
	s_and_saveexec_b32 s25, s23
	s_cbranch_execz .LBB2057_200
.LBB2057_185:                           ;   in Loop: Header=BB2057_98 Depth=2
	ds_load_u16 v146, v79 offset:4096
	s_waitcnt lgkmcnt(0)
	v_cmp_ne_u16_e64 s24, 0x7fff, v146
	s_delay_alu instid0(VALU_DEP_1) | instskip(SKIP_1) | instid1(VALU_DEP_2)
	v_cndmask_b32_e64 v2, 0xffff8000, v146, s24
	v_cmp_lt_i16_e64 s24, -1, v146
	v_and_b32_e32 v2, 0xffff, v2
	s_delay_alu instid0(VALU_DEP_2) | instskip(NEXT) | instid1(VALU_DEP_2)
	v_cndmask_b32_e64 v149, 0xffff8000, -1, s24
	v_lshrrev_b32_e32 v2, s48, v2
	s_delay_alu instid0(VALU_DEP_1) | instskip(NEXT) | instid1(VALU_DEP_1)
	v_and_b32_e32 v2, s55, v2
	v_lshlrev_b32_e32 v2, 2, v2
	ds_load_b32 v2, v2
	s_waitcnt lgkmcnt(0)
	v_add_nc_u32_e32 v2, v2, v55
	s_delay_alu instid0(VALU_DEP_1) | instskip(SKIP_1) | instid1(VALU_DEP_2)
	v_lshlrev_b64 v[36:37], 1, v[2:3]
	v_xor_b32_e32 v2, v149, v146
	v_add_co_u32 v36, s24, s38, v36
	s_delay_alu instid0(VALU_DEP_1) | instskip(SKIP_3) | instid1(VALU_DEP_1)
	v_add_co_ci_u32_e64 v37, s24, s39, v37, s24
	global_store_b16 v[36:37], v2, off
	s_or_b32 exec_lo, exec_lo, s25
	v_cmp_lt_u32_e64 s24, v56, v145
	s_and_saveexec_b32 s27, s24
	s_cbranch_execnz .LBB2057_201
.LBB2057_186:                           ;   in Loop: Header=BB2057_98 Depth=2
	s_or_b32 exec_lo, exec_lo, s27
	v_cmp_lt_u32_e64 s25, v57, v145
	s_delay_alu instid0(VALU_DEP_1)
	s_and_saveexec_b32 s28, s25
	s_cbranch_execz .LBB2057_202
.LBB2057_187:                           ;   in Loop: Header=BB2057_98 Depth=2
	ds_load_u16 v146, v79 offset:5120
	s_waitcnt lgkmcnt(0)
	v_cmp_ne_u16_e64 s27, 0x7fff, v146
	s_delay_alu instid0(VALU_DEP_1) | instskip(SKIP_1) | instid1(VALU_DEP_2)
	v_cndmask_b32_e64 v2, 0xffff8000, v146, s27
	v_cmp_lt_i16_e64 s27, -1, v146
	v_and_b32_e32 v2, 0xffff, v2
	s_delay_alu instid0(VALU_DEP_2) | instskip(NEXT) | instid1(VALU_DEP_2)
	v_cndmask_b32_e64 v149, 0xffff8000, -1, s27
	v_lshrrev_b32_e32 v2, s48, v2
	s_delay_alu instid0(VALU_DEP_1) | instskip(NEXT) | instid1(VALU_DEP_1)
	v_and_b32_e32 v2, s55, v2
	v_lshlrev_b32_e32 v2, 2, v2
	ds_load_b32 v2, v2
	s_waitcnt lgkmcnt(0)
	v_add_nc_u32_e32 v2, v2, v57
	s_delay_alu instid0(VALU_DEP_1) | instskip(SKIP_1) | instid1(VALU_DEP_2)
	v_lshlrev_b64 v[36:37], 1, v[2:3]
	v_xor_b32_e32 v2, v149, v146
	v_add_co_u32 v36, s27, s38, v36
	s_delay_alu instid0(VALU_DEP_1) | instskip(SKIP_3) | instid1(VALU_DEP_1)
	v_add_co_ci_u32_e64 v37, s27, s39, v37, s27
	global_store_b16 v[36:37], v2, off
	s_or_b32 exec_lo, exec_lo, s28
	v_cmp_lt_u32_e64 s27, v58, v145
	s_and_saveexec_b32 s29, s27
	s_cbranch_execnz .LBB2057_203
.LBB2057_188:                           ;   in Loop: Header=BB2057_98 Depth=2
	s_or_b32 exec_lo, exec_lo, s29
	v_cmp_lt_u32_e64 s28, v59, v145
	s_delay_alu instid0(VALU_DEP_1)
	s_and_saveexec_b32 s30, s28
	s_cbranch_execz .LBB2057_204
.LBB2057_189:                           ;   in Loop: Header=BB2057_98 Depth=2
	ds_load_u16 v146, v79 offset:6144
	s_waitcnt lgkmcnt(0)
	v_cmp_ne_u16_e64 s29, 0x7fff, v146
	s_delay_alu instid0(VALU_DEP_1) | instskip(SKIP_1) | instid1(VALU_DEP_2)
	v_cndmask_b32_e64 v2, 0xffff8000, v146, s29
	v_cmp_lt_i16_e64 s29, -1, v146
	v_and_b32_e32 v2, 0xffff, v2
	s_delay_alu instid0(VALU_DEP_2) | instskip(NEXT) | instid1(VALU_DEP_2)
	v_cndmask_b32_e64 v149, 0xffff8000, -1, s29
	v_lshrrev_b32_e32 v2, s48, v2
	s_delay_alu instid0(VALU_DEP_1) | instskip(NEXT) | instid1(VALU_DEP_1)
	v_and_b32_e32 v2, s55, v2
	v_lshlrev_b32_e32 v2, 2, v2
	ds_load_b32 v2, v2
	s_waitcnt lgkmcnt(0)
	v_add_nc_u32_e32 v2, v2, v59
	s_delay_alu instid0(VALU_DEP_1) | instskip(SKIP_1) | instid1(VALU_DEP_2)
	v_lshlrev_b64 v[36:37], 1, v[2:3]
	v_xor_b32_e32 v2, v149, v146
	v_add_co_u32 v36, s29, s38, v36
	s_delay_alu instid0(VALU_DEP_1) | instskip(SKIP_3) | instid1(VALU_DEP_1)
	v_add_co_ci_u32_e64 v37, s29, s39, v37, s29
	global_store_b16 v[36:37], v2, off
	s_or_b32 exec_lo, exec_lo, s30
	v_cmp_lt_u32_e64 s29, v60, v145
	s_and_saveexec_b32 s31, s29
	s_cbranch_execnz .LBB2057_205
.LBB2057_190:                           ;   in Loop: Header=BB2057_98 Depth=2
	s_or_b32 exec_lo, exec_lo, s31
	v_cmp_lt_u32_e64 s30, v61, v145
	s_delay_alu instid0(VALU_DEP_1)
	s_and_saveexec_b32 s33, s30
	s_cbranch_execz .LBB2057_206
.LBB2057_191:                           ;   in Loop: Header=BB2057_98 Depth=2
	ds_load_u16 v146, v79 offset:7168
	s_waitcnt lgkmcnt(0)
	v_cmp_ne_u16_e64 s31, 0x7fff, v146
	s_delay_alu instid0(VALU_DEP_1) | instskip(SKIP_1) | instid1(VALU_DEP_2)
	v_cndmask_b32_e64 v2, 0xffff8000, v146, s31
	v_cmp_lt_i16_e64 s31, -1, v146
	v_and_b32_e32 v2, 0xffff, v2
	s_delay_alu instid0(VALU_DEP_2) | instskip(NEXT) | instid1(VALU_DEP_2)
	v_cndmask_b32_e64 v149, 0xffff8000, -1, s31
	v_lshrrev_b32_e32 v2, s48, v2
	s_delay_alu instid0(VALU_DEP_1) | instskip(NEXT) | instid1(VALU_DEP_1)
	v_and_b32_e32 v2, s55, v2
	v_lshlrev_b32_e32 v2, 2, v2
	ds_load_b32 v2, v2
	s_waitcnt lgkmcnt(0)
	v_add_nc_u32_e32 v2, v2, v61
	s_delay_alu instid0(VALU_DEP_1) | instskip(SKIP_1) | instid1(VALU_DEP_2)
	v_lshlrev_b64 v[36:37], 1, v[2:3]
	v_xor_b32_e32 v2, v149, v146
	v_add_co_u32 v36, s31, s38, v36
	s_delay_alu instid0(VALU_DEP_1) | instskip(SKIP_3) | instid1(VALU_DEP_1)
	v_add_co_ci_u32_e64 v37, s31, s39, v37, s31
	global_store_b16 v[36:37], v2, off
	s_or_b32 exec_lo, exec_lo, s33
	v_cmp_lt_u32_e64 s31, v63, v145
	s_and_saveexec_b32 s58, s31
	s_cbranch_execnz .LBB2057_207
	s_branch .LBB2057_208
.LBB2057_192:                           ;   in Loop: Header=BB2057_98 Depth=2
	s_or_b32 exec_lo, exec_lo, s17
	v_cmp_lt_u32_e64 s16, v45, v145
	s_delay_alu instid0(VALU_DEP_1)
	s_and_saveexec_b32 s18, s16
	s_cbranch_execz .LBB2057_178
.LBB2057_193:                           ;   in Loop: Header=BB2057_98 Depth=2
	ds_load_u16 v146, v79 offset:512
	s_waitcnt lgkmcnt(0)
	v_cmp_ne_u16_e64 s17, 0x7fff, v146
	s_delay_alu instid0(VALU_DEP_1) | instskip(SKIP_1) | instid1(VALU_DEP_2)
	v_cndmask_b32_e64 v2, 0xffff8000, v146, s17
	v_cmp_lt_i16_e64 s17, -1, v146
	v_and_b32_e32 v2, 0xffff, v2
	s_delay_alu instid0(VALU_DEP_2) | instskip(NEXT) | instid1(VALU_DEP_2)
	v_cndmask_b32_e64 v149, 0xffff8000, -1, s17
	v_lshrrev_b32_e32 v2, s48, v2
	s_delay_alu instid0(VALU_DEP_1) | instskip(NEXT) | instid1(VALU_DEP_1)
	v_and_b32_e32 v2, s55, v2
	v_lshlrev_b32_e32 v2, 2, v2
	ds_load_b32 v2, v2
	s_waitcnt lgkmcnt(0)
	v_add_nc_u32_e32 v2, v2, v45
	s_delay_alu instid0(VALU_DEP_1) | instskip(SKIP_1) | instid1(VALU_DEP_2)
	v_lshlrev_b64 v[36:37], 1, v[2:3]
	v_xor_b32_e32 v2, v149, v146
	v_add_co_u32 v36, s17, s38, v36
	s_delay_alu instid0(VALU_DEP_1) | instskip(SKIP_3) | instid1(VALU_DEP_1)
	v_add_co_ci_u32_e64 v37, s17, s39, v37, s17
	global_store_b16 v[36:37], v2, off
	s_or_b32 exec_lo, exec_lo, s18
	v_cmp_lt_u32_e64 s17, v46, v145
	s_and_saveexec_b32 s19, s17
	s_cbranch_execnz .LBB2057_179
.LBB2057_194:                           ;   in Loop: Header=BB2057_98 Depth=2
	s_or_b32 exec_lo, exec_lo, s19
	v_cmp_lt_u32_e64 s18, v47, v145
	s_delay_alu instid0(VALU_DEP_1)
	s_and_saveexec_b32 s20, s18
	s_cbranch_execz .LBB2057_180
.LBB2057_195:                           ;   in Loop: Header=BB2057_98 Depth=2
	ds_load_u16 v146, v79 offset:1536
	s_waitcnt lgkmcnt(0)
	v_cmp_ne_u16_e64 s19, 0x7fff, v146
	s_delay_alu instid0(VALU_DEP_1) | instskip(SKIP_1) | instid1(VALU_DEP_2)
	v_cndmask_b32_e64 v2, 0xffff8000, v146, s19
	v_cmp_lt_i16_e64 s19, -1, v146
	v_and_b32_e32 v2, 0xffff, v2
	s_delay_alu instid0(VALU_DEP_2) | instskip(NEXT) | instid1(VALU_DEP_2)
	v_cndmask_b32_e64 v149, 0xffff8000, -1, s19
	v_lshrrev_b32_e32 v2, s48, v2
	s_delay_alu instid0(VALU_DEP_1) | instskip(NEXT) | instid1(VALU_DEP_1)
	v_and_b32_e32 v2, s55, v2
	v_lshlrev_b32_e32 v2, 2, v2
	ds_load_b32 v2, v2
	s_waitcnt lgkmcnt(0)
	v_add_nc_u32_e32 v2, v2, v47
	s_delay_alu instid0(VALU_DEP_1) | instskip(SKIP_1) | instid1(VALU_DEP_2)
	v_lshlrev_b64 v[36:37], 1, v[2:3]
	v_xor_b32_e32 v2, v149, v146
	v_add_co_u32 v36, s19, s38, v36
	s_delay_alu instid0(VALU_DEP_1) | instskip(SKIP_3) | instid1(VALU_DEP_1)
	v_add_co_ci_u32_e64 v37, s19, s39, v37, s19
	global_store_b16 v[36:37], v2, off
	s_or_b32 exec_lo, exec_lo, s20
	v_cmp_lt_u32_e64 s19, v51, v145
	s_and_saveexec_b32 s21, s19
	s_cbranch_execnz .LBB2057_181
.LBB2057_196:                           ;   in Loop: Header=BB2057_98 Depth=2
	s_or_b32 exec_lo, exec_lo, s21
	v_cmp_lt_u32_e64 s20, v52, v145
	s_delay_alu instid0(VALU_DEP_1)
	s_and_saveexec_b32 s22, s20
	s_cbranch_execz .LBB2057_182
.LBB2057_197:                           ;   in Loop: Header=BB2057_98 Depth=2
	ds_load_u16 v146, v79 offset:2560
	s_waitcnt lgkmcnt(0)
	v_cmp_ne_u16_e64 s21, 0x7fff, v146
	s_delay_alu instid0(VALU_DEP_1) | instskip(SKIP_1) | instid1(VALU_DEP_2)
	v_cndmask_b32_e64 v2, 0xffff8000, v146, s21
	v_cmp_lt_i16_e64 s21, -1, v146
	v_and_b32_e32 v2, 0xffff, v2
	s_delay_alu instid0(VALU_DEP_2) | instskip(NEXT) | instid1(VALU_DEP_2)
	v_cndmask_b32_e64 v149, 0xffff8000, -1, s21
	v_lshrrev_b32_e32 v2, s48, v2
	s_delay_alu instid0(VALU_DEP_1) | instskip(NEXT) | instid1(VALU_DEP_1)
	v_and_b32_e32 v2, s55, v2
	v_lshlrev_b32_e32 v2, 2, v2
	ds_load_b32 v2, v2
	s_waitcnt lgkmcnt(0)
	v_add_nc_u32_e32 v2, v2, v52
	s_delay_alu instid0(VALU_DEP_1) | instskip(SKIP_1) | instid1(VALU_DEP_2)
	v_lshlrev_b64 v[36:37], 1, v[2:3]
	v_xor_b32_e32 v2, v149, v146
	v_add_co_u32 v36, s21, s38, v36
	s_delay_alu instid0(VALU_DEP_1) | instskip(SKIP_3) | instid1(VALU_DEP_1)
	v_add_co_ci_u32_e64 v37, s21, s39, v37, s21
	global_store_b16 v[36:37], v2, off
	s_or_b32 exec_lo, exec_lo, s22
	v_cmp_lt_u32_e64 s21, v53, v145
	s_and_saveexec_b32 s23, s21
	s_cbranch_execnz .LBB2057_183
.LBB2057_198:                           ;   in Loop: Header=BB2057_98 Depth=2
	s_or_b32 exec_lo, exec_lo, s23
	v_cmp_lt_u32_e64 s22, v54, v145
	s_delay_alu instid0(VALU_DEP_1)
	s_and_saveexec_b32 s24, s22
	s_cbranch_execz .LBB2057_184
.LBB2057_199:                           ;   in Loop: Header=BB2057_98 Depth=2
	ds_load_u16 v146, v79 offset:3584
	s_waitcnt lgkmcnt(0)
	v_cmp_ne_u16_e64 s23, 0x7fff, v146
	s_delay_alu instid0(VALU_DEP_1) | instskip(SKIP_1) | instid1(VALU_DEP_2)
	v_cndmask_b32_e64 v2, 0xffff8000, v146, s23
	v_cmp_lt_i16_e64 s23, -1, v146
	v_and_b32_e32 v2, 0xffff, v2
	s_delay_alu instid0(VALU_DEP_2) | instskip(NEXT) | instid1(VALU_DEP_2)
	v_cndmask_b32_e64 v149, 0xffff8000, -1, s23
	v_lshrrev_b32_e32 v2, s48, v2
	s_delay_alu instid0(VALU_DEP_1) | instskip(NEXT) | instid1(VALU_DEP_1)
	v_and_b32_e32 v2, s55, v2
	v_lshlrev_b32_e32 v2, 2, v2
	ds_load_b32 v2, v2
	s_waitcnt lgkmcnt(0)
	v_add_nc_u32_e32 v2, v2, v54
	s_delay_alu instid0(VALU_DEP_1) | instskip(SKIP_1) | instid1(VALU_DEP_2)
	v_lshlrev_b64 v[36:37], 1, v[2:3]
	v_xor_b32_e32 v2, v149, v146
	v_add_co_u32 v36, s23, s38, v36
	s_delay_alu instid0(VALU_DEP_1) | instskip(SKIP_3) | instid1(VALU_DEP_1)
	v_add_co_ci_u32_e64 v37, s23, s39, v37, s23
	global_store_b16 v[36:37], v2, off
	s_or_b32 exec_lo, exec_lo, s24
	v_cmp_lt_u32_e64 s23, v55, v145
	s_and_saveexec_b32 s25, s23
	s_cbranch_execnz .LBB2057_185
.LBB2057_200:                           ;   in Loop: Header=BB2057_98 Depth=2
	s_or_b32 exec_lo, exec_lo, s25
	v_cmp_lt_u32_e64 s24, v56, v145
	s_delay_alu instid0(VALU_DEP_1)
	s_and_saveexec_b32 s27, s24
	s_cbranch_execz .LBB2057_186
.LBB2057_201:                           ;   in Loop: Header=BB2057_98 Depth=2
	ds_load_u16 v146, v79 offset:4608
	s_waitcnt lgkmcnt(0)
	v_cmp_ne_u16_e64 s25, 0x7fff, v146
	s_delay_alu instid0(VALU_DEP_1) | instskip(SKIP_1) | instid1(VALU_DEP_2)
	v_cndmask_b32_e64 v2, 0xffff8000, v146, s25
	v_cmp_lt_i16_e64 s25, -1, v146
	v_and_b32_e32 v2, 0xffff, v2
	s_delay_alu instid0(VALU_DEP_2) | instskip(NEXT) | instid1(VALU_DEP_2)
	v_cndmask_b32_e64 v149, 0xffff8000, -1, s25
	v_lshrrev_b32_e32 v2, s48, v2
	s_delay_alu instid0(VALU_DEP_1) | instskip(NEXT) | instid1(VALU_DEP_1)
	v_and_b32_e32 v2, s55, v2
	v_lshlrev_b32_e32 v2, 2, v2
	ds_load_b32 v2, v2
	s_waitcnt lgkmcnt(0)
	v_add_nc_u32_e32 v2, v2, v56
	s_delay_alu instid0(VALU_DEP_1) | instskip(SKIP_1) | instid1(VALU_DEP_2)
	v_lshlrev_b64 v[36:37], 1, v[2:3]
	v_xor_b32_e32 v2, v149, v146
	v_add_co_u32 v36, s25, s38, v36
	s_delay_alu instid0(VALU_DEP_1) | instskip(SKIP_3) | instid1(VALU_DEP_1)
	v_add_co_ci_u32_e64 v37, s25, s39, v37, s25
	global_store_b16 v[36:37], v2, off
	s_or_b32 exec_lo, exec_lo, s27
	v_cmp_lt_u32_e64 s25, v57, v145
	s_and_saveexec_b32 s28, s25
	s_cbranch_execnz .LBB2057_187
.LBB2057_202:                           ;   in Loop: Header=BB2057_98 Depth=2
	s_or_b32 exec_lo, exec_lo, s28
	v_cmp_lt_u32_e64 s27, v58, v145
	s_delay_alu instid0(VALU_DEP_1)
	s_and_saveexec_b32 s29, s27
	s_cbranch_execz .LBB2057_188
.LBB2057_203:                           ;   in Loop: Header=BB2057_98 Depth=2
	ds_load_u16 v146, v79 offset:5632
	s_waitcnt lgkmcnt(0)
	v_cmp_ne_u16_e64 s28, 0x7fff, v146
	s_delay_alu instid0(VALU_DEP_1) | instskip(SKIP_1) | instid1(VALU_DEP_2)
	v_cndmask_b32_e64 v2, 0xffff8000, v146, s28
	v_cmp_lt_i16_e64 s28, -1, v146
	v_and_b32_e32 v2, 0xffff, v2
	s_delay_alu instid0(VALU_DEP_2) | instskip(NEXT) | instid1(VALU_DEP_2)
	v_cndmask_b32_e64 v149, 0xffff8000, -1, s28
	v_lshrrev_b32_e32 v2, s48, v2
	s_delay_alu instid0(VALU_DEP_1) | instskip(NEXT) | instid1(VALU_DEP_1)
	v_and_b32_e32 v2, s55, v2
	v_lshlrev_b32_e32 v2, 2, v2
	ds_load_b32 v2, v2
	s_waitcnt lgkmcnt(0)
	v_add_nc_u32_e32 v2, v2, v58
	s_delay_alu instid0(VALU_DEP_1) | instskip(SKIP_1) | instid1(VALU_DEP_2)
	v_lshlrev_b64 v[36:37], 1, v[2:3]
	v_xor_b32_e32 v2, v149, v146
	v_add_co_u32 v36, s28, s38, v36
	s_delay_alu instid0(VALU_DEP_1) | instskip(SKIP_3) | instid1(VALU_DEP_1)
	v_add_co_ci_u32_e64 v37, s28, s39, v37, s28
	global_store_b16 v[36:37], v2, off
	s_or_b32 exec_lo, exec_lo, s29
	v_cmp_lt_u32_e64 s28, v59, v145
	s_and_saveexec_b32 s30, s28
	s_cbranch_execnz .LBB2057_189
.LBB2057_204:                           ;   in Loop: Header=BB2057_98 Depth=2
	s_or_b32 exec_lo, exec_lo, s30
	v_cmp_lt_u32_e64 s29, v60, v145
	s_delay_alu instid0(VALU_DEP_1)
	s_and_saveexec_b32 s31, s29
	s_cbranch_execz .LBB2057_190
.LBB2057_205:                           ;   in Loop: Header=BB2057_98 Depth=2
	ds_load_u16 v146, v79 offset:6656
	s_waitcnt lgkmcnt(0)
	v_cmp_ne_u16_e64 s30, 0x7fff, v146
	s_delay_alu instid0(VALU_DEP_1) | instskip(SKIP_1) | instid1(VALU_DEP_2)
	v_cndmask_b32_e64 v2, 0xffff8000, v146, s30
	v_cmp_lt_i16_e64 s30, -1, v146
	v_and_b32_e32 v2, 0xffff, v2
	s_delay_alu instid0(VALU_DEP_2) | instskip(NEXT) | instid1(VALU_DEP_2)
	v_cndmask_b32_e64 v149, 0xffff8000, -1, s30
	v_lshrrev_b32_e32 v2, s48, v2
	s_delay_alu instid0(VALU_DEP_1) | instskip(NEXT) | instid1(VALU_DEP_1)
	v_and_b32_e32 v2, s55, v2
	v_lshlrev_b32_e32 v2, 2, v2
	ds_load_b32 v2, v2
	s_waitcnt lgkmcnt(0)
	v_add_nc_u32_e32 v2, v2, v60
	s_delay_alu instid0(VALU_DEP_1) | instskip(SKIP_1) | instid1(VALU_DEP_2)
	v_lshlrev_b64 v[36:37], 1, v[2:3]
	v_xor_b32_e32 v2, v149, v146
	v_add_co_u32 v36, s30, s38, v36
	s_delay_alu instid0(VALU_DEP_1) | instskip(SKIP_3) | instid1(VALU_DEP_1)
	v_add_co_ci_u32_e64 v37, s30, s39, v37, s30
	global_store_b16 v[36:37], v2, off
	s_or_b32 exec_lo, exec_lo, s31
	v_cmp_lt_u32_e64 s30, v61, v145
	s_and_saveexec_b32 s33, s30
	s_cbranch_execnz .LBB2057_191
.LBB2057_206:                           ;   in Loop: Header=BB2057_98 Depth=2
	s_or_b32 exec_lo, exec_lo, s33
	v_cmp_lt_u32_e64 s31, v63, v145
	s_delay_alu instid0(VALU_DEP_1)
	s_and_saveexec_b32 s58, s31
	s_cbranch_execz .LBB2057_208
.LBB2057_207:                           ;   in Loop: Header=BB2057_98 Depth=2
	ds_load_u16 v146, v79 offset:7680
	s_waitcnt lgkmcnt(0)
	v_cmp_ne_u16_e64 s33, 0x7fff, v146
	s_delay_alu instid0(VALU_DEP_1) | instskip(SKIP_1) | instid1(VALU_DEP_2)
	v_cndmask_b32_e64 v2, 0xffff8000, v146, s33
	v_cmp_lt_i16_e64 s33, -1, v146
	v_and_b32_e32 v2, 0xffff, v2
	s_delay_alu instid0(VALU_DEP_2) | instskip(NEXT) | instid1(VALU_DEP_2)
	v_cndmask_b32_e64 v149, 0xffff8000, -1, s33
	v_lshrrev_b32_e32 v2, s48, v2
	s_delay_alu instid0(VALU_DEP_1) | instskip(NEXT) | instid1(VALU_DEP_1)
	v_and_b32_e32 v2, s55, v2
	v_lshlrev_b32_e32 v2, 2, v2
	ds_load_b32 v2, v2
	s_waitcnt lgkmcnt(0)
	v_add_nc_u32_e32 v2, v2, v63
	s_delay_alu instid0(VALU_DEP_1) | instskip(SKIP_1) | instid1(VALU_DEP_2)
	v_lshlrev_b64 v[36:37], 1, v[2:3]
	v_xor_b32_e32 v2, v149, v146
	v_add_co_u32 v36, s33, s38, v36
	s_delay_alu instid0(VALU_DEP_1)
	v_add_co_ci_u32_e64 v37, s33, s39, v37, s33
	global_store_b16 v[36:37], v2, off
.LBB2057_208:                           ;   in Loop: Header=BB2057_98 Depth=2
	s_or_b32 exec_lo, exec_lo, s58
	s_lshl_b64 s[58:59], s[34:35], 3
	s_delay_alu instid0(SALU_CYCLE_1) | instskip(NEXT) | instid1(VALU_DEP_1)
	v_add_co_u32 v36, s33, v107, s58
	v_add_co_ci_u32_e64 v37, s33, s59, v108, s33
	v_cmp_lt_u32_e64 s33, v106, v145
	s_delay_alu instid0(VALU_DEP_1) | instskip(NEXT) | instid1(SALU_CYCLE_1)
	s_and_saveexec_b32 s34, s33
	s_xor_b32 s33, exec_lo, s34
	s_cbranch_execz .LBB2057_240
; %bb.209:                              ;   in Loop: Header=BB2057_98 Depth=2
	global_load_b64 v[34:35], v[36:37], off
	s_or_b32 exec_lo, exec_lo, s33
	s_delay_alu instid0(SALU_CYCLE_1)
	s_mov_b32 s34, exec_lo
	v_cmpx_lt_u32_e64 v109, v145
	s_cbranch_execnz .LBB2057_241
.LBB2057_210:                           ;   in Loop: Header=BB2057_98 Depth=2
	s_or_b32 exec_lo, exec_lo, s34
	s_delay_alu instid0(SALU_CYCLE_1)
	s_mov_b32 s34, exec_lo
	v_cmpx_lt_u32_e64 v110, v145
	s_cbranch_execz .LBB2057_242
.LBB2057_211:                           ;   in Loop: Header=BB2057_98 Depth=2
	global_load_b64 v[30:31], v[36:37], off offset:512
	s_or_b32 exec_lo, exec_lo, s34
	s_delay_alu instid0(SALU_CYCLE_1)
	s_mov_b32 s34, exec_lo
	v_cmpx_lt_u32_e64 v111, v145
	s_cbranch_execnz .LBB2057_243
.LBB2057_212:                           ;   in Loop: Header=BB2057_98 Depth=2
	s_or_b32 exec_lo, exec_lo, s34
	s_delay_alu instid0(SALU_CYCLE_1)
	s_mov_b32 s34, exec_lo
	v_cmpx_lt_u32_e64 v112, v145
	s_cbranch_execz .LBB2057_244
.LBB2057_213:                           ;   in Loop: Header=BB2057_98 Depth=2
	global_load_b64 v[26:27], v[36:37], off offset:1024
	s_or_b32 exec_lo, exec_lo, s34
	s_delay_alu instid0(SALU_CYCLE_1)
	s_mov_b32 s34, exec_lo
	v_cmpx_lt_u32_e64 v113, v145
	s_cbranch_execnz .LBB2057_245
.LBB2057_214:                           ;   in Loop: Header=BB2057_98 Depth=2
	s_or_b32 exec_lo, exec_lo, s34
	s_delay_alu instid0(SALU_CYCLE_1)
	s_mov_b32 s34, exec_lo
	v_cmpx_lt_u32_e64 v114, v145
	s_cbranch_execz .LBB2057_246
.LBB2057_215:                           ;   in Loop: Header=BB2057_98 Depth=2
	global_load_b64 v[22:23], v[36:37], off offset:1536
	s_or_b32 exec_lo, exec_lo, s34
	s_delay_alu instid0(SALU_CYCLE_1)
	s_mov_b32 s34, exec_lo
	v_cmpx_lt_u32_e64 v115, v145
	s_cbranch_execnz .LBB2057_247
.LBB2057_216:                           ;   in Loop: Header=BB2057_98 Depth=2
	s_or_b32 exec_lo, exec_lo, s34
	s_delay_alu instid0(SALU_CYCLE_1)
	s_mov_b32 s34, exec_lo
	v_cmpx_lt_u32_e64 v116, v145
	s_cbranch_execz .LBB2057_248
.LBB2057_217:                           ;   in Loop: Header=BB2057_98 Depth=2
	global_load_b64 v[18:19], v[36:37], off offset:2048
	s_or_b32 exec_lo, exec_lo, s34
	s_delay_alu instid0(SALU_CYCLE_1)
	s_mov_b32 s34, exec_lo
	v_cmpx_lt_u32_e64 v117, v145
	s_cbranch_execnz .LBB2057_249
.LBB2057_218:                           ;   in Loop: Header=BB2057_98 Depth=2
	s_or_b32 exec_lo, exec_lo, s34
	s_delay_alu instid0(SALU_CYCLE_1)
	s_mov_b32 s34, exec_lo
	v_cmpx_lt_u32_e64 v118, v145
	s_cbranch_execz .LBB2057_250
.LBB2057_219:                           ;   in Loop: Header=BB2057_98 Depth=2
	global_load_b64 v[14:15], v[36:37], off offset:2560
	s_or_b32 exec_lo, exec_lo, s34
	s_delay_alu instid0(SALU_CYCLE_1)
	s_mov_b32 s34, exec_lo
	v_cmpx_lt_u32_e64 v119, v145
	s_cbranch_execnz .LBB2057_251
.LBB2057_220:                           ;   in Loop: Header=BB2057_98 Depth=2
	s_or_b32 exec_lo, exec_lo, s34
	s_delay_alu instid0(SALU_CYCLE_1)
	s_mov_b32 s34, exec_lo
	v_cmpx_lt_u32_e64 v120, v145
	s_cbranch_execz .LBB2057_252
.LBB2057_221:                           ;   in Loop: Header=BB2057_98 Depth=2
	global_load_b64 v[10:11], v[36:37], off offset:3072
	s_or_b32 exec_lo, exec_lo, s34
	s_delay_alu instid0(SALU_CYCLE_1)
	s_mov_b32 s34, exec_lo
	v_cmpx_lt_u32_e64 v121, v145
	s_cbranch_execnz .LBB2057_253
.LBB2057_222:                           ;   in Loop: Header=BB2057_98 Depth=2
	s_or_b32 exec_lo, exec_lo, s34
	s_delay_alu instid0(SALU_CYCLE_1)
	s_mov_b32 s34, exec_lo
	v_cmpx_lt_u32_e64 v122, v145
	s_cbranch_execz .LBB2057_254
.LBB2057_223:                           ;   in Loop: Header=BB2057_98 Depth=2
	global_load_b64 v[6:7], v[36:37], off offset:3584
	s_or_b32 exec_lo, exec_lo, s34
	s_delay_alu instid0(SALU_CYCLE_1)
	s_mov_b32 s34, exec_lo
	v_cmpx_lt_u32_e64 v123, v145
	s_cbranch_execnz .LBB2057_255
.LBB2057_224:                           ;   in Loop: Header=BB2057_98 Depth=2
	s_or_b32 exec_lo, exec_lo, s34
	s_and_saveexec_b32 s34, vcc_lo
	s_cbranch_execz .LBB2057_256
.LBB2057_225:                           ;   in Loop: Header=BB2057_98 Depth=2
	v_add_nc_u32_e32 v2, v72, v78
	ds_load_u16 v2, v2 offset:1024
	s_waitcnt lgkmcnt(0)
	v_cmp_ne_u16_e64 s33, 0x7fff, v2
	s_delay_alu instid0(VALU_DEP_1) | instskip(NEXT) | instid1(VALU_DEP_1)
	v_cndmask_b32_e64 v2, 0xffff8000, v2, s33
	v_and_b32_e32 v2, 0xffff, v2
	s_delay_alu instid0(VALU_DEP_1) | instskip(NEXT) | instid1(VALU_DEP_1)
	v_lshrrev_b32_e32 v2, s48, v2
	v_and_b32_e32 v144, s55, v2
	s_or_b32 exec_lo, exec_lo, s34
	s_and_saveexec_b32 s34, s16
	s_cbranch_execnz .LBB2057_257
.LBB2057_226:                           ;   in Loop: Header=BB2057_98 Depth=2
	s_or_b32 exec_lo, exec_lo, s34
	s_and_saveexec_b32 s34, s17
	s_cbranch_execz .LBB2057_258
.LBB2057_227:                           ;   in Loop: Header=BB2057_98 Depth=2
	ds_load_u16 v2, v79 offset:1024
	s_waitcnt lgkmcnt(0)
	v_cmp_ne_u16_e64 s33, 0x7fff, v2
	s_delay_alu instid0(VALU_DEP_1) | instskip(NEXT) | instid1(VALU_DEP_1)
	v_cndmask_b32_e64 v2, 0xffff8000, v2, s33
	v_and_b32_e32 v2, 0xffff, v2
	s_delay_alu instid0(VALU_DEP_1) | instskip(NEXT) | instid1(VALU_DEP_1)
	v_lshrrev_b32_e32 v2, s48, v2
	v_and_b32_e32 v142, s55, v2
	s_or_b32 exec_lo, exec_lo, s34
	s_and_saveexec_b32 s34, s18
	s_cbranch_execnz .LBB2057_259
.LBB2057_228:                           ;   in Loop: Header=BB2057_98 Depth=2
	s_or_b32 exec_lo, exec_lo, s34
	s_and_saveexec_b32 s34, s19
	s_cbranch_execz .LBB2057_260
.LBB2057_229:                           ;   in Loop: Header=BB2057_98 Depth=2
	ds_load_u16 v2, v79 offset:2048
	s_waitcnt lgkmcnt(0)
	v_cmp_ne_u16_e64 s33, 0x7fff, v2
	s_delay_alu instid0(VALU_DEP_1) | instskip(NEXT) | instid1(VALU_DEP_1)
	v_cndmask_b32_e64 v2, 0xffff8000, v2, s33
	v_and_b32_e32 v2, 0xffff, v2
	s_delay_alu instid0(VALU_DEP_1) | instskip(NEXT) | instid1(VALU_DEP_1)
	v_lshrrev_b32_e32 v2, s48, v2
	v_and_b32_e32 v140, s55, v2
	s_or_b32 exec_lo, exec_lo, s34
	s_and_saveexec_b32 s34, s20
	s_cbranch_execnz .LBB2057_261
.LBB2057_230:                           ;   in Loop: Header=BB2057_98 Depth=2
	s_or_b32 exec_lo, exec_lo, s34
	s_and_saveexec_b32 s34, s21
	s_cbranch_execz .LBB2057_262
.LBB2057_231:                           ;   in Loop: Header=BB2057_98 Depth=2
	ds_load_u16 v2, v79 offset:3072
	s_waitcnt lgkmcnt(0)
	v_cmp_ne_u16_e64 s33, 0x7fff, v2
	s_delay_alu instid0(VALU_DEP_1) | instskip(NEXT) | instid1(VALU_DEP_1)
	v_cndmask_b32_e64 v2, 0xffff8000, v2, s33
	v_and_b32_e32 v2, 0xffff, v2
	s_delay_alu instid0(VALU_DEP_1) | instskip(NEXT) | instid1(VALU_DEP_1)
	v_lshrrev_b32_e32 v2, s48, v2
	v_and_b32_e32 v138, s55, v2
	s_or_b32 exec_lo, exec_lo, s34
	s_and_saveexec_b32 s34, s22
	s_cbranch_execnz .LBB2057_263
.LBB2057_232:                           ;   in Loop: Header=BB2057_98 Depth=2
	s_or_b32 exec_lo, exec_lo, s34
	s_and_saveexec_b32 s34, s23
	s_cbranch_execz .LBB2057_264
.LBB2057_233:                           ;   in Loop: Header=BB2057_98 Depth=2
	ds_load_u16 v2, v79 offset:4096
	s_waitcnt lgkmcnt(0)
	v_cmp_ne_u16_e64 s33, 0x7fff, v2
	s_delay_alu instid0(VALU_DEP_1) | instskip(NEXT) | instid1(VALU_DEP_1)
	v_cndmask_b32_e64 v2, 0xffff8000, v2, s33
	v_and_b32_e32 v2, 0xffff, v2
	s_delay_alu instid0(VALU_DEP_1) | instskip(NEXT) | instid1(VALU_DEP_1)
	v_lshrrev_b32_e32 v2, s48, v2
	v_and_b32_e32 v136, s55, v2
	s_or_b32 exec_lo, exec_lo, s34
	s_and_saveexec_b32 s34, s24
	s_cbranch_execnz .LBB2057_265
.LBB2057_234:                           ;   in Loop: Header=BB2057_98 Depth=2
	s_or_b32 exec_lo, exec_lo, s34
	s_and_saveexec_b32 s34, s25
	s_cbranch_execz .LBB2057_266
.LBB2057_235:                           ;   in Loop: Header=BB2057_98 Depth=2
	ds_load_u16 v2, v79 offset:5120
	s_waitcnt lgkmcnt(0)
	v_cmp_ne_u16_e64 s33, 0x7fff, v2
	s_delay_alu instid0(VALU_DEP_1) | instskip(NEXT) | instid1(VALU_DEP_1)
	v_cndmask_b32_e64 v2, 0xffff8000, v2, s33
	v_and_b32_e32 v2, 0xffff, v2
	s_delay_alu instid0(VALU_DEP_1) | instskip(NEXT) | instid1(VALU_DEP_1)
	v_lshrrev_b32_e32 v2, s48, v2
	v_and_b32_e32 v134, s55, v2
	s_or_b32 exec_lo, exec_lo, s34
	s_and_saveexec_b32 s34, s27
	s_cbranch_execnz .LBB2057_267
.LBB2057_236:                           ;   in Loop: Header=BB2057_98 Depth=2
	s_or_b32 exec_lo, exec_lo, s34
	s_and_saveexec_b32 s34, s28
	s_cbranch_execz .LBB2057_268
.LBB2057_237:                           ;   in Loop: Header=BB2057_98 Depth=2
	ds_load_u16 v2, v79 offset:6144
	s_waitcnt lgkmcnt(0)
	v_cmp_ne_u16_e64 s33, 0x7fff, v2
	s_delay_alu instid0(VALU_DEP_1) | instskip(NEXT) | instid1(VALU_DEP_1)
	v_cndmask_b32_e64 v2, 0xffff8000, v2, s33
	v_and_b32_e32 v2, 0xffff, v2
	s_delay_alu instid0(VALU_DEP_1) | instskip(NEXT) | instid1(VALU_DEP_1)
	v_lshrrev_b32_e32 v2, s48, v2
	v_and_b32_e32 v132, s55, v2
	s_or_b32 exec_lo, exec_lo, s34
	s_and_saveexec_b32 s34, s29
	s_cbranch_execnz .LBB2057_269
.LBB2057_238:                           ;   in Loop: Header=BB2057_98 Depth=2
	s_or_b32 exec_lo, exec_lo, s34
	s_and_saveexec_b32 s34, s30
	s_cbranch_execz .LBB2057_270
.LBB2057_239:                           ;   in Loop: Header=BB2057_98 Depth=2
	ds_load_u16 v2, v79 offset:7168
	s_waitcnt lgkmcnt(0)
	v_cmp_ne_u16_e64 s33, 0x7fff, v2
	s_delay_alu instid0(VALU_DEP_1) | instskip(NEXT) | instid1(VALU_DEP_1)
	v_cndmask_b32_e64 v2, 0xffff8000, v2, s33
	v_and_b32_e32 v2, 0xffff, v2
	s_delay_alu instid0(VALU_DEP_1) | instskip(NEXT) | instid1(VALU_DEP_1)
	v_lshrrev_b32_e32 v2, s48, v2
	v_and_b32_e32 v130, s55, v2
	s_or_b32 exec_lo, exec_lo, s34
	s_and_saveexec_b32 s34, s31
	s_cbranch_execnz .LBB2057_271
	s_branch .LBB2057_272
.LBB2057_240:                           ;   in Loop: Header=BB2057_98 Depth=2
	s_or_b32 exec_lo, exec_lo, s33
	s_delay_alu instid0(SALU_CYCLE_1)
	s_mov_b32 s34, exec_lo
	v_cmpx_lt_u32_e64 v109, v145
	s_cbranch_execz .LBB2057_210
.LBB2057_241:                           ;   in Loop: Header=BB2057_98 Depth=2
	global_load_b64 v[32:33], v[36:37], off offset:256
	s_or_b32 exec_lo, exec_lo, s34
	s_delay_alu instid0(SALU_CYCLE_1)
	s_mov_b32 s34, exec_lo
	v_cmpx_lt_u32_e64 v110, v145
	s_cbranch_execnz .LBB2057_211
.LBB2057_242:                           ;   in Loop: Header=BB2057_98 Depth=2
	s_or_b32 exec_lo, exec_lo, s34
	s_delay_alu instid0(SALU_CYCLE_1)
	s_mov_b32 s34, exec_lo
	v_cmpx_lt_u32_e64 v111, v145
	s_cbranch_execz .LBB2057_212
.LBB2057_243:                           ;   in Loop: Header=BB2057_98 Depth=2
	global_load_b64 v[28:29], v[36:37], off offset:768
	s_or_b32 exec_lo, exec_lo, s34
	s_delay_alu instid0(SALU_CYCLE_1)
	s_mov_b32 s34, exec_lo
	v_cmpx_lt_u32_e64 v112, v145
	s_cbranch_execnz .LBB2057_213
.LBB2057_244:                           ;   in Loop: Header=BB2057_98 Depth=2
	s_or_b32 exec_lo, exec_lo, s34
	s_delay_alu instid0(SALU_CYCLE_1)
	s_mov_b32 s34, exec_lo
	v_cmpx_lt_u32_e64 v113, v145
	s_cbranch_execz .LBB2057_214
.LBB2057_245:                           ;   in Loop: Header=BB2057_98 Depth=2
	global_load_b64 v[24:25], v[36:37], off offset:1280
	s_or_b32 exec_lo, exec_lo, s34
	s_delay_alu instid0(SALU_CYCLE_1)
	s_mov_b32 s34, exec_lo
	v_cmpx_lt_u32_e64 v114, v145
	s_cbranch_execnz .LBB2057_215
.LBB2057_246:                           ;   in Loop: Header=BB2057_98 Depth=2
	s_or_b32 exec_lo, exec_lo, s34
	s_delay_alu instid0(SALU_CYCLE_1)
	s_mov_b32 s34, exec_lo
	v_cmpx_lt_u32_e64 v115, v145
	s_cbranch_execz .LBB2057_216
.LBB2057_247:                           ;   in Loop: Header=BB2057_98 Depth=2
	global_load_b64 v[20:21], v[36:37], off offset:1792
	s_or_b32 exec_lo, exec_lo, s34
	s_delay_alu instid0(SALU_CYCLE_1)
	s_mov_b32 s34, exec_lo
	v_cmpx_lt_u32_e64 v116, v145
	s_cbranch_execnz .LBB2057_217
.LBB2057_248:                           ;   in Loop: Header=BB2057_98 Depth=2
	s_or_b32 exec_lo, exec_lo, s34
	s_delay_alu instid0(SALU_CYCLE_1)
	s_mov_b32 s34, exec_lo
	v_cmpx_lt_u32_e64 v117, v145
	s_cbranch_execz .LBB2057_218
.LBB2057_249:                           ;   in Loop: Header=BB2057_98 Depth=2
	global_load_b64 v[16:17], v[36:37], off offset:2304
	s_or_b32 exec_lo, exec_lo, s34
	s_delay_alu instid0(SALU_CYCLE_1)
	s_mov_b32 s34, exec_lo
	v_cmpx_lt_u32_e64 v118, v145
	s_cbranch_execnz .LBB2057_219
.LBB2057_250:                           ;   in Loop: Header=BB2057_98 Depth=2
	s_or_b32 exec_lo, exec_lo, s34
	s_delay_alu instid0(SALU_CYCLE_1)
	s_mov_b32 s34, exec_lo
	v_cmpx_lt_u32_e64 v119, v145
	s_cbranch_execz .LBB2057_220
.LBB2057_251:                           ;   in Loop: Header=BB2057_98 Depth=2
	global_load_b64 v[12:13], v[36:37], off offset:2816
	s_or_b32 exec_lo, exec_lo, s34
	s_delay_alu instid0(SALU_CYCLE_1)
	s_mov_b32 s34, exec_lo
	v_cmpx_lt_u32_e64 v120, v145
	s_cbranch_execnz .LBB2057_221
.LBB2057_252:                           ;   in Loop: Header=BB2057_98 Depth=2
	s_or_b32 exec_lo, exec_lo, s34
	s_delay_alu instid0(SALU_CYCLE_1)
	s_mov_b32 s34, exec_lo
	v_cmpx_lt_u32_e64 v121, v145
	s_cbranch_execz .LBB2057_222
.LBB2057_253:                           ;   in Loop: Header=BB2057_98 Depth=2
	global_load_b64 v[8:9], v[36:37], off offset:3328
	s_or_b32 exec_lo, exec_lo, s34
	s_delay_alu instid0(SALU_CYCLE_1)
	s_mov_b32 s34, exec_lo
	v_cmpx_lt_u32_e64 v122, v145
	s_cbranch_execnz .LBB2057_223
.LBB2057_254:                           ;   in Loop: Header=BB2057_98 Depth=2
	s_or_b32 exec_lo, exec_lo, s34
	s_delay_alu instid0(SALU_CYCLE_1)
	s_mov_b32 s34, exec_lo
	v_cmpx_lt_u32_e64 v123, v145
	s_cbranch_execz .LBB2057_224
.LBB2057_255:                           ;   in Loop: Header=BB2057_98 Depth=2
	global_load_b64 v[4:5], v[36:37], off offset:3840
	s_or_b32 exec_lo, exec_lo, s34
	s_and_saveexec_b32 s34, vcc_lo
	s_cbranch_execnz .LBB2057_225
.LBB2057_256:                           ;   in Loop: Header=BB2057_98 Depth=2
	s_or_b32 exec_lo, exec_lo, s34
	s_and_saveexec_b32 s34, s16
	s_cbranch_execz .LBB2057_226
.LBB2057_257:                           ;   in Loop: Header=BB2057_98 Depth=2
	ds_load_u16 v2, v79 offset:512
	s_waitcnt lgkmcnt(0)
	v_cmp_ne_u16_e64 s33, 0x7fff, v2
	s_delay_alu instid0(VALU_DEP_1) | instskip(NEXT) | instid1(VALU_DEP_1)
	v_cndmask_b32_e64 v2, 0xffff8000, v2, s33
	v_and_b32_e32 v2, 0xffff, v2
	s_delay_alu instid0(VALU_DEP_1) | instskip(NEXT) | instid1(VALU_DEP_1)
	v_lshrrev_b32_e32 v2, s48, v2
	v_and_b32_e32 v143, s55, v2
	s_or_b32 exec_lo, exec_lo, s34
	s_and_saveexec_b32 s34, s17
	s_cbranch_execnz .LBB2057_227
.LBB2057_258:                           ;   in Loop: Header=BB2057_98 Depth=2
	s_or_b32 exec_lo, exec_lo, s34
	s_and_saveexec_b32 s34, s18
	s_cbranch_execz .LBB2057_228
.LBB2057_259:                           ;   in Loop: Header=BB2057_98 Depth=2
	ds_load_u16 v2, v79 offset:1536
	s_waitcnt lgkmcnt(0)
	v_cmp_ne_u16_e64 s33, 0x7fff, v2
	s_delay_alu instid0(VALU_DEP_1) | instskip(NEXT) | instid1(VALU_DEP_1)
	v_cndmask_b32_e64 v2, 0xffff8000, v2, s33
	v_and_b32_e32 v2, 0xffff, v2
	s_delay_alu instid0(VALU_DEP_1) | instskip(NEXT) | instid1(VALU_DEP_1)
	v_lshrrev_b32_e32 v2, s48, v2
	v_and_b32_e32 v141, s55, v2
	s_or_b32 exec_lo, exec_lo, s34
	s_and_saveexec_b32 s34, s19
	s_cbranch_execnz .LBB2057_229
.LBB2057_260:                           ;   in Loop: Header=BB2057_98 Depth=2
	s_or_b32 exec_lo, exec_lo, s34
	s_and_saveexec_b32 s34, s20
	s_cbranch_execz .LBB2057_230
.LBB2057_261:                           ;   in Loop: Header=BB2057_98 Depth=2
	ds_load_u16 v2, v79 offset:2560
	s_waitcnt lgkmcnt(0)
	v_cmp_ne_u16_e64 s33, 0x7fff, v2
	s_delay_alu instid0(VALU_DEP_1) | instskip(NEXT) | instid1(VALU_DEP_1)
	v_cndmask_b32_e64 v2, 0xffff8000, v2, s33
	v_and_b32_e32 v2, 0xffff, v2
	s_delay_alu instid0(VALU_DEP_1) | instskip(NEXT) | instid1(VALU_DEP_1)
	v_lshrrev_b32_e32 v2, s48, v2
	v_and_b32_e32 v139, s55, v2
	s_or_b32 exec_lo, exec_lo, s34
	s_and_saveexec_b32 s34, s21
	s_cbranch_execnz .LBB2057_231
.LBB2057_262:                           ;   in Loop: Header=BB2057_98 Depth=2
	s_or_b32 exec_lo, exec_lo, s34
	s_and_saveexec_b32 s34, s22
	s_cbranch_execz .LBB2057_232
.LBB2057_263:                           ;   in Loop: Header=BB2057_98 Depth=2
	ds_load_u16 v2, v79 offset:3584
	s_waitcnt lgkmcnt(0)
	v_cmp_ne_u16_e64 s33, 0x7fff, v2
	s_delay_alu instid0(VALU_DEP_1) | instskip(NEXT) | instid1(VALU_DEP_1)
	v_cndmask_b32_e64 v2, 0xffff8000, v2, s33
	v_and_b32_e32 v2, 0xffff, v2
	s_delay_alu instid0(VALU_DEP_1) | instskip(NEXT) | instid1(VALU_DEP_1)
	v_lshrrev_b32_e32 v2, s48, v2
	v_and_b32_e32 v137, s55, v2
	s_or_b32 exec_lo, exec_lo, s34
	s_and_saveexec_b32 s34, s23
	s_cbranch_execnz .LBB2057_233
.LBB2057_264:                           ;   in Loop: Header=BB2057_98 Depth=2
	s_or_b32 exec_lo, exec_lo, s34
	s_and_saveexec_b32 s34, s24
	s_cbranch_execz .LBB2057_234
.LBB2057_265:                           ;   in Loop: Header=BB2057_98 Depth=2
	ds_load_u16 v2, v79 offset:4608
	s_waitcnt lgkmcnt(0)
	v_cmp_ne_u16_e64 s33, 0x7fff, v2
	s_delay_alu instid0(VALU_DEP_1) | instskip(NEXT) | instid1(VALU_DEP_1)
	v_cndmask_b32_e64 v2, 0xffff8000, v2, s33
	v_and_b32_e32 v2, 0xffff, v2
	s_delay_alu instid0(VALU_DEP_1) | instskip(NEXT) | instid1(VALU_DEP_1)
	v_lshrrev_b32_e32 v2, s48, v2
	v_and_b32_e32 v135, s55, v2
	s_or_b32 exec_lo, exec_lo, s34
	s_and_saveexec_b32 s34, s25
	s_cbranch_execnz .LBB2057_235
.LBB2057_266:                           ;   in Loop: Header=BB2057_98 Depth=2
	s_or_b32 exec_lo, exec_lo, s34
	s_and_saveexec_b32 s34, s27
	s_cbranch_execz .LBB2057_236
.LBB2057_267:                           ;   in Loop: Header=BB2057_98 Depth=2
	ds_load_u16 v2, v79 offset:5632
	s_waitcnt lgkmcnt(0)
	v_cmp_ne_u16_e64 s33, 0x7fff, v2
	s_delay_alu instid0(VALU_DEP_1) | instskip(NEXT) | instid1(VALU_DEP_1)
	v_cndmask_b32_e64 v2, 0xffff8000, v2, s33
	v_and_b32_e32 v2, 0xffff, v2
	s_delay_alu instid0(VALU_DEP_1) | instskip(NEXT) | instid1(VALU_DEP_1)
	v_lshrrev_b32_e32 v2, s48, v2
	v_and_b32_e32 v133, s55, v2
	s_or_b32 exec_lo, exec_lo, s34
	s_and_saveexec_b32 s34, s28
	s_cbranch_execnz .LBB2057_237
.LBB2057_268:                           ;   in Loop: Header=BB2057_98 Depth=2
	s_or_b32 exec_lo, exec_lo, s34
	s_and_saveexec_b32 s34, s29
	s_cbranch_execz .LBB2057_238
.LBB2057_269:                           ;   in Loop: Header=BB2057_98 Depth=2
	ds_load_u16 v2, v79 offset:6656
	s_waitcnt lgkmcnt(0)
	v_cmp_ne_u16_e64 s33, 0x7fff, v2
	s_delay_alu instid0(VALU_DEP_1) | instskip(NEXT) | instid1(VALU_DEP_1)
	v_cndmask_b32_e64 v2, 0xffff8000, v2, s33
	v_and_b32_e32 v2, 0xffff, v2
	s_delay_alu instid0(VALU_DEP_1) | instskip(NEXT) | instid1(VALU_DEP_1)
	v_lshrrev_b32_e32 v2, s48, v2
	v_and_b32_e32 v131, s55, v2
	s_or_b32 exec_lo, exec_lo, s34
	s_and_saveexec_b32 s34, s30
	s_cbranch_execnz .LBB2057_239
.LBB2057_270:                           ;   in Loop: Header=BB2057_98 Depth=2
	s_or_b32 exec_lo, exec_lo, s34
	s_and_saveexec_b32 s34, s31
	s_cbranch_execz .LBB2057_272
.LBB2057_271:                           ;   in Loop: Header=BB2057_98 Depth=2
	ds_load_u16 v2, v79 offset:7680
	s_waitcnt lgkmcnt(0)
	v_cmp_ne_u16_e64 s33, 0x7fff, v2
	s_delay_alu instid0(VALU_DEP_1) | instskip(NEXT) | instid1(VALU_DEP_1)
	v_cndmask_b32_e64 v2, 0xffff8000, v2, s33
	v_and_b32_e32 v2, 0xffff, v2
	s_delay_alu instid0(VALU_DEP_1) | instskip(NEXT) | instid1(VALU_DEP_1)
	v_lshrrev_b32_e32 v2, s48, v2
	v_and_b32_e32 v129, s55, v2
.LBB2057_272:                           ;   in Loop: Header=BB2057_98 Depth=2
	s_or_b32 exec_lo, exec_lo, s34
	v_lshlrev_b32_e32 v2, 3, v168
	v_lshlrev_b32_e32 v36, 3, v164
	s_waitcnt vmcnt(0)
	s_waitcnt_vscnt null, 0x0
	s_barrier
	buffer_gl0_inv
	ds_store_b64 v2, v[34:35] offset:1024
	v_lshlrev_b32_e32 v2, 3, v160
	v_lshlrev_b32_e32 v37, 3, v156
	;; [unrolled: 1-line block ×4, first 2 shown]
	ds_store_b64 v36, v[32:33] offset:1024
	ds_store_b64 v2, v[30:31] offset:1024
	;; [unrolled: 1-line block ×5, first 2 shown]
	v_lshlrev_b32_e32 v2, 3, v152
	v_lshlrev_b32_e32 v36, 3, v151
	;; [unrolled: 1-line block ×5, first 2 shown]
	ds_store_b64 v2, v[22:23] offset:1024
	ds_store_b64 v36, v[20:21] offset:1024
	;; [unrolled: 1-line block ×5, first 2 shown]
	v_lshlrev_b32_e32 v2, 3, v40
	v_lshlrev_b32_e32 v36, 3, v39
	;; [unrolled: 1-line block ×5, first 2 shown]
	ds_store_b64 v2, v[12:13] offset:1024
	ds_store_b64 v36, v[10:11] offset:1024
	;; [unrolled: 1-line block ×5, first 2 shown]
	s_waitcnt lgkmcnt(0)
	s_barrier
	buffer_gl0_inv
	s_and_saveexec_b32 s33, vcc_lo
	s_cbranch_execz .LBB2057_288
; %bb.273:                              ;   in Loop: Header=BB2057_98 Depth=2
	v_lshlrev_b32_e32 v2, 2, v144
	ds_load_b32 v2, v2
	ds_load_b64 v[36:37], v80 offset:1024
	s_waitcnt lgkmcnt(1)
	v_add_nc_u32_e32 v2, v2, v1
	s_delay_alu instid0(VALU_DEP_1) | instskip(NEXT) | instid1(VALU_DEP_1)
	v_lshlrev_b64 v[39:40], 3, v[2:3]
	v_add_co_u32 v39, vcc_lo, s44, v39
	s_delay_alu instid0(VALU_DEP_2)
	v_add_co_ci_u32_e32 v40, vcc_lo, s45, v40, vcc_lo
	s_waitcnt lgkmcnt(0)
	global_store_b64 v[39:40], v[36:37], off
	s_or_b32 exec_lo, exec_lo, s33
	s_and_saveexec_b32 s33, s16
	s_cbranch_execnz .LBB2057_289
.LBB2057_274:                           ;   in Loop: Header=BB2057_98 Depth=2
	s_or_b32 exec_lo, exec_lo, s33
	s_and_saveexec_b32 s16, s17
	s_cbranch_execz .LBB2057_290
.LBB2057_275:                           ;   in Loop: Header=BB2057_98 Depth=2
	v_lshlrev_b32_e32 v2, 2, v142
	v_add_nc_u32_e32 v36, v79, v81
	ds_load_b32 v2, v2
	ds_load_b64 v[36:37], v36 offset:4096
	s_waitcnt lgkmcnt(1)
	v_add_nc_u32_e32 v2, v2, v46
	s_delay_alu instid0(VALU_DEP_1) | instskip(NEXT) | instid1(VALU_DEP_1)
	v_lshlrev_b64 v[39:40], 3, v[2:3]
	v_add_co_u32 v39, vcc_lo, s44, v39
	s_delay_alu instid0(VALU_DEP_2)
	v_add_co_ci_u32_e32 v40, vcc_lo, s45, v40, vcc_lo
	s_waitcnt lgkmcnt(0)
	global_store_b64 v[39:40], v[36:37], off
	s_or_b32 exec_lo, exec_lo, s16
	s_and_saveexec_b32 s16, s18
	s_cbranch_execnz .LBB2057_291
.LBB2057_276:                           ;   in Loop: Header=BB2057_98 Depth=2
	s_or_b32 exec_lo, exec_lo, s16
	s_and_saveexec_b32 s16, s19
	s_cbranch_execz .LBB2057_292
.LBB2057_277:                           ;   in Loop: Header=BB2057_98 Depth=2
	v_lshlrev_b32_e32 v2, 2, v140
	v_add_nc_u32_e32 v36, v79, v81
	ds_load_b32 v2, v2
	ds_load_b64 v[36:37], v36 offset:8192
	s_waitcnt lgkmcnt(1)
	v_add_nc_u32_e32 v2, v2, v51
	s_delay_alu instid0(VALU_DEP_1) | instskip(NEXT) | instid1(VALU_DEP_1)
	v_lshlrev_b64 v[39:40], 3, v[2:3]
	v_add_co_u32 v39, vcc_lo, s44, v39
	s_delay_alu instid0(VALU_DEP_2)
	v_add_co_ci_u32_e32 v40, vcc_lo, s45, v40, vcc_lo
	s_waitcnt lgkmcnt(0)
	global_store_b64 v[39:40], v[36:37], off
	s_or_b32 exec_lo, exec_lo, s16
	s_and_saveexec_b32 s16, s20
	s_cbranch_execnz .LBB2057_293
.LBB2057_278:                           ;   in Loop: Header=BB2057_98 Depth=2
	s_or_b32 exec_lo, exec_lo, s16
	s_and_saveexec_b32 s16, s21
	s_cbranch_execz .LBB2057_294
.LBB2057_279:                           ;   in Loop: Header=BB2057_98 Depth=2
	v_lshlrev_b32_e32 v2, 2, v138
	v_add_nc_u32_e32 v36, v79, v81
	ds_load_b32 v2, v2
	ds_load_b64 v[36:37], v36 offset:12288
	s_waitcnt lgkmcnt(1)
	v_add_nc_u32_e32 v2, v2, v53
	s_delay_alu instid0(VALU_DEP_1) | instskip(NEXT) | instid1(VALU_DEP_1)
	v_lshlrev_b64 v[39:40], 3, v[2:3]
	v_add_co_u32 v39, vcc_lo, s44, v39
	s_delay_alu instid0(VALU_DEP_2)
	v_add_co_ci_u32_e32 v40, vcc_lo, s45, v40, vcc_lo
	s_waitcnt lgkmcnt(0)
	global_store_b64 v[39:40], v[36:37], off
	s_or_b32 exec_lo, exec_lo, s16
	s_and_saveexec_b32 s16, s22
	s_cbranch_execnz .LBB2057_295
.LBB2057_280:                           ;   in Loop: Header=BB2057_98 Depth=2
	s_or_b32 exec_lo, exec_lo, s16
	s_and_saveexec_b32 s16, s23
	s_cbranch_execz .LBB2057_296
.LBB2057_281:                           ;   in Loop: Header=BB2057_98 Depth=2
	v_lshlrev_b32_e32 v2, 2, v136
	v_add_nc_u32_e32 v36, v79, v81
	ds_load_b32 v2, v2
	ds_load_b64 v[36:37], v36 offset:16384
	s_waitcnt lgkmcnt(1)
	v_add_nc_u32_e32 v2, v2, v55
	s_delay_alu instid0(VALU_DEP_1) | instskip(NEXT) | instid1(VALU_DEP_1)
	v_lshlrev_b64 v[39:40], 3, v[2:3]
	v_add_co_u32 v39, vcc_lo, s44, v39
	s_delay_alu instid0(VALU_DEP_2)
	v_add_co_ci_u32_e32 v40, vcc_lo, s45, v40, vcc_lo
	s_waitcnt lgkmcnt(0)
	global_store_b64 v[39:40], v[36:37], off
	s_or_b32 exec_lo, exec_lo, s16
	s_and_saveexec_b32 s16, s24
	s_cbranch_execnz .LBB2057_297
.LBB2057_282:                           ;   in Loop: Header=BB2057_98 Depth=2
	s_or_b32 exec_lo, exec_lo, s16
	s_and_saveexec_b32 s16, s25
	s_cbranch_execz .LBB2057_298
.LBB2057_283:                           ;   in Loop: Header=BB2057_98 Depth=2
	v_lshlrev_b32_e32 v2, 2, v134
	v_add_nc_u32_e32 v36, v79, v81
	ds_load_b32 v2, v2
	ds_load_b64 v[36:37], v36 offset:20480
	s_waitcnt lgkmcnt(1)
	v_add_nc_u32_e32 v2, v2, v57
	s_delay_alu instid0(VALU_DEP_1) | instskip(NEXT) | instid1(VALU_DEP_1)
	v_lshlrev_b64 v[39:40], 3, v[2:3]
	v_add_co_u32 v39, vcc_lo, s44, v39
	s_delay_alu instid0(VALU_DEP_2)
	v_add_co_ci_u32_e32 v40, vcc_lo, s45, v40, vcc_lo
	s_waitcnt lgkmcnt(0)
	global_store_b64 v[39:40], v[36:37], off
	s_or_b32 exec_lo, exec_lo, s16
	s_and_saveexec_b32 s16, s27
	s_cbranch_execnz .LBB2057_299
.LBB2057_284:                           ;   in Loop: Header=BB2057_98 Depth=2
	s_or_b32 exec_lo, exec_lo, s16
	s_and_saveexec_b32 s16, s28
	s_cbranch_execz .LBB2057_300
.LBB2057_285:                           ;   in Loop: Header=BB2057_98 Depth=2
	v_lshlrev_b32_e32 v2, 2, v132
	v_add_nc_u32_e32 v36, v79, v81
	ds_load_b32 v2, v2
	ds_load_b64 v[36:37], v36 offset:24576
	s_waitcnt lgkmcnt(1)
	v_add_nc_u32_e32 v2, v2, v59
	s_delay_alu instid0(VALU_DEP_1) | instskip(NEXT) | instid1(VALU_DEP_1)
	v_lshlrev_b64 v[39:40], 3, v[2:3]
	v_add_co_u32 v39, vcc_lo, s44, v39
	s_delay_alu instid0(VALU_DEP_2)
	v_add_co_ci_u32_e32 v40, vcc_lo, s45, v40, vcc_lo
	s_waitcnt lgkmcnt(0)
	global_store_b64 v[39:40], v[36:37], off
	s_or_b32 exec_lo, exec_lo, s16
	s_and_saveexec_b32 s16, s29
	s_cbranch_execnz .LBB2057_301
.LBB2057_286:                           ;   in Loop: Header=BB2057_98 Depth=2
	s_or_b32 exec_lo, exec_lo, s16
	s_and_saveexec_b32 s16, s30
	s_cbranch_execz .LBB2057_302
.LBB2057_287:                           ;   in Loop: Header=BB2057_98 Depth=2
	v_lshlrev_b32_e32 v2, 2, v130
	v_add_nc_u32_e32 v36, v79, v81
	ds_load_b32 v2, v2
	ds_load_b64 v[36:37], v36 offset:28672
	s_waitcnt lgkmcnt(1)
	v_add_nc_u32_e32 v2, v2, v61
	s_delay_alu instid0(VALU_DEP_1) | instskip(NEXT) | instid1(VALU_DEP_1)
	v_lshlrev_b64 v[39:40], 3, v[2:3]
	v_add_co_u32 v39, vcc_lo, s44, v39
	s_delay_alu instid0(VALU_DEP_2)
	v_add_co_ci_u32_e32 v40, vcc_lo, s45, v40, vcc_lo
	s_waitcnt lgkmcnt(0)
	global_store_b64 v[39:40], v[36:37], off
	s_or_b32 exec_lo, exec_lo, s16
	s_and_saveexec_b32 s16, s31
	s_cbranch_execnz .LBB2057_303
	s_branch .LBB2057_304
.LBB2057_288:                           ;   in Loop: Header=BB2057_98 Depth=2
	s_or_b32 exec_lo, exec_lo, s33
	s_and_saveexec_b32 s33, s16
	s_cbranch_execz .LBB2057_274
.LBB2057_289:                           ;   in Loop: Header=BB2057_98 Depth=2
	v_lshlrev_b32_e32 v2, 2, v143
	v_add_nc_u32_e32 v36, v79, v81
	ds_load_b32 v2, v2
	ds_load_b64 v[36:37], v36 offset:2048
	s_waitcnt lgkmcnt(1)
	v_add_nc_u32_e32 v2, v2, v45
	s_delay_alu instid0(VALU_DEP_1) | instskip(NEXT) | instid1(VALU_DEP_1)
	v_lshlrev_b64 v[39:40], 3, v[2:3]
	v_add_co_u32 v39, vcc_lo, s44, v39
	s_delay_alu instid0(VALU_DEP_2)
	v_add_co_ci_u32_e32 v40, vcc_lo, s45, v40, vcc_lo
	s_waitcnt lgkmcnt(0)
	global_store_b64 v[39:40], v[36:37], off
	s_or_b32 exec_lo, exec_lo, s33
	s_and_saveexec_b32 s16, s17
	s_cbranch_execnz .LBB2057_275
.LBB2057_290:                           ;   in Loop: Header=BB2057_98 Depth=2
	s_or_b32 exec_lo, exec_lo, s16
	s_and_saveexec_b32 s16, s18
	s_cbranch_execz .LBB2057_276
.LBB2057_291:                           ;   in Loop: Header=BB2057_98 Depth=2
	v_lshlrev_b32_e32 v2, 2, v141
	v_add_nc_u32_e32 v36, v79, v81
	ds_load_b32 v2, v2
	ds_load_b64 v[36:37], v36 offset:6144
	s_waitcnt lgkmcnt(1)
	v_add_nc_u32_e32 v2, v2, v47
	s_delay_alu instid0(VALU_DEP_1) | instskip(NEXT) | instid1(VALU_DEP_1)
	v_lshlrev_b64 v[39:40], 3, v[2:3]
	v_add_co_u32 v39, vcc_lo, s44, v39
	s_delay_alu instid0(VALU_DEP_2)
	v_add_co_ci_u32_e32 v40, vcc_lo, s45, v40, vcc_lo
	s_waitcnt lgkmcnt(0)
	global_store_b64 v[39:40], v[36:37], off
	s_or_b32 exec_lo, exec_lo, s16
	s_and_saveexec_b32 s16, s19
	s_cbranch_execnz .LBB2057_277
.LBB2057_292:                           ;   in Loop: Header=BB2057_98 Depth=2
	s_or_b32 exec_lo, exec_lo, s16
	s_and_saveexec_b32 s16, s20
	s_cbranch_execz .LBB2057_278
.LBB2057_293:                           ;   in Loop: Header=BB2057_98 Depth=2
	v_lshlrev_b32_e32 v2, 2, v139
	v_add_nc_u32_e32 v36, v79, v81
	ds_load_b32 v2, v2
	ds_load_b64 v[36:37], v36 offset:10240
	s_waitcnt lgkmcnt(1)
	v_add_nc_u32_e32 v2, v2, v52
	s_delay_alu instid0(VALU_DEP_1) | instskip(NEXT) | instid1(VALU_DEP_1)
	v_lshlrev_b64 v[39:40], 3, v[2:3]
	v_add_co_u32 v39, vcc_lo, s44, v39
	s_delay_alu instid0(VALU_DEP_2)
	v_add_co_ci_u32_e32 v40, vcc_lo, s45, v40, vcc_lo
	s_waitcnt lgkmcnt(0)
	global_store_b64 v[39:40], v[36:37], off
	s_or_b32 exec_lo, exec_lo, s16
	s_and_saveexec_b32 s16, s21
	s_cbranch_execnz .LBB2057_279
.LBB2057_294:                           ;   in Loop: Header=BB2057_98 Depth=2
	s_or_b32 exec_lo, exec_lo, s16
	s_and_saveexec_b32 s16, s22
	s_cbranch_execz .LBB2057_280
.LBB2057_295:                           ;   in Loop: Header=BB2057_98 Depth=2
	v_lshlrev_b32_e32 v2, 2, v137
	v_add_nc_u32_e32 v36, v79, v81
	ds_load_b32 v2, v2
	ds_load_b64 v[36:37], v36 offset:14336
	s_waitcnt lgkmcnt(1)
	v_add_nc_u32_e32 v2, v2, v54
	s_delay_alu instid0(VALU_DEP_1) | instskip(NEXT) | instid1(VALU_DEP_1)
	v_lshlrev_b64 v[39:40], 3, v[2:3]
	v_add_co_u32 v39, vcc_lo, s44, v39
	s_delay_alu instid0(VALU_DEP_2)
	v_add_co_ci_u32_e32 v40, vcc_lo, s45, v40, vcc_lo
	s_waitcnt lgkmcnt(0)
	global_store_b64 v[39:40], v[36:37], off
	s_or_b32 exec_lo, exec_lo, s16
	s_and_saveexec_b32 s16, s23
	s_cbranch_execnz .LBB2057_281
.LBB2057_296:                           ;   in Loop: Header=BB2057_98 Depth=2
	s_or_b32 exec_lo, exec_lo, s16
	s_and_saveexec_b32 s16, s24
	s_cbranch_execz .LBB2057_282
.LBB2057_297:                           ;   in Loop: Header=BB2057_98 Depth=2
	v_lshlrev_b32_e32 v2, 2, v135
	v_add_nc_u32_e32 v36, v79, v81
	ds_load_b32 v2, v2
	ds_load_b64 v[36:37], v36 offset:18432
	s_waitcnt lgkmcnt(1)
	v_add_nc_u32_e32 v2, v2, v56
	s_delay_alu instid0(VALU_DEP_1) | instskip(NEXT) | instid1(VALU_DEP_1)
	v_lshlrev_b64 v[39:40], 3, v[2:3]
	v_add_co_u32 v39, vcc_lo, s44, v39
	s_delay_alu instid0(VALU_DEP_2)
	v_add_co_ci_u32_e32 v40, vcc_lo, s45, v40, vcc_lo
	s_waitcnt lgkmcnt(0)
	global_store_b64 v[39:40], v[36:37], off
	s_or_b32 exec_lo, exec_lo, s16
	s_and_saveexec_b32 s16, s25
	s_cbranch_execnz .LBB2057_283
.LBB2057_298:                           ;   in Loop: Header=BB2057_98 Depth=2
	s_or_b32 exec_lo, exec_lo, s16
	s_and_saveexec_b32 s16, s27
	s_cbranch_execz .LBB2057_284
.LBB2057_299:                           ;   in Loop: Header=BB2057_98 Depth=2
	v_lshlrev_b32_e32 v2, 2, v133
	v_add_nc_u32_e32 v36, v79, v81
	ds_load_b32 v2, v2
	ds_load_b64 v[36:37], v36 offset:22528
	s_waitcnt lgkmcnt(1)
	v_add_nc_u32_e32 v2, v2, v58
	s_delay_alu instid0(VALU_DEP_1) | instskip(NEXT) | instid1(VALU_DEP_1)
	v_lshlrev_b64 v[39:40], 3, v[2:3]
	v_add_co_u32 v39, vcc_lo, s44, v39
	s_delay_alu instid0(VALU_DEP_2)
	v_add_co_ci_u32_e32 v40, vcc_lo, s45, v40, vcc_lo
	s_waitcnt lgkmcnt(0)
	global_store_b64 v[39:40], v[36:37], off
	s_or_b32 exec_lo, exec_lo, s16
	s_and_saveexec_b32 s16, s28
	s_cbranch_execnz .LBB2057_285
.LBB2057_300:                           ;   in Loop: Header=BB2057_98 Depth=2
	s_or_b32 exec_lo, exec_lo, s16
	s_and_saveexec_b32 s16, s29
	s_cbranch_execz .LBB2057_286
.LBB2057_301:                           ;   in Loop: Header=BB2057_98 Depth=2
	v_lshlrev_b32_e32 v2, 2, v131
	v_add_nc_u32_e32 v36, v79, v81
	ds_load_b32 v2, v2
	ds_load_b64 v[36:37], v36 offset:26624
	s_waitcnt lgkmcnt(1)
	v_add_nc_u32_e32 v2, v2, v60
	s_delay_alu instid0(VALU_DEP_1) | instskip(NEXT) | instid1(VALU_DEP_1)
	v_lshlrev_b64 v[39:40], 3, v[2:3]
	v_add_co_u32 v39, vcc_lo, s44, v39
	s_delay_alu instid0(VALU_DEP_2)
	v_add_co_ci_u32_e32 v40, vcc_lo, s45, v40, vcc_lo
	s_waitcnt lgkmcnt(0)
	global_store_b64 v[39:40], v[36:37], off
	s_or_b32 exec_lo, exec_lo, s16
	s_and_saveexec_b32 s16, s30
	s_cbranch_execnz .LBB2057_287
.LBB2057_302:                           ;   in Loop: Header=BB2057_98 Depth=2
	s_or_b32 exec_lo, exec_lo, s16
	s_and_saveexec_b32 s16, s31
	s_cbranch_execz .LBB2057_304
.LBB2057_303:                           ;   in Loop: Header=BB2057_98 Depth=2
	v_lshlrev_b32_e32 v2, 2, v129
	v_add_nc_u32_e32 v36, v79, v81
	ds_load_b32 v2, v2
	ds_load_b64 v[36:37], v36 offset:30720
	s_waitcnt lgkmcnt(1)
	v_add_nc_u32_e32 v2, v2, v63
	s_delay_alu instid0(VALU_DEP_1) | instskip(NEXT) | instid1(VALU_DEP_1)
	v_lshlrev_b64 v[39:40], 3, v[2:3]
	v_add_co_u32 v39, vcc_lo, s44, v39
	s_delay_alu instid0(VALU_DEP_2)
	v_add_co_ci_u32_e32 v40, vcc_lo, s45, v40, vcc_lo
	s_waitcnt lgkmcnt(0)
	global_store_b64 v[39:40], v[36:37], off
.LBB2057_304:                           ;   in Loop: Header=BB2057_98 Depth=2
	s_or_b32 exec_lo, exec_lo, s16
	s_waitcnt_vscnt null, 0x0
	s_barrier
	buffer_gl0_inv
	s_and_saveexec_b32 s16, s2
	s_cbranch_execz .LBB2057_97
; %bb.305:                              ;   in Loop: Header=BB2057_98 Depth=2
	ds_load_b32 v2, v44
	s_waitcnt lgkmcnt(0)
	v_add_nc_u32_e32 v2, v2, v38
	ds_store_b32 v44, v2
	s_branch .LBB2057_97
.LBB2057_306:                           ;   in Loop: Header=BB2057_12 Depth=1
	s_waitcnt lgkmcnt(0)
	s_mov_b32 s0, 0
	s_barrier
.LBB2057_307:                           ;   in Loop: Header=BB2057_12 Depth=1
	s_and_b32 vcc_lo, exec_lo, s0
	s_cbranch_vccz .LBB2057_601
; %bb.308:                              ;   in Loop: Header=BB2057_12 Depth=1
	s_mov_b32 s8, s54
	s_mov_b32 s34, s52
	s_barrier
	buffer_gl0_inv
                                        ; implicit-def: $vgpr20
                                        ; implicit-def: $vgpr2
                                        ; implicit-def: $vgpr6
                                        ; implicit-def: $vgpr7
                                        ; implicit-def: $vgpr8
                                        ; implicit-def: $vgpr9
                                        ; implicit-def: $vgpr10
                                        ; implicit-def: $vgpr11
                                        ; implicit-def: $vgpr12
                                        ; implicit-def: $vgpr13
                                        ; implicit-def: $vgpr14
                                        ; implicit-def: $vgpr15
                                        ; implicit-def: $vgpr16
                                        ; implicit-def: $vgpr17
                                        ; implicit-def: $vgpr18
                                        ; implicit-def: $vgpr19
	s_branch .LBB2057_310
.LBB2057_309:                           ;   in Loop: Header=BB2057_310 Depth=2
	s_or_b32 exec_lo, exec_lo, s0
	s_addk_i32 s8, 0xf000
	s_cmp_ge_u32 s9, s53
	s_mov_b32 s34, s9
	s_cbranch_scc1 .LBB2057_380
.LBB2057_310:                           ;   Parent Loop BB2057_12 Depth=1
                                        ; =>  This Inner Loop Header: Depth=2
	s_add_i32 s9, s34, 0x1000
	s_delay_alu instid0(SALU_CYCLE_1)
	s_cmp_gt_u32 s9, s53
	s_cbranch_scc1 .LBB2057_313
; %bb.311:                              ;   in Loop: Header=BB2057_310 Depth=2
	s_mov_b32 s1, 0
	s_mov_b32 s0, s34
	s_delay_alu instid0(SALU_CYCLE_1) | instskip(NEXT) | instid1(SALU_CYCLE_1)
	s_lshl_b64 s[10:11], s[0:1], 1
	v_add_co_u32 v4, vcc_lo, v82, s10
	v_add_co_ci_u32_e32 v5, vcc_lo, s11, v83, vcc_lo
	s_movk_i32 s11, 0x1000
	s_waitcnt vmcnt(0)
	s_delay_alu instid0(VALU_DEP_2) | instskip(NEXT) | instid1(VALU_DEP_2)
	v_add_co_u32 v36, vcc_lo, 0x1000, v4
	v_add_co_ci_u32_e32 v37, vcc_lo, 0, v5, vcc_lo
	s_clause 0xe
	global_load_u16 v22, v[4:5], off
	global_load_u16 v23, v[4:5], off offset:512
	global_load_u16 v24, v[4:5], off offset:1024
	;; [unrolled: 1-line block ×7, first 2 shown]
	global_load_u16 v30, v[36:37], off
	global_load_u16 v31, v[36:37], off offset:512
	global_load_u16 v32, v[36:37], off offset:1024
	;; [unrolled: 1-line block ×6, first 2 shown]
	v_add_co_u32 v4, vcc_lo, 0x1e00, v4
	v_add_co_ci_u32_e32 v5, vcc_lo, 0, v5, vcc_lo
	s_mov_b32 s10, -1
	s_cbranch_execz .LBB2057_314
; %bb.312:                              ;   in Loop: Header=BB2057_310 Depth=2
                                        ; implicit-def: $vgpr19
                                        ; implicit-def: $vgpr18
                                        ; implicit-def: $vgpr17
                                        ; implicit-def: $vgpr16
                                        ; implicit-def: $vgpr15
                                        ; implicit-def: $vgpr14
                                        ; implicit-def: $vgpr13
                                        ; implicit-def: $vgpr12
                                        ; implicit-def: $vgpr11
                                        ; implicit-def: $vgpr10
                                        ; implicit-def: $vgpr9
                                        ; implicit-def: $vgpr8
                                        ; implicit-def: $vgpr7
                                        ; implicit-def: $vgpr6
                                        ; implicit-def: $vgpr2
                                        ; implicit-def: $vgpr20
	v_mov_b32_e32 v21, s8
	s_and_saveexec_b32 s0, s10
	s_cbranch_execnz .LBB2057_333
	s_branch .LBB2057_334
.LBB2057_313:                           ;   in Loop: Header=BB2057_310 Depth=2
	s_mov_b32 s10, 0
                                        ; implicit-def: $sgpr11
                                        ; implicit-def: $vgpr22
                                        ; implicit-def: $vgpr23
                                        ; implicit-def: $vgpr24
                                        ; implicit-def: $vgpr25
                                        ; implicit-def: $vgpr26
                                        ; implicit-def: $vgpr27
                                        ; implicit-def: $vgpr28
                                        ; implicit-def: $vgpr29
                                        ; implicit-def: $vgpr30
                                        ; implicit-def: $vgpr31
                                        ; implicit-def: $vgpr32
                                        ; implicit-def: $vgpr33
                                        ; implicit-def: $vgpr34
                                        ; implicit-def: $vgpr35
                                        ; implicit-def: $vgpr36
                                        ; implicit-def: $vgpr4_vgpr5
.LBB2057_314:                           ;   in Loop: Header=BB2057_310 Depth=2
	s_lshl_b64 s[0:1], s[34:35], 1
	s_mov_b32 s11, exec_lo
	s_add_u32 s0, s38, s0
	s_addc_u32 s1, s39, s1
	v_cmpx_gt_u32_e64 s8, v1
	s_cbranch_execz .LBB2057_366
; %bb.315:                              ;   in Loop: Header=BB2057_310 Depth=2
	global_load_u16 v19, v95, s[0:1]
	s_or_b32 exec_lo, exec_lo, s11
	s_delay_alu instid0(SALU_CYCLE_1)
	s_mov_b32 s11, exec_lo
	v_cmpx_gt_u32_e64 s8, v45
	s_cbranch_execnz .LBB2057_367
.LBB2057_316:                           ;   in Loop: Header=BB2057_310 Depth=2
	s_or_b32 exec_lo, exec_lo, s11
	s_delay_alu instid0(SALU_CYCLE_1)
	s_mov_b32 s11, exec_lo
	v_cmpx_gt_u32_e64 s8, v46
	s_cbranch_execz .LBB2057_368
.LBB2057_317:                           ;   in Loop: Header=BB2057_310 Depth=2
	global_load_u16 v17, v95, s[0:1] offset:1024
	s_or_b32 exec_lo, exec_lo, s11
	s_delay_alu instid0(SALU_CYCLE_1)
	s_mov_b32 s11, exec_lo
	v_cmpx_gt_u32_e64 s8, v47
	s_cbranch_execnz .LBB2057_369
.LBB2057_318:                           ;   in Loop: Header=BB2057_310 Depth=2
	s_or_b32 exec_lo, exec_lo, s11
	s_delay_alu instid0(SALU_CYCLE_1)
	s_mov_b32 s11, exec_lo
	v_cmpx_gt_u32_e64 s8, v51
	s_cbranch_execz .LBB2057_370
.LBB2057_319:                           ;   in Loop: Header=BB2057_310 Depth=2
	global_load_u16 v15, v95, s[0:1] offset:2048
	s_or_b32 exec_lo, exec_lo, s11
	s_delay_alu instid0(SALU_CYCLE_1)
	s_mov_b32 s11, exec_lo
	v_cmpx_gt_u32_e64 s8, v52
	s_cbranch_execnz .LBB2057_371
.LBB2057_320:                           ;   in Loop: Header=BB2057_310 Depth=2
	s_or_b32 exec_lo, exec_lo, s11
	s_delay_alu instid0(SALU_CYCLE_1)
	s_mov_b32 s11, exec_lo
	v_cmpx_gt_u32_e64 s8, v53
	s_cbranch_execz .LBB2057_372
.LBB2057_321:                           ;   in Loop: Header=BB2057_310 Depth=2
	global_load_u16 v13, v95, s[0:1] offset:3072
	s_or_b32 exec_lo, exec_lo, s11
	s_delay_alu instid0(SALU_CYCLE_1)
	s_mov_b32 s11, exec_lo
	v_cmpx_gt_u32_e64 s8, v54
	s_cbranch_execnz .LBB2057_373
.LBB2057_322:                           ;   in Loop: Header=BB2057_310 Depth=2
	s_or_b32 exec_lo, exec_lo, s11
	s_delay_alu instid0(SALU_CYCLE_1)
	s_mov_b32 s11, exec_lo
	v_cmpx_gt_u32_e64 s8, v55
	s_cbranch_execz .LBB2057_374
.LBB2057_323:                           ;   in Loop: Header=BB2057_310 Depth=2
	global_load_u16 v11, v96, s[0:1]
	s_or_b32 exec_lo, exec_lo, s11
	s_delay_alu instid0(SALU_CYCLE_1)
	s_mov_b32 s11, exec_lo
	v_cmpx_gt_u32_e64 s8, v56
	s_cbranch_execnz .LBB2057_375
.LBB2057_324:                           ;   in Loop: Header=BB2057_310 Depth=2
	s_or_b32 exec_lo, exec_lo, s11
	s_delay_alu instid0(SALU_CYCLE_1)
	s_mov_b32 s11, exec_lo
	v_cmpx_gt_u32_e64 s8, v57
	s_cbranch_execz .LBB2057_376
.LBB2057_325:                           ;   in Loop: Header=BB2057_310 Depth=2
	global_load_u16 v9, v98, s[0:1]
	s_or_b32 exec_lo, exec_lo, s11
	s_delay_alu instid0(SALU_CYCLE_1)
	s_mov_b32 s11, exec_lo
	v_cmpx_gt_u32_e64 s8, v58
	s_cbranch_execnz .LBB2057_377
.LBB2057_326:                           ;   in Loop: Header=BB2057_310 Depth=2
	s_or_b32 exec_lo, exec_lo, s11
	s_delay_alu instid0(SALU_CYCLE_1)
	s_mov_b32 s11, exec_lo
	v_cmpx_gt_u32_e64 s8, v59
	s_cbranch_execz .LBB2057_378
.LBB2057_327:                           ;   in Loop: Header=BB2057_310 Depth=2
	global_load_u16 v7, v100, s[0:1]
	s_or_b32 exec_lo, exec_lo, s11
	s_delay_alu instid0(SALU_CYCLE_1)
	s_mov_b32 s11, exec_lo
	v_cmpx_gt_u32_e64 s8, v60
	s_cbranch_execnz .LBB2057_379
.LBB2057_328:                           ;   in Loop: Header=BB2057_310 Depth=2
	s_or_b32 exec_lo, exec_lo, s11
	s_delay_alu instid0(SALU_CYCLE_1)
	s_mov_b32 s11, exec_lo
	v_cmpx_gt_u32_e64 s8, v61
	s_cbranch_execz .LBB2057_330
.LBB2057_329:                           ;   in Loop: Header=BB2057_310 Depth=2
	global_load_u16 v2, v102, s[0:1]
.LBB2057_330:                           ;   in Loop: Header=BB2057_310 Depth=2
	s_or_b32 exec_lo, exec_lo, s11
	s_delay_alu instid0(SALU_CYCLE_1)
	s_mov_b32 s12, exec_lo
                                        ; implicit-def: $sgpr11
                                        ; implicit-def: $vgpr4_vgpr5
	v_cmpx_gt_u32_e64 s8, v63
; %bb.331:                              ;   in Loop: Header=BB2057_310 Depth=2
	v_add_co_u32 v4, s0, s0, v103
	s_delay_alu instid0(VALU_DEP_1)
	v_add_co_ci_u32_e64 v5, null, s1, 0, s0
	s_sub_i32 s11, s53, s34
	s_or_b32 s10, s10, exec_lo
                                        ; implicit-def: $vgpr20
; %bb.332:                              ;   in Loop: Header=BB2057_310 Depth=2
	s_or_b32 exec_lo, exec_lo, s12
	s_waitcnt vmcnt(0)
	v_dual_mov_b32 v22, v19 :: v_dual_mov_b32 v23, v18
	v_dual_mov_b32 v24, v17 :: v_dual_mov_b32 v25, v16
	;; [unrolled: 1-line block ×8, first 2 shown]
	s_and_saveexec_b32 s0, s10
	s_cbranch_execz .LBB2057_334
.LBB2057_333:                           ;   in Loop: Header=BB2057_310 Depth=2
	global_load_u16 v20, v[4:5], off
	s_waitcnt vmcnt(1)
	v_dual_mov_b32 v21, s11 :: v_dual_mov_b32 v2, v36
	v_dual_mov_b32 v6, v35 :: v_dual_mov_b32 v7, v34
	;; [unrolled: 1-line block ×8, first 2 shown]
.LBB2057_334:                           ;   in Loop: Header=BB2057_310 Depth=2
	s_or_b32 exec_lo, exec_lo, s0
	s_delay_alu instid0(SALU_CYCLE_1)
	s_mov_b32 s0, exec_lo
	v_cmpx_lt_u32_e64 v1, v21
	s_cbranch_execz .LBB2057_350
; %bb.335:                              ;   in Loop: Header=BB2057_310 Depth=2
	v_cmp_lt_i16_e32 vcc_lo, -1, v19
	v_lshlrev_b32_e32 v5, 2, v48
	v_cndmask_b32_e64 v4, -1, 0xffff8000, vcc_lo
	s_delay_alu instid0(VALU_DEP_1) | instskip(NEXT) | instid1(VALU_DEP_1)
	v_xor_b32_e32 v4, v4, v19
	v_cmp_ne_u16_e32 vcc_lo, 0x7fff, v4
	v_cndmask_b32_e32 v4, 0xffff8000, v4, vcc_lo
	s_delay_alu instid0(VALU_DEP_1) | instskip(NEXT) | instid1(VALU_DEP_1)
	v_and_b32_e32 v4, 0xffff, v4
	v_lshrrev_b32_e32 v4, s48, v4
	s_delay_alu instid0(VALU_DEP_1) | instskip(NEXT) | instid1(VALU_DEP_1)
	v_and_b32_e32 v4, s55, v4
	v_lshl_or_b32 v4, v4, 4, v5
	ds_add_u32 v4, v94
	s_or_b32 exec_lo, exec_lo, s0
	s_delay_alu instid0(SALU_CYCLE_1)
	s_mov_b32 s0, exec_lo
	v_cmpx_lt_u32_e64 v45, v21
	s_cbranch_execnz .LBB2057_351
.LBB2057_336:                           ;   in Loop: Header=BB2057_310 Depth=2
	s_or_b32 exec_lo, exec_lo, s0
	s_delay_alu instid0(SALU_CYCLE_1)
	s_mov_b32 s0, exec_lo
	v_cmpx_lt_u32_e64 v46, v21
	s_cbranch_execz .LBB2057_352
.LBB2057_337:                           ;   in Loop: Header=BB2057_310 Depth=2
	v_cmp_lt_i16_e32 vcc_lo, -1, v17
	v_lshlrev_b32_e32 v5, 2, v48
	v_cndmask_b32_e64 v4, -1, 0xffff8000, vcc_lo
	s_delay_alu instid0(VALU_DEP_1) | instskip(NEXT) | instid1(VALU_DEP_1)
	v_xor_b32_e32 v4, v4, v17
	v_cmp_ne_u16_e32 vcc_lo, 0x7fff, v4
	v_cndmask_b32_e32 v4, 0xffff8000, v4, vcc_lo
	s_delay_alu instid0(VALU_DEP_1) | instskip(NEXT) | instid1(VALU_DEP_1)
	v_and_b32_e32 v4, 0xffff, v4
	v_lshrrev_b32_e32 v4, s48, v4
	s_delay_alu instid0(VALU_DEP_1) | instskip(NEXT) | instid1(VALU_DEP_1)
	v_and_b32_e32 v4, s55, v4
	v_lshl_or_b32 v4, v4, 4, v5
	ds_add_u32 v4, v94
	s_or_b32 exec_lo, exec_lo, s0
	s_delay_alu instid0(SALU_CYCLE_1)
	s_mov_b32 s0, exec_lo
	v_cmpx_lt_u32_e64 v47, v21
	s_cbranch_execnz .LBB2057_353
.LBB2057_338:                           ;   in Loop: Header=BB2057_310 Depth=2
	s_or_b32 exec_lo, exec_lo, s0
	s_delay_alu instid0(SALU_CYCLE_1)
	s_mov_b32 s0, exec_lo
	v_cmpx_lt_u32_e64 v51, v21
	s_cbranch_execz .LBB2057_354
.LBB2057_339:                           ;   in Loop: Header=BB2057_310 Depth=2
	v_cmp_lt_i16_e32 vcc_lo, -1, v15
	v_lshlrev_b32_e32 v5, 2, v48
	v_cndmask_b32_e64 v4, -1, 0xffff8000, vcc_lo
	s_delay_alu instid0(VALU_DEP_1) | instskip(NEXT) | instid1(VALU_DEP_1)
	v_xor_b32_e32 v4, v4, v15
	v_cmp_ne_u16_e32 vcc_lo, 0x7fff, v4
	v_cndmask_b32_e32 v4, 0xffff8000, v4, vcc_lo
	s_delay_alu instid0(VALU_DEP_1) | instskip(NEXT) | instid1(VALU_DEP_1)
	v_and_b32_e32 v4, 0xffff, v4
	v_lshrrev_b32_e32 v4, s48, v4
	s_delay_alu instid0(VALU_DEP_1) | instskip(NEXT) | instid1(VALU_DEP_1)
	v_and_b32_e32 v4, s55, v4
	v_lshl_or_b32 v4, v4, 4, v5
	ds_add_u32 v4, v94
	s_or_b32 exec_lo, exec_lo, s0
	s_delay_alu instid0(SALU_CYCLE_1)
	s_mov_b32 s0, exec_lo
	v_cmpx_lt_u32_e64 v52, v21
	s_cbranch_execnz .LBB2057_355
.LBB2057_340:                           ;   in Loop: Header=BB2057_310 Depth=2
	s_or_b32 exec_lo, exec_lo, s0
	s_delay_alu instid0(SALU_CYCLE_1)
	s_mov_b32 s0, exec_lo
	v_cmpx_lt_u32_e64 v53, v21
	s_cbranch_execz .LBB2057_356
.LBB2057_341:                           ;   in Loop: Header=BB2057_310 Depth=2
	v_cmp_lt_i16_e32 vcc_lo, -1, v13
	v_lshlrev_b32_e32 v5, 2, v48
	v_cndmask_b32_e64 v4, -1, 0xffff8000, vcc_lo
	s_delay_alu instid0(VALU_DEP_1) | instskip(NEXT) | instid1(VALU_DEP_1)
	v_xor_b32_e32 v4, v4, v13
	v_cmp_ne_u16_e32 vcc_lo, 0x7fff, v4
	v_cndmask_b32_e32 v4, 0xffff8000, v4, vcc_lo
	s_delay_alu instid0(VALU_DEP_1) | instskip(NEXT) | instid1(VALU_DEP_1)
	v_and_b32_e32 v4, 0xffff, v4
	v_lshrrev_b32_e32 v4, s48, v4
	s_delay_alu instid0(VALU_DEP_1) | instskip(NEXT) | instid1(VALU_DEP_1)
	v_and_b32_e32 v4, s55, v4
	v_lshl_or_b32 v4, v4, 4, v5
	ds_add_u32 v4, v94
	s_or_b32 exec_lo, exec_lo, s0
	s_delay_alu instid0(SALU_CYCLE_1)
	s_mov_b32 s0, exec_lo
	v_cmpx_lt_u32_e64 v54, v21
	s_cbranch_execnz .LBB2057_357
.LBB2057_342:                           ;   in Loop: Header=BB2057_310 Depth=2
	s_or_b32 exec_lo, exec_lo, s0
	s_delay_alu instid0(SALU_CYCLE_1)
	s_mov_b32 s0, exec_lo
	v_cmpx_lt_u32_e64 v55, v21
	s_cbranch_execz .LBB2057_358
.LBB2057_343:                           ;   in Loop: Header=BB2057_310 Depth=2
	v_cmp_lt_i16_e32 vcc_lo, -1, v11
	v_lshlrev_b32_e32 v5, 2, v48
	v_cndmask_b32_e64 v4, -1, 0xffff8000, vcc_lo
	s_delay_alu instid0(VALU_DEP_1) | instskip(NEXT) | instid1(VALU_DEP_1)
	v_xor_b32_e32 v4, v4, v11
	v_cmp_ne_u16_e32 vcc_lo, 0x7fff, v4
	v_cndmask_b32_e32 v4, 0xffff8000, v4, vcc_lo
	s_delay_alu instid0(VALU_DEP_1) | instskip(NEXT) | instid1(VALU_DEP_1)
	v_and_b32_e32 v4, 0xffff, v4
	v_lshrrev_b32_e32 v4, s48, v4
	s_delay_alu instid0(VALU_DEP_1) | instskip(NEXT) | instid1(VALU_DEP_1)
	v_and_b32_e32 v4, s55, v4
	v_lshl_or_b32 v4, v4, 4, v5
	ds_add_u32 v4, v94
	s_or_b32 exec_lo, exec_lo, s0
	s_delay_alu instid0(SALU_CYCLE_1)
	s_mov_b32 s0, exec_lo
	v_cmpx_lt_u32_e64 v56, v21
	s_cbranch_execnz .LBB2057_359
.LBB2057_344:                           ;   in Loop: Header=BB2057_310 Depth=2
	s_or_b32 exec_lo, exec_lo, s0
	s_delay_alu instid0(SALU_CYCLE_1)
	s_mov_b32 s0, exec_lo
	v_cmpx_lt_u32_e64 v57, v21
	s_cbranch_execz .LBB2057_360
.LBB2057_345:                           ;   in Loop: Header=BB2057_310 Depth=2
	v_cmp_lt_i16_e32 vcc_lo, -1, v9
	v_lshlrev_b32_e32 v5, 2, v48
	v_cndmask_b32_e64 v4, -1, 0xffff8000, vcc_lo
	s_delay_alu instid0(VALU_DEP_1) | instskip(NEXT) | instid1(VALU_DEP_1)
	v_xor_b32_e32 v4, v4, v9
	v_cmp_ne_u16_e32 vcc_lo, 0x7fff, v4
	v_cndmask_b32_e32 v4, 0xffff8000, v4, vcc_lo
	s_delay_alu instid0(VALU_DEP_1) | instskip(NEXT) | instid1(VALU_DEP_1)
	v_and_b32_e32 v4, 0xffff, v4
	v_lshrrev_b32_e32 v4, s48, v4
	s_delay_alu instid0(VALU_DEP_1) | instskip(NEXT) | instid1(VALU_DEP_1)
	v_and_b32_e32 v4, s55, v4
	v_lshl_or_b32 v4, v4, 4, v5
	ds_add_u32 v4, v94
	s_or_b32 exec_lo, exec_lo, s0
	s_delay_alu instid0(SALU_CYCLE_1)
	s_mov_b32 s0, exec_lo
	v_cmpx_lt_u32_e64 v58, v21
	s_cbranch_execnz .LBB2057_361
.LBB2057_346:                           ;   in Loop: Header=BB2057_310 Depth=2
	s_or_b32 exec_lo, exec_lo, s0
	s_delay_alu instid0(SALU_CYCLE_1)
	s_mov_b32 s0, exec_lo
	v_cmpx_lt_u32_e64 v59, v21
	s_cbranch_execz .LBB2057_362
.LBB2057_347:                           ;   in Loop: Header=BB2057_310 Depth=2
	v_cmp_lt_i16_e32 vcc_lo, -1, v7
	v_lshlrev_b32_e32 v5, 2, v48
	v_cndmask_b32_e64 v4, -1, 0xffff8000, vcc_lo
	s_delay_alu instid0(VALU_DEP_1) | instskip(NEXT) | instid1(VALU_DEP_1)
	v_xor_b32_e32 v4, v4, v7
	v_cmp_ne_u16_e32 vcc_lo, 0x7fff, v4
	v_cndmask_b32_e32 v4, 0xffff8000, v4, vcc_lo
	s_delay_alu instid0(VALU_DEP_1) | instskip(NEXT) | instid1(VALU_DEP_1)
	v_and_b32_e32 v4, 0xffff, v4
	v_lshrrev_b32_e32 v4, s48, v4
	s_delay_alu instid0(VALU_DEP_1) | instskip(NEXT) | instid1(VALU_DEP_1)
	v_and_b32_e32 v4, s55, v4
	v_lshl_or_b32 v4, v4, 4, v5
	ds_add_u32 v4, v94
	s_or_b32 exec_lo, exec_lo, s0
	s_delay_alu instid0(SALU_CYCLE_1)
	s_mov_b32 s0, exec_lo
	v_cmpx_lt_u32_e64 v60, v21
	s_cbranch_execnz .LBB2057_363
.LBB2057_348:                           ;   in Loop: Header=BB2057_310 Depth=2
	s_or_b32 exec_lo, exec_lo, s0
	s_delay_alu instid0(SALU_CYCLE_1)
	s_mov_b32 s0, exec_lo
	v_cmpx_lt_u32_e64 v61, v21
	s_cbranch_execz .LBB2057_364
.LBB2057_349:                           ;   in Loop: Header=BB2057_310 Depth=2
	v_cmp_lt_i16_e32 vcc_lo, -1, v2
	v_lshlrev_b32_e32 v5, 2, v48
	v_cndmask_b32_e64 v4, -1, 0xffff8000, vcc_lo
	s_delay_alu instid0(VALU_DEP_1) | instskip(NEXT) | instid1(VALU_DEP_1)
	v_xor_b32_e32 v4, v4, v2
	v_cmp_ne_u16_e32 vcc_lo, 0x7fff, v4
	v_cndmask_b32_e32 v4, 0xffff8000, v4, vcc_lo
	s_delay_alu instid0(VALU_DEP_1) | instskip(NEXT) | instid1(VALU_DEP_1)
	v_and_b32_e32 v4, 0xffff, v4
	v_lshrrev_b32_e32 v4, s48, v4
	s_delay_alu instid0(VALU_DEP_1) | instskip(NEXT) | instid1(VALU_DEP_1)
	v_and_b32_e32 v4, s55, v4
	v_lshl_or_b32 v4, v4, 4, v5
	ds_add_u32 v4, v94
	s_or_b32 exec_lo, exec_lo, s0
	s_delay_alu instid0(SALU_CYCLE_1)
	s_mov_b32 s0, exec_lo
	v_cmpx_lt_u32_e64 v63, v21
	s_cbranch_execz .LBB2057_309
	s_branch .LBB2057_365
.LBB2057_350:                           ;   in Loop: Header=BB2057_310 Depth=2
	s_or_b32 exec_lo, exec_lo, s0
	s_delay_alu instid0(SALU_CYCLE_1)
	s_mov_b32 s0, exec_lo
	v_cmpx_lt_u32_e64 v45, v21
	s_cbranch_execz .LBB2057_336
.LBB2057_351:                           ;   in Loop: Header=BB2057_310 Depth=2
	v_cmp_lt_i16_e32 vcc_lo, -1, v18
	v_lshlrev_b32_e32 v5, 2, v48
	v_cndmask_b32_e64 v4, -1, 0xffff8000, vcc_lo
	s_delay_alu instid0(VALU_DEP_1) | instskip(NEXT) | instid1(VALU_DEP_1)
	v_xor_b32_e32 v4, v4, v18
	v_cmp_ne_u16_e32 vcc_lo, 0x7fff, v4
	v_cndmask_b32_e32 v4, 0xffff8000, v4, vcc_lo
	s_delay_alu instid0(VALU_DEP_1) | instskip(NEXT) | instid1(VALU_DEP_1)
	v_and_b32_e32 v4, 0xffff, v4
	v_lshrrev_b32_e32 v4, s48, v4
	s_delay_alu instid0(VALU_DEP_1) | instskip(NEXT) | instid1(VALU_DEP_1)
	v_and_b32_e32 v4, s55, v4
	v_lshl_or_b32 v4, v4, 4, v5
	ds_add_u32 v4, v94
	s_or_b32 exec_lo, exec_lo, s0
	s_delay_alu instid0(SALU_CYCLE_1)
	s_mov_b32 s0, exec_lo
	v_cmpx_lt_u32_e64 v46, v21
	s_cbranch_execnz .LBB2057_337
.LBB2057_352:                           ;   in Loop: Header=BB2057_310 Depth=2
	s_or_b32 exec_lo, exec_lo, s0
	s_delay_alu instid0(SALU_CYCLE_1)
	s_mov_b32 s0, exec_lo
	v_cmpx_lt_u32_e64 v47, v21
	s_cbranch_execz .LBB2057_338
.LBB2057_353:                           ;   in Loop: Header=BB2057_310 Depth=2
	v_cmp_lt_i16_e32 vcc_lo, -1, v16
	v_lshlrev_b32_e32 v5, 2, v48
	v_cndmask_b32_e64 v4, -1, 0xffff8000, vcc_lo
	s_delay_alu instid0(VALU_DEP_1) | instskip(NEXT) | instid1(VALU_DEP_1)
	v_xor_b32_e32 v4, v4, v16
	v_cmp_ne_u16_e32 vcc_lo, 0x7fff, v4
	v_cndmask_b32_e32 v4, 0xffff8000, v4, vcc_lo
	s_delay_alu instid0(VALU_DEP_1) | instskip(NEXT) | instid1(VALU_DEP_1)
	v_and_b32_e32 v4, 0xffff, v4
	v_lshrrev_b32_e32 v4, s48, v4
	s_delay_alu instid0(VALU_DEP_1) | instskip(NEXT) | instid1(VALU_DEP_1)
	v_and_b32_e32 v4, s55, v4
	v_lshl_or_b32 v4, v4, 4, v5
	ds_add_u32 v4, v94
	s_or_b32 exec_lo, exec_lo, s0
	s_delay_alu instid0(SALU_CYCLE_1)
	s_mov_b32 s0, exec_lo
	v_cmpx_lt_u32_e64 v51, v21
	s_cbranch_execnz .LBB2057_339
.LBB2057_354:                           ;   in Loop: Header=BB2057_310 Depth=2
	s_or_b32 exec_lo, exec_lo, s0
	s_delay_alu instid0(SALU_CYCLE_1)
	s_mov_b32 s0, exec_lo
	v_cmpx_lt_u32_e64 v52, v21
	s_cbranch_execz .LBB2057_340
.LBB2057_355:                           ;   in Loop: Header=BB2057_310 Depth=2
	v_cmp_lt_i16_e32 vcc_lo, -1, v14
	v_lshlrev_b32_e32 v5, 2, v48
	v_cndmask_b32_e64 v4, -1, 0xffff8000, vcc_lo
	s_delay_alu instid0(VALU_DEP_1) | instskip(NEXT) | instid1(VALU_DEP_1)
	v_xor_b32_e32 v4, v4, v14
	v_cmp_ne_u16_e32 vcc_lo, 0x7fff, v4
	v_cndmask_b32_e32 v4, 0xffff8000, v4, vcc_lo
	s_delay_alu instid0(VALU_DEP_1) | instskip(NEXT) | instid1(VALU_DEP_1)
	v_and_b32_e32 v4, 0xffff, v4
	v_lshrrev_b32_e32 v4, s48, v4
	s_delay_alu instid0(VALU_DEP_1) | instskip(NEXT) | instid1(VALU_DEP_1)
	v_and_b32_e32 v4, s55, v4
	v_lshl_or_b32 v4, v4, 4, v5
	ds_add_u32 v4, v94
	s_or_b32 exec_lo, exec_lo, s0
	s_delay_alu instid0(SALU_CYCLE_1)
	s_mov_b32 s0, exec_lo
	v_cmpx_lt_u32_e64 v53, v21
	s_cbranch_execnz .LBB2057_341
.LBB2057_356:                           ;   in Loop: Header=BB2057_310 Depth=2
	s_or_b32 exec_lo, exec_lo, s0
	s_delay_alu instid0(SALU_CYCLE_1)
	s_mov_b32 s0, exec_lo
	v_cmpx_lt_u32_e64 v54, v21
	s_cbranch_execz .LBB2057_342
.LBB2057_357:                           ;   in Loop: Header=BB2057_310 Depth=2
	v_cmp_lt_i16_e32 vcc_lo, -1, v12
	v_lshlrev_b32_e32 v5, 2, v48
	v_cndmask_b32_e64 v4, -1, 0xffff8000, vcc_lo
	s_delay_alu instid0(VALU_DEP_1) | instskip(NEXT) | instid1(VALU_DEP_1)
	v_xor_b32_e32 v4, v4, v12
	v_cmp_ne_u16_e32 vcc_lo, 0x7fff, v4
	v_cndmask_b32_e32 v4, 0xffff8000, v4, vcc_lo
	s_delay_alu instid0(VALU_DEP_1) | instskip(NEXT) | instid1(VALU_DEP_1)
	v_and_b32_e32 v4, 0xffff, v4
	v_lshrrev_b32_e32 v4, s48, v4
	s_delay_alu instid0(VALU_DEP_1) | instskip(NEXT) | instid1(VALU_DEP_1)
	v_and_b32_e32 v4, s55, v4
	v_lshl_or_b32 v4, v4, 4, v5
	ds_add_u32 v4, v94
	s_or_b32 exec_lo, exec_lo, s0
	s_delay_alu instid0(SALU_CYCLE_1)
	s_mov_b32 s0, exec_lo
	v_cmpx_lt_u32_e64 v55, v21
	s_cbranch_execnz .LBB2057_343
.LBB2057_358:                           ;   in Loop: Header=BB2057_310 Depth=2
	s_or_b32 exec_lo, exec_lo, s0
	s_delay_alu instid0(SALU_CYCLE_1)
	s_mov_b32 s0, exec_lo
	v_cmpx_lt_u32_e64 v56, v21
	s_cbranch_execz .LBB2057_344
.LBB2057_359:                           ;   in Loop: Header=BB2057_310 Depth=2
	v_cmp_lt_i16_e32 vcc_lo, -1, v10
	v_lshlrev_b32_e32 v5, 2, v48
	v_cndmask_b32_e64 v4, -1, 0xffff8000, vcc_lo
	s_delay_alu instid0(VALU_DEP_1) | instskip(NEXT) | instid1(VALU_DEP_1)
	v_xor_b32_e32 v4, v4, v10
	v_cmp_ne_u16_e32 vcc_lo, 0x7fff, v4
	v_cndmask_b32_e32 v4, 0xffff8000, v4, vcc_lo
	s_delay_alu instid0(VALU_DEP_1) | instskip(NEXT) | instid1(VALU_DEP_1)
	v_and_b32_e32 v4, 0xffff, v4
	v_lshrrev_b32_e32 v4, s48, v4
	s_delay_alu instid0(VALU_DEP_1) | instskip(NEXT) | instid1(VALU_DEP_1)
	v_and_b32_e32 v4, s55, v4
	v_lshl_or_b32 v4, v4, 4, v5
	ds_add_u32 v4, v94
	s_or_b32 exec_lo, exec_lo, s0
	s_delay_alu instid0(SALU_CYCLE_1)
	s_mov_b32 s0, exec_lo
	v_cmpx_lt_u32_e64 v57, v21
	s_cbranch_execnz .LBB2057_345
.LBB2057_360:                           ;   in Loop: Header=BB2057_310 Depth=2
	s_or_b32 exec_lo, exec_lo, s0
	s_delay_alu instid0(SALU_CYCLE_1)
	s_mov_b32 s0, exec_lo
	v_cmpx_lt_u32_e64 v58, v21
	s_cbranch_execz .LBB2057_346
.LBB2057_361:                           ;   in Loop: Header=BB2057_310 Depth=2
	v_cmp_lt_i16_e32 vcc_lo, -1, v8
	v_lshlrev_b32_e32 v5, 2, v48
	v_cndmask_b32_e64 v4, -1, 0xffff8000, vcc_lo
	s_delay_alu instid0(VALU_DEP_1) | instskip(NEXT) | instid1(VALU_DEP_1)
	v_xor_b32_e32 v4, v4, v8
	v_cmp_ne_u16_e32 vcc_lo, 0x7fff, v4
	v_cndmask_b32_e32 v4, 0xffff8000, v4, vcc_lo
	s_delay_alu instid0(VALU_DEP_1) | instskip(NEXT) | instid1(VALU_DEP_1)
	v_and_b32_e32 v4, 0xffff, v4
	v_lshrrev_b32_e32 v4, s48, v4
	s_delay_alu instid0(VALU_DEP_1) | instskip(NEXT) | instid1(VALU_DEP_1)
	v_and_b32_e32 v4, s55, v4
	v_lshl_or_b32 v4, v4, 4, v5
	ds_add_u32 v4, v94
	s_or_b32 exec_lo, exec_lo, s0
	s_delay_alu instid0(SALU_CYCLE_1)
	s_mov_b32 s0, exec_lo
	v_cmpx_lt_u32_e64 v59, v21
	s_cbranch_execnz .LBB2057_347
.LBB2057_362:                           ;   in Loop: Header=BB2057_310 Depth=2
	s_or_b32 exec_lo, exec_lo, s0
	s_delay_alu instid0(SALU_CYCLE_1)
	s_mov_b32 s0, exec_lo
	v_cmpx_lt_u32_e64 v60, v21
	s_cbranch_execz .LBB2057_348
.LBB2057_363:                           ;   in Loop: Header=BB2057_310 Depth=2
	v_cmp_lt_i16_e32 vcc_lo, -1, v6
	v_lshlrev_b32_e32 v5, 2, v48
	v_cndmask_b32_e64 v4, -1, 0xffff8000, vcc_lo
	s_delay_alu instid0(VALU_DEP_1) | instskip(NEXT) | instid1(VALU_DEP_1)
	v_xor_b32_e32 v4, v4, v6
	v_cmp_ne_u16_e32 vcc_lo, 0x7fff, v4
	v_cndmask_b32_e32 v4, 0xffff8000, v4, vcc_lo
	s_delay_alu instid0(VALU_DEP_1) | instskip(NEXT) | instid1(VALU_DEP_1)
	v_and_b32_e32 v4, 0xffff, v4
	v_lshrrev_b32_e32 v4, s48, v4
	s_delay_alu instid0(VALU_DEP_1) | instskip(NEXT) | instid1(VALU_DEP_1)
	v_and_b32_e32 v4, s55, v4
	v_lshl_or_b32 v4, v4, 4, v5
	ds_add_u32 v4, v94
	s_or_b32 exec_lo, exec_lo, s0
	s_delay_alu instid0(SALU_CYCLE_1)
	s_mov_b32 s0, exec_lo
	v_cmpx_lt_u32_e64 v61, v21
	s_cbranch_execnz .LBB2057_349
.LBB2057_364:                           ;   in Loop: Header=BB2057_310 Depth=2
	s_or_b32 exec_lo, exec_lo, s0
	s_delay_alu instid0(SALU_CYCLE_1)
	s_mov_b32 s0, exec_lo
	v_cmpx_lt_u32_e64 v63, v21
	s_cbranch_execz .LBB2057_309
.LBB2057_365:                           ;   in Loop: Header=BB2057_310 Depth=2
	s_waitcnt vmcnt(0)
	v_cmp_lt_i16_e32 vcc_lo, -1, v20
	v_lshlrev_b32_e32 v5, 2, v48
	v_cndmask_b32_e64 v4, -1, 0xffff8000, vcc_lo
	s_delay_alu instid0(VALU_DEP_1) | instskip(NEXT) | instid1(VALU_DEP_1)
	v_xor_b32_e32 v4, v4, v20
	v_cmp_ne_u16_e32 vcc_lo, 0x7fff, v4
	v_cndmask_b32_e32 v4, 0xffff8000, v4, vcc_lo
	s_delay_alu instid0(VALU_DEP_1) | instskip(NEXT) | instid1(VALU_DEP_1)
	v_and_b32_e32 v4, 0xffff, v4
	v_lshrrev_b32_e32 v4, s48, v4
	s_delay_alu instid0(VALU_DEP_1) | instskip(NEXT) | instid1(VALU_DEP_1)
	v_and_b32_e32 v4, s55, v4
	v_lshl_or_b32 v4, v4, 4, v5
	ds_add_u32 v4, v94
	s_branch .LBB2057_309
.LBB2057_366:                           ;   in Loop: Header=BB2057_310 Depth=2
	s_or_b32 exec_lo, exec_lo, s11
	s_delay_alu instid0(SALU_CYCLE_1)
	s_mov_b32 s11, exec_lo
	v_cmpx_gt_u32_e64 s8, v45
	s_cbranch_execz .LBB2057_316
.LBB2057_367:                           ;   in Loop: Header=BB2057_310 Depth=2
	global_load_u16 v18, v95, s[0:1] offset:512
	s_or_b32 exec_lo, exec_lo, s11
	s_delay_alu instid0(SALU_CYCLE_1)
	s_mov_b32 s11, exec_lo
	v_cmpx_gt_u32_e64 s8, v46
	s_cbranch_execnz .LBB2057_317
.LBB2057_368:                           ;   in Loop: Header=BB2057_310 Depth=2
	s_or_b32 exec_lo, exec_lo, s11
	s_delay_alu instid0(SALU_CYCLE_1)
	s_mov_b32 s11, exec_lo
	v_cmpx_gt_u32_e64 s8, v47
	s_cbranch_execz .LBB2057_318
.LBB2057_369:                           ;   in Loop: Header=BB2057_310 Depth=2
	global_load_u16 v16, v95, s[0:1] offset:1536
	s_or_b32 exec_lo, exec_lo, s11
	s_delay_alu instid0(SALU_CYCLE_1)
	s_mov_b32 s11, exec_lo
	v_cmpx_gt_u32_e64 s8, v51
	s_cbranch_execnz .LBB2057_319
.LBB2057_370:                           ;   in Loop: Header=BB2057_310 Depth=2
	s_or_b32 exec_lo, exec_lo, s11
	s_delay_alu instid0(SALU_CYCLE_1)
	s_mov_b32 s11, exec_lo
	v_cmpx_gt_u32_e64 s8, v52
	s_cbranch_execz .LBB2057_320
.LBB2057_371:                           ;   in Loop: Header=BB2057_310 Depth=2
	global_load_u16 v14, v95, s[0:1] offset:2560
	s_or_b32 exec_lo, exec_lo, s11
	s_delay_alu instid0(SALU_CYCLE_1)
	s_mov_b32 s11, exec_lo
	v_cmpx_gt_u32_e64 s8, v53
	s_cbranch_execnz .LBB2057_321
.LBB2057_372:                           ;   in Loop: Header=BB2057_310 Depth=2
	s_or_b32 exec_lo, exec_lo, s11
	s_delay_alu instid0(SALU_CYCLE_1)
	s_mov_b32 s11, exec_lo
	v_cmpx_gt_u32_e64 s8, v54
	s_cbranch_execz .LBB2057_322
.LBB2057_373:                           ;   in Loop: Header=BB2057_310 Depth=2
	global_load_u16 v12, v95, s[0:1] offset:3584
	s_or_b32 exec_lo, exec_lo, s11
	s_delay_alu instid0(SALU_CYCLE_1)
	s_mov_b32 s11, exec_lo
	v_cmpx_gt_u32_e64 s8, v55
	s_cbranch_execnz .LBB2057_323
.LBB2057_374:                           ;   in Loop: Header=BB2057_310 Depth=2
	s_or_b32 exec_lo, exec_lo, s11
	s_delay_alu instid0(SALU_CYCLE_1)
	s_mov_b32 s11, exec_lo
	v_cmpx_gt_u32_e64 s8, v56
	s_cbranch_execz .LBB2057_324
.LBB2057_375:                           ;   in Loop: Header=BB2057_310 Depth=2
	global_load_u16 v10, v97, s[0:1]
	s_or_b32 exec_lo, exec_lo, s11
	s_delay_alu instid0(SALU_CYCLE_1)
	s_mov_b32 s11, exec_lo
	v_cmpx_gt_u32_e64 s8, v57
	s_cbranch_execnz .LBB2057_325
.LBB2057_376:                           ;   in Loop: Header=BB2057_310 Depth=2
	s_or_b32 exec_lo, exec_lo, s11
	s_delay_alu instid0(SALU_CYCLE_1)
	s_mov_b32 s11, exec_lo
	v_cmpx_gt_u32_e64 s8, v58
	s_cbranch_execz .LBB2057_326
.LBB2057_377:                           ;   in Loop: Header=BB2057_310 Depth=2
	global_load_u16 v8, v99, s[0:1]
	s_or_b32 exec_lo, exec_lo, s11
	s_delay_alu instid0(SALU_CYCLE_1)
	s_mov_b32 s11, exec_lo
	v_cmpx_gt_u32_e64 s8, v59
	s_cbranch_execnz .LBB2057_327
.LBB2057_378:                           ;   in Loop: Header=BB2057_310 Depth=2
	s_or_b32 exec_lo, exec_lo, s11
	s_delay_alu instid0(SALU_CYCLE_1)
	s_mov_b32 s11, exec_lo
	v_cmpx_gt_u32_e64 s8, v60
	s_cbranch_execz .LBB2057_328
.LBB2057_379:                           ;   in Loop: Header=BB2057_310 Depth=2
	global_load_u16 v6, v101, s[0:1]
	s_or_b32 exec_lo, exec_lo, s11
	s_delay_alu instid0(SALU_CYCLE_1)
	s_mov_b32 s11, exec_lo
	v_cmpx_gt_u32_e64 s8, v61
	s_cbranch_execz .LBB2057_330
	s_branch .LBB2057_329
.LBB2057_380:                           ;   in Loop: Header=BB2057_12 Depth=1
	v_mov_b32_e32 v2, 0
	s_waitcnt vmcnt(0) lgkmcnt(0)
	s_barrier
	buffer_gl0_inv
	s_and_saveexec_b32 s0, s2
	s_cbranch_execz .LBB2057_382
; %bb.381:                              ;   in Loop: Header=BB2057_12 Depth=1
	ds_load_2addr_b64 v[4:7], v64 offset1:1
	s_waitcnt lgkmcnt(0)
	v_add_nc_u32_e32 v2, v5, v4
	s_delay_alu instid0(VALU_DEP_1)
	v_add3_u32 v2, v2, v6, v7
.LBB2057_382:                           ;   in Loop: Header=BB2057_12 Depth=1
	s_or_b32 exec_lo, exec_lo, s0
	v_and_b32_e32 v4, 15, v104
	s_delay_alu instid0(VALU_DEP_2) | instskip(SKIP_1) | instid1(VALU_DEP_3)
	v_mov_b32_dpp v5, v2 row_shr:1 row_mask:0xf bank_mask:0xf
	v_and_b32_e32 v6, 16, v104
	v_cmp_eq_u32_e64 s0, 0, v4
	v_cmp_lt_u32_e64 s1, 1, v4
	v_cmp_lt_u32_e64 s8, 3, v4
	;; [unrolled: 1-line block ×3, first 2 shown]
	v_cmp_eq_u32_e64 s10, 0, v6
	v_cndmask_b32_e64 v5, v5, 0, s0
	s_delay_alu instid0(VALU_DEP_1) | instskip(NEXT) | instid1(VALU_DEP_1)
	v_add_nc_u32_e32 v2, v5, v2
	v_mov_b32_dpp v5, v2 row_shr:2 row_mask:0xf bank_mask:0xf
	s_delay_alu instid0(VALU_DEP_1) | instskip(NEXT) | instid1(VALU_DEP_1)
	v_cndmask_b32_e64 v5, 0, v5, s1
	v_add_nc_u32_e32 v2, v2, v5
	s_delay_alu instid0(VALU_DEP_1) | instskip(NEXT) | instid1(VALU_DEP_1)
	v_mov_b32_dpp v5, v2 row_shr:4 row_mask:0xf bank_mask:0xf
	v_cndmask_b32_e64 v5, 0, v5, s8
	s_delay_alu instid0(VALU_DEP_1) | instskip(NEXT) | instid1(VALU_DEP_1)
	v_add_nc_u32_e32 v2, v2, v5
	v_mov_b32_dpp v5, v2 row_shr:8 row_mask:0xf bank_mask:0xf
	s_delay_alu instid0(VALU_DEP_1) | instskip(SKIP_1) | instid1(VALU_DEP_2)
	v_cndmask_b32_e64 v4, 0, v5, s9
	v_bfe_i32 v5, v104, 4, 1
	v_add_nc_u32_e32 v2, v2, v4
	ds_swizzle_b32 v4, v2 offset:swizzle(BROADCAST,32,15)
	s_waitcnt lgkmcnt(0)
	v_and_b32_e32 v4, v5, v4
	s_delay_alu instid0(VALU_DEP_1)
	v_add_nc_u32_e32 v4, v2, v4
	s_and_saveexec_b32 s11, s3
	s_cbranch_execz .LBB2057_384
; %bb.383:                              ;   in Loop: Header=BB2057_12 Depth=1
	ds_store_b32 v65, v4
.LBB2057_384:                           ;   in Loop: Header=BB2057_12 Depth=1
	s_or_b32 exec_lo, exec_lo, s11
	v_and_b32_e32 v2, 7, v104
	s_waitcnt lgkmcnt(0)
	s_barrier
	buffer_gl0_inv
	s_and_saveexec_b32 s11, s4
	s_cbranch_execz .LBB2057_386
; %bb.385:                              ;   in Loop: Header=BB2057_12 Depth=1
	ds_load_b32 v5, v66
	v_cmp_ne_u32_e32 vcc_lo, 0, v2
	s_waitcnt lgkmcnt(0)
	v_mov_b32_dpp v6, v5 row_shr:1 row_mask:0xf bank_mask:0xf
	s_delay_alu instid0(VALU_DEP_1) | instskip(SKIP_1) | instid1(VALU_DEP_2)
	v_cndmask_b32_e32 v6, 0, v6, vcc_lo
	v_cmp_lt_u32_e32 vcc_lo, 1, v2
	v_add_nc_u32_e32 v5, v6, v5
	s_delay_alu instid0(VALU_DEP_1) | instskip(NEXT) | instid1(VALU_DEP_1)
	v_mov_b32_dpp v6, v5 row_shr:2 row_mask:0xf bank_mask:0xf
	v_cndmask_b32_e32 v6, 0, v6, vcc_lo
	v_cmp_lt_u32_e32 vcc_lo, 3, v2
	s_delay_alu instid0(VALU_DEP_2) | instskip(NEXT) | instid1(VALU_DEP_1)
	v_add_nc_u32_e32 v5, v5, v6
	v_mov_b32_dpp v6, v5 row_shr:4 row_mask:0xf bank_mask:0xf
	s_delay_alu instid0(VALU_DEP_1) | instskip(NEXT) | instid1(VALU_DEP_1)
	v_cndmask_b32_e32 v6, 0, v6, vcc_lo
	v_add_nc_u32_e32 v5, v5, v6
	ds_store_b32 v66, v5
.LBB2057_386:                           ;   in Loop: Header=BB2057_12 Depth=1
	s_or_b32 exec_lo, exec_lo, s11
	v_mov_b32_e32 v5, 0
	s_waitcnt lgkmcnt(0)
	s_barrier
	buffer_gl0_inv
	s_and_saveexec_b32 s11, s5
	s_cbranch_execz .LBB2057_388
; %bb.387:                              ;   in Loop: Header=BB2057_12 Depth=1
	ds_load_b32 v5, v67
.LBB2057_388:                           ;   in Loop: Header=BB2057_12 Depth=1
	s_or_b32 exec_lo, exec_lo, s11
	v_add_nc_u32_e32 v6, -1, v104
	s_waitcnt lgkmcnt(0)
	v_add_nc_u32_e32 v4, v5, v4
	v_cmp_eq_u32_e64 s11, 0, v104
	s_barrier
	v_cmp_gt_i32_e32 vcc_lo, 0, v6
	buffer_gl0_inv
	v_cndmask_b32_e32 v6, v6, v104, vcc_lo
	s_delay_alu instid0(VALU_DEP_1)
	v_lshlrev_b32_e32 v105, 2, v6
	ds_bpermute_b32 v4, v105, v4
	s_and_saveexec_b32 s12, s2
	s_cbranch_execz .LBB2057_390
; %bb.389:                              ;   in Loop: Header=BB2057_12 Depth=1
	s_waitcnt lgkmcnt(0)
	v_cndmask_b32_e64 v4, v4, v5, s11
	s_delay_alu instid0(VALU_DEP_1)
	v_add_nc_u32_e32 v4, s52, v4
	ds_store_b32 v44, v4
.LBB2057_390:                           ;   in Loop: Header=BB2057_12 Depth=1
	s_or_b32 exec_lo, exec_lo, s12
	s_load_b64 s[12:13], s[42:43], 0x0
	v_lshlrev_b32_e32 v5, 3, v104
	v_cmp_lt_u32_e64 s14, 3, v2
	v_or_b32_e32 v106, v104, v68
	s_mov_b32 s56, s54
	s_mov_b32 s34, s52
	v_add_co_u32 v107, vcc_lo, v84, v5
	v_add_co_ci_u32_e32 v108, vcc_lo, 0, v85, vcc_lo
	v_or_b32_e32 v109, 32, v106
	v_or_b32_e32 v110, 64, v106
	;; [unrolled: 1-line block ×10, first 2 shown]
	s_waitcnt lgkmcnt(0)
	s_cmp_lt_u32 s15, s13
	v_or_b32_e32 v119, 0x160, v106
	s_cselect_b32 s13, 14, 20
	v_or_b32_e32 v120, 0x180, v106
	s_add_u32 s16, s42, s13
	s_addc_u32 s17, s43, 0
	s_cmp_lt_u32 s26, s12
	global_load_u16 v4, v3, s[16:17]
	s_cselect_b32 s12, 12, 18
	v_or_b32_e32 v121, 0x1a0, v106
	s_add_u32 s12, s42, s12
	s_addc_u32 s13, s43, 0
	v_or_b32_e32 v122, 0x1c0, v106
	global_load_u16 v6, v3, s[12:13]
	v_cmp_eq_u32_e64 s12, 0, v2
	v_cmp_lt_u32_e64 s13, 1, v2
	v_lshlrev_b32_e32 v2, 1, v104
	v_or_b32_e32 v123, 0x1e0, v106
                                        ; implicit-def: $vgpr8_vgpr9
                                        ; implicit-def: $vgpr10_vgpr11
                                        ; implicit-def: $vgpr12_vgpr13
                                        ; implicit-def: $vgpr14_vgpr15
                                        ; implicit-def: $vgpr16_vgpr17
                                        ; implicit-def: $vgpr18_vgpr19
                                        ; implicit-def: $vgpr20_vgpr21
                                        ; implicit-def: $vgpr22_vgpr23
                                        ; implicit-def: $vgpr24_vgpr25
                                        ; implicit-def: $vgpr26_vgpr27
                                        ; implicit-def: $vgpr28_vgpr29
                                        ; implicit-def: $vgpr30_vgpr31
                                        ; implicit-def: $vgpr32_vgpr33
                                        ; implicit-def: $vgpr34_vgpr35
                                        ; implicit-def: $vgpr129
                                        ; implicit-def: $vgpr130
                                        ; implicit-def: $vgpr131
                                        ; implicit-def: $vgpr132
                                        ; implicit-def: $vgpr133
                                        ; implicit-def: $vgpr134
                                        ; implicit-def: $vgpr135
                                        ; implicit-def: $vgpr136
                                        ; implicit-def: $vgpr137
                                        ; implicit-def: $vgpr138
                                        ; implicit-def: $vgpr139
                                        ; implicit-def: $vgpr140
                                        ; implicit-def: $vgpr141
                                        ; implicit-def: $vgpr142
                                        ; implicit-def: $vgpr143
                                        ; implicit-def: $vgpr144
	s_delay_alu instid0(VALU_DEP_2) | instskip(SKIP_1) | instid1(VALU_DEP_2)
	v_add_co_u32 v124, vcc_lo, v86, v2
	v_add_co_ci_u32_e32 v125, vcc_lo, 0, v87, vcc_lo
	v_add_co_u32 v127, vcc_lo, 0x3c0, v124
	s_delay_alu instid0(VALU_DEP_2) | instskip(SKIP_3) | instid1(VALU_DEP_1)
	v_add_co_ci_u32_e32 v128, vcc_lo, 0, v125, vcc_lo
	s_waitcnt vmcnt(1)
	v_mad_u32_u24 v7, v70, v4, v0
	s_waitcnt vmcnt(0)
	v_mad_u64_u32 v[4:5], null, v7, v6, v[1:2]
                                        ; implicit-def: $vgpr6_vgpr7
	s_delay_alu instid0(VALU_DEP_1)
	v_lshrrev_b32_e32 v126, 5, v4
                                        ; implicit-def: $vgpr4_vgpr5
	s_branch .LBB2057_392
.LBB2057_391:                           ;   in Loop: Header=BB2057_392 Depth=2
	s_or_b32 exec_lo, exec_lo, s16
	s_addk_i32 s56, 0xf000
	s_cmp_lt_u32 s57, s53
	s_mov_b32 s34, s57
	s_cbranch_scc0 .LBB2057_600
.LBB2057_392:                           ;   Parent Loop BB2057_12 Depth=1
                                        ; =>  This Inner Loop Header: Depth=2
	s_add_i32 s57, s34, 0x1000
	s_delay_alu instid0(SALU_CYCLE_1)
	s_cmp_gt_u32 s57, s53
	s_cbranch_scc1 .LBB2057_395
; %bb.393:                              ;   in Loop: Header=BB2057_392 Depth=2
	s_mov_b32 s17, 0
	s_mov_b32 s16, s34
	s_delay_alu instid0(SALU_CYCLE_1) | instskip(NEXT) | instid1(SALU_CYCLE_1)
	s_lshl_b64 s[18:19], s[16:17], 1
	v_add_co_u32 v36, vcc_lo, v124, s18
	v_add_co_ci_u32_e32 v37, vcc_lo, s19, v125, vcc_lo
	s_mov_b32 s19, -1
	s_movk_i32 s18, 0x1000
	s_clause 0xe
	global_load_u16 v2, v[36:37], off
	global_load_u16 v146, v[36:37], off offset:64
	global_load_u16 v149, v[36:37], off offset:128
	global_load_u16 v153, v[36:37], off offset:192
	global_load_u16 v157, v[36:37], off offset:256
	global_load_u16 v161, v[36:37], off offset:320
	global_load_u16 v165, v[36:37], off offset:384
	global_load_u16 v170, v[36:37], off offset:448
	global_load_u16 v169, v[36:37], off offset:512
	global_load_u16 v43, v[36:37], off offset:576
	global_load_u16 v42, v[36:37], off offset:640
	global_load_u16 v41, v[36:37], off offset:704
	global_load_u16 v40, v[36:37], off offset:768
	global_load_u16 v39, v[36:37], off offset:832
	global_load_u16 v38, v[36:37], off offset:896
	s_cbranch_execz .LBB2057_396
; %bb.394:                              ;   in Loop: Header=BB2057_392 Depth=2
                                        ; implicit-def: $sgpr20
	v_dual_mov_b32 v36, s20 :: v_dual_mov_b32 v145, s56
	s_and_saveexec_b32 s20, s19
	s_cbranch_execnz .LBB2057_427
	s_branch .LBB2057_428
.LBB2057_395:                           ;   in Loop: Header=BB2057_392 Depth=2
	s_mov_b32 s17, -1
	s_mov_b32 s19, 0
                                        ; implicit-def: $sgpr18
                                        ; implicit-def: $vgpr2
                                        ; implicit-def: $vgpr146
                                        ; implicit-def: $vgpr149
                                        ; implicit-def: $vgpr153
                                        ; implicit-def: $vgpr157
                                        ; implicit-def: $vgpr161
                                        ; implicit-def: $vgpr165
                                        ; implicit-def: $vgpr170
                                        ; implicit-def: $vgpr169
                                        ; implicit-def: $vgpr43
                                        ; implicit-def: $vgpr42
                                        ; implicit-def: $vgpr41
                                        ; implicit-def: $vgpr40
                                        ; implicit-def: $vgpr39
                                        ; implicit-def: $vgpr38
.LBB2057_396:                           ;   in Loop: Header=BB2057_392 Depth=2
	s_lshl_b64 s[16:17], s[34:35], 1
	s_waitcnt vmcnt(13)
	v_mov_b32_e32 v146, 0x7fff
	v_add_co_u32 v36, vcc_lo, v124, s16
	v_add_co_ci_u32_e32 v37, vcc_lo, s17, v125, vcc_lo
	v_mov_b32_e32 v2, 0x7fff
	s_mov_b32 s16, exec_lo
	v_cmpx_gt_u32_e64 s56, v106
	s_cbranch_execz .LBB2057_398
; %bb.397:                              ;   in Loop: Header=BB2057_392 Depth=2
	global_load_u16 v2, v[36:37], off
.LBB2057_398:                           ;   in Loop: Header=BB2057_392 Depth=2
	s_or_b32 exec_lo, exec_lo, s16
	s_delay_alu instid0(SALU_CYCLE_1)
	s_mov_b32 s16, exec_lo
	v_cmpx_gt_u32_e64 s56, v109
	s_cbranch_execz .LBB2057_400
; %bb.399:                              ;   in Loop: Header=BB2057_392 Depth=2
	global_load_u16 v146, v[36:37], off offset:64
.LBB2057_400:                           ;   in Loop: Header=BB2057_392 Depth=2
	s_or_b32 exec_lo, exec_lo, s16
	s_waitcnt vmcnt(11)
	v_mov_b32_e32 v153, 0x7fff
	v_mov_b32_e32 v149, 0x7fff
	s_mov_b32 s16, exec_lo
	v_cmpx_gt_u32_e64 s56, v110
	s_cbranch_execz .LBB2057_402
; %bb.401:                              ;   in Loop: Header=BB2057_392 Depth=2
	global_load_u16 v149, v[36:37], off offset:128
.LBB2057_402:                           ;   in Loop: Header=BB2057_392 Depth=2
	s_or_b32 exec_lo, exec_lo, s16
	s_delay_alu instid0(SALU_CYCLE_1)
	s_mov_b32 s16, exec_lo
	v_cmpx_gt_u32_e64 s56, v111
	s_cbranch_execz .LBB2057_404
; %bb.403:                              ;   in Loop: Header=BB2057_392 Depth=2
	global_load_u16 v153, v[36:37], off offset:192
.LBB2057_404:                           ;   in Loop: Header=BB2057_392 Depth=2
	s_or_b32 exec_lo, exec_lo, s16
	s_waitcnt vmcnt(9)
	v_mov_b32_e32 v161, 0x7fff
	v_mov_b32_e32 v157, 0x7fff
	s_mov_b32 s16, exec_lo
	v_cmpx_gt_u32_e64 s56, v112
	s_cbranch_execz .LBB2057_406
; %bb.405:                              ;   in Loop: Header=BB2057_392 Depth=2
	global_load_u16 v157, v[36:37], off offset:256
.LBB2057_406:                           ;   in Loop: Header=BB2057_392 Depth=2
	s_or_b32 exec_lo, exec_lo, s16
	s_delay_alu instid0(SALU_CYCLE_1)
	s_mov_b32 s16, exec_lo
	v_cmpx_gt_u32_e64 s56, v113
	s_cbranch_execz .LBB2057_408
; %bb.407:                              ;   in Loop: Header=BB2057_392 Depth=2
	global_load_u16 v161, v[36:37], off offset:320
.LBB2057_408:                           ;   in Loop: Header=BB2057_392 Depth=2
	s_or_b32 exec_lo, exec_lo, s16
	s_waitcnt vmcnt(7)
	v_dual_mov_b32 v170, 0x7fff :: v_dual_mov_b32 v165, 0x7fff
	s_mov_b32 s16, exec_lo
	v_cmpx_gt_u32_e64 s56, v114
	s_cbranch_execz .LBB2057_410
; %bb.409:                              ;   in Loop: Header=BB2057_392 Depth=2
	global_load_u16 v165, v[36:37], off offset:384
.LBB2057_410:                           ;   in Loop: Header=BB2057_392 Depth=2
	s_or_b32 exec_lo, exec_lo, s16
	s_delay_alu instid0(SALU_CYCLE_1)
	s_mov_b32 s16, exec_lo
	v_cmpx_gt_u32_e64 s56, v115
	s_cbranch_execz .LBB2057_412
; %bb.411:                              ;   in Loop: Header=BB2057_392 Depth=2
	global_load_u16 v170, v[36:37], off offset:448
.LBB2057_412:                           ;   in Loop: Header=BB2057_392 Depth=2
	s_or_b32 exec_lo, exec_lo, s16
	s_waitcnt vmcnt(5)
	v_mov_b32_e32 v43, 0x7fff
	v_mov_b32_e32 v169, 0x7fff
	s_mov_b32 s16, exec_lo
	v_cmpx_gt_u32_e64 s56, v116
	s_cbranch_execz .LBB2057_414
; %bb.413:                              ;   in Loop: Header=BB2057_392 Depth=2
	global_load_u16 v169, v[36:37], off offset:512
.LBB2057_414:                           ;   in Loop: Header=BB2057_392 Depth=2
	s_or_b32 exec_lo, exec_lo, s16
	s_delay_alu instid0(SALU_CYCLE_1)
	s_mov_b32 s16, exec_lo
	v_cmpx_gt_u32_e64 s56, v117
	s_cbranch_execz .LBB2057_416
; %bb.415:                              ;   in Loop: Header=BB2057_392 Depth=2
	global_load_u16 v43, v[36:37], off offset:576
.LBB2057_416:                           ;   in Loop: Header=BB2057_392 Depth=2
	s_or_b32 exec_lo, exec_lo, s16
	s_waitcnt vmcnt(3)
	v_dual_mov_b32 v41, 0x7fff :: v_dual_mov_b32 v42, 0x7fff
	s_mov_b32 s16, exec_lo
	v_cmpx_gt_u32_e64 s56, v118
	s_cbranch_execz .LBB2057_418
; %bb.417:                              ;   in Loop: Header=BB2057_392 Depth=2
	global_load_u16 v42, v[36:37], off offset:640
.LBB2057_418:                           ;   in Loop: Header=BB2057_392 Depth=2
	s_or_b32 exec_lo, exec_lo, s16
	s_delay_alu instid0(SALU_CYCLE_1)
	s_mov_b32 s16, exec_lo
	v_cmpx_gt_u32_e64 s56, v119
	s_cbranch_execz .LBB2057_420
; %bb.419:                              ;   in Loop: Header=BB2057_392 Depth=2
	global_load_u16 v41, v[36:37], off offset:704
.LBB2057_420:                           ;   in Loop: Header=BB2057_392 Depth=2
	s_or_b32 exec_lo, exec_lo, s16
	s_waitcnt vmcnt(1)
	v_dual_mov_b32 v39, 0x7fff :: v_dual_mov_b32 v40, 0x7fff
	s_mov_b32 s16, exec_lo
	v_cmpx_gt_u32_e64 s56, v120
	s_cbranch_execz .LBB2057_422
; %bb.421:                              ;   in Loop: Header=BB2057_392 Depth=2
	global_load_u16 v40, v[36:37], off offset:768
.LBB2057_422:                           ;   in Loop: Header=BB2057_392 Depth=2
	s_or_b32 exec_lo, exec_lo, s16
	s_delay_alu instid0(SALU_CYCLE_1)
	s_mov_b32 s16, exec_lo
	v_cmpx_gt_u32_e64 s56, v121
	s_cbranch_execz .LBB2057_424
; %bb.423:                              ;   in Loop: Header=BB2057_392 Depth=2
	global_load_u16 v39, v[36:37], off offset:832
.LBB2057_424:                           ;   in Loop: Header=BB2057_392 Depth=2
	s_or_b32 exec_lo, exec_lo, s16
	s_waitcnt vmcnt(0)
	v_mov_b32_e32 v38, 0x7fff
	s_mov_b32 s16, exec_lo
	v_cmpx_gt_u32_e64 s56, v122
	s_cbranch_execz .LBB2057_426
; %bb.425:                              ;   in Loop: Header=BB2057_392 Depth=2
	global_load_u16 v38, v[36:37], off offset:896
.LBB2057_426:                           ;   in Loop: Header=BB2057_392 Depth=2
	s_or_b32 exec_lo, exec_lo, s16
	v_cmp_gt_u32_e64 s19, s56, v123
	s_sub_i32 s18, s53, s34
	s_movk_i32 s20, 0x7fff
	s_mov_b64 s[16:17], s[34:35]
	v_dual_mov_b32 v36, s20 :: v_dual_mov_b32 v145, s56
	s_and_saveexec_b32 s20, s19
	s_cbranch_execz .LBB2057_428
.LBB2057_427:                           ;   in Loop: Header=BB2057_392 Depth=2
	s_lshl_b64 s[16:17], s[16:17], 1
	v_mov_b32_e32 v145, s18
	v_add_co_u32 v36, vcc_lo, v127, s16
	v_add_co_ci_u32_e32 v37, vcc_lo, s17, v128, vcc_lo
	global_load_u16 v36, v[36:37], off
.LBB2057_428:                           ;   in Loop: Header=BB2057_392 Depth=2
	s_or_b32 exec_lo, exec_lo, s20
	s_waitcnt vmcnt(14)
	v_cmp_lt_i16_e32 vcc_lo, -1, v2
	ds_store_b32 v69, v3 offset:1056
	ds_store_2addr_b32 v71, v3, v3 offset0:1 offset1:2
	ds_store_2addr_b32 v71, v3, v3 offset0:3 offset1:4
	;; [unrolled: 1-line block ×4, first 2 shown]
	s_waitcnt vmcnt(0) lgkmcnt(0)
	s_barrier
	v_cndmask_b32_e64 v37, -1, 0xffff8000, vcc_lo
	buffer_gl0_inv
	; wave barrier
	v_xor_b32_e32 v2, v37, v2
	s_delay_alu instid0(VALU_DEP_1) | instskip(SKIP_1) | instid1(VALU_DEP_1)
	v_cmp_ne_u16_e32 vcc_lo, 0x7fff, v2
	v_cndmask_b32_e32 v37, 0xffff8000, v2, vcc_lo
	v_and_b32_e32 v37, 0xffff, v37
	s_delay_alu instid0(VALU_DEP_1) | instskip(NEXT) | instid1(VALU_DEP_1)
	v_lshrrev_b32_e32 v37, s48, v37
	v_and_b32_e32 v148, s55, v37
	s_delay_alu instid0(VALU_DEP_1)
	v_lshlrev_b32_e32 v150, 29, v148
	v_and_b32_e32 v37, 1, v148
	v_lshlrev_b32_e32 v147, 30, v148
	v_lshlrev_b32_e32 v151, 28, v148
	;; [unrolled: 1-line block ×4, first 2 shown]
	v_add_co_u32 v37, s16, v37, -1
	s_delay_alu instid0(VALU_DEP_1)
	v_cndmask_b32_e64 v152, 0, 1, s16
	v_not_b32_e32 v158, v147
	v_cmp_gt_i32_e64 s16, 0, v147
	v_not_b32_e32 v147, v150
	v_lshlrev_b32_e32 v156, 25, v148
	v_cmp_ne_u32_e32 vcc_lo, 0, v152
	v_ashrrev_i32_e32 v158, 31, v158
	v_lshlrev_b32_e32 v152, 24, v148
	v_ashrrev_i32_e32 v147, 31, v147
	v_mad_u32_u24 v148, v148, 9, v126
	v_xor_b32_e32 v37, vcc_lo, v37
	v_cmp_gt_i32_e32 vcc_lo, 0, v150
	v_not_b32_e32 v150, v151
	v_xor_b32_e32 v158, s16, v158
	v_cmp_gt_i32_e64 s16, 0, v151
	v_and_b32_e32 v37, exec_lo, v37
	v_not_b32_e32 v151, v154
	v_ashrrev_i32_e32 v150, 31, v150
	v_xor_b32_e32 v147, vcc_lo, v147
	v_cmp_gt_i32_e32 vcc_lo, 0, v154
	v_and_b32_e32 v37, v37, v158
	v_not_b32_e32 v154, v155
	v_ashrrev_i32_e32 v151, 31, v151
	v_xor_b32_e32 v150, s16, v150
	v_cmp_gt_i32_e64 s16, 0, v155
	v_and_b32_e32 v37, v37, v147
	v_not_b32_e32 v147, v156
	v_ashrrev_i32_e32 v154, 31, v154
	v_xor_b32_e32 v151, vcc_lo, v151
	v_cmp_gt_i32_e32 vcc_lo, 0, v156
	v_and_b32_e32 v37, v37, v150
	v_not_b32_e32 v150, v152
	v_ashrrev_i32_e32 v147, 31, v147
	v_xor_b32_e32 v154, s16, v154
	v_cmp_gt_i32_e64 s16, 0, v152
	v_and_b32_e32 v37, v37, v151
	v_ashrrev_i32_e32 v150, 31, v150
	v_xor_b32_e32 v147, vcc_lo, v147
	v_lshl_add_u32 v148, v148, 2, 0x420
	s_delay_alu instid0(VALU_DEP_4) | instskip(NEXT) | instid1(VALU_DEP_4)
	v_and_b32_e32 v37, v37, v154
	v_xor_b32_e32 v150, s16, v150
	s_delay_alu instid0(VALU_DEP_2) | instskip(NEXT) | instid1(VALU_DEP_1)
	v_and_b32_e32 v37, v37, v147
	v_and_b32_e32 v37, v37, v150
	s_delay_alu instid0(VALU_DEP_1) | instskip(SKIP_1) | instid1(VALU_DEP_2)
	v_mbcnt_lo_u32_b32 v147, v37, 0
	v_cmp_ne_u32_e64 s16, 0, v37
	v_cmp_eq_u32_e32 vcc_lo, 0, v147
	s_delay_alu instid0(VALU_DEP_2) | instskip(NEXT) | instid1(SALU_CYCLE_1)
	s_and_b32 s17, s16, vcc_lo
	s_and_saveexec_b32 s16, s17
	s_cbranch_execz .LBB2057_430
; %bb.429:                              ;   in Loop: Header=BB2057_392 Depth=2
	v_bcnt_u32_b32 v37, v37, 0
	ds_store_b32 v148, v37
.LBB2057_430:                           ;   in Loop: Header=BB2057_392 Depth=2
	s_or_b32 exec_lo, exec_lo, s16
	v_cmp_lt_i16_e64 vcc_lo, -1, v146
	; wave barrier
	s_delay_alu instid0(VALU_DEP_1) | instskip(NEXT) | instid1(VALU_DEP_1)
	v_cndmask_b32_e64 v37, -1, 0xffff8000, vcc_lo
	v_xor_b32_e32 v146, v37, v146
	s_delay_alu instid0(VALU_DEP_1) | instskip(SKIP_1) | instid1(VALU_DEP_1)
	v_cmp_ne_u16_e64 vcc_lo, 0x7fff, v146
	v_cndmask_b32_e32 v37, 0xffff8000, v146, vcc_lo
	v_and_b32_e32 v37, 0xffff, v37
	s_delay_alu instid0(VALU_DEP_1) | instskip(NEXT) | instid1(VALU_DEP_1)
	v_lshrrev_b32_e32 v37, s48, v37
	v_and_b32_e32 v37, s55, v37
	s_delay_alu instid0(VALU_DEP_1)
	v_and_b32_e32 v150, 1, v37
	v_lshlrev_b32_e32 v151, 30, v37
	v_lshlrev_b32_e32 v152, 29, v37
	;; [unrolled: 1-line block ×4, first 2 shown]
	v_add_co_u32 v150, s16, v150, -1
	s_delay_alu instid0(VALU_DEP_1)
	v_cndmask_b32_e64 v155, 0, 1, s16
	v_not_b32_e32 v160, v151
	v_cmp_gt_i32_e64 s16, 0, v151
	v_not_b32_e32 v151, v152
	v_lshlrev_b32_e32 v158, 26, v37
	v_cmp_ne_u32_e32 vcc_lo, 0, v155
	v_ashrrev_i32_e32 v160, 31, v160
	v_lshlrev_b32_e32 v159, 25, v37
	v_ashrrev_i32_e32 v151, 31, v151
	v_lshlrev_b32_e32 v155, 24, v37
	v_xor_b32_e32 v150, vcc_lo, v150
	v_cmp_gt_i32_e32 vcc_lo, 0, v152
	v_not_b32_e32 v152, v154
	v_xor_b32_e32 v160, s16, v160
	v_cmp_gt_i32_e64 s16, 0, v154
	v_and_b32_e32 v150, exec_lo, v150
	v_not_b32_e32 v154, v156
	v_ashrrev_i32_e32 v152, 31, v152
	v_xor_b32_e32 v151, vcc_lo, v151
	v_cmp_gt_i32_e32 vcc_lo, 0, v156
	v_and_b32_e32 v150, v150, v160
	v_not_b32_e32 v156, v158
	v_ashrrev_i32_e32 v154, 31, v154
	v_xor_b32_e32 v152, s16, v152
	v_cmp_gt_i32_e64 s16, 0, v158
	v_and_b32_e32 v150, v150, v151
	v_not_b32_e32 v151, v159
	v_ashrrev_i32_e32 v156, 31, v156
	v_xor_b32_e32 v154, vcc_lo, v154
	v_cmp_gt_i32_e32 vcc_lo, 0, v159
	v_and_b32_e32 v150, v150, v152
	v_not_b32_e32 v152, v155
	v_ashrrev_i32_e32 v151, 31, v151
	v_xor_b32_e32 v156, s16, v156
	v_mul_u32_u24_e32 v37, 9, v37
	v_and_b32_e32 v150, v150, v154
	v_cmp_gt_i32_e64 s16, 0, v155
	v_ashrrev_i32_e32 v152, 31, v152
	v_xor_b32_e32 v151, vcc_lo, v151
	v_add_lshl_u32 v154, v37, v126, 2
	v_and_b32_e32 v150, v150, v156
	s_delay_alu instid0(VALU_DEP_4) | instskip(NEXT) | instid1(VALU_DEP_3)
	v_xor_b32_e32 v37, s16, v152
	v_add_nc_u32_e32 v152, 0x420, v154
	s_delay_alu instid0(VALU_DEP_3) | instskip(SKIP_2) | instid1(VALU_DEP_1)
	v_and_b32_e32 v151, v150, v151
	ds_load_b32 v150, v154 offset:1056
	; wave barrier
	v_and_b32_e32 v37, v151, v37
	v_mbcnt_lo_u32_b32 v151, v37, 0
	v_cmp_ne_u32_e64 s16, 0, v37
	s_delay_alu instid0(VALU_DEP_2) | instskip(NEXT) | instid1(VALU_DEP_2)
	v_cmp_eq_u32_e32 vcc_lo, 0, v151
	s_and_b32 s17, s16, vcc_lo
	s_delay_alu instid0(SALU_CYCLE_1)
	s_and_saveexec_b32 s16, s17
	s_cbranch_execz .LBB2057_432
; %bb.431:                              ;   in Loop: Header=BB2057_392 Depth=2
	s_waitcnt lgkmcnt(0)
	v_bcnt_u32_b32 v37, v37, v150
	ds_store_b32 v152, v37
.LBB2057_432:                           ;   in Loop: Header=BB2057_392 Depth=2
	s_or_b32 exec_lo, exec_lo, s16
	v_cmp_lt_i16_e64 vcc_lo, -1, v149
	; wave barrier
	s_delay_alu instid0(VALU_DEP_1) | instskip(NEXT) | instid1(VALU_DEP_1)
	v_cndmask_b32_e64 v37, -1, 0xffff8000, vcc_lo
	v_xor_b32_e32 v149, v37, v149
	s_delay_alu instid0(VALU_DEP_1) | instskip(SKIP_1) | instid1(VALU_DEP_1)
	v_cmp_ne_u16_e64 vcc_lo, 0x7fff, v149
	v_cndmask_b32_e32 v37, 0xffff8000, v149, vcc_lo
	v_and_b32_e32 v37, 0xffff, v37
	s_delay_alu instid0(VALU_DEP_1) | instskip(NEXT) | instid1(VALU_DEP_1)
	v_lshrrev_b32_e32 v37, s48, v37
	v_and_b32_e32 v37, s55, v37
	s_delay_alu instid0(VALU_DEP_1)
	v_and_b32_e32 v154, 1, v37
	v_lshlrev_b32_e32 v155, 30, v37
	v_lshlrev_b32_e32 v156, 29, v37
	v_lshlrev_b32_e32 v158, 28, v37
	v_lshlrev_b32_e32 v160, 27, v37
	v_add_co_u32 v154, s16, v154, -1
	s_delay_alu instid0(VALU_DEP_1)
	v_cndmask_b32_e64 v159, 0, 1, s16
	v_not_b32_e32 v164, v155
	v_cmp_gt_i32_e64 s16, 0, v155
	v_not_b32_e32 v155, v156
	v_lshlrev_b32_e32 v162, 26, v37
	v_cmp_ne_u32_e32 vcc_lo, 0, v159
	v_ashrrev_i32_e32 v164, 31, v164
	v_lshlrev_b32_e32 v163, 25, v37
	v_ashrrev_i32_e32 v155, 31, v155
	v_lshlrev_b32_e32 v159, 24, v37
	v_xor_b32_e32 v154, vcc_lo, v154
	v_cmp_gt_i32_e32 vcc_lo, 0, v156
	v_not_b32_e32 v156, v158
	v_xor_b32_e32 v164, s16, v164
	v_cmp_gt_i32_e64 s16, 0, v158
	v_and_b32_e32 v154, exec_lo, v154
	v_not_b32_e32 v158, v160
	v_ashrrev_i32_e32 v156, 31, v156
	v_xor_b32_e32 v155, vcc_lo, v155
	v_cmp_gt_i32_e32 vcc_lo, 0, v160
	v_and_b32_e32 v154, v154, v164
	v_not_b32_e32 v160, v162
	v_ashrrev_i32_e32 v158, 31, v158
	v_xor_b32_e32 v156, s16, v156
	v_cmp_gt_i32_e64 s16, 0, v162
	v_and_b32_e32 v154, v154, v155
	v_not_b32_e32 v155, v163
	v_ashrrev_i32_e32 v160, 31, v160
	v_xor_b32_e32 v158, vcc_lo, v158
	v_cmp_gt_i32_e32 vcc_lo, 0, v163
	v_and_b32_e32 v154, v154, v156
	v_not_b32_e32 v156, v159
	v_ashrrev_i32_e32 v155, 31, v155
	v_xor_b32_e32 v160, s16, v160
	v_mul_u32_u24_e32 v37, 9, v37
	v_and_b32_e32 v154, v154, v158
	v_cmp_gt_i32_e64 s16, 0, v159
	v_ashrrev_i32_e32 v156, 31, v156
	v_xor_b32_e32 v155, vcc_lo, v155
	v_add_lshl_u32 v158, v37, v126, 2
	v_and_b32_e32 v154, v154, v160
	s_delay_alu instid0(VALU_DEP_4) | instskip(NEXT) | instid1(VALU_DEP_3)
	v_xor_b32_e32 v37, s16, v156
	v_add_nc_u32_e32 v156, 0x420, v158
	s_delay_alu instid0(VALU_DEP_3) | instskip(SKIP_2) | instid1(VALU_DEP_1)
	v_and_b32_e32 v155, v154, v155
	ds_load_b32 v154, v158 offset:1056
	; wave barrier
	v_and_b32_e32 v37, v155, v37
	v_mbcnt_lo_u32_b32 v155, v37, 0
	v_cmp_ne_u32_e64 s16, 0, v37
	s_delay_alu instid0(VALU_DEP_2) | instskip(NEXT) | instid1(VALU_DEP_2)
	v_cmp_eq_u32_e32 vcc_lo, 0, v155
	s_and_b32 s17, s16, vcc_lo
	s_delay_alu instid0(SALU_CYCLE_1)
	s_and_saveexec_b32 s16, s17
	s_cbranch_execz .LBB2057_434
; %bb.433:                              ;   in Loop: Header=BB2057_392 Depth=2
	s_waitcnt lgkmcnt(0)
	v_bcnt_u32_b32 v37, v37, v154
	ds_store_b32 v156, v37
.LBB2057_434:                           ;   in Loop: Header=BB2057_392 Depth=2
	s_or_b32 exec_lo, exec_lo, s16
	v_cmp_lt_i16_e64 vcc_lo, -1, v153
	; wave barrier
	s_delay_alu instid0(VALU_DEP_1) | instskip(NEXT) | instid1(VALU_DEP_1)
	v_cndmask_b32_e64 v37, -1, 0xffff8000, vcc_lo
	v_xor_b32_e32 v153, v37, v153
	s_delay_alu instid0(VALU_DEP_1) | instskip(SKIP_1) | instid1(VALU_DEP_1)
	v_cmp_ne_u16_e64 vcc_lo, 0x7fff, v153
	v_cndmask_b32_e32 v37, 0xffff8000, v153, vcc_lo
	v_and_b32_e32 v37, 0xffff, v37
	s_delay_alu instid0(VALU_DEP_1) | instskip(NEXT) | instid1(VALU_DEP_1)
	v_lshrrev_b32_e32 v37, s48, v37
	v_and_b32_e32 v37, s55, v37
	s_delay_alu instid0(VALU_DEP_1)
	v_and_b32_e32 v158, 1, v37
	v_lshlrev_b32_e32 v159, 30, v37
	v_lshlrev_b32_e32 v160, 29, v37
	v_lshlrev_b32_e32 v162, 28, v37
	v_lshlrev_b32_e32 v164, 27, v37
	v_add_co_u32 v158, s16, v158, -1
	s_delay_alu instid0(VALU_DEP_1)
	v_cndmask_b32_e64 v163, 0, 1, s16
	v_not_b32_e32 v168, v159
	v_cmp_gt_i32_e64 s16, 0, v159
	v_not_b32_e32 v159, v160
	v_lshlrev_b32_e32 v166, 26, v37
	v_cmp_ne_u32_e32 vcc_lo, 0, v163
	v_ashrrev_i32_e32 v168, 31, v168
	v_lshlrev_b32_e32 v167, 25, v37
	v_ashrrev_i32_e32 v159, 31, v159
	v_lshlrev_b32_e32 v163, 24, v37
	v_xor_b32_e32 v158, vcc_lo, v158
	v_cmp_gt_i32_e32 vcc_lo, 0, v160
	v_not_b32_e32 v160, v162
	v_xor_b32_e32 v168, s16, v168
	v_cmp_gt_i32_e64 s16, 0, v162
	v_and_b32_e32 v158, exec_lo, v158
	v_not_b32_e32 v162, v164
	v_ashrrev_i32_e32 v160, 31, v160
	v_xor_b32_e32 v159, vcc_lo, v159
	v_cmp_gt_i32_e32 vcc_lo, 0, v164
	v_and_b32_e32 v158, v158, v168
	v_not_b32_e32 v164, v166
	v_ashrrev_i32_e32 v162, 31, v162
	v_xor_b32_e32 v160, s16, v160
	v_cmp_gt_i32_e64 s16, 0, v166
	v_and_b32_e32 v158, v158, v159
	v_not_b32_e32 v159, v167
	v_ashrrev_i32_e32 v164, 31, v164
	v_xor_b32_e32 v162, vcc_lo, v162
	v_cmp_gt_i32_e32 vcc_lo, 0, v167
	v_and_b32_e32 v158, v158, v160
	v_not_b32_e32 v160, v163
	v_ashrrev_i32_e32 v159, 31, v159
	v_xor_b32_e32 v164, s16, v164
	v_mul_u32_u24_e32 v37, 9, v37
	v_and_b32_e32 v158, v158, v162
	v_cmp_gt_i32_e64 s16, 0, v163
	v_ashrrev_i32_e32 v160, 31, v160
	v_xor_b32_e32 v159, vcc_lo, v159
	v_add_lshl_u32 v162, v37, v126, 2
	v_and_b32_e32 v158, v158, v164
	s_delay_alu instid0(VALU_DEP_4) | instskip(NEXT) | instid1(VALU_DEP_3)
	v_xor_b32_e32 v37, s16, v160
	v_add_nc_u32_e32 v160, 0x420, v162
	s_delay_alu instid0(VALU_DEP_3) | instskip(SKIP_2) | instid1(VALU_DEP_1)
	v_and_b32_e32 v159, v158, v159
	ds_load_b32 v158, v162 offset:1056
	; wave barrier
	v_and_b32_e32 v37, v159, v37
	v_mbcnt_lo_u32_b32 v159, v37, 0
	v_cmp_ne_u32_e64 s16, 0, v37
	s_delay_alu instid0(VALU_DEP_2) | instskip(NEXT) | instid1(VALU_DEP_2)
	v_cmp_eq_u32_e32 vcc_lo, 0, v159
	s_and_b32 s17, s16, vcc_lo
	s_delay_alu instid0(SALU_CYCLE_1)
	s_and_saveexec_b32 s16, s17
	s_cbranch_execz .LBB2057_436
; %bb.435:                              ;   in Loop: Header=BB2057_392 Depth=2
	s_waitcnt lgkmcnt(0)
	v_bcnt_u32_b32 v37, v37, v158
	ds_store_b32 v160, v37
.LBB2057_436:                           ;   in Loop: Header=BB2057_392 Depth=2
	s_or_b32 exec_lo, exec_lo, s16
	v_cmp_lt_i16_e64 vcc_lo, -1, v157
	; wave barrier
	s_delay_alu instid0(VALU_DEP_1) | instskip(NEXT) | instid1(VALU_DEP_1)
	v_cndmask_b32_e64 v37, -1, 0xffff8000, vcc_lo
	v_xor_b32_e32 v157, v37, v157
	s_delay_alu instid0(VALU_DEP_1) | instskip(SKIP_1) | instid1(VALU_DEP_1)
	v_cmp_ne_u16_e64 vcc_lo, 0x7fff, v157
	v_cndmask_b32_e32 v37, 0xffff8000, v157, vcc_lo
	v_and_b32_e32 v37, 0xffff, v37
	s_delay_alu instid0(VALU_DEP_1) | instskip(NEXT) | instid1(VALU_DEP_1)
	v_lshrrev_b32_e32 v37, s48, v37
	v_and_b32_e32 v37, s55, v37
	s_delay_alu instid0(VALU_DEP_1)
	v_and_b32_e32 v162, 1, v37
	v_lshlrev_b32_e32 v163, 30, v37
	v_lshlrev_b32_e32 v164, 29, v37
	;; [unrolled: 1-line block ×4, first 2 shown]
	v_add_co_u32 v162, s16, v162, -1
	s_delay_alu instid0(VALU_DEP_1)
	v_cndmask_b32_e64 v167, 0, 1, s16
	v_not_b32_e32 v173, v163
	v_cmp_gt_i32_e64 s16, 0, v163
	v_not_b32_e32 v163, v164
	v_lshlrev_b32_e32 v171, 26, v37
	v_cmp_ne_u32_e32 vcc_lo, 0, v167
	v_ashrrev_i32_e32 v173, 31, v173
	v_lshlrev_b32_e32 v172, 25, v37
	v_ashrrev_i32_e32 v163, 31, v163
	v_lshlrev_b32_e32 v167, 24, v37
	v_xor_b32_e32 v162, vcc_lo, v162
	v_cmp_gt_i32_e32 vcc_lo, 0, v164
	v_not_b32_e32 v164, v166
	v_xor_b32_e32 v173, s16, v173
	v_cmp_gt_i32_e64 s16, 0, v166
	v_and_b32_e32 v162, exec_lo, v162
	v_not_b32_e32 v166, v168
	v_ashrrev_i32_e32 v164, 31, v164
	v_xor_b32_e32 v163, vcc_lo, v163
	v_cmp_gt_i32_e32 vcc_lo, 0, v168
	v_and_b32_e32 v162, v162, v173
	v_not_b32_e32 v168, v171
	v_ashrrev_i32_e32 v166, 31, v166
	v_xor_b32_e32 v164, s16, v164
	v_cmp_gt_i32_e64 s16, 0, v171
	v_and_b32_e32 v162, v162, v163
	v_not_b32_e32 v163, v172
	v_ashrrev_i32_e32 v168, 31, v168
	v_xor_b32_e32 v166, vcc_lo, v166
	v_cmp_gt_i32_e32 vcc_lo, 0, v172
	v_and_b32_e32 v162, v162, v164
	v_not_b32_e32 v164, v167
	v_ashrrev_i32_e32 v163, 31, v163
	v_xor_b32_e32 v168, s16, v168
	v_mul_u32_u24_e32 v37, 9, v37
	v_and_b32_e32 v162, v162, v166
	v_cmp_gt_i32_e64 s16, 0, v167
	v_ashrrev_i32_e32 v164, 31, v164
	v_xor_b32_e32 v163, vcc_lo, v163
	v_add_lshl_u32 v166, v37, v126, 2
	v_and_b32_e32 v162, v162, v168
	s_delay_alu instid0(VALU_DEP_4) | instskip(NEXT) | instid1(VALU_DEP_3)
	v_xor_b32_e32 v37, s16, v164
	v_add_nc_u32_e32 v164, 0x420, v166
	s_delay_alu instid0(VALU_DEP_3) | instskip(SKIP_2) | instid1(VALU_DEP_1)
	v_and_b32_e32 v163, v162, v163
	ds_load_b32 v162, v166 offset:1056
	; wave barrier
	v_and_b32_e32 v37, v163, v37
	v_mbcnt_lo_u32_b32 v163, v37, 0
	v_cmp_ne_u32_e64 s16, 0, v37
	s_delay_alu instid0(VALU_DEP_2) | instskip(NEXT) | instid1(VALU_DEP_2)
	v_cmp_eq_u32_e32 vcc_lo, 0, v163
	s_and_b32 s17, s16, vcc_lo
	s_delay_alu instid0(SALU_CYCLE_1)
	s_and_saveexec_b32 s16, s17
	s_cbranch_execz .LBB2057_438
; %bb.437:                              ;   in Loop: Header=BB2057_392 Depth=2
	s_waitcnt lgkmcnt(0)
	v_bcnt_u32_b32 v37, v37, v162
	ds_store_b32 v164, v37
.LBB2057_438:                           ;   in Loop: Header=BB2057_392 Depth=2
	s_or_b32 exec_lo, exec_lo, s16
	v_cmp_lt_i16_e64 vcc_lo, -1, v161
	; wave barrier
	s_delay_alu instid0(VALU_DEP_1) | instskip(NEXT) | instid1(VALU_DEP_1)
	v_cndmask_b32_e64 v37, -1, 0xffff8000, vcc_lo
	v_xor_b32_e32 v161, v37, v161
	s_delay_alu instid0(VALU_DEP_1) | instskip(SKIP_1) | instid1(VALU_DEP_1)
	v_cmp_ne_u16_e64 vcc_lo, 0x7fff, v161
	v_cndmask_b32_e32 v37, 0xffff8000, v161, vcc_lo
	v_and_b32_e32 v37, 0xffff, v37
	s_delay_alu instid0(VALU_DEP_1) | instskip(NEXT) | instid1(VALU_DEP_1)
	v_lshrrev_b32_e32 v37, s48, v37
	v_and_b32_e32 v37, s55, v37
	s_delay_alu instid0(VALU_DEP_1)
	v_and_b32_e32 v166, 1, v37
	v_lshlrev_b32_e32 v167, 30, v37
	v_lshlrev_b32_e32 v168, 29, v37
	;; [unrolled: 1-line block ×4, first 2 shown]
	v_add_co_u32 v166, s16, v166, -1
	s_delay_alu instid0(VALU_DEP_1)
	v_cndmask_b32_e64 v172, 0, 1, s16
	v_not_b32_e32 v176, v167
	v_cmp_gt_i32_e64 s16, 0, v167
	v_not_b32_e32 v167, v168
	v_lshlrev_b32_e32 v174, 26, v37
	v_cmp_ne_u32_e32 vcc_lo, 0, v172
	v_ashrrev_i32_e32 v176, 31, v176
	v_lshlrev_b32_e32 v175, 25, v37
	v_ashrrev_i32_e32 v167, 31, v167
	v_lshlrev_b32_e32 v172, 24, v37
	v_xor_b32_e32 v166, vcc_lo, v166
	v_cmp_gt_i32_e32 vcc_lo, 0, v168
	v_not_b32_e32 v168, v171
	v_xor_b32_e32 v176, s16, v176
	v_cmp_gt_i32_e64 s16, 0, v171
	v_and_b32_e32 v166, exec_lo, v166
	v_not_b32_e32 v171, v173
	v_ashrrev_i32_e32 v168, 31, v168
	v_xor_b32_e32 v167, vcc_lo, v167
	v_cmp_gt_i32_e32 vcc_lo, 0, v173
	v_and_b32_e32 v166, v166, v176
	v_not_b32_e32 v173, v174
	v_ashrrev_i32_e32 v171, 31, v171
	v_xor_b32_e32 v168, s16, v168
	v_cmp_gt_i32_e64 s16, 0, v174
	v_and_b32_e32 v166, v166, v167
	v_not_b32_e32 v167, v175
	v_ashrrev_i32_e32 v173, 31, v173
	v_xor_b32_e32 v171, vcc_lo, v171
	v_cmp_gt_i32_e32 vcc_lo, 0, v175
	v_and_b32_e32 v166, v166, v168
	v_not_b32_e32 v168, v172
	v_ashrrev_i32_e32 v167, 31, v167
	v_xor_b32_e32 v173, s16, v173
	v_mul_u32_u24_e32 v37, 9, v37
	v_and_b32_e32 v166, v166, v171
	v_cmp_gt_i32_e64 s16, 0, v172
	v_ashrrev_i32_e32 v168, 31, v168
	v_xor_b32_e32 v167, vcc_lo, v167
	v_add_lshl_u32 v171, v37, v126, 2
	v_and_b32_e32 v166, v166, v173
	s_delay_alu instid0(VALU_DEP_4) | instskip(NEXT) | instid1(VALU_DEP_3)
	v_xor_b32_e32 v37, s16, v168
	v_add_nc_u32_e32 v168, 0x420, v171
	s_delay_alu instid0(VALU_DEP_3) | instskip(SKIP_2) | instid1(VALU_DEP_1)
	v_and_b32_e32 v167, v166, v167
	ds_load_b32 v166, v171 offset:1056
	; wave barrier
	v_and_b32_e32 v37, v167, v37
	v_mbcnt_lo_u32_b32 v167, v37, 0
	v_cmp_ne_u32_e64 s16, 0, v37
	s_delay_alu instid0(VALU_DEP_2) | instskip(NEXT) | instid1(VALU_DEP_2)
	v_cmp_eq_u32_e32 vcc_lo, 0, v167
	s_and_b32 s17, s16, vcc_lo
	s_delay_alu instid0(SALU_CYCLE_1)
	s_and_saveexec_b32 s16, s17
	s_cbranch_execz .LBB2057_440
; %bb.439:                              ;   in Loop: Header=BB2057_392 Depth=2
	s_waitcnt lgkmcnt(0)
	v_bcnt_u32_b32 v37, v37, v166
	ds_store_b32 v168, v37
.LBB2057_440:                           ;   in Loop: Header=BB2057_392 Depth=2
	s_or_b32 exec_lo, exec_lo, s16
	v_cmp_lt_i16_e64 vcc_lo, -1, v165
	; wave barrier
	s_delay_alu instid0(VALU_DEP_1) | instskip(NEXT) | instid1(VALU_DEP_1)
	v_cndmask_b32_e64 v37, -1, 0xffff8000, vcc_lo
	v_xor_b32_e32 v165, v37, v165
	s_delay_alu instid0(VALU_DEP_1) | instskip(SKIP_1) | instid1(VALU_DEP_1)
	v_cmp_ne_u16_e64 vcc_lo, 0x7fff, v165
	v_cndmask_b32_e32 v37, 0xffff8000, v165, vcc_lo
	v_and_b32_e32 v37, 0xffff, v37
	s_delay_alu instid0(VALU_DEP_1) | instskip(NEXT) | instid1(VALU_DEP_1)
	v_lshrrev_b32_e32 v37, s48, v37
	v_and_b32_e32 v37, s55, v37
	s_delay_alu instid0(VALU_DEP_1)
	v_and_b32_e32 v171, 1, v37
	v_lshlrev_b32_e32 v172, 30, v37
	v_lshlrev_b32_e32 v173, 29, v37
	v_lshlrev_b32_e32 v174, 28, v37
	v_lshlrev_b32_e32 v176, 27, v37
	v_add_co_u32 v171, s16, v171, -1
	s_delay_alu instid0(VALU_DEP_1)
	v_cndmask_b32_e64 v175, 0, 1, s16
	v_not_b32_e32 v179, v172
	v_cmp_gt_i32_e64 s16, 0, v172
	v_not_b32_e32 v172, v173
	v_lshlrev_b32_e32 v177, 26, v37
	v_cmp_ne_u32_e32 vcc_lo, 0, v175
	v_ashrrev_i32_e32 v179, 31, v179
	v_lshlrev_b32_e32 v178, 25, v37
	v_ashrrev_i32_e32 v172, 31, v172
	v_lshlrev_b32_e32 v175, 24, v37
	v_xor_b32_e32 v171, vcc_lo, v171
	v_cmp_gt_i32_e32 vcc_lo, 0, v173
	v_not_b32_e32 v173, v174
	v_xor_b32_e32 v179, s16, v179
	v_cmp_gt_i32_e64 s16, 0, v174
	v_and_b32_e32 v171, exec_lo, v171
	v_not_b32_e32 v174, v176
	v_ashrrev_i32_e32 v173, 31, v173
	v_xor_b32_e32 v172, vcc_lo, v172
	v_cmp_gt_i32_e32 vcc_lo, 0, v176
	v_and_b32_e32 v171, v171, v179
	v_not_b32_e32 v176, v177
	v_ashrrev_i32_e32 v174, 31, v174
	v_xor_b32_e32 v173, s16, v173
	v_cmp_gt_i32_e64 s16, 0, v177
	v_and_b32_e32 v171, v171, v172
	v_not_b32_e32 v172, v178
	v_ashrrev_i32_e32 v176, 31, v176
	v_xor_b32_e32 v174, vcc_lo, v174
	v_cmp_gt_i32_e32 vcc_lo, 0, v178
	v_and_b32_e32 v171, v171, v173
	v_not_b32_e32 v173, v175
	v_ashrrev_i32_e32 v172, 31, v172
	v_xor_b32_e32 v176, s16, v176
	v_mul_u32_u24_e32 v37, 9, v37
	v_and_b32_e32 v171, v171, v174
	v_cmp_gt_i32_e64 s16, 0, v175
	v_ashrrev_i32_e32 v173, 31, v173
	v_xor_b32_e32 v172, vcc_lo, v172
	v_add_lshl_u32 v174, v37, v126, 2
	v_and_b32_e32 v171, v171, v176
	s_delay_alu instid0(VALU_DEP_4) | instskip(NEXT) | instid1(VALU_DEP_3)
	v_xor_b32_e32 v37, s16, v173
	v_add_nc_u32_e32 v173, 0x420, v174
	s_delay_alu instid0(VALU_DEP_3) | instskip(SKIP_2) | instid1(VALU_DEP_1)
	v_and_b32_e32 v172, v171, v172
	ds_load_b32 v171, v174 offset:1056
	; wave barrier
	v_and_b32_e32 v37, v172, v37
	v_mbcnt_lo_u32_b32 v172, v37, 0
	v_cmp_ne_u32_e64 s16, 0, v37
	s_delay_alu instid0(VALU_DEP_2) | instskip(NEXT) | instid1(VALU_DEP_2)
	v_cmp_eq_u32_e32 vcc_lo, 0, v172
	s_and_b32 s17, s16, vcc_lo
	s_delay_alu instid0(SALU_CYCLE_1)
	s_and_saveexec_b32 s16, s17
	s_cbranch_execz .LBB2057_442
; %bb.441:                              ;   in Loop: Header=BB2057_392 Depth=2
	s_waitcnt lgkmcnt(0)
	v_bcnt_u32_b32 v37, v37, v171
	ds_store_b32 v173, v37
.LBB2057_442:                           ;   in Loop: Header=BB2057_392 Depth=2
	s_or_b32 exec_lo, exec_lo, s16
	v_cmp_lt_i16_e64 vcc_lo, -1, v170
	; wave barrier
	s_delay_alu instid0(VALU_DEP_1) | instskip(NEXT) | instid1(VALU_DEP_1)
	v_cndmask_b32_e64 v37, -1, 0xffff8000, vcc_lo
	v_xor_b32_e32 v170, v37, v170
	s_delay_alu instid0(VALU_DEP_1) | instskip(SKIP_1) | instid1(VALU_DEP_1)
	v_cmp_ne_u16_e64 vcc_lo, 0x7fff, v170
	v_cndmask_b32_e32 v37, 0xffff8000, v170, vcc_lo
	v_and_b32_e32 v37, 0xffff, v37
	s_delay_alu instid0(VALU_DEP_1) | instskip(NEXT) | instid1(VALU_DEP_1)
	v_lshrrev_b32_e32 v37, s48, v37
	v_and_b32_e32 v37, s55, v37
	s_delay_alu instid0(VALU_DEP_1)
	v_and_b32_e32 v174, 1, v37
	v_lshlrev_b32_e32 v175, 30, v37
	v_lshlrev_b32_e32 v176, 29, v37
	;; [unrolled: 1-line block ×4, first 2 shown]
	v_add_co_u32 v174, s16, v174, -1
	s_delay_alu instid0(VALU_DEP_1)
	v_cndmask_b32_e64 v178, 0, 1, s16
	v_not_b32_e32 v182, v175
	v_cmp_gt_i32_e64 s16, 0, v175
	v_not_b32_e32 v175, v176
	v_lshlrev_b32_e32 v180, 26, v37
	v_cmp_ne_u32_e32 vcc_lo, 0, v178
	v_ashrrev_i32_e32 v182, 31, v182
	v_lshlrev_b32_e32 v181, 25, v37
	v_ashrrev_i32_e32 v175, 31, v175
	v_lshlrev_b32_e32 v178, 24, v37
	v_xor_b32_e32 v174, vcc_lo, v174
	v_cmp_gt_i32_e32 vcc_lo, 0, v176
	v_not_b32_e32 v176, v177
	v_xor_b32_e32 v182, s16, v182
	v_cmp_gt_i32_e64 s16, 0, v177
	v_and_b32_e32 v174, exec_lo, v174
	v_not_b32_e32 v177, v179
	v_ashrrev_i32_e32 v176, 31, v176
	v_xor_b32_e32 v175, vcc_lo, v175
	v_cmp_gt_i32_e32 vcc_lo, 0, v179
	v_and_b32_e32 v174, v174, v182
	v_not_b32_e32 v179, v180
	v_ashrrev_i32_e32 v177, 31, v177
	v_xor_b32_e32 v176, s16, v176
	v_cmp_gt_i32_e64 s16, 0, v180
	v_and_b32_e32 v174, v174, v175
	v_not_b32_e32 v175, v181
	v_ashrrev_i32_e32 v179, 31, v179
	v_xor_b32_e32 v177, vcc_lo, v177
	v_cmp_gt_i32_e32 vcc_lo, 0, v181
	v_and_b32_e32 v174, v174, v176
	v_not_b32_e32 v176, v178
	v_ashrrev_i32_e32 v175, 31, v175
	v_xor_b32_e32 v179, s16, v179
	v_mul_u32_u24_e32 v37, 9, v37
	v_and_b32_e32 v174, v174, v177
	v_cmp_gt_i32_e64 s16, 0, v178
	v_ashrrev_i32_e32 v176, 31, v176
	v_xor_b32_e32 v175, vcc_lo, v175
	v_add_lshl_u32 v177, v37, v126, 2
	v_and_b32_e32 v174, v174, v179
	s_delay_alu instid0(VALU_DEP_4) | instskip(NEXT) | instid1(VALU_DEP_3)
	v_xor_b32_e32 v37, s16, v176
	v_add_nc_u32_e32 v176, 0x420, v177
	s_delay_alu instid0(VALU_DEP_3) | instskip(SKIP_2) | instid1(VALU_DEP_1)
	v_and_b32_e32 v175, v174, v175
	ds_load_b32 v174, v177 offset:1056
	; wave barrier
	v_and_b32_e32 v37, v175, v37
	v_mbcnt_lo_u32_b32 v175, v37, 0
	v_cmp_ne_u32_e64 s16, 0, v37
	s_delay_alu instid0(VALU_DEP_2) | instskip(NEXT) | instid1(VALU_DEP_2)
	v_cmp_eq_u32_e32 vcc_lo, 0, v175
	s_and_b32 s17, s16, vcc_lo
	s_delay_alu instid0(SALU_CYCLE_1)
	s_and_saveexec_b32 s16, s17
	s_cbranch_execz .LBB2057_444
; %bb.443:                              ;   in Loop: Header=BB2057_392 Depth=2
	s_waitcnt lgkmcnt(0)
	v_bcnt_u32_b32 v37, v37, v174
	ds_store_b32 v176, v37
.LBB2057_444:                           ;   in Loop: Header=BB2057_392 Depth=2
	s_or_b32 exec_lo, exec_lo, s16
	v_cmp_lt_i16_e64 vcc_lo, -1, v169
	; wave barrier
	s_delay_alu instid0(VALU_DEP_1) | instskip(NEXT) | instid1(VALU_DEP_1)
	v_cndmask_b32_e64 v37, -1, 0xffff8000, vcc_lo
	v_xor_b32_e32 v169, v37, v169
	s_delay_alu instid0(VALU_DEP_1) | instskip(SKIP_1) | instid1(VALU_DEP_1)
	v_cmp_ne_u16_e64 vcc_lo, 0x7fff, v169
	v_cndmask_b32_e32 v37, 0xffff8000, v169, vcc_lo
	v_and_b32_e32 v37, 0xffff, v37
	s_delay_alu instid0(VALU_DEP_1) | instskip(NEXT) | instid1(VALU_DEP_1)
	v_lshrrev_b32_e32 v37, s48, v37
	v_and_b32_e32 v37, s55, v37
	s_delay_alu instid0(VALU_DEP_1)
	v_and_b32_e32 v177, 1, v37
	v_lshlrev_b32_e32 v178, 30, v37
	v_lshlrev_b32_e32 v179, 29, v37
	;; [unrolled: 1-line block ×4, first 2 shown]
	v_add_co_u32 v177, s16, v177, -1
	s_delay_alu instid0(VALU_DEP_1)
	v_cndmask_b32_e64 v181, 0, 1, s16
	v_not_b32_e32 v185, v178
	v_cmp_gt_i32_e64 s16, 0, v178
	v_not_b32_e32 v178, v179
	v_lshlrev_b32_e32 v183, 26, v37
	v_cmp_ne_u32_e32 vcc_lo, 0, v181
	v_ashrrev_i32_e32 v185, 31, v185
	v_lshlrev_b32_e32 v184, 25, v37
	v_ashrrev_i32_e32 v178, 31, v178
	v_lshlrev_b32_e32 v181, 24, v37
	v_xor_b32_e32 v177, vcc_lo, v177
	v_cmp_gt_i32_e32 vcc_lo, 0, v179
	v_not_b32_e32 v179, v180
	v_xor_b32_e32 v185, s16, v185
	v_cmp_gt_i32_e64 s16, 0, v180
	v_and_b32_e32 v177, exec_lo, v177
	v_not_b32_e32 v180, v182
	v_ashrrev_i32_e32 v179, 31, v179
	v_xor_b32_e32 v178, vcc_lo, v178
	v_cmp_gt_i32_e32 vcc_lo, 0, v182
	v_and_b32_e32 v177, v177, v185
	v_not_b32_e32 v182, v183
	v_ashrrev_i32_e32 v180, 31, v180
	v_xor_b32_e32 v179, s16, v179
	v_cmp_gt_i32_e64 s16, 0, v183
	v_and_b32_e32 v177, v177, v178
	v_not_b32_e32 v178, v184
	v_ashrrev_i32_e32 v182, 31, v182
	v_xor_b32_e32 v180, vcc_lo, v180
	v_cmp_gt_i32_e32 vcc_lo, 0, v184
	v_and_b32_e32 v177, v177, v179
	v_not_b32_e32 v179, v181
	v_ashrrev_i32_e32 v178, 31, v178
	v_xor_b32_e32 v182, s16, v182
	v_mul_u32_u24_e32 v37, 9, v37
	v_and_b32_e32 v177, v177, v180
	v_cmp_gt_i32_e64 s16, 0, v181
	v_ashrrev_i32_e32 v179, 31, v179
	v_xor_b32_e32 v178, vcc_lo, v178
	v_add_lshl_u32 v180, v37, v126, 2
	v_and_b32_e32 v177, v177, v182
	s_delay_alu instid0(VALU_DEP_4) | instskip(NEXT) | instid1(VALU_DEP_2)
	v_xor_b32_e32 v37, s16, v179
	v_and_b32_e32 v177, v177, v178
	ds_load_b32 v178, v180 offset:1056
	v_add_nc_u32_e32 v180, 0x420, v180
	; wave barrier
	v_and_b32_e32 v37, v177, v37
	s_delay_alu instid0(VALU_DEP_1) | instskip(SKIP_1) | instid1(VALU_DEP_2)
	v_mbcnt_lo_u32_b32 v179, v37, 0
	v_cmp_ne_u32_e64 s16, 0, v37
	v_cmp_eq_u32_e32 vcc_lo, 0, v179
	s_delay_alu instid0(VALU_DEP_2) | instskip(NEXT) | instid1(SALU_CYCLE_1)
	s_and_b32 s17, s16, vcc_lo
	s_and_saveexec_b32 s16, s17
	s_cbranch_execz .LBB2057_446
; %bb.445:                              ;   in Loop: Header=BB2057_392 Depth=2
	s_waitcnt lgkmcnt(0)
	v_bcnt_u32_b32 v37, v37, v178
	ds_store_b32 v180, v37
.LBB2057_446:                           ;   in Loop: Header=BB2057_392 Depth=2
	s_or_b32 exec_lo, exec_lo, s16
	v_cmp_lt_i16_e32 vcc_lo, -1, v43
	; wave barrier
	v_cndmask_b32_e64 v37, -1, 0xffff8000, vcc_lo
	s_delay_alu instid0(VALU_DEP_1) | instskip(NEXT) | instid1(VALU_DEP_1)
	v_xor_b32_e32 v177, v37, v43
	v_cmp_ne_u16_e64 vcc_lo, 0x7fff, v177
	v_cndmask_b32_e32 v37, 0xffff8000, v177, vcc_lo
	s_delay_alu instid0(VALU_DEP_1) | instskip(NEXT) | instid1(VALU_DEP_1)
	v_and_b32_e32 v37, 0xffff, v37
	v_lshrrev_b32_e32 v37, s48, v37
	s_delay_alu instid0(VALU_DEP_1) | instskip(NEXT) | instid1(VALU_DEP_1)
	v_and_b32_e32 v37, s55, v37
	v_and_b32_e32 v43, 1, v37
	v_lshlrev_b32_e32 v181, 30, v37
	v_lshlrev_b32_e32 v182, 29, v37
	;; [unrolled: 1-line block ×4, first 2 shown]
	v_add_co_u32 v43, s16, v43, -1
	s_delay_alu instid0(VALU_DEP_1)
	v_cndmask_b32_e64 v184, 0, 1, s16
	v_not_b32_e32 v188, v181
	v_cmp_gt_i32_e64 s16, 0, v181
	v_not_b32_e32 v181, v182
	v_lshlrev_b32_e32 v186, 26, v37
	v_cmp_ne_u32_e32 vcc_lo, 0, v184
	v_ashrrev_i32_e32 v188, 31, v188
	v_lshlrev_b32_e32 v187, 25, v37
	v_ashrrev_i32_e32 v181, 31, v181
	v_lshlrev_b32_e32 v184, 24, v37
	v_xor_b32_e32 v43, vcc_lo, v43
	v_cmp_gt_i32_e32 vcc_lo, 0, v182
	v_not_b32_e32 v182, v183
	v_xor_b32_e32 v188, s16, v188
	v_cmp_gt_i32_e64 s16, 0, v183
	v_and_b32_e32 v43, exec_lo, v43
	v_not_b32_e32 v183, v185
	v_ashrrev_i32_e32 v182, 31, v182
	v_xor_b32_e32 v181, vcc_lo, v181
	v_cmp_gt_i32_e32 vcc_lo, 0, v185
	v_and_b32_e32 v43, v43, v188
	v_not_b32_e32 v185, v186
	v_ashrrev_i32_e32 v183, 31, v183
	v_xor_b32_e32 v182, s16, v182
	v_cmp_gt_i32_e64 s16, 0, v186
	v_and_b32_e32 v43, v43, v181
	v_not_b32_e32 v181, v187
	v_ashrrev_i32_e32 v185, 31, v185
	v_xor_b32_e32 v183, vcc_lo, v183
	v_cmp_gt_i32_e32 vcc_lo, 0, v187
	v_and_b32_e32 v43, v43, v182
	v_not_b32_e32 v182, v184
	v_ashrrev_i32_e32 v181, 31, v181
	v_xor_b32_e32 v185, s16, v185
	v_mul_u32_u24_e32 v37, 9, v37
	v_and_b32_e32 v43, v43, v183
	v_cmp_gt_i32_e64 s16, 0, v184
	v_ashrrev_i32_e32 v182, 31, v182
	v_xor_b32_e32 v181, vcc_lo, v181
	v_add_lshl_u32 v184, v37, v126, 2
	v_and_b32_e32 v43, v43, v185
	s_delay_alu instid0(VALU_DEP_4) | instskip(SKIP_3) | instid1(VALU_DEP_2)
	v_xor_b32_e32 v37, s16, v182
	ds_load_b32 v182, v184 offset:1056
	v_and_b32_e32 v43, v43, v181
	v_add_nc_u32_e32 v184, 0x420, v184
	; wave barrier
	v_and_b32_e32 v37, v43, v37
	s_delay_alu instid0(VALU_DEP_1) | instskip(SKIP_1) | instid1(VALU_DEP_2)
	v_mbcnt_lo_u32_b32 v183, v37, 0
	v_cmp_ne_u32_e64 s16, 0, v37
	v_cmp_eq_u32_e32 vcc_lo, 0, v183
	s_delay_alu instid0(VALU_DEP_2) | instskip(NEXT) | instid1(SALU_CYCLE_1)
	s_and_b32 s17, s16, vcc_lo
	s_and_saveexec_b32 s16, s17
	s_cbranch_execz .LBB2057_448
; %bb.447:                              ;   in Loop: Header=BB2057_392 Depth=2
	s_waitcnt lgkmcnt(0)
	v_bcnt_u32_b32 v37, v37, v182
	ds_store_b32 v184, v37
.LBB2057_448:                           ;   in Loop: Header=BB2057_392 Depth=2
	s_or_b32 exec_lo, exec_lo, s16
	v_cmp_lt_i16_e32 vcc_lo, -1, v42
	; wave barrier
	v_cndmask_b32_e64 v37, -1, 0xffff8000, vcc_lo
	s_delay_alu instid0(VALU_DEP_1) | instskip(NEXT) | instid1(VALU_DEP_1)
	v_xor_b32_e32 v181, v37, v42
	v_cmp_ne_u16_e64 vcc_lo, 0x7fff, v181
	v_cndmask_b32_e32 v37, 0xffff8000, v181, vcc_lo
	s_delay_alu instid0(VALU_DEP_1) | instskip(NEXT) | instid1(VALU_DEP_1)
	v_and_b32_e32 v37, 0xffff, v37
	v_lshrrev_b32_e32 v37, s48, v37
	s_delay_alu instid0(VALU_DEP_1) | instskip(NEXT) | instid1(VALU_DEP_1)
	v_and_b32_e32 v37, s55, v37
	v_and_b32_e32 v42, 1, v37
	v_lshlrev_b32_e32 v43, 30, v37
	v_lshlrev_b32_e32 v185, 29, v37
	;; [unrolled: 1-line block ×4, first 2 shown]
	v_add_co_u32 v42, s16, v42, -1
	s_delay_alu instid0(VALU_DEP_1)
	v_cndmask_b32_e64 v187, 0, 1, s16
	v_not_b32_e32 v191, v43
	v_cmp_gt_i32_e64 s16, 0, v43
	v_not_b32_e32 v43, v185
	v_lshlrev_b32_e32 v189, 26, v37
	v_cmp_ne_u32_e32 vcc_lo, 0, v187
	v_ashrrev_i32_e32 v191, 31, v191
	v_lshlrev_b32_e32 v190, 25, v37
	v_ashrrev_i32_e32 v43, 31, v43
	v_lshlrev_b32_e32 v187, 24, v37
	v_xor_b32_e32 v42, vcc_lo, v42
	v_cmp_gt_i32_e32 vcc_lo, 0, v185
	v_not_b32_e32 v185, v186
	v_xor_b32_e32 v191, s16, v191
	v_cmp_gt_i32_e64 s16, 0, v186
	v_and_b32_e32 v42, exec_lo, v42
	v_not_b32_e32 v186, v188
	v_ashrrev_i32_e32 v185, 31, v185
	v_xor_b32_e32 v43, vcc_lo, v43
	v_cmp_gt_i32_e32 vcc_lo, 0, v188
	v_and_b32_e32 v42, v42, v191
	v_not_b32_e32 v188, v189
	v_ashrrev_i32_e32 v186, 31, v186
	v_xor_b32_e32 v185, s16, v185
	v_cmp_gt_i32_e64 s16, 0, v189
	v_and_b32_e32 v42, v42, v43
	v_not_b32_e32 v43, v190
	v_ashrrev_i32_e32 v188, 31, v188
	v_xor_b32_e32 v186, vcc_lo, v186
	v_cmp_gt_i32_e32 vcc_lo, 0, v190
	v_and_b32_e32 v42, v42, v185
	v_not_b32_e32 v185, v187
	v_ashrrev_i32_e32 v43, 31, v43
	v_xor_b32_e32 v188, s16, v188
	v_mul_u32_u24_e32 v37, 9, v37
	v_and_b32_e32 v42, v42, v186
	v_cmp_gt_i32_e64 s16, 0, v187
	v_ashrrev_i32_e32 v185, 31, v185
	v_xor_b32_e32 v43, vcc_lo, v43
	s_delay_alu instid0(VALU_DEP_4) | instskip(SKIP_1) | instid1(VALU_DEP_4)
	v_and_b32_e32 v42, v42, v188
	v_add_lshl_u32 v188, v37, v126, 2
	v_xor_b32_e32 v37, s16, v185
	s_delay_alu instid0(VALU_DEP_3) | instskip(SKIP_3) | instid1(VALU_DEP_1)
	v_and_b32_e32 v42, v42, v43
	ds_load_b32 v186, v188 offset:1056
	v_add_nc_u32_e32 v188, 0x420, v188
	; wave barrier
	v_and_b32_e32 v37, v42, v37
	v_mbcnt_lo_u32_b32 v187, v37, 0
	v_cmp_ne_u32_e64 s16, 0, v37
	s_delay_alu instid0(VALU_DEP_2) | instskip(NEXT) | instid1(VALU_DEP_2)
	v_cmp_eq_u32_e32 vcc_lo, 0, v187
	s_and_b32 s17, s16, vcc_lo
	s_delay_alu instid0(SALU_CYCLE_1)
	s_and_saveexec_b32 s16, s17
	s_cbranch_execz .LBB2057_450
; %bb.449:                              ;   in Loop: Header=BB2057_392 Depth=2
	s_waitcnt lgkmcnt(0)
	v_bcnt_u32_b32 v37, v37, v186
	ds_store_b32 v188, v37
.LBB2057_450:                           ;   in Loop: Header=BB2057_392 Depth=2
	s_or_b32 exec_lo, exec_lo, s16
	v_cmp_lt_i16_e32 vcc_lo, -1, v41
	; wave barrier
	v_cndmask_b32_e64 v37, -1, 0xffff8000, vcc_lo
	s_delay_alu instid0(VALU_DEP_1) | instskip(NEXT) | instid1(VALU_DEP_1)
	v_xor_b32_e32 v185, v37, v41
	v_cmp_ne_u16_e64 vcc_lo, 0x7fff, v185
	v_cndmask_b32_e32 v37, 0xffff8000, v185, vcc_lo
	s_delay_alu instid0(VALU_DEP_1) | instskip(NEXT) | instid1(VALU_DEP_1)
	v_and_b32_e32 v37, 0xffff, v37
	v_lshrrev_b32_e32 v37, s48, v37
	s_delay_alu instid0(VALU_DEP_1) | instskip(NEXT) | instid1(VALU_DEP_1)
	v_and_b32_e32 v37, s55, v37
	v_and_b32_e32 v41, 1, v37
	v_lshlrev_b32_e32 v42, 30, v37
	v_lshlrev_b32_e32 v43, 29, v37
	;; [unrolled: 1-line block ×4, first 2 shown]
	v_add_co_u32 v41, s16, v41, -1
	s_delay_alu instid0(VALU_DEP_1)
	v_cndmask_b32_e64 v190, 0, 1, s16
	v_not_b32_e32 v194, v42
	v_cmp_gt_i32_e64 s16, 0, v42
	v_not_b32_e32 v42, v43
	v_lshlrev_b32_e32 v192, 26, v37
	v_cmp_ne_u32_e32 vcc_lo, 0, v190
	v_ashrrev_i32_e32 v194, 31, v194
	v_lshlrev_b32_e32 v193, 25, v37
	v_ashrrev_i32_e32 v42, 31, v42
	v_lshlrev_b32_e32 v190, 24, v37
	v_xor_b32_e32 v41, vcc_lo, v41
	v_cmp_gt_i32_e32 vcc_lo, 0, v43
	v_not_b32_e32 v43, v189
	v_xor_b32_e32 v194, s16, v194
	v_cmp_gt_i32_e64 s16, 0, v189
	v_and_b32_e32 v41, exec_lo, v41
	v_not_b32_e32 v189, v191
	v_ashrrev_i32_e32 v43, 31, v43
	v_xor_b32_e32 v42, vcc_lo, v42
	v_cmp_gt_i32_e32 vcc_lo, 0, v191
	v_and_b32_e32 v41, v41, v194
	v_not_b32_e32 v191, v192
	v_ashrrev_i32_e32 v189, 31, v189
	v_xor_b32_e32 v43, s16, v43
	v_cmp_gt_i32_e64 s16, 0, v192
	v_and_b32_e32 v41, v41, v42
	v_not_b32_e32 v42, v193
	v_ashrrev_i32_e32 v191, 31, v191
	v_xor_b32_e32 v189, vcc_lo, v189
	v_cmp_gt_i32_e32 vcc_lo, 0, v193
	v_and_b32_e32 v41, v41, v43
	v_not_b32_e32 v43, v190
	v_ashrrev_i32_e32 v42, 31, v42
	v_xor_b32_e32 v191, s16, v191
	v_mul_u32_u24_e32 v37, 9, v37
	v_and_b32_e32 v41, v41, v189
	v_cmp_gt_i32_e64 s16, 0, v190
	v_ashrrev_i32_e32 v43, 31, v43
	v_xor_b32_e32 v42, vcc_lo, v42
	v_add_lshl_u32 v189, v37, v126, 2
	v_and_b32_e32 v41, v41, v191
	s_delay_alu instid0(VALU_DEP_4) | instskip(SKIP_3) | instid1(VALU_DEP_2)
	v_xor_b32_e32 v37, s16, v43
	ds_load_b32 v190, v189 offset:1056
	v_and_b32_e32 v41, v41, v42
	v_add_nc_u32_e32 v192, 0x420, v189
	; wave barrier
	v_and_b32_e32 v37, v41, v37
	s_delay_alu instid0(VALU_DEP_1) | instskip(SKIP_1) | instid1(VALU_DEP_2)
	v_mbcnt_lo_u32_b32 v191, v37, 0
	v_cmp_ne_u32_e64 s16, 0, v37
	v_cmp_eq_u32_e32 vcc_lo, 0, v191
	s_delay_alu instid0(VALU_DEP_2) | instskip(NEXT) | instid1(SALU_CYCLE_1)
	s_and_b32 s17, s16, vcc_lo
	s_and_saveexec_b32 s16, s17
	s_cbranch_execz .LBB2057_452
; %bb.451:                              ;   in Loop: Header=BB2057_392 Depth=2
	s_waitcnt lgkmcnt(0)
	v_bcnt_u32_b32 v37, v37, v190
	ds_store_b32 v192, v37
.LBB2057_452:                           ;   in Loop: Header=BB2057_392 Depth=2
	s_or_b32 exec_lo, exec_lo, s16
	v_cmp_lt_i16_e32 vcc_lo, -1, v40
	; wave barrier
	v_cndmask_b32_e64 v37, -1, 0xffff8000, vcc_lo
	s_delay_alu instid0(VALU_DEP_1) | instskip(NEXT) | instid1(VALU_DEP_1)
	v_xor_b32_e32 v189, v37, v40
	v_cmp_ne_u16_e64 vcc_lo, 0x7fff, v189
	v_cndmask_b32_e32 v37, 0xffff8000, v189, vcc_lo
	s_delay_alu instid0(VALU_DEP_1) | instskip(NEXT) | instid1(VALU_DEP_1)
	v_and_b32_e32 v37, 0xffff, v37
	v_lshrrev_b32_e32 v37, s48, v37
	s_delay_alu instid0(VALU_DEP_1) | instskip(NEXT) | instid1(VALU_DEP_1)
	v_and_b32_e32 v37, s55, v37
	v_and_b32_e32 v40, 1, v37
	v_lshlrev_b32_e32 v41, 30, v37
	v_lshlrev_b32_e32 v42, 29, v37
	;; [unrolled: 1-line block ×4, first 2 shown]
	v_add_co_u32 v40, s16, v40, -1
	s_delay_alu instid0(VALU_DEP_1)
	v_cndmask_b32_e64 v193, 0, 1, s16
	v_not_b32_e32 v197, v41
	v_cmp_gt_i32_e64 s16, 0, v41
	v_not_b32_e32 v41, v42
	v_lshlrev_b32_e32 v195, 26, v37
	v_cmp_ne_u32_e32 vcc_lo, 0, v193
	v_ashrrev_i32_e32 v197, 31, v197
	v_lshlrev_b32_e32 v196, 25, v37
	v_ashrrev_i32_e32 v41, 31, v41
	v_lshlrev_b32_e32 v193, 24, v37
	v_xor_b32_e32 v40, vcc_lo, v40
	v_cmp_gt_i32_e32 vcc_lo, 0, v42
	v_not_b32_e32 v42, v43
	v_xor_b32_e32 v197, s16, v197
	v_cmp_gt_i32_e64 s16, 0, v43
	v_and_b32_e32 v40, exec_lo, v40
	v_not_b32_e32 v43, v194
	v_ashrrev_i32_e32 v42, 31, v42
	v_xor_b32_e32 v41, vcc_lo, v41
	v_cmp_gt_i32_e32 vcc_lo, 0, v194
	v_and_b32_e32 v40, v40, v197
	v_not_b32_e32 v194, v195
	v_ashrrev_i32_e32 v43, 31, v43
	v_xor_b32_e32 v42, s16, v42
	v_cmp_gt_i32_e64 s16, 0, v195
	v_and_b32_e32 v40, v40, v41
	v_not_b32_e32 v41, v196
	v_ashrrev_i32_e32 v194, 31, v194
	v_xor_b32_e32 v43, vcc_lo, v43
	v_cmp_gt_i32_e32 vcc_lo, 0, v196
	v_and_b32_e32 v40, v40, v42
	v_not_b32_e32 v42, v193
	v_ashrrev_i32_e32 v41, 31, v41
	v_xor_b32_e32 v194, s16, v194
	v_mul_u32_u24_e32 v37, 9, v37
	v_and_b32_e32 v40, v40, v43
	v_cmp_gt_i32_e64 s16, 0, v193
	v_ashrrev_i32_e32 v42, 31, v42
	v_xor_b32_e32 v41, vcc_lo, v41
	v_add_lshl_u32 v43, v37, v126, 2
	v_and_b32_e32 v40, v40, v194
	s_delay_alu instid0(VALU_DEP_4) | instskip(SKIP_3) | instid1(VALU_DEP_2)
	v_xor_b32_e32 v37, s16, v42
	ds_load_b32 v194, v43 offset:1056
	v_and_b32_e32 v40, v40, v41
	v_add_nc_u32_e32 v196, 0x420, v43
	; wave barrier
	v_and_b32_e32 v37, v40, v37
	s_delay_alu instid0(VALU_DEP_1) | instskip(SKIP_1) | instid1(VALU_DEP_2)
	v_mbcnt_lo_u32_b32 v195, v37, 0
	v_cmp_ne_u32_e64 s16, 0, v37
	v_cmp_eq_u32_e32 vcc_lo, 0, v195
	s_delay_alu instid0(VALU_DEP_2) | instskip(NEXT) | instid1(SALU_CYCLE_1)
	s_and_b32 s17, s16, vcc_lo
	s_and_saveexec_b32 s16, s17
	s_cbranch_execz .LBB2057_454
; %bb.453:                              ;   in Loop: Header=BB2057_392 Depth=2
	s_waitcnt lgkmcnt(0)
	v_bcnt_u32_b32 v37, v37, v194
	ds_store_b32 v196, v37
.LBB2057_454:                           ;   in Loop: Header=BB2057_392 Depth=2
	s_or_b32 exec_lo, exec_lo, s16
	v_cmp_lt_i16_e32 vcc_lo, -1, v39
	; wave barrier
	v_cndmask_b32_e64 v37, -1, 0xffff8000, vcc_lo
	s_delay_alu instid0(VALU_DEP_1) | instskip(NEXT) | instid1(VALU_DEP_1)
	v_xor_b32_e32 v193, v37, v39
	v_cmp_ne_u16_e64 vcc_lo, 0x7fff, v193
	v_cndmask_b32_e32 v37, 0xffff8000, v193, vcc_lo
	s_delay_alu instid0(VALU_DEP_1) | instskip(NEXT) | instid1(VALU_DEP_1)
	v_and_b32_e32 v37, 0xffff, v37
	v_lshrrev_b32_e32 v37, s48, v37
	s_delay_alu instid0(VALU_DEP_1) | instskip(NEXT) | instid1(VALU_DEP_1)
	v_and_b32_e32 v37, s55, v37
	v_and_b32_e32 v39, 1, v37
	v_lshlrev_b32_e32 v40, 30, v37
	v_lshlrev_b32_e32 v41, 29, v37
	;; [unrolled: 1-line block ×4, first 2 shown]
	v_add_co_u32 v39, s16, v39, -1
	s_delay_alu instid0(VALU_DEP_1)
	v_cndmask_b32_e64 v43, 0, 1, s16
	v_not_b32_e32 v200, v40
	v_cmp_gt_i32_e64 s16, 0, v40
	v_not_b32_e32 v40, v41
	v_lshlrev_b32_e32 v198, 26, v37
	v_cmp_ne_u32_e32 vcc_lo, 0, v43
	v_ashrrev_i32_e32 v200, 31, v200
	v_lshlrev_b32_e32 v199, 25, v37
	v_ashrrev_i32_e32 v40, 31, v40
	v_lshlrev_b32_e32 v43, 24, v37
	v_xor_b32_e32 v39, vcc_lo, v39
	v_cmp_gt_i32_e32 vcc_lo, 0, v41
	v_not_b32_e32 v41, v42
	v_xor_b32_e32 v200, s16, v200
	v_cmp_gt_i32_e64 s16, 0, v42
	v_and_b32_e32 v39, exec_lo, v39
	v_not_b32_e32 v42, v197
	v_ashrrev_i32_e32 v41, 31, v41
	v_xor_b32_e32 v40, vcc_lo, v40
	v_cmp_gt_i32_e32 vcc_lo, 0, v197
	v_and_b32_e32 v39, v39, v200
	v_not_b32_e32 v197, v198
	v_ashrrev_i32_e32 v42, 31, v42
	v_xor_b32_e32 v41, s16, v41
	v_cmp_gt_i32_e64 s16, 0, v198
	v_and_b32_e32 v39, v39, v40
	v_not_b32_e32 v40, v199
	v_ashrrev_i32_e32 v197, 31, v197
	v_xor_b32_e32 v42, vcc_lo, v42
	v_cmp_gt_i32_e32 vcc_lo, 0, v199
	v_and_b32_e32 v39, v39, v41
	v_not_b32_e32 v41, v43
	v_ashrrev_i32_e32 v40, 31, v40
	v_xor_b32_e32 v197, s16, v197
	v_mul_u32_u24_e32 v37, 9, v37
	v_and_b32_e32 v39, v39, v42
	v_cmp_gt_i32_e64 s16, 0, v43
	v_ashrrev_i32_e32 v41, 31, v41
	v_xor_b32_e32 v40, vcc_lo, v40
	v_add_lshl_u32 v42, v37, v126, 2
	v_and_b32_e32 v39, v39, v197
	s_delay_alu instid0(VALU_DEP_4) | instskip(SKIP_3) | instid1(VALU_DEP_2)
	v_xor_b32_e32 v37, s16, v41
	ds_load_b32 v198, v42 offset:1056
	v_and_b32_e32 v39, v39, v40
	v_add_nc_u32_e32 v200, 0x420, v42
	; wave barrier
	v_and_b32_e32 v37, v39, v37
	s_delay_alu instid0(VALU_DEP_1) | instskip(SKIP_1) | instid1(VALU_DEP_2)
	v_mbcnt_lo_u32_b32 v199, v37, 0
	v_cmp_ne_u32_e64 s16, 0, v37
	v_cmp_eq_u32_e32 vcc_lo, 0, v199
	s_delay_alu instid0(VALU_DEP_2) | instskip(NEXT) | instid1(SALU_CYCLE_1)
	s_and_b32 s17, s16, vcc_lo
	s_and_saveexec_b32 s16, s17
	s_cbranch_execz .LBB2057_456
; %bb.455:                              ;   in Loop: Header=BB2057_392 Depth=2
	s_waitcnt lgkmcnt(0)
	v_bcnt_u32_b32 v37, v37, v198
	ds_store_b32 v200, v37
.LBB2057_456:                           ;   in Loop: Header=BB2057_392 Depth=2
	s_or_b32 exec_lo, exec_lo, s16
	v_cmp_lt_i16_e32 vcc_lo, -1, v38
	; wave barrier
	v_cndmask_b32_e64 v37, -1, 0xffff8000, vcc_lo
	s_delay_alu instid0(VALU_DEP_1) | instskip(NEXT) | instid1(VALU_DEP_1)
	v_xor_b32_e32 v197, v37, v38
	v_cmp_ne_u16_e64 vcc_lo, 0x7fff, v197
	v_cndmask_b32_e32 v37, 0xffff8000, v197, vcc_lo
	s_delay_alu instid0(VALU_DEP_1) | instskip(NEXT) | instid1(VALU_DEP_1)
	v_and_b32_e32 v37, 0xffff, v37
	v_lshrrev_b32_e32 v37, s48, v37
	s_delay_alu instid0(VALU_DEP_1) | instskip(NEXT) | instid1(VALU_DEP_1)
	v_and_b32_e32 v37, s55, v37
	v_and_b32_e32 v38, 1, v37
	v_lshlrev_b32_e32 v39, 30, v37
	v_lshlrev_b32_e32 v40, 29, v37
	;; [unrolled: 1-line block ×4, first 2 shown]
	v_add_co_u32 v38, s16, v38, -1
	s_delay_alu instid0(VALU_DEP_1)
	v_cndmask_b32_e64 v42, 0, 1, s16
	v_not_b32_e32 v203, v39
	v_cmp_gt_i32_e64 s16, 0, v39
	v_not_b32_e32 v39, v40
	v_lshlrev_b32_e32 v201, 26, v37
	v_cmp_ne_u32_e32 vcc_lo, 0, v42
	v_ashrrev_i32_e32 v203, 31, v203
	v_lshlrev_b32_e32 v202, 25, v37
	v_ashrrev_i32_e32 v39, 31, v39
	v_lshlrev_b32_e32 v42, 24, v37
	v_xor_b32_e32 v38, vcc_lo, v38
	v_cmp_gt_i32_e32 vcc_lo, 0, v40
	v_not_b32_e32 v40, v41
	v_xor_b32_e32 v203, s16, v203
	v_cmp_gt_i32_e64 s16, 0, v41
	v_and_b32_e32 v38, exec_lo, v38
	v_not_b32_e32 v41, v43
	v_ashrrev_i32_e32 v40, 31, v40
	v_xor_b32_e32 v39, vcc_lo, v39
	v_cmp_gt_i32_e32 vcc_lo, 0, v43
	v_and_b32_e32 v38, v38, v203
	v_not_b32_e32 v43, v201
	v_ashrrev_i32_e32 v41, 31, v41
	v_xor_b32_e32 v40, s16, v40
	v_cmp_gt_i32_e64 s16, 0, v201
	v_and_b32_e32 v38, v38, v39
	v_not_b32_e32 v39, v202
	v_ashrrev_i32_e32 v43, 31, v43
	v_xor_b32_e32 v41, vcc_lo, v41
	v_cmp_gt_i32_e32 vcc_lo, 0, v202
	v_and_b32_e32 v38, v38, v40
	v_not_b32_e32 v40, v42
	v_ashrrev_i32_e32 v39, 31, v39
	v_xor_b32_e32 v43, s16, v43
	v_mul_u32_u24_e32 v37, 9, v37
	v_and_b32_e32 v38, v38, v41
	v_cmp_gt_i32_e64 s16, 0, v42
	v_ashrrev_i32_e32 v40, 31, v40
	v_xor_b32_e32 v39, vcc_lo, v39
	v_add_lshl_u32 v41, v37, v126, 2
	v_and_b32_e32 v38, v38, v43
	s_delay_alu instid0(VALU_DEP_4) | instskip(SKIP_3) | instid1(VALU_DEP_2)
	v_xor_b32_e32 v37, s16, v40
	ds_load_b32 v202, v41 offset:1056
	v_and_b32_e32 v38, v38, v39
	v_add_nc_u32_e32 v204, 0x420, v41
	; wave barrier
	v_and_b32_e32 v37, v38, v37
	s_delay_alu instid0(VALU_DEP_1) | instskip(SKIP_1) | instid1(VALU_DEP_2)
	v_mbcnt_lo_u32_b32 v203, v37, 0
	v_cmp_ne_u32_e64 s16, 0, v37
	v_cmp_eq_u32_e32 vcc_lo, 0, v203
	s_delay_alu instid0(VALU_DEP_2) | instskip(NEXT) | instid1(SALU_CYCLE_1)
	s_and_b32 s17, s16, vcc_lo
	s_and_saveexec_b32 s16, s17
	s_cbranch_execz .LBB2057_458
; %bb.457:                              ;   in Loop: Header=BB2057_392 Depth=2
	s_waitcnt lgkmcnt(0)
	v_bcnt_u32_b32 v37, v37, v202
	ds_store_b32 v204, v37
.LBB2057_458:                           ;   in Loop: Header=BB2057_392 Depth=2
	s_or_b32 exec_lo, exec_lo, s16
	v_cmp_lt_i16_e32 vcc_lo, -1, v36
	; wave barrier
	v_cndmask_b32_e64 v37, -1, 0xffff8000, vcc_lo
	s_delay_alu instid0(VALU_DEP_1) | instskip(NEXT) | instid1(VALU_DEP_1)
	v_xor_b32_e32 v201, v37, v36
	v_cmp_ne_u16_e64 vcc_lo, 0x7fff, v201
	v_cndmask_b32_e32 v36, 0xffff8000, v201, vcc_lo
	s_delay_alu instid0(VALU_DEP_1) | instskip(NEXT) | instid1(VALU_DEP_1)
	v_and_b32_e32 v36, 0xffff, v36
	v_lshrrev_b32_e32 v36, s48, v36
	s_delay_alu instid0(VALU_DEP_1) | instskip(NEXT) | instid1(VALU_DEP_1)
	v_and_b32_e32 v36, s55, v36
	v_and_b32_e32 v37, 1, v36
	v_lshlrev_b32_e32 v38, 30, v36
	v_lshlrev_b32_e32 v39, 29, v36
	v_lshlrev_b32_e32 v40, 28, v36
	v_lshlrev_b32_e32 v42, 27, v36
	v_add_co_u32 v37, s16, v37, -1
	s_delay_alu instid0(VALU_DEP_1)
	v_cndmask_b32_e64 v41, 0, 1, s16
	v_not_b32_e32 v206, v38
	v_cmp_gt_i32_e64 s16, 0, v38
	v_not_b32_e32 v38, v39
	v_lshlrev_b32_e32 v43, 26, v36
	v_cmp_ne_u32_e32 vcc_lo, 0, v41
	v_ashrrev_i32_e32 v206, 31, v206
	v_lshlrev_b32_e32 v205, 25, v36
	v_ashrrev_i32_e32 v38, 31, v38
	v_lshlrev_b32_e32 v41, 24, v36
	v_xor_b32_e32 v37, vcc_lo, v37
	v_cmp_gt_i32_e32 vcc_lo, 0, v39
	v_not_b32_e32 v39, v40
	v_xor_b32_e32 v206, s16, v206
	v_cmp_gt_i32_e64 s16, 0, v40
	v_and_b32_e32 v37, exec_lo, v37
	v_not_b32_e32 v40, v42
	v_ashrrev_i32_e32 v39, 31, v39
	v_xor_b32_e32 v38, vcc_lo, v38
	v_cmp_gt_i32_e32 vcc_lo, 0, v42
	v_and_b32_e32 v37, v37, v206
	v_not_b32_e32 v42, v43
	v_ashrrev_i32_e32 v40, 31, v40
	v_xor_b32_e32 v39, s16, v39
	v_cmp_gt_i32_e64 s16, 0, v43
	v_and_b32_e32 v37, v37, v38
	v_not_b32_e32 v38, v205
	v_ashrrev_i32_e32 v42, 31, v42
	v_xor_b32_e32 v40, vcc_lo, v40
	v_cmp_gt_i32_e32 vcc_lo, 0, v205
	v_and_b32_e32 v37, v37, v39
	v_not_b32_e32 v39, v41
	v_ashrrev_i32_e32 v38, 31, v38
	v_xor_b32_e32 v42, s16, v42
	v_mul_u32_u24_e32 v36, 9, v36
	v_and_b32_e32 v37, v37, v40
	v_cmp_gt_i32_e64 s16, 0, v41
	v_ashrrev_i32_e32 v39, 31, v39
	v_xor_b32_e32 v38, vcc_lo, v38
	v_add_lshl_u32 v40, v36, v126, 2
	v_and_b32_e32 v37, v37, v42
	s_delay_alu instid0(VALU_DEP_4) | instskip(SKIP_3) | instid1(VALU_DEP_2)
	v_xor_b32_e32 v36, s16, v39
	ds_load_b32 v205, v40 offset:1056
	v_and_b32_e32 v37, v37, v38
	v_add_nc_u32_e32 v207, 0x420, v40
	; wave barrier
	v_and_b32_e32 v36, v37, v36
	s_delay_alu instid0(VALU_DEP_1) | instskip(SKIP_1) | instid1(VALU_DEP_2)
	v_mbcnt_lo_u32_b32 v206, v36, 0
	v_cmp_ne_u32_e64 s16, 0, v36
	v_cmp_eq_u32_e32 vcc_lo, 0, v206
	s_delay_alu instid0(VALU_DEP_2) | instskip(NEXT) | instid1(SALU_CYCLE_1)
	s_and_b32 s17, s16, vcc_lo
	s_and_saveexec_b32 s16, s17
	s_cbranch_execz .LBB2057_460
; %bb.459:                              ;   in Loop: Header=BB2057_392 Depth=2
	s_waitcnt lgkmcnt(0)
	v_bcnt_u32_b32 v36, v36, v205
	ds_store_b32 v207, v36
.LBB2057_460:                           ;   in Loop: Header=BB2057_392 Depth=2
	s_or_b32 exec_lo, exec_lo, s16
	; wave barrier
	s_waitcnt lgkmcnt(0)
	s_barrier
	buffer_gl0_inv
	ds_load_b32 v208, v69 offset:1056
	ds_load_2addr_b32 v[42:43], v71 offset0:1 offset1:2
	ds_load_2addr_b32 v[40:41], v71 offset0:3 offset1:4
	;; [unrolled: 1-line block ×4, first 2 shown]
	s_waitcnt lgkmcnt(3)
	v_add3_u32 v209, v42, v208, v43
	s_waitcnt lgkmcnt(2)
	s_delay_alu instid0(VALU_DEP_1) | instskip(SKIP_1) | instid1(VALU_DEP_1)
	v_add3_u32 v209, v209, v40, v41
	s_waitcnt lgkmcnt(1)
	v_add3_u32 v209, v209, v36, v37
	s_waitcnt lgkmcnt(0)
	s_delay_alu instid0(VALU_DEP_1) | instskip(NEXT) | instid1(VALU_DEP_1)
	v_add3_u32 v39, v209, v38, v39
	v_mov_b32_dpp v209, v39 row_shr:1 row_mask:0xf bank_mask:0xf
	s_delay_alu instid0(VALU_DEP_1) | instskip(NEXT) | instid1(VALU_DEP_1)
	v_cndmask_b32_e64 v209, v209, 0, s0
	v_add_nc_u32_e32 v39, v209, v39
	s_delay_alu instid0(VALU_DEP_1) | instskip(NEXT) | instid1(VALU_DEP_1)
	v_mov_b32_dpp v209, v39 row_shr:2 row_mask:0xf bank_mask:0xf
	v_cndmask_b32_e64 v209, 0, v209, s1
	s_delay_alu instid0(VALU_DEP_1) | instskip(NEXT) | instid1(VALU_DEP_1)
	v_add_nc_u32_e32 v39, v39, v209
	v_mov_b32_dpp v209, v39 row_shr:4 row_mask:0xf bank_mask:0xf
	s_delay_alu instid0(VALU_DEP_1) | instskip(NEXT) | instid1(VALU_DEP_1)
	v_cndmask_b32_e64 v209, 0, v209, s8
	v_add_nc_u32_e32 v39, v39, v209
	s_delay_alu instid0(VALU_DEP_1) | instskip(NEXT) | instid1(VALU_DEP_1)
	v_mov_b32_dpp v209, v39 row_shr:8 row_mask:0xf bank_mask:0xf
	v_cndmask_b32_e64 v209, 0, v209, s9
	s_delay_alu instid0(VALU_DEP_1) | instskip(SKIP_3) | instid1(VALU_DEP_1)
	v_add_nc_u32_e32 v39, v39, v209
	ds_swizzle_b32 v209, v39 offset:swizzle(BROADCAST,32,15)
	s_waitcnt lgkmcnt(0)
	v_cndmask_b32_e64 v209, v209, 0, s10
	v_add_nc_u32_e32 v39, v39, v209
	s_and_saveexec_b32 s16, s3
	s_cbranch_execz .LBB2057_462
; %bb.461:                              ;   in Loop: Header=BB2057_392 Depth=2
	ds_store_b32 v62, v39 offset:1024
.LBB2057_462:                           ;   in Loop: Header=BB2057_392 Depth=2
	s_or_b32 exec_lo, exec_lo, s16
	s_waitcnt lgkmcnt(0)
	s_barrier
	buffer_gl0_inv
	s_and_saveexec_b32 s16, s4
	s_cbranch_execz .LBB2057_464
; %bb.463:                              ;   in Loop: Header=BB2057_392 Depth=2
	ds_load_b32 v209, v72 offset:1024
	s_waitcnt lgkmcnt(0)
	v_mov_b32_dpp v210, v209 row_shr:1 row_mask:0xf bank_mask:0xf
	s_delay_alu instid0(VALU_DEP_1) | instskip(NEXT) | instid1(VALU_DEP_1)
	v_cndmask_b32_e64 v210, v210, 0, s12
	v_add_nc_u32_e32 v209, v210, v209
	s_delay_alu instid0(VALU_DEP_1) | instskip(NEXT) | instid1(VALU_DEP_1)
	v_mov_b32_dpp v210, v209 row_shr:2 row_mask:0xf bank_mask:0xf
	v_cndmask_b32_e64 v210, 0, v210, s13
	s_delay_alu instid0(VALU_DEP_1) | instskip(NEXT) | instid1(VALU_DEP_1)
	v_add_nc_u32_e32 v209, v209, v210
	v_mov_b32_dpp v210, v209 row_shr:4 row_mask:0xf bank_mask:0xf
	s_delay_alu instid0(VALU_DEP_1) | instskip(NEXT) | instid1(VALU_DEP_1)
	v_cndmask_b32_e64 v210, 0, v210, s14
	v_add_nc_u32_e32 v209, v209, v210
	ds_store_b32 v72, v209 offset:1024
.LBB2057_464:                           ;   in Loop: Header=BB2057_392 Depth=2
	s_or_b32 exec_lo, exec_lo, s16
	v_mov_b32_e32 v209, 0
	s_waitcnt lgkmcnt(0)
	s_barrier
	buffer_gl0_inv
	s_and_saveexec_b32 s16, s5
	s_cbranch_execz .LBB2057_466
; %bb.465:                              ;   in Loop: Header=BB2057_392 Depth=2
	ds_load_b32 v209, v62 offset:1020
.LBB2057_466:                           ;   in Loop: Header=BB2057_392 Depth=2
	s_or_b32 exec_lo, exec_lo, s16
	s_waitcnt lgkmcnt(0)
	v_add_nc_u32_e32 v39, v209, v39
	ds_bpermute_b32 v39, v105, v39
	s_waitcnt lgkmcnt(0)
	v_cndmask_b32_e64 v39, v39, v209, s11
	s_delay_alu instid0(VALU_DEP_1) | instskip(NEXT) | instid1(VALU_DEP_1)
	v_cndmask_b32_e64 v39, v39, 0, s6
	v_add_nc_u32_e32 v208, v39, v208
	s_delay_alu instid0(VALU_DEP_1) | instskip(NEXT) | instid1(VALU_DEP_1)
	v_add_nc_u32_e32 v42, v208, v42
	v_add_nc_u32_e32 v43, v42, v43
	s_delay_alu instid0(VALU_DEP_1) | instskip(NEXT) | instid1(VALU_DEP_1)
	v_add_nc_u32_e32 v40, v43, v40
	;; [unrolled: 3-line block ×3, first 2 shown]
	v_add_nc_u32_e32 v37, v36, v37
	s_delay_alu instid0(VALU_DEP_1)
	v_add_nc_u32_e32 v38, v37, v38
	ds_store_b32 v69, v39 offset:1056
	ds_store_2addr_b32 v71, v208, v42 offset0:1 offset1:2
	ds_store_2addr_b32 v71, v43, v40 offset0:3 offset1:4
	ds_store_2addr_b32 v71, v41, v36 offset0:5 offset1:6
	ds_store_2addr_b32 v71, v37, v38 offset0:7 offset1:8
	v_mov_b32_e32 v38, 0x1000
	s_waitcnt lgkmcnt(0)
	s_barrier
	buffer_gl0_inv
	ds_load_b32 v39, v152
	ds_load_b32 v40, v156
	ds_load_b32 v42, v160
	ds_load_b32 v43, v164
	ds_load_b32 v152, v168
	ds_load_b32 v173, v173
	ds_load_b32 v176, v176
	ds_load_b32 v180, v180
	ds_load_b32 v184, v184
	ds_load_b32 v188, v188
	ds_load_b32 v192, v192
	ds_load_b32 v196, v196
	ds_load_b32 v36, v200
	ds_load_b32 v37, v204
	ds_load_b32 v41, v207
	ds_load_b32 v148, v148
	ds_load_b32 v156, v69 offset:1056
	s_and_saveexec_b32 s16, s7
	s_cbranch_execz .LBB2057_468
; %bb.467:                              ;   in Loop: Header=BB2057_392 Depth=2
	ds_load_b32 v38, v73 offset:1056
.LBB2057_468:                           ;   in Loop: Header=BB2057_392 Depth=2
	s_or_b32 exec_lo, exec_lo, s16
	s_waitcnt lgkmcnt(0)
	s_barrier
	buffer_gl0_inv
	s_and_saveexec_b32 s16, s2
	s_cbranch_execz .LBB2057_470
; %bb.469:                              ;   in Loop: Header=BB2057_392 Depth=2
	ds_load_b32 v160, v44
	s_waitcnt lgkmcnt(0)
	v_sub_nc_u32_e32 v156, v160, v156
	ds_store_b32 v44, v156
.LBB2057_470:                           ;   in Loop: Header=BB2057_392 Depth=2
	s_or_b32 exec_lo, exec_lo, s16
	v_add_nc_u32_e32 v168, v148, v147
	v_add3_u32 v164, v151, v150, v39
	v_add3_u32 v160, v155, v154, v40
	;; [unrolled: 1-line block ×5, first 2 shown]
	v_lshlrev_b32_e32 v158, 1, v168
	v_add3_u32 v43, v199, v198, v36
	v_lshlrev_b32_e32 v36, 1, v164
	v_add3_u32 v152, v172, v171, v173
	v_add3_u32 v151, v175, v174, v176
	ds_store_b16 v158, v2 offset:1024
	v_lshlrev_b32_e32 v2, 1, v160
	ds_store_b16 v36, v146 offset:1024
	v_lshlrev_b32_e32 v36, 1, v154
	v_add3_u32 v150, v179, v178, v180
	v_add3_u32 v42, v203, v202, v37
	v_lshlrev_b32_e32 v37, 1, v156
	v_add3_u32 v148, v183, v182, v184
	v_lshlrev_b32_e32 v158, 1, v155
	v_add3_u32 v147, v187, v186, v188
	v_add3_u32 v40, v191, v190, v192
	ds_store_b16 v2, v149 offset:1024
	ds_store_b16 v37, v153 offset:1024
	;; [unrolled: 1-line block ×3, first 2 shown]
	v_lshlrev_b32_e32 v2, 1, v152
	ds_store_b16 v36, v161 offset:1024
	v_lshlrev_b32_e32 v36, 1, v151
	v_lshlrev_b32_e32 v37, 1, v150
	;; [unrolled: 1-line block ×3, first 2 shown]
	v_add3_u32 v39, v195, v194, v196
	v_add3_u32 v41, v206, v205, v41
	ds_store_b16 v2, v165 offset:1024
	v_lshlrev_b32_e32 v2, 1, v147
	ds_store_b16 v36, v170 offset:1024
	ds_store_b16 v37, v169 offset:1024
	;; [unrolled: 1-line block ×3, first 2 shown]
	v_lshlrev_b32_e32 v36, 1, v40
	v_cmp_lt_u32_e32 vcc_lo, v1, v145
	v_lshlrev_b32_e32 v37, 1, v43
	ds_store_b16 v2, v181 offset:1024
	v_lshlrev_b32_e32 v2, 1, v39
	ds_store_b16 v36, v185 offset:1024
	v_lshlrev_b32_e32 v36, 1, v41
	v_lshlrev_b32_e32 v146, 1, v42
	ds_store_b16 v2, v189 offset:1024
	ds_store_b16 v37, v193 offset:1024
	;; [unrolled: 1-line block ×4, first 2 shown]
	s_waitcnt lgkmcnt(0)
	s_barrier
	buffer_gl0_inv
	s_and_saveexec_b32 s17, vcc_lo
	s_cbranch_execz .LBB2057_486
; %bb.471:                              ;   in Loop: Header=BB2057_392 Depth=2
	v_add_nc_u32_e32 v2, v72, v78
	ds_load_u16 v146, v2 offset:1024
	s_waitcnt lgkmcnt(0)
	v_cmp_ne_u16_e64 s16, 0x7fff, v146
	s_delay_alu instid0(VALU_DEP_1) | instskip(SKIP_1) | instid1(VALU_DEP_2)
	v_cndmask_b32_e64 v2, 0xffff8000, v146, s16
	v_cmp_lt_i16_e64 s16, -1, v146
	v_and_b32_e32 v2, 0xffff, v2
	s_delay_alu instid0(VALU_DEP_2) | instskip(NEXT) | instid1(VALU_DEP_2)
	v_cndmask_b32_e64 v149, 0xffff8000, -1, s16
	v_lshrrev_b32_e32 v2, s48, v2
	s_delay_alu instid0(VALU_DEP_1) | instskip(NEXT) | instid1(VALU_DEP_1)
	v_and_b32_e32 v2, s55, v2
	v_lshlrev_b32_e32 v2, 2, v2
	ds_load_b32 v2, v2
	s_waitcnt lgkmcnt(0)
	v_add_nc_u32_e32 v2, v2, v1
	s_delay_alu instid0(VALU_DEP_1) | instskip(SKIP_1) | instid1(VALU_DEP_2)
	v_lshlrev_b64 v[36:37], 1, v[2:3]
	v_xor_b32_e32 v2, v149, v146
	v_add_co_u32 v36, s16, s40, v36
	s_delay_alu instid0(VALU_DEP_1) | instskip(SKIP_3) | instid1(VALU_DEP_1)
	v_add_co_ci_u32_e64 v37, s16, s41, v37, s16
	global_store_b16 v[36:37], v2, off
	s_or_b32 exec_lo, exec_lo, s17
	v_cmp_lt_u32_e64 s16, v45, v145
	s_and_saveexec_b32 s18, s16
	s_cbranch_execnz .LBB2057_487
.LBB2057_472:                           ;   in Loop: Header=BB2057_392 Depth=2
	s_or_b32 exec_lo, exec_lo, s18
	v_cmp_lt_u32_e64 s17, v46, v145
	s_delay_alu instid0(VALU_DEP_1)
	s_and_saveexec_b32 s19, s17
	s_cbranch_execz .LBB2057_488
.LBB2057_473:                           ;   in Loop: Header=BB2057_392 Depth=2
	ds_load_u16 v146, v79 offset:1024
	s_waitcnt lgkmcnt(0)
	v_cmp_ne_u16_e64 s18, 0x7fff, v146
	s_delay_alu instid0(VALU_DEP_1) | instskip(SKIP_1) | instid1(VALU_DEP_2)
	v_cndmask_b32_e64 v2, 0xffff8000, v146, s18
	v_cmp_lt_i16_e64 s18, -1, v146
	v_and_b32_e32 v2, 0xffff, v2
	s_delay_alu instid0(VALU_DEP_2) | instskip(NEXT) | instid1(VALU_DEP_2)
	v_cndmask_b32_e64 v149, 0xffff8000, -1, s18
	v_lshrrev_b32_e32 v2, s48, v2
	s_delay_alu instid0(VALU_DEP_1) | instskip(NEXT) | instid1(VALU_DEP_1)
	v_and_b32_e32 v2, s55, v2
	v_lshlrev_b32_e32 v2, 2, v2
	ds_load_b32 v2, v2
	s_waitcnt lgkmcnt(0)
	v_add_nc_u32_e32 v2, v2, v46
	s_delay_alu instid0(VALU_DEP_1) | instskip(SKIP_1) | instid1(VALU_DEP_2)
	v_lshlrev_b64 v[36:37], 1, v[2:3]
	v_xor_b32_e32 v2, v149, v146
	v_add_co_u32 v36, s18, s40, v36
	s_delay_alu instid0(VALU_DEP_1) | instskip(SKIP_3) | instid1(VALU_DEP_1)
	v_add_co_ci_u32_e64 v37, s18, s41, v37, s18
	global_store_b16 v[36:37], v2, off
	s_or_b32 exec_lo, exec_lo, s19
	v_cmp_lt_u32_e64 s18, v47, v145
	s_and_saveexec_b32 s20, s18
	s_cbranch_execnz .LBB2057_489
.LBB2057_474:                           ;   in Loop: Header=BB2057_392 Depth=2
	s_or_b32 exec_lo, exec_lo, s20
	v_cmp_lt_u32_e64 s19, v51, v145
	s_delay_alu instid0(VALU_DEP_1)
	s_and_saveexec_b32 s21, s19
	s_cbranch_execz .LBB2057_490
.LBB2057_475:                           ;   in Loop: Header=BB2057_392 Depth=2
	ds_load_u16 v146, v79 offset:2048
	s_waitcnt lgkmcnt(0)
	v_cmp_ne_u16_e64 s20, 0x7fff, v146
	s_delay_alu instid0(VALU_DEP_1) | instskip(SKIP_1) | instid1(VALU_DEP_2)
	v_cndmask_b32_e64 v2, 0xffff8000, v146, s20
	v_cmp_lt_i16_e64 s20, -1, v146
	v_and_b32_e32 v2, 0xffff, v2
	s_delay_alu instid0(VALU_DEP_2) | instskip(NEXT) | instid1(VALU_DEP_2)
	v_cndmask_b32_e64 v149, 0xffff8000, -1, s20
	v_lshrrev_b32_e32 v2, s48, v2
	s_delay_alu instid0(VALU_DEP_1) | instskip(NEXT) | instid1(VALU_DEP_1)
	v_and_b32_e32 v2, s55, v2
	v_lshlrev_b32_e32 v2, 2, v2
	ds_load_b32 v2, v2
	s_waitcnt lgkmcnt(0)
	v_add_nc_u32_e32 v2, v2, v51
	s_delay_alu instid0(VALU_DEP_1) | instskip(SKIP_1) | instid1(VALU_DEP_2)
	v_lshlrev_b64 v[36:37], 1, v[2:3]
	v_xor_b32_e32 v2, v149, v146
	v_add_co_u32 v36, s20, s40, v36
	s_delay_alu instid0(VALU_DEP_1) | instskip(SKIP_3) | instid1(VALU_DEP_1)
	v_add_co_ci_u32_e64 v37, s20, s41, v37, s20
	global_store_b16 v[36:37], v2, off
	s_or_b32 exec_lo, exec_lo, s21
	v_cmp_lt_u32_e64 s20, v52, v145
	s_and_saveexec_b32 s22, s20
	s_cbranch_execnz .LBB2057_491
.LBB2057_476:                           ;   in Loop: Header=BB2057_392 Depth=2
	s_or_b32 exec_lo, exec_lo, s22
	v_cmp_lt_u32_e64 s21, v53, v145
	s_delay_alu instid0(VALU_DEP_1)
	s_and_saveexec_b32 s23, s21
	s_cbranch_execz .LBB2057_492
.LBB2057_477:                           ;   in Loop: Header=BB2057_392 Depth=2
	ds_load_u16 v146, v79 offset:3072
	s_waitcnt lgkmcnt(0)
	v_cmp_ne_u16_e64 s22, 0x7fff, v146
	s_delay_alu instid0(VALU_DEP_1) | instskip(SKIP_1) | instid1(VALU_DEP_2)
	v_cndmask_b32_e64 v2, 0xffff8000, v146, s22
	v_cmp_lt_i16_e64 s22, -1, v146
	v_and_b32_e32 v2, 0xffff, v2
	s_delay_alu instid0(VALU_DEP_2) | instskip(NEXT) | instid1(VALU_DEP_2)
	v_cndmask_b32_e64 v149, 0xffff8000, -1, s22
	v_lshrrev_b32_e32 v2, s48, v2
	s_delay_alu instid0(VALU_DEP_1) | instskip(NEXT) | instid1(VALU_DEP_1)
	v_and_b32_e32 v2, s55, v2
	v_lshlrev_b32_e32 v2, 2, v2
	ds_load_b32 v2, v2
	s_waitcnt lgkmcnt(0)
	v_add_nc_u32_e32 v2, v2, v53
	s_delay_alu instid0(VALU_DEP_1) | instskip(SKIP_1) | instid1(VALU_DEP_2)
	v_lshlrev_b64 v[36:37], 1, v[2:3]
	v_xor_b32_e32 v2, v149, v146
	v_add_co_u32 v36, s22, s40, v36
	s_delay_alu instid0(VALU_DEP_1) | instskip(SKIP_3) | instid1(VALU_DEP_1)
	v_add_co_ci_u32_e64 v37, s22, s41, v37, s22
	global_store_b16 v[36:37], v2, off
	s_or_b32 exec_lo, exec_lo, s23
	v_cmp_lt_u32_e64 s22, v54, v145
	s_and_saveexec_b32 s24, s22
	s_cbranch_execnz .LBB2057_493
.LBB2057_478:                           ;   in Loop: Header=BB2057_392 Depth=2
	s_or_b32 exec_lo, exec_lo, s24
	v_cmp_lt_u32_e64 s23, v55, v145
	s_delay_alu instid0(VALU_DEP_1)
	s_and_saveexec_b32 s25, s23
	s_cbranch_execz .LBB2057_494
.LBB2057_479:                           ;   in Loop: Header=BB2057_392 Depth=2
	ds_load_u16 v146, v79 offset:4096
	s_waitcnt lgkmcnt(0)
	v_cmp_ne_u16_e64 s24, 0x7fff, v146
	s_delay_alu instid0(VALU_DEP_1) | instskip(SKIP_1) | instid1(VALU_DEP_2)
	v_cndmask_b32_e64 v2, 0xffff8000, v146, s24
	v_cmp_lt_i16_e64 s24, -1, v146
	v_and_b32_e32 v2, 0xffff, v2
	s_delay_alu instid0(VALU_DEP_2) | instskip(NEXT) | instid1(VALU_DEP_2)
	v_cndmask_b32_e64 v149, 0xffff8000, -1, s24
	v_lshrrev_b32_e32 v2, s48, v2
	s_delay_alu instid0(VALU_DEP_1) | instskip(NEXT) | instid1(VALU_DEP_1)
	v_and_b32_e32 v2, s55, v2
	v_lshlrev_b32_e32 v2, 2, v2
	ds_load_b32 v2, v2
	s_waitcnt lgkmcnt(0)
	v_add_nc_u32_e32 v2, v2, v55
	s_delay_alu instid0(VALU_DEP_1) | instskip(SKIP_1) | instid1(VALU_DEP_2)
	v_lshlrev_b64 v[36:37], 1, v[2:3]
	v_xor_b32_e32 v2, v149, v146
	v_add_co_u32 v36, s24, s40, v36
	s_delay_alu instid0(VALU_DEP_1) | instskip(SKIP_3) | instid1(VALU_DEP_1)
	v_add_co_ci_u32_e64 v37, s24, s41, v37, s24
	global_store_b16 v[36:37], v2, off
	s_or_b32 exec_lo, exec_lo, s25
	v_cmp_lt_u32_e64 s24, v56, v145
	s_and_saveexec_b32 s27, s24
	s_cbranch_execnz .LBB2057_495
.LBB2057_480:                           ;   in Loop: Header=BB2057_392 Depth=2
	s_or_b32 exec_lo, exec_lo, s27
	v_cmp_lt_u32_e64 s25, v57, v145
	s_delay_alu instid0(VALU_DEP_1)
	s_and_saveexec_b32 s28, s25
	s_cbranch_execz .LBB2057_496
.LBB2057_481:                           ;   in Loop: Header=BB2057_392 Depth=2
	ds_load_u16 v146, v79 offset:5120
	s_waitcnt lgkmcnt(0)
	v_cmp_ne_u16_e64 s27, 0x7fff, v146
	s_delay_alu instid0(VALU_DEP_1) | instskip(SKIP_1) | instid1(VALU_DEP_2)
	v_cndmask_b32_e64 v2, 0xffff8000, v146, s27
	v_cmp_lt_i16_e64 s27, -1, v146
	v_and_b32_e32 v2, 0xffff, v2
	s_delay_alu instid0(VALU_DEP_2) | instskip(NEXT) | instid1(VALU_DEP_2)
	v_cndmask_b32_e64 v149, 0xffff8000, -1, s27
	v_lshrrev_b32_e32 v2, s48, v2
	s_delay_alu instid0(VALU_DEP_1) | instskip(NEXT) | instid1(VALU_DEP_1)
	v_and_b32_e32 v2, s55, v2
	v_lshlrev_b32_e32 v2, 2, v2
	ds_load_b32 v2, v2
	s_waitcnt lgkmcnt(0)
	v_add_nc_u32_e32 v2, v2, v57
	s_delay_alu instid0(VALU_DEP_1) | instskip(SKIP_1) | instid1(VALU_DEP_2)
	v_lshlrev_b64 v[36:37], 1, v[2:3]
	v_xor_b32_e32 v2, v149, v146
	v_add_co_u32 v36, s27, s40, v36
	s_delay_alu instid0(VALU_DEP_1) | instskip(SKIP_3) | instid1(VALU_DEP_1)
	v_add_co_ci_u32_e64 v37, s27, s41, v37, s27
	global_store_b16 v[36:37], v2, off
	s_or_b32 exec_lo, exec_lo, s28
	v_cmp_lt_u32_e64 s27, v58, v145
	s_and_saveexec_b32 s29, s27
	s_cbranch_execnz .LBB2057_497
.LBB2057_482:                           ;   in Loop: Header=BB2057_392 Depth=2
	s_or_b32 exec_lo, exec_lo, s29
	v_cmp_lt_u32_e64 s28, v59, v145
	s_delay_alu instid0(VALU_DEP_1)
	s_and_saveexec_b32 s30, s28
	s_cbranch_execz .LBB2057_498
.LBB2057_483:                           ;   in Loop: Header=BB2057_392 Depth=2
	ds_load_u16 v146, v79 offset:6144
	s_waitcnt lgkmcnt(0)
	v_cmp_ne_u16_e64 s29, 0x7fff, v146
	s_delay_alu instid0(VALU_DEP_1) | instskip(SKIP_1) | instid1(VALU_DEP_2)
	v_cndmask_b32_e64 v2, 0xffff8000, v146, s29
	v_cmp_lt_i16_e64 s29, -1, v146
	v_and_b32_e32 v2, 0xffff, v2
	s_delay_alu instid0(VALU_DEP_2) | instskip(NEXT) | instid1(VALU_DEP_2)
	v_cndmask_b32_e64 v149, 0xffff8000, -1, s29
	v_lshrrev_b32_e32 v2, s48, v2
	s_delay_alu instid0(VALU_DEP_1) | instskip(NEXT) | instid1(VALU_DEP_1)
	v_and_b32_e32 v2, s55, v2
	v_lshlrev_b32_e32 v2, 2, v2
	ds_load_b32 v2, v2
	s_waitcnt lgkmcnt(0)
	v_add_nc_u32_e32 v2, v2, v59
	s_delay_alu instid0(VALU_DEP_1) | instskip(SKIP_1) | instid1(VALU_DEP_2)
	v_lshlrev_b64 v[36:37], 1, v[2:3]
	v_xor_b32_e32 v2, v149, v146
	v_add_co_u32 v36, s29, s40, v36
	s_delay_alu instid0(VALU_DEP_1) | instskip(SKIP_3) | instid1(VALU_DEP_1)
	v_add_co_ci_u32_e64 v37, s29, s41, v37, s29
	global_store_b16 v[36:37], v2, off
	s_or_b32 exec_lo, exec_lo, s30
	v_cmp_lt_u32_e64 s29, v60, v145
	s_and_saveexec_b32 s31, s29
	s_cbranch_execnz .LBB2057_499
.LBB2057_484:                           ;   in Loop: Header=BB2057_392 Depth=2
	s_or_b32 exec_lo, exec_lo, s31
	v_cmp_lt_u32_e64 s30, v61, v145
	s_delay_alu instid0(VALU_DEP_1)
	s_and_saveexec_b32 s33, s30
	s_cbranch_execz .LBB2057_500
.LBB2057_485:                           ;   in Loop: Header=BB2057_392 Depth=2
	ds_load_u16 v146, v79 offset:7168
	s_waitcnt lgkmcnt(0)
	v_cmp_ne_u16_e64 s31, 0x7fff, v146
	s_delay_alu instid0(VALU_DEP_1) | instskip(SKIP_1) | instid1(VALU_DEP_2)
	v_cndmask_b32_e64 v2, 0xffff8000, v146, s31
	v_cmp_lt_i16_e64 s31, -1, v146
	v_and_b32_e32 v2, 0xffff, v2
	s_delay_alu instid0(VALU_DEP_2) | instskip(NEXT) | instid1(VALU_DEP_2)
	v_cndmask_b32_e64 v149, 0xffff8000, -1, s31
	v_lshrrev_b32_e32 v2, s48, v2
	s_delay_alu instid0(VALU_DEP_1) | instskip(NEXT) | instid1(VALU_DEP_1)
	v_and_b32_e32 v2, s55, v2
	v_lshlrev_b32_e32 v2, 2, v2
	ds_load_b32 v2, v2
	s_waitcnt lgkmcnt(0)
	v_add_nc_u32_e32 v2, v2, v61
	s_delay_alu instid0(VALU_DEP_1) | instskip(SKIP_1) | instid1(VALU_DEP_2)
	v_lshlrev_b64 v[36:37], 1, v[2:3]
	v_xor_b32_e32 v2, v149, v146
	v_add_co_u32 v36, s31, s40, v36
	s_delay_alu instid0(VALU_DEP_1) | instskip(SKIP_3) | instid1(VALU_DEP_1)
	v_add_co_ci_u32_e64 v37, s31, s41, v37, s31
	global_store_b16 v[36:37], v2, off
	s_or_b32 exec_lo, exec_lo, s33
	v_cmp_lt_u32_e64 s31, v63, v145
	s_and_saveexec_b32 s58, s31
	s_cbranch_execnz .LBB2057_501
	s_branch .LBB2057_502
.LBB2057_486:                           ;   in Loop: Header=BB2057_392 Depth=2
	s_or_b32 exec_lo, exec_lo, s17
	v_cmp_lt_u32_e64 s16, v45, v145
	s_delay_alu instid0(VALU_DEP_1)
	s_and_saveexec_b32 s18, s16
	s_cbranch_execz .LBB2057_472
.LBB2057_487:                           ;   in Loop: Header=BB2057_392 Depth=2
	ds_load_u16 v146, v79 offset:512
	s_waitcnt lgkmcnt(0)
	v_cmp_ne_u16_e64 s17, 0x7fff, v146
	s_delay_alu instid0(VALU_DEP_1) | instskip(SKIP_1) | instid1(VALU_DEP_2)
	v_cndmask_b32_e64 v2, 0xffff8000, v146, s17
	v_cmp_lt_i16_e64 s17, -1, v146
	v_and_b32_e32 v2, 0xffff, v2
	s_delay_alu instid0(VALU_DEP_2) | instskip(NEXT) | instid1(VALU_DEP_2)
	v_cndmask_b32_e64 v149, 0xffff8000, -1, s17
	v_lshrrev_b32_e32 v2, s48, v2
	s_delay_alu instid0(VALU_DEP_1) | instskip(NEXT) | instid1(VALU_DEP_1)
	v_and_b32_e32 v2, s55, v2
	v_lshlrev_b32_e32 v2, 2, v2
	ds_load_b32 v2, v2
	s_waitcnt lgkmcnt(0)
	v_add_nc_u32_e32 v2, v2, v45
	s_delay_alu instid0(VALU_DEP_1) | instskip(SKIP_1) | instid1(VALU_DEP_2)
	v_lshlrev_b64 v[36:37], 1, v[2:3]
	v_xor_b32_e32 v2, v149, v146
	v_add_co_u32 v36, s17, s40, v36
	s_delay_alu instid0(VALU_DEP_1) | instskip(SKIP_3) | instid1(VALU_DEP_1)
	v_add_co_ci_u32_e64 v37, s17, s41, v37, s17
	global_store_b16 v[36:37], v2, off
	s_or_b32 exec_lo, exec_lo, s18
	v_cmp_lt_u32_e64 s17, v46, v145
	s_and_saveexec_b32 s19, s17
	s_cbranch_execnz .LBB2057_473
.LBB2057_488:                           ;   in Loop: Header=BB2057_392 Depth=2
	s_or_b32 exec_lo, exec_lo, s19
	v_cmp_lt_u32_e64 s18, v47, v145
	s_delay_alu instid0(VALU_DEP_1)
	s_and_saveexec_b32 s20, s18
	s_cbranch_execz .LBB2057_474
.LBB2057_489:                           ;   in Loop: Header=BB2057_392 Depth=2
	ds_load_u16 v146, v79 offset:1536
	s_waitcnt lgkmcnt(0)
	v_cmp_ne_u16_e64 s19, 0x7fff, v146
	s_delay_alu instid0(VALU_DEP_1) | instskip(SKIP_1) | instid1(VALU_DEP_2)
	v_cndmask_b32_e64 v2, 0xffff8000, v146, s19
	v_cmp_lt_i16_e64 s19, -1, v146
	v_and_b32_e32 v2, 0xffff, v2
	s_delay_alu instid0(VALU_DEP_2) | instskip(NEXT) | instid1(VALU_DEP_2)
	v_cndmask_b32_e64 v149, 0xffff8000, -1, s19
	v_lshrrev_b32_e32 v2, s48, v2
	s_delay_alu instid0(VALU_DEP_1) | instskip(NEXT) | instid1(VALU_DEP_1)
	v_and_b32_e32 v2, s55, v2
	v_lshlrev_b32_e32 v2, 2, v2
	ds_load_b32 v2, v2
	s_waitcnt lgkmcnt(0)
	v_add_nc_u32_e32 v2, v2, v47
	s_delay_alu instid0(VALU_DEP_1) | instskip(SKIP_1) | instid1(VALU_DEP_2)
	v_lshlrev_b64 v[36:37], 1, v[2:3]
	v_xor_b32_e32 v2, v149, v146
	v_add_co_u32 v36, s19, s40, v36
	s_delay_alu instid0(VALU_DEP_1) | instskip(SKIP_3) | instid1(VALU_DEP_1)
	v_add_co_ci_u32_e64 v37, s19, s41, v37, s19
	global_store_b16 v[36:37], v2, off
	s_or_b32 exec_lo, exec_lo, s20
	v_cmp_lt_u32_e64 s19, v51, v145
	s_and_saveexec_b32 s21, s19
	s_cbranch_execnz .LBB2057_475
.LBB2057_490:                           ;   in Loop: Header=BB2057_392 Depth=2
	s_or_b32 exec_lo, exec_lo, s21
	v_cmp_lt_u32_e64 s20, v52, v145
	s_delay_alu instid0(VALU_DEP_1)
	s_and_saveexec_b32 s22, s20
	s_cbranch_execz .LBB2057_476
.LBB2057_491:                           ;   in Loop: Header=BB2057_392 Depth=2
	ds_load_u16 v146, v79 offset:2560
	s_waitcnt lgkmcnt(0)
	v_cmp_ne_u16_e64 s21, 0x7fff, v146
	s_delay_alu instid0(VALU_DEP_1) | instskip(SKIP_1) | instid1(VALU_DEP_2)
	v_cndmask_b32_e64 v2, 0xffff8000, v146, s21
	v_cmp_lt_i16_e64 s21, -1, v146
	v_and_b32_e32 v2, 0xffff, v2
	s_delay_alu instid0(VALU_DEP_2) | instskip(NEXT) | instid1(VALU_DEP_2)
	v_cndmask_b32_e64 v149, 0xffff8000, -1, s21
	v_lshrrev_b32_e32 v2, s48, v2
	s_delay_alu instid0(VALU_DEP_1) | instskip(NEXT) | instid1(VALU_DEP_1)
	v_and_b32_e32 v2, s55, v2
	v_lshlrev_b32_e32 v2, 2, v2
	ds_load_b32 v2, v2
	s_waitcnt lgkmcnt(0)
	v_add_nc_u32_e32 v2, v2, v52
	s_delay_alu instid0(VALU_DEP_1) | instskip(SKIP_1) | instid1(VALU_DEP_2)
	v_lshlrev_b64 v[36:37], 1, v[2:3]
	v_xor_b32_e32 v2, v149, v146
	v_add_co_u32 v36, s21, s40, v36
	s_delay_alu instid0(VALU_DEP_1) | instskip(SKIP_3) | instid1(VALU_DEP_1)
	v_add_co_ci_u32_e64 v37, s21, s41, v37, s21
	global_store_b16 v[36:37], v2, off
	s_or_b32 exec_lo, exec_lo, s22
	v_cmp_lt_u32_e64 s21, v53, v145
	s_and_saveexec_b32 s23, s21
	s_cbranch_execnz .LBB2057_477
.LBB2057_492:                           ;   in Loop: Header=BB2057_392 Depth=2
	s_or_b32 exec_lo, exec_lo, s23
	v_cmp_lt_u32_e64 s22, v54, v145
	s_delay_alu instid0(VALU_DEP_1)
	s_and_saveexec_b32 s24, s22
	s_cbranch_execz .LBB2057_478
.LBB2057_493:                           ;   in Loop: Header=BB2057_392 Depth=2
	ds_load_u16 v146, v79 offset:3584
	s_waitcnt lgkmcnt(0)
	v_cmp_ne_u16_e64 s23, 0x7fff, v146
	s_delay_alu instid0(VALU_DEP_1) | instskip(SKIP_1) | instid1(VALU_DEP_2)
	v_cndmask_b32_e64 v2, 0xffff8000, v146, s23
	v_cmp_lt_i16_e64 s23, -1, v146
	v_and_b32_e32 v2, 0xffff, v2
	s_delay_alu instid0(VALU_DEP_2) | instskip(NEXT) | instid1(VALU_DEP_2)
	v_cndmask_b32_e64 v149, 0xffff8000, -1, s23
	v_lshrrev_b32_e32 v2, s48, v2
	s_delay_alu instid0(VALU_DEP_1) | instskip(NEXT) | instid1(VALU_DEP_1)
	v_and_b32_e32 v2, s55, v2
	v_lshlrev_b32_e32 v2, 2, v2
	ds_load_b32 v2, v2
	s_waitcnt lgkmcnt(0)
	v_add_nc_u32_e32 v2, v2, v54
	s_delay_alu instid0(VALU_DEP_1) | instskip(SKIP_1) | instid1(VALU_DEP_2)
	v_lshlrev_b64 v[36:37], 1, v[2:3]
	v_xor_b32_e32 v2, v149, v146
	v_add_co_u32 v36, s23, s40, v36
	s_delay_alu instid0(VALU_DEP_1) | instskip(SKIP_3) | instid1(VALU_DEP_1)
	v_add_co_ci_u32_e64 v37, s23, s41, v37, s23
	global_store_b16 v[36:37], v2, off
	s_or_b32 exec_lo, exec_lo, s24
	v_cmp_lt_u32_e64 s23, v55, v145
	s_and_saveexec_b32 s25, s23
	s_cbranch_execnz .LBB2057_479
.LBB2057_494:                           ;   in Loop: Header=BB2057_392 Depth=2
	s_or_b32 exec_lo, exec_lo, s25
	v_cmp_lt_u32_e64 s24, v56, v145
	s_delay_alu instid0(VALU_DEP_1)
	s_and_saveexec_b32 s27, s24
	s_cbranch_execz .LBB2057_480
.LBB2057_495:                           ;   in Loop: Header=BB2057_392 Depth=2
	ds_load_u16 v146, v79 offset:4608
	s_waitcnt lgkmcnt(0)
	v_cmp_ne_u16_e64 s25, 0x7fff, v146
	s_delay_alu instid0(VALU_DEP_1) | instskip(SKIP_1) | instid1(VALU_DEP_2)
	v_cndmask_b32_e64 v2, 0xffff8000, v146, s25
	v_cmp_lt_i16_e64 s25, -1, v146
	v_and_b32_e32 v2, 0xffff, v2
	s_delay_alu instid0(VALU_DEP_2) | instskip(NEXT) | instid1(VALU_DEP_2)
	v_cndmask_b32_e64 v149, 0xffff8000, -1, s25
	v_lshrrev_b32_e32 v2, s48, v2
	s_delay_alu instid0(VALU_DEP_1) | instskip(NEXT) | instid1(VALU_DEP_1)
	v_and_b32_e32 v2, s55, v2
	v_lshlrev_b32_e32 v2, 2, v2
	ds_load_b32 v2, v2
	s_waitcnt lgkmcnt(0)
	v_add_nc_u32_e32 v2, v2, v56
	s_delay_alu instid0(VALU_DEP_1) | instskip(SKIP_1) | instid1(VALU_DEP_2)
	v_lshlrev_b64 v[36:37], 1, v[2:3]
	v_xor_b32_e32 v2, v149, v146
	v_add_co_u32 v36, s25, s40, v36
	s_delay_alu instid0(VALU_DEP_1) | instskip(SKIP_3) | instid1(VALU_DEP_1)
	v_add_co_ci_u32_e64 v37, s25, s41, v37, s25
	global_store_b16 v[36:37], v2, off
	s_or_b32 exec_lo, exec_lo, s27
	v_cmp_lt_u32_e64 s25, v57, v145
	s_and_saveexec_b32 s28, s25
	s_cbranch_execnz .LBB2057_481
.LBB2057_496:                           ;   in Loop: Header=BB2057_392 Depth=2
	s_or_b32 exec_lo, exec_lo, s28
	v_cmp_lt_u32_e64 s27, v58, v145
	s_delay_alu instid0(VALU_DEP_1)
	s_and_saveexec_b32 s29, s27
	s_cbranch_execz .LBB2057_482
.LBB2057_497:                           ;   in Loop: Header=BB2057_392 Depth=2
	ds_load_u16 v146, v79 offset:5632
	s_waitcnt lgkmcnt(0)
	v_cmp_ne_u16_e64 s28, 0x7fff, v146
	s_delay_alu instid0(VALU_DEP_1) | instskip(SKIP_1) | instid1(VALU_DEP_2)
	v_cndmask_b32_e64 v2, 0xffff8000, v146, s28
	v_cmp_lt_i16_e64 s28, -1, v146
	v_and_b32_e32 v2, 0xffff, v2
	s_delay_alu instid0(VALU_DEP_2) | instskip(NEXT) | instid1(VALU_DEP_2)
	v_cndmask_b32_e64 v149, 0xffff8000, -1, s28
	v_lshrrev_b32_e32 v2, s48, v2
	s_delay_alu instid0(VALU_DEP_1) | instskip(NEXT) | instid1(VALU_DEP_1)
	v_and_b32_e32 v2, s55, v2
	v_lshlrev_b32_e32 v2, 2, v2
	ds_load_b32 v2, v2
	s_waitcnt lgkmcnt(0)
	v_add_nc_u32_e32 v2, v2, v58
	s_delay_alu instid0(VALU_DEP_1) | instskip(SKIP_1) | instid1(VALU_DEP_2)
	v_lshlrev_b64 v[36:37], 1, v[2:3]
	v_xor_b32_e32 v2, v149, v146
	v_add_co_u32 v36, s28, s40, v36
	s_delay_alu instid0(VALU_DEP_1) | instskip(SKIP_3) | instid1(VALU_DEP_1)
	v_add_co_ci_u32_e64 v37, s28, s41, v37, s28
	global_store_b16 v[36:37], v2, off
	s_or_b32 exec_lo, exec_lo, s29
	v_cmp_lt_u32_e64 s28, v59, v145
	s_and_saveexec_b32 s30, s28
	s_cbranch_execnz .LBB2057_483
.LBB2057_498:                           ;   in Loop: Header=BB2057_392 Depth=2
	s_or_b32 exec_lo, exec_lo, s30
	v_cmp_lt_u32_e64 s29, v60, v145
	s_delay_alu instid0(VALU_DEP_1)
	s_and_saveexec_b32 s31, s29
	s_cbranch_execz .LBB2057_484
.LBB2057_499:                           ;   in Loop: Header=BB2057_392 Depth=2
	ds_load_u16 v146, v79 offset:6656
	s_waitcnt lgkmcnt(0)
	v_cmp_ne_u16_e64 s30, 0x7fff, v146
	s_delay_alu instid0(VALU_DEP_1) | instskip(SKIP_1) | instid1(VALU_DEP_2)
	v_cndmask_b32_e64 v2, 0xffff8000, v146, s30
	v_cmp_lt_i16_e64 s30, -1, v146
	v_and_b32_e32 v2, 0xffff, v2
	s_delay_alu instid0(VALU_DEP_2) | instskip(NEXT) | instid1(VALU_DEP_2)
	v_cndmask_b32_e64 v149, 0xffff8000, -1, s30
	v_lshrrev_b32_e32 v2, s48, v2
	s_delay_alu instid0(VALU_DEP_1) | instskip(NEXT) | instid1(VALU_DEP_1)
	v_and_b32_e32 v2, s55, v2
	v_lshlrev_b32_e32 v2, 2, v2
	ds_load_b32 v2, v2
	s_waitcnt lgkmcnt(0)
	v_add_nc_u32_e32 v2, v2, v60
	s_delay_alu instid0(VALU_DEP_1) | instskip(SKIP_1) | instid1(VALU_DEP_2)
	v_lshlrev_b64 v[36:37], 1, v[2:3]
	v_xor_b32_e32 v2, v149, v146
	v_add_co_u32 v36, s30, s40, v36
	s_delay_alu instid0(VALU_DEP_1) | instskip(SKIP_3) | instid1(VALU_DEP_1)
	v_add_co_ci_u32_e64 v37, s30, s41, v37, s30
	global_store_b16 v[36:37], v2, off
	s_or_b32 exec_lo, exec_lo, s31
	v_cmp_lt_u32_e64 s30, v61, v145
	s_and_saveexec_b32 s33, s30
	s_cbranch_execnz .LBB2057_485
.LBB2057_500:                           ;   in Loop: Header=BB2057_392 Depth=2
	s_or_b32 exec_lo, exec_lo, s33
	v_cmp_lt_u32_e64 s31, v63, v145
	s_delay_alu instid0(VALU_DEP_1)
	s_and_saveexec_b32 s58, s31
	s_cbranch_execz .LBB2057_502
.LBB2057_501:                           ;   in Loop: Header=BB2057_392 Depth=2
	ds_load_u16 v146, v79 offset:7680
	s_waitcnt lgkmcnt(0)
	v_cmp_ne_u16_e64 s33, 0x7fff, v146
	s_delay_alu instid0(VALU_DEP_1) | instskip(SKIP_1) | instid1(VALU_DEP_2)
	v_cndmask_b32_e64 v2, 0xffff8000, v146, s33
	v_cmp_lt_i16_e64 s33, -1, v146
	v_and_b32_e32 v2, 0xffff, v2
	s_delay_alu instid0(VALU_DEP_2) | instskip(NEXT) | instid1(VALU_DEP_2)
	v_cndmask_b32_e64 v149, 0xffff8000, -1, s33
	v_lshrrev_b32_e32 v2, s48, v2
	s_delay_alu instid0(VALU_DEP_1) | instskip(NEXT) | instid1(VALU_DEP_1)
	v_and_b32_e32 v2, s55, v2
	v_lshlrev_b32_e32 v2, 2, v2
	ds_load_b32 v2, v2
	s_waitcnt lgkmcnt(0)
	v_add_nc_u32_e32 v2, v2, v63
	s_delay_alu instid0(VALU_DEP_1) | instskip(SKIP_1) | instid1(VALU_DEP_2)
	v_lshlrev_b64 v[36:37], 1, v[2:3]
	v_xor_b32_e32 v2, v149, v146
	v_add_co_u32 v36, s33, s40, v36
	s_delay_alu instid0(VALU_DEP_1)
	v_add_co_ci_u32_e64 v37, s33, s41, v37, s33
	global_store_b16 v[36:37], v2, off
.LBB2057_502:                           ;   in Loop: Header=BB2057_392 Depth=2
	s_or_b32 exec_lo, exec_lo, s58
	s_lshl_b64 s[58:59], s[34:35], 3
	s_delay_alu instid0(SALU_CYCLE_1) | instskip(NEXT) | instid1(VALU_DEP_1)
	v_add_co_u32 v36, s33, v107, s58
	v_add_co_ci_u32_e64 v37, s33, s59, v108, s33
	v_cmp_lt_u32_e64 s33, v106, v145
	s_delay_alu instid0(VALU_DEP_1) | instskip(NEXT) | instid1(SALU_CYCLE_1)
	s_and_saveexec_b32 s34, s33
	s_xor_b32 s33, exec_lo, s34
	s_cbranch_execz .LBB2057_534
; %bb.503:                              ;   in Loop: Header=BB2057_392 Depth=2
	global_load_b64 v[34:35], v[36:37], off
	s_or_b32 exec_lo, exec_lo, s33
	s_delay_alu instid0(SALU_CYCLE_1)
	s_mov_b32 s34, exec_lo
	v_cmpx_lt_u32_e64 v109, v145
	s_cbranch_execnz .LBB2057_535
.LBB2057_504:                           ;   in Loop: Header=BB2057_392 Depth=2
	s_or_b32 exec_lo, exec_lo, s34
	s_delay_alu instid0(SALU_CYCLE_1)
	s_mov_b32 s34, exec_lo
	v_cmpx_lt_u32_e64 v110, v145
	s_cbranch_execz .LBB2057_536
.LBB2057_505:                           ;   in Loop: Header=BB2057_392 Depth=2
	global_load_b64 v[30:31], v[36:37], off offset:512
	s_or_b32 exec_lo, exec_lo, s34
	s_delay_alu instid0(SALU_CYCLE_1)
	s_mov_b32 s34, exec_lo
	v_cmpx_lt_u32_e64 v111, v145
	s_cbranch_execnz .LBB2057_537
.LBB2057_506:                           ;   in Loop: Header=BB2057_392 Depth=2
	s_or_b32 exec_lo, exec_lo, s34
	s_delay_alu instid0(SALU_CYCLE_1)
	s_mov_b32 s34, exec_lo
	v_cmpx_lt_u32_e64 v112, v145
	s_cbranch_execz .LBB2057_538
.LBB2057_507:                           ;   in Loop: Header=BB2057_392 Depth=2
	global_load_b64 v[26:27], v[36:37], off offset:1024
	s_or_b32 exec_lo, exec_lo, s34
	s_delay_alu instid0(SALU_CYCLE_1)
	s_mov_b32 s34, exec_lo
	v_cmpx_lt_u32_e64 v113, v145
	s_cbranch_execnz .LBB2057_539
.LBB2057_508:                           ;   in Loop: Header=BB2057_392 Depth=2
	s_or_b32 exec_lo, exec_lo, s34
	s_delay_alu instid0(SALU_CYCLE_1)
	s_mov_b32 s34, exec_lo
	v_cmpx_lt_u32_e64 v114, v145
	s_cbranch_execz .LBB2057_540
.LBB2057_509:                           ;   in Loop: Header=BB2057_392 Depth=2
	global_load_b64 v[22:23], v[36:37], off offset:1536
	s_or_b32 exec_lo, exec_lo, s34
	s_delay_alu instid0(SALU_CYCLE_1)
	s_mov_b32 s34, exec_lo
	v_cmpx_lt_u32_e64 v115, v145
	s_cbranch_execnz .LBB2057_541
.LBB2057_510:                           ;   in Loop: Header=BB2057_392 Depth=2
	s_or_b32 exec_lo, exec_lo, s34
	s_delay_alu instid0(SALU_CYCLE_1)
	s_mov_b32 s34, exec_lo
	v_cmpx_lt_u32_e64 v116, v145
	s_cbranch_execz .LBB2057_542
.LBB2057_511:                           ;   in Loop: Header=BB2057_392 Depth=2
	global_load_b64 v[18:19], v[36:37], off offset:2048
	s_or_b32 exec_lo, exec_lo, s34
	s_delay_alu instid0(SALU_CYCLE_1)
	s_mov_b32 s34, exec_lo
	v_cmpx_lt_u32_e64 v117, v145
	s_cbranch_execnz .LBB2057_543
.LBB2057_512:                           ;   in Loop: Header=BB2057_392 Depth=2
	s_or_b32 exec_lo, exec_lo, s34
	s_delay_alu instid0(SALU_CYCLE_1)
	s_mov_b32 s34, exec_lo
	v_cmpx_lt_u32_e64 v118, v145
	s_cbranch_execz .LBB2057_544
.LBB2057_513:                           ;   in Loop: Header=BB2057_392 Depth=2
	global_load_b64 v[14:15], v[36:37], off offset:2560
	s_or_b32 exec_lo, exec_lo, s34
	s_delay_alu instid0(SALU_CYCLE_1)
	s_mov_b32 s34, exec_lo
	v_cmpx_lt_u32_e64 v119, v145
	s_cbranch_execnz .LBB2057_545
.LBB2057_514:                           ;   in Loop: Header=BB2057_392 Depth=2
	s_or_b32 exec_lo, exec_lo, s34
	s_delay_alu instid0(SALU_CYCLE_1)
	s_mov_b32 s34, exec_lo
	v_cmpx_lt_u32_e64 v120, v145
	s_cbranch_execz .LBB2057_546
.LBB2057_515:                           ;   in Loop: Header=BB2057_392 Depth=2
	global_load_b64 v[10:11], v[36:37], off offset:3072
	s_or_b32 exec_lo, exec_lo, s34
	s_delay_alu instid0(SALU_CYCLE_1)
	s_mov_b32 s34, exec_lo
	v_cmpx_lt_u32_e64 v121, v145
	s_cbranch_execnz .LBB2057_547
.LBB2057_516:                           ;   in Loop: Header=BB2057_392 Depth=2
	s_or_b32 exec_lo, exec_lo, s34
	s_delay_alu instid0(SALU_CYCLE_1)
	s_mov_b32 s34, exec_lo
	v_cmpx_lt_u32_e64 v122, v145
	s_cbranch_execz .LBB2057_548
.LBB2057_517:                           ;   in Loop: Header=BB2057_392 Depth=2
	global_load_b64 v[6:7], v[36:37], off offset:3584
	s_or_b32 exec_lo, exec_lo, s34
	s_delay_alu instid0(SALU_CYCLE_1)
	s_mov_b32 s34, exec_lo
	v_cmpx_lt_u32_e64 v123, v145
	s_cbranch_execnz .LBB2057_549
.LBB2057_518:                           ;   in Loop: Header=BB2057_392 Depth=2
	s_or_b32 exec_lo, exec_lo, s34
	s_and_saveexec_b32 s34, vcc_lo
	s_cbranch_execz .LBB2057_550
.LBB2057_519:                           ;   in Loop: Header=BB2057_392 Depth=2
	v_add_nc_u32_e32 v2, v72, v78
	ds_load_u16 v2, v2 offset:1024
	s_waitcnt lgkmcnt(0)
	v_cmp_ne_u16_e64 s33, 0x7fff, v2
	s_delay_alu instid0(VALU_DEP_1) | instskip(NEXT) | instid1(VALU_DEP_1)
	v_cndmask_b32_e64 v2, 0xffff8000, v2, s33
	v_and_b32_e32 v2, 0xffff, v2
	s_delay_alu instid0(VALU_DEP_1) | instskip(NEXT) | instid1(VALU_DEP_1)
	v_lshrrev_b32_e32 v2, s48, v2
	v_and_b32_e32 v144, s55, v2
	s_or_b32 exec_lo, exec_lo, s34
	s_and_saveexec_b32 s34, s16
	s_cbranch_execnz .LBB2057_551
.LBB2057_520:                           ;   in Loop: Header=BB2057_392 Depth=2
	s_or_b32 exec_lo, exec_lo, s34
	s_and_saveexec_b32 s34, s17
	s_cbranch_execz .LBB2057_552
.LBB2057_521:                           ;   in Loop: Header=BB2057_392 Depth=2
	ds_load_u16 v2, v79 offset:1024
	s_waitcnt lgkmcnt(0)
	v_cmp_ne_u16_e64 s33, 0x7fff, v2
	s_delay_alu instid0(VALU_DEP_1) | instskip(NEXT) | instid1(VALU_DEP_1)
	v_cndmask_b32_e64 v2, 0xffff8000, v2, s33
	v_and_b32_e32 v2, 0xffff, v2
	s_delay_alu instid0(VALU_DEP_1) | instskip(NEXT) | instid1(VALU_DEP_1)
	v_lshrrev_b32_e32 v2, s48, v2
	v_and_b32_e32 v142, s55, v2
	s_or_b32 exec_lo, exec_lo, s34
	s_and_saveexec_b32 s34, s18
	s_cbranch_execnz .LBB2057_553
.LBB2057_522:                           ;   in Loop: Header=BB2057_392 Depth=2
	s_or_b32 exec_lo, exec_lo, s34
	s_and_saveexec_b32 s34, s19
	s_cbranch_execz .LBB2057_554
.LBB2057_523:                           ;   in Loop: Header=BB2057_392 Depth=2
	ds_load_u16 v2, v79 offset:2048
	s_waitcnt lgkmcnt(0)
	v_cmp_ne_u16_e64 s33, 0x7fff, v2
	s_delay_alu instid0(VALU_DEP_1) | instskip(NEXT) | instid1(VALU_DEP_1)
	v_cndmask_b32_e64 v2, 0xffff8000, v2, s33
	v_and_b32_e32 v2, 0xffff, v2
	s_delay_alu instid0(VALU_DEP_1) | instskip(NEXT) | instid1(VALU_DEP_1)
	v_lshrrev_b32_e32 v2, s48, v2
	v_and_b32_e32 v140, s55, v2
	s_or_b32 exec_lo, exec_lo, s34
	s_and_saveexec_b32 s34, s20
	s_cbranch_execnz .LBB2057_555
.LBB2057_524:                           ;   in Loop: Header=BB2057_392 Depth=2
	s_or_b32 exec_lo, exec_lo, s34
	s_and_saveexec_b32 s34, s21
	s_cbranch_execz .LBB2057_556
.LBB2057_525:                           ;   in Loop: Header=BB2057_392 Depth=2
	ds_load_u16 v2, v79 offset:3072
	s_waitcnt lgkmcnt(0)
	v_cmp_ne_u16_e64 s33, 0x7fff, v2
	s_delay_alu instid0(VALU_DEP_1) | instskip(NEXT) | instid1(VALU_DEP_1)
	v_cndmask_b32_e64 v2, 0xffff8000, v2, s33
	v_and_b32_e32 v2, 0xffff, v2
	s_delay_alu instid0(VALU_DEP_1) | instskip(NEXT) | instid1(VALU_DEP_1)
	v_lshrrev_b32_e32 v2, s48, v2
	v_and_b32_e32 v138, s55, v2
	s_or_b32 exec_lo, exec_lo, s34
	s_and_saveexec_b32 s34, s22
	s_cbranch_execnz .LBB2057_557
.LBB2057_526:                           ;   in Loop: Header=BB2057_392 Depth=2
	s_or_b32 exec_lo, exec_lo, s34
	s_and_saveexec_b32 s34, s23
	s_cbranch_execz .LBB2057_558
.LBB2057_527:                           ;   in Loop: Header=BB2057_392 Depth=2
	ds_load_u16 v2, v79 offset:4096
	s_waitcnt lgkmcnt(0)
	v_cmp_ne_u16_e64 s33, 0x7fff, v2
	s_delay_alu instid0(VALU_DEP_1) | instskip(NEXT) | instid1(VALU_DEP_1)
	v_cndmask_b32_e64 v2, 0xffff8000, v2, s33
	v_and_b32_e32 v2, 0xffff, v2
	s_delay_alu instid0(VALU_DEP_1) | instskip(NEXT) | instid1(VALU_DEP_1)
	v_lshrrev_b32_e32 v2, s48, v2
	v_and_b32_e32 v136, s55, v2
	s_or_b32 exec_lo, exec_lo, s34
	s_and_saveexec_b32 s34, s24
	s_cbranch_execnz .LBB2057_559
.LBB2057_528:                           ;   in Loop: Header=BB2057_392 Depth=2
	s_or_b32 exec_lo, exec_lo, s34
	s_and_saveexec_b32 s34, s25
	s_cbranch_execz .LBB2057_560
.LBB2057_529:                           ;   in Loop: Header=BB2057_392 Depth=2
	ds_load_u16 v2, v79 offset:5120
	s_waitcnt lgkmcnt(0)
	v_cmp_ne_u16_e64 s33, 0x7fff, v2
	s_delay_alu instid0(VALU_DEP_1) | instskip(NEXT) | instid1(VALU_DEP_1)
	v_cndmask_b32_e64 v2, 0xffff8000, v2, s33
	v_and_b32_e32 v2, 0xffff, v2
	s_delay_alu instid0(VALU_DEP_1) | instskip(NEXT) | instid1(VALU_DEP_1)
	v_lshrrev_b32_e32 v2, s48, v2
	v_and_b32_e32 v134, s55, v2
	s_or_b32 exec_lo, exec_lo, s34
	s_and_saveexec_b32 s34, s27
	s_cbranch_execnz .LBB2057_561
.LBB2057_530:                           ;   in Loop: Header=BB2057_392 Depth=2
	s_or_b32 exec_lo, exec_lo, s34
	s_and_saveexec_b32 s34, s28
	s_cbranch_execz .LBB2057_562
.LBB2057_531:                           ;   in Loop: Header=BB2057_392 Depth=2
	ds_load_u16 v2, v79 offset:6144
	s_waitcnt lgkmcnt(0)
	v_cmp_ne_u16_e64 s33, 0x7fff, v2
	s_delay_alu instid0(VALU_DEP_1) | instskip(NEXT) | instid1(VALU_DEP_1)
	v_cndmask_b32_e64 v2, 0xffff8000, v2, s33
	v_and_b32_e32 v2, 0xffff, v2
	s_delay_alu instid0(VALU_DEP_1) | instskip(NEXT) | instid1(VALU_DEP_1)
	v_lshrrev_b32_e32 v2, s48, v2
	v_and_b32_e32 v132, s55, v2
	s_or_b32 exec_lo, exec_lo, s34
	s_and_saveexec_b32 s34, s29
	s_cbranch_execnz .LBB2057_563
.LBB2057_532:                           ;   in Loop: Header=BB2057_392 Depth=2
	s_or_b32 exec_lo, exec_lo, s34
	s_and_saveexec_b32 s34, s30
	s_cbranch_execz .LBB2057_564
.LBB2057_533:                           ;   in Loop: Header=BB2057_392 Depth=2
	ds_load_u16 v2, v79 offset:7168
	s_waitcnt lgkmcnt(0)
	v_cmp_ne_u16_e64 s33, 0x7fff, v2
	s_delay_alu instid0(VALU_DEP_1) | instskip(NEXT) | instid1(VALU_DEP_1)
	v_cndmask_b32_e64 v2, 0xffff8000, v2, s33
	v_and_b32_e32 v2, 0xffff, v2
	s_delay_alu instid0(VALU_DEP_1) | instskip(NEXT) | instid1(VALU_DEP_1)
	v_lshrrev_b32_e32 v2, s48, v2
	v_and_b32_e32 v130, s55, v2
	s_or_b32 exec_lo, exec_lo, s34
	s_and_saveexec_b32 s34, s31
	s_cbranch_execnz .LBB2057_565
	s_branch .LBB2057_566
.LBB2057_534:                           ;   in Loop: Header=BB2057_392 Depth=2
	s_or_b32 exec_lo, exec_lo, s33
	s_delay_alu instid0(SALU_CYCLE_1)
	s_mov_b32 s34, exec_lo
	v_cmpx_lt_u32_e64 v109, v145
	s_cbranch_execz .LBB2057_504
.LBB2057_535:                           ;   in Loop: Header=BB2057_392 Depth=2
	global_load_b64 v[32:33], v[36:37], off offset:256
	s_or_b32 exec_lo, exec_lo, s34
	s_delay_alu instid0(SALU_CYCLE_1)
	s_mov_b32 s34, exec_lo
	v_cmpx_lt_u32_e64 v110, v145
	s_cbranch_execnz .LBB2057_505
.LBB2057_536:                           ;   in Loop: Header=BB2057_392 Depth=2
	s_or_b32 exec_lo, exec_lo, s34
	s_delay_alu instid0(SALU_CYCLE_1)
	s_mov_b32 s34, exec_lo
	v_cmpx_lt_u32_e64 v111, v145
	s_cbranch_execz .LBB2057_506
.LBB2057_537:                           ;   in Loop: Header=BB2057_392 Depth=2
	global_load_b64 v[28:29], v[36:37], off offset:768
	s_or_b32 exec_lo, exec_lo, s34
	s_delay_alu instid0(SALU_CYCLE_1)
	s_mov_b32 s34, exec_lo
	v_cmpx_lt_u32_e64 v112, v145
	s_cbranch_execnz .LBB2057_507
.LBB2057_538:                           ;   in Loop: Header=BB2057_392 Depth=2
	s_or_b32 exec_lo, exec_lo, s34
	s_delay_alu instid0(SALU_CYCLE_1)
	s_mov_b32 s34, exec_lo
	v_cmpx_lt_u32_e64 v113, v145
	s_cbranch_execz .LBB2057_508
.LBB2057_539:                           ;   in Loop: Header=BB2057_392 Depth=2
	global_load_b64 v[24:25], v[36:37], off offset:1280
	s_or_b32 exec_lo, exec_lo, s34
	s_delay_alu instid0(SALU_CYCLE_1)
	s_mov_b32 s34, exec_lo
	v_cmpx_lt_u32_e64 v114, v145
	s_cbranch_execnz .LBB2057_509
.LBB2057_540:                           ;   in Loop: Header=BB2057_392 Depth=2
	s_or_b32 exec_lo, exec_lo, s34
	s_delay_alu instid0(SALU_CYCLE_1)
	s_mov_b32 s34, exec_lo
	v_cmpx_lt_u32_e64 v115, v145
	s_cbranch_execz .LBB2057_510
.LBB2057_541:                           ;   in Loop: Header=BB2057_392 Depth=2
	global_load_b64 v[20:21], v[36:37], off offset:1792
	s_or_b32 exec_lo, exec_lo, s34
	s_delay_alu instid0(SALU_CYCLE_1)
	s_mov_b32 s34, exec_lo
	v_cmpx_lt_u32_e64 v116, v145
	s_cbranch_execnz .LBB2057_511
.LBB2057_542:                           ;   in Loop: Header=BB2057_392 Depth=2
	s_or_b32 exec_lo, exec_lo, s34
	s_delay_alu instid0(SALU_CYCLE_1)
	s_mov_b32 s34, exec_lo
	v_cmpx_lt_u32_e64 v117, v145
	s_cbranch_execz .LBB2057_512
.LBB2057_543:                           ;   in Loop: Header=BB2057_392 Depth=2
	global_load_b64 v[16:17], v[36:37], off offset:2304
	s_or_b32 exec_lo, exec_lo, s34
	s_delay_alu instid0(SALU_CYCLE_1)
	s_mov_b32 s34, exec_lo
	v_cmpx_lt_u32_e64 v118, v145
	s_cbranch_execnz .LBB2057_513
.LBB2057_544:                           ;   in Loop: Header=BB2057_392 Depth=2
	s_or_b32 exec_lo, exec_lo, s34
	s_delay_alu instid0(SALU_CYCLE_1)
	s_mov_b32 s34, exec_lo
	v_cmpx_lt_u32_e64 v119, v145
	s_cbranch_execz .LBB2057_514
.LBB2057_545:                           ;   in Loop: Header=BB2057_392 Depth=2
	global_load_b64 v[12:13], v[36:37], off offset:2816
	s_or_b32 exec_lo, exec_lo, s34
	s_delay_alu instid0(SALU_CYCLE_1)
	s_mov_b32 s34, exec_lo
	v_cmpx_lt_u32_e64 v120, v145
	s_cbranch_execnz .LBB2057_515
.LBB2057_546:                           ;   in Loop: Header=BB2057_392 Depth=2
	s_or_b32 exec_lo, exec_lo, s34
	s_delay_alu instid0(SALU_CYCLE_1)
	s_mov_b32 s34, exec_lo
	v_cmpx_lt_u32_e64 v121, v145
	s_cbranch_execz .LBB2057_516
.LBB2057_547:                           ;   in Loop: Header=BB2057_392 Depth=2
	global_load_b64 v[8:9], v[36:37], off offset:3328
	s_or_b32 exec_lo, exec_lo, s34
	s_delay_alu instid0(SALU_CYCLE_1)
	s_mov_b32 s34, exec_lo
	v_cmpx_lt_u32_e64 v122, v145
	s_cbranch_execnz .LBB2057_517
.LBB2057_548:                           ;   in Loop: Header=BB2057_392 Depth=2
	s_or_b32 exec_lo, exec_lo, s34
	s_delay_alu instid0(SALU_CYCLE_1)
	s_mov_b32 s34, exec_lo
	v_cmpx_lt_u32_e64 v123, v145
	s_cbranch_execz .LBB2057_518
.LBB2057_549:                           ;   in Loop: Header=BB2057_392 Depth=2
	global_load_b64 v[4:5], v[36:37], off offset:3840
	s_or_b32 exec_lo, exec_lo, s34
	s_and_saveexec_b32 s34, vcc_lo
	s_cbranch_execnz .LBB2057_519
.LBB2057_550:                           ;   in Loop: Header=BB2057_392 Depth=2
	s_or_b32 exec_lo, exec_lo, s34
	s_and_saveexec_b32 s34, s16
	s_cbranch_execz .LBB2057_520
.LBB2057_551:                           ;   in Loop: Header=BB2057_392 Depth=2
	ds_load_u16 v2, v79 offset:512
	s_waitcnt lgkmcnt(0)
	v_cmp_ne_u16_e64 s33, 0x7fff, v2
	s_delay_alu instid0(VALU_DEP_1) | instskip(NEXT) | instid1(VALU_DEP_1)
	v_cndmask_b32_e64 v2, 0xffff8000, v2, s33
	v_and_b32_e32 v2, 0xffff, v2
	s_delay_alu instid0(VALU_DEP_1) | instskip(NEXT) | instid1(VALU_DEP_1)
	v_lshrrev_b32_e32 v2, s48, v2
	v_and_b32_e32 v143, s55, v2
	s_or_b32 exec_lo, exec_lo, s34
	s_and_saveexec_b32 s34, s17
	s_cbranch_execnz .LBB2057_521
.LBB2057_552:                           ;   in Loop: Header=BB2057_392 Depth=2
	s_or_b32 exec_lo, exec_lo, s34
	s_and_saveexec_b32 s34, s18
	s_cbranch_execz .LBB2057_522
.LBB2057_553:                           ;   in Loop: Header=BB2057_392 Depth=2
	ds_load_u16 v2, v79 offset:1536
	s_waitcnt lgkmcnt(0)
	v_cmp_ne_u16_e64 s33, 0x7fff, v2
	s_delay_alu instid0(VALU_DEP_1) | instskip(NEXT) | instid1(VALU_DEP_1)
	v_cndmask_b32_e64 v2, 0xffff8000, v2, s33
	v_and_b32_e32 v2, 0xffff, v2
	s_delay_alu instid0(VALU_DEP_1) | instskip(NEXT) | instid1(VALU_DEP_1)
	v_lshrrev_b32_e32 v2, s48, v2
	v_and_b32_e32 v141, s55, v2
	s_or_b32 exec_lo, exec_lo, s34
	s_and_saveexec_b32 s34, s19
	s_cbranch_execnz .LBB2057_523
.LBB2057_554:                           ;   in Loop: Header=BB2057_392 Depth=2
	s_or_b32 exec_lo, exec_lo, s34
	s_and_saveexec_b32 s34, s20
	s_cbranch_execz .LBB2057_524
.LBB2057_555:                           ;   in Loop: Header=BB2057_392 Depth=2
	ds_load_u16 v2, v79 offset:2560
	s_waitcnt lgkmcnt(0)
	v_cmp_ne_u16_e64 s33, 0x7fff, v2
	s_delay_alu instid0(VALU_DEP_1) | instskip(NEXT) | instid1(VALU_DEP_1)
	v_cndmask_b32_e64 v2, 0xffff8000, v2, s33
	v_and_b32_e32 v2, 0xffff, v2
	s_delay_alu instid0(VALU_DEP_1) | instskip(NEXT) | instid1(VALU_DEP_1)
	v_lshrrev_b32_e32 v2, s48, v2
	v_and_b32_e32 v139, s55, v2
	s_or_b32 exec_lo, exec_lo, s34
	s_and_saveexec_b32 s34, s21
	s_cbranch_execnz .LBB2057_525
.LBB2057_556:                           ;   in Loop: Header=BB2057_392 Depth=2
	s_or_b32 exec_lo, exec_lo, s34
	s_and_saveexec_b32 s34, s22
	s_cbranch_execz .LBB2057_526
.LBB2057_557:                           ;   in Loop: Header=BB2057_392 Depth=2
	ds_load_u16 v2, v79 offset:3584
	s_waitcnt lgkmcnt(0)
	v_cmp_ne_u16_e64 s33, 0x7fff, v2
	s_delay_alu instid0(VALU_DEP_1) | instskip(NEXT) | instid1(VALU_DEP_1)
	v_cndmask_b32_e64 v2, 0xffff8000, v2, s33
	v_and_b32_e32 v2, 0xffff, v2
	s_delay_alu instid0(VALU_DEP_1) | instskip(NEXT) | instid1(VALU_DEP_1)
	v_lshrrev_b32_e32 v2, s48, v2
	v_and_b32_e32 v137, s55, v2
	s_or_b32 exec_lo, exec_lo, s34
	s_and_saveexec_b32 s34, s23
	s_cbranch_execnz .LBB2057_527
.LBB2057_558:                           ;   in Loop: Header=BB2057_392 Depth=2
	s_or_b32 exec_lo, exec_lo, s34
	s_and_saveexec_b32 s34, s24
	s_cbranch_execz .LBB2057_528
.LBB2057_559:                           ;   in Loop: Header=BB2057_392 Depth=2
	ds_load_u16 v2, v79 offset:4608
	s_waitcnt lgkmcnt(0)
	v_cmp_ne_u16_e64 s33, 0x7fff, v2
	s_delay_alu instid0(VALU_DEP_1) | instskip(NEXT) | instid1(VALU_DEP_1)
	v_cndmask_b32_e64 v2, 0xffff8000, v2, s33
	v_and_b32_e32 v2, 0xffff, v2
	s_delay_alu instid0(VALU_DEP_1) | instskip(NEXT) | instid1(VALU_DEP_1)
	v_lshrrev_b32_e32 v2, s48, v2
	v_and_b32_e32 v135, s55, v2
	s_or_b32 exec_lo, exec_lo, s34
	s_and_saveexec_b32 s34, s25
	s_cbranch_execnz .LBB2057_529
.LBB2057_560:                           ;   in Loop: Header=BB2057_392 Depth=2
	s_or_b32 exec_lo, exec_lo, s34
	s_and_saveexec_b32 s34, s27
	s_cbranch_execz .LBB2057_530
.LBB2057_561:                           ;   in Loop: Header=BB2057_392 Depth=2
	ds_load_u16 v2, v79 offset:5632
	s_waitcnt lgkmcnt(0)
	v_cmp_ne_u16_e64 s33, 0x7fff, v2
	s_delay_alu instid0(VALU_DEP_1) | instskip(NEXT) | instid1(VALU_DEP_1)
	v_cndmask_b32_e64 v2, 0xffff8000, v2, s33
	v_and_b32_e32 v2, 0xffff, v2
	s_delay_alu instid0(VALU_DEP_1) | instskip(NEXT) | instid1(VALU_DEP_1)
	v_lshrrev_b32_e32 v2, s48, v2
	v_and_b32_e32 v133, s55, v2
	s_or_b32 exec_lo, exec_lo, s34
	s_and_saveexec_b32 s34, s28
	s_cbranch_execnz .LBB2057_531
.LBB2057_562:                           ;   in Loop: Header=BB2057_392 Depth=2
	s_or_b32 exec_lo, exec_lo, s34
	s_and_saveexec_b32 s34, s29
	s_cbranch_execz .LBB2057_532
.LBB2057_563:                           ;   in Loop: Header=BB2057_392 Depth=2
	ds_load_u16 v2, v79 offset:6656
	s_waitcnt lgkmcnt(0)
	v_cmp_ne_u16_e64 s33, 0x7fff, v2
	s_delay_alu instid0(VALU_DEP_1) | instskip(NEXT) | instid1(VALU_DEP_1)
	v_cndmask_b32_e64 v2, 0xffff8000, v2, s33
	v_and_b32_e32 v2, 0xffff, v2
	s_delay_alu instid0(VALU_DEP_1) | instskip(NEXT) | instid1(VALU_DEP_1)
	v_lshrrev_b32_e32 v2, s48, v2
	v_and_b32_e32 v131, s55, v2
	s_or_b32 exec_lo, exec_lo, s34
	s_and_saveexec_b32 s34, s30
	s_cbranch_execnz .LBB2057_533
.LBB2057_564:                           ;   in Loop: Header=BB2057_392 Depth=2
	s_or_b32 exec_lo, exec_lo, s34
	s_and_saveexec_b32 s34, s31
	s_cbranch_execz .LBB2057_566
.LBB2057_565:                           ;   in Loop: Header=BB2057_392 Depth=2
	ds_load_u16 v2, v79 offset:7680
	s_waitcnt lgkmcnt(0)
	v_cmp_ne_u16_e64 s33, 0x7fff, v2
	s_delay_alu instid0(VALU_DEP_1) | instskip(NEXT) | instid1(VALU_DEP_1)
	v_cndmask_b32_e64 v2, 0xffff8000, v2, s33
	v_and_b32_e32 v2, 0xffff, v2
	s_delay_alu instid0(VALU_DEP_1) | instskip(NEXT) | instid1(VALU_DEP_1)
	v_lshrrev_b32_e32 v2, s48, v2
	v_and_b32_e32 v129, s55, v2
.LBB2057_566:                           ;   in Loop: Header=BB2057_392 Depth=2
	s_or_b32 exec_lo, exec_lo, s34
	v_lshlrev_b32_e32 v2, 3, v168
	v_lshlrev_b32_e32 v36, 3, v164
	s_waitcnt vmcnt(0)
	s_waitcnt_vscnt null, 0x0
	s_barrier
	buffer_gl0_inv
	ds_store_b64 v2, v[34:35] offset:1024
	v_lshlrev_b32_e32 v2, 3, v160
	v_lshlrev_b32_e32 v37, 3, v156
	;; [unrolled: 1-line block ×4, first 2 shown]
	ds_store_b64 v36, v[32:33] offset:1024
	ds_store_b64 v2, v[30:31] offset:1024
	;; [unrolled: 1-line block ×5, first 2 shown]
	v_lshlrev_b32_e32 v2, 3, v152
	v_lshlrev_b32_e32 v36, 3, v151
	;; [unrolled: 1-line block ×5, first 2 shown]
	ds_store_b64 v2, v[22:23] offset:1024
	ds_store_b64 v36, v[20:21] offset:1024
	;; [unrolled: 1-line block ×5, first 2 shown]
	v_lshlrev_b32_e32 v2, 3, v40
	v_lshlrev_b32_e32 v36, 3, v39
	;; [unrolled: 1-line block ×5, first 2 shown]
	ds_store_b64 v2, v[12:13] offset:1024
	ds_store_b64 v36, v[10:11] offset:1024
	;; [unrolled: 1-line block ×5, first 2 shown]
	s_waitcnt lgkmcnt(0)
	s_barrier
	buffer_gl0_inv
	s_and_saveexec_b32 s33, vcc_lo
	s_cbranch_execz .LBB2057_582
; %bb.567:                              ;   in Loop: Header=BB2057_392 Depth=2
	v_lshlrev_b32_e32 v2, 2, v144
	ds_load_b32 v2, v2
	ds_load_b64 v[36:37], v80 offset:1024
	s_waitcnt lgkmcnt(1)
	v_add_nc_u32_e32 v2, v2, v1
	s_delay_alu instid0(VALU_DEP_1) | instskip(NEXT) | instid1(VALU_DEP_1)
	v_lshlrev_b64 v[39:40], 3, v[2:3]
	v_add_co_u32 v39, vcc_lo, s46, v39
	s_delay_alu instid0(VALU_DEP_2)
	v_add_co_ci_u32_e32 v40, vcc_lo, s47, v40, vcc_lo
	s_waitcnt lgkmcnt(0)
	global_store_b64 v[39:40], v[36:37], off
	s_or_b32 exec_lo, exec_lo, s33
	s_and_saveexec_b32 s33, s16
	s_cbranch_execnz .LBB2057_583
.LBB2057_568:                           ;   in Loop: Header=BB2057_392 Depth=2
	s_or_b32 exec_lo, exec_lo, s33
	s_and_saveexec_b32 s16, s17
	s_cbranch_execz .LBB2057_584
.LBB2057_569:                           ;   in Loop: Header=BB2057_392 Depth=2
	v_lshlrev_b32_e32 v2, 2, v142
	v_add_nc_u32_e32 v36, v79, v81
	ds_load_b32 v2, v2
	ds_load_b64 v[36:37], v36 offset:4096
	s_waitcnt lgkmcnt(1)
	v_add_nc_u32_e32 v2, v2, v46
	s_delay_alu instid0(VALU_DEP_1) | instskip(NEXT) | instid1(VALU_DEP_1)
	v_lshlrev_b64 v[39:40], 3, v[2:3]
	v_add_co_u32 v39, vcc_lo, s46, v39
	s_delay_alu instid0(VALU_DEP_2)
	v_add_co_ci_u32_e32 v40, vcc_lo, s47, v40, vcc_lo
	s_waitcnt lgkmcnt(0)
	global_store_b64 v[39:40], v[36:37], off
	s_or_b32 exec_lo, exec_lo, s16
	s_and_saveexec_b32 s16, s18
	s_cbranch_execnz .LBB2057_585
.LBB2057_570:                           ;   in Loop: Header=BB2057_392 Depth=2
	s_or_b32 exec_lo, exec_lo, s16
	s_and_saveexec_b32 s16, s19
	s_cbranch_execz .LBB2057_586
.LBB2057_571:                           ;   in Loop: Header=BB2057_392 Depth=2
	v_lshlrev_b32_e32 v2, 2, v140
	v_add_nc_u32_e32 v36, v79, v81
	ds_load_b32 v2, v2
	ds_load_b64 v[36:37], v36 offset:8192
	s_waitcnt lgkmcnt(1)
	v_add_nc_u32_e32 v2, v2, v51
	s_delay_alu instid0(VALU_DEP_1) | instskip(NEXT) | instid1(VALU_DEP_1)
	v_lshlrev_b64 v[39:40], 3, v[2:3]
	v_add_co_u32 v39, vcc_lo, s46, v39
	s_delay_alu instid0(VALU_DEP_2)
	v_add_co_ci_u32_e32 v40, vcc_lo, s47, v40, vcc_lo
	s_waitcnt lgkmcnt(0)
	global_store_b64 v[39:40], v[36:37], off
	s_or_b32 exec_lo, exec_lo, s16
	s_and_saveexec_b32 s16, s20
	s_cbranch_execnz .LBB2057_587
.LBB2057_572:                           ;   in Loop: Header=BB2057_392 Depth=2
	s_or_b32 exec_lo, exec_lo, s16
	s_and_saveexec_b32 s16, s21
	s_cbranch_execz .LBB2057_588
.LBB2057_573:                           ;   in Loop: Header=BB2057_392 Depth=2
	v_lshlrev_b32_e32 v2, 2, v138
	v_add_nc_u32_e32 v36, v79, v81
	ds_load_b32 v2, v2
	ds_load_b64 v[36:37], v36 offset:12288
	s_waitcnt lgkmcnt(1)
	v_add_nc_u32_e32 v2, v2, v53
	s_delay_alu instid0(VALU_DEP_1) | instskip(NEXT) | instid1(VALU_DEP_1)
	v_lshlrev_b64 v[39:40], 3, v[2:3]
	v_add_co_u32 v39, vcc_lo, s46, v39
	s_delay_alu instid0(VALU_DEP_2)
	v_add_co_ci_u32_e32 v40, vcc_lo, s47, v40, vcc_lo
	s_waitcnt lgkmcnt(0)
	global_store_b64 v[39:40], v[36:37], off
	s_or_b32 exec_lo, exec_lo, s16
	s_and_saveexec_b32 s16, s22
	s_cbranch_execnz .LBB2057_589
.LBB2057_574:                           ;   in Loop: Header=BB2057_392 Depth=2
	s_or_b32 exec_lo, exec_lo, s16
	s_and_saveexec_b32 s16, s23
	s_cbranch_execz .LBB2057_590
.LBB2057_575:                           ;   in Loop: Header=BB2057_392 Depth=2
	v_lshlrev_b32_e32 v2, 2, v136
	v_add_nc_u32_e32 v36, v79, v81
	ds_load_b32 v2, v2
	ds_load_b64 v[36:37], v36 offset:16384
	s_waitcnt lgkmcnt(1)
	v_add_nc_u32_e32 v2, v2, v55
	s_delay_alu instid0(VALU_DEP_1) | instskip(NEXT) | instid1(VALU_DEP_1)
	v_lshlrev_b64 v[39:40], 3, v[2:3]
	v_add_co_u32 v39, vcc_lo, s46, v39
	s_delay_alu instid0(VALU_DEP_2)
	v_add_co_ci_u32_e32 v40, vcc_lo, s47, v40, vcc_lo
	s_waitcnt lgkmcnt(0)
	global_store_b64 v[39:40], v[36:37], off
	s_or_b32 exec_lo, exec_lo, s16
	s_and_saveexec_b32 s16, s24
	s_cbranch_execnz .LBB2057_591
.LBB2057_576:                           ;   in Loop: Header=BB2057_392 Depth=2
	s_or_b32 exec_lo, exec_lo, s16
	s_and_saveexec_b32 s16, s25
	s_cbranch_execz .LBB2057_592
.LBB2057_577:                           ;   in Loop: Header=BB2057_392 Depth=2
	v_lshlrev_b32_e32 v2, 2, v134
	v_add_nc_u32_e32 v36, v79, v81
	ds_load_b32 v2, v2
	ds_load_b64 v[36:37], v36 offset:20480
	s_waitcnt lgkmcnt(1)
	v_add_nc_u32_e32 v2, v2, v57
	s_delay_alu instid0(VALU_DEP_1) | instskip(NEXT) | instid1(VALU_DEP_1)
	v_lshlrev_b64 v[39:40], 3, v[2:3]
	v_add_co_u32 v39, vcc_lo, s46, v39
	s_delay_alu instid0(VALU_DEP_2)
	v_add_co_ci_u32_e32 v40, vcc_lo, s47, v40, vcc_lo
	s_waitcnt lgkmcnt(0)
	global_store_b64 v[39:40], v[36:37], off
	s_or_b32 exec_lo, exec_lo, s16
	s_and_saveexec_b32 s16, s27
	s_cbranch_execnz .LBB2057_593
.LBB2057_578:                           ;   in Loop: Header=BB2057_392 Depth=2
	s_or_b32 exec_lo, exec_lo, s16
	s_and_saveexec_b32 s16, s28
	s_cbranch_execz .LBB2057_594
.LBB2057_579:                           ;   in Loop: Header=BB2057_392 Depth=2
	v_lshlrev_b32_e32 v2, 2, v132
	v_add_nc_u32_e32 v36, v79, v81
	ds_load_b32 v2, v2
	ds_load_b64 v[36:37], v36 offset:24576
	s_waitcnt lgkmcnt(1)
	v_add_nc_u32_e32 v2, v2, v59
	s_delay_alu instid0(VALU_DEP_1) | instskip(NEXT) | instid1(VALU_DEP_1)
	v_lshlrev_b64 v[39:40], 3, v[2:3]
	v_add_co_u32 v39, vcc_lo, s46, v39
	s_delay_alu instid0(VALU_DEP_2)
	v_add_co_ci_u32_e32 v40, vcc_lo, s47, v40, vcc_lo
	s_waitcnt lgkmcnt(0)
	global_store_b64 v[39:40], v[36:37], off
	s_or_b32 exec_lo, exec_lo, s16
	s_and_saveexec_b32 s16, s29
	s_cbranch_execnz .LBB2057_595
.LBB2057_580:                           ;   in Loop: Header=BB2057_392 Depth=2
	s_or_b32 exec_lo, exec_lo, s16
	s_and_saveexec_b32 s16, s30
	s_cbranch_execz .LBB2057_596
.LBB2057_581:                           ;   in Loop: Header=BB2057_392 Depth=2
	v_lshlrev_b32_e32 v2, 2, v130
	v_add_nc_u32_e32 v36, v79, v81
	ds_load_b32 v2, v2
	ds_load_b64 v[36:37], v36 offset:28672
	s_waitcnt lgkmcnt(1)
	v_add_nc_u32_e32 v2, v2, v61
	s_delay_alu instid0(VALU_DEP_1) | instskip(NEXT) | instid1(VALU_DEP_1)
	v_lshlrev_b64 v[39:40], 3, v[2:3]
	v_add_co_u32 v39, vcc_lo, s46, v39
	s_delay_alu instid0(VALU_DEP_2)
	v_add_co_ci_u32_e32 v40, vcc_lo, s47, v40, vcc_lo
	s_waitcnt lgkmcnt(0)
	global_store_b64 v[39:40], v[36:37], off
	s_or_b32 exec_lo, exec_lo, s16
	s_and_saveexec_b32 s16, s31
	s_cbranch_execnz .LBB2057_597
	s_branch .LBB2057_598
.LBB2057_582:                           ;   in Loop: Header=BB2057_392 Depth=2
	s_or_b32 exec_lo, exec_lo, s33
	s_and_saveexec_b32 s33, s16
	s_cbranch_execz .LBB2057_568
.LBB2057_583:                           ;   in Loop: Header=BB2057_392 Depth=2
	v_lshlrev_b32_e32 v2, 2, v143
	v_add_nc_u32_e32 v36, v79, v81
	ds_load_b32 v2, v2
	ds_load_b64 v[36:37], v36 offset:2048
	s_waitcnt lgkmcnt(1)
	v_add_nc_u32_e32 v2, v2, v45
	s_delay_alu instid0(VALU_DEP_1) | instskip(NEXT) | instid1(VALU_DEP_1)
	v_lshlrev_b64 v[39:40], 3, v[2:3]
	v_add_co_u32 v39, vcc_lo, s46, v39
	s_delay_alu instid0(VALU_DEP_2)
	v_add_co_ci_u32_e32 v40, vcc_lo, s47, v40, vcc_lo
	s_waitcnt lgkmcnt(0)
	global_store_b64 v[39:40], v[36:37], off
	s_or_b32 exec_lo, exec_lo, s33
	s_and_saveexec_b32 s16, s17
	s_cbranch_execnz .LBB2057_569
.LBB2057_584:                           ;   in Loop: Header=BB2057_392 Depth=2
	s_or_b32 exec_lo, exec_lo, s16
	s_and_saveexec_b32 s16, s18
	s_cbranch_execz .LBB2057_570
.LBB2057_585:                           ;   in Loop: Header=BB2057_392 Depth=2
	v_lshlrev_b32_e32 v2, 2, v141
	v_add_nc_u32_e32 v36, v79, v81
	ds_load_b32 v2, v2
	ds_load_b64 v[36:37], v36 offset:6144
	s_waitcnt lgkmcnt(1)
	v_add_nc_u32_e32 v2, v2, v47
	s_delay_alu instid0(VALU_DEP_1) | instskip(NEXT) | instid1(VALU_DEP_1)
	v_lshlrev_b64 v[39:40], 3, v[2:3]
	v_add_co_u32 v39, vcc_lo, s46, v39
	s_delay_alu instid0(VALU_DEP_2)
	v_add_co_ci_u32_e32 v40, vcc_lo, s47, v40, vcc_lo
	s_waitcnt lgkmcnt(0)
	global_store_b64 v[39:40], v[36:37], off
	s_or_b32 exec_lo, exec_lo, s16
	s_and_saveexec_b32 s16, s19
	s_cbranch_execnz .LBB2057_571
.LBB2057_586:                           ;   in Loop: Header=BB2057_392 Depth=2
	s_or_b32 exec_lo, exec_lo, s16
	s_and_saveexec_b32 s16, s20
	s_cbranch_execz .LBB2057_572
.LBB2057_587:                           ;   in Loop: Header=BB2057_392 Depth=2
	v_lshlrev_b32_e32 v2, 2, v139
	v_add_nc_u32_e32 v36, v79, v81
	ds_load_b32 v2, v2
	ds_load_b64 v[36:37], v36 offset:10240
	s_waitcnt lgkmcnt(1)
	v_add_nc_u32_e32 v2, v2, v52
	s_delay_alu instid0(VALU_DEP_1) | instskip(NEXT) | instid1(VALU_DEP_1)
	v_lshlrev_b64 v[39:40], 3, v[2:3]
	v_add_co_u32 v39, vcc_lo, s46, v39
	s_delay_alu instid0(VALU_DEP_2)
	v_add_co_ci_u32_e32 v40, vcc_lo, s47, v40, vcc_lo
	s_waitcnt lgkmcnt(0)
	global_store_b64 v[39:40], v[36:37], off
	s_or_b32 exec_lo, exec_lo, s16
	s_and_saveexec_b32 s16, s21
	s_cbranch_execnz .LBB2057_573
.LBB2057_588:                           ;   in Loop: Header=BB2057_392 Depth=2
	s_or_b32 exec_lo, exec_lo, s16
	s_and_saveexec_b32 s16, s22
	s_cbranch_execz .LBB2057_574
.LBB2057_589:                           ;   in Loop: Header=BB2057_392 Depth=2
	v_lshlrev_b32_e32 v2, 2, v137
	v_add_nc_u32_e32 v36, v79, v81
	ds_load_b32 v2, v2
	ds_load_b64 v[36:37], v36 offset:14336
	s_waitcnt lgkmcnt(1)
	v_add_nc_u32_e32 v2, v2, v54
	s_delay_alu instid0(VALU_DEP_1) | instskip(NEXT) | instid1(VALU_DEP_1)
	v_lshlrev_b64 v[39:40], 3, v[2:3]
	v_add_co_u32 v39, vcc_lo, s46, v39
	s_delay_alu instid0(VALU_DEP_2)
	v_add_co_ci_u32_e32 v40, vcc_lo, s47, v40, vcc_lo
	s_waitcnt lgkmcnt(0)
	global_store_b64 v[39:40], v[36:37], off
	s_or_b32 exec_lo, exec_lo, s16
	s_and_saveexec_b32 s16, s23
	s_cbranch_execnz .LBB2057_575
.LBB2057_590:                           ;   in Loop: Header=BB2057_392 Depth=2
	s_or_b32 exec_lo, exec_lo, s16
	s_and_saveexec_b32 s16, s24
	s_cbranch_execz .LBB2057_576
.LBB2057_591:                           ;   in Loop: Header=BB2057_392 Depth=2
	v_lshlrev_b32_e32 v2, 2, v135
	v_add_nc_u32_e32 v36, v79, v81
	ds_load_b32 v2, v2
	ds_load_b64 v[36:37], v36 offset:18432
	s_waitcnt lgkmcnt(1)
	v_add_nc_u32_e32 v2, v2, v56
	s_delay_alu instid0(VALU_DEP_1) | instskip(NEXT) | instid1(VALU_DEP_1)
	v_lshlrev_b64 v[39:40], 3, v[2:3]
	v_add_co_u32 v39, vcc_lo, s46, v39
	s_delay_alu instid0(VALU_DEP_2)
	v_add_co_ci_u32_e32 v40, vcc_lo, s47, v40, vcc_lo
	s_waitcnt lgkmcnt(0)
	global_store_b64 v[39:40], v[36:37], off
	s_or_b32 exec_lo, exec_lo, s16
	s_and_saveexec_b32 s16, s25
	s_cbranch_execnz .LBB2057_577
.LBB2057_592:                           ;   in Loop: Header=BB2057_392 Depth=2
	s_or_b32 exec_lo, exec_lo, s16
	s_and_saveexec_b32 s16, s27
	s_cbranch_execz .LBB2057_578
.LBB2057_593:                           ;   in Loop: Header=BB2057_392 Depth=2
	v_lshlrev_b32_e32 v2, 2, v133
	v_add_nc_u32_e32 v36, v79, v81
	ds_load_b32 v2, v2
	ds_load_b64 v[36:37], v36 offset:22528
	s_waitcnt lgkmcnt(1)
	v_add_nc_u32_e32 v2, v2, v58
	s_delay_alu instid0(VALU_DEP_1) | instskip(NEXT) | instid1(VALU_DEP_1)
	v_lshlrev_b64 v[39:40], 3, v[2:3]
	v_add_co_u32 v39, vcc_lo, s46, v39
	s_delay_alu instid0(VALU_DEP_2)
	v_add_co_ci_u32_e32 v40, vcc_lo, s47, v40, vcc_lo
	s_waitcnt lgkmcnt(0)
	global_store_b64 v[39:40], v[36:37], off
	s_or_b32 exec_lo, exec_lo, s16
	s_and_saveexec_b32 s16, s28
	s_cbranch_execnz .LBB2057_579
.LBB2057_594:                           ;   in Loop: Header=BB2057_392 Depth=2
	s_or_b32 exec_lo, exec_lo, s16
	s_and_saveexec_b32 s16, s29
	s_cbranch_execz .LBB2057_580
.LBB2057_595:                           ;   in Loop: Header=BB2057_392 Depth=2
	v_lshlrev_b32_e32 v2, 2, v131
	v_add_nc_u32_e32 v36, v79, v81
	ds_load_b32 v2, v2
	ds_load_b64 v[36:37], v36 offset:26624
	s_waitcnt lgkmcnt(1)
	v_add_nc_u32_e32 v2, v2, v60
	s_delay_alu instid0(VALU_DEP_1) | instskip(NEXT) | instid1(VALU_DEP_1)
	v_lshlrev_b64 v[39:40], 3, v[2:3]
	v_add_co_u32 v39, vcc_lo, s46, v39
	s_delay_alu instid0(VALU_DEP_2)
	v_add_co_ci_u32_e32 v40, vcc_lo, s47, v40, vcc_lo
	s_waitcnt lgkmcnt(0)
	global_store_b64 v[39:40], v[36:37], off
	s_or_b32 exec_lo, exec_lo, s16
	s_and_saveexec_b32 s16, s30
	s_cbranch_execnz .LBB2057_581
.LBB2057_596:                           ;   in Loop: Header=BB2057_392 Depth=2
	s_or_b32 exec_lo, exec_lo, s16
	s_and_saveexec_b32 s16, s31
	s_cbranch_execz .LBB2057_598
.LBB2057_597:                           ;   in Loop: Header=BB2057_392 Depth=2
	v_lshlrev_b32_e32 v2, 2, v129
	v_add_nc_u32_e32 v36, v79, v81
	ds_load_b32 v2, v2
	ds_load_b64 v[36:37], v36 offset:30720
	s_waitcnt lgkmcnt(1)
	v_add_nc_u32_e32 v2, v2, v63
	s_delay_alu instid0(VALU_DEP_1) | instskip(NEXT) | instid1(VALU_DEP_1)
	v_lshlrev_b64 v[39:40], 3, v[2:3]
	v_add_co_u32 v39, vcc_lo, s46, v39
	s_delay_alu instid0(VALU_DEP_2)
	v_add_co_ci_u32_e32 v40, vcc_lo, s47, v40, vcc_lo
	s_waitcnt lgkmcnt(0)
	global_store_b64 v[39:40], v[36:37], off
.LBB2057_598:                           ;   in Loop: Header=BB2057_392 Depth=2
	s_or_b32 exec_lo, exec_lo, s16
	s_waitcnt_vscnt null, 0x0
	s_barrier
	buffer_gl0_inv
	s_and_saveexec_b32 s16, s2
	s_cbranch_execz .LBB2057_391
; %bb.599:                              ;   in Loop: Header=BB2057_392 Depth=2
	ds_load_b32 v2, v44
	s_waitcnt lgkmcnt(0)
	v_add_nc_u32_e32 v2, v2, v38
	ds_store_b32 v44, v2
	s_branch .LBB2057_391
.LBB2057_600:                           ;   in Loop: Header=BB2057_12 Depth=1
	s_waitcnt lgkmcnt(0)
	s_barrier
.LBB2057_601:                           ;   in Loop: Header=BB2057_12 Depth=1
	s_mov_b32 s0, 0
.LBB2057_602:                           ;   in Loop: Header=BB2057_12 Depth=1
	s_delay_alu instid0(SALU_CYCLE_1)
	s_and_not1_b32 vcc_lo, exec_lo, s0
	s_cbranch_vccnz .LBB2057_11
; %bb.603:                              ;   in Loop: Header=BB2057_12 Depth=1
	s_and_b32 vcc_lo, exec_lo, s51
	s_mov_b32 s0, -1
	s_cbranch_vccz .LBB2057_897
; %bb.604:                              ;   in Loop: Header=BB2057_12 Depth=1
	s_mov_b32 s8, s54
	s_mov_b32 s34, s52
	s_barrier
	buffer_gl0_inv
                                        ; implicit-def: $vgpr20
                                        ; implicit-def: $vgpr2
                                        ; implicit-def: $vgpr6
                                        ; implicit-def: $vgpr7
                                        ; implicit-def: $vgpr8
                                        ; implicit-def: $vgpr9
                                        ; implicit-def: $vgpr10
                                        ; implicit-def: $vgpr11
                                        ; implicit-def: $vgpr12
                                        ; implicit-def: $vgpr13
                                        ; implicit-def: $vgpr14
                                        ; implicit-def: $vgpr15
                                        ; implicit-def: $vgpr16
                                        ; implicit-def: $vgpr17
                                        ; implicit-def: $vgpr18
                                        ; implicit-def: $vgpr19
	s_branch .LBB2057_606
.LBB2057_605:                           ;   in Loop: Header=BB2057_606 Depth=2
	s_or_b32 exec_lo, exec_lo, s0
	s_addk_i32 s8, 0xf000
	s_cmp_ge_u32 s9, s53
	s_mov_b32 s34, s9
	s_cbranch_scc1 .LBB2057_676
.LBB2057_606:                           ;   Parent Loop BB2057_12 Depth=1
                                        ; =>  This Inner Loop Header: Depth=2
	s_add_i32 s9, s34, 0x1000
	s_delay_alu instid0(SALU_CYCLE_1)
	s_cmp_gt_u32 s9, s53
	s_cbranch_scc1 .LBB2057_609
; %bb.607:                              ;   in Loop: Header=BB2057_606 Depth=2
	s_mov_b32 s1, 0
	s_mov_b32 s0, s34
	s_delay_alu instid0(SALU_CYCLE_1) | instskip(NEXT) | instid1(SALU_CYCLE_1)
	s_lshl_b64 s[10:11], s[0:1], 1
	v_add_co_u32 v4, vcc_lo, v88, s10
	v_add_co_ci_u32_e32 v5, vcc_lo, s11, v89, vcc_lo
	s_movk_i32 s11, 0x1000
	s_waitcnt vmcnt(0)
	s_delay_alu instid0(VALU_DEP_2) | instskip(NEXT) | instid1(VALU_DEP_2)
	v_add_co_u32 v36, vcc_lo, 0x1000, v4
	v_add_co_ci_u32_e32 v37, vcc_lo, 0, v5, vcc_lo
	s_clause 0xe
	global_load_u16 v22, v[4:5], off
	global_load_u16 v23, v[4:5], off offset:512
	global_load_u16 v24, v[4:5], off offset:1024
	;; [unrolled: 1-line block ×7, first 2 shown]
	global_load_u16 v30, v[36:37], off
	global_load_u16 v31, v[36:37], off offset:512
	global_load_u16 v32, v[36:37], off offset:1024
	;; [unrolled: 1-line block ×6, first 2 shown]
	v_add_co_u32 v4, vcc_lo, 0x1e00, v4
	v_add_co_ci_u32_e32 v5, vcc_lo, 0, v5, vcc_lo
	s_mov_b32 s10, -1
	s_cbranch_execz .LBB2057_610
; %bb.608:                              ;   in Loop: Header=BB2057_606 Depth=2
                                        ; implicit-def: $vgpr19
                                        ; implicit-def: $vgpr18
                                        ; implicit-def: $vgpr17
                                        ; implicit-def: $vgpr16
                                        ; implicit-def: $vgpr15
                                        ; implicit-def: $vgpr14
                                        ; implicit-def: $vgpr13
                                        ; implicit-def: $vgpr12
                                        ; implicit-def: $vgpr11
                                        ; implicit-def: $vgpr10
                                        ; implicit-def: $vgpr9
                                        ; implicit-def: $vgpr8
                                        ; implicit-def: $vgpr7
                                        ; implicit-def: $vgpr6
                                        ; implicit-def: $vgpr2
                                        ; implicit-def: $vgpr20
	v_mov_b32_e32 v21, s8
	s_and_saveexec_b32 s0, s10
	s_cbranch_execnz .LBB2057_629
	s_branch .LBB2057_630
.LBB2057_609:                           ;   in Loop: Header=BB2057_606 Depth=2
	s_mov_b32 s10, 0
                                        ; implicit-def: $sgpr11
                                        ; implicit-def: $vgpr22
                                        ; implicit-def: $vgpr23
                                        ; implicit-def: $vgpr24
                                        ; implicit-def: $vgpr25
                                        ; implicit-def: $vgpr26
                                        ; implicit-def: $vgpr27
                                        ; implicit-def: $vgpr28
                                        ; implicit-def: $vgpr29
                                        ; implicit-def: $vgpr30
                                        ; implicit-def: $vgpr31
                                        ; implicit-def: $vgpr32
                                        ; implicit-def: $vgpr33
                                        ; implicit-def: $vgpr34
                                        ; implicit-def: $vgpr35
                                        ; implicit-def: $vgpr36
                                        ; implicit-def: $vgpr4_vgpr5
.LBB2057_610:                           ;   in Loop: Header=BB2057_606 Depth=2
	s_lshl_b64 s[0:1], s[34:35], 1
	s_mov_b32 s11, exec_lo
	s_add_u32 s0, s36, s0
	s_addc_u32 s1, s37, s1
	v_cmpx_gt_u32_e64 s8, v1
	s_cbranch_execz .LBB2057_662
; %bb.611:                              ;   in Loop: Header=BB2057_606 Depth=2
	global_load_u16 v19, v95, s[0:1]
	s_or_b32 exec_lo, exec_lo, s11
	s_delay_alu instid0(SALU_CYCLE_1)
	s_mov_b32 s11, exec_lo
	v_cmpx_gt_u32_e64 s8, v45
	s_cbranch_execnz .LBB2057_663
.LBB2057_612:                           ;   in Loop: Header=BB2057_606 Depth=2
	s_or_b32 exec_lo, exec_lo, s11
	s_delay_alu instid0(SALU_CYCLE_1)
	s_mov_b32 s11, exec_lo
	v_cmpx_gt_u32_e64 s8, v46
	s_cbranch_execz .LBB2057_664
.LBB2057_613:                           ;   in Loop: Header=BB2057_606 Depth=2
	global_load_u16 v17, v95, s[0:1] offset:1024
	s_or_b32 exec_lo, exec_lo, s11
	s_delay_alu instid0(SALU_CYCLE_1)
	s_mov_b32 s11, exec_lo
	v_cmpx_gt_u32_e64 s8, v47
	s_cbranch_execnz .LBB2057_665
.LBB2057_614:                           ;   in Loop: Header=BB2057_606 Depth=2
	s_or_b32 exec_lo, exec_lo, s11
	s_delay_alu instid0(SALU_CYCLE_1)
	s_mov_b32 s11, exec_lo
	v_cmpx_gt_u32_e64 s8, v51
	s_cbranch_execz .LBB2057_666
.LBB2057_615:                           ;   in Loop: Header=BB2057_606 Depth=2
	global_load_u16 v15, v95, s[0:1] offset:2048
	s_or_b32 exec_lo, exec_lo, s11
	s_delay_alu instid0(SALU_CYCLE_1)
	s_mov_b32 s11, exec_lo
	v_cmpx_gt_u32_e64 s8, v52
	s_cbranch_execnz .LBB2057_667
.LBB2057_616:                           ;   in Loop: Header=BB2057_606 Depth=2
	s_or_b32 exec_lo, exec_lo, s11
	s_delay_alu instid0(SALU_CYCLE_1)
	s_mov_b32 s11, exec_lo
	v_cmpx_gt_u32_e64 s8, v53
	s_cbranch_execz .LBB2057_668
.LBB2057_617:                           ;   in Loop: Header=BB2057_606 Depth=2
	global_load_u16 v13, v95, s[0:1] offset:3072
	s_or_b32 exec_lo, exec_lo, s11
	s_delay_alu instid0(SALU_CYCLE_1)
	s_mov_b32 s11, exec_lo
	v_cmpx_gt_u32_e64 s8, v54
	s_cbranch_execnz .LBB2057_669
.LBB2057_618:                           ;   in Loop: Header=BB2057_606 Depth=2
	s_or_b32 exec_lo, exec_lo, s11
	s_delay_alu instid0(SALU_CYCLE_1)
	s_mov_b32 s11, exec_lo
	v_cmpx_gt_u32_e64 s8, v55
	s_cbranch_execz .LBB2057_670
.LBB2057_619:                           ;   in Loop: Header=BB2057_606 Depth=2
	global_load_u16 v11, v96, s[0:1]
	s_or_b32 exec_lo, exec_lo, s11
	s_delay_alu instid0(SALU_CYCLE_1)
	s_mov_b32 s11, exec_lo
	v_cmpx_gt_u32_e64 s8, v56
	s_cbranch_execnz .LBB2057_671
.LBB2057_620:                           ;   in Loop: Header=BB2057_606 Depth=2
	s_or_b32 exec_lo, exec_lo, s11
	s_delay_alu instid0(SALU_CYCLE_1)
	s_mov_b32 s11, exec_lo
	v_cmpx_gt_u32_e64 s8, v57
	s_cbranch_execz .LBB2057_672
.LBB2057_621:                           ;   in Loop: Header=BB2057_606 Depth=2
	global_load_u16 v9, v98, s[0:1]
	s_or_b32 exec_lo, exec_lo, s11
	s_delay_alu instid0(SALU_CYCLE_1)
	s_mov_b32 s11, exec_lo
	v_cmpx_gt_u32_e64 s8, v58
	s_cbranch_execnz .LBB2057_673
.LBB2057_622:                           ;   in Loop: Header=BB2057_606 Depth=2
	s_or_b32 exec_lo, exec_lo, s11
	s_delay_alu instid0(SALU_CYCLE_1)
	s_mov_b32 s11, exec_lo
	v_cmpx_gt_u32_e64 s8, v59
	s_cbranch_execz .LBB2057_674
.LBB2057_623:                           ;   in Loop: Header=BB2057_606 Depth=2
	global_load_u16 v7, v100, s[0:1]
	s_or_b32 exec_lo, exec_lo, s11
	s_delay_alu instid0(SALU_CYCLE_1)
	s_mov_b32 s11, exec_lo
	v_cmpx_gt_u32_e64 s8, v60
	s_cbranch_execnz .LBB2057_675
.LBB2057_624:                           ;   in Loop: Header=BB2057_606 Depth=2
	s_or_b32 exec_lo, exec_lo, s11
	s_delay_alu instid0(SALU_CYCLE_1)
	s_mov_b32 s11, exec_lo
	v_cmpx_gt_u32_e64 s8, v61
	s_cbranch_execz .LBB2057_626
.LBB2057_625:                           ;   in Loop: Header=BB2057_606 Depth=2
	global_load_u16 v2, v102, s[0:1]
.LBB2057_626:                           ;   in Loop: Header=BB2057_606 Depth=2
	s_or_b32 exec_lo, exec_lo, s11
	s_delay_alu instid0(SALU_CYCLE_1)
	s_mov_b32 s12, exec_lo
                                        ; implicit-def: $sgpr11
                                        ; implicit-def: $vgpr4_vgpr5
	v_cmpx_gt_u32_e64 s8, v63
; %bb.627:                              ;   in Loop: Header=BB2057_606 Depth=2
	v_add_co_u32 v4, s0, s0, v103
	s_delay_alu instid0(VALU_DEP_1)
	v_add_co_ci_u32_e64 v5, null, s1, 0, s0
	s_sub_i32 s11, s53, s34
	s_or_b32 s10, s10, exec_lo
                                        ; implicit-def: $vgpr20
; %bb.628:                              ;   in Loop: Header=BB2057_606 Depth=2
	s_or_b32 exec_lo, exec_lo, s12
	s_waitcnt vmcnt(0)
	v_dual_mov_b32 v22, v19 :: v_dual_mov_b32 v23, v18
	v_dual_mov_b32 v24, v17 :: v_dual_mov_b32 v25, v16
	;; [unrolled: 1-line block ×8, first 2 shown]
	s_and_saveexec_b32 s0, s10
	s_cbranch_execz .LBB2057_630
.LBB2057_629:                           ;   in Loop: Header=BB2057_606 Depth=2
	global_load_u16 v20, v[4:5], off
	s_waitcnt vmcnt(1)
	v_dual_mov_b32 v21, s11 :: v_dual_mov_b32 v2, v36
	v_dual_mov_b32 v6, v35 :: v_dual_mov_b32 v7, v34
	;; [unrolled: 1-line block ×8, first 2 shown]
.LBB2057_630:                           ;   in Loop: Header=BB2057_606 Depth=2
	s_or_b32 exec_lo, exec_lo, s0
	s_delay_alu instid0(SALU_CYCLE_1)
	s_mov_b32 s0, exec_lo
	v_cmpx_lt_u32_e64 v1, v21
	s_cbranch_execz .LBB2057_646
; %bb.631:                              ;   in Loop: Header=BB2057_606 Depth=2
	v_cmp_lt_i16_e32 vcc_lo, -1, v19
	v_lshlrev_b32_e32 v5, 2, v48
	v_cndmask_b32_e64 v4, -1, 0xffff8000, vcc_lo
	s_delay_alu instid0(VALU_DEP_1) | instskip(NEXT) | instid1(VALU_DEP_1)
	v_xor_b32_e32 v4, v4, v19
	v_cmp_ne_u16_e32 vcc_lo, 0x7fff, v4
	v_cndmask_b32_e32 v4, 0xffff8000, v4, vcc_lo
	s_delay_alu instid0(VALU_DEP_1) | instskip(NEXT) | instid1(VALU_DEP_1)
	v_and_b32_e32 v4, 0xffff, v4
	v_lshrrev_b32_e32 v4, s49, v4
	s_delay_alu instid0(VALU_DEP_1) | instskip(NEXT) | instid1(VALU_DEP_1)
	v_and_b32_e32 v4, s55, v4
	v_lshl_or_b32 v4, v4, 4, v5
	ds_add_u32 v4, v94
	s_or_b32 exec_lo, exec_lo, s0
	s_delay_alu instid0(SALU_CYCLE_1)
	s_mov_b32 s0, exec_lo
	v_cmpx_lt_u32_e64 v45, v21
	s_cbranch_execnz .LBB2057_647
.LBB2057_632:                           ;   in Loop: Header=BB2057_606 Depth=2
	s_or_b32 exec_lo, exec_lo, s0
	s_delay_alu instid0(SALU_CYCLE_1)
	s_mov_b32 s0, exec_lo
	v_cmpx_lt_u32_e64 v46, v21
	s_cbranch_execz .LBB2057_648
.LBB2057_633:                           ;   in Loop: Header=BB2057_606 Depth=2
	v_cmp_lt_i16_e32 vcc_lo, -1, v17
	v_lshlrev_b32_e32 v5, 2, v48
	v_cndmask_b32_e64 v4, -1, 0xffff8000, vcc_lo
	s_delay_alu instid0(VALU_DEP_1) | instskip(NEXT) | instid1(VALU_DEP_1)
	v_xor_b32_e32 v4, v4, v17
	v_cmp_ne_u16_e32 vcc_lo, 0x7fff, v4
	v_cndmask_b32_e32 v4, 0xffff8000, v4, vcc_lo
	s_delay_alu instid0(VALU_DEP_1) | instskip(NEXT) | instid1(VALU_DEP_1)
	v_and_b32_e32 v4, 0xffff, v4
	v_lshrrev_b32_e32 v4, s49, v4
	s_delay_alu instid0(VALU_DEP_1) | instskip(NEXT) | instid1(VALU_DEP_1)
	v_and_b32_e32 v4, s55, v4
	v_lshl_or_b32 v4, v4, 4, v5
	ds_add_u32 v4, v94
	s_or_b32 exec_lo, exec_lo, s0
	s_delay_alu instid0(SALU_CYCLE_1)
	s_mov_b32 s0, exec_lo
	v_cmpx_lt_u32_e64 v47, v21
	s_cbranch_execnz .LBB2057_649
.LBB2057_634:                           ;   in Loop: Header=BB2057_606 Depth=2
	s_or_b32 exec_lo, exec_lo, s0
	s_delay_alu instid0(SALU_CYCLE_1)
	s_mov_b32 s0, exec_lo
	v_cmpx_lt_u32_e64 v51, v21
	s_cbranch_execz .LBB2057_650
.LBB2057_635:                           ;   in Loop: Header=BB2057_606 Depth=2
	v_cmp_lt_i16_e32 vcc_lo, -1, v15
	v_lshlrev_b32_e32 v5, 2, v48
	v_cndmask_b32_e64 v4, -1, 0xffff8000, vcc_lo
	s_delay_alu instid0(VALU_DEP_1) | instskip(NEXT) | instid1(VALU_DEP_1)
	v_xor_b32_e32 v4, v4, v15
	v_cmp_ne_u16_e32 vcc_lo, 0x7fff, v4
	v_cndmask_b32_e32 v4, 0xffff8000, v4, vcc_lo
	s_delay_alu instid0(VALU_DEP_1) | instskip(NEXT) | instid1(VALU_DEP_1)
	v_and_b32_e32 v4, 0xffff, v4
	v_lshrrev_b32_e32 v4, s49, v4
	s_delay_alu instid0(VALU_DEP_1) | instskip(NEXT) | instid1(VALU_DEP_1)
	v_and_b32_e32 v4, s55, v4
	v_lshl_or_b32 v4, v4, 4, v5
	ds_add_u32 v4, v94
	s_or_b32 exec_lo, exec_lo, s0
	s_delay_alu instid0(SALU_CYCLE_1)
	s_mov_b32 s0, exec_lo
	v_cmpx_lt_u32_e64 v52, v21
	s_cbranch_execnz .LBB2057_651
.LBB2057_636:                           ;   in Loop: Header=BB2057_606 Depth=2
	s_or_b32 exec_lo, exec_lo, s0
	s_delay_alu instid0(SALU_CYCLE_1)
	s_mov_b32 s0, exec_lo
	v_cmpx_lt_u32_e64 v53, v21
	s_cbranch_execz .LBB2057_652
.LBB2057_637:                           ;   in Loop: Header=BB2057_606 Depth=2
	v_cmp_lt_i16_e32 vcc_lo, -1, v13
	v_lshlrev_b32_e32 v5, 2, v48
	v_cndmask_b32_e64 v4, -1, 0xffff8000, vcc_lo
	s_delay_alu instid0(VALU_DEP_1) | instskip(NEXT) | instid1(VALU_DEP_1)
	v_xor_b32_e32 v4, v4, v13
	v_cmp_ne_u16_e32 vcc_lo, 0x7fff, v4
	v_cndmask_b32_e32 v4, 0xffff8000, v4, vcc_lo
	s_delay_alu instid0(VALU_DEP_1) | instskip(NEXT) | instid1(VALU_DEP_1)
	v_and_b32_e32 v4, 0xffff, v4
	v_lshrrev_b32_e32 v4, s49, v4
	s_delay_alu instid0(VALU_DEP_1) | instskip(NEXT) | instid1(VALU_DEP_1)
	v_and_b32_e32 v4, s55, v4
	v_lshl_or_b32 v4, v4, 4, v5
	ds_add_u32 v4, v94
	s_or_b32 exec_lo, exec_lo, s0
	s_delay_alu instid0(SALU_CYCLE_1)
	s_mov_b32 s0, exec_lo
	v_cmpx_lt_u32_e64 v54, v21
	s_cbranch_execnz .LBB2057_653
.LBB2057_638:                           ;   in Loop: Header=BB2057_606 Depth=2
	s_or_b32 exec_lo, exec_lo, s0
	s_delay_alu instid0(SALU_CYCLE_1)
	s_mov_b32 s0, exec_lo
	v_cmpx_lt_u32_e64 v55, v21
	s_cbranch_execz .LBB2057_654
.LBB2057_639:                           ;   in Loop: Header=BB2057_606 Depth=2
	v_cmp_lt_i16_e32 vcc_lo, -1, v11
	v_lshlrev_b32_e32 v5, 2, v48
	v_cndmask_b32_e64 v4, -1, 0xffff8000, vcc_lo
	s_delay_alu instid0(VALU_DEP_1) | instskip(NEXT) | instid1(VALU_DEP_1)
	v_xor_b32_e32 v4, v4, v11
	v_cmp_ne_u16_e32 vcc_lo, 0x7fff, v4
	v_cndmask_b32_e32 v4, 0xffff8000, v4, vcc_lo
	s_delay_alu instid0(VALU_DEP_1) | instskip(NEXT) | instid1(VALU_DEP_1)
	v_and_b32_e32 v4, 0xffff, v4
	v_lshrrev_b32_e32 v4, s49, v4
	s_delay_alu instid0(VALU_DEP_1) | instskip(NEXT) | instid1(VALU_DEP_1)
	v_and_b32_e32 v4, s55, v4
	v_lshl_or_b32 v4, v4, 4, v5
	ds_add_u32 v4, v94
	s_or_b32 exec_lo, exec_lo, s0
	s_delay_alu instid0(SALU_CYCLE_1)
	s_mov_b32 s0, exec_lo
	v_cmpx_lt_u32_e64 v56, v21
	s_cbranch_execnz .LBB2057_655
.LBB2057_640:                           ;   in Loop: Header=BB2057_606 Depth=2
	s_or_b32 exec_lo, exec_lo, s0
	s_delay_alu instid0(SALU_CYCLE_1)
	s_mov_b32 s0, exec_lo
	v_cmpx_lt_u32_e64 v57, v21
	s_cbranch_execz .LBB2057_656
.LBB2057_641:                           ;   in Loop: Header=BB2057_606 Depth=2
	v_cmp_lt_i16_e32 vcc_lo, -1, v9
	v_lshlrev_b32_e32 v5, 2, v48
	v_cndmask_b32_e64 v4, -1, 0xffff8000, vcc_lo
	s_delay_alu instid0(VALU_DEP_1) | instskip(NEXT) | instid1(VALU_DEP_1)
	v_xor_b32_e32 v4, v4, v9
	v_cmp_ne_u16_e32 vcc_lo, 0x7fff, v4
	v_cndmask_b32_e32 v4, 0xffff8000, v4, vcc_lo
	s_delay_alu instid0(VALU_DEP_1) | instskip(NEXT) | instid1(VALU_DEP_1)
	v_and_b32_e32 v4, 0xffff, v4
	v_lshrrev_b32_e32 v4, s49, v4
	s_delay_alu instid0(VALU_DEP_1) | instskip(NEXT) | instid1(VALU_DEP_1)
	v_and_b32_e32 v4, s55, v4
	v_lshl_or_b32 v4, v4, 4, v5
	ds_add_u32 v4, v94
	s_or_b32 exec_lo, exec_lo, s0
	s_delay_alu instid0(SALU_CYCLE_1)
	s_mov_b32 s0, exec_lo
	v_cmpx_lt_u32_e64 v58, v21
	s_cbranch_execnz .LBB2057_657
.LBB2057_642:                           ;   in Loop: Header=BB2057_606 Depth=2
	s_or_b32 exec_lo, exec_lo, s0
	s_delay_alu instid0(SALU_CYCLE_1)
	s_mov_b32 s0, exec_lo
	v_cmpx_lt_u32_e64 v59, v21
	s_cbranch_execz .LBB2057_658
.LBB2057_643:                           ;   in Loop: Header=BB2057_606 Depth=2
	v_cmp_lt_i16_e32 vcc_lo, -1, v7
	v_lshlrev_b32_e32 v5, 2, v48
	v_cndmask_b32_e64 v4, -1, 0xffff8000, vcc_lo
	s_delay_alu instid0(VALU_DEP_1) | instskip(NEXT) | instid1(VALU_DEP_1)
	v_xor_b32_e32 v4, v4, v7
	v_cmp_ne_u16_e32 vcc_lo, 0x7fff, v4
	v_cndmask_b32_e32 v4, 0xffff8000, v4, vcc_lo
	s_delay_alu instid0(VALU_DEP_1) | instskip(NEXT) | instid1(VALU_DEP_1)
	v_and_b32_e32 v4, 0xffff, v4
	v_lshrrev_b32_e32 v4, s49, v4
	s_delay_alu instid0(VALU_DEP_1) | instskip(NEXT) | instid1(VALU_DEP_1)
	v_and_b32_e32 v4, s55, v4
	v_lshl_or_b32 v4, v4, 4, v5
	ds_add_u32 v4, v94
	s_or_b32 exec_lo, exec_lo, s0
	s_delay_alu instid0(SALU_CYCLE_1)
	s_mov_b32 s0, exec_lo
	v_cmpx_lt_u32_e64 v60, v21
	s_cbranch_execnz .LBB2057_659
.LBB2057_644:                           ;   in Loop: Header=BB2057_606 Depth=2
	s_or_b32 exec_lo, exec_lo, s0
	s_delay_alu instid0(SALU_CYCLE_1)
	s_mov_b32 s0, exec_lo
	v_cmpx_lt_u32_e64 v61, v21
	s_cbranch_execz .LBB2057_660
.LBB2057_645:                           ;   in Loop: Header=BB2057_606 Depth=2
	v_cmp_lt_i16_e32 vcc_lo, -1, v2
	v_lshlrev_b32_e32 v5, 2, v48
	v_cndmask_b32_e64 v4, -1, 0xffff8000, vcc_lo
	s_delay_alu instid0(VALU_DEP_1) | instskip(NEXT) | instid1(VALU_DEP_1)
	v_xor_b32_e32 v4, v4, v2
	v_cmp_ne_u16_e32 vcc_lo, 0x7fff, v4
	v_cndmask_b32_e32 v4, 0xffff8000, v4, vcc_lo
	s_delay_alu instid0(VALU_DEP_1) | instskip(NEXT) | instid1(VALU_DEP_1)
	v_and_b32_e32 v4, 0xffff, v4
	v_lshrrev_b32_e32 v4, s49, v4
	s_delay_alu instid0(VALU_DEP_1) | instskip(NEXT) | instid1(VALU_DEP_1)
	v_and_b32_e32 v4, s55, v4
	v_lshl_or_b32 v4, v4, 4, v5
	ds_add_u32 v4, v94
	s_or_b32 exec_lo, exec_lo, s0
	s_delay_alu instid0(SALU_CYCLE_1)
	s_mov_b32 s0, exec_lo
	v_cmpx_lt_u32_e64 v63, v21
	s_cbranch_execz .LBB2057_605
	s_branch .LBB2057_661
.LBB2057_646:                           ;   in Loop: Header=BB2057_606 Depth=2
	s_or_b32 exec_lo, exec_lo, s0
	s_delay_alu instid0(SALU_CYCLE_1)
	s_mov_b32 s0, exec_lo
	v_cmpx_lt_u32_e64 v45, v21
	s_cbranch_execz .LBB2057_632
.LBB2057_647:                           ;   in Loop: Header=BB2057_606 Depth=2
	v_cmp_lt_i16_e32 vcc_lo, -1, v18
	v_lshlrev_b32_e32 v5, 2, v48
	v_cndmask_b32_e64 v4, -1, 0xffff8000, vcc_lo
	s_delay_alu instid0(VALU_DEP_1) | instskip(NEXT) | instid1(VALU_DEP_1)
	v_xor_b32_e32 v4, v4, v18
	v_cmp_ne_u16_e32 vcc_lo, 0x7fff, v4
	v_cndmask_b32_e32 v4, 0xffff8000, v4, vcc_lo
	s_delay_alu instid0(VALU_DEP_1) | instskip(NEXT) | instid1(VALU_DEP_1)
	v_and_b32_e32 v4, 0xffff, v4
	v_lshrrev_b32_e32 v4, s49, v4
	s_delay_alu instid0(VALU_DEP_1) | instskip(NEXT) | instid1(VALU_DEP_1)
	v_and_b32_e32 v4, s55, v4
	v_lshl_or_b32 v4, v4, 4, v5
	ds_add_u32 v4, v94
	s_or_b32 exec_lo, exec_lo, s0
	s_delay_alu instid0(SALU_CYCLE_1)
	s_mov_b32 s0, exec_lo
	v_cmpx_lt_u32_e64 v46, v21
	s_cbranch_execnz .LBB2057_633
.LBB2057_648:                           ;   in Loop: Header=BB2057_606 Depth=2
	s_or_b32 exec_lo, exec_lo, s0
	s_delay_alu instid0(SALU_CYCLE_1)
	s_mov_b32 s0, exec_lo
	v_cmpx_lt_u32_e64 v47, v21
	s_cbranch_execz .LBB2057_634
.LBB2057_649:                           ;   in Loop: Header=BB2057_606 Depth=2
	v_cmp_lt_i16_e32 vcc_lo, -1, v16
	v_lshlrev_b32_e32 v5, 2, v48
	v_cndmask_b32_e64 v4, -1, 0xffff8000, vcc_lo
	s_delay_alu instid0(VALU_DEP_1) | instskip(NEXT) | instid1(VALU_DEP_1)
	v_xor_b32_e32 v4, v4, v16
	v_cmp_ne_u16_e32 vcc_lo, 0x7fff, v4
	v_cndmask_b32_e32 v4, 0xffff8000, v4, vcc_lo
	s_delay_alu instid0(VALU_DEP_1) | instskip(NEXT) | instid1(VALU_DEP_1)
	v_and_b32_e32 v4, 0xffff, v4
	v_lshrrev_b32_e32 v4, s49, v4
	s_delay_alu instid0(VALU_DEP_1) | instskip(NEXT) | instid1(VALU_DEP_1)
	v_and_b32_e32 v4, s55, v4
	v_lshl_or_b32 v4, v4, 4, v5
	ds_add_u32 v4, v94
	s_or_b32 exec_lo, exec_lo, s0
	s_delay_alu instid0(SALU_CYCLE_1)
	s_mov_b32 s0, exec_lo
	v_cmpx_lt_u32_e64 v51, v21
	s_cbranch_execnz .LBB2057_635
.LBB2057_650:                           ;   in Loop: Header=BB2057_606 Depth=2
	s_or_b32 exec_lo, exec_lo, s0
	s_delay_alu instid0(SALU_CYCLE_1)
	s_mov_b32 s0, exec_lo
	v_cmpx_lt_u32_e64 v52, v21
	s_cbranch_execz .LBB2057_636
.LBB2057_651:                           ;   in Loop: Header=BB2057_606 Depth=2
	v_cmp_lt_i16_e32 vcc_lo, -1, v14
	v_lshlrev_b32_e32 v5, 2, v48
	v_cndmask_b32_e64 v4, -1, 0xffff8000, vcc_lo
	s_delay_alu instid0(VALU_DEP_1) | instskip(NEXT) | instid1(VALU_DEP_1)
	v_xor_b32_e32 v4, v4, v14
	v_cmp_ne_u16_e32 vcc_lo, 0x7fff, v4
	v_cndmask_b32_e32 v4, 0xffff8000, v4, vcc_lo
	s_delay_alu instid0(VALU_DEP_1) | instskip(NEXT) | instid1(VALU_DEP_1)
	v_and_b32_e32 v4, 0xffff, v4
	v_lshrrev_b32_e32 v4, s49, v4
	s_delay_alu instid0(VALU_DEP_1) | instskip(NEXT) | instid1(VALU_DEP_1)
	v_and_b32_e32 v4, s55, v4
	v_lshl_or_b32 v4, v4, 4, v5
	ds_add_u32 v4, v94
	s_or_b32 exec_lo, exec_lo, s0
	s_delay_alu instid0(SALU_CYCLE_1)
	s_mov_b32 s0, exec_lo
	v_cmpx_lt_u32_e64 v53, v21
	s_cbranch_execnz .LBB2057_637
.LBB2057_652:                           ;   in Loop: Header=BB2057_606 Depth=2
	s_or_b32 exec_lo, exec_lo, s0
	s_delay_alu instid0(SALU_CYCLE_1)
	s_mov_b32 s0, exec_lo
	v_cmpx_lt_u32_e64 v54, v21
	s_cbranch_execz .LBB2057_638
.LBB2057_653:                           ;   in Loop: Header=BB2057_606 Depth=2
	v_cmp_lt_i16_e32 vcc_lo, -1, v12
	v_lshlrev_b32_e32 v5, 2, v48
	v_cndmask_b32_e64 v4, -1, 0xffff8000, vcc_lo
	s_delay_alu instid0(VALU_DEP_1) | instskip(NEXT) | instid1(VALU_DEP_1)
	v_xor_b32_e32 v4, v4, v12
	v_cmp_ne_u16_e32 vcc_lo, 0x7fff, v4
	v_cndmask_b32_e32 v4, 0xffff8000, v4, vcc_lo
	s_delay_alu instid0(VALU_DEP_1) | instskip(NEXT) | instid1(VALU_DEP_1)
	v_and_b32_e32 v4, 0xffff, v4
	v_lshrrev_b32_e32 v4, s49, v4
	s_delay_alu instid0(VALU_DEP_1) | instskip(NEXT) | instid1(VALU_DEP_1)
	v_and_b32_e32 v4, s55, v4
	v_lshl_or_b32 v4, v4, 4, v5
	ds_add_u32 v4, v94
	s_or_b32 exec_lo, exec_lo, s0
	s_delay_alu instid0(SALU_CYCLE_1)
	s_mov_b32 s0, exec_lo
	v_cmpx_lt_u32_e64 v55, v21
	s_cbranch_execnz .LBB2057_639
.LBB2057_654:                           ;   in Loop: Header=BB2057_606 Depth=2
	s_or_b32 exec_lo, exec_lo, s0
	s_delay_alu instid0(SALU_CYCLE_1)
	s_mov_b32 s0, exec_lo
	v_cmpx_lt_u32_e64 v56, v21
	s_cbranch_execz .LBB2057_640
.LBB2057_655:                           ;   in Loop: Header=BB2057_606 Depth=2
	v_cmp_lt_i16_e32 vcc_lo, -1, v10
	v_lshlrev_b32_e32 v5, 2, v48
	v_cndmask_b32_e64 v4, -1, 0xffff8000, vcc_lo
	s_delay_alu instid0(VALU_DEP_1) | instskip(NEXT) | instid1(VALU_DEP_1)
	v_xor_b32_e32 v4, v4, v10
	v_cmp_ne_u16_e32 vcc_lo, 0x7fff, v4
	v_cndmask_b32_e32 v4, 0xffff8000, v4, vcc_lo
	s_delay_alu instid0(VALU_DEP_1) | instskip(NEXT) | instid1(VALU_DEP_1)
	v_and_b32_e32 v4, 0xffff, v4
	v_lshrrev_b32_e32 v4, s49, v4
	s_delay_alu instid0(VALU_DEP_1) | instskip(NEXT) | instid1(VALU_DEP_1)
	v_and_b32_e32 v4, s55, v4
	v_lshl_or_b32 v4, v4, 4, v5
	ds_add_u32 v4, v94
	s_or_b32 exec_lo, exec_lo, s0
	s_delay_alu instid0(SALU_CYCLE_1)
	s_mov_b32 s0, exec_lo
	v_cmpx_lt_u32_e64 v57, v21
	s_cbranch_execnz .LBB2057_641
.LBB2057_656:                           ;   in Loop: Header=BB2057_606 Depth=2
	s_or_b32 exec_lo, exec_lo, s0
	s_delay_alu instid0(SALU_CYCLE_1)
	s_mov_b32 s0, exec_lo
	v_cmpx_lt_u32_e64 v58, v21
	s_cbranch_execz .LBB2057_642
.LBB2057_657:                           ;   in Loop: Header=BB2057_606 Depth=2
	v_cmp_lt_i16_e32 vcc_lo, -1, v8
	v_lshlrev_b32_e32 v5, 2, v48
	v_cndmask_b32_e64 v4, -1, 0xffff8000, vcc_lo
	s_delay_alu instid0(VALU_DEP_1) | instskip(NEXT) | instid1(VALU_DEP_1)
	v_xor_b32_e32 v4, v4, v8
	v_cmp_ne_u16_e32 vcc_lo, 0x7fff, v4
	v_cndmask_b32_e32 v4, 0xffff8000, v4, vcc_lo
	s_delay_alu instid0(VALU_DEP_1) | instskip(NEXT) | instid1(VALU_DEP_1)
	v_and_b32_e32 v4, 0xffff, v4
	v_lshrrev_b32_e32 v4, s49, v4
	s_delay_alu instid0(VALU_DEP_1) | instskip(NEXT) | instid1(VALU_DEP_1)
	v_and_b32_e32 v4, s55, v4
	v_lshl_or_b32 v4, v4, 4, v5
	ds_add_u32 v4, v94
	s_or_b32 exec_lo, exec_lo, s0
	s_delay_alu instid0(SALU_CYCLE_1)
	s_mov_b32 s0, exec_lo
	v_cmpx_lt_u32_e64 v59, v21
	s_cbranch_execnz .LBB2057_643
.LBB2057_658:                           ;   in Loop: Header=BB2057_606 Depth=2
	s_or_b32 exec_lo, exec_lo, s0
	s_delay_alu instid0(SALU_CYCLE_1)
	s_mov_b32 s0, exec_lo
	v_cmpx_lt_u32_e64 v60, v21
	s_cbranch_execz .LBB2057_644
.LBB2057_659:                           ;   in Loop: Header=BB2057_606 Depth=2
	v_cmp_lt_i16_e32 vcc_lo, -1, v6
	v_lshlrev_b32_e32 v5, 2, v48
	v_cndmask_b32_e64 v4, -1, 0xffff8000, vcc_lo
	s_delay_alu instid0(VALU_DEP_1) | instskip(NEXT) | instid1(VALU_DEP_1)
	v_xor_b32_e32 v4, v4, v6
	v_cmp_ne_u16_e32 vcc_lo, 0x7fff, v4
	v_cndmask_b32_e32 v4, 0xffff8000, v4, vcc_lo
	s_delay_alu instid0(VALU_DEP_1) | instskip(NEXT) | instid1(VALU_DEP_1)
	v_and_b32_e32 v4, 0xffff, v4
	v_lshrrev_b32_e32 v4, s49, v4
	s_delay_alu instid0(VALU_DEP_1) | instskip(NEXT) | instid1(VALU_DEP_1)
	v_and_b32_e32 v4, s55, v4
	v_lshl_or_b32 v4, v4, 4, v5
	ds_add_u32 v4, v94
	s_or_b32 exec_lo, exec_lo, s0
	s_delay_alu instid0(SALU_CYCLE_1)
	s_mov_b32 s0, exec_lo
	v_cmpx_lt_u32_e64 v61, v21
	s_cbranch_execnz .LBB2057_645
.LBB2057_660:                           ;   in Loop: Header=BB2057_606 Depth=2
	s_or_b32 exec_lo, exec_lo, s0
	s_delay_alu instid0(SALU_CYCLE_1)
	s_mov_b32 s0, exec_lo
	v_cmpx_lt_u32_e64 v63, v21
	s_cbranch_execz .LBB2057_605
.LBB2057_661:                           ;   in Loop: Header=BB2057_606 Depth=2
	s_waitcnt vmcnt(0)
	v_cmp_lt_i16_e32 vcc_lo, -1, v20
	v_lshlrev_b32_e32 v5, 2, v48
	v_cndmask_b32_e64 v4, -1, 0xffff8000, vcc_lo
	s_delay_alu instid0(VALU_DEP_1) | instskip(NEXT) | instid1(VALU_DEP_1)
	v_xor_b32_e32 v4, v4, v20
	v_cmp_ne_u16_e32 vcc_lo, 0x7fff, v4
	v_cndmask_b32_e32 v4, 0xffff8000, v4, vcc_lo
	s_delay_alu instid0(VALU_DEP_1) | instskip(NEXT) | instid1(VALU_DEP_1)
	v_and_b32_e32 v4, 0xffff, v4
	v_lshrrev_b32_e32 v4, s49, v4
	s_delay_alu instid0(VALU_DEP_1) | instskip(NEXT) | instid1(VALU_DEP_1)
	v_and_b32_e32 v4, s55, v4
	v_lshl_or_b32 v4, v4, 4, v5
	ds_add_u32 v4, v94
	s_branch .LBB2057_605
.LBB2057_662:                           ;   in Loop: Header=BB2057_606 Depth=2
	s_or_b32 exec_lo, exec_lo, s11
	s_delay_alu instid0(SALU_CYCLE_1)
	s_mov_b32 s11, exec_lo
	v_cmpx_gt_u32_e64 s8, v45
	s_cbranch_execz .LBB2057_612
.LBB2057_663:                           ;   in Loop: Header=BB2057_606 Depth=2
	global_load_u16 v18, v95, s[0:1] offset:512
	s_or_b32 exec_lo, exec_lo, s11
	s_delay_alu instid0(SALU_CYCLE_1)
	s_mov_b32 s11, exec_lo
	v_cmpx_gt_u32_e64 s8, v46
	s_cbranch_execnz .LBB2057_613
.LBB2057_664:                           ;   in Loop: Header=BB2057_606 Depth=2
	s_or_b32 exec_lo, exec_lo, s11
	s_delay_alu instid0(SALU_CYCLE_1)
	s_mov_b32 s11, exec_lo
	v_cmpx_gt_u32_e64 s8, v47
	s_cbranch_execz .LBB2057_614
.LBB2057_665:                           ;   in Loop: Header=BB2057_606 Depth=2
	global_load_u16 v16, v95, s[0:1] offset:1536
	s_or_b32 exec_lo, exec_lo, s11
	s_delay_alu instid0(SALU_CYCLE_1)
	s_mov_b32 s11, exec_lo
	v_cmpx_gt_u32_e64 s8, v51
	s_cbranch_execnz .LBB2057_615
.LBB2057_666:                           ;   in Loop: Header=BB2057_606 Depth=2
	s_or_b32 exec_lo, exec_lo, s11
	s_delay_alu instid0(SALU_CYCLE_1)
	s_mov_b32 s11, exec_lo
	v_cmpx_gt_u32_e64 s8, v52
	s_cbranch_execz .LBB2057_616
.LBB2057_667:                           ;   in Loop: Header=BB2057_606 Depth=2
	global_load_u16 v14, v95, s[0:1] offset:2560
	s_or_b32 exec_lo, exec_lo, s11
	s_delay_alu instid0(SALU_CYCLE_1)
	s_mov_b32 s11, exec_lo
	v_cmpx_gt_u32_e64 s8, v53
	s_cbranch_execnz .LBB2057_617
.LBB2057_668:                           ;   in Loop: Header=BB2057_606 Depth=2
	s_or_b32 exec_lo, exec_lo, s11
	s_delay_alu instid0(SALU_CYCLE_1)
	s_mov_b32 s11, exec_lo
	v_cmpx_gt_u32_e64 s8, v54
	s_cbranch_execz .LBB2057_618
.LBB2057_669:                           ;   in Loop: Header=BB2057_606 Depth=2
	global_load_u16 v12, v95, s[0:1] offset:3584
	s_or_b32 exec_lo, exec_lo, s11
	s_delay_alu instid0(SALU_CYCLE_1)
	s_mov_b32 s11, exec_lo
	v_cmpx_gt_u32_e64 s8, v55
	s_cbranch_execnz .LBB2057_619
.LBB2057_670:                           ;   in Loop: Header=BB2057_606 Depth=2
	s_or_b32 exec_lo, exec_lo, s11
	s_delay_alu instid0(SALU_CYCLE_1)
	s_mov_b32 s11, exec_lo
	v_cmpx_gt_u32_e64 s8, v56
	s_cbranch_execz .LBB2057_620
.LBB2057_671:                           ;   in Loop: Header=BB2057_606 Depth=2
	global_load_u16 v10, v97, s[0:1]
	s_or_b32 exec_lo, exec_lo, s11
	s_delay_alu instid0(SALU_CYCLE_1)
	s_mov_b32 s11, exec_lo
	v_cmpx_gt_u32_e64 s8, v57
	s_cbranch_execnz .LBB2057_621
.LBB2057_672:                           ;   in Loop: Header=BB2057_606 Depth=2
	s_or_b32 exec_lo, exec_lo, s11
	s_delay_alu instid0(SALU_CYCLE_1)
	s_mov_b32 s11, exec_lo
	v_cmpx_gt_u32_e64 s8, v58
	s_cbranch_execz .LBB2057_622
.LBB2057_673:                           ;   in Loop: Header=BB2057_606 Depth=2
	global_load_u16 v8, v99, s[0:1]
	s_or_b32 exec_lo, exec_lo, s11
	s_delay_alu instid0(SALU_CYCLE_1)
	s_mov_b32 s11, exec_lo
	v_cmpx_gt_u32_e64 s8, v59
	s_cbranch_execnz .LBB2057_623
.LBB2057_674:                           ;   in Loop: Header=BB2057_606 Depth=2
	s_or_b32 exec_lo, exec_lo, s11
	s_delay_alu instid0(SALU_CYCLE_1)
	s_mov_b32 s11, exec_lo
	v_cmpx_gt_u32_e64 s8, v60
	s_cbranch_execz .LBB2057_624
.LBB2057_675:                           ;   in Loop: Header=BB2057_606 Depth=2
	global_load_u16 v6, v101, s[0:1]
	s_or_b32 exec_lo, exec_lo, s11
	s_delay_alu instid0(SALU_CYCLE_1)
	s_mov_b32 s11, exec_lo
	v_cmpx_gt_u32_e64 s8, v61
	s_cbranch_execz .LBB2057_626
	s_branch .LBB2057_625
.LBB2057_676:                           ;   in Loop: Header=BB2057_12 Depth=1
	v_mov_b32_e32 v2, 0
	s_waitcnt vmcnt(0) lgkmcnt(0)
	s_barrier
	buffer_gl0_inv
	s_and_saveexec_b32 s0, s2
	s_cbranch_execz .LBB2057_678
; %bb.677:                              ;   in Loop: Header=BB2057_12 Depth=1
	ds_load_2addr_b64 v[4:7], v64 offset1:1
	s_waitcnt lgkmcnt(0)
	v_add_nc_u32_e32 v2, v5, v4
	s_delay_alu instid0(VALU_DEP_1)
	v_add3_u32 v2, v2, v6, v7
.LBB2057_678:                           ;   in Loop: Header=BB2057_12 Depth=1
	s_or_b32 exec_lo, exec_lo, s0
	v_and_b32_e32 v4, 15, v104
	s_delay_alu instid0(VALU_DEP_2) | instskip(SKIP_1) | instid1(VALU_DEP_3)
	v_mov_b32_dpp v5, v2 row_shr:1 row_mask:0xf bank_mask:0xf
	v_and_b32_e32 v6, 16, v104
	v_cmp_eq_u32_e64 s0, 0, v4
	v_cmp_lt_u32_e64 s1, 1, v4
	v_cmp_lt_u32_e64 s8, 3, v4
	;; [unrolled: 1-line block ×3, first 2 shown]
	v_cmp_eq_u32_e64 s10, 0, v6
	v_cndmask_b32_e64 v5, v5, 0, s0
	s_delay_alu instid0(VALU_DEP_1) | instskip(NEXT) | instid1(VALU_DEP_1)
	v_add_nc_u32_e32 v2, v5, v2
	v_mov_b32_dpp v5, v2 row_shr:2 row_mask:0xf bank_mask:0xf
	s_delay_alu instid0(VALU_DEP_1) | instskip(NEXT) | instid1(VALU_DEP_1)
	v_cndmask_b32_e64 v5, 0, v5, s1
	v_add_nc_u32_e32 v2, v2, v5
	s_delay_alu instid0(VALU_DEP_1) | instskip(NEXT) | instid1(VALU_DEP_1)
	v_mov_b32_dpp v5, v2 row_shr:4 row_mask:0xf bank_mask:0xf
	v_cndmask_b32_e64 v5, 0, v5, s8
	s_delay_alu instid0(VALU_DEP_1) | instskip(NEXT) | instid1(VALU_DEP_1)
	v_add_nc_u32_e32 v2, v2, v5
	v_mov_b32_dpp v5, v2 row_shr:8 row_mask:0xf bank_mask:0xf
	s_delay_alu instid0(VALU_DEP_1) | instskip(SKIP_1) | instid1(VALU_DEP_2)
	v_cndmask_b32_e64 v4, 0, v5, s9
	v_bfe_i32 v5, v104, 4, 1
	v_add_nc_u32_e32 v2, v2, v4
	ds_swizzle_b32 v4, v2 offset:swizzle(BROADCAST,32,15)
	s_waitcnt lgkmcnt(0)
	v_and_b32_e32 v4, v5, v4
	s_delay_alu instid0(VALU_DEP_1)
	v_add_nc_u32_e32 v4, v2, v4
	s_and_saveexec_b32 s11, s3
	s_cbranch_execz .LBB2057_680
; %bb.679:                              ;   in Loop: Header=BB2057_12 Depth=1
	ds_store_b32 v65, v4
.LBB2057_680:                           ;   in Loop: Header=BB2057_12 Depth=1
	s_or_b32 exec_lo, exec_lo, s11
	v_and_b32_e32 v2, 7, v104
	s_waitcnt lgkmcnt(0)
	s_barrier
	buffer_gl0_inv
	s_and_saveexec_b32 s11, s4
	s_cbranch_execz .LBB2057_682
; %bb.681:                              ;   in Loop: Header=BB2057_12 Depth=1
	ds_load_b32 v5, v66
	v_cmp_ne_u32_e32 vcc_lo, 0, v2
	s_waitcnt lgkmcnt(0)
	v_mov_b32_dpp v6, v5 row_shr:1 row_mask:0xf bank_mask:0xf
	s_delay_alu instid0(VALU_DEP_1) | instskip(SKIP_1) | instid1(VALU_DEP_2)
	v_cndmask_b32_e32 v6, 0, v6, vcc_lo
	v_cmp_lt_u32_e32 vcc_lo, 1, v2
	v_add_nc_u32_e32 v5, v6, v5
	s_delay_alu instid0(VALU_DEP_1) | instskip(NEXT) | instid1(VALU_DEP_1)
	v_mov_b32_dpp v6, v5 row_shr:2 row_mask:0xf bank_mask:0xf
	v_cndmask_b32_e32 v6, 0, v6, vcc_lo
	v_cmp_lt_u32_e32 vcc_lo, 3, v2
	s_delay_alu instid0(VALU_DEP_2) | instskip(NEXT) | instid1(VALU_DEP_1)
	v_add_nc_u32_e32 v5, v5, v6
	v_mov_b32_dpp v6, v5 row_shr:4 row_mask:0xf bank_mask:0xf
	s_delay_alu instid0(VALU_DEP_1) | instskip(NEXT) | instid1(VALU_DEP_1)
	v_cndmask_b32_e32 v6, 0, v6, vcc_lo
	v_add_nc_u32_e32 v5, v5, v6
	ds_store_b32 v66, v5
.LBB2057_682:                           ;   in Loop: Header=BB2057_12 Depth=1
	s_or_b32 exec_lo, exec_lo, s11
	v_mov_b32_e32 v5, 0
	s_waitcnt lgkmcnt(0)
	s_barrier
	buffer_gl0_inv
	s_and_saveexec_b32 s11, s5
	s_cbranch_execz .LBB2057_684
; %bb.683:                              ;   in Loop: Header=BB2057_12 Depth=1
	ds_load_b32 v5, v67
.LBB2057_684:                           ;   in Loop: Header=BB2057_12 Depth=1
	s_or_b32 exec_lo, exec_lo, s11
	v_add_nc_u32_e32 v6, -1, v104
	s_waitcnt lgkmcnt(0)
	v_add_nc_u32_e32 v4, v5, v4
	v_cmp_eq_u32_e64 s11, 0, v104
	s_barrier
	v_cmp_gt_i32_e32 vcc_lo, 0, v6
	buffer_gl0_inv
	v_cndmask_b32_e32 v6, v6, v104, vcc_lo
	s_delay_alu instid0(VALU_DEP_1)
	v_lshlrev_b32_e32 v105, 2, v6
	ds_bpermute_b32 v4, v105, v4
	s_and_saveexec_b32 s12, s2
	s_cbranch_execz .LBB2057_686
; %bb.685:                              ;   in Loop: Header=BB2057_12 Depth=1
	s_waitcnt lgkmcnt(0)
	v_cndmask_b32_e64 v4, v4, v5, s11
	s_delay_alu instid0(VALU_DEP_1)
	v_add_nc_u32_e32 v4, s52, v4
	ds_store_b32 v44, v4
.LBB2057_686:                           ;   in Loop: Header=BB2057_12 Depth=1
	s_or_b32 exec_lo, exec_lo, s12
	s_load_b64 s[12:13], s[42:43], 0x0
	v_lshlrev_b32_e32 v5, 3, v104
	v_cmp_lt_u32_e64 s14, 3, v2
	v_or_b32_e32 v106, v104, v68
	s_mov_b32 s56, s54
	s_mov_b32 s34, s52
	v_add_co_u32 v107, vcc_lo, v90, v5
	v_add_co_ci_u32_e32 v108, vcc_lo, 0, v91, vcc_lo
	v_or_b32_e32 v109, 32, v106
	v_or_b32_e32 v110, 64, v106
	;; [unrolled: 1-line block ×10, first 2 shown]
	s_waitcnt lgkmcnt(0)
	s_cmp_lt_u32 s15, s13
	v_or_b32_e32 v119, 0x160, v106
	s_cselect_b32 s13, 14, 20
	v_or_b32_e32 v120, 0x180, v106
	s_add_u32 s16, s42, s13
	s_addc_u32 s17, s43, 0
	s_cmp_lt_u32 s26, s12
	global_load_u16 v4, v3, s[16:17]
	s_cselect_b32 s12, 12, 18
	v_or_b32_e32 v121, 0x1a0, v106
	s_add_u32 s12, s42, s12
	s_addc_u32 s13, s43, 0
	v_or_b32_e32 v122, 0x1c0, v106
	global_load_u16 v6, v3, s[12:13]
	v_cmp_eq_u32_e64 s12, 0, v2
	v_cmp_lt_u32_e64 s13, 1, v2
	v_lshlrev_b32_e32 v2, 1, v104
	v_or_b32_e32 v123, 0x1e0, v106
                                        ; implicit-def: $vgpr8_vgpr9
                                        ; implicit-def: $vgpr10_vgpr11
                                        ; implicit-def: $vgpr12_vgpr13
                                        ; implicit-def: $vgpr14_vgpr15
                                        ; implicit-def: $vgpr16_vgpr17
                                        ; implicit-def: $vgpr18_vgpr19
                                        ; implicit-def: $vgpr20_vgpr21
                                        ; implicit-def: $vgpr22_vgpr23
                                        ; implicit-def: $vgpr24_vgpr25
                                        ; implicit-def: $vgpr26_vgpr27
                                        ; implicit-def: $vgpr28_vgpr29
                                        ; implicit-def: $vgpr30_vgpr31
                                        ; implicit-def: $vgpr32_vgpr33
                                        ; implicit-def: $vgpr34_vgpr35
                                        ; implicit-def: $vgpr129
                                        ; implicit-def: $vgpr130
                                        ; implicit-def: $vgpr131
                                        ; implicit-def: $vgpr132
                                        ; implicit-def: $vgpr133
                                        ; implicit-def: $vgpr134
                                        ; implicit-def: $vgpr135
                                        ; implicit-def: $vgpr136
                                        ; implicit-def: $vgpr137
                                        ; implicit-def: $vgpr138
                                        ; implicit-def: $vgpr139
                                        ; implicit-def: $vgpr140
                                        ; implicit-def: $vgpr141
                                        ; implicit-def: $vgpr142
                                        ; implicit-def: $vgpr143
                                        ; implicit-def: $vgpr144
	s_delay_alu instid0(VALU_DEP_2) | instskip(SKIP_1) | instid1(VALU_DEP_2)
	v_add_co_u32 v124, vcc_lo, v92, v2
	v_add_co_ci_u32_e32 v125, vcc_lo, 0, v93, vcc_lo
	v_add_co_u32 v127, vcc_lo, 0x3c0, v124
	s_delay_alu instid0(VALU_DEP_2) | instskip(SKIP_3) | instid1(VALU_DEP_1)
	v_add_co_ci_u32_e32 v128, vcc_lo, 0, v125, vcc_lo
	s_waitcnt vmcnt(1)
	v_mad_u32_u24 v7, v70, v4, v0
	s_waitcnt vmcnt(0)
	v_mad_u64_u32 v[4:5], null, v7, v6, v[1:2]
                                        ; implicit-def: $vgpr6_vgpr7
	s_delay_alu instid0(VALU_DEP_1)
	v_lshrrev_b32_e32 v126, 5, v4
                                        ; implicit-def: $vgpr4_vgpr5
	s_branch .LBB2057_688
.LBB2057_687:                           ;   in Loop: Header=BB2057_688 Depth=2
	s_or_b32 exec_lo, exec_lo, s16
	s_addk_i32 s56, 0xf000
	s_cmp_lt_u32 s57, s53
	s_mov_b32 s34, s57
	s_cbranch_scc0 .LBB2057_896
.LBB2057_688:                           ;   Parent Loop BB2057_12 Depth=1
                                        ; =>  This Inner Loop Header: Depth=2
	s_add_i32 s57, s34, 0x1000
	s_delay_alu instid0(SALU_CYCLE_1)
	s_cmp_gt_u32 s57, s53
	s_cbranch_scc1 .LBB2057_691
; %bb.689:                              ;   in Loop: Header=BB2057_688 Depth=2
	s_mov_b32 s17, 0
	s_mov_b32 s16, s34
	s_delay_alu instid0(SALU_CYCLE_1) | instskip(NEXT) | instid1(SALU_CYCLE_1)
	s_lshl_b64 s[18:19], s[16:17], 1
	v_add_co_u32 v36, vcc_lo, v124, s18
	v_add_co_ci_u32_e32 v37, vcc_lo, s19, v125, vcc_lo
	s_mov_b32 s19, -1
	s_movk_i32 s18, 0x1000
	s_clause 0xe
	global_load_u16 v2, v[36:37], off
	global_load_u16 v146, v[36:37], off offset:64
	global_load_u16 v149, v[36:37], off offset:128
	;; [unrolled: 1-line block ×14, first 2 shown]
	s_cbranch_execz .LBB2057_692
; %bb.690:                              ;   in Loop: Header=BB2057_688 Depth=2
                                        ; implicit-def: $sgpr20
	v_dual_mov_b32 v36, s20 :: v_dual_mov_b32 v145, s56
	s_and_saveexec_b32 s20, s19
	s_cbranch_execnz .LBB2057_723
	s_branch .LBB2057_724
.LBB2057_691:                           ;   in Loop: Header=BB2057_688 Depth=2
	s_mov_b32 s17, -1
	s_mov_b32 s19, 0
                                        ; implicit-def: $sgpr18
                                        ; implicit-def: $vgpr2
                                        ; implicit-def: $vgpr146
                                        ; implicit-def: $vgpr149
                                        ; implicit-def: $vgpr153
                                        ; implicit-def: $vgpr157
                                        ; implicit-def: $vgpr161
                                        ; implicit-def: $vgpr165
                                        ; implicit-def: $vgpr170
                                        ; implicit-def: $vgpr169
                                        ; implicit-def: $vgpr43
                                        ; implicit-def: $vgpr42
                                        ; implicit-def: $vgpr41
                                        ; implicit-def: $vgpr40
                                        ; implicit-def: $vgpr39
                                        ; implicit-def: $vgpr38
.LBB2057_692:                           ;   in Loop: Header=BB2057_688 Depth=2
	s_lshl_b64 s[16:17], s[34:35], 1
	s_waitcnt vmcnt(13)
	v_mov_b32_e32 v146, 0x7fff
	v_add_co_u32 v36, vcc_lo, v124, s16
	v_add_co_ci_u32_e32 v37, vcc_lo, s17, v125, vcc_lo
	v_mov_b32_e32 v2, 0x7fff
	s_mov_b32 s16, exec_lo
	v_cmpx_gt_u32_e64 s56, v106
	s_cbranch_execz .LBB2057_694
; %bb.693:                              ;   in Loop: Header=BB2057_688 Depth=2
	global_load_u16 v2, v[36:37], off
.LBB2057_694:                           ;   in Loop: Header=BB2057_688 Depth=2
	s_or_b32 exec_lo, exec_lo, s16
	s_delay_alu instid0(SALU_CYCLE_1)
	s_mov_b32 s16, exec_lo
	v_cmpx_gt_u32_e64 s56, v109
	s_cbranch_execz .LBB2057_696
; %bb.695:                              ;   in Loop: Header=BB2057_688 Depth=2
	global_load_u16 v146, v[36:37], off offset:64
.LBB2057_696:                           ;   in Loop: Header=BB2057_688 Depth=2
	s_or_b32 exec_lo, exec_lo, s16
	s_waitcnt vmcnt(11)
	v_mov_b32_e32 v153, 0x7fff
	v_mov_b32_e32 v149, 0x7fff
	s_mov_b32 s16, exec_lo
	v_cmpx_gt_u32_e64 s56, v110
	s_cbranch_execz .LBB2057_698
; %bb.697:                              ;   in Loop: Header=BB2057_688 Depth=2
	global_load_u16 v149, v[36:37], off offset:128
.LBB2057_698:                           ;   in Loop: Header=BB2057_688 Depth=2
	s_or_b32 exec_lo, exec_lo, s16
	s_delay_alu instid0(SALU_CYCLE_1)
	s_mov_b32 s16, exec_lo
	v_cmpx_gt_u32_e64 s56, v111
	s_cbranch_execz .LBB2057_700
; %bb.699:                              ;   in Loop: Header=BB2057_688 Depth=2
	global_load_u16 v153, v[36:37], off offset:192
.LBB2057_700:                           ;   in Loop: Header=BB2057_688 Depth=2
	s_or_b32 exec_lo, exec_lo, s16
	s_waitcnt vmcnt(9)
	v_mov_b32_e32 v161, 0x7fff
	v_mov_b32_e32 v157, 0x7fff
	s_mov_b32 s16, exec_lo
	v_cmpx_gt_u32_e64 s56, v112
	s_cbranch_execz .LBB2057_702
; %bb.701:                              ;   in Loop: Header=BB2057_688 Depth=2
	global_load_u16 v157, v[36:37], off offset:256
.LBB2057_702:                           ;   in Loop: Header=BB2057_688 Depth=2
	s_or_b32 exec_lo, exec_lo, s16
	s_delay_alu instid0(SALU_CYCLE_1)
	s_mov_b32 s16, exec_lo
	v_cmpx_gt_u32_e64 s56, v113
	s_cbranch_execz .LBB2057_704
; %bb.703:                              ;   in Loop: Header=BB2057_688 Depth=2
	global_load_u16 v161, v[36:37], off offset:320
.LBB2057_704:                           ;   in Loop: Header=BB2057_688 Depth=2
	s_or_b32 exec_lo, exec_lo, s16
	s_waitcnt vmcnt(7)
	v_dual_mov_b32 v170, 0x7fff :: v_dual_mov_b32 v165, 0x7fff
	s_mov_b32 s16, exec_lo
	v_cmpx_gt_u32_e64 s56, v114
	s_cbranch_execz .LBB2057_706
; %bb.705:                              ;   in Loop: Header=BB2057_688 Depth=2
	global_load_u16 v165, v[36:37], off offset:384
.LBB2057_706:                           ;   in Loop: Header=BB2057_688 Depth=2
	s_or_b32 exec_lo, exec_lo, s16
	s_delay_alu instid0(SALU_CYCLE_1)
	s_mov_b32 s16, exec_lo
	v_cmpx_gt_u32_e64 s56, v115
	s_cbranch_execz .LBB2057_708
; %bb.707:                              ;   in Loop: Header=BB2057_688 Depth=2
	global_load_u16 v170, v[36:37], off offset:448
.LBB2057_708:                           ;   in Loop: Header=BB2057_688 Depth=2
	s_or_b32 exec_lo, exec_lo, s16
	s_waitcnt vmcnt(5)
	v_mov_b32_e32 v43, 0x7fff
	v_mov_b32_e32 v169, 0x7fff
	s_mov_b32 s16, exec_lo
	v_cmpx_gt_u32_e64 s56, v116
	s_cbranch_execz .LBB2057_710
; %bb.709:                              ;   in Loop: Header=BB2057_688 Depth=2
	global_load_u16 v169, v[36:37], off offset:512
.LBB2057_710:                           ;   in Loop: Header=BB2057_688 Depth=2
	s_or_b32 exec_lo, exec_lo, s16
	s_delay_alu instid0(SALU_CYCLE_1)
	s_mov_b32 s16, exec_lo
	v_cmpx_gt_u32_e64 s56, v117
	s_cbranch_execz .LBB2057_712
; %bb.711:                              ;   in Loop: Header=BB2057_688 Depth=2
	global_load_u16 v43, v[36:37], off offset:576
.LBB2057_712:                           ;   in Loop: Header=BB2057_688 Depth=2
	s_or_b32 exec_lo, exec_lo, s16
	s_waitcnt vmcnt(3)
	v_dual_mov_b32 v41, 0x7fff :: v_dual_mov_b32 v42, 0x7fff
	s_mov_b32 s16, exec_lo
	v_cmpx_gt_u32_e64 s56, v118
	s_cbranch_execz .LBB2057_714
; %bb.713:                              ;   in Loop: Header=BB2057_688 Depth=2
	global_load_u16 v42, v[36:37], off offset:640
.LBB2057_714:                           ;   in Loop: Header=BB2057_688 Depth=2
	s_or_b32 exec_lo, exec_lo, s16
	s_delay_alu instid0(SALU_CYCLE_1)
	s_mov_b32 s16, exec_lo
	v_cmpx_gt_u32_e64 s56, v119
	s_cbranch_execz .LBB2057_716
; %bb.715:                              ;   in Loop: Header=BB2057_688 Depth=2
	global_load_u16 v41, v[36:37], off offset:704
.LBB2057_716:                           ;   in Loop: Header=BB2057_688 Depth=2
	s_or_b32 exec_lo, exec_lo, s16
	s_waitcnt vmcnt(1)
	v_dual_mov_b32 v39, 0x7fff :: v_dual_mov_b32 v40, 0x7fff
	s_mov_b32 s16, exec_lo
	v_cmpx_gt_u32_e64 s56, v120
	s_cbranch_execz .LBB2057_718
; %bb.717:                              ;   in Loop: Header=BB2057_688 Depth=2
	global_load_u16 v40, v[36:37], off offset:768
.LBB2057_718:                           ;   in Loop: Header=BB2057_688 Depth=2
	s_or_b32 exec_lo, exec_lo, s16
	s_delay_alu instid0(SALU_CYCLE_1)
	s_mov_b32 s16, exec_lo
	v_cmpx_gt_u32_e64 s56, v121
	s_cbranch_execz .LBB2057_720
; %bb.719:                              ;   in Loop: Header=BB2057_688 Depth=2
	global_load_u16 v39, v[36:37], off offset:832
.LBB2057_720:                           ;   in Loop: Header=BB2057_688 Depth=2
	s_or_b32 exec_lo, exec_lo, s16
	s_waitcnt vmcnt(0)
	v_mov_b32_e32 v38, 0x7fff
	s_mov_b32 s16, exec_lo
	v_cmpx_gt_u32_e64 s56, v122
	s_cbranch_execz .LBB2057_722
; %bb.721:                              ;   in Loop: Header=BB2057_688 Depth=2
	global_load_u16 v38, v[36:37], off offset:896
.LBB2057_722:                           ;   in Loop: Header=BB2057_688 Depth=2
	s_or_b32 exec_lo, exec_lo, s16
	v_cmp_gt_u32_e64 s19, s56, v123
	s_sub_i32 s18, s53, s34
	s_movk_i32 s20, 0x7fff
	s_mov_b64 s[16:17], s[34:35]
	v_dual_mov_b32 v36, s20 :: v_dual_mov_b32 v145, s56
	s_and_saveexec_b32 s20, s19
	s_cbranch_execz .LBB2057_724
.LBB2057_723:                           ;   in Loop: Header=BB2057_688 Depth=2
	s_lshl_b64 s[16:17], s[16:17], 1
	v_mov_b32_e32 v145, s18
	v_add_co_u32 v36, vcc_lo, v127, s16
	v_add_co_ci_u32_e32 v37, vcc_lo, s17, v128, vcc_lo
	global_load_u16 v36, v[36:37], off
.LBB2057_724:                           ;   in Loop: Header=BB2057_688 Depth=2
	s_or_b32 exec_lo, exec_lo, s20
	s_waitcnt vmcnt(14)
	v_cmp_lt_i16_e32 vcc_lo, -1, v2
	ds_store_b32 v69, v3 offset:1056
	ds_store_2addr_b32 v71, v3, v3 offset0:1 offset1:2
	ds_store_2addr_b32 v71, v3, v3 offset0:3 offset1:4
	;; [unrolled: 1-line block ×4, first 2 shown]
	s_waitcnt vmcnt(0) lgkmcnt(0)
	s_barrier
	v_cndmask_b32_e64 v37, -1, 0xffff8000, vcc_lo
	buffer_gl0_inv
	; wave barrier
	v_xor_b32_e32 v2, v37, v2
	s_delay_alu instid0(VALU_DEP_1) | instskip(SKIP_1) | instid1(VALU_DEP_1)
	v_cmp_ne_u16_e32 vcc_lo, 0x7fff, v2
	v_cndmask_b32_e32 v37, 0xffff8000, v2, vcc_lo
	v_and_b32_e32 v37, 0xffff, v37
	s_delay_alu instid0(VALU_DEP_1) | instskip(NEXT) | instid1(VALU_DEP_1)
	v_lshrrev_b32_e32 v37, s49, v37
	v_and_b32_e32 v148, s55, v37
	s_delay_alu instid0(VALU_DEP_1)
	v_lshlrev_b32_e32 v150, 29, v148
	v_and_b32_e32 v37, 1, v148
	v_lshlrev_b32_e32 v147, 30, v148
	v_lshlrev_b32_e32 v151, 28, v148
	;; [unrolled: 1-line block ×4, first 2 shown]
	v_add_co_u32 v37, s16, v37, -1
	s_delay_alu instid0(VALU_DEP_1)
	v_cndmask_b32_e64 v152, 0, 1, s16
	v_not_b32_e32 v158, v147
	v_cmp_gt_i32_e64 s16, 0, v147
	v_not_b32_e32 v147, v150
	v_lshlrev_b32_e32 v156, 25, v148
	v_cmp_ne_u32_e32 vcc_lo, 0, v152
	v_ashrrev_i32_e32 v158, 31, v158
	v_lshlrev_b32_e32 v152, 24, v148
	v_ashrrev_i32_e32 v147, 31, v147
	v_mad_u32_u24 v148, v148, 9, v126
	v_xor_b32_e32 v37, vcc_lo, v37
	v_cmp_gt_i32_e32 vcc_lo, 0, v150
	v_not_b32_e32 v150, v151
	v_xor_b32_e32 v158, s16, v158
	v_cmp_gt_i32_e64 s16, 0, v151
	v_and_b32_e32 v37, exec_lo, v37
	v_not_b32_e32 v151, v154
	v_ashrrev_i32_e32 v150, 31, v150
	v_xor_b32_e32 v147, vcc_lo, v147
	v_cmp_gt_i32_e32 vcc_lo, 0, v154
	v_and_b32_e32 v37, v37, v158
	v_not_b32_e32 v154, v155
	v_ashrrev_i32_e32 v151, 31, v151
	v_xor_b32_e32 v150, s16, v150
	v_cmp_gt_i32_e64 s16, 0, v155
	v_and_b32_e32 v37, v37, v147
	v_not_b32_e32 v147, v156
	v_ashrrev_i32_e32 v154, 31, v154
	v_xor_b32_e32 v151, vcc_lo, v151
	v_cmp_gt_i32_e32 vcc_lo, 0, v156
	v_and_b32_e32 v37, v37, v150
	v_not_b32_e32 v150, v152
	v_ashrrev_i32_e32 v147, 31, v147
	v_xor_b32_e32 v154, s16, v154
	v_cmp_gt_i32_e64 s16, 0, v152
	v_and_b32_e32 v37, v37, v151
	v_ashrrev_i32_e32 v150, 31, v150
	v_xor_b32_e32 v147, vcc_lo, v147
	v_lshl_add_u32 v148, v148, 2, 0x420
	s_delay_alu instid0(VALU_DEP_4) | instskip(NEXT) | instid1(VALU_DEP_4)
	v_and_b32_e32 v37, v37, v154
	v_xor_b32_e32 v150, s16, v150
	s_delay_alu instid0(VALU_DEP_2) | instskip(NEXT) | instid1(VALU_DEP_1)
	v_and_b32_e32 v37, v37, v147
	v_and_b32_e32 v37, v37, v150
	s_delay_alu instid0(VALU_DEP_1) | instskip(SKIP_1) | instid1(VALU_DEP_2)
	v_mbcnt_lo_u32_b32 v147, v37, 0
	v_cmp_ne_u32_e64 s16, 0, v37
	v_cmp_eq_u32_e32 vcc_lo, 0, v147
	s_delay_alu instid0(VALU_DEP_2) | instskip(NEXT) | instid1(SALU_CYCLE_1)
	s_and_b32 s17, s16, vcc_lo
	s_and_saveexec_b32 s16, s17
	s_cbranch_execz .LBB2057_726
; %bb.725:                              ;   in Loop: Header=BB2057_688 Depth=2
	v_bcnt_u32_b32 v37, v37, 0
	ds_store_b32 v148, v37
.LBB2057_726:                           ;   in Loop: Header=BB2057_688 Depth=2
	s_or_b32 exec_lo, exec_lo, s16
	v_cmp_lt_i16_e64 vcc_lo, -1, v146
	; wave barrier
	s_delay_alu instid0(VALU_DEP_1) | instskip(NEXT) | instid1(VALU_DEP_1)
	v_cndmask_b32_e64 v37, -1, 0xffff8000, vcc_lo
	v_xor_b32_e32 v146, v37, v146
	s_delay_alu instid0(VALU_DEP_1) | instskip(SKIP_1) | instid1(VALU_DEP_1)
	v_cmp_ne_u16_e64 vcc_lo, 0x7fff, v146
	v_cndmask_b32_e32 v37, 0xffff8000, v146, vcc_lo
	v_and_b32_e32 v37, 0xffff, v37
	s_delay_alu instid0(VALU_DEP_1) | instskip(NEXT) | instid1(VALU_DEP_1)
	v_lshrrev_b32_e32 v37, s49, v37
	v_and_b32_e32 v37, s55, v37
	s_delay_alu instid0(VALU_DEP_1)
	v_and_b32_e32 v150, 1, v37
	v_lshlrev_b32_e32 v151, 30, v37
	v_lshlrev_b32_e32 v152, 29, v37
	v_lshlrev_b32_e32 v154, 28, v37
	v_lshlrev_b32_e32 v156, 27, v37
	v_add_co_u32 v150, s16, v150, -1
	s_delay_alu instid0(VALU_DEP_1)
	v_cndmask_b32_e64 v155, 0, 1, s16
	v_not_b32_e32 v160, v151
	v_cmp_gt_i32_e64 s16, 0, v151
	v_not_b32_e32 v151, v152
	v_lshlrev_b32_e32 v158, 26, v37
	v_cmp_ne_u32_e32 vcc_lo, 0, v155
	v_ashrrev_i32_e32 v160, 31, v160
	v_lshlrev_b32_e32 v159, 25, v37
	v_ashrrev_i32_e32 v151, 31, v151
	v_lshlrev_b32_e32 v155, 24, v37
	v_xor_b32_e32 v150, vcc_lo, v150
	v_cmp_gt_i32_e32 vcc_lo, 0, v152
	v_not_b32_e32 v152, v154
	v_xor_b32_e32 v160, s16, v160
	v_cmp_gt_i32_e64 s16, 0, v154
	v_and_b32_e32 v150, exec_lo, v150
	v_not_b32_e32 v154, v156
	v_ashrrev_i32_e32 v152, 31, v152
	v_xor_b32_e32 v151, vcc_lo, v151
	v_cmp_gt_i32_e32 vcc_lo, 0, v156
	v_and_b32_e32 v150, v150, v160
	v_not_b32_e32 v156, v158
	v_ashrrev_i32_e32 v154, 31, v154
	v_xor_b32_e32 v152, s16, v152
	v_cmp_gt_i32_e64 s16, 0, v158
	v_and_b32_e32 v150, v150, v151
	v_not_b32_e32 v151, v159
	v_ashrrev_i32_e32 v156, 31, v156
	v_xor_b32_e32 v154, vcc_lo, v154
	v_cmp_gt_i32_e32 vcc_lo, 0, v159
	v_and_b32_e32 v150, v150, v152
	v_not_b32_e32 v152, v155
	v_ashrrev_i32_e32 v151, 31, v151
	v_xor_b32_e32 v156, s16, v156
	v_mul_u32_u24_e32 v37, 9, v37
	v_and_b32_e32 v150, v150, v154
	v_cmp_gt_i32_e64 s16, 0, v155
	v_ashrrev_i32_e32 v152, 31, v152
	v_xor_b32_e32 v151, vcc_lo, v151
	v_add_lshl_u32 v154, v37, v126, 2
	v_and_b32_e32 v150, v150, v156
	s_delay_alu instid0(VALU_DEP_4) | instskip(NEXT) | instid1(VALU_DEP_3)
	v_xor_b32_e32 v37, s16, v152
	v_add_nc_u32_e32 v152, 0x420, v154
	s_delay_alu instid0(VALU_DEP_3) | instskip(SKIP_2) | instid1(VALU_DEP_1)
	v_and_b32_e32 v151, v150, v151
	ds_load_b32 v150, v154 offset:1056
	; wave barrier
	v_and_b32_e32 v37, v151, v37
	v_mbcnt_lo_u32_b32 v151, v37, 0
	v_cmp_ne_u32_e64 s16, 0, v37
	s_delay_alu instid0(VALU_DEP_2) | instskip(NEXT) | instid1(VALU_DEP_2)
	v_cmp_eq_u32_e32 vcc_lo, 0, v151
	s_and_b32 s17, s16, vcc_lo
	s_delay_alu instid0(SALU_CYCLE_1)
	s_and_saveexec_b32 s16, s17
	s_cbranch_execz .LBB2057_728
; %bb.727:                              ;   in Loop: Header=BB2057_688 Depth=2
	s_waitcnt lgkmcnt(0)
	v_bcnt_u32_b32 v37, v37, v150
	ds_store_b32 v152, v37
.LBB2057_728:                           ;   in Loop: Header=BB2057_688 Depth=2
	s_or_b32 exec_lo, exec_lo, s16
	v_cmp_lt_i16_e64 vcc_lo, -1, v149
	; wave barrier
	s_delay_alu instid0(VALU_DEP_1) | instskip(NEXT) | instid1(VALU_DEP_1)
	v_cndmask_b32_e64 v37, -1, 0xffff8000, vcc_lo
	v_xor_b32_e32 v149, v37, v149
	s_delay_alu instid0(VALU_DEP_1) | instskip(SKIP_1) | instid1(VALU_DEP_1)
	v_cmp_ne_u16_e64 vcc_lo, 0x7fff, v149
	v_cndmask_b32_e32 v37, 0xffff8000, v149, vcc_lo
	v_and_b32_e32 v37, 0xffff, v37
	s_delay_alu instid0(VALU_DEP_1) | instskip(NEXT) | instid1(VALU_DEP_1)
	v_lshrrev_b32_e32 v37, s49, v37
	v_and_b32_e32 v37, s55, v37
	s_delay_alu instid0(VALU_DEP_1)
	v_and_b32_e32 v154, 1, v37
	v_lshlrev_b32_e32 v155, 30, v37
	v_lshlrev_b32_e32 v156, 29, v37
	;; [unrolled: 1-line block ×4, first 2 shown]
	v_add_co_u32 v154, s16, v154, -1
	s_delay_alu instid0(VALU_DEP_1)
	v_cndmask_b32_e64 v159, 0, 1, s16
	v_not_b32_e32 v164, v155
	v_cmp_gt_i32_e64 s16, 0, v155
	v_not_b32_e32 v155, v156
	v_lshlrev_b32_e32 v162, 26, v37
	v_cmp_ne_u32_e32 vcc_lo, 0, v159
	v_ashrrev_i32_e32 v164, 31, v164
	v_lshlrev_b32_e32 v163, 25, v37
	v_ashrrev_i32_e32 v155, 31, v155
	v_lshlrev_b32_e32 v159, 24, v37
	v_xor_b32_e32 v154, vcc_lo, v154
	v_cmp_gt_i32_e32 vcc_lo, 0, v156
	v_not_b32_e32 v156, v158
	v_xor_b32_e32 v164, s16, v164
	v_cmp_gt_i32_e64 s16, 0, v158
	v_and_b32_e32 v154, exec_lo, v154
	v_not_b32_e32 v158, v160
	v_ashrrev_i32_e32 v156, 31, v156
	v_xor_b32_e32 v155, vcc_lo, v155
	v_cmp_gt_i32_e32 vcc_lo, 0, v160
	v_and_b32_e32 v154, v154, v164
	v_not_b32_e32 v160, v162
	v_ashrrev_i32_e32 v158, 31, v158
	v_xor_b32_e32 v156, s16, v156
	v_cmp_gt_i32_e64 s16, 0, v162
	v_and_b32_e32 v154, v154, v155
	v_not_b32_e32 v155, v163
	v_ashrrev_i32_e32 v160, 31, v160
	v_xor_b32_e32 v158, vcc_lo, v158
	v_cmp_gt_i32_e32 vcc_lo, 0, v163
	v_and_b32_e32 v154, v154, v156
	v_not_b32_e32 v156, v159
	v_ashrrev_i32_e32 v155, 31, v155
	v_xor_b32_e32 v160, s16, v160
	v_mul_u32_u24_e32 v37, 9, v37
	v_and_b32_e32 v154, v154, v158
	v_cmp_gt_i32_e64 s16, 0, v159
	v_ashrrev_i32_e32 v156, 31, v156
	v_xor_b32_e32 v155, vcc_lo, v155
	v_add_lshl_u32 v158, v37, v126, 2
	v_and_b32_e32 v154, v154, v160
	s_delay_alu instid0(VALU_DEP_4) | instskip(NEXT) | instid1(VALU_DEP_3)
	v_xor_b32_e32 v37, s16, v156
	v_add_nc_u32_e32 v156, 0x420, v158
	s_delay_alu instid0(VALU_DEP_3) | instskip(SKIP_2) | instid1(VALU_DEP_1)
	v_and_b32_e32 v155, v154, v155
	ds_load_b32 v154, v158 offset:1056
	; wave barrier
	v_and_b32_e32 v37, v155, v37
	v_mbcnt_lo_u32_b32 v155, v37, 0
	v_cmp_ne_u32_e64 s16, 0, v37
	s_delay_alu instid0(VALU_DEP_2) | instskip(NEXT) | instid1(VALU_DEP_2)
	v_cmp_eq_u32_e32 vcc_lo, 0, v155
	s_and_b32 s17, s16, vcc_lo
	s_delay_alu instid0(SALU_CYCLE_1)
	s_and_saveexec_b32 s16, s17
	s_cbranch_execz .LBB2057_730
; %bb.729:                              ;   in Loop: Header=BB2057_688 Depth=2
	s_waitcnt lgkmcnt(0)
	v_bcnt_u32_b32 v37, v37, v154
	ds_store_b32 v156, v37
.LBB2057_730:                           ;   in Loop: Header=BB2057_688 Depth=2
	s_or_b32 exec_lo, exec_lo, s16
	v_cmp_lt_i16_e64 vcc_lo, -1, v153
	; wave barrier
	s_delay_alu instid0(VALU_DEP_1) | instskip(NEXT) | instid1(VALU_DEP_1)
	v_cndmask_b32_e64 v37, -1, 0xffff8000, vcc_lo
	v_xor_b32_e32 v153, v37, v153
	s_delay_alu instid0(VALU_DEP_1) | instskip(SKIP_1) | instid1(VALU_DEP_1)
	v_cmp_ne_u16_e64 vcc_lo, 0x7fff, v153
	v_cndmask_b32_e32 v37, 0xffff8000, v153, vcc_lo
	v_and_b32_e32 v37, 0xffff, v37
	s_delay_alu instid0(VALU_DEP_1) | instskip(NEXT) | instid1(VALU_DEP_1)
	v_lshrrev_b32_e32 v37, s49, v37
	v_and_b32_e32 v37, s55, v37
	s_delay_alu instid0(VALU_DEP_1)
	v_and_b32_e32 v158, 1, v37
	v_lshlrev_b32_e32 v159, 30, v37
	v_lshlrev_b32_e32 v160, 29, v37
	;; [unrolled: 1-line block ×4, first 2 shown]
	v_add_co_u32 v158, s16, v158, -1
	s_delay_alu instid0(VALU_DEP_1)
	v_cndmask_b32_e64 v163, 0, 1, s16
	v_not_b32_e32 v168, v159
	v_cmp_gt_i32_e64 s16, 0, v159
	v_not_b32_e32 v159, v160
	v_lshlrev_b32_e32 v166, 26, v37
	v_cmp_ne_u32_e32 vcc_lo, 0, v163
	v_ashrrev_i32_e32 v168, 31, v168
	v_lshlrev_b32_e32 v167, 25, v37
	v_ashrrev_i32_e32 v159, 31, v159
	v_lshlrev_b32_e32 v163, 24, v37
	v_xor_b32_e32 v158, vcc_lo, v158
	v_cmp_gt_i32_e32 vcc_lo, 0, v160
	v_not_b32_e32 v160, v162
	v_xor_b32_e32 v168, s16, v168
	v_cmp_gt_i32_e64 s16, 0, v162
	v_and_b32_e32 v158, exec_lo, v158
	v_not_b32_e32 v162, v164
	v_ashrrev_i32_e32 v160, 31, v160
	v_xor_b32_e32 v159, vcc_lo, v159
	v_cmp_gt_i32_e32 vcc_lo, 0, v164
	v_and_b32_e32 v158, v158, v168
	v_not_b32_e32 v164, v166
	v_ashrrev_i32_e32 v162, 31, v162
	v_xor_b32_e32 v160, s16, v160
	v_cmp_gt_i32_e64 s16, 0, v166
	v_and_b32_e32 v158, v158, v159
	v_not_b32_e32 v159, v167
	v_ashrrev_i32_e32 v164, 31, v164
	v_xor_b32_e32 v162, vcc_lo, v162
	v_cmp_gt_i32_e32 vcc_lo, 0, v167
	v_and_b32_e32 v158, v158, v160
	v_not_b32_e32 v160, v163
	v_ashrrev_i32_e32 v159, 31, v159
	v_xor_b32_e32 v164, s16, v164
	v_mul_u32_u24_e32 v37, 9, v37
	v_and_b32_e32 v158, v158, v162
	v_cmp_gt_i32_e64 s16, 0, v163
	v_ashrrev_i32_e32 v160, 31, v160
	v_xor_b32_e32 v159, vcc_lo, v159
	v_add_lshl_u32 v162, v37, v126, 2
	v_and_b32_e32 v158, v158, v164
	s_delay_alu instid0(VALU_DEP_4) | instskip(NEXT) | instid1(VALU_DEP_3)
	v_xor_b32_e32 v37, s16, v160
	v_add_nc_u32_e32 v160, 0x420, v162
	s_delay_alu instid0(VALU_DEP_3) | instskip(SKIP_2) | instid1(VALU_DEP_1)
	v_and_b32_e32 v159, v158, v159
	ds_load_b32 v158, v162 offset:1056
	; wave barrier
	v_and_b32_e32 v37, v159, v37
	v_mbcnt_lo_u32_b32 v159, v37, 0
	v_cmp_ne_u32_e64 s16, 0, v37
	s_delay_alu instid0(VALU_DEP_2) | instskip(NEXT) | instid1(VALU_DEP_2)
	v_cmp_eq_u32_e32 vcc_lo, 0, v159
	s_and_b32 s17, s16, vcc_lo
	s_delay_alu instid0(SALU_CYCLE_1)
	s_and_saveexec_b32 s16, s17
	s_cbranch_execz .LBB2057_732
; %bb.731:                              ;   in Loop: Header=BB2057_688 Depth=2
	s_waitcnt lgkmcnt(0)
	v_bcnt_u32_b32 v37, v37, v158
	ds_store_b32 v160, v37
.LBB2057_732:                           ;   in Loop: Header=BB2057_688 Depth=2
	s_or_b32 exec_lo, exec_lo, s16
	v_cmp_lt_i16_e64 vcc_lo, -1, v157
	; wave barrier
	s_delay_alu instid0(VALU_DEP_1) | instskip(NEXT) | instid1(VALU_DEP_1)
	v_cndmask_b32_e64 v37, -1, 0xffff8000, vcc_lo
	v_xor_b32_e32 v157, v37, v157
	s_delay_alu instid0(VALU_DEP_1) | instskip(SKIP_1) | instid1(VALU_DEP_1)
	v_cmp_ne_u16_e64 vcc_lo, 0x7fff, v157
	v_cndmask_b32_e32 v37, 0xffff8000, v157, vcc_lo
	v_and_b32_e32 v37, 0xffff, v37
	s_delay_alu instid0(VALU_DEP_1) | instskip(NEXT) | instid1(VALU_DEP_1)
	v_lshrrev_b32_e32 v37, s49, v37
	v_and_b32_e32 v37, s55, v37
	s_delay_alu instid0(VALU_DEP_1)
	v_and_b32_e32 v162, 1, v37
	v_lshlrev_b32_e32 v163, 30, v37
	v_lshlrev_b32_e32 v164, 29, v37
	;; [unrolled: 1-line block ×4, first 2 shown]
	v_add_co_u32 v162, s16, v162, -1
	s_delay_alu instid0(VALU_DEP_1)
	v_cndmask_b32_e64 v167, 0, 1, s16
	v_not_b32_e32 v173, v163
	v_cmp_gt_i32_e64 s16, 0, v163
	v_not_b32_e32 v163, v164
	v_lshlrev_b32_e32 v171, 26, v37
	v_cmp_ne_u32_e32 vcc_lo, 0, v167
	v_ashrrev_i32_e32 v173, 31, v173
	v_lshlrev_b32_e32 v172, 25, v37
	v_ashrrev_i32_e32 v163, 31, v163
	v_lshlrev_b32_e32 v167, 24, v37
	v_xor_b32_e32 v162, vcc_lo, v162
	v_cmp_gt_i32_e32 vcc_lo, 0, v164
	v_not_b32_e32 v164, v166
	v_xor_b32_e32 v173, s16, v173
	v_cmp_gt_i32_e64 s16, 0, v166
	v_and_b32_e32 v162, exec_lo, v162
	v_not_b32_e32 v166, v168
	v_ashrrev_i32_e32 v164, 31, v164
	v_xor_b32_e32 v163, vcc_lo, v163
	v_cmp_gt_i32_e32 vcc_lo, 0, v168
	v_and_b32_e32 v162, v162, v173
	v_not_b32_e32 v168, v171
	v_ashrrev_i32_e32 v166, 31, v166
	v_xor_b32_e32 v164, s16, v164
	v_cmp_gt_i32_e64 s16, 0, v171
	v_and_b32_e32 v162, v162, v163
	v_not_b32_e32 v163, v172
	v_ashrrev_i32_e32 v168, 31, v168
	v_xor_b32_e32 v166, vcc_lo, v166
	v_cmp_gt_i32_e32 vcc_lo, 0, v172
	v_and_b32_e32 v162, v162, v164
	v_not_b32_e32 v164, v167
	v_ashrrev_i32_e32 v163, 31, v163
	v_xor_b32_e32 v168, s16, v168
	v_mul_u32_u24_e32 v37, 9, v37
	v_and_b32_e32 v162, v162, v166
	v_cmp_gt_i32_e64 s16, 0, v167
	v_ashrrev_i32_e32 v164, 31, v164
	v_xor_b32_e32 v163, vcc_lo, v163
	v_add_lshl_u32 v166, v37, v126, 2
	v_and_b32_e32 v162, v162, v168
	s_delay_alu instid0(VALU_DEP_4) | instskip(NEXT) | instid1(VALU_DEP_3)
	v_xor_b32_e32 v37, s16, v164
	v_add_nc_u32_e32 v164, 0x420, v166
	s_delay_alu instid0(VALU_DEP_3) | instskip(SKIP_2) | instid1(VALU_DEP_1)
	v_and_b32_e32 v163, v162, v163
	ds_load_b32 v162, v166 offset:1056
	; wave barrier
	v_and_b32_e32 v37, v163, v37
	v_mbcnt_lo_u32_b32 v163, v37, 0
	v_cmp_ne_u32_e64 s16, 0, v37
	s_delay_alu instid0(VALU_DEP_2) | instskip(NEXT) | instid1(VALU_DEP_2)
	v_cmp_eq_u32_e32 vcc_lo, 0, v163
	s_and_b32 s17, s16, vcc_lo
	s_delay_alu instid0(SALU_CYCLE_1)
	s_and_saveexec_b32 s16, s17
	s_cbranch_execz .LBB2057_734
; %bb.733:                              ;   in Loop: Header=BB2057_688 Depth=2
	s_waitcnt lgkmcnt(0)
	v_bcnt_u32_b32 v37, v37, v162
	ds_store_b32 v164, v37
.LBB2057_734:                           ;   in Loop: Header=BB2057_688 Depth=2
	s_or_b32 exec_lo, exec_lo, s16
	v_cmp_lt_i16_e64 vcc_lo, -1, v161
	; wave barrier
	s_delay_alu instid0(VALU_DEP_1) | instskip(NEXT) | instid1(VALU_DEP_1)
	v_cndmask_b32_e64 v37, -1, 0xffff8000, vcc_lo
	v_xor_b32_e32 v161, v37, v161
	s_delay_alu instid0(VALU_DEP_1) | instskip(SKIP_1) | instid1(VALU_DEP_1)
	v_cmp_ne_u16_e64 vcc_lo, 0x7fff, v161
	v_cndmask_b32_e32 v37, 0xffff8000, v161, vcc_lo
	v_and_b32_e32 v37, 0xffff, v37
	s_delay_alu instid0(VALU_DEP_1) | instskip(NEXT) | instid1(VALU_DEP_1)
	v_lshrrev_b32_e32 v37, s49, v37
	v_and_b32_e32 v37, s55, v37
	s_delay_alu instid0(VALU_DEP_1)
	v_and_b32_e32 v166, 1, v37
	v_lshlrev_b32_e32 v167, 30, v37
	v_lshlrev_b32_e32 v168, 29, v37
	;; [unrolled: 1-line block ×4, first 2 shown]
	v_add_co_u32 v166, s16, v166, -1
	s_delay_alu instid0(VALU_DEP_1)
	v_cndmask_b32_e64 v172, 0, 1, s16
	v_not_b32_e32 v176, v167
	v_cmp_gt_i32_e64 s16, 0, v167
	v_not_b32_e32 v167, v168
	v_lshlrev_b32_e32 v174, 26, v37
	v_cmp_ne_u32_e32 vcc_lo, 0, v172
	v_ashrrev_i32_e32 v176, 31, v176
	v_lshlrev_b32_e32 v175, 25, v37
	v_ashrrev_i32_e32 v167, 31, v167
	v_lshlrev_b32_e32 v172, 24, v37
	v_xor_b32_e32 v166, vcc_lo, v166
	v_cmp_gt_i32_e32 vcc_lo, 0, v168
	v_not_b32_e32 v168, v171
	v_xor_b32_e32 v176, s16, v176
	v_cmp_gt_i32_e64 s16, 0, v171
	v_and_b32_e32 v166, exec_lo, v166
	v_not_b32_e32 v171, v173
	v_ashrrev_i32_e32 v168, 31, v168
	v_xor_b32_e32 v167, vcc_lo, v167
	v_cmp_gt_i32_e32 vcc_lo, 0, v173
	v_and_b32_e32 v166, v166, v176
	v_not_b32_e32 v173, v174
	v_ashrrev_i32_e32 v171, 31, v171
	v_xor_b32_e32 v168, s16, v168
	v_cmp_gt_i32_e64 s16, 0, v174
	v_and_b32_e32 v166, v166, v167
	v_not_b32_e32 v167, v175
	v_ashrrev_i32_e32 v173, 31, v173
	v_xor_b32_e32 v171, vcc_lo, v171
	v_cmp_gt_i32_e32 vcc_lo, 0, v175
	v_and_b32_e32 v166, v166, v168
	v_not_b32_e32 v168, v172
	v_ashrrev_i32_e32 v167, 31, v167
	v_xor_b32_e32 v173, s16, v173
	v_mul_u32_u24_e32 v37, 9, v37
	v_and_b32_e32 v166, v166, v171
	v_cmp_gt_i32_e64 s16, 0, v172
	v_ashrrev_i32_e32 v168, 31, v168
	v_xor_b32_e32 v167, vcc_lo, v167
	v_add_lshl_u32 v171, v37, v126, 2
	v_and_b32_e32 v166, v166, v173
	s_delay_alu instid0(VALU_DEP_4) | instskip(NEXT) | instid1(VALU_DEP_3)
	v_xor_b32_e32 v37, s16, v168
	v_add_nc_u32_e32 v168, 0x420, v171
	s_delay_alu instid0(VALU_DEP_3) | instskip(SKIP_2) | instid1(VALU_DEP_1)
	v_and_b32_e32 v167, v166, v167
	ds_load_b32 v166, v171 offset:1056
	; wave barrier
	v_and_b32_e32 v37, v167, v37
	v_mbcnt_lo_u32_b32 v167, v37, 0
	v_cmp_ne_u32_e64 s16, 0, v37
	s_delay_alu instid0(VALU_DEP_2) | instskip(NEXT) | instid1(VALU_DEP_2)
	v_cmp_eq_u32_e32 vcc_lo, 0, v167
	s_and_b32 s17, s16, vcc_lo
	s_delay_alu instid0(SALU_CYCLE_1)
	s_and_saveexec_b32 s16, s17
	s_cbranch_execz .LBB2057_736
; %bb.735:                              ;   in Loop: Header=BB2057_688 Depth=2
	s_waitcnt lgkmcnt(0)
	v_bcnt_u32_b32 v37, v37, v166
	ds_store_b32 v168, v37
.LBB2057_736:                           ;   in Loop: Header=BB2057_688 Depth=2
	s_or_b32 exec_lo, exec_lo, s16
	v_cmp_lt_i16_e64 vcc_lo, -1, v165
	; wave barrier
	s_delay_alu instid0(VALU_DEP_1) | instskip(NEXT) | instid1(VALU_DEP_1)
	v_cndmask_b32_e64 v37, -1, 0xffff8000, vcc_lo
	v_xor_b32_e32 v165, v37, v165
	s_delay_alu instid0(VALU_DEP_1) | instskip(SKIP_1) | instid1(VALU_DEP_1)
	v_cmp_ne_u16_e64 vcc_lo, 0x7fff, v165
	v_cndmask_b32_e32 v37, 0xffff8000, v165, vcc_lo
	v_and_b32_e32 v37, 0xffff, v37
	s_delay_alu instid0(VALU_DEP_1) | instskip(NEXT) | instid1(VALU_DEP_1)
	v_lshrrev_b32_e32 v37, s49, v37
	v_and_b32_e32 v37, s55, v37
	s_delay_alu instid0(VALU_DEP_1)
	v_and_b32_e32 v171, 1, v37
	v_lshlrev_b32_e32 v172, 30, v37
	v_lshlrev_b32_e32 v173, 29, v37
	;; [unrolled: 1-line block ×4, first 2 shown]
	v_add_co_u32 v171, s16, v171, -1
	s_delay_alu instid0(VALU_DEP_1)
	v_cndmask_b32_e64 v175, 0, 1, s16
	v_not_b32_e32 v179, v172
	v_cmp_gt_i32_e64 s16, 0, v172
	v_not_b32_e32 v172, v173
	v_lshlrev_b32_e32 v177, 26, v37
	v_cmp_ne_u32_e32 vcc_lo, 0, v175
	v_ashrrev_i32_e32 v179, 31, v179
	v_lshlrev_b32_e32 v178, 25, v37
	v_ashrrev_i32_e32 v172, 31, v172
	v_lshlrev_b32_e32 v175, 24, v37
	v_xor_b32_e32 v171, vcc_lo, v171
	v_cmp_gt_i32_e32 vcc_lo, 0, v173
	v_not_b32_e32 v173, v174
	v_xor_b32_e32 v179, s16, v179
	v_cmp_gt_i32_e64 s16, 0, v174
	v_and_b32_e32 v171, exec_lo, v171
	v_not_b32_e32 v174, v176
	v_ashrrev_i32_e32 v173, 31, v173
	v_xor_b32_e32 v172, vcc_lo, v172
	v_cmp_gt_i32_e32 vcc_lo, 0, v176
	v_and_b32_e32 v171, v171, v179
	v_not_b32_e32 v176, v177
	v_ashrrev_i32_e32 v174, 31, v174
	v_xor_b32_e32 v173, s16, v173
	v_cmp_gt_i32_e64 s16, 0, v177
	v_and_b32_e32 v171, v171, v172
	v_not_b32_e32 v172, v178
	v_ashrrev_i32_e32 v176, 31, v176
	v_xor_b32_e32 v174, vcc_lo, v174
	v_cmp_gt_i32_e32 vcc_lo, 0, v178
	v_and_b32_e32 v171, v171, v173
	v_not_b32_e32 v173, v175
	v_ashrrev_i32_e32 v172, 31, v172
	v_xor_b32_e32 v176, s16, v176
	v_mul_u32_u24_e32 v37, 9, v37
	v_and_b32_e32 v171, v171, v174
	v_cmp_gt_i32_e64 s16, 0, v175
	v_ashrrev_i32_e32 v173, 31, v173
	v_xor_b32_e32 v172, vcc_lo, v172
	v_add_lshl_u32 v174, v37, v126, 2
	v_and_b32_e32 v171, v171, v176
	s_delay_alu instid0(VALU_DEP_4) | instskip(NEXT) | instid1(VALU_DEP_3)
	v_xor_b32_e32 v37, s16, v173
	v_add_nc_u32_e32 v173, 0x420, v174
	s_delay_alu instid0(VALU_DEP_3) | instskip(SKIP_2) | instid1(VALU_DEP_1)
	v_and_b32_e32 v172, v171, v172
	ds_load_b32 v171, v174 offset:1056
	; wave barrier
	v_and_b32_e32 v37, v172, v37
	v_mbcnt_lo_u32_b32 v172, v37, 0
	v_cmp_ne_u32_e64 s16, 0, v37
	s_delay_alu instid0(VALU_DEP_2) | instskip(NEXT) | instid1(VALU_DEP_2)
	v_cmp_eq_u32_e32 vcc_lo, 0, v172
	s_and_b32 s17, s16, vcc_lo
	s_delay_alu instid0(SALU_CYCLE_1)
	s_and_saveexec_b32 s16, s17
	s_cbranch_execz .LBB2057_738
; %bb.737:                              ;   in Loop: Header=BB2057_688 Depth=2
	s_waitcnt lgkmcnt(0)
	v_bcnt_u32_b32 v37, v37, v171
	ds_store_b32 v173, v37
.LBB2057_738:                           ;   in Loop: Header=BB2057_688 Depth=2
	s_or_b32 exec_lo, exec_lo, s16
	v_cmp_lt_i16_e64 vcc_lo, -1, v170
	; wave barrier
	s_delay_alu instid0(VALU_DEP_1) | instskip(NEXT) | instid1(VALU_DEP_1)
	v_cndmask_b32_e64 v37, -1, 0xffff8000, vcc_lo
	v_xor_b32_e32 v170, v37, v170
	s_delay_alu instid0(VALU_DEP_1) | instskip(SKIP_1) | instid1(VALU_DEP_1)
	v_cmp_ne_u16_e64 vcc_lo, 0x7fff, v170
	v_cndmask_b32_e32 v37, 0xffff8000, v170, vcc_lo
	v_and_b32_e32 v37, 0xffff, v37
	s_delay_alu instid0(VALU_DEP_1) | instskip(NEXT) | instid1(VALU_DEP_1)
	v_lshrrev_b32_e32 v37, s49, v37
	v_and_b32_e32 v37, s55, v37
	s_delay_alu instid0(VALU_DEP_1)
	v_and_b32_e32 v174, 1, v37
	v_lshlrev_b32_e32 v175, 30, v37
	v_lshlrev_b32_e32 v176, 29, v37
	v_lshlrev_b32_e32 v177, 28, v37
	v_lshlrev_b32_e32 v179, 27, v37
	v_add_co_u32 v174, s16, v174, -1
	s_delay_alu instid0(VALU_DEP_1)
	v_cndmask_b32_e64 v178, 0, 1, s16
	v_not_b32_e32 v182, v175
	v_cmp_gt_i32_e64 s16, 0, v175
	v_not_b32_e32 v175, v176
	v_lshlrev_b32_e32 v180, 26, v37
	v_cmp_ne_u32_e32 vcc_lo, 0, v178
	v_ashrrev_i32_e32 v182, 31, v182
	v_lshlrev_b32_e32 v181, 25, v37
	v_ashrrev_i32_e32 v175, 31, v175
	v_lshlrev_b32_e32 v178, 24, v37
	v_xor_b32_e32 v174, vcc_lo, v174
	v_cmp_gt_i32_e32 vcc_lo, 0, v176
	v_not_b32_e32 v176, v177
	v_xor_b32_e32 v182, s16, v182
	v_cmp_gt_i32_e64 s16, 0, v177
	v_and_b32_e32 v174, exec_lo, v174
	v_not_b32_e32 v177, v179
	v_ashrrev_i32_e32 v176, 31, v176
	v_xor_b32_e32 v175, vcc_lo, v175
	v_cmp_gt_i32_e32 vcc_lo, 0, v179
	v_and_b32_e32 v174, v174, v182
	v_not_b32_e32 v179, v180
	v_ashrrev_i32_e32 v177, 31, v177
	v_xor_b32_e32 v176, s16, v176
	v_cmp_gt_i32_e64 s16, 0, v180
	v_and_b32_e32 v174, v174, v175
	v_not_b32_e32 v175, v181
	v_ashrrev_i32_e32 v179, 31, v179
	v_xor_b32_e32 v177, vcc_lo, v177
	v_cmp_gt_i32_e32 vcc_lo, 0, v181
	v_and_b32_e32 v174, v174, v176
	v_not_b32_e32 v176, v178
	v_ashrrev_i32_e32 v175, 31, v175
	v_xor_b32_e32 v179, s16, v179
	v_mul_u32_u24_e32 v37, 9, v37
	v_and_b32_e32 v174, v174, v177
	v_cmp_gt_i32_e64 s16, 0, v178
	v_ashrrev_i32_e32 v176, 31, v176
	v_xor_b32_e32 v175, vcc_lo, v175
	v_add_lshl_u32 v177, v37, v126, 2
	v_and_b32_e32 v174, v174, v179
	s_delay_alu instid0(VALU_DEP_4) | instskip(NEXT) | instid1(VALU_DEP_3)
	v_xor_b32_e32 v37, s16, v176
	v_add_nc_u32_e32 v176, 0x420, v177
	s_delay_alu instid0(VALU_DEP_3) | instskip(SKIP_2) | instid1(VALU_DEP_1)
	v_and_b32_e32 v175, v174, v175
	ds_load_b32 v174, v177 offset:1056
	; wave barrier
	v_and_b32_e32 v37, v175, v37
	v_mbcnt_lo_u32_b32 v175, v37, 0
	v_cmp_ne_u32_e64 s16, 0, v37
	s_delay_alu instid0(VALU_DEP_2) | instskip(NEXT) | instid1(VALU_DEP_2)
	v_cmp_eq_u32_e32 vcc_lo, 0, v175
	s_and_b32 s17, s16, vcc_lo
	s_delay_alu instid0(SALU_CYCLE_1)
	s_and_saveexec_b32 s16, s17
	s_cbranch_execz .LBB2057_740
; %bb.739:                              ;   in Loop: Header=BB2057_688 Depth=2
	s_waitcnt lgkmcnt(0)
	v_bcnt_u32_b32 v37, v37, v174
	ds_store_b32 v176, v37
.LBB2057_740:                           ;   in Loop: Header=BB2057_688 Depth=2
	s_or_b32 exec_lo, exec_lo, s16
	v_cmp_lt_i16_e64 vcc_lo, -1, v169
	; wave barrier
	s_delay_alu instid0(VALU_DEP_1) | instskip(NEXT) | instid1(VALU_DEP_1)
	v_cndmask_b32_e64 v37, -1, 0xffff8000, vcc_lo
	v_xor_b32_e32 v169, v37, v169
	s_delay_alu instid0(VALU_DEP_1) | instskip(SKIP_1) | instid1(VALU_DEP_1)
	v_cmp_ne_u16_e64 vcc_lo, 0x7fff, v169
	v_cndmask_b32_e32 v37, 0xffff8000, v169, vcc_lo
	v_and_b32_e32 v37, 0xffff, v37
	s_delay_alu instid0(VALU_DEP_1) | instskip(NEXT) | instid1(VALU_DEP_1)
	v_lshrrev_b32_e32 v37, s49, v37
	v_and_b32_e32 v37, s55, v37
	s_delay_alu instid0(VALU_DEP_1)
	v_and_b32_e32 v177, 1, v37
	v_lshlrev_b32_e32 v178, 30, v37
	v_lshlrev_b32_e32 v179, 29, v37
	;; [unrolled: 1-line block ×4, first 2 shown]
	v_add_co_u32 v177, s16, v177, -1
	s_delay_alu instid0(VALU_DEP_1)
	v_cndmask_b32_e64 v181, 0, 1, s16
	v_not_b32_e32 v185, v178
	v_cmp_gt_i32_e64 s16, 0, v178
	v_not_b32_e32 v178, v179
	v_lshlrev_b32_e32 v183, 26, v37
	v_cmp_ne_u32_e32 vcc_lo, 0, v181
	v_ashrrev_i32_e32 v185, 31, v185
	v_lshlrev_b32_e32 v184, 25, v37
	v_ashrrev_i32_e32 v178, 31, v178
	v_lshlrev_b32_e32 v181, 24, v37
	v_xor_b32_e32 v177, vcc_lo, v177
	v_cmp_gt_i32_e32 vcc_lo, 0, v179
	v_not_b32_e32 v179, v180
	v_xor_b32_e32 v185, s16, v185
	v_cmp_gt_i32_e64 s16, 0, v180
	v_and_b32_e32 v177, exec_lo, v177
	v_not_b32_e32 v180, v182
	v_ashrrev_i32_e32 v179, 31, v179
	v_xor_b32_e32 v178, vcc_lo, v178
	v_cmp_gt_i32_e32 vcc_lo, 0, v182
	v_and_b32_e32 v177, v177, v185
	v_not_b32_e32 v182, v183
	v_ashrrev_i32_e32 v180, 31, v180
	v_xor_b32_e32 v179, s16, v179
	v_cmp_gt_i32_e64 s16, 0, v183
	v_and_b32_e32 v177, v177, v178
	v_not_b32_e32 v178, v184
	v_ashrrev_i32_e32 v182, 31, v182
	v_xor_b32_e32 v180, vcc_lo, v180
	v_cmp_gt_i32_e32 vcc_lo, 0, v184
	v_and_b32_e32 v177, v177, v179
	v_not_b32_e32 v179, v181
	v_ashrrev_i32_e32 v178, 31, v178
	v_xor_b32_e32 v182, s16, v182
	v_mul_u32_u24_e32 v37, 9, v37
	v_and_b32_e32 v177, v177, v180
	v_cmp_gt_i32_e64 s16, 0, v181
	v_ashrrev_i32_e32 v179, 31, v179
	v_xor_b32_e32 v178, vcc_lo, v178
	v_add_lshl_u32 v180, v37, v126, 2
	v_and_b32_e32 v177, v177, v182
	s_delay_alu instid0(VALU_DEP_4) | instskip(NEXT) | instid1(VALU_DEP_2)
	v_xor_b32_e32 v37, s16, v179
	v_and_b32_e32 v177, v177, v178
	ds_load_b32 v178, v180 offset:1056
	v_add_nc_u32_e32 v180, 0x420, v180
	; wave barrier
	v_and_b32_e32 v37, v177, v37
	s_delay_alu instid0(VALU_DEP_1) | instskip(SKIP_1) | instid1(VALU_DEP_2)
	v_mbcnt_lo_u32_b32 v179, v37, 0
	v_cmp_ne_u32_e64 s16, 0, v37
	v_cmp_eq_u32_e32 vcc_lo, 0, v179
	s_delay_alu instid0(VALU_DEP_2) | instskip(NEXT) | instid1(SALU_CYCLE_1)
	s_and_b32 s17, s16, vcc_lo
	s_and_saveexec_b32 s16, s17
	s_cbranch_execz .LBB2057_742
; %bb.741:                              ;   in Loop: Header=BB2057_688 Depth=2
	s_waitcnt lgkmcnt(0)
	v_bcnt_u32_b32 v37, v37, v178
	ds_store_b32 v180, v37
.LBB2057_742:                           ;   in Loop: Header=BB2057_688 Depth=2
	s_or_b32 exec_lo, exec_lo, s16
	v_cmp_lt_i16_e32 vcc_lo, -1, v43
	; wave barrier
	v_cndmask_b32_e64 v37, -1, 0xffff8000, vcc_lo
	s_delay_alu instid0(VALU_DEP_1) | instskip(NEXT) | instid1(VALU_DEP_1)
	v_xor_b32_e32 v177, v37, v43
	v_cmp_ne_u16_e64 vcc_lo, 0x7fff, v177
	v_cndmask_b32_e32 v37, 0xffff8000, v177, vcc_lo
	s_delay_alu instid0(VALU_DEP_1) | instskip(NEXT) | instid1(VALU_DEP_1)
	v_and_b32_e32 v37, 0xffff, v37
	v_lshrrev_b32_e32 v37, s49, v37
	s_delay_alu instid0(VALU_DEP_1) | instskip(NEXT) | instid1(VALU_DEP_1)
	v_and_b32_e32 v37, s55, v37
	v_and_b32_e32 v43, 1, v37
	v_lshlrev_b32_e32 v181, 30, v37
	v_lshlrev_b32_e32 v182, 29, v37
	;; [unrolled: 1-line block ×4, first 2 shown]
	v_add_co_u32 v43, s16, v43, -1
	s_delay_alu instid0(VALU_DEP_1)
	v_cndmask_b32_e64 v184, 0, 1, s16
	v_not_b32_e32 v188, v181
	v_cmp_gt_i32_e64 s16, 0, v181
	v_not_b32_e32 v181, v182
	v_lshlrev_b32_e32 v186, 26, v37
	v_cmp_ne_u32_e32 vcc_lo, 0, v184
	v_ashrrev_i32_e32 v188, 31, v188
	v_lshlrev_b32_e32 v187, 25, v37
	v_ashrrev_i32_e32 v181, 31, v181
	v_lshlrev_b32_e32 v184, 24, v37
	v_xor_b32_e32 v43, vcc_lo, v43
	v_cmp_gt_i32_e32 vcc_lo, 0, v182
	v_not_b32_e32 v182, v183
	v_xor_b32_e32 v188, s16, v188
	v_cmp_gt_i32_e64 s16, 0, v183
	v_and_b32_e32 v43, exec_lo, v43
	v_not_b32_e32 v183, v185
	v_ashrrev_i32_e32 v182, 31, v182
	v_xor_b32_e32 v181, vcc_lo, v181
	v_cmp_gt_i32_e32 vcc_lo, 0, v185
	v_and_b32_e32 v43, v43, v188
	v_not_b32_e32 v185, v186
	v_ashrrev_i32_e32 v183, 31, v183
	v_xor_b32_e32 v182, s16, v182
	v_cmp_gt_i32_e64 s16, 0, v186
	v_and_b32_e32 v43, v43, v181
	v_not_b32_e32 v181, v187
	v_ashrrev_i32_e32 v185, 31, v185
	v_xor_b32_e32 v183, vcc_lo, v183
	v_cmp_gt_i32_e32 vcc_lo, 0, v187
	v_and_b32_e32 v43, v43, v182
	v_not_b32_e32 v182, v184
	v_ashrrev_i32_e32 v181, 31, v181
	v_xor_b32_e32 v185, s16, v185
	v_mul_u32_u24_e32 v37, 9, v37
	v_and_b32_e32 v43, v43, v183
	v_cmp_gt_i32_e64 s16, 0, v184
	v_ashrrev_i32_e32 v182, 31, v182
	v_xor_b32_e32 v181, vcc_lo, v181
	v_add_lshl_u32 v184, v37, v126, 2
	v_and_b32_e32 v43, v43, v185
	s_delay_alu instid0(VALU_DEP_4) | instskip(SKIP_3) | instid1(VALU_DEP_2)
	v_xor_b32_e32 v37, s16, v182
	ds_load_b32 v182, v184 offset:1056
	v_and_b32_e32 v43, v43, v181
	v_add_nc_u32_e32 v184, 0x420, v184
	; wave barrier
	v_and_b32_e32 v37, v43, v37
	s_delay_alu instid0(VALU_DEP_1) | instskip(SKIP_1) | instid1(VALU_DEP_2)
	v_mbcnt_lo_u32_b32 v183, v37, 0
	v_cmp_ne_u32_e64 s16, 0, v37
	v_cmp_eq_u32_e32 vcc_lo, 0, v183
	s_delay_alu instid0(VALU_DEP_2) | instskip(NEXT) | instid1(SALU_CYCLE_1)
	s_and_b32 s17, s16, vcc_lo
	s_and_saveexec_b32 s16, s17
	s_cbranch_execz .LBB2057_744
; %bb.743:                              ;   in Loop: Header=BB2057_688 Depth=2
	s_waitcnt lgkmcnt(0)
	v_bcnt_u32_b32 v37, v37, v182
	ds_store_b32 v184, v37
.LBB2057_744:                           ;   in Loop: Header=BB2057_688 Depth=2
	s_or_b32 exec_lo, exec_lo, s16
	v_cmp_lt_i16_e32 vcc_lo, -1, v42
	; wave barrier
	v_cndmask_b32_e64 v37, -1, 0xffff8000, vcc_lo
	s_delay_alu instid0(VALU_DEP_1) | instskip(NEXT) | instid1(VALU_DEP_1)
	v_xor_b32_e32 v181, v37, v42
	v_cmp_ne_u16_e64 vcc_lo, 0x7fff, v181
	v_cndmask_b32_e32 v37, 0xffff8000, v181, vcc_lo
	s_delay_alu instid0(VALU_DEP_1) | instskip(NEXT) | instid1(VALU_DEP_1)
	v_and_b32_e32 v37, 0xffff, v37
	v_lshrrev_b32_e32 v37, s49, v37
	s_delay_alu instid0(VALU_DEP_1) | instskip(NEXT) | instid1(VALU_DEP_1)
	v_and_b32_e32 v37, s55, v37
	v_and_b32_e32 v42, 1, v37
	v_lshlrev_b32_e32 v43, 30, v37
	v_lshlrev_b32_e32 v185, 29, v37
	;; [unrolled: 1-line block ×4, first 2 shown]
	v_add_co_u32 v42, s16, v42, -1
	s_delay_alu instid0(VALU_DEP_1)
	v_cndmask_b32_e64 v187, 0, 1, s16
	v_not_b32_e32 v191, v43
	v_cmp_gt_i32_e64 s16, 0, v43
	v_not_b32_e32 v43, v185
	v_lshlrev_b32_e32 v189, 26, v37
	v_cmp_ne_u32_e32 vcc_lo, 0, v187
	v_ashrrev_i32_e32 v191, 31, v191
	v_lshlrev_b32_e32 v190, 25, v37
	v_ashrrev_i32_e32 v43, 31, v43
	v_lshlrev_b32_e32 v187, 24, v37
	v_xor_b32_e32 v42, vcc_lo, v42
	v_cmp_gt_i32_e32 vcc_lo, 0, v185
	v_not_b32_e32 v185, v186
	v_xor_b32_e32 v191, s16, v191
	v_cmp_gt_i32_e64 s16, 0, v186
	v_and_b32_e32 v42, exec_lo, v42
	v_not_b32_e32 v186, v188
	v_ashrrev_i32_e32 v185, 31, v185
	v_xor_b32_e32 v43, vcc_lo, v43
	v_cmp_gt_i32_e32 vcc_lo, 0, v188
	v_and_b32_e32 v42, v42, v191
	v_not_b32_e32 v188, v189
	v_ashrrev_i32_e32 v186, 31, v186
	v_xor_b32_e32 v185, s16, v185
	v_cmp_gt_i32_e64 s16, 0, v189
	v_and_b32_e32 v42, v42, v43
	v_not_b32_e32 v43, v190
	v_ashrrev_i32_e32 v188, 31, v188
	v_xor_b32_e32 v186, vcc_lo, v186
	v_cmp_gt_i32_e32 vcc_lo, 0, v190
	v_and_b32_e32 v42, v42, v185
	v_not_b32_e32 v185, v187
	v_ashrrev_i32_e32 v43, 31, v43
	v_xor_b32_e32 v188, s16, v188
	v_mul_u32_u24_e32 v37, 9, v37
	v_and_b32_e32 v42, v42, v186
	v_cmp_gt_i32_e64 s16, 0, v187
	v_ashrrev_i32_e32 v185, 31, v185
	v_xor_b32_e32 v43, vcc_lo, v43
	s_delay_alu instid0(VALU_DEP_4) | instskip(SKIP_1) | instid1(VALU_DEP_4)
	v_and_b32_e32 v42, v42, v188
	v_add_lshl_u32 v188, v37, v126, 2
	v_xor_b32_e32 v37, s16, v185
	s_delay_alu instid0(VALU_DEP_3) | instskip(SKIP_3) | instid1(VALU_DEP_1)
	v_and_b32_e32 v42, v42, v43
	ds_load_b32 v186, v188 offset:1056
	v_add_nc_u32_e32 v188, 0x420, v188
	; wave barrier
	v_and_b32_e32 v37, v42, v37
	v_mbcnt_lo_u32_b32 v187, v37, 0
	v_cmp_ne_u32_e64 s16, 0, v37
	s_delay_alu instid0(VALU_DEP_2) | instskip(NEXT) | instid1(VALU_DEP_2)
	v_cmp_eq_u32_e32 vcc_lo, 0, v187
	s_and_b32 s17, s16, vcc_lo
	s_delay_alu instid0(SALU_CYCLE_1)
	s_and_saveexec_b32 s16, s17
	s_cbranch_execz .LBB2057_746
; %bb.745:                              ;   in Loop: Header=BB2057_688 Depth=2
	s_waitcnt lgkmcnt(0)
	v_bcnt_u32_b32 v37, v37, v186
	ds_store_b32 v188, v37
.LBB2057_746:                           ;   in Loop: Header=BB2057_688 Depth=2
	s_or_b32 exec_lo, exec_lo, s16
	v_cmp_lt_i16_e32 vcc_lo, -1, v41
	; wave barrier
	v_cndmask_b32_e64 v37, -1, 0xffff8000, vcc_lo
	s_delay_alu instid0(VALU_DEP_1) | instskip(NEXT) | instid1(VALU_DEP_1)
	v_xor_b32_e32 v185, v37, v41
	v_cmp_ne_u16_e64 vcc_lo, 0x7fff, v185
	v_cndmask_b32_e32 v37, 0xffff8000, v185, vcc_lo
	s_delay_alu instid0(VALU_DEP_1) | instskip(NEXT) | instid1(VALU_DEP_1)
	v_and_b32_e32 v37, 0xffff, v37
	v_lshrrev_b32_e32 v37, s49, v37
	s_delay_alu instid0(VALU_DEP_1) | instskip(NEXT) | instid1(VALU_DEP_1)
	v_and_b32_e32 v37, s55, v37
	v_and_b32_e32 v41, 1, v37
	v_lshlrev_b32_e32 v42, 30, v37
	v_lshlrev_b32_e32 v43, 29, v37
	;; [unrolled: 1-line block ×4, first 2 shown]
	v_add_co_u32 v41, s16, v41, -1
	s_delay_alu instid0(VALU_DEP_1)
	v_cndmask_b32_e64 v190, 0, 1, s16
	v_not_b32_e32 v194, v42
	v_cmp_gt_i32_e64 s16, 0, v42
	v_not_b32_e32 v42, v43
	v_lshlrev_b32_e32 v192, 26, v37
	v_cmp_ne_u32_e32 vcc_lo, 0, v190
	v_ashrrev_i32_e32 v194, 31, v194
	v_lshlrev_b32_e32 v193, 25, v37
	v_ashrrev_i32_e32 v42, 31, v42
	v_lshlrev_b32_e32 v190, 24, v37
	v_xor_b32_e32 v41, vcc_lo, v41
	v_cmp_gt_i32_e32 vcc_lo, 0, v43
	v_not_b32_e32 v43, v189
	v_xor_b32_e32 v194, s16, v194
	v_cmp_gt_i32_e64 s16, 0, v189
	v_and_b32_e32 v41, exec_lo, v41
	v_not_b32_e32 v189, v191
	v_ashrrev_i32_e32 v43, 31, v43
	v_xor_b32_e32 v42, vcc_lo, v42
	v_cmp_gt_i32_e32 vcc_lo, 0, v191
	v_and_b32_e32 v41, v41, v194
	v_not_b32_e32 v191, v192
	v_ashrrev_i32_e32 v189, 31, v189
	v_xor_b32_e32 v43, s16, v43
	v_cmp_gt_i32_e64 s16, 0, v192
	v_and_b32_e32 v41, v41, v42
	v_not_b32_e32 v42, v193
	v_ashrrev_i32_e32 v191, 31, v191
	v_xor_b32_e32 v189, vcc_lo, v189
	v_cmp_gt_i32_e32 vcc_lo, 0, v193
	v_and_b32_e32 v41, v41, v43
	v_not_b32_e32 v43, v190
	v_ashrrev_i32_e32 v42, 31, v42
	v_xor_b32_e32 v191, s16, v191
	v_mul_u32_u24_e32 v37, 9, v37
	v_and_b32_e32 v41, v41, v189
	v_cmp_gt_i32_e64 s16, 0, v190
	v_ashrrev_i32_e32 v43, 31, v43
	v_xor_b32_e32 v42, vcc_lo, v42
	v_add_lshl_u32 v189, v37, v126, 2
	v_and_b32_e32 v41, v41, v191
	s_delay_alu instid0(VALU_DEP_4) | instskip(SKIP_3) | instid1(VALU_DEP_2)
	v_xor_b32_e32 v37, s16, v43
	ds_load_b32 v190, v189 offset:1056
	v_and_b32_e32 v41, v41, v42
	v_add_nc_u32_e32 v192, 0x420, v189
	; wave barrier
	v_and_b32_e32 v37, v41, v37
	s_delay_alu instid0(VALU_DEP_1) | instskip(SKIP_1) | instid1(VALU_DEP_2)
	v_mbcnt_lo_u32_b32 v191, v37, 0
	v_cmp_ne_u32_e64 s16, 0, v37
	v_cmp_eq_u32_e32 vcc_lo, 0, v191
	s_delay_alu instid0(VALU_DEP_2) | instskip(NEXT) | instid1(SALU_CYCLE_1)
	s_and_b32 s17, s16, vcc_lo
	s_and_saveexec_b32 s16, s17
	s_cbranch_execz .LBB2057_748
; %bb.747:                              ;   in Loop: Header=BB2057_688 Depth=2
	s_waitcnt lgkmcnt(0)
	v_bcnt_u32_b32 v37, v37, v190
	ds_store_b32 v192, v37
.LBB2057_748:                           ;   in Loop: Header=BB2057_688 Depth=2
	s_or_b32 exec_lo, exec_lo, s16
	v_cmp_lt_i16_e32 vcc_lo, -1, v40
	; wave barrier
	v_cndmask_b32_e64 v37, -1, 0xffff8000, vcc_lo
	s_delay_alu instid0(VALU_DEP_1) | instskip(NEXT) | instid1(VALU_DEP_1)
	v_xor_b32_e32 v189, v37, v40
	v_cmp_ne_u16_e64 vcc_lo, 0x7fff, v189
	v_cndmask_b32_e32 v37, 0xffff8000, v189, vcc_lo
	s_delay_alu instid0(VALU_DEP_1) | instskip(NEXT) | instid1(VALU_DEP_1)
	v_and_b32_e32 v37, 0xffff, v37
	v_lshrrev_b32_e32 v37, s49, v37
	s_delay_alu instid0(VALU_DEP_1) | instskip(NEXT) | instid1(VALU_DEP_1)
	v_and_b32_e32 v37, s55, v37
	v_and_b32_e32 v40, 1, v37
	v_lshlrev_b32_e32 v41, 30, v37
	v_lshlrev_b32_e32 v42, 29, v37
	;; [unrolled: 1-line block ×4, first 2 shown]
	v_add_co_u32 v40, s16, v40, -1
	s_delay_alu instid0(VALU_DEP_1)
	v_cndmask_b32_e64 v193, 0, 1, s16
	v_not_b32_e32 v197, v41
	v_cmp_gt_i32_e64 s16, 0, v41
	v_not_b32_e32 v41, v42
	v_lshlrev_b32_e32 v195, 26, v37
	v_cmp_ne_u32_e32 vcc_lo, 0, v193
	v_ashrrev_i32_e32 v197, 31, v197
	v_lshlrev_b32_e32 v196, 25, v37
	v_ashrrev_i32_e32 v41, 31, v41
	v_lshlrev_b32_e32 v193, 24, v37
	v_xor_b32_e32 v40, vcc_lo, v40
	v_cmp_gt_i32_e32 vcc_lo, 0, v42
	v_not_b32_e32 v42, v43
	v_xor_b32_e32 v197, s16, v197
	v_cmp_gt_i32_e64 s16, 0, v43
	v_and_b32_e32 v40, exec_lo, v40
	v_not_b32_e32 v43, v194
	v_ashrrev_i32_e32 v42, 31, v42
	v_xor_b32_e32 v41, vcc_lo, v41
	v_cmp_gt_i32_e32 vcc_lo, 0, v194
	v_and_b32_e32 v40, v40, v197
	v_not_b32_e32 v194, v195
	v_ashrrev_i32_e32 v43, 31, v43
	v_xor_b32_e32 v42, s16, v42
	v_cmp_gt_i32_e64 s16, 0, v195
	v_and_b32_e32 v40, v40, v41
	v_not_b32_e32 v41, v196
	v_ashrrev_i32_e32 v194, 31, v194
	v_xor_b32_e32 v43, vcc_lo, v43
	v_cmp_gt_i32_e32 vcc_lo, 0, v196
	v_and_b32_e32 v40, v40, v42
	v_not_b32_e32 v42, v193
	v_ashrrev_i32_e32 v41, 31, v41
	v_xor_b32_e32 v194, s16, v194
	v_mul_u32_u24_e32 v37, 9, v37
	v_and_b32_e32 v40, v40, v43
	v_cmp_gt_i32_e64 s16, 0, v193
	v_ashrrev_i32_e32 v42, 31, v42
	v_xor_b32_e32 v41, vcc_lo, v41
	v_add_lshl_u32 v43, v37, v126, 2
	v_and_b32_e32 v40, v40, v194
	s_delay_alu instid0(VALU_DEP_4) | instskip(SKIP_3) | instid1(VALU_DEP_2)
	v_xor_b32_e32 v37, s16, v42
	ds_load_b32 v194, v43 offset:1056
	v_and_b32_e32 v40, v40, v41
	v_add_nc_u32_e32 v196, 0x420, v43
	; wave barrier
	v_and_b32_e32 v37, v40, v37
	s_delay_alu instid0(VALU_DEP_1) | instskip(SKIP_1) | instid1(VALU_DEP_2)
	v_mbcnt_lo_u32_b32 v195, v37, 0
	v_cmp_ne_u32_e64 s16, 0, v37
	v_cmp_eq_u32_e32 vcc_lo, 0, v195
	s_delay_alu instid0(VALU_DEP_2) | instskip(NEXT) | instid1(SALU_CYCLE_1)
	s_and_b32 s17, s16, vcc_lo
	s_and_saveexec_b32 s16, s17
	s_cbranch_execz .LBB2057_750
; %bb.749:                              ;   in Loop: Header=BB2057_688 Depth=2
	s_waitcnt lgkmcnt(0)
	v_bcnt_u32_b32 v37, v37, v194
	ds_store_b32 v196, v37
.LBB2057_750:                           ;   in Loop: Header=BB2057_688 Depth=2
	s_or_b32 exec_lo, exec_lo, s16
	v_cmp_lt_i16_e32 vcc_lo, -1, v39
	; wave barrier
	v_cndmask_b32_e64 v37, -1, 0xffff8000, vcc_lo
	s_delay_alu instid0(VALU_DEP_1) | instskip(NEXT) | instid1(VALU_DEP_1)
	v_xor_b32_e32 v193, v37, v39
	v_cmp_ne_u16_e64 vcc_lo, 0x7fff, v193
	v_cndmask_b32_e32 v37, 0xffff8000, v193, vcc_lo
	s_delay_alu instid0(VALU_DEP_1) | instskip(NEXT) | instid1(VALU_DEP_1)
	v_and_b32_e32 v37, 0xffff, v37
	v_lshrrev_b32_e32 v37, s49, v37
	s_delay_alu instid0(VALU_DEP_1) | instskip(NEXT) | instid1(VALU_DEP_1)
	v_and_b32_e32 v37, s55, v37
	v_and_b32_e32 v39, 1, v37
	v_lshlrev_b32_e32 v40, 30, v37
	v_lshlrev_b32_e32 v41, 29, v37
	;; [unrolled: 1-line block ×4, first 2 shown]
	v_add_co_u32 v39, s16, v39, -1
	s_delay_alu instid0(VALU_DEP_1)
	v_cndmask_b32_e64 v43, 0, 1, s16
	v_not_b32_e32 v200, v40
	v_cmp_gt_i32_e64 s16, 0, v40
	v_not_b32_e32 v40, v41
	v_lshlrev_b32_e32 v198, 26, v37
	v_cmp_ne_u32_e32 vcc_lo, 0, v43
	v_ashrrev_i32_e32 v200, 31, v200
	v_lshlrev_b32_e32 v199, 25, v37
	v_ashrrev_i32_e32 v40, 31, v40
	v_lshlrev_b32_e32 v43, 24, v37
	v_xor_b32_e32 v39, vcc_lo, v39
	v_cmp_gt_i32_e32 vcc_lo, 0, v41
	v_not_b32_e32 v41, v42
	v_xor_b32_e32 v200, s16, v200
	v_cmp_gt_i32_e64 s16, 0, v42
	v_and_b32_e32 v39, exec_lo, v39
	v_not_b32_e32 v42, v197
	v_ashrrev_i32_e32 v41, 31, v41
	v_xor_b32_e32 v40, vcc_lo, v40
	v_cmp_gt_i32_e32 vcc_lo, 0, v197
	v_and_b32_e32 v39, v39, v200
	v_not_b32_e32 v197, v198
	v_ashrrev_i32_e32 v42, 31, v42
	v_xor_b32_e32 v41, s16, v41
	v_cmp_gt_i32_e64 s16, 0, v198
	v_and_b32_e32 v39, v39, v40
	v_not_b32_e32 v40, v199
	v_ashrrev_i32_e32 v197, 31, v197
	v_xor_b32_e32 v42, vcc_lo, v42
	v_cmp_gt_i32_e32 vcc_lo, 0, v199
	v_and_b32_e32 v39, v39, v41
	v_not_b32_e32 v41, v43
	v_ashrrev_i32_e32 v40, 31, v40
	v_xor_b32_e32 v197, s16, v197
	v_mul_u32_u24_e32 v37, 9, v37
	v_and_b32_e32 v39, v39, v42
	v_cmp_gt_i32_e64 s16, 0, v43
	v_ashrrev_i32_e32 v41, 31, v41
	v_xor_b32_e32 v40, vcc_lo, v40
	v_add_lshl_u32 v42, v37, v126, 2
	v_and_b32_e32 v39, v39, v197
	s_delay_alu instid0(VALU_DEP_4) | instskip(SKIP_3) | instid1(VALU_DEP_2)
	v_xor_b32_e32 v37, s16, v41
	ds_load_b32 v198, v42 offset:1056
	v_and_b32_e32 v39, v39, v40
	v_add_nc_u32_e32 v200, 0x420, v42
	; wave barrier
	v_and_b32_e32 v37, v39, v37
	s_delay_alu instid0(VALU_DEP_1) | instskip(SKIP_1) | instid1(VALU_DEP_2)
	v_mbcnt_lo_u32_b32 v199, v37, 0
	v_cmp_ne_u32_e64 s16, 0, v37
	v_cmp_eq_u32_e32 vcc_lo, 0, v199
	s_delay_alu instid0(VALU_DEP_2) | instskip(NEXT) | instid1(SALU_CYCLE_1)
	s_and_b32 s17, s16, vcc_lo
	s_and_saveexec_b32 s16, s17
	s_cbranch_execz .LBB2057_752
; %bb.751:                              ;   in Loop: Header=BB2057_688 Depth=2
	s_waitcnt lgkmcnt(0)
	v_bcnt_u32_b32 v37, v37, v198
	ds_store_b32 v200, v37
.LBB2057_752:                           ;   in Loop: Header=BB2057_688 Depth=2
	s_or_b32 exec_lo, exec_lo, s16
	v_cmp_lt_i16_e32 vcc_lo, -1, v38
	; wave barrier
	v_cndmask_b32_e64 v37, -1, 0xffff8000, vcc_lo
	s_delay_alu instid0(VALU_DEP_1) | instskip(NEXT) | instid1(VALU_DEP_1)
	v_xor_b32_e32 v197, v37, v38
	v_cmp_ne_u16_e64 vcc_lo, 0x7fff, v197
	v_cndmask_b32_e32 v37, 0xffff8000, v197, vcc_lo
	s_delay_alu instid0(VALU_DEP_1) | instskip(NEXT) | instid1(VALU_DEP_1)
	v_and_b32_e32 v37, 0xffff, v37
	v_lshrrev_b32_e32 v37, s49, v37
	s_delay_alu instid0(VALU_DEP_1) | instskip(NEXT) | instid1(VALU_DEP_1)
	v_and_b32_e32 v37, s55, v37
	v_and_b32_e32 v38, 1, v37
	v_lshlrev_b32_e32 v39, 30, v37
	v_lshlrev_b32_e32 v40, 29, v37
	;; [unrolled: 1-line block ×4, first 2 shown]
	v_add_co_u32 v38, s16, v38, -1
	s_delay_alu instid0(VALU_DEP_1)
	v_cndmask_b32_e64 v42, 0, 1, s16
	v_not_b32_e32 v203, v39
	v_cmp_gt_i32_e64 s16, 0, v39
	v_not_b32_e32 v39, v40
	v_lshlrev_b32_e32 v201, 26, v37
	v_cmp_ne_u32_e32 vcc_lo, 0, v42
	v_ashrrev_i32_e32 v203, 31, v203
	v_lshlrev_b32_e32 v202, 25, v37
	v_ashrrev_i32_e32 v39, 31, v39
	v_lshlrev_b32_e32 v42, 24, v37
	v_xor_b32_e32 v38, vcc_lo, v38
	v_cmp_gt_i32_e32 vcc_lo, 0, v40
	v_not_b32_e32 v40, v41
	v_xor_b32_e32 v203, s16, v203
	v_cmp_gt_i32_e64 s16, 0, v41
	v_and_b32_e32 v38, exec_lo, v38
	v_not_b32_e32 v41, v43
	v_ashrrev_i32_e32 v40, 31, v40
	v_xor_b32_e32 v39, vcc_lo, v39
	v_cmp_gt_i32_e32 vcc_lo, 0, v43
	v_and_b32_e32 v38, v38, v203
	v_not_b32_e32 v43, v201
	v_ashrrev_i32_e32 v41, 31, v41
	v_xor_b32_e32 v40, s16, v40
	v_cmp_gt_i32_e64 s16, 0, v201
	v_and_b32_e32 v38, v38, v39
	v_not_b32_e32 v39, v202
	v_ashrrev_i32_e32 v43, 31, v43
	v_xor_b32_e32 v41, vcc_lo, v41
	v_cmp_gt_i32_e32 vcc_lo, 0, v202
	v_and_b32_e32 v38, v38, v40
	v_not_b32_e32 v40, v42
	v_ashrrev_i32_e32 v39, 31, v39
	v_xor_b32_e32 v43, s16, v43
	v_mul_u32_u24_e32 v37, 9, v37
	v_and_b32_e32 v38, v38, v41
	v_cmp_gt_i32_e64 s16, 0, v42
	v_ashrrev_i32_e32 v40, 31, v40
	v_xor_b32_e32 v39, vcc_lo, v39
	v_add_lshl_u32 v41, v37, v126, 2
	v_and_b32_e32 v38, v38, v43
	s_delay_alu instid0(VALU_DEP_4) | instskip(SKIP_3) | instid1(VALU_DEP_2)
	v_xor_b32_e32 v37, s16, v40
	ds_load_b32 v202, v41 offset:1056
	v_and_b32_e32 v38, v38, v39
	v_add_nc_u32_e32 v204, 0x420, v41
	; wave barrier
	v_and_b32_e32 v37, v38, v37
	s_delay_alu instid0(VALU_DEP_1) | instskip(SKIP_1) | instid1(VALU_DEP_2)
	v_mbcnt_lo_u32_b32 v203, v37, 0
	v_cmp_ne_u32_e64 s16, 0, v37
	v_cmp_eq_u32_e32 vcc_lo, 0, v203
	s_delay_alu instid0(VALU_DEP_2) | instskip(NEXT) | instid1(SALU_CYCLE_1)
	s_and_b32 s17, s16, vcc_lo
	s_and_saveexec_b32 s16, s17
	s_cbranch_execz .LBB2057_754
; %bb.753:                              ;   in Loop: Header=BB2057_688 Depth=2
	s_waitcnt lgkmcnt(0)
	v_bcnt_u32_b32 v37, v37, v202
	ds_store_b32 v204, v37
.LBB2057_754:                           ;   in Loop: Header=BB2057_688 Depth=2
	s_or_b32 exec_lo, exec_lo, s16
	v_cmp_lt_i16_e32 vcc_lo, -1, v36
	; wave barrier
	v_cndmask_b32_e64 v37, -1, 0xffff8000, vcc_lo
	s_delay_alu instid0(VALU_DEP_1) | instskip(NEXT) | instid1(VALU_DEP_1)
	v_xor_b32_e32 v201, v37, v36
	v_cmp_ne_u16_e64 vcc_lo, 0x7fff, v201
	v_cndmask_b32_e32 v36, 0xffff8000, v201, vcc_lo
	s_delay_alu instid0(VALU_DEP_1) | instskip(NEXT) | instid1(VALU_DEP_1)
	v_and_b32_e32 v36, 0xffff, v36
	v_lshrrev_b32_e32 v36, s49, v36
	s_delay_alu instid0(VALU_DEP_1) | instskip(NEXT) | instid1(VALU_DEP_1)
	v_and_b32_e32 v36, s55, v36
	v_and_b32_e32 v37, 1, v36
	v_lshlrev_b32_e32 v38, 30, v36
	v_lshlrev_b32_e32 v39, 29, v36
	;; [unrolled: 1-line block ×4, first 2 shown]
	v_add_co_u32 v37, s16, v37, -1
	s_delay_alu instid0(VALU_DEP_1)
	v_cndmask_b32_e64 v41, 0, 1, s16
	v_not_b32_e32 v206, v38
	v_cmp_gt_i32_e64 s16, 0, v38
	v_not_b32_e32 v38, v39
	v_lshlrev_b32_e32 v43, 26, v36
	v_cmp_ne_u32_e32 vcc_lo, 0, v41
	v_ashrrev_i32_e32 v206, 31, v206
	v_lshlrev_b32_e32 v205, 25, v36
	v_ashrrev_i32_e32 v38, 31, v38
	v_lshlrev_b32_e32 v41, 24, v36
	v_xor_b32_e32 v37, vcc_lo, v37
	v_cmp_gt_i32_e32 vcc_lo, 0, v39
	v_not_b32_e32 v39, v40
	v_xor_b32_e32 v206, s16, v206
	v_cmp_gt_i32_e64 s16, 0, v40
	v_and_b32_e32 v37, exec_lo, v37
	v_not_b32_e32 v40, v42
	v_ashrrev_i32_e32 v39, 31, v39
	v_xor_b32_e32 v38, vcc_lo, v38
	v_cmp_gt_i32_e32 vcc_lo, 0, v42
	v_and_b32_e32 v37, v37, v206
	v_not_b32_e32 v42, v43
	v_ashrrev_i32_e32 v40, 31, v40
	v_xor_b32_e32 v39, s16, v39
	v_cmp_gt_i32_e64 s16, 0, v43
	v_and_b32_e32 v37, v37, v38
	v_not_b32_e32 v38, v205
	v_ashrrev_i32_e32 v42, 31, v42
	v_xor_b32_e32 v40, vcc_lo, v40
	v_cmp_gt_i32_e32 vcc_lo, 0, v205
	v_and_b32_e32 v37, v37, v39
	v_not_b32_e32 v39, v41
	v_ashrrev_i32_e32 v38, 31, v38
	v_xor_b32_e32 v42, s16, v42
	v_mul_u32_u24_e32 v36, 9, v36
	v_and_b32_e32 v37, v37, v40
	v_cmp_gt_i32_e64 s16, 0, v41
	v_ashrrev_i32_e32 v39, 31, v39
	v_xor_b32_e32 v38, vcc_lo, v38
	v_add_lshl_u32 v40, v36, v126, 2
	v_and_b32_e32 v37, v37, v42
	s_delay_alu instid0(VALU_DEP_4) | instskip(SKIP_3) | instid1(VALU_DEP_2)
	v_xor_b32_e32 v36, s16, v39
	ds_load_b32 v205, v40 offset:1056
	v_and_b32_e32 v37, v37, v38
	v_add_nc_u32_e32 v207, 0x420, v40
	; wave barrier
	v_and_b32_e32 v36, v37, v36
	s_delay_alu instid0(VALU_DEP_1) | instskip(SKIP_1) | instid1(VALU_DEP_2)
	v_mbcnt_lo_u32_b32 v206, v36, 0
	v_cmp_ne_u32_e64 s16, 0, v36
	v_cmp_eq_u32_e32 vcc_lo, 0, v206
	s_delay_alu instid0(VALU_DEP_2) | instskip(NEXT) | instid1(SALU_CYCLE_1)
	s_and_b32 s17, s16, vcc_lo
	s_and_saveexec_b32 s16, s17
	s_cbranch_execz .LBB2057_756
; %bb.755:                              ;   in Loop: Header=BB2057_688 Depth=2
	s_waitcnt lgkmcnt(0)
	v_bcnt_u32_b32 v36, v36, v205
	ds_store_b32 v207, v36
.LBB2057_756:                           ;   in Loop: Header=BB2057_688 Depth=2
	s_or_b32 exec_lo, exec_lo, s16
	; wave barrier
	s_waitcnt lgkmcnt(0)
	s_barrier
	buffer_gl0_inv
	ds_load_b32 v208, v69 offset:1056
	ds_load_2addr_b32 v[42:43], v71 offset0:1 offset1:2
	ds_load_2addr_b32 v[40:41], v71 offset0:3 offset1:4
	;; [unrolled: 1-line block ×4, first 2 shown]
	s_waitcnt lgkmcnt(3)
	v_add3_u32 v209, v42, v208, v43
	s_waitcnt lgkmcnt(2)
	s_delay_alu instid0(VALU_DEP_1) | instskip(SKIP_1) | instid1(VALU_DEP_1)
	v_add3_u32 v209, v209, v40, v41
	s_waitcnt lgkmcnt(1)
	v_add3_u32 v209, v209, v36, v37
	s_waitcnt lgkmcnt(0)
	s_delay_alu instid0(VALU_DEP_1) | instskip(NEXT) | instid1(VALU_DEP_1)
	v_add3_u32 v39, v209, v38, v39
	v_mov_b32_dpp v209, v39 row_shr:1 row_mask:0xf bank_mask:0xf
	s_delay_alu instid0(VALU_DEP_1) | instskip(NEXT) | instid1(VALU_DEP_1)
	v_cndmask_b32_e64 v209, v209, 0, s0
	v_add_nc_u32_e32 v39, v209, v39
	s_delay_alu instid0(VALU_DEP_1) | instskip(NEXT) | instid1(VALU_DEP_1)
	v_mov_b32_dpp v209, v39 row_shr:2 row_mask:0xf bank_mask:0xf
	v_cndmask_b32_e64 v209, 0, v209, s1
	s_delay_alu instid0(VALU_DEP_1) | instskip(NEXT) | instid1(VALU_DEP_1)
	v_add_nc_u32_e32 v39, v39, v209
	v_mov_b32_dpp v209, v39 row_shr:4 row_mask:0xf bank_mask:0xf
	s_delay_alu instid0(VALU_DEP_1) | instskip(NEXT) | instid1(VALU_DEP_1)
	v_cndmask_b32_e64 v209, 0, v209, s8
	v_add_nc_u32_e32 v39, v39, v209
	s_delay_alu instid0(VALU_DEP_1) | instskip(NEXT) | instid1(VALU_DEP_1)
	v_mov_b32_dpp v209, v39 row_shr:8 row_mask:0xf bank_mask:0xf
	v_cndmask_b32_e64 v209, 0, v209, s9
	s_delay_alu instid0(VALU_DEP_1) | instskip(SKIP_3) | instid1(VALU_DEP_1)
	v_add_nc_u32_e32 v39, v39, v209
	ds_swizzle_b32 v209, v39 offset:swizzle(BROADCAST,32,15)
	s_waitcnt lgkmcnt(0)
	v_cndmask_b32_e64 v209, v209, 0, s10
	v_add_nc_u32_e32 v39, v39, v209
	s_and_saveexec_b32 s16, s3
	s_cbranch_execz .LBB2057_758
; %bb.757:                              ;   in Loop: Header=BB2057_688 Depth=2
	ds_store_b32 v62, v39 offset:1024
.LBB2057_758:                           ;   in Loop: Header=BB2057_688 Depth=2
	s_or_b32 exec_lo, exec_lo, s16
	s_waitcnt lgkmcnt(0)
	s_barrier
	buffer_gl0_inv
	s_and_saveexec_b32 s16, s4
	s_cbranch_execz .LBB2057_760
; %bb.759:                              ;   in Loop: Header=BB2057_688 Depth=2
	ds_load_b32 v209, v72 offset:1024
	s_waitcnt lgkmcnt(0)
	v_mov_b32_dpp v210, v209 row_shr:1 row_mask:0xf bank_mask:0xf
	s_delay_alu instid0(VALU_DEP_1) | instskip(NEXT) | instid1(VALU_DEP_1)
	v_cndmask_b32_e64 v210, v210, 0, s12
	v_add_nc_u32_e32 v209, v210, v209
	s_delay_alu instid0(VALU_DEP_1) | instskip(NEXT) | instid1(VALU_DEP_1)
	v_mov_b32_dpp v210, v209 row_shr:2 row_mask:0xf bank_mask:0xf
	v_cndmask_b32_e64 v210, 0, v210, s13
	s_delay_alu instid0(VALU_DEP_1) | instskip(NEXT) | instid1(VALU_DEP_1)
	v_add_nc_u32_e32 v209, v209, v210
	v_mov_b32_dpp v210, v209 row_shr:4 row_mask:0xf bank_mask:0xf
	s_delay_alu instid0(VALU_DEP_1) | instskip(NEXT) | instid1(VALU_DEP_1)
	v_cndmask_b32_e64 v210, 0, v210, s14
	v_add_nc_u32_e32 v209, v209, v210
	ds_store_b32 v72, v209 offset:1024
.LBB2057_760:                           ;   in Loop: Header=BB2057_688 Depth=2
	s_or_b32 exec_lo, exec_lo, s16
	v_mov_b32_e32 v209, 0
	s_waitcnt lgkmcnt(0)
	s_barrier
	buffer_gl0_inv
	s_and_saveexec_b32 s16, s5
	s_cbranch_execz .LBB2057_762
; %bb.761:                              ;   in Loop: Header=BB2057_688 Depth=2
	ds_load_b32 v209, v62 offset:1020
.LBB2057_762:                           ;   in Loop: Header=BB2057_688 Depth=2
	s_or_b32 exec_lo, exec_lo, s16
	s_waitcnt lgkmcnt(0)
	v_add_nc_u32_e32 v39, v209, v39
	ds_bpermute_b32 v39, v105, v39
	s_waitcnt lgkmcnt(0)
	v_cndmask_b32_e64 v39, v39, v209, s11
	s_delay_alu instid0(VALU_DEP_1) | instskip(NEXT) | instid1(VALU_DEP_1)
	v_cndmask_b32_e64 v39, v39, 0, s6
	v_add_nc_u32_e32 v208, v39, v208
	s_delay_alu instid0(VALU_DEP_1) | instskip(NEXT) | instid1(VALU_DEP_1)
	v_add_nc_u32_e32 v42, v208, v42
	v_add_nc_u32_e32 v43, v42, v43
	s_delay_alu instid0(VALU_DEP_1) | instskip(NEXT) | instid1(VALU_DEP_1)
	v_add_nc_u32_e32 v40, v43, v40
	;; [unrolled: 3-line block ×3, first 2 shown]
	v_add_nc_u32_e32 v37, v36, v37
	s_delay_alu instid0(VALU_DEP_1)
	v_add_nc_u32_e32 v38, v37, v38
	ds_store_b32 v69, v39 offset:1056
	ds_store_2addr_b32 v71, v208, v42 offset0:1 offset1:2
	ds_store_2addr_b32 v71, v43, v40 offset0:3 offset1:4
	;; [unrolled: 1-line block ×4, first 2 shown]
	v_mov_b32_e32 v38, 0x1000
	s_waitcnt lgkmcnt(0)
	s_barrier
	buffer_gl0_inv
	ds_load_b32 v39, v152
	ds_load_b32 v40, v156
	;; [unrolled: 1-line block ×16, first 2 shown]
	ds_load_b32 v156, v69 offset:1056
	s_and_saveexec_b32 s16, s7
	s_cbranch_execz .LBB2057_764
; %bb.763:                              ;   in Loop: Header=BB2057_688 Depth=2
	ds_load_b32 v38, v73 offset:1056
.LBB2057_764:                           ;   in Loop: Header=BB2057_688 Depth=2
	s_or_b32 exec_lo, exec_lo, s16
	s_waitcnt lgkmcnt(0)
	s_barrier
	buffer_gl0_inv
	s_and_saveexec_b32 s16, s2
	s_cbranch_execz .LBB2057_766
; %bb.765:                              ;   in Loop: Header=BB2057_688 Depth=2
	ds_load_b32 v160, v44
	s_waitcnt lgkmcnt(0)
	v_sub_nc_u32_e32 v156, v160, v156
	ds_store_b32 v44, v156
.LBB2057_766:                           ;   in Loop: Header=BB2057_688 Depth=2
	s_or_b32 exec_lo, exec_lo, s16
	v_add_nc_u32_e32 v168, v148, v147
	v_add3_u32 v164, v151, v150, v39
	v_add3_u32 v160, v155, v154, v40
	;; [unrolled: 1-line block ×5, first 2 shown]
	v_lshlrev_b32_e32 v158, 1, v168
	v_add3_u32 v43, v199, v198, v36
	v_lshlrev_b32_e32 v36, 1, v164
	v_add3_u32 v152, v172, v171, v173
	v_add3_u32 v151, v175, v174, v176
	ds_store_b16 v158, v2 offset:1024
	v_lshlrev_b32_e32 v2, 1, v160
	ds_store_b16 v36, v146 offset:1024
	v_lshlrev_b32_e32 v36, 1, v154
	v_add3_u32 v150, v179, v178, v180
	v_add3_u32 v42, v203, v202, v37
	v_lshlrev_b32_e32 v37, 1, v156
	v_add3_u32 v148, v183, v182, v184
	v_lshlrev_b32_e32 v158, 1, v155
	v_add3_u32 v147, v187, v186, v188
	v_add3_u32 v40, v191, v190, v192
	ds_store_b16 v2, v149 offset:1024
	ds_store_b16 v37, v153 offset:1024
	;; [unrolled: 1-line block ×3, first 2 shown]
	v_lshlrev_b32_e32 v2, 1, v152
	ds_store_b16 v36, v161 offset:1024
	v_lshlrev_b32_e32 v36, 1, v151
	v_lshlrev_b32_e32 v37, 1, v150
	;; [unrolled: 1-line block ×3, first 2 shown]
	v_add3_u32 v39, v195, v194, v196
	v_add3_u32 v41, v206, v205, v41
	ds_store_b16 v2, v165 offset:1024
	v_lshlrev_b32_e32 v2, 1, v147
	ds_store_b16 v36, v170 offset:1024
	ds_store_b16 v37, v169 offset:1024
	;; [unrolled: 1-line block ×3, first 2 shown]
	v_lshlrev_b32_e32 v36, 1, v40
	v_cmp_lt_u32_e32 vcc_lo, v1, v145
	v_lshlrev_b32_e32 v37, 1, v43
	ds_store_b16 v2, v181 offset:1024
	v_lshlrev_b32_e32 v2, 1, v39
	ds_store_b16 v36, v185 offset:1024
	v_lshlrev_b32_e32 v36, 1, v41
	v_lshlrev_b32_e32 v146, 1, v42
	ds_store_b16 v2, v189 offset:1024
	ds_store_b16 v37, v193 offset:1024
	;; [unrolled: 1-line block ×4, first 2 shown]
	s_waitcnt lgkmcnt(0)
	s_barrier
	buffer_gl0_inv
	s_and_saveexec_b32 s17, vcc_lo
	s_cbranch_execz .LBB2057_782
; %bb.767:                              ;   in Loop: Header=BB2057_688 Depth=2
	v_add_nc_u32_e32 v2, v72, v78
	ds_load_u16 v146, v2 offset:1024
	s_waitcnt lgkmcnt(0)
	v_cmp_ne_u16_e64 s16, 0x7fff, v146
	s_delay_alu instid0(VALU_DEP_1) | instskip(SKIP_1) | instid1(VALU_DEP_2)
	v_cndmask_b32_e64 v2, 0xffff8000, v146, s16
	v_cmp_lt_i16_e64 s16, -1, v146
	v_and_b32_e32 v2, 0xffff, v2
	s_delay_alu instid0(VALU_DEP_2) | instskip(NEXT) | instid1(VALU_DEP_2)
	v_cndmask_b32_e64 v149, 0xffff8000, -1, s16
	v_lshrrev_b32_e32 v2, s49, v2
	s_delay_alu instid0(VALU_DEP_1) | instskip(NEXT) | instid1(VALU_DEP_1)
	v_and_b32_e32 v2, s55, v2
	v_lshlrev_b32_e32 v2, 2, v2
	ds_load_b32 v2, v2
	s_waitcnt lgkmcnt(0)
	v_add_nc_u32_e32 v2, v2, v1
	s_delay_alu instid0(VALU_DEP_1) | instskip(SKIP_1) | instid1(VALU_DEP_2)
	v_lshlrev_b64 v[36:37], 1, v[2:3]
	v_xor_b32_e32 v2, v149, v146
	v_add_co_u32 v36, s16, s38, v36
	s_delay_alu instid0(VALU_DEP_1) | instskip(SKIP_3) | instid1(VALU_DEP_1)
	v_add_co_ci_u32_e64 v37, s16, s39, v37, s16
	global_store_b16 v[36:37], v2, off
	s_or_b32 exec_lo, exec_lo, s17
	v_cmp_lt_u32_e64 s16, v45, v145
	s_and_saveexec_b32 s18, s16
	s_cbranch_execnz .LBB2057_783
.LBB2057_768:                           ;   in Loop: Header=BB2057_688 Depth=2
	s_or_b32 exec_lo, exec_lo, s18
	v_cmp_lt_u32_e64 s17, v46, v145
	s_delay_alu instid0(VALU_DEP_1)
	s_and_saveexec_b32 s19, s17
	s_cbranch_execz .LBB2057_784
.LBB2057_769:                           ;   in Loop: Header=BB2057_688 Depth=2
	ds_load_u16 v146, v79 offset:1024
	s_waitcnt lgkmcnt(0)
	v_cmp_ne_u16_e64 s18, 0x7fff, v146
	s_delay_alu instid0(VALU_DEP_1) | instskip(SKIP_1) | instid1(VALU_DEP_2)
	v_cndmask_b32_e64 v2, 0xffff8000, v146, s18
	v_cmp_lt_i16_e64 s18, -1, v146
	v_and_b32_e32 v2, 0xffff, v2
	s_delay_alu instid0(VALU_DEP_2) | instskip(NEXT) | instid1(VALU_DEP_2)
	v_cndmask_b32_e64 v149, 0xffff8000, -1, s18
	v_lshrrev_b32_e32 v2, s49, v2
	s_delay_alu instid0(VALU_DEP_1) | instskip(NEXT) | instid1(VALU_DEP_1)
	v_and_b32_e32 v2, s55, v2
	v_lshlrev_b32_e32 v2, 2, v2
	ds_load_b32 v2, v2
	s_waitcnt lgkmcnt(0)
	v_add_nc_u32_e32 v2, v2, v46
	s_delay_alu instid0(VALU_DEP_1) | instskip(SKIP_1) | instid1(VALU_DEP_2)
	v_lshlrev_b64 v[36:37], 1, v[2:3]
	v_xor_b32_e32 v2, v149, v146
	v_add_co_u32 v36, s18, s38, v36
	s_delay_alu instid0(VALU_DEP_1) | instskip(SKIP_3) | instid1(VALU_DEP_1)
	v_add_co_ci_u32_e64 v37, s18, s39, v37, s18
	global_store_b16 v[36:37], v2, off
	s_or_b32 exec_lo, exec_lo, s19
	v_cmp_lt_u32_e64 s18, v47, v145
	s_and_saveexec_b32 s20, s18
	s_cbranch_execnz .LBB2057_785
.LBB2057_770:                           ;   in Loop: Header=BB2057_688 Depth=2
	s_or_b32 exec_lo, exec_lo, s20
	v_cmp_lt_u32_e64 s19, v51, v145
	s_delay_alu instid0(VALU_DEP_1)
	s_and_saveexec_b32 s21, s19
	s_cbranch_execz .LBB2057_786
.LBB2057_771:                           ;   in Loop: Header=BB2057_688 Depth=2
	ds_load_u16 v146, v79 offset:2048
	s_waitcnt lgkmcnt(0)
	v_cmp_ne_u16_e64 s20, 0x7fff, v146
	s_delay_alu instid0(VALU_DEP_1) | instskip(SKIP_1) | instid1(VALU_DEP_2)
	v_cndmask_b32_e64 v2, 0xffff8000, v146, s20
	v_cmp_lt_i16_e64 s20, -1, v146
	v_and_b32_e32 v2, 0xffff, v2
	s_delay_alu instid0(VALU_DEP_2) | instskip(NEXT) | instid1(VALU_DEP_2)
	v_cndmask_b32_e64 v149, 0xffff8000, -1, s20
	v_lshrrev_b32_e32 v2, s49, v2
	s_delay_alu instid0(VALU_DEP_1) | instskip(NEXT) | instid1(VALU_DEP_1)
	v_and_b32_e32 v2, s55, v2
	v_lshlrev_b32_e32 v2, 2, v2
	ds_load_b32 v2, v2
	s_waitcnt lgkmcnt(0)
	v_add_nc_u32_e32 v2, v2, v51
	s_delay_alu instid0(VALU_DEP_1) | instskip(SKIP_1) | instid1(VALU_DEP_2)
	v_lshlrev_b64 v[36:37], 1, v[2:3]
	v_xor_b32_e32 v2, v149, v146
	v_add_co_u32 v36, s20, s38, v36
	s_delay_alu instid0(VALU_DEP_1) | instskip(SKIP_3) | instid1(VALU_DEP_1)
	v_add_co_ci_u32_e64 v37, s20, s39, v37, s20
	global_store_b16 v[36:37], v2, off
	s_or_b32 exec_lo, exec_lo, s21
	v_cmp_lt_u32_e64 s20, v52, v145
	s_and_saveexec_b32 s22, s20
	s_cbranch_execnz .LBB2057_787
.LBB2057_772:                           ;   in Loop: Header=BB2057_688 Depth=2
	s_or_b32 exec_lo, exec_lo, s22
	v_cmp_lt_u32_e64 s21, v53, v145
	s_delay_alu instid0(VALU_DEP_1)
	s_and_saveexec_b32 s23, s21
	s_cbranch_execz .LBB2057_788
.LBB2057_773:                           ;   in Loop: Header=BB2057_688 Depth=2
	ds_load_u16 v146, v79 offset:3072
	s_waitcnt lgkmcnt(0)
	v_cmp_ne_u16_e64 s22, 0x7fff, v146
	s_delay_alu instid0(VALU_DEP_1) | instskip(SKIP_1) | instid1(VALU_DEP_2)
	v_cndmask_b32_e64 v2, 0xffff8000, v146, s22
	v_cmp_lt_i16_e64 s22, -1, v146
	v_and_b32_e32 v2, 0xffff, v2
	s_delay_alu instid0(VALU_DEP_2) | instskip(NEXT) | instid1(VALU_DEP_2)
	v_cndmask_b32_e64 v149, 0xffff8000, -1, s22
	v_lshrrev_b32_e32 v2, s49, v2
	s_delay_alu instid0(VALU_DEP_1) | instskip(NEXT) | instid1(VALU_DEP_1)
	v_and_b32_e32 v2, s55, v2
	v_lshlrev_b32_e32 v2, 2, v2
	ds_load_b32 v2, v2
	s_waitcnt lgkmcnt(0)
	v_add_nc_u32_e32 v2, v2, v53
	s_delay_alu instid0(VALU_DEP_1) | instskip(SKIP_1) | instid1(VALU_DEP_2)
	v_lshlrev_b64 v[36:37], 1, v[2:3]
	v_xor_b32_e32 v2, v149, v146
	v_add_co_u32 v36, s22, s38, v36
	s_delay_alu instid0(VALU_DEP_1) | instskip(SKIP_3) | instid1(VALU_DEP_1)
	v_add_co_ci_u32_e64 v37, s22, s39, v37, s22
	global_store_b16 v[36:37], v2, off
	s_or_b32 exec_lo, exec_lo, s23
	v_cmp_lt_u32_e64 s22, v54, v145
	s_and_saveexec_b32 s24, s22
	s_cbranch_execnz .LBB2057_789
.LBB2057_774:                           ;   in Loop: Header=BB2057_688 Depth=2
	s_or_b32 exec_lo, exec_lo, s24
	v_cmp_lt_u32_e64 s23, v55, v145
	s_delay_alu instid0(VALU_DEP_1)
	s_and_saveexec_b32 s25, s23
	s_cbranch_execz .LBB2057_790
.LBB2057_775:                           ;   in Loop: Header=BB2057_688 Depth=2
	ds_load_u16 v146, v79 offset:4096
	s_waitcnt lgkmcnt(0)
	v_cmp_ne_u16_e64 s24, 0x7fff, v146
	s_delay_alu instid0(VALU_DEP_1) | instskip(SKIP_1) | instid1(VALU_DEP_2)
	v_cndmask_b32_e64 v2, 0xffff8000, v146, s24
	v_cmp_lt_i16_e64 s24, -1, v146
	v_and_b32_e32 v2, 0xffff, v2
	s_delay_alu instid0(VALU_DEP_2) | instskip(NEXT) | instid1(VALU_DEP_2)
	v_cndmask_b32_e64 v149, 0xffff8000, -1, s24
	v_lshrrev_b32_e32 v2, s49, v2
	s_delay_alu instid0(VALU_DEP_1) | instskip(NEXT) | instid1(VALU_DEP_1)
	v_and_b32_e32 v2, s55, v2
	v_lshlrev_b32_e32 v2, 2, v2
	ds_load_b32 v2, v2
	s_waitcnt lgkmcnt(0)
	v_add_nc_u32_e32 v2, v2, v55
	s_delay_alu instid0(VALU_DEP_1) | instskip(SKIP_1) | instid1(VALU_DEP_2)
	v_lshlrev_b64 v[36:37], 1, v[2:3]
	v_xor_b32_e32 v2, v149, v146
	v_add_co_u32 v36, s24, s38, v36
	s_delay_alu instid0(VALU_DEP_1) | instskip(SKIP_3) | instid1(VALU_DEP_1)
	v_add_co_ci_u32_e64 v37, s24, s39, v37, s24
	global_store_b16 v[36:37], v2, off
	s_or_b32 exec_lo, exec_lo, s25
	v_cmp_lt_u32_e64 s24, v56, v145
	s_and_saveexec_b32 s27, s24
	s_cbranch_execnz .LBB2057_791
.LBB2057_776:                           ;   in Loop: Header=BB2057_688 Depth=2
	s_or_b32 exec_lo, exec_lo, s27
	v_cmp_lt_u32_e64 s25, v57, v145
	s_delay_alu instid0(VALU_DEP_1)
	s_and_saveexec_b32 s28, s25
	s_cbranch_execz .LBB2057_792
.LBB2057_777:                           ;   in Loop: Header=BB2057_688 Depth=2
	ds_load_u16 v146, v79 offset:5120
	s_waitcnt lgkmcnt(0)
	v_cmp_ne_u16_e64 s27, 0x7fff, v146
	s_delay_alu instid0(VALU_DEP_1) | instskip(SKIP_1) | instid1(VALU_DEP_2)
	v_cndmask_b32_e64 v2, 0xffff8000, v146, s27
	v_cmp_lt_i16_e64 s27, -1, v146
	v_and_b32_e32 v2, 0xffff, v2
	s_delay_alu instid0(VALU_DEP_2) | instskip(NEXT) | instid1(VALU_DEP_2)
	v_cndmask_b32_e64 v149, 0xffff8000, -1, s27
	v_lshrrev_b32_e32 v2, s49, v2
	s_delay_alu instid0(VALU_DEP_1) | instskip(NEXT) | instid1(VALU_DEP_1)
	v_and_b32_e32 v2, s55, v2
	v_lshlrev_b32_e32 v2, 2, v2
	ds_load_b32 v2, v2
	s_waitcnt lgkmcnt(0)
	v_add_nc_u32_e32 v2, v2, v57
	s_delay_alu instid0(VALU_DEP_1) | instskip(SKIP_1) | instid1(VALU_DEP_2)
	v_lshlrev_b64 v[36:37], 1, v[2:3]
	v_xor_b32_e32 v2, v149, v146
	v_add_co_u32 v36, s27, s38, v36
	s_delay_alu instid0(VALU_DEP_1) | instskip(SKIP_3) | instid1(VALU_DEP_1)
	v_add_co_ci_u32_e64 v37, s27, s39, v37, s27
	global_store_b16 v[36:37], v2, off
	s_or_b32 exec_lo, exec_lo, s28
	v_cmp_lt_u32_e64 s27, v58, v145
	s_and_saveexec_b32 s29, s27
	s_cbranch_execnz .LBB2057_793
.LBB2057_778:                           ;   in Loop: Header=BB2057_688 Depth=2
	s_or_b32 exec_lo, exec_lo, s29
	v_cmp_lt_u32_e64 s28, v59, v145
	s_delay_alu instid0(VALU_DEP_1)
	s_and_saveexec_b32 s30, s28
	s_cbranch_execz .LBB2057_794
.LBB2057_779:                           ;   in Loop: Header=BB2057_688 Depth=2
	ds_load_u16 v146, v79 offset:6144
	s_waitcnt lgkmcnt(0)
	v_cmp_ne_u16_e64 s29, 0x7fff, v146
	s_delay_alu instid0(VALU_DEP_1) | instskip(SKIP_1) | instid1(VALU_DEP_2)
	v_cndmask_b32_e64 v2, 0xffff8000, v146, s29
	v_cmp_lt_i16_e64 s29, -1, v146
	v_and_b32_e32 v2, 0xffff, v2
	s_delay_alu instid0(VALU_DEP_2) | instskip(NEXT) | instid1(VALU_DEP_2)
	v_cndmask_b32_e64 v149, 0xffff8000, -1, s29
	v_lshrrev_b32_e32 v2, s49, v2
	s_delay_alu instid0(VALU_DEP_1) | instskip(NEXT) | instid1(VALU_DEP_1)
	v_and_b32_e32 v2, s55, v2
	v_lshlrev_b32_e32 v2, 2, v2
	ds_load_b32 v2, v2
	s_waitcnt lgkmcnt(0)
	v_add_nc_u32_e32 v2, v2, v59
	s_delay_alu instid0(VALU_DEP_1) | instskip(SKIP_1) | instid1(VALU_DEP_2)
	v_lshlrev_b64 v[36:37], 1, v[2:3]
	v_xor_b32_e32 v2, v149, v146
	v_add_co_u32 v36, s29, s38, v36
	s_delay_alu instid0(VALU_DEP_1) | instskip(SKIP_3) | instid1(VALU_DEP_1)
	v_add_co_ci_u32_e64 v37, s29, s39, v37, s29
	global_store_b16 v[36:37], v2, off
	s_or_b32 exec_lo, exec_lo, s30
	v_cmp_lt_u32_e64 s29, v60, v145
	s_and_saveexec_b32 s31, s29
	s_cbranch_execnz .LBB2057_795
.LBB2057_780:                           ;   in Loop: Header=BB2057_688 Depth=2
	s_or_b32 exec_lo, exec_lo, s31
	v_cmp_lt_u32_e64 s30, v61, v145
	s_delay_alu instid0(VALU_DEP_1)
	s_and_saveexec_b32 s33, s30
	s_cbranch_execz .LBB2057_796
.LBB2057_781:                           ;   in Loop: Header=BB2057_688 Depth=2
	ds_load_u16 v146, v79 offset:7168
	s_waitcnt lgkmcnt(0)
	v_cmp_ne_u16_e64 s31, 0x7fff, v146
	s_delay_alu instid0(VALU_DEP_1) | instskip(SKIP_1) | instid1(VALU_DEP_2)
	v_cndmask_b32_e64 v2, 0xffff8000, v146, s31
	v_cmp_lt_i16_e64 s31, -1, v146
	v_and_b32_e32 v2, 0xffff, v2
	s_delay_alu instid0(VALU_DEP_2) | instskip(NEXT) | instid1(VALU_DEP_2)
	v_cndmask_b32_e64 v149, 0xffff8000, -1, s31
	v_lshrrev_b32_e32 v2, s49, v2
	s_delay_alu instid0(VALU_DEP_1) | instskip(NEXT) | instid1(VALU_DEP_1)
	v_and_b32_e32 v2, s55, v2
	v_lshlrev_b32_e32 v2, 2, v2
	ds_load_b32 v2, v2
	s_waitcnt lgkmcnt(0)
	v_add_nc_u32_e32 v2, v2, v61
	s_delay_alu instid0(VALU_DEP_1) | instskip(SKIP_1) | instid1(VALU_DEP_2)
	v_lshlrev_b64 v[36:37], 1, v[2:3]
	v_xor_b32_e32 v2, v149, v146
	v_add_co_u32 v36, s31, s38, v36
	s_delay_alu instid0(VALU_DEP_1) | instskip(SKIP_3) | instid1(VALU_DEP_1)
	v_add_co_ci_u32_e64 v37, s31, s39, v37, s31
	global_store_b16 v[36:37], v2, off
	s_or_b32 exec_lo, exec_lo, s33
	v_cmp_lt_u32_e64 s31, v63, v145
	s_and_saveexec_b32 s58, s31
	s_cbranch_execnz .LBB2057_797
	s_branch .LBB2057_798
.LBB2057_782:                           ;   in Loop: Header=BB2057_688 Depth=2
	s_or_b32 exec_lo, exec_lo, s17
	v_cmp_lt_u32_e64 s16, v45, v145
	s_delay_alu instid0(VALU_DEP_1)
	s_and_saveexec_b32 s18, s16
	s_cbranch_execz .LBB2057_768
.LBB2057_783:                           ;   in Loop: Header=BB2057_688 Depth=2
	ds_load_u16 v146, v79 offset:512
	s_waitcnt lgkmcnt(0)
	v_cmp_ne_u16_e64 s17, 0x7fff, v146
	s_delay_alu instid0(VALU_DEP_1) | instskip(SKIP_1) | instid1(VALU_DEP_2)
	v_cndmask_b32_e64 v2, 0xffff8000, v146, s17
	v_cmp_lt_i16_e64 s17, -1, v146
	v_and_b32_e32 v2, 0xffff, v2
	s_delay_alu instid0(VALU_DEP_2) | instskip(NEXT) | instid1(VALU_DEP_2)
	v_cndmask_b32_e64 v149, 0xffff8000, -1, s17
	v_lshrrev_b32_e32 v2, s49, v2
	s_delay_alu instid0(VALU_DEP_1) | instskip(NEXT) | instid1(VALU_DEP_1)
	v_and_b32_e32 v2, s55, v2
	v_lshlrev_b32_e32 v2, 2, v2
	ds_load_b32 v2, v2
	s_waitcnt lgkmcnt(0)
	v_add_nc_u32_e32 v2, v2, v45
	s_delay_alu instid0(VALU_DEP_1) | instskip(SKIP_1) | instid1(VALU_DEP_2)
	v_lshlrev_b64 v[36:37], 1, v[2:3]
	v_xor_b32_e32 v2, v149, v146
	v_add_co_u32 v36, s17, s38, v36
	s_delay_alu instid0(VALU_DEP_1) | instskip(SKIP_3) | instid1(VALU_DEP_1)
	v_add_co_ci_u32_e64 v37, s17, s39, v37, s17
	global_store_b16 v[36:37], v2, off
	s_or_b32 exec_lo, exec_lo, s18
	v_cmp_lt_u32_e64 s17, v46, v145
	s_and_saveexec_b32 s19, s17
	s_cbranch_execnz .LBB2057_769
.LBB2057_784:                           ;   in Loop: Header=BB2057_688 Depth=2
	s_or_b32 exec_lo, exec_lo, s19
	v_cmp_lt_u32_e64 s18, v47, v145
	s_delay_alu instid0(VALU_DEP_1)
	s_and_saveexec_b32 s20, s18
	s_cbranch_execz .LBB2057_770
.LBB2057_785:                           ;   in Loop: Header=BB2057_688 Depth=2
	ds_load_u16 v146, v79 offset:1536
	s_waitcnt lgkmcnt(0)
	v_cmp_ne_u16_e64 s19, 0x7fff, v146
	s_delay_alu instid0(VALU_DEP_1) | instskip(SKIP_1) | instid1(VALU_DEP_2)
	v_cndmask_b32_e64 v2, 0xffff8000, v146, s19
	v_cmp_lt_i16_e64 s19, -1, v146
	v_and_b32_e32 v2, 0xffff, v2
	s_delay_alu instid0(VALU_DEP_2) | instskip(NEXT) | instid1(VALU_DEP_2)
	v_cndmask_b32_e64 v149, 0xffff8000, -1, s19
	v_lshrrev_b32_e32 v2, s49, v2
	s_delay_alu instid0(VALU_DEP_1) | instskip(NEXT) | instid1(VALU_DEP_1)
	v_and_b32_e32 v2, s55, v2
	v_lshlrev_b32_e32 v2, 2, v2
	ds_load_b32 v2, v2
	s_waitcnt lgkmcnt(0)
	v_add_nc_u32_e32 v2, v2, v47
	s_delay_alu instid0(VALU_DEP_1) | instskip(SKIP_1) | instid1(VALU_DEP_2)
	v_lshlrev_b64 v[36:37], 1, v[2:3]
	v_xor_b32_e32 v2, v149, v146
	v_add_co_u32 v36, s19, s38, v36
	s_delay_alu instid0(VALU_DEP_1) | instskip(SKIP_3) | instid1(VALU_DEP_1)
	v_add_co_ci_u32_e64 v37, s19, s39, v37, s19
	global_store_b16 v[36:37], v2, off
	s_or_b32 exec_lo, exec_lo, s20
	v_cmp_lt_u32_e64 s19, v51, v145
	s_and_saveexec_b32 s21, s19
	s_cbranch_execnz .LBB2057_771
.LBB2057_786:                           ;   in Loop: Header=BB2057_688 Depth=2
	s_or_b32 exec_lo, exec_lo, s21
	v_cmp_lt_u32_e64 s20, v52, v145
	s_delay_alu instid0(VALU_DEP_1)
	s_and_saveexec_b32 s22, s20
	s_cbranch_execz .LBB2057_772
.LBB2057_787:                           ;   in Loop: Header=BB2057_688 Depth=2
	ds_load_u16 v146, v79 offset:2560
	s_waitcnt lgkmcnt(0)
	v_cmp_ne_u16_e64 s21, 0x7fff, v146
	s_delay_alu instid0(VALU_DEP_1) | instskip(SKIP_1) | instid1(VALU_DEP_2)
	v_cndmask_b32_e64 v2, 0xffff8000, v146, s21
	v_cmp_lt_i16_e64 s21, -1, v146
	v_and_b32_e32 v2, 0xffff, v2
	s_delay_alu instid0(VALU_DEP_2) | instskip(NEXT) | instid1(VALU_DEP_2)
	v_cndmask_b32_e64 v149, 0xffff8000, -1, s21
	v_lshrrev_b32_e32 v2, s49, v2
	s_delay_alu instid0(VALU_DEP_1) | instskip(NEXT) | instid1(VALU_DEP_1)
	v_and_b32_e32 v2, s55, v2
	v_lshlrev_b32_e32 v2, 2, v2
	ds_load_b32 v2, v2
	s_waitcnt lgkmcnt(0)
	v_add_nc_u32_e32 v2, v2, v52
	s_delay_alu instid0(VALU_DEP_1) | instskip(SKIP_1) | instid1(VALU_DEP_2)
	v_lshlrev_b64 v[36:37], 1, v[2:3]
	v_xor_b32_e32 v2, v149, v146
	v_add_co_u32 v36, s21, s38, v36
	s_delay_alu instid0(VALU_DEP_1) | instskip(SKIP_3) | instid1(VALU_DEP_1)
	v_add_co_ci_u32_e64 v37, s21, s39, v37, s21
	global_store_b16 v[36:37], v2, off
	s_or_b32 exec_lo, exec_lo, s22
	v_cmp_lt_u32_e64 s21, v53, v145
	s_and_saveexec_b32 s23, s21
	s_cbranch_execnz .LBB2057_773
.LBB2057_788:                           ;   in Loop: Header=BB2057_688 Depth=2
	s_or_b32 exec_lo, exec_lo, s23
	v_cmp_lt_u32_e64 s22, v54, v145
	s_delay_alu instid0(VALU_DEP_1)
	s_and_saveexec_b32 s24, s22
	s_cbranch_execz .LBB2057_774
.LBB2057_789:                           ;   in Loop: Header=BB2057_688 Depth=2
	ds_load_u16 v146, v79 offset:3584
	s_waitcnt lgkmcnt(0)
	v_cmp_ne_u16_e64 s23, 0x7fff, v146
	s_delay_alu instid0(VALU_DEP_1) | instskip(SKIP_1) | instid1(VALU_DEP_2)
	v_cndmask_b32_e64 v2, 0xffff8000, v146, s23
	v_cmp_lt_i16_e64 s23, -1, v146
	v_and_b32_e32 v2, 0xffff, v2
	s_delay_alu instid0(VALU_DEP_2) | instskip(NEXT) | instid1(VALU_DEP_2)
	v_cndmask_b32_e64 v149, 0xffff8000, -1, s23
	v_lshrrev_b32_e32 v2, s49, v2
	s_delay_alu instid0(VALU_DEP_1) | instskip(NEXT) | instid1(VALU_DEP_1)
	v_and_b32_e32 v2, s55, v2
	v_lshlrev_b32_e32 v2, 2, v2
	ds_load_b32 v2, v2
	s_waitcnt lgkmcnt(0)
	v_add_nc_u32_e32 v2, v2, v54
	s_delay_alu instid0(VALU_DEP_1) | instskip(SKIP_1) | instid1(VALU_DEP_2)
	v_lshlrev_b64 v[36:37], 1, v[2:3]
	v_xor_b32_e32 v2, v149, v146
	v_add_co_u32 v36, s23, s38, v36
	s_delay_alu instid0(VALU_DEP_1) | instskip(SKIP_3) | instid1(VALU_DEP_1)
	v_add_co_ci_u32_e64 v37, s23, s39, v37, s23
	global_store_b16 v[36:37], v2, off
	s_or_b32 exec_lo, exec_lo, s24
	v_cmp_lt_u32_e64 s23, v55, v145
	s_and_saveexec_b32 s25, s23
	s_cbranch_execnz .LBB2057_775
.LBB2057_790:                           ;   in Loop: Header=BB2057_688 Depth=2
	s_or_b32 exec_lo, exec_lo, s25
	v_cmp_lt_u32_e64 s24, v56, v145
	s_delay_alu instid0(VALU_DEP_1)
	s_and_saveexec_b32 s27, s24
	s_cbranch_execz .LBB2057_776
.LBB2057_791:                           ;   in Loop: Header=BB2057_688 Depth=2
	ds_load_u16 v146, v79 offset:4608
	s_waitcnt lgkmcnt(0)
	v_cmp_ne_u16_e64 s25, 0x7fff, v146
	s_delay_alu instid0(VALU_DEP_1) | instskip(SKIP_1) | instid1(VALU_DEP_2)
	v_cndmask_b32_e64 v2, 0xffff8000, v146, s25
	v_cmp_lt_i16_e64 s25, -1, v146
	v_and_b32_e32 v2, 0xffff, v2
	s_delay_alu instid0(VALU_DEP_2) | instskip(NEXT) | instid1(VALU_DEP_2)
	v_cndmask_b32_e64 v149, 0xffff8000, -1, s25
	v_lshrrev_b32_e32 v2, s49, v2
	s_delay_alu instid0(VALU_DEP_1) | instskip(NEXT) | instid1(VALU_DEP_1)
	v_and_b32_e32 v2, s55, v2
	v_lshlrev_b32_e32 v2, 2, v2
	ds_load_b32 v2, v2
	s_waitcnt lgkmcnt(0)
	v_add_nc_u32_e32 v2, v2, v56
	s_delay_alu instid0(VALU_DEP_1) | instskip(SKIP_1) | instid1(VALU_DEP_2)
	v_lshlrev_b64 v[36:37], 1, v[2:3]
	v_xor_b32_e32 v2, v149, v146
	v_add_co_u32 v36, s25, s38, v36
	s_delay_alu instid0(VALU_DEP_1) | instskip(SKIP_3) | instid1(VALU_DEP_1)
	v_add_co_ci_u32_e64 v37, s25, s39, v37, s25
	global_store_b16 v[36:37], v2, off
	s_or_b32 exec_lo, exec_lo, s27
	v_cmp_lt_u32_e64 s25, v57, v145
	s_and_saveexec_b32 s28, s25
	s_cbranch_execnz .LBB2057_777
.LBB2057_792:                           ;   in Loop: Header=BB2057_688 Depth=2
	s_or_b32 exec_lo, exec_lo, s28
	v_cmp_lt_u32_e64 s27, v58, v145
	s_delay_alu instid0(VALU_DEP_1)
	s_and_saveexec_b32 s29, s27
	s_cbranch_execz .LBB2057_778
.LBB2057_793:                           ;   in Loop: Header=BB2057_688 Depth=2
	ds_load_u16 v146, v79 offset:5632
	s_waitcnt lgkmcnt(0)
	v_cmp_ne_u16_e64 s28, 0x7fff, v146
	s_delay_alu instid0(VALU_DEP_1) | instskip(SKIP_1) | instid1(VALU_DEP_2)
	v_cndmask_b32_e64 v2, 0xffff8000, v146, s28
	v_cmp_lt_i16_e64 s28, -1, v146
	v_and_b32_e32 v2, 0xffff, v2
	s_delay_alu instid0(VALU_DEP_2) | instskip(NEXT) | instid1(VALU_DEP_2)
	v_cndmask_b32_e64 v149, 0xffff8000, -1, s28
	v_lshrrev_b32_e32 v2, s49, v2
	s_delay_alu instid0(VALU_DEP_1) | instskip(NEXT) | instid1(VALU_DEP_1)
	v_and_b32_e32 v2, s55, v2
	v_lshlrev_b32_e32 v2, 2, v2
	ds_load_b32 v2, v2
	s_waitcnt lgkmcnt(0)
	v_add_nc_u32_e32 v2, v2, v58
	s_delay_alu instid0(VALU_DEP_1) | instskip(SKIP_1) | instid1(VALU_DEP_2)
	v_lshlrev_b64 v[36:37], 1, v[2:3]
	v_xor_b32_e32 v2, v149, v146
	v_add_co_u32 v36, s28, s38, v36
	s_delay_alu instid0(VALU_DEP_1) | instskip(SKIP_3) | instid1(VALU_DEP_1)
	v_add_co_ci_u32_e64 v37, s28, s39, v37, s28
	global_store_b16 v[36:37], v2, off
	s_or_b32 exec_lo, exec_lo, s29
	v_cmp_lt_u32_e64 s28, v59, v145
	s_and_saveexec_b32 s30, s28
	s_cbranch_execnz .LBB2057_779
.LBB2057_794:                           ;   in Loop: Header=BB2057_688 Depth=2
	s_or_b32 exec_lo, exec_lo, s30
	v_cmp_lt_u32_e64 s29, v60, v145
	s_delay_alu instid0(VALU_DEP_1)
	s_and_saveexec_b32 s31, s29
	s_cbranch_execz .LBB2057_780
.LBB2057_795:                           ;   in Loop: Header=BB2057_688 Depth=2
	ds_load_u16 v146, v79 offset:6656
	s_waitcnt lgkmcnt(0)
	v_cmp_ne_u16_e64 s30, 0x7fff, v146
	s_delay_alu instid0(VALU_DEP_1) | instskip(SKIP_1) | instid1(VALU_DEP_2)
	v_cndmask_b32_e64 v2, 0xffff8000, v146, s30
	v_cmp_lt_i16_e64 s30, -1, v146
	v_and_b32_e32 v2, 0xffff, v2
	s_delay_alu instid0(VALU_DEP_2) | instskip(NEXT) | instid1(VALU_DEP_2)
	v_cndmask_b32_e64 v149, 0xffff8000, -1, s30
	v_lshrrev_b32_e32 v2, s49, v2
	s_delay_alu instid0(VALU_DEP_1) | instskip(NEXT) | instid1(VALU_DEP_1)
	v_and_b32_e32 v2, s55, v2
	v_lshlrev_b32_e32 v2, 2, v2
	ds_load_b32 v2, v2
	s_waitcnt lgkmcnt(0)
	v_add_nc_u32_e32 v2, v2, v60
	s_delay_alu instid0(VALU_DEP_1) | instskip(SKIP_1) | instid1(VALU_DEP_2)
	v_lshlrev_b64 v[36:37], 1, v[2:3]
	v_xor_b32_e32 v2, v149, v146
	v_add_co_u32 v36, s30, s38, v36
	s_delay_alu instid0(VALU_DEP_1) | instskip(SKIP_3) | instid1(VALU_DEP_1)
	v_add_co_ci_u32_e64 v37, s30, s39, v37, s30
	global_store_b16 v[36:37], v2, off
	s_or_b32 exec_lo, exec_lo, s31
	v_cmp_lt_u32_e64 s30, v61, v145
	s_and_saveexec_b32 s33, s30
	s_cbranch_execnz .LBB2057_781
.LBB2057_796:                           ;   in Loop: Header=BB2057_688 Depth=2
	s_or_b32 exec_lo, exec_lo, s33
	v_cmp_lt_u32_e64 s31, v63, v145
	s_delay_alu instid0(VALU_DEP_1)
	s_and_saveexec_b32 s58, s31
	s_cbranch_execz .LBB2057_798
.LBB2057_797:                           ;   in Loop: Header=BB2057_688 Depth=2
	ds_load_u16 v146, v79 offset:7680
	s_waitcnt lgkmcnt(0)
	v_cmp_ne_u16_e64 s33, 0x7fff, v146
	s_delay_alu instid0(VALU_DEP_1) | instskip(SKIP_1) | instid1(VALU_DEP_2)
	v_cndmask_b32_e64 v2, 0xffff8000, v146, s33
	v_cmp_lt_i16_e64 s33, -1, v146
	v_and_b32_e32 v2, 0xffff, v2
	s_delay_alu instid0(VALU_DEP_2) | instskip(NEXT) | instid1(VALU_DEP_2)
	v_cndmask_b32_e64 v149, 0xffff8000, -1, s33
	v_lshrrev_b32_e32 v2, s49, v2
	s_delay_alu instid0(VALU_DEP_1) | instskip(NEXT) | instid1(VALU_DEP_1)
	v_and_b32_e32 v2, s55, v2
	v_lshlrev_b32_e32 v2, 2, v2
	ds_load_b32 v2, v2
	s_waitcnt lgkmcnt(0)
	v_add_nc_u32_e32 v2, v2, v63
	s_delay_alu instid0(VALU_DEP_1) | instskip(SKIP_1) | instid1(VALU_DEP_2)
	v_lshlrev_b64 v[36:37], 1, v[2:3]
	v_xor_b32_e32 v2, v149, v146
	v_add_co_u32 v36, s33, s38, v36
	s_delay_alu instid0(VALU_DEP_1)
	v_add_co_ci_u32_e64 v37, s33, s39, v37, s33
	global_store_b16 v[36:37], v2, off
.LBB2057_798:                           ;   in Loop: Header=BB2057_688 Depth=2
	s_or_b32 exec_lo, exec_lo, s58
	s_lshl_b64 s[58:59], s[34:35], 3
	s_delay_alu instid0(SALU_CYCLE_1) | instskip(NEXT) | instid1(VALU_DEP_1)
	v_add_co_u32 v36, s33, v107, s58
	v_add_co_ci_u32_e64 v37, s33, s59, v108, s33
	v_cmp_lt_u32_e64 s33, v106, v145
	s_delay_alu instid0(VALU_DEP_1) | instskip(NEXT) | instid1(SALU_CYCLE_1)
	s_and_saveexec_b32 s34, s33
	s_xor_b32 s33, exec_lo, s34
	s_cbranch_execz .LBB2057_830
; %bb.799:                              ;   in Loop: Header=BB2057_688 Depth=2
	global_load_b64 v[34:35], v[36:37], off
	s_or_b32 exec_lo, exec_lo, s33
	s_delay_alu instid0(SALU_CYCLE_1)
	s_mov_b32 s34, exec_lo
	v_cmpx_lt_u32_e64 v109, v145
	s_cbranch_execnz .LBB2057_831
.LBB2057_800:                           ;   in Loop: Header=BB2057_688 Depth=2
	s_or_b32 exec_lo, exec_lo, s34
	s_delay_alu instid0(SALU_CYCLE_1)
	s_mov_b32 s34, exec_lo
	v_cmpx_lt_u32_e64 v110, v145
	s_cbranch_execz .LBB2057_832
.LBB2057_801:                           ;   in Loop: Header=BB2057_688 Depth=2
	global_load_b64 v[30:31], v[36:37], off offset:512
	s_or_b32 exec_lo, exec_lo, s34
	s_delay_alu instid0(SALU_CYCLE_1)
	s_mov_b32 s34, exec_lo
	v_cmpx_lt_u32_e64 v111, v145
	s_cbranch_execnz .LBB2057_833
.LBB2057_802:                           ;   in Loop: Header=BB2057_688 Depth=2
	s_or_b32 exec_lo, exec_lo, s34
	s_delay_alu instid0(SALU_CYCLE_1)
	s_mov_b32 s34, exec_lo
	v_cmpx_lt_u32_e64 v112, v145
	s_cbranch_execz .LBB2057_834
.LBB2057_803:                           ;   in Loop: Header=BB2057_688 Depth=2
	global_load_b64 v[26:27], v[36:37], off offset:1024
	s_or_b32 exec_lo, exec_lo, s34
	s_delay_alu instid0(SALU_CYCLE_1)
	s_mov_b32 s34, exec_lo
	v_cmpx_lt_u32_e64 v113, v145
	s_cbranch_execnz .LBB2057_835
.LBB2057_804:                           ;   in Loop: Header=BB2057_688 Depth=2
	s_or_b32 exec_lo, exec_lo, s34
	s_delay_alu instid0(SALU_CYCLE_1)
	s_mov_b32 s34, exec_lo
	v_cmpx_lt_u32_e64 v114, v145
	s_cbranch_execz .LBB2057_836
.LBB2057_805:                           ;   in Loop: Header=BB2057_688 Depth=2
	global_load_b64 v[22:23], v[36:37], off offset:1536
	s_or_b32 exec_lo, exec_lo, s34
	s_delay_alu instid0(SALU_CYCLE_1)
	s_mov_b32 s34, exec_lo
	v_cmpx_lt_u32_e64 v115, v145
	s_cbranch_execnz .LBB2057_837
.LBB2057_806:                           ;   in Loop: Header=BB2057_688 Depth=2
	s_or_b32 exec_lo, exec_lo, s34
	s_delay_alu instid0(SALU_CYCLE_1)
	s_mov_b32 s34, exec_lo
	v_cmpx_lt_u32_e64 v116, v145
	s_cbranch_execz .LBB2057_838
.LBB2057_807:                           ;   in Loop: Header=BB2057_688 Depth=2
	global_load_b64 v[18:19], v[36:37], off offset:2048
	s_or_b32 exec_lo, exec_lo, s34
	s_delay_alu instid0(SALU_CYCLE_1)
	s_mov_b32 s34, exec_lo
	v_cmpx_lt_u32_e64 v117, v145
	s_cbranch_execnz .LBB2057_839
.LBB2057_808:                           ;   in Loop: Header=BB2057_688 Depth=2
	s_or_b32 exec_lo, exec_lo, s34
	s_delay_alu instid0(SALU_CYCLE_1)
	s_mov_b32 s34, exec_lo
	v_cmpx_lt_u32_e64 v118, v145
	s_cbranch_execz .LBB2057_840
.LBB2057_809:                           ;   in Loop: Header=BB2057_688 Depth=2
	global_load_b64 v[14:15], v[36:37], off offset:2560
	s_or_b32 exec_lo, exec_lo, s34
	s_delay_alu instid0(SALU_CYCLE_1)
	s_mov_b32 s34, exec_lo
	v_cmpx_lt_u32_e64 v119, v145
	s_cbranch_execnz .LBB2057_841
.LBB2057_810:                           ;   in Loop: Header=BB2057_688 Depth=2
	s_or_b32 exec_lo, exec_lo, s34
	s_delay_alu instid0(SALU_CYCLE_1)
	s_mov_b32 s34, exec_lo
	v_cmpx_lt_u32_e64 v120, v145
	s_cbranch_execz .LBB2057_842
.LBB2057_811:                           ;   in Loop: Header=BB2057_688 Depth=2
	global_load_b64 v[10:11], v[36:37], off offset:3072
	s_or_b32 exec_lo, exec_lo, s34
	s_delay_alu instid0(SALU_CYCLE_1)
	s_mov_b32 s34, exec_lo
	v_cmpx_lt_u32_e64 v121, v145
	s_cbranch_execnz .LBB2057_843
.LBB2057_812:                           ;   in Loop: Header=BB2057_688 Depth=2
	s_or_b32 exec_lo, exec_lo, s34
	s_delay_alu instid0(SALU_CYCLE_1)
	s_mov_b32 s34, exec_lo
	v_cmpx_lt_u32_e64 v122, v145
	s_cbranch_execz .LBB2057_844
.LBB2057_813:                           ;   in Loop: Header=BB2057_688 Depth=2
	global_load_b64 v[6:7], v[36:37], off offset:3584
	s_or_b32 exec_lo, exec_lo, s34
	s_delay_alu instid0(SALU_CYCLE_1)
	s_mov_b32 s34, exec_lo
	v_cmpx_lt_u32_e64 v123, v145
	s_cbranch_execnz .LBB2057_845
.LBB2057_814:                           ;   in Loop: Header=BB2057_688 Depth=2
	s_or_b32 exec_lo, exec_lo, s34
	s_and_saveexec_b32 s34, vcc_lo
	s_cbranch_execz .LBB2057_846
.LBB2057_815:                           ;   in Loop: Header=BB2057_688 Depth=2
	v_add_nc_u32_e32 v2, v72, v78
	ds_load_u16 v2, v2 offset:1024
	s_waitcnt lgkmcnt(0)
	v_cmp_ne_u16_e64 s33, 0x7fff, v2
	s_delay_alu instid0(VALU_DEP_1) | instskip(NEXT) | instid1(VALU_DEP_1)
	v_cndmask_b32_e64 v2, 0xffff8000, v2, s33
	v_and_b32_e32 v2, 0xffff, v2
	s_delay_alu instid0(VALU_DEP_1) | instskip(NEXT) | instid1(VALU_DEP_1)
	v_lshrrev_b32_e32 v2, s49, v2
	v_and_b32_e32 v144, s55, v2
	s_or_b32 exec_lo, exec_lo, s34
	s_and_saveexec_b32 s34, s16
	s_cbranch_execnz .LBB2057_847
.LBB2057_816:                           ;   in Loop: Header=BB2057_688 Depth=2
	s_or_b32 exec_lo, exec_lo, s34
	s_and_saveexec_b32 s34, s17
	s_cbranch_execz .LBB2057_848
.LBB2057_817:                           ;   in Loop: Header=BB2057_688 Depth=2
	ds_load_u16 v2, v79 offset:1024
	s_waitcnt lgkmcnt(0)
	v_cmp_ne_u16_e64 s33, 0x7fff, v2
	s_delay_alu instid0(VALU_DEP_1) | instskip(NEXT) | instid1(VALU_DEP_1)
	v_cndmask_b32_e64 v2, 0xffff8000, v2, s33
	v_and_b32_e32 v2, 0xffff, v2
	s_delay_alu instid0(VALU_DEP_1) | instskip(NEXT) | instid1(VALU_DEP_1)
	v_lshrrev_b32_e32 v2, s49, v2
	v_and_b32_e32 v142, s55, v2
	s_or_b32 exec_lo, exec_lo, s34
	s_and_saveexec_b32 s34, s18
	s_cbranch_execnz .LBB2057_849
.LBB2057_818:                           ;   in Loop: Header=BB2057_688 Depth=2
	s_or_b32 exec_lo, exec_lo, s34
	s_and_saveexec_b32 s34, s19
	s_cbranch_execz .LBB2057_850
.LBB2057_819:                           ;   in Loop: Header=BB2057_688 Depth=2
	ds_load_u16 v2, v79 offset:2048
	s_waitcnt lgkmcnt(0)
	v_cmp_ne_u16_e64 s33, 0x7fff, v2
	s_delay_alu instid0(VALU_DEP_1) | instskip(NEXT) | instid1(VALU_DEP_1)
	v_cndmask_b32_e64 v2, 0xffff8000, v2, s33
	v_and_b32_e32 v2, 0xffff, v2
	s_delay_alu instid0(VALU_DEP_1) | instskip(NEXT) | instid1(VALU_DEP_1)
	v_lshrrev_b32_e32 v2, s49, v2
	v_and_b32_e32 v140, s55, v2
	s_or_b32 exec_lo, exec_lo, s34
	s_and_saveexec_b32 s34, s20
	s_cbranch_execnz .LBB2057_851
.LBB2057_820:                           ;   in Loop: Header=BB2057_688 Depth=2
	s_or_b32 exec_lo, exec_lo, s34
	s_and_saveexec_b32 s34, s21
	s_cbranch_execz .LBB2057_852
.LBB2057_821:                           ;   in Loop: Header=BB2057_688 Depth=2
	ds_load_u16 v2, v79 offset:3072
	s_waitcnt lgkmcnt(0)
	v_cmp_ne_u16_e64 s33, 0x7fff, v2
	s_delay_alu instid0(VALU_DEP_1) | instskip(NEXT) | instid1(VALU_DEP_1)
	v_cndmask_b32_e64 v2, 0xffff8000, v2, s33
	v_and_b32_e32 v2, 0xffff, v2
	s_delay_alu instid0(VALU_DEP_1) | instskip(NEXT) | instid1(VALU_DEP_1)
	v_lshrrev_b32_e32 v2, s49, v2
	v_and_b32_e32 v138, s55, v2
	s_or_b32 exec_lo, exec_lo, s34
	s_and_saveexec_b32 s34, s22
	s_cbranch_execnz .LBB2057_853
.LBB2057_822:                           ;   in Loop: Header=BB2057_688 Depth=2
	s_or_b32 exec_lo, exec_lo, s34
	s_and_saveexec_b32 s34, s23
	s_cbranch_execz .LBB2057_854
.LBB2057_823:                           ;   in Loop: Header=BB2057_688 Depth=2
	ds_load_u16 v2, v79 offset:4096
	s_waitcnt lgkmcnt(0)
	v_cmp_ne_u16_e64 s33, 0x7fff, v2
	s_delay_alu instid0(VALU_DEP_1) | instskip(NEXT) | instid1(VALU_DEP_1)
	v_cndmask_b32_e64 v2, 0xffff8000, v2, s33
	v_and_b32_e32 v2, 0xffff, v2
	s_delay_alu instid0(VALU_DEP_1) | instskip(NEXT) | instid1(VALU_DEP_1)
	v_lshrrev_b32_e32 v2, s49, v2
	v_and_b32_e32 v136, s55, v2
	s_or_b32 exec_lo, exec_lo, s34
	s_and_saveexec_b32 s34, s24
	s_cbranch_execnz .LBB2057_855
.LBB2057_824:                           ;   in Loop: Header=BB2057_688 Depth=2
	s_or_b32 exec_lo, exec_lo, s34
	s_and_saveexec_b32 s34, s25
	s_cbranch_execz .LBB2057_856
.LBB2057_825:                           ;   in Loop: Header=BB2057_688 Depth=2
	ds_load_u16 v2, v79 offset:5120
	s_waitcnt lgkmcnt(0)
	v_cmp_ne_u16_e64 s33, 0x7fff, v2
	s_delay_alu instid0(VALU_DEP_1) | instskip(NEXT) | instid1(VALU_DEP_1)
	v_cndmask_b32_e64 v2, 0xffff8000, v2, s33
	v_and_b32_e32 v2, 0xffff, v2
	s_delay_alu instid0(VALU_DEP_1) | instskip(NEXT) | instid1(VALU_DEP_1)
	v_lshrrev_b32_e32 v2, s49, v2
	v_and_b32_e32 v134, s55, v2
	s_or_b32 exec_lo, exec_lo, s34
	s_and_saveexec_b32 s34, s27
	s_cbranch_execnz .LBB2057_857
.LBB2057_826:                           ;   in Loop: Header=BB2057_688 Depth=2
	s_or_b32 exec_lo, exec_lo, s34
	s_and_saveexec_b32 s34, s28
	s_cbranch_execz .LBB2057_858
.LBB2057_827:                           ;   in Loop: Header=BB2057_688 Depth=2
	ds_load_u16 v2, v79 offset:6144
	s_waitcnt lgkmcnt(0)
	v_cmp_ne_u16_e64 s33, 0x7fff, v2
	s_delay_alu instid0(VALU_DEP_1) | instskip(NEXT) | instid1(VALU_DEP_1)
	v_cndmask_b32_e64 v2, 0xffff8000, v2, s33
	v_and_b32_e32 v2, 0xffff, v2
	s_delay_alu instid0(VALU_DEP_1) | instskip(NEXT) | instid1(VALU_DEP_1)
	v_lshrrev_b32_e32 v2, s49, v2
	v_and_b32_e32 v132, s55, v2
	s_or_b32 exec_lo, exec_lo, s34
	s_and_saveexec_b32 s34, s29
	s_cbranch_execnz .LBB2057_859
.LBB2057_828:                           ;   in Loop: Header=BB2057_688 Depth=2
	s_or_b32 exec_lo, exec_lo, s34
	s_and_saveexec_b32 s34, s30
	s_cbranch_execz .LBB2057_860
.LBB2057_829:                           ;   in Loop: Header=BB2057_688 Depth=2
	ds_load_u16 v2, v79 offset:7168
	s_waitcnt lgkmcnt(0)
	v_cmp_ne_u16_e64 s33, 0x7fff, v2
	s_delay_alu instid0(VALU_DEP_1) | instskip(NEXT) | instid1(VALU_DEP_1)
	v_cndmask_b32_e64 v2, 0xffff8000, v2, s33
	v_and_b32_e32 v2, 0xffff, v2
	s_delay_alu instid0(VALU_DEP_1) | instskip(NEXT) | instid1(VALU_DEP_1)
	v_lshrrev_b32_e32 v2, s49, v2
	v_and_b32_e32 v130, s55, v2
	s_or_b32 exec_lo, exec_lo, s34
	s_and_saveexec_b32 s34, s31
	s_cbranch_execnz .LBB2057_861
	s_branch .LBB2057_862
.LBB2057_830:                           ;   in Loop: Header=BB2057_688 Depth=2
	s_or_b32 exec_lo, exec_lo, s33
	s_delay_alu instid0(SALU_CYCLE_1)
	s_mov_b32 s34, exec_lo
	v_cmpx_lt_u32_e64 v109, v145
	s_cbranch_execz .LBB2057_800
.LBB2057_831:                           ;   in Loop: Header=BB2057_688 Depth=2
	global_load_b64 v[32:33], v[36:37], off offset:256
	s_or_b32 exec_lo, exec_lo, s34
	s_delay_alu instid0(SALU_CYCLE_1)
	s_mov_b32 s34, exec_lo
	v_cmpx_lt_u32_e64 v110, v145
	s_cbranch_execnz .LBB2057_801
.LBB2057_832:                           ;   in Loop: Header=BB2057_688 Depth=2
	s_or_b32 exec_lo, exec_lo, s34
	s_delay_alu instid0(SALU_CYCLE_1)
	s_mov_b32 s34, exec_lo
	v_cmpx_lt_u32_e64 v111, v145
	s_cbranch_execz .LBB2057_802
.LBB2057_833:                           ;   in Loop: Header=BB2057_688 Depth=2
	global_load_b64 v[28:29], v[36:37], off offset:768
	s_or_b32 exec_lo, exec_lo, s34
	s_delay_alu instid0(SALU_CYCLE_1)
	s_mov_b32 s34, exec_lo
	v_cmpx_lt_u32_e64 v112, v145
	s_cbranch_execnz .LBB2057_803
.LBB2057_834:                           ;   in Loop: Header=BB2057_688 Depth=2
	s_or_b32 exec_lo, exec_lo, s34
	s_delay_alu instid0(SALU_CYCLE_1)
	s_mov_b32 s34, exec_lo
	v_cmpx_lt_u32_e64 v113, v145
	s_cbranch_execz .LBB2057_804
.LBB2057_835:                           ;   in Loop: Header=BB2057_688 Depth=2
	global_load_b64 v[24:25], v[36:37], off offset:1280
	s_or_b32 exec_lo, exec_lo, s34
	s_delay_alu instid0(SALU_CYCLE_1)
	s_mov_b32 s34, exec_lo
	v_cmpx_lt_u32_e64 v114, v145
	s_cbranch_execnz .LBB2057_805
.LBB2057_836:                           ;   in Loop: Header=BB2057_688 Depth=2
	s_or_b32 exec_lo, exec_lo, s34
	s_delay_alu instid0(SALU_CYCLE_1)
	s_mov_b32 s34, exec_lo
	v_cmpx_lt_u32_e64 v115, v145
	s_cbranch_execz .LBB2057_806
.LBB2057_837:                           ;   in Loop: Header=BB2057_688 Depth=2
	global_load_b64 v[20:21], v[36:37], off offset:1792
	s_or_b32 exec_lo, exec_lo, s34
	s_delay_alu instid0(SALU_CYCLE_1)
	s_mov_b32 s34, exec_lo
	v_cmpx_lt_u32_e64 v116, v145
	s_cbranch_execnz .LBB2057_807
.LBB2057_838:                           ;   in Loop: Header=BB2057_688 Depth=2
	s_or_b32 exec_lo, exec_lo, s34
	s_delay_alu instid0(SALU_CYCLE_1)
	s_mov_b32 s34, exec_lo
	v_cmpx_lt_u32_e64 v117, v145
	s_cbranch_execz .LBB2057_808
.LBB2057_839:                           ;   in Loop: Header=BB2057_688 Depth=2
	global_load_b64 v[16:17], v[36:37], off offset:2304
	s_or_b32 exec_lo, exec_lo, s34
	s_delay_alu instid0(SALU_CYCLE_1)
	s_mov_b32 s34, exec_lo
	v_cmpx_lt_u32_e64 v118, v145
	s_cbranch_execnz .LBB2057_809
.LBB2057_840:                           ;   in Loop: Header=BB2057_688 Depth=2
	s_or_b32 exec_lo, exec_lo, s34
	s_delay_alu instid0(SALU_CYCLE_1)
	s_mov_b32 s34, exec_lo
	v_cmpx_lt_u32_e64 v119, v145
	s_cbranch_execz .LBB2057_810
.LBB2057_841:                           ;   in Loop: Header=BB2057_688 Depth=2
	global_load_b64 v[12:13], v[36:37], off offset:2816
	s_or_b32 exec_lo, exec_lo, s34
	s_delay_alu instid0(SALU_CYCLE_1)
	s_mov_b32 s34, exec_lo
	v_cmpx_lt_u32_e64 v120, v145
	s_cbranch_execnz .LBB2057_811
.LBB2057_842:                           ;   in Loop: Header=BB2057_688 Depth=2
	s_or_b32 exec_lo, exec_lo, s34
	s_delay_alu instid0(SALU_CYCLE_1)
	s_mov_b32 s34, exec_lo
	v_cmpx_lt_u32_e64 v121, v145
	s_cbranch_execz .LBB2057_812
.LBB2057_843:                           ;   in Loop: Header=BB2057_688 Depth=2
	global_load_b64 v[8:9], v[36:37], off offset:3328
	s_or_b32 exec_lo, exec_lo, s34
	s_delay_alu instid0(SALU_CYCLE_1)
	s_mov_b32 s34, exec_lo
	v_cmpx_lt_u32_e64 v122, v145
	s_cbranch_execnz .LBB2057_813
.LBB2057_844:                           ;   in Loop: Header=BB2057_688 Depth=2
	s_or_b32 exec_lo, exec_lo, s34
	s_delay_alu instid0(SALU_CYCLE_1)
	s_mov_b32 s34, exec_lo
	v_cmpx_lt_u32_e64 v123, v145
	s_cbranch_execz .LBB2057_814
.LBB2057_845:                           ;   in Loop: Header=BB2057_688 Depth=2
	global_load_b64 v[4:5], v[36:37], off offset:3840
	s_or_b32 exec_lo, exec_lo, s34
	s_and_saveexec_b32 s34, vcc_lo
	s_cbranch_execnz .LBB2057_815
.LBB2057_846:                           ;   in Loop: Header=BB2057_688 Depth=2
	s_or_b32 exec_lo, exec_lo, s34
	s_and_saveexec_b32 s34, s16
	s_cbranch_execz .LBB2057_816
.LBB2057_847:                           ;   in Loop: Header=BB2057_688 Depth=2
	ds_load_u16 v2, v79 offset:512
	s_waitcnt lgkmcnt(0)
	v_cmp_ne_u16_e64 s33, 0x7fff, v2
	s_delay_alu instid0(VALU_DEP_1) | instskip(NEXT) | instid1(VALU_DEP_1)
	v_cndmask_b32_e64 v2, 0xffff8000, v2, s33
	v_and_b32_e32 v2, 0xffff, v2
	s_delay_alu instid0(VALU_DEP_1) | instskip(NEXT) | instid1(VALU_DEP_1)
	v_lshrrev_b32_e32 v2, s49, v2
	v_and_b32_e32 v143, s55, v2
	s_or_b32 exec_lo, exec_lo, s34
	s_and_saveexec_b32 s34, s17
	s_cbranch_execnz .LBB2057_817
.LBB2057_848:                           ;   in Loop: Header=BB2057_688 Depth=2
	s_or_b32 exec_lo, exec_lo, s34
	s_and_saveexec_b32 s34, s18
	s_cbranch_execz .LBB2057_818
.LBB2057_849:                           ;   in Loop: Header=BB2057_688 Depth=2
	ds_load_u16 v2, v79 offset:1536
	s_waitcnt lgkmcnt(0)
	v_cmp_ne_u16_e64 s33, 0x7fff, v2
	s_delay_alu instid0(VALU_DEP_1) | instskip(NEXT) | instid1(VALU_DEP_1)
	v_cndmask_b32_e64 v2, 0xffff8000, v2, s33
	v_and_b32_e32 v2, 0xffff, v2
	s_delay_alu instid0(VALU_DEP_1) | instskip(NEXT) | instid1(VALU_DEP_1)
	v_lshrrev_b32_e32 v2, s49, v2
	v_and_b32_e32 v141, s55, v2
	s_or_b32 exec_lo, exec_lo, s34
	s_and_saveexec_b32 s34, s19
	s_cbranch_execnz .LBB2057_819
.LBB2057_850:                           ;   in Loop: Header=BB2057_688 Depth=2
	s_or_b32 exec_lo, exec_lo, s34
	s_and_saveexec_b32 s34, s20
	s_cbranch_execz .LBB2057_820
.LBB2057_851:                           ;   in Loop: Header=BB2057_688 Depth=2
	ds_load_u16 v2, v79 offset:2560
	s_waitcnt lgkmcnt(0)
	v_cmp_ne_u16_e64 s33, 0x7fff, v2
	s_delay_alu instid0(VALU_DEP_1) | instskip(NEXT) | instid1(VALU_DEP_1)
	v_cndmask_b32_e64 v2, 0xffff8000, v2, s33
	v_and_b32_e32 v2, 0xffff, v2
	s_delay_alu instid0(VALU_DEP_1) | instskip(NEXT) | instid1(VALU_DEP_1)
	v_lshrrev_b32_e32 v2, s49, v2
	v_and_b32_e32 v139, s55, v2
	s_or_b32 exec_lo, exec_lo, s34
	s_and_saveexec_b32 s34, s21
	s_cbranch_execnz .LBB2057_821
.LBB2057_852:                           ;   in Loop: Header=BB2057_688 Depth=2
	s_or_b32 exec_lo, exec_lo, s34
	s_and_saveexec_b32 s34, s22
	s_cbranch_execz .LBB2057_822
.LBB2057_853:                           ;   in Loop: Header=BB2057_688 Depth=2
	ds_load_u16 v2, v79 offset:3584
	s_waitcnt lgkmcnt(0)
	v_cmp_ne_u16_e64 s33, 0x7fff, v2
	s_delay_alu instid0(VALU_DEP_1) | instskip(NEXT) | instid1(VALU_DEP_1)
	v_cndmask_b32_e64 v2, 0xffff8000, v2, s33
	v_and_b32_e32 v2, 0xffff, v2
	s_delay_alu instid0(VALU_DEP_1) | instskip(NEXT) | instid1(VALU_DEP_1)
	v_lshrrev_b32_e32 v2, s49, v2
	v_and_b32_e32 v137, s55, v2
	s_or_b32 exec_lo, exec_lo, s34
	s_and_saveexec_b32 s34, s23
	s_cbranch_execnz .LBB2057_823
.LBB2057_854:                           ;   in Loop: Header=BB2057_688 Depth=2
	s_or_b32 exec_lo, exec_lo, s34
	s_and_saveexec_b32 s34, s24
	s_cbranch_execz .LBB2057_824
.LBB2057_855:                           ;   in Loop: Header=BB2057_688 Depth=2
	ds_load_u16 v2, v79 offset:4608
	s_waitcnt lgkmcnt(0)
	v_cmp_ne_u16_e64 s33, 0x7fff, v2
	s_delay_alu instid0(VALU_DEP_1) | instskip(NEXT) | instid1(VALU_DEP_1)
	v_cndmask_b32_e64 v2, 0xffff8000, v2, s33
	v_and_b32_e32 v2, 0xffff, v2
	s_delay_alu instid0(VALU_DEP_1) | instskip(NEXT) | instid1(VALU_DEP_1)
	v_lshrrev_b32_e32 v2, s49, v2
	v_and_b32_e32 v135, s55, v2
	s_or_b32 exec_lo, exec_lo, s34
	s_and_saveexec_b32 s34, s25
	s_cbranch_execnz .LBB2057_825
.LBB2057_856:                           ;   in Loop: Header=BB2057_688 Depth=2
	s_or_b32 exec_lo, exec_lo, s34
	s_and_saveexec_b32 s34, s27
	s_cbranch_execz .LBB2057_826
.LBB2057_857:                           ;   in Loop: Header=BB2057_688 Depth=2
	ds_load_u16 v2, v79 offset:5632
	s_waitcnt lgkmcnt(0)
	v_cmp_ne_u16_e64 s33, 0x7fff, v2
	s_delay_alu instid0(VALU_DEP_1) | instskip(NEXT) | instid1(VALU_DEP_1)
	v_cndmask_b32_e64 v2, 0xffff8000, v2, s33
	v_and_b32_e32 v2, 0xffff, v2
	s_delay_alu instid0(VALU_DEP_1) | instskip(NEXT) | instid1(VALU_DEP_1)
	v_lshrrev_b32_e32 v2, s49, v2
	v_and_b32_e32 v133, s55, v2
	s_or_b32 exec_lo, exec_lo, s34
	s_and_saveexec_b32 s34, s28
	s_cbranch_execnz .LBB2057_827
.LBB2057_858:                           ;   in Loop: Header=BB2057_688 Depth=2
	s_or_b32 exec_lo, exec_lo, s34
	s_and_saveexec_b32 s34, s29
	s_cbranch_execz .LBB2057_828
.LBB2057_859:                           ;   in Loop: Header=BB2057_688 Depth=2
	ds_load_u16 v2, v79 offset:6656
	s_waitcnt lgkmcnt(0)
	v_cmp_ne_u16_e64 s33, 0x7fff, v2
	s_delay_alu instid0(VALU_DEP_1) | instskip(NEXT) | instid1(VALU_DEP_1)
	v_cndmask_b32_e64 v2, 0xffff8000, v2, s33
	v_and_b32_e32 v2, 0xffff, v2
	s_delay_alu instid0(VALU_DEP_1) | instskip(NEXT) | instid1(VALU_DEP_1)
	v_lshrrev_b32_e32 v2, s49, v2
	v_and_b32_e32 v131, s55, v2
	s_or_b32 exec_lo, exec_lo, s34
	s_and_saveexec_b32 s34, s30
	s_cbranch_execnz .LBB2057_829
.LBB2057_860:                           ;   in Loop: Header=BB2057_688 Depth=2
	s_or_b32 exec_lo, exec_lo, s34
	s_and_saveexec_b32 s34, s31
	s_cbranch_execz .LBB2057_862
.LBB2057_861:                           ;   in Loop: Header=BB2057_688 Depth=2
	ds_load_u16 v2, v79 offset:7680
	s_waitcnt lgkmcnt(0)
	v_cmp_ne_u16_e64 s33, 0x7fff, v2
	s_delay_alu instid0(VALU_DEP_1) | instskip(NEXT) | instid1(VALU_DEP_1)
	v_cndmask_b32_e64 v2, 0xffff8000, v2, s33
	v_and_b32_e32 v2, 0xffff, v2
	s_delay_alu instid0(VALU_DEP_1) | instskip(NEXT) | instid1(VALU_DEP_1)
	v_lshrrev_b32_e32 v2, s49, v2
	v_and_b32_e32 v129, s55, v2
.LBB2057_862:                           ;   in Loop: Header=BB2057_688 Depth=2
	s_or_b32 exec_lo, exec_lo, s34
	v_lshlrev_b32_e32 v2, 3, v168
	v_lshlrev_b32_e32 v36, 3, v164
	s_waitcnt vmcnt(0)
	s_waitcnt_vscnt null, 0x0
	s_barrier
	buffer_gl0_inv
	ds_store_b64 v2, v[34:35] offset:1024
	v_lshlrev_b32_e32 v2, 3, v160
	v_lshlrev_b32_e32 v37, 3, v156
	;; [unrolled: 1-line block ×4, first 2 shown]
	ds_store_b64 v36, v[32:33] offset:1024
	ds_store_b64 v2, v[30:31] offset:1024
	;; [unrolled: 1-line block ×5, first 2 shown]
	v_lshlrev_b32_e32 v2, 3, v152
	v_lshlrev_b32_e32 v36, 3, v151
	;; [unrolled: 1-line block ×5, first 2 shown]
	ds_store_b64 v2, v[22:23] offset:1024
	ds_store_b64 v36, v[20:21] offset:1024
	ds_store_b64 v37, v[18:19] offset:1024
	ds_store_b64 v145, v[16:17] offset:1024
	ds_store_b64 v146, v[14:15] offset:1024
	v_lshlrev_b32_e32 v2, 3, v40
	v_lshlrev_b32_e32 v36, 3, v39
	;; [unrolled: 1-line block ×5, first 2 shown]
	ds_store_b64 v2, v[12:13] offset:1024
	ds_store_b64 v36, v[10:11] offset:1024
	;; [unrolled: 1-line block ×5, first 2 shown]
	s_waitcnt lgkmcnt(0)
	s_barrier
	buffer_gl0_inv
	s_and_saveexec_b32 s33, vcc_lo
	s_cbranch_execz .LBB2057_878
; %bb.863:                              ;   in Loop: Header=BB2057_688 Depth=2
	v_lshlrev_b32_e32 v2, 2, v144
	ds_load_b32 v2, v2
	ds_load_b64 v[36:37], v80 offset:1024
	s_waitcnt lgkmcnt(1)
	v_add_nc_u32_e32 v2, v2, v1
	s_delay_alu instid0(VALU_DEP_1) | instskip(NEXT) | instid1(VALU_DEP_1)
	v_lshlrev_b64 v[39:40], 3, v[2:3]
	v_add_co_u32 v39, vcc_lo, s44, v39
	s_delay_alu instid0(VALU_DEP_2)
	v_add_co_ci_u32_e32 v40, vcc_lo, s45, v40, vcc_lo
	s_waitcnt lgkmcnt(0)
	global_store_b64 v[39:40], v[36:37], off
	s_or_b32 exec_lo, exec_lo, s33
	s_and_saveexec_b32 s33, s16
	s_cbranch_execnz .LBB2057_879
.LBB2057_864:                           ;   in Loop: Header=BB2057_688 Depth=2
	s_or_b32 exec_lo, exec_lo, s33
	s_and_saveexec_b32 s16, s17
	s_cbranch_execz .LBB2057_880
.LBB2057_865:                           ;   in Loop: Header=BB2057_688 Depth=2
	v_lshlrev_b32_e32 v2, 2, v142
	v_add_nc_u32_e32 v36, v79, v81
	ds_load_b32 v2, v2
	ds_load_b64 v[36:37], v36 offset:4096
	s_waitcnt lgkmcnt(1)
	v_add_nc_u32_e32 v2, v2, v46
	s_delay_alu instid0(VALU_DEP_1) | instskip(NEXT) | instid1(VALU_DEP_1)
	v_lshlrev_b64 v[39:40], 3, v[2:3]
	v_add_co_u32 v39, vcc_lo, s44, v39
	s_delay_alu instid0(VALU_DEP_2)
	v_add_co_ci_u32_e32 v40, vcc_lo, s45, v40, vcc_lo
	s_waitcnt lgkmcnt(0)
	global_store_b64 v[39:40], v[36:37], off
	s_or_b32 exec_lo, exec_lo, s16
	s_and_saveexec_b32 s16, s18
	s_cbranch_execnz .LBB2057_881
.LBB2057_866:                           ;   in Loop: Header=BB2057_688 Depth=2
	s_or_b32 exec_lo, exec_lo, s16
	s_and_saveexec_b32 s16, s19
	s_cbranch_execz .LBB2057_882
.LBB2057_867:                           ;   in Loop: Header=BB2057_688 Depth=2
	v_lshlrev_b32_e32 v2, 2, v140
	v_add_nc_u32_e32 v36, v79, v81
	ds_load_b32 v2, v2
	ds_load_b64 v[36:37], v36 offset:8192
	s_waitcnt lgkmcnt(1)
	v_add_nc_u32_e32 v2, v2, v51
	s_delay_alu instid0(VALU_DEP_1) | instskip(NEXT) | instid1(VALU_DEP_1)
	v_lshlrev_b64 v[39:40], 3, v[2:3]
	v_add_co_u32 v39, vcc_lo, s44, v39
	s_delay_alu instid0(VALU_DEP_2)
	v_add_co_ci_u32_e32 v40, vcc_lo, s45, v40, vcc_lo
	s_waitcnt lgkmcnt(0)
	global_store_b64 v[39:40], v[36:37], off
	s_or_b32 exec_lo, exec_lo, s16
	s_and_saveexec_b32 s16, s20
	s_cbranch_execnz .LBB2057_883
.LBB2057_868:                           ;   in Loop: Header=BB2057_688 Depth=2
	s_or_b32 exec_lo, exec_lo, s16
	s_and_saveexec_b32 s16, s21
	s_cbranch_execz .LBB2057_884
.LBB2057_869:                           ;   in Loop: Header=BB2057_688 Depth=2
	v_lshlrev_b32_e32 v2, 2, v138
	v_add_nc_u32_e32 v36, v79, v81
	ds_load_b32 v2, v2
	ds_load_b64 v[36:37], v36 offset:12288
	s_waitcnt lgkmcnt(1)
	v_add_nc_u32_e32 v2, v2, v53
	s_delay_alu instid0(VALU_DEP_1) | instskip(NEXT) | instid1(VALU_DEP_1)
	v_lshlrev_b64 v[39:40], 3, v[2:3]
	v_add_co_u32 v39, vcc_lo, s44, v39
	s_delay_alu instid0(VALU_DEP_2)
	v_add_co_ci_u32_e32 v40, vcc_lo, s45, v40, vcc_lo
	s_waitcnt lgkmcnt(0)
	global_store_b64 v[39:40], v[36:37], off
	s_or_b32 exec_lo, exec_lo, s16
	s_and_saveexec_b32 s16, s22
	s_cbranch_execnz .LBB2057_885
.LBB2057_870:                           ;   in Loop: Header=BB2057_688 Depth=2
	s_or_b32 exec_lo, exec_lo, s16
	s_and_saveexec_b32 s16, s23
	s_cbranch_execz .LBB2057_886
.LBB2057_871:                           ;   in Loop: Header=BB2057_688 Depth=2
	v_lshlrev_b32_e32 v2, 2, v136
	v_add_nc_u32_e32 v36, v79, v81
	ds_load_b32 v2, v2
	ds_load_b64 v[36:37], v36 offset:16384
	s_waitcnt lgkmcnt(1)
	v_add_nc_u32_e32 v2, v2, v55
	s_delay_alu instid0(VALU_DEP_1) | instskip(NEXT) | instid1(VALU_DEP_1)
	v_lshlrev_b64 v[39:40], 3, v[2:3]
	v_add_co_u32 v39, vcc_lo, s44, v39
	s_delay_alu instid0(VALU_DEP_2)
	v_add_co_ci_u32_e32 v40, vcc_lo, s45, v40, vcc_lo
	s_waitcnt lgkmcnt(0)
	global_store_b64 v[39:40], v[36:37], off
	s_or_b32 exec_lo, exec_lo, s16
	s_and_saveexec_b32 s16, s24
	s_cbranch_execnz .LBB2057_887
.LBB2057_872:                           ;   in Loop: Header=BB2057_688 Depth=2
	s_or_b32 exec_lo, exec_lo, s16
	s_and_saveexec_b32 s16, s25
	s_cbranch_execz .LBB2057_888
.LBB2057_873:                           ;   in Loop: Header=BB2057_688 Depth=2
	v_lshlrev_b32_e32 v2, 2, v134
	v_add_nc_u32_e32 v36, v79, v81
	ds_load_b32 v2, v2
	ds_load_b64 v[36:37], v36 offset:20480
	s_waitcnt lgkmcnt(1)
	v_add_nc_u32_e32 v2, v2, v57
	s_delay_alu instid0(VALU_DEP_1) | instskip(NEXT) | instid1(VALU_DEP_1)
	v_lshlrev_b64 v[39:40], 3, v[2:3]
	v_add_co_u32 v39, vcc_lo, s44, v39
	s_delay_alu instid0(VALU_DEP_2)
	v_add_co_ci_u32_e32 v40, vcc_lo, s45, v40, vcc_lo
	s_waitcnt lgkmcnt(0)
	global_store_b64 v[39:40], v[36:37], off
	s_or_b32 exec_lo, exec_lo, s16
	s_and_saveexec_b32 s16, s27
	s_cbranch_execnz .LBB2057_889
.LBB2057_874:                           ;   in Loop: Header=BB2057_688 Depth=2
	s_or_b32 exec_lo, exec_lo, s16
	s_and_saveexec_b32 s16, s28
	s_cbranch_execz .LBB2057_890
.LBB2057_875:                           ;   in Loop: Header=BB2057_688 Depth=2
	v_lshlrev_b32_e32 v2, 2, v132
	v_add_nc_u32_e32 v36, v79, v81
	ds_load_b32 v2, v2
	ds_load_b64 v[36:37], v36 offset:24576
	s_waitcnt lgkmcnt(1)
	v_add_nc_u32_e32 v2, v2, v59
	s_delay_alu instid0(VALU_DEP_1) | instskip(NEXT) | instid1(VALU_DEP_1)
	v_lshlrev_b64 v[39:40], 3, v[2:3]
	v_add_co_u32 v39, vcc_lo, s44, v39
	s_delay_alu instid0(VALU_DEP_2)
	v_add_co_ci_u32_e32 v40, vcc_lo, s45, v40, vcc_lo
	s_waitcnt lgkmcnt(0)
	global_store_b64 v[39:40], v[36:37], off
	s_or_b32 exec_lo, exec_lo, s16
	s_and_saveexec_b32 s16, s29
	s_cbranch_execnz .LBB2057_891
.LBB2057_876:                           ;   in Loop: Header=BB2057_688 Depth=2
	s_or_b32 exec_lo, exec_lo, s16
	s_and_saveexec_b32 s16, s30
	s_cbranch_execz .LBB2057_892
.LBB2057_877:                           ;   in Loop: Header=BB2057_688 Depth=2
	v_lshlrev_b32_e32 v2, 2, v130
	v_add_nc_u32_e32 v36, v79, v81
	ds_load_b32 v2, v2
	ds_load_b64 v[36:37], v36 offset:28672
	s_waitcnt lgkmcnt(1)
	v_add_nc_u32_e32 v2, v2, v61
	s_delay_alu instid0(VALU_DEP_1) | instskip(NEXT) | instid1(VALU_DEP_1)
	v_lshlrev_b64 v[39:40], 3, v[2:3]
	v_add_co_u32 v39, vcc_lo, s44, v39
	s_delay_alu instid0(VALU_DEP_2)
	v_add_co_ci_u32_e32 v40, vcc_lo, s45, v40, vcc_lo
	s_waitcnt lgkmcnt(0)
	global_store_b64 v[39:40], v[36:37], off
	s_or_b32 exec_lo, exec_lo, s16
	s_and_saveexec_b32 s16, s31
	s_cbranch_execnz .LBB2057_893
	s_branch .LBB2057_894
.LBB2057_878:                           ;   in Loop: Header=BB2057_688 Depth=2
	s_or_b32 exec_lo, exec_lo, s33
	s_and_saveexec_b32 s33, s16
	s_cbranch_execz .LBB2057_864
.LBB2057_879:                           ;   in Loop: Header=BB2057_688 Depth=2
	v_lshlrev_b32_e32 v2, 2, v143
	v_add_nc_u32_e32 v36, v79, v81
	ds_load_b32 v2, v2
	ds_load_b64 v[36:37], v36 offset:2048
	s_waitcnt lgkmcnt(1)
	v_add_nc_u32_e32 v2, v2, v45
	s_delay_alu instid0(VALU_DEP_1) | instskip(NEXT) | instid1(VALU_DEP_1)
	v_lshlrev_b64 v[39:40], 3, v[2:3]
	v_add_co_u32 v39, vcc_lo, s44, v39
	s_delay_alu instid0(VALU_DEP_2)
	v_add_co_ci_u32_e32 v40, vcc_lo, s45, v40, vcc_lo
	s_waitcnt lgkmcnt(0)
	global_store_b64 v[39:40], v[36:37], off
	s_or_b32 exec_lo, exec_lo, s33
	s_and_saveexec_b32 s16, s17
	s_cbranch_execnz .LBB2057_865
.LBB2057_880:                           ;   in Loop: Header=BB2057_688 Depth=2
	s_or_b32 exec_lo, exec_lo, s16
	s_and_saveexec_b32 s16, s18
	s_cbranch_execz .LBB2057_866
.LBB2057_881:                           ;   in Loop: Header=BB2057_688 Depth=2
	v_lshlrev_b32_e32 v2, 2, v141
	v_add_nc_u32_e32 v36, v79, v81
	ds_load_b32 v2, v2
	ds_load_b64 v[36:37], v36 offset:6144
	s_waitcnt lgkmcnt(1)
	v_add_nc_u32_e32 v2, v2, v47
	s_delay_alu instid0(VALU_DEP_1) | instskip(NEXT) | instid1(VALU_DEP_1)
	v_lshlrev_b64 v[39:40], 3, v[2:3]
	v_add_co_u32 v39, vcc_lo, s44, v39
	s_delay_alu instid0(VALU_DEP_2)
	v_add_co_ci_u32_e32 v40, vcc_lo, s45, v40, vcc_lo
	s_waitcnt lgkmcnt(0)
	global_store_b64 v[39:40], v[36:37], off
	s_or_b32 exec_lo, exec_lo, s16
	s_and_saveexec_b32 s16, s19
	s_cbranch_execnz .LBB2057_867
.LBB2057_882:                           ;   in Loop: Header=BB2057_688 Depth=2
	s_or_b32 exec_lo, exec_lo, s16
	s_and_saveexec_b32 s16, s20
	s_cbranch_execz .LBB2057_868
.LBB2057_883:                           ;   in Loop: Header=BB2057_688 Depth=2
	v_lshlrev_b32_e32 v2, 2, v139
	v_add_nc_u32_e32 v36, v79, v81
	ds_load_b32 v2, v2
	ds_load_b64 v[36:37], v36 offset:10240
	s_waitcnt lgkmcnt(1)
	v_add_nc_u32_e32 v2, v2, v52
	s_delay_alu instid0(VALU_DEP_1) | instskip(NEXT) | instid1(VALU_DEP_1)
	v_lshlrev_b64 v[39:40], 3, v[2:3]
	v_add_co_u32 v39, vcc_lo, s44, v39
	s_delay_alu instid0(VALU_DEP_2)
	v_add_co_ci_u32_e32 v40, vcc_lo, s45, v40, vcc_lo
	s_waitcnt lgkmcnt(0)
	global_store_b64 v[39:40], v[36:37], off
	s_or_b32 exec_lo, exec_lo, s16
	s_and_saveexec_b32 s16, s21
	s_cbranch_execnz .LBB2057_869
.LBB2057_884:                           ;   in Loop: Header=BB2057_688 Depth=2
	s_or_b32 exec_lo, exec_lo, s16
	s_and_saveexec_b32 s16, s22
	s_cbranch_execz .LBB2057_870
.LBB2057_885:                           ;   in Loop: Header=BB2057_688 Depth=2
	v_lshlrev_b32_e32 v2, 2, v137
	v_add_nc_u32_e32 v36, v79, v81
	ds_load_b32 v2, v2
	ds_load_b64 v[36:37], v36 offset:14336
	s_waitcnt lgkmcnt(1)
	v_add_nc_u32_e32 v2, v2, v54
	s_delay_alu instid0(VALU_DEP_1) | instskip(NEXT) | instid1(VALU_DEP_1)
	v_lshlrev_b64 v[39:40], 3, v[2:3]
	v_add_co_u32 v39, vcc_lo, s44, v39
	s_delay_alu instid0(VALU_DEP_2)
	v_add_co_ci_u32_e32 v40, vcc_lo, s45, v40, vcc_lo
	s_waitcnt lgkmcnt(0)
	global_store_b64 v[39:40], v[36:37], off
	s_or_b32 exec_lo, exec_lo, s16
	s_and_saveexec_b32 s16, s23
	s_cbranch_execnz .LBB2057_871
.LBB2057_886:                           ;   in Loop: Header=BB2057_688 Depth=2
	s_or_b32 exec_lo, exec_lo, s16
	s_and_saveexec_b32 s16, s24
	s_cbranch_execz .LBB2057_872
.LBB2057_887:                           ;   in Loop: Header=BB2057_688 Depth=2
	v_lshlrev_b32_e32 v2, 2, v135
	v_add_nc_u32_e32 v36, v79, v81
	ds_load_b32 v2, v2
	ds_load_b64 v[36:37], v36 offset:18432
	s_waitcnt lgkmcnt(1)
	v_add_nc_u32_e32 v2, v2, v56
	s_delay_alu instid0(VALU_DEP_1) | instskip(NEXT) | instid1(VALU_DEP_1)
	v_lshlrev_b64 v[39:40], 3, v[2:3]
	v_add_co_u32 v39, vcc_lo, s44, v39
	s_delay_alu instid0(VALU_DEP_2)
	v_add_co_ci_u32_e32 v40, vcc_lo, s45, v40, vcc_lo
	s_waitcnt lgkmcnt(0)
	global_store_b64 v[39:40], v[36:37], off
	s_or_b32 exec_lo, exec_lo, s16
	s_and_saveexec_b32 s16, s25
	s_cbranch_execnz .LBB2057_873
.LBB2057_888:                           ;   in Loop: Header=BB2057_688 Depth=2
	s_or_b32 exec_lo, exec_lo, s16
	s_and_saveexec_b32 s16, s27
	s_cbranch_execz .LBB2057_874
.LBB2057_889:                           ;   in Loop: Header=BB2057_688 Depth=2
	v_lshlrev_b32_e32 v2, 2, v133
	v_add_nc_u32_e32 v36, v79, v81
	ds_load_b32 v2, v2
	ds_load_b64 v[36:37], v36 offset:22528
	s_waitcnt lgkmcnt(1)
	v_add_nc_u32_e32 v2, v2, v58
	s_delay_alu instid0(VALU_DEP_1) | instskip(NEXT) | instid1(VALU_DEP_1)
	v_lshlrev_b64 v[39:40], 3, v[2:3]
	v_add_co_u32 v39, vcc_lo, s44, v39
	s_delay_alu instid0(VALU_DEP_2)
	v_add_co_ci_u32_e32 v40, vcc_lo, s45, v40, vcc_lo
	s_waitcnt lgkmcnt(0)
	global_store_b64 v[39:40], v[36:37], off
	s_or_b32 exec_lo, exec_lo, s16
	s_and_saveexec_b32 s16, s28
	s_cbranch_execnz .LBB2057_875
.LBB2057_890:                           ;   in Loop: Header=BB2057_688 Depth=2
	s_or_b32 exec_lo, exec_lo, s16
	s_and_saveexec_b32 s16, s29
	s_cbranch_execz .LBB2057_876
.LBB2057_891:                           ;   in Loop: Header=BB2057_688 Depth=2
	v_lshlrev_b32_e32 v2, 2, v131
	v_add_nc_u32_e32 v36, v79, v81
	ds_load_b32 v2, v2
	ds_load_b64 v[36:37], v36 offset:26624
	s_waitcnt lgkmcnt(1)
	v_add_nc_u32_e32 v2, v2, v60
	s_delay_alu instid0(VALU_DEP_1) | instskip(NEXT) | instid1(VALU_DEP_1)
	v_lshlrev_b64 v[39:40], 3, v[2:3]
	v_add_co_u32 v39, vcc_lo, s44, v39
	s_delay_alu instid0(VALU_DEP_2)
	v_add_co_ci_u32_e32 v40, vcc_lo, s45, v40, vcc_lo
	s_waitcnt lgkmcnt(0)
	global_store_b64 v[39:40], v[36:37], off
	s_or_b32 exec_lo, exec_lo, s16
	s_and_saveexec_b32 s16, s30
	s_cbranch_execnz .LBB2057_877
.LBB2057_892:                           ;   in Loop: Header=BB2057_688 Depth=2
	s_or_b32 exec_lo, exec_lo, s16
	s_and_saveexec_b32 s16, s31
	s_cbranch_execz .LBB2057_894
.LBB2057_893:                           ;   in Loop: Header=BB2057_688 Depth=2
	v_lshlrev_b32_e32 v2, 2, v129
	v_add_nc_u32_e32 v36, v79, v81
	ds_load_b32 v2, v2
	ds_load_b64 v[36:37], v36 offset:30720
	s_waitcnt lgkmcnt(1)
	v_add_nc_u32_e32 v2, v2, v63
	s_delay_alu instid0(VALU_DEP_1) | instskip(NEXT) | instid1(VALU_DEP_1)
	v_lshlrev_b64 v[39:40], 3, v[2:3]
	v_add_co_u32 v39, vcc_lo, s44, v39
	s_delay_alu instid0(VALU_DEP_2)
	v_add_co_ci_u32_e32 v40, vcc_lo, s45, v40, vcc_lo
	s_waitcnt lgkmcnt(0)
	global_store_b64 v[39:40], v[36:37], off
.LBB2057_894:                           ;   in Loop: Header=BB2057_688 Depth=2
	s_or_b32 exec_lo, exec_lo, s16
	s_waitcnt_vscnt null, 0x0
	s_barrier
	buffer_gl0_inv
	s_and_saveexec_b32 s16, s2
	s_cbranch_execz .LBB2057_687
; %bb.895:                              ;   in Loop: Header=BB2057_688 Depth=2
	ds_load_b32 v2, v44
	s_waitcnt lgkmcnt(0)
	v_add_nc_u32_e32 v2, v2, v38
	ds_store_b32 v44, v2
	s_branch .LBB2057_687
.LBB2057_896:                           ;   in Loop: Header=BB2057_12 Depth=1
	s_waitcnt lgkmcnt(0)
	s_mov_b32 s0, 0
	s_barrier
.LBB2057_897:                           ;   in Loop: Header=BB2057_12 Depth=1
	s_and_b32 vcc_lo, exec_lo, s0
	s_cbranch_vccz .LBB2057_11
; %bb.898:                              ;   in Loop: Header=BB2057_12 Depth=1
	s_mov_b32 s8, s54
	s_mov_b32 s34, s52
	s_barrier
	buffer_gl0_inv
                                        ; implicit-def: $vgpr20
                                        ; implicit-def: $vgpr2
                                        ; implicit-def: $vgpr6
                                        ; implicit-def: $vgpr7
                                        ; implicit-def: $vgpr8
                                        ; implicit-def: $vgpr9
                                        ; implicit-def: $vgpr10
                                        ; implicit-def: $vgpr11
                                        ; implicit-def: $vgpr12
                                        ; implicit-def: $vgpr13
                                        ; implicit-def: $vgpr14
                                        ; implicit-def: $vgpr15
                                        ; implicit-def: $vgpr16
                                        ; implicit-def: $vgpr17
                                        ; implicit-def: $vgpr18
                                        ; implicit-def: $vgpr19
	s_branch .LBB2057_900
.LBB2057_899:                           ;   in Loop: Header=BB2057_900 Depth=2
	s_or_b32 exec_lo, exec_lo, s0
	s_addk_i32 s8, 0xf000
	s_cmp_ge_u32 s9, s53
	s_mov_b32 s34, s9
	s_cbranch_scc1 .LBB2057_970
.LBB2057_900:                           ;   Parent Loop BB2057_12 Depth=1
                                        ; =>  This Inner Loop Header: Depth=2
	s_add_i32 s9, s34, 0x1000
	s_delay_alu instid0(SALU_CYCLE_1)
	s_cmp_gt_u32 s9, s53
	s_cbranch_scc1 .LBB2057_903
; %bb.901:                              ;   in Loop: Header=BB2057_900 Depth=2
	s_mov_b32 s1, 0
	s_mov_b32 s0, s34
	s_delay_alu instid0(SALU_CYCLE_1) | instskip(NEXT) | instid1(SALU_CYCLE_1)
	s_lshl_b64 s[10:11], s[0:1], 1
	v_add_co_u32 v4, vcc_lo, v88, s10
	v_add_co_ci_u32_e32 v5, vcc_lo, s11, v89, vcc_lo
	s_movk_i32 s11, 0x1000
	s_waitcnt vmcnt(0)
	s_delay_alu instid0(VALU_DEP_2) | instskip(NEXT) | instid1(VALU_DEP_2)
	v_add_co_u32 v36, vcc_lo, 0x1000, v4
	v_add_co_ci_u32_e32 v37, vcc_lo, 0, v5, vcc_lo
	s_clause 0xe
	global_load_u16 v22, v[4:5], off
	global_load_u16 v23, v[4:5], off offset:512
	global_load_u16 v24, v[4:5], off offset:1024
	;; [unrolled: 1-line block ×7, first 2 shown]
	global_load_u16 v30, v[36:37], off
	global_load_u16 v31, v[36:37], off offset:512
	global_load_u16 v32, v[36:37], off offset:1024
	global_load_u16 v33, v[36:37], off offset:1536
	global_load_u16 v34, v[36:37], off offset:2048
	global_load_u16 v35, v[36:37], off offset:2560
	global_load_u16 v36, v[36:37], off offset:3072
	v_add_co_u32 v4, vcc_lo, 0x1e00, v4
	v_add_co_ci_u32_e32 v5, vcc_lo, 0, v5, vcc_lo
	s_mov_b32 s10, -1
	s_cbranch_execz .LBB2057_904
; %bb.902:                              ;   in Loop: Header=BB2057_900 Depth=2
                                        ; implicit-def: $vgpr19
                                        ; implicit-def: $vgpr18
                                        ; implicit-def: $vgpr17
                                        ; implicit-def: $vgpr16
                                        ; implicit-def: $vgpr15
                                        ; implicit-def: $vgpr14
                                        ; implicit-def: $vgpr13
                                        ; implicit-def: $vgpr12
                                        ; implicit-def: $vgpr11
                                        ; implicit-def: $vgpr10
                                        ; implicit-def: $vgpr9
                                        ; implicit-def: $vgpr8
                                        ; implicit-def: $vgpr7
                                        ; implicit-def: $vgpr6
                                        ; implicit-def: $vgpr2
                                        ; implicit-def: $vgpr20
	v_mov_b32_e32 v21, s8
	s_and_saveexec_b32 s0, s10
	s_cbranch_execnz .LBB2057_923
	s_branch .LBB2057_924
.LBB2057_903:                           ;   in Loop: Header=BB2057_900 Depth=2
	s_mov_b32 s10, 0
                                        ; implicit-def: $sgpr11
                                        ; implicit-def: $vgpr22
                                        ; implicit-def: $vgpr23
                                        ; implicit-def: $vgpr24
                                        ; implicit-def: $vgpr25
                                        ; implicit-def: $vgpr26
                                        ; implicit-def: $vgpr27
                                        ; implicit-def: $vgpr28
                                        ; implicit-def: $vgpr29
                                        ; implicit-def: $vgpr30
                                        ; implicit-def: $vgpr31
                                        ; implicit-def: $vgpr32
                                        ; implicit-def: $vgpr33
                                        ; implicit-def: $vgpr34
                                        ; implicit-def: $vgpr35
                                        ; implicit-def: $vgpr36
                                        ; implicit-def: $vgpr4_vgpr5
.LBB2057_904:                           ;   in Loop: Header=BB2057_900 Depth=2
	s_lshl_b64 s[0:1], s[34:35], 1
	s_mov_b32 s11, exec_lo
	s_add_u32 s0, s36, s0
	s_addc_u32 s1, s37, s1
	v_cmpx_gt_u32_e64 s8, v1
	s_cbranch_execz .LBB2057_956
; %bb.905:                              ;   in Loop: Header=BB2057_900 Depth=2
	global_load_u16 v19, v95, s[0:1]
	s_or_b32 exec_lo, exec_lo, s11
	s_delay_alu instid0(SALU_CYCLE_1)
	s_mov_b32 s11, exec_lo
	v_cmpx_gt_u32_e64 s8, v45
	s_cbranch_execnz .LBB2057_957
.LBB2057_906:                           ;   in Loop: Header=BB2057_900 Depth=2
	s_or_b32 exec_lo, exec_lo, s11
	s_delay_alu instid0(SALU_CYCLE_1)
	s_mov_b32 s11, exec_lo
	v_cmpx_gt_u32_e64 s8, v46
	s_cbranch_execz .LBB2057_958
.LBB2057_907:                           ;   in Loop: Header=BB2057_900 Depth=2
	global_load_u16 v17, v95, s[0:1] offset:1024
	s_or_b32 exec_lo, exec_lo, s11
	s_delay_alu instid0(SALU_CYCLE_1)
	s_mov_b32 s11, exec_lo
	v_cmpx_gt_u32_e64 s8, v47
	s_cbranch_execnz .LBB2057_959
.LBB2057_908:                           ;   in Loop: Header=BB2057_900 Depth=2
	s_or_b32 exec_lo, exec_lo, s11
	s_delay_alu instid0(SALU_CYCLE_1)
	s_mov_b32 s11, exec_lo
	v_cmpx_gt_u32_e64 s8, v51
	s_cbranch_execz .LBB2057_960
.LBB2057_909:                           ;   in Loop: Header=BB2057_900 Depth=2
	global_load_u16 v15, v95, s[0:1] offset:2048
	s_or_b32 exec_lo, exec_lo, s11
	s_delay_alu instid0(SALU_CYCLE_1)
	s_mov_b32 s11, exec_lo
	v_cmpx_gt_u32_e64 s8, v52
	s_cbranch_execnz .LBB2057_961
.LBB2057_910:                           ;   in Loop: Header=BB2057_900 Depth=2
	s_or_b32 exec_lo, exec_lo, s11
	s_delay_alu instid0(SALU_CYCLE_1)
	s_mov_b32 s11, exec_lo
	v_cmpx_gt_u32_e64 s8, v53
	s_cbranch_execz .LBB2057_962
.LBB2057_911:                           ;   in Loop: Header=BB2057_900 Depth=2
	global_load_u16 v13, v95, s[0:1] offset:3072
	s_or_b32 exec_lo, exec_lo, s11
	s_delay_alu instid0(SALU_CYCLE_1)
	s_mov_b32 s11, exec_lo
	v_cmpx_gt_u32_e64 s8, v54
	s_cbranch_execnz .LBB2057_963
.LBB2057_912:                           ;   in Loop: Header=BB2057_900 Depth=2
	s_or_b32 exec_lo, exec_lo, s11
	s_delay_alu instid0(SALU_CYCLE_1)
	s_mov_b32 s11, exec_lo
	v_cmpx_gt_u32_e64 s8, v55
	s_cbranch_execz .LBB2057_964
.LBB2057_913:                           ;   in Loop: Header=BB2057_900 Depth=2
	global_load_u16 v11, v96, s[0:1]
	s_or_b32 exec_lo, exec_lo, s11
	s_delay_alu instid0(SALU_CYCLE_1)
	s_mov_b32 s11, exec_lo
	v_cmpx_gt_u32_e64 s8, v56
	s_cbranch_execnz .LBB2057_965
.LBB2057_914:                           ;   in Loop: Header=BB2057_900 Depth=2
	s_or_b32 exec_lo, exec_lo, s11
	s_delay_alu instid0(SALU_CYCLE_1)
	s_mov_b32 s11, exec_lo
	v_cmpx_gt_u32_e64 s8, v57
	s_cbranch_execz .LBB2057_966
.LBB2057_915:                           ;   in Loop: Header=BB2057_900 Depth=2
	global_load_u16 v9, v98, s[0:1]
	s_or_b32 exec_lo, exec_lo, s11
	s_delay_alu instid0(SALU_CYCLE_1)
	s_mov_b32 s11, exec_lo
	v_cmpx_gt_u32_e64 s8, v58
	s_cbranch_execnz .LBB2057_967
.LBB2057_916:                           ;   in Loop: Header=BB2057_900 Depth=2
	s_or_b32 exec_lo, exec_lo, s11
	s_delay_alu instid0(SALU_CYCLE_1)
	s_mov_b32 s11, exec_lo
	v_cmpx_gt_u32_e64 s8, v59
	s_cbranch_execz .LBB2057_968
.LBB2057_917:                           ;   in Loop: Header=BB2057_900 Depth=2
	global_load_u16 v7, v100, s[0:1]
	s_or_b32 exec_lo, exec_lo, s11
	s_delay_alu instid0(SALU_CYCLE_1)
	s_mov_b32 s11, exec_lo
	v_cmpx_gt_u32_e64 s8, v60
	s_cbranch_execnz .LBB2057_969
.LBB2057_918:                           ;   in Loop: Header=BB2057_900 Depth=2
	s_or_b32 exec_lo, exec_lo, s11
	s_delay_alu instid0(SALU_CYCLE_1)
	s_mov_b32 s11, exec_lo
	v_cmpx_gt_u32_e64 s8, v61
	s_cbranch_execz .LBB2057_920
.LBB2057_919:                           ;   in Loop: Header=BB2057_900 Depth=2
	global_load_u16 v2, v102, s[0:1]
.LBB2057_920:                           ;   in Loop: Header=BB2057_900 Depth=2
	s_or_b32 exec_lo, exec_lo, s11
	s_delay_alu instid0(SALU_CYCLE_1)
	s_mov_b32 s12, exec_lo
                                        ; implicit-def: $sgpr11
                                        ; implicit-def: $vgpr4_vgpr5
	v_cmpx_gt_u32_e64 s8, v63
; %bb.921:                              ;   in Loop: Header=BB2057_900 Depth=2
	v_add_co_u32 v4, s0, s0, v103
	s_delay_alu instid0(VALU_DEP_1)
	v_add_co_ci_u32_e64 v5, null, s1, 0, s0
	s_sub_i32 s11, s53, s34
	s_or_b32 s10, s10, exec_lo
                                        ; implicit-def: $vgpr20
; %bb.922:                              ;   in Loop: Header=BB2057_900 Depth=2
	s_or_b32 exec_lo, exec_lo, s12
	s_waitcnt vmcnt(0)
	v_dual_mov_b32 v22, v19 :: v_dual_mov_b32 v23, v18
	v_dual_mov_b32 v24, v17 :: v_dual_mov_b32 v25, v16
	;; [unrolled: 1-line block ×8, first 2 shown]
	s_and_saveexec_b32 s0, s10
	s_cbranch_execz .LBB2057_924
.LBB2057_923:                           ;   in Loop: Header=BB2057_900 Depth=2
	global_load_u16 v20, v[4:5], off
	s_waitcnt vmcnt(1)
	v_dual_mov_b32 v21, s11 :: v_dual_mov_b32 v2, v36
	v_dual_mov_b32 v6, v35 :: v_dual_mov_b32 v7, v34
	;; [unrolled: 1-line block ×8, first 2 shown]
.LBB2057_924:                           ;   in Loop: Header=BB2057_900 Depth=2
	s_or_b32 exec_lo, exec_lo, s0
	v_lshlrev_b32_e32 v4, 2, v48
	s_mov_b32 s0, exec_lo
	v_cmpx_lt_u32_e64 v1, v21
	s_cbranch_execz .LBB2057_940
; %bb.925:                              ;   in Loop: Header=BB2057_900 Depth=2
	v_cmp_lt_i16_e32 vcc_lo, -1, v19
	v_cndmask_b32_e64 v5, -1, 0xffff8000, vcc_lo
	s_delay_alu instid0(VALU_DEP_1) | instskip(NEXT) | instid1(VALU_DEP_1)
	v_xor_b32_e32 v5, v5, v19
	v_cmp_ne_u16_e32 vcc_lo, 0x7fff, v5
	v_cndmask_b32_e32 v5, 0xffff8000, v5, vcc_lo
	s_delay_alu instid0(VALU_DEP_1) | instskip(NEXT) | instid1(VALU_DEP_1)
	v_and_b32_e32 v5, 0xffff, v5
	v_lshrrev_b32_e32 v5, s49, v5
	s_delay_alu instid0(VALU_DEP_1) | instskip(NEXT) | instid1(VALU_DEP_1)
	v_and_b32_e32 v5, s55, v5
	v_lshl_or_b32 v5, v5, 4, v4
	ds_add_u32 v5, v94
	s_or_b32 exec_lo, exec_lo, s0
	s_delay_alu instid0(SALU_CYCLE_1)
	s_mov_b32 s0, exec_lo
	v_cmpx_lt_u32_e64 v45, v21
	s_cbranch_execnz .LBB2057_941
.LBB2057_926:                           ;   in Loop: Header=BB2057_900 Depth=2
	s_or_b32 exec_lo, exec_lo, s0
	s_delay_alu instid0(SALU_CYCLE_1)
	s_mov_b32 s0, exec_lo
	v_cmpx_lt_u32_e64 v46, v21
	s_cbranch_execz .LBB2057_942
.LBB2057_927:                           ;   in Loop: Header=BB2057_900 Depth=2
	v_cmp_lt_i16_e32 vcc_lo, -1, v17
	v_cndmask_b32_e64 v5, -1, 0xffff8000, vcc_lo
	s_delay_alu instid0(VALU_DEP_1) | instskip(NEXT) | instid1(VALU_DEP_1)
	v_xor_b32_e32 v5, v5, v17
	v_cmp_ne_u16_e32 vcc_lo, 0x7fff, v5
	v_cndmask_b32_e32 v5, 0xffff8000, v5, vcc_lo
	s_delay_alu instid0(VALU_DEP_1) | instskip(NEXT) | instid1(VALU_DEP_1)
	v_and_b32_e32 v5, 0xffff, v5
	v_lshrrev_b32_e32 v5, s49, v5
	s_delay_alu instid0(VALU_DEP_1) | instskip(NEXT) | instid1(VALU_DEP_1)
	v_and_b32_e32 v5, s55, v5
	v_lshl_or_b32 v5, v5, 4, v4
	ds_add_u32 v5, v94
	s_or_b32 exec_lo, exec_lo, s0
	s_delay_alu instid0(SALU_CYCLE_1)
	s_mov_b32 s0, exec_lo
	v_cmpx_lt_u32_e64 v47, v21
	s_cbranch_execnz .LBB2057_943
.LBB2057_928:                           ;   in Loop: Header=BB2057_900 Depth=2
	s_or_b32 exec_lo, exec_lo, s0
	s_delay_alu instid0(SALU_CYCLE_1)
	s_mov_b32 s0, exec_lo
	v_cmpx_lt_u32_e64 v51, v21
	s_cbranch_execz .LBB2057_944
.LBB2057_929:                           ;   in Loop: Header=BB2057_900 Depth=2
	v_cmp_lt_i16_e32 vcc_lo, -1, v15
	v_cndmask_b32_e64 v5, -1, 0xffff8000, vcc_lo
	s_delay_alu instid0(VALU_DEP_1) | instskip(NEXT) | instid1(VALU_DEP_1)
	v_xor_b32_e32 v5, v5, v15
	v_cmp_ne_u16_e32 vcc_lo, 0x7fff, v5
	v_cndmask_b32_e32 v5, 0xffff8000, v5, vcc_lo
	s_delay_alu instid0(VALU_DEP_1) | instskip(NEXT) | instid1(VALU_DEP_1)
	v_and_b32_e32 v5, 0xffff, v5
	v_lshrrev_b32_e32 v5, s49, v5
	s_delay_alu instid0(VALU_DEP_1) | instskip(NEXT) | instid1(VALU_DEP_1)
	v_and_b32_e32 v5, s55, v5
	v_lshl_or_b32 v5, v5, 4, v4
	ds_add_u32 v5, v94
	s_or_b32 exec_lo, exec_lo, s0
	s_delay_alu instid0(SALU_CYCLE_1)
	s_mov_b32 s0, exec_lo
	v_cmpx_lt_u32_e64 v52, v21
	s_cbranch_execnz .LBB2057_945
.LBB2057_930:                           ;   in Loop: Header=BB2057_900 Depth=2
	s_or_b32 exec_lo, exec_lo, s0
	s_delay_alu instid0(SALU_CYCLE_1)
	s_mov_b32 s0, exec_lo
	v_cmpx_lt_u32_e64 v53, v21
	s_cbranch_execz .LBB2057_946
.LBB2057_931:                           ;   in Loop: Header=BB2057_900 Depth=2
	v_cmp_lt_i16_e32 vcc_lo, -1, v13
	v_cndmask_b32_e64 v5, -1, 0xffff8000, vcc_lo
	s_delay_alu instid0(VALU_DEP_1) | instskip(NEXT) | instid1(VALU_DEP_1)
	v_xor_b32_e32 v5, v5, v13
	v_cmp_ne_u16_e32 vcc_lo, 0x7fff, v5
	v_cndmask_b32_e32 v5, 0xffff8000, v5, vcc_lo
	s_delay_alu instid0(VALU_DEP_1) | instskip(NEXT) | instid1(VALU_DEP_1)
	v_and_b32_e32 v5, 0xffff, v5
	v_lshrrev_b32_e32 v5, s49, v5
	s_delay_alu instid0(VALU_DEP_1) | instskip(NEXT) | instid1(VALU_DEP_1)
	v_and_b32_e32 v5, s55, v5
	v_lshl_or_b32 v5, v5, 4, v4
	ds_add_u32 v5, v94
	s_or_b32 exec_lo, exec_lo, s0
	s_delay_alu instid0(SALU_CYCLE_1)
	s_mov_b32 s0, exec_lo
	v_cmpx_lt_u32_e64 v54, v21
	s_cbranch_execnz .LBB2057_947
.LBB2057_932:                           ;   in Loop: Header=BB2057_900 Depth=2
	s_or_b32 exec_lo, exec_lo, s0
	s_delay_alu instid0(SALU_CYCLE_1)
	s_mov_b32 s0, exec_lo
	v_cmpx_lt_u32_e64 v55, v21
	s_cbranch_execz .LBB2057_948
.LBB2057_933:                           ;   in Loop: Header=BB2057_900 Depth=2
	v_cmp_lt_i16_e32 vcc_lo, -1, v11
	v_cndmask_b32_e64 v5, -1, 0xffff8000, vcc_lo
	s_delay_alu instid0(VALU_DEP_1) | instskip(NEXT) | instid1(VALU_DEP_1)
	v_xor_b32_e32 v5, v5, v11
	v_cmp_ne_u16_e32 vcc_lo, 0x7fff, v5
	v_cndmask_b32_e32 v5, 0xffff8000, v5, vcc_lo
	s_delay_alu instid0(VALU_DEP_1) | instskip(NEXT) | instid1(VALU_DEP_1)
	v_and_b32_e32 v5, 0xffff, v5
	v_lshrrev_b32_e32 v5, s49, v5
	s_delay_alu instid0(VALU_DEP_1) | instskip(NEXT) | instid1(VALU_DEP_1)
	v_and_b32_e32 v5, s55, v5
	v_lshl_or_b32 v5, v5, 4, v4
	ds_add_u32 v5, v94
	s_or_b32 exec_lo, exec_lo, s0
	s_delay_alu instid0(SALU_CYCLE_1)
	s_mov_b32 s0, exec_lo
	v_cmpx_lt_u32_e64 v56, v21
	s_cbranch_execnz .LBB2057_949
.LBB2057_934:                           ;   in Loop: Header=BB2057_900 Depth=2
	s_or_b32 exec_lo, exec_lo, s0
	s_delay_alu instid0(SALU_CYCLE_1)
	s_mov_b32 s0, exec_lo
	v_cmpx_lt_u32_e64 v57, v21
	s_cbranch_execz .LBB2057_950
.LBB2057_935:                           ;   in Loop: Header=BB2057_900 Depth=2
	v_cmp_lt_i16_e32 vcc_lo, -1, v9
	v_cndmask_b32_e64 v5, -1, 0xffff8000, vcc_lo
	s_delay_alu instid0(VALU_DEP_1) | instskip(NEXT) | instid1(VALU_DEP_1)
	v_xor_b32_e32 v5, v5, v9
	v_cmp_ne_u16_e32 vcc_lo, 0x7fff, v5
	v_cndmask_b32_e32 v5, 0xffff8000, v5, vcc_lo
	s_delay_alu instid0(VALU_DEP_1) | instskip(NEXT) | instid1(VALU_DEP_1)
	v_and_b32_e32 v5, 0xffff, v5
	v_lshrrev_b32_e32 v5, s49, v5
	s_delay_alu instid0(VALU_DEP_1) | instskip(NEXT) | instid1(VALU_DEP_1)
	v_and_b32_e32 v5, s55, v5
	v_lshl_or_b32 v5, v5, 4, v4
	ds_add_u32 v5, v94
	s_or_b32 exec_lo, exec_lo, s0
	s_delay_alu instid0(SALU_CYCLE_1)
	s_mov_b32 s0, exec_lo
	v_cmpx_lt_u32_e64 v58, v21
	s_cbranch_execnz .LBB2057_951
.LBB2057_936:                           ;   in Loop: Header=BB2057_900 Depth=2
	s_or_b32 exec_lo, exec_lo, s0
	s_delay_alu instid0(SALU_CYCLE_1)
	s_mov_b32 s0, exec_lo
	v_cmpx_lt_u32_e64 v59, v21
	s_cbranch_execz .LBB2057_952
.LBB2057_937:                           ;   in Loop: Header=BB2057_900 Depth=2
	v_cmp_lt_i16_e32 vcc_lo, -1, v7
	v_cndmask_b32_e64 v5, -1, 0xffff8000, vcc_lo
	s_delay_alu instid0(VALU_DEP_1) | instskip(NEXT) | instid1(VALU_DEP_1)
	v_xor_b32_e32 v5, v5, v7
	v_cmp_ne_u16_e32 vcc_lo, 0x7fff, v5
	v_cndmask_b32_e32 v5, 0xffff8000, v5, vcc_lo
	s_delay_alu instid0(VALU_DEP_1) | instskip(NEXT) | instid1(VALU_DEP_1)
	v_and_b32_e32 v5, 0xffff, v5
	v_lshrrev_b32_e32 v5, s49, v5
	s_delay_alu instid0(VALU_DEP_1) | instskip(NEXT) | instid1(VALU_DEP_1)
	v_and_b32_e32 v5, s55, v5
	v_lshl_or_b32 v5, v5, 4, v4
	ds_add_u32 v5, v94
	s_or_b32 exec_lo, exec_lo, s0
	s_delay_alu instid0(SALU_CYCLE_1)
	s_mov_b32 s0, exec_lo
	v_cmpx_lt_u32_e64 v60, v21
	s_cbranch_execnz .LBB2057_953
.LBB2057_938:                           ;   in Loop: Header=BB2057_900 Depth=2
	s_or_b32 exec_lo, exec_lo, s0
	s_delay_alu instid0(SALU_CYCLE_1)
	s_mov_b32 s0, exec_lo
	v_cmpx_lt_u32_e64 v61, v21
	s_cbranch_execz .LBB2057_954
.LBB2057_939:                           ;   in Loop: Header=BB2057_900 Depth=2
	v_cmp_lt_i16_e32 vcc_lo, -1, v2
	v_cndmask_b32_e64 v5, -1, 0xffff8000, vcc_lo
	s_delay_alu instid0(VALU_DEP_1) | instskip(NEXT) | instid1(VALU_DEP_1)
	v_xor_b32_e32 v5, v5, v2
	v_cmp_ne_u16_e32 vcc_lo, 0x7fff, v5
	v_cndmask_b32_e32 v5, 0xffff8000, v5, vcc_lo
	s_delay_alu instid0(VALU_DEP_1) | instskip(NEXT) | instid1(VALU_DEP_1)
	v_and_b32_e32 v5, 0xffff, v5
	v_lshrrev_b32_e32 v5, s49, v5
	s_delay_alu instid0(VALU_DEP_1) | instskip(NEXT) | instid1(VALU_DEP_1)
	v_and_b32_e32 v5, s55, v5
	v_lshl_or_b32 v5, v5, 4, v4
	ds_add_u32 v5, v94
	s_or_b32 exec_lo, exec_lo, s0
	s_delay_alu instid0(SALU_CYCLE_1)
	s_mov_b32 s0, exec_lo
	v_cmpx_lt_u32_e64 v63, v21
	s_cbranch_execz .LBB2057_899
	s_branch .LBB2057_955
.LBB2057_940:                           ;   in Loop: Header=BB2057_900 Depth=2
	s_or_b32 exec_lo, exec_lo, s0
	s_delay_alu instid0(SALU_CYCLE_1)
	s_mov_b32 s0, exec_lo
	v_cmpx_lt_u32_e64 v45, v21
	s_cbranch_execz .LBB2057_926
.LBB2057_941:                           ;   in Loop: Header=BB2057_900 Depth=2
	v_cmp_lt_i16_e32 vcc_lo, -1, v18
	v_cndmask_b32_e64 v5, -1, 0xffff8000, vcc_lo
	s_delay_alu instid0(VALU_DEP_1) | instskip(NEXT) | instid1(VALU_DEP_1)
	v_xor_b32_e32 v5, v5, v18
	v_cmp_ne_u16_e32 vcc_lo, 0x7fff, v5
	v_cndmask_b32_e32 v5, 0xffff8000, v5, vcc_lo
	s_delay_alu instid0(VALU_DEP_1) | instskip(NEXT) | instid1(VALU_DEP_1)
	v_and_b32_e32 v5, 0xffff, v5
	v_lshrrev_b32_e32 v5, s49, v5
	s_delay_alu instid0(VALU_DEP_1) | instskip(NEXT) | instid1(VALU_DEP_1)
	v_and_b32_e32 v5, s55, v5
	v_lshl_or_b32 v5, v5, 4, v4
	ds_add_u32 v5, v94
	s_or_b32 exec_lo, exec_lo, s0
	s_delay_alu instid0(SALU_CYCLE_1)
	s_mov_b32 s0, exec_lo
	v_cmpx_lt_u32_e64 v46, v21
	s_cbranch_execnz .LBB2057_927
.LBB2057_942:                           ;   in Loop: Header=BB2057_900 Depth=2
	s_or_b32 exec_lo, exec_lo, s0
	s_delay_alu instid0(SALU_CYCLE_1)
	s_mov_b32 s0, exec_lo
	v_cmpx_lt_u32_e64 v47, v21
	s_cbranch_execz .LBB2057_928
.LBB2057_943:                           ;   in Loop: Header=BB2057_900 Depth=2
	v_cmp_lt_i16_e32 vcc_lo, -1, v16
	v_cndmask_b32_e64 v5, -1, 0xffff8000, vcc_lo
	s_delay_alu instid0(VALU_DEP_1) | instskip(NEXT) | instid1(VALU_DEP_1)
	v_xor_b32_e32 v5, v5, v16
	v_cmp_ne_u16_e32 vcc_lo, 0x7fff, v5
	v_cndmask_b32_e32 v5, 0xffff8000, v5, vcc_lo
	s_delay_alu instid0(VALU_DEP_1) | instskip(NEXT) | instid1(VALU_DEP_1)
	v_and_b32_e32 v5, 0xffff, v5
	v_lshrrev_b32_e32 v5, s49, v5
	s_delay_alu instid0(VALU_DEP_1) | instskip(NEXT) | instid1(VALU_DEP_1)
	v_and_b32_e32 v5, s55, v5
	v_lshl_or_b32 v5, v5, 4, v4
	ds_add_u32 v5, v94
	s_or_b32 exec_lo, exec_lo, s0
	s_delay_alu instid0(SALU_CYCLE_1)
	s_mov_b32 s0, exec_lo
	v_cmpx_lt_u32_e64 v51, v21
	s_cbranch_execnz .LBB2057_929
.LBB2057_944:                           ;   in Loop: Header=BB2057_900 Depth=2
	s_or_b32 exec_lo, exec_lo, s0
	s_delay_alu instid0(SALU_CYCLE_1)
	s_mov_b32 s0, exec_lo
	v_cmpx_lt_u32_e64 v52, v21
	s_cbranch_execz .LBB2057_930
.LBB2057_945:                           ;   in Loop: Header=BB2057_900 Depth=2
	v_cmp_lt_i16_e32 vcc_lo, -1, v14
	v_cndmask_b32_e64 v5, -1, 0xffff8000, vcc_lo
	s_delay_alu instid0(VALU_DEP_1) | instskip(NEXT) | instid1(VALU_DEP_1)
	v_xor_b32_e32 v5, v5, v14
	v_cmp_ne_u16_e32 vcc_lo, 0x7fff, v5
	v_cndmask_b32_e32 v5, 0xffff8000, v5, vcc_lo
	s_delay_alu instid0(VALU_DEP_1) | instskip(NEXT) | instid1(VALU_DEP_1)
	v_and_b32_e32 v5, 0xffff, v5
	v_lshrrev_b32_e32 v5, s49, v5
	s_delay_alu instid0(VALU_DEP_1) | instskip(NEXT) | instid1(VALU_DEP_1)
	v_and_b32_e32 v5, s55, v5
	v_lshl_or_b32 v5, v5, 4, v4
	ds_add_u32 v5, v94
	s_or_b32 exec_lo, exec_lo, s0
	s_delay_alu instid0(SALU_CYCLE_1)
	s_mov_b32 s0, exec_lo
	v_cmpx_lt_u32_e64 v53, v21
	s_cbranch_execnz .LBB2057_931
.LBB2057_946:                           ;   in Loop: Header=BB2057_900 Depth=2
	s_or_b32 exec_lo, exec_lo, s0
	s_delay_alu instid0(SALU_CYCLE_1)
	s_mov_b32 s0, exec_lo
	v_cmpx_lt_u32_e64 v54, v21
	s_cbranch_execz .LBB2057_932
.LBB2057_947:                           ;   in Loop: Header=BB2057_900 Depth=2
	v_cmp_lt_i16_e32 vcc_lo, -1, v12
	v_cndmask_b32_e64 v5, -1, 0xffff8000, vcc_lo
	s_delay_alu instid0(VALU_DEP_1) | instskip(NEXT) | instid1(VALU_DEP_1)
	v_xor_b32_e32 v5, v5, v12
	v_cmp_ne_u16_e32 vcc_lo, 0x7fff, v5
	v_cndmask_b32_e32 v5, 0xffff8000, v5, vcc_lo
	s_delay_alu instid0(VALU_DEP_1) | instskip(NEXT) | instid1(VALU_DEP_1)
	v_and_b32_e32 v5, 0xffff, v5
	v_lshrrev_b32_e32 v5, s49, v5
	s_delay_alu instid0(VALU_DEP_1) | instskip(NEXT) | instid1(VALU_DEP_1)
	v_and_b32_e32 v5, s55, v5
	v_lshl_or_b32 v5, v5, 4, v4
	ds_add_u32 v5, v94
	s_or_b32 exec_lo, exec_lo, s0
	s_delay_alu instid0(SALU_CYCLE_1)
	s_mov_b32 s0, exec_lo
	v_cmpx_lt_u32_e64 v55, v21
	s_cbranch_execnz .LBB2057_933
.LBB2057_948:                           ;   in Loop: Header=BB2057_900 Depth=2
	s_or_b32 exec_lo, exec_lo, s0
	s_delay_alu instid0(SALU_CYCLE_1)
	s_mov_b32 s0, exec_lo
	v_cmpx_lt_u32_e64 v56, v21
	s_cbranch_execz .LBB2057_934
.LBB2057_949:                           ;   in Loop: Header=BB2057_900 Depth=2
	v_cmp_lt_i16_e32 vcc_lo, -1, v10
	v_cndmask_b32_e64 v5, -1, 0xffff8000, vcc_lo
	s_delay_alu instid0(VALU_DEP_1) | instskip(NEXT) | instid1(VALU_DEP_1)
	v_xor_b32_e32 v5, v5, v10
	v_cmp_ne_u16_e32 vcc_lo, 0x7fff, v5
	v_cndmask_b32_e32 v5, 0xffff8000, v5, vcc_lo
	s_delay_alu instid0(VALU_DEP_1) | instskip(NEXT) | instid1(VALU_DEP_1)
	v_and_b32_e32 v5, 0xffff, v5
	v_lshrrev_b32_e32 v5, s49, v5
	s_delay_alu instid0(VALU_DEP_1) | instskip(NEXT) | instid1(VALU_DEP_1)
	v_and_b32_e32 v5, s55, v5
	v_lshl_or_b32 v5, v5, 4, v4
	ds_add_u32 v5, v94
	s_or_b32 exec_lo, exec_lo, s0
	s_delay_alu instid0(SALU_CYCLE_1)
	s_mov_b32 s0, exec_lo
	v_cmpx_lt_u32_e64 v57, v21
	s_cbranch_execnz .LBB2057_935
.LBB2057_950:                           ;   in Loop: Header=BB2057_900 Depth=2
	s_or_b32 exec_lo, exec_lo, s0
	s_delay_alu instid0(SALU_CYCLE_1)
	s_mov_b32 s0, exec_lo
	v_cmpx_lt_u32_e64 v58, v21
	s_cbranch_execz .LBB2057_936
.LBB2057_951:                           ;   in Loop: Header=BB2057_900 Depth=2
	v_cmp_lt_i16_e32 vcc_lo, -1, v8
	v_cndmask_b32_e64 v5, -1, 0xffff8000, vcc_lo
	s_delay_alu instid0(VALU_DEP_1) | instskip(NEXT) | instid1(VALU_DEP_1)
	v_xor_b32_e32 v5, v5, v8
	v_cmp_ne_u16_e32 vcc_lo, 0x7fff, v5
	v_cndmask_b32_e32 v5, 0xffff8000, v5, vcc_lo
	s_delay_alu instid0(VALU_DEP_1) | instskip(NEXT) | instid1(VALU_DEP_1)
	v_and_b32_e32 v5, 0xffff, v5
	v_lshrrev_b32_e32 v5, s49, v5
	s_delay_alu instid0(VALU_DEP_1) | instskip(NEXT) | instid1(VALU_DEP_1)
	v_and_b32_e32 v5, s55, v5
	v_lshl_or_b32 v5, v5, 4, v4
	ds_add_u32 v5, v94
	s_or_b32 exec_lo, exec_lo, s0
	s_delay_alu instid0(SALU_CYCLE_1)
	s_mov_b32 s0, exec_lo
	v_cmpx_lt_u32_e64 v59, v21
	s_cbranch_execnz .LBB2057_937
.LBB2057_952:                           ;   in Loop: Header=BB2057_900 Depth=2
	s_or_b32 exec_lo, exec_lo, s0
	s_delay_alu instid0(SALU_CYCLE_1)
	s_mov_b32 s0, exec_lo
	v_cmpx_lt_u32_e64 v60, v21
	s_cbranch_execz .LBB2057_938
.LBB2057_953:                           ;   in Loop: Header=BB2057_900 Depth=2
	v_cmp_lt_i16_e32 vcc_lo, -1, v6
	v_cndmask_b32_e64 v5, -1, 0xffff8000, vcc_lo
	s_delay_alu instid0(VALU_DEP_1) | instskip(NEXT) | instid1(VALU_DEP_1)
	v_xor_b32_e32 v5, v5, v6
	v_cmp_ne_u16_e32 vcc_lo, 0x7fff, v5
	v_cndmask_b32_e32 v5, 0xffff8000, v5, vcc_lo
	s_delay_alu instid0(VALU_DEP_1) | instskip(NEXT) | instid1(VALU_DEP_1)
	v_and_b32_e32 v5, 0xffff, v5
	v_lshrrev_b32_e32 v5, s49, v5
	s_delay_alu instid0(VALU_DEP_1) | instskip(NEXT) | instid1(VALU_DEP_1)
	v_and_b32_e32 v5, s55, v5
	v_lshl_or_b32 v5, v5, 4, v4
	ds_add_u32 v5, v94
	s_or_b32 exec_lo, exec_lo, s0
	s_delay_alu instid0(SALU_CYCLE_1)
	s_mov_b32 s0, exec_lo
	v_cmpx_lt_u32_e64 v61, v21
	s_cbranch_execnz .LBB2057_939
.LBB2057_954:                           ;   in Loop: Header=BB2057_900 Depth=2
	s_or_b32 exec_lo, exec_lo, s0
	s_delay_alu instid0(SALU_CYCLE_1)
	s_mov_b32 s0, exec_lo
	v_cmpx_lt_u32_e64 v63, v21
	s_cbranch_execz .LBB2057_899
.LBB2057_955:                           ;   in Loop: Header=BB2057_900 Depth=2
	s_waitcnt vmcnt(0)
	v_cmp_lt_i16_e32 vcc_lo, -1, v20
	v_cndmask_b32_e64 v5, -1, 0xffff8000, vcc_lo
	s_delay_alu instid0(VALU_DEP_1) | instskip(NEXT) | instid1(VALU_DEP_1)
	v_xor_b32_e32 v5, v5, v20
	v_cmp_ne_u16_e32 vcc_lo, 0x7fff, v5
	v_cndmask_b32_e32 v5, 0xffff8000, v5, vcc_lo
	s_delay_alu instid0(VALU_DEP_1) | instskip(NEXT) | instid1(VALU_DEP_1)
	v_and_b32_e32 v5, 0xffff, v5
	v_lshrrev_b32_e32 v5, s49, v5
	s_delay_alu instid0(VALU_DEP_1) | instskip(NEXT) | instid1(VALU_DEP_1)
	v_and_b32_e32 v5, s55, v5
	v_lshl_or_b32 v4, v5, 4, v4
	ds_add_u32 v4, v94
	s_branch .LBB2057_899
.LBB2057_956:                           ;   in Loop: Header=BB2057_900 Depth=2
	s_or_b32 exec_lo, exec_lo, s11
	s_delay_alu instid0(SALU_CYCLE_1)
	s_mov_b32 s11, exec_lo
	v_cmpx_gt_u32_e64 s8, v45
	s_cbranch_execz .LBB2057_906
.LBB2057_957:                           ;   in Loop: Header=BB2057_900 Depth=2
	global_load_u16 v18, v95, s[0:1] offset:512
	s_or_b32 exec_lo, exec_lo, s11
	s_delay_alu instid0(SALU_CYCLE_1)
	s_mov_b32 s11, exec_lo
	v_cmpx_gt_u32_e64 s8, v46
	s_cbranch_execnz .LBB2057_907
.LBB2057_958:                           ;   in Loop: Header=BB2057_900 Depth=2
	s_or_b32 exec_lo, exec_lo, s11
	s_delay_alu instid0(SALU_CYCLE_1)
	s_mov_b32 s11, exec_lo
	v_cmpx_gt_u32_e64 s8, v47
	s_cbranch_execz .LBB2057_908
.LBB2057_959:                           ;   in Loop: Header=BB2057_900 Depth=2
	global_load_u16 v16, v95, s[0:1] offset:1536
	s_or_b32 exec_lo, exec_lo, s11
	s_delay_alu instid0(SALU_CYCLE_1)
	s_mov_b32 s11, exec_lo
	v_cmpx_gt_u32_e64 s8, v51
	s_cbranch_execnz .LBB2057_909
.LBB2057_960:                           ;   in Loop: Header=BB2057_900 Depth=2
	s_or_b32 exec_lo, exec_lo, s11
	s_delay_alu instid0(SALU_CYCLE_1)
	s_mov_b32 s11, exec_lo
	v_cmpx_gt_u32_e64 s8, v52
	s_cbranch_execz .LBB2057_910
.LBB2057_961:                           ;   in Loop: Header=BB2057_900 Depth=2
	global_load_u16 v14, v95, s[0:1] offset:2560
	s_or_b32 exec_lo, exec_lo, s11
	s_delay_alu instid0(SALU_CYCLE_1)
	s_mov_b32 s11, exec_lo
	v_cmpx_gt_u32_e64 s8, v53
	s_cbranch_execnz .LBB2057_911
.LBB2057_962:                           ;   in Loop: Header=BB2057_900 Depth=2
	s_or_b32 exec_lo, exec_lo, s11
	s_delay_alu instid0(SALU_CYCLE_1)
	s_mov_b32 s11, exec_lo
	v_cmpx_gt_u32_e64 s8, v54
	s_cbranch_execz .LBB2057_912
.LBB2057_963:                           ;   in Loop: Header=BB2057_900 Depth=2
	global_load_u16 v12, v95, s[0:1] offset:3584
	s_or_b32 exec_lo, exec_lo, s11
	s_delay_alu instid0(SALU_CYCLE_1)
	s_mov_b32 s11, exec_lo
	v_cmpx_gt_u32_e64 s8, v55
	s_cbranch_execnz .LBB2057_913
.LBB2057_964:                           ;   in Loop: Header=BB2057_900 Depth=2
	s_or_b32 exec_lo, exec_lo, s11
	s_delay_alu instid0(SALU_CYCLE_1)
	s_mov_b32 s11, exec_lo
	v_cmpx_gt_u32_e64 s8, v56
	s_cbranch_execz .LBB2057_914
.LBB2057_965:                           ;   in Loop: Header=BB2057_900 Depth=2
	global_load_u16 v10, v97, s[0:1]
	s_or_b32 exec_lo, exec_lo, s11
	s_delay_alu instid0(SALU_CYCLE_1)
	s_mov_b32 s11, exec_lo
	v_cmpx_gt_u32_e64 s8, v57
	s_cbranch_execnz .LBB2057_915
.LBB2057_966:                           ;   in Loop: Header=BB2057_900 Depth=2
	s_or_b32 exec_lo, exec_lo, s11
	s_delay_alu instid0(SALU_CYCLE_1)
	s_mov_b32 s11, exec_lo
	v_cmpx_gt_u32_e64 s8, v58
	s_cbranch_execz .LBB2057_916
.LBB2057_967:                           ;   in Loop: Header=BB2057_900 Depth=2
	global_load_u16 v8, v99, s[0:1]
	s_or_b32 exec_lo, exec_lo, s11
	s_delay_alu instid0(SALU_CYCLE_1)
	s_mov_b32 s11, exec_lo
	v_cmpx_gt_u32_e64 s8, v59
	s_cbranch_execnz .LBB2057_917
.LBB2057_968:                           ;   in Loop: Header=BB2057_900 Depth=2
	s_or_b32 exec_lo, exec_lo, s11
	s_delay_alu instid0(SALU_CYCLE_1)
	s_mov_b32 s11, exec_lo
	v_cmpx_gt_u32_e64 s8, v60
	s_cbranch_execz .LBB2057_918
.LBB2057_969:                           ;   in Loop: Header=BB2057_900 Depth=2
	global_load_u16 v6, v101, s[0:1]
	s_or_b32 exec_lo, exec_lo, s11
	s_delay_alu instid0(SALU_CYCLE_1)
	s_mov_b32 s11, exec_lo
	v_cmpx_gt_u32_e64 s8, v61
	s_cbranch_execz .LBB2057_920
	s_branch .LBB2057_919
.LBB2057_970:                           ;   in Loop: Header=BB2057_12 Depth=1
	v_mov_b32_e32 v2, 0
	s_waitcnt vmcnt(0) lgkmcnt(0)
	s_barrier
	buffer_gl0_inv
	s_and_saveexec_b32 s0, s2
	s_cbranch_execz .LBB2057_972
; %bb.971:                              ;   in Loop: Header=BB2057_12 Depth=1
	ds_load_2addr_b64 v[4:7], v64 offset1:1
	s_waitcnt lgkmcnt(0)
	v_add_nc_u32_e32 v2, v5, v4
	s_delay_alu instid0(VALU_DEP_1)
	v_add3_u32 v2, v2, v6, v7
.LBB2057_972:                           ;   in Loop: Header=BB2057_12 Depth=1
	s_or_b32 exec_lo, exec_lo, s0
	v_and_b32_e32 v4, 15, v104
	s_delay_alu instid0(VALU_DEP_2) | instskip(SKIP_1) | instid1(VALU_DEP_3)
	v_mov_b32_dpp v5, v2 row_shr:1 row_mask:0xf bank_mask:0xf
	v_and_b32_e32 v6, 16, v104
	v_cmp_eq_u32_e64 s0, 0, v4
	v_cmp_lt_u32_e64 s1, 1, v4
	v_cmp_lt_u32_e64 s8, 3, v4
	;; [unrolled: 1-line block ×3, first 2 shown]
	v_cmp_eq_u32_e64 s10, 0, v6
	v_cndmask_b32_e64 v5, v5, 0, s0
	s_delay_alu instid0(VALU_DEP_1) | instskip(NEXT) | instid1(VALU_DEP_1)
	v_add_nc_u32_e32 v2, v5, v2
	v_mov_b32_dpp v5, v2 row_shr:2 row_mask:0xf bank_mask:0xf
	s_delay_alu instid0(VALU_DEP_1) | instskip(NEXT) | instid1(VALU_DEP_1)
	v_cndmask_b32_e64 v5, 0, v5, s1
	v_add_nc_u32_e32 v2, v2, v5
	s_delay_alu instid0(VALU_DEP_1) | instskip(NEXT) | instid1(VALU_DEP_1)
	v_mov_b32_dpp v5, v2 row_shr:4 row_mask:0xf bank_mask:0xf
	v_cndmask_b32_e64 v5, 0, v5, s8
	s_delay_alu instid0(VALU_DEP_1) | instskip(NEXT) | instid1(VALU_DEP_1)
	v_add_nc_u32_e32 v2, v2, v5
	v_mov_b32_dpp v5, v2 row_shr:8 row_mask:0xf bank_mask:0xf
	s_delay_alu instid0(VALU_DEP_1) | instskip(SKIP_1) | instid1(VALU_DEP_2)
	v_cndmask_b32_e64 v4, 0, v5, s9
	v_bfe_i32 v5, v104, 4, 1
	v_add_nc_u32_e32 v2, v2, v4
	ds_swizzle_b32 v4, v2 offset:swizzle(BROADCAST,32,15)
	s_waitcnt lgkmcnt(0)
	v_and_b32_e32 v4, v5, v4
	s_delay_alu instid0(VALU_DEP_1)
	v_add_nc_u32_e32 v4, v2, v4
	s_and_saveexec_b32 s11, s3
	s_cbranch_execz .LBB2057_974
; %bb.973:                              ;   in Loop: Header=BB2057_12 Depth=1
	ds_store_b32 v65, v4
.LBB2057_974:                           ;   in Loop: Header=BB2057_12 Depth=1
	s_or_b32 exec_lo, exec_lo, s11
	v_and_b32_e32 v2, 7, v104
	s_waitcnt lgkmcnt(0)
	s_barrier
	buffer_gl0_inv
	s_and_saveexec_b32 s11, s4
	s_cbranch_execz .LBB2057_976
; %bb.975:                              ;   in Loop: Header=BB2057_12 Depth=1
	ds_load_b32 v5, v66
	v_cmp_ne_u32_e32 vcc_lo, 0, v2
	s_waitcnt lgkmcnt(0)
	v_mov_b32_dpp v6, v5 row_shr:1 row_mask:0xf bank_mask:0xf
	s_delay_alu instid0(VALU_DEP_1) | instskip(SKIP_1) | instid1(VALU_DEP_2)
	v_cndmask_b32_e32 v6, 0, v6, vcc_lo
	v_cmp_lt_u32_e32 vcc_lo, 1, v2
	v_add_nc_u32_e32 v5, v6, v5
	s_delay_alu instid0(VALU_DEP_1) | instskip(NEXT) | instid1(VALU_DEP_1)
	v_mov_b32_dpp v6, v5 row_shr:2 row_mask:0xf bank_mask:0xf
	v_cndmask_b32_e32 v6, 0, v6, vcc_lo
	v_cmp_lt_u32_e32 vcc_lo, 3, v2
	s_delay_alu instid0(VALU_DEP_2) | instskip(NEXT) | instid1(VALU_DEP_1)
	v_add_nc_u32_e32 v5, v5, v6
	v_mov_b32_dpp v6, v5 row_shr:4 row_mask:0xf bank_mask:0xf
	s_delay_alu instid0(VALU_DEP_1) | instskip(NEXT) | instid1(VALU_DEP_1)
	v_cndmask_b32_e32 v6, 0, v6, vcc_lo
	v_add_nc_u32_e32 v5, v5, v6
	ds_store_b32 v66, v5
.LBB2057_976:                           ;   in Loop: Header=BB2057_12 Depth=1
	s_or_b32 exec_lo, exec_lo, s11
	v_mov_b32_e32 v5, 0
	s_waitcnt lgkmcnt(0)
	s_barrier
	buffer_gl0_inv
	s_and_saveexec_b32 s11, s5
	s_cbranch_execz .LBB2057_978
; %bb.977:                              ;   in Loop: Header=BB2057_12 Depth=1
	ds_load_b32 v5, v67
.LBB2057_978:                           ;   in Loop: Header=BB2057_12 Depth=1
	s_or_b32 exec_lo, exec_lo, s11
	v_add_nc_u32_e32 v6, -1, v104
	s_waitcnt lgkmcnt(0)
	v_add_nc_u32_e32 v4, v5, v4
	v_cmp_eq_u32_e64 s11, 0, v104
	s_barrier
	v_cmp_gt_i32_e32 vcc_lo, 0, v6
	buffer_gl0_inv
	v_cndmask_b32_e32 v6, v6, v104, vcc_lo
	s_delay_alu instid0(VALU_DEP_1)
	v_lshlrev_b32_e32 v105, 2, v6
	ds_bpermute_b32 v4, v105, v4
	s_and_saveexec_b32 s12, s2
	s_cbranch_execz .LBB2057_980
; %bb.979:                              ;   in Loop: Header=BB2057_12 Depth=1
	s_waitcnt lgkmcnt(0)
	v_cndmask_b32_e64 v4, v4, v5, s11
	s_delay_alu instid0(VALU_DEP_1)
	v_add_nc_u32_e32 v4, s52, v4
	ds_store_b32 v44, v4
.LBB2057_980:                           ;   in Loop: Header=BB2057_12 Depth=1
	s_or_b32 exec_lo, exec_lo, s12
	s_load_b64 s[12:13], s[42:43], 0x0
	v_lshlrev_b32_e32 v5, 3, v104
	v_cmp_lt_u32_e64 s14, 3, v2
	v_or_b32_e32 v106, v104, v68
	s_mov_b32 s56, s54
	s_mov_b32 s34, s52
	v_add_co_u32 v107, vcc_lo, v90, v5
	v_add_co_ci_u32_e32 v108, vcc_lo, 0, v91, vcc_lo
	v_or_b32_e32 v109, 32, v106
	v_or_b32_e32 v110, 64, v106
	;; [unrolled: 1-line block ×10, first 2 shown]
	s_waitcnt lgkmcnt(0)
	s_cmp_lt_u32 s15, s13
	v_or_b32_e32 v119, 0x160, v106
	s_cselect_b32 s13, 14, 20
	v_or_b32_e32 v120, 0x180, v106
	s_add_u32 s16, s42, s13
	s_addc_u32 s17, s43, 0
	s_cmp_lt_u32 s26, s12
	global_load_u16 v4, v3, s[16:17]
	s_cselect_b32 s12, 12, 18
	v_or_b32_e32 v121, 0x1a0, v106
	s_add_u32 s12, s42, s12
	s_addc_u32 s13, s43, 0
	v_or_b32_e32 v122, 0x1c0, v106
	global_load_u16 v6, v3, s[12:13]
	v_cmp_eq_u32_e64 s12, 0, v2
	v_cmp_lt_u32_e64 s13, 1, v2
	v_lshlrev_b32_e32 v2, 1, v104
	v_or_b32_e32 v123, 0x1e0, v106
                                        ; implicit-def: $vgpr8_vgpr9
                                        ; implicit-def: $vgpr10_vgpr11
                                        ; implicit-def: $vgpr12_vgpr13
                                        ; implicit-def: $vgpr14_vgpr15
                                        ; implicit-def: $vgpr16_vgpr17
                                        ; implicit-def: $vgpr18_vgpr19
                                        ; implicit-def: $vgpr20_vgpr21
                                        ; implicit-def: $vgpr22_vgpr23
                                        ; implicit-def: $vgpr24_vgpr25
                                        ; implicit-def: $vgpr26_vgpr27
                                        ; implicit-def: $vgpr28_vgpr29
                                        ; implicit-def: $vgpr30_vgpr31
                                        ; implicit-def: $vgpr32_vgpr33
                                        ; implicit-def: $vgpr34_vgpr35
                                        ; implicit-def: $vgpr129
                                        ; implicit-def: $vgpr130
                                        ; implicit-def: $vgpr131
                                        ; implicit-def: $vgpr132
                                        ; implicit-def: $vgpr133
                                        ; implicit-def: $vgpr134
                                        ; implicit-def: $vgpr135
                                        ; implicit-def: $vgpr136
                                        ; implicit-def: $vgpr137
                                        ; implicit-def: $vgpr138
                                        ; implicit-def: $vgpr139
                                        ; implicit-def: $vgpr140
                                        ; implicit-def: $vgpr141
                                        ; implicit-def: $vgpr142
                                        ; implicit-def: $vgpr143
                                        ; implicit-def: $vgpr144
	s_delay_alu instid0(VALU_DEP_2) | instskip(SKIP_1) | instid1(VALU_DEP_2)
	v_add_co_u32 v124, vcc_lo, v92, v2
	v_add_co_ci_u32_e32 v125, vcc_lo, 0, v93, vcc_lo
	v_add_co_u32 v127, vcc_lo, 0x3c0, v124
	s_delay_alu instid0(VALU_DEP_2) | instskip(SKIP_3) | instid1(VALU_DEP_1)
	v_add_co_ci_u32_e32 v128, vcc_lo, 0, v125, vcc_lo
	s_waitcnt vmcnt(1)
	v_mad_u32_u24 v7, v70, v4, v0
	s_waitcnt vmcnt(0)
	v_mad_u64_u32 v[4:5], null, v7, v6, v[1:2]
                                        ; implicit-def: $vgpr6_vgpr7
	s_delay_alu instid0(VALU_DEP_1)
	v_lshrrev_b32_e32 v126, 5, v4
                                        ; implicit-def: $vgpr4_vgpr5
	s_branch .LBB2057_982
.LBB2057_981:                           ;   in Loop: Header=BB2057_982 Depth=2
	s_or_b32 exec_lo, exec_lo, s16
	s_addk_i32 s56, 0xf000
	s_cmp_lt_u32 s57, s53
	s_mov_b32 s34, s57
	s_cbranch_scc0 .LBB2057_10
.LBB2057_982:                           ;   Parent Loop BB2057_12 Depth=1
                                        ; =>  This Inner Loop Header: Depth=2
	s_add_i32 s57, s34, 0x1000
	s_delay_alu instid0(SALU_CYCLE_1)
	s_cmp_gt_u32 s57, s53
	s_cbranch_scc1 .LBB2057_985
; %bb.983:                              ;   in Loop: Header=BB2057_982 Depth=2
	s_mov_b32 s17, 0
	s_mov_b32 s16, s34
	s_delay_alu instid0(SALU_CYCLE_1) | instskip(NEXT) | instid1(SALU_CYCLE_1)
	s_lshl_b64 s[18:19], s[16:17], 1
	v_add_co_u32 v36, vcc_lo, v124, s18
	v_add_co_ci_u32_e32 v37, vcc_lo, s19, v125, vcc_lo
	s_mov_b32 s19, -1
	s_movk_i32 s18, 0x1000
	s_clause 0xe
	global_load_u16 v2, v[36:37], off
	global_load_u16 v147, v[36:37], off offset:64
	global_load_u16 v149, v[36:37], off offset:128
	;; [unrolled: 1-line block ×14, first 2 shown]
	s_cbranch_execz .LBB2057_986
; %bb.984:                              ;   in Loop: Header=BB2057_982 Depth=2
                                        ; implicit-def: $sgpr20
	v_dual_mov_b32 v36, s20 :: v_dual_mov_b32 v145, s56
	s_and_saveexec_b32 s20, s19
	s_cbranch_execnz .LBB2057_1017
	s_branch .LBB2057_1018
.LBB2057_985:                           ;   in Loop: Header=BB2057_982 Depth=2
	s_mov_b32 s17, -1
	s_mov_b32 s19, 0
                                        ; implicit-def: $sgpr18
                                        ; implicit-def: $vgpr2
                                        ; implicit-def: $vgpr147
                                        ; implicit-def: $vgpr149
                                        ; implicit-def: $vgpr153
                                        ; implicit-def: $vgpr157
                                        ; implicit-def: $vgpr161
                                        ; implicit-def: $vgpr165
                                        ; implicit-def: $vgpr170
                                        ; implicit-def: $vgpr169
                                        ; implicit-def: $vgpr43
                                        ; implicit-def: $vgpr42
                                        ; implicit-def: $vgpr41
                                        ; implicit-def: $vgpr40
                                        ; implicit-def: $vgpr39
                                        ; implicit-def: $vgpr38
.LBB2057_986:                           ;   in Loop: Header=BB2057_982 Depth=2
	s_lshl_b64 s[16:17], s[34:35], 1
	s_waitcnt vmcnt(13)
	v_dual_mov_b32 v147, 0x7fff :: v_dual_mov_b32 v2, 0x7fff
	v_add_co_u32 v36, vcc_lo, v124, s16
	v_add_co_ci_u32_e32 v37, vcc_lo, s17, v125, vcc_lo
	s_mov_b32 s16, exec_lo
	v_cmpx_gt_u32_e64 s56, v106
	s_cbranch_execz .LBB2057_988
; %bb.987:                              ;   in Loop: Header=BB2057_982 Depth=2
	global_load_u16 v2, v[36:37], off
.LBB2057_988:                           ;   in Loop: Header=BB2057_982 Depth=2
	s_or_b32 exec_lo, exec_lo, s16
	s_delay_alu instid0(SALU_CYCLE_1)
	s_mov_b32 s16, exec_lo
	v_cmpx_gt_u32_e64 s56, v109
	s_cbranch_execz .LBB2057_990
; %bb.989:                              ;   in Loop: Header=BB2057_982 Depth=2
	global_load_u16 v147, v[36:37], off offset:64
.LBB2057_990:                           ;   in Loop: Header=BB2057_982 Depth=2
	s_or_b32 exec_lo, exec_lo, s16
	s_waitcnt vmcnt(11)
	v_mov_b32_e32 v153, 0x7fff
	v_mov_b32_e32 v149, 0x7fff
	s_mov_b32 s16, exec_lo
	v_cmpx_gt_u32_e64 s56, v110
	s_cbranch_execz .LBB2057_992
; %bb.991:                              ;   in Loop: Header=BB2057_982 Depth=2
	global_load_u16 v149, v[36:37], off offset:128
.LBB2057_992:                           ;   in Loop: Header=BB2057_982 Depth=2
	s_or_b32 exec_lo, exec_lo, s16
	s_delay_alu instid0(SALU_CYCLE_1)
	s_mov_b32 s16, exec_lo
	v_cmpx_gt_u32_e64 s56, v111
	s_cbranch_execz .LBB2057_994
; %bb.993:                              ;   in Loop: Header=BB2057_982 Depth=2
	global_load_u16 v153, v[36:37], off offset:192
.LBB2057_994:                           ;   in Loop: Header=BB2057_982 Depth=2
	s_or_b32 exec_lo, exec_lo, s16
	s_waitcnt vmcnt(9)
	v_mov_b32_e32 v161, 0x7fff
	v_mov_b32_e32 v157, 0x7fff
	s_mov_b32 s16, exec_lo
	v_cmpx_gt_u32_e64 s56, v112
	s_cbranch_execz .LBB2057_996
; %bb.995:                              ;   in Loop: Header=BB2057_982 Depth=2
	global_load_u16 v157, v[36:37], off offset:256
.LBB2057_996:                           ;   in Loop: Header=BB2057_982 Depth=2
	s_or_b32 exec_lo, exec_lo, s16
	s_delay_alu instid0(SALU_CYCLE_1)
	s_mov_b32 s16, exec_lo
	v_cmpx_gt_u32_e64 s56, v113
	s_cbranch_execz .LBB2057_998
; %bb.997:                              ;   in Loop: Header=BB2057_982 Depth=2
	global_load_u16 v161, v[36:37], off offset:320
.LBB2057_998:                           ;   in Loop: Header=BB2057_982 Depth=2
	s_or_b32 exec_lo, exec_lo, s16
	s_waitcnt vmcnt(7)
	v_dual_mov_b32 v170, 0x7fff :: v_dual_mov_b32 v165, 0x7fff
	s_mov_b32 s16, exec_lo
	v_cmpx_gt_u32_e64 s56, v114
	s_cbranch_execz .LBB2057_1000
; %bb.999:                              ;   in Loop: Header=BB2057_982 Depth=2
	global_load_u16 v165, v[36:37], off offset:384
.LBB2057_1000:                          ;   in Loop: Header=BB2057_982 Depth=2
	s_or_b32 exec_lo, exec_lo, s16
	s_delay_alu instid0(SALU_CYCLE_1)
	s_mov_b32 s16, exec_lo
	v_cmpx_gt_u32_e64 s56, v115
	s_cbranch_execz .LBB2057_1002
; %bb.1001:                             ;   in Loop: Header=BB2057_982 Depth=2
	global_load_u16 v170, v[36:37], off offset:448
.LBB2057_1002:                          ;   in Loop: Header=BB2057_982 Depth=2
	s_or_b32 exec_lo, exec_lo, s16
	s_waitcnt vmcnt(5)
	v_mov_b32_e32 v43, 0x7fff
	v_mov_b32_e32 v169, 0x7fff
	s_mov_b32 s16, exec_lo
	v_cmpx_gt_u32_e64 s56, v116
	s_cbranch_execz .LBB2057_1004
; %bb.1003:                             ;   in Loop: Header=BB2057_982 Depth=2
	global_load_u16 v169, v[36:37], off offset:512
.LBB2057_1004:                          ;   in Loop: Header=BB2057_982 Depth=2
	s_or_b32 exec_lo, exec_lo, s16
	s_delay_alu instid0(SALU_CYCLE_1)
	s_mov_b32 s16, exec_lo
	v_cmpx_gt_u32_e64 s56, v117
	s_cbranch_execz .LBB2057_1006
; %bb.1005:                             ;   in Loop: Header=BB2057_982 Depth=2
	global_load_u16 v43, v[36:37], off offset:576
.LBB2057_1006:                          ;   in Loop: Header=BB2057_982 Depth=2
	s_or_b32 exec_lo, exec_lo, s16
	s_waitcnt vmcnt(3)
	v_dual_mov_b32 v41, 0x7fff :: v_dual_mov_b32 v42, 0x7fff
	s_mov_b32 s16, exec_lo
	v_cmpx_gt_u32_e64 s56, v118
	s_cbranch_execz .LBB2057_1008
; %bb.1007:                             ;   in Loop: Header=BB2057_982 Depth=2
	global_load_u16 v42, v[36:37], off offset:640
.LBB2057_1008:                          ;   in Loop: Header=BB2057_982 Depth=2
	s_or_b32 exec_lo, exec_lo, s16
	s_delay_alu instid0(SALU_CYCLE_1)
	s_mov_b32 s16, exec_lo
	v_cmpx_gt_u32_e64 s56, v119
	s_cbranch_execz .LBB2057_1010
; %bb.1009:                             ;   in Loop: Header=BB2057_982 Depth=2
	global_load_u16 v41, v[36:37], off offset:704
.LBB2057_1010:                          ;   in Loop: Header=BB2057_982 Depth=2
	s_or_b32 exec_lo, exec_lo, s16
	s_waitcnt vmcnt(1)
	v_dual_mov_b32 v39, 0x7fff :: v_dual_mov_b32 v40, 0x7fff
	s_mov_b32 s16, exec_lo
	v_cmpx_gt_u32_e64 s56, v120
	s_cbranch_execz .LBB2057_1012
; %bb.1011:                             ;   in Loop: Header=BB2057_982 Depth=2
	global_load_u16 v40, v[36:37], off offset:768
.LBB2057_1012:                          ;   in Loop: Header=BB2057_982 Depth=2
	s_or_b32 exec_lo, exec_lo, s16
	s_delay_alu instid0(SALU_CYCLE_1)
	s_mov_b32 s16, exec_lo
	v_cmpx_gt_u32_e64 s56, v121
	s_cbranch_execz .LBB2057_1014
; %bb.1013:                             ;   in Loop: Header=BB2057_982 Depth=2
	global_load_u16 v39, v[36:37], off offset:832
.LBB2057_1014:                          ;   in Loop: Header=BB2057_982 Depth=2
	s_or_b32 exec_lo, exec_lo, s16
	s_waitcnt vmcnt(0)
	v_mov_b32_e32 v38, 0x7fff
	s_mov_b32 s16, exec_lo
	v_cmpx_gt_u32_e64 s56, v122
	s_cbranch_execz .LBB2057_1016
; %bb.1015:                             ;   in Loop: Header=BB2057_982 Depth=2
	global_load_u16 v38, v[36:37], off offset:896
.LBB2057_1016:                          ;   in Loop: Header=BB2057_982 Depth=2
	s_or_b32 exec_lo, exec_lo, s16
	v_cmp_gt_u32_e64 s19, s56, v123
	s_sub_i32 s18, s53, s34
	s_movk_i32 s20, 0x7fff
	s_mov_b64 s[16:17], s[34:35]
	v_dual_mov_b32 v36, s20 :: v_dual_mov_b32 v145, s56
	s_and_saveexec_b32 s20, s19
	s_cbranch_execz .LBB2057_1018
.LBB2057_1017:                          ;   in Loop: Header=BB2057_982 Depth=2
	s_lshl_b64 s[16:17], s[16:17], 1
	v_mov_b32_e32 v145, s18
	v_add_co_u32 v36, vcc_lo, v127, s16
	v_add_co_ci_u32_e32 v37, vcc_lo, s17, v128, vcc_lo
	global_load_u16 v36, v[36:37], off
.LBB2057_1018:                          ;   in Loop: Header=BB2057_982 Depth=2
	s_or_b32 exec_lo, exec_lo, s20
	s_waitcnt vmcnt(14)
	v_cmp_lt_i16_e32 vcc_lo, -1, v2
	ds_store_b32 v69, v3 offset:1056
	ds_store_2addr_b32 v71, v3, v3 offset0:1 offset1:2
	ds_store_2addr_b32 v71, v3, v3 offset0:3 offset1:4
	;; [unrolled: 1-line block ×4, first 2 shown]
	s_waitcnt vmcnt(0) lgkmcnt(0)
	s_barrier
	v_cndmask_b32_e64 v37, -1, 0xffff8000, vcc_lo
	buffer_gl0_inv
	; wave barrier
	v_xor_b32_e32 v2, v37, v2
	s_delay_alu instid0(VALU_DEP_1) | instskip(SKIP_1) | instid1(VALU_DEP_1)
	v_cmp_ne_u16_e32 vcc_lo, 0x7fff, v2
	v_cndmask_b32_e32 v37, 0xffff8000, v2, vcc_lo
	v_and_b32_e32 v37, 0xffff, v37
	s_delay_alu instid0(VALU_DEP_1) | instskip(NEXT) | instid1(VALU_DEP_1)
	v_lshrrev_b32_e32 v37, s49, v37
	v_and_b32_e32 v148, s55, v37
	s_delay_alu instid0(VALU_DEP_1)
	v_lshlrev_b32_e32 v146, 30, v148
	v_and_b32_e32 v37, 1, v148
	v_lshlrev_b32_e32 v150, 29, v148
	v_lshlrev_b32_e32 v151, 28, v148
	;; [unrolled: 1-line block ×3, first 2 shown]
	v_not_b32_e32 v158, v146
	v_add_co_u32 v37, s16, v37, -1
	s_delay_alu instid0(VALU_DEP_1)
	v_cndmask_b32_e64 v152, 0, 1, s16
	v_cmp_gt_i32_e64 s16, 0, v146
	v_not_b32_e32 v146, v150
	v_ashrrev_i32_e32 v158, 31, v158
	v_lshlrev_b32_e32 v155, 26, v148
	v_cmp_ne_u32_e32 vcc_lo, 0, v152
	v_lshlrev_b32_e32 v156, 25, v148
	v_ashrrev_i32_e32 v146, 31, v146
	v_xor_b32_e32 v158, s16, v158
	v_cmp_gt_i32_e64 s16, 0, v151
	v_xor_b32_e32 v37, vcc_lo, v37
	v_cmp_gt_i32_e32 vcc_lo, 0, v150
	v_not_b32_e32 v150, v151
	v_not_b32_e32 v151, v154
	v_lshlrev_b32_e32 v152, 24, v148
	v_and_b32_e32 v37, exec_lo, v37
	v_xor_b32_e32 v146, vcc_lo, v146
	v_ashrrev_i32_e32 v150, 31, v150
	v_cmp_gt_i32_e32 vcc_lo, 0, v154
	v_not_b32_e32 v154, v155
	v_and_b32_e32 v37, v37, v158
	v_ashrrev_i32_e32 v151, 31, v151
	v_xor_b32_e32 v150, s16, v150
	v_cmp_gt_i32_e64 s16, 0, v155
	v_ashrrev_i32_e32 v154, 31, v154
	v_and_b32_e32 v37, v37, v146
	v_not_b32_e32 v146, v156
	v_xor_b32_e32 v151, vcc_lo, v151
	v_cmp_gt_i32_e32 vcc_lo, 0, v156
	v_xor_b32_e32 v154, s16, v154
	v_and_b32_e32 v37, v37, v150
	v_not_b32_e32 v150, v152
	v_ashrrev_i32_e32 v146, 31, v146
	v_cmp_gt_i32_e64 s16, 0, v152
	v_mad_u32_u24 v148, v148, 9, v126
	v_and_b32_e32 v37, v37, v151
	v_ashrrev_i32_e32 v150, 31, v150
	v_xor_b32_e32 v146, vcc_lo, v146
	s_delay_alu instid0(VALU_DEP_4) | instskip(NEXT) | instid1(VALU_DEP_4)
	v_lshl_add_u32 v148, v148, 2, 0x420
	v_and_b32_e32 v37, v37, v154
	s_delay_alu instid0(VALU_DEP_4) | instskip(NEXT) | instid1(VALU_DEP_2)
	v_xor_b32_e32 v150, s16, v150
	v_and_b32_e32 v37, v37, v146
	s_delay_alu instid0(VALU_DEP_1) | instskip(NEXT) | instid1(VALU_DEP_1)
	v_and_b32_e32 v37, v37, v150
	v_mbcnt_lo_u32_b32 v146, v37, 0
	v_cmp_ne_u32_e64 s16, 0, v37
	s_delay_alu instid0(VALU_DEP_2) | instskip(NEXT) | instid1(VALU_DEP_2)
	v_cmp_eq_u32_e32 vcc_lo, 0, v146
	s_and_b32 s17, s16, vcc_lo
	s_delay_alu instid0(SALU_CYCLE_1)
	s_and_saveexec_b32 s16, s17
	s_cbranch_execz .LBB2057_1020
; %bb.1019:                             ;   in Loop: Header=BB2057_982 Depth=2
	v_bcnt_u32_b32 v37, v37, 0
	ds_store_b32 v148, v37
.LBB2057_1020:                          ;   in Loop: Header=BB2057_982 Depth=2
	s_or_b32 exec_lo, exec_lo, s16
	v_cmp_lt_i16_e64 vcc_lo, -1, v147
	; wave barrier
	s_delay_alu instid0(VALU_DEP_1) | instskip(NEXT) | instid1(VALU_DEP_1)
	v_cndmask_b32_e64 v37, -1, 0xffff8000, vcc_lo
	v_xor_b32_e32 v147, v37, v147
	s_delay_alu instid0(VALU_DEP_1) | instskip(SKIP_1) | instid1(VALU_DEP_1)
	v_cmp_ne_u16_e64 vcc_lo, 0x7fff, v147
	v_cndmask_b32_e32 v37, 0xffff8000, v147, vcc_lo
	v_and_b32_e32 v37, 0xffff, v37
	s_delay_alu instid0(VALU_DEP_1) | instskip(NEXT) | instid1(VALU_DEP_1)
	v_lshrrev_b32_e32 v37, s49, v37
	v_and_b32_e32 v37, s55, v37
	s_delay_alu instid0(VALU_DEP_1)
	v_and_b32_e32 v150, 1, v37
	v_lshlrev_b32_e32 v151, 30, v37
	v_lshlrev_b32_e32 v152, 29, v37
	;; [unrolled: 1-line block ×4, first 2 shown]
	v_add_co_u32 v150, s16, v150, -1
	s_delay_alu instid0(VALU_DEP_1)
	v_cndmask_b32_e64 v155, 0, 1, s16
	v_not_b32_e32 v160, v151
	v_cmp_gt_i32_e64 s16, 0, v151
	v_not_b32_e32 v151, v152
	v_lshlrev_b32_e32 v158, 26, v37
	v_cmp_ne_u32_e32 vcc_lo, 0, v155
	v_ashrrev_i32_e32 v160, 31, v160
	v_lshlrev_b32_e32 v159, 25, v37
	v_ashrrev_i32_e32 v151, 31, v151
	v_lshlrev_b32_e32 v155, 24, v37
	v_xor_b32_e32 v150, vcc_lo, v150
	v_cmp_gt_i32_e32 vcc_lo, 0, v152
	v_not_b32_e32 v152, v154
	v_xor_b32_e32 v160, s16, v160
	v_cmp_gt_i32_e64 s16, 0, v154
	v_and_b32_e32 v150, exec_lo, v150
	v_not_b32_e32 v154, v156
	v_ashrrev_i32_e32 v152, 31, v152
	v_xor_b32_e32 v151, vcc_lo, v151
	v_cmp_gt_i32_e32 vcc_lo, 0, v156
	v_and_b32_e32 v150, v150, v160
	v_not_b32_e32 v156, v158
	v_ashrrev_i32_e32 v154, 31, v154
	v_xor_b32_e32 v152, s16, v152
	v_cmp_gt_i32_e64 s16, 0, v158
	v_and_b32_e32 v150, v150, v151
	v_not_b32_e32 v151, v159
	v_ashrrev_i32_e32 v156, 31, v156
	v_xor_b32_e32 v154, vcc_lo, v154
	v_cmp_gt_i32_e32 vcc_lo, 0, v159
	v_and_b32_e32 v150, v150, v152
	v_not_b32_e32 v152, v155
	v_ashrrev_i32_e32 v151, 31, v151
	v_xor_b32_e32 v156, s16, v156
	v_mul_u32_u24_e32 v37, 9, v37
	v_and_b32_e32 v150, v150, v154
	v_cmp_gt_i32_e64 s16, 0, v155
	v_ashrrev_i32_e32 v152, 31, v152
	v_xor_b32_e32 v151, vcc_lo, v151
	v_add_lshl_u32 v154, v37, v126, 2
	v_and_b32_e32 v150, v150, v156
	s_delay_alu instid0(VALU_DEP_4) | instskip(NEXT) | instid1(VALU_DEP_3)
	v_xor_b32_e32 v37, s16, v152
	v_add_nc_u32_e32 v152, 0x420, v154
	s_delay_alu instid0(VALU_DEP_3) | instskip(SKIP_2) | instid1(VALU_DEP_1)
	v_and_b32_e32 v151, v150, v151
	ds_load_b32 v150, v154 offset:1056
	; wave barrier
	v_and_b32_e32 v37, v151, v37
	v_mbcnt_lo_u32_b32 v151, v37, 0
	v_cmp_ne_u32_e64 s16, 0, v37
	s_delay_alu instid0(VALU_DEP_2) | instskip(NEXT) | instid1(VALU_DEP_2)
	v_cmp_eq_u32_e32 vcc_lo, 0, v151
	s_and_b32 s17, s16, vcc_lo
	s_delay_alu instid0(SALU_CYCLE_1)
	s_and_saveexec_b32 s16, s17
	s_cbranch_execz .LBB2057_1022
; %bb.1021:                             ;   in Loop: Header=BB2057_982 Depth=2
	s_waitcnt lgkmcnt(0)
	v_bcnt_u32_b32 v37, v37, v150
	ds_store_b32 v152, v37
.LBB2057_1022:                          ;   in Loop: Header=BB2057_982 Depth=2
	s_or_b32 exec_lo, exec_lo, s16
	v_cmp_lt_i16_e64 vcc_lo, -1, v149
	; wave barrier
	s_delay_alu instid0(VALU_DEP_1) | instskip(NEXT) | instid1(VALU_DEP_1)
	v_cndmask_b32_e64 v37, -1, 0xffff8000, vcc_lo
	v_xor_b32_e32 v149, v37, v149
	s_delay_alu instid0(VALU_DEP_1) | instskip(SKIP_1) | instid1(VALU_DEP_1)
	v_cmp_ne_u16_e64 vcc_lo, 0x7fff, v149
	v_cndmask_b32_e32 v37, 0xffff8000, v149, vcc_lo
	v_and_b32_e32 v37, 0xffff, v37
	s_delay_alu instid0(VALU_DEP_1) | instskip(NEXT) | instid1(VALU_DEP_1)
	v_lshrrev_b32_e32 v37, s49, v37
	v_and_b32_e32 v37, s55, v37
	s_delay_alu instid0(VALU_DEP_1)
	v_and_b32_e32 v154, 1, v37
	v_lshlrev_b32_e32 v155, 30, v37
	v_lshlrev_b32_e32 v156, 29, v37
	;; [unrolled: 1-line block ×4, first 2 shown]
	v_add_co_u32 v154, s16, v154, -1
	s_delay_alu instid0(VALU_DEP_1)
	v_cndmask_b32_e64 v159, 0, 1, s16
	v_not_b32_e32 v164, v155
	v_cmp_gt_i32_e64 s16, 0, v155
	v_not_b32_e32 v155, v156
	v_lshlrev_b32_e32 v162, 26, v37
	v_cmp_ne_u32_e32 vcc_lo, 0, v159
	v_ashrrev_i32_e32 v164, 31, v164
	v_lshlrev_b32_e32 v163, 25, v37
	v_ashrrev_i32_e32 v155, 31, v155
	v_lshlrev_b32_e32 v159, 24, v37
	v_xor_b32_e32 v154, vcc_lo, v154
	v_cmp_gt_i32_e32 vcc_lo, 0, v156
	v_not_b32_e32 v156, v158
	v_xor_b32_e32 v164, s16, v164
	v_cmp_gt_i32_e64 s16, 0, v158
	v_and_b32_e32 v154, exec_lo, v154
	v_not_b32_e32 v158, v160
	v_ashrrev_i32_e32 v156, 31, v156
	v_xor_b32_e32 v155, vcc_lo, v155
	v_cmp_gt_i32_e32 vcc_lo, 0, v160
	v_and_b32_e32 v154, v154, v164
	v_not_b32_e32 v160, v162
	v_ashrrev_i32_e32 v158, 31, v158
	v_xor_b32_e32 v156, s16, v156
	v_cmp_gt_i32_e64 s16, 0, v162
	v_and_b32_e32 v154, v154, v155
	v_not_b32_e32 v155, v163
	v_ashrrev_i32_e32 v160, 31, v160
	v_xor_b32_e32 v158, vcc_lo, v158
	v_cmp_gt_i32_e32 vcc_lo, 0, v163
	v_and_b32_e32 v154, v154, v156
	v_not_b32_e32 v156, v159
	v_ashrrev_i32_e32 v155, 31, v155
	v_xor_b32_e32 v160, s16, v160
	v_mul_u32_u24_e32 v37, 9, v37
	v_and_b32_e32 v154, v154, v158
	v_cmp_gt_i32_e64 s16, 0, v159
	v_ashrrev_i32_e32 v156, 31, v156
	v_xor_b32_e32 v155, vcc_lo, v155
	v_add_lshl_u32 v158, v37, v126, 2
	v_and_b32_e32 v154, v154, v160
	s_delay_alu instid0(VALU_DEP_4) | instskip(NEXT) | instid1(VALU_DEP_3)
	v_xor_b32_e32 v37, s16, v156
	v_add_nc_u32_e32 v156, 0x420, v158
	s_delay_alu instid0(VALU_DEP_3) | instskip(SKIP_2) | instid1(VALU_DEP_1)
	v_and_b32_e32 v155, v154, v155
	ds_load_b32 v154, v158 offset:1056
	; wave barrier
	v_and_b32_e32 v37, v155, v37
	v_mbcnt_lo_u32_b32 v155, v37, 0
	v_cmp_ne_u32_e64 s16, 0, v37
	s_delay_alu instid0(VALU_DEP_2) | instskip(NEXT) | instid1(VALU_DEP_2)
	v_cmp_eq_u32_e32 vcc_lo, 0, v155
	s_and_b32 s17, s16, vcc_lo
	s_delay_alu instid0(SALU_CYCLE_1)
	s_and_saveexec_b32 s16, s17
	s_cbranch_execz .LBB2057_1024
; %bb.1023:                             ;   in Loop: Header=BB2057_982 Depth=2
	s_waitcnt lgkmcnt(0)
	v_bcnt_u32_b32 v37, v37, v154
	ds_store_b32 v156, v37
.LBB2057_1024:                          ;   in Loop: Header=BB2057_982 Depth=2
	s_or_b32 exec_lo, exec_lo, s16
	v_cmp_lt_i16_e64 vcc_lo, -1, v153
	; wave barrier
	s_delay_alu instid0(VALU_DEP_1) | instskip(NEXT) | instid1(VALU_DEP_1)
	v_cndmask_b32_e64 v37, -1, 0xffff8000, vcc_lo
	v_xor_b32_e32 v153, v37, v153
	s_delay_alu instid0(VALU_DEP_1) | instskip(SKIP_1) | instid1(VALU_DEP_1)
	v_cmp_ne_u16_e64 vcc_lo, 0x7fff, v153
	v_cndmask_b32_e32 v37, 0xffff8000, v153, vcc_lo
	v_and_b32_e32 v37, 0xffff, v37
	s_delay_alu instid0(VALU_DEP_1) | instskip(NEXT) | instid1(VALU_DEP_1)
	v_lshrrev_b32_e32 v37, s49, v37
	v_and_b32_e32 v37, s55, v37
	s_delay_alu instid0(VALU_DEP_1)
	v_and_b32_e32 v158, 1, v37
	v_lshlrev_b32_e32 v159, 30, v37
	v_lshlrev_b32_e32 v160, 29, v37
	;; [unrolled: 1-line block ×4, first 2 shown]
	v_add_co_u32 v158, s16, v158, -1
	s_delay_alu instid0(VALU_DEP_1)
	v_cndmask_b32_e64 v163, 0, 1, s16
	v_not_b32_e32 v168, v159
	v_cmp_gt_i32_e64 s16, 0, v159
	v_not_b32_e32 v159, v160
	v_lshlrev_b32_e32 v166, 26, v37
	v_cmp_ne_u32_e32 vcc_lo, 0, v163
	v_ashrrev_i32_e32 v168, 31, v168
	v_lshlrev_b32_e32 v167, 25, v37
	v_ashrrev_i32_e32 v159, 31, v159
	v_lshlrev_b32_e32 v163, 24, v37
	v_xor_b32_e32 v158, vcc_lo, v158
	v_cmp_gt_i32_e32 vcc_lo, 0, v160
	v_not_b32_e32 v160, v162
	v_xor_b32_e32 v168, s16, v168
	v_cmp_gt_i32_e64 s16, 0, v162
	v_and_b32_e32 v158, exec_lo, v158
	v_not_b32_e32 v162, v164
	v_ashrrev_i32_e32 v160, 31, v160
	v_xor_b32_e32 v159, vcc_lo, v159
	v_cmp_gt_i32_e32 vcc_lo, 0, v164
	v_and_b32_e32 v158, v158, v168
	v_not_b32_e32 v164, v166
	v_ashrrev_i32_e32 v162, 31, v162
	v_xor_b32_e32 v160, s16, v160
	v_cmp_gt_i32_e64 s16, 0, v166
	v_and_b32_e32 v158, v158, v159
	v_not_b32_e32 v159, v167
	v_ashrrev_i32_e32 v164, 31, v164
	v_xor_b32_e32 v162, vcc_lo, v162
	v_cmp_gt_i32_e32 vcc_lo, 0, v167
	v_and_b32_e32 v158, v158, v160
	v_not_b32_e32 v160, v163
	v_ashrrev_i32_e32 v159, 31, v159
	v_xor_b32_e32 v164, s16, v164
	v_mul_u32_u24_e32 v37, 9, v37
	v_and_b32_e32 v158, v158, v162
	v_cmp_gt_i32_e64 s16, 0, v163
	v_ashrrev_i32_e32 v160, 31, v160
	v_xor_b32_e32 v159, vcc_lo, v159
	v_add_lshl_u32 v162, v37, v126, 2
	v_and_b32_e32 v158, v158, v164
	s_delay_alu instid0(VALU_DEP_4) | instskip(NEXT) | instid1(VALU_DEP_3)
	v_xor_b32_e32 v37, s16, v160
	v_add_nc_u32_e32 v160, 0x420, v162
	s_delay_alu instid0(VALU_DEP_3) | instskip(SKIP_2) | instid1(VALU_DEP_1)
	v_and_b32_e32 v159, v158, v159
	ds_load_b32 v158, v162 offset:1056
	; wave barrier
	v_and_b32_e32 v37, v159, v37
	v_mbcnt_lo_u32_b32 v159, v37, 0
	v_cmp_ne_u32_e64 s16, 0, v37
	s_delay_alu instid0(VALU_DEP_2) | instskip(NEXT) | instid1(VALU_DEP_2)
	v_cmp_eq_u32_e32 vcc_lo, 0, v159
	s_and_b32 s17, s16, vcc_lo
	s_delay_alu instid0(SALU_CYCLE_1)
	s_and_saveexec_b32 s16, s17
	s_cbranch_execz .LBB2057_1026
; %bb.1025:                             ;   in Loop: Header=BB2057_982 Depth=2
	s_waitcnt lgkmcnt(0)
	v_bcnt_u32_b32 v37, v37, v158
	ds_store_b32 v160, v37
.LBB2057_1026:                          ;   in Loop: Header=BB2057_982 Depth=2
	s_or_b32 exec_lo, exec_lo, s16
	v_cmp_lt_i16_e64 vcc_lo, -1, v157
	; wave barrier
	s_delay_alu instid0(VALU_DEP_1) | instskip(NEXT) | instid1(VALU_DEP_1)
	v_cndmask_b32_e64 v37, -1, 0xffff8000, vcc_lo
	v_xor_b32_e32 v157, v37, v157
	s_delay_alu instid0(VALU_DEP_1) | instskip(SKIP_1) | instid1(VALU_DEP_1)
	v_cmp_ne_u16_e64 vcc_lo, 0x7fff, v157
	v_cndmask_b32_e32 v37, 0xffff8000, v157, vcc_lo
	v_and_b32_e32 v37, 0xffff, v37
	s_delay_alu instid0(VALU_DEP_1) | instskip(NEXT) | instid1(VALU_DEP_1)
	v_lshrrev_b32_e32 v37, s49, v37
	v_and_b32_e32 v37, s55, v37
	s_delay_alu instid0(VALU_DEP_1)
	v_and_b32_e32 v162, 1, v37
	v_lshlrev_b32_e32 v163, 30, v37
	v_lshlrev_b32_e32 v164, 29, v37
	;; [unrolled: 1-line block ×4, first 2 shown]
	v_add_co_u32 v162, s16, v162, -1
	s_delay_alu instid0(VALU_DEP_1)
	v_cndmask_b32_e64 v167, 0, 1, s16
	v_not_b32_e32 v173, v163
	v_cmp_gt_i32_e64 s16, 0, v163
	v_not_b32_e32 v163, v164
	v_lshlrev_b32_e32 v171, 26, v37
	v_cmp_ne_u32_e32 vcc_lo, 0, v167
	v_ashrrev_i32_e32 v173, 31, v173
	v_lshlrev_b32_e32 v172, 25, v37
	v_ashrrev_i32_e32 v163, 31, v163
	v_lshlrev_b32_e32 v167, 24, v37
	v_xor_b32_e32 v162, vcc_lo, v162
	v_cmp_gt_i32_e32 vcc_lo, 0, v164
	v_not_b32_e32 v164, v166
	v_xor_b32_e32 v173, s16, v173
	v_cmp_gt_i32_e64 s16, 0, v166
	v_and_b32_e32 v162, exec_lo, v162
	v_not_b32_e32 v166, v168
	v_ashrrev_i32_e32 v164, 31, v164
	v_xor_b32_e32 v163, vcc_lo, v163
	v_cmp_gt_i32_e32 vcc_lo, 0, v168
	v_and_b32_e32 v162, v162, v173
	v_not_b32_e32 v168, v171
	v_ashrrev_i32_e32 v166, 31, v166
	v_xor_b32_e32 v164, s16, v164
	v_cmp_gt_i32_e64 s16, 0, v171
	v_and_b32_e32 v162, v162, v163
	v_not_b32_e32 v163, v172
	v_ashrrev_i32_e32 v168, 31, v168
	v_xor_b32_e32 v166, vcc_lo, v166
	v_cmp_gt_i32_e32 vcc_lo, 0, v172
	v_and_b32_e32 v162, v162, v164
	v_not_b32_e32 v164, v167
	v_ashrrev_i32_e32 v163, 31, v163
	v_xor_b32_e32 v168, s16, v168
	v_mul_u32_u24_e32 v37, 9, v37
	v_and_b32_e32 v162, v162, v166
	v_cmp_gt_i32_e64 s16, 0, v167
	v_ashrrev_i32_e32 v164, 31, v164
	v_xor_b32_e32 v163, vcc_lo, v163
	v_add_lshl_u32 v166, v37, v126, 2
	v_and_b32_e32 v162, v162, v168
	s_delay_alu instid0(VALU_DEP_4) | instskip(NEXT) | instid1(VALU_DEP_3)
	v_xor_b32_e32 v37, s16, v164
	v_add_nc_u32_e32 v164, 0x420, v166
	s_delay_alu instid0(VALU_DEP_3) | instskip(SKIP_2) | instid1(VALU_DEP_1)
	v_and_b32_e32 v163, v162, v163
	ds_load_b32 v162, v166 offset:1056
	; wave barrier
	v_and_b32_e32 v37, v163, v37
	v_mbcnt_lo_u32_b32 v163, v37, 0
	v_cmp_ne_u32_e64 s16, 0, v37
	s_delay_alu instid0(VALU_DEP_2) | instskip(NEXT) | instid1(VALU_DEP_2)
	v_cmp_eq_u32_e32 vcc_lo, 0, v163
	s_and_b32 s17, s16, vcc_lo
	s_delay_alu instid0(SALU_CYCLE_1)
	s_and_saveexec_b32 s16, s17
	s_cbranch_execz .LBB2057_1028
; %bb.1027:                             ;   in Loop: Header=BB2057_982 Depth=2
	s_waitcnt lgkmcnt(0)
	v_bcnt_u32_b32 v37, v37, v162
	ds_store_b32 v164, v37
.LBB2057_1028:                          ;   in Loop: Header=BB2057_982 Depth=2
	s_or_b32 exec_lo, exec_lo, s16
	v_cmp_lt_i16_e64 vcc_lo, -1, v161
	; wave barrier
	s_delay_alu instid0(VALU_DEP_1) | instskip(NEXT) | instid1(VALU_DEP_1)
	v_cndmask_b32_e64 v37, -1, 0xffff8000, vcc_lo
	v_xor_b32_e32 v161, v37, v161
	s_delay_alu instid0(VALU_DEP_1) | instskip(SKIP_1) | instid1(VALU_DEP_1)
	v_cmp_ne_u16_e64 vcc_lo, 0x7fff, v161
	v_cndmask_b32_e32 v37, 0xffff8000, v161, vcc_lo
	v_and_b32_e32 v37, 0xffff, v37
	s_delay_alu instid0(VALU_DEP_1) | instskip(NEXT) | instid1(VALU_DEP_1)
	v_lshrrev_b32_e32 v37, s49, v37
	v_and_b32_e32 v37, s55, v37
	s_delay_alu instid0(VALU_DEP_1)
	v_and_b32_e32 v166, 1, v37
	v_lshlrev_b32_e32 v167, 30, v37
	v_lshlrev_b32_e32 v168, 29, v37
	;; [unrolled: 1-line block ×4, first 2 shown]
	v_add_co_u32 v166, s16, v166, -1
	s_delay_alu instid0(VALU_DEP_1)
	v_cndmask_b32_e64 v172, 0, 1, s16
	v_not_b32_e32 v176, v167
	v_cmp_gt_i32_e64 s16, 0, v167
	v_not_b32_e32 v167, v168
	v_lshlrev_b32_e32 v174, 26, v37
	v_cmp_ne_u32_e32 vcc_lo, 0, v172
	v_ashrrev_i32_e32 v176, 31, v176
	v_lshlrev_b32_e32 v175, 25, v37
	v_ashrrev_i32_e32 v167, 31, v167
	v_lshlrev_b32_e32 v172, 24, v37
	v_xor_b32_e32 v166, vcc_lo, v166
	v_cmp_gt_i32_e32 vcc_lo, 0, v168
	v_not_b32_e32 v168, v171
	v_xor_b32_e32 v176, s16, v176
	v_cmp_gt_i32_e64 s16, 0, v171
	v_and_b32_e32 v166, exec_lo, v166
	v_not_b32_e32 v171, v173
	v_ashrrev_i32_e32 v168, 31, v168
	v_xor_b32_e32 v167, vcc_lo, v167
	v_cmp_gt_i32_e32 vcc_lo, 0, v173
	v_and_b32_e32 v166, v166, v176
	v_not_b32_e32 v173, v174
	v_ashrrev_i32_e32 v171, 31, v171
	v_xor_b32_e32 v168, s16, v168
	v_cmp_gt_i32_e64 s16, 0, v174
	v_and_b32_e32 v166, v166, v167
	v_not_b32_e32 v167, v175
	v_ashrrev_i32_e32 v173, 31, v173
	v_xor_b32_e32 v171, vcc_lo, v171
	v_cmp_gt_i32_e32 vcc_lo, 0, v175
	v_and_b32_e32 v166, v166, v168
	v_not_b32_e32 v168, v172
	v_ashrrev_i32_e32 v167, 31, v167
	v_xor_b32_e32 v173, s16, v173
	v_mul_u32_u24_e32 v37, 9, v37
	v_and_b32_e32 v166, v166, v171
	v_cmp_gt_i32_e64 s16, 0, v172
	v_ashrrev_i32_e32 v168, 31, v168
	v_xor_b32_e32 v167, vcc_lo, v167
	v_add_lshl_u32 v171, v37, v126, 2
	v_and_b32_e32 v166, v166, v173
	s_delay_alu instid0(VALU_DEP_4) | instskip(NEXT) | instid1(VALU_DEP_3)
	v_xor_b32_e32 v37, s16, v168
	v_add_nc_u32_e32 v168, 0x420, v171
	s_delay_alu instid0(VALU_DEP_3) | instskip(SKIP_2) | instid1(VALU_DEP_1)
	v_and_b32_e32 v167, v166, v167
	ds_load_b32 v166, v171 offset:1056
	; wave barrier
	v_and_b32_e32 v37, v167, v37
	v_mbcnt_lo_u32_b32 v167, v37, 0
	v_cmp_ne_u32_e64 s16, 0, v37
	s_delay_alu instid0(VALU_DEP_2) | instskip(NEXT) | instid1(VALU_DEP_2)
	v_cmp_eq_u32_e32 vcc_lo, 0, v167
	s_and_b32 s17, s16, vcc_lo
	s_delay_alu instid0(SALU_CYCLE_1)
	s_and_saveexec_b32 s16, s17
	s_cbranch_execz .LBB2057_1030
; %bb.1029:                             ;   in Loop: Header=BB2057_982 Depth=2
	s_waitcnt lgkmcnt(0)
	v_bcnt_u32_b32 v37, v37, v166
	ds_store_b32 v168, v37
.LBB2057_1030:                          ;   in Loop: Header=BB2057_982 Depth=2
	s_or_b32 exec_lo, exec_lo, s16
	v_cmp_lt_i16_e64 vcc_lo, -1, v165
	; wave barrier
	s_delay_alu instid0(VALU_DEP_1) | instskip(NEXT) | instid1(VALU_DEP_1)
	v_cndmask_b32_e64 v37, -1, 0xffff8000, vcc_lo
	v_xor_b32_e32 v165, v37, v165
	s_delay_alu instid0(VALU_DEP_1) | instskip(SKIP_1) | instid1(VALU_DEP_1)
	v_cmp_ne_u16_e64 vcc_lo, 0x7fff, v165
	v_cndmask_b32_e32 v37, 0xffff8000, v165, vcc_lo
	v_and_b32_e32 v37, 0xffff, v37
	s_delay_alu instid0(VALU_DEP_1) | instskip(NEXT) | instid1(VALU_DEP_1)
	v_lshrrev_b32_e32 v37, s49, v37
	v_and_b32_e32 v37, s55, v37
	s_delay_alu instid0(VALU_DEP_1)
	v_and_b32_e32 v171, 1, v37
	v_lshlrev_b32_e32 v172, 30, v37
	v_lshlrev_b32_e32 v173, 29, v37
	;; [unrolled: 1-line block ×4, first 2 shown]
	v_add_co_u32 v171, s16, v171, -1
	s_delay_alu instid0(VALU_DEP_1)
	v_cndmask_b32_e64 v175, 0, 1, s16
	v_not_b32_e32 v179, v172
	v_cmp_gt_i32_e64 s16, 0, v172
	v_not_b32_e32 v172, v173
	v_lshlrev_b32_e32 v177, 26, v37
	v_cmp_ne_u32_e32 vcc_lo, 0, v175
	v_ashrrev_i32_e32 v179, 31, v179
	v_lshlrev_b32_e32 v178, 25, v37
	v_ashrrev_i32_e32 v172, 31, v172
	v_lshlrev_b32_e32 v175, 24, v37
	v_xor_b32_e32 v171, vcc_lo, v171
	v_cmp_gt_i32_e32 vcc_lo, 0, v173
	v_not_b32_e32 v173, v174
	v_xor_b32_e32 v179, s16, v179
	v_cmp_gt_i32_e64 s16, 0, v174
	v_and_b32_e32 v171, exec_lo, v171
	v_not_b32_e32 v174, v176
	v_ashrrev_i32_e32 v173, 31, v173
	v_xor_b32_e32 v172, vcc_lo, v172
	v_cmp_gt_i32_e32 vcc_lo, 0, v176
	v_and_b32_e32 v171, v171, v179
	v_not_b32_e32 v176, v177
	v_ashrrev_i32_e32 v174, 31, v174
	v_xor_b32_e32 v173, s16, v173
	v_cmp_gt_i32_e64 s16, 0, v177
	v_and_b32_e32 v171, v171, v172
	v_not_b32_e32 v172, v178
	v_ashrrev_i32_e32 v176, 31, v176
	v_xor_b32_e32 v174, vcc_lo, v174
	v_cmp_gt_i32_e32 vcc_lo, 0, v178
	v_and_b32_e32 v171, v171, v173
	v_not_b32_e32 v173, v175
	v_ashrrev_i32_e32 v172, 31, v172
	v_xor_b32_e32 v176, s16, v176
	v_mul_u32_u24_e32 v37, 9, v37
	v_and_b32_e32 v171, v171, v174
	v_cmp_gt_i32_e64 s16, 0, v175
	v_ashrrev_i32_e32 v173, 31, v173
	v_xor_b32_e32 v172, vcc_lo, v172
	v_add_lshl_u32 v174, v37, v126, 2
	v_and_b32_e32 v171, v171, v176
	s_delay_alu instid0(VALU_DEP_4) | instskip(NEXT) | instid1(VALU_DEP_3)
	v_xor_b32_e32 v37, s16, v173
	v_add_nc_u32_e32 v173, 0x420, v174
	s_delay_alu instid0(VALU_DEP_3) | instskip(SKIP_2) | instid1(VALU_DEP_1)
	v_and_b32_e32 v172, v171, v172
	ds_load_b32 v171, v174 offset:1056
	; wave barrier
	v_and_b32_e32 v37, v172, v37
	v_mbcnt_lo_u32_b32 v172, v37, 0
	v_cmp_ne_u32_e64 s16, 0, v37
	s_delay_alu instid0(VALU_DEP_2) | instskip(NEXT) | instid1(VALU_DEP_2)
	v_cmp_eq_u32_e32 vcc_lo, 0, v172
	s_and_b32 s17, s16, vcc_lo
	s_delay_alu instid0(SALU_CYCLE_1)
	s_and_saveexec_b32 s16, s17
	s_cbranch_execz .LBB2057_1032
; %bb.1031:                             ;   in Loop: Header=BB2057_982 Depth=2
	s_waitcnt lgkmcnt(0)
	v_bcnt_u32_b32 v37, v37, v171
	ds_store_b32 v173, v37
.LBB2057_1032:                          ;   in Loop: Header=BB2057_982 Depth=2
	s_or_b32 exec_lo, exec_lo, s16
	v_cmp_lt_i16_e64 vcc_lo, -1, v170
	; wave barrier
	s_delay_alu instid0(VALU_DEP_1) | instskip(NEXT) | instid1(VALU_DEP_1)
	v_cndmask_b32_e64 v37, -1, 0xffff8000, vcc_lo
	v_xor_b32_e32 v170, v37, v170
	s_delay_alu instid0(VALU_DEP_1) | instskip(SKIP_1) | instid1(VALU_DEP_1)
	v_cmp_ne_u16_e64 vcc_lo, 0x7fff, v170
	v_cndmask_b32_e32 v37, 0xffff8000, v170, vcc_lo
	v_and_b32_e32 v37, 0xffff, v37
	s_delay_alu instid0(VALU_DEP_1) | instskip(NEXT) | instid1(VALU_DEP_1)
	v_lshrrev_b32_e32 v37, s49, v37
	v_and_b32_e32 v37, s55, v37
	s_delay_alu instid0(VALU_DEP_1)
	v_and_b32_e32 v174, 1, v37
	v_lshlrev_b32_e32 v175, 30, v37
	v_lshlrev_b32_e32 v176, 29, v37
	v_lshlrev_b32_e32 v177, 28, v37
	v_lshlrev_b32_e32 v179, 27, v37
	v_add_co_u32 v174, s16, v174, -1
	s_delay_alu instid0(VALU_DEP_1)
	v_cndmask_b32_e64 v178, 0, 1, s16
	v_not_b32_e32 v182, v175
	v_cmp_gt_i32_e64 s16, 0, v175
	v_not_b32_e32 v175, v176
	v_lshlrev_b32_e32 v180, 26, v37
	v_cmp_ne_u32_e32 vcc_lo, 0, v178
	v_ashrrev_i32_e32 v182, 31, v182
	v_lshlrev_b32_e32 v181, 25, v37
	v_ashrrev_i32_e32 v175, 31, v175
	v_lshlrev_b32_e32 v178, 24, v37
	v_xor_b32_e32 v174, vcc_lo, v174
	v_cmp_gt_i32_e32 vcc_lo, 0, v176
	v_not_b32_e32 v176, v177
	v_xor_b32_e32 v182, s16, v182
	v_cmp_gt_i32_e64 s16, 0, v177
	v_and_b32_e32 v174, exec_lo, v174
	v_not_b32_e32 v177, v179
	v_ashrrev_i32_e32 v176, 31, v176
	v_xor_b32_e32 v175, vcc_lo, v175
	v_cmp_gt_i32_e32 vcc_lo, 0, v179
	v_and_b32_e32 v174, v174, v182
	v_not_b32_e32 v179, v180
	v_ashrrev_i32_e32 v177, 31, v177
	v_xor_b32_e32 v176, s16, v176
	v_cmp_gt_i32_e64 s16, 0, v180
	v_and_b32_e32 v174, v174, v175
	v_not_b32_e32 v175, v181
	v_ashrrev_i32_e32 v179, 31, v179
	v_xor_b32_e32 v177, vcc_lo, v177
	v_cmp_gt_i32_e32 vcc_lo, 0, v181
	v_and_b32_e32 v174, v174, v176
	v_not_b32_e32 v176, v178
	v_ashrrev_i32_e32 v175, 31, v175
	v_xor_b32_e32 v179, s16, v179
	v_mul_u32_u24_e32 v37, 9, v37
	v_and_b32_e32 v174, v174, v177
	v_cmp_gt_i32_e64 s16, 0, v178
	v_ashrrev_i32_e32 v176, 31, v176
	v_xor_b32_e32 v175, vcc_lo, v175
	v_add_lshl_u32 v177, v37, v126, 2
	v_and_b32_e32 v174, v174, v179
	s_delay_alu instid0(VALU_DEP_4) | instskip(NEXT) | instid1(VALU_DEP_3)
	v_xor_b32_e32 v37, s16, v176
	v_add_nc_u32_e32 v176, 0x420, v177
	s_delay_alu instid0(VALU_DEP_3) | instskip(SKIP_2) | instid1(VALU_DEP_1)
	v_and_b32_e32 v175, v174, v175
	ds_load_b32 v174, v177 offset:1056
	; wave barrier
	v_and_b32_e32 v37, v175, v37
	v_mbcnt_lo_u32_b32 v175, v37, 0
	v_cmp_ne_u32_e64 s16, 0, v37
	s_delay_alu instid0(VALU_DEP_2) | instskip(NEXT) | instid1(VALU_DEP_2)
	v_cmp_eq_u32_e32 vcc_lo, 0, v175
	s_and_b32 s17, s16, vcc_lo
	s_delay_alu instid0(SALU_CYCLE_1)
	s_and_saveexec_b32 s16, s17
	s_cbranch_execz .LBB2057_1034
; %bb.1033:                             ;   in Loop: Header=BB2057_982 Depth=2
	s_waitcnt lgkmcnt(0)
	v_bcnt_u32_b32 v37, v37, v174
	ds_store_b32 v176, v37
.LBB2057_1034:                          ;   in Loop: Header=BB2057_982 Depth=2
	s_or_b32 exec_lo, exec_lo, s16
	v_cmp_lt_i16_e64 vcc_lo, -1, v169
	; wave barrier
	s_delay_alu instid0(VALU_DEP_1) | instskip(NEXT) | instid1(VALU_DEP_1)
	v_cndmask_b32_e64 v37, -1, 0xffff8000, vcc_lo
	v_xor_b32_e32 v169, v37, v169
	s_delay_alu instid0(VALU_DEP_1) | instskip(SKIP_1) | instid1(VALU_DEP_1)
	v_cmp_ne_u16_e64 vcc_lo, 0x7fff, v169
	v_cndmask_b32_e32 v37, 0xffff8000, v169, vcc_lo
	v_and_b32_e32 v37, 0xffff, v37
	s_delay_alu instid0(VALU_DEP_1) | instskip(NEXT) | instid1(VALU_DEP_1)
	v_lshrrev_b32_e32 v37, s49, v37
	v_and_b32_e32 v37, s55, v37
	s_delay_alu instid0(VALU_DEP_1)
	v_and_b32_e32 v177, 1, v37
	v_lshlrev_b32_e32 v178, 30, v37
	v_lshlrev_b32_e32 v179, 29, v37
	v_lshlrev_b32_e32 v180, 28, v37
	v_lshlrev_b32_e32 v182, 27, v37
	v_add_co_u32 v177, s16, v177, -1
	s_delay_alu instid0(VALU_DEP_1)
	v_cndmask_b32_e64 v181, 0, 1, s16
	v_not_b32_e32 v185, v178
	v_cmp_gt_i32_e64 s16, 0, v178
	v_not_b32_e32 v178, v179
	v_lshlrev_b32_e32 v183, 26, v37
	v_cmp_ne_u32_e32 vcc_lo, 0, v181
	v_ashrrev_i32_e32 v185, 31, v185
	v_lshlrev_b32_e32 v184, 25, v37
	v_ashrrev_i32_e32 v178, 31, v178
	v_lshlrev_b32_e32 v181, 24, v37
	v_xor_b32_e32 v177, vcc_lo, v177
	v_cmp_gt_i32_e32 vcc_lo, 0, v179
	v_not_b32_e32 v179, v180
	v_xor_b32_e32 v185, s16, v185
	v_cmp_gt_i32_e64 s16, 0, v180
	v_and_b32_e32 v177, exec_lo, v177
	v_not_b32_e32 v180, v182
	v_ashrrev_i32_e32 v179, 31, v179
	v_xor_b32_e32 v178, vcc_lo, v178
	v_cmp_gt_i32_e32 vcc_lo, 0, v182
	v_and_b32_e32 v177, v177, v185
	v_not_b32_e32 v182, v183
	v_ashrrev_i32_e32 v180, 31, v180
	v_xor_b32_e32 v179, s16, v179
	v_cmp_gt_i32_e64 s16, 0, v183
	v_and_b32_e32 v177, v177, v178
	v_not_b32_e32 v178, v184
	v_ashrrev_i32_e32 v182, 31, v182
	v_xor_b32_e32 v180, vcc_lo, v180
	v_cmp_gt_i32_e32 vcc_lo, 0, v184
	v_and_b32_e32 v177, v177, v179
	v_not_b32_e32 v179, v181
	v_ashrrev_i32_e32 v178, 31, v178
	v_xor_b32_e32 v182, s16, v182
	v_mul_u32_u24_e32 v37, 9, v37
	v_and_b32_e32 v177, v177, v180
	v_cmp_gt_i32_e64 s16, 0, v181
	v_ashrrev_i32_e32 v179, 31, v179
	v_xor_b32_e32 v178, vcc_lo, v178
	v_add_lshl_u32 v180, v37, v126, 2
	v_and_b32_e32 v177, v177, v182
	s_delay_alu instid0(VALU_DEP_4) | instskip(NEXT) | instid1(VALU_DEP_2)
	v_xor_b32_e32 v37, s16, v179
	v_and_b32_e32 v177, v177, v178
	ds_load_b32 v178, v180 offset:1056
	v_add_nc_u32_e32 v180, 0x420, v180
	; wave barrier
	v_and_b32_e32 v37, v177, v37
	s_delay_alu instid0(VALU_DEP_1) | instskip(SKIP_1) | instid1(VALU_DEP_2)
	v_mbcnt_lo_u32_b32 v179, v37, 0
	v_cmp_ne_u32_e64 s16, 0, v37
	v_cmp_eq_u32_e32 vcc_lo, 0, v179
	s_delay_alu instid0(VALU_DEP_2) | instskip(NEXT) | instid1(SALU_CYCLE_1)
	s_and_b32 s17, s16, vcc_lo
	s_and_saveexec_b32 s16, s17
	s_cbranch_execz .LBB2057_1036
; %bb.1035:                             ;   in Loop: Header=BB2057_982 Depth=2
	s_waitcnt lgkmcnt(0)
	v_bcnt_u32_b32 v37, v37, v178
	ds_store_b32 v180, v37
.LBB2057_1036:                          ;   in Loop: Header=BB2057_982 Depth=2
	s_or_b32 exec_lo, exec_lo, s16
	v_cmp_lt_i16_e32 vcc_lo, -1, v43
	; wave barrier
	v_cndmask_b32_e64 v37, -1, 0xffff8000, vcc_lo
	s_delay_alu instid0(VALU_DEP_1) | instskip(NEXT) | instid1(VALU_DEP_1)
	v_xor_b32_e32 v177, v37, v43
	v_cmp_ne_u16_e64 vcc_lo, 0x7fff, v177
	v_cndmask_b32_e32 v37, 0xffff8000, v177, vcc_lo
	s_delay_alu instid0(VALU_DEP_1) | instskip(NEXT) | instid1(VALU_DEP_1)
	v_and_b32_e32 v37, 0xffff, v37
	v_lshrrev_b32_e32 v37, s49, v37
	s_delay_alu instid0(VALU_DEP_1) | instskip(NEXT) | instid1(VALU_DEP_1)
	v_and_b32_e32 v37, s55, v37
	v_and_b32_e32 v43, 1, v37
	v_lshlrev_b32_e32 v181, 30, v37
	v_lshlrev_b32_e32 v182, 29, v37
	;; [unrolled: 1-line block ×4, first 2 shown]
	v_add_co_u32 v43, s16, v43, -1
	s_delay_alu instid0(VALU_DEP_1)
	v_cndmask_b32_e64 v184, 0, 1, s16
	v_not_b32_e32 v188, v181
	v_cmp_gt_i32_e64 s16, 0, v181
	v_not_b32_e32 v181, v182
	v_lshlrev_b32_e32 v186, 26, v37
	v_cmp_ne_u32_e32 vcc_lo, 0, v184
	v_ashrrev_i32_e32 v188, 31, v188
	v_lshlrev_b32_e32 v187, 25, v37
	v_ashrrev_i32_e32 v181, 31, v181
	v_lshlrev_b32_e32 v184, 24, v37
	v_xor_b32_e32 v43, vcc_lo, v43
	v_cmp_gt_i32_e32 vcc_lo, 0, v182
	v_not_b32_e32 v182, v183
	v_xor_b32_e32 v188, s16, v188
	v_cmp_gt_i32_e64 s16, 0, v183
	v_and_b32_e32 v43, exec_lo, v43
	v_not_b32_e32 v183, v185
	v_ashrrev_i32_e32 v182, 31, v182
	v_xor_b32_e32 v181, vcc_lo, v181
	v_cmp_gt_i32_e32 vcc_lo, 0, v185
	v_and_b32_e32 v43, v43, v188
	v_not_b32_e32 v185, v186
	v_ashrrev_i32_e32 v183, 31, v183
	v_xor_b32_e32 v182, s16, v182
	v_cmp_gt_i32_e64 s16, 0, v186
	v_and_b32_e32 v43, v43, v181
	v_not_b32_e32 v181, v187
	v_ashrrev_i32_e32 v185, 31, v185
	v_xor_b32_e32 v183, vcc_lo, v183
	v_cmp_gt_i32_e32 vcc_lo, 0, v187
	v_and_b32_e32 v43, v43, v182
	v_not_b32_e32 v182, v184
	v_ashrrev_i32_e32 v181, 31, v181
	v_xor_b32_e32 v185, s16, v185
	v_mul_u32_u24_e32 v37, 9, v37
	v_and_b32_e32 v43, v43, v183
	v_cmp_gt_i32_e64 s16, 0, v184
	v_ashrrev_i32_e32 v182, 31, v182
	v_xor_b32_e32 v181, vcc_lo, v181
	v_add_lshl_u32 v184, v37, v126, 2
	v_and_b32_e32 v43, v43, v185
	s_delay_alu instid0(VALU_DEP_4) | instskip(SKIP_3) | instid1(VALU_DEP_2)
	v_xor_b32_e32 v37, s16, v182
	ds_load_b32 v182, v184 offset:1056
	v_and_b32_e32 v43, v43, v181
	v_add_nc_u32_e32 v184, 0x420, v184
	; wave barrier
	v_and_b32_e32 v37, v43, v37
	s_delay_alu instid0(VALU_DEP_1) | instskip(SKIP_1) | instid1(VALU_DEP_2)
	v_mbcnt_lo_u32_b32 v183, v37, 0
	v_cmp_ne_u32_e64 s16, 0, v37
	v_cmp_eq_u32_e32 vcc_lo, 0, v183
	s_delay_alu instid0(VALU_DEP_2) | instskip(NEXT) | instid1(SALU_CYCLE_1)
	s_and_b32 s17, s16, vcc_lo
	s_and_saveexec_b32 s16, s17
	s_cbranch_execz .LBB2057_1038
; %bb.1037:                             ;   in Loop: Header=BB2057_982 Depth=2
	s_waitcnt lgkmcnt(0)
	v_bcnt_u32_b32 v37, v37, v182
	ds_store_b32 v184, v37
.LBB2057_1038:                          ;   in Loop: Header=BB2057_982 Depth=2
	s_or_b32 exec_lo, exec_lo, s16
	v_cmp_lt_i16_e32 vcc_lo, -1, v42
	; wave barrier
	v_cndmask_b32_e64 v37, -1, 0xffff8000, vcc_lo
	s_delay_alu instid0(VALU_DEP_1) | instskip(NEXT) | instid1(VALU_DEP_1)
	v_xor_b32_e32 v181, v37, v42
	v_cmp_ne_u16_e64 vcc_lo, 0x7fff, v181
	v_cndmask_b32_e32 v37, 0xffff8000, v181, vcc_lo
	s_delay_alu instid0(VALU_DEP_1) | instskip(NEXT) | instid1(VALU_DEP_1)
	v_and_b32_e32 v37, 0xffff, v37
	v_lshrrev_b32_e32 v37, s49, v37
	s_delay_alu instid0(VALU_DEP_1) | instskip(NEXT) | instid1(VALU_DEP_1)
	v_and_b32_e32 v37, s55, v37
	v_and_b32_e32 v42, 1, v37
	v_lshlrev_b32_e32 v43, 30, v37
	v_lshlrev_b32_e32 v185, 29, v37
	;; [unrolled: 1-line block ×4, first 2 shown]
	v_add_co_u32 v42, s16, v42, -1
	s_delay_alu instid0(VALU_DEP_1)
	v_cndmask_b32_e64 v187, 0, 1, s16
	v_not_b32_e32 v191, v43
	v_cmp_gt_i32_e64 s16, 0, v43
	v_not_b32_e32 v43, v185
	v_lshlrev_b32_e32 v189, 26, v37
	v_cmp_ne_u32_e32 vcc_lo, 0, v187
	v_ashrrev_i32_e32 v191, 31, v191
	v_lshlrev_b32_e32 v190, 25, v37
	v_ashrrev_i32_e32 v43, 31, v43
	v_lshlrev_b32_e32 v187, 24, v37
	v_xor_b32_e32 v42, vcc_lo, v42
	v_cmp_gt_i32_e32 vcc_lo, 0, v185
	v_not_b32_e32 v185, v186
	v_xor_b32_e32 v191, s16, v191
	v_cmp_gt_i32_e64 s16, 0, v186
	v_and_b32_e32 v42, exec_lo, v42
	v_not_b32_e32 v186, v188
	v_ashrrev_i32_e32 v185, 31, v185
	v_xor_b32_e32 v43, vcc_lo, v43
	v_cmp_gt_i32_e32 vcc_lo, 0, v188
	v_and_b32_e32 v42, v42, v191
	v_not_b32_e32 v188, v189
	v_ashrrev_i32_e32 v186, 31, v186
	v_xor_b32_e32 v185, s16, v185
	v_cmp_gt_i32_e64 s16, 0, v189
	v_and_b32_e32 v42, v42, v43
	v_not_b32_e32 v43, v190
	v_ashrrev_i32_e32 v188, 31, v188
	v_xor_b32_e32 v186, vcc_lo, v186
	v_cmp_gt_i32_e32 vcc_lo, 0, v190
	v_and_b32_e32 v42, v42, v185
	v_not_b32_e32 v185, v187
	v_ashrrev_i32_e32 v43, 31, v43
	v_xor_b32_e32 v188, s16, v188
	v_mul_u32_u24_e32 v37, 9, v37
	v_and_b32_e32 v42, v42, v186
	v_cmp_gt_i32_e64 s16, 0, v187
	v_ashrrev_i32_e32 v185, 31, v185
	v_xor_b32_e32 v43, vcc_lo, v43
	s_delay_alu instid0(VALU_DEP_4) | instskip(SKIP_1) | instid1(VALU_DEP_4)
	v_and_b32_e32 v42, v42, v188
	v_add_lshl_u32 v188, v37, v126, 2
	v_xor_b32_e32 v37, s16, v185
	s_delay_alu instid0(VALU_DEP_3) | instskip(SKIP_3) | instid1(VALU_DEP_1)
	v_and_b32_e32 v42, v42, v43
	ds_load_b32 v186, v188 offset:1056
	v_add_nc_u32_e32 v188, 0x420, v188
	; wave barrier
	v_and_b32_e32 v37, v42, v37
	v_mbcnt_lo_u32_b32 v187, v37, 0
	v_cmp_ne_u32_e64 s16, 0, v37
	s_delay_alu instid0(VALU_DEP_2) | instskip(NEXT) | instid1(VALU_DEP_2)
	v_cmp_eq_u32_e32 vcc_lo, 0, v187
	s_and_b32 s17, s16, vcc_lo
	s_delay_alu instid0(SALU_CYCLE_1)
	s_and_saveexec_b32 s16, s17
	s_cbranch_execz .LBB2057_1040
; %bb.1039:                             ;   in Loop: Header=BB2057_982 Depth=2
	s_waitcnt lgkmcnt(0)
	v_bcnt_u32_b32 v37, v37, v186
	ds_store_b32 v188, v37
.LBB2057_1040:                          ;   in Loop: Header=BB2057_982 Depth=2
	s_or_b32 exec_lo, exec_lo, s16
	v_cmp_lt_i16_e32 vcc_lo, -1, v41
	; wave barrier
	v_cndmask_b32_e64 v37, -1, 0xffff8000, vcc_lo
	s_delay_alu instid0(VALU_DEP_1) | instskip(NEXT) | instid1(VALU_DEP_1)
	v_xor_b32_e32 v185, v37, v41
	v_cmp_ne_u16_e64 vcc_lo, 0x7fff, v185
	v_cndmask_b32_e32 v37, 0xffff8000, v185, vcc_lo
	s_delay_alu instid0(VALU_DEP_1) | instskip(NEXT) | instid1(VALU_DEP_1)
	v_and_b32_e32 v37, 0xffff, v37
	v_lshrrev_b32_e32 v37, s49, v37
	s_delay_alu instid0(VALU_DEP_1) | instskip(NEXT) | instid1(VALU_DEP_1)
	v_and_b32_e32 v37, s55, v37
	v_and_b32_e32 v41, 1, v37
	v_lshlrev_b32_e32 v42, 30, v37
	v_lshlrev_b32_e32 v43, 29, v37
	;; [unrolled: 1-line block ×4, first 2 shown]
	v_add_co_u32 v41, s16, v41, -1
	s_delay_alu instid0(VALU_DEP_1)
	v_cndmask_b32_e64 v190, 0, 1, s16
	v_not_b32_e32 v194, v42
	v_cmp_gt_i32_e64 s16, 0, v42
	v_not_b32_e32 v42, v43
	v_lshlrev_b32_e32 v192, 26, v37
	v_cmp_ne_u32_e32 vcc_lo, 0, v190
	v_ashrrev_i32_e32 v194, 31, v194
	v_lshlrev_b32_e32 v193, 25, v37
	v_ashrrev_i32_e32 v42, 31, v42
	v_lshlrev_b32_e32 v190, 24, v37
	v_xor_b32_e32 v41, vcc_lo, v41
	v_cmp_gt_i32_e32 vcc_lo, 0, v43
	v_not_b32_e32 v43, v189
	v_xor_b32_e32 v194, s16, v194
	v_cmp_gt_i32_e64 s16, 0, v189
	v_and_b32_e32 v41, exec_lo, v41
	v_not_b32_e32 v189, v191
	v_ashrrev_i32_e32 v43, 31, v43
	v_xor_b32_e32 v42, vcc_lo, v42
	v_cmp_gt_i32_e32 vcc_lo, 0, v191
	v_and_b32_e32 v41, v41, v194
	v_not_b32_e32 v191, v192
	v_ashrrev_i32_e32 v189, 31, v189
	v_xor_b32_e32 v43, s16, v43
	v_cmp_gt_i32_e64 s16, 0, v192
	v_and_b32_e32 v41, v41, v42
	v_not_b32_e32 v42, v193
	v_ashrrev_i32_e32 v191, 31, v191
	v_xor_b32_e32 v189, vcc_lo, v189
	v_cmp_gt_i32_e32 vcc_lo, 0, v193
	v_and_b32_e32 v41, v41, v43
	v_not_b32_e32 v43, v190
	v_ashrrev_i32_e32 v42, 31, v42
	v_xor_b32_e32 v191, s16, v191
	v_mul_u32_u24_e32 v37, 9, v37
	v_and_b32_e32 v41, v41, v189
	v_cmp_gt_i32_e64 s16, 0, v190
	v_ashrrev_i32_e32 v43, 31, v43
	v_xor_b32_e32 v42, vcc_lo, v42
	v_add_lshl_u32 v189, v37, v126, 2
	v_and_b32_e32 v41, v41, v191
	s_delay_alu instid0(VALU_DEP_4) | instskip(SKIP_3) | instid1(VALU_DEP_2)
	v_xor_b32_e32 v37, s16, v43
	ds_load_b32 v190, v189 offset:1056
	v_and_b32_e32 v41, v41, v42
	v_add_nc_u32_e32 v192, 0x420, v189
	; wave barrier
	v_and_b32_e32 v37, v41, v37
	s_delay_alu instid0(VALU_DEP_1) | instskip(SKIP_1) | instid1(VALU_DEP_2)
	v_mbcnt_lo_u32_b32 v191, v37, 0
	v_cmp_ne_u32_e64 s16, 0, v37
	v_cmp_eq_u32_e32 vcc_lo, 0, v191
	s_delay_alu instid0(VALU_DEP_2) | instskip(NEXT) | instid1(SALU_CYCLE_1)
	s_and_b32 s17, s16, vcc_lo
	s_and_saveexec_b32 s16, s17
	s_cbranch_execz .LBB2057_1042
; %bb.1041:                             ;   in Loop: Header=BB2057_982 Depth=2
	s_waitcnt lgkmcnt(0)
	v_bcnt_u32_b32 v37, v37, v190
	ds_store_b32 v192, v37
.LBB2057_1042:                          ;   in Loop: Header=BB2057_982 Depth=2
	s_or_b32 exec_lo, exec_lo, s16
	v_cmp_lt_i16_e32 vcc_lo, -1, v40
	; wave barrier
	v_cndmask_b32_e64 v37, -1, 0xffff8000, vcc_lo
	s_delay_alu instid0(VALU_DEP_1) | instskip(NEXT) | instid1(VALU_DEP_1)
	v_xor_b32_e32 v189, v37, v40
	v_cmp_ne_u16_e64 vcc_lo, 0x7fff, v189
	v_cndmask_b32_e32 v37, 0xffff8000, v189, vcc_lo
	s_delay_alu instid0(VALU_DEP_1) | instskip(NEXT) | instid1(VALU_DEP_1)
	v_and_b32_e32 v37, 0xffff, v37
	v_lshrrev_b32_e32 v37, s49, v37
	s_delay_alu instid0(VALU_DEP_1) | instskip(NEXT) | instid1(VALU_DEP_1)
	v_and_b32_e32 v37, s55, v37
	v_and_b32_e32 v40, 1, v37
	v_lshlrev_b32_e32 v41, 30, v37
	v_lshlrev_b32_e32 v42, 29, v37
	;; [unrolled: 1-line block ×4, first 2 shown]
	v_add_co_u32 v40, s16, v40, -1
	s_delay_alu instid0(VALU_DEP_1)
	v_cndmask_b32_e64 v193, 0, 1, s16
	v_not_b32_e32 v197, v41
	v_cmp_gt_i32_e64 s16, 0, v41
	v_not_b32_e32 v41, v42
	v_lshlrev_b32_e32 v195, 26, v37
	v_cmp_ne_u32_e32 vcc_lo, 0, v193
	v_ashrrev_i32_e32 v197, 31, v197
	v_lshlrev_b32_e32 v196, 25, v37
	v_ashrrev_i32_e32 v41, 31, v41
	v_lshlrev_b32_e32 v193, 24, v37
	v_xor_b32_e32 v40, vcc_lo, v40
	v_cmp_gt_i32_e32 vcc_lo, 0, v42
	v_not_b32_e32 v42, v43
	v_xor_b32_e32 v197, s16, v197
	v_cmp_gt_i32_e64 s16, 0, v43
	v_and_b32_e32 v40, exec_lo, v40
	v_not_b32_e32 v43, v194
	v_ashrrev_i32_e32 v42, 31, v42
	v_xor_b32_e32 v41, vcc_lo, v41
	v_cmp_gt_i32_e32 vcc_lo, 0, v194
	v_and_b32_e32 v40, v40, v197
	v_not_b32_e32 v194, v195
	v_ashrrev_i32_e32 v43, 31, v43
	v_xor_b32_e32 v42, s16, v42
	v_cmp_gt_i32_e64 s16, 0, v195
	v_and_b32_e32 v40, v40, v41
	v_not_b32_e32 v41, v196
	v_ashrrev_i32_e32 v194, 31, v194
	v_xor_b32_e32 v43, vcc_lo, v43
	v_cmp_gt_i32_e32 vcc_lo, 0, v196
	v_and_b32_e32 v40, v40, v42
	v_not_b32_e32 v42, v193
	v_ashrrev_i32_e32 v41, 31, v41
	v_xor_b32_e32 v194, s16, v194
	v_mul_u32_u24_e32 v37, 9, v37
	v_and_b32_e32 v40, v40, v43
	v_cmp_gt_i32_e64 s16, 0, v193
	v_ashrrev_i32_e32 v42, 31, v42
	v_xor_b32_e32 v41, vcc_lo, v41
	v_add_lshl_u32 v43, v37, v126, 2
	v_and_b32_e32 v40, v40, v194
	s_delay_alu instid0(VALU_DEP_4) | instskip(SKIP_3) | instid1(VALU_DEP_2)
	v_xor_b32_e32 v37, s16, v42
	ds_load_b32 v194, v43 offset:1056
	v_and_b32_e32 v40, v40, v41
	v_add_nc_u32_e32 v196, 0x420, v43
	; wave barrier
	v_and_b32_e32 v37, v40, v37
	s_delay_alu instid0(VALU_DEP_1) | instskip(SKIP_1) | instid1(VALU_DEP_2)
	v_mbcnt_lo_u32_b32 v195, v37, 0
	v_cmp_ne_u32_e64 s16, 0, v37
	v_cmp_eq_u32_e32 vcc_lo, 0, v195
	s_delay_alu instid0(VALU_DEP_2) | instskip(NEXT) | instid1(SALU_CYCLE_1)
	s_and_b32 s17, s16, vcc_lo
	s_and_saveexec_b32 s16, s17
	s_cbranch_execz .LBB2057_1044
; %bb.1043:                             ;   in Loop: Header=BB2057_982 Depth=2
	s_waitcnt lgkmcnt(0)
	v_bcnt_u32_b32 v37, v37, v194
	ds_store_b32 v196, v37
.LBB2057_1044:                          ;   in Loop: Header=BB2057_982 Depth=2
	s_or_b32 exec_lo, exec_lo, s16
	v_cmp_lt_i16_e32 vcc_lo, -1, v39
	; wave barrier
	v_cndmask_b32_e64 v37, -1, 0xffff8000, vcc_lo
	s_delay_alu instid0(VALU_DEP_1) | instskip(NEXT) | instid1(VALU_DEP_1)
	v_xor_b32_e32 v193, v37, v39
	v_cmp_ne_u16_e64 vcc_lo, 0x7fff, v193
	v_cndmask_b32_e32 v37, 0xffff8000, v193, vcc_lo
	s_delay_alu instid0(VALU_DEP_1) | instskip(NEXT) | instid1(VALU_DEP_1)
	v_and_b32_e32 v37, 0xffff, v37
	v_lshrrev_b32_e32 v37, s49, v37
	s_delay_alu instid0(VALU_DEP_1) | instskip(NEXT) | instid1(VALU_DEP_1)
	v_and_b32_e32 v37, s55, v37
	v_and_b32_e32 v39, 1, v37
	v_lshlrev_b32_e32 v40, 30, v37
	v_lshlrev_b32_e32 v41, 29, v37
	v_lshlrev_b32_e32 v42, 28, v37
	v_lshlrev_b32_e32 v197, 27, v37
	v_add_co_u32 v39, s16, v39, -1
	s_delay_alu instid0(VALU_DEP_1)
	v_cndmask_b32_e64 v43, 0, 1, s16
	v_not_b32_e32 v200, v40
	v_cmp_gt_i32_e64 s16, 0, v40
	v_not_b32_e32 v40, v41
	v_lshlrev_b32_e32 v198, 26, v37
	v_cmp_ne_u32_e32 vcc_lo, 0, v43
	v_ashrrev_i32_e32 v200, 31, v200
	v_lshlrev_b32_e32 v199, 25, v37
	v_ashrrev_i32_e32 v40, 31, v40
	v_lshlrev_b32_e32 v43, 24, v37
	v_xor_b32_e32 v39, vcc_lo, v39
	v_cmp_gt_i32_e32 vcc_lo, 0, v41
	v_not_b32_e32 v41, v42
	v_xor_b32_e32 v200, s16, v200
	v_cmp_gt_i32_e64 s16, 0, v42
	v_and_b32_e32 v39, exec_lo, v39
	v_not_b32_e32 v42, v197
	v_ashrrev_i32_e32 v41, 31, v41
	v_xor_b32_e32 v40, vcc_lo, v40
	v_cmp_gt_i32_e32 vcc_lo, 0, v197
	v_and_b32_e32 v39, v39, v200
	v_not_b32_e32 v197, v198
	v_ashrrev_i32_e32 v42, 31, v42
	v_xor_b32_e32 v41, s16, v41
	v_cmp_gt_i32_e64 s16, 0, v198
	v_and_b32_e32 v39, v39, v40
	v_not_b32_e32 v40, v199
	v_ashrrev_i32_e32 v197, 31, v197
	v_xor_b32_e32 v42, vcc_lo, v42
	v_cmp_gt_i32_e32 vcc_lo, 0, v199
	v_and_b32_e32 v39, v39, v41
	v_not_b32_e32 v41, v43
	v_ashrrev_i32_e32 v40, 31, v40
	v_xor_b32_e32 v197, s16, v197
	v_mul_u32_u24_e32 v37, 9, v37
	v_and_b32_e32 v39, v39, v42
	v_cmp_gt_i32_e64 s16, 0, v43
	v_ashrrev_i32_e32 v41, 31, v41
	v_xor_b32_e32 v40, vcc_lo, v40
	v_add_lshl_u32 v42, v37, v126, 2
	v_and_b32_e32 v39, v39, v197
	s_delay_alu instid0(VALU_DEP_4) | instskip(SKIP_3) | instid1(VALU_DEP_2)
	v_xor_b32_e32 v37, s16, v41
	ds_load_b32 v198, v42 offset:1056
	v_and_b32_e32 v39, v39, v40
	v_add_nc_u32_e32 v200, 0x420, v42
	; wave barrier
	v_and_b32_e32 v37, v39, v37
	s_delay_alu instid0(VALU_DEP_1) | instskip(SKIP_1) | instid1(VALU_DEP_2)
	v_mbcnt_lo_u32_b32 v199, v37, 0
	v_cmp_ne_u32_e64 s16, 0, v37
	v_cmp_eq_u32_e32 vcc_lo, 0, v199
	s_delay_alu instid0(VALU_DEP_2) | instskip(NEXT) | instid1(SALU_CYCLE_1)
	s_and_b32 s17, s16, vcc_lo
	s_and_saveexec_b32 s16, s17
	s_cbranch_execz .LBB2057_1046
; %bb.1045:                             ;   in Loop: Header=BB2057_982 Depth=2
	s_waitcnt lgkmcnt(0)
	v_bcnt_u32_b32 v37, v37, v198
	ds_store_b32 v200, v37
.LBB2057_1046:                          ;   in Loop: Header=BB2057_982 Depth=2
	s_or_b32 exec_lo, exec_lo, s16
	v_cmp_lt_i16_e32 vcc_lo, -1, v38
	; wave barrier
	v_cndmask_b32_e64 v37, -1, 0xffff8000, vcc_lo
	s_delay_alu instid0(VALU_DEP_1) | instskip(NEXT) | instid1(VALU_DEP_1)
	v_xor_b32_e32 v197, v37, v38
	v_cmp_ne_u16_e64 vcc_lo, 0x7fff, v197
	v_cndmask_b32_e32 v37, 0xffff8000, v197, vcc_lo
	s_delay_alu instid0(VALU_DEP_1) | instskip(NEXT) | instid1(VALU_DEP_1)
	v_and_b32_e32 v37, 0xffff, v37
	v_lshrrev_b32_e32 v37, s49, v37
	s_delay_alu instid0(VALU_DEP_1) | instskip(NEXT) | instid1(VALU_DEP_1)
	v_and_b32_e32 v37, s55, v37
	v_and_b32_e32 v38, 1, v37
	v_lshlrev_b32_e32 v39, 30, v37
	v_lshlrev_b32_e32 v40, 29, v37
	v_lshlrev_b32_e32 v41, 28, v37
	v_lshlrev_b32_e32 v43, 27, v37
	v_add_co_u32 v38, s16, v38, -1
	s_delay_alu instid0(VALU_DEP_1)
	v_cndmask_b32_e64 v42, 0, 1, s16
	v_not_b32_e32 v203, v39
	v_cmp_gt_i32_e64 s16, 0, v39
	v_not_b32_e32 v39, v40
	v_lshlrev_b32_e32 v201, 26, v37
	v_cmp_ne_u32_e32 vcc_lo, 0, v42
	v_ashrrev_i32_e32 v203, 31, v203
	v_lshlrev_b32_e32 v202, 25, v37
	v_ashrrev_i32_e32 v39, 31, v39
	v_lshlrev_b32_e32 v42, 24, v37
	v_xor_b32_e32 v38, vcc_lo, v38
	v_cmp_gt_i32_e32 vcc_lo, 0, v40
	v_not_b32_e32 v40, v41
	v_xor_b32_e32 v203, s16, v203
	v_cmp_gt_i32_e64 s16, 0, v41
	v_and_b32_e32 v38, exec_lo, v38
	v_not_b32_e32 v41, v43
	v_ashrrev_i32_e32 v40, 31, v40
	v_xor_b32_e32 v39, vcc_lo, v39
	v_cmp_gt_i32_e32 vcc_lo, 0, v43
	v_and_b32_e32 v38, v38, v203
	v_not_b32_e32 v43, v201
	v_ashrrev_i32_e32 v41, 31, v41
	v_xor_b32_e32 v40, s16, v40
	v_cmp_gt_i32_e64 s16, 0, v201
	v_and_b32_e32 v38, v38, v39
	v_not_b32_e32 v39, v202
	v_ashrrev_i32_e32 v43, 31, v43
	v_xor_b32_e32 v41, vcc_lo, v41
	v_cmp_gt_i32_e32 vcc_lo, 0, v202
	v_and_b32_e32 v38, v38, v40
	v_not_b32_e32 v40, v42
	v_ashrrev_i32_e32 v39, 31, v39
	v_xor_b32_e32 v43, s16, v43
	v_mul_u32_u24_e32 v37, 9, v37
	v_and_b32_e32 v38, v38, v41
	v_cmp_gt_i32_e64 s16, 0, v42
	v_ashrrev_i32_e32 v40, 31, v40
	v_xor_b32_e32 v39, vcc_lo, v39
	v_add_lshl_u32 v41, v37, v126, 2
	v_and_b32_e32 v38, v38, v43
	s_delay_alu instid0(VALU_DEP_4) | instskip(SKIP_3) | instid1(VALU_DEP_2)
	v_xor_b32_e32 v37, s16, v40
	ds_load_b32 v202, v41 offset:1056
	v_and_b32_e32 v38, v38, v39
	v_add_nc_u32_e32 v204, 0x420, v41
	; wave barrier
	v_and_b32_e32 v37, v38, v37
	s_delay_alu instid0(VALU_DEP_1) | instskip(SKIP_1) | instid1(VALU_DEP_2)
	v_mbcnt_lo_u32_b32 v203, v37, 0
	v_cmp_ne_u32_e64 s16, 0, v37
	v_cmp_eq_u32_e32 vcc_lo, 0, v203
	s_delay_alu instid0(VALU_DEP_2) | instskip(NEXT) | instid1(SALU_CYCLE_1)
	s_and_b32 s17, s16, vcc_lo
	s_and_saveexec_b32 s16, s17
	s_cbranch_execz .LBB2057_1048
; %bb.1047:                             ;   in Loop: Header=BB2057_982 Depth=2
	s_waitcnt lgkmcnt(0)
	v_bcnt_u32_b32 v37, v37, v202
	ds_store_b32 v204, v37
.LBB2057_1048:                          ;   in Loop: Header=BB2057_982 Depth=2
	s_or_b32 exec_lo, exec_lo, s16
	v_cmp_lt_i16_e32 vcc_lo, -1, v36
	; wave barrier
	v_cndmask_b32_e64 v37, -1, 0xffff8000, vcc_lo
	s_delay_alu instid0(VALU_DEP_1) | instskip(NEXT) | instid1(VALU_DEP_1)
	v_xor_b32_e32 v201, v37, v36
	v_cmp_ne_u16_e64 vcc_lo, 0x7fff, v201
	v_cndmask_b32_e32 v36, 0xffff8000, v201, vcc_lo
	s_delay_alu instid0(VALU_DEP_1) | instskip(NEXT) | instid1(VALU_DEP_1)
	v_and_b32_e32 v36, 0xffff, v36
	v_lshrrev_b32_e32 v36, s49, v36
	s_delay_alu instid0(VALU_DEP_1) | instskip(NEXT) | instid1(VALU_DEP_1)
	v_and_b32_e32 v36, s55, v36
	v_and_b32_e32 v37, 1, v36
	v_lshlrev_b32_e32 v38, 30, v36
	v_lshlrev_b32_e32 v39, 29, v36
	;; [unrolled: 1-line block ×4, first 2 shown]
	v_add_co_u32 v37, s16, v37, -1
	s_delay_alu instid0(VALU_DEP_1)
	v_cndmask_b32_e64 v41, 0, 1, s16
	v_not_b32_e32 v206, v38
	v_cmp_gt_i32_e64 s16, 0, v38
	v_not_b32_e32 v38, v39
	v_lshlrev_b32_e32 v43, 26, v36
	v_cmp_ne_u32_e32 vcc_lo, 0, v41
	v_ashrrev_i32_e32 v206, 31, v206
	v_lshlrev_b32_e32 v205, 25, v36
	v_ashrrev_i32_e32 v38, 31, v38
	v_lshlrev_b32_e32 v41, 24, v36
	v_xor_b32_e32 v37, vcc_lo, v37
	v_cmp_gt_i32_e32 vcc_lo, 0, v39
	v_not_b32_e32 v39, v40
	v_xor_b32_e32 v206, s16, v206
	v_cmp_gt_i32_e64 s16, 0, v40
	v_and_b32_e32 v37, exec_lo, v37
	v_not_b32_e32 v40, v42
	v_ashrrev_i32_e32 v39, 31, v39
	v_xor_b32_e32 v38, vcc_lo, v38
	v_cmp_gt_i32_e32 vcc_lo, 0, v42
	v_and_b32_e32 v37, v37, v206
	v_not_b32_e32 v42, v43
	v_ashrrev_i32_e32 v40, 31, v40
	v_xor_b32_e32 v39, s16, v39
	v_cmp_gt_i32_e64 s16, 0, v43
	v_and_b32_e32 v37, v37, v38
	v_not_b32_e32 v38, v205
	v_ashrrev_i32_e32 v42, 31, v42
	v_xor_b32_e32 v40, vcc_lo, v40
	v_cmp_gt_i32_e32 vcc_lo, 0, v205
	v_and_b32_e32 v37, v37, v39
	v_not_b32_e32 v39, v41
	v_ashrrev_i32_e32 v38, 31, v38
	v_xor_b32_e32 v42, s16, v42
	v_mul_u32_u24_e32 v36, 9, v36
	v_and_b32_e32 v37, v37, v40
	v_cmp_gt_i32_e64 s16, 0, v41
	v_ashrrev_i32_e32 v39, 31, v39
	v_xor_b32_e32 v38, vcc_lo, v38
	v_add_lshl_u32 v40, v36, v126, 2
	v_and_b32_e32 v37, v37, v42
	s_delay_alu instid0(VALU_DEP_4) | instskip(SKIP_3) | instid1(VALU_DEP_2)
	v_xor_b32_e32 v36, s16, v39
	ds_load_b32 v205, v40 offset:1056
	v_and_b32_e32 v37, v37, v38
	v_add_nc_u32_e32 v207, 0x420, v40
	; wave barrier
	v_and_b32_e32 v36, v37, v36
	s_delay_alu instid0(VALU_DEP_1) | instskip(SKIP_1) | instid1(VALU_DEP_2)
	v_mbcnt_lo_u32_b32 v206, v36, 0
	v_cmp_ne_u32_e64 s16, 0, v36
	v_cmp_eq_u32_e32 vcc_lo, 0, v206
	s_delay_alu instid0(VALU_DEP_2) | instskip(NEXT) | instid1(SALU_CYCLE_1)
	s_and_b32 s17, s16, vcc_lo
	s_and_saveexec_b32 s16, s17
	s_cbranch_execz .LBB2057_1050
; %bb.1049:                             ;   in Loop: Header=BB2057_982 Depth=2
	s_waitcnt lgkmcnt(0)
	v_bcnt_u32_b32 v36, v36, v205
	ds_store_b32 v207, v36
.LBB2057_1050:                          ;   in Loop: Header=BB2057_982 Depth=2
	s_or_b32 exec_lo, exec_lo, s16
	; wave barrier
	s_waitcnt lgkmcnt(0)
	s_barrier
	buffer_gl0_inv
	ds_load_b32 v208, v69 offset:1056
	ds_load_2addr_b32 v[42:43], v71 offset0:1 offset1:2
	ds_load_2addr_b32 v[40:41], v71 offset0:3 offset1:4
	;; [unrolled: 1-line block ×4, first 2 shown]
	s_waitcnt lgkmcnt(3)
	v_add3_u32 v209, v42, v208, v43
	s_waitcnt lgkmcnt(2)
	s_delay_alu instid0(VALU_DEP_1) | instskip(SKIP_1) | instid1(VALU_DEP_1)
	v_add3_u32 v209, v209, v40, v41
	s_waitcnt lgkmcnt(1)
	v_add3_u32 v209, v209, v36, v37
	s_waitcnt lgkmcnt(0)
	s_delay_alu instid0(VALU_DEP_1) | instskip(NEXT) | instid1(VALU_DEP_1)
	v_add3_u32 v39, v209, v38, v39
	v_mov_b32_dpp v209, v39 row_shr:1 row_mask:0xf bank_mask:0xf
	s_delay_alu instid0(VALU_DEP_1) | instskip(NEXT) | instid1(VALU_DEP_1)
	v_cndmask_b32_e64 v209, v209, 0, s0
	v_add_nc_u32_e32 v39, v209, v39
	s_delay_alu instid0(VALU_DEP_1) | instskip(NEXT) | instid1(VALU_DEP_1)
	v_mov_b32_dpp v209, v39 row_shr:2 row_mask:0xf bank_mask:0xf
	v_cndmask_b32_e64 v209, 0, v209, s1
	s_delay_alu instid0(VALU_DEP_1) | instskip(NEXT) | instid1(VALU_DEP_1)
	v_add_nc_u32_e32 v39, v39, v209
	v_mov_b32_dpp v209, v39 row_shr:4 row_mask:0xf bank_mask:0xf
	s_delay_alu instid0(VALU_DEP_1) | instskip(NEXT) | instid1(VALU_DEP_1)
	v_cndmask_b32_e64 v209, 0, v209, s8
	v_add_nc_u32_e32 v39, v39, v209
	s_delay_alu instid0(VALU_DEP_1) | instskip(NEXT) | instid1(VALU_DEP_1)
	v_mov_b32_dpp v209, v39 row_shr:8 row_mask:0xf bank_mask:0xf
	v_cndmask_b32_e64 v209, 0, v209, s9
	s_delay_alu instid0(VALU_DEP_1) | instskip(SKIP_3) | instid1(VALU_DEP_1)
	v_add_nc_u32_e32 v39, v39, v209
	ds_swizzle_b32 v209, v39 offset:swizzle(BROADCAST,32,15)
	s_waitcnt lgkmcnt(0)
	v_cndmask_b32_e64 v209, v209, 0, s10
	v_add_nc_u32_e32 v39, v39, v209
	s_and_saveexec_b32 s16, s3
	s_cbranch_execz .LBB2057_1052
; %bb.1051:                             ;   in Loop: Header=BB2057_982 Depth=2
	ds_store_b32 v62, v39 offset:1024
.LBB2057_1052:                          ;   in Loop: Header=BB2057_982 Depth=2
	s_or_b32 exec_lo, exec_lo, s16
	s_waitcnt lgkmcnt(0)
	s_barrier
	buffer_gl0_inv
	s_and_saveexec_b32 s16, s4
	s_cbranch_execz .LBB2057_1054
; %bb.1053:                             ;   in Loop: Header=BB2057_982 Depth=2
	ds_load_b32 v209, v72 offset:1024
	s_waitcnt lgkmcnt(0)
	v_mov_b32_dpp v210, v209 row_shr:1 row_mask:0xf bank_mask:0xf
	s_delay_alu instid0(VALU_DEP_1) | instskip(NEXT) | instid1(VALU_DEP_1)
	v_cndmask_b32_e64 v210, v210, 0, s12
	v_add_nc_u32_e32 v209, v210, v209
	s_delay_alu instid0(VALU_DEP_1) | instskip(NEXT) | instid1(VALU_DEP_1)
	v_mov_b32_dpp v210, v209 row_shr:2 row_mask:0xf bank_mask:0xf
	v_cndmask_b32_e64 v210, 0, v210, s13
	s_delay_alu instid0(VALU_DEP_1) | instskip(NEXT) | instid1(VALU_DEP_1)
	v_add_nc_u32_e32 v209, v209, v210
	v_mov_b32_dpp v210, v209 row_shr:4 row_mask:0xf bank_mask:0xf
	s_delay_alu instid0(VALU_DEP_1) | instskip(NEXT) | instid1(VALU_DEP_1)
	v_cndmask_b32_e64 v210, 0, v210, s14
	v_add_nc_u32_e32 v209, v209, v210
	ds_store_b32 v72, v209 offset:1024
.LBB2057_1054:                          ;   in Loop: Header=BB2057_982 Depth=2
	s_or_b32 exec_lo, exec_lo, s16
	v_mov_b32_e32 v209, 0
	s_waitcnt lgkmcnt(0)
	s_barrier
	buffer_gl0_inv
	s_and_saveexec_b32 s16, s5
	s_cbranch_execz .LBB2057_1056
; %bb.1055:                             ;   in Loop: Header=BB2057_982 Depth=2
	ds_load_b32 v209, v62 offset:1020
.LBB2057_1056:                          ;   in Loop: Header=BB2057_982 Depth=2
	s_or_b32 exec_lo, exec_lo, s16
	s_waitcnt lgkmcnt(0)
	v_add_nc_u32_e32 v39, v209, v39
	ds_bpermute_b32 v39, v105, v39
	s_waitcnt lgkmcnt(0)
	v_cndmask_b32_e64 v39, v39, v209, s11
	s_delay_alu instid0(VALU_DEP_1) | instskip(NEXT) | instid1(VALU_DEP_1)
	v_cndmask_b32_e64 v39, v39, 0, s6
	v_add_nc_u32_e32 v208, v39, v208
	s_delay_alu instid0(VALU_DEP_1) | instskip(NEXT) | instid1(VALU_DEP_1)
	v_add_nc_u32_e32 v42, v208, v42
	v_add_nc_u32_e32 v43, v42, v43
	s_delay_alu instid0(VALU_DEP_1) | instskip(NEXT) | instid1(VALU_DEP_1)
	v_add_nc_u32_e32 v40, v43, v40
	;; [unrolled: 3-line block ×3, first 2 shown]
	v_add_nc_u32_e32 v37, v36, v37
	s_delay_alu instid0(VALU_DEP_1)
	v_add_nc_u32_e32 v38, v37, v38
	ds_store_b32 v69, v39 offset:1056
	ds_store_2addr_b32 v71, v208, v42 offset0:1 offset1:2
	ds_store_2addr_b32 v71, v43, v40 offset0:3 offset1:4
	;; [unrolled: 1-line block ×4, first 2 shown]
	v_mov_b32_e32 v38, 0x1000
	s_waitcnt lgkmcnt(0)
	s_barrier
	buffer_gl0_inv
	ds_load_b32 v39, v152
	ds_load_b32 v40, v156
	;; [unrolled: 1-line block ×16, first 2 shown]
	ds_load_b32 v156, v69 offset:1056
	s_and_saveexec_b32 s16, s7
	s_cbranch_execz .LBB2057_1058
; %bb.1057:                             ;   in Loop: Header=BB2057_982 Depth=2
	ds_load_b32 v38, v73 offset:1056
.LBB2057_1058:                          ;   in Loop: Header=BB2057_982 Depth=2
	s_or_b32 exec_lo, exec_lo, s16
	s_waitcnt lgkmcnt(0)
	s_barrier
	buffer_gl0_inv
	s_and_saveexec_b32 s16, s2
	s_cbranch_execz .LBB2057_1060
; %bb.1059:                             ;   in Loop: Header=BB2057_982 Depth=2
	ds_load_b32 v160, v44
	s_waitcnt lgkmcnt(0)
	v_sub_nc_u32_e32 v156, v160, v156
	ds_store_b32 v44, v156
.LBB2057_1060:                          ;   in Loop: Header=BB2057_982 Depth=2
	s_or_b32 exec_lo, exec_lo, s16
	v_add_nc_u32_e32 v168, v148, v146
	v_add3_u32 v164, v151, v150, v39
	v_add3_u32 v156, v159, v158, v41
	;; [unrolled: 1-line block ×4, first 2 shown]
	v_lshlrev_b32_e32 v158, 1, v168
	v_add3_u32 v154, v167, v166, v43
	v_add3_u32 v152, v172, v171, v152
	;; [unrolled: 1-line block ×3, first 2 shown]
	v_lshlrev_b32_e32 v36, 1, v164
	ds_store_b16 v158, v2 offset:1024
	v_lshlrev_b32_e32 v2, 1, v156
	v_add3_u32 v151, v175, v174, v173
	v_add3_u32 v41, v206, v205, v37
	v_lshlrev_b32_e32 v37, 1, v160
	v_lshlrev_b32_e32 v158, 1, v155
	v_add3_u32 v150, v179, v178, v176
	v_add3_u32 v146, v187, v186, v184
	ds_store_b16 v36, v147 offset:1024
	ds_store_b16 v37, v149 offset:1024
	v_lshlrev_b32_e32 v36, 1, v154
	ds_store_b16 v2, v153 offset:1024
	ds_store_b16 v158, v157 offset:1024
	v_lshlrev_b32_e32 v2, 1, v152
	v_add3_u32 v148, v183, v182, v180
	v_lshlrev_b32_e32 v37, 1, v151
	v_add3_u32 v42, v191, v190, v188
	v_add3_u32 v39, v199, v198, v196
	ds_store_b16 v36, v161 offset:1024
	v_lshlrev_b32_e32 v36, 1, v150
	ds_store_b16 v2, v165 offset:1024
	ds_store_b16 v37, v170 offset:1024
	v_lshlrev_b32_e32 v2, 1, v146
	v_add3_u32 v40, v195, v194, v192
	v_lshlrev_b32_e32 v147, 1, v148
	ds_store_b16 v36, v169 offset:1024
	ds_store_b16 v147, v177 offset:1024
	v_lshlrev_b32_e32 v36, 1, v42
	ds_store_b16 v2, v181 offset:1024
	v_lshlrev_b32_e32 v2, 1, v39
	v_lshlrev_b32_e32 v37, 1, v40
	;; [unrolled: 1-line block ×3, first 2 shown]
	ds_store_b16 v36, v185 offset:1024
	ds_store_b16 v37, v189 offset:1024
	v_lshlrev_b32_e32 v36, 1, v41
	ds_store_b16 v2, v193 offset:1024
	ds_store_b16 v147, v197 offset:1024
	v_cmp_lt_u32_e32 vcc_lo, v1, v145
	v_add_nc_u32_e32 v147, v72, v78
	ds_store_b16 v36, v201 offset:1024
	s_waitcnt lgkmcnt(0)
	s_barrier
	buffer_gl0_inv
	s_and_saveexec_b32 s17, vcc_lo
	s_cbranch_execz .LBB2057_1076
; %bb.1061:                             ;   in Loop: Header=BB2057_982 Depth=2
	ds_load_u16 v149, v147 offset:1024
	s_waitcnt lgkmcnt(0)
	v_cmp_ne_u16_e64 s16, 0x7fff, v149
	s_delay_alu instid0(VALU_DEP_1) | instskip(SKIP_1) | instid1(VALU_DEP_2)
	v_cndmask_b32_e64 v2, 0xffff8000, v149, s16
	v_cmp_lt_i16_e64 s16, -1, v149
	v_and_b32_e32 v2, 0xffff, v2
	s_delay_alu instid0(VALU_DEP_2) | instskip(NEXT) | instid1(VALU_DEP_2)
	v_cndmask_b32_e64 v153, 0xffff8000, -1, s16
	v_lshrrev_b32_e32 v2, s49, v2
	s_delay_alu instid0(VALU_DEP_1) | instskip(NEXT) | instid1(VALU_DEP_1)
	v_and_b32_e32 v2, s55, v2
	v_lshlrev_b32_e32 v2, 2, v2
	ds_load_b32 v2, v2
	s_waitcnt lgkmcnt(0)
	v_add_nc_u32_e32 v2, v2, v1
	s_delay_alu instid0(VALU_DEP_1) | instskip(SKIP_1) | instid1(VALU_DEP_2)
	v_lshlrev_b64 v[36:37], 1, v[2:3]
	v_xor_b32_e32 v2, v153, v149
	v_add_co_u32 v36, s16, s40, v36
	s_delay_alu instid0(VALU_DEP_1) | instskip(SKIP_3) | instid1(VALU_DEP_1)
	v_add_co_ci_u32_e64 v37, s16, s41, v37, s16
	global_store_b16 v[36:37], v2, off
	s_or_b32 exec_lo, exec_lo, s17
	v_cmp_lt_u32_e64 s16, v45, v145
	s_and_saveexec_b32 s18, s16
	s_cbranch_execnz .LBB2057_1077
.LBB2057_1062:                          ;   in Loop: Header=BB2057_982 Depth=2
	s_or_b32 exec_lo, exec_lo, s18
	v_cmp_lt_u32_e64 s17, v46, v145
	s_delay_alu instid0(VALU_DEP_1)
	s_and_saveexec_b32 s19, s17
	s_cbranch_execz .LBB2057_1078
.LBB2057_1063:                          ;   in Loop: Header=BB2057_982 Depth=2
	ds_load_u16 v149, v79 offset:1024
	s_waitcnt lgkmcnt(0)
	v_cmp_ne_u16_e64 s18, 0x7fff, v149
	s_delay_alu instid0(VALU_DEP_1) | instskip(SKIP_1) | instid1(VALU_DEP_2)
	v_cndmask_b32_e64 v2, 0xffff8000, v149, s18
	v_cmp_lt_i16_e64 s18, -1, v149
	v_and_b32_e32 v2, 0xffff, v2
	s_delay_alu instid0(VALU_DEP_2) | instskip(NEXT) | instid1(VALU_DEP_2)
	v_cndmask_b32_e64 v153, 0xffff8000, -1, s18
	v_lshrrev_b32_e32 v2, s49, v2
	s_delay_alu instid0(VALU_DEP_1) | instskip(NEXT) | instid1(VALU_DEP_1)
	v_and_b32_e32 v2, s55, v2
	v_lshlrev_b32_e32 v2, 2, v2
	ds_load_b32 v2, v2
	s_waitcnt lgkmcnt(0)
	v_add_nc_u32_e32 v2, v2, v46
	s_delay_alu instid0(VALU_DEP_1) | instskip(SKIP_1) | instid1(VALU_DEP_2)
	v_lshlrev_b64 v[36:37], 1, v[2:3]
	v_xor_b32_e32 v2, v153, v149
	v_add_co_u32 v36, s18, s40, v36
	s_delay_alu instid0(VALU_DEP_1) | instskip(SKIP_3) | instid1(VALU_DEP_1)
	v_add_co_ci_u32_e64 v37, s18, s41, v37, s18
	global_store_b16 v[36:37], v2, off
	s_or_b32 exec_lo, exec_lo, s19
	v_cmp_lt_u32_e64 s18, v47, v145
	s_and_saveexec_b32 s20, s18
	s_cbranch_execnz .LBB2057_1079
.LBB2057_1064:                          ;   in Loop: Header=BB2057_982 Depth=2
	s_or_b32 exec_lo, exec_lo, s20
	v_cmp_lt_u32_e64 s19, v51, v145
	s_delay_alu instid0(VALU_DEP_1)
	s_and_saveexec_b32 s21, s19
	s_cbranch_execz .LBB2057_1080
.LBB2057_1065:                          ;   in Loop: Header=BB2057_982 Depth=2
	ds_load_u16 v149, v79 offset:2048
	s_waitcnt lgkmcnt(0)
	v_cmp_ne_u16_e64 s20, 0x7fff, v149
	s_delay_alu instid0(VALU_DEP_1) | instskip(SKIP_1) | instid1(VALU_DEP_2)
	v_cndmask_b32_e64 v2, 0xffff8000, v149, s20
	v_cmp_lt_i16_e64 s20, -1, v149
	v_and_b32_e32 v2, 0xffff, v2
	s_delay_alu instid0(VALU_DEP_2) | instskip(NEXT) | instid1(VALU_DEP_2)
	v_cndmask_b32_e64 v153, 0xffff8000, -1, s20
	v_lshrrev_b32_e32 v2, s49, v2
	s_delay_alu instid0(VALU_DEP_1) | instskip(NEXT) | instid1(VALU_DEP_1)
	v_and_b32_e32 v2, s55, v2
	v_lshlrev_b32_e32 v2, 2, v2
	ds_load_b32 v2, v2
	s_waitcnt lgkmcnt(0)
	v_add_nc_u32_e32 v2, v2, v51
	s_delay_alu instid0(VALU_DEP_1) | instskip(SKIP_1) | instid1(VALU_DEP_2)
	v_lshlrev_b64 v[36:37], 1, v[2:3]
	v_xor_b32_e32 v2, v153, v149
	v_add_co_u32 v36, s20, s40, v36
	s_delay_alu instid0(VALU_DEP_1) | instskip(SKIP_3) | instid1(VALU_DEP_1)
	v_add_co_ci_u32_e64 v37, s20, s41, v37, s20
	global_store_b16 v[36:37], v2, off
	s_or_b32 exec_lo, exec_lo, s21
	v_cmp_lt_u32_e64 s20, v52, v145
	s_and_saveexec_b32 s22, s20
	s_cbranch_execnz .LBB2057_1081
.LBB2057_1066:                          ;   in Loop: Header=BB2057_982 Depth=2
	s_or_b32 exec_lo, exec_lo, s22
	v_cmp_lt_u32_e64 s21, v53, v145
	s_delay_alu instid0(VALU_DEP_1)
	s_and_saveexec_b32 s23, s21
	s_cbranch_execz .LBB2057_1082
.LBB2057_1067:                          ;   in Loop: Header=BB2057_982 Depth=2
	ds_load_u16 v149, v79 offset:3072
	s_waitcnt lgkmcnt(0)
	v_cmp_ne_u16_e64 s22, 0x7fff, v149
	s_delay_alu instid0(VALU_DEP_1) | instskip(SKIP_1) | instid1(VALU_DEP_2)
	v_cndmask_b32_e64 v2, 0xffff8000, v149, s22
	v_cmp_lt_i16_e64 s22, -1, v149
	v_and_b32_e32 v2, 0xffff, v2
	s_delay_alu instid0(VALU_DEP_2) | instskip(NEXT) | instid1(VALU_DEP_2)
	v_cndmask_b32_e64 v153, 0xffff8000, -1, s22
	v_lshrrev_b32_e32 v2, s49, v2
	s_delay_alu instid0(VALU_DEP_1) | instskip(NEXT) | instid1(VALU_DEP_1)
	v_and_b32_e32 v2, s55, v2
	v_lshlrev_b32_e32 v2, 2, v2
	ds_load_b32 v2, v2
	s_waitcnt lgkmcnt(0)
	v_add_nc_u32_e32 v2, v2, v53
	s_delay_alu instid0(VALU_DEP_1) | instskip(SKIP_1) | instid1(VALU_DEP_2)
	v_lshlrev_b64 v[36:37], 1, v[2:3]
	v_xor_b32_e32 v2, v153, v149
	v_add_co_u32 v36, s22, s40, v36
	s_delay_alu instid0(VALU_DEP_1) | instskip(SKIP_3) | instid1(VALU_DEP_1)
	v_add_co_ci_u32_e64 v37, s22, s41, v37, s22
	global_store_b16 v[36:37], v2, off
	s_or_b32 exec_lo, exec_lo, s23
	v_cmp_lt_u32_e64 s22, v54, v145
	s_and_saveexec_b32 s24, s22
	s_cbranch_execnz .LBB2057_1083
.LBB2057_1068:                          ;   in Loop: Header=BB2057_982 Depth=2
	s_or_b32 exec_lo, exec_lo, s24
	v_cmp_lt_u32_e64 s23, v55, v145
	s_delay_alu instid0(VALU_DEP_1)
	s_and_saveexec_b32 s25, s23
	s_cbranch_execz .LBB2057_1084
.LBB2057_1069:                          ;   in Loop: Header=BB2057_982 Depth=2
	ds_load_u16 v149, v79 offset:4096
	s_waitcnt lgkmcnt(0)
	v_cmp_ne_u16_e64 s24, 0x7fff, v149
	s_delay_alu instid0(VALU_DEP_1) | instskip(SKIP_1) | instid1(VALU_DEP_2)
	v_cndmask_b32_e64 v2, 0xffff8000, v149, s24
	v_cmp_lt_i16_e64 s24, -1, v149
	v_and_b32_e32 v2, 0xffff, v2
	s_delay_alu instid0(VALU_DEP_2) | instskip(NEXT) | instid1(VALU_DEP_2)
	v_cndmask_b32_e64 v153, 0xffff8000, -1, s24
	v_lshrrev_b32_e32 v2, s49, v2
	s_delay_alu instid0(VALU_DEP_1) | instskip(NEXT) | instid1(VALU_DEP_1)
	v_and_b32_e32 v2, s55, v2
	v_lshlrev_b32_e32 v2, 2, v2
	ds_load_b32 v2, v2
	s_waitcnt lgkmcnt(0)
	v_add_nc_u32_e32 v2, v2, v55
	s_delay_alu instid0(VALU_DEP_1) | instskip(SKIP_1) | instid1(VALU_DEP_2)
	v_lshlrev_b64 v[36:37], 1, v[2:3]
	v_xor_b32_e32 v2, v153, v149
	v_add_co_u32 v36, s24, s40, v36
	s_delay_alu instid0(VALU_DEP_1) | instskip(SKIP_3) | instid1(VALU_DEP_1)
	v_add_co_ci_u32_e64 v37, s24, s41, v37, s24
	global_store_b16 v[36:37], v2, off
	s_or_b32 exec_lo, exec_lo, s25
	v_cmp_lt_u32_e64 s24, v56, v145
	s_and_saveexec_b32 s27, s24
	s_cbranch_execnz .LBB2057_1085
.LBB2057_1070:                          ;   in Loop: Header=BB2057_982 Depth=2
	s_or_b32 exec_lo, exec_lo, s27
	v_cmp_lt_u32_e64 s25, v57, v145
	s_delay_alu instid0(VALU_DEP_1)
	s_and_saveexec_b32 s28, s25
	s_cbranch_execz .LBB2057_1086
.LBB2057_1071:                          ;   in Loop: Header=BB2057_982 Depth=2
	ds_load_u16 v149, v79 offset:5120
	s_waitcnt lgkmcnt(0)
	v_cmp_ne_u16_e64 s27, 0x7fff, v149
	s_delay_alu instid0(VALU_DEP_1) | instskip(SKIP_1) | instid1(VALU_DEP_2)
	v_cndmask_b32_e64 v2, 0xffff8000, v149, s27
	v_cmp_lt_i16_e64 s27, -1, v149
	v_and_b32_e32 v2, 0xffff, v2
	s_delay_alu instid0(VALU_DEP_2) | instskip(NEXT) | instid1(VALU_DEP_2)
	v_cndmask_b32_e64 v153, 0xffff8000, -1, s27
	v_lshrrev_b32_e32 v2, s49, v2
	s_delay_alu instid0(VALU_DEP_1) | instskip(NEXT) | instid1(VALU_DEP_1)
	v_and_b32_e32 v2, s55, v2
	v_lshlrev_b32_e32 v2, 2, v2
	ds_load_b32 v2, v2
	s_waitcnt lgkmcnt(0)
	v_add_nc_u32_e32 v2, v2, v57
	s_delay_alu instid0(VALU_DEP_1) | instskip(SKIP_1) | instid1(VALU_DEP_2)
	v_lshlrev_b64 v[36:37], 1, v[2:3]
	v_xor_b32_e32 v2, v153, v149
	v_add_co_u32 v36, s27, s40, v36
	s_delay_alu instid0(VALU_DEP_1) | instskip(SKIP_3) | instid1(VALU_DEP_1)
	v_add_co_ci_u32_e64 v37, s27, s41, v37, s27
	global_store_b16 v[36:37], v2, off
	s_or_b32 exec_lo, exec_lo, s28
	v_cmp_lt_u32_e64 s27, v58, v145
	s_and_saveexec_b32 s29, s27
	s_cbranch_execnz .LBB2057_1087
.LBB2057_1072:                          ;   in Loop: Header=BB2057_982 Depth=2
	s_or_b32 exec_lo, exec_lo, s29
	v_cmp_lt_u32_e64 s28, v59, v145
	s_delay_alu instid0(VALU_DEP_1)
	s_and_saveexec_b32 s30, s28
	s_cbranch_execz .LBB2057_1088
.LBB2057_1073:                          ;   in Loop: Header=BB2057_982 Depth=2
	ds_load_u16 v149, v79 offset:6144
	s_waitcnt lgkmcnt(0)
	v_cmp_ne_u16_e64 s29, 0x7fff, v149
	s_delay_alu instid0(VALU_DEP_1) | instskip(SKIP_1) | instid1(VALU_DEP_2)
	v_cndmask_b32_e64 v2, 0xffff8000, v149, s29
	v_cmp_lt_i16_e64 s29, -1, v149
	v_and_b32_e32 v2, 0xffff, v2
	s_delay_alu instid0(VALU_DEP_2) | instskip(NEXT) | instid1(VALU_DEP_2)
	v_cndmask_b32_e64 v153, 0xffff8000, -1, s29
	v_lshrrev_b32_e32 v2, s49, v2
	s_delay_alu instid0(VALU_DEP_1) | instskip(NEXT) | instid1(VALU_DEP_1)
	v_and_b32_e32 v2, s55, v2
	v_lshlrev_b32_e32 v2, 2, v2
	ds_load_b32 v2, v2
	s_waitcnt lgkmcnt(0)
	v_add_nc_u32_e32 v2, v2, v59
	s_delay_alu instid0(VALU_DEP_1) | instskip(SKIP_1) | instid1(VALU_DEP_2)
	v_lshlrev_b64 v[36:37], 1, v[2:3]
	v_xor_b32_e32 v2, v153, v149
	v_add_co_u32 v36, s29, s40, v36
	s_delay_alu instid0(VALU_DEP_1) | instskip(SKIP_3) | instid1(VALU_DEP_1)
	v_add_co_ci_u32_e64 v37, s29, s41, v37, s29
	global_store_b16 v[36:37], v2, off
	s_or_b32 exec_lo, exec_lo, s30
	v_cmp_lt_u32_e64 s29, v60, v145
	s_and_saveexec_b32 s31, s29
	s_cbranch_execnz .LBB2057_1089
.LBB2057_1074:                          ;   in Loop: Header=BB2057_982 Depth=2
	s_or_b32 exec_lo, exec_lo, s31
	v_cmp_lt_u32_e64 s30, v61, v145
	s_delay_alu instid0(VALU_DEP_1)
	s_and_saveexec_b32 s33, s30
	s_cbranch_execz .LBB2057_1090
.LBB2057_1075:                          ;   in Loop: Header=BB2057_982 Depth=2
	ds_load_u16 v149, v79 offset:7168
	s_waitcnt lgkmcnt(0)
	v_cmp_ne_u16_e64 s31, 0x7fff, v149
	s_delay_alu instid0(VALU_DEP_1) | instskip(SKIP_1) | instid1(VALU_DEP_2)
	v_cndmask_b32_e64 v2, 0xffff8000, v149, s31
	v_cmp_lt_i16_e64 s31, -1, v149
	v_and_b32_e32 v2, 0xffff, v2
	s_delay_alu instid0(VALU_DEP_2) | instskip(NEXT) | instid1(VALU_DEP_2)
	v_cndmask_b32_e64 v153, 0xffff8000, -1, s31
	v_lshrrev_b32_e32 v2, s49, v2
	s_delay_alu instid0(VALU_DEP_1) | instskip(NEXT) | instid1(VALU_DEP_1)
	v_and_b32_e32 v2, s55, v2
	v_lshlrev_b32_e32 v2, 2, v2
	ds_load_b32 v2, v2
	s_waitcnt lgkmcnt(0)
	v_add_nc_u32_e32 v2, v2, v61
	s_delay_alu instid0(VALU_DEP_1) | instskip(SKIP_1) | instid1(VALU_DEP_2)
	v_lshlrev_b64 v[36:37], 1, v[2:3]
	v_xor_b32_e32 v2, v153, v149
	v_add_co_u32 v36, s31, s40, v36
	s_delay_alu instid0(VALU_DEP_1) | instskip(SKIP_3) | instid1(VALU_DEP_1)
	v_add_co_ci_u32_e64 v37, s31, s41, v37, s31
	global_store_b16 v[36:37], v2, off
	s_or_b32 exec_lo, exec_lo, s33
	v_cmp_lt_u32_e64 s31, v63, v145
	s_and_saveexec_b32 s58, s31
	s_cbranch_execnz .LBB2057_1091
	s_branch .LBB2057_1092
.LBB2057_1076:                          ;   in Loop: Header=BB2057_982 Depth=2
	s_or_b32 exec_lo, exec_lo, s17
	v_cmp_lt_u32_e64 s16, v45, v145
	s_delay_alu instid0(VALU_DEP_1)
	s_and_saveexec_b32 s18, s16
	s_cbranch_execz .LBB2057_1062
.LBB2057_1077:                          ;   in Loop: Header=BB2057_982 Depth=2
	ds_load_u16 v149, v79 offset:512
	s_waitcnt lgkmcnt(0)
	v_cmp_ne_u16_e64 s17, 0x7fff, v149
	s_delay_alu instid0(VALU_DEP_1) | instskip(SKIP_1) | instid1(VALU_DEP_2)
	v_cndmask_b32_e64 v2, 0xffff8000, v149, s17
	v_cmp_lt_i16_e64 s17, -1, v149
	v_and_b32_e32 v2, 0xffff, v2
	s_delay_alu instid0(VALU_DEP_2) | instskip(NEXT) | instid1(VALU_DEP_2)
	v_cndmask_b32_e64 v153, 0xffff8000, -1, s17
	v_lshrrev_b32_e32 v2, s49, v2
	s_delay_alu instid0(VALU_DEP_1) | instskip(NEXT) | instid1(VALU_DEP_1)
	v_and_b32_e32 v2, s55, v2
	v_lshlrev_b32_e32 v2, 2, v2
	ds_load_b32 v2, v2
	s_waitcnt lgkmcnt(0)
	v_add_nc_u32_e32 v2, v2, v45
	s_delay_alu instid0(VALU_DEP_1) | instskip(SKIP_1) | instid1(VALU_DEP_2)
	v_lshlrev_b64 v[36:37], 1, v[2:3]
	v_xor_b32_e32 v2, v153, v149
	v_add_co_u32 v36, s17, s40, v36
	s_delay_alu instid0(VALU_DEP_1) | instskip(SKIP_3) | instid1(VALU_DEP_1)
	v_add_co_ci_u32_e64 v37, s17, s41, v37, s17
	global_store_b16 v[36:37], v2, off
	s_or_b32 exec_lo, exec_lo, s18
	v_cmp_lt_u32_e64 s17, v46, v145
	s_and_saveexec_b32 s19, s17
	s_cbranch_execnz .LBB2057_1063
.LBB2057_1078:                          ;   in Loop: Header=BB2057_982 Depth=2
	s_or_b32 exec_lo, exec_lo, s19
	v_cmp_lt_u32_e64 s18, v47, v145
	s_delay_alu instid0(VALU_DEP_1)
	s_and_saveexec_b32 s20, s18
	s_cbranch_execz .LBB2057_1064
.LBB2057_1079:                          ;   in Loop: Header=BB2057_982 Depth=2
	ds_load_u16 v149, v79 offset:1536
	s_waitcnt lgkmcnt(0)
	v_cmp_ne_u16_e64 s19, 0x7fff, v149
	s_delay_alu instid0(VALU_DEP_1) | instskip(SKIP_1) | instid1(VALU_DEP_2)
	v_cndmask_b32_e64 v2, 0xffff8000, v149, s19
	v_cmp_lt_i16_e64 s19, -1, v149
	v_and_b32_e32 v2, 0xffff, v2
	s_delay_alu instid0(VALU_DEP_2) | instskip(NEXT) | instid1(VALU_DEP_2)
	v_cndmask_b32_e64 v153, 0xffff8000, -1, s19
	v_lshrrev_b32_e32 v2, s49, v2
	s_delay_alu instid0(VALU_DEP_1) | instskip(NEXT) | instid1(VALU_DEP_1)
	v_and_b32_e32 v2, s55, v2
	v_lshlrev_b32_e32 v2, 2, v2
	ds_load_b32 v2, v2
	s_waitcnt lgkmcnt(0)
	v_add_nc_u32_e32 v2, v2, v47
	s_delay_alu instid0(VALU_DEP_1) | instskip(SKIP_1) | instid1(VALU_DEP_2)
	v_lshlrev_b64 v[36:37], 1, v[2:3]
	v_xor_b32_e32 v2, v153, v149
	v_add_co_u32 v36, s19, s40, v36
	s_delay_alu instid0(VALU_DEP_1) | instskip(SKIP_3) | instid1(VALU_DEP_1)
	v_add_co_ci_u32_e64 v37, s19, s41, v37, s19
	global_store_b16 v[36:37], v2, off
	s_or_b32 exec_lo, exec_lo, s20
	v_cmp_lt_u32_e64 s19, v51, v145
	s_and_saveexec_b32 s21, s19
	s_cbranch_execnz .LBB2057_1065
.LBB2057_1080:                          ;   in Loop: Header=BB2057_982 Depth=2
	s_or_b32 exec_lo, exec_lo, s21
	v_cmp_lt_u32_e64 s20, v52, v145
	s_delay_alu instid0(VALU_DEP_1)
	s_and_saveexec_b32 s22, s20
	s_cbranch_execz .LBB2057_1066
.LBB2057_1081:                          ;   in Loop: Header=BB2057_982 Depth=2
	ds_load_u16 v149, v79 offset:2560
	s_waitcnt lgkmcnt(0)
	v_cmp_ne_u16_e64 s21, 0x7fff, v149
	s_delay_alu instid0(VALU_DEP_1) | instskip(SKIP_1) | instid1(VALU_DEP_2)
	v_cndmask_b32_e64 v2, 0xffff8000, v149, s21
	v_cmp_lt_i16_e64 s21, -1, v149
	v_and_b32_e32 v2, 0xffff, v2
	s_delay_alu instid0(VALU_DEP_2) | instskip(NEXT) | instid1(VALU_DEP_2)
	v_cndmask_b32_e64 v153, 0xffff8000, -1, s21
	v_lshrrev_b32_e32 v2, s49, v2
	s_delay_alu instid0(VALU_DEP_1) | instskip(NEXT) | instid1(VALU_DEP_1)
	v_and_b32_e32 v2, s55, v2
	v_lshlrev_b32_e32 v2, 2, v2
	ds_load_b32 v2, v2
	s_waitcnt lgkmcnt(0)
	v_add_nc_u32_e32 v2, v2, v52
	s_delay_alu instid0(VALU_DEP_1) | instskip(SKIP_1) | instid1(VALU_DEP_2)
	v_lshlrev_b64 v[36:37], 1, v[2:3]
	v_xor_b32_e32 v2, v153, v149
	v_add_co_u32 v36, s21, s40, v36
	s_delay_alu instid0(VALU_DEP_1) | instskip(SKIP_3) | instid1(VALU_DEP_1)
	v_add_co_ci_u32_e64 v37, s21, s41, v37, s21
	global_store_b16 v[36:37], v2, off
	s_or_b32 exec_lo, exec_lo, s22
	v_cmp_lt_u32_e64 s21, v53, v145
	s_and_saveexec_b32 s23, s21
	s_cbranch_execnz .LBB2057_1067
.LBB2057_1082:                          ;   in Loop: Header=BB2057_982 Depth=2
	s_or_b32 exec_lo, exec_lo, s23
	v_cmp_lt_u32_e64 s22, v54, v145
	s_delay_alu instid0(VALU_DEP_1)
	s_and_saveexec_b32 s24, s22
	s_cbranch_execz .LBB2057_1068
.LBB2057_1083:                          ;   in Loop: Header=BB2057_982 Depth=2
	ds_load_u16 v149, v79 offset:3584
	s_waitcnt lgkmcnt(0)
	v_cmp_ne_u16_e64 s23, 0x7fff, v149
	s_delay_alu instid0(VALU_DEP_1) | instskip(SKIP_1) | instid1(VALU_DEP_2)
	v_cndmask_b32_e64 v2, 0xffff8000, v149, s23
	v_cmp_lt_i16_e64 s23, -1, v149
	v_and_b32_e32 v2, 0xffff, v2
	s_delay_alu instid0(VALU_DEP_2) | instskip(NEXT) | instid1(VALU_DEP_2)
	v_cndmask_b32_e64 v153, 0xffff8000, -1, s23
	v_lshrrev_b32_e32 v2, s49, v2
	s_delay_alu instid0(VALU_DEP_1) | instskip(NEXT) | instid1(VALU_DEP_1)
	v_and_b32_e32 v2, s55, v2
	v_lshlrev_b32_e32 v2, 2, v2
	ds_load_b32 v2, v2
	s_waitcnt lgkmcnt(0)
	v_add_nc_u32_e32 v2, v2, v54
	s_delay_alu instid0(VALU_DEP_1) | instskip(SKIP_1) | instid1(VALU_DEP_2)
	v_lshlrev_b64 v[36:37], 1, v[2:3]
	v_xor_b32_e32 v2, v153, v149
	v_add_co_u32 v36, s23, s40, v36
	s_delay_alu instid0(VALU_DEP_1) | instskip(SKIP_3) | instid1(VALU_DEP_1)
	v_add_co_ci_u32_e64 v37, s23, s41, v37, s23
	global_store_b16 v[36:37], v2, off
	s_or_b32 exec_lo, exec_lo, s24
	v_cmp_lt_u32_e64 s23, v55, v145
	s_and_saveexec_b32 s25, s23
	s_cbranch_execnz .LBB2057_1069
.LBB2057_1084:                          ;   in Loop: Header=BB2057_982 Depth=2
	s_or_b32 exec_lo, exec_lo, s25
	v_cmp_lt_u32_e64 s24, v56, v145
	s_delay_alu instid0(VALU_DEP_1)
	s_and_saveexec_b32 s27, s24
	s_cbranch_execz .LBB2057_1070
.LBB2057_1085:                          ;   in Loop: Header=BB2057_982 Depth=2
	ds_load_u16 v149, v79 offset:4608
	s_waitcnt lgkmcnt(0)
	v_cmp_ne_u16_e64 s25, 0x7fff, v149
	s_delay_alu instid0(VALU_DEP_1) | instskip(SKIP_1) | instid1(VALU_DEP_2)
	v_cndmask_b32_e64 v2, 0xffff8000, v149, s25
	v_cmp_lt_i16_e64 s25, -1, v149
	v_and_b32_e32 v2, 0xffff, v2
	s_delay_alu instid0(VALU_DEP_2) | instskip(NEXT) | instid1(VALU_DEP_2)
	v_cndmask_b32_e64 v153, 0xffff8000, -1, s25
	v_lshrrev_b32_e32 v2, s49, v2
	s_delay_alu instid0(VALU_DEP_1) | instskip(NEXT) | instid1(VALU_DEP_1)
	v_and_b32_e32 v2, s55, v2
	v_lshlrev_b32_e32 v2, 2, v2
	ds_load_b32 v2, v2
	s_waitcnt lgkmcnt(0)
	v_add_nc_u32_e32 v2, v2, v56
	s_delay_alu instid0(VALU_DEP_1) | instskip(SKIP_1) | instid1(VALU_DEP_2)
	v_lshlrev_b64 v[36:37], 1, v[2:3]
	v_xor_b32_e32 v2, v153, v149
	v_add_co_u32 v36, s25, s40, v36
	s_delay_alu instid0(VALU_DEP_1) | instskip(SKIP_3) | instid1(VALU_DEP_1)
	v_add_co_ci_u32_e64 v37, s25, s41, v37, s25
	global_store_b16 v[36:37], v2, off
	s_or_b32 exec_lo, exec_lo, s27
	v_cmp_lt_u32_e64 s25, v57, v145
	s_and_saveexec_b32 s28, s25
	s_cbranch_execnz .LBB2057_1071
.LBB2057_1086:                          ;   in Loop: Header=BB2057_982 Depth=2
	s_or_b32 exec_lo, exec_lo, s28
	v_cmp_lt_u32_e64 s27, v58, v145
	s_delay_alu instid0(VALU_DEP_1)
	s_and_saveexec_b32 s29, s27
	s_cbranch_execz .LBB2057_1072
.LBB2057_1087:                          ;   in Loop: Header=BB2057_982 Depth=2
	ds_load_u16 v149, v79 offset:5632
	s_waitcnt lgkmcnt(0)
	v_cmp_ne_u16_e64 s28, 0x7fff, v149
	s_delay_alu instid0(VALU_DEP_1) | instskip(SKIP_1) | instid1(VALU_DEP_2)
	v_cndmask_b32_e64 v2, 0xffff8000, v149, s28
	v_cmp_lt_i16_e64 s28, -1, v149
	v_and_b32_e32 v2, 0xffff, v2
	s_delay_alu instid0(VALU_DEP_2) | instskip(NEXT) | instid1(VALU_DEP_2)
	v_cndmask_b32_e64 v153, 0xffff8000, -1, s28
	v_lshrrev_b32_e32 v2, s49, v2
	s_delay_alu instid0(VALU_DEP_1) | instskip(NEXT) | instid1(VALU_DEP_1)
	v_and_b32_e32 v2, s55, v2
	v_lshlrev_b32_e32 v2, 2, v2
	ds_load_b32 v2, v2
	s_waitcnt lgkmcnt(0)
	v_add_nc_u32_e32 v2, v2, v58
	s_delay_alu instid0(VALU_DEP_1) | instskip(SKIP_1) | instid1(VALU_DEP_2)
	v_lshlrev_b64 v[36:37], 1, v[2:3]
	v_xor_b32_e32 v2, v153, v149
	v_add_co_u32 v36, s28, s40, v36
	s_delay_alu instid0(VALU_DEP_1) | instskip(SKIP_3) | instid1(VALU_DEP_1)
	v_add_co_ci_u32_e64 v37, s28, s41, v37, s28
	global_store_b16 v[36:37], v2, off
	s_or_b32 exec_lo, exec_lo, s29
	v_cmp_lt_u32_e64 s28, v59, v145
	s_and_saveexec_b32 s30, s28
	s_cbranch_execnz .LBB2057_1073
.LBB2057_1088:                          ;   in Loop: Header=BB2057_982 Depth=2
	s_or_b32 exec_lo, exec_lo, s30
	v_cmp_lt_u32_e64 s29, v60, v145
	s_delay_alu instid0(VALU_DEP_1)
	s_and_saveexec_b32 s31, s29
	s_cbranch_execz .LBB2057_1074
.LBB2057_1089:                          ;   in Loop: Header=BB2057_982 Depth=2
	ds_load_u16 v149, v79 offset:6656
	s_waitcnt lgkmcnt(0)
	v_cmp_ne_u16_e64 s30, 0x7fff, v149
	s_delay_alu instid0(VALU_DEP_1) | instskip(SKIP_1) | instid1(VALU_DEP_2)
	v_cndmask_b32_e64 v2, 0xffff8000, v149, s30
	v_cmp_lt_i16_e64 s30, -1, v149
	v_and_b32_e32 v2, 0xffff, v2
	s_delay_alu instid0(VALU_DEP_2) | instskip(NEXT) | instid1(VALU_DEP_2)
	v_cndmask_b32_e64 v153, 0xffff8000, -1, s30
	v_lshrrev_b32_e32 v2, s49, v2
	s_delay_alu instid0(VALU_DEP_1) | instskip(NEXT) | instid1(VALU_DEP_1)
	v_and_b32_e32 v2, s55, v2
	v_lshlrev_b32_e32 v2, 2, v2
	ds_load_b32 v2, v2
	s_waitcnt lgkmcnt(0)
	v_add_nc_u32_e32 v2, v2, v60
	s_delay_alu instid0(VALU_DEP_1) | instskip(SKIP_1) | instid1(VALU_DEP_2)
	v_lshlrev_b64 v[36:37], 1, v[2:3]
	v_xor_b32_e32 v2, v153, v149
	v_add_co_u32 v36, s30, s40, v36
	s_delay_alu instid0(VALU_DEP_1) | instskip(SKIP_3) | instid1(VALU_DEP_1)
	v_add_co_ci_u32_e64 v37, s30, s41, v37, s30
	global_store_b16 v[36:37], v2, off
	s_or_b32 exec_lo, exec_lo, s31
	v_cmp_lt_u32_e64 s30, v61, v145
	s_and_saveexec_b32 s33, s30
	s_cbranch_execnz .LBB2057_1075
.LBB2057_1090:                          ;   in Loop: Header=BB2057_982 Depth=2
	s_or_b32 exec_lo, exec_lo, s33
	v_cmp_lt_u32_e64 s31, v63, v145
	s_delay_alu instid0(VALU_DEP_1)
	s_and_saveexec_b32 s58, s31
	s_cbranch_execz .LBB2057_1092
.LBB2057_1091:                          ;   in Loop: Header=BB2057_982 Depth=2
	ds_load_u16 v149, v79 offset:7680
	s_waitcnt lgkmcnt(0)
	v_cmp_ne_u16_e64 s33, 0x7fff, v149
	s_delay_alu instid0(VALU_DEP_1) | instskip(SKIP_1) | instid1(VALU_DEP_2)
	v_cndmask_b32_e64 v2, 0xffff8000, v149, s33
	v_cmp_lt_i16_e64 s33, -1, v149
	v_and_b32_e32 v2, 0xffff, v2
	s_delay_alu instid0(VALU_DEP_2) | instskip(NEXT) | instid1(VALU_DEP_2)
	v_cndmask_b32_e64 v153, 0xffff8000, -1, s33
	v_lshrrev_b32_e32 v2, s49, v2
	s_delay_alu instid0(VALU_DEP_1) | instskip(NEXT) | instid1(VALU_DEP_1)
	v_and_b32_e32 v2, s55, v2
	v_lshlrev_b32_e32 v2, 2, v2
	ds_load_b32 v2, v2
	s_waitcnt lgkmcnt(0)
	v_add_nc_u32_e32 v2, v2, v63
	s_delay_alu instid0(VALU_DEP_1) | instskip(SKIP_1) | instid1(VALU_DEP_2)
	v_lshlrev_b64 v[36:37], 1, v[2:3]
	v_xor_b32_e32 v2, v153, v149
	v_add_co_u32 v36, s33, s40, v36
	s_delay_alu instid0(VALU_DEP_1)
	v_add_co_ci_u32_e64 v37, s33, s41, v37, s33
	global_store_b16 v[36:37], v2, off
.LBB2057_1092:                          ;   in Loop: Header=BB2057_982 Depth=2
	s_or_b32 exec_lo, exec_lo, s58
	s_lshl_b64 s[58:59], s[34:35], 3
	s_delay_alu instid0(SALU_CYCLE_1) | instskip(NEXT) | instid1(VALU_DEP_1)
	v_add_co_u32 v36, s33, v107, s58
	v_add_co_ci_u32_e64 v37, s33, s59, v108, s33
	v_cmp_lt_u32_e64 s33, v106, v145
	s_delay_alu instid0(VALU_DEP_1) | instskip(NEXT) | instid1(SALU_CYCLE_1)
	s_and_saveexec_b32 s34, s33
	s_xor_b32 s33, exec_lo, s34
	s_cbranch_execz .LBB2057_1124
; %bb.1093:                             ;   in Loop: Header=BB2057_982 Depth=2
	global_load_b64 v[34:35], v[36:37], off
	s_or_b32 exec_lo, exec_lo, s33
	s_delay_alu instid0(SALU_CYCLE_1)
	s_mov_b32 s34, exec_lo
	v_cmpx_lt_u32_e64 v109, v145
	s_cbranch_execnz .LBB2057_1125
.LBB2057_1094:                          ;   in Loop: Header=BB2057_982 Depth=2
	s_or_b32 exec_lo, exec_lo, s34
	s_delay_alu instid0(SALU_CYCLE_1)
	s_mov_b32 s34, exec_lo
	v_cmpx_lt_u32_e64 v110, v145
	s_cbranch_execz .LBB2057_1126
.LBB2057_1095:                          ;   in Loop: Header=BB2057_982 Depth=2
	global_load_b64 v[30:31], v[36:37], off offset:512
	s_or_b32 exec_lo, exec_lo, s34
	s_delay_alu instid0(SALU_CYCLE_1)
	s_mov_b32 s34, exec_lo
	v_cmpx_lt_u32_e64 v111, v145
	s_cbranch_execnz .LBB2057_1127
.LBB2057_1096:                          ;   in Loop: Header=BB2057_982 Depth=2
	s_or_b32 exec_lo, exec_lo, s34
	s_delay_alu instid0(SALU_CYCLE_1)
	s_mov_b32 s34, exec_lo
	v_cmpx_lt_u32_e64 v112, v145
	s_cbranch_execz .LBB2057_1128
.LBB2057_1097:                          ;   in Loop: Header=BB2057_982 Depth=2
	global_load_b64 v[26:27], v[36:37], off offset:1024
	s_or_b32 exec_lo, exec_lo, s34
	s_delay_alu instid0(SALU_CYCLE_1)
	s_mov_b32 s34, exec_lo
	v_cmpx_lt_u32_e64 v113, v145
	s_cbranch_execnz .LBB2057_1129
.LBB2057_1098:                          ;   in Loop: Header=BB2057_982 Depth=2
	s_or_b32 exec_lo, exec_lo, s34
	s_delay_alu instid0(SALU_CYCLE_1)
	s_mov_b32 s34, exec_lo
	v_cmpx_lt_u32_e64 v114, v145
	s_cbranch_execz .LBB2057_1130
.LBB2057_1099:                          ;   in Loop: Header=BB2057_982 Depth=2
	global_load_b64 v[22:23], v[36:37], off offset:1536
	s_or_b32 exec_lo, exec_lo, s34
	s_delay_alu instid0(SALU_CYCLE_1)
	s_mov_b32 s34, exec_lo
	v_cmpx_lt_u32_e64 v115, v145
	s_cbranch_execnz .LBB2057_1131
.LBB2057_1100:                          ;   in Loop: Header=BB2057_982 Depth=2
	s_or_b32 exec_lo, exec_lo, s34
	s_delay_alu instid0(SALU_CYCLE_1)
	s_mov_b32 s34, exec_lo
	v_cmpx_lt_u32_e64 v116, v145
	s_cbranch_execz .LBB2057_1132
.LBB2057_1101:                          ;   in Loop: Header=BB2057_982 Depth=2
	global_load_b64 v[18:19], v[36:37], off offset:2048
	s_or_b32 exec_lo, exec_lo, s34
	s_delay_alu instid0(SALU_CYCLE_1)
	s_mov_b32 s34, exec_lo
	v_cmpx_lt_u32_e64 v117, v145
	s_cbranch_execnz .LBB2057_1133
.LBB2057_1102:                          ;   in Loop: Header=BB2057_982 Depth=2
	s_or_b32 exec_lo, exec_lo, s34
	s_delay_alu instid0(SALU_CYCLE_1)
	s_mov_b32 s34, exec_lo
	v_cmpx_lt_u32_e64 v118, v145
	s_cbranch_execz .LBB2057_1134
.LBB2057_1103:                          ;   in Loop: Header=BB2057_982 Depth=2
	global_load_b64 v[14:15], v[36:37], off offset:2560
	s_or_b32 exec_lo, exec_lo, s34
	s_delay_alu instid0(SALU_CYCLE_1)
	s_mov_b32 s34, exec_lo
	v_cmpx_lt_u32_e64 v119, v145
	s_cbranch_execnz .LBB2057_1135
.LBB2057_1104:                          ;   in Loop: Header=BB2057_982 Depth=2
	s_or_b32 exec_lo, exec_lo, s34
	s_delay_alu instid0(SALU_CYCLE_1)
	s_mov_b32 s34, exec_lo
	v_cmpx_lt_u32_e64 v120, v145
	s_cbranch_execz .LBB2057_1136
.LBB2057_1105:                          ;   in Loop: Header=BB2057_982 Depth=2
	global_load_b64 v[10:11], v[36:37], off offset:3072
	s_or_b32 exec_lo, exec_lo, s34
	s_delay_alu instid0(SALU_CYCLE_1)
	s_mov_b32 s34, exec_lo
	v_cmpx_lt_u32_e64 v121, v145
	s_cbranch_execnz .LBB2057_1137
.LBB2057_1106:                          ;   in Loop: Header=BB2057_982 Depth=2
	s_or_b32 exec_lo, exec_lo, s34
	s_delay_alu instid0(SALU_CYCLE_1)
	s_mov_b32 s34, exec_lo
	v_cmpx_lt_u32_e64 v122, v145
	s_cbranch_execz .LBB2057_1138
.LBB2057_1107:                          ;   in Loop: Header=BB2057_982 Depth=2
	global_load_b64 v[6:7], v[36:37], off offset:3584
	s_or_b32 exec_lo, exec_lo, s34
	s_delay_alu instid0(SALU_CYCLE_1)
	s_mov_b32 s34, exec_lo
	v_cmpx_lt_u32_e64 v123, v145
	s_cbranch_execnz .LBB2057_1139
.LBB2057_1108:                          ;   in Loop: Header=BB2057_982 Depth=2
	s_or_b32 exec_lo, exec_lo, s34
	s_and_saveexec_b32 s34, vcc_lo
	s_cbranch_execz .LBB2057_1140
.LBB2057_1109:                          ;   in Loop: Header=BB2057_982 Depth=2
	ds_load_u16 v2, v147 offset:1024
	s_waitcnt lgkmcnt(0)
	v_cmp_ne_u16_e64 s33, 0x7fff, v2
	s_delay_alu instid0(VALU_DEP_1) | instskip(NEXT) | instid1(VALU_DEP_1)
	v_cndmask_b32_e64 v2, 0xffff8000, v2, s33
	v_and_b32_e32 v2, 0xffff, v2
	s_delay_alu instid0(VALU_DEP_1) | instskip(NEXT) | instid1(VALU_DEP_1)
	v_lshrrev_b32_e32 v2, s49, v2
	v_and_b32_e32 v144, s55, v2
	s_or_b32 exec_lo, exec_lo, s34
	s_and_saveexec_b32 s34, s16
	s_cbranch_execnz .LBB2057_1141
.LBB2057_1110:                          ;   in Loop: Header=BB2057_982 Depth=2
	s_or_b32 exec_lo, exec_lo, s34
	s_and_saveexec_b32 s34, s17
	s_cbranch_execz .LBB2057_1142
.LBB2057_1111:                          ;   in Loop: Header=BB2057_982 Depth=2
	ds_load_u16 v2, v79 offset:1024
	s_waitcnt lgkmcnt(0)
	v_cmp_ne_u16_e64 s33, 0x7fff, v2
	s_delay_alu instid0(VALU_DEP_1) | instskip(NEXT) | instid1(VALU_DEP_1)
	v_cndmask_b32_e64 v2, 0xffff8000, v2, s33
	v_and_b32_e32 v2, 0xffff, v2
	s_delay_alu instid0(VALU_DEP_1) | instskip(NEXT) | instid1(VALU_DEP_1)
	v_lshrrev_b32_e32 v2, s49, v2
	v_and_b32_e32 v142, s55, v2
	s_or_b32 exec_lo, exec_lo, s34
	s_and_saveexec_b32 s34, s18
	s_cbranch_execnz .LBB2057_1143
.LBB2057_1112:                          ;   in Loop: Header=BB2057_982 Depth=2
	s_or_b32 exec_lo, exec_lo, s34
	s_and_saveexec_b32 s34, s19
	s_cbranch_execz .LBB2057_1144
.LBB2057_1113:                          ;   in Loop: Header=BB2057_982 Depth=2
	ds_load_u16 v2, v79 offset:2048
	s_waitcnt lgkmcnt(0)
	v_cmp_ne_u16_e64 s33, 0x7fff, v2
	s_delay_alu instid0(VALU_DEP_1) | instskip(NEXT) | instid1(VALU_DEP_1)
	v_cndmask_b32_e64 v2, 0xffff8000, v2, s33
	v_and_b32_e32 v2, 0xffff, v2
	s_delay_alu instid0(VALU_DEP_1) | instskip(NEXT) | instid1(VALU_DEP_1)
	v_lshrrev_b32_e32 v2, s49, v2
	v_and_b32_e32 v140, s55, v2
	s_or_b32 exec_lo, exec_lo, s34
	s_and_saveexec_b32 s34, s20
	s_cbranch_execnz .LBB2057_1145
.LBB2057_1114:                          ;   in Loop: Header=BB2057_982 Depth=2
	s_or_b32 exec_lo, exec_lo, s34
	s_and_saveexec_b32 s34, s21
	s_cbranch_execz .LBB2057_1146
.LBB2057_1115:                          ;   in Loop: Header=BB2057_982 Depth=2
	ds_load_u16 v2, v79 offset:3072
	s_waitcnt lgkmcnt(0)
	v_cmp_ne_u16_e64 s33, 0x7fff, v2
	s_delay_alu instid0(VALU_DEP_1) | instskip(NEXT) | instid1(VALU_DEP_1)
	v_cndmask_b32_e64 v2, 0xffff8000, v2, s33
	v_and_b32_e32 v2, 0xffff, v2
	s_delay_alu instid0(VALU_DEP_1) | instskip(NEXT) | instid1(VALU_DEP_1)
	v_lshrrev_b32_e32 v2, s49, v2
	v_and_b32_e32 v138, s55, v2
	s_or_b32 exec_lo, exec_lo, s34
	s_and_saveexec_b32 s34, s22
	s_cbranch_execnz .LBB2057_1147
.LBB2057_1116:                          ;   in Loop: Header=BB2057_982 Depth=2
	s_or_b32 exec_lo, exec_lo, s34
	s_and_saveexec_b32 s34, s23
	s_cbranch_execz .LBB2057_1148
.LBB2057_1117:                          ;   in Loop: Header=BB2057_982 Depth=2
	ds_load_u16 v2, v79 offset:4096
	s_waitcnt lgkmcnt(0)
	v_cmp_ne_u16_e64 s33, 0x7fff, v2
	s_delay_alu instid0(VALU_DEP_1) | instskip(NEXT) | instid1(VALU_DEP_1)
	v_cndmask_b32_e64 v2, 0xffff8000, v2, s33
	v_and_b32_e32 v2, 0xffff, v2
	s_delay_alu instid0(VALU_DEP_1) | instskip(NEXT) | instid1(VALU_DEP_1)
	v_lshrrev_b32_e32 v2, s49, v2
	v_and_b32_e32 v136, s55, v2
	s_or_b32 exec_lo, exec_lo, s34
	s_and_saveexec_b32 s34, s24
	s_cbranch_execnz .LBB2057_1149
.LBB2057_1118:                          ;   in Loop: Header=BB2057_982 Depth=2
	s_or_b32 exec_lo, exec_lo, s34
	s_and_saveexec_b32 s34, s25
	s_cbranch_execz .LBB2057_1150
.LBB2057_1119:                          ;   in Loop: Header=BB2057_982 Depth=2
	ds_load_u16 v2, v79 offset:5120
	s_waitcnt lgkmcnt(0)
	v_cmp_ne_u16_e64 s33, 0x7fff, v2
	s_delay_alu instid0(VALU_DEP_1) | instskip(NEXT) | instid1(VALU_DEP_1)
	v_cndmask_b32_e64 v2, 0xffff8000, v2, s33
	v_and_b32_e32 v2, 0xffff, v2
	s_delay_alu instid0(VALU_DEP_1) | instskip(NEXT) | instid1(VALU_DEP_1)
	v_lshrrev_b32_e32 v2, s49, v2
	v_and_b32_e32 v134, s55, v2
	s_or_b32 exec_lo, exec_lo, s34
	s_and_saveexec_b32 s34, s27
	s_cbranch_execnz .LBB2057_1151
.LBB2057_1120:                          ;   in Loop: Header=BB2057_982 Depth=2
	s_or_b32 exec_lo, exec_lo, s34
	s_and_saveexec_b32 s34, s28
	s_cbranch_execz .LBB2057_1152
.LBB2057_1121:                          ;   in Loop: Header=BB2057_982 Depth=2
	ds_load_u16 v2, v79 offset:6144
	s_waitcnt lgkmcnt(0)
	v_cmp_ne_u16_e64 s33, 0x7fff, v2
	s_delay_alu instid0(VALU_DEP_1) | instskip(NEXT) | instid1(VALU_DEP_1)
	v_cndmask_b32_e64 v2, 0xffff8000, v2, s33
	v_and_b32_e32 v2, 0xffff, v2
	s_delay_alu instid0(VALU_DEP_1) | instskip(NEXT) | instid1(VALU_DEP_1)
	v_lshrrev_b32_e32 v2, s49, v2
	v_and_b32_e32 v132, s55, v2
	s_or_b32 exec_lo, exec_lo, s34
	s_and_saveexec_b32 s34, s29
	s_cbranch_execnz .LBB2057_1153
.LBB2057_1122:                          ;   in Loop: Header=BB2057_982 Depth=2
	s_or_b32 exec_lo, exec_lo, s34
	s_and_saveexec_b32 s34, s30
	s_cbranch_execz .LBB2057_1154
.LBB2057_1123:                          ;   in Loop: Header=BB2057_982 Depth=2
	ds_load_u16 v2, v79 offset:7168
	s_waitcnt lgkmcnt(0)
	v_cmp_ne_u16_e64 s33, 0x7fff, v2
	s_delay_alu instid0(VALU_DEP_1) | instskip(NEXT) | instid1(VALU_DEP_1)
	v_cndmask_b32_e64 v2, 0xffff8000, v2, s33
	v_and_b32_e32 v2, 0xffff, v2
	s_delay_alu instid0(VALU_DEP_1) | instskip(NEXT) | instid1(VALU_DEP_1)
	v_lshrrev_b32_e32 v2, s49, v2
	v_and_b32_e32 v130, s55, v2
	s_or_b32 exec_lo, exec_lo, s34
	s_and_saveexec_b32 s34, s31
	s_cbranch_execnz .LBB2057_1155
	s_branch .LBB2057_1156
.LBB2057_1124:                          ;   in Loop: Header=BB2057_982 Depth=2
	s_or_b32 exec_lo, exec_lo, s33
	s_delay_alu instid0(SALU_CYCLE_1)
	s_mov_b32 s34, exec_lo
	v_cmpx_lt_u32_e64 v109, v145
	s_cbranch_execz .LBB2057_1094
.LBB2057_1125:                          ;   in Loop: Header=BB2057_982 Depth=2
	global_load_b64 v[32:33], v[36:37], off offset:256
	s_or_b32 exec_lo, exec_lo, s34
	s_delay_alu instid0(SALU_CYCLE_1)
	s_mov_b32 s34, exec_lo
	v_cmpx_lt_u32_e64 v110, v145
	s_cbranch_execnz .LBB2057_1095
.LBB2057_1126:                          ;   in Loop: Header=BB2057_982 Depth=2
	s_or_b32 exec_lo, exec_lo, s34
	s_delay_alu instid0(SALU_CYCLE_1)
	s_mov_b32 s34, exec_lo
	v_cmpx_lt_u32_e64 v111, v145
	s_cbranch_execz .LBB2057_1096
.LBB2057_1127:                          ;   in Loop: Header=BB2057_982 Depth=2
	global_load_b64 v[28:29], v[36:37], off offset:768
	s_or_b32 exec_lo, exec_lo, s34
	s_delay_alu instid0(SALU_CYCLE_1)
	s_mov_b32 s34, exec_lo
	v_cmpx_lt_u32_e64 v112, v145
	s_cbranch_execnz .LBB2057_1097
.LBB2057_1128:                          ;   in Loop: Header=BB2057_982 Depth=2
	s_or_b32 exec_lo, exec_lo, s34
	s_delay_alu instid0(SALU_CYCLE_1)
	s_mov_b32 s34, exec_lo
	v_cmpx_lt_u32_e64 v113, v145
	s_cbranch_execz .LBB2057_1098
.LBB2057_1129:                          ;   in Loop: Header=BB2057_982 Depth=2
	global_load_b64 v[24:25], v[36:37], off offset:1280
	s_or_b32 exec_lo, exec_lo, s34
	s_delay_alu instid0(SALU_CYCLE_1)
	s_mov_b32 s34, exec_lo
	v_cmpx_lt_u32_e64 v114, v145
	s_cbranch_execnz .LBB2057_1099
.LBB2057_1130:                          ;   in Loop: Header=BB2057_982 Depth=2
	s_or_b32 exec_lo, exec_lo, s34
	s_delay_alu instid0(SALU_CYCLE_1)
	s_mov_b32 s34, exec_lo
	v_cmpx_lt_u32_e64 v115, v145
	s_cbranch_execz .LBB2057_1100
.LBB2057_1131:                          ;   in Loop: Header=BB2057_982 Depth=2
	global_load_b64 v[20:21], v[36:37], off offset:1792
	s_or_b32 exec_lo, exec_lo, s34
	s_delay_alu instid0(SALU_CYCLE_1)
	s_mov_b32 s34, exec_lo
	v_cmpx_lt_u32_e64 v116, v145
	s_cbranch_execnz .LBB2057_1101
.LBB2057_1132:                          ;   in Loop: Header=BB2057_982 Depth=2
	s_or_b32 exec_lo, exec_lo, s34
	s_delay_alu instid0(SALU_CYCLE_1)
	s_mov_b32 s34, exec_lo
	v_cmpx_lt_u32_e64 v117, v145
	s_cbranch_execz .LBB2057_1102
.LBB2057_1133:                          ;   in Loop: Header=BB2057_982 Depth=2
	global_load_b64 v[16:17], v[36:37], off offset:2304
	s_or_b32 exec_lo, exec_lo, s34
	s_delay_alu instid0(SALU_CYCLE_1)
	s_mov_b32 s34, exec_lo
	v_cmpx_lt_u32_e64 v118, v145
	s_cbranch_execnz .LBB2057_1103
.LBB2057_1134:                          ;   in Loop: Header=BB2057_982 Depth=2
	s_or_b32 exec_lo, exec_lo, s34
	s_delay_alu instid0(SALU_CYCLE_1)
	s_mov_b32 s34, exec_lo
	v_cmpx_lt_u32_e64 v119, v145
	s_cbranch_execz .LBB2057_1104
.LBB2057_1135:                          ;   in Loop: Header=BB2057_982 Depth=2
	global_load_b64 v[12:13], v[36:37], off offset:2816
	s_or_b32 exec_lo, exec_lo, s34
	s_delay_alu instid0(SALU_CYCLE_1)
	s_mov_b32 s34, exec_lo
	v_cmpx_lt_u32_e64 v120, v145
	s_cbranch_execnz .LBB2057_1105
.LBB2057_1136:                          ;   in Loop: Header=BB2057_982 Depth=2
	s_or_b32 exec_lo, exec_lo, s34
	s_delay_alu instid0(SALU_CYCLE_1)
	s_mov_b32 s34, exec_lo
	v_cmpx_lt_u32_e64 v121, v145
	s_cbranch_execz .LBB2057_1106
.LBB2057_1137:                          ;   in Loop: Header=BB2057_982 Depth=2
	global_load_b64 v[8:9], v[36:37], off offset:3328
	s_or_b32 exec_lo, exec_lo, s34
	s_delay_alu instid0(SALU_CYCLE_1)
	s_mov_b32 s34, exec_lo
	v_cmpx_lt_u32_e64 v122, v145
	s_cbranch_execnz .LBB2057_1107
.LBB2057_1138:                          ;   in Loop: Header=BB2057_982 Depth=2
	s_or_b32 exec_lo, exec_lo, s34
	s_delay_alu instid0(SALU_CYCLE_1)
	s_mov_b32 s34, exec_lo
	v_cmpx_lt_u32_e64 v123, v145
	s_cbranch_execz .LBB2057_1108
.LBB2057_1139:                          ;   in Loop: Header=BB2057_982 Depth=2
	global_load_b64 v[4:5], v[36:37], off offset:3840
	s_or_b32 exec_lo, exec_lo, s34
	s_and_saveexec_b32 s34, vcc_lo
	s_cbranch_execnz .LBB2057_1109
.LBB2057_1140:                          ;   in Loop: Header=BB2057_982 Depth=2
	s_or_b32 exec_lo, exec_lo, s34
	s_and_saveexec_b32 s34, s16
	s_cbranch_execz .LBB2057_1110
.LBB2057_1141:                          ;   in Loop: Header=BB2057_982 Depth=2
	ds_load_u16 v2, v79 offset:512
	s_waitcnt lgkmcnt(0)
	v_cmp_ne_u16_e64 s33, 0x7fff, v2
	s_delay_alu instid0(VALU_DEP_1) | instskip(NEXT) | instid1(VALU_DEP_1)
	v_cndmask_b32_e64 v2, 0xffff8000, v2, s33
	v_and_b32_e32 v2, 0xffff, v2
	s_delay_alu instid0(VALU_DEP_1) | instskip(NEXT) | instid1(VALU_DEP_1)
	v_lshrrev_b32_e32 v2, s49, v2
	v_and_b32_e32 v143, s55, v2
	s_or_b32 exec_lo, exec_lo, s34
	s_and_saveexec_b32 s34, s17
	s_cbranch_execnz .LBB2057_1111
.LBB2057_1142:                          ;   in Loop: Header=BB2057_982 Depth=2
	s_or_b32 exec_lo, exec_lo, s34
	s_and_saveexec_b32 s34, s18
	s_cbranch_execz .LBB2057_1112
.LBB2057_1143:                          ;   in Loop: Header=BB2057_982 Depth=2
	ds_load_u16 v2, v79 offset:1536
	s_waitcnt lgkmcnt(0)
	v_cmp_ne_u16_e64 s33, 0x7fff, v2
	s_delay_alu instid0(VALU_DEP_1) | instskip(NEXT) | instid1(VALU_DEP_1)
	v_cndmask_b32_e64 v2, 0xffff8000, v2, s33
	v_and_b32_e32 v2, 0xffff, v2
	s_delay_alu instid0(VALU_DEP_1) | instskip(NEXT) | instid1(VALU_DEP_1)
	v_lshrrev_b32_e32 v2, s49, v2
	v_and_b32_e32 v141, s55, v2
	s_or_b32 exec_lo, exec_lo, s34
	s_and_saveexec_b32 s34, s19
	s_cbranch_execnz .LBB2057_1113
.LBB2057_1144:                          ;   in Loop: Header=BB2057_982 Depth=2
	s_or_b32 exec_lo, exec_lo, s34
	s_and_saveexec_b32 s34, s20
	s_cbranch_execz .LBB2057_1114
.LBB2057_1145:                          ;   in Loop: Header=BB2057_982 Depth=2
	ds_load_u16 v2, v79 offset:2560
	s_waitcnt lgkmcnt(0)
	v_cmp_ne_u16_e64 s33, 0x7fff, v2
	s_delay_alu instid0(VALU_DEP_1) | instskip(NEXT) | instid1(VALU_DEP_1)
	v_cndmask_b32_e64 v2, 0xffff8000, v2, s33
	v_and_b32_e32 v2, 0xffff, v2
	s_delay_alu instid0(VALU_DEP_1) | instskip(NEXT) | instid1(VALU_DEP_1)
	v_lshrrev_b32_e32 v2, s49, v2
	v_and_b32_e32 v139, s55, v2
	s_or_b32 exec_lo, exec_lo, s34
	s_and_saveexec_b32 s34, s21
	s_cbranch_execnz .LBB2057_1115
.LBB2057_1146:                          ;   in Loop: Header=BB2057_982 Depth=2
	s_or_b32 exec_lo, exec_lo, s34
	s_and_saveexec_b32 s34, s22
	s_cbranch_execz .LBB2057_1116
.LBB2057_1147:                          ;   in Loop: Header=BB2057_982 Depth=2
	ds_load_u16 v2, v79 offset:3584
	s_waitcnt lgkmcnt(0)
	v_cmp_ne_u16_e64 s33, 0x7fff, v2
	s_delay_alu instid0(VALU_DEP_1) | instskip(NEXT) | instid1(VALU_DEP_1)
	v_cndmask_b32_e64 v2, 0xffff8000, v2, s33
	v_and_b32_e32 v2, 0xffff, v2
	s_delay_alu instid0(VALU_DEP_1) | instskip(NEXT) | instid1(VALU_DEP_1)
	v_lshrrev_b32_e32 v2, s49, v2
	v_and_b32_e32 v137, s55, v2
	s_or_b32 exec_lo, exec_lo, s34
	s_and_saveexec_b32 s34, s23
	s_cbranch_execnz .LBB2057_1117
.LBB2057_1148:                          ;   in Loop: Header=BB2057_982 Depth=2
	s_or_b32 exec_lo, exec_lo, s34
	s_and_saveexec_b32 s34, s24
	s_cbranch_execz .LBB2057_1118
.LBB2057_1149:                          ;   in Loop: Header=BB2057_982 Depth=2
	ds_load_u16 v2, v79 offset:4608
	s_waitcnt lgkmcnt(0)
	v_cmp_ne_u16_e64 s33, 0x7fff, v2
	s_delay_alu instid0(VALU_DEP_1) | instskip(NEXT) | instid1(VALU_DEP_1)
	v_cndmask_b32_e64 v2, 0xffff8000, v2, s33
	v_and_b32_e32 v2, 0xffff, v2
	s_delay_alu instid0(VALU_DEP_1) | instskip(NEXT) | instid1(VALU_DEP_1)
	v_lshrrev_b32_e32 v2, s49, v2
	v_and_b32_e32 v135, s55, v2
	s_or_b32 exec_lo, exec_lo, s34
	s_and_saveexec_b32 s34, s25
	s_cbranch_execnz .LBB2057_1119
.LBB2057_1150:                          ;   in Loop: Header=BB2057_982 Depth=2
	s_or_b32 exec_lo, exec_lo, s34
	s_and_saveexec_b32 s34, s27
	s_cbranch_execz .LBB2057_1120
.LBB2057_1151:                          ;   in Loop: Header=BB2057_982 Depth=2
	ds_load_u16 v2, v79 offset:5632
	s_waitcnt lgkmcnt(0)
	v_cmp_ne_u16_e64 s33, 0x7fff, v2
	s_delay_alu instid0(VALU_DEP_1) | instskip(NEXT) | instid1(VALU_DEP_1)
	v_cndmask_b32_e64 v2, 0xffff8000, v2, s33
	v_and_b32_e32 v2, 0xffff, v2
	s_delay_alu instid0(VALU_DEP_1) | instskip(NEXT) | instid1(VALU_DEP_1)
	v_lshrrev_b32_e32 v2, s49, v2
	v_and_b32_e32 v133, s55, v2
	s_or_b32 exec_lo, exec_lo, s34
	s_and_saveexec_b32 s34, s28
	s_cbranch_execnz .LBB2057_1121
.LBB2057_1152:                          ;   in Loop: Header=BB2057_982 Depth=2
	s_or_b32 exec_lo, exec_lo, s34
	s_and_saveexec_b32 s34, s29
	s_cbranch_execz .LBB2057_1122
.LBB2057_1153:                          ;   in Loop: Header=BB2057_982 Depth=2
	ds_load_u16 v2, v79 offset:6656
	s_waitcnt lgkmcnt(0)
	v_cmp_ne_u16_e64 s33, 0x7fff, v2
	s_delay_alu instid0(VALU_DEP_1) | instskip(NEXT) | instid1(VALU_DEP_1)
	v_cndmask_b32_e64 v2, 0xffff8000, v2, s33
	v_and_b32_e32 v2, 0xffff, v2
	s_delay_alu instid0(VALU_DEP_1) | instskip(NEXT) | instid1(VALU_DEP_1)
	v_lshrrev_b32_e32 v2, s49, v2
	v_and_b32_e32 v131, s55, v2
	s_or_b32 exec_lo, exec_lo, s34
	s_and_saveexec_b32 s34, s30
	s_cbranch_execnz .LBB2057_1123
.LBB2057_1154:                          ;   in Loop: Header=BB2057_982 Depth=2
	s_or_b32 exec_lo, exec_lo, s34
	s_and_saveexec_b32 s34, s31
	s_cbranch_execz .LBB2057_1156
.LBB2057_1155:                          ;   in Loop: Header=BB2057_982 Depth=2
	ds_load_u16 v2, v79 offset:7680
	s_waitcnt lgkmcnt(0)
	v_cmp_ne_u16_e64 s33, 0x7fff, v2
	s_delay_alu instid0(VALU_DEP_1) | instskip(NEXT) | instid1(VALU_DEP_1)
	v_cndmask_b32_e64 v2, 0xffff8000, v2, s33
	v_and_b32_e32 v2, 0xffff, v2
	s_delay_alu instid0(VALU_DEP_1) | instskip(NEXT) | instid1(VALU_DEP_1)
	v_lshrrev_b32_e32 v2, s49, v2
	v_and_b32_e32 v129, s55, v2
.LBB2057_1156:                          ;   in Loop: Header=BB2057_982 Depth=2
	s_or_b32 exec_lo, exec_lo, s34
	v_lshlrev_b32_e32 v2, 3, v168
	v_lshlrev_b32_e32 v36, 3, v164
	s_waitcnt vmcnt(0)
	s_waitcnt_vscnt null, 0x0
	s_barrier
	buffer_gl0_inv
	ds_store_b64 v2, v[34:35] offset:1024
	v_lshlrev_b32_e32 v2, 3, v160
	v_lshlrev_b32_e32 v37, 3, v156
	;; [unrolled: 1-line block ×4, first 2 shown]
	ds_store_b64 v36, v[32:33] offset:1024
	ds_store_b64 v2, v[30:31] offset:1024
	;; [unrolled: 1-line block ×5, first 2 shown]
	v_lshlrev_b32_e32 v2, 3, v152
	v_lshlrev_b32_e32 v36, 3, v151
	;; [unrolled: 1-line block ×5, first 2 shown]
	ds_store_b64 v2, v[22:23] offset:1024
	ds_store_b64 v36, v[20:21] offset:1024
	ds_store_b64 v37, v[18:19] offset:1024
	ds_store_b64 v145, v[16:17] offset:1024
	ds_store_b64 v146, v[14:15] offset:1024
	v_lshlrev_b32_e32 v2, 3, v42
	v_lshlrev_b32_e32 v36, 3, v40
	v_lshlrev_b32_e32 v37, 3, v39
	v_lshlrev_b32_e32 v39, 3, v43
	v_lshlrev_b32_e32 v40, 3, v41
	ds_store_b64 v2, v[12:13] offset:1024
	ds_store_b64 v36, v[10:11] offset:1024
	;; [unrolled: 1-line block ×5, first 2 shown]
	s_waitcnt lgkmcnt(0)
	s_barrier
	buffer_gl0_inv
	s_and_saveexec_b32 s33, vcc_lo
	s_cbranch_execz .LBB2057_1172
; %bb.1157:                             ;   in Loop: Header=BB2057_982 Depth=2
	v_lshlrev_b32_e32 v2, 2, v144
	ds_load_b32 v2, v2
	ds_load_b64 v[36:37], v80 offset:1024
	s_waitcnt lgkmcnt(1)
	v_add_nc_u32_e32 v2, v2, v1
	s_delay_alu instid0(VALU_DEP_1) | instskip(NEXT) | instid1(VALU_DEP_1)
	v_lshlrev_b64 v[39:40], 3, v[2:3]
	v_add_co_u32 v39, vcc_lo, s46, v39
	s_delay_alu instid0(VALU_DEP_2)
	v_add_co_ci_u32_e32 v40, vcc_lo, s47, v40, vcc_lo
	s_waitcnt lgkmcnt(0)
	global_store_b64 v[39:40], v[36:37], off
	s_or_b32 exec_lo, exec_lo, s33
	v_add_nc_u32_e32 v36, v79, v81
	s_and_saveexec_b32 s33, s16
	s_cbranch_execnz .LBB2057_1173
.LBB2057_1158:                          ;   in Loop: Header=BB2057_982 Depth=2
	s_or_b32 exec_lo, exec_lo, s33
	s_and_saveexec_b32 s16, s17
	s_cbranch_execz .LBB2057_1174
.LBB2057_1159:                          ;   in Loop: Header=BB2057_982 Depth=2
	v_lshlrev_b32_e32 v2, 2, v142
	ds_load_b32 v2, v2
	ds_load_b64 v[39:40], v36 offset:4096
	s_waitcnt lgkmcnt(1)
	v_add_nc_u32_e32 v2, v2, v46
	s_delay_alu instid0(VALU_DEP_1) | instskip(NEXT) | instid1(VALU_DEP_1)
	v_lshlrev_b64 v[41:42], 3, v[2:3]
	v_add_co_u32 v41, vcc_lo, s46, v41
	s_delay_alu instid0(VALU_DEP_2)
	v_add_co_ci_u32_e32 v42, vcc_lo, s47, v42, vcc_lo
	s_waitcnt lgkmcnt(0)
	global_store_b64 v[41:42], v[39:40], off
	s_or_b32 exec_lo, exec_lo, s16
	s_and_saveexec_b32 s16, s18
	s_cbranch_execnz .LBB2057_1175
.LBB2057_1160:                          ;   in Loop: Header=BB2057_982 Depth=2
	s_or_b32 exec_lo, exec_lo, s16
	s_and_saveexec_b32 s16, s19
	s_cbranch_execz .LBB2057_1176
.LBB2057_1161:                          ;   in Loop: Header=BB2057_982 Depth=2
	v_lshlrev_b32_e32 v2, 2, v140
	ds_load_b32 v2, v2
	ds_load_b64 v[39:40], v36 offset:8192
	s_waitcnt lgkmcnt(1)
	v_add_nc_u32_e32 v2, v2, v51
	s_delay_alu instid0(VALU_DEP_1) | instskip(NEXT) | instid1(VALU_DEP_1)
	v_lshlrev_b64 v[41:42], 3, v[2:3]
	v_add_co_u32 v41, vcc_lo, s46, v41
	s_delay_alu instid0(VALU_DEP_2)
	v_add_co_ci_u32_e32 v42, vcc_lo, s47, v42, vcc_lo
	s_waitcnt lgkmcnt(0)
	global_store_b64 v[41:42], v[39:40], off
	s_or_b32 exec_lo, exec_lo, s16
	s_and_saveexec_b32 s16, s20
	s_cbranch_execnz .LBB2057_1177
.LBB2057_1162:                          ;   in Loop: Header=BB2057_982 Depth=2
	s_or_b32 exec_lo, exec_lo, s16
	s_and_saveexec_b32 s16, s21
	s_cbranch_execz .LBB2057_1178
.LBB2057_1163:                          ;   in Loop: Header=BB2057_982 Depth=2
	v_lshlrev_b32_e32 v2, 2, v138
	ds_load_b32 v2, v2
	ds_load_b64 v[39:40], v36 offset:12288
	s_waitcnt lgkmcnt(1)
	v_add_nc_u32_e32 v2, v2, v53
	s_delay_alu instid0(VALU_DEP_1) | instskip(NEXT) | instid1(VALU_DEP_1)
	v_lshlrev_b64 v[41:42], 3, v[2:3]
	v_add_co_u32 v41, vcc_lo, s46, v41
	s_delay_alu instid0(VALU_DEP_2)
	v_add_co_ci_u32_e32 v42, vcc_lo, s47, v42, vcc_lo
	s_waitcnt lgkmcnt(0)
	global_store_b64 v[41:42], v[39:40], off
	s_or_b32 exec_lo, exec_lo, s16
	s_and_saveexec_b32 s16, s22
	s_cbranch_execnz .LBB2057_1179
.LBB2057_1164:                          ;   in Loop: Header=BB2057_982 Depth=2
	s_or_b32 exec_lo, exec_lo, s16
	s_and_saveexec_b32 s16, s23
	s_cbranch_execz .LBB2057_1180
.LBB2057_1165:                          ;   in Loop: Header=BB2057_982 Depth=2
	v_lshlrev_b32_e32 v2, 2, v136
	ds_load_b32 v2, v2
	ds_load_b64 v[39:40], v36 offset:16384
	s_waitcnt lgkmcnt(1)
	v_add_nc_u32_e32 v2, v2, v55
	s_delay_alu instid0(VALU_DEP_1) | instskip(NEXT) | instid1(VALU_DEP_1)
	v_lshlrev_b64 v[41:42], 3, v[2:3]
	v_add_co_u32 v41, vcc_lo, s46, v41
	s_delay_alu instid0(VALU_DEP_2)
	v_add_co_ci_u32_e32 v42, vcc_lo, s47, v42, vcc_lo
	s_waitcnt lgkmcnt(0)
	global_store_b64 v[41:42], v[39:40], off
	s_or_b32 exec_lo, exec_lo, s16
	s_and_saveexec_b32 s16, s24
	s_cbranch_execnz .LBB2057_1181
.LBB2057_1166:                          ;   in Loop: Header=BB2057_982 Depth=2
	s_or_b32 exec_lo, exec_lo, s16
	s_and_saveexec_b32 s16, s25
	s_cbranch_execz .LBB2057_1182
.LBB2057_1167:                          ;   in Loop: Header=BB2057_982 Depth=2
	v_lshlrev_b32_e32 v2, 2, v134
	ds_load_b32 v2, v2
	ds_load_b64 v[39:40], v36 offset:20480
	s_waitcnt lgkmcnt(1)
	v_add_nc_u32_e32 v2, v2, v57
	s_delay_alu instid0(VALU_DEP_1) | instskip(NEXT) | instid1(VALU_DEP_1)
	v_lshlrev_b64 v[41:42], 3, v[2:3]
	v_add_co_u32 v41, vcc_lo, s46, v41
	s_delay_alu instid0(VALU_DEP_2)
	v_add_co_ci_u32_e32 v42, vcc_lo, s47, v42, vcc_lo
	s_waitcnt lgkmcnt(0)
	global_store_b64 v[41:42], v[39:40], off
	s_or_b32 exec_lo, exec_lo, s16
	s_and_saveexec_b32 s16, s27
	s_cbranch_execnz .LBB2057_1183
.LBB2057_1168:                          ;   in Loop: Header=BB2057_982 Depth=2
	s_or_b32 exec_lo, exec_lo, s16
	s_and_saveexec_b32 s16, s28
	s_cbranch_execz .LBB2057_1184
.LBB2057_1169:                          ;   in Loop: Header=BB2057_982 Depth=2
	v_lshlrev_b32_e32 v2, 2, v132
	ds_load_b32 v2, v2
	ds_load_b64 v[39:40], v36 offset:24576
	s_waitcnt lgkmcnt(1)
	v_add_nc_u32_e32 v2, v2, v59
	s_delay_alu instid0(VALU_DEP_1) | instskip(NEXT) | instid1(VALU_DEP_1)
	v_lshlrev_b64 v[41:42], 3, v[2:3]
	v_add_co_u32 v41, vcc_lo, s46, v41
	s_delay_alu instid0(VALU_DEP_2)
	v_add_co_ci_u32_e32 v42, vcc_lo, s47, v42, vcc_lo
	s_waitcnt lgkmcnt(0)
	global_store_b64 v[41:42], v[39:40], off
	s_or_b32 exec_lo, exec_lo, s16
	s_and_saveexec_b32 s16, s29
	s_cbranch_execnz .LBB2057_1185
.LBB2057_1170:                          ;   in Loop: Header=BB2057_982 Depth=2
	s_or_b32 exec_lo, exec_lo, s16
	s_and_saveexec_b32 s16, s30
	s_cbranch_execz .LBB2057_1186
.LBB2057_1171:                          ;   in Loop: Header=BB2057_982 Depth=2
	v_lshlrev_b32_e32 v2, 2, v130
	ds_load_b32 v2, v2
	ds_load_b64 v[39:40], v36 offset:28672
	s_waitcnt lgkmcnt(1)
	v_add_nc_u32_e32 v2, v2, v61
	s_delay_alu instid0(VALU_DEP_1) | instskip(NEXT) | instid1(VALU_DEP_1)
	v_lshlrev_b64 v[41:42], 3, v[2:3]
	v_add_co_u32 v41, vcc_lo, s46, v41
	s_delay_alu instid0(VALU_DEP_2)
	v_add_co_ci_u32_e32 v42, vcc_lo, s47, v42, vcc_lo
	s_waitcnt lgkmcnt(0)
	global_store_b64 v[41:42], v[39:40], off
	s_or_b32 exec_lo, exec_lo, s16
	s_and_saveexec_b32 s16, s31
	s_cbranch_execnz .LBB2057_1187
	s_branch .LBB2057_1188
.LBB2057_1172:                          ;   in Loop: Header=BB2057_982 Depth=2
	s_or_b32 exec_lo, exec_lo, s33
	v_add_nc_u32_e32 v36, v79, v81
	s_and_saveexec_b32 s33, s16
	s_cbranch_execz .LBB2057_1158
.LBB2057_1173:                          ;   in Loop: Header=BB2057_982 Depth=2
	v_lshlrev_b32_e32 v2, 2, v143
	ds_load_b32 v2, v2
	ds_load_b64 v[39:40], v36 offset:2048
	s_waitcnt lgkmcnt(1)
	v_add_nc_u32_e32 v2, v2, v45
	s_delay_alu instid0(VALU_DEP_1) | instskip(NEXT) | instid1(VALU_DEP_1)
	v_lshlrev_b64 v[41:42], 3, v[2:3]
	v_add_co_u32 v41, vcc_lo, s46, v41
	s_delay_alu instid0(VALU_DEP_2)
	v_add_co_ci_u32_e32 v42, vcc_lo, s47, v42, vcc_lo
	s_waitcnt lgkmcnt(0)
	global_store_b64 v[41:42], v[39:40], off
	s_or_b32 exec_lo, exec_lo, s33
	s_and_saveexec_b32 s16, s17
	s_cbranch_execnz .LBB2057_1159
.LBB2057_1174:                          ;   in Loop: Header=BB2057_982 Depth=2
	s_or_b32 exec_lo, exec_lo, s16
	s_and_saveexec_b32 s16, s18
	s_cbranch_execz .LBB2057_1160
.LBB2057_1175:                          ;   in Loop: Header=BB2057_982 Depth=2
	v_lshlrev_b32_e32 v2, 2, v141
	ds_load_b32 v2, v2
	ds_load_b64 v[39:40], v36 offset:6144
	s_waitcnt lgkmcnt(1)
	v_add_nc_u32_e32 v2, v2, v47
	s_delay_alu instid0(VALU_DEP_1) | instskip(NEXT) | instid1(VALU_DEP_1)
	v_lshlrev_b64 v[41:42], 3, v[2:3]
	v_add_co_u32 v41, vcc_lo, s46, v41
	s_delay_alu instid0(VALU_DEP_2)
	v_add_co_ci_u32_e32 v42, vcc_lo, s47, v42, vcc_lo
	s_waitcnt lgkmcnt(0)
	global_store_b64 v[41:42], v[39:40], off
	s_or_b32 exec_lo, exec_lo, s16
	s_and_saveexec_b32 s16, s19
	s_cbranch_execnz .LBB2057_1161
.LBB2057_1176:                          ;   in Loop: Header=BB2057_982 Depth=2
	s_or_b32 exec_lo, exec_lo, s16
	s_and_saveexec_b32 s16, s20
	s_cbranch_execz .LBB2057_1162
.LBB2057_1177:                          ;   in Loop: Header=BB2057_982 Depth=2
	v_lshlrev_b32_e32 v2, 2, v139
	ds_load_b32 v2, v2
	ds_load_b64 v[39:40], v36 offset:10240
	s_waitcnt lgkmcnt(1)
	v_add_nc_u32_e32 v2, v2, v52
	s_delay_alu instid0(VALU_DEP_1) | instskip(NEXT) | instid1(VALU_DEP_1)
	v_lshlrev_b64 v[41:42], 3, v[2:3]
	v_add_co_u32 v41, vcc_lo, s46, v41
	s_delay_alu instid0(VALU_DEP_2)
	v_add_co_ci_u32_e32 v42, vcc_lo, s47, v42, vcc_lo
	s_waitcnt lgkmcnt(0)
	global_store_b64 v[41:42], v[39:40], off
	s_or_b32 exec_lo, exec_lo, s16
	s_and_saveexec_b32 s16, s21
	s_cbranch_execnz .LBB2057_1163
.LBB2057_1178:                          ;   in Loop: Header=BB2057_982 Depth=2
	s_or_b32 exec_lo, exec_lo, s16
	s_and_saveexec_b32 s16, s22
	s_cbranch_execz .LBB2057_1164
.LBB2057_1179:                          ;   in Loop: Header=BB2057_982 Depth=2
	v_lshlrev_b32_e32 v2, 2, v137
	ds_load_b32 v2, v2
	ds_load_b64 v[39:40], v36 offset:14336
	s_waitcnt lgkmcnt(1)
	v_add_nc_u32_e32 v2, v2, v54
	s_delay_alu instid0(VALU_DEP_1) | instskip(NEXT) | instid1(VALU_DEP_1)
	v_lshlrev_b64 v[41:42], 3, v[2:3]
	v_add_co_u32 v41, vcc_lo, s46, v41
	s_delay_alu instid0(VALU_DEP_2)
	v_add_co_ci_u32_e32 v42, vcc_lo, s47, v42, vcc_lo
	s_waitcnt lgkmcnt(0)
	global_store_b64 v[41:42], v[39:40], off
	s_or_b32 exec_lo, exec_lo, s16
	s_and_saveexec_b32 s16, s23
	s_cbranch_execnz .LBB2057_1165
.LBB2057_1180:                          ;   in Loop: Header=BB2057_982 Depth=2
	s_or_b32 exec_lo, exec_lo, s16
	s_and_saveexec_b32 s16, s24
	s_cbranch_execz .LBB2057_1166
.LBB2057_1181:                          ;   in Loop: Header=BB2057_982 Depth=2
	v_lshlrev_b32_e32 v2, 2, v135
	ds_load_b32 v2, v2
	ds_load_b64 v[39:40], v36 offset:18432
	s_waitcnt lgkmcnt(1)
	v_add_nc_u32_e32 v2, v2, v56
	s_delay_alu instid0(VALU_DEP_1) | instskip(NEXT) | instid1(VALU_DEP_1)
	v_lshlrev_b64 v[41:42], 3, v[2:3]
	v_add_co_u32 v41, vcc_lo, s46, v41
	s_delay_alu instid0(VALU_DEP_2)
	v_add_co_ci_u32_e32 v42, vcc_lo, s47, v42, vcc_lo
	s_waitcnt lgkmcnt(0)
	global_store_b64 v[41:42], v[39:40], off
	s_or_b32 exec_lo, exec_lo, s16
	s_and_saveexec_b32 s16, s25
	s_cbranch_execnz .LBB2057_1167
.LBB2057_1182:                          ;   in Loop: Header=BB2057_982 Depth=2
	s_or_b32 exec_lo, exec_lo, s16
	s_and_saveexec_b32 s16, s27
	s_cbranch_execz .LBB2057_1168
.LBB2057_1183:                          ;   in Loop: Header=BB2057_982 Depth=2
	v_lshlrev_b32_e32 v2, 2, v133
	ds_load_b32 v2, v2
	ds_load_b64 v[39:40], v36 offset:22528
	s_waitcnt lgkmcnt(1)
	v_add_nc_u32_e32 v2, v2, v58
	s_delay_alu instid0(VALU_DEP_1) | instskip(NEXT) | instid1(VALU_DEP_1)
	v_lshlrev_b64 v[41:42], 3, v[2:3]
	v_add_co_u32 v41, vcc_lo, s46, v41
	s_delay_alu instid0(VALU_DEP_2)
	v_add_co_ci_u32_e32 v42, vcc_lo, s47, v42, vcc_lo
	s_waitcnt lgkmcnt(0)
	global_store_b64 v[41:42], v[39:40], off
	s_or_b32 exec_lo, exec_lo, s16
	s_and_saveexec_b32 s16, s28
	s_cbranch_execnz .LBB2057_1169
.LBB2057_1184:                          ;   in Loop: Header=BB2057_982 Depth=2
	s_or_b32 exec_lo, exec_lo, s16
	s_and_saveexec_b32 s16, s29
	s_cbranch_execz .LBB2057_1170
.LBB2057_1185:                          ;   in Loop: Header=BB2057_982 Depth=2
	v_lshlrev_b32_e32 v2, 2, v131
	ds_load_b32 v2, v2
	ds_load_b64 v[39:40], v36 offset:26624
	s_waitcnt lgkmcnt(1)
	v_add_nc_u32_e32 v2, v2, v60
	s_delay_alu instid0(VALU_DEP_1) | instskip(NEXT) | instid1(VALU_DEP_1)
	v_lshlrev_b64 v[41:42], 3, v[2:3]
	v_add_co_u32 v41, vcc_lo, s46, v41
	s_delay_alu instid0(VALU_DEP_2)
	v_add_co_ci_u32_e32 v42, vcc_lo, s47, v42, vcc_lo
	s_waitcnt lgkmcnt(0)
	global_store_b64 v[41:42], v[39:40], off
	s_or_b32 exec_lo, exec_lo, s16
	s_and_saveexec_b32 s16, s30
	s_cbranch_execnz .LBB2057_1171
.LBB2057_1186:                          ;   in Loop: Header=BB2057_982 Depth=2
	s_or_b32 exec_lo, exec_lo, s16
	s_and_saveexec_b32 s16, s31
	s_cbranch_execz .LBB2057_1188
.LBB2057_1187:                          ;   in Loop: Header=BB2057_982 Depth=2
	v_lshlrev_b32_e32 v2, 2, v129
	ds_load_b32 v2, v2
	ds_load_b64 v[36:37], v36 offset:30720
	s_waitcnt lgkmcnt(1)
	v_add_nc_u32_e32 v2, v2, v63
	s_delay_alu instid0(VALU_DEP_1) | instskip(NEXT) | instid1(VALU_DEP_1)
	v_lshlrev_b64 v[39:40], 3, v[2:3]
	v_add_co_u32 v39, vcc_lo, s46, v39
	s_delay_alu instid0(VALU_DEP_2)
	v_add_co_ci_u32_e32 v40, vcc_lo, s47, v40, vcc_lo
	s_waitcnt lgkmcnt(0)
	global_store_b64 v[39:40], v[36:37], off
.LBB2057_1188:                          ;   in Loop: Header=BB2057_982 Depth=2
	s_or_b32 exec_lo, exec_lo, s16
	s_waitcnt_vscnt null, 0x0
	s_barrier
	buffer_gl0_inv
	s_and_saveexec_b32 s16, s2
	s_cbranch_execz .LBB2057_981
; %bb.1189:                             ;   in Loop: Header=BB2057_982 Depth=2
	ds_load_b32 v2, v44
	s_waitcnt lgkmcnt(0)
	v_add_nc_u32_e32 v2, v2, v38
	ds_store_b32 v44, v2
	s_branch .LBB2057_981
.LBB2057_1190:
	s_endpgm
	.section	.rodata,"a",@progbits
	.p2align	6, 0x0
	.amdhsa_kernel _ZN7rocprim17ROCPRIM_400000_NS6detail17trampoline_kernelINS0_14default_configENS1_36segmented_radix_sort_config_selectorI12hip_bfloat16lEEZNS1_25segmented_radix_sort_implIS3_Lb0EPKS5_PS5_PKlPlN2at6native12_GLOBAL__N_18offset_tEEE10hipError_tPvRmT1_PNSt15iterator_traitsISL_E10value_typeET2_T3_PNSM_ISR_E10value_typeET4_jRbjT5_SX_jjP12ihipStream_tbEUlT_E_NS1_11comp_targetILNS1_3genE9ELNS1_11target_archE1100ELNS1_3gpuE3ELNS1_3repE0EEENS1_30default_config_static_selectorELNS0_4arch9wavefront6targetE0EEEvSL_
		.amdhsa_group_segment_fixed_size 33824
		.amdhsa_private_segment_fixed_size 220
		.amdhsa_kernarg_size 352
		.amdhsa_user_sgpr_count 14
		.amdhsa_user_sgpr_dispatch_ptr 0
		.amdhsa_user_sgpr_queue_ptr 0
		.amdhsa_user_sgpr_kernarg_segment_ptr 1
		.amdhsa_user_sgpr_dispatch_id 0
		.amdhsa_user_sgpr_private_segment_size 0
		.amdhsa_wavefront_size32 1
		.amdhsa_uses_dynamic_stack 0
		.amdhsa_enable_private_segment 1
		.amdhsa_system_sgpr_workgroup_id_x 1
		.amdhsa_system_sgpr_workgroup_id_y 1
		.amdhsa_system_sgpr_workgroup_id_z 0
		.amdhsa_system_sgpr_workgroup_info 0
		.amdhsa_system_vgpr_workitem_id 2
		.amdhsa_next_free_vgpr 248
		.amdhsa_next_free_sgpr 60
		.amdhsa_reserve_vcc 1
		.amdhsa_float_round_mode_32 0
		.amdhsa_float_round_mode_16_64 0
		.amdhsa_float_denorm_mode_32 3
		.amdhsa_float_denorm_mode_16_64 3
		.amdhsa_dx10_clamp 1
		.amdhsa_ieee_mode 1
		.amdhsa_fp16_overflow 0
		.amdhsa_workgroup_processor_mode 1
		.amdhsa_memory_ordered 1
		.amdhsa_forward_progress 0
		.amdhsa_shared_vgpr_count 0
		.amdhsa_exception_fp_ieee_invalid_op 0
		.amdhsa_exception_fp_denorm_src 0
		.amdhsa_exception_fp_ieee_div_zero 0
		.amdhsa_exception_fp_ieee_overflow 0
		.amdhsa_exception_fp_ieee_underflow 0
		.amdhsa_exception_fp_ieee_inexact 0
		.amdhsa_exception_int_div_zero 0
	.end_amdhsa_kernel
	.section	.text._ZN7rocprim17ROCPRIM_400000_NS6detail17trampoline_kernelINS0_14default_configENS1_36segmented_radix_sort_config_selectorI12hip_bfloat16lEEZNS1_25segmented_radix_sort_implIS3_Lb0EPKS5_PS5_PKlPlN2at6native12_GLOBAL__N_18offset_tEEE10hipError_tPvRmT1_PNSt15iterator_traitsISL_E10value_typeET2_T3_PNSM_ISR_E10value_typeET4_jRbjT5_SX_jjP12ihipStream_tbEUlT_E_NS1_11comp_targetILNS1_3genE9ELNS1_11target_archE1100ELNS1_3gpuE3ELNS1_3repE0EEENS1_30default_config_static_selectorELNS0_4arch9wavefront6targetE0EEEvSL_,"axG",@progbits,_ZN7rocprim17ROCPRIM_400000_NS6detail17trampoline_kernelINS0_14default_configENS1_36segmented_radix_sort_config_selectorI12hip_bfloat16lEEZNS1_25segmented_radix_sort_implIS3_Lb0EPKS5_PS5_PKlPlN2at6native12_GLOBAL__N_18offset_tEEE10hipError_tPvRmT1_PNSt15iterator_traitsISL_E10value_typeET2_T3_PNSM_ISR_E10value_typeET4_jRbjT5_SX_jjP12ihipStream_tbEUlT_E_NS1_11comp_targetILNS1_3genE9ELNS1_11target_archE1100ELNS1_3gpuE3ELNS1_3repE0EEENS1_30default_config_static_selectorELNS0_4arch9wavefront6targetE0EEEvSL_,comdat
.Lfunc_end2057:
	.size	_ZN7rocprim17ROCPRIM_400000_NS6detail17trampoline_kernelINS0_14default_configENS1_36segmented_radix_sort_config_selectorI12hip_bfloat16lEEZNS1_25segmented_radix_sort_implIS3_Lb0EPKS5_PS5_PKlPlN2at6native12_GLOBAL__N_18offset_tEEE10hipError_tPvRmT1_PNSt15iterator_traitsISL_E10value_typeET2_T3_PNSM_ISR_E10value_typeET4_jRbjT5_SX_jjP12ihipStream_tbEUlT_E_NS1_11comp_targetILNS1_3genE9ELNS1_11target_archE1100ELNS1_3gpuE3ELNS1_3repE0EEENS1_30default_config_static_selectorELNS0_4arch9wavefront6targetE0EEEvSL_, .Lfunc_end2057-_ZN7rocprim17ROCPRIM_400000_NS6detail17trampoline_kernelINS0_14default_configENS1_36segmented_radix_sort_config_selectorI12hip_bfloat16lEEZNS1_25segmented_radix_sort_implIS3_Lb0EPKS5_PS5_PKlPlN2at6native12_GLOBAL__N_18offset_tEEE10hipError_tPvRmT1_PNSt15iterator_traitsISL_E10value_typeET2_T3_PNSM_ISR_E10value_typeET4_jRbjT5_SX_jjP12ihipStream_tbEUlT_E_NS1_11comp_targetILNS1_3genE9ELNS1_11target_archE1100ELNS1_3gpuE3ELNS1_3repE0EEENS1_30default_config_static_selectorELNS0_4arch9wavefront6targetE0EEEvSL_
                                        ; -- End function
	.section	.AMDGPU.csdata,"",@progbits
; Kernel info:
; codeLenInByte = 79744
; NumSgprs: 62
; NumVgprs: 248
; ScratchSize: 220
; MemoryBound: 0
; FloatMode: 240
; IeeeMode: 1
; LDSByteSize: 33824 bytes/workgroup (compile time only)
; SGPRBlocks: 7
; VGPRBlocks: 30
; NumSGPRsForWavesPerEU: 62
; NumVGPRsForWavesPerEU: 248
; Occupancy: 5
; WaveLimiterHint : 1
; COMPUTE_PGM_RSRC2:SCRATCH_EN: 1
; COMPUTE_PGM_RSRC2:USER_SGPR: 14
; COMPUTE_PGM_RSRC2:TRAP_HANDLER: 0
; COMPUTE_PGM_RSRC2:TGID_X_EN: 1
; COMPUTE_PGM_RSRC2:TGID_Y_EN: 1
; COMPUTE_PGM_RSRC2:TGID_Z_EN: 0
; COMPUTE_PGM_RSRC2:TIDIG_COMP_CNT: 2
	.section	.text._ZN7rocprim17ROCPRIM_400000_NS6detail17trampoline_kernelINS0_14default_configENS1_36segmented_radix_sort_config_selectorI12hip_bfloat16lEEZNS1_25segmented_radix_sort_implIS3_Lb0EPKS5_PS5_PKlPlN2at6native12_GLOBAL__N_18offset_tEEE10hipError_tPvRmT1_PNSt15iterator_traitsISL_E10value_typeET2_T3_PNSM_ISR_E10value_typeET4_jRbjT5_SX_jjP12ihipStream_tbEUlT_E_NS1_11comp_targetILNS1_3genE8ELNS1_11target_archE1030ELNS1_3gpuE2ELNS1_3repE0EEENS1_30default_config_static_selectorELNS0_4arch9wavefront6targetE0EEEvSL_,"axG",@progbits,_ZN7rocprim17ROCPRIM_400000_NS6detail17trampoline_kernelINS0_14default_configENS1_36segmented_radix_sort_config_selectorI12hip_bfloat16lEEZNS1_25segmented_radix_sort_implIS3_Lb0EPKS5_PS5_PKlPlN2at6native12_GLOBAL__N_18offset_tEEE10hipError_tPvRmT1_PNSt15iterator_traitsISL_E10value_typeET2_T3_PNSM_ISR_E10value_typeET4_jRbjT5_SX_jjP12ihipStream_tbEUlT_E_NS1_11comp_targetILNS1_3genE8ELNS1_11target_archE1030ELNS1_3gpuE2ELNS1_3repE0EEENS1_30default_config_static_selectorELNS0_4arch9wavefront6targetE0EEEvSL_,comdat
	.globl	_ZN7rocprim17ROCPRIM_400000_NS6detail17trampoline_kernelINS0_14default_configENS1_36segmented_radix_sort_config_selectorI12hip_bfloat16lEEZNS1_25segmented_radix_sort_implIS3_Lb0EPKS5_PS5_PKlPlN2at6native12_GLOBAL__N_18offset_tEEE10hipError_tPvRmT1_PNSt15iterator_traitsISL_E10value_typeET2_T3_PNSM_ISR_E10value_typeET4_jRbjT5_SX_jjP12ihipStream_tbEUlT_E_NS1_11comp_targetILNS1_3genE8ELNS1_11target_archE1030ELNS1_3gpuE2ELNS1_3repE0EEENS1_30default_config_static_selectorELNS0_4arch9wavefront6targetE0EEEvSL_ ; -- Begin function _ZN7rocprim17ROCPRIM_400000_NS6detail17trampoline_kernelINS0_14default_configENS1_36segmented_radix_sort_config_selectorI12hip_bfloat16lEEZNS1_25segmented_radix_sort_implIS3_Lb0EPKS5_PS5_PKlPlN2at6native12_GLOBAL__N_18offset_tEEE10hipError_tPvRmT1_PNSt15iterator_traitsISL_E10value_typeET2_T3_PNSM_ISR_E10value_typeET4_jRbjT5_SX_jjP12ihipStream_tbEUlT_E_NS1_11comp_targetILNS1_3genE8ELNS1_11target_archE1030ELNS1_3gpuE2ELNS1_3repE0EEENS1_30default_config_static_selectorELNS0_4arch9wavefront6targetE0EEEvSL_
	.p2align	8
	.type	_ZN7rocprim17ROCPRIM_400000_NS6detail17trampoline_kernelINS0_14default_configENS1_36segmented_radix_sort_config_selectorI12hip_bfloat16lEEZNS1_25segmented_radix_sort_implIS3_Lb0EPKS5_PS5_PKlPlN2at6native12_GLOBAL__N_18offset_tEEE10hipError_tPvRmT1_PNSt15iterator_traitsISL_E10value_typeET2_T3_PNSM_ISR_E10value_typeET4_jRbjT5_SX_jjP12ihipStream_tbEUlT_E_NS1_11comp_targetILNS1_3genE8ELNS1_11target_archE1030ELNS1_3gpuE2ELNS1_3repE0EEENS1_30default_config_static_selectorELNS0_4arch9wavefront6targetE0EEEvSL_,@function
_ZN7rocprim17ROCPRIM_400000_NS6detail17trampoline_kernelINS0_14default_configENS1_36segmented_radix_sort_config_selectorI12hip_bfloat16lEEZNS1_25segmented_radix_sort_implIS3_Lb0EPKS5_PS5_PKlPlN2at6native12_GLOBAL__N_18offset_tEEE10hipError_tPvRmT1_PNSt15iterator_traitsISL_E10value_typeET2_T3_PNSM_ISR_E10value_typeET4_jRbjT5_SX_jjP12ihipStream_tbEUlT_E_NS1_11comp_targetILNS1_3genE8ELNS1_11target_archE1030ELNS1_3gpuE2ELNS1_3repE0EEENS1_30default_config_static_selectorELNS0_4arch9wavefront6targetE0EEEvSL_: ; @_ZN7rocprim17ROCPRIM_400000_NS6detail17trampoline_kernelINS0_14default_configENS1_36segmented_radix_sort_config_selectorI12hip_bfloat16lEEZNS1_25segmented_radix_sort_implIS3_Lb0EPKS5_PS5_PKlPlN2at6native12_GLOBAL__N_18offset_tEEE10hipError_tPvRmT1_PNSt15iterator_traitsISL_E10value_typeET2_T3_PNSM_ISR_E10value_typeET4_jRbjT5_SX_jjP12ihipStream_tbEUlT_E_NS1_11comp_targetILNS1_3genE8ELNS1_11target_archE1030ELNS1_3gpuE2ELNS1_3repE0EEENS1_30default_config_static_selectorELNS0_4arch9wavefront6targetE0EEEvSL_
; %bb.0:
	.section	.rodata,"a",@progbits
	.p2align	6, 0x0
	.amdhsa_kernel _ZN7rocprim17ROCPRIM_400000_NS6detail17trampoline_kernelINS0_14default_configENS1_36segmented_radix_sort_config_selectorI12hip_bfloat16lEEZNS1_25segmented_radix_sort_implIS3_Lb0EPKS5_PS5_PKlPlN2at6native12_GLOBAL__N_18offset_tEEE10hipError_tPvRmT1_PNSt15iterator_traitsISL_E10value_typeET2_T3_PNSM_ISR_E10value_typeET4_jRbjT5_SX_jjP12ihipStream_tbEUlT_E_NS1_11comp_targetILNS1_3genE8ELNS1_11target_archE1030ELNS1_3gpuE2ELNS1_3repE0EEENS1_30default_config_static_selectorELNS0_4arch9wavefront6targetE0EEEvSL_
		.amdhsa_group_segment_fixed_size 0
		.amdhsa_private_segment_fixed_size 0
		.amdhsa_kernarg_size 96
		.amdhsa_user_sgpr_count 15
		.amdhsa_user_sgpr_dispatch_ptr 0
		.amdhsa_user_sgpr_queue_ptr 0
		.amdhsa_user_sgpr_kernarg_segment_ptr 1
		.amdhsa_user_sgpr_dispatch_id 0
		.amdhsa_user_sgpr_private_segment_size 0
		.amdhsa_wavefront_size32 1
		.amdhsa_uses_dynamic_stack 0
		.amdhsa_enable_private_segment 0
		.amdhsa_system_sgpr_workgroup_id_x 1
		.amdhsa_system_sgpr_workgroup_id_y 0
		.amdhsa_system_sgpr_workgroup_id_z 0
		.amdhsa_system_sgpr_workgroup_info 0
		.amdhsa_system_vgpr_workitem_id 0
		.amdhsa_next_free_vgpr 1
		.amdhsa_next_free_sgpr 1
		.amdhsa_reserve_vcc 0
		.amdhsa_float_round_mode_32 0
		.amdhsa_float_round_mode_16_64 0
		.amdhsa_float_denorm_mode_32 3
		.amdhsa_float_denorm_mode_16_64 3
		.amdhsa_dx10_clamp 1
		.amdhsa_ieee_mode 1
		.amdhsa_fp16_overflow 0
		.amdhsa_workgroup_processor_mode 1
		.amdhsa_memory_ordered 1
		.amdhsa_forward_progress 0
		.amdhsa_shared_vgpr_count 0
		.amdhsa_exception_fp_ieee_invalid_op 0
		.amdhsa_exception_fp_denorm_src 0
		.amdhsa_exception_fp_ieee_div_zero 0
		.amdhsa_exception_fp_ieee_overflow 0
		.amdhsa_exception_fp_ieee_underflow 0
		.amdhsa_exception_fp_ieee_inexact 0
		.amdhsa_exception_int_div_zero 0
	.end_amdhsa_kernel
	.section	.text._ZN7rocprim17ROCPRIM_400000_NS6detail17trampoline_kernelINS0_14default_configENS1_36segmented_radix_sort_config_selectorI12hip_bfloat16lEEZNS1_25segmented_radix_sort_implIS3_Lb0EPKS5_PS5_PKlPlN2at6native12_GLOBAL__N_18offset_tEEE10hipError_tPvRmT1_PNSt15iterator_traitsISL_E10value_typeET2_T3_PNSM_ISR_E10value_typeET4_jRbjT5_SX_jjP12ihipStream_tbEUlT_E_NS1_11comp_targetILNS1_3genE8ELNS1_11target_archE1030ELNS1_3gpuE2ELNS1_3repE0EEENS1_30default_config_static_selectorELNS0_4arch9wavefront6targetE0EEEvSL_,"axG",@progbits,_ZN7rocprim17ROCPRIM_400000_NS6detail17trampoline_kernelINS0_14default_configENS1_36segmented_radix_sort_config_selectorI12hip_bfloat16lEEZNS1_25segmented_radix_sort_implIS3_Lb0EPKS5_PS5_PKlPlN2at6native12_GLOBAL__N_18offset_tEEE10hipError_tPvRmT1_PNSt15iterator_traitsISL_E10value_typeET2_T3_PNSM_ISR_E10value_typeET4_jRbjT5_SX_jjP12ihipStream_tbEUlT_E_NS1_11comp_targetILNS1_3genE8ELNS1_11target_archE1030ELNS1_3gpuE2ELNS1_3repE0EEENS1_30default_config_static_selectorELNS0_4arch9wavefront6targetE0EEEvSL_,comdat
.Lfunc_end2058:
	.size	_ZN7rocprim17ROCPRIM_400000_NS6detail17trampoline_kernelINS0_14default_configENS1_36segmented_radix_sort_config_selectorI12hip_bfloat16lEEZNS1_25segmented_radix_sort_implIS3_Lb0EPKS5_PS5_PKlPlN2at6native12_GLOBAL__N_18offset_tEEE10hipError_tPvRmT1_PNSt15iterator_traitsISL_E10value_typeET2_T3_PNSM_ISR_E10value_typeET4_jRbjT5_SX_jjP12ihipStream_tbEUlT_E_NS1_11comp_targetILNS1_3genE8ELNS1_11target_archE1030ELNS1_3gpuE2ELNS1_3repE0EEENS1_30default_config_static_selectorELNS0_4arch9wavefront6targetE0EEEvSL_, .Lfunc_end2058-_ZN7rocprim17ROCPRIM_400000_NS6detail17trampoline_kernelINS0_14default_configENS1_36segmented_radix_sort_config_selectorI12hip_bfloat16lEEZNS1_25segmented_radix_sort_implIS3_Lb0EPKS5_PS5_PKlPlN2at6native12_GLOBAL__N_18offset_tEEE10hipError_tPvRmT1_PNSt15iterator_traitsISL_E10value_typeET2_T3_PNSM_ISR_E10value_typeET4_jRbjT5_SX_jjP12ihipStream_tbEUlT_E_NS1_11comp_targetILNS1_3genE8ELNS1_11target_archE1030ELNS1_3gpuE2ELNS1_3repE0EEENS1_30default_config_static_selectorELNS0_4arch9wavefront6targetE0EEEvSL_
                                        ; -- End function
	.section	.AMDGPU.csdata,"",@progbits
; Kernel info:
; codeLenInByte = 0
; NumSgprs: 0
; NumVgprs: 0
; ScratchSize: 0
; MemoryBound: 0
; FloatMode: 240
; IeeeMode: 1
; LDSByteSize: 0 bytes/workgroup (compile time only)
; SGPRBlocks: 0
; VGPRBlocks: 0
; NumSGPRsForWavesPerEU: 1
; NumVGPRsForWavesPerEU: 1
; Occupancy: 16
; WaveLimiterHint : 0
; COMPUTE_PGM_RSRC2:SCRATCH_EN: 0
; COMPUTE_PGM_RSRC2:USER_SGPR: 15
; COMPUTE_PGM_RSRC2:TRAP_HANDLER: 0
; COMPUTE_PGM_RSRC2:TGID_X_EN: 1
; COMPUTE_PGM_RSRC2:TGID_Y_EN: 0
; COMPUTE_PGM_RSRC2:TGID_Z_EN: 0
; COMPUTE_PGM_RSRC2:TIDIG_COMP_CNT: 0
	.section	.text._ZN7rocprim17ROCPRIM_400000_NS6detail17trampoline_kernelINS0_14default_configENS1_36segmented_radix_sort_config_selectorI12hip_bfloat16lEEZNS1_25segmented_radix_sort_implIS3_Lb0EPKS5_PS5_PKlPlN2at6native12_GLOBAL__N_18offset_tEEE10hipError_tPvRmT1_PNSt15iterator_traitsISL_E10value_typeET2_T3_PNSM_ISR_E10value_typeET4_jRbjT5_SX_jjP12ihipStream_tbEUlT_E0_NS1_11comp_targetILNS1_3genE0ELNS1_11target_archE4294967295ELNS1_3gpuE0ELNS1_3repE0EEENS1_60segmented_radix_sort_warp_sort_medium_config_static_selectorELNS0_4arch9wavefront6targetE0EEEvSL_,"axG",@progbits,_ZN7rocprim17ROCPRIM_400000_NS6detail17trampoline_kernelINS0_14default_configENS1_36segmented_radix_sort_config_selectorI12hip_bfloat16lEEZNS1_25segmented_radix_sort_implIS3_Lb0EPKS5_PS5_PKlPlN2at6native12_GLOBAL__N_18offset_tEEE10hipError_tPvRmT1_PNSt15iterator_traitsISL_E10value_typeET2_T3_PNSM_ISR_E10value_typeET4_jRbjT5_SX_jjP12ihipStream_tbEUlT_E0_NS1_11comp_targetILNS1_3genE0ELNS1_11target_archE4294967295ELNS1_3gpuE0ELNS1_3repE0EEENS1_60segmented_radix_sort_warp_sort_medium_config_static_selectorELNS0_4arch9wavefront6targetE0EEEvSL_,comdat
	.globl	_ZN7rocprim17ROCPRIM_400000_NS6detail17trampoline_kernelINS0_14default_configENS1_36segmented_radix_sort_config_selectorI12hip_bfloat16lEEZNS1_25segmented_radix_sort_implIS3_Lb0EPKS5_PS5_PKlPlN2at6native12_GLOBAL__N_18offset_tEEE10hipError_tPvRmT1_PNSt15iterator_traitsISL_E10value_typeET2_T3_PNSM_ISR_E10value_typeET4_jRbjT5_SX_jjP12ihipStream_tbEUlT_E0_NS1_11comp_targetILNS1_3genE0ELNS1_11target_archE4294967295ELNS1_3gpuE0ELNS1_3repE0EEENS1_60segmented_radix_sort_warp_sort_medium_config_static_selectorELNS0_4arch9wavefront6targetE0EEEvSL_ ; -- Begin function _ZN7rocprim17ROCPRIM_400000_NS6detail17trampoline_kernelINS0_14default_configENS1_36segmented_radix_sort_config_selectorI12hip_bfloat16lEEZNS1_25segmented_radix_sort_implIS3_Lb0EPKS5_PS5_PKlPlN2at6native12_GLOBAL__N_18offset_tEEE10hipError_tPvRmT1_PNSt15iterator_traitsISL_E10value_typeET2_T3_PNSM_ISR_E10value_typeET4_jRbjT5_SX_jjP12ihipStream_tbEUlT_E0_NS1_11comp_targetILNS1_3genE0ELNS1_11target_archE4294967295ELNS1_3gpuE0ELNS1_3repE0EEENS1_60segmented_radix_sort_warp_sort_medium_config_static_selectorELNS0_4arch9wavefront6targetE0EEEvSL_
	.p2align	8
	.type	_ZN7rocprim17ROCPRIM_400000_NS6detail17trampoline_kernelINS0_14default_configENS1_36segmented_radix_sort_config_selectorI12hip_bfloat16lEEZNS1_25segmented_radix_sort_implIS3_Lb0EPKS5_PS5_PKlPlN2at6native12_GLOBAL__N_18offset_tEEE10hipError_tPvRmT1_PNSt15iterator_traitsISL_E10value_typeET2_T3_PNSM_ISR_E10value_typeET4_jRbjT5_SX_jjP12ihipStream_tbEUlT_E0_NS1_11comp_targetILNS1_3genE0ELNS1_11target_archE4294967295ELNS1_3gpuE0ELNS1_3repE0EEENS1_60segmented_radix_sort_warp_sort_medium_config_static_selectorELNS0_4arch9wavefront6targetE0EEEvSL_,@function
_ZN7rocprim17ROCPRIM_400000_NS6detail17trampoline_kernelINS0_14default_configENS1_36segmented_radix_sort_config_selectorI12hip_bfloat16lEEZNS1_25segmented_radix_sort_implIS3_Lb0EPKS5_PS5_PKlPlN2at6native12_GLOBAL__N_18offset_tEEE10hipError_tPvRmT1_PNSt15iterator_traitsISL_E10value_typeET2_T3_PNSM_ISR_E10value_typeET4_jRbjT5_SX_jjP12ihipStream_tbEUlT_E0_NS1_11comp_targetILNS1_3genE0ELNS1_11target_archE4294967295ELNS1_3gpuE0ELNS1_3repE0EEENS1_60segmented_radix_sort_warp_sort_medium_config_static_selectorELNS0_4arch9wavefront6targetE0EEEvSL_: ; @_ZN7rocprim17ROCPRIM_400000_NS6detail17trampoline_kernelINS0_14default_configENS1_36segmented_radix_sort_config_selectorI12hip_bfloat16lEEZNS1_25segmented_radix_sort_implIS3_Lb0EPKS5_PS5_PKlPlN2at6native12_GLOBAL__N_18offset_tEEE10hipError_tPvRmT1_PNSt15iterator_traitsISL_E10value_typeET2_T3_PNSM_ISR_E10value_typeET4_jRbjT5_SX_jjP12ihipStream_tbEUlT_E0_NS1_11comp_targetILNS1_3genE0ELNS1_11target_archE4294967295ELNS1_3gpuE0ELNS1_3repE0EEENS1_60segmented_radix_sort_warp_sort_medium_config_static_selectorELNS0_4arch9wavefront6targetE0EEEvSL_
; %bb.0:
	.section	.rodata,"a",@progbits
	.p2align	6, 0x0
	.amdhsa_kernel _ZN7rocprim17ROCPRIM_400000_NS6detail17trampoline_kernelINS0_14default_configENS1_36segmented_radix_sort_config_selectorI12hip_bfloat16lEEZNS1_25segmented_radix_sort_implIS3_Lb0EPKS5_PS5_PKlPlN2at6native12_GLOBAL__N_18offset_tEEE10hipError_tPvRmT1_PNSt15iterator_traitsISL_E10value_typeET2_T3_PNSM_ISR_E10value_typeET4_jRbjT5_SX_jjP12ihipStream_tbEUlT_E0_NS1_11comp_targetILNS1_3genE0ELNS1_11target_archE4294967295ELNS1_3gpuE0ELNS1_3repE0EEENS1_60segmented_radix_sort_warp_sort_medium_config_static_selectorELNS0_4arch9wavefront6targetE0EEEvSL_
		.amdhsa_group_segment_fixed_size 0
		.amdhsa_private_segment_fixed_size 0
		.amdhsa_kernarg_size 88
		.amdhsa_user_sgpr_count 15
		.amdhsa_user_sgpr_dispatch_ptr 0
		.amdhsa_user_sgpr_queue_ptr 0
		.amdhsa_user_sgpr_kernarg_segment_ptr 1
		.amdhsa_user_sgpr_dispatch_id 0
		.amdhsa_user_sgpr_private_segment_size 0
		.amdhsa_wavefront_size32 1
		.amdhsa_uses_dynamic_stack 0
		.amdhsa_enable_private_segment 0
		.amdhsa_system_sgpr_workgroup_id_x 1
		.amdhsa_system_sgpr_workgroup_id_y 0
		.amdhsa_system_sgpr_workgroup_id_z 0
		.amdhsa_system_sgpr_workgroup_info 0
		.amdhsa_system_vgpr_workitem_id 0
		.amdhsa_next_free_vgpr 1
		.amdhsa_next_free_sgpr 1
		.amdhsa_reserve_vcc 0
		.amdhsa_float_round_mode_32 0
		.amdhsa_float_round_mode_16_64 0
		.amdhsa_float_denorm_mode_32 3
		.amdhsa_float_denorm_mode_16_64 3
		.amdhsa_dx10_clamp 1
		.amdhsa_ieee_mode 1
		.amdhsa_fp16_overflow 0
		.amdhsa_workgroup_processor_mode 1
		.amdhsa_memory_ordered 1
		.amdhsa_forward_progress 0
		.amdhsa_shared_vgpr_count 0
		.amdhsa_exception_fp_ieee_invalid_op 0
		.amdhsa_exception_fp_denorm_src 0
		.amdhsa_exception_fp_ieee_div_zero 0
		.amdhsa_exception_fp_ieee_overflow 0
		.amdhsa_exception_fp_ieee_underflow 0
		.amdhsa_exception_fp_ieee_inexact 0
		.amdhsa_exception_int_div_zero 0
	.end_amdhsa_kernel
	.section	.text._ZN7rocprim17ROCPRIM_400000_NS6detail17trampoline_kernelINS0_14default_configENS1_36segmented_radix_sort_config_selectorI12hip_bfloat16lEEZNS1_25segmented_radix_sort_implIS3_Lb0EPKS5_PS5_PKlPlN2at6native12_GLOBAL__N_18offset_tEEE10hipError_tPvRmT1_PNSt15iterator_traitsISL_E10value_typeET2_T3_PNSM_ISR_E10value_typeET4_jRbjT5_SX_jjP12ihipStream_tbEUlT_E0_NS1_11comp_targetILNS1_3genE0ELNS1_11target_archE4294967295ELNS1_3gpuE0ELNS1_3repE0EEENS1_60segmented_radix_sort_warp_sort_medium_config_static_selectorELNS0_4arch9wavefront6targetE0EEEvSL_,"axG",@progbits,_ZN7rocprim17ROCPRIM_400000_NS6detail17trampoline_kernelINS0_14default_configENS1_36segmented_radix_sort_config_selectorI12hip_bfloat16lEEZNS1_25segmented_radix_sort_implIS3_Lb0EPKS5_PS5_PKlPlN2at6native12_GLOBAL__N_18offset_tEEE10hipError_tPvRmT1_PNSt15iterator_traitsISL_E10value_typeET2_T3_PNSM_ISR_E10value_typeET4_jRbjT5_SX_jjP12ihipStream_tbEUlT_E0_NS1_11comp_targetILNS1_3genE0ELNS1_11target_archE4294967295ELNS1_3gpuE0ELNS1_3repE0EEENS1_60segmented_radix_sort_warp_sort_medium_config_static_selectorELNS0_4arch9wavefront6targetE0EEEvSL_,comdat
.Lfunc_end2059:
	.size	_ZN7rocprim17ROCPRIM_400000_NS6detail17trampoline_kernelINS0_14default_configENS1_36segmented_radix_sort_config_selectorI12hip_bfloat16lEEZNS1_25segmented_radix_sort_implIS3_Lb0EPKS5_PS5_PKlPlN2at6native12_GLOBAL__N_18offset_tEEE10hipError_tPvRmT1_PNSt15iterator_traitsISL_E10value_typeET2_T3_PNSM_ISR_E10value_typeET4_jRbjT5_SX_jjP12ihipStream_tbEUlT_E0_NS1_11comp_targetILNS1_3genE0ELNS1_11target_archE4294967295ELNS1_3gpuE0ELNS1_3repE0EEENS1_60segmented_radix_sort_warp_sort_medium_config_static_selectorELNS0_4arch9wavefront6targetE0EEEvSL_, .Lfunc_end2059-_ZN7rocprim17ROCPRIM_400000_NS6detail17trampoline_kernelINS0_14default_configENS1_36segmented_radix_sort_config_selectorI12hip_bfloat16lEEZNS1_25segmented_radix_sort_implIS3_Lb0EPKS5_PS5_PKlPlN2at6native12_GLOBAL__N_18offset_tEEE10hipError_tPvRmT1_PNSt15iterator_traitsISL_E10value_typeET2_T3_PNSM_ISR_E10value_typeET4_jRbjT5_SX_jjP12ihipStream_tbEUlT_E0_NS1_11comp_targetILNS1_3genE0ELNS1_11target_archE4294967295ELNS1_3gpuE0ELNS1_3repE0EEENS1_60segmented_radix_sort_warp_sort_medium_config_static_selectorELNS0_4arch9wavefront6targetE0EEEvSL_
                                        ; -- End function
	.section	.AMDGPU.csdata,"",@progbits
; Kernel info:
; codeLenInByte = 0
; NumSgprs: 0
; NumVgprs: 0
; ScratchSize: 0
; MemoryBound: 0
; FloatMode: 240
; IeeeMode: 1
; LDSByteSize: 0 bytes/workgroup (compile time only)
; SGPRBlocks: 0
; VGPRBlocks: 0
; NumSGPRsForWavesPerEU: 1
; NumVGPRsForWavesPerEU: 1
; Occupancy: 16
; WaveLimiterHint : 0
; COMPUTE_PGM_RSRC2:SCRATCH_EN: 0
; COMPUTE_PGM_RSRC2:USER_SGPR: 15
; COMPUTE_PGM_RSRC2:TRAP_HANDLER: 0
; COMPUTE_PGM_RSRC2:TGID_X_EN: 1
; COMPUTE_PGM_RSRC2:TGID_Y_EN: 0
; COMPUTE_PGM_RSRC2:TGID_Z_EN: 0
; COMPUTE_PGM_RSRC2:TIDIG_COMP_CNT: 0
	.section	.text._ZN7rocprim17ROCPRIM_400000_NS6detail17trampoline_kernelINS0_14default_configENS1_36segmented_radix_sort_config_selectorI12hip_bfloat16lEEZNS1_25segmented_radix_sort_implIS3_Lb0EPKS5_PS5_PKlPlN2at6native12_GLOBAL__N_18offset_tEEE10hipError_tPvRmT1_PNSt15iterator_traitsISL_E10value_typeET2_T3_PNSM_ISR_E10value_typeET4_jRbjT5_SX_jjP12ihipStream_tbEUlT_E0_NS1_11comp_targetILNS1_3genE5ELNS1_11target_archE942ELNS1_3gpuE9ELNS1_3repE0EEENS1_60segmented_radix_sort_warp_sort_medium_config_static_selectorELNS0_4arch9wavefront6targetE0EEEvSL_,"axG",@progbits,_ZN7rocprim17ROCPRIM_400000_NS6detail17trampoline_kernelINS0_14default_configENS1_36segmented_radix_sort_config_selectorI12hip_bfloat16lEEZNS1_25segmented_radix_sort_implIS3_Lb0EPKS5_PS5_PKlPlN2at6native12_GLOBAL__N_18offset_tEEE10hipError_tPvRmT1_PNSt15iterator_traitsISL_E10value_typeET2_T3_PNSM_ISR_E10value_typeET4_jRbjT5_SX_jjP12ihipStream_tbEUlT_E0_NS1_11comp_targetILNS1_3genE5ELNS1_11target_archE942ELNS1_3gpuE9ELNS1_3repE0EEENS1_60segmented_radix_sort_warp_sort_medium_config_static_selectorELNS0_4arch9wavefront6targetE0EEEvSL_,comdat
	.globl	_ZN7rocprim17ROCPRIM_400000_NS6detail17trampoline_kernelINS0_14default_configENS1_36segmented_radix_sort_config_selectorI12hip_bfloat16lEEZNS1_25segmented_radix_sort_implIS3_Lb0EPKS5_PS5_PKlPlN2at6native12_GLOBAL__N_18offset_tEEE10hipError_tPvRmT1_PNSt15iterator_traitsISL_E10value_typeET2_T3_PNSM_ISR_E10value_typeET4_jRbjT5_SX_jjP12ihipStream_tbEUlT_E0_NS1_11comp_targetILNS1_3genE5ELNS1_11target_archE942ELNS1_3gpuE9ELNS1_3repE0EEENS1_60segmented_radix_sort_warp_sort_medium_config_static_selectorELNS0_4arch9wavefront6targetE0EEEvSL_ ; -- Begin function _ZN7rocprim17ROCPRIM_400000_NS6detail17trampoline_kernelINS0_14default_configENS1_36segmented_radix_sort_config_selectorI12hip_bfloat16lEEZNS1_25segmented_radix_sort_implIS3_Lb0EPKS5_PS5_PKlPlN2at6native12_GLOBAL__N_18offset_tEEE10hipError_tPvRmT1_PNSt15iterator_traitsISL_E10value_typeET2_T3_PNSM_ISR_E10value_typeET4_jRbjT5_SX_jjP12ihipStream_tbEUlT_E0_NS1_11comp_targetILNS1_3genE5ELNS1_11target_archE942ELNS1_3gpuE9ELNS1_3repE0EEENS1_60segmented_radix_sort_warp_sort_medium_config_static_selectorELNS0_4arch9wavefront6targetE0EEEvSL_
	.p2align	8
	.type	_ZN7rocprim17ROCPRIM_400000_NS6detail17trampoline_kernelINS0_14default_configENS1_36segmented_radix_sort_config_selectorI12hip_bfloat16lEEZNS1_25segmented_radix_sort_implIS3_Lb0EPKS5_PS5_PKlPlN2at6native12_GLOBAL__N_18offset_tEEE10hipError_tPvRmT1_PNSt15iterator_traitsISL_E10value_typeET2_T3_PNSM_ISR_E10value_typeET4_jRbjT5_SX_jjP12ihipStream_tbEUlT_E0_NS1_11comp_targetILNS1_3genE5ELNS1_11target_archE942ELNS1_3gpuE9ELNS1_3repE0EEENS1_60segmented_radix_sort_warp_sort_medium_config_static_selectorELNS0_4arch9wavefront6targetE0EEEvSL_,@function
_ZN7rocprim17ROCPRIM_400000_NS6detail17trampoline_kernelINS0_14default_configENS1_36segmented_radix_sort_config_selectorI12hip_bfloat16lEEZNS1_25segmented_radix_sort_implIS3_Lb0EPKS5_PS5_PKlPlN2at6native12_GLOBAL__N_18offset_tEEE10hipError_tPvRmT1_PNSt15iterator_traitsISL_E10value_typeET2_T3_PNSM_ISR_E10value_typeET4_jRbjT5_SX_jjP12ihipStream_tbEUlT_E0_NS1_11comp_targetILNS1_3genE5ELNS1_11target_archE942ELNS1_3gpuE9ELNS1_3repE0EEENS1_60segmented_radix_sort_warp_sort_medium_config_static_selectorELNS0_4arch9wavefront6targetE0EEEvSL_: ; @_ZN7rocprim17ROCPRIM_400000_NS6detail17trampoline_kernelINS0_14default_configENS1_36segmented_radix_sort_config_selectorI12hip_bfloat16lEEZNS1_25segmented_radix_sort_implIS3_Lb0EPKS5_PS5_PKlPlN2at6native12_GLOBAL__N_18offset_tEEE10hipError_tPvRmT1_PNSt15iterator_traitsISL_E10value_typeET2_T3_PNSM_ISR_E10value_typeET4_jRbjT5_SX_jjP12ihipStream_tbEUlT_E0_NS1_11comp_targetILNS1_3genE5ELNS1_11target_archE942ELNS1_3gpuE9ELNS1_3repE0EEENS1_60segmented_radix_sort_warp_sort_medium_config_static_selectorELNS0_4arch9wavefront6targetE0EEEvSL_
; %bb.0:
	.section	.rodata,"a",@progbits
	.p2align	6, 0x0
	.amdhsa_kernel _ZN7rocprim17ROCPRIM_400000_NS6detail17trampoline_kernelINS0_14default_configENS1_36segmented_radix_sort_config_selectorI12hip_bfloat16lEEZNS1_25segmented_radix_sort_implIS3_Lb0EPKS5_PS5_PKlPlN2at6native12_GLOBAL__N_18offset_tEEE10hipError_tPvRmT1_PNSt15iterator_traitsISL_E10value_typeET2_T3_PNSM_ISR_E10value_typeET4_jRbjT5_SX_jjP12ihipStream_tbEUlT_E0_NS1_11comp_targetILNS1_3genE5ELNS1_11target_archE942ELNS1_3gpuE9ELNS1_3repE0EEENS1_60segmented_radix_sort_warp_sort_medium_config_static_selectorELNS0_4arch9wavefront6targetE0EEEvSL_
		.amdhsa_group_segment_fixed_size 0
		.amdhsa_private_segment_fixed_size 0
		.amdhsa_kernarg_size 88
		.amdhsa_user_sgpr_count 15
		.amdhsa_user_sgpr_dispatch_ptr 0
		.amdhsa_user_sgpr_queue_ptr 0
		.amdhsa_user_sgpr_kernarg_segment_ptr 1
		.amdhsa_user_sgpr_dispatch_id 0
		.amdhsa_user_sgpr_private_segment_size 0
		.amdhsa_wavefront_size32 1
		.amdhsa_uses_dynamic_stack 0
		.amdhsa_enable_private_segment 0
		.amdhsa_system_sgpr_workgroup_id_x 1
		.amdhsa_system_sgpr_workgroup_id_y 0
		.amdhsa_system_sgpr_workgroup_id_z 0
		.amdhsa_system_sgpr_workgroup_info 0
		.amdhsa_system_vgpr_workitem_id 0
		.amdhsa_next_free_vgpr 1
		.amdhsa_next_free_sgpr 1
		.amdhsa_reserve_vcc 0
		.amdhsa_float_round_mode_32 0
		.amdhsa_float_round_mode_16_64 0
		.amdhsa_float_denorm_mode_32 3
		.amdhsa_float_denorm_mode_16_64 3
		.amdhsa_dx10_clamp 1
		.amdhsa_ieee_mode 1
		.amdhsa_fp16_overflow 0
		.amdhsa_workgroup_processor_mode 1
		.amdhsa_memory_ordered 1
		.amdhsa_forward_progress 0
		.amdhsa_shared_vgpr_count 0
		.amdhsa_exception_fp_ieee_invalid_op 0
		.amdhsa_exception_fp_denorm_src 0
		.amdhsa_exception_fp_ieee_div_zero 0
		.amdhsa_exception_fp_ieee_overflow 0
		.amdhsa_exception_fp_ieee_underflow 0
		.amdhsa_exception_fp_ieee_inexact 0
		.amdhsa_exception_int_div_zero 0
	.end_amdhsa_kernel
	.section	.text._ZN7rocprim17ROCPRIM_400000_NS6detail17trampoline_kernelINS0_14default_configENS1_36segmented_radix_sort_config_selectorI12hip_bfloat16lEEZNS1_25segmented_radix_sort_implIS3_Lb0EPKS5_PS5_PKlPlN2at6native12_GLOBAL__N_18offset_tEEE10hipError_tPvRmT1_PNSt15iterator_traitsISL_E10value_typeET2_T3_PNSM_ISR_E10value_typeET4_jRbjT5_SX_jjP12ihipStream_tbEUlT_E0_NS1_11comp_targetILNS1_3genE5ELNS1_11target_archE942ELNS1_3gpuE9ELNS1_3repE0EEENS1_60segmented_radix_sort_warp_sort_medium_config_static_selectorELNS0_4arch9wavefront6targetE0EEEvSL_,"axG",@progbits,_ZN7rocprim17ROCPRIM_400000_NS6detail17trampoline_kernelINS0_14default_configENS1_36segmented_radix_sort_config_selectorI12hip_bfloat16lEEZNS1_25segmented_radix_sort_implIS3_Lb0EPKS5_PS5_PKlPlN2at6native12_GLOBAL__N_18offset_tEEE10hipError_tPvRmT1_PNSt15iterator_traitsISL_E10value_typeET2_T3_PNSM_ISR_E10value_typeET4_jRbjT5_SX_jjP12ihipStream_tbEUlT_E0_NS1_11comp_targetILNS1_3genE5ELNS1_11target_archE942ELNS1_3gpuE9ELNS1_3repE0EEENS1_60segmented_radix_sort_warp_sort_medium_config_static_selectorELNS0_4arch9wavefront6targetE0EEEvSL_,comdat
.Lfunc_end2060:
	.size	_ZN7rocprim17ROCPRIM_400000_NS6detail17trampoline_kernelINS0_14default_configENS1_36segmented_radix_sort_config_selectorI12hip_bfloat16lEEZNS1_25segmented_radix_sort_implIS3_Lb0EPKS5_PS5_PKlPlN2at6native12_GLOBAL__N_18offset_tEEE10hipError_tPvRmT1_PNSt15iterator_traitsISL_E10value_typeET2_T3_PNSM_ISR_E10value_typeET4_jRbjT5_SX_jjP12ihipStream_tbEUlT_E0_NS1_11comp_targetILNS1_3genE5ELNS1_11target_archE942ELNS1_3gpuE9ELNS1_3repE0EEENS1_60segmented_radix_sort_warp_sort_medium_config_static_selectorELNS0_4arch9wavefront6targetE0EEEvSL_, .Lfunc_end2060-_ZN7rocprim17ROCPRIM_400000_NS6detail17trampoline_kernelINS0_14default_configENS1_36segmented_radix_sort_config_selectorI12hip_bfloat16lEEZNS1_25segmented_radix_sort_implIS3_Lb0EPKS5_PS5_PKlPlN2at6native12_GLOBAL__N_18offset_tEEE10hipError_tPvRmT1_PNSt15iterator_traitsISL_E10value_typeET2_T3_PNSM_ISR_E10value_typeET4_jRbjT5_SX_jjP12ihipStream_tbEUlT_E0_NS1_11comp_targetILNS1_3genE5ELNS1_11target_archE942ELNS1_3gpuE9ELNS1_3repE0EEENS1_60segmented_radix_sort_warp_sort_medium_config_static_selectorELNS0_4arch9wavefront6targetE0EEEvSL_
                                        ; -- End function
	.section	.AMDGPU.csdata,"",@progbits
; Kernel info:
; codeLenInByte = 0
; NumSgprs: 0
; NumVgprs: 0
; ScratchSize: 0
; MemoryBound: 0
; FloatMode: 240
; IeeeMode: 1
; LDSByteSize: 0 bytes/workgroup (compile time only)
; SGPRBlocks: 0
; VGPRBlocks: 0
; NumSGPRsForWavesPerEU: 1
; NumVGPRsForWavesPerEU: 1
; Occupancy: 16
; WaveLimiterHint : 0
; COMPUTE_PGM_RSRC2:SCRATCH_EN: 0
; COMPUTE_PGM_RSRC2:USER_SGPR: 15
; COMPUTE_PGM_RSRC2:TRAP_HANDLER: 0
; COMPUTE_PGM_RSRC2:TGID_X_EN: 1
; COMPUTE_PGM_RSRC2:TGID_Y_EN: 0
; COMPUTE_PGM_RSRC2:TGID_Z_EN: 0
; COMPUTE_PGM_RSRC2:TIDIG_COMP_CNT: 0
	.section	.text._ZN7rocprim17ROCPRIM_400000_NS6detail17trampoline_kernelINS0_14default_configENS1_36segmented_radix_sort_config_selectorI12hip_bfloat16lEEZNS1_25segmented_radix_sort_implIS3_Lb0EPKS5_PS5_PKlPlN2at6native12_GLOBAL__N_18offset_tEEE10hipError_tPvRmT1_PNSt15iterator_traitsISL_E10value_typeET2_T3_PNSM_ISR_E10value_typeET4_jRbjT5_SX_jjP12ihipStream_tbEUlT_E0_NS1_11comp_targetILNS1_3genE4ELNS1_11target_archE910ELNS1_3gpuE8ELNS1_3repE0EEENS1_60segmented_radix_sort_warp_sort_medium_config_static_selectorELNS0_4arch9wavefront6targetE0EEEvSL_,"axG",@progbits,_ZN7rocprim17ROCPRIM_400000_NS6detail17trampoline_kernelINS0_14default_configENS1_36segmented_radix_sort_config_selectorI12hip_bfloat16lEEZNS1_25segmented_radix_sort_implIS3_Lb0EPKS5_PS5_PKlPlN2at6native12_GLOBAL__N_18offset_tEEE10hipError_tPvRmT1_PNSt15iterator_traitsISL_E10value_typeET2_T3_PNSM_ISR_E10value_typeET4_jRbjT5_SX_jjP12ihipStream_tbEUlT_E0_NS1_11comp_targetILNS1_3genE4ELNS1_11target_archE910ELNS1_3gpuE8ELNS1_3repE0EEENS1_60segmented_radix_sort_warp_sort_medium_config_static_selectorELNS0_4arch9wavefront6targetE0EEEvSL_,comdat
	.globl	_ZN7rocprim17ROCPRIM_400000_NS6detail17trampoline_kernelINS0_14default_configENS1_36segmented_radix_sort_config_selectorI12hip_bfloat16lEEZNS1_25segmented_radix_sort_implIS3_Lb0EPKS5_PS5_PKlPlN2at6native12_GLOBAL__N_18offset_tEEE10hipError_tPvRmT1_PNSt15iterator_traitsISL_E10value_typeET2_T3_PNSM_ISR_E10value_typeET4_jRbjT5_SX_jjP12ihipStream_tbEUlT_E0_NS1_11comp_targetILNS1_3genE4ELNS1_11target_archE910ELNS1_3gpuE8ELNS1_3repE0EEENS1_60segmented_radix_sort_warp_sort_medium_config_static_selectorELNS0_4arch9wavefront6targetE0EEEvSL_ ; -- Begin function _ZN7rocprim17ROCPRIM_400000_NS6detail17trampoline_kernelINS0_14default_configENS1_36segmented_radix_sort_config_selectorI12hip_bfloat16lEEZNS1_25segmented_radix_sort_implIS3_Lb0EPKS5_PS5_PKlPlN2at6native12_GLOBAL__N_18offset_tEEE10hipError_tPvRmT1_PNSt15iterator_traitsISL_E10value_typeET2_T3_PNSM_ISR_E10value_typeET4_jRbjT5_SX_jjP12ihipStream_tbEUlT_E0_NS1_11comp_targetILNS1_3genE4ELNS1_11target_archE910ELNS1_3gpuE8ELNS1_3repE0EEENS1_60segmented_radix_sort_warp_sort_medium_config_static_selectorELNS0_4arch9wavefront6targetE0EEEvSL_
	.p2align	8
	.type	_ZN7rocprim17ROCPRIM_400000_NS6detail17trampoline_kernelINS0_14default_configENS1_36segmented_radix_sort_config_selectorI12hip_bfloat16lEEZNS1_25segmented_radix_sort_implIS3_Lb0EPKS5_PS5_PKlPlN2at6native12_GLOBAL__N_18offset_tEEE10hipError_tPvRmT1_PNSt15iterator_traitsISL_E10value_typeET2_T3_PNSM_ISR_E10value_typeET4_jRbjT5_SX_jjP12ihipStream_tbEUlT_E0_NS1_11comp_targetILNS1_3genE4ELNS1_11target_archE910ELNS1_3gpuE8ELNS1_3repE0EEENS1_60segmented_radix_sort_warp_sort_medium_config_static_selectorELNS0_4arch9wavefront6targetE0EEEvSL_,@function
_ZN7rocprim17ROCPRIM_400000_NS6detail17trampoline_kernelINS0_14default_configENS1_36segmented_radix_sort_config_selectorI12hip_bfloat16lEEZNS1_25segmented_radix_sort_implIS3_Lb0EPKS5_PS5_PKlPlN2at6native12_GLOBAL__N_18offset_tEEE10hipError_tPvRmT1_PNSt15iterator_traitsISL_E10value_typeET2_T3_PNSM_ISR_E10value_typeET4_jRbjT5_SX_jjP12ihipStream_tbEUlT_E0_NS1_11comp_targetILNS1_3genE4ELNS1_11target_archE910ELNS1_3gpuE8ELNS1_3repE0EEENS1_60segmented_radix_sort_warp_sort_medium_config_static_selectorELNS0_4arch9wavefront6targetE0EEEvSL_: ; @_ZN7rocprim17ROCPRIM_400000_NS6detail17trampoline_kernelINS0_14default_configENS1_36segmented_radix_sort_config_selectorI12hip_bfloat16lEEZNS1_25segmented_radix_sort_implIS3_Lb0EPKS5_PS5_PKlPlN2at6native12_GLOBAL__N_18offset_tEEE10hipError_tPvRmT1_PNSt15iterator_traitsISL_E10value_typeET2_T3_PNSM_ISR_E10value_typeET4_jRbjT5_SX_jjP12ihipStream_tbEUlT_E0_NS1_11comp_targetILNS1_3genE4ELNS1_11target_archE910ELNS1_3gpuE8ELNS1_3repE0EEENS1_60segmented_radix_sort_warp_sort_medium_config_static_selectorELNS0_4arch9wavefront6targetE0EEEvSL_
; %bb.0:
	.section	.rodata,"a",@progbits
	.p2align	6, 0x0
	.amdhsa_kernel _ZN7rocprim17ROCPRIM_400000_NS6detail17trampoline_kernelINS0_14default_configENS1_36segmented_radix_sort_config_selectorI12hip_bfloat16lEEZNS1_25segmented_radix_sort_implIS3_Lb0EPKS5_PS5_PKlPlN2at6native12_GLOBAL__N_18offset_tEEE10hipError_tPvRmT1_PNSt15iterator_traitsISL_E10value_typeET2_T3_PNSM_ISR_E10value_typeET4_jRbjT5_SX_jjP12ihipStream_tbEUlT_E0_NS1_11comp_targetILNS1_3genE4ELNS1_11target_archE910ELNS1_3gpuE8ELNS1_3repE0EEENS1_60segmented_radix_sort_warp_sort_medium_config_static_selectorELNS0_4arch9wavefront6targetE0EEEvSL_
		.amdhsa_group_segment_fixed_size 0
		.amdhsa_private_segment_fixed_size 0
		.amdhsa_kernarg_size 88
		.amdhsa_user_sgpr_count 15
		.amdhsa_user_sgpr_dispatch_ptr 0
		.amdhsa_user_sgpr_queue_ptr 0
		.amdhsa_user_sgpr_kernarg_segment_ptr 1
		.amdhsa_user_sgpr_dispatch_id 0
		.amdhsa_user_sgpr_private_segment_size 0
		.amdhsa_wavefront_size32 1
		.amdhsa_uses_dynamic_stack 0
		.amdhsa_enable_private_segment 0
		.amdhsa_system_sgpr_workgroup_id_x 1
		.amdhsa_system_sgpr_workgroup_id_y 0
		.amdhsa_system_sgpr_workgroup_id_z 0
		.amdhsa_system_sgpr_workgroup_info 0
		.amdhsa_system_vgpr_workitem_id 0
		.amdhsa_next_free_vgpr 1
		.amdhsa_next_free_sgpr 1
		.amdhsa_reserve_vcc 0
		.amdhsa_float_round_mode_32 0
		.amdhsa_float_round_mode_16_64 0
		.amdhsa_float_denorm_mode_32 3
		.amdhsa_float_denorm_mode_16_64 3
		.amdhsa_dx10_clamp 1
		.amdhsa_ieee_mode 1
		.amdhsa_fp16_overflow 0
		.amdhsa_workgroup_processor_mode 1
		.amdhsa_memory_ordered 1
		.amdhsa_forward_progress 0
		.amdhsa_shared_vgpr_count 0
		.amdhsa_exception_fp_ieee_invalid_op 0
		.amdhsa_exception_fp_denorm_src 0
		.amdhsa_exception_fp_ieee_div_zero 0
		.amdhsa_exception_fp_ieee_overflow 0
		.amdhsa_exception_fp_ieee_underflow 0
		.amdhsa_exception_fp_ieee_inexact 0
		.amdhsa_exception_int_div_zero 0
	.end_amdhsa_kernel
	.section	.text._ZN7rocprim17ROCPRIM_400000_NS6detail17trampoline_kernelINS0_14default_configENS1_36segmented_radix_sort_config_selectorI12hip_bfloat16lEEZNS1_25segmented_radix_sort_implIS3_Lb0EPKS5_PS5_PKlPlN2at6native12_GLOBAL__N_18offset_tEEE10hipError_tPvRmT1_PNSt15iterator_traitsISL_E10value_typeET2_T3_PNSM_ISR_E10value_typeET4_jRbjT5_SX_jjP12ihipStream_tbEUlT_E0_NS1_11comp_targetILNS1_3genE4ELNS1_11target_archE910ELNS1_3gpuE8ELNS1_3repE0EEENS1_60segmented_radix_sort_warp_sort_medium_config_static_selectorELNS0_4arch9wavefront6targetE0EEEvSL_,"axG",@progbits,_ZN7rocprim17ROCPRIM_400000_NS6detail17trampoline_kernelINS0_14default_configENS1_36segmented_radix_sort_config_selectorI12hip_bfloat16lEEZNS1_25segmented_radix_sort_implIS3_Lb0EPKS5_PS5_PKlPlN2at6native12_GLOBAL__N_18offset_tEEE10hipError_tPvRmT1_PNSt15iterator_traitsISL_E10value_typeET2_T3_PNSM_ISR_E10value_typeET4_jRbjT5_SX_jjP12ihipStream_tbEUlT_E0_NS1_11comp_targetILNS1_3genE4ELNS1_11target_archE910ELNS1_3gpuE8ELNS1_3repE0EEENS1_60segmented_radix_sort_warp_sort_medium_config_static_selectorELNS0_4arch9wavefront6targetE0EEEvSL_,comdat
.Lfunc_end2061:
	.size	_ZN7rocprim17ROCPRIM_400000_NS6detail17trampoline_kernelINS0_14default_configENS1_36segmented_radix_sort_config_selectorI12hip_bfloat16lEEZNS1_25segmented_radix_sort_implIS3_Lb0EPKS5_PS5_PKlPlN2at6native12_GLOBAL__N_18offset_tEEE10hipError_tPvRmT1_PNSt15iterator_traitsISL_E10value_typeET2_T3_PNSM_ISR_E10value_typeET4_jRbjT5_SX_jjP12ihipStream_tbEUlT_E0_NS1_11comp_targetILNS1_3genE4ELNS1_11target_archE910ELNS1_3gpuE8ELNS1_3repE0EEENS1_60segmented_radix_sort_warp_sort_medium_config_static_selectorELNS0_4arch9wavefront6targetE0EEEvSL_, .Lfunc_end2061-_ZN7rocprim17ROCPRIM_400000_NS6detail17trampoline_kernelINS0_14default_configENS1_36segmented_radix_sort_config_selectorI12hip_bfloat16lEEZNS1_25segmented_radix_sort_implIS3_Lb0EPKS5_PS5_PKlPlN2at6native12_GLOBAL__N_18offset_tEEE10hipError_tPvRmT1_PNSt15iterator_traitsISL_E10value_typeET2_T3_PNSM_ISR_E10value_typeET4_jRbjT5_SX_jjP12ihipStream_tbEUlT_E0_NS1_11comp_targetILNS1_3genE4ELNS1_11target_archE910ELNS1_3gpuE8ELNS1_3repE0EEENS1_60segmented_radix_sort_warp_sort_medium_config_static_selectorELNS0_4arch9wavefront6targetE0EEEvSL_
                                        ; -- End function
	.section	.AMDGPU.csdata,"",@progbits
; Kernel info:
; codeLenInByte = 0
; NumSgprs: 0
; NumVgprs: 0
; ScratchSize: 0
; MemoryBound: 0
; FloatMode: 240
; IeeeMode: 1
; LDSByteSize: 0 bytes/workgroup (compile time only)
; SGPRBlocks: 0
; VGPRBlocks: 0
; NumSGPRsForWavesPerEU: 1
; NumVGPRsForWavesPerEU: 1
; Occupancy: 16
; WaveLimiterHint : 0
; COMPUTE_PGM_RSRC2:SCRATCH_EN: 0
; COMPUTE_PGM_RSRC2:USER_SGPR: 15
; COMPUTE_PGM_RSRC2:TRAP_HANDLER: 0
; COMPUTE_PGM_RSRC2:TGID_X_EN: 1
; COMPUTE_PGM_RSRC2:TGID_Y_EN: 0
; COMPUTE_PGM_RSRC2:TGID_Z_EN: 0
; COMPUTE_PGM_RSRC2:TIDIG_COMP_CNT: 0
	.section	.text._ZN7rocprim17ROCPRIM_400000_NS6detail17trampoline_kernelINS0_14default_configENS1_36segmented_radix_sort_config_selectorI12hip_bfloat16lEEZNS1_25segmented_radix_sort_implIS3_Lb0EPKS5_PS5_PKlPlN2at6native12_GLOBAL__N_18offset_tEEE10hipError_tPvRmT1_PNSt15iterator_traitsISL_E10value_typeET2_T3_PNSM_ISR_E10value_typeET4_jRbjT5_SX_jjP12ihipStream_tbEUlT_E0_NS1_11comp_targetILNS1_3genE3ELNS1_11target_archE908ELNS1_3gpuE7ELNS1_3repE0EEENS1_60segmented_radix_sort_warp_sort_medium_config_static_selectorELNS0_4arch9wavefront6targetE0EEEvSL_,"axG",@progbits,_ZN7rocprim17ROCPRIM_400000_NS6detail17trampoline_kernelINS0_14default_configENS1_36segmented_radix_sort_config_selectorI12hip_bfloat16lEEZNS1_25segmented_radix_sort_implIS3_Lb0EPKS5_PS5_PKlPlN2at6native12_GLOBAL__N_18offset_tEEE10hipError_tPvRmT1_PNSt15iterator_traitsISL_E10value_typeET2_T3_PNSM_ISR_E10value_typeET4_jRbjT5_SX_jjP12ihipStream_tbEUlT_E0_NS1_11comp_targetILNS1_3genE3ELNS1_11target_archE908ELNS1_3gpuE7ELNS1_3repE0EEENS1_60segmented_radix_sort_warp_sort_medium_config_static_selectorELNS0_4arch9wavefront6targetE0EEEvSL_,comdat
	.globl	_ZN7rocprim17ROCPRIM_400000_NS6detail17trampoline_kernelINS0_14default_configENS1_36segmented_radix_sort_config_selectorI12hip_bfloat16lEEZNS1_25segmented_radix_sort_implIS3_Lb0EPKS5_PS5_PKlPlN2at6native12_GLOBAL__N_18offset_tEEE10hipError_tPvRmT1_PNSt15iterator_traitsISL_E10value_typeET2_T3_PNSM_ISR_E10value_typeET4_jRbjT5_SX_jjP12ihipStream_tbEUlT_E0_NS1_11comp_targetILNS1_3genE3ELNS1_11target_archE908ELNS1_3gpuE7ELNS1_3repE0EEENS1_60segmented_radix_sort_warp_sort_medium_config_static_selectorELNS0_4arch9wavefront6targetE0EEEvSL_ ; -- Begin function _ZN7rocprim17ROCPRIM_400000_NS6detail17trampoline_kernelINS0_14default_configENS1_36segmented_radix_sort_config_selectorI12hip_bfloat16lEEZNS1_25segmented_radix_sort_implIS3_Lb0EPKS5_PS5_PKlPlN2at6native12_GLOBAL__N_18offset_tEEE10hipError_tPvRmT1_PNSt15iterator_traitsISL_E10value_typeET2_T3_PNSM_ISR_E10value_typeET4_jRbjT5_SX_jjP12ihipStream_tbEUlT_E0_NS1_11comp_targetILNS1_3genE3ELNS1_11target_archE908ELNS1_3gpuE7ELNS1_3repE0EEENS1_60segmented_radix_sort_warp_sort_medium_config_static_selectorELNS0_4arch9wavefront6targetE0EEEvSL_
	.p2align	8
	.type	_ZN7rocprim17ROCPRIM_400000_NS6detail17trampoline_kernelINS0_14default_configENS1_36segmented_radix_sort_config_selectorI12hip_bfloat16lEEZNS1_25segmented_radix_sort_implIS3_Lb0EPKS5_PS5_PKlPlN2at6native12_GLOBAL__N_18offset_tEEE10hipError_tPvRmT1_PNSt15iterator_traitsISL_E10value_typeET2_T3_PNSM_ISR_E10value_typeET4_jRbjT5_SX_jjP12ihipStream_tbEUlT_E0_NS1_11comp_targetILNS1_3genE3ELNS1_11target_archE908ELNS1_3gpuE7ELNS1_3repE0EEENS1_60segmented_radix_sort_warp_sort_medium_config_static_selectorELNS0_4arch9wavefront6targetE0EEEvSL_,@function
_ZN7rocprim17ROCPRIM_400000_NS6detail17trampoline_kernelINS0_14default_configENS1_36segmented_radix_sort_config_selectorI12hip_bfloat16lEEZNS1_25segmented_radix_sort_implIS3_Lb0EPKS5_PS5_PKlPlN2at6native12_GLOBAL__N_18offset_tEEE10hipError_tPvRmT1_PNSt15iterator_traitsISL_E10value_typeET2_T3_PNSM_ISR_E10value_typeET4_jRbjT5_SX_jjP12ihipStream_tbEUlT_E0_NS1_11comp_targetILNS1_3genE3ELNS1_11target_archE908ELNS1_3gpuE7ELNS1_3repE0EEENS1_60segmented_radix_sort_warp_sort_medium_config_static_selectorELNS0_4arch9wavefront6targetE0EEEvSL_: ; @_ZN7rocprim17ROCPRIM_400000_NS6detail17trampoline_kernelINS0_14default_configENS1_36segmented_radix_sort_config_selectorI12hip_bfloat16lEEZNS1_25segmented_radix_sort_implIS3_Lb0EPKS5_PS5_PKlPlN2at6native12_GLOBAL__N_18offset_tEEE10hipError_tPvRmT1_PNSt15iterator_traitsISL_E10value_typeET2_T3_PNSM_ISR_E10value_typeET4_jRbjT5_SX_jjP12ihipStream_tbEUlT_E0_NS1_11comp_targetILNS1_3genE3ELNS1_11target_archE908ELNS1_3gpuE7ELNS1_3repE0EEENS1_60segmented_radix_sort_warp_sort_medium_config_static_selectorELNS0_4arch9wavefront6targetE0EEEvSL_
; %bb.0:
	.section	.rodata,"a",@progbits
	.p2align	6, 0x0
	.amdhsa_kernel _ZN7rocprim17ROCPRIM_400000_NS6detail17trampoline_kernelINS0_14default_configENS1_36segmented_radix_sort_config_selectorI12hip_bfloat16lEEZNS1_25segmented_radix_sort_implIS3_Lb0EPKS5_PS5_PKlPlN2at6native12_GLOBAL__N_18offset_tEEE10hipError_tPvRmT1_PNSt15iterator_traitsISL_E10value_typeET2_T3_PNSM_ISR_E10value_typeET4_jRbjT5_SX_jjP12ihipStream_tbEUlT_E0_NS1_11comp_targetILNS1_3genE3ELNS1_11target_archE908ELNS1_3gpuE7ELNS1_3repE0EEENS1_60segmented_radix_sort_warp_sort_medium_config_static_selectorELNS0_4arch9wavefront6targetE0EEEvSL_
		.amdhsa_group_segment_fixed_size 0
		.amdhsa_private_segment_fixed_size 0
		.amdhsa_kernarg_size 88
		.amdhsa_user_sgpr_count 15
		.amdhsa_user_sgpr_dispatch_ptr 0
		.amdhsa_user_sgpr_queue_ptr 0
		.amdhsa_user_sgpr_kernarg_segment_ptr 1
		.amdhsa_user_sgpr_dispatch_id 0
		.amdhsa_user_sgpr_private_segment_size 0
		.amdhsa_wavefront_size32 1
		.amdhsa_uses_dynamic_stack 0
		.amdhsa_enable_private_segment 0
		.amdhsa_system_sgpr_workgroup_id_x 1
		.amdhsa_system_sgpr_workgroup_id_y 0
		.amdhsa_system_sgpr_workgroup_id_z 0
		.amdhsa_system_sgpr_workgroup_info 0
		.amdhsa_system_vgpr_workitem_id 0
		.amdhsa_next_free_vgpr 1
		.amdhsa_next_free_sgpr 1
		.amdhsa_reserve_vcc 0
		.amdhsa_float_round_mode_32 0
		.amdhsa_float_round_mode_16_64 0
		.amdhsa_float_denorm_mode_32 3
		.amdhsa_float_denorm_mode_16_64 3
		.amdhsa_dx10_clamp 1
		.amdhsa_ieee_mode 1
		.amdhsa_fp16_overflow 0
		.amdhsa_workgroup_processor_mode 1
		.amdhsa_memory_ordered 1
		.amdhsa_forward_progress 0
		.amdhsa_shared_vgpr_count 0
		.amdhsa_exception_fp_ieee_invalid_op 0
		.amdhsa_exception_fp_denorm_src 0
		.amdhsa_exception_fp_ieee_div_zero 0
		.amdhsa_exception_fp_ieee_overflow 0
		.amdhsa_exception_fp_ieee_underflow 0
		.amdhsa_exception_fp_ieee_inexact 0
		.amdhsa_exception_int_div_zero 0
	.end_amdhsa_kernel
	.section	.text._ZN7rocprim17ROCPRIM_400000_NS6detail17trampoline_kernelINS0_14default_configENS1_36segmented_radix_sort_config_selectorI12hip_bfloat16lEEZNS1_25segmented_radix_sort_implIS3_Lb0EPKS5_PS5_PKlPlN2at6native12_GLOBAL__N_18offset_tEEE10hipError_tPvRmT1_PNSt15iterator_traitsISL_E10value_typeET2_T3_PNSM_ISR_E10value_typeET4_jRbjT5_SX_jjP12ihipStream_tbEUlT_E0_NS1_11comp_targetILNS1_3genE3ELNS1_11target_archE908ELNS1_3gpuE7ELNS1_3repE0EEENS1_60segmented_radix_sort_warp_sort_medium_config_static_selectorELNS0_4arch9wavefront6targetE0EEEvSL_,"axG",@progbits,_ZN7rocprim17ROCPRIM_400000_NS6detail17trampoline_kernelINS0_14default_configENS1_36segmented_radix_sort_config_selectorI12hip_bfloat16lEEZNS1_25segmented_radix_sort_implIS3_Lb0EPKS5_PS5_PKlPlN2at6native12_GLOBAL__N_18offset_tEEE10hipError_tPvRmT1_PNSt15iterator_traitsISL_E10value_typeET2_T3_PNSM_ISR_E10value_typeET4_jRbjT5_SX_jjP12ihipStream_tbEUlT_E0_NS1_11comp_targetILNS1_3genE3ELNS1_11target_archE908ELNS1_3gpuE7ELNS1_3repE0EEENS1_60segmented_radix_sort_warp_sort_medium_config_static_selectorELNS0_4arch9wavefront6targetE0EEEvSL_,comdat
.Lfunc_end2062:
	.size	_ZN7rocprim17ROCPRIM_400000_NS6detail17trampoline_kernelINS0_14default_configENS1_36segmented_radix_sort_config_selectorI12hip_bfloat16lEEZNS1_25segmented_radix_sort_implIS3_Lb0EPKS5_PS5_PKlPlN2at6native12_GLOBAL__N_18offset_tEEE10hipError_tPvRmT1_PNSt15iterator_traitsISL_E10value_typeET2_T3_PNSM_ISR_E10value_typeET4_jRbjT5_SX_jjP12ihipStream_tbEUlT_E0_NS1_11comp_targetILNS1_3genE3ELNS1_11target_archE908ELNS1_3gpuE7ELNS1_3repE0EEENS1_60segmented_radix_sort_warp_sort_medium_config_static_selectorELNS0_4arch9wavefront6targetE0EEEvSL_, .Lfunc_end2062-_ZN7rocprim17ROCPRIM_400000_NS6detail17trampoline_kernelINS0_14default_configENS1_36segmented_radix_sort_config_selectorI12hip_bfloat16lEEZNS1_25segmented_radix_sort_implIS3_Lb0EPKS5_PS5_PKlPlN2at6native12_GLOBAL__N_18offset_tEEE10hipError_tPvRmT1_PNSt15iterator_traitsISL_E10value_typeET2_T3_PNSM_ISR_E10value_typeET4_jRbjT5_SX_jjP12ihipStream_tbEUlT_E0_NS1_11comp_targetILNS1_3genE3ELNS1_11target_archE908ELNS1_3gpuE7ELNS1_3repE0EEENS1_60segmented_radix_sort_warp_sort_medium_config_static_selectorELNS0_4arch9wavefront6targetE0EEEvSL_
                                        ; -- End function
	.section	.AMDGPU.csdata,"",@progbits
; Kernel info:
; codeLenInByte = 0
; NumSgprs: 0
; NumVgprs: 0
; ScratchSize: 0
; MemoryBound: 0
; FloatMode: 240
; IeeeMode: 1
; LDSByteSize: 0 bytes/workgroup (compile time only)
; SGPRBlocks: 0
; VGPRBlocks: 0
; NumSGPRsForWavesPerEU: 1
; NumVGPRsForWavesPerEU: 1
; Occupancy: 16
; WaveLimiterHint : 0
; COMPUTE_PGM_RSRC2:SCRATCH_EN: 0
; COMPUTE_PGM_RSRC2:USER_SGPR: 15
; COMPUTE_PGM_RSRC2:TRAP_HANDLER: 0
; COMPUTE_PGM_RSRC2:TGID_X_EN: 1
; COMPUTE_PGM_RSRC2:TGID_Y_EN: 0
; COMPUTE_PGM_RSRC2:TGID_Z_EN: 0
; COMPUTE_PGM_RSRC2:TIDIG_COMP_CNT: 0
	.section	.text._ZN7rocprim17ROCPRIM_400000_NS6detail17trampoline_kernelINS0_14default_configENS1_36segmented_radix_sort_config_selectorI12hip_bfloat16lEEZNS1_25segmented_radix_sort_implIS3_Lb0EPKS5_PS5_PKlPlN2at6native12_GLOBAL__N_18offset_tEEE10hipError_tPvRmT1_PNSt15iterator_traitsISL_E10value_typeET2_T3_PNSM_ISR_E10value_typeET4_jRbjT5_SX_jjP12ihipStream_tbEUlT_E0_NS1_11comp_targetILNS1_3genE2ELNS1_11target_archE906ELNS1_3gpuE6ELNS1_3repE0EEENS1_60segmented_radix_sort_warp_sort_medium_config_static_selectorELNS0_4arch9wavefront6targetE0EEEvSL_,"axG",@progbits,_ZN7rocprim17ROCPRIM_400000_NS6detail17trampoline_kernelINS0_14default_configENS1_36segmented_radix_sort_config_selectorI12hip_bfloat16lEEZNS1_25segmented_radix_sort_implIS3_Lb0EPKS5_PS5_PKlPlN2at6native12_GLOBAL__N_18offset_tEEE10hipError_tPvRmT1_PNSt15iterator_traitsISL_E10value_typeET2_T3_PNSM_ISR_E10value_typeET4_jRbjT5_SX_jjP12ihipStream_tbEUlT_E0_NS1_11comp_targetILNS1_3genE2ELNS1_11target_archE906ELNS1_3gpuE6ELNS1_3repE0EEENS1_60segmented_radix_sort_warp_sort_medium_config_static_selectorELNS0_4arch9wavefront6targetE0EEEvSL_,comdat
	.globl	_ZN7rocprim17ROCPRIM_400000_NS6detail17trampoline_kernelINS0_14default_configENS1_36segmented_radix_sort_config_selectorI12hip_bfloat16lEEZNS1_25segmented_radix_sort_implIS3_Lb0EPKS5_PS5_PKlPlN2at6native12_GLOBAL__N_18offset_tEEE10hipError_tPvRmT1_PNSt15iterator_traitsISL_E10value_typeET2_T3_PNSM_ISR_E10value_typeET4_jRbjT5_SX_jjP12ihipStream_tbEUlT_E0_NS1_11comp_targetILNS1_3genE2ELNS1_11target_archE906ELNS1_3gpuE6ELNS1_3repE0EEENS1_60segmented_radix_sort_warp_sort_medium_config_static_selectorELNS0_4arch9wavefront6targetE0EEEvSL_ ; -- Begin function _ZN7rocprim17ROCPRIM_400000_NS6detail17trampoline_kernelINS0_14default_configENS1_36segmented_radix_sort_config_selectorI12hip_bfloat16lEEZNS1_25segmented_radix_sort_implIS3_Lb0EPKS5_PS5_PKlPlN2at6native12_GLOBAL__N_18offset_tEEE10hipError_tPvRmT1_PNSt15iterator_traitsISL_E10value_typeET2_T3_PNSM_ISR_E10value_typeET4_jRbjT5_SX_jjP12ihipStream_tbEUlT_E0_NS1_11comp_targetILNS1_3genE2ELNS1_11target_archE906ELNS1_3gpuE6ELNS1_3repE0EEENS1_60segmented_radix_sort_warp_sort_medium_config_static_selectorELNS0_4arch9wavefront6targetE0EEEvSL_
	.p2align	8
	.type	_ZN7rocprim17ROCPRIM_400000_NS6detail17trampoline_kernelINS0_14default_configENS1_36segmented_radix_sort_config_selectorI12hip_bfloat16lEEZNS1_25segmented_radix_sort_implIS3_Lb0EPKS5_PS5_PKlPlN2at6native12_GLOBAL__N_18offset_tEEE10hipError_tPvRmT1_PNSt15iterator_traitsISL_E10value_typeET2_T3_PNSM_ISR_E10value_typeET4_jRbjT5_SX_jjP12ihipStream_tbEUlT_E0_NS1_11comp_targetILNS1_3genE2ELNS1_11target_archE906ELNS1_3gpuE6ELNS1_3repE0EEENS1_60segmented_radix_sort_warp_sort_medium_config_static_selectorELNS0_4arch9wavefront6targetE0EEEvSL_,@function
_ZN7rocprim17ROCPRIM_400000_NS6detail17trampoline_kernelINS0_14default_configENS1_36segmented_radix_sort_config_selectorI12hip_bfloat16lEEZNS1_25segmented_radix_sort_implIS3_Lb0EPKS5_PS5_PKlPlN2at6native12_GLOBAL__N_18offset_tEEE10hipError_tPvRmT1_PNSt15iterator_traitsISL_E10value_typeET2_T3_PNSM_ISR_E10value_typeET4_jRbjT5_SX_jjP12ihipStream_tbEUlT_E0_NS1_11comp_targetILNS1_3genE2ELNS1_11target_archE906ELNS1_3gpuE6ELNS1_3repE0EEENS1_60segmented_radix_sort_warp_sort_medium_config_static_selectorELNS0_4arch9wavefront6targetE0EEEvSL_: ; @_ZN7rocprim17ROCPRIM_400000_NS6detail17trampoline_kernelINS0_14default_configENS1_36segmented_radix_sort_config_selectorI12hip_bfloat16lEEZNS1_25segmented_radix_sort_implIS3_Lb0EPKS5_PS5_PKlPlN2at6native12_GLOBAL__N_18offset_tEEE10hipError_tPvRmT1_PNSt15iterator_traitsISL_E10value_typeET2_T3_PNSM_ISR_E10value_typeET4_jRbjT5_SX_jjP12ihipStream_tbEUlT_E0_NS1_11comp_targetILNS1_3genE2ELNS1_11target_archE906ELNS1_3gpuE6ELNS1_3repE0EEENS1_60segmented_radix_sort_warp_sort_medium_config_static_selectorELNS0_4arch9wavefront6targetE0EEEvSL_
; %bb.0:
	.section	.rodata,"a",@progbits
	.p2align	6, 0x0
	.amdhsa_kernel _ZN7rocprim17ROCPRIM_400000_NS6detail17trampoline_kernelINS0_14default_configENS1_36segmented_radix_sort_config_selectorI12hip_bfloat16lEEZNS1_25segmented_radix_sort_implIS3_Lb0EPKS5_PS5_PKlPlN2at6native12_GLOBAL__N_18offset_tEEE10hipError_tPvRmT1_PNSt15iterator_traitsISL_E10value_typeET2_T3_PNSM_ISR_E10value_typeET4_jRbjT5_SX_jjP12ihipStream_tbEUlT_E0_NS1_11comp_targetILNS1_3genE2ELNS1_11target_archE906ELNS1_3gpuE6ELNS1_3repE0EEENS1_60segmented_radix_sort_warp_sort_medium_config_static_selectorELNS0_4arch9wavefront6targetE0EEEvSL_
		.amdhsa_group_segment_fixed_size 0
		.amdhsa_private_segment_fixed_size 0
		.amdhsa_kernarg_size 88
		.amdhsa_user_sgpr_count 15
		.amdhsa_user_sgpr_dispatch_ptr 0
		.amdhsa_user_sgpr_queue_ptr 0
		.amdhsa_user_sgpr_kernarg_segment_ptr 1
		.amdhsa_user_sgpr_dispatch_id 0
		.amdhsa_user_sgpr_private_segment_size 0
		.amdhsa_wavefront_size32 1
		.amdhsa_uses_dynamic_stack 0
		.amdhsa_enable_private_segment 0
		.amdhsa_system_sgpr_workgroup_id_x 1
		.amdhsa_system_sgpr_workgroup_id_y 0
		.amdhsa_system_sgpr_workgroup_id_z 0
		.amdhsa_system_sgpr_workgroup_info 0
		.amdhsa_system_vgpr_workitem_id 0
		.amdhsa_next_free_vgpr 1
		.amdhsa_next_free_sgpr 1
		.amdhsa_reserve_vcc 0
		.amdhsa_float_round_mode_32 0
		.amdhsa_float_round_mode_16_64 0
		.amdhsa_float_denorm_mode_32 3
		.amdhsa_float_denorm_mode_16_64 3
		.amdhsa_dx10_clamp 1
		.amdhsa_ieee_mode 1
		.amdhsa_fp16_overflow 0
		.amdhsa_workgroup_processor_mode 1
		.amdhsa_memory_ordered 1
		.amdhsa_forward_progress 0
		.amdhsa_shared_vgpr_count 0
		.amdhsa_exception_fp_ieee_invalid_op 0
		.amdhsa_exception_fp_denorm_src 0
		.amdhsa_exception_fp_ieee_div_zero 0
		.amdhsa_exception_fp_ieee_overflow 0
		.amdhsa_exception_fp_ieee_underflow 0
		.amdhsa_exception_fp_ieee_inexact 0
		.amdhsa_exception_int_div_zero 0
	.end_amdhsa_kernel
	.section	.text._ZN7rocprim17ROCPRIM_400000_NS6detail17trampoline_kernelINS0_14default_configENS1_36segmented_radix_sort_config_selectorI12hip_bfloat16lEEZNS1_25segmented_radix_sort_implIS3_Lb0EPKS5_PS5_PKlPlN2at6native12_GLOBAL__N_18offset_tEEE10hipError_tPvRmT1_PNSt15iterator_traitsISL_E10value_typeET2_T3_PNSM_ISR_E10value_typeET4_jRbjT5_SX_jjP12ihipStream_tbEUlT_E0_NS1_11comp_targetILNS1_3genE2ELNS1_11target_archE906ELNS1_3gpuE6ELNS1_3repE0EEENS1_60segmented_radix_sort_warp_sort_medium_config_static_selectorELNS0_4arch9wavefront6targetE0EEEvSL_,"axG",@progbits,_ZN7rocprim17ROCPRIM_400000_NS6detail17trampoline_kernelINS0_14default_configENS1_36segmented_radix_sort_config_selectorI12hip_bfloat16lEEZNS1_25segmented_radix_sort_implIS3_Lb0EPKS5_PS5_PKlPlN2at6native12_GLOBAL__N_18offset_tEEE10hipError_tPvRmT1_PNSt15iterator_traitsISL_E10value_typeET2_T3_PNSM_ISR_E10value_typeET4_jRbjT5_SX_jjP12ihipStream_tbEUlT_E0_NS1_11comp_targetILNS1_3genE2ELNS1_11target_archE906ELNS1_3gpuE6ELNS1_3repE0EEENS1_60segmented_radix_sort_warp_sort_medium_config_static_selectorELNS0_4arch9wavefront6targetE0EEEvSL_,comdat
.Lfunc_end2063:
	.size	_ZN7rocprim17ROCPRIM_400000_NS6detail17trampoline_kernelINS0_14default_configENS1_36segmented_radix_sort_config_selectorI12hip_bfloat16lEEZNS1_25segmented_radix_sort_implIS3_Lb0EPKS5_PS5_PKlPlN2at6native12_GLOBAL__N_18offset_tEEE10hipError_tPvRmT1_PNSt15iterator_traitsISL_E10value_typeET2_T3_PNSM_ISR_E10value_typeET4_jRbjT5_SX_jjP12ihipStream_tbEUlT_E0_NS1_11comp_targetILNS1_3genE2ELNS1_11target_archE906ELNS1_3gpuE6ELNS1_3repE0EEENS1_60segmented_radix_sort_warp_sort_medium_config_static_selectorELNS0_4arch9wavefront6targetE0EEEvSL_, .Lfunc_end2063-_ZN7rocprim17ROCPRIM_400000_NS6detail17trampoline_kernelINS0_14default_configENS1_36segmented_radix_sort_config_selectorI12hip_bfloat16lEEZNS1_25segmented_radix_sort_implIS3_Lb0EPKS5_PS5_PKlPlN2at6native12_GLOBAL__N_18offset_tEEE10hipError_tPvRmT1_PNSt15iterator_traitsISL_E10value_typeET2_T3_PNSM_ISR_E10value_typeET4_jRbjT5_SX_jjP12ihipStream_tbEUlT_E0_NS1_11comp_targetILNS1_3genE2ELNS1_11target_archE906ELNS1_3gpuE6ELNS1_3repE0EEENS1_60segmented_radix_sort_warp_sort_medium_config_static_selectorELNS0_4arch9wavefront6targetE0EEEvSL_
                                        ; -- End function
	.section	.AMDGPU.csdata,"",@progbits
; Kernel info:
; codeLenInByte = 0
; NumSgprs: 0
; NumVgprs: 0
; ScratchSize: 0
; MemoryBound: 0
; FloatMode: 240
; IeeeMode: 1
; LDSByteSize: 0 bytes/workgroup (compile time only)
; SGPRBlocks: 0
; VGPRBlocks: 0
; NumSGPRsForWavesPerEU: 1
; NumVGPRsForWavesPerEU: 1
; Occupancy: 16
; WaveLimiterHint : 0
; COMPUTE_PGM_RSRC2:SCRATCH_EN: 0
; COMPUTE_PGM_RSRC2:USER_SGPR: 15
; COMPUTE_PGM_RSRC2:TRAP_HANDLER: 0
; COMPUTE_PGM_RSRC2:TGID_X_EN: 1
; COMPUTE_PGM_RSRC2:TGID_Y_EN: 0
; COMPUTE_PGM_RSRC2:TGID_Z_EN: 0
; COMPUTE_PGM_RSRC2:TIDIG_COMP_CNT: 0
	.section	.text._ZN7rocprim17ROCPRIM_400000_NS6detail17trampoline_kernelINS0_14default_configENS1_36segmented_radix_sort_config_selectorI12hip_bfloat16lEEZNS1_25segmented_radix_sort_implIS3_Lb0EPKS5_PS5_PKlPlN2at6native12_GLOBAL__N_18offset_tEEE10hipError_tPvRmT1_PNSt15iterator_traitsISL_E10value_typeET2_T3_PNSM_ISR_E10value_typeET4_jRbjT5_SX_jjP12ihipStream_tbEUlT_E0_NS1_11comp_targetILNS1_3genE10ELNS1_11target_archE1201ELNS1_3gpuE5ELNS1_3repE0EEENS1_60segmented_radix_sort_warp_sort_medium_config_static_selectorELNS0_4arch9wavefront6targetE0EEEvSL_,"axG",@progbits,_ZN7rocprim17ROCPRIM_400000_NS6detail17trampoline_kernelINS0_14default_configENS1_36segmented_radix_sort_config_selectorI12hip_bfloat16lEEZNS1_25segmented_radix_sort_implIS3_Lb0EPKS5_PS5_PKlPlN2at6native12_GLOBAL__N_18offset_tEEE10hipError_tPvRmT1_PNSt15iterator_traitsISL_E10value_typeET2_T3_PNSM_ISR_E10value_typeET4_jRbjT5_SX_jjP12ihipStream_tbEUlT_E0_NS1_11comp_targetILNS1_3genE10ELNS1_11target_archE1201ELNS1_3gpuE5ELNS1_3repE0EEENS1_60segmented_radix_sort_warp_sort_medium_config_static_selectorELNS0_4arch9wavefront6targetE0EEEvSL_,comdat
	.globl	_ZN7rocprim17ROCPRIM_400000_NS6detail17trampoline_kernelINS0_14default_configENS1_36segmented_radix_sort_config_selectorI12hip_bfloat16lEEZNS1_25segmented_radix_sort_implIS3_Lb0EPKS5_PS5_PKlPlN2at6native12_GLOBAL__N_18offset_tEEE10hipError_tPvRmT1_PNSt15iterator_traitsISL_E10value_typeET2_T3_PNSM_ISR_E10value_typeET4_jRbjT5_SX_jjP12ihipStream_tbEUlT_E0_NS1_11comp_targetILNS1_3genE10ELNS1_11target_archE1201ELNS1_3gpuE5ELNS1_3repE0EEENS1_60segmented_radix_sort_warp_sort_medium_config_static_selectorELNS0_4arch9wavefront6targetE0EEEvSL_ ; -- Begin function _ZN7rocprim17ROCPRIM_400000_NS6detail17trampoline_kernelINS0_14default_configENS1_36segmented_radix_sort_config_selectorI12hip_bfloat16lEEZNS1_25segmented_radix_sort_implIS3_Lb0EPKS5_PS5_PKlPlN2at6native12_GLOBAL__N_18offset_tEEE10hipError_tPvRmT1_PNSt15iterator_traitsISL_E10value_typeET2_T3_PNSM_ISR_E10value_typeET4_jRbjT5_SX_jjP12ihipStream_tbEUlT_E0_NS1_11comp_targetILNS1_3genE10ELNS1_11target_archE1201ELNS1_3gpuE5ELNS1_3repE0EEENS1_60segmented_radix_sort_warp_sort_medium_config_static_selectorELNS0_4arch9wavefront6targetE0EEEvSL_
	.p2align	8
	.type	_ZN7rocprim17ROCPRIM_400000_NS6detail17trampoline_kernelINS0_14default_configENS1_36segmented_radix_sort_config_selectorI12hip_bfloat16lEEZNS1_25segmented_radix_sort_implIS3_Lb0EPKS5_PS5_PKlPlN2at6native12_GLOBAL__N_18offset_tEEE10hipError_tPvRmT1_PNSt15iterator_traitsISL_E10value_typeET2_T3_PNSM_ISR_E10value_typeET4_jRbjT5_SX_jjP12ihipStream_tbEUlT_E0_NS1_11comp_targetILNS1_3genE10ELNS1_11target_archE1201ELNS1_3gpuE5ELNS1_3repE0EEENS1_60segmented_radix_sort_warp_sort_medium_config_static_selectorELNS0_4arch9wavefront6targetE0EEEvSL_,@function
_ZN7rocprim17ROCPRIM_400000_NS6detail17trampoline_kernelINS0_14default_configENS1_36segmented_radix_sort_config_selectorI12hip_bfloat16lEEZNS1_25segmented_radix_sort_implIS3_Lb0EPKS5_PS5_PKlPlN2at6native12_GLOBAL__N_18offset_tEEE10hipError_tPvRmT1_PNSt15iterator_traitsISL_E10value_typeET2_T3_PNSM_ISR_E10value_typeET4_jRbjT5_SX_jjP12ihipStream_tbEUlT_E0_NS1_11comp_targetILNS1_3genE10ELNS1_11target_archE1201ELNS1_3gpuE5ELNS1_3repE0EEENS1_60segmented_radix_sort_warp_sort_medium_config_static_selectorELNS0_4arch9wavefront6targetE0EEEvSL_: ; @_ZN7rocprim17ROCPRIM_400000_NS6detail17trampoline_kernelINS0_14default_configENS1_36segmented_radix_sort_config_selectorI12hip_bfloat16lEEZNS1_25segmented_radix_sort_implIS3_Lb0EPKS5_PS5_PKlPlN2at6native12_GLOBAL__N_18offset_tEEE10hipError_tPvRmT1_PNSt15iterator_traitsISL_E10value_typeET2_T3_PNSM_ISR_E10value_typeET4_jRbjT5_SX_jjP12ihipStream_tbEUlT_E0_NS1_11comp_targetILNS1_3genE10ELNS1_11target_archE1201ELNS1_3gpuE5ELNS1_3repE0EEENS1_60segmented_radix_sort_warp_sort_medium_config_static_selectorELNS0_4arch9wavefront6targetE0EEEvSL_
; %bb.0:
	.section	.rodata,"a",@progbits
	.p2align	6, 0x0
	.amdhsa_kernel _ZN7rocprim17ROCPRIM_400000_NS6detail17trampoline_kernelINS0_14default_configENS1_36segmented_radix_sort_config_selectorI12hip_bfloat16lEEZNS1_25segmented_radix_sort_implIS3_Lb0EPKS5_PS5_PKlPlN2at6native12_GLOBAL__N_18offset_tEEE10hipError_tPvRmT1_PNSt15iterator_traitsISL_E10value_typeET2_T3_PNSM_ISR_E10value_typeET4_jRbjT5_SX_jjP12ihipStream_tbEUlT_E0_NS1_11comp_targetILNS1_3genE10ELNS1_11target_archE1201ELNS1_3gpuE5ELNS1_3repE0EEENS1_60segmented_radix_sort_warp_sort_medium_config_static_selectorELNS0_4arch9wavefront6targetE0EEEvSL_
		.amdhsa_group_segment_fixed_size 0
		.amdhsa_private_segment_fixed_size 0
		.amdhsa_kernarg_size 88
		.amdhsa_user_sgpr_count 15
		.amdhsa_user_sgpr_dispatch_ptr 0
		.amdhsa_user_sgpr_queue_ptr 0
		.amdhsa_user_sgpr_kernarg_segment_ptr 1
		.amdhsa_user_sgpr_dispatch_id 0
		.amdhsa_user_sgpr_private_segment_size 0
		.amdhsa_wavefront_size32 1
		.amdhsa_uses_dynamic_stack 0
		.amdhsa_enable_private_segment 0
		.amdhsa_system_sgpr_workgroup_id_x 1
		.amdhsa_system_sgpr_workgroup_id_y 0
		.amdhsa_system_sgpr_workgroup_id_z 0
		.amdhsa_system_sgpr_workgroup_info 0
		.amdhsa_system_vgpr_workitem_id 0
		.amdhsa_next_free_vgpr 1
		.amdhsa_next_free_sgpr 1
		.amdhsa_reserve_vcc 0
		.amdhsa_float_round_mode_32 0
		.amdhsa_float_round_mode_16_64 0
		.amdhsa_float_denorm_mode_32 3
		.amdhsa_float_denorm_mode_16_64 3
		.amdhsa_dx10_clamp 1
		.amdhsa_ieee_mode 1
		.amdhsa_fp16_overflow 0
		.amdhsa_workgroup_processor_mode 1
		.amdhsa_memory_ordered 1
		.amdhsa_forward_progress 0
		.amdhsa_shared_vgpr_count 0
		.amdhsa_exception_fp_ieee_invalid_op 0
		.amdhsa_exception_fp_denorm_src 0
		.amdhsa_exception_fp_ieee_div_zero 0
		.amdhsa_exception_fp_ieee_overflow 0
		.amdhsa_exception_fp_ieee_underflow 0
		.amdhsa_exception_fp_ieee_inexact 0
		.amdhsa_exception_int_div_zero 0
	.end_amdhsa_kernel
	.section	.text._ZN7rocprim17ROCPRIM_400000_NS6detail17trampoline_kernelINS0_14default_configENS1_36segmented_radix_sort_config_selectorI12hip_bfloat16lEEZNS1_25segmented_radix_sort_implIS3_Lb0EPKS5_PS5_PKlPlN2at6native12_GLOBAL__N_18offset_tEEE10hipError_tPvRmT1_PNSt15iterator_traitsISL_E10value_typeET2_T3_PNSM_ISR_E10value_typeET4_jRbjT5_SX_jjP12ihipStream_tbEUlT_E0_NS1_11comp_targetILNS1_3genE10ELNS1_11target_archE1201ELNS1_3gpuE5ELNS1_3repE0EEENS1_60segmented_radix_sort_warp_sort_medium_config_static_selectorELNS0_4arch9wavefront6targetE0EEEvSL_,"axG",@progbits,_ZN7rocprim17ROCPRIM_400000_NS6detail17trampoline_kernelINS0_14default_configENS1_36segmented_radix_sort_config_selectorI12hip_bfloat16lEEZNS1_25segmented_radix_sort_implIS3_Lb0EPKS5_PS5_PKlPlN2at6native12_GLOBAL__N_18offset_tEEE10hipError_tPvRmT1_PNSt15iterator_traitsISL_E10value_typeET2_T3_PNSM_ISR_E10value_typeET4_jRbjT5_SX_jjP12ihipStream_tbEUlT_E0_NS1_11comp_targetILNS1_3genE10ELNS1_11target_archE1201ELNS1_3gpuE5ELNS1_3repE0EEENS1_60segmented_radix_sort_warp_sort_medium_config_static_selectorELNS0_4arch9wavefront6targetE0EEEvSL_,comdat
.Lfunc_end2064:
	.size	_ZN7rocprim17ROCPRIM_400000_NS6detail17trampoline_kernelINS0_14default_configENS1_36segmented_radix_sort_config_selectorI12hip_bfloat16lEEZNS1_25segmented_radix_sort_implIS3_Lb0EPKS5_PS5_PKlPlN2at6native12_GLOBAL__N_18offset_tEEE10hipError_tPvRmT1_PNSt15iterator_traitsISL_E10value_typeET2_T3_PNSM_ISR_E10value_typeET4_jRbjT5_SX_jjP12ihipStream_tbEUlT_E0_NS1_11comp_targetILNS1_3genE10ELNS1_11target_archE1201ELNS1_3gpuE5ELNS1_3repE0EEENS1_60segmented_radix_sort_warp_sort_medium_config_static_selectorELNS0_4arch9wavefront6targetE0EEEvSL_, .Lfunc_end2064-_ZN7rocprim17ROCPRIM_400000_NS6detail17trampoline_kernelINS0_14default_configENS1_36segmented_radix_sort_config_selectorI12hip_bfloat16lEEZNS1_25segmented_radix_sort_implIS3_Lb0EPKS5_PS5_PKlPlN2at6native12_GLOBAL__N_18offset_tEEE10hipError_tPvRmT1_PNSt15iterator_traitsISL_E10value_typeET2_T3_PNSM_ISR_E10value_typeET4_jRbjT5_SX_jjP12ihipStream_tbEUlT_E0_NS1_11comp_targetILNS1_3genE10ELNS1_11target_archE1201ELNS1_3gpuE5ELNS1_3repE0EEENS1_60segmented_radix_sort_warp_sort_medium_config_static_selectorELNS0_4arch9wavefront6targetE0EEEvSL_
                                        ; -- End function
	.section	.AMDGPU.csdata,"",@progbits
; Kernel info:
; codeLenInByte = 0
; NumSgprs: 0
; NumVgprs: 0
; ScratchSize: 0
; MemoryBound: 0
; FloatMode: 240
; IeeeMode: 1
; LDSByteSize: 0 bytes/workgroup (compile time only)
; SGPRBlocks: 0
; VGPRBlocks: 0
; NumSGPRsForWavesPerEU: 1
; NumVGPRsForWavesPerEU: 1
; Occupancy: 16
; WaveLimiterHint : 0
; COMPUTE_PGM_RSRC2:SCRATCH_EN: 0
; COMPUTE_PGM_RSRC2:USER_SGPR: 15
; COMPUTE_PGM_RSRC2:TRAP_HANDLER: 0
; COMPUTE_PGM_RSRC2:TGID_X_EN: 1
; COMPUTE_PGM_RSRC2:TGID_Y_EN: 0
; COMPUTE_PGM_RSRC2:TGID_Z_EN: 0
; COMPUTE_PGM_RSRC2:TIDIG_COMP_CNT: 0
	.section	.text._ZN7rocprim17ROCPRIM_400000_NS6detail17trampoline_kernelINS0_14default_configENS1_36segmented_radix_sort_config_selectorI12hip_bfloat16lEEZNS1_25segmented_radix_sort_implIS3_Lb0EPKS5_PS5_PKlPlN2at6native12_GLOBAL__N_18offset_tEEE10hipError_tPvRmT1_PNSt15iterator_traitsISL_E10value_typeET2_T3_PNSM_ISR_E10value_typeET4_jRbjT5_SX_jjP12ihipStream_tbEUlT_E0_NS1_11comp_targetILNS1_3genE10ELNS1_11target_archE1200ELNS1_3gpuE4ELNS1_3repE0EEENS1_60segmented_radix_sort_warp_sort_medium_config_static_selectorELNS0_4arch9wavefront6targetE0EEEvSL_,"axG",@progbits,_ZN7rocprim17ROCPRIM_400000_NS6detail17trampoline_kernelINS0_14default_configENS1_36segmented_radix_sort_config_selectorI12hip_bfloat16lEEZNS1_25segmented_radix_sort_implIS3_Lb0EPKS5_PS5_PKlPlN2at6native12_GLOBAL__N_18offset_tEEE10hipError_tPvRmT1_PNSt15iterator_traitsISL_E10value_typeET2_T3_PNSM_ISR_E10value_typeET4_jRbjT5_SX_jjP12ihipStream_tbEUlT_E0_NS1_11comp_targetILNS1_3genE10ELNS1_11target_archE1200ELNS1_3gpuE4ELNS1_3repE0EEENS1_60segmented_radix_sort_warp_sort_medium_config_static_selectorELNS0_4arch9wavefront6targetE0EEEvSL_,comdat
	.globl	_ZN7rocprim17ROCPRIM_400000_NS6detail17trampoline_kernelINS0_14default_configENS1_36segmented_radix_sort_config_selectorI12hip_bfloat16lEEZNS1_25segmented_radix_sort_implIS3_Lb0EPKS5_PS5_PKlPlN2at6native12_GLOBAL__N_18offset_tEEE10hipError_tPvRmT1_PNSt15iterator_traitsISL_E10value_typeET2_T3_PNSM_ISR_E10value_typeET4_jRbjT5_SX_jjP12ihipStream_tbEUlT_E0_NS1_11comp_targetILNS1_3genE10ELNS1_11target_archE1200ELNS1_3gpuE4ELNS1_3repE0EEENS1_60segmented_radix_sort_warp_sort_medium_config_static_selectorELNS0_4arch9wavefront6targetE0EEEvSL_ ; -- Begin function _ZN7rocprim17ROCPRIM_400000_NS6detail17trampoline_kernelINS0_14default_configENS1_36segmented_radix_sort_config_selectorI12hip_bfloat16lEEZNS1_25segmented_radix_sort_implIS3_Lb0EPKS5_PS5_PKlPlN2at6native12_GLOBAL__N_18offset_tEEE10hipError_tPvRmT1_PNSt15iterator_traitsISL_E10value_typeET2_T3_PNSM_ISR_E10value_typeET4_jRbjT5_SX_jjP12ihipStream_tbEUlT_E0_NS1_11comp_targetILNS1_3genE10ELNS1_11target_archE1200ELNS1_3gpuE4ELNS1_3repE0EEENS1_60segmented_radix_sort_warp_sort_medium_config_static_selectorELNS0_4arch9wavefront6targetE0EEEvSL_
	.p2align	8
	.type	_ZN7rocprim17ROCPRIM_400000_NS6detail17trampoline_kernelINS0_14default_configENS1_36segmented_radix_sort_config_selectorI12hip_bfloat16lEEZNS1_25segmented_radix_sort_implIS3_Lb0EPKS5_PS5_PKlPlN2at6native12_GLOBAL__N_18offset_tEEE10hipError_tPvRmT1_PNSt15iterator_traitsISL_E10value_typeET2_T3_PNSM_ISR_E10value_typeET4_jRbjT5_SX_jjP12ihipStream_tbEUlT_E0_NS1_11comp_targetILNS1_3genE10ELNS1_11target_archE1200ELNS1_3gpuE4ELNS1_3repE0EEENS1_60segmented_radix_sort_warp_sort_medium_config_static_selectorELNS0_4arch9wavefront6targetE0EEEvSL_,@function
_ZN7rocprim17ROCPRIM_400000_NS6detail17trampoline_kernelINS0_14default_configENS1_36segmented_radix_sort_config_selectorI12hip_bfloat16lEEZNS1_25segmented_radix_sort_implIS3_Lb0EPKS5_PS5_PKlPlN2at6native12_GLOBAL__N_18offset_tEEE10hipError_tPvRmT1_PNSt15iterator_traitsISL_E10value_typeET2_T3_PNSM_ISR_E10value_typeET4_jRbjT5_SX_jjP12ihipStream_tbEUlT_E0_NS1_11comp_targetILNS1_3genE10ELNS1_11target_archE1200ELNS1_3gpuE4ELNS1_3repE0EEENS1_60segmented_radix_sort_warp_sort_medium_config_static_selectorELNS0_4arch9wavefront6targetE0EEEvSL_: ; @_ZN7rocprim17ROCPRIM_400000_NS6detail17trampoline_kernelINS0_14default_configENS1_36segmented_radix_sort_config_selectorI12hip_bfloat16lEEZNS1_25segmented_radix_sort_implIS3_Lb0EPKS5_PS5_PKlPlN2at6native12_GLOBAL__N_18offset_tEEE10hipError_tPvRmT1_PNSt15iterator_traitsISL_E10value_typeET2_T3_PNSM_ISR_E10value_typeET4_jRbjT5_SX_jjP12ihipStream_tbEUlT_E0_NS1_11comp_targetILNS1_3genE10ELNS1_11target_archE1200ELNS1_3gpuE4ELNS1_3repE0EEENS1_60segmented_radix_sort_warp_sort_medium_config_static_selectorELNS0_4arch9wavefront6targetE0EEEvSL_
; %bb.0:
	.section	.rodata,"a",@progbits
	.p2align	6, 0x0
	.amdhsa_kernel _ZN7rocprim17ROCPRIM_400000_NS6detail17trampoline_kernelINS0_14default_configENS1_36segmented_radix_sort_config_selectorI12hip_bfloat16lEEZNS1_25segmented_radix_sort_implIS3_Lb0EPKS5_PS5_PKlPlN2at6native12_GLOBAL__N_18offset_tEEE10hipError_tPvRmT1_PNSt15iterator_traitsISL_E10value_typeET2_T3_PNSM_ISR_E10value_typeET4_jRbjT5_SX_jjP12ihipStream_tbEUlT_E0_NS1_11comp_targetILNS1_3genE10ELNS1_11target_archE1200ELNS1_3gpuE4ELNS1_3repE0EEENS1_60segmented_radix_sort_warp_sort_medium_config_static_selectorELNS0_4arch9wavefront6targetE0EEEvSL_
		.amdhsa_group_segment_fixed_size 0
		.amdhsa_private_segment_fixed_size 0
		.amdhsa_kernarg_size 88
		.amdhsa_user_sgpr_count 15
		.amdhsa_user_sgpr_dispatch_ptr 0
		.amdhsa_user_sgpr_queue_ptr 0
		.amdhsa_user_sgpr_kernarg_segment_ptr 1
		.amdhsa_user_sgpr_dispatch_id 0
		.amdhsa_user_sgpr_private_segment_size 0
		.amdhsa_wavefront_size32 1
		.amdhsa_uses_dynamic_stack 0
		.amdhsa_enable_private_segment 0
		.amdhsa_system_sgpr_workgroup_id_x 1
		.amdhsa_system_sgpr_workgroup_id_y 0
		.amdhsa_system_sgpr_workgroup_id_z 0
		.amdhsa_system_sgpr_workgroup_info 0
		.amdhsa_system_vgpr_workitem_id 0
		.amdhsa_next_free_vgpr 1
		.amdhsa_next_free_sgpr 1
		.amdhsa_reserve_vcc 0
		.amdhsa_float_round_mode_32 0
		.amdhsa_float_round_mode_16_64 0
		.amdhsa_float_denorm_mode_32 3
		.amdhsa_float_denorm_mode_16_64 3
		.amdhsa_dx10_clamp 1
		.amdhsa_ieee_mode 1
		.amdhsa_fp16_overflow 0
		.amdhsa_workgroup_processor_mode 1
		.amdhsa_memory_ordered 1
		.amdhsa_forward_progress 0
		.amdhsa_shared_vgpr_count 0
		.amdhsa_exception_fp_ieee_invalid_op 0
		.amdhsa_exception_fp_denorm_src 0
		.amdhsa_exception_fp_ieee_div_zero 0
		.amdhsa_exception_fp_ieee_overflow 0
		.amdhsa_exception_fp_ieee_underflow 0
		.amdhsa_exception_fp_ieee_inexact 0
		.amdhsa_exception_int_div_zero 0
	.end_amdhsa_kernel
	.section	.text._ZN7rocprim17ROCPRIM_400000_NS6detail17trampoline_kernelINS0_14default_configENS1_36segmented_radix_sort_config_selectorI12hip_bfloat16lEEZNS1_25segmented_radix_sort_implIS3_Lb0EPKS5_PS5_PKlPlN2at6native12_GLOBAL__N_18offset_tEEE10hipError_tPvRmT1_PNSt15iterator_traitsISL_E10value_typeET2_T3_PNSM_ISR_E10value_typeET4_jRbjT5_SX_jjP12ihipStream_tbEUlT_E0_NS1_11comp_targetILNS1_3genE10ELNS1_11target_archE1200ELNS1_3gpuE4ELNS1_3repE0EEENS1_60segmented_radix_sort_warp_sort_medium_config_static_selectorELNS0_4arch9wavefront6targetE0EEEvSL_,"axG",@progbits,_ZN7rocprim17ROCPRIM_400000_NS6detail17trampoline_kernelINS0_14default_configENS1_36segmented_radix_sort_config_selectorI12hip_bfloat16lEEZNS1_25segmented_radix_sort_implIS3_Lb0EPKS5_PS5_PKlPlN2at6native12_GLOBAL__N_18offset_tEEE10hipError_tPvRmT1_PNSt15iterator_traitsISL_E10value_typeET2_T3_PNSM_ISR_E10value_typeET4_jRbjT5_SX_jjP12ihipStream_tbEUlT_E0_NS1_11comp_targetILNS1_3genE10ELNS1_11target_archE1200ELNS1_3gpuE4ELNS1_3repE0EEENS1_60segmented_radix_sort_warp_sort_medium_config_static_selectorELNS0_4arch9wavefront6targetE0EEEvSL_,comdat
.Lfunc_end2065:
	.size	_ZN7rocprim17ROCPRIM_400000_NS6detail17trampoline_kernelINS0_14default_configENS1_36segmented_radix_sort_config_selectorI12hip_bfloat16lEEZNS1_25segmented_radix_sort_implIS3_Lb0EPKS5_PS5_PKlPlN2at6native12_GLOBAL__N_18offset_tEEE10hipError_tPvRmT1_PNSt15iterator_traitsISL_E10value_typeET2_T3_PNSM_ISR_E10value_typeET4_jRbjT5_SX_jjP12ihipStream_tbEUlT_E0_NS1_11comp_targetILNS1_3genE10ELNS1_11target_archE1200ELNS1_3gpuE4ELNS1_3repE0EEENS1_60segmented_radix_sort_warp_sort_medium_config_static_selectorELNS0_4arch9wavefront6targetE0EEEvSL_, .Lfunc_end2065-_ZN7rocprim17ROCPRIM_400000_NS6detail17trampoline_kernelINS0_14default_configENS1_36segmented_radix_sort_config_selectorI12hip_bfloat16lEEZNS1_25segmented_radix_sort_implIS3_Lb0EPKS5_PS5_PKlPlN2at6native12_GLOBAL__N_18offset_tEEE10hipError_tPvRmT1_PNSt15iterator_traitsISL_E10value_typeET2_T3_PNSM_ISR_E10value_typeET4_jRbjT5_SX_jjP12ihipStream_tbEUlT_E0_NS1_11comp_targetILNS1_3genE10ELNS1_11target_archE1200ELNS1_3gpuE4ELNS1_3repE0EEENS1_60segmented_radix_sort_warp_sort_medium_config_static_selectorELNS0_4arch9wavefront6targetE0EEEvSL_
                                        ; -- End function
	.section	.AMDGPU.csdata,"",@progbits
; Kernel info:
; codeLenInByte = 0
; NumSgprs: 0
; NumVgprs: 0
; ScratchSize: 0
; MemoryBound: 0
; FloatMode: 240
; IeeeMode: 1
; LDSByteSize: 0 bytes/workgroup (compile time only)
; SGPRBlocks: 0
; VGPRBlocks: 0
; NumSGPRsForWavesPerEU: 1
; NumVGPRsForWavesPerEU: 1
; Occupancy: 16
; WaveLimiterHint : 0
; COMPUTE_PGM_RSRC2:SCRATCH_EN: 0
; COMPUTE_PGM_RSRC2:USER_SGPR: 15
; COMPUTE_PGM_RSRC2:TRAP_HANDLER: 0
; COMPUTE_PGM_RSRC2:TGID_X_EN: 1
; COMPUTE_PGM_RSRC2:TGID_Y_EN: 0
; COMPUTE_PGM_RSRC2:TGID_Z_EN: 0
; COMPUTE_PGM_RSRC2:TIDIG_COMP_CNT: 0
	.text
	.p2align	2                               ; -- Begin function _ZN7rocprim17ROCPRIM_400000_NS6detail26segmented_warp_sort_helperINS1_20WarpSortHelperConfigILj16ELj8ELj256EEE12hip_bfloat16lLi256ELb0EvE4sortIPKS5_PS5_PKlPlEEvT_T0_T1_T2_jjjjRNS6_12storage_typeE
	.type	_ZN7rocprim17ROCPRIM_400000_NS6detail26segmented_warp_sort_helperINS1_20WarpSortHelperConfigILj16ELj8ELj256EEE12hip_bfloat16lLi256ELb0EvE4sortIPKS5_PS5_PKlPlEEvT_T0_T1_T2_jjjjRNS6_12storage_typeE,@function
_ZN7rocprim17ROCPRIM_400000_NS6detail26segmented_warp_sort_helperINS1_20WarpSortHelperConfigILj16ELj8ELj256EEE12hip_bfloat16lLi256ELb0EvE4sortIPKS5_PS5_PKlPlEEvT_T0_T1_T2_jjjjRNS6_12storage_typeE: ; @_ZN7rocprim17ROCPRIM_400000_NS6detail26segmented_warp_sort_helperINS1_20WarpSortHelperConfigILj16ELj8ELj256EEE12hip_bfloat16lLi256ELb0EvE4sortIPKS5_PS5_PKlPlEEvT_T0_T1_T2_jjjjRNS6_12storage_typeE
; %bb.0:
	s_waitcnt vmcnt(0) expcnt(0) lgkmcnt(0)
	v_mov_b32_e32 v10, v9
	v_mbcnt_lo_u32_b32 v9, -1, 0
	v_dual_mov_b32 v38, 0x7fff :: v_dual_mov_b32 v49, 0x7fff
	s_delay_alu instid0(VALU_DEP_2) | instskip(SKIP_2) | instid1(VALU_DEP_3)
	v_lshlrev_b32_e32 v37, 3, v9
	v_mov_b32_e32 v9, 0
	v_sub_nc_u32_e32 v10, v10, v8
	v_and_b32_e32 v36, 0x78, v37
	s_delay_alu instid0(VALU_DEP_3) | instskip(NEXT) | instid1(VALU_DEP_2)
	v_lshlrev_b64 v[24:25], 1, v[8:9]
	v_lshlrev_b32_e32 v34, 1, v36
	s_delay_alu instid0(VALU_DEP_2) | instskip(NEXT) | instid1(VALU_DEP_3)
	v_add_co_u32 v0, vcc_lo, v0, v24
	v_add_co_ci_u32_e32 v1, vcc_lo, v1, v25, vcc_lo
	s_delay_alu instid0(VALU_DEP_2) | instskip(NEXT) | instid1(VALU_DEP_2)
	v_add_co_u32 v0, vcc_lo, v0, v34
	v_add_co_ci_u32_e32 v1, vcc_lo, 0, v1, vcc_lo
	v_cmp_lt_u32_e32 vcc_lo, v36, v10
	s_and_saveexec_b32 s0, vcc_lo
	s_cbranch_execz .LBB2066_2
; %bb.1:
	flat_load_u16 v38, v[0:1]
.LBB2066_2:
	s_or_b32 exec_lo, exec_lo, s0
	v_or_b32_e32 v11, 1, v36
	s_delay_alu instid0(VALU_DEP_1) | instskip(NEXT) | instid1(VALU_DEP_1)
	v_cmp_lt_u32_e64 s0, v11, v10
	s_and_saveexec_b32 s1, s0
	s_cbranch_execz .LBB2066_4
; %bb.3:
	flat_load_u16 v49, v[0:1] offset:2
.LBB2066_4:
	s_or_b32 exec_lo, exec_lo, s1
	v_or_b32_e32 v11, 2, v36
	v_dual_mov_b32 v53, 0x7fff :: v_dual_mov_b32 v50, 0x7fff
	s_delay_alu instid0(VALU_DEP_2) | instskip(NEXT) | instid1(VALU_DEP_1)
	v_cmp_lt_u32_e64 s1, v11, v10
	s_and_saveexec_b32 s2, s1
	s_cbranch_execz .LBB2066_6
; %bb.5:
	flat_load_u16 v50, v[0:1] offset:4
.LBB2066_6:
	s_or_b32 exec_lo, exec_lo, s2
	v_or_b32_e32 v11, 3, v36
	s_delay_alu instid0(VALU_DEP_1) | instskip(NEXT) | instid1(VALU_DEP_1)
	v_cmp_lt_u32_e64 s2, v11, v10
	s_and_saveexec_b32 s3, s2
	s_cbranch_execz .LBB2066_8
; %bb.7:
	flat_load_u16 v53, v[0:1] offset:6
.LBB2066_8:
	s_or_b32 exec_lo, exec_lo, s3
	v_or_b32_e32 v11, 4, v36
	v_dual_mov_b32 v48, 0x7fff :: v_dual_mov_b32 v51, 0x7fff
	s_delay_alu instid0(VALU_DEP_2) | instskip(NEXT) | instid1(VALU_DEP_1)
	v_cmp_lt_u32_e64 s3, v11, v10
	s_and_saveexec_b32 s4, s3
	s_cbranch_execz .LBB2066_10
; %bb.9:
	flat_load_u16 v51, v[0:1] offset:8
.LBB2066_10:
	;; [unrolled: 19-line block ×3, first 2 shown]
	s_or_b32 exec_lo, exec_lo, s6
	v_or_b32_e32 v11, 7, v36
	s_delay_alu instid0(VALU_DEP_1) | instskip(NEXT) | instid1(VALU_DEP_1)
	v_cmp_lt_u32_e64 s6, v11, v10
	s_and_saveexec_b32 s7, s6
	s_cbranch_execz .LBB2066_16
; %bb.15:
	flat_load_u16 v39, v[0:1] offset:14
.LBB2066_16:
	s_or_b32 exec_lo, exec_lo, s7
	v_lshlrev_b64 v[0:1], 3, v[8:9]
	v_lshlrev_b32_e32 v35, 3, v36
	; wave barrier
	s_delay_alu instid0(VALU_DEP_2) | instskip(NEXT) | instid1(VALU_DEP_1)
	v_add_co_u32 v4, s7, v4, v0
	v_add_co_ci_u32_e64 v5, s7, v5, v1, s7
	s_delay_alu instid0(VALU_DEP_2) | instskip(NEXT) | instid1(VALU_DEP_1)
	v_add_co_u32 v32, s7, v4, v35
	v_add_co_ci_u32_e64 v33, s7, 0, v5, s7
                                        ; implicit-def: $vgpr4_vgpr5
	s_and_saveexec_b32 s7, vcc_lo
	s_cbranch_execnz .LBB2066_318
; %bb.17:
	s_or_b32 exec_lo, exec_lo, s7
	s_and_saveexec_b32 s7, s0
                                        ; implicit-def: $vgpr8_vgpr9_vgpr10_vgpr11
	s_cbranch_execnz .LBB2066_319
.LBB2066_18:
	s_or_b32 exec_lo, exec_lo, s7
                                        ; implicit-def: $vgpr26_vgpr27
	s_and_saveexec_b32 s7, s1
	s_cbranch_execnz .LBB2066_320
.LBB2066_19:
	s_or_b32 exec_lo, exec_lo, s7
	s_and_saveexec_b32 s7, s2
                                        ; implicit-def: $vgpr12_vgpr13_vgpr14_vgpr15
	s_cbranch_execnz .LBB2066_321
.LBB2066_20:
	s_or_b32 exec_lo, exec_lo, s7
                                        ; implicit-def: $vgpr28_vgpr29
	s_and_saveexec_b32 s7, s3
	s_cbranch_execnz .LBB2066_322
.LBB2066_21:
	s_or_b32 exec_lo, exec_lo, s7
	s_and_saveexec_b32 s7, s4
                                        ; implicit-def: $vgpr16_vgpr17_vgpr18_vgpr19
	s_cbranch_execnz .LBB2066_323
.LBB2066_22:
	s_or_b32 exec_lo, exec_lo, s7
                                        ; implicit-def: $vgpr16_vgpr17
	s_and_saveexec_b32 s7, s5
	s_cbranch_execnz .LBB2066_324
.LBB2066_23:
	s_or_b32 exec_lo, exec_lo, s7
	s_and_saveexec_b32 s7, s6
                                        ; implicit-def: $vgpr20_vgpr21_vgpr22_vgpr23
	s_cbranch_execz .LBB2066_25
.LBB2066_24:
	flat_load_b64 v[22:23], v[32:33] offset:56
.LBB2066_25:
	s_or_b32 exec_lo, exec_lo, s7
	; wave barrier
	s_load_b64 s[10:11], s[8:9], 0x0
	v_mov_b32_e32 v8, 0
	v_bfe_u32 v12, v31, 10, 10
	v_bfe_u32 v13, v31, 20, 10
	s_waitcnt lgkmcnt(0)
	s_cmp_lt_u32 s13, s11
	s_cselect_b32 s7, 14, 20
	s_delay_alu instid0(SALU_CYCLE_1) | instskip(SKIP_4) | instid1(SALU_CYCLE_1)
	s_add_u32 s14, s8, s7
	s_addc_u32 s15, s9, 0
	s_cmp_lt_u32 s12, s10
	global_load_u16 v9, v8, s[14:15]
	s_cselect_b32 s7, 12, 18
	s_add_u32 s8, s8, s7
	s_addc_u32 s9, s9, 0
	global_load_u16 v8, v8, s[8:9]
	s_mov_b32 s8, exec_lo
	s_waitcnt vmcnt(1)
	v_mad_u32_u24 v9, v13, v9, v12
	s_waitcnt vmcnt(0)
	s_delay_alu instid0(VALU_DEP_1) | instskip(SKIP_1) | instid1(VALU_DEP_1)
	v_mul_lo_u32 v8, v9, v8
	v_and_b32_e32 v9, 0x3ff, v31
	v_add_lshl_u32 v32, v8, v9, 3
	s_delay_alu instid0(VALU_DEP_1)
	v_cmpx_gt_u32_e32 0x800, v32
	s_cbranch_execz .LBB2066_307
; %bb.26:
	v_lshlrev_b32_e32 v8, 16, v38
	s_delay_alu instid0(VALU_DEP_1) | instskip(NEXT) | instid1(VALU_DEP_1)
	v_add_f32_e32 v9, 0, v8
	v_and_b32_e32 v8, 0x7f800000, v9
	s_delay_alu instid0(VALU_DEP_1) | instskip(NEXT) | instid1(VALU_DEP_1)
	v_cmp_ne_u32_e64 s7, 0x7f800000, v8
                                        ; implicit-def: $vgpr8
	s_and_saveexec_b32 s9, s7
	s_delay_alu instid0(SALU_CYCLE_1)
	s_xor_b32 s7, exec_lo, s9
; %bb.27:
	v_bfe_u32 v8, v9, 16, 1
	s_delay_alu instid0(VALU_DEP_1)
	v_add3_u32 v8, v9, v8, 0x7fff
                                        ; implicit-def: $vgpr9
; %bb.28:
	s_and_not1_saveexec_b32 s9, s7
; %bb.29:
	v_and_b32_e32 v8, 0xffff, v9
	v_or_b32_e32 v12, 0x10000, v9
	s_delay_alu instid0(VALU_DEP_2) | instskip(NEXT) | instid1(VALU_DEP_1)
	v_cmp_eq_u32_e64 s7, 0, v8
	v_cndmask_b32_e64 v8, v12, v9, s7
; %bb.30:
	s_or_b32 exec_lo, exec_lo, s9
	v_lshlrev_b32_e32 v9, 16, v49
	s_delay_alu instid0(VALU_DEP_1) | instskip(NEXT) | instid1(VALU_DEP_1)
	v_add_f32_e32 v12, 0, v9
	v_and_b32_e32 v9, 0x7f800000, v12
	s_delay_alu instid0(VALU_DEP_1) | instskip(NEXT) | instid1(VALU_DEP_1)
	v_cmp_ne_u32_e64 s7, 0x7f800000, v9
                                        ; implicit-def: $vgpr9
	s_and_saveexec_b32 s9, s7
	s_delay_alu instid0(SALU_CYCLE_1)
	s_xor_b32 s7, exec_lo, s9
; %bb.31:
	v_bfe_u32 v9, v12, 16, 1
	s_delay_alu instid0(VALU_DEP_1)
	v_add3_u32 v9, v12, v9, 0x7fff
                                        ; implicit-def: $vgpr12
; %bb.32:
	s_and_not1_saveexec_b32 s9, s7
; %bb.33:
	v_and_b32_e32 v9, 0xffff, v12
	v_or_b32_e32 v13, 0x10000, v12
	s_delay_alu instid0(VALU_DEP_2) | instskip(NEXT) | instid1(VALU_DEP_1)
	v_cmp_eq_u32_e64 s7, 0, v9
	v_cndmask_b32_e64 v9, v13, v12, s7
; %bb.34:
	s_or_b32 exec_lo, exec_lo, s9
	v_cmp_lt_i32_e64 s7, -1, v8
	s_delay_alu instid0(VALU_DEP_2) | instskip(SKIP_2) | instid1(VALU_DEP_4)
	v_perm_b32 v8, v9, v8, 0x7060302
	v_mov_b32_e32 v21, v11
	v_dual_mov_b32 v33, v49 :: v_dual_mov_b32 v20, v10
	v_cndmask_b32_e64 v12, -1, 0xffff8000, s7
	v_cmp_lt_i32_e64 s7, -1, v9
	s_mov_b32 s9, exec_lo
	s_delay_alu instid0(VALU_DEP_1) | instskip(NEXT) | instid1(VALU_DEP_1)
	v_cndmask_b32_e64 v13, -1, 0xffff8000, s7
	v_perm_b32 v9, v13, v12, 0x5040100
	s_delay_alu instid0(VALU_DEP_1) | instskip(NEXT) | instid1(VALU_DEP_1)
	v_xor_b32_e32 v8, v9, v8
	v_lshrrev_b32_e32 v9, 16, v8
	s_delay_alu instid0(VALU_DEP_1)
	v_cmpx_gt_u16_e64 v8, v9
; %bb.35:
	v_dual_mov_b32 v33, v38 :: v_dual_mov_b32 v38, v49
	v_dual_mov_b32 v21, v5 :: v_dual_mov_b32 v20, v4
	;; [unrolled: 1-line block ×3, first 2 shown]
; %bb.36:
	s_or_b32 exec_lo, exec_lo, s9
	v_lshlrev_b32_e32 v8, 16, v50
	s_delay_alu instid0(VALU_DEP_1) | instskip(NEXT) | instid1(VALU_DEP_1)
	v_add_f32_e32 v9, 0, v8
	v_and_b32_e32 v8, 0x7f800000, v9
	s_delay_alu instid0(VALU_DEP_1) | instskip(NEXT) | instid1(VALU_DEP_1)
	v_cmp_ne_u32_e64 s7, 0x7f800000, v8
                                        ; implicit-def: $vgpr8
	s_and_saveexec_b32 s9, s7
	s_delay_alu instid0(SALU_CYCLE_1)
	s_xor_b32 s7, exec_lo, s9
; %bb.37:
	v_bfe_u32 v8, v9, 16, 1
	s_delay_alu instid0(VALU_DEP_1)
	v_add3_u32 v8, v9, v8, 0x7fff
                                        ; implicit-def: $vgpr9
; %bb.38:
	s_and_not1_saveexec_b32 s9, s7
; %bb.39:
	v_and_b32_e32 v8, 0xffff, v9
	v_or_b32_e32 v10, 0x10000, v9
	s_delay_alu instid0(VALU_DEP_2) | instskip(NEXT) | instid1(VALU_DEP_1)
	v_cmp_eq_u32_e64 s7, 0, v8
	v_cndmask_b32_e64 v8, v10, v9, s7
; %bb.40:
	s_or_b32 exec_lo, exec_lo, s9
	v_lshlrev_b32_e32 v9, 16, v53
	s_delay_alu instid0(VALU_DEP_1) | instskip(NEXT) | instid1(VALU_DEP_1)
	v_add_f32_e32 v10, 0, v9
	v_and_b32_e32 v9, 0x7f800000, v10
	s_delay_alu instid0(VALU_DEP_1) | instskip(NEXT) | instid1(VALU_DEP_1)
	v_cmp_ne_u32_e64 s7, 0x7f800000, v9
                                        ; implicit-def: $vgpr9
	s_and_saveexec_b32 s9, s7
	s_delay_alu instid0(SALU_CYCLE_1)
	s_xor_b32 s7, exec_lo, s9
; %bb.41:
	v_bfe_u32 v9, v10, 16, 1
	s_delay_alu instid0(VALU_DEP_1)
	v_add3_u32 v9, v10, v9, 0x7fff
                                        ; implicit-def: $vgpr10
; %bb.42:
	s_and_not1_saveexec_b32 s9, s7
; %bb.43:
	v_and_b32_e32 v9, 0xffff, v10
	v_or_b32_e32 v11, 0x10000, v10
	s_delay_alu instid0(VALU_DEP_2) | instskip(NEXT) | instid1(VALU_DEP_1)
	v_cmp_eq_u32_e64 s7, 0, v9
	v_cndmask_b32_e64 v9, v11, v10, s7
; %bb.44:
	s_or_b32 exec_lo, exec_lo, s9
	v_cmp_lt_i32_e64 s7, -1, v8
	s_delay_alu instid0(VALU_DEP_2) | instskip(SKIP_2) | instid1(VALU_DEP_4)
	v_perm_b32 v8, v9, v8, 0x7060302
	v_dual_mov_b32 v12, v53 :: v_dual_mov_b32 v31, v15
	v_mov_b32_e32 v30, v14
	v_cndmask_b32_e64 v10, -1, 0xffff8000, s7
	v_cmp_lt_i32_e64 s7, -1, v9
	s_mov_b32 s9, exec_lo
	s_delay_alu instid0(VALU_DEP_1) | instskip(NEXT) | instid1(VALU_DEP_1)
	v_cndmask_b32_e64 v11, -1, 0xffff8000, s7
	v_perm_b32 v9, v11, v10, 0x5040100
	s_delay_alu instid0(VALU_DEP_1) | instskip(NEXT) | instid1(VALU_DEP_1)
	v_xor_b32_e32 v8, v9, v8
	v_lshrrev_b32_e32 v9, 16, v8
	s_delay_alu instid0(VALU_DEP_1)
	v_cmpx_gt_u16_e64 v8, v9
; %bb.45:
	v_dual_mov_b32 v12, v50 :: v_dual_mov_b32 v31, v27
	v_mov_b32_e32 v50, v53
	v_dual_mov_b32 v30, v26 :: v_dual_mov_b32 v27, v15
	v_mov_b32_e32 v26, v14
; %bb.46:
	s_or_b32 exec_lo, exec_lo, s9
	v_lshlrev_b32_e32 v8, 16, v51
	s_delay_alu instid0(VALU_DEP_1) | instskip(NEXT) | instid1(VALU_DEP_1)
	v_add_f32_e32 v9, 0, v8
	v_and_b32_e32 v8, 0x7f800000, v9
	s_delay_alu instid0(VALU_DEP_1) | instskip(NEXT) | instid1(VALU_DEP_1)
	v_cmp_ne_u32_e64 s7, 0x7f800000, v8
                                        ; implicit-def: $vgpr8
	s_and_saveexec_b32 s9, s7
	s_delay_alu instid0(SALU_CYCLE_1)
	s_xor_b32 s7, exec_lo, s9
; %bb.47:
	v_bfe_u32 v8, v9, 16, 1
	s_delay_alu instid0(VALU_DEP_1)
	v_add3_u32 v8, v9, v8, 0x7fff
                                        ; implicit-def: $vgpr9
; %bb.48:
	s_and_not1_saveexec_b32 s9, s7
; %bb.49:
	v_and_b32_e32 v8, 0xffff, v9
	v_or_b32_e32 v10, 0x10000, v9
	s_delay_alu instid0(VALU_DEP_2) | instskip(NEXT) | instid1(VALU_DEP_1)
	v_cmp_eq_u32_e64 s7, 0, v8
	v_cndmask_b32_e64 v8, v10, v9, s7
; %bb.50:
	s_or_b32 exec_lo, exec_lo, s9
	v_lshlrev_b32_e32 v9, 16, v48
	s_delay_alu instid0(VALU_DEP_1) | instskip(NEXT) | instid1(VALU_DEP_1)
	v_add_f32_e32 v10, 0, v9
	v_and_b32_e32 v9, 0x7f800000, v10
	s_delay_alu instid0(VALU_DEP_1) | instskip(NEXT) | instid1(VALU_DEP_1)
	v_cmp_ne_u32_e64 s7, 0x7f800000, v9
                                        ; implicit-def: $vgpr9
	s_and_saveexec_b32 s9, s7
	s_delay_alu instid0(SALU_CYCLE_1)
	s_xor_b32 s7, exec_lo, s9
; %bb.51:
	v_bfe_u32 v9, v10, 16, 1
	s_delay_alu instid0(VALU_DEP_1)
	v_add3_u32 v9, v10, v9, 0x7fff
                                        ; implicit-def: $vgpr10
; %bb.52:
	s_and_not1_saveexec_b32 s9, s7
; %bb.53:
	v_and_b32_e32 v9, 0xffff, v10
	v_or_b32_e32 v11, 0x10000, v10
	s_delay_alu instid0(VALU_DEP_2) | instskip(NEXT) | instid1(VALU_DEP_1)
	v_cmp_eq_u32_e64 s7, 0, v9
	v_cndmask_b32_e64 v9, v11, v10, s7
; %bb.54:
	s_or_b32 exec_lo, exec_lo, s9
	v_cmp_lt_i32_e64 s7, -1, v8
	s_delay_alu instid0(VALU_DEP_2) | instskip(SKIP_2) | instid1(VALU_DEP_3)
	v_perm_b32 v8, v9, v8, 0x7060302
	v_mov_b32_e32 v53, v51
	s_mov_b32 s9, exec_lo
	v_cndmask_b32_e64 v10, -1, 0xffff8000, s7
	v_cmp_lt_i32_e64 s7, -1, v9
	s_delay_alu instid0(VALU_DEP_1) | instskip(NEXT) | instid1(VALU_DEP_1)
	v_cndmask_b32_e64 v11, -1, 0xffff8000, s7
	v_perm_b32 v9, v11, v10, 0x5040100
	s_delay_alu instid0(VALU_DEP_1) | instskip(SKIP_1) | instid1(VALU_DEP_2)
	v_xor_b32_e32 v10, v9, v8
	v_dual_mov_b32 v8, v18 :: v_dual_mov_b32 v9, v19
	v_lshrrev_b32_e32 v11, 16, v10
	s_delay_alu instid0(VALU_DEP_1)
	v_cmpx_gt_u16_e64 v10, v11
; %bb.55:
	v_dual_mov_b32 v8, v28 :: v_dual_mov_b32 v9, v29
	v_dual_mov_b32 v29, v19 :: v_dual_mov_b32 v28, v18
	;; [unrolled: 1-line block ×3, first 2 shown]
; %bb.56:
	s_or_b32 exec_lo, exec_lo, s9
	v_lshlrev_b32_e32 v10, 16, v52
	s_delay_alu instid0(VALU_DEP_1) | instskip(NEXT) | instid1(VALU_DEP_1)
	v_add_f32_e32 v11, 0, v10
	v_and_b32_e32 v10, 0x7f800000, v11
	s_delay_alu instid0(VALU_DEP_1) | instskip(NEXT) | instid1(VALU_DEP_1)
	v_cmp_ne_u32_e64 s7, 0x7f800000, v10
                                        ; implicit-def: $vgpr10
	s_and_saveexec_b32 s9, s7
	s_delay_alu instid0(SALU_CYCLE_1)
	s_xor_b32 s7, exec_lo, s9
; %bb.57:
	v_bfe_u32 v10, v11, 16, 1
	s_delay_alu instid0(VALU_DEP_1)
	v_add3_u32 v10, v11, v10, 0x7fff
                                        ; implicit-def: $vgpr11
; %bb.58:
	s_and_not1_saveexec_b32 s9, s7
; %bb.59:
	v_and_b32_e32 v10, 0xffff, v11
	v_or_b32_e32 v13, 0x10000, v11
	s_delay_alu instid0(VALU_DEP_2) | instskip(NEXT) | instid1(VALU_DEP_1)
	v_cmp_eq_u32_e64 s7, 0, v10
	v_cndmask_b32_e64 v10, v13, v11, s7
; %bb.60:
	s_or_b32 exec_lo, exec_lo, s9
	v_lshlrev_b32_e32 v11, 16, v39
	s_delay_alu instid0(VALU_DEP_1) | instskip(NEXT) | instid1(VALU_DEP_1)
	v_add_f32_e32 v13, 0, v11
	v_and_b32_e32 v11, 0x7f800000, v13
	s_delay_alu instid0(VALU_DEP_1) | instskip(NEXT) | instid1(VALU_DEP_1)
	v_cmp_ne_u32_e64 s7, 0x7f800000, v11
                                        ; implicit-def: $vgpr11
	s_and_saveexec_b32 s9, s7
	s_delay_alu instid0(SALU_CYCLE_1)
	s_xor_b32 s7, exec_lo, s9
; %bb.61:
	v_bfe_u32 v11, v13, 16, 1
	s_delay_alu instid0(VALU_DEP_1)
	v_add3_u32 v11, v13, v11, 0x7fff
                                        ; implicit-def: $vgpr13
; %bb.62:
	s_and_not1_saveexec_b32 s9, s7
; %bb.63:
	v_and_b32_e32 v11, 0xffff, v13
	v_or_b32_e32 v14, 0x10000, v13
	s_delay_alu instid0(VALU_DEP_2) | instskip(NEXT) | instid1(VALU_DEP_1)
	v_cmp_eq_u32_e64 s7, 0, v11
	v_cndmask_b32_e64 v11, v14, v13, s7
; %bb.64:
	s_or_b32 exec_lo, exec_lo, s9
	v_cmp_lt_i32_e64 s7, -1, v10
	s_delay_alu instid0(VALU_DEP_2) | instskip(SKIP_2) | instid1(VALU_DEP_3)
	v_perm_b32 v10, v11, v10, 0x7060302
	v_mov_b32_e32 v51, v52
	s_mov_b32 s9, exec_lo
	v_cndmask_b32_e64 v13, -1, 0xffff8000, s7
	v_cmp_lt_i32_e64 s7, -1, v11
	s_delay_alu instid0(VALU_DEP_1) | instskip(NEXT) | instid1(VALU_DEP_1)
	v_cndmask_b32_e64 v14, -1, 0xffff8000, s7
	v_perm_b32 v11, v14, v13, 0x5040100
	s_delay_alu instid0(VALU_DEP_1) | instskip(SKIP_1) | instid1(VALU_DEP_2)
	v_xor_b32_e32 v13, v11, v10
	v_dual_mov_b32 v10, v22 :: v_dual_mov_b32 v11, v23
	v_lshrrev_b32_e32 v14, 16, v13
	s_delay_alu instid0(VALU_DEP_1)
	v_cmpx_gt_u16_e64 v13, v14
; %bb.65:
	v_dual_mov_b32 v10, v16 :: v_dual_mov_b32 v11, v17
	v_dual_mov_b32 v16, v22 :: v_dual_mov_b32 v17, v23
	v_mov_b32_e32 v51, v39
	v_mov_b32_e32 v39, v52
; %bb.66:
	s_or_b32 exec_lo, exec_lo, s9
	v_lshlrev_b32_e32 v13, 16, v33
	s_delay_alu instid0(VALU_DEP_1) | instskip(NEXT) | instid1(VALU_DEP_1)
	v_add_f32_e32 v14, 0, v13
	v_and_b32_e32 v13, 0x7f800000, v14
	s_delay_alu instid0(VALU_DEP_1) | instskip(NEXT) | instid1(VALU_DEP_1)
	v_cmp_ne_u32_e64 s7, 0x7f800000, v13
                                        ; implicit-def: $vgpr13
	s_and_saveexec_b32 s9, s7
	s_delay_alu instid0(SALU_CYCLE_1)
	s_xor_b32 s7, exec_lo, s9
; %bb.67:
	v_bfe_u32 v13, v14, 16, 1
	s_delay_alu instid0(VALU_DEP_1)
	v_add3_u32 v13, v14, v13, 0x7fff
                                        ; implicit-def: $vgpr14
; %bb.68:
	s_and_not1_saveexec_b32 s9, s7
; %bb.69:
	v_and_b32_e32 v13, 0xffff, v14
	v_or_b32_e32 v15, 0x10000, v14
	s_delay_alu instid0(VALU_DEP_2) | instskip(NEXT) | instid1(VALU_DEP_1)
	v_cmp_eq_u32_e64 s7, 0, v13
	v_cndmask_b32_e64 v13, v15, v14, s7
; %bb.70:
	s_or_b32 exec_lo, exec_lo, s9
	v_lshlrev_b32_e32 v14, 16, v50
	s_delay_alu instid0(VALU_DEP_1) | instskip(NEXT) | instid1(VALU_DEP_1)
	v_add_f32_e32 v15, 0, v14
	v_and_b32_e32 v14, 0x7f800000, v15
	s_delay_alu instid0(VALU_DEP_1) | instskip(NEXT) | instid1(VALU_DEP_1)
	v_cmp_ne_u32_e64 s7, 0x7f800000, v14
                                        ; implicit-def: $vgpr14
	s_and_saveexec_b32 s9, s7
	s_delay_alu instid0(SALU_CYCLE_1)
	s_xor_b32 s7, exec_lo, s9
; %bb.71:
	v_bfe_u32 v14, v15, 16, 1
	s_delay_alu instid0(VALU_DEP_1)
	v_add3_u32 v14, v15, v14, 0x7fff
                                        ; implicit-def: $vgpr15
; %bb.72:
	s_and_not1_saveexec_b32 s9, s7
; %bb.73:
	v_and_b32_e32 v14, 0xffff, v15
	v_or_b32_e32 v18, 0x10000, v15
	s_delay_alu instid0(VALU_DEP_2) | instskip(NEXT) | instid1(VALU_DEP_1)
	v_cmp_eq_u32_e64 s7, 0, v14
	v_cndmask_b32_e64 v14, v18, v15, s7
; %bb.74:
	s_or_b32 exec_lo, exec_lo, s9
	v_cmp_lt_i32_e64 s7, -1, v13
	s_delay_alu instid0(VALU_DEP_2) | instskip(SKIP_2) | instid1(VALU_DEP_4)
	v_perm_b32 v13, v14, v13, 0x7060302
	v_mov_b32_e32 v49, v50
	v_dual_mov_b32 v22, v26 :: v_dual_mov_b32 v23, v27
	v_cndmask_b32_e64 v15, -1, 0xffff8000, s7
	v_cmp_lt_i32_e64 s7, -1, v14
	s_mov_b32 s9, exec_lo
	s_delay_alu instid0(VALU_DEP_1) | instskip(NEXT) | instid1(VALU_DEP_1)
	v_cndmask_b32_e64 v18, -1, 0xffff8000, s7
	v_perm_b32 v14, v18, v15, 0x5040100
	s_delay_alu instid0(VALU_DEP_1) | instskip(NEXT) | instid1(VALU_DEP_1)
	v_xor_b32_e32 v13, v14, v13
	v_lshrrev_b32_e32 v14, 16, v13
	s_delay_alu instid0(VALU_DEP_1)
	v_cmpx_gt_u16_e64 v13, v14
; %bb.75:
	v_mov_b32_e32 v23, v21
	v_dual_mov_b32 v49, v33 :: v_dual_mov_b32 v22, v20
	v_mov_b32_e32 v20, v26
	v_mov_b32_e32 v33, v50
	;; [unrolled: 1-line block ×3, first 2 shown]
; %bb.76:
	s_or_b32 exec_lo, exec_lo, s9
	v_lshlrev_b32_e32 v13, 16, v12
	s_delay_alu instid0(VALU_DEP_1) | instskip(NEXT) | instid1(VALU_DEP_1)
	v_add_f32_e32 v14, 0, v13
	v_and_b32_e32 v13, 0x7f800000, v14
	s_delay_alu instid0(VALU_DEP_1) | instskip(NEXT) | instid1(VALU_DEP_1)
	v_cmp_ne_u32_e64 s7, 0x7f800000, v13
                                        ; implicit-def: $vgpr13
	s_and_saveexec_b32 s9, s7
	s_delay_alu instid0(SALU_CYCLE_1)
	s_xor_b32 s7, exec_lo, s9
; %bb.77:
	v_bfe_u32 v13, v14, 16, 1
	s_delay_alu instid0(VALU_DEP_1)
	v_add3_u32 v13, v14, v13, 0x7fff
                                        ; implicit-def: $vgpr14
; %bb.78:
	s_and_not1_saveexec_b32 s9, s7
; %bb.79:
	v_and_b32_e32 v13, 0xffff, v14
	v_or_b32_e32 v15, 0x10000, v14
	s_delay_alu instid0(VALU_DEP_2) | instskip(NEXT) | instid1(VALU_DEP_1)
	v_cmp_eq_u32_e64 s7, 0, v13
	v_cndmask_b32_e64 v13, v15, v14, s7
; %bb.80:
	s_or_b32 exec_lo, exec_lo, s9
	v_lshlrev_b32_e32 v14, 16, v53
	s_delay_alu instid0(VALU_DEP_1) | instskip(NEXT) | instid1(VALU_DEP_1)
	v_add_f32_e32 v15, 0, v14
	v_and_b32_e32 v14, 0x7f800000, v15
	s_delay_alu instid0(VALU_DEP_1) | instskip(NEXT) | instid1(VALU_DEP_1)
	v_cmp_ne_u32_e64 s7, 0x7f800000, v14
                                        ; implicit-def: $vgpr14
	s_and_saveexec_b32 s9, s7
	s_delay_alu instid0(SALU_CYCLE_1)
	s_xor_b32 s7, exec_lo, s9
; %bb.81:
	v_bfe_u32 v14, v15, 16, 1
	s_delay_alu instid0(VALU_DEP_1)
	v_add3_u32 v14, v15, v14, 0x7fff
                                        ; implicit-def: $vgpr15
; %bb.82:
	s_and_not1_saveexec_b32 s9, s7
; %bb.83:
	v_and_b32_e32 v14, 0xffff, v15
	v_or_b32_e32 v18, 0x10000, v15
	s_delay_alu instid0(VALU_DEP_2) | instskip(NEXT) | instid1(VALU_DEP_1)
	v_cmp_eq_u32_e64 s7, 0, v14
	v_cndmask_b32_e64 v14, v18, v15, s7
; %bb.84:
	s_or_b32 exec_lo, exec_lo, s9
	v_cmp_lt_i32_e64 s7, -1, v13
	s_delay_alu instid0(VALU_DEP_2) | instskip(SKIP_1) | instid1(VALU_DEP_2)
	v_perm_b32 v13, v14, v13, 0x7060302
	s_mov_b32 s9, exec_lo
	v_cndmask_b32_e64 v15, -1, 0xffff8000, s7
	v_cmp_lt_i32_e64 s7, -1, v14
	s_delay_alu instid0(VALU_DEP_1) | instskip(NEXT) | instid1(VALU_DEP_1)
	v_cndmask_b32_e64 v18, -1, 0xffff8000, s7
	v_perm_b32 v14, v18, v15, 0x5040100
	v_dual_mov_b32 v18, v28 :: v_dual_mov_b32 v19, v29
	s_delay_alu instid0(VALU_DEP_2) | instskip(SKIP_1) | instid1(VALU_DEP_2)
	v_xor_b32_e32 v13, v14, v13
	v_mov_b32_e32 v14, v12
	v_lshrrev_b32_e32 v15, 16, v13
	s_delay_alu instid0(VALU_DEP_1)
	v_cmpx_gt_u16_e64 v13, v15
; %bb.85:
	v_mov_b32_e32 v18, v30
	v_dual_mov_b32 v14, v53 :: v_dual_mov_b32 v19, v31
	v_dual_mov_b32 v31, v29 :: v_dual_mov_b32 v30, v28
	v_mov_b32_e32 v53, v12
; %bb.86:
	s_or_b32 exec_lo, exec_lo, s9
	v_lshlrev_b32_e32 v12, 16, v48
	s_delay_alu instid0(VALU_DEP_1) | instskip(NEXT) | instid1(VALU_DEP_1)
	v_add_f32_e32 v13, 0, v12
	v_and_b32_e32 v12, 0x7f800000, v13
	s_delay_alu instid0(VALU_DEP_1) | instskip(NEXT) | instid1(VALU_DEP_1)
	v_cmp_ne_u32_e64 s7, 0x7f800000, v12
                                        ; implicit-def: $vgpr12
	s_and_saveexec_b32 s9, s7
	s_delay_alu instid0(SALU_CYCLE_1)
	s_xor_b32 s7, exec_lo, s9
; %bb.87:
	v_bfe_u32 v12, v13, 16, 1
	s_delay_alu instid0(VALU_DEP_1)
	v_add3_u32 v12, v13, v12, 0x7fff
                                        ; implicit-def: $vgpr13
; %bb.88:
	s_and_not1_saveexec_b32 s9, s7
; %bb.89:
	v_and_b32_e32 v12, 0xffff, v13
	v_or_b32_e32 v15, 0x10000, v13
	s_delay_alu instid0(VALU_DEP_2) | instskip(NEXT) | instid1(VALU_DEP_1)
	v_cmp_eq_u32_e64 s7, 0, v12
	v_cndmask_b32_e64 v12, v15, v13, s7
; %bb.90:
	s_or_b32 exec_lo, exec_lo, s9
	v_lshlrev_b32_e32 v13, 16, v51
	s_delay_alu instid0(VALU_DEP_1) | instskip(NEXT) | instid1(VALU_DEP_1)
	v_add_f32_e32 v15, 0, v13
	v_and_b32_e32 v13, 0x7f800000, v15
	s_delay_alu instid0(VALU_DEP_1) | instskip(NEXT) | instid1(VALU_DEP_1)
	v_cmp_ne_u32_e64 s7, 0x7f800000, v13
                                        ; implicit-def: $vgpr13
	s_and_saveexec_b32 s9, s7
	s_delay_alu instid0(SALU_CYCLE_1)
	s_xor_b32 s7, exec_lo, s9
; %bb.91:
	v_bfe_u32 v13, v15, 16, 1
	s_delay_alu instid0(VALU_DEP_1)
	v_add3_u32 v13, v15, v13, 0x7fff
                                        ; implicit-def: $vgpr15
; %bb.92:
	s_and_not1_saveexec_b32 s9, s7
; %bb.93:
	v_and_b32_e32 v13, 0xffff, v15
	v_or_b32_e32 v26, 0x10000, v15
	s_delay_alu instid0(VALU_DEP_2) | instskip(NEXT) | instid1(VALU_DEP_1)
	v_cmp_eq_u32_e64 s7, 0, v13
	v_cndmask_b32_e64 v13, v26, v15, s7
; %bb.94:
	s_or_b32 exec_lo, exec_lo, s9
	v_cmp_lt_i32_e64 s7, -1, v12
	s_delay_alu instid0(VALU_DEP_2) | instskip(SKIP_2) | instid1(VALU_DEP_3)
	v_perm_b32 v12, v13, v12, 0x7060302
	v_mov_b32_e32 v50, v48
	s_mov_b32 s9, exec_lo
	v_cndmask_b32_e64 v15, -1, 0xffff8000, s7
	v_cmp_lt_i32_e64 s7, -1, v13
	s_delay_alu instid0(VALU_DEP_1) | instskip(NEXT) | instid1(VALU_DEP_1)
	v_cndmask_b32_e64 v26, -1, 0xffff8000, s7
	v_perm_b32 v13, v26, v15, 0x5040100
	s_delay_alu instid0(VALU_DEP_1) | instskip(SKIP_1) | instid1(VALU_DEP_2)
	v_xor_b32_e32 v15, v13, v12
	v_dual_mov_b32 v12, v16 :: v_dual_mov_b32 v13, v17
	v_lshrrev_b32_e32 v26, 16, v15
	s_delay_alu instid0(VALU_DEP_1)
	v_cmpx_gt_u16_e64 v15, v26
; %bb.95:
	v_dual_mov_b32 v13, v9 :: v_dual_mov_b32 v12, v8
	v_dual_mov_b32 v8, v16 :: v_dual_mov_b32 v9, v17
	;; [unrolled: 1-line block ×3, first 2 shown]
; %bb.96:
	s_or_b32 exec_lo, exec_lo, s9
	v_lshlrev_b32_e32 v15, 16, v38
	s_delay_alu instid0(VALU_DEP_1) | instskip(NEXT) | instid1(VALU_DEP_1)
	v_add_f32_e32 v16, 0, v15
	v_and_b32_e32 v15, 0x7f800000, v16
	s_delay_alu instid0(VALU_DEP_1) | instskip(NEXT) | instid1(VALU_DEP_1)
	v_cmp_ne_u32_e64 s7, 0x7f800000, v15
                                        ; implicit-def: $vgpr15
	s_and_saveexec_b32 s9, s7
	s_delay_alu instid0(SALU_CYCLE_1)
	s_xor_b32 s7, exec_lo, s9
; %bb.97:
	v_bfe_u32 v15, v16, 16, 1
	s_delay_alu instid0(VALU_DEP_1)
	v_add3_u32 v15, v16, v15, 0x7fff
                                        ; implicit-def: $vgpr16
; %bb.98:
	s_and_not1_saveexec_b32 s9, s7
; %bb.99:
	v_and_b32_e32 v15, 0xffff, v16
	v_or_b32_e32 v17, 0x10000, v16
	s_delay_alu instid0(VALU_DEP_2) | instskip(NEXT) | instid1(VALU_DEP_1)
	v_cmp_eq_u32_e64 s7, 0, v15
	v_cndmask_b32_e64 v15, v17, v16, s7
; %bb.100:
	s_or_b32 exec_lo, exec_lo, s9
	v_lshlrev_b32_e32 v16, 16, v33
	s_delay_alu instid0(VALU_DEP_1) | instskip(NEXT) | instid1(VALU_DEP_1)
	v_add_f32_e32 v17, 0, v16
	v_and_b32_e32 v16, 0x7f800000, v17
	s_delay_alu instid0(VALU_DEP_1) | instskip(NEXT) | instid1(VALU_DEP_1)
	v_cmp_ne_u32_e64 s7, 0x7f800000, v16
                                        ; implicit-def: $vgpr16
	s_and_saveexec_b32 s9, s7
	s_delay_alu instid0(SALU_CYCLE_1)
	s_xor_b32 s7, exec_lo, s9
; %bb.101:
	v_bfe_u32 v16, v17, 16, 1
	s_delay_alu instid0(VALU_DEP_1)
	v_add3_u32 v16, v17, v16, 0x7fff
                                        ; implicit-def: $vgpr17
; %bb.102:
	s_and_not1_saveexec_b32 s9, s7
; %bb.103:
	v_and_b32_e32 v16, 0xffff, v17
	v_or_b32_e32 v26, 0x10000, v17
	s_delay_alu instid0(VALU_DEP_2) | instskip(NEXT) | instid1(VALU_DEP_1)
	v_cmp_eq_u32_e64 s7, 0, v16
	v_cndmask_b32_e64 v16, v26, v17, s7
; %bb.104:
	s_or_b32 exec_lo, exec_lo, s9
	v_cmp_lt_i32_e64 s7, -1, v15
	s_delay_alu instid0(VALU_DEP_2) | instskip(SKIP_2) | instid1(VALU_DEP_3)
	v_perm_b32 v15, v16, v15, 0x7060302
	v_mov_b32_e32 v48, v33
	s_mov_b32 s9, exec_lo
	v_cndmask_b32_e64 v17, -1, 0xffff8000, s7
	v_cmp_lt_i32_e64 s7, -1, v16
	s_delay_alu instid0(VALU_DEP_1) | instskip(NEXT) | instid1(VALU_DEP_1)
	v_cndmask_b32_e64 v26, -1, 0xffff8000, s7
	v_perm_b32 v16, v26, v17, 0x5040100
	v_dual_mov_b32 v27, v21 :: v_dual_mov_b32 v26, v20
	s_delay_alu instid0(VALU_DEP_2) | instskip(NEXT) | instid1(VALU_DEP_1)
	v_xor_b32_e32 v15, v16, v15
	v_lshrrev_b32_e32 v16, 16, v15
	s_delay_alu instid0(VALU_DEP_1)
	v_cmpx_gt_u16_e64 v15, v16
; %bb.105:
	v_dual_mov_b32 v48, v38 :: v_dual_mov_b32 v27, v5
	v_mov_b32_e32 v26, v4
	v_dual_mov_b32 v4, v20 :: v_dual_mov_b32 v5, v21
	v_mov_b32_e32 v38, v33
; %bb.106:
	s_or_b32 exec_lo, exec_lo, s9
	v_lshlrev_b32_e32 v15, 16, v49
	s_delay_alu instid0(VALU_DEP_1) | instskip(NEXT) | instid1(VALU_DEP_1)
	v_add_f32_e32 v16, 0, v15
	v_and_b32_e32 v15, 0x7f800000, v16
	s_delay_alu instid0(VALU_DEP_1) | instskip(NEXT) | instid1(VALU_DEP_1)
	v_cmp_ne_u32_e64 s7, 0x7f800000, v15
                                        ; implicit-def: $vgpr15
	s_and_saveexec_b32 s9, s7
	s_delay_alu instid0(SALU_CYCLE_1)
	s_xor_b32 s7, exec_lo, s9
; %bb.107:
	v_bfe_u32 v15, v16, 16, 1
	s_delay_alu instid0(VALU_DEP_1)
	v_add3_u32 v15, v16, v15, 0x7fff
                                        ; implicit-def: $vgpr16
; %bb.108:
	s_and_not1_saveexec_b32 s9, s7
; %bb.109:
	v_and_b32_e32 v15, 0xffff, v16
	v_or_b32_e32 v17, 0x10000, v16
	s_delay_alu instid0(VALU_DEP_2) | instskip(NEXT) | instid1(VALU_DEP_1)
	v_cmp_eq_u32_e64 s7, 0, v15
	v_cndmask_b32_e64 v15, v17, v16, s7
; %bb.110:
	s_or_b32 exec_lo, exec_lo, s9
	v_lshlrev_b32_e32 v16, 16, v14
	s_delay_alu instid0(VALU_DEP_1) | instskip(NEXT) | instid1(VALU_DEP_1)
	v_add_f32_e32 v17, 0, v16
	v_and_b32_e32 v16, 0x7f800000, v17
	s_delay_alu instid0(VALU_DEP_1) | instskip(NEXT) | instid1(VALU_DEP_1)
	v_cmp_ne_u32_e64 s7, 0x7f800000, v16
                                        ; implicit-def: $vgpr16
	s_and_saveexec_b32 s9, s7
	s_delay_alu instid0(SALU_CYCLE_1)
	s_xor_b32 s7, exec_lo, s9
; %bb.111:
	v_bfe_u32 v16, v17, 16, 1
	s_delay_alu instid0(VALU_DEP_1)
	v_add3_u32 v16, v17, v16, 0x7fff
                                        ; implicit-def: $vgpr17
; %bb.112:
	s_and_not1_saveexec_b32 s9, s7
; %bb.113:
	v_and_b32_e32 v16, 0xffff, v17
	v_or_b32_e32 v20, 0x10000, v17
	s_delay_alu instid0(VALU_DEP_2) | instskip(NEXT) | instid1(VALU_DEP_1)
	v_cmp_eq_u32_e64 s7, 0, v16
	v_cndmask_b32_e64 v16, v20, v17, s7
; %bb.114:
	s_or_b32 exec_lo, exec_lo, s9
	v_cmp_lt_i32_e64 s7, -1, v15
	s_delay_alu instid0(VALU_DEP_2) | instskip(SKIP_2) | instid1(VALU_DEP_3)
	v_perm_b32 v15, v16, v15, 0x7060302
	v_mov_b32_e32 v54, v14
	s_mov_b32 s9, exec_lo
	v_cndmask_b32_e64 v17, -1, 0xffff8000, s7
	v_cmp_lt_i32_e64 s7, -1, v16
	s_delay_alu instid0(VALU_DEP_1) | instskip(NEXT) | instid1(VALU_DEP_1)
	v_cndmask_b32_e64 v20, -1, 0xffff8000, s7
	v_perm_b32 v16, v20, v17, 0x5040100
	v_dual_mov_b32 v20, v30 :: v_dual_mov_b32 v21, v31
	s_delay_alu instid0(VALU_DEP_2) | instskip(NEXT) | instid1(VALU_DEP_1)
	v_xor_b32_e32 v15, v16, v15
	v_lshrrev_b32_e32 v16, 16, v15
	s_delay_alu instid0(VALU_DEP_1)
	v_cmpx_gt_u16_e64 v15, v16
; %bb.115:
	v_dual_mov_b32 v54, v49 :: v_dual_mov_b32 v49, v14
	v_dual_mov_b32 v20, v22 :: v_dual_mov_b32 v21, v23
	;; [unrolled: 1-line block ×3, first 2 shown]
; %bb.116:
	s_or_b32 exec_lo, exec_lo, s9
	v_lshlrev_b32_e32 v14, 16, v53
	s_delay_alu instid0(VALU_DEP_1) | instskip(NEXT) | instid1(VALU_DEP_1)
	v_add_f32_e32 v15, 0, v14
	v_and_b32_e32 v14, 0x7f800000, v15
	s_delay_alu instid0(VALU_DEP_1) | instskip(NEXT) | instid1(VALU_DEP_1)
	v_cmp_ne_u32_e64 s7, 0x7f800000, v14
                                        ; implicit-def: $vgpr14
	s_and_saveexec_b32 s9, s7
	s_delay_alu instid0(SALU_CYCLE_1)
	s_xor_b32 s7, exec_lo, s9
; %bb.117:
	v_bfe_u32 v14, v15, 16, 1
	s_delay_alu instid0(VALU_DEP_1)
	v_add3_u32 v14, v15, v14, 0x7fff
                                        ; implicit-def: $vgpr15
; %bb.118:
	s_and_not1_saveexec_b32 s9, s7
; %bb.119:
	v_and_b32_e32 v14, 0xffff, v15
	v_or_b32_e32 v16, 0x10000, v15
	s_delay_alu instid0(VALU_DEP_2) | instskip(NEXT) | instid1(VALU_DEP_1)
	v_cmp_eq_u32_e64 s7, 0, v14
	v_cndmask_b32_e64 v14, v16, v15, s7
; %bb.120:
	s_or_b32 exec_lo, exec_lo, s9
	v_lshlrev_b32_e32 v15, 16, v50
	s_delay_alu instid0(VALU_DEP_1) | instskip(NEXT) | instid1(VALU_DEP_1)
	v_add_f32_e32 v16, 0, v15
	v_and_b32_e32 v15, 0x7f800000, v16
	s_delay_alu instid0(VALU_DEP_1) | instskip(NEXT) | instid1(VALU_DEP_1)
	v_cmp_ne_u32_e64 s7, 0x7f800000, v15
                                        ; implicit-def: $vgpr15
	s_and_saveexec_b32 s9, s7
	s_delay_alu instid0(SALU_CYCLE_1)
	s_xor_b32 s7, exec_lo, s9
; %bb.121:
	v_bfe_u32 v15, v16, 16, 1
	s_delay_alu instid0(VALU_DEP_1)
	v_add3_u32 v15, v16, v15, 0x7fff
                                        ; implicit-def: $vgpr16
; %bb.122:
	s_and_not1_saveexec_b32 s9, s7
; %bb.123:
	v_and_b32_e32 v15, 0xffff, v16
	v_or_b32_e32 v17, 0x10000, v16
	s_delay_alu instid0(VALU_DEP_2) | instskip(NEXT) | instid1(VALU_DEP_1)
	v_cmp_eq_u32_e64 s7, 0, v15
	v_cndmask_b32_e64 v15, v17, v16, s7
; %bb.124:
	s_or_b32 exec_lo, exec_lo, s9
	v_cmp_lt_i32_e64 s7, -1, v14
	s_delay_alu instid0(VALU_DEP_2) | instskip(SKIP_2) | instid1(VALU_DEP_3)
	v_perm_b32 v14, v15, v14, 0x7060302
	v_mov_b32_e32 v52, v53
	s_mov_b32 s9, exec_lo
	v_cndmask_b32_e64 v16, -1, 0xffff8000, s7
	v_cmp_lt_i32_e64 s7, -1, v15
	s_delay_alu instid0(VALU_DEP_1) | instskip(NEXT) | instid1(VALU_DEP_1)
	v_cndmask_b32_e64 v17, -1, 0xffff8000, s7
	v_perm_b32 v15, v17, v16, 0x5040100
	s_delay_alu instid0(VALU_DEP_1) | instskip(SKIP_1) | instid1(VALU_DEP_2)
	v_xor_b32_e32 v16, v15, v14
	v_dual_mov_b32 v15, v9 :: v_dual_mov_b32 v14, v8
	v_lshrrev_b32_e32 v17, 16, v16
	s_delay_alu instid0(VALU_DEP_1)
	v_cmpx_gt_u16_e64 v16, v17
; %bb.125:
	v_dual_mov_b32 v14, v18 :: v_dual_mov_b32 v15, v19
	v_dual_mov_b32 v19, v9 :: v_dual_mov_b32 v18, v8
	v_mov_b32_e32 v52, v50
	v_mov_b32_e32 v50, v53
; %bb.126:
	s_or_b32 exec_lo, exec_lo, s9
	v_lshlrev_b32_e32 v8, 16, v51
	s_delay_alu instid0(VALU_DEP_1) | instskip(NEXT) | instid1(VALU_DEP_1)
	v_add_f32_e32 v9, 0, v8
	v_and_b32_e32 v8, 0x7f800000, v9
	s_delay_alu instid0(VALU_DEP_1) | instskip(NEXT) | instid1(VALU_DEP_1)
	v_cmp_ne_u32_e64 s7, 0x7f800000, v8
                                        ; implicit-def: $vgpr8
	s_and_saveexec_b32 s9, s7
	s_delay_alu instid0(SALU_CYCLE_1)
	s_xor_b32 s7, exec_lo, s9
; %bb.127:
	v_bfe_u32 v8, v9, 16, 1
	s_delay_alu instid0(VALU_DEP_1)
	v_add3_u32 v8, v9, v8, 0x7fff
                                        ; implicit-def: $vgpr9
; %bb.128:
	s_and_not1_saveexec_b32 s9, s7
; %bb.129:
	v_and_b32_e32 v8, 0xffff, v9
	v_or_b32_e32 v16, 0x10000, v9
	s_delay_alu instid0(VALU_DEP_2) | instskip(NEXT) | instid1(VALU_DEP_1)
	v_cmp_eq_u32_e64 s7, 0, v8
	v_cndmask_b32_e64 v8, v16, v9, s7
; %bb.130:
	s_or_b32 exec_lo, exec_lo, s9
	v_lshlrev_b32_e32 v9, 16, v39
	s_delay_alu instid0(VALU_DEP_1) | instskip(NEXT) | instid1(VALU_DEP_1)
	v_add_f32_e32 v16, 0, v9
	v_and_b32_e32 v9, 0x7f800000, v16
	s_delay_alu instid0(VALU_DEP_1) | instskip(NEXT) | instid1(VALU_DEP_1)
	v_cmp_ne_u32_e64 s7, 0x7f800000, v9
                                        ; implicit-def: $vgpr9
	s_and_saveexec_b32 s9, s7
	s_delay_alu instid0(SALU_CYCLE_1)
	s_xor_b32 s7, exec_lo, s9
; %bb.131:
	v_bfe_u32 v9, v16, 16, 1
	s_delay_alu instid0(VALU_DEP_1)
	v_add3_u32 v9, v16, v9, 0x7fff
                                        ; implicit-def: $vgpr16
; %bb.132:
	s_and_not1_saveexec_b32 s9, s7
; %bb.133:
	v_and_b32_e32 v9, 0xffff, v16
	v_or_b32_e32 v17, 0x10000, v16
	s_delay_alu instid0(VALU_DEP_2) | instskip(NEXT) | instid1(VALU_DEP_1)
	v_cmp_eq_u32_e64 s7, 0, v9
	v_cndmask_b32_e64 v9, v17, v16, s7
; %bb.134:
	s_or_b32 exec_lo, exec_lo, s9
	v_cmp_lt_i32_e64 s7, -1, v8
	s_delay_alu instid0(VALU_DEP_2) | instskip(SKIP_2) | instid1(VALU_DEP_3)
	v_perm_b32 v8, v9, v8, 0x7060302
	v_mov_b32_e32 v33, v51
	s_mov_b32 s9, exec_lo
	v_cndmask_b32_e64 v16, -1, 0xffff8000, s7
	v_cmp_lt_i32_e64 s7, -1, v9
	s_delay_alu instid0(VALU_DEP_1) | instskip(NEXT) | instid1(VALU_DEP_1)
	v_cndmask_b32_e64 v17, -1, 0xffff8000, s7
	v_perm_b32 v9, v17, v16, 0x5040100
	s_delay_alu instid0(VALU_DEP_1) | instskip(SKIP_1) | instid1(VALU_DEP_2)
	v_xor_b32_e32 v16, v9, v8
	v_dual_mov_b32 v8, v10 :: v_dual_mov_b32 v9, v11
	v_lshrrev_b32_e32 v17, 16, v16
	s_delay_alu instid0(VALU_DEP_1)
	v_cmpx_gt_u16_e64 v16, v17
; %bb.135:
	v_dual_mov_b32 v8, v12 :: v_dual_mov_b32 v9, v13
	v_dual_mov_b32 v13, v11 :: v_dual_mov_b32 v12, v10
	v_mov_b32_e32 v33, v39
	v_mov_b32_e32 v39, v51
; %bb.136:
	s_or_b32 exec_lo, exec_lo, s9
	v_lshlrev_b32_e32 v10, 16, v48
	s_delay_alu instid0(VALU_DEP_1) | instskip(NEXT) | instid1(VALU_DEP_1)
	v_add_f32_e32 v11, 0, v10
	v_and_b32_e32 v10, 0x7f800000, v11
	s_delay_alu instid0(VALU_DEP_1) | instskip(NEXT) | instid1(VALU_DEP_1)
	v_cmp_ne_u32_e64 s7, 0x7f800000, v10
                                        ; implicit-def: $vgpr10
	s_and_saveexec_b32 s9, s7
	s_delay_alu instid0(SALU_CYCLE_1)
	s_xor_b32 s7, exec_lo, s9
; %bb.137:
	v_bfe_u32 v10, v11, 16, 1
	s_delay_alu instid0(VALU_DEP_1)
	v_add3_u32 v10, v11, v10, 0x7fff
                                        ; implicit-def: $vgpr11
; %bb.138:
	s_and_not1_saveexec_b32 s9, s7
; %bb.139:
	v_and_b32_e32 v10, 0xffff, v11
	v_or_b32_e32 v16, 0x10000, v11
	s_delay_alu instid0(VALU_DEP_2) | instskip(NEXT) | instid1(VALU_DEP_1)
	v_cmp_eq_u32_e64 s7, 0, v10
	v_cndmask_b32_e64 v10, v16, v11, s7
; %bb.140:
	s_or_b32 exec_lo, exec_lo, s9
	v_lshlrev_b32_e32 v11, 16, v49
	s_delay_alu instid0(VALU_DEP_1) | instskip(NEXT) | instid1(VALU_DEP_1)
	v_add_f32_e32 v16, 0, v11
	v_and_b32_e32 v11, 0x7f800000, v16
	s_delay_alu instid0(VALU_DEP_1) | instskip(NEXT) | instid1(VALU_DEP_1)
	v_cmp_ne_u32_e64 s7, 0x7f800000, v11
                                        ; implicit-def: $vgpr11
	s_and_saveexec_b32 s9, s7
	s_delay_alu instid0(SALU_CYCLE_1)
	s_xor_b32 s7, exec_lo, s9
; %bb.141:
	v_bfe_u32 v11, v16, 16, 1
	s_delay_alu instid0(VALU_DEP_1)
	v_add3_u32 v11, v16, v11, 0x7fff
                                        ; implicit-def: $vgpr16
; %bb.142:
	s_and_not1_saveexec_b32 s9, s7
; %bb.143:
	v_and_b32_e32 v11, 0xffff, v16
	v_or_b32_e32 v17, 0x10000, v16
	s_delay_alu instid0(VALU_DEP_2) | instskip(NEXT) | instid1(VALU_DEP_1)
	v_cmp_eq_u32_e64 s7, 0, v11
	v_cndmask_b32_e64 v11, v17, v16, s7
; %bb.144:
	s_or_b32 exec_lo, exec_lo, s9
	v_cmp_lt_i32_e64 s7, -1, v10
	s_delay_alu instid0(VALU_DEP_2) | instskip(SKIP_2) | instid1(VALU_DEP_4)
	v_perm_b32 v10, v11, v10, 0x7060302
	v_dual_mov_b32 v30, v49 :: v_dual_mov_b32 v29, v23
	v_mov_b32_e32 v28, v22
	v_cndmask_b32_e64 v16, -1, 0xffff8000, s7
	v_cmp_lt_i32_e64 s7, -1, v11
	s_mov_b32 s9, exec_lo
	s_delay_alu instid0(VALU_DEP_1) | instskip(NEXT) | instid1(VALU_DEP_1)
	v_cndmask_b32_e64 v17, -1, 0xffff8000, s7
	v_perm_b32 v11, v17, v16, 0x5040100
	s_delay_alu instid0(VALU_DEP_1) | instskip(NEXT) | instid1(VALU_DEP_1)
	v_xor_b32_e32 v10, v11, v10
	v_lshrrev_b32_e32 v11, 16, v10
	s_delay_alu instid0(VALU_DEP_1)
	v_cmpx_gt_u16_e64 v10, v11
; %bb.145:
	v_dual_mov_b32 v30, v48 :: v_dual_mov_b32 v29, v27
	v_mov_b32_e32 v48, v49
	v_dual_mov_b32 v28, v26 :: v_dual_mov_b32 v27, v23
	v_mov_b32_e32 v26, v22
; %bb.146:
	s_or_b32 exec_lo, exec_lo, s9
	v_lshlrev_b32_e32 v10, 16, v54
	s_delay_alu instid0(VALU_DEP_1) | instskip(NEXT) | instid1(VALU_DEP_1)
	v_add_f32_e32 v11, 0, v10
	v_and_b32_e32 v10, 0x7f800000, v11
	s_delay_alu instid0(VALU_DEP_1) | instskip(NEXT) | instid1(VALU_DEP_1)
	v_cmp_ne_u32_e64 s7, 0x7f800000, v10
                                        ; implicit-def: $vgpr10
	s_and_saveexec_b32 s9, s7
	s_delay_alu instid0(SALU_CYCLE_1)
	s_xor_b32 s7, exec_lo, s9
; %bb.147:
	v_bfe_u32 v10, v11, 16, 1
	s_delay_alu instid0(VALU_DEP_1)
	v_add3_u32 v10, v11, v10, 0x7fff
                                        ; implicit-def: $vgpr11
; %bb.148:
	s_and_not1_saveexec_b32 s9, s7
; %bb.149:
	v_and_b32_e32 v10, 0xffff, v11
	v_or_b32_e32 v16, 0x10000, v11
	s_delay_alu instid0(VALU_DEP_2) | instskip(NEXT) | instid1(VALU_DEP_1)
	v_cmp_eq_u32_e64 s7, 0, v10
	v_cndmask_b32_e64 v10, v16, v11, s7
; %bb.150:
	s_or_b32 exec_lo, exec_lo, s9
	v_lshlrev_b32_e32 v11, 16, v52
	s_delay_alu instid0(VALU_DEP_1) | instskip(NEXT) | instid1(VALU_DEP_1)
	v_add_f32_e32 v16, 0, v11
	v_and_b32_e32 v11, 0x7f800000, v16
	s_delay_alu instid0(VALU_DEP_1) | instskip(NEXT) | instid1(VALU_DEP_1)
	v_cmp_ne_u32_e64 s7, 0x7f800000, v11
                                        ; implicit-def: $vgpr11
	s_and_saveexec_b32 s9, s7
	s_delay_alu instid0(SALU_CYCLE_1)
	s_xor_b32 s7, exec_lo, s9
; %bb.151:
	v_bfe_u32 v11, v16, 16, 1
	s_delay_alu instid0(VALU_DEP_1)
	v_add3_u32 v11, v16, v11, 0x7fff
                                        ; implicit-def: $vgpr16
; %bb.152:
	s_and_not1_saveexec_b32 s9, s7
; %bb.153:
	v_and_b32_e32 v11, 0xffff, v16
	v_or_b32_e32 v17, 0x10000, v16
	s_delay_alu instid0(VALU_DEP_2) | instskip(NEXT) | instid1(VALU_DEP_1)
	v_cmp_eq_u32_e64 s7, 0, v11
	v_cndmask_b32_e64 v11, v17, v16, s7
; %bb.154:
	s_or_b32 exec_lo, exec_lo, s9
	v_cmp_lt_i32_e64 s7, -1, v10
	s_delay_alu instid0(VALU_DEP_2) | instskip(SKIP_2) | instid1(VALU_DEP_3)
	v_perm_b32 v10, v11, v10, 0x7060302
	v_mov_b32_e32 v51, v54
	s_mov_b32 s9, exec_lo
	v_cndmask_b32_e64 v16, -1, 0xffff8000, s7
	v_cmp_lt_i32_e64 s7, -1, v11
	s_delay_alu instid0(VALU_DEP_1) | instskip(NEXT) | instid1(VALU_DEP_1)
	v_cndmask_b32_e64 v17, -1, 0xffff8000, s7
	v_perm_b32 v11, v17, v16, 0x5040100
	v_dual_mov_b32 v16, v18 :: v_dual_mov_b32 v17, v19
	s_delay_alu instid0(VALU_DEP_2) | instskip(NEXT) | instid1(VALU_DEP_1)
	v_xor_b32_e32 v10, v11, v10
	v_lshrrev_b32_e32 v11, 16, v10
	s_delay_alu instid0(VALU_DEP_1)
	v_cmpx_gt_u16_e64 v10, v11
; %bb.155:
	v_dual_mov_b32 v16, v20 :: v_dual_mov_b32 v17, v21
	v_mov_b32_e32 v21, v19
	v_dual_mov_b32 v51, v52 :: v_dual_mov_b32 v20, v18
	v_mov_b32_e32 v52, v54
; %bb.156:
	s_or_b32 exec_lo, exec_lo, s9
	v_lshlrev_b32_e32 v10, 16, v50
	s_delay_alu instid0(VALU_DEP_1) | instskip(NEXT) | instid1(VALU_DEP_1)
	v_add_f32_e32 v11, 0, v10
	v_and_b32_e32 v10, 0x7f800000, v11
	s_delay_alu instid0(VALU_DEP_1) | instskip(NEXT) | instid1(VALU_DEP_1)
	v_cmp_ne_u32_e64 s7, 0x7f800000, v10
                                        ; implicit-def: $vgpr10
	s_and_saveexec_b32 s9, s7
	s_delay_alu instid0(SALU_CYCLE_1)
	s_xor_b32 s7, exec_lo, s9
; %bb.157:
	v_bfe_u32 v10, v11, 16, 1
	s_delay_alu instid0(VALU_DEP_1)
	v_add3_u32 v10, v11, v10, 0x7fff
                                        ; implicit-def: $vgpr11
; %bb.158:
	s_and_not1_saveexec_b32 s9, s7
; %bb.159:
	v_and_b32_e32 v10, 0xffff, v11
	v_or_b32_e32 v18, 0x10000, v11
	s_delay_alu instid0(VALU_DEP_2) | instskip(NEXT) | instid1(VALU_DEP_1)
	v_cmp_eq_u32_e64 s7, 0, v10
	v_cndmask_b32_e64 v10, v18, v11, s7
; %bb.160:
	s_or_b32 exec_lo, exec_lo, s9
	v_lshlrev_b32_e32 v11, 16, v33
	s_delay_alu instid0(VALU_DEP_1) | instskip(NEXT) | instid1(VALU_DEP_1)
	v_add_f32_e32 v18, 0, v11
	v_and_b32_e32 v11, 0x7f800000, v18
	s_delay_alu instid0(VALU_DEP_1) | instskip(NEXT) | instid1(VALU_DEP_1)
	v_cmp_ne_u32_e64 s7, 0x7f800000, v11
                                        ; implicit-def: $vgpr11
	s_and_saveexec_b32 s9, s7
	s_delay_alu instid0(SALU_CYCLE_1)
	s_xor_b32 s7, exec_lo, s9
; %bb.161:
	v_bfe_u32 v11, v18, 16, 1
	s_delay_alu instid0(VALU_DEP_1)
	v_add3_u32 v11, v18, v11, 0x7fff
                                        ; implicit-def: $vgpr18
; %bb.162:
	s_and_not1_saveexec_b32 s9, s7
; %bb.163:
	v_and_b32_e32 v11, 0xffff, v18
	v_or_b32_e32 v19, 0x10000, v18
	s_delay_alu instid0(VALU_DEP_2) | instskip(NEXT) | instid1(VALU_DEP_1)
	v_cmp_eq_u32_e64 s7, 0, v11
	v_cndmask_b32_e64 v11, v19, v18, s7
; %bb.164:
	s_or_b32 exec_lo, exec_lo, s9
	v_cmp_lt_i32_e64 s7, -1, v10
	s_delay_alu instid0(VALU_DEP_2) | instskip(SKIP_2) | instid1(VALU_DEP_3)
	v_perm_b32 v10, v11, v10, 0x7060302
	v_mov_b32_e32 v49, v50
	s_mov_b32 s9, exec_lo
	v_cndmask_b32_e64 v18, -1, 0xffff8000, s7
	v_cmp_lt_i32_e64 s7, -1, v11
	s_delay_alu instid0(VALU_DEP_1) | instskip(NEXT) | instid1(VALU_DEP_1)
	v_cndmask_b32_e64 v19, -1, 0xffff8000, s7
	v_perm_b32 v11, v19, v18, 0x5040100
	s_delay_alu instid0(VALU_DEP_1) | instskip(SKIP_1) | instid1(VALU_DEP_2)
	v_xor_b32_e32 v18, v11, v10
	v_dual_mov_b32 v10, v12 :: v_dual_mov_b32 v11, v13
	v_lshrrev_b32_e32 v19, 16, v18
	s_delay_alu instid0(VALU_DEP_1)
	v_cmpx_gt_u16_e64 v18, v19
; %bb.165:
	v_dual_mov_b32 v10, v14 :: v_dual_mov_b32 v11, v15
	v_dual_mov_b32 v15, v13 :: v_dual_mov_b32 v14, v12
	v_mov_b32_e32 v49, v33
	v_mov_b32_e32 v33, v50
; %bb.166:
	s_or_b32 exec_lo, exec_lo, s9
	v_lshlrev_b32_e32 v12, 16, v38
	s_delay_alu instid0(VALU_DEP_1) | instskip(NEXT) | instid1(VALU_DEP_1)
	v_add_f32_e32 v13, 0, v12
	v_and_b32_e32 v12, 0x7f800000, v13
	s_delay_alu instid0(VALU_DEP_1) | instskip(NEXT) | instid1(VALU_DEP_1)
	v_cmp_ne_u32_e64 s7, 0x7f800000, v12
                                        ; implicit-def: $vgpr12
	s_and_saveexec_b32 s9, s7
	s_delay_alu instid0(SALU_CYCLE_1)
	s_xor_b32 s7, exec_lo, s9
; %bb.167:
	v_bfe_u32 v12, v13, 16, 1
	s_delay_alu instid0(VALU_DEP_1)
	v_add3_u32 v12, v13, v12, 0x7fff
                                        ; implicit-def: $vgpr13
; %bb.168:
	s_and_not1_saveexec_b32 s9, s7
; %bb.169:
	v_and_b32_e32 v12, 0xffff, v13
	v_or_b32_e32 v18, 0x10000, v13
	s_delay_alu instid0(VALU_DEP_2) | instskip(NEXT) | instid1(VALU_DEP_1)
	v_cmp_eq_u32_e64 s7, 0, v12
	v_cndmask_b32_e64 v12, v18, v13, s7
; %bb.170:
	s_or_b32 exec_lo, exec_lo, s9
	v_lshlrev_b32_e32 v13, 16, v48
	s_delay_alu instid0(VALU_DEP_1) | instskip(NEXT) | instid1(VALU_DEP_1)
	v_add_f32_e32 v18, 0, v13
	v_and_b32_e32 v13, 0x7f800000, v18
	s_delay_alu instid0(VALU_DEP_1) | instskip(NEXT) | instid1(VALU_DEP_1)
	v_cmp_ne_u32_e64 s7, 0x7f800000, v13
                                        ; implicit-def: $vgpr13
	s_and_saveexec_b32 s9, s7
	s_delay_alu instid0(SALU_CYCLE_1)
	s_xor_b32 s7, exec_lo, s9
; %bb.171:
	v_bfe_u32 v13, v18, 16, 1
	s_delay_alu instid0(VALU_DEP_1)
	v_add3_u32 v13, v18, v13, 0x7fff
                                        ; implicit-def: $vgpr18
; %bb.172:
	s_and_not1_saveexec_b32 s9, s7
; %bb.173:
	v_and_b32_e32 v13, 0xffff, v18
	v_or_b32_e32 v19, 0x10000, v18
	s_delay_alu instid0(VALU_DEP_2) | instskip(NEXT) | instid1(VALU_DEP_1)
	v_cmp_eq_u32_e64 s7, 0, v13
	v_cndmask_b32_e64 v13, v19, v18, s7
; %bb.174:
	s_or_b32 exec_lo, exec_lo, s9
	v_cmp_lt_i32_e64 s7, -1, v12
	s_delay_alu instid0(VALU_DEP_2) | instskip(SKIP_2) | instid1(VALU_DEP_4)
	v_perm_b32 v12, v13, v12, 0x7060302
	v_dual_mov_b32 v31, v48 :: v_dual_mov_b32 v22, v26
	v_mov_b32_e32 v23, v27
	v_cndmask_b32_e64 v18, -1, 0xffff8000, s7
	v_cmp_lt_i32_e64 s7, -1, v13
	s_mov_b32 s9, exec_lo
	s_delay_alu instid0(VALU_DEP_1) | instskip(NEXT) | instid1(VALU_DEP_1)
	v_cndmask_b32_e64 v19, -1, 0xffff8000, s7
	v_perm_b32 v13, v19, v18, 0x5040100
	s_delay_alu instid0(VALU_DEP_1) | instskip(NEXT) | instid1(VALU_DEP_1)
	v_xor_b32_e32 v12, v13, v12
	v_lshrrev_b32_e32 v13, 16, v12
	s_delay_alu instid0(VALU_DEP_1)
	v_cmpx_gt_u16_e64 v12, v13
; %bb.175:
	v_dual_mov_b32 v31, v38 :: v_dual_mov_b32 v38, v48
	v_dual_mov_b32 v23, v5 :: v_dual_mov_b32 v22, v4
	;; [unrolled: 1-line block ×3, first 2 shown]
; %bb.176:
	s_or_b32 exec_lo, exec_lo, s9
	v_lshlrev_b32_e32 v12, 16, v30
	s_delay_alu instid0(VALU_DEP_1) | instskip(NEXT) | instid1(VALU_DEP_1)
	v_add_f32_e32 v13, 0, v12
	v_and_b32_e32 v12, 0x7f800000, v13
	s_delay_alu instid0(VALU_DEP_1) | instskip(NEXT) | instid1(VALU_DEP_1)
	v_cmp_ne_u32_e64 s7, 0x7f800000, v12
                                        ; implicit-def: $vgpr12
	s_and_saveexec_b32 s9, s7
	s_delay_alu instid0(SALU_CYCLE_1)
	s_xor_b32 s7, exec_lo, s9
; %bb.177:
	v_bfe_u32 v12, v13, 16, 1
	s_delay_alu instid0(VALU_DEP_1)
	v_add3_u32 v12, v13, v12, 0x7fff
                                        ; implicit-def: $vgpr13
; %bb.178:
	s_and_not1_saveexec_b32 s9, s7
; %bb.179:
	v_and_b32_e32 v12, 0xffff, v13
	v_or_b32_e32 v18, 0x10000, v13
	s_delay_alu instid0(VALU_DEP_2) | instskip(NEXT) | instid1(VALU_DEP_1)
	v_cmp_eq_u32_e64 s7, 0, v12
	v_cndmask_b32_e64 v12, v18, v13, s7
; %bb.180:
	s_or_b32 exec_lo, exec_lo, s9
	v_lshlrev_b32_e32 v13, 16, v51
	s_delay_alu instid0(VALU_DEP_1) | instskip(NEXT) | instid1(VALU_DEP_1)
	v_add_f32_e32 v18, 0, v13
	v_and_b32_e32 v13, 0x7f800000, v18
	s_delay_alu instid0(VALU_DEP_1) | instskip(NEXT) | instid1(VALU_DEP_1)
	v_cmp_ne_u32_e64 s7, 0x7f800000, v13
                                        ; implicit-def: $vgpr13
	s_and_saveexec_b32 s9, s7
	s_delay_alu instid0(SALU_CYCLE_1)
	s_xor_b32 s7, exec_lo, s9
; %bb.181:
	v_bfe_u32 v13, v18, 16, 1
	s_delay_alu instid0(VALU_DEP_1)
	v_add3_u32 v13, v18, v13, 0x7fff
                                        ; implicit-def: $vgpr18
; %bb.182:
	s_and_not1_saveexec_b32 s9, s7
; %bb.183:
	v_and_b32_e32 v13, 0xffff, v18
	v_or_b32_e32 v19, 0x10000, v18
	s_delay_alu instid0(VALU_DEP_2) | instskip(NEXT) | instid1(VALU_DEP_1)
	v_cmp_eq_u32_e64 s7, 0, v13
	v_cndmask_b32_e64 v13, v19, v18, s7
; %bb.184:
	s_or_b32 exec_lo, exec_lo, s9
	v_cmp_lt_i32_e64 s7, -1, v12
	s_delay_alu instid0(VALU_DEP_2) | instskip(SKIP_2) | instid1(VALU_DEP_4)
	v_perm_b32 v12, v13, v12, 0x7060302
	v_dual_mov_b32 v48, v51 :: v_dual_mov_b32 v27, v21
	v_mov_b32_e32 v26, v20
	v_cndmask_b32_e64 v18, -1, 0xffff8000, s7
	v_cmp_lt_i32_e64 s7, -1, v13
	s_mov_b32 s9, exec_lo
	s_delay_alu instid0(VALU_DEP_1) | instskip(NEXT) | instid1(VALU_DEP_1)
	v_cndmask_b32_e64 v19, -1, 0xffff8000, s7
	v_perm_b32 v13, v19, v18, 0x5040100
	s_delay_alu instid0(VALU_DEP_1) | instskip(NEXT) | instid1(VALU_DEP_1)
	v_xor_b32_e32 v12, v13, v12
	v_lshrrev_b32_e32 v13, 16, v12
	s_delay_alu instid0(VALU_DEP_1)
	v_cmpx_gt_u16_e64 v12, v13
; %bb.185:
	v_mov_b32_e32 v26, v28
	v_dual_mov_b32 v48, v30 :: v_dual_mov_b32 v27, v29
	v_dual_mov_b32 v30, v51 :: v_dual_mov_b32 v29, v21
	v_mov_b32_e32 v28, v20
; %bb.186:
	s_or_b32 exec_lo, exec_lo, s9
	v_lshlrev_b32_e32 v12, 16, v52
	s_delay_alu instid0(VALU_DEP_1) | instskip(NEXT) | instid1(VALU_DEP_1)
	v_add_f32_e32 v13, 0, v12
	v_and_b32_e32 v12, 0x7f800000, v13
	s_delay_alu instid0(VALU_DEP_1) | instskip(NEXT) | instid1(VALU_DEP_1)
	v_cmp_ne_u32_e64 s7, 0x7f800000, v12
                                        ; implicit-def: $vgpr12
	s_and_saveexec_b32 s9, s7
	s_delay_alu instid0(SALU_CYCLE_1)
	s_xor_b32 s7, exec_lo, s9
; %bb.187:
	v_bfe_u32 v12, v13, 16, 1
	s_delay_alu instid0(VALU_DEP_1)
	v_add3_u32 v12, v13, v12, 0x7fff
                                        ; implicit-def: $vgpr13
; %bb.188:
	s_and_not1_saveexec_b32 s9, s7
; %bb.189:
	v_and_b32_e32 v12, 0xffff, v13
	v_or_b32_e32 v18, 0x10000, v13
	s_delay_alu instid0(VALU_DEP_2) | instskip(NEXT) | instid1(VALU_DEP_1)
	v_cmp_eq_u32_e64 s7, 0, v12
	v_cndmask_b32_e64 v12, v18, v13, s7
; %bb.190:
	s_or_b32 exec_lo, exec_lo, s9
	v_lshlrev_b32_e32 v13, 16, v49
	s_delay_alu instid0(VALU_DEP_1) | instskip(NEXT) | instid1(VALU_DEP_1)
	v_add_f32_e32 v18, 0, v13
	v_and_b32_e32 v13, 0x7f800000, v18
	s_delay_alu instid0(VALU_DEP_1) | instskip(NEXT) | instid1(VALU_DEP_1)
	v_cmp_ne_u32_e64 s7, 0x7f800000, v13
                                        ; implicit-def: $vgpr13
	s_and_saveexec_b32 s9, s7
	s_delay_alu instid0(SALU_CYCLE_1)
	s_xor_b32 s7, exec_lo, s9
; %bb.191:
	v_bfe_u32 v13, v18, 16, 1
	s_delay_alu instid0(VALU_DEP_1)
	v_add3_u32 v13, v18, v13, 0x7fff
                                        ; implicit-def: $vgpr18
; %bb.192:
	s_and_not1_saveexec_b32 s9, s7
; %bb.193:
	v_and_b32_e32 v13, 0xffff, v18
	v_or_b32_e32 v19, 0x10000, v18
	s_delay_alu instid0(VALU_DEP_2) | instskip(NEXT) | instid1(VALU_DEP_1)
	v_cmp_eq_u32_e64 s7, 0, v13
	v_cndmask_b32_e64 v13, v19, v18, s7
; %bb.194:
	s_or_b32 exec_lo, exec_lo, s9
	v_cmp_lt_i32_e64 s7, -1, v12
	s_delay_alu instid0(VALU_DEP_2) | instskip(SKIP_2) | instid1(VALU_DEP_3)
	v_perm_b32 v12, v13, v12, 0x7060302
	v_mov_b32_e32 v53, v52
	s_mov_b32 s9, exec_lo
	v_cndmask_b32_e64 v18, -1, 0xffff8000, s7
	v_cmp_lt_i32_e64 s7, -1, v13
	s_delay_alu instid0(VALU_DEP_1) | instskip(NEXT) | instid1(VALU_DEP_1)
	v_cndmask_b32_e64 v19, -1, 0xffff8000, s7
	v_perm_b32 v13, v19, v18, 0x5040100
	v_dual_mov_b32 v19, v15 :: v_dual_mov_b32 v18, v14
	s_delay_alu instid0(VALU_DEP_2) | instskip(NEXT) | instid1(VALU_DEP_1)
	v_xor_b32_e32 v12, v13, v12
	v_lshrrev_b32_e32 v13, 16, v12
	s_delay_alu instid0(VALU_DEP_1)
	v_cmpx_gt_u16_e64 v12, v13
; %bb.195:
	v_dual_mov_b32 v19, v17 :: v_dual_mov_b32 v18, v16
	v_dual_mov_b32 v17, v15 :: v_dual_mov_b32 v16, v14
	v_mov_b32_e32 v53, v49
	v_mov_b32_e32 v49, v52
; %bb.196:
	s_or_b32 exec_lo, exec_lo, s9
	v_lshlrev_b32_e32 v12, 16, v33
	s_delay_alu instid0(VALU_DEP_1) | instskip(NEXT) | instid1(VALU_DEP_1)
	v_add_f32_e32 v13, 0, v12
	v_and_b32_e32 v12, 0x7f800000, v13
	s_delay_alu instid0(VALU_DEP_1) | instskip(NEXT) | instid1(VALU_DEP_1)
	v_cmp_ne_u32_e64 s7, 0x7f800000, v12
                                        ; implicit-def: $vgpr12
	s_and_saveexec_b32 s9, s7
	s_delay_alu instid0(SALU_CYCLE_1)
	s_xor_b32 s7, exec_lo, s9
; %bb.197:
	v_bfe_u32 v12, v13, 16, 1
	s_delay_alu instid0(VALU_DEP_1)
	v_add3_u32 v12, v13, v12, 0x7fff
                                        ; implicit-def: $vgpr13
; %bb.198:
	s_and_not1_saveexec_b32 s9, s7
; %bb.199:
	v_and_b32_e32 v12, 0xffff, v13
	v_or_b32_e32 v14, 0x10000, v13
	s_delay_alu instid0(VALU_DEP_2) | instskip(NEXT) | instid1(VALU_DEP_1)
	v_cmp_eq_u32_e64 s7, 0, v12
	v_cndmask_b32_e64 v12, v14, v13, s7
; %bb.200:
	s_or_b32 exec_lo, exec_lo, s9
	v_lshlrev_b32_e32 v13, 16, v39
	s_delay_alu instid0(VALU_DEP_1) | instskip(NEXT) | instid1(VALU_DEP_1)
	v_add_f32_e32 v14, 0, v13
	v_and_b32_e32 v13, 0x7f800000, v14
	s_delay_alu instid0(VALU_DEP_1) | instskip(NEXT) | instid1(VALU_DEP_1)
	v_cmp_ne_u32_e64 s7, 0x7f800000, v13
                                        ; implicit-def: $vgpr13
	s_and_saveexec_b32 s9, s7
	s_delay_alu instid0(SALU_CYCLE_1)
	s_xor_b32 s7, exec_lo, s9
; %bb.201:
	v_bfe_u32 v13, v14, 16, 1
	s_delay_alu instid0(VALU_DEP_1)
	v_add3_u32 v13, v14, v13, 0x7fff
                                        ; implicit-def: $vgpr14
; %bb.202:
	s_and_not1_saveexec_b32 s9, s7
; %bb.203:
	v_and_b32_e32 v13, 0xffff, v14
	v_or_b32_e32 v15, 0x10000, v14
	s_delay_alu instid0(VALU_DEP_2) | instskip(NEXT) | instid1(VALU_DEP_1)
	v_cmp_eq_u32_e64 s7, 0, v13
	v_cndmask_b32_e64 v13, v15, v14, s7
; %bb.204:
	s_or_b32 exec_lo, exec_lo, s9
	v_cmp_lt_i32_e64 s7, -1, v12
	s_delay_alu instid0(VALU_DEP_2) | instskip(SKIP_2) | instid1(VALU_DEP_3)
	v_perm_b32 v12, v13, v12, 0x7060302
	v_mov_b32_e32 v50, v33
	s_mov_b32 s9, exec_lo
	v_cndmask_b32_e64 v14, -1, 0xffff8000, s7
	v_cmp_lt_i32_e64 s7, -1, v13
	s_delay_alu instid0(VALU_DEP_1) | instskip(NEXT) | instid1(VALU_DEP_1)
	v_cndmask_b32_e64 v15, -1, 0xffff8000, s7
	v_perm_b32 v13, v15, v14, 0x5040100
	s_delay_alu instid0(VALU_DEP_1) | instskip(SKIP_1) | instid1(VALU_DEP_2)
	v_xor_b32_e32 v14, v13, v12
	v_dual_mov_b32 v13, v9 :: v_dual_mov_b32 v12, v8
	v_lshrrev_b32_e32 v15, 16, v14
	s_delay_alu instid0(VALU_DEP_1)
	v_cmpx_gt_u16_e64 v14, v15
; %bb.205:
	v_dual_mov_b32 v13, v11 :: v_dual_mov_b32 v12, v10
	v_dual_mov_b32 v11, v9 :: v_dual_mov_b32 v10, v8
	v_dual_mov_b32 v50, v39 :: v_dual_mov_b32 v39, v33
; %bb.206:
	s_or_b32 exec_lo, exec_lo, s9
	v_lshlrev_b32_e32 v8, 16, v31
	s_delay_alu instid0(VALU_DEP_1) | instskip(NEXT) | instid1(VALU_DEP_1)
	v_add_f32_e32 v9, 0, v8
	v_and_b32_e32 v8, 0x7f800000, v9
	s_delay_alu instid0(VALU_DEP_1) | instskip(NEXT) | instid1(VALU_DEP_1)
	v_cmp_ne_u32_e64 s7, 0x7f800000, v8
                                        ; implicit-def: $vgpr8
	s_and_saveexec_b32 s9, s7
	s_delay_alu instid0(SALU_CYCLE_1)
	s_xor_b32 s7, exec_lo, s9
; %bb.207:
	v_bfe_u32 v8, v9, 16, 1
	s_delay_alu instid0(VALU_DEP_1)
	v_add3_u32 v8, v9, v8, 0x7fff
                                        ; implicit-def: $vgpr9
; %bb.208:
	s_and_not1_saveexec_b32 s9, s7
; %bb.209:
	v_and_b32_e32 v8, 0xffff, v9
	v_or_b32_e32 v14, 0x10000, v9
	s_delay_alu instid0(VALU_DEP_2) | instskip(NEXT) | instid1(VALU_DEP_1)
	v_cmp_eq_u32_e64 s7, 0, v8
	v_cndmask_b32_e64 v8, v14, v9, s7
; %bb.210:
	s_or_b32 exec_lo, exec_lo, s9
	v_lshlrev_b32_e32 v9, 16, v30
	s_delay_alu instid0(VALU_DEP_1) | instskip(NEXT) | instid1(VALU_DEP_1)
	v_add_f32_e32 v14, 0, v9
	v_and_b32_e32 v9, 0x7f800000, v14
	s_delay_alu instid0(VALU_DEP_1) | instskip(NEXT) | instid1(VALU_DEP_1)
	v_cmp_ne_u32_e64 s7, 0x7f800000, v9
                                        ; implicit-def: $vgpr9
	s_and_saveexec_b32 s9, s7
	s_delay_alu instid0(SALU_CYCLE_1)
	s_xor_b32 s7, exec_lo, s9
; %bb.211:
	v_bfe_u32 v9, v14, 16, 1
	s_delay_alu instid0(VALU_DEP_1)
	v_add3_u32 v9, v14, v9, 0x7fff
                                        ; implicit-def: $vgpr14
; %bb.212:
	s_and_not1_saveexec_b32 s9, s7
; %bb.213:
	v_and_b32_e32 v9, 0xffff, v14
	v_or_b32_e32 v15, 0x10000, v14
	s_delay_alu instid0(VALU_DEP_2) | instskip(NEXT) | instid1(VALU_DEP_1)
	v_cmp_eq_u32_e64 s7, 0, v9
	v_cndmask_b32_e64 v9, v15, v14, s7
; %bb.214:
	s_or_b32 exec_lo, exec_lo, s9
	v_cmp_lt_i32_e64 s7, -1, v8
	s_delay_alu instid0(VALU_DEP_2) | instskip(SKIP_2) | instid1(VALU_DEP_4)
	v_perm_b32 v8, v9, v8, 0x7060302
	v_dual_mov_b32 v33, v30 :: v_dual_mov_b32 v20, v28
	v_mov_b32_e32 v21, v29
	v_cndmask_b32_e64 v14, -1, 0xffff8000, s7
	v_cmp_lt_i32_e64 s7, -1, v9
	s_mov_b32 s9, exec_lo
	s_delay_alu instid0(VALU_DEP_1) | instskip(NEXT) | instid1(VALU_DEP_1)
	v_cndmask_b32_e64 v15, -1, 0xffff8000, s7
	v_perm_b32 v9, v15, v14, 0x5040100
	s_delay_alu instid0(VALU_DEP_1) | instskip(NEXT) | instid1(VALU_DEP_1)
	v_xor_b32_e32 v8, v9, v8
	v_lshrrev_b32_e32 v9, 16, v8
	s_delay_alu instid0(VALU_DEP_1)
	v_cmpx_gt_u16_e64 v8, v9
; %bb.215:
	v_dual_mov_b32 v33, v31 :: v_dual_mov_b32 v20, v22
	v_mov_b32_e32 v31, v30
	v_dual_mov_b32 v21, v23 :: v_dual_mov_b32 v22, v28
	v_mov_b32_e32 v23, v29
; %bb.216:
	s_or_b32 exec_lo, exec_lo, s9
	v_lshlrev_b32_e32 v8, 16, v48
	s_delay_alu instid0(VALU_DEP_1) | instskip(NEXT) | instid1(VALU_DEP_1)
	v_add_f32_e32 v9, 0, v8
	v_and_b32_e32 v8, 0x7f800000, v9
	s_delay_alu instid0(VALU_DEP_1) | instskip(NEXT) | instid1(VALU_DEP_1)
	v_cmp_ne_u32_e64 s7, 0x7f800000, v8
                                        ; implicit-def: $vgpr8
	s_and_saveexec_b32 s9, s7
	s_delay_alu instid0(SALU_CYCLE_1)
	s_xor_b32 s7, exec_lo, s9
; %bb.217:
	v_bfe_u32 v8, v9, 16, 1
	s_delay_alu instid0(VALU_DEP_1)
	v_add3_u32 v8, v9, v8, 0x7fff
                                        ; implicit-def: $vgpr9
; %bb.218:
	s_and_not1_saveexec_b32 s9, s7
; %bb.219:
	v_and_b32_e32 v8, 0xffff, v9
	v_or_b32_e32 v14, 0x10000, v9
	s_delay_alu instid0(VALU_DEP_2) | instskip(NEXT) | instid1(VALU_DEP_1)
	v_cmp_eq_u32_e64 s7, 0, v8
	v_cndmask_b32_e64 v8, v14, v9, s7
; %bb.220:
	s_or_b32 exec_lo, exec_lo, s9
	v_lshlrev_b32_e32 v9, 16, v53
	s_delay_alu instid0(VALU_DEP_1) | instskip(NEXT) | instid1(VALU_DEP_1)
	v_add_f32_e32 v14, 0, v9
	v_and_b32_e32 v9, 0x7f800000, v14
	s_delay_alu instid0(VALU_DEP_1) | instskip(NEXT) | instid1(VALU_DEP_1)
	v_cmp_ne_u32_e64 s7, 0x7f800000, v9
                                        ; implicit-def: $vgpr9
	s_and_saveexec_b32 s9, s7
	s_delay_alu instid0(SALU_CYCLE_1)
	s_xor_b32 s7, exec_lo, s9
; %bb.221:
	v_bfe_u32 v9, v14, 16, 1
	s_delay_alu instid0(VALU_DEP_1)
	v_add3_u32 v9, v14, v9, 0x7fff
                                        ; implicit-def: $vgpr14
; %bb.222:
	s_and_not1_saveexec_b32 s9, s7
; %bb.223:
	v_and_b32_e32 v9, 0xffff, v14
	v_or_b32_e32 v15, 0x10000, v14
	s_delay_alu instid0(VALU_DEP_2) | instskip(NEXT) | instid1(VALU_DEP_1)
	v_cmp_eq_u32_e64 s7, 0, v9
	v_cndmask_b32_e64 v9, v15, v14, s7
; %bb.224:
	s_or_b32 exec_lo, exec_lo, s9
	v_cmp_lt_i32_e64 s7, -1, v8
	s_delay_alu instid0(VALU_DEP_2) | instskip(SKIP_1) | instid1(VALU_DEP_3)
	v_perm_b32 v8, v9, v8, 0x7060302
	v_mov_b32_e32 v28, v48
	v_cndmask_b32_e64 v14, -1, 0xffff8000, s7
	v_cmp_lt_i32_e64 s7, -1, v9
	s_delay_alu instid0(VALU_DEP_1) | instskip(NEXT) | instid1(VALU_DEP_1)
	v_cndmask_b32_e64 v15, -1, 0xffff8000, s7
	v_perm_b32 v9, v15, v14, 0x5040100
	s_delay_alu instid0(VALU_DEP_1) | instskip(NEXT) | instid1(VALU_DEP_1)
	v_xor_b32_e32 v8, v9, v8
	v_lshrrev_b32_e32 v9, 16, v8
	s_delay_alu instid0(VALU_DEP_1) | instskip(SKIP_1) | instid1(VALU_DEP_2)
	v_cmp_gt_u16_e64 s7, v8, v9
	v_dual_mov_b32 v8, v16 :: v_dual_mov_b32 v9, v17
	s_and_saveexec_b32 s9, s7
; %bb.225:
	v_mov_b32_e32 v8, v26
	v_dual_mov_b32 v28, v53 :: v_dual_mov_b32 v9, v27
	v_dual_mov_b32 v27, v17 :: v_dual_mov_b32 v26, v16
	v_mov_b32_e32 v53, v48
; %bb.226:
	s_or_b32 exec_lo, exec_lo, s9
	v_lshlrev_b32_e32 v14, 16, v49
	s_delay_alu instid0(VALU_DEP_1) | instskip(NEXT) | instid1(VALU_DEP_1)
	v_add_f32_e32 v15, 0, v14
	v_and_b32_e32 v14, 0x7f800000, v15
	s_delay_alu instid0(VALU_DEP_1) | instskip(NEXT) | instid1(VALU_DEP_1)
	v_cmp_ne_u32_e64 s7, 0x7f800000, v14
                                        ; implicit-def: $vgpr14
	s_and_saveexec_b32 s9, s7
	s_delay_alu instid0(SALU_CYCLE_1)
	s_xor_b32 s7, exec_lo, s9
; %bb.227:
	v_bfe_u32 v14, v15, 16, 1
	s_delay_alu instid0(VALU_DEP_1)
	v_add3_u32 v14, v15, v14, 0x7fff
                                        ; implicit-def: $vgpr15
; %bb.228:
	s_and_not1_saveexec_b32 s9, s7
; %bb.229:
	v_and_b32_e32 v14, 0xffff, v15
	v_or_b32_e32 v16, 0x10000, v15
	s_delay_alu instid0(VALU_DEP_2) | instskip(NEXT) | instid1(VALU_DEP_1)
	v_cmp_eq_u32_e64 s7, 0, v14
	v_cndmask_b32_e64 v14, v16, v15, s7
; %bb.230:
	s_or_b32 exec_lo, exec_lo, s9
	v_lshlrev_b32_e32 v15, 16, v50
	s_delay_alu instid0(VALU_DEP_1) | instskip(NEXT) | instid1(VALU_DEP_1)
	v_add_f32_e32 v16, 0, v15
	v_and_b32_e32 v15, 0x7f800000, v16
	s_delay_alu instid0(VALU_DEP_1) | instskip(NEXT) | instid1(VALU_DEP_1)
	v_cmp_ne_u32_e64 s7, 0x7f800000, v15
                                        ; implicit-def: $vgpr15
	s_and_saveexec_b32 s9, s7
	s_delay_alu instid0(SALU_CYCLE_1)
	s_xor_b32 s7, exec_lo, s9
; %bb.231:
	v_bfe_u32 v15, v16, 16, 1
	s_delay_alu instid0(VALU_DEP_1)
	v_add3_u32 v15, v16, v15, 0x7fff
                                        ; implicit-def: $vgpr16
; %bb.232:
	s_and_not1_saveexec_b32 s9, s7
; %bb.233:
	v_and_b32_e32 v15, 0xffff, v16
	v_or_b32_e32 v17, 0x10000, v16
	s_delay_alu instid0(VALU_DEP_2) | instskip(NEXT) | instid1(VALU_DEP_1)
	v_cmp_eq_u32_e64 s7, 0, v15
	v_cndmask_b32_e64 v15, v17, v16, s7
; %bb.234:
	s_or_b32 exec_lo, exec_lo, s9
	v_cmp_lt_i32_e64 s7, -1, v14
	s_delay_alu instid0(VALU_DEP_2) | instskip(SKIP_2) | instid1(VALU_DEP_3)
	v_perm_b32 v14, v15, v14, 0x7060302
	v_mov_b32_e32 v48, v49
	s_mov_b32 s9, exec_lo
	v_cndmask_b32_e64 v16, -1, 0xffff8000, s7
	v_cmp_lt_i32_e64 s7, -1, v15
	s_delay_alu instid0(VALU_DEP_1) | instskip(NEXT) | instid1(VALU_DEP_1)
	v_cndmask_b32_e64 v17, -1, 0xffff8000, s7
	v_perm_b32 v15, v17, v16, 0x5040100
	v_dual_mov_b32 v17, v11 :: v_dual_mov_b32 v16, v10
	s_delay_alu instid0(VALU_DEP_2) | instskip(NEXT) | instid1(VALU_DEP_1)
	v_xor_b32_e32 v14, v15, v14
	v_lshrrev_b32_e32 v15, 16, v14
	s_delay_alu instid0(VALU_DEP_1)
	v_cmpx_gt_u16_e64 v14, v15
; %bb.235:
	v_dual_mov_b32 v16, v18 :: v_dual_mov_b32 v17, v19
	v_dual_mov_b32 v19, v11 :: v_dual_mov_b32 v18, v10
	v_mov_b32_e32 v48, v50
	v_mov_b32_e32 v50, v49
; %bb.236:
	s_or_b32 exec_lo, exec_lo, s9
	v_lshlrev_b32_e32 v10, 16, v38
	s_delay_alu instid0(VALU_DEP_1) | instskip(NEXT) | instid1(VALU_DEP_1)
	v_add_f32_e32 v11, 0, v10
	v_and_b32_e32 v10, 0x7f800000, v11
	s_delay_alu instid0(VALU_DEP_1) | instskip(NEXT) | instid1(VALU_DEP_1)
	v_cmp_ne_u32_e64 s7, 0x7f800000, v10
                                        ; implicit-def: $vgpr10
	s_and_saveexec_b32 s9, s7
	s_delay_alu instid0(SALU_CYCLE_1)
	s_xor_b32 s7, exec_lo, s9
; %bb.237:
	v_bfe_u32 v10, v11, 16, 1
	s_delay_alu instid0(VALU_DEP_1)
	v_add3_u32 v10, v11, v10, 0x7fff
                                        ; implicit-def: $vgpr11
; %bb.238:
	s_and_not1_saveexec_b32 s9, s7
; %bb.239:
	v_and_b32_e32 v10, 0xffff, v11
	v_or_b32_e32 v14, 0x10000, v11
	s_delay_alu instid0(VALU_DEP_2) | instskip(NEXT) | instid1(VALU_DEP_1)
	v_cmp_eq_u32_e64 s7, 0, v10
	v_cndmask_b32_e64 v10, v14, v11, s7
; %bb.240:
	s_or_b32 exec_lo, exec_lo, s9
	v_lshlrev_b32_e32 v11, 16, v31
	s_delay_alu instid0(VALU_DEP_1) | instskip(NEXT) | instid1(VALU_DEP_1)
	v_add_f32_e32 v14, 0, v11
	v_and_b32_e32 v11, 0x7f800000, v14
	s_delay_alu instid0(VALU_DEP_1) | instskip(NEXT) | instid1(VALU_DEP_1)
	v_cmp_ne_u32_e64 s7, 0x7f800000, v11
                                        ; implicit-def: $vgpr11
	s_and_saveexec_b32 s9, s7
	s_delay_alu instid0(SALU_CYCLE_1)
	s_xor_b32 s7, exec_lo, s9
; %bb.241:
	v_bfe_u32 v11, v14, 16, 1
	s_delay_alu instid0(VALU_DEP_1)
	v_add3_u32 v11, v14, v11, 0x7fff
                                        ; implicit-def: $vgpr14
; %bb.242:
	s_and_not1_saveexec_b32 s9, s7
; %bb.243:
	v_and_b32_e32 v11, 0xffff, v14
	v_or_b32_e32 v15, 0x10000, v14
	s_delay_alu instid0(VALU_DEP_2) | instskip(NEXT) | instid1(VALU_DEP_1)
	v_cmp_eq_u32_e64 s7, 0, v11
	v_cndmask_b32_e64 v11, v15, v14, s7
; %bb.244:
	s_or_b32 exec_lo, exec_lo, s9
	v_cmp_lt_i32_e64 s7, -1, v10
	s_delay_alu instid0(VALU_DEP_2) | instskip(SKIP_1) | instid1(VALU_DEP_3)
	v_perm_b32 v10, v11, v10, 0x7060302
	v_mov_b32_e32 v49, v31
	v_cndmask_b32_e64 v14, -1, 0xffff8000, s7
	v_cmp_lt_i32_e64 s7, -1, v11
	s_delay_alu instid0(VALU_DEP_1) | instskip(NEXT) | instid1(VALU_DEP_1)
	v_cndmask_b32_e64 v15, -1, 0xffff8000, s7
	v_perm_b32 v11, v15, v14, 0x5040100
	s_delay_alu instid0(VALU_DEP_1) | instskip(NEXT) | instid1(VALU_DEP_1)
	v_xor_b32_e32 v10, v11, v10
	v_lshrrev_b32_e32 v11, 16, v10
	s_delay_alu instid0(VALU_DEP_1) | instskip(SKIP_1) | instid1(VALU_DEP_2)
	v_cmp_gt_u16_e64 s7, v10, v11
	v_dual_mov_b32 v10, v22 :: v_dual_mov_b32 v11, v23
	s_and_saveexec_b32 s9, s7
; %bb.245:
	v_dual_mov_b32 v49, v38 :: v_dual_mov_b32 v38, v31
	v_dual_mov_b32 v11, v5 :: v_dual_mov_b32 v10, v4
	;; [unrolled: 1-line block ×3, first 2 shown]
; %bb.246:
	s_or_b32 exec_lo, exec_lo, s9
	v_lshlrev_b32_e32 v14, 16, v33
	s_delay_alu instid0(VALU_DEP_1) | instskip(NEXT) | instid1(VALU_DEP_1)
	v_add_f32_e32 v15, 0, v14
	v_and_b32_e32 v14, 0x7f800000, v15
	s_delay_alu instid0(VALU_DEP_1) | instskip(NEXT) | instid1(VALU_DEP_1)
	v_cmp_ne_u32_e64 s7, 0x7f800000, v14
                                        ; implicit-def: $vgpr14
	s_and_saveexec_b32 s9, s7
	s_delay_alu instid0(SALU_CYCLE_1)
	s_xor_b32 s7, exec_lo, s9
; %bb.247:
	v_bfe_u32 v14, v15, 16, 1
	s_delay_alu instid0(VALU_DEP_1)
	v_add3_u32 v14, v15, v14, 0x7fff
                                        ; implicit-def: $vgpr15
; %bb.248:
	s_and_not1_saveexec_b32 s9, s7
; %bb.249:
	v_and_b32_e32 v14, 0xffff, v15
	v_or_b32_e32 v22, 0x10000, v15
	s_delay_alu instid0(VALU_DEP_2) | instskip(NEXT) | instid1(VALU_DEP_1)
	v_cmp_eq_u32_e64 s7, 0, v14
	v_cndmask_b32_e64 v14, v22, v15, s7
; %bb.250:
	s_or_b32 exec_lo, exec_lo, s9
	v_lshlrev_b32_e32 v15, 16, v28
	s_delay_alu instid0(VALU_DEP_1) | instskip(NEXT) | instid1(VALU_DEP_1)
	v_add_f32_e32 v22, 0, v15
	v_and_b32_e32 v15, 0x7f800000, v22
	s_delay_alu instid0(VALU_DEP_1) | instskip(NEXT) | instid1(VALU_DEP_1)
	v_cmp_ne_u32_e64 s7, 0x7f800000, v15
                                        ; implicit-def: $vgpr15
	s_and_saveexec_b32 s9, s7
	s_delay_alu instid0(SALU_CYCLE_1)
	s_xor_b32 s7, exec_lo, s9
; %bb.251:
	v_bfe_u32 v15, v22, 16, 1
	s_delay_alu instid0(VALU_DEP_1)
	v_add3_u32 v15, v22, v15, 0x7fff
                                        ; implicit-def: $vgpr22
; %bb.252:
	s_and_not1_saveexec_b32 s9, s7
; %bb.253:
	v_and_b32_e32 v15, 0xffff, v22
	v_or_b32_e32 v23, 0x10000, v22
	s_delay_alu instid0(VALU_DEP_2) | instskip(NEXT) | instid1(VALU_DEP_1)
	v_cmp_eq_u32_e64 s7, 0, v15
	v_cndmask_b32_e64 v15, v23, v22, s7
; %bb.254:
	s_or_b32 exec_lo, exec_lo, s9
	v_cmp_lt_i32_e64 s7, -1, v14
	s_delay_alu instid0(VALU_DEP_2) | instskip(SKIP_1) | instid1(VALU_DEP_3)
	v_perm_b32 v14, v15, v14, 0x7060302
	v_mov_b32_e32 v52, v28
	v_cndmask_b32_e64 v22, -1, 0xffff8000, s7
	v_cmp_lt_i32_e64 s7, -1, v15
	s_delay_alu instid0(VALU_DEP_1) | instskip(NEXT) | instid1(VALU_DEP_1)
	v_cndmask_b32_e64 v23, -1, 0xffff8000, s7
	v_perm_b32 v15, v23, v22, 0x5040100
	s_delay_alu instid0(VALU_DEP_1) | instskip(NEXT) | instid1(VALU_DEP_1)
	v_xor_b32_e32 v14, v15, v14
	v_lshrrev_b32_e32 v15, 16, v14
	s_delay_alu instid0(VALU_DEP_1) | instskip(SKIP_1) | instid1(VALU_DEP_2)
	v_cmp_gt_u16_e64 s7, v14, v15
	v_dual_mov_b32 v14, v26 :: v_dual_mov_b32 v15, v27
	s_and_saveexec_b32 s9, s7
; %bb.255:
	v_dual_mov_b32 v52, v33 :: v_dual_mov_b32 v33, v28
	v_dual_mov_b32 v14, v20 :: v_dual_mov_b32 v15, v21
	;; [unrolled: 1-line block ×3, first 2 shown]
; %bb.256:
	s_or_b32 exec_lo, exec_lo, s9
	v_lshlrev_b32_e32 v22, 16, v53
	s_delay_alu instid0(VALU_DEP_1) | instskip(NEXT) | instid1(VALU_DEP_1)
	v_add_f32_e32 v23, 0, v22
	v_and_b32_e32 v22, 0x7f800000, v23
	s_delay_alu instid0(VALU_DEP_1) | instskip(NEXT) | instid1(VALU_DEP_1)
	v_cmp_ne_u32_e64 s7, 0x7f800000, v22
                                        ; implicit-def: $vgpr22
	s_and_saveexec_b32 s9, s7
	s_delay_alu instid0(SALU_CYCLE_1)
	s_xor_b32 s7, exec_lo, s9
; %bb.257:
	v_bfe_u32 v22, v23, 16, 1
	s_delay_alu instid0(VALU_DEP_1)
	v_add3_u32 v22, v23, v22, 0x7fff
                                        ; implicit-def: $vgpr23
; %bb.258:
	s_and_not1_saveexec_b32 s9, s7
; %bb.259:
	v_and_b32_e32 v22, 0xffff, v23
	v_or_b32_e32 v26, 0x10000, v23
	s_delay_alu instid0(VALU_DEP_2) | instskip(NEXT) | instid1(VALU_DEP_1)
	v_cmp_eq_u32_e64 s7, 0, v22
	v_cndmask_b32_e64 v22, v26, v23, s7
; %bb.260:
	s_or_b32 exec_lo, exec_lo, s9
	v_lshlrev_b32_e32 v23, 16, v48
	s_delay_alu instid0(VALU_DEP_1) | instskip(NEXT) | instid1(VALU_DEP_1)
	v_add_f32_e32 v26, 0, v23
	v_and_b32_e32 v23, 0x7f800000, v26
	s_delay_alu instid0(VALU_DEP_1) | instskip(NEXT) | instid1(VALU_DEP_1)
	v_cmp_ne_u32_e64 s7, 0x7f800000, v23
                                        ; implicit-def: $vgpr23
	s_and_saveexec_b32 s9, s7
	s_delay_alu instid0(SALU_CYCLE_1)
	s_xor_b32 s7, exec_lo, s9
; %bb.261:
	v_bfe_u32 v23, v26, 16, 1
	s_delay_alu instid0(VALU_DEP_1)
	v_add3_u32 v23, v26, v23, 0x7fff
                                        ; implicit-def: $vgpr26
; %bb.262:
	s_and_not1_saveexec_b32 s9, s7
; %bb.263:
	v_and_b32_e32 v23, 0xffff, v26
	v_or_b32_e32 v27, 0x10000, v26
	s_delay_alu instid0(VALU_DEP_2) | instskip(NEXT) | instid1(VALU_DEP_1)
	v_cmp_eq_u32_e64 s7, 0, v23
	v_cndmask_b32_e64 v23, v27, v26, s7
; %bb.264:
	s_or_b32 exec_lo, exec_lo, s9
	v_cmp_lt_i32_e64 s7, -1, v22
	s_delay_alu instid0(VALU_DEP_2) | instskip(SKIP_2) | instid1(VALU_DEP_4)
	v_perm_b32 v22, v23, v22, 0x7060302
	v_dual_mov_b32 v31, v19 :: v_dual_mov_b32 v30, v18
	v_mov_b32_e32 v51, v53
	v_cndmask_b32_e64 v26, -1, 0xffff8000, s7
	v_cmp_lt_i32_e64 s7, -1, v23
	s_mov_b32 s9, exec_lo
	s_delay_alu instid0(VALU_DEP_1) | instskip(NEXT) | instid1(VALU_DEP_1)
	v_cndmask_b32_e64 v27, -1, 0xffff8000, s7
	v_perm_b32 v23, v27, v26, 0x5040100
	s_delay_alu instid0(VALU_DEP_1) | instskip(NEXT) | instid1(VALU_DEP_1)
	v_xor_b32_e32 v22, v23, v22
	v_lshrrev_b32_e32 v23, 16, v22
	s_delay_alu instid0(VALU_DEP_1)
	v_cmpx_gt_u16_e64 v22, v23
; %bb.265:
	v_dual_mov_b32 v31, v9 :: v_dual_mov_b32 v30, v8
	v_dual_mov_b32 v8, v18 :: v_dual_mov_b32 v9, v19
	;; [unrolled: 1-line block ×3, first 2 shown]
; %bb.266:
	s_or_b32 exec_lo, exec_lo, s9
	v_lshlrev_b32_e32 v18, 16, v50
	s_delay_alu instid0(VALU_DEP_1) | instskip(NEXT) | instid1(VALU_DEP_1)
	v_add_f32_e32 v19, 0, v18
	v_and_b32_e32 v18, 0x7f800000, v19
	s_delay_alu instid0(VALU_DEP_1) | instskip(NEXT) | instid1(VALU_DEP_1)
	v_cmp_ne_u32_e64 s7, 0x7f800000, v18
                                        ; implicit-def: $vgpr18
	s_and_saveexec_b32 s9, s7
	s_delay_alu instid0(SALU_CYCLE_1)
	s_xor_b32 s7, exec_lo, s9
; %bb.267:
	v_bfe_u32 v18, v19, 16, 1
	s_delay_alu instid0(VALU_DEP_1)
	v_add3_u32 v18, v19, v18, 0x7fff
                                        ; implicit-def: $vgpr19
; %bb.268:
	s_and_not1_saveexec_b32 s9, s7
; %bb.269:
	v_and_b32_e32 v18, 0xffff, v19
	v_or_b32_e32 v22, 0x10000, v19
	s_delay_alu instid0(VALU_DEP_2) | instskip(NEXT) | instid1(VALU_DEP_1)
	v_cmp_eq_u32_e64 s7, 0, v18
	v_cndmask_b32_e64 v18, v22, v19, s7
; %bb.270:
	s_or_b32 exec_lo, exec_lo, s9
	v_lshlrev_b32_e32 v19, 16, v39
	s_delay_alu instid0(VALU_DEP_1) | instskip(NEXT) | instid1(VALU_DEP_1)
	v_add_f32_e32 v22, 0, v19
	v_and_b32_e32 v19, 0x7f800000, v22
	s_delay_alu instid0(VALU_DEP_1) | instskip(NEXT) | instid1(VALU_DEP_1)
	v_cmp_ne_u32_e64 s7, 0x7f800000, v19
                                        ; implicit-def: $vgpr19
	s_and_saveexec_b32 s9, s7
	s_delay_alu instid0(SALU_CYCLE_1)
	s_xor_b32 s7, exec_lo, s9
; %bb.271:
	v_bfe_u32 v19, v22, 16, 1
	s_delay_alu instid0(VALU_DEP_1)
	v_add3_u32 v19, v22, v19, 0x7fff
                                        ; implicit-def: $vgpr22
; %bb.272:
	s_and_not1_saveexec_b32 s9, s7
; %bb.273:
	v_and_b32_e32 v19, 0xffff, v22
	v_or_b32_e32 v23, 0x10000, v22
	s_delay_alu instid0(VALU_DEP_2) | instskip(NEXT) | instid1(VALU_DEP_1)
	v_cmp_eq_u32_e64 s7, 0, v19
	v_cndmask_b32_e64 v19, v23, v22, s7
; %bb.274:
	s_or_b32 exec_lo, exec_lo, s9
	v_cmp_lt_i32_e64 s7, -1, v18
	s_delay_alu instid0(VALU_DEP_2) | instskip(SKIP_2) | instid1(VALU_DEP_3)
	v_perm_b32 v18, v19, v18, 0x7060302
	v_mov_b32_e32 v54, v50
	s_mov_b32 s9, exec_lo
	v_cndmask_b32_e64 v22, -1, 0xffff8000, s7
	v_cmp_lt_i32_e64 s7, -1, v19
	s_delay_alu instid0(VALU_DEP_1) | instskip(NEXT) | instid1(VALU_DEP_1)
	v_cndmask_b32_e64 v23, -1, 0xffff8000, s7
	v_perm_b32 v19, v23, v22, 0x5040100
	v_dual_mov_b32 v23, v13 :: v_dual_mov_b32 v22, v12
	s_delay_alu instid0(VALU_DEP_2) | instskip(NEXT) | instid1(VALU_DEP_1)
	v_xor_b32_e32 v18, v19, v18
	v_lshrrev_b32_e32 v19, 16, v18
	s_delay_alu instid0(VALU_DEP_1)
	v_cmpx_gt_u16_e64 v18, v19
; %bb.275:
	v_dual_mov_b32 v23, v17 :: v_dual_mov_b32 v22, v16
	v_dual_mov_b32 v17, v13 :: v_dual_mov_b32 v16, v12
	;; [unrolled: 1-line block ×3, first 2 shown]
; %bb.276:
	s_or_b32 exec_lo, exec_lo, s9
	v_lshlrev_b32_e32 v12, 16, v49
	s_delay_alu instid0(VALU_DEP_1) | instskip(NEXT) | instid1(VALU_DEP_1)
	v_add_f32_e32 v13, 0, v12
	v_and_b32_e32 v12, 0x7f800000, v13
	s_delay_alu instid0(VALU_DEP_1) | instskip(NEXT) | instid1(VALU_DEP_1)
	v_cmp_ne_u32_e64 s7, 0x7f800000, v12
                                        ; implicit-def: $vgpr12
	s_and_saveexec_b32 s9, s7
	s_delay_alu instid0(SALU_CYCLE_1)
	s_xor_b32 s7, exec_lo, s9
; %bb.277:
	v_bfe_u32 v12, v13, 16, 1
	s_delay_alu instid0(VALU_DEP_1)
	v_add3_u32 v12, v13, v12, 0x7fff
                                        ; implicit-def: $vgpr13
; %bb.278:
	s_and_not1_saveexec_b32 s9, s7
; %bb.279:
	v_and_b32_e32 v12, 0xffff, v13
	v_or_b32_e32 v18, 0x10000, v13
	s_delay_alu instid0(VALU_DEP_2) | instskip(NEXT) | instid1(VALU_DEP_1)
	v_cmp_eq_u32_e64 s7, 0, v12
	v_cndmask_b32_e64 v12, v18, v13, s7
; %bb.280:
	s_or_b32 exec_lo, exec_lo, s9
	v_lshlrev_b32_e32 v13, 16, v33
	s_delay_alu instid0(VALU_DEP_1) | instskip(NEXT) | instid1(VALU_DEP_1)
	v_add_f32_e32 v18, 0, v13
	v_and_b32_e32 v13, 0x7f800000, v18
	s_delay_alu instid0(VALU_DEP_1) | instskip(NEXT) | instid1(VALU_DEP_1)
	v_cmp_ne_u32_e64 s7, 0x7f800000, v13
                                        ; implicit-def: $vgpr13
	s_and_saveexec_b32 s9, s7
	s_delay_alu instid0(SALU_CYCLE_1)
	s_xor_b32 s7, exec_lo, s9
; %bb.281:
	v_bfe_u32 v13, v18, 16, 1
	s_delay_alu instid0(VALU_DEP_1)
	v_add3_u32 v13, v18, v13, 0x7fff
                                        ; implicit-def: $vgpr18
; %bb.282:
	s_and_not1_saveexec_b32 s9, s7
; %bb.283:
	v_and_b32_e32 v13, 0xffff, v18
	v_or_b32_e32 v19, 0x10000, v18
	s_delay_alu instid0(VALU_DEP_2) | instskip(NEXT) | instid1(VALU_DEP_1)
	v_cmp_eq_u32_e64 s7, 0, v13
	v_cndmask_b32_e64 v13, v19, v18, s7
; %bb.284:
	s_or_b32 exec_lo, exec_lo, s9
	v_cmp_lt_i32_e64 s7, -1, v12
	s_delay_alu instid0(VALU_DEP_2) | instskip(SKIP_2) | instid1(VALU_DEP_4)
	v_perm_b32 v12, v13, v12, 0x7060302
	v_mov_b32_e32 v50, v33
	v_dual_mov_b32 v27, v21 :: v_dual_mov_b32 v26, v20
	v_cndmask_b32_e64 v18, -1, 0xffff8000, s7
	v_cmp_lt_i32_e64 s7, -1, v13
	s_mov_b32 s9, exec_lo
	s_delay_alu instid0(VALU_DEP_1) | instskip(NEXT) | instid1(VALU_DEP_1)
	v_cndmask_b32_e64 v19, -1, 0xffff8000, s7
	v_perm_b32 v13, v19, v18, 0x5040100
	s_delay_alu instid0(VALU_DEP_1) | instskip(NEXT) | instid1(VALU_DEP_1)
	v_xor_b32_e32 v12, v13, v12
	v_lshrrev_b32_e32 v13, 16, v12
	s_delay_alu instid0(VALU_DEP_1)
	v_cmpx_gt_u16_e64 v12, v13
; %bb.285:
	v_dual_mov_b32 v50, v49 :: v_dual_mov_b32 v27, v11
	v_dual_mov_b32 v49, v33 :: v_dual_mov_b32 v26, v10
	;; [unrolled: 1-line block ×3, first 2 shown]
; %bb.286:
	s_or_b32 exec_lo, exec_lo, s9
	v_lshlrev_b32_e32 v12, 16, v52
	s_delay_alu instid0(VALU_DEP_1) | instskip(NEXT) | instid1(VALU_DEP_1)
	v_add_f32_e32 v13, 0, v12
	v_and_b32_e32 v12, 0x7f800000, v13
	s_delay_alu instid0(VALU_DEP_1) | instskip(NEXT) | instid1(VALU_DEP_1)
	v_cmp_ne_u32_e64 s7, 0x7f800000, v12
                                        ; implicit-def: $vgpr12
	s_and_saveexec_b32 s9, s7
	s_delay_alu instid0(SALU_CYCLE_1)
	s_xor_b32 s7, exec_lo, s9
; %bb.287:
	v_bfe_u32 v12, v13, 16, 1
	s_delay_alu instid0(VALU_DEP_1)
	v_add3_u32 v12, v13, v12, 0x7fff
                                        ; implicit-def: $vgpr13
; %bb.288:
	s_and_not1_saveexec_b32 s9, s7
; %bb.289:
	v_and_b32_e32 v12, 0xffff, v13
	v_or_b32_e32 v18, 0x10000, v13
	s_delay_alu instid0(VALU_DEP_2) | instskip(NEXT) | instid1(VALU_DEP_1)
	v_cmp_eq_u32_e64 s7, 0, v12
	v_cndmask_b32_e64 v12, v18, v13, s7
; %bb.290:
	s_or_b32 exec_lo, exec_lo, s9
	v_lshlrev_b32_e32 v13, 16, v51
	s_delay_alu instid0(VALU_DEP_1) | instskip(NEXT) | instid1(VALU_DEP_1)
	v_add_f32_e32 v18, 0, v13
	v_and_b32_e32 v13, 0x7f800000, v18
	s_delay_alu instid0(VALU_DEP_1) | instskip(NEXT) | instid1(VALU_DEP_1)
	v_cmp_ne_u32_e64 s7, 0x7f800000, v13
                                        ; implicit-def: $vgpr13
	s_and_saveexec_b32 s9, s7
	s_delay_alu instid0(SALU_CYCLE_1)
	s_xor_b32 s7, exec_lo, s9
; %bb.291:
	v_bfe_u32 v13, v18, 16, 1
	s_delay_alu instid0(VALU_DEP_1)
	v_add3_u32 v13, v18, v13, 0x7fff
                                        ; implicit-def: $vgpr18
; %bb.292:
	s_and_not1_saveexec_b32 s9, s7
; %bb.293:
	v_and_b32_e32 v13, 0xffff, v18
	v_or_b32_e32 v19, 0x10000, v18
	s_delay_alu instid0(VALU_DEP_2) | instskip(NEXT) | instid1(VALU_DEP_1)
	v_cmp_eq_u32_e64 s7, 0, v13
	v_cndmask_b32_e64 v13, v19, v18, s7
; %bb.294:
	s_or_b32 exec_lo, exec_lo, s9
	v_cmp_lt_i32_e64 s7, -1, v12
	s_delay_alu instid0(VALU_DEP_2) | instskip(SKIP_2) | instid1(VALU_DEP_4)
	v_perm_b32 v12, v13, v12, 0x7060302
	v_mov_b32_e32 v53, v52
	v_dual_mov_b32 v29, v9 :: v_dual_mov_b32 v28, v8
	v_cndmask_b32_e64 v18, -1, 0xffff8000, s7
	v_cmp_lt_i32_e64 s7, -1, v13
	s_mov_b32 s9, exec_lo
	s_delay_alu instid0(VALU_DEP_1) | instskip(NEXT) | instid1(VALU_DEP_1)
	v_cndmask_b32_e64 v19, -1, 0xffff8000, s7
	v_perm_b32 v13, v19, v18, 0x5040100
	s_delay_alu instid0(VALU_DEP_1) | instskip(NEXT) | instid1(VALU_DEP_1)
	v_xor_b32_e32 v12, v13, v12
	v_lshrrev_b32_e32 v13, 16, v12
	s_delay_alu instid0(VALU_DEP_1)
	v_cmpx_gt_u16_e64 v12, v13
; %bb.295:
	v_mov_b32_e32 v29, v15
	v_dual_mov_b32 v53, v51 :: v_dual_mov_b32 v28, v14
	v_dual_mov_b32 v15, v9 :: v_dual_mov_b32 v14, v8
	v_mov_b32_e32 v51, v52
; %bb.296:
	s_or_b32 exec_lo, exec_lo, s9
	v_lshlrev_b32_e32 v8, 16, v48
	s_delay_alu instid0(VALU_DEP_1) | instskip(NEXT) | instid1(VALU_DEP_1)
	v_add_f32_e32 v9, 0, v8
	v_and_b32_e32 v8, 0x7f800000, v9
	s_delay_alu instid0(VALU_DEP_1) | instskip(NEXT) | instid1(VALU_DEP_1)
	v_cmp_ne_u32_e64 s7, 0x7f800000, v8
                                        ; implicit-def: $vgpr8
	s_and_saveexec_b32 s9, s7
	s_delay_alu instid0(SALU_CYCLE_1)
	s_xor_b32 s7, exec_lo, s9
; %bb.297:
	v_bfe_u32 v8, v9, 16, 1
	s_delay_alu instid0(VALU_DEP_1)
	v_add3_u32 v8, v9, v8, 0x7fff
                                        ; implicit-def: $vgpr9
; %bb.298:
	s_and_not1_saveexec_b32 s9, s7
; %bb.299:
	v_and_b32_e32 v8, 0xffff, v9
	v_or_b32_e32 v12, 0x10000, v9
	s_delay_alu instid0(VALU_DEP_2) | instskip(NEXT) | instid1(VALU_DEP_1)
	v_cmp_eq_u32_e64 s7, 0, v8
	v_cndmask_b32_e64 v8, v12, v9, s7
; %bb.300:
	s_or_b32 exec_lo, exec_lo, s9
	v_lshlrev_b32_e32 v9, 16, v54
	s_delay_alu instid0(VALU_DEP_1) | instskip(NEXT) | instid1(VALU_DEP_1)
	v_add_f32_e32 v12, 0, v9
	v_and_b32_e32 v9, 0x7f800000, v12
	s_delay_alu instid0(VALU_DEP_1) | instskip(NEXT) | instid1(VALU_DEP_1)
	v_cmp_ne_u32_e64 s7, 0x7f800000, v9
                                        ; implicit-def: $vgpr9
	s_and_saveexec_b32 s9, s7
	s_delay_alu instid0(SALU_CYCLE_1)
	s_xor_b32 s7, exec_lo, s9
; %bb.301:
	v_bfe_u32 v9, v12, 16, 1
	s_delay_alu instid0(VALU_DEP_1)
	v_add3_u32 v9, v12, v9, 0x7fff
                                        ; implicit-def: $vgpr12
; %bb.302:
	s_and_not1_saveexec_b32 s9, s7
; %bb.303:
	v_and_b32_e32 v9, 0xffff, v12
	v_or_b32_e32 v13, 0x10000, v12
	s_delay_alu instid0(VALU_DEP_2) | instskip(NEXT) | instid1(VALU_DEP_1)
	v_cmp_eq_u32_e64 s7, 0, v9
	v_cndmask_b32_e64 v9, v13, v12, s7
; %bb.304:
	s_or_b32 exec_lo, exec_lo, s9
	v_cmp_lt_i32_e64 s7, -1, v8
	s_delay_alu instid0(VALU_DEP_2) | instskip(SKIP_2) | instid1(VALU_DEP_4)
	v_perm_b32 v8, v9, v8, 0x7060302
	v_mov_b32_e32 v18, v30
	v_dual_mov_b32 v52, v54 :: v_dual_mov_b32 v19, v31
	v_cndmask_b32_e64 v12, -1, 0xffff8000, s7
	v_cmp_lt_i32_e64 s7, -1, v9
	s_mov_b32 s9, exec_lo
	s_delay_alu instid0(VALU_DEP_1) | instskip(NEXT) | instid1(VALU_DEP_1)
	v_cndmask_b32_e64 v13, -1, 0xffff8000, s7
	v_perm_b32 v9, v13, v12, 0x5040100
	s_delay_alu instid0(VALU_DEP_1) | instskip(NEXT) | instid1(VALU_DEP_1)
	v_xor_b32_e32 v8, v9, v8
	v_lshrrev_b32_e32 v9, 16, v8
	s_delay_alu instid0(VALU_DEP_1)
	v_cmpx_gt_u16_e64 v8, v9
; %bb.305:
	v_dual_mov_b32 v52, v48 :: v_dual_mov_b32 v19, v17
	v_mov_b32_e32 v18, v16
	v_mov_b32_e32 v16, v30
	v_dual_mov_b32 v48, v54 :: v_dual_mov_b32 v17, v31
; %bb.306:
	s_or_b32 exec_lo, exec_lo, s9
.LBB2066_307:
	s_delay_alu instid0(SALU_CYCLE_1)
	s_or_b32 exec_lo, exec_lo, s8
	v_and_b32_e32 v20, 0xffffff00, v32
	v_or_b32_e32 v8, 8, v37
	v_and_b32_e32 v31, 0xf0, v37
	v_perm_b32 v65, v39, v52, 0x5040100
	v_perm_b32 v64, v48, v51, 0x5040100
	v_sub_nc_u32_e64 v13, 0x800, v20 clamp
	v_lshlrev_b32_e32 v12, 1, v20
	v_perm_b32 v67, v53, v50, 0x5040100
	v_perm_b32 v66, v49, v38, 0x5040100
	s_mov_b32 s8, exec_lo
	v_min_u32_e32 v21, v13, v8
	v_mad_u64_u32 v[8:9], null, v20, 6, v[12:13]
	v_and_b32_e32 v20, 8, v37
	v_lshl_or_b32 v32, v31, 1, v12
	s_delay_alu instid0(VALU_DEP_4) | instskip(NEXT) | instid1(VALU_DEP_3)
	v_add_nc_u32_e32 v9, 8, v21
	v_min_u32_e32 v54, v13, v20
	v_sub_nc_u32_e32 v20, v21, v31
	s_delay_alu instid0(VALU_DEP_3) | instskip(SKIP_2) | instid1(VALU_DEP_4)
	v_min_u32_e32 v30, v13, v9
	v_lshl_add_u32 v68, v37, 3, v8
	v_lshl_or_b32 v9, v37, 1, v12
	v_min_u32_e32 v55, v54, v20
	s_delay_alu instid0(VALU_DEP_4) | instskip(NEXT) | instid1(VALU_DEP_4)
	v_sub_nc_u32_e32 v33, v30, v21
	v_add_nc_u32_e32 v69, 0x1010, v68
	v_add_nc_u32_e32 v20, 0x1000, v68
	;; [unrolled: 1-line block ×4, first 2 shown]
	v_sub_nc_u32_e64 v33, v54, v33 clamp
	ds_store_2addr_b64 v69, v[26:27], v[14:15] offset1:1
	ds_store_2addr_b64 v70, v[28:29], v[18:19] offset1:1
	;; [unrolled: 1-line block ×5, first 2 shown]
	; wave barrier
	v_cmpx_lt_u32_e64 v33, v55
	s_cbranch_execz .LBB2066_326
; %bb.308:
	v_lshlrev_b32_e32 v64, 1, v21
	v_lshlrev_b32_e32 v65, 1, v54
	s_mov_b32 s9, 0
	s_delay_alu instid0(VALU_DEP_1)
	v_add3_u32 v64, v12, v64, v65
	s_branch .LBB2066_310
.LBB2066_309:                           ;   in Loop: Header=BB2066_310 Depth=1
	s_or_b32 exec_lo, exec_lo, s10
	v_cmp_lt_i32_e64 s7, -1, v66
	v_lshrrev_b32_e32 v68, 16, v66
	v_lshrrev_b32_e32 v69, 16, v67
	s_delay_alu instid0(VALU_DEP_3) | instskip(SKIP_1) | instid1(VALU_DEP_2)
	v_cndmask_b32_e64 v66, -1, 0xffff8000, s7
	v_cmp_lt_i32_e64 s7, -1, v67
	v_xor_b32_e32 v66, v66, v68
	s_delay_alu instid0(VALU_DEP_2) | instskip(SKIP_1) | instid1(VALU_DEP_2)
	v_cndmask_b32_e64 v67, -1, 0xffff8000, s7
	v_add_nc_u32_e32 v68, 1, v65
	v_xor_b32_e32 v67, v67, v69
	s_delay_alu instid0(VALU_DEP_1) | instskip(NEXT) | instid1(VALU_DEP_1)
	v_cmp_gt_u16_e64 s7, v66, v67
	v_cndmask_b32_e64 v55, v55, v65, s7
	s_delay_alu instid0(VALU_DEP_4) | instskip(NEXT) | instid1(VALU_DEP_1)
	v_cndmask_b32_e64 v33, v68, v33, s7
	v_cmp_ge_u32_e64 s7, v33, v55
	s_delay_alu instid0(VALU_DEP_1) | instskip(NEXT) | instid1(SALU_CYCLE_1)
	s_or_b32 s9, s7, s9
	s_and_not1_b32 exec_lo, exec_lo, s9
	s_cbranch_execz .LBB2066_325
.LBB2066_310:                           ; =>This Inner Loop Header: Depth=1
	v_add_nc_u32_e32 v65, v55, v33
	s_delay_alu instid0(VALU_DEP_1) | instskip(SKIP_1) | instid1(VALU_DEP_2)
	v_and_b32_e32 v66, -2, v65
	v_lshrrev_b32_e32 v65, 1, v65
	v_add_nc_u32_e32 v66, v32, v66
	s_delay_alu instid0(VALU_DEP_2)
	v_not_b32_e32 v67, v65
	ds_load_u16 v66, v66
	v_lshl_add_u32 v67, v67, 1, v64
	ds_load_u16 v67, v67
	s_waitcnt lgkmcnt(1)
	v_lshlrev_b32_e32 v66, 16, v66
	s_delay_alu instid0(VALU_DEP_1) | instskip(NEXT) | instid1(VALU_DEP_1)
	v_add_f32_e32 v68, 0, v66
	v_and_b32_e32 v66, 0x7f800000, v68
	s_delay_alu instid0(VALU_DEP_1) | instskip(NEXT) | instid1(VALU_DEP_1)
	v_cmp_ne_u32_e64 s7, 0x7f800000, v66
                                        ; implicit-def: $vgpr66
	s_and_saveexec_b32 s10, s7
	s_delay_alu instid0(SALU_CYCLE_1)
	s_xor_b32 s7, exec_lo, s10
; %bb.311:                              ;   in Loop: Header=BB2066_310 Depth=1
	v_bfe_u32 v66, v68, 16, 1
	s_delay_alu instid0(VALU_DEP_1)
	v_add3_u32 v66, v68, v66, 0x7fff
                                        ; implicit-def: $vgpr68
; %bb.312:                              ;   in Loop: Header=BB2066_310 Depth=1
	s_and_not1_saveexec_b32 s10, s7
; %bb.313:                              ;   in Loop: Header=BB2066_310 Depth=1
	v_and_b32_e32 v66, 0xffff, v68
	v_or_b32_e32 v69, 0x10000, v68
	s_delay_alu instid0(VALU_DEP_2) | instskip(NEXT) | instid1(VALU_DEP_1)
	v_cmp_eq_u32_e64 s7, 0, v66
	v_cndmask_b32_e64 v66, v69, v68, s7
; %bb.314:                              ;   in Loop: Header=BB2066_310 Depth=1
	s_or_b32 exec_lo, exec_lo, s10
	s_waitcnt lgkmcnt(0)
	v_lshlrev_b32_e32 v67, 16, v67
	s_delay_alu instid0(VALU_DEP_1) | instskip(NEXT) | instid1(VALU_DEP_1)
	v_add_f32_e32 v68, 0, v67
	v_and_b32_e32 v67, 0x7f800000, v68
	s_delay_alu instid0(VALU_DEP_1) | instskip(NEXT) | instid1(VALU_DEP_1)
	v_cmp_ne_u32_e64 s7, 0x7f800000, v67
                                        ; implicit-def: $vgpr67
	s_and_saveexec_b32 s10, s7
	s_delay_alu instid0(SALU_CYCLE_1)
	s_xor_b32 s7, exec_lo, s10
; %bb.315:                              ;   in Loop: Header=BB2066_310 Depth=1
	v_bfe_u32 v67, v68, 16, 1
	s_delay_alu instid0(VALU_DEP_1)
	v_add3_u32 v67, v68, v67, 0x7fff
                                        ; implicit-def: $vgpr68
; %bb.316:                              ;   in Loop: Header=BB2066_310 Depth=1
	s_and_not1_saveexec_b32 s10, s7
	s_cbranch_execz .LBB2066_309
; %bb.317:                              ;   in Loop: Header=BB2066_310 Depth=1
	v_and_b32_e32 v67, 0xffff, v68
	v_or_b32_e32 v69, 0x10000, v68
	s_delay_alu instid0(VALU_DEP_2) | instskip(NEXT) | instid1(VALU_DEP_1)
	v_cmp_eq_u32_e64 s7, 0, v67
	v_cndmask_b32_e64 v67, v69, v68, s7
	s_branch .LBB2066_309
.LBB2066_318:
	flat_load_b64 v[4:5], v[32:33]
	s_or_b32 exec_lo, exec_lo, s7
	s_and_saveexec_b32 s7, s0
                                        ; implicit-def: $vgpr8_vgpr9_vgpr10_vgpr11
	s_cbranch_execz .LBB2066_18
.LBB2066_319:
	flat_load_b64 v[10:11], v[32:33] offset:8
	s_or_b32 exec_lo, exec_lo, s7
                                        ; implicit-def: $vgpr26_vgpr27
	s_and_saveexec_b32 s7, s1
	s_cbranch_execz .LBB2066_19
.LBB2066_320:
	flat_load_b64 v[26:27], v[32:33] offset:16
	s_or_b32 exec_lo, exec_lo, s7
	s_and_saveexec_b32 s7, s2
                                        ; implicit-def: $vgpr12_vgpr13_vgpr14_vgpr15
	s_cbranch_execz .LBB2066_20
.LBB2066_321:
	flat_load_b64 v[14:15], v[32:33] offset:24
	s_or_b32 exec_lo, exec_lo, s7
                                        ; implicit-def: $vgpr28_vgpr29
	s_and_saveexec_b32 s7, s3
	s_cbranch_execz .LBB2066_21
.LBB2066_322:
	flat_load_b64 v[28:29], v[32:33] offset:32
	s_or_b32 exec_lo, exec_lo, s7
	s_and_saveexec_b32 s7, s4
                                        ; implicit-def: $vgpr16_vgpr17_vgpr18_vgpr19
	s_cbranch_execz .LBB2066_22
.LBB2066_323:
	flat_load_b64 v[18:19], v[32:33] offset:40
	s_or_b32 exec_lo, exec_lo, s7
                                        ; implicit-def: $vgpr16_vgpr17
	s_and_saveexec_b32 s7, s5
	s_cbranch_execz .LBB2066_23
.LBB2066_324:
	flat_load_b64 v[16:17], v[32:33] offset:48
	s_or_b32 exec_lo, exec_lo, s7
	s_and_saveexec_b32 s7, s6
                                        ; implicit-def: $vgpr20_vgpr21_vgpr22_vgpr23
	s_cbranch_execnz .LBB2066_24
	s_branch .LBB2066_25
.LBB2066_325:
	s_or_b32 exec_lo, exec_lo, s9
.LBB2066_326:
	s_delay_alu instid0(SALU_CYCLE_1) | instskip(SKIP_2) | instid1(VALU_DEP_2)
	s_or_b32 exec_lo, exec_lo, s8
	v_add_nc_u32_e32 v55, v21, v54
	v_add_nc_u32_e32 v54, v33, v31
	v_sub_nc_u32_e32 v55, v55, v33
	s_delay_alu instid0(VALU_DEP_2) | instskip(NEXT) | instid1(VALU_DEP_2)
	v_cmp_le_u32_e64 s7, v54, v21
	v_cmp_le_u32_e64 s8, v55, v30
	s_delay_alu instid0(VALU_DEP_1) | instskip(NEXT) | instid1(SALU_CYCLE_1)
	s_or_b32 s7, s7, s8
	s_and_saveexec_b32 s9, s7
	s_cbranch_execz .LBB2066_426
; %bb.327:
	v_cmp_ge_u32_e64 s7, v54, v21
	s_mov_b32 s10, exec_lo
                                        ; implicit-def: $vgpr31
	v_cmpx_lt_u32_e64 v54, v21
	s_cbranch_execz .LBB2066_329
; %bb.328:
	v_lshl_add_u32 v4, v33, 1, v32
	ds_load_u16 v31, v4
.LBB2066_329:
	s_or_b32 exec_lo, exec_lo, s10
	v_cmp_ge_u32_e64 s10, v55, v30
	s_mov_b32 s11, exec_lo
                                        ; implicit-def: $vgpr32
	v_cmpx_lt_u32_e64 v55, v30
	s_cbranch_execz .LBB2066_331
; %bb.330:
	v_lshl_add_u32 v4, v55, 1, v12
	ds_load_u16 v32, v4
.LBB2066_331:
	s_or_b32 exec_lo, exec_lo, s11
	s_or_b32 s7, s7, s10
	s_delay_alu instid0(SALU_CYCLE_1) | instskip(NEXT) | instid1(SALU_CYCLE_1)
	s_xor_b32 s7, s7, -1
	s_and_saveexec_b32 s8, s7
	s_cbranch_execz .LBB2066_341
; %bb.332:
	s_waitcnt lgkmcnt(0)
	v_lshlrev_b32_e32 v4, 16, v31
	s_delay_alu instid0(VALU_DEP_1) | instskip(NEXT) | instid1(VALU_DEP_1)
	v_add_f32_e32 v5, 0, v4
	v_and_b32_e32 v4, 0x7f800000, v5
	s_delay_alu instid0(VALU_DEP_1) | instskip(NEXT) | instid1(VALU_DEP_1)
	v_cmp_ne_u32_e64 s7, 0x7f800000, v4
                                        ; implicit-def: $vgpr4
	s_and_saveexec_b32 s11, s7
	s_delay_alu instid0(SALU_CYCLE_1)
	s_xor_b32 s7, exec_lo, s11
; %bb.333:
	v_bfe_u32 v4, v5, 16, 1
	s_delay_alu instid0(VALU_DEP_1)
	v_add3_u32 v4, v5, v4, 0x7fff
                                        ; implicit-def: $vgpr5
; %bb.334:
	s_and_not1_saveexec_b32 s11, s7
; %bb.335:
	v_and_b32_e32 v4, 0xffff, v5
	v_or_b32_e32 v10, 0x10000, v5
	s_delay_alu instid0(VALU_DEP_2) | instskip(NEXT) | instid1(VALU_DEP_1)
	v_cmp_eq_u32_e64 s7, 0, v4
	v_cndmask_b32_e64 v4, v10, v5, s7
; %bb.336:
	s_or_b32 exec_lo, exec_lo, s11
	v_lshlrev_b32_e32 v5, 16, v32
	s_delay_alu instid0(VALU_DEP_1) | instskip(NEXT) | instid1(VALU_DEP_1)
	v_add_f32_e32 v10, 0, v5
	v_and_b32_e32 v5, 0x7f800000, v10
	s_delay_alu instid0(VALU_DEP_1) | instskip(NEXT) | instid1(VALU_DEP_1)
	v_cmp_ne_u32_e64 s7, 0x7f800000, v5
                                        ; implicit-def: $vgpr5
	s_and_saveexec_b32 s11, s7
	s_delay_alu instid0(SALU_CYCLE_1)
	s_xor_b32 s7, exec_lo, s11
; %bb.337:
	v_bfe_u32 v5, v10, 16, 1
	s_delay_alu instid0(VALU_DEP_1)
	v_add3_u32 v5, v10, v5, 0x7fff
                                        ; implicit-def: $vgpr10
; %bb.338:
	s_and_not1_saveexec_b32 s11, s7
; %bb.339:
	v_and_b32_e32 v5, 0xffff, v10
	v_or_b32_e32 v11, 0x10000, v10
	s_delay_alu instid0(VALU_DEP_2) | instskip(NEXT) | instid1(VALU_DEP_1)
	v_cmp_eq_u32_e64 s7, 0, v5
	v_cndmask_b32_e64 v5, v11, v10, s7
; %bb.340:
	s_or_b32 exec_lo, exec_lo, s11
	v_cmp_lt_i32_e64 s7, -1, v4
	s_delay_alu instid0(VALU_DEP_2) | instskip(SKIP_1) | instid1(VALU_DEP_2)
	v_perm_b32 v4, v5, v4, 0x7060302
	s_and_not1_b32 s10, s10, exec_lo
	v_cndmask_b32_e64 v10, -1, 0xffff8000, s7
	v_cmp_lt_i32_e64 s7, -1, v5
	s_delay_alu instid0(VALU_DEP_1) | instskip(NEXT) | instid1(VALU_DEP_1)
	v_cndmask_b32_e64 v11, -1, 0xffff8000, s7
	v_perm_b32 v5, v11, v10, 0x5040100
	s_delay_alu instid0(VALU_DEP_1) | instskip(NEXT) | instid1(VALU_DEP_1)
	v_xor_b32_e32 v4, v5, v4
	v_lshrrev_b32_e32 v5, 16, v4
	s_delay_alu instid0(VALU_DEP_1) | instskip(NEXT) | instid1(VALU_DEP_1)
	v_cmp_le_u16_e64 s7, v4, v5
	s_and_b32 s7, s7, exec_lo
	s_delay_alu instid0(SALU_CYCLE_1)
	s_or_b32 s10, s10, s7
.LBB2066_341:
	s_or_b32 exec_lo, exec_lo, s8
	v_cndmask_b32_e64 v4, v55, v54, s10
	v_cndmask_b32_e64 v5, v30, v21, s10
	s_mov_b32 s11, -1
	s_mov_b32 s8, -1
	s_mov_b32 s12, exec_lo
	v_add_nc_u32_e32 v10, 1, v4
	v_add_nc_u32_e32 v5, -1, v5
	v_lshl_add_u32 v4, v4, 3, v8
	s_delay_alu instid0(VALU_DEP_3) | instskip(NEXT) | instid1(VALU_DEP_3)
	v_cndmask_b32_e64 v14, v10, v55, s10
	v_min_u32_e32 v5, v10, v5
	v_cndmask_b32_e64 v15, v54, v10, s10
	s_delay_alu instid0(VALU_DEP_2)
	v_lshl_add_u32 v5, v5, 1, v12
	ds_load_u16 v11, v5
	ds_load_b64 v[4:5], v4 offset:4096
	s_waitcnt lgkmcnt(1)
	v_cndmask_b32_e64 v33, v11, v32, s10
	v_cndmask_b32_e64 v38, v31, v11, s10
	v_cmpx_lt_u32_e64 v14, v30
	s_cbranch_execz .LBB2066_353
; %bb.342:
	s_mov_b32 s13, 0
	s_mov_b32 s8, exec_lo
	v_cmpx_lt_u32_e64 v15, v21
	s_cbranch_execz .LBB2066_352
; %bb.343:
	v_lshlrev_b32_e32 v10, 16, v38
	s_delay_alu instid0(VALU_DEP_1) | instskip(NEXT) | instid1(VALU_DEP_1)
	v_add_f32_e32 v11, 0, v10
	v_and_b32_e32 v10, 0x7f800000, v11
	s_delay_alu instid0(VALU_DEP_1) | instskip(NEXT) | instid1(VALU_DEP_1)
	v_cmp_ne_u32_e64 s7, 0x7f800000, v10
                                        ; implicit-def: $vgpr10
	s_and_saveexec_b32 s13, s7
	s_delay_alu instid0(SALU_CYCLE_1)
	s_xor_b32 s7, exec_lo, s13
; %bb.344:
	v_bfe_u32 v10, v11, 16, 1
	s_delay_alu instid0(VALU_DEP_1)
	v_add3_u32 v10, v11, v10, 0x7fff
                                        ; implicit-def: $vgpr11
; %bb.345:
	s_and_not1_saveexec_b32 s13, s7
; %bb.346:
	v_and_b32_e32 v10, 0xffff, v11
	v_or_b32_e32 v16, 0x10000, v11
	s_delay_alu instid0(VALU_DEP_2) | instskip(NEXT) | instid1(VALU_DEP_1)
	v_cmp_eq_u32_e64 s7, 0, v10
	v_cndmask_b32_e64 v10, v16, v11, s7
; %bb.347:
	s_or_b32 exec_lo, exec_lo, s13
	v_lshlrev_b32_e32 v11, 16, v33
	s_delay_alu instid0(VALU_DEP_1) | instskip(NEXT) | instid1(VALU_DEP_1)
	v_add_f32_e32 v16, 0, v11
	v_and_b32_e32 v11, 0x7f800000, v16
	s_delay_alu instid0(VALU_DEP_1) | instskip(NEXT) | instid1(VALU_DEP_1)
	v_cmp_ne_u32_e64 s7, 0x7f800000, v11
                                        ; implicit-def: $vgpr11
	s_and_saveexec_b32 s13, s7
	s_delay_alu instid0(SALU_CYCLE_1)
	s_xor_b32 s7, exec_lo, s13
; %bb.348:
	v_bfe_u32 v11, v16, 16, 1
	s_delay_alu instid0(VALU_DEP_1)
	v_add3_u32 v11, v16, v11, 0x7fff
                                        ; implicit-def: $vgpr16
; %bb.349:
	s_and_not1_saveexec_b32 s13, s7
; %bb.350:
	v_and_b32_e32 v11, 0xffff, v16
	v_or_b32_e32 v17, 0x10000, v16
	s_delay_alu instid0(VALU_DEP_2) | instskip(NEXT) | instid1(VALU_DEP_1)
	v_cmp_eq_u32_e64 s7, 0, v11
	v_cndmask_b32_e64 v11, v17, v16, s7
; %bb.351:
	s_or_b32 exec_lo, exec_lo, s13
	v_cmp_lt_i32_e64 s7, -1, v10
	s_delay_alu instid0(VALU_DEP_2) | instskip(NEXT) | instid1(VALU_DEP_2)
	v_perm_b32 v10, v11, v10, 0x7060302
	v_cndmask_b32_e64 v16, -1, 0xffff8000, s7
	v_cmp_lt_i32_e64 s7, -1, v11
	s_delay_alu instid0(VALU_DEP_1) | instskip(NEXT) | instid1(VALU_DEP_1)
	v_cndmask_b32_e64 v17, -1, 0xffff8000, s7
	v_perm_b32 v11, v17, v16, 0x5040100
	s_delay_alu instid0(VALU_DEP_1) | instskip(NEXT) | instid1(VALU_DEP_1)
	v_xor_b32_e32 v10, v11, v10
	v_lshrrev_b32_e32 v11, 16, v10
	s_delay_alu instid0(VALU_DEP_1) | instskip(NEXT) | instid1(VALU_DEP_1)
	v_cmp_le_u16_e64 s7, v10, v11
	s_and_b32 s13, s7, exec_lo
.LBB2066_352:
	s_or_b32 exec_lo, exec_lo, s8
	s_delay_alu instid0(SALU_CYCLE_1)
	s_or_not1_b32 s8, s13, exec_lo
.LBB2066_353:
	s_or_b32 exec_lo, exec_lo, s12
	v_cndmask_b32_e64 v10, v14, v15, s8
	v_cndmask_b32_e64 v11, v30, v21, s8
	s_mov_b32 s12, exec_lo
	s_delay_alu instid0(VALU_DEP_2) | instskip(NEXT) | instid1(VALU_DEP_2)
	v_add_nc_u32_e32 v16, 1, v10
	v_add_nc_u32_e32 v11, -1, v11
	v_lshl_add_u32 v10, v10, 3, v8
	s_delay_alu instid0(VALU_DEP_3) | instskip(NEXT) | instid1(VALU_DEP_3)
	v_cndmask_b32_e64 v14, v16, v14, s8
	v_min_u32_e32 v11, v16, v11
	v_cndmask_b32_e64 v15, v15, v16, s8
	s_delay_alu instid0(VALU_DEP_2)
	v_lshl_add_u32 v11, v11, 1, v12
	ds_load_u16 v17, v11
	ds_load_b64 v[10:11], v10 offset:4096
	s_waitcnt lgkmcnt(1)
	v_cndmask_b32_e64 v39, v17, v33, s8
	v_cndmask_b32_e64 v49, v38, v17, s8
	v_cmpx_lt_u32_e64 v14, v30
	s_cbranch_execz .LBB2066_365
; %bb.354:
	s_mov_b32 s13, 0
	s_mov_b32 s11, exec_lo
	v_cmpx_lt_u32_e64 v15, v21
	s_cbranch_execz .LBB2066_364
; %bb.355:
	v_lshlrev_b32_e32 v16, 16, v49
	s_delay_alu instid0(VALU_DEP_1) | instskip(NEXT) | instid1(VALU_DEP_1)
	v_add_f32_e32 v17, 0, v16
	v_and_b32_e32 v16, 0x7f800000, v17
	s_delay_alu instid0(VALU_DEP_1) | instskip(NEXT) | instid1(VALU_DEP_1)
	v_cmp_ne_u32_e64 s7, 0x7f800000, v16
                                        ; implicit-def: $vgpr16
	s_and_saveexec_b32 s13, s7
	s_delay_alu instid0(SALU_CYCLE_1)
	s_xor_b32 s7, exec_lo, s13
; %bb.356:
	v_bfe_u32 v16, v17, 16, 1
	s_delay_alu instid0(VALU_DEP_1)
	v_add3_u32 v16, v17, v16, 0x7fff
                                        ; implicit-def: $vgpr17
; %bb.357:
	s_and_not1_saveexec_b32 s13, s7
; %bb.358:
	v_and_b32_e32 v16, 0xffff, v17
	v_or_b32_e32 v18, 0x10000, v17
	s_delay_alu instid0(VALU_DEP_2) | instskip(NEXT) | instid1(VALU_DEP_1)
	v_cmp_eq_u32_e64 s7, 0, v16
	v_cndmask_b32_e64 v16, v18, v17, s7
; %bb.359:
	s_or_b32 exec_lo, exec_lo, s13
	v_lshlrev_b32_e32 v17, 16, v39
	s_delay_alu instid0(VALU_DEP_1) | instskip(NEXT) | instid1(VALU_DEP_1)
	v_add_f32_e32 v18, 0, v17
	v_and_b32_e32 v17, 0x7f800000, v18
	s_delay_alu instid0(VALU_DEP_1) | instskip(NEXT) | instid1(VALU_DEP_1)
	v_cmp_ne_u32_e64 s7, 0x7f800000, v17
                                        ; implicit-def: $vgpr17
	s_and_saveexec_b32 s13, s7
	s_delay_alu instid0(SALU_CYCLE_1)
	s_xor_b32 s7, exec_lo, s13
; %bb.360:
	v_bfe_u32 v17, v18, 16, 1
	s_delay_alu instid0(VALU_DEP_1)
	v_add3_u32 v17, v18, v17, 0x7fff
                                        ; implicit-def: $vgpr18
; %bb.361:
	s_and_not1_saveexec_b32 s13, s7
; %bb.362:
	v_and_b32_e32 v17, 0xffff, v18
	v_or_b32_e32 v19, 0x10000, v18
	s_delay_alu instid0(VALU_DEP_2) | instskip(NEXT) | instid1(VALU_DEP_1)
	v_cmp_eq_u32_e64 s7, 0, v17
	v_cndmask_b32_e64 v17, v19, v18, s7
; %bb.363:
	s_or_b32 exec_lo, exec_lo, s13
	v_cmp_lt_i32_e64 s7, -1, v16
	s_delay_alu instid0(VALU_DEP_2) | instskip(NEXT) | instid1(VALU_DEP_2)
	v_perm_b32 v16, v17, v16, 0x7060302
	v_cndmask_b32_e64 v18, -1, 0xffff8000, s7
	v_cmp_lt_i32_e64 s7, -1, v17
	s_delay_alu instid0(VALU_DEP_1) | instskip(NEXT) | instid1(VALU_DEP_1)
	v_cndmask_b32_e64 v19, -1, 0xffff8000, s7
	v_perm_b32 v17, v19, v18, 0x5040100
	s_delay_alu instid0(VALU_DEP_1) | instskip(NEXT) | instid1(VALU_DEP_1)
	v_xor_b32_e32 v16, v17, v16
	v_lshrrev_b32_e32 v17, 16, v16
	s_delay_alu instid0(VALU_DEP_1) | instskip(NEXT) | instid1(VALU_DEP_1)
	v_cmp_le_u16_e64 s7, v16, v17
	s_and_b32 s13, s7, exec_lo
.LBB2066_364:
	s_or_b32 exec_lo, exec_lo, s11
	s_delay_alu instid0(SALU_CYCLE_1)
	s_or_not1_b32 s11, s13, exec_lo
.LBB2066_365:
	s_or_b32 exec_lo, exec_lo, s12
	v_cndmask_b32_e64 v16, v14, v15, s11
	v_cndmask_b32_e64 v17, v30, v21, s11
	s_mov_b32 s13, -1
	s_mov_b32 s12, -1
	s_mov_b32 s14, exec_lo
	v_add_nc_u32_e32 v18, 1, v16
	v_add_nc_u32_e32 v17, -1, v17
	v_lshl_add_u32 v16, v16, 3, v8
	s_delay_alu instid0(VALU_DEP_2)
	v_min_u32_e32 v17, v18, v17
	ds_load_b64 v[26:27], v16 offset:4096
	v_cndmask_b32_e64 v16, v18, v14, s11
	v_lshl_add_u32 v17, v17, 1, v12
	ds_load_u16 v19, v17
	v_cndmask_b32_e64 v17, v15, v18, s11
	s_waitcnt lgkmcnt(0)
	v_cndmask_b32_e64 v50, v19, v39, s11
	v_cndmask_b32_e64 v53, v49, v19, s11
	v_cmpx_lt_u32_e64 v16, v30
	s_cbranch_execz .LBB2066_377
; %bb.366:
	s_mov_b32 s15, 0
	s_mov_b32 s12, exec_lo
	v_cmpx_lt_u32_e64 v17, v21
	s_cbranch_execz .LBB2066_376
; %bb.367:
	v_lshlrev_b32_e32 v14, 16, v53
	s_delay_alu instid0(VALU_DEP_1) | instskip(NEXT) | instid1(VALU_DEP_1)
	v_add_f32_e32 v15, 0, v14
	v_and_b32_e32 v14, 0x7f800000, v15
	s_delay_alu instid0(VALU_DEP_1) | instskip(NEXT) | instid1(VALU_DEP_1)
	v_cmp_ne_u32_e64 s7, 0x7f800000, v14
                                        ; implicit-def: $vgpr14
	s_and_saveexec_b32 s15, s7
	s_delay_alu instid0(SALU_CYCLE_1)
	s_xor_b32 s7, exec_lo, s15
; %bb.368:
	v_bfe_u32 v14, v15, 16, 1
	s_delay_alu instid0(VALU_DEP_1)
	v_add3_u32 v14, v15, v14, 0x7fff
                                        ; implicit-def: $vgpr15
; %bb.369:
	s_and_not1_saveexec_b32 s15, s7
; %bb.370:
	v_and_b32_e32 v14, 0xffff, v15
	v_or_b32_e32 v18, 0x10000, v15
	s_delay_alu instid0(VALU_DEP_2) | instskip(NEXT) | instid1(VALU_DEP_1)
	v_cmp_eq_u32_e64 s7, 0, v14
	v_cndmask_b32_e64 v14, v18, v15, s7
; %bb.371:
	s_or_b32 exec_lo, exec_lo, s15
	v_lshlrev_b32_e32 v15, 16, v50
	s_delay_alu instid0(VALU_DEP_1) | instskip(NEXT) | instid1(VALU_DEP_1)
	v_add_f32_e32 v18, 0, v15
	v_and_b32_e32 v15, 0x7f800000, v18
	s_delay_alu instid0(VALU_DEP_1) | instskip(NEXT) | instid1(VALU_DEP_1)
	v_cmp_ne_u32_e64 s7, 0x7f800000, v15
                                        ; implicit-def: $vgpr15
	s_and_saveexec_b32 s15, s7
	s_delay_alu instid0(SALU_CYCLE_1)
	s_xor_b32 s7, exec_lo, s15
; %bb.372:
	v_bfe_u32 v15, v18, 16, 1
	s_delay_alu instid0(VALU_DEP_1)
	v_add3_u32 v15, v18, v15, 0x7fff
                                        ; implicit-def: $vgpr18
; %bb.373:
	s_and_not1_saveexec_b32 s15, s7
; %bb.374:
	v_and_b32_e32 v15, 0xffff, v18
	v_or_b32_e32 v19, 0x10000, v18
	s_delay_alu instid0(VALU_DEP_2) | instskip(NEXT) | instid1(VALU_DEP_1)
	v_cmp_eq_u32_e64 s7, 0, v15
	v_cndmask_b32_e64 v15, v19, v18, s7
; %bb.375:
	s_or_b32 exec_lo, exec_lo, s15
	v_cmp_lt_i32_e64 s7, -1, v14
	s_delay_alu instid0(VALU_DEP_2) | instskip(NEXT) | instid1(VALU_DEP_2)
	v_perm_b32 v14, v15, v14, 0x7060302
	v_cndmask_b32_e64 v18, -1, 0xffff8000, s7
	v_cmp_lt_i32_e64 s7, -1, v15
	s_delay_alu instid0(VALU_DEP_1) | instskip(NEXT) | instid1(VALU_DEP_1)
	v_cndmask_b32_e64 v19, -1, 0xffff8000, s7
	v_perm_b32 v15, v19, v18, 0x5040100
	s_delay_alu instid0(VALU_DEP_1) | instskip(NEXT) | instid1(VALU_DEP_1)
	v_xor_b32_e32 v14, v15, v14
	v_lshrrev_b32_e32 v15, 16, v14
	s_delay_alu instid0(VALU_DEP_1) | instskip(NEXT) | instid1(VALU_DEP_1)
	v_cmp_le_u16_e64 s7, v14, v15
	s_and_b32 s15, s7, exec_lo
.LBB2066_376:
	s_or_b32 exec_lo, exec_lo, s12
	s_delay_alu instid0(SALU_CYCLE_1)
	s_or_not1_b32 s12, s15, exec_lo
.LBB2066_377:
	s_or_b32 exec_lo, exec_lo, s14
	v_cndmask_b32_e64 v14, v16, v17, s12
	v_cndmask_b32_e64 v15, v30, v21, s12
	s_mov_b32 s14, exec_lo
	s_delay_alu instid0(VALU_DEP_2) | instskip(NEXT) | instid1(VALU_DEP_2)
	v_add_nc_u32_e32 v18, 1, v14
	v_add_nc_u32_e32 v15, -1, v15
	v_lshl_add_u32 v14, v14, 3, v8
	s_delay_alu instid0(VALU_DEP_3) | instskip(NEXT) | instid1(VALU_DEP_3)
	v_cndmask_b32_e64 v16, v18, v16, s12
	v_min_u32_e32 v15, v18, v15
	v_cndmask_b32_e64 v17, v17, v18, s12
	s_delay_alu instid0(VALU_DEP_2)
	v_lshl_add_u32 v15, v15, 1, v12
	ds_load_u16 v19, v15
	ds_load_b64 v[14:15], v14 offset:4096
	s_waitcnt lgkmcnt(1)
	v_cndmask_b32_e64 v51, v19, v50, s12
	v_cndmask_b32_e64 v54, v53, v19, s12
	v_cmpx_lt_u32_e64 v16, v30
	s_cbranch_execz .LBB2066_389
; %bb.378:
	s_mov_b32 s15, 0
	s_mov_b32 s13, exec_lo
	v_cmpx_lt_u32_e64 v17, v21
	s_cbranch_execz .LBB2066_388
; %bb.379:
	v_lshlrev_b32_e32 v18, 16, v54
	s_delay_alu instid0(VALU_DEP_1) | instskip(NEXT) | instid1(VALU_DEP_1)
	v_add_f32_e32 v19, 0, v18
	v_and_b32_e32 v18, 0x7f800000, v19
	s_delay_alu instid0(VALU_DEP_1) | instskip(NEXT) | instid1(VALU_DEP_1)
	v_cmp_ne_u32_e64 s7, 0x7f800000, v18
                                        ; implicit-def: $vgpr18
	s_and_saveexec_b32 s15, s7
	s_delay_alu instid0(SALU_CYCLE_1)
	s_xor_b32 s7, exec_lo, s15
; %bb.380:
	v_bfe_u32 v18, v19, 16, 1
	s_delay_alu instid0(VALU_DEP_1)
	v_add3_u32 v18, v19, v18, 0x7fff
                                        ; implicit-def: $vgpr19
; %bb.381:
	s_and_not1_saveexec_b32 s15, s7
; %bb.382:
	v_and_b32_e32 v18, 0xffff, v19
	v_or_b32_e32 v22, 0x10000, v19
	s_delay_alu instid0(VALU_DEP_2) | instskip(NEXT) | instid1(VALU_DEP_1)
	v_cmp_eq_u32_e64 s7, 0, v18
	v_cndmask_b32_e64 v18, v22, v19, s7
; %bb.383:
	s_or_b32 exec_lo, exec_lo, s15
	v_lshlrev_b32_e32 v19, 16, v51
	s_delay_alu instid0(VALU_DEP_1) | instskip(NEXT) | instid1(VALU_DEP_1)
	v_add_f32_e32 v22, 0, v19
	v_and_b32_e32 v19, 0x7f800000, v22
	s_delay_alu instid0(VALU_DEP_1) | instskip(NEXT) | instid1(VALU_DEP_1)
	v_cmp_ne_u32_e64 s7, 0x7f800000, v19
                                        ; implicit-def: $vgpr19
	s_and_saveexec_b32 s15, s7
	s_delay_alu instid0(SALU_CYCLE_1)
	s_xor_b32 s7, exec_lo, s15
; %bb.384:
	v_bfe_u32 v19, v22, 16, 1
	s_delay_alu instid0(VALU_DEP_1)
	v_add3_u32 v19, v22, v19, 0x7fff
                                        ; implicit-def: $vgpr22
; %bb.385:
	s_and_not1_saveexec_b32 s15, s7
; %bb.386:
	v_and_b32_e32 v19, 0xffff, v22
	v_or_b32_e32 v23, 0x10000, v22
	s_delay_alu instid0(VALU_DEP_2) | instskip(NEXT) | instid1(VALU_DEP_1)
	v_cmp_eq_u32_e64 s7, 0, v19
	v_cndmask_b32_e64 v19, v23, v22, s7
; %bb.387:
	s_or_b32 exec_lo, exec_lo, s15
	v_cmp_lt_i32_e64 s7, -1, v18
	s_delay_alu instid0(VALU_DEP_2) | instskip(NEXT) | instid1(VALU_DEP_2)
	v_perm_b32 v18, v19, v18, 0x7060302
	v_cndmask_b32_e64 v22, -1, 0xffff8000, s7
	v_cmp_lt_i32_e64 s7, -1, v19
	s_delay_alu instid0(VALU_DEP_1) | instskip(NEXT) | instid1(VALU_DEP_1)
	v_cndmask_b32_e64 v23, -1, 0xffff8000, s7
	v_perm_b32 v19, v23, v22, 0x5040100
	s_delay_alu instid0(VALU_DEP_1) | instskip(NEXT) | instid1(VALU_DEP_1)
	v_xor_b32_e32 v18, v19, v18
	v_lshrrev_b32_e32 v19, 16, v18
	s_delay_alu instid0(VALU_DEP_1) | instskip(NEXT) | instid1(VALU_DEP_1)
	v_cmp_le_u16_e64 s7, v18, v19
	s_and_b32 s15, s7, exec_lo
.LBB2066_388:
	s_or_b32 exec_lo, exec_lo, s13
	s_delay_alu instid0(SALU_CYCLE_1)
	s_or_not1_b32 s13, s15, exec_lo
.LBB2066_389:
	s_or_b32 exec_lo, exec_lo, s14
	v_cndmask_b32_e64 v18, v16, v17, s13
	v_cndmask_b32_e64 v19, v30, v21, s13
	s_mov_b32 s15, -1
	s_mov_b32 s14, -1
	s_mov_b32 s16, exec_lo
	v_add_nc_u32_e32 v22, 1, v18
	v_add_nc_u32_e32 v19, -1, v19
	v_lshl_add_u32 v18, v18, 3, v8
	s_delay_alu instid0(VALU_DEP_3) | instskip(NEXT) | instid1(VALU_DEP_3)
	v_cndmask_b32_e64 v16, v22, v16, s13
	v_min_u32_e32 v19, v22, v19
	v_cndmask_b32_e64 v17, v17, v22, s13
	ds_load_b64 v[28:29], v18 offset:4096
	v_lshl_add_u32 v19, v19, 1, v12
	ds_load_u16 v19, v19
	s_waitcnt lgkmcnt(0)
	v_cndmask_b32_e64 v48, v19, v51, s13
	v_cndmask_b32_e64 v55, v54, v19, s13
	v_cmpx_lt_u32_e64 v16, v30
	s_cbranch_execz .LBB2066_401
; %bb.390:
	s_mov_b32 s17, 0
	s_mov_b32 s14, exec_lo
	v_cmpx_lt_u32_e64 v17, v21
	s_cbranch_execz .LBB2066_400
; %bb.391:
	v_lshlrev_b32_e32 v18, 16, v55
	s_delay_alu instid0(VALU_DEP_1) | instskip(NEXT) | instid1(VALU_DEP_1)
	v_add_f32_e32 v19, 0, v18
	v_and_b32_e32 v18, 0x7f800000, v19
	s_delay_alu instid0(VALU_DEP_1) | instskip(NEXT) | instid1(VALU_DEP_1)
	v_cmp_ne_u32_e64 s7, 0x7f800000, v18
                                        ; implicit-def: $vgpr18
	s_and_saveexec_b32 s17, s7
	s_delay_alu instid0(SALU_CYCLE_1)
	s_xor_b32 s7, exec_lo, s17
; %bb.392:
	v_bfe_u32 v18, v19, 16, 1
	s_delay_alu instid0(VALU_DEP_1)
	v_add3_u32 v18, v19, v18, 0x7fff
                                        ; implicit-def: $vgpr19
; %bb.393:
	s_and_not1_saveexec_b32 s17, s7
; %bb.394:
	v_and_b32_e32 v18, 0xffff, v19
	v_or_b32_e32 v22, 0x10000, v19
	s_delay_alu instid0(VALU_DEP_2) | instskip(NEXT) | instid1(VALU_DEP_1)
	v_cmp_eq_u32_e64 s7, 0, v18
	v_cndmask_b32_e64 v18, v22, v19, s7
; %bb.395:
	s_or_b32 exec_lo, exec_lo, s17
	v_lshlrev_b32_e32 v19, 16, v48
	s_delay_alu instid0(VALU_DEP_1) | instskip(NEXT) | instid1(VALU_DEP_1)
	v_add_f32_e32 v22, 0, v19
	v_and_b32_e32 v19, 0x7f800000, v22
	s_delay_alu instid0(VALU_DEP_1) | instskip(NEXT) | instid1(VALU_DEP_1)
	v_cmp_ne_u32_e64 s7, 0x7f800000, v19
                                        ; implicit-def: $vgpr19
	s_and_saveexec_b32 s17, s7
	s_delay_alu instid0(SALU_CYCLE_1)
	s_xor_b32 s7, exec_lo, s17
; %bb.396:
	v_bfe_u32 v19, v22, 16, 1
	s_delay_alu instid0(VALU_DEP_1)
	v_add3_u32 v19, v22, v19, 0x7fff
                                        ; implicit-def: $vgpr22
; %bb.397:
	s_and_not1_saveexec_b32 s17, s7
; %bb.398:
	v_and_b32_e32 v19, 0xffff, v22
	v_or_b32_e32 v23, 0x10000, v22
	s_delay_alu instid0(VALU_DEP_2) | instskip(NEXT) | instid1(VALU_DEP_1)
	v_cmp_eq_u32_e64 s7, 0, v19
	v_cndmask_b32_e64 v19, v23, v22, s7
; %bb.399:
	s_or_b32 exec_lo, exec_lo, s17
	v_cmp_lt_i32_e64 s7, -1, v18
	s_delay_alu instid0(VALU_DEP_2) | instskip(NEXT) | instid1(VALU_DEP_2)
	v_perm_b32 v18, v19, v18, 0x7060302
	v_cndmask_b32_e64 v22, -1, 0xffff8000, s7
	v_cmp_lt_i32_e64 s7, -1, v19
	s_delay_alu instid0(VALU_DEP_1) | instskip(NEXT) | instid1(VALU_DEP_1)
	v_cndmask_b32_e64 v23, -1, 0xffff8000, s7
	v_perm_b32 v19, v23, v22, 0x5040100
	s_delay_alu instid0(VALU_DEP_1) | instskip(NEXT) | instid1(VALU_DEP_1)
	v_xor_b32_e32 v18, v19, v18
	v_lshrrev_b32_e32 v19, 16, v18
	s_delay_alu instid0(VALU_DEP_1) | instskip(NEXT) | instid1(VALU_DEP_1)
	v_cmp_le_u16_e64 s7, v18, v19
	s_and_b32 s17, s7, exec_lo
.LBB2066_400:
	s_or_b32 exec_lo, exec_lo, s14
	s_delay_alu instid0(SALU_CYCLE_1)
	s_or_not1_b32 s14, s17, exec_lo
.LBB2066_401:
	s_or_b32 exec_lo, exec_lo, s16
	v_cndmask_b32_e64 v18, v16, v17, s14
	v_cndmask_b32_e64 v19, v30, v21, s14
	s_mov_b32 s16, exec_lo
	s_delay_alu instid0(VALU_DEP_2) | instskip(NEXT) | instid1(VALU_DEP_2)
	v_add_nc_u32_e32 v23, 1, v18
	v_add_nc_u32_e32 v19, -1, v19
	v_lshl_add_u32 v18, v18, 3, v8
	s_delay_alu instid0(VALU_DEP_3) | instskip(NEXT) | instid1(VALU_DEP_3)
	v_cndmask_b32_e64 v22, v23, v16, s14
	v_min_u32_e32 v19, v23, v19
	v_cndmask_b32_e64 v23, v17, v23, s14
	s_delay_alu instid0(VALU_DEP_2)
	v_lshl_add_u32 v19, v19, 1, v12
	ds_load_u16 v64, v19
	ds_load_b64 v[18:19], v18 offset:4096
	s_waitcnt lgkmcnt(1)
	v_cndmask_b32_e64 v52, v64, v48, s14
	v_cndmask_b32_e64 v64, v55, v64, s14
	v_cmpx_lt_u32_e64 v22, v30
	s_cbranch_execz .LBB2066_413
; %bb.402:
	s_mov_b32 s17, 0
	s_mov_b32 s15, exec_lo
	v_cmpx_lt_u32_e64 v23, v21
	s_cbranch_execz .LBB2066_412
; %bb.403:
	v_lshlrev_b32_e32 v16, 16, v64
	s_delay_alu instid0(VALU_DEP_1) | instskip(NEXT) | instid1(VALU_DEP_1)
	v_add_f32_e32 v17, 0, v16
	v_and_b32_e32 v16, 0x7f800000, v17
	s_delay_alu instid0(VALU_DEP_1) | instskip(NEXT) | instid1(VALU_DEP_1)
	v_cmp_ne_u32_e64 s7, 0x7f800000, v16
                                        ; implicit-def: $vgpr16
	s_and_saveexec_b32 s17, s7
	s_delay_alu instid0(SALU_CYCLE_1)
	s_xor_b32 s7, exec_lo, s17
; %bb.404:
	v_bfe_u32 v16, v17, 16, 1
	s_delay_alu instid0(VALU_DEP_1)
	v_add3_u32 v16, v17, v16, 0x7fff
                                        ; implicit-def: $vgpr17
; %bb.405:
	s_and_not1_saveexec_b32 s17, s7
; %bb.406:
	v_and_b32_e32 v16, 0xffff, v17
	v_or_b32_e32 v65, 0x10000, v17
	s_delay_alu instid0(VALU_DEP_2) | instskip(NEXT) | instid1(VALU_DEP_1)
	v_cmp_eq_u32_e64 s7, 0, v16
	v_cndmask_b32_e64 v16, v65, v17, s7
; %bb.407:
	s_or_b32 exec_lo, exec_lo, s17
	v_lshlrev_b32_e32 v17, 16, v52
	s_delay_alu instid0(VALU_DEP_1) | instskip(NEXT) | instid1(VALU_DEP_1)
	v_add_f32_e32 v65, 0, v17
	v_and_b32_e32 v17, 0x7f800000, v65
	s_delay_alu instid0(VALU_DEP_1) | instskip(NEXT) | instid1(VALU_DEP_1)
	v_cmp_ne_u32_e64 s7, 0x7f800000, v17
                                        ; implicit-def: $vgpr17
	s_and_saveexec_b32 s17, s7
	s_delay_alu instid0(SALU_CYCLE_1)
	s_xor_b32 s7, exec_lo, s17
; %bb.408:
	v_bfe_u32 v17, v65, 16, 1
	s_delay_alu instid0(VALU_DEP_1)
	v_add3_u32 v17, v65, v17, 0x7fff
                                        ; implicit-def: $vgpr65
; %bb.409:
	s_and_not1_saveexec_b32 s17, s7
; %bb.410:
	v_and_b32_e32 v17, 0xffff, v65
	v_or_b32_e32 v66, 0x10000, v65
	s_delay_alu instid0(VALU_DEP_2) | instskip(NEXT) | instid1(VALU_DEP_1)
	v_cmp_eq_u32_e64 s7, 0, v17
	v_cndmask_b32_e64 v17, v66, v65, s7
; %bb.411:
	s_or_b32 exec_lo, exec_lo, s17
	v_cmp_lt_i32_e64 s7, -1, v16
	s_delay_alu instid0(VALU_DEP_2) | instskip(NEXT) | instid1(VALU_DEP_2)
	v_perm_b32 v16, v17, v16, 0x7060302
	v_cndmask_b32_e64 v65, -1, 0xffff8000, s7
	v_cmp_lt_i32_e64 s7, -1, v17
	s_delay_alu instid0(VALU_DEP_1) | instskip(NEXT) | instid1(VALU_DEP_1)
	v_cndmask_b32_e64 v66, -1, 0xffff8000, s7
	v_perm_b32 v17, v66, v65, 0x5040100
	s_delay_alu instid0(VALU_DEP_1) | instskip(NEXT) | instid1(VALU_DEP_1)
	v_xor_b32_e32 v16, v17, v16
	v_lshrrev_b32_e32 v17, 16, v16
	s_delay_alu instid0(VALU_DEP_1) | instskip(NEXT) | instid1(VALU_DEP_1)
	v_cmp_le_u16_e64 s7, v16, v17
	s_and_b32 s17, s7, exec_lo
.LBB2066_412:
	s_or_b32 exec_lo, exec_lo, s15
	s_delay_alu instid0(SALU_CYCLE_1)
	s_or_not1_b32 s15, s17, exec_lo
.LBB2066_413:
	s_or_b32 exec_lo, exec_lo, s16
	v_cndmask_b32_e64 v16, v22, v23, s15
	v_cndmask_b32_e64 v17, v30, v21, s15
	s_mov_b32 s17, -1
	s_mov_b32 s16, exec_lo
	s_delay_alu instid0(VALU_DEP_2) | instskip(NEXT) | instid1(VALU_DEP_2)
	v_add_nc_u32_e32 v65, 1, v16
	v_add_nc_u32_e32 v17, -1, v17
	v_lshl_add_u32 v16, v16, 3, v8
	s_delay_alu instid0(VALU_DEP_3) | instskip(NEXT) | instid1(VALU_DEP_3)
	v_cndmask_b32_e64 v22, v65, v22, s15
	v_min_u32_e32 v17, v65, v17
	v_cndmask_b32_e64 v23, v23, v65, s15
	s_delay_alu instid0(VALU_DEP_2)
	v_lshl_add_u32 v17, v17, 1, v12
	ds_load_u16 v66, v17
	ds_load_b64 v[16:17], v16 offset:4096
	s_waitcnt lgkmcnt(1)
	v_cndmask_b32_e64 v65, v66, v52, s15
	v_cndmask_b32_e64 v66, v64, v66, s15
	v_cmpx_lt_u32_e64 v22, v30
	s_cbranch_execz .LBB2066_425
; %bb.414:
	s_mov_b32 s18, 0
	s_mov_b32 s17, exec_lo
	v_cmpx_lt_u32_e64 v23, v21
	s_cbranch_execz .LBB2066_424
; %bb.415:
	v_lshlrev_b32_e32 v21, 16, v66
	s_delay_alu instid0(VALU_DEP_1) | instskip(NEXT) | instid1(VALU_DEP_1)
	v_add_f32_e32 v30, 0, v21
	v_and_b32_e32 v21, 0x7f800000, v30
	s_delay_alu instid0(VALU_DEP_1) | instskip(NEXT) | instid1(VALU_DEP_1)
	v_cmp_ne_u32_e64 s7, 0x7f800000, v21
                                        ; implicit-def: $vgpr21
	s_and_saveexec_b32 s18, s7
	s_delay_alu instid0(SALU_CYCLE_1)
	s_xor_b32 s7, exec_lo, s18
; %bb.416:
	v_bfe_u32 v21, v30, 16, 1
	s_delay_alu instid0(VALU_DEP_1)
	v_add3_u32 v21, v30, v21, 0x7fff
                                        ; implicit-def: $vgpr30
; %bb.417:
	s_and_not1_saveexec_b32 s18, s7
; %bb.418:
	v_and_b32_e32 v21, 0xffff, v30
	v_or_b32_e32 v67, 0x10000, v30
	s_delay_alu instid0(VALU_DEP_2) | instskip(NEXT) | instid1(VALU_DEP_1)
	v_cmp_eq_u32_e64 s7, 0, v21
	v_cndmask_b32_e64 v21, v67, v30, s7
; %bb.419:
	s_or_b32 exec_lo, exec_lo, s18
	v_lshlrev_b32_e32 v30, 16, v65
	s_delay_alu instid0(VALU_DEP_1) | instskip(NEXT) | instid1(VALU_DEP_1)
	v_add_f32_e32 v67, 0, v30
	v_and_b32_e32 v30, 0x7f800000, v67
	s_delay_alu instid0(VALU_DEP_1) | instskip(NEXT) | instid1(VALU_DEP_1)
	v_cmp_ne_u32_e64 s7, 0x7f800000, v30
                                        ; implicit-def: $vgpr30
	s_and_saveexec_b32 s18, s7
	s_delay_alu instid0(SALU_CYCLE_1)
	s_xor_b32 s7, exec_lo, s18
; %bb.420:
	v_bfe_u32 v30, v67, 16, 1
	s_delay_alu instid0(VALU_DEP_1)
	v_add3_u32 v30, v67, v30, 0x7fff
                                        ; implicit-def: $vgpr67
; %bb.421:
	s_and_not1_saveexec_b32 s18, s7
; %bb.422:
	v_and_b32_e32 v30, 0xffff, v67
	v_or_b32_e32 v68, 0x10000, v67
	s_delay_alu instid0(VALU_DEP_2) | instskip(NEXT) | instid1(VALU_DEP_1)
	v_cmp_eq_u32_e64 s7, 0, v30
	v_cndmask_b32_e64 v30, v68, v67, s7
; %bb.423:
	s_or_b32 exec_lo, exec_lo, s18
	v_cmp_lt_i32_e64 s7, -1, v21
	s_delay_alu instid0(VALU_DEP_2) | instskip(NEXT) | instid1(VALU_DEP_2)
	v_perm_b32 v21, v30, v21, 0x7060302
	v_cndmask_b32_e64 v67, -1, 0xffff8000, s7
	v_cmp_lt_i32_e64 s7, -1, v30
	s_delay_alu instid0(VALU_DEP_1) | instskip(NEXT) | instid1(VALU_DEP_1)
	v_cndmask_b32_e64 v68, -1, 0xffff8000, s7
	v_perm_b32 v30, v68, v67, 0x5040100
	s_delay_alu instid0(VALU_DEP_1) | instskip(NEXT) | instid1(VALU_DEP_1)
	v_xor_b32_e32 v21, v30, v21
	v_lshrrev_b32_e32 v30, 16, v21
	s_delay_alu instid0(VALU_DEP_1) | instskip(NEXT) | instid1(VALU_DEP_1)
	v_cmp_le_u16_e64 s7, v21, v30
	s_and_b32 s18, s7, exec_lo
.LBB2066_424:
	s_or_b32 exec_lo, exec_lo, s17
	s_delay_alu instid0(SALU_CYCLE_1)
	s_or_not1_b32 s17, s18, exec_lo
.LBB2066_425:
	s_or_b32 exec_lo, exec_lo, s16
	v_cndmask_b32_e64 v21, v22, v23, s17
	v_cndmask_b32_e64 v52, v52, v64, s15
	;; [unrolled: 1-line block ×5, first 2 shown]
	v_lshl_add_u32 v21, v21, 3, v8
	v_cndmask_b32_e64 v50, v39, v49, s11
	v_cndmask_b32_e64 v49, v33, v38, s8
	;; [unrolled: 1-line block ×4, first 2 shown]
	ds_load_b64 v[22:23], v21 offset:4096
.LBB2066_426:
	s_or_b32 exec_lo, exec_lo, s9
	v_and_b32_e32 v31, 0xe0, v37
	v_and_b32_e32 v32, 24, v37
	v_perm_b32 v65, v39, v52, 0x5040100
	v_perm_b32 v64, v48, v51, 0x5040100
	;; [unrolled: 1-line block ×3, first 2 shown]
	v_or_b32_e32 v21, 16, v31
	v_min_u32_e32 v54, v13, v32
	v_perm_b32 v66, v49, v38, 0x5040100
	s_mov_b32 s8, exec_lo
	s_delay_alu instid0(VALU_DEP_3)
	v_min_u32_e32 v21, v13, v21
	; wave barrier
	ds_store_2addr_b64 v20, v[26:27], v[14:15] offset0:2 offset1:3
	ds_store_2addr_b64 v20, v[28:29], v[18:19] offset0:4 offset1:5
	ds_store_2addr_b64 v20, v[4:5], v[10:11] offset1:1
	ds_store_2addr_b64 v9, v[66:67], v[64:65] offset1:1
	s_waitcnt lgkmcnt(4)
	ds_store_2addr_b64 v20, v[16:17], v[22:23] offset0:6 offset1:7
	v_add_nc_u32_e32 v30, 16, v21
	v_sub_nc_u32_e32 v32, v21, v31
	; wave barrier
	s_delay_alu instid0(VALU_DEP_2) | instskip(NEXT) | instid1(VALU_DEP_2)
	v_min_u32_e32 v30, v13, v30
	v_min_u32_e32 v55, v54, v32
	s_delay_alu instid0(VALU_DEP_2) | instskip(NEXT) | instid1(VALU_DEP_1)
	v_sub_nc_u32_e32 v33, v30, v21
	v_sub_nc_u32_e64 v32, v54, v33 clamp
	v_lshl_add_u32 v33, v31, 1, v12
	s_delay_alu instid0(VALU_DEP_2)
	v_cmpx_lt_u32_e64 v32, v55
	s_cbranch_execz .LBB2066_438
; %bb.427:
	v_lshlrev_b32_e32 v64, 1, v21
	v_lshlrev_b32_e32 v65, 1, v54
	s_mov_b32 s9, 0
	s_delay_alu instid0(VALU_DEP_1)
	v_add3_u32 v64, v12, v64, v65
	s_branch .LBB2066_429
.LBB2066_428:                           ;   in Loop: Header=BB2066_429 Depth=1
	s_or_b32 exec_lo, exec_lo, s10
	v_cmp_lt_i32_e64 s7, -1, v66
	v_lshrrev_b32_e32 v68, 16, v66
	v_lshrrev_b32_e32 v69, 16, v67
	s_delay_alu instid0(VALU_DEP_3) | instskip(SKIP_1) | instid1(VALU_DEP_2)
	v_cndmask_b32_e64 v66, -1, 0xffff8000, s7
	v_cmp_lt_i32_e64 s7, -1, v67
	v_xor_b32_e32 v66, v66, v68
	s_delay_alu instid0(VALU_DEP_2) | instskip(SKIP_1) | instid1(VALU_DEP_2)
	v_cndmask_b32_e64 v67, -1, 0xffff8000, s7
	v_add_nc_u32_e32 v68, 1, v65
	v_xor_b32_e32 v67, v67, v69
	s_delay_alu instid0(VALU_DEP_1) | instskip(NEXT) | instid1(VALU_DEP_1)
	v_cmp_gt_u16_e64 s7, v66, v67
	v_cndmask_b32_e64 v55, v55, v65, s7
	s_delay_alu instid0(VALU_DEP_4) | instskip(NEXT) | instid1(VALU_DEP_1)
	v_cndmask_b32_e64 v32, v68, v32, s7
	v_cmp_ge_u32_e64 s7, v32, v55
	s_delay_alu instid0(VALU_DEP_1) | instskip(NEXT) | instid1(SALU_CYCLE_1)
	s_or_b32 s9, s7, s9
	s_and_not1_b32 exec_lo, exec_lo, s9
	s_cbranch_execz .LBB2066_437
.LBB2066_429:                           ; =>This Inner Loop Header: Depth=1
	v_add_nc_u32_e32 v65, v55, v32
	s_delay_alu instid0(VALU_DEP_1) | instskip(SKIP_1) | instid1(VALU_DEP_2)
	v_and_b32_e32 v66, -2, v65
	v_lshrrev_b32_e32 v65, 1, v65
	v_add_nc_u32_e32 v66, v33, v66
	s_delay_alu instid0(VALU_DEP_2)
	v_not_b32_e32 v67, v65
	ds_load_u16 v66, v66
	v_lshl_add_u32 v67, v67, 1, v64
	ds_load_u16 v67, v67
	s_waitcnt lgkmcnt(1)
	v_lshlrev_b32_e32 v66, 16, v66
	s_delay_alu instid0(VALU_DEP_1) | instskip(NEXT) | instid1(VALU_DEP_1)
	v_add_f32_e32 v68, 0, v66
	v_and_b32_e32 v66, 0x7f800000, v68
	s_delay_alu instid0(VALU_DEP_1) | instskip(NEXT) | instid1(VALU_DEP_1)
	v_cmp_ne_u32_e64 s7, 0x7f800000, v66
                                        ; implicit-def: $vgpr66
	s_and_saveexec_b32 s10, s7
	s_delay_alu instid0(SALU_CYCLE_1)
	s_xor_b32 s7, exec_lo, s10
; %bb.430:                              ;   in Loop: Header=BB2066_429 Depth=1
	v_bfe_u32 v66, v68, 16, 1
	s_delay_alu instid0(VALU_DEP_1)
	v_add3_u32 v66, v68, v66, 0x7fff
                                        ; implicit-def: $vgpr68
; %bb.431:                              ;   in Loop: Header=BB2066_429 Depth=1
	s_and_not1_saveexec_b32 s10, s7
; %bb.432:                              ;   in Loop: Header=BB2066_429 Depth=1
	v_and_b32_e32 v66, 0xffff, v68
	v_or_b32_e32 v69, 0x10000, v68
	s_delay_alu instid0(VALU_DEP_2) | instskip(NEXT) | instid1(VALU_DEP_1)
	v_cmp_eq_u32_e64 s7, 0, v66
	v_cndmask_b32_e64 v66, v69, v68, s7
; %bb.433:                              ;   in Loop: Header=BB2066_429 Depth=1
	s_or_b32 exec_lo, exec_lo, s10
	s_waitcnt lgkmcnt(0)
	v_lshlrev_b32_e32 v67, 16, v67
	s_delay_alu instid0(VALU_DEP_1) | instskip(NEXT) | instid1(VALU_DEP_1)
	v_add_f32_e32 v68, 0, v67
	v_and_b32_e32 v67, 0x7f800000, v68
	s_delay_alu instid0(VALU_DEP_1) | instskip(NEXT) | instid1(VALU_DEP_1)
	v_cmp_ne_u32_e64 s7, 0x7f800000, v67
                                        ; implicit-def: $vgpr67
	s_and_saveexec_b32 s10, s7
	s_delay_alu instid0(SALU_CYCLE_1)
	s_xor_b32 s7, exec_lo, s10
; %bb.434:                              ;   in Loop: Header=BB2066_429 Depth=1
	v_bfe_u32 v67, v68, 16, 1
	s_delay_alu instid0(VALU_DEP_1)
	v_add3_u32 v67, v68, v67, 0x7fff
                                        ; implicit-def: $vgpr68
; %bb.435:                              ;   in Loop: Header=BB2066_429 Depth=1
	s_and_not1_saveexec_b32 s10, s7
	s_cbranch_execz .LBB2066_428
; %bb.436:                              ;   in Loop: Header=BB2066_429 Depth=1
	v_and_b32_e32 v67, 0xffff, v68
	v_or_b32_e32 v69, 0x10000, v68
	s_delay_alu instid0(VALU_DEP_2) | instskip(NEXT) | instid1(VALU_DEP_1)
	v_cmp_eq_u32_e64 s7, 0, v67
	v_cndmask_b32_e64 v67, v69, v68, s7
	s_branch .LBB2066_428
.LBB2066_437:
	s_or_b32 exec_lo, exec_lo, s9
.LBB2066_438:
	s_delay_alu instid0(SALU_CYCLE_1) | instskip(SKIP_2) | instid1(VALU_DEP_2)
	s_or_b32 exec_lo, exec_lo, s8
	v_add_nc_u32_e32 v55, v21, v54
	v_add_nc_u32_e32 v54, v32, v31
	v_sub_nc_u32_e32 v55, v55, v32
	s_delay_alu instid0(VALU_DEP_2) | instskip(NEXT) | instid1(VALU_DEP_2)
	v_cmp_le_u32_e64 s7, v54, v21
	v_cmp_le_u32_e64 s8, v55, v30
	s_delay_alu instid0(VALU_DEP_1) | instskip(NEXT) | instid1(SALU_CYCLE_1)
	s_or_b32 s7, s7, s8
	s_and_saveexec_b32 s9, s7
	s_cbranch_execz .LBB2066_538
; %bb.439:
	v_cmp_ge_u32_e64 s7, v54, v21
	s_mov_b32 s10, exec_lo
                                        ; implicit-def: $vgpr31
	v_cmpx_lt_u32_e64 v54, v21
	s_cbranch_execz .LBB2066_441
; %bb.440:
	v_lshl_add_u32 v4, v32, 1, v33
	ds_load_u16 v31, v4
.LBB2066_441:
	s_or_b32 exec_lo, exec_lo, s10
	v_cmp_ge_u32_e64 s10, v55, v30
	s_mov_b32 s11, exec_lo
                                        ; implicit-def: $vgpr32
	v_cmpx_lt_u32_e64 v55, v30
	s_cbranch_execz .LBB2066_443
; %bb.442:
	v_lshl_add_u32 v4, v55, 1, v12
	ds_load_u16 v32, v4
.LBB2066_443:
	s_or_b32 exec_lo, exec_lo, s11
	s_or_b32 s7, s7, s10
	s_delay_alu instid0(SALU_CYCLE_1) | instskip(NEXT) | instid1(SALU_CYCLE_1)
	s_xor_b32 s7, s7, -1
	s_and_saveexec_b32 s8, s7
	s_cbranch_execz .LBB2066_453
; %bb.444:
	s_waitcnt lgkmcnt(0)
	v_lshlrev_b32_e32 v4, 16, v31
	s_delay_alu instid0(VALU_DEP_1) | instskip(NEXT) | instid1(VALU_DEP_1)
	v_add_f32_e32 v5, 0, v4
	v_and_b32_e32 v4, 0x7f800000, v5
	s_delay_alu instid0(VALU_DEP_1) | instskip(NEXT) | instid1(VALU_DEP_1)
	v_cmp_ne_u32_e64 s7, 0x7f800000, v4
                                        ; implicit-def: $vgpr4
	s_and_saveexec_b32 s11, s7
	s_delay_alu instid0(SALU_CYCLE_1)
	s_xor_b32 s7, exec_lo, s11
; %bb.445:
	v_bfe_u32 v4, v5, 16, 1
	s_delay_alu instid0(VALU_DEP_1)
	v_add3_u32 v4, v5, v4, 0x7fff
                                        ; implicit-def: $vgpr5
; %bb.446:
	s_and_not1_saveexec_b32 s11, s7
; %bb.447:
	v_and_b32_e32 v4, 0xffff, v5
	v_or_b32_e32 v10, 0x10000, v5
	s_delay_alu instid0(VALU_DEP_2) | instskip(NEXT) | instid1(VALU_DEP_1)
	v_cmp_eq_u32_e64 s7, 0, v4
	v_cndmask_b32_e64 v4, v10, v5, s7
; %bb.448:
	s_or_b32 exec_lo, exec_lo, s11
	v_lshlrev_b32_e32 v5, 16, v32
	s_delay_alu instid0(VALU_DEP_1) | instskip(NEXT) | instid1(VALU_DEP_1)
	v_add_f32_e32 v10, 0, v5
	v_and_b32_e32 v5, 0x7f800000, v10
	s_delay_alu instid0(VALU_DEP_1) | instskip(NEXT) | instid1(VALU_DEP_1)
	v_cmp_ne_u32_e64 s7, 0x7f800000, v5
                                        ; implicit-def: $vgpr5
	s_and_saveexec_b32 s11, s7
	s_delay_alu instid0(SALU_CYCLE_1)
	s_xor_b32 s7, exec_lo, s11
; %bb.449:
	v_bfe_u32 v5, v10, 16, 1
	s_delay_alu instid0(VALU_DEP_1)
	v_add3_u32 v5, v10, v5, 0x7fff
                                        ; implicit-def: $vgpr10
; %bb.450:
	s_and_not1_saveexec_b32 s11, s7
; %bb.451:
	v_and_b32_e32 v5, 0xffff, v10
	v_or_b32_e32 v11, 0x10000, v10
	s_delay_alu instid0(VALU_DEP_2) | instskip(NEXT) | instid1(VALU_DEP_1)
	v_cmp_eq_u32_e64 s7, 0, v5
	v_cndmask_b32_e64 v5, v11, v10, s7
; %bb.452:
	s_or_b32 exec_lo, exec_lo, s11
	v_cmp_lt_i32_e64 s7, -1, v4
	s_delay_alu instid0(VALU_DEP_2) | instskip(SKIP_1) | instid1(VALU_DEP_2)
	v_perm_b32 v4, v5, v4, 0x7060302
	s_and_not1_b32 s10, s10, exec_lo
	v_cndmask_b32_e64 v10, -1, 0xffff8000, s7
	v_cmp_lt_i32_e64 s7, -1, v5
	s_delay_alu instid0(VALU_DEP_1) | instskip(NEXT) | instid1(VALU_DEP_1)
	v_cndmask_b32_e64 v11, -1, 0xffff8000, s7
	v_perm_b32 v5, v11, v10, 0x5040100
	s_delay_alu instid0(VALU_DEP_1) | instskip(NEXT) | instid1(VALU_DEP_1)
	v_xor_b32_e32 v4, v5, v4
	v_lshrrev_b32_e32 v5, 16, v4
	s_delay_alu instid0(VALU_DEP_1) | instskip(NEXT) | instid1(VALU_DEP_1)
	v_cmp_le_u16_e64 s7, v4, v5
	s_and_b32 s7, s7, exec_lo
	s_delay_alu instid0(SALU_CYCLE_1)
	s_or_b32 s10, s10, s7
.LBB2066_453:
	s_or_b32 exec_lo, exec_lo, s8
	v_cndmask_b32_e64 v4, v55, v54, s10
	v_cndmask_b32_e64 v5, v30, v21, s10
	s_mov_b32 s11, -1
	s_mov_b32 s8, -1
	s_mov_b32 s12, exec_lo
	v_add_nc_u32_e32 v10, 1, v4
	v_add_nc_u32_e32 v5, -1, v5
	v_lshl_add_u32 v4, v4, 3, v8
	s_delay_alu instid0(VALU_DEP_3) | instskip(NEXT) | instid1(VALU_DEP_3)
	v_cndmask_b32_e64 v14, v10, v55, s10
	v_min_u32_e32 v5, v10, v5
	v_cndmask_b32_e64 v15, v54, v10, s10
	s_delay_alu instid0(VALU_DEP_2)
	v_lshl_add_u32 v5, v5, 1, v12
	ds_load_u16 v11, v5
	ds_load_b64 v[4:5], v4 offset:4096
	s_waitcnt lgkmcnt(1)
	v_cndmask_b32_e64 v33, v11, v32, s10
	v_cndmask_b32_e64 v38, v31, v11, s10
	v_cmpx_lt_u32_e64 v14, v30
	s_cbranch_execz .LBB2066_465
; %bb.454:
	s_mov_b32 s13, 0
	s_mov_b32 s8, exec_lo
	v_cmpx_lt_u32_e64 v15, v21
	s_cbranch_execz .LBB2066_464
; %bb.455:
	v_lshlrev_b32_e32 v10, 16, v38
	s_delay_alu instid0(VALU_DEP_1) | instskip(NEXT) | instid1(VALU_DEP_1)
	v_add_f32_e32 v11, 0, v10
	v_and_b32_e32 v10, 0x7f800000, v11
	s_delay_alu instid0(VALU_DEP_1) | instskip(NEXT) | instid1(VALU_DEP_1)
	v_cmp_ne_u32_e64 s7, 0x7f800000, v10
                                        ; implicit-def: $vgpr10
	s_and_saveexec_b32 s13, s7
	s_delay_alu instid0(SALU_CYCLE_1)
	s_xor_b32 s7, exec_lo, s13
; %bb.456:
	v_bfe_u32 v10, v11, 16, 1
	s_delay_alu instid0(VALU_DEP_1)
	v_add3_u32 v10, v11, v10, 0x7fff
                                        ; implicit-def: $vgpr11
; %bb.457:
	s_and_not1_saveexec_b32 s13, s7
; %bb.458:
	v_and_b32_e32 v10, 0xffff, v11
	v_or_b32_e32 v16, 0x10000, v11
	s_delay_alu instid0(VALU_DEP_2) | instskip(NEXT) | instid1(VALU_DEP_1)
	v_cmp_eq_u32_e64 s7, 0, v10
	v_cndmask_b32_e64 v10, v16, v11, s7
; %bb.459:
	s_or_b32 exec_lo, exec_lo, s13
	v_lshlrev_b32_e32 v11, 16, v33
	s_delay_alu instid0(VALU_DEP_1) | instskip(NEXT) | instid1(VALU_DEP_1)
	v_add_f32_e32 v16, 0, v11
	v_and_b32_e32 v11, 0x7f800000, v16
	s_delay_alu instid0(VALU_DEP_1) | instskip(NEXT) | instid1(VALU_DEP_1)
	v_cmp_ne_u32_e64 s7, 0x7f800000, v11
                                        ; implicit-def: $vgpr11
	s_and_saveexec_b32 s13, s7
	s_delay_alu instid0(SALU_CYCLE_1)
	s_xor_b32 s7, exec_lo, s13
; %bb.460:
	v_bfe_u32 v11, v16, 16, 1
	s_delay_alu instid0(VALU_DEP_1)
	v_add3_u32 v11, v16, v11, 0x7fff
                                        ; implicit-def: $vgpr16
; %bb.461:
	s_and_not1_saveexec_b32 s13, s7
; %bb.462:
	v_and_b32_e32 v11, 0xffff, v16
	v_or_b32_e32 v17, 0x10000, v16
	s_delay_alu instid0(VALU_DEP_2) | instskip(NEXT) | instid1(VALU_DEP_1)
	v_cmp_eq_u32_e64 s7, 0, v11
	v_cndmask_b32_e64 v11, v17, v16, s7
; %bb.463:
	s_or_b32 exec_lo, exec_lo, s13
	v_cmp_lt_i32_e64 s7, -1, v10
	s_delay_alu instid0(VALU_DEP_2) | instskip(NEXT) | instid1(VALU_DEP_2)
	v_perm_b32 v10, v11, v10, 0x7060302
	v_cndmask_b32_e64 v16, -1, 0xffff8000, s7
	v_cmp_lt_i32_e64 s7, -1, v11
	s_delay_alu instid0(VALU_DEP_1) | instskip(NEXT) | instid1(VALU_DEP_1)
	v_cndmask_b32_e64 v17, -1, 0xffff8000, s7
	v_perm_b32 v11, v17, v16, 0x5040100
	s_delay_alu instid0(VALU_DEP_1) | instskip(NEXT) | instid1(VALU_DEP_1)
	v_xor_b32_e32 v10, v11, v10
	v_lshrrev_b32_e32 v11, 16, v10
	s_delay_alu instid0(VALU_DEP_1) | instskip(NEXT) | instid1(VALU_DEP_1)
	v_cmp_le_u16_e64 s7, v10, v11
	s_and_b32 s13, s7, exec_lo
.LBB2066_464:
	s_or_b32 exec_lo, exec_lo, s8
	s_delay_alu instid0(SALU_CYCLE_1)
	s_or_not1_b32 s8, s13, exec_lo
.LBB2066_465:
	s_or_b32 exec_lo, exec_lo, s12
	v_cndmask_b32_e64 v10, v14, v15, s8
	v_cndmask_b32_e64 v11, v30, v21, s8
	s_mov_b32 s12, exec_lo
	s_delay_alu instid0(VALU_DEP_2) | instskip(NEXT) | instid1(VALU_DEP_2)
	v_add_nc_u32_e32 v16, 1, v10
	v_add_nc_u32_e32 v11, -1, v11
	v_lshl_add_u32 v10, v10, 3, v8
	s_delay_alu instid0(VALU_DEP_3) | instskip(NEXT) | instid1(VALU_DEP_3)
	v_cndmask_b32_e64 v14, v16, v14, s8
	v_min_u32_e32 v11, v16, v11
	v_cndmask_b32_e64 v15, v15, v16, s8
	s_delay_alu instid0(VALU_DEP_2)
	v_lshl_add_u32 v11, v11, 1, v12
	ds_load_u16 v17, v11
	ds_load_b64 v[10:11], v10 offset:4096
	s_waitcnt lgkmcnt(1)
	v_cndmask_b32_e64 v39, v17, v33, s8
	v_cndmask_b32_e64 v49, v38, v17, s8
	v_cmpx_lt_u32_e64 v14, v30
	s_cbranch_execz .LBB2066_477
; %bb.466:
	s_mov_b32 s13, 0
	s_mov_b32 s11, exec_lo
	v_cmpx_lt_u32_e64 v15, v21
	s_cbranch_execz .LBB2066_476
; %bb.467:
	v_lshlrev_b32_e32 v16, 16, v49
	s_delay_alu instid0(VALU_DEP_1) | instskip(NEXT) | instid1(VALU_DEP_1)
	v_add_f32_e32 v17, 0, v16
	v_and_b32_e32 v16, 0x7f800000, v17
	s_delay_alu instid0(VALU_DEP_1) | instskip(NEXT) | instid1(VALU_DEP_1)
	v_cmp_ne_u32_e64 s7, 0x7f800000, v16
                                        ; implicit-def: $vgpr16
	s_and_saveexec_b32 s13, s7
	s_delay_alu instid0(SALU_CYCLE_1)
	s_xor_b32 s7, exec_lo, s13
; %bb.468:
	v_bfe_u32 v16, v17, 16, 1
	s_delay_alu instid0(VALU_DEP_1)
	v_add3_u32 v16, v17, v16, 0x7fff
                                        ; implicit-def: $vgpr17
; %bb.469:
	s_and_not1_saveexec_b32 s13, s7
; %bb.470:
	v_and_b32_e32 v16, 0xffff, v17
	v_or_b32_e32 v18, 0x10000, v17
	s_delay_alu instid0(VALU_DEP_2) | instskip(NEXT) | instid1(VALU_DEP_1)
	v_cmp_eq_u32_e64 s7, 0, v16
	v_cndmask_b32_e64 v16, v18, v17, s7
; %bb.471:
	s_or_b32 exec_lo, exec_lo, s13
	v_lshlrev_b32_e32 v17, 16, v39
	s_delay_alu instid0(VALU_DEP_1) | instskip(NEXT) | instid1(VALU_DEP_1)
	v_add_f32_e32 v18, 0, v17
	v_and_b32_e32 v17, 0x7f800000, v18
	s_delay_alu instid0(VALU_DEP_1) | instskip(NEXT) | instid1(VALU_DEP_1)
	v_cmp_ne_u32_e64 s7, 0x7f800000, v17
                                        ; implicit-def: $vgpr17
	s_and_saveexec_b32 s13, s7
	s_delay_alu instid0(SALU_CYCLE_1)
	s_xor_b32 s7, exec_lo, s13
; %bb.472:
	v_bfe_u32 v17, v18, 16, 1
	s_delay_alu instid0(VALU_DEP_1)
	v_add3_u32 v17, v18, v17, 0x7fff
                                        ; implicit-def: $vgpr18
; %bb.473:
	s_and_not1_saveexec_b32 s13, s7
; %bb.474:
	v_and_b32_e32 v17, 0xffff, v18
	v_or_b32_e32 v19, 0x10000, v18
	s_delay_alu instid0(VALU_DEP_2) | instskip(NEXT) | instid1(VALU_DEP_1)
	v_cmp_eq_u32_e64 s7, 0, v17
	v_cndmask_b32_e64 v17, v19, v18, s7
; %bb.475:
	s_or_b32 exec_lo, exec_lo, s13
	v_cmp_lt_i32_e64 s7, -1, v16
	s_delay_alu instid0(VALU_DEP_2) | instskip(NEXT) | instid1(VALU_DEP_2)
	v_perm_b32 v16, v17, v16, 0x7060302
	v_cndmask_b32_e64 v18, -1, 0xffff8000, s7
	v_cmp_lt_i32_e64 s7, -1, v17
	s_delay_alu instid0(VALU_DEP_1) | instskip(NEXT) | instid1(VALU_DEP_1)
	v_cndmask_b32_e64 v19, -1, 0xffff8000, s7
	v_perm_b32 v17, v19, v18, 0x5040100
	s_delay_alu instid0(VALU_DEP_1) | instskip(NEXT) | instid1(VALU_DEP_1)
	v_xor_b32_e32 v16, v17, v16
	v_lshrrev_b32_e32 v17, 16, v16
	s_delay_alu instid0(VALU_DEP_1) | instskip(NEXT) | instid1(VALU_DEP_1)
	v_cmp_le_u16_e64 s7, v16, v17
	s_and_b32 s13, s7, exec_lo
.LBB2066_476:
	s_or_b32 exec_lo, exec_lo, s11
	s_delay_alu instid0(SALU_CYCLE_1)
	s_or_not1_b32 s11, s13, exec_lo
.LBB2066_477:
	s_or_b32 exec_lo, exec_lo, s12
	v_cndmask_b32_e64 v16, v14, v15, s11
	v_cndmask_b32_e64 v17, v30, v21, s11
	s_mov_b32 s13, -1
	s_mov_b32 s12, -1
	s_mov_b32 s14, exec_lo
	v_add_nc_u32_e32 v18, 1, v16
	v_add_nc_u32_e32 v17, -1, v17
	v_lshl_add_u32 v16, v16, 3, v8
	s_delay_alu instid0(VALU_DEP_2)
	v_min_u32_e32 v17, v18, v17
	ds_load_b64 v[26:27], v16 offset:4096
	v_cndmask_b32_e64 v16, v18, v14, s11
	v_lshl_add_u32 v17, v17, 1, v12
	ds_load_u16 v19, v17
	v_cndmask_b32_e64 v17, v15, v18, s11
	s_waitcnt lgkmcnt(0)
	v_cndmask_b32_e64 v50, v19, v39, s11
	v_cndmask_b32_e64 v53, v49, v19, s11
	v_cmpx_lt_u32_e64 v16, v30
	s_cbranch_execz .LBB2066_489
; %bb.478:
	s_mov_b32 s15, 0
	s_mov_b32 s12, exec_lo
	v_cmpx_lt_u32_e64 v17, v21
	s_cbranch_execz .LBB2066_488
; %bb.479:
	v_lshlrev_b32_e32 v14, 16, v53
	s_delay_alu instid0(VALU_DEP_1) | instskip(NEXT) | instid1(VALU_DEP_1)
	v_add_f32_e32 v15, 0, v14
	v_and_b32_e32 v14, 0x7f800000, v15
	s_delay_alu instid0(VALU_DEP_1) | instskip(NEXT) | instid1(VALU_DEP_1)
	v_cmp_ne_u32_e64 s7, 0x7f800000, v14
                                        ; implicit-def: $vgpr14
	s_and_saveexec_b32 s15, s7
	s_delay_alu instid0(SALU_CYCLE_1)
	s_xor_b32 s7, exec_lo, s15
; %bb.480:
	v_bfe_u32 v14, v15, 16, 1
	s_delay_alu instid0(VALU_DEP_1)
	v_add3_u32 v14, v15, v14, 0x7fff
                                        ; implicit-def: $vgpr15
; %bb.481:
	s_and_not1_saveexec_b32 s15, s7
; %bb.482:
	v_and_b32_e32 v14, 0xffff, v15
	v_or_b32_e32 v18, 0x10000, v15
	s_delay_alu instid0(VALU_DEP_2) | instskip(NEXT) | instid1(VALU_DEP_1)
	v_cmp_eq_u32_e64 s7, 0, v14
	v_cndmask_b32_e64 v14, v18, v15, s7
; %bb.483:
	s_or_b32 exec_lo, exec_lo, s15
	v_lshlrev_b32_e32 v15, 16, v50
	s_delay_alu instid0(VALU_DEP_1) | instskip(NEXT) | instid1(VALU_DEP_1)
	v_add_f32_e32 v18, 0, v15
	v_and_b32_e32 v15, 0x7f800000, v18
	s_delay_alu instid0(VALU_DEP_1) | instskip(NEXT) | instid1(VALU_DEP_1)
	v_cmp_ne_u32_e64 s7, 0x7f800000, v15
                                        ; implicit-def: $vgpr15
	s_and_saveexec_b32 s15, s7
	s_delay_alu instid0(SALU_CYCLE_1)
	s_xor_b32 s7, exec_lo, s15
; %bb.484:
	v_bfe_u32 v15, v18, 16, 1
	s_delay_alu instid0(VALU_DEP_1)
	v_add3_u32 v15, v18, v15, 0x7fff
                                        ; implicit-def: $vgpr18
; %bb.485:
	s_and_not1_saveexec_b32 s15, s7
; %bb.486:
	v_and_b32_e32 v15, 0xffff, v18
	v_or_b32_e32 v19, 0x10000, v18
	s_delay_alu instid0(VALU_DEP_2) | instskip(NEXT) | instid1(VALU_DEP_1)
	v_cmp_eq_u32_e64 s7, 0, v15
	v_cndmask_b32_e64 v15, v19, v18, s7
; %bb.487:
	s_or_b32 exec_lo, exec_lo, s15
	v_cmp_lt_i32_e64 s7, -1, v14
	s_delay_alu instid0(VALU_DEP_2) | instskip(NEXT) | instid1(VALU_DEP_2)
	v_perm_b32 v14, v15, v14, 0x7060302
	v_cndmask_b32_e64 v18, -1, 0xffff8000, s7
	v_cmp_lt_i32_e64 s7, -1, v15
	s_delay_alu instid0(VALU_DEP_1) | instskip(NEXT) | instid1(VALU_DEP_1)
	v_cndmask_b32_e64 v19, -1, 0xffff8000, s7
	v_perm_b32 v15, v19, v18, 0x5040100
	s_delay_alu instid0(VALU_DEP_1) | instskip(NEXT) | instid1(VALU_DEP_1)
	v_xor_b32_e32 v14, v15, v14
	v_lshrrev_b32_e32 v15, 16, v14
	s_delay_alu instid0(VALU_DEP_1) | instskip(NEXT) | instid1(VALU_DEP_1)
	v_cmp_le_u16_e64 s7, v14, v15
	s_and_b32 s15, s7, exec_lo
.LBB2066_488:
	s_or_b32 exec_lo, exec_lo, s12
	s_delay_alu instid0(SALU_CYCLE_1)
	s_or_not1_b32 s12, s15, exec_lo
.LBB2066_489:
	s_or_b32 exec_lo, exec_lo, s14
	v_cndmask_b32_e64 v14, v16, v17, s12
	v_cndmask_b32_e64 v15, v30, v21, s12
	s_mov_b32 s14, exec_lo
	s_delay_alu instid0(VALU_DEP_2) | instskip(NEXT) | instid1(VALU_DEP_2)
	v_add_nc_u32_e32 v18, 1, v14
	v_add_nc_u32_e32 v15, -1, v15
	v_lshl_add_u32 v14, v14, 3, v8
	s_delay_alu instid0(VALU_DEP_3) | instskip(NEXT) | instid1(VALU_DEP_3)
	v_cndmask_b32_e64 v16, v18, v16, s12
	v_min_u32_e32 v15, v18, v15
	v_cndmask_b32_e64 v17, v17, v18, s12
	s_delay_alu instid0(VALU_DEP_2)
	v_lshl_add_u32 v15, v15, 1, v12
	ds_load_u16 v19, v15
	ds_load_b64 v[14:15], v14 offset:4096
	s_waitcnt lgkmcnt(1)
	v_cndmask_b32_e64 v51, v19, v50, s12
	v_cndmask_b32_e64 v54, v53, v19, s12
	v_cmpx_lt_u32_e64 v16, v30
	s_cbranch_execz .LBB2066_501
; %bb.490:
	s_mov_b32 s15, 0
	s_mov_b32 s13, exec_lo
	v_cmpx_lt_u32_e64 v17, v21
	s_cbranch_execz .LBB2066_500
; %bb.491:
	v_lshlrev_b32_e32 v18, 16, v54
	s_delay_alu instid0(VALU_DEP_1) | instskip(NEXT) | instid1(VALU_DEP_1)
	v_add_f32_e32 v19, 0, v18
	v_and_b32_e32 v18, 0x7f800000, v19
	s_delay_alu instid0(VALU_DEP_1) | instskip(NEXT) | instid1(VALU_DEP_1)
	v_cmp_ne_u32_e64 s7, 0x7f800000, v18
                                        ; implicit-def: $vgpr18
	s_and_saveexec_b32 s15, s7
	s_delay_alu instid0(SALU_CYCLE_1)
	s_xor_b32 s7, exec_lo, s15
; %bb.492:
	v_bfe_u32 v18, v19, 16, 1
	s_delay_alu instid0(VALU_DEP_1)
	v_add3_u32 v18, v19, v18, 0x7fff
                                        ; implicit-def: $vgpr19
; %bb.493:
	s_and_not1_saveexec_b32 s15, s7
; %bb.494:
	v_and_b32_e32 v18, 0xffff, v19
	v_or_b32_e32 v22, 0x10000, v19
	s_delay_alu instid0(VALU_DEP_2) | instskip(NEXT) | instid1(VALU_DEP_1)
	v_cmp_eq_u32_e64 s7, 0, v18
	v_cndmask_b32_e64 v18, v22, v19, s7
; %bb.495:
	s_or_b32 exec_lo, exec_lo, s15
	v_lshlrev_b32_e32 v19, 16, v51
	s_delay_alu instid0(VALU_DEP_1) | instskip(NEXT) | instid1(VALU_DEP_1)
	v_add_f32_e32 v22, 0, v19
	v_and_b32_e32 v19, 0x7f800000, v22
	s_delay_alu instid0(VALU_DEP_1) | instskip(NEXT) | instid1(VALU_DEP_1)
	v_cmp_ne_u32_e64 s7, 0x7f800000, v19
                                        ; implicit-def: $vgpr19
	s_and_saveexec_b32 s15, s7
	s_delay_alu instid0(SALU_CYCLE_1)
	s_xor_b32 s7, exec_lo, s15
; %bb.496:
	v_bfe_u32 v19, v22, 16, 1
	s_delay_alu instid0(VALU_DEP_1)
	v_add3_u32 v19, v22, v19, 0x7fff
                                        ; implicit-def: $vgpr22
; %bb.497:
	s_and_not1_saveexec_b32 s15, s7
; %bb.498:
	v_and_b32_e32 v19, 0xffff, v22
	v_or_b32_e32 v23, 0x10000, v22
	s_delay_alu instid0(VALU_DEP_2) | instskip(NEXT) | instid1(VALU_DEP_1)
	v_cmp_eq_u32_e64 s7, 0, v19
	v_cndmask_b32_e64 v19, v23, v22, s7
; %bb.499:
	s_or_b32 exec_lo, exec_lo, s15
	v_cmp_lt_i32_e64 s7, -1, v18
	s_delay_alu instid0(VALU_DEP_2) | instskip(NEXT) | instid1(VALU_DEP_2)
	v_perm_b32 v18, v19, v18, 0x7060302
	v_cndmask_b32_e64 v22, -1, 0xffff8000, s7
	v_cmp_lt_i32_e64 s7, -1, v19
	s_delay_alu instid0(VALU_DEP_1) | instskip(NEXT) | instid1(VALU_DEP_1)
	v_cndmask_b32_e64 v23, -1, 0xffff8000, s7
	v_perm_b32 v19, v23, v22, 0x5040100
	s_delay_alu instid0(VALU_DEP_1) | instskip(NEXT) | instid1(VALU_DEP_1)
	v_xor_b32_e32 v18, v19, v18
	v_lshrrev_b32_e32 v19, 16, v18
	s_delay_alu instid0(VALU_DEP_1) | instskip(NEXT) | instid1(VALU_DEP_1)
	v_cmp_le_u16_e64 s7, v18, v19
	s_and_b32 s15, s7, exec_lo
.LBB2066_500:
	s_or_b32 exec_lo, exec_lo, s13
	s_delay_alu instid0(SALU_CYCLE_1)
	s_or_not1_b32 s13, s15, exec_lo
.LBB2066_501:
	s_or_b32 exec_lo, exec_lo, s14
	v_cndmask_b32_e64 v18, v16, v17, s13
	v_cndmask_b32_e64 v19, v30, v21, s13
	s_mov_b32 s15, -1
	s_mov_b32 s14, -1
	s_mov_b32 s16, exec_lo
	v_add_nc_u32_e32 v22, 1, v18
	v_add_nc_u32_e32 v19, -1, v19
	v_lshl_add_u32 v18, v18, 3, v8
	s_delay_alu instid0(VALU_DEP_3) | instskip(NEXT) | instid1(VALU_DEP_3)
	v_cndmask_b32_e64 v16, v22, v16, s13
	v_min_u32_e32 v19, v22, v19
	v_cndmask_b32_e64 v17, v17, v22, s13
	ds_load_b64 v[28:29], v18 offset:4096
	v_lshl_add_u32 v19, v19, 1, v12
	ds_load_u16 v19, v19
	s_waitcnt lgkmcnt(0)
	v_cndmask_b32_e64 v48, v19, v51, s13
	v_cndmask_b32_e64 v55, v54, v19, s13
	v_cmpx_lt_u32_e64 v16, v30
	s_cbranch_execz .LBB2066_513
; %bb.502:
	s_mov_b32 s17, 0
	s_mov_b32 s14, exec_lo
	v_cmpx_lt_u32_e64 v17, v21
	s_cbranch_execz .LBB2066_512
; %bb.503:
	v_lshlrev_b32_e32 v18, 16, v55
	s_delay_alu instid0(VALU_DEP_1) | instskip(NEXT) | instid1(VALU_DEP_1)
	v_add_f32_e32 v19, 0, v18
	v_and_b32_e32 v18, 0x7f800000, v19
	s_delay_alu instid0(VALU_DEP_1) | instskip(NEXT) | instid1(VALU_DEP_1)
	v_cmp_ne_u32_e64 s7, 0x7f800000, v18
                                        ; implicit-def: $vgpr18
	s_and_saveexec_b32 s17, s7
	s_delay_alu instid0(SALU_CYCLE_1)
	s_xor_b32 s7, exec_lo, s17
; %bb.504:
	v_bfe_u32 v18, v19, 16, 1
	s_delay_alu instid0(VALU_DEP_1)
	v_add3_u32 v18, v19, v18, 0x7fff
                                        ; implicit-def: $vgpr19
; %bb.505:
	s_and_not1_saveexec_b32 s17, s7
; %bb.506:
	v_and_b32_e32 v18, 0xffff, v19
	v_or_b32_e32 v22, 0x10000, v19
	s_delay_alu instid0(VALU_DEP_2) | instskip(NEXT) | instid1(VALU_DEP_1)
	v_cmp_eq_u32_e64 s7, 0, v18
	v_cndmask_b32_e64 v18, v22, v19, s7
; %bb.507:
	s_or_b32 exec_lo, exec_lo, s17
	v_lshlrev_b32_e32 v19, 16, v48
	s_delay_alu instid0(VALU_DEP_1) | instskip(NEXT) | instid1(VALU_DEP_1)
	v_add_f32_e32 v22, 0, v19
	v_and_b32_e32 v19, 0x7f800000, v22
	s_delay_alu instid0(VALU_DEP_1) | instskip(NEXT) | instid1(VALU_DEP_1)
	v_cmp_ne_u32_e64 s7, 0x7f800000, v19
                                        ; implicit-def: $vgpr19
	s_and_saveexec_b32 s17, s7
	s_delay_alu instid0(SALU_CYCLE_1)
	s_xor_b32 s7, exec_lo, s17
; %bb.508:
	v_bfe_u32 v19, v22, 16, 1
	s_delay_alu instid0(VALU_DEP_1)
	v_add3_u32 v19, v22, v19, 0x7fff
                                        ; implicit-def: $vgpr22
; %bb.509:
	s_and_not1_saveexec_b32 s17, s7
; %bb.510:
	v_and_b32_e32 v19, 0xffff, v22
	v_or_b32_e32 v23, 0x10000, v22
	s_delay_alu instid0(VALU_DEP_2) | instskip(NEXT) | instid1(VALU_DEP_1)
	v_cmp_eq_u32_e64 s7, 0, v19
	v_cndmask_b32_e64 v19, v23, v22, s7
; %bb.511:
	s_or_b32 exec_lo, exec_lo, s17
	v_cmp_lt_i32_e64 s7, -1, v18
	s_delay_alu instid0(VALU_DEP_2) | instskip(NEXT) | instid1(VALU_DEP_2)
	v_perm_b32 v18, v19, v18, 0x7060302
	v_cndmask_b32_e64 v22, -1, 0xffff8000, s7
	v_cmp_lt_i32_e64 s7, -1, v19
	s_delay_alu instid0(VALU_DEP_1) | instskip(NEXT) | instid1(VALU_DEP_1)
	v_cndmask_b32_e64 v23, -1, 0xffff8000, s7
	v_perm_b32 v19, v23, v22, 0x5040100
	s_delay_alu instid0(VALU_DEP_1) | instskip(NEXT) | instid1(VALU_DEP_1)
	v_xor_b32_e32 v18, v19, v18
	v_lshrrev_b32_e32 v19, 16, v18
	s_delay_alu instid0(VALU_DEP_1) | instskip(NEXT) | instid1(VALU_DEP_1)
	v_cmp_le_u16_e64 s7, v18, v19
	s_and_b32 s17, s7, exec_lo
.LBB2066_512:
	s_or_b32 exec_lo, exec_lo, s14
	s_delay_alu instid0(SALU_CYCLE_1)
	s_or_not1_b32 s14, s17, exec_lo
.LBB2066_513:
	s_or_b32 exec_lo, exec_lo, s16
	v_cndmask_b32_e64 v18, v16, v17, s14
	v_cndmask_b32_e64 v19, v30, v21, s14
	s_mov_b32 s16, exec_lo
	s_delay_alu instid0(VALU_DEP_2) | instskip(NEXT) | instid1(VALU_DEP_2)
	v_add_nc_u32_e32 v23, 1, v18
	v_add_nc_u32_e32 v19, -1, v19
	v_lshl_add_u32 v18, v18, 3, v8
	s_delay_alu instid0(VALU_DEP_3) | instskip(NEXT) | instid1(VALU_DEP_3)
	v_cndmask_b32_e64 v22, v23, v16, s14
	v_min_u32_e32 v19, v23, v19
	v_cndmask_b32_e64 v23, v17, v23, s14
	s_delay_alu instid0(VALU_DEP_2)
	v_lshl_add_u32 v19, v19, 1, v12
	ds_load_u16 v64, v19
	ds_load_b64 v[18:19], v18 offset:4096
	s_waitcnt lgkmcnt(1)
	v_cndmask_b32_e64 v52, v64, v48, s14
	v_cndmask_b32_e64 v64, v55, v64, s14
	v_cmpx_lt_u32_e64 v22, v30
	s_cbranch_execz .LBB2066_525
; %bb.514:
	s_mov_b32 s17, 0
	s_mov_b32 s15, exec_lo
	v_cmpx_lt_u32_e64 v23, v21
	s_cbranch_execz .LBB2066_524
; %bb.515:
	v_lshlrev_b32_e32 v16, 16, v64
	s_delay_alu instid0(VALU_DEP_1) | instskip(NEXT) | instid1(VALU_DEP_1)
	v_add_f32_e32 v17, 0, v16
	v_and_b32_e32 v16, 0x7f800000, v17
	s_delay_alu instid0(VALU_DEP_1) | instskip(NEXT) | instid1(VALU_DEP_1)
	v_cmp_ne_u32_e64 s7, 0x7f800000, v16
                                        ; implicit-def: $vgpr16
	s_and_saveexec_b32 s17, s7
	s_delay_alu instid0(SALU_CYCLE_1)
	s_xor_b32 s7, exec_lo, s17
; %bb.516:
	v_bfe_u32 v16, v17, 16, 1
	s_delay_alu instid0(VALU_DEP_1)
	v_add3_u32 v16, v17, v16, 0x7fff
                                        ; implicit-def: $vgpr17
; %bb.517:
	s_and_not1_saveexec_b32 s17, s7
; %bb.518:
	v_and_b32_e32 v16, 0xffff, v17
	v_or_b32_e32 v65, 0x10000, v17
	s_delay_alu instid0(VALU_DEP_2) | instskip(NEXT) | instid1(VALU_DEP_1)
	v_cmp_eq_u32_e64 s7, 0, v16
	v_cndmask_b32_e64 v16, v65, v17, s7
; %bb.519:
	s_or_b32 exec_lo, exec_lo, s17
	v_lshlrev_b32_e32 v17, 16, v52
	s_delay_alu instid0(VALU_DEP_1) | instskip(NEXT) | instid1(VALU_DEP_1)
	v_add_f32_e32 v65, 0, v17
	v_and_b32_e32 v17, 0x7f800000, v65
	s_delay_alu instid0(VALU_DEP_1) | instskip(NEXT) | instid1(VALU_DEP_1)
	v_cmp_ne_u32_e64 s7, 0x7f800000, v17
                                        ; implicit-def: $vgpr17
	s_and_saveexec_b32 s17, s7
	s_delay_alu instid0(SALU_CYCLE_1)
	s_xor_b32 s7, exec_lo, s17
; %bb.520:
	v_bfe_u32 v17, v65, 16, 1
	s_delay_alu instid0(VALU_DEP_1)
	v_add3_u32 v17, v65, v17, 0x7fff
                                        ; implicit-def: $vgpr65
; %bb.521:
	s_and_not1_saveexec_b32 s17, s7
; %bb.522:
	v_and_b32_e32 v17, 0xffff, v65
	v_or_b32_e32 v66, 0x10000, v65
	s_delay_alu instid0(VALU_DEP_2) | instskip(NEXT) | instid1(VALU_DEP_1)
	v_cmp_eq_u32_e64 s7, 0, v17
	v_cndmask_b32_e64 v17, v66, v65, s7
; %bb.523:
	s_or_b32 exec_lo, exec_lo, s17
	v_cmp_lt_i32_e64 s7, -1, v16
	s_delay_alu instid0(VALU_DEP_2) | instskip(NEXT) | instid1(VALU_DEP_2)
	v_perm_b32 v16, v17, v16, 0x7060302
	v_cndmask_b32_e64 v65, -1, 0xffff8000, s7
	v_cmp_lt_i32_e64 s7, -1, v17
	s_delay_alu instid0(VALU_DEP_1) | instskip(NEXT) | instid1(VALU_DEP_1)
	v_cndmask_b32_e64 v66, -1, 0xffff8000, s7
	v_perm_b32 v17, v66, v65, 0x5040100
	s_delay_alu instid0(VALU_DEP_1) | instskip(NEXT) | instid1(VALU_DEP_1)
	v_xor_b32_e32 v16, v17, v16
	v_lshrrev_b32_e32 v17, 16, v16
	s_delay_alu instid0(VALU_DEP_1) | instskip(NEXT) | instid1(VALU_DEP_1)
	v_cmp_le_u16_e64 s7, v16, v17
	s_and_b32 s17, s7, exec_lo
.LBB2066_524:
	s_or_b32 exec_lo, exec_lo, s15
	s_delay_alu instid0(SALU_CYCLE_1)
	s_or_not1_b32 s15, s17, exec_lo
.LBB2066_525:
	s_or_b32 exec_lo, exec_lo, s16
	v_cndmask_b32_e64 v16, v22, v23, s15
	v_cndmask_b32_e64 v17, v30, v21, s15
	s_mov_b32 s17, -1
	s_mov_b32 s16, exec_lo
	s_delay_alu instid0(VALU_DEP_2) | instskip(NEXT) | instid1(VALU_DEP_2)
	v_add_nc_u32_e32 v65, 1, v16
	v_add_nc_u32_e32 v17, -1, v17
	v_lshl_add_u32 v16, v16, 3, v8
	s_delay_alu instid0(VALU_DEP_3) | instskip(NEXT) | instid1(VALU_DEP_3)
	v_cndmask_b32_e64 v22, v65, v22, s15
	v_min_u32_e32 v17, v65, v17
	v_cndmask_b32_e64 v23, v23, v65, s15
	s_delay_alu instid0(VALU_DEP_2)
	v_lshl_add_u32 v17, v17, 1, v12
	ds_load_u16 v66, v17
	ds_load_b64 v[16:17], v16 offset:4096
	s_waitcnt lgkmcnt(1)
	v_cndmask_b32_e64 v65, v66, v52, s15
	v_cndmask_b32_e64 v66, v64, v66, s15
	v_cmpx_lt_u32_e64 v22, v30
	s_cbranch_execz .LBB2066_537
; %bb.526:
	s_mov_b32 s18, 0
	s_mov_b32 s17, exec_lo
	v_cmpx_lt_u32_e64 v23, v21
	s_cbranch_execz .LBB2066_536
; %bb.527:
	v_lshlrev_b32_e32 v21, 16, v66
	s_delay_alu instid0(VALU_DEP_1) | instskip(NEXT) | instid1(VALU_DEP_1)
	v_add_f32_e32 v30, 0, v21
	v_and_b32_e32 v21, 0x7f800000, v30
	s_delay_alu instid0(VALU_DEP_1) | instskip(NEXT) | instid1(VALU_DEP_1)
	v_cmp_ne_u32_e64 s7, 0x7f800000, v21
                                        ; implicit-def: $vgpr21
	s_and_saveexec_b32 s18, s7
	s_delay_alu instid0(SALU_CYCLE_1)
	s_xor_b32 s7, exec_lo, s18
; %bb.528:
	v_bfe_u32 v21, v30, 16, 1
	s_delay_alu instid0(VALU_DEP_1)
	v_add3_u32 v21, v30, v21, 0x7fff
                                        ; implicit-def: $vgpr30
; %bb.529:
	s_and_not1_saveexec_b32 s18, s7
; %bb.530:
	v_and_b32_e32 v21, 0xffff, v30
	v_or_b32_e32 v67, 0x10000, v30
	s_delay_alu instid0(VALU_DEP_2) | instskip(NEXT) | instid1(VALU_DEP_1)
	v_cmp_eq_u32_e64 s7, 0, v21
	v_cndmask_b32_e64 v21, v67, v30, s7
; %bb.531:
	s_or_b32 exec_lo, exec_lo, s18
	v_lshlrev_b32_e32 v30, 16, v65
	s_delay_alu instid0(VALU_DEP_1) | instskip(NEXT) | instid1(VALU_DEP_1)
	v_add_f32_e32 v67, 0, v30
	v_and_b32_e32 v30, 0x7f800000, v67
	s_delay_alu instid0(VALU_DEP_1) | instskip(NEXT) | instid1(VALU_DEP_1)
	v_cmp_ne_u32_e64 s7, 0x7f800000, v30
                                        ; implicit-def: $vgpr30
	s_and_saveexec_b32 s18, s7
	s_delay_alu instid0(SALU_CYCLE_1)
	s_xor_b32 s7, exec_lo, s18
; %bb.532:
	v_bfe_u32 v30, v67, 16, 1
	s_delay_alu instid0(VALU_DEP_1)
	v_add3_u32 v30, v67, v30, 0x7fff
                                        ; implicit-def: $vgpr67
; %bb.533:
	s_and_not1_saveexec_b32 s18, s7
; %bb.534:
	v_and_b32_e32 v30, 0xffff, v67
	v_or_b32_e32 v68, 0x10000, v67
	s_delay_alu instid0(VALU_DEP_2) | instskip(NEXT) | instid1(VALU_DEP_1)
	v_cmp_eq_u32_e64 s7, 0, v30
	v_cndmask_b32_e64 v30, v68, v67, s7
; %bb.535:
	s_or_b32 exec_lo, exec_lo, s18
	v_cmp_lt_i32_e64 s7, -1, v21
	s_delay_alu instid0(VALU_DEP_2) | instskip(NEXT) | instid1(VALU_DEP_2)
	v_perm_b32 v21, v30, v21, 0x7060302
	v_cndmask_b32_e64 v67, -1, 0xffff8000, s7
	v_cmp_lt_i32_e64 s7, -1, v30
	s_delay_alu instid0(VALU_DEP_1) | instskip(NEXT) | instid1(VALU_DEP_1)
	v_cndmask_b32_e64 v68, -1, 0xffff8000, s7
	v_perm_b32 v30, v68, v67, 0x5040100
	s_delay_alu instid0(VALU_DEP_1) | instskip(NEXT) | instid1(VALU_DEP_1)
	v_xor_b32_e32 v21, v30, v21
	v_lshrrev_b32_e32 v30, 16, v21
	s_delay_alu instid0(VALU_DEP_1) | instskip(NEXT) | instid1(VALU_DEP_1)
	v_cmp_le_u16_e64 s7, v21, v30
	s_and_b32 s18, s7, exec_lo
.LBB2066_536:
	s_or_b32 exec_lo, exec_lo, s17
	s_delay_alu instid0(SALU_CYCLE_1)
	s_or_not1_b32 s17, s18, exec_lo
.LBB2066_537:
	s_or_b32 exec_lo, exec_lo, s16
	v_cndmask_b32_e64 v21, v22, v23, s17
	v_cndmask_b32_e64 v52, v52, v64, s15
	;; [unrolled: 1-line block ×5, first 2 shown]
	v_lshl_add_u32 v21, v21, 3, v8
	v_cndmask_b32_e64 v50, v39, v49, s11
	v_cndmask_b32_e64 v49, v33, v38, s8
	v_cndmask_b32_e64 v38, v32, v31, s10
	v_cndmask_b32_e64 v39, v65, v66, s17
	ds_load_b64 v[22:23], v21 offset:4096
.LBB2066_538:
	s_or_b32 exec_lo, exec_lo, s9
	v_and_b32_e32 v31, 0xc0, v37
	v_and_b32_e32 v32, 56, v37
	v_perm_b32 v65, v39, v52, 0x5040100
	v_perm_b32 v64, v48, v51, 0x5040100
	;; [unrolled: 1-line block ×3, first 2 shown]
	v_or_b32_e32 v21, 32, v31
	v_min_u32_e32 v54, v13, v32
	v_perm_b32 v66, v49, v38, 0x5040100
	s_mov_b32 s8, exec_lo
	s_delay_alu instid0(VALU_DEP_3)
	v_min_u32_e32 v21, v13, v21
	; wave barrier
	ds_store_2addr_b64 v20, v[26:27], v[14:15] offset0:2 offset1:3
	ds_store_2addr_b64 v20, v[28:29], v[18:19] offset0:4 offset1:5
	ds_store_2addr_b64 v20, v[4:5], v[10:11] offset1:1
	ds_store_2addr_b64 v9, v[66:67], v[64:65] offset1:1
	s_waitcnt lgkmcnt(4)
	ds_store_2addr_b64 v20, v[16:17], v[22:23] offset0:6 offset1:7
	v_add_nc_u32_e32 v30, 32, v21
	v_sub_nc_u32_e32 v32, v21, v31
	; wave barrier
	s_delay_alu instid0(VALU_DEP_2) | instskip(NEXT) | instid1(VALU_DEP_2)
	v_min_u32_e32 v30, v13, v30
	v_min_u32_e32 v55, v54, v32
	s_delay_alu instid0(VALU_DEP_2) | instskip(NEXT) | instid1(VALU_DEP_1)
	v_sub_nc_u32_e32 v33, v30, v21
	v_sub_nc_u32_e64 v32, v54, v33 clamp
	v_lshl_add_u32 v33, v31, 1, v12
	s_delay_alu instid0(VALU_DEP_2)
	v_cmpx_lt_u32_e64 v32, v55
	s_cbranch_execz .LBB2066_550
; %bb.539:
	v_lshlrev_b32_e32 v64, 1, v21
	v_lshlrev_b32_e32 v65, 1, v54
	s_mov_b32 s9, 0
	s_delay_alu instid0(VALU_DEP_1)
	v_add3_u32 v64, v12, v64, v65
	s_branch .LBB2066_541
.LBB2066_540:                           ;   in Loop: Header=BB2066_541 Depth=1
	s_or_b32 exec_lo, exec_lo, s10
	v_cmp_lt_i32_e64 s7, -1, v66
	v_lshrrev_b32_e32 v68, 16, v66
	v_lshrrev_b32_e32 v69, 16, v67
	s_delay_alu instid0(VALU_DEP_3) | instskip(SKIP_1) | instid1(VALU_DEP_2)
	v_cndmask_b32_e64 v66, -1, 0xffff8000, s7
	v_cmp_lt_i32_e64 s7, -1, v67
	v_xor_b32_e32 v66, v66, v68
	s_delay_alu instid0(VALU_DEP_2) | instskip(SKIP_1) | instid1(VALU_DEP_2)
	v_cndmask_b32_e64 v67, -1, 0xffff8000, s7
	v_add_nc_u32_e32 v68, 1, v65
	v_xor_b32_e32 v67, v67, v69
	s_delay_alu instid0(VALU_DEP_1) | instskip(NEXT) | instid1(VALU_DEP_1)
	v_cmp_gt_u16_e64 s7, v66, v67
	v_cndmask_b32_e64 v55, v55, v65, s7
	s_delay_alu instid0(VALU_DEP_4) | instskip(NEXT) | instid1(VALU_DEP_1)
	v_cndmask_b32_e64 v32, v68, v32, s7
	v_cmp_ge_u32_e64 s7, v32, v55
	s_delay_alu instid0(VALU_DEP_1) | instskip(NEXT) | instid1(SALU_CYCLE_1)
	s_or_b32 s9, s7, s9
	s_and_not1_b32 exec_lo, exec_lo, s9
	s_cbranch_execz .LBB2066_549
.LBB2066_541:                           ; =>This Inner Loop Header: Depth=1
	v_add_nc_u32_e32 v65, v55, v32
	s_delay_alu instid0(VALU_DEP_1) | instskip(SKIP_1) | instid1(VALU_DEP_2)
	v_and_b32_e32 v66, -2, v65
	v_lshrrev_b32_e32 v65, 1, v65
	v_add_nc_u32_e32 v66, v33, v66
	s_delay_alu instid0(VALU_DEP_2)
	v_not_b32_e32 v67, v65
	ds_load_u16 v66, v66
	v_lshl_add_u32 v67, v67, 1, v64
	ds_load_u16 v67, v67
	s_waitcnt lgkmcnt(1)
	v_lshlrev_b32_e32 v66, 16, v66
	s_delay_alu instid0(VALU_DEP_1) | instskip(NEXT) | instid1(VALU_DEP_1)
	v_add_f32_e32 v68, 0, v66
	v_and_b32_e32 v66, 0x7f800000, v68
	s_delay_alu instid0(VALU_DEP_1) | instskip(NEXT) | instid1(VALU_DEP_1)
	v_cmp_ne_u32_e64 s7, 0x7f800000, v66
                                        ; implicit-def: $vgpr66
	s_and_saveexec_b32 s10, s7
	s_delay_alu instid0(SALU_CYCLE_1)
	s_xor_b32 s7, exec_lo, s10
; %bb.542:                              ;   in Loop: Header=BB2066_541 Depth=1
	v_bfe_u32 v66, v68, 16, 1
	s_delay_alu instid0(VALU_DEP_1)
	v_add3_u32 v66, v68, v66, 0x7fff
                                        ; implicit-def: $vgpr68
; %bb.543:                              ;   in Loop: Header=BB2066_541 Depth=1
	s_and_not1_saveexec_b32 s10, s7
; %bb.544:                              ;   in Loop: Header=BB2066_541 Depth=1
	v_and_b32_e32 v66, 0xffff, v68
	v_or_b32_e32 v69, 0x10000, v68
	s_delay_alu instid0(VALU_DEP_2) | instskip(NEXT) | instid1(VALU_DEP_1)
	v_cmp_eq_u32_e64 s7, 0, v66
	v_cndmask_b32_e64 v66, v69, v68, s7
; %bb.545:                              ;   in Loop: Header=BB2066_541 Depth=1
	s_or_b32 exec_lo, exec_lo, s10
	s_waitcnt lgkmcnt(0)
	v_lshlrev_b32_e32 v67, 16, v67
	s_delay_alu instid0(VALU_DEP_1) | instskip(NEXT) | instid1(VALU_DEP_1)
	v_add_f32_e32 v68, 0, v67
	v_and_b32_e32 v67, 0x7f800000, v68
	s_delay_alu instid0(VALU_DEP_1) | instskip(NEXT) | instid1(VALU_DEP_1)
	v_cmp_ne_u32_e64 s7, 0x7f800000, v67
                                        ; implicit-def: $vgpr67
	s_and_saveexec_b32 s10, s7
	s_delay_alu instid0(SALU_CYCLE_1)
	s_xor_b32 s7, exec_lo, s10
; %bb.546:                              ;   in Loop: Header=BB2066_541 Depth=1
	v_bfe_u32 v67, v68, 16, 1
	s_delay_alu instid0(VALU_DEP_1)
	v_add3_u32 v67, v68, v67, 0x7fff
                                        ; implicit-def: $vgpr68
; %bb.547:                              ;   in Loop: Header=BB2066_541 Depth=1
	s_and_not1_saveexec_b32 s10, s7
	s_cbranch_execz .LBB2066_540
; %bb.548:                              ;   in Loop: Header=BB2066_541 Depth=1
	v_and_b32_e32 v67, 0xffff, v68
	v_or_b32_e32 v69, 0x10000, v68
	s_delay_alu instid0(VALU_DEP_2) | instskip(NEXT) | instid1(VALU_DEP_1)
	v_cmp_eq_u32_e64 s7, 0, v67
	v_cndmask_b32_e64 v67, v69, v68, s7
	s_branch .LBB2066_540
.LBB2066_549:
	s_or_b32 exec_lo, exec_lo, s9
.LBB2066_550:
	s_delay_alu instid0(SALU_CYCLE_1) | instskip(SKIP_2) | instid1(VALU_DEP_2)
	s_or_b32 exec_lo, exec_lo, s8
	v_add_nc_u32_e32 v55, v21, v54
	v_add_nc_u32_e32 v54, v32, v31
	v_sub_nc_u32_e32 v55, v55, v32
	s_delay_alu instid0(VALU_DEP_2) | instskip(NEXT) | instid1(VALU_DEP_2)
	v_cmp_le_u32_e64 s7, v54, v21
	v_cmp_le_u32_e64 s8, v55, v30
	s_delay_alu instid0(VALU_DEP_1) | instskip(NEXT) | instid1(SALU_CYCLE_1)
	s_or_b32 s7, s7, s8
	s_and_saveexec_b32 s9, s7
	s_cbranch_execz .LBB2066_650
; %bb.551:
	v_cmp_ge_u32_e64 s7, v54, v21
	s_mov_b32 s10, exec_lo
                                        ; implicit-def: $vgpr31
	v_cmpx_lt_u32_e64 v54, v21
	s_cbranch_execz .LBB2066_553
; %bb.552:
	v_lshl_add_u32 v4, v32, 1, v33
	ds_load_u16 v31, v4
.LBB2066_553:
	s_or_b32 exec_lo, exec_lo, s10
	v_cmp_ge_u32_e64 s10, v55, v30
	s_mov_b32 s11, exec_lo
                                        ; implicit-def: $vgpr32
	v_cmpx_lt_u32_e64 v55, v30
	s_cbranch_execz .LBB2066_555
; %bb.554:
	v_lshl_add_u32 v4, v55, 1, v12
	ds_load_u16 v32, v4
.LBB2066_555:
	s_or_b32 exec_lo, exec_lo, s11
	s_or_b32 s7, s7, s10
	s_delay_alu instid0(SALU_CYCLE_1) | instskip(NEXT) | instid1(SALU_CYCLE_1)
	s_xor_b32 s7, s7, -1
	s_and_saveexec_b32 s8, s7
	s_cbranch_execz .LBB2066_565
; %bb.556:
	s_waitcnt lgkmcnt(0)
	v_lshlrev_b32_e32 v4, 16, v31
	s_delay_alu instid0(VALU_DEP_1) | instskip(NEXT) | instid1(VALU_DEP_1)
	v_add_f32_e32 v5, 0, v4
	v_and_b32_e32 v4, 0x7f800000, v5
	s_delay_alu instid0(VALU_DEP_1) | instskip(NEXT) | instid1(VALU_DEP_1)
	v_cmp_ne_u32_e64 s7, 0x7f800000, v4
                                        ; implicit-def: $vgpr4
	s_and_saveexec_b32 s11, s7
	s_delay_alu instid0(SALU_CYCLE_1)
	s_xor_b32 s7, exec_lo, s11
; %bb.557:
	v_bfe_u32 v4, v5, 16, 1
	s_delay_alu instid0(VALU_DEP_1)
	v_add3_u32 v4, v5, v4, 0x7fff
                                        ; implicit-def: $vgpr5
; %bb.558:
	s_and_not1_saveexec_b32 s11, s7
; %bb.559:
	v_and_b32_e32 v4, 0xffff, v5
	v_or_b32_e32 v10, 0x10000, v5
	s_delay_alu instid0(VALU_DEP_2) | instskip(NEXT) | instid1(VALU_DEP_1)
	v_cmp_eq_u32_e64 s7, 0, v4
	v_cndmask_b32_e64 v4, v10, v5, s7
; %bb.560:
	s_or_b32 exec_lo, exec_lo, s11
	v_lshlrev_b32_e32 v5, 16, v32
	s_delay_alu instid0(VALU_DEP_1) | instskip(NEXT) | instid1(VALU_DEP_1)
	v_add_f32_e32 v10, 0, v5
	v_and_b32_e32 v5, 0x7f800000, v10
	s_delay_alu instid0(VALU_DEP_1) | instskip(NEXT) | instid1(VALU_DEP_1)
	v_cmp_ne_u32_e64 s7, 0x7f800000, v5
                                        ; implicit-def: $vgpr5
	s_and_saveexec_b32 s11, s7
	s_delay_alu instid0(SALU_CYCLE_1)
	s_xor_b32 s7, exec_lo, s11
; %bb.561:
	v_bfe_u32 v5, v10, 16, 1
	s_delay_alu instid0(VALU_DEP_1)
	v_add3_u32 v5, v10, v5, 0x7fff
                                        ; implicit-def: $vgpr10
; %bb.562:
	s_and_not1_saveexec_b32 s11, s7
; %bb.563:
	v_and_b32_e32 v5, 0xffff, v10
	v_or_b32_e32 v11, 0x10000, v10
	s_delay_alu instid0(VALU_DEP_2) | instskip(NEXT) | instid1(VALU_DEP_1)
	v_cmp_eq_u32_e64 s7, 0, v5
	v_cndmask_b32_e64 v5, v11, v10, s7
; %bb.564:
	s_or_b32 exec_lo, exec_lo, s11
	v_cmp_lt_i32_e64 s7, -1, v4
	s_delay_alu instid0(VALU_DEP_2) | instskip(SKIP_1) | instid1(VALU_DEP_2)
	v_perm_b32 v4, v5, v4, 0x7060302
	s_and_not1_b32 s10, s10, exec_lo
	v_cndmask_b32_e64 v10, -1, 0xffff8000, s7
	v_cmp_lt_i32_e64 s7, -1, v5
	s_delay_alu instid0(VALU_DEP_1) | instskip(NEXT) | instid1(VALU_DEP_1)
	v_cndmask_b32_e64 v11, -1, 0xffff8000, s7
	v_perm_b32 v5, v11, v10, 0x5040100
	s_delay_alu instid0(VALU_DEP_1) | instskip(NEXT) | instid1(VALU_DEP_1)
	v_xor_b32_e32 v4, v5, v4
	v_lshrrev_b32_e32 v5, 16, v4
	s_delay_alu instid0(VALU_DEP_1) | instskip(NEXT) | instid1(VALU_DEP_1)
	v_cmp_le_u16_e64 s7, v4, v5
	s_and_b32 s7, s7, exec_lo
	s_delay_alu instid0(SALU_CYCLE_1)
	s_or_b32 s10, s10, s7
.LBB2066_565:
	s_or_b32 exec_lo, exec_lo, s8
	v_cndmask_b32_e64 v4, v55, v54, s10
	v_cndmask_b32_e64 v5, v30, v21, s10
	s_mov_b32 s11, -1
	s_mov_b32 s8, -1
	s_mov_b32 s12, exec_lo
	v_add_nc_u32_e32 v10, 1, v4
	v_add_nc_u32_e32 v5, -1, v5
	v_lshl_add_u32 v4, v4, 3, v8
	s_delay_alu instid0(VALU_DEP_3) | instskip(NEXT) | instid1(VALU_DEP_3)
	v_cndmask_b32_e64 v14, v10, v55, s10
	v_min_u32_e32 v5, v10, v5
	v_cndmask_b32_e64 v15, v54, v10, s10
	s_delay_alu instid0(VALU_DEP_2)
	v_lshl_add_u32 v5, v5, 1, v12
	ds_load_u16 v11, v5
	ds_load_b64 v[4:5], v4 offset:4096
	s_waitcnt lgkmcnt(1)
	v_cndmask_b32_e64 v33, v11, v32, s10
	v_cndmask_b32_e64 v38, v31, v11, s10
	v_cmpx_lt_u32_e64 v14, v30
	s_cbranch_execz .LBB2066_577
; %bb.566:
	s_mov_b32 s13, 0
	s_mov_b32 s8, exec_lo
	v_cmpx_lt_u32_e64 v15, v21
	s_cbranch_execz .LBB2066_576
; %bb.567:
	v_lshlrev_b32_e32 v10, 16, v38
	s_delay_alu instid0(VALU_DEP_1) | instskip(NEXT) | instid1(VALU_DEP_1)
	v_add_f32_e32 v11, 0, v10
	v_and_b32_e32 v10, 0x7f800000, v11
	s_delay_alu instid0(VALU_DEP_1) | instskip(NEXT) | instid1(VALU_DEP_1)
	v_cmp_ne_u32_e64 s7, 0x7f800000, v10
                                        ; implicit-def: $vgpr10
	s_and_saveexec_b32 s13, s7
	s_delay_alu instid0(SALU_CYCLE_1)
	s_xor_b32 s7, exec_lo, s13
; %bb.568:
	v_bfe_u32 v10, v11, 16, 1
	s_delay_alu instid0(VALU_DEP_1)
	v_add3_u32 v10, v11, v10, 0x7fff
                                        ; implicit-def: $vgpr11
; %bb.569:
	s_and_not1_saveexec_b32 s13, s7
; %bb.570:
	v_and_b32_e32 v10, 0xffff, v11
	v_or_b32_e32 v16, 0x10000, v11
	s_delay_alu instid0(VALU_DEP_2) | instskip(NEXT) | instid1(VALU_DEP_1)
	v_cmp_eq_u32_e64 s7, 0, v10
	v_cndmask_b32_e64 v10, v16, v11, s7
; %bb.571:
	s_or_b32 exec_lo, exec_lo, s13
	v_lshlrev_b32_e32 v11, 16, v33
	s_delay_alu instid0(VALU_DEP_1) | instskip(NEXT) | instid1(VALU_DEP_1)
	v_add_f32_e32 v16, 0, v11
	v_and_b32_e32 v11, 0x7f800000, v16
	s_delay_alu instid0(VALU_DEP_1) | instskip(NEXT) | instid1(VALU_DEP_1)
	v_cmp_ne_u32_e64 s7, 0x7f800000, v11
                                        ; implicit-def: $vgpr11
	s_and_saveexec_b32 s13, s7
	s_delay_alu instid0(SALU_CYCLE_1)
	s_xor_b32 s7, exec_lo, s13
; %bb.572:
	v_bfe_u32 v11, v16, 16, 1
	s_delay_alu instid0(VALU_DEP_1)
	v_add3_u32 v11, v16, v11, 0x7fff
                                        ; implicit-def: $vgpr16
; %bb.573:
	s_and_not1_saveexec_b32 s13, s7
; %bb.574:
	v_and_b32_e32 v11, 0xffff, v16
	v_or_b32_e32 v17, 0x10000, v16
	s_delay_alu instid0(VALU_DEP_2) | instskip(NEXT) | instid1(VALU_DEP_1)
	v_cmp_eq_u32_e64 s7, 0, v11
	v_cndmask_b32_e64 v11, v17, v16, s7
; %bb.575:
	s_or_b32 exec_lo, exec_lo, s13
	v_cmp_lt_i32_e64 s7, -1, v10
	s_delay_alu instid0(VALU_DEP_2) | instskip(NEXT) | instid1(VALU_DEP_2)
	v_perm_b32 v10, v11, v10, 0x7060302
	v_cndmask_b32_e64 v16, -1, 0xffff8000, s7
	v_cmp_lt_i32_e64 s7, -1, v11
	s_delay_alu instid0(VALU_DEP_1) | instskip(NEXT) | instid1(VALU_DEP_1)
	v_cndmask_b32_e64 v17, -1, 0xffff8000, s7
	v_perm_b32 v11, v17, v16, 0x5040100
	s_delay_alu instid0(VALU_DEP_1) | instskip(NEXT) | instid1(VALU_DEP_1)
	v_xor_b32_e32 v10, v11, v10
	v_lshrrev_b32_e32 v11, 16, v10
	s_delay_alu instid0(VALU_DEP_1) | instskip(NEXT) | instid1(VALU_DEP_1)
	v_cmp_le_u16_e64 s7, v10, v11
	s_and_b32 s13, s7, exec_lo
.LBB2066_576:
	s_or_b32 exec_lo, exec_lo, s8
	s_delay_alu instid0(SALU_CYCLE_1)
	s_or_not1_b32 s8, s13, exec_lo
.LBB2066_577:
	s_or_b32 exec_lo, exec_lo, s12
	v_cndmask_b32_e64 v10, v14, v15, s8
	v_cndmask_b32_e64 v11, v30, v21, s8
	s_mov_b32 s12, exec_lo
	s_delay_alu instid0(VALU_DEP_2) | instskip(NEXT) | instid1(VALU_DEP_2)
	v_add_nc_u32_e32 v16, 1, v10
	v_add_nc_u32_e32 v11, -1, v11
	v_lshl_add_u32 v10, v10, 3, v8
	s_delay_alu instid0(VALU_DEP_3) | instskip(NEXT) | instid1(VALU_DEP_3)
	v_cndmask_b32_e64 v14, v16, v14, s8
	v_min_u32_e32 v11, v16, v11
	v_cndmask_b32_e64 v15, v15, v16, s8
	s_delay_alu instid0(VALU_DEP_2)
	v_lshl_add_u32 v11, v11, 1, v12
	ds_load_u16 v17, v11
	ds_load_b64 v[10:11], v10 offset:4096
	s_waitcnt lgkmcnt(1)
	v_cndmask_b32_e64 v39, v17, v33, s8
	v_cndmask_b32_e64 v49, v38, v17, s8
	v_cmpx_lt_u32_e64 v14, v30
	s_cbranch_execz .LBB2066_589
; %bb.578:
	s_mov_b32 s13, 0
	s_mov_b32 s11, exec_lo
	v_cmpx_lt_u32_e64 v15, v21
	s_cbranch_execz .LBB2066_588
; %bb.579:
	v_lshlrev_b32_e32 v16, 16, v49
	s_delay_alu instid0(VALU_DEP_1) | instskip(NEXT) | instid1(VALU_DEP_1)
	v_add_f32_e32 v17, 0, v16
	v_and_b32_e32 v16, 0x7f800000, v17
	s_delay_alu instid0(VALU_DEP_1) | instskip(NEXT) | instid1(VALU_DEP_1)
	v_cmp_ne_u32_e64 s7, 0x7f800000, v16
                                        ; implicit-def: $vgpr16
	s_and_saveexec_b32 s13, s7
	s_delay_alu instid0(SALU_CYCLE_1)
	s_xor_b32 s7, exec_lo, s13
; %bb.580:
	v_bfe_u32 v16, v17, 16, 1
	s_delay_alu instid0(VALU_DEP_1)
	v_add3_u32 v16, v17, v16, 0x7fff
                                        ; implicit-def: $vgpr17
; %bb.581:
	s_and_not1_saveexec_b32 s13, s7
; %bb.582:
	v_and_b32_e32 v16, 0xffff, v17
	v_or_b32_e32 v18, 0x10000, v17
	s_delay_alu instid0(VALU_DEP_2) | instskip(NEXT) | instid1(VALU_DEP_1)
	v_cmp_eq_u32_e64 s7, 0, v16
	v_cndmask_b32_e64 v16, v18, v17, s7
; %bb.583:
	s_or_b32 exec_lo, exec_lo, s13
	v_lshlrev_b32_e32 v17, 16, v39
	s_delay_alu instid0(VALU_DEP_1) | instskip(NEXT) | instid1(VALU_DEP_1)
	v_add_f32_e32 v18, 0, v17
	v_and_b32_e32 v17, 0x7f800000, v18
	s_delay_alu instid0(VALU_DEP_1) | instskip(NEXT) | instid1(VALU_DEP_1)
	v_cmp_ne_u32_e64 s7, 0x7f800000, v17
                                        ; implicit-def: $vgpr17
	s_and_saveexec_b32 s13, s7
	s_delay_alu instid0(SALU_CYCLE_1)
	s_xor_b32 s7, exec_lo, s13
; %bb.584:
	v_bfe_u32 v17, v18, 16, 1
	s_delay_alu instid0(VALU_DEP_1)
	v_add3_u32 v17, v18, v17, 0x7fff
                                        ; implicit-def: $vgpr18
; %bb.585:
	s_and_not1_saveexec_b32 s13, s7
; %bb.586:
	v_and_b32_e32 v17, 0xffff, v18
	v_or_b32_e32 v19, 0x10000, v18
	s_delay_alu instid0(VALU_DEP_2) | instskip(NEXT) | instid1(VALU_DEP_1)
	v_cmp_eq_u32_e64 s7, 0, v17
	v_cndmask_b32_e64 v17, v19, v18, s7
; %bb.587:
	s_or_b32 exec_lo, exec_lo, s13
	v_cmp_lt_i32_e64 s7, -1, v16
	s_delay_alu instid0(VALU_DEP_2) | instskip(NEXT) | instid1(VALU_DEP_2)
	v_perm_b32 v16, v17, v16, 0x7060302
	v_cndmask_b32_e64 v18, -1, 0xffff8000, s7
	v_cmp_lt_i32_e64 s7, -1, v17
	s_delay_alu instid0(VALU_DEP_1) | instskip(NEXT) | instid1(VALU_DEP_1)
	v_cndmask_b32_e64 v19, -1, 0xffff8000, s7
	v_perm_b32 v17, v19, v18, 0x5040100
	s_delay_alu instid0(VALU_DEP_1) | instskip(NEXT) | instid1(VALU_DEP_1)
	v_xor_b32_e32 v16, v17, v16
	v_lshrrev_b32_e32 v17, 16, v16
	s_delay_alu instid0(VALU_DEP_1) | instskip(NEXT) | instid1(VALU_DEP_1)
	v_cmp_le_u16_e64 s7, v16, v17
	s_and_b32 s13, s7, exec_lo
.LBB2066_588:
	s_or_b32 exec_lo, exec_lo, s11
	s_delay_alu instid0(SALU_CYCLE_1)
	s_or_not1_b32 s11, s13, exec_lo
.LBB2066_589:
	s_or_b32 exec_lo, exec_lo, s12
	v_cndmask_b32_e64 v16, v14, v15, s11
	v_cndmask_b32_e64 v17, v30, v21, s11
	s_mov_b32 s13, -1
	s_mov_b32 s12, -1
	s_mov_b32 s14, exec_lo
	v_add_nc_u32_e32 v18, 1, v16
	v_add_nc_u32_e32 v17, -1, v17
	v_lshl_add_u32 v16, v16, 3, v8
	s_delay_alu instid0(VALU_DEP_2)
	v_min_u32_e32 v17, v18, v17
	ds_load_b64 v[26:27], v16 offset:4096
	v_cndmask_b32_e64 v16, v18, v14, s11
	v_lshl_add_u32 v17, v17, 1, v12
	ds_load_u16 v19, v17
	v_cndmask_b32_e64 v17, v15, v18, s11
	s_waitcnt lgkmcnt(0)
	v_cndmask_b32_e64 v50, v19, v39, s11
	v_cndmask_b32_e64 v53, v49, v19, s11
	v_cmpx_lt_u32_e64 v16, v30
	s_cbranch_execz .LBB2066_601
; %bb.590:
	s_mov_b32 s15, 0
	s_mov_b32 s12, exec_lo
	v_cmpx_lt_u32_e64 v17, v21
	s_cbranch_execz .LBB2066_600
; %bb.591:
	v_lshlrev_b32_e32 v14, 16, v53
	s_delay_alu instid0(VALU_DEP_1) | instskip(NEXT) | instid1(VALU_DEP_1)
	v_add_f32_e32 v15, 0, v14
	v_and_b32_e32 v14, 0x7f800000, v15
	s_delay_alu instid0(VALU_DEP_1) | instskip(NEXT) | instid1(VALU_DEP_1)
	v_cmp_ne_u32_e64 s7, 0x7f800000, v14
                                        ; implicit-def: $vgpr14
	s_and_saveexec_b32 s15, s7
	s_delay_alu instid0(SALU_CYCLE_1)
	s_xor_b32 s7, exec_lo, s15
; %bb.592:
	v_bfe_u32 v14, v15, 16, 1
	s_delay_alu instid0(VALU_DEP_1)
	v_add3_u32 v14, v15, v14, 0x7fff
                                        ; implicit-def: $vgpr15
; %bb.593:
	s_and_not1_saveexec_b32 s15, s7
; %bb.594:
	v_and_b32_e32 v14, 0xffff, v15
	v_or_b32_e32 v18, 0x10000, v15
	s_delay_alu instid0(VALU_DEP_2) | instskip(NEXT) | instid1(VALU_DEP_1)
	v_cmp_eq_u32_e64 s7, 0, v14
	v_cndmask_b32_e64 v14, v18, v15, s7
; %bb.595:
	s_or_b32 exec_lo, exec_lo, s15
	v_lshlrev_b32_e32 v15, 16, v50
	s_delay_alu instid0(VALU_DEP_1) | instskip(NEXT) | instid1(VALU_DEP_1)
	v_add_f32_e32 v18, 0, v15
	v_and_b32_e32 v15, 0x7f800000, v18
	s_delay_alu instid0(VALU_DEP_1) | instskip(NEXT) | instid1(VALU_DEP_1)
	v_cmp_ne_u32_e64 s7, 0x7f800000, v15
                                        ; implicit-def: $vgpr15
	s_and_saveexec_b32 s15, s7
	s_delay_alu instid0(SALU_CYCLE_1)
	s_xor_b32 s7, exec_lo, s15
; %bb.596:
	v_bfe_u32 v15, v18, 16, 1
	s_delay_alu instid0(VALU_DEP_1)
	v_add3_u32 v15, v18, v15, 0x7fff
                                        ; implicit-def: $vgpr18
; %bb.597:
	s_and_not1_saveexec_b32 s15, s7
; %bb.598:
	v_and_b32_e32 v15, 0xffff, v18
	v_or_b32_e32 v19, 0x10000, v18
	s_delay_alu instid0(VALU_DEP_2) | instskip(NEXT) | instid1(VALU_DEP_1)
	v_cmp_eq_u32_e64 s7, 0, v15
	v_cndmask_b32_e64 v15, v19, v18, s7
; %bb.599:
	s_or_b32 exec_lo, exec_lo, s15
	v_cmp_lt_i32_e64 s7, -1, v14
	s_delay_alu instid0(VALU_DEP_2) | instskip(NEXT) | instid1(VALU_DEP_2)
	v_perm_b32 v14, v15, v14, 0x7060302
	v_cndmask_b32_e64 v18, -1, 0xffff8000, s7
	v_cmp_lt_i32_e64 s7, -1, v15
	s_delay_alu instid0(VALU_DEP_1) | instskip(NEXT) | instid1(VALU_DEP_1)
	v_cndmask_b32_e64 v19, -1, 0xffff8000, s7
	v_perm_b32 v15, v19, v18, 0x5040100
	s_delay_alu instid0(VALU_DEP_1) | instskip(NEXT) | instid1(VALU_DEP_1)
	v_xor_b32_e32 v14, v15, v14
	v_lshrrev_b32_e32 v15, 16, v14
	s_delay_alu instid0(VALU_DEP_1) | instskip(NEXT) | instid1(VALU_DEP_1)
	v_cmp_le_u16_e64 s7, v14, v15
	s_and_b32 s15, s7, exec_lo
.LBB2066_600:
	s_or_b32 exec_lo, exec_lo, s12
	s_delay_alu instid0(SALU_CYCLE_1)
	s_or_not1_b32 s12, s15, exec_lo
.LBB2066_601:
	s_or_b32 exec_lo, exec_lo, s14
	v_cndmask_b32_e64 v14, v16, v17, s12
	v_cndmask_b32_e64 v15, v30, v21, s12
	s_mov_b32 s14, exec_lo
	s_delay_alu instid0(VALU_DEP_2) | instskip(NEXT) | instid1(VALU_DEP_2)
	v_add_nc_u32_e32 v18, 1, v14
	v_add_nc_u32_e32 v15, -1, v15
	v_lshl_add_u32 v14, v14, 3, v8
	s_delay_alu instid0(VALU_DEP_3) | instskip(NEXT) | instid1(VALU_DEP_3)
	v_cndmask_b32_e64 v16, v18, v16, s12
	v_min_u32_e32 v15, v18, v15
	v_cndmask_b32_e64 v17, v17, v18, s12
	s_delay_alu instid0(VALU_DEP_2)
	v_lshl_add_u32 v15, v15, 1, v12
	ds_load_u16 v19, v15
	ds_load_b64 v[14:15], v14 offset:4096
	s_waitcnt lgkmcnt(1)
	v_cndmask_b32_e64 v51, v19, v50, s12
	v_cndmask_b32_e64 v54, v53, v19, s12
	v_cmpx_lt_u32_e64 v16, v30
	s_cbranch_execz .LBB2066_613
; %bb.602:
	s_mov_b32 s15, 0
	s_mov_b32 s13, exec_lo
	v_cmpx_lt_u32_e64 v17, v21
	s_cbranch_execz .LBB2066_612
; %bb.603:
	v_lshlrev_b32_e32 v18, 16, v54
	s_delay_alu instid0(VALU_DEP_1) | instskip(NEXT) | instid1(VALU_DEP_1)
	v_add_f32_e32 v19, 0, v18
	v_and_b32_e32 v18, 0x7f800000, v19
	s_delay_alu instid0(VALU_DEP_1) | instskip(NEXT) | instid1(VALU_DEP_1)
	v_cmp_ne_u32_e64 s7, 0x7f800000, v18
                                        ; implicit-def: $vgpr18
	s_and_saveexec_b32 s15, s7
	s_delay_alu instid0(SALU_CYCLE_1)
	s_xor_b32 s7, exec_lo, s15
; %bb.604:
	v_bfe_u32 v18, v19, 16, 1
	s_delay_alu instid0(VALU_DEP_1)
	v_add3_u32 v18, v19, v18, 0x7fff
                                        ; implicit-def: $vgpr19
; %bb.605:
	s_and_not1_saveexec_b32 s15, s7
; %bb.606:
	v_and_b32_e32 v18, 0xffff, v19
	v_or_b32_e32 v22, 0x10000, v19
	s_delay_alu instid0(VALU_DEP_2) | instskip(NEXT) | instid1(VALU_DEP_1)
	v_cmp_eq_u32_e64 s7, 0, v18
	v_cndmask_b32_e64 v18, v22, v19, s7
; %bb.607:
	s_or_b32 exec_lo, exec_lo, s15
	v_lshlrev_b32_e32 v19, 16, v51
	s_delay_alu instid0(VALU_DEP_1) | instskip(NEXT) | instid1(VALU_DEP_1)
	v_add_f32_e32 v22, 0, v19
	v_and_b32_e32 v19, 0x7f800000, v22
	s_delay_alu instid0(VALU_DEP_1) | instskip(NEXT) | instid1(VALU_DEP_1)
	v_cmp_ne_u32_e64 s7, 0x7f800000, v19
                                        ; implicit-def: $vgpr19
	s_and_saveexec_b32 s15, s7
	s_delay_alu instid0(SALU_CYCLE_1)
	s_xor_b32 s7, exec_lo, s15
; %bb.608:
	v_bfe_u32 v19, v22, 16, 1
	s_delay_alu instid0(VALU_DEP_1)
	v_add3_u32 v19, v22, v19, 0x7fff
                                        ; implicit-def: $vgpr22
; %bb.609:
	s_and_not1_saveexec_b32 s15, s7
; %bb.610:
	v_and_b32_e32 v19, 0xffff, v22
	v_or_b32_e32 v23, 0x10000, v22
	s_delay_alu instid0(VALU_DEP_2) | instskip(NEXT) | instid1(VALU_DEP_1)
	v_cmp_eq_u32_e64 s7, 0, v19
	v_cndmask_b32_e64 v19, v23, v22, s7
; %bb.611:
	s_or_b32 exec_lo, exec_lo, s15
	v_cmp_lt_i32_e64 s7, -1, v18
	s_delay_alu instid0(VALU_DEP_2) | instskip(NEXT) | instid1(VALU_DEP_2)
	v_perm_b32 v18, v19, v18, 0x7060302
	v_cndmask_b32_e64 v22, -1, 0xffff8000, s7
	v_cmp_lt_i32_e64 s7, -1, v19
	s_delay_alu instid0(VALU_DEP_1) | instskip(NEXT) | instid1(VALU_DEP_1)
	v_cndmask_b32_e64 v23, -1, 0xffff8000, s7
	v_perm_b32 v19, v23, v22, 0x5040100
	s_delay_alu instid0(VALU_DEP_1) | instskip(NEXT) | instid1(VALU_DEP_1)
	v_xor_b32_e32 v18, v19, v18
	v_lshrrev_b32_e32 v19, 16, v18
	s_delay_alu instid0(VALU_DEP_1) | instskip(NEXT) | instid1(VALU_DEP_1)
	v_cmp_le_u16_e64 s7, v18, v19
	s_and_b32 s15, s7, exec_lo
.LBB2066_612:
	s_or_b32 exec_lo, exec_lo, s13
	s_delay_alu instid0(SALU_CYCLE_1)
	s_or_not1_b32 s13, s15, exec_lo
.LBB2066_613:
	s_or_b32 exec_lo, exec_lo, s14
	v_cndmask_b32_e64 v18, v16, v17, s13
	v_cndmask_b32_e64 v19, v30, v21, s13
	s_mov_b32 s15, -1
	s_mov_b32 s14, -1
	s_mov_b32 s16, exec_lo
	v_add_nc_u32_e32 v22, 1, v18
	v_add_nc_u32_e32 v19, -1, v19
	v_lshl_add_u32 v18, v18, 3, v8
	s_delay_alu instid0(VALU_DEP_3) | instskip(NEXT) | instid1(VALU_DEP_3)
	v_cndmask_b32_e64 v16, v22, v16, s13
	v_min_u32_e32 v19, v22, v19
	v_cndmask_b32_e64 v17, v17, v22, s13
	ds_load_b64 v[28:29], v18 offset:4096
	v_lshl_add_u32 v19, v19, 1, v12
	ds_load_u16 v19, v19
	s_waitcnt lgkmcnt(0)
	v_cndmask_b32_e64 v48, v19, v51, s13
	v_cndmask_b32_e64 v55, v54, v19, s13
	v_cmpx_lt_u32_e64 v16, v30
	s_cbranch_execz .LBB2066_625
; %bb.614:
	s_mov_b32 s17, 0
	s_mov_b32 s14, exec_lo
	v_cmpx_lt_u32_e64 v17, v21
	s_cbranch_execz .LBB2066_624
; %bb.615:
	v_lshlrev_b32_e32 v18, 16, v55
	s_delay_alu instid0(VALU_DEP_1) | instskip(NEXT) | instid1(VALU_DEP_1)
	v_add_f32_e32 v19, 0, v18
	v_and_b32_e32 v18, 0x7f800000, v19
	s_delay_alu instid0(VALU_DEP_1) | instskip(NEXT) | instid1(VALU_DEP_1)
	v_cmp_ne_u32_e64 s7, 0x7f800000, v18
                                        ; implicit-def: $vgpr18
	s_and_saveexec_b32 s17, s7
	s_delay_alu instid0(SALU_CYCLE_1)
	s_xor_b32 s7, exec_lo, s17
; %bb.616:
	v_bfe_u32 v18, v19, 16, 1
	s_delay_alu instid0(VALU_DEP_1)
	v_add3_u32 v18, v19, v18, 0x7fff
                                        ; implicit-def: $vgpr19
; %bb.617:
	s_and_not1_saveexec_b32 s17, s7
; %bb.618:
	v_and_b32_e32 v18, 0xffff, v19
	v_or_b32_e32 v22, 0x10000, v19
	s_delay_alu instid0(VALU_DEP_2) | instskip(NEXT) | instid1(VALU_DEP_1)
	v_cmp_eq_u32_e64 s7, 0, v18
	v_cndmask_b32_e64 v18, v22, v19, s7
; %bb.619:
	s_or_b32 exec_lo, exec_lo, s17
	v_lshlrev_b32_e32 v19, 16, v48
	s_delay_alu instid0(VALU_DEP_1) | instskip(NEXT) | instid1(VALU_DEP_1)
	v_add_f32_e32 v22, 0, v19
	v_and_b32_e32 v19, 0x7f800000, v22
	s_delay_alu instid0(VALU_DEP_1) | instskip(NEXT) | instid1(VALU_DEP_1)
	v_cmp_ne_u32_e64 s7, 0x7f800000, v19
                                        ; implicit-def: $vgpr19
	s_and_saveexec_b32 s17, s7
	s_delay_alu instid0(SALU_CYCLE_1)
	s_xor_b32 s7, exec_lo, s17
; %bb.620:
	v_bfe_u32 v19, v22, 16, 1
	s_delay_alu instid0(VALU_DEP_1)
	v_add3_u32 v19, v22, v19, 0x7fff
                                        ; implicit-def: $vgpr22
; %bb.621:
	s_and_not1_saveexec_b32 s17, s7
; %bb.622:
	v_and_b32_e32 v19, 0xffff, v22
	v_or_b32_e32 v23, 0x10000, v22
	s_delay_alu instid0(VALU_DEP_2) | instskip(NEXT) | instid1(VALU_DEP_1)
	v_cmp_eq_u32_e64 s7, 0, v19
	v_cndmask_b32_e64 v19, v23, v22, s7
; %bb.623:
	s_or_b32 exec_lo, exec_lo, s17
	v_cmp_lt_i32_e64 s7, -1, v18
	s_delay_alu instid0(VALU_DEP_2) | instskip(NEXT) | instid1(VALU_DEP_2)
	v_perm_b32 v18, v19, v18, 0x7060302
	v_cndmask_b32_e64 v22, -1, 0xffff8000, s7
	v_cmp_lt_i32_e64 s7, -1, v19
	s_delay_alu instid0(VALU_DEP_1) | instskip(NEXT) | instid1(VALU_DEP_1)
	v_cndmask_b32_e64 v23, -1, 0xffff8000, s7
	v_perm_b32 v19, v23, v22, 0x5040100
	s_delay_alu instid0(VALU_DEP_1) | instskip(NEXT) | instid1(VALU_DEP_1)
	v_xor_b32_e32 v18, v19, v18
	v_lshrrev_b32_e32 v19, 16, v18
	s_delay_alu instid0(VALU_DEP_1) | instskip(NEXT) | instid1(VALU_DEP_1)
	v_cmp_le_u16_e64 s7, v18, v19
	s_and_b32 s17, s7, exec_lo
.LBB2066_624:
	s_or_b32 exec_lo, exec_lo, s14
	s_delay_alu instid0(SALU_CYCLE_1)
	s_or_not1_b32 s14, s17, exec_lo
.LBB2066_625:
	s_or_b32 exec_lo, exec_lo, s16
	v_cndmask_b32_e64 v18, v16, v17, s14
	v_cndmask_b32_e64 v19, v30, v21, s14
	s_mov_b32 s16, exec_lo
	s_delay_alu instid0(VALU_DEP_2) | instskip(NEXT) | instid1(VALU_DEP_2)
	v_add_nc_u32_e32 v23, 1, v18
	v_add_nc_u32_e32 v19, -1, v19
	v_lshl_add_u32 v18, v18, 3, v8
	s_delay_alu instid0(VALU_DEP_3) | instskip(NEXT) | instid1(VALU_DEP_3)
	v_cndmask_b32_e64 v22, v23, v16, s14
	v_min_u32_e32 v19, v23, v19
	v_cndmask_b32_e64 v23, v17, v23, s14
	s_delay_alu instid0(VALU_DEP_2)
	v_lshl_add_u32 v19, v19, 1, v12
	ds_load_u16 v64, v19
	ds_load_b64 v[18:19], v18 offset:4096
	s_waitcnt lgkmcnt(1)
	v_cndmask_b32_e64 v52, v64, v48, s14
	v_cndmask_b32_e64 v64, v55, v64, s14
	v_cmpx_lt_u32_e64 v22, v30
	s_cbranch_execz .LBB2066_637
; %bb.626:
	s_mov_b32 s17, 0
	s_mov_b32 s15, exec_lo
	v_cmpx_lt_u32_e64 v23, v21
	s_cbranch_execz .LBB2066_636
; %bb.627:
	v_lshlrev_b32_e32 v16, 16, v64
	s_delay_alu instid0(VALU_DEP_1) | instskip(NEXT) | instid1(VALU_DEP_1)
	v_add_f32_e32 v17, 0, v16
	v_and_b32_e32 v16, 0x7f800000, v17
	s_delay_alu instid0(VALU_DEP_1) | instskip(NEXT) | instid1(VALU_DEP_1)
	v_cmp_ne_u32_e64 s7, 0x7f800000, v16
                                        ; implicit-def: $vgpr16
	s_and_saveexec_b32 s17, s7
	s_delay_alu instid0(SALU_CYCLE_1)
	s_xor_b32 s7, exec_lo, s17
; %bb.628:
	v_bfe_u32 v16, v17, 16, 1
	s_delay_alu instid0(VALU_DEP_1)
	v_add3_u32 v16, v17, v16, 0x7fff
                                        ; implicit-def: $vgpr17
; %bb.629:
	s_and_not1_saveexec_b32 s17, s7
; %bb.630:
	v_and_b32_e32 v16, 0xffff, v17
	v_or_b32_e32 v65, 0x10000, v17
	s_delay_alu instid0(VALU_DEP_2) | instskip(NEXT) | instid1(VALU_DEP_1)
	v_cmp_eq_u32_e64 s7, 0, v16
	v_cndmask_b32_e64 v16, v65, v17, s7
; %bb.631:
	s_or_b32 exec_lo, exec_lo, s17
	v_lshlrev_b32_e32 v17, 16, v52
	s_delay_alu instid0(VALU_DEP_1) | instskip(NEXT) | instid1(VALU_DEP_1)
	v_add_f32_e32 v65, 0, v17
	v_and_b32_e32 v17, 0x7f800000, v65
	s_delay_alu instid0(VALU_DEP_1) | instskip(NEXT) | instid1(VALU_DEP_1)
	v_cmp_ne_u32_e64 s7, 0x7f800000, v17
                                        ; implicit-def: $vgpr17
	s_and_saveexec_b32 s17, s7
	s_delay_alu instid0(SALU_CYCLE_1)
	s_xor_b32 s7, exec_lo, s17
; %bb.632:
	v_bfe_u32 v17, v65, 16, 1
	s_delay_alu instid0(VALU_DEP_1)
	v_add3_u32 v17, v65, v17, 0x7fff
                                        ; implicit-def: $vgpr65
; %bb.633:
	s_and_not1_saveexec_b32 s17, s7
; %bb.634:
	v_and_b32_e32 v17, 0xffff, v65
	v_or_b32_e32 v66, 0x10000, v65
	s_delay_alu instid0(VALU_DEP_2) | instskip(NEXT) | instid1(VALU_DEP_1)
	v_cmp_eq_u32_e64 s7, 0, v17
	v_cndmask_b32_e64 v17, v66, v65, s7
; %bb.635:
	s_or_b32 exec_lo, exec_lo, s17
	v_cmp_lt_i32_e64 s7, -1, v16
	s_delay_alu instid0(VALU_DEP_2) | instskip(NEXT) | instid1(VALU_DEP_2)
	v_perm_b32 v16, v17, v16, 0x7060302
	v_cndmask_b32_e64 v65, -1, 0xffff8000, s7
	v_cmp_lt_i32_e64 s7, -1, v17
	s_delay_alu instid0(VALU_DEP_1) | instskip(NEXT) | instid1(VALU_DEP_1)
	v_cndmask_b32_e64 v66, -1, 0xffff8000, s7
	v_perm_b32 v17, v66, v65, 0x5040100
	s_delay_alu instid0(VALU_DEP_1) | instskip(NEXT) | instid1(VALU_DEP_1)
	v_xor_b32_e32 v16, v17, v16
	v_lshrrev_b32_e32 v17, 16, v16
	s_delay_alu instid0(VALU_DEP_1) | instskip(NEXT) | instid1(VALU_DEP_1)
	v_cmp_le_u16_e64 s7, v16, v17
	s_and_b32 s17, s7, exec_lo
.LBB2066_636:
	s_or_b32 exec_lo, exec_lo, s15
	s_delay_alu instid0(SALU_CYCLE_1)
	s_or_not1_b32 s15, s17, exec_lo
.LBB2066_637:
	s_or_b32 exec_lo, exec_lo, s16
	v_cndmask_b32_e64 v16, v22, v23, s15
	v_cndmask_b32_e64 v17, v30, v21, s15
	s_mov_b32 s17, -1
	s_mov_b32 s16, exec_lo
	s_delay_alu instid0(VALU_DEP_2) | instskip(NEXT) | instid1(VALU_DEP_2)
	v_add_nc_u32_e32 v65, 1, v16
	v_add_nc_u32_e32 v17, -1, v17
	v_lshl_add_u32 v16, v16, 3, v8
	s_delay_alu instid0(VALU_DEP_3) | instskip(NEXT) | instid1(VALU_DEP_3)
	v_cndmask_b32_e64 v22, v65, v22, s15
	v_min_u32_e32 v17, v65, v17
	v_cndmask_b32_e64 v23, v23, v65, s15
	s_delay_alu instid0(VALU_DEP_2)
	v_lshl_add_u32 v17, v17, 1, v12
	ds_load_u16 v66, v17
	ds_load_b64 v[16:17], v16 offset:4096
	s_waitcnt lgkmcnt(1)
	v_cndmask_b32_e64 v65, v66, v52, s15
	v_cndmask_b32_e64 v66, v64, v66, s15
	v_cmpx_lt_u32_e64 v22, v30
	s_cbranch_execz .LBB2066_649
; %bb.638:
	s_mov_b32 s18, 0
	s_mov_b32 s17, exec_lo
	v_cmpx_lt_u32_e64 v23, v21
	s_cbranch_execz .LBB2066_648
; %bb.639:
	v_lshlrev_b32_e32 v21, 16, v66
	s_delay_alu instid0(VALU_DEP_1) | instskip(NEXT) | instid1(VALU_DEP_1)
	v_add_f32_e32 v30, 0, v21
	v_and_b32_e32 v21, 0x7f800000, v30
	s_delay_alu instid0(VALU_DEP_1) | instskip(NEXT) | instid1(VALU_DEP_1)
	v_cmp_ne_u32_e64 s7, 0x7f800000, v21
                                        ; implicit-def: $vgpr21
	s_and_saveexec_b32 s18, s7
	s_delay_alu instid0(SALU_CYCLE_1)
	s_xor_b32 s7, exec_lo, s18
; %bb.640:
	v_bfe_u32 v21, v30, 16, 1
	s_delay_alu instid0(VALU_DEP_1)
	v_add3_u32 v21, v30, v21, 0x7fff
                                        ; implicit-def: $vgpr30
; %bb.641:
	s_and_not1_saveexec_b32 s18, s7
; %bb.642:
	v_and_b32_e32 v21, 0xffff, v30
	v_or_b32_e32 v67, 0x10000, v30
	s_delay_alu instid0(VALU_DEP_2) | instskip(NEXT) | instid1(VALU_DEP_1)
	v_cmp_eq_u32_e64 s7, 0, v21
	v_cndmask_b32_e64 v21, v67, v30, s7
; %bb.643:
	s_or_b32 exec_lo, exec_lo, s18
	v_lshlrev_b32_e32 v30, 16, v65
	s_delay_alu instid0(VALU_DEP_1) | instskip(NEXT) | instid1(VALU_DEP_1)
	v_add_f32_e32 v67, 0, v30
	v_and_b32_e32 v30, 0x7f800000, v67
	s_delay_alu instid0(VALU_DEP_1) | instskip(NEXT) | instid1(VALU_DEP_1)
	v_cmp_ne_u32_e64 s7, 0x7f800000, v30
                                        ; implicit-def: $vgpr30
	s_and_saveexec_b32 s18, s7
	s_delay_alu instid0(SALU_CYCLE_1)
	s_xor_b32 s7, exec_lo, s18
; %bb.644:
	v_bfe_u32 v30, v67, 16, 1
	s_delay_alu instid0(VALU_DEP_1)
	v_add3_u32 v30, v67, v30, 0x7fff
                                        ; implicit-def: $vgpr67
; %bb.645:
	s_and_not1_saveexec_b32 s18, s7
; %bb.646:
	v_and_b32_e32 v30, 0xffff, v67
	v_or_b32_e32 v68, 0x10000, v67
	s_delay_alu instid0(VALU_DEP_2) | instskip(NEXT) | instid1(VALU_DEP_1)
	v_cmp_eq_u32_e64 s7, 0, v30
	v_cndmask_b32_e64 v30, v68, v67, s7
; %bb.647:
	s_or_b32 exec_lo, exec_lo, s18
	v_cmp_lt_i32_e64 s7, -1, v21
	s_delay_alu instid0(VALU_DEP_2) | instskip(NEXT) | instid1(VALU_DEP_2)
	v_perm_b32 v21, v30, v21, 0x7060302
	v_cndmask_b32_e64 v67, -1, 0xffff8000, s7
	v_cmp_lt_i32_e64 s7, -1, v30
	s_delay_alu instid0(VALU_DEP_1) | instskip(NEXT) | instid1(VALU_DEP_1)
	v_cndmask_b32_e64 v68, -1, 0xffff8000, s7
	v_perm_b32 v30, v68, v67, 0x5040100
	s_delay_alu instid0(VALU_DEP_1) | instskip(NEXT) | instid1(VALU_DEP_1)
	v_xor_b32_e32 v21, v30, v21
	v_lshrrev_b32_e32 v30, 16, v21
	s_delay_alu instid0(VALU_DEP_1) | instskip(NEXT) | instid1(VALU_DEP_1)
	v_cmp_le_u16_e64 s7, v21, v30
	s_and_b32 s18, s7, exec_lo
.LBB2066_648:
	s_or_b32 exec_lo, exec_lo, s17
	s_delay_alu instid0(SALU_CYCLE_1)
	s_or_not1_b32 s17, s18, exec_lo
.LBB2066_649:
	s_or_b32 exec_lo, exec_lo, s16
	v_cndmask_b32_e64 v21, v22, v23, s17
	v_cndmask_b32_e64 v52, v52, v64, s15
	;; [unrolled: 1-line block ×5, first 2 shown]
	v_lshl_add_u32 v21, v21, 3, v8
	v_cndmask_b32_e64 v50, v39, v49, s11
	v_cndmask_b32_e64 v49, v33, v38, s8
	;; [unrolled: 1-line block ×4, first 2 shown]
	ds_load_b64 v[22:23], v21 offset:4096
.LBB2066_650:
	s_or_b32 exec_lo, exec_lo, s9
	v_and_b32_e32 v32, 0x80, v37
	v_min_u32_e32 v33, v13, v36
	v_perm_b32 v55, v39, v52, 0x5040100
	v_perm_b32 v54, v48, v51, 0x5040100
	;; [unrolled: 1-line block ×3, first 2 shown]
	v_or_b32_e32 v21, 64, v32
	v_perm_b32 v64, v49, v38, 0x5040100
	s_mov_b32 s8, exec_lo
	; wave barrier
	s_delay_alu instid0(VALU_DEP_2)
	v_min_u32_e32 v21, v13, v21
	ds_store_2addr_b64 v20, v[26:27], v[14:15] offset0:2 offset1:3
	ds_store_2addr_b64 v20, v[28:29], v[18:19] offset0:4 offset1:5
	ds_store_2addr_b64 v20, v[4:5], v[10:11] offset1:1
	ds_store_2addr_b64 v9, v[64:65], v[54:55] offset1:1
	s_waitcnt lgkmcnt(4)
	ds_store_2addr_b64 v20, v[16:17], v[22:23] offset0:6 offset1:7
	; wave barrier
	v_add_nc_u32_e32 v30, 64, v21
	s_delay_alu instid0(VALU_DEP_1) | instskip(SKIP_1) | instid1(VALU_DEP_2)
	v_min_u32_e32 v30, v13, v30
	v_sub_nc_u32_e32 v13, v21, v32
	v_sub_nc_u32_e32 v31, v30, v21
	s_delay_alu instid0(VALU_DEP_2) | instskip(NEXT) | instid1(VALU_DEP_2)
	v_min_u32_e32 v36, v33, v13
	v_sub_nc_u32_e64 v13, v33, v31 clamp
	v_lshl_add_u32 v31, v32, 1, v12
	s_delay_alu instid0(VALU_DEP_2)
	v_cmpx_lt_u32_e64 v13, v36
	s_cbranch_execz .LBB2066_662
; %bb.651:
	v_lshlrev_b32_e32 v9, 1, v21
	v_lshlrev_b32_e32 v20, 1, v33
	s_mov_b32 s9, 0
	s_delay_alu instid0(VALU_DEP_1)
	v_add3_u32 v9, v12, v9, v20
	s_branch .LBB2066_653
.LBB2066_652:                           ;   in Loop: Header=BB2066_653 Depth=1
	s_or_b32 exec_lo, exec_lo, s10
	v_cmp_lt_i32_e64 s7, -1, v37
	v_lshrrev_b32_e32 v55, 16, v37
	v_lshrrev_b32_e32 v64, 16, v54
	s_delay_alu instid0(VALU_DEP_3) | instskip(SKIP_1) | instid1(VALU_DEP_2)
	v_cndmask_b32_e64 v37, -1, 0xffff8000, s7
	v_cmp_lt_i32_e64 s7, -1, v54
	v_xor_b32_e32 v37, v37, v55
	s_delay_alu instid0(VALU_DEP_2) | instskip(SKIP_1) | instid1(VALU_DEP_2)
	v_cndmask_b32_e64 v54, -1, 0xffff8000, s7
	v_add_nc_u32_e32 v55, 1, v20
	v_xor_b32_e32 v54, v54, v64
	s_delay_alu instid0(VALU_DEP_1) | instskip(NEXT) | instid1(VALU_DEP_1)
	v_cmp_gt_u16_e64 s7, v37, v54
	v_cndmask_b32_e64 v36, v36, v20, s7
	s_delay_alu instid0(VALU_DEP_4) | instskip(NEXT) | instid1(VALU_DEP_1)
	v_cndmask_b32_e64 v13, v55, v13, s7
	v_cmp_ge_u32_e64 s7, v13, v36
	s_delay_alu instid0(VALU_DEP_1) | instskip(NEXT) | instid1(SALU_CYCLE_1)
	s_or_b32 s9, s7, s9
	s_and_not1_b32 exec_lo, exec_lo, s9
	s_cbranch_execz .LBB2066_661
.LBB2066_653:                           ; =>This Inner Loop Header: Depth=1
	v_add_nc_u32_e32 v20, v36, v13
	s_delay_alu instid0(VALU_DEP_1) | instskip(SKIP_1) | instid1(VALU_DEP_2)
	v_and_b32_e32 v37, -2, v20
	v_lshrrev_b32_e32 v20, 1, v20
	v_add_nc_u32_e32 v37, v31, v37
	s_delay_alu instid0(VALU_DEP_2)
	v_not_b32_e32 v54, v20
	ds_load_u16 v37, v37
	v_lshl_add_u32 v54, v54, 1, v9
	ds_load_u16 v54, v54
	s_waitcnt lgkmcnt(1)
	v_lshlrev_b32_e32 v37, 16, v37
	s_delay_alu instid0(VALU_DEP_1) | instskip(NEXT) | instid1(VALU_DEP_1)
	v_add_f32_e32 v55, 0, v37
	v_and_b32_e32 v37, 0x7f800000, v55
	s_delay_alu instid0(VALU_DEP_1) | instskip(NEXT) | instid1(VALU_DEP_1)
	v_cmp_ne_u32_e64 s7, 0x7f800000, v37
                                        ; implicit-def: $vgpr37
	s_and_saveexec_b32 s10, s7
	s_delay_alu instid0(SALU_CYCLE_1)
	s_xor_b32 s7, exec_lo, s10
; %bb.654:                              ;   in Loop: Header=BB2066_653 Depth=1
	v_bfe_u32 v37, v55, 16, 1
	s_delay_alu instid0(VALU_DEP_1)
	v_add3_u32 v37, v55, v37, 0x7fff
                                        ; implicit-def: $vgpr55
; %bb.655:                              ;   in Loop: Header=BB2066_653 Depth=1
	s_and_not1_saveexec_b32 s10, s7
; %bb.656:                              ;   in Loop: Header=BB2066_653 Depth=1
	v_and_b32_e32 v37, 0xffff, v55
	v_or_b32_e32 v64, 0x10000, v55
	s_delay_alu instid0(VALU_DEP_2) | instskip(NEXT) | instid1(VALU_DEP_1)
	v_cmp_eq_u32_e64 s7, 0, v37
	v_cndmask_b32_e64 v37, v64, v55, s7
; %bb.657:                              ;   in Loop: Header=BB2066_653 Depth=1
	s_or_b32 exec_lo, exec_lo, s10
	s_waitcnt lgkmcnt(0)
	v_lshlrev_b32_e32 v54, 16, v54
	s_delay_alu instid0(VALU_DEP_1) | instskip(NEXT) | instid1(VALU_DEP_1)
	v_add_f32_e32 v55, 0, v54
	v_and_b32_e32 v54, 0x7f800000, v55
	s_delay_alu instid0(VALU_DEP_1) | instskip(NEXT) | instid1(VALU_DEP_1)
	v_cmp_ne_u32_e64 s7, 0x7f800000, v54
                                        ; implicit-def: $vgpr54
	s_and_saveexec_b32 s10, s7
	s_delay_alu instid0(SALU_CYCLE_1)
	s_xor_b32 s7, exec_lo, s10
; %bb.658:                              ;   in Loop: Header=BB2066_653 Depth=1
	v_bfe_u32 v54, v55, 16, 1
	s_delay_alu instid0(VALU_DEP_1)
	v_add3_u32 v54, v55, v54, 0x7fff
                                        ; implicit-def: $vgpr55
; %bb.659:                              ;   in Loop: Header=BB2066_653 Depth=1
	s_and_not1_saveexec_b32 s10, s7
	s_cbranch_execz .LBB2066_652
; %bb.660:                              ;   in Loop: Header=BB2066_653 Depth=1
	v_and_b32_e32 v54, 0xffff, v55
	v_or_b32_e32 v64, 0x10000, v55
	s_delay_alu instid0(VALU_DEP_2) | instskip(NEXT) | instid1(VALU_DEP_1)
	v_cmp_eq_u32_e64 s7, 0, v54
	v_cndmask_b32_e64 v54, v64, v55, s7
	s_branch .LBB2066_652
.LBB2066_661:
	s_or_b32 exec_lo, exec_lo, s9
.LBB2066_662:
	s_delay_alu instid0(SALU_CYCLE_1) | instskip(SKIP_2) | instid1(VALU_DEP_2)
	s_or_b32 exec_lo, exec_lo, s8
	v_add_nc_u32_e32 v9, v21, v33
	v_add_nc_u32_e32 v20, v13, v32
	v_sub_nc_u32_e32 v32, v9, v13
	s_delay_alu instid0(VALU_DEP_2) | instskip(NEXT) | instid1(VALU_DEP_2)
	v_cmp_le_u32_e64 s7, v20, v21
	v_cmp_le_u32_e64 s8, v32, v30
	s_delay_alu instid0(VALU_DEP_1) | instskip(NEXT) | instid1(SALU_CYCLE_1)
	s_or_b32 s7, s7, s8
	s_and_saveexec_b32 s9, s7
	s_cbranch_execz .LBB2066_762
; %bb.663:
	v_cmp_ge_u32_e64 s7, v20, v21
	s_mov_b32 s10, exec_lo
                                        ; implicit-def: $vgpr9
	v_cmpx_lt_u32_e64 v20, v21
	s_cbranch_execz .LBB2066_665
; %bb.664:
	v_lshl_add_u32 v4, v13, 1, v31
	ds_load_u16 v9, v4
.LBB2066_665:
	s_or_b32 exec_lo, exec_lo, s10
	v_cmp_ge_u32_e64 s10, v32, v30
	s_mov_b32 s11, exec_lo
                                        ; implicit-def: $vgpr13
	v_cmpx_lt_u32_e64 v32, v30
	s_cbranch_execz .LBB2066_667
; %bb.666:
	v_lshl_add_u32 v4, v32, 1, v12
	ds_load_u16 v13, v4
.LBB2066_667:
	s_or_b32 exec_lo, exec_lo, s11
	s_or_b32 s7, s7, s10
	s_delay_alu instid0(SALU_CYCLE_1) | instskip(NEXT) | instid1(SALU_CYCLE_1)
	s_xor_b32 s7, s7, -1
	s_and_saveexec_b32 s8, s7
	s_cbranch_execz .LBB2066_677
; %bb.668:
	s_waitcnt lgkmcnt(0)
	v_lshlrev_b32_e32 v4, 16, v9
	s_delay_alu instid0(VALU_DEP_1) | instskip(NEXT) | instid1(VALU_DEP_1)
	v_add_f32_e32 v5, 0, v4
	v_and_b32_e32 v4, 0x7f800000, v5
	s_delay_alu instid0(VALU_DEP_1) | instskip(NEXT) | instid1(VALU_DEP_1)
	v_cmp_ne_u32_e64 s7, 0x7f800000, v4
                                        ; implicit-def: $vgpr4
	s_and_saveexec_b32 s11, s7
	s_delay_alu instid0(SALU_CYCLE_1)
	s_xor_b32 s7, exec_lo, s11
; %bb.669:
	v_bfe_u32 v4, v5, 16, 1
	s_delay_alu instid0(VALU_DEP_1)
	v_add3_u32 v4, v5, v4, 0x7fff
                                        ; implicit-def: $vgpr5
; %bb.670:
	s_and_not1_saveexec_b32 s11, s7
; %bb.671:
	v_and_b32_e32 v4, 0xffff, v5
	v_or_b32_e32 v10, 0x10000, v5
	s_delay_alu instid0(VALU_DEP_2) | instskip(NEXT) | instid1(VALU_DEP_1)
	v_cmp_eq_u32_e64 s7, 0, v4
	v_cndmask_b32_e64 v4, v10, v5, s7
; %bb.672:
	s_or_b32 exec_lo, exec_lo, s11
	v_lshlrev_b32_e32 v5, 16, v13
	s_delay_alu instid0(VALU_DEP_1) | instskip(NEXT) | instid1(VALU_DEP_1)
	v_add_f32_e32 v10, 0, v5
	v_and_b32_e32 v5, 0x7f800000, v10
	s_delay_alu instid0(VALU_DEP_1) | instskip(NEXT) | instid1(VALU_DEP_1)
	v_cmp_ne_u32_e64 s7, 0x7f800000, v5
                                        ; implicit-def: $vgpr5
	s_and_saveexec_b32 s11, s7
	s_delay_alu instid0(SALU_CYCLE_1)
	s_xor_b32 s7, exec_lo, s11
; %bb.673:
	v_bfe_u32 v5, v10, 16, 1
	s_delay_alu instid0(VALU_DEP_1)
	v_add3_u32 v5, v10, v5, 0x7fff
                                        ; implicit-def: $vgpr10
; %bb.674:
	s_and_not1_saveexec_b32 s11, s7
; %bb.675:
	v_and_b32_e32 v5, 0xffff, v10
	v_or_b32_e32 v11, 0x10000, v10
	s_delay_alu instid0(VALU_DEP_2) | instskip(NEXT) | instid1(VALU_DEP_1)
	v_cmp_eq_u32_e64 s7, 0, v5
	v_cndmask_b32_e64 v5, v11, v10, s7
; %bb.676:
	s_or_b32 exec_lo, exec_lo, s11
	v_cmp_lt_i32_e64 s7, -1, v4
	s_delay_alu instid0(VALU_DEP_2) | instskip(SKIP_1) | instid1(VALU_DEP_2)
	v_perm_b32 v4, v5, v4, 0x7060302
	s_and_not1_b32 s10, s10, exec_lo
	v_cndmask_b32_e64 v10, -1, 0xffff8000, s7
	v_cmp_lt_i32_e64 s7, -1, v5
	s_delay_alu instid0(VALU_DEP_1) | instskip(NEXT) | instid1(VALU_DEP_1)
	v_cndmask_b32_e64 v11, -1, 0xffff8000, s7
	v_perm_b32 v5, v11, v10, 0x5040100
	s_delay_alu instid0(VALU_DEP_1) | instskip(NEXT) | instid1(VALU_DEP_1)
	v_xor_b32_e32 v4, v5, v4
	v_lshrrev_b32_e32 v5, 16, v4
	s_delay_alu instid0(VALU_DEP_1) | instskip(NEXT) | instid1(VALU_DEP_1)
	v_cmp_le_u16_e64 s7, v4, v5
	s_and_b32 s7, s7, exec_lo
	s_delay_alu instid0(SALU_CYCLE_1)
	s_or_b32 s10, s10, s7
.LBB2066_677:
	s_or_b32 exec_lo, exec_lo, s8
	v_cndmask_b32_e64 v4, v32, v20, s10
	v_cndmask_b32_e64 v5, v30, v21, s10
	s_mov_b32 s11, -1
	s_mov_b32 s8, -1
	s_mov_b32 s12, exec_lo
	v_add_nc_u32_e32 v10, 1, v4
	v_add_nc_u32_e32 v5, -1, v5
	v_lshl_add_u32 v4, v4, 3, v8
	s_delay_alu instid0(VALU_DEP_3) | instskip(NEXT) | instid1(VALU_DEP_3)
	v_cndmask_b32_e64 v14, v10, v32, s10
	v_min_u32_e32 v5, v10, v5
	v_cndmask_b32_e64 v15, v20, v10, s10
	s_delay_alu instid0(VALU_DEP_2)
	v_lshl_add_u32 v5, v5, 1, v12
	ds_load_u16 v11, v5
	ds_load_b64 v[4:5], v4 offset:4096
	s_waitcnt lgkmcnt(1)
	v_cndmask_b32_e64 v20, v11, v13, s10
	v_cndmask_b32_e64 v31, v9, v11, s10
	v_cmpx_lt_u32_e64 v14, v30
	s_cbranch_execz .LBB2066_689
; %bb.678:
	s_mov_b32 s13, 0
	s_mov_b32 s8, exec_lo
	v_cmpx_lt_u32_e64 v15, v21
	s_cbranch_execz .LBB2066_688
; %bb.679:
	v_lshlrev_b32_e32 v10, 16, v31
	s_delay_alu instid0(VALU_DEP_1) | instskip(NEXT) | instid1(VALU_DEP_1)
	v_add_f32_e32 v11, 0, v10
	v_and_b32_e32 v10, 0x7f800000, v11
	s_delay_alu instid0(VALU_DEP_1) | instskip(NEXT) | instid1(VALU_DEP_1)
	v_cmp_ne_u32_e64 s7, 0x7f800000, v10
                                        ; implicit-def: $vgpr10
	s_and_saveexec_b32 s13, s7
	s_delay_alu instid0(SALU_CYCLE_1)
	s_xor_b32 s7, exec_lo, s13
; %bb.680:
	v_bfe_u32 v10, v11, 16, 1
	s_delay_alu instid0(VALU_DEP_1)
	v_add3_u32 v10, v11, v10, 0x7fff
                                        ; implicit-def: $vgpr11
; %bb.681:
	s_and_not1_saveexec_b32 s13, s7
; %bb.682:
	v_and_b32_e32 v10, 0xffff, v11
	v_or_b32_e32 v16, 0x10000, v11
	s_delay_alu instid0(VALU_DEP_2) | instskip(NEXT) | instid1(VALU_DEP_1)
	v_cmp_eq_u32_e64 s7, 0, v10
	v_cndmask_b32_e64 v10, v16, v11, s7
; %bb.683:
	s_or_b32 exec_lo, exec_lo, s13
	v_lshlrev_b32_e32 v11, 16, v20
	s_delay_alu instid0(VALU_DEP_1) | instskip(NEXT) | instid1(VALU_DEP_1)
	v_add_f32_e32 v16, 0, v11
	v_and_b32_e32 v11, 0x7f800000, v16
	s_delay_alu instid0(VALU_DEP_1) | instskip(NEXT) | instid1(VALU_DEP_1)
	v_cmp_ne_u32_e64 s7, 0x7f800000, v11
                                        ; implicit-def: $vgpr11
	s_and_saveexec_b32 s13, s7
	s_delay_alu instid0(SALU_CYCLE_1)
	s_xor_b32 s7, exec_lo, s13
; %bb.684:
	v_bfe_u32 v11, v16, 16, 1
	s_delay_alu instid0(VALU_DEP_1)
	v_add3_u32 v11, v16, v11, 0x7fff
                                        ; implicit-def: $vgpr16
; %bb.685:
	s_and_not1_saveexec_b32 s13, s7
; %bb.686:
	v_and_b32_e32 v11, 0xffff, v16
	v_or_b32_e32 v17, 0x10000, v16
	s_delay_alu instid0(VALU_DEP_2) | instskip(NEXT) | instid1(VALU_DEP_1)
	v_cmp_eq_u32_e64 s7, 0, v11
	v_cndmask_b32_e64 v11, v17, v16, s7
; %bb.687:
	s_or_b32 exec_lo, exec_lo, s13
	v_cmp_lt_i32_e64 s7, -1, v10
	s_delay_alu instid0(VALU_DEP_2) | instskip(NEXT) | instid1(VALU_DEP_2)
	v_perm_b32 v10, v11, v10, 0x7060302
	v_cndmask_b32_e64 v16, -1, 0xffff8000, s7
	v_cmp_lt_i32_e64 s7, -1, v11
	s_delay_alu instid0(VALU_DEP_1) | instskip(NEXT) | instid1(VALU_DEP_1)
	v_cndmask_b32_e64 v17, -1, 0xffff8000, s7
	v_perm_b32 v11, v17, v16, 0x5040100
	s_delay_alu instid0(VALU_DEP_1) | instskip(NEXT) | instid1(VALU_DEP_1)
	v_xor_b32_e32 v10, v11, v10
	v_lshrrev_b32_e32 v11, 16, v10
	s_delay_alu instid0(VALU_DEP_1) | instskip(NEXT) | instid1(VALU_DEP_1)
	v_cmp_le_u16_e64 s7, v10, v11
	s_and_b32 s13, s7, exec_lo
.LBB2066_688:
	s_or_b32 exec_lo, exec_lo, s8
	s_delay_alu instid0(SALU_CYCLE_1)
	s_or_not1_b32 s8, s13, exec_lo
.LBB2066_689:
	s_or_b32 exec_lo, exec_lo, s12
	v_cndmask_b32_e64 v10, v14, v15, s8
	v_cndmask_b32_e64 v11, v30, v21, s8
	s_mov_b32 s12, exec_lo
	s_delay_alu instid0(VALU_DEP_2) | instskip(NEXT) | instid1(VALU_DEP_2)
	v_add_nc_u32_e32 v16, 1, v10
	v_add_nc_u32_e32 v11, -1, v11
	v_lshl_add_u32 v10, v10, 3, v8
	s_delay_alu instid0(VALU_DEP_3) | instskip(NEXT) | instid1(VALU_DEP_3)
	v_cndmask_b32_e64 v14, v16, v14, s8
	v_min_u32_e32 v11, v16, v11
	v_cndmask_b32_e64 v15, v15, v16, s8
	s_delay_alu instid0(VALU_DEP_2)
	v_lshl_add_u32 v11, v11, 1, v12
	ds_load_u16 v17, v11
	ds_load_b64 v[10:11], v10 offset:4096
	s_waitcnt lgkmcnt(1)
	v_cndmask_b32_e64 v32, v17, v20, s8
	v_cndmask_b32_e64 v33, v31, v17, s8
	v_cmpx_lt_u32_e64 v14, v30
	s_cbranch_execz .LBB2066_701
; %bb.690:
	s_mov_b32 s13, 0
	s_mov_b32 s11, exec_lo
	v_cmpx_lt_u32_e64 v15, v21
	s_cbranch_execz .LBB2066_700
; %bb.691:
	v_lshlrev_b32_e32 v16, 16, v33
	s_delay_alu instid0(VALU_DEP_1) | instskip(NEXT) | instid1(VALU_DEP_1)
	v_add_f32_e32 v17, 0, v16
	v_and_b32_e32 v16, 0x7f800000, v17
	s_delay_alu instid0(VALU_DEP_1) | instskip(NEXT) | instid1(VALU_DEP_1)
	v_cmp_ne_u32_e64 s7, 0x7f800000, v16
                                        ; implicit-def: $vgpr16
	s_and_saveexec_b32 s13, s7
	s_delay_alu instid0(SALU_CYCLE_1)
	s_xor_b32 s7, exec_lo, s13
; %bb.692:
	v_bfe_u32 v16, v17, 16, 1
	s_delay_alu instid0(VALU_DEP_1)
	v_add3_u32 v16, v17, v16, 0x7fff
                                        ; implicit-def: $vgpr17
; %bb.693:
	s_and_not1_saveexec_b32 s13, s7
; %bb.694:
	v_and_b32_e32 v16, 0xffff, v17
	v_or_b32_e32 v18, 0x10000, v17
	s_delay_alu instid0(VALU_DEP_2) | instskip(NEXT) | instid1(VALU_DEP_1)
	v_cmp_eq_u32_e64 s7, 0, v16
	v_cndmask_b32_e64 v16, v18, v17, s7
; %bb.695:
	s_or_b32 exec_lo, exec_lo, s13
	v_lshlrev_b32_e32 v17, 16, v32
	s_delay_alu instid0(VALU_DEP_1) | instskip(NEXT) | instid1(VALU_DEP_1)
	v_add_f32_e32 v18, 0, v17
	v_and_b32_e32 v17, 0x7f800000, v18
	s_delay_alu instid0(VALU_DEP_1) | instskip(NEXT) | instid1(VALU_DEP_1)
	v_cmp_ne_u32_e64 s7, 0x7f800000, v17
                                        ; implicit-def: $vgpr17
	s_and_saveexec_b32 s13, s7
	s_delay_alu instid0(SALU_CYCLE_1)
	s_xor_b32 s7, exec_lo, s13
; %bb.696:
	v_bfe_u32 v17, v18, 16, 1
	s_delay_alu instid0(VALU_DEP_1)
	v_add3_u32 v17, v18, v17, 0x7fff
                                        ; implicit-def: $vgpr18
; %bb.697:
	s_and_not1_saveexec_b32 s13, s7
; %bb.698:
	v_and_b32_e32 v17, 0xffff, v18
	v_or_b32_e32 v19, 0x10000, v18
	s_delay_alu instid0(VALU_DEP_2) | instskip(NEXT) | instid1(VALU_DEP_1)
	v_cmp_eq_u32_e64 s7, 0, v17
	v_cndmask_b32_e64 v17, v19, v18, s7
; %bb.699:
	s_or_b32 exec_lo, exec_lo, s13
	v_cmp_lt_i32_e64 s7, -1, v16
	s_delay_alu instid0(VALU_DEP_2) | instskip(NEXT) | instid1(VALU_DEP_2)
	v_perm_b32 v16, v17, v16, 0x7060302
	v_cndmask_b32_e64 v18, -1, 0xffff8000, s7
	v_cmp_lt_i32_e64 s7, -1, v17
	s_delay_alu instid0(VALU_DEP_1) | instskip(NEXT) | instid1(VALU_DEP_1)
	v_cndmask_b32_e64 v19, -1, 0xffff8000, s7
	v_perm_b32 v17, v19, v18, 0x5040100
	s_delay_alu instid0(VALU_DEP_1) | instskip(NEXT) | instid1(VALU_DEP_1)
	v_xor_b32_e32 v16, v17, v16
	v_lshrrev_b32_e32 v17, 16, v16
	s_delay_alu instid0(VALU_DEP_1) | instskip(NEXT) | instid1(VALU_DEP_1)
	v_cmp_le_u16_e64 s7, v16, v17
	s_and_b32 s13, s7, exec_lo
.LBB2066_700:
	s_or_b32 exec_lo, exec_lo, s11
	s_delay_alu instid0(SALU_CYCLE_1)
	s_or_not1_b32 s11, s13, exec_lo
.LBB2066_701:
	s_or_b32 exec_lo, exec_lo, s12
	v_cndmask_b32_e64 v16, v14, v15, s11
	v_cndmask_b32_e64 v17, v30, v21, s11
	s_mov_b32 s13, -1
	s_mov_b32 s12, -1
	s_mov_b32 s14, exec_lo
	v_add_nc_u32_e32 v18, 1, v16
	v_add_nc_u32_e32 v17, -1, v17
	v_lshl_add_u32 v16, v16, 3, v8
	s_delay_alu instid0(VALU_DEP_2)
	v_min_u32_e32 v17, v18, v17
	ds_load_b64 v[26:27], v16 offset:4096
	v_cndmask_b32_e64 v16, v18, v14, s11
	v_lshl_add_u32 v17, v17, 1, v12
	ds_load_u16 v19, v17
	v_cndmask_b32_e64 v17, v15, v18, s11
	s_waitcnt lgkmcnt(0)
	v_cndmask_b32_e64 v36, v19, v32, s11
	v_cndmask_b32_e64 v37, v33, v19, s11
	v_cmpx_lt_u32_e64 v16, v30
	s_cbranch_execz .LBB2066_713
; %bb.702:
	s_mov_b32 s15, 0
	s_mov_b32 s12, exec_lo
	v_cmpx_lt_u32_e64 v17, v21
	s_cbranch_execz .LBB2066_712
; %bb.703:
	v_lshlrev_b32_e32 v14, 16, v37
	s_delay_alu instid0(VALU_DEP_1) | instskip(NEXT) | instid1(VALU_DEP_1)
	v_add_f32_e32 v15, 0, v14
	v_and_b32_e32 v14, 0x7f800000, v15
	s_delay_alu instid0(VALU_DEP_1) | instskip(NEXT) | instid1(VALU_DEP_1)
	v_cmp_ne_u32_e64 s7, 0x7f800000, v14
                                        ; implicit-def: $vgpr14
	s_and_saveexec_b32 s15, s7
	s_delay_alu instid0(SALU_CYCLE_1)
	s_xor_b32 s7, exec_lo, s15
; %bb.704:
	v_bfe_u32 v14, v15, 16, 1
	s_delay_alu instid0(VALU_DEP_1)
	v_add3_u32 v14, v15, v14, 0x7fff
                                        ; implicit-def: $vgpr15
; %bb.705:
	s_and_not1_saveexec_b32 s15, s7
; %bb.706:
	v_and_b32_e32 v14, 0xffff, v15
	v_or_b32_e32 v18, 0x10000, v15
	s_delay_alu instid0(VALU_DEP_2) | instskip(NEXT) | instid1(VALU_DEP_1)
	v_cmp_eq_u32_e64 s7, 0, v14
	v_cndmask_b32_e64 v14, v18, v15, s7
; %bb.707:
	s_or_b32 exec_lo, exec_lo, s15
	v_lshlrev_b32_e32 v15, 16, v36
	s_delay_alu instid0(VALU_DEP_1) | instskip(NEXT) | instid1(VALU_DEP_1)
	v_add_f32_e32 v18, 0, v15
	v_and_b32_e32 v15, 0x7f800000, v18
	s_delay_alu instid0(VALU_DEP_1) | instskip(NEXT) | instid1(VALU_DEP_1)
	v_cmp_ne_u32_e64 s7, 0x7f800000, v15
                                        ; implicit-def: $vgpr15
	s_and_saveexec_b32 s15, s7
	s_delay_alu instid0(SALU_CYCLE_1)
	s_xor_b32 s7, exec_lo, s15
; %bb.708:
	v_bfe_u32 v15, v18, 16, 1
	s_delay_alu instid0(VALU_DEP_1)
	v_add3_u32 v15, v18, v15, 0x7fff
                                        ; implicit-def: $vgpr18
; %bb.709:
	s_and_not1_saveexec_b32 s15, s7
; %bb.710:
	v_and_b32_e32 v15, 0xffff, v18
	v_or_b32_e32 v19, 0x10000, v18
	s_delay_alu instid0(VALU_DEP_2) | instskip(NEXT) | instid1(VALU_DEP_1)
	v_cmp_eq_u32_e64 s7, 0, v15
	v_cndmask_b32_e64 v15, v19, v18, s7
; %bb.711:
	s_or_b32 exec_lo, exec_lo, s15
	v_cmp_lt_i32_e64 s7, -1, v14
	s_delay_alu instid0(VALU_DEP_2) | instskip(NEXT) | instid1(VALU_DEP_2)
	v_perm_b32 v14, v15, v14, 0x7060302
	v_cndmask_b32_e64 v18, -1, 0xffff8000, s7
	v_cmp_lt_i32_e64 s7, -1, v15
	s_delay_alu instid0(VALU_DEP_1) | instskip(NEXT) | instid1(VALU_DEP_1)
	v_cndmask_b32_e64 v19, -1, 0xffff8000, s7
	v_perm_b32 v15, v19, v18, 0x5040100
	s_delay_alu instid0(VALU_DEP_1) | instskip(NEXT) | instid1(VALU_DEP_1)
	v_xor_b32_e32 v14, v15, v14
	v_lshrrev_b32_e32 v15, 16, v14
	s_delay_alu instid0(VALU_DEP_1) | instskip(NEXT) | instid1(VALU_DEP_1)
	v_cmp_le_u16_e64 s7, v14, v15
	s_and_b32 s15, s7, exec_lo
.LBB2066_712:
	s_or_b32 exec_lo, exec_lo, s12
	s_delay_alu instid0(SALU_CYCLE_1)
	s_or_not1_b32 s12, s15, exec_lo
.LBB2066_713:
	s_or_b32 exec_lo, exec_lo, s14
	v_cndmask_b32_e64 v14, v16, v17, s12
	v_cndmask_b32_e64 v15, v30, v21, s12
	s_mov_b32 s14, exec_lo
	s_delay_alu instid0(VALU_DEP_2) | instskip(NEXT) | instid1(VALU_DEP_2)
	v_add_nc_u32_e32 v18, 1, v14
	v_add_nc_u32_e32 v15, -1, v15
	v_lshl_add_u32 v14, v14, 3, v8
	s_delay_alu instid0(VALU_DEP_3) | instskip(NEXT) | instid1(VALU_DEP_3)
	v_cndmask_b32_e64 v16, v18, v16, s12
	v_min_u32_e32 v15, v18, v15
	v_cndmask_b32_e64 v17, v17, v18, s12
	s_delay_alu instid0(VALU_DEP_2)
	v_lshl_add_u32 v15, v15, 1, v12
	ds_load_u16 v19, v15
	ds_load_b64 v[14:15], v14 offset:4096
	s_waitcnt lgkmcnt(1)
	v_cndmask_b32_e64 v38, v19, v36, s12
	v_cndmask_b32_e64 v39, v37, v19, s12
	v_cmpx_lt_u32_e64 v16, v30
	s_cbranch_execz .LBB2066_725
; %bb.714:
	s_mov_b32 s15, 0
	s_mov_b32 s13, exec_lo
	v_cmpx_lt_u32_e64 v17, v21
	s_cbranch_execz .LBB2066_724
; %bb.715:
	v_lshlrev_b32_e32 v18, 16, v39
	s_delay_alu instid0(VALU_DEP_1) | instskip(NEXT) | instid1(VALU_DEP_1)
	v_add_f32_e32 v19, 0, v18
	v_and_b32_e32 v18, 0x7f800000, v19
	s_delay_alu instid0(VALU_DEP_1) | instskip(NEXT) | instid1(VALU_DEP_1)
	v_cmp_ne_u32_e64 s7, 0x7f800000, v18
                                        ; implicit-def: $vgpr18
	s_and_saveexec_b32 s15, s7
	s_delay_alu instid0(SALU_CYCLE_1)
	s_xor_b32 s7, exec_lo, s15
; %bb.716:
	v_bfe_u32 v18, v19, 16, 1
	s_delay_alu instid0(VALU_DEP_1)
	v_add3_u32 v18, v19, v18, 0x7fff
                                        ; implicit-def: $vgpr19
; %bb.717:
	s_and_not1_saveexec_b32 s15, s7
; %bb.718:
	v_and_b32_e32 v18, 0xffff, v19
	v_or_b32_e32 v22, 0x10000, v19
	s_delay_alu instid0(VALU_DEP_2) | instskip(NEXT) | instid1(VALU_DEP_1)
	v_cmp_eq_u32_e64 s7, 0, v18
	v_cndmask_b32_e64 v18, v22, v19, s7
; %bb.719:
	s_or_b32 exec_lo, exec_lo, s15
	v_lshlrev_b32_e32 v19, 16, v38
	s_delay_alu instid0(VALU_DEP_1) | instskip(NEXT) | instid1(VALU_DEP_1)
	v_add_f32_e32 v22, 0, v19
	v_and_b32_e32 v19, 0x7f800000, v22
	s_delay_alu instid0(VALU_DEP_1) | instskip(NEXT) | instid1(VALU_DEP_1)
	v_cmp_ne_u32_e64 s7, 0x7f800000, v19
                                        ; implicit-def: $vgpr19
	s_and_saveexec_b32 s15, s7
	s_delay_alu instid0(SALU_CYCLE_1)
	s_xor_b32 s7, exec_lo, s15
; %bb.720:
	v_bfe_u32 v19, v22, 16, 1
	s_delay_alu instid0(VALU_DEP_1)
	v_add3_u32 v19, v22, v19, 0x7fff
                                        ; implicit-def: $vgpr22
; %bb.721:
	s_and_not1_saveexec_b32 s15, s7
; %bb.722:
	v_and_b32_e32 v19, 0xffff, v22
	v_or_b32_e32 v23, 0x10000, v22
	s_delay_alu instid0(VALU_DEP_2) | instskip(NEXT) | instid1(VALU_DEP_1)
	v_cmp_eq_u32_e64 s7, 0, v19
	v_cndmask_b32_e64 v19, v23, v22, s7
; %bb.723:
	s_or_b32 exec_lo, exec_lo, s15
	v_cmp_lt_i32_e64 s7, -1, v18
	s_delay_alu instid0(VALU_DEP_2) | instskip(NEXT) | instid1(VALU_DEP_2)
	v_perm_b32 v18, v19, v18, 0x7060302
	v_cndmask_b32_e64 v22, -1, 0xffff8000, s7
	v_cmp_lt_i32_e64 s7, -1, v19
	s_delay_alu instid0(VALU_DEP_1) | instskip(NEXT) | instid1(VALU_DEP_1)
	v_cndmask_b32_e64 v23, -1, 0xffff8000, s7
	v_perm_b32 v19, v23, v22, 0x5040100
	s_delay_alu instid0(VALU_DEP_1) | instskip(NEXT) | instid1(VALU_DEP_1)
	v_xor_b32_e32 v18, v19, v18
	v_lshrrev_b32_e32 v19, 16, v18
	s_delay_alu instid0(VALU_DEP_1) | instskip(NEXT) | instid1(VALU_DEP_1)
	v_cmp_le_u16_e64 s7, v18, v19
	s_and_b32 s15, s7, exec_lo
.LBB2066_724:
	s_or_b32 exec_lo, exec_lo, s13
	s_delay_alu instid0(SALU_CYCLE_1)
	s_or_not1_b32 s13, s15, exec_lo
.LBB2066_725:
	s_or_b32 exec_lo, exec_lo, s14
	v_cndmask_b32_e64 v18, v16, v17, s13
	v_cndmask_b32_e64 v19, v30, v21, s13
	s_mov_b32 s15, -1
	s_mov_b32 s14, -1
	s_mov_b32 s16, exec_lo
	v_add_nc_u32_e32 v22, 1, v18
	v_add_nc_u32_e32 v19, -1, v19
	v_lshl_add_u32 v18, v18, 3, v8
	s_delay_alu instid0(VALU_DEP_3) | instskip(NEXT) | instid1(VALU_DEP_3)
	v_cndmask_b32_e64 v16, v22, v16, s13
	v_min_u32_e32 v19, v22, v19
	v_cndmask_b32_e64 v17, v17, v22, s13
	ds_load_b64 v[28:29], v18 offset:4096
	v_lshl_add_u32 v19, v19, 1, v12
	ds_load_u16 v19, v19
	s_waitcnt lgkmcnt(0)
	v_cndmask_b32_e64 v48, v19, v38, s13
	v_cndmask_b32_e64 v49, v39, v19, s13
	v_cmpx_lt_u32_e64 v16, v30
	s_cbranch_execz .LBB2066_737
; %bb.726:
	s_mov_b32 s17, 0
	s_mov_b32 s14, exec_lo
	v_cmpx_lt_u32_e64 v17, v21
	s_cbranch_execz .LBB2066_736
; %bb.727:
	v_lshlrev_b32_e32 v18, 16, v49
	s_delay_alu instid0(VALU_DEP_1) | instskip(NEXT) | instid1(VALU_DEP_1)
	v_add_f32_e32 v19, 0, v18
	v_and_b32_e32 v18, 0x7f800000, v19
	s_delay_alu instid0(VALU_DEP_1) | instskip(NEXT) | instid1(VALU_DEP_1)
	v_cmp_ne_u32_e64 s7, 0x7f800000, v18
                                        ; implicit-def: $vgpr18
	s_and_saveexec_b32 s17, s7
	s_delay_alu instid0(SALU_CYCLE_1)
	s_xor_b32 s7, exec_lo, s17
; %bb.728:
	v_bfe_u32 v18, v19, 16, 1
	s_delay_alu instid0(VALU_DEP_1)
	v_add3_u32 v18, v19, v18, 0x7fff
                                        ; implicit-def: $vgpr19
; %bb.729:
	s_and_not1_saveexec_b32 s17, s7
; %bb.730:
	v_and_b32_e32 v18, 0xffff, v19
	v_or_b32_e32 v22, 0x10000, v19
	s_delay_alu instid0(VALU_DEP_2) | instskip(NEXT) | instid1(VALU_DEP_1)
	v_cmp_eq_u32_e64 s7, 0, v18
	v_cndmask_b32_e64 v18, v22, v19, s7
; %bb.731:
	s_or_b32 exec_lo, exec_lo, s17
	v_lshlrev_b32_e32 v19, 16, v48
	s_delay_alu instid0(VALU_DEP_1) | instskip(NEXT) | instid1(VALU_DEP_1)
	v_add_f32_e32 v22, 0, v19
	v_and_b32_e32 v19, 0x7f800000, v22
	s_delay_alu instid0(VALU_DEP_1) | instskip(NEXT) | instid1(VALU_DEP_1)
	v_cmp_ne_u32_e64 s7, 0x7f800000, v19
                                        ; implicit-def: $vgpr19
	s_and_saveexec_b32 s17, s7
	s_delay_alu instid0(SALU_CYCLE_1)
	s_xor_b32 s7, exec_lo, s17
; %bb.732:
	v_bfe_u32 v19, v22, 16, 1
	s_delay_alu instid0(VALU_DEP_1)
	v_add3_u32 v19, v22, v19, 0x7fff
                                        ; implicit-def: $vgpr22
; %bb.733:
	s_and_not1_saveexec_b32 s17, s7
; %bb.734:
	v_and_b32_e32 v19, 0xffff, v22
	v_or_b32_e32 v23, 0x10000, v22
	s_delay_alu instid0(VALU_DEP_2) | instskip(NEXT) | instid1(VALU_DEP_1)
	v_cmp_eq_u32_e64 s7, 0, v19
	v_cndmask_b32_e64 v19, v23, v22, s7
; %bb.735:
	s_or_b32 exec_lo, exec_lo, s17
	v_cmp_lt_i32_e64 s7, -1, v18
	s_delay_alu instid0(VALU_DEP_2) | instskip(NEXT) | instid1(VALU_DEP_2)
	v_perm_b32 v18, v19, v18, 0x7060302
	v_cndmask_b32_e64 v22, -1, 0xffff8000, s7
	v_cmp_lt_i32_e64 s7, -1, v19
	s_delay_alu instid0(VALU_DEP_1) | instskip(NEXT) | instid1(VALU_DEP_1)
	v_cndmask_b32_e64 v23, -1, 0xffff8000, s7
	v_perm_b32 v19, v23, v22, 0x5040100
	s_delay_alu instid0(VALU_DEP_1) | instskip(NEXT) | instid1(VALU_DEP_1)
	v_xor_b32_e32 v18, v19, v18
	v_lshrrev_b32_e32 v19, 16, v18
	s_delay_alu instid0(VALU_DEP_1) | instskip(NEXT) | instid1(VALU_DEP_1)
	v_cmp_le_u16_e64 s7, v18, v19
	s_and_b32 s17, s7, exec_lo
.LBB2066_736:
	s_or_b32 exec_lo, exec_lo, s14
	s_delay_alu instid0(SALU_CYCLE_1)
	s_or_not1_b32 s14, s17, exec_lo
.LBB2066_737:
	s_or_b32 exec_lo, exec_lo, s16
	v_cndmask_b32_e64 v18, v16, v17, s14
	v_cndmask_b32_e64 v19, v30, v21, s14
	s_mov_b32 s16, exec_lo
	s_delay_alu instid0(VALU_DEP_2) | instskip(NEXT) | instid1(VALU_DEP_2)
	v_add_nc_u32_e32 v23, 1, v18
	v_add_nc_u32_e32 v19, -1, v19
	v_lshl_add_u32 v18, v18, 3, v8
	s_delay_alu instid0(VALU_DEP_3) | instskip(NEXT) | instid1(VALU_DEP_3)
	v_cndmask_b32_e64 v22, v23, v16, s14
	v_min_u32_e32 v19, v23, v19
	v_cndmask_b32_e64 v23, v17, v23, s14
	s_delay_alu instid0(VALU_DEP_2)
	v_lshl_add_u32 v19, v19, 1, v12
	ds_load_u16 v51, v19
	ds_load_b64 v[18:19], v18 offset:4096
	s_waitcnt lgkmcnt(1)
	v_cndmask_b32_e64 v50, v51, v48, s14
	v_cndmask_b32_e64 v51, v49, v51, s14
	v_cmpx_lt_u32_e64 v22, v30
	s_cbranch_execz .LBB2066_749
; %bb.738:
	s_mov_b32 s17, 0
	s_mov_b32 s15, exec_lo
	v_cmpx_lt_u32_e64 v23, v21
	s_cbranch_execz .LBB2066_748
; %bb.739:
	v_lshlrev_b32_e32 v16, 16, v51
	s_delay_alu instid0(VALU_DEP_1) | instskip(NEXT) | instid1(VALU_DEP_1)
	v_add_f32_e32 v17, 0, v16
	v_and_b32_e32 v16, 0x7f800000, v17
	s_delay_alu instid0(VALU_DEP_1) | instskip(NEXT) | instid1(VALU_DEP_1)
	v_cmp_ne_u32_e64 s7, 0x7f800000, v16
                                        ; implicit-def: $vgpr16
	s_and_saveexec_b32 s17, s7
	s_delay_alu instid0(SALU_CYCLE_1)
	s_xor_b32 s7, exec_lo, s17
; %bb.740:
	v_bfe_u32 v16, v17, 16, 1
	s_delay_alu instid0(VALU_DEP_1)
	v_add3_u32 v16, v17, v16, 0x7fff
                                        ; implicit-def: $vgpr17
; %bb.741:
	s_and_not1_saveexec_b32 s17, s7
; %bb.742:
	v_and_b32_e32 v16, 0xffff, v17
	v_or_b32_e32 v52, 0x10000, v17
	s_delay_alu instid0(VALU_DEP_2) | instskip(NEXT) | instid1(VALU_DEP_1)
	v_cmp_eq_u32_e64 s7, 0, v16
	v_cndmask_b32_e64 v16, v52, v17, s7
; %bb.743:
	s_or_b32 exec_lo, exec_lo, s17
	v_lshlrev_b32_e32 v17, 16, v50
	s_delay_alu instid0(VALU_DEP_1) | instskip(NEXT) | instid1(VALU_DEP_1)
	v_add_f32_e32 v52, 0, v17
	v_and_b32_e32 v17, 0x7f800000, v52
	s_delay_alu instid0(VALU_DEP_1) | instskip(NEXT) | instid1(VALU_DEP_1)
	v_cmp_ne_u32_e64 s7, 0x7f800000, v17
                                        ; implicit-def: $vgpr17
	s_and_saveexec_b32 s17, s7
	s_delay_alu instid0(SALU_CYCLE_1)
	s_xor_b32 s7, exec_lo, s17
; %bb.744:
	v_bfe_u32 v17, v52, 16, 1
	s_delay_alu instid0(VALU_DEP_1)
	v_add3_u32 v17, v52, v17, 0x7fff
                                        ; implicit-def: $vgpr52
; %bb.745:
	s_and_not1_saveexec_b32 s17, s7
; %bb.746:
	v_and_b32_e32 v17, 0xffff, v52
	v_or_b32_e32 v53, 0x10000, v52
	s_delay_alu instid0(VALU_DEP_2) | instskip(NEXT) | instid1(VALU_DEP_1)
	v_cmp_eq_u32_e64 s7, 0, v17
	v_cndmask_b32_e64 v17, v53, v52, s7
; %bb.747:
	s_or_b32 exec_lo, exec_lo, s17
	v_cmp_lt_i32_e64 s7, -1, v16
	s_delay_alu instid0(VALU_DEP_2) | instskip(NEXT) | instid1(VALU_DEP_2)
	v_perm_b32 v16, v17, v16, 0x7060302
	v_cndmask_b32_e64 v52, -1, 0xffff8000, s7
	v_cmp_lt_i32_e64 s7, -1, v17
	s_delay_alu instid0(VALU_DEP_1) | instskip(NEXT) | instid1(VALU_DEP_1)
	v_cndmask_b32_e64 v53, -1, 0xffff8000, s7
	v_perm_b32 v17, v53, v52, 0x5040100
	s_delay_alu instid0(VALU_DEP_1) | instskip(NEXT) | instid1(VALU_DEP_1)
	v_xor_b32_e32 v16, v17, v16
	v_lshrrev_b32_e32 v17, 16, v16
	s_delay_alu instid0(VALU_DEP_1) | instskip(NEXT) | instid1(VALU_DEP_1)
	v_cmp_le_u16_e64 s7, v16, v17
	s_and_b32 s17, s7, exec_lo
.LBB2066_748:
	s_or_b32 exec_lo, exec_lo, s15
	s_delay_alu instid0(SALU_CYCLE_1)
	s_or_not1_b32 s15, s17, exec_lo
.LBB2066_749:
	s_or_b32 exec_lo, exec_lo, s16
	v_cndmask_b32_e64 v16, v22, v23, s15
	v_cndmask_b32_e64 v17, v30, v21, s15
	s_mov_b32 s17, -1
	s_mov_b32 s16, exec_lo
	s_delay_alu instid0(VALU_DEP_2) | instskip(NEXT) | instid1(VALU_DEP_2)
	v_add_nc_u32_e32 v52, 1, v16
	v_add_nc_u32_e32 v17, -1, v17
	s_delay_alu instid0(VALU_DEP_2) | instskip(NEXT) | instid1(VALU_DEP_2)
	v_cndmask_b32_e64 v22, v52, v22, s15
	v_min_u32_e32 v17, v52, v17
	v_cndmask_b32_e64 v23, v23, v52, s15
	s_delay_alu instid0(VALU_DEP_2)
	v_lshl_add_u32 v12, v17, 1, v12
	ds_load_u16 v53, v12
	v_lshl_add_u32 v12, v16, 3, v8
	ds_load_b64 v[16:17], v12 offset:4096
	s_waitcnt lgkmcnt(1)
	v_cndmask_b32_e64 v12, v53, v50, s15
	v_cndmask_b32_e64 v54, v51, v53, s15
	v_cmpx_lt_u32_e64 v22, v30
	s_cbranch_execz .LBB2066_761
; %bb.750:
	s_mov_b32 s18, 0
	s_mov_b32 s17, exec_lo
	v_cmpx_lt_u32_e64 v23, v21
	s_cbranch_execz .LBB2066_760
; %bb.751:
	v_lshlrev_b32_e32 v21, 16, v54
	s_delay_alu instid0(VALU_DEP_1) | instskip(NEXT) | instid1(VALU_DEP_1)
	v_add_f32_e32 v30, 0, v21
	v_and_b32_e32 v21, 0x7f800000, v30
	s_delay_alu instid0(VALU_DEP_1) | instskip(NEXT) | instid1(VALU_DEP_1)
	v_cmp_ne_u32_e64 s7, 0x7f800000, v21
                                        ; implicit-def: $vgpr21
	s_and_saveexec_b32 s18, s7
	s_delay_alu instid0(SALU_CYCLE_1)
	s_xor_b32 s7, exec_lo, s18
; %bb.752:
	v_bfe_u32 v21, v30, 16, 1
	s_delay_alu instid0(VALU_DEP_1)
	v_add3_u32 v21, v30, v21, 0x7fff
                                        ; implicit-def: $vgpr30
; %bb.753:
	s_and_not1_saveexec_b32 s18, s7
; %bb.754:
	v_and_b32_e32 v21, 0xffff, v30
	v_or_b32_e32 v52, 0x10000, v30
	s_delay_alu instid0(VALU_DEP_2) | instskip(NEXT) | instid1(VALU_DEP_1)
	v_cmp_eq_u32_e64 s7, 0, v21
	v_cndmask_b32_e64 v21, v52, v30, s7
; %bb.755:
	s_or_b32 exec_lo, exec_lo, s18
	v_lshlrev_b32_e32 v30, 16, v12
	s_delay_alu instid0(VALU_DEP_1) | instskip(NEXT) | instid1(VALU_DEP_1)
	v_add_f32_e32 v52, 0, v30
	v_and_b32_e32 v30, 0x7f800000, v52
	s_delay_alu instid0(VALU_DEP_1) | instskip(NEXT) | instid1(VALU_DEP_1)
	v_cmp_ne_u32_e64 s7, 0x7f800000, v30
                                        ; implicit-def: $vgpr30
	s_and_saveexec_b32 s18, s7
	s_delay_alu instid0(SALU_CYCLE_1)
	s_xor_b32 s7, exec_lo, s18
; %bb.756:
	v_bfe_u32 v30, v52, 16, 1
	s_delay_alu instid0(VALU_DEP_1)
	v_add3_u32 v30, v52, v30, 0x7fff
                                        ; implicit-def: $vgpr52
; %bb.757:
	s_and_not1_saveexec_b32 s18, s7
; %bb.758:
	v_and_b32_e32 v30, 0xffff, v52
	v_or_b32_e32 v53, 0x10000, v52
	s_delay_alu instid0(VALU_DEP_2) | instskip(NEXT) | instid1(VALU_DEP_1)
	v_cmp_eq_u32_e64 s7, 0, v30
	v_cndmask_b32_e64 v30, v53, v52, s7
; %bb.759:
	s_or_b32 exec_lo, exec_lo, s18
	v_cmp_lt_i32_e64 s7, -1, v21
	s_delay_alu instid0(VALU_DEP_2) | instskip(NEXT) | instid1(VALU_DEP_2)
	v_perm_b32 v21, v30, v21, 0x7060302
	v_cndmask_b32_e64 v52, -1, 0xffff8000, s7
	v_cmp_lt_i32_e64 s7, -1, v30
	s_delay_alu instid0(VALU_DEP_1) | instskip(NEXT) | instid1(VALU_DEP_1)
	v_cndmask_b32_e64 v53, -1, 0xffff8000, s7
	v_perm_b32 v30, v53, v52, 0x5040100
	s_delay_alu instid0(VALU_DEP_1) | instskip(NEXT) | instid1(VALU_DEP_1)
	v_xor_b32_e32 v21, v30, v21
	v_lshrrev_b32_e32 v30, 16, v21
	s_delay_alu instid0(VALU_DEP_1) | instskip(NEXT) | instid1(VALU_DEP_1)
	v_cmp_le_u16_e64 s7, v21, v30
	s_and_b32 s18, s7, exec_lo
.LBB2066_760:
	s_or_b32 exec_lo, exec_lo, s17
	s_delay_alu instid0(SALU_CYCLE_1)
	s_or_not1_b32 s17, s18, exec_lo
.LBB2066_761:
	s_or_b32 exec_lo, exec_lo, s16
	v_cndmask_b32_e64 v21, v22, v23, s17
	v_cndmask_b32_e64 v52, v50, v51, s15
	;; [unrolled: 1-line block ×5, first 2 shown]
	v_lshl_add_u32 v8, v21, 3, v8
	v_cndmask_b32_e64 v50, v32, v33, s11
	v_cndmask_b32_e64 v49, v20, v31, s8
	;; [unrolled: 1-line block ×4, first 2 shown]
	ds_load_b64 v[22:23], v8 offset:4096
.LBB2066_762:
	s_or_b32 exec_lo, exec_lo, s9
	v_add_co_u32 v2, s7, v2, v24
	s_delay_alu instid0(VALU_DEP_1) | instskip(NEXT) | instid1(VALU_DEP_2)
	v_add_co_ci_u32_e64 v3, s7, v3, v25, s7
	v_add_co_u32 v2, s7, v2, v34
	s_delay_alu instid0(VALU_DEP_1)
	v_add_co_ci_u32_e64 v3, s7, 0, v3, s7
	; wave barrier
	s_waitcnt lgkmcnt(0)
	s_waitcnt_vscnt null, 0x0
	s_barrier
	buffer_gl0_inv
	; wave barrier
	s_and_saveexec_b32 s7, vcc_lo
	s_cbranch_execnz .LBB2066_780
; %bb.763:
	s_or_b32 exec_lo, exec_lo, s7
	s_and_saveexec_b32 s7, s0
	s_cbranch_execnz .LBB2066_781
.LBB2066_764:
	s_or_b32 exec_lo, exec_lo, s7
	s_and_saveexec_b32 s7, s1
	s_cbranch_execnz .LBB2066_782
.LBB2066_765:
	s_or_b32 exec_lo, exec_lo, s7
	s_and_saveexec_b32 s7, s2
	s_cbranch_execnz .LBB2066_783
.LBB2066_766:
	s_or_b32 exec_lo, exec_lo, s7
	s_and_saveexec_b32 s7, s3
	s_cbranch_execnz .LBB2066_784
.LBB2066_767:
	s_or_b32 exec_lo, exec_lo, s7
	s_and_saveexec_b32 s7, s4
	s_cbranch_execnz .LBB2066_785
.LBB2066_768:
	s_or_b32 exec_lo, exec_lo, s7
	s_and_saveexec_b32 s7, s5
	s_cbranch_execnz .LBB2066_786
.LBB2066_769:
	s_or_b32 exec_lo, exec_lo, s7
	s_and_saveexec_b32 s7, s6
	s_cbranch_execz .LBB2066_771
.LBB2066_770:
	flat_store_b16 v[2:3], v39 offset:14
.LBB2066_771:
	s_or_b32 exec_lo, exec_lo, s7
	v_add_co_u32 v0, s7, v6, v0
	s_delay_alu instid0(VALU_DEP_1) | instskip(NEXT) | instid1(VALU_DEP_2)
	v_add_co_ci_u32_e64 v1, s7, v7, v1, s7
	v_add_co_u32 v0, s7, v0, v35
	s_delay_alu instid0(VALU_DEP_1)
	v_add_co_ci_u32_e64 v1, s7, 0, v1, s7
	; wave barrier
	s_and_saveexec_b32 s7, vcc_lo
	s_cbranch_execnz .LBB2066_787
; %bb.772:
	s_or_b32 exec_lo, exec_lo, s7
	s_and_saveexec_b32 s7, s0
	s_cbranch_execnz .LBB2066_788
.LBB2066_773:
	s_or_b32 exec_lo, exec_lo, s7
	s_and_saveexec_b32 s0, s1
	s_cbranch_execnz .LBB2066_789
.LBB2066_774:
	s_or_b32 exec_lo, exec_lo, s0
	s_and_saveexec_b32 s0, s2
	s_cbranch_execnz .LBB2066_790
.LBB2066_775:
	s_or_b32 exec_lo, exec_lo, s0
	s_and_saveexec_b32 s0, s3
	s_cbranch_execnz .LBB2066_791
.LBB2066_776:
	s_or_b32 exec_lo, exec_lo, s0
	s_and_saveexec_b32 s0, s4
	s_cbranch_execnz .LBB2066_792
.LBB2066_777:
	s_or_b32 exec_lo, exec_lo, s0
	s_and_saveexec_b32 s0, s5
	s_cbranch_execnz .LBB2066_793
.LBB2066_778:
	s_or_b32 exec_lo, exec_lo, s0
	s_and_saveexec_b32 s0, s6
	s_cbranch_execnz .LBB2066_794
.LBB2066_779:
	s_or_b32 exec_lo, exec_lo, s0
	s_waitcnt lgkmcnt(0)
	s_setpc_b64 s[30:31]
.LBB2066_780:
	flat_store_b16 v[2:3], v38
	s_or_b32 exec_lo, exec_lo, s7
	s_and_saveexec_b32 s7, s0
	s_cbranch_execz .LBB2066_764
.LBB2066_781:
	flat_store_b16 v[2:3], v49 offset:2
	s_or_b32 exec_lo, exec_lo, s7
	s_and_saveexec_b32 s7, s1
	s_cbranch_execz .LBB2066_765
.LBB2066_782:
	flat_store_b16 v[2:3], v50 offset:4
	s_or_b32 exec_lo, exec_lo, s7
	s_and_saveexec_b32 s7, s2
	s_cbranch_execz .LBB2066_766
.LBB2066_783:
	flat_store_b16 v[2:3], v53 offset:6
	s_or_b32 exec_lo, exec_lo, s7
	s_and_saveexec_b32 s7, s3
	s_cbranch_execz .LBB2066_767
.LBB2066_784:
	flat_store_b16 v[2:3], v51 offset:8
	s_or_b32 exec_lo, exec_lo, s7
	s_and_saveexec_b32 s7, s4
	s_cbranch_execz .LBB2066_768
.LBB2066_785:
	flat_store_b16 v[2:3], v48 offset:10
	s_or_b32 exec_lo, exec_lo, s7
	s_and_saveexec_b32 s7, s5
	s_cbranch_execz .LBB2066_769
.LBB2066_786:
	flat_store_b16 v[2:3], v52 offset:12
	s_or_b32 exec_lo, exec_lo, s7
	s_and_saveexec_b32 s7, s6
	s_cbranch_execnz .LBB2066_770
	s_branch .LBB2066_771
.LBB2066_787:
	flat_store_b64 v[0:1], v[4:5]
	s_or_b32 exec_lo, exec_lo, s7
	s_and_saveexec_b32 s7, s0
	s_cbranch_execz .LBB2066_773
.LBB2066_788:
	flat_store_b64 v[0:1], v[10:11] offset:8
	s_or_b32 exec_lo, exec_lo, s7
	s_and_saveexec_b32 s0, s1
	s_cbranch_execz .LBB2066_774
.LBB2066_789:
	flat_store_b64 v[0:1], v[26:27] offset:16
	s_or_b32 exec_lo, exec_lo, s0
	s_and_saveexec_b32 s0, s2
	s_cbranch_execz .LBB2066_775
.LBB2066_790:
	flat_store_b64 v[0:1], v[14:15] offset:24
	s_or_b32 exec_lo, exec_lo, s0
	s_and_saveexec_b32 s0, s3
	s_cbranch_execz .LBB2066_776
.LBB2066_791:
	flat_store_b64 v[0:1], v[28:29] offset:32
	s_or_b32 exec_lo, exec_lo, s0
	s_and_saveexec_b32 s0, s4
	s_cbranch_execz .LBB2066_777
.LBB2066_792:
	flat_store_b64 v[0:1], v[18:19] offset:40
	s_or_b32 exec_lo, exec_lo, s0
	s_and_saveexec_b32 s0, s5
	s_cbranch_execz .LBB2066_778
.LBB2066_793:
	flat_store_b64 v[0:1], v[16:17] offset:48
	s_or_b32 exec_lo, exec_lo, s0
	s_and_saveexec_b32 s0, s6
	s_cbranch_execz .LBB2066_779
.LBB2066_794:
	flat_store_b64 v[0:1], v[22:23] offset:56
	s_or_b32 exec_lo, exec_lo, s0
	s_waitcnt lgkmcnt(0)
	s_setpc_b64 s[30:31]
.Lfunc_end2066:
	.size	_ZN7rocprim17ROCPRIM_400000_NS6detail26segmented_warp_sort_helperINS1_20WarpSortHelperConfigILj16ELj8ELj256EEE12hip_bfloat16lLi256ELb0EvE4sortIPKS5_PS5_PKlPlEEvT_T0_T1_T2_jjjjRNS6_12storage_typeE, .Lfunc_end2066-_ZN7rocprim17ROCPRIM_400000_NS6detail26segmented_warp_sort_helperINS1_20WarpSortHelperConfigILj16ELj8ELj256EEE12hip_bfloat16lLi256ELb0EvE4sortIPKS5_PS5_PKlPlEEvT_T0_T1_T2_jjjjRNS6_12storage_typeE
                                        ; -- End function
	.section	.AMDGPU.csdata,"",@progbits
; Function info:
; codeLenInByte = 30764
; NumSgprs: 34
; NumVgprs: 71
; ScratchSize: 0
; MemoryBound: 0
	.section	.text._ZN7rocprim17ROCPRIM_400000_NS6detail17trampoline_kernelINS0_14default_configENS1_36segmented_radix_sort_config_selectorI12hip_bfloat16lEEZNS1_25segmented_radix_sort_implIS3_Lb0EPKS5_PS5_PKlPlN2at6native12_GLOBAL__N_18offset_tEEE10hipError_tPvRmT1_PNSt15iterator_traitsISL_E10value_typeET2_T3_PNSM_ISR_E10value_typeET4_jRbjT5_SX_jjP12ihipStream_tbEUlT_E0_NS1_11comp_targetILNS1_3genE9ELNS1_11target_archE1100ELNS1_3gpuE3ELNS1_3repE0EEENS1_60segmented_radix_sort_warp_sort_medium_config_static_selectorELNS0_4arch9wavefront6targetE0EEEvSL_,"axG",@progbits,_ZN7rocprim17ROCPRIM_400000_NS6detail17trampoline_kernelINS0_14default_configENS1_36segmented_radix_sort_config_selectorI12hip_bfloat16lEEZNS1_25segmented_radix_sort_implIS3_Lb0EPKS5_PS5_PKlPlN2at6native12_GLOBAL__N_18offset_tEEE10hipError_tPvRmT1_PNSt15iterator_traitsISL_E10value_typeET2_T3_PNSM_ISR_E10value_typeET4_jRbjT5_SX_jjP12ihipStream_tbEUlT_E0_NS1_11comp_targetILNS1_3genE9ELNS1_11target_archE1100ELNS1_3gpuE3ELNS1_3repE0EEENS1_60segmented_radix_sort_warp_sort_medium_config_static_selectorELNS0_4arch9wavefront6targetE0EEEvSL_,comdat
	.globl	_ZN7rocprim17ROCPRIM_400000_NS6detail17trampoline_kernelINS0_14default_configENS1_36segmented_radix_sort_config_selectorI12hip_bfloat16lEEZNS1_25segmented_radix_sort_implIS3_Lb0EPKS5_PS5_PKlPlN2at6native12_GLOBAL__N_18offset_tEEE10hipError_tPvRmT1_PNSt15iterator_traitsISL_E10value_typeET2_T3_PNSM_ISR_E10value_typeET4_jRbjT5_SX_jjP12ihipStream_tbEUlT_E0_NS1_11comp_targetILNS1_3genE9ELNS1_11target_archE1100ELNS1_3gpuE3ELNS1_3repE0EEENS1_60segmented_radix_sort_warp_sort_medium_config_static_selectorELNS0_4arch9wavefront6targetE0EEEvSL_ ; -- Begin function _ZN7rocprim17ROCPRIM_400000_NS6detail17trampoline_kernelINS0_14default_configENS1_36segmented_radix_sort_config_selectorI12hip_bfloat16lEEZNS1_25segmented_radix_sort_implIS3_Lb0EPKS5_PS5_PKlPlN2at6native12_GLOBAL__N_18offset_tEEE10hipError_tPvRmT1_PNSt15iterator_traitsISL_E10value_typeET2_T3_PNSM_ISR_E10value_typeET4_jRbjT5_SX_jjP12ihipStream_tbEUlT_E0_NS1_11comp_targetILNS1_3genE9ELNS1_11target_archE1100ELNS1_3gpuE3ELNS1_3repE0EEENS1_60segmented_radix_sort_warp_sort_medium_config_static_selectorELNS0_4arch9wavefront6targetE0EEEvSL_
	.p2align	8
	.type	_ZN7rocprim17ROCPRIM_400000_NS6detail17trampoline_kernelINS0_14default_configENS1_36segmented_radix_sort_config_selectorI12hip_bfloat16lEEZNS1_25segmented_radix_sort_implIS3_Lb0EPKS5_PS5_PKlPlN2at6native12_GLOBAL__N_18offset_tEEE10hipError_tPvRmT1_PNSt15iterator_traitsISL_E10value_typeET2_T3_PNSM_ISR_E10value_typeET4_jRbjT5_SX_jjP12ihipStream_tbEUlT_E0_NS1_11comp_targetILNS1_3genE9ELNS1_11target_archE1100ELNS1_3gpuE3ELNS1_3repE0EEENS1_60segmented_radix_sort_warp_sort_medium_config_static_selectorELNS0_4arch9wavefront6targetE0EEEvSL_,@function
_ZN7rocprim17ROCPRIM_400000_NS6detail17trampoline_kernelINS0_14default_configENS1_36segmented_radix_sort_config_selectorI12hip_bfloat16lEEZNS1_25segmented_radix_sort_implIS3_Lb0EPKS5_PS5_PKlPlN2at6native12_GLOBAL__N_18offset_tEEE10hipError_tPvRmT1_PNSt15iterator_traitsISL_E10value_typeET2_T3_PNSM_ISR_E10value_typeET4_jRbjT5_SX_jjP12ihipStream_tbEUlT_E0_NS1_11comp_targetILNS1_3genE9ELNS1_11target_archE1100ELNS1_3gpuE3ELNS1_3repE0EEENS1_60segmented_radix_sort_warp_sort_medium_config_static_selectorELNS0_4arch9wavefront6targetE0EEEvSL_: ; @_ZN7rocprim17ROCPRIM_400000_NS6detail17trampoline_kernelINS0_14default_configENS1_36segmented_radix_sort_config_selectorI12hip_bfloat16lEEZNS1_25segmented_radix_sort_implIS3_Lb0EPKS5_PS5_PKlPlN2at6native12_GLOBAL__N_18offset_tEEE10hipError_tPvRmT1_PNSt15iterator_traitsISL_E10value_typeET2_T3_PNSM_ISR_E10value_typeET4_jRbjT5_SX_jjP12ihipStream_tbEUlT_E0_NS1_11comp_targetILNS1_3genE9ELNS1_11target_archE1100ELNS1_3gpuE3ELNS1_3repE0EEENS1_60segmented_radix_sort_warp_sort_medium_config_static_selectorELNS0_4arch9wavefront6targetE0EEEvSL_
; %bb.0:
	s_load_b32 s2, s[0:1], 0x64
	v_bfe_u32 v1, v0, 10, 10
	v_bfe_u32 v2, v0, 20, 10
	s_mov_b32 s32, 0
	s_waitcnt lgkmcnt(0)
	s_lshr_b32 s3, s2, 16
	s_and_b32 s2, s2, 0xffff
	v_mad_u32_u24 v4, v2, s3, v1
	v_and_b32_e32 v1, 0x3ff, v0
	s_load_b32 s3, s[0:1], 0x34
	s_delay_alu instid0(VALU_DEP_1) | instskip(SKIP_1) | instid1(VALU_DEP_1)
	v_mad_u64_u32 v[2:3], null, v4, s2, v[1:2]
	s_mov_b32 s2, exec_lo
	v_lshrrev_b32_e32 v1, 4, v2
	s_delay_alu instid0(VALU_DEP_1) | instskip(SKIP_1) | instid1(VALU_DEP_1)
	v_lshl_add_u32 v1, s14, 4, v1
	s_waitcnt lgkmcnt(0)
	v_cmpx_gt_u32_e64 s3, v1
	s_cbranch_execz .LBB2067_6
; %bb.1:
	s_clause 0x1
	s_load_b64 s[2:3], s[0:1], 0x38
	s_load_b128 s[4:7], s[0:1], 0x40
	v_mov_b32_e32 v2, 0
	s_delay_alu instid0(VALU_DEP_1) | instskip(SKIP_1) | instid1(VALU_DEP_1)
	v_lshlrev_b64 v[1:2], 2, v[1:2]
	s_waitcnt lgkmcnt(0)
	v_add_co_u32 v1, vcc_lo, s2, v1
	s_delay_alu instid0(VALU_DEP_2) | instskip(SKIP_4) | instid1(VALU_DEP_2)
	v_add_co_ci_u32_e32 v2, vcc_lo, s3, v2, vcc_lo
	global_load_b32 v1, v[1:2], off
	s_waitcnt vmcnt(0)
	v_add_nc_u32_e32 v2, s5, v1
	v_add_nc_u32_e32 v1, s7, v1
	v_mul_lo_u32 v40, v2, s4
	s_delay_alu instid0(VALU_DEP_2) | instskip(NEXT) | instid1(VALU_DEP_1)
	v_mul_lo_u32 v41, v1, s6
	v_cmp_gt_u32_e32 vcc_lo, v41, v40
	s_and_b32 exec_lo, exec_lo, vcc_lo
	s_cbranch_execz .LBB2067_6
; %bb.2:
	s_clause 0x2
	s_load_b32 s2, s[0:1], 0x30
	s_load_b128 s[36:39], s[0:1], 0x20
	s_load_b256 s[20:27], s[0:1], 0x0
	s_waitcnt lgkmcnt(0)
	s_bitcmp0_b32 s2, 0
	s_mov_b32 s2, -1
	s_cbranch_scc0 .LBB2067_4
; %bb.3:
	v_mov_b32_e32 v31, v0
	v_dual_mov_b32 v42, v0 :: v_dual_mov_b32 v1, s21
	v_mov_b32_e32 v0, s20
	v_dual_mov_b32 v2, s22 :: v_dual_mov_b32 v3, s23
	v_dual_mov_b32 v4, s26 :: v_dual_mov_b32 v5, s27
	;; [unrolled: 1-line block ×4, first 2 shown]
	s_add_u32 s8, s0, 0x58
	s_addc_u32 s9, s1, 0
	s_mov_b32 s12, s14
	s_mov_b32 s13, s15
	s_getpc_b64 s[2:3]
	s_add_u32 s2, s2, _ZN7rocprim17ROCPRIM_400000_NS6detail26segmented_warp_sort_helperINS1_20WarpSortHelperConfigILj16ELj8ELj256EEE12hip_bfloat16lLi256ELb0EvE4sortIPKS5_PS5_PKlPlEEvT_T0_T1_T2_jjjjRNS6_12storage_typeE@rel32@lo+4
	s_addc_u32 s3, s3, _ZN7rocprim17ROCPRIM_400000_NS6detail26segmented_warp_sort_helperINS1_20WarpSortHelperConfigILj16ELj8ELj256EEE12hip_bfloat16lLi256ELb0EvE4sortIPKS5_PS5_PKlPlEEvT_T0_T1_T2_jjjjRNS6_12storage_typeE@rel32@hi+12
	s_mov_b64 s[22:23], s[0:1]
	s_mov_b32 s19, s15
	s_mov_b32 s28, s14
	s_swappc_b64 s[30:31], s[2:3]
	v_mov_b32_e32 v0, v42
	s_mov_b32 s14, s28
	s_mov_b32 s15, s19
	s_mov_b64 s[0:1], s[22:23]
	s_mov_b32 s2, 0
.LBB2067_4:
	s_delay_alu instid0(SALU_CYCLE_1)
	s_and_not1_b32 vcc_lo, exec_lo, s2
	s_cbranch_vccnz .LBB2067_6
; %bb.5:
	v_dual_mov_b32 v31, v0 :: v_dual_mov_b32 v0, s20
	v_dual_mov_b32 v1, s21 :: v_dual_mov_b32 v2, s24
	v_dual_mov_b32 v3, s25 :: v_dual_mov_b32 v4, s26
	v_dual_mov_b32 v5, s27 :: v_dual_mov_b32 v6, s38
	v_dual_mov_b32 v7, s39 :: v_dual_mov_b32 v8, v40
	v_mov_b32_e32 v9, v41
	s_add_u32 s8, s0, 0x58
	s_addc_u32 s9, s1, 0
	s_mov_b32 s12, s14
	s_mov_b32 s13, s15
	s_getpc_b64 s[0:1]
	s_add_u32 s0, s0, _ZN7rocprim17ROCPRIM_400000_NS6detail26segmented_warp_sort_helperINS1_20WarpSortHelperConfigILj16ELj8ELj256EEE12hip_bfloat16lLi256ELb0EvE4sortIPKS5_PS5_PKlPlEEvT_T0_T1_T2_jjjjRNS6_12storage_typeE@rel32@lo+4
	s_addc_u32 s1, s1, _ZN7rocprim17ROCPRIM_400000_NS6detail26segmented_warp_sort_helperINS1_20WarpSortHelperConfigILj16ELj8ELj256EEE12hip_bfloat16lLi256ELb0EvE4sortIPKS5_PS5_PKlPlEEvT_T0_T1_T2_jjjjRNS6_12storage_typeE@rel32@hi+12
	s_delay_alu instid0(SALU_CYCLE_1)
	s_swappc_b64 s[30:31], s[0:1]
.LBB2067_6:
	s_endpgm
	.section	.rodata,"a",@progbits
	.p2align	6, 0x0
	.amdhsa_kernel _ZN7rocprim17ROCPRIM_400000_NS6detail17trampoline_kernelINS0_14default_configENS1_36segmented_radix_sort_config_selectorI12hip_bfloat16lEEZNS1_25segmented_radix_sort_implIS3_Lb0EPKS5_PS5_PKlPlN2at6native12_GLOBAL__N_18offset_tEEE10hipError_tPvRmT1_PNSt15iterator_traitsISL_E10value_typeET2_T3_PNSM_ISR_E10value_typeET4_jRbjT5_SX_jjP12ihipStream_tbEUlT_E0_NS1_11comp_targetILNS1_3genE9ELNS1_11target_archE1100ELNS1_3gpuE3ELNS1_3repE0EEENS1_60segmented_radix_sort_warp_sort_medium_config_static_selectorELNS0_4arch9wavefront6targetE0EEEvSL_
		.amdhsa_group_segment_fixed_size 20480
		.amdhsa_private_segment_fixed_size 0
		.amdhsa_kernarg_size 344
		.amdhsa_user_sgpr_count 14
		.amdhsa_user_sgpr_dispatch_ptr 0
		.amdhsa_user_sgpr_queue_ptr 0
		.amdhsa_user_sgpr_kernarg_segment_ptr 1
		.amdhsa_user_sgpr_dispatch_id 0
		.amdhsa_user_sgpr_private_segment_size 0
		.amdhsa_wavefront_size32 1
		.amdhsa_uses_dynamic_stack 0
		.amdhsa_enable_private_segment 0
		.amdhsa_system_sgpr_workgroup_id_x 1
		.amdhsa_system_sgpr_workgroup_id_y 1
		.amdhsa_system_sgpr_workgroup_id_z 0
		.amdhsa_system_sgpr_workgroup_info 0
		.amdhsa_system_vgpr_workitem_id 2
		.amdhsa_next_free_vgpr 71
		.amdhsa_next_free_sgpr 40
		.amdhsa_reserve_vcc 1
		.amdhsa_float_round_mode_32 0
		.amdhsa_float_round_mode_16_64 0
		.amdhsa_float_denorm_mode_32 3
		.amdhsa_float_denorm_mode_16_64 3
		.amdhsa_dx10_clamp 1
		.amdhsa_ieee_mode 1
		.amdhsa_fp16_overflow 0
		.amdhsa_workgroup_processor_mode 1
		.amdhsa_memory_ordered 1
		.amdhsa_forward_progress 0
		.amdhsa_shared_vgpr_count 0
		.amdhsa_exception_fp_ieee_invalid_op 0
		.amdhsa_exception_fp_denorm_src 0
		.amdhsa_exception_fp_ieee_div_zero 0
		.amdhsa_exception_fp_ieee_overflow 0
		.amdhsa_exception_fp_ieee_underflow 0
		.amdhsa_exception_fp_ieee_inexact 0
		.amdhsa_exception_int_div_zero 0
	.end_amdhsa_kernel
	.section	.text._ZN7rocprim17ROCPRIM_400000_NS6detail17trampoline_kernelINS0_14default_configENS1_36segmented_radix_sort_config_selectorI12hip_bfloat16lEEZNS1_25segmented_radix_sort_implIS3_Lb0EPKS5_PS5_PKlPlN2at6native12_GLOBAL__N_18offset_tEEE10hipError_tPvRmT1_PNSt15iterator_traitsISL_E10value_typeET2_T3_PNSM_ISR_E10value_typeET4_jRbjT5_SX_jjP12ihipStream_tbEUlT_E0_NS1_11comp_targetILNS1_3genE9ELNS1_11target_archE1100ELNS1_3gpuE3ELNS1_3repE0EEENS1_60segmented_radix_sort_warp_sort_medium_config_static_selectorELNS0_4arch9wavefront6targetE0EEEvSL_,"axG",@progbits,_ZN7rocprim17ROCPRIM_400000_NS6detail17trampoline_kernelINS0_14default_configENS1_36segmented_radix_sort_config_selectorI12hip_bfloat16lEEZNS1_25segmented_radix_sort_implIS3_Lb0EPKS5_PS5_PKlPlN2at6native12_GLOBAL__N_18offset_tEEE10hipError_tPvRmT1_PNSt15iterator_traitsISL_E10value_typeET2_T3_PNSM_ISR_E10value_typeET4_jRbjT5_SX_jjP12ihipStream_tbEUlT_E0_NS1_11comp_targetILNS1_3genE9ELNS1_11target_archE1100ELNS1_3gpuE3ELNS1_3repE0EEENS1_60segmented_radix_sort_warp_sort_medium_config_static_selectorELNS0_4arch9wavefront6targetE0EEEvSL_,comdat
.Lfunc_end2067:
	.size	_ZN7rocprim17ROCPRIM_400000_NS6detail17trampoline_kernelINS0_14default_configENS1_36segmented_radix_sort_config_selectorI12hip_bfloat16lEEZNS1_25segmented_radix_sort_implIS3_Lb0EPKS5_PS5_PKlPlN2at6native12_GLOBAL__N_18offset_tEEE10hipError_tPvRmT1_PNSt15iterator_traitsISL_E10value_typeET2_T3_PNSM_ISR_E10value_typeET4_jRbjT5_SX_jjP12ihipStream_tbEUlT_E0_NS1_11comp_targetILNS1_3genE9ELNS1_11target_archE1100ELNS1_3gpuE3ELNS1_3repE0EEENS1_60segmented_radix_sort_warp_sort_medium_config_static_selectorELNS0_4arch9wavefront6targetE0EEEvSL_, .Lfunc_end2067-_ZN7rocprim17ROCPRIM_400000_NS6detail17trampoline_kernelINS0_14default_configENS1_36segmented_radix_sort_config_selectorI12hip_bfloat16lEEZNS1_25segmented_radix_sort_implIS3_Lb0EPKS5_PS5_PKlPlN2at6native12_GLOBAL__N_18offset_tEEE10hipError_tPvRmT1_PNSt15iterator_traitsISL_E10value_typeET2_T3_PNSM_ISR_E10value_typeET4_jRbjT5_SX_jjP12ihipStream_tbEUlT_E0_NS1_11comp_targetILNS1_3genE9ELNS1_11target_archE1100ELNS1_3gpuE3ELNS1_3repE0EEENS1_60segmented_radix_sort_warp_sort_medium_config_static_selectorELNS0_4arch9wavefront6targetE0EEEvSL_
                                        ; -- End function
	.section	.AMDGPU.csdata,"",@progbits
; Kernel info:
; codeLenInByte = 500
; NumSgprs: 42
; NumVgprs: 71
; ScratchSize: 0
; MemoryBound: 0
; FloatMode: 240
; IeeeMode: 1
; LDSByteSize: 20480 bytes/workgroup (compile time only)
; SGPRBlocks: 5
; VGPRBlocks: 8
; NumSGPRsForWavesPerEU: 42
; NumVGPRsForWavesPerEU: 71
; Occupancy: 12
; WaveLimiterHint : 0
; COMPUTE_PGM_RSRC2:SCRATCH_EN: 0
; COMPUTE_PGM_RSRC2:USER_SGPR: 14
; COMPUTE_PGM_RSRC2:TRAP_HANDLER: 0
; COMPUTE_PGM_RSRC2:TGID_X_EN: 1
; COMPUTE_PGM_RSRC2:TGID_Y_EN: 1
; COMPUTE_PGM_RSRC2:TGID_Z_EN: 0
; COMPUTE_PGM_RSRC2:TIDIG_COMP_CNT: 2
	.section	.text._ZN7rocprim17ROCPRIM_400000_NS6detail17trampoline_kernelINS0_14default_configENS1_36segmented_radix_sort_config_selectorI12hip_bfloat16lEEZNS1_25segmented_radix_sort_implIS3_Lb0EPKS5_PS5_PKlPlN2at6native12_GLOBAL__N_18offset_tEEE10hipError_tPvRmT1_PNSt15iterator_traitsISL_E10value_typeET2_T3_PNSM_ISR_E10value_typeET4_jRbjT5_SX_jjP12ihipStream_tbEUlT_E0_NS1_11comp_targetILNS1_3genE8ELNS1_11target_archE1030ELNS1_3gpuE2ELNS1_3repE0EEENS1_60segmented_radix_sort_warp_sort_medium_config_static_selectorELNS0_4arch9wavefront6targetE0EEEvSL_,"axG",@progbits,_ZN7rocprim17ROCPRIM_400000_NS6detail17trampoline_kernelINS0_14default_configENS1_36segmented_radix_sort_config_selectorI12hip_bfloat16lEEZNS1_25segmented_radix_sort_implIS3_Lb0EPKS5_PS5_PKlPlN2at6native12_GLOBAL__N_18offset_tEEE10hipError_tPvRmT1_PNSt15iterator_traitsISL_E10value_typeET2_T3_PNSM_ISR_E10value_typeET4_jRbjT5_SX_jjP12ihipStream_tbEUlT_E0_NS1_11comp_targetILNS1_3genE8ELNS1_11target_archE1030ELNS1_3gpuE2ELNS1_3repE0EEENS1_60segmented_radix_sort_warp_sort_medium_config_static_selectorELNS0_4arch9wavefront6targetE0EEEvSL_,comdat
	.globl	_ZN7rocprim17ROCPRIM_400000_NS6detail17trampoline_kernelINS0_14default_configENS1_36segmented_radix_sort_config_selectorI12hip_bfloat16lEEZNS1_25segmented_radix_sort_implIS3_Lb0EPKS5_PS5_PKlPlN2at6native12_GLOBAL__N_18offset_tEEE10hipError_tPvRmT1_PNSt15iterator_traitsISL_E10value_typeET2_T3_PNSM_ISR_E10value_typeET4_jRbjT5_SX_jjP12ihipStream_tbEUlT_E0_NS1_11comp_targetILNS1_3genE8ELNS1_11target_archE1030ELNS1_3gpuE2ELNS1_3repE0EEENS1_60segmented_radix_sort_warp_sort_medium_config_static_selectorELNS0_4arch9wavefront6targetE0EEEvSL_ ; -- Begin function _ZN7rocprim17ROCPRIM_400000_NS6detail17trampoline_kernelINS0_14default_configENS1_36segmented_radix_sort_config_selectorI12hip_bfloat16lEEZNS1_25segmented_radix_sort_implIS3_Lb0EPKS5_PS5_PKlPlN2at6native12_GLOBAL__N_18offset_tEEE10hipError_tPvRmT1_PNSt15iterator_traitsISL_E10value_typeET2_T3_PNSM_ISR_E10value_typeET4_jRbjT5_SX_jjP12ihipStream_tbEUlT_E0_NS1_11comp_targetILNS1_3genE8ELNS1_11target_archE1030ELNS1_3gpuE2ELNS1_3repE0EEENS1_60segmented_radix_sort_warp_sort_medium_config_static_selectorELNS0_4arch9wavefront6targetE0EEEvSL_
	.p2align	8
	.type	_ZN7rocprim17ROCPRIM_400000_NS6detail17trampoline_kernelINS0_14default_configENS1_36segmented_radix_sort_config_selectorI12hip_bfloat16lEEZNS1_25segmented_radix_sort_implIS3_Lb0EPKS5_PS5_PKlPlN2at6native12_GLOBAL__N_18offset_tEEE10hipError_tPvRmT1_PNSt15iterator_traitsISL_E10value_typeET2_T3_PNSM_ISR_E10value_typeET4_jRbjT5_SX_jjP12ihipStream_tbEUlT_E0_NS1_11comp_targetILNS1_3genE8ELNS1_11target_archE1030ELNS1_3gpuE2ELNS1_3repE0EEENS1_60segmented_radix_sort_warp_sort_medium_config_static_selectorELNS0_4arch9wavefront6targetE0EEEvSL_,@function
_ZN7rocprim17ROCPRIM_400000_NS6detail17trampoline_kernelINS0_14default_configENS1_36segmented_radix_sort_config_selectorI12hip_bfloat16lEEZNS1_25segmented_radix_sort_implIS3_Lb0EPKS5_PS5_PKlPlN2at6native12_GLOBAL__N_18offset_tEEE10hipError_tPvRmT1_PNSt15iterator_traitsISL_E10value_typeET2_T3_PNSM_ISR_E10value_typeET4_jRbjT5_SX_jjP12ihipStream_tbEUlT_E0_NS1_11comp_targetILNS1_3genE8ELNS1_11target_archE1030ELNS1_3gpuE2ELNS1_3repE0EEENS1_60segmented_radix_sort_warp_sort_medium_config_static_selectorELNS0_4arch9wavefront6targetE0EEEvSL_: ; @_ZN7rocprim17ROCPRIM_400000_NS6detail17trampoline_kernelINS0_14default_configENS1_36segmented_radix_sort_config_selectorI12hip_bfloat16lEEZNS1_25segmented_radix_sort_implIS3_Lb0EPKS5_PS5_PKlPlN2at6native12_GLOBAL__N_18offset_tEEE10hipError_tPvRmT1_PNSt15iterator_traitsISL_E10value_typeET2_T3_PNSM_ISR_E10value_typeET4_jRbjT5_SX_jjP12ihipStream_tbEUlT_E0_NS1_11comp_targetILNS1_3genE8ELNS1_11target_archE1030ELNS1_3gpuE2ELNS1_3repE0EEENS1_60segmented_radix_sort_warp_sort_medium_config_static_selectorELNS0_4arch9wavefront6targetE0EEEvSL_
; %bb.0:
	.section	.rodata,"a",@progbits
	.p2align	6, 0x0
	.amdhsa_kernel _ZN7rocprim17ROCPRIM_400000_NS6detail17trampoline_kernelINS0_14default_configENS1_36segmented_radix_sort_config_selectorI12hip_bfloat16lEEZNS1_25segmented_radix_sort_implIS3_Lb0EPKS5_PS5_PKlPlN2at6native12_GLOBAL__N_18offset_tEEE10hipError_tPvRmT1_PNSt15iterator_traitsISL_E10value_typeET2_T3_PNSM_ISR_E10value_typeET4_jRbjT5_SX_jjP12ihipStream_tbEUlT_E0_NS1_11comp_targetILNS1_3genE8ELNS1_11target_archE1030ELNS1_3gpuE2ELNS1_3repE0EEENS1_60segmented_radix_sort_warp_sort_medium_config_static_selectorELNS0_4arch9wavefront6targetE0EEEvSL_
		.amdhsa_group_segment_fixed_size 0
		.amdhsa_private_segment_fixed_size 0
		.amdhsa_kernarg_size 88
		.amdhsa_user_sgpr_count 15
		.amdhsa_user_sgpr_dispatch_ptr 0
		.amdhsa_user_sgpr_queue_ptr 0
		.amdhsa_user_sgpr_kernarg_segment_ptr 1
		.amdhsa_user_sgpr_dispatch_id 0
		.amdhsa_user_sgpr_private_segment_size 0
		.amdhsa_wavefront_size32 1
		.amdhsa_uses_dynamic_stack 0
		.amdhsa_enable_private_segment 0
		.amdhsa_system_sgpr_workgroup_id_x 1
		.amdhsa_system_sgpr_workgroup_id_y 0
		.amdhsa_system_sgpr_workgroup_id_z 0
		.amdhsa_system_sgpr_workgroup_info 0
		.amdhsa_system_vgpr_workitem_id 0
		.amdhsa_next_free_vgpr 1
		.amdhsa_next_free_sgpr 1
		.amdhsa_reserve_vcc 0
		.amdhsa_float_round_mode_32 0
		.amdhsa_float_round_mode_16_64 0
		.amdhsa_float_denorm_mode_32 3
		.amdhsa_float_denorm_mode_16_64 3
		.amdhsa_dx10_clamp 1
		.amdhsa_ieee_mode 1
		.amdhsa_fp16_overflow 0
		.amdhsa_workgroup_processor_mode 1
		.amdhsa_memory_ordered 1
		.amdhsa_forward_progress 0
		.amdhsa_shared_vgpr_count 0
		.amdhsa_exception_fp_ieee_invalid_op 0
		.amdhsa_exception_fp_denorm_src 0
		.amdhsa_exception_fp_ieee_div_zero 0
		.amdhsa_exception_fp_ieee_overflow 0
		.amdhsa_exception_fp_ieee_underflow 0
		.amdhsa_exception_fp_ieee_inexact 0
		.amdhsa_exception_int_div_zero 0
	.end_amdhsa_kernel
	.section	.text._ZN7rocprim17ROCPRIM_400000_NS6detail17trampoline_kernelINS0_14default_configENS1_36segmented_radix_sort_config_selectorI12hip_bfloat16lEEZNS1_25segmented_radix_sort_implIS3_Lb0EPKS5_PS5_PKlPlN2at6native12_GLOBAL__N_18offset_tEEE10hipError_tPvRmT1_PNSt15iterator_traitsISL_E10value_typeET2_T3_PNSM_ISR_E10value_typeET4_jRbjT5_SX_jjP12ihipStream_tbEUlT_E0_NS1_11comp_targetILNS1_3genE8ELNS1_11target_archE1030ELNS1_3gpuE2ELNS1_3repE0EEENS1_60segmented_radix_sort_warp_sort_medium_config_static_selectorELNS0_4arch9wavefront6targetE0EEEvSL_,"axG",@progbits,_ZN7rocprim17ROCPRIM_400000_NS6detail17trampoline_kernelINS0_14default_configENS1_36segmented_radix_sort_config_selectorI12hip_bfloat16lEEZNS1_25segmented_radix_sort_implIS3_Lb0EPKS5_PS5_PKlPlN2at6native12_GLOBAL__N_18offset_tEEE10hipError_tPvRmT1_PNSt15iterator_traitsISL_E10value_typeET2_T3_PNSM_ISR_E10value_typeET4_jRbjT5_SX_jjP12ihipStream_tbEUlT_E0_NS1_11comp_targetILNS1_3genE8ELNS1_11target_archE1030ELNS1_3gpuE2ELNS1_3repE0EEENS1_60segmented_radix_sort_warp_sort_medium_config_static_selectorELNS0_4arch9wavefront6targetE0EEEvSL_,comdat
.Lfunc_end2068:
	.size	_ZN7rocprim17ROCPRIM_400000_NS6detail17trampoline_kernelINS0_14default_configENS1_36segmented_radix_sort_config_selectorI12hip_bfloat16lEEZNS1_25segmented_radix_sort_implIS3_Lb0EPKS5_PS5_PKlPlN2at6native12_GLOBAL__N_18offset_tEEE10hipError_tPvRmT1_PNSt15iterator_traitsISL_E10value_typeET2_T3_PNSM_ISR_E10value_typeET4_jRbjT5_SX_jjP12ihipStream_tbEUlT_E0_NS1_11comp_targetILNS1_3genE8ELNS1_11target_archE1030ELNS1_3gpuE2ELNS1_3repE0EEENS1_60segmented_radix_sort_warp_sort_medium_config_static_selectorELNS0_4arch9wavefront6targetE0EEEvSL_, .Lfunc_end2068-_ZN7rocprim17ROCPRIM_400000_NS6detail17trampoline_kernelINS0_14default_configENS1_36segmented_radix_sort_config_selectorI12hip_bfloat16lEEZNS1_25segmented_radix_sort_implIS3_Lb0EPKS5_PS5_PKlPlN2at6native12_GLOBAL__N_18offset_tEEE10hipError_tPvRmT1_PNSt15iterator_traitsISL_E10value_typeET2_T3_PNSM_ISR_E10value_typeET4_jRbjT5_SX_jjP12ihipStream_tbEUlT_E0_NS1_11comp_targetILNS1_3genE8ELNS1_11target_archE1030ELNS1_3gpuE2ELNS1_3repE0EEENS1_60segmented_radix_sort_warp_sort_medium_config_static_selectorELNS0_4arch9wavefront6targetE0EEEvSL_
                                        ; -- End function
	.section	.AMDGPU.csdata,"",@progbits
; Kernel info:
; codeLenInByte = 0
; NumSgprs: 0
; NumVgprs: 0
; ScratchSize: 0
; MemoryBound: 0
; FloatMode: 240
; IeeeMode: 1
; LDSByteSize: 0 bytes/workgroup (compile time only)
; SGPRBlocks: 0
; VGPRBlocks: 0
; NumSGPRsForWavesPerEU: 1
; NumVGPRsForWavesPerEU: 1
; Occupancy: 16
; WaveLimiterHint : 0
; COMPUTE_PGM_RSRC2:SCRATCH_EN: 0
; COMPUTE_PGM_RSRC2:USER_SGPR: 15
; COMPUTE_PGM_RSRC2:TRAP_HANDLER: 0
; COMPUTE_PGM_RSRC2:TGID_X_EN: 1
; COMPUTE_PGM_RSRC2:TGID_Y_EN: 0
; COMPUTE_PGM_RSRC2:TGID_Z_EN: 0
; COMPUTE_PGM_RSRC2:TIDIG_COMP_CNT: 0
	.section	.text._ZN7rocprim17ROCPRIM_400000_NS6detail17trampoline_kernelINS0_14default_configENS1_36segmented_radix_sort_config_selectorI12hip_bfloat16lEEZNS1_25segmented_radix_sort_implIS3_Lb0EPKS5_PS5_PKlPlN2at6native12_GLOBAL__N_18offset_tEEE10hipError_tPvRmT1_PNSt15iterator_traitsISL_E10value_typeET2_T3_PNSM_ISR_E10value_typeET4_jRbjT5_SX_jjP12ihipStream_tbEUlT_E1_NS1_11comp_targetILNS1_3genE0ELNS1_11target_archE4294967295ELNS1_3gpuE0ELNS1_3repE0EEENS1_59segmented_radix_sort_warp_sort_small_config_static_selectorELNS0_4arch9wavefront6targetE0EEEvSL_,"axG",@progbits,_ZN7rocprim17ROCPRIM_400000_NS6detail17trampoline_kernelINS0_14default_configENS1_36segmented_radix_sort_config_selectorI12hip_bfloat16lEEZNS1_25segmented_radix_sort_implIS3_Lb0EPKS5_PS5_PKlPlN2at6native12_GLOBAL__N_18offset_tEEE10hipError_tPvRmT1_PNSt15iterator_traitsISL_E10value_typeET2_T3_PNSM_ISR_E10value_typeET4_jRbjT5_SX_jjP12ihipStream_tbEUlT_E1_NS1_11comp_targetILNS1_3genE0ELNS1_11target_archE4294967295ELNS1_3gpuE0ELNS1_3repE0EEENS1_59segmented_radix_sort_warp_sort_small_config_static_selectorELNS0_4arch9wavefront6targetE0EEEvSL_,comdat
	.globl	_ZN7rocprim17ROCPRIM_400000_NS6detail17trampoline_kernelINS0_14default_configENS1_36segmented_radix_sort_config_selectorI12hip_bfloat16lEEZNS1_25segmented_radix_sort_implIS3_Lb0EPKS5_PS5_PKlPlN2at6native12_GLOBAL__N_18offset_tEEE10hipError_tPvRmT1_PNSt15iterator_traitsISL_E10value_typeET2_T3_PNSM_ISR_E10value_typeET4_jRbjT5_SX_jjP12ihipStream_tbEUlT_E1_NS1_11comp_targetILNS1_3genE0ELNS1_11target_archE4294967295ELNS1_3gpuE0ELNS1_3repE0EEENS1_59segmented_radix_sort_warp_sort_small_config_static_selectorELNS0_4arch9wavefront6targetE0EEEvSL_ ; -- Begin function _ZN7rocprim17ROCPRIM_400000_NS6detail17trampoline_kernelINS0_14default_configENS1_36segmented_radix_sort_config_selectorI12hip_bfloat16lEEZNS1_25segmented_radix_sort_implIS3_Lb0EPKS5_PS5_PKlPlN2at6native12_GLOBAL__N_18offset_tEEE10hipError_tPvRmT1_PNSt15iterator_traitsISL_E10value_typeET2_T3_PNSM_ISR_E10value_typeET4_jRbjT5_SX_jjP12ihipStream_tbEUlT_E1_NS1_11comp_targetILNS1_3genE0ELNS1_11target_archE4294967295ELNS1_3gpuE0ELNS1_3repE0EEENS1_59segmented_radix_sort_warp_sort_small_config_static_selectorELNS0_4arch9wavefront6targetE0EEEvSL_
	.p2align	8
	.type	_ZN7rocprim17ROCPRIM_400000_NS6detail17trampoline_kernelINS0_14default_configENS1_36segmented_radix_sort_config_selectorI12hip_bfloat16lEEZNS1_25segmented_radix_sort_implIS3_Lb0EPKS5_PS5_PKlPlN2at6native12_GLOBAL__N_18offset_tEEE10hipError_tPvRmT1_PNSt15iterator_traitsISL_E10value_typeET2_T3_PNSM_ISR_E10value_typeET4_jRbjT5_SX_jjP12ihipStream_tbEUlT_E1_NS1_11comp_targetILNS1_3genE0ELNS1_11target_archE4294967295ELNS1_3gpuE0ELNS1_3repE0EEENS1_59segmented_radix_sort_warp_sort_small_config_static_selectorELNS0_4arch9wavefront6targetE0EEEvSL_,@function
_ZN7rocprim17ROCPRIM_400000_NS6detail17trampoline_kernelINS0_14default_configENS1_36segmented_radix_sort_config_selectorI12hip_bfloat16lEEZNS1_25segmented_radix_sort_implIS3_Lb0EPKS5_PS5_PKlPlN2at6native12_GLOBAL__N_18offset_tEEE10hipError_tPvRmT1_PNSt15iterator_traitsISL_E10value_typeET2_T3_PNSM_ISR_E10value_typeET4_jRbjT5_SX_jjP12ihipStream_tbEUlT_E1_NS1_11comp_targetILNS1_3genE0ELNS1_11target_archE4294967295ELNS1_3gpuE0ELNS1_3repE0EEENS1_59segmented_radix_sort_warp_sort_small_config_static_selectorELNS0_4arch9wavefront6targetE0EEEvSL_: ; @_ZN7rocprim17ROCPRIM_400000_NS6detail17trampoline_kernelINS0_14default_configENS1_36segmented_radix_sort_config_selectorI12hip_bfloat16lEEZNS1_25segmented_radix_sort_implIS3_Lb0EPKS5_PS5_PKlPlN2at6native12_GLOBAL__N_18offset_tEEE10hipError_tPvRmT1_PNSt15iterator_traitsISL_E10value_typeET2_T3_PNSM_ISR_E10value_typeET4_jRbjT5_SX_jjP12ihipStream_tbEUlT_E1_NS1_11comp_targetILNS1_3genE0ELNS1_11target_archE4294967295ELNS1_3gpuE0ELNS1_3repE0EEENS1_59segmented_radix_sort_warp_sort_small_config_static_selectorELNS0_4arch9wavefront6targetE0EEEvSL_
; %bb.0:
	.section	.rodata,"a",@progbits
	.p2align	6, 0x0
	.amdhsa_kernel _ZN7rocprim17ROCPRIM_400000_NS6detail17trampoline_kernelINS0_14default_configENS1_36segmented_radix_sort_config_selectorI12hip_bfloat16lEEZNS1_25segmented_radix_sort_implIS3_Lb0EPKS5_PS5_PKlPlN2at6native12_GLOBAL__N_18offset_tEEE10hipError_tPvRmT1_PNSt15iterator_traitsISL_E10value_typeET2_T3_PNSM_ISR_E10value_typeET4_jRbjT5_SX_jjP12ihipStream_tbEUlT_E1_NS1_11comp_targetILNS1_3genE0ELNS1_11target_archE4294967295ELNS1_3gpuE0ELNS1_3repE0EEENS1_59segmented_radix_sort_warp_sort_small_config_static_selectorELNS0_4arch9wavefront6targetE0EEEvSL_
		.amdhsa_group_segment_fixed_size 0
		.amdhsa_private_segment_fixed_size 0
		.amdhsa_kernarg_size 88
		.amdhsa_user_sgpr_count 15
		.amdhsa_user_sgpr_dispatch_ptr 0
		.amdhsa_user_sgpr_queue_ptr 0
		.amdhsa_user_sgpr_kernarg_segment_ptr 1
		.amdhsa_user_sgpr_dispatch_id 0
		.amdhsa_user_sgpr_private_segment_size 0
		.amdhsa_wavefront_size32 1
		.amdhsa_uses_dynamic_stack 0
		.amdhsa_enable_private_segment 0
		.amdhsa_system_sgpr_workgroup_id_x 1
		.amdhsa_system_sgpr_workgroup_id_y 0
		.amdhsa_system_sgpr_workgroup_id_z 0
		.amdhsa_system_sgpr_workgroup_info 0
		.amdhsa_system_vgpr_workitem_id 0
		.amdhsa_next_free_vgpr 1
		.amdhsa_next_free_sgpr 1
		.amdhsa_reserve_vcc 0
		.amdhsa_float_round_mode_32 0
		.amdhsa_float_round_mode_16_64 0
		.amdhsa_float_denorm_mode_32 3
		.amdhsa_float_denorm_mode_16_64 3
		.amdhsa_dx10_clamp 1
		.amdhsa_ieee_mode 1
		.amdhsa_fp16_overflow 0
		.amdhsa_workgroup_processor_mode 1
		.amdhsa_memory_ordered 1
		.amdhsa_forward_progress 0
		.amdhsa_shared_vgpr_count 0
		.amdhsa_exception_fp_ieee_invalid_op 0
		.amdhsa_exception_fp_denorm_src 0
		.amdhsa_exception_fp_ieee_div_zero 0
		.amdhsa_exception_fp_ieee_overflow 0
		.amdhsa_exception_fp_ieee_underflow 0
		.amdhsa_exception_fp_ieee_inexact 0
		.amdhsa_exception_int_div_zero 0
	.end_amdhsa_kernel
	.section	.text._ZN7rocprim17ROCPRIM_400000_NS6detail17trampoline_kernelINS0_14default_configENS1_36segmented_radix_sort_config_selectorI12hip_bfloat16lEEZNS1_25segmented_radix_sort_implIS3_Lb0EPKS5_PS5_PKlPlN2at6native12_GLOBAL__N_18offset_tEEE10hipError_tPvRmT1_PNSt15iterator_traitsISL_E10value_typeET2_T3_PNSM_ISR_E10value_typeET4_jRbjT5_SX_jjP12ihipStream_tbEUlT_E1_NS1_11comp_targetILNS1_3genE0ELNS1_11target_archE4294967295ELNS1_3gpuE0ELNS1_3repE0EEENS1_59segmented_radix_sort_warp_sort_small_config_static_selectorELNS0_4arch9wavefront6targetE0EEEvSL_,"axG",@progbits,_ZN7rocprim17ROCPRIM_400000_NS6detail17trampoline_kernelINS0_14default_configENS1_36segmented_radix_sort_config_selectorI12hip_bfloat16lEEZNS1_25segmented_radix_sort_implIS3_Lb0EPKS5_PS5_PKlPlN2at6native12_GLOBAL__N_18offset_tEEE10hipError_tPvRmT1_PNSt15iterator_traitsISL_E10value_typeET2_T3_PNSM_ISR_E10value_typeET4_jRbjT5_SX_jjP12ihipStream_tbEUlT_E1_NS1_11comp_targetILNS1_3genE0ELNS1_11target_archE4294967295ELNS1_3gpuE0ELNS1_3repE0EEENS1_59segmented_radix_sort_warp_sort_small_config_static_selectorELNS0_4arch9wavefront6targetE0EEEvSL_,comdat
.Lfunc_end2069:
	.size	_ZN7rocprim17ROCPRIM_400000_NS6detail17trampoline_kernelINS0_14default_configENS1_36segmented_radix_sort_config_selectorI12hip_bfloat16lEEZNS1_25segmented_radix_sort_implIS3_Lb0EPKS5_PS5_PKlPlN2at6native12_GLOBAL__N_18offset_tEEE10hipError_tPvRmT1_PNSt15iterator_traitsISL_E10value_typeET2_T3_PNSM_ISR_E10value_typeET4_jRbjT5_SX_jjP12ihipStream_tbEUlT_E1_NS1_11comp_targetILNS1_3genE0ELNS1_11target_archE4294967295ELNS1_3gpuE0ELNS1_3repE0EEENS1_59segmented_radix_sort_warp_sort_small_config_static_selectorELNS0_4arch9wavefront6targetE0EEEvSL_, .Lfunc_end2069-_ZN7rocprim17ROCPRIM_400000_NS6detail17trampoline_kernelINS0_14default_configENS1_36segmented_radix_sort_config_selectorI12hip_bfloat16lEEZNS1_25segmented_radix_sort_implIS3_Lb0EPKS5_PS5_PKlPlN2at6native12_GLOBAL__N_18offset_tEEE10hipError_tPvRmT1_PNSt15iterator_traitsISL_E10value_typeET2_T3_PNSM_ISR_E10value_typeET4_jRbjT5_SX_jjP12ihipStream_tbEUlT_E1_NS1_11comp_targetILNS1_3genE0ELNS1_11target_archE4294967295ELNS1_3gpuE0ELNS1_3repE0EEENS1_59segmented_radix_sort_warp_sort_small_config_static_selectorELNS0_4arch9wavefront6targetE0EEEvSL_
                                        ; -- End function
	.section	.AMDGPU.csdata,"",@progbits
; Kernel info:
; codeLenInByte = 0
; NumSgprs: 0
; NumVgprs: 0
; ScratchSize: 0
; MemoryBound: 0
; FloatMode: 240
; IeeeMode: 1
; LDSByteSize: 0 bytes/workgroup (compile time only)
; SGPRBlocks: 0
; VGPRBlocks: 0
; NumSGPRsForWavesPerEU: 1
; NumVGPRsForWavesPerEU: 1
; Occupancy: 16
; WaveLimiterHint : 0
; COMPUTE_PGM_RSRC2:SCRATCH_EN: 0
; COMPUTE_PGM_RSRC2:USER_SGPR: 15
; COMPUTE_PGM_RSRC2:TRAP_HANDLER: 0
; COMPUTE_PGM_RSRC2:TGID_X_EN: 1
; COMPUTE_PGM_RSRC2:TGID_Y_EN: 0
; COMPUTE_PGM_RSRC2:TGID_Z_EN: 0
; COMPUTE_PGM_RSRC2:TIDIG_COMP_CNT: 0
	.section	.text._ZN7rocprim17ROCPRIM_400000_NS6detail17trampoline_kernelINS0_14default_configENS1_36segmented_radix_sort_config_selectorI12hip_bfloat16lEEZNS1_25segmented_radix_sort_implIS3_Lb0EPKS5_PS5_PKlPlN2at6native12_GLOBAL__N_18offset_tEEE10hipError_tPvRmT1_PNSt15iterator_traitsISL_E10value_typeET2_T3_PNSM_ISR_E10value_typeET4_jRbjT5_SX_jjP12ihipStream_tbEUlT_E1_NS1_11comp_targetILNS1_3genE5ELNS1_11target_archE942ELNS1_3gpuE9ELNS1_3repE0EEENS1_59segmented_radix_sort_warp_sort_small_config_static_selectorELNS0_4arch9wavefront6targetE0EEEvSL_,"axG",@progbits,_ZN7rocprim17ROCPRIM_400000_NS6detail17trampoline_kernelINS0_14default_configENS1_36segmented_radix_sort_config_selectorI12hip_bfloat16lEEZNS1_25segmented_radix_sort_implIS3_Lb0EPKS5_PS5_PKlPlN2at6native12_GLOBAL__N_18offset_tEEE10hipError_tPvRmT1_PNSt15iterator_traitsISL_E10value_typeET2_T3_PNSM_ISR_E10value_typeET4_jRbjT5_SX_jjP12ihipStream_tbEUlT_E1_NS1_11comp_targetILNS1_3genE5ELNS1_11target_archE942ELNS1_3gpuE9ELNS1_3repE0EEENS1_59segmented_radix_sort_warp_sort_small_config_static_selectorELNS0_4arch9wavefront6targetE0EEEvSL_,comdat
	.globl	_ZN7rocprim17ROCPRIM_400000_NS6detail17trampoline_kernelINS0_14default_configENS1_36segmented_radix_sort_config_selectorI12hip_bfloat16lEEZNS1_25segmented_radix_sort_implIS3_Lb0EPKS5_PS5_PKlPlN2at6native12_GLOBAL__N_18offset_tEEE10hipError_tPvRmT1_PNSt15iterator_traitsISL_E10value_typeET2_T3_PNSM_ISR_E10value_typeET4_jRbjT5_SX_jjP12ihipStream_tbEUlT_E1_NS1_11comp_targetILNS1_3genE5ELNS1_11target_archE942ELNS1_3gpuE9ELNS1_3repE0EEENS1_59segmented_radix_sort_warp_sort_small_config_static_selectorELNS0_4arch9wavefront6targetE0EEEvSL_ ; -- Begin function _ZN7rocprim17ROCPRIM_400000_NS6detail17trampoline_kernelINS0_14default_configENS1_36segmented_radix_sort_config_selectorI12hip_bfloat16lEEZNS1_25segmented_radix_sort_implIS3_Lb0EPKS5_PS5_PKlPlN2at6native12_GLOBAL__N_18offset_tEEE10hipError_tPvRmT1_PNSt15iterator_traitsISL_E10value_typeET2_T3_PNSM_ISR_E10value_typeET4_jRbjT5_SX_jjP12ihipStream_tbEUlT_E1_NS1_11comp_targetILNS1_3genE5ELNS1_11target_archE942ELNS1_3gpuE9ELNS1_3repE0EEENS1_59segmented_radix_sort_warp_sort_small_config_static_selectorELNS0_4arch9wavefront6targetE0EEEvSL_
	.p2align	8
	.type	_ZN7rocprim17ROCPRIM_400000_NS6detail17trampoline_kernelINS0_14default_configENS1_36segmented_radix_sort_config_selectorI12hip_bfloat16lEEZNS1_25segmented_radix_sort_implIS3_Lb0EPKS5_PS5_PKlPlN2at6native12_GLOBAL__N_18offset_tEEE10hipError_tPvRmT1_PNSt15iterator_traitsISL_E10value_typeET2_T3_PNSM_ISR_E10value_typeET4_jRbjT5_SX_jjP12ihipStream_tbEUlT_E1_NS1_11comp_targetILNS1_3genE5ELNS1_11target_archE942ELNS1_3gpuE9ELNS1_3repE0EEENS1_59segmented_radix_sort_warp_sort_small_config_static_selectorELNS0_4arch9wavefront6targetE0EEEvSL_,@function
_ZN7rocprim17ROCPRIM_400000_NS6detail17trampoline_kernelINS0_14default_configENS1_36segmented_radix_sort_config_selectorI12hip_bfloat16lEEZNS1_25segmented_radix_sort_implIS3_Lb0EPKS5_PS5_PKlPlN2at6native12_GLOBAL__N_18offset_tEEE10hipError_tPvRmT1_PNSt15iterator_traitsISL_E10value_typeET2_T3_PNSM_ISR_E10value_typeET4_jRbjT5_SX_jjP12ihipStream_tbEUlT_E1_NS1_11comp_targetILNS1_3genE5ELNS1_11target_archE942ELNS1_3gpuE9ELNS1_3repE0EEENS1_59segmented_radix_sort_warp_sort_small_config_static_selectorELNS0_4arch9wavefront6targetE0EEEvSL_: ; @_ZN7rocprim17ROCPRIM_400000_NS6detail17trampoline_kernelINS0_14default_configENS1_36segmented_radix_sort_config_selectorI12hip_bfloat16lEEZNS1_25segmented_radix_sort_implIS3_Lb0EPKS5_PS5_PKlPlN2at6native12_GLOBAL__N_18offset_tEEE10hipError_tPvRmT1_PNSt15iterator_traitsISL_E10value_typeET2_T3_PNSM_ISR_E10value_typeET4_jRbjT5_SX_jjP12ihipStream_tbEUlT_E1_NS1_11comp_targetILNS1_3genE5ELNS1_11target_archE942ELNS1_3gpuE9ELNS1_3repE0EEENS1_59segmented_radix_sort_warp_sort_small_config_static_selectorELNS0_4arch9wavefront6targetE0EEEvSL_
; %bb.0:
	.section	.rodata,"a",@progbits
	.p2align	6, 0x0
	.amdhsa_kernel _ZN7rocprim17ROCPRIM_400000_NS6detail17trampoline_kernelINS0_14default_configENS1_36segmented_radix_sort_config_selectorI12hip_bfloat16lEEZNS1_25segmented_radix_sort_implIS3_Lb0EPKS5_PS5_PKlPlN2at6native12_GLOBAL__N_18offset_tEEE10hipError_tPvRmT1_PNSt15iterator_traitsISL_E10value_typeET2_T3_PNSM_ISR_E10value_typeET4_jRbjT5_SX_jjP12ihipStream_tbEUlT_E1_NS1_11comp_targetILNS1_3genE5ELNS1_11target_archE942ELNS1_3gpuE9ELNS1_3repE0EEENS1_59segmented_radix_sort_warp_sort_small_config_static_selectorELNS0_4arch9wavefront6targetE0EEEvSL_
		.amdhsa_group_segment_fixed_size 0
		.amdhsa_private_segment_fixed_size 0
		.amdhsa_kernarg_size 88
		.amdhsa_user_sgpr_count 15
		.amdhsa_user_sgpr_dispatch_ptr 0
		.amdhsa_user_sgpr_queue_ptr 0
		.amdhsa_user_sgpr_kernarg_segment_ptr 1
		.amdhsa_user_sgpr_dispatch_id 0
		.amdhsa_user_sgpr_private_segment_size 0
		.amdhsa_wavefront_size32 1
		.amdhsa_uses_dynamic_stack 0
		.amdhsa_enable_private_segment 0
		.amdhsa_system_sgpr_workgroup_id_x 1
		.amdhsa_system_sgpr_workgroup_id_y 0
		.amdhsa_system_sgpr_workgroup_id_z 0
		.amdhsa_system_sgpr_workgroup_info 0
		.amdhsa_system_vgpr_workitem_id 0
		.amdhsa_next_free_vgpr 1
		.amdhsa_next_free_sgpr 1
		.amdhsa_reserve_vcc 0
		.amdhsa_float_round_mode_32 0
		.amdhsa_float_round_mode_16_64 0
		.amdhsa_float_denorm_mode_32 3
		.amdhsa_float_denorm_mode_16_64 3
		.amdhsa_dx10_clamp 1
		.amdhsa_ieee_mode 1
		.amdhsa_fp16_overflow 0
		.amdhsa_workgroup_processor_mode 1
		.amdhsa_memory_ordered 1
		.amdhsa_forward_progress 0
		.amdhsa_shared_vgpr_count 0
		.amdhsa_exception_fp_ieee_invalid_op 0
		.amdhsa_exception_fp_denorm_src 0
		.amdhsa_exception_fp_ieee_div_zero 0
		.amdhsa_exception_fp_ieee_overflow 0
		.amdhsa_exception_fp_ieee_underflow 0
		.amdhsa_exception_fp_ieee_inexact 0
		.amdhsa_exception_int_div_zero 0
	.end_amdhsa_kernel
	.section	.text._ZN7rocprim17ROCPRIM_400000_NS6detail17trampoline_kernelINS0_14default_configENS1_36segmented_radix_sort_config_selectorI12hip_bfloat16lEEZNS1_25segmented_radix_sort_implIS3_Lb0EPKS5_PS5_PKlPlN2at6native12_GLOBAL__N_18offset_tEEE10hipError_tPvRmT1_PNSt15iterator_traitsISL_E10value_typeET2_T3_PNSM_ISR_E10value_typeET4_jRbjT5_SX_jjP12ihipStream_tbEUlT_E1_NS1_11comp_targetILNS1_3genE5ELNS1_11target_archE942ELNS1_3gpuE9ELNS1_3repE0EEENS1_59segmented_radix_sort_warp_sort_small_config_static_selectorELNS0_4arch9wavefront6targetE0EEEvSL_,"axG",@progbits,_ZN7rocprim17ROCPRIM_400000_NS6detail17trampoline_kernelINS0_14default_configENS1_36segmented_radix_sort_config_selectorI12hip_bfloat16lEEZNS1_25segmented_radix_sort_implIS3_Lb0EPKS5_PS5_PKlPlN2at6native12_GLOBAL__N_18offset_tEEE10hipError_tPvRmT1_PNSt15iterator_traitsISL_E10value_typeET2_T3_PNSM_ISR_E10value_typeET4_jRbjT5_SX_jjP12ihipStream_tbEUlT_E1_NS1_11comp_targetILNS1_3genE5ELNS1_11target_archE942ELNS1_3gpuE9ELNS1_3repE0EEENS1_59segmented_radix_sort_warp_sort_small_config_static_selectorELNS0_4arch9wavefront6targetE0EEEvSL_,comdat
.Lfunc_end2070:
	.size	_ZN7rocprim17ROCPRIM_400000_NS6detail17trampoline_kernelINS0_14default_configENS1_36segmented_radix_sort_config_selectorI12hip_bfloat16lEEZNS1_25segmented_radix_sort_implIS3_Lb0EPKS5_PS5_PKlPlN2at6native12_GLOBAL__N_18offset_tEEE10hipError_tPvRmT1_PNSt15iterator_traitsISL_E10value_typeET2_T3_PNSM_ISR_E10value_typeET4_jRbjT5_SX_jjP12ihipStream_tbEUlT_E1_NS1_11comp_targetILNS1_3genE5ELNS1_11target_archE942ELNS1_3gpuE9ELNS1_3repE0EEENS1_59segmented_radix_sort_warp_sort_small_config_static_selectorELNS0_4arch9wavefront6targetE0EEEvSL_, .Lfunc_end2070-_ZN7rocprim17ROCPRIM_400000_NS6detail17trampoline_kernelINS0_14default_configENS1_36segmented_radix_sort_config_selectorI12hip_bfloat16lEEZNS1_25segmented_radix_sort_implIS3_Lb0EPKS5_PS5_PKlPlN2at6native12_GLOBAL__N_18offset_tEEE10hipError_tPvRmT1_PNSt15iterator_traitsISL_E10value_typeET2_T3_PNSM_ISR_E10value_typeET4_jRbjT5_SX_jjP12ihipStream_tbEUlT_E1_NS1_11comp_targetILNS1_3genE5ELNS1_11target_archE942ELNS1_3gpuE9ELNS1_3repE0EEENS1_59segmented_radix_sort_warp_sort_small_config_static_selectorELNS0_4arch9wavefront6targetE0EEEvSL_
                                        ; -- End function
	.section	.AMDGPU.csdata,"",@progbits
; Kernel info:
; codeLenInByte = 0
; NumSgprs: 0
; NumVgprs: 0
; ScratchSize: 0
; MemoryBound: 0
; FloatMode: 240
; IeeeMode: 1
; LDSByteSize: 0 bytes/workgroup (compile time only)
; SGPRBlocks: 0
; VGPRBlocks: 0
; NumSGPRsForWavesPerEU: 1
; NumVGPRsForWavesPerEU: 1
; Occupancy: 16
; WaveLimiterHint : 0
; COMPUTE_PGM_RSRC2:SCRATCH_EN: 0
; COMPUTE_PGM_RSRC2:USER_SGPR: 15
; COMPUTE_PGM_RSRC2:TRAP_HANDLER: 0
; COMPUTE_PGM_RSRC2:TGID_X_EN: 1
; COMPUTE_PGM_RSRC2:TGID_Y_EN: 0
; COMPUTE_PGM_RSRC2:TGID_Z_EN: 0
; COMPUTE_PGM_RSRC2:TIDIG_COMP_CNT: 0
	.section	.text._ZN7rocprim17ROCPRIM_400000_NS6detail17trampoline_kernelINS0_14default_configENS1_36segmented_radix_sort_config_selectorI12hip_bfloat16lEEZNS1_25segmented_radix_sort_implIS3_Lb0EPKS5_PS5_PKlPlN2at6native12_GLOBAL__N_18offset_tEEE10hipError_tPvRmT1_PNSt15iterator_traitsISL_E10value_typeET2_T3_PNSM_ISR_E10value_typeET4_jRbjT5_SX_jjP12ihipStream_tbEUlT_E1_NS1_11comp_targetILNS1_3genE4ELNS1_11target_archE910ELNS1_3gpuE8ELNS1_3repE0EEENS1_59segmented_radix_sort_warp_sort_small_config_static_selectorELNS0_4arch9wavefront6targetE0EEEvSL_,"axG",@progbits,_ZN7rocprim17ROCPRIM_400000_NS6detail17trampoline_kernelINS0_14default_configENS1_36segmented_radix_sort_config_selectorI12hip_bfloat16lEEZNS1_25segmented_radix_sort_implIS3_Lb0EPKS5_PS5_PKlPlN2at6native12_GLOBAL__N_18offset_tEEE10hipError_tPvRmT1_PNSt15iterator_traitsISL_E10value_typeET2_T3_PNSM_ISR_E10value_typeET4_jRbjT5_SX_jjP12ihipStream_tbEUlT_E1_NS1_11comp_targetILNS1_3genE4ELNS1_11target_archE910ELNS1_3gpuE8ELNS1_3repE0EEENS1_59segmented_radix_sort_warp_sort_small_config_static_selectorELNS0_4arch9wavefront6targetE0EEEvSL_,comdat
	.globl	_ZN7rocprim17ROCPRIM_400000_NS6detail17trampoline_kernelINS0_14default_configENS1_36segmented_radix_sort_config_selectorI12hip_bfloat16lEEZNS1_25segmented_radix_sort_implIS3_Lb0EPKS5_PS5_PKlPlN2at6native12_GLOBAL__N_18offset_tEEE10hipError_tPvRmT1_PNSt15iterator_traitsISL_E10value_typeET2_T3_PNSM_ISR_E10value_typeET4_jRbjT5_SX_jjP12ihipStream_tbEUlT_E1_NS1_11comp_targetILNS1_3genE4ELNS1_11target_archE910ELNS1_3gpuE8ELNS1_3repE0EEENS1_59segmented_radix_sort_warp_sort_small_config_static_selectorELNS0_4arch9wavefront6targetE0EEEvSL_ ; -- Begin function _ZN7rocprim17ROCPRIM_400000_NS6detail17trampoline_kernelINS0_14default_configENS1_36segmented_radix_sort_config_selectorI12hip_bfloat16lEEZNS1_25segmented_radix_sort_implIS3_Lb0EPKS5_PS5_PKlPlN2at6native12_GLOBAL__N_18offset_tEEE10hipError_tPvRmT1_PNSt15iterator_traitsISL_E10value_typeET2_T3_PNSM_ISR_E10value_typeET4_jRbjT5_SX_jjP12ihipStream_tbEUlT_E1_NS1_11comp_targetILNS1_3genE4ELNS1_11target_archE910ELNS1_3gpuE8ELNS1_3repE0EEENS1_59segmented_radix_sort_warp_sort_small_config_static_selectorELNS0_4arch9wavefront6targetE0EEEvSL_
	.p2align	8
	.type	_ZN7rocprim17ROCPRIM_400000_NS6detail17trampoline_kernelINS0_14default_configENS1_36segmented_radix_sort_config_selectorI12hip_bfloat16lEEZNS1_25segmented_radix_sort_implIS3_Lb0EPKS5_PS5_PKlPlN2at6native12_GLOBAL__N_18offset_tEEE10hipError_tPvRmT1_PNSt15iterator_traitsISL_E10value_typeET2_T3_PNSM_ISR_E10value_typeET4_jRbjT5_SX_jjP12ihipStream_tbEUlT_E1_NS1_11comp_targetILNS1_3genE4ELNS1_11target_archE910ELNS1_3gpuE8ELNS1_3repE0EEENS1_59segmented_radix_sort_warp_sort_small_config_static_selectorELNS0_4arch9wavefront6targetE0EEEvSL_,@function
_ZN7rocprim17ROCPRIM_400000_NS6detail17trampoline_kernelINS0_14default_configENS1_36segmented_radix_sort_config_selectorI12hip_bfloat16lEEZNS1_25segmented_radix_sort_implIS3_Lb0EPKS5_PS5_PKlPlN2at6native12_GLOBAL__N_18offset_tEEE10hipError_tPvRmT1_PNSt15iterator_traitsISL_E10value_typeET2_T3_PNSM_ISR_E10value_typeET4_jRbjT5_SX_jjP12ihipStream_tbEUlT_E1_NS1_11comp_targetILNS1_3genE4ELNS1_11target_archE910ELNS1_3gpuE8ELNS1_3repE0EEENS1_59segmented_radix_sort_warp_sort_small_config_static_selectorELNS0_4arch9wavefront6targetE0EEEvSL_: ; @_ZN7rocprim17ROCPRIM_400000_NS6detail17trampoline_kernelINS0_14default_configENS1_36segmented_radix_sort_config_selectorI12hip_bfloat16lEEZNS1_25segmented_radix_sort_implIS3_Lb0EPKS5_PS5_PKlPlN2at6native12_GLOBAL__N_18offset_tEEE10hipError_tPvRmT1_PNSt15iterator_traitsISL_E10value_typeET2_T3_PNSM_ISR_E10value_typeET4_jRbjT5_SX_jjP12ihipStream_tbEUlT_E1_NS1_11comp_targetILNS1_3genE4ELNS1_11target_archE910ELNS1_3gpuE8ELNS1_3repE0EEENS1_59segmented_radix_sort_warp_sort_small_config_static_selectorELNS0_4arch9wavefront6targetE0EEEvSL_
; %bb.0:
	.section	.rodata,"a",@progbits
	.p2align	6, 0x0
	.amdhsa_kernel _ZN7rocprim17ROCPRIM_400000_NS6detail17trampoline_kernelINS0_14default_configENS1_36segmented_radix_sort_config_selectorI12hip_bfloat16lEEZNS1_25segmented_radix_sort_implIS3_Lb0EPKS5_PS5_PKlPlN2at6native12_GLOBAL__N_18offset_tEEE10hipError_tPvRmT1_PNSt15iterator_traitsISL_E10value_typeET2_T3_PNSM_ISR_E10value_typeET4_jRbjT5_SX_jjP12ihipStream_tbEUlT_E1_NS1_11comp_targetILNS1_3genE4ELNS1_11target_archE910ELNS1_3gpuE8ELNS1_3repE0EEENS1_59segmented_radix_sort_warp_sort_small_config_static_selectorELNS0_4arch9wavefront6targetE0EEEvSL_
		.amdhsa_group_segment_fixed_size 0
		.amdhsa_private_segment_fixed_size 0
		.amdhsa_kernarg_size 88
		.amdhsa_user_sgpr_count 15
		.amdhsa_user_sgpr_dispatch_ptr 0
		.amdhsa_user_sgpr_queue_ptr 0
		.amdhsa_user_sgpr_kernarg_segment_ptr 1
		.amdhsa_user_sgpr_dispatch_id 0
		.amdhsa_user_sgpr_private_segment_size 0
		.amdhsa_wavefront_size32 1
		.amdhsa_uses_dynamic_stack 0
		.amdhsa_enable_private_segment 0
		.amdhsa_system_sgpr_workgroup_id_x 1
		.amdhsa_system_sgpr_workgroup_id_y 0
		.amdhsa_system_sgpr_workgroup_id_z 0
		.amdhsa_system_sgpr_workgroup_info 0
		.amdhsa_system_vgpr_workitem_id 0
		.amdhsa_next_free_vgpr 1
		.amdhsa_next_free_sgpr 1
		.amdhsa_reserve_vcc 0
		.amdhsa_float_round_mode_32 0
		.amdhsa_float_round_mode_16_64 0
		.amdhsa_float_denorm_mode_32 3
		.amdhsa_float_denorm_mode_16_64 3
		.amdhsa_dx10_clamp 1
		.amdhsa_ieee_mode 1
		.amdhsa_fp16_overflow 0
		.amdhsa_workgroup_processor_mode 1
		.amdhsa_memory_ordered 1
		.amdhsa_forward_progress 0
		.amdhsa_shared_vgpr_count 0
		.amdhsa_exception_fp_ieee_invalid_op 0
		.amdhsa_exception_fp_denorm_src 0
		.amdhsa_exception_fp_ieee_div_zero 0
		.amdhsa_exception_fp_ieee_overflow 0
		.amdhsa_exception_fp_ieee_underflow 0
		.amdhsa_exception_fp_ieee_inexact 0
		.amdhsa_exception_int_div_zero 0
	.end_amdhsa_kernel
	.section	.text._ZN7rocprim17ROCPRIM_400000_NS6detail17trampoline_kernelINS0_14default_configENS1_36segmented_radix_sort_config_selectorI12hip_bfloat16lEEZNS1_25segmented_radix_sort_implIS3_Lb0EPKS5_PS5_PKlPlN2at6native12_GLOBAL__N_18offset_tEEE10hipError_tPvRmT1_PNSt15iterator_traitsISL_E10value_typeET2_T3_PNSM_ISR_E10value_typeET4_jRbjT5_SX_jjP12ihipStream_tbEUlT_E1_NS1_11comp_targetILNS1_3genE4ELNS1_11target_archE910ELNS1_3gpuE8ELNS1_3repE0EEENS1_59segmented_radix_sort_warp_sort_small_config_static_selectorELNS0_4arch9wavefront6targetE0EEEvSL_,"axG",@progbits,_ZN7rocprim17ROCPRIM_400000_NS6detail17trampoline_kernelINS0_14default_configENS1_36segmented_radix_sort_config_selectorI12hip_bfloat16lEEZNS1_25segmented_radix_sort_implIS3_Lb0EPKS5_PS5_PKlPlN2at6native12_GLOBAL__N_18offset_tEEE10hipError_tPvRmT1_PNSt15iterator_traitsISL_E10value_typeET2_T3_PNSM_ISR_E10value_typeET4_jRbjT5_SX_jjP12ihipStream_tbEUlT_E1_NS1_11comp_targetILNS1_3genE4ELNS1_11target_archE910ELNS1_3gpuE8ELNS1_3repE0EEENS1_59segmented_radix_sort_warp_sort_small_config_static_selectorELNS0_4arch9wavefront6targetE0EEEvSL_,comdat
.Lfunc_end2071:
	.size	_ZN7rocprim17ROCPRIM_400000_NS6detail17trampoline_kernelINS0_14default_configENS1_36segmented_radix_sort_config_selectorI12hip_bfloat16lEEZNS1_25segmented_radix_sort_implIS3_Lb0EPKS5_PS5_PKlPlN2at6native12_GLOBAL__N_18offset_tEEE10hipError_tPvRmT1_PNSt15iterator_traitsISL_E10value_typeET2_T3_PNSM_ISR_E10value_typeET4_jRbjT5_SX_jjP12ihipStream_tbEUlT_E1_NS1_11comp_targetILNS1_3genE4ELNS1_11target_archE910ELNS1_3gpuE8ELNS1_3repE0EEENS1_59segmented_radix_sort_warp_sort_small_config_static_selectorELNS0_4arch9wavefront6targetE0EEEvSL_, .Lfunc_end2071-_ZN7rocprim17ROCPRIM_400000_NS6detail17trampoline_kernelINS0_14default_configENS1_36segmented_radix_sort_config_selectorI12hip_bfloat16lEEZNS1_25segmented_radix_sort_implIS3_Lb0EPKS5_PS5_PKlPlN2at6native12_GLOBAL__N_18offset_tEEE10hipError_tPvRmT1_PNSt15iterator_traitsISL_E10value_typeET2_T3_PNSM_ISR_E10value_typeET4_jRbjT5_SX_jjP12ihipStream_tbEUlT_E1_NS1_11comp_targetILNS1_3genE4ELNS1_11target_archE910ELNS1_3gpuE8ELNS1_3repE0EEENS1_59segmented_radix_sort_warp_sort_small_config_static_selectorELNS0_4arch9wavefront6targetE0EEEvSL_
                                        ; -- End function
	.section	.AMDGPU.csdata,"",@progbits
; Kernel info:
; codeLenInByte = 0
; NumSgprs: 0
; NumVgprs: 0
; ScratchSize: 0
; MemoryBound: 0
; FloatMode: 240
; IeeeMode: 1
; LDSByteSize: 0 bytes/workgroup (compile time only)
; SGPRBlocks: 0
; VGPRBlocks: 0
; NumSGPRsForWavesPerEU: 1
; NumVGPRsForWavesPerEU: 1
; Occupancy: 16
; WaveLimiterHint : 0
; COMPUTE_PGM_RSRC2:SCRATCH_EN: 0
; COMPUTE_PGM_RSRC2:USER_SGPR: 15
; COMPUTE_PGM_RSRC2:TRAP_HANDLER: 0
; COMPUTE_PGM_RSRC2:TGID_X_EN: 1
; COMPUTE_PGM_RSRC2:TGID_Y_EN: 0
; COMPUTE_PGM_RSRC2:TGID_Z_EN: 0
; COMPUTE_PGM_RSRC2:TIDIG_COMP_CNT: 0
	.section	.text._ZN7rocprim17ROCPRIM_400000_NS6detail17trampoline_kernelINS0_14default_configENS1_36segmented_radix_sort_config_selectorI12hip_bfloat16lEEZNS1_25segmented_radix_sort_implIS3_Lb0EPKS5_PS5_PKlPlN2at6native12_GLOBAL__N_18offset_tEEE10hipError_tPvRmT1_PNSt15iterator_traitsISL_E10value_typeET2_T3_PNSM_ISR_E10value_typeET4_jRbjT5_SX_jjP12ihipStream_tbEUlT_E1_NS1_11comp_targetILNS1_3genE3ELNS1_11target_archE908ELNS1_3gpuE7ELNS1_3repE0EEENS1_59segmented_radix_sort_warp_sort_small_config_static_selectorELNS0_4arch9wavefront6targetE0EEEvSL_,"axG",@progbits,_ZN7rocprim17ROCPRIM_400000_NS6detail17trampoline_kernelINS0_14default_configENS1_36segmented_radix_sort_config_selectorI12hip_bfloat16lEEZNS1_25segmented_radix_sort_implIS3_Lb0EPKS5_PS5_PKlPlN2at6native12_GLOBAL__N_18offset_tEEE10hipError_tPvRmT1_PNSt15iterator_traitsISL_E10value_typeET2_T3_PNSM_ISR_E10value_typeET4_jRbjT5_SX_jjP12ihipStream_tbEUlT_E1_NS1_11comp_targetILNS1_3genE3ELNS1_11target_archE908ELNS1_3gpuE7ELNS1_3repE0EEENS1_59segmented_radix_sort_warp_sort_small_config_static_selectorELNS0_4arch9wavefront6targetE0EEEvSL_,comdat
	.globl	_ZN7rocprim17ROCPRIM_400000_NS6detail17trampoline_kernelINS0_14default_configENS1_36segmented_radix_sort_config_selectorI12hip_bfloat16lEEZNS1_25segmented_radix_sort_implIS3_Lb0EPKS5_PS5_PKlPlN2at6native12_GLOBAL__N_18offset_tEEE10hipError_tPvRmT1_PNSt15iterator_traitsISL_E10value_typeET2_T3_PNSM_ISR_E10value_typeET4_jRbjT5_SX_jjP12ihipStream_tbEUlT_E1_NS1_11comp_targetILNS1_3genE3ELNS1_11target_archE908ELNS1_3gpuE7ELNS1_3repE0EEENS1_59segmented_radix_sort_warp_sort_small_config_static_selectorELNS0_4arch9wavefront6targetE0EEEvSL_ ; -- Begin function _ZN7rocprim17ROCPRIM_400000_NS6detail17trampoline_kernelINS0_14default_configENS1_36segmented_radix_sort_config_selectorI12hip_bfloat16lEEZNS1_25segmented_radix_sort_implIS3_Lb0EPKS5_PS5_PKlPlN2at6native12_GLOBAL__N_18offset_tEEE10hipError_tPvRmT1_PNSt15iterator_traitsISL_E10value_typeET2_T3_PNSM_ISR_E10value_typeET4_jRbjT5_SX_jjP12ihipStream_tbEUlT_E1_NS1_11comp_targetILNS1_3genE3ELNS1_11target_archE908ELNS1_3gpuE7ELNS1_3repE0EEENS1_59segmented_radix_sort_warp_sort_small_config_static_selectorELNS0_4arch9wavefront6targetE0EEEvSL_
	.p2align	8
	.type	_ZN7rocprim17ROCPRIM_400000_NS6detail17trampoline_kernelINS0_14default_configENS1_36segmented_radix_sort_config_selectorI12hip_bfloat16lEEZNS1_25segmented_radix_sort_implIS3_Lb0EPKS5_PS5_PKlPlN2at6native12_GLOBAL__N_18offset_tEEE10hipError_tPvRmT1_PNSt15iterator_traitsISL_E10value_typeET2_T3_PNSM_ISR_E10value_typeET4_jRbjT5_SX_jjP12ihipStream_tbEUlT_E1_NS1_11comp_targetILNS1_3genE3ELNS1_11target_archE908ELNS1_3gpuE7ELNS1_3repE0EEENS1_59segmented_radix_sort_warp_sort_small_config_static_selectorELNS0_4arch9wavefront6targetE0EEEvSL_,@function
_ZN7rocprim17ROCPRIM_400000_NS6detail17trampoline_kernelINS0_14default_configENS1_36segmented_radix_sort_config_selectorI12hip_bfloat16lEEZNS1_25segmented_radix_sort_implIS3_Lb0EPKS5_PS5_PKlPlN2at6native12_GLOBAL__N_18offset_tEEE10hipError_tPvRmT1_PNSt15iterator_traitsISL_E10value_typeET2_T3_PNSM_ISR_E10value_typeET4_jRbjT5_SX_jjP12ihipStream_tbEUlT_E1_NS1_11comp_targetILNS1_3genE3ELNS1_11target_archE908ELNS1_3gpuE7ELNS1_3repE0EEENS1_59segmented_radix_sort_warp_sort_small_config_static_selectorELNS0_4arch9wavefront6targetE0EEEvSL_: ; @_ZN7rocprim17ROCPRIM_400000_NS6detail17trampoline_kernelINS0_14default_configENS1_36segmented_radix_sort_config_selectorI12hip_bfloat16lEEZNS1_25segmented_radix_sort_implIS3_Lb0EPKS5_PS5_PKlPlN2at6native12_GLOBAL__N_18offset_tEEE10hipError_tPvRmT1_PNSt15iterator_traitsISL_E10value_typeET2_T3_PNSM_ISR_E10value_typeET4_jRbjT5_SX_jjP12ihipStream_tbEUlT_E1_NS1_11comp_targetILNS1_3genE3ELNS1_11target_archE908ELNS1_3gpuE7ELNS1_3repE0EEENS1_59segmented_radix_sort_warp_sort_small_config_static_selectorELNS0_4arch9wavefront6targetE0EEEvSL_
; %bb.0:
	.section	.rodata,"a",@progbits
	.p2align	6, 0x0
	.amdhsa_kernel _ZN7rocprim17ROCPRIM_400000_NS6detail17trampoline_kernelINS0_14default_configENS1_36segmented_radix_sort_config_selectorI12hip_bfloat16lEEZNS1_25segmented_radix_sort_implIS3_Lb0EPKS5_PS5_PKlPlN2at6native12_GLOBAL__N_18offset_tEEE10hipError_tPvRmT1_PNSt15iterator_traitsISL_E10value_typeET2_T3_PNSM_ISR_E10value_typeET4_jRbjT5_SX_jjP12ihipStream_tbEUlT_E1_NS1_11comp_targetILNS1_3genE3ELNS1_11target_archE908ELNS1_3gpuE7ELNS1_3repE0EEENS1_59segmented_radix_sort_warp_sort_small_config_static_selectorELNS0_4arch9wavefront6targetE0EEEvSL_
		.amdhsa_group_segment_fixed_size 0
		.amdhsa_private_segment_fixed_size 0
		.amdhsa_kernarg_size 88
		.amdhsa_user_sgpr_count 15
		.amdhsa_user_sgpr_dispatch_ptr 0
		.amdhsa_user_sgpr_queue_ptr 0
		.amdhsa_user_sgpr_kernarg_segment_ptr 1
		.amdhsa_user_sgpr_dispatch_id 0
		.amdhsa_user_sgpr_private_segment_size 0
		.amdhsa_wavefront_size32 1
		.amdhsa_uses_dynamic_stack 0
		.amdhsa_enable_private_segment 0
		.amdhsa_system_sgpr_workgroup_id_x 1
		.amdhsa_system_sgpr_workgroup_id_y 0
		.amdhsa_system_sgpr_workgroup_id_z 0
		.amdhsa_system_sgpr_workgroup_info 0
		.amdhsa_system_vgpr_workitem_id 0
		.amdhsa_next_free_vgpr 1
		.amdhsa_next_free_sgpr 1
		.amdhsa_reserve_vcc 0
		.amdhsa_float_round_mode_32 0
		.amdhsa_float_round_mode_16_64 0
		.amdhsa_float_denorm_mode_32 3
		.amdhsa_float_denorm_mode_16_64 3
		.amdhsa_dx10_clamp 1
		.amdhsa_ieee_mode 1
		.amdhsa_fp16_overflow 0
		.amdhsa_workgroup_processor_mode 1
		.amdhsa_memory_ordered 1
		.amdhsa_forward_progress 0
		.amdhsa_shared_vgpr_count 0
		.amdhsa_exception_fp_ieee_invalid_op 0
		.amdhsa_exception_fp_denorm_src 0
		.amdhsa_exception_fp_ieee_div_zero 0
		.amdhsa_exception_fp_ieee_overflow 0
		.amdhsa_exception_fp_ieee_underflow 0
		.amdhsa_exception_fp_ieee_inexact 0
		.amdhsa_exception_int_div_zero 0
	.end_amdhsa_kernel
	.section	.text._ZN7rocprim17ROCPRIM_400000_NS6detail17trampoline_kernelINS0_14default_configENS1_36segmented_radix_sort_config_selectorI12hip_bfloat16lEEZNS1_25segmented_radix_sort_implIS3_Lb0EPKS5_PS5_PKlPlN2at6native12_GLOBAL__N_18offset_tEEE10hipError_tPvRmT1_PNSt15iterator_traitsISL_E10value_typeET2_T3_PNSM_ISR_E10value_typeET4_jRbjT5_SX_jjP12ihipStream_tbEUlT_E1_NS1_11comp_targetILNS1_3genE3ELNS1_11target_archE908ELNS1_3gpuE7ELNS1_3repE0EEENS1_59segmented_radix_sort_warp_sort_small_config_static_selectorELNS0_4arch9wavefront6targetE0EEEvSL_,"axG",@progbits,_ZN7rocprim17ROCPRIM_400000_NS6detail17trampoline_kernelINS0_14default_configENS1_36segmented_radix_sort_config_selectorI12hip_bfloat16lEEZNS1_25segmented_radix_sort_implIS3_Lb0EPKS5_PS5_PKlPlN2at6native12_GLOBAL__N_18offset_tEEE10hipError_tPvRmT1_PNSt15iterator_traitsISL_E10value_typeET2_T3_PNSM_ISR_E10value_typeET4_jRbjT5_SX_jjP12ihipStream_tbEUlT_E1_NS1_11comp_targetILNS1_3genE3ELNS1_11target_archE908ELNS1_3gpuE7ELNS1_3repE0EEENS1_59segmented_radix_sort_warp_sort_small_config_static_selectorELNS0_4arch9wavefront6targetE0EEEvSL_,comdat
.Lfunc_end2072:
	.size	_ZN7rocprim17ROCPRIM_400000_NS6detail17trampoline_kernelINS0_14default_configENS1_36segmented_radix_sort_config_selectorI12hip_bfloat16lEEZNS1_25segmented_radix_sort_implIS3_Lb0EPKS5_PS5_PKlPlN2at6native12_GLOBAL__N_18offset_tEEE10hipError_tPvRmT1_PNSt15iterator_traitsISL_E10value_typeET2_T3_PNSM_ISR_E10value_typeET4_jRbjT5_SX_jjP12ihipStream_tbEUlT_E1_NS1_11comp_targetILNS1_3genE3ELNS1_11target_archE908ELNS1_3gpuE7ELNS1_3repE0EEENS1_59segmented_radix_sort_warp_sort_small_config_static_selectorELNS0_4arch9wavefront6targetE0EEEvSL_, .Lfunc_end2072-_ZN7rocprim17ROCPRIM_400000_NS6detail17trampoline_kernelINS0_14default_configENS1_36segmented_radix_sort_config_selectorI12hip_bfloat16lEEZNS1_25segmented_radix_sort_implIS3_Lb0EPKS5_PS5_PKlPlN2at6native12_GLOBAL__N_18offset_tEEE10hipError_tPvRmT1_PNSt15iterator_traitsISL_E10value_typeET2_T3_PNSM_ISR_E10value_typeET4_jRbjT5_SX_jjP12ihipStream_tbEUlT_E1_NS1_11comp_targetILNS1_3genE3ELNS1_11target_archE908ELNS1_3gpuE7ELNS1_3repE0EEENS1_59segmented_radix_sort_warp_sort_small_config_static_selectorELNS0_4arch9wavefront6targetE0EEEvSL_
                                        ; -- End function
	.section	.AMDGPU.csdata,"",@progbits
; Kernel info:
; codeLenInByte = 0
; NumSgprs: 0
; NumVgprs: 0
; ScratchSize: 0
; MemoryBound: 0
; FloatMode: 240
; IeeeMode: 1
; LDSByteSize: 0 bytes/workgroup (compile time only)
; SGPRBlocks: 0
; VGPRBlocks: 0
; NumSGPRsForWavesPerEU: 1
; NumVGPRsForWavesPerEU: 1
; Occupancy: 16
; WaveLimiterHint : 0
; COMPUTE_PGM_RSRC2:SCRATCH_EN: 0
; COMPUTE_PGM_RSRC2:USER_SGPR: 15
; COMPUTE_PGM_RSRC2:TRAP_HANDLER: 0
; COMPUTE_PGM_RSRC2:TGID_X_EN: 1
; COMPUTE_PGM_RSRC2:TGID_Y_EN: 0
; COMPUTE_PGM_RSRC2:TGID_Z_EN: 0
; COMPUTE_PGM_RSRC2:TIDIG_COMP_CNT: 0
	.section	.text._ZN7rocprim17ROCPRIM_400000_NS6detail17trampoline_kernelINS0_14default_configENS1_36segmented_radix_sort_config_selectorI12hip_bfloat16lEEZNS1_25segmented_radix_sort_implIS3_Lb0EPKS5_PS5_PKlPlN2at6native12_GLOBAL__N_18offset_tEEE10hipError_tPvRmT1_PNSt15iterator_traitsISL_E10value_typeET2_T3_PNSM_ISR_E10value_typeET4_jRbjT5_SX_jjP12ihipStream_tbEUlT_E1_NS1_11comp_targetILNS1_3genE2ELNS1_11target_archE906ELNS1_3gpuE6ELNS1_3repE0EEENS1_59segmented_radix_sort_warp_sort_small_config_static_selectorELNS0_4arch9wavefront6targetE0EEEvSL_,"axG",@progbits,_ZN7rocprim17ROCPRIM_400000_NS6detail17trampoline_kernelINS0_14default_configENS1_36segmented_radix_sort_config_selectorI12hip_bfloat16lEEZNS1_25segmented_radix_sort_implIS3_Lb0EPKS5_PS5_PKlPlN2at6native12_GLOBAL__N_18offset_tEEE10hipError_tPvRmT1_PNSt15iterator_traitsISL_E10value_typeET2_T3_PNSM_ISR_E10value_typeET4_jRbjT5_SX_jjP12ihipStream_tbEUlT_E1_NS1_11comp_targetILNS1_3genE2ELNS1_11target_archE906ELNS1_3gpuE6ELNS1_3repE0EEENS1_59segmented_radix_sort_warp_sort_small_config_static_selectorELNS0_4arch9wavefront6targetE0EEEvSL_,comdat
	.globl	_ZN7rocprim17ROCPRIM_400000_NS6detail17trampoline_kernelINS0_14default_configENS1_36segmented_radix_sort_config_selectorI12hip_bfloat16lEEZNS1_25segmented_radix_sort_implIS3_Lb0EPKS5_PS5_PKlPlN2at6native12_GLOBAL__N_18offset_tEEE10hipError_tPvRmT1_PNSt15iterator_traitsISL_E10value_typeET2_T3_PNSM_ISR_E10value_typeET4_jRbjT5_SX_jjP12ihipStream_tbEUlT_E1_NS1_11comp_targetILNS1_3genE2ELNS1_11target_archE906ELNS1_3gpuE6ELNS1_3repE0EEENS1_59segmented_radix_sort_warp_sort_small_config_static_selectorELNS0_4arch9wavefront6targetE0EEEvSL_ ; -- Begin function _ZN7rocprim17ROCPRIM_400000_NS6detail17trampoline_kernelINS0_14default_configENS1_36segmented_radix_sort_config_selectorI12hip_bfloat16lEEZNS1_25segmented_radix_sort_implIS3_Lb0EPKS5_PS5_PKlPlN2at6native12_GLOBAL__N_18offset_tEEE10hipError_tPvRmT1_PNSt15iterator_traitsISL_E10value_typeET2_T3_PNSM_ISR_E10value_typeET4_jRbjT5_SX_jjP12ihipStream_tbEUlT_E1_NS1_11comp_targetILNS1_3genE2ELNS1_11target_archE906ELNS1_3gpuE6ELNS1_3repE0EEENS1_59segmented_radix_sort_warp_sort_small_config_static_selectorELNS0_4arch9wavefront6targetE0EEEvSL_
	.p2align	8
	.type	_ZN7rocprim17ROCPRIM_400000_NS6detail17trampoline_kernelINS0_14default_configENS1_36segmented_radix_sort_config_selectorI12hip_bfloat16lEEZNS1_25segmented_radix_sort_implIS3_Lb0EPKS5_PS5_PKlPlN2at6native12_GLOBAL__N_18offset_tEEE10hipError_tPvRmT1_PNSt15iterator_traitsISL_E10value_typeET2_T3_PNSM_ISR_E10value_typeET4_jRbjT5_SX_jjP12ihipStream_tbEUlT_E1_NS1_11comp_targetILNS1_3genE2ELNS1_11target_archE906ELNS1_3gpuE6ELNS1_3repE0EEENS1_59segmented_radix_sort_warp_sort_small_config_static_selectorELNS0_4arch9wavefront6targetE0EEEvSL_,@function
_ZN7rocprim17ROCPRIM_400000_NS6detail17trampoline_kernelINS0_14default_configENS1_36segmented_radix_sort_config_selectorI12hip_bfloat16lEEZNS1_25segmented_radix_sort_implIS3_Lb0EPKS5_PS5_PKlPlN2at6native12_GLOBAL__N_18offset_tEEE10hipError_tPvRmT1_PNSt15iterator_traitsISL_E10value_typeET2_T3_PNSM_ISR_E10value_typeET4_jRbjT5_SX_jjP12ihipStream_tbEUlT_E1_NS1_11comp_targetILNS1_3genE2ELNS1_11target_archE906ELNS1_3gpuE6ELNS1_3repE0EEENS1_59segmented_radix_sort_warp_sort_small_config_static_selectorELNS0_4arch9wavefront6targetE0EEEvSL_: ; @_ZN7rocprim17ROCPRIM_400000_NS6detail17trampoline_kernelINS0_14default_configENS1_36segmented_radix_sort_config_selectorI12hip_bfloat16lEEZNS1_25segmented_radix_sort_implIS3_Lb0EPKS5_PS5_PKlPlN2at6native12_GLOBAL__N_18offset_tEEE10hipError_tPvRmT1_PNSt15iterator_traitsISL_E10value_typeET2_T3_PNSM_ISR_E10value_typeET4_jRbjT5_SX_jjP12ihipStream_tbEUlT_E1_NS1_11comp_targetILNS1_3genE2ELNS1_11target_archE906ELNS1_3gpuE6ELNS1_3repE0EEENS1_59segmented_radix_sort_warp_sort_small_config_static_selectorELNS0_4arch9wavefront6targetE0EEEvSL_
; %bb.0:
	.section	.rodata,"a",@progbits
	.p2align	6, 0x0
	.amdhsa_kernel _ZN7rocprim17ROCPRIM_400000_NS6detail17trampoline_kernelINS0_14default_configENS1_36segmented_radix_sort_config_selectorI12hip_bfloat16lEEZNS1_25segmented_radix_sort_implIS3_Lb0EPKS5_PS5_PKlPlN2at6native12_GLOBAL__N_18offset_tEEE10hipError_tPvRmT1_PNSt15iterator_traitsISL_E10value_typeET2_T3_PNSM_ISR_E10value_typeET4_jRbjT5_SX_jjP12ihipStream_tbEUlT_E1_NS1_11comp_targetILNS1_3genE2ELNS1_11target_archE906ELNS1_3gpuE6ELNS1_3repE0EEENS1_59segmented_radix_sort_warp_sort_small_config_static_selectorELNS0_4arch9wavefront6targetE0EEEvSL_
		.amdhsa_group_segment_fixed_size 0
		.amdhsa_private_segment_fixed_size 0
		.amdhsa_kernarg_size 88
		.amdhsa_user_sgpr_count 15
		.amdhsa_user_sgpr_dispatch_ptr 0
		.amdhsa_user_sgpr_queue_ptr 0
		.amdhsa_user_sgpr_kernarg_segment_ptr 1
		.amdhsa_user_sgpr_dispatch_id 0
		.amdhsa_user_sgpr_private_segment_size 0
		.amdhsa_wavefront_size32 1
		.amdhsa_uses_dynamic_stack 0
		.amdhsa_enable_private_segment 0
		.amdhsa_system_sgpr_workgroup_id_x 1
		.amdhsa_system_sgpr_workgroup_id_y 0
		.amdhsa_system_sgpr_workgroup_id_z 0
		.amdhsa_system_sgpr_workgroup_info 0
		.amdhsa_system_vgpr_workitem_id 0
		.amdhsa_next_free_vgpr 1
		.amdhsa_next_free_sgpr 1
		.amdhsa_reserve_vcc 0
		.amdhsa_float_round_mode_32 0
		.amdhsa_float_round_mode_16_64 0
		.amdhsa_float_denorm_mode_32 3
		.amdhsa_float_denorm_mode_16_64 3
		.amdhsa_dx10_clamp 1
		.amdhsa_ieee_mode 1
		.amdhsa_fp16_overflow 0
		.amdhsa_workgroup_processor_mode 1
		.amdhsa_memory_ordered 1
		.amdhsa_forward_progress 0
		.amdhsa_shared_vgpr_count 0
		.amdhsa_exception_fp_ieee_invalid_op 0
		.amdhsa_exception_fp_denorm_src 0
		.amdhsa_exception_fp_ieee_div_zero 0
		.amdhsa_exception_fp_ieee_overflow 0
		.amdhsa_exception_fp_ieee_underflow 0
		.amdhsa_exception_fp_ieee_inexact 0
		.amdhsa_exception_int_div_zero 0
	.end_amdhsa_kernel
	.section	.text._ZN7rocprim17ROCPRIM_400000_NS6detail17trampoline_kernelINS0_14default_configENS1_36segmented_radix_sort_config_selectorI12hip_bfloat16lEEZNS1_25segmented_radix_sort_implIS3_Lb0EPKS5_PS5_PKlPlN2at6native12_GLOBAL__N_18offset_tEEE10hipError_tPvRmT1_PNSt15iterator_traitsISL_E10value_typeET2_T3_PNSM_ISR_E10value_typeET4_jRbjT5_SX_jjP12ihipStream_tbEUlT_E1_NS1_11comp_targetILNS1_3genE2ELNS1_11target_archE906ELNS1_3gpuE6ELNS1_3repE0EEENS1_59segmented_radix_sort_warp_sort_small_config_static_selectorELNS0_4arch9wavefront6targetE0EEEvSL_,"axG",@progbits,_ZN7rocprim17ROCPRIM_400000_NS6detail17trampoline_kernelINS0_14default_configENS1_36segmented_radix_sort_config_selectorI12hip_bfloat16lEEZNS1_25segmented_radix_sort_implIS3_Lb0EPKS5_PS5_PKlPlN2at6native12_GLOBAL__N_18offset_tEEE10hipError_tPvRmT1_PNSt15iterator_traitsISL_E10value_typeET2_T3_PNSM_ISR_E10value_typeET4_jRbjT5_SX_jjP12ihipStream_tbEUlT_E1_NS1_11comp_targetILNS1_3genE2ELNS1_11target_archE906ELNS1_3gpuE6ELNS1_3repE0EEENS1_59segmented_radix_sort_warp_sort_small_config_static_selectorELNS0_4arch9wavefront6targetE0EEEvSL_,comdat
.Lfunc_end2073:
	.size	_ZN7rocprim17ROCPRIM_400000_NS6detail17trampoline_kernelINS0_14default_configENS1_36segmented_radix_sort_config_selectorI12hip_bfloat16lEEZNS1_25segmented_radix_sort_implIS3_Lb0EPKS5_PS5_PKlPlN2at6native12_GLOBAL__N_18offset_tEEE10hipError_tPvRmT1_PNSt15iterator_traitsISL_E10value_typeET2_T3_PNSM_ISR_E10value_typeET4_jRbjT5_SX_jjP12ihipStream_tbEUlT_E1_NS1_11comp_targetILNS1_3genE2ELNS1_11target_archE906ELNS1_3gpuE6ELNS1_3repE0EEENS1_59segmented_radix_sort_warp_sort_small_config_static_selectorELNS0_4arch9wavefront6targetE0EEEvSL_, .Lfunc_end2073-_ZN7rocprim17ROCPRIM_400000_NS6detail17trampoline_kernelINS0_14default_configENS1_36segmented_radix_sort_config_selectorI12hip_bfloat16lEEZNS1_25segmented_radix_sort_implIS3_Lb0EPKS5_PS5_PKlPlN2at6native12_GLOBAL__N_18offset_tEEE10hipError_tPvRmT1_PNSt15iterator_traitsISL_E10value_typeET2_T3_PNSM_ISR_E10value_typeET4_jRbjT5_SX_jjP12ihipStream_tbEUlT_E1_NS1_11comp_targetILNS1_3genE2ELNS1_11target_archE906ELNS1_3gpuE6ELNS1_3repE0EEENS1_59segmented_radix_sort_warp_sort_small_config_static_selectorELNS0_4arch9wavefront6targetE0EEEvSL_
                                        ; -- End function
	.section	.AMDGPU.csdata,"",@progbits
; Kernel info:
; codeLenInByte = 0
; NumSgprs: 0
; NumVgprs: 0
; ScratchSize: 0
; MemoryBound: 0
; FloatMode: 240
; IeeeMode: 1
; LDSByteSize: 0 bytes/workgroup (compile time only)
; SGPRBlocks: 0
; VGPRBlocks: 0
; NumSGPRsForWavesPerEU: 1
; NumVGPRsForWavesPerEU: 1
; Occupancy: 16
; WaveLimiterHint : 0
; COMPUTE_PGM_RSRC2:SCRATCH_EN: 0
; COMPUTE_PGM_RSRC2:USER_SGPR: 15
; COMPUTE_PGM_RSRC2:TRAP_HANDLER: 0
; COMPUTE_PGM_RSRC2:TGID_X_EN: 1
; COMPUTE_PGM_RSRC2:TGID_Y_EN: 0
; COMPUTE_PGM_RSRC2:TGID_Z_EN: 0
; COMPUTE_PGM_RSRC2:TIDIG_COMP_CNT: 0
	.section	.text._ZN7rocprim17ROCPRIM_400000_NS6detail17trampoline_kernelINS0_14default_configENS1_36segmented_radix_sort_config_selectorI12hip_bfloat16lEEZNS1_25segmented_radix_sort_implIS3_Lb0EPKS5_PS5_PKlPlN2at6native12_GLOBAL__N_18offset_tEEE10hipError_tPvRmT1_PNSt15iterator_traitsISL_E10value_typeET2_T3_PNSM_ISR_E10value_typeET4_jRbjT5_SX_jjP12ihipStream_tbEUlT_E1_NS1_11comp_targetILNS1_3genE10ELNS1_11target_archE1201ELNS1_3gpuE5ELNS1_3repE0EEENS1_59segmented_radix_sort_warp_sort_small_config_static_selectorELNS0_4arch9wavefront6targetE0EEEvSL_,"axG",@progbits,_ZN7rocprim17ROCPRIM_400000_NS6detail17trampoline_kernelINS0_14default_configENS1_36segmented_radix_sort_config_selectorI12hip_bfloat16lEEZNS1_25segmented_radix_sort_implIS3_Lb0EPKS5_PS5_PKlPlN2at6native12_GLOBAL__N_18offset_tEEE10hipError_tPvRmT1_PNSt15iterator_traitsISL_E10value_typeET2_T3_PNSM_ISR_E10value_typeET4_jRbjT5_SX_jjP12ihipStream_tbEUlT_E1_NS1_11comp_targetILNS1_3genE10ELNS1_11target_archE1201ELNS1_3gpuE5ELNS1_3repE0EEENS1_59segmented_radix_sort_warp_sort_small_config_static_selectorELNS0_4arch9wavefront6targetE0EEEvSL_,comdat
	.globl	_ZN7rocprim17ROCPRIM_400000_NS6detail17trampoline_kernelINS0_14default_configENS1_36segmented_radix_sort_config_selectorI12hip_bfloat16lEEZNS1_25segmented_radix_sort_implIS3_Lb0EPKS5_PS5_PKlPlN2at6native12_GLOBAL__N_18offset_tEEE10hipError_tPvRmT1_PNSt15iterator_traitsISL_E10value_typeET2_T3_PNSM_ISR_E10value_typeET4_jRbjT5_SX_jjP12ihipStream_tbEUlT_E1_NS1_11comp_targetILNS1_3genE10ELNS1_11target_archE1201ELNS1_3gpuE5ELNS1_3repE0EEENS1_59segmented_radix_sort_warp_sort_small_config_static_selectorELNS0_4arch9wavefront6targetE0EEEvSL_ ; -- Begin function _ZN7rocprim17ROCPRIM_400000_NS6detail17trampoline_kernelINS0_14default_configENS1_36segmented_radix_sort_config_selectorI12hip_bfloat16lEEZNS1_25segmented_radix_sort_implIS3_Lb0EPKS5_PS5_PKlPlN2at6native12_GLOBAL__N_18offset_tEEE10hipError_tPvRmT1_PNSt15iterator_traitsISL_E10value_typeET2_T3_PNSM_ISR_E10value_typeET4_jRbjT5_SX_jjP12ihipStream_tbEUlT_E1_NS1_11comp_targetILNS1_3genE10ELNS1_11target_archE1201ELNS1_3gpuE5ELNS1_3repE0EEENS1_59segmented_radix_sort_warp_sort_small_config_static_selectorELNS0_4arch9wavefront6targetE0EEEvSL_
	.p2align	8
	.type	_ZN7rocprim17ROCPRIM_400000_NS6detail17trampoline_kernelINS0_14default_configENS1_36segmented_radix_sort_config_selectorI12hip_bfloat16lEEZNS1_25segmented_radix_sort_implIS3_Lb0EPKS5_PS5_PKlPlN2at6native12_GLOBAL__N_18offset_tEEE10hipError_tPvRmT1_PNSt15iterator_traitsISL_E10value_typeET2_T3_PNSM_ISR_E10value_typeET4_jRbjT5_SX_jjP12ihipStream_tbEUlT_E1_NS1_11comp_targetILNS1_3genE10ELNS1_11target_archE1201ELNS1_3gpuE5ELNS1_3repE0EEENS1_59segmented_radix_sort_warp_sort_small_config_static_selectorELNS0_4arch9wavefront6targetE0EEEvSL_,@function
_ZN7rocprim17ROCPRIM_400000_NS6detail17trampoline_kernelINS0_14default_configENS1_36segmented_radix_sort_config_selectorI12hip_bfloat16lEEZNS1_25segmented_radix_sort_implIS3_Lb0EPKS5_PS5_PKlPlN2at6native12_GLOBAL__N_18offset_tEEE10hipError_tPvRmT1_PNSt15iterator_traitsISL_E10value_typeET2_T3_PNSM_ISR_E10value_typeET4_jRbjT5_SX_jjP12ihipStream_tbEUlT_E1_NS1_11comp_targetILNS1_3genE10ELNS1_11target_archE1201ELNS1_3gpuE5ELNS1_3repE0EEENS1_59segmented_radix_sort_warp_sort_small_config_static_selectorELNS0_4arch9wavefront6targetE0EEEvSL_: ; @_ZN7rocprim17ROCPRIM_400000_NS6detail17trampoline_kernelINS0_14default_configENS1_36segmented_radix_sort_config_selectorI12hip_bfloat16lEEZNS1_25segmented_radix_sort_implIS3_Lb0EPKS5_PS5_PKlPlN2at6native12_GLOBAL__N_18offset_tEEE10hipError_tPvRmT1_PNSt15iterator_traitsISL_E10value_typeET2_T3_PNSM_ISR_E10value_typeET4_jRbjT5_SX_jjP12ihipStream_tbEUlT_E1_NS1_11comp_targetILNS1_3genE10ELNS1_11target_archE1201ELNS1_3gpuE5ELNS1_3repE0EEENS1_59segmented_radix_sort_warp_sort_small_config_static_selectorELNS0_4arch9wavefront6targetE0EEEvSL_
; %bb.0:
	.section	.rodata,"a",@progbits
	.p2align	6, 0x0
	.amdhsa_kernel _ZN7rocprim17ROCPRIM_400000_NS6detail17trampoline_kernelINS0_14default_configENS1_36segmented_radix_sort_config_selectorI12hip_bfloat16lEEZNS1_25segmented_radix_sort_implIS3_Lb0EPKS5_PS5_PKlPlN2at6native12_GLOBAL__N_18offset_tEEE10hipError_tPvRmT1_PNSt15iterator_traitsISL_E10value_typeET2_T3_PNSM_ISR_E10value_typeET4_jRbjT5_SX_jjP12ihipStream_tbEUlT_E1_NS1_11comp_targetILNS1_3genE10ELNS1_11target_archE1201ELNS1_3gpuE5ELNS1_3repE0EEENS1_59segmented_radix_sort_warp_sort_small_config_static_selectorELNS0_4arch9wavefront6targetE0EEEvSL_
		.amdhsa_group_segment_fixed_size 0
		.amdhsa_private_segment_fixed_size 0
		.amdhsa_kernarg_size 88
		.amdhsa_user_sgpr_count 15
		.amdhsa_user_sgpr_dispatch_ptr 0
		.amdhsa_user_sgpr_queue_ptr 0
		.amdhsa_user_sgpr_kernarg_segment_ptr 1
		.amdhsa_user_sgpr_dispatch_id 0
		.amdhsa_user_sgpr_private_segment_size 0
		.amdhsa_wavefront_size32 1
		.amdhsa_uses_dynamic_stack 0
		.amdhsa_enable_private_segment 0
		.amdhsa_system_sgpr_workgroup_id_x 1
		.amdhsa_system_sgpr_workgroup_id_y 0
		.amdhsa_system_sgpr_workgroup_id_z 0
		.amdhsa_system_sgpr_workgroup_info 0
		.amdhsa_system_vgpr_workitem_id 0
		.amdhsa_next_free_vgpr 1
		.amdhsa_next_free_sgpr 1
		.amdhsa_reserve_vcc 0
		.amdhsa_float_round_mode_32 0
		.amdhsa_float_round_mode_16_64 0
		.amdhsa_float_denorm_mode_32 3
		.amdhsa_float_denorm_mode_16_64 3
		.amdhsa_dx10_clamp 1
		.amdhsa_ieee_mode 1
		.amdhsa_fp16_overflow 0
		.amdhsa_workgroup_processor_mode 1
		.amdhsa_memory_ordered 1
		.amdhsa_forward_progress 0
		.amdhsa_shared_vgpr_count 0
		.amdhsa_exception_fp_ieee_invalid_op 0
		.amdhsa_exception_fp_denorm_src 0
		.amdhsa_exception_fp_ieee_div_zero 0
		.amdhsa_exception_fp_ieee_overflow 0
		.amdhsa_exception_fp_ieee_underflow 0
		.amdhsa_exception_fp_ieee_inexact 0
		.amdhsa_exception_int_div_zero 0
	.end_amdhsa_kernel
	.section	.text._ZN7rocprim17ROCPRIM_400000_NS6detail17trampoline_kernelINS0_14default_configENS1_36segmented_radix_sort_config_selectorI12hip_bfloat16lEEZNS1_25segmented_radix_sort_implIS3_Lb0EPKS5_PS5_PKlPlN2at6native12_GLOBAL__N_18offset_tEEE10hipError_tPvRmT1_PNSt15iterator_traitsISL_E10value_typeET2_T3_PNSM_ISR_E10value_typeET4_jRbjT5_SX_jjP12ihipStream_tbEUlT_E1_NS1_11comp_targetILNS1_3genE10ELNS1_11target_archE1201ELNS1_3gpuE5ELNS1_3repE0EEENS1_59segmented_radix_sort_warp_sort_small_config_static_selectorELNS0_4arch9wavefront6targetE0EEEvSL_,"axG",@progbits,_ZN7rocprim17ROCPRIM_400000_NS6detail17trampoline_kernelINS0_14default_configENS1_36segmented_radix_sort_config_selectorI12hip_bfloat16lEEZNS1_25segmented_radix_sort_implIS3_Lb0EPKS5_PS5_PKlPlN2at6native12_GLOBAL__N_18offset_tEEE10hipError_tPvRmT1_PNSt15iterator_traitsISL_E10value_typeET2_T3_PNSM_ISR_E10value_typeET4_jRbjT5_SX_jjP12ihipStream_tbEUlT_E1_NS1_11comp_targetILNS1_3genE10ELNS1_11target_archE1201ELNS1_3gpuE5ELNS1_3repE0EEENS1_59segmented_radix_sort_warp_sort_small_config_static_selectorELNS0_4arch9wavefront6targetE0EEEvSL_,comdat
.Lfunc_end2074:
	.size	_ZN7rocprim17ROCPRIM_400000_NS6detail17trampoline_kernelINS0_14default_configENS1_36segmented_radix_sort_config_selectorI12hip_bfloat16lEEZNS1_25segmented_radix_sort_implIS3_Lb0EPKS5_PS5_PKlPlN2at6native12_GLOBAL__N_18offset_tEEE10hipError_tPvRmT1_PNSt15iterator_traitsISL_E10value_typeET2_T3_PNSM_ISR_E10value_typeET4_jRbjT5_SX_jjP12ihipStream_tbEUlT_E1_NS1_11comp_targetILNS1_3genE10ELNS1_11target_archE1201ELNS1_3gpuE5ELNS1_3repE0EEENS1_59segmented_radix_sort_warp_sort_small_config_static_selectorELNS0_4arch9wavefront6targetE0EEEvSL_, .Lfunc_end2074-_ZN7rocprim17ROCPRIM_400000_NS6detail17trampoline_kernelINS0_14default_configENS1_36segmented_radix_sort_config_selectorI12hip_bfloat16lEEZNS1_25segmented_radix_sort_implIS3_Lb0EPKS5_PS5_PKlPlN2at6native12_GLOBAL__N_18offset_tEEE10hipError_tPvRmT1_PNSt15iterator_traitsISL_E10value_typeET2_T3_PNSM_ISR_E10value_typeET4_jRbjT5_SX_jjP12ihipStream_tbEUlT_E1_NS1_11comp_targetILNS1_3genE10ELNS1_11target_archE1201ELNS1_3gpuE5ELNS1_3repE0EEENS1_59segmented_radix_sort_warp_sort_small_config_static_selectorELNS0_4arch9wavefront6targetE0EEEvSL_
                                        ; -- End function
	.section	.AMDGPU.csdata,"",@progbits
; Kernel info:
; codeLenInByte = 0
; NumSgprs: 0
; NumVgprs: 0
; ScratchSize: 0
; MemoryBound: 0
; FloatMode: 240
; IeeeMode: 1
; LDSByteSize: 0 bytes/workgroup (compile time only)
; SGPRBlocks: 0
; VGPRBlocks: 0
; NumSGPRsForWavesPerEU: 1
; NumVGPRsForWavesPerEU: 1
; Occupancy: 16
; WaveLimiterHint : 0
; COMPUTE_PGM_RSRC2:SCRATCH_EN: 0
; COMPUTE_PGM_RSRC2:USER_SGPR: 15
; COMPUTE_PGM_RSRC2:TRAP_HANDLER: 0
; COMPUTE_PGM_RSRC2:TGID_X_EN: 1
; COMPUTE_PGM_RSRC2:TGID_Y_EN: 0
; COMPUTE_PGM_RSRC2:TGID_Z_EN: 0
; COMPUTE_PGM_RSRC2:TIDIG_COMP_CNT: 0
	.section	.text._ZN7rocprim17ROCPRIM_400000_NS6detail17trampoline_kernelINS0_14default_configENS1_36segmented_radix_sort_config_selectorI12hip_bfloat16lEEZNS1_25segmented_radix_sort_implIS3_Lb0EPKS5_PS5_PKlPlN2at6native12_GLOBAL__N_18offset_tEEE10hipError_tPvRmT1_PNSt15iterator_traitsISL_E10value_typeET2_T3_PNSM_ISR_E10value_typeET4_jRbjT5_SX_jjP12ihipStream_tbEUlT_E1_NS1_11comp_targetILNS1_3genE10ELNS1_11target_archE1200ELNS1_3gpuE4ELNS1_3repE0EEENS1_59segmented_radix_sort_warp_sort_small_config_static_selectorELNS0_4arch9wavefront6targetE0EEEvSL_,"axG",@progbits,_ZN7rocprim17ROCPRIM_400000_NS6detail17trampoline_kernelINS0_14default_configENS1_36segmented_radix_sort_config_selectorI12hip_bfloat16lEEZNS1_25segmented_radix_sort_implIS3_Lb0EPKS5_PS5_PKlPlN2at6native12_GLOBAL__N_18offset_tEEE10hipError_tPvRmT1_PNSt15iterator_traitsISL_E10value_typeET2_T3_PNSM_ISR_E10value_typeET4_jRbjT5_SX_jjP12ihipStream_tbEUlT_E1_NS1_11comp_targetILNS1_3genE10ELNS1_11target_archE1200ELNS1_3gpuE4ELNS1_3repE0EEENS1_59segmented_radix_sort_warp_sort_small_config_static_selectorELNS0_4arch9wavefront6targetE0EEEvSL_,comdat
	.globl	_ZN7rocprim17ROCPRIM_400000_NS6detail17trampoline_kernelINS0_14default_configENS1_36segmented_radix_sort_config_selectorI12hip_bfloat16lEEZNS1_25segmented_radix_sort_implIS3_Lb0EPKS5_PS5_PKlPlN2at6native12_GLOBAL__N_18offset_tEEE10hipError_tPvRmT1_PNSt15iterator_traitsISL_E10value_typeET2_T3_PNSM_ISR_E10value_typeET4_jRbjT5_SX_jjP12ihipStream_tbEUlT_E1_NS1_11comp_targetILNS1_3genE10ELNS1_11target_archE1200ELNS1_3gpuE4ELNS1_3repE0EEENS1_59segmented_radix_sort_warp_sort_small_config_static_selectorELNS0_4arch9wavefront6targetE0EEEvSL_ ; -- Begin function _ZN7rocprim17ROCPRIM_400000_NS6detail17trampoline_kernelINS0_14default_configENS1_36segmented_radix_sort_config_selectorI12hip_bfloat16lEEZNS1_25segmented_radix_sort_implIS3_Lb0EPKS5_PS5_PKlPlN2at6native12_GLOBAL__N_18offset_tEEE10hipError_tPvRmT1_PNSt15iterator_traitsISL_E10value_typeET2_T3_PNSM_ISR_E10value_typeET4_jRbjT5_SX_jjP12ihipStream_tbEUlT_E1_NS1_11comp_targetILNS1_3genE10ELNS1_11target_archE1200ELNS1_3gpuE4ELNS1_3repE0EEENS1_59segmented_radix_sort_warp_sort_small_config_static_selectorELNS0_4arch9wavefront6targetE0EEEvSL_
	.p2align	8
	.type	_ZN7rocprim17ROCPRIM_400000_NS6detail17trampoline_kernelINS0_14default_configENS1_36segmented_radix_sort_config_selectorI12hip_bfloat16lEEZNS1_25segmented_radix_sort_implIS3_Lb0EPKS5_PS5_PKlPlN2at6native12_GLOBAL__N_18offset_tEEE10hipError_tPvRmT1_PNSt15iterator_traitsISL_E10value_typeET2_T3_PNSM_ISR_E10value_typeET4_jRbjT5_SX_jjP12ihipStream_tbEUlT_E1_NS1_11comp_targetILNS1_3genE10ELNS1_11target_archE1200ELNS1_3gpuE4ELNS1_3repE0EEENS1_59segmented_radix_sort_warp_sort_small_config_static_selectorELNS0_4arch9wavefront6targetE0EEEvSL_,@function
_ZN7rocprim17ROCPRIM_400000_NS6detail17trampoline_kernelINS0_14default_configENS1_36segmented_radix_sort_config_selectorI12hip_bfloat16lEEZNS1_25segmented_radix_sort_implIS3_Lb0EPKS5_PS5_PKlPlN2at6native12_GLOBAL__N_18offset_tEEE10hipError_tPvRmT1_PNSt15iterator_traitsISL_E10value_typeET2_T3_PNSM_ISR_E10value_typeET4_jRbjT5_SX_jjP12ihipStream_tbEUlT_E1_NS1_11comp_targetILNS1_3genE10ELNS1_11target_archE1200ELNS1_3gpuE4ELNS1_3repE0EEENS1_59segmented_radix_sort_warp_sort_small_config_static_selectorELNS0_4arch9wavefront6targetE0EEEvSL_: ; @_ZN7rocprim17ROCPRIM_400000_NS6detail17trampoline_kernelINS0_14default_configENS1_36segmented_radix_sort_config_selectorI12hip_bfloat16lEEZNS1_25segmented_radix_sort_implIS3_Lb0EPKS5_PS5_PKlPlN2at6native12_GLOBAL__N_18offset_tEEE10hipError_tPvRmT1_PNSt15iterator_traitsISL_E10value_typeET2_T3_PNSM_ISR_E10value_typeET4_jRbjT5_SX_jjP12ihipStream_tbEUlT_E1_NS1_11comp_targetILNS1_3genE10ELNS1_11target_archE1200ELNS1_3gpuE4ELNS1_3repE0EEENS1_59segmented_radix_sort_warp_sort_small_config_static_selectorELNS0_4arch9wavefront6targetE0EEEvSL_
; %bb.0:
	.section	.rodata,"a",@progbits
	.p2align	6, 0x0
	.amdhsa_kernel _ZN7rocprim17ROCPRIM_400000_NS6detail17trampoline_kernelINS0_14default_configENS1_36segmented_radix_sort_config_selectorI12hip_bfloat16lEEZNS1_25segmented_radix_sort_implIS3_Lb0EPKS5_PS5_PKlPlN2at6native12_GLOBAL__N_18offset_tEEE10hipError_tPvRmT1_PNSt15iterator_traitsISL_E10value_typeET2_T3_PNSM_ISR_E10value_typeET4_jRbjT5_SX_jjP12ihipStream_tbEUlT_E1_NS1_11comp_targetILNS1_3genE10ELNS1_11target_archE1200ELNS1_3gpuE4ELNS1_3repE0EEENS1_59segmented_radix_sort_warp_sort_small_config_static_selectorELNS0_4arch9wavefront6targetE0EEEvSL_
		.amdhsa_group_segment_fixed_size 0
		.amdhsa_private_segment_fixed_size 0
		.amdhsa_kernarg_size 88
		.amdhsa_user_sgpr_count 15
		.amdhsa_user_sgpr_dispatch_ptr 0
		.amdhsa_user_sgpr_queue_ptr 0
		.amdhsa_user_sgpr_kernarg_segment_ptr 1
		.amdhsa_user_sgpr_dispatch_id 0
		.amdhsa_user_sgpr_private_segment_size 0
		.amdhsa_wavefront_size32 1
		.amdhsa_uses_dynamic_stack 0
		.amdhsa_enable_private_segment 0
		.amdhsa_system_sgpr_workgroup_id_x 1
		.amdhsa_system_sgpr_workgroup_id_y 0
		.amdhsa_system_sgpr_workgroup_id_z 0
		.amdhsa_system_sgpr_workgroup_info 0
		.amdhsa_system_vgpr_workitem_id 0
		.amdhsa_next_free_vgpr 1
		.amdhsa_next_free_sgpr 1
		.amdhsa_reserve_vcc 0
		.amdhsa_float_round_mode_32 0
		.amdhsa_float_round_mode_16_64 0
		.amdhsa_float_denorm_mode_32 3
		.amdhsa_float_denorm_mode_16_64 3
		.amdhsa_dx10_clamp 1
		.amdhsa_ieee_mode 1
		.amdhsa_fp16_overflow 0
		.amdhsa_workgroup_processor_mode 1
		.amdhsa_memory_ordered 1
		.amdhsa_forward_progress 0
		.amdhsa_shared_vgpr_count 0
		.amdhsa_exception_fp_ieee_invalid_op 0
		.amdhsa_exception_fp_denorm_src 0
		.amdhsa_exception_fp_ieee_div_zero 0
		.amdhsa_exception_fp_ieee_overflow 0
		.amdhsa_exception_fp_ieee_underflow 0
		.amdhsa_exception_fp_ieee_inexact 0
		.amdhsa_exception_int_div_zero 0
	.end_amdhsa_kernel
	.section	.text._ZN7rocprim17ROCPRIM_400000_NS6detail17trampoline_kernelINS0_14default_configENS1_36segmented_radix_sort_config_selectorI12hip_bfloat16lEEZNS1_25segmented_radix_sort_implIS3_Lb0EPKS5_PS5_PKlPlN2at6native12_GLOBAL__N_18offset_tEEE10hipError_tPvRmT1_PNSt15iterator_traitsISL_E10value_typeET2_T3_PNSM_ISR_E10value_typeET4_jRbjT5_SX_jjP12ihipStream_tbEUlT_E1_NS1_11comp_targetILNS1_3genE10ELNS1_11target_archE1200ELNS1_3gpuE4ELNS1_3repE0EEENS1_59segmented_radix_sort_warp_sort_small_config_static_selectorELNS0_4arch9wavefront6targetE0EEEvSL_,"axG",@progbits,_ZN7rocprim17ROCPRIM_400000_NS6detail17trampoline_kernelINS0_14default_configENS1_36segmented_radix_sort_config_selectorI12hip_bfloat16lEEZNS1_25segmented_radix_sort_implIS3_Lb0EPKS5_PS5_PKlPlN2at6native12_GLOBAL__N_18offset_tEEE10hipError_tPvRmT1_PNSt15iterator_traitsISL_E10value_typeET2_T3_PNSM_ISR_E10value_typeET4_jRbjT5_SX_jjP12ihipStream_tbEUlT_E1_NS1_11comp_targetILNS1_3genE10ELNS1_11target_archE1200ELNS1_3gpuE4ELNS1_3repE0EEENS1_59segmented_radix_sort_warp_sort_small_config_static_selectorELNS0_4arch9wavefront6targetE0EEEvSL_,comdat
.Lfunc_end2075:
	.size	_ZN7rocprim17ROCPRIM_400000_NS6detail17trampoline_kernelINS0_14default_configENS1_36segmented_radix_sort_config_selectorI12hip_bfloat16lEEZNS1_25segmented_radix_sort_implIS3_Lb0EPKS5_PS5_PKlPlN2at6native12_GLOBAL__N_18offset_tEEE10hipError_tPvRmT1_PNSt15iterator_traitsISL_E10value_typeET2_T3_PNSM_ISR_E10value_typeET4_jRbjT5_SX_jjP12ihipStream_tbEUlT_E1_NS1_11comp_targetILNS1_3genE10ELNS1_11target_archE1200ELNS1_3gpuE4ELNS1_3repE0EEENS1_59segmented_radix_sort_warp_sort_small_config_static_selectorELNS0_4arch9wavefront6targetE0EEEvSL_, .Lfunc_end2075-_ZN7rocprim17ROCPRIM_400000_NS6detail17trampoline_kernelINS0_14default_configENS1_36segmented_radix_sort_config_selectorI12hip_bfloat16lEEZNS1_25segmented_radix_sort_implIS3_Lb0EPKS5_PS5_PKlPlN2at6native12_GLOBAL__N_18offset_tEEE10hipError_tPvRmT1_PNSt15iterator_traitsISL_E10value_typeET2_T3_PNSM_ISR_E10value_typeET4_jRbjT5_SX_jjP12ihipStream_tbEUlT_E1_NS1_11comp_targetILNS1_3genE10ELNS1_11target_archE1200ELNS1_3gpuE4ELNS1_3repE0EEENS1_59segmented_radix_sort_warp_sort_small_config_static_selectorELNS0_4arch9wavefront6targetE0EEEvSL_
                                        ; -- End function
	.section	.AMDGPU.csdata,"",@progbits
; Kernel info:
; codeLenInByte = 0
; NumSgprs: 0
; NumVgprs: 0
; ScratchSize: 0
; MemoryBound: 0
; FloatMode: 240
; IeeeMode: 1
; LDSByteSize: 0 bytes/workgroup (compile time only)
; SGPRBlocks: 0
; VGPRBlocks: 0
; NumSGPRsForWavesPerEU: 1
; NumVGPRsForWavesPerEU: 1
; Occupancy: 16
; WaveLimiterHint : 0
; COMPUTE_PGM_RSRC2:SCRATCH_EN: 0
; COMPUTE_PGM_RSRC2:USER_SGPR: 15
; COMPUTE_PGM_RSRC2:TRAP_HANDLER: 0
; COMPUTE_PGM_RSRC2:TGID_X_EN: 1
; COMPUTE_PGM_RSRC2:TGID_Y_EN: 0
; COMPUTE_PGM_RSRC2:TGID_Z_EN: 0
; COMPUTE_PGM_RSRC2:TIDIG_COMP_CNT: 0
	.text
	.p2align	2                               ; -- Begin function _ZN7rocprim17ROCPRIM_400000_NS6detail26segmented_warp_sort_helperINS1_20WarpSortHelperConfigILj8ELj4ELj256EEE12hip_bfloat16lLi256ELb0EvE4sortIPKS5_PS5_PKlPlEEvT_T0_T1_T2_jjjjRNS6_12storage_typeE
	.type	_ZN7rocprim17ROCPRIM_400000_NS6detail26segmented_warp_sort_helperINS1_20WarpSortHelperConfigILj8ELj4ELj256EEE12hip_bfloat16lLi256ELb0EvE4sortIPKS5_PS5_PKlPlEEvT_T0_T1_T2_jjjjRNS6_12storage_typeE,@function
_ZN7rocprim17ROCPRIM_400000_NS6detail26segmented_warp_sort_helperINS1_20WarpSortHelperConfigILj8ELj4ELj256EEE12hip_bfloat16lLi256ELb0EvE4sortIPKS5_PS5_PKlPlEEvT_T0_T1_T2_jjjjRNS6_12storage_typeE: ; @_ZN7rocprim17ROCPRIM_400000_NS6detail26segmented_warp_sort_helperINS1_20WarpSortHelperConfigILj8ELj4ELj256EEE12hip_bfloat16lLi256ELb0EvE4sortIPKS5_PS5_PKlPlEEvT_T0_T1_T2_jjjjRNS6_12storage_typeE
; %bb.0:
	s_waitcnt vmcnt(0) expcnt(0) lgkmcnt(0)
	v_mov_b32_e32 v12, v9
	v_mbcnt_lo_u32_b32 v9, -1, 0
	v_mov_b32_e32 v29, 0x7fff
	s_delay_alu instid0(VALU_DEP_2) | instskip(SKIP_2) | instid1(VALU_DEP_3)
	v_dual_mov_b32 v37, 0x7fff :: v_dual_lshlrev_b32 v34, 2, v9
	v_mov_b32_e32 v9, 0
	v_sub_nc_u32_e32 v12, v12, v8
	v_and_b32_e32 v33, 28, v34
	s_delay_alu instid0(VALU_DEP_3) | instskip(NEXT) | instid1(VALU_DEP_2)
	v_lshlrev_b64 v[20:21], 1, v[8:9]
	v_lshlrev_b32_e32 v30, 1, v33
	s_delay_alu instid0(VALU_DEP_2) | instskip(NEXT) | instid1(VALU_DEP_3)
	v_add_co_u32 v0, vcc_lo, v0, v20
	v_add_co_ci_u32_e32 v1, vcc_lo, v1, v21, vcc_lo
	s_delay_alu instid0(VALU_DEP_2) | instskip(NEXT) | instid1(VALU_DEP_2)
	v_add_co_u32 v0, vcc_lo, v0, v30
	v_add_co_ci_u32_e32 v1, vcc_lo, 0, v1, vcc_lo
	v_cmp_lt_u32_e32 vcc_lo, v33, v12
	s_and_saveexec_b32 s0, vcc_lo
	s_cbranch_execz .LBB2076_2
; %bb.1:
	flat_load_u16 v37, v[0:1]
.LBB2076_2:
	s_or_b32 exec_lo, exec_lo, s0
	v_or_b32_e32 v13, 1, v33
	s_delay_alu instid0(VALU_DEP_1) | instskip(NEXT) | instid1(VALU_DEP_1)
	v_cmp_lt_u32_e64 s0, v13, v12
	s_and_saveexec_b32 s1, s0
	s_cbranch_execz .LBB2076_4
; %bb.3:
	flat_load_u16 v29, v[0:1] offset:2
.LBB2076_4:
	s_or_b32 exec_lo, exec_lo, s1
	v_or_b32_e32 v13, 2, v33
	v_dual_mov_b32 v36, 0x7fff :: v_dual_mov_b32 v35, 0x7fff
	s_delay_alu instid0(VALU_DEP_2) | instskip(NEXT) | instid1(VALU_DEP_1)
	v_cmp_lt_u32_e64 s1, v13, v12
	s_and_saveexec_b32 s2, s1
	s_cbranch_execz .LBB2076_6
; %bb.5:
	flat_load_u16 v35, v[0:1] offset:4
.LBB2076_6:
	s_or_b32 exec_lo, exec_lo, s2
	v_or_b32_e32 v13, 3, v33
	s_delay_alu instid0(VALU_DEP_1) | instskip(NEXT) | instid1(VALU_DEP_1)
	v_cmp_lt_u32_e64 s2, v13, v12
	s_and_saveexec_b32 s3, s2
	s_cbranch_execz .LBB2076_8
; %bb.7:
	flat_load_u16 v36, v[0:1] offset:6
.LBB2076_8:
	s_or_b32 exec_lo, exec_lo, s3
	v_lshlrev_b64 v[0:1], 3, v[8:9]
	v_lshlrev_b32_e32 v32, 3, v33
	; wave barrier
                                        ; implicit-def: $vgpr12_vgpr13_vgpr14_vgpr15_vgpr16_vgpr17_vgpr18_vgpr19
	s_delay_alu instid0(VALU_DEP_2) | instskip(NEXT) | instid1(VALU_DEP_1)
	v_add_co_u32 v4, s3, v4, v0
	v_add_co_ci_u32_e64 v5, s3, v5, v1, s3
	s_delay_alu instid0(VALU_DEP_2) | instskip(NEXT) | instid1(VALU_DEP_1)
	v_add_co_u32 v4, s3, v4, v32
	v_add_co_ci_u32_e64 v5, s3, 0, v5, s3
	s_and_saveexec_b32 s3, vcc_lo
	s_cbranch_execnz .LBB2076_76
; %bb.9:
	s_or_b32 exec_lo, exec_lo, s3
	s_and_saveexec_b32 s3, s0
	s_cbranch_execnz .LBB2076_77
.LBB2076_10:
	s_or_b32 exec_lo, exec_lo, s3
	s_and_saveexec_b32 s3, s1
	s_cbranch_execnz .LBB2076_78
.LBB2076_11:
	s_or_b32 exec_lo, exec_lo, s3
	s_and_saveexec_b32 s3, s2
	s_cbranch_execz .LBB2076_13
.LBB2076_12:
	flat_load_b64 v[18:19], v[4:5] offset:24
.LBB2076_13:
	s_or_b32 exec_lo, exec_lo, s3
	; wave barrier
	s_load_b64 s[4:5], s[8:9], 0x0
	v_mov_b32_e32 v4, 0
	v_bfe_u32 v8, v31, 10, 10
	v_bfe_u32 v9, v31, 20, 10
	s_waitcnt lgkmcnt(0)
	s_cmp_lt_u32 s13, s5
	s_cselect_b32 s3, 14, 20
	s_delay_alu instid0(SALU_CYCLE_1) | instskip(SKIP_4) | instid1(SALU_CYCLE_1)
	s_add_u32 s6, s8, s3
	s_addc_u32 s7, s9, 0
	s_cmp_lt_u32 s12, s4
	global_load_u16 v5, v4, s[6:7]
	s_cselect_b32 s3, 12, 18
	s_add_u32 s4, s8, s3
	s_addc_u32 s5, s9, 0
	s_mov_b32 s9, exec_lo
	global_load_u16 v4, v4, s[4:5]
	s_waitcnt vmcnt(1)
	v_mad_u32_u24 v5, v9, v5, v8
	s_waitcnt vmcnt(0)
	s_delay_alu instid0(VALU_DEP_1) | instskip(SKIP_1) | instid1(VALU_DEP_1)
	v_mul_lo_u32 v4, v5, v4
	v_and_b32_e32 v5, 0x3ff, v31
	v_add_lshl_u32 v4, v4, v5, 2
	s_delay_alu instid0(VALU_DEP_1)
	v_cmpx_gt_u32_e32 0x400, v4
	s_cbranch_execz .LBB2076_65
; %bb.14:
	v_lshlrev_b32_e32 v5, 16, v37
	s_delay_alu instid0(VALU_DEP_1) | instskip(NEXT) | instid1(VALU_DEP_1)
	v_add_f32_e32 v8, 0, v5
	v_and_b32_e32 v5, 0x7f800000, v8
	s_delay_alu instid0(VALU_DEP_1) | instskip(NEXT) | instid1(VALU_DEP_1)
	v_cmp_ne_u32_e64 s3, 0x7f800000, v5
                                        ; implicit-def: $vgpr5
	s_and_saveexec_b32 s4, s3
	s_delay_alu instid0(SALU_CYCLE_1)
	s_xor_b32 s3, exec_lo, s4
; %bb.15:
	v_bfe_u32 v5, v8, 16, 1
	s_delay_alu instid0(VALU_DEP_1)
	v_add3_u32 v5, v8, v5, 0x7fff
                                        ; implicit-def: $vgpr8
; %bb.16:
	s_and_not1_saveexec_b32 s4, s3
; %bb.17:
	v_and_b32_e32 v5, 0xffff, v8
	v_or_b32_e32 v9, 0x10000, v8
	s_delay_alu instid0(VALU_DEP_2) | instskip(NEXT) | instid1(VALU_DEP_1)
	v_cmp_eq_u32_e64 s3, 0, v5
	v_cndmask_b32_e64 v5, v9, v8, s3
; %bb.18:
	s_or_b32 exec_lo, exec_lo, s4
	v_lshlrev_b32_e32 v8, 16, v29
	s_delay_alu instid0(VALU_DEP_1) | instskip(NEXT) | instid1(VALU_DEP_1)
	v_add_f32_e32 v9, 0, v8
	v_and_b32_e32 v8, 0x7f800000, v9
	s_delay_alu instid0(VALU_DEP_1) | instskip(NEXT) | instid1(VALU_DEP_1)
	v_cmp_ne_u32_e64 s3, 0x7f800000, v8
                                        ; implicit-def: $vgpr8
	s_and_saveexec_b32 s4, s3
	s_delay_alu instid0(SALU_CYCLE_1)
	s_xor_b32 s3, exec_lo, s4
; %bb.19:
	v_bfe_u32 v8, v9, 16, 1
	s_delay_alu instid0(VALU_DEP_1)
	v_add3_u32 v8, v9, v8, 0x7fff
                                        ; implicit-def: $vgpr9
; %bb.20:
	s_and_not1_saveexec_b32 s4, s3
; %bb.21:
	v_and_b32_e32 v8, 0xffff, v9
	v_or_b32_e32 v22, 0x10000, v9
	s_delay_alu instid0(VALU_DEP_2) | instskip(NEXT) | instid1(VALU_DEP_1)
	v_cmp_eq_u32_e64 s3, 0, v8
	v_cndmask_b32_e64 v8, v22, v9, s3
; %bb.22:
	s_or_b32 exec_lo, exec_lo, s4
	v_lshlrev_b32_e32 v9, 16, v35
	s_delay_alu instid0(VALU_DEP_1) | instskip(NEXT) | instid1(VALU_DEP_1)
	v_add_f32_e32 v9, 0, v9
	v_and_b32_e32 v22, 0x7f800000, v9
	s_delay_alu instid0(VALU_DEP_1) | instskip(NEXT) | instid1(VALU_DEP_1)
	v_cmp_ne_u32_e64 s3, 0x7f800000, v22
                                        ; implicit-def: $vgpr22
	s_and_saveexec_b32 s4, s3
	s_delay_alu instid0(SALU_CYCLE_1)
	s_xor_b32 s3, exec_lo, s4
; %bb.23:
	v_bfe_u32 v22, v9, 16, 1
	s_delay_alu instid0(VALU_DEP_1)
	v_add3_u32 v22, v9, v22, 0x7fff
                                        ; implicit-def: $vgpr9
; %bb.24:
	s_and_not1_saveexec_b32 s4, s3
; %bb.25:
	v_and_b32_e32 v22, 0xffff, v9
	v_or_b32_e32 v23, 0x10000, v9
	s_delay_alu instid0(VALU_DEP_2) | instskip(NEXT) | instid1(VALU_DEP_1)
	v_cmp_eq_u32_e64 s3, 0, v22
	v_cndmask_b32_e64 v22, v23, v9, s3
; %bb.26:
	s_or_b32 exec_lo, exec_lo, s4
	v_lshlrev_b32_e32 v9, 16, v36
	s_delay_alu instid0(VALU_DEP_1) | instskip(NEXT) | instid1(VALU_DEP_1)
	v_add_f32_e32 v9, 0, v9
	v_and_b32_e32 v23, 0x7f800000, v9
	s_delay_alu instid0(VALU_DEP_1) | instskip(NEXT) | instid1(VALU_DEP_1)
	v_cmp_ne_u32_e64 s3, 0x7f800000, v23
                                        ; implicit-def: $vgpr23
	s_and_saveexec_b32 s4, s3
	s_delay_alu instid0(SALU_CYCLE_1)
	s_xor_b32 s3, exec_lo, s4
; %bb.27:
	v_bfe_u32 v23, v9, 16, 1
	s_delay_alu instid0(VALU_DEP_1)
	v_add3_u32 v23, v9, v23, 0x7fff
                                        ; implicit-def: $vgpr9
; %bb.28:
	s_and_not1_saveexec_b32 s4, s3
; %bb.29:
	v_and_b32_e32 v23, 0xffff, v9
	v_or_b32_e32 v24, 0x10000, v9
	s_delay_alu instid0(VALU_DEP_2) | instskip(NEXT) | instid1(VALU_DEP_1)
	v_cmp_eq_u32_e64 s3, 0, v23
	v_cndmask_b32_e64 v23, v24, v9, s3
; %bb.30:
	s_or_b32 exec_lo, exec_lo, s4
	v_cmp_lt_i32_e64 s3, -1, v5
	v_perm_b32 v5, v8, v5, 0x7060302
	s_delay_alu instid0(VALU_DEP_2) | instskip(SKIP_1) | instid1(VALU_DEP_1)
	v_cndmask_b32_e64 v9, -1, 0xffff8000, s3
	v_cmp_lt_i32_e64 s3, -1, v8
	v_cndmask_b32_e64 v24, -1, 0xffff8000, s3
	s_delay_alu instid0(VALU_DEP_1) | instskip(NEXT) | instid1(VALU_DEP_1)
	v_perm_b32 v8, v24, v9, 0x5040100
	v_xor_b32_e32 v5, v8, v5
	s_delay_alu instid0(VALU_DEP_1) | instskip(NEXT) | instid1(VALU_DEP_1)
	v_lshrrev_b32_e32 v8, 16, v5
	v_cmp_gt_u16_e64 s3, v5, v8
	s_delay_alu instid0(VALU_DEP_1) | instskip(NEXT) | instid1(VALU_DEP_1)
	v_cndmask_b32_e64 v9, v29, v37, s3
	v_lshlrev_b32_e32 v5, 16, v9
	s_delay_alu instid0(VALU_DEP_1) | instskip(NEXT) | instid1(VALU_DEP_1)
	v_add_f32_e32 v5, 0, v5
	v_and_b32_e32 v8, 0x7f800000, v5
	s_delay_alu instid0(VALU_DEP_1) | instskip(NEXT) | instid1(VALU_DEP_1)
	v_cmp_ne_u32_e64 s4, 0x7f800000, v8
                                        ; implicit-def: $vgpr8
	s_and_saveexec_b32 s5, s4
	s_delay_alu instid0(SALU_CYCLE_1)
	s_xor_b32 s4, exec_lo, s5
; %bb.31:
	v_bfe_u32 v8, v5, 16, 1
	s_delay_alu instid0(VALU_DEP_1)
	v_add3_u32 v8, v5, v8, 0x7fff
                                        ; implicit-def: $vgpr5
; %bb.32:
	s_and_not1_saveexec_b32 s5, s4
; %bb.33:
	v_and_b32_e32 v8, 0xffff, v5
	v_or_b32_e32 v24, 0x10000, v5
	s_delay_alu instid0(VALU_DEP_2) | instskip(NEXT) | instid1(VALU_DEP_1)
	v_cmp_eq_u32_e64 s4, 0, v8
	v_cndmask_b32_e64 v8, v24, v5, s4
; %bb.34:
	s_or_b32 exec_lo, exec_lo, s5
	v_cmp_lt_i32_e64 s4, -1, v22
	v_perm_b32 v22, v23, v22, 0x7060302
	s_delay_alu instid0(VALU_DEP_2) | instskip(SKIP_1) | instid1(VALU_DEP_1)
	v_cndmask_b32_e64 v5, -1, 0xffff8000, s4
	v_cmp_lt_i32_e64 s4, -1, v23
	v_cndmask_b32_e64 v24, -1, 0xffff8000, s4
	s_delay_alu instid0(VALU_DEP_1) | instskip(NEXT) | instid1(VALU_DEP_1)
	v_perm_b32 v5, v24, v5, 0x5040100
                                        ; implicit-def: $vgpr24
	v_xor_b32_e32 v5, v5, v22
	s_delay_alu instid0(VALU_DEP_1) | instskip(NEXT) | instid1(VALU_DEP_1)
	v_lshrrev_b32_e32 v22, 16, v5
	v_cmp_gt_u16_e64 s4, v5, v22
	s_delay_alu instid0(VALU_DEP_1) | instskip(NEXT) | instid1(VALU_DEP_1)
	v_cndmask_b32_e64 v22, v35, v36, s4
	v_lshlrev_b32_e32 v5, 16, v22
	s_delay_alu instid0(VALU_DEP_1) | instskip(NEXT) | instid1(VALU_DEP_1)
	v_add_f32_e32 v5, 0, v5
	v_and_b32_e32 v23, 0x7f800000, v5
	s_delay_alu instid0(VALU_DEP_1) | instskip(NEXT) | instid1(VALU_DEP_1)
	v_cmp_ne_u32_e64 s5, 0x7f800000, v23
	s_and_saveexec_b32 s6, s5
	s_delay_alu instid0(SALU_CYCLE_1)
	s_xor_b32 s5, exec_lo, s6
; %bb.35:
	v_bfe_u32 v23, v5, 16, 1
	s_delay_alu instid0(VALU_DEP_1)
	v_add3_u32 v24, v5, v23, 0x7fff
                                        ; implicit-def: $vgpr5
; %bb.36:
	s_and_not1_saveexec_b32 s6, s5
; %bb.37:
	v_and_b32_e32 v23, 0xffff, v5
	v_or_b32_e32 v24, 0x10000, v5
	s_delay_alu instid0(VALU_DEP_2) | instskip(NEXT) | instid1(VALU_DEP_1)
	v_cmp_eq_u32_e64 s5, 0, v23
	v_cndmask_b32_e64 v24, v24, v5, s5
; %bb.38:
	s_or_b32 exec_lo, exec_lo, s6
	v_cndmask_b32_e64 v5, v37, v29, s3
	s_delay_alu instid0(VALU_DEP_1) | instskip(NEXT) | instid1(VALU_DEP_1)
	v_lshlrev_b32_e32 v23, 16, v5
	v_add_f32_e32 v25, 0, v23
	s_delay_alu instid0(VALU_DEP_1) | instskip(NEXT) | instid1(VALU_DEP_1)
	v_and_b32_e32 v23, 0x7f800000, v25
	v_cmp_ne_u32_e64 s5, 0x7f800000, v23
                                        ; implicit-def: $vgpr23
	s_delay_alu instid0(VALU_DEP_1) | instskip(NEXT) | instid1(SALU_CYCLE_1)
	s_and_saveexec_b32 s6, s5
	s_xor_b32 s5, exec_lo, s6
; %bb.39:
	v_bfe_u32 v23, v25, 16, 1
	s_delay_alu instid0(VALU_DEP_1)
	v_add3_u32 v23, v25, v23, 0x7fff
                                        ; implicit-def: $vgpr25
; %bb.40:
	s_and_not1_saveexec_b32 s6, s5
; %bb.41:
	v_and_b32_e32 v23, 0xffff, v25
	v_or_b32_e32 v26, 0x10000, v25
	s_delay_alu instid0(VALU_DEP_2) | instskip(NEXT) | instid1(VALU_DEP_1)
	v_cmp_eq_u32_e64 s5, 0, v23
	v_cndmask_b32_e64 v23, v26, v25, s5
; %bb.42:
	s_or_b32 exec_lo, exec_lo, s6
	v_cmp_lt_i32_e64 s5, -1, v8
	v_perm_b32 v8, v24, v8, 0x7060302
	s_delay_alu instid0(VALU_DEP_2) | instskip(SKIP_1) | instid1(VALU_DEP_1)
	v_cndmask_b32_e64 v25, -1, 0xffff8000, s5
	v_cmp_lt_i32_e64 s5, -1, v24
	v_cndmask_b32_e64 v26, -1, 0xffff8000, s5
	s_delay_alu instid0(VALU_DEP_1) | instskip(NEXT) | instid1(VALU_DEP_1)
	v_perm_b32 v24, v26, v25, 0x5040100
	v_xor_b32_e32 v8, v24, v8
	s_delay_alu instid0(VALU_DEP_1) | instskip(NEXT) | instid1(VALU_DEP_1)
	v_lshrrev_b32_e32 v24, 16, v8
	v_cmp_gt_u16_e64 s5, v8, v24
	s_delay_alu instid0(VALU_DEP_1) | instskip(NEXT) | instid1(VALU_DEP_1)
	v_cndmask_b32_e64 v8, v9, v22, s5
	v_lshlrev_b32_e32 v24, 16, v8
	s_delay_alu instid0(VALU_DEP_1) | instskip(NEXT) | instid1(VALU_DEP_1)
	v_add_f32_e32 v24, 0, v24
	v_and_b32_e32 v25, 0x7f800000, v24
	s_delay_alu instid0(VALU_DEP_1) | instskip(NEXT) | instid1(VALU_DEP_1)
	v_cmp_ne_u32_e64 s6, 0x7f800000, v25
                                        ; implicit-def: $vgpr25
	s_and_saveexec_b32 s7, s6
	s_delay_alu instid0(SALU_CYCLE_1)
	s_xor_b32 s6, exec_lo, s7
; %bb.43:
	v_bfe_u32 v25, v24, 16, 1
	s_delay_alu instid0(VALU_DEP_1)
	v_add3_u32 v25, v24, v25, 0x7fff
                                        ; implicit-def: $vgpr24
; %bb.44:
	s_and_not1_saveexec_b32 s7, s6
; %bb.45:
	v_and_b32_e32 v25, 0xffff, v24
	v_or_b32_e32 v26, 0x10000, v24
	s_delay_alu instid0(VALU_DEP_2) | instskip(NEXT) | instid1(VALU_DEP_1)
	v_cmp_eq_u32_e64 s6, 0, v25
	v_cndmask_b32_e64 v25, v26, v24, s6
; %bb.46:
	s_or_b32 exec_lo, exec_lo, s7
	v_cndmask_b32_e64 v9, v22, v9, s5
	s_delay_alu instid0(VALU_DEP_1) | instskip(NEXT) | instid1(VALU_DEP_1)
	v_lshlrev_b32_e32 v22, 16, v9
	v_add_f32_e32 v22, 0, v22
	s_delay_alu instid0(VALU_DEP_1) | instskip(NEXT) | instid1(VALU_DEP_1)
	v_and_b32_e32 v24, 0x7f800000, v22
	v_cmp_ne_u32_e64 s6, 0x7f800000, v24
                                        ; implicit-def: $vgpr24
	s_delay_alu instid0(VALU_DEP_1) | instskip(NEXT) | instid1(SALU_CYCLE_1)
	s_and_saveexec_b32 s7, s6
	s_xor_b32 s6, exec_lo, s7
; %bb.47:
	v_bfe_u32 v24, v22, 16, 1
	s_delay_alu instid0(VALU_DEP_1)
	v_add3_u32 v24, v22, v24, 0x7fff
                                        ; implicit-def: $vgpr22
; %bb.48:
	s_and_not1_saveexec_b32 s7, s6
; %bb.49:
	v_and_b32_e32 v24, 0xffff, v22
	v_or_b32_e32 v26, 0x10000, v22
	s_delay_alu instid0(VALU_DEP_2) | instskip(NEXT) | instid1(VALU_DEP_1)
	v_cmp_eq_u32_e64 s6, 0, v24
	v_cndmask_b32_e64 v24, v26, v22, s6
; %bb.50:
	s_or_b32 exec_lo, exec_lo, s7
	v_cndmask_b32_e64 v22, v36, v35, s4
	s_delay_alu instid0(VALU_DEP_1) | instskip(NEXT) | instid1(VALU_DEP_1)
	v_lshlrev_b32_e32 v26, 16, v22
	v_add_f32_e32 v27, 0, v26
	s_delay_alu instid0(VALU_DEP_1) | instskip(NEXT) | instid1(VALU_DEP_1)
	v_and_b32_e32 v26, 0x7f800000, v27
	v_cmp_ne_u32_e64 s6, 0x7f800000, v26
                                        ; implicit-def: $vgpr26
	s_delay_alu instid0(VALU_DEP_1) | instskip(NEXT) | instid1(SALU_CYCLE_1)
	s_and_saveexec_b32 s7, s6
	s_xor_b32 s6, exec_lo, s7
; %bb.51:
	v_bfe_u32 v26, v27, 16, 1
	s_delay_alu instid0(VALU_DEP_1)
	v_add3_u32 v26, v27, v26, 0x7fff
                                        ; implicit-def: $vgpr27
; %bb.52:
	s_and_not1_saveexec_b32 s7, s6
; %bb.53:
	v_and_b32_e32 v26, 0xffff, v27
	v_or_b32_e32 v28, 0x10000, v27
	s_delay_alu instid0(VALU_DEP_2) | instskip(NEXT) | instid1(VALU_DEP_1)
	v_cmp_eq_u32_e64 s6, 0, v26
	v_cndmask_b32_e64 v26, v28, v27, s6
; %bb.54:
	s_or_b32 exec_lo, exec_lo, s7
	v_cmp_lt_i32_e64 s6, -1, v23
	v_perm_b32 v23, v25, v23, 0x7060302
	s_delay_alu instid0(VALU_DEP_2) | instskip(SKIP_1) | instid1(VALU_DEP_1)
	v_cndmask_b32_e64 v27, -1, 0xffff8000, s6
	v_cmp_lt_i32_e64 s6, -1, v25
	v_cndmask_b32_e64 v28, -1, 0xffff8000, s6
	s_delay_alu instid0(VALU_DEP_1) | instskip(NEXT) | instid1(VALU_DEP_1)
	v_perm_b32 v25, v28, v27, 0x5040100
	v_xor_b32_e32 v23, v25, v23
	s_delay_alu instid0(VALU_DEP_1) | instskip(NEXT) | instid1(VALU_DEP_1)
	v_lshrrev_b32_e32 v25, 16, v23
	v_cmp_gt_u16_e64 s6, v23, v25
	s_delay_alu instid0(VALU_DEP_1) | instskip(NEXT) | instid1(VALU_DEP_1)
	v_cndmask_b32_e64 v29, v8, v5, s6
	v_lshlrev_b32_e32 v23, 16, v29
	s_delay_alu instid0(VALU_DEP_1) | instskip(NEXT) | instid1(VALU_DEP_1)
	v_add_f32_e32 v23, 0, v23
	v_and_b32_e32 v25, 0x7f800000, v23
	s_delay_alu instid0(VALU_DEP_1) | instskip(NEXT) | instid1(VALU_DEP_1)
	v_cmp_ne_u32_e64 s7, 0x7f800000, v25
                                        ; implicit-def: $vgpr25
	s_and_saveexec_b32 s8, s7
	s_delay_alu instid0(SALU_CYCLE_1)
	s_xor_b32 s7, exec_lo, s8
; %bb.55:
	v_bfe_u32 v25, v23, 16, 1
	s_delay_alu instid0(VALU_DEP_1)
	v_add3_u32 v25, v23, v25, 0x7fff
                                        ; implicit-def: $vgpr23
; %bb.56:
	s_and_not1_saveexec_b32 s8, s7
; %bb.57:
	v_and_b32_e32 v25, 0xffff, v23
	v_or_b32_e32 v27, 0x10000, v23
	s_delay_alu instid0(VALU_DEP_2) | instskip(NEXT) | instid1(VALU_DEP_1)
	v_cmp_eq_u32_e64 s7, 0, v25
	v_cndmask_b32_e64 v25, v27, v23, s7
; %bb.58:
	s_or_b32 exec_lo, exec_lo, s8
	v_cmp_lt_i32_e64 s7, -1, v24
	v_perm_b32 v24, v26, v24, 0x7060302
	s_delay_alu instid0(VALU_DEP_2) | instskip(SKIP_1) | instid1(VALU_DEP_1)
	v_cndmask_b32_e64 v23, -1, 0xffff8000, s7
	v_cmp_lt_i32_e64 s7, -1, v26
	v_cndmask_b32_e64 v27, -1, 0xffff8000, s7
	s_delay_alu instid0(VALU_DEP_1) | instskip(NEXT) | instid1(VALU_DEP_1)
	v_perm_b32 v23, v27, v23, 0x5040100
	v_xor_b32_e32 v23, v23, v24
	s_delay_alu instid0(VALU_DEP_1) | instskip(NEXT) | instid1(VALU_DEP_1)
	v_lshrrev_b32_e32 v24, 16, v23
	v_cmp_gt_u16_e64 s7, v23, v24
	s_delay_alu instid0(VALU_DEP_1) | instskip(NEXT) | instid1(VALU_DEP_1)
	v_cndmask_b32_e64 v23, v9, v22, s7
	v_lshlrev_b32_e32 v24, 16, v23
	s_delay_alu instid0(VALU_DEP_1) | instskip(NEXT) | instid1(VALU_DEP_1)
	v_add_f32_e32 v26, 0, v24
	v_and_b32_e32 v24, 0x7f800000, v26
	s_delay_alu instid0(VALU_DEP_1) | instskip(NEXT) | instid1(VALU_DEP_1)
	v_cmp_ne_u32_e64 s8, 0x7f800000, v24
                                        ; implicit-def: $vgpr24
	s_and_saveexec_b32 s10, s8
	s_delay_alu instid0(SALU_CYCLE_1)
	s_xor_b32 s8, exec_lo, s10
; %bb.59:
	v_bfe_u32 v24, v26, 16, 1
	s_delay_alu instid0(VALU_DEP_1)
	v_add3_u32 v24, v26, v24, 0x7fff
                                        ; implicit-def: $vgpr26
; %bb.60:
	s_and_not1_saveexec_b32 s10, s8
; %bb.61:
	v_and_b32_e32 v24, 0xffff, v26
	v_or_b32_e32 v27, 0x10000, v26
	s_delay_alu instid0(VALU_DEP_2) | instskip(NEXT) | instid1(VALU_DEP_1)
	v_cmp_eq_u32_e64 s8, 0, v24
	v_cndmask_b32_e64 v24, v27, v26, s8
; %bb.62:
	s_or_b32 exec_lo, exec_lo, s10
	v_cndmask_b32_e64 v26, v12, v14, s3
	v_cndmask_b32_e64 v27, v13, v15, s3
	;; [unrolled: 1-line block ×4, first 2 shown]
	v_cmp_lt_i32_e64 s3, -1, v25
	v_cndmask_b32_e64 v28, v18, v16, s4
	v_cndmask_b32_e64 v31, v17, v19, s4
	v_cndmask_b32_e64 v16, v16, v18, s4
	v_perm_b32 v18, v24, v25, 0x7060302
	v_cndmask_b32_e64 v14, -1, 0xffff8000, s3
	v_cmp_lt_i32_e64 s3, -1, v24
	v_cndmask_b32_e64 v17, v19, v17, s4
	v_cndmask_b32_e64 v19, v13, v31, s5
	;; [unrolled: 1-line block ×4, first 2 shown]
	v_cndmask_b32_e64 v15, -1, 0xffff8000, s3
	v_cndmask_b32_e64 v25, v31, v13, s5
	v_cndmask_b32_e64 v13, v27, v19, s6
	;; [unrolled: 1-line block ×3, first 2 shown]
	v_mov_b32_e32 v35, v23
	v_perm_b32 v14, v15, v14, 0x5040100
	v_cndmask_b32_e64 v15, v19, v27, s6
	v_cndmask_b32_e64 v19, v17, v25, s7
	;; [unrolled: 1-line block ×3, first 2 shown]
	s_mov_b32 s4, exec_lo
	v_xor_b32_e32 v31, v14, v18
	v_cndmask_b32_e64 v14, v24, v26, s6
	v_cndmask_b32_e64 v18, v28, v16, s7
	;; [unrolled: 1-line block ×3, first 2 shown]
	s_delay_alu instid0(VALU_DEP_4) | instskip(NEXT) | instid1(VALU_DEP_1)
	v_lshrrev_b32_e32 v24, 16, v31
	v_cmpx_gt_u16_e64 v31, v24
; %bb.63:
	v_dual_mov_b32 v48, v12 :: v_dual_mov_b32 v49, v13
	s_delay_alu instid0(VALU_DEP_4) | instskip(SKIP_2) | instid1(VALU_DEP_4)
	v_dual_mov_b32 v50, v16 :: v_dual_mov_b32 v51, v17
	v_dual_mov_b32 v52, v14 :: v_dual_mov_b32 v53, v15
	;; [unrolled: 1-line block ×4, first 2 shown]
	s_delay_alu instid0(VALU_DEP_4) | instskip(NEXT) | instid1(VALU_DEP_4)
	v_dual_mov_b32 v14, v50 :: v_dual_mov_b32 v15, v51
	v_dual_mov_b32 v16, v52 :: v_dual_mov_b32 v17, v53
	s_delay_alu instid0(VALU_DEP_4)
	v_dual_mov_b32 v18, v54 :: v_dual_mov_b32 v19, v55
	v_mov_b32_e32 v35, v29
	v_mov_b32_e32 v29, v23
; %bb.64:
	s_or_b32 exec_lo, exec_lo, s4
	v_cndmask_b32_e64 v36, v22, v9, s7
	v_cndmask_b32_e64 v37, v5, v8, s6
.LBB2076_65:
	s_or_b32 exec_lo, exec_lo, s9
	v_dual_mov_b32 v27, 0 :: v_dual_and_b32 v26, 0xffffff80, v4
	v_or_b32_e32 v8, 4, v34
	v_lshlrev_b32_e32 v22, 1, v34
	v_lshlrev_b32_e32 v23, 3, v34
	s_delay_alu instid0(VALU_DEP_4)
	v_sub_nc_u32_e64 v31, 0x400, v26 clamp
	v_lshlrev_b64 v[4:5], 1, v[26:27]
	v_and_b32_e32 v28, 0x78, v34
	v_and_b32_e32 v24, 4, v34
	v_perm_b32 v52, v36, v35, 0x5040100
	v_min_u32_e32 v38, v31, v8
	v_perm_b32 v51, v29, v37, 0x5040100
	v_add_co_u32 v8, s3, v10, v4
	s_delay_alu instid0(VALU_DEP_1) | instskip(NEXT) | instid1(VALU_DEP_4)
	v_add_co_ci_u32_e64 v9, s3, v11, v5, s3
	v_add_nc_u32_e32 v10, 4, v38
	v_min_u32_e32 v48, v31, v24
	v_sub_nc_u32_e32 v24, v38, v28
	s_delay_alu instid0(VALU_DEP_4) | instskip(NEXT) | instid1(VALU_DEP_4)
	v_mad_u64_u32 v[4:5], null, v26, 6, v[8:9]
	v_min_u32_e32 v39, v31, v10
	v_add_co_u32 v10, s3, v8, v22
	s_delay_alu instid0(VALU_DEP_1) | instskip(NEXT) | instid1(VALU_DEP_3)
	v_add_co_ci_u32_e64 v11, s3, 0, v9, s3
	v_sub_nc_u32_e32 v25, v39, v38
	v_add_co_u32 v22, s3, v4, v23
	s_delay_alu instid0(VALU_DEP_1) | instskip(SKIP_1) | instid1(VALU_DEP_3)
	v_add_co_ci_u32_e64 v23, s3, 0, v5, s3
	v_min_u32_e32 v50, v48, v24
	v_add_co_u32 v24, s3, 0x800, v22
	v_sub_nc_u32_e64 v49, v48, v25 clamp
	s_delay_alu instid0(VALU_DEP_4)
	v_add_co_ci_u32_e64 v25, s3, 0, v23, s3
	s_mov_b32 s4, 0
	s_mov_b32 s5, exec_lo
	s_clause 0x2
	flat_store_b128 v[22:23], v[12:15] offset:2048
	flat_store_b64 v[10:11], v[51:52]
	flat_store_b128 v[22:23], v[16:19] offset:2064
	; wave barrier
	v_cmpx_lt_u32_e64 v49, v50
	s_cbranch_execz .LBB2076_80
; %bb.66:
	v_lshlrev_b32_e32 v26, 1, v28
	v_lshlrev_b32_e32 v53, 1, v38
	s_delay_alu instid0(VALU_DEP_2) | instskip(NEXT) | instid1(VALU_DEP_1)
	v_add_co_u32 v51, s3, v8, v26
	v_add_co_ci_u32_e64 v52, s3, 0, v9, s3
	s_delay_alu instid0(VALU_DEP_3) | instskip(NEXT) | instid1(VALU_DEP_1)
	v_add_co_u32 v53, s3, v8, v53
	v_add_co_ci_u32_e64 v54, s3, 0, v9, s3
	s_branch .LBB2076_68
.LBB2076_67:                            ;   in Loop: Header=BB2076_68 Depth=1
	s_or_b32 exec_lo, exec_lo, s6
	v_cmp_lt_i32_e64 s3, -1, v26
	v_lshrrev_b32_e32 v65, 16, v26
	v_lshrrev_b32_e32 v66, 16, v64
	s_delay_alu instid0(VALU_DEP_3) | instskip(SKIP_1) | instid1(VALU_DEP_2)
	v_cndmask_b32_e64 v26, -1, 0xffff8000, s3
	v_cmp_lt_i32_e64 s3, -1, v64
	v_xor_b32_e32 v26, v26, v65
	s_delay_alu instid0(VALU_DEP_2) | instskip(SKIP_1) | instid1(VALU_DEP_2)
	v_cndmask_b32_e64 v64, -1, 0xffff8000, s3
	v_add_nc_u32_e32 v65, 1, v55
	v_xor_b32_e32 v64, v64, v66
	s_delay_alu instid0(VALU_DEP_1) | instskip(NEXT) | instid1(VALU_DEP_1)
	v_cmp_gt_u16_e64 s3, v26, v64
	v_cndmask_b32_e64 v50, v50, v55, s3
	s_delay_alu instid0(VALU_DEP_4) | instskip(NEXT) | instid1(VALU_DEP_1)
	v_cndmask_b32_e64 v49, v65, v49, s3
	v_cmp_ge_u32_e64 s3, v49, v50
	s_delay_alu instid0(VALU_DEP_1) | instskip(NEXT) | instid1(SALU_CYCLE_1)
	s_or_b32 s4, s3, s4
	s_and_not1_b32 exec_lo, exec_lo, s4
	s_cbranch_execz .LBB2076_79
.LBB2076_68:                            ; =>This Inner Loop Header: Depth=1
	v_add_nc_u32_e32 v26, v50, v49
	s_delay_alu instid0(VALU_DEP_1) | instskip(NEXT) | instid1(VALU_DEP_1)
	v_and_b32_e32 v55, -2, v26
	v_add_co_u32 v64, s3, v51, v55
	s_delay_alu instid0(VALU_DEP_1) | instskip(SKIP_3) | instid1(VALU_DEP_1)
	v_add_co_ci_u32_e64 v65, s3, 0, v52, s3
	v_lshrrev_b32_e32 v55, 1, v26
	flat_load_u16 v66, v[64:65]
	v_xad_u32 v26, v55, -1, v48
	v_lshlrev_b64 v[64:65], 1, v[26:27]
	s_delay_alu instid0(VALU_DEP_1) | instskip(NEXT) | instid1(VALU_DEP_1)
	v_add_co_u32 v64, s3, v53, v64
	v_add_co_ci_u32_e64 v65, s3, v54, v65, s3
	flat_load_u16 v64, v[64:65]
	s_waitcnt vmcnt(1) lgkmcnt(1)
	v_lshlrev_b32_e32 v26, 16, v66
	s_delay_alu instid0(VALU_DEP_1) | instskip(NEXT) | instid1(VALU_DEP_1)
	v_add_f32_e32 v65, 0, v26
	v_and_b32_e32 v26, 0x7f800000, v65
	s_delay_alu instid0(VALU_DEP_1) | instskip(NEXT) | instid1(VALU_DEP_1)
	v_cmp_ne_u32_e64 s3, 0x7f800000, v26
                                        ; implicit-def: $vgpr26
	s_and_saveexec_b32 s6, s3
	s_delay_alu instid0(SALU_CYCLE_1)
	s_xor_b32 s3, exec_lo, s6
; %bb.69:                               ;   in Loop: Header=BB2076_68 Depth=1
	v_bfe_u32 v26, v65, 16, 1
	s_delay_alu instid0(VALU_DEP_1)
	v_add3_u32 v26, v65, v26, 0x7fff
                                        ; implicit-def: $vgpr65
; %bb.70:                               ;   in Loop: Header=BB2076_68 Depth=1
	s_and_not1_saveexec_b32 s6, s3
; %bb.71:                               ;   in Loop: Header=BB2076_68 Depth=1
	v_and_b32_e32 v26, 0xffff, v65
	v_or_b32_e32 v66, 0x10000, v65
	s_delay_alu instid0(VALU_DEP_2) | instskip(NEXT) | instid1(VALU_DEP_1)
	v_cmp_eq_u32_e64 s3, 0, v26
	v_cndmask_b32_e64 v26, v66, v65, s3
; %bb.72:                               ;   in Loop: Header=BB2076_68 Depth=1
	s_or_b32 exec_lo, exec_lo, s6
	s_waitcnt vmcnt(0) lgkmcnt(0)
	v_lshlrev_b32_e32 v64, 16, v64
	s_delay_alu instid0(VALU_DEP_1) | instskip(NEXT) | instid1(VALU_DEP_1)
	v_add_f32_e32 v65, 0, v64
	v_and_b32_e32 v64, 0x7f800000, v65
	s_delay_alu instid0(VALU_DEP_1) | instskip(NEXT) | instid1(VALU_DEP_1)
	v_cmp_ne_u32_e64 s3, 0x7f800000, v64
                                        ; implicit-def: $vgpr64
	s_and_saveexec_b32 s6, s3
	s_delay_alu instid0(SALU_CYCLE_1)
	s_xor_b32 s3, exec_lo, s6
; %bb.73:                               ;   in Loop: Header=BB2076_68 Depth=1
	v_bfe_u32 v64, v65, 16, 1
	s_delay_alu instid0(VALU_DEP_1)
	v_add3_u32 v64, v65, v64, 0x7fff
                                        ; implicit-def: $vgpr65
; %bb.74:                               ;   in Loop: Header=BB2076_68 Depth=1
	s_and_not1_saveexec_b32 s6, s3
	s_cbranch_execz .LBB2076_67
; %bb.75:                               ;   in Loop: Header=BB2076_68 Depth=1
	v_and_b32_e32 v64, 0xffff, v65
	v_or_b32_e32 v66, 0x10000, v65
	s_delay_alu instid0(VALU_DEP_2) | instskip(NEXT) | instid1(VALU_DEP_1)
	v_cmp_eq_u32_e64 s3, 0, v64
	v_cndmask_b32_e64 v64, v66, v65, s3
	s_branch .LBB2076_67
.LBB2076_76:
	flat_load_b64 v[12:13], v[4:5]
	s_or_b32 exec_lo, exec_lo, s3
	s_and_saveexec_b32 s3, s0
	s_cbranch_execz .LBB2076_10
.LBB2076_77:
	flat_load_b64 v[14:15], v[4:5] offset:8
	s_or_b32 exec_lo, exec_lo, s3
	s_and_saveexec_b32 s3, s1
	s_cbranch_execz .LBB2076_11
.LBB2076_78:
	flat_load_b64 v[16:17], v[4:5] offset:16
	s_or_b32 exec_lo, exec_lo, s3
	s_and_saveexec_b32 s3, s2
	s_cbranch_execnz .LBB2076_12
	s_branch .LBB2076_13
.LBB2076_79:
	s_or_b32 exec_lo, exec_lo, s4
.LBB2076_80:
	s_delay_alu instid0(SALU_CYCLE_1) | instskip(SKIP_2) | instid1(VALU_DEP_2)
	s_or_b32 exec_lo, exec_lo, s5
	v_add_nc_u32_e32 v27, v38, v48
	v_add_nc_u32_e32 v26, v49, v28
	v_sub_nc_u32_e32 v28, v27, v49
	s_delay_alu instid0(VALU_DEP_2) | instskip(NEXT) | instid1(VALU_DEP_2)
	v_cmp_le_u32_e64 s3, v26, v38
	v_cmp_le_u32_e64 s4, v28, v39
	s_delay_alu instid0(VALU_DEP_1) | instskip(NEXT) | instid1(SALU_CYCLE_1)
	s_or_b32 s3, s3, s4
	s_and_saveexec_b32 s5, s3
	s_cbranch_execz .LBB2076_132
; %bb.81:
	v_cmp_ge_u32_e64 s3, v26, v38
	s_mov_b32 s6, exec_lo
                                        ; implicit-def: $vgpr27
	v_cmpx_lt_u32_e64 v26, v38
	s_cbranch_execz .LBB2076_83
; %bb.82:
	v_mov_b32_e32 v27, 0
	s_delay_alu instid0(VALU_DEP_1) | instskip(NEXT) | instid1(VALU_DEP_1)
	v_lshlrev_b64 v[12:13], 1, v[26:27]
	v_add_co_u32 v12, s4, v8, v12
	s_delay_alu instid0(VALU_DEP_1)
	v_add_co_ci_u32_e64 v13, s4, v9, v13, s4
	flat_load_u16 v27, v[12:13]
.LBB2076_83:
	s_or_b32 exec_lo, exec_lo, s6
	v_cmp_ge_u32_e64 s6, v28, v39
	s_mov_b32 s7, exec_lo
                                        ; implicit-def: $vgpr36
	v_cmpx_lt_u32_e64 v28, v39
	s_cbranch_execz .LBB2076_85
; %bb.84:
	v_mov_b32_e32 v29, 0
	s_delay_alu instid0(VALU_DEP_1) | instskip(NEXT) | instid1(VALU_DEP_1)
	v_lshlrev_b64 v[12:13], 1, v[28:29]
	v_add_co_u32 v12, s4, v8, v12
	s_delay_alu instid0(VALU_DEP_1)
	v_add_co_ci_u32_e64 v13, s4, v9, v13, s4
	flat_load_u16 v36, v[12:13]
.LBB2076_85:
	s_or_b32 exec_lo, exec_lo, s7
	s_or_b32 s3, s3, s6
	s_delay_alu instid0(SALU_CYCLE_1) | instskip(NEXT) | instid1(SALU_CYCLE_1)
	s_xor_b32 s3, s3, -1
	s_and_saveexec_b32 s4, s3
	s_cbranch_execz .LBB2076_95
; %bb.86:
	s_waitcnt vmcnt(0) lgkmcnt(0)
	v_lshlrev_b32_e32 v12, 16, v27
	s_delay_alu instid0(VALU_DEP_1) | instskip(NEXT) | instid1(VALU_DEP_1)
	v_add_f32_e32 v13, 0, v12
	v_and_b32_e32 v12, 0x7f800000, v13
	s_delay_alu instid0(VALU_DEP_1) | instskip(NEXT) | instid1(VALU_DEP_1)
	v_cmp_ne_u32_e64 s3, 0x7f800000, v12
                                        ; implicit-def: $vgpr12
	s_and_saveexec_b32 s7, s3
	s_delay_alu instid0(SALU_CYCLE_1)
	s_xor_b32 s3, exec_lo, s7
; %bb.87:
	v_bfe_u32 v12, v13, 16, 1
	s_delay_alu instid0(VALU_DEP_1)
	v_add3_u32 v12, v13, v12, 0x7fff
                                        ; implicit-def: $vgpr13
; %bb.88:
	s_and_not1_saveexec_b32 s7, s3
; %bb.89:
	v_and_b32_e32 v12, 0xffff, v13
	v_or_b32_e32 v14, 0x10000, v13
	s_delay_alu instid0(VALU_DEP_2) | instskip(NEXT) | instid1(VALU_DEP_1)
	v_cmp_eq_u32_e64 s3, 0, v12
	v_cndmask_b32_e64 v12, v14, v13, s3
; %bb.90:
	s_or_b32 exec_lo, exec_lo, s7
	v_lshlrev_b32_e32 v13, 16, v36
	s_delay_alu instid0(VALU_DEP_1) | instskip(NEXT) | instid1(VALU_DEP_1)
	v_add_f32_e32 v14, 0, v13
	v_and_b32_e32 v13, 0x7f800000, v14
	s_delay_alu instid0(VALU_DEP_1) | instskip(NEXT) | instid1(VALU_DEP_1)
	v_cmp_ne_u32_e64 s3, 0x7f800000, v13
                                        ; implicit-def: $vgpr13
	s_and_saveexec_b32 s7, s3
	s_delay_alu instid0(SALU_CYCLE_1)
	s_xor_b32 s3, exec_lo, s7
; %bb.91:
	v_bfe_u32 v13, v14, 16, 1
	s_delay_alu instid0(VALU_DEP_1)
	v_add3_u32 v13, v14, v13, 0x7fff
                                        ; implicit-def: $vgpr14
; %bb.92:
	s_and_not1_saveexec_b32 s7, s3
; %bb.93:
	v_and_b32_e32 v13, 0xffff, v14
	v_or_b32_e32 v15, 0x10000, v14
	s_delay_alu instid0(VALU_DEP_2) | instskip(NEXT) | instid1(VALU_DEP_1)
	v_cmp_eq_u32_e64 s3, 0, v13
	v_cndmask_b32_e64 v13, v15, v14, s3
; %bb.94:
	s_or_b32 exec_lo, exec_lo, s7
	v_cmp_lt_i32_e64 s3, -1, v12
	s_delay_alu instid0(VALU_DEP_2) | instskip(SKIP_1) | instid1(VALU_DEP_2)
	v_perm_b32 v12, v13, v12, 0x7060302
	s_and_not1_b32 s6, s6, exec_lo
	v_cndmask_b32_e64 v14, -1, 0xffff8000, s3
	v_cmp_lt_i32_e64 s3, -1, v13
	s_delay_alu instid0(VALU_DEP_1) | instskip(NEXT) | instid1(VALU_DEP_1)
	v_cndmask_b32_e64 v15, -1, 0xffff8000, s3
	v_perm_b32 v13, v15, v14, 0x5040100
	s_delay_alu instid0(VALU_DEP_1) | instskip(NEXT) | instid1(VALU_DEP_1)
	v_xor_b32_e32 v12, v13, v12
	v_lshrrev_b32_e32 v13, 16, v12
	s_delay_alu instid0(VALU_DEP_1) | instskip(NEXT) | instid1(VALU_DEP_1)
	v_cmp_le_u16_e64 s3, v12, v13
	s_and_b32 s3, s3, exec_lo
	s_delay_alu instid0(SALU_CYCLE_1)
	s_or_b32 s6, s6, s3
.LBB2076_95:
	s_or_b32 exec_lo, exec_lo, s4
	v_cndmask_b32_e64 v14, v28, v26, s6
	v_cndmask_b32_e64 v12, v39, v38, s6
	v_mov_b32_e32 v15, 0
	s_mov_b32 s9, 0
	s_mov_b32 s7, -1
	v_add_nc_u32_e32 v18, 1, v14
	v_add_nc_u32_e32 v16, -1, v12
	v_lshlrev_b64 v[12:13], 3, v[14:15]
	s_mov_b32 s4, -1
	s_mov_b32 s8, exec_lo
	s_delay_alu instid0(VALU_DEP_2) | instskip(NEXT) | instid1(VALU_DEP_1)
	v_min_u32_e32 v14, v18, v16
	v_lshlrev_b64 v[16:17], 1, v[14:15]
	s_delay_alu instid0(VALU_DEP_1) | instskip(NEXT) | instid1(VALU_DEP_1)
	v_add_co_u32 v16, s3, v8, v16
	v_add_co_ci_u32_e64 v17, s3, v9, v17, s3
	v_add_co_u32 v12, s3, v4, v12
	s_delay_alu instid0(VALU_DEP_1)
	v_add_co_ci_u32_e64 v13, s3, v5, v13, s3
	s_clause 0x1
	flat_load_u16 v14, v[16:17]
	flat_load_b64 v[12:13], v[12:13] offset:2048
	v_cndmask_b32_e64 v16, v18, v28, s6
	v_cndmask_b32_e64 v17, v26, v18, s6
	s_waitcnt vmcnt(1) lgkmcnt(1)
	v_cndmask_b32_e64 v26, v14, v36, s6
	v_cndmask_b32_e64 v28, v27, v14, s6
	v_cmpx_lt_u32_e64 v16, v39
	s_cbranch_execz .LBB2076_107
; %bb.96:
	s_mov_b32 s4, exec_lo
	v_cmpx_lt_u32_e64 v17, v38
	s_cbranch_execz .LBB2076_106
; %bb.97:
	v_lshlrev_b32_e32 v14, 16, v28
	s_delay_alu instid0(VALU_DEP_1) | instskip(NEXT) | instid1(VALU_DEP_1)
	v_add_f32_e32 v18, 0, v14
	v_and_b32_e32 v14, 0x7f800000, v18
	s_delay_alu instid0(VALU_DEP_1) | instskip(NEXT) | instid1(VALU_DEP_1)
	v_cmp_ne_u32_e64 s3, 0x7f800000, v14
                                        ; implicit-def: $vgpr14
	s_and_saveexec_b32 s9, s3
	s_delay_alu instid0(SALU_CYCLE_1)
	s_xor_b32 s3, exec_lo, s9
; %bb.98:
	v_bfe_u32 v14, v18, 16, 1
	s_delay_alu instid0(VALU_DEP_1)
	v_add3_u32 v14, v18, v14, 0x7fff
                                        ; implicit-def: $vgpr18
; %bb.99:
	s_and_not1_saveexec_b32 s9, s3
; %bb.100:
	v_and_b32_e32 v14, 0xffff, v18
	v_or_b32_e32 v19, 0x10000, v18
	s_delay_alu instid0(VALU_DEP_2) | instskip(NEXT) | instid1(VALU_DEP_1)
	v_cmp_eq_u32_e64 s3, 0, v14
	v_cndmask_b32_e64 v14, v19, v18, s3
; %bb.101:
	s_or_b32 exec_lo, exec_lo, s9
	v_lshlrev_b32_e32 v18, 16, v26
	s_delay_alu instid0(VALU_DEP_1) | instskip(NEXT) | instid1(VALU_DEP_1)
	v_add_f32_e32 v19, 0, v18
	v_and_b32_e32 v18, 0x7f800000, v19
	s_delay_alu instid0(VALU_DEP_1) | instskip(NEXT) | instid1(VALU_DEP_1)
	v_cmp_ne_u32_e64 s3, 0x7f800000, v18
                                        ; implicit-def: $vgpr18
	s_and_saveexec_b32 s9, s3
	s_delay_alu instid0(SALU_CYCLE_1)
	s_xor_b32 s3, exec_lo, s9
; %bb.102:
	v_bfe_u32 v18, v19, 16, 1
	s_delay_alu instid0(VALU_DEP_1)
	v_add3_u32 v18, v19, v18, 0x7fff
                                        ; implicit-def: $vgpr19
; %bb.103:
	s_and_not1_saveexec_b32 s9, s3
; %bb.104:
	v_and_b32_e32 v18, 0xffff, v19
	v_or_b32_e32 v29, 0x10000, v19
	s_delay_alu instid0(VALU_DEP_2) | instskip(NEXT) | instid1(VALU_DEP_1)
	v_cmp_eq_u32_e64 s3, 0, v18
	v_cndmask_b32_e64 v18, v29, v19, s3
; %bb.105:
	s_or_b32 exec_lo, exec_lo, s9
	v_cmp_lt_i32_e64 s3, -1, v14
	s_delay_alu instid0(VALU_DEP_2) | instskip(NEXT) | instid1(VALU_DEP_2)
	v_perm_b32 v14, v18, v14, 0x7060302
	v_cndmask_b32_e64 v19, -1, 0xffff8000, s3
	v_cmp_lt_i32_e64 s3, -1, v18
	s_delay_alu instid0(VALU_DEP_1) | instskip(NEXT) | instid1(VALU_DEP_1)
	v_cndmask_b32_e64 v29, -1, 0xffff8000, s3
	v_perm_b32 v18, v29, v19, 0x5040100
	s_delay_alu instid0(VALU_DEP_1) | instskip(NEXT) | instid1(VALU_DEP_1)
	v_xor_b32_e32 v14, v18, v14
	v_lshrrev_b32_e32 v18, 16, v14
	s_delay_alu instid0(VALU_DEP_1) | instskip(NEXT) | instid1(VALU_DEP_1)
	v_cmp_le_u16_e64 s3, v14, v18
	s_and_b32 s9, s3, exec_lo
.LBB2076_106:
	s_or_b32 exec_lo, exec_lo, s4
	s_delay_alu instid0(SALU_CYCLE_1)
	s_or_not1_b32 s4, s9, exec_lo
.LBB2076_107:
	s_or_b32 exec_lo, exec_lo, s8
	v_cndmask_b32_e64 v14, v16, v17, s4
	v_cndmask_b32_e64 v18, v39, v38, s4
	s_mov_b32 s9, 0
	s_mov_b32 s8, exec_lo
	s_delay_alu instid0(VALU_DEP_2) | instskip(NEXT) | instid1(VALU_DEP_2)
	v_add_nc_u32_e32 v29, 1, v14
	v_add_nc_u32_e32 v35, -1, v18
	v_lshlrev_b64 v[18:19], 3, v[14:15]
	s_delay_alu instid0(VALU_DEP_3) | instskip(NEXT) | instid1(VALU_DEP_3)
	v_cndmask_b32_e64 v37, v29, v16, s4
	v_min_u32_e32 v14, v29, v35
	v_cndmask_b32_e64 v48, v17, v29, s4
	s_delay_alu instid0(VALU_DEP_2) | instskip(NEXT) | instid1(VALU_DEP_1)
	v_lshlrev_b64 v[14:15], 1, v[14:15]
	v_add_co_u32 v14, s3, v8, v14
	s_delay_alu instid0(VALU_DEP_1) | instskip(SKIP_2) | instid1(VALU_DEP_1)
	v_add_co_ci_u32_e64 v15, s3, v9, v15, s3
	flat_load_u16 v35, v[14:15]
	v_add_co_u32 v14, s3, v4, v18
	v_add_co_ci_u32_e64 v15, s3, v5, v19, s3
	flat_load_b64 v[14:15], v[14:15] offset:2048
	s_waitcnt vmcnt(1) lgkmcnt(1)
	v_cndmask_b32_e64 v29, v35, v26, s4
	v_cndmask_b32_e64 v35, v28, v35, s4
	v_cmpx_lt_u32_e64 v37, v39
	s_cbranch_execz .LBB2076_119
; %bb.108:
	s_mov_b32 s7, exec_lo
	v_cmpx_lt_u32_e64 v48, v38
	s_cbranch_execz .LBB2076_118
; %bb.109:
	v_lshlrev_b32_e32 v16, 16, v35
	s_delay_alu instid0(VALU_DEP_1) | instskip(NEXT) | instid1(VALU_DEP_1)
	v_add_f32_e32 v17, 0, v16
	v_and_b32_e32 v16, 0x7f800000, v17
	s_delay_alu instid0(VALU_DEP_1) | instskip(NEXT) | instid1(VALU_DEP_1)
	v_cmp_ne_u32_e64 s3, 0x7f800000, v16
                                        ; implicit-def: $vgpr16
	s_and_saveexec_b32 s9, s3
	s_delay_alu instid0(SALU_CYCLE_1)
	s_xor_b32 s3, exec_lo, s9
; %bb.110:
	v_bfe_u32 v16, v17, 16, 1
	s_delay_alu instid0(VALU_DEP_1)
	v_add3_u32 v16, v17, v16, 0x7fff
                                        ; implicit-def: $vgpr17
; %bb.111:
	s_and_not1_saveexec_b32 s9, s3
; %bb.112:
	v_and_b32_e32 v16, 0xffff, v17
	v_or_b32_e32 v18, 0x10000, v17
	s_delay_alu instid0(VALU_DEP_2) | instskip(NEXT) | instid1(VALU_DEP_1)
	v_cmp_eq_u32_e64 s3, 0, v16
	v_cndmask_b32_e64 v16, v18, v17, s3
; %bb.113:
	s_or_b32 exec_lo, exec_lo, s9
	v_lshlrev_b32_e32 v17, 16, v29
	s_delay_alu instid0(VALU_DEP_1) | instskip(NEXT) | instid1(VALU_DEP_1)
	v_add_f32_e32 v18, 0, v17
	v_and_b32_e32 v17, 0x7f800000, v18
	s_delay_alu instid0(VALU_DEP_1) | instskip(NEXT) | instid1(VALU_DEP_1)
	v_cmp_ne_u32_e64 s3, 0x7f800000, v17
                                        ; implicit-def: $vgpr17
	s_and_saveexec_b32 s9, s3
	s_delay_alu instid0(SALU_CYCLE_1)
	s_xor_b32 s3, exec_lo, s9
; %bb.114:
	v_bfe_u32 v17, v18, 16, 1
	s_delay_alu instid0(VALU_DEP_1)
	v_add3_u32 v17, v18, v17, 0x7fff
                                        ; implicit-def: $vgpr18
; %bb.115:
	s_and_not1_saveexec_b32 s9, s3
; %bb.116:
	v_and_b32_e32 v17, 0xffff, v18
	v_or_b32_e32 v19, 0x10000, v18
	s_delay_alu instid0(VALU_DEP_2) | instskip(NEXT) | instid1(VALU_DEP_1)
	v_cmp_eq_u32_e64 s3, 0, v17
	v_cndmask_b32_e64 v17, v19, v18, s3
; %bb.117:
	s_or_b32 exec_lo, exec_lo, s9
	v_cmp_lt_i32_e64 s3, -1, v16
	s_delay_alu instid0(VALU_DEP_2) | instskip(NEXT) | instid1(VALU_DEP_2)
	v_perm_b32 v16, v17, v16, 0x7060302
	v_cndmask_b32_e64 v18, -1, 0xffff8000, s3
	v_cmp_lt_i32_e64 s3, -1, v17
	s_delay_alu instid0(VALU_DEP_1) | instskip(NEXT) | instid1(VALU_DEP_1)
	v_cndmask_b32_e64 v19, -1, 0xffff8000, s3
	v_perm_b32 v17, v19, v18, 0x5040100
	s_delay_alu instid0(VALU_DEP_1) | instskip(NEXT) | instid1(VALU_DEP_1)
	v_xor_b32_e32 v16, v17, v16
	v_lshrrev_b32_e32 v17, 16, v16
	s_delay_alu instid0(VALU_DEP_1) | instskip(NEXT) | instid1(VALU_DEP_1)
	v_cmp_le_u16_e64 s3, v16, v17
	s_and_b32 s9, s3, exec_lo
.LBB2076_118:
	s_or_b32 exec_lo, exec_lo, s7
	s_delay_alu instid0(SALU_CYCLE_1)
	s_or_not1_b32 s7, s9, exec_lo
.LBB2076_119:
	s_or_b32 exec_lo, exec_lo, s8
	v_cndmask_b32_e64 v18, v37, v48, s7
	v_cndmask_b32_e64 v16, v39, v38, s7
	v_mov_b32_e32 v19, 0
	s_mov_b32 s10, 0
	s_mov_b32 s9, -1
	v_add_nc_u32_e32 v51, 1, v18
	v_add_nc_u32_e32 v49, -1, v16
	v_lshlrev_b64 v[16:17], 3, v[18:19]
	s_mov_b32 s8, exec_lo
	s_delay_alu instid0(VALU_DEP_2) | instskip(NEXT) | instid1(VALU_DEP_1)
	v_min_u32_e32 v18, v51, v49
	v_lshlrev_b64 v[49:50], 1, v[18:19]
	v_cndmask_b32_e64 v18, v51, v37, s7
	v_cndmask_b32_e64 v37, v48, v51, s7
	s_delay_alu instid0(VALU_DEP_3) | instskip(NEXT) | instid1(VALU_DEP_1)
	v_add_co_u32 v49, s3, v8, v49
	v_add_co_ci_u32_e64 v50, s3, v9, v50, s3
	v_add_co_u32 v16, s3, v4, v16
	s_delay_alu instid0(VALU_DEP_1)
	v_add_co_ci_u32_e64 v17, s3, v5, v17, s3
	s_clause 0x1
	flat_load_u16 v49, v[49:50]
	flat_load_b64 v[16:17], v[16:17] offset:2048
	s_waitcnt vmcnt(1) lgkmcnt(1)
	v_cndmask_b32_e64 v48, v49, v29, s7
	v_cndmask_b32_e64 v49, v35, v49, s7
	v_cmpx_lt_u32_e64 v18, v39
	s_cbranch_execz .LBB2076_131
; %bb.120:
	s_mov_b32 s9, exec_lo
	v_cmpx_lt_u32_e64 v37, v38
	s_cbranch_execz .LBB2076_130
; %bb.121:
	v_lshlrev_b32_e32 v38, 16, v49
	s_delay_alu instid0(VALU_DEP_1) | instskip(NEXT) | instid1(VALU_DEP_1)
	v_add_f32_e32 v39, 0, v38
	v_and_b32_e32 v38, 0x7f800000, v39
	s_delay_alu instid0(VALU_DEP_1) | instskip(NEXT) | instid1(VALU_DEP_1)
	v_cmp_ne_u32_e64 s3, 0x7f800000, v38
                                        ; implicit-def: $vgpr38
	s_and_saveexec_b32 s10, s3
	s_delay_alu instid0(SALU_CYCLE_1)
	s_xor_b32 s3, exec_lo, s10
; %bb.122:
	v_bfe_u32 v38, v39, 16, 1
	s_delay_alu instid0(VALU_DEP_1)
	v_add3_u32 v38, v39, v38, 0x7fff
                                        ; implicit-def: $vgpr39
; %bb.123:
	s_and_not1_saveexec_b32 s10, s3
; %bb.124:
	v_and_b32_e32 v38, 0xffff, v39
	v_or_b32_e32 v50, 0x10000, v39
	s_delay_alu instid0(VALU_DEP_2) | instskip(NEXT) | instid1(VALU_DEP_1)
	v_cmp_eq_u32_e64 s3, 0, v38
	v_cndmask_b32_e64 v38, v50, v39, s3
; %bb.125:
	s_or_b32 exec_lo, exec_lo, s10
	v_lshlrev_b32_e32 v39, 16, v48
	s_delay_alu instid0(VALU_DEP_1) | instskip(NEXT) | instid1(VALU_DEP_1)
	v_add_f32_e32 v50, 0, v39
	v_and_b32_e32 v39, 0x7f800000, v50
	s_delay_alu instid0(VALU_DEP_1) | instskip(NEXT) | instid1(VALU_DEP_1)
	v_cmp_ne_u32_e64 s3, 0x7f800000, v39
                                        ; implicit-def: $vgpr39
	s_and_saveexec_b32 s10, s3
	s_delay_alu instid0(SALU_CYCLE_1)
	s_xor_b32 s3, exec_lo, s10
; %bb.126:
	v_bfe_u32 v39, v50, 16, 1
	s_delay_alu instid0(VALU_DEP_1)
	v_add3_u32 v39, v50, v39, 0x7fff
                                        ; implicit-def: $vgpr50
; %bb.127:
	s_and_not1_saveexec_b32 s10, s3
; %bb.128:
	v_and_b32_e32 v39, 0xffff, v50
	v_or_b32_e32 v51, 0x10000, v50
	s_delay_alu instid0(VALU_DEP_2) | instskip(NEXT) | instid1(VALU_DEP_1)
	v_cmp_eq_u32_e64 s3, 0, v39
	v_cndmask_b32_e64 v39, v51, v50, s3
; %bb.129:
	s_or_b32 exec_lo, exec_lo, s10
	v_cmp_lt_i32_e64 s3, -1, v38
	s_delay_alu instid0(VALU_DEP_2) | instskip(NEXT) | instid1(VALU_DEP_2)
	v_perm_b32 v38, v39, v38, 0x7060302
	v_cndmask_b32_e64 v50, -1, 0xffff8000, s3
	v_cmp_lt_i32_e64 s3, -1, v39
	s_delay_alu instid0(VALU_DEP_1) | instskip(NEXT) | instid1(VALU_DEP_1)
	v_cndmask_b32_e64 v51, -1, 0xffff8000, s3
	v_perm_b32 v39, v51, v50, 0x5040100
	s_delay_alu instid0(VALU_DEP_1) | instskip(NEXT) | instid1(VALU_DEP_1)
	v_xor_b32_e32 v38, v39, v38
	v_lshrrev_b32_e32 v39, 16, v38
	s_delay_alu instid0(VALU_DEP_1) | instskip(NEXT) | instid1(VALU_DEP_1)
	v_cmp_le_u16_e64 s3, v38, v39
	s_and_b32 s10, s3, exec_lo
.LBB2076_130:
	s_or_b32 exec_lo, exec_lo, s9
	s_delay_alu instid0(SALU_CYCLE_1)
	s_or_not1_b32 s9, s10, exec_lo
.LBB2076_131:
	s_or_b32 exec_lo, exec_lo, s8
	v_cndmask_b32_e64 v18, v18, v37, s9
	v_cndmask_b32_e64 v35, v29, v35, s7
	;; [unrolled: 1-line block ×5, first 2 shown]
	v_lshlrev_b64 v[18:19], 3, v[18:19]
	s_delay_alu instid0(VALU_DEP_1) | instskip(NEXT) | instid1(VALU_DEP_1)
	v_add_co_u32 v18, s3, v4, v18
	v_add_co_ci_u32_e64 v19, s3, v5, v19, s3
	flat_load_b64 v[18:19], v[18:19] offset:2048
.LBB2076_132:
	s_or_b32 exec_lo, exec_lo, s5
	v_and_b32_e32 v28, 0x70, v34
	v_and_b32_e32 v27, 12, v34
	s_mov_b32 s4, exec_lo
	; wave barrier
	s_delay_alu instid0(VALU_DEP_2) | instskip(NEXT) | instid1(VALU_DEP_2)
	v_or_b32_e32 v26, 8, v28
	v_min_u32_e32 v48, v31, v27
	s_delay_alu instid0(VALU_DEP_2) | instskip(NEXT) | instid1(VALU_DEP_1)
	v_min_u32_e32 v38, v31, v26
	v_add_nc_u32_e32 v26, 8, v38
	s_delay_alu instid0(VALU_DEP_1) | instskip(SKIP_1) | instid1(VALU_DEP_2)
	v_min_u32_e32 v39, v31, v26
	v_sub_nc_u32_e32 v26, v38, v28
	v_sub_nc_u32_e32 v27, v39, v38
	s_delay_alu instid0(VALU_DEP_2) | instskip(SKIP_1) | instid1(VALU_DEP_3)
	v_min_u32_e32 v50, v48, v26
	v_perm_b32 v26, v29, v37, 0x5040100
	v_sub_nc_u32_e64 v49, v48, v27 clamp
	v_perm_b32 v27, v36, v35, 0x5040100
	s_clause 0x1
	flat_store_b128 v[22:23], v[12:15] offset:2048
	flat_store_b64 v[10:11], v[26:27]
	s_waitcnt vmcnt(0) lgkmcnt(2)
	flat_store_b128 v[24:25], v[16:19] offset:16
	; wave barrier
	v_cmpx_lt_u32_e64 v49, v50
	s_cbranch_execz .LBB2076_144
; %bb.133:
	v_lshlrev_b32_e32 v26, 1, v28
	v_lshlrev_b32_e32 v27, 1, v38
	s_mov_b32 s5, 0
	s_delay_alu instid0(VALU_DEP_2) | instskip(NEXT) | instid1(VALU_DEP_1)
	v_add_co_u32 v51, s3, v8, v26
	v_add_co_ci_u32_e64 v52, s3, 0, v9, s3
	s_delay_alu instid0(VALU_DEP_3)
	v_add_co_u32 v53, s3, v8, v27
	v_mov_b32_e32 v27, 0
	v_add_co_ci_u32_e64 v54, s3, 0, v9, s3
	s_branch .LBB2076_135
.LBB2076_134:                           ;   in Loop: Header=BB2076_135 Depth=1
	s_or_b32 exec_lo, exec_lo, s6
	v_cmp_lt_i32_e64 s3, -1, v26
	v_lshrrev_b32_e32 v65, 16, v26
	v_lshrrev_b32_e32 v66, 16, v64
	s_delay_alu instid0(VALU_DEP_3) | instskip(SKIP_1) | instid1(VALU_DEP_2)
	v_cndmask_b32_e64 v26, -1, 0xffff8000, s3
	v_cmp_lt_i32_e64 s3, -1, v64
	v_xor_b32_e32 v26, v26, v65
	s_delay_alu instid0(VALU_DEP_2) | instskip(SKIP_1) | instid1(VALU_DEP_2)
	v_cndmask_b32_e64 v64, -1, 0xffff8000, s3
	v_add_nc_u32_e32 v65, 1, v55
	v_xor_b32_e32 v64, v64, v66
	s_delay_alu instid0(VALU_DEP_1) | instskip(NEXT) | instid1(VALU_DEP_1)
	v_cmp_gt_u16_e64 s3, v26, v64
	v_cndmask_b32_e64 v50, v50, v55, s3
	s_delay_alu instid0(VALU_DEP_4) | instskip(NEXT) | instid1(VALU_DEP_1)
	v_cndmask_b32_e64 v49, v65, v49, s3
	v_cmp_ge_u32_e64 s3, v49, v50
	s_delay_alu instid0(VALU_DEP_1) | instskip(NEXT) | instid1(SALU_CYCLE_1)
	s_or_b32 s5, s3, s5
	s_and_not1_b32 exec_lo, exec_lo, s5
	s_cbranch_execz .LBB2076_143
.LBB2076_135:                           ; =>This Inner Loop Header: Depth=1
	v_add_nc_u32_e32 v26, v50, v49
	s_delay_alu instid0(VALU_DEP_1) | instskip(NEXT) | instid1(VALU_DEP_1)
	v_and_b32_e32 v55, -2, v26
	v_add_co_u32 v64, s3, v51, v55
	s_delay_alu instid0(VALU_DEP_1) | instskip(SKIP_3) | instid1(VALU_DEP_1)
	v_add_co_ci_u32_e64 v65, s3, 0, v52, s3
	v_lshrrev_b32_e32 v55, 1, v26
	flat_load_u16 v66, v[64:65]
	v_xad_u32 v26, v55, -1, v48
	v_lshlrev_b64 v[64:65], 1, v[26:27]
	s_delay_alu instid0(VALU_DEP_1) | instskip(NEXT) | instid1(VALU_DEP_1)
	v_add_co_u32 v64, s3, v53, v64
	v_add_co_ci_u32_e64 v65, s3, v54, v65, s3
	flat_load_u16 v64, v[64:65]
	s_waitcnt vmcnt(1) lgkmcnt(1)
	v_lshlrev_b32_e32 v26, 16, v66
	s_delay_alu instid0(VALU_DEP_1) | instskip(NEXT) | instid1(VALU_DEP_1)
	v_add_f32_e32 v65, 0, v26
	v_and_b32_e32 v26, 0x7f800000, v65
	s_delay_alu instid0(VALU_DEP_1) | instskip(NEXT) | instid1(VALU_DEP_1)
	v_cmp_ne_u32_e64 s3, 0x7f800000, v26
                                        ; implicit-def: $vgpr26
	s_and_saveexec_b32 s6, s3
	s_delay_alu instid0(SALU_CYCLE_1)
	s_xor_b32 s3, exec_lo, s6
; %bb.136:                              ;   in Loop: Header=BB2076_135 Depth=1
	v_bfe_u32 v26, v65, 16, 1
	s_delay_alu instid0(VALU_DEP_1)
	v_add3_u32 v26, v65, v26, 0x7fff
                                        ; implicit-def: $vgpr65
; %bb.137:                              ;   in Loop: Header=BB2076_135 Depth=1
	s_and_not1_saveexec_b32 s6, s3
; %bb.138:                              ;   in Loop: Header=BB2076_135 Depth=1
	v_and_b32_e32 v26, 0xffff, v65
	v_or_b32_e32 v66, 0x10000, v65
	s_delay_alu instid0(VALU_DEP_2) | instskip(NEXT) | instid1(VALU_DEP_1)
	v_cmp_eq_u32_e64 s3, 0, v26
	v_cndmask_b32_e64 v26, v66, v65, s3
; %bb.139:                              ;   in Loop: Header=BB2076_135 Depth=1
	s_or_b32 exec_lo, exec_lo, s6
	s_waitcnt vmcnt(0) lgkmcnt(0)
	v_lshlrev_b32_e32 v64, 16, v64
	s_delay_alu instid0(VALU_DEP_1) | instskip(NEXT) | instid1(VALU_DEP_1)
	v_add_f32_e32 v65, 0, v64
	v_and_b32_e32 v64, 0x7f800000, v65
	s_delay_alu instid0(VALU_DEP_1) | instskip(NEXT) | instid1(VALU_DEP_1)
	v_cmp_ne_u32_e64 s3, 0x7f800000, v64
                                        ; implicit-def: $vgpr64
	s_and_saveexec_b32 s6, s3
	s_delay_alu instid0(SALU_CYCLE_1)
	s_xor_b32 s3, exec_lo, s6
; %bb.140:                              ;   in Loop: Header=BB2076_135 Depth=1
	v_bfe_u32 v64, v65, 16, 1
	s_delay_alu instid0(VALU_DEP_1)
	v_add3_u32 v64, v65, v64, 0x7fff
                                        ; implicit-def: $vgpr65
; %bb.141:                              ;   in Loop: Header=BB2076_135 Depth=1
	s_and_not1_saveexec_b32 s6, s3
	s_cbranch_execz .LBB2076_134
; %bb.142:                              ;   in Loop: Header=BB2076_135 Depth=1
	v_and_b32_e32 v64, 0xffff, v65
	v_or_b32_e32 v66, 0x10000, v65
	s_delay_alu instid0(VALU_DEP_2) | instskip(NEXT) | instid1(VALU_DEP_1)
	v_cmp_eq_u32_e64 s3, 0, v64
	v_cndmask_b32_e64 v64, v66, v65, s3
	s_branch .LBB2076_134
.LBB2076_143:
	s_or_b32 exec_lo, exec_lo, s5
.LBB2076_144:
	s_delay_alu instid0(SALU_CYCLE_1) | instskip(SKIP_2) | instid1(VALU_DEP_2)
	s_or_b32 exec_lo, exec_lo, s4
	v_add_nc_u32_e32 v27, v38, v48
	v_add_nc_u32_e32 v26, v49, v28
	v_sub_nc_u32_e32 v28, v27, v49
	s_delay_alu instid0(VALU_DEP_2) | instskip(NEXT) | instid1(VALU_DEP_2)
	v_cmp_le_u32_e64 s3, v26, v38
	v_cmp_le_u32_e64 s4, v28, v39
	s_delay_alu instid0(VALU_DEP_1) | instskip(NEXT) | instid1(SALU_CYCLE_1)
	s_or_b32 s3, s3, s4
	s_and_saveexec_b32 s5, s3
	s_cbranch_execz .LBB2076_196
; %bb.145:
	v_cmp_ge_u32_e64 s3, v26, v38
	s_mov_b32 s6, exec_lo
                                        ; implicit-def: $vgpr27
	v_cmpx_lt_u32_e64 v26, v38
	s_cbranch_execz .LBB2076_147
; %bb.146:
	v_mov_b32_e32 v27, 0
	s_delay_alu instid0(VALU_DEP_1) | instskip(NEXT) | instid1(VALU_DEP_1)
	v_lshlrev_b64 v[12:13], 1, v[26:27]
	v_add_co_u32 v12, s4, v8, v12
	s_delay_alu instid0(VALU_DEP_1)
	v_add_co_ci_u32_e64 v13, s4, v9, v13, s4
	flat_load_u16 v27, v[12:13]
.LBB2076_147:
	s_or_b32 exec_lo, exec_lo, s6
	v_cmp_ge_u32_e64 s6, v28, v39
	s_mov_b32 s7, exec_lo
                                        ; implicit-def: $vgpr36
	v_cmpx_lt_u32_e64 v28, v39
	s_cbranch_execz .LBB2076_149
; %bb.148:
	v_mov_b32_e32 v29, 0
	s_delay_alu instid0(VALU_DEP_1) | instskip(NEXT) | instid1(VALU_DEP_1)
	v_lshlrev_b64 v[12:13], 1, v[28:29]
	v_add_co_u32 v12, s4, v8, v12
	s_delay_alu instid0(VALU_DEP_1)
	v_add_co_ci_u32_e64 v13, s4, v9, v13, s4
	flat_load_u16 v36, v[12:13]
.LBB2076_149:
	s_or_b32 exec_lo, exec_lo, s7
	s_or_b32 s3, s3, s6
	s_delay_alu instid0(SALU_CYCLE_1) | instskip(NEXT) | instid1(SALU_CYCLE_1)
	s_xor_b32 s3, s3, -1
	s_and_saveexec_b32 s4, s3
	s_cbranch_execz .LBB2076_159
; %bb.150:
	s_waitcnt vmcnt(0) lgkmcnt(0)
	v_lshlrev_b32_e32 v12, 16, v27
	s_delay_alu instid0(VALU_DEP_1) | instskip(NEXT) | instid1(VALU_DEP_1)
	v_add_f32_e32 v13, 0, v12
	v_and_b32_e32 v12, 0x7f800000, v13
	s_delay_alu instid0(VALU_DEP_1) | instskip(NEXT) | instid1(VALU_DEP_1)
	v_cmp_ne_u32_e64 s3, 0x7f800000, v12
                                        ; implicit-def: $vgpr12
	s_and_saveexec_b32 s7, s3
	s_delay_alu instid0(SALU_CYCLE_1)
	s_xor_b32 s3, exec_lo, s7
; %bb.151:
	v_bfe_u32 v12, v13, 16, 1
	s_delay_alu instid0(VALU_DEP_1)
	v_add3_u32 v12, v13, v12, 0x7fff
                                        ; implicit-def: $vgpr13
; %bb.152:
	s_and_not1_saveexec_b32 s7, s3
; %bb.153:
	v_and_b32_e32 v12, 0xffff, v13
	v_or_b32_e32 v14, 0x10000, v13
	s_delay_alu instid0(VALU_DEP_2) | instskip(NEXT) | instid1(VALU_DEP_1)
	v_cmp_eq_u32_e64 s3, 0, v12
	v_cndmask_b32_e64 v12, v14, v13, s3
; %bb.154:
	s_or_b32 exec_lo, exec_lo, s7
	v_lshlrev_b32_e32 v13, 16, v36
	s_delay_alu instid0(VALU_DEP_1) | instskip(NEXT) | instid1(VALU_DEP_1)
	v_add_f32_e32 v14, 0, v13
	v_and_b32_e32 v13, 0x7f800000, v14
	s_delay_alu instid0(VALU_DEP_1) | instskip(NEXT) | instid1(VALU_DEP_1)
	v_cmp_ne_u32_e64 s3, 0x7f800000, v13
                                        ; implicit-def: $vgpr13
	s_and_saveexec_b32 s7, s3
	s_delay_alu instid0(SALU_CYCLE_1)
	s_xor_b32 s3, exec_lo, s7
; %bb.155:
	v_bfe_u32 v13, v14, 16, 1
	s_delay_alu instid0(VALU_DEP_1)
	v_add3_u32 v13, v14, v13, 0x7fff
                                        ; implicit-def: $vgpr14
; %bb.156:
	s_and_not1_saveexec_b32 s7, s3
; %bb.157:
	v_and_b32_e32 v13, 0xffff, v14
	v_or_b32_e32 v15, 0x10000, v14
	s_delay_alu instid0(VALU_DEP_2) | instskip(NEXT) | instid1(VALU_DEP_1)
	v_cmp_eq_u32_e64 s3, 0, v13
	v_cndmask_b32_e64 v13, v15, v14, s3
; %bb.158:
	s_or_b32 exec_lo, exec_lo, s7
	v_cmp_lt_i32_e64 s3, -1, v12
	s_delay_alu instid0(VALU_DEP_2) | instskip(SKIP_1) | instid1(VALU_DEP_2)
	v_perm_b32 v12, v13, v12, 0x7060302
	s_and_not1_b32 s6, s6, exec_lo
	v_cndmask_b32_e64 v14, -1, 0xffff8000, s3
	v_cmp_lt_i32_e64 s3, -1, v13
	s_delay_alu instid0(VALU_DEP_1) | instskip(NEXT) | instid1(VALU_DEP_1)
	v_cndmask_b32_e64 v15, -1, 0xffff8000, s3
	v_perm_b32 v13, v15, v14, 0x5040100
	s_delay_alu instid0(VALU_DEP_1) | instskip(NEXT) | instid1(VALU_DEP_1)
	v_xor_b32_e32 v12, v13, v12
	v_lshrrev_b32_e32 v13, 16, v12
	s_delay_alu instid0(VALU_DEP_1) | instskip(NEXT) | instid1(VALU_DEP_1)
	v_cmp_le_u16_e64 s3, v12, v13
	s_and_b32 s3, s3, exec_lo
	s_delay_alu instid0(SALU_CYCLE_1)
	s_or_b32 s6, s6, s3
.LBB2076_159:
	s_or_b32 exec_lo, exec_lo, s4
	v_cndmask_b32_e64 v14, v28, v26, s6
	v_cndmask_b32_e64 v12, v39, v38, s6
	v_mov_b32_e32 v15, 0
	s_mov_b32 s9, 0
	s_mov_b32 s7, -1
	v_add_nc_u32_e32 v18, 1, v14
	v_add_nc_u32_e32 v16, -1, v12
	v_lshlrev_b64 v[12:13], 3, v[14:15]
	s_mov_b32 s4, -1
	s_mov_b32 s8, exec_lo
	s_delay_alu instid0(VALU_DEP_2) | instskip(NEXT) | instid1(VALU_DEP_1)
	v_min_u32_e32 v14, v18, v16
	v_lshlrev_b64 v[16:17], 1, v[14:15]
	s_delay_alu instid0(VALU_DEP_1) | instskip(NEXT) | instid1(VALU_DEP_1)
	v_add_co_u32 v16, s3, v8, v16
	v_add_co_ci_u32_e64 v17, s3, v9, v17, s3
	v_add_co_u32 v12, s3, v4, v12
	s_delay_alu instid0(VALU_DEP_1)
	v_add_co_ci_u32_e64 v13, s3, v5, v13, s3
	s_clause 0x1
	flat_load_u16 v14, v[16:17]
	flat_load_b64 v[12:13], v[12:13] offset:2048
	v_cndmask_b32_e64 v16, v18, v28, s6
	v_cndmask_b32_e64 v17, v26, v18, s6
	s_waitcnt vmcnt(1) lgkmcnt(1)
	v_cndmask_b32_e64 v26, v14, v36, s6
	v_cndmask_b32_e64 v28, v27, v14, s6
	v_cmpx_lt_u32_e64 v16, v39
	s_cbranch_execz .LBB2076_171
; %bb.160:
	s_mov_b32 s4, exec_lo
	v_cmpx_lt_u32_e64 v17, v38
	s_cbranch_execz .LBB2076_170
; %bb.161:
	v_lshlrev_b32_e32 v14, 16, v28
	s_delay_alu instid0(VALU_DEP_1) | instskip(NEXT) | instid1(VALU_DEP_1)
	v_add_f32_e32 v18, 0, v14
	v_and_b32_e32 v14, 0x7f800000, v18
	s_delay_alu instid0(VALU_DEP_1) | instskip(NEXT) | instid1(VALU_DEP_1)
	v_cmp_ne_u32_e64 s3, 0x7f800000, v14
                                        ; implicit-def: $vgpr14
	s_and_saveexec_b32 s9, s3
	s_delay_alu instid0(SALU_CYCLE_1)
	s_xor_b32 s3, exec_lo, s9
; %bb.162:
	v_bfe_u32 v14, v18, 16, 1
	s_delay_alu instid0(VALU_DEP_1)
	v_add3_u32 v14, v18, v14, 0x7fff
                                        ; implicit-def: $vgpr18
; %bb.163:
	s_and_not1_saveexec_b32 s9, s3
; %bb.164:
	v_and_b32_e32 v14, 0xffff, v18
	v_or_b32_e32 v19, 0x10000, v18
	s_delay_alu instid0(VALU_DEP_2) | instskip(NEXT) | instid1(VALU_DEP_1)
	v_cmp_eq_u32_e64 s3, 0, v14
	v_cndmask_b32_e64 v14, v19, v18, s3
; %bb.165:
	s_or_b32 exec_lo, exec_lo, s9
	v_lshlrev_b32_e32 v18, 16, v26
	s_delay_alu instid0(VALU_DEP_1) | instskip(NEXT) | instid1(VALU_DEP_1)
	v_add_f32_e32 v19, 0, v18
	v_and_b32_e32 v18, 0x7f800000, v19
	s_delay_alu instid0(VALU_DEP_1) | instskip(NEXT) | instid1(VALU_DEP_1)
	v_cmp_ne_u32_e64 s3, 0x7f800000, v18
                                        ; implicit-def: $vgpr18
	s_and_saveexec_b32 s9, s3
	s_delay_alu instid0(SALU_CYCLE_1)
	s_xor_b32 s3, exec_lo, s9
; %bb.166:
	v_bfe_u32 v18, v19, 16, 1
	s_delay_alu instid0(VALU_DEP_1)
	v_add3_u32 v18, v19, v18, 0x7fff
                                        ; implicit-def: $vgpr19
; %bb.167:
	s_and_not1_saveexec_b32 s9, s3
; %bb.168:
	v_and_b32_e32 v18, 0xffff, v19
	v_or_b32_e32 v29, 0x10000, v19
	s_delay_alu instid0(VALU_DEP_2) | instskip(NEXT) | instid1(VALU_DEP_1)
	v_cmp_eq_u32_e64 s3, 0, v18
	v_cndmask_b32_e64 v18, v29, v19, s3
; %bb.169:
	s_or_b32 exec_lo, exec_lo, s9
	v_cmp_lt_i32_e64 s3, -1, v14
	s_delay_alu instid0(VALU_DEP_2) | instskip(NEXT) | instid1(VALU_DEP_2)
	v_perm_b32 v14, v18, v14, 0x7060302
	v_cndmask_b32_e64 v19, -1, 0xffff8000, s3
	v_cmp_lt_i32_e64 s3, -1, v18
	s_delay_alu instid0(VALU_DEP_1) | instskip(NEXT) | instid1(VALU_DEP_1)
	v_cndmask_b32_e64 v29, -1, 0xffff8000, s3
	v_perm_b32 v18, v29, v19, 0x5040100
	s_delay_alu instid0(VALU_DEP_1) | instskip(NEXT) | instid1(VALU_DEP_1)
	v_xor_b32_e32 v14, v18, v14
	v_lshrrev_b32_e32 v18, 16, v14
	s_delay_alu instid0(VALU_DEP_1) | instskip(NEXT) | instid1(VALU_DEP_1)
	v_cmp_le_u16_e64 s3, v14, v18
	s_and_b32 s9, s3, exec_lo
.LBB2076_170:
	s_or_b32 exec_lo, exec_lo, s4
	s_delay_alu instid0(SALU_CYCLE_1)
	s_or_not1_b32 s4, s9, exec_lo
.LBB2076_171:
	s_or_b32 exec_lo, exec_lo, s8
	v_cndmask_b32_e64 v14, v16, v17, s4
	v_cndmask_b32_e64 v18, v39, v38, s4
	s_mov_b32 s9, 0
	s_mov_b32 s8, exec_lo
	s_delay_alu instid0(VALU_DEP_2) | instskip(NEXT) | instid1(VALU_DEP_2)
	v_add_nc_u32_e32 v29, 1, v14
	v_add_nc_u32_e32 v35, -1, v18
	v_lshlrev_b64 v[18:19], 3, v[14:15]
	s_delay_alu instid0(VALU_DEP_3) | instskip(NEXT) | instid1(VALU_DEP_3)
	v_cndmask_b32_e64 v37, v29, v16, s4
	v_min_u32_e32 v14, v29, v35
	v_cndmask_b32_e64 v48, v17, v29, s4
	s_delay_alu instid0(VALU_DEP_2) | instskip(NEXT) | instid1(VALU_DEP_1)
	v_lshlrev_b64 v[14:15], 1, v[14:15]
	v_add_co_u32 v14, s3, v8, v14
	s_delay_alu instid0(VALU_DEP_1) | instskip(SKIP_2) | instid1(VALU_DEP_1)
	v_add_co_ci_u32_e64 v15, s3, v9, v15, s3
	flat_load_u16 v35, v[14:15]
	v_add_co_u32 v14, s3, v4, v18
	v_add_co_ci_u32_e64 v15, s3, v5, v19, s3
	flat_load_b64 v[14:15], v[14:15] offset:2048
	s_waitcnt vmcnt(1) lgkmcnt(1)
	v_cndmask_b32_e64 v29, v35, v26, s4
	v_cndmask_b32_e64 v35, v28, v35, s4
	v_cmpx_lt_u32_e64 v37, v39
	s_cbranch_execz .LBB2076_183
; %bb.172:
	s_mov_b32 s7, exec_lo
	v_cmpx_lt_u32_e64 v48, v38
	s_cbranch_execz .LBB2076_182
; %bb.173:
	v_lshlrev_b32_e32 v16, 16, v35
	s_delay_alu instid0(VALU_DEP_1) | instskip(NEXT) | instid1(VALU_DEP_1)
	v_add_f32_e32 v17, 0, v16
	v_and_b32_e32 v16, 0x7f800000, v17
	s_delay_alu instid0(VALU_DEP_1) | instskip(NEXT) | instid1(VALU_DEP_1)
	v_cmp_ne_u32_e64 s3, 0x7f800000, v16
                                        ; implicit-def: $vgpr16
	s_and_saveexec_b32 s9, s3
	s_delay_alu instid0(SALU_CYCLE_1)
	s_xor_b32 s3, exec_lo, s9
; %bb.174:
	v_bfe_u32 v16, v17, 16, 1
	s_delay_alu instid0(VALU_DEP_1)
	v_add3_u32 v16, v17, v16, 0x7fff
                                        ; implicit-def: $vgpr17
; %bb.175:
	s_and_not1_saveexec_b32 s9, s3
; %bb.176:
	v_and_b32_e32 v16, 0xffff, v17
	v_or_b32_e32 v18, 0x10000, v17
	s_delay_alu instid0(VALU_DEP_2) | instskip(NEXT) | instid1(VALU_DEP_1)
	v_cmp_eq_u32_e64 s3, 0, v16
	v_cndmask_b32_e64 v16, v18, v17, s3
; %bb.177:
	s_or_b32 exec_lo, exec_lo, s9
	v_lshlrev_b32_e32 v17, 16, v29
	s_delay_alu instid0(VALU_DEP_1) | instskip(NEXT) | instid1(VALU_DEP_1)
	v_add_f32_e32 v18, 0, v17
	v_and_b32_e32 v17, 0x7f800000, v18
	s_delay_alu instid0(VALU_DEP_1) | instskip(NEXT) | instid1(VALU_DEP_1)
	v_cmp_ne_u32_e64 s3, 0x7f800000, v17
                                        ; implicit-def: $vgpr17
	s_and_saveexec_b32 s9, s3
	s_delay_alu instid0(SALU_CYCLE_1)
	s_xor_b32 s3, exec_lo, s9
; %bb.178:
	v_bfe_u32 v17, v18, 16, 1
	s_delay_alu instid0(VALU_DEP_1)
	v_add3_u32 v17, v18, v17, 0x7fff
                                        ; implicit-def: $vgpr18
; %bb.179:
	s_and_not1_saveexec_b32 s9, s3
; %bb.180:
	v_and_b32_e32 v17, 0xffff, v18
	v_or_b32_e32 v19, 0x10000, v18
	s_delay_alu instid0(VALU_DEP_2) | instskip(NEXT) | instid1(VALU_DEP_1)
	v_cmp_eq_u32_e64 s3, 0, v17
	v_cndmask_b32_e64 v17, v19, v18, s3
; %bb.181:
	s_or_b32 exec_lo, exec_lo, s9
	v_cmp_lt_i32_e64 s3, -1, v16
	s_delay_alu instid0(VALU_DEP_2) | instskip(NEXT) | instid1(VALU_DEP_2)
	v_perm_b32 v16, v17, v16, 0x7060302
	v_cndmask_b32_e64 v18, -1, 0xffff8000, s3
	v_cmp_lt_i32_e64 s3, -1, v17
	s_delay_alu instid0(VALU_DEP_1) | instskip(NEXT) | instid1(VALU_DEP_1)
	v_cndmask_b32_e64 v19, -1, 0xffff8000, s3
	v_perm_b32 v17, v19, v18, 0x5040100
	s_delay_alu instid0(VALU_DEP_1) | instskip(NEXT) | instid1(VALU_DEP_1)
	v_xor_b32_e32 v16, v17, v16
	v_lshrrev_b32_e32 v17, 16, v16
	s_delay_alu instid0(VALU_DEP_1) | instskip(NEXT) | instid1(VALU_DEP_1)
	v_cmp_le_u16_e64 s3, v16, v17
	s_and_b32 s9, s3, exec_lo
.LBB2076_182:
	s_or_b32 exec_lo, exec_lo, s7
	s_delay_alu instid0(SALU_CYCLE_1)
	s_or_not1_b32 s7, s9, exec_lo
.LBB2076_183:
	s_or_b32 exec_lo, exec_lo, s8
	v_cndmask_b32_e64 v18, v37, v48, s7
	v_cndmask_b32_e64 v16, v39, v38, s7
	v_mov_b32_e32 v19, 0
	s_mov_b32 s10, 0
	s_mov_b32 s9, -1
	v_add_nc_u32_e32 v51, 1, v18
	v_add_nc_u32_e32 v49, -1, v16
	v_lshlrev_b64 v[16:17], 3, v[18:19]
	s_mov_b32 s8, exec_lo
	s_delay_alu instid0(VALU_DEP_2) | instskip(NEXT) | instid1(VALU_DEP_1)
	v_min_u32_e32 v18, v51, v49
	v_lshlrev_b64 v[49:50], 1, v[18:19]
	v_cndmask_b32_e64 v18, v51, v37, s7
	v_cndmask_b32_e64 v37, v48, v51, s7
	s_delay_alu instid0(VALU_DEP_3) | instskip(NEXT) | instid1(VALU_DEP_1)
	v_add_co_u32 v49, s3, v8, v49
	v_add_co_ci_u32_e64 v50, s3, v9, v50, s3
	v_add_co_u32 v16, s3, v4, v16
	s_delay_alu instid0(VALU_DEP_1)
	v_add_co_ci_u32_e64 v17, s3, v5, v17, s3
	s_clause 0x1
	flat_load_u16 v49, v[49:50]
	flat_load_b64 v[16:17], v[16:17] offset:2048
	s_waitcnt vmcnt(1) lgkmcnt(1)
	v_cndmask_b32_e64 v48, v49, v29, s7
	v_cndmask_b32_e64 v49, v35, v49, s7
	v_cmpx_lt_u32_e64 v18, v39
	s_cbranch_execz .LBB2076_195
; %bb.184:
	s_mov_b32 s9, exec_lo
	v_cmpx_lt_u32_e64 v37, v38
	s_cbranch_execz .LBB2076_194
; %bb.185:
	v_lshlrev_b32_e32 v38, 16, v49
	s_delay_alu instid0(VALU_DEP_1) | instskip(NEXT) | instid1(VALU_DEP_1)
	v_add_f32_e32 v39, 0, v38
	v_and_b32_e32 v38, 0x7f800000, v39
	s_delay_alu instid0(VALU_DEP_1) | instskip(NEXT) | instid1(VALU_DEP_1)
	v_cmp_ne_u32_e64 s3, 0x7f800000, v38
                                        ; implicit-def: $vgpr38
	s_and_saveexec_b32 s10, s3
	s_delay_alu instid0(SALU_CYCLE_1)
	s_xor_b32 s3, exec_lo, s10
; %bb.186:
	v_bfe_u32 v38, v39, 16, 1
	s_delay_alu instid0(VALU_DEP_1)
	v_add3_u32 v38, v39, v38, 0x7fff
                                        ; implicit-def: $vgpr39
; %bb.187:
	s_and_not1_saveexec_b32 s10, s3
; %bb.188:
	v_and_b32_e32 v38, 0xffff, v39
	v_or_b32_e32 v50, 0x10000, v39
	s_delay_alu instid0(VALU_DEP_2) | instskip(NEXT) | instid1(VALU_DEP_1)
	v_cmp_eq_u32_e64 s3, 0, v38
	v_cndmask_b32_e64 v38, v50, v39, s3
; %bb.189:
	s_or_b32 exec_lo, exec_lo, s10
	v_lshlrev_b32_e32 v39, 16, v48
	s_delay_alu instid0(VALU_DEP_1) | instskip(NEXT) | instid1(VALU_DEP_1)
	v_add_f32_e32 v50, 0, v39
	v_and_b32_e32 v39, 0x7f800000, v50
	s_delay_alu instid0(VALU_DEP_1) | instskip(NEXT) | instid1(VALU_DEP_1)
	v_cmp_ne_u32_e64 s3, 0x7f800000, v39
                                        ; implicit-def: $vgpr39
	s_and_saveexec_b32 s10, s3
	s_delay_alu instid0(SALU_CYCLE_1)
	s_xor_b32 s3, exec_lo, s10
; %bb.190:
	v_bfe_u32 v39, v50, 16, 1
	s_delay_alu instid0(VALU_DEP_1)
	v_add3_u32 v39, v50, v39, 0x7fff
                                        ; implicit-def: $vgpr50
; %bb.191:
	s_and_not1_saveexec_b32 s10, s3
; %bb.192:
	v_and_b32_e32 v39, 0xffff, v50
	v_or_b32_e32 v51, 0x10000, v50
	s_delay_alu instid0(VALU_DEP_2) | instskip(NEXT) | instid1(VALU_DEP_1)
	v_cmp_eq_u32_e64 s3, 0, v39
	v_cndmask_b32_e64 v39, v51, v50, s3
; %bb.193:
	s_or_b32 exec_lo, exec_lo, s10
	v_cmp_lt_i32_e64 s3, -1, v38
	s_delay_alu instid0(VALU_DEP_2) | instskip(NEXT) | instid1(VALU_DEP_2)
	v_perm_b32 v38, v39, v38, 0x7060302
	v_cndmask_b32_e64 v50, -1, 0xffff8000, s3
	v_cmp_lt_i32_e64 s3, -1, v39
	s_delay_alu instid0(VALU_DEP_1) | instskip(NEXT) | instid1(VALU_DEP_1)
	v_cndmask_b32_e64 v51, -1, 0xffff8000, s3
	v_perm_b32 v39, v51, v50, 0x5040100
	s_delay_alu instid0(VALU_DEP_1) | instskip(NEXT) | instid1(VALU_DEP_1)
	v_xor_b32_e32 v38, v39, v38
	v_lshrrev_b32_e32 v39, 16, v38
	s_delay_alu instid0(VALU_DEP_1) | instskip(NEXT) | instid1(VALU_DEP_1)
	v_cmp_le_u16_e64 s3, v38, v39
	s_and_b32 s10, s3, exec_lo
.LBB2076_194:
	s_or_b32 exec_lo, exec_lo, s9
	s_delay_alu instid0(SALU_CYCLE_1)
	s_or_not1_b32 s9, s10, exec_lo
.LBB2076_195:
	s_or_b32 exec_lo, exec_lo, s8
	v_cndmask_b32_e64 v18, v18, v37, s9
	v_cndmask_b32_e64 v35, v29, v35, s7
	;; [unrolled: 1-line block ×5, first 2 shown]
	v_lshlrev_b64 v[18:19], 3, v[18:19]
	s_delay_alu instid0(VALU_DEP_1) | instskip(NEXT) | instid1(VALU_DEP_1)
	v_add_co_u32 v18, s3, v4, v18
	v_add_co_ci_u32_e64 v19, s3, v5, v19, s3
	flat_load_b64 v[18:19], v[18:19] offset:2048
.LBB2076_196:
	s_or_b32 exec_lo, exec_lo, s5
	v_and_b32_e32 v28, 0x60, v34
	v_perm_b32 v39, v36, v35, 0x5040100
	s_mov_b32 s4, exec_lo
	; wave barrier
	s_delay_alu instid0(VALU_DEP_2) | instskip(NEXT) | instid1(VALU_DEP_1)
	v_or_b32_e32 v26, 16, v28
	v_min_u32_e32 v26, v31, v26
	s_delay_alu instid0(VALU_DEP_1) | instskip(NEXT) | instid1(VALU_DEP_1)
	v_add_nc_u32_e32 v27, 16, v26
	v_min_u32_e32 v27, v31, v27
	v_min_u32_e32 v31, v31, v33
	v_sub_nc_u32_e32 v33, v26, v28
	s_delay_alu instid0(VALU_DEP_3) | instskip(NEXT) | instid1(VALU_DEP_2)
	v_sub_nc_u32_e32 v38, v27, v26
	v_min_u32_e32 v34, v31, v33
	s_delay_alu instid0(VALU_DEP_2)
	v_sub_nc_u32_e64 v33, v31, v38 clamp
	v_perm_b32 v38, v29, v37, 0x5040100
	s_clause 0x1
	flat_store_b128 v[22:23], v[12:15] offset:2048
	flat_store_b64 v[10:11], v[38:39]
	s_waitcnt vmcnt(0) lgkmcnt(2)
	flat_store_b128 v[24:25], v[16:19] offset:16
	; wave barrier
	v_cmpx_lt_u32_e64 v33, v34
	s_cbranch_execz .LBB2076_208
; %bb.197:
	v_lshlrev_b32_e32 v10, 1, v28
	v_lshlrev_b32_e32 v11, 1, v26
	s_mov_b32 s5, 0
	s_delay_alu instid0(VALU_DEP_2) | instskip(NEXT) | instid1(VALU_DEP_1)
	v_add_co_u32 v22, s3, v8, v10
	v_add_co_ci_u32_e64 v23, s3, 0, v9, s3
	s_delay_alu instid0(VALU_DEP_3)
	v_add_co_u32 v24, s3, v8, v11
	v_mov_b32_e32 v11, 0
	v_add_co_ci_u32_e64 v25, s3, 0, v9, s3
	s_branch .LBB2076_199
.LBB2076_198:                           ;   in Loop: Header=BB2076_199 Depth=1
	s_or_b32 exec_lo, exec_lo, s6
	v_cmp_lt_i32_e64 s3, -1, v10
	v_lshrrev_b32_e32 v48, 16, v10
	v_lshrrev_b32_e32 v49, 16, v39
	s_delay_alu instid0(VALU_DEP_3) | instskip(SKIP_1) | instid1(VALU_DEP_2)
	v_cndmask_b32_e64 v10, -1, 0xffff8000, s3
	v_cmp_lt_i32_e64 s3, -1, v39
	v_xor_b32_e32 v10, v10, v48
	s_delay_alu instid0(VALU_DEP_2) | instskip(SKIP_1) | instid1(VALU_DEP_2)
	v_cndmask_b32_e64 v39, -1, 0xffff8000, s3
	v_add_nc_u32_e32 v48, 1, v38
	v_xor_b32_e32 v39, v39, v49
	s_delay_alu instid0(VALU_DEP_1) | instskip(NEXT) | instid1(VALU_DEP_1)
	v_cmp_gt_u16_e64 s3, v10, v39
	v_cndmask_b32_e64 v34, v34, v38, s3
	s_delay_alu instid0(VALU_DEP_4) | instskip(NEXT) | instid1(VALU_DEP_1)
	v_cndmask_b32_e64 v33, v48, v33, s3
	v_cmp_ge_u32_e64 s3, v33, v34
	s_delay_alu instid0(VALU_DEP_1) | instskip(NEXT) | instid1(SALU_CYCLE_1)
	s_or_b32 s5, s3, s5
	s_and_not1_b32 exec_lo, exec_lo, s5
	s_cbranch_execz .LBB2076_207
.LBB2076_199:                           ; =>This Inner Loop Header: Depth=1
	v_add_nc_u32_e32 v10, v34, v33
	s_delay_alu instid0(VALU_DEP_1) | instskip(NEXT) | instid1(VALU_DEP_1)
	v_and_b32_e32 v38, -2, v10
	v_add_co_u32 v48, s3, v22, v38
	s_delay_alu instid0(VALU_DEP_1) | instskip(SKIP_3) | instid1(VALU_DEP_1)
	v_add_co_ci_u32_e64 v49, s3, 0, v23, s3
	v_lshrrev_b32_e32 v38, 1, v10
	flat_load_u16 v50, v[48:49]
	v_xad_u32 v10, v38, -1, v31
	v_lshlrev_b64 v[48:49], 1, v[10:11]
	s_delay_alu instid0(VALU_DEP_1) | instskip(NEXT) | instid1(VALU_DEP_1)
	v_add_co_u32 v48, s3, v24, v48
	v_add_co_ci_u32_e64 v49, s3, v25, v49, s3
	flat_load_u16 v39, v[48:49]
	s_waitcnt vmcnt(1) lgkmcnt(1)
	v_lshlrev_b32_e32 v10, 16, v50
	s_delay_alu instid0(VALU_DEP_1) | instskip(NEXT) | instid1(VALU_DEP_1)
	v_add_f32_e32 v48, 0, v10
	v_and_b32_e32 v10, 0x7f800000, v48
	s_delay_alu instid0(VALU_DEP_1) | instskip(NEXT) | instid1(VALU_DEP_1)
	v_cmp_ne_u32_e64 s3, 0x7f800000, v10
                                        ; implicit-def: $vgpr10
	s_and_saveexec_b32 s6, s3
	s_delay_alu instid0(SALU_CYCLE_1)
	s_xor_b32 s3, exec_lo, s6
; %bb.200:                              ;   in Loop: Header=BB2076_199 Depth=1
	v_bfe_u32 v10, v48, 16, 1
	s_delay_alu instid0(VALU_DEP_1)
	v_add3_u32 v10, v48, v10, 0x7fff
                                        ; implicit-def: $vgpr48
; %bb.201:                              ;   in Loop: Header=BB2076_199 Depth=1
	s_and_not1_saveexec_b32 s6, s3
; %bb.202:                              ;   in Loop: Header=BB2076_199 Depth=1
	v_and_b32_e32 v10, 0xffff, v48
	v_or_b32_e32 v49, 0x10000, v48
	s_delay_alu instid0(VALU_DEP_2) | instskip(NEXT) | instid1(VALU_DEP_1)
	v_cmp_eq_u32_e64 s3, 0, v10
	v_cndmask_b32_e64 v10, v49, v48, s3
; %bb.203:                              ;   in Loop: Header=BB2076_199 Depth=1
	s_or_b32 exec_lo, exec_lo, s6
	s_waitcnt vmcnt(0) lgkmcnt(0)
	v_lshlrev_b32_e32 v39, 16, v39
	s_delay_alu instid0(VALU_DEP_1) | instskip(NEXT) | instid1(VALU_DEP_1)
	v_add_f32_e32 v48, 0, v39
	v_and_b32_e32 v39, 0x7f800000, v48
	s_delay_alu instid0(VALU_DEP_1) | instskip(NEXT) | instid1(VALU_DEP_1)
	v_cmp_ne_u32_e64 s3, 0x7f800000, v39
                                        ; implicit-def: $vgpr39
	s_and_saveexec_b32 s6, s3
	s_delay_alu instid0(SALU_CYCLE_1)
	s_xor_b32 s3, exec_lo, s6
; %bb.204:                              ;   in Loop: Header=BB2076_199 Depth=1
	v_bfe_u32 v39, v48, 16, 1
	s_delay_alu instid0(VALU_DEP_1)
	v_add3_u32 v39, v48, v39, 0x7fff
                                        ; implicit-def: $vgpr48
; %bb.205:                              ;   in Loop: Header=BB2076_199 Depth=1
	s_and_not1_saveexec_b32 s6, s3
	s_cbranch_execz .LBB2076_198
; %bb.206:                              ;   in Loop: Header=BB2076_199 Depth=1
	v_and_b32_e32 v39, 0xffff, v48
	v_or_b32_e32 v49, 0x10000, v48
	s_delay_alu instid0(VALU_DEP_2) | instskip(NEXT) | instid1(VALU_DEP_1)
	v_cmp_eq_u32_e64 s3, 0, v39
	v_cndmask_b32_e64 v39, v49, v48, s3
	s_branch .LBB2076_198
.LBB2076_207:
	s_or_b32 exec_lo, exec_lo, s5
.LBB2076_208:
	s_delay_alu instid0(SALU_CYCLE_1) | instskip(SKIP_2) | instid1(VALU_DEP_2)
	s_or_b32 exec_lo, exec_lo, s4
	v_add_nc_u32_e32 v11, v26, v31
	v_add_nc_u32_e32 v10, v33, v28
	v_sub_nc_u32_e32 v22, v11, v33
	s_delay_alu instid0(VALU_DEP_2) | instskip(NEXT) | instid1(VALU_DEP_2)
	v_cmp_le_u32_e64 s3, v10, v26
	v_cmp_le_u32_e64 s4, v22, v27
	s_delay_alu instid0(VALU_DEP_1) | instskip(NEXT) | instid1(SALU_CYCLE_1)
	s_or_b32 s3, s3, s4
	s_and_saveexec_b32 s5, s3
	s_cbranch_execz .LBB2076_260
; %bb.209:
	v_cmp_ge_u32_e64 s3, v10, v26
	s_mov_b32 s6, exec_lo
                                        ; implicit-def: $vgpr24
	v_cmpx_lt_u32_e64 v10, v26
	s_cbranch_execz .LBB2076_211
; %bb.210:
	v_mov_b32_e32 v11, 0
	s_delay_alu instid0(VALU_DEP_1) | instskip(NEXT) | instid1(VALU_DEP_1)
	v_lshlrev_b64 v[11:12], 1, v[10:11]
	v_add_co_u32 v11, s4, v8, v11
	s_delay_alu instid0(VALU_DEP_1)
	v_add_co_ci_u32_e64 v12, s4, v9, v12, s4
	flat_load_u16 v24, v[11:12]
.LBB2076_211:
	s_or_b32 exec_lo, exec_lo, s6
	v_cmp_ge_u32_e64 s6, v22, v27
	s_mov_b32 s7, exec_lo
                                        ; implicit-def: $vgpr23
	v_cmpx_lt_u32_e64 v22, v27
	s_cbranch_execz .LBB2076_213
; %bb.212:
	v_mov_b32_e32 v23, 0
	s_delay_alu instid0(VALU_DEP_1) | instskip(NEXT) | instid1(VALU_DEP_1)
	v_lshlrev_b64 v[11:12], 1, v[22:23]
	v_add_co_u32 v11, s4, v8, v11
	s_delay_alu instid0(VALU_DEP_1)
	v_add_co_ci_u32_e64 v12, s4, v9, v12, s4
	flat_load_u16 v23, v[11:12]
.LBB2076_213:
	s_or_b32 exec_lo, exec_lo, s7
	s_or_b32 s3, s3, s6
	s_delay_alu instid0(SALU_CYCLE_1) | instskip(NEXT) | instid1(SALU_CYCLE_1)
	s_xor_b32 s3, s3, -1
	s_and_saveexec_b32 s4, s3
	s_cbranch_execz .LBB2076_223
; %bb.214:
	s_waitcnt vmcnt(0) lgkmcnt(0)
	v_lshlrev_b32_e32 v11, 16, v24
	s_delay_alu instid0(VALU_DEP_1) | instskip(NEXT) | instid1(VALU_DEP_1)
	v_add_f32_e32 v12, 0, v11
	v_and_b32_e32 v11, 0x7f800000, v12
	s_delay_alu instid0(VALU_DEP_1) | instskip(NEXT) | instid1(VALU_DEP_1)
	v_cmp_ne_u32_e64 s3, 0x7f800000, v11
                                        ; implicit-def: $vgpr11
	s_and_saveexec_b32 s7, s3
	s_delay_alu instid0(SALU_CYCLE_1)
	s_xor_b32 s3, exec_lo, s7
; %bb.215:
	v_bfe_u32 v11, v12, 16, 1
	s_delay_alu instid0(VALU_DEP_1)
	v_add3_u32 v11, v12, v11, 0x7fff
                                        ; implicit-def: $vgpr12
; %bb.216:
	s_and_not1_saveexec_b32 s7, s3
; %bb.217:
	v_and_b32_e32 v11, 0xffff, v12
	v_or_b32_e32 v13, 0x10000, v12
	s_delay_alu instid0(VALU_DEP_2) | instskip(NEXT) | instid1(VALU_DEP_1)
	v_cmp_eq_u32_e64 s3, 0, v11
	v_cndmask_b32_e64 v11, v13, v12, s3
; %bb.218:
	s_or_b32 exec_lo, exec_lo, s7
	v_lshlrev_b32_e32 v12, 16, v23
	s_delay_alu instid0(VALU_DEP_1) | instskip(NEXT) | instid1(VALU_DEP_1)
	v_add_f32_e32 v13, 0, v12
	v_and_b32_e32 v12, 0x7f800000, v13
	s_delay_alu instid0(VALU_DEP_1) | instskip(NEXT) | instid1(VALU_DEP_1)
	v_cmp_ne_u32_e64 s3, 0x7f800000, v12
                                        ; implicit-def: $vgpr12
	s_and_saveexec_b32 s7, s3
	s_delay_alu instid0(SALU_CYCLE_1)
	s_xor_b32 s3, exec_lo, s7
; %bb.219:
	v_bfe_u32 v12, v13, 16, 1
	s_delay_alu instid0(VALU_DEP_1)
	v_add3_u32 v12, v13, v12, 0x7fff
                                        ; implicit-def: $vgpr13
; %bb.220:
	s_and_not1_saveexec_b32 s7, s3
; %bb.221:
	v_and_b32_e32 v12, 0xffff, v13
	v_or_b32_e32 v14, 0x10000, v13
	s_delay_alu instid0(VALU_DEP_2) | instskip(NEXT) | instid1(VALU_DEP_1)
	v_cmp_eq_u32_e64 s3, 0, v12
	v_cndmask_b32_e64 v12, v14, v13, s3
; %bb.222:
	s_or_b32 exec_lo, exec_lo, s7
	v_cmp_lt_i32_e64 s3, -1, v11
	s_delay_alu instid0(VALU_DEP_2) | instskip(SKIP_1) | instid1(VALU_DEP_2)
	v_perm_b32 v11, v12, v11, 0x7060302
	s_and_not1_b32 s6, s6, exec_lo
	v_cndmask_b32_e64 v13, -1, 0xffff8000, s3
	v_cmp_lt_i32_e64 s3, -1, v12
	s_delay_alu instid0(VALU_DEP_1) | instskip(NEXT) | instid1(VALU_DEP_1)
	v_cndmask_b32_e64 v14, -1, 0xffff8000, s3
	v_perm_b32 v12, v14, v13, 0x5040100
	s_delay_alu instid0(VALU_DEP_1) | instskip(NEXT) | instid1(VALU_DEP_1)
	v_xor_b32_e32 v11, v12, v11
	v_lshrrev_b32_e32 v12, 16, v11
	s_delay_alu instid0(VALU_DEP_1) | instskip(NEXT) | instid1(VALU_DEP_1)
	v_cmp_le_u16_e64 s3, v11, v12
	s_and_b32 s3, s3, exec_lo
	s_delay_alu instid0(SALU_CYCLE_1)
	s_or_b32 s6, s6, s3
.LBB2076_223:
	s_or_b32 exec_lo, exec_lo, s4
	v_cndmask_b32_e64 v14, v22, v10, s6
	v_cndmask_b32_e64 v11, v27, v26, s6
	v_mov_b32_e32 v15, 0
	s_mov_b32 s9, 0
	s_mov_b32 s7, -1
	v_add_nc_u32_e32 v16, 1, v14
	v_add_nc_u32_e32 v13, -1, v11
	v_lshlrev_b64 v[11:12], 3, v[14:15]
	s_mov_b32 s4, -1
	s_mov_b32 s8, exec_lo
	v_cndmask_b32_e64 v10, v10, v16, s6
	v_min_u32_e32 v14, v16, v13
	s_delay_alu instid0(VALU_DEP_1) | instskip(NEXT) | instid1(VALU_DEP_1)
	v_lshlrev_b64 v[13:14], 1, v[14:15]
	v_add_co_u32 v13, s3, v8, v13
	s_delay_alu instid0(VALU_DEP_1) | instskip(SKIP_1) | instid1(VALU_DEP_1)
	v_add_co_ci_u32_e64 v14, s3, v9, v14, s3
	v_add_co_u32 v11, s3, v4, v11
	v_add_co_ci_u32_e64 v12, s3, v5, v12, s3
	s_clause 0x1
	flat_load_u16 v14, v[13:14]
	flat_load_b64 v[12:13], v[11:12] offset:2048
	v_cndmask_b32_e64 v11, v16, v22, s6
	s_waitcnt vmcnt(1) lgkmcnt(1)
	v_cndmask_b32_e64 v22, v14, v23, s6
	v_cndmask_b32_e64 v25, v24, v14, s6
	s_delay_alu instid0(VALU_DEP_3)
	v_cmpx_lt_u32_e64 v11, v27
	s_cbranch_execz .LBB2076_235
; %bb.224:
	s_mov_b32 s4, exec_lo
	v_cmpx_lt_u32_e64 v10, v26
	s_cbranch_execz .LBB2076_234
; %bb.225:
	v_lshlrev_b32_e32 v14, 16, v25
	s_delay_alu instid0(VALU_DEP_1) | instskip(NEXT) | instid1(VALU_DEP_1)
	v_add_f32_e32 v16, 0, v14
	v_and_b32_e32 v14, 0x7f800000, v16
	s_delay_alu instid0(VALU_DEP_1) | instskip(NEXT) | instid1(VALU_DEP_1)
	v_cmp_ne_u32_e64 s3, 0x7f800000, v14
                                        ; implicit-def: $vgpr14
	s_and_saveexec_b32 s9, s3
	s_delay_alu instid0(SALU_CYCLE_1)
	s_xor_b32 s3, exec_lo, s9
; %bb.226:
	v_bfe_u32 v14, v16, 16, 1
	s_delay_alu instid0(VALU_DEP_1)
	v_add3_u32 v14, v16, v14, 0x7fff
                                        ; implicit-def: $vgpr16
; %bb.227:
	s_and_not1_saveexec_b32 s9, s3
; %bb.228:
	v_and_b32_e32 v14, 0xffff, v16
	v_or_b32_e32 v17, 0x10000, v16
	s_delay_alu instid0(VALU_DEP_2) | instskip(NEXT) | instid1(VALU_DEP_1)
	v_cmp_eq_u32_e64 s3, 0, v14
	v_cndmask_b32_e64 v14, v17, v16, s3
; %bb.229:
	s_or_b32 exec_lo, exec_lo, s9
	v_lshlrev_b32_e32 v16, 16, v22
	s_delay_alu instid0(VALU_DEP_1) | instskip(NEXT) | instid1(VALU_DEP_1)
	v_add_f32_e32 v17, 0, v16
	v_and_b32_e32 v16, 0x7f800000, v17
	s_delay_alu instid0(VALU_DEP_1) | instskip(NEXT) | instid1(VALU_DEP_1)
	v_cmp_ne_u32_e64 s3, 0x7f800000, v16
                                        ; implicit-def: $vgpr16
	s_and_saveexec_b32 s9, s3
	s_delay_alu instid0(SALU_CYCLE_1)
	s_xor_b32 s3, exec_lo, s9
; %bb.230:
	v_bfe_u32 v16, v17, 16, 1
	s_delay_alu instid0(VALU_DEP_1)
	v_add3_u32 v16, v17, v16, 0x7fff
                                        ; implicit-def: $vgpr17
; %bb.231:
	s_and_not1_saveexec_b32 s9, s3
; %bb.232:
	v_and_b32_e32 v16, 0xffff, v17
	v_or_b32_e32 v18, 0x10000, v17
	s_delay_alu instid0(VALU_DEP_2) | instskip(NEXT) | instid1(VALU_DEP_1)
	v_cmp_eq_u32_e64 s3, 0, v16
	v_cndmask_b32_e64 v16, v18, v17, s3
; %bb.233:
	s_or_b32 exec_lo, exec_lo, s9
	v_cmp_lt_i32_e64 s3, -1, v14
	s_delay_alu instid0(VALU_DEP_2) | instskip(NEXT) | instid1(VALU_DEP_2)
	v_perm_b32 v14, v16, v14, 0x7060302
	v_cndmask_b32_e64 v17, -1, 0xffff8000, s3
	v_cmp_lt_i32_e64 s3, -1, v16
	s_delay_alu instid0(VALU_DEP_1) | instskip(NEXT) | instid1(VALU_DEP_1)
	v_cndmask_b32_e64 v18, -1, 0xffff8000, s3
	v_perm_b32 v16, v18, v17, 0x5040100
	s_delay_alu instid0(VALU_DEP_1) | instskip(NEXT) | instid1(VALU_DEP_1)
	v_xor_b32_e32 v14, v16, v14
	v_lshrrev_b32_e32 v16, 16, v14
	s_delay_alu instid0(VALU_DEP_1) | instskip(NEXT) | instid1(VALU_DEP_1)
	v_cmp_le_u16_e64 s3, v14, v16
	s_and_b32 s9, s3, exec_lo
.LBB2076_234:
	s_or_b32 exec_lo, exec_lo, s4
	s_delay_alu instid0(SALU_CYCLE_1)
	s_or_not1_b32 s4, s9, exec_lo
.LBB2076_235:
	s_or_b32 exec_lo, exec_lo, s8
	v_cndmask_b32_e64 v14, v11, v10, s4
	v_cndmask_b32_e64 v16, v27, v26, s4
	s_mov_b32 s9, 0
	s_mov_b32 s8, exec_lo
	s_delay_alu instid0(VALU_DEP_2) | instskip(NEXT) | instid1(VALU_DEP_2)
	v_add_nc_u32_e32 v19, 1, v14
	v_add_nc_u32_e32 v18, -1, v16
	v_lshlrev_b64 v[16:17], 3, v[14:15]
	s_delay_alu instid0(VALU_DEP_2) | instskip(SKIP_2) | instid1(VALU_DEP_3)
	v_min_u32_e32 v14, v19, v18
	v_cndmask_b32_e64 v18, v19, v11, s4
	v_cndmask_b32_e64 v19, v10, v19, s4
	v_lshlrev_b64 v[14:15], 1, v[14:15]
	s_delay_alu instid0(VALU_DEP_1) | instskip(NEXT) | instid1(VALU_DEP_1)
	v_add_co_u32 v14, s3, v8, v14
	v_add_co_ci_u32_e64 v15, s3, v9, v15, s3
	flat_load_u16 v29, v[14:15]
	v_add_co_u32 v14, s3, v4, v16
	s_delay_alu instid0(VALU_DEP_1)
	v_add_co_ci_u32_e64 v15, s3, v5, v17, s3
	flat_load_b64 v[14:15], v[14:15] offset:2048
	s_waitcnt vmcnt(1) lgkmcnt(1)
	v_cndmask_b32_e64 v28, v29, v22, s4
	v_cndmask_b32_e64 v29, v25, v29, s4
	v_cmpx_lt_u32_e64 v18, v27
	s_cbranch_execz .LBB2076_247
; %bb.236:
	s_mov_b32 s7, exec_lo
	v_cmpx_lt_u32_e64 v19, v26
	s_cbranch_execz .LBB2076_246
; %bb.237:
	v_lshlrev_b32_e32 v10, 16, v29
	s_delay_alu instid0(VALU_DEP_1) | instskip(NEXT) | instid1(VALU_DEP_1)
	v_add_f32_e32 v11, 0, v10
	v_and_b32_e32 v10, 0x7f800000, v11
	s_delay_alu instid0(VALU_DEP_1) | instskip(NEXT) | instid1(VALU_DEP_1)
	v_cmp_ne_u32_e64 s3, 0x7f800000, v10
                                        ; implicit-def: $vgpr10
	s_and_saveexec_b32 s9, s3
	s_delay_alu instid0(SALU_CYCLE_1)
	s_xor_b32 s3, exec_lo, s9
; %bb.238:
	v_bfe_u32 v10, v11, 16, 1
	s_delay_alu instid0(VALU_DEP_1)
	v_add3_u32 v10, v11, v10, 0x7fff
                                        ; implicit-def: $vgpr11
; %bb.239:
	s_and_not1_saveexec_b32 s9, s3
; %bb.240:
	v_and_b32_e32 v10, 0xffff, v11
	v_or_b32_e32 v16, 0x10000, v11
	s_delay_alu instid0(VALU_DEP_2) | instskip(NEXT) | instid1(VALU_DEP_1)
	v_cmp_eq_u32_e64 s3, 0, v10
	v_cndmask_b32_e64 v10, v16, v11, s3
; %bb.241:
	s_or_b32 exec_lo, exec_lo, s9
	v_lshlrev_b32_e32 v11, 16, v28
	s_delay_alu instid0(VALU_DEP_1) | instskip(NEXT) | instid1(VALU_DEP_1)
	v_add_f32_e32 v16, 0, v11
	v_and_b32_e32 v11, 0x7f800000, v16
	s_delay_alu instid0(VALU_DEP_1) | instskip(NEXT) | instid1(VALU_DEP_1)
	v_cmp_ne_u32_e64 s3, 0x7f800000, v11
                                        ; implicit-def: $vgpr11
	s_and_saveexec_b32 s9, s3
	s_delay_alu instid0(SALU_CYCLE_1)
	s_xor_b32 s3, exec_lo, s9
; %bb.242:
	v_bfe_u32 v11, v16, 16, 1
	s_delay_alu instid0(VALU_DEP_1)
	v_add3_u32 v11, v16, v11, 0x7fff
                                        ; implicit-def: $vgpr16
; %bb.243:
	s_and_not1_saveexec_b32 s9, s3
; %bb.244:
	v_and_b32_e32 v11, 0xffff, v16
	v_or_b32_e32 v17, 0x10000, v16
	s_delay_alu instid0(VALU_DEP_2) | instskip(NEXT) | instid1(VALU_DEP_1)
	v_cmp_eq_u32_e64 s3, 0, v11
	v_cndmask_b32_e64 v11, v17, v16, s3
; %bb.245:
	s_or_b32 exec_lo, exec_lo, s9
	v_cmp_lt_i32_e64 s3, -1, v10
	s_delay_alu instid0(VALU_DEP_2) | instskip(NEXT) | instid1(VALU_DEP_2)
	v_perm_b32 v10, v11, v10, 0x7060302
	v_cndmask_b32_e64 v16, -1, 0xffff8000, s3
	v_cmp_lt_i32_e64 s3, -1, v11
	s_delay_alu instid0(VALU_DEP_1) | instskip(NEXT) | instid1(VALU_DEP_1)
	v_cndmask_b32_e64 v17, -1, 0xffff8000, s3
	v_perm_b32 v11, v17, v16, 0x5040100
	s_delay_alu instid0(VALU_DEP_1) | instskip(NEXT) | instid1(VALU_DEP_1)
	v_xor_b32_e32 v10, v11, v10
	v_lshrrev_b32_e32 v11, 16, v10
	s_delay_alu instid0(VALU_DEP_1) | instskip(NEXT) | instid1(VALU_DEP_1)
	v_cmp_le_u16_e64 s3, v10, v11
	s_and_b32 s9, s3, exec_lo
.LBB2076_246:
	s_or_b32 exec_lo, exec_lo, s7
	s_delay_alu instid0(SALU_CYCLE_1)
	s_or_not1_b32 s7, s9, exec_lo
.LBB2076_247:
	s_or_b32 exec_lo, exec_lo, s8
	v_cndmask_b32_e64 v10, v18, v19, s7
	v_cndmask_b32_e64 v16, v27, v26, s7
	v_mov_b32_e32 v11, 0
	s_mov_b32 s10, 0
	s_mov_b32 s9, -1
	v_add_nc_u32_e32 v31, 1, v10
	v_add_nc_u32_e32 v33, -1, v16
	v_lshlrev_b64 v[16:17], 3, v[10:11]
	s_mov_b32 s8, exec_lo
	s_delay_alu instid0(VALU_DEP_2) | instskip(NEXT) | instid1(VALU_DEP_1)
	v_min_u32_e32 v10, v31, v33
	v_lshlrev_b64 v[33:34], 1, v[10:11]
	v_cndmask_b32_e64 v10, v31, v18, s7
	v_cndmask_b32_e64 v18, v19, v31, s7
	s_delay_alu instid0(VALU_DEP_3) | instskip(NEXT) | instid1(VALU_DEP_1)
	v_add_co_u32 v8, s3, v8, v33
	v_add_co_ci_u32_e64 v9, s3, v9, v34, s3
	flat_load_u16 v33, v[8:9]
	v_add_co_u32 v8, s3, v4, v16
	s_delay_alu instid0(VALU_DEP_1)
	v_add_co_ci_u32_e64 v9, s3, v5, v17, s3
	flat_load_b64 v[16:17], v[8:9] offset:2048
	s_waitcnt vmcnt(1) lgkmcnt(1)
	v_cndmask_b32_e64 v8, v33, v28, s7
	v_cndmask_b32_e64 v9, v29, v33, s7
	v_cmpx_lt_u32_e64 v10, v27
	s_cbranch_execz .LBB2076_259
; %bb.248:
	s_mov_b32 s9, exec_lo
	v_cmpx_lt_u32_e64 v18, v26
	s_cbranch_execz .LBB2076_258
; %bb.249:
	v_lshlrev_b32_e32 v19, 16, v9
	s_delay_alu instid0(VALU_DEP_1) | instskip(NEXT) | instid1(VALU_DEP_1)
	v_add_f32_e32 v26, 0, v19
	v_and_b32_e32 v19, 0x7f800000, v26
	s_delay_alu instid0(VALU_DEP_1) | instskip(NEXT) | instid1(VALU_DEP_1)
	v_cmp_ne_u32_e64 s3, 0x7f800000, v19
                                        ; implicit-def: $vgpr19
	s_and_saveexec_b32 s10, s3
	s_delay_alu instid0(SALU_CYCLE_1)
	s_xor_b32 s3, exec_lo, s10
; %bb.250:
	v_bfe_u32 v19, v26, 16, 1
	s_delay_alu instid0(VALU_DEP_1)
	v_add3_u32 v19, v26, v19, 0x7fff
                                        ; implicit-def: $vgpr26
; %bb.251:
	s_and_not1_saveexec_b32 s10, s3
; %bb.252:
	v_and_b32_e32 v19, 0xffff, v26
	v_or_b32_e32 v27, 0x10000, v26
	s_delay_alu instid0(VALU_DEP_2) | instskip(NEXT) | instid1(VALU_DEP_1)
	v_cmp_eq_u32_e64 s3, 0, v19
	v_cndmask_b32_e64 v19, v27, v26, s3
; %bb.253:
	s_or_b32 exec_lo, exec_lo, s10
	v_lshlrev_b32_e32 v26, 16, v8
	s_delay_alu instid0(VALU_DEP_1) | instskip(NEXT) | instid1(VALU_DEP_1)
	v_add_f32_e32 v27, 0, v26
	v_and_b32_e32 v26, 0x7f800000, v27
	s_delay_alu instid0(VALU_DEP_1) | instskip(NEXT) | instid1(VALU_DEP_1)
	v_cmp_ne_u32_e64 s3, 0x7f800000, v26
                                        ; implicit-def: $vgpr26
	s_and_saveexec_b32 s10, s3
	s_delay_alu instid0(SALU_CYCLE_1)
	s_xor_b32 s3, exec_lo, s10
; %bb.254:
	v_bfe_u32 v26, v27, 16, 1
	s_delay_alu instid0(VALU_DEP_1)
	v_add3_u32 v26, v27, v26, 0x7fff
                                        ; implicit-def: $vgpr27
; %bb.255:
	s_and_not1_saveexec_b32 s10, s3
; %bb.256:
	v_and_b32_e32 v26, 0xffff, v27
	v_or_b32_e32 v31, 0x10000, v27
	s_delay_alu instid0(VALU_DEP_2) | instskip(NEXT) | instid1(VALU_DEP_1)
	v_cmp_eq_u32_e64 s3, 0, v26
	v_cndmask_b32_e64 v26, v31, v27, s3
; %bb.257:
	s_or_b32 exec_lo, exec_lo, s10
	v_cmp_lt_i32_e64 s3, -1, v19
	s_delay_alu instid0(VALU_DEP_2) | instskip(NEXT) | instid1(VALU_DEP_2)
	v_perm_b32 v19, v26, v19, 0x7060302
	v_cndmask_b32_e64 v27, -1, 0xffff8000, s3
	v_cmp_lt_i32_e64 s3, -1, v26
	s_delay_alu instid0(VALU_DEP_1) | instskip(NEXT) | instid1(VALU_DEP_1)
	v_cndmask_b32_e64 v31, -1, 0xffff8000, s3
	v_perm_b32 v26, v31, v27, 0x5040100
	s_delay_alu instid0(VALU_DEP_1) | instskip(NEXT) | instid1(VALU_DEP_1)
	v_xor_b32_e32 v19, v26, v19
	v_lshrrev_b32_e32 v26, 16, v19
	s_delay_alu instid0(VALU_DEP_1) | instskip(NEXT) | instid1(VALU_DEP_1)
	v_cmp_le_u16_e64 s3, v19, v26
	s_and_b32 s10, s3, exec_lo
.LBB2076_258:
	s_or_b32 exec_lo, exec_lo, s9
	s_delay_alu instid0(SALU_CYCLE_1)
	s_or_not1_b32 s9, s10, exec_lo
.LBB2076_259:
	s_or_b32 exec_lo, exec_lo, s8
	v_cndmask_b32_e64 v10, v10, v18, s9
	v_cndmask_b32_e64 v35, v28, v29, s7
	;; [unrolled: 1-line block ×5, first 2 shown]
	v_lshlrev_b64 v[10:11], 3, v[10:11]
	s_delay_alu instid0(VALU_DEP_1) | instskip(NEXT) | instid1(VALU_DEP_1)
	v_add_co_u32 v4, s3, v4, v10
	v_add_co_ci_u32_e64 v5, s3, v5, v11, s3
	flat_load_b64 v[18:19], v[4:5] offset:2048
.LBB2076_260:
	s_or_b32 exec_lo, exec_lo, s5
	v_add_co_u32 v2, s3, v2, v20
	s_delay_alu instid0(VALU_DEP_1) | instskip(NEXT) | instid1(VALU_DEP_2)
	v_add_co_ci_u32_e64 v3, s3, v3, v21, s3
	v_add_co_u32 v2, s3, v2, v30
	s_delay_alu instid0(VALU_DEP_1)
	v_add_co_ci_u32_e64 v3, s3, 0, v3, s3
	; wave barrier
	s_waitcnt vmcnt(0) lgkmcnt(0)
	s_waitcnt_vscnt null, 0x0
	s_barrier
	buffer_gl0_inv
	; wave barrier
	s_and_saveexec_b32 s3, vcc_lo
	s_cbranch_execnz .LBB2076_270
; %bb.261:
	s_or_b32 exec_lo, exec_lo, s3
	s_and_saveexec_b32 s3, s0
	s_cbranch_execnz .LBB2076_271
.LBB2076_262:
	s_or_b32 exec_lo, exec_lo, s3
	s_and_saveexec_b32 s3, s1
	s_cbranch_execnz .LBB2076_272
.LBB2076_263:
	s_or_b32 exec_lo, exec_lo, s3
	s_and_saveexec_b32 s3, s2
	s_cbranch_execz .LBB2076_265
.LBB2076_264:
	flat_store_b16 v[2:3], v36 offset:6
.LBB2076_265:
	s_or_b32 exec_lo, exec_lo, s3
	v_add_co_u32 v0, s3, v6, v0
	s_delay_alu instid0(VALU_DEP_1) | instskip(NEXT) | instid1(VALU_DEP_2)
	v_add_co_ci_u32_e64 v1, s3, v7, v1, s3
	v_add_co_u32 v0, s3, v0, v32
	s_delay_alu instid0(VALU_DEP_1)
	v_add_co_ci_u32_e64 v1, s3, 0, v1, s3
	; wave barrier
	s_and_saveexec_b32 s3, vcc_lo
	s_cbranch_execnz .LBB2076_273
; %bb.266:
	s_or_b32 exec_lo, exec_lo, s3
	s_and_saveexec_b32 s3, s0
	s_cbranch_execnz .LBB2076_274
.LBB2076_267:
	s_or_b32 exec_lo, exec_lo, s3
	s_and_saveexec_b32 s0, s1
	s_cbranch_execnz .LBB2076_275
.LBB2076_268:
	s_or_b32 exec_lo, exec_lo, s0
	s_and_saveexec_b32 s0, s2
	s_cbranch_execnz .LBB2076_276
.LBB2076_269:
	s_or_b32 exec_lo, exec_lo, s0
	s_waitcnt lgkmcnt(0)
	s_setpc_b64 s[30:31]
.LBB2076_270:
	flat_store_b16 v[2:3], v37
	s_or_b32 exec_lo, exec_lo, s3
	s_and_saveexec_b32 s3, s0
	s_cbranch_execz .LBB2076_262
.LBB2076_271:
	flat_store_b16 v[2:3], v29 offset:2
	s_or_b32 exec_lo, exec_lo, s3
	s_and_saveexec_b32 s3, s1
	s_cbranch_execz .LBB2076_263
.LBB2076_272:
	flat_store_b16 v[2:3], v35 offset:4
	s_or_b32 exec_lo, exec_lo, s3
	s_and_saveexec_b32 s3, s2
	s_cbranch_execnz .LBB2076_264
	s_branch .LBB2076_265
.LBB2076_273:
	flat_store_b64 v[0:1], v[12:13]
	s_or_b32 exec_lo, exec_lo, s3
	s_and_saveexec_b32 s3, s0
	s_cbranch_execz .LBB2076_267
.LBB2076_274:
	flat_store_b64 v[0:1], v[14:15] offset:8
	s_or_b32 exec_lo, exec_lo, s3
	s_and_saveexec_b32 s0, s1
	s_cbranch_execz .LBB2076_268
.LBB2076_275:
	flat_store_b64 v[0:1], v[16:17] offset:16
	s_or_b32 exec_lo, exec_lo, s0
	s_and_saveexec_b32 s0, s2
	s_cbranch_execz .LBB2076_269
.LBB2076_276:
	flat_store_b64 v[0:1], v[18:19] offset:24
	s_or_b32 exec_lo, exec_lo, s0
	s_waitcnt lgkmcnt(0)
	s_setpc_b64 s[30:31]
.Lfunc_end2076:
	.size	_ZN7rocprim17ROCPRIM_400000_NS6detail26segmented_warp_sort_helperINS1_20WarpSortHelperConfigILj8ELj4ELj256EEE12hip_bfloat16lLi256ELb0EvE4sortIPKS5_PS5_PKlPlEEvT_T0_T1_T2_jjjjRNS6_12storage_typeE, .Lfunc_end2076-_ZN7rocprim17ROCPRIM_400000_NS6detail26segmented_warp_sort_helperINS1_20WarpSortHelperConfigILj8ELj4ELj256EEE12hip_bfloat16lLi256ELb0EvE4sortIPKS5_PS5_PKlPlEEvT_T0_T1_T2_jjjjRNS6_12storage_typeE
                                        ; -- End function
	.section	.AMDGPU.csdata,"",@progbits
; Function info:
; codeLenInByte = 12084
; NumSgprs: 34
; NumVgprs: 67
; ScratchSize: 0
; MemoryBound: 1
	.section	.text._ZN7rocprim17ROCPRIM_400000_NS6detail17trampoline_kernelINS0_14default_configENS1_36segmented_radix_sort_config_selectorI12hip_bfloat16lEEZNS1_25segmented_radix_sort_implIS3_Lb0EPKS5_PS5_PKlPlN2at6native12_GLOBAL__N_18offset_tEEE10hipError_tPvRmT1_PNSt15iterator_traitsISL_E10value_typeET2_T3_PNSM_ISR_E10value_typeET4_jRbjT5_SX_jjP12ihipStream_tbEUlT_E1_NS1_11comp_targetILNS1_3genE9ELNS1_11target_archE1100ELNS1_3gpuE3ELNS1_3repE0EEENS1_59segmented_radix_sort_warp_sort_small_config_static_selectorELNS0_4arch9wavefront6targetE0EEEvSL_,"axG",@progbits,_ZN7rocprim17ROCPRIM_400000_NS6detail17trampoline_kernelINS0_14default_configENS1_36segmented_radix_sort_config_selectorI12hip_bfloat16lEEZNS1_25segmented_radix_sort_implIS3_Lb0EPKS5_PS5_PKlPlN2at6native12_GLOBAL__N_18offset_tEEE10hipError_tPvRmT1_PNSt15iterator_traitsISL_E10value_typeET2_T3_PNSM_ISR_E10value_typeET4_jRbjT5_SX_jjP12ihipStream_tbEUlT_E1_NS1_11comp_targetILNS1_3genE9ELNS1_11target_archE1100ELNS1_3gpuE3ELNS1_3repE0EEENS1_59segmented_radix_sort_warp_sort_small_config_static_selectorELNS0_4arch9wavefront6targetE0EEEvSL_,comdat
	.globl	_ZN7rocprim17ROCPRIM_400000_NS6detail17trampoline_kernelINS0_14default_configENS1_36segmented_radix_sort_config_selectorI12hip_bfloat16lEEZNS1_25segmented_radix_sort_implIS3_Lb0EPKS5_PS5_PKlPlN2at6native12_GLOBAL__N_18offset_tEEE10hipError_tPvRmT1_PNSt15iterator_traitsISL_E10value_typeET2_T3_PNSM_ISR_E10value_typeET4_jRbjT5_SX_jjP12ihipStream_tbEUlT_E1_NS1_11comp_targetILNS1_3genE9ELNS1_11target_archE1100ELNS1_3gpuE3ELNS1_3repE0EEENS1_59segmented_radix_sort_warp_sort_small_config_static_selectorELNS0_4arch9wavefront6targetE0EEEvSL_ ; -- Begin function _ZN7rocprim17ROCPRIM_400000_NS6detail17trampoline_kernelINS0_14default_configENS1_36segmented_radix_sort_config_selectorI12hip_bfloat16lEEZNS1_25segmented_radix_sort_implIS3_Lb0EPKS5_PS5_PKlPlN2at6native12_GLOBAL__N_18offset_tEEE10hipError_tPvRmT1_PNSt15iterator_traitsISL_E10value_typeET2_T3_PNSM_ISR_E10value_typeET4_jRbjT5_SX_jjP12ihipStream_tbEUlT_E1_NS1_11comp_targetILNS1_3genE9ELNS1_11target_archE1100ELNS1_3gpuE3ELNS1_3repE0EEENS1_59segmented_radix_sort_warp_sort_small_config_static_selectorELNS0_4arch9wavefront6targetE0EEEvSL_
	.p2align	8
	.type	_ZN7rocprim17ROCPRIM_400000_NS6detail17trampoline_kernelINS0_14default_configENS1_36segmented_radix_sort_config_selectorI12hip_bfloat16lEEZNS1_25segmented_radix_sort_implIS3_Lb0EPKS5_PS5_PKlPlN2at6native12_GLOBAL__N_18offset_tEEE10hipError_tPvRmT1_PNSt15iterator_traitsISL_E10value_typeET2_T3_PNSM_ISR_E10value_typeET4_jRbjT5_SX_jjP12ihipStream_tbEUlT_E1_NS1_11comp_targetILNS1_3genE9ELNS1_11target_archE1100ELNS1_3gpuE3ELNS1_3repE0EEENS1_59segmented_radix_sort_warp_sort_small_config_static_selectorELNS0_4arch9wavefront6targetE0EEEvSL_,@function
_ZN7rocprim17ROCPRIM_400000_NS6detail17trampoline_kernelINS0_14default_configENS1_36segmented_radix_sort_config_selectorI12hip_bfloat16lEEZNS1_25segmented_radix_sort_implIS3_Lb0EPKS5_PS5_PKlPlN2at6native12_GLOBAL__N_18offset_tEEE10hipError_tPvRmT1_PNSt15iterator_traitsISL_E10value_typeET2_T3_PNSM_ISR_E10value_typeET4_jRbjT5_SX_jjP12ihipStream_tbEUlT_E1_NS1_11comp_targetILNS1_3genE9ELNS1_11target_archE1100ELNS1_3gpuE3ELNS1_3repE0EEENS1_59segmented_radix_sort_warp_sort_small_config_static_selectorELNS0_4arch9wavefront6targetE0EEEvSL_: ; @_ZN7rocprim17ROCPRIM_400000_NS6detail17trampoline_kernelINS0_14default_configENS1_36segmented_radix_sort_config_selectorI12hip_bfloat16lEEZNS1_25segmented_radix_sort_implIS3_Lb0EPKS5_PS5_PKlPlN2at6native12_GLOBAL__N_18offset_tEEE10hipError_tPvRmT1_PNSt15iterator_traitsISL_E10value_typeET2_T3_PNSM_ISR_E10value_typeET4_jRbjT5_SX_jjP12ihipStream_tbEUlT_E1_NS1_11comp_targetILNS1_3genE9ELNS1_11target_archE1100ELNS1_3gpuE3ELNS1_3repE0EEENS1_59segmented_radix_sort_warp_sort_small_config_static_selectorELNS0_4arch9wavefront6targetE0EEEvSL_
; %bb.0:
	s_load_b32 s2, s[0:1], 0x64
	v_bfe_u32 v1, v0, 10, 10
	v_bfe_u32 v2, v0, 20, 10
	s_mov_b32 s32, 0
	s_waitcnt lgkmcnt(0)
	s_lshr_b32 s3, s2, 16
	s_and_b32 s2, s2, 0xffff
	v_mad_u32_u24 v4, v2, s3, v1
	v_and_b32_e32 v1, 0x3ff, v0
	s_load_b32 s3, s[0:1], 0x34
	s_delay_alu instid0(VALU_DEP_1) | instskip(SKIP_1) | instid1(VALU_DEP_1)
	v_mad_u64_u32 v[2:3], null, v4, s2, v[1:2]
	s_mov_b32 s2, exec_lo
	v_lshrrev_b32_e32 v1, 3, v2
	s_delay_alu instid0(VALU_DEP_1) | instskip(SKIP_1) | instid1(VALU_DEP_1)
	v_lshl_add_u32 v1, s14, 5, v1
	s_waitcnt lgkmcnt(0)
	v_cmpx_gt_u32_e64 s3, v1
	s_cbranch_execz .LBB2077_6
; %bb.1:
	s_clause 0x1
	s_load_b64 s[2:3], s[0:1], 0x38
	s_load_b128 s[4:7], s[0:1], 0x40
	v_mov_b32_e32 v2, 0
	s_delay_alu instid0(VALU_DEP_1) | instskip(SKIP_1) | instid1(VALU_DEP_1)
	v_lshlrev_b64 v[1:2], 2, v[1:2]
	s_waitcnt lgkmcnt(0)
	v_sub_co_u32 v1, vcc_lo, s2, v1
	s_delay_alu instid0(VALU_DEP_2) | instskip(SKIP_4) | instid1(VALU_DEP_2)
	v_sub_co_ci_u32_e32 v2, vcc_lo, s3, v2, vcc_lo
	global_load_b32 v1, v[1:2], off offset:-4
	s_waitcnt vmcnt(0)
	v_add_nc_u32_e32 v2, s5, v1
	v_add_nc_u32_e32 v1, s7, v1
	v_mul_lo_u32 v40, v2, s4
	s_delay_alu instid0(VALU_DEP_2) | instskip(NEXT) | instid1(VALU_DEP_1)
	v_mul_lo_u32 v41, v1, s6
	v_cmp_gt_u32_e32 vcc_lo, v41, v40
	s_and_b32 exec_lo, exec_lo, vcc_lo
	s_cbranch_execz .LBB2077_6
; %bb.2:
	s_clause 0x2
	s_load_b32 s2, s[0:1], 0x30
	s_load_b128 s[24:27], s[0:1], 0x20
	s_load_b256 s[16:23], s[0:1], 0x0
	s_waitcnt lgkmcnt(0)
	s_bitcmp0_b32 s2, 0
	s_mov_b32 s2, -1
	s_cbranch_scc0 .LBB2077_4
; %bb.3:
	s_mov_b64 s[2:3], src_shared_base
	v_mov_b32_e32 v31, v0
	v_dual_mov_b32 v42, v0 :: v_dual_mov_b32 v1, s17
	v_mov_b32_e32 v0, s16
	v_dual_mov_b32 v2, s18 :: v_dual_mov_b32 v3, s19
	v_dual_mov_b32 v4, s22 :: v_dual_mov_b32 v5, s23
	v_dual_mov_b32 v6, s24 :: v_dual_mov_b32 v7, s25
	v_dual_mov_b32 v8, v40 :: v_dual_mov_b32 v9, v41
	v_dual_mov_b32 v10, 0 :: v_dual_mov_b32 v11, s3
	s_add_u32 s8, s0, 0x58
	s_addc_u32 s9, s1, 0
	s_mov_b32 s12, s14
	s_mov_b32 s13, s15
	s_getpc_b64 s[4:5]
	s_add_u32 s4, s4, _ZN7rocprim17ROCPRIM_400000_NS6detail26segmented_warp_sort_helperINS1_20WarpSortHelperConfigILj8ELj4ELj256EEE12hip_bfloat16lLi256ELb0EvE4sortIPKS5_PS5_PKlPlEEvT_T0_T1_T2_jjjjRNS6_12storage_typeE@rel32@lo+4
	s_addc_u32 s5, s5, _ZN7rocprim17ROCPRIM_400000_NS6detail26segmented_warp_sort_helperINS1_20WarpSortHelperConfigILj8ELj4ELj256EEE12hip_bfloat16lLi256ELb0EvE4sortIPKS5_PS5_PKlPlEEvT_T0_T1_T2_jjjjRNS6_12storage_typeE@rel32@hi+12
	s_mov_b64 s[18:19], s[0:1]
	s_swappc_b64 s[30:31], s[4:5]
	v_mov_b32_e32 v0, v42
	s_mov_b64 s[0:1], s[18:19]
	s_mov_b32 s2, 0
.LBB2077_4:
	s_delay_alu instid0(SALU_CYCLE_1)
	s_and_not1_b32 vcc_lo, exec_lo, s2
	s_cbranch_vccnz .LBB2077_6
; %bb.5:
	s_add_u32 s8, s0, 0x58
	s_addc_u32 s9, s1, 0
	s_mov_b64 s[0:1], src_shared_base
	v_dual_mov_b32 v31, v0 :: v_dual_mov_b32 v0, s16
	v_dual_mov_b32 v1, s17 :: v_dual_mov_b32 v2, s20
	;; [unrolled: 1-line block ×6, first 2 shown]
	v_mov_b32_e32 v11, s1
	s_mov_b32 s12, s14
	s_mov_b32 s13, s15
	s_getpc_b64 s[2:3]
	s_add_u32 s2, s2, _ZN7rocprim17ROCPRIM_400000_NS6detail26segmented_warp_sort_helperINS1_20WarpSortHelperConfigILj8ELj4ELj256EEE12hip_bfloat16lLi256ELb0EvE4sortIPKS5_PS5_PKlPlEEvT_T0_T1_T2_jjjjRNS6_12storage_typeE@rel32@lo+4
	s_addc_u32 s3, s3, _ZN7rocprim17ROCPRIM_400000_NS6detail26segmented_warp_sort_helperINS1_20WarpSortHelperConfigILj8ELj4ELj256EEE12hip_bfloat16lLi256ELb0EvE4sortIPKS5_PS5_PKlPlEEvT_T0_T1_T2_jjjjRNS6_12storage_typeE@rel32@hi+12
	s_delay_alu instid0(SALU_CYCLE_1)
	s_swappc_b64 s[30:31], s[2:3]
.LBB2077_6:
	s_endpgm
	.section	.rodata,"a",@progbits
	.p2align	6, 0x0
	.amdhsa_kernel _ZN7rocprim17ROCPRIM_400000_NS6detail17trampoline_kernelINS0_14default_configENS1_36segmented_radix_sort_config_selectorI12hip_bfloat16lEEZNS1_25segmented_radix_sort_implIS3_Lb0EPKS5_PS5_PKlPlN2at6native12_GLOBAL__N_18offset_tEEE10hipError_tPvRmT1_PNSt15iterator_traitsISL_E10value_typeET2_T3_PNSM_ISR_E10value_typeET4_jRbjT5_SX_jjP12ihipStream_tbEUlT_E1_NS1_11comp_targetILNS1_3genE9ELNS1_11target_archE1100ELNS1_3gpuE3ELNS1_3repE0EEENS1_59segmented_radix_sort_warp_sort_small_config_static_selectorELNS0_4arch9wavefront6targetE0EEEvSL_
		.amdhsa_group_segment_fixed_size 10240
		.amdhsa_private_segment_fixed_size 0
		.amdhsa_kernarg_size 344
		.amdhsa_user_sgpr_count 14
		.amdhsa_user_sgpr_dispatch_ptr 0
		.amdhsa_user_sgpr_queue_ptr 0
		.amdhsa_user_sgpr_kernarg_segment_ptr 1
		.amdhsa_user_sgpr_dispatch_id 0
		.amdhsa_user_sgpr_private_segment_size 0
		.amdhsa_wavefront_size32 1
		.amdhsa_uses_dynamic_stack 0
		.amdhsa_enable_private_segment 0
		.amdhsa_system_sgpr_workgroup_id_x 1
		.amdhsa_system_sgpr_workgroup_id_y 1
		.amdhsa_system_sgpr_workgroup_id_z 0
		.amdhsa_system_sgpr_workgroup_info 0
		.amdhsa_system_vgpr_workitem_id 2
		.amdhsa_next_free_vgpr 67
		.amdhsa_next_free_sgpr 33
		.amdhsa_reserve_vcc 1
		.amdhsa_float_round_mode_32 0
		.amdhsa_float_round_mode_16_64 0
		.amdhsa_float_denorm_mode_32 3
		.amdhsa_float_denorm_mode_16_64 3
		.amdhsa_dx10_clamp 1
		.amdhsa_ieee_mode 1
		.amdhsa_fp16_overflow 0
		.amdhsa_workgroup_processor_mode 1
		.amdhsa_memory_ordered 1
		.amdhsa_forward_progress 0
		.amdhsa_shared_vgpr_count 0
		.amdhsa_exception_fp_ieee_invalid_op 0
		.amdhsa_exception_fp_denorm_src 0
		.amdhsa_exception_fp_ieee_div_zero 0
		.amdhsa_exception_fp_ieee_overflow 0
		.amdhsa_exception_fp_ieee_underflow 0
		.amdhsa_exception_fp_ieee_inexact 0
		.amdhsa_exception_int_div_zero 0
	.end_amdhsa_kernel
	.section	.text._ZN7rocprim17ROCPRIM_400000_NS6detail17trampoline_kernelINS0_14default_configENS1_36segmented_radix_sort_config_selectorI12hip_bfloat16lEEZNS1_25segmented_radix_sort_implIS3_Lb0EPKS5_PS5_PKlPlN2at6native12_GLOBAL__N_18offset_tEEE10hipError_tPvRmT1_PNSt15iterator_traitsISL_E10value_typeET2_T3_PNSM_ISR_E10value_typeET4_jRbjT5_SX_jjP12ihipStream_tbEUlT_E1_NS1_11comp_targetILNS1_3genE9ELNS1_11target_archE1100ELNS1_3gpuE3ELNS1_3repE0EEENS1_59segmented_radix_sort_warp_sort_small_config_static_selectorELNS0_4arch9wavefront6targetE0EEEvSL_,"axG",@progbits,_ZN7rocprim17ROCPRIM_400000_NS6detail17trampoline_kernelINS0_14default_configENS1_36segmented_radix_sort_config_selectorI12hip_bfloat16lEEZNS1_25segmented_radix_sort_implIS3_Lb0EPKS5_PS5_PKlPlN2at6native12_GLOBAL__N_18offset_tEEE10hipError_tPvRmT1_PNSt15iterator_traitsISL_E10value_typeET2_T3_PNSM_ISR_E10value_typeET4_jRbjT5_SX_jjP12ihipStream_tbEUlT_E1_NS1_11comp_targetILNS1_3genE9ELNS1_11target_archE1100ELNS1_3gpuE3ELNS1_3repE0EEENS1_59segmented_radix_sort_warp_sort_small_config_static_selectorELNS0_4arch9wavefront6targetE0EEEvSL_,comdat
.Lfunc_end2077:
	.size	_ZN7rocprim17ROCPRIM_400000_NS6detail17trampoline_kernelINS0_14default_configENS1_36segmented_radix_sort_config_selectorI12hip_bfloat16lEEZNS1_25segmented_radix_sort_implIS3_Lb0EPKS5_PS5_PKlPlN2at6native12_GLOBAL__N_18offset_tEEE10hipError_tPvRmT1_PNSt15iterator_traitsISL_E10value_typeET2_T3_PNSM_ISR_E10value_typeET4_jRbjT5_SX_jjP12ihipStream_tbEUlT_E1_NS1_11comp_targetILNS1_3genE9ELNS1_11target_archE1100ELNS1_3gpuE3ELNS1_3repE0EEENS1_59segmented_radix_sort_warp_sort_small_config_static_selectorELNS0_4arch9wavefront6targetE0EEEvSL_, .Lfunc_end2077-_ZN7rocprim17ROCPRIM_400000_NS6detail17trampoline_kernelINS0_14default_configENS1_36segmented_radix_sort_config_selectorI12hip_bfloat16lEEZNS1_25segmented_radix_sort_implIS3_Lb0EPKS5_PS5_PKlPlN2at6native12_GLOBAL__N_18offset_tEEE10hipError_tPvRmT1_PNSt15iterator_traitsISL_E10value_typeET2_T3_PNSM_ISR_E10value_typeET4_jRbjT5_SX_jjP12ihipStream_tbEUlT_E1_NS1_11comp_targetILNS1_3genE9ELNS1_11target_archE1100ELNS1_3gpuE3ELNS1_3repE0EEENS1_59segmented_radix_sort_warp_sort_small_config_static_selectorELNS0_4arch9wavefront6targetE0EEEvSL_
                                        ; -- End function
	.section	.AMDGPU.csdata,"",@progbits
; Kernel info:
; codeLenInByte = 508
; NumSgprs: 35
; NumVgprs: 67
; ScratchSize: 0
; MemoryBound: 0
; FloatMode: 240
; IeeeMode: 1
; LDSByteSize: 10240 bytes/workgroup (compile time only)
; SGPRBlocks: 4
; VGPRBlocks: 8
; NumSGPRsForWavesPerEU: 35
; NumVGPRsForWavesPerEU: 67
; Occupancy: 16
; WaveLimiterHint : 0
; COMPUTE_PGM_RSRC2:SCRATCH_EN: 0
; COMPUTE_PGM_RSRC2:USER_SGPR: 14
; COMPUTE_PGM_RSRC2:TRAP_HANDLER: 0
; COMPUTE_PGM_RSRC2:TGID_X_EN: 1
; COMPUTE_PGM_RSRC2:TGID_Y_EN: 1
; COMPUTE_PGM_RSRC2:TGID_Z_EN: 0
; COMPUTE_PGM_RSRC2:TIDIG_COMP_CNT: 2
	.section	.text._ZN7rocprim17ROCPRIM_400000_NS6detail17trampoline_kernelINS0_14default_configENS1_36segmented_radix_sort_config_selectorI12hip_bfloat16lEEZNS1_25segmented_radix_sort_implIS3_Lb0EPKS5_PS5_PKlPlN2at6native12_GLOBAL__N_18offset_tEEE10hipError_tPvRmT1_PNSt15iterator_traitsISL_E10value_typeET2_T3_PNSM_ISR_E10value_typeET4_jRbjT5_SX_jjP12ihipStream_tbEUlT_E1_NS1_11comp_targetILNS1_3genE8ELNS1_11target_archE1030ELNS1_3gpuE2ELNS1_3repE0EEENS1_59segmented_radix_sort_warp_sort_small_config_static_selectorELNS0_4arch9wavefront6targetE0EEEvSL_,"axG",@progbits,_ZN7rocprim17ROCPRIM_400000_NS6detail17trampoline_kernelINS0_14default_configENS1_36segmented_radix_sort_config_selectorI12hip_bfloat16lEEZNS1_25segmented_radix_sort_implIS3_Lb0EPKS5_PS5_PKlPlN2at6native12_GLOBAL__N_18offset_tEEE10hipError_tPvRmT1_PNSt15iterator_traitsISL_E10value_typeET2_T3_PNSM_ISR_E10value_typeET4_jRbjT5_SX_jjP12ihipStream_tbEUlT_E1_NS1_11comp_targetILNS1_3genE8ELNS1_11target_archE1030ELNS1_3gpuE2ELNS1_3repE0EEENS1_59segmented_radix_sort_warp_sort_small_config_static_selectorELNS0_4arch9wavefront6targetE0EEEvSL_,comdat
	.globl	_ZN7rocprim17ROCPRIM_400000_NS6detail17trampoline_kernelINS0_14default_configENS1_36segmented_radix_sort_config_selectorI12hip_bfloat16lEEZNS1_25segmented_radix_sort_implIS3_Lb0EPKS5_PS5_PKlPlN2at6native12_GLOBAL__N_18offset_tEEE10hipError_tPvRmT1_PNSt15iterator_traitsISL_E10value_typeET2_T3_PNSM_ISR_E10value_typeET4_jRbjT5_SX_jjP12ihipStream_tbEUlT_E1_NS1_11comp_targetILNS1_3genE8ELNS1_11target_archE1030ELNS1_3gpuE2ELNS1_3repE0EEENS1_59segmented_radix_sort_warp_sort_small_config_static_selectorELNS0_4arch9wavefront6targetE0EEEvSL_ ; -- Begin function _ZN7rocprim17ROCPRIM_400000_NS6detail17trampoline_kernelINS0_14default_configENS1_36segmented_radix_sort_config_selectorI12hip_bfloat16lEEZNS1_25segmented_radix_sort_implIS3_Lb0EPKS5_PS5_PKlPlN2at6native12_GLOBAL__N_18offset_tEEE10hipError_tPvRmT1_PNSt15iterator_traitsISL_E10value_typeET2_T3_PNSM_ISR_E10value_typeET4_jRbjT5_SX_jjP12ihipStream_tbEUlT_E1_NS1_11comp_targetILNS1_3genE8ELNS1_11target_archE1030ELNS1_3gpuE2ELNS1_3repE0EEENS1_59segmented_radix_sort_warp_sort_small_config_static_selectorELNS0_4arch9wavefront6targetE0EEEvSL_
	.p2align	8
	.type	_ZN7rocprim17ROCPRIM_400000_NS6detail17trampoline_kernelINS0_14default_configENS1_36segmented_radix_sort_config_selectorI12hip_bfloat16lEEZNS1_25segmented_radix_sort_implIS3_Lb0EPKS5_PS5_PKlPlN2at6native12_GLOBAL__N_18offset_tEEE10hipError_tPvRmT1_PNSt15iterator_traitsISL_E10value_typeET2_T3_PNSM_ISR_E10value_typeET4_jRbjT5_SX_jjP12ihipStream_tbEUlT_E1_NS1_11comp_targetILNS1_3genE8ELNS1_11target_archE1030ELNS1_3gpuE2ELNS1_3repE0EEENS1_59segmented_radix_sort_warp_sort_small_config_static_selectorELNS0_4arch9wavefront6targetE0EEEvSL_,@function
_ZN7rocprim17ROCPRIM_400000_NS6detail17trampoline_kernelINS0_14default_configENS1_36segmented_radix_sort_config_selectorI12hip_bfloat16lEEZNS1_25segmented_radix_sort_implIS3_Lb0EPKS5_PS5_PKlPlN2at6native12_GLOBAL__N_18offset_tEEE10hipError_tPvRmT1_PNSt15iterator_traitsISL_E10value_typeET2_T3_PNSM_ISR_E10value_typeET4_jRbjT5_SX_jjP12ihipStream_tbEUlT_E1_NS1_11comp_targetILNS1_3genE8ELNS1_11target_archE1030ELNS1_3gpuE2ELNS1_3repE0EEENS1_59segmented_radix_sort_warp_sort_small_config_static_selectorELNS0_4arch9wavefront6targetE0EEEvSL_: ; @_ZN7rocprim17ROCPRIM_400000_NS6detail17trampoline_kernelINS0_14default_configENS1_36segmented_radix_sort_config_selectorI12hip_bfloat16lEEZNS1_25segmented_radix_sort_implIS3_Lb0EPKS5_PS5_PKlPlN2at6native12_GLOBAL__N_18offset_tEEE10hipError_tPvRmT1_PNSt15iterator_traitsISL_E10value_typeET2_T3_PNSM_ISR_E10value_typeET4_jRbjT5_SX_jjP12ihipStream_tbEUlT_E1_NS1_11comp_targetILNS1_3genE8ELNS1_11target_archE1030ELNS1_3gpuE2ELNS1_3repE0EEENS1_59segmented_radix_sort_warp_sort_small_config_static_selectorELNS0_4arch9wavefront6targetE0EEEvSL_
; %bb.0:
	.section	.rodata,"a",@progbits
	.p2align	6, 0x0
	.amdhsa_kernel _ZN7rocprim17ROCPRIM_400000_NS6detail17trampoline_kernelINS0_14default_configENS1_36segmented_radix_sort_config_selectorI12hip_bfloat16lEEZNS1_25segmented_radix_sort_implIS3_Lb0EPKS5_PS5_PKlPlN2at6native12_GLOBAL__N_18offset_tEEE10hipError_tPvRmT1_PNSt15iterator_traitsISL_E10value_typeET2_T3_PNSM_ISR_E10value_typeET4_jRbjT5_SX_jjP12ihipStream_tbEUlT_E1_NS1_11comp_targetILNS1_3genE8ELNS1_11target_archE1030ELNS1_3gpuE2ELNS1_3repE0EEENS1_59segmented_radix_sort_warp_sort_small_config_static_selectorELNS0_4arch9wavefront6targetE0EEEvSL_
		.amdhsa_group_segment_fixed_size 0
		.amdhsa_private_segment_fixed_size 0
		.amdhsa_kernarg_size 88
		.amdhsa_user_sgpr_count 15
		.amdhsa_user_sgpr_dispatch_ptr 0
		.amdhsa_user_sgpr_queue_ptr 0
		.amdhsa_user_sgpr_kernarg_segment_ptr 1
		.amdhsa_user_sgpr_dispatch_id 0
		.amdhsa_user_sgpr_private_segment_size 0
		.amdhsa_wavefront_size32 1
		.amdhsa_uses_dynamic_stack 0
		.amdhsa_enable_private_segment 0
		.amdhsa_system_sgpr_workgroup_id_x 1
		.amdhsa_system_sgpr_workgroup_id_y 0
		.amdhsa_system_sgpr_workgroup_id_z 0
		.amdhsa_system_sgpr_workgroup_info 0
		.amdhsa_system_vgpr_workitem_id 0
		.amdhsa_next_free_vgpr 1
		.amdhsa_next_free_sgpr 1
		.amdhsa_reserve_vcc 0
		.amdhsa_float_round_mode_32 0
		.amdhsa_float_round_mode_16_64 0
		.amdhsa_float_denorm_mode_32 3
		.amdhsa_float_denorm_mode_16_64 3
		.amdhsa_dx10_clamp 1
		.amdhsa_ieee_mode 1
		.amdhsa_fp16_overflow 0
		.amdhsa_workgroup_processor_mode 1
		.amdhsa_memory_ordered 1
		.amdhsa_forward_progress 0
		.amdhsa_shared_vgpr_count 0
		.amdhsa_exception_fp_ieee_invalid_op 0
		.amdhsa_exception_fp_denorm_src 0
		.amdhsa_exception_fp_ieee_div_zero 0
		.amdhsa_exception_fp_ieee_overflow 0
		.amdhsa_exception_fp_ieee_underflow 0
		.amdhsa_exception_fp_ieee_inexact 0
		.amdhsa_exception_int_div_zero 0
	.end_amdhsa_kernel
	.section	.text._ZN7rocprim17ROCPRIM_400000_NS6detail17trampoline_kernelINS0_14default_configENS1_36segmented_radix_sort_config_selectorI12hip_bfloat16lEEZNS1_25segmented_radix_sort_implIS3_Lb0EPKS5_PS5_PKlPlN2at6native12_GLOBAL__N_18offset_tEEE10hipError_tPvRmT1_PNSt15iterator_traitsISL_E10value_typeET2_T3_PNSM_ISR_E10value_typeET4_jRbjT5_SX_jjP12ihipStream_tbEUlT_E1_NS1_11comp_targetILNS1_3genE8ELNS1_11target_archE1030ELNS1_3gpuE2ELNS1_3repE0EEENS1_59segmented_radix_sort_warp_sort_small_config_static_selectorELNS0_4arch9wavefront6targetE0EEEvSL_,"axG",@progbits,_ZN7rocprim17ROCPRIM_400000_NS6detail17trampoline_kernelINS0_14default_configENS1_36segmented_radix_sort_config_selectorI12hip_bfloat16lEEZNS1_25segmented_radix_sort_implIS3_Lb0EPKS5_PS5_PKlPlN2at6native12_GLOBAL__N_18offset_tEEE10hipError_tPvRmT1_PNSt15iterator_traitsISL_E10value_typeET2_T3_PNSM_ISR_E10value_typeET4_jRbjT5_SX_jjP12ihipStream_tbEUlT_E1_NS1_11comp_targetILNS1_3genE8ELNS1_11target_archE1030ELNS1_3gpuE2ELNS1_3repE0EEENS1_59segmented_radix_sort_warp_sort_small_config_static_selectorELNS0_4arch9wavefront6targetE0EEEvSL_,comdat
.Lfunc_end2078:
	.size	_ZN7rocprim17ROCPRIM_400000_NS6detail17trampoline_kernelINS0_14default_configENS1_36segmented_radix_sort_config_selectorI12hip_bfloat16lEEZNS1_25segmented_radix_sort_implIS3_Lb0EPKS5_PS5_PKlPlN2at6native12_GLOBAL__N_18offset_tEEE10hipError_tPvRmT1_PNSt15iterator_traitsISL_E10value_typeET2_T3_PNSM_ISR_E10value_typeET4_jRbjT5_SX_jjP12ihipStream_tbEUlT_E1_NS1_11comp_targetILNS1_3genE8ELNS1_11target_archE1030ELNS1_3gpuE2ELNS1_3repE0EEENS1_59segmented_radix_sort_warp_sort_small_config_static_selectorELNS0_4arch9wavefront6targetE0EEEvSL_, .Lfunc_end2078-_ZN7rocprim17ROCPRIM_400000_NS6detail17trampoline_kernelINS0_14default_configENS1_36segmented_radix_sort_config_selectorI12hip_bfloat16lEEZNS1_25segmented_radix_sort_implIS3_Lb0EPKS5_PS5_PKlPlN2at6native12_GLOBAL__N_18offset_tEEE10hipError_tPvRmT1_PNSt15iterator_traitsISL_E10value_typeET2_T3_PNSM_ISR_E10value_typeET4_jRbjT5_SX_jjP12ihipStream_tbEUlT_E1_NS1_11comp_targetILNS1_3genE8ELNS1_11target_archE1030ELNS1_3gpuE2ELNS1_3repE0EEENS1_59segmented_radix_sort_warp_sort_small_config_static_selectorELNS0_4arch9wavefront6targetE0EEEvSL_
                                        ; -- End function
	.section	.AMDGPU.csdata,"",@progbits
; Kernel info:
; codeLenInByte = 0
; NumSgprs: 0
; NumVgprs: 0
; ScratchSize: 0
; MemoryBound: 0
; FloatMode: 240
; IeeeMode: 1
; LDSByteSize: 0 bytes/workgroup (compile time only)
; SGPRBlocks: 0
; VGPRBlocks: 0
; NumSGPRsForWavesPerEU: 1
; NumVGPRsForWavesPerEU: 1
; Occupancy: 16
; WaveLimiterHint : 0
; COMPUTE_PGM_RSRC2:SCRATCH_EN: 0
; COMPUTE_PGM_RSRC2:USER_SGPR: 15
; COMPUTE_PGM_RSRC2:TRAP_HANDLER: 0
; COMPUTE_PGM_RSRC2:TGID_X_EN: 1
; COMPUTE_PGM_RSRC2:TGID_Y_EN: 0
; COMPUTE_PGM_RSRC2:TGID_Z_EN: 0
; COMPUTE_PGM_RSRC2:TIDIG_COMP_CNT: 0
	.section	.text._ZN7rocprim17ROCPRIM_400000_NS6detail17trampoline_kernelINS0_14default_configENS1_36segmented_radix_sort_config_selectorI12hip_bfloat16lEEZNS1_25segmented_radix_sort_implIS3_Lb0EPKS5_PS5_PKlPlN2at6native12_GLOBAL__N_18offset_tEEE10hipError_tPvRmT1_PNSt15iterator_traitsISL_E10value_typeET2_T3_PNSM_ISR_E10value_typeET4_jRbjT5_SX_jjP12ihipStream_tbEUlT_E2_NS1_11comp_targetILNS1_3genE0ELNS1_11target_archE4294967295ELNS1_3gpuE0ELNS1_3repE0EEENS1_30default_config_static_selectorELNS0_4arch9wavefront6targetE0EEEvSL_,"axG",@progbits,_ZN7rocprim17ROCPRIM_400000_NS6detail17trampoline_kernelINS0_14default_configENS1_36segmented_radix_sort_config_selectorI12hip_bfloat16lEEZNS1_25segmented_radix_sort_implIS3_Lb0EPKS5_PS5_PKlPlN2at6native12_GLOBAL__N_18offset_tEEE10hipError_tPvRmT1_PNSt15iterator_traitsISL_E10value_typeET2_T3_PNSM_ISR_E10value_typeET4_jRbjT5_SX_jjP12ihipStream_tbEUlT_E2_NS1_11comp_targetILNS1_3genE0ELNS1_11target_archE4294967295ELNS1_3gpuE0ELNS1_3repE0EEENS1_30default_config_static_selectorELNS0_4arch9wavefront6targetE0EEEvSL_,comdat
	.globl	_ZN7rocprim17ROCPRIM_400000_NS6detail17trampoline_kernelINS0_14default_configENS1_36segmented_radix_sort_config_selectorI12hip_bfloat16lEEZNS1_25segmented_radix_sort_implIS3_Lb0EPKS5_PS5_PKlPlN2at6native12_GLOBAL__N_18offset_tEEE10hipError_tPvRmT1_PNSt15iterator_traitsISL_E10value_typeET2_T3_PNSM_ISR_E10value_typeET4_jRbjT5_SX_jjP12ihipStream_tbEUlT_E2_NS1_11comp_targetILNS1_3genE0ELNS1_11target_archE4294967295ELNS1_3gpuE0ELNS1_3repE0EEENS1_30default_config_static_selectorELNS0_4arch9wavefront6targetE0EEEvSL_ ; -- Begin function _ZN7rocprim17ROCPRIM_400000_NS6detail17trampoline_kernelINS0_14default_configENS1_36segmented_radix_sort_config_selectorI12hip_bfloat16lEEZNS1_25segmented_radix_sort_implIS3_Lb0EPKS5_PS5_PKlPlN2at6native12_GLOBAL__N_18offset_tEEE10hipError_tPvRmT1_PNSt15iterator_traitsISL_E10value_typeET2_T3_PNSM_ISR_E10value_typeET4_jRbjT5_SX_jjP12ihipStream_tbEUlT_E2_NS1_11comp_targetILNS1_3genE0ELNS1_11target_archE4294967295ELNS1_3gpuE0ELNS1_3repE0EEENS1_30default_config_static_selectorELNS0_4arch9wavefront6targetE0EEEvSL_
	.p2align	8
	.type	_ZN7rocprim17ROCPRIM_400000_NS6detail17trampoline_kernelINS0_14default_configENS1_36segmented_radix_sort_config_selectorI12hip_bfloat16lEEZNS1_25segmented_radix_sort_implIS3_Lb0EPKS5_PS5_PKlPlN2at6native12_GLOBAL__N_18offset_tEEE10hipError_tPvRmT1_PNSt15iterator_traitsISL_E10value_typeET2_T3_PNSM_ISR_E10value_typeET4_jRbjT5_SX_jjP12ihipStream_tbEUlT_E2_NS1_11comp_targetILNS1_3genE0ELNS1_11target_archE4294967295ELNS1_3gpuE0ELNS1_3repE0EEENS1_30default_config_static_selectorELNS0_4arch9wavefront6targetE0EEEvSL_,@function
_ZN7rocprim17ROCPRIM_400000_NS6detail17trampoline_kernelINS0_14default_configENS1_36segmented_radix_sort_config_selectorI12hip_bfloat16lEEZNS1_25segmented_radix_sort_implIS3_Lb0EPKS5_PS5_PKlPlN2at6native12_GLOBAL__N_18offset_tEEE10hipError_tPvRmT1_PNSt15iterator_traitsISL_E10value_typeET2_T3_PNSM_ISR_E10value_typeET4_jRbjT5_SX_jjP12ihipStream_tbEUlT_E2_NS1_11comp_targetILNS1_3genE0ELNS1_11target_archE4294967295ELNS1_3gpuE0ELNS1_3repE0EEENS1_30default_config_static_selectorELNS0_4arch9wavefront6targetE0EEEvSL_: ; @_ZN7rocprim17ROCPRIM_400000_NS6detail17trampoline_kernelINS0_14default_configENS1_36segmented_radix_sort_config_selectorI12hip_bfloat16lEEZNS1_25segmented_radix_sort_implIS3_Lb0EPKS5_PS5_PKlPlN2at6native12_GLOBAL__N_18offset_tEEE10hipError_tPvRmT1_PNSt15iterator_traitsISL_E10value_typeET2_T3_PNSM_ISR_E10value_typeET4_jRbjT5_SX_jjP12ihipStream_tbEUlT_E2_NS1_11comp_targetILNS1_3genE0ELNS1_11target_archE4294967295ELNS1_3gpuE0ELNS1_3repE0EEENS1_30default_config_static_selectorELNS0_4arch9wavefront6targetE0EEEvSL_
; %bb.0:
	.section	.rodata,"a",@progbits
	.p2align	6, 0x0
	.amdhsa_kernel _ZN7rocprim17ROCPRIM_400000_NS6detail17trampoline_kernelINS0_14default_configENS1_36segmented_radix_sort_config_selectorI12hip_bfloat16lEEZNS1_25segmented_radix_sort_implIS3_Lb0EPKS5_PS5_PKlPlN2at6native12_GLOBAL__N_18offset_tEEE10hipError_tPvRmT1_PNSt15iterator_traitsISL_E10value_typeET2_T3_PNSM_ISR_E10value_typeET4_jRbjT5_SX_jjP12ihipStream_tbEUlT_E2_NS1_11comp_targetILNS1_3genE0ELNS1_11target_archE4294967295ELNS1_3gpuE0ELNS1_3repE0EEENS1_30default_config_static_selectorELNS0_4arch9wavefront6targetE0EEEvSL_
		.amdhsa_group_segment_fixed_size 0
		.amdhsa_private_segment_fixed_size 0
		.amdhsa_kernarg_size 80
		.amdhsa_user_sgpr_count 15
		.amdhsa_user_sgpr_dispatch_ptr 0
		.amdhsa_user_sgpr_queue_ptr 0
		.amdhsa_user_sgpr_kernarg_segment_ptr 1
		.amdhsa_user_sgpr_dispatch_id 0
		.amdhsa_user_sgpr_private_segment_size 0
		.amdhsa_wavefront_size32 1
		.amdhsa_uses_dynamic_stack 0
		.amdhsa_enable_private_segment 0
		.amdhsa_system_sgpr_workgroup_id_x 1
		.amdhsa_system_sgpr_workgroup_id_y 0
		.amdhsa_system_sgpr_workgroup_id_z 0
		.amdhsa_system_sgpr_workgroup_info 0
		.amdhsa_system_vgpr_workitem_id 0
		.amdhsa_next_free_vgpr 1
		.amdhsa_next_free_sgpr 1
		.amdhsa_reserve_vcc 0
		.amdhsa_float_round_mode_32 0
		.amdhsa_float_round_mode_16_64 0
		.amdhsa_float_denorm_mode_32 3
		.amdhsa_float_denorm_mode_16_64 3
		.amdhsa_dx10_clamp 1
		.amdhsa_ieee_mode 1
		.amdhsa_fp16_overflow 0
		.amdhsa_workgroup_processor_mode 1
		.amdhsa_memory_ordered 1
		.amdhsa_forward_progress 0
		.amdhsa_shared_vgpr_count 0
		.amdhsa_exception_fp_ieee_invalid_op 0
		.amdhsa_exception_fp_denorm_src 0
		.amdhsa_exception_fp_ieee_div_zero 0
		.amdhsa_exception_fp_ieee_overflow 0
		.amdhsa_exception_fp_ieee_underflow 0
		.amdhsa_exception_fp_ieee_inexact 0
		.amdhsa_exception_int_div_zero 0
	.end_amdhsa_kernel
	.section	.text._ZN7rocprim17ROCPRIM_400000_NS6detail17trampoline_kernelINS0_14default_configENS1_36segmented_radix_sort_config_selectorI12hip_bfloat16lEEZNS1_25segmented_radix_sort_implIS3_Lb0EPKS5_PS5_PKlPlN2at6native12_GLOBAL__N_18offset_tEEE10hipError_tPvRmT1_PNSt15iterator_traitsISL_E10value_typeET2_T3_PNSM_ISR_E10value_typeET4_jRbjT5_SX_jjP12ihipStream_tbEUlT_E2_NS1_11comp_targetILNS1_3genE0ELNS1_11target_archE4294967295ELNS1_3gpuE0ELNS1_3repE0EEENS1_30default_config_static_selectorELNS0_4arch9wavefront6targetE0EEEvSL_,"axG",@progbits,_ZN7rocprim17ROCPRIM_400000_NS6detail17trampoline_kernelINS0_14default_configENS1_36segmented_radix_sort_config_selectorI12hip_bfloat16lEEZNS1_25segmented_radix_sort_implIS3_Lb0EPKS5_PS5_PKlPlN2at6native12_GLOBAL__N_18offset_tEEE10hipError_tPvRmT1_PNSt15iterator_traitsISL_E10value_typeET2_T3_PNSM_ISR_E10value_typeET4_jRbjT5_SX_jjP12ihipStream_tbEUlT_E2_NS1_11comp_targetILNS1_3genE0ELNS1_11target_archE4294967295ELNS1_3gpuE0ELNS1_3repE0EEENS1_30default_config_static_selectorELNS0_4arch9wavefront6targetE0EEEvSL_,comdat
.Lfunc_end2079:
	.size	_ZN7rocprim17ROCPRIM_400000_NS6detail17trampoline_kernelINS0_14default_configENS1_36segmented_radix_sort_config_selectorI12hip_bfloat16lEEZNS1_25segmented_radix_sort_implIS3_Lb0EPKS5_PS5_PKlPlN2at6native12_GLOBAL__N_18offset_tEEE10hipError_tPvRmT1_PNSt15iterator_traitsISL_E10value_typeET2_T3_PNSM_ISR_E10value_typeET4_jRbjT5_SX_jjP12ihipStream_tbEUlT_E2_NS1_11comp_targetILNS1_3genE0ELNS1_11target_archE4294967295ELNS1_3gpuE0ELNS1_3repE0EEENS1_30default_config_static_selectorELNS0_4arch9wavefront6targetE0EEEvSL_, .Lfunc_end2079-_ZN7rocprim17ROCPRIM_400000_NS6detail17trampoline_kernelINS0_14default_configENS1_36segmented_radix_sort_config_selectorI12hip_bfloat16lEEZNS1_25segmented_radix_sort_implIS3_Lb0EPKS5_PS5_PKlPlN2at6native12_GLOBAL__N_18offset_tEEE10hipError_tPvRmT1_PNSt15iterator_traitsISL_E10value_typeET2_T3_PNSM_ISR_E10value_typeET4_jRbjT5_SX_jjP12ihipStream_tbEUlT_E2_NS1_11comp_targetILNS1_3genE0ELNS1_11target_archE4294967295ELNS1_3gpuE0ELNS1_3repE0EEENS1_30default_config_static_selectorELNS0_4arch9wavefront6targetE0EEEvSL_
                                        ; -- End function
	.section	.AMDGPU.csdata,"",@progbits
; Kernel info:
; codeLenInByte = 0
; NumSgprs: 0
; NumVgprs: 0
; ScratchSize: 0
; MemoryBound: 0
; FloatMode: 240
; IeeeMode: 1
; LDSByteSize: 0 bytes/workgroup (compile time only)
; SGPRBlocks: 0
; VGPRBlocks: 0
; NumSGPRsForWavesPerEU: 1
; NumVGPRsForWavesPerEU: 1
; Occupancy: 16
; WaveLimiterHint : 0
; COMPUTE_PGM_RSRC2:SCRATCH_EN: 0
; COMPUTE_PGM_RSRC2:USER_SGPR: 15
; COMPUTE_PGM_RSRC2:TRAP_HANDLER: 0
; COMPUTE_PGM_RSRC2:TGID_X_EN: 1
; COMPUTE_PGM_RSRC2:TGID_Y_EN: 0
; COMPUTE_PGM_RSRC2:TGID_Z_EN: 0
; COMPUTE_PGM_RSRC2:TIDIG_COMP_CNT: 0
	.section	.text._ZN7rocprim17ROCPRIM_400000_NS6detail17trampoline_kernelINS0_14default_configENS1_36segmented_radix_sort_config_selectorI12hip_bfloat16lEEZNS1_25segmented_radix_sort_implIS3_Lb0EPKS5_PS5_PKlPlN2at6native12_GLOBAL__N_18offset_tEEE10hipError_tPvRmT1_PNSt15iterator_traitsISL_E10value_typeET2_T3_PNSM_ISR_E10value_typeET4_jRbjT5_SX_jjP12ihipStream_tbEUlT_E2_NS1_11comp_targetILNS1_3genE5ELNS1_11target_archE942ELNS1_3gpuE9ELNS1_3repE0EEENS1_30default_config_static_selectorELNS0_4arch9wavefront6targetE0EEEvSL_,"axG",@progbits,_ZN7rocprim17ROCPRIM_400000_NS6detail17trampoline_kernelINS0_14default_configENS1_36segmented_radix_sort_config_selectorI12hip_bfloat16lEEZNS1_25segmented_radix_sort_implIS3_Lb0EPKS5_PS5_PKlPlN2at6native12_GLOBAL__N_18offset_tEEE10hipError_tPvRmT1_PNSt15iterator_traitsISL_E10value_typeET2_T3_PNSM_ISR_E10value_typeET4_jRbjT5_SX_jjP12ihipStream_tbEUlT_E2_NS1_11comp_targetILNS1_3genE5ELNS1_11target_archE942ELNS1_3gpuE9ELNS1_3repE0EEENS1_30default_config_static_selectorELNS0_4arch9wavefront6targetE0EEEvSL_,comdat
	.globl	_ZN7rocprim17ROCPRIM_400000_NS6detail17trampoline_kernelINS0_14default_configENS1_36segmented_radix_sort_config_selectorI12hip_bfloat16lEEZNS1_25segmented_radix_sort_implIS3_Lb0EPKS5_PS5_PKlPlN2at6native12_GLOBAL__N_18offset_tEEE10hipError_tPvRmT1_PNSt15iterator_traitsISL_E10value_typeET2_T3_PNSM_ISR_E10value_typeET4_jRbjT5_SX_jjP12ihipStream_tbEUlT_E2_NS1_11comp_targetILNS1_3genE5ELNS1_11target_archE942ELNS1_3gpuE9ELNS1_3repE0EEENS1_30default_config_static_selectorELNS0_4arch9wavefront6targetE0EEEvSL_ ; -- Begin function _ZN7rocprim17ROCPRIM_400000_NS6detail17trampoline_kernelINS0_14default_configENS1_36segmented_radix_sort_config_selectorI12hip_bfloat16lEEZNS1_25segmented_radix_sort_implIS3_Lb0EPKS5_PS5_PKlPlN2at6native12_GLOBAL__N_18offset_tEEE10hipError_tPvRmT1_PNSt15iterator_traitsISL_E10value_typeET2_T3_PNSM_ISR_E10value_typeET4_jRbjT5_SX_jjP12ihipStream_tbEUlT_E2_NS1_11comp_targetILNS1_3genE5ELNS1_11target_archE942ELNS1_3gpuE9ELNS1_3repE0EEENS1_30default_config_static_selectorELNS0_4arch9wavefront6targetE0EEEvSL_
	.p2align	8
	.type	_ZN7rocprim17ROCPRIM_400000_NS6detail17trampoline_kernelINS0_14default_configENS1_36segmented_radix_sort_config_selectorI12hip_bfloat16lEEZNS1_25segmented_radix_sort_implIS3_Lb0EPKS5_PS5_PKlPlN2at6native12_GLOBAL__N_18offset_tEEE10hipError_tPvRmT1_PNSt15iterator_traitsISL_E10value_typeET2_T3_PNSM_ISR_E10value_typeET4_jRbjT5_SX_jjP12ihipStream_tbEUlT_E2_NS1_11comp_targetILNS1_3genE5ELNS1_11target_archE942ELNS1_3gpuE9ELNS1_3repE0EEENS1_30default_config_static_selectorELNS0_4arch9wavefront6targetE0EEEvSL_,@function
_ZN7rocprim17ROCPRIM_400000_NS6detail17trampoline_kernelINS0_14default_configENS1_36segmented_radix_sort_config_selectorI12hip_bfloat16lEEZNS1_25segmented_radix_sort_implIS3_Lb0EPKS5_PS5_PKlPlN2at6native12_GLOBAL__N_18offset_tEEE10hipError_tPvRmT1_PNSt15iterator_traitsISL_E10value_typeET2_T3_PNSM_ISR_E10value_typeET4_jRbjT5_SX_jjP12ihipStream_tbEUlT_E2_NS1_11comp_targetILNS1_3genE5ELNS1_11target_archE942ELNS1_3gpuE9ELNS1_3repE0EEENS1_30default_config_static_selectorELNS0_4arch9wavefront6targetE0EEEvSL_: ; @_ZN7rocprim17ROCPRIM_400000_NS6detail17trampoline_kernelINS0_14default_configENS1_36segmented_radix_sort_config_selectorI12hip_bfloat16lEEZNS1_25segmented_radix_sort_implIS3_Lb0EPKS5_PS5_PKlPlN2at6native12_GLOBAL__N_18offset_tEEE10hipError_tPvRmT1_PNSt15iterator_traitsISL_E10value_typeET2_T3_PNSM_ISR_E10value_typeET4_jRbjT5_SX_jjP12ihipStream_tbEUlT_E2_NS1_11comp_targetILNS1_3genE5ELNS1_11target_archE942ELNS1_3gpuE9ELNS1_3repE0EEENS1_30default_config_static_selectorELNS0_4arch9wavefront6targetE0EEEvSL_
; %bb.0:
	.section	.rodata,"a",@progbits
	.p2align	6, 0x0
	.amdhsa_kernel _ZN7rocprim17ROCPRIM_400000_NS6detail17trampoline_kernelINS0_14default_configENS1_36segmented_radix_sort_config_selectorI12hip_bfloat16lEEZNS1_25segmented_radix_sort_implIS3_Lb0EPKS5_PS5_PKlPlN2at6native12_GLOBAL__N_18offset_tEEE10hipError_tPvRmT1_PNSt15iterator_traitsISL_E10value_typeET2_T3_PNSM_ISR_E10value_typeET4_jRbjT5_SX_jjP12ihipStream_tbEUlT_E2_NS1_11comp_targetILNS1_3genE5ELNS1_11target_archE942ELNS1_3gpuE9ELNS1_3repE0EEENS1_30default_config_static_selectorELNS0_4arch9wavefront6targetE0EEEvSL_
		.amdhsa_group_segment_fixed_size 0
		.amdhsa_private_segment_fixed_size 0
		.amdhsa_kernarg_size 80
		.amdhsa_user_sgpr_count 15
		.amdhsa_user_sgpr_dispatch_ptr 0
		.amdhsa_user_sgpr_queue_ptr 0
		.amdhsa_user_sgpr_kernarg_segment_ptr 1
		.amdhsa_user_sgpr_dispatch_id 0
		.amdhsa_user_sgpr_private_segment_size 0
		.amdhsa_wavefront_size32 1
		.amdhsa_uses_dynamic_stack 0
		.amdhsa_enable_private_segment 0
		.amdhsa_system_sgpr_workgroup_id_x 1
		.amdhsa_system_sgpr_workgroup_id_y 0
		.amdhsa_system_sgpr_workgroup_id_z 0
		.amdhsa_system_sgpr_workgroup_info 0
		.amdhsa_system_vgpr_workitem_id 0
		.amdhsa_next_free_vgpr 1
		.amdhsa_next_free_sgpr 1
		.amdhsa_reserve_vcc 0
		.amdhsa_float_round_mode_32 0
		.amdhsa_float_round_mode_16_64 0
		.amdhsa_float_denorm_mode_32 3
		.amdhsa_float_denorm_mode_16_64 3
		.amdhsa_dx10_clamp 1
		.amdhsa_ieee_mode 1
		.amdhsa_fp16_overflow 0
		.amdhsa_workgroup_processor_mode 1
		.amdhsa_memory_ordered 1
		.amdhsa_forward_progress 0
		.amdhsa_shared_vgpr_count 0
		.amdhsa_exception_fp_ieee_invalid_op 0
		.amdhsa_exception_fp_denorm_src 0
		.amdhsa_exception_fp_ieee_div_zero 0
		.amdhsa_exception_fp_ieee_overflow 0
		.amdhsa_exception_fp_ieee_underflow 0
		.amdhsa_exception_fp_ieee_inexact 0
		.amdhsa_exception_int_div_zero 0
	.end_amdhsa_kernel
	.section	.text._ZN7rocprim17ROCPRIM_400000_NS6detail17trampoline_kernelINS0_14default_configENS1_36segmented_radix_sort_config_selectorI12hip_bfloat16lEEZNS1_25segmented_radix_sort_implIS3_Lb0EPKS5_PS5_PKlPlN2at6native12_GLOBAL__N_18offset_tEEE10hipError_tPvRmT1_PNSt15iterator_traitsISL_E10value_typeET2_T3_PNSM_ISR_E10value_typeET4_jRbjT5_SX_jjP12ihipStream_tbEUlT_E2_NS1_11comp_targetILNS1_3genE5ELNS1_11target_archE942ELNS1_3gpuE9ELNS1_3repE0EEENS1_30default_config_static_selectorELNS0_4arch9wavefront6targetE0EEEvSL_,"axG",@progbits,_ZN7rocprim17ROCPRIM_400000_NS6detail17trampoline_kernelINS0_14default_configENS1_36segmented_radix_sort_config_selectorI12hip_bfloat16lEEZNS1_25segmented_radix_sort_implIS3_Lb0EPKS5_PS5_PKlPlN2at6native12_GLOBAL__N_18offset_tEEE10hipError_tPvRmT1_PNSt15iterator_traitsISL_E10value_typeET2_T3_PNSM_ISR_E10value_typeET4_jRbjT5_SX_jjP12ihipStream_tbEUlT_E2_NS1_11comp_targetILNS1_3genE5ELNS1_11target_archE942ELNS1_3gpuE9ELNS1_3repE0EEENS1_30default_config_static_selectorELNS0_4arch9wavefront6targetE0EEEvSL_,comdat
.Lfunc_end2080:
	.size	_ZN7rocprim17ROCPRIM_400000_NS6detail17trampoline_kernelINS0_14default_configENS1_36segmented_radix_sort_config_selectorI12hip_bfloat16lEEZNS1_25segmented_radix_sort_implIS3_Lb0EPKS5_PS5_PKlPlN2at6native12_GLOBAL__N_18offset_tEEE10hipError_tPvRmT1_PNSt15iterator_traitsISL_E10value_typeET2_T3_PNSM_ISR_E10value_typeET4_jRbjT5_SX_jjP12ihipStream_tbEUlT_E2_NS1_11comp_targetILNS1_3genE5ELNS1_11target_archE942ELNS1_3gpuE9ELNS1_3repE0EEENS1_30default_config_static_selectorELNS0_4arch9wavefront6targetE0EEEvSL_, .Lfunc_end2080-_ZN7rocprim17ROCPRIM_400000_NS6detail17trampoline_kernelINS0_14default_configENS1_36segmented_radix_sort_config_selectorI12hip_bfloat16lEEZNS1_25segmented_radix_sort_implIS3_Lb0EPKS5_PS5_PKlPlN2at6native12_GLOBAL__N_18offset_tEEE10hipError_tPvRmT1_PNSt15iterator_traitsISL_E10value_typeET2_T3_PNSM_ISR_E10value_typeET4_jRbjT5_SX_jjP12ihipStream_tbEUlT_E2_NS1_11comp_targetILNS1_3genE5ELNS1_11target_archE942ELNS1_3gpuE9ELNS1_3repE0EEENS1_30default_config_static_selectorELNS0_4arch9wavefront6targetE0EEEvSL_
                                        ; -- End function
	.section	.AMDGPU.csdata,"",@progbits
; Kernel info:
; codeLenInByte = 0
; NumSgprs: 0
; NumVgprs: 0
; ScratchSize: 0
; MemoryBound: 0
; FloatMode: 240
; IeeeMode: 1
; LDSByteSize: 0 bytes/workgroup (compile time only)
; SGPRBlocks: 0
; VGPRBlocks: 0
; NumSGPRsForWavesPerEU: 1
; NumVGPRsForWavesPerEU: 1
; Occupancy: 16
; WaveLimiterHint : 0
; COMPUTE_PGM_RSRC2:SCRATCH_EN: 0
; COMPUTE_PGM_RSRC2:USER_SGPR: 15
; COMPUTE_PGM_RSRC2:TRAP_HANDLER: 0
; COMPUTE_PGM_RSRC2:TGID_X_EN: 1
; COMPUTE_PGM_RSRC2:TGID_Y_EN: 0
; COMPUTE_PGM_RSRC2:TGID_Z_EN: 0
; COMPUTE_PGM_RSRC2:TIDIG_COMP_CNT: 0
	.section	.text._ZN7rocprim17ROCPRIM_400000_NS6detail17trampoline_kernelINS0_14default_configENS1_36segmented_radix_sort_config_selectorI12hip_bfloat16lEEZNS1_25segmented_radix_sort_implIS3_Lb0EPKS5_PS5_PKlPlN2at6native12_GLOBAL__N_18offset_tEEE10hipError_tPvRmT1_PNSt15iterator_traitsISL_E10value_typeET2_T3_PNSM_ISR_E10value_typeET4_jRbjT5_SX_jjP12ihipStream_tbEUlT_E2_NS1_11comp_targetILNS1_3genE4ELNS1_11target_archE910ELNS1_3gpuE8ELNS1_3repE0EEENS1_30default_config_static_selectorELNS0_4arch9wavefront6targetE0EEEvSL_,"axG",@progbits,_ZN7rocprim17ROCPRIM_400000_NS6detail17trampoline_kernelINS0_14default_configENS1_36segmented_radix_sort_config_selectorI12hip_bfloat16lEEZNS1_25segmented_radix_sort_implIS3_Lb0EPKS5_PS5_PKlPlN2at6native12_GLOBAL__N_18offset_tEEE10hipError_tPvRmT1_PNSt15iterator_traitsISL_E10value_typeET2_T3_PNSM_ISR_E10value_typeET4_jRbjT5_SX_jjP12ihipStream_tbEUlT_E2_NS1_11comp_targetILNS1_3genE4ELNS1_11target_archE910ELNS1_3gpuE8ELNS1_3repE0EEENS1_30default_config_static_selectorELNS0_4arch9wavefront6targetE0EEEvSL_,comdat
	.globl	_ZN7rocprim17ROCPRIM_400000_NS6detail17trampoline_kernelINS0_14default_configENS1_36segmented_radix_sort_config_selectorI12hip_bfloat16lEEZNS1_25segmented_radix_sort_implIS3_Lb0EPKS5_PS5_PKlPlN2at6native12_GLOBAL__N_18offset_tEEE10hipError_tPvRmT1_PNSt15iterator_traitsISL_E10value_typeET2_T3_PNSM_ISR_E10value_typeET4_jRbjT5_SX_jjP12ihipStream_tbEUlT_E2_NS1_11comp_targetILNS1_3genE4ELNS1_11target_archE910ELNS1_3gpuE8ELNS1_3repE0EEENS1_30default_config_static_selectorELNS0_4arch9wavefront6targetE0EEEvSL_ ; -- Begin function _ZN7rocprim17ROCPRIM_400000_NS6detail17trampoline_kernelINS0_14default_configENS1_36segmented_radix_sort_config_selectorI12hip_bfloat16lEEZNS1_25segmented_radix_sort_implIS3_Lb0EPKS5_PS5_PKlPlN2at6native12_GLOBAL__N_18offset_tEEE10hipError_tPvRmT1_PNSt15iterator_traitsISL_E10value_typeET2_T3_PNSM_ISR_E10value_typeET4_jRbjT5_SX_jjP12ihipStream_tbEUlT_E2_NS1_11comp_targetILNS1_3genE4ELNS1_11target_archE910ELNS1_3gpuE8ELNS1_3repE0EEENS1_30default_config_static_selectorELNS0_4arch9wavefront6targetE0EEEvSL_
	.p2align	8
	.type	_ZN7rocprim17ROCPRIM_400000_NS6detail17trampoline_kernelINS0_14default_configENS1_36segmented_radix_sort_config_selectorI12hip_bfloat16lEEZNS1_25segmented_radix_sort_implIS3_Lb0EPKS5_PS5_PKlPlN2at6native12_GLOBAL__N_18offset_tEEE10hipError_tPvRmT1_PNSt15iterator_traitsISL_E10value_typeET2_T3_PNSM_ISR_E10value_typeET4_jRbjT5_SX_jjP12ihipStream_tbEUlT_E2_NS1_11comp_targetILNS1_3genE4ELNS1_11target_archE910ELNS1_3gpuE8ELNS1_3repE0EEENS1_30default_config_static_selectorELNS0_4arch9wavefront6targetE0EEEvSL_,@function
_ZN7rocprim17ROCPRIM_400000_NS6detail17trampoline_kernelINS0_14default_configENS1_36segmented_radix_sort_config_selectorI12hip_bfloat16lEEZNS1_25segmented_radix_sort_implIS3_Lb0EPKS5_PS5_PKlPlN2at6native12_GLOBAL__N_18offset_tEEE10hipError_tPvRmT1_PNSt15iterator_traitsISL_E10value_typeET2_T3_PNSM_ISR_E10value_typeET4_jRbjT5_SX_jjP12ihipStream_tbEUlT_E2_NS1_11comp_targetILNS1_3genE4ELNS1_11target_archE910ELNS1_3gpuE8ELNS1_3repE0EEENS1_30default_config_static_selectorELNS0_4arch9wavefront6targetE0EEEvSL_: ; @_ZN7rocprim17ROCPRIM_400000_NS6detail17trampoline_kernelINS0_14default_configENS1_36segmented_radix_sort_config_selectorI12hip_bfloat16lEEZNS1_25segmented_radix_sort_implIS3_Lb0EPKS5_PS5_PKlPlN2at6native12_GLOBAL__N_18offset_tEEE10hipError_tPvRmT1_PNSt15iterator_traitsISL_E10value_typeET2_T3_PNSM_ISR_E10value_typeET4_jRbjT5_SX_jjP12ihipStream_tbEUlT_E2_NS1_11comp_targetILNS1_3genE4ELNS1_11target_archE910ELNS1_3gpuE8ELNS1_3repE0EEENS1_30default_config_static_selectorELNS0_4arch9wavefront6targetE0EEEvSL_
; %bb.0:
	.section	.rodata,"a",@progbits
	.p2align	6, 0x0
	.amdhsa_kernel _ZN7rocprim17ROCPRIM_400000_NS6detail17trampoline_kernelINS0_14default_configENS1_36segmented_radix_sort_config_selectorI12hip_bfloat16lEEZNS1_25segmented_radix_sort_implIS3_Lb0EPKS5_PS5_PKlPlN2at6native12_GLOBAL__N_18offset_tEEE10hipError_tPvRmT1_PNSt15iterator_traitsISL_E10value_typeET2_T3_PNSM_ISR_E10value_typeET4_jRbjT5_SX_jjP12ihipStream_tbEUlT_E2_NS1_11comp_targetILNS1_3genE4ELNS1_11target_archE910ELNS1_3gpuE8ELNS1_3repE0EEENS1_30default_config_static_selectorELNS0_4arch9wavefront6targetE0EEEvSL_
		.amdhsa_group_segment_fixed_size 0
		.amdhsa_private_segment_fixed_size 0
		.amdhsa_kernarg_size 80
		.amdhsa_user_sgpr_count 15
		.amdhsa_user_sgpr_dispatch_ptr 0
		.amdhsa_user_sgpr_queue_ptr 0
		.amdhsa_user_sgpr_kernarg_segment_ptr 1
		.amdhsa_user_sgpr_dispatch_id 0
		.amdhsa_user_sgpr_private_segment_size 0
		.amdhsa_wavefront_size32 1
		.amdhsa_uses_dynamic_stack 0
		.amdhsa_enable_private_segment 0
		.amdhsa_system_sgpr_workgroup_id_x 1
		.amdhsa_system_sgpr_workgroup_id_y 0
		.amdhsa_system_sgpr_workgroup_id_z 0
		.amdhsa_system_sgpr_workgroup_info 0
		.amdhsa_system_vgpr_workitem_id 0
		.amdhsa_next_free_vgpr 1
		.amdhsa_next_free_sgpr 1
		.amdhsa_reserve_vcc 0
		.amdhsa_float_round_mode_32 0
		.amdhsa_float_round_mode_16_64 0
		.amdhsa_float_denorm_mode_32 3
		.amdhsa_float_denorm_mode_16_64 3
		.amdhsa_dx10_clamp 1
		.amdhsa_ieee_mode 1
		.amdhsa_fp16_overflow 0
		.amdhsa_workgroup_processor_mode 1
		.amdhsa_memory_ordered 1
		.amdhsa_forward_progress 0
		.amdhsa_shared_vgpr_count 0
		.amdhsa_exception_fp_ieee_invalid_op 0
		.amdhsa_exception_fp_denorm_src 0
		.amdhsa_exception_fp_ieee_div_zero 0
		.amdhsa_exception_fp_ieee_overflow 0
		.amdhsa_exception_fp_ieee_underflow 0
		.amdhsa_exception_fp_ieee_inexact 0
		.amdhsa_exception_int_div_zero 0
	.end_amdhsa_kernel
	.section	.text._ZN7rocprim17ROCPRIM_400000_NS6detail17trampoline_kernelINS0_14default_configENS1_36segmented_radix_sort_config_selectorI12hip_bfloat16lEEZNS1_25segmented_radix_sort_implIS3_Lb0EPKS5_PS5_PKlPlN2at6native12_GLOBAL__N_18offset_tEEE10hipError_tPvRmT1_PNSt15iterator_traitsISL_E10value_typeET2_T3_PNSM_ISR_E10value_typeET4_jRbjT5_SX_jjP12ihipStream_tbEUlT_E2_NS1_11comp_targetILNS1_3genE4ELNS1_11target_archE910ELNS1_3gpuE8ELNS1_3repE0EEENS1_30default_config_static_selectorELNS0_4arch9wavefront6targetE0EEEvSL_,"axG",@progbits,_ZN7rocprim17ROCPRIM_400000_NS6detail17trampoline_kernelINS0_14default_configENS1_36segmented_radix_sort_config_selectorI12hip_bfloat16lEEZNS1_25segmented_radix_sort_implIS3_Lb0EPKS5_PS5_PKlPlN2at6native12_GLOBAL__N_18offset_tEEE10hipError_tPvRmT1_PNSt15iterator_traitsISL_E10value_typeET2_T3_PNSM_ISR_E10value_typeET4_jRbjT5_SX_jjP12ihipStream_tbEUlT_E2_NS1_11comp_targetILNS1_3genE4ELNS1_11target_archE910ELNS1_3gpuE8ELNS1_3repE0EEENS1_30default_config_static_selectorELNS0_4arch9wavefront6targetE0EEEvSL_,comdat
.Lfunc_end2081:
	.size	_ZN7rocprim17ROCPRIM_400000_NS6detail17trampoline_kernelINS0_14default_configENS1_36segmented_radix_sort_config_selectorI12hip_bfloat16lEEZNS1_25segmented_radix_sort_implIS3_Lb0EPKS5_PS5_PKlPlN2at6native12_GLOBAL__N_18offset_tEEE10hipError_tPvRmT1_PNSt15iterator_traitsISL_E10value_typeET2_T3_PNSM_ISR_E10value_typeET4_jRbjT5_SX_jjP12ihipStream_tbEUlT_E2_NS1_11comp_targetILNS1_3genE4ELNS1_11target_archE910ELNS1_3gpuE8ELNS1_3repE0EEENS1_30default_config_static_selectorELNS0_4arch9wavefront6targetE0EEEvSL_, .Lfunc_end2081-_ZN7rocprim17ROCPRIM_400000_NS6detail17trampoline_kernelINS0_14default_configENS1_36segmented_radix_sort_config_selectorI12hip_bfloat16lEEZNS1_25segmented_radix_sort_implIS3_Lb0EPKS5_PS5_PKlPlN2at6native12_GLOBAL__N_18offset_tEEE10hipError_tPvRmT1_PNSt15iterator_traitsISL_E10value_typeET2_T3_PNSM_ISR_E10value_typeET4_jRbjT5_SX_jjP12ihipStream_tbEUlT_E2_NS1_11comp_targetILNS1_3genE4ELNS1_11target_archE910ELNS1_3gpuE8ELNS1_3repE0EEENS1_30default_config_static_selectorELNS0_4arch9wavefront6targetE0EEEvSL_
                                        ; -- End function
	.section	.AMDGPU.csdata,"",@progbits
; Kernel info:
; codeLenInByte = 0
; NumSgprs: 0
; NumVgprs: 0
; ScratchSize: 0
; MemoryBound: 0
; FloatMode: 240
; IeeeMode: 1
; LDSByteSize: 0 bytes/workgroup (compile time only)
; SGPRBlocks: 0
; VGPRBlocks: 0
; NumSGPRsForWavesPerEU: 1
; NumVGPRsForWavesPerEU: 1
; Occupancy: 16
; WaveLimiterHint : 0
; COMPUTE_PGM_RSRC2:SCRATCH_EN: 0
; COMPUTE_PGM_RSRC2:USER_SGPR: 15
; COMPUTE_PGM_RSRC2:TRAP_HANDLER: 0
; COMPUTE_PGM_RSRC2:TGID_X_EN: 1
; COMPUTE_PGM_RSRC2:TGID_Y_EN: 0
; COMPUTE_PGM_RSRC2:TGID_Z_EN: 0
; COMPUTE_PGM_RSRC2:TIDIG_COMP_CNT: 0
	.section	.text._ZN7rocprim17ROCPRIM_400000_NS6detail17trampoline_kernelINS0_14default_configENS1_36segmented_radix_sort_config_selectorI12hip_bfloat16lEEZNS1_25segmented_radix_sort_implIS3_Lb0EPKS5_PS5_PKlPlN2at6native12_GLOBAL__N_18offset_tEEE10hipError_tPvRmT1_PNSt15iterator_traitsISL_E10value_typeET2_T3_PNSM_ISR_E10value_typeET4_jRbjT5_SX_jjP12ihipStream_tbEUlT_E2_NS1_11comp_targetILNS1_3genE3ELNS1_11target_archE908ELNS1_3gpuE7ELNS1_3repE0EEENS1_30default_config_static_selectorELNS0_4arch9wavefront6targetE0EEEvSL_,"axG",@progbits,_ZN7rocprim17ROCPRIM_400000_NS6detail17trampoline_kernelINS0_14default_configENS1_36segmented_radix_sort_config_selectorI12hip_bfloat16lEEZNS1_25segmented_radix_sort_implIS3_Lb0EPKS5_PS5_PKlPlN2at6native12_GLOBAL__N_18offset_tEEE10hipError_tPvRmT1_PNSt15iterator_traitsISL_E10value_typeET2_T3_PNSM_ISR_E10value_typeET4_jRbjT5_SX_jjP12ihipStream_tbEUlT_E2_NS1_11comp_targetILNS1_3genE3ELNS1_11target_archE908ELNS1_3gpuE7ELNS1_3repE0EEENS1_30default_config_static_selectorELNS0_4arch9wavefront6targetE0EEEvSL_,comdat
	.globl	_ZN7rocprim17ROCPRIM_400000_NS6detail17trampoline_kernelINS0_14default_configENS1_36segmented_radix_sort_config_selectorI12hip_bfloat16lEEZNS1_25segmented_radix_sort_implIS3_Lb0EPKS5_PS5_PKlPlN2at6native12_GLOBAL__N_18offset_tEEE10hipError_tPvRmT1_PNSt15iterator_traitsISL_E10value_typeET2_T3_PNSM_ISR_E10value_typeET4_jRbjT5_SX_jjP12ihipStream_tbEUlT_E2_NS1_11comp_targetILNS1_3genE3ELNS1_11target_archE908ELNS1_3gpuE7ELNS1_3repE0EEENS1_30default_config_static_selectorELNS0_4arch9wavefront6targetE0EEEvSL_ ; -- Begin function _ZN7rocprim17ROCPRIM_400000_NS6detail17trampoline_kernelINS0_14default_configENS1_36segmented_radix_sort_config_selectorI12hip_bfloat16lEEZNS1_25segmented_radix_sort_implIS3_Lb0EPKS5_PS5_PKlPlN2at6native12_GLOBAL__N_18offset_tEEE10hipError_tPvRmT1_PNSt15iterator_traitsISL_E10value_typeET2_T3_PNSM_ISR_E10value_typeET4_jRbjT5_SX_jjP12ihipStream_tbEUlT_E2_NS1_11comp_targetILNS1_3genE3ELNS1_11target_archE908ELNS1_3gpuE7ELNS1_3repE0EEENS1_30default_config_static_selectorELNS0_4arch9wavefront6targetE0EEEvSL_
	.p2align	8
	.type	_ZN7rocprim17ROCPRIM_400000_NS6detail17trampoline_kernelINS0_14default_configENS1_36segmented_radix_sort_config_selectorI12hip_bfloat16lEEZNS1_25segmented_radix_sort_implIS3_Lb0EPKS5_PS5_PKlPlN2at6native12_GLOBAL__N_18offset_tEEE10hipError_tPvRmT1_PNSt15iterator_traitsISL_E10value_typeET2_T3_PNSM_ISR_E10value_typeET4_jRbjT5_SX_jjP12ihipStream_tbEUlT_E2_NS1_11comp_targetILNS1_3genE3ELNS1_11target_archE908ELNS1_3gpuE7ELNS1_3repE0EEENS1_30default_config_static_selectorELNS0_4arch9wavefront6targetE0EEEvSL_,@function
_ZN7rocprim17ROCPRIM_400000_NS6detail17trampoline_kernelINS0_14default_configENS1_36segmented_radix_sort_config_selectorI12hip_bfloat16lEEZNS1_25segmented_radix_sort_implIS3_Lb0EPKS5_PS5_PKlPlN2at6native12_GLOBAL__N_18offset_tEEE10hipError_tPvRmT1_PNSt15iterator_traitsISL_E10value_typeET2_T3_PNSM_ISR_E10value_typeET4_jRbjT5_SX_jjP12ihipStream_tbEUlT_E2_NS1_11comp_targetILNS1_3genE3ELNS1_11target_archE908ELNS1_3gpuE7ELNS1_3repE0EEENS1_30default_config_static_selectorELNS0_4arch9wavefront6targetE0EEEvSL_: ; @_ZN7rocprim17ROCPRIM_400000_NS6detail17trampoline_kernelINS0_14default_configENS1_36segmented_radix_sort_config_selectorI12hip_bfloat16lEEZNS1_25segmented_radix_sort_implIS3_Lb0EPKS5_PS5_PKlPlN2at6native12_GLOBAL__N_18offset_tEEE10hipError_tPvRmT1_PNSt15iterator_traitsISL_E10value_typeET2_T3_PNSM_ISR_E10value_typeET4_jRbjT5_SX_jjP12ihipStream_tbEUlT_E2_NS1_11comp_targetILNS1_3genE3ELNS1_11target_archE908ELNS1_3gpuE7ELNS1_3repE0EEENS1_30default_config_static_selectorELNS0_4arch9wavefront6targetE0EEEvSL_
; %bb.0:
	.section	.rodata,"a",@progbits
	.p2align	6, 0x0
	.amdhsa_kernel _ZN7rocprim17ROCPRIM_400000_NS6detail17trampoline_kernelINS0_14default_configENS1_36segmented_radix_sort_config_selectorI12hip_bfloat16lEEZNS1_25segmented_radix_sort_implIS3_Lb0EPKS5_PS5_PKlPlN2at6native12_GLOBAL__N_18offset_tEEE10hipError_tPvRmT1_PNSt15iterator_traitsISL_E10value_typeET2_T3_PNSM_ISR_E10value_typeET4_jRbjT5_SX_jjP12ihipStream_tbEUlT_E2_NS1_11comp_targetILNS1_3genE3ELNS1_11target_archE908ELNS1_3gpuE7ELNS1_3repE0EEENS1_30default_config_static_selectorELNS0_4arch9wavefront6targetE0EEEvSL_
		.amdhsa_group_segment_fixed_size 0
		.amdhsa_private_segment_fixed_size 0
		.amdhsa_kernarg_size 80
		.amdhsa_user_sgpr_count 15
		.amdhsa_user_sgpr_dispatch_ptr 0
		.amdhsa_user_sgpr_queue_ptr 0
		.amdhsa_user_sgpr_kernarg_segment_ptr 1
		.amdhsa_user_sgpr_dispatch_id 0
		.amdhsa_user_sgpr_private_segment_size 0
		.amdhsa_wavefront_size32 1
		.amdhsa_uses_dynamic_stack 0
		.amdhsa_enable_private_segment 0
		.amdhsa_system_sgpr_workgroup_id_x 1
		.amdhsa_system_sgpr_workgroup_id_y 0
		.amdhsa_system_sgpr_workgroup_id_z 0
		.amdhsa_system_sgpr_workgroup_info 0
		.amdhsa_system_vgpr_workitem_id 0
		.amdhsa_next_free_vgpr 1
		.amdhsa_next_free_sgpr 1
		.amdhsa_reserve_vcc 0
		.amdhsa_float_round_mode_32 0
		.amdhsa_float_round_mode_16_64 0
		.amdhsa_float_denorm_mode_32 3
		.amdhsa_float_denorm_mode_16_64 3
		.amdhsa_dx10_clamp 1
		.amdhsa_ieee_mode 1
		.amdhsa_fp16_overflow 0
		.amdhsa_workgroup_processor_mode 1
		.amdhsa_memory_ordered 1
		.amdhsa_forward_progress 0
		.amdhsa_shared_vgpr_count 0
		.amdhsa_exception_fp_ieee_invalid_op 0
		.amdhsa_exception_fp_denorm_src 0
		.amdhsa_exception_fp_ieee_div_zero 0
		.amdhsa_exception_fp_ieee_overflow 0
		.amdhsa_exception_fp_ieee_underflow 0
		.amdhsa_exception_fp_ieee_inexact 0
		.amdhsa_exception_int_div_zero 0
	.end_amdhsa_kernel
	.section	.text._ZN7rocprim17ROCPRIM_400000_NS6detail17trampoline_kernelINS0_14default_configENS1_36segmented_radix_sort_config_selectorI12hip_bfloat16lEEZNS1_25segmented_radix_sort_implIS3_Lb0EPKS5_PS5_PKlPlN2at6native12_GLOBAL__N_18offset_tEEE10hipError_tPvRmT1_PNSt15iterator_traitsISL_E10value_typeET2_T3_PNSM_ISR_E10value_typeET4_jRbjT5_SX_jjP12ihipStream_tbEUlT_E2_NS1_11comp_targetILNS1_3genE3ELNS1_11target_archE908ELNS1_3gpuE7ELNS1_3repE0EEENS1_30default_config_static_selectorELNS0_4arch9wavefront6targetE0EEEvSL_,"axG",@progbits,_ZN7rocprim17ROCPRIM_400000_NS6detail17trampoline_kernelINS0_14default_configENS1_36segmented_radix_sort_config_selectorI12hip_bfloat16lEEZNS1_25segmented_radix_sort_implIS3_Lb0EPKS5_PS5_PKlPlN2at6native12_GLOBAL__N_18offset_tEEE10hipError_tPvRmT1_PNSt15iterator_traitsISL_E10value_typeET2_T3_PNSM_ISR_E10value_typeET4_jRbjT5_SX_jjP12ihipStream_tbEUlT_E2_NS1_11comp_targetILNS1_3genE3ELNS1_11target_archE908ELNS1_3gpuE7ELNS1_3repE0EEENS1_30default_config_static_selectorELNS0_4arch9wavefront6targetE0EEEvSL_,comdat
.Lfunc_end2082:
	.size	_ZN7rocprim17ROCPRIM_400000_NS6detail17trampoline_kernelINS0_14default_configENS1_36segmented_radix_sort_config_selectorI12hip_bfloat16lEEZNS1_25segmented_radix_sort_implIS3_Lb0EPKS5_PS5_PKlPlN2at6native12_GLOBAL__N_18offset_tEEE10hipError_tPvRmT1_PNSt15iterator_traitsISL_E10value_typeET2_T3_PNSM_ISR_E10value_typeET4_jRbjT5_SX_jjP12ihipStream_tbEUlT_E2_NS1_11comp_targetILNS1_3genE3ELNS1_11target_archE908ELNS1_3gpuE7ELNS1_3repE0EEENS1_30default_config_static_selectorELNS0_4arch9wavefront6targetE0EEEvSL_, .Lfunc_end2082-_ZN7rocprim17ROCPRIM_400000_NS6detail17trampoline_kernelINS0_14default_configENS1_36segmented_radix_sort_config_selectorI12hip_bfloat16lEEZNS1_25segmented_radix_sort_implIS3_Lb0EPKS5_PS5_PKlPlN2at6native12_GLOBAL__N_18offset_tEEE10hipError_tPvRmT1_PNSt15iterator_traitsISL_E10value_typeET2_T3_PNSM_ISR_E10value_typeET4_jRbjT5_SX_jjP12ihipStream_tbEUlT_E2_NS1_11comp_targetILNS1_3genE3ELNS1_11target_archE908ELNS1_3gpuE7ELNS1_3repE0EEENS1_30default_config_static_selectorELNS0_4arch9wavefront6targetE0EEEvSL_
                                        ; -- End function
	.section	.AMDGPU.csdata,"",@progbits
; Kernel info:
; codeLenInByte = 0
; NumSgprs: 0
; NumVgprs: 0
; ScratchSize: 0
; MemoryBound: 0
; FloatMode: 240
; IeeeMode: 1
; LDSByteSize: 0 bytes/workgroup (compile time only)
; SGPRBlocks: 0
; VGPRBlocks: 0
; NumSGPRsForWavesPerEU: 1
; NumVGPRsForWavesPerEU: 1
; Occupancy: 16
; WaveLimiterHint : 0
; COMPUTE_PGM_RSRC2:SCRATCH_EN: 0
; COMPUTE_PGM_RSRC2:USER_SGPR: 15
; COMPUTE_PGM_RSRC2:TRAP_HANDLER: 0
; COMPUTE_PGM_RSRC2:TGID_X_EN: 1
; COMPUTE_PGM_RSRC2:TGID_Y_EN: 0
; COMPUTE_PGM_RSRC2:TGID_Z_EN: 0
; COMPUTE_PGM_RSRC2:TIDIG_COMP_CNT: 0
	.section	.text._ZN7rocprim17ROCPRIM_400000_NS6detail17trampoline_kernelINS0_14default_configENS1_36segmented_radix_sort_config_selectorI12hip_bfloat16lEEZNS1_25segmented_radix_sort_implIS3_Lb0EPKS5_PS5_PKlPlN2at6native12_GLOBAL__N_18offset_tEEE10hipError_tPvRmT1_PNSt15iterator_traitsISL_E10value_typeET2_T3_PNSM_ISR_E10value_typeET4_jRbjT5_SX_jjP12ihipStream_tbEUlT_E2_NS1_11comp_targetILNS1_3genE2ELNS1_11target_archE906ELNS1_3gpuE6ELNS1_3repE0EEENS1_30default_config_static_selectorELNS0_4arch9wavefront6targetE0EEEvSL_,"axG",@progbits,_ZN7rocprim17ROCPRIM_400000_NS6detail17trampoline_kernelINS0_14default_configENS1_36segmented_radix_sort_config_selectorI12hip_bfloat16lEEZNS1_25segmented_radix_sort_implIS3_Lb0EPKS5_PS5_PKlPlN2at6native12_GLOBAL__N_18offset_tEEE10hipError_tPvRmT1_PNSt15iterator_traitsISL_E10value_typeET2_T3_PNSM_ISR_E10value_typeET4_jRbjT5_SX_jjP12ihipStream_tbEUlT_E2_NS1_11comp_targetILNS1_3genE2ELNS1_11target_archE906ELNS1_3gpuE6ELNS1_3repE0EEENS1_30default_config_static_selectorELNS0_4arch9wavefront6targetE0EEEvSL_,comdat
	.globl	_ZN7rocprim17ROCPRIM_400000_NS6detail17trampoline_kernelINS0_14default_configENS1_36segmented_radix_sort_config_selectorI12hip_bfloat16lEEZNS1_25segmented_radix_sort_implIS3_Lb0EPKS5_PS5_PKlPlN2at6native12_GLOBAL__N_18offset_tEEE10hipError_tPvRmT1_PNSt15iterator_traitsISL_E10value_typeET2_T3_PNSM_ISR_E10value_typeET4_jRbjT5_SX_jjP12ihipStream_tbEUlT_E2_NS1_11comp_targetILNS1_3genE2ELNS1_11target_archE906ELNS1_3gpuE6ELNS1_3repE0EEENS1_30default_config_static_selectorELNS0_4arch9wavefront6targetE0EEEvSL_ ; -- Begin function _ZN7rocprim17ROCPRIM_400000_NS6detail17trampoline_kernelINS0_14default_configENS1_36segmented_radix_sort_config_selectorI12hip_bfloat16lEEZNS1_25segmented_radix_sort_implIS3_Lb0EPKS5_PS5_PKlPlN2at6native12_GLOBAL__N_18offset_tEEE10hipError_tPvRmT1_PNSt15iterator_traitsISL_E10value_typeET2_T3_PNSM_ISR_E10value_typeET4_jRbjT5_SX_jjP12ihipStream_tbEUlT_E2_NS1_11comp_targetILNS1_3genE2ELNS1_11target_archE906ELNS1_3gpuE6ELNS1_3repE0EEENS1_30default_config_static_selectorELNS0_4arch9wavefront6targetE0EEEvSL_
	.p2align	8
	.type	_ZN7rocprim17ROCPRIM_400000_NS6detail17trampoline_kernelINS0_14default_configENS1_36segmented_radix_sort_config_selectorI12hip_bfloat16lEEZNS1_25segmented_radix_sort_implIS3_Lb0EPKS5_PS5_PKlPlN2at6native12_GLOBAL__N_18offset_tEEE10hipError_tPvRmT1_PNSt15iterator_traitsISL_E10value_typeET2_T3_PNSM_ISR_E10value_typeET4_jRbjT5_SX_jjP12ihipStream_tbEUlT_E2_NS1_11comp_targetILNS1_3genE2ELNS1_11target_archE906ELNS1_3gpuE6ELNS1_3repE0EEENS1_30default_config_static_selectorELNS0_4arch9wavefront6targetE0EEEvSL_,@function
_ZN7rocprim17ROCPRIM_400000_NS6detail17trampoline_kernelINS0_14default_configENS1_36segmented_radix_sort_config_selectorI12hip_bfloat16lEEZNS1_25segmented_radix_sort_implIS3_Lb0EPKS5_PS5_PKlPlN2at6native12_GLOBAL__N_18offset_tEEE10hipError_tPvRmT1_PNSt15iterator_traitsISL_E10value_typeET2_T3_PNSM_ISR_E10value_typeET4_jRbjT5_SX_jjP12ihipStream_tbEUlT_E2_NS1_11comp_targetILNS1_3genE2ELNS1_11target_archE906ELNS1_3gpuE6ELNS1_3repE0EEENS1_30default_config_static_selectorELNS0_4arch9wavefront6targetE0EEEvSL_: ; @_ZN7rocprim17ROCPRIM_400000_NS6detail17trampoline_kernelINS0_14default_configENS1_36segmented_radix_sort_config_selectorI12hip_bfloat16lEEZNS1_25segmented_radix_sort_implIS3_Lb0EPKS5_PS5_PKlPlN2at6native12_GLOBAL__N_18offset_tEEE10hipError_tPvRmT1_PNSt15iterator_traitsISL_E10value_typeET2_T3_PNSM_ISR_E10value_typeET4_jRbjT5_SX_jjP12ihipStream_tbEUlT_E2_NS1_11comp_targetILNS1_3genE2ELNS1_11target_archE906ELNS1_3gpuE6ELNS1_3repE0EEENS1_30default_config_static_selectorELNS0_4arch9wavefront6targetE0EEEvSL_
; %bb.0:
	.section	.rodata,"a",@progbits
	.p2align	6, 0x0
	.amdhsa_kernel _ZN7rocprim17ROCPRIM_400000_NS6detail17trampoline_kernelINS0_14default_configENS1_36segmented_radix_sort_config_selectorI12hip_bfloat16lEEZNS1_25segmented_radix_sort_implIS3_Lb0EPKS5_PS5_PKlPlN2at6native12_GLOBAL__N_18offset_tEEE10hipError_tPvRmT1_PNSt15iterator_traitsISL_E10value_typeET2_T3_PNSM_ISR_E10value_typeET4_jRbjT5_SX_jjP12ihipStream_tbEUlT_E2_NS1_11comp_targetILNS1_3genE2ELNS1_11target_archE906ELNS1_3gpuE6ELNS1_3repE0EEENS1_30default_config_static_selectorELNS0_4arch9wavefront6targetE0EEEvSL_
		.amdhsa_group_segment_fixed_size 0
		.amdhsa_private_segment_fixed_size 0
		.amdhsa_kernarg_size 80
		.amdhsa_user_sgpr_count 15
		.amdhsa_user_sgpr_dispatch_ptr 0
		.amdhsa_user_sgpr_queue_ptr 0
		.amdhsa_user_sgpr_kernarg_segment_ptr 1
		.amdhsa_user_sgpr_dispatch_id 0
		.amdhsa_user_sgpr_private_segment_size 0
		.amdhsa_wavefront_size32 1
		.amdhsa_uses_dynamic_stack 0
		.amdhsa_enable_private_segment 0
		.amdhsa_system_sgpr_workgroup_id_x 1
		.amdhsa_system_sgpr_workgroup_id_y 0
		.amdhsa_system_sgpr_workgroup_id_z 0
		.amdhsa_system_sgpr_workgroup_info 0
		.amdhsa_system_vgpr_workitem_id 0
		.amdhsa_next_free_vgpr 1
		.amdhsa_next_free_sgpr 1
		.amdhsa_reserve_vcc 0
		.amdhsa_float_round_mode_32 0
		.amdhsa_float_round_mode_16_64 0
		.amdhsa_float_denorm_mode_32 3
		.amdhsa_float_denorm_mode_16_64 3
		.amdhsa_dx10_clamp 1
		.amdhsa_ieee_mode 1
		.amdhsa_fp16_overflow 0
		.amdhsa_workgroup_processor_mode 1
		.amdhsa_memory_ordered 1
		.amdhsa_forward_progress 0
		.amdhsa_shared_vgpr_count 0
		.amdhsa_exception_fp_ieee_invalid_op 0
		.amdhsa_exception_fp_denorm_src 0
		.amdhsa_exception_fp_ieee_div_zero 0
		.amdhsa_exception_fp_ieee_overflow 0
		.amdhsa_exception_fp_ieee_underflow 0
		.amdhsa_exception_fp_ieee_inexact 0
		.amdhsa_exception_int_div_zero 0
	.end_amdhsa_kernel
	.section	.text._ZN7rocprim17ROCPRIM_400000_NS6detail17trampoline_kernelINS0_14default_configENS1_36segmented_radix_sort_config_selectorI12hip_bfloat16lEEZNS1_25segmented_radix_sort_implIS3_Lb0EPKS5_PS5_PKlPlN2at6native12_GLOBAL__N_18offset_tEEE10hipError_tPvRmT1_PNSt15iterator_traitsISL_E10value_typeET2_T3_PNSM_ISR_E10value_typeET4_jRbjT5_SX_jjP12ihipStream_tbEUlT_E2_NS1_11comp_targetILNS1_3genE2ELNS1_11target_archE906ELNS1_3gpuE6ELNS1_3repE0EEENS1_30default_config_static_selectorELNS0_4arch9wavefront6targetE0EEEvSL_,"axG",@progbits,_ZN7rocprim17ROCPRIM_400000_NS6detail17trampoline_kernelINS0_14default_configENS1_36segmented_radix_sort_config_selectorI12hip_bfloat16lEEZNS1_25segmented_radix_sort_implIS3_Lb0EPKS5_PS5_PKlPlN2at6native12_GLOBAL__N_18offset_tEEE10hipError_tPvRmT1_PNSt15iterator_traitsISL_E10value_typeET2_T3_PNSM_ISR_E10value_typeET4_jRbjT5_SX_jjP12ihipStream_tbEUlT_E2_NS1_11comp_targetILNS1_3genE2ELNS1_11target_archE906ELNS1_3gpuE6ELNS1_3repE0EEENS1_30default_config_static_selectorELNS0_4arch9wavefront6targetE0EEEvSL_,comdat
.Lfunc_end2083:
	.size	_ZN7rocprim17ROCPRIM_400000_NS6detail17trampoline_kernelINS0_14default_configENS1_36segmented_radix_sort_config_selectorI12hip_bfloat16lEEZNS1_25segmented_radix_sort_implIS3_Lb0EPKS5_PS5_PKlPlN2at6native12_GLOBAL__N_18offset_tEEE10hipError_tPvRmT1_PNSt15iterator_traitsISL_E10value_typeET2_T3_PNSM_ISR_E10value_typeET4_jRbjT5_SX_jjP12ihipStream_tbEUlT_E2_NS1_11comp_targetILNS1_3genE2ELNS1_11target_archE906ELNS1_3gpuE6ELNS1_3repE0EEENS1_30default_config_static_selectorELNS0_4arch9wavefront6targetE0EEEvSL_, .Lfunc_end2083-_ZN7rocprim17ROCPRIM_400000_NS6detail17trampoline_kernelINS0_14default_configENS1_36segmented_radix_sort_config_selectorI12hip_bfloat16lEEZNS1_25segmented_radix_sort_implIS3_Lb0EPKS5_PS5_PKlPlN2at6native12_GLOBAL__N_18offset_tEEE10hipError_tPvRmT1_PNSt15iterator_traitsISL_E10value_typeET2_T3_PNSM_ISR_E10value_typeET4_jRbjT5_SX_jjP12ihipStream_tbEUlT_E2_NS1_11comp_targetILNS1_3genE2ELNS1_11target_archE906ELNS1_3gpuE6ELNS1_3repE0EEENS1_30default_config_static_selectorELNS0_4arch9wavefront6targetE0EEEvSL_
                                        ; -- End function
	.section	.AMDGPU.csdata,"",@progbits
; Kernel info:
; codeLenInByte = 0
; NumSgprs: 0
; NumVgprs: 0
; ScratchSize: 0
; MemoryBound: 0
; FloatMode: 240
; IeeeMode: 1
; LDSByteSize: 0 bytes/workgroup (compile time only)
; SGPRBlocks: 0
; VGPRBlocks: 0
; NumSGPRsForWavesPerEU: 1
; NumVGPRsForWavesPerEU: 1
; Occupancy: 16
; WaveLimiterHint : 0
; COMPUTE_PGM_RSRC2:SCRATCH_EN: 0
; COMPUTE_PGM_RSRC2:USER_SGPR: 15
; COMPUTE_PGM_RSRC2:TRAP_HANDLER: 0
; COMPUTE_PGM_RSRC2:TGID_X_EN: 1
; COMPUTE_PGM_RSRC2:TGID_Y_EN: 0
; COMPUTE_PGM_RSRC2:TGID_Z_EN: 0
; COMPUTE_PGM_RSRC2:TIDIG_COMP_CNT: 0
	.section	.text._ZN7rocprim17ROCPRIM_400000_NS6detail17trampoline_kernelINS0_14default_configENS1_36segmented_radix_sort_config_selectorI12hip_bfloat16lEEZNS1_25segmented_radix_sort_implIS3_Lb0EPKS5_PS5_PKlPlN2at6native12_GLOBAL__N_18offset_tEEE10hipError_tPvRmT1_PNSt15iterator_traitsISL_E10value_typeET2_T3_PNSM_ISR_E10value_typeET4_jRbjT5_SX_jjP12ihipStream_tbEUlT_E2_NS1_11comp_targetILNS1_3genE10ELNS1_11target_archE1201ELNS1_3gpuE5ELNS1_3repE0EEENS1_30default_config_static_selectorELNS0_4arch9wavefront6targetE0EEEvSL_,"axG",@progbits,_ZN7rocprim17ROCPRIM_400000_NS6detail17trampoline_kernelINS0_14default_configENS1_36segmented_radix_sort_config_selectorI12hip_bfloat16lEEZNS1_25segmented_radix_sort_implIS3_Lb0EPKS5_PS5_PKlPlN2at6native12_GLOBAL__N_18offset_tEEE10hipError_tPvRmT1_PNSt15iterator_traitsISL_E10value_typeET2_T3_PNSM_ISR_E10value_typeET4_jRbjT5_SX_jjP12ihipStream_tbEUlT_E2_NS1_11comp_targetILNS1_3genE10ELNS1_11target_archE1201ELNS1_3gpuE5ELNS1_3repE0EEENS1_30default_config_static_selectorELNS0_4arch9wavefront6targetE0EEEvSL_,comdat
	.globl	_ZN7rocprim17ROCPRIM_400000_NS6detail17trampoline_kernelINS0_14default_configENS1_36segmented_radix_sort_config_selectorI12hip_bfloat16lEEZNS1_25segmented_radix_sort_implIS3_Lb0EPKS5_PS5_PKlPlN2at6native12_GLOBAL__N_18offset_tEEE10hipError_tPvRmT1_PNSt15iterator_traitsISL_E10value_typeET2_T3_PNSM_ISR_E10value_typeET4_jRbjT5_SX_jjP12ihipStream_tbEUlT_E2_NS1_11comp_targetILNS1_3genE10ELNS1_11target_archE1201ELNS1_3gpuE5ELNS1_3repE0EEENS1_30default_config_static_selectorELNS0_4arch9wavefront6targetE0EEEvSL_ ; -- Begin function _ZN7rocprim17ROCPRIM_400000_NS6detail17trampoline_kernelINS0_14default_configENS1_36segmented_radix_sort_config_selectorI12hip_bfloat16lEEZNS1_25segmented_radix_sort_implIS3_Lb0EPKS5_PS5_PKlPlN2at6native12_GLOBAL__N_18offset_tEEE10hipError_tPvRmT1_PNSt15iterator_traitsISL_E10value_typeET2_T3_PNSM_ISR_E10value_typeET4_jRbjT5_SX_jjP12ihipStream_tbEUlT_E2_NS1_11comp_targetILNS1_3genE10ELNS1_11target_archE1201ELNS1_3gpuE5ELNS1_3repE0EEENS1_30default_config_static_selectorELNS0_4arch9wavefront6targetE0EEEvSL_
	.p2align	8
	.type	_ZN7rocprim17ROCPRIM_400000_NS6detail17trampoline_kernelINS0_14default_configENS1_36segmented_radix_sort_config_selectorI12hip_bfloat16lEEZNS1_25segmented_radix_sort_implIS3_Lb0EPKS5_PS5_PKlPlN2at6native12_GLOBAL__N_18offset_tEEE10hipError_tPvRmT1_PNSt15iterator_traitsISL_E10value_typeET2_T3_PNSM_ISR_E10value_typeET4_jRbjT5_SX_jjP12ihipStream_tbEUlT_E2_NS1_11comp_targetILNS1_3genE10ELNS1_11target_archE1201ELNS1_3gpuE5ELNS1_3repE0EEENS1_30default_config_static_selectorELNS0_4arch9wavefront6targetE0EEEvSL_,@function
_ZN7rocprim17ROCPRIM_400000_NS6detail17trampoline_kernelINS0_14default_configENS1_36segmented_radix_sort_config_selectorI12hip_bfloat16lEEZNS1_25segmented_radix_sort_implIS3_Lb0EPKS5_PS5_PKlPlN2at6native12_GLOBAL__N_18offset_tEEE10hipError_tPvRmT1_PNSt15iterator_traitsISL_E10value_typeET2_T3_PNSM_ISR_E10value_typeET4_jRbjT5_SX_jjP12ihipStream_tbEUlT_E2_NS1_11comp_targetILNS1_3genE10ELNS1_11target_archE1201ELNS1_3gpuE5ELNS1_3repE0EEENS1_30default_config_static_selectorELNS0_4arch9wavefront6targetE0EEEvSL_: ; @_ZN7rocprim17ROCPRIM_400000_NS6detail17trampoline_kernelINS0_14default_configENS1_36segmented_radix_sort_config_selectorI12hip_bfloat16lEEZNS1_25segmented_radix_sort_implIS3_Lb0EPKS5_PS5_PKlPlN2at6native12_GLOBAL__N_18offset_tEEE10hipError_tPvRmT1_PNSt15iterator_traitsISL_E10value_typeET2_T3_PNSM_ISR_E10value_typeET4_jRbjT5_SX_jjP12ihipStream_tbEUlT_E2_NS1_11comp_targetILNS1_3genE10ELNS1_11target_archE1201ELNS1_3gpuE5ELNS1_3repE0EEENS1_30default_config_static_selectorELNS0_4arch9wavefront6targetE0EEEvSL_
; %bb.0:
	.section	.rodata,"a",@progbits
	.p2align	6, 0x0
	.amdhsa_kernel _ZN7rocprim17ROCPRIM_400000_NS6detail17trampoline_kernelINS0_14default_configENS1_36segmented_radix_sort_config_selectorI12hip_bfloat16lEEZNS1_25segmented_radix_sort_implIS3_Lb0EPKS5_PS5_PKlPlN2at6native12_GLOBAL__N_18offset_tEEE10hipError_tPvRmT1_PNSt15iterator_traitsISL_E10value_typeET2_T3_PNSM_ISR_E10value_typeET4_jRbjT5_SX_jjP12ihipStream_tbEUlT_E2_NS1_11comp_targetILNS1_3genE10ELNS1_11target_archE1201ELNS1_3gpuE5ELNS1_3repE0EEENS1_30default_config_static_selectorELNS0_4arch9wavefront6targetE0EEEvSL_
		.amdhsa_group_segment_fixed_size 0
		.amdhsa_private_segment_fixed_size 0
		.amdhsa_kernarg_size 80
		.amdhsa_user_sgpr_count 15
		.amdhsa_user_sgpr_dispatch_ptr 0
		.amdhsa_user_sgpr_queue_ptr 0
		.amdhsa_user_sgpr_kernarg_segment_ptr 1
		.amdhsa_user_sgpr_dispatch_id 0
		.amdhsa_user_sgpr_private_segment_size 0
		.amdhsa_wavefront_size32 1
		.amdhsa_uses_dynamic_stack 0
		.amdhsa_enable_private_segment 0
		.amdhsa_system_sgpr_workgroup_id_x 1
		.amdhsa_system_sgpr_workgroup_id_y 0
		.amdhsa_system_sgpr_workgroup_id_z 0
		.amdhsa_system_sgpr_workgroup_info 0
		.amdhsa_system_vgpr_workitem_id 0
		.amdhsa_next_free_vgpr 1
		.amdhsa_next_free_sgpr 1
		.amdhsa_reserve_vcc 0
		.amdhsa_float_round_mode_32 0
		.amdhsa_float_round_mode_16_64 0
		.amdhsa_float_denorm_mode_32 3
		.amdhsa_float_denorm_mode_16_64 3
		.amdhsa_dx10_clamp 1
		.amdhsa_ieee_mode 1
		.amdhsa_fp16_overflow 0
		.amdhsa_workgroup_processor_mode 1
		.amdhsa_memory_ordered 1
		.amdhsa_forward_progress 0
		.amdhsa_shared_vgpr_count 0
		.amdhsa_exception_fp_ieee_invalid_op 0
		.amdhsa_exception_fp_denorm_src 0
		.amdhsa_exception_fp_ieee_div_zero 0
		.amdhsa_exception_fp_ieee_overflow 0
		.amdhsa_exception_fp_ieee_underflow 0
		.amdhsa_exception_fp_ieee_inexact 0
		.amdhsa_exception_int_div_zero 0
	.end_amdhsa_kernel
	.section	.text._ZN7rocprim17ROCPRIM_400000_NS6detail17trampoline_kernelINS0_14default_configENS1_36segmented_radix_sort_config_selectorI12hip_bfloat16lEEZNS1_25segmented_radix_sort_implIS3_Lb0EPKS5_PS5_PKlPlN2at6native12_GLOBAL__N_18offset_tEEE10hipError_tPvRmT1_PNSt15iterator_traitsISL_E10value_typeET2_T3_PNSM_ISR_E10value_typeET4_jRbjT5_SX_jjP12ihipStream_tbEUlT_E2_NS1_11comp_targetILNS1_3genE10ELNS1_11target_archE1201ELNS1_3gpuE5ELNS1_3repE0EEENS1_30default_config_static_selectorELNS0_4arch9wavefront6targetE0EEEvSL_,"axG",@progbits,_ZN7rocprim17ROCPRIM_400000_NS6detail17trampoline_kernelINS0_14default_configENS1_36segmented_radix_sort_config_selectorI12hip_bfloat16lEEZNS1_25segmented_radix_sort_implIS3_Lb0EPKS5_PS5_PKlPlN2at6native12_GLOBAL__N_18offset_tEEE10hipError_tPvRmT1_PNSt15iterator_traitsISL_E10value_typeET2_T3_PNSM_ISR_E10value_typeET4_jRbjT5_SX_jjP12ihipStream_tbEUlT_E2_NS1_11comp_targetILNS1_3genE10ELNS1_11target_archE1201ELNS1_3gpuE5ELNS1_3repE0EEENS1_30default_config_static_selectorELNS0_4arch9wavefront6targetE0EEEvSL_,comdat
.Lfunc_end2084:
	.size	_ZN7rocprim17ROCPRIM_400000_NS6detail17trampoline_kernelINS0_14default_configENS1_36segmented_radix_sort_config_selectorI12hip_bfloat16lEEZNS1_25segmented_radix_sort_implIS3_Lb0EPKS5_PS5_PKlPlN2at6native12_GLOBAL__N_18offset_tEEE10hipError_tPvRmT1_PNSt15iterator_traitsISL_E10value_typeET2_T3_PNSM_ISR_E10value_typeET4_jRbjT5_SX_jjP12ihipStream_tbEUlT_E2_NS1_11comp_targetILNS1_3genE10ELNS1_11target_archE1201ELNS1_3gpuE5ELNS1_3repE0EEENS1_30default_config_static_selectorELNS0_4arch9wavefront6targetE0EEEvSL_, .Lfunc_end2084-_ZN7rocprim17ROCPRIM_400000_NS6detail17trampoline_kernelINS0_14default_configENS1_36segmented_radix_sort_config_selectorI12hip_bfloat16lEEZNS1_25segmented_radix_sort_implIS3_Lb0EPKS5_PS5_PKlPlN2at6native12_GLOBAL__N_18offset_tEEE10hipError_tPvRmT1_PNSt15iterator_traitsISL_E10value_typeET2_T3_PNSM_ISR_E10value_typeET4_jRbjT5_SX_jjP12ihipStream_tbEUlT_E2_NS1_11comp_targetILNS1_3genE10ELNS1_11target_archE1201ELNS1_3gpuE5ELNS1_3repE0EEENS1_30default_config_static_selectorELNS0_4arch9wavefront6targetE0EEEvSL_
                                        ; -- End function
	.section	.AMDGPU.csdata,"",@progbits
; Kernel info:
; codeLenInByte = 0
; NumSgprs: 0
; NumVgprs: 0
; ScratchSize: 0
; MemoryBound: 0
; FloatMode: 240
; IeeeMode: 1
; LDSByteSize: 0 bytes/workgroup (compile time only)
; SGPRBlocks: 0
; VGPRBlocks: 0
; NumSGPRsForWavesPerEU: 1
; NumVGPRsForWavesPerEU: 1
; Occupancy: 16
; WaveLimiterHint : 0
; COMPUTE_PGM_RSRC2:SCRATCH_EN: 0
; COMPUTE_PGM_RSRC2:USER_SGPR: 15
; COMPUTE_PGM_RSRC2:TRAP_HANDLER: 0
; COMPUTE_PGM_RSRC2:TGID_X_EN: 1
; COMPUTE_PGM_RSRC2:TGID_Y_EN: 0
; COMPUTE_PGM_RSRC2:TGID_Z_EN: 0
; COMPUTE_PGM_RSRC2:TIDIG_COMP_CNT: 0
	.section	.text._ZN7rocprim17ROCPRIM_400000_NS6detail17trampoline_kernelINS0_14default_configENS1_36segmented_radix_sort_config_selectorI12hip_bfloat16lEEZNS1_25segmented_radix_sort_implIS3_Lb0EPKS5_PS5_PKlPlN2at6native12_GLOBAL__N_18offset_tEEE10hipError_tPvRmT1_PNSt15iterator_traitsISL_E10value_typeET2_T3_PNSM_ISR_E10value_typeET4_jRbjT5_SX_jjP12ihipStream_tbEUlT_E2_NS1_11comp_targetILNS1_3genE10ELNS1_11target_archE1200ELNS1_3gpuE4ELNS1_3repE0EEENS1_30default_config_static_selectorELNS0_4arch9wavefront6targetE0EEEvSL_,"axG",@progbits,_ZN7rocprim17ROCPRIM_400000_NS6detail17trampoline_kernelINS0_14default_configENS1_36segmented_radix_sort_config_selectorI12hip_bfloat16lEEZNS1_25segmented_radix_sort_implIS3_Lb0EPKS5_PS5_PKlPlN2at6native12_GLOBAL__N_18offset_tEEE10hipError_tPvRmT1_PNSt15iterator_traitsISL_E10value_typeET2_T3_PNSM_ISR_E10value_typeET4_jRbjT5_SX_jjP12ihipStream_tbEUlT_E2_NS1_11comp_targetILNS1_3genE10ELNS1_11target_archE1200ELNS1_3gpuE4ELNS1_3repE0EEENS1_30default_config_static_selectorELNS0_4arch9wavefront6targetE0EEEvSL_,comdat
	.globl	_ZN7rocprim17ROCPRIM_400000_NS6detail17trampoline_kernelINS0_14default_configENS1_36segmented_radix_sort_config_selectorI12hip_bfloat16lEEZNS1_25segmented_radix_sort_implIS3_Lb0EPKS5_PS5_PKlPlN2at6native12_GLOBAL__N_18offset_tEEE10hipError_tPvRmT1_PNSt15iterator_traitsISL_E10value_typeET2_T3_PNSM_ISR_E10value_typeET4_jRbjT5_SX_jjP12ihipStream_tbEUlT_E2_NS1_11comp_targetILNS1_3genE10ELNS1_11target_archE1200ELNS1_3gpuE4ELNS1_3repE0EEENS1_30default_config_static_selectorELNS0_4arch9wavefront6targetE0EEEvSL_ ; -- Begin function _ZN7rocprim17ROCPRIM_400000_NS6detail17trampoline_kernelINS0_14default_configENS1_36segmented_radix_sort_config_selectorI12hip_bfloat16lEEZNS1_25segmented_radix_sort_implIS3_Lb0EPKS5_PS5_PKlPlN2at6native12_GLOBAL__N_18offset_tEEE10hipError_tPvRmT1_PNSt15iterator_traitsISL_E10value_typeET2_T3_PNSM_ISR_E10value_typeET4_jRbjT5_SX_jjP12ihipStream_tbEUlT_E2_NS1_11comp_targetILNS1_3genE10ELNS1_11target_archE1200ELNS1_3gpuE4ELNS1_3repE0EEENS1_30default_config_static_selectorELNS0_4arch9wavefront6targetE0EEEvSL_
	.p2align	8
	.type	_ZN7rocprim17ROCPRIM_400000_NS6detail17trampoline_kernelINS0_14default_configENS1_36segmented_radix_sort_config_selectorI12hip_bfloat16lEEZNS1_25segmented_radix_sort_implIS3_Lb0EPKS5_PS5_PKlPlN2at6native12_GLOBAL__N_18offset_tEEE10hipError_tPvRmT1_PNSt15iterator_traitsISL_E10value_typeET2_T3_PNSM_ISR_E10value_typeET4_jRbjT5_SX_jjP12ihipStream_tbEUlT_E2_NS1_11comp_targetILNS1_3genE10ELNS1_11target_archE1200ELNS1_3gpuE4ELNS1_3repE0EEENS1_30default_config_static_selectorELNS0_4arch9wavefront6targetE0EEEvSL_,@function
_ZN7rocprim17ROCPRIM_400000_NS6detail17trampoline_kernelINS0_14default_configENS1_36segmented_radix_sort_config_selectorI12hip_bfloat16lEEZNS1_25segmented_radix_sort_implIS3_Lb0EPKS5_PS5_PKlPlN2at6native12_GLOBAL__N_18offset_tEEE10hipError_tPvRmT1_PNSt15iterator_traitsISL_E10value_typeET2_T3_PNSM_ISR_E10value_typeET4_jRbjT5_SX_jjP12ihipStream_tbEUlT_E2_NS1_11comp_targetILNS1_3genE10ELNS1_11target_archE1200ELNS1_3gpuE4ELNS1_3repE0EEENS1_30default_config_static_selectorELNS0_4arch9wavefront6targetE0EEEvSL_: ; @_ZN7rocprim17ROCPRIM_400000_NS6detail17trampoline_kernelINS0_14default_configENS1_36segmented_radix_sort_config_selectorI12hip_bfloat16lEEZNS1_25segmented_radix_sort_implIS3_Lb0EPKS5_PS5_PKlPlN2at6native12_GLOBAL__N_18offset_tEEE10hipError_tPvRmT1_PNSt15iterator_traitsISL_E10value_typeET2_T3_PNSM_ISR_E10value_typeET4_jRbjT5_SX_jjP12ihipStream_tbEUlT_E2_NS1_11comp_targetILNS1_3genE10ELNS1_11target_archE1200ELNS1_3gpuE4ELNS1_3repE0EEENS1_30default_config_static_selectorELNS0_4arch9wavefront6targetE0EEEvSL_
; %bb.0:
	.section	.rodata,"a",@progbits
	.p2align	6, 0x0
	.amdhsa_kernel _ZN7rocprim17ROCPRIM_400000_NS6detail17trampoline_kernelINS0_14default_configENS1_36segmented_radix_sort_config_selectorI12hip_bfloat16lEEZNS1_25segmented_radix_sort_implIS3_Lb0EPKS5_PS5_PKlPlN2at6native12_GLOBAL__N_18offset_tEEE10hipError_tPvRmT1_PNSt15iterator_traitsISL_E10value_typeET2_T3_PNSM_ISR_E10value_typeET4_jRbjT5_SX_jjP12ihipStream_tbEUlT_E2_NS1_11comp_targetILNS1_3genE10ELNS1_11target_archE1200ELNS1_3gpuE4ELNS1_3repE0EEENS1_30default_config_static_selectorELNS0_4arch9wavefront6targetE0EEEvSL_
		.amdhsa_group_segment_fixed_size 0
		.amdhsa_private_segment_fixed_size 0
		.amdhsa_kernarg_size 80
		.amdhsa_user_sgpr_count 15
		.amdhsa_user_sgpr_dispatch_ptr 0
		.amdhsa_user_sgpr_queue_ptr 0
		.amdhsa_user_sgpr_kernarg_segment_ptr 1
		.amdhsa_user_sgpr_dispatch_id 0
		.amdhsa_user_sgpr_private_segment_size 0
		.amdhsa_wavefront_size32 1
		.amdhsa_uses_dynamic_stack 0
		.amdhsa_enable_private_segment 0
		.amdhsa_system_sgpr_workgroup_id_x 1
		.amdhsa_system_sgpr_workgroup_id_y 0
		.amdhsa_system_sgpr_workgroup_id_z 0
		.amdhsa_system_sgpr_workgroup_info 0
		.amdhsa_system_vgpr_workitem_id 0
		.amdhsa_next_free_vgpr 1
		.amdhsa_next_free_sgpr 1
		.amdhsa_reserve_vcc 0
		.amdhsa_float_round_mode_32 0
		.amdhsa_float_round_mode_16_64 0
		.amdhsa_float_denorm_mode_32 3
		.amdhsa_float_denorm_mode_16_64 3
		.amdhsa_dx10_clamp 1
		.amdhsa_ieee_mode 1
		.amdhsa_fp16_overflow 0
		.amdhsa_workgroup_processor_mode 1
		.amdhsa_memory_ordered 1
		.amdhsa_forward_progress 0
		.amdhsa_shared_vgpr_count 0
		.amdhsa_exception_fp_ieee_invalid_op 0
		.amdhsa_exception_fp_denorm_src 0
		.amdhsa_exception_fp_ieee_div_zero 0
		.amdhsa_exception_fp_ieee_overflow 0
		.amdhsa_exception_fp_ieee_underflow 0
		.amdhsa_exception_fp_ieee_inexact 0
		.amdhsa_exception_int_div_zero 0
	.end_amdhsa_kernel
	.section	.text._ZN7rocprim17ROCPRIM_400000_NS6detail17trampoline_kernelINS0_14default_configENS1_36segmented_radix_sort_config_selectorI12hip_bfloat16lEEZNS1_25segmented_radix_sort_implIS3_Lb0EPKS5_PS5_PKlPlN2at6native12_GLOBAL__N_18offset_tEEE10hipError_tPvRmT1_PNSt15iterator_traitsISL_E10value_typeET2_T3_PNSM_ISR_E10value_typeET4_jRbjT5_SX_jjP12ihipStream_tbEUlT_E2_NS1_11comp_targetILNS1_3genE10ELNS1_11target_archE1200ELNS1_3gpuE4ELNS1_3repE0EEENS1_30default_config_static_selectorELNS0_4arch9wavefront6targetE0EEEvSL_,"axG",@progbits,_ZN7rocprim17ROCPRIM_400000_NS6detail17trampoline_kernelINS0_14default_configENS1_36segmented_radix_sort_config_selectorI12hip_bfloat16lEEZNS1_25segmented_radix_sort_implIS3_Lb0EPKS5_PS5_PKlPlN2at6native12_GLOBAL__N_18offset_tEEE10hipError_tPvRmT1_PNSt15iterator_traitsISL_E10value_typeET2_T3_PNSM_ISR_E10value_typeET4_jRbjT5_SX_jjP12ihipStream_tbEUlT_E2_NS1_11comp_targetILNS1_3genE10ELNS1_11target_archE1200ELNS1_3gpuE4ELNS1_3repE0EEENS1_30default_config_static_selectorELNS0_4arch9wavefront6targetE0EEEvSL_,comdat
.Lfunc_end2085:
	.size	_ZN7rocprim17ROCPRIM_400000_NS6detail17trampoline_kernelINS0_14default_configENS1_36segmented_radix_sort_config_selectorI12hip_bfloat16lEEZNS1_25segmented_radix_sort_implIS3_Lb0EPKS5_PS5_PKlPlN2at6native12_GLOBAL__N_18offset_tEEE10hipError_tPvRmT1_PNSt15iterator_traitsISL_E10value_typeET2_T3_PNSM_ISR_E10value_typeET4_jRbjT5_SX_jjP12ihipStream_tbEUlT_E2_NS1_11comp_targetILNS1_3genE10ELNS1_11target_archE1200ELNS1_3gpuE4ELNS1_3repE0EEENS1_30default_config_static_selectorELNS0_4arch9wavefront6targetE0EEEvSL_, .Lfunc_end2085-_ZN7rocprim17ROCPRIM_400000_NS6detail17trampoline_kernelINS0_14default_configENS1_36segmented_radix_sort_config_selectorI12hip_bfloat16lEEZNS1_25segmented_radix_sort_implIS3_Lb0EPKS5_PS5_PKlPlN2at6native12_GLOBAL__N_18offset_tEEE10hipError_tPvRmT1_PNSt15iterator_traitsISL_E10value_typeET2_T3_PNSM_ISR_E10value_typeET4_jRbjT5_SX_jjP12ihipStream_tbEUlT_E2_NS1_11comp_targetILNS1_3genE10ELNS1_11target_archE1200ELNS1_3gpuE4ELNS1_3repE0EEENS1_30default_config_static_selectorELNS0_4arch9wavefront6targetE0EEEvSL_
                                        ; -- End function
	.section	.AMDGPU.csdata,"",@progbits
; Kernel info:
; codeLenInByte = 0
; NumSgprs: 0
; NumVgprs: 0
; ScratchSize: 0
; MemoryBound: 0
; FloatMode: 240
; IeeeMode: 1
; LDSByteSize: 0 bytes/workgroup (compile time only)
; SGPRBlocks: 0
; VGPRBlocks: 0
; NumSGPRsForWavesPerEU: 1
; NumVGPRsForWavesPerEU: 1
; Occupancy: 16
; WaveLimiterHint : 0
; COMPUTE_PGM_RSRC2:SCRATCH_EN: 0
; COMPUTE_PGM_RSRC2:USER_SGPR: 15
; COMPUTE_PGM_RSRC2:TRAP_HANDLER: 0
; COMPUTE_PGM_RSRC2:TGID_X_EN: 1
; COMPUTE_PGM_RSRC2:TGID_Y_EN: 0
; COMPUTE_PGM_RSRC2:TGID_Z_EN: 0
; COMPUTE_PGM_RSRC2:TIDIG_COMP_CNT: 0
	.section	.text._ZN7rocprim17ROCPRIM_400000_NS6detail17trampoline_kernelINS0_14default_configENS1_36segmented_radix_sort_config_selectorI12hip_bfloat16lEEZNS1_25segmented_radix_sort_implIS3_Lb0EPKS5_PS5_PKlPlN2at6native12_GLOBAL__N_18offset_tEEE10hipError_tPvRmT1_PNSt15iterator_traitsISL_E10value_typeET2_T3_PNSM_ISR_E10value_typeET4_jRbjT5_SX_jjP12ihipStream_tbEUlT_E2_NS1_11comp_targetILNS1_3genE9ELNS1_11target_archE1100ELNS1_3gpuE3ELNS1_3repE0EEENS1_30default_config_static_selectorELNS0_4arch9wavefront6targetE0EEEvSL_,"axG",@progbits,_ZN7rocprim17ROCPRIM_400000_NS6detail17trampoline_kernelINS0_14default_configENS1_36segmented_radix_sort_config_selectorI12hip_bfloat16lEEZNS1_25segmented_radix_sort_implIS3_Lb0EPKS5_PS5_PKlPlN2at6native12_GLOBAL__N_18offset_tEEE10hipError_tPvRmT1_PNSt15iterator_traitsISL_E10value_typeET2_T3_PNSM_ISR_E10value_typeET4_jRbjT5_SX_jjP12ihipStream_tbEUlT_E2_NS1_11comp_targetILNS1_3genE9ELNS1_11target_archE1100ELNS1_3gpuE3ELNS1_3repE0EEENS1_30default_config_static_selectorELNS0_4arch9wavefront6targetE0EEEvSL_,comdat
	.globl	_ZN7rocprim17ROCPRIM_400000_NS6detail17trampoline_kernelINS0_14default_configENS1_36segmented_radix_sort_config_selectorI12hip_bfloat16lEEZNS1_25segmented_radix_sort_implIS3_Lb0EPKS5_PS5_PKlPlN2at6native12_GLOBAL__N_18offset_tEEE10hipError_tPvRmT1_PNSt15iterator_traitsISL_E10value_typeET2_T3_PNSM_ISR_E10value_typeET4_jRbjT5_SX_jjP12ihipStream_tbEUlT_E2_NS1_11comp_targetILNS1_3genE9ELNS1_11target_archE1100ELNS1_3gpuE3ELNS1_3repE0EEENS1_30default_config_static_selectorELNS0_4arch9wavefront6targetE0EEEvSL_ ; -- Begin function _ZN7rocprim17ROCPRIM_400000_NS6detail17trampoline_kernelINS0_14default_configENS1_36segmented_radix_sort_config_selectorI12hip_bfloat16lEEZNS1_25segmented_radix_sort_implIS3_Lb0EPKS5_PS5_PKlPlN2at6native12_GLOBAL__N_18offset_tEEE10hipError_tPvRmT1_PNSt15iterator_traitsISL_E10value_typeET2_T3_PNSM_ISR_E10value_typeET4_jRbjT5_SX_jjP12ihipStream_tbEUlT_E2_NS1_11comp_targetILNS1_3genE9ELNS1_11target_archE1100ELNS1_3gpuE3ELNS1_3repE0EEENS1_30default_config_static_selectorELNS0_4arch9wavefront6targetE0EEEvSL_
	.p2align	8
	.type	_ZN7rocprim17ROCPRIM_400000_NS6detail17trampoline_kernelINS0_14default_configENS1_36segmented_radix_sort_config_selectorI12hip_bfloat16lEEZNS1_25segmented_radix_sort_implIS3_Lb0EPKS5_PS5_PKlPlN2at6native12_GLOBAL__N_18offset_tEEE10hipError_tPvRmT1_PNSt15iterator_traitsISL_E10value_typeET2_T3_PNSM_ISR_E10value_typeET4_jRbjT5_SX_jjP12ihipStream_tbEUlT_E2_NS1_11comp_targetILNS1_3genE9ELNS1_11target_archE1100ELNS1_3gpuE3ELNS1_3repE0EEENS1_30default_config_static_selectorELNS0_4arch9wavefront6targetE0EEEvSL_,@function
_ZN7rocprim17ROCPRIM_400000_NS6detail17trampoline_kernelINS0_14default_configENS1_36segmented_radix_sort_config_selectorI12hip_bfloat16lEEZNS1_25segmented_radix_sort_implIS3_Lb0EPKS5_PS5_PKlPlN2at6native12_GLOBAL__N_18offset_tEEE10hipError_tPvRmT1_PNSt15iterator_traitsISL_E10value_typeET2_T3_PNSM_ISR_E10value_typeET4_jRbjT5_SX_jjP12ihipStream_tbEUlT_E2_NS1_11comp_targetILNS1_3genE9ELNS1_11target_archE1100ELNS1_3gpuE3ELNS1_3repE0EEENS1_30default_config_static_selectorELNS0_4arch9wavefront6targetE0EEEvSL_: ; @_ZN7rocprim17ROCPRIM_400000_NS6detail17trampoline_kernelINS0_14default_configENS1_36segmented_radix_sort_config_selectorI12hip_bfloat16lEEZNS1_25segmented_radix_sort_implIS3_Lb0EPKS5_PS5_PKlPlN2at6native12_GLOBAL__N_18offset_tEEE10hipError_tPvRmT1_PNSt15iterator_traitsISL_E10value_typeET2_T3_PNSM_ISR_E10value_typeET4_jRbjT5_SX_jjP12ihipStream_tbEUlT_E2_NS1_11comp_targetILNS1_3genE9ELNS1_11target_archE1100ELNS1_3gpuE3ELNS1_3repE0EEENS1_30default_config_static_selectorELNS0_4arch9wavefront6targetE0EEEvSL_
; %bb.0:
	s_load_b128 s[4:7], s[0:1], 0x34
	s_mov_b32 s32, 0
	s_waitcnt lgkmcnt(0)
	s_add_i32 s52, s5, s14
	s_add_i32 s53, s7, s14
	s_mul_i32 s52, s52, s4
	s_mul_i32 s53, s53, s6
	s_delay_alu instid0(SALU_CYCLE_1)
	s_cmp_le_u32 s53, s52
	s_cbranch_scc1 .LBB2086_1198
; %bb.1:
	s_clause 0x3
	s_load_b32 s2, s[0:1], 0x30
	s_load_b128 s[44:47], s[0:1], 0x20
	s_load_b128 s[48:51], s[0:1], 0x44
	s_load_b256 s[36:43], s[0:1], 0x0
	s_waitcnt lgkmcnt(0)
	s_bitcmp1_b32 s2, 0
	s_mov_b32 s2, -1
	s_cselect_b32 s51, -1, 0
	s_sub_i32 s54, s53, s52
	s_delay_alu instid0(SALU_CYCLE_1)
	s_cmpk_lt_u32 s54, 0x1001
	s_cbranch_scc0 .LBB2086_15
; %bb.2:
	s_cmp_lt_u32 s54, 33
	s_cbranch_scc0 .LBB2086_9
; %bb.3:
	s_load_b32 s2, s[0:1], 0x5c
	v_bfe_u32 v1, v0, 10, 10
	v_bfe_u32 v2, v0, 20, 10
	s_mov_b32 s11, exec_lo
	s_waitcnt lgkmcnt(0)
	s_lshr_b32 s3, s2, 16
	s_and_b32 s2, s2, 0xffff
	v_mad_u32_u24 v4, v2, s3, v1
	v_and_b32_e32 v1, 0x3ff, v0
	s_delay_alu instid0(VALU_DEP_1) | instskip(NEXT) | instid1(VALU_DEP_1)
	v_mad_u64_u32 v[2:3], null, v4, s2, v[1:2]
	v_cmpx_gt_u32_e32 8, v2
	s_cbranch_execz .LBB2086_8
; %bb.4:
	v_cndmask_b32_e64 v1, 0, 1, s51
	s_and_b32 s2, s48, 1
	s_delay_alu instid0(VALU_DEP_1) | instid1(SALU_CYCLE_1)
	v_cmp_ne_u32_e32 vcc_lo, s2, v1
	s_mov_b32 s2, -1
	s_cbranch_vccnz .LBB2086_6
; %bb.5:
	s_mov_b64 s[2:3], src_shared_base
	v_mov_b32_e32 v31, v0
	v_dual_mov_b32 v40, v0 :: v_dual_mov_b32 v1, s37
	v_mov_b32_e32 v0, s36
	v_dual_mov_b32 v2, s40 :: v_dual_mov_b32 v3, s41
	v_dual_mov_b32 v4, s42 :: v_dual_mov_b32 v5, s43
	;; [unrolled: 1-line block ×5, first 2 shown]
	s_add_u32 s8, s0, 0x50
	s_addc_u32 s9, s1, 0
	s_mov_b32 s12, s14
	s_mov_b32 s13, s15
	s_getpc_b64 s[4:5]
	s_add_u32 s4, s4, _ZN7rocprim17ROCPRIM_400000_NS6detail26segmented_warp_sort_helperINS1_20WarpSortHelperConfigILj8ELj4ELj256EEE12hip_bfloat16lLi256ELb0EvE4sortIPKS5_PS5_PKlPlEEvT_T0_T1_T2_jjjjRNS6_12storage_typeE@rel32@lo+4
	s_addc_u32 s5, s5, _ZN7rocprim17ROCPRIM_400000_NS6detail26segmented_warp_sort_helperINS1_20WarpSortHelperConfigILj8ELj4ELj256EEE12hip_bfloat16lLi256ELb0EvE4sortIPKS5_PS5_PKlPlEEvT_T0_T1_T2_jjjjRNS6_12storage_typeE@rel32@hi+12
	s_mov_b64 s[16:17], s[0:1]
	s_swappc_b64 s[30:31], s[4:5]
	v_mov_b32_e32 v0, v40
	s_mov_b64 s[0:1], s[16:17]
	s_mov_b32 s2, 0
.LBB2086_6:
	s_delay_alu instid0(SALU_CYCLE_1)
	s_and_not1_b32 vcc_lo, exec_lo, s2
	s_cbranch_vccnz .LBB2086_8
; %bb.7:
	s_mov_b64 s[2:3], src_shared_base
	v_mov_b32_e32 v31, v0
	v_dual_mov_b32 v40, v0 :: v_dual_mov_b32 v1, s37
	v_mov_b32_e32 v0, s36
	v_dual_mov_b32 v2, s38 :: v_dual_mov_b32 v3, s39
	v_dual_mov_b32 v4, s42 :: v_dual_mov_b32 v5, s43
	;; [unrolled: 1-line block ×5, first 2 shown]
	s_add_u32 s8, s0, 0x50
	s_addc_u32 s9, s1, 0
	s_mov_b32 s12, s14
	s_mov_b32 s13, s15
	s_getpc_b64 s[4:5]
	s_add_u32 s4, s4, _ZN7rocprim17ROCPRIM_400000_NS6detail26segmented_warp_sort_helperINS1_20WarpSortHelperConfigILj8ELj4ELj256EEE12hip_bfloat16lLi256ELb0EvE4sortIPKS5_PS5_PKlPlEEvT_T0_T1_T2_jjjjRNS6_12storage_typeE@rel32@lo+4
	s_addc_u32 s5, s5, _ZN7rocprim17ROCPRIM_400000_NS6detail26segmented_warp_sort_helperINS1_20WarpSortHelperConfigILj8ELj4ELj256EEE12hip_bfloat16lLi256ELb0EvE4sortIPKS5_PS5_PKlPlEEvT_T0_T1_T2_jjjjRNS6_12storage_typeE@rel32@hi+12
	s_mov_b64 s[16:17], s[0:1]
	s_swappc_b64 s[30:31], s[4:5]
	v_mov_b32_e32 v0, v40
	s_mov_b64 s[0:1], s[16:17]
.LBB2086_8:
	s_or_b32 exec_lo, exec_lo, s11
	s_mov_b32 s2, 0
.LBB2086_9:
	s_delay_alu instid0(SALU_CYCLE_1)
	s_and_not1_b32 vcc_lo, exec_lo, s2
	s_cbranch_vccnz .LBB2086_14
; %bb.10:
	v_cndmask_b32_e64 v1, 0, 1, s51
	s_and_b32 s2, s48, 1
	s_delay_alu instid0(VALU_DEP_1) | instid1(SALU_CYCLE_1)
	v_cmp_ne_u32_e32 vcc_lo, s2, v1
	s_mov_b32 s2, -1
	s_cbranch_vccnz .LBB2086_12
; %bb.11:
	s_mov_b64 s[2:3], src_shared_base
	v_mov_b32_e32 v31, v0
	v_dual_mov_b32 v40, v0 :: v_dual_mov_b32 v1, s37
	v_mov_b32_e32 v0, s36
	v_dual_mov_b32 v2, s40 :: v_dual_mov_b32 v3, s41
	v_dual_mov_b32 v4, s42 :: v_dual_mov_b32 v5, s43
	;; [unrolled: 1-line block ×6, first 2 shown]
	s_add_u32 s8, s0, 0x50
	s_addc_u32 s9, s1, 0
	s_mov_b32 s12, s14
	s_mov_b32 s13, s15
	s_getpc_b64 s[4:5]
	s_add_u32 s4, s4, _ZN7rocprim17ROCPRIM_400000_NS6detail40segmented_radix_sort_single_block_helperI12hip_bfloat16lLj256ELj16ELb0EE4sortIPKS3_PS3_PKlPlEEbT_T0_T1_T2_jjjjRNS4_12storage_typeE@rel32@lo+4
	s_addc_u32 s5, s5, _ZN7rocprim17ROCPRIM_400000_NS6detail40segmented_radix_sort_single_block_helperI12hip_bfloat16lLj256ELj16ELb0EE4sortIPKS3_PS3_PKlPlEEbT_T0_T1_T2_jjjjRNS4_12storage_typeE@rel32@hi+12
	s_mov_b64 s[26:27], s[0:1]
	s_mov_b32 s28, s15
	s_mov_b32 s29, s14
	s_swappc_b64 s[30:31], s[4:5]
	v_mov_b32_e32 v0, v40
	s_mov_b32 s14, s29
	s_mov_b32 s15, s28
	s_mov_b64 s[0:1], s[26:27]
	s_mov_b32 s2, 0
.LBB2086_12:
	s_delay_alu instid0(SALU_CYCLE_1)
	s_and_not1_b32 vcc_lo, exec_lo, s2
	s_cbranch_vccnz .LBB2086_14
; %bb.13:
	s_mov_b64 s[2:3], src_shared_base
	v_mov_b32_e32 v31, v0
	v_dual_mov_b32 v40, v0 :: v_dual_mov_b32 v1, s37
	v_mov_b32_e32 v0, s36
	v_dual_mov_b32 v2, s38 :: v_dual_mov_b32 v3, s39
	v_dual_mov_b32 v4, s42 :: v_dual_mov_b32 v5, s43
	;; [unrolled: 1-line block ×6, first 2 shown]
	s_add_u32 s8, s0, 0x50
	s_addc_u32 s9, s1, 0
	s_mov_b32 s12, s14
	s_mov_b32 s13, s15
	s_getpc_b64 s[4:5]
	s_add_u32 s4, s4, _ZN7rocprim17ROCPRIM_400000_NS6detail40segmented_radix_sort_single_block_helperI12hip_bfloat16lLj256ELj16ELb0EE4sortIPKS3_PS3_PKlPlEEbT_T0_T1_T2_jjjjRNS4_12storage_typeE@rel32@lo+4
	s_addc_u32 s5, s5, _ZN7rocprim17ROCPRIM_400000_NS6detail40segmented_radix_sort_single_block_helperI12hip_bfloat16lLj256ELj16ELb0EE4sortIPKS3_PS3_PKlPlEEbT_T0_T1_T2_jjjjRNS4_12storage_typeE@rel32@hi+12
	s_mov_b64 s[26:27], s[0:1]
	s_mov_b32 s29, s15
	s_mov_b32 s28, s14
	s_swappc_b64 s[30:31], s[4:5]
	v_mov_b32_e32 v0, v40
	s_mov_b32 s14, s28
	s_mov_b32 s15, s29
	s_mov_b64 s[0:1], s[26:27]
.LBB2086_14:
	s_mov_b32 s2, 0
.LBB2086_15:
	s_delay_alu instid0(SALU_CYCLE_1)
	s_and_not1_b32 vcc_lo, exec_lo, s2
	s_cbranch_vccnz .LBB2086_1198
; %bb.16:
	s_cmp_ge_u32 s49, s50
	s_cbranch_scc1 .LBB2086_1198
; %bb.17:
	v_dual_mov_b32 v94, 1 :: v_dual_and_b32 v1, 0x3ff, v0
	v_mov_b32_e32 v3, 0
	v_bfe_u32 v70, v0, 20, 10
	v_bfe_u32 v0, v0, 10, 10
	s_delay_alu instid0(VALU_DEP_4)
	v_lshlrev_b32_e32 v44, 2, v1
	v_lshrrev_b32_e32 v4, 3, v1
	v_or_b32_e32 v5, 31, v1
	v_lshlrev_b32_e32 v6, 5, v1
	v_lshlrev_b32_e32 v2, 1, v1
	v_mad_u32_u24 v64, v1, 12, v44
	v_and_b32_e32 v62, 28, v4
	v_lshlrev_b32_e32 v4, 4, v1
	v_cmp_eq_u32_e64 s3, v5, v1
	v_add_nc_u32_e32 v5, 1, v1
	v_mad_u32_u24 v69, v1, 20, v64
	v_or_b32_e32 v55, 0x800, v1
	v_and_b32_e32 v68, 0xe00, v4
	v_mul_u32_u24_e32 v4, 9, v1
	v_or_b32_e32 v56, 0x900, v1
	v_sub_nc_u32_e32 v72, v69, v6
	v_or_b32_e32 v57, 0xa00, v1
	v_lshlrev_b32_e32 v6, 3, v68
	v_lshl_add_u32 v71, v4, 2, 0x420
	v_mul_u32_u24_e32 v4, 9, v5
	v_or_b32_e32 v58, 0xb00, v1
	v_or_b32_e32 v59, 0xc00, v1
	v_add_co_u32 v74, s8, s46, v6
	s_delay_alu instid0(VALU_DEP_4) | instskip(SKIP_4) | instid1(VALU_DEP_4)
	v_lshlrev_b32_e32 v73, 2, v4
	v_lshlrev_b32_e32 v4, 1, v68
	v_add_co_ci_u32_e64 v75, null, s47, 0, s8
	v_or_b32_e32 v60, 0xd00, v1
	v_or_b32_e32 v61, 0xe00, v1
	v_add_co_u32 v76, s8, s40, v4
	s_delay_alu instid0(VALU_DEP_1) | instskip(SKIP_1) | instid1(VALU_DEP_1)
	v_add_co_ci_u32_e64 v77, null, s41, 0, s8
	v_add_co_u32 v82, s8, s38, v2
	v_add_co_ci_u32_e64 v83, null, s39, 0, s8
	v_add_co_u32 v84, s8, s44, v6
	s_delay_alu instid0(VALU_DEP_1) | instskip(SKIP_1) | instid1(VALU_DEP_1)
	v_add_co_ci_u32_e64 v85, null, s45, 0, s8
	v_add_co_u32 v86, s8, s38, v4
	v_add_co_ci_u32_e64 v87, null, s39, 0, s8
	v_add_co_u32 v88, s8, s36, v2
	v_or_b32_e32 v63, 0xf00, v1
	v_add_co_ci_u32_e64 v89, null, s37, 0, s8
	v_add_co_u32 v90, s8, s42, v6
	v_add_co_u32 v49, s2, s40, v2
	v_add_co_ci_u32_e64 v91, null, s43, 0, s8
	v_add_co_u32 v92, s8, s36, v4
	v_or_b32_e32 v45, 0x100, v1
	v_or_b32_e32 v46, 0x200, v1
	;; [unrolled: 1-line block ×3, first 2 shown]
	v_and_b32_e32 v48, 3, v1
	v_add_co_ci_u32_e64 v50, null, s41, 0, s2
	v_or_b32_e32 v51, 0x400, v1
	v_or_b32_e32 v52, 0x500, v1
	;; [unrolled: 1-line block ×4, first 2 shown]
	v_cmp_gt_u32_e64 s2, 0x100, v1
	v_or_b32_e32 v65, 0x8400, v62
	v_cmp_gt_u32_e64 s4, 8, v1
	v_add_nc_u32_e32 v66, 0x8400, v44
	v_cmp_lt_u32_e64 s5, 31, v1
	v_add_nc_u32_e32 v67, 0x83fc, v62
	v_cmp_eq_u32_e64 s6, 0, v1
	v_cmp_ne_u32_e64 s7, 0x100, v5
	v_sub_nc_u32_e32 v78, 0, v2
	v_add_nc_u32_e32 v79, 0x400, v2
	v_lshlrev_b32_e32 v80, 3, v1
	v_mul_u32_u24_e32 v81, 6, v1
	v_add_co_ci_u32_e64 v93, null, s37, 0, s8
	v_lshlrev_b32_e32 v95, 1, v1
	v_lshlrev_b32_e32 v96, 1, v55
	;; [unrolled: 1-line block ×9, first 2 shown]
	v_mbcnt_lo_u32_b32 v104, -1, 0
	s_add_u32 s42, s0, 0x50
	s_mov_b32 s35, 0
	s_addc_u32 s43, s1, 0
	s_mov_b32 s48, s49
	s_branch .LBB2086_20
.LBB2086_18:                            ;   in Loop: Header=BB2086_20 Depth=1
	s_waitcnt lgkmcnt(0)
	s_barrier
.LBB2086_19:                            ;   in Loop: Header=BB2086_20 Depth=1
	s_add_i32 s48, s48, 8
	buffer_gl0_inv
	s_cmp_ge_u32 s48, s50
	s_cbranch_scc1 .LBB2086_1198
.LBB2086_20:                            ; =>This Loop Header: Depth=1
                                        ;     Child Loop BB2086_24 Depth 2
                                        ;     Child Loop BB2086_106 Depth 2
	;; [unrolled: 1-line block ×8, first 2 shown]
	s_sub_i32 s0, s50, s48
	s_xor_b32 s51, s51, -1
	s_min_u32 s0, s0, 8
	ds_store_2addr_stride64_b32 v44, v3, v3 offset1:4
	s_lshl_b32 s0, -1, s0
	ds_store_2addr_stride64_b32 v44, v3, v3 offset0:8 offset1:12
	s_not_b32 s55, s0
	s_cmp_lg_u32 s48, s49
	s_mov_b32 s0, -1
	s_waitcnt lgkmcnt(0)
	s_waitcnt_vscnt null, 0x0
	s_cbranch_scc0 .LBB2086_610
; %bb.21:                               ;   in Loop: Header=BB2086_20 Depth=1
	s_and_b32 vcc_lo, exec_lo, s51
	s_cbranch_vccz .LBB2086_315
; %bb.22:                               ;   in Loop: Header=BB2086_20 Depth=1
	s_mov_b32 s8, s54
	s_mov_b32 s34, s52
	s_barrier
	buffer_gl0_inv
                                        ; implicit-def: $vgpr20
                                        ; implicit-def: $vgpr2
                                        ; implicit-def: $vgpr6
                                        ; implicit-def: $vgpr7
                                        ; implicit-def: $vgpr8
                                        ; implicit-def: $vgpr9
                                        ; implicit-def: $vgpr10
                                        ; implicit-def: $vgpr11
                                        ; implicit-def: $vgpr12
                                        ; implicit-def: $vgpr13
                                        ; implicit-def: $vgpr14
                                        ; implicit-def: $vgpr15
                                        ; implicit-def: $vgpr16
                                        ; implicit-def: $vgpr17
                                        ; implicit-def: $vgpr18
                                        ; implicit-def: $vgpr19
	s_branch .LBB2086_24
.LBB2086_23:                            ;   in Loop: Header=BB2086_24 Depth=2
	s_or_b32 exec_lo, exec_lo, s0
	s_addk_i32 s8, 0xf000
	s_cmp_ge_u32 s9, s53
	s_mov_b32 s34, s9
	s_cbranch_scc1 .LBB2086_94
.LBB2086_24:                            ;   Parent Loop BB2086_20 Depth=1
                                        ; =>  This Inner Loop Header: Depth=2
	s_add_i32 s9, s34, 0x1000
	s_delay_alu instid0(SALU_CYCLE_1)
	s_cmp_gt_u32 s9, s53
	s_cbranch_scc1 .LBB2086_27
; %bb.25:                               ;   in Loop: Header=BB2086_24 Depth=2
	s_mov_b32 s1, 0
	s_mov_b32 s0, s34
	s_delay_alu instid0(SALU_CYCLE_1) | instskip(NEXT) | instid1(SALU_CYCLE_1)
	s_lshl_b64 s[10:11], s[0:1], 1
	v_add_co_u32 v4, vcc_lo, v49, s10
	v_add_co_ci_u32_e32 v5, vcc_lo, s11, v50, vcc_lo
	s_movk_i32 s11, 0x1000
	s_waitcnt vmcnt(0)
	s_delay_alu instid0(VALU_DEP_2) | instskip(NEXT) | instid1(VALU_DEP_2)
	v_add_co_u32 v36, vcc_lo, 0x1000, v4
	v_add_co_ci_u32_e32 v37, vcc_lo, 0, v5, vcc_lo
	s_clause 0xe
	global_load_u16 v22, v[4:5], off
	global_load_u16 v23, v[4:5], off offset:512
	global_load_u16 v24, v[4:5], off offset:1024
	;; [unrolled: 1-line block ×7, first 2 shown]
	global_load_u16 v30, v[36:37], off
	global_load_u16 v31, v[36:37], off offset:512
	global_load_u16 v32, v[36:37], off offset:1024
	;; [unrolled: 1-line block ×6, first 2 shown]
	v_add_co_u32 v4, vcc_lo, 0x1e00, v4
	v_add_co_ci_u32_e32 v5, vcc_lo, 0, v5, vcc_lo
	s_mov_b32 s10, -1
	s_cbranch_execz .LBB2086_28
; %bb.26:                               ;   in Loop: Header=BB2086_24 Depth=2
                                        ; implicit-def: $vgpr19
                                        ; implicit-def: $vgpr18
                                        ; implicit-def: $vgpr17
                                        ; implicit-def: $vgpr16
                                        ; implicit-def: $vgpr15
                                        ; implicit-def: $vgpr14
                                        ; implicit-def: $vgpr13
                                        ; implicit-def: $vgpr12
                                        ; implicit-def: $vgpr11
                                        ; implicit-def: $vgpr10
                                        ; implicit-def: $vgpr9
                                        ; implicit-def: $vgpr8
                                        ; implicit-def: $vgpr7
                                        ; implicit-def: $vgpr6
                                        ; implicit-def: $vgpr2
                                        ; implicit-def: $vgpr20
	v_mov_b32_e32 v21, s8
	s_and_saveexec_b32 s0, s10
	s_cbranch_execnz .LBB2086_47
	s_branch .LBB2086_48
.LBB2086_27:                            ;   in Loop: Header=BB2086_24 Depth=2
	s_mov_b32 s10, 0
                                        ; implicit-def: $sgpr11
                                        ; implicit-def: $vgpr22
                                        ; implicit-def: $vgpr23
                                        ; implicit-def: $vgpr24
                                        ; implicit-def: $vgpr25
                                        ; implicit-def: $vgpr26
                                        ; implicit-def: $vgpr27
                                        ; implicit-def: $vgpr28
                                        ; implicit-def: $vgpr29
                                        ; implicit-def: $vgpr30
                                        ; implicit-def: $vgpr31
                                        ; implicit-def: $vgpr32
                                        ; implicit-def: $vgpr33
                                        ; implicit-def: $vgpr34
                                        ; implicit-def: $vgpr35
                                        ; implicit-def: $vgpr36
                                        ; implicit-def: $vgpr4_vgpr5
.LBB2086_28:                            ;   in Loop: Header=BB2086_24 Depth=2
	s_lshl_b64 s[0:1], s[34:35], 1
	s_mov_b32 s11, exec_lo
	s_add_u32 s0, s40, s0
	s_addc_u32 s1, s41, s1
	v_cmpx_gt_u32_e64 s8, v1
	s_cbranch_execz .LBB2086_80
; %bb.29:                               ;   in Loop: Header=BB2086_24 Depth=2
	global_load_u16 v19, v95, s[0:1]
	s_or_b32 exec_lo, exec_lo, s11
	s_delay_alu instid0(SALU_CYCLE_1)
	s_mov_b32 s11, exec_lo
	v_cmpx_gt_u32_e64 s8, v45
	s_cbranch_execnz .LBB2086_81
.LBB2086_30:                            ;   in Loop: Header=BB2086_24 Depth=2
	s_or_b32 exec_lo, exec_lo, s11
	s_delay_alu instid0(SALU_CYCLE_1)
	s_mov_b32 s11, exec_lo
	v_cmpx_gt_u32_e64 s8, v46
	s_cbranch_execz .LBB2086_82
.LBB2086_31:                            ;   in Loop: Header=BB2086_24 Depth=2
	global_load_u16 v17, v95, s[0:1] offset:1024
	s_or_b32 exec_lo, exec_lo, s11
	s_delay_alu instid0(SALU_CYCLE_1)
	s_mov_b32 s11, exec_lo
	v_cmpx_gt_u32_e64 s8, v47
	s_cbranch_execnz .LBB2086_83
.LBB2086_32:                            ;   in Loop: Header=BB2086_24 Depth=2
	s_or_b32 exec_lo, exec_lo, s11
	s_delay_alu instid0(SALU_CYCLE_1)
	s_mov_b32 s11, exec_lo
	v_cmpx_gt_u32_e64 s8, v51
	s_cbranch_execz .LBB2086_84
.LBB2086_33:                            ;   in Loop: Header=BB2086_24 Depth=2
	global_load_u16 v15, v95, s[0:1] offset:2048
	s_or_b32 exec_lo, exec_lo, s11
	s_delay_alu instid0(SALU_CYCLE_1)
	s_mov_b32 s11, exec_lo
	v_cmpx_gt_u32_e64 s8, v52
	s_cbranch_execnz .LBB2086_85
.LBB2086_34:                            ;   in Loop: Header=BB2086_24 Depth=2
	s_or_b32 exec_lo, exec_lo, s11
	s_delay_alu instid0(SALU_CYCLE_1)
	s_mov_b32 s11, exec_lo
	v_cmpx_gt_u32_e64 s8, v53
	s_cbranch_execz .LBB2086_86
.LBB2086_35:                            ;   in Loop: Header=BB2086_24 Depth=2
	global_load_u16 v13, v95, s[0:1] offset:3072
	s_or_b32 exec_lo, exec_lo, s11
	s_delay_alu instid0(SALU_CYCLE_1)
	s_mov_b32 s11, exec_lo
	v_cmpx_gt_u32_e64 s8, v54
	s_cbranch_execnz .LBB2086_87
.LBB2086_36:                            ;   in Loop: Header=BB2086_24 Depth=2
	s_or_b32 exec_lo, exec_lo, s11
	s_delay_alu instid0(SALU_CYCLE_1)
	s_mov_b32 s11, exec_lo
	v_cmpx_gt_u32_e64 s8, v55
	s_cbranch_execz .LBB2086_88
.LBB2086_37:                            ;   in Loop: Header=BB2086_24 Depth=2
	global_load_u16 v11, v96, s[0:1]
	s_or_b32 exec_lo, exec_lo, s11
	s_delay_alu instid0(SALU_CYCLE_1)
	s_mov_b32 s11, exec_lo
	v_cmpx_gt_u32_e64 s8, v56
	s_cbranch_execnz .LBB2086_89
.LBB2086_38:                            ;   in Loop: Header=BB2086_24 Depth=2
	s_or_b32 exec_lo, exec_lo, s11
	s_delay_alu instid0(SALU_CYCLE_1)
	s_mov_b32 s11, exec_lo
	v_cmpx_gt_u32_e64 s8, v57
	s_cbranch_execz .LBB2086_90
.LBB2086_39:                            ;   in Loop: Header=BB2086_24 Depth=2
	global_load_u16 v9, v98, s[0:1]
	s_or_b32 exec_lo, exec_lo, s11
	s_delay_alu instid0(SALU_CYCLE_1)
	s_mov_b32 s11, exec_lo
	v_cmpx_gt_u32_e64 s8, v58
	s_cbranch_execnz .LBB2086_91
.LBB2086_40:                            ;   in Loop: Header=BB2086_24 Depth=2
	s_or_b32 exec_lo, exec_lo, s11
	s_delay_alu instid0(SALU_CYCLE_1)
	s_mov_b32 s11, exec_lo
	v_cmpx_gt_u32_e64 s8, v59
	s_cbranch_execz .LBB2086_92
.LBB2086_41:                            ;   in Loop: Header=BB2086_24 Depth=2
	global_load_u16 v7, v100, s[0:1]
	s_or_b32 exec_lo, exec_lo, s11
	s_delay_alu instid0(SALU_CYCLE_1)
	s_mov_b32 s11, exec_lo
	v_cmpx_gt_u32_e64 s8, v60
	s_cbranch_execnz .LBB2086_93
.LBB2086_42:                            ;   in Loop: Header=BB2086_24 Depth=2
	s_or_b32 exec_lo, exec_lo, s11
	s_delay_alu instid0(SALU_CYCLE_1)
	s_mov_b32 s11, exec_lo
	v_cmpx_gt_u32_e64 s8, v61
	s_cbranch_execz .LBB2086_44
.LBB2086_43:                            ;   in Loop: Header=BB2086_24 Depth=2
	global_load_u16 v2, v102, s[0:1]
.LBB2086_44:                            ;   in Loop: Header=BB2086_24 Depth=2
	s_or_b32 exec_lo, exec_lo, s11
	s_delay_alu instid0(SALU_CYCLE_1)
	s_mov_b32 s12, exec_lo
                                        ; implicit-def: $sgpr11
                                        ; implicit-def: $vgpr4_vgpr5
	v_cmpx_gt_u32_e64 s8, v63
; %bb.45:                               ;   in Loop: Header=BB2086_24 Depth=2
	v_add_co_u32 v4, s0, s0, v103
	s_delay_alu instid0(VALU_DEP_1)
	v_add_co_ci_u32_e64 v5, null, s1, 0, s0
	s_sub_i32 s11, s53, s34
	s_or_b32 s10, s10, exec_lo
                                        ; implicit-def: $vgpr20
; %bb.46:                               ;   in Loop: Header=BB2086_24 Depth=2
	s_or_b32 exec_lo, exec_lo, s12
	s_waitcnt vmcnt(0)
	v_dual_mov_b32 v22, v19 :: v_dual_mov_b32 v23, v18
	v_dual_mov_b32 v24, v17 :: v_dual_mov_b32 v25, v16
	;; [unrolled: 1-line block ×8, first 2 shown]
	s_and_saveexec_b32 s0, s10
	s_cbranch_execz .LBB2086_48
.LBB2086_47:                            ;   in Loop: Header=BB2086_24 Depth=2
	global_load_u16 v20, v[4:5], off
	s_waitcnt vmcnt(1)
	v_dual_mov_b32 v21, s11 :: v_dual_mov_b32 v2, v36
	v_dual_mov_b32 v6, v35 :: v_dual_mov_b32 v7, v34
	;; [unrolled: 1-line block ×8, first 2 shown]
.LBB2086_48:                            ;   in Loop: Header=BB2086_24 Depth=2
	s_or_b32 exec_lo, exec_lo, s0
	s_delay_alu instid0(SALU_CYCLE_1)
	s_mov_b32 s0, exec_lo
	v_cmpx_lt_u32_e64 v1, v21
	s_cbranch_execz .LBB2086_64
; %bb.49:                               ;   in Loop: Header=BB2086_24 Depth=2
	v_cmp_lt_i16_e32 vcc_lo, -1, v19
	v_lshlrev_b32_e32 v5, 2, v48
	v_cndmask_b32_e64 v4, -1, 0xffff8000, vcc_lo
	s_delay_alu instid0(VALU_DEP_1) | instskip(NEXT) | instid1(VALU_DEP_1)
	v_xor_b32_e32 v4, v4, v19
	v_cmp_ne_u16_e32 vcc_lo, 0x7fff, v4
	v_cndmask_b32_e32 v4, 0xffff8000, v4, vcc_lo
	s_delay_alu instid0(VALU_DEP_1) | instskip(NEXT) | instid1(VALU_DEP_1)
	v_and_b32_e32 v4, 0xffff, v4
	v_lshrrev_b32_e32 v4, s48, v4
	s_delay_alu instid0(VALU_DEP_1) | instskip(NEXT) | instid1(VALU_DEP_1)
	v_and_b32_e32 v4, s55, v4
	v_lshl_or_b32 v4, v4, 4, v5
	ds_add_u32 v4, v94
	s_or_b32 exec_lo, exec_lo, s0
	s_delay_alu instid0(SALU_CYCLE_1)
	s_mov_b32 s0, exec_lo
	v_cmpx_lt_u32_e64 v45, v21
	s_cbranch_execnz .LBB2086_65
.LBB2086_50:                            ;   in Loop: Header=BB2086_24 Depth=2
	s_or_b32 exec_lo, exec_lo, s0
	s_delay_alu instid0(SALU_CYCLE_1)
	s_mov_b32 s0, exec_lo
	v_cmpx_lt_u32_e64 v46, v21
	s_cbranch_execz .LBB2086_66
.LBB2086_51:                            ;   in Loop: Header=BB2086_24 Depth=2
	v_cmp_lt_i16_e32 vcc_lo, -1, v17
	v_lshlrev_b32_e32 v5, 2, v48
	v_cndmask_b32_e64 v4, -1, 0xffff8000, vcc_lo
	s_delay_alu instid0(VALU_DEP_1) | instskip(NEXT) | instid1(VALU_DEP_1)
	v_xor_b32_e32 v4, v4, v17
	v_cmp_ne_u16_e32 vcc_lo, 0x7fff, v4
	v_cndmask_b32_e32 v4, 0xffff8000, v4, vcc_lo
	s_delay_alu instid0(VALU_DEP_1) | instskip(NEXT) | instid1(VALU_DEP_1)
	v_and_b32_e32 v4, 0xffff, v4
	v_lshrrev_b32_e32 v4, s48, v4
	s_delay_alu instid0(VALU_DEP_1) | instskip(NEXT) | instid1(VALU_DEP_1)
	v_and_b32_e32 v4, s55, v4
	v_lshl_or_b32 v4, v4, 4, v5
	ds_add_u32 v4, v94
	s_or_b32 exec_lo, exec_lo, s0
	s_delay_alu instid0(SALU_CYCLE_1)
	s_mov_b32 s0, exec_lo
	v_cmpx_lt_u32_e64 v47, v21
	s_cbranch_execnz .LBB2086_67
.LBB2086_52:                            ;   in Loop: Header=BB2086_24 Depth=2
	s_or_b32 exec_lo, exec_lo, s0
	s_delay_alu instid0(SALU_CYCLE_1)
	s_mov_b32 s0, exec_lo
	v_cmpx_lt_u32_e64 v51, v21
	s_cbranch_execz .LBB2086_68
.LBB2086_53:                            ;   in Loop: Header=BB2086_24 Depth=2
	v_cmp_lt_i16_e32 vcc_lo, -1, v15
	v_lshlrev_b32_e32 v5, 2, v48
	v_cndmask_b32_e64 v4, -1, 0xffff8000, vcc_lo
	s_delay_alu instid0(VALU_DEP_1) | instskip(NEXT) | instid1(VALU_DEP_1)
	v_xor_b32_e32 v4, v4, v15
	v_cmp_ne_u16_e32 vcc_lo, 0x7fff, v4
	v_cndmask_b32_e32 v4, 0xffff8000, v4, vcc_lo
	s_delay_alu instid0(VALU_DEP_1) | instskip(NEXT) | instid1(VALU_DEP_1)
	v_and_b32_e32 v4, 0xffff, v4
	v_lshrrev_b32_e32 v4, s48, v4
	s_delay_alu instid0(VALU_DEP_1) | instskip(NEXT) | instid1(VALU_DEP_1)
	v_and_b32_e32 v4, s55, v4
	v_lshl_or_b32 v4, v4, 4, v5
	ds_add_u32 v4, v94
	s_or_b32 exec_lo, exec_lo, s0
	s_delay_alu instid0(SALU_CYCLE_1)
	s_mov_b32 s0, exec_lo
	v_cmpx_lt_u32_e64 v52, v21
	s_cbranch_execnz .LBB2086_69
.LBB2086_54:                            ;   in Loop: Header=BB2086_24 Depth=2
	s_or_b32 exec_lo, exec_lo, s0
	s_delay_alu instid0(SALU_CYCLE_1)
	s_mov_b32 s0, exec_lo
	v_cmpx_lt_u32_e64 v53, v21
	s_cbranch_execz .LBB2086_70
.LBB2086_55:                            ;   in Loop: Header=BB2086_24 Depth=2
	v_cmp_lt_i16_e32 vcc_lo, -1, v13
	v_lshlrev_b32_e32 v5, 2, v48
	v_cndmask_b32_e64 v4, -1, 0xffff8000, vcc_lo
	s_delay_alu instid0(VALU_DEP_1) | instskip(NEXT) | instid1(VALU_DEP_1)
	v_xor_b32_e32 v4, v4, v13
	v_cmp_ne_u16_e32 vcc_lo, 0x7fff, v4
	v_cndmask_b32_e32 v4, 0xffff8000, v4, vcc_lo
	s_delay_alu instid0(VALU_DEP_1) | instskip(NEXT) | instid1(VALU_DEP_1)
	v_and_b32_e32 v4, 0xffff, v4
	v_lshrrev_b32_e32 v4, s48, v4
	s_delay_alu instid0(VALU_DEP_1) | instskip(NEXT) | instid1(VALU_DEP_1)
	v_and_b32_e32 v4, s55, v4
	v_lshl_or_b32 v4, v4, 4, v5
	ds_add_u32 v4, v94
	s_or_b32 exec_lo, exec_lo, s0
	s_delay_alu instid0(SALU_CYCLE_1)
	s_mov_b32 s0, exec_lo
	v_cmpx_lt_u32_e64 v54, v21
	s_cbranch_execnz .LBB2086_71
.LBB2086_56:                            ;   in Loop: Header=BB2086_24 Depth=2
	s_or_b32 exec_lo, exec_lo, s0
	s_delay_alu instid0(SALU_CYCLE_1)
	s_mov_b32 s0, exec_lo
	v_cmpx_lt_u32_e64 v55, v21
	s_cbranch_execz .LBB2086_72
.LBB2086_57:                            ;   in Loop: Header=BB2086_24 Depth=2
	v_cmp_lt_i16_e32 vcc_lo, -1, v11
	v_lshlrev_b32_e32 v5, 2, v48
	v_cndmask_b32_e64 v4, -1, 0xffff8000, vcc_lo
	s_delay_alu instid0(VALU_DEP_1) | instskip(NEXT) | instid1(VALU_DEP_1)
	v_xor_b32_e32 v4, v4, v11
	v_cmp_ne_u16_e32 vcc_lo, 0x7fff, v4
	v_cndmask_b32_e32 v4, 0xffff8000, v4, vcc_lo
	s_delay_alu instid0(VALU_DEP_1) | instskip(NEXT) | instid1(VALU_DEP_1)
	v_and_b32_e32 v4, 0xffff, v4
	v_lshrrev_b32_e32 v4, s48, v4
	s_delay_alu instid0(VALU_DEP_1) | instskip(NEXT) | instid1(VALU_DEP_1)
	v_and_b32_e32 v4, s55, v4
	v_lshl_or_b32 v4, v4, 4, v5
	ds_add_u32 v4, v94
	s_or_b32 exec_lo, exec_lo, s0
	s_delay_alu instid0(SALU_CYCLE_1)
	s_mov_b32 s0, exec_lo
	v_cmpx_lt_u32_e64 v56, v21
	s_cbranch_execnz .LBB2086_73
.LBB2086_58:                            ;   in Loop: Header=BB2086_24 Depth=2
	s_or_b32 exec_lo, exec_lo, s0
	s_delay_alu instid0(SALU_CYCLE_1)
	s_mov_b32 s0, exec_lo
	v_cmpx_lt_u32_e64 v57, v21
	s_cbranch_execz .LBB2086_74
.LBB2086_59:                            ;   in Loop: Header=BB2086_24 Depth=2
	v_cmp_lt_i16_e32 vcc_lo, -1, v9
	v_lshlrev_b32_e32 v5, 2, v48
	v_cndmask_b32_e64 v4, -1, 0xffff8000, vcc_lo
	s_delay_alu instid0(VALU_DEP_1) | instskip(NEXT) | instid1(VALU_DEP_1)
	v_xor_b32_e32 v4, v4, v9
	v_cmp_ne_u16_e32 vcc_lo, 0x7fff, v4
	v_cndmask_b32_e32 v4, 0xffff8000, v4, vcc_lo
	s_delay_alu instid0(VALU_DEP_1) | instskip(NEXT) | instid1(VALU_DEP_1)
	v_and_b32_e32 v4, 0xffff, v4
	v_lshrrev_b32_e32 v4, s48, v4
	s_delay_alu instid0(VALU_DEP_1) | instskip(NEXT) | instid1(VALU_DEP_1)
	v_and_b32_e32 v4, s55, v4
	v_lshl_or_b32 v4, v4, 4, v5
	ds_add_u32 v4, v94
	s_or_b32 exec_lo, exec_lo, s0
	s_delay_alu instid0(SALU_CYCLE_1)
	s_mov_b32 s0, exec_lo
	v_cmpx_lt_u32_e64 v58, v21
	s_cbranch_execnz .LBB2086_75
.LBB2086_60:                            ;   in Loop: Header=BB2086_24 Depth=2
	s_or_b32 exec_lo, exec_lo, s0
	s_delay_alu instid0(SALU_CYCLE_1)
	s_mov_b32 s0, exec_lo
	v_cmpx_lt_u32_e64 v59, v21
	s_cbranch_execz .LBB2086_76
.LBB2086_61:                            ;   in Loop: Header=BB2086_24 Depth=2
	v_cmp_lt_i16_e32 vcc_lo, -1, v7
	v_lshlrev_b32_e32 v5, 2, v48
	v_cndmask_b32_e64 v4, -1, 0xffff8000, vcc_lo
	s_delay_alu instid0(VALU_DEP_1) | instskip(NEXT) | instid1(VALU_DEP_1)
	v_xor_b32_e32 v4, v4, v7
	v_cmp_ne_u16_e32 vcc_lo, 0x7fff, v4
	v_cndmask_b32_e32 v4, 0xffff8000, v4, vcc_lo
	s_delay_alu instid0(VALU_DEP_1) | instskip(NEXT) | instid1(VALU_DEP_1)
	v_and_b32_e32 v4, 0xffff, v4
	v_lshrrev_b32_e32 v4, s48, v4
	s_delay_alu instid0(VALU_DEP_1) | instskip(NEXT) | instid1(VALU_DEP_1)
	v_and_b32_e32 v4, s55, v4
	v_lshl_or_b32 v4, v4, 4, v5
	ds_add_u32 v4, v94
	s_or_b32 exec_lo, exec_lo, s0
	s_delay_alu instid0(SALU_CYCLE_1)
	s_mov_b32 s0, exec_lo
	v_cmpx_lt_u32_e64 v60, v21
	s_cbranch_execnz .LBB2086_77
.LBB2086_62:                            ;   in Loop: Header=BB2086_24 Depth=2
	s_or_b32 exec_lo, exec_lo, s0
	s_delay_alu instid0(SALU_CYCLE_1)
	s_mov_b32 s0, exec_lo
	v_cmpx_lt_u32_e64 v61, v21
	s_cbranch_execz .LBB2086_78
.LBB2086_63:                            ;   in Loop: Header=BB2086_24 Depth=2
	v_cmp_lt_i16_e32 vcc_lo, -1, v2
	v_lshlrev_b32_e32 v5, 2, v48
	v_cndmask_b32_e64 v4, -1, 0xffff8000, vcc_lo
	s_delay_alu instid0(VALU_DEP_1) | instskip(NEXT) | instid1(VALU_DEP_1)
	v_xor_b32_e32 v4, v4, v2
	v_cmp_ne_u16_e32 vcc_lo, 0x7fff, v4
	v_cndmask_b32_e32 v4, 0xffff8000, v4, vcc_lo
	s_delay_alu instid0(VALU_DEP_1) | instskip(NEXT) | instid1(VALU_DEP_1)
	v_and_b32_e32 v4, 0xffff, v4
	v_lshrrev_b32_e32 v4, s48, v4
	s_delay_alu instid0(VALU_DEP_1) | instskip(NEXT) | instid1(VALU_DEP_1)
	v_and_b32_e32 v4, s55, v4
	v_lshl_or_b32 v4, v4, 4, v5
	ds_add_u32 v4, v94
	s_or_b32 exec_lo, exec_lo, s0
	s_delay_alu instid0(SALU_CYCLE_1)
	s_mov_b32 s0, exec_lo
	v_cmpx_lt_u32_e64 v63, v21
	s_cbranch_execz .LBB2086_23
	s_branch .LBB2086_79
.LBB2086_64:                            ;   in Loop: Header=BB2086_24 Depth=2
	s_or_b32 exec_lo, exec_lo, s0
	s_delay_alu instid0(SALU_CYCLE_1)
	s_mov_b32 s0, exec_lo
	v_cmpx_lt_u32_e64 v45, v21
	s_cbranch_execz .LBB2086_50
.LBB2086_65:                            ;   in Loop: Header=BB2086_24 Depth=2
	v_cmp_lt_i16_e32 vcc_lo, -1, v18
	v_lshlrev_b32_e32 v5, 2, v48
	v_cndmask_b32_e64 v4, -1, 0xffff8000, vcc_lo
	s_delay_alu instid0(VALU_DEP_1) | instskip(NEXT) | instid1(VALU_DEP_1)
	v_xor_b32_e32 v4, v4, v18
	v_cmp_ne_u16_e32 vcc_lo, 0x7fff, v4
	v_cndmask_b32_e32 v4, 0xffff8000, v4, vcc_lo
	s_delay_alu instid0(VALU_DEP_1) | instskip(NEXT) | instid1(VALU_DEP_1)
	v_and_b32_e32 v4, 0xffff, v4
	v_lshrrev_b32_e32 v4, s48, v4
	s_delay_alu instid0(VALU_DEP_1) | instskip(NEXT) | instid1(VALU_DEP_1)
	v_and_b32_e32 v4, s55, v4
	v_lshl_or_b32 v4, v4, 4, v5
	ds_add_u32 v4, v94
	s_or_b32 exec_lo, exec_lo, s0
	s_delay_alu instid0(SALU_CYCLE_1)
	s_mov_b32 s0, exec_lo
	v_cmpx_lt_u32_e64 v46, v21
	s_cbranch_execnz .LBB2086_51
.LBB2086_66:                            ;   in Loop: Header=BB2086_24 Depth=2
	s_or_b32 exec_lo, exec_lo, s0
	s_delay_alu instid0(SALU_CYCLE_1)
	s_mov_b32 s0, exec_lo
	v_cmpx_lt_u32_e64 v47, v21
	s_cbranch_execz .LBB2086_52
.LBB2086_67:                            ;   in Loop: Header=BB2086_24 Depth=2
	v_cmp_lt_i16_e32 vcc_lo, -1, v16
	v_lshlrev_b32_e32 v5, 2, v48
	v_cndmask_b32_e64 v4, -1, 0xffff8000, vcc_lo
	s_delay_alu instid0(VALU_DEP_1) | instskip(NEXT) | instid1(VALU_DEP_1)
	v_xor_b32_e32 v4, v4, v16
	v_cmp_ne_u16_e32 vcc_lo, 0x7fff, v4
	v_cndmask_b32_e32 v4, 0xffff8000, v4, vcc_lo
	s_delay_alu instid0(VALU_DEP_1) | instskip(NEXT) | instid1(VALU_DEP_1)
	v_and_b32_e32 v4, 0xffff, v4
	v_lshrrev_b32_e32 v4, s48, v4
	s_delay_alu instid0(VALU_DEP_1) | instskip(NEXT) | instid1(VALU_DEP_1)
	v_and_b32_e32 v4, s55, v4
	v_lshl_or_b32 v4, v4, 4, v5
	ds_add_u32 v4, v94
	s_or_b32 exec_lo, exec_lo, s0
	s_delay_alu instid0(SALU_CYCLE_1)
	s_mov_b32 s0, exec_lo
	v_cmpx_lt_u32_e64 v51, v21
	s_cbranch_execnz .LBB2086_53
.LBB2086_68:                            ;   in Loop: Header=BB2086_24 Depth=2
	s_or_b32 exec_lo, exec_lo, s0
	s_delay_alu instid0(SALU_CYCLE_1)
	s_mov_b32 s0, exec_lo
	v_cmpx_lt_u32_e64 v52, v21
	s_cbranch_execz .LBB2086_54
.LBB2086_69:                            ;   in Loop: Header=BB2086_24 Depth=2
	v_cmp_lt_i16_e32 vcc_lo, -1, v14
	v_lshlrev_b32_e32 v5, 2, v48
	v_cndmask_b32_e64 v4, -1, 0xffff8000, vcc_lo
	s_delay_alu instid0(VALU_DEP_1) | instskip(NEXT) | instid1(VALU_DEP_1)
	v_xor_b32_e32 v4, v4, v14
	v_cmp_ne_u16_e32 vcc_lo, 0x7fff, v4
	v_cndmask_b32_e32 v4, 0xffff8000, v4, vcc_lo
	s_delay_alu instid0(VALU_DEP_1) | instskip(NEXT) | instid1(VALU_DEP_1)
	v_and_b32_e32 v4, 0xffff, v4
	v_lshrrev_b32_e32 v4, s48, v4
	s_delay_alu instid0(VALU_DEP_1) | instskip(NEXT) | instid1(VALU_DEP_1)
	v_and_b32_e32 v4, s55, v4
	v_lshl_or_b32 v4, v4, 4, v5
	ds_add_u32 v4, v94
	s_or_b32 exec_lo, exec_lo, s0
	s_delay_alu instid0(SALU_CYCLE_1)
	s_mov_b32 s0, exec_lo
	v_cmpx_lt_u32_e64 v53, v21
	s_cbranch_execnz .LBB2086_55
.LBB2086_70:                            ;   in Loop: Header=BB2086_24 Depth=2
	s_or_b32 exec_lo, exec_lo, s0
	s_delay_alu instid0(SALU_CYCLE_1)
	s_mov_b32 s0, exec_lo
	v_cmpx_lt_u32_e64 v54, v21
	s_cbranch_execz .LBB2086_56
.LBB2086_71:                            ;   in Loop: Header=BB2086_24 Depth=2
	v_cmp_lt_i16_e32 vcc_lo, -1, v12
	v_lshlrev_b32_e32 v5, 2, v48
	v_cndmask_b32_e64 v4, -1, 0xffff8000, vcc_lo
	s_delay_alu instid0(VALU_DEP_1) | instskip(NEXT) | instid1(VALU_DEP_1)
	v_xor_b32_e32 v4, v4, v12
	v_cmp_ne_u16_e32 vcc_lo, 0x7fff, v4
	v_cndmask_b32_e32 v4, 0xffff8000, v4, vcc_lo
	s_delay_alu instid0(VALU_DEP_1) | instskip(NEXT) | instid1(VALU_DEP_1)
	v_and_b32_e32 v4, 0xffff, v4
	v_lshrrev_b32_e32 v4, s48, v4
	s_delay_alu instid0(VALU_DEP_1) | instskip(NEXT) | instid1(VALU_DEP_1)
	v_and_b32_e32 v4, s55, v4
	v_lshl_or_b32 v4, v4, 4, v5
	ds_add_u32 v4, v94
	s_or_b32 exec_lo, exec_lo, s0
	s_delay_alu instid0(SALU_CYCLE_1)
	s_mov_b32 s0, exec_lo
	v_cmpx_lt_u32_e64 v55, v21
	s_cbranch_execnz .LBB2086_57
.LBB2086_72:                            ;   in Loop: Header=BB2086_24 Depth=2
	s_or_b32 exec_lo, exec_lo, s0
	s_delay_alu instid0(SALU_CYCLE_1)
	s_mov_b32 s0, exec_lo
	v_cmpx_lt_u32_e64 v56, v21
	s_cbranch_execz .LBB2086_58
.LBB2086_73:                            ;   in Loop: Header=BB2086_24 Depth=2
	v_cmp_lt_i16_e32 vcc_lo, -1, v10
	v_lshlrev_b32_e32 v5, 2, v48
	v_cndmask_b32_e64 v4, -1, 0xffff8000, vcc_lo
	s_delay_alu instid0(VALU_DEP_1) | instskip(NEXT) | instid1(VALU_DEP_1)
	v_xor_b32_e32 v4, v4, v10
	v_cmp_ne_u16_e32 vcc_lo, 0x7fff, v4
	v_cndmask_b32_e32 v4, 0xffff8000, v4, vcc_lo
	s_delay_alu instid0(VALU_DEP_1) | instskip(NEXT) | instid1(VALU_DEP_1)
	v_and_b32_e32 v4, 0xffff, v4
	v_lshrrev_b32_e32 v4, s48, v4
	s_delay_alu instid0(VALU_DEP_1) | instskip(NEXT) | instid1(VALU_DEP_1)
	v_and_b32_e32 v4, s55, v4
	v_lshl_or_b32 v4, v4, 4, v5
	ds_add_u32 v4, v94
	s_or_b32 exec_lo, exec_lo, s0
	s_delay_alu instid0(SALU_CYCLE_1)
	s_mov_b32 s0, exec_lo
	v_cmpx_lt_u32_e64 v57, v21
	s_cbranch_execnz .LBB2086_59
.LBB2086_74:                            ;   in Loop: Header=BB2086_24 Depth=2
	s_or_b32 exec_lo, exec_lo, s0
	s_delay_alu instid0(SALU_CYCLE_1)
	s_mov_b32 s0, exec_lo
	v_cmpx_lt_u32_e64 v58, v21
	s_cbranch_execz .LBB2086_60
.LBB2086_75:                            ;   in Loop: Header=BB2086_24 Depth=2
	v_cmp_lt_i16_e32 vcc_lo, -1, v8
	v_lshlrev_b32_e32 v5, 2, v48
	v_cndmask_b32_e64 v4, -1, 0xffff8000, vcc_lo
	s_delay_alu instid0(VALU_DEP_1) | instskip(NEXT) | instid1(VALU_DEP_1)
	v_xor_b32_e32 v4, v4, v8
	v_cmp_ne_u16_e32 vcc_lo, 0x7fff, v4
	v_cndmask_b32_e32 v4, 0xffff8000, v4, vcc_lo
	s_delay_alu instid0(VALU_DEP_1) | instskip(NEXT) | instid1(VALU_DEP_1)
	v_and_b32_e32 v4, 0xffff, v4
	v_lshrrev_b32_e32 v4, s48, v4
	s_delay_alu instid0(VALU_DEP_1) | instskip(NEXT) | instid1(VALU_DEP_1)
	v_and_b32_e32 v4, s55, v4
	v_lshl_or_b32 v4, v4, 4, v5
	ds_add_u32 v4, v94
	s_or_b32 exec_lo, exec_lo, s0
	s_delay_alu instid0(SALU_CYCLE_1)
	s_mov_b32 s0, exec_lo
	v_cmpx_lt_u32_e64 v59, v21
	s_cbranch_execnz .LBB2086_61
.LBB2086_76:                            ;   in Loop: Header=BB2086_24 Depth=2
	s_or_b32 exec_lo, exec_lo, s0
	s_delay_alu instid0(SALU_CYCLE_1)
	s_mov_b32 s0, exec_lo
	v_cmpx_lt_u32_e64 v60, v21
	s_cbranch_execz .LBB2086_62
.LBB2086_77:                            ;   in Loop: Header=BB2086_24 Depth=2
	v_cmp_lt_i16_e32 vcc_lo, -1, v6
	v_lshlrev_b32_e32 v5, 2, v48
	v_cndmask_b32_e64 v4, -1, 0xffff8000, vcc_lo
	s_delay_alu instid0(VALU_DEP_1) | instskip(NEXT) | instid1(VALU_DEP_1)
	v_xor_b32_e32 v4, v4, v6
	v_cmp_ne_u16_e32 vcc_lo, 0x7fff, v4
	v_cndmask_b32_e32 v4, 0xffff8000, v4, vcc_lo
	s_delay_alu instid0(VALU_DEP_1) | instskip(NEXT) | instid1(VALU_DEP_1)
	v_and_b32_e32 v4, 0xffff, v4
	v_lshrrev_b32_e32 v4, s48, v4
	s_delay_alu instid0(VALU_DEP_1) | instskip(NEXT) | instid1(VALU_DEP_1)
	v_and_b32_e32 v4, s55, v4
	v_lshl_or_b32 v4, v4, 4, v5
	ds_add_u32 v4, v94
	s_or_b32 exec_lo, exec_lo, s0
	s_delay_alu instid0(SALU_CYCLE_1)
	s_mov_b32 s0, exec_lo
	v_cmpx_lt_u32_e64 v61, v21
	s_cbranch_execnz .LBB2086_63
.LBB2086_78:                            ;   in Loop: Header=BB2086_24 Depth=2
	s_or_b32 exec_lo, exec_lo, s0
	s_delay_alu instid0(SALU_CYCLE_1)
	s_mov_b32 s0, exec_lo
	v_cmpx_lt_u32_e64 v63, v21
	s_cbranch_execz .LBB2086_23
.LBB2086_79:                            ;   in Loop: Header=BB2086_24 Depth=2
	s_waitcnt vmcnt(0)
	v_cmp_lt_i16_e32 vcc_lo, -1, v20
	v_lshlrev_b32_e32 v5, 2, v48
	v_cndmask_b32_e64 v4, -1, 0xffff8000, vcc_lo
	s_delay_alu instid0(VALU_DEP_1) | instskip(NEXT) | instid1(VALU_DEP_1)
	v_xor_b32_e32 v4, v4, v20
	v_cmp_ne_u16_e32 vcc_lo, 0x7fff, v4
	v_cndmask_b32_e32 v4, 0xffff8000, v4, vcc_lo
	s_delay_alu instid0(VALU_DEP_1) | instskip(NEXT) | instid1(VALU_DEP_1)
	v_and_b32_e32 v4, 0xffff, v4
	v_lshrrev_b32_e32 v4, s48, v4
	s_delay_alu instid0(VALU_DEP_1) | instskip(NEXT) | instid1(VALU_DEP_1)
	v_and_b32_e32 v4, s55, v4
	v_lshl_or_b32 v4, v4, 4, v5
	ds_add_u32 v4, v94
	s_branch .LBB2086_23
.LBB2086_80:                            ;   in Loop: Header=BB2086_24 Depth=2
	s_or_b32 exec_lo, exec_lo, s11
	s_delay_alu instid0(SALU_CYCLE_1)
	s_mov_b32 s11, exec_lo
	v_cmpx_gt_u32_e64 s8, v45
	s_cbranch_execz .LBB2086_30
.LBB2086_81:                            ;   in Loop: Header=BB2086_24 Depth=2
	global_load_u16 v18, v95, s[0:1] offset:512
	s_or_b32 exec_lo, exec_lo, s11
	s_delay_alu instid0(SALU_CYCLE_1)
	s_mov_b32 s11, exec_lo
	v_cmpx_gt_u32_e64 s8, v46
	s_cbranch_execnz .LBB2086_31
.LBB2086_82:                            ;   in Loop: Header=BB2086_24 Depth=2
	s_or_b32 exec_lo, exec_lo, s11
	s_delay_alu instid0(SALU_CYCLE_1)
	s_mov_b32 s11, exec_lo
	v_cmpx_gt_u32_e64 s8, v47
	s_cbranch_execz .LBB2086_32
.LBB2086_83:                            ;   in Loop: Header=BB2086_24 Depth=2
	global_load_u16 v16, v95, s[0:1] offset:1536
	s_or_b32 exec_lo, exec_lo, s11
	s_delay_alu instid0(SALU_CYCLE_1)
	s_mov_b32 s11, exec_lo
	v_cmpx_gt_u32_e64 s8, v51
	s_cbranch_execnz .LBB2086_33
.LBB2086_84:                            ;   in Loop: Header=BB2086_24 Depth=2
	s_or_b32 exec_lo, exec_lo, s11
	s_delay_alu instid0(SALU_CYCLE_1)
	s_mov_b32 s11, exec_lo
	v_cmpx_gt_u32_e64 s8, v52
	s_cbranch_execz .LBB2086_34
.LBB2086_85:                            ;   in Loop: Header=BB2086_24 Depth=2
	global_load_u16 v14, v95, s[0:1] offset:2560
	s_or_b32 exec_lo, exec_lo, s11
	s_delay_alu instid0(SALU_CYCLE_1)
	s_mov_b32 s11, exec_lo
	v_cmpx_gt_u32_e64 s8, v53
	s_cbranch_execnz .LBB2086_35
.LBB2086_86:                            ;   in Loop: Header=BB2086_24 Depth=2
	s_or_b32 exec_lo, exec_lo, s11
	s_delay_alu instid0(SALU_CYCLE_1)
	s_mov_b32 s11, exec_lo
	v_cmpx_gt_u32_e64 s8, v54
	s_cbranch_execz .LBB2086_36
.LBB2086_87:                            ;   in Loop: Header=BB2086_24 Depth=2
	global_load_u16 v12, v95, s[0:1] offset:3584
	s_or_b32 exec_lo, exec_lo, s11
	s_delay_alu instid0(SALU_CYCLE_1)
	s_mov_b32 s11, exec_lo
	v_cmpx_gt_u32_e64 s8, v55
	s_cbranch_execnz .LBB2086_37
.LBB2086_88:                            ;   in Loop: Header=BB2086_24 Depth=2
	s_or_b32 exec_lo, exec_lo, s11
	s_delay_alu instid0(SALU_CYCLE_1)
	s_mov_b32 s11, exec_lo
	v_cmpx_gt_u32_e64 s8, v56
	s_cbranch_execz .LBB2086_38
.LBB2086_89:                            ;   in Loop: Header=BB2086_24 Depth=2
	global_load_u16 v10, v97, s[0:1]
	s_or_b32 exec_lo, exec_lo, s11
	s_delay_alu instid0(SALU_CYCLE_1)
	s_mov_b32 s11, exec_lo
	v_cmpx_gt_u32_e64 s8, v57
	s_cbranch_execnz .LBB2086_39
.LBB2086_90:                            ;   in Loop: Header=BB2086_24 Depth=2
	s_or_b32 exec_lo, exec_lo, s11
	s_delay_alu instid0(SALU_CYCLE_1)
	s_mov_b32 s11, exec_lo
	v_cmpx_gt_u32_e64 s8, v58
	s_cbranch_execz .LBB2086_40
.LBB2086_91:                            ;   in Loop: Header=BB2086_24 Depth=2
	global_load_u16 v8, v99, s[0:1]
	s_or_b32 exec_lo, exec_lo, s11
	s_delay_alu instid0(SALU_CYCLE_1)
	s_mov_b32 s11, exec_lo
	v_cmpx_gt_u32_e64 s8, v59
	s_cbranch_execnz .LBB2086_41
.LBB2086_92:                            ;   in Loop: Header=BB2086_24 Depth=2
	s_or_b32 exec_lo, exec_lo, s11
	s_delay_alu instid0(SALU_CYCLE_1)
	s_mov_b32 s11, exec_lo
	v_cmpx_gt_u32_e64 s8, v60
	s_cbranch_execz .LBB2086_42
.LBB2086_93:                            ;   in Loop: Header=BB2086_24 Depth=2
	global_load_u16 v6, v101, s[0:1]
	s_or_b32 exec_lo, exec_lo, s11
	s_delay_alu instid0(SALU_CYCLE_1)
	s_mov_b32 s11, exec_lo
	v_cmpx_gt_u32_e64 s8, v61
	s_cbranch_execz .LBB2086_44
	s_branch .LBB2086_43
.LBB2086_94:                            ;   in Loop: Header=BB2086_20 Depth=1
	v_mov_b32_e32 v2, 0
	s_waitcnt vmcnt(0) lgkmcnt(0)
	s_barrier
	buffer_gl0_inv
	s_and_saveexec_b32 s0, s2
	s_cbranch_execz .LBB2086_96
; %bb.95:                               ;   in Loop: Header=BB2086_20 Depth=1
	ds_load_2addr_b64 v[4:7], v64 offset1:1
	s_waitcnt lgkmcnt(0)
	v_add_nc_u32_e32 v2, v5, v4
	s_delay_alu instid0(VALU_DEP_1)
	v_add3_u32 v2, v2, v6, v7
.LBB2086_96:                            ;   in Loop: Header=BB2086_20 Depth=1
	s_or_b32 exec_lo, exec_lo, s0
	v_and_b32_e32 v4, 15, v104
	s_delay_alu instid0(VALU_DEP_2) | instskip(SKIP_1) | instid1(VALU_DEP_3)
	v_mov_b32_dpp v5, v2 row_shr:1 row_mask:0xf bank_mask:0xf
	v_and_b32_e32 v6, 16, v104
	v_cmp_eq_u32_e64 s0, 0, v4
	v_cmp_lt_u32_e64 s1, 1, v4
	v_cmp_lt_u32_e64 s8, 3, v4
	;; [unrolled: 1-line block ×3, first 2 shown]
	v_cmp_eq_u32_e64 s10, 0, v6
	v_cndmask_b32_e64 v5, v5, 0, s0
	s_delay_alu instid0(VALU_DEP_1) | instskip(NEXT) | instid1(VALU_DEP_1)
	v_add_nc_u32_e32 v2, v5, v2
	v_mov_b32_dpp v5, v2 row_shr:2 row_mask:0xf bank_mask:0xf
	s_delay_alu instid0(VALU_DEP_1) | instskip(NEXT) | instid1(VALU_DEP_1)
	v_cndmask_b32_e64 v5, 0, v5, s1
	v_add_nc_u32_e32 v2, v2, v5
	s_delay_alu instid0(VALU_DEP_1) | instskip(NEXT) | instid1(VALU_DEP_1)
	v_mov_b32_dpp v5, v2 row_shr:4 row_mask:0xf bank_mask:0xf
	v_cndmask_b32_e64 v5, 0, v5, s8
	s_delay_alu instid0(VALU_DEP_1) | instskip(NEXT) | instid1(VALU_DEP_1)
	v_add_nc_u32_e32 v2, v2, v5
	v_mov_b32_dpp v5, v2 row_shr:8 row_mask:0xf bank_mask:0xf
	s_delay_alu instid0(VALU_DEP_1) | instskip(SKIP_1) | instid1(VALU_DEP_2)
	v_cndmask_b32_e64 v4, 0, v5, s9
	v_bfe_i32 v5, v104, 4, 1
	v_add_nc_u32_e32 v2, v2, v4
	ds_swizzle_b32 v4, v2 offset:swizzle(BROADCAST,32,15)
	s_waitcnt lgkmcnt(0)
	v_and_b32_e32 v4, v5, v4
	s_delay_alu instid0(VALU_DEP_1)
	v_add_nc_u32_e32 v4, v2, v4
	s_and_saveexec_b32 s11, s3
	s_cbranch_execz .LBB2086_98
; %bb.97:                               ;   in Loop: Header=BB2086_20 Depth=1
	ds_store_b32 v65, v4
.LBB2086_98:                            ;   in Loop: Header=BB2086_20 Depth=1
	s_or_b32 exec_lo, exec_lo, s11
	v_and_b32_e32 v2, 7, v104
	s_waitcnt lgkmcnt(0)
	s_barrier
	buffer_gl0_inv
	s_and_saveexec_b32 s11, s4
	s_cbranch_execz .LBB2086_100
; %bb.99:                               ;   in Loop: Header=BB2086_20 Depth=1
	ds_load_b32 v5, v66
	v_cmp_ne_u32_e32 vcc_lo, 0, v2
	s_waitcnt lgkmcnt(0)
	v_mov_b32_dpp v6, v5 row_shr:1 row_mask:0xf bank_mask:0xf
	s_delay_alu instid0(VALU_DEP_1) | instskip(SKIP_1) | instid1(VALU_DEP_2)
	v_cndmask_b32_e32 v6, 0, v6, vcc_lo
	v_cmp_lt_u32_e32 vcc_lo, 1, v2
	v_add_nc_u32_e32 v5, v6, v5
	s_delay_alu instid0(VALU_DEP_1) | instskip(NEXT) | instid1(VALU_DEP_1)
	v_mov_b32_dpp v6, v5 row_shr:2 row_mask:0xf bank_mask:0xf
	v_cndmask_b32_e32 v6, 0, v6, vcc_lo
	v_cmp_lt_u32_e32 vcc_lo, 3, v2
	s_delay_alu instid0(VALU_DEP_2) | instskip(NEXT) | instid1(VALU_DEP_1)
	v_add_nc_u32_e32 v5, v5, v6
	v_mov_b32_dpp v6, v5 row_shr:4 row_mask:0xf bank_mask:0xf
	s_delay_alu instid0(VALU_DEP_1) | instskip(NEXT) | instid1(VALU_DEP_1)
	v_cndmask_b32_e32 v6, 0, v6, vcc_lo
	v_add_nc_u32_e32 v5, v5, v6
	ds_store_b32 v66, v5
.LBB2086_100:                           ;   in Loop: Header=BB2086_20 Depth=1
	s_or_b32 exec_lo, exec_lo, s11
	v_mov_b32_e32 v5, 0
	s_waitcnt lgkmcnt(0)
	s_barrier
	buffer_gl0_inv
	s_and_saveexec_b32 s11, s5
	s_cbranch_execz .LBB2086_102
; %bb.101:                              ;   in Loop: Header=BB2086_20 Depth=1
	ds_load_b32 v5, v67
.LBB2086_102:                           ;   in Loop: Header=BB2086_20 Depth=1
	s_or_b32 exec_lo, exec_lo, s11
	v_add_nc_u32_e32 v6, -1, v104
	s_waitcnt lgkmcnt(0)
	v_add_nc_u32_e32 v4, v5, v4
	v_cmp_eq_u32_e64 s11, 0, v104
	s_barrier
	v_cmp_gt_i32_e32 vcc_lo, 0, v6
	buffer_gl0_inv
	v_cndmask_b32_e32 v6, v6, v104, vcc_lo
	s_delay_alu instid0(VALU_DEP_1)
	v_lshlrev_b32_e32 v105, 2, v6
	ds_bpermute_b32 v4, v105, v4
	s_and_saveexec_b32 s12, s2
	s_cbranch_execz .LBB2086_104
; %bb.103:                              ;   in Loop: Header=BB2086_20 Depth=1
	s_waitcnt lgkmcnt(0)
	v_cndmask_b32_e64 v4, v4, v5, s11
	s_delay_alu instid0(VALU_DEP_1)
	v_add_nc_u32_e32 v4, s52, v4
	ds_store_b32 v44, v4
.LBB2086_104:                           ;   in Loop: Header=BB2086_20 Depth=1
	s_or_b32 exec_lo, exec_lo, s12
	s_clause 0x1
	s_load_b32 s12, s[42:43], 0x4
	s_load_b32 s17, s[42:43], 0xc
	v_lshlrev_b32_e32 v5, 3, v104
	v_cmp_lt_u32_e64 s16, 3, v2
	v_or_b32_e32 v106, v104, v68
	s_mov_b32 s56, s54
	s_mov_b32 s34, s52
	v_add_co_u32 v107, vcc_lo, v74, v5
	v_add_co_ci_u32_e32 v108, vcc_lo, 0, v75, vcc_lo
	v_or_b32_e32 v109, 32, v106
	v_or_b32_e32 v110, 64, v106
	v_or_b32_e32 v111, 0x60, v106
	v_or_b32_e32 v112, 0x80, v106
	v_or_b32_e32 v113, 0xa0, v106
	v_or_b32_e32 v114, 0xc0, v106
	v_or_b32_e32 v115, 0xe0, v106
	v_or_b32_e32 v116, 0x100, v106
	v_or_b32_e32 v117, 0x120, v106
	s_waitcnt lgkmcnt(0)
	s_cmp_lt_u32 s15, s12
	v_or_b32_e32 v118, 0x140, v106
	s_cselect_b32 s12, 14, 20
	v_or_b32_e32 v119, 0x160, v106
	s_add_u32 s12, s42, s12
	s_addc_u32 s13, s43, 0
	s_and_b32 s17, s17, 0xffff
	global_load_u16 v4, v3, s[12:13]
	v_cmp_eq_u32_e64 s12, 0, v2
	v_cmp_lt_u32_e64 s13, 1, v2
	v_lshlrev_b32_e32 v2, 1, v104
	v_or_b32_e32 v120, 0x180, v106
	v_or_b32_e32 v121, 0x1a0, v106
	;; [unrolled: 1-line block ×4, first 2 shown]
	v_add_co_u32 v124, vcc_lo, v76, v2
	v_add_co_ci_u32_e32 v125, vcc_lo, 0, v77, vcc_lo
                                        ; implicit-def: $vgpr8_vgpr9
                                        ; implicit-def: $vgpr10_vgpr11
                                        ; implicit-def: $vgpr12_vgpr13
                                        ; implicit-def: $vgpr14_vgpr15
                                        ; implicit-def: $vgpr16_vgpr17
                                        ; implicit-def: $vgpr18_vgpr19
                                        ; implicit-def: $vgpr20_vgpr21
                                        ; implicit-def: $vgpr22_vgpr23
                                        ; implicit-def: $vgpr24_vgpr25
                                        ; implicit-def: $vgpr26_vgpr27
                                        ; implicit-def: $vgpr28_vgpr29
                                        ; implicit-def: $vgpr30_vgpr31
                                        ; implicit-def: $vgpr32_vgpr33
                                        ; implicit-def: $vgpr34_vgpr35
                                        ; implicit-def: $vgpr129
                                        ; implicit-def: $vgpr130
                                        ; implicit-def: $vgpr131
                                        ; implicit-def: $vgpr132
                                        ; implicit-def: $vgpr133
                                        ; implicit-def: $vgpr134
                                        ; implicit-def: $vgpr135
                                        ; implicit-def: $vgpr136
                                        ; implicit-def: $vgpr137
                                        ; implicit-def: $vgpr138
                                        ; implicit-def: $vgpr139
                                        ; implicit-def: $vgpr140
                                        ; implicit-def: $vgpr141
                                        ; implicit-def: $vgpr142
                                        ; implicit-def: $vgpr143
                                        ; implicit-def: $vgpr144
	s_delay_alu instid0(VALU_DEP_2) | instskip(NEXT) | instid1(VALU_DEP_2)
	v_add_co_u32 v127, vcc_lo, 0x3c0, v124
	v_add_co_ci_u32_e32 v128, vcc_lo, 0, v125, vcc_lo
	s_waitcnt vmcnt(0)
	v_mad_u32_u24 v6, v70, v4, v0
	s_delay_alu instid0(VALU_DEP_1) | instskip(NEXT) | instid1(VALU_DEP_1)
	v_mad_u64_u32 v[4:5], null, v6, s17, v[1:2]
                                        ; implicit-def: $vgpr6_vgpr7
	v_lshrrev_b32_e32 v126, 5, v4
                                        ; implicit-def: $vgpr4_vgpr5
	s_branch .LBB2086_106
.LBB2086_105:                           ;   in Loop: Header=BB2086_106 Depth=2
	s_or_b32 exec_lo, exec_lo, s17
	s_addk_i32 s56, 0xf000
	s_cmp_lt_u32 s57, s53
	s_mov_b32 s34, s57
	s_cbranch_scc0 .LBB2086_314
.LBB2086_106:                           ;   Parent Loop BB2086_20 Depth=1
                                        ; =>  This Inner Loop Header: Depth=2
	s_add_i32 s57, s34, 0x1000
	s_delay_alu instid0(SALU_CYCLE_1)
	s_cmp_gt_u32 s57, s53
	s_cbranch_scc1 .LBB2086_109
; %bb.107:                              ;   in Loop: Header=BB2086_106 Depth=2
	s_mov_b32 s19, 0
	s_mov_b32 s18, s34
	s_movk_i32 s17, 0x1000
	s_lshl_b64 s[20:21], s[18:19], 1
	s_delay_alu instid0(SALU_CYCLE_1)
	v_add_co_u32 v36, vcc_lo, v124, s20
	v_add_co_ci_u32_e32 v37, vcc_lo, s21, v125, vcc_lo
	s_mov_b32 s20, -1
	s_clause 0xe
	global_load_u16 v2, v[36:37], off
	global_load_u16 v146, v[36:37], off offset:64
	global_load_u16 v149, v[36:37], off offset:128
	global_load_u16 v153, v[36:37], off offset:192
	global_load_u16 v157, v[36:37], off offset:256
	global_load_u16 v161, v[36:37], off offset:320
	global_load_u16 v165, v[36:37], off offset:384
	global_load_u16 v170, v[36:37], off offset:448
	global_load_u16 v169, v[36:37], off offset:512
	global_load_u16 v43, v[36:37], off offset:576
	global_load_u16 v42, v[36:37], off offset:640
	global_load_u16 v41, v[36:37], off offset:704
	global_load_u16 v40, v[36:37], off offset:768
	global_load_u16 v39, v[36:37], off offset:832
	global_load_u16 v38, v[36:37], off offset:896
	s_cbranch_execz .LBB2086_110
; %bb.108:                              ;   in Loop: Header=BB2086_106 Depth=2
                                        ; implicit-def: $sgpr21
	v_dual_mov_b32 v36, s21 :: v_dual_mov_b32 v145, s56
	s_and_saveexec_b32 s21, s20
	s_cbranch_execnz .LBB2086_141
	s_branch .LBB2086_142
.LBB2086_109:                           ;   in Loop: Header=BB2086_106 Depth=2
	s_mov_b32 s19, -1
	s_mov_b32 s20, 0
                                        ; implicit-def: $sgpr17
                                        ; implicit-def: $vgpr2
                                        ; implicit-def: $vgpr146
                                        ; implicit-def: $vgpr149
                                        ; implicit-def: $vgpr153
                                        ; implicit-def: $vgpr157
                                        ; implicit-def: $vgpr161
                                        ; implicit-def: $vgpr165
                                        ; implicit-def: $vgpr170
                                        ; implicit-def: $vgpr169
                                        ; implicit-def: $vgpr43
                                        ; implicit-def: $vgpr42
                                        ; implicit-def: $vgpr41
                                        ; implicit-def: $vgpr40
                                        ; implicit-def: $vgpr39
                                        ; implicit-def: $vgpr38
.LBB2086_110:                           ;   in Loop: Header=BB2086_106 Depth=2
	s_lshl_b64 s[18:19], s[34:35], 1
	s_waitcnt vmcnt(13)
	v_mov_b32_e32 v146, 0x7fff
	v_add_co_u32 v36, vcc_lo, v124, s18
	v_add_co_ci_u32_e32 v37, vcc_lo, s19, v125, vcc_lo
	v_mov_b32_e32 v2, 0x7fff
	s_mov_b32 s17, exec_lo
	v_cmpx_gt_u32_e64 s56, v106
	s_cbranch_execz .LBB2086_112
; %bb.111:                              ;   in Loop: Header=BB2086_106 Depth=2
	global_load_u16 v2, v[36:37], off
.LBB2086_112:                           ;   in Loop: Header=BB2086_106 Depth=2
	s_or_b32 exec_lo, exec_lo, s17
	s_delay_alu instid0(SALU_CYCLE_1)
	s_mov_b32 s17, exec_lo
	v_cmpx_gt_u32_e64 s56, v109
	s_cbranch_execz .LBB2086_114
; %bb.113:                              ;   in Loop: Header=BB2086_106 Depth=2
	global_load_u16 v146, v[36:37], off offset:64
.LBB2086_114:                           ;   in Loop: Header=BB2086_106 Depth=2
	s_or_b32 exec_lo, exec_lo, s17
	s_waitcnt vmcnt(11)
	v_mov_b32_e32 v153, 0x7fff
	v_mov_b32_e32 v149, 0x7fff
	s_mov_b32 s17, exec_lo
	v_cmpx_gt_u32_e64 s56, v110
	s_cbranch_execz .LBB2086_116
; %bb.115:                              ;   in Loop: Header=BB2086_106 Depth=2
	global_load_u16 v149, v[36:37], off offset:128
.LBB2086_116:                           ;   in Loop: Header=BB2086_106 Depth=2
	s_or_b32 exec_lo, exec_lo, s17
	s_delay_alu instid0(SALU_CYCLE_1)
	s_mov_b32 s17, exec_lo
	v_cmpx_gt_u32_e64 s56, v111
	s_cbranch_execz .LBB2086_118
; %bb.117:                              ;   in Loop: Header=BB2086_106 Depth=2
	global_load_u16 v153, v[36:37], off offset:192
.LBB2086_118:                           ;   in Loop: Header=BB2086_106 Depth=2
	s_or_b32 exec_lo, exec_lo, s17
	s_waitcnt vmcnt(9)
	v_mov_b32_e32 v161, 0x7fff
	v_mov_b32_e32 v157, 0x7fff
	s_mov_b32 s17, exec_lo
	v_cmpx_gt_u32_e64 s56, v112
	s_cbranch_execz .LBB2086_120
; %bb.119:                              ;   in Loop: Header=BB2086_106 Depth=2
	global_load_u16 v157, v[36:37], off offset:256
.LBB2086_120:                           ;   in Loop: Header=BB2086_106 Depth=2
	s_or_b32 exec_lo, exec_lo, s17
	s_delay_alu instid0(SALU_CYCLE_1)
	s_mov_b32 s17, exec_lo
	v_cmpx_gt_u32_e64 s56, v113
	s_cbranch_execz .LBB2086_122
; %bb.121:                              ;   in Loop: Header=BB2086_106 Depth=2
	global_load_u16 v161, v[36:37], off offset:320
.LBB2086_122:                           ;   in Loop: Header=BB2086_106 Depth=2
	s_or_b32 exec_lo, exec_lo, s17
	s_waitcnt vmcnt(7)
	v_dual_mov_b32 v170, 0x7fff :: v_dual_mov_b32 v165, 0x7fff
	s_mov_b32 s17, exec_lo
	v_cmpx_gt_u32_e64 s56, v114
	s_cbranch_execz .LBB2086_124
; %bb.123:                              ;   in Loop: Header=BB2086_106 Depth=2
	global_load_u16 v165, v[36:37], off offset:384
.LBB2086_124:                           ;   in Loop: Header=BB2086_106 Depth=2
	s_or_b32 exec_lo, exec_lo, s17
	s_delay_alu instid0(SALU_CYCLE_1)
	s_mov_b32 s17, exec_lo
	v_cmpx_gt_u32_e64 s56, v115
	s_cbranch_execz .LBB2086_126
; %bb.125:                              ;   in Loop: Header=BB2086_106 Depth=2
	global_load_u16 v170, v[36:37], off offset:448
.LBB2086_126:                           ;   in Loop: Header=BB2086_106 Depth=2
	s_or_b32 exec_lo, exec_lo, s17
	s_waitcnt vmcnt(5)
	v_mov_b32_e32 v43, 0x7fff
	v_mov_b32_e32 v169, 0x7fff
	s_mov_b32 s17, exec_lo
	v_cmpx_gt_u32_e64 s56, v116
	s_cbranch_execz .LBB2086_128
; %bb.127:                              ;   in Loop: Header=BB2086_106 Depth=2
	global_load_u16 v169, v[36:37], off offset:512
.LBB2086_128:                           ;   in Loop: Header=BB2086_106 Depth=2
	s_or_b32 exec_lo, exec_lo, s17
	s_delay_alu instid0(SALU_CYCLE_1)
	s_mov_b32 s17, exec_lo
	v_cmpx_gt_u32_e64 s56, v117
	s_cbranch_execz .LBB2086_130
; %bb.129:                              ;   in Loop: Header=BB2086_106 Depth=2
	global_load_u16 v43, v[36:37], off offset:576
.LBB2086_130:                           ;   in Loop: Header=BB2086_106 Depth=2
	s_or_b32 exec_lo, exec_lo, s17
	s_waitcnt vmcnt(3)
	v_dual_mov_b32 v41, 0x7fff :: v_dual_mov_b32 v42, 0x7fff
	s_mov_b32 s17, exec_lo
	v_cmpx_gt_u32_e64 s56, v118
	s_cbranch_execz .LBB2086_132
; %bb.131:                              ;   in Loop: Header=BB2086_106 Depth=2
	global_load_u16 v42, v[36:37], off offset:640
.LBB2086_132:                           ;   in Loop: Header=BB2086_106 Depth=2
	s_or_b32 exec_lo, exec_lo, s17
	s_delay_alu instid0(SALU_CYCLE_1)
	s_mov_b32 s17, exec_lo
	v_cmpx_gt_u32_e64 s56, v119
	s_cbranch_execz .LBB2086_134
; %bb.133:                              ;   in Loop: Header=BB2086_106 Depth=2
	global_load_u16 v41, v[36:37], off offset:704
.LBB2086_134:                           ;   in Loop: Header=BB2086_106 Depth=2
	s_or_b32 exec_lo, exec_lo, s17
	s_waitcnt vmcnt(1)
	v_dual_mov_b32 v39, 0x7fff :: v_dual_mov_b32 v40, 0x7fff
	s_mov_b32 s17, exec_lo
	v_cmpx_gt_u32_e64 s56, v120
	s_cbranch_execz .LBB2086_136
; %bb.135:                              ;   in Loop: Header=BB2086_106 Depth=2
	global_load_u16 v40, v[36:37], off offset:768
.LBB2086_136:                           ;   in Loop: Header=BB2086_106 Depth=2
	s_or_b32 exec_lo, exec_lo, s17
	s_delay_alu instid0(SALU_CYCLE_1)
	s_mov_b32 s17, exec_lo
	v_cmpx_gt_u32_e64 s56, v121
	s_cbranch_execz .LBB2086_138
; %bb.137:                              ;   in Loop: Header=BB2086_106 Depth=2
	global_load_u16 v39, v[36:37], off offset:832
.LBB2086_138:                           ;   in Loop: Header=BB2086_106 Depth=2
	s_or_b32 exec_lo, exec_lo, s17
	s_waitcnt vmcnt(0)
	v_mov_b32_e32 v38, 0x7fff
	s_mov_b32 s17, exec_lo
	v_cmpx_gt_u32_e64 s56, v122
	s_cbranch_execz .LBB2086_140
; %bb.139:                              ;   in Loop: Header=BB2086_106 Depth=2
	global_load_u16 v38, v[36:37], off offset:896
.LBB2086_140:                           ;   in Loop: Header=BB2086_106 Depth=2
	s_or_b32 exec_lo, exec_lo, s17
	v_cmp_gt_u32_e64 s20, s56, v123
	s_sub_i32 s17, s53, s34
	s_movk_i32 s21, 0x7fff
	s_mov_b64 s[18:19], s[34:35]
	v_dual_mov_b32 v36, s21 :: v_dual_mov_b32 v145, s56
	s_and_saveexec_b32 s21, s20
	s_cbranch_execz .LBB2086_142
.LBB2086_141:                           ;   in Loop: Header=BB2086_106 Depth=2
	s_lshl_b64 s[18:19], s[18:19], 1
	v_mov_b32_e32 v145, s17
	v_add_co_u32 v36, vcc_lo, v127, s18
	v_add_co_ci_u32_e32 v37, vcc_lo, s19, v128, vcc_lo
	global_load_u16 v36, v[36:37], off
.LBB2086_142:                           ;   in Loop: Header=BB2086_106 Depth=2
	s_or_b32 exec_lo, exec_lo, s21
	s_waitcnt vmcnt(14)
	v_cmp_lt_i16_e32 vcc_lo, -1, v2
	ds_store_b32 v69, v3 offset:1056
	ds_store_2addr_b32 v71, v3, v3 offset0:1 offset1:2
	ds_store_2addr_b32 v71, v3, v3 offset0:3 offset1:4
	;; [unrolled: 1-line block ×4, first 2 shown]
	s_waitcnt vmcnt(0) lgkmcnt(0)
	s_barrier
	v_cndmask_b32_e64 v37, -1, 0xffff8000, vcc_lo
	buffer_gl0_inv
	; wave barrier
	v_xor_b32_e32 v2, v37, v2
	s_delay_alu instid0(VALU_DEP_1) | instskip(SKIP_1) | instid1(VALU_DEP_1)
	v_cmp_ne_u16_e32 vcc_lo, 0x7fff, v2
	v_cndmask_b32_e32 v37, 0xffff8000, v2, vcc_lo
	v_and_b32_e32 v37, 0xffff, v37
	s_delay_alu instid0(VALU_DEP_1) | instskip(NEXT) | instid1(VALU_DEP_1)
	v_lshrrev_b32_e32 v37, s48, v37
	v_and_b32_e32 v148, s55, v37
	s_delay_alu instid0(VALU_DEP_1)
	v_lshlrev_b32_e32 v150, 29, v148
	v_and_b32_e32 v37, 1, v148
	v_lshlrev_b32_e32 v147, 30, v148
	v_lshlrev_b32_e32 v151, 28, v148
	;; [unrolled: 1-line block ×4, first 2 shown]
	v_add_co_u32 v37, s17, v37, -1
	s_delay_alu instid0(VALU_DEP_1)
	v_cndmask_b32_e64 v152, 0, 1, s17
	v_not_b32_e32 v158, v147
	v_cmp_gt_i32_e64 s17, 0, v147
	v_not_b32_e32 v147, v150
	v_lshlrev_b32_e32 v156, 25, v148
	v_cmp_ne_u32_e32 vcc_lo, 0, v152
	v_ashrrev_i32_e32 v158, 31, v158
	v_lshlrev_b32_e32 v152, 24, v148
	v_ashrrev_i32_e32 v147, 31, v147
	v_mad_u32_u24 v148, v148, 9, v126
	v_xor_b32_e32 v37, vcc_lo, v37
	v_cmp_gt_i32_e32 vcc_lo, 0, v150
	v_not_b32_e32 v150, v151
	v_xor_b32_e32 v158, s17, v158
	v_cmp_gt_i32_e64 s17, 0, v151
	v_and_b32_e32 v37, exec_lo, v37
	v_not_b32_e32 v151, v154
	v_ashrrev_i32_e32 v150, 31, v150
	v_xor_b32_e32 v147, vcc_lo, v147
	v_cmp_gt_i32_e32 vcc_lo, 0, v154
	v_and_b32_e32 v37, v37, v158
	v_not_b32_e32 v154, v155
	v_ashrrev_i32_e32 v151, 31, v151
	v_xor_b32_e32 v150, s17, v150
	v_cmp_gt_i32_e64 s17, 0, v155
	v_and_b32_e32 v37, v37, v147
	v_not_b32_e32 v147, v156
	v_ashrrev_i32_e32 v154, 31, v154
	v_xor_b32_e32 v151, vcc_lo, v151
	v_cmp_gt_i32_e32 vcc_lo, 0, v156
	v_and_b32_e32 v37, v37, v150
	v_not_b32_e32 v150, v152
	v_ashrrev_i32_e32 v147, 31, v147
	v_xor_b32_e32 v154, s17, v154
	v_cmp_gt_i32_e64 s17, 0, v152
	v_and_b32_e32 v37, v37, v151
	v_ashrrev_i32_e32 v150, 31, v150
	v_xor_b32_e32 v147, vcc_lo, v147
	v_lshl_add_u32 v148, v148, 2, 0x420
	s_delay_alu instid0(VALU_DEP_4) | instskip(NEXT) | instid1(VALU_DEP_4)
	v_and_b32_e32 v37, v37, v154
	v_xor_b32_e32 v150, s17, v150
	s_delay_alu instid0(VALU_DEP_2) | instskip(NEXT) | instid1(VALU_DEP_1)
	v_and_b32_e32 v37, v37, v147
	v_and_b32_e32 v37, v37, v150
	s_delay_alu instid0(VALU_DEP_1) | instskip(SKIP_1) | instid1(VALU_DEP_2)
	v_mbcnt_lo_u32_b32 v147, v37, 0
	v_cmp_ne_u32_e64 s17, 0, v37
	v_cmp_eq_u32_e32 vcc_lo, 0, v147
	s_delay_alu instid0(VALU_DEP_2) | instskip(NEXT) | instid1(SALU_CYCLE_1)
	s_and_b32 s18, s17, vcc_lo
	s_and_saveexec_b32 s17, s18
	s_cbranch_execz .LBB2086_144
; %bb.143:                              ;   in Loop: Header=BB2086_106 Depth=2
	v_bcnt_u32_b32 v37, v37, 0
	ds_store_b32 v148, v37
.LBB2086_144:                           ;   in Loop: Header=BB2086_106 Depth=2
	s_or_b32 exec_lo, exec_lo, s17
	v_cmp_lt_i16_e64 vcc_lo, -1, v146
	; wave barrier
	s_delay_alu instid0(VALU_DEP_1) | instskip(NEXT) | instid1(VALU_DEP_1)
	v_cndmask_b32_e64 v37, -1, 0xffff8000, vcc_lo
	v_xor_b32_e32 v146, v37, v146
	s_delay_alu instid0(VALU_DEP_1) | instskip(SKIP_1) | instid1(VALU_DEP_1)
	v_cmp_ne_u16_e64 vcc_lo, 0x7fff, v146
	v_cndmask_b32_e32 v37, 0xffff8000, v146, vcc_lo
	v_and_b32_e32 v37, 0xffff, v37
	s_delay_alu instid0(VALU_DEP_1) | instskip(NEXT) | instid1(VALU_DEP_1)
	v_lshrrev_b32_e32 v37, s48, v37
	v_and_b32_e32 v37, s55, v37
	s_delay_alu instid0(VALU_DEP_1)
	v_and_b32_e32 v150, 1, v37
	v_lshlrev_b32_e32 v151, 30, v37
	v_lshlrev_b32_e32 v152, 29, v37
	v_lshlrev_b32_e32 v154, 28, v37
	v_lshlrev_b32_e32 v156, 27, v37
	v_add_co_u32 v150, s17, v150, -1
	s_delay_alu instid0(VALU_DEP_1)
	v_cndmask_b32_e64 v155, 0, 1, s17
	v_not_b32_e32 v160, v151
	v_cmp_gt_i32_e64 s17, 0, v151
	v_not_b32_e32 v151, v152
	v_lshlrev_b32_e32 v158, 26, v37
	v_cmp_ne_u32_e32 vcc_lo, 0, v155
	v_ashrrev_i32_e32 v160, 31, v160
	v_lshlrev_b32_e32 v159, 25, v37
	v_ashrrev_i32_e32 v151, 31, v151
	v_lshlrev_b32_e32 v155, 24, v37
	v_xor_b32_e32 v150, vcc_lo, v150
	v_cmp_gt_i32_e32 vcc_lo, 0, v152
	v_not_b32_e32 v152, v154
	v_xor_b32_e32 v160, s17, v160
	v_cmp_gt_i32_e64 s17, 0, v154
	v_and_b32_e32 v150, exec_lo, v150
	v_not_b32_e32 v154, v156
	v_ashrrev_i32_e32 v152, 31, v152
	v_xor_b32_e32 v151, vcc_lo, v151
	v_cmp_gt_i32_e32 vcc_lo, 0, v156
	v_and_b32_e32 v150, v150, v160
	v_not_b32_e32 v156, v158
	v_ashrrev_i32_e32 v154, 31, v154
	v_xor_b32_e32 v152, s17, v152
	v_cmp_gt_i32_e64 s17, 0, v158
	v_and_b32_e32 v150, v150, v151
	v_not_b32_e32 v151, v159
	v_ashrrev_i32_e32 v156, 31, v156
	v_xor_b32_e32 v154, vcc_lo, v154
	v_cmp_gt_i32_e32 vcc_lo, 0, v159
	v_and_b32_e32 v150, v150, v152
	v_not_b32_e32 v152, v155
	v_ashrrev_i32_e32 v151, 31, v151
	v_xor_b32_e32 v156, s17, v156
	v_mul_u32_u24_e32 v37, 9, v37
	v_and_b32_e32 v150, v150, v154
	v_cmp_gt_i32_e64 s17, 0, v155
	v_ashrrev_i32_e32 v152, 31, v152
	v_xor_b32_e32 v151, vcc_lo, v151
	v_add_lshl_u32 v154, v37, v126, 2
	v_and_b32_e32 v150, v150, v156
	s_delay_alu instid0(VALU_DEP_4) | instskip(NEXT) | instid1(VALU_DEP_3)
	v_xor_b32_e32 v37, s17, v152
	v_add_nc_u32_e32 v152, 0x420, v154
	s_delay_alu instid0(VALU_DEP_3) | instskip(SKIP_2) | instid1(VALU_DEP_1)
	v_and_b32_e32 v151, v150, v151
	ds_load_b32 v150, v154 offset:1056
	; wave barrier
	v_and_b32_e32 v37, v151, v37
	v_mbcnt_lo_u32_b32 v151, v37, 0
	v_cmp_ne_u32_e64 s17, 0, v37
	s_delay_alu instid0(VALU_DEP_2) | instskip(NEXT) | instid1(VALU_DEP_2)
	v_cmp_eq_u32_e32 vcc_lo, 0, v151
	s_and_b32 s18, s17, vcc_lo
	s_delay_alu instid0(SALU_CYCLE_1)
	s_and_saveexec_b32 s17, s18
	s_cbranch_execz .LBB2086_146
; %bb.145:                              ;   in Loop: Header=BB2086_106 Depth=2
	s_waitcnt lgkmcnt(0)
	v_bcnt_u32_b32 v37, v37, v150
	ds_store_b32 v152, v37
.LBB2086_146:                           ;   in Loop: Header=BB2086_106 Depth=2
	s_or_b32 exec_lo, exec_lo, s17
	v_cmp_lt_i16_e64 vcc_lo, -1, v149
	; wave barrier
	s_delay_alu instid0(VALU_DEP_1) | instskip(NEXT) | instid1(VALU_DEP_1)
	v_cndmask_b32_e64 v37, -1, 0xffff8000, vcc_lo
	v_xor_b32_e32 v149, v37, v149
	s_delay_alu instid0(VALU_DEP_1) | instskip(SKIP_1) | instid1(VALU_DEP_1)
	v_cmp_ne_u16_e64 vcc_lo, 0x7fff, v149
	v_cndmask_b32_e32 v37, 0xffff8000, v149, vcc_lo
	v_and_b32_e32 v37, 0xffff, v37
	s_delay_alu instid0(VALU_DEP_1) | instskip(NEXT) | instid1(VALU_DEP_1)
	v_lshrrev_b32_e32 v37, s48, v37
	v_and_b32_e32 v37, s55, v37
	s_delay_alu instid0(VALU_DEP_1)
	v_and_b32_e32 v154, 1, v37
	v_lshlrev_b32_e32 v155, 30, v37
	v_lshlrev_b32_e32 v156, 29, v37
	;; [unrolled: 1-line block ×4, first 2 shown]
	v_add_co_u32 v154, s17, v154, -1
	s_delay_alu instid0(VALU_DEP_1)
	v_cndmask_b32_e64 v159, 0, 1, s17
	v_not_b32_e32 v164, v155
	v_cmp_gt_i32_e64 s17, 0, v155
	v_not_b32_e32 v155, v156
	v_lshlrev_b32_e32 v162, 26, v37
	v_cmp_ne_u32_e32 vcc_lo, 0, v159
	v_ashrrev_i32_e32 v164, 31, v164
	v_lshlrev_b32_e32 v163, 25, v37
	v_ashrrev_i32_e32 v155, 31, v155
	v_lshlrev_b32_e32 v159, 24, v37
	v_xor_b32_e32 v154, vcc_lo, v154
	v_cmp_gt_i32_e32 vcc_lo, 0, v156
	v_not_b32_e32 v156, v158
	v_xor_b32_e32 v164, s17, v164
	v_cmp_gt_i32_e64 s17, 0, v158
	v_and_b32_e32 v154, exec_lo, v154
	v_not_b32_e32 v158, v160
	v_ashrrev_i32_e32 v156, 31, v156
	v_xor_b32_e32 v155, vcc_lo, v155
	v_cmp_gt_i32_e32 vcc_lo, 0, v160
	v_and_b32_e32 v154, v154, v164
	v_not_b32_e32 v160, v162
	v_ashrrev_i32_e32 v158, 31, v158
	v_xor_b32_e32 v156, s17, v156
	v_cmp_gt_i32_e64 s17, 0, v162
	v_and_b32_e32 v154, v154, v155
	v_not_b32_e32 v155, v163
	v_ashrrev_i32_e32 v160, 31, v160
	v_xor_b32_e32 v158, vcc_lo, v158
	v_cmp_gt_i32_e32 vcc_lo, 0, v163
	v_and_b32_e32 v154, v154, v156
	v_not_b32_e32 v156, v159
	v_ashrrev_i32_e32 v155, 31, v155
	v_xor_b32_e32 v160, s17, v160
	v_mul_u32_u24_e32 v37, 9, v37
	v_and_b32_e32 v154, v154, v158
	v_cmp_gt_i32_e64 s17, 0, v159
	v_ashrrev_i32_e32 v156, 31, v156
	v_xor_b32_e32 v155, vcc_lo, v155
	v_add_lshl_u32 v158, v37, v126, 2
	v_and_b32_e32 v154, v154, v160
	s_delay_alu instid0(VALU_DEP_4) | instskip(NEXT) | instid1(VALU_DEP_3)
	v_xor_b32_e32 v37, s17, v156
	v_add_nc_u32_e32 v156, 0x420, v158
	s_delay_alu instid0(VALU_DEP_3) | instskip(SKIP_2) | instid1(VALU_DEP_1)
	v_and_b32_e32 v155, v154, v155
	ds_load_b32 v154, v158 offset:1056
	; wave barrier
	v_and_b32_e32 v37, v155, v37
	v_mbcnt_lo_u32_b32 v155, v37, 0
	v_cmp_ne_u32_e64 s17, 0, v37
	s_delay_alu instid0(VALU_DEP_2) | instskip(NEXT) | instid1(VALU_DEP_2)
	v_cmp_eq_u32_e32 vcc_lo, 0, v155
	s_and_b32 s18, s17, vcc_lo
	s_delay_alu instid0(SALU_CYCLE_1)
	s_and_saveexec_b32 s17, s18
	s_cbranch_execz .LBB2086_148
; %bb.147:                              ;   in Loop: Header=BB2086_106 Depth=2
	s_waitcnt lgkmcnt(0)
	v_bcnt_u32_b32 v37, v37, v154
	ds_store_b32 v156, v37
.LBB2086_148:                           ;   in Loop: Header=BB2086_106 Depth=2
	s_or_b32 exec_lo, exec_lo, s17
	v_cmp_lt_i16_e64 vcc_lo, -1, v153
	; wave barrier
	s_delay_alu instid0(VALU_DEP_1) | instskip(NEXT) | instid1(VALU_DEP_1)
	v_cndmask_b32_e64 v37, -1, 0xffff8000, vcc_lo
	v_xor_b32_e32 v153, v37, v153
	s_delay_alu instid0(VALU_DEP_1) | instskip(SKIP_1) | instid1(VALU_DEP_1)
	v_cmp_ne_u16_e64 vcc_lo, 0x7fff, v153
	v_cndmask_b32_e32 v37, 0xffff8000, v153, vcc_lo
	v_and_b32_e32 v37, 0xffff, v37
	s_delay_alu instid0(VALU_DEP_1) | instskip(NEXT) | instid1(VALU_DEP_1)
	v_lshrrev_b32_e32 v37, s48, v37
	v_and_b32_e32 v37, s55, v37
	s_delay_alu instid0(VALU_DEP_1)
	v_and_b32_e32 v158, 1, v37
	v_lshlrev_b32_e32 v159, 30, v37
	v_lshlrev_b32_e32 v160, 29, v37
	;; [unrolled: 1-line block ×4, first 2 shown]
	v_add_co_u32 v158, s17, v158, -1
	s_delay_alu instid0(VALU_DEP_1)
	v_cndmask_b32_e64 v163, 0, 1, s17
	v_not_b32_e32 v168, v159
	v_cmp_gt_i32_e64 s17, 0, v159
	v_not_b32_e32 v159, v160
	v_lshlrev_b32_e32 v166, 26, v37
	v_cmp_ne_u32_e32 vcc_lo, 0, v163
	v_ashrrev_i32_e32 v168, 31, v168
	v_lshlrev_b32_e32 v167, 25, v37
	v_ashrrev_i32_e32 v159, 31, v159
	v_lshlrev_b32_e32 v163, 24, v37
	v_xor_b32_e32 v158, vcc_lo, v158
	v_cmp_gt_i32_e32 vcc_lo, 0, v160
	v_not_b32_e32 v160, v162
	v_xor_b32_e32 v168, s17, v168
	v_cmp_gt_i32_e64 s17, 0, v162
	v_and_b32_e32 v158, exec_lo, v158
	v_not_b32_e32 v162, v164
	v_ashrrev_i32_e32 v160, 31, v160
	v_xor_b32_e32 v159, vcc_lo, v159
	v_cmp_gt_i32_e32 vcc_lo, 0, v164
	v_and_b32_e32 v158, v158, v168
	v_not_b32_e32 v164, v166
	v_ashrrev_i32_e32 v162, 31, v162
	v_xor_b32_e32 v160, s17, v160
	v_cmp_gt_i32_e64 s17, 0, v166
	v_and_b32_e32 v158, v158, v159
	v_not_b32_e32 v159, v167
	v_ashrrev_i32_e32 v164, 31, v164
	v_xor_b32_e32 v162, vcc_lo, v162
	v_cmp_gt_i32_e32 vcc_lo, 0, v167
	v_and_b32_e32 v158, v158, v160
	v_not_b32_e32 v160, v163
	v_ashrrev_i32_e32 v159, 31, v159
	v_xor_b32_e32 v164, s17, v164
	v_mul_u32_u24_e32 v37, 9, v37
	v_and_b32_e32 v158, v158, v162
	v_cmp_gt_i32_e64 s17, 0, v163
	v_ashrrev_i32_e32 v160, 31, v160
	v_xor_b32_e32 v159, vcc_lo, v159
	v_add_lshl_u32 v162, v37, v126, 2
	v_and_b32_e32 v158, v158, v164
	s_delay_alu instid0(VALU_DEP_4) | instskip(NEXT) | instid1(VALU_DEP_3)
	v_xor_b32_e32 v37, s17, v160
	v_add_nc_u32_e32 v160, 0x420, v162
	s_delay_alu instid0(VALU_DEP_3) | instskip(SKIP_2) | instid1(VALU_DEP_1)
	v_and_b32_e32 v159, v158, v159
	ds_load_b32 v158, v162 offset:1056
	; wave barrier
	v_and_b32_e32 v37, v159, v37
	v_mbcnt_lo_u32_b32 v159, v37, 0
	v_cmp_ne_u32_e64 s17, 0, v37
	s_delay_alu instid0(VALU_DEP_2) | instskip(NEXT) | instid1(VALU_DEP_2)
	v_cmp_eq_u32_e32 vcc_lo, 0, v159
	s_and_b32 s18, s17, vcc_lo
	s_delay_alu instid0(SALU_CYCLE_1)
	s_and_saveexec_b32 s17, s18
	s_cbranch_execz .LBB2086_150
; %bb.149:                              ;   in Loop: Header=BB2086_106 Depth=2
	s_waitcnt lgkmcnt(0)
	v_bcnt_u32_b32 v37, v37, v158
	ds_store_b32 v160, v37
.LBB2086_150:                           ;   in Loop: Header=BB2086_106 Depth=2
	s_or_b32 exec_lo, exec_lo, s17
	v_cmp_lt_i16_e64 vcc_lo, -1, v157
	; wave barrier
	s_delay_alu instid0(VALU_DEP_1) | instskip(NEXT) | instid1(VALU_DEP_1)
	v_cndmask_b32_e64 v37, -1, 0xffff8000, vcc_lo
	v_xor_b32_e32 v157, v37, v157
	s_delay_alu instid0(VALU_DEP_1) | instskip(SKIP_1) | instid1(VALU_DEP_1)
	v_cmp_ne_u16_e64 vcc_lo, 0x7fff, v157
	v_cndmask_b32_e32 v37, 0xffff8000, v157, vcc_lo
	v_and_b32_e32 v37, 0xffff, v37
	s_delay_alu instid0(VALU_DEP_1) | instskip(NEXT) | instid1(VALU_DEP_1)
	v_lshrrev_b32_e32 v37, s48, v37
	v_and_b32_e32 v37, s55, v37
	s_delay_alu instid0(VALU_DEP_1)
	v_and_b32_e32 v162, 1, v37
	v_lshlrev_b32_e32 v163, 30, v37
	v_lshlrev_b32_e32 v164, 29, v37
	;; [unrolled: 1-line block ×4, first 2 shown]
	v_add_co_u32 v162, s17, v162, -1
	s_delay_alu instid0(VALU_DEP_1)
	v_cndmask_b32_e64 v167, 0, 1, s17
	v_not_b32_e32 v173, v163
	v_cmp_gt_i32_e64 s17, 0, v163
	v_not_b32_e32 v163, v164
	v_lshlrev_b32_e32 v171, 26, v37
	v_cmp_ne_u32_e32 vcc_lo, 0, v167
	v_ashrrev_i32_e32 v173, 31, v173
	v_lshlrev_b32_e32 v172, 25, v37
	v_ashrrev_i32_e32 v163, 31, v163
	v_lshlrev_b32_e32 v167, 24, v37
	v_xor_b32_e32 v162, vcc_lo, v162
	v_cmp_gt_i32_e32 vcc_lo, 0, v164
	v_not_b32_e32 v164, v166
	v_xor_b32_e32 v173, s17, v173
	v_cmp_gt_i32_e64 s17, 0, v166
	v_and_b32_e32 v162, exec_lo, v162
	v_not_b32_e32 v166, v168
	v_ashrrev_i32_e32 v164, 31, v164
	v_xor_b32_e32 v163, vcc_lo, v163
	v_cmp_gt_i32_e32 vcc_lo, 0, v168
	v_and_b32_e32 v162, v162, v173
	v_not_b32_e32 v168, v171
	v_ashrrev_i32_e32 v166, 31, v166
	v_xor_b32_e32 v164, s17, v164
	v_cmp_gt_i32_e64 s17, 0, v171
	v_and_b32_e32 v162, v162, v163
	v_not_b32_e32 v163, v172
	v_ashrrev_i32_e32 v168, 31, v168
	v_xor_b32_e32 v166, vcc_lo, v166
	v_cmp_gt_i32_e32 vcc_lo, 0, v172
	v_and_b32_e32 v162, v162, v164
	v_not_b32_e32 v164, v167
	v_ashrrev_i32_e32 v163, 31, v163
	v_xor_b32_e32 v168, s17, v168
	v_mul_u32_u24_e32 v37, 9, v37
	v_and_b32_e32 v162, v162, v166
	v_cmp_gt_i32_e64 s17, 0, v167
	v_ashrrev_i32_e32 v164, 31, v164
	v_xor_b32_e32 v163, vcc_lo, v163
	v_add_lshl_u32 v166, v37, v126, 2
	v_and_b32_e32 v162, v162, v168
	s_delay_alu instid0(VALU_DEP_4) | instskip(NEXT) | instid1(VALU_DEP_3)
	v_xor_b32_e32 v37, s17, v164
	v_add_nc_u32_e32 v164, 0x420, v166
	s_delay_alu instid0(VALU_DEP_3) | instskip(SKIP_2) | instid1(VALU_DEP_1)
	v_and_b32_e32 v163, v162, v163
	ds_load_b32 v162, v166 offset:1056
	; wave barrier
	v_and_b32_e32 v37, v163, v37
	v_mbcnt_lo_u32_b32 v163, v37, 0
	v_cmp_ne_u32_e64 s17, 0, v37
	s_delay_alu instid0(VALU_DEP_2) | instskip(NEXT) | instid1(VALU_DEP_2)
	v_cmp_eq_u32_e32 vcc_lo, 0, v163
	s_and_b32 s18, s17, vcc_lo
	s_delay_alu instid0(SALU_CYCLE_1)
	s_and_saveexec_b32 s17, s18
	s_cbranch_execz .LBB2086_152
; %bb.151:                              ;   in Loop: Header=BB2086_106 Depth=2
	s_waitcnt lgkmcnt(0)
	v_bcnt_u32_b32 v37, v37, v162
	ds_store_b32 v164, v37
.LBB2086_152:                           ;   in Loop: Header=BB2086_106 Depth=2
	s_or_b32 exec_lo, exec_lo, s17
	v_cmp_lt_i16_e64 vcc_lo, -1, v161
	; wave barrier
	s_delay_alu instid0(VALU_DEP_1) | instskip(NEXT) | instid1(VALU_DEP_1)
	v_cndmask_b32_e64 v37, -1, 0xffff8000, vcc_lo
	v_xor_b32_e32 v161, v37, v161
	s_delay_alu instid0(VALU_DEP_1) | instskip(SKIP_1) | instid1(VALU_DEP_1)
	v_cmp_ne_u16_e64 vcc_lo, 0x7fff, v161
	v_cndmask_b32_e32 v37, 0xffff8000, v161, vcc_lo
	v_and_b32_e32 v37, 0xffff, v37
	s_delay_alu instid0(VALU_DEP_1) | instskip(NEXT) | instid1(VALU_DEP_1)
	v_lshrrev_b32_e32 v37, s48, v37
	v_and_b32_e32 v37, s55, v37
	s_delay_alu instid0(VALU_DEP_1)
	v_and_b32_e32 v166, 1, v37
	v_lshlrev_b32_e32 v167, 30, v37
	v_lshlrev_b32_e32 v168, 29, v37
	;; [unrolled: 1-line block ×4, first 2 shown]
	v_add_co_u32 v166, s17, v166, -1
	s_delay_alu instid0(VALU_DEP_1)
	v_cndmask_b32_e64 v172, 0, 1, s17
	v_not_b32_e32 v176, v167
	v_cmp_gt_i32_e64 s17, 0, v167
	v_not_b32_e32 v167, v168
	v_lshlrev_b32_e32 v174, 26, v37
	v_cmp_ne_u32_e32 vcc_lo, 0, v172
	v_ashrrev_i32_e32 v176, 31, v176
	v_lshlrev_b32_e32 v175, 25, v37
	v_ashrrev_i32_e32 v167, 31, v167
	v_lshlrev_b32_e32 v172, 24, v37
	v_xor_b32_e32 v166, vcc_lo, v166
	v_cmp_gt_i32_e32 vcc_lo, 0, v168
	v_not_b32_e32 v168, v171
	v_xor_b32_e32 v176, s17, v176
	v_cmp_gt_i32_e64 s17, 0, v171
	v_and_b32_e32 v166, exec_lo, v166
	v_not_b32_e32 v171, v173
	v_ashrrev_i32_e32 v168, 31, v168
	v_xor_b32_e32 v167, vcc_lo, v167
	v_cmp_gt_i32_e32 vcc_lo, 0, v173
	v_and_b32_e32 v166, v166, v176
	v_not_b32_e32 v173, v174
	v_ashrrev_i32_e32 v171, 31, v171
	v_xor_b32_e32 v168, s17, v168
	v_cmp_gt_i32_e64 s17, 0, v174
	v_and_b32_e32 v166, v166, v167
	v_not_b32_e32 v167, v175
	v_ashrrev_i32_e32 v173, 31, v173
	v_xor_b32_e32 v171, vcc_lo, v171
	v_cmp_gt_i32_e32 vcc_lo, 0, v175
	v_and_b32_e32 v166, v166, v168
	v_not_b32_e32 v168, v172
	v_ashrrev_i32_e32 v167, 31, v167
	v_xor_b32_e32 v173, s17, v173
	v_mul_u32_u24_e32 v37, 9, v37
	v_and_b32_e32 v166, v166, v171
	v_cmp_gt_i32_e64 s17, 0, v172
	v_ashrrev_i32_e32 v168, 31, v168
	v_xor_b32_e32 v167, vcc_lo, v167
	v_add_lshl_u32 v171, v37, v126, 2
	v_and_b32_e32 v166, v166, v173
	s_delay_alu instid0(VALU_DEP_4) | instskip(NEXT) | instid1(VALU_DEP_3)
	v_xor_b32_e32 v37, s17, v168
	v_add_nc_u32_e32 v168, 0x420, v171
	s_delay_alu instid0(VALU_DEP_3) | instskip(SKIP_2) | instid1(VALU_DEP_1)
	v_and_b32_e32 v167, v166, v167
	ds_load_b32 v166, v171 offset:1056
	; wave barrier
	v_and_b32_e32 v37, v167, v37
	v_mbcnt_lo_u32_b32 v167, v37, 0
	v_cmp_ne_u32_e64 s17, 0, v37
	s_delay_alu instid0(VALU_DEP_2) | instskip(NEXT) | instid1(VALU_DEP_2)
	v_cmp_eq_u32_e32 vcc_lo, 0, v167
	s_and_b32 s18, s17, vcc_lo
	s_delay_alu instid0(SALU_CYCLE_1)
	s_and_saveexec_b32 s17, s18
	s_cbranch_execz .LBB2086_154
; %bb.153:                              ;   in Loop: Header=BB2086_106 Depth=2
	s_waitcnt lgkmcnt(0)
	v_bcnt_u32_b32 v37, v37, v166
	ds_store_b32 v168, v37
.LBB2086_154:                           ;   in Loop: Header=BB2086_106 Depth=2
	s_or_b32 exec_lo, exec_lo, s17
	v_cmp_lt_i16_e64 vcc_lo, -1, v165
	; wave barrier
	s_delay_alu instid0(VALU_DEP_1) | instskip(NEXT) | instid1(VALU_DEP_1)
	v_cndmask_b32_e64 v37, -1, 0xffff8000, vcc_lo
	v_xor_b32_e32 v165, v37, v165
	s_delay_alu instid0(VALU_DEP_1) | instskip(SKIP_1) | instid1(VALU_DEP_1)
	v_cmp_ne_u16_e64 vcc_lo, 0x7fff, v165
	v_cndmask_b32_e32 v37, 0xffff8000, v165, vcc_lo
	v_and_b32_e32 v37, 0xffff, v37
	s_delay_alu instid0(VALU_DEP_1) | instskip(NEXT) | instid1(VALU_DEP_1)
	v_lshrrev_b32_e32 v37, s48, v37
	v_and_b32_e32 v37, s55, v37
	s_delay_alu instid0(VALU_DEP_1)
	v_and_b32_e32 v171, 1, v37
	v_lshlrev_b32_e32 v172, 30, v37
	v_lshlrev_b32_e32 v173, 29, v37
	;; [unrolled: 1-line block ×4, first 2 shown]
	v_add_co_u32 v171, s17, v171, -1
	s_delay_alu instid0(VALU_DEP_1)
	v_cndmask_b32_e64 v175, 0, 1, s17
	v_not_b32_e32 v179, v172
	v_cmp_gt_i32_e64 s17, 0, v172
	v_not_b32_e32 v172, v173
	v_lshlrev_b32_e32 v177, 26, v37
	v_cmp_ne_u32_e32 vcc_lo, 0, v175
	v_ashrrev_i32_e32 v179, 31, v179
	v_lshlrev_b32_e32 v178, 25, v37
	v_ashrrev_i32_e32 v172, 31, v172
	v_lshlrev_b32_e32 v175, 24, v37
	v_xor_b32_e32 v171, vcc_lo, v171
	v_cmp_gt_i32_e32 vcc_lo, 0, v173
	v_not_b32_e32 v173, v174
	v_xor_b32_e32 v179, s17, v179
	v_cmp_gt_i32_e64 s17, 0, v174
	v_and_b32_e32 v171, exec_lo, v171
	v_not_b32_e32 v174, v176
	v_ashrrev_i32_e32 v173, 31, v173
	v_xor_b32_e32 v172, vcc_lo, v172
	v_cmp_gt_i32_e32 vcc_lo, 0, v176
	v_and_b32_e32 v171, v171, v179
	v_not_b32_e32 v176, v177
	v_ashrrev_i32_e32 v174, 31, v174
	v_xor_b32_e32 v173, s17, v173
	v_cmp_gt_i32_e64 s17, 0, v177
	v_and_b32_e32 v171, v171, v172
	v_not_b32_e32 v172, v178
	v_ashrrev_i32_e32 v176, 31, v176
	v_xor_b32_e32 v174, vcc_lo, v174
	v_cmp_gt_i32_e32 vcc_lo, 0, v178
	v_and_b32_e32 v171, v171, v173
	v_not_b32_e32 v173, v175
	v_ashrrev_i32_e32 v172, 31, v172
	v_xor_b32_e32 v176, s17, v176
	v_mul_u32_u24_e32 v37, 9, v37
	v_and_b32_e32 v171, v171, v174
	v_cmp_gt_i32_e64 s17, 0, v175
	v_ashrrev_i32_e32 v173, 31, v173
	v_xor_b32_e32 v172, vcc_lo, v172
	v_add_lshl_u32 v174, v37, v126, 2
	v_and_b32_e32 v171, v171, v176
	s_delay_alu instid0(VALU_DEP_4) | instskip(NEXT) | instid1(VALU_DEP_3)
	v_xor_b32_e32 v37, s17, v173
	v_add_nc_u32_e32 v173, 0x420, v174
	s_delay_alu instid0(VALU_DEP_3) | instskip(SKIP_2) | instid1(VALU_DEP_1)
	v_and_b32_e32 v172, v171, v172
	ds_load_b32 v171, v174 offset:1056
	; wave barrier
	v_and_b32_e32 v37, v172, v37
	v_mbcnt_lo_u32_b32 v172, v37, 0
	v_cmp_ne_u32_e64 s17, 0, v37
	s_delay_alu instid0(VALU_DEP_2) | instskip(NEXT) | instid1(VALU_DEP_2)
	v_cmp_eq_u32_e32 vcc_lo, 0, v172
	s_and_b32 s18, s17, vcc_lo
	s_delay_alu instid0(SALU_CYCLE_1)
	s_and_saveexec_b32 s17, s18
	s_cbranch_execz .LBB2086_156
; %bb.155:                              ;   in Loop: Header=BB2086_106 Depth=2
	s_waitcnt lgkmcnt(0)
	v_bcnt_u32_b32 v37, v37, v171
	ds_store_b32 v173, v37
.LBB2086_156:                           ;   in Loop: Header=BB2086_106 Depth=2
	s_or_b32 exec_lo, exec_lo, s17
	v_cmp_lt_i16_e64 vcc_lo, -1, v170
	; wave barrier
	s_delay_alu instid0(VALU_DEP_1) | instskip(NEXT) | instid1(VALU_DEP_1)
	v_cndmask_b32_e64 v37, -1, 0xffff8000, vcc_lo
	v_xor_b32_e32 v170, v37, v170
	s_delay_alu instid0(VALU_DEP_1) | instskip(SKIP_1) | instid1(VALU_DEP_1)
	v_cmp_ne_u16_e64 vcc_lo, 0x7fff, v170
	v_cndmask_b32_e32 v37, 0xffff8000, v170, vcc_lo
	v_and_b32_e32 v37, 0xffff, v37
	s_delay_alu instid0(VALU_DEP_1) | instskip(NEXT) | instid1(VALU_DEP_1)
	v_lshrrev_b32_e32 v37, s48, v37
	v_and_b32_e32 v37, s55, v37
	s_delay_alu instid0(VALU_DEP_1)
	v_and_b32_e32 v174, 1, v37
	v_lshlrev_b32_e32 v175, 30, v37
	v_lshlrev_b32_e32 v176, 29, v37
	;; [unrolled: 1-line block ×4, first 2 shown]
	v_add_co_u32 v174, s17, v174, -1
	s_delay_alu instid0(VALU_DEP_1)
	v_cndmask_b32_e64 v178, 0, 1, s17
	v_not_b32_e32 v182, v175
	v_cmp_gt_i32_e64 s17, 0, v175
	v_not_b32_e32 v175, v176
	v_lshlrev_b32_e32 v180, 26, v37
	v_cmp_ne_u32_e32 vcc_lo, 0, v178
	v_ashrrev_i32_e32 v182, 31, v182
	v_lshlrev_b32_e32 v181, 25, v37
	v_ashrrev_i32_e32 v175, 31, v175
	v_lshlrev_b32_e32 v178, 24, v37
	v_xor_b32_e32 v174, vcc_lo, v174
	v_cmp_gt_i32_e32 vcc_lo, 0, v176
	v_not_b32_e32 v176, v177
	v_xor_b32_e32 v182, s17, v182
	v_cmp_gt_i32_e64 s17, 0, v177
	v_and_b32_e32 v174, exec_lo, v174
	v_not_b32_e32 v177, v179
	v_ashrrev_i32_e32 v176, 31, v176
	v_xor_b32_e32 v175, vcc_lo, v175
	v_cmp_gt_i32_e32 vcc_lo, 0, v179
	v_and_b32_e32 v174, v174, v182
	v_not_b32_e32 v179, v180
	v_ashrrev_i32_e32 v177, 31, v177
	v_xor_b32_e32 v176, s17, v176
	v_cmp_gt_i32_e64 s17, 0, v180
	v_and_b32_e32 v174, v174, v175
	v_not_b32_e32 v175, v181
	v_ashrrev_i32_e32 v179, 31, v179
	v_xor_b32_e32 v177, vcc_lo, v177
	v_cmp_gt_i32_e32 vcc_lo, 0, v181
	v_and_b32_e32 v174, v174, v176
	v_not_b32_e32 v176, v178
	v_ashrrev_i32_e32 v175, 31, v175
	v_xor_b32_e32 v179, s17, v179
	v_mul_u32_u24_e32 v37, 9, v37
	v_and_b32_e32 v174, v174, v177
	v_cmp_gt_i32_e64 s17, 0, v178
	v_ashrrev_i32_e32 v176, 31, v176
	v_xor_b32_e32 v175, vcc_lo, v175
	v_add_lshl_u32 v177, v37, v126, 2
	v_and_b32_e32 v174, v174, v179
	s_delay_alu instid0(VALU_DEP_4) | instskip(NEXT) | instid1(VALU_DEP_3)
	v_xor_b32_e32 v37, s17, v176
	v_add_nc_u32_e32 v176, 0x420, v177
	s_delay_alu instid0(VALU_DEP_3) | instskip(SKIP_2) | instid1(VALU_DEP_1)
	v_and_b32_e32 v175, v174, v175
	ds_load_b32 v174, v177 offset:1056
	; wave barrier
	v_and_b32_e32 v37, v175, v37
	v_mbcnt_lo_u32_b32 v175, v37, 0
	v_cmp_ne_u32_e64 s17, 0, v37
	s_delay_alu instid0(VALU_DEP_2) | instskip(NEXT) | instid1(VALU_DEP_2)
	v_cmp_eq_u32_e32 vcc_lo, 0, v175
	s_and_b32 s18, s17, vcc_lo
	s_delay_alu instid0(SALU_CYCLE_1)
	s_and_saveexec_b32 s17, s18
	s_cbranch_execz .LBB2086_158
; %bb.157:                              ;   in Loop: Header=BB2086_106 Depth=2
	s_waitcnt lgkmcnt(0)
	v_bcnt_u32_b32 v37, v37, v174
	ds_store_b32 v176, v37
.LBB2086_158:                           ;   in Loop: Header=BB2086_106 Depth=2
	s_or_b32 exec_lo, exec_lo, s17
	v_cmp_lt_i16_e64 vcc_lo, -1, v169
	; wave barrier
	s_delay_alu instid0(VALU_DEP_1) | instskip(NEXT) | instid1(VALU_DEP_1)
	v_cndmask_b32_e64 v37, -1, 0xffff8000, vcc_lo
	v_xor_b32_e32 v169, v37, v169
	s_delay_alu instid0(VALU_DEP_1) | instskip(SKIP_1) | instid1(VALU_DEP_1)
	v_cmp_ne_u16_e64 vcc_lo, 0x7fff, v169
	v_cndmask_b32_e32 v37, 0xffff8000, v169, vcc_lo
	v_and_b32_e32 v37, 0xffff, v37
	s_delay_alu instid0(VALU_DEP_1) | instskip(NEXT) | instid1(VALU_DEP_1)
	v_lshrrev_b32_e32 v37, s48, v37
	v_and_b32_e32 v37, s55, v37
	s_delay_alu instid0(VALU_DEP_1)
	v_and_b32_e32 v177, 1, v37
	v_lshlrev_b32_e32 v178, 30, v37
	v_lshlrev_b32_e32 v179, 29, v37
	;; [unrolled: 1-line block ×4, first 2 shown]
	v_add_co_u32 v177, s17, v177, -1
	s_delay_alu instid0(VALU_DEP_1)
	v_cndmask_b32_e64 v181, 0, 1, s17
	v_not_b32_e32 v185, v178
	v_cmp_gt_i32_e64 s17, 0, v178
	v_not_b32_e32 v178, v179
	v_lshlrev_b32_e32 v183, 26, v37
	v_cmp_ne_u32_e32 vcc_lo, 0, v181
	v_ashrrev_i32_e32 v185, 31, v185
	v_lshlrev_b32_e32 v184, 25, v37
	v_ashrrev_i32_e32 v178, 31, v178
	v_lshlrev_b32_e32 v181, 24, v37
	v_xor_b32_e32 v177, vcc_lo, v177
	v_cmp_gt_i32_e32 vcc_lo, 0, v179
	v_not_b32_e32 v179, v180
	v_xor_b32_e32 v185, s17, v185
	v_cmp_gt_i32_e64 s17, 0, v180
	v_and_b32_e32 v177, exec_lo, v177
	v_not_b32_e32 v180, v182
	v_ashrrev_i32_e32 v179, 31, v179
	v_xor_b32_e32 v178, vcc_lo, v178
	v_cmp_gt_i32_e32 vcc_lo, 0, v182
	v_and_b32_e32 v177, v177, v185
	v_not_b32_e32 v182, v183
	v_ashrrev_i32_e32 v180, 31, v180
	v_xor_b32_e32 v179, s17, v179
	v_cmp_gt_i32_e64 s17, 0, v183
	v_and_b32_e32 v177, v177, v178
	v_not_b32_e32 v178, v184
	v_ashrrev_i32_e32 v182, 31, v182
	v_xor_b32_e32 v180, vcc_lo, v180
	v_cmp_gt_i32_e32 vcc_lo, 0, v184
	v_and_b32_e32 v177, v177, v179
	v_not_b32_e32 v179, v181
	v_ashrrev_i32_e32 v178, 31, v178
	v_xor_b32_e32 v182, s17, v182
	v_mul_u32_u24_e32 v37, 9, v37
	v_and_b32_e32 v177, v177, v180
	v_cmp_gt_i32_e64 s17, 0, v181
	v_ashrrev_i32_e32 v179, 31, v179
	v_xor_b32_e32 v178, vcc_lo, v178
	v_add_lshl_u32 v180, v37, v126, 2
	v_and_b32_e32 v177, v177, v182
	s_delay_alu instid0(VALU_DEP_4) | instskip(NEXT) | instid1(VALU_DEP_2)
	v_xor_b32_e32 v37, s17, v179
	v_and_b32_e32 v177, v177, v178
	ds_load_b32 v178, v180 offset:1056
	v_add_nc_u32_e32 v180, 0x420, v180
	; wave barrier
	v_and_b32_e32 v37, v177, v37
	s_delay_alu instid0(VALU_DEP_1) | instskip(SKIP_1) | instid1(VALU_DEP_2)
	v_mbcnt_lo_u32_b32 v179, v37, 0
	v_cmp_ne_u32_e64 s17, 0, v37
	v_cmp_eq_u32_e32 vcc_lo, 0, v179
	s_delay_alu instid0(VALU_DEP_2) | instskip(NEXT) | instid1(SALU_CYCLE_1)
	s_and_b32 s18, s17, vcc_lo
	s_and_saveexec_b32 s17, s18
	s_cbranch_execz .LBB2086_160
; %bb.159:                              ;   in Loop: Header=BB2086_106 Depth=2
	s_waitcnt lgkmcnt(0)
	v_bcnt_u32_b32 v37, v37, v178
	ds_store_b32 v180, v37
.LBB2086_160:                           ;   in Loop: Header=BB2086_106 Depth=2
	s_or_b32 exec_lo, exec_lo, s17
	v_cmp_lt_i16_e32 vcc_lo, -1, v43
	; wave barrier
	v_cndmask_b32_e64 v37, -1, 0xffff8000, vcc_lo
	s_delay_alu instid0(VALU_DEP_1) | instskip(NEXT) | instid1(VALU_DEP_1)
	v_xor_b32_e32 v177, v37, v43
	v_cmp_ne_u16_e64 vcc_lo, 0x7fff, v177
	v_cndmask_b32_e32 v37, 0xffff8000, v177, vcc_lo
	s_delay_alu instid0(VALU_DEP_1) | instskip(NEXT) | instid1(VALU_DEP_1)
	v_and_b32_e32 v37, 0xffff, v37
	v_lshrrev_b32_e32 v37, s48, v37
	s_delay_alu instid0(VALU_DEP_1) | instskip(NEXT) | instid1(VALU_DEP_1)
	v_and_b32_e32 v37, s55, v37
	v_and_b32_e32 v43, 1, v37
	v_lshlrev_b32_e32 v181, 30, v37
	v_lshlrev_b32_e32 v182, 29, v37
	;; [unrolled: 1-line block ×4, first 2 shown]
	v_add_co_u32 v43, s17, v43, -1
	s_delay_alu instid0(VALU_DEP_1)
	v_cndmask_b32_e64 v184, 0, 1, s17
	v_not_b32_e32 v188, v181
	v_cmp_gt_i32_e64 s17, 0, v181
	v_not_b32_e32 v181, v182
	v_lshlrev_b32_e32 v186, 26, v37
	v_cmp_ne_u32_e32 vcc_lo, 0, v184
	v_ashrrev_i32_e32 v188, 31, v188
	v_lshlrev_b32_e32 v187, 25, v37
	v_ashrrev_i32_e32 v181, 31, v181
	v_lshlrev_b32_e32 v184, 24, v37
	v_xor_b32_e32 v43, vcc_lo, v43
	v_cmp_gt_i32_e32 vcc_lo, 0, v182
	v_not_b32_e32 v182, v183
	v_xor_b32_e32 v188, s17, v188
	v_cmp_gt_i32_e64 s17, 0, v183
	v_and_b32_e32 v43, exec_lo, v43
	v_not_b32_e32 v183, v185
	v_ashrrev_i32_e32 v182, 31, v182
	v_xor_b32_e32 v181, vcc_lo, v181
	v_cmp_gt_i32_e32 vcc_lo, 0, v185
	v_and_b32_e32 v43, v43, v188
	v_not_b32_e32 v185, v186
	v_ashrrev_i32_e32 v183, 31, v183
	v_xor_b32_e32 v182, s17, v182
	v_cmp_gt_i32_e64 s17, 0, v186
	v_and_b32_e32 v43, v43, v181
	v_not_b32_e32 v181, v187
	v_ashrrev_i32_e32 v185, 31, v185
	v_xor_b32_e32 v183, vcc_lo, v183
	v_cmp_gt_i32_e32 vcc_lo, 0, v187
	v_and_b32_e32 v43, v43, v182
	v_not_b32_e32 v182, v184
	v_ashrrev_i32_e32 v181, 31, v181
	v_xor_b32_e32 v185, s17, v185
	v_mul_u32_u24_e32 v37, 9, v37
	v_and_b32_e32 v43, v43, v183
	v_cmp_gt_i32_e64 s17, 0, v184
	v_ashrrev_i32_e32 v182, 31, v182
	v_xor_b32_e32 v181, vcc_lo, v181
	v_add_lshl_u32 v184, v37, v126, 2
	v_and_b32_e32 v43, v43, v185
	s_delay_alu instid0(VALU_DEP_4) | instskip(SKIP_3) | instid1(VALU_DEP_2)
	v_xor_b32_e32 v37, s17, v182
	ds_load_b32 v182, v184 offset:1056
	v_and_b32_e32 v43, v43, v181
	v_add_nc_u32_e32 v184, 0x420, v184
	; wave barrier
	v_and_b32_e32 v37, v43, v37
	s_delay_alu instid0(VALU_DEP_1) | instskip(SKIP_1) | instid1(VALU_DEP_2)
	v_mbcnt_lo_u32_b32 v183, v37, 0
	v_cmp_ne_u32_e64 s17, 0, v37
	v_cmp_eq_u32_e32 vcc_lo, 0, v183
	s_delay_alu instid0(VALU_DEP_2) | instskip(NEXT) | instid1(SALU_CYCLE_1)
	s_and_b32 s18, s17, vcc_lo
	s_and_saveexec_b32 s17, s18
	s_cbranch_execz .LBB2086_162
; %bb.161:                              ;   in Loop: Header=BB2086_106 Depth=2
	s_waitcnt lgkmcnt(0)
	v_bcnt_u32_b32 v37, v37, v182
	ds_store_b32 v184, v37
.LBB2086_162:                           ;   in Loop: Header=BB2086_106 Depth=2
	s_or_b32 exec_lo, exec_lo, s17
	v_cmp_lt_i16_e32 vcc_lo, -1, v42
	; wave barrier
	v_cndmask_b32_e64 v37, -1, 0xffff8000, vcc_lo
	s_delay_alu instid0(VALU_DEP_1) | instskip(NEXT) | instid1(VALU_DEP_1)
	v_xor_b32_e32 v181, v37, v42
	v_cmp_ne_u16_e64 vcc_lo, 0x7fff, v181
	v_cndmask_b32_e32 v37, 0xffff8000, v181, vcc_lo
	s_delay_alu instid0(VALU_DEP_1) | instskip(NEXT) | instid1(VALU_DEP_1)
	v_and_b32_e32 v37, 0xffff, v37
	v_lshrrev_b32_e32 v37, s48, v37
	s_delay_alu instid0(VALU_DEP_1) | instskip(NEXT) | instid1(VALU_DEP_1)
	v_and_b32_e32 v37, s55, v37
	v_and_b32_e32 v42, 1, v37
	v_lshlrev_b32_e32 v43, 30, v37
	v_lshlrev_b32_e32 v185, 29, v37
	;; [unrolled: 1-line block ×4, first 2 shown]
	v_add_co_u32 v42, s17, v42, -1
	s_delay_alu instid0(VALU_DEP_1)
	v_cndmask_b32_e64 v187, 0, 1, s17
	v_not_b32_e32 v191, v43
	v_cmp_gt_i32_e64 s17, 0, v43
	v_not_b32_e32 v43, v185
	v_lshlrev_b32_e32 v189, 26, v37
	v_cmp_ne_u32_e32 vcc_lo, 0, v187
	v_ashrrev_i32_e32 v191, 31, v191
	v_lshlrev_b32_e32 v190, 25, v37
	v_ashrrev_i32_e32 v43, 31, v43
	v_lshlrev_b32_e32 v187, 24, v37
	v_xor_b32_e32 v42, vcc_lo, v42
	v_cmp_gt_i32_e32 vcc_lo, 0, v185
	v_not_b32_e32 v185, v186
	v_xor_b32_e32 v191, s17, v191
	v_cmp_gt_i32_e64 s17, 0, v186
	v_and_b32_e32 v42, exec_lo, v42
	v_not_b32_e32 v186, v188
	v_ashrrev_i32_e32 v185, 31, v185
	v_xor_b32_e32 v43, vcc_lo, v43
	v_cmp_gt_i32_e32 vcc_lo, 0, v188
	v_and_b32_e32 v42, v42, v191
	v_not_b32_e32 v188, v189
	v_ashrrev_i32_e32 v186, 31, v186
	v_xor_b32_e32 v185, s17, v185
	v_cmp_gt_i32_e64 s17, 0, v189
	v_and_b32_e32 v42, v42, v43
	v_not_b32_e32 v43, v190
	v_ashrrev_i32_e32 v188, 31, v188
	v_xor_b32_e32 v186, vcc_lo, v186
	v_cmp_gt_i32_e32 vcc_lo, 0, v190
	v_and_b32_e32 v42, v42, v185
	v_not_b32_e32 v185, v187
	v_ashrrev_i32_e32 v43, 31, v43
	v_xor_b32_e32 v188, s17, v188
	v_mul_u32_u24_e32 v37, 9, v37
	v_and_b32_e32 v42, v42, v186
	v_cmp_gt_i32_e64 s17, 0, v187
	v_ashrrev_i32_e32 v185, 31, v185
	v_xor_b32_e32 v43, vcc_lo, v43
	s_delay_alu instid0(VALU_DEP_4) | instskip(SKIP_1) | instid1(VALU_DEP_4)
	v_and_b32_e32 v42, v42, v188
	v_add_lshl_u32 v188, v37, v126, 2
	v_xor_b32_e32 v37, s17, v185
	s_delay_alu instid0(VALU_DEP_3) | instskip(SKIP_3) | instid1(VALU_DEP_1)
	v_and_b32_e32 v42, v42, v43
	ds_load_b32 v186, v188 offset:1056
	v_add_nc_u32_e32 v188, 0x420, v188
	; wave barrier
	v_and_b32_e32 v37, v42, v37
	v_mbcnt_lo_u32_b32 v187, v37, 0
	v_cmp_ne_u32_e64 s17, 0, v37
	s_delay_alu instid0(VALU_DEP_2) | instskip(NEXT) | instid1(VALU_DEP_2)
	v_cmp_eq_u32_e32 vcc_lo, 0, v187
	s_and_b32 s18, s17, vcc_lo
	s_delay_alu instid0(SALU_CYCLE_1)
	s_and_saveexec_b32 s17, s18
	s_cbranch_execz .LBB2086_164
; %bb.163:                              ;   in Loop: Header=BB2086_106 Depth=2
	s_waitcnt lgkmcnt(0)
	v_bcnt_u32_b32 v37, v37, v186
	ds_store_b32 v188, v37
.LBB2086_164:                           ;   in Loop: Header=BB2086_106 Depth=2
	s_or_b32 exec_lo, exec_lo, s17
	v_cmp_lt_i16_e32 vcc_lo, -1, v41
	; wave barrier
	v_cndmask_b32_e64 v37, -1, 0xffff8000, vcc_lo
	s_delay_alu instid0(VALU_DEP_1) | instskip(NEXT) | instid1(VALU_DEP_1)
	v_xor_b32_e32 v185, v37, v41
	v_cmp_ne_u16_e64 vcc_lo, 0x7fff, v185
	v_cndmask_b32_e32 v37, 0xffff8000, v185, vcc_lo
	s_delay_alu instid0(VALU_DEP_1) | instskip(NEXT) | instid1(VALU_DEP_1)
	v_and_b32_e32 v37, 0xffff, v37
	v_lshrrev_b32_e32 v37, s48, v37
	s_delay_alu instid0(VALU_DEP_1) | instskip(NEXT) | instid1(VALU_DEP_1)
	v_and_b32_e32 v37, s55, v37
	v_and_b32_e32 v41, 1, v37
	v_lshlrev_b32_e32 v42, 30, v37
	v_lshlrev_b32_e32 v43, 29, v37
	;; [unrolled: 1-line block ×4, first 2 shown]
	v_add_co_u32 v41, s17, v41, -1
	s_delay_alu instid0(VALU_DEP_1)
	v_cndmask_b32_e64 v190, 0, 1, s17
	v_not_b32_e32 v194, v42
	v_cmp_gt_i32_e64 s17, 0, v42
	v_not_b32_e32 v42, v43
	v_lshlrev_b32_e32 v192, 26, v37
	v_cmp_ne_u32_e32 vcc_lo, 0, v190
	v_ashrrev_i32_e32 v194, 31, v194
	v_lshlrev_b32_e32 v193, 25, v37
	v_ashrrev_i32_e32 v42, 31, v42
	v_lshlrev_b32_e32 v190, 24, v37
	v_xor_b32_e32 v41, vcc_lo, v41
	v_cmp_gt_i32_e32 vcc_lo, 0, v43
	v_not_b32_e32 v43, v189
	v_xor_b32_e32 v194, s17, v194
	v_cmp_gt_i32_e64 s17, 0, v189
	v_and_b32_e32 v41, exec_lo, v41
	v_not_b32_e32 v189, v191
	v_ashrrev_i32_e32 v43, 31, v43
	v_xor_b32_e32 v42, vcc_lo, v42
	v_cmp_gt_i32_e32 vcc_lo, 0, v191
	v_and_b32_e32 v41, v41, v194
	v_not_b32_e32 v191, v192
	v_ashrrev_i32_e32 v189, 31, v189
	v_xor_b32_e32 v43, s17, v43
	v_cmp_gt_i32_e64 s17, 0, v192
	v_and_b32_e32 v41, v41, v42
	v_not_b32_e32 v42, v193
	v_ashrrev_i32_e32 v191, 31, v191
	v_xor_b32_e32 v189, vcc_lo, v189
	v_cmp_gt_i32_e32 vcc_lo, 0, v193
	v_and_b32_e32 v41, v41, v43
	v_not_b32_e32 v43, v190
	v_ashrrev_i32_e32 v42, 31, v42
	v_xor_b32_e32 v191, s17, v191
	v_mul_u32_u24_e32 v37, 9, v37
	v_and_b32_e32 v41, v41, v189
	v_cmp_gt_i32_e64 s17, 0, v190
	v_ashrrev_i32_e32 v43, 31, v43
	v_xor_b32_e32 v42, vcc_lo, v42
	v_add_lshl_u32 v189, v37, v126, 2
	v_and_b32_e32 v41, v41, v191
	s_delay_alu instid0(VALU_DEP_4) | instskip(SKIP_3) | instid1(VALU_DEP_2)
	v_xor_b32_e32 v37, s17, v43
	ds_load_b32 v190, v189 offset:1056
	v_and_b32_e32 v41, v41, v42
	v_add_nc_u32_e32 v192, 0x420, v189
	; wave barrier
	v_and_b32_e32 v37, v41, v37
	s_delay_alu instid0(VALU_DEP_1) | instskip(SKIP_1) | instid1(VALU_DEP_2)
	v_mbcnt_lo_u32_b32 v191, v37, 0
	v_cmp_ne_u32_e64 s17, 0, v37
	v_cmp_eq_u32_e32 vcc_lo, 0, v191
	s_delay_alu instid0(VALU_DEP_2) | instskip(NEXT) | instid1(SALU_CYCLE_1)
	s_and_b32 s18, s17, vcc_lo
	s_and_saveexec_b32 s17, s18
	s_cbranch_execz .LBB2086_166
; %bb.165:                              ;   in Loop: Header=BB2086_106 Depth=2
	s_waitcnt lgkmcnt(0)
	v_bcnt_u32_b32 v37, v37, v190
	ds_store_b32 v192, v37
.LBB2086_166:                           ;   in Loop: Header=BB2086_106 Depth=2
	s_or_b32 exec_lo, exec_lo, s17
	v_cmp_lt_i16_e32 vcc_lo, -1, v40
	; wave barrier
	v_cndmask_b32_e64 v37, -1, 0xffff8000, vcc_lo
	s_delay_alu instid0(VALU_DEP_1) | instskip(NEXT) | instid1(VALU_DEP_1)
	v_xor_b32_e32 v189, v37, v40
	v_cmp_ne_u16_e64 vcc_lo, 0x7fff, v189
	v_cndmask_b32_e32 v37, 0xffff8000, v189, vcc_lo
	s_delay_alu instid0(VALU_DEP_1) | instskip(NEXT) | instid1(VALU_DEP_1)
	v_and_b32_e32 v37, 0xffff, v37
	v_lshrrev_b32_e32 v37, s48, v37
	s_delay_alu instid0(VALU_DEP_1) | instskip(NEXT) | instid1(VALU_DEP_1)
	v_and_b32_e32 v37, s55, v37
	v_and_b32_e32 v40, 1, v37
	v_lshlrev_b32_e32 v41, 30, v37
	v_lshlrev_b32_e32 v42, 29, v37
	v_lshlrev_b32_e32 v43, 28, v37
	v_lshlrev_b32_e32 v194, 27, v37
	v_add_co_u32 v40, s17, v40, -1
	s_delay_alu instid0(VALU_DEP_1)
	v_cndmask_b32_e64 v193, 0, 1, s17
	v_not_b32_e32 v197, v41
	v_cmp_gt_i32_e64 s17, 0, v41
	v_not_b32_e32 v41, v42
	v_lshlrev_b32_e32 v195, 26, v37
	v_cmp_ne_u32_e32 vcc_lo, 0, v193
	v_ashrrev_i32_e32 v197, 31, v197
	v_lshlrev_b32_e32 v196, 25, v37
	v_ashrrev_i32_e32 v41, 31, v41
	v_lshlrev_b32_e32 v193, 24, v37
	v_xor_b32_e32 v40, vcc_lo, v40
	v_cmp_gt_i32_e32 vcc_lo, 0, v42
	v_not_b32_e32 v42, v43
	v_xor_b32_e32 v197, s17, v197
	v_cmp_gt_i32_e64 s17, 0, v43
	v_and_b32_e32 v40, exec_lo, v40
	v_not_b32_e32 v43, v194
	v_ashrrev_i32_e32 v42, 31, v42
	v_xor_b32_e32 v41, vcc_lo, v41
	v_cmp_gt_i32_e32 vcc_lo, 0, v194
	v_and_b32_e32 v40, v40, v197
	v_not_b32_e32 v194, v195
	v_ashrrev_i32_e32 v43, 31, v43
	v_xor_b32_e32 v42, s17, v42
	v_cmp_gt_i32_e64 s17, 0, v195
	v_and_b32_e32 v40, v40, v41
	v_not_b32_e32 v41, v196
	v_ashrrev_i32_e32 v194, 31, v194
	v_xor_b32_e32 v43, vcc_lo, v43
	v_cmp_gt_i32_e32 vcc_lo, 0, v196
	v_and_b32_e32 v40, v40, v42
	v_not_b32_e32 v42, v193
	v_ashrrev_i32_e32 v41, 31, v41
	v_xor_b32_e32 v194, s17, v194
	v_mul_u32_u24_e32 v37, 9, v37
	v_and_b32_e32 v40, v40, v43
	v_cmp_gt_i32_e64 s17, 0, v193
	v_ashrrev_i32_e32 v42, 31, v42
	v_xor_b32_e32 v41, vcc_lo, v41
	v_add_lshl_u32 v43, v37, v126, 2
	v_and_b32_e32 v40, v40, v194
	s_delay_alu instid0(VALU_DEP_4) | instskip(SKIP_3) | instid1(VALU_DEP_2)
	v_xor_b32_e32 v37, s17, v42
	ds_load_b32 v194, v43 offset:1056
	v_and_b32_e32 v40, v40, v41
	v_add_nc_u32_e32 v196, 0x420, v43
	; wave barrier
	v_and_b32_e32 v37, v40, v37
	s_delay_alu instid0(VALU_DEP_1) | instskip(SKIP_1) | instid1(VALU_DEP_2)
	v_mbcnt_lo_u32_b32 v195, v37, 0
	v_cmp_ne_u32_e64 s17, 0, v37
	v_cmp_eq_u32_e32 vcc_lo, 0, v195
	s_delay_alu instid0(VALU_DEP_2) | instskip(NEXT) | instid1(SALU_CYCLE_1)
	s_and_b32 s18, s17, vcc_lo
	s_and_saveexec_b32 s17, s18
	s_cbranch_execz .LBB2086_168
; %bb.167:                              ;   in Loop: Header=BB2086_106 Depth=2
	s_waitcnt lgkmcnt(0)
	v_bcnt_u32_b32 v37, v37, v194
	ds_store_b32 v196, v37
.LBB2086_168:                           ;   in Loop: Header=BB2086_106 Depth=2
	s_or_b32 exec_lo, exec_lo, s17
	v_cmp_lt_i16_e32 vcc_lo, -1, v39
	; wave barrier
	v_cndmask_b32_e64 v37, -1, 0xffff8000, vcc_lo
	s_delay_alu instid0(VALU_DEP_1) | instskip(NEXT) | instid1(VALU_DEP_1)
	v_xor_b32_e32 v193, v37, v39
	v_cmp_ne_u16_e64 vcc_lo, 0x7fff, v193
	v_cndmask_b32_e32 v37, 0xffff8000, v193, vcc_lo
	s_delay_alu instid0(VALU_DEP_1) | instskip(NEXT) | instid1(VALU_DEP_1)
	v_and_b32_e32 v37, 0xffff, v37
	v_lshrrev_b32_e32 v37, s48, v37
	s_delay_alu instid0(VALU_DEP_1) | instskip(NEXT) | instid1(VALU_DEP_1)
	v_and_b32_e32 v37, s55, v37
	v_and_b32_e32 v39, 1, v37
	v_lshlrev_b32_e32 v40, 30, v37
	v_lshlrev_b32_e32 v41, 29, v37
	;; [unrolled: 1-line block ×4, first 2 shown]
	v_add_co_u32 v39, s17, v39, -1
	s_delay_alu instid0(VALU_DEP_1)
	v_cndmask_b32_e64 v43, 0, 1, s17
	v_not_b32_e32 v200, v40
	v_cmp_gt_i32_e64 s17, 0, v40
	v_not_b32_e32 v40, v41
	v_lshlrev_b32_e32 v198, 26, v37
	v_cmp_ne_u32_e32 vcc_lo, 0, v43
	v_ashrrev_i32_e32 v200, 31, v200
	v_lshlrev_b32_e32 v199, 25, v37
	v_ashrrev_i32_e32 v40, 31, v40
	v_lshlrev_b32_e32 v43, 24, v37
	v_xor_b32_e32 v39, vcc_lo, v39
	v_cmp_gt_i32_e32 vcc_lo, 0, v41
	v_not_b32_e32 v41, v42
	v_xor_b32_e32 v200, s17, v200
	v_cmp_gt_i32_e64 s17, 0, v42
	v_and_b32_e32 v39, exec_lo, v39
	v_not_b32_e32 v42, v197
	v_ashrrev_i32_e32 v41, 31, v41
	v_xor_b32_e32 v40, vcc_lo, v40
	v_cmp_gt_i32_e32 vcc_lo, 0, v197
	v_and_b32_e32 v39, v39, v200
	v_not_b32_e32 v197, v198
	v_ashrrev_i32_e32 v42, 31, v42
	v_xor_b32_e32 v41, s17, v41
	v_cmp_gt_i32_e64 s17, 0, v198
	v_and_b32_e32 v39, v39, v40
	v_not_b32_e32 v40, v199
	v_ashrrev_i32_e32 v197, 31, v197
	v_xor_b32_e32 v42, vcc_lo, v42
	v_cmp_gt_i32_e32 vcc_lo, 0, v199
	v_and_b32_e32 v39, v39, v41
	v_not_b32_e32 v41, v43
	v_ashrrev_i32_e32 v40, 31, v40
	v_xor_b32_e32 v197, s17, v197
	v_mul_u32_u24_e32 v37, 9, v37
	v_and_b32_e32 v39, v39, v42
	v_cmp_gt_i32_e64 s17, 0, v43
	v_ashrrev_i32_e32 v41, 31, v41
	v_xor_b32_e32 v40, vcc_lo, v40
	v_add_lshl_u32 v42, v37, v126, 2
	v_and_b32_e32 v39, v39, v197
	s_delay_alu instid0(VALU_DEP_4) | instskip(SKIP_3) | instid1(VALU_DEP_2)
	v_xor_b32_e32 v37, s17, v41
	ds_load_b32 v198, v42 offset:1056
	v_and_b32_e32 v39, v39, v40
	v_add_nc_u32_e32 v200, 0x420, v42
	; wave barrier
	v_and_b32_e32 v37, v39, v37
	s_delay_alu instid0(VALU_DEP_1) | instskip(SKIP_1) | instid1(VALU_DEP_2)
	v_mbcnt_lo_u32_b32 v199, v37, 0
	v_cmp_ne_u32_e64 s17, 0, v37
	v_cmp_eq_u32_e32 vcc_lo, 0, v199
	s_delay_alu instid0(VALU_DEP_2) | instskip(NEXT) | instid1(SALU_CYCLE_1)
	s_and_b32 s18, s17, vcc_lo
	s_and_saveexec_b32 s17, s18
	s_cbranch_execz .LBB2086_170
; %bb.169:                              ;   in Loop: Header=BB2086_106 Depth=2
	s_waitcnt lgkmcnt(0)
	v_bcnt_u32_b32 v37, v37, v198
	ds_store_b32 v200, v37
.LBB2086_170:                           ;   in Loop: Header=BB2086_106 Depth=2
	s_or_b32 exec_lo, exec_lo, s17
	v_cmp_lt_i16_e32 vcc_lo, -1, v38
	; wave barrier
	v_cndmask_b32_e64 v37, -1, 0xffff8000, vcc_lo
	s_delay_alu instid0(VALU_DEP_1) | instskip(NEXT) | instid1(VALU_DEP_1)
	v_xor_b32_e32 v197, v37, v38
	v_cmp_ne_u16_e64 vcc_lo, 0x7fff, v197
	v_cndmask_b32_e32 v37, 0xffff8000, v197, vcc_lo
	s_delay_alu instid0(VALU_DEP_1) | instskip(NEXT) | instid1(VALU_DEP_1)
	v_and_b32_e32 v37, 0xffff, v37
	v_lshrrev_b32_e32 v37, s48, v37
	s_delay_alu instid0(VALU_DEP_1) | instskip(NEXT) | instid1(VALU_DEP_1)
	v_and_b32_e32 v37, s55, v37
	v_and_b32_e32 v38, 1, v37
	v_lshlrev_b32_e32 v39, 30, v37
	v_lshlrev_b32_e32 v40, 29, v37
	;; [unrolled: 1-line block ×4, first 2 shown]
	v_add_co_u32 v38, s17, v38, -1
	s_delay_alu instid0(VALU_DEP_1)
	v_cndmask_b32_e64 v42, 0, 1, s17
	v_not_b32_e32 v203, v39
	v_cmp_gt_i32_e64 s17, 0, v39
	v_not_b32_e32 v39, v40
	v_lshlrev_b32_e32 v201, 26, v37
	v_cmp_ne_u32_e32 vcc_lo, 0, v42
	v_ashrrev_i32_e32 v203, 31, v203
	v_lshlrev_b32_e32 v202, 25, v37
	v_ashrrev_i32_e32 v39, 31, v39
	v_lshlrev_b32_e32 v42, 24, v37
	v_xor_b32_e32 v38, vcc_lo, v38
	v_cmp_gt_i32_e32 vcc_lo, 0, v40
	v_not_b32_e32 v40, v41
	v_xor_b32_e32 v203, s17, v203
	v_cmp_gt_i32_e64 s17, 0, v41
	v_and_b32_e32 v38, exec_lo, v38
	v_not_b32_e32 v41, v43
	v_ashrrev_i32_e32 v40, 31, v40
	v_xor_b32_e32 v39, vcc_lo, v39
	v_cmp_gt_i32_e32 vcc_lo, 0, v43
	v_and_b32_e32 v38, v38, v203
	v_not_b32_e32 v43, v201
	v_ashrrev_i32_e32 v41, 31, v41
	v_xor_b32_e32 v40, s17, v40
	v_cmp_gt_i32_e64 s17, 0, v201
	v_and_b32_e32 v38, v38, v39
	v_not_b32_e32 v39, v202
	v_ashrrev_i32_e32 v43, 31, v43
	v_xor_b32_e32 v41, vcc_lo, v41
	v_cmp_gt_i32_e32 vcc_lo, 0, v202
	v_and_b32_e32 v38, v38, v40
	v_not_b32_e32 v40, v42
	v_ashrrev_i32_e32 v39, 31, v39
	v_xor_b32_e32 v43, s17, v43
	v_mul_u32_u24_e32 v37, 9, v37
	v_and_b32_e32 v38, v38, v41
	v_cmp_gt_i32_e64 s17, 0, v42
	v_ashrrev_i32_e32 v40, 31, v40
	v_xor_b32_e32 v39, vcc_lo, v39
	v_add_lshl_u32 v41, v37, v126, 2
	v_and_b32_e32 v38, v38, v43
	s_delay_alu instid0(VALU_DEP_4) | instskip(SKIP_3) | instid1(VALU_DEP_2)
	v_xor_b32_e32 v37, s17, v40
	ds_load_b32 v202, v41 offset:1056
	v_and_b32_e32 v38, v38, v39
	v_add_nc_u32_e32 v204, 0x420, v41
	; wave barrier
	v_and_b32_e32 v37, v38, v37
	s_delay_alu instid0(VALU_DEP_1) | instskip(SKIP_1) | instid1(VALU_DEP_2)
	v_mbcnt_lo_u32_b32 v203, v37, 0
	v_cmp_ne_u32_e64 s17, 0, v37
	v_cmp_eq_u32_e32 vcc_lo, 0, v203
	s_delay_alu instid0(VALU_DEP_2) | instskip(NEXT) | instid1(SALU_CYCLE_1)
	s_and_b32 s18, s17, vcc_lo
	s_and_saveexec_b32 s17, s18
	s_cbranch_execz .LBB2086_172
; %bb.171:                              ;   in Loop: Header=BB2086_106 Depth=2
	s_waitcnt lgkmcnt(0)
	v_bcnt_u32_b32 v37, v37, v202
	ds_store_b32 v204, v37
.LBB2086_172:                           ;   in Loop: Header=BB2086_106 Depth=2
	s_or_b32 exec_lo, exec_lo, s17
	v_cmp_lt_i16_e32 vcc_lo, -1, v36
	; wave barrier
	v_cndmask_b32_e64 v37, -1, 0xffff8000, vcc_lo
	s_delay_alu instid0(VALU_DEP_1) | instskip(NEXT) | instid1(VALU_DEP_1)
	v_xor_b32_e32 v201, v37, v36
	v_cmp_ne_u16_e64 vcc_lo, 0x7fff, v201
	v_cndmask_b32_e32 v36, 0xffff8000, v201, vcc_lo
	s_delay_alu instid0(VALU_DEP_1) | instskip(NEXT) | instid1(VALU_DEP_1)
	v_and_b32_e32 v36, 0xffff, v36
	v_lshrrev_b32_e32 v36, s48, v36
	s_delay_alu instid0(VALU_DEP_1) | instskip(NEXT) | instid1(VALU_DEP_1)
	v_and_b32_e32 v36, s55, v36
	v_and_b32_e32 v37, 1, v36
	v_lshlrev_b32_e32 v38, 30, v36
	v_lshlrev_b32_e32 v39, 29, v36
	;; [unrolled: 1-line block ×4, first 2 shown]
	v_add_co_u32 v37, s17, v37, -1
	s_delay_alu instid0(VALU_DEP_1)
	v_cndmask_b32_e64 v41, 0, 1, s17
	v_not_b32_e32 v206, v38
	v_cmp_gt_i32_e64 s17, 0, v38
	v_not_b32_e32 v38, v39
	v_lshlrev_b32_e32 v43, 26, v36
	v_cmp_ne_u32_e32 vcc_lo, 0, v41
	v_ashrrev_i32_e32 v206, 31, v206
	v_lshlrev_b32_e32 v205, 25, v36
	v_ashrrev_i32_e32 v38, 31, v38
	v_lshlrev_b32_e32 v41, 24, v36
	v_xor_b32_e32 v37, vcc_lo, v37
	v_cmp_gt_i32_e32 vcc_lo, 0, v39
	v_not_b32_e32 v39, v40
	v_xor_b32_e32 v206, s17, v206
	v_cmp_gt_i32_e64 s17, 0, v40
	v_and_b32_e32 v37, exec_lo, v37
	v_not_b32_e32 v40, v42
	v_ashrrev_i32_e32 v39, 31, v39
	v_xor_b32_e32 v38, vcc_lo, v38
	v_cmp_gt_i32_e32 vcc_lo, 0, v42
	v_and_b32_e32 v37, v37, v206
	v_not_b32_e32 v42, v43
	v_ashrrev_i32_e32 v40, 31, v40
	v_xor_b32_e32 v39, s17, v39
	v_cmp_gt_i32_e64 s17, 0, v43
	v_and_b32_e32 v37, v37, v38
	v_not_b32_e32 v38, v205
	v_ashrrev_i32_e32 v42, 31, v42
	v_xor_b32_e32 v40, vcc_lo, v40
	v_cmp_gt_i32_e32 vcc_lo, 0, v205
	v_and_b32_e32 v37, v37, v39
	v_not_b32_e32 v39, v41
	v_ashrrev_i32_e32 v38, 31, v38
	v_xor_b32_e32 v42, s17, v42
	v_mul_u32_u24_e32 v36, 9, v36
	v_and_b32_e32 v37, v37, v40
	v_cmp_gt_i32_e64 s17, 0, v41
	v_ashrrev_i32_e32 v39, 31, v39
	v_xor_b32_e32 v38, vcc_lo, v38
	v_add_lshl_u32 v40, v36, v126, 2
	v_and_b32_e32 v37, v37, v42
	s_delay_alu instid0(VALU_DEP_4) | instskip(SKIP_3) | instid1(VALU_DEP_2)
	v_xor_b32_e32 v36, s17, v39
	ds_load_b32 v205, v40 offset:1056
	v_and_b32_e32 v37, v37, v38
	v_add_nc_u32_e32 v207, 0x420, v40
	; wave barrier
	v_and_b32_e32 v36, v37, v36
	s_delay_alu instid0(VALU_DEP_1) | instskip(SKIP_1) | instid1(VALU_DEP_2)
	v_mbcnt_lo_u32_b32 v206, v36, 0
	v_cmp_ne_u32_e64 s17, 0, v36
	v_cmp_eq_u32_e32 vcc_lo, 0, v206
	s_delay_alu instid0(VALU_DEP_2) | instskip(NEXT) | instid1(SALU_CYCLE_1)
	s_and_b32 s18, s17, vcc_lo
	s_and_saveexec_b32 s17, s18
	s_cbranch_execz .LBB2086_174
; %bb.173:                              ;   in Loop: Header=BB2086_106 Depth=2
	s_waitcnt lgkmcnt(0)
	v_bcnt_u32_b32 v36, v36, v205
	ds_store_b32 v207, v36
.LBB2086_174:                           ;   in Loop: Header=BB2086_106 Depth=2
	s_or_b32 exec_lo, exec_lo, s17
	; wave barrier
	s_waitcnt lgkmcnt(0)
	s_barrier
	buffer_gl0_inv
	ds_load_b32 v208, v69 offset:1056
	ds_load_2addr_b32 v[42:43], v71 offset0:1 offset1:2
	ds_load_2addr_b32 v[40:41], v71 offset0:3 offset1:4
	;; [unrolled: 1-line block ×4, first 2 shown]
	s_waitcnt lgkmcnt(3)
	v_add3_u32 v209, v42, v208, v43
	s_waitcnt lgkmcnt(2)
	s_delay_alu instid0(VALU_DEP_1) | instskip(SKIP_1) | instid1(VALU_DEP_1)
	v_add3_u32 v209, v209, v40, v41
	s_waitcnt lgkmcnt(1)
	v_add3_u32 v209, v209, v36, v37
	s_waitcnt lgkmcnt(0)
	s_delay_alu instid0(VALU_DEP_1) | instskip(NEXT) | instid1(VALU_DEP_1)
	v_add3_u32 v39, v209, v38, v39
	v_mov_b32_dpp v209, v39 row_shr:1 row_mask:0xf bank_mask:0xf
	s_delay_alu instid0(VALU_DEP_1) | instskip(NEXT) | instid1(VALU_DEP_1)
	v_cndmask_b32_e64 v209, v209, 0, s0
	v_add_nc_u32_e32 v39, v209, v39
	s_delay_alu instid0(VALU_DEP_1) | instskip(NEXT) | instid1(VALU_DEP_1)
	v_mov_b32_dpp v209, v39 row_shr:2 row_mask:0xf bank_mask:0xf
	v_cndmask_b32_e64 v209, 0, v209, s1
	s_delay_alu instid0(VALU_DEP_1) | instskip(NEXT) | instid1(VALU_DEP_1)
	v_add_nc_u32_e32 v39, v39, v209
	v_mov_b32_dpp v209, v39 row_shr:4 row_mask:0xf bank_mask:0xf
	s_delay_alu instid0(VALU_DEP_1) | instskip(NEXT) | instid1(VALU_DEP_1)
	v_cndmask_b32_e64 v209, 0, v209, s8
	v_add_nc_u32_e32 v39, v39, v209
	s_delay_alu instid0(VALU_DEP_1) | instskip(NEXT) | instid1(VALU_DEP_1)
	v_mov_b32_dpp v209, v39 row_shr:8 row_mask:0xf bank_mask:0xf
	v_cndmask_b32_e64 v209, 0, v209, s9
	s_delay_alu instid0(VALU_DEP_1) | instskip(SKIP_3) | instid1(VALU_DEP_1)
	v_add_nc_u32_e32 v39, v39, v209
	ds_swizzle_b32 v209, v39 offset:swizzle(BROADCAST,32,15)
	s_waitcnt lgkmcnt(0)
	v_cndmask_b32_e64 v209, v209, 0, s10
	v_add_nc_u32_e32 v39, v39, v209
	s_and_saveexec_b32 s17, s3
	s_cbranch_execz .LBB2086_176
; %bb.175:                              ;   in Loop: Header=BB2086_106 Depth=2
	ds_store_b32 v62, v39 offset:1024
.LBB2086_176:                           ;   in Loop: Header=BB2086_106 Depth=2
	s_or_b32 exec_lo, exec_lo, s17
	s_waitcnt lgkmcnt(0)
	s_barrier
	buffer_gl0_inv
	s_and_saveexec_b32 s17, s4
	s_cbranch_execz .LBB2086_178
; %bb.177:                              ;   in Loop: Header=BB2086_106 Depth=2
	ds_load_b32 v209, v72 offset:1024
	s_waitcnt lgkmcnt(0)
	v_mov_b32_dpp v210, v209 row_shr:1 row_mask:0xf bank_mask:0xf
	s_delay_alu instid0(VALU_DEP_1) | instskip(NEXT) | instid1(VALU_DEP_1)
	v_cndmask_b32_e64 v210, v210, 0, s12
	v_add_nc_u32_e32 v209, v210, v209
	s_delay_alu instid0(VALU_DEP_1) | instskip(NEXT) | instid1(VALU_DEP_1)
	v_mov_b32_dpp v210, v209 row_shr:2 row_mask:0xf bank_mask:0xf
	v_cndmask_b32_e64 v210, 0, v210, s13
	s_delay_alu instid0(VALU_DEP_1) | instskip(NEXT) | instid1(VALU_DEP_1)
	v_add_nc_u32_e32 v209, v209, v210
	v_mov_b32_dpp v210, v209 row_shr:4 row_mask:0xf bank_mask:0xf
	s_delay_alu instid0(VALU_DEP_1) | instskip(NEXT) | instid1(VALU_DEP_1)
	v_cndmask_b32_e64 v210, 0, v210, s16
	v_add_nc_u32_e32 v209, v209, v210
	ds_store_b32 v72, v209 offset:1024
.LBB2086_178:                           ;   in Loop: Header=BB2086_106 Depth=2
	s_or_b32 exec_lo, exec_lo, s17
	v_mov_b32_e32 v209, 0
	s_waitcnt lgkmcnt(0)
	s_barrier
	buffer_gl0_inv
	s_and_saveexec_b32 s17, s5
	s_cbranch_execz .LBB2086_180
; %bb.179:                              ;   in Loop: Header=BB2086_106 Depth=2
	ds_load_b32 v209, v62 offset:1020
.LBB2086_180:                           ;   in Loop: Header=BB2086_106 Depth=2
	s_or_b32 exec_lo, exec_lo, s17
	s_waitcnt lgkmcnt(0)
	v_add_nc_u32_e32 v39, v209, v39
	ds_bpermute_b32 v39, v105, v39
	s_waitcnt lgkmcnt(0)
	v_cndmask_b32_e64 v39, v39, v209, s11
	s_delay_alu instid0(VALU_DEP_1) | instskip(NEXT) | instid1(VALU_DEP_1)
	v_cndmask_b32_e64 v39, v39, 0, s6
	v_add_nc_u32_e32 v208, v39, v208
	s_delay_alu instid0(VALU_DEP_1) | instskip(NEXT) | instid1(VALU_DEP_1)
	v_add_nc_u32_e32 v42, v208, v42
	v_add_nc_u32_e32 v43, v42, v43
	s_delay_alu instid0(VALU_DEP_1) | instskip(NEXT) | instid1(VALU_DEP_1)
	v_add_nc_u32_e32 v40, v43, v40
	v_add_nc_u32_e32 v41, v40, v41
	s_delay_alu instid0(VALU_DEP_1) | instskip(NEXT) | instid1(VALU_DEP_1)
	v_add_nc_u32_e32 v36, v41, v36
	v_add_nc_u32_e32 v37, v36, v37
	s_delay_alu instid0(VALU_DEP_1)
	v_add_nc_u32_e32 v38, v37, v38
	ds_store_b32 v69, v39 offset:1056
	ds_store_2addr_b32 v71, v208, v42 offset0:1 offset1:2
	ds_store_2addr_b32 v71, v43, v40 offset0:3 offset1:4
	;; [unrolled: 1-line block ×4, first 2 shown]
	v_mov_b32_e32 v38, 0x1000
	s_waitcnt lgkmcnt(0)
	s_barrier
	buffer_gl0_inv
	ds_load_b32 v39, v152
	ds_load_b32 v40, v156
	ds_load_b32 v42, v160
	ds_load_b32 v43, v164
	ds_load_b32 v152, v168
	ds_load_b32 v173, v173
	ds_load_b32 v176, v176
	ds_load_b32 v180, v180
	ds_load_b32 v184, v184
	ds_load_b32 v188, v188
	ds_load_b32 v192, v192
	ds_load_b32 v196, v196
	ds_load_b32 v36, v200
	ds_load_b32 v37, v204
	ds_load_b32 v41, v207
	ds_load_b32 v148, v148
	ds_load_b32 v156, v69 offset:1056
	s_and_saveexec_b32 s17, s7
	s_cbranch_execz .LBB2086_182
; %bb.181:                              ;   in Loop: Header=BB2086_106 Depth=2
	ds_load_b32 v38, v73 offset:1056
.LBB2086_182:                           ;   in Loop: Header=BB2086_106 Depth=2
	s_or_b32 exec_lo, exec_lo, s17
	s_waitcnt lgkmcnt(0)
	s_barrier
	buffer_gl0_inv
	s_and_saveexec_b32 s17, s2
	s_cbranch_execz .LBB2086_184
; %bb.183:                              ;   in Loop: Header=BB2086_106 Depth=2
	ds_load_b32 v160, v44
	s_waitcnt lgkmcnt(0)
	v_sub_nc_u32_e32 v156, v160, v156
	ds_store_b32 v44, v156
.LBB2086_184:                           ;   in Loop: Header=BB2086_106 Depth=2
	s_or_b32 exec_lo, exec_lo, s17
	v_add_nc_u32_e32 v168, v148, v147
	v_add3_u32 v164, v151, v150, v39
	v_add3_u32 v160, v155, v154, v40
	;; [unrolled: 1-line block ×5, first 2 shown]
	v_lshlrev_b32_e32 v158, 1, v168
	v_add3_u32 v43, v199, v198, v36
	v_lshlrev_b32_e32 v36, 1, v164
	v_add3_u32 v152, v172, v171, v173
	v_add3_u32 v151, v175, v174, v176
	ds_store_b16 v158, v2 offset:1024
	v_lshlrev_b32_e32 v2, 1, v160
	ds_store_b16 v36, v146 offset:1024
	v_lshlrev_b32_e32 v36, 1, v154
	v_add3_u32 v150, v179, v178, v180
	v_add3_u32 v42, v203, v202, v37
	v_lshlrev_b32_e32 v37, 1, v156
	v_add3_u32 v148, v183, v182, v184
	v_lshlrev_b32_e32 v158, 1, v155
	v_add3_u32 v147, v187, v186, v188
	v_add3_u32 v40, v191, v190, v192
	ds_store_b16 v2, v149 offset:1024
	ds_store_b16 v37, v153 offset:1024
	;; [unrolled: 1-line block ×3, first 2 shown]
	v_lshlrev_b32_e32 v2, 1, v152
	ds_store_b16 v36, v161 offset:1024
	v_lshlrev_b32_e32 v36, 1, v151
	v_lshlrev_b32_e32 v37, 1, v150
	;; [unrolled: 1-line block ×3, first 2 shown]
	v_add3_u32 v39, v195, v194, v196
	v_add3_u32 v41, v206, v205, v41
	ds_store_b16 v2, v165 offset:1024
	v_lshlrev_b32_e32 v2, 1, v147
	ds_store_b16 v36, v170 offset:1024
	ds_store_b16 v37, v169 offset:1024
	;; [unrolled: 1-line block ×3, first 2 shown]
	v_lshlrev_b32_e32 v36, 1, v40
	v_cmp_lt_u32_e32 vcc_lo, v1, v145
	v_lshlrev_b32_e32 v37, 1, v43
	ds_store_b16 v2, v181 offset:1024
	v_lshlrev_b32_e32 v2, 1, v39
	ds_store_b16 v36, v185 offset:1024
	v_lshlrev_b32_e32 v36, 1, v41
	v_lshlrev_b32_e32 v146, 1, v42
	ds_store_b16 v2, v189 offset:1024
	ds_store_b16 v37, v193 offset:1024
	;; [unrolled: 1-line block ×4, first 2 shown]
	s_waitcnt lgkmcnt(0)
	s_barrier
	buffer_gl0_inv
	s_and_saveexec_b32 s18, vcc_lo
	s_cbranch_execz .LBB2086_200
; %bb.185:                              ;   in Loop: Header=BB2086_106 Depth=2
	v_add_nc_u32_e32 v2, v72, v78
	ds_load_u16 v146, v2 offset:1024
	s_waitcnt lgkmcnt(0)
	v_cmp_ne_u16_e64 s17, 0x7fff, v146
	s_delay_alu instid0(VALU_DEP_1) | instskip(SKIP_1) | instid1(VALU_DEP_2)
	v_cndmask_b32_e64 v2, 0xffff8000, v146, s17
	v_cmp_lt_i16_e64 s17, -1, v146
	v_and_b32_e32 v2, 0xffff, v2
	s_delay_alu instid0(VALU_DEP_2) | instskip(NEXT) | instid1(VALU_DEP_2)
	v_cndmask_b32_e64 v149, 0xffff8000, -1, s17
	v_lshrrev_b32_e32 v2, s48, v2
	s_delay_alu instid0(VALU_DEP_1) | instskip(NEXT) | instid1(VALU_DEP_1)
	v_and_b32_e32 v2, s55, v2
	v_lshlrev_b32_e32 v2, 2, v2
	ds_load_b32 v2, v2
	s_waitcnt lgkmcnt(0)
	v_add_nc_u32_e32 v2, v2, v1
	s_delay_alu instid0(VALU_DEP_1) | instskip(SKIP_1) | instid1(VALU_DEP_2)
	v_lshlrev_b64 v[36:37], 1, v[2:3]
	v_xor_b32_e32 v2, v149, v146
	v_add_co_u32 v36, s17, s38, v36
	s_delay_alu instid0(VALU_DEP_1) | instskip(SKIP_3) | instid1(VALU_DEP_1)
	v_add_co_ci_u32_e64 v37, s17, s39, v37, s17
	global_store_b16 v[36:37], v2, off
	s_or_b32 exec_lo, exec_lo, s18
	v_cmp_lt_u32_e64 s17, v45, v145
	s_and_saveexec_b32 s19, s17
	s_cbranch_execnz .LBB2086_201
.LBB2086_186:                           ;   in Loop: Header=BB2086_106 Depth=2
	s_or_b32 exec_lo, exec_lo, s19
	v_cmp_lt_u32_e64 s18, v46, v145
	s_delay_alu instid0(VALU_DEP_1)
	s_and_saveexec_b32 s20, s18
	s_cbranch_execz .LBB2086_202
.LBB2086_187:                           ;   in Loop: Header=BB2086_106 Depth=2
	ds_load_u16 v146, v79 offset:1024
	s_waitcnt lgkmcnt(0)
	v_cmp_ne_u16_e64 s19, 0x7fff, v146
	s_delay_alu instid0(VALU_DEP_1) | instskip(SKIP_1) | instid1(VALU_DEP_2)
	v_cndmask_b32_e64 v2, 0xffff8000, v146, s19
	v_cmp_lt_i16_e64 s19, -1, v146
	v_and_b32_e32 v2, 0xffff, v2
	s_delay_alu instid0(VALU_DEP_2) | instskip(NEXT) | instid1(VALU_DEP_2)
	v_cndmask_b32_e64 v149, 0xffff8000, -1, s19
	v_lshrrev_b32_e32 v2, s48, v2
	s_delay_alu instid0(VALU_DEP_1) | instskip(NEXT) | instid1(VALU_DEP_1)
	v_and_b32_e32 v2, s55, v2
	v_lshlrev_b32_e32 v2, 2, v2
	ds_load_b32 v2, v2
	s_waitcnt lgkmcnt(0)
	v_add_nc_u32_e32 v2, v2, v46
	s_delay_alu instid0(VALU_DEP_1) | instskip(SKIP_1) | instid1(VALU_DEP_2)
	v_lshlrev_b64 v[36:37], 1, v[2:3]
	v_xor_b32_e32 v2, v149, v146
	v_add_co_u32 v36, s19, s38, v36
	s_delay_alu instid0(VALU_DEP_1) | instskip(SKIP_3) | instid1(VALU_DEP_1)
	v_add_co_ci_u32_e64 v37, s19, s39, v37, s19
	global_store_b16 v[36:37], v2, off
	s_or_b32 exec_lo, exec_lo, s20
	v_cmp_lt_u32_e64 s19, v47, v145
	s_and_saveexec_b32 s21, s19
	s_cbranch_execnz .LBB2086_203
.LBB2086_188:                           ;   in Loop: Header=BB2086_106 Depth=2
	s_or_b32 exec_lo, exec_lo, s21
	v_cmp_lt_u32_e64 s20, v51, v145
	s_delay_alu instid0(VALU_DEP_1)
	s_and_saveexec_b32 s22, s20
	s_cbranch_execz .LBB2086_204
.LBB2086_189:                           ;   in Loop: Header=BB2086_106 Depth=2
	ds_load_u16 v146, v79 offset:2048
	s_waitcnt lgkmcnt(0)
	v_cmp_ne_u16_e64 s21, 0x7fff, v146
	s_delay_alu instid0(VALU_DEP_1) | instskip(SKIP_1) | instid1(VALU_DEP_2)
	v_cndmask_b32_e64 v2, 0xffff8000, v146, s21
	v_cmp_lt_i16_e64 s21, -1, v146
	v_and_b32_e32 v2, 0xffff, v2
	s_delay_alu instid0(VALU_DEP_2) | instskip(NEXT) | instid1(VALU_DEP_2)
	v_cndmask_b32_e64 v149, 0xffff8000, -1, s21
	v_lshrrev_b32_e32 v2, s48, v2
	s_delay_alu instid0(VALU_DEP_1) | instskip(NEXT) | instid1(VALU_DEP_1)
	v_and_b32_e32 v2, s55, v2
	v_lshlrev_b32_e32 v2, 2, v2
	ds_load_b32 v2, v2
	s_waitcnt lgkmcnt(0)
	v_add_nc_u32_e32 v2, v2, v51
	s_delay_alu instid0(VALU_DEP_1) | instskip(SKIP_1) | instid1(VALU_DEP_2)
	v_lshlrev_b64 v[36:37], 1, v[2:3]
	v_xor_b32_e32 v2, v149, v146
	v_add_co_u32 v36, s21, s38, v36
	s_delay_alu instid0(VALU_DEP_1) | instskip(SKIP_3) | instid1(VALU_DEP_1)
	v_add_co_ci_u32_e64 v37, s21, s39, v37, s21
	global_store_b16 v[36:37], v2, off
	s_or_b32 exec_lo, exec_lo, s22
	v_cmp_lt_u32_e64 s21, v52, v145
	s_and_saveexec_b32 s23, s21
	s_cbranch_execnz .LBB2086_205
.LBB2086_190:                           ;   in Loop: Header=BB2086_106 Depth=2
	s_or_b32 exec_lo, exec_lo, s23
	v_cmp_lt_u32_e64 s22, v53, v145
	s_delay_alu instid0(VALU_DEP_1)
	s_and_saveexec_b32 s24, s22
	s_cbranch_execz .LBB2086_206
.LBB2086_191:                           ;   in Loop: Header=BB2086_106 Depth=2
	ds_load_u16 v146, v79 offset:3072
	s_waitcnt lgkmcnt(0)
	v_cmp_ne_u16_e64 s23, 0x7fff, v146
	s_delay_alu instid0(VALU_DEP_1) | instskip(SKIP_1) | instid1(VALU_DEP_2)
	v_cndmask_b32_e64 v2, 0xffff8000, v146, s23
	v_cmp_lt_i16_e64 s23, -1, v146
	v_and_b32_e32 v2, 0xffff, v2
	s_delay_alu instid0(VALU_DEP_2) | instskip(NEXT) | instid1(VALU_DEP_2)
	v_cndmask_b32_e64 v149, 0xffff8000, -1, s23
	v_lshrrev_b32_e32 v2, s48, v2
	s_delay_alu instid0(VALU_DEP_1) | instskip(NEXT) | instid1(VALU_DEP_1)
	v_and_b32_e32 v2, s55, v2
	v_lshlrev_b32_e32 v2, 2, v2
	ds_load_b32 v2, v2
	s_waitcnt lgkmcnt(0)
	v_add_nc_u32_e32 v2, v2, v53
	s_delay_alu instid0(VALU_DEP_1) | instskip(SKIP_1) | instid1(VALU_DEP_2)
	v_lshlrev_b64 v[36:37], 1, v[2:3]
	v_xor_b32_e32 v2, v149, v146
	v_add_co_u32 v36, s23, s38, v36
	s_delay_alu instid0(VALU_DEP_1) | instskip(SKIP_3) | instid1(VALU_DEP_1)
	v_add_co_ci_u32_e64 v37, s23, s39, v37, s23
	global_store_b16 v[36:37], v2, off
	s_or_b32 exec_lo, exec_lo, s24
	v_cmp_lt_u32_e64 s23, v54, v145
	s_and_saveexec_b32 s25, s23
	s_cbranch_execnz .LBB2086_207
.LBB2086_192:                           ;   in Loop: Header=BB2086_106 Depth=2
	s_or_b32 exec_lo, exec_lo, s25
	v_cmp_lt_u32_e64 s24, v55, v145
	s_delay_alu instid0(VALU_DEP_1)
	s_and_saveexec_b32 s26, s24
	s_cbranch_execz .LBB2086_208
.LBB2086_193:                           ;   in Loop: Header=BB2086_106 Depth=2
	ds_load_u16 v146, v79 offset:4096
	s_waitcnt lgkmcnt(0)
	v_cmp_ne_u16_e64 s25, 0x7fff, v146
	s_delay_alu instid0(VALU_DEP_1) | instskip(SKIP_1) | instid1(VALU_DEP_2)
	v_cndmask_b32_e64 v2, 0xffff8000, v146, s25
	v_cmp_lt_i16_e64 s25, -1, v146
	v_and_b32_e32 v2, 0xffff, v2
	s_delay_alu instid0(VALU_DEP_2) | instskip(NEXT) | instid1(VALU_DEP_2)
	v_cndmask_b32_e64 v149, 0xffff8000, -1, s25
	v_lshrrev_b32_e32 v2, s48, v2
	s_delay_alu instid0(VALU_DEP_1) | instskip(NEXT) | instid1(VALU_DEP_1)
	v_and_b32_e32 v2, s55, v2
	v_lshlrev_b32_e32 v2, 2, v2
	ds_load_b32 v2, v2
	s_waitcnt lgkmcnt(0)
	v_add_nc_u32_e32 v2, v2, v55
	s_delay_alu instid0(VALU_DEP_1) | instskip(SKIP_1) | instid1(VALU_DEP_2)
	v_lshlrev_b64 v[36:37], 1, v[2:3]
	v_xor_b32_e32 v2, v149, v146
	v_add_co_u32 v36, s25, s38, v36
	s_delay_alu instid0(VALU_DEP_1) | instskip(SKIP_3) | instid1(VALU_DEP_1)
	v_add_co_ci_u32_e64 v37, s25, s39, v37, s25
	global_store_b16 v[36:37], v2, off
	s_or_b32 exec_lo, exec_lo, s26
	v_cmp_lt_u32_e64 s25, v56, v145
	s_and_saveexec_b32 s27, s25
	s_cbranch_execnz .LBB2086_209
.LBB2086_194:                           ;   in Loop: Header=BB2086_106 Depth=2
	s_or_b32 exec_lo, exec_lo, s27
	v_cmp_lt_u32_e64 s26, v57, v145
	s_delay_alu instid0(VALU_DEP_1)
	s_and_saveexec_b32 s28, s26
	s_cbranch_execz .LBB2086_210
.LBB2086_195:                           ;   in Loop: Header=BB2086_106 Depth=2
	ds_load_u16 v146, v79 offset:5120
	s_waitcnt lgkmcnt(0)
	v_cmp_ne_u16_e64 s27, 0x7fff, v146
	s_delay_alu instid0(VALU_DEP_1) | instskip(SKIP_1) | instid1(VALU_DEP_2)
	v_cndmask_b32_e64 v2, 0xffff8000, v146, s27
	v_cmp_lt_i16_e64 s27, -1, v146
	v_and_b32_e32 v2, 0xffff, v2
	s_delay_alu instid0(VALU_DEP_2) | instskip(NEXT) | instid1(VALU_DEP_2)
	v_cndmask_b32_e64 v149, 0xffff8000, -1, s27
	v_lshrrev_b32_e32 v2, s48, v2
	s_delay_alu instid0(VALU_DEP_1) | instskip(NEXT) | instid1(VALU_DEP_1)
	v_and_b32_e32 v2, s55, v2
	v_lshlrev_b32_e32 v2, 2, v2
	ds_load_b32 v2, v2
	s_waitcnt lgkmcnt(0)
	v_add_nc_u32_e32 v2, v2, v57
	s_delay_alu instid0(VALU_DEP_1) | instskip(SKIP_1) | instid1(VALU_DEP_2)
	v_lshlrev_b64 v[36:37], 1, v[2:3]
	v_xor_b32_e32 v2, v149, v146
	v_add_co_u32 v36, s27, s38, v36
	s_delay_alu instid0(VALU_DEP_1) | instskip(SKIP_3) | instid1(VALU_DEP_1)
	v_add_co_ci_u32_e64 v37, s27, s39, v37, s27
	global_store_b16 v[36:37], v2, off
	s_or_b32 exec_lo, exec_lo, s28
	v_cmp_lt_u32_e64 s27, v58, v145
	s_and_saveexec_b32 s29, s27
	s_cbranch_execnz .LBB2086_211
.LBB2086_196:                           ;   in Loop: Header=BB2086_106 Depth=2
	s_or_b32 exec_lo, exec_lo, s29
	v_cmp_lt_u32_e64 s28, v59, v145
	s_delay_alu instid0(VALU_DEP_1)
	s_and_saveexec_b32 s30, s28
	s_cbranch_execz .LBB2086_212
.LBB2086_197:                           ;   in Loop: Header=BB2086_106 Depth=2
	ds_load_u16 v146, v79 offset:6144
	s_waitcnt lgkmcnt(0)
	v_cmp_ne_u16_e64 s29, 0x7fff, v146
	s_delay_alu instid0(VALU_DEP_1) | instskip(SKIP_1) | instid1(VALU_DEP_2)
	v_cndmask_b32_e64 v2, 0xffff8000, v146, s29
	v_cmp_lt_i16_e64 s29, -1, v146
	v_and_b32_e32 v2, 0xffff, v2
	s_delay_alu instid0(VALU_DEP_2) | instskip(NEXT) | instid1(VALU_DEP_2)
	v_cndmask_b32_e64 v149, 0xffff8000, -1, s29
	v_lshrrev_b32_e32 v2, s48, v2
	s_delay_alu instid0(VALU_DEP_1) | instskip(NEXT) | instid1(VALU_DEP_1)
	v_and_b32_e32 v2, s55, v2
	v_lshlrev_b32_e32 v2, 2, v2
	ds_load_b32 v2, v2
	s_waitcnt lgkmcnt(0)
	v_add_nc_u32_e32 v2, v2, v59
	s_delay_alu instid0(VALU_DEP_1) | instskip(SKIP_1) | instid1(VALU_DEP_2)
	v_lshlrev_b64 v[36:37], 1, v[2:3]
	v_xor_b32_e32 v2, v149, v146
	v_add_co_u32 v36, s29, s38, v36
	s_delay_alu instid0(VALU_DEP_1) | instskip(SKIP_3) | instid1(VALU_DEP_1)
	v_add_co_ci_u32_e64 v37, s29, s39, v37, s29
	global_store_b16 v[36:37], v2, off
	s_or_b32 exec_lo, exec_lo, s30
	v_cmp_lt_u32_e64 s29, v60, v145
	s_and_saveexec_b32 s31, s29
	s_cbranch_execnz .LBB2086_213
.LBB2086_198:                           ;   in Loop: Header=BB2086_106 Depth=2
	s_or_b32 exec_lo, exec_lo, s31
	v_cmp_lt_u32_e64 s30, v61, v145
	s_delay_alu instid0(VALU_DEP_1)
	s_and_saveexec_b32 s33, s30
	s_cbranch_execz .LBB2086_214
.LBB2086_199:                           ;   in Loop: Header=BB2086_106 Depth=2
	ds_load_u16 v146, v79 offset:7168
	s_waitcnt lgkmcnt(0)
	v_cmp_ne_u16_e64 s31, 0x7fff, v146
	s_delay_alu instid0(VALU_DEP_1) | instskip(SKIP_1) | instid1(VALU_DEP_2)
	v_cndmask_b32_e64 v2, 0xffff8000, v146, s31
	v_cmp_lt_i16_e64 s31, -1, v146
	v_and_b32_e32 v2, 0xffff, v2
	s_delay_alu instid0(VALU_DEP_2) | instskip(NEXT) | instid1(VALU_DEP_2)
	v_cndmask_b32_e64 v149, 0xffff8000, -1, s31
	v_lshrrev_b32_e32 v2, s48, v2
	s_delay_alu instid0(VALU_DEP_1) | instskip(NEXT) | instid1(VALU_DEP_1)
	v_and_b32_e32 v2, s55, v2
	v_lshlrev_b32_e32 v2, 2, v2
	ds_load_b32 v2, v2
	s_waitcnt lgkmcnt(0)
	v_add_nc_u32_e32 v2, v2, v61
	s_delay_alu instid0(VALU_DEP_1) | instskip(SKIP_1) | instid1(VALU_DEP_2)
	v_lshlrev_b64 v[36:37], 1, v[2:3]
	v_xor_b32_e32 v2, v149, v146
	v_add_co_u32 v36, s31, s38, v36
	s_delay_alu instid0(VALU_DEP_1) | instskip(SKIP_3) | instid1(VALU_DEP_1)
	v_add_co_ci_u32_e64 v37, s31, s39, v37, s31
	global_store_b16 v[36:37], v2, off
	s_or_b32 exec_lo, exec_lo, s33
	v_cmp_lt_u32_e64 s31, v63, v145
	s_and_saveexec_b32 s58, s31
	s_cbranch_execnz .LBB2086_215
	s_branch .LBB2086_216
.LBB2086_200:                           ;   in Loop: Header=BB2086_106 Depth=2
	s_or_b32 exec_lo, exec_lo, s18
	v_cmp_lt_u32_e64 s17, v45, v145
	s_delay_alu instid0(VALU_DEP_1)
	s_and_saveexec_b32 s19, s17
	s_cbranch_execz .LBB2086_186
.LBB2086_201:                           ;   in Loop: Header=BB2086_106 Depth=2
	ds_load_u16 v146, v79 offset:512
	s_waitcnt lgkmcnt(0)
	v_cmp_ne_u16_e64 s18, 0x7fff, v146
	s_delay_alu instid0(VALU_DEP_1) | instskip(SKIP_1) | instid1(VALU_DEP_2)
	v_cndmask_b32_e64 v2, 0xffff8000, v146, s18
	v_cmp_lt_i16_e64 s18, -1, v146
	v_and_b32_e32 v2, 0xffff, v2
	s_delay_alu instid0(VALU_DEP_2) | instskip(NEXT) | instid1(VALU_DEP_2)
	v_cndmask_b32_e64 v149, 0xffff8000, -1, s18
	v_lshrrev_b32_e32 v2, s48, v2
	s_delay_alu instid0(VALU_DEP_1) | instskip(NEXT) | instid1(VALU_DEP_1)
	v_and_b32_e32 v2, s55, v2
	v_lshlrev_b32_e32 v2, 2, v2
	ds_load_b32 v2, v2
	s_waitcnt lgkmcnt(0)
	v_add_nc_u32_e32 v2, v2, v45
	s_delay_alu instid0(VALU_DEP_1) | instskip(SKIP_1) | instid1(VALU_DEP_2)
	v_lshlrev_b64 v[36:37], 1, v[2:3]
	v_xor_b32_e32 v2, v149, v146
	v_add_co_u32 v36, s18, s38, v36
	s_delay_alu instid0(VALU_DEP_1) | instskip(SKIP_3) | instid1(VALU_DEP_1)
	v_add_co_ci_u32_e64 v37, s18, s39, v37, s18
	global_store_b16 v[36:37], v2, off
	s_or_b32 exec_lo, exec_lo, s19
	v_cmp_lt_u32_e64 s18, v46, v145
	s_and_saveexec_b32 s20, s18
	s_cbranch_execnz .LBB2086_187
.LBB2086_202:                           ;   in Loop: Header=BB2086_106 Depth=2
	s_or_b32 exec_lo, exec_lo, s20
	v_cmp_lt_u32_e64 s19, v47, v145
	s_delay_alu instid0(VALU_DEP_1)
	s_and_saveexec_b32 s21, s19
	s_cbranch_execz .LBB2086_188
.LBB2086_203:                           ;   in Loop: Header=BB2086_106 Depth=2
	ds_load_u16 v146, v79 offset:1536
	s_waitcnt lgkmcnt(0)
	v_cmp_ne_u16_e64 s20, 0x7fff, v146
	s_delay_alu instid0(VALU_DEP_1) | instskip(SKIP_1) | instid1(VALU_DEP_2)
	v_cndmask_b32_e64 v2, 0xffff8000, v146, s20
	v_cmp_lt_i16_e64 s20, -1, v146
	v_and_b32_e32 v2, 0xffff, v2
	s_delay_alu instid0(VALU_DEP_2) | instskip(NEXT) | instid1(VALU_DEP_2)
	v_cndmask_b32_e64 v149, 0xffff8000, -1, s20
	v_lshrrev_b32_e32 v2, s48, v2
	s_delay_alu instid0(VALU_DEP_1) | instskip(NEXT) | instid1(VALU_DEP_1)
	v_and_b32_e32 v2, s55, v2
	v_lshlrev_b32_e32 v2, 2, v2
	ds_load_b32 v2, v2
	s_waitcnt lgkmcnt(0)
	v_add_nc_u32_e32 v2, v2, v47
	s_delay_alu instid0(VALU_DEP_1) | instskip(SKIP_1) | instid1(VALU_DEP_2)
	v_lshlrev_b64 v[36:37], 1, v[2:3]
	v_xor_b32_e32 v2, v149, v146
	v_add_co_u32 v36, s20, s38, v36
	s_delay_alu instid0(VALU_DEP_1) | instskip(SKIP_3) | instid1(VALU_DEP_1)
	v_add_co_ci_u32_e64 v37, s20, s39, v37, s20
	global_store_b16 v[36:37], v2, off
	s_or_b32 exec_lo, exec_lo, s21
	v_cmp_lt_u32_e64 s20, v51, v145
	s_and_saveexec_b32 s22, s20
	s_cbranch_execnz .LBB2086_189
.LBB2086_204:                           ;   in Loop: Header=BB2086_106 Depth=2
	s_or_b32 exec_lo, exec_lo, s22
	v_cmp_lt_u32_e64 s21, v52, v145
	s_delay_alu instid0(VALU_DEP_1)
	s_and_saveexec_b32 s23, s21
	s_cbranch_execz .LBB2086_190
.LBB2086_205:                           ;   in Loop: Header=BB2086_106 Depth=2
	ds_load_u16 v146, v79 offset:2560
	s_waitcnt lgkmcnt(0)
	v_cmp_ne_u16_e64 s22, 0x7fff, v146
	s_delay_alu instid0(VALU_DEP_1) | instskip(SKIP_1) | instid1(VALU_DEP_2)
	v_cndmask_b32_e64 v2, 0xffff8000, v146, s22
	v_cmp_lt_i16_e64 s22, -1, v146
	v_and_b32_e32 v2, 0xffff, v2
	s_delay_alu instid0(VALU_DEP_2) | instskip(NEXT) | instid1(VALU_DEP_2)
	v_cndmask_b32_e64 v149, 0xffff8000, -1, s22
	v_lshrrev_b32_e32 v2, s48, v2
	s_delay_alu instid0(VALU_DEP_1) | instskip(NEXT) | instid1(VALU_DEP_1)
	v_and_b32_e32 v2, s55, v2
	v_lshlrev_b32_e32 v2, 2, v2
	ds_load_b32 v2, v2
	s_waitcnt lgkmcnt(0)
	v_add_nc_u32_e32 v2, v2, v52
	s_delay_alu instid0(VALU_DEP_1) | instskip(SKIP_1) | instid1(VALU_DEP_2)
	v_lshlrev_b64 v[36:37], 1, v[2:3]
	v_xor_b32_e32 v2, v149, v146
	v_add_co_u32 v36, s22, s38, v36
	s_delay_alu instid0(VALU_DEP_1) | instskip(SKIP_3) | instid1(VALU_DEP_1)
	v_add_co_ci_u32_e64 v37, s22, s39, v37, s22
	global_store_b16 v[36:37], v2, off
	s_or_b32 exec_lo, exec_lo, s23
	v_cmp_lt_u32_e64 s22, v53, v145
	s_and_saveexec_b32 s24, s22
	s_cbranch_execnz .LBB2086_191
.LBB2086_206:                           ;   in Loop: Header=BB2086_106 Depth=2
	s_or_b32 exec_lo, exec_lo, s24
	v_cmp_lt_u32_e64 s23, v54, v145
	s_delay_alu instid0(VALU_DEP_1)
	s_and_saveexec_b32 s25, s23
	s_cbranch_execz .LBB2086_192
.LBB2086_207:                           ;   in Loop: Header=BB2086_106 Depth=2
	ds_load_u16 v146, v79 offset:3584
	s_waitcnt lgkmcnt(0)
	v_cmp_ne_u16_e64 s24, 0x7fff, v146
	s_delay_alu instid0(VALU_DEP_1) | instskip(SKIP_1) | instid1(VALU_DEP_2)
	v_cndmask_b32_e64 v2, 0xffff8000, v146, s24
	v_cmp_lt_i16_e64 s24, -1, v146
	v_and_b32_e32 v2, 0xffff, v2
	s_delay_alu instid0(VALU_DEP_2) | instskip(NEXT) | instid1(VALU_DEP_2)
	v_cndmask_b32_e64 v149, 0xffff8000, -1, s24
	v_lshrrev_b32_e32 v2, s48, v2
	s_delay_alu instid0(VALU_DEP_1) | instskip(NEXT) | instid1(VALU_DEP_1)
	v_and_b32_e32 v2, s55, v2
	v_lshlrev_b32_e32 v2, 2, v2
	ds_load_b32 v2, v2
	s_waitcnt lgkmcnt(0)
	v_add_nc_u32_e32 v2, v2, v54
	s_delay_alu instid0(VALU_DEP_1) | instskip(SKIP_1) | instid1(VALU_DEP_2)
	v_lshlrev_b64 v[36:37], 1, v[2:3]
	v_xor_b32_e32 v2, v149, v146
	v_add_co_u32 v36, s24, s38, v36
	s_delay_alu instid0(VALU_DEP_1) | instskip(SKIP_3) | instid1(VALU_DEP_1)
	v_add_co_ci_u32_e64 v37, s24, s39, v37, s24
	global_store_b16 v[36:37], v2, off
	s_or_b32 exec_lo, exec_lo, s25
	v_cmp_lt_u32_e64 s24, v55, v145
	s_and_saveexec_b32 s26, s24
	s_cbranch_execnz .LBB2086_193
.LBB2086_208:                           ;   in Loop: Header=BB2086_106 Depth=2
	s_or_b32 exec_lo, exec_lo, s26
	v_cmp_lt_u32_e64 s25, v56, v145
	s_delay_alu instid0(VALU_DEP_1)
	s_and_saveexec_b32 s27, s25
	s_cbranch_execz .LBB2086_194
.LBB2086_209:                           ;   in Loop: Header=BB2086_106 Depth=2
	ds_load_u16 v146, v79 offset:4608
	s_waitcnt lgkmcnt(0)
	v_cmp_ne_u16_e64 s26, 0x7fff, v146
	s_delay_alu instid0(VALU_DEP_1) | instskip(SKIP_1) | instid1(VALU_DEP_2)
	v_cndmask_b32_e64 v2, 0xffff8000, v146, s26
	v_cmp_lt_i16_e64 s26, -1, v146
	v_and_b32_e32 v2, 0xffff, v2
	s_delay_alu instid0(VALU_DEP_2) | instskip(NEXT) | instid1(VALU_DEP_2)
	v_cndmask_b32_e64 v149, 0xffff8000, -1, s26
	v_lshrrev_b32_e32 v2, s48, v2
	s_delay_alu instid0(VALU_DEP_1) | instskip(NEXT) | instid1(VALU_DEP_1)
	v_and_b32_e32 v2, s55, v2
	v_lshlrev_b32_e32 v2, 2, v2
	ds_load_b32 v2, v2
	s_waitcnt lgkmcnt(0)
	v_add_nc_u32_e32 v2, v2, v56
	s_delay_alu instid0(VALU_DEP_1) | instskip(SKIP_1) | instid1(VALU_DEP_2)
	v_lshlrev_b64 v[36:37], 1, v[2:3]
	v_xor_b32_e32 v2, v149, v146
	v_add_co_u32 v36, s26, s38, v36
	s_delay_alu instid0(VALU_DEP_1) | instskip(SKIP_3) | instid1(VALU_DEP_1)
	v_add_co_ci_u32_e64 v37, s26, s39, v37, s26
	global_store_b16 v[36:37], v2, off
	s_or_b32 exec_lo, exec_lo, s27
	v_cmp_lt_u32_e64 s26, v57, v145
	s_and_saveexec_b32 s28, s26
	s_cbranch_execnz .LBB2086_195
.LBB2086_210:                           ;   in Loop: Header=BB2086_106 Depth=2
	s_or_b32 exec_lo, exec_lo, s28
	v_cmp_lt_u32_e64 s27, v58, v145
	s_delay_alu instid0(VALU_DEP_1)
	s_and_saveexec_b32 s29, s27
	s_cbranch_execz .LBB2086_196
.LBB2086_211:                           ;   in Loop: Header=BB2086_106 Depth=2
	ds_load_u16 v146, v79 offset:5632
	s_waitcnt lgkmcnt(0)
	v_cmp_ne_u16_e64 s28, 0x7fff, v146
	s_delay_alu instid0(VALU_DEP_1) | instskip(SKIP_1) | instid1(VALU_DEP_2)
	v_cndmask_b32_e64 v2, 0xffff8000, v146, s28
	v_cmp_lt_i16_e64 s28, -1, v146
	v_and_b32_e32 v2, 0xffff, v2
	s_delay_alu instid0(VALU_DEP_2) | instskip(NEXT) | instid1(VALU_DEP_2)
	v_cndmask_b32_e64 v149, 0xffff8000, -1, s28
	v_lshrrev_b32_e32 v2, s48, v2
	s_delay_alu instid0(VALU_DEP_1) | instskip(NEXT) | instid1(VALU_DEP_1)
	v_and_b32_e32 v2, s55, v2
	v_lshlrev_b32_e32 v2, 2, v2
	ds_load_b32 v2, v2
	s_waitcnt lgkmcnt(0)
	v_add_nc_u32_e32 v2, v2, v58
	s_delay_alu instid0(VALU_DEP_1) | instskip(SKIP_1) | instid1(VALU_DEP_2)
	v_lshlrev_b64 v[36:37], 1, v[2:3]
	v_xor_b32_e32 v2, v149, v146
	v_add_co_u32 v36, s28, s38, v36
	s_delay_alu instid0(VALU_DEP_1) | instskip(SKIP_3) | instid1(VALU_DEP_1)
	v_add_co_ci_u32_e64 v37, s28, s39, v37, s28
	global_store_b16 v[36:37], v2, off
	s_or_b32 exec_lo, exec_lo, s29
	v_cmp_lt_u32_e64 s28, v59, v145
	s_and_saveexec_b32 s30, s28
	s_cbranch_execnz .LBB2086_197
.LBB2086_212:                           ;   in Loop: Header=BB2086_106 Depth=2
	s_or_b32 exec_lo, exec_lo, s30
	v_cmp_lt_u32_e64 s29, v60, v145
	s_delay_alu instid0(VALU_DEP_1)
	s_and_saveexec_b32 s31, s29
	s_cbranch_execz .LBB2086_198
.LBB2086_213:                           ;   in Loop: Header=BB2086_106 Depth=2
	ds_load_u16 v146, v79 offset:6656
	s_waitcnt lgkmcnt(0)
	v_cmp_ne_u16_e64 s30, 0x7fff, v146
	s_delay_alu instid0(VALU_DEP_1) | instskip(SKIP_1) | instid1(VALU_DEP_2)
	v_cndmask_b32_e64 v2, 0xffff8000, v146, s30
	v_cmp_lt_i16_e64 s30, -1, v146
	v_and_b32_e32 v2, 0xffff, v2
	s_delay_alu instid0(VALU_DEP_2) | instskip(NEXT) | instid1(VALU_DEP_2)
	v_cndmask_b32_e64 v149, 0xffff8000, -1, s30
	v_lshrrev_b32_e32 v2, s48, v2
	s_delay_alu instid0(VALU_DEP_1) | instskip(NEXT) | instid1(VALU_DEP_1)
	v_and_b32_e32 v2, s55, v2
	v_lshlrev_b32_e32 v2, 2, v2
	ds_load_b32 v2, v2
	s_waitcnt lgkmcnt(0)
	v_add_nc_u32_e32 v2, v2, v60
	s_delay_alu instid0(VALU_DEP_1) | instskip(SKIP_1) | instid1(VALU_DEP_2)
	v_lshlrev_b64 v[36:37], 1, v[2:3]
	v_xor_b32_e32 v2, v149, v146
	v_add_co_u32 v36, s30, s38, v36
	s_delay_alu instid0(VALU_DEP_1) | instskip(SKIP_3) | instid1(VALU_DEP_1)
	v_add_co_ci_u32_e64 v37, s30, s39, v37, s30
	global_store_b16 v[36:37], v2, off
	s_or_b32 exec_lo, exec_lo, s31
	v_cmp_lt_u32_e64 s30, v61, v145
	s_and_saveexec_b32 s33, s30
	s_cbranch_execnz .LBB2086_199
.LBB2086_214:                           ;   in Loop: Header=BB2086_106 Depth=2
	s_or_b32 exec_lo, exec_lo, s33
	v_cmp_lt_u32_e64 s31, v63, v145
	s_delay_alu instid0(VALU_DEP_1)
	s_and_saveexec_b32 s58, s31
	s_cbranch_execz .LBB2086_216
.LBB2086_215:                           ;   in Loop: Header=BB2086_106 Depth=2
	ds_load_u16 v146, v79 offset:7680
	s_waitcnt lgkmcnt(0)
	v_cmp_ne_u16_e64 s33, 0x7fff, v146
	s_delay_alu instid0(VALU_DEP_1) | instskip(SKIP_1) | instid1(VALU_DEP_2)
	v_cndmask_b32_e64 v2, 0xffff8000, v146, s33
	v_cmp_lt_i16_e64 s33, -1, v146
	v_and_b32_e32 v2, 0xffff, v2
	s_delay_alu instid0(VALU_DEP_2) | instskip(NEXT) | instid1(VALU_DEP_2)
	v_cndmask_b32_e64 v149, 0xffff8000, -1, s33
	v_lshrrev_b32_e32 v2, s48, v2
	s_delay_alu instid0(VALU_DEP_1) | instskip(NEXT) | instid1(VALU_DEP_1)
	v_and_b32_e32 v2, s55, v2
	v_lshlrev_b32_e32 v2, 2, v2
	ds_load_b32 v2, v2
	s_waitcnt lgkmcnt(0)
	v_add_nc_u32_e32 v2, v2, v63
	s_delay_alu instid0(VALU_DEP_1) | instskip(SKIP_1) | instid1(VALU_DEP_2)
	v_lshlrev_b64 v[36:37], 1, v[2:3]
	v_xor_b32_e32 v2, v149, v146
	v_add_co_u32 v36, s33, s38, v36
	s_delay_alu instid0(VALU_DEP_1)
	v_add_co_ci_u32_e64 v37, s33, s39, v37, s33
	global_store_b16 v[36:37], v2, off
.LBB2086_216:                           ;   in Loop: Header=BB2086_106 Depth=2
	s_or_b32 exec_lo, exec_lo, s58
	s_lshl_b64 s[58:59], s[34:35], 3
	s_delay_alu instid0(SALU_CYCLE_1) | instskip(NEXT) | instid1(VALU_DEP_1)
	v_add_co_u32 v36, s33, v107, s58
	v_add_co_ci_u32_e64 v37, s33, s59, v108, s33
	v_cmp_lt_u32_e64 s33, v106, v145
	s_delay_alu instid0(VALU_DEP_1) | instskip(NEXT) | instid1(SALU_CYCLE_1)
	s_and_saveexec_b32 s34, s33
	s_xor_b32 s33, exec_lo, s34
	s_cbranch_execz .LBB2086_248
; %bb.217:                              ;   in Loop: Header=BB2086_106 Depth=2
	global_load_b64 v[34:35], v[36:37], off
	s_or_b32 exec_lo, exec_lo, s33
	s_delay_alu instid0(SALU_CYCLE_1)
	s_mov_b32 s34, exec_lo
	v_cmpx_lt_u32_e64 v109, v145
	s_cbranch_execnz .LBB2086_249
.LBB2086_218:                           ;   in Loop: Header=BB2086_106 Depth=2
	s_or_b32 exec_lo, exec_lo, s34
	s_delay_alu instid0(SALU_CYCLE_1)
	s_mov_b32 s34, exec_lo
	v_cmpx_lt_u32_e64 v110, v145
	s_cbranch_execz .LBB2086_250
.LBB2086_219:                           ;   in Loop: Header=BB2086_106 Depth=2
	global_load_b64 v[30:31], v[36:37], off offset:512
	s_or_b32 exec_lo, exec_lo, s34
	s_delay_alu instid0(SALU_CYCLE_1)
	s_mov_b32 s34, exec_lo
	v_cmpx_lt_u32_e64 v111, v145
	s_cbranch_execnz .LBB2086_251
.LBB2086_220:                           ;   in Loop: Header=BB2086_106 Depth=2
	s_or_b32 exec_lo, exec_lo, s34
	s_delay_alu instid0(SALU_CYCLE_1)
	s_mov_b32 s34, exec_lo
	v_cmpx_lt_u32_e64 v112, v145
	s_cbranch_execz .LBB2086_252
.LBB2086_221:                           ;   in Loop: Header=BB2086_106 Depth=2
	global_load_b64 v[26:27], v[36:37], off offset:1024
	s_or_b32 exec_lo, exec_lo, s34
	s_delay_alu instid0(SALU_CYCLE_1)
	s_mov_b32 s34, exec_lo
	v_cmpx_lt_u32_e64 v113, v145
	s_cbranch_execnz .LBB2086_253
.LBB2086_222:                           ;   in Loop: Header=BB2086_106 Depth=2
	s_or_b32 exec_lo, exec_lo, s34
	s_delay_alu instid0(SALU_CYCLE_1)
	s_mov_b32 s34, exec_lo
	v_cmpx_lt_u32_e64 v114, v145
	s_cbranch_execz .LBB2086_254
.LBB2086_223:                           ;   in Loop: Header=BB2086_106 Depth=2
	global_load_b64 v[22:23], v[36:37], off offset:1536
	s_or_b32 exec_lo, exec_lo, s34
	s_delay_alu instid0(SALU_CYCLE_1)
	s_mov_b32 s34, exec_lo
	v_cmpx_lt_u32_e64 v115, v145
	s_cbranch_execnz .LBB2086_255
.LBB2086_224:                           ;   in Loop: Header=BB2086_106 Depth=2
	s_or_b32 exec_lo, exec_lo, s34
	s_delay_alu instid0(SALU_CYCLE_1)
	s_mov_b32 s34, exec_lo
	v_cmpx_lt_u32_e64 v116, v145
	s_cbranch_execz .LBB2086_256
.LBB2086_225:                           ;   in Loop: Header=BB2086_106 Depth=2
	global_load_b64 v[18:19], v[36:37], off offset:2048
	s_or_b32 exec_lo, exec_lo, s34
	s_delay_alu instid0(SALU_CYCLE_1)
	s_mov_b32 s34, exec_lo
	v_cmpx_lt_u32_e64 v117, v145
	s_cbranch_execnz .LBB2086_257
.LBB2086_226:                           ;   in Loop: Header=BB2086_106 Depth=2
	s_or_b32 exec_lo, exec_lo, s34
	s_delay_alu instid0(SALU_CYCLE_1)
	s_mov_b32 s34, exec_lo
	v_cmpx_lt_u32_e64 v118, v145
	s_cbranch_execz .LBB2086_258
.LBB2086_227:                           ;   in Loop: Header=BB2086_106 Depth=2
	global_load_b64 v[14:15], v[36:37], off offset:2560
	s_or_b32 exec_lo, exec_lo, s34
	s_delay_alu instid0(SALU_CYCLE_1)
	s_mov_b32 s34, exec_lo
	v_cmpx_lt_u32_e64 v119, v145
	s_cbranch_execnz .LBB2086_259
.LBB2086_228:                           ;   in Loop: Header=BB2086_106 Depth=2
	s_or_b32 exec_lo, exec_lo, s34
	s_delay_alu instid0(SALU_CYCLE_1)
	s_mov_b32 s34, exec_lo
	v_cmpx_lt_u32_e64 v120, v145
	s_cbranch_execz .LBB2086_260
.LBB2086_229:                           ;   in Loop: Header=BB2086_106 Depth=2
	global_load_b64 v[10:11], v[36:37], off offset:3072
	s_or_b32 exec_lo, exec_lo, s34
	s_delay_alu instid0(SALU_CYCLE_1)
	s_mov_b32 s34, exec_lo
	v_cmpx_lt_u32_e64 v121, v145
	s_cbranch_execnz .LBB2086_261
.LBB2086_230:                           ;   in Loop: Header=BB2086_106 Depth=2
	s_or_b32 exec_lo, exec_lo, s34
	s_delay_alu instid0(SALU_CYCLE_1)
	s_mov_b32 s34, exec_lo
	v_cmpx_lt_u32_e64 v122, v145
	s_cbranch_execz .LBB2086_262
.LBB2086_231:                           ;   in Loop: Header=BB2086_106 Depth=2
	global_load_b64 v[6:7], v[36:37], off offset:3584
	s_or_b32 exec_lo, exec_lo, s34
	s_delay_alu instid0(SALU_CYCLE_1)
	s_mov_b32 s34, exec_lo
	v_cmpx_lt_u32_e64 v123, v145
	s_cbranch_execnz .LBB2086_263
.LBB2086_232:                           ;   in Loop: Header=BB2086_106 Depth=2
	s_or_b32 exec_lo, exec_lo, s34
	s_and_saveexec_b32 s34, vcc_lo
	s_cbranch_execz .LBB2086_264
.LBB2086_233:                           ;   in Loop: Header=BB2086_106 Depth=2
	v_add_nc_u32_e32 v2, v72, v78
	ds_load_u16 v2, v2 offset:1024
	s_waitcnt lgkmcnt(0)
	v_cmp_ne_u16_e64 s33, 0x7fff, v2
	s_delay_alu instid0(VALU_DEP_1) | instskip(NEXT) | instid1(VALU_DEP_1)
	v_cndmask_b32_e64 v2, 0xffff8000, v2, s33
	v_and_b32_e32 v2, 0xffff, v2
	s_delay_alu instid0(VALU_DEP_1) | instskip(NEXT) | instid1(VALU_DEP_1)
	v_lshrrev_b32_e32 v2, s48, v2
	v_and_b32_e32 v144, s55, v2
	s_or_b32 exec_lo, exec_lo, s34
	s_and_saveexec_b32 s34, s17
	s_cbranch_execnz .LBB2086_265
.LBB2086_234:                           ;   in Loop: Header=BB2086_106 Depth=2
	s_or_b32 exec_lo, exec_lo, s34
	s_and_saveexec_b32 s34, s18
	s_cbranch_execz .LBB2086_266
.LBB2086_235:                           ;   in Loop: Header=BB2086_106 Depth=2
	ds_load_u16 v2, v79 offset:1024
	s_waitcnt lgkmcnt(0)
	v_cmp_ne_u16_e64 s33, 0x7fff, v2
	s_delay_alu instid0(VALU_DEP_1) | instskip(NEXT) | instid1(VALU_DEP_1)
	v_cndmask_b32_e64 v2, 0xffff8000, v2, s33
	v_and_b32_e32 v2, 0xffff, v2
	s_delay_alu instid0(VALU_DEP_1) | instskip(NEXT) | instid1(VALU_DEP_1)
	v_lshrrev_b32_e32 v2, s48, v2
	v_and_b32_e32 v142, s55, v2
	s_or_b32 exec_lo, exec_lo, s34
	s_and_saveexec_b32 s34, s19
	s_cbranch_execnz .LBB2086_267
.LBB2086_236:                           ;   in Loop: Header=BB2086_106 Depth=2
	s_or_b32 exec_lo, exec_lo, s34
	s_and_saveexec_b32 s34, s20
	s_cbranch_execz .LBB2086_268
.LBB2086_237:                           ;   in Loop: Header=BB2086_106 Depth=2
	ds_load_u16 v2, v79 offset:2048
	s_waitcnt lgkmcnt(0)
	v_cmp_ne_u16_e64 s33, 0x7fff, v2
	s_delay_alu instid0(VALU_DEP_1) | instskip(NEXT) | instid1(VALU_DEP_1)
	v_cndmask_b32_e64 v2, 0xffff8000, v2, s33
	v_and_b32_e32 v2, 0xffff, v2
	s_delay_alu instid0(VALU_DEP_1) | instskip(NEXT) | instid1(VALU_DEP_1)
	v_lshrrev_b32_e32 v2, s48, v2
	v_and_b32_e32 v140, s55, v2
	s_or_b32 exec_lo, exec_lo, s34
	s_and_saveexec_b32 s34, s21
	s_cbranch_execnz .LBB2086_269
.LBB2086_238:                           ;   in Loop: Header=BB2086_106 Depth=2
	s_or_b32 exec_lo, exec_lo, s34
	s_and_saveexec_b32 s34, s22
	s_cbranch_execz .LBB2086_270
.LBB2086_239:                           ;   in Loop: Header=BB2086_106 Depth=2
	ds_load_u16 v2, v79 offset:3072
	s_waitcnt lgkmcnt(0)
	v_cmp_ne_u16_e64 s33, 0x7fff, v2
	s_delay_alu instid0(VALU_DEP_1) | instskip(NEXT) | instid1(VALU_DEP_1)
	v_cndmask_b32_e64 v2, 0xffff8000, v2, s33
	v_and_b32_e32 v2, 0xffff, v2
	s_delay_alu instid0(VALU_DEP_1) | instskip(NEXT) | instid1(VALU_DEP_1)
	v_lshrrev_b32_e32 v2, s48, v2
	v_and_b32_e32 v138, s55, v2
	s_or_b32 exec_lo, exec_lo, s34
	s_and_saveexec_b32 s34, s23
	s_cbranch_execnz .LBB2086_271
.LBB2086_240:                           ;   in Loop: Header=BB2086_106 Depth=2
	s_or_b32 exec_lo, exec_lo, s34
	s_and_saveexec_b32 s34, s24
	s_cbranch_execz .LBB2086_272
.LBB2086_241:                           ;   in Loop: Header=BB2086_106 Depth=2
	ds_load_u16 v2, v79 offset:4096
	s_waitcnt lgkmcnt(0)
	v_cmp_ne_u16_e64 s33, 0x7fff, v2
	s_delay_alu instid0(VALU_DEP_1) | instskip(NEXT) | instid1(VALU_DEP_1)
	v_cndmask_b32_e64 v2, 0xffff8000, v2, s33
	v_and_b32_e32 v2, 0xffff, v2
	s_delay_alu instid0(VALU_DEP_1) | instskip(NEXT) | instid1(VALU_DEP_1)
	v_lshrrev_b32_e32 v2, s48, v2
	v_and_b32_e32 v136, s55, v2
	s_or_b32 exec_lo, exec_lo, s34
	s_and_saveexec_b32 s34, s25
	s_cbranch_execnz .LBB2086_273
.LBB2086_242:                           ;   in Loop: Header=BB2086_106 Depth=2
	s_or_b32 exec_lo, exec_lo, s34
	s_and_saveexec_b32 s34, s26
	s_cbranch_execz .LBB2086_274
.LBB2086_243:                           ;   in Loop: Header=BB2086_106 Depth=2
	ds_load_u16 v2, v79 offset:5120
	s_waitcnt lgkmcnt(0)
	v_cmp_ne_u16_e64 s33, 0x7fff, v2
	s_delay_alu instid0(VALU_DEP_1) | instskip(NEXT) | instid1(VALU_DEP_1)
	v_cndmask_b32_e64 v2, 0xffff8000, v2, s33
	v_and_b32_e32 v2, 0xffff, v2
	s_delay_alu instid0(VALU_DEP_1) | instskip(NEXT) | instid1(VALU_DEP_1)
	v_lshrrev_b32_e32 v2, s48, v2
	v_and_b32_e32 v134, s55, v2
	s_or_b32 exec_lo, exec_lo, s34
	s_and_saveexec_b32 s34, s27
	s_cbranch_execnz .LBB2086_275
.LBB2086_244:                           ;   in Loop: Header=BB2086_106 Depth=2
	s_or_b32 exec_lo, exec_lo, s34
	s_and_saveexec_b32 s34, s28
	s_cbranch_execz .LBB2086_276
.LBB2086_245:                           ;   in Loop: Header=BB2086_106 Depth=2
	ds_load_u16 v2, v79 offset:6144
	s_waitcnt lgkmcnt(0)
	v_cmp_ne_u16_e64 s33, 0x7fff, v2
	s_delay_alu instid0(VALU_DEP_1) | instskip(NEXT) | instid1(VALU_DEP_1)
	v_cndmask_b32_e64 v2, 0xffff8000, v2, s33
	v_and_b32_e32 v2, 0xffff, v2
	s_delay_alu instid0(VALU_DEP_1) | instskip(NEXT) | instid1(VALU_DEP_1)
	v_lshrrev_b32_e32 v2, s48, v2
	v_and_b32_e32 v132, s55, v2
	s_or_b32 exec_lo, exec_lo, s34
	s_and_saveexec_b32 s34, s29
	s_cbranch_execnz .LBB2086_277
.LBB2086_246:                           ;   in Loop: Header=BB2086_106 Depth=2
	s_or_b32 exec_lo, exec_lo, s34
	s_and_saveexec_b32 s34, s30
	s_cbranch_execz .LBB2086_278
.LBB2086_247:                           ;   in Loop: Header=BB2086_106 Depth=2
	ds_load_u16 v2, v79 offset:7168
	s_waitcnt lgkmcnt(0)
	v_cmp_ne_u16_e64 s33, 0x7fff, v2
	s_delay_alu instid0(VALU_DEP_1) | instskip(NEXT) | instid1(VALU_DEP_1)
	v_cndmask_b32_e64 v2, 0xffff8000, v2, s33
	v_and_b32_e32 v2, 0xffff, v2
	s_delay_alu instid0(VALU_DEP_1) | instskip(NEXT) | instid1(VALU_DEP_1)
	v_lshrrev_b32_e32 v2, s48, v2
	v_and_b32_e32 v130, s55, v2
	s_or_b32 exec_lo, exec_lo, s34
	s_and_saveexec_b32 s34, s31
	s_cbranch_execnz .LBB2086_279
	s_branch .LBB2086_280
.LBB2086_248:                           ;   in Loop: Header=BB2086_106 Depth=2
	s_or_b32 exec_lo, exec_lo, s33
	s_delay_alu instid0(SALU_CYCLE_1)
	s_mov_b32 s34, exec_lo
	v_cmpx_lt_u32_e64 v109, v145
	s_cbranch_execz .LBB2086_218
.LBB2086_249:                           ;   in Loop: Header=BB2086_106 Depth=2
	global_load_b64 v[32:33], v[36:37], off offset:256
	s_or_b32 exec_lo, exec_lo, s34
	s_delay_alu instid0(SALU_CYCLE_1)
	s_mov_b32 s34, exec_lo
	v_cmpx_lt_u32_e64 v110, v145
	s_cbranch_execnz .LBB2086_219
.LBB2086_250:                           ;   in Loop: Header=BB2086_106 Depth=2
	s_or_b32 exec_lo, exec_lo, s34
	s_delay_alu instid0(SALU_CYCLE_1)
	s_mov_b32 s34, exec_lo
	v_cmpx_lt_u32_e64 v111, v145
	s_cbranch_execz .LBB2086_220
.LBB2086_251:                           ;   in Loop: Header=BB2086_106 Depth=2
	global_load_b64 v[28:29], v[36:37], off offset:768
	s_or_b32 exec_lo, exec_lo, s34
	s_delay_alu instid0(SALU_CYCLE_1)
	s_mov_b32 s34, exec_lo
	v_cmpx_lt_u32_e64 v112, v145
	s_cbranch_execnz .LBB2086_221
.LBB2086_252:                           ;   in Loop: Header=BB2086_106 Depth=2
	s_or_b32 exec_lo, exec_lo, s34
	s_delay_alu instid0(SALU_CYCLE_1)
	s_mov_b32 s34, exec_lo
	v_cmpx_lt_u32_e64 v113, v145
	s_cbranch_execz .LBB2086_222
.LBB2086_253:                           ;   in Loop: Header=BB2086_106 Depth=2
	global_load_b64 v[24:25], v[36:37], off offset:1280
	s_or_b32 exec_lo, exec_lo, s34
	s_delay_alu instid0(SALU_CYCLE_1)
	s_mov_b32 s34, exec_lo
	v_cmpx_lt_u32_e64 v114, v145
	s_cbranch_execnz .LBB2086_223
.LBB2086_254:                           ;   in Loop: Header=BB2086_106 Depth=2
	s_or_b32 exec_lo, exec_lo, s34
	s_delay_alu instid0(SALU_CYCLE_1)
	s_mov_b32 s34, exec_lo
	v_cmpx_lt_u32_e64 v115, v145
	s_cbranch_execz .LBB2086_224
.LBB2086_255:                           ;   in Loop: Header=BB2086_106 Depth=2
	global_load_b64 v[20:21], v[36:37], off offset:1792
	s_or_b32 exec_lo, exec_lo, s34
	s_delay_alu instid0(SALU_CYCLE_1)
	s_mov_b32 s34, exec_lo
	v_cmpx_lt_u32_e64 v116, v145
	s_cbranch_execnz .LBB2086_225
.LBB2086_256:                           ;   in Loop: Header=BB2086_106 Depth=2
	s_or_b32 exec_lo, exec_lo, s34
	s_delay_alu instid0(SALU_CYCLE_1)
	s_mov_b32 s34, exec_lo
	v_cmpx_lt_u32_e64 v117, v145
	s_cbranch_execz .LBB2086_226
.LBB2086_257:                           ;   in Loop: Header=BB2086_106 Depth=2
	global_load_b64 v[16:17], v[36:37], off offset:2304
	s_or_b32 exec_lo, exec_lo, s34
	s_delay_alu instid0(SALU_CYCLE_1)
	s_mov_b32 s34, exec_lo
	v_cmpx_lt_u32_e64 v118, v145
	s_cbranch_execnz .LBB2086_227
.LBB2086_258:                           ;   in Loop: Header=BB2086_106 Depth=2
	s_or_b32 exec_lo, exec_lo, s34
	s_delay_alu instid0(SALU_CYCLE_1)
	s_mov_b32 s34, exec_lo
	v_cmpx_lt_u32_e64 v119, v145
	s_cbranch_execz .LBB2086_228
.LBB2086_259:                           ;   in Loop: Header=BB2086_106 Depth=2
	global_load_b64 v[12:13], v[36:37], off offset:2816
	s_or_b32 exec_lo, exec_lo, s34
	s_delay_alu instid0(SALU_CYCLE_1)
	s_mov_b32 s34, exec_lo
	v_cmpx_lt_u32_e64 v120, v145
	s_cbranch_execnz .LBB2086_229
.LBB2086_260:                           ;   in Loop: Header=BB2086_106 Depth=2
	s_or_b32 exec_lo, exec_lo, s34
	s_delay_alu instid0(SALU_CYCLE_1)
	s_mov_b32 s34, exec_lo
	v_cmpx_lt_u32_e64 v121, v145
	s_cbranch_execz .LBB2086_230
.LBB2086_261:                           ;   in Loop: Header=BB2086_106 Depth=2
	global_load_b64 v[8:9], v[36:37], off offset:3328
	s_or_b32 exec_lo, exec_lo, s34
	s_delay_alu instid0(SALU_CYCLE_1)
	s_mov_b32 s34, exec_lo
	v_cmpx_lt_u32_e64 v122, v145
	s_cbranch_execnz .LBB2086_231
.LBB2086_262:                           ;   in Loop: Header=BB2086_106 Depth=2
	s_or_b32 exec_lo, exec_lo, s34
	s_delay_alu instid0(SALU_CYCLE_1)
	s_mov_b32 s34, exec_lo
	v_cmpx_lt_u32_e64 v123, v145
	s_cbranch_execz .LBB2086_232
.LBB2086_263:                           ;   in Loop: Header=BB2086_106 Depth=2
	global_load_b64 v[4:5], v[36:37], off offset:3840
	s_or_b32 exec_lo, exec_lo, s34
	s_and_saveexec_b32 s34, vcc_lo
	s_cbranch_execnz .LBB2086_233
.LBB2086_264:                           ;   in Loop: Header=BB2086_106 Depth=2
	s_or_b32 exec_lo, exec_lo, s34
	s_and_saveexec_b32 s34, s17
	s_cbranch_execz .LBB2086_234
.LBB2086_265:                           ;   in Loop: Header=BB2086_106 Depth=2
	ds_load_u16 v2, v79 offset:512
	s_waitcnt lgkmcnt(0)
	v_cmp_ne_u16_e64 s33, 0x7fff, v2
	s_delay_alu instid0(VALU_DEP_1) | instskip(NEXT) | instid1(VALU_DEP_1)
	v_cndmask_b32_e64 v2, 0xffff8000, v2, s33
	v_and_b32_e32 v2, 0xffff, v2
	s_delay_alu instid0(VALU_DEP_1) | instskip(NEXT) | instid1(VALU_DEP_1)
	v_lshrrev_b32_e32 v2, s48, v2
	v_and_b32_e32 v143, s55, v2
	s_or_b32 exec_lo, exec_lo, s34
	s_and_saveexec_b32 s34, s18
	s_cbranch_execnz .LBB2086_235
.LBB2086_266:                           ;   in Loop: Header=BB2086_106 Depth=2
	s_or_b32 exec_lo, exec_lo, s34
	s_and_saveexec_b32 s34, s19
	s_cbranch_execz .LBB2086_236
.LBB2086_267:                           ;   in Loop: Header=BB2086_106 Depth=2
	ds_load_u16 v2, v79 offset:1536
	s_waitcnt lgkmcnt(0)
	v_cmp_ne_u16_e64 s33, 0x7fff, v2
	s_delay_alu instid0(VALU_DEP_1) | instskip(NEXT) | instid1(VALU_DEP_1)
	v_cndmask_b32_e64 v2, 0xffff8000, v2, s33
	v_and_b32_e32 v2, 0xffff, v2
	s_delay_alu instid0(VALU_DEP_1) | instskip(NEXT) | instid1(VALU_DEP_1)
	v_lshrrev_b32_e32 v2, s48, v2
	v_and_b32_e32 v141, s55, v2
	s_or_b32 exec_lo, exec_lo, s34
	s_and_saveexec_b32 s34, s20
	s_cbranch_execnz .LBB2086_237
.LBB2086_268:                           ;   in Loop: Header=BB2086_106 Depth=2
	s_or_b32 exec_lo, exec_lo, s34
	s_and_saveexec_b32 s34, s21
	s_cbranch_execz .LBB2086_238
.LBB2086_269:                           ;   in Loop: Header=BB2086_106 Depth=2
	ds_load_u16 v2, v79 offset:2560
	s_waitcnt lgkmcnt(0)
	v_cmp_ne_u16_e64 s33, 0x7fff, v2
	s_delay_alu instid0(VALU_DEP_1) | instskip(NEXT) | instid1(VALU_DEP_1)
	v_cndmask_b32_e64 v2, 0xffff8000, v2, s33
	v_and_b32_e32 v2, 0xffff, v2
	s_delay_alu instid0(VALU_DEP_1) | instskip(NEXT) | instid1(VALU_DEP_1)
	v_lshrrev_b32_e32 v2, s48, v2
	v_and_b32_e32 v139, s55, v2
	s_or_b32 exec_lo, exec_lo, s34
	s_and_saveexec_b32 s34, s22
	s_cbranch_execnz .LBB2086_239
.LBB2086_270:                           ;   in Loop: Header=BB2086_106 Depth=2
	s_or_b32 exec_lo, exec_lo, s34
	s_and_saveexec_b32 s34, s23
	s_cbranch_execz .LBB2086_240
.LBB2086_271:                           ;   in Loop: Header=BB2086_106 Depth=2
	ds_load_u16 v2, v79 offset:3584
	s_waitcnt lgkmcnt(0)
	v_cmp_ne_u16_e64 s33, 0x7fff, v2
	s_delay_alu instid0(VALU_DEP_1) | instskip(NEXT) | instid1(VALU_DEP_1)
	v_cndmask_b32_e64 v2, 0xffff8000, v2, s33
	v_and_b32_e32 v2, 0xffff, v2
	s_delay_alu instid0(VALU_DEP_1) | instskip(NEXT) | instid1(VALU_DEP_1)
	v_lshrrev_b32_e32 v2, s48, v2
	v_and_b32_e32 v137, s55, v2
	s_or_b32 exec_lo, exec_lo, s34
	s_and_saveexec_b32 s34, s24
	s_cbranch_execnz .LBB2086_241
.LBB2086_272:                           ;   in Loop: Header=BB2086_106 Depth=2
	s_or_b32 exec_lo, exec_lo, s34
	s_and_saveexec_b32 s34, s25
	s_cbranch_execz .LBB2086_242
.LBB2086_273:                           ;   in Loop: Header=BB2086_106 Depth=2
	ds_load_u16 v2, v79 offset:4608
	s_waitcnt lgkmcnt(0)
	v_cmp_ne_u16_e64 s33, 0x7fff, v2
	s_delay_alu instid0(VALU_DEP_1) | instskip(NEXT) | instid1(VALU_DEP_1)
	v_cndmask_b32_e64 v2, 0xffff8000, v2, s33
	v_and_b32_e32 v2, 0xffff, v2
	s_delay_alu instid0(VALU_DEP_1) | instskip(NEXT) | instid1(VALU_DEP_1)
	v_lshrrev_b32_e32 v2, s48, v2
	v_and_b32_e32 v135, s55, v2
	s_or_b32 exec_lo, exec_lo, s34
	s_and_saveexec_b32 s34, s26
	s_cbranch_execnz .LBB2086_243
.LBB2086_274:                           ;   in Loop: Header=BB2086_106 Depth=2
	s_or_b32 exec_lo, exec_lo, s34
	s_and_saveexec_b32 s34, s27
	s_cbranch_execz .LBB2086_244
.LBB2086_275:                           ;   in Loop: Header=BB2086_106 Depth=2
	ds_load_u16 v2, v79 offset:5632
	s_waitcnt lgkmcnt(0)
	v_cmp_ne_u16_e64 s33, 0x7fff, v2
	s_delay_alu instid0(VALU_DEP_1) | instskip(NEXT) | instid1(VALU_DEP_1)
	v_cndmask_b32_e64 v2, 0xffff8000, v2, s33
	v_and_b32_e32 v2, 0xffff, v2
	s_delay_alu instid0(VALU_DEP_1) | instskip(NEXT) | instid1(VALU_DEP_1)
	v_lshrrev_b32_e32 v2, s48, v2
	v_and_b32_e32 v133, s55, v2
	s_or_b32 exec_lo, exec_lo, s34
	s_and_saveexec_b32 s34, s28
	s_cbranch_execnz .LBB2086_245
.LBB2086_276:                           ;   in Loop: Header=BB2086_106 Depth=2
	s_or_b32 exec_lo, exec_lo, s34
	s_and_saveexec_b32 s34, s29
	s_cbranch_execz .LBB2086_246
.LBB2086_277:                           ;   in Loop: Header=BB2086_106 Depth=2
	ds_load_u16 v2, v79 offset:6656
	s_waitcnt lgkmcnt(0)
	v_cmp_ne_u16_e64 s33, 0x7fff, v2
	s_delay_alu instid0(VALU_DEP_1) | instskip(NEXT) | instid1(VALU_DEP_1)
	v_cndmask_b32_e64 v2, 0xffff8000, v2, s33
	v_and_b32_e32 v2, 0xffff, v2
	s_delay_alu instid0(VALU_DEP_1) | instskip(NEXT) | instid1(VALU_DEP_1)
	v_lshrrev_b32_e32 v2, s48, v2
	v_and_b32_e32 v131, s55, v2
	s_or_b32 exec_lo, exec_lo, s34
	s_and_saveexec_b32 s34, s30
	s_cbranch_execnz .LBB2086_247
.LBB2086_278:                           ;   in Loop: Header=BB2086_106 Depth=2
	s_or_b32 exec_lo, exec_lo, s34
	s_and_saveexec_b32 s34, s31
	s_cbranch_execz .LBB2086_280
.LBB2086_279:                           ;   in Loop: Header=BB2086_106 Depth=2
	ds_load_u16 v2, v79 offset:7680
	s_waitcnt lgkmcnt(0)
	v_cmp_ne_u16_e64 s33, 0x7fff, v2
	s_delay_alu instid0(VALU_DEP_1) | instskip(NEXT) | instid1(VALU_DEP_1)
	v_cndmask_b32_e64 v2, 0xffff8000, v2, s33
	v_and_b32_e32 v2, 0xffff, v2
	s_delay_alu instid0(VALU_DEP_1) | instskip(NEXT) | instid1(VALU_DEP_1)
	v_lshrrev_b32_e32 v2, s48, v2
	v_and_b32_e32 v129, s55, v2
.LBB2086_280:                           ;   in Loop: Header=BB2086_106 Depth=2
	s_or_b32 exec_lo, exec_lo, s34
	v_lshlrev_b32_e32 v2, 3, v168
	v_lshlrev_b32_e32 v36, 3, v164
	s_waitcnt vmcnt(0)
	s_waitcnt_vscnt null, 0x0
	s_barrier
	buffer_gl0_inv
	ds_store_b64 v2, v[34:35] offset:1024
	v_lshlrev_b32_e32 v2, 3, v160
	v_lshlrev_b32_e32 v37, 3, v156
	;; [unrolled: 1-line block ×4, first 2 shown]
	ds_store_b64 v36, v[32:33] offset:1024
	ds_store_b64 v2, v[30:31] offset:1024
	;; [unrolled: 1-line block ×5, first 2 shown]
	v_lshlrev_b32_e32 v2, 3, v152
	v_lshlrev_b32_e32 v36, 3, v151
	;; [unrolled: 1-line block ×5, first 2 shown]
	ds_store_b64 v2, v[22:23] offset:1024
	ds_store_b64 v36, v[20:21] offset:1024
	;; [unrolled: 1-line block ×5, first 2 shown]
	v_lshlrev_b32_e32 v2, 3, v40
	v_lshlrev_b32_e32 v36, 3, v39
	;; [unrolled: 1-line block ×5, first 2 shown]
	ds_store_b64 v2, v[12:13] offset:1024
	ds_store_b64 v36, v[10:11] offset:1024
	;; [unrolled: 1-line block ×5, first 2 shown]
	s_waitcnt lgkmcnt(0)
	s_barrier
	buffer_gl0_inv
	s_and_saveexec_b32 s33, vcc_lo
	s_cbranch_execz .LBB2086_296
; %bb.281:                              ;   in Loop: Header=BB2086_106 Depth=2
	v_lshlrev_b32_e32 v2, 2, v144
	ds_load_b32 v2, v2
	ds_load_b64 v[36:37], v80 offset:1024
	s_waitcnt lgkmcnt(1)
	v_add_nc_u32_e32 v2, v2, v1
	s_delay_alu instid0(VALU_DEP_1) | instskip(NEXT) | instid1(VALU_DEP_1)
	v_lshlrev_b64 v[39:40], 3, v[2:3]
	v_add_co_u32 v39, vcc_lo, s44, v39
	s_delay_alu instid0(VALU_DEP_2)
	v_add_co_ci_u32_e32 v40, vcc_lo, s45, v40, vcc_lo
	s_waitcnt lgkmcnt(0)
	global_store_b64 v[39:40], v[36:37], off
	s_or_b32 exec_lo, exec_lo, s33
	s_and_saveexec_b32 s33, s17
	s_cbranch_execnz .LBB2086_297
.LBB2086_282:                           ;   in Loop: Header=BB2086_106 Depth=2
	s_or_b32 exec_lo, exec_lo, s33
	s_and_saveexec_b32 s17, s18
	s_cbranch_execz .LBB2086_298
.LBB2086_283:                           ;   in Loop: Header=BB2086_106 Depth=2
	v_lshlrev_b32_e32 v2, 2, v142
	v_add_nc_u32_e32 v36, v79, v81
	ds_load_b32 v2, v2
	ds_load_b64 v[36:37], v36 offset:4096
	s_waitcnt lgkmcnt(1)
	v_add_nc_u32_e32 v2, v2, v46
	s_delay_alu instid0(VALU_DEP_1) | instskip(NEXT) | instid1(VALU_DEP_1)
	v_lshlrev_b64 v[39:40], 3, v[2:3]
	v_add_co_u32 v39, vcc_lo, s44, v39
	s_delay_alu instid0(VALU_DEP_2)
	v_add_co_ci_u32_e32 v40, vcc_lo, s45, v40, vcc_lo
	s_waitcnt lgkmcnt(0)
	global_store_b64 v[39:40], v[36:37], off
	s_or_b32 exec_lo, exec_lo, s17
	s_and_saveexec_b32 s17, s19
	s_cbranch_execnz .LBB2086_299
.LBB2086_284:                           ;   in Loop: Header=BB2086_106 Depth=2
	s_or_b32 exec_lo, exec_lo, s17
	s_and_saveexec_b32 s17, s20
	s_cbranch_execz .LBB2086_300
.LBB2086_285:                           ;   in Loop: Header=BB2086_106 Depth=2
	v_lshlrev_b32_e32 v2, 2, v140
	v_add_nc_u32_e32 v36, v79, v81
	ds_load_b32 v2, v2
	ds_load_b64 v[36:37], v36 offset:8192
	s_waitcnt lgkmcnt(1)
	v_add_nc_u32_e32 v2, v2, v51
	s_delay_alu instid0(VALU_DEP_1) | instskip(NEXT) | instid1(VALU_DEP_1)
	v_lshlrev_b64 v[39:40], 3, v[2:3]
	v_add_co_u32 v39, vcc_lo, s44, v39
	s_delay_alu instid0(VALU_DEP_2)
	v_add_co_ci_u32_e32 v40, vcc_lo, s45, v40, vcc_lo
	s_waitcnt lgkmcnt(0)
	global_store_b64 v[39:40], v[36:37], off
	s_or_b32 exec_lo, exec_lo, s17
	s_and_saveexec_b32 s17, s21
	s_cbranch_execnz .LBB2086_301
.LBB2086_286:                           ;   in Loop: Header=BB2086_106 Depth=2
	s_or_b32 exec_lo, exec_lo, s17
	s_and_saveexec_b32 s17, s22
	s_cbranch_execz .LBB2086_302
.LBB2086_287:                           ;   in Loop: Header=BB2086_106 Depth=2
	v_lshlrev_b32_e32 v2, 2, v138
	v_add_nc_u32_e32 v36, v79, v81
	ds_load_b32 v2, v2
	ds_load_b64 v[36:37], v36 offset:12288
	s_waitcnt lgkmcnt(1)
	v_add_nc_u32_e32 v2, v2, v53
	s_delay_alu instid0(VALU_DEP_1) | instskip(NEXT) | instid1(VALU_DEP_1)
	v_lshlrev_b64 v[39:40], 3, v[2:3]
	v_add_co_u32 v39, vcc_lo, s44, v39
	s_delay_alu instid0(VALU_DEP_2)
	v_add_co_ci_u32_e32 v40, vcc_lo, s45, v40, vcc_lo
	s_waitcnt lgkmcnt(0)
	global_store_b64 v[39:40], v[36:37], off
	s_or_b32 exec_lo, exec_lo, s17
	s_and_saveexec_b32 s17, s23
	s_cbranch_execnz .LBB2086_303
.LBB2086_288:                           ;   in Loop: Header=BB2086_106 Depth=2
	s_or_b32 exec_lo, exec_lo, s17
	s_and_saveexec_b32 s17, s24
	s_cbranch_execz .LBB2086_304
.LBB2086_289:                           ;   in Loop: Header=BB2086_106 Depth=2
	v_lshlrev_b32_e32 v2, 2, v136
	v_add_nc_u32_e32 v36, v79, v81
	ds_load_b32 v2, v2
	ds_load_b64 v[36:37], v36 offset:16384
	s_waitcnt lgkmcnt(1)
	v_add_nc_u32_e32 v2, v2, v55
	s_delay_alu instid0(VALU_DEP_1) | instskip(NEXT) | instid1(VALU_DEP_1)
	v_lshlrev_b64 v[39:40], 3, v[2:3]
	v_add_co_u32 v39, vcc_lo, s44, v39
	s_delay_alu instid0(VALU_DEP_2)
	v_add_co_ci_u32_e32 v40, vcc_lo, s45, v40, vcc_lo
	s_waitcnt lgkmcnt(0)
	global_store_b64 v[39:40], v[36:37], off
	s_or_b32 exec_lo, exec_lo, s17
	s_and_saveexec_b32 s17, s25
	s_cbranch_execnz .LBB2086_305
.LBB2086_290:                           ;   in Loop: Header=BB2086_106 Depth=2
	s_or_b32 exec_lo, exec_lo, s17
	s_and_saveexec_b32 s17, s26
	s_cbranch_execz .LBB2086_306
.LBB2086_291:                           ;   in Loop: Header=BB2086_106 Depth=2
	v_lshlrev_b32_e32 v2, 2, v134
	v_add_nc_u32_e32 v36, v79, v81
	ds_load_b32 v2, v2
	ds_load_b64 v[36:37], v36 offset:20480
	s_waitcnt lgkmcnt(1)
	v_add_nc_u32_e32 v2, v2, v57
	s_delay_alu instid0(VALU_DEP_1) | instskip(NEXT) | instid1(VALU_DEP_1)
	v_lshlrev_b64 v[39:40], 3, v[2:3]
	v_add_co_u32 v39, vcc_lo, s44, v39
	s_delay_alu instid0(VALU_DEP_2)
	v_add_co_ci_u32_e32 v40, vcc_lo, s45, v40, vcc_lo
	s_waitcnt lgkmcnt(0)
	global_store_b64 v[39:40], v[36:37], off
	s_or_b32 exec_lo, exec_lo, s17
	s_and_saveexec_b32 s17, s27
	s_cbranch_execnz .LBB2086_307
.LBB2086_292:                           ;   in Loop: Header=BB2086_106 Depth=2
	s_or_b32 exec_lo, exec_lo, s17
	s_and_saveexec_b32 s17, s28
	s_cbranch_execz .LBB2086_308
.LBB2086_293:                           ;   in Loop: Header=BB2086_106 Depth=2
	v_lshlrev_b32_e32 v2, 2, v132
	v_add_nc_u32_e32 v36, v79, v81
	ds_load_b32 v2, v2
	ds_load_b64 v[36:37], v36 offset:24576
	s_waitcnt lgkmcnt(1)
	v_add_nc_u32_e32 v2, v2, v59
	s_delay_alu instid0(VALU_DEP_1) | instskip(NEXT) | instid1(VALU_DEP_1)
	v_lshlrev_b64 v[39:40], 3, v[2:3]
	v_add_co_u32 v39, vcc_lo, s44, v39
	s_delay_alu instid0(VALU_DEP_2)
	v_add_co_ci_u32_e32 v40, vcc_lo, s45, v40, vcc_lo
	s_waitcnt lgkmcnt(0)
	global_store_b64 v[39:40], v[36:37], off
	s_or_b32 exec_lo, exec_lo, s17
	s_and_saveexec_b32 s17, s29
	s_cbranch_execnz .LBB2086_309
.LBB2086_294:                           ;   in Loop: Header=BB2086_106 Depth=2
	s_or_b32 exec_lo, exec_lo, s17
	s_and_saveexec_b32 s17, s30
	s_cbranch_execz .LBB2086_310
.LBB2086_295:                           ;   in Loop: Header=BB2086_106 Depth=2
	v_lshlrev_b32_e32 v2, 2, v130
	v_add_nc_u32_e32 v36, v79, v81
	ds_load_b32 v2, v2
	ds_load_b64 v[36:37], v36 offset:28672
	s_waitcnt lgkmcnt(1)
	v_add_nc_u32_e32 v2, v2, v61
	s_delay_alu instid0(VALU_DEP_1) | instskip(NEXT) | instid1(VALU_DEP_1)
	v_lshlrev_b64 v[39:40], 3, v[2:3]
	v_add_co_u32 v39, vcc_lo, s44, v39
	s_delay_alu instid0(VALU_DEP_2)
	v_add_co_ci_u32_e32 v40, vcc_lo, s45, v40, vcc_lo
	s_waitcnt lgkmcnt(0)
	global_store_b64 v[39:40], v[36:37], off
	s_or_b32 exec_lo, exec_lo, s17
	s_and_saveexec_b32 s17, s31
	s_cbranch_execnz .LBB2086_311
	s_branch .LBB2086_312
.LBB2086_296:                           ;   in Loop: Header=BB2086_106 Depth=2
	s_or_b32 exec_lo, exec_lo, s33
	s_and_saveexec_b32 s33, s17
	s_cbranch_execz .LBB2086_282
.LBB2086_297:                           ;   in Loop: Header=BB2086_106 Depth=2
	v_lshlrev_b32_e32 v2, 2, v143
	v_add_nc_u32_e32 v36, v79, v81
	ds_load_b32 v2, v2
	ds_load_b64 v[36:37], v36 offset:2048
	s_waitcnt lgkmcnt(1)
	v_add_nc_u32_e32 v2, v2, v45
	s_delay_alu instid0(VALU_DEP_1) | instskip(NEXT) | instid1(VALU_DEP_1)
	v_lshlrev_b64 v[39:40], 3, v[2:3]
	v_add_co_u32 v39, vcc_lo, s44, v39
	s_delay_alu instid0(VALU_DEP_2)
	v_add_co_ci_u32_e32 v40, vcc_lo, s45, v40, vcc_lo
	s_waitcnt lgkmcnt(0)
	global_store_b64 v[39:40], v[36:37], off
	s_or_b32 exec_lo, exec_lo, s33
	s_and_saveexec_b32 s17, s18
	s_cbranch_execnz .LBB2086_283
.LBB2086_298:                           ;   in Loop: Header=BB2086_106 Depth=2
	s_or_b32 exec_lo, exec_lo, s17
	s_and_saveexec_b32 s17, s19
	s_cbranch_execz .LBB2086_284
.LBB2086_299:                           ;   in Loop: Header=BB2086_106 Depth=2
	v_lshlrev_b32_e32 v2, 2, v141
	v_add_nc_u32_e32 v36, v79, v81
	ds_load_b32 v2, v2
	ds_load_b64 v[36:37], v36 offset:6144
	s_waitcnt lgkmcnt(1)
	v_add_nc_u32_e32 v2, v2, v47
	s_delay_alu instid0(VALU_DEP_1) | instskip(NEXT) | instid1(VALU_DEP_1)
	v_lshlrev_b64 v[39:40], 3, v[2:3]
	v_add_co_u32 v39, vcc_lo, s44, v39
	s_delay_alu instid0(VALU_DEP_2)
	v_add_co_ci_u32_e32 v40, vcc_lo, s45, v40, vcc_lo
	s_waitcnt lgkmcnt(0)
	global_store_b64 v[39:40], v[36:37], off
	s_or_b32 exec_lo, exec_lo, s17
	s_and_saveexec_b32 s17, s20
	s_cbranch_execnz .LBB2086_285
.LBB2086_300:                           ;   in Loop: Header=BB2086_106 Depth=2
	s_or_b32 exec_lo, exec_lo, s17
	s_and_saveexec_b32 s17, s21
	s_cbranch_execz .LBB2086_286
.LBB2086_301:                           ;   in Loop: Header=BB2086_106 Depth=2
	v_lshlrev_b32_e32 v2, 2, v139
	v_add_nc_u32_e32 v36, v79, v81
	ds_load_b32 v2, v2
	ds_load_b64 v[36:37], v36 offset:10240
	s_waitcnt lgkmcnt(1)
	v_add_nc_u32_e32 v2, v2, v52
	s_delay_alu instid0(VALU_DEP_1) | instskip(NEXT) | instid1(VALU_DEP_1)
	v_lshlrev_b64 v[39:40], 3, v[2:3]
	v_add_co_u32 v39, vcc_lo, s44, v39
	s_delay_alu instid0(VALU_DEP_2)
	v_add_co_ci_u32_e32 v40, vcc_lo, s45, v40, vcc_lo
	s_waitcnt lgkmcnt(0)
	global_store_b64 v[39:40], v[36:37], off
	s_or_b32 exec_lo, exec_lo, s17
	s_and_saveexec_b32 s17, s22
	s_cbranch_execnz .LBB2086_287
.LBB2086_302:                           ;   in Loop: Header=BB2086_106 Depth=2
	s_or_b32 exec_lo, exec_lo, s17
	s_and_saveexec_b32 s17, s23
	s_cbranch_execz .LBB2086_288
.LBB2086_303:                           ;   in Loop: Header=BB2086_106 Depth=2
	v_lshlrev_b32_e32 v2, 2, v137
	v_add_nc_u32_e32 v36, v79, v81
	ds_load_b32 v2, v2
	ds_load_b64 v[36:37], v36 offset:14336
	s_waitcnt lgkmcnt(1)
	v_add_nc_u32_e32 v2, v2, v54
	s_delay_alu instid0(VALU_DEP_1) | instskip(NEXT) | instid1(VALU_DEP_1)
	v_lshlrev_b64 v[39:40], 3, v[2:3]
	v_add_co_u32 v39, vcc_lo, s44, v39
	s_delay_alu instid0(VALU_DEP_2)
	v_add_co_ci_u32_e32 v40, vcc_lo, s45, v40, vcc_lo
	s_waitcnt lgkmcnt(0)
	global_store_b64 v[39:40], v[36:37], off
	s_or_b32 exec_lo, exec_lo, s17
	s_and_saveexec_b32 s17, s24
	s_cbranch_execnz .LBB2086_289
.LBB2086_304:                           ;   in Loop: Header=BB2086_106 Depth=2
	s_or_b32 exec_lo, exec_lo, s17
	s_and_saveexec_b32 s17, s25
	s_cbranch_execz .LBB2086_290
.LBB2086_305:                           ;   in Loop: Header=BB2086_106 Depth=2
	v_lshlrev_b32_e32 v2, 2, v135
	v_add_nc_u32_e32 v36, v79, v81
	ds_load_b32 v2, v2
	ds_load_b64 v[36:37], v36 offset:18432
	s_waitcnt lgkmcnt(1)
	v_add_nc_u32_e32 v2, v2, v56
	s_delay_alu instid0(VALU_DEP_1) | instskip(NEXT) | instid1(VALU_DEP_1)
	v_lshlrev_b64 v[39:40], 3, v[2:3]
	v_add_co_u32 v39, vcc_lo, s44, v39
	s_delay_alu instid0(VALU_DEP_2)
	v_add_co_ci_u32_e32 v40, vcc_lo, s45, v40, vcc_lo
	s_waitcnt lgkmcnt(0)
	global_store_b64 v[39:40], v[36:37], off
	s_or_b32 exec_lo, exec_lo, s17
	s_and_saveexec_b32 s17, s26
	s_cbranch_execnz .LBB2086_291
.LBB2086_306:                           ;   in Loop: Header=BB2086_106 Depth=2
	s_or_b32 exec_lo, exec_lo, s17
	s_and_saveexec_b32 s17, s27
	s_cbranch_execz .LBB2086_292
.LBB2086_307:                           ;   in Loop: Header=BB2086_106 Depth=2
	v_lshlrev_b32_e32 v2, 2, v133
	v_add_nc_u32_e32 v36, v79, v81
	ds_load_b32 v2, v2
	ds_load_b64 v[36:37], v36 offset:22528
	s_waitcnt lgkmcnt(1)
	v_add_nc_u32_e32 v2, v2, v58
	s_delay_alu instid0(VALU_DEP_1) | instskip(NEXT) | instid1(VALU_DEP_1)
	v_lshlrev_b64 v[39:40], 3, v[2:3]
	v_add_co_u32 v39, vcc_lo, s44, v39
	s_delay_alu instid0(VALU_DEP_2)
	v_add_co_ci_u32_e32 v40, vcc_lo, s45, v40, vcc_lo
	s_waitcnt lgkmcnt(0)
	global_store_b64 v[39:40], v[36:37], off
	s_or_b32 exec_lo, exec_lo, s17
	s_and_saveexec_b32 s17, s28
	s_cbranch_execnz .LBB2086_293
.LBB2086_308:                           ;   in Loop: Header=BB2086_106 Depth=2
	s_or_b32 exec_lo, exec_lo, s17
	s_and_saveexec_b32 s17, s29
	s_cbranch_execz .LBB2086_294
.LBB2086_309:                           ;   in Loop: Header=BB2086_106 Depth=2
	v_lshlrev_b32_e32 v2, 2, v131
	v_add_nc_u32_e32 v36, v79, v81
	ds_load_b32 v2, v2
	ds_load_b64 v[36:37], v36 offset:26624
	s_waitcnt lgkmcnt(1)
	v_add_nc_u32_e32 v2, v2, v60
	s_delay_alu instid0(VALU_DEP_1) | instskip(NEXT) | instid1(VALU_DEP_1)
	v_lshlrev_b64 v[39:40], 3, v[2:3]
	v_add_co_u32 v39, vcc_lo, s44, v39
	s_delay_alu instid0(VALU_DEP_2)
	v_add_co_ci_u32_e32 v40, vcc_lo, s45, v40, vcc_lo
	s_waitcnt lgkmcnt(0)
	global_store_b64 v[39:40], v[36:37], off
	s_or_b32 exec_lo, exec_lo, s17
	s_and_saveexec_b32 s17, s30
	s_cbranch_execnz .LBB2086_295
.LBB2086_310:                           ;   in Loop: Header=BB2086_106 Depth=2
	s_or_b32 exec_lo, exec_lo, s17
	s_and_saveexec_b32 s17, s31
	s_cbranch_execz .LBB2086_312
.LBB2086_311:                           ;   in Loop: Header=BB2086_106 Depth=2
	v_lshlrev_b32_e32 v2, 2, v129
	v_add_nc_u32_e32 v36, v79, v81
	ds_load_b32 v2, v2
	ds_load_b64 v[36:37], v36 offset:30720
	s_waitcnt lgkmcnt(1)
	v_add_nc_u32_e32 v2, v2, v63
	s_delay_alu instid0(VALU_DEP_1) | instskip(NEXT) | instid1(VALU_DEP_1)
	v_lshlrev_b64 v[39:40], 3, v[2:3]
	v_add_co_u32 v39, vcc_lo, s44, v39
	s_delay_alu instid0(VALU_DEP_2)
	v_add_co_ci_u32_e32 v40, vcc_lo, s45, v40, vcc_lo
	s_waitcnt lgkmcnt(0)
	global_store_b64 v[39:40], v[36:37], off
.LBB2086_312:                           ;   in Loop: Header=BB2086_106 Depth=2
	s_or_b32 exec_lo, exec_lo, s17
	s_waitcnt_vscnt null, 0x0
	s_barrier
	buffer_gl0_inv
	s_and_saveexec_b32 s17, s2
	s_cbranch_execz .LBB2086_105
; %bb.313:                              ;   in Loop: Header=BB2086_106 Depth=2
	ds_load_b32 v2, v44
	s_waitcnt lgkmcnt(0)
	v_add_nc_u32_e32 v2, v2, v38
	ds_store_b32 v44, v2
	s_branch .LBB2086_105
.LBB2086_314:                           ;   in Loop: Header=BB2086_20 Depth=1
	s_waitcnt lgkmcnt(0)
	s_mov_b32 s0, 0
	s_barrier
.LBB2086_315:                           ;   in Loop: Header=BB2086_20 Depth=1
	s_and_b32 vcc_lo, exec_lo, s0
	s_cbranch_vccz .LBB2086_609
; %bb.316:                              ;   in Loop: Header=BB2086_20 Depth=1
	s_mov_b32 s8, s54
	s_mov_b32 s34, s52
	s_barrier
	buffer_gl0_inv
                                        ; implicit-def: $vgpr20
                                        ; implicit-def: $vgpr2
                                        ; implicit-def: $vgpr6
                                        ; implicit-def: $vgpr7
                                        ; implicit-def: $vgpr8
                                        ; implicit-def: $vgpr9
                                        ; implicit-def: $vgpr10
                                        ; implicit-def: $vgpr11
                                        ; implicit-def: $vgpr12
                                        ; implicit-def: $vgpr13
                                        ; implicit-def: $vgpr14
                                        ; implicit-def: $vgpr15
                                        ; implicit-def: $vgpr16
                                        ; implicit-def: $vgpr17
                                        ; implicit-def: $vgpr18
                                        ; implicit-def: $vgpr19
	s_branch .LBB2086_318
.LBB2086_317:                           ;   in Loop: Header=BB2086_318 Depth=2
	s_or_b32 exec_lo, exec_lo, s0
	s_addk_i32 s8, 0xf000
	s_cmp_ge_u32 s9, s53
	s_mov_b32 s34, s9
	s_cbranch_scc1 .LBB2086_388
.LBB2086_318:                           ;   Parent Loop BB2086_20 Depth=1
                                        ; =>  This Inner Loop Header: Depth=2
	s_add_i32 s9, s34, 0x1000
	s_delay_alu instid0(SALU_CYCLE_1)
	s_cmp_gt_u32 s9, s53
	s_cbranch_scc1 .LBB2086_321
; %bb.319:                              ;   in Loop: Header=BB2086_318 Depth=2
	s_mov_b32 s1, 0
	s_mov_b32 s0, s34
	s_delay_alu instid0(SALU_CYCLE_1) | instskip(NEXT) | instid1(SALU_CYCLE_1)
	s_lshl_b64 s[10:11], s[0:1], 1
	v_add_co_u32 v4, vcc_lo, v82, s10
	v_add_co_ci_u32_e32 v5, vcc_lo, s11, v83, vcc_lo
	s_movk_i32 s11, 0x1000
	s_waitcnt vmcnt(0)
	s_delay_alu instid0(VALU_DEP_2) | instskip(NEXT) | instid1(VALU_DEP_2)
	v_add_co_u32 v36, vcc_lo, 0x1000, v4
	v_add_co_ci_u32_e32 v37, vcc_lo, 0, v5, vcc_lo
	s_clause 0xe
	global_load_u16 v22, v[4:5], off
	global_load_u16 v23, v[4:5], off offset:512
	global_load_u16 v24, v[4:5], off offset:1024
	;; [unrolled: 1-line block ×7, first 2 shown]
	global_load_u16 v30, v[36:37], off
	global_load_u16 v31, v[36:37], off offset:512
	global_load_u16 v32, v[36:37], off offset:1024
	;; [unrolled: 1-line block ×6, first 2 shown]
	v_add_co_u32 v4, vcc_lo, 0x1e00, v4
	v_add_co_ci_u32_e32 v5, vcc_lo, 0, v5, vcc_lo
	s_mov_b32 s10, -1
	s_cbranch_execz .LBB2086_322
; %bb.320:                              ;   in Loop: Header=BB2086_318 Depth=2
                                        ; implicit-def: $vgpr19
                                        ; implicit-def: $vgpr18
                                        ; implicit-def: $vgpr17
                                        ; implicit-def: $vgpr16
                                        ; implicit-def: $vgpr15
                                        ; implicit-def: $vgpr14
                                        ; implicit-def: $vgpr13
                                        ; implicit-def: $vgpr12
                                        ; implicit-def: $vgpr11
                                        ; implicit-def: $vgpr10
                                        ; implicit-def: $vgpr9
                                        ; implicit-def: $vgpr8
                                        ; implicit-def: $vgpr7
                                        ; implicit-def: $vgpr6
                                        ; implicit-def: $vgpr2
                                        ; implicit-def: $vgpr20
	v_mov_b32_e32 v21, s8
	s_and_saveexec_b32 s0, s10
	s_cbranch_execnz .LBB2086_341
	s_branch .LBB2086_342
.LBB2086_321:                           ;   in Loop: Header=BB2086_318 Depth=2
	s_mov_b32 s10, 0
                                        ; implicit-def: $sgpr11
                                        ; implicit-def: $vgpr22
                                        ; implicit-def: $vgpr23
                                        ; implicit-def: $vgpr24
                                        ; implicit-def: $vgpr25
                                        ; implicit-def: $vgpr26
                                        ; implicit-def: $vgpr27
                                        ; implicit-def: $vgpr28
                                        ; implicit-def: $vgpr29
                                        ; implicit-def: $vgpr30
                                        ; implicit-def: $vgpr31
                                        ; implicit-def: $vgpr32
                                        ; implicit-def: $vgpr33
                                        ; implicit-def: $vgpr34
                                        ; implicit-def: $vgpr35
                                        ; implicit-def: $vgpr36
                                        ; implicit-def: $vgpr4_vgpr5
.LBB2086_322:                           ;   in Loop: Header=BB2086_318 Depth=2
	s_lshl_b64 s[0:1], s[34:35], 1
	s_mov_b32 s11, exec_lo
	s_add_u32 s0, s38, s0
	s_addc_u32 s1, s39, s1
	v_cmpx_gt_u32_e64 s8, v1
	s_cbranch_execz .LBB2086_374
; %bb.323:                              ;   in Loop: Header=BB2086_318 Depth=2
	global_load_u16 v19, v95, s[0:1]
	s_or_b32 exec_lo, exec_lo, s11
	s_delay_alu instid0(SALU_CYCLE_1)
	s_mov_b32 s11, exec_lo
	v_cmpx_gt_u32_e64 s8, v45
	s_cbranch_execnz .LBB2086_375
.LBB2086_324:                           ;   in Loop: Header=BB2086_318 Depth=2
	s_or_b32 exec_lo, exec_lo, s11
	s_delay_alu instid0(SALU_CYCLE_1)
	s_mov_b32 s11, exec_lo
	v_cmpx_gt_u32_e64 s8, v46
	s_cbranch_execz .LBB2086_376
.LBB2086_325:                           ;   in Loop: Header=BB2086_318 Depth=2
	global_load_u16 v17, v95, s[0:1] offset:1024
	s_or_b32 exec_lo, exec_lo, s11
	s_delay_alu instid0(SALU_CYCLE_1)
	s_mov_b32 s11, exec_lo
	v_cmpx_gt_u32_e64 s8, v47
	s_cbranch_execnz .LBB2086_377
.LBB2086_326:                           ;   in Loop: Header=BB2086_318 Depth=2
	s_or_b32 exec_lo, exec_lo, s11
	s_delay_alu instid0(SALU_CYCLE_1)
	s_mov_b32 s11, exec_lo
	v_cmpx_gt_u32_e64 s8, v51
	s_cbranch_execz .LBB2086_378
.LBB2086_327:                           ;   in Loop: Header=BB2086_318 Depth=2
	global_load_u16 v15, v95, s[0:1] offset:2048
	s_or_b32 exec_lo, exec_lo, s11
	s_delay_alu instid0(SALU_CYCLE_1)
	s_mov_b32 s11, exec_lo
	v_cmpx_gt_u32_e64 s8, v52
	s_cbranch_execnz .LBB2086_379
.LBB2086_328:                           ;   in Loop: Header=BB2086_318 Depth=2
	s_or_b32 exec_lo, exec_lo, s11
	s_delay_alu instid0(SALU_CYCLE_1)
	s_mov_b32 s11, exec_lo
	v_cmpx_gt_u32_e64 s8, v53
	s_cbranch_execz .LBB2086_380
.LBB2086_329:                           ;   in Loop: Header=BB2086_318 Depth=2
	global_load_u16 v13, v95, s[0:1] offset:3072
	s_or_b32 exec_lo, exec_lo, s11
	s_delay_alu instid0(SALU_CYCLE_1)
	s_mov_b32 s11, exec_lo
	v_cmpx_gt_u32_e64 s8, v54
	s_cbranch_execnz .LBB2086_381
.LBB2086_330:                           ;   in Loop: Header=BB2086_318 Depth=2
	s_or_b32 exec_lo, exec_lo, s11
	s_delay_alu instid0(SALU_CYCLE_1)
	s_mov_b32 s11, exec_lo
	v_cmpx_gt_u32_e64 s8, v55
	s_cbranch_execz .LBB2086_382
.LBB2086_331:                           ;   in Loop: Header=BB2086_318 Depth=2
	global_load_u16 v11, v96, s[0:1]
	s_or_b32 exec_lo, exec_lo, s11
	s_delay_alu instid0(SALU_CYCLE_1)
	s_mov_b32 s11, exec_lo
	v_cmpx_gt_u32_e64 s8, v56
	s_cbranch_execnz .LBB2086_383
.LBB2086_332:                           ;   in Loop: Header=BB2086_318 Depth=2
	s_or_b32 exec_lo, exec_lo, s11
	s_delay_alu instid0(SALU_CYCLE_1)
	s_mov_b32 s11, exec_lo
	v_cmpx_gt_u32_e64 s8, v57
	s_cbranch_execz .LBB2086_384
.LBB2086_333:                           ;   in Loop: Header=BB2086_318 Depth=2
	global_load_u16 v9, v98, s[0:1]
	s_or_b32 exec_lo, exec_lo, s11
	s_delay_alu instid0(SALU_CYCLE_1)
	s_mov_b32 s11, exec_lo
	v_cmpx_gt_u32_e64 s8, v58
	s_cbranch_execnz .LBB2086_385
.LBB2086_334:                           ;   in Loop: Header=BB2086_318 Depth=2
	s_or_b32 exec_lo, exec_lo, s11
	s_delay_alu instid0(SALU_CYCLE_1)
	s_mov_b32 s11, exec_lo
	v_cmpx_gt_u32_e64 s8, v59
	s_cbranch_execz .LBB2086_386
.LBB2086_335:                           ;   in Loop: Header=BB2086_318 Depth=2
	global_load_u16 v7, v100, s[0:1]
	s_or_b32 exec_lo, exec_lo, s11
	s_delay_alu instid0(SALU_CYCLE_1)
	s_mov_b32 s11, exec_lo
	v_cmpx_gt_u32_e64 s8, v60
	s_cbranch_execnz .LBB2086_387
.LBB2086_336:                           ;   in Loop: Header=BB2086_318 Depth=2
	s_or_b32 exec_lo, exec_lo, s11
	s_delay_alu instid0(SALU_CYCLE_1)
	s_mov_b32 s11, exec_lo
	v_cmpx_gt_u32_e64 s8, v61
	s_cbranch_execz .LBB2086_338
.LBB2086_337:                           ;   in Loop: Header=BB2086_318 Depth=2
	global_load_u16 v2, v102, s[0:1]
.LBB2086_338:                           ;   in Loop: Header=BB2086_318 Depth=2
	s_or_b32 exec_lo, exec_lo, s11
	s_delay_alu instid0(SALU_CYCLE_1)
	s_mov_b32 s12, exec_lo
                                        ; implicit-def: $sgpr11
                                        ; implicit-def: $vgpr4_vgpr5
	v_cmpx_gt_u32_e64 s8, v63
; %bb.339:                              ;   in Loop: Header=BB2086_318 Depth=2
	v_add_co_u32 v4, s0, s0, v103
	s_delay_alu instid0(VALU_DEP_1)
	v_add_co_ci_u32_e64 v5, null, s1, 0, s0
	s_sub_i32 s11, s53, s34
	s_or_b32 s10, s10, exec_lo
                                        ; implicit-def: $vgpr20
; %bb.340:                              ;   in Loop: Header=BB2086_318 Depth=2
	s_or_b32 exec_lo, exec_lo, s12
	s_waitcnt vmcnt(0)
	v_dual_mov_b32 v22, v19 :: v_dual_mov_b32 v23, v18
	v_dual_mov_b32 v24, v17 :: v_dual_mov_b32 v25, v16
	v_dual_mov_b32 v26, v15 :: v_dual_mov_b32 v27, v14
	v_dual_mov_b32 v28, v13 :: v_dual_mov_b32 v29, v12
	v_dual_mov_b32 v30, v11 :: v_dual_mov_b32 v31, v10
	v_dual_mov_b32 v32, v9 :: v_dual_mov_b32 v33, v8
	v_dual_mov_b32 v34, v7 :: v_dual_mov_b32 v35, v6
	v_dual_mov_b32 v36, v2 :: v_dual_mov_b32 v21, s8
	s_and_saveexec_b32 s0, s10
	s_cbranch_execz .LBB2086_342
.LBB2086_341:                           ;   in Loop: Header=BB2086_318 Depth=2
	global_load_u16 v20, v[4:5], off
	s_waitcnt vmcnt(1)
	v_dual_mov_b32 v21, s11 :: v_dual_mov_b32 v2, v36
	v_dual_mov_b32 v6, v35 :: v_dual_mov_b32 v7, v34
	v_dual_mov_b32 v8, v33 :: v_dual_mov_b32 v9, v32
	v_dual_mov_b32 v10, v31 :: v_dual_mov_b32 v11, v30
	v_dual_mov_b32 v12, v29 :: v_dual_mov_b32 v13, v28
	v_dual_mov_b32 v14, v27 :: v_dual_mov_b32 v15, v26
	v_dual_mov_b32 v16, v25 :: v_dual_mov_b32 v17, v24
	v_dual_mov_b32 v18, v23 :: v_dual_mov_b32 v19, v22
.LBB2086_342:                           ;   in Loop: Header=BB2086_318 Depth=2
	s_or_b32 exec_lo, exec_lo, s0
	s_delay_alu instid0(SALU_CYCLE_1)
	s_mov_b32 s0, exec_lo
	v_cmpx_lt_u32_e64 v1, v21
	s_cbranch_execz .LBB2086_358
; %bb.343:                              ;   in Loop: Header=BB2086_318 Depth=2
	v_cmp_lt_i16_e32 vcc_lo, -1, v19
	v_lshlrev_b32_e32 v5, 2, v48
	v_cndmask_b32_e64 v4, -1, 0xffff8000, vcc_lo
	s_delay_alu instid0(VALU_DEP_1) | instskip(NEXT) | instid1(VALU_DEP_1)
	v_xor_b32_e32 v4, v4, v19
	v_cmp_ne_u16_e32 vcc_lo, 0x7fff, v4
	v_cndmask_b32_e32 v4, 0xffff8000, v4, vcc_lo
	s_delay_alu instid0(VALU_DEP_1) | instskip(NEXT) | instid1(VALU_DEP_1)
	v_and_b32_e32 v4, 0xffff, v4
	v_lshrrev_b32_e32 v4, s48, v4
	s_delay_alu instid0(VALU_DEP_1) | instskip(NEXT) | instid1(VALU_DEP_1)
	v_and_b32_e32 v4, s55, v4
	v_lshl_or_b32 v4, v4, 4, v5
	ds_add_u32 v4, v94
	s_or_b32 exec_lo, exec_lo, s0
	s_delay_alu instid0(SALU_CYCLE_1)
	s_mov_b32 s0, exec_lo
	v_cmpx_lt_u32_e64 v45, v21
	s_cbranch_execnz .LBB2086_359
.LBB2086_344:                           ;   in Loop: Header=BB2086_318 Depth=2
	s_or_b32 exec_lo, exec_lo, s0
	s_delay_alu instid0(SALU_CYCLE_1)
	s_mov_b32 s0, exec_lo
	v_cmpx_lt_u32_e64 v46, v21
	s_cbranch_execz .LBB2086_360
.LBB2086_345:                           ;   in Loop: Header=BB2086_318 Depth=2
	v_cmp_lt_i16_e32 vcc_lo, -1, v17
	v_lshlrev_b32_e32 v5, 2, v48
	v_cndmask_b32_e64 v4, -1, 0xffff8000, vcc_lo
	s_delay_alu instid0(VALU_DEP_1) | instskip(NEXT) | instid1(VALU_DEP_1)
	v_xor_b32_e32 v4, v4, v17
	v_cmp_ne_u16_e32 vcc_lo, 0x7fff, v4
	v_cndmask_b32_e32 v4, 0xffff8000, v4, vcc_lo
	s_delay_alu instid0(VALU_DEP_1) | instskip(NEXT) | instid1(VALU_DEP_1)
	v_and_b32_e32 v4, 0xffff, v4
	v_lshrrev_b32_e32 v4, s48, v4
	s_delay_alu instid0(VALU_DEP_1) | instskip(NEXT) | instid1(VALU_DEP_1)
	v_and_b32_e32 v4, s55, v4
	v_lshl_or_b32 v4, v4, 4, v5
	ds_add_u32 v4, v94
	s_or_b32 exec_lo, exec_lo, s0
	s_delay_alu instid0(SALU_CYCLE_1)
	s_mov_b32 s0, exec_lo
	v_cmpx_lt_u32_e64 v47, v21
	s_cbranch_execnz .LBB2086_361
.LBB2086_346:                           ;   in Loop: Header=BB2086_318 Depth=2
	s_or_b32 exec_lo, exec_lo, s0
	s_delay_alu instid0(SALU_CYCLE_1)
	s_mov_b32 s0, exec_lo
	v_cmpx_lt_u32_e64 v51, v21
	s_cbranch_execz .LBB2086_362
.LBB2086_347:                           ;   in Loop: Header=BB2086_318 Depth=2
	v_cmp_lt_i16_e32 vcc_lo, -1, v15
	v_lshlrev_b32_e32 v5, 2, v48
	v_cndmask_b32_e64 v4, -1, 0xffff8000, vcc_lo
	s_delay_alu instid0(VALU_DEP_1) | instskip(NEXT) | instid1(VALU_DEP_1)
	v_xor_b32_e32 v4, v4, v15
	v_cmp_ne_u16_e32 vcc_lo, 0x7fff, v4
	v_cndmask_b32_e32 v4, 0xffff8000, v4, vcc_lo
	s_delay_alu instid0(VALU_DEP_1) | instskip(NEXT) | instid1(VALU_DEP_1)
	v_and_b32_e32 v4, 0xffff, v4
	v_lshrrev_b32_e32 v4, s48, v4
	s_delay_alu instid0(VALU_DEP_1) | instskip(NEXT) | instid1(VALU_DEP_1)
	v_and_b32_e32 v4, s55, v4
	v_lshl_or_b32 v4, v4, 4, v5
	ds_add_u32 v4, v94
	s_or_b32 exec_lo, exec_lo, s0
	s_delay_alu instid0(SALU_CYCLE_1)
	s_mov_b32 s0, exec_lo
	v_cmpx_lt_u32_e64 v52, v21
	s_cbranch_execnz .LBB2086_363
.LBB2086_348:                           ;   in Loop: Header=BB2086_318 Depth=2
	s_or_b32 exec_lo, exec_lo, s0
	s_delay_alu instid0(SALU_CYCLE_1)
	s_mov_b32 s0, exec_lo
	v_cmpx_lt_u32_e64 v53, v21
	s_cbranch_execz .LBB2086_364
.LBB2086_349:                           ;   in Loop: Header=BB2086_318 Depth=2
	v_cmp_lt_i16_e32 vcc_lo, -1, v13
	v_lshlrev_b32_e32 v5, 2, v48
	v_cndmask_b32_e64 v4, -1, 0xffff8000, vcc_lo
	s_delay_alu instid0(VALU_DEP_1) | instskip(NEXT) | instid1(VALU_DEP_1)
	v_xor_b32_e32 v4, v4, v13
	v_cmp_ne_u16_e32 vcc_lo, 0x7fff, v4
	v_cndmask_b32_e32 v4, 0xffff8000, v4, vcc_lo
	s_delay_alu instid0(VALU_DEP_1) | instskip(NEXT) | instid1(VALU_DEP_1)
	v_and_b32_e32 v4, 0xffff, v4
	v_lshrrev_b32_e32 v4, s48, v4
	s_delay_alu instid0(VALU_DEP_1) | instskip(NEXT) | instid1(VALU_DEP_1)
	v_and_b32_e32 v4, s55, v4
	v_lshl_or_b32 v4, v4, 4, v5
	ds_add_u32 v4, v94
	s_or_b32 exec_lo, exec_lo, s0
	s_delay_alu instid0(SALU_CYCLE_1)
	s_mov_b32 s0, exec_lo
	v_cmpx_lt_u32_e64 v54, v21
	s_cbranch_execnz .LBB2086_365
.LBB2086_350:                           ;   in Loop: Header=BB2086_318 Depth=2
	s_or_b32 exec_lo, exec_lo, s0
	s_delay_alu instid0(SALU_CYCLE_1)
	s_mov_b32 s0, exec_lo
	v_cmpx_lt_u32_e64 v55, v21
	s_cbranch_execz .LBB2086_366
.LBB2086_351:                           ;   in Loop: Header=BB2086_318 Depth=2
	v_cmp_lt_i16_e32 vcc_lo, -1, v11
	v_lshlrev_b32_e32 v5, 2, v48
	v_cndmask_b32_e64 v4, -1, 0xffff8000, vcc_lo
	s_delay_alu instid0(VALU_DEP_1) | instskip(NEXT) | instid1(VALU_DEP_1)
	v_xor_b32_e32 v4, v4, v11
	v_cmp_ne_u16_e32 vcc_lo, 0x7fff, v4
	v_cndmask_b32_e32 v4, 0xffff8000, v4, vcc_lo
	s_delay_alu instid0(VALU_DEP_1) | instskip(NEXT) | instid1(VALU_DEP_1)
	v_and_b32_e32 v4, 0xffff, v4
	v_lshrrev_b32_e32 v4, s48, v4
	s_delay_alu instid0(VALU_DEP_1) | instskip(NEXT) | instid1(VALU_DEP_1)
	v_and_b32_e32 v4, s55, v4
	v_lshl_or_b32 v4, v4, 4, v5
	ds_add_u32 v4, v94
	s_or_b32 exec_lo, exec_lo, s0
	s_delay_alu instid0(SALU_CYCLE_1)
	s_mov_b32 s0, exec_lo
	v_cmpx_lt_u32_e64 v56, v21
	s_cbranch_execnz .LBB2086_367
.LBB2086_352:                           ;   in Loop: Header=BB2086_318 Depth=2
	s_or_b32 exec_lo, exec_lo, s0
	s_delay_alu instid0(SALU_CYCLE_1)
	s_mov_b32 s0, exec_lo
	v_cmpx_lt_u32_e64 v57, v21
	s_cbranch_execz .LBB2086_368
.LBB2086_353:                           ;   in Loop: Header=BB2086_318 Depth=2
	v_cmp_lt_i16_e32 vcc_lo, -1, v9
	v_lshlrev_b32_e32 v5, 2, v48
	v_cndmask_b32_e64 v4, -1, 0xffff8000, vcc_lo
	s_delay_alu instid0(VALU_DEP_1) | instskip(NEXT) | instid1(VALU_DEP_1)
	v_xor_b32_e32 v4, v4, v9
	v_cmp_ne_u16_e32 vcc_lo, 0x7fff, v4
	v_cndmask_b32_e32 v4, 0xffff8000, v4, vcc_lo
	s_delay_alu instid0(VALU_DEP_1) | instskip(NEXT) | instid1(VALU_DEP_1)
	v_and_b32_e32 v4, 0xffff, v4
	v_lshrrev_b32_e32 v4, s48, v4
	s_delay_alu instid0(VALU_DEP_1) | instskip(NEXT) | instid1(VALU_DEP_1)
	v_and_b32_e32 v4, s55, v4
	v_lshl_or_b32 v4, v4, 4, v5
	ds_add_u32 v4, v94
	s_or_b32 exec_lo, exec_lo, s0
	s_delay_alu instid0(SALU_CYCLE_1)
	s_mov_b32 s0, exec_lo
	v_cmpx_lt_u32_e64 v58, v21
	s_cbranch_execnz .LBB2086_369
.LBB2086_354:                           ;   in Loop: Header=BB2086_318 Depth=2
	s_or_b32 exec_lo, exec_lo, s0
	s_delay_alu instid0(SALU_CYCLE_1)
	s_mov_b32 s0, exec_lo
	v_cmpx_lt_u32_e64 v59, v21
	s_cbranch_execz .LBB2086_370
.LBB2086_355:                           ;   in Loop: Header=BB2086_318 Depth=2
	v_cmp_lt_i16_e32 vcc_lo, -1, v7
	v_lshlrev_b32_e32 v5, 2, v48
	v_cndmask_b32_e64 v4, -1, 0xffff8000, vcc_lo
	s_delay_alu instid0(VALU_DEP_1) | instskip(NEXT) | instid1(VALU_DEP_1)
	v_xor_b32_e32 v4, v4, v7
	v_cmp_ne_u16_e32 vcc_lo, 0x7fff, v4
	v_cndmask_b32_e32 v4, 0xffff8000, v4, vcc_lo
	s_delay_alu instid0(VALU_DEP_1) | instskip(NEXT) | instid1(VALU_DEP_1)
	v_and_b32_e32 v4, 0xffff, v4
	v_lshrrev_b32_e32 v4, s48, v4
	s_delay_alu instid0(VALU_DEP_1) | instskip(NEXT) | instid1(VALU_DEP_1)
	v_and_b32_e32 v4, s55, v4
	v_lshl_or_b32 v4, v4, 4, v5
	ds_add_u32 v4, v94
	s_or_b32 exec_lo, exec_lo, s0
	s_delay_alu instid0(SALU_CYCLE_1)
	s_mov_b32 s0, exec_lo
	v_cmpx_lt_u32_e64 v60, v21
	s_cbranch_execnz .LBB2086_371
.LBB2086_356:                           ;   in Loop: Header=BB2086_318 Depth=2
	s_or_b32 exec_lo, exec_lo, s0
	s_delay_alu instid0(SALU_CYCLE_1)
	s_mov_b32 s0, exec_lo
	v_cmpx_lt_u32_e64 v61, v21
	s_cbranch_execz .LBB2086_372
.LBB2086_357:                           ;   in Loop: Header=BB2086_318 Depth=2
	v_cmp_lt_i16_e32 vcc_lo, -1, v2
	v_lshlrev_b32_e32 v5, 2, v48
	v_cndmask_b32_e64 v4, -1, 0xffff8000, vcc_lo
	s_delay_alu instid0(VALU_DEP_1) | instskip(NEXT) | instid1(VALU_DEP_1)
	v_xor_b32_e32 v4, v4, v2
	v_cmp_ne_u16_e32 vcc_lo, 0x7fff, v4
	v_cndmask_b32_e32 v4, 0xffff8000, v4, vcc_lo
	s_delay_alu instid0(VALU_DEP_1) | instskip(NEXT) | instid1(VALU_DEP_1)
	v_and_b32_e32 v4, 0xffff, v4
	v_lshrrev_b32_e32 v4, s48, v4
	s_delay_alu instid0(VALU_DEP_1) | instskip(NEXT) | instid1(VALU_DEP_1)
	v_and_b32_e32 v4, s55, v4
	v_lshl_or_b32 v4, v4, 4, v5
	ds_add_u32 v4, v94
	s_or_b32 exec_lo, exec_lo, s0
	s_delay_alu instid0(SALU_CYCLE_1)
	s_mov_b32 s0, exec_lo
	v_cmpx_lt_u32_e64 v63, v21
	s_cbranch_execz .LBB2086_317
	s_branch .LBB2086_373
.LBB2086_358:                           ;   in Loop: Header=BB2086_318 Depth=2
	s_or_b32 exec_lo, exec_lo, s0
	s_delay_alu instid0(SALU_CYCLE_1)
	s_mov_b32 s0, exec_lo
	v_cmpx_lt_u32_e64 v45, v21
	s_cbranch_execz .LBB2086_344
.LBB2086_359:                           ;   in Loop: Header=BB2086_318 Depth=2
	v_cmp_lt_i16_e32 vcc_lo, -1, v18
	v_lshlrev_b32_e32 v5, 2, v48
	v_cndmask_b32_e64 v4, -1, 0xffff8000, vcc_lo
	s_delay_alu instid0(VALU_DEP_1) | instskip(NEXT) | instid1(VALU_DEP_1)
	v_xor_b32_e32 v4, v4, v18
	v_cmp_ne_u16_e32 vcc_lo, 0x7fff, v4
	v_cndmask_b32_e32 v4, 0xffff8000, v4, vcc_lo
	s_delay_alu instid0(VALU_DEP_1) | instskip(NEXT) | instid1(VALU_DEP_1)
	v_and_b32_e32 v4, 0xffff, v4
	v_lshrrev_b32_e32 v4, s48, v4
	s_delay_alu instid0(VALU_DEP_1) | instskip(NEXT) | instid1(VALU_DEP_1)
	v_and_b32_e32 v4, s55, v4
	v_lshl_or_b32 v4, v4, 4, v5
	ds_add_u32 v4, v94
	s_or_b32 exec_lo, exec_lo, s0
	s_delay_alu instid0(SALU_CYCLE_1)
	s_mov_b32 s0, exec_lo
	v_cmpx_lt_u32_e64 v46, v21
	s_cbranch_execnz .LBB2086_345
.LBB2086_360:                           ;   in Loop: Header=BB2086_318 Depth=2
	s_or_b32 exec_lo, exec_lo, s0
	s_delay_alu instid0(SALU_CYCLE_1)
	s_mov_b32 s0, exec_lo
	v_cmpx_lt_u32_e64 v47, v21
	s_cbranch_execz .LBB2086_346
.LBB2086_361:                           ;   in Loop: Header=BB2086_318 Depth=2
	v_cmp_lt_i16_e32 vcc_lo, -1, v16
	v_lshlrev_b32_e32 v5, 2, v48
	v_cndmask_b32_e64 v4, -1, 0xffff8000, vcc_lo
	s_delay_alu instid0(VALU_DEP_1) | instskip(NEXT) | instid1(VALU_DEP_1)
	v_xor_b32_e32 v4, v4, v16
	v_cmp_ne_u16_e32 vcc_lo, 0x7fff, v4
	v_cndmask_b32_e32 v4, 0xffff8000, v4, vcc_lo
	s_delay_alu instid0(VALU_DEP_1) | instskip(NEXT) | instid1(VALU_DEP_1)
	v_and_b32_e32 v4, 0xffff, v4
	v_lshrrev_b32_e32 v4, s48, v4
	s_delay_alu instid0(VALU_DEP_1) | instskip(NEXT) | instid1(VALU_DEP_1)
	v_and_b32_e32 v4, s55, v4
	v_lshl_or_b32 v4, v4, 4, v5
	ds_add_u32 v4, v94
	s_or_b32 exec_lo, exec_lo, s0
	s_delay_alu instid0(SALU_CYCLE_1)
	s_mov_b32 s0, exec_lo
	v_cmpx_lt_u32_e64 v51, v21
	s_cbranch_execnz .LBB2086_347
.LBB2086_362:                           ;   in Loop: Header=BB2086_318 Depth=2
	s_or_b32 exec_lo, exec_lo, s0
	s_delay_alu instid0(SALU_CYCLE_1)
	s_mov_b32 s0, exec_lo
	v_cmpx_lt_u32_e64 v52, v21
	s_cbranch_execz .LBB2086_348
.LBB2086_363:                           ;   in Loop: Header=BB2086_318 Depth=2
	v_cmp_lt_i16_e32 vcc_lo, -1, v14
	v_lshlrev_b32_e32 v5, 2, v48
	v_cndmask_b32_e64 v4, -1, 0xffff8000, vcc_lo
	s_delay_alu instid0(VALU_DEP_1) | instskip(NEXT) | instid1(VALU_DEP_1)
	v_xor_b32_e32 v4, v4, v14
	v_cmp_ne_u16_e32 vcc_lo, 0x7fff, v4
	v_cndmask_b32_e32 v4, 0xffff8000, v4, vcc_lo
	s_delay_alu instid0(VALU_DEP_1) | instskip(NEXT) | instid1(VALU_DEP_1)
	v_and_b32_e32 v4, 0xffff, v4
	v_lshrrev_b32_e32 v4, s48, v4
	s_delay_alu instid0(VALU_DEP_1) | instskip(NEXT) | instid1(VALU_DEP_1)
	v_and_b32_e32 v4, s55, v4
	v_lshl_or_b32 v4, v4, 4, v5
	ds_add_u32 v4, v94
	s_or_b32 exec_lo, exec_lo, s0
	s_delay_alu instid0(SALU_CYCLE_1)
	s_mov_b32 s0, exec_lo
	v_cmpx_lt_u32_e64 v53, v21
	s_cbranch_execnz .LBB2086_349
.LBB2086_364:                           ;   in Loop: Header=BB2086_318 Depth=2
	s_or_b32 exec_lo, exec_lo, s0
	s_delay_alu instid0(SALU_CYCLE_1)
	s_mov_b32 s0, exec_lo
	v_cmpx_lt_u32_e64 v54, v21
	s_cbranch_execz .LBB2086_350
.LBB2086_365:                           ;   in Loop: Header=BB2086_318 Depth=2
	v_cmp_lt_i16_e32 vcc_lo, -1, v12
	v_lshlrev_b32_e32 v5, 2, v48
	v_cndmask_b32_e64 v4, -1, 0xffff8000, vcc_lo
	s_delay_alu instid0(VALU_DEP_1) | instskip(NEXT) | instid1(VALU_DEP_1)
	v_xor_b32_e32 v4, v4, v12
	v_cmp_ne_u16_e32 vcc_lo, 0x7fff, v4
	v_cndmask_b32_e32 v4, 0xffff8000, v4, vcc_lo
	s_delay_alu instid0(VALU_DEP_1) | instskip(NEXT) | instid1(VALU_DEP_1)
	v_and_b32_e32 v4, 0xffff, v4
	v_lshrrev_b32_e32 v4, s48, v4
	s_delay_alu instid0(VALU_DEP_1) | instskip(NEXT) | instid1(VALU_DEP_1)
	v_and_b32_e32 v4, s55, v4
	v_lshl_or_b32 v4, v4, 4, v5
	ds_add_u32 v4, v94
	s_or_b32 exec_lo, exec_lo, s0
	s_delay_alu instid0(SALU_CYCLE_1)
	s_mov_b32 s0, exec_lo
	v_cmpx_lt_u32_e64 v55, v21
	s_cbranch_execnz .LBB2086_351
.LBB2086_366:                           ;   in Loop: Header=BB2086_318 Depth=2
	s_or_b32 exec_lo, exec_lo, s0
	s_delay_alu instid0(SALU_CYCLE_1)
	s_mov_b32 s0, exec_lo
	v_cmpx_lt_u32_e64 v56, v21
	s_cbranch_execz .LBB2086_352
.LBB2086_367:                           ;   in Loop: Header=BB2086_318 Depth=2
	v_cmp_lt_i16_e32 vcc_lo, -1, v10
	v_lshlrev_b32_e32 v5, 2, v48
	v_cndmask_b32_e64 v4, -1, 0xffff8000, vcc_lo
	s_delay_alu instid0(VALU_DEP_1) | instskip(NEXT) | instid1(VALU_DEP_1)
	v_xor_b32_e32 v4, v4, v10
	v_cmp_ne_u16_e32 vcc_lo, 0x7fff, v4
	v_cndmask_b32_e32 v4, 0xffff8000, v4, vcc_lo
	s_delay_alu instid0(VALU_DEP_1) | instskip(NEXT) | instid1(VALU_DEP_1)
	v_and_b32_e32 v4, 0xffff, v4
	v_lshrrev_b32_e32 v4, s48, v4
	s_delay_alu instid0(VALU_DEP_1) | instskip(NEXT) | instid1(VALU_DEP_1)
	v_and_b32_e32 v4, s55, v4
	v_lshl_or_b32 v4, v4, 4, v5
	ds_add_u32 v4, v94
	s_or_b32 exec_lo, exec_lo, s0
	s_delay_alu instid0(SALU_CYCLE_1)
	s_mov_b32 s0, exec_lo
	v_cmpx_lt_u32_e64 v57, v21
	s_cbranch_execnz .LBB2086_353
.LBB2086_368:                           ;   in Loop: Header=BB2086_318 Depth=2
	s_or_b32 exec_lo, exec_lo, s0
	s_delay_alu instid0(SALU_CYCLE_1)
	s_mov_b32 s0, exec_lo
	v_cmpx_lt_u32_e64 v58, v21
	s_cbranch_execz .LBB2086_354
.LBB2086_369:                           ;   in Loop: Header=BB2086_318 Depth=2
	v_cmp_lt_i16_e32 vcc_lo, -1, v8
	v_lshlrev_b32_e32 v5, 2, v48
	v_cndmask_b32_e64 v4, -1, 0xffff8000, vcc_lo
	s_delay_alu instid0(VALU_DEP_1) | instskip(NEXT) | instid1(VALU_DEP_1)
	v_xor_b32_e32 v4, v4, v8
	v_cmp_ne_u16_e32 vcc_lo, 0x7fff, v4
	v_cndmask_b32_e32 v4, 0xffff8000, v4, vcc_lo
	s_delay_alu instid0(VALU_DEP_1) | instskip(NEXT) | instid1(VALU_DEP_1)
	v_and_b32_e32 v4, 0xffff, v4
	v_lshrrev_b32_e32 v4, s48, v4
	s_delay_alu instid0(VALU_DEP_1) | instskip(NEXT) | instid1(VALU_DEP_1)
	v_and_b32_e32 v4, s55, v4
	v_lshl_or_b32 v4, v4, 4, v5
	ds_add_u32 v4, v94
	s_or_b32 exec_lo, exec_lo, s0
	s_delay_alu instid0(SALU_CYCLE_1)
	s_mov_b32 s0, exec_lo
	v_cmpx_lt_u32_e64 v59, v21
	s_cbranch_execnz .LBB2086_355
.LBB2086_370:                           ;   in Loop: Header=BB2086_318 Depth=2
	s_or_b32 exec_lo, exec_lo, s0
	s_delay_alu instid0(SALU_CYCLE_1)
	s_mov_b32 s0, exec_lo
	v_cmpx_lt_u32_e64 v60, v21
	s_cbranch_execz .LBB2086_356
.LBB2086_371:                           ;   in Loop: Header=BB2086_318 Depth=2
	v_cmp_lt_i16_e32 vcc_lo, -1, v6
	v_lshlrev_b32_e32 v5, 2, v48
	v_cndmask_b32_e64 v4, -1, 0xffff8000, vcc_lo
	s_delay_alu instid0(VALU_DEP_1) | instskip(NEXT) | instid1(VALU_DEP_1)
	v_xor_b32_e32 v4, v4, v6
	v_cmp_ne_u16_e32 vcc_lo, 0x7fff, v4
	v_cndmask_b32_e32 v4, 0xffff8000, v4, vcc_lo
	s_delay_alu instid0(VALU_DEP_1) | instskip(NEXT) | instid1(VALU_DEP_1)
	v_and_b32_e32 v4, 0xffff, v4
	v_lshrrev_b32_e32 v4, s48, v4
	s_delay_alu instid0(VALU_DEP_1) | instskip(NEXT) | instid1(VALU_DEP_1)
	v_and_b32_e32 v4, s55, v4
	v_lshl_or_b32 v4, v4, 4, v5
	ds_add_u32 v4, v94
	s_or_b32 exec_lo, exec_lo, s0
	s_delay_alu instid0(SALU_CYCLE_1)
	s_mov_b32 s0, exec_lo
	v_cmpx_lt_u32_e64 v61, v21
	s_cbranch_execnz .LBB2086_357
.LBB2086_372:                           ;   in Loop: Header=BB2086_318 Depth=2
	s_or_b32 exec_lo, exec_lo, s0
	s_delay_alu instid0(SALU_CYCLE_1)
	s_mov_b32 s0, exec_lo
	v_cmpx_lt_u32_e64 v63, v21
	s_cbranch_execz .LBB2086_317
.LBB2086_373:                           ;   in Loop: Header=BB2086_318 Depth=2
	s_waitcnt vmcnt(0)
	v_cmp_lt_i16_e32 vcc_lo, -1, v20
	v_lshlrev_b32_e32 v5, 2, v48
	v_cndmask_b32_e64 v4, -1, 0xffff8000, vcc_lo
	s_delay_alu instid0(VALU_DEP_1) | instskip(NEXT) | instid1(VALU_DEP_1)
	v_xor_b32_e32 v4, v4, v20
	v_cmp_ne_u16_e32 vcc_lo, 0x7fff, v4
	v_cndmask_b32_e32 v4, 0xffff8000, v4, vcc_lo
	s_delay_alu instid0(VALU_DEP_1) | instskip(NEXT) | instid1(VALU_DEP_1)
	v_and_b32_e32 v4, 0xffff, v4
	v_lshrrev_b32_e32 v4, s48, v4
	s_delay_alu instid0(VALU_DEP_1) | instskip(NEXT) | instid1(VALU_DEP_1)
	v_and_b32_e32 v4, s55, v4
	v_lshl_or_b32 v4, v4, 4, v5
	ds_add_u32 v4, v94
	s_branch .LBB2086_317
.LBB2086_374:                           ;   in Loop: Header=BB2086_318 Depth=2
	s_or_b32 exec_lo, exec_lo, s11
	s_delay_alu instid0(SALU_CYCLE_1)
	s_mov_b32 s11, exec_lo
	v_cmpx_gt_u32_e64 s8, v45
	s_cbranch_execz .LBB2086_324
.LBB2086_375:                           ;   in Loop: Header=BB2086_318 Depth=2
	global_load_u16 v18, v95, s[0:1] offset:512
	s_or_b32 exec_lo, exec_lo, s11
	s_delay_alu instid0(SALU_CYCLE_1)
	s_mov_b32 s11, exec_lo
	v_cmpx_gt_u32_e64 s8, v46
	s_cbranch_execnz .LBB2086_325
.LBB2086_376:                           ;   in Loop: Header=BB2086_318 Depth=2
	s_or_b32 exec_lo, exec_lo, s11
	s_delay_alu instid0(SALU_CYCLE_1)
	s_mov_b32 s11, exec_lo
	v_cmpx_gt_u32_e64 s8, v47
	s_cbranch_execz .LBB2086_326
.LBB2086_377:                           ;   in Loop: Header=BB2086_318 Depth=2
	global_load_u16 v16, v95, s[0:1] offset:1536
	s_or_b32 exec_lo, exec_lo, s11
	s_delay_alu instid0(SALU_CYCLE_1)
	s_mov_b32 s11, exec_lo
	v_cmpx_gt_u32_e64 s8, v51
	s_cbranch_execnz .LBB2086_327
.LBB2086_378:                           ;   in Loop: Header=BB2086_318 Depth=2
	s_or_b32 exec_lo, exec_lo, s11
	s_delay_alu instid0(SALU_CYCLE_1)
	s_mov_b32 s11, exec_lo
	v_cmpx_gt_u32_e64 s8, v52
	s_cbranch_execz .LBB2086_328
.LBB2086_379:                           ;   in Loop: Header=BB2086_318 Depth=2
	global_load_u16 v14, v95, s[0:1] offset:2560
	s_or_b32 exec_lo, exec_lo, s11
	s_delay_alu instid0(SALU_CYCLE_1)
	s_mov_b32 s11, exec_lo
	v_cmpx_gt_u32_e64 s8, v53
	s_cbranch_execnz .LBB2086_329
.LBB2086_380:                           ;   in Loop: Header=BB2086_318 Depth=2
	s_or_b32 exec_lo, exec_lo, s11
	s_delay_alu instid0(SALU_CYCLE_1)
	s_mov_b32 s11, exec_lo
	v_cmpx_gt_u32_e64 s8, v54
	s_cbranch_execz .LBB2086_330
.LBB2086_381:                           ;   in Loop: Header=BB2086_318 Depth=2
	global_load_u16 v12, v95, s[0:1] offset:3584
	s_or_b32 exec_lo, exec_lo, s11
	s_delay_alu instid0(SALU_CYCLE_1)
	s_mov_b32 s11, exec_lo
	v_cmpx_gt_u32_e64 s8, v55
	s_cbranch_execnz .LBB2086_331
.LBB2086_382:                           ;   in Loop: Header=BB2086_318 Depth=2
	s_or_b32 exec_lo, exec_lo, s11
	s_delay_alu instid0(SALU_CYCLE_1)
	s_mov_b32 s11, exec_lo
	v_cmpx_gt_u32_e64 s8, v56
	s_cbranch_execz .LBB2086_332
.LBB2086_383:                           ;   in Loop: Header=BB2086_318 Depth=2
	global_load_u16 v10, v97, s[0:1]
	s_or_b32 exec_lo, exec_lo, s11
	s_delay_alu instid0(SALU_CYCLE_1)
	s_mov_b32 s11, exec_lo
	v_cmpx_gt_u32_e64 s8, v57
	s_cbranch_execnz .LBB2086_333
.LBB2086_384:                           ;   in Loop: Header=BB2086_318 Depth=2
	s_or_b32 exec_lo, exec_lo, s11
	s_delay_alu instid0(SALU_CYCLE_1)
	s_mov_b32 s11, exec_lo
	v_cmpx_gt_u32_e64 s8, v58
	s_cbranch_execz .LBB2086_334
.LBB2086_385:                           ;   in Loop: Header=BB2086_318 Depth=2
	global_load_u16 v8, v99, s[0:1]
	s_or_b32 exec_lo, exec_lo, s11
	s_delay_alu instid0(SALU_CYCLE_1)
	s_mov_b32 s11, exec_lo
	v_cmpx_gt_u32_e64 s8, v59
	s_cbranch_execnz .LBB2086_335
.LBB2086_386:                           ;   in Loop: Header=BB2086_318 Depth=2
	s_or_b32 exec_lo, exec_lo, s11
	s_delay_alu instid0(SALU_CYCLE_1)
	s_mov_b32 s11, exec_lo
	v_cmpx_gt_u32_e64 s8, v60
	s_cbranch_execz .LBB2086_336
.LBB2086_387:                           ;   in Loop: Header=BB2086_318 Depth=2
	global_load_u16 v6, v101, s[0:1]
	s_or_b32 exec_lo, exec_lo, s11
	s_delay_alu instid0(SALU_CYCLE_1)
	s_mov_b32 s11, exec_lo
	v_cmpx_gt_u32_e64 s8, v61
	s_cbranch_execz .LBB2086_338
	s_branch .LBB2086_337
.LBB2086_388:                           ;   in Loop: Header=BB2086_20 Depth=1
	v_mov_b32_e32 v2, 0
	s_waitcnt vmcnt(0) lgkmcnt(0)
	s_barrier
	buffer_gl0_inv
	s_and_saveexec_b32 s0, s2
	s_cbranch_execz .LBB2086_390
; %bb.389:                              ;   in Loop: Header=BB2086_20 Depth=1
	ds_load_2addr_b64 v[4:7], v64 offset1:1
	s_waitcnt lgkmcnt(0)
	v_add_nc_u32_e32 v2, v5, v4
	s_delay_alu instid0(VALU_DEP_1)
	v_add3_u32 v2, v2, v6, v7
.LBB2086_390:                           ;   in Loop: Header=BB2086_20 Depth=1
	s_or_b32 exec_lo, exec_lo, s0
	v_and_b32_e32 v4, 15, v104
	s_delay_alu instid0(VALU_DEP_2) | instskip(SKIP_1) | instid1(VALU_DEP_3)
	v_mov_b32_dpp v5, v2 row_shr:1 row_mask:0xf bank_mask:0xf
	v_and_b32_e32 v6, 16, v104
	v_cmp_eq_u32_e64 s0, 0, v4
	v_cmp_lt_u32_e64 s1, 1, v4
	v_cmp_lt_u32_e64 s8, 3, v4
	v_cmp_lt_u32_e64 s9, 7, v4
	v_cmp_eq_u32_e64 s10, 0, v6
	v_cndmask_b32_e64 v5, v5, 0, s0
	s_delay_alu instid0(VALU_DEP_1) | instskip(NEXT) | instid1(VALU_DEP_1)
	v_add_nc_u32_e32 v2, v5, v2
	v_mov_b32_dpp v5, v2 row_shr:2 row_mask:0xf bank_mask:0xf
	s_delay_alu instid0(VALU_DEP_1) | instskip(NEXT) | instid1(VALU_DEP_1)
	v_cndmask_b32_e64 v5, 0, v5, s1
	v_add_nc_u32_e32 v2, v2, v5
	s_delay_alu instid0(VALU_DEP_1) | instskip(NEXT) | instid1(VALU_DEP_1)
	v_mov_b32_dpp v5, v2 row_shr:4 row_mask:0xf bank_mask:0xf
	v_cndmask_b32_e64 v5, 0, v5, s8
	s_delay_alu instid0(VALU_DEP_1) | instskip(NEXT) | instid1(VALU_DEP_1)
	v_add_nc_u32_e32 v2, v2, v5
	v_mov_b32_dpp v5, v2 row_shr:8 row_mask:0xf bank_mask:0xf
	s_delay_alu instid0(VALU_DEP_1) | instskip(SKIP_1) | instid1(VALU_DEP_2)
	v_cndmask_b32_e64 v4, 0, v5, s9
	v_bfe_i32 v5, v104, 4, 1
	v_add_nc_u32_e32 v2, v2, v4
	ds_swizzle_b32 v4, v2 offset:swizzle(BROADCAST,32,15)
	s_waitcnt lgkmcnt(0)
	v_and_b32_e32 v4, v5, v4
	s_delay_alu instid0(VALU_DEP_1)
	v_add_nc_u32_e32 v4, v2, v4
	s_and_saveexec_b32 s11, s3
	s_cbranch_execz .LBB2086_392
; %bb.391:                              ;   in Loop: Header=BB2086_20 Depth=1
	ds_store_b32 v65, v4
.LBB2086_392:                           ;   in Loop: Header=BB2086_20 Depth=1
	s_or_b32 exec_lo, exec_lo, s11
	v_and_b32_e32 v2, 7, v104
	s_waitcnt lgkmcnt(0)
	s_barrier
	buffer_gl0_inv
	s_and_saveexec_b32 s11, s4
	s_cbranch_execz .LBB2086_394
; %bb.393:                              ;   in Loop: Header=BB2086_20 Depth=1
	ds_load_b32 v5, v66
	v_cmp_ne_u32_e32 vcc_lo, 0, v2
	s_waitcnt lgkmcnt(0)
	v_mov_b32_dpp v6, v5 row_shr:1 row_mask:0xf bank_mask:0xf
	s_delay_alu instid0(VALU_DEP_1) | instskip(SKIP_1) | instid1(VALU_DEP_2)
	v_cndmask_b32_e32 v6, 0, v6, vcc_lo
	v_cmp_lt_u32_e32 vcc_lo, 1, v2
	v_add_nc_u32_e32 v5, v6, v5
	s_delay_alu instid0(VALU_DEP_1) | instskip(NEXT) | instid1(VALU_DEP_1)
	v_mov_b32_dpp v6, v5 row_shr:2 row_mask:0xf bank_mask:0xf
	v_cndmask_b32_e32 v6, 0, v6, vcc_lo
	v_cmp_lt_u32_e32 vcc_lo, 3, v2
	s_delay_alu instid0(VALU_DEP_2) | instskip(NEXT) | instid1(VALU_DEP_1)
	v_add_nc_u32_e32 v5, v5, v6
	v_mov_b32_dpp v6, v5 row_shr:4 row_mask:0xf bank_mask:0xf
	s_delay_alu instid0(VALU_DEP_1) | instskip(NEXT) | instid1(VALU_DEP_1)
	v_cndmask_b32_e32 v6, 0, v6, vcc_lo
	v_add_nc_u32_e32 v5, v5, v6
	ds_store_b32 v66, v5
.LBB2086_394:                           ;   in Loop: Header=BB2086_20 Depth=1
	s_or_b32 exec_lo, exec_lo, s11
	v_mov_b32_e32 v5, 0
	s_waitcnt lgkmcnt(0)
	s_barrier
	buffer_gl0_inv
	s_and_saveexec_b32 s11, s5
	s_cbranch_execz .LBB2086_396
; %bb.395:                              ;   in Loop: Header=BB2086_20 Depth=1
	ds_load_b32 v5, v67
.LBB2086_396:                           ;   in Loop: Header=BB2086_20 Depth=1
	s_or_b32 exec_lo, exec_lo, s11
	v_add_nc_u32_e32 v6, -1, v104
	s_waitcnt lgkmcnt(0)
	v_add_nc_u32_e32 v4, v5, v4
	v_cmp_eq_u32_e64 s11, 0, v104
	s_barrier
	v_cmp_gt_i32_e32 vcc_lo, 0, v6
	buffer_gl0_inv
	v_cndmask_b32_e32 v6, v6, v104, vcc_lo
	s_delay_alu instid0(VALU_DEP_1)
	v_lshlrev_b32_e32 v105, 2, v6
	ds_bpermute_b32 v4, v105, v4
	s_and_saveexec_b32 s12, s2
	s_cbranch_execz .LBB2086_398
; %bb.397:                              ;   in Loop: Header=BB2086_20 Depth=1
	s_waitcnt lgkmcnt(0)
	v_cndmask_b32_e64 v4, v4, v5, s11
	s_delay_alu instid0(VALU_DEP_1)
	v_add_nc_u32_e32 v4, s52, v4
	ds_store_b32 v44, v4
.LBB2086_398:                           ;   in Loop: Header=BB2086_20 Depth=1
	s_or_b32 exec_lo, exec_lo, s12
	s_load_b64 s[12:13], s[42:43], 0x0
	v_lshlrev_b32_e32 v5, 3, v104
	v_or_b32_e32 v106, v104, v68
	s_mov_b32 s56, s54
	s_mov_b32 s34, s52
                                        ; implicit-def: $vgpr8_vgpr9
                                        ; implicit-def: $vgpr10_vgpr11
                                        ; implicit-def: $vgpr12_vgpr13
                                        ; implicit-def: $vgpr14_vgpr15
                                        ; implicit-def: $vgpr16_vgpr17
                                        ; implicit-def: $vgpr18_vgpr19
                                        ; implicit-def: $vgpr20_vgpr21
                                        ; implicit-def: $vgpr22_vgpr23
                                        ; implicit-def: $vgpr24_vgpr25
                                        ; implicit-def: $vgpr26_vgpr27
                                        ; implicit-def: $vgpr28_vgpr29
                                        ; implicit-def: $vgpr30_vgpr31
                                        ; implicit-def: $vgpr32_vgpr33
                                        ; implicit-def: $vgpr34_vgpr35
                                        ; implicit-def: $vgpr129
                                        ; implicit-def: $vgpr130
                                        ; implicit-def: $vgpr131
                                        ; implicit-def: $vgpr132
                                        ; implicit-def: $vgpr133
                                        ; implicit-def: $vgpr134
                                        ; implicit-def: $vgpr135
                                        ; implicit-def: $vgpr136
                                        ; implicit-def: $vgpr137
                                        ; implicit-def: $vgpr138
                                        ; implicit-def: $vgpr139
                                        ; implicit-def: $vgpr140
                                        ; implicit-def: $vgpr141
                                        ; implicit-def: $vgpr142
                                        ; implicit-def: $vgpr143
                                        ; implicit-def: $vgpr144
	s_delay_alu instid0(VALU_DEP_2)
	v_add_co_u32 v107, vcc_lo, v84, v5
	v_add_co_ci_u32_e32 v108, vcc_lo, 0, v85, vcc_lo
	v_or_b32_e32 v109, 32, v106
	v_or_b32_e32 v110, 64, v106
	;; [unrolled: 1-line block ×10, first 2 shown]
	s_waitcnt lgkmcnt(0)
	s_cmp_lt_u32 s15, s13
	v_or_b32_e32 v119, 0x160, v106
	s_cselect_b32 s13, 14, 20
	v_or_b32_e32 v120, 0x180, v106
	s_add_u32 s16, s42, s13
	s_addc_u32 s17, s43, 0
	s_cmp_lt_u32 s14, s12
	global_load_u16 v4, v3, s[16:17]
	s_cselect_b32 s12, 12, 18
	v_or_b32_e32 v121, 0x1a0, v106
	s_add_u32 s12, s42, s12
	s_addc_u32 s13, s43, 0
	v_or_b32_e32 v122, 0x1c0, v106
	global_load_u16 v6, v3, s[12:13]
	v_cmp_eq_u32_e64 s12, 0, v2
	v_cmp_lt_u32_e64 s13, 1, v2
	v_cmp_lt_u32_e64 s16, 3, v2
	v_lshlrev_b32_e32 v2, 1, v104
	v_or_b32_e32 v123, 0x1e0, v106
	s_delay_alu instid0(VALU_DEP_2) | instskip(SKIP_1) | instid1(VALU_DEP_2)
	v_add_co_u32 v124, vcc_lo, v86, v2
	v_add_co_ci_u32_e32 v125, vcc_lo, 0, v87, vcc_lo
	v_add_co_u32 v127, vcc_lo, 0x3c0, v124
	s_delay_alu instid0(VALU_DEP_2) | instskip(SKIP_3) | instid1(VALU_DEP_1)
	v_add_co_ci_u32_e32 v128, vcc_lo, 0, v125, vcc_lo
	s_waitcnt vmcnt(1)
	v_mad_u32_u24 v7, v70, v4, v0
	s_waitcnt vmcnt(0)
	v_mad_u64_u32 v[4:5], null, v7, v6, v[1:2]
                                        ; implicit-def: $vgpr6_vgpr7
	s_delay_alu instid0(VALU_DEP_1)
	v_lshrrev_b32_e32 v126, 5, v4
                                        ; implicit-def: $vgpr4_vgpr5
	s_branch .LBB2086_400
.LBB2086_399:                           ;   in Loop: Header=BB2086_400 Depth=2
	s_or_b32 exec_lo, exec_lo, s17
	s_addk_i32 s56, 0xf000
	s_cmp_lt_u32 s57, s53
	s_mov_b32 s34, s57
	s_cbranch_scc0 .LBB2086_608
.LBB2086_400:                           ;   Parent Loop BB2086_20 Depth=1
                                        ; =>  This Inner Loop Header: Depth=2
	s_add_i32 s57, s34, 0x1000
	s_delay_alu instid0(SALU_CYCLE_1)
	s_cmp_gt_u32 s57, s53
	s_cbranch_scc1 .LBB2086_403
; %bb.401:                              ;   in Loop: Header=BB2086_400 Depth=2
	s_mov_b32 s19, 0
	s_mov_b32 s18, s34
	s_movk_i32 s17, 0x1000
	s_lshl_b64 s[20:21], s[18:19], 1
	s_delay_alu instid0(SALU_CYCLE_1)
	v_add_co_u32 v36, vcc_lo, v124, s20
	v_add_co_ci_u32_e32 v37, vcc_lo, s21, v125, vcc_lo
	s_mov_b32 s20, -1
	s_clause 0xe
	global_load_u16 v2, v[36:37], off
	global_load_u16 v146, v[36:37], off offset:64
	global_load_u16 v149, v[36:37], off offset:128
	;; [unrolled: 1-line block ×14, first 2 shown]
	s_cbranch_execz .LBB2086_404
; %bb.402:                              ;   in Loop: Header=BB2086_400 Depth=2
                                        ; implicit-def: $sgpr21
	v_dual_mov_b32 v36, s21 :: v_dual_mov_b32 v145, s56
	s_and_saveexec_b32 s21, s20
	s_cbranch_execnz .LBB2086_435
	s_branch .LBB2086_436
.LBB2086_403:                           ;   in Loop: Header=BB2086_400 Depth=2
	s_mov_b32 s19, -1
	s_mov_b32 s20, 0
                                        ; implicit-def: $sgpr17
                                        ; implicit-def: $vgpr2
                                        ; implicit-def: $vgpr146
                                        ; implicit-def: $vgpr149
                                        ; implicit-def: $vgpr153
                                        ; implicit-def: $vgpr157
                                        ; implicit-def: $vgpr161
                                        ; implicit-def: $vgpr165
                                        ; implicit-def: $vgpr170
                                        ; implicit-def: $vgpr169
                                        ; implicit-def: $vgpr43
                                        ; implicit-def: $vgpr42
                                        ; implicit-def: $vgpr41
                                        ; implicit-def: $vgpr40
                                        ; implicit-def: $vgpr39
                                        ; implicit-def: $vgpr38
.LBB2086_404:                           ;   in Loop: Header=BB2086_400 Depth=2
	s_lshl_b64 s[18:19], s[34:35], 1
	s_waitcnt vmcnt(13)
	v_mov_b32_e32 v146, 0x7fff
	v_add_co_u32 v36, vcc_lo, v124, s18
	v_add_co_ci_u32_e32 v37, vcc_lo, s19, v125, vcc_lo
	v_mov_b32_e32 v2, 0x7fff
	s_mov_b32 s17, exec_lo
	v_cmpx_gt_u32_e64 s56, v106
	s_cbranch_execz .LBB2086_406
; %bb.405:                              ;   in Loop: Header=BB2086_400 Depth=2
	global_load_u16 v2, v[36:37], off
.LBB2086_406:                           ;   in Loop: Header=BB2086_400 Depth=2
	s_or_b32 exec_lo, exec_lo, s17
	s_delay_alu instid0(SALU_CYCLE_1)
	s_mov_b32 s17, exec_lo
	v_cmpx_gt_u32_e64 s56, v109
	s_cbranch_execz .LBB2086_408
; %bb.407:                              ;   in Loop: Header=BB2086_400 Depth=2
	global_load_u16 v146, v[36:37], off offset:64
.LBB2086_408:                           ;   in Loop: Header=BB2086_400 Depth=2
	s_or_b32 exec_lo, exec_lo, s17
	s_waitcnt vmcnt(11)
	v_mov_b32_e32 v153, 0x7fff
	v_mov_b32_e32 v149, 0x7fff
	s_mov_b32 s17, exec_lo
	v_cmpx_gt_u32_e64 s56, v110
	s_cbranch_execz .LBB2086_410
; %bb.409:                              ;   in Loop: Header=BB2086_400 Depth=2
	global_load_u16 v149, v[36:37], off offset:128
.LBB2086_410:                           ;   in Loop: Header=BB2086_400 Depth=2
	s_or_b32 exec_lo, exec_lo, s17
	s_delay_alu instid0(SALU_CYCLE_1)
	s_mov_b32 s17, exec_lo
	v_cmpx_gt_u32_e64 s56, v111
	s_cbranch_execz .LBB2086_412
; %bb.411:                              ;   in Loop: Header=BB2086_400 Depth=2
	global_load_u16 v153, v[36:37], off offset:192
.LBB2086_412:                           ;   in Loop: Header=BB2086_400 Depth=2
	s_or_b32 exec_lo, exec_lo, s17
	s_waitcnt vmcnt(9)
	v_mov_b32_e32 v161, 0x7fff
	v_mov_b32_e32 v157, 0x7fff
	s_mov_b32 s17, exec_lo
	v_cmpx_gt_u32_e64 s56, v112
	s_cbranch_execz .LBB2086_414
; %bb.413:                              ;   in Loop: Header=BB2086_400 Depth=2
	global_load_u16 v157, v[36:37], off offset:256
.LBB2086_414:                           ;   in Loop: Header=BB2086_400 Depth=2
	s_or_b32 exec_lo, exec_lo, s17
	s_delay_alu instid0(SALU_CYCLE_1)
	s_mov_b32 s17, exec_lo
	v_cmpx_gt_u32_e64 s56, v113
	s_cbranch_execz .LBB2086_416
; %bb.415:                              ;   in Loop: Header=BB2086_400 Depth=2
	global_load_u16 v161, v[36:37], off offset:320
.LBB2086_416:                           ;   in Loop: Header=BB2086_400 Depth=2
	s_or_b32 exec_lo, exec_lo, s17
	s_waitcnt vmcnt(7)
	v_dual_mov_b32 v170, 0x7fff :: v_dual_mov_b32 v165, 0x7fff
	s_mov_b32 s17, exec_lo
	v_cmpx_gt_u32_e64 s56, v114
	s_cbranch_execz .LBB2086_418
; %bb.417:                              ;   in Loop: Header=BB2086_400 Depth=2
	global_load_u16 v165, v[36:37], off offset:384
.LBB2086_418:                           ;   in Loop: Header=BB2086_400 Depth=2
	s_or_b32 exec_lo, exec_lo, s17
	s_delay_alu instid0(SALU_CYCLE_1)
	s_mov_b32 s17, exec_lo
	v_cmpx_gt_u32_e64 s56, v115
	s_cbranch_execz .LBB2086_420
; %bb.419:                              ;   in Loop: Header=BB2086_400 Depth=2
	global_load_u16 v170, v[36:37], off offset:448
.LBB2086_420:                           ;   in Loop: Header=BB2086_400 Depth=2
	s_or_b32 exec_lo, exec_lo, s17
	s_waitcnt vmcnt(5)
	v_mov_b32_e32 v43, 0x7fff
	v_mov_b32_e32 v169, 0x7fff
	s_mov_b32 s17, exec_lo
	v_cmpx_gt_u32_e64 s56, v116
	s_cbranch_execz .LBB2086_422
; %bb.421:                              ;   in Loop: Header=BB2086_400 Depth=2
	global_load_u16 v169, v[36:37], off offset:512
.LBB2086_422:                           ;   in Loop: Header=BB2086_400 Depth=2
	s_or_b32 exec_lo, exec_lo, s17
	s_delay_alu instid0(SALU_CYCLE_1)
	s_mov_b32 s17, exec_lo
	v_cmpx_gt_u32_e64 s56, v117
	s_cbranch_execz .LBB2086_424
; %bb.423:                              ;   in Loop: Header=BB2086_400 Depth=2
	global_load_u16 v43, v[36:37], off offset:576
.LBB2086_424:                           ;   in Loop: Header=BB2086_400 Depth=2
	s_or_b32 exec_lo, exec_lo, s17
	s_waitcnt vmcnt(3)
	v_dual_mov_b32 v41, 0x7fff :: v_dual_mov_b32 v42, 0x7fff
	s_mov_b32 s17, exec_lo
	v_cmpx_gt_u32_e64 s56, v118
	s_cbranch_execz .LBB2086_426
; %bb.425:                              ;   in Loop: Header=BB2086_400 Depth=2
	global_load_u16 v42, v[36:37], off offset:640
.LBB2086_426:                           ;   in Loop: Header=BB2086_400 Depth=2
	s_or_b32 exec_lo, exec_lo, s17
	s_delay_alu instid0(SALU_CYCLE_1)
	s_mov_b32 s17, exec_lo
	v_cmpx_gt_u32_e64 s56, v119
	s_cbranch_execz .LBB2086_428
; %bb.427:                              ;   in Loop: Header=BB2086_400 Depth=2
	global_load_u16 v41, v[36:37], off offset:704
.LBB2086_428:                           ;   in Loop: Header=BB2086_400 Depth=2
	s_or_b32 exec_lo, exec_lo, s17
	s_waitcnt vmcnt(1)
	v_dual_mov_b32 v39, 0x7fff :: v_dual_mov_b32 v40, 0x7fff
	s_mov_b32 s17, exec_lo
	v_cmpx_gt_u32_e64 s56, v120
	s_cbranch_execz .LBB2086_430
; %bb.429:                              ;   in Loop: Header=BB2086_400 Depth=2
	global_load_u16 v40, v[36:37], off offset:768
.LBB2086_430:                           ;   in Loop: Header=BB2086_400 Depth=2
	s_or_b32 exec_lo, exec_lo, s17
	s_delay_alu instid0(SALU_CYCLE_1)
	s_mov_b32 s17, exec_lo
	v_cmpx_gt_u32_e64 s56, v121
	s_cbranch_execz .LBB2086_432
; %bb.431:                              ;   in Loop: Header=BB2086_400 Depth=2
	global_load_u16 v39, v[36:37], off offset:832
.LBB2086_432:                           ;   in Loop: Header=BB2086_400 Depth=2
	s_or_b32 exec_lo, exec_lo, s17
	s_waitcnt vmcnt(0)
	v_mov_b32_e32 v38, 0x7fff
	s_mov_b32 s17, exec_lo
	v_cmpx_gt_u32_e64 s56, v122
	s_cbranch_execz .LBB2086_434
; %bb.433:                              ;   in Loop: Header=BB2086_400 Depth=2
	global_load_u16 v38, v[36:37], off offset:896
.LBB2086_434:                           ;   in Loop: Header=BB2086_400 Depth=2
	s_or_b32 exec_lo, exec_lo, s17
	v_cmp_gt_u32_e64 s20, s56, v123
	s_sub_i32 s17, s53, s34
	s_movk_i32 s21, 0x7fff
	s_mov_b64 s[18:19], s[34:35]
	v_dual_mov_b32 v36, s21 :: v_dual_mov_b32 v145, s56
	s_and_saveexec_b32 s21, s20
	s_cbranch_execz .LBB2086_436
.LBB2086_435:                           ;   in Loop: Header=BB2086_400 Depth=2
	s_lshl_b64 s[18:19], s[18:19], 1
	v_mov_b32_e32 v145, s17
	v_add_co_u32 v36, vcc_lo, v127, s18
	v_add_co_ci_u32_e32 v37, vcc_lo, s19, v128, vcc_lo
	global_load_u16 v36, v[36:37], off
.LBB2086_436:                           ;   in Loop: Header=BB2086_400 Depth=2
	s_or_b32 exec_lo, exec_lo, s21
	s_waitcnt vmcnt(14)
	v_cmp_lt_i16_e32 vcc_lo, -1, v2
	ds_store_b32 v69, v3 offset:1056
	ds_store_2addr_b32 v71, v3, v3 offset0:1 offset1:2
	ds_store_2addr_b32 v71, v3, v3 offset0:3 offset1:4
	;; [unrolled: 1-line block ×4, first 2 shown]
	s_waitcnt vmcnt(0) lgkmcnt(0)
	s_barrier
	v_cndmask_b32_e64 v37, -1, 0xffff8000, vcc_lo
	buffer_gl0_inv
	; wave barrier
	v_xor_b32_e32 v2, v37, v2
	s_delay_alu instid0(VALU_DEP_1) | instskip(SKIP_1) | instid1(VALU_DEP_1)
	v_cmp_ne_u16_e32 vcc_lo, 0x7fff, v2
	v_cndmask_b32_e32 v37, 0xffff8000, v2, vcc_lo
	v_and_b32_e32 v37, 0xffff, v37
	s_delay_alu instid0(VALU_DEP_1) | instskip(NEXT) | instid1(VALU_DEP_1)
	v_lshrrev_b32_e32 v37, s48, v37
	v_and_b32_e32 v148, s55, v37
	s_delay_alu instid0(VALU_DEP_1)
	v_lshlrev_b32_e32 v150, 29, v148
	v_and_b32_e32 v37, 1, v148
	v_lshlrev_b32_e32 v147, 30, v148
	v_lshlrev_b32_e32 v151, 28, v148
	;; [unrolled: 1-line block ×4, first 2 shown]
	v_add_co_u32 v37, s17, v37, -1
	s_delay_alu instid0(VALU_DEP_1)
	v_cndmask_b32_e64 v152, 0, 1, s17
	v_not_b32_e32 v158, v147
	v_cmp_gt_i32_e64 s17, 0, v147
	v_not_b32_e32 v147, v150
	v_lshlrev_b32_e32 v156, 25, v148
	v_cmp_ne_u32_e32 vcc_lo, 0, v152
	v_ashrrev_i32_e32 v158, 31, v158
	v_lshlrev_b32_e32 v152, 24, v148
	v_ashrrev_i32_e32 v147, 31, v147
	v_mad_u32_u24 v148, v148, 9, v126
	v_xor_b32_e32 v37, vcc_lo, v37
	v_cmp_gt_i32_e32 vcc_lo, 0, v150
	v_not_b32_e32 v150, v151
	v_xor_b32_e32 v158, s17, v158
	v_cmp_gt_i32_e64 s17, 0, v151
	v_and_b32_e32 v37, exec_lo, v37
	v_not_b32_e32 v151, v154
	v_ashrrev_i32_e32 v150, 31, v150
	v_xor_b32_e32 v147, vcc_lo, v147
	v_cmp_gt_i32_e32 vcc_lo, 0, v154
	v_and_b32_e32 v37, v37, v158
	v_not_b32_e32 v154, v155
	v_ashrrev_i32_e32 v151, 31, v151
	v_xor_b32_e32 v150, s17, v150
	v_cmp_gt_i32_e64 s17, 0, v155
	v_and_b32_e32 v37, v37, v147
	v_not_b32_e32 v147, v156
	v_ashrrev_i32_e32 v154, 31, v154
	v_xor_b32_e32 v151, vcc_lo, v151
	v_cmp_gt_i32_e32 vcc_lo, 0, v156
	v_and_b32_e32 v37, v37, v150
	v_not_b32_e32 v150, v152
	v_ashrrev_i32_e32 v147, 31, v147
	v_xor_b32_e32 v154, s17, v154
	v_cmp_gt_i32_e64 s17, 0, v152
	v_and_b32_e32 v37, v37, v151
	v_ashrrev_i32_e32 v150, 31, v150
	v_xor_b32_e32 v147, vcc_lo, v147
	v_lshl_add_u32 v148, v148, 2, 0x420
	s_delay_alu instid0(VALU_DEP_4) | instskip(NEXT) | instid1(VALU_DEP_4)
	v_and_b32_e32 v37, v37, v154
	v_xor_b32_e32 v150, s17, v150
	s_delay_alu instid0(VALU_DEP_2) | instskip(NEXT) | instid1(VALU_DEP_1)
	v_and_b32_e32 v37, v37, v147
	v_and_b32_e32 v37, v37, v150
	s_delay_alu instid0(VALU_DEP_1) | instskip(SKIP_1) | instid1(VALU_DEP_2)
	v_mbcnt_lo_u32_b32 v147, v37, 0
	v_cmp_ne_u32_e64 s17, 0, v37
	v_cmp_eq_u32_e32 vcc_lo, 0, v147
	s_delay_alu instid0(VALU_DEP_2) | instskip(NEXT) | instid1(SALU_CYCLE_1)
	s_and_b32 s18, s17, vcc_lo
	s_and_saveexec_b32 s17, s18
	s_cbranch_execz .LBB2086_438
; %bb.437:                              ;   in Loop: Header=BB2086_400 Depth=2
	v_bcnt_u32_b32 v37, v37, 0
	ds_store_b32 v148, v37
.LBB2086_438:                           ;   in Loop: Header=BB2086_400 Depth=2
	s_or_b32 exec_lo, exec_lo, s17
	v_cmp_lt_i16_e64 vcc_lo, -1, v146
	; wave barrier
	s_delay_alu instid0(VALU_DEP_1) | instskip(NEXT) | instid1(VALU_DEP_1)
	v_cndmask_b32_e64 v37, -1, 0xffff8000, vcc_lo
	v_xor_b32_e32 v146, v37, v146
	s_delay_alu instid0(VALU_DEP_1) | instskip(SKIP_1) | instid1(VALU_DEP_1)
	v_cmp_ne_u16_e64 vcc_lo, 0x7fff, v146
	v_cndmask_b32_e32 v37, 0xffff8000, v146, vcc_lo
	v_and_b32_e32 v37, 0xffff, v37
	s_delay_alu instid0(VALU_DEP_1) | instskip(NEXT) | instid1(VALU_DEP_1)
	v_lshrrev_b32_e32 v37, s48, v37
	v_and_b32_e32 v37, s55, v37
	s_delay_alu instid0(VALU_DEP_1)
	v_and_b32_e32 v150, 1, v37
	v_lshlrev_b32_e32 v151, 30, v37
	v_lshlrev_b32_e32 v152, 29, v37
	;; [unrolled: 1-line block ×4, first 2 shown]
	v_add_co_u32 v150, s17, v150, -1
	s_delay_alu instid0(VALU_DEP_1)
	v_cndmask_b32_e64 v155, 0, 1, s17
	v_not_b32_e32 v160, v151
	v_cmp_gt_i32_e64 s17, 0, v151
	v_not_b32_e32 v151, v152
	v_lshlrev_b32_e32 v158, 26, v37
	v_cmp_ne_u32_e32 vcc_lo, 0, v155
	v_ashrrev_i32_e32 v160, 31, v160
	v_lshlrev_b32_e32 v159, 25, v37
	v_ashrrev_i32_e32 v151, 31, v151
	v_lshlrev_b32_e32 v155, 24, v37
	v_xor_b32_e32 v150, vcc_lo, v150
	v_cmp_gt_i32_e32 vcc_lo, 0, v152
	v_not_b32_e32 v152, v154
	v_xor_b32_e32 v160, s17, v160
	v_cmp_gt_i32_e64 s17, 0, v154
	v_and_b32_e32 v150, exec_lo, v150
	v_not_b32_e32 v154, v156
	v_ashrrev_i32_e32 v152, 31, v152
	v_xor_b32_e32 v151, vcc_lo, v151
	v_cmp_gt_i32_e32 vcc_lo, 0, v156
	v_and_b32_e32 v150, v150, v160
	v_not_b32_e32 v156, v158
	v_ashrrev_i32_e32 v154, 31, v154
	v_xor_b32_e32 v152, s17, v152
	v_cmp_gt_i32_e64 s17, 0, v158
	v_and_b32_e32 v150, v150, v151
	v_not_b32_e32 v151, v159
	v_ashrrev_i32_e32 v156, 31, v156
	v_xor_b32_e32 v154, vcc_lo, v154
	v_cmp_gt_i32_e32 vcc_lo, 0, v159
	v_and_b32_e32 v150, v150, v152
	v_not_b32_e32 v152, v155
	v_ashrrev_i32_e32 v151, 31, v151
	v_xor_b32_e32 v156, s17, v156
	v_mul_u32_u24_e32 v37, 9, v37
	v_and_b32_e32 v150, v150, v154
	v_cmp_gt_i32_e64 s17, 0, v155
	v_ashrrev_i32_e32 v152, 31, v152
	v_xor_b32_e32 v151, vcc_lo, v151
	v_add_lshl_u32 v154, v37, v126, 2
	v_and_b32_e32 v150, v150, v156
	s_delay_alu instid0(VALU_DEP_4) | instskip(NEXT) | instid1(VALU_DEP_3)
	v_xor_b32_e32 v37, s17, v152
	v_add_nc_u32_e32 v152, 0x420, v154
	s_delay_alu instid0(VALU_DEP_3) | instskip(SKIP_2) | instid1(VALU_DEP_1)
	v_and_b32_e32 v151, v150, v151
	ds_load_b32 v150, v154 offset:1056
	; wave barrier
	v_and_b32_e32 v37, v151, v37
	v_mbcnt_lo_u32_b32 v151, v37, 0
	v_cmp_ne_u32_e64 s17, 0, v37
	s_delay_alu instid0(VALU_DEP_2) | instskip(NEXT) | instid1(VALU_DEP_2)
	v_cmp_eq_u32_e32 vcc_lo, 0, v151
	s_and_b32 s18, s17, vcc_lo
	s_delay_alu instid0(SALU_CYCLE_1)
	s_and_saveexec_b32 s17, s18
	s_cbranch_execz .LBB2086_440
; %bb.439:                              ;   in Loop: Header=BB2086_400 Depth=2
	s_waitcnt lgkmcnt(0)
	v_bcnt_u32_b32 v37, v37, v150
	ds_store_b32 v152, v37
.LBB2086_440:                           ;   in Loop: Header=BB2086_400 Depth=2
	s_or_b32 exec_lo, exec_lo, s17
	v_cmp_lt_i16_e64 vcc_lo, -1, v149
	; wave barrier
	s_delay_alu instid0(VALU_DEP_1) | instskip(NEXT) | instid1(VALU_DEP_1)
	v_cndmask_b32_e64 v37, -1, 0xffff8000, vcc_lo
	v_xor_b32_e32 v149, v37, v149
	s_delay_alu instid0(VALU_DEP_1) | instskip(SKIP_1) | instid1(VALU_DEP_1)
	v_cmp_ne_u16_e64 vcc_lo, 0x7fff, v149
	v_cndmask_b32_e32 v37, 0xffff8000, v149, vcc_lo
	v_and_b32_e32 v37, 0xffff, v37
	s_delay_alu instid0(VALU_DEP_1) | instskip(NEXT) | instid1(VALU_DEP_1)
	v_lshrrev_b32_e32 v37, s48, v37
	v_and_b32_e32 v37, s55, v37
	s_delay_alu instid0(VALU_DEP_1)
	v_and_b32_e32 v154, 1, v37
	v_lshlrev_b32_e32 v155, 30, v37
	v_lshlrev_b32_e32 v156, 29, v37
	;; [unrolled: 1-line block ×4, first 2 shown]
	v_add_co_u32 v154, s17, v154, -1
	s_delay_alu instid0(VALU_DEP_1)
	v_cndmask_b32_e64 v159, 0, 1, s17
	v_not_b32_e32 v164, v155
	v_cmp_gt_i32_e64 s17, 0, v155
	v_not_b32_e32 v155, v156
	v_lshlrev_b32_e32 v162, 26, v37
	v_cmp_ne_u32_e32 vcc_lo, 0, v159
	v_ashrrev_i32_e32 v164, 31, v164
	v_lshlrev_b32_e32 v163, 25, v37
	v_ashrrev_i32_e32 v155, 31, v155
	v_lshlrev_b32_e32 v159, 24, v37
	v_xor_b32_e32 v154, vcc_lo, v154
	v_cmp_gt_i32_e32 vcc_lo, 0, v156
	v_not_b32_e32 v156, v158
	v_xor_b32_e32 v164, s17, v164
	v_cmp_gt_i32_e64 s17, 0, v158
	v_and_b32_e32 v154, exec_lo, v154
	v_not_b32_e32 v158, v160
	v_ashrrev_i32_e32 v156, 31, v156
	v_xor_b32_e32 v155, vcc_lo, v155
	v_cmp_gt_i32_e32 vcc_lo, 0, v160
	v_and_b32_e32 v154, v154, v164
	v_not_b32_e32 v160, v162
	v_ashrrev_i32_e32 v158, 31, v158
	v_xor_b32_e32 v156, s17, v156
	v_cmp_gt_i32_e64 s17, 0, v162
	v_and_b32_e32 v154, v154, v155
	v_not_b32_e32 v155, v163
	v_ashrrev_i32_e32 v160, 31, v160
	v_xor_b32_e32 v158, vcc_lo, v158
	v_cmp_gt_i32_e32 vcc_lo, 0, v163
	v_and_b32_e32 v154, v154, v156
	v_not_b32_e32 v156, v159
	v_ashrrev_i32_e32 v155, 31, v155
	v_xor_b32_e32 v160, s17, v160
	v_mul_u32_u24_e32 v37, 9, v37
	v_and_b32_e32 v154, v154, v158
	v_cmp_gt_i32_e64 s17, 0, v159
	v_ashrrev_i32_e32 v156, 31, v156
	v_xor_b32_e32 v155, vcc_lo, v155
	v_add_lshl_u32 v158, v37, v126, 2
	v_and_b32_e32 v154, v154, v160
	s_delay_alu instid0(VALU_DEP_4) | instskip(NEXT) | instid1(VALU_DEP_3)
	v_xor_b32_e32 v37, s17, v156
	v_add_nc_u32_e32 v156, 0x420, v158
	s_delay_alu instid0(VALU_DEP_3) | instskip(SKIP_2) | instid1(VALU_DEP_1)
	v_and_b32_e32 v155, v154, v155
	ds_load_b32 v154, v158 offset:1056
	; wave barrier
	v_and_b32_e32 v37, v155, v37
	v_mbcnt_lo_u32_b32 v155, v37, 0
	v_cmp_ne_u32_e64 s17, 0, v37
	s_delay_alu instid0(VALU_DEP_2) | instskip(NEXT) | instid1(VALU_DEP_2)
	v_cmp_eq_u32_e32 vcc_lo, 0, v155
	s_and_b32 s18, s17, vcc_lo
	s_delay_alu instid0(SALU_CYCLE_1)
	s_and_saveexec_b32 s17, s18
	s_cbranch_execz .LBB2086_442
; %bb.441:                              ;   in Loop: Header=BB2086_400 Depth=2
	s_waitcnt lgkmcnt(0)
	v_bcnt_u32_b32 v37, v37, v154
	ds_store_b32 v156, v37
.LBB2086_442:                           ;   in Loop: Header=BB2086_400 Depth=2
	s_or_b32 exec_lo, exec_lo, s17
	v_cmp_lt_i16_e64 vcc_lo, -1, v153
	; wave barrier
	s_delay_alu instid0(VALU_DEP_1) | instskip(NEXT) | instid1(VALU_DEP_1)
	v_cndmask_b32_e64 v37, -1, 0xffff8000, vcc_lo
	v_xor_b32_e32 v153, v37, v153
	s_delay_alu instid0(VALU_DEP_1) | instskip(SKIP_1) | instid1(VALU_DEP_1)
	v_cmp_ne_u16_e64 vcc_lo, 0x7fff, v153
	v_cndmask_b32_e32 v37, 0xffff8000, v153, vcc_lo
	v_and_b32_e32 v37, 0xffff, v37
	s_delay_alu instid0(VALU_DEP_1) | instskip(NEXT) | instid1(VALU_DEP_1)
	v_lshrrev_b32_e32 v37, s48, v37
	v_and_b32_e32 v37, s55, v37
	s_delay_alu instid0(VALU_DEP_1)
	v_and_b32_e32 v158, 1, v37
	v_lshlrev_b32_e32 v159, 30, v37
	v_lshlrev_b32_e32 v160, 29, v37
	;; [unrolled: 1-line block ×4, first 2 shown]
	v_add_co_u32 v158, s17, v158, -1
	s_delay_alu instid0(VALU_DEP_1)
	v_cndmask_b32_e64 v163, 0, 1, s17
	v_not_b32_e32 v168, v159
	v_cmp_gt_i32_e64 s17, 0, v159
	v_not_b32_e32 v159, v160
	v_lshlrev_b32_e32 v166, 26, v37
	v_cmp_ne_u32_e32 vcc_lo, 0, v163
	v_ashrrev_i32_e32 v168, 31, v168
	v_lshlrev_b32_e32 v167, 25, v37
	v_ashrrev_i32_e32 v159, 31, v159
	v_lshlrev_b32_e32 v163, 24, v37
	v_xor_b32_e32 v158, vcc_lo, v158
	v_cmp_gt_i32_e32 vcc_lo, 0, v160
	v_not_b32_e32 v160, v162
	v_xor_b32_e32 v168, s17, v168
	v_cmp_gt_i32_e64 s17, 0, v162
	v_and_b32_e32 v158, exec_lo, v158
	v_not_b32_e32 v162, v164
	v_ashrrev_i32_e32 v160, 31, v160
	v_xor_b32_e32 v159, vcc_lo, v159
	v_cmp_gt_i32_e32 vcc_lo, 0, v164
	v_and_b32_e32 v158, v158, v168
	v_not_b32_e32 v164, v166
	v_ashrrev_i32_e32 v162, 31, v162
	v_xor_b32_e32 v160, s17, v160
	v_cmp_gt_i32_e64 s17, 0, v166
	v_and_b32_e32 v158, v158, v159
	v_not_b32_e32 v159, v167
	v_ashrrev_i32_e32 v164, 31, v164
	v_xor_b32_e32 v162, vcc_lo, v162
	v_cmp_gt_i32_e32 vcc_lo, 0, v167
	v_and_b32_e32 v158, v158, v160
	v_not_b32_e32 v160, v163
	v_ashrrev_i32_e32 v159, 31, v159
	v_xor_b32_e32 v164, s17, v164
	v_mul_u32_u24_e32 v37, 9, v37
	v_and_b32_e32 v158, v158, v162
	v_cmp_gt_i32_e64 s17, 0, v163
	v_ashrrev_i32_e32 v160, 31, v160
	v_xor_b32_e32 v159, vcc_lo, v159
	v_add_lshl_u32 v162, v37, v126, 2
	v_and_b32_e32 v158, v158, v164
	s_delay_alu instid0(VALU_DEP_4) | instskip(NEXT) | instid1(VALU_DEP_3)
	v_xor_b32_e32 v37, s17, v160
	v_add_nc_u32_e32 v160, 0x420, v162
	s_delay_alu instid0(VALU_DEP_3) | instskip(SKIP_2) | instid1(VALU_DEP_1)
	v_and_b32_e32 v159, v158, v159
	ds_load_b32 v158, v162 offset:1056
	; wave barrier
	v_and_b32_e32 v37, v159, v37
	v_mbcnt_lo_u32_b32 v159, v37, 0
	v_cmp_ne_u32_e64 s17, 0, v37
	s_delay_alu instid0(VALU_DEP_2) | instskip(NEXT) | instid1(VALU_DEP_2)
	v_cmp_eq_u32_e32 vcc_lo, 0, v159
	s_and_b32 s18, s17, vcc_lo
	s_delay_alu instid0(SALU_CYCLE_1)
	s_and_saveexec_b32 s17, s18
	s_cbranch_execz .LBB2086_444
; %bb.443:                              ;   in Loop: Header=BB2086_400 Depth=2
	s_waitcnt lgkmcnt(0)
	v_bcnt_u32_b32 v37, v37, v158
	ds_store_b32 v160, v37
.LBB2086_444:                           ;   in Loop: Header=BB2086_400 Depth=2
	s_or_b32 exec_lo, exec_lo, s17
	v_cmp_lt_i16_e64 vcc_lo, -1, v157
	; wave barrier
	s_delay_alu instid0(VALU_DEP_1) | instskip(NEXT) | instid1(VALU_DEP_1)
	v_cndmask_b32_e64 v37, -1, 0xffff8000, vcc_lo
	v_xor_b32_e32 v157, v37, v157
	s_delay_alu instid0(VALU_DEP_1) | instskip(SKIP_1) | instid1(VALU_DEP_1)
	v_cmp_ne_u16_e64 vcc_lo, 0x7fff, v157
	v_cndmask_b32_e32 v37, 0xffff8000, v157, vcc_lo
	v_and_b32_e32 v37, 0xffff, v37
	s_delay_alu instid0(VALU_DEP_1) | instskip(NEXT) | instid1(VALU_DEP_1)
	v_lshrrev_b32_e32 v37, s48, v37
	v_and_b32_e32 v37, s55, v37
	s_delay_alu instid0(VALU_DEP_1)
	v_and_b32_e32 v162, 1, v37
	v_lshlrev_b32_e32 v163, 30, v37
	v_lshlrev_b32_e32 v164, 29, v37
	;; [unrolled: 1-line block ×4, first 2 shown]
	v_add_co_u32 v162, s17, v162, -1
	s_delay_alu instid0(VALU_DEP_1)
	v_cndmask_b32_e64 v167, 0, 1, s17
	v_not_b32_e32 v173, v163
	v_cmp_gt_i32_e64 s17, 0, v163
	v_not_b32_e32 v163, v164
	v_lshlrev_b32_e32 v171, 26, v37
	v_cmp_ne_u32_e32 vcc_lo, 0, v167
	v_ashrrev_i32_e32 v173, 31, v173
	v_lshlrev_b32_e32 v172, 25, v37
	v_ashrrev_i32_e32 v163, 31, v163
	v_lshlrev_b32_e32 v167, 24, v37
	v_xor_b32_e32 v162, vcc_lo, v162
	v_cmp_gt_i32_e32 vcc_lo, 0, v164
	v_not_b32_e32 v164, v166
	v_xor_b32_e32 v173, s17, v173
	v_cmp_gt_i32_e64 s17, 0, v166
	v_and_b32_e32 v162, exec_lo, v162
	v_not_b32_e32 v166, v168
	v_ashrrev_i32_e32 v164, 31, v164
	v_xor_b32_e32 v163, vcc_lo, v163
	v_cmp_gt_i32_e32 vcc_lo, 0, v168
	v_and_b32_e32 v162, v162, v173
	v_not_b32_e32 v168, v171
	v_ashrrev_i32_e32 v166, 31, v166
	v_xor_b32_e32 v164, s17, v164
	v_cmp_gt_i32_e64 s17, 0, v171
	v_and_b32_e32 v162, v162, v163
	v_not_b32_e32 v163, v172
	v_ashrrev_i32_e32 v168, 31, v168
	v_xor_b32_e32 v166, vcc_lo, v166
	v_cmp_gt_i32_e32 vcc_lo, 0, v172
	v_and_b32_e32 v162, v162, v164
	v_not_b32_e32 v164, v167
	v_ashrrev_i32_e32 v163, 31, v163
	v_xor_b32_e32 v168, s17, v168
	v_mul_u32_u24_e32 v37, 9, v37
	v_and_b32_e32 v162, v162, v166
	v_cmp_gt_i32_e64 s17, 0, v167
	v_ashrrev_i32_e32 v164, 31, v164
	v_xor_b32_e32 v163, vcc_lo, v163
	v_add_lshl_u32 v166, v37, v126, 2
	v_and_b32_e32 v162, v162, v168
	s_delay_alu instid0(VALU_DEP_4) | instskip(NEXT) | instid1(VALU_DEP_3)
	v_xor_b32_e32 v37, s17, v164
	v_add_nc_u32_e32 v164, 0x420, v166
	s_delay_alu instid0(VALU_DEP_3) | instskip(SKIP_2) | instid1(VALU_DEP_1)
	v_and_b32_e32 v163, v162, v163
	ds_load_b32 v162, v166 offset:1056
	; wave barrier
	v_and_b32_e32 v37, v163, v37
	v_mbcnt_lo_u32_b32 v163, v37, 0
	v_cmp_ne_u32_e64 s17, 0, v37
	s_delay_alu instid0(VALU_DEP_2) | instskip(NEXT) | instid1(VALU_DEP_2)
	v_cmp_eq_u32_e32 vcc_lo, 0, v163
	s_and_b32 s18, s17, vcc_lo
	s_delay_alu instid0(SALU_CYCLE_1)
	s_and_saveexec_b32 s17, s18
	s_cbranch_execz .LBB2086_446
; %bb.445:                              ;   in Loop: Header=BB2086_400 Depth=2
	s_waitcnt lgkmcnt(0)
	v_bcnt_u32_b32 v37, v37, v162
	ds_store_b32 v164, v37
.LBB2086_446:                           ;   in Loop: Header=BB2086_400 Depth=2
	s_or_b32 exec_lo, exec_lo, s17
	v_cmp_lt_i16_e64 vcc_lo, -1, v161
	; wave barrier
	s_delay_alu instid0(VALU_DEP_1) | instskip(NEXT) | instid1(VALU_DEP_1)
	v_cndmask_b32_e64 v37, -1, 0xffff8000, vcc_lo
	v_xor_b32_e32 v161, v37, v161
	s_delay_alu instid0(VALU_DEP_1) | instskip(SKIP_1) | instid1(VALU_DEP_1)
	v_cmp_ne_u16_e64 vcc_lo, 0x7fff, v161
	v_cndmask_b32_e32 v37, 0xffff8000, v161, vcc_lo
	v_and_b32_e32 v37, 0xffff, v37
	s_delay_alu instid0(VALU_DEP_1) | instskip(NEXT) | instid1(VALU_DEP_1)
	v_lshrrev_b32_e32 v37, s48, v37
	v_and_b32_e32 v37, s55, v37
	s_delay_alu instid0(VALU_DEP_1)
	v_and_b32_e32 v166, 1, v37
	v_lshlrev_b32_e32 v167, 30, v37
	v_lshlrev_b32_e32 v168, 29, v37
	;; [unrolled: 1-line block ×4, first 2 shown]
	v_add_co_u32 v166, s17, v166, -1
	s_delay_alu instid0(VALU_DEP_1)
	v_cndmask_b32_e64 v172, 0, 1, s17
	v_not_b32_e32 v176, v167
	v_cmp_gt_i32_e64 s17, 0, v167
	v_not_b32_e32 v167, v168
	v_lshlrev_b32_e32 v174, 26, v37
	v_cmp_ne_u32_e32 vcc_lo, 0, v172
	v_ashrrev_i32_e32 v176, 31, v176
	v_lshlrev_b32_e32 v175, 25, v37
	v_ashrrev_i32_e32 v167, 31, v167
	v_lshlrev_b32_e32 v172, 24, v37
	v_xor_b32_e32 v166, vcc_lo, v166
	v_cmp_gt_i32_e32 vcc_lo, 0, v168
	v_not_b32_e32 v168, v171
	v_xor_b32_e32 v176, s17, v176
	v_cmp_gt_i32_e64 s17, 0, v171
	v_and_b32_e32 v166, exec_lo, v166
	v_not_b32_e32 v171, v173
	v_ashrrev_i32_e32 v168, 31, v168
	v_xor_b32_e32 v167, vcc_lo, v167
	v_cmp_gt_i32_e32 vcc_lo, 0, v173
	v_and_b32_e32 v166, v166, v176
	v_not_b32_e32 v173, v174
	v_ashrrev_i32_e32 v171, 31, v171
	v_xor_b32_e32 v168, s17, v168
	v_cmp_gt_i32_e64 s17, 0, v174
	v_and_b32_e32 v166, v166, v167
	v_not_b32_e32 v167, v175
	v_ashrrev_i32_e32 v173, 31, v173
	v_xor_b32_e32 v171, vcc_lo, v171
	v_cmp_gt_i32_e32 vcc_lo, 0, v175
	v_and_b32_e32 v166, v166, v168
	v_not_b32_e32 v168, v172
	v_ashrrev_i32_e32 v167, 31, v167
	v_xor_b32_e32 v173, s17, v173
	v_mul_u32_u24_e32 v37, 9, v37
	v_and_b32_e32 v166, v166, v171
	v_cmp_gt_i32_e64 s17, 0, v172
	v_ashrrev_i32_e32 v168, 31, v168
	v_xor_b32_e32 v167, vcc_lo, v167
	v_add_lshl_u32 v171, v37, v126, 2
	v_and_b32_e32 v166, v166, v173
	s_delay_alu instid0(VALU_DEP_4) | instskip(NEXT) | instid1(VALU_DEP_3)
	v_xor_b32_e32 v37, s17, v168
	v_add_nc_u32_e32 v168, 0x420, v171
	s_delay_alu instid0(VALU_DEP_3) | instskip(SKIP_2) | instid1(VALU_DEP_1)
	v_and_b32_e32 v167, v166, v167
	ds_load_b32 v166, v171 offset:1056
	; wave barrier
	v_and_b32_e32 v37, v167, v37
	v_mbcnt_lo_u32_b32 v167, v37, 0
	v_cmp_ne_u32_e64 s17, 0, v37
	s_delay_alu instid0(VALU_DEP_2) | instskip(NEXT) | instid1(VALU_DEP_2)
	v_cmp_eq_u32_e32 vcc_lo, 0, v167
	s_and_b32 s18, s17, vcc_lo
	s_delay_alu instid0(SALU_CYCLE_1)
	s_and_saveexec_b32 s17, s18
	s_cbranch_execz .LBB2086_448
; %bb.447:                              ;   in Loop: Header=BB2086_400 Depth=2
	s_waitcnt lgkmcnt(0)
	v_bcnt_u32_b32 v37, v37, v166
	ds_store_b32 v168, v37
.LBB2086_448:                           ;   in Loop: Header=BB2086_400 Depth=2
	s_or_b32 exec_lo, exec_lo, s17
	v_cmp_lt_i16_e64 vcc_lo, -1, v165
	; wave barrier
	s_delay_alu instid0(VALU_DEP_1) | instskip(NEXT) | instid1(VALU_DEP_1)
	v_cndmask_b32_e64 v37, -1, 0xffff8000, vcc_lo
	v_xor_b32_e32 v165, v37, v165
	s_delay_alu instid0(VALU_DEP_1) | instskip(SKIP_1) | instid1(VALU_DEP_1)
	v_cmp_ne_u16_e64 vcc_lo, 0x7fff, v165
	v_cndmask_b32_e32 v37, 0xffff8000, v165, vcc_lo
	v_and_b32_e32 v37, 0xffff, v37
	s_delay_alu instid0(VALU_DEP_1) | instskip(NEXT) | instid1(VALU_DEP_1)
	v_lshrrev_b32_e32 v37, s48, v37
	v_and_b32_e32 v37, s55, v37
	s_delay_alu instid0(VALU_DEP_1)
	v_and_b32_e32 v171, 1, v37
	v_lshlrev_b32_e32 v172, 30, v37
	v_lshlrev_b32_e32 v173, 29, v37
	;; [unrolled: 1-line block ×4, first 2 shown]
	v_add_co_u32 v171, s17, v171, -1
	s_delay_alu instid0(VALU_DEP_1)
	v_cndmask_b32_e64 v175, 0, 1, s17
	v_not_b32_e32 v179, v172
	v_cmp_gt_i32_e64 s17, 0, v172
	v_not_b32_e32 v172, v173
	v_lshlrev_b32_e32 v177, 26, v37
	v_cmp_ne_u32_e32 vcc_lo, 0, v175
	v_ashrrev_i32_e32 v179, 31, v179
	v_lshlrev_b32_e32 v178, 25, v37
	v_ashrrev_i32_e32 v172, 31, v172
	v_lshlrev_b32_e32 v175, 24, v37
	v_xor_b32_e32 v171, vcc_lo, v171
	v_cmp_gt_i32_e32 vcc_lo, 0, v173
	v_not_b32_e32 v173, v174
	v_xor_b32_e32 v179, s17, v179
	v_cmp_gt_i32_e64 s17, 0, v174
	v_and_b32_e32 v171, exec_lo, v171
	v_not_b32_e32 v174, v176
	v_ashrrev_i32_e32 v173, 31, v173
	v_xor_b32_e32 v172, vcc_lo, v172
	v_cmp_gt_i32_e32 vcc_lo, 0, v176
	v_and_b32_e32 v171, v171, v179
	v_not_b32_e32 v176, v177
	v_ashrrev_i32_e32 v174, 31, v174
	v_xor_b32_e32 v173, s17, v173
	v_cmp_gt_i32_e64 s17, 0, v177
	v_and_b32_e32 v171, v171, v172
	v_not_b32_e32 v172, v178
	v_ashrrev_i32_e32 v176, 31, v176
	v_xor_b32_e32 v174, vcc_lo, v174
	v_cmp_gt_i32_e32 vcc_lo, 0, v178
	v_and_b32_e32 v171, v171, v173
	v_not_b32_e32 v173, v175
	v_ashrrev_i32_e32 v172, 31, v172
	v_xor_b32_e32 v176, s17, v176
	v_mul_u32_u24_e32 v37, 9, v37
	v_and_b32_e32 v171, v171, v174
	v_cmp_gt_i32_e64 s17, 0, v175
	v_ashrrev_i32_e32 v173, 31, v173
	v_xor_b32_e32 v172, vcc_lo, v172
	v_add_lshl_u32 v174, v37, v126, 2
	v_and_b32_e32 v171, v171, v176
	s_delay_alu instid0(VALU_DEP_4) | instskip(NEXT) | instid1(VALU_DEP_3)
	v_xor_b32_e32 v37, s17, v173
	v_add_nc_u32_e32 v173, 0x420, v174
	s_delay_alu instid0(VALU_DEP_3) | instskip(SKIP_2) | instid1(VALU_DEP_1)
	v_and_b32_e32 v172, v171, v172
	ds_load_b32 v171, v174 offset:1056
	; wave barrier
	v_and_b32_e32 v37, v172, v37
	v_mbcnt_lo_u32_b32 v172, v37, 0
	v_cmp_ne_u32_e64 s17, 0, v37
	s_delay_alu instid0(VALU_DEP_2) | instskip(NEXT) | instid1(VALU_DEP_2)
	v_cmp_eq_u32_e32 vcc_lo, 0, v172
	s_and_b32 s18, s17, vcc_lo
	s_delay_alu instid0(SALU_CYCLE_1)
	s_and_saveexec_b32 s17, s18
	s_cbranch_execz .LBB2086_450
; %bb.449:                              ;   in Loop: Header=BB2086_400 Depth=2
	s_waitcnt lgkmcnt(0)
	v_bcnt_u32_b32 v37, v37, v171
	ds_store_b32 v173, v37
.LBB2086_450:                           ;   in Loop: Header=BB2086_400 Depth=2
	s_or_b32 exec_lo, exec_lo, s17
	v_cmp_lt_i16_e64 vcc_lo, -1, v170
	; wave barrier
	s_delay_alu instid0(VALU_DEP_1) | instskip(NEXT) | instid1(VALU_DEP_1)
	v_cndmask_b32_e64 v37, -1, 0xffff8000, vcc_lo
	v_xor_b32_e32 v170, v37, v170
	s_delay_alu instid0(VALU_DEP_1) | instskip(SKIP_1) | instid1(VALU_DEP_1)
	v_cmp_ne_u16_e64 vcc_lo, 0x7fff, v170
	v_cndmask_b32_e32 v37, 0xffff8000, v170, vcc_lo
	v_and_b32_e32 v37, 0xffff, v37
	s_delay_alu instid0(VALU_DEP_1) | instskip(NEXT) | instid1(VALU_DEP_1)
	v_lshrrev_b32_e32 v37, s48, v37
	v_and_b32_e32 v37, s55, v37
	s_delay_alu instid0(VALU_DEP_1)
	v_and_b32_e32 v174, 1, v37
	v_lshlrev_b32_e32 v175, 30, v37
	v_lshlrev_b32_e32 v176, 29, v37
	;; [unrolled: 1-line block ×4, first 2 shown]
	v_add_co_u32 v174, s17, v174, -1
	s_delay_alu instid0(VALU_DEP_1)
	v_cndmask_b32_e64 v178, 0, 1, s17
	v_not_b32_e32 v182, v175
	v_cmp_gt_i32_e64 s17, 0, v175
	v_not_b32_e32 v175, v176
	v_lshlrev_b32_e32 v180, 26, v37
	v_cmp_ne_u32_e32 vcc_lo, 0, v178
	v_ashrrev_i32_e32 v182, 31, v182
	v_lshlrev_b32_e32 v181, 25, v37
	v_ashrrev_i32_e32 v175, 31, v175
	v_lshlrev_b32_e32 v178, 24, v37
	v_xor_b32_e32 v174, vcc_lo, v174
	v_cmp_gt_i32_e32 vcc_lo, 0, v176
	v_not_b32_e32 v176, v177
	v_xor_b32_e32 v182, s17, v182
	v_cmp_gt_i32_e64 s17, 0, v177
	v_and_b32_e32 v174, exec_lo, v174
	v_not_b32_e32 v177, v179
	v_ashrrev_i32_e32 v176, 31, v176
	v_xor_b32_e32 v175, vcc_lo, v175
	v_cmp_gt_i32_e32 vcc_lo, 0, v179
	v_and_b32_e32 v174, v174, v182
	v_not_b32_e32 v179, v180
	v_ashrrev_i32_e32 v177, 31, v177
	v_xor_b32_e32 v176, s17, v176
	v_cmp_gt_i32_e64 s17, 0, v180
	v_and_b32_e32 v174, v174, v175
	v_not_b32_e32 v175, v181
	v_ashrrev_i32_e32 v179, 31, v179
	v_xor_b32_e32 v177, vcc_lo, v177
	v_cmp_gt_i32_e32 vcc_lo, 0, v181
	v_and_b32_e32 v174, v174, v176
	v_not_b32_e32 v176, v178
	v_ashrrev_i32_e32 v175, 31, v175
	v_xor_b32_e32 v179, s17, v179
	v_mul_u32_u24_e32 v37, 9, v37
	v_and_b32_e32 v174, v174, v177
	v_cmp_gt_i32_e64 s17, 0, v178
	v_ashrrev_i32_e32 v176, 31, v176
	v_xor_b32_e32 v175, vcc_lo, v175
	v_add_lshl_u32 v177, v37, v126, 2
	v_and_b32_e32 v174, v174, v179
	s_delay_alu instid0(VALU_DEP_4) | instskip(NEXT) | instid1(VALU_DEP_3)
	v_xor_b32_e32 v37, s17, v176
	v_add_nc_u32_e32 v176, 0x420, v177
	s_delay_alu instid0(VALU_DEP_3) | instskip(SKIP_2) | instid1(VALU_DEP_1)
	v_and_b32_e32 v175, v174, v175
	ds_load_b32 v174, v177 offset:1056
	; wave barrier
	v_and_b32_e32 v37, v175, v37
	v_mbcnt_lo_u32_b32 v175, v37, 0
	v_cmp_ne_u32_e64 s17, 0, v37
	s_delay_alu instid0(VALU_DEP_2) | instskip(NEXT) | instid1(VALU_DEP_2)
	v_cmp_eq_u32_e32 vcc_lo, 0, v175
	s_and_b32 s18, s17, vcc_lo
	s_delay_alu instid0(SALU_CYCLE_1)
	s_and_saveexec_b32 s17, s18
	s_cbranch_execz .LBB2086_452
; %bb.451:                              ;   in Loop: Header=BB2086_400 Depth=2
	s_waitcnt lgkmcnt(0)
	v_bcnt_u32_b32 v37, v37, v174
	ds_store_b32 v176, v37
.LBB2086_452:                           ;   in Loop: Header=BB2086_400 Depth=2
	s_or_b32 exec_lo, exec_lo, s17
	v_cmp_lt_i16_e64 vcc_lo, -1, v169
	; wave barrier
	s_delay_alu instid0(VALU_DEP_1) | instskip(NEXT) | instid1(VALU_DEP_1)
	v_cndmask_b32_e64 v37, -1, 0xffff8000, vcc_lo
	v_xor_b32_e32 v169, v37, v169
	s_delay_alu instid0(VALU_DEP_1) | instskip(SKIP_1) | instid1(VALU_DEP_1)
	v_cmp_ne_u16_e64 vcc_lo, 0x7fff, v169
	v_cndmask_b32_e32 v37, 0xffff8000, v169, vcc_lo
	v_and_b32_e32 v37, 0xffff, v37
	s_delay_alu instid0(VALU_DEP_1) | instskip(NEXT) | instid1(VALU_DEP_1)
	v_lshrrev_b32_e32 v37, s48, v37
	v_and_b32_e32 v37, s55, v37
	s_delay_alu instid0(VALU_DEP_1)
	v_and_b32_e32 v177, 1, v37
	v_lshlrev_b32_e32 v178, 30, v37
	v_lshlrev_b32_e32 v179, 29, v37
	;; [unrolled: 1-line block ×4, first 2 shown]
	v_add_co_u32 v177, s17, v177, -1
	s_delay_alu instid0(VALU_DEP_1)
	v_cndmask_b32_e64 v181, 0, 1, s17
	v_not_b32_e32 v185, v178
	v_cmp_gt_i32_e64 s17, 0, v178
	v_not_b32_e32 v178, v179
	v_lshlrev_b32_e32 v183, 26, v37
	v_cmp_ne_u32_e32 vcc_lo, 0, v181
	v_ashrrev_i32_e32 v185, 31, v185
	v_lshlrev_b32_e32 v184, 25, v37
	v_ashrrev_i32_e32 v178, 31, v178
	v_lshlrev_b32_e32 v181, 24, v37
	v_xor_b32_e32 v177, vcc_lo, v177
	v_cmp_gt_i32_e32 vcc_lo, 0, v179
	v_not_b32_e32 v179, v180
	v_xor_b32_e32 v185, s17, v185
	v_cmp_gt_i32_e64 s17, 0, v180
	v_and_b32_e32 v177, exec_lo, v177
	v_not_b32_e32 v180, v182
	v_ashrrev_i32_e32 v179, 31, v179
	v_xor_b32_e32 v178, vcc_lo, v178
	v_cmp_gt_i32_e32 vcc_lo, 0, v182
	v_and_b32_e32 v177, v177, v185
	v_not_b32_e32 v182, v183
	v_ashrrev_i32_e32 v180, 31, v180
	v_xor_b32_e32 v179, s17, v179
	v_cmp_gt_i32_e64 s17, 0, v183
	v_and_b32_e32 v177, v177, v178
	v_not_b32_e32 v178, v184
	v_ashrrev_i32_e32 v182, 31, v182
	v_xor_b32_e32 v180, vcc_lo, v180
	v_cmp_gt_i32_e32 vcc_lo, 0, v184
	v_and_b32_e32 v177, v177, v179
	v_not_b32_e32 v179, v181
	v_ashrrev_i32_e32 v178, 31, v178
	v_xor_b32_e32 v182, s17, v182
	v_mul_u32_u24_e32 v37, 9, v37
	v_and_b32_e32 v177, v177, v180
	v_cmp_gt_i32_e64 s17, 0, v181
	v_ashrrev_i32_e32 v179, 31, v179
	v_xor_b32_e32 v178, vcc_lo, v178
	v_add_lshl_u32 v180, v37, v126, 2
	v_and_b32_e32 v177, v177, v182
	s_delay_alu instid0(VALU_DEP_4) | instskip(NEXT) | instid1(VALU_DEP_2)
	v_xor_b32_e32 v37, s17, v179
	v_and_b32_e32 v177, v177, v178
	ds_load_b32 v178, v180 offset:1056
	v_add_nc_u32_e32 v180, 0x420, v180
	; wave barrier
	v_and_b32_e32 v37, v177, v37
	s_delay_alu instid0(VALU_DEP_1) | instskip(SKIP_1) | instid1(VALU_DEP_2)
	v_mbcnt_lo_u32_b32 v179, v37, 0
	v_cmp_ne_u32_e64 s17, 0, v37
	v_cmp_eq_u32_e32 vcc_lo, 0, v179
	s_delay_alu instid0(VALU_DEP_2) | instskip(NEXT) | instid1(SALU_CYCLE_1)
	s_and_b32 s18, s17, vcc_lo
	s_and_saveexec_b32 s17, s18
	s_cbranch_execz .LBB2086_454
; %bb.453:                              ;   in Loop: Header=BB2086_400 Depth=2
	s_waitcnt lgkmcnt(0)
	v_bcnt_u32_b32 v37, v37, v178
	ds_store_b32 v180, v37
.LBB2086_454:                           ;   in Loop: Header=BB2086_400 Depth=2
	s_or_b32 exec_lo, exec_lo, s17
	v_cmp_lt_i16_e32 vcc_lo, -1, v43
	; wave barrier
	v_cndmask_b32_e64 v37, -1, 0xffff8000, vcc_lo
	s_delay_alu instid0(VALU_DEP_1) | instskip(NEXT) | instid1(VALU_DEP_1)
	v_xor_b32_e32 v177, v37, v43
	v_cmp_ne_u16_e64 vcc_lo, 0x7fff, v177
	v_cndmask_b32_e32 v37, 0xffff8000, v177, vcc_lo
	s_delay_alu instid0(VALU_DEP_1) | instskip(NEXT) | instid1(VALU_DEP_1)
	v_and_b32_e32 v37, 0xffff, v37
	v_lshrrev_b32_e32 v37, s48, v37
	s_delay_alu instid0(VALU_DEP_1) | instskip(NEXT) | instid1(VALU_DEP_1)
	v_and_b32_e32 v37, s55, v37
	v_and_b32_e32 v43, 1, v37
	v_lshlrev_b32_e32 v181, 30, v37
	v_lshlrev_b32_e32 v182, 29, v37
	;; [unrolled: 1-line block ×4, first 2 shown]
	v_add_co_u32 v43, s17, v43, -1
	s_delay_alu instid0(VALU_DEP_1)
	v_cndmask_b32_e64 v184, 0, 1, s17
	v_not_b32_e32 v188, v181
	v_cmp_gt_i32_e64 s17, 0, v181
	v_not_b32_e32 v181, v182
	v_lshlrev_b32_e32 v186, 26, v37
	v_cmp_ne_u32_e32 vcc_lo, 0, v184
	v_ashrrev_i32_e32 v188, 31, v188
	v_lshlrev_b32_e32 v187, 25, v37
	v_ashrrev_i32_e32 v181, 31, v181
	v_lshlrev_b32_e32 v184, 24, v37
	v_xor_b32_e32 v43, vcc_lo, v43
	v_cmp_gt_i32_e32 vcc_lo, 0, v182
	v_not_b32_e32 v182, v183
	v_xor_b32_e32 v188, s17, v188
	v_cmp_gt_i32_e64 s17, 0, v183
	v_and_b32_e32 v43, exec_lo, v43
	v_not_b32_e32 v183, v185
	v_ashrrev_i32_e32 v182, 31, v182
	v_xor_b32_e32 v181, vcc_lo, v181
	v_cmp_gt_i32_e32 vcc_lo, 0, v185
	v_and_b32_e32 v43, v43, v188
	v_not_b32_e32 v185, v186
	v_ashrrev_i32_e32 v183, 31, v183
	v_xor_b32_e32 v182, s17, v182
	v_cmp_gt_i32_e64 s17, 0, v186
	v_and_b32_e32 v43, v43, v181
	v_not_b32_e32 v181, v187
	v_ashrrev_i32_e32 v185, 31, v185
	v_xor_b32_e32 v183, vcc_lo, v183
	v_cmp_gt_i32_e32 vcc_lo, 0, v187
	v_and_b32_e32 v43, v43, v182
	v_not_b32_e32 v182, v184
	v_ashrrev_i32_e32 v181, 31, v181
	v_xor_b32_e32 v185, s17, v185
	v_mul_u32_u24_e32 v37, 9, v37
	v_and_b32_e32 v43, v43, v183
	v_cmp_gt_i32_e64 s17, 0, v184
	v_ashrrev_i32_e32 v182, 31, v182
	v_xor_b32_e32 v181, vcc_lo, v181
	v_add_lshl_u32 v184, v37, v126, 2
	v_and_b32_e32 v43, v43, v185
	s_delay_alu instid0(VALU_DEP_4) | instskip(SKIP_3) | instid1(VALU_DEP_2)
	v_xor_b32_e32 v37, s17, v182
	ds_load_b32 v182, v184 offset:1056
	v_and_b32_e32 v43, v43, v181
	v_add_nc_u32_e32 v184, 0x420, v184
	; wave barrier
	v_and_b32_e32 v37, v43, v37
	s_delay_alu instid0(VALU_DEP_1) | instskip(SKIP_1) | instid1(VALU_DEP_2)
	v_mbcnt_lo_u32_b32 v183, v37, 0
	v_cmp_ne_u32_e64 s17, 0, v37
	v_cmp_eq_u32_e32 vcc_lo, 0, v183
	s_delay_alu instid0(VALU_DEP_2) | instskip(NEXT) | instid1(SALU_CYCLE_1)
	s_and_b32 s18, s17, vcc_lo
	s_and_saveexec_b32 s17, s18
	s_cbranch_execz .LBB2086_456
; %bb.455:                              ;   in Loop: Header=BB2086_400 Depth=2
	s_waitcnt lgkmcnt(0)
	v_bcnt_u32_b32 v37, v37, v182
	ds_store_b32 v184, v37
.LBB2086_456:                           ;   in Loop: Header=BB2086_400 Depth=2
	s_or_b32 exec_lo, exec_lo, s17
	v_cmp_lt_i16_e32 vcc_lo, -1, v42
	; wave barrier
	v_cndmask_b32_e64 v37, -1, 0xffff8000, vcc_lo
	s_delay_alu instid0(VALU_DEP_1) | instskip(NEXT) | instid1(VALU_DEP_1)
	v_xor_b32_e32 v181, v37, v42
	v_cmp_ne_u16_e64 vcc_lo, 0x7fff, v181
	v_cndmask_b32_e32 v37, 0xffff8000, v181, vcc_lo
	s_delay_alu instid0(VALU_DEP_1) | instskip(NEXT) | instid1(VALU_DEP_1)
	v_and_b32_e32 v37, 0xffff, v37
	v_lshrrev_b32_e32 v37, s48, v37
	s_delay_alu instid0(VALU_DEP_1) | instskip(NEXT) | instid1(VALU_DEP_1)
	v_and_b32_e32 v37, s55, v37
	v_and_b32_e32 v42, 1, v37
	v_lshlrev_b32_e32 v43, 30, v37
	v_lshlrev_b32_e32 v185, 29, v37
	;; [unrolled: 1-line block ×4, first 2 shown]
	v_add_co_u32 v42, s17, v42, -1
	s_delay_alu instid0(VALU_DEP_1)
	v_cndmask_b32_e64 v187, 0, 1, s17
	v_not_b32_e32 v191, v43
	v_cmp_gt_i32_e64 s17, 0, v43
	v_not_b32_e32 v43, v185
	v_lshlrev_b32_e32 v189, 26, v37
	v_cmp_ne_u32_e32 vcc_lo, 0, v187
	v_ashrrev_i32_e32 v191, 31, v191
	v_lshlrev_b32_e32 v190, 25, v37
	v_ashrrev_i32_e32 v43, 31, v43
	v_lshlrev_b32_e32 v187, 24, v37
	v_xor_b32_e32 v42, vcc_lo, v42
	v_cmp_gt_i32_e32 vcc_lo, 0, v185
	v_not_b32_e32 v185, v186
	v_xor_b32_e32 v191, s17, v191
	v_cmp_gt_i32_e64 s17, 0, v186
	v_and_b32_e32 v42, exec_lo, v42
	v_not_b32_e32 v186, v188
	v_ashrrev_i32_e32 v185, 31, v185
	v_xor_b32_e32 v43, vcc_lo, v43
	v_cmp_gt_i32_e32 vcc_lo, 0, v188
	v_and_b32_e32 v42, v42, v191
	v_not_b32_e32 v188, v189
	v_ashrrev_i32_e32 v186, 31, v186
	v_xor_b32_e32 v185, s17, v185
	v_cmp_gt_i32_e64 s17, 0, v189
	v_and_b32_e32 v42, v42, v43
	v_not_b32_e32 v43, v190
	v_ashrrev_i32_e32 v188, 31, v188
	v_xor_b32_e32 v186, vcc_lo, v186
	v_cmp_gt_i32_e32 vcc_lo, 0, v190
	v_and_b32_e32 v42, v42, v185
	v_not_b32_e32 v185, v187
	v_ashrrev_i32_e32 v43, 31, v43
	v_xor_b32_e32 v188, s17, v188
	v_mul_u32_u24_e32 v37, 9, v37
	v_and_b32_e32 v42, v42, v186
	v_cmp_gt_i32_e64 s17, 0, v187
	v_ashrrev_i32_e32 v185, 31, v185
	v_xor_b32_e32 v43, vcc_lo, v43
	s_delay_alu instid0(VALU_DEP_4) | instskip(SKIP_1) | instid1(VALU_DEP_4)
	v_and_b32_e32 v42, v42, v188
	v_add_lshl_u32 v188, v37, v126, 2
	v_xor_b32_e32 v37, s17, v185
	s_delay_alu instid0(VALU_DEP_3) | instskip(SKIP_3) | instid1(VALU_DEP_1)
	v_and_b32_e32 v42, v42, v43
	ds_load_b32 v186, v188 offset:1056
	v_add_nc_u32_e32 v188, 0x420, v188
	; wave barrier
	v_and_b32_e32 v37, v42, v37
	v_mbcnt_lo_u32_b32 v187, v37, 0
	v_cmp_ne_u32_e64 s17, 0, v37
	s_delay_alu instid0(VALU_DEP_2) | instskip(NEXT) | instid1(VALU_DEP_2)
	v_cmp_eq_u32_e32 vcc_lo, 0, v187
	s_and_b32 s18, s17, vcc_lo
	s_delay_alu instid0(SALU_CYCLE_1)
	s_and_saveexec_b32 s17, s18
	s_cbranch_execz .LBB2086_458
; %bb.457:                              ;   in Loop: Header=BB2086_400 Depth=2
	s_waitcnt lgkmcnt(0)
	v_bcnt_u32_b32 v37, v37, v186
	ds_store_b32 v188, v37
.LBB2086_458:                           ;   in Loop: Header=BB2086_400 Depth=2
	s_or_b32 exec_lo, exec_lo, s17
	v_cmp_lt_i16_e32 vcc_lo, -1, v41
	; wave barrier
	v_cndmask_b32_e64 v37, -1, 0xffff8000, vcc_lo
	s_delay_alu instid0(VALU_DEP_1) | instskip(NEXT) | instid1(VALU_DEP_1)
	v_xor_b32_e32 v185, v37, v41
	v_cmp_ne_u16_e64 vcc_lo, 0x7fff, v185
	v_cndmask_b32_e32 v37, 0xffff8000, v185, vcc_lo
	s_delay_alu instid0(VALU_DEP_1) | instskip(NEXT) | instid1(VALU_DEP_1)
	v_and_b32_e32 v37, 0xffff, v37
	v_lshrrev_b32_e32 v37, s48, v37
	s_delay_alu instid0(VALU_DEP_1) | instskip(NEXT) | instid1(VALU_DEP_1)
	v_and_b32_e32 v37, s55, v37
	v_and_b32_e32 v41, 1, v37
	v_lshlrev_b32_e32 v42, 30, v37
	v_lshlrev_b32_e32 v43, 29, v37
	;; [unrolled: 1-line block ×4, first 2 shown]
	v_add_co_u32 v41, s17, v41, -1
	s_delay_alu instid0(VALU_DEP_1)
	v_cndmask_b32_e64 v190, 0, 1, s17
	v_not_b32_e32 v194, v42
	v_cmp_gt_i32_e64 s17, 0, v42
	v_not_b32_e32 v42, v43
	v_lshlrev_b32_e32 v192, 26, v37
	v_cmp_ne_u32_e32 vcc_lo, 0, v190
	v_ashrrev_i32_e32 v194, 31, v194
	v_lshlrev_b32_e32 v193, 25, v37
	v_ashrrev_i32_e32 v42, 31, v42
	v_lshlrev_b32_e32 v190, 24, v37
	v_xor_b32_e32 v41, vcc_lo, v41
	v_cmp_gt_i32_e32 vcc_lo, 0, v43
	v_not_b32_e32 v43, v189
	v_xor_b32_e32 v194, s17, v194
	v_cmp_gt_i32_e64 s17, 0, v189
	v_and_b32_e32 v41, exec_lo, v41
	v_not_b32_e32 v189, v191
	v_ashrrev_i32_e32 v43, 31, v43
	v_xor_b32_e32 v42, vcc_lo, v42
	v_cmp_gt_i32_e32 vcc_lo, 0, v191
	v_and_b32_e32 v41, v41, v194
	v_not_b32_e32 v191, v192
	v_ashrrev_i32_e32 v189, 31, v189
	v_xor_b32_e32 v43, s17, v43
	v_cmp_gt_i32_e64 s17, 0, v192
	v_and_b32_e32 v41, v41, v42
	v_not_b32_e32 v42, v193
	v_ashrrev_i32_e32 v191, 31, v191
	v_xor_b32_e32 v189, vcc_lo, v189
	v_cmp_gt_i32_e32 vcc_lo, 0, v193
	v_and_b32_e32 v41, v41, v43
	v_not_b32_e32 v43, v190
	v_ashrrev_i32_e32 v42, 31, v42
	v_xor_b32_e32 v191, s17, v191
	v_mul_u32_u24_e32 v37, 9, v37
	v_and_b32_e32 v41, v41, v189
	v_cmp_gt_i32_e64 s17, 0, v190
	v_ashrrev_i32_e32 v43, 31, v43
	v_xor_b32_e32 v42, vcc_lo, v42
	v_add_lshl_u32 v189, v37, v126, 2
	v_and_b32_e32 v41, v41, v191
	s_delay_alu instid0(VALU_DEP_4) | instskip(SKIP_3) | instid1(VALU_DEP_2)
	v_xor_b32_e32 v37, s17, v43
	ds_load_b32 v190, v189 offset:1056
	v_and_b32_e32 v41, v41, v42
	v_add_nc_u32_e32 v192, 0x420, v189
	; wave barrier
	v_and_b32_e32 v37, v41, v37
	s_delay_alu instid0(VALU_DEP_1) | instskip(SKIP_1) | instid1(VALU_DEP_2)
	v_mbcnt_lo_u32_b32 v191, v37, 0
	v_cmp_ne_u32_e64 s17, 0, v37
	v_cmp_eq_u32_e32 vcc_lo, 0, v191
	s_delay_alu instid0(VALU_DEP_2) | instskip(NEXT) | instid1(SALU_CYCLE_1)
	s_and_b32 s18, s17, vcc_lo
	s_and_saveexec_b32 s17, s18
	s_cbranch_execz .LBB2086_460
; %bb.459:                              ;   in Loop: Header=BB2086_400 Depth=2
	s_waitcnt lgkmcnt(0)
	v_bcnt_u32_b32 v37, v37, v190
	ds_store_b32 v192, v37
.LBB2086_460:                           ;   in Loop: Header=BB2086_400 Depth=2
	s_or_b32 exec_lo, exec_lo, s17
	v_cmp_lt_i16_e32 vcc_lo, -1, v40
	; wave barrier
	v_cndmask_b32_e64 v37, -1, 0xffff8000, vcc_lo
	s_delay_alu instid0(VALU_DEP_1) | instskip(NEXT) | instid1(VALU_DEP_1)
	v_xor_b32_e32 v189, v37, v40
	v_cmp_ne_u16_e64 vcc_lo, 0x7fff, v189
	v_cndmask_b32_e32 v37, 0xffff8000, v189, vcc_lo
	s_delay_alu instid0(VALU_DEP_1) | instskip(NEXT) | instid1(VALU_DEP_1)
	v_and_b32_e32 v37, 0xffff, v37
	v_lshrrev_b32_e32 v37, s48, v37
	s_delay_alu instid0(VALU_DEP_1) | instskip(NEXT) | instid1(VALU_DEP_1)
	v_and_b32_e32 v37, s55, v37
	v_and_b32_e32 v40, 1, v37
	v_lshlrev_b32_e32 v41, 30, v37
	v_lshlrev_b32_e32 v42, 29, v37
	;; [unrolled: 1-line block ×4, first 2 shown]
	v_add_co_u32 v40, s17, v40, -1
	s_delay_alu instid0(VALU_DEP_1)
	v_cndmask_b32_e64 v193, 0, 1, s17
	v_not_b32_e32 v197, v41
	v_cmp_gt_i32_e64 s17, 0, v41
	v_not_b32_e32 v41, v42
	v_lshlrev_b32_e32 v195, 26, v37
	v_cmp_ne_u32_e32 vcc_lo, 0, v193
	v_ashrrev_i32_e32 v197, 31, v197
	v_lshlrev_b32_e32 v196, 25, v37
	v_ashrrev_i32_e32 v41, 31, v41
	v_lshlrev_b32_e32 v193, 24, v37
	v_xor_b32_e32 v40, vcc_lo, v40
	v_cmp_gt_i32_e32 vcc_lo, 0, v42
	v_not_b32_e32 v42, v43
	v_xor_b32_e32 v197, s17, v197
	v_cmp_gt_i32_e64 s17, 0, v43
	v_and_b32_e32 v40, exec_lo, v40
	v_not_b32_e32 v43, v194
	v_ashrrev_i32_e32 v42, 31, v42
	v_xor_b32_e32 v41, vcc_lo, v41
	v_cmp_gt_i32_e32 vcc_lo, 0, v194
	v_and_b32_e32 v40, v40, v197
	v_not_b32_e32 v194, v195
	v_ashrrev_i32_e32 v43, 31, v43
	v_xor_b32_e32 v42, s17, v42
	v_cmp_gt_i32_e64 s17, 0, v195
	v_and_b32_e32 v40, v40, v41
	v_not_b32_e32 v41, v196
	v_ashrrev_i32_e32 v194, 31, v194
	v_xor_b32_e32 v43, vcc_lo, v43
	v_cmp_gt_i32_e32 vcc_lo, 0, v196
	v_and_b32_e32 v40, v40, v42
	v_not_b32_e32 v42, v193
	v_ashrrev_i32_e32 v41, 31, v41
	v_xor_b32_e32 v194, s17, v194
	v_mul_u32_u24_e32 v37, 9, v37
	v_and_b32_e32 v40, v40, v43
	v_cmp_gt_i32_e64 s17, 0, v193
	v_ashrrev_i32_e32 v42, 31, v42
	v_xor_b32_e32 v41, vcc_lo, v41
	v_add_lshl_u32 v43, v37, v126, 2
	v_and_b32_e32 v40, v40, v194
	s_delay_alu instid0(VALU_DEP_4) | instskip(SKIP_3) | instid1(VALU_DEP_2)
	v_xor_b32_e32 v37, s17, v42
	ds_load_b32 v194, v43 offset:1056
	v_and_b32_e32 v40, v40, v41
	v_add_nc_u32_e32 v196, 0x420, v43
	; wave barrier
	v_and_b32_e32 v37, v40, v37
	s_delay_alu instid0(VALU_DEP_1) | instskip(SKIP_1) | instid1(VALU_DEP_2)
	v_mbcnt_lo_u32_b32 v195, v37, 0
	v_cmp_ne_u32_e64 s17, 0, v37
	v_cmp_eq_u32_e32 vcc_lo, 0, v195
	s_delay_alu instid0(VALU_DEP_2) | instskip(NEXT) | instid1(SALU_CYCLE_1)
	s_and_b32 s18, s17, vcc_lo
	s_and_saveexec_b32 s17, s18
	s_cbranch_execz .LBB2086_462
; %bb.461:                              ;   in Loop: Header=BB2086_400 Depth=2
	s_waitcnt lgkmcnt(0)
	v_bcnt_u32_b32 v37, v37, v194
	ds_store_b32 v196, v37
.LBB2086_462:                           ;   in Loop: Header=BB2086_400 Depth=2
	s_or_b32 exec_lo, exec_lo, s17
	v_cmp_lt_i16_e32 vcc_lo, -1, v39
	; wave barrier
	v_cndmask_b32_e64 v37, -1, 0xffff8000, vcc_lo
	s_delay_alu instid0(VALU_DEP_1) | instskip(NEXT) | instid1(VALU_DEP_1)
	v_xor_b32_e32 v193, v37, v39
	v_cmp_ne_u16_e64 vcc_lo, 0x7fff, v193
	v_cndmask_b32_e32 v37, 0xffff8000, v193, vcc_lo
	s_delay_alu instid0(VALU_DEP_1) | instskip(NEXT) | instid1(VALU_DEP_1)
	v_and_b32_e32 v37, 0xffff, v37
	v_lshrrev_b32_e32 v37, s48, v37
	s_delay_alu instid0(VALU_DEP_1) | instskip(NEXT) | instid1(VALU_DEP_1)
	v_and_b32_e32 v37, s55, v37
	v_and_b32_e32 v39, 1, v37
	v_lshlrev_b32_e32 v40, 30, v37
	v_lshlrev_b32_e32 v41, 29, v37
	;; [unrolled: 1-line block ×4, first 2 shown]
	v_add_co_u32 v39, s17, v39, -1
	s_delay_alu instid0(VALU_DEP_1)
	v_cndmask_b32_e64 v43, 0, 1, s17
	v_not_b32_e32 v200, v40
	v_cmp_gt_i32_e64 s17, 0, v40
	v_not_b32_e32 v40, v41
	v_lshlrev_b32_e32 v198, 26, v37
	v_cmp_ne_u32_e32 vcc_lo, 0, v43
	v_ashrrev_i32_e32 v200, 31, v200
	v_lshlrev_b32_e32 v199, 25, v37
	v_ashrrev_i32_e32 v40, 31, v40
	v_lshlrev_b32_e32 v43, 24, v37
	v_xor_b32_e32 v39, vcc_lo, v39
	v_cmp_gt_i32_e32 vcc_lo, 0, v41
	v_not_b32_e32 v41, v42
	v_xor_b32_e32 v200, s17, v200
	v_cmp_gt_i32_e64 s17, 0, v42
	v_and_b32_e32 v39, exec_lo, v39
	v_not_b32_e32 v42, v197
	v_ashrrev_i32_e32 v41, 31, v41
	v_xor_b32_e32 v40, vcc_lo, v40
	v_cmp_gt_i32_e32 vcc_lo, 0, v197
	v_and_b32_e32 v39, v39, v200
	v_not_b32_e32 v197, v198
	v_ashrrev_i32_e32 v42, 31, v42
	v_xor_b32_e32 v41, s17, v41
	v_cmp_gt_i32_e64 s17, 0, v198
	v_and_b32_e32 v39, v39, v40
	v_not_b32_e32 v40, v199
	v_ashrrev_i32_e32 v197, 31, v197
	v_xor_b32_e32 v42, vcc_lo, v42
	v_cmp_gt_i32_e32 vcc_lo, 0, v199
	v_and_b32_e32 v39, v39, v41
	v_not_b32_e32 v41, v43
	v_ashrrev_i32_e32 v40, 31, v40
	v_xor_b32_e32 v197, s17, v197
	v_mul_u32_u24_e32 v37, 9, v37
	v_and_b32_e32 v39, v39, v42
	v_cmp_gt_i32_e64 s17, 0, v43
	v_ashrrev_i32_e32 v41, 31, v41
	v_xor_b32_e32 v40, vcc_lo, v40
	v_add_lshl_u32 v42, v37, v126, 2
	v_and_b32_e32 v39, v39, v197
	s_delay_alu instid0(VALU_DEP_4) | instskip(SKIP_3) | instid1(VALU_DEP_2)
	v_xor_b32_e32 v37, s17, v41
	ds_load_b32 v198, v42 offset:1056
	v_and_b32_e32 v39, v39, v40
	v_add_nc_u32_e32 v200, 0x420, v42
	; wave barrier
	v_and_b32_e32 v37, v39, v37
	s_delay_alu instid0(VALU_DEP_1) | instskip(SKIP_1) | instid1(VALU_DEP_2)
	v_mbcnt_lo_u32_b32 v199, v37, 0
	v_cmp_ne_u32_e64 s17, 0, v37
	v_cmp_eq_u32_e32 vcc_lo, 0, v199
	s_delay_alu instid0(VALU_DEP_2) | instskip(NEXT) | instid1(SALU_CYCLE_1)
	s_and_b32 s18, s17, vcc_lo
	s_and_saveexec_b32 s17, s18
	s_cbranch_execz .LBB2086_464
; %bb.463:                              ;   in Loop: Header=BB2086_400 Depth=2
	s_waitcnt lgkmcnt(0)
	v_bcnt_u32_b32 v37, v37, v198
	ds_store_b32 v200, v37
.LBB2086_464:                           ;   in Loop: Header=BB2086_400 Depth=2
	s_or_b32 exec_lo, exec_lo, s17
	v_cmp_lt_i16_e32 vcc_lo, -1, v38
	; wave barrier
	v_cndmask_b32_e64 v37, -1, 0xffff8000, vcc_lo
	s_delay_alu instid0(VALU_DEP_1) | instskip(NEXT) | instid1(VALU_DEP_1)
	v_xor_b32_e32 v197, v37, v38
	v_cmp_ne_u16_e64 vcc_lo, 0x7fff, v197
	v_cndmask_b32_e32 v37, 0xffff8000, v197, vcc_lo
	s_delay_alu instid0(VALU_DEP_1) | instskip(NEXT) | instid1(VALU_DEP_1)
	v_and_b32_e32 v37, 0xffff, v37
	v_lshrrev_b32_e32 v37, s48, v37
	s_delay_alu instid0(VALU_DEP_1) | instskip(NEXT) | instid1(VALU_DEP_1)
	v_and_b32_e32 v37, s55, v37
	v_and_b32_e32 v38, 1, v37
	v_lshlrev_b32_e32 v39, 30, v37
	v_lshlrev_b32_e32 v40, 29, v37
	;; [unrolled: 1-line block ×4, first 2 shown]
	v_add_co_u32 v38, s17, v38, -1
	s_delay_alu instid0(VALU_DEP_1)
	v_cndmask_b32_e64 v42, 0, 1, s17
	v_not_b32_e32 v203, v39
	v_cmp_gt_i32_e64 s17, 0, v39
	v_not_b32_e32 v39, v40
	v_lshlrev_b32_e32 v201, 26, v37
	v_cmp_ne_u32_e32 vcc_lo, 0, v42
	v_ashrrev_i32_e32 v203, 31, v203
	v_lshlrev_b32_e32 v202, 25, v37
	v_ashrrev_i32_e32 v39, 31, v39
	v_lshlrev_b32_e32 v42, 24, v37
	v_xor_b32_e32 v38, vcc_lo, v38
	v_cmp_gt_i32_e32 vcc_lo, 0, v40
	v_not_b32_e32 v40, v41
	v_xor_b32_e32 v203, s17, v203
	v_cmp_gt_i32_e64 s17, 0, v41
	v_and_b32_e32 v38, exec_lo, v38
	v_not_b32_e32 v41, v43
	v_ashrrev_i32_e32 v40, 31, v40
	v_xor_b32_e32 v39, vcc_lo, v39
	v_cmp_gt_i32_e32 vcc_lo, 0, v43
	v_and_b32_e32 v38, v38, v203
	v_not_b32_e32 v43, v201
	v_ashrrev_i32_e32 v41, 31, v41
	v_xor_b32_e32 v40, s17, v40
	v_cmp_gt_i32_e64 s17, 0, v201
	v_and_b32_e32 v38, v38, v39
	v_not_b32_e32 v39, v202
	v_ashrrev_i32_e32 v43, 31, v43
	v_xor_b32_e32 v41, vcc_lo, v41
	v_cmp_gt_i32_e32 vcc_lo, 0, v202
	v_and_b32_e32 v38, v38, v40
	v_not_b32_e32 v40, v42
	v_ashrrev_i32_e32 v39, 31, v39
	v_xor_b32_e32 v43, s17, v43
	v_mul_u32_u24_e32 v37, 9, v37
	v_and_b32_e32 v38, v38, v41
	v_cmp_gt_i32_e64 s17, 0, v42
	v_ashrrev_i32_e32 v40, 31, v40
	v_xor_b32_e32 v39, vcc_lo, v39
	v_add_lshl_u32 v41, v37, v126, 2
	v_and_b32_e32 v38, v38, v43
	s_delay_alu instid0(VALU_DEP_4) | instskip(SKIP_3) | instid1(VALU_DEP_2)
	v_xor_b32_e32 v37, s17, v40
	ds_load_b32 v202, v41 offset:1056
	v_and_b32_e32 v38, v38, v39
	v_add_nc_u32_e32 v204, 0x420, v41
	; wave barrier
	v_and_b32_e32 v37, v38, v37
	s_delay_alu instid0(VALU_DEP_1) | instskip(SKIP_1) | instid1(VALU_DEP_2)
	v_mbcnt_lo_u32_b32 v203, v37, 0
	v_cmp_ne_u32_e64 s17, 0, v37
	v_cmp_eq_u32_e32 vcc_lo, 0, v203
	s_delay_alu instid0(VALU_DEP_2) | instskip(NEXT) | instid1(SALU_CYCLE_1)
	s_and_b32 s18, s17, vcc_lo
	s_and_saveexec_b32 s17, s18
	s_cbranch_execz .LBB2086_466
; %bb.465:                              ;   in Loop: Header=BB2086_400 Depth=2
	s_waitcnt lgkmcnt(0)
	v_bcnt_u32_b32 v37, v37, v202
	ds_store_b32 v204, v37
.LBB2086_466:                           ;   in Loop: Header=BB2086_400 Depth=2
	s_or_b32 exec_lo, exec_lo, s17
	v_cmp_lt_i16_e32 vcc_lo, -1, v36
	; wave barrier
	v_cndmask_b32_e64 v37, -1, 0xffff8000, vcc_lo
	s_delay_alu instid0(VALU_DEP_1) | instskip(NEXT) | instid1(VALU_DEP_1)
	v_xor_b32_e32 v201, v37, v36
	v_cmp_ne_u16_e64 vcc_lo, 0x7fff, v201
	v_cndmask_b32_e32 v36, 0xffff8000, v201, vcc_lo
	s_delay_alu instid0(VALU_DEP_1) | instskip(NEXT) | instid1(VALU_DEP_1)
	v_and_b32_e32 v36, 0xffff, v36
	v_lshrrev_b32_e32 v36, s48, v36
	s_delay_alu instid0(VALU_DEP_1) | instskip(NEXT) | instid1(VALU_DEP_1)
	v_and_b32_e32 v36, s55, v36
	v_and_b32_e32 v37, 1, v36
	v_lshlrev_b32_e32 v38, 30, v36
	v_lshlrev_b32_e32 v39, 29, v36
	;; [unrolled: 1-line block ×4, first 2 shown]
	v_add_co_u32 v37, s17, v37, -1
	s_delay_alu instid0(VALU_DEP_1)
	v_cndmask_b32_e64 v41, 0, 1, s17
	v_not_b32_e32 v206, v38
	v_cmp_gt_i32_e64 s17, 0, v38
	v_not_b32_e32 v38, v39
	v_lshlrev_b32_e32 v43, 26, v36
	v_cmp_ne_u32_e32 vcc_lo, 0, v41
	v_ashrrev_i32_e32 v206, 31, v206
	v_lshlrev_b32_e32 v205, 25, v36
	v_ashrrev_i32_e32 v38, 31, v38
	v_lshlrev_b32_e32 v41, 24, v36
	v_xor_b32_e32 v37, vcc_lo, v37
	v_cmp_gt_i32_e32 vcc_lo, 0, v39
	v_not_b32_e32 v39, v40
	v_xor_b32_e32 v206, s17, v206
	v_cmp_gt_i32_e64 s17, 0, v40
	v_and_b32_e32 v37, exec_lo, v37
	v_not_b32_e32 v40, v42
	v_ashrrev_i32_e32 v39, 31, v39
	v_xor_b32_e32 v38, vcc_lo, v38
	v_cmp_gt_i32_e32 vcc_lo, 0, v42
	v_and_b32_e32 v37, v37, v206
	v_not_b32_e32 v42, v43
	v_ashrrev_i32_e32 v40, 31, v40
	v_xor_b32_e32 v39, s17, v39
	v_cmp_gt_i32_e64 s17, 0, v43
	v_and_b32_e32 v37, v37, v38
	v_not_b32_e32 v38, v205
	v_ashrrev_i32_e32 v42, 31, v42
	v_xor_b32_e32 v40, vcc_lo, v40
	v_cmp_gt_i32_e32 vcc_lo, 0, v205
	v_and_b32_e32 v37, v37, v39
	v_not_b32_e32 v39, v41
	v_ashrrev_i32_e32 v38, 31, v38
	v_xor_b32_e32 v42, s17, v42
	v_mul_u32_u24_e32 v36, 9, v36
	v_and_b32_e32 v37, v37, v40
	v_cmp_gt_i32_e64 s17, 0, v41
	v_ashrrev_i32_e32 v39, 31, v39
	v_xor_b32_e32 v38, vcc_lo, v38
	v_add_lshl_u32 v40, v36, v126, 2
	v_and_b32_e32 v37, v37, v42
	s_delay_alu instid0(VALU_DEP_4) | instskip(SKIP_3) | instid1(VALU_DEP_2)
	v_xor_b32_e32 v36, s17, v39
	ds_load_b32 v205, v40 offset:1056
	v_and_b32_e32 v37, v37, v38
	v_add_nc_u32_e32 v207, 0x420, v40
	; wave barrier
	v_and_b32_e32 v36, v37, v36
	s_delay_alu instid0(VALU_DEP_1) | instskip(SKIP_1) | instid1(VALU_DEP_2)
	v_mbcnt_lo_u32_b32 v206, v36, 0
	v_cmp_ne_u32_e64 s17, 0, v36
	v_cmp_eq_u32_e32 vcc_lo, 0, v206
	s_delay_alu instid0(VALU_DEP_2) | instskip(NEXT) | instid1(SALU_CYCLE_1)
	s_and_b32 s18, s17, vcc_lo
	s_and_saveexec_b32 s17, s18
	s_cbranch_execz .LBB2086_468
; %bb.467:                              ;   in Loop: Header=BB2086_400 Depth=2
	s_waitcnt lgkmcnt(0)
	v_bcnt_u32_b32 v36, v36, v205
	ds_store_b32 v207, v36
.LBB2086_468:                           ;   in Loop: Header=BB2086_400 Depth=2
	s_or_b32 exec_lo, exec_lo, s17
	; wave barrier
	s_waitcnt lgkmcnt(0)
	s_barrier
	buffer_gl0_inv
	ds_load_b32 v208, v69 offset:1056
	ds_load_2addr_b32 v[42:43], v71 offset0:1 offset1:2
	ds_load_2addr_b32 v[40:41], v71 offset0:3 offset1:4
	;; [unrolled: 1-line block ×4, first 2 shown]
	s_waitcnt lgkmcnt(3)
	v_add3_u32 v209, v42, v208, v43
	s_waitcnt lgkmcnt(2)
	s_delay_alu instid0(VALU_DEP_1) | instskip(SKIP_1) | instid1(VALU_DEP_1)
	v_add3_u32 v209, v209, v40, v41
	s_waitcnt lgkmcnt(1)
	v_add3_u32 v209, v209, v36, v37
	s_waitcnt lgkmcnt(0)
	s_delay_alu instid0(VALU_DEP_1) | instskip(NEXT) | instid1(VALU_DEP_1)
	v_add3_u32 v39, v209, v38, v39
	v_mov_b32_dpp v209, v39 row_shr:1 row_mask:0xf bank_mask:0xf
	s_delay_alu instid0(VALU_DEP_1) | instskip(NEXT) | instid1(VALU_DEP_1)
	v_cndmask_b32_e64 v209, v209, 0, s0
	v_add_nc_u32_e32 v39, v209, v39
	s_delay_alu instid0(VALU_DEP_1) | instskip(NEXT) | instid1(VALU_DEP_1)
	v_mov_b32_dpp v209, v39 row_shr:2 row_mask:0xf bank_mask:0xf
	v_cndmask_b32_e64 v209, 0, v209, s1
	s_delay_alu instid0(VALU_DEP_1) | instskip(NEXT) | instid1(VALU_DEP_1)
	v_add_nc_u32_e32 v39, v39, v209
	v_mov_b32_dpp v209, v39 row_shr:4 row_mask:0xf bank_mask:0xf
	s_delay_alu instid0(VALU_DEP_1) | instskip(NEXT) | instid1(VALU_DEP_1)
	v_cndmask_b32_e64 v209, 0, v209, s8
	v_add_nc_u32_e32 v39, v39, v209
	s_delay_alu instid0(VALU_DEP_1) | instskip(NEXT) | instid1(VALU_DEP_1)
	v_mov_b32_dpp v209, v39 row_shr:8 row_mask:0xf bank_mask:0xf
	v_cndmask_b32_e64 v209, 0, v209, s9
	s_delay_alu instid0(VALU_DEP_1) | instskip(SKIP_3) | instid1(VALU_DEP_1)
	v_add_nc_u32_e32 v39, v39, v209
	ds_swizzle_b32 v209, v39 offset:swizzle(BROADCAST,32,15)
	s_waitcnt lgkmcnt(0)
	v_cndmask_b32_e64 v209, v209, 0, s10
	v_add_nc_u32_e32 v39, v39, v209
	s_and_saveexec_b32 s17, s3
	s_cbranch_execz .LBB2086_470
; %bb.469:                              ;   in Loop: Header=BB2086_400 Depth=2
	ds_store_b32 v62, v39 offset:1024
.LBB2086_470:                           ;   in Loop: Header=BB2086_400 Depth=2
	s_or_b32 exec_lo, exec_lo, s17
	s_waitcnt lgkmcnt(0)
	s_barrier
	buffer_gl0_inv
	s_and_saveexec_b32 s17, s4
	s_cbranch_execz .LBB2086_472
; %bb.471:                              ;   in Loop: Header=BB2086_400 Depth=2
	ds_load_b32 v209, v72 offset:1024
	s_waitcnt lgkmcnt(0)
	v_mov_b32_dpp v210, v209 row_shr:1 row_mask:0xf bank_mask:0xf
	s_delay_alu instid0(VALU_DEP_1) | instskip(NEXT) | instid1(VALU_DEP_1)
	v_cndmask_b32_e64 v210, v210, 0, s12
	v_add_nc_u32_e32 v209, v210, v209
	s_delay_alu instid0(VALU_DEP_1) | instskip(NEXT) | instid1(VALU_DEP_1)
	v_mov_b32_dpp v210, v209 row_shr:2 row_mask:0xf bank_mask:0xf
	v_cndmask_b32_e64 v210, 0, v210, s13
	s_delay_alu instid0(VALU_DEP_1) | instskip(NEXT) | instid1(VALU_DEP_1)
	v_add_nc_u32_e32 v209, v209, v210
	v_mov_b32_dpp v210, v209 row_shr:4 row_mask:0xf bank_mask:0xf
	s_delay_alu instid0(VALU_DEP_1) | instskip(NEXT) | instid1(VALU_DEP_1)
	v_cndmask_b32_e64 v210, 0, v210, s16
	v_add_nc_u32_e32 v209, v209, v210
	ds_store_b32 v72, v209 offset:1024
.LBB2086_472:                           ;   in Loop: Header=BB2086_400 Depth=2
	s_or_b32 exec_lo, exec_lo, s17
	v_mov_b32_e32 v209, 0
	s_waitcnt lgkmcnt(0)
	s_barrier
	buffer_gl0_inv
	s_and_saveexec_b32 s17, s5
	s_cbranch_execz .LBB2086_474
; %bb.473:                              ;   in Loop: Header=BB2086_400 Depth=2
	ds_load_b32 v209, v62 offset:1020
.LBB2086_474:                           ;   in Loop: Header=BB2086_400 Depth=2
	s_or_b32 exec_lo, exec_lo, s17
	s_waitcnt lgkmcnt(0)
	v_add_nc_u32_e32 v39, v209, v39
	ds_bpermute_b32 v39, v105, v39
	s_waitcnt lgkmcnt(0)
	v_cndmask_b32_e64 v39, v39, v209, s11
	s_delay_alu instid0(VALU_DEP_1) | instskip(NEXT) | instid1(VALU_DEP_1)
	v_cndmask_b32_e64 v39, v39, 0, s6
	v_add_nc_u32_e32 v208, v39, v208
	s_delay_alu instid0(VALU_DEP_1) | instskip(NEXT) | instid1(VALU_DEP_1)
	v_add_nc_u32_e32 v42, v208, v42
	v_add_nc_u32_e32 v43, v42, v43
	s_delay_alu instid0(VALU_DEP_1) | instskip(NEXT) | instid1(VALU_DEP_1)
	v_add_nc_u32_e32 v40, v43, v40
	;; [unrolled: 3-line block ×3, first 2 shown]
	v_add_nc_u32_e32 v37, v36, v37
	s_delay_alu instid0(VALU_DEP_1)
	v_add_nc_u32_e32 v38, v37, v38
	ds_store_b32 v69, v39 offset:1056
	ds_store_2addr_b32 v71, v208, v42 offset0:1 offset1:2
	ds_store_2addr_b32 v71, v43, v40 offset0:3 offset1:4
	;; [unrolled: 1-line block ×4, first 2 shown]
	v_mov_b32_e32 v38, 0x1000
	s_waitcnt lgkmcnt(0)
	s_barrier
	buffer_gl0_inv
	ds_load_b32 v39, v152
	ds_load_b32 v40, v156
	ds_load_b32 v42, v160
	ds_load_b32 v43, v164
	ds_load_b32 v152, v168
	ds_load_b32 v173, v173
	ds_load_b32 v176, v176
	ds_load_b32 v180, v180
	ds_load_b32 v184, v184
	ds_load_b32 v188, v188
	ds_load_b32 v192, v192
	ds_load_b32 v196, v196
	ds_load_b32 v36, v200
	ds_load_b32 v37, v204
	ds_load_b32 v41, v207
	ds_load_b32 v148, v148
	ds_load_b32 v156, v69 offset:1056
	s_and_saveexec_b32 s17, s7
	s_cbranch_execz .LBB2086_476
; %bb.475:                              ;   in Loop: Header=BB2086_400 Depth=2
	ds_load_b32 v38, v73 offset:1056
.LBB2086_476:                           ;   in Loop: Header=BB2086_400 Depth=2
	s_or_b32 exec_lo, exec_lo, s17
	s_waitcnt lgkmcnt(0)
	s_barrier
	buffer_gl0_inv
	s_and_saveexec_b32 s17, s2
	s_cbranch_execz .LBB2086_478
; %bb.477:                              ;   in Loop: Header=BB2086_400 Depth=2
	ds_load_b32 v160, v44
	s_waitcnt lgkmcnt(0)
	v_sub_nc_u32_e32 v156, v160, v156
	ds_store_b32 v44, v156
.LBB2086_478:                           ;   in Loop: Header=BB2086_400 Depth=2
	s_or_b32 exec_lo, exec_lo, s17
	v_add_nc_u32_e32 v168, v148, v147
	v_add3_u32 v164, v151, v150, v39
	v_add3_u32 v160, v155, v154, v40
	;; [unrolled: 1-line block ×5, first 2 shown]
	v_lshlrev_b32_e32 v158, 1, v168
	v_add3_u32 v43, v199, v198, v36
	v_lshlrev_b32_e32 v36, 1, v164
	v_add3_u32 v152, v172, v171, v173
	v_add3_u32 v151, v175, v174, v176
	ds_store_b16 v158, v2 offset:1024
	v_lshlrev_b32_e32 v2, 1, v160
	ds_store_b16 v36, v146 offset:1024
	v_lshlrev_b32_e32 v36, 1, v154
	v_add3_u32 v150, v179, v178, v180
	v_add3_u32 v42, v203, v202, v37
	v_lshlrev_b32_e32 v37, 1, v156
	v_add3_u32 v148, v183, v182, v184
	v_lshlrev_b32_e32 v158, 1, v155
	v_add3_u32 v147, v187, v186, v188
	v_add3_u32 v40, v191, v190, v192
	ds_store_b16 v2, v149 offset:1024
	ds_store_b16 v37, v153 offset:1024
	;; [unrolled: 1-line block ×3, first 2 shown]
	v_lshlrev_b32_e32 v2, 1, v152
	ds_store_b16 v36, v161 offset:1024
	v_lshlrev_b32_e32 v36, 1, v151
	v_lshlrev_b32_e32 v37, 1, v150
	;; [unrolled: 1-line block ×3, first 2 shown]
	v_add3_u32 v39, v195, v194, v196
	v_add3_u32 v41, v206, v205, v41
	ds_store_b16 v2, v165 offset:1024
	v_lshlrev_b32_e32 v2, 1, v147
	ds_store_b16 v36, v170 offset:1024
	ds_store_b16 v37, v169 offset:1024
	;; [unrolled: 1-line block ×3, first 2 shown]
	v_lshlrev_b32_e32 v36, 1, v40
	v_cmp_lt_u32_e32 vcc_lo, v1, v145
	v_lshlrev_b32_e32 v37, 1, v43
	ds_store_b16 v2, v181 offset:1024
	v_lshlrev_b32_e32 v2, 1, v39
	ds_store_b16 v36, v185 offset:1024
	v_lshlrev_b32_e32 v36, 1, v41
	v_lshlrev_b32_e32 v146, 1, v42
	ds_store_b16 v2, v189 offset:1024
	ds_store_b16 v37, v193 offset:1024
	;; [unrolled: 1-line block ×4, first 2 shown]
	s_waitcnt lgkmcnt(0)
	s_barrier
	buffer_gl0_inv
	s_and_saveexec_b32 s18, vcc_lo
	s_cbranch_execz .LBB2086_494
; %bb.479:                              ;   in Loop: Header=BB2086_400 Depth=2
	v_add_nc_u32_e32 v2, v72, v78
	ds_load_u16 v146, v2 offset:1024
	s_waitcnt lgkmcnt(0)
	v_cmp_ne_u16_e64 s17, 0x7fff, v146
	s_delay_alu instid0(VALU_DEP_1) | instskip(SKIP_1) | instid1(VALU_DEP_2)
	v_cndmask_b32_e64 v2, 0xffff8000, v146, s17
	v_cmp_lt_i16_e64 s17, -1, v146
	v_and_b32_e32 v2, 0xffff, v2
	s_delay_alu instid0(VALU_DEP_2) | instskip(NEXT) | instid1(VALU_DEP_2)
	v_cndmask_b32_e64 v149, 0xffff8000, -1, s17
	v_lshrrev_b32_e32 v2, s48, v2
	s_delay_alu instid0(VALU_DEP_1) | instskip(NEXT) | instid1(VALU_DEP_1)
	v_and_b32_e32 v2, s55, v2
	v_lshlrev_b32_e32 v2, 2, v2
	ds_load_b32 v2, v2
	s_waitcnt lgkmcnt(0)
	v_add_nc_u32_e32 v2, v2, v1
	s_delay_alu instid0(VALU_DEP_1) | instskip(SKIP_1) | instid1(VALU_DEP_2)
	v_lshlrev_b64 v[36:37], 1, v[2:3]
	v_xor_b32_e32 v2, v149, v146
	v_add_co_u32 v36, s17, s40, v36
	s_delay_alu instid0(VALU_DEP_1) | instskip(SKIP_3) | instid1(VALU_DEP_1)
	v_add_co_ci_u32_e64 v37, s17, s41, v37, s17
	global_store_b16 v[36:37], v2, off
	s_or_b32 exec_lo, exec_lo, s18
	v_cmp_lt_u32_e64 s17, v45, v145
	s_and_saveexec_b32 s19, s17
	s_cbranch_execnz .LBB2086_495
.LBB2086_480:                           ;   in Loop: Header=BB2086_400 Depth=2
	s_or_b32 exec_lo, exec_lo, s19
	v_cmp_lt_u32_e64 s18, v46, v145
	s_delay_alu instid0(VALU_DEP_1)
	s_and_saveexec_b32 s20, s18
	s_cbranch_execz .LBB2086_496
.LBB2086_481:                           ;   in Loop: Header=BB2086_400 Depth=2
	ds_load_u16 v146, v79 offset:1024
	s_waitcnt lgkmcnt(0)
	v_cmp_ne_u16_e64 s19, 0x7fff, v146
	s_delay_alu instid0(VALU_DEP_1) | instskip(SKIP_1) | instid1(VALU_DEP_2)
	v_cndmask_b32_e64 v2, 0xffff8000, v146, s19
	v_cmp_lt_i16_e64 s19, -1, v146
	v_and_b32_e32 v2, 0xffff, v2
	s_delay_alu instid0(VALU_DEP_2) | instskip(NEXT) | instid1(VALU_DEP_2)
	v_cndmask_b32_e64 v149, 0xffff8000, -1, s19
	v_lshrrev_b32_e32 v2, s48, v2
	s_delay_alu instid0(VALU_DEP_1) | instskip(NEXT) | instid1(VALU_DEP_1)
	v_and_b32_e32 v2, s55, v2
	v_lshlrev_b32_e32 v2, 2, v2
	ds_load_b32 v2, v2
	s_waitcnt lgkmcnt(0)
	v_add_nc_u32_e32 v2, v2, v46
	s_delay_alu instid0(VALU_DEP_1) | instskip(SKIP_1) | instid1(VALU_DEP_2)
	v_lshlrev_b64 v[36:37], 1, v[2:3]
	v_xor_b32_e32 v2, v149, v146
	v_add_co_u32 v36, s19, s40, v36
	s_delay_alu instid0(VALU_DEP_1) | instskip(SKIP_3) | instid1(VALU_DEP_1)
	v_add_co_ci_u32_e64 v37, s19, s41, v37, s19
	global_store_b16 v[36:37], v2, off
	s_or_b32 exec_lo, exec_lo, s20
	v_cmp_lt_u32_e64 s19, v47, v145
	s_and_saveexec_b32 s21, s19
	s_cbranch_execnz .LBB2086_497
.LBB2086_482:                           ;   in Loop: Header=BB2086_400 Depth=2
	s_or_b32 exec_lo, exec_lo, s21
	v_cmp_lt_u32_e64 s20, v51, v145
	s_delay_alu instid0(VALU_DEP_1)
	s_and_saveexec_b32 s22, s20
	s_cbranch_execz .LBB2086_498
.LBB2086_483:                           ;   in Loop: Header=BB2086_400 Depth=2
	ds_load_u16 v146, v79 offset:2048
	s_waitcnt lgkmcnt(0)
	v_cmp_ne_u16_e64 s21, 0x7fff, v146
	s_delay_alu instid0(VALU_DEP_1) | instskip(SKIP_1) | instid1(VALU_DEP_2)
	v_cndmask_b32_e64 v2, 0xffff8000, v146, s21
	v_cmp_lt_i16_e64 s21, -1, v146
	v_and_b32_e32 v2, 0xffff, v2
	s_delay_alu instid0(VALU_DEP_2) | instskip(NEXT) | instid1(VALU_DEP_2)
	v_cndmask_b32_e64 v149, 0xffff8000, -1, s21
	v_lshrrev_b32_e32 v2, s48, v2
	s_delay_alu instid0(VALU_DEP_1) | instskip(NEXT) | instid1(VALU_DEP_1)
	v_and_b32_e32 v2, s55, v2
	v_lshlrev_b32_e32 v2, 2, v2
	ds_load_b32 v2, v2
	s_waitcnt lgkmcnt(0)
	v_add_nc_u32_e32 v2, v2, v51
	s_delay_alu instid0(VALU_DEP_1) | instskip(SKIP_1) | instid1(VALU_DEP_2)
	v_lshlrev_b64 v[36:37], 1, v[2:3]
	v_xor_b32_e32 v2, v149, v146
	v_add_co_u32 v36, s21, s40, v36
	s_delay_alu instid0(VALU_DEP_1) | instskip(SKIP_3) | instid1(VALU_DEP_1)
	v_add_co_ci_u32_e64 v37, s21, s41, v37, s21
	global_store_b16 v[36:37], v2, off
	s_or_b32 exec_lo, exec_lo, s22
	v_cmp_lt_u32_e64 s21, v52, v145
	s_and_saveexec_b32 s23, s21
	s_cbranch_execnz .LBB2086_499
.LBB2086_484:                           ;   in Loop: Header=BB2086_400 Depth=2
	s_or_b32 exec_lo, exec_lo, s23
	v_cmp_lt_u32_e64 s22, v53, v145
	s_delay_alu instid0(VALU_DEP_1)
	s_and_saveexec_b32 s24, s22
	s_cbranch_execz .LBB2086_500
.LBB2086_485:                           ;   in Loop: Header=BB2086_400 Depth=2
	ds_load_u16 v146, v79 offset:3072
	s_waitcnt lgkmcnt(0)
	v_cmp_ne_u16_e64 s23, 0x7fff, v146
	s_delay_alu instid0(VALU_DEP_1) | instskip(SKIP_1) | instid1(VALU_DEP_2)
	v_cndmask_b32_e64 v2, 0xffff8000, v146, s23
	v_cmp_lt_i16_e64 s23, -1, v146
	v_and_b32_e32 v2, 0xffff, v2
	s_delay_alu instid0(VALU_DEP_2) | instskip(NEXT) | instid1(VALU_DEP_2)
	v_cndmask_b32_e64 v149, 0xffff8000, -1, s23
	v_lshrrev_b32_e32 v2, s48, v2
	s_delay_alu instid0(VALU_DEP_1) | instskip(NEXT) | instid1(VALU_DEP_1)
	v_and_b32_e32 v2, s55, v2
	v_lshlrev_b32_e32 v2, 2, v2
	ds_load_b32 v2, v2
	s_waitcnt lgkmcnt(0)
	v_add_nc_u32_e32 v2, v2, v53
	s_delay_alu instid0(VALU_DEP_1) | instskip(SKIP_1) | instid1(VALU_DEP_2)
	v_lshlrev_b64 v[36:37], 1, v[2:3]
	v_xor_b32_e32 v2, v149, v146
	v_add_co_u32 v36, s23, s40, v36
	s_delay_alu instid0(VALU_DEP_1) | instskip(SKIP_3) | instid1(VALU_DEP_1)
	v_add_co_ci_u32_e64 v37, s23, s41, v37, s23
	global_store_b16 v[36:37], v2, off
	s_or_b32 exec_lo, exec_lo, s24
	v_cmp_lt_u32_e64 s23, v54, v145
	s_and_saveexec_b32 s25, s23
	s_cbranch_execnz .LBB2086_501
.LBB2086_486:                           ;   in Loop: Header=BB2086_400 Depth=2
	s_or_b32 exec_lo, exec_lo, s25
	v_cmp_lt_u32_e64 s24, v55, v145
	s_delay_alu instid0(VALU_DEP_1)
	s_and_saveexec_b32 s26, s24
	s_cbranch_execz .LBB2086_502
.LBB2086_487:                           ;   in Loop: Header=BB2086_400 Depth=2
	ds_load_u16 v146, v79 offset:4096
	s_waitcnt lgkmcnt(0)
	v_cmp_ne_u16_e64 s25, 0x7fff, v146
	s_delay_alu instid0(VALU_DEP_1) | instskip(SKIP_1) | instid1(VALU_DEP_2)
	v_cndmask_b32_e64 v2, 0xffff8000, v146, s25
	v_cmp_lt_i16_e64 s25, -1, v146
	v_and_b32_e32 v2, 0xffff, v2
	s_delay_alu instid0(VALU_DEP_2) | instskip(NEXT) | instid1(VALU_DEP_2)
	v_cndmask_b32_e64 v149, 0xffff8000, -1, s25
	v_lshrrev_b32_e32 v2, s48, v2
	s_delay_alu instid0(VALU_DEP_1) | instskip(NEXT) | instid1(VALU_DEP_1)
	v_and_b32_e32 v2, s55, v2
	v_lshlrev_b32_e32 v2, 2, v2
	ds_load_b32 v2, v2
	s_waitcnt lgkmcnt(0)
	v_add_nc_u32_e32 v2, v2, v55
	s_delay_alu instid0(VALU_DEP_1) | instskip(SKIP_1) | instid1(VALU_DEP_2)
	v_lshlrev_b64 v[36:37], 1, v[2:3]
	v_xor_b32_e32 v2, v149, v146
	v_add_co_u32 v36, s25, s40, v36
	s_delay_alu instid0(VALU_DEP_1) | instskip(SKIP_3) | instid1(VALU_DEP_1)
	v_add_co_ci_u32_e64 v37, s25, s41, v37, s25
	global_store_b16 v[36:37], v2, off
	s_or_b32 exec_lo, exec_lo, s26
	v_cmp_lt_u32_e64 s25, v56, v145
	s_and_saveexec_b32 s27, s25
	s_cbranch_execnz .LBB2086_503
.LBB2086_488:                           ;   in Loop: Header=BB2086_400 Depth=2
	s_or_b32 exec_lo, exec_lo, s27
	v_cmp_lt_u32_e64 s26, v57, v145
	s_delay_alu instid0(VALU_DEP_1)
	s_and_saveexec_b32 s28, s26
	s_cbranch_execz .LBB2086_504
.LBB2086_489:                           ;   in Loop: Header=BB2086_400 Depth=2
	ds_load_u16 v146, v79 offset:5120
	s_waitcnt lgkmcnt(0)
	v_cmp_ne_u16_e64 s27, 0x7fff, v146
	s_delay_alu instid0(VALU_DEP_1) | instskip(SKIP_1) | instid1(VALU_DEP_2)
	v_cndmask_b32_e64 v2, 0xffff8000, v146, s27
	v_cmp_lt_i16_e64 s27, -1, v146
	v_and_b32_e32 v2, 0xffff, v2
	s_delay_alu instid0(VALU_DEP_2) | instskip(NEXT) | instid1(VALU_DEP_2)
	v_cndmask_b32_e64 v149, 0xffff8000, -1, s27
	v_lshrrev_b32_e32 v2, s48, v2
	s_delay_alu instid0(VALU_DEP_1) | instskip(NEXT) | instid1(VALU_DEP_1)
	v_and_b32_e32 v2, s55, v2
	v_lshlrev_b32_e32 v2, 2, v2
	ds_load_b32 v2, v2
	s_waitcnt lgkmcnt(0)
	v_add_nc_u32_e32 v2, v2, v57
	s_delay_alu instid0(VALU_DEP_1) | instskip(SKIP_1) | instid1(VALU_DEP_2)
	v_lshlrev_b64 v[36:37], 1, v[2:3]
	v_xor_b32_e32 v2, v149, v146
	v_add_co_u32 v36, s27, s40, v36
	s_delay_alu instid0(VALU_DEP_1) | instskip(SKIP_3) | instid1(VALU_DEP_1)
	v_add_co_ci_u32_e64 v37, s27, s41, v37, s27
	global_store_b16 v[36:37], v2, off
	s_or_b32 exec_lo, exec_lo, s28
	v_cmp_lt_u32_e64 s27, v58, v145
	s_and_saveexec_b32 s29, s27
	s_cbranch_execnz .LBB2086_505
.LBB2086_490:                           ;   in Loop: Header=BB2086_400 Depth=2
	s_or_b32 exec_lo, exec_lo, s29
	v_cmp_lt_u32_e64 s28, v59, v145
	s_delay_alu instid0(VALU_DEP_1)
	s_and_saveexec_b32 s30, s28
	s_cbranch_execz .LBB2086_506
.LBB2086_491:                           ;   in Loop: Header=BB2086_400 Depth=2
	ds_load_u16 v146, v79 offset:6144
	s_waitcnt lgkmcnt(0)
	v_cmp_ne_u16_e64 s29, 0x7fff, v146
	s_delay_alu instid0(VALU_DEP_1) | instskip(SKIP_1) | instid1(VALU_DEP_2)
	v_cndmask_b32_e64 v2, 0xffff8000, v146, s29
	v_cmp_lt_i16_e64 s29, -1, v146
	v_and_b32_e32 v2, 0xffff, v2
	s_delay_alu instid0(VALU_DEP_2) | instskip(NEXT) | instid1(VALU_DEP_2)
	v_cndmask_b32_e64 v149, 0xffff8000, -1, s29
	v_lshrrev_b32_e32 v2, s48, v2
	s_delay_alu instid0(VALU_DEP_1) | instskip(NEXT) | instid1(VALU_DEP_1)
	v_and_b32_e32 v2, s55, v2
	v_lshlrev_b32_e32 v2, 2, v2
	ds_load_b32 v2, v2
	s_waitcnt lgkmcnt(0)
	v_add_nc_u32_e32 v2, v2, v59
	s_delay_alu instid0(VALU_DEP_1) | instskip(SKIP_1) | instid1(VALU_DEP_2)
	v_lshlrev_b64 v[36:37], 1, v[2:3]
	v_xor_b32_e32 v2, v149, v146
	v_add_co_u32 v36, s29, s40, v36
	s_delay_alu instid0(VALU_DEP_1) | instskip(SKIP_3) | instid1(VALU_DEP_1)
	v_add_co_ci_u32_e64 v37, s29, s41, v37, s29
	global_store_b16 v[36:37], v2, off
	s_or_b32 exec_lo, exec_lo, s30
	v_cmp_lt_u32_e64 s29, v60, v145
	s_and_saveexec_b32 s31, s29
	s_cbranch_execnz .LBB2086_507
.LBB2086_492:                           ;   in Loop: Header=BB2086_400 Depth=2
	s_or_b32 exec_lo, exec_lo, s31
	v_cmp_lt_u32_e64 s30, v61, v145
	s_delay_alu instid0(VALU_DEP_1)
	s_and_saveexec_b32 s33, s30
	s_cbranch_execz .LBB2086_508
.LBB2086_493:                           ;   in Loop: Header=BB2086_400 Depth=2
	ds_load_u16 v146, v79 offset:7168
	s_waitcnt lgkmcnt(0)
	v_cmp_ne_u16_e64 s31, 0x7fff, v146
	s_delay_alu instid0(VALU_DEP_1) | instskip(SKIP_1) | instid1(VALU_DEP_2)
	v_cndmask_b32_e64 v2, 0xffff8000, v146, s31
	v_cmp_lt_i16_e64 s31, -1, v146
	v_and_b32_e32 v2, 0xffff, v2
	s_delay_alu instid0(VALU_DEP_2) | instskip(NEXT) | instid1(VALU_DEP_2)
	v_cndmask_b32_e64 v149, 0xffff8000, -1, s31
	v_lshrrev_b32_e32 v2, s48, v2
	s_delay_alu instid0(VALU_DEP_1) | instskip(NEXT) | instid1(VALU_DEP_1)
	v_and_b32_e32 v2, s55, v2
	v_lshlrev_b32_e32 v2, 2, v2
	ds_load_b32 v2, v2
	s_waitcnt lgkmcnt(0)
	v_add_nc_u32_e32 v2, v2, v61
	s_delay_alu instid0(VALU_DEP_1) | instskip(SKIP_1) | instid1(VALU_DEP_2)
	v_lshlrev_b64 v[36:37], 1, v[2:3]
	v_xor_b32_e32 v2, v149, v146
	v_add_co_u32 v36, s31, s40, v36
	s_delay_alu instid0(VALU_DEP_1) | instskip(SKIP_3) | instid1(VALU_DEP_1)
	v_add_co_ci_u32_e64 v37, s31, s41, v37, s31
	global_store_b16 v[36:37], v2, off
	s_or_b32 exec_lo, exec_lo, s33
	v_cmp_lt_u32_e64 s31, v63, v145
	s_and_saveexec_b32 s58, s31
	s_cbranch_execnz .LBB2086_509
	s_branch .LBB2086_510
.LBB2086_494:                           ;   in Loop: Header=BB2086_400 Depth=2
	s_or_b32 exec_lo, exec_lo, s18
	v_cmp_lt_u32_e64 s17, v45, v145
	s_delay_alu instid0(VALU_DEP_1)
	s_and_saveexec_b32 s19, s17
	s_cbranch_execz .LBB2086_480
.LBB2086_495:                           ;   in Loop: Header=BB2086_400 Depth=2
	ds_load_u16 v146, v79 offset:512
	s_waitcnt lgkmcnt(0)
	v_cmp_ne_u16_e64 s18, 0x7fff, v146
	s_delay_alu instid0(VALU_DEP_1) | instskip(SKIP_1) | instid1(VALU_DEP_2)
	v_cndmask_b32_e64 v2, 0xffff8000, v146, s18
	v_cmp_lt_i16_e64 s18, -1, v146
	v_and_b32_e32 v2, 0xffff, v2
	s_delay_alu instid0(VALU_DEP_2) | instskip(NEXT) | instid1(VALU_DEP_2)
	v_cndmask_b32_e64 v149, 0xffff8000, -1, s18
	v_lshrrev_b32_e32 v2, s48, v2
	s_delay_alu instid0(VALU_DEP_1) | instskip(NEXT) | instid1(VALU_DEP_1)
	v_and_b32_e32 v2, s55, v2
	v_lshlrev_b32_e32 v2, 2, v2
	ds_load_b32 v2, v2
	s_waitcnt lgkmcnt(0)
	v_add_nc_u32_e32 v2, v2, v45
	s_delay_alu instid0(VALU_DEP_1) | instskip(SKIP_1) | instid1(VALU_DEP_2)
	v_lshlrev_b64 v[36:37], 1, v[2:3]
	v_xor_b32_e32 v2, v149, v146
	v_add_co_u32 v36, s18, s40, v36
	s_delay_alu instid0(VALU_DEP_1) | instskip(SKIP_3) | instid1(VALU_DEP_1)
	v_add_co_ci_u32_e64 v37, s18, s41, v37, s18
	global_store_b16 v[36:37], v2, off
	s_or_b32 exec_lo, exec_lo, s19
	v_cmp_lt_u32_e64 s18, v46, v145
	s_and_saveexec_b32 s20, s18
	s_cbranch_execnz .LBB2086_481
.LBB2086_496:                           ;   in Loop: Header=BB2086_400 Depth=2
	s_or_b32 exec_lo, exec_lo, s20
	v_cmp_lt_u32_e64 s19, v47, v145
	s_delay_alu instid0(VALU_DEP_1)
	s_and_saveexec_b32 s21, s19
	s_cbranch_execz .LBB2086_482
.LBB2086_497:                           ;   in Loop: Header=BB2086_400 Depth=2
	ds_load_u16 v146, v79 offset:1536
	s_waitcnt lgkmcnt(0)
	v_cmp_ne_u16_e64 s20, 0x7fff, v146
	s_delay_alu instid0(VALU_DEP_1) | instskip(SKIP_1) | instid1(VALU_DEP_2)
	v_cndmask_b32_e64 v2, 0xffff8000, v146, s20
	v_cmp_lt_i16_e64 s20, -1, v146
	v_and_b32_e32 v2, 0xffff, v2
	s_delay_alu instid0(VALU_DEP_2) | instskip(NEXT) | instid1(VALU_DEP_2)
	v_cndmask_b32_e64 v149, 0xffff8000, -1, s20
	v_lshrrev_b32_e32 v2, s48, v2
	s_delay_alu instid0(VALU_DEP_1) | instskip(NEXT) | instid1(VALU_DEP_1)
	v_and_b32_e32 v2, s55, v2
	v_lshlrev_b32_e32 v2, 2, v2
	ds_load_b32 v2, v2
	s_waitcnt lgkmcnt(0)
	v_add_nc_u32_e32 v2, v2, v47
	s_delay_alu instid0(VALU_DEP_1) | instskip(SKIP_1) | instid1(VALU_DEP_2)
	v_lshlrev_b64 v[36:37], 1, v[2:3]
	v_xor_b32_e32 v2, v149, v146
	v_add_co_u32 v36, s20, s40, v36
	s_delay_alu instid0(VALU_DEP_1) | instskip(SKIP_3) | instid1(VALU_DEP_1)
	v_add_co_ci_u32_e64 v37, s20, s41, v37, s20
	global_store_b16 v[36:37], v2, off
	s_or_b32 exec_lo, exec_lo, s21
	v_cmp_lt_u32_e64 s20, v51, v145
	s_and_saveexec_b32 s22, s20
	s_cbranch_execnz .LBB2086_483
.LBB2086_498:                           ;   in Loop: Header=BB2086_400 Depth=2
	s_or_b32 exec_lo, exec_lo, s22
	v_cmp_lt_u32_e64 s21, v52, v145
	s_delay_alu instid0(VALU_DEP_1)
	s_and_saveexec_b32 s23, s21
	s_cbranch_execz .LBB2086_484
.LBB2086_499:                           ;   in Loop: Header=BB2086_400 Depth=2
	ds_load_u16 v146, v79 offset:2560
	s_waitcnt lgkmcnt(0)
	v_cmp_ne_u16_e64 s22, 0x7fff, v146
	s_delay_alu instid0(VALU_DEP_1) | instskip(SKIP_1) | instid1(VALU_DEP_2)
	v_cndmask_b32_e64 v2, 0xffff8000, v146, s22
	v_cmp_lt_i16_e64 s22, -1, v146
	v_and_b32_e32 v2, 0xffff, v2
	s_delay_alu instid0(VALU_DEP_2) | instskip(NEXT) | instid1(VALU_DEP_2)
	v_cndmask_b32_e64 v149, 0xffff8000, -1, s22
	v_lshrrev_b32_e32 v2, s48, v2
	s_delay_alu instid0(VALU_DEP_1) | instskip(NEXT) | instid1(VALU_DEP_1)
	v_and_b32_e32 v2, s55, v2
	v_lshlrev_b32_e32 v2, 2, v2
	ds_load_b32 v2, v2
	s_waitcnt lgkmcnt(0)
	v_add_nc_u32_e32 v2, v2, v52
	s_delay_alu instid0(VALU_DEP_1) | instskip(SKIP_1) | instid1(VALU_DEP_2)
	v_lshlrev_b64 v[36:37], 1, v[2:3]
	v_xor_b32_e32 v2, v149, v146
	v_add_co_u32 v36, s22, s40, v36
	s_delay_alu instid0(VALU_DEP_1) | instskip(SKIP_3) | instid1(VALU_DEP_1)
	v_add_co_ci_u32_e64 v37, s22, s41, v37, s22
	global_store_b16 v[36:37], v2, off
	s_or_b32 exec_lo, exec_lo, s23
	v_cmp_lt_u32_e64 s22, v53, v145
	s_and_saveexec_b32 s24, s22
	s_cbranch_execnz .LBB2086_485
.LBB2086_500:                           ;   in Loop: Header=BB2086_400 Depth=2
	s_or_b32 exec_lo, exec_lo, s24
	v_cmp_lt_u32_e64 s23, v54, v145
	s_delay_alu instid0(VALU_DEP_1)
	s_and_saveexec_b32 s25, s23
	s_cbranch_execz .LBB2086_486
.LBB2086_501:                           ;   in Loop: Header=BB2086_400 Depth=2
	ds_load_u16 v146, v79 offset:3584
	s_waitcnt lgkmcnt(0)
	v_cmp_ne_u16_e64 s24, 0x7fff, v146
	s_delay_alu instid0(VALU_DEP_1) | instskip(SKIP_1) | instid1(VALU_DEP_2)
	v_cndmask_b32_e64 v2, 0xffff8000, v146, s24
	v_cmp_lt_i16_e64 s24, -1, v146
	v_and_b32_e32 v2, 0xffff, v2
	s_delay_alu instid0(VALU_DEP_2) | instskip(NEXT) | instid1(VALU_DEP_2)
	v_cndmask_b32_e64 v149, 0xffff8000, -1, s24
	v_lshrrev_b32_e32 v2, s48, v2
	s_delay_alu instid0(VALU_DEP_1) | instskip(NEXT) | instid1(VALU_DEP_1)
	v_and_b32_e32 v2, s55, v2
	v_lshlrev_b32_e32 v2, 2, v2
	ds_load_b32 v2, v2
	s_waitcnt lgkmcnt(0)
	v_add_nc_u32_e32 v2, v2, v54
	s_delay_alu instid0(VALU_DEP_1) | instskip(SKIP_1) | instid1(VALU_DEP_2)
	v_lshlrev_b64 v[36:37], 1, v[2:3]
	v_xor_b32_e32 v2, v149, v146
	v_add_co_u32 v36, s24, s40, v36
	s_delay_alu instid0(VALU_DEP_1) | instskip(SKIP_3) | instid1(VALU_DEP_1)
	v_add_co_ci_u32_e64 v37, s24, s41, v37, s24
	global_store_b16 v[36:37], v2, off
	s_or_b32 exec_lo, exec_lo, s25
	v_cmp_lt_u32_e64 s24, v55, v145
	s_and_saveexec_b32 s26, s24
	s_cbranch_execnz .LBB2086_487
.LBB2086_502:                           ;   in Loop: Header=BB2086_400 Depth=2
	s_or_b32 exec_lo, exec_lo, s26
	v_cmp_lt_u32_e64 s25, v56, v145
	s_delay_alu instid0(VALU_DEP_1)
	s_and_saveexec_b32 s27, s25
	s_cbranch_execz .LBB2086_488
.LBB2086_503:                           ;   in Loop: Header=BB2086_400 Depth=2
	ds_load_u16 v146, v79 offset:4608
	s_waitcnt lgkmcnt(0)
	v_cmp_ne_u16_e64 s26, 0x7fff, v146
	s_delay_alu instid0(VALU_DEP_1) | instskip(SKIP_1) | instid1(VALU_DEP_2)
	v_cndmask_b32_e64 v2, 0xffff8000, v146, s26
	v_cmp_lt_i16_e64 s26, -1, v146
	v_and_b32_e32 v2, 0xffff, v2
	s_delay_alu instid0(VALU_DEP_2) | instskip(NEXT) | instid1(VALU_DEP_2)
	v_cndmask_b32_e64 v149, 0xffff8000, -1, s26
	v_lshrrev_b32_e32 v2, s48, v2
	s_delay_alu instid0(VALU_DEP_1) | instskip(NEXT) | instid1(VALU_DEP_1)
	v_and_b32_e32 v2, s55, v2
	v_lshlrev_b32_e32 v2, 2, v2
	ds_load_b32 v2, v2
	s_waitcnt lgkmcnt(0)
	v_add_nc_u32_e32 v2, v2, v56
	s_delay_alu instid0(VALU_DEP_1) | instskip(SKIP_1) | instid1(VALU_DEP_2)
	v_lshlrev_b64 v[36:37], 1, v[2:3]
	v_xor_b32_e32 v2, v149, v146
	v_add_co_u32 v36, s26, s40, v36
	s_delay_alu instid0(VALU_DEP_1) | instskip(SKIP_3) | instid1(VALU_DEP_1)
	v_add_co_ci_u32_e64 v37, s26, s41, v37, s26
	global_store_b16 v[36:37], v2, off
	s_or_b32 exec_lo, exec_lo, s27
	v_cmp_lt_u32_e64 s26, v57, v145
	s_and_saveexec_b32 s28, s26
	s_cbranch_execnz .LBB2086_489
.LBB2086_504:                           ;   in Loop: Header=BB2086_400 Depth=2
	s_or_b32 exec_lo, exec_lo, s28
	v_cmp_lt_u32_e64 s27, v58, v145
	s_delay_alu instid0(VALU_DEP_1)
	s_and_saveexec_b32 s29, s27
	s_cbranch_execz .LBB2086_490
.LBB2086_505:                           ;   in Loop: Header=BB2086_400 Depth=2
	ds_load_u16 v146, v79 offset:5632
	s_waitcnt lgkmcnt(0)
	v_cmp_ne_u16_e64 s28, 0x7fff, v146
	s_delay_alu instid0(VALU_DEP_1) | instskip(SKIP_1) | instid1(VALU_DEP_2)
	v_cndmask_b32_e64 v2, 0xffff8000, v146, s28
	v_cmp_lt_i16_e64 s28, -1, v146
	v_and_b32_e32 v2, 0xffff, v2
	s_delay_alu instid0(VALU_DEP_2) | instskip(NEXT) | instid1(VALU_DEP_2)
	v_cndmask_b32_e64 v149, 0xffff8000, -1, s28
	v_lshrrev_b32_e32 v2, s48, v2
	s_delay_alu instid0(VALU_DEP_1) | instskip(NEXT) | instid1(VALU_DEP_1)
	v_and_b32_e32 v2, s55, v2
	v_lshlrev_b32_e32 v2, 2, v2
	ds_load_b32 v2, v2
	s_waitcnt lgkmcnt(0)
	v_add_nc_u32_e32 v2, v2, v58
	s_delay_alu instid0(VALU_DEP_1) | instskip(SKIP_1) | instid1(VALU_DEP_2)
	v_lshlrev_b64 v[36:37], 1, v[2:3]
	v_xor_b32_e32 v2, v149, v146
	v_add_co_u32 v36, s28, s40, v36
	s_delay_alu instid0(VALU_DEP_1) | instskip(SKIP_3) | instid1(VALU_DEP_1)
	v_add_co_ci_u32_e64 v37, s28, s41, v37, s28
	global_store_b16 v[36:37], v2, off
	s_or_b32 exec_lo, exec_lo, s29
	v_cmp_lt_u32_e64 s28, v59, v145
	s_and_saveexec_b32 s30, s28
	s_cbranch_execnz .LBB2086_491
.LBB2086_506:                           ;   in Loop: Header=BB2086_400 Depth=2
	s_or_b32 exec_lo, exec_lo, s30
	v_cmp_lt_u32_e64 s29, v60, v145
	s_delay_alu instid0(VALU_DEP_1)
	s_and_saveexec_b32 s31, s29
	s_cbranch_execz .LBB2086_492
.LBB2086_507:                           ;   in Loop: Header=BB2086_400 Depth=2
	ds_load_u16 v146, v79 offset:6656
	s_waitcnt lgkmcnt(0)
	v_cmp_ne_u16_e64 s30, 0x7fff, v146
	s_delay_alu instid0(VALU_DEP_1) | instskip(SKIP_1) | instid1(VALU_DEP_2)
	v_cndmask_b32_e64 v2, 0xffff8000, v146, s30
	v_cmp_lt_i16_e64 s30, -1, v146
	v_and_b32_e32 v2, 0xffff, v2
	s_delay_alu instid0(VALU_DEP_2) | instskip(NEXT) | instid1(VALU_DEP_2)
	v_cndmask_b32_e64 v149, 0xffff8000, -1, s30
	v_lshrrev_b32_e32 v2, s48, v2
	s_delay_alu instid0(VALU_DEP_1) | instskip(NEXT) | instid1(VALU_DEP_1)
	v_and_b32_e32 v2, s55, v2
	v_lshlrev_b32_e32 v2, 2, v2
	ds_load_b32 v2, v2
	s_waitcnt lgkmcnt(0)
	v_add_nc_u32_e32 v2, v2, v60
	s_delay_alu instid0(VALU_DEP_1) | instskip(SKIP_1) | instid1(VALU_DEP_2)
	v_lshlrev_b64 v[36:37], 1, v[2:3]
	v_xor_b32_e32 v2, v149, v146
	v_add_co_u32 v36, s30, s40, v36
	s_delay_alu instid0(VALU_DEP_1) | instskip(SKIP_3) | instid1(VALU_DEP_1)
	v_add_co_ci_u32_e64 v37, s30, s41, v37, s30
	global_store_b16 v[36:37], v2, off
	s_or_b32 exec_lo, exec_lo, s31
	v_cmp_lt_u32_e64 s30, v61, v145
	s_and_saveexec_b32 s33, s30
	s_cbranch_execnz .LBB2086_493
.LBB2086_508:                           ;   in Loop: Header=BB2086_400 Depth=2
	s_or_b32 exec_lo, exec_lo, s33
	v_cmp_lt_u32_e64 s31, v63, v145
	s_delay_alu instid0(VALU_DEP_1)
	s_and_saveexec_b32 s58, s31
	s_cbranch_execz .LBB2086_510
.LBB2086_509:                           ;   in Loop: Header=BB2086_400 Depth=2
	ds_load_u16 v146, v79 offset:7680
	s_waitcnt lgkmcnt(0)
	v_cmp_ne_u16_e64 s33, 0x7fff, v146
	s_delay_alu instid0(VALU_DEP_1) | instskip(SKIP_1) | instid1(VALU_DEP_2)
	v_cndmask_b32_e64 v2, 0xffff8000, v146, s33
	v_cmp_lt_i16_e64 s33, -1, v146
	v_and_b32_e32 v2, 0xffff, v2
	s_delay_alu instid0(VALU_DEP_2) | instskip(NEXT) | instid1(VALU_DEP_2)
	v_cndmask_b32_e64 v149, 0xffff8000, -1, s33
	v_lshrrev_b32_e32 v2, s48, v2
	s_delay_alu instid0(VALU_DEP_1) | instskip(NEXT) | instid1(VALU_DEP_1)
	v_and_b32_e32 v2, s55, v2
	v_lshlrev_b32_e32 v2, 2, v2
	ds_load_b32 v2, v2
	s_waitcnt lgkmcnt(0)
	v_add_nc_u32_e32 v2, v2, v63
	s_delay_alu instid0(VALU_DEP_1) | instskip(SKIP_1) | instid1(VALU_DEP_2)
	v_lshlrev_b64 v[36:37], 1, v[2:3]
	v_xor_b32_e32 v2, v149, v146
	v_add_co_u32 v36, s33, s40, v36
	s_delay_alu instid0(VALU_DEP_1)
	v_add_co_ci_u32_e64 v37, s33, s41, v37, s33
	global_store_b16 v[36:37], v2, off
.LBB2086_510:                           ;   in Loop: Header=BB2086_400 Depth=2
	s_or_b32 exec_lo, exec_lo, s58
	s_lshl_b64 s[58:59], s[34:35], 3
	s_delay_alu instid0(SALU_CYCLE_1) | instskip(NEXT) | instid1(VALU_DEP_1)
	v_add_co_u32 v36, s33, v107, s58
	v_add_co_ci_u32_e64 v37, s33, s59, v108, s33
	v_cmp_lt_u32_e64 s33, v106, v145
	s_delay_alu instid0(VALU_DEP_1) | instskip(NEXT) | instid1(SALU_CYCLE_1)
	s_and_saveexec_b32 s34, s33
	s_xor_b32 s33, exec_lo, s34
	s_cbranch_execz .LBB2086_542
; %bb.511:                              ;   in Loop: Header=BB2086_400 Depth=2
	global_load_b64 v[34:35], v[36:37], off
	s_or_b32 exec_lo, exec_lo, s33
	s_delay_alu instid0(SALU_CYCLE_1)
	s_mov_b32 s34, exec_lo
	v_cmpx_lt_u32_e64 v109, v145
	s_cbranch_execnz .LBB2086_543
.LBB2086_512:                           ;   in Loop: Header=BB2086_400 Depth=2
	s_or_b32 exec_lo, exec_lo, s34
	s_delay_alu instid0(SALU_CYCLE_1)
	s_mov_b32 s34, exec_lo
	v_cmpx_lt_u32_e64 v110, v145
	s_cbranch_execz .LBB2086_544
.LBB2086_513:                           ;   in Loop: Header=BB2086_400 Depth=2
	global_load_b64 v[30:31], v[36:37], off offset:512
	s_or_b32 exec_lo, exec_lo, s34
	s_delay_alu instid0(SALU_CYCLE_1)
	s_mov_b32 s34, exec_lo
	v_cmpx_lt_u32_e64 v111, v145
	s_cbranch_execnz .LBB2086_545
.LBB2086_514:                           ;   in Loop: Header=BB2086_400 Depth=2
	s_or_b32 exec_lo, exec_lo, s34
	s_delay_alu instid0(SALU_CYCLE_1)
	s_mov_b32 s34, exec_lo
	v_cmpx_lt_u32_e64 v112, v145
	s_cbranch_execz .LBB2086_546
.LBB2086_515:                           ;   in Loop: Header=BB2086_400 Depth=2
	global_load_b64 v[26:27], v[36:37], off offset:1024
	s_or_b32 exec_lo, exec_lo, s34
	s_delay_alu instid0(SALU_CYCLE_1)
	s_mov_b32 s34, exec_lo
	v_cmpx_lt_u32_e64 v113, v145
	s_cbranch_execnz .LBB2086_547
.LBB2086_516:                           ;   in Loop: Header=BB2086_400 Depth=2
	s_or_b32 exec_lo, exec_lo, s34
	s_delay_alu instid0(SALU_CYCLE_1)
	s_mov_b32 s34, exec_lo
	v_cmpx_lt_u32_e64 v114, v145
	s_cbranch_execz .LBB2086_548
.LBB2086_517:                           ;   in Loop: Header=BB2086_400 Depth=2
	global_load_b64 v[22:23], v[36:37], off offset:1536
	s_or_b32 exec_lo, exec_lo, s34
	s_delay_alu instid0(SALU_CYCLE_1)
	s_mov_b32 s34, exec_lo
	v_cmpx_lt_u32_e64 v115, v145
	s_cbranch_execnz .LBB2086_549
.LBB2086_518:                           ;   in Loop: Header=BB2086_400 Depth=2
	s_or_b32 exec_lo, exec_lo, s34
	s_delay_alu instid0(SALU_CYCLE_1)
	s_mov_b32 s34, exec_lo
	v_cmpx_lt_u32_e64 v116, v145
	s_cbranch_execz .LBB2086_550
.LBB2086_519:                           ;   in Loop: Header=BB2086_400 Depth=2
	global_load_b64 v[18:19], v[36:37], off offset:2048
	s_or_b32 exec_lo, exec_lo, s34
	s_delay_alu instid0(SALU_CYCLE_1)
	s_mov_b32 s34, exec_lo
	v_cmpx_lt_u32_e64 v117, v145
	s_cbranch_execnz .LBB2086_551
.LBB2086_520:                           ;   in Loop: Header=BB2086_400 Depth=2
	s_or_b32 exec_lo, exec_lo, s34
	s_delay_alu instid0(SALU_CYCLE_1)
	s_mov_b32 s34, exec_lo
	v_cmpx_lt_u32_e64 v118, v145
	s_cbranch_execz .LBB2086_552
.LBB2086_521:                           ;   in Loop: Header=BB2086_400 Depth=2
	global_load_b64 v[14:15], v[36:37], off offset:2560
	s_or_b32 exec_lo, exec_lo, s34
	s_delay_alu instid0(SALU_CYCLE_1)
	s_mov_b32 s34, exec_lo
	v_cmpx_lt_u32_e64 v119, v145
	s_cbranch_execnz .LBB2086_553
.LBB2086_522:                           ;   in Loop: Header=BB2086_400 Depth=2
	s_or_b32 exec_lo, exec_lo, s34
	s_delay_alu instid0(SALU_CYCLE_1)
	s_mov_b32 s34, exec_lo
	v_cmpx_lt_u32_e64 v120, v145
	s_cbranch_execz .LBB2086_554
.LBB2086_523:                           ;   in Loop: Header=BB2086_400 Depth=2
	global_load_b64 v[10:11], v[36:37], off offset:3072
	s_or_b32 exec_lo, exec_lo, s34
	s_delay_alu instid0(SALU_CYCLE_1)
	s_mov_b32 s34, exec_lo
	v_cmpx_lt_u32_e64 v121, v145
	s_cbranch_execnz .LBB2086_555
.LBB2086_524:                           ;   in Loop: Header=BB2086_400 Depth=2
	s_or_b32 exec_lo, exec_lo, s34
	s_delay_alu instid0(SALU_CYCLE_1)
	s_mov_b32 s34, exec_lo
	v_cmpx_lt_u32_e64 v122, v145
	s_cbranch_execz .LBB2086_556
.LBB2086_525:                           ;   in Loop: Header=BB2086_400 Depth=2
	global_load_b64 v[6:7], v[36:37], off offset:3584
	s_or_b32 exec_lo, exec_lo, s34
	s_delay_alu instid0(SALU_CYCLE_1)
	s_mov_b32 s34, exec_lo
	v_cmpx_lt_u32_e64 v123, v145
	s_cbranch_execnz .LBB2086_557
.LBB2086_526:                           ;   in Loop: Header=BB2086_400 Depth=2
	s_or_b32 exec_lo, exec_lo, s34
	s_and_saveexec_b32 s34, vcc_lo
	s_cbranch_execz .LBB2086_558
.LBB2086_527:                           ;   in Loop: Header=BB2086_400 Depth=2
	v_add_nc_u32_e32 v2, v72, v78
	ds_load_u16 v2, v2 offset:1024
	s_waitcnt lgkmcnt(0)
	v_cmp_ne_u16_e64 s33, 0x7fff, v2
	s_delay_alu instid0(VALU_DEP_1) | instskip(NEXT) | instid1(VALU_DEP_1)
	v_cndmask_b32_e64 v2, 0xffff8000, v2, s33
	v_and_b32_e32 v2, 0xffff, v2
	s_delay_alu instid0(VALU_DEP_1) | instskip(NEXT) | instid1(VALU_DEP_1)
	v_lshrrev_b32_e32 v2, s48, v2
	v_and_b32_e32 v144, s55, v2
	s_or_b32 exec_lo, exec_lo, s34
	s_and_saveexec_b32 s34, s17
	s_cbranch_execnz .LBB2086_559
.LBB2086_528:                           ;   in Loop: Header=BB2086_400 Depth=2
	s_or_b32 exec_lo, exec_lo, s34
	s_and_saveexec_b32 s34, s18
	s_cbranch_execz .LBB2086_560
.LBB2086_529:                           ;   in Loop: Header=BB2086_400 Depth=2
	ds_load_u16 v2, v79 offset:1024
	s_waitcnt lgkmcnt(0)
	v_cmp_ne_u16_e64 s33, 0x7fff, v2
	s_delay_alu instid0(VALU_DEP_1) | instskip(NEXT) | instid1(VALU_DEP_1)
	v_cndmask_b32_e64 v2, 0xffff8000, v2, s33
	v_and_b32_e32 v2, 0xffff, v2
	s_delay_alu instid0(VALU_DEP_1) | instskip(NEXT) | instid1(VALU_DEP_1)
	v_lshrrev_b32_e32 v2, s48, v2
	v_and_b32_e32 v142, s55, v2
	s_or_b32 exec_lo, exec_lo, s34
	s_and_saveexec_b32 s34, s19
	s_cbranch_execnz .LBB2086_561
.LBB2086_530:                           ;   in Loop: Header=BB2086_400 Depth=2
	s_or_b32 exec_lo, exec_lo, s34
	s_and_saveexec_b32 s34, s20
	s_cbranch_execz .LBB2086_562
.LBB2086_531:                           ;   in Loop: Header=BB2086_400 Depth=2
	ds_load_u16 v2, v79 offset:2048
	s_waitcnt lgkmcnt(0)
	v_cmp_ne_u16_e64 s33, 0x7fff, v2
	s_delay_alu instid0(VALU_DEP_1) | instskip(NEXT) | instid1(VALU_DEP_1)
	v_cndmask_b32_e64 v2, 0xffff8000, v2, s33
	v_and_b32_e32 v2, 0xffff, v2
	s_delay_alu instid0(VALU_DEP_1) | instskip(NEXT) | instid1(VALU_DEP_1)
	v_lshrrev_b32_e32 v2, s48, v2
	v_and_b32_e32 v140, s55, v2
	s_or_b32 exec_lo, exec_lo, s34
	s_and_saveexec_b32 s34, s21
	s_cbranch_execnz .LBB2086_563
.LBB2086_532:                           ;   in Loop: Header=BB2086_400 Depth=2
	s_or_b32 exec_lo, exec_lo, s34
	s_and_saveexec_b32 s34, s22
	s_cbranch_execz .LBB2086_564
.LBB2086_533:                           ;   in Loop: Header=BB2086_400 Depth=2
	ds_load_u16 v2, v79 offset:3072
	s_waitcnt lgkmcnt(0)
	v_cmp_ne_u16_e64 s33, 0x7fff, v2
	s_delay_alu instid0(VALU_DEP_1) | instskip(NEXT) | instid1(VALU_DEP_1)
	v_cndmask_b32_e64 v2, 0xffff8000, v2, s33
	v_and_b32_e32 v2, 0xffff, v2
	s_delay_alu instid0(VALU_DEP_1) | instskip(NEXT) | instid1(VALU_DEP_1)
	v_lshrrev_b32_e32 v2, s48, v2
	v_and_b32_e32 v138, s55, v2
	s_or_b32 exec_lo, exec_lo, s34
	s_and_saveexec_b32 s34, s23
	s_cbranch_execnz .LBB2086_565
.LBB2086_534:                           ;   in Loop: Header=BB2086_400 Depth=2
	s_or_b32 exec_lo, exec_lo, s34
	s_and_saveexec_b32 s34, s24
	s_cbranch_execz .LBB2086_566
.LBB2086_535:                           ;   in Loop: Header=BB2086_400 Depth=2
	ds_load_u16 v2, v79 offset:4096
	s_waitcnt lgkmcnt(0)
	v_cmp_ne_u16_e64 s33, 0x7fff, v2
	s_delay_alu instid0(VALU_DEP_1) | instskip(NEXT) | instid1(VALU_DEP_1)
	v_cndmask_b32_e64 v2, 0xffff8000, v2, s33
	v_and_b32_e32 v2, 0xffff, v2
	s_delay_alu instid0(VALU_DEP_1) | instskip(NEXT) | instid1(VALU_DEP_1)
	v_lshrrev_b32_e32 v2, s48, v2
	v_and_b32_e32 v136, s55, v2
	s_or_b32 exec_lo, exec_lo, s34
	s_and_saveexec_b32 s34, s25
	s_cbranch_execnz .LBB2086_567
.LBB2086_536:                           ;   in Loop: Header=BB2086_400 Depth=2
	s_or_b32 exec_lo, exec_lo, s34
	s_and_saveexec_b32 s34, s26
	s_cbranch_execz .LBB2086_568
.LBB2086_537:                           ;   in Loop: Header=BB2086_400 Depth=2
	ds_load_u16 v2, v79 offset:5120
	s_waitcnt lgkmcnt(0)
	v_cmp_ne_u16_e64 s33, 0x7fff, v2
	s_delay_alu instid0(VALU_DEP_1) | instskip(NEXT) | instid1(VALU_DEP_1)
	v_cndmask_b32_e64 v2, 0xffff8000, v2, s33
	v_and_b32_e32 v2, 0xffff, v2
	s_delay_alu instid0(VALU_DEP_1) | instskip(NEXT) | instid1(VALU_DEP_1)
	v_lshrrev_b32_e32 v2, s48, v2
	v_and_b32_e32 v134, s55, v2
	s_or_b32 exec_lo, exec_lo, s34
	s_and_saveexec_b32 s34, s27
	s_cbranch_execnz .LBB2086_569
.LBB2086_538:                           ;   in Loop: Header=BB2086_400 Depth=2
	s_or_b32 exec_lo, exec_lo, s34
	s_and_saveexec_b32 s34, s28
	s_cbranch_execz .LBB2086_570
.LBB2086_539:                           ;   in Loop: Header=BB2086_400 Depth=2
	ds_load_u16 v2, v79 offset:6144
	s_waitcnt lgkmcnt(0)
	v_cmp_ne_u16_e64 s33, 0x7fff, v2
	s_delay_alu instid0(VALU_DEP_1) | instskip(NEXT) | instid1(VALU_DEP_1)
	v_cndmask_b32_e64 v2, 0xffff8000, v2, s33
	v_and_b32_e32 v2, 0xffff, v2
	s_delay_alu instid0(VALU_DEP_1) | instskip(NEXT) | instid1(VALU_DEP_1)
	v_lshrrev_b32_e32 v2, s48, v2
	v_and_b32_e32 v132, s55, v2
	s_or_b32 exec_lo, exec_lo, s34
	s_and_saveexec_b32 s34, s29
	s_cbranch_execnz .LBB2086_571
.LBB2086_540:                           ;   in Loop: Header=BB2086_400 Depth=2
	s_or_b32 exec_lo, exec_lo, s34
	s_and_saveexec_b32 s34, s30
	s_cbranch_execz .LBB2086_572
.LBB2086_541:                           ;   in Loop: Header=BB2086_400 Depth=2
	ds_load_u16 v2, v79 offset:7168
	s_waitcnt lgkmcnt(0)
	v_cmp_ne_u16_e64 s33, 0x7fff, v2
	s_delay_alu instid0(VALU_DEP_1) | instskip(NEXT) | instid1(VALU_DEP_1)
	v_cndmask_b32_e64 v2, 0xffff8000, v2, s33
	v_and_b32_e32 v2, 0xffff, v2
	s_delay_alu instid0(VALU_DEP_1) | instskip(NEXT) | instid1(VALU_DEP_1)
	v_lshrrev_b32_e32 v2, s48, v2
	v_and_b32_e32 v130, s55, v2
	s_or_b32 exec_lo, exec_lo, s34
	s_and_saveexec_b32 s34, s31
	s_cbranch_execnz .LBB2086_573
	s_branch .LBB2086_574
.LBB2086_542:                           ;   in Loop: Header=BB2086_400 Depth=2
	s_or_b32 exec_lo, exec_lo, s33
	s_delay_alu instid0(SALU_CYCLE_1)
	s_mov_b32 s34, exec_lo
	v_cmpx_lt_u32_e64 v109, v145
	s_cbranch_execz .LBB2086_512
.LBB2086_543:                           ;   in Loop: Header=BB2086_400 Depth=2
	global_load_b64 v[32:33], v[36:37], off offset:256
	s_or_b32 exec_lo, exec_lo, s34
	s_delay_alu instid0(SALU_CYCLE_1)
	s_mov_b32 s34, exec_lo
	v_cmpx_lt_u32_e64 v110, v145
	s_cbranch_execnz .LBB2086_513
.LBB2086_544:                           ;   in Loop: Header=BB2086_400 Depth=2
	s_or_b32 exec_lo, exec_lo, s34
	s_delay_alu instid0(SALU_CYCLE_1)
	s_mov_b32 s34, exec_lo
	v_cmpx_lt_u32_e64 v111, v145
	s_cbranch_execz .LBB2086_514
.LBB2086_545:                           ;   in Loop: Header=BB2086_400 Depth=2
	global_load_b64 v[28:29], v[36:37], off offset:768
	s_or_b32 exec_lo, exec_lo, s34
	s_delay_alu instid0(SALU_CYCLE_1)
	s_mov_b32 s34, exec_lo
	v_cmpx_lt_u32_e64 v112, v145
	s_cbranch_execnz .LBB2086_515
.LBB2086_546:                           ;   in Loop: Header=BB2086_400 Depth=2
	s_or_b32 exec_lo, exec_lo, s34
	s_delay_alu instid0(SALU_CYCLE_1)
	s_mov_b32 s34, exec_lo
	v_cmpx_lt_u32_e64 v113, v145
	s_cbranch_execz .LBB2086_516
.LBB2086_547:                           ;   in Loop: Header=BB2086_400 Depth=2
	global_load_b64 v[24:25], v[36:37], off offset:1280
	s_or_b32 exec_lo, exec_lo, s34
	s_delay_alu instid0(SALU_CYCLE_1)
	s_mov_b32 s34, exec_lo
	v_cmpx_lt_u32_e64 v114, v145
	s_cbranch_execnz .LBB2086_517
.LBB2086_548:                           ;   in Loop: Header=BB2086_400 Depth=2
	s_or_b32 exec_lo, exec_lo, s34
	s_delay_alu instid0(SALU_CYCLE_1)
	s_mov_b32 s34, exec_lo
	v_cmpx_lt_u32_e64 v115, v145
	s_cbranch_execz .LBB2086_518
.LBB2086_549:                           ;   in Loop: Header=BB2086_400 Depth=2
	global_load_b64 v[20:21], v[36:37], off offset:1792
	s_or_b32 exec_lo, exec_lo, s34
	s_delay_alu instid0(SALU_CYCLE_1)
	s_mov_b32 s34, exec_lo
	v_cmpx_lt_u32_e64 v116, v145
	s_cbranch_execnz .LBB2086_519
.LBB2086_550:                           ;   in Loop: Header=BB2086_400 Depth=2
	s_or_b32 exec_lo, exec_lo, s34
	s_delay_alu instid0(SALU_CYCLE_1)
	s_mov_b32 s34, exec_lo
	v_cmpx_lt_u32_e64 v117, v145
	s_cbranch_execz .LBB2086_520
.LBB2086_551:                           ;   in Loop: Header=BB2086_400 Depth=2
	global_load_b64 v[16:17], v[36:37], off offset:2304
	s_or_b32 exec_lo, exec_lo, s34
	s_delay_alu instid0(SALU_CYCLE_1)
	s_mov_b32 s34, exec_lo
	v_cmpx_lt_u32_e64 v118, v145
	s_cbranch_execnz .LBB2086_521
.LBB2086_552:                           ;   in Loop: Header=BB2086_400 Depth=2
	s_or_b32 exec_lo, exec_lo, s34
	s_delay_alu instid0(SALU_CYCLE_1)
	s_mov_b32 s34, exec_lo
	v_cmpx_lt_u32_e64 v119, v145
	s_cbranch_execz .LBB2086_522
.LBB2086_553:                           ;   in Loop: Header=BB2086_400 Depth=2
	global_load_b64 v[12:13], v[36:37], off offset:2816
	s_or_b32 exec_lo, exec_lo, s34
	s_delay_alu instid0(SALU_CYCLE_1)
	s_mov_b32 s34, exec_lo
	v_cmpx_lt_u32_e64 v120, v145
	s_cbranch_execnz .LBB2086_523
.LBB2086_554:                           ;   in Loop: Header=BB2086_400 Depth=2
	s_or_b32 exec_lo, exec_lo, s34
	s_delay_alu instid0(SALU_CYCLE_1)
	s_mov_b32 s34, exec_lo
	v_cmpx_lt_u32_e64 v121, v145
	s_cbranch_execz .LBB2086_524
.LBB2086_555:                           ;   in Loop: Header=BB2086_400 Depth=2
	global_load_b64 v[8:9], v[36:37], off offset:3328
	s_or_b32 exec_lo, exec_lo, s34
	s_delay_alu instid0(SALU_CYCLE_1)
	s_mov_b32 s34, exec_lo
	v_cmpx_lt_u32_e64 v122, v145
	s_cbranch_execnz .LBB2086_525
.LBB2086_556:                           ;   in Loop: Header=BB2086_400 Depth=2
	s_or_b32 exec_lo, exec_lo, s34
	s_delay_alu instid0(SALU_CYCLE_1)
	s_mov_b32 s34, exec_lo
	v_cmpx_lt_u32_e64 v123, v145
	s_cbranch_execz .LBB2086_526
.LBB2086_557:                           ;   in Loop: Header=BB2086_400 Depth=2
	global_load_b64 v[4:5], v[36:37], off offset:3840
	s_or_b32 exec_lo, exec_lo, s34
	s_and_saveexec_b32 s34, vcc_lo
	s_cbranch_execnz .LBB2086_527
.LBB2086_558:                           ;   in Loop: Header=BB2086_400 Depth=2
	s_or_b32 exec_lo, exec_lo, s34
	s_and_saveexec_b32 s34, s17
	s_cbranch_execz .LBB2086_528
.LBB2086_559:                           ;   in Loop: Header=BB2086_400 Depth=2
	ds_load_u16 v2, v79 offset:512
	s_waitcnt lgkmcnt(0)
	v_cmp_ne_u16_e64 s33, 0x7fff, v2
	s_delay_alu instid0(VALU_DEP_1) | instskip(NEXT) | instid1(VALU_DEP_1)
	v_cndmask_b32_e64 v2, 0xffff8000, v2, s33
	v_and_b32_e32 v2, 0xffff, v2
	s_delay_alu instid0(VALU_DEP_1) | instskip(NEXT) | instid1(VALU_DEP_1)
	v_lshrrev_b32_e32 v2, s48, v2
	v_and_b32_e32 v143, s55, v2
	s_or_b32 exec_lo, exec_lo, s34
	s_and_saveexec_b32 s34, s18
	s_cbranch_execnz .LBB2086_529
.LBB2086_560:                           ;   in Loop: Header=BB2086_400 Depth=2
	s_or_b32 exec_lo, exec_lo, s34
	s_and_saveexec_b32 s34, s19
	s_cbranch_execz .LBB2086_530
.LBB2086_561:                           ;   in Loop: Header=BB2086_400 Depth=2
	ds_load_u16 v2, v79 offset:1536
	s_waitcnt lgkmcnt(0)
	v_cmp_ne_u16_e64 s33, 0x7fff, v2
	s_delay_alu instid0(VALU_DEP_1) | instskip(NEXT) | instid1(VALU_DEP_1)
	v_cndmask_b32_e64 v2, 0xffff8000, v2, s33
	v_and_b32_e32 v2, 0xffff, v2
	s_delay_alu instid0(VALU_DEP_1) | instskip(NEXT) | instid1(VALU_DEP_1)
	v_lshrrev_b32_e32 v2, s48, v2
	v_and_b32_e32 v141, s55, v2
	s_or_b32 exec_lo, exec_lo, s34
	s_and_saveexec_b32 s34, s20
	s_cbranch_execnz .LBB2086_531
.LBB2086_562:                           ;   in Loop: Header=BB2086_400 Depth=2
	s_or_b32 exec_lo, exec_lo, s34
	s_and_saveexec_b32 s34, s21
	s_cbranch_execz .LBB2086_532
.LBB2086_563:                           ;   in Loop: Header=BB2086_400 Depth=2
	ds_load_u16 v2, v79 offset:2560
	s_waitcnt lgkmcnt(0)
	v_cmp_ne_u16_e64 s33, 0x7fff, v2
	s_delay_alu instid0(VALU_DEP_1) | instskip(NEXT) | instid1(VALU_DEP_1)
	v_cndmask_b32_e64 v2, 0xffff8000, v2, s33
	v_and_b32_e32 v2, 0xffff, v2
	s_delay_alu instid0(VALU_DEP_1) | instskip(NEXT) | instid1(VALU_DEP_1)
	v_lshrrev_b32_e32 v2, s48, v2
	v_and_b32_e32 v139, s55, v2
	s_or_b32 exec_lo, exec_lo, s34
	s_and_saveexec_b32 s34, s22
	s_cbranch_execnz .LBB2086_533
.LBB2086_564:                           ;   in Loop: Header=BB2086_400 Depth=2
	s_or_b32 exec_lo, exec_lo, s34
	s_and_saveexec_b32 s34, s23
	s_cbranch_execz .LBB2086_534
.LBB2086_565:                           ;   in Loop: Header=BB2086_400 Depth=2
	ds_load_u16 v2, v79 offset:3584
	s_waitcnt lgkmcnt(0)
	v_cmp_ne_u16_e64 s33, 0x7fff, v2
	s_delay_alu instid0(VALU_DEP_1) | instskip(NEXT) | instid1(VALU_DEP_1)
	v_cndmask_b32_e64 v2, 0xffff8000, v2, s33
	v_and_b32_e32 v2, 0xffff, v2
	s_delay_alu instid0(VALU_DEP_1) | instskip(NEXT) | instid1(VALU_DEP_1)
	v_lshrrev_b32_e32 v2, s48, v2
	v_and_b32_e32 v137, s55, v2
	s_or_b32 exec_lo, exec_lo, s34
	s_and_saveexec_b32 s34, s24
	s_cbranch_execnz .LBB2086_535
.LBB2086_566:                           ;   in Loop: Header=BB2086_400 Depth=2
	s_or_b32 exec_lo, exec_lo, s34
	s_and_saveexec_b32 s34, s25
	s_cbranch_execz .LBB2086_536
.LBB2086_567:                           ;   in Loop: Header=BB2086_400 Depth=2
	ds_load_u16 v2, v79 offset:4608
	s_waitcnt lgkmcnt(0)
	v_cmp_ne_u16_e64 s33, 0x7fff, v2
	s_delay_alu instid0(VALU_DEP_1) | instskip(NEXT) | instid1(VALU_DEP_1)
	v_cndmask_b32_e64 v2, 0xffff8000, v2, s33
	v_and_b32_e32 v2, 0xffff, v2
	s_delay_alu instid0(VALU_DEP_1) | instskip(NEXT) | instid1(VALU_DEP_1)
	v_lshrrev_b32_e32 v2, s48, v2
	v_and_b32_e32 v135, s55, v2
	s_or_b32 exec_lo, exec_lo, s34
	s_and_saveexec_b32 s34, s26
	s_cbranch_execnz .LBB2086_537
.LBB2086_568:                           ;   in Loop: Header=BB2086_400 Depth=2
	s_or_b32 exec_lo, exec_lo, s34
	s_and_saveexec_b32 s34, s27
	s_cbranch_execz .LBB2086_538
.LBB2086_569:                           ;   in Loop: Header=BB2086_400 Depth=2
	ds_load_u16 v2, v79 offset:5632
	s_waitcnt lgkmcnt(0)
	v_cmp_ne_u16_e64 s33, 0x7fff, v2
	s_delay_alu instid0(VALU_DEP_1) | instskip(NEXT) | instid1(VALU_DEP_1)
	v_cndmask_b32_e64 v2, 0xffff8000, v2, s33
	v_and_b32_e32 v2, 0xffff, v2
	s_delay_alu instid0(VALU_DEP_1) | instskip(NEXT) | instid1(VALU_DEP_1)
	v_lshrrev_b32_e32 v2, s48, v2
	v_and_b32_e32 v133, s55, v2
	s_or_b32 exec_lo, exec_lo, s34
	s_and_saveexec_b32 s34, s28
	s_cbranch_execnz .LBB2086_539
.LBB2086_570:                           ;   in Loop: Header=BB2086_400 Depth=2
	s_or_b32 exec_lo, exec_lo, s34
	s_and_saveexec_b32 s34, s29
	s_cbranch_execz .LBB2086_540
.LBB2086_571:                           ;   in Loop: Header=BB2086_400 Depth=2
	ds_load_u16 v2, v79 offset:6656
	s_waitcnt lgkmcnt(0)
	v_cmp_ne_u16_e64 s33, 0x7fff, v2
	s_delay_alu instid0(VALU_DEP_1) | instskip(NEXT) | instid1(VALU_DEP_1)
	v_cndmask_b32_e64 v2, 0xffff8000, v2, s33
	v_and_b32_e32 v2, 0xffff, v2
	s_delay_alu instid0(VALU_DEP_1) | instskip(NEXT) | instid1(VALU_DEP_1)
	v_lshrrev_b32_e32 v2, s48, v2
	v_and_b32_e32 v131, s55, v2
	s_or_b32 exec_lo, exec_lo, s34
	s_and_saveexec_b32 s34, s30
	s_cbranch_execnz .LBB2086_541
.LBB2086_572:                           ;   in Loop: Header=BB2086_400 Depth=2
	s_or_b32 exec_lo, exec_lo, s34
	s_and_saveexec_b32 s34, s31
	s_cbranch_execz .LBB2086_574
.LBB2086_573:                           ;   in Loop: Header=BB2086_400 Depth=2
	ds_load_u16 v2, v79 offset:7680
	s_waitcnt lgkmcnt(0)
	v_cmp_ne_u16_e64 s33, 0x7fff, v2
	s_delay_alu instid0(VALU_DEP_1) | instskip(NEXT) | instid1(VALU_DEP_1)
	v_cndmask_b32_e64 v2, 0xffff8000, v2, s33
	v_and_b32_e32 v2, 0xffff, v2
	s_delay_alu instid0(VALU_DEP_1) | instskip(NEXT) | instid1(VALU_DEP_1)
	v_lshrrev_b32_e32 v2, s48, v2
	v_and_b32_e32 v129, s55, v2
.LBB2086_574:                           ;   in Loop: Header=BB2086_400 Depth=2
	s_or_b32 exec_lo, exec_lo, s34
	v_lshlrev_b32_e32 v2, 3, v168
	v_lshlrev_b32_e32 v36, 3, v164
	s_waitcnt vmcnt(0)
	s_waitcnt_vscnt null, 0x0
	s_barrier
	buffer_gl0_inv
	ds_store_b64 v2, v[34:35] offset:1024
	v_lshlrev_b32_e32 v2, 3, v160
	v_lshlrev_b32_e32 v37, 3, v156
	;; [unrolled: 1-line block ×4, first 2 shown]
	ds_store_b64 v36, v[32:33] offset:1024
	ds_store_b64 v2, v[30:31] offset:1024
	;; [unrolled: 1-line block ×5, first 2 shown]
	v_lshlrev_b32_e32 v2, 3, v152
	v_lshlrev_b32_e32 v36, 3, v151
	;; [unrolled: 1-line block ×5, first 2 shown]
	ds_store_b64 v2, v[22:23] offset:1024
	ds_store_b64 v36, v[20:21] offset:1024
	ds_store_b64 v37, v[18:19] offset:1024
	ds_store_b64 v145, v[16:17] offset:1024
	ds_store_b64 v146, v[14:15] offset:1024
	v_lshlrev_b32_e32 v2, 3, v40
	v_lshlrev_b32_e32 v36, 3, v39
	;; [unrolled: 1-line block ×5, first 2 shown]
	ds_store_b64 v2, v[12:13] offset:1024
	ds_store_b64 v36, v[10:11] offset:1024
	;; [unrolled: 1-line block ×5, first 2 shown]
	s_waitcnt lgkmcnt(0)
	s_barrier
	buffer_gl0_inv
	s_and_saveexec_b32 s33, vcc_lo
	s_cbranch_execz .LBB2086_590
; %bb.575:                              ;   in Loop: Header=BB2086_400 Depth=2
	v_lshlrev_b32_e32 v2, 2, v144
	ds_load_b32 v2, v2
	ds_load_b64 v[36:37], v80 offset:1024
	s_waitcnt lgkmcnt(1)
	v_add_nc_u32_e32 v2, v2, v1
	s_delay_alu instid0(VALU_DEP_1) | instskip(NEXT) | instid1(VALU_DEP_1)
	v_lshlrev_b64 v[39:40], 3, v[2:3]
	v_add_co_u32 v39, vcc_lo, s46, v39
	s_delay_alu instid0(VALU_DEP_2)
	v_add_co_ci_u32_e32 v40, vcc_lo, s47, v40, vcc_lo
	s_waitcnt lgkmcnt(0)
	global_store_b64 v[39:40], v[36:37], off
	s_or_b32 exec_lo, exec_lo, s33
	s_and_saveexec_b32 s33, s17
	s_cbranch_execnz .LBB2086_591
.LBB2086_576:                           ;   in Loop: Header=BB2086_400 Depth=2
	s_or_b32 exec_lo, exec_lo, s33
	s_and_saveexec_b32 s17, s18
	s_cbranch_execz .LBB2086_592
.LBB2086_577:                           ;   in Loop: Header=BB2086_400 Depth=2
	v_lshlrev_b32_e32 v2, 2, v142
	v_add_nc_u32_e32 v36, v79, v81
	ds_load_b32 v2, v2
	ds_load_b64 v[36:37], v36 offset:4096
	s_waitcnt lgkmcnt(1)
	v_add_nc_u32_e32 v2, v2, v46
	s_delay_alu instid0(VALU_DEP_1) | instskip(NEXT) | instid1(VALU_DEP_1)
	v_lshlrev_b64 v[39:40], 3, v[2:3]
	v_add_co_u32 v39, vcc_lo, s46, v39
	s_delay_alu instid0(VALU_DEP_2)
	v_add_co_ci_u32_e32 v40, vcc_lo, s47, v40, vcc_lo
	s_waitcnt lgkmcnt(0)
	global_store_b64 v[39:40], v[36:37], off
	s_or_b32 exec_lo, exec_lo, s17
	s_and_saveexec_b32 s17, s19
	s_cbranch_execnz .LBB2086_593
.LBB2086_578:                           ;   in Loop: Header=BB2086_400 Depth=2
	s_or_b32 exec_lo, exec_lo, s17
	s_and_saveexec_b32 s17, s20
	s_cbranch_execz .LBB2086_594
.LBB2086_579:                           ;   in Loop: Header=BB2086_400 Depth=2
	v_lshlrev_b32_e32 v2, 2, v140
	v_add_nc_u32_e32 v36, v79, v81
	ds_load_b32 v2, v2
	ds_load_b64 v[36:37], v36 offset:8192
	s_waitcnt lgkmcnt(1)
	v_add_nc_u32_e32 v2, v2, v51
	s_delay_alu instid0(VALU_DEP_1) | instskip(NEXT) | instid1(VALU_DEP_1)
	v_lshlrev_b64 v[39:40], 3, v[2:3]
	v_add_co_u32 v39, vcc_lo, s46, v39
	s_delay_alu instid0(VALU_DEP_2)
	v_add_co_ci_u32_e32 v40, vcc_lo, s47, v40, vcc_lo
	s_waitcnt lgkmcnt(0)
	global_store_b64 v[39:40], v[36:37], off
	s_or_b32 exec_lo, exec_lo, s17
	s_and_saveexec_b32 s17, s21
	s_cbranch_execnz .LBB2086_595
.LBB2086_580:                           ;   in Loop: Header=BB2086_400 Depth=2
	s_or_b32 exec_lo, exec_lo, s17
	s_and_saveexec_b32 s17, s22
	s_cbranch_execz .LBB2086_596
.LBB2086_581:                           ;   in Loop: Header=BB2086_400 Depth=2
	v_lshlrev_b32_e32 v2, 2, v138
	v_add_nc_u32_e32 v36, v79, v81
	ds_load_b32 v2, v2
	ds_load_b64 v[36:37], v36 offset:12288
	s_waitcnt lgkmcnt(1)
	v_add_nc_u32_e32 v2, v2, v53
	s_delay_alu instid0(VALU_DEP_1) | instskip(NEXT) | instid1(VALU_DEP_1)
	v_lshlrev_b64 v[39:40], 3, v[2:3]
	v_add_co_u32 v39, vcc_lo, s46, v39
	s_delay_alu instid0(VALU_DEP_2)
	v_add_co_ci_u32_e32 v40, vcc_lo, s47, v40, vcc_lo
	s_waitcnt lgkmcnt(0)
	global_store_b64 v[39:40], v[36:37], off
	s_or_b32 exec_lo, exec_lo, s17
	s_and_saveexec_b32 s17, s23
	s_cbranch_execnz .LBB2086_597
.LBB2086_582:                           ;   in Loop: Header=BB2086_400 Depth=2
	s_or_b32 exec_lo, exec_lo, s17
	s_and_saveexec_b32 s17, s24
	s_cbranch_execz .LBB2086_598
.LBB2086_583:                           ;   in Loop: Header=BB2086_400 Depth=2
	v_lshlrev_b32_e32 v2, 2, v136
	v_add_nc_u32_e32 v36, v79, v81
	ds_load_b32 v2, v2
	ds_load_b64 v[36:37], v36 offset:16384
	s_waitcnt lgkmcnt(1)
	v_add_nc_u32_e32 v2, v2, v55
	s_delay_alu instid0(VALU_DEP_1) | instskip(NEXT) | instid1(VALU_DEP_1)
	v_lshlrev_b64 v[39:40], 3, v[2:3]
	v_add_co_u32 v39, vcc_lo, s46, v39
	s_delay_alu instid0(VALU_DEP_2)
	v_add_co_ci_u32_e32 v40, vcc_lo, s47, v40, vcc_lo
	s_waitcnt lgkmcnt(0)
	global_store_b64 v[39:40], v[36:37], off
	s_or_b32 exec_lo, exec_lo, s17
	s_and_saveexec_b32 s17, s25
	s_cbranch_execnz .LBB2086_599
.LBB2086_584:                           ;   in Loop: Header=BB2086_400 Depth=2
	s_or_b32 exec_lo, exec_lo, s17
	s_and_saveexec_b32 s17, s26
	s_cbranch_execz .LBB2086_600
.LBB2086_585:                           ;   in Loop: Header=BB2086_400 Depth=2
	v_lshlrev_b32_e32 v2, 2, v134
	v_add_nc_u32_e32 v36, v79, v81
	ds_load_b32 v2, v2
	ds_load_b64 v[36:37], v36 offset:20480
	s_waitcnt lgkmcnt(1)
	v_add_nc_u32_e32 v2, v2, v57
	s_delay_alu instid0(VALU_DEP_1) | instskip(NEXT) | instid1(VALU_DEP_1)
	v_lshlrev_b64 v[39:40], 3, v[2:3]
	v_add_co_u32 v39, vcc_lo, s46, v39
	s_delay_alu instid0(VALU_DEP_2)
	v_add_co_ci_u32_e32 v40, vcc_lo, s47, v40, vcc_lo
	s_waitcnt lgkmcnt(0)
	global_store_b64 v[39:40], v[36:37], off
	s_or_b32 exec_lo, exec_lo, s17
	s_and_saveexec_b32 s17, s27
	s_cbranch_execnz .LBB2086_601
.LBB2086_586:                           ;   in Loop: Header=BB2086_400 Depth=2
	s_or_b32 exec_lo, exec_lo, s17
	s_and_saveexec_b32 s17, s28
	s_cbranch_execz .LBB2086_602
.LBB2086_587:                           ;   in Loop: Header=BB2086_400 Depth=2
	v_lshlrev_b32_e32 v2, 2, v132
	v_add_nc_u32_e32 v36, v79, v81
	ds_load_b32 v2, v2
	ds_load_b64 v[36:37], v36 offset:24576
	s_waitcnt lgkmcnt(1)
	v_add_nc_u32_e32 v2, v2, v59
	s_delay_alu instid0(VALU_DEP_1) | instskip(NEXT) | instid1(VALU_DEP_1)
	v_lshlrev_b64 v[39:40], 3, v[2:3]
	v_add_co_u32 v39, vcc_lo, s46, v39
	s_delay_alu instid0(VALU_DEP_2)
	v_add_co_ci_u32_e32 v40, vcc_lo, s47, v40, vcc_lo
	s_waitcnt lgkmcnt(0)
	global_store_b64 v[39:40], v[36:37], off
	s_or_b32 exec_lo, exec_lo, s17
	s_and_saveexec_b32 s17, s29
	s_cbranch_execnz .LBB2086_603
.LBB2086_588:                           ;   in Loop: Header=BB2086_400 Depth=2
	s_or_b32 exec_lo, exec_lo, s17
	s_and_saveexec_b32 s17, s30
	s_cbranch_execz .LBB2086_604
.LBB2086_589:                           ;   in Loop: Header=BB2086_400 Depth=2
	v_lshlrev_b32_e32 v2, 2, v130
	v_add_nc_u32_e32 v36, v79, v81
	ds_load_b32 v2, v2
	ds_load_b64 v[36:37], v36 offset:28672
	s_waitcnt lgkmcnt(1)
	v_add_nc_u32_e32 v2, v2, v61
	s_delay_alu instid0(VALU_DEP_1) | instskip(NEXT) | instid1(VALU_DEP_1)
	v_lshlrev_b64 v[39:40], 3, v[2:3]
	v_add_co_u32 v39, vcc_lo, s46, v39
	s_delay_alu instid0(VALU_DEP_2)
	v_add_co_ci_u32_e32 v40, vcc_lo, s47, v40, vcc_lo
	s_waitcnt lgkmcnt(0)
	global_store_b64 v[39:40], v[36:37], off
	s_or_b32 exec_lo, exec_lo, s17
	s_and_saveexec_b32 s17, s31
	s_cbranch_execnz .LBB2086_605
	s_branch .LBB2086_606
.LBB2086_590:                           ;   in Loop: Header=BB2086_400 Depth=2
	s_or_b32 exec_lo, exec_lo, s33
	s_and_saveexec_b32 s33, s17
	s_cbranch_execz .LBB2086_576
.LBB2086_591:                           ;   in Loop: Header=BB2086_400 Depth=2
	v_lshlrev_b32_e32 v2, 2, v143
	v_add_nc_u32_e32 v36, v79, v81
	ds_load_b32 v2, v2
	ds_load_b64 v[36:37], v36 offset:2048
	s_waitcnt lgkmcnt(1)
	v_add_nc_u32_e32 v2, v2, v45
	s_delay_alu instid0(VALU_DEP_1) | instskip(NEXT) | instid1(VALU_DEP_1)
	v_lshlrev_b64 v[39:40], 3, v[2:3]
	v_add_co_u32 v39, vcc_lo, s46, v39
	s_delay_alu instid0(VALU_DEP_2)
	v_add_co_ci_u32_e32 v40, vcc_lo, s47, v40, vcc_lo
	s_waitcnt lgkmcnt(0)
	global_store_b64 v[39:40], v[36:37], off
	s_or_b32 exec_lo, exec_lo, s33
	s_and_saveexec_b32 s17, s18
	s_cbranch_execnz .LBB2086_577
.LBB2086_592:                           ;   in Loop: Header=BB2086_400 Depth=2
	s_or_b32 exec_lo, exec_lo, s17
	s_and_saveexec_b32 s17, s19
	s_cbranch_execz .LBB2086_578
.LBB2086_593:                           ;   in Loop: Header=BB2086_400 Depth=2
	v_lshlrev_b32_e32 v2, 2, v141
	v_add_nc_u32_e32 v36, v79, v81
	ds_load_b32 v2, v2
	ds_load_b64 v[36:37], v36 offset:6144
	s_waitcnt lgkmcnt(1)
	v_add_nc_u32_e32 v2, v2, v47
	s_delay_alu instid0(VALU_DEP_1) | instskip(NEXT) | instid1(VALU_DEP_1)
	v_lshlrev_b64 v[39:40], 3, v[2:3]
	v_add_co_u32 v39, vcc_lo, s46, v39
	s_delay_alu instid0(VALU_DEP_2)
	v_add_co_ci_u32_e32 v40, vcc_lo, s47, v40, vcc_lo
	s_waitcnt lgkmcnt(0)
	global_store_b64 v[39:40], v[36:37], off
	s_or_b32 exec_lo, exec_lo, s17
	s_and_saveexec_b32 s17, s20
	s_cbranch_execnz .LBB2086_579
.LBB2086_594:                           ;   in Loop: Header=BB2086_400 Depth=2
	s_or_b32 exec_lo, exec_lo, s17
	s_and_saveexec_b32 s17, s21
	s_cbranch_execz .LBB2086_580
.LBB2086_595:                           ;   in Loop: Header=BB2086_400 Depth=2
	v_lshlrev_b32_e32 v2, 2, v139
	v_add_nc_u32_e32 v36, v79, v81
	ds_load_b32 v2, v2
	ds_load_b64 v[36:37], v36 offset:10240
	s_waitcnt lgkmcnt(1)
	v_add_nc_u32_e32 v2, v2, v52
	s_delay_alu instid0(VALU_DEP_1) | instskip(NEXT) | instid1(VALU_DEP_1)
	v_lshlrev_b64 v[39:40], 3, v[2:3]
	v_add_co_u32 v39, vcc_lo, s46, v39
	s_delay_alu instid0(VALU_DEP_2)
	v_add_co_ci_u32_e32 v40, vcc_lo, s47, v40, vcc_lo
	s_waitcnt lgkmcnt(0)
	global_store_b64 v[39:40], v[36:37], off
	s_or_b32 exec_lo, exec_lo, s17
	s_and_saveexec_b32 s17, s22
	s_cbranch_execnz .LBB2086_581
.LBB2086_596:                           ;   in Loop: Header=BB2086_400 Depth=2
	s_or_b32 exec_lo, exec_lo, s17
	s_and_saveexec_b32 s17, s23
	s_cbranch_execz .LBB2086_582
.LBB2086_597:                           ;   in Loop: Header=BB2086_400 Depth=2
	v_lshlrev_b32_e32 v2, 2, v137
	v_add_nc_u32_e32 v36, v79, v81
	ds_load_b32 v2, v2
	ds_load_b64 v[36:37], v36 offset:14336
	s_waitcnt lgkmcnt(1)
	v_add_nc_u32_e32 v2, v2, v54
	s_delay_alu instid0(VALU_DEP_1) | instskip(NEXT) | instid1(VALU_DEP_1)
	v_lshlrev_b64 v[39:40], 3, v[2:3]
	v_add_co_u32 v39, vcc_lo, s46, v39
	s_delay_alu instid0(VALU_DEP_2)
	v_add_co_ci_u32_e32 v40, vcc_lo, s47, v40, vcc_lo
	s_waitcnt lgkmcnt(0)
	global_store_b64 v[39:40], v[36:37], off
	s_or_b32 exec_lo, exec_lo, s17
	s_and_saveexec_b32 s17, s24
	s_cbranch_execnz .LBB2086_583
.LBB2086_598:                           ;   in Loop: Header=BB2086_400 Depth=2
	s_or_b32 exec_lo, exec_lo, s17
	s_and_saveexec_b32 s17, s25
	s_cbranch_execz .LBB2086_584
.LBB2086_599:                           ;   in Loop: Header=BB2086_400 Depth=2
	v_lshlrev_b32_e32 v2, 2, v135
	v_add_nc_u32_e32 v36, v79, v81
	ds_load_b32 v2, v2
	ds_load_b64 v[36:37], v36 offset:18432
	s_waitcnt lgkmcnt(1)
	v_add_nc_u32_e32 v2, v2, v56
	s_delay_alu instid0(VALU_DEP_1) | instskip(NEXT) | instid1(VALU_DEP_1)
	v_lshlrev_b64 v[39:40], 3, v[2:3]
	v_add_co_u32 v39, vcc_lo, s46, v39
	s_delay_alu instid0(VALU_DEP_2)
	v_add_co_ci_u32_e32 v40, vcc_lo, s47, v40, vcc_lo
	s_waitcnt lgkmcnt(0)
	global_store_b64 v[39:40], v[36:37], off
	s_or_b32 exec_lo, exec_lo, s17
	s_and_saveexec_b32 s17, s26
	s_cbranch_execnz .LBB2086_585
.LBB2086_600:                           ;   in Loop: Header=BB2086_400 Depth=2
	s_or_b32 exec_lo, exec_lo, s17
	s_and_saveexec_b32 s17, s27
	s_cbranch_execz .LBB2086_586
.LBB2086_601:                           ;   in Loop: Header=BB2086_400 Depth=2
	v_lshlrev_b32_e32 v2, 2, v133
	v_add_nc_u32_e32 v36, v79, v81
	ds_load_b32 v2, v2
	ds_load_b64 v[36:37], v36 offset:22528
	s_waitcnt lgkmcnt(1)
	v_add_nc_u32_e32 v2, v2, v58
	s_delay_alu instid0(VALU_DEP_1) | instskip(NEXT) | instid1(VALU_DEP_1)
	v_lshlrev_b64 v[39:40], 3, v[2:3]
	v_add_co_u32 v39, vcc_lo, s46, v39
	s_delay_alu instid0(VALU_DEP_2)
	v_add_co_ci_u32_e32 v40, vcc_lo, s47, v40, vcc_lo
	s_waitcnt lgkmcnt(0)
	global_store_b64 v[39:40], v[36:37], off
	s_or_b32 exec_lo, exec_lo, s17
	s_and_saveexec_b32 s17, s28
	s_cbranch_execnz .LBB2086_587
.LBB2086_602:                           ;   in Loop: Header=BB2086_400 Depth=2
	s_or_b32 exec_lo, exec_lo, s17
	s_and_saveexec_b32 s17, s29
	s_cbranch_execz .LBB2086_588
.LBB2086_603:                           ;   in Loop: Header=BB2086_400 Depth=2
	v_lshlrev_b32_e32 v2, 2, v131
	v_add_nc_u32_e32 v36, v79, v81
	ds_load_b32 v2, v2
	ds_load_b64 v[36:37], v36 offset:26624
	s_waitcnt lgkmcnt(1)
	v_add_nc_u32_e32 v2, v2, v60
	s_delay_alu instid0(VALU_DEP_1) | instskip(NEXT) | instid1(VALU_DEP_1)
	v_lshlrev_b64 v[39:40], 3, v[2:3]
	v_add_co_u32 v39, vcc_lo, s46, v39
	s_delay_alu instid0(VALU_DEP_2)
	v_add_co_ci_u32_e32 v40, vcc_lo, s47, v40, vcc_lo
	s_waitcnt lgkmcnt(0)
	global_store_b64 v[39:40], v[36:37], off
	s_or_b32 exec_lo, exec_lo, s17
	s_and_saveexec_b32 s17, s30
	s_cbranch_execnz .LBB2086_589
.LBB2086_604:                           ;   in Loop: Header=BB2086_400 Depth=2
	s_or_b32 exec_lo, exec_lo, s17
	s_and_saveexec_b32 s17, s31
	s_cbranch_execz .LBB2086_606
.LBB2086_605:                           ;   in Loop: Header=BB2086_400 Depth=2
	v_lshlrev_b32_e32 v2, 2, v129
	v_add_nc_u32_e32 v36, v79, v81
	ds_load_b32 v2, v2
	ds_load_b64 v[36:37], v36 offset:30720
	s_waitcnt lgkmcnt(1)
	v_add_nc_u32_e32 v2, v2, v63
	s_delay_alu instid0(VALU_DEP_1) | instskip(NEXT) | instid1(VALU_DEP_1)
	v_lshlrev_b64 v[39:40], 3, v[2:3]
	v_add_co_u32 v39, vcc_lo, s46, v39
	s_delay_alu instid0(VALU_DEP_2)
	v_add_co_ci_u32_e32 v40, vcc_lo, s47, v40, vcc_lo
	s_waitcnt lgkmcnt(0)
	global_store_b64 v[39:40], v[36:37], off
.LBB2086_606:                           ;   in Loop: Header=BB2086_400 Depth=2
	s_or_b32 exec_lo, exec_lo, s17
	s_waitcnt_vscnt null, 0x0
	s_barrier
	buffer_gl0_inv
	s_and_saveexec_b32 s17, s2
	s_cbranch_execz .LBB2086_399
; %bb.607:                              ;   in Loop: Header=BB2086_400 Depth=2
	ds_load_b32 v2, v44
	s_waitcnt lgkmcnt(0)
	v_add_nc_u32_e32 v2, v2, v38
	ds_store_b32 v44, v2
	s_branch .LBB2086_399
.LBB2086_608:                           ;   in Loop: Header=BB2086_20 Depth=1
	s_waitcnt lgkmcnt(0)
	s_barrier
.LBB2086_609:                           ;   in Loop: Header=BB2086_20 Depth=1
	s_mov_b32 s0, 0
.LBB2086_610:                           ;   in Loop: Header=BB2086_20 Depth=1
	s_delay_alu instid0(SALU_CYCLE_1)
	s_and_not1_b32 vcc_lo, exec_lo, s0
	s_cbranch_vccnz .LBB2086_19
; %bb.611:                              ;   in Loop: Header=BB2086_20 Depth=1
	s_and_b32 vcc_lo, exec_lo, s51
	s_mov_b32 s0, -1
	s_cbranch_vccz .LBB2086_905
; %bb.612:                              ;   in Loop: Header=BB2086_20 Depth=1
	s_mov_b32 s8, s54
	s_mov_b32 s34, s52
	s_barrier
	buffer_gl0_inv
                                        ; implicit-def: $vgpr20
                                        ; implicit-def: $vgpr2
                                        ; implicit-def: $vgpr6
                                        ; implicit-def: $vgpr7
                                        ; implicit-def: $vgpr8
                                        ; implicit-def: $vgpr9
                                        ; implicit-def: $vgpr10
                                        ; implicit-def: $vgpr11
                                        ; implicit-def: $vgpr12
                                        ; implicit-def: $vgpr13
                                        ; implicit-def: $vgpr14
                                        ; implicit-def: $vgpr15
                                        ; implicit-def: $vgpr16
                                        ; implicit-def: $vgpr17
                                        ; implicit-def: $vgpr18
                                        ; implicit-def: $vgpr19
	s_branch .LBB2086_614
.LBB2086_613:                           ;   in Loop: Header=BB2086_614 Depth=2
	s_or_b32 exec_lo, exec_lo, s0
	s_addk_i32 s8, 0xf000
	s_cmp_ge_u32 s9, s53
	s_mov_b32 s34, s9
	s_cbranch_scc1 .LBB2086_684
.LBB2086_614:                           ;   Parent Loop BB2086_20 Depth=1
                                        ; =>  This Inner Loop Header: Depth=2
	s_add_i32 s9, s34, 0x1000
	s_delay_alu instid0(SALU_CYCLE_1)
	s_cmp_gt_u32 s9, s53
	s_cbranch_scc1 .LBB2086_617
; %bb.615:                              ;   in Loop: Header=BB2086_614 Depth=2
	s_mov_b32 s1, 0
	s_mov_b32 s0, s34
	s_delay_alu instid0(SALU_CYCLE_1) | instskip(NEXT) | instid1(SALU_CYCLE_1)
	s_lshl_b64 s[10:11], s[0:1], 1
	v_add_co_u32 v4, vcc_lo, v88, s10
	v_add_co_ci_u32_e32 v5, vcc_lo, s11, v89, vcc_lo
	s_movk_i32 s11, 0x1000
	s_waitcnt vmcnt(0)
	s_delay_alu instid0(VALU_DEP_2) | instskip(NEXT) | instid1(VALU_DEP_2)
	v_add_co_u32 v36, vcc_lo, 0x1000, v4
	v_add_co_ci_u32_e32 v37, vcc_lo, 0, v5, vcc_lo
	s_clause 0xe
	global_load_u16 v22, v[4:5], off
	global_load_u16 v23, v[4:5], off offset:512
	global_load_u16 v24, v[4:5], off offset:1024
	;; [unrolled: 1-line block ×7, first 2 shown]
	global_load_u16 v30, v[36:37], off
	global_load_u16 v31, v[36:37], off offset:512
	global_load_u16 v32, v[36:37], off offset:1024
	;; [unrolled: 1-line block ×6, first 2 shown]
	v_add_co_u32 v4, vcc_lo, 0x1e00, v4
	v_add_co_ci_u32_e32 v5, vcc_lo, 0, v5, vcc_lo
	s_mov_b32 s10, -1
	s_cbranch_execz .LBB2086_618
; %bb.616:                              ;   in Loop: Header=BB2086_614 Depth=2
                                        ; implicit-def: $vgpr19
                                        ; implicit-def: $vgpr18
                                        ; implicit-def: $vgpr17
                                        ; implicit-def: $vgpr16
                                        ; implicit-def: $vgpr15
                                        ; implicit-def: $vgpr14
                                        ; implicit-def: $vgpr13
                                        ; implicit-def: $vgpr12
                                        ; implicit-def: $vgpr11
                                        ; implicit-def: $vgpr10
                                        ; implicit-def: $vgpr9
                                        ; implicit-def: $vgpr8
                                        ; implicit-def: $vgpr7
                                        ; implicit-def: $vgpr6
                                        ; implicit-def: $vgpr2
                                        ; implicit-def: $vgpr20
	v_mov_b32_e32 v21, s8
	s_and_saveexec_b32 s0, s10
	s_cbranch_execnz .LBB2086_637
	s_branch .LBB2086_638
.LBB2086_617:                           ;   in Loop: Header=BB2086_614 Depth=2
	s_mov_b32 s10, 0
                                        ; implicit-def: $sgpr11
                                        ; implicit-def: $vgpr22
                                        ; implicit-def: $vgpr23
                                        ; implicit-def: $vgpr24
                                        ; implicit-def: $vgpr25
                                        ; implicit-def: $vgpr26
                                        ; implicit-def: $vgpr27
                                        ; implicit-def: $vgpr28
                                        ; implicit-def: $vgpr29
                                        ; implicit-def: $vgpr30
                                        ; implicit-def: $vgpr31
                                        ; implicit-def: $vgpr32
                                        ; implicit-def: $vgpr33
                                        ; implicit-def: $vgpr34
                                        ; implicit-def: $vgpr35
                                        ; implicit-def: $vgpr36
                                        ; implicit-def: $vgpr4_vgpr5
.LBB2086_618:                           ;   in Loop: Header=BB2086_614 Depth=2
	s_lshl_b64 s[0:1], s[34:35], 1
	s_mov_b32 s11, exec_lo
	s_add_u32 s0, s36, s0
	s_addc_u32 s1, s37, s1
	v_cmpx_gt_u32_e64 s8, v1
	s_cbranch_execz .LBB2086_670
; %bb.619:                              ;   in Loop: Header=BB2086_614 Depth=2
	global_load_u16 v19, v95, s[0:1]
	s_or_b32 exec_lo, exec_lo, s11
	s_delay_alu instid0(SALU_CYCLE_1)
	s_mov_b32 s11, exec_lo
	v_cmpx_gt_u32_e64 s8, v45
	s_cbranch_execnz .LBB2086_671
.LBB2086_620:                           ;   in Loop: Header=BB2086_614 Depth=2
	s_or_b32 exec_lo, exec_lo, s11
	s_delay_alu instid0(SALU_CYCLE_1)
	s_mov_b32 s11, exec_lo
	v_cmpx_gt_u32_e64 s8, v46
	s_cbranch_execz .LBB2086_672
.LBB2086_621:                           ;   in Loop: Header=BB2086_614 Depth=2
	global_load_u16 v17, v95, s[0:1] offset:1024
	s_or_b32 exec_lo, exec_lo, s11
	s_delay_alu instid0(SALU_CYCLE_1)
	s_mov_b32 s11, exec_lo
	v_cmpx_gt_u32_e64 s8, v47
	s_cbranch_execnz .LBB2086_673
.LBB2086_622:                           ;   in Loop: Header=BB2086_614 Depth=2
	s_or_b32 exec_lo, exec_lo, s11
	s_delay_alu instid0(SALU_CYCLE_1)
	s_mov_b32 s11, exec_lo
	v_cmpx_gt_u32_e64 s8, v51
	s_cbranch_execz .LBB2086_674
.LBB2086_623:                           ;   in Loop: Header=BB2086_614 Depth=2
	global_load_u16 v15, v95, s[0:1] offset:2048
	s_or_b32 exec_lo, exec_lo, s11
	s_delay_alu instid0(SALU_CYCLE_1)
	s_mov_b32 s11, exec_lo
	v_cmpx_gt_u32_e64 s8, v52
	s_cbranch_execnz .LBB2086_675
.LBB2086_624:                           ;   in Loop: Header=BB2086_614 Depth=2
	s_or_b32 exec_lo, exec_lo, s11
	s_delay_alu instid0(SALU_CYCLE_1)
	s_mov_b32 s11, exec_lo
	v_cmpx_gt_u32_e64 s8, v53
	s_cbranch_execz .LBB2086_676
.LBB2086_625:                           ;   in Loop: Header=BB2086_614 Depth=2
	global_load_u16 v13, v95, s[0:1] offset:3072
	s_or_b32 exec_lo, exec_lo, s11
	s_delay_alu instid0(SALU_CYCLE_1)
	s_mov_b32 s11, exec_lo
	v_cmpx_gt_u32_e64 s8, v54
	s_cbranch_execnz .LBB2086_677
.LBB2086_626:                           ;   in Loop: Header=BB2086_614 Depth=2
	s_or_b32 exec_lo, exec_lo, s11
	s_delay_alu instid0(SALU_CYCLE_1)
	s_mov_b32 s11, exec_lo
	v_cmpx_gt_u32_e64 s8, v55
	s_cbranch_execz .LBB2086_678
.LBB2086_627:                           ;   in Loop: Header=BB2086_614 Depth=2
	global_load_u16 v11, v96, s[0:1]
	s_or_b32 exec_lo, exec_lo, s11
	s_delay_alu instid0(SALU_CYCLE_1)
	s_mov_b32 s11, exec_lo
	v_cmpx_gt_u32_e64 s8, v56
	s_cbranch_execnz .LBB2086_679
.LBB2086_628:                           ;   in Loop: Header=BB2086_614 Depth=2
	s_or_b32 exec_lo, exec_lo, s11
	s_delay_alu instid0(SALU_CYCLE_1)
	s_mov_b32 s11, exec_lo
	v_cmpx_gt_u32_e64 s8, v57
	s_cbranch_execz .LBB2086_680
.LBB2086_629:                           ;   in Loop: Header=BB2086_614 Depth=2
	global_load_u16 v9, v98, s[0:1]
	s_or_b32 exec_lo, exec_lo, s11
	s_delay_alu instid0(SALU_CYCLE_1)
	s_mov_b32 s11, exec_lo
	v_cmpx_gt_u32_e64 s8, v58
	s_cbranch_execnz .LBB2086_681
.LBB2086_630:                           ;   in Loop: Header=BB2086_614 Depth=2
	s_or_b32 exec_lo, exec_lo, s11
	s_delay_alu instid0(SALU_CYCLE_1)
	s_mov_b32 s11, exec_lo
	v_cmpx_gt_u32_e64 s8, v59
	s_cbranch_execz .LBB2086_682
.LBB2086_631:                           ;   in Loop: Header=BB2086_614 Depth=2
	global_load_u16 v7, v100, s[0:1]
	s_or_b32 exec_lo, exec_lo, s11
	s_delay_alu instid0(SALU_CYCLE_1)
	s_mov_b32 s11, exec_lo
	v_cmpx_gt_u32_e64 s8, v60
	s_cbranch_execnz .LBB2086_683
.LBB2086_632:                           ;   in Loop: Header=BB2086_614 Depth=2
	s_or_b32 exec_lo, exec_lo, s11
	s_delay_alu instid0(SALU_CYCLE_1)
	s_mov_b32 s11, exec_lo
	v_cmpx_gt_u32_e64 s8, v61
	s_cbranch_execz .LBB2086_634
.LBB2086_633:                           ;   in Loop: Header=BB2086_614 Depth=2
	global_load_u16 v2, v102, s[0:1]
.LBB2086_634:                           ;   in Loop: Header=BB2086_614 Depth=2
	s_or_b32 exec_lo, exec_lo, s11
	s_delay_alu instid0(SALU_CYCLE_1)
	s_mov_b32 s12, exec_lo
                                        ; implicit-def: $sgpr11
                                        ; implicit-def: $vgpr4_vgpr5
	v_cmpx_gt_u32_e64 s8, v63
; %bb.635:                              ;   in Loop: Header=BB2086_614 Depth=2
	v_add_co_u32 v4, s0, s0, v103
	s_delay_alu instid0(VALU_DEP_1)
	v_add_co_ci_u32_e64 v5, null, s1, 0, s0
	s_sub_i32 s11, s53, s34
	s_or_b32 s10, s10, exec_lo
                                        ; implicit-def: $vgpr20
; %bb.636:                              ;   in Loop: Header=BB2086_614 Depth=2
	s_or_b32 exec_lo, exec_lo, s12
	s_waitcnt vmcnt(0)
	v_dual_mov_b32 v22, v19 :: v_dual_mov_b32 v23, v18
	v_dual_mov_b32 v24, v17 :: v_dual_mov_b32 v25, v16
	;; [unrolled: 1-line block ×8, first 2 shown]
	s_and_saveexec_b32 s0, s10
	s_cbranch_execz .LBB2086_638
.LBB2086_637:                           ;   in Loop: Header=BB2086_614 Depth=2
	global_load_u16 v20, v[4:5], off
	s_waitcnt vmcnt(1)
	v_dual_mov_b32 v21, s11 :: v_dual_mov_b32 v2, v36
	v_dual_mov_b32 v6, v35 :: v_dual_mov_b32 v7, v34
	;; [unrolled: 1-line block ×8, first 2 shown]
.LBB2086_638:                           ;   in Loop: Header=BB2086_614 Depth=2
	s_or_b32 exec_lo, exec_lo, s0
	s_delay_alu instid0(SALU_CYCLE_1)
	s_mov_b32 s0, exec_lo
	v_cmpx_lt_u32_e64 v1, v21
	s_cbranch_execz .LBB2086_654
; %bb.639:                              ;   in Loop: Header=BB2086_614 Depth=2
	v_cmp_lt_i16_e32 vcc_lo, -1, v19
	v_lshlrev_b32_e32 v5, 2, v48
	v_cndmask_b32_e64 v4, -1, 0xffff8000, vcc_lo
	s_delay_alu instid0(VALU_DEP_1) | instskip(NEXT) | instid1(VALU_DEP_1)
	v_xor_b32_e32 v4, v4, v19
	v_cmp_ne_u16_e32 vcc_lo, 0x7fff, v4
	v_cndmask_b32_e32 v4, 0xffff8000, v4, vcc_lo
	s_delay_alu instid0(VALU_DEP_1) | instskip(NEXT) | instid1(VALU_DEP_1)
	v_and_b32_e32 v4, 0xffff, v4
	v_lshrrev_b32_e32 v4, s49, v4
	s_delay_alu instid0(VALU_DEP_1) | instskip(NEXT) | instid1(VALU_DEP_1)
	v_and_b32_e32 v4, s55, v4
	v_lshl_or_b32 v4, v4, 4, v5
	ds_add_u32 v4, v94
	s_or_b32 exec_lo, exec_lo, s0
	s_delay_alu instid0(SALU_CYCLE_1)
	s_mov_b32 s0, exec_lo
	v_cmpx_lt_u32_e64 v45, v21
	s_cbranch_execnz .LBB2086_655
.LBB2086_640:                           ;   in Loop: Header=BB2086_614 Depth=2
	s_or_b32 exec_lo, exec_lo, s0
	s_delay_alu instid0(SALU_CYCLE_1)
	s_mov_b32 s0, exec_lo
	v_cmpx_lt_u32_e64 v46, v21
	s_cbranch_execz .LBB2086_656
.LBB2086_641:                           ;   in Loop: Header=BB2086_614 Depth=2
	v_cmp_lt_i16_e32 vcc_lo, -1, v17
	v_lshlrev_b32_e32 v5, 2, v48
	v_cndmask_b32_e64 v4, -1, 0xffff8000, vcc_lo
	s_delay_alu instid0(VALU_DEP_1) | instskip(NEXT) | instid1(VALU_DEP_1)
	v_xor_b32_e32 v4, v4, v17
	v_cmp_ne_u16_e32 vcc_lo, 0x7fff, v4
	v_cndmask_b32_e32 v4, 0xffff8000, v4, vcc_lo
	s_delay_alu instid0(VALU_DEP_1) | instskip(NEXT) | instid1(VALU_DEP_1)
	v_and_b32_e32 v4, 0xffff, v4
	v_lshrrev_b32_e32 v4, s49, v4
	s_delay_alu instid0(VALU_DEP_1) | instskip(NEXT) | instid1(VALU_DEP_1)
	v_and_b32_e32 v4, s55, v4
	v_lshl_or_b32 v4, v4, 4, v5
	ds_add_u32 v4, v94
	s_or_b32 exec_lo, exec_lo, s0
	s_delay_alu instid0(SALU_CYCLE_1)
	s_mov_b32 s0, exec_lo
	v_cmpx_lt_u32_e64 v47, v21
	s_cbranch_execnz .LBB2086_657
.LBB2086_642:                           ;   in Loop: Header=BB2086_614 Depth=2
	s_or_b32 exec_lo, exec_lo, s0
	s_delay_alu instid0(SALU_CYCLE_1)
	s_mov_b32 s0, exec_lo
	v_cmpx_lt_u32_e64 v51, v21
	s_cbranch_execz .LBB2086_658
.LBB2086_643:                           ;   in Loop: Header=BB2086_614 Depth=2
	v_cmp_lt_i16_e32 vcc_lo, -1, v15
	v_lshlrev_b32_e32 v5, 2, v48
	v_cndmask_b32_e64 v4, -1, 0xffff8000, vcc_lo
	s_delay_alu instid0(VALU_DEP_1) | instskip(NEXT) | instid1(VALU_DEP_1)
	v_xor_b32_e32 v4, v4, v15
	v_cmp_ne_u16_e32 vcc_lo, 0x7fff, v4
	v_cndmask_b32_e32 v4, 0xffff8000, v4, vcc_lo
	s_delay_alu instid0(VALU_DEP_1) | instskip(NEXT) | instid1(VALU_DEP_1)
	v_and_b32_e32 v4, 0xffff, v4
	v_lshrrev_b32_e32 v4, s49, v4
	s_delay_alu instid0(VALU_DEP_1) | instskip(NEXT) | instid1(VALU_DEP_1)
	v_and_b32_e32 v4, s55, v4
	v_lshl_or_b32 v4, v4, 4, v5
	ds_add_u32 v4, v94
	s_or_b32 exec_lo, exec_lo, s0
	s_delay_alu instid0(SALU_CYCLE_1)
	s_mov_b32 s0, exec_lo
	v_cmpx_lt_u32_e64 v52, v21
	s_cbranch_execnz .LBB2086_659
.LBB2086_644:                           ;   in Loop: Header=BB2086_614 Depth=2
	s_or_b32 exec_lo, exec_lo, s0
	s_delay_alu instid0(SALU_CYCLE_1)
	s_mov_b32 s0, exec_lo
	v_cmpx_lt_u32_e64 v53, v21
	s_cbranch_execz .LBB2086_660
.LBB2086_645:                           ;   in Loop: Header=BB2086_614 Depth=2
	v_cmp_lt_i16_e32 vcc_lo, -1, v13
	v_lshlrev_b32_e32 v5, 2, v48
	v_cndmask_b32_e64 v4, -1, 0xffff8000, vcc_lo
	s_delay_alu instid0(VALU_DEP_1) | instskip(NEXT) | instid1(VALU_DEP_1)
	v_xor_b32_e32 v4, v4, v13
	v_cmp_ne_u16_e32 vcc_lo, 0x7fff, v4
	v_cndmask_b32_e32 v4, 0xffff8000, v4, vcc_lo
	s_delay_alu instid0(VALU_DEP_1) | instskip(NEXT) | instid1(VALU_DEP_1)
	v_and_b32_e32 v4, 0xffff, v4
	v_lshrrev_b32_e32 v4, s49, v4
	s_delay_alu instid0(VALU_DEP_1) | instskip(NEXT) | instid1(VALU_DEP_1)
	v_and_b32_e32 v4, s55, v4
	v_lshl_or_b32 v4, v4, 4, v5
	ds_add_u32 v4, v94
	s_or_b32 exec_lo, exec_lo, s0
	s_delay_alu instid0(SALU_CYCLE_1)
	s_mov_b32 s0, exec_lo
	v_cmpx_lt_u32_e64 v54, v21
	s_cbranch_execnz .LBB2086_661
.LBB2086_646:                           ;   in Loop: Header=BB2086_614 Depth=2
	s_or_b32 exec_lo, exec_lo, s0
	s_delay_alu instid0(SALU_CYCLE_1)
	s_mov_b32 s0, exec_lo
	v_cmpx_lt_u32_e64 v55, v21
	s_cbranch_execz .LBB2086_662
.LBB2086_647:                           ;   in Loop: Header=BB2086_614 Depth=2
	v_cmp_lt_i16_e32 vcc_lo, -1, v11
	v_lshlrev_b32_e32 v5, 2, v48
	v_cndmask_b32_e64 v4, -1, 0xffff8000, vcc_lo
	s_delay_alu instid0(VALU_DEP_1) | instskip(NEXT) | instid1(VALU_DEP_1)
	v_xor_b32_e32 v4, v4, v11
	v_cmp_ne_u16_e32 vcc_lo, 0x7fff, v4
	v_cndmask_b32_e32 v4, 0xffff8000, v4, vcc_lo
	s_delay_alu instid0(VALU_DEP_1) | instskip(NEXT) | instid1(VALU_DEP_1)
	v_and_b32_e32 v4, 0xffff, v4
	v_lshrrev_b32_e32 v4, s49, v4
	s_delay_alu instid0(VALU_DEP_1) | instskip(NEXT) | instid1(VALU_DEP_1)
	v_and_b32_e32 v4, s55, v4
	v_lshl_or_b32 v4, v4, 4, v5
	ds_add_u32 v4, v94
	s_or_b32 exec_lo, exec_lo, s0
	s_delay_alu instid0(SALU_CYCLE_1)
	s_mov_b32 s0, exec_lo
	v_cmpx_lt_u32_e64 v56, v21
	s_cbranch_execnz .LBB2086_663
.LBB2086_648:                           ;   in Loop: Header=BB2086_614 Depth=2
	s_or_b32 exec_lo, exec_lo, s0
	s_delay_alu instid0(SALU_CYCLE_1)
	s_mov_b32 s0, exec_lo
	v_cmpx_lt_u32_e64 v57, v21
	s_cbranch_execz .LBB2086_664
.LBB2086_649:                           ;   in Loop: Header=BB2086_614 Depth=2
	v_cmp_lt_i16_e32 vcc_lo, -1, v9
	v_lshlrev_b32_e32 v5, 2, v48
	v_cndmask_b32_e64 v4, -1, 0xffff8000, vcc_lo
	s_delay_alu instid0(VALU_DEP_1) | instskip(NEXT) | instid1(VALU_DEP_1)
	v_xor_b32_e32 v4, v4, v9
	v_cmp_ne_u16_e32 vcc_lo, 0x7fff, v4
	v_cndmask_b32_e32 v4, 0xffff8000, v4, vcc_lo
	s_delay_alu instid0(VALU_DEP_1) | instskip(NEXT) | instid1(VALU_DEP_1)
	v_and_b32_e32 v4, 0xffff, v4
	v_lshrrev_b32_e32 v4, s49, v4
	s_delay_alu instid0(VALU_DEP_1) | instskip(NEXT) | instid1(VALU_DEP_1)
	v_and_b32_e32 v4, s55, v4
	v_lshl_or_b32 v4, v4, 4, v5
	ds_add_u32 v4, v94
	s_or_b32 exec_lo, exec_lo, s0
	s_delay_alu instid0(SALU_CYCLE_1)
	s_mov_b32 s0, exec_lo
	v_cmpx_lt_u32_e64 v58, v21
	s_cbranch_execnz .LBB2086_665
.LBB2086_650:                           ;   in Loop: Header=BB2086_614 Depth=2
	s_or_b32 exec_lo, exec_lo, s0
	s_delay_alu instid0(SALU_CYCLE_1)
	s_mov_b32 s0, exec_lo
	v_cmpx_lt_u32_e64 v59, v21
	s_cbranch_execz .LBB2086_666
.LBB2086_651:                           ;   in Loop: Header=BB2086_614 Depth=2
	v_cmp_lt_i16_e32 vcc_lo, -1, v7
	v_lshlrev_b32_e32 v5, 2, v48
	v_cndmask_b32_e64 v4, -1, 0xffff8000, vcc_lo
	s_delay_alu instid0(VALU_DEP_1) | instskip(NEXT) | instid1(VALU_DEP_1)
	v_xor_b32_e32 v4, v4, v7
	v_cmp_ne_u16_e32 vcc_lo, 0x7fff, v4
	v_cndmask_b32_e32 v4, 0xffff8000, v4, vcc_lo
	s_delay_alu instid0(VALU_DEP_1) | instskip(NEXT) | instid1(VALU_DEP_1)
	v_and_b32_e32 v4, 0xffff, v4
	v_lshrrev_b32_e32 v4, s49, v4
	s_delay_alu instid0(VALU_DEP_1) | instskip(NEXT) | instid1(VALU_DEP_1)
	v_and_b32_e32 v4, s55, v4
	v_lshl_or_b32 v4, v4, 4, v5
	ds_add_u32 v4, v94
	s_or_b32 exec_lo, exec_lo, s0
	s_delay_alu instid0(SALU_CYCLE_1)
	s_mov_b32 s0, exec_lo
	v_cmpx_lt_u32_e64 v60, v21
	s_cbranch_execnz .LBB2086_667
.LBB2086_652:                           ;   in Loop: Header=BB2086_614 Depth=2
	s_or_b32 exec_lo, exec_lo, s0
	s_delay_alu instid0(SALU_CYCLE_1)
	s_mov_b32 s0, exec_lo
	v_cmpx_lt_u32_e64 v61, v21
	s_cbranch_execz .LBB2086_668
.LBB2086_653:                           ;   in Loop: Header=BB2086_614 Depth=2
	v_cmp_lt_i16_e32 vcc_lo, -1, v2
	v_lshlrev_b32_e32 v5, 2, v48
	v_cndmask_b32_e64 v4, -1, 0xffff8000, vcc_lo
	s_delay_alu instid0(VALU_DEP_1) | instskip(NEXT) | instid1(VALU_DEP_1)
	v_xor_b32_e32 v4, v4, v2
	v_cmp_ne_u16_e32 vcc_lo, 0x7fff, v4
	v_cndmask_b32_e32 v4, 0xffff8000, v4, vcc_lo
	s_delay_alu instid0(VALU_DEP_1) | instskip(NEXT) | instid1(VALU_DEP_1)
	v_and_b32_e32 v4, 0xffff, v4
	v_lshrrev_b32_e32 v4, s49, v4
	s_delay_alu instid0(VALU_DEP_1) | instskip(NEXT) | instid1(VALU_DEP_1)
	v_and_b32_e32 v4, s55, v4
	v_lshl_or_b32 v4, v4, 4, v5
	ds_add_u32 v4, v94
	s_or_b32 exec_lo, exec_lo, s0
	s_delay_alu instid0(SALU_CYCLE_1)
	s_mov_b32 s0, exec_lo
	v_cmpx_lt_u32_e64 v63, v21
	s_cbranch_execz .LBB2086_613
	s_branch .LBB2086_669
.LBB2086_654:                           ;   in Loop: Header=BB2086_614 Depth=2
	s_or_b32 exec_lo, exec_lo, s0
	s_delay_alu instid0(SALU_CYCLE_1)
	s_mov_b32 s0, exec_lo
	v_cmpx_lt_u32_e64 v45, v21
	s_cbranch_execz .LBB2086_640
.LBB2086_655:                           ;   in Loop: Header=BB2086_614 Depth=2
	v_cmp_lt_i16_e32 vcc_lo, -1, v18
	v_lshlrev_b32_e32 v5, 2, v48
	v_cndmask_b32_e64 v4, -1, 0xffff8000, vcc_lo
	s_delay_alu instid0(VALU_DEP_1) | instskip(NEXT) | instid1(VALU_DEP_1)
	v_xor_b32_e32 v4, v4, v18
	v_cmp_ne_u16_e32 vcc_lo, 0x7fff, v4
	v_cndmask_b32_e32 v4, 0xffff8000, v4, vcc_lo
	s_delay_alu instid0(VALU_DEP_1) | instskip(NEXT) | instid1(VALU_DEP_1)
	v_and_b32_e32 v4, 0xffff, v4
	v_lshrrev_b32_e32 v4, s49, v4
	s_delay_alu instid0(VALU_DEP_1) | instskip(NEXT) | instid1(VALU_DEP_1)
	v_and_b32_e32 v4, s55, v4
	v_lshl_or_b32 v4, v4, 4, v5
	ds_add_u32 v4, v94
	s_or_b32 exec_lo, exec_lo, s0
	s_delay_alu instid0(SALU_CYCLE_1)
	s_mov_b32 s0, exec_lo
	v_cmpx_lt_u32_e64 v46, v21
	s_cbranch_execnz .LBB2086_641
.LBB2086_656:                           ;   in Loop: Header=BB2086_614 Depth=2
	s_or_b32 exec_lo, exec_lo, s0
	s_delay_alu instid0(SALU_CYCLE_1)
	s_mov_b32 s0, exec_lo
	v_cmpx_lt_u32_e64 v47, v21
	s_cbranch_execz .LBB2086_642
.LBB2086_657:                           ;   in Loop: Header=BB2086_614 Depth=2
	v_cmp_lt_i16_e32 vcc_lo, -1, v16
	v_lshlrev_b32_e32 v5, 2, v48
	v_cndmask_b32_e64 v4, -1, 0xffff8000, vcc_lo
	s_delay_alu instid0(VALU_DEP_1) | instskip(NEXT) | instid1(VALU_DEP_1)
	v_xor_b32_e32 v4, v4, v16
	v_cmp_ne_u16_e32 vcc_lo, 0x7fff, v4
	v_cndmask_b32_e32 v4, 0xffff8000, v4, vcc_lo
	s_delay_alu instid0(VALU_DEP_1) | instskip(NEXT) | instid1(VALU_DEP_1)
	v_and_b32_e32 v4, 0xffff, v4
	v_lshrrev_b32_e32 v4, s49, v4
	s_delay_alu instid0(VALU_DEP_1) | instskip(NEXT) | instid1(VALU_DEP_1)
	v_and_b32_e32 v4, s55, v4
	v_lshl_or_b32 v4, v4, 4, v5
	ds_add_u32 v4, v94
	s_or_b32 exec_lo, exec_lo, s0
	s_delay_alu instid0(SALU_CYCLE_1)
	s_mov_b32 s0, exec_lo
	v_cmpx_lt_u32_e64 v51, v21
	s_cbranch_execnz .LBB2086_643
.LBB2086_658:                           ;   in Loop: Header=BB2086_614 Depth=2
	s_or_b32 exec_lo, exec_lo, s0
	s_delay_alu instid0(SALU_CYCLE_1)
	s_mov_b32 s0, exec_lo
	v_cmpx_lt_u32_e64 v52, v21
	s_cbranch_execz .LBB2086_644
.LBB2086_659:                           ;   in Loop: Header=BB2086_614 Depth=2
	v_cmp_lt_i16_e32 vcc_lo, -1, v14
	v_lshlrev_b32_e32 v5, 2, v48
	v_cndmask_b32_e64 v4, -1, 0xffff8000, vcc_lo
	s_delay_alu instid0(VALU_DEP_1) | instskip(NEXT) | instid1(VALU_DEP_1)
	v_xor_b32_e32 v4, v4, v14
	v_cmp_ne_u16_e32 vcc_lo, 0x7fff, v4
	v_cndmask_b32_e32 v4, 0xffff8000, v4, vcc_lo
	s_delay_alu instid0(VALU_DEP_1) | instskip(NEXT) | instid1(VALU_DEP_1)
	v_and_b32_e32 v4, 0xffff, v4
	v_lshrrev_b32_e32 v4, s49, v4
	s_delay_alu instid0(VALU_DEP_1) | instskip(NEXT) | instid1(VALU_DEP_1)
	v_and_b32_e32 v4, s55, v4
	v_lshl_or_b32 v4, v4, 4, v5
	ds_add_u32 v4, v94
	s_or_b32 exec_lo, exec_lo, s0
	s_delay_alu instid0(SALU_CYCLE_1)
	s_mov_b32 s0, exec_lo
	v_cmpx_lt_u32_e64 v53, v21
	s_cbranch_execnz .LBB2086_645
.LBB2086_660:                           ;   in Loop: Header=BB2086_614 Depth=2
	s_or_b32 exec_lo, exec_lo, s0
	s_delay_alu instid0(SALU_CYCLE_1)
	s_mov_b32 s0, exec_lo
	v_cmpx_lt_u32_e64 v54, v21
	s_cbranch_execz .LBB2086_646
.LBB2086_661:                           ;   in Loop: Header=BB2086_614 Depth=2
	v_cmp_lt_i16_e32 vcc_lo, -1, v12
	v_lshlrev_b32_e32 v5, 2, v48
	v_cndmask_b32_e64 v4, -1, 0xffff8000, vcc_lo
	s_delay_alu instid0(VALU_DEP_1) | instskip(NEXT) | instid1(VALU_DEP_1)
	v_xor_b32_e32 v4, v4, v12
	v_cmp_ne_u16_e32 vcc_lo, 0x7fff, v4
	v_cndmask_b32_e32 v4, 0xffff8000, v4, vcc_lo
	s_delay_alu instid0(VALU_DEP_1) | instskip(NEXT) | instid1(VALU_DEP_1)
	v_and_b32_e32 v4, 0xffff, v4
	v_lshrrev_b32_e32 v4, s49, v4
	s_delay_alu instid0(VALU_DEP_1) | instskip(NEXT) | instid1(VALU_DEP_1)
	v_and_b32_e32 v4, s55, v4
	v_lshl_or_b32 v4, v4, 4, v5
	ds_add_u32 v4, v94
	s_or_b32 exec_lo, exec_lo, s0
	s_delay_alu instid0(SALU_CYCLE_1)
	s_mov_b32 s0, exec_lo
	v_cmpx_lt_u32_e64 v55, v21
	s_cbranch_execnz .LBB2086_647
.LBB2086_662:                           ;   in Loop: Header=BB2086_614 Depth=2
	s_or_b32 exec_lo, exec_lo, s0
	s_delay_alu instid0(SALU_CYCLE_1)
	s_mov_b32 s0, exec_lo
	v_cmpx_lt_u32_e64 v56, v21
	s_cbranch_execz .LBB2086_648
.LBB2086_663:                           ;   in Loop: Header=BB2086_614 Depth=2
	v_cmp_lt_i16_e32 vcc_lo, -1, v10
	v_lshlrev_b32_e32 v5, 2, v48
	v_cndmask_b32_e64 v4, -1, 0xffff8000, vcc_lo
	s_delay_alu instid0(VALU_DEP_1) | instskip(NEXT) | instid1(VALU_DEP_1)
	v_xor_b32_e32 v4, v4, v10
	v_cmp_ne_u16_e32 vcc_lo, 0x7fff, v4
	v_cndmask_b32_e32 v4, 0xffff8000, v4, vcc_lo
	s_delay_alu instid0(VALU_DEP_1) | instskip(NEXT) | instid1(VALU_DEP_1)
	v_and_b32_e32 v4, 0xffff, v4
	v_lshrrev_b32_e32 v4, s49, v4
	s_delay_alu instid0(VALU_DEP_1) | instskip(NEXT) | instid1(VALU_DEP_1)
	v_and_b32_e32 v4, s55, v4
	v_lshl_or_b32 v4, v4, 4, v5
	ds_add_u32 v4, v94
	s_or_b32 exec_lo, exec_lo, s0
	s_delay_alu instid0(SALU_CYCLE_1)
	s_mov_b32 s0, exec_lo
	v_cmpx_lt_u32_e64 v57, v21
	s_cbranch_execnz .LBB2086_649
.LBB2086_664:                           ;   in Loop: Header=BB2086_614 Depth=2
	s_or_b32 exec_lo, exec_lo, s0
	s_delay_alu instid0(SALU_CYCLE_1)
	s_mov_b32 s0, exec_lo
	v_cmpx_lt_u32_e64 v58, v21
	s_cbranch_execz .LBB2086_650
.LBB2086_665:                           ;   in Loop: Header=BB2086_614 Depth=2
	v_cmp_lt_i16_e32 vcc_lo, -1, v8
	v_lshlrev_b32_e32 v5, 2, v48
	v_cndmask_b32_e64 v4, -1, 0xffff8000, vcc_lo
	s_delay_alu instid0(VALU_DEP_1) | instskip(NEXT) | instid1(VALU_DEP_1)
	v_xor_b32_e32 v4, v4, v8
	v_cmp_ne_u16_e32 vcc_lo, 0x7fff, v4
	v_cndmask_b32_e32 v4, 0xffff8000, v4, vcc_lo
	s_delay_alu instid0(VALU_DEP_1) | instskip(NEXT) | instid1(VALU_DEP_1)
	v_and_b32_e32 v4, 0xffff, v4
	v_lshrrev_b32_e32 v4, s49, v4
	s_delay_alu instid0(VALU_DEP_1) | instskip(NEXT) | instid1(VALU_DEP_1)
	v_and_b32_e32 v4, s55, v4
	v_lshl_or_b32 v4, v4, 4, v5
	ds_add_u32 v4, v94
	s_or_b32 exec_lo, exec_lo, s0
	s_delay_alu instid0(SALU_CYCLE_1)
	s_mov_b32 s0, exec_lo
	v_cmpx_lt_u32_e64 v59, v21
	s_cbranch_execnz .LBB2086_651
.LBB2086_666:                           ;   in Loop: Header=BB2086_614 Depth=2
	s_or_b32 exec_lo, exec_lo, s0
	s_delay_alu instid0(SALU_CYCLE_1)
	s_mov_b32 s0, exec_lo
	v_cmpx_lt_u32_e64 v60, v21
	s_cbranch_execz .LBB2086_652
.LBB2086_667:                           ;   in Loop: Header=BB2086_614 Depth=2
	v_cmp_lt_i16_e32 vcc_lo, -1, v6
	v_lshlrev_b32_e32 v5, 2, v48
	v_cndmask_b32_e64 v4, -1, 0xffff8000, vcc_lo
	s_delay_alu instid0(VALU_DEP_1) | instskip(NEXT) | instid1(VALU_DEP_1)
	v_xor_b32_e32 v4, v4, v6
	v_cmp_ne_u16_e32 vcc_lo, 0x7fff, v4
	v_cndmask_b32_e32 v4, 0xffff8000, v4, vcc_lo
	s_delay_alu instid0(VALU_DEP_1) | instskip(NEXT) | instid1(VALU_DEP_1)
	v_and_b32_e32 v4, 0xffff, v4
	v_lshrrev_b32_e32 v4, s49, v4
	s_delay_alu instid0(VALU_DEP_1) | instskip(NEXT) | instid1(VALU_DEP_1)
	v_and_b32_e32 v4, s55, v4
	v_lshl_or_b32 v4, v4, 4, v5
	ds_add_u32 v4, v94
	s_or_b32 exec_lo, exec_lo, s0
	s_delay_alu instid0(SALU_CYCLE_1)
	s_mov_b32 s0, exec_lo
	v_cmpx_lt_u32_e64 v61, v21
	s_cbranch_execnz .LBB2086_653
.LBB2086_668:                           ;   in Loop: Header=BB2086_614 Depth=2
	s_or_b32 exec_lo, exec_lo, s0
	s_delay_alu instid0(SALU_CYCLE_1)
	s_mov_b32 s0, exec_lo
	v_cmpx_lt_u32_e64 v63, v21
	s_cbranch_execz .LBB2086_613
.LBB2086_669:                           ;   in Loop: Header=BB2086_614 Depth=2
	s_waitcnt vmcnt(0)
	v_cmp_lt_i16_e32 vcc_lo, -1, v20
	v_lshlrev_b32_e32 v5, 2, v48
	v_cndmask_b32_e64 v4, -1, 0xffff8000, vcc_lo
	s_delay_alu instid0(VALU_DEP_1) | instskip(NEXT) | instid1(VALU_DEP_1)
	v_xor_b32_e32 v4, v4, v20
	v_cmp_ne_u16_e32 vcc_lo, 0x7fff, v4
	v_cndmask_b32_e32 v4, 0xffff8000, v4, vcc_lo
	s_delay_alu instid0(VALU_DEP_1) | instskip(NEXT) | instid1(VALU_DEP_1)
	v_and_b32_e32 v4, 0xffff, v4
	v_lshrrev_b32_e32 v4, s49, v4
	s_delay_alu instid0(VALU_DEP_1) | instskip(NEXT) | instid1(VALU_DEP_1)
	v_and_b32_e32 v4, s55, v4
	v_lshl_or_b32 v4, v4, 4, v5
	ds_add_u32 v4, v94
	s_branch .LBB2086_613
.LBB2086_670:                           ;   in Loop: Header=BB2086_614 Depth=2
	s_or_b32 exec_lo, exec_lo, s11
	s_delay_alu instid0(SALU_CYCLE_1)
	s_mov_b32 s11, exec_lo
	v_cmpx_gt_u32_e64 s8, v45
	s_cbranch_execz .LBB2086_620
.LBB2086_671:                           ;   in Loop: Header=BB2086_614 Depth=2
	global_load_u16 v18, v95, s[0:1] offset:512
	s_or_b32 exec_lo, exec_lo, s11
	s_delay_alu instid0(SALU_CYCLE_1)
	s_mov_b32 s11, exec_lo
	v_cmpx_gt_u32_e64 s8, v46
	s_cbranch_execnz .LBB2086_621
.LBB2086_672:                           ;   in Loop: Header=BB2086_614 Depth=2
	s_or_b32 exec_lo, exec_lo, s11
	s_delay_alu instid0(SALU_CYCLE_1)
	s_mov_b32 s11, exec_lo
	v_cmpx_gt_u32_e64 s8, v47
	s_cbranch_execz .LBB2086_622
.LBB2086_673:                           ;   in Loop: Header=BB2086_614 Depth=2
	global_load_u16 v16, v95, s[0:1] offset:1536
	s_or_b32 exec_lo, exec_lo, s11
	s_delay_alu instid0(SALU_CYCLE_1)
	s_mov_b32 s11, exec_lo
	v_cmpx_gt_u32_e64 s8, v51
	s_cbranch_execnz .LBB2086_623
.LBB2086_674:                           ;   in Loop: Header=BB2086_614 Depth=2
	s_or_b32 exec_lo, exec_lo, s11
	s_delay_alu instid0(SALU_CYCLE_1)
	s_mov_b32 s11, exec_lo
	v_cmpx_gt_u32_e64 s8, v52
	s_cbranch_execz .LBB2086_624
.LBB2086_675:                           ;   in Loop: Header=BB2086_614 Depth=2
	global_load_u16 v14, v95, s[0:1] offset:2560
	s_or_b32 exec_lo, exec_lo, s11
	s_delay_alu instid0(SALU_CYCLE_1)
	s_mov_b32 s11, exec_lo
	v_cmpx_gt_u32_e64 s8, v53
	s_cbranch_execnz .LBB2086_625
.LBB2086_676:                           ;   in Loop: Header=BB2086_614 Depth=2
	s_or_b32 exec_lo, exec_lo, s11
	s_delay_alu instid0(SALU_CYCLE_1)
	s_mov_b32 s11, exec_lo
	v_cmpx_gt_u32_e64 s8, v54
	s_cbranch_execz .LBB2086_626
.LBB2086_677:                           ;   in Loop: Header=BB2086_614 Depth=2
	global_load_u16 v12, v95, s[0:1] offset:3584
	s_or_b32 exec_lo, exec_lo, s11
	s_delay_alu instid0(SALU_CYCLE_1)
	s_mov_b32 s11, exec_lo
	v_cmpx_gt_u32_e64 s8, v55
	s_cbranch_execnz .LBB2086_627
.LBB2086_678:                           ;   in Loop: Header=BB2086_614 Depth=2
	s_or_b32 exec_lo, exec_lo, s11
	s_delay_alu instid0(SALU_CYCLE_1)
	s_mov_b32 s11, exec_lo
	v_cmpx_gt_u32_e64 s8, v56
	s_cbranch_execz .LBB2086_628
.LBB2086_679:                           ;   in Loop: Header=BB2086_614 Depth=2
	global_load_u16 v10, v97, s[0:1]
	s_or_b32 exec_lo, exec_lo, s11
	s_delay_alu instid0(SALU_CYCLE_1)
	s_mov_b32 s11, exec_lo
	v_cmpx_gt_u32_e64 s8, v57
	s_cbranch_execnz .LBB2086_629
.LBB2086_680:                           ;   in Loop: Header=BB2086_614 Depth=2
	s_or_b32 exec_lo, exec_lo, s11
	s_delay_alu instid0(SALU_CYCLE_1)
	s_mov_b32 s11, exec_lo
	v_cmpx_gt_u32_e64 s8, v58
	s_cbranch_execz .LBB2086_630
.LBB2086_681:                           ;   in Loop: Header=BB2086_614 Depth=2
	global_load_u16 v8, v99, s[0:1]
	s_or_b32 exec_lo, exec_lo, s11
	s_delay_alu instid0(SALU_CYCLE_1)
	s_mov_b32 s11, exec_lo
	v_cmpx_gt_u32_e64 s8, v59
	s_cbranch_execnz .LBB2086_631
.LBB2086_682:                           ;   in Loop: Header=BB2086_614 Depth=2
	s_or_b32 exec_lo, exec_lo, s11
	s_delay_alu instid0(SALU_CYCLE_1)
	s_mov_b32 s11, exec_lo
	v_cmpx_gt_u32_e64 s8, v60
	s_cbranch_execz .LBB2086_632
.LBB2086_683:                           ;   in Loop: Header=BB2086_614 Depth=2
	global_load_u16 v6, v101, s[0:1]
	s_or_b32 exec_lo, exec_lo, s11
	s_delay_alu instid0(SALU_CYCLE_1)
	s_mov_b32 s11, exec_lo
	v_cmpx_gt_u32_e64 s8, v61
	s_cbranch_execz .LBB2086_634
	s_branch .LBB2086_633
.LBB2086_684:                           ;   in Loop: Header=BB2086_20 Depth=1
	v_mov_b32_e32 v2, 0
	s_waitcnt vmcnt(0) lgkmcnt(0)
	s_barrier
	buffer_gl0_inv
	s_and_saveexec_b32 s0, s2
	s_cbranch_execz .LBB2086_686
; %bb.685:                              ;   in Loop: Header=BB2086_20 Depth=1
	ds_load_2addr_b64 v[4:7], v64 offset1:1
	s_waitcnt lgkmcnt(0)
	v_add_nc_u32_e32 v2, v5, v4
	s_delay_alu instid0(VALU_DEP_1)
	v_add3_u32 v2, v2, v6, v7
.LBB2086_686:                           ;   in Loop: Header=BB2086_20 Depth=1
	s_or_b32 exec_lo, exec_lo, s0
	v_and_b32_e32 v4, 15, v104
	s_delay_alu instid0(VALU_DEP_2) | instskip(SKIP_1) | instid1(VALU_DEP_3)
	v_mov_b32_dpp v5, v2 row_shr:1 row_mask:0xf bank_mask:0xf
	v_and_b32_e32 v6, 16, v104
	v_cmp_eq_u32_e64 s0, 0, v4
	v_cmp_lt_u32_e64 s1, 1, v4
	v_cmp_lt_u32_e64 s8, 3, v4
	;; [unrolled: 1-line block ×3, first 2 shown]
	v_cmp_eq_u32_e64 s10, 0, v6
	v_cndmask_b32_e64 v5, v5, 0, s0
	s_delay_alu instid0(VALU_DEP_1) | instskip(NEXT) | instid1(VALU_DEP_1)
	v_add_nc_u32_e32 v2, v5, v2
	v_mov_b32_dpp v5, v2 row_shr:2 row_mask:0xf bank_mask:0xf
	s_delay_alu instid0(VALU_DEP_1) | instskip(NEXT) | instid1(VALU_DEP_1)
	v_cndmask_b32_e64 v5, 0, v5, s1
	v_add_nc_u32_e32 v2, v2, v5
	s_delay_alu instid0(VALU_DEP_1) | instskip(NEXT) | instid1(VALU_DEP_1)
	v_mov_b32_dpp v5, v2 row_shr:4 row_mask:0xf bank_mask:0xf
	v_cndmask_b32_e64 v5, 0, v5, s8
	s_delay_alu instid0(VALU_DEP_1) | instskip(NEXT) | instid1(VALU_DEP_1)
	v_add_nc_u32_e32 v2, v2, v5
	v_mov_b32_dpp v5, v2 row_shr:8 row_mask:0xf bank_mask:0xf
	s_delay_alu instid0(VALU_DEP_1) | instskip(SKIP_1) | instid1(VALU_DEP_2)
	v_cndmask_b32_e64 v4, 0, v5, s9
	v_bfe_i32 v5, v104, 4, 1
	v_add_nc_u32_e32 v2, v2, v4
	ds_swizzle_b32 v4, v2 offset:swizzle(BROADCAST,32,15)
	s_waitcnt lgkmcnt(0)
	v_and_b32_e32 v4, v5, v4
	s_delay_alu instid0(VALU_DEP_1)
	v_add_nc_u32_e32 v4, v2, v4
	s_and_saveexec_b32 s11, s3
	s_cbranch_execz .LBB2086_688
; %bb.687:                              ;   in Loop: Header=BB2086_20 Depth=1
	ds_store_b32 v65, v4
.LBB2086_688:                           ;   in Loop: Header=BB2086_20 Depth=1
	s_or_b32 exec_lo, exec_lo, s11
	v_and_b32_e32 v2, 7, v104
	s_waitcnt lgkmcnt(0)
	s_barrier
	buffer_gl0_inv
	s_and_saveexec_b32 s11, s4
	s_cbranch_execz .LBB2086_690
; %bb.689:                              ;   in Loop: Header=BB2086_20 Depth=1
	ds_load_b32 v5, v66
	v_cmp_ne_u32_e32 vcc_lo, 0, v2
	s_waitcnt lgkmcnt(0)
	v_mov_b32_dpp v6, v5 row_shr:1 row_mask:0xf bank_mask:0xf
	s_delay_alu instid0(VALU_DEP_1) | instskip(SKIP_1) | instid1(VALU_DEP_2)
	v_cndmask_b32_e32 v6, 0, v6, vcc_lo
	v_cmp_lt_u32_e32 vcc_lo, 1, v2
	v_add_nc_u32_e32 v5, v6, v5
	s_delay_alu instid0(VALU_DEP_1) | instskip(NEXT) | instid1(VALU_DEP_1)
	v_mov_b32_dpp v6, v5 row_shr:2 row_mask:0xf bank_mask:0xf
	v_cndmask_b32_e32 v6, 0, v6, vcc_lo
	v_cmp_lt_u32_e32 vcc_lo, 3, v2
	s_delay_alu instid0(VALU_DEP_2) | instskip(NEXT) | instid1(VALU_DEP_1)
	v_add_nc_u32_e32 v5, v5, v6
	v_mov_b32_dpp v6, v5 row_shr:4 row_mask:0xf bank_mask:0xf
	s_delay_alu instid0(VALU_DEP_1) | instskip(NEXT) | instid1(VALU_DEP_1)
	v_cndmask_b32_e32 v6, 0, v6, vcc_lo
	v_add_nc_u32_e32 v5, v5, v6
	ds_store_b32 v66, v5
.LBB2086_690:                           ;   in Loop: Header=BB2086_20 Depth=1
	s_or_b32 exec_lo, exec_lo, s11
	v_mov_b32_e32 v5, 0
	s_waitcnt lgkmcnt(0)
	s_barrier
	buffer_gl0_inv
	s_and_saveexec_b32 s11, s5
	s_cbranch_execz .LBB2086_692
; %bb.691:                              ;   in Loop: Header=BB2086_20 Depth=1
	ds_load_b32 v5, v67
.LBB2086_692:                           ;   in Loop: Header=BB2086_20 Depth=1
	s_or_b32 exec_lo, exec_lo, s11
	v_add_nc_u32_e32 v6, -1, v104
	s_waitcnt lgkmcnt(0)
	v_add_nc_u32_e32 v4, v5, v4
	v_cmp_eq_u32_e64 s11, 0, v104
	s_barrier
	v_cmp_gt_i32_e32 vcc_lo, 0, v6
	buffer_gl0_inv
	v_cndmask_b32_e32 v6, v6, v104, vcc_lo
	s_delay_alu instid0(VALU_DEP_1)
	v_lshlrev_b32_e32 v105, 2, v6
	ds_bpermute_b32 v4, v105, v4
	s_and_saveexec_b32 s12, s2
	s_cbranch_execz .LBB2086_694
; %bb.693:                              ;   in Loop: Header=BB2086_20 Depth=1
	s_waitcnt lgkmcnt(0)
	v_cndmask_b32_e64 v4, v4, v5, s11
	s_delay_alu instid0(VALU_DEP_1)
	v_add_nc_u32_e32 v4, s52, v4
	ds_store_b32 v44, v4
.LBB2086_694:                           ;   in Loop: Header=BB2086_20 Depth=1
	s_or_b32 exec_lo, exec_lo, s12
	s_load_b64 s[12:13], s[42:43], 0x0
	v_lshlrev_b32_e32 v5, 3, v104
	v_or_b32_e32 v106, v104, v68
	s_mov_b32 s56, s54
	s_mov_b32 s34, s52
                                        ; implicit-def: $vgpr8_vgpr9
                                        ; implicit-def: $vgpr10_vgpr11
                                        ; implicit-def: $vgpr12_vgpr13
                                        ; implicit-def: $vgpr14_vgpr15
                                        ; implicit-def: $vgpr16_vgpr17
                                        ; implicit-def: $vgpr18_vgpr19
                                        ; implicit-def: $vgpr20_vgpr21
                                        ; implicit-def: $vgpr22_vgpr23
                                        ; implicit-def: $vgpr24_vgpr25
                                        ; implicit-def: $vgpr26_vgpr27
                                        ; implicit-def: $vgpr28_vgpr29
                                        ; implicit-def: $vgpr30_vgpr31
                                        ; implicit-def: $vgpr32_vgpr33
                                        ; implicit-def: $vgpr34_vgpr35
                                        ; implicit-def: $vgpr129
                                        ; implicit-def: $vgpr130
                                        ; implicit-def: $vgpr131
                                        ; implicit-def: $vgpr132
                                        ; implicit-def: $vgpr133
                                        ; implicit-def: $vgpr134
                                        ; implicit-def: $vgpr135
                                        ; implicit-def: $vgpr136
                                        ; implicit-def: $vgpr137
                                        ; implicit-def: $vgpr138
                                        ; implicit-def: $vgpr139
                                        ; implicit-def: $vgpr140
                                        ; implicit-def: $vgpr141
                                        ; implicit-def: $vgpr142
                                        ; implicit-def: $vgpr143
                                        ; implicit-def: $vgpr144
	s_delay_alu instid0(VALU_DEP_2)
	v_add_co_u32 v107, vcc_lo, v90, v5
	v_add_co_ci_u32_e32 v108, vcc_lo, 0, v91, vcc_lo
	v_or_b32_e32 v109, 32, v106
	v_or_b32_e32 v110, 64, v106
	;; [unrolled: 1-line block ×10, first 2 shown]
	s_waitcnt lgkmcnt(0)
	s_cmp_lt_u32 s15, s13
	v_or_b32_e32 v119, 0x160, v106
	s_cselect_b32 s13, 14, 20
	v_or_b32_e32 v120, 0x180, v106
	s_add_u32 s16, s42, s13
	s_addc_u32 s17, s43, 0
	s_cmp_lt_u32 s14, s12
	global_load_u16 v4, v3, s[16:17]
	s_cselect_b32 s12, 12, 18
	v_or_b32_e32 v121, 0x1a0, v106
	s_add_u32 s12, s42, s12
	s_addc_u32 s13, s43, 0
	v_or_b32_e32 v122, 0x1c0, v106
	global_load_u16 v6, v3, s[12:13]
	v_cmp_eq_u32_e64 s12, 0, v2
	v_cmp_lt_u32_e64 s13, 1, v2
	v_cmp_lt_u32_e64 s16, 3, v2
	v_lshlrev_b32_e32 v2, 1, v104
	v_or_b32_e32 v123, 0x1e0, v106
	s_delay_alu instid0(VALU_DEP_2) | instskip(SKIP_1) | instid1(VALU_DEP_2)
	v_add_co_u32 v124, vcc_lo, v92, v2
	v_add_co_ci_u32_e32 v125, vcc_lo, 0, v93, vcc_lo
	v_add_co_u32 v127, vcc_lo, 0x3c0, v124
	s_delay_alu instid0(VALU_DEP_2) | instskip(SKIP_3) | instid1(VALU_DEP_1)
	v_add_co_ci_u32_e32 v128, vcc_lo, 0, v125, vcc_lo
	s_waitcnt vmcnt(1)
	v_mad_u32_u24 v7, v70, v4, v0
	s_waitcnt vmcnt(0)
	v_mad_u64_u32 v[4:5], null, v7, v6, v[1:2]
                                        ; implicit-def: $vgpr6_vgpr7
	s_delay_alu instid0(VALU_DEP_1)
	v_lshrrev_b32_e32 v126, 5, v4
                                        ; implicit-def: $vgpr4_vgpr5
	s_branch .LBB2086_696
.LBB2086_695:                           ;   in Loop: Header=BB2086_696 Depth=2
	s_or_b32 exec_lo, exec_lo, s17
	s_addk_i32 s56, 0xf000
	s_cmp_lt_u32 s57, s53
	s_mov_b32 s34, s57
	s_cbranch_scc0 .LBB2086_904
.LBB2086_696:                           ;   Parent Loop BB2086_20 Depth=1
                                        ; =>  This Inner Loop Header: Depth=2
	s_add_i32 s57, s34, 0x1000
	s_delay_alu instid0(SALU_CYCLE_1)
	s_cmp_gt_u32 s57, s53
	s_cbranch_scc1 .LBB2086_699
; %bb.697:                              ;   in Loop: Header=BB2086_696 Depth=2
	s_mov_b32 s19, 0
	s_mov_b32 s18, s34
	s_movk_i32 s17, 0x1000
	s_lshl_b64 s[20:21], s[18:19], 1
	s_delay_alu instid0(SALU_CYCLE_1)
	v_add_co_u32 v36, vcc_lo, v124, s20
	v_add_co_ci_u32_e32 v37, vcc_lo, s21, v125, vcc_lo
	s_mov_b32 s20, -1
	s_clause 0xe
	global_load_u16 v2, v[36:37], off
	global_load_u16 v146, v[36:37], off offset:64
	global_load_u16 v149, v[36:37], off offset:128
	global_load_u16 v153, v[36:37], off offset:192
	global_load_u16 v157, v[36:37], off offset:256
	global_load_u16 v161, v[36:37], off offset:320
	global_load_u16 v165, v[36:37], off offset:384
	global_load_u16 v170, v[36:37], off offset:448
	global_load_u16 v169, v[36:37], off offset:512
	global_load_u16 v43, v[36:37], off offset:576
	global_load_u16 v42, v[36:37], off offset:640
	global_load_u16 v41, v[36:37], off offset:704
	global_load_u16 v40, v[36:37], off offset:768
	global_load_u16 v39, v[36:37], off offset:832
	global_load_u16 v38, v[36:37], off offset:896
	s_cbranch_execz .LBB2086_700
; %bb.698:                              ;   in Loop: Header=BB2086_696 Depth=2
                                        ; implicit-def: $sgpr21
	v_dual_mov_b32 v36, s21 :: v_dual_mov_b32 v145, s56
	s_and_saveexec_b32 s21, s20
	s_cbranch_execnz .LBB2086_731
	s_branch .LBB2086_732
.LBB2086_699:                           ;   in Loop: Header=BB2086_696 Depth=2
	s_mov_b32 s19, -1
	s_mov_b32 s20, 0
                                        ; implicit-def: $sgpr17
                                        ; implicit-def: $vgpr2
                                        ; implicit-def: $vgpr146
                                        ; implicit-def: $vgpr149
                                        ; implicit-def: $vgpr153
                                        ; implicit-def: $vgpr157
                                        ; implicit-def: $vgpr161
                                        ; implicit-def: $vgpr165
                                        ; implicit-def: $vgpr170
                                        ; implicit-def: $vgpr169
                                        ; implicit-def: $vgpr43
                                        ; implicit-def: $vgpr42
                                        ; implicit-def: $vgpr41
                                        ; implicit-def: $vgpr40
                                        ; implicit-def: $vgpr39
                                        ; implicit-def: $vgpr38
.LBB2086_700:                           ;   in Loop: Header=BB2086_696 Depth=2
	s_lshl_b64 s[18:19], s[34:35], 1
	s_waitcnt vmcnt(13)
	v_mov_b32_e32 v146, 0x7fff
	v_add_co_u32 v36, vcc_lo, v124, s18
	v_add_co_ci_u32_e32 v37, vcc_lo, s19, v125, vcc_lo
	v_mov_b32_e32 v2, 0x7fff
	s_mov_b32 s17, exec_lo
	v_cmpx_gt_u32_e64 s56, v106
	s_cbranch_execz .LBB2086_702
; %bb.701:                              ;   in Loop: Header=BB2086_696 Depth=2
	global_load_u16 v2, v[36:37], off
.LBB2086_702:                           ;   in Loop: Header=BB2086_696 Depth=2
	s_or_b32 exec_lo, exec_lo, s17
	s_delay_alu instid0(SALU_CYCLE_1)
	s_mov_b32 s17, exec_lo
	v_cmpx_gt_u32_e64 s56, v109
	s_cbranch_execz .LBB2086_704
; %bb.703:                              ;   in Loop: Header=BB2086_696 Depth=2
	global_load_u16 v146, v[36:37], off offset:64
.LBB2086_704:                           ;   in Loop: Header=BB2086_696 Depth=2
	s_or_b32 exec_lo, exec_lo, s17
	s_waitcnt vmcnt(11)
	v_mov_b32_e32 v153, 0x7fff
	v_mov_b32_e32 v149, 0x7fff
	s_mov_b32 s17, exec_lo
	v_cmpx_gt_u32_e64 s56, v110
	s_cbranch_execz .LBB2086_706
; %bb.705:                              ;   in Loop: Header=BB2086_696 Depth=2
	global_load_u16 v149, v[36:37], off offset:128
.LBB2086_706:                           ;   in Loop: Header=BB2086_696 Depth=2
	s_or_b32 exec_lo, exec_lo, s17
	s_delay_alu instid0(SALU_CYCLE_1)
	s_mov_b32 s17, exec_lo
	v_cmpx_gt_u32_e64 s56, v111
	s_cbranch_execz .LBB2086_708
; %bb.707:                              ;   in Loop: Header=BB2086_696 Depth=2
	global_load_u16 v153, v[36:37], off offset:192
.LBB2086_708:                           ;   in Loop: Header=BB2086_696 Depth=2
	s_or_b32 exec_lo, exec_lo, s17
	s_waitcnt vmcnt(9)
	v_mov_b32_e32 v161, 0x7fff
	v_mov_b32_e32 v157, 0x7fff
	s_mov_b32 s17, exec_lo
	v_cmpx_gt_u32_e64 s56, v112
	s_cbranch_execz .LBB2086_710
; %bb.709:                              ;   in Loop: Header=BB2086_696 Depth=2
	global_load_u16 v157, v[36:37], off offset:256
.LBB2086_710:                           ;   in Loop: Header=BB2086_696 Depth=2
	s_or_b32 exec_lo, exec_lo, s17
	s_delay_alu instid0(SALU_CYCLE_1)
	s_mov_b32 s17, exec_lo
	v_cmpx_gt_u32_e64 s56, v113
	s_cbranch_execz .LBB2086_712
; %bb.711:                              ;   in Loop: Header=BB2086_696 Depth=2
	global_load_u16 v161, v[36:37], off offset:320
.LBB2086_712:                           ;   in Loop: Header=BB2086_696 Depth=2
	s_or_b32 exec_lo, exec_lo, s17
	s_waitcnt vmcnt(7)
	v_dual_mov_b32 v170, 0x7fff :: v_dual_mov_b32 v165, 0x7fff
	s_mov_b32 s17, exec_lo
	v_cmpx_gt_u32_e64 s56, v114
	s_cbranch_execz .LBB2086_714
; %bb.713:                              ;   in Loop: Header=BB2086_696 Depth=2
	global_load_u16 v165, v[36:37], off offset:384
.LBB2086_714:                           ;   in Loop: Header=BB2086_696 Depth=2
	s_or_b32 exec_lo, exec_lo, s17
	s_delay_alu instid0(SALU_CYCLE_1)
	s_mov_b32 s17, exec_lo
	v_cmpx_gt_u32_e64 s56, v115
	s_cbranch_execz .LBB2086_716
; %bb.715:                              ;   in Loop: Header=BB2086_696 Depth=2
	global_load_u16 v170, v[36:37], off offset:448
.LBB2086_716:                           ;   in Loop: Header=BB2086_696 Depth=2
	s_or_b32 exec_lo, exec_lo, s17
	s_waitcnt vmcnt(5)
	v_mov_b32_e32 v43, 0x7fff
	v_mov_b32_e32 v169, 0x7fff
	s_mov_b32 s17, exec_lo
	v_cmpx_gt_u32_e64 s56, v116
	s_cbranch_execz .LBB2086_718
; %bb.717:                              ;   in Loop: Header=BB2086_696 Depth=2
	global_load_u16 v169, v[36:37], off offset:512
.LBB2086_718:                           ;   in Loop: Header=BB2086_696 Depth=2
	s_or_b32 exec_lo, exec_lo, s17
	s_delay_alu instid0(SALU_CYCLE_1)
	s_mov_b32 s17, exec_lo
	v_cmpx_gt_u32_e64 s56, v117
	s_cbranch_execz .LBB2086_720
; %bb.719:                              ;   in Loop: Header=BB2086_696 Depth=2
	global_load_u16 v43, v[36:37], off offset:576
.LBB2086_720:                           ;   in Loop: Header=BB2086_696 Depth=2
	s_or_b32 exec_lo, exec_lo, s17
	s_waitcnt vmcnt(3)
	v_dual_mov_b32 v41, 0x7fff :: v_dual_mov_b32 v42, 0x7fff
	s_mov_b32 s17, exec_lo
	v_cmpx_gt_u32_e64 s56, v118
	s_cbranch_execz .LBB2086_722
; %bb.721:                              ;   in Loop: Header=BB2086_696 Depth=2
	global_load_u16 v42, v[36:37], off offset:640
.LBB2086_722:                           ;   in Loop: Header=BB2086_696 Depth=2
	s_or_b32 exec_lo, exec_lo, s17
	s_delay_alu instid0(SALU_CYCLE_1)
	s_mov_b32 s17, exec_lo
	v_cmpx_gt_u32_e64 s56, v119
	s_cbranch_execz .LBB2086_724
; %bb.723:                              ;   in Loop: Header=BB2086_696 Depth=2
	global_load_u16 v41, v[36:37], off offset:704
.LBB2086_724:                           ;   in Loop: Header=BB2086_696 Depth=2
	s_or_b32 exec_lo, exec_lo, s17
	s_waitcnt vmcnt(1)
	v_dual_mov_b32 v39, 0x7fff :: v_dual_mov_b32 v40, 0x7fff
	s_mov_b32 s17, exec_lo
	v_cmpx_gt_u32_e64 s56, v120
	s_cbranch_execz .LBB2086_726
; %bb.725:                              ;   in Loop: Header=BB2086_696 Depth=2
	global_load_u16 v40, v[36:37], off offset:768
.LBB2086_726:                           ;   in Loop: Header=BB2086_696 Depth=2
	s_or_b32 exec_lo, exec_lo, s17
	s_delay_alu instid0(SALU_CYCLE_1)
	s_mov_b32 s17, exec_lo
	v_cmpx_gt_u32_e64 s56, v121
	s_cbranch_execz .LBB2086_728
; %bb.727:                              ;   in Loop: Header=BB2086_696 Depth=2
	global_load_u16 v39, v[36:37], off offset:832
.LBB2086_728:                           ;   in Loop: Header=BB2086_696 Depth=2
	s_or_b32 exec_lo, exec_lo, s17
	s_waitcnt vmcnt(0)
	v_mov_b32_e32 v38, 0x7fff
	s_mov_b32 s17, exec_lo
	v_cmpx_gt_u32_e64 s56, v122
	s_cbranch_execz .LBB2086_730
; %bb.729:                              ;   in Loop: Header=BB2086_696 Depth=2
	global_load_u16 v38, v[36:37], off offset:896
.LBB2086_730:                           ;   in Loop: Header=BB2086_696 Depth=2
	s_or_b32 exec_lo, exec_lo, s17
	v_cmp_gt_u32_e64 s20, s56, v123
	s_sub_i32 s17, s53, s34
	s_movk_i32 s21, 0x7fff
	s_mov_b64 s[18:19], s[34:35]
	v_dual_mov_b32 v36, s21 :: v_dual_mov_b32 v145, s56
	s_and_saveexec_b32 s21, s20
	s_cbranch_execz .LBB2086_732
.LBB2086_731:                           ;   in Loop: Header=BB2086_696 Depth=2
	s_lshl_b64 s[18:19], s[18:19], 1
	v_mov_b32_e32 v145, s17
	v_add_co_u32 v36, vcc_lo, v127, s18
	v_add_co_ci_u32_e32 v37, vcc_lo, s19, v128, vcc_lo
	global_load_u16 v36, v[36:37], off
.LBB2086_732:                           ;   in Loop: Header=BB2086_696 Depth=2
	s_or_b32 exec_lo, exec_lo, s21
	s_waitcnt vmcnt(14)
	v_cmp_lt_i16_e32 vcc_lo, -1, v2
	ds_store_b32 v69, v3 offset:1056
	ds_store_2addr_b32 v71, v3, v3 offset0:1 offset1:2
	ds_store_2addr_b32 v71, v3, v3 offset0:3 offset1:4
	;; [unrolled: 1-line block ×4, first 2 shown]
	s_waitcnt vmcnt(0) lgkmcnt(0)
	s_barrier
	v_cndmask_b32_e64 v37, -1, 0xffff8000, vcc_lo
	buffer_gl0_inv
	; wave barrier
	v_xor_b32_e32 v2, v37, v2
	s_delay_alu instid0(VALU_DEP_1) | instskip(SKIP_1) | instid1(VALU_DEP_1)
	v_cmp_ne_u16_e32 vcc_lo, 0x7fff, v2
	v_cndmask_b32_e32 v37, 0xffff8000, v2, vcc_lo
	v_and_b32_e32 v37, 0xffff, v37
	s_delay_alu instid0(VALU_DEP_1) | instskip(NEXT) | instid1(VALU_DEP_1)
	v_lshrrev_b32_e32 v37, s49, v37
	v_and_b32_e32 v148, s55, v37
	s_delay_alu instid0(VALU_DEP_1)
	v_lshlrev_b32_e32 v150, 29, v148
	v_and_b32_e32 v37, 1, v148
	v_lshlrev_b32_e32 v147, 30, v148
	v_lshlrev_b32_e32 v151, 28, v148
	;; [unrolled: 1-line block ×4, first 2 shown]
	v_add_co_u32 v37, s17, v37, -1
	s_delay_alu instid0(VALU_DEP_1)
	v_cndmask_b32_e64 v152, 0, 1, s17
	v_not_b32_e32 v158, v147
	v_cmp_gt_i32_e64 s17, 0, v147
	v_not_b32_e32 v147, v150
	v_lshlrev_b32_e32 v156, 25, v148
	v_cmp_ne_u32_e32 vcc_lo, 0, v152
	v_ashrrev_i32_e32 v158, 31, v158
	v_lshlrev_b32_e32 v152, 24, v148
	v_ashrrev_i32_e32 v147, 31, v147
	v_mad_u32_u24 v148, v148, 9, v126
	v_xor_b32_e32 v37, vcc_lo, v37
	v_cmp_gt_i32_e32 vcc_lo, 0, v150
	v_not_b32_e32 v150, v151
	v_xor_b32_e32 v158, s17, v158
	v_cmp_gt_i32_e64 s17, 0, v151
	v_and_b32_e32 v37, exec_lo, v37
	v_not_b32_e32 v151, v154
	v_ashrrev_i32_e32 v150, 31, v150
	v_xor_b32_e32 v147, vcc_lo, v147
	v_cmp_gt_i32_e32 vcc_lo, 0, v154
	v_and_b32_e32 v37, v37, v158
	v_not_b32_e32 v154, v155
	v_ashrrev_i32_e32 v151, 31, v151
	v_xor_b32_e32 v150, s17, v150
	v_cmp_gt_i32_e64 s17, 0, v155
	v_and_b32_e32 v37, v37, v147
	v_not_b32_e32 v147, v156
	v_ashrrev_i32_e32 v154, 31, v154
	v_xor_b32_e32 v151, vcc_lo, v151
	v_cmp_gt_i32_e32 vcc_lo, 0, v156
	v_and_b32_e32 v37, v37, v150
	v_not_b32_e32 v150, v152
	v_ashrrev_i32_e32 v147, 31, v147
	v_xor_b32_e32 v154, s17, v154
	v_cmp_gt_i32_e64 s17, 0, v152
	v_and_b32_e32 v37, v37, v151
	v_ashrrev_i32_e32 v150, 31, v150
	v_xor_b32_e32 v147, vcc_lo, v147
	v_lshl_add_u32 v148, v148, 2, 0x420
	s_delay_alu instid0(VALU_DEP_4) | instskip(NEXT) | instid1(VALU_DEP_4)
	v_and_b32_e32 v37, v37, v154
	v_xor_b32_e32 v150, s17, v150
	s_delay_alu instid0(VALU_DEP_2) | instskip(NEXT) | instid1(VALU_DEP_1)
	v_and_b32_e32 v37, v37, v147
	v_and_b32_e32 v37, v37, v150
	s_delay_alu instid0(VALU_DEP_1) | instskip(SKIP_1) | instid1(VALU_DEP_2)
	v_mbcnt_lo_u32_b32 v147, v37, 0
	v_cmp_ne_u32_e64 s17, 0, v37
	v_cmp_eq_u32_e32 vcc_lo, 0, v147
	s_delay_alu instid0(VALU_DEP_2) | instskip(NEXT) | instid1(SALU_CYCLE_1)
	s_and_b32 s18, s17, vcc_lo
	s_and_saveexec_b32 s17, s18
	s_cbranch_execz .LBB2086_734
; %bb.733:                              ;   in Loop: Header=BB2086_696 Depth=2
	v_bcnt_u32_b32 v37, v37, 0
	ds_store_b32 v148, v37
.LBB2086_734:                           ;   in Loop: Header=BB2086_696 Depth=2
	s_or_b32 exec_lo, exec_lo, s17
	v_cmp_lt_i16_e64 vcc_lo, -1, v146
	; wave barrier
	s_delay_alu instid0(VALU_DEP_1) | instskip(NEXT) | instid1(VALU_DEP_1)
	v_cndmask_b32_e64 v37, -1, 0xffff8000, vcc_lo
	v_xor_b32_e32 v146, v37, v146
	s_delay_alu instid0(VALU_DEP_1) | instskip(SKIP_1) | instid1(VALU_DEP_1)
	v_cmp_ne_u16_e64 vcc_lo, 0x7fff, v146
	v_cndmask_b32_e32 v37, 0xffff8000, v146, vcc_lo
	v_and_b32_e32 v37, 0xffff, v37
	s_delay_alu instid0(VALU_DEP_1) | instskip(NEXT) | instid1(VALU_DEP_1)
	v_lshrrev_b32_e32 v37, s49, v37
	v_and_b32_e32 v37, s55, v37
	s_delay_alu instid0(VALU_DEP_1)
	v_and_b32_e32 v150, 1, v37
	v_lshlrev_b32_e32 v151, 30, v37
	v_lshlrev_b32_e32 v152, 29, v37
	;; [unrolled: 1-line block ×4, first 2 shown]
	v_add_co_u32 v150, s17, v150, -1
	s_delay_alu instid0(VALU_DEP_1)
	v_cndmask_b32_e64 v155, 0, 1, s17
	v_not_b32_e32 v160, v151
	v_cmp_gt_i32_e64 s17, 0, v151
	v_not_b32_e32 v151, v152
	v_lshlrev_b32_e32 v158, 26, v37
	v_cmp_ne_u32_e32 vcc_lo, 0, v155
	v_ashrrev_i32_e32 v160, 31, v160
	v_lshlrev_b32_e32 v159, 25, v37
	v_ashrrev_i32_e32 v151, 31, v151
	v_lshlrev_b32_e32 v155, 24, v37
	v_xor_b32_e32 v150, vcc_lo, v150
	v_cmp_gt_i32_e32 vcc_lo, 0, v152
	v_not_b32_e32 v152, v154
	v_xor_b32_e32 v160, s17, v160
	v_cmp_gt_i32_e64 s17, 0, v154
	v_and_b32_e32 v150, exec_lo, v150
	v_not_b32_e32 v154, v156
	v_ashrrev_i32_e32 v152, 31, v152
	v_xor_b32_e32 v151, vcc_lo, v151
	v_cmp_gt_i32_e32 vcc_lo, 0, v156
	v_and_b32_e32 v150, v150, v160
	v_not_b32_e32 v156, v158
	v_ashrrev_i32_e32 v154, 31, v154
	v_xor_b32_e32 v152, s17, v152
	v_cmp_gt_i32_e64 s17, 0, v158
	v_and_b32_e32 v150, v150, v151
	v_not_b32_e32 v151, v159
	v_ashrrev_i32_e32 v156, 31, v156
	v_xor_b32_e32 v154, vcc_lo, v154
	v_cmp_gt_i32_e32 vcc_lo, 0, v159
	v_and_b32_e32 v150, v150, v152
	v_not_b32_e32 v152, v155
	v_ashrrev_i32_e32 v151, 31, v151
	v_xor_b32_e32 v156, s17, v156
	v_mul_u32_u24_e32 v37, 9, v37
	v_and_b32_e32 v150, v150, v154
	v_cmp_gt_i32_e64 s17, 0, v155
	v_ashrrev_i32_e32 v152, 31, v152
	v_xor_b32_e32 v151, vcc_lo, v151
	v_add_lshl_u32 v154, v37, v126, 2
	v_and_b32_e32 v150, v150, v156
	s_delay_alu instid0(VALU_DEP_4) | instskip(NEXT) | instid1(VALU_DEP_3)
	v_xor_b32_e32 v37, s17, v152
	v_add_nc_u32_e32 v152, 0x420, v154
	s_delay_alu instid0(VALU_DEP_3) | instskip(SKIP_2) | instid1(VALU_DEP_1)
	v_and_b32_e32 v151, v150, v151
	ds_load_b32 v150, v154 offset:1056
	; wave barrier
	v_and_b32_e32 v37, v151, v37
	v_mbcnt_lo_u32_b32 v151, v37, 0
	v_cmp_ne_u32_e64 s17, 0, v37
	s_delay_alu instid0(VALU_DEP_2) | instskip(NEXT) | instid1(VALU_DEP_2)
	v_cmp_eq_u32_e32 vcc_lo, 0, v151
	s_and_b32 s18, s17, vcc_lo
	s_delay_alu instid0(SALU_CYCLE_1)
	s_and_saveexec_b32 s17, s18
	s_cbranch_execz .LBB2086_736
; %bb.735:                              ;   in Loop: Header=BB2086_696 Depth=2
	s_waitcnt lgkmcnt(0)
	v_bcnt_u32_b32 v37, v37, v150
	ds_store_b32 v152, v37
.LBB2086_736:                           ;   in Loop: Header=BB2086_696 Depth=2
	s_or_b32 exec_lo, exec_lo, s17
	v_cmp_lt_i16_e64 vcc_lo, -1, v149
	; wave barrier
	s_delay_alu instid0(VALU_DEP_1) | instskip(NEXT) | instid1(VALU_DEP_1)
	v_cndmask_b32_e64 v37, -1, 0xffff8000, vcc_lo
	v_xor_b32_e32 v149, v37, v149
	s_delay_alu instid0(VALU_DEP_1) | instskip(SKIP_1) | instid1(VALU_DEP_1)
	v_cmp_ne_u16_e64 vcc_lo, 0x7fff, v149
	v_cndmask_b32_e32 v37, 0xffff8000, v149, vcc_lo
	v_and_b32_e32 v37, 0xffff, v37
	s_delay_alu instid0(VALU_DEP_1) | instskip(NEXT) | instid1(VALU_DEP_1)
	v_lshrrev_b32_e32 v37, s49, v37
	v_and_b32_e32 v37, s55, v37
	s_delay_alu instid0(VALU_DEP_1)
	v_and_b32_e32 v154, 1, v37
	v_lshlrev_b32_e32 v155, 30, v37
	v_lshlrev_b32_e32 v156, 29, v37
	;; [unrolled: 1-line block ×4, first 2 shown]
	v_add_co_u32 v154, s17, v154, -1
	s_delay_alu instid0(VALU_DEP_1)
	v_cndmask_b32_e64 v159, 0, 1, s17
	v_not_b32_e32 v164, v155
	v_cmp_gt_i32_e64 s17, 0, v155
	v_not_b32_e32 v155, v156
	v_lshlrev_b32_e32 v162, 26, v37
	v_cmp_ne_u32_e32 vcc_lo, 0, v159
	v_ashrrev_i32_e32 v164, 31, v164
	v_lshlrev_b32_e32 v163, 25, v37
	v_ashrrev_i32_e32 v155, 31, v155
	v_lshlrev_b32_e32 v159, 24, v37
	v_xor_b32_e32 v154, vcc_lo, v154
	v_cmp_gt_i32_e32 vcc_lo, 0, v156
	v_not_b32_e32 v156, v158
	v_xor_b32_e32 v164, s17, v164
	v_cmp_gt_i32_e64 s17, 0, v158
	v_and_b32_e32 v154, exec_lo, v154
	v_not_b32_e32 v158, v160
	v_ashrrev_i32_e32 v156, 31, v156
	v_xor_b32_e32 v155, vcc_lo, v155
	v_cmp_gt_i32_e32 vcc_lo, 0, v160
	v_and_b32_e32 v154, v154, v164
	v_not_b32_e32 v160, v162
	v_ashrrev_i32_e32 v158, 31, v158
	v_xor_b32_e32 v156, s17, v156
	v_cmp_gt_i32_e64 s17, 0, v162
	v_and_b32_e32 v154, v154, v155
	v_not_b32_e32 v155, v163
	v_ashrrev_i32_e32 v160, 31, v160
	v_xor_b32_e32 v158, vcc_lo, v158
	v_cmp_gt_i32_e32 vcc_lo, 0, v163
	v_and_b32_e32 v154, v154, v156
	v_not_b32_e32 v156, v159
	v_ashrrev_i32_e32 v155, 31, v155
	v_xor_b32_e32 v160, s17, v160
	v_mul_u32_u24_e32 v37, 9, v37
	v_and_b32_e32 v154, v154, v158
	v_cmp_gt_i32_e64 s17, 0, v159
	v_ashrrev_i32_e32 v156, 31, v156
	v_xor_b32_e32 v155, vcc_lo, v155
	v_add_lshl_u32 v158, v37, v126, 2
	v_and_b32_e32 v154, v154, v160
	s_delay_alu instid0(VALU_DEP_4) | instskip(NEXT) | instid1(VALU_DEP_3)
	v_xor_b32_e32 v37, s17, v156
	v_add_nc_u32_e32 v156, 0x420, v158
	s_delay_alu instid0(VALU_DEP_3) | instskip(SKIP_2) | instid1(VALU_DEP_1)
	v_and_b32_e32 v155, v154, v155
	ds_load_b32 v154, v158 offset:1056
	; wave barrier
	v_and_b32_e32 v37, v155, v37
	v_mbcnt_lo_u32_b32 v155, v37, 0
	v_cmp_ne_u32_e64 s17, 0, v37
	s_delay_alu instid0(VALU_DEP_2) | instskip(NEXT) | instid1(VALU_DEP_2)
	v_cmp_eq_u32_e32 vcc_lo, 0, v155
	s_and_b32 s18, s17, vcc_lo
	s_delay_alu instid0(SALU_CYCLE_1)
	s_and_saveexec_b32 s17, s18
	s_cbranch_execz .LBB2086_738
; %bb.737:                              ;   in Loop: Header=BB2086_696 Depth=2
	s_waitcnt lgkmcnt(0)
	v_bcnt_u32_b32 v37, v37, v154
	ds_store_b32 v156, v37
.LBB2086_738:                           ;   in Loop: Header=BB2086_696 Depth=2
	s_or_b32 exec_lo, exec_lo, s17
	v_cmp_lt_i16_e64 vcc_lo, -1, v153
	; wave barrier
	s_delay_alu instid0(VALU_DEP_1) | instskip(NEXT) | instid1(VALU_DEP_1)
	v_cndmask_b32_e64 v37, -1, 0xffff8000, vcc_lo
	v_xor_b32_e32 v153, v37, v153
	s_delay_alu instid0(VALU_DEP_1) | instskip(SKIP_1) | instid1(VALU_DEP_1)
	v_cmp_ne_u16_e64 vcc_lo, 0x7fff, v153
	v_cndmask_b32_e32 v37, 0xffff8000, v153, vcc_lo
	v_and_b32_e32 v37, 0xffff, v37
	s_delay_alu instid0(VALU_DEP_1) | instskip(NEXT) | instid1(VALU_DEP_1)
	v_lshrrev_b32_e32 v37, s49, v37
	v_and_b32_e32 v37, s55, v37
	s_delay_alu instid0(VALU_DEP_1)
	v_and_b32_e32 v158, 1, v37
	v_lshlrev_b32_e32 v159, 30, v37
	v_lshlrev_b32_e32 v160, 29, v37
	;; [unrolled: 1-line block ×4, first 2 shown]
	v_add_co_u32 v158, s17, v158, -1
	s_delay_alu instid0(VALU_DEP_1)
	v_cndmask_b32_e64 v163, 0, 1, s17
	v_not_b32_e32 v168, v159
	v_cmp_gt_i32_e64 s17, 0, v159
	v_not_b32_e32 v159, v160
	v_lshlrev_b32_e32 v166, 26, v37
	v_cmp_ne_u32_e32 vcc_lo, 0, v163
	v_ashrrev_i32_e32 v168, 31, v168
	v_lshlrev_b32_e32 v167, 25, v37
	v_ashrrev_i32_e32 v159, 31, v159
	v_lshlrev_b32_e32 v163, 24, v37
	v_xor_b32_e32 v158, vcc_lo, v158
	v_cmp_gt_i32_e32 vcc_lo, 0, v160
	v_not_b32_e32 v160, v162
	v_xor_b32_e32 v168, s17, v168
	v_cmp_gt_i32_e64 s17, 0, v162
	v_and_b32_e32 v158, exec_lo, v158
	v_not_b32_e32 v162, v164
	v_ashrrev_i32_e32 v160, 31, v160
	v_xor_b32_e32 v159, vcc_lo, v159
	v_cmp_gt_i32_e32 vcc_lo, 0, v164
	v_and_b32_e32 v158, v158, v168
	v_not_b32_e32 v164, v166
	v_ashrrev_i32_e32 v162, 31, v162
	v_xor_b32_e32 v160, s17, v160
	v_cmp_gt_i32_e64 s17, 0, v166
	v_and_b32_e32 v158, v158, v159
	v_not_b32_e32 v159, v167
	v_ashrrev_i32_e32 v164, 31, v164
	v_xor_b32_e32 v162, vcc_lo, v162
	v_cmp_gt_i32_e32 vcc_lo, 0, v167
	v_and_b32_e32 v158, v158, v160
	v_not_b32_e32 v160, v163
	v_ashrrev_i32_e32 v159, 31, v159
	v_xor_b32_e32 v164, s17, v164
	v_mul_u32_u24_e32 v37, 9, v37
	v_and_b32_e32 v158, v158, v162
	v_cmp_gt_i32_e64 s17, 0, v163
	v_ashrrev_i32_e32 v160, 31, v160
	v_xor_b32_e32 v159, vcc_lo, v159
	v_add_lshl_u32 v162, v37, v126, 2
	v_and_b32_e32 v158, v158, v164
	s_delay_alu instid0(VALU_DEP_4) | instskip(NEXT) | instid1(VALU_DEP_3)
	v_xor_b32_e32 v37, s17, v160
	v_add_nc_u32_e32 v160, 0x420, v162
	s_delay_alu instid0(VALU_DEP_3) | instskip(SKIP_2) | instid1(VALU_DEP_1)
	v_and_b32_e32 v159, v158, v159
	ds_load_b32 v158, v162 offset:1056
	; wave barrier
	v_and_b32_e32 v37, v159, v37
	v_mbcnt_lo_u32_b32 v159, v37, 0
	v_cmp_ne_u32_e64 s17, 0, v37
	s_delay_alu instid0(VALU_DEP_2) | instskip(NEXT) | instid1(VALU_DEP_2)
	v_cmp_eq_u32_e32 vcc_lo, 0, v159
	s_and_b32 s18, s17, vcc_lo
	s_delay_alu instid0(SALU_CYCLE_1)
	s_and_saveexec_b32 s17, s18
	s_cbranch_execz .LBB2086_740
; %bb.739:                              ;   in Loop: Header=BB2086_696 Depth=2
	s_waitcnt lgkmcnt(0)
	v_bcnt_u32_b32 v37, v37, v158
	ds_store_b32 v160, v37
.LBB2086_740:                           ;   in Loop: Header=BB2086_696 Depth=2
	s_or_b32 exec_lo, exec_lo, s17
	v_cmp_lt_i16_e64 vcc_lo, -1, v157
	; wave barrier
	s_delay_alu instid0(VALU_DEP_1) | instskip(NEXT) | instid1(VALU_DEP_1)
	v_cndmask_b32_e64 v37, -1, 0xffff8000, vcc_lo
	v_xor_b32_e32 v157, v37, v157
	s_delay_alu instid0(VALU_DEP_1) | instskip(SKIP_1) | instid1(VALU_DEP_1)
	v_cmp_ne_u16_e64 vcc_lo, 0x7fff, v157
	v_cndmask_b32_e32 v37, 0xffff8000, v157, vcc_lo
	v_and_b32_e32 v37, 0xffff, v37
	s_delay_alu instid0(VALU_DEP_1) | instskip(NEXT) | instid1(VALU_DEP_1)
	v_lshrrev_b32_e32 v37, s49, v37
	v_and_b32_e32 v37, s55, v37
	s_delay_alu instid0(VALU_DEP_1)
	v_and_b32_e32 v162, 1, v37
	v_lshlrev_b32_e32 v163, 30, v37
	v_lshlrev_b32_e32 v164, 29, v37
	;; [unrolled: 1-line block ×4, first 2 shown]
	v_add_co_u32 v162, s17, v162, -1
	s_delay_alu instid0(VALU_DEP_1)
	v_cndmask_b32_e64 v167, 0, 1, s17
	v_not_b32_e32 v173, v163
	v_cmp_gt_i32_e64 s17, 0, v163
	v_not_b32_e32 v163, v164
	v_lshlrev_b32_e32 v171, 26, v37
	v_cmp_ne_u32_e32 vcc_lo, 0, v167
	v_ashrrev_i32_e32 v173, 31, v173
	v_lshlrev_b32_e32 v172, 25, v37
	v_ashrrev_i32_e32 v163, 31, v163
	v_lshlrev_b32_e32 v167, 24, v37
	v_xor_b32_e32 v162, vcc_lo, v162
	v_cmp_gt_i32_e32 vcc_lo, 0, v164
	v_not_b32_e32 v164, v166
	v_xor_b32_e32 v173, s17, v173
	v_cmp_gt_i32_e64 s17, 0, v166
	v_and_b32_e32 v162, exec_lo, v162
	v_not_b32_e32 v166, v168
	v_ashrrev_i32_e32 v164, 31, v164
	v_xor_b32_e32 v163, vcc_lo, v163
	v_cmp_gt_i32_e32 vcc_lo, 0, v168
	v_and_b32_e32 v162, v162, v173
	v_not_b32_e32 v168, v171
	v_ashrrev_i32_e32 v166, 31, v166
	v_xor_b32_e32 v164, s17, v164
	v_cmp_gt_i32_e64 s17, 0, v171
	v_and_b32_e32 v162, v162, v163
	v_not_b32_e32 v163, v172
	v_ashrrev_i32_e32 v168, 31, v168
	v_xor_b32_e32 v166, vcc_lo, v166
	v_cmp_gt_i32_e32 vcc_lo, 0, v172
	v_and_b32_e32 v162, v162, v164
	v_not_b32_e32 v164, v167
	v_ashrrev_i32_e32 v163, 31, v163
	v_xor_b32_e32 v168, s17, v168
	v_mul_u32_u24_e32 v37, 9, v37
	v_and_b32_e32 v162, v162, v166
	v_cmp_gt_i32_e64 s17, 0, v167
	v_ashrrev_i32_e32 v164, 31, v164
	v_xor_b32_e32 v163, vcc_lo, v163
	v_add_lshl_u32 v166, v37, v126, 2
	v_and_b32_e32 v162, v162, v168
	s_delay_alu instid0(VALU_DEP_4) | instskip(NEXT) | instid1(VALU_DEP_3)
	v_xor_b32_e32 v37, s17, v164
	v_add_nc_u32_e32 v164, 0x420, v166
	s_delay_alu instid0(VALU_DEP_3) | instskip(SKIP_2) | instid1(VALU_DEP_1)
	v_and_b32_e32 v163, v162, v163
	ds_load_b32 v162, v166 offset:1056
	; wave barrier
	v_and_b32_e32 v37, v163, v37
	v_mbcnt_lo_u32_b32 v163, v37, 0
	v_cmp_ne_u32_e64 s17, 0, v37
	s_delay_alu instid0(VALU_DEP_2) | instskip(NEXT) | instid1(VALU_DEP_2)
	v_cmp_eq_u32_e32 vcc_lo, 0, v163
	s_and_b32 s18, s17, vcc_lo
	s_delay_alu instid0(SALU_CYCLE_1)
	s_and_saveexec_b32 s17, s18
	s_cbranch_execz .LBB2086_742
; %bb.741:                              ;   in Loop: Header=BB2086_696 Depth=2
	s_waitcnt lgkmcnt(0)
	v_bcnt_u32_b32 v37, v37, v162
	ds_store_b32 v164, v37
.LBB2086_742:                           ;   in Loop: Header=BB2086_696 Depth=2
	s_or_b32 exec_lo, exec_lo, s17
	v_cmp_lt_i16_e64 vcc_lo, -1, v161
	; wave barrier
	s_delay_alu instid0(VALU_DEP_1) | instskip(NEXT) | instid1(VALU_DEP_1)
	v_cndmask_b32_e64 v37, -1, 0xffff8000, vcc_lo
	v_xor_b32_e32 v161, v37, v161
	s_delay_alu instid0(VALU_DEP_1) | instskip(SKIP_1) | instid1(VALU_DEP_1)
	v_cmp_ne_u16_e64 vcc_lo, 0x7fff, v161
	v_cndmask_b32_e32 v37, 0xffff8000, v161, vcc_lo
	v_and_b32_e32 v37, 0xffff, v37
	s_delay_alu instid0(VALU_DEP_1) | instskip(NEXT) | instid1(VALU_DEP_1)
	v_lshrrev_b32_e32 v37, s49, v37
	v_and_b32_e32 v37, s55, v37
	s_delay_alu instid0(VALU_DEP_1)
	v_and_b32_e32 v166, 1, v37
	v_lshlrev_b32_e32 v167, 30, v37
	v_lshlrev_b32_e32 v168, 29, v37
	;; [unrolled: 1-line block ×4, first 2 shown]
	v_add_co_u32 v166, s17, v166, -1
	s_delay_alu instid0(VALU_DEP_1)
	v_cndmask_b32_e64 v172, 0, 1, s17
	v_not_b32_e32 v176, v167
	v_cmp_gt_i32_e64 s17, 0, v167
	v_not_b32_e32 v167, v168
	v_lshlrev_b32_e32 v174, 26, v37
	v_cmp_ne_u32_e32 vcc_lo, 0, v172
	v_ashrrev_i32_e32 v176, 31, v176
	v_lshlrev_b32_e32 v175, 25, v37
	v_ashrrev_i32_e32 v167, 31, v167
	v_lshlrev_b32_e32 v172, 24, v37
	v_xor_b32_e32 v166, vcc_lo, v166
	v_cmp_gt_i32_e32 vcc_lo, 0, v168
	v_not_b32_e32 v168, v171
	v_xor_b32_e32 v176, s17, v176
	v_cmp_gt_i32_e64 s17, 0, v171
	v_and_b32_e32 v166, exec_lo, v166
	v_not_b32_e32 v171, v173
	v_ashrrev_i32_e32 v168, 31, v168
	v_xor_b32_e32 v167, vcc_lo, v167
	v_cmp_gt_i32_e32 vcc_lo, 0, v173
	v_and_b32_e32 v166, v166, v176
	v_not_b32_e32 v173, v174
	v_ashrrev_i32_e32 v171, 31, v171
	v_xor_b32_e32 v168, s17, v168
	v_cmp_gt_i32_e64 s17, 0, v174
	v_and_b32_e32 v166, v166, v167
	v_not_b32_e32 v167, v175
	v_ashrrev_i32_e32 v173, 31, v173
	v_xor_b32_e32 v171, vcc_lo, v171
	v_cmp_gt_i32_e32 vcc_lo, 0, v175
	v_and_b32_e32 v166, v166, v168
	v_not_b32_e32 v168, v172
	v_ashrrev_i32_e32 v167, 31, v167
	v_xor_b32_e32 v173, s17, v173
	v_mul_u32_u24_e32 v37, 9, v37
	v_and_b32_e32 v166, v166, v171
	v_cmp_gt_i32_e64 s17, 0, v172
	v_ashrrev_i32_e32 v168, 31, v168
	v_xor_b32_e32 v167, vcc_lo, v167
	v_add_lshl_u32 v171, v37, v126, 2
	v_and_b32_e32 v166, v166, v173
	s_delay_alu instid0(VALU_DEP_4) | instskip(NEXT) | instid1(VALU_DEP_3)
	v_xor_b32_e32 v37, s17, v168
	v_add_nc_u32_e32 v168, 0x420, v171
	s_delay_alu instid0(VALU_DEP_3) | instskip(SKIP_2) | instid1(VALU_DEP_1)
	v_and_b32_e32 v167, v166, v167
	ds_load_b32 v166, v171 offset:1056
	; wave barrier
	v_and_b32_e32 v37, v167, v37
	v_mbcnt_lo_u32_b32 v167, v37, 0
	v_cmp_ne_u32_e64 s17, 0, v37
	s_delay_alu instid0(VALU_DEP_2) | instskip(NEXT) | instid1(VALU_DEP_2)
	v_cmp_eq_u32_e32 vcc_lo, 0, v167
	s_and_b32 s18, s17, vcc_lo
	s_delay_alu instid0(SALU_CYCLE_1)
	s_and_saveexec_b32 s17, s18
	s_cbranch_execz .LBB2086_744
; %bb.743:                              ;   in Loop: Header=BB2086_696 Depth=2
	s_waitcnt lgkmcnt(0)
	v_bcnt_u32_b32 v37, v37, v166
	ds_store_b32 v168, v37
.LBB2086_744:                           ;   in Loop: Header=BB2086_696 Depth=2
	s_or_b32 exec_lo, exec_lo, s17
	v_cmp_lt_i16_e64 vcc_lo, -1, v165
	; wave barrier
	s_delay_alu instid0(VALU_DEP_1) | instskip(NEXT) | instid1(VALU_DEP_1)
	v_cndmask_b32_e64 v37, -1, 0xffff8000, vcc_lo
	v_xor_b32_e32 v165, v37, v165
	s_delay_alu instid0(VALU_DEP_1) | instskip(SKIP_1) | instid1(VALU_DEP_1)
	v_cmp_ne_u16_e64 vcc_lo, 0x7fff, v165
	v_cndmask_b32_e32 v37, 0xffff8000, v165, vcc_lo
	v_and_b32_e32 v37, 0xffff, v37
	s_delay_alu instid0(VALU_DEP_1) | instskip(NEXT) | instid1(VALU_DEP_1)
	v_lshrrev_b32_e32 v37, s49, v37
	v_and_b32_e32 v37, s55, v37
	s_delay_alu instid0(VALU_DEP_1)
	v_and_b32_e32 v171, 1, v37
	v_lshlrev_b32_e32 v172, 30, v37
	v_lshlrev_b32_e32 v173, 29, v37
	;; [unrolled: 1-line block ×4, first 2 shown]
	v_add_co_u32 v171, s17, v171, -1
	s_delay_alu instid0(VALU_DEP_1)
	v_cndmask_b32_e64 v175, 0, 1, s17
	v_not_b32_e32 v179, v172
	v_cmp_gt_i32_e64 s17, 0, v172
	v_not_b32_e32 v172, v173
	v_lshlrev_b32_e32 v177, 26, v37
	v_cmp_ne_u32_e32 vcc_lo, 0, v175
	v_ashrrev_i32_e32 v179, 31, v179
	v_lshlrev_b32_e32 v178, 25, v37
	v_ashrrev_i32_e32 v172, 31, v172
	v_lshlrev_b32_e32 v175, 24, v37
	v_xor_b32_e32 v171, vcc_lo, v171
	v_cmp_gt_i32_e32 vcc_lo, 0, v173
	v_not_b32_e32 v173, v174
	v_xor_b32_e32 v179, s17, v179
	v_cmp_gt_i32_e64 s17, 0, v174
	v_and_b32_e32 v171, exec_lo, v171
	v_not_b32_e32 v174, v176
	v_ashrrev_i32_e32 v173, 31, v173
	v_xor_b32_e32 v172, vcc_lo, v172
	v_cmp_gt_i32_e32 vcc_lo, 0, v176
	v_and_b32_e32 v171, v171, v179
	v_not_b32_e32 v176, v177
	v_ashrrev_i32_e32 v174, 31, v174
	v_xor_b32_e32 v173, s17, v173
	v_cmp_gt_i32_e64 s17, 0, v177
	v_and_b32_e32 v171, v171, v172
	v_not_b32_e32 v172, v178
	v_ashrrev_i32_e32 v176, 31, v176
	v_xor_b32_e32 v174, vcc_lo, v174
	v_cmp_gt_i32_e32 vcc_lo, 0, v178
	v_and_b32_e32 v171, v171, v173
	v_not_b32_e32 v173, v175
	v_ashrrev_i32_e32 v172, 31, v172
	v_xor_b32_e32 v176, s17, v176
	v_mul_u32_u24_e32 v37, 9, v37
	v_and_b32_e32 v171, v171, v174
	v_cmp_gt_i32_e64 s17, 0, v175
	v_ashrrev_i32_e32 v173, 31, v173
	v_xor_b32_e32 v172, vcc_lo, v172
	v_add_lshl_u32 v174, v37, v126, 2
	v_and_b32_e32 v171, v171, v176
	s_delay_alu instid0(VALU_DEP_4) | instskip(NEXT) | instid1(VALU_DEP_3)
	v_xor_b32_e32 v37, s17, v173
	v_add_nc_u32_e32 v173, 0x420, v174
	s_delay_alu instid0(VALU_DEP_3) | instskip(SKIP_2) | instid1(VALU_DEP_1)
	v_and_b32_e32 v172, v171, v172
	ds_load_b32 v171, v174 offset:1056
	; wave barrier
	v_and_b32_e32 v37, v172, v37
	v_mbcnt_lo_u32_b32 v172, v37, 0
	v_cmp_ne_u32_e64 s17, 0, v37
	s_delay_alu instid0(VALU_DEP_2) | instskip(NEXT) | instid1(VALU_DEP_2)
	v_cmp_eq_u32_e32 vcc_lo, 0, v172
	s_and_b32 s18, s17, vcc_lo
	s_delay_alu instid0(SALU_CYCLE_1)
	s_and_saveexec_b32 s17, s18
	s_cbranch_execz .LBB2086_746
; %bb.745:                              ;   in Loop: Header=BB2086_696 Depth=2
	s_waitcnt lgkmcnt(0)
	v_bcnt_u32_b32 v37, v37, v171
	ds_store_b32 v173, v37
.LBB2086_746:                           ;   in Loop: Header=BB2086_696 Depth=2
	s_or_b32 exec_lo, exec_lo, s17
	v_cmp_lt_i16_e64 vcc_lo, -1, v170
	; wave barrier
	s_delay_alu instid0(VALU_DEP_1) | instskip(NEXT) | instid1(VALU_DEP_1)
	v_cndmask_b32_e64 v37, -1, 0xffff8000, vcc_lo
	v_xor_b32_e32 v170, v37, v170
	s_delay_alu instid0(VALU_DEP_1) | instskip(SKIP_1) | instid1(VALU_DEP_1)
	v_cmp_ne_u16_e64 vcc_lo, 0x7fff, v170
	v_cndmask_b32_e32 v37, 0xffff8000, v170, vcc_lo
	v_and_b32_e32 v37, 0xffff, v37
	s_delay_alu instid0(VALU_DEP_1) | instskip(NEXT) | instid1(VALU_DEP_1)
	v_lshrrev_b32_e32 v37, s49, v37
	v_and_b32_e32 v37, s55, v37
	s_delay_alu instid0(VALU_DEP_1)
	v_and_b32_e32 v174, 1, v37
	v_lshlrev_b32_e32 v175, 30, v37
	v_lshlrev_b32_e32 v176, 29, v37
	;; [unrolled: 1-line block ×4, first 2 shown]
	v_add_co_u32 v174, s17, v174, -1
	s_delay_alu instid0(VALU_DEP_1)
	v_cndmask_b32_e64 v178, 0, 1, s17
	v_not_b32_e32 v182, v175
	v_cmp_gt_i32_e64 s17, 0, v175
	v_not_b32_e32 v175, v176
	v_lshlrev_b32_e32 v180, 26, v37
	v_cmp_ne_u32_e32 vcc_lo, 0, v178
	v_ashrrev_i32_e32 v182, 31, v182
	v_lshlrev_b32_e32 v181, 25, v37
	v_ashrrev_i32_e32 v175, 31, v175
	v_lshlrev_b32_e32 v178, 24, v37
	v_xor_b32_e32 v174, vcc_lo, v174
	v_cmp_gt_i32_e32 vcc_lo, 0, v176
	v_not_b32_e32 v176, v177
	v_xor_b32_e32 v182, s17, v182
	v_cmp_gt_i32_e64 s17, 0, v177
	v_and_b32_e32 v174, exec_lo, v174
	v_not_b32_e32 v177, v179
	v_ashrrev_i32_e32 v176, 31, v176
	v_xor_b32_e32 v175, vcc_lo, v175
	v_cmp_gt_i32_e32 vcc_lo, 0, v179
	v_and_b32_e32 v174, v174, v182
	v_not_b32_e32 v179, v180
	v_ashrrev_i32_e32 v177, 31, v177
	v_xor_b32_e32 v176, s17, v176
	v_cmp_gt_i32_e64 s17, 0, v180
	v_and_b32_e32 v174, v174, v175
	v_not_b32_e32 v175, v181
	v_ashrrev_i32_e32 v179, 31, v179
	v_xor_b32_e32 v177, vcc_lo, v177
	v_cmp_gt_i32_e32 vcc_lo, 0, v181
	v_and_b32_e32 v174, v174, v176
	v_not_b32_e32 v176, v178
	v_ashrrev_i32_e32 v175, 31, v175
	v_xor_b32_e32 v179, s17, v179
	v_mul_u32_u24_e32 v37, 9, v37
	v_and_b32_e32 v174, v174, v177
	v_cmp_gt_i32_e64 s17, 0, v178
	v_ashrrev_i32_e32 v176, 31, v176
	v_xor_b32_e32 v175, vcc_lo, v175
	v_add_lshl_u32 v177, v37, v126, 2
	v_and_b32_e32 v174, v174, v179
	s_delay_alu instid0(VALU_DEP_4) | instskip(NEXT) | instid1(VALU_DEP_3)
	v_xor_b32_e32 v37, s17, v176
	v_add_nc_u32_e32 v176, 0x420, v177
	s_delay_alu instid0(VALU_DEP_3) | instskip(SKIP_2) | instid1(VALU_DEP_1)
	v_and_b32_e32 v175, v174, v175
	ds_load_b32 v174, v177 offset:1056
	; wave barrier
	v_and_b32_e32 v37, v175, v37
	v_mbcnt_lo_u32_b32 v175, v37, 0
	v_cmp_ne_u32_e64 s17, 0, v37
	s_delay_alu instid0(VALU_DEP_2) | instskip(NEXT) | instid1(VALU_DEP_2)
	v_cmp_eq_u32_e32 vcc_lo, 0, v175
	s_and_b32 s18, s17, vcc_lo
	s_delay_alu instid0(SALU_CYCLE_1)
	s_and_saveexec_b32 s17, s18
	s_cbranch_execz .LBB2086_748
; %bb.747:                              ;   in Loop: Header=BB2086_696 Depth=2
	s_waitcnt lgkmcnt(0)
	v_bcnt_u32_b32 v37, v37, v174
	ds_store_b32 v176, v37
.LBB2086_748:                           ;   in Loop: Header=BB2086_696 Depth=2
	s_or_b32 exec_lo, exec_lo, s17
	v_cmp_lt_i16_e64 vcc_lo, -1, v169
	; wave barrier
	s_delay_alu instid0(VALU_DEP_1) | instskip(NEXT) | instid1(VALU_DEP_1)
	v_cndmask_b32_e64 v37, -1, 0xffff8000, vcc_lo
	v_xor_b32_e32 v169, v37, v169
	s_delay_alu instid0(VALU_DEP_1) | instskip(SKIP_1) | instid1(VALU_DEP_1)
	v_cmp_ne_u16_e64 vcc_lo, 0x7fff, v169
	v_cndmask_b32_e32 v37, 0xffff8000, v169, vcc_lo
	v_and_b32_e32 v37, 0xffff, v37
	s_delay_alu instid0(VALU_DEP_1) | instskip(NEXT) | instid1(VALU_DEP_1)
	v_lshrrev_b32_e32 v37, s49, v37
	v_and_b32_e32 v37, s55, v37
	s_delay_alu instid0(VALU_DEP_1)
	v_and_b32_e32 v177, 1, v37
	v_lshlrev_b32_e32 v178, 30, v37
	v_lshlrev_b32_e32 v179, 29, v37
	;; [unrolled: 1-line block ×4, first 2 shown]
	v_add_co_u32 v177, s17, v177, -1
	s_delay_alu instid0(VALU_DEP_1)
	v_cndmask_b32_e64 v181, 0, 1, s17
	v_not_b32_e32 v185, v178
	v_cmp_gt_i32_e64 s17, 0, v178
	v_not_b32_e32 v178, v179
	v_lshlrev_b32_e32 v183, 26, v37
	v_cmp_ne_u32_e32 vcc_lo, 0, v181
	v_ashrrev_i32_e32 v185, 31, v185
	v_lshlrev_b32_e32 v184, 25, v37
	v_ashrrev_i32_e32 v178, 31, v178
	v_lshlrev_b32_e32 v181, 24, v37
	v_xor_b32_e32 v177, vcc_lo, v177
	v_cmp_gt_i32_e32 vcc_lo, 0, v179
	v_not_b32_e32 v179, v180
	v_xor_b32_e32 v185, s17, v185
	v_cmp_gt_i32_e64 s17, 0, v180
	v_and_b32_e32 v177, exec_lo, v177
	v_not_b32_e32 v180, v182
	v_ashrrev_i32_e32 v179, 31, v179
	v_xor_b32_e32 v178, vcc_lo, v178
	v_cmp_gt_i32_e32 vcc_lo, 0, v182
	v_and_b32_e32 v177, v177, v185
	v_not_b32_e32 v182, v183
	v_ashrrev_i32_e32 v180, 31, v180
	v_xor_b32_e32 v179, s17, v179
	v_cmp_gt_i32_e64 s17, 0, v183
	v_and_b32_e32 v177, v177, v178
	v_not_b32_e32 v178, v184
	v_ashrrev_i32_e32 v182, 31, v182
	v_xor_b32_e32 v180, vcc_lo, v180
	v_cmp_gt_i32_e32 vcc_lo, 0, v184
	v_and_b32_e32 v177, v177, v179
	v_not_b32_e32 v179, v181
	v_ashrrev_i32_e32 v178, 31, v178
	v_xor_b32_e32 v182, s17, v182
	v_mul_u32_u24_e32 v37, 9, v37
	v_and_b32_e32 v177, v177, v180
	v_cmp_gt_i32_e64 s17, 0, v181
	v_ashrrev_i32_e32 v179, 31, v179
	v_xor_b32_e32 v178, vcc_lo, v178
	v_add_lshl_u32 v180, v37, v126, 2
	v_and_b32_e32 v177, v177, v182
	s_delay_alu instid0(VALU_DEP_4) | instskip(NEXT) | instid1(VALU_DEP_2)
	v_xor_b32_e32 v37, s17, v179
	v_and_b32_e32 v177, v177, v178
	ds_load_b32 v178, v180 offset:1056
	v_add_nc_u32_e32 v180, 0x420, v180
	; wave barrier
	v_and_b32_e32 v37, v177, v37
	s_delay_alu instid0(VALU_DEP_1) | instskip(SKIP_1) | instid1(VALU_DEP_2)
	v_mbcnt_lo_u32_b32 v179, v37, 0
	v_cmp_ne_u32_e64 s17, 0, v37
	v_cmp_eq_u32_e32 vcc_lo, 0, v179
	s_delay_alu instid0(VALU_DEP_2) | instskip(NEXT) | instid1(SALU_CYCLE_1)
	s_and_b32 s18, s17, vcc_lo
	s_and_saveexec_b32 s17, s18
	s_cbranch_execz .LBB2086_750
; %bb.749:                              ;   in Loop: Header=BB2086_696 Depth=2
	s_waitcnt lgkmcnt(0)
	v_bcnt_u32_b32 v37, v37, v178
	ds_store_b32 v180, v37
.LBB2086_750:                           ;   in Loop: Header=BB2086_696 Depth=2
	s_or_b32 exec_lo, exec_lo, s17
	v_cmp_lt_i16_e32 vcc_lo, -1, v43
	; wave barrier
	v_cndmask_b32_e64 v37, -1, 0xffff8000, vcc_lo
	s_delay_alu instid0(VALU_DEP_1) | instskip(NEXT) | instid1(VALU_DEP_1)
	v_xor_b32_e32 v177, v37, v43
	v_cmp_ne_u16_e64 vcc_lo, 0x7fff, v177
	v_cndmask_b32_e32 v37, 0xffff8000, v177, vcc_lo
	s_delay_alu instid0(VALU_DEP_1) | instskip(NEXT) | instid1(VALU_DEP_1)
	v_and_b32_e32 v37, 0xffff, v37
	v_lshrrev_b32_e32 v37, s49, v37
	s_delay_alu instid0(VALU_DEP_1) | instskip(NEXT) | instid1(VALU_DEP_1)
	v_and_b32_e32 v37, s55, v37
	v_and_b32_e32 v43, 1, v37
	v_lshlrev_b32_e32 v181, 30, v37
	v_lshlrev_b32_e32 v182, 29, v37
	;; [unrolled: 1-line block ×4, first 2 shown]
	v_add_co_u32 v43, s17, v43, -1
	s_delay_alu instid0(VALU_DEP_1)
	v_cndmask_b32_e64 v184, 0, 1, s17
	v_not_b32_e32 v188, v181
	v_cmp_gt_i32_e64 s17, 0, v181
	v_not_b32_e32 v181, v182
	v_lshlrev_b32_e32 v186, 26, v37
	v_cmp_ne_u32_e32 vcc_lo, 0, v184
	v_ashrrev_i32_e32 v188, 31, v188
	v_lshlrev_b32_e32 v187, 25, v37
	v_ashrrev_i32_e32 v181, 31, v181
	v_lshlrev_b32_e32 v184, 24, v37
	v_xor_b32_e32 v43, vcc_lo, v43
	v_cmp_gt_i32_e32 vcc_lo, 0, v182
	v_not_b32_e32 v182, v183
	v_xor_b32_e32 v188, s17, v188
	v_cmp_gt_i32_e64 s17, 0, v183
	v_and_b32_e32 v43, exec_lo, v43
	v_not_b32_e32 v183, v185
	v_ashrrev_i32_e32 v182, 31, v182
	v_xor_b32_e32 v181, vcc_lo, v181
	v_cmp_gt_i32_e32 vcc_lo, 0, v185
	v_and_b32_e32 v43, v43, v188
	v_not_b32_e32 v185, v186
	v_ashrrev_i32_e32 v183, 31, v183
	v_xor_b32_e32 v182, s17, v182
	v_cmp_gt_i32_e64 s17, 0, v186
	v_and_b32_e32 v43, v43, v181
	v_not_b32_e32 v181, v187
	v_ashrrev_i32_e32 v185, 31, v185
	v_xor_b32_e32 v183, vcc_lo, v183
	v_cmp_gt_i32_e32 vcc_lo, 0, v187
	v_and_b32_e32 v43, v43, v182
	v_not_b32_e32 v182, v184
	v_ashrrev_i32_e32 v181, 31, v181
	v_xor_b32_e32 v185, s17, v185
	v_mul_u32_u24_e32 v37, 9, v37
	v_and_b32_e32 v43, v43, v183
	v_cmp_gt_i32_e64 s17, 0, v184
	v_ashrrev_i32_e32 v182, 31, v182
	v_xor_b32_e32 v181, vcc_lo, v181
	v_add_lshl_u32 v184, v37, v126, 2
	v_and_b32_e32 v43, v43, v185
	s_delay_alu instid0(VALU_DEP_4) | instskip(SKIP_3) | instid1(VALU_DEP_2)
	v_xor_b32_e32 v37, s17, v182
	ds_load_b32 v182, v184 offset:1056
	v_and_b32_e32 v43, v43, v181
	v_add_nc_u32_e32 v184, 0x420, v184
	; wave barrier
	v_and_b32_e32 v37, v43, v37
	s_delay_alu instid0(VALU_DEP_1) | instskip(SKIP_1) | instid1(VALU_DEP_2)
	v_mbcnt_lo_u32_b32 v183, v37, 0
	v_cmp_ne_u32_e64 s17, 0, v37
	v_cmp_eq_u32_e32 vcc_lo, 0, v183
	s_delay_alu instid0(VALU_DEP_2) | instskip(NEXT) | instid1(SALU_CYCLE_1)
	s_and_b32 s18, s17, vcc_lo
	s_and_saveexec_b32 s17, s18
	s_cbranch_execz .LBB2086_752
; %bb.751:                              ;   in Loop: Header=BB2086_696 Depth=2
	s_waitcnt lgkmcnt(0)
	v_bcnt_u32_b32 v37, v37, v182
	ds_store_b32 v184, v37
.LBB2086_752:                           ;   in Loop: Header=BB2086_696 Depth=2
	s_or_b32 exec_lo, exec_lo, s17
	v_cmp_lt_i16_e32 vcc_lo, -1, v42
	; wave barrier
	v_cndmask_b32_e64 v37, -1, 0xffff8000, vcc_lo
	s_delay_alu instid0(VALU_DEP_1) | instskip(NEXT) | instid1(VALU_DEP_1)
	v_xor_b32_e32 v181, v37, v42
	v_cmp_ne_u16_e64 vcc_lo, 0x7fff, v181
	v_cndmask_b32_e32 v37, 0xffff8000, v181, vcc_lo
	s_delay_alu instid0(VALU_DEP_1) | instskip(NEXT) | instid1(VALU_DEP_1)
	v_and_b32_e32 v37, 0xffff, v37
	v_lshrrev_b32_e32 v37, s49, v37
	s_delay_alu instid0(VALU_DEP_1) | instskip(NEXT) | instid1(VALU_DEP_1)
	v_and_b32_e32 v37, s55, v37
	v_and_b32_e32 v42, 1, v37
	v_lshlrev_b32_e32 v43, 30, v37
	v_lshlrev_b32_e32 v185, 29, v37
	v_lshlrev_b32_e32 v186, 28, v37
	v_lshlrev_b32_e32 v188, 27, v37
	v_add_co_u32 v42, s17, v42, -1
	s_delay_alu instid0(VALU_DEP_1)
	v_cndmask_b32_e64 v187, 0, 1, s17
	v_not_b32_e32 v191, v43
	v_cmp_gt_i32_e64 s17, 0, v43
	v_not_b32_e32 v43, v185
	v_lshlrev_b32_e32 v189, 26, v37
	v_cmp_ne_u32_e32 vcc_lo, 0, v187
	v_ashrrev_i32_e32 v191, 31, v191
	v_lshlrev_b32_e32 v190, 25, v37
	v_ashrrev_i32_e32 v43, 31, v43
	v_lshlrev_b32_e32 v187, 24, v37
	v_xor_b32_e32 v42, vcc_lo, v42
	v_cmp_gt_i32_e32 vcc_lo, 0, v185
	v_not_b32_e32 v185, v186
	v_xor_b32_e32 v191, s17, v191
	v_cmp_gt_i32_e64 s17, 0, v186
	v_and_b32_e32 v42, exec_lo, v42
	v_not_b32_e32 v186, v188
	v_ashrrev_i32_e32 v185, 31, v185
	v_xor_b32_e32 v43, vcc_lo, v43
	v_cmp_gt_i32_e32 vcc_lo, 0, v188
	v_and_b32_e32 v42, v42, v191
	v_not_b32_e32 v188, v189
	v_ashrrev_i32_e32 v186, 31, v186
	v_xor_b32_e32 v185, s17, v185
	v_cmp_gt_i32_e64 s17, 0, v189
	v_and_b32_e32 v42, v42, v43
	v_not_b32_e32 v43, v190
	v_ashrrev_i32_e32 v188, 31, v188
	v_xor_b32_e32 v186, vcc_lo, v186
	v_cmp_gt_i32_e32 vcc_lo, 0, v190
	v_and_b32_e32 v42, v42, v185
	v_not_b32_e32 v185, v187
	v_ashrrev_i32_e32 v43, 31, v43
	v_xor_b32_e32 v188, s17, v188
	v_mul_u32_u24_e32 v37, 9, v37
	v_and_b32_e32 v42, v42, v186
	v_cmp_gt_i32_e64 s17, 0, v187
	v_ashrrev_i32_e32 v185, 31, v185
	v_xor_b32_e32 v43, vcc_lo, v43
	s_delay_alu instid0(VALU_DEP_4) | instskip(SKIP_1) | instid1(VALU_DEP_4)
	v_and_b32_e32 v42, v42, v188
	v_add_lshl_u32 v188, v37, v126, 2
	v_xor_b32_e32 v37, s17, v185
	s_delay_alu instid0(VALU_DEP_3) | instskip(SKIP_3) | instid1(VALU_DEP_1)
	v_and_b32_e32 v42, v42, v43
	ds_load_b32 v186, v188 offset:1056
	v_add_nc_u32_e32 v188, 0x420, v188
	; wave barrier
	v_and_b32_e32 v37, v42, v37
	v_mbcnt_lo_u32_b32 v187, v37, 0
	v_cmp_ne_u32_e64 s17, 0, v37
	s_delay_alu instid0(VALU_DEP_2) | instskip(NEXT) | instid1(VALU_DEP_2)
	v_cmp_eq_u32_e32 vcc_lo, 0, v187
	s_and_b32 s18, s17, vcc_lo
	s_delay_alu instid0(SALU_CYCLE_1)
	s_and_saveexec_b32 s17, s18
	s_cbranch_execz .LBB2086_754
; %bb.753:                              ;   in Loop: Header=BB2086_696 Depth=2
	s_waitcnt lgkmcnt(0)
	v_bcnt_u32_b32 v37, v37, v186
	ds_store_b32 v188, v37
.LBB2086_754:                           ;   in Loop: Header=BB2086_696 Depth=2
	s_or_b32 exec_lo, exec_lo, s17
	v_cmp_lt_i16_e32 vcc_lo, -1, v41
	; wave barrier
	v_cndmask_b32_e64 v37, -1, 0xffff8000, vcc_lo
	s_delay_alu instid0(VALU_DEP_1) | instskip(NEXT) | instid1(VALU_DEP_1)
	v_xor_b32_e32 v185, v37, v41
	v_cmp_ne_u16_e64 vcc_lo, 0x7fff, v185
	v_cndmask_b32_e32 v37, 0xffff8000, v185, vcc_lo
	s_delay_alu instid0(VALU_DEP_1) | instskip(NEXT) | instid1(VALU_DEP_1)
	v_and_b32_e32 v37, 0xffff, v37
	v_lshrrev_b32_e32 v37, s49, v37
	s_delay_alu instid0(VALU_DEP_1) | instskip(NEXT) | instid1(VALU_DEP_1)
	v_and_b32_e32 v37, s55, v37
	v_and_b32_e32 v41, 1, v37
	v_lshlrev_b32_e32 v42, 30, v37
	v_lshlrev_b32_e32 v43, 29, v37
	;; [unrolled: 1-line block ×4, first 2 shown]
	v_add_co_u32 v41, s17, v41, -1
	s_delay_alu instid0(VALU_DEP_1)
	v_cndmask_b32_e64 v190, 0, 1, s17
	v_not_b32_e32 v194, v42
	v_cmp_gt_i32_e64 s17, 0, v42
	v_not_b32_e32 v42, v43
	v_lshlrev_b32_e32 v192, 26, v37
	v_cmp_ne_u32_e32 vcc_lo, 0, v190
	v_ashrrev_i32_e32 v194, 31, v194
	v_lshlrev_b32_e32 v193, 25, v37
	v_ashrrev_i32_e32 v42, 31, v42
	v_lshlrev_b32_e32 v190, 24, v37
	v_xor_b32_e32 v41, vcc_lo, v41
	v_cmp_gt_i32_e32 vcc_lo, 0, v43
	v_not_b32_e32 v43, v189
	v_xor_b32_e32 v194, s17, v194
	v_cmp_gt_i32_e64 s17, 0, v189
	v_and_b32_e32 v41, exec_lo, v41
	v_not_b32_e32 v189, v191
	v_ashrrev_i32_e32 v43, 31, v43
	v_xor_b32_e32 v42, vcc_lo, v42
	v_cmp_gt_i32_e32 vcc_lo, 0, v191
	v_and_b32_e32 v41, v41, v194
	v_not_b32_e32 v191, v192
	v_ashrrev_i32_e32 v189, 31, v189
	v_xor_b32_e32 v43, s17, v43
	v_cmp_gt_i32_e64 s17, 0, v192
	v_and_b32_e32 v41, v41, v42
	v_not_b32_e32 v42, v193
	v_ashrrev_i32_e32 v191, 31, v191
	v_xor_b32_e32 v189, vcc_lo, v189
	v_cmp_gt_i32_e32 vcc_lo, 0, v193
	v_and_b32_e32 v41, v41, v43
	v_not_b32_e32 v43, v190
	v_ashrrev_i32_e32 v42, 31, v42
	v_xor_b32_e32 v191, s17, v191
	v_mul_u32_u24_e32 v37, 9, v37
	v_and_b32_e32 v41, v41, v189
	v_cmp_gt_i32_e64 s17, 0, v190
	v_ashrrev_i32_e32 v43, 31, v43
	v_xor_b32_e32 v42, vcc_lo, v42
	v_add_lshl_u32 v189, v37, v126, 2
	v_and_b32_e32 v41, v41, v191
	s_delay_alu instid0(VALU_DEP_4) | instskip(SKIP_3) | instid1(VALU_DEP_2)
	v_xor_b32_e32 v37, s17, v43
	ds_load_b32 v190, v189 offset:1056
	v_and_b32_e32 v41, v41, v42
	v_add_nc_u32_e32 v192, 0x420, v189
	; wave barrier
	v_and_b32_e32 v37, v41, v37
	s_delay_alu instid0(VALU_DEP_1) | instskip(SKIP_1) | instid1(VALU_DEP_2)
	v_mbcnt_lo_u32_b32 v191, v37, 0
	v_cmp_ne_u32_e64 s17, 0, v37
	v_cmp_eq_u32_e32 vcc_lo, 0, v191
	s_delay_alu instid0(VALU_DEP_2) | instskip(NEXT) | instid1(SALU_CYCLE_1)
	s_and_b32 s18, s17, vcc_lo
	s_and_saveexec_b32 s17, s18
	s_cbranch_execz .LBB2086_756
; %bb.755:                              ;   in Loop: Header=BB2086_696 Depth=2
	s_waitcnt lgkmcnt(0)
	v_bcnt_u32_b32 v37, v37, v190
	ds_store_b32 v192, v37
.LBB2086_756:                           ;   in Loop: Header=BB2086_696 Depth=2
	s_or_b32 exec_lo, exec_lo, s17
	v_cmp_lt_i16_e32 vcc_lo, -1, v40
	; wave barrier
	v_cndmask_b32_e64 v37, -1, 0xffff8000, vcc_lo
	s_delay_alu instid0(VALU_DEP_1) | instskip(NEXT) | instid1(VALU_DEP_1)
	v_xor_b32_e32 v189, v37, v40
	v_cmp_ne_u16_e64 vcc_lo, 0x7fff, v189
	v_cndmask_b32_e32 v37, 0xffff8000, v189, vcc_lo
	s_delay_alu instid0(VALU_DEP_1) | instskip(NEXT) | instid1(VALU_DEP_1)
	v_and_b32_e32 v37, 0xffff, v37
	v_lshrrev_b32_e32 v37, s49, v37
	s_delay_alu instid0(VALU_DEP_1) | instskip(NEXT) | instid1(VALU_DEP_1)
	v_and_b32_e32 v37, s55, v37
	v_and_b32_e32 v40, 1, v37
	v_lshlrev_b32_e32 v41, 30, v37
	v_lshlrev_b32_e32 v42, 29, v37
	;; [unrolled: 1-line block ×4, first 2 shown]
	v_add_co_u32 v40, s17, v40, -1
	s_delay_alu instid0(VALU_DEP_1)
	v_cndmask_b32_e64 v193, 0, 1, s17
	v_not_b32_e32 v197, v41
	v_cmp_gt_i32_e64 s17, 0, v41
	v_not_b32_e32 v41, v42
	v_lshlrev_b32_e32 v195, 26, v37
	v_cmp_ne_u32_e32 vcc_lo, 0, v193
	v_ashrrev_i32_e32 v197, 31, v197
	v_lshlrev_b32_e32 v196, 25, v37
	v_ashrrev_i32_e32 v41, 31, v41
	v_lshlrev_b32_e32 v193, 24, v37
	v_xor_b32_e32 v40, vcc_lo, v40
	v_cmp_gt_i32_e32 vcc_lo, 0, v42
	v_not_b32_e32 v42, v43
	v_xor_b32_e32 v197, s17, v197
	v_cmp_gt_i32_e64 s17, 0, v43
	v_and_b32_e32 v40, exec_lo, v40
	v_not_b32_e32 v43, v194
	v_ashrrev_i32_e32 v42, 31, v42
	v_xor_b32_e32 v41, vcc_lo, v41
	v_cmp_gt_i32_e32 vcc_lo, 0, v194
	v_and_b32_e32 v40, v40, v197
	v_not_b32_e32 v194, v195
	v_ashrrev_i32_e32 v43, 31, v43
	v_xor_b32_e32 v42, s17, v42
	v_cmp_gt_i32_e64 s17, 0, v195
	v_and_b32_e32 v40, v40, v41
	v_not_b32_e32 v41, v196
	v_ashrrev_i32_e32 v194, 31, v194
	v_xor_b32_e32 v43, vcc_lo, v43
	v_cmp_gt_i32_e32 vcc_lo, 0, v196
	v_and_b32_e32 v40, v40, v42
	v_not_b32_e32 v42, v193
	v_ashrrev_i32_e32 v41, 31, v41
	v_xor_b32_e32 v194, s17, v194
	v_mul_u32_u24_e32 v37, 9, v37
	v_and_b32_e32 v40, v40, v43
	v_cmp_gt_i32_e64 s17, 0, v193
	v_ashrrev_i32_e32 v42, 31, v42
	v_xor_b32_e32 v41, vcc_lo, v41
	v_add_lshl_u32 v43, v37, v126, 2
	v_and_b32_e32 v40, v40, v194
	s_delay_alu instid0(VALU_DEP_4) | instskip(SKIP_3) | instid1(VALU_DEP_2)
	v_xor_b32_e32 v37, s17, v42
	ds_load_b32 v194, v43 offset:1056
	v_and_b32_e32 v40, v40, v41
	v_add_nc_u32_e32 v196, 0x420, v43
	; wave barrier
	v_and_b32_e32 v37, v40, v37
	s_delay_alu instid0(VALU_DEP_1) | instskip(SKIP_1) | instid1(VALU_DEP_2)
	v_mbcnt_lo_u32_b32 v195, v37, 0
	v_cmp_ne_u32_e64 s17, 0, v37
	v_cmp_eq_u32_e32 vcc_lo, 0, v195
	s_delay_alu instid0(VALU_DEP_2) | instskip(NEXT) | instid1(SALU_CYCLE_1)
	s_and_b32 s18, s17, vcc_lo
	s_and_saveexec_b32 s17, s18
	s_cbranch_execz .LBB2086_758
; %bb.757:                              ;   in Loop: Header=BB2086_696 Depth=2
	s_waitcnt lgkmcnt(0)
	v_bcnt_u32_b32 v37, v37, v194
	ds_store_b32 v196, v37
.LBB2086_758:                           ;   in Loop: Header=BB2086_696 Depth=2
	s_or_b32 exec_lo, exec_lo, s17
	v_cmp_lt_i16_e32 vcc_lo, -1, v39
	; wave barrier
	v_cndmask_b32_e64 v37, -1, 0xffff8000, vcc_lo
	s_delay_alu instid0(VALU_DEP_1) | instskip(NEXT) | instid1(VALU_DEP_1)
	v_xor_b32_e32 v193, v37, v39
	v_cmp_ne_u16_e64 vcc_lo, 0x7fff, v193
	v_cndmask_b32_e32 v37, 0xffff8000, v193, vcc_lo
	s_delay_alu instid0(VALU_DEP_1) | instskip(NEXT) | instid1(VALU_DEP_1)
	v_and_b32_e32 v37, 0xffff, v37
	v_lshrrev_b32_e32 v37, s49, v37
	s_delay_alu instid0(VALU_DEP_1) | instskip(NEXT) | instid1(VALU_DEP_1)
	v_and_b32_e32 v37, s55, v37
	v_and_b32_e32 v39, 1, v37
	v_lshlrev_b32_e32 v40, 30, v37
	v_lshlrev_b32_e32 v41, 29, v37
	;; [unrolled: 1-line block ×4, first 2 shown]
	v_add_co_u32 v39, s17, v39, -1
	s_delay_alu instid0(VALU_DEP_1)
	v_cndmask_b32_e64 v43, 0, 1, s17
	v_not_b32_e32 v200, v40
	v_cmp_gt_i32_e64 s17, 0, v40
	v_not_b32_e32 v40, v41
	v_lshlrev_b32_e32 v198, 26, v37
	v_cmp_ne_u32_e32 vcc_lo, 0, v43
	v_ashrrev_i32_e32 v200, 31, v200
	v_lshlrev_b32_e32 v199, 25, v37
	v_ashrrev_i32_e32 v40, 31, v40
	v_lshlrev_b32_e32 v43, 24, v37
	v_xor_b32_e32 v39, vcc_lo, v39
	v_cmp_gt_i32_e32 vcc_lo, 0, v41
	v_not_b32_e32 v41, v42
	v_xor_b32_e32 v200, s17, v200
	v_cmp_gt_i32_e64 s17, 0, v42
	v_and_b32_e32 v39, exec_lo, v39
	v_not_b32_e32 v42, v197
	v_ashrrev_i32_e32 v41, 31, v41
	v_xor_b32_e32 v40, vcc_lo, v40
	v_cmp_gt_i32_e32 vcc_lo, 0, v197
	v_and_b32_e32 v39, v39, v200
	v_not_b32_e32 v197, v198
	v_ashrrev_i32_e32 v42, 31, v42
	v_xor_b32_e32 v41, s17, v41
	v_cmp_gt_i32_e64 s17, 0, v198
	v_and_b32_e32 v39, v39, v40
	v_not_b32_e32 v40, v199
	v_ashrrev_i32_e32 v197, 31, v197
	v_xor_b32_e32 v42, vcc_lo, v42
	v_cmp_gt_i32_e32 vcc_lo, 0, v199
	v_and_b32_e32 v39, v39, v41
	v_not_b32_e32 v41, v43
	v_ashrrev_i32_e32 v40, 31, v40
	v_xor_b32_e32 v197, s17, v197
	v_mul_u32_u24_e32 v37, 9, v37
	v_and_b32_e32 v39, v39, v42
	v_cmp_gt_i32_e64 s17, 0, v43
	v_ashrrev_i32_e32 v41, 31, v41
	v_xor_b32_e32 v40, vcc_lo, v40
	v_add_lshl_u32 v42, v37, v126, 2
	v_and_b32_e32 v39, v39, v197
	s_delay_alu instid0(VALU_DEP_4) | instskip(SKIP_3) | instid1(VALU_DEP_2)
	v_xor_b32_e32 v37, s17, v41
	ds_load_b32 v198, v42 offset:1056
	v_and_b32_e32 v39, v39, v40
	v_add_nc_u32_e32 v200, 0x420, v42
	; wave barrier
	v_and_b32_e32 v37, v39, v37
	s_delay_alu instid0(VALU_DEP_1) | instskip(SKIP_1) | instid1(VALU_DEP_2)
	v_mbcnt_lo_u32_b32 v199, v37, 0
	v_cmp_ne_u32_e64 s17, 0, v37
	v_cmp_eq_u32_e32 vcc_lo, 0, v199
	s_delay_alu instid0(VALU_DEP_2) | instskip(NEXT) | instid1(SALU_CYCLE_1)
	s_and_b32 s18, s17, vcc_lo
	s_and_saveexec_b32 s17, s18
	s_cbranch_execz .LBB2086_760
; %bb.759:                              ;   in Loop: Header=BB2086_696 Depth=2
	s_waitcnt lgkmcnt(0)
	v_bcnt_u32_b32 v37, v37, v198
	ds_store_b32 v200, v37
.LBB2086_760:                           ;   in Loop: Header=BB2086_696 Depth=2
	s_or_b32 exec_lo, exec_lo, s17
	v_cmp_lt_i16_e32 vcc_lo, -1, v38
	; wave barrier
	v_cndmask_b32_e64 v37, -1, 0xffff8000, vcc_lo
	s_delay_alu instid0(VALU_DEP_1) | instskip(NEXT) | instid1(VALU_DEP_1)
	v_xor_b32_e32 v197, v37, v38
	v_cmp_ne_u16_e64 vcc_lo, 0x7fff, v197
	v_cndmask_b32_e32 v37, 0xffff8000, v197, vcc_lo
	s_delay_alu instid0(VALU_DEP_1) | instskip(NEXT) | instid1(VALU_DEP_1)
	v_and_b32_e32 v37, 0xffff, v37
	v_lshrrev_b32_e32 v37, s49, v37
	s_delay_alu instid0(VALU_DEP_1) | instskip(NEXT) | instid1(VALU_DEP_1)
	v_and_b32_e32 v37, s55, v37
	v_and_b32_e32 v38, 1, v37
	v_lshlrev_b32_e32 v39, 30, v37
	v_lshlrev_b32_e32 v40, 29, v37
	;; [unrolled: 1-line block ×4, first 2 shown]
	v_add_co_u32 v38, s17, v38, -1
	s_delay_alu instid0(VALU_DEP_1)
	v_cndmask_b32_e64 v42, 0, 1, s17
	v_not_b32_e32 v203, v39
	v_cmp_gt_i32_e64 s17, 0, v39
	v_not_b32_e32 v39, v40
	v_lshlrev_b32_e32 v201, 26, v37
	v_cmp_ne_u32_e32 vcc_lo, 0, v42
	v_ashrrev_i32_e32 v203, 31, v203
	v_lshlrev_b32_e32 v202, 25, v37
	v_ashrrev_i32_e32 v39, 31, v39
	v_lshlrev_b32_e32 v42, 24, v37
	v_xor_b32_e32 v38, vcc_lo, v38
	v_cmp_gt_i32_e32 vcc_lo, 0, v40
	v_not_b32_e32 v40, v41
	v_xor_b32_e32 v203, s17, v203
	v_cmp_gt_i32_e64 s17, 0, v41
	v_and_b32_e32 v38, exec_lo, v38
	v_not_b32_e32 v41, v43
	v_ashrrev_i32_e32 v40, 31, v40
	v_xor_b32_e32 v39, vcc_lo, v39
	v_cmp_gt_i32_e32 vcc_lo, 0, v43
	v_and_b32_e32 v38, v38, v203
	v_not_b32_e32 v43, v201
	v_ashrrev_i32_e32 v41, 31, v41
	v_xor_b32_e32 v40, s17, v40
	v_cmp_gt_i32_e64 s17, 0, v201
	v_and_b32_e32 v38, v38, v39
	v_not_b32_e32 v39, v202
	v_ashrrev_i32_e32 v43, 31, v43
	v_xor_b32_e32 v41, vcc_lo, v41
	v_cmp_gt_i32_e32 vcc_lo, 0, v202
	v_and_b32_e32 v38, v38, v40
	v_not_b32_e32 v40, v42
	v_ashrrev_i32_e32 v39, 31, v39
	v_xor_b32_e32 v43, s17, v43
	v_mul_u32_u24_e32 v37, 9, v37
	v_and_b32_e32 v38, v38, v41
	v_cmp_gt_i32_e64 s17, 0, v42
	v_ashrrev_i32_e32 v40, 31, v40
	v_xor_b32_e32 v39, vcc_lo, v39
	v_add_lshl_u32 v41, v37, v126, 2
	v_and_b32_e32 v38, v38, v43
	s_delay_alu instid0(VALU_DEP_4) | instskip(SKIP_3) | instid1(VALU_DEP_2)
	v_xor_b32_e32 v37, s17, v40
	ds_load_b32 v202, v41 offset:1056
	v_and_b32_e32 v38, v38, v39
	v_add_nc_u32_e32 v204, 0x420, v41
	; wave barrier
	v_and_b32_e32 v37, v38, v37
	s_delay_alu instid0(VALU_DEP_1) | instskip(SKIP_1) | instid1(VALU_DEP_2)
	v_mbcnt_lo_u32_b32 v203, v37, 0
	v_cmp_ne_u32_e64 s17, 0, v37
	v_cmp_eq_u32_e32 vcc_lo, 0, v203
	s_delay_alu instid0(VALU_DEP_2) | instskip(NEXT) | instid1(SALU_CYCLE_1)
	s_and_b32 s18, s17, vcc_lo
	s_and_saveexec_b32 s17, s18
	s_cbranch_execz .LBB2086_762
; %bb.761:                              ;   in Loop: Header=BB2086_696 Depth=2
	s_waitcnt lgkmcnt(0)
	v_bcnt_u32_b32 v37, v37, v202
	ds_store_b32 v204, v37
.LBB2086_762:                           ;   in Loop: Header=BB2086_696 Depth=2
	s_or_b32 exec_lo, exec_lo, s17
	v_cmp_lt_i16_e32 vcc_lo, -1, v36
	; wave barrier
	v_cndmask_b32_e64 v37, -1, 0xffff8000, vcc_lo
	s_delay_alu instid0(VALU_DEP_1) | instskip(NEXT) | instid1(VALU_DEP_1)
	v_xor_b32_e32 v201, v37, v36
	v_cmp_ne_u16_e64 vcc_lo, 0x7fff, v201
	v_cndmask_b32_e32 v36, 0xffff8000, v201, vcc_lo
	s_delay_alu instid0(VALU_DEP_1) | instskip(NEXT) | instid1(VALU_DEP_1)
	v_and_b32_e32 v36, 0xffff, v36
	v_lshrrev_b32_e32 v36, s49, v36
	s_delay_alu instid0(VALU_DEP_1) | instskip(NEXT) | instid1(VALU_DEP_1)
	v_and_b32_e32 v36, s55, v36
	v_and_b32_e32 v37, 1, v36
	v_lshlrev_b32_e32 v38, 30, v36
	v_lshlrev_b32_e32 v39, 29, v36
	v_lshlrev_b32_e32 v40, 28, v36
	v_lshlrev_b32_e32 v42, 27, v36
	v_add_co_u32 v37, s17, v37, -1
	s_delay_alu instid0(VALU_DEP_1)
	v_cndmask_b32_e64 v41, 0, 1, s17
	v_not_b32_e32 v206, v38
	v_cmp_gt_i32_e64 s17, 0, v38
	v_not_b32_e32 v38, v39
	v_lshlrev_b32_e32 v43, 26, v36
	v_cmp_ne_u32_e32 vcc_lo, 0, v41
	v_ashrrev_i32_e32 v206, 31, v206
	v_lshlrev_b32_e32 v205, 25, v36
	v_ashrrev_i32_e32 v38, 31, v38
	v_lshlrev_b32_e32 v41, 24, v36
	v_xor_b32_e32 v37, vcc_lo, v37
	v_cmp_gt_i32_e32 vcc_lo, 0, v39
	v_not_b32_e32 v39, v40
	v_xor_b32_e32 v206, s17, v206
	v_cmp_gt_i32_e64 s17, 0, v40
	v_and_b32_e32 v37, exec_lo, v37
	v_not_b32_e32 v40, v42
	v_ashrrev_i32_e32 v39, 31, v39
	v_xor_b32_e32 v38, vcc_lo, v38
	v_cmp_gt_i32_e32 vcc_lo, 0, v42
	v_and_b32_e32 v37, v37, v206
	v_not_b32_e32 v42, v43
	v_ashrrev_i32_e32 v40, 31, v40
	v_xor_b32_e32 v39, s17, v39
	v_cmp_gt_i32_e64 s17, 0, v43
	v_and_b32_e32 v37, v37, v38
	v_not_b32_e32 v38, v205
	v_ashrrev_i32_e32 v42, 31, v42
	v_xor_b32_e32 v40, vcc_lo, v40
	v_cmp_gt_i32_e32 vcc_lo, 0, v205
	v_and_b32_e32 v37, v37, v39
	v_not_b32_e32 v39, v41
	v_ashrrev_i32_e32 v38, 31, v38
	v_xor_b32_e32 v42, s17, v42
	v_mul_u32_u24_e32 v36, 9, v36
	v_and_b32_e32 v37, v37, v40
	v_cmp_gt_i32_e64 s17, 0, v41
	v_ashrrev_i32_e32 v39, 31, v39
	v_xor_b32_e32 v38, vcc_lo, v38
	v_add_lshl_u32 v40, v36, v126, 2
	v_and_b32_e32 v37, v37, v42
	s_delay_alu instid0(VALU_DEP_4) | instskip(SKIP_3) | instid1(VALU_DEP_2)
	v_xor_b32_e32 v36, s17, v39
	ds_load_b32 v205, v40 offset:1056
	v_and_b32_e32 v37, v37, v38
	v_add_nc_u32_e32 v207, 0x420, v40
	; wave barrier
	v_and_b32_e32 v36, v37, v36
	s_delay_alu instid0(VALU_DEP_1) | instskip(SKIP_1) | instid1(VALU_DEP_2)
	v_mbcnt_lo_u32_b32 v206, v36, 0
	v_cmp_ne_u32_e64 s17, 0, v36
	v_cmp_eq_u32_e32 vcc_lo, 0, v206
	s_delay_alu instid0(VALU_DEP_2) | instskip(NEXT) | instid1(SALU_CYCLE_1)
	s_and_b32 s18, s17, vcc_lo
	s_and_saveexec_b32 s17, s18
	s_cbranch_execz .LBB2086_764
; %bb.763:                              ;   in Loop: Header=BB2086_696 Depth=2
	s_waitcnt lgkmcnt(0)
	v_bcnt_u32_b32 v36, v36, v205
	ds_store_b32 v207, v36
.LBB2086_764:                           ;   in Loop: Header=BB2086_696 Depth=2
	s_or_b32 exec_lo, exec_lo, s17
	; wave barrier
	s_waitcnt lgkmcnt(0)
	s_barrier
	buffer_gl0_inv
	ds_load_b32 v208, v69 offset:1056
	ds_load_2addr_b32 v[42:43], v71 offset0:1 offset1:2
	ds_load_2addr_b32 v[40:41], v71 offset0:3 offset1:4
	;; [unrolled: 1-line block ×4, first 2 shown]
	s_waitcnt lgkmcnt(3)
	v_add3_u32 v209, v42, v208, v43
	s_waitcnt lgkmcnt(2)
	s_delay_alu instid0(VALU_DEP_1) | instskip(SKIP_1) | instid1(VALU_DEP_1)
	v_add3_u32 v209, v209, v40, v41
	s_waitcnt lgkmcnt(1)
	v_add3_u32 v209, v209, v36, v37
	s_waitcnt lgkmcnt(0)
	s_delay_alu instid0(VALU_DEP_1) | instskip(NEXT) | instid1(VALU_DEP_1)
	v_add3_u32 v39, v209, v38, v39
	v_mov_b32_dpp v209, v39 row_shr:1 row_mask:0xf bank_mask:0xf
	s_delay_alu instid0(VALU_DEP_1) | instskip(NEXT) | instid1(VALU_DEP_1)
	v_cndmask_b32_e64 v209, v209, 0, s0
	v_add_nc_u32_e32 v39, v209, v39
	s_delay_alu instid0(VALU_DEP_1) | instskip(NEXT) | instid1(VALU_DEP_1)
	v_mov_b32_dpp v209, v39 row_shr:2 row_mask:0xf bank_mask:0xf
	v_cndmask_b32_e64 v209, 0, v209, s1
	s_delay_alu instid0(VALU_DEP_1) | instskip(NEXT) | instid1(VALU_DEP_1)
	v_add_nc_u32_e32 v39, v39, v209
	v_mov_b32_dpp v209, v39 row_shr:4 row_mask:0xf bank_mask:0xf
	s_delay_alu instid0(VALU_DEP_1) | instskip(NEXT) | instid1(VALU_DEP_1)
	v_cndmask_b32_e64 v209, 0, v209, s8
	v_add_nc_u32_e32 v39, v39, v209
	s_delay_alu instid0(VALU_DEP_1) | instskip(NEXT) | instid1(VALU_DEP_1)
	v_mov_b32_dpp v209, v39 row_shr:8 row_mask:0xf bank_mask:0xf
	v_cndmask_b32_e64 v209, 0, v209, s9
	s_delay_alu instid0(VALU_DEP_1) | instskip(SKIP_3) | instid1(VALU_DEP_1)
	v_add_nc_u32_e32 v39, v39, v209
	ds_swizzle_b32 v209, v39 offset:swizzle(BROADCAST,32,15)
	s_waitcnt lgkmcnt(0)
	v_cndmask_b32_e64 v209, v209, 0, s10
	v_add_nc_u32_e32 v39, v39, v209
	s_and_saveexec_b32 s17, s3
	s_cbranch_execz .LBB2086_766
; %bb.765:                              ;   in Loop: Header=BB2086_696 Depth=2
	ds_store_b32 v62, v39 offset:1024
.LBB2086_766:                           ;   in Loop: Header=BB2086_696 Depth=2
	s_or_b32 exec_lo, exec_lo, s17
	s_waitcnt lgkmcnt(0)
	s_barrier
	buffer_gl0_inv
	s_and_saveexec_b32 s17, s4
	s_cbranch_execz .LBB2086_768
; %bb.767:                              ;   in Loop: Header=BB2086_696 Depth=2
	ds_load_b32 v209, v72 offset:1024
	s_waitcnt lgkmcnt(0)
	v_mov_b32_dpp v210, v209 row_shr:1 row_mask:0xf bank_mask:0xf
	s_delay_alu instid0(VALU_DEP_1) | instskip(NEXT) | instid1(VALU_DEP_1)
	v_cndmask_b32_e64 v210, v210, 0, s12
	v_add_nc_u32_e32 v209, v210, v209
	s_delay_alu instid0(VALU_DEP_1) | instskip(NEXT) | instid1(VALU_DEP_1)
	v_mov_b32_dpp v210, v209 row_shr:2 row_mask:0xf bank_mask:0xf
	v_cndmask_b32_e64 v210, 0, v210, s13
	s_delay_alu instid0(VALU_DEP_1) | instskip(NEXT) | instid1(VALU_DEP_1)
	v_add_nc_u32_e32 v209, v209, v210
	v_mov_b32_dpp v210, v209 row_shr:4 row_mask:0xf bank_mask:0xf
	s_delay_alu instid0(VALU_DEP_1) | instskip(NEXT) | instid1(VALU_DEP_1)
	v_cndmask_b32_e64 v210, 0, v210, s16
	v_add_nc_u32_e32 v209, v209, v210
	ds_store_b32 v72, v209 offset:1024
.LBB2086_768:                           ;   in Loop: Header=BB2086_696 Depth=2
	s_or_b32 exec_lo, exec_lo, s17
	v_mov_b32_e32 v209, 0
	s_waitcnt lgkmcnt(0)
	s_barrier
	buffer_gl0_inv
	s_and_saveexec_b32 s17, s5
	s_cbranch_execz .LBB2086_770
; %bb.769:                              ;   in Loop: Header=BB2086_696 Depth=2
	ds_load_b32 v209, v62 offset:1020
.LBB2086_770:                           ;   in Loop: Header=BB2086_696 Depth=2
	s_or_b32 exec_lo, exec_lo, s17
	s_waitcnt lgkmcnt(0)
	v_add_nc_u32_e32 v39, v209, v39
	ds_bpermute_b32 v39, v105, v39
	s_waitcnt lgkmcnt(0)
	v_cndmask_b32_e64 v39, v39, v209, s11
	s_delay_alu instid0(VALU_DEP_1) | instskip(NEXT) | instid1(VALU_DEP_1)
	v_cndmask_b32_e64 v39, v39, 0, s6
	v_add_nc_u32_e32 v208, v39, v208
	s_delay_alu instid0(VALU_DEP_1) | instskip(NEXT) | instid1(VALU_DEP_1)
	v_add_nc_u32_e32 v42, v208, v42
	v_add_nc_u32_e32 v43, v42, v43
	s_delay_alu instid0(VALU_DEP_1) | instskip(NEXT) | instid1(VALU_DEP_1)
	v_add_nc_u32_e32 v40, v43, v40
	;; [unrolled: 3-line block ×3, first 2 shown]
	v_add_nc_u32_e32 v37, v36, v37
	s_delay_alu instid0(VALU_DEP_1)
	v_add_nc_u32_e32 v38, v37, v38
	ds_store_b32 v69, v39 offset:1056
	ds_store_2addr_b32 v71, v208, v42 offset0:1 offset1:2
	ds_store_2addr_b32 v71, v43, v40 offset0:3 offset1:4
	;; [unrolled: 1-line block ×4, first 2 shown]
	v_mov_b32_e32 v38, 0x1000
	s_waitcnt lgkmcnt(0)
	s_barrier
	buffer_gl0_inv
	ds_load_b32 v39, v152
	ds_load_b32 v40, v156
	;; [unrolled: 1-line block ×16, first 2 shown]
	ds_load_b32 v156, v69 offset:1056
	s_and_saveexec_b32 s17, s7
	s_cbranch_execz .LBB2086_772
; %bb.771:                              ;   in Loop: Header=BB2086_696 Depth=2
	ds_load_b32 v38, v73 offset:1056
.LBB2086_772:                           ;   in Loop: Header=BB2086_696 Depth=2
	s_or_b32 exec_lo, exec_lo, s17
	s_waitcnt lgkmcnt(0)
	s_barrier
	buffer_gl0_inv
	s_and_saveexec_b32 s17, s2
	s_cbranch_execz .LBB2086_774
; %bb.773:                              ;   in Loop: Header=BB2086_696 Depth=2
	ds_load_b32 v160, v44
	s_waitcnt lgkmcnt(0)
	v_sub_nc_u32_e32 v156, v160, v156
	ds_store_b32 v44, v156
.LBB2086_774:                           ;   in Loop: Header=BB2086_696 Depth=2
	s_or_b32 exec_lo, exec_lo, s17
	v_add_nc_u32_e32 v168, v148, v147
	v_add3_u32 v164, v151, v150, v39
	v_add3_u32 v160, v155, v154, v40
	;; [unrolled: 1-line block ×5, first 2 shown]
	v_lshlrev_b32_e32 v158, 1, v168
	v_add3_u32 v43, v199, v198, v36
	v_lshlrev_b32_e32 v36, 1, v164
	v_add3_u32 v152, v172, v171, v173
	v_add3_u32 v151, v175, v174, v176
	ds_store_b16 v158, v2 offset:1024
	v_lshlrev_b32_e32 v2, 1, v160
	ds_store_b16 v36, v146 offset:1024
	v_lshlrev_b32_e32 v36, 1, v154
	v_add3_u32 v150, v179, v178, v180
	v_add3_u32 v42, v203, v202, v37
	v_lshlrev_b32_e32 v37, 1, v156
	v_add3_u32 v148, v183, v182, v184
	v_lshlrev_b32_e32 v158, 1, v155
	v_add3_u32 v147, v187, v186, v188
	v_add3_u32 v40, v191, v190, v192
	ds_store_b16 v2, v149 offset:1024
	ds_store_b16 v37, v153 offset:1024
	;; [unrolled: 1-line block ×3, first 2 shown]
	v_lshlrev_b32_e32 v2, 1, v152
	ds_store_b16 v36, v161 offset:1024
	v_lshlrev_b32_e32 v36, 1, v151
	v_lshlrev_b32_e32 v37, 1, v150
	;; [unrolled: 1-line block ×3, first 2 shown]
	v_add3_u32 v39, v195, v194, v196
	v_add3_u32 v41, v206, v205, v41
	ds_store_b16 v2, v165 offset:1024
	v_lshlrev_b32_e32 v2, 1, v147
	ds_store_b16 v36, v170 offset:1024
	ds_store_b16 v37, v169 offset:1024
	;; [unrolled: 1-line block ×3, first 2 shown]
	v_lshlrev_b32_e32 v36, 1, v40
	v_cmp_lt_u32_e32 vcc_lo, v1, v145
	v_lshlrev_b32_e32 v37, 1, v43
	ds_store_b16 v2, v181 offset:1024
	v_lshlrev_b32_e32 v2, 1, v39
	ds_store_b16 v36, v185 offset:1024
	v_lshlrev_b32_e32 v36, 1, v41
	v_lshlrev_b32_e32 v146, 1, v42
	ds_store_b16 v2, v189 offset:1024
	ds_store_b16 v37, v193 offset:1024
	;; [unrolled: 1-line block ×4, first 2 shown]
	s_waitcnt lgkmcnt(0)
	s_barrier
	buffer_gl0_inv
	s_and_saveexec_b32 s18, vcc_lo
	s_cbranch_execz .LBB2086_790
; %bb.775:                              ;   in Loop: Header=BB2086_696 Depth=2
	v_add_nc_u32_e32 v2, v72, v78
	ds_load_u16 v146, v2 offset:1024
	s_waitcnt lgkmcnt(0)
	v_cmp_ne_u16_e64 s17, 0x7fff, v146
	s_delay_alu instid0(VALU_DEP_1) | instskip(SKIP_1) | instid1(VALU_DEP_2)
	v_cndmask_b32_e64 v2, 0xffff8000, v146, s17
	v_cmp_lt_i16_e64 s17, -1, v146
	v_and_b32_e32 v2, 0xffff, v2
	s_delay_alu instid0(VALU_DEP_2) | instskip(NEXT) | instid1(VALU_DEP_2)
	v_cndmask_b32_e64 v149, 0xffff8000, -1, s17
	v_lshrrev_b32_e32 v2, s49, v2
	s_delay_alu instid0(VALU_DEP_1) | instskip(NEXT) | instid1(VALU_DEP_1)
	v_and_b32_e32 v2, s55, v2
	v_lshlrev_b32_e32 v2, 2, v2
	ds_load_b32 v2, v2
	s_waitcnt lgkmcnt(0)
	v_add_nc_u32_e32 v2, v2, v1
	s_delay_alu instid0(VALU_DEP_1) | instskip(SKIP_1) | instid1(VALU_DEP_2)
	v_lshlrev_b64 v[36:37], 1, v[2:3]
	v_xor_b32_e32 v2, v149, v146
	v_add_co_u32 v36, s17, s38, v36
	s_delay_alu instid0(VALU_DEP_1) | instskip(SKIP_3) | instid1(VALU_DEP_1)
	v_add_co_ci_u32_e64 v37, s17, s39, v37, s17
	global_store_b16 v[36:37], v2, off
	s_or_b32 exec_lo, exec_lo, s18
	v_cmp_lt_u32_e64 s17, v45, v145
	s_and_saveexec_b32 s19, s17
	s_cbranch_execnz .LBB2086_791
.LBB2086_776:                           ;   in Loop: Header=BB2086_696 Depth=2
	s_or_b32 exec_lo, exec_lo, s19
	v_cmp_lt_u32_e64 s18, v46, v145
	s_delay_alu instid0(VALU_DEP_1)
	s_and_saveexec_b32 s20, s18
	s_cbranch_execz .LBB2086_792
.LBB2086_777:                           ;   in Loop: Header=BB2086_696 Depth=2
	ds_load_u16 v146, v79 offset:1024
	s_waitcnt lgkmcnt(0)
	v_cmp_ne_u16_e64 s19, 0x7fff, v146
	s_delay_alu instid0(VALU_DEP_1) | instskip(SKIP_1) | instid1(VALU_DEP_2)
	v_cndmask_b32_e64 v2, 0xffff8000, v146, s19
	v_cmp_lt_i16_e64 s19, -1, v146
	v_and_b32_e32 v2, 0xffff, v2
	s_delay_alu instid0(VALU_DEP_2) | instskip(NEXT) | instid1(VALU_DEP_2)
	v_cndmask_b32_e64 v149, 0xffff8000, -1, s19
	v_lshrrev_b32_e32 v2, s49, v2
	s_delay_alu instid0(VALU_DEP_1) | instskip(NEXT) | instid1(VALU_DEP_1)
	v_and_b32_e32 v2, s55, v2
	v_lshlrev_b32_e32 v2, 2, v2
	ds_load_b32 v2, v2
	s_waitcnt lgkmcnt(0)
	v_add_nc_u32_e32 v2, v2, v46
	s_delay_alu instid0(VALU_DEP_1) | instskip(SKIP_1) | instid1(VALU_DEP_2)
	v_lshlrev_b64 v[36:37], 1, v[2:3]
	v_xor_b32_e32 v2, v149, v146
	v_add_co_u32 v36, s19, s38, v36
	s_delay_alu instid0(VALU_DEP_1) | instskip(SKIP_3) | instid1(VALU_DEP_1)
	v_add_co_ci_u32_e64 v37, s19, s39, v37, s19
	global_store_b16 v[36:37], v2, off
	s_or_b32 exec_lo, exec_lo, s20
	v_cmp_lt_u32_e64 s19, v47, v145
	s_and_saveexec_b32 s21, s19
	s_cbranch_execnz .LBB2086_793
.LBB2086_778:                           ;   in Loop: Header=BB2086_696 Depth=2
	s_or_b32 exec_lo, exec_lo, s21
	v_cmp_lt_u32_e64 s20, v51, v145
	s_delay_alu instid0(VALU_DEP_1)
	s_and_saveexec_b32 s22, s20
	s_cbranch_execz .LBB2086_794
.LBB2086_779:                           ;   in Loop: Header=BB2086_696 Depth=2
	ds_load_u16 v146, v79 offset:2048
	s_waitcnt lgkmcnt(0)
	v_cmp_ne_u16_e64 s21, 0x7fff, v146
	s_delay_alu instid0(VALU_DEP_1) | instskip(SKIP_1) | instid1(VALU_DEP_2)
	v_cndmask_b32_e64 v2, 0xffff8000, v146, s21
	v_cmp_lt_i16_e64 s21, -1, v146
	v_and_b32_e32 v2, 0xffff, v2
	s_delay_alu instid0(VALU_DEP_2) | instskip(NEXT) | instid1(VALU_DEP_2)
	v_cndmask_b32_e64 v149, 0xffff8000, -1, s21
	v_lshrrev_b32_e32 v2, s49, v2
	s_delay_alu instid0(VALU_DEP_1) | instskip(NEXT) | instid1(VALU_DEP_1)
	v_and_b32_e32 v2, s55, v2
	v_lshlrev_b32_e32 v2, 2, v2
	ds_load_b32 v2, v2
	s_waitcnt lgkmcnt(0)
	v_add_nc_u32_e32 v2, v2, v51
	s_delay_alu instid0(VALU_DEP_1) | instskip(SKIP_1) | instid1(VALU_DEP_2)
	v_lshlrev_b64 v[36:37], 1, v[2:3]
	v_xor_b32_e32 v2, v149, v146
	v_add_co_u32 v36, s21, s38, v36
	s_delay_alu instid0(VALU_DEP_1) | instskip(SKIP_3) | instid1(VALU_DEP_1)
	v_add_co_ci_u32_e64 v37, s21, s39, v37, s21
	global_store_b16 v[36:37], v2, off
	s_or_b32 exec_lo, exec_lo, s22
	v_cmp_lt_u32_e64 s21, v52, v145
	s_and_saveexec_b32 s23, s21
	s_cbranch_execnz .LBB2086_795
.LBB2086_780:                           ;   in Loop: Header=BB2086_696 Depth=2
	s_or_b32 exec_lo, exec_lo, s23
	v_cmp_lt_u32_e64 s22, v53, v145
	s_delay_alu instid0(VALU_DEP_1)
	s_and_saveexec_b32 s24, s22
	s_cbranch_execz .LBB2086_796
.LBB2086_781:                           ;   in Loop: Header=BB2086_696 Depth=2
	ds_load_u16 v146, v79 offset:3072
	s_waitcnt lgkmcnt(0)
	v_cmp_ne_u16_e64 s23, 0x7fff, v146
	s_delay_alu instid0(VALU_DEP_1) | instskip(SKIP_1) | instid1(VALU_DEP_2)
	v_cndmask_b32_e64 v2, 0xffff8000, v146, s23
	v_cmp_lt_i16_e64 s23, -1, v146
	v_and_b32_e32 v2, 0xffff, v2
	s_delay_alu instid0(VALU_DEP_2) | instskip(NEXT) | instid1(VALU_DEP_2)
	v_cndmask_b32_e64 v149, 0xffff8000, -1, s23
	v_lshrrev_b32_e32 v2, s49, v2
	s_delay_alu instid0(VALU_DEP_1) | instskip(NEXT) | instid1(VALU_DEP_1)
	v_and_b32_e32 v2, s55, v2
	v_lshlrev_b32_e32 v2, 2, v2
	ds_load_b32 v2, v2
	s_waitcnt lgkmcnt(0)
	v_add_nc_u32_e32 v2, v2, v53
	s_delay_alu instid0(VALU_DEP_1) | instskip(SKIP_1) | instid1(VALU_DEP_2)
	v_lshlrev_b64 v[36:37], 1, v[2:3]
	v_xor_b32_e32 v2, v149, v146
	v_add_co_u32 v36, s23, s38, v36
	s_delay_alu instid0(VALU_DEP_1) | instskip(SKIP_3) | instid1(VALU_DEP_1)
	v_add_co_ci_u32_e64 v37, s23, s39, v37, s23
	global_store_b16 v[36:37], v2, off
	s_or_b32 exec_lo, exec_lo, s24
	v_cmp_lt_u32_e64 s23, v54, v145
	s_and_saveexec_b32 s25, s23
	s_cbranch_execnz .LBB2086_797
.LBB2086_782:                           ;   in Loop: Header=BB2086_696 Depth=2
	s_or_b32 exec_lo, exec_lo, s25
	v_cmp_lt_u32_e64 s24, v55, v145
	s_delay_alu instid0(VALU_DEP_1)
	s_and_saveexec_b32 s26, s24
	s_cbranch_execz .LBB2086_798
.LBB2086_783:                           ;   in Loop: Header=BB2086_696 Depth=2
	ds_load_u16 v146, v79 offset:4096
	s_waitcnt lgkmcnt(0)
	v_cmp_ne_u16_e64 s25, 0x7fff, v146
	s_delay_alu instid0(VALU_DEP_1) | instskip(SKIP_1) | instid1(VALU_DEP_2)
	v_cndmask_b32_e64 v2, 0xffff8000, v146, s25
	v_cmp_lt_i16_e64 s25, -1, v146
	v_and_b32_e32 v2, 0xffff, v2
	s_delay_alu instid0(VALU_DEP_2) | instskip(NEXT) | instid1(VALU_DEP_2)
	v_cndmask_b32_e64 v149, 0xffff8000, -1, s25
	v_lshrrev_b32_e32 v2, s49, v2
	s_delay_alu instid0(VALU_DEP_1) | instskip(NEXT) | instid1(VALU_DEP_1)
	v_and_b32_e32 v2, s55, v2
	v_lshlrev_b32_e32 v2, 2, v2
	ds_load_b32 v2, v2
	s_waitcnt lgkmcnt(0)
	v_add_nc_u32_e32 v2, v2, v55
	s_delay_alu instid0(VALU_DEP_1) | instskip(SKIP_1) | instid1(VALU_DEP_2)
	v_lshlrev_b64 v[36:37], 1, v[2:3]
	v_xor_b32_e32 v2, v149, v146
	v_add_co_u32 v36, s25, s38, v36
	s_delay_alu instid0(VALU_DEP_1) | instskip(SKIP_3) | instid1(VALU_DEP_1)
	v_add_co_ci_u32_e64 v37, s25, s39, v37, s25
	global_store_b16 v[36:37], v2, off
	s_or_b32 exec_lo, exec_lo, s26
	v_cmp_lt_u32_e64 s25, v56, v145
	s_and_saveexec_b32 s27, s25
	s_cbranch_execnz .LBB2086_799
.LBB2086_784:                           ;   in Loop: Header=BB2086_696 Depth=2
	s_or_b32 exec_lo, exec_lo, s27
	v_cmp_lt_u32_e64 s26, v57, v145
	s_delay_alu instid0(VALU_DEP_1)
	s_and_saveexec_b32 s28, s26
	s_cbranch_execz .LBB2086_800
.LBB2086_785:                           ;   in Loop: Header=BB2086_696 Depth=2
	ds_load_u16 v146, v79 offset:5120
	s_waitcnt lgkmcnt(0)
	v_cmp_ne_u16_e64 s27, 0x7fff, v146
	s_delay_alu instid0(VALU_DEP_1) | instskip(SKIP_1) | instid1(VALU_DEP_2)
	v_cndmask_b32_e64 v2, 0xffff8000, v146, s27
	v_cmp_lt_i16_e64 s27, -1, v146
	v_and_b32_e32 v2, 0xffff, v2
	s_delay_alu instid0(VALU_DEP_2) | instskip(NEXT) | instid1(VALU_DEP_2)
	v_cndmask_b32_e64 v149, 0xffff8000, -1, s27
	v_lshrrev_b32_e32 v2, s49, v2
	s_delay_alu instid0(VALU_DEP_1) | instskip(NEXT) | instid1(VALU_DEP_1)
	v_and_b32_e32 v2, s55, v2
	v_lshlrev_b32_e32 v2, 2, v2
	ds_load_b32 v2, v2
	s_waitcnt lgkmcnt(0)
	v_add_nc_u32_e32 v2, v2, v57
	s_delay_alu instid0(VALU_DEP_1) | instskip(SKIP_1) | instid1(VALU_DEP_2)
	v_lshlrev_b64 v[36:37], 1, v[2:3]
	v_xor_b32_e32 v2, v149, v146
	v_add_co_u32 v36, s27, s38, v36
	s_delay_alu instid0(VALU_DEP_1) | instskip(SKIP_3) | instid1(VALU_DEP_1)
	v_add_co_ci_u32_e64 v37, s27, s39, v37, s27
	global_store_b16 v[36:37], v2, off
	s_or_b32 exec_lo, exec_lo, s28
	v_cmp_lt_u32_e64 s27, v58, v145
	s_and_saveexec_b32 s29, s27
	s_cbranch_execnz .LBB2086_801
.LBB2086_786:                           ;   in Loop: Header=BB2086_696 Depth=2
	s_or_b32 exec_lo, exec_lo, s29
	v_cmp_lt_u32_e64 s28, v59, v145
	s_delay_alu instid0(VALU_DEP_1)
	s_and_saveexec_b32 s30, s28
	s_cbranch_execz .LBB2086_802
.LBB2086_787:                           ;   in Loop: Header=BB2086_696 Depth=2
	ds_load_u16 v146, v79 offset:6144
	s_waitcnt lgkmcnt(0)
	v_cmp_ne_u16_e64 s29, 0x7fff, v146
	s_delay_alu instid0(VALU_DEP_1) | instskip(SKIP_1) | instid1(VALU_DEP_2)
	v_cndmask_b32_e64 v2, 0xffff8000, v146, s29
	v_cmp_lt_i16_e64 s29, -1, v146
	v_and_b32_e32 v2, 0xffff, v2
	s_delay_alu instid0(VALU_DEP_2) | instskip(NEXT) | instid1(VALU_DEP_2)
	v_cndmask_b32_e64 v149, 0xffff8000, -1, s29
	v_lshrrev_b32_e32 v2, s49, v2
	s_delay_alu instid0(VALU_DEP_1) | instskip(NEXT) | instid1(VALU_DEP_1)
	v_and_b32_e32 v2, s55, v2
	v_lshlrev_b32_e32 v2, 2, v2
	ds_load_b32 v2, v2
	s_waitcnt lgkmcnt(0)
	v_add_nc_u32_e32 v2, v2, v59
	s_delay_alu instid0(VALU_DEP_1) | instskip(SKIP_1) | instid1(VALU_DEP_2)
	v_lshlrev_b64 v[36:37], 1, v[2:3]
	v_xor_b32_e32 v2, v149, v146
	v_add_co_u32 v36, s29, s38, v36
	s_delay_alu instid0(VALU_DEP_1) | instskip(SKIP_3) | instid1(VALU_DEP_1)
	v_add_co_ci_u32_e64 v37, s29, s39, v37, s29
	global_store_b16 v[36:37], v2, off
	s_or_b32 exec_lo, exec_lo, s30
	v_cmp_lt_u32_e64 s29, v60, v145
	s_and_saveexec_b32 s31, s29
	s_cbranch_execnz .LBB2086_803
.LBB2086_788:                           ;   in Loop: Header=BB2086_696 Depth=2
	s_or_b32 exec_lo, exec_lo, s31
	v_cmp_lt_u32_e64 s30, v61, v145
	s_delay_alu instid0(VALU_DEP_1)
	s_and_saveexec_b32 s33, s30
	s_cbranch_execz .LBB2086_804
.LBB2086_789:                           ;   in Loop: Header=BB2086_696 Depth=2
	ds_load_u16 v146, v79 offset:7168
	s_waitcnt lgkmcnt(0)
	v_cmp_ne_u16_e64 s31, 0x7fff, v146
	s_delay_alu instid0(VALU_DEP_1) | instskip(SKIP_1) | instid1(VALU_DEP_2)
	v_cndmask_b32_e64 v2, 0xffff8000, v146, s31
	v_cmp_lt_i16_e64 s31, -1, v146
	v_and_b32_e32 v2, 0xffff, v2
	s_delay_alu instid0(VALU_DEP_2) | instskip(NEXT) | instid1(VALU_DEP_2)
	v_cndmask_b32_e64 v149, 0xffff8000, -1, s31
	v_lshrrev_b32_e32 v2, s49, v2
	s_delay_alu instid0(VALU_DEP_1) | instskip(NEXT) | instid1(VALU_DEP_1)
	v_and_b32_e32 v2, s55, v2
	v_lshlrev_b32_e32 v2, 2, v2
	ds_load_b32 v2, v2
	s_waitcnt lgkmcnt(0)
	v_add_nc_u32_e32 v2, v2, v61
	s_delay_alu instid0(VALU_DEP_1) | instskip(SKIP_1) | instid1(VALU_DEP_2)
	v_lshlrev_b64 v[36:37], 1, v[2:3]
	v_xor_b32_e32 v2, v149, v146
	v_add_co_u32 v36, s31, s38, v36
	s_delay_alu instid0(VALU_DEP_1) | instskip(SKIP_3) | instid1(VALU_DEP_1)
	v_add_co_ci_u32_e64 v37, s31, s39, v37, s31
	global_store_b16 v[36:37], v2, off
	s_or_b32 exec_lo, exec_lo, s33
	v_cmp_lt_u32_e64 s31, v63, v145
	s_and_saveexec_b32 s58, s31
	s_cbranch_execnz .LBB2086_805
	s_branch .LBB2086_806
.LBB2086_790:                           ;   in Loop: Header=BB2086_696 Depth=2
	s_or_b32 exec_lo, exec_lo, s18
	v_cmp_lt_u32_e64 s17, v45, v145
	s_delay_alu instid0(VALU_DEP_1)
	s_and_saveexec_b32 s19, s17
	s_cbranch_execz .LBB2086_776
.LBB2086_791:                           ;   in Loop: Header=BB2086_696 Depth=2
	ds_load_u16 v146, v79 offset:512
	s_waitcnt lgkmcnt(0)
	v_cmp_ne_u16_e64 s18, 0x7fff, v146
	s_delay_alu instid0(VALU_DEP_1) | instskip(SKIP_1) | instid1(VALU_DEP_2)
	v_cndmask_b32_e64 v2, 0xffff8000, v146, s18
	v_cmp_lt_i16_e64 s18, -1, v146
	v_and_b32_e32 v2, 0xffff, v2
	s_delay_alu instid0(VALU_DEP_2) | instskip(NEXT) | instid1(VALU_DEP_2)
	v_cndmask_b32_e64 v149, 0xffff8000, -1, s18
	v_lshrrev_b32_e32 v2, s49, v2
	s_delay_alu instid0(VALU_DEP_1) | instskip(NEXT) | instid1(VALU_DEP_1)
	v_and_b32_e32 v2, s55, v2
	v_lshlrev_b32_e32 v2, 2, v2
	ds_load_b32 v2, v2
	s_waitcnt lgkmcnt(0)
	v_add_nc_u32_e32 v2, v2, v45
	s_delay_alu instid0(VALU_DEP_1) | instskip(SKIP_1) | instid1(VALU_DEP_2)
	v_lshlrev_b64 v[36:37], 1, v[2:3]
	v_xor_b32_e32 v2, v149, v146
	v_add_co_u32 v36, s18, s38, v36
	s_delay_alu instid0(VALU_DEP_1) | instskip(SKIP_3) | instid1(VALU_DEP_1)
	v_add_co_ci_u32_e64 v37, s18, s39, v37, s18
	global_store_b16 v[36:37], v2, off
	s_or_b32 exec_lo, exec_lo, s19
	v_cmp_lt_u32_e64 s18, v46, v145
	s_and_saveexec_b32 s20, s18
	s_cbranch_execnz .LBB2086_777
.LBB2086_792:                           ;   in Loop: Header=BB2086_696 Depth=2
	s_or_b32 exec_lo, exec_lo, s20
	v_cmp_lt_u32_e64 s19, v47, v145
	s_delay_alu instid0(VALU_DEP_1)
	s_and_saveexec_b32 s21, s19
	s_cbranch_execz .LBB2086_778
.LBB2086_793:                           ;   in Loop: Header=BB2086_696 Depth=2
	ds_load_u16 v146, v79 offset:1536
	s_waitcnt lgkmcnt(0)
	v_cmp_ne_u16_e64 s20, 0x7fff, v146
	s_delay_alu instid0(VALU_DEP_1) | instskip(SKIP_1) | instid1(VALU_DEP_2)
	v_cndmask_b32_e64 v2, 0xffff8000, v146, s20
	v_cmp_lt_i16_e64 s20, -1, v146
	v_and_b32_e32 v2, 0xffff, v2
	s_delay_alu instid0(VALU_DEP_2) | instskip(NEXT) | instid1(VALU_DEP_2)
	v_cndmask_b32_e64 v149, 0xffff8000, -1, s20
	v_lshrrev_b32_e32 v2, s49, v2
	s_delay_alu instid0(VALU_DEP_1) | instskip(NEXT) | instid1(VALU_DEP_1)
	v_and_b32_e32 v2, s55, v2
	v_lshlrev_b32_e32 v2, 2, v2
	ds_load_b32 v2, v2
	s_waitcnt lgkmcnt(0)
	v_add_nc_u32_e32 v2, v2, v47
	s_delay_alu instid0(VALU_DEP_1) | instskip(SKIP_1) | instid1(VALU_DEP_2)
	v_lshlrev_b64 v[36:37], 1, v[2:3]
	v_xor_b32_e32 v2, v149, v146
	v_add_co_u32 v36, s20, s38, v36
	s_delay_alu instid0(VALU_DEP_1) | instskip(SKIP_3) | instid1(VALU_DEP_1)
	v_add_co_ci_u32_e64 v37, s20, s39, v37, s20
	global_store_b16 v[36:37], v2, off
	s_or_b32 exec_lo, exec_lo, s21
	v_cmp_lt_u32_e64 s20, v51, v145
	s_and_saveexec_b32 s22, s20
	s_cbranch_execnz .LBB2086_779
.LBB2086_794:                           ;   in Loop: Header=BB2086_696 Depth=2
	s_or_b32 exec_lo, exec_lo, s22
	v_cmp_lt_u32_e64 s21, v52, v145
	s_delay_alu instid0(VALU_DEP_1)
	s_and_saveexec_b32 s23, s21
	s_cbranch_execz .LBB2086_780
.LBB2086_795:                           ;   in Loop: Header=BB2086_696 Depth=2
	ds_load_u16 v146, v79 offset:2560
	s_waitcnt lgkmcnt(0)
	v_cmp_ne_u16_e64 s22, 0x7fff, v146
	s_delay_alu instid0(VALU_DEP_1) | instskip(SKIP_1) | instid1(VALU_DEP_2)
	v_cndmask_b32_e64 v2, 0xffff8000, v146, s22
	v_cmp_lt_i16_e64 s22, -1, v146
	v_and_b32_e32 v2, 0xffff, v2
	s_delay_alu instid0(VALU_DEP_2) | instskip(NEXT) | instid1(VALU_DEP_2)
	v_cndmask_b32_e64 v149, 0xffff8000, -1, s22
	v_lshrrev_b32_e32 v2, s49, v2
	s_delay_alu instid0(VALU_DEP_1) | instskip(NEXT) | instid1(VALU_DEP_1)
	v_and_b32_e32 v2, s55, v2
	v_lshlrev_b32_e32 v2, 2, v2
	ds_load_b32 v2, v2
	s_waitcnt lgkmcnt(0)
	v_add_nc_u32_e32 v2, v2, v52
	s_delay_alu instid0(VALU_DEP_1) | instskip(SKIP_1) | instid1(VALU_DEP_2)
	v_lshlrev_b64 v[36:37], 1, v[2:3]
	v_xor_b32_e32 v2, v149, v146
	v_add_co_u32 v36, s22, s38, v36
	s_delay_alu instid0(VALU_DEP_1) | instskip(SKIP_3) | instid1(VALU_DEP_1)
	v_add_co_ci_u32_e64 v37, s22, s39, v37, s22
	global_store_b16 v[36:37], v2, off
	s_or_b32 exec_lo, exec_lo, s23
	v_cmp_lt_u32_e64 s22, v53, v145
	s_and_saveexec_b32 s24, s22
	s_cbranch_execnz .LBB2086_781
.LBB2086_796:                           ;   in Loop: Header=BB2086_696 Depth=2
	s_or_b32 exec_lo, exec_lo, s24
	v_cmp_lt_u32_e64 s23, v54, v145
	s_delay_alu instid0(VALU_DEP_1)
	s_and_saveexec_b32 s25, s23
	s_cbranch_execz .LBB2086_782
.LBB2086_797:                           ;   in Loop: Header=BB2086_696 Depth=2
	ds_load_u16 v146, v79 offset:3584
	s_waitcnt lgkmcnt(0)
	v_cmp_ne_u16_e64 s24, 0x7fff, v146
	s_delay_alu instid0(VALU_DEP_1) | instskip(SKIP_1) | instid1(VALU_DEP_2)
	v_cndmask_b32_e64 v2, 0xffff8000, v146, s24
	v_cmp_lt_i16_e64 s24, -1, v146
	v_and_b32_e32 v2, 0xffff, v2
	s_delay_alu instid0(VALU_DEP_2) | instskip(NEXT) | instid1(VALU_DEP_2)
	v_cndmask_b32_e64 v149, 0xffff8000, -1, s24
	v_lshrrev_b32_e32 v2, s49, v2
	s_delay_alu instid0(VALU_DEP_1) | instskip(NEXT) | instid1(VALU_DEP_1)
	v_and_b32_e32 v2, s55, v2
	v_lshlrev_b32_e32 v2, 2, v2
	ds_load_b32 v2, v2
	s_waitcnt lgkmcnt(0)
	v_add_nc_u32_e32 v2, v2, v54
	s_delay_alu instid0(VALU_DEP_1) | instskip(SKIP_1) | instid1(VALU_DEP_2)
	v_lshlrev_b64 v[36:37], 1, v[2:3]
	v_xor_b32_e32 v2, v149, v146
	v_add_co_u32 v36, s24, s38, v36
	s_delay_alu instid0(VALU_DEP_1) | instskip(SKIP_3) | instid1(VALU_DEP_1)
	v_add_co_ci_u32_e64 v37, s24, s39, v37, s24
	global_store_b16 v[36:37], v2, off
	s_or_b32 exec_lo, exec_lo, s25
	v_cmp_lt_u32_e64 s24, v55, v145
	s_and_saveexec_b32 s26, s24
	s_cbranch_execnz .LBB2086_783
.LBB2086_798:                           ;   in Loop: Header=BB2086_696 Depth=2
	s_or_b32 exec_lo, exec_lo, s26
	v_cmp_lt_u32_e64 s25, v56, v145
	s_delay_alu instid0(VALU_DEP_1)
	s_and_saveexec_b32 s27, s25
	s_cbranch_execz .LBB2086_784
.LBB2086_799:                           ;   in Loop: Header=BB2086_696 Depth=2
	ds_load_u16 v146, v79 offset:4608
	s_waitcnt lgkmcnt(0)
	v_cmp_ne_u16_e64 s26, 0x7fff, v146
	s_delay_alu instid0(VALU_DEP_1) | instskip(SKIP_1) | instid1(VALU_DEP_2)
	v_cndmask_b32_e64 v2, 0xffff8000, v146, s26
	v_cmp_lt_i16_e64 s26, -1, v146
	v_and_b32_e32 v2, 0xffff, v2
	s_delay_alu instid0(VALU_DEP_2) | instskip(NEXT) | instid1(VALU_DEP_2)
	v_cndmask_b32_e64 v149, 0xffff8000, -1, s26
	v_lshrrev_b32_e32 v2, s49, v2
	s_delay_alu instid0(VALU_DEP_1) | instskip(NEXT) | instid1(VALU_DEP_1)
	v_and_b32_e32 v2, s55, v2
	v_lshlrev_b32_e32 v2, 2, v2
	ds_load_b32 v2, v2
	s_waitcnt lgkmcnt(0)
	v_add_nc_u32_e32 v2, v2, v56
	s_delay_alu instid0(VALU_DEP_1) | instskip(SKIP_1) | instid1(VALU_DEP_2)
	v_lshlrev_b64 v[36:37], 1, v[2:3]
	v_xor_b32_e32 v2, v149, v146
	v_add_co_u32 v36, s26, s38, v36
	s_delay_alu instid0(VALU_DEP_1) | instskip(SKIP_3) | instid1(VALU_DEP_1)
	v_add_co_ci_u32_e64 v37, s26, s39, v37, s26
	global_store_b16 v[36:37], v2, off
	s_or_b32 exec_lo, exec_lo, s27
	v_cmp_lt_u32_e64 s26, v57, v145
	s_and_saveexec_b32 s28, s26
	s_cbranch_execnz .LBB2086_785
.LBB2086_800:                           ;   in Loop: Header=BB2086_696 Depth=2
	s_or_b32 exec_lo, exec_lo, s28
	v_cmp_lt_u32_e64 s27, v58, v145
	s_delay_alu instid0(VALU_DEP_1)
	s_and_saveexec_b32 s29, s27
	s_cbranch_execz .LBB2086_786
.LBB2086_801:                           ;   in Loop: Header=BB2086_696 Depth=2
	ds_load_u16 v146, v79 offset:5632
	s_waitcnt lgkmcnt(0)
	v_cmp_ne_u16_e64 s28, 0x7fff, v146
	s_delay_alu instid0(VALU_DEP_1) | instskip(SKIP_1) | instid1(VALU_DEP_2)
	v_cndmask_b32_e64 v2, 0xffff8000, v146, s28
	v_cmp_lt_i16_e64 s28, -1, v146
	v_and_b32_e32 v2, 0xffff, v2
	s_delay_alu instid0(VALU_DEP_2) | instskip(NEXT) | instid1(VALU_DEP_2)
	v_cndmask_b32_e64 v149, 0xffff8000, -1, s28
	v_lshrrev_b32_e32 v2, s49, v2
	s_delay_alu instid0(VALU_DEP_1) | instskip(NEXT) | instid1(VALU_DEP_1)
	v_and_b32_e32 v2, s55, v2
	v_lshlrev_b32_e32 v2, 2, v2
	ds_load_b32 v2, v2
	s_waitcnt lgkmcnt(0)
	v_add_nc_u32_e32 v2, v2, v58
	s_delay_alu instid0(VALU_DEP_1) | instskip(SKIP_1) | instid1(VALU_DEP_2)
	v_lshlrev_b64 v[36:37], 1, v[2:3]
	v_xor_b32_e32 v2, v149, v146
	v_add_co_u32 v36, s28, s38, v36
	s_delay_alu instid0(VALU_DEP_1) | instskip(SKIP_3) | instid1(VALU_DEP_1)
	v_add_co_ci_u32_e64 v37, s28, s39, v37, s28
	global_store_b16 v[36:37], v2, off
	s_or_b32 exec_lo, exec_lo, s29
	v_cmp_lt_u32_e64 s28, v59, v145
	s_and_saveexec_b32 s30, s28
	s_cbranch_execnz .LBB2086_787
.LBB2086_802:                           ;   in Loop: Header=BB2086_696 Depth=2
	s_or_b32 exec_lo, exec_lo, s30
	v_cmp_lt_u32_e64 s29, v60, v145
	s_delay_alu instid0(VALU_DEP_1)
	s_and_saveexec_b32 s31, s29
	s_cbranch_execz .LBB2086_788
.LBB2086_803:                           ;   in Loop: Header=BB2086_696 Depth=2
	ds_load_u16 v146, v79 offset:6656
	s_waitcnt lgkmcnt(0)
	v_cmp_ne_u16_e64 s30, 0x7fff, v146
	s_delay_alu instid0(VALU_DEP_1) | instskip(SKIP_1) | instid1(VALU_DEP_2)
	v_cndmask_b32_e64 v2, 0xffff8000, v146, s30
	v_cmp_lt_i16_e64 s30, -1, v146
	v_and_b32_e32 v2, 0xffff, v2
	s_delay_alu instid0(VALU_DEP_2) | instskip(NEXT) | instid1(VALU_DEP_2)
	v_cndmask_b32_e64 v149, 0xffff8000, -1, s30
	v_lshrrev_b32_e32 v2, s49, v2
	s_delay_alu instid0(VALU_DEP_1) | instskip(NEXT) | instid1(VALU_DEP_1)
	v_and_b32_e32 v2, s55, v2
	v_lshlrev_b32_e32 v2, 2, v2
	ds_load_b32 v2, v2
	s_waitcnt lgkmcnt(0)
	v_add_nc_u32_e32 v2, v2, v60
	s_delay_alu instid0(VALU_DEP_1) | instskip(SKIP_1) | instid1(VALU_DEP_2)
	v_lshlrev_b64 v[36:37], 1, v[2:3]
	v_xor_b32_e32 v2, v149, v146
	v_add_co_u32 v36, s30, s38, v36
	s_delay_alu instid0(VALU_DEP_1) | instskip(SKIP_3) | instid1(VALU_DEP_1)
	v_add_co_ci_u32_e64 v37, s30, s39, v37, s30
	global_store_b16 v[36:37], v2, off
	s_or_b32 exec_lo, exec_lo, s31
	v_cmp_lt_u32_e64 s30, v61, v145
	s_and_saveexec_b32 s33, s30
	s_cbranch_execnz .LBB2086_789
.LBB2086_804:                           ;   in Loop: Header=BB2086_696 Depth=2
	s_or_b32 exec_lo, exec_lo, s33
	v_cmp_lt_u32_e64 s31, v63, v145
	s_delay_alu instid0(VALU_DEP_1)
	s_and_saveexec_b32 s58, s31
	s_cbranch_execz .LBB2086_806
.LBB2086_805:                           ;   in Loop: Header=BB2086_696 Depth=2
	ds_load_u16 v146, v79 offset:7680
	s_waitcnt lgkmcnt(0)
	v_cmp_ne_u16_e64 s33, 0x7fff, v146
	s_delay_alu instid0(VALU_DEP_1) | instskip(SKIP_1) | instid1(VALU_DEP_2)
	v_cndmask_b32_e64 v2, 0xffff8000, v146, s33
	v_cmp_lt_i16_e64 s33, -1, v146
	v_and_b32_e32 v2, 0xffff, v2
	s_delay_alu instid0(VALU_DEP_2) | instskip(NEXT) | instid1(VALU_DEP_2)
	v_cndmask_b32_e64 v149, 0xffff8000, -1, s33
	v_lshrrev_b32_e32 v2, s49, v2
	s_delay_alu instid0(VALU_DEP_1) | instskip(NEXT) | instid1(VALU_DEP_1)
	v_and_b32_e32 v2, s55, v2
	v_lshlrev_b32_e32 v2, 2, v2
	ds_load_b32 v2, v2
	s_waitcnt lgkmcnt(0)
	v_add_nc_u32_e32 v2, v2, v63
	s_delay_alu instid0(VALU_DEP_1) | instskip(SKIP_1) | instid1(VALU_DEP_2)
	v_lshlrev_b64 v[36:37], 1, v[2:3]
	v_xor_b32_e32 v2, v149, v146
	v_add_co_u32 v36, s33, s38, v36
	s_delay_alu instid0(VALU_DEP_1)
	v_add_co_ci_u32_e64 v37, s33, s39, v37, s33
	global_store_b16 v[36:37], v2, off
.LBB2086_806:                           ;   in Loop: Header=BB2086_696 Depth=2
	s_or_b32 exec_lo, exec_lo, s58
	s_lshl_b64 s[58:59], s[34:35], 3
	s_delay_alu instid0(SALU_CYCLE_1) | instskip(NEXT) | instid1(VALU_DEP_1)
	v_add_co_u32 v36, s33, v107, s58
	v_add_co_ci_u32_e64 v37, s33, s59, v108, s33
	v_cmp_lt_u32_e64 s33, v106, v145
	s_delay_alu instid0(VALU_DEP_1) | instskip(NEXT) | instid1(SALU_CYCLE_1)
	s_and_saveexec_b32 s34, s33
	s_xor_b32 s33, exec_lo, s34
	s_cbranch_execz .LBB2086_838
; %bb.807:                              ;   in Loop: Header=BB2086_696 Depth=2
	global_load_b64 v[34:35], v[36:37], off
	s_or_b32 exec_lo, exec_lo, s33
	s_delay_alu instid0(SALU_CYCLE_1)
	s_mov_b32 s34, exec_lo
	v_cmpx_lt_u32_e64 v109, v145
	s_cbranch_execnz .LBB2086_839
.LBB2086_808:                           ;   in Loop: Header=BB2086_696 Depth=2
	s_or_b32 exec_lo, exec_lo, s34
	s_delay_alu instid0(SALU_CYCLE_1)
	s_mov_b32 s34, exec_lo
	v_cmpx_lt_u32_e64 v110, v145
	s_cbranch_execz .LBB2086_840
.LBB2086_809:                           ;   in Loop: Header=BB2086_696 Depth=2
	global_load_b64 v[30:31], v[36:37], off offset:512
	s_or_b32 exec_lo, exec_lo, s34
	s_delay_alu instid0(SALU_CYCLE_1)
	s_mov_b32 s34, exec_lo
	v_cmpx_lt_u32_e64 v111, v145
	s_cbranch_execnz .LBB2086_841
.LBB2086_810:                           ;   in Loop: Header=BB2086_696 Depth=2
	s_or_b32 exec_lo, exec_lo, s34
	s_delay_alu instid0(SALU_CYCLE_1)
	s_mov_b32 s34, exec_lo
	v_cmpx_lt_u32_e64 v112, v145
	s_cbranch_execz .LBB2086_842
.LBB2086_811:                           ;   in Loop: Header=BB2086_696 Depth=2
	global_load_b64 v[26:27], v[36:37], off offset:1024
	s_or_b32 exec_lo, exec_lo, s34
	s_delay_alu instid0(SALU_CYCLE_1)
	s_mov_b32 s34, exec_lo
	v_cmpx_lt_u32_e64 v113, v145
	s_cbranch_execnz .LBB2086_843
.LBB2086_812:                           ;   in Loop: Header=BB2086_696 Depth=2
	s_or_b32 exec_lo, exec_lo, s34
	s_delay_alu instid0(SALU_CYCLE_1)
	s_mov_b32 s34, exec_lo
	v_cmpx_lt_u32_e64 v114, v145
	s_cbranch_execz .LBB2086_844
.LBB2086_813:                           ;   in Loop: Header=BB2086_696 Depth=2
	global_load_b64 v[22:23], v[36:37], off offset:1536
	s_or_b32 exec_lo, exec_lo, s34
	s_delay_alu instid0(SALU_CYCLE_1)
	s_mov_b32 s34, exec_lo
	v_cmpx_lt_u32_e64 v115, v145
	s_cbranch_execnz .LBB2086_845
.LBB2086_814:                           ;   in Loop: Header=BB2086_696 Depth=2
	s_or_b32 exec_lo, exec_lo, s34
	s_delay_alu instid0(SALU_CYCLE_1)
	s_mov_b32 s34, exec_lo
	v_cmpx_lt_u32_e64 v116, v145
	s_cbranch_execz .LBB2086_846
.LBB2086_815:                           ;   in Loop: Header=BB2086_696 Depth=2
	global_load_b64 v[18:19], v[36:37], off offset:2048
	s_or_b32 exec_lo, exec_lo, s34
	s_delay_alu instid0(SALU_CYCLE_1)
	s_mov_b32 s34, exec_lo
	v_cmpx_lt_u32_e64 v117, v145
	s_cbranch_execnz .LBB2086_847
.LBB2086_816:                           ;   in Loop: Header=BB2086_696 Depth=2
	s_or_b32 exec_lo, exec_lo, s34
	s_delay_alu instid0(SALU_CYCLE_1)
	s_mov_b32 s34, exec_lo
	v_cmpx_lt_u32_e64 v118, v145
	s_cbranch_execz .LBB2086_848
.LBB2086_817:                           ;   in Loop: Header=BB2086_696 Depth=2
	global_load_b64 v[14:15], v[36:37], off offset:2560
	s_or_b32 exec_lo, exec_lo, s34
	s_delay_alu instid0(SALU_CYCLE_1)
	s_mov_b32 s34, exec_lo
	v_cmpx_lt_u32_e64 v119, v145
	s_cbranch_execnz .LBB2086_849
.LBB2086_818:                           ;   in Loop: Header=BB2086_696 Depth=2
	s_or_b32 exec_lo, exec_lo, s34
	s_delay_alu instid0(SALU_CYCLE_1)
	s_mov_b32 s34, exec_lo
	v_cmpx_lt_u32_e64 v120, v145
	s_cbranch_execz .LBB2086_850
.LBB2086_819:                           ;   in Loop: Header=BB2086_696 Depth=2
	global_load_b64 v[10:11], v[36:37], off offset:3072
	s_or_b32 exec_lo, exec_lo, s34
	s_delay_alu instid0(SALU_CYCLE_1)
	s_mov_b32 s34, exec_lo
	v_cmpx_lt_u32_e64 v121, v145
	s_cbranch_execnz .LBB2086_851
.LBB2086_820:                           ;   in Loop: Header=BB2086_696 Depth=2
	s_or_b32 exec_lo, exec_lo, s34
	s_delay_alu instid0(SALU_CYCLE_1)
	s_mov_b32 s34, exec_lo
	v_cmpx_lt_u32_e64 v122, v145
	s_cbranch_execz .LBB2086_852
.LBB2086_821:                           ;   in Loop: Header=BB2086_696 Depth=2
	global_load_b64 v[6:7], v[36:37], off offset:3584
	s_or_b32 exec_lo, exec_lo, s34
	s_delay_alu instid0(SALU_CYCLE_1)
	s_mov_b32 s34, exec_lo
	v_cmpx_lt_u32_e64 v123, v145
	s_cbranch_execnz .LBB2086_853
.LBB2086_822:                           ;   in Loop: Header=BB2086_696 Depth=2
	s_or_b32 exec_lo, exec_lo, s34
	s_and_saveexec_b32 s34, vcc_lo
	s_cbranch_execz .LBB2086_854
.LBB2086_823:                           ;   in Loop: Header=BB2086_696 Depth=2
	v_add_nc_u32_e32 v2, v72, v78
	ds_load_u16 v2, v2 offset:1024
	s_waitcnt lgkmcnt(0)
	v_cmp_ne_u16_e64 s33, 0x7fff, v2
	s_delay_alu instid0(VALU_DEP_1) | instskip(NEXT) | instid1(VALU_DEP_1)
	v_cndmask_b32_e64 v2, 0xffff8000, v2, s33
	v_and_b32_e32 v2, 0xffff, v2
	s_delay_alu instid0(VALU_DEP_1) | instskip(NEXT) | instid1(VALU_DEP_1)
	v_lshrrev_b32_e32 v2, s49, v2
	v_and_b32_e32 v144, s55, v2
	s_or_b32 exec_lo, exec_lo, s34
	s_and_saveexec_b32 s34, s17
	s_cbranch_execnz .LBB2086_855
.LBB2086_824:                           ;   in Loop: Header=BB2086_696 Depth=2
	s_or_b32 exec_lo, exec_lo, s34
	s_and_saveexec_b32 s34, s18
	s_cbranch_execz .LBB2086_856
.LBB2086_825:                           ;   in Loop: Header=BB2086_696 Depth=2
	ds_load_u16 v2, v79 offset:1024
	s_waitcnt lgkmcnt(0)
	v_cmp_ne_u16_e64 s33, 0x7fff, v2
	s_delay_alu instid0(VALU_DEP_1) | instskip(NEXT) | instid1(VALU_DEP_1)
	v_cndmask_b32_e64 v2, 0xffff8000, v2, s33
	v_and_b32_e32 v2, 0xffff, v2
	s_delay_alu instid0(VALU_DEP_1) | instskip(NEXT) | instid1(VALU_DEP_1)
	v_lshrrev_b32_e32 v2, s49, v2
	v_and_b32_e32 v142, s55, v2
	s_or_b32 exec_lo, exec_lo, s34
	s_and_saveexec_b32 s34, s19
	s_cbranch_execnz .LBB2086_857
.LBB2086_826:                           ;   in Loop: Header=BB2086_696 Depth=2
	s_or_b32 exec_lo, exec_lo, s34
	s_and_saveexec_b32 s34, s20
	s_cbranch_execz .LBB2086_858
.LBB2086_827:                           ;   in Loop: Header=BB2086_696 Depth=2
	ds_load_u16 v2, v79 offset:2048
	s_waitcnt lgkmcnt(0)
	v_cmp_ne_u16_e64 s33, 0x7fff, v2
	s_delay_alu instid0(VALU_DEP_1) | instskip(NEXT) | instid1(VALU_DEP_1)
	v_cndmask_b32_e64 v2, 0xffff8000, v2, s33
	v_and_b32_e32 v2, 0xffff, v2
	s_delay_alu instid0(VALU_DEP_1) | instskip(NEXT) | instid1(VALU_DEP_1)
	v_lshrrev_b32_e32 v2, s49, v2
	v_and_b32_e32 v140, s55, v2
	s_or_b32 exec_lo, exec_lo, s34
	s_and_saveexec_b32 s34, s21
	s_cbranch_execnz .LBB2086_859
.LBB2086_828:                           ;   in Loop: Header=BB2086_696 Depth=2
	s_or_b32 exec_lo, exec_lo, s34
	s_and_saveexec_b32 s34, s22
	s_cbranch_execz .LBB2086_860
.LBB2086_829:                           ;   in Loop: Header=BB2086_696 Depth=2
	ds_load_u16 v2, v79 offset:3072
	s_waitcnt lgkmcnt(0)
	v_cmp_ne_u16_e64 s33, 0x7fff, v2
	s_delay_alu instid0(VALU_DEP_1) | instskip(NEXT) | instid1(VALU_DEP_1)
	v_cndmask_b32_e64 v2, 0xffff8000, v2, s33
	v_and_b32_e32 v2, 0xffff, v2
	s_delay_alu instid0(VALU_DEP_1) | instskip(NEXT) | instid1(VALU_DEP_1)
	v_lshrrev_b32_e32 v2, s49, v2
	v_and_b32_e32 v138, s55, v2
	s_or_b32 exec_lo, exec_lo, s34
	s_and_saveexec_b32 s34, s23
	s_cbranch_execnz .LBB2086_861
.LBB2086_830:                           ;   in Loop: Header=BB2086_696 Depth=2
	s_or_b32 exec_lo, exec_lo, s34
	s_and_saveexec_b32 s34, s24
	s_cbranch_execz .LBB2086_862
.LBB2086_831:                           ;   in Loop: Header=BB2086_696 Depth=2
	ds_load_u16 v2, v79 offset:4096
	s_waitcnt lgkmcnt(0)
	v_cmp_ne_u16_e64 s33, 0x7fff, v2
	s_delay_alu instid0(VALU_DEP_1) | instskip(NEXT) | instid1(VALU_DEP_1)
	v_cndmask_b32_e64 v2, 0xffff8000, v2, s33
	v_and_b32_e32 v2, 0xffff, v2
	s_delay_alu instid0(VALU_DEP_1) | instskip(NEXT) | instid1(VALU_DEP_1)
	v_lshrrev_b32_e32 v2, s49, v2
	v_and_b32_e32 v136, s55, v2
	s_or_b32 exec_lo, exec_lo, s34
	s_and_saveexec_b32 s34, s25
	s_cbranch_execnz .LBB2086_863
.LBB2086_832:                           ;   in Loop: Header=BB2086_696 Depth=2
	s_or_b32 exec_lo, exec_lo, s34
	s_and_saveexec_b32 s34, s26
	s_cbranch_execz .LBB2086_864
.LBB2086_833:                           ;   in Loop: Header=BB2086_696 Depth=2
	ds_load_u16 v2, v79 offset:5120
	s_waitcnt lgkmcnt(0)
	v_cmp_ne_u16_e64 s33, 0x7fff, v2
	s_delay_alu instid0(VALU_DEP_1) | instskip(NEXT) | instid1(VALU_DEP_1)
	v_cndmask_b32_e64 v2, 0xffff8000, v2, s33
	v_and_b32_e32 v2, 0xffff, v2
	s_delay_alu instid0(VALU_DEP_1) | instskip(NEXT) | instid1(VALU_DEP_1)
	v_lshrrev_b32_e32 v2, s49, v2
	v_and_b32_e32 v134, s55, v2
	s_or_b32 exec_lo, exec_lo, s34
	s_and_saveexec_b32 s34, s27
	s_cbranch_execnz .LBB2086_865
.LBB2086_834:                           ;   in Loop: Header=BB2086_696 Depth=2
	s_or_b32 exec_lo, exec_lo, s34
	s_and_saveexec_b32 s34, s28
	s_cbranch_execz .LBB2086_866
.LBB2086_835:                           ;   in Loop: Header=BB2086_696 Depth=2
	ds_load_u16 v2, v79 offset:6144
	s_waitcnt lgkmcnt(0)
	v_cmp_ne_u16_e64 s33, 0x7fff, v2
	s_delay_alu instid0(VALU_DEP_1) | instskip(NEXT) | instid1(VALU_DEP_1)
	v_cndmask_b32_e64 v2, 0xffff8000, v2, s33
	v_and_b32_e32 v2, 0xffff, v2
	s_delay_alu instid0(VALU_DEP_1) | instskip(NEXT) | instid1(VALU_DEP_1)
	v_lshrrev_b32_e32 v2, s49, v2
	v_and_b32_e32 v132, s55, v2
	s_or_b32 exec_lo, exec_lo, s34
	s_and_saveexec_b32 s34, s29
	s_cbranch_execnz .LBB2086_867
.LBB2086_836:                           ;   in Loop: Header=BB2086_696 Depth=2
	s_or_b32 exec_lo, exec_lo, s34
	s_and_saveexec_b32 s34, s30
	s_cbranch_execz .LBB2086_868
.LBB2086_837:                           ;   in Loop: Header=BB2086_696 Depth=2
	ds_load_u16 v2, v79 offset:7168
	s_waitcnt lgkmcnt(0)
	v_cmp_ne_u16_e64 s33, 0x7fff, v2
	s_delay_alu instid0(VALU_DEP_1) | instskip(NEXT) | instid1(VALU_DEP_1)
	v_cndmask_b32_e64 v2, 0xffff8000, v2, s33
	v_and_b32_e32 v2, 0xffff, v2
	s_delay_alu instid0(VALU_DEP_1) | instskip(NEXT) | instid1(VALU_DEP_1)
	v_lshrrev_b32_e32 v2, s49, v2
	v_and_b32_e32 v130, s55, v2
	s_or_b32 exec_lo, exec_lo, s34
	s_and_saveexec_b32 s34, s31
	s_cbranch_execnz .LBB2086_869
	s_branch .LBB2086_870
.LBB2086_838:                           ;   in Loop: Header=BB2086_696 Depth=2
	s_or_b32 exec_lo, exec_lo, s33
	s_delay_alu instid0(SALU_CYCLE_1)
	s_mov_b32 s34, exec_lo
	v_cmpx_lt_u32_e64 v109, v145
	s_cbranch_execz .LBB2086_808
.LBB2086_839:                           ;   in Loop: Header=BB2086_696 Depth=2
	global_load_b64 v[32:33], v[36:37], off offset:256
	s_or_b32 exec_lo, exec_lo, s34
	s_delay_alu instid0(SALU_CYCLE_1)
	s_mov_b32 s34, exec_lo
	v_cmpx_lt_u32_e64 v110, v145
	s_cbranch_execnz .LBB2086_809
.LBB2086_840:                           ;   in Loop: Header=BB2086_696 Depth=2
	s_or_b32 exec_lo, exec_lo, s34
	s_delay_alu instid0(SALU_CYCLE_1)
	s_mov_b32 s34, exec_lo
	v_cmpx_lt_u32_e64 v111, v145
	s_cbranch_execz .LBB2086_810
.LBB2086_841:                           ;   in Loop: Header=BB2086_696 Depth=2
	global_load_b64 v[28:29], v[36:37], off offset:768
	s_or_b32 exec_lo, exec_lo, s34
	s_delay_alu instid0(SALU_CYCLE_1)
	s_mov_b32 s34, exec_lo
	v_cmpx_lt_u32_e64 v112, v145
	s_cbranch_execnz .LBB2086_811
.LBB2086_842:                           ;   in Loop: Header=BB2086_696 Depth=2
	s_or_b32 exec_lo, exec_lo, s34
	s_delay_alu instid0(SALU_CYCLE_1)
	s_mov_b32 s34, exec_lo
	v_cmpx_lt_u32_e64 v113, v145
	s_cbranch_execz .LBB2086_812
.LBB2086_843:                           ;   in Loop: Header=BB2086_696 Depth=2
	global_load_b64 v[24:25], v[36:37], off offset:1280
	s_or_b32 exec_lo, exec_lo, s34
	s_delay_alu instid0(SALU_CYCLE_1)
	s_mov_b32 s34, exec_lo
	v_cmpx_lt_u32_e64 v114, v145
	s_cbranch_execnz .LBB2086_813
.LBB2086_844:                           ;   in Loop: Header=BB2086_696 Depth=2
	s_or_b32 exec_lo, exec_lo, s34
	s_delay_alu instid0(SALU_CYCLE_1)
	s_mov_b32 s34, exec_lo
	v_cmpx_lt_u32_e64 v115, v145
	s_cbranch_execz .LBB2086_814
.LBB2086_845:                           ;   in Loop: Header=BB2086_696 Depth=2
	global_load_b64 v[20:21], v[36:37], off offset:1792
	s_or_b32 exec_lo, exec_lo, s34
	s_delay_alu instid0(SALU_CYCLE_1)
	s_mov_b32 s34, exec_lo
	v_cmpx_lt_u32_e64 v116, v145
	s_cbranch_execnz .LBB2086_815
.LBB2086_846:                           ;   in Loop: Header=BB2086_696 Depth=2
	s_or_b32 exec_lo, exec_lo, s34
	s_delay_alu instid0(SALU_CYCLE_1)
	s_mov_b32 s34, exec_lo
	v_cmpx_lt_u32_e64 v117, v145
	s_cbranch_execz .LBB2086_816
.LBB2086_847:                           ;   in Loop: Header=BB2086_696 Depth=2
	global_load_b64 v[16:17], v[36:37], off offset:2304
	s_or_b32 exec_lo, exec_lo, s34
	s_delay_alu instid0(SALU_CYCLE_1)
	s_mov_b32 s34, exec_lo
	v_cmpx_lt_u32_e64 v118, v145
	s_cbranch_execnz .LBB2086_817
.LBB2086_848:                           ;   in Loop: Header=BB2086_696 Depth=2
	s_or_b32 exec_lo, exec_lo, s34
	s_delay_alu instid0(SALU_CYCLE_1)
	s_mov_b32 s34, exec_lo
	v_cmpx_lt_u32_e64 v119, v145
	s_cbranch_execz .LBB2086_818
.LBB2086_849:                           ;   in Loop: Header=BB2086_696 Depth=2
	global_load_b64 v[12:13], v[36:37], off offset:2816
	s_or_b32 exec_lo, exec_lo, s34
	s_delay_alu instid0(SALU_CYCLE_1)
	s_mov_b32 s34, exec_lo
	v_cmpx_lt_u32_e64 v120, v145
	s_cbranch_execnz .LBB2086_819
.LBB2086_850:                           ;   in Loop: Header=BB2086_696 Depth=2
	s_or_b32 exec_lo, exec_lo, s34
	s_delay_alu instid0(SALU_CYCLE_1)
	s_mov_b32 s34, exec_lo
	v_cmpx_lt_u32_e64 v121, v145
	s_cbranch_execz .LBB2086_820
.LBB2086_851:                           ;   in Loop: Header=BB2086_696 Depth=2
	global_load_b64 v[8:9], v[36:37], off offset:3328
	s_or_b32 exec_lo, exec_lo, s34
	s_delay_alu instid0(SALU_CYCLE_1)
	s_mov_b32 s34, exec_lo
	v_cmpx_lt_u32_e64 v122, v145
	s_cbranch_execnz .LBB2086_821
.LBB2086_852:                           ;   in Loop: Header=BB2086_696 Depth=2
	s_or_b32 exec_lo, exec_lo, s34
	s_delay_alu instid0(SALU_CYCLE_1)
	s_mov_b32 s34, exec_lo
	v_cmpx_lt_u32_e64 v123, v145
	s_cbranch_execz .LBB2086_822
.LBB2086_853:                           ;   in Loop: Header=BB2086_696 Depth=2
	global_load_b64 v[4:5], v[36:37], off offset:3840
	s_or_b32 exec_lo, exec_lo, s34
	s_and_saveexec_b32 s34, vcc_lo
	s_cbranch_execnz .LBB2086_823
.LBB2086_854:                           ;   in Loop: Header=BB2086_696 Depth=2
	s_or_b32 exec_lo, exec_lo, s34
	s_and_saveexec_b32 s34, s17
	s_cbranch_execz .LBB2086_824
.LBB2086_855:                           ;   in Loop: Header=BB2086_696 Depth=2
	ds_load_u16 v2, v79 offset:512
	s_waitcnt lgkmcnt(0)
	v_cmp_ne_u16_e64 s33, 0x7fff, v2
	s_delay_alu instid0(VALU_DEP_1) | instskip(NEXT) | instid1(VALU_DEP_1)
	v_cndmask_b32_e64 v2, 0xffff8000, v2, s33
	v_and_b32_e32 v2, 0xffff, v2
	s_delay_alu instid0(VALU_DEP_1) | instskip(NEXT) | instid1(VALU_DEP_1)
	v_lshrrev_b32_e32 v2, s49, v2
	v_and_b32_e32 v143, s55, v2
	s_or_b32 exec_lo, exec_lo, s34
	s_and_saveexec_b32 s34, s18
	s_cbranch_execnz .LBB2086_825
.LBB2086_856:                           ;   in Loop: Header=BB2086_696 Depth=2
	s_or_b32 exec_lo, exec_lo, s34
	s_and_saveexec_b32 s34, s19
	s_cbranch_execz .LBB2086_826
.LBB2086_857:                           ;   in Loop: Header=BB2086_696 Depth=2
	ds_load_u16 v2, v79 offset:1536
	s_waitcnt lgkmcnt(0)
	v_cmp_ne_u16_e64 s33, 0x7fff, v2
	s_delay_alu instid0(VALU_DEP_1) | instskip(NEXT) | instid1(VALU_DEP_1)
	v_cndmask_b32_e64 v2, 0xffff8000, v2, s33
	v_and_b32_e32 v2, 0xffff, v2
	s_delay_alu instid0(VALU_DEP_1) | instskip(NEXT) | instid1(VALU_DEP_1)
	v_lshrrev_b32_e32 v2, s49, v2
	v_and_b32_e32 v141, s55, v2
	s_or_b32 exec_lo, exec_lo, s34
	s_and_saveexec_b32 s34, s20
	s_cbranch_execnz .LBB2086_827
.LBB2086_858:                           ;   in Loop: Header=BB2086_696 Depth=2
	s_or_b32 exec_lo, exec_lo, s34
	s_and_saveexec_b32 s34, s21
	s_cbranch_execz .LBB2086_828
.LBB2086_859:                           ;   in Loop: Header=BB2086_696 Depth=2
	ds_load_u16 v2, v79 offset:2560
	s_waitcnt lgkmcnt(0)
	v_cmp_ne_u16_e64 s33, 0x7fff, v2
	s_delay_alu instid0(VALU_DEP_1) | instskip(NEXT) | instid1(VALU_DEP_1)
	v_cndmask_b32_e64 v2, 0xffff8000, v2, s33
	v_and_b32_e32 v2, 0xffff, v2
	s_delay_alu instid0(VALU_DEP_1) | instskip(NEXT) | instid1(VALU_DEP_1)
	v_lshrrev_b32_e32 v2, s49, v2
	v_and_b32_e32 v139, s55, v2
	s_or_b32 exec_lo, exec_lo, s34
	s_and_saveexec_b32 s34, s22
	s_cbranch_execnz .LBB2086_829
.LBB2086_860:                           ;   in Loop: Header=BB2086_696 Depth=2
	s_or_b32 exec_lo, exec_lo, s34
	s_and_saveexec_b32 s34, s23
	s_cbranch_execz .LBB2086_830
.LBB2086_861:                           ;   in Loop: Header=BB2086_696 Depth=2
	ds_load_u16 v2, v79 offset:3584
	s_waitcnt lgkmcnt(0)
	v_cmp_ne_u16_e64 s33, 0x7fff, v2
	s_delay_alu instid0(VALU_DEP_1) | instskip(NEXT) | instid1(VALU_DEP_1)
	v_cndmask_b32_e64 v2, 0xffff8000, v2, s33
	v_and_b32_e32 v2, 0xffff, v2
	s_delay_alu instid0(VALU_DEP_1) | instskip(NEXT) | instid1(VALU_DEP_1)
	v_lshrrev_b32_e32 v2, s49, v2
	v_and_b32_e32 v137, s55, v2
	s_or_b32 exec_lo, exec_lo, s34
	s_and_saveexec_b32 s34, s24
	s_cbranch_execnz .LBB2086_831
.LBB2086_862:                           ;   in Loop: Header=BB2086_696 Depth=2
	s_or_b32 exec_lo, exec_lo, s34
	s_and_saveexec_b32 s34, s25
	s_cbranch_execz .LBB2086_832
.LBB2086_863:                           ;   in Loop: Header=BB2086_696 Depth=2
	ds_load_u16 v2, v79 offset:4608
	s_waitcnt lgkmcnt(0)
	v_cmp_ne_u16_e64 s33, 0x7fff, v2
	s_delay_alu instid0(VALU_DEP_1) | instskip(NEXT) | instid1(VALU_DEP_1)
	v_cndmask_b32_e64 v2, 0xffff8000, v2, s33
	v_and_b32_e32 v2, 0xffff, v2
	s_delay_alu instid0(VALU_DEP_1) | instskip(NEXT) | instid1(VALU_DEP_1)
	v_lshrrev_b32_e32 v2, s49, v2
	v_and_b32_e32 v135, s55, v2
	s_or_b32 exec_lo, exec_lo, s34
	s_and_saveexec_b32 s34, s26
	s_cbranch_execnz .LBB2086_833
.LBB2086_864:                           ;   in Loop: Header=BB2086_696 Depth=2
	s_or_b32 exec_lo, exec_lo, s34
	s_and_saveexec_b32 s34, s27
	s_cbranch_execz .LBB2086_834
.LBB2086_865:                           ;   in Loop: Header=BB2086_696 Depth=2
	ds_load_u16 v2, v79 offset:5632
	s_waitcnt lgkmcnt(0)
	v_cmp_ne_u16_e64 s33, 0x7fff, v2
	s_delay_alu instid0(VALU_DEP_1) | instskip(NEXT) | instid1(VALU_DEP_1)
	v_cndmask_b32_e64 v2, 0xffff8000, v2, s33
	v_and_b32_e32 v2, 0xffff, v2
	s_delay_alu instid0(VALU_DEP_1) | instskip(NEXT) | instid1(VALU_DEP_1)
	v_lshrrev_b32_e32 v2, s49, v2
	v_and_b32_e32 v133, s55, v2
	s_or_b32 exec_lo, exec_lo, s34
	s_and_saveexec_b32 s34, s28
	s_cbranch_execnz .LBB2086_835
.LBB2086_866:                           ;   in Loop: Header=BB2086_696 Depth=2
	s_or_b32 exec_lo, exec_lo, s34
	s_and_saveexec_b32 s34, s29
	s_cbranch_execz .LBB2086_836
.LBB2086_867:                           ;   in Loop: Header=BB2086_696 Depth=2
	ds_load_u16 v2, v79 offset:6656
	s_waitcnt lgkmcnt(0)
	v_cmp_ne_u16_e64 s33, 0x7fff, v2
	s_delay_alu instid0(VALU_DEP_1) | instskip(NEXT) | instid1(VALU_DEP_1)
	v_cndmask_b32_e64 v2, 0xffff8000, v2, s33
	v_and_b32_e32 v2, 0xffff, v2
	s_delay_alu instid0(VALU_DEP_1) | instskip(NEXT) | instid1(VALU_DEP_1)
	v_lshrrev_b32_e32 v2, s49, v2
	v_and_b32_e32 v131, s55, v2
	s_or_b32 exec_lo, exec_lo, s34
	s_and_saveexec_b32 s34, s30
	s_cbranch_execnz .LBB2086_837
.LBB2086_868:                           ;   in Loop: Header=BB2086_696 Depth=2
	s_or_b32 exec_lo, exec_lo, s34
	s_and_saveexec_b32 s34, s31
	s_cbranch_execz .LBB2086_870
.LBB2086_869:                           ;   in Loop: Header=BB2086_696 Depth=2
	ds_load_u16 v2, v79 offset:7680
	s_waitcnt lgkmcnt(0)
	v_cmp_ne_u16_e64 s33, 0x7fff, v2
	s_delay_alu instid0(VALU_DEP_1) | instskip(NEXT) | instid1(VALU_DEP_1)
	v_cndmask_b32_e64 v2, 0xffff8000, v2, s33
	v_and_b32_e32 v2, 0xffff, v2
	s_delay_alu instid0(VALU_DEP_1) | instskip(NEXT) | instid1(VALU_DEP_1)
	v_lshrrev_b32_e32 v2, s49, v2
	v_and_b32_e32 v129, s55, v2
.LBB2086_870:                           ;   in Loop: Header=BB2086_696 Depth=2
	s_or_b32 exec_lo, exec_lo, s34
	v_lshlrev_b32_e32 v2, 3, v168
	v_lshlrev_b32_e32 v36, 3, v164
	s_waitcnt vmcnt(0)
	s_waitcnt_vscnt null, 0x0
	s_barrier
	buffer_gl0_inv
	ds_store_b64 v2, v[34:35] offset:1024
	v_lshlrev_b32_e32 v2, 3, v160
	v_lshlrev_b32_e32 v37, 3, v156
	;; [unrolled: 1-line block ×4, first 2 shown]
	ds_store_b64 v36, v[32:33] offset:1024
	ds_store_b64 v2, v[30:31] offset:1024
	;; [unrolled: 1-line block ×5, first 2 shown]
	v_lshlrev_b32_e32 v2, 3, v152
	v_lshlrev_b32_e32 v36, 3, v151
	;; [unrolled: 1-line block ×5, first 2 shown]
	ds_store_b64 v2, v[22:23] offset:1024
	ds_store_b64 v36, v[20:21] offset:1024
	;; [unrolled: 1-line block ×5, first 2 shown]
	v_lshlrev_b32_e32 v2, 3, v40
	v_lshlrev_b32_e32 v36, 3, v39
	;; [unrolled: 1-line block ×5, first 2 shown]
	ds_store_b64 v2, v[12:13] offset:1024
	ds_store_b64 v36, v[10:11] offset:1024
	ds_store_b64 v37, v[8:9] offset:1024
	ds_store_b64 v39, v[6:7] offset:1024
	ds_store_b64 v40, v[4:5] offset:1024
	s_waitcnt lgkmcnt(0)
	s_barrier
	buffer_gl0_inv
	s_and_saveexec_b32 s33, vcc_lo
	s_cbranch_execz .LBB2086_886
; %bb.871:                              ;   in Loop: Header=BB2086_696 Depth=2
	v_lshlrev_b32_e32 v2, 2, v144
	ds_load_b32 v2, v2
	ds_load_b64 v[36:37], v80 offset:1024
	s_waitcnt lgkmcnt(1)
	v_add_nc_u32_e32 v2, v2, v1
	s_delay_alu instid0(VALU_DEP_1) | instskip(NEXT) | instid1(VALU_DEP_1)
	v_lshlrev_b64 v[39:40], 3, v[2:3]
	v_add_co_u32 v39, vcc_lo, s44, v39
	s_delay_alu instid0(VALU_DEP_2)
	v_add_co_ci_u32_e32 v40, vcc_lo, s45, v40, vcc_lo
	s_waitcnt lgkmcnt(0)
	global_store_b64 v[39:40], v[36:37], off
	s_or_b32 exec_lo, exec_lo, s33
	s_and_saveexec_b32 s33, s17
	s_cbranch_execnz .LBB2086_887
.LBB2086_872:                           ;   in Loop: Header=BB2086_696 Depth=2
	s_or_b32 exec_lo, exec_lo, s33
	s_and_saveexec_b32 s17, s18
	s_cbranch_execz .LBB2086_888
.LBB2086_873:                           ;   in Loop: Header=BB2086_696 Depth=2
	v_lshlrev_b32_e32 v2, 2, v142
	v_add_nc_u32_e32 v36, v79, v81
	ds_load_b32 v2, v2
	ds_load_b64 v[36:37], v36 offset:4096
	s_waitcnt lgkmcnt(1)
	v_add_nc_u32_e32 v2, v2, v46
	s_delay_alu instid0(VALU_DEP_1) | instskip(NEXT) | instid1(VALU_DEP_1)
	v_lshlrev_b64 v[39:40], 3, v[2:3]
	v_add_co_u32 v39, vcc_lo, s44, v39
	s_delay_alu instid0(VALU_DEP_2)
	v_add_co_ci_u32_e32 v40, vcc_lo, s45, v40, vcc_lo
	s_waitcnt lgkmcnt(0)
	global_store_b64 v[39:40], v[36:37], off
	s_or_b32 exec_lo, exec_lo, s17
	s_and_saveexec_b32 s17, s19
	s_cbranch_execnz .LBB2086_889
.LBB2086_874:                           ;   in Loop: Header=BB2086_696 Depth=2
	s_or_b32 exec_lo, exec_lo, s17
	s_and_saveexec_b32 s17, s20
	s_cbranch_execz .LBB2086_890
.LBB2086_875:                           ;   in Loop: Header=BB2086_696 Depth=2
	v_lshlrev_b32_e32 v2, 2, v140
	v_add_nc_u32_e32 v36, v79, v81
	ds_load_b32 v2, v2
	ds_load_b64 v[36:37], v36 offset:8192
	s_waitcnt lgkmcnt(1)
	v_add_nc_u32_e32 v2, v2, v51
	s_delay_alu instid0(VALU_DEP_1) | instskip(NEXT) | instid1(VALU_DEP_1)
	v_lshlrev_b64 v[39:40], 3, v[2:3]
	v_add_co_u32 v39, vcc_lo, s44, v39
	s_delay_alu instid0(VALU_DEP_2)
	v_add_co_ci_u32_e32 v40, vcc_lo, s45, v40, vcc_lo
	s_waitcnt lgkmcnt(0)
	global_store_b64 v[39:40], v[36:37], off
	s_or_b32 exec_lo, exec_lo, s17
	s_and_saveexec_b32 s17, s21
	s_cbranch_execnz .LBB2086_891
.LBB2086_876:                           ;   in Loop: Header=BB2086_696 Depth=2
	s_or_b32 exec_lo, exec_lo, s17
	s_and_saveexec_b32 s17, s22
	s_cbranch_execz .LBB2086_892
.LBB2086_877:                           ;   in Loop: Header=BB2086_696 Depth=2
	v_lshlrev_b32_e32 v2, 2, v138
	v_add_nc_u32_e32 v36, v79, v81
	ds_load_b32 v2, v2
	ds_load_b64 v[36:37], v36 offset:12288
	s_waitcnt lgkmcnt(1)
	v_add_nc_u32_e32 v2, v2, v53
	s_delay_alu instid0(VALU_DEP_1) | instskip(NEXT) | instid1(VALU_DEP_1)
	v_lshlrev_b64 v[39:40], 3, v[2:3]
	v_add_co_u32 v39, vcc_lo, s44, v39
	s_delay_alu instid0(VALU_DEP_2)
	v_add_co_ci_u32_e32 v40, vcc_lo, s45, v40, vcc_lo
	s_waitcnt lgkmcnt(0)
	global_store_b64 v[39:40], v[36:37], off
	s_or_b32 exec_lo, exec_lo, s17
	s_and_saveexec_b32 s17, s23
	s_cbranch_execnz .LBB2086_893
.LBB2086_878:                           ;   in Loop: Header=BB2086_696 Depth=2
	s_or_b32 exec_lo, exec_lo, s17
	s_and_saveexec_b32 s17, s24
	s_cbranch_execz .LBB2086_894
.LBB2086_879:                           ;   in Loop: Header=BB2086_696 Depth=2
	v_lshlrev_b32_e32 v2, 2, v136
	v_add_nc_u32_e32 v36, v79, v81
	ds_load_b32 v2, v2
	ds_load_b64 v[36:37], v36 offset:16384
	s_waitcnt lgkmcnt(1)
	v_add_nc_u32_e32 v2, v2, v55
	s_delay_alu instid0(VALU_DEP_1) | instskip(NEXT) | instid1(VALU_DEP_1)
	v_lshlrev_b64 v[39:40], 3, v[2:3]
	v_add_co_u32 v39, vcc_lo, s44, v39
	s_delay_alu instid0(VALU_DEP_2)
	v_add_co_ci_u32_e32 v40, vcc_lo, s45, v40, vcc_lo
	s_waitcnt lgkmcnt(0)
	global_store_b64 v[39:40], v[36:37], off
	s_or_b32 exec_lo, exec_lo, s17
	s_and_saveexec_b32 s17, s25
	s_cbranch_execnz .LBB2086_895
.LBB2086_880:                           ;   in Loop: Header=BB2086_696 Depth=2
	s_or_b32 exec_lo, exec_lo, s17
	s_and_saveexec_b32 s17, s26
	s_cbranch_execz .LBB2086_896
.LBB2086_881:                           ;   in Loop: Header=BB2086_696 Depth=2
	v_lshlrev_b32_e32 v2, 2, v134
	v_add_nc_u32_e32 v36, v79, v81
	ds_load_b32 v2, v2
	ds_load_b64 v[36:37], v36 offset:20480
	s_waitcnt lgkmcnt(1)
	v_add_nc_u32_e32 v2, v2, v57
	s_delay_alu instid0(VALU_DEP_1) | instskip(NEXT) | instid1(VALU_DEP_1)
	v_lshlrev_b64 v[39:40], 3, v[2:3]
	v_add_co_u32 v39, vcc_lo, s44, v39
	s_delay_alu instid0(VALU_DEP_2)
	v_add_co_ci_u32_e32 v40, vcc_lo, s45, v40, vcc_lo
	s_waitcnt lgkmcnt(0)
	global_store_b64 v[39:40], v[36:37], off
	s_or_b32 exec_lo, exec_lo, s17
	s_and_saveexec_b32 s17, s27
	s_cbranch_execnz .LBB2086_897
.LBB2086_882:                           ;   in Loop: Header=BB2086_696 Depth=2
	s_or_b32 exec_lo, exec_lo, s17
	s_and_saveexec_b32 s17, s28
	s_cbranch_execz .LBB2086_898
.LBB2086_883:                           ;   in Loop: Header=BB2086_696 Depth=2
	v_lshlrev_b32_e32 v2, 2, v132
	v_add_nc_u32_e32 v36, v79, v81
	ds_load_b32 v2, v2
	ds_load_b64 v[36:37], v36 offset:24576
	s_waitcnt lgkmcnt(1)
	v_add_nc_u32_e32 v2, v2, v59
	s_delay_alu instid0(VALU_DEP_1) | instskip(NEXT) | instid1(VALU_DEP_1)
	v_lshlrev_b64 v[39:40], 3, v[2:3]
	v_add_co_u32 v39, vcc_lo, s44, v39
	s_delay_alu instid0(VALU_DEP_2)
	v_add_co_ci_u32_e32 v40, vcc_lo, s45, v40, vcc_lo
	s_waitcnt lgkmcnt(0)
	global_store_b64 v[39:40], v[36:37], off
	s_or_b32 exec_lo, exec_lo, s17
	s_and_saveexec_b32 s17, s29
	s_cbranch_execnz .LBB2086_899
.LBB2086_884:                           ;   in Loop: Header=BB2086_696 Depth=2
	s_or_b32 exec_lo, exec_lo, s17
	s_and_saveexec_b32 s17, s30
	s_cbranch_execz .LBB2086_900
.LBB2086_885:                           ;   in Loop: Header=BB2086_696 Depth=2
	v_lshlrev_b32_e32 v2, 2, v130
	v_add_nc_u32_e32 v36, v79, v81
	ds_load_b32 v2, v2
	ds_load_b64 v[36:37], v36 offset:28672
	s_waitcnt lgkmcnt(1)
	v_add_nc_u32_e32 v2, v2, v61
	s_delay_alu instid0(VALU_DEP_1) | instskip(NEXT) | instid1(VALU_DEP_1)
	v_lshlrev_b64 v[39:40], 3, v[2:3]
	v_add_co_u32 v39, vcc_lo, s44, v39
	s_delay_alu instid0(VALU_DEP_2)
	v_add_co_ci_u32_e32 v40, vcc_lo, s45, v40, vcc_lo
	s_waitcnt lgkmcnt(0)
	global_store_b64 v[39:40], v[36:37], off
	s_or_b32 exec_lo, exec_lo, s17
	s_and_saveexec_b32 s17, s31
	s_cbranch_execnz .LBB2086_901
	s_branch .LBB2086_902
.LBB2086_886:                           ;   in Loop: Header=BB2086_696 Depth=2
	s_or_b32 exec_lo, exec_lo, s33
	s_and_saveexec_b32 s33, s17
	s_cbranch_execz .LBB2086_872
.LBB2086_887:                           ;   in Loop: Header=BB2086_696 Depth=2
	v_lshlrev_b32_e32 v2, 2, v143
	v_add_nc_u32_e32 v36, v79, v81
	ds_load_b32 v2, v2
	ds_load_b64 v[36:37], v36 offset:2048
	s_waitcnt lgkmcnt(1)
	v_add_nc_u32_e32 v2, v2, v45
	s_delay_alu instid0(VALU_DEP_1) | instskip(NEXT) | instid1(VALU_DEP_1)
	v_lshlrev_b64 v[39:40], 3, v[2:3]
	v_add_co_u32 v39, vcc_lo, s44, v39
	s_delay_alu instid0(VALU_DEP_2)
	v_add_co_ci_u32_e32 v40, vcc_lo, s45, v40, vcc_lo
	s_waitcnt lgkmcnt(0)
	global_store_b64 v[39:40], v[36:37], off
	s_or_b32 exec_lo, exec_lo, s33
	s_and_saveexec_b32 s17, s18
	s_cbranch_execnz .LBB2086_873
.LBB2086_888:                           ;   in Loop: Header=BB2086_696 Depth=2
	s_or_b32 exec_lo, exec_lo, s17
	s_and_saveexec_b32 s17, s19
	s_cbranch_execz .LBB2086_874
.LBB2086_889:                           ;   in Loop: Header=BB2086_696 Depth=2
	v_lshlrev_b32_e32 v2, 2, v141
	v_add_nc_u32_e32 v36, v79, v81
	ds_load_b32 v2, v2
	ds_load_b64 v[36:37], v36 offset:6144
	s_waitcnt lgkmcnt(1)
	v_add_nc_u32_e32 v2, v2, v47
	s_delay_alu instid0(VALU_DEP_1) | instskip(NEXT) | instid1(VALU_DEP_1)
	v_lshlrev_b64 v[39:40], 3, v[2:3]
	v_add_co_u32 v39, vcc_lo, s44, v39
	s_delay_alu instid0(VALU_DEP_2)
	v_add_co_ci_u32_e32 v40, vcc_lo, s45, v40, vcc_lo
	s_waitcnt lgkmcnt(0)
	global_store_b64 v[39:40], v[36:37], off
	s_or_b32 exec_lo, exec_lo, s17
	s_and_saveexec_b32 s17, s20
	s_cbranch_execnz .LBB2086_875
.LBB2086_890:                           ;   in Loop: Header=BB2086_696 Depth=2
	s_or_b32 exec_lo, exec_lo, s17
	s_and_saveexec_b32 s17, s21
	s_cbranch_execz .LBB2086_876
.LBB2086_891:                           ;   in Loop: Header=BB2086_696 Depth=2
	v_lshlrev_b32_e32 v2, 2, v139
	v_add_nc_u32_e32 v36, v79, v81
	ds_load_b32 v2, v2
	ds_load_b64 v[36:37], v36 offset:10240
	s_waitcnt lgkmcnt(1)
	v_add_nc_u32_e32 v2, v2, v52
	s_delay_alu instid0(VALU_DEP_1) | instskip(NEXT) | instid1(VALU_DEP_1)
	v_lshlrev_b64 v[39:40], 3, v[2:3]
	v_add_co_u32 v39, vcc_lo, s44, v39
	s_delay_alu instid0(VALU_DEP_2)
	v_add_co_ci_u32_e32 v40, vcc_lo, s45, v40, vcc_lo
	s_waitcnt lgkmcnt(0)
	global_store_b64 v[39:40], v[36:37], off
	s_or_b32 exec_lo, exec_lo, s17
	s_and_saveexec_b32 s17, s22
	s_cbranch_execnz .LBB2086_877
.LBB2086_892:                           ;   in Loop: Header=BB2086_696 Depth=2
	s_or_b32 exec_lo, exec_lo, s17
	s_and_saveexec_b32 s17, s23
	s_cbranch_execz .LBB2086_878
.LBB2086_893:                           ;   in Loop: Header=BB2086_696 Depth=2
	v_lshlrev_b32_e32 v2, 2, v137
	v_add_nc_u32_e32 v36, v79, v81
	ds_load_b32 v2, v2
	ds_load_b64 v[36:37], v36 offset:14336
	s_waitcnt lgkmcnt(1)
	v_add_nc_u32_e32 v2, v2, v54
	s_delay_alu instid0(VALU_DEP_1) | instskip(NEXT) | instid1(VALU_DEP_1)
	v_lshlrev_b64 v[39:40], 3, v[2:3]
	v_add_co_u32 v39, vcc_lo, s44, v39
	s_delay_alu instid0(VALU_DEP_2)
	v_add_co_ci_u32_e32 v40, vcc_lo, s45, v40, vcc_lo
	s_waitcnt lgkmcnt(0)
	global_store_b64 v[39:40], v[36:37], off
	s_or_b32 exec_lo, exec_lo, s17
	s_and_saveexec_b32 s17, s24
	s_cbranch_execnz .LBB2086_879
.LBB2086_894:                           ;   in Loop: Header=BB2086_696 Depth=2
	s_or_b32 exec_lo, exec_lo, s17
	s_and_saveexec_b32 s17, s25
	s_cbranch_execz .LBB2086_880
.LBB2086_895:                           ;   in Loop: Header=BB2086_696 Depth=2
	v_lshlrev_b32_e32 v2, 2, v135
	v_add_nc_u32_e32 v36, v79, v81
	ds_load_b32 v2, v2
	ds_load_b64 v[36:37], v36 offset:18432
	s_waitcnt lgkmcnt(1)
	v_add_nc_u32_e32 v2, v2, v56
	s_delay_alu instid0(VALU_DEP_1) | instskip(NEXT) | instid1(VALU_DEP_1)
	v_lshlrev_b64 v[39:40], 3, v[2:3]
	v_add_co_u32 v39, vcc_lo, s44, v39
	s_delay_alu instid0(VALU_DEP_2)
	v_add_co_ci_u32_e32 v40, vcc_lo, s45, v40, vcc_lo
	s_waitcnt lgkmcnt(0)
	global_store_b64 v[39:40], v[36:37], off
	s_or_b32 exec_lo, exec_lo, s17
	s_and_saveexec_b32 s17, s26
	s_cbranch_execnz .LBB2086_881
.LBB2086_896:                           ;   in Loop: Header=BB2086_696 Depth=2
	s_or_b32 exec_lo, exec_lo, s17
	s_and_saveexec_b32 s17, s27
	s_cbranch_execz .LBB2086_882
.LBB2086_897:                           ;   in Loop: Header=BB2086_696 Depth=2
	v_lshlrev_b32_e32 v2, 2, v133
	v_add_nc_u32_e32 v36, v79, v81
	ds_load_b32 v2, v2
	ds_load_b64 v[36:37], v36 offset:22528
	s_waitcnt lgkmcnt(1)
	v_add_nc_u32_e32 v2, v2, v58
	s_delay_alu instid0(VALU_DEP_1) | instskip(NEXT) | instid1(VALU_DEP_1)
	v_lshlrev_b64 v[39:40], 3, v[2:3]
	v_add_co_u32 v39, vcc_lo, s44, v39
	s_delay_alu instid0(VALU_DEP_2)
	v_add_co_ci_u32_e32 v40, vcc_lo, s45, v40, vcc_lo
	s_waitcnt lgkmcnt(0)
	global_store_b64 v[39:40], v[36:37], off
	s_or_b32 exec_lo, exec_lo, s17
	s_and_saveexec_b32 s17, s28
	s_cbranch_execnz .LBB2086_883
.LBB2086_898:                           ;   in Loop: Header=BB2086_696 Depth=2
	s_or_b32 exec_lo, exec_lo, s17
	s_and_saveexec_b32 s17, s29
	s_cbranch_execz .LBB2086_884
.LBB2086_899:                           ;   in Loop: Header=BB2086_696 Depth=2
	v_lshlrev_b32_e32 v2, 2, v131
	v_add_nc_u32_e32 v36, v79, v81
	ds_load_b32 v2, v2
	ds_load_b64 v[36:37], v36 offset:26624
	s_waitcnt lgkmcnt(1)
	v_add_nc_u32_e32 v2, v2, v60
	s_delay_alu instid0(VALU_DEP_1) | instskip(NEXT) | instid1(VALU_DEP_1)
	v_lshlrev_b64 v[39:40], 3, v[2:3]
	v_add_co_u32 v39, vcc_lo, s44, v39
	s_delay_alu instid0(VALU_DEP_2)
	v_add_co_ci_u32_e32 v40, vcc_lo, s45, v40, vcc_lo
	s_waitcnt lgkmcnt(0)
	global_store_b64 v[39:40], v[36:37], off
	s_or_b32 exec_lo, exec_lo, s17
	s_and_saveexec_b32 s17, s30
	s_cbranch_execnz .LBB2086_885
.LBB2086_900:                           ;   in Loop: Header=BB2086_696 Depth=2
	s_or_b32 exec_lo, exec_lo, s17
	s_and_saveexec_b32 s17, s31
	s_cbranch_execz .LBB2086_902
.LBB2086_901:                           ;   in Loop: Header=BB2086_696 Depth=2
	v_lshlrev_b32_e32 v2, 2, v129
	v_add_nc_u32_e32 v36, v79, v81
	ds_load_b32 v2, v2
	ds_load_b64 v[36:37], v36 offset:30720
	s_waitcnt lgkmcnt(1)
	v_add_nc_u32_e32 v2, v2, v63
	s_delay_alu instid0(VALU_DEP_1) | instskip(NEXT) | instid1(VALU_DEP_1)
	v_lshlrev_b64 v[39:40], 3, v[2:3]
	v_add_co_u32 v39, vcc_lo, s44, v39
	s_delay_alu instid0(VALU_DEP_2)
	v_add_co_ci_u32_e32 v40, vcc_lo, s45, v40, vcc_lo
	s_waitcnt lgkmcnt(0)
	global_store_b64 v[39:40], v[36:37], off
.LBB2086_902:                           ;   in Loop: Header=BB2086_696 Depth=2
	s_or_b32 exec_lo, exec_lo, s17
	s_waitcnt_vscnt null, 0x0
	s_barrier
	buffer_gl0_inv
	s_and_saveexec_b32 s17, s2
	s_cbranch_execz .LBB2086_695
; %bb.903:                              ;   in Loop: Header=BB2086_696 Depth=2
	ds_load_b32 v2, v44
	s_waitcnt lgkmcnt(0)
	v_add_nc_u32_e32 v2, v2, v38
	ds_store_b32 v44, v2
	s_branch .LBB2086_695
.LBB2086_904:                           ;   in Loop: Header=BB2086_20 Depth=1
	s_waitcnt lgkmcnt(0)
	s_mov_b32 s0, 0
	s_barrier
.LBB2086_905:                           ;   in Loop: Header=BB2086_20 Depth=1
	s_and_b32 vcc_lo, exec_lo, s0
	s_cbranch_vccz .LBB2086_19
; %bb.906:                              ;   in Loop: Header=BB2086_20 Depth=1
	s_mov_b32 s8, s54
	s_mov_b32 s34, s52
	s_barrier
	buffer_gl0_inv
                                        ; implicit-def: $vgpr20
                                        ; implicit-def: $vgpr2
                                        ; implicit-def: $vgpr6
                                        ; implicit-def: $vgpr7
                                        ; implicit-def: $vgpr8
                                        ; implicit-def: $vgpr9
                                        ; implicit-def: $vgpr10
                                        ; implicit-def: $vgpr11
                                        ; implicit-def: $vgpr12
                                        ; implicit-def: $vgpr13
                                        ; implicit-def: $vgpr14
                                        ; implicit-def: $vgpr15
                                        ; implicit-def: $vgpr16
                                        ; implicit-def: $vgpr17
                                        ; implicit-def: $vgpr18
                                        ; implicit-def: $vgpr19
	s_branch .LBB2086_908
.LBB2086_907:                           ;   in Loop: Header=BB2086_908 Depth=2
	s_or_b32 exec_lo, exec_lo, s0
	s_addk_i32 s8, 0xf000
	s_cmp_ge_u32 s9, s53
	s_mov_b32 s34, s9
	s_cbranch_scc1 .LBB2086_978
.LBB2086_908:                           ;   Parent Loop BB2086_20 Depth=1
                                        ; =>  This Inner Loop Header: Depth=2
	s_add_i32 s9, s34, 0x1000
	s_delay_alu instid0(SALU_CYCLE_1)
	s_cmp_gt_u32 s9, s53
	s_cbranch_scc1 .LBB2086_911
; %bb.909:                              ;   in Loop: Header=BB2086_908 Depth=2
	s_mov_b32 s1, 0
	s_mov_b32 s0, s34
	s_delay_alu instid0(SALU_CYCLE_1) | instskip(NEXT) | instid1(SALU_CYCLE_1)
	s_lshl_b64 s[10:11], s[0:1], 1
	v_add_co_u32 v4, vcc_lo, v88, s10
	v_add_co_ci_u32_e32 v5, vcc_lo, s11, v89, vcc_lo
	s_movk_i32 s11, 0x1000
	s_waitcnt vmcnt(0)
	s_delay_alu instid0(VALU_DEP_2) | instskip(NEXT) | instid1(VALU_DEP_2)
	v_add_co_u32 v36, vcc_lo, 0x1000, v4
	v_add_co_ci_u32_e32 v37, vcc_lo, 0, v5, vcc_lo
	s_clause 0xe
	global_load_u16 v22, v[4:5], off
	global_load_u16 v23, v[4:5], off offset:512
	global_load_u16 v24, v[4:5], off offset:1024
	;; [unrolled: 1-line block ×7, first 2 shown]
	global_load_u16 v30, v[36:37], off
	global_load_u16 v31, v[36:37], off offset:512
	global_load_u16 v32, v[36:37], off offset:1024
	;; [unrolled: 1-line block ×6, first 2 shown]
	v_add_co_u32 v4, vcc_lo, 0x1e00, v4
	v_add_co_ci_u32_e32 v5, vcc_lo, 0, v5, vcc_lo
	s_mov_b32 s10, -1
	s_cbranch_execz .LBB2086_912
; %bb.910:                              ;   in Loop: Header=BB2086_908 Depth=2
                                        ; implicit-def: $vgpr19
                                        ; implicit-def: $vgpr18
                                        ; implicit-def: $vgpr17
                                        ; implicit-def: $vgpr16
                                        ; implicit-def: $vgpr15
                                        ; implicit-def: $vgpr14
                                        ; implicit-def: $vgpr13
                                        ; implicit-def: $vgpr12
                                        ; implicit-def: $vgpr11
                                        ; implicit-def: $vgpr10
                                        ; implicit-def: $vgpr9
                                        ; implicit-def: $vgpr8
                                        ; implicit-def: $vgpr7
                                        ; implicit-def: $vgpr6
                                        ; implicit-def: $vgpr2
                                        ; implicit-def: $vgpr20
	v_mov_b32_e32 v21, s8
	s_and_saveexec_b32 s0, s10
	s_cbranch_execnz .LBB2086_931
	s_branch .LBB2086_932
.LBB2086_911:                           ;   in Loop: Header=BB2086_908 Depth=2
	s_mov_b32 s10, 0
                                        ; implicit-def: $sgpr11
                                        ; implicit-def: $vgpr22
                                        ; implicit-def: $vgpr23
                                        ; implicit-def: $vgpr24
                                        ; implicit-def: $vgpr25
                                        ; implicit-def: $vgpr26
                                        ; implicit-def: $vgpr27
                                        ; implicit-def: $vgpr28
                                        ; implicit-def: $vgpr29
                                        ; implicit-def: $vgpr30
                                        ; implicit-def: $vgpr31
                                        ; implicit-def: $vgpr32
                                        ; implicit-def: $vgpr33
                                        ; implicit-def: $vgpr34
                                        ; implicit-def: $vgpr35
                                        ; implicit-def: $vgpr36
                                        ; implicit-def: $vgpr4_vgpr5
.LBB2086_912:                           ;   in Loop: Header=BB2086_908 Depth=2
	s_lshl_b64 s[0:1], s[34:35], 1
	s_mov_b32 s11, exec_lo
	s_add_u32 s0, s36, s0
	s_addc_u32 s1, s37, s1
	v_cmpx_gt_u32_e64 s8, v1
	s_cbranch_execz .LBB2086_964
; %bb.913:                              ;   in Loop: Header=BB2086_908 Depth=2
	global_load_u16 v19, v95, s[0:1]
	s_or_b32 exec_lo, exec_lo, s11
	s_delay_alu instid0(SALU_CYCLE_1)
	s_mov_b32 s11, exec_lo
	v_cmpx_gt_u32_e64 s8, v45
	s_cbranch_execnz .LBB2086_965
.LBB2086_914:                           ;   in Loop: Header=BB2086_908 Depth=2
	s_or_b32 exec_lo, exec_lo, s11
	s_delay_alu instid0(SALU_CYCLE_1)
	s_mov_b32 s11, exec_lo
	v_cmpx_gt_u32_e64 s8, v46
	s_cbranch_execz .LBB2086_966
.LBB2086_915:                           ;   in Loop: Header=BB2086_908 Depth=2
	global_load_u16 v17, v95, s[0:1] offset:1024
	s_or_b32 exec_lo, exec_lo, s11
	s_delay_alu instid0(SALU_CYCLE_1)
	s_mov_b32 s11, exec_lo
	v_cmpx_gt_u32_e64 s8, v47
	s_cbranch_execnz .LBB2086_967
.LBB2086_916:                           ;   in Loop: Header=BB2086_908 Depth=2
	s_or_b32 exec_lo, exec_lo, s11
	s_delay_alu instid0(SALU_CYCLE_1)
	s_mov_b32 s11, exec_lo
	v_cmpx_gt_u32_e64 s8, v51
	s_cbranch_execz .LBB2086_968
.LBB2086_917:                           ;   in Loop: Header=BB2086_908 Depth=2
	global_load_u16 v15, v95, s[0:1] offset:2048
	s_or_b32 exec_lo, exec_lo, s11
	s_delay_alu instid0(SALU_CYCLE_1)
	s_mov_b32 s11, exec_lo
	v_cmpx_gt_u32_e64 s8, v52
	s_cbranch_execnz .LBB2086_969
.LBB2086_918:                           ;   in Loop: Header=BB2086_908 Depth=2
	s_or_b32 exec_lo, exec_lo, s11
	s_delay_alu instid0(SALU_CYCLE_1)
	s_mov_b32 s11, exec_lo
	v_cmpx_gt_u32_e64 s8, v53
	s_cbranch_execz .LBB2086_970
.LBB2086_919:                           ;   in Loop: Header=BB2086_908 Depth=2
	global_load_u16 v13, v95, s[0:1] offset:3072
	s_or_b32 exec_lo, exec_lo, s11
	s_delay_alu instid0(SALU_CYCLE_1)
	s_mov_b32 s11, exec_lo
	v_cmpx_gt_u32_e64 s8, v54
	s_cbranch_execnz .LBB2086_971
.LBB2086_920:                           ;   in Loop: Header=BB2086_908 Depth=2
	s_or_b32 exec_lo, exec_lo, s11
	s_delay_alu instid0(SALU_CYCLE_1)
	s_mov_b32 s11, exec_lo
	v_cmpx_gt_u32_e64 s8, v55
	s_cbranch_execz .LBB2086_972
.LBB2086_921:                           ;   in Loop: Header=BB2086_908 Depth=2
	global_load_u16 v11, v96, s[0:1]
	s_or_b32 exec_lo, exec_lo, s11
	s_delay_alu instid0(SALU_CYCLE_1)
	s_mov_b32 s11, exec_lo
	v_cmpx_gt_u32_e64 s8, v56
	s_cbranch_execnz .LBB2086_973
.LBB2086_922:                           ;   in Loop: Header=BB2086_908 Depth=2
	s_or_b32 exec_lo, exec_lo, s11
	s_delay_alu instid0(SALU_CYCLE_1)
	s_mov_b32 s11, exec_lo
	v_cmpx_gt_u32_e64 s8, v57
	s_cbranch_execz .LBB2086_974
.LBB2086_923:                           ;   in Loop: Header=BB2086_908 Depth=2
	global_load_u16 v9, v98, s[0:1]
	s_or_b32 exec_lo, exec_lo, s11
	s_delay_alu instid0(SALU_CYCLE_1)
	s_mov_b32 s11, exec_lo
	v_cmpx_gt_u32_e64 s8, v58
	s_cbranch_execnz .LBB2086_975
.LBB2086_924:                           ;   in Loop: Header=BB2086_908 Depth=2
	s_or_b32 exec_lo, exec_lo, s11
	s_delay_alu instid0(SALU_CYCLE_1)
	s_mov_b32 s11, exec_lo
	v_cmpx_gt_u32_e64 s8, v59
	s_cbranch_execz .LBB2086_976
.LBB2086_925:                           ;   in Loop: Header=BB2086_908 Depth=2
	global_load_u16 v7, v100, s[0:1]
	s_or_b32 exec_lo, exec_lo, s11
	s_delay_alu instid0(SALU_CYCLE_1)
	s_mov_b32 s11, exec_lo
	v_cmpx_gt_u32_e64 s8, v60
	s_cbranch_execnz .LBB2086_977
.LBB2086_926:                           ;   in Loop: Header=BB2086_908 Depth=2
	s_or_b32 exec_lo, exec_lo, s11
	s_delay_alu instid0(SALU_CYCLE_1)
	s_mov_b32 s11, exec_lo
	v_cmpx_gt_u32_e64 s8, v61
	s_cbranch_execz .LBB2086_928
.LBB2086_927:                           ;   in Loop: Header=BB2086_908 Depth=2
	global_load_u16 v2, v102, s[0:1]
.LBB2086_928:                           ;   in Loop: Header=BB2086_908 Depth=2
	s_or_b32 exec_lo, exec_lo, s11
	s_delay_alu instid0(SALU_CYCLE_1)
	s_mov_b32 s12, exec_lo
                                        ; implicit-def: $sgpr11
                                        ; implicit-def: $vgpr4_vgpr5
	v_cmpx_gt_u32_e64 s8, v63
; %bb.929:                              ;   in Loop: Header=BB2086_908 Depth=2
	v_add_co_u32 v4, s0, s0, v103
	s_delay_alu instid0(VALU_DEP_1)
	v_add_co_ci_u32_e64 v5, null, s1, 0, s0
	s_sub_i32 s11, s53, s34
	s_or_b32 s10, s10, exec_lo
                                        ; implicit-def: $vgpr20
; %bb.930:                              ;   in Loop: Header=BB2086_908 Depth=2
	s_or_b32 exec_lo, exec_lo, s12
	s_waitcnt vmcnt(0)
	v_dual_mov_b32 v22, v19 :: v_dual_mov_b32 v23, v18
	v_dual_mov_b32 v24, v17 :: v_dual_mov_b32 v25, v16
	;; [unrolled: 1-line block ×8, first 2 shown]
	s_and_saveexec_b32 s0, s10
	s_cbranch_execz .LBB2086_932
.LBB2086_931:                           ;   in Loop: Header=BB2086_908 Depth=2
	global_load_u16 v20, v[4:5], off
	s_waitcnt vmcnt(1)
	v_dual_mov_b32 v21, s11 :: v_dual_mov_b32 v2, v36
	v_dual_mov_b32 v6, v35 :: v_dual_mov_b32 v7, v34
	;; [unrolled: 1-line block ×8, first 2 shown]
.LBB2086_932:                           ;   in Loop: Header=BB2086_908 Depth=2
	s_or_b32 exec_lo, exec_lo, s0
	v_lshlrev_b32_e32 v4, 2, v48
	s_mov_b32 s0, exec_lo
	v_cmpx_lt_u32_e64 v1, v21
	s_cbranch_execz .LBB2086_948
; %bb.933:                              ;   in Loop: Header=BB2086_908 Depth=2
	v_cmp_lt_i16_e32 vcc_lo, -1, v19
	v_cndmask_b32_e64 v5, -1, 0xffff8000, vcc_lo
	s_delay_alu instid0(VALU_DEP_1) | instskip(NEXT) | instid1(VALU_DEP_1)
	v_xor_b32_e32 v5, v5, v19
	v_cmp_ne_u16_e32 vcc_lo, 0x7fff, v5
	v_cndmask_b32_e32 v5, 0xffff8000, v5, vcc_lo
	s_delay_alu instid0(VALU_DEP_1) | instskip(NEXT) | instid1(VALU_DEP_1)
	v_and_b32_e32 v5, 0xffff, v5
	v_lshrrev_b32_e32 v5, s49, v5
	s_delay_alu instid0(VALU_DEP_1) | instskip(NEXT) | instid1(VALU_DEP_1)
	v_and_b32_e32 v5, s55, v5
	v_lshl_or_b32 v5, v5, 4, v4
	ds_add_u32 v5, v94
	s_or_b32 exec_lo, exec_lo, s0
	s_delay_alu instid0(SALU_CYCLE_1)
	s_mov_b32 s0, exec_lo
	v_cmpx_lt_u32_e64 v45, v21
	s_cbranch_execnz .LBB2086_949
.LBB2086_934:                           ;   in Loop: Header=BB2086_908 Depth=2
	s_or_b32 exec_lo, exec_lo, s0
	s_delay_alu instid0(SALU_CYCLE_1)
	s_mov_b32 s0, exec_lo
	v_cmpx_lt_u32_e64 v46, v21
	s_cbranch_execz .LBB2086_950
.LBB2086_935:                           ;   in Loop: Header=BB2086_908 Depth=2
	v_cmp_lt_i16_e32 vcc_lo, -1, v17
	v_cndmask_b32_e64 v5, -1, 0xffff8000, vcc_lo
	s_delay_alu instid0(VALU_DEP_1) | instskip(NEXT) | instid1(VALU_DEP_1)
	v_xor_b32_e32 v5, v5, v17
	v_cmp_ne_u16_e32 vcc_lo, 0x7fff, v5
	v_cndmask_b32_e32 v5, 0xffff8000, v5, vcc_lo
	s_delay_alu instid0(VALU_DEP_1) | instskip(NEXT) | instid1(VALU_DEP_1)
	v_and_b32_e32 v5, 0xffff, v5
	v_lshrrev_b32_e32 v5, s49, v5
	s_delay_alu instid0(VALU_DEP_1) | instskip(NEXT) | instid1(VALU_DEP_1)
	v_and_b32_e32 v5, s55, v5
	v_lshl_or_b32 v5, v5, 4, v4
	ds_add_u32 v5, v94
	s_or_b32 exec_lo, exec_lo, s0
	s_delay_alu instid0(SALU_CYCLE_1)
	s_mov_b32 s0, exec_lo
	v_cmpx_lt_u32_e64 v47, v21
	s_cbranch_execnz .LBB2086_951
.LBB2086_936:                           ;   in Loop: Header=BB2086_908 Depth=2
	s_or_b32 exec_lo, exec_lo, s0
	s_delay_alu instid0(SALU_CYCLE_1)
	s_mov_b32 s0, exec_lo
	v_cmpx_lt_u32_e64 v51, v21
	s_cbranch_execz .LBB2086_952
.LBB2086_937:                           ;   in Loop: Header=BB2086_908 Depth=2
	v_cmp_lt_i16_e32 vcc_lo, -1, v15
	v_cndmask_b32_e64 v5, -1, 0xffff8000, vcc_lo
	s_delay_alu instid0(VALU_DEP_1) | instskip(NEXT) | instid1(VALU_DEP_1)
	v_xor_b32_e32 v5, v5, v15
	v_cmp_ne_u16_e32 vcc_lo, 0x7fff, v5
	v_cndmask_b32_e32 v5, 0xffff8000, v5, vcc_lo
	s_delay_alu instid0(VALU_DEP_1) | instskip(NEXT) | instid1(VALU_DEP_1)
	v_and_b32_e32 v5, 0xffff, v5
	v_lshrrev_b32_e32 v5, s49, v5
	s_delay_alu instid0(VALU_DEP_1) | instskip(NEXT) | instid1(VALU_DEP_1)
	v_and_b32_e32 v5, s55, v5
	v_lshl_or_b32 v5, v5, 4, v4
	ds_add_u32 v5, v94
	s_or_b32 exec_lo, exec_lo, s0
	s_delay_alu instid0(SALU_CYCLE_1)
	s_mov_b32 s0, exec_lo
	v_cmpx_lt_u32_e64 v52, v21
	s_cbranch_execnz .LBB2086_953
.LBB2086_938:                           ;   in Loop: Header=BB2086_908 Depth=2
	s_or_b32 exec_lo, exec_lo, s0
	s_delay_alu instid0(SALU_CYCLE_1)
	s_mov_b32 s0, exec_lo
	v_cmpx_lt_u32_e64 v53, v21
	s_cbranch_execz .LBB2086_954
.LBB2086_939:                           ;   in Loop: Header=BB2086_908 Depth=2
	v_cmp_lt_i16_e32 vcc_lo, -1, v13
	v_cndmask_b32_e64 v5, -1, 0xffff8000, vcc_lo
	s_delay_alu instid0(VALU_DEP_1) | instskip(NEXT) | instid1(VALU_DEP_1)
	v_xor_b32_e32 v5, v5, v13
	v_cmp_ne_u16_e32 vcc_lo, 0x7fff, v5
	v_cndmask_b32_e32 v5, 0xffff8000, v5, vcc_lo
	s_delay_alu instid0(VALU_DEP_1) | instskip(NEXT) | instid1(VALU_DEP_1)
	v_and_b32_e32 v5, 0xffff, v5
	v_lshrrev_b32_e32 v5, s49, v5
	s_delay_alu instid0(VALU_DEP_1) | instskip(NEXT) | instid1(VALU_DEP_1)
	v_and_b32_e32 v5, s55, v5
	v_lshl_or_b32 v5, v5, 4, v4
	ds_add_u32 v5, v94
	s_or_b32 exec_lo, exec_lo, s0
	s_delay_alu instid0(SALU_CYCLE_1)
	s_mov_b32 s0, exec_lo
	v_cmpx_lt_u32_e64 v54, v21
	s_cbranch_execnz .LBB2086_955
.LBB2086_940:                           ;   in Loop: Header=BB2086_908 Depth=2
	s_or_b32 exec_lo, exec_lo, s0
	s_delay_alu instid0(SALU_CYCLE_1)
	s_mov_b32 s0, exec_lo
	v_cmpx_lt_u32_e64 v55, v21
	s_cbranch_execz .LBB2086_956
.LBB2086_941:                           ;   in Loop: Header=BB2086_908 Depth=2
	v_cmp_lt_i16_e32 vcc_lo, -1, v11
	v_cndmask_b32_e64 v5, -1, 0xffff8000, vcc_lo
	s_delay_alu instid0(VALU_DEP_1) | instskip(NEXT) | instid1(VALU_DEP_1)
	v_xor_b32_e32 v5, v5, v11
	v_cmp_ne_u16_e32 vcc_lo, 0x7fff, v5
	v_cndmask_b32_e32 v5, 0xffff8000, v5, vcc_lo
	s_delay_alu instid0(VALU_DEP_1) | instskip(NEXT) | instid1(VALU_DEP_1)
	v_and_b32_e32 v5, 0xffff, v5
	v_lshrrev_b32_e32 v5, s49, v5
	s_delay_alu instid0(VALU_DEP_1) | instskip(NEXT) | instid1(VALU_DEP_1)
	v_and_b32_e32 v5, s55, v5
	v_lshl_or_b32 v5, v5, 4, v4
	ds_add_u32 v5, v94
	s_or_b32 exec_lo, exec_lo, s0
	s_delay_alu instid0(SALU_CYCLE_1)
	s_mov_b32 s0, exec_lo
	v_cmpx_lt_u32_e64 v56, v21
	s_cbranch_execnz .LBB2086_957
.LBB2086_942:                           ;   in Loop: Header=BB2086_908 Depth=2
	s_or_b32 exec_lo, exec_lo, s0
	s_delay_alu instid0(SALU_CYCLE_1)
	s_mov_b32 s0, exec_lo
	v_cmpx_lt_u32_e64 v57, v21
	s_cbranch_execz .LBB2086_958
.LBB2086_943:                           ;   in Loop: Header=BB2086_908 Depth=2
	v_cmp_lt_i16_e32 vcc_lo, -1, v9
	v_cndmask_b32_e64 v5, -1, 0xffff8000, vcc_lo
	s_delay_alu instid0(VALU_DEP_1) | instskip(NEXT) | instid1(VALU_DEP_1)
	v_xor_b32_e32 v5, v5, v9
	v_cmp_ne_u16_e32 vcc_lo, 0x7fff, v5
	v_cndmask_b32_e32 v5, 0xffff8000, v5, vcc_lo
	s_delay_alu instid0(VALU_DEP_1) | instskip(NEXT) | instid1(VALU_DEP_1)
	v_and_b32_e32 v5, 0xffff, v5
	v_lshrrev_b32_e32 v5, s49, v5
	s_delay_alu instid0(VALU_DEP_1) | instskip(NEXT) | instid1(VALU_DEP_1)
	v_and_b32_e32 v5, s55, v5
	v_lshl_or_b32 v5, v5, 4, v4
	ds_add_u32 v5, v94
	s_or_b32 exec_lo, exec_lo, s0
	s_delay_alu instid0(SALU_CYCLE_1)
	s_mov_b32 s0, exec_lo
	v_cmpx_lt_u32_e64 v58, v21
	s_cbranch_execnz .LBB2086_959
.LBB2086_944:                           ;   in Loop: Header=BB2086_908 Depth=2
	s_or_b32 exec_lo, exec_lo, s0
	s_delay_alu instid0(SALU_CYCLE_1)
	s_mov_b32 s0, exec_lo
	v_cmpx_lt_u32_e64 v59, v21
	s_cbranch_execz .LBB2086_960
.LBB2086_945:                           ;   in Loop: Header=BB2086_908 Depth=2
	v_cmp_lt_i16_e32 vcc_lo, -1, v7
	v_cndmask_b32_e64 v5, -1, 0xffff8000, vcc_lo
	s_delay_alu instid0(VALU_DEP_1) | instskip(NEXT) | instid1(VALU_DEP_1)
	v_xor_b32_e32 v5, v5, v7
	v_cmp_ne_u16_e32 vcc_lo, 0x7fff, v5
	v_cndmask_b32_e32 v5, 0xffff8000, v5, vcc_lo
	s_delay_alu instid0(VALU_DEP_1) | instskip(NEXT) | instid1(VALU_DEP_1)
	v_and_b32_e32 v5, 0xffff, v5
	v_lshrrev_b32_e32 v5, s49, v5
	s_delay_alu instid0(VALU_DEP_1) | instskip(NEXT) | instid1(VALU_DEP_1)
	v_and_b32_e32 v5, s55, v5
	v_lshl_or_b32 v5, v5, 4, v4
	ds_add_u32 v5, v94
	s_or_b32 exec_lo, exec_lo, s0
	s_delay_alu instid0(SALU_CYCLE_1)
	s_mov_b32 s0, exec_lo
	v_cmpx_lt_u32_e64 v60, v21
	s_cbranch_execnz .LBB2086_961
.LBB2086_946:                           ;   in Loop: Header=BB2086_908 Depth=2
	s_or_b32 exec_lo, exec_lo, s0
	s_delay_alu instid0(SALU_CYCLE_1)
	s_mov_b32 s0, exec_lo
	v_cmpx_lt_u32_e64 v61, v21
	s_cbranch_execz .LBB2086_962
.LBB2086_947:                           ;   in Loop: Header=BB2086_908 Depth=2
	v_cmp_lt_i16_e32 vcc_lo, -1, v2
	v_cndmask_b32_e64 v5, -1, 0xffff8000, vcc_lo
	s_delay_alu instid0(VALU_DEP_1) | instskip(NEXT) | instid1(VALU_DEP_1)
	v_xor_b32_e32 v5, v5, v2
	v_cmp_ne_u16_e32 vcc_lo, 0x7fff, v5
	v_cndmask_b32_e32 v5, 0xffff8000, v5, vcc_lo
	s_delay_alu instid0(VALU_DEP_1) | instskip(NEXT) | instid1(VALU_DEP_1)
	v_and_b32_e32 v5, 0xffff, v5
	v_lshrrev_b32_e32 v5, s49, v5
	s_delay_alu instid0(VALU_DEP_1) | instskip(NEXT) | instid1(VALU_DEP_1)
	v_and_b32_e32 v5, s55, v5
	v_lshl_or_b32 v5, v5, 4, v4
	ds_add_u32 v5, v94
	s_or_b32 exec_lo, exec_lo, s0
	s_delay_alu instid0(SALU_CYCLE_1)
	s_mov_b32 s0, exec_lo
	v_cmpx_lt_u32_e64 v63, v21
	s_cbranch_execz .LBB2086_907
	s_branch .LBB2086_963
.LBB2086_948:                           ;   in Loop: Header=BB2086_908 Depth=2
	s_or_b32 exec_lo, exec_lo, s0
	s_delay_alu instid0(SALU_CYCLE_1)
	s_mov_b32 s0, exec_lo
	v_cmpx_lt_u32_e64 v45, v21
	s_cbranch_execz .LBB2086_934
.LBB2086_949:                           ;   in Loop: Header=BB2086_908 Depth=2
	v_cmp_lt_i16_e32 vcc_lo, -1, v18
	v_cndmask_b32_e64 v5, -1, 0xffff8000, vcc_lo
	s_delay_alu instid0(VALU_DEP_1) | instskip(NEXT) | instid1(VALU_DEP_1)
	v_xor_b32_e32 v5, v5, v18
	v_cmp_ne_u16_e32 vcc_lo, 0x7fff, v5
	v_cndmask_b32_e32 v5, 0xffff8000, v5, vcc_lo
	s_delay_alu instid0(VALU_DEP_1) | instskip(NEXT) | instid1(VALU_DEP_1)
	v_and_b32_e32 v5, 0xffff, v5
	v_lshrrev_b32_e32 v5, s49, v5
	s_delay_alu instid0(VALU_DEP_1) | instskip(NEXT) | instid1(VALU_DEP_1)
	v_and_b32_e32 v5, s55, v5
	v_lshl_or_b32 v5, v5, 4, v4
	ds_add_u32 v5, v94
	s_or_b32 exec_lo, exec_lo, s0
	s_delay_alu instid0(SALU_CYCLE_1)
	s_mov_b32 s0, exec_lo
	v_cmpx_lt_u32_e64 v46, v21
	s_cbranch_execnz .LBB2086_935
.LBB2086_950:                           ;   in Loop: Header=BB2086_908 Depth=2
	s_or_b32 exec_lo, exec_lo, s0
	s_delay_alu instid0(SALU_CYCLE_1)
	s_mov_b32 s0, exec_lo
	v_cmpx_lt_u32_e64 v47, v21
	s_cbranch_execz .LBB2086_936
.LBB2086_951:                           ;   in Loop: Header=BB2086_908 Depth=2
	v_cmp_lt_i16_e32 vcc_lo, -1, v16
	v_cndmask_b32_e64 v5, -1, 0xffff8000, vcc_lo
	s_delay_alu instid0(VALU_DEP_1) | instskip(NEXT) | instid1(VALU_DEP_1)
	v_xor_b32_e32 v5, v5, v16
	v_cmp_ne_u16_e32 vcc_lo, 0x7fff, v5
	v_cndmask_b32_e32 v5, 0xffff8000, v5, vcc_lo
	s_delay_alu instid0(VALU_DEP_1) | instskip(NEXT) | instid1(VALU_DEP_1)
	v_and_b32_e32 v5, 0xffff, v5
	v_lshrrev_b32_e32 v5, s49, v5
	s_delay_alu instid0(VALU_DEP_1) | instskip(NEXT) | instid1(VALU_DEP_1)
	v_and_b32_e32 v5, s55, v5
	v_lshl_or_b32 v5, v5, 4, v4
	ds_add_u32 v5, v94
	s_or_b32 exec_lo, exec_lo, s0
	s_delay_alu instid0(SALU_CYCLE_1)
	s_mov_b32 s0, exec_lo
	v_cmpx_lt_u32_e64 v51, v21
	s_cbranch_execnz .LBB2086_937
.LBB2086_952:                           ;   in Loop: Header=BB2086_908 Depth=2
	s_or_b32 exec_lo, exec_lo, s0
	s_delay_alu instid0(SALU_CYCLE_1)
	s_mov_b32 s0, exec_lo
	v_cmpx_lt_u32_e64 v52, v21
	s_cbranch_execz .LBB2086_938
.LBB2086_953:                           ;   in Loop: Header=BB2086_908 Depth=2
	v_cmp_lt_i16_e32 vcc_lo, -1, v14
	v_cndmask_b32_e64 v5, -1, 0xffff8000, vcc_lo
	s_delay_alu instid0(VALU_DEP_1) | instskip(NEXT) | instid1(VALU_DEP_1)
	v_xor_b32_e32 v5, v5, v14
	v_cmp_ne_u16_e32 vcc_lo, 0x7fff, v5
	v_cndmask_b32_e32 v5, 0xffff8000, v5, vcc_lo
	s_delay_alu instid0(VALU_DEP_1) | instskip(NEXT) | instid1(VALU_DEP_1)
	v_and_b32_e32 v5, 0xffff, v5
	v_lshrrev_b32_e32 v5, s49, v5
	s_delay_alu instid0(VALU_DEP_1) | instskip(NEXT) | instid1(VALU_DEP_1)
	v_and_b32_e32 v5, s55, v5
	v_lshl_or_b32 v5, v5, 4, v4
	ds_add_u32 v5, v94
	s_or_b32 exec_lo, exec_lo, s0
	s_delay_alu instid0(SALU_CYCLE_1)
	s_mov_b32 s0, exec_lo
	v_cmpx_lt_u32_e64 v53, v21
	s_cbranch_execnz .LBB2086_939
.LBB2086_954:                           ;   in Loop: Header=BB2086_908 Depth=2
	s_or_b32 exec_lo, exec_lo, s0
	s_delay_alu instid0(SALU_CYCLE_1)
	s_mov_b32 s0, exec_lo
	v_cmpx_lt_u32_e64 v54, v21
	s_cbranch_execz .LBB2086_940
.LBB2086_955:                           ;   in Loop: Header=BB2086_908 Depth=2
	v_cmp_lt_i16_e32 vcc_lo, -1, v12
	v_cndmask_b32_e64 v5, -1, 0xffff8000, vcc_lo
	s_delay_alu instid0(VALU_DEP_1) | instskip(NEXT) | instid1(VALU_DEP_1)
	v_xor_b32_e32 v5, v5, v12
	v_cmp_ne_u16_e32 vcc_lo, 0x7fff, v5
	v_cndmask_b32_e32 v5, 0xffff8000, v5, vcc_lo
	s_delay_alu instid0(VALU_DEP_1) | instskip(NEXT) | instid1(VALU_DEP_1)
	v_and_b32_e32 v5, 0xffff, v5
	v_lshrrev_b32_e32 v5, s49, v5
	s_delay_alu instid0(VALU_DEP_1) | instskip(NEXT) | instid1(VALU_DEP_1)
	v_and_b32_e32 v5, s55, v5
	v_lshl_or_b32 v5, v5, 4, v4
	ds_add_u32 v5, v94
	s_or_b32 exec_lo, exec_lo, s0
	s_delay_alu instid0(SALU_CYCLE_1)
	s_mov_b32 s0, exec_lo
	v_cmpx_lt_u32_e64 v55, v21
	s_cbranch_execnz .LBB2086_941
.LBB2086_956:                           ;   in Loop: Header=BB2086_908 Depth=2
	s_or_b32 exec_lo, exec_lo, s0
	s_delay_alu instid0(SALU_CYCLE_1)
	s_mov_b32 s0, exec_lo
	v_cmpx_lt_u32_e64 v56, v21
	s_cbranch_execz .LBB2086_942
.LBB2086_957:                           ;   in Loop: Header=BB2086_908 Depth=2
	v_cmp_lt_i16_e32 vcc_lo, -1, v10
	v_cndmask_b32_e64 v5, -1, 0xffff8000, vcc_lo
	s_delay_alu instid0(VALU_DEP_1) | instskip(NEXT) | instid1(VALU_DEP_1)
	v_xor_b32_e32 v5, v5, v10
	v_cmp_ne_u16_e32 vcc_lo, 0x7fff, v5
	v_cndmask_b32_e32 v5, 0xffff8000, v5, vcc_lo
	s_delay_alu instid0(VALU_DEP_1) | instskip(NEXT) | instid1(VALU_DEP_1)
	v_and_b32_e32 v5, 0xffff, v5
	v_lshrrev_b32_e32 v5, s49, v5
	s_delay_alu instid0(VALU_DEP_1) | instskip(NEXT) | instid1(VALU_DEP_1)
	v_and_b32_e32 v5, s55, v5
	v_lshl_or_b32 v5, v5, 4, v4
	ds_add_u32 v5, v94
	s_or_b32 exec_lo, exec_lo, s0
	s_delay_alu instid0(SALU_CYCLE_1)
	s_mov_b32 s0, exec_lo
	v_cmpx_lt_u32_e64 v57, v21
	s_cbranch_execnz .LBB2086_943
.LBB2086_958:                           ;   in Loop: Header=BB2086_908 Depth=2
	s_or_b32 exec_lo, exec_lo, s0
	s_delay_alu instid0(SALU_CYCLE_1)
	s_mov_b32 s0, exec_lo
	v_cmpx_lt_u32_e64 v58, v21
	s_cbranch_execz .LBB2086_944
.LBB2086_959:                           ;   in Loop: Header=BB2086_908 Depth=2
	v_cmp_lt_i16_e32 vcc_lo, -1, v8
	v_cndmask_b32_e64 v5, -1, 0xffff8000, vcc_lo
	s_delay_alu instid0(VALU_DEP_1) | instskip(NEXT) | instid1(VALU_DEP_1)
	v_xor_b32_e32 v5, v5, v8
	v_cmp_ne_u16_e32 vcc_lo, 0x7fff, v5
	v_cndmask_b32_e32 v5, 0xffff8000, v5, vcc_lo
	s_delay_alu instid0(VALU_DEP_1) | instskip(NEXT) | instid1(VALU_DEP_1)
	v_and_b32_e32 v5, 0xffff, v5
	v_lshrrev_b32_e32 v5, s49, v5
	s_delay_alu instid0(VALU_DEP_1) | instskip(NEXT) | instid1(VALU_DEP_1)
	v_and_b32_e32 v5, s55, v5
	v_lshl_or_b32 v5, v5, 4, v4
	ds_add_u32 v5, v94
	s_or_b32 exec_lo, exec_lo, s0
	s_delay_alu instid0(SALU_CYCLE_1)
	s_mov_b32 s0, exec_lo
	v_cmpx_lt_u32_e64 v59, v21
	s_cbranch_execnz .LBB2086_945
.LBB2086_960:                           ;   in Loop: Header=BB2086_908 Depth=2
	s_or_b32 exec_lo, exec_lo, s0
	s_delay_alu instid0(SALU_CYCLE_1)
	s_mov_b32 s0, exec_lo
	v_cmpx_lt_u32_e64 v60, v21
	s_cbranch_execz .LBB2086_946
.LBB2086_961:                           ;   in Loop: Header=BB2086_908 Depth=2
	v_cmp_lt_i16_e32 vcc_lo, -1, v6
	v_cndmask_b32_e64 v5, -1, 0xffff8000, vcc_lo
	s_delay_alu instid0(VALU_DEP_1) | instskip(NEXT) | instid1(VALU_DEP_1)
	v_xor_b32_e32 v5, v5, v6
	v_cmp_ne_u16_e32 vcc_lo, 0x7fff, v5
	v_cndmask_b32_e32 v5, 0xffff8000, v5, vcc_lo
	s_delay_alu instid0(VALU_DEP_1) | instskip(NEXT) | instid1(VALU_DEP_1)
	v_and_b32_e32 v5, 0xffff, v5
	v_lshrrev_b32_e32 v5, s49, v5
	s_delay_alu instid0(VALU_DEP_1) | instskip(NEXT) | instid1(VALU_DEP_1)
	v_and_b32_e32 v5, s55, v5
	v_lshl_or_b32 v5, v5, 4, v4
	ds_add_u32 v5, v94
	s_or_b32 exec_lo, exec_lo, s0
	s_delay_alu instid0(SALU_CYCLE_1)
	s_mov_b32 s0, exec_lo
	v_cmpx_lt_u32_e64 v61, v21
	s_cbranch_execnz .LBB2086_947
.LBB2086_962:                           ;   in Loop: Header=BB2086_908 Depth=2
	s_or_b32 exec_lo, exec_lo, s0
	s_delay_alu instid0(SALU_CYCLE_1)
	s_mov_b32 s0, exec_lo
	v_cmpx_lt_u32_e64 v63, v21
	s_cbranch_execz .LBB2086_907
.LBB2086_963:                           ;   in Loop: Header=BB2086_908 Depth=2
	s_waitcnt vmcnt(0)
	v_cmp_lt_i16_e32 vcc_lo, -1, v20
	v_cndmask_b32_e64 v5, -1, 0xffff8000, vcc_lo
	s_delay_alu instid0(VALU_DEP_1) | instskip(NEXT) | instid1(VALU_DEP_1)
	v_xor_b32_e32 v5, v5, v20
	v_cmp_ne_u16_e32 vcc_lo, 0x7fff, v5
	v_cndmask_b32_e32 v5, 0xffff8000, v5, vcc_lo
	s_delay_alu instid0(VALU_DEP_1) | instskip(NEXT) | instid1(VALU_DEP_1)
	v_and_b32_e32 v5, 0xffff, v5
	v_lshrrev_b32_e32 v5, s49, v5
	s_delay_alu instid0(VALU_DEP_1) | instskip(NEXT) | instid1(VALU_DEP_1)
	v_and_b32_e32 v5, s55, v5
	v_lshl_or_b32 v4, v5, 4, v4
	ds_add_u32 v4, v94
	s_branch .LBB2086_907
.LBB2086_964:                           ;   in Loop: Header=BB2086_908 Depth=2
	s_or_b32 exec_lo, exec_lo, s11
	s_delay_alu instid0(SALU_CYCLE_1)
	s_mov_b32 s11, exec_lo
	v_cmpx_gt_u32_e64 s8, v45
	s_cbranch_execz .LBB2086_914
.LBB2086_965:                           ;   in Loop: Header=BB2086_908 Depth=2
	global_load_u16 v18, v95, s[0:1] offset:512
	s_or_b32 exec_lo, exec_lo, s11
	s_delay_alu instid0(SALU_CYCLE_1)
	s_mov_b32 s11, exec_lo
	v_cmpx_gt_u32_e64 s8, v46
	s_cbranch_execnz .LBB2086_915
.LBB2086_966:                           ;   in Loop: Header=BB2086_908 Depth=2
	s_or_b32 exec_lo, exec_lo, s11
	s_delay_alu instid0(SALU_CYCLE_1)
	s_mov_b32 s11, exec_lo
	v_cmpx_gt_u32_e64 s8, v47
	s_cbranch_execz .LBB2086_916
.LBB2086_967:                           ;   in Loop: Header=BB2086_908 Depth=2
	global_load_u16 v16, v95, s[0:1] offset:1536
	s_or_b32 exec_lo, exec_lo, s11
	s_delay_alu instid0(SALU_CYCLE_1)
	s_mov_b32 s11, exec_lo
	v_cmpx_gt_u32_e64 s8, v51
	s_cbranch_execnz .LBB2086_917
.LBB2086_968:                           ;   in Loop: Header=BB2086_908 Depth=2
	s_or_b32 exec_lo, exec_lo, s11
	s_delay_alu instid0(SALU_CYCLE_1)
	s_mov_b32 s11, exec_lo
	v_cmpx_gt_u32_e64 s8, v52
	s_cbranch_execz .LBB2086_918
.LBB2086_969:                           ;   in Loop: Header=BB2086_908 Depth=2
	global_load_u16 v14, v95, s[0:1] offset:2560
	s_or_b32 exec_lo, exec_lo, s11
	s_delay_alu instid0(SALU_CYCLE_1)
	s_mov_b32 s11, exec_lo
	v_cmpx_gt_u32_e64 s8, v53
	s_cbranch_execnz .LBB2086_919
.LBB2086_970:                           ;   in Loop: Header=BB2086_908 Depth=2
	s_or_b32 exec_lo, exec_lo, s11
	s_delay_alu instid0(SALU_CYCLE_1)
	s_mov_b32 s11, exec_lo
	v_cmpx_gt_u32_e64 s8, v54
	s_cbranch_execz .LBB2086_920
.LBB2086_971:                           ;   in Loop: Header=BB2086_908 Depth=2
	global_load_u16 v12, v95, s[0:1] offset:3584
	s_or_b32 exec_lo, exec_lo, s11
	s_delay_alu instid0(SALU_CYCLE_1)
	s_mov_b32 s11, exec_lo
	v_cmpx_gt_u32_e64 s8, v55
	s_cbranch_execnz .LBB2086_921
.LBB2086_972:                           ;   in Loop: Header=BB2086_908 Depth=2
	s_or_b32 exec_lo, exec_lo, s11
	s_delay_alu instid0(SALU_CYCLE_1)
	s_mov_b32 s11, exec_lo
	v_cmpx_gt_u32_e64 s8, v56
	s_cbranch_execz .LBB2086_922
.LBB2086_973:                           ;   in Loop: Header=BB2086_908 Depth=2
	global_load_u16 v10, v97, s[0:1]
	s_or_b32 exec_lo, exec_lo, s11
	s_delay_alu instid0(SALU_CYCLE_1)
	s_mov_b32 s11, exec_lo
	v_cmpx_gt_u32_e64 s8, v57
	s_cbranch_execnz .LBB2086_923
.LBB2086_974:                           ;   in Loop: Header=BB2086_908 Depth=2
	s_or_b32 exec_lo, exec_lo, s11
	s_delay_alu instid0(SALU_CYCLE_1)
	s_mov_b32 s11, exec_lo
	v_cmpx_gt_u32_e64 s8, v58
	s_cbranch_execz .LBB2086_924
.LBB2086_975:                           ;   in Loop: Header=BB2086_908 Depth=2
	global_load_u16 v8, v99, s[0:1]
	s_or_b32 exec_lo, exec_lo, s11
	s_delay_alu instid0(SALU_CYCLE_1)
	s_mov_b32 s11, exec_lo
	v_cmpx_gt_u32_e64 s8, v59
	s_cbranch_execnz .LBB2086_925
.LBB2086_976:                           ;   in Loop: Header=BB2086_908 Depth=2
	s_or_b32 exec_lo, exec_lo, s11
	s_delay_alu instid0(SALU_CYCLE_1)
	s_mov_b32 s11, exec_lo
	v_cmpx_gt_u32_e64 s8, v60
	s_cbranch_execz .LBB2086_926
.LBB2086_977:                           ;   in Loop: Header=BB2086_908 Depth=2
	global_load_u16 v6, v101, s[0:1]
	s_or_b32 exec_lo, exec_lo, s11
	s_delay_alu instid0(SALU_CYCLE_1)
	s_mov_b32 s11, exec_lo
	v_cmpx_gt_u32_e64 s8, v61
	s_cbranch_execz .LBB2086_928
	s_branch .LBB2086_927
.LBB2086_978:                           ;   in Loop: Header=BB2086_20 Depth=1
	v_mov_b32_e32 v2, 0
	s_waitcnt vmcnt(0) lgkmcnt(0)
	s_barrier
	buffer_gl0_inv
	s_and_saveexec_b32 s0, s2
	s_cbranch_execz .LBB2086_980
; %bb.979:                              ;   in Loop: Header=BB2086_20 Depth=1
	ds_load_2addr_b64 v[4:7], v64 offset1:1
	s_waitcnt lgkmcnt(0)
	v_add_nc_u32_e32 v2, v5, v4
	s_delay_alu instid0(VALU_DEP_1)
	v_add3_u32 v2, v2, v6, v7
.LBB2086_980:                           ;   in Loop: Header=BB2086_20 Depth=1
	s_or_b32 exec_lo, exec_lo, s0
	v_and_b32_e32 v4, 15, v104
	s_delay_alu instid0(VALU_DEP_2) | instskip(SKIP_1) | instid1(VALU_DEP_3)
	v_mov_b32_dpp v5, v2 row_shr:1 row_mask:0xf bank_mask:0xf
	v_and_b32_e32 v6, 16, v104
	v_cmp_eq_u32_e64 s0, 0, v4
	v_cmp_lt_u32_e64 s1, 1, v4
	v_cmp_lt_u32_e64 s8, 3, v4
	;; [unrolled: 1-line block ×3, first 2 shown]
	v_cmp_eq_u32_e64 s10, 0, v6
	v_cndmask_b32_e64 v5, v5, 0, s0
	s_delay_alu instid0(VALU_DEP_1) | instskip(NEXT) | instid1(VALU_DEP_1)
	v_add_nc_u32_e32 v2, v5, v2
	v_mov_b32_dpp v5, v2 row_shr:2 row_mask:0xf bank_mask:0xf
	s_delay_alu instid0(VALU_DEP_1) | instskip(NEXT) | instid1(VALU_DEP_1)
	v_cndmask_b32_e64 v5, 0, v5, s1
	v_add_nc_u32_e32 v2, v2, v5
	s_delay_alu instid0(VALU_DEP_1) | instskip(NEXT) | instid1(VALU_DEP_1)
	v_mov_b32_dpp v5, v2 row_shr:4 row_mask:0xf bank_mask:0xf
	v_cndmask_b32_e64 v5, 0, v5, s8
	s_delay_alu instid0(VALU_DEP_1) | instskip(NEXT) | instid1(VALU_DEP_1)
	v_add_nc_u32_e32 v2, v2, v5
	v_mov_b32_dpp v5, v2 row_shr:8 row_mask:0xf bank_mask:0xf
	s_delay_alu instid0(VALU_DEP_1) | instskip(SKIP_1) | instid1(VALU_DEP_2)
	v_cndmask_b32_e64 v4, 0, v5, s9
	v_bfe_i32 v5, v104, 4, 1
	v_add_nc_u32_e32 v2, v2, v4
	ds_swizzle_b32 v4, v2 offset:swizzle(BROADCAST,32,15)
	s_waitcnt lgkmcnt(0)
	v_and_b32_e32 v4, v5, v4
	s_delay_alu instid0(VALU_DEP_1)
	v_add_nc_u32_e32 v4, v2, v4
	s_and_saveexec_b32 s11, s3
	s_cbranch_execz .LBB2086_982
; %bb.981:                              ;   in Loop: Header=BB2086_20 Depth=1
	ds_store_b32 v65, v4
.LBB2086_982:                           ;   in Loop: Header=BB2086_20 Depth=1
	s_or_b32 exec_lo, exec_lo, s11
	v_and_b32_e32 v2, 7, v104
	s_waitcnt lgkmcnt(0)
	s_barrier
	buffer_gl0_inv
	s_and_saveexec_b32 s11, s4
	s_cbranch_execz .LBB2086_984
; %bb.983:                              ;   in Loop: Header=BB2086_20 Depth=1
	ds_load_b32 v5, v66
	v_cmp_ne_u32_e32 vcc_lo, 0, v2
	s_waitcnt lgkmcnt(0)
	v_mov_b32_dpp v6, v5 row_shr:1 row_mask:0xf bank_mask:0xf
	s_delay_alu instid0(VALU_DEP_1) | instskip(SKIP_1) | instid1(VALU_DEP_2)
	v_cndmask_b32_e32 v6, 0, v6, vcc_lo
	v_cmp_lt_u32_e32 vcc_lo, 1, v2
	v_add_nc_u32_e32 v5, v6, v5
	s_delay_alu instid0(VALU_DEP_1) | instskip(NEXT) | instid1(VALU_DEP_1)
	v_mov_b32_dpp v6, v5 row_shr:2 row_mask:0xf bank_mask:0xf
	v_cndmask_b32_e32 v6, 0, v6, vcc_lo
	v_cmp_lt_u32_e32 vcc_lo, 3, v2
	s_delay_alu instid0(VALU_DEP_2) | instskip(NEXT) | instid1(VALU_DEP_1)
	v_add_nc_u32_e32 v5, v5, v6
	v_mov_b32_dpp v6, v5 row_shr:4 row_mask:0xf bank_mask:0xf
	s_delay_alu instid0(VALU_DEP_1) | instskip(NEXT) | instid1(VALU_DEP_1)
	v_cndmask_b32_e32 v6, 0, v6, vcc_lo
	v_add_nc_u32_e32 v5, v5, v6
	ds_store_b32 v66, v5
.LBB2086_984:                           ;   in Loop: Header=BB2086_20 Depth=1
	s_or_b32 exec_lo, exec_lo, s11
	v_mov_b32_e32 v5, 0
	s_waitcnt lgkmcnt(0)
	s_barrier
	buffer_gl0_inv
	s_and_saveexec_b32 s11, s5
	s_cbranch_execz .LBB2086_986
; %bb.985:                              ;   in Loop: Header=BB2086_20 Depth=1
	ds_load_b32 v5, v67
.LBB2086_986:                           ;   in Loop: Header=BB2086_20 Depth=1
	s_or_b32 exec_lo, exec_lo, s11
	v_add_nc_u32_e32 v6, -1, v104
	s_waitcnt lgkmcnt(0)
	v_add_nc_u32_e32 v4, v5, v4
	v_cmp_eq_u32_e64 s11, 0, v104
	s_barrier
	v_cmp_gt_i32_e32 vcc_lo, 0, v6
	buffer_gl0_inv
	v_cndmask_b32_e32 v6, v6, v104, vcc_lo
	s_delay_alu instid0(VALU_DEP_1)
	v_lshlrev_b32_e32 v105, 2, v6
	ds_bpermute_b32 v4, v105, v4
	s_and_saveexec_b32 s12, s2
	s_cbranch_execz .LBB2086_988
; %bb.987:                              ;   in Loop: Header=BB2086_20 Depth=1
	s_waitcnt lgkmcnt(0)
	v_cndmask_b32_e64 v4, v4, v5, s11
	s_delay_alu instid0(VALU_DEP_1)
	v_add_nc_u32_e32 v4, s52, v4
	ds_store_b32 v44, v4
.LBB2086_988:                           ;   in Loop: Header=BB2086_20 Depth=1
	s_or_b32 exec_lo, exec_lo, s12
	s_load_b64 s[12:13], s[42:43], 0x0
	v_lshlrev_b32_e32 v5, 3, v104
	v_or_b32_e32 v106, v104, v68
	s_mov_b32 s56, s54
	s_mov_b32 s34, s52
                                        ; implicit-def: $vgpr8_vgpr9
                                        ; implicit-def: $vgpr10_vgpr11
                                        ; implicit-def: $vgpr12_vgpr13
                                        ; implicit-def: $vgpr14_vgpr15
                                        ; implicit-def: $vgpr16_vgpr17
                                        ; implicit-def: $vgpr18_vgpr19
                                        ; implicit-def: $vgpr20_vgpr21
                                        ; implicit-def: $vgpr22_vgpr23
                                        ; implicit-def: $vgpr24_vgpr25
                                        ; implicit-def: $vgpr26_vgpr27
                                        ; implicit-def: $vgpr28_vgpr29
                                        ; implicit-def: $vgpr30_vgpr31
                                        ; implicit-def: $vgpr32_vgpr33
                                        ; implicit-def: $vgpr34_vgpr35
                                        ; implicit-def: $vgpr129
                                        ; implicit-def: $vgpr130
                                        ; implicit-def: $vgpr131
                                        ; implicit-def: $vgpr132
                                        ; implicit-def: $vgpr133
                                        ; implicit-def: $vgpr134
                                        ; implicit-def: $vgpr135
                                        ; implicit-def: $vgpr136
                                        ; implicit-def: $vgpr137
                                        ; implicit-def: $vgpr138
                                        ; implicit-def: $vgpr139
                                        ; implicit-def: $vgpr140
                                        ; implicit-def: $vgpr141
                                        ; implicit-def: $vgpr142
                                        ; implicit-def: $vgpr143
                                        ; implicit-def: $vgpr144
	s_delay_alu instid0(VALU_DEP_2)
	v_add_co_u32 v107, vcc_lo, v90, v5
	v_add_co_ci_u32_e32 v108, vcc_lo, 0, v91, vcc_lo
	v_or_b32_e32 v109, 32, v106
	v_or_b32_e32 v110, 64, v106
	;; [unrolled: 1-line block ×10, first 2 shown]
	s_waitcnt lgkmcnt(0)
	s_cmp_lt_u32 s15, s13
	v_or_b32_e32 v119, 0x160, v106
	s_cselect_b32 s13, 14, 20
	v_or_b32_e32 v120, 0x180, v106
	s_add_u32 s16, s42, s13
	s_addc_u32 s17, s43, 0
	s_cmp_lt_u32 s14, s12
	global_load_u16 v4, v3, s[16:17]
	s_cselect_b32 s12, 12, 18
	v_or_b32_e32 v121, 0x1a0, v106
	s_add_u32 s12, s42, s12
	s_addc_u32 s13, s43, 0
	v_or_b32_e32 v122, 0x1c0, v106
	global_load_u16 v6, v3, s[12:13]
	v_cmp_eq_u32_e64 s12, 0, v2
	v_cmp_lt_u32_e64 s13, 1, v2
	v_cmp_lt_u32_e64 s16, 3, v2
	v_lshlrev_b32_e32 v2, 1, v104
	v_or_b32_e32 v123, 0x1e0, v106
	s_delay_alu instid0(VALU_DEP_2) | instskip(SKIP_1) | instid1(VALU_DEP_2)
	v_add_co_u32 v124, vcc_lo, v92, v2
	v_add_co_ci_u32_e32 v125, vcc_lo, 0, v93, vcc_lo
	v_add_co_u32 v127, vcc_lo, 0x3c0, v124
	s_delay_alu instid0(VALU_DEP_2) | instskip(SKIP_3) | instid1(VALU_DEP_1)
	v_add_co_ci_u32_e32 v128, vcc_lo, 0, v125, vcc_lo
	s_waitcnt vmcnt(1)
	v_mad_u32_u24 v7, v70, v4, v0
	s_waitcnt vmcnt(0)
	v_mad_u64_u32 v[4:5], null, v7, v6, v[1:2]
                                        ; implicit-def: $vgpr6_vgpr7
	s_delay_alu instid0(VALU_DEP_1)
	v_lshrrev_b32_e32 v126, 5, v4
                                        ; implicit-def: $vgpr4_vgpr5
	s_branch .LBB2086_990
.LBB2086_989:                           ;   in Loop: Header=BB2086_990 Depth=2
	s_or_b32 exec_lo, exec_lo, s17
	s_addk_i32 s56, 0xf000
	s_cmp_lt_u32 s57, s53
	s_mov_b32 s34, s57
	s_cbranch_scc0 .LBB2086_18
.LBB2086_990:                           ;   Parent Loop BB2086_20 Depth=1
                                        ; =>  This Inner Loop Header: Depth=2
	s_add_i32 s57, s34, 0x1000
	s_delay_alu instid0(SALU_CYCLE_1)
	s_cmp_gt_u32 s57, s53
	s_cbranch_scc1 .LBB2086_993
; %bb.991:                              ;   in Loop: Header=BB2086_990 Depth=2
	s_mov_b32 s19, 0
	s_mov_b32 s18, s34
	s_movk_i32 s17, 0x1000
	s_lshl_b64 s[20:21], s[18:19], 1
	s_delay_alu instid0(SALU_CYCLE_1)
	v_add_co_u32 v36, vcc_lo, v124, s20
	v_add_co_ci_u32_e32 v37, vcc_lo, s21, v125, vcc_lo
	s_mov_b32 s20, -1
	s_clause 0xe
	global_load_u16 v2, v[36:37], off
	global_load_u16 v147, v[36:37], off offset:64
	global_load_u16 v149, v[36:37], off offset:128
	;; [unrolled: 1-line block ×14, first 2 shown]
	s_cbranch_execz .LBB2086_994
; %bb.992:                              ;   in Loop: Header=BB2086_990 Depth=2
                                        ; implicit-def: $sgpr21
	v_dual_mov_b32 v36, s21 :: v_dual_mov_b32 v145, s56
	s_and_saveexec_b32 s21, s20
	s_cbranch_execnz .LBB2086_1025
	s_branch .LBB2086_1026
.LBB2086_993:                           ;   in Loop: Header=BB2086_990 Depth=2
	s_mov_b32 s19, -1
	s_mov_b32 s20, 0
                                        ; implicit-def: $sgpr17
                                        ; implicit-def: $vgpr2
                                        ; implicit-def: $vgpr147
                                        ; implicit-def: $vgpr149
                                        ; implicit-def: $vgpr153
                                        ; implicit-def: $vgpr157
                                        ; implicit-def: $vgpr161
                                        ; implicit-def: $vgpr165
                                        ; implicit-def: $vgpr170
                                        ; implicit-def: $vgpr169
                                        ; implicit-def: $vgpr43
                                        ; implicit-def: $vgpr42
                                        ; implicit-def: $vgpr41
                                        ; implicit-def: $vgpr40
                                        ; implicit-def: $vgpr39
                                        ; implicit-def: $vgpr38
.LBB2086_994:                           ;   in Loop: Header=BB2086_990 Depth=2
	s_lshl_b64 s[18:19], s[34:35], 1
	s_waitcnt vmcnt(13)
	v_dual_mov_b32 v147, 0x7fff :: v_dual_mov_b32 v2, 0x7fff
	v_add_co_u32 v36, vcc_lo, v124, s18
	v_add_co_ci_u32_e32 v37, vcc_lo, s19, v125, vcc_lo
	s_mov_b32 s17, exec_lo
	v_cmpx_gt_u32_e64 s56, v106
	s_cbranch_execz .LBB2086_996
; %bb.995:                              ;   in Loop: Header=BB2086_990 Depth=2
	global_load_u16 v2, v[36:37], off
.LBB2086_996:                           ;   in Loop: Header=BB2086_990 Depth=2
	s_or_b32 exec_lo, exec_lo, s17
	s_delay_alu instid0(SALU_CYCLE_1)
	s_mov_b32 s17, exec_lo
	v_cmpx_gt_u32_e64 s56, v109
	s_cbranch_execz .LBB2086_998
; %bb.997:                              ;   in Loop: Header=BB2086_990 Depth=2
	global_load_u16 v147, v[36:37], off offset:64
.LBB2086_998:                           ;   in Loop: Header=BB2086_990 Depth=2
	s_or_b32 exec_lo, exec_lo, s17
	s_waitcnt vmcnt(11)
	v_mov_b32_e32 v153, 0x7fff
	v_mov_b32_e32 v149, 0x7fff
	s_mov_b32 s17, exec_lo
	v_cmpx_gt_u32_e64 s56, v110
	s_cbranch_execz .LBB2086_1000
; %bb.999:                              ;   in Loop: Header=BB2086_990 Depth=2
	global_load_u16 v149, v[36:37], off offset:128
.LBB2086_1000:                          ;   in Loop: Header=BB2086_990 Depth=2
	s_or_b32 exec_lo, exec_lo, s17
	s_delay_alu instid0(SALU_CYCLE_1)
	s_mov_b32 s17, exec_lo
	v_cmpx_gt_u32_e64 s56, v111
	s_cbranch_execz .LBB2086_1002
; %bb.1001:                             ;   in Loop: Header=BB2086_990 Depth=2
	global_load_u16 v153, v[36:37], off offset:192
.LBB2086_1002:                          ;   in Loop: Header=BB2086_990 Depth=2
	s_or_b32 exec_lo, exec_lo, s17
	s_waitcnt vmcnt(9)
	v_mov_b32_e32 v161, 0x7fff
	v_mov_b32_e32 v157, 0x7fff
	s_mov_b32 s17, exec_lo
	v_cmpx_gt_u32_e64 s56, v112
	s_cbranch_execz .LBB2086_1004
; %bb.1003:                             ;   in Loop: Header=BB2086_990 Depth=2
	global_load_u16 v157, v[36:37], off offset:256
.LBB2086_1004:                          ;   in Loop: Header=BB2086_990 Depth=2
	s_or_b32 exec_lo, exec_lo, s17
	s_delay_alu instid0(SALU_CYCLE_1)
	s_mov_b32 s17, exec_lo
	v_cmpx_gt_u32_e64 s56, v113
	s_cbranch_execz .LBB2086_1006
; %bb.1005:                             ;   in Loop: Header=BB2086_990 Depth=2
	global_load_u16 v161, v[36:37], off offset:320
.LBB2086_1006:                          ;   in Loop: Header=BB2086_990 Depth=2
	s_or_b32 exec_lo, exec_lo, s17
	s_waitcnt vmcnt(7)
	v_dual_mov_b32 v170, 0x7fff :: v_dual_mov_b32 v165, 0x7fff
	s_mov_b32 s17, exec_lo
	v_cmpx_gt_u32_e64 s56, v114
	s_cbranch_execz .LBB2086_1008
; %bb.1007:                             ;   in Loop: Header=BB2086_990 Depth=2
	global_load_u16 v165, v[36:37], off offset:384
.LBB2086_1008:                          ;   in Loop: Header=BB2086_990 Depth=2
	s_or_b32 exec_lo, exec_lo, s17
	s_delay_alu instid0(SALU_CYCLE_1)
	s_mov_b32 s17, exec_lo
	v_cmpx_gt_u32_e64 s56, v115
	s_cbranch_execz .LBB2086_1010
; %bb.1009:                             ;   in Loop: Header=BB2086_990 Depth=2
	global_load_u16 v170, v[36:37], off offset:448
.LBB2086_1010:                          ;   in Loop: Header=BB2086_990 Depth=2
	s_or_b32 exec_lo, exec_lo, s17
	s_waitcnt vmcnt(5)
	v_mov_b32_e32 v43, 0x7fff
	v_mov_b32_e32 v169, 0x7fff
	s_mov_b32 s17, exec_lo
	v_cmpx_gt_u32_e64 s56, v116
	s_cbranch_execz .LBB2086_1012
; %bb.1011:                             ;   in Loop: Header=BB2086_990 Depth=2
	global_load_u16 v169, v[36:37], off offset:512
.LBB2086_1012:                          ;   in Loop: Header=BB2086_990 Depth=2
	s_or_b32 exec_lo, exec_lo, s17
	s_delay_alu instid0(SALU_CYCLE_1)
	s_mov_b32 s17, exec_lo
	v_cmpx_gt_u32_e64 s56, v117
	s_cbranch_execz .LBB2086_1014
; %bb.1013:                             ;   in Loop: Header=BB2086_990 Depth=2
	global_load_u16 v43, v[36:37], off offset:576
.LBB2086_1014:                          ;   in Loop: Header=BB2086_990 Depth=2
	s_or_b32 exec_lo, exec_lo, s17
	s_waitcnt vmcnt(3)
	v_dual_mov_b32 v41, 0x7fff :: v_dual_mov_b32 v42, 0x7fff
	s_mov_b32 s17, exec_lo
	v_cmpx_gt_u32_e64 s56, v118
	s_cbranch_execz .LBB2086_1016
; %bb.1015:                             ;   in Loop: Header=BB2086_990 Depth=2
	global_load_u16 v42, v[36:37], off offset:640
.LBB2086_1016:                          ;   in Loop: Header=BB2086_990 Depth=2
	s_or_b32 exec_lo, exec_lo, s17
	s_delay_alu instid0(SALU_CYCLE_1)
	s_mov_b32 s17, exec_lo
	v_cmpx_gt_u32_e64 s56, v119
	s_cbranch_execz .LBB2086_1018
; %bb.1017:                             ;   in Loop: Header=BB2086_990 Depth=2
	global_load_u16 v41, v[36:37], off offset:704
.LBB2086_1018:                          ;   in Loop: Header=BB2086_990 Depth=2
	s_or_b32 exec_lo, exec_lo, s17
	s_waitcnt vmcnt(1)
	v_dual_mov_b32 v39, 0x7fff :: v_dual_mov_b32 v40, 0x7fff
	s_mov_b32 s17, exec_lo
	v_cmpx_gt_u32_e64 s56, v120
	s_cbranch_execz .LBB2086_1020
; %bb.1019:                             ;   in Loop: Header=BB2086_990 Depth=2
	global_load_u16 v40, v[36:37], off offset:768
.LBB2086_1020:                          ;   in Loop: Header=BB2086_990 Depth=2
	s_or_b32 exec_lo, exec_lo, s17
	s_delay_alu instid0(SALU_CYCLE_1)
	s_mov_b32 s17, exec_lo
	v_cmpx_gt_u32_e64 s56, v121
	s_cbranch_execz .LBB2086_1022
; %bb.1021:                             ;   in Loop: Header=BB2086_990 Depth=2
	global_load_u16 v39, v[36:37], off offset:832
.LBB2086_1022:                          ;   in Loop: Header=BB2086_990 Depth=2
	s_or_b32 exec_lo, exec_lo, s17
	s_waitcnt vmcnt(0)
	v_mov_b32_e32 v38, 0x7fff
	s_mov_b32 s17, exec_lo
	v_cmpx_gt_u32_e64 s56, v122
	s_cbranch_execz .LBB2086_1024
; %bb.1023:                             ;   in Loop: Header=BB2086_990 Depth=2
	global_load_u16 v38, v[36:37], off offset:896
.LBB2086_1024:                          ;   in Loop: Header=BB2086_990 Depth=2
	s_or_b32 exec_lo, exec_lo, s17
	v_cmp_gt_u32_e64 s20, s56, v123
	s_sub_i32 s17, s53, s34
	s_movk_i32 s21, 0x7fff
	s_mov_b64 s[18:19], s[34:35]
	v_dual_mov_b32 v36, s21 :: v_dual_mov_b32 v145, s56
	s_and_saveexec_b32 s21, s20
	s_cbranch_execz .LBB2086_1026
.LBB2086_1025:                          ;   in Loop: Header=BB2086_990 Depth=2
	s_lshl_b64 s[18:19], s[18:19], 1
	v_mov_b32_e32 v145, s17
	v_add_co_u32 v36, vcc_lo, v127, s18
	v_add_co_ci_u32_e32 v37, vcc_lo, s19, v128, vcc_lo
	global_load_u16 v36, v[36:37], off
.LBB2086_1026:                          ;   in Loop: Header=BB2086_990 Depth=2
	s_or_b32 exec_lo, exec_lo, s21
	s_waitcnt vmcnt(14)
	v_cmp_lt_i16_e32 vcc_lo, -1, v2
	ds_store_b32 v69, v3 offset:1056
	ds_store_2addr_b32 v71, v3, v3 offset0:1 offset1:2
	ds_store_2addr_b32 v71, v3, v3 offset0:3 offset1:4
	;; [unrolled: 1-line block ×4, first 2 shown]
	s_waitcnt vmcnt(0) lgkmcnt(0)
	s_barrier
	v_cndmask_b32_e64 v37, -1, 0xffff8000, vcc_lo
	buffer_gl0_inv
	; wave barrier
	v_xor_b32_e32 v2, v37, v2
	s_delay_alu instid0(VALU_DEP_1) | instskip(SKIP_1) | instid1(VALU_DEP_1)
	v_cmp_ne_u16_e32 vcc_lo, 0x7fff, v2
	v_cndmask_b32_e32 v37, 0xffff8000, v2, vcc_lo
	v_and_b32_e32 v37, 0xffff, v37
	s_delay_alu instid0(VALU_DEP_1) | instskip(NEXT) | instid1(VALU_DEP_1)
	v_lshrrev_b32_e32 v37, s49, v37
	v_and_b32_e32 v148, s55, v37
	s_delay_alu instid0(VALU_DEP_1)
	v_lshlrev_b32_e32 v146, 30, v148
	v_and_b32_e32 v37, 1, v148
	v_lshlrev_b32_e32 v150, 29, v148
	v_lshlrev_b32_e32 v151, 28, v148
	v_lshlrev_b32_e32 v154, 27, v148
	v_not_b32_e32 v158, v146
	v_add_co_u32 v37, s17, v37, -1
	s_delay_alu instid0(VALU_DEP_1)
	v_cndmask_b32_e64 v152, 0, 1, s17
	v_cmp_gt_i32_e64 s17, 0, v146
	v_not_b32_e32 v146, v150
	v_ashrrev_i32_e32 v158, 31, v158
	v_lshlrev_b32_e32 v155, 26, v148
	v_cmp_ne_u32_e32 vcc_lo, 0, v152
	v_lshlrev_b32_e32 v156, 25, v148
	v_ashrrev_i32_e32 v146, 31, v146
	v_xor_b32_e32 v158, s17, v158
	v_cmp_gt_i32_e64 s17, 0, v151
	v_xor_b32_e32 v37, vcc_lo, v37
	v_cmp_gt_i32_e32 vcc_lo, 0, v150
	v_not_b32_e32 v150, v151
	v_not_b32_e32 v151, v154
	v_lshlrev_b32_e32 v152, 24, v148
	v_and_b32_e32 v37, exec_lo, v37
	v_xor_b32_e32 v146, vcc_lo, v146
	v_ashrrev_i32_e32 v150, 31, v150
	v_cmp_gt_i32_e32 vcc_lo, 0, v154
	v_not_b32_e32 v154, v155
	v_and_b32_e32 v37, v37, v158
	v_ashrrev_i32_e32 v151, 31, v151
	v_xor_b32_e32 v150, s17, v150
	v_cmp_gt_i32_e64 s17, 0, v155
	v_ashrrev_i32_e32 v154, 31, v154
	v_and_b32_e32 v37, v37, v146
	v_not_b32_e32 v146, v156
	v_xor_b32_e32 v151, vcc_lo, v151
	v_cmp_gt_i32_e32 vcc_lo, 0, v156
	v_xor_b32_e32 v154, s17, v154
	v_and_b32_e32 v37, v37, v150
	v_not_b32_e32 v150, v152
	v_ashrrev_i32_e32 v146, 31, v146
	v_cmp_gt_i32_e64 s17, 0, v152
	v_mad_u32_u24 v148, v148, 9, v126
	v_and_b32_e32 v37, v37, v151
	v_ashrrev_i32_e32 v150, 31, v150
	v_xor_b32_e32 v146, vcc_lo, v146
	s_delay_alu instid0(VALU_DEP_4) | instskip(NEXT) | instid1(VALU_DEP_4)
	v_lshl_add_u32 v148, v148, 2, 0x420
	v_and_b32_e32 v37, v37, v154
	s_delay_alu instid0(VALU_DEP_4) | instskip(NEXT) | instid1(VALU_DEP_2)
	v_xor_b32_e32 v150, s17, v150
	v_and_b32_e32 v37, v37, v146
	s_delay_alu instid0(VALU_DEP_1) | instskip(NEXT) | instid1(VALU_DEP_1)
	v_and_b32_e32 v37, v37, v150
	v_mbcnt_lo_u32_b32 v146, v37, 0
	v_cmp_ne_u32_e64 s17, 0, v37
	s_delay_alu instid0(VALU_DEP_2) | instskip(NEXT) | instid1(VALU_DEP_2)
	v_cmp_eq_u32_e32 vcc_lo, 0, v146
	s_and_b32 s18, s17, vcc_lo
	s_delay_alu instid0(SALU_CYCLE_1)
	s_and_saveexec_b32 s17, s18
	s_cbranch_execz .LBB2086_1028
; %bb.1027:                             ;   in Loop: Header=BB2086_990 Depth=2
	v_bcnt_u32_b32 v37, v37, 0
	ds_store_b32 v148, v37
.LBB2086_1028:                          ;   in Loop: Header=BB2086_990 Depth=2
	s_or_b32 exec_lo, exec_lo, s17
	v_cmp_lt_i16_e64 vcc_lo, -1, v147
	; wave barrier
	s_delay_alu instid0(VALU_DEP_1) | instskip(NEXT) | instid1(VALU_DEP_1)
	v_cndmask_b32_e64 v37, -1, 0xffff8000, vcc_lo
	v_xor_b32_e32 v147, v37, v147
	s_delay_alu instid0(VALU_DEP_1) | instskip(SKIP_1) | instid1(VALU_DEP_1)
	v_cmp_ne_u16_e64 vcc_lo, 0x7fff, v147
	v_cndmask_b32_e32 v37, 0xffff8000, v147, vcc_lo
	v_and_b32_e32 v37, 0xffff, v37
	s_delay_alu instid0(VALU_DEP_1) | instskip(NEXT) | instid1(VALU_DEP_1)
	v_lshrrev_b32_e32 v37, s49, v37
	v_and_b32_e32 v37, s55, v37
	s_delay_alu instid0(VALU_DEP_1)
	v_and_b32_e32 v150, 1, v37
	v_lshlrev_b32_e32 v151, 30, v37
	v_lshlrev_b32_e32 v152, 29, v37
	;; [unrolled: 1-line block ×4, first 2 shown]
	v_add_co_u32 v150, s17, v150, -1
	s_delay_alu instid0(VALU_DEP_1)
	v_cndmask_b32_e64 v155, 0, 1, s17
	v_not_b32_e32 v160, v151
	v_cmp_gt_i32_e64 s17, 0, v151
	v_not_b32_e32 v151, v152
	v_lshlrev_b32_e32 v158, 26, v37
	v_cmp_ne_u32_e32 vcc_lo, 0, v155
	v_ashrrev_i32_e32 v160, 31, v160
	v_lshlrev_b32_e32 v159, 25, v37
	v_ashrrev_i32_e32 v151, 31, v151
	v_lshlrev_b32_e32 v155, 24, v37
	v_xor_b32_e32 v150, vcc_lo, v150
	v_cmp_gt_i32_e32 vcc_lo, 0, v152
	v_not_b32_e32 v152, v154
	v_xor_b32_e32 v160, s17, v160
	v_cmp_gt_i32_e64 s17, 0, v154
	v_and_b32_e32 v150, exec_lo, v150
	v_not_b32_e32 v154, v156
	v_ashrrev_i32_e32 v152, 31, v152
	v_xor_b32_e32 v151, vcc_lo, v151
	v_cmp_gt_i32_e32 vcc_lo, 0, v156
	v_and_b32_e32 v150, v150, v160
	v_not_b32_e32 v156, v158
	v_ashrrev_i32_e32 v154, 31, v154
	v_xor_b32_e32 v152, s17, v152
	v_cmp_gt_i32_e64 s17, 0, v158
	v_and_b32_e32 v150, v150, v151
	v_not_b32_e32 v151, v159
	v_ashrrev_i32_e32 v156, 31, v156
	v_xor_b32_e32 v154, vcc_lo, v154
	v_cmp_gt_i32_e32 vcc_lo, 0, v159
	v_and_b32_e32 v150, v150, v152
	v_not_b32_e32 v152, v155
	v_ashrrev_i32_e32 v151, 31, v151
	v_xor_b32_e32 v156, s17, v156
	v_mul_u32_u24_e32 v37, 9, v37
	v_and_b32_e32 v150, v150, v154
	v_cmp_gt_i32_e64 s17, 0, v155
	v_ashrrev_i32_e32 v152, 31, v152
	v_xor_b32_e32 v151, vcc_lo, v151
	v_add_lshl_u32 v154, v37, v126, 2
	v_and_b32_e32 v150, v150, v156
	s_delay_alu instid0(VALU_DEP_4) | instskip(NEXT) | instid1(VALU_DEP_3)
	v_xor_b32_e32 v37, s17, v152
	v_add_nc_u32_e32 v152, 0x420, v154
	s_delay_alu instid0(VALU_DEP_3) | instskip(SKIP_2) | instid1(VALU_DEP_1)
	v_and_b32_e32 v151, v150, v151
	ds_load_b32 v150, v154 offset:1056
	; wave barrier
	v_and_b32_e32 v37, v151, v37
	v_mbcnt_lo_u32_b32 v151, v37, 0
	v_cmp_ne_u32_e64 s17, 0, v37
	s_delay_alu instid0(VALU_DEP_2) | instskip(NEXT) | instid1(VALU_DEP_2)
	v_cmp_eq_u32_e32 vcc_lo, 0, v151
	s_and_b32 s18, s17, vcc_lo
	s_delay_alu instid0(SALU_CYCLE_1)
	s_and_saveexec_b32 s17, s18
	s_cbranch_execz .LBB2086_1030
; %bb.1029:                             ;   in Loop: Header=BB2086_990 Depth=2
	s_waitcnt lgkmcnt(0)
	v_bcnt_u32_b32 v37, v37, v150
	ds_store_b32 v152, v37
.LBB2086_1030:                          ;   in Loop: Header=BB2086_990 Depth=2
	s_or_b32 exec_lo, exec_lo, s17
	v_cmp_lt_i16_e64 vcc_lo, -1, v149
	; wave barrier
	s_delay_alu instid0(VALU_DEP_1) | instskip(NEXT) | instid1(VALU_DEP_1)
	v_cndmask_b32_e64 v37, -1, 0xffff8000, vcc_lo
	v_xor_b32_e32 v149, v37, v149
	s_delay_alu instid0(VALU_DEP_1) | instskip(SKIP_1) | instid1(VALU_DEP_1)
	v_cmp_ne_u16_e64 vcc_lo, 0x7fff, v149
	v_cndmask_b32_e32 v37, 0xffff8000, v149, vcc_lo
	v_and_b32_e32 v37, 0xffff, v37
	s_delay_alu instid0(VALU_DEP_1) | instskip(NEXT) | instid1(VALU_DEP_1)
	v_lshrrev_b32_e32 v37, s49, v37
	v_and_b32_e32 v37, s55, v37
	s_delay_alu instid0(VALU_DEP_1)
	v_and_b32_e32 v154, 1, v37
	v_lshlrev_b32_e32 v155, 30, v37
	v_lshlrev_b32_e32 v156, 29, v37
	;; [unrolled: 1-line block ×4, first 2 shown]
	v_add_co_u32 v154, s17, v154, -1
	s_delay_alu instid0(VALU_DEP_1)
	v_cndmask_b32_e64 v159, 0, 1, s17
	v_not_b32_e32 v164, v155
	v_cmp_gt_i32_e64 s17, 0, v155
	v_not_b32_e32 v155, v156
	v_lshlrev_b32_e32 v162, 26, v37
	v_cmp_ne_u32_e32 vcc_lo, 0, v159
	v_ashrrev_i32_e32 v164, 31, v164
	v_lshlrev_b32_e32 v163, 25, v37
	v_ashrrev_i32_e32 v155, 31, v155
	v_lshlrev_b32_e32 v159, 24, v37
	v_xor_b32_e32 v154, vcc_lo, v154
	v_cmp_gt_i32_e32 vcc_lo, 0, v156
	v_not_b32_e32 v156, v158
	v_xor_b32_e32 v164, s17, v164
	v_cmp_gt_i32_e64 s17, 0, v158
	v_and_b32_e32 v154, exec_lo, v154
	v_not_b32_e32 v158, v160
	v_ashrrev_i32_e32 v156, 31, v156
	v_xor_b32_e32 v155, vcc_lo, v155
	v_cmp_gt_i32_e32 vcc_lo, 0, v160
	v_and_b32_e32 v154, v154, v164
	v_not_b32_e32 v160, v162
	v_ashrrev_i32_e32 v158, 31, v158
	v_xor_b32_e32 v156, s17, v156
	v_cmp_gt_i32_e64 s17, 0, v162
	v_and_b32_e32 v154, v154, v155
	v_not_b32_e32 v155, v163
	v_ashrrev_i32_e32 v160, 31, v160
	v_xor_b32_e32 v158, vcc_lo, v158
	v_cmp_gt_i32_e32 vcc_lo, 0, v163
	v_and_b32_e32 v154, v154, v156
	v_not_b32_e32 v156, v159
	v_ashrrev_i32_e32 v155, 31, v155
	v_xor_b32_e32 v160, s17, v160
	v_mul_u32_u24_e32 v37, 9, v37
	v_and_b32_e32 v154, v154, v158
	v_cmp_gt_i32_e64 s17, 0, v159
	v_ashrrev_i32_e32 v156, 31, v156
	v_xor_b32_e32 v155, vcc_lo, v155
	v_add_lshl_u32 v158, v37, v126, 2
	v_and_b32_e32 v154, v154, v160
	s_delay_alu instid0(VALU_DEP_4) | instskip(NEXT) | instid1(VALU_DEP_3)
	v_xor_b32_e32 v37, s17, v156
	v_add_nc_u32_e32 v156, 0x420, v158
	s_delay_alu instid0(VALU_DEP_3) | instskip(SKIP_2) | instid1(VALU_DEP_1)
	v_and_b32_e32 v155, v154, v155
	ds_load_b32 v154, v158 offset:1056
	; wave barrier
	v_and_b32_e32 v37, v155, v37
	v_mbcnt_lo_u32_b32 v155, v37, 0
	v_cmp_ne_u32_e64 s17, 0, v37
	s_delay_alu instid0(VALU_DEP_2) | instskip(NEXT) | instid1(VALU_DEP_2)
	v_cmp_eq_u32_e32 vcc_lo, 0, v155
	s_and_b32 s18, s17, vcc_lo
	s_delay_alu instid0(SALU_CYCLE_1)
	s_and_saveexec_b32 s17, s18
	s_cbranch_execz .LBB2086_1032
; %bb.1031:                             ;   in Loop: Header=BB2086_990 Depth=2
	s_waitcnt lgkmcnt(0)
	v_bcnt_u32_b32 v37, v37, v154
	ds_store_b32 v156, v37
.LBB2086_1032:                          ;   in Loop: Header=BB2086_990 Depth=2
	s_or_b32 exec_lo, exec_lo, s17
	v_cmp_lt_i16_e64 vcc_lo, -1, v153
	; wave barrier
	s_delay_alu instid0(VALU_DEP_1) | instskip(NEXT) | instid1(VALU_DEP_1)
	v_cndmask_b32_e64 v37, -1, 0xffff8000, vcc_lo
	v_xor_b32_e32 v153, v37, v153
	s_delay_alu instid0(VALU_DEP_1) | instskip(SKIP_1) | instid1(VALU_DEP_1)
	v_cmp_ne_u16_e64 vcc_lo, 0x7fff, v153
	v_cndmask_b32_e32 v37, 0xffff8000, v153, vcc_lo
	v_and_b32_e32 v37, 0xffff, v37
	s_delay_alu instid0(VALU_DEP_1) | instskip(NEXT) | instid1(VALU_DEP_1)
	v_lshrrev_b32_e32 v37, s49, v37
	v_and_b32_e32 v37, s55, v37
	s_delay_alu instid0(VALU_DEP_1)
	v_and_b32_e32 v158, 1, v37
	v_lshlrev_b32_e32 v159, 30, v37
	v_lshlrev_b32_e32 v160, 29, v37
	;; [unrolled: 1-line block ×4, first 2 shown]
	v_add_co_u32 v158, s17, v158, -1
	s_delay_alu instid0(VALU_DEP_1)
	v_cndmask_b32_e64 v163, 0, 1, s17
	v_not_b32_e32 v168, v159
	v_cmp_gt_i32_e64 s17, 0, v159
	v_not_b32_e32 v159, v160
	v_lshlrev_b32_e32 v166, 26, v37
	v_cmp_ne_u32_e32 vcc_lo, 0, v163
	v_ashrrev_i32_e32 v168, 31, v168
	v_lshlrev_b32_e32 v167, 25, v37
	v_ashrrev_i32_e32 v159, 31, v159
	v_lshlrev_b32_e32 v163, 24, v37
	v_xor_b32_e32 v158, vcc_lo, v158
	v_cmp_gt_i32_e32 vcc_lo, 0, v160
	v_not_b32_e32 v160, v162
	v_xor_b32_e32 v168, s17, v168
	v_cmp_gt_i32_e64 s17, 0, v162
	v_and_b32_e32 v158, exec_lo, v158
	v_not_b32_e32 v162, v164
	v_ashrrev_i32_e32 v160, 31, v160
	v_xor_b32_e32 v159, vcc_lo, v159
	v_cmp_gt_i32_e32 vcc_lo, 0, v164
	v_and_b32_e32 v158, v158, v168
	v_not_b32_e32 v164, v166
	v_ashrrev_i32_e32 v162, 31, v162
	v_xor_b32_e32 v160, s17, v160
	v_cmp_gt_i32_e64 s17, 0, v166
	v_and_b32_e32 v158, v158, v159
	v_not_b32_e32 v159, v167
	v_ashrrev_i32_e32 v164, 31, v164
	v_xor_b32_e32 v162, vcc_lo, v162
	v_cmp_gt_i32_e32 vcc_lo, 0, v167
	v_and_b32_e32 v158, v158, v160
	v_not_b32_e32 v160, v163
	v_ashrrev_i32_e32 v159, 31, v159
	v_xor_b32_e32 v164, s17, v164
	v_mul_u32_u24_e32 v37, 9, v37
	v_and_b32_e32 v158, v158, v162
	v_cmp_gt_i32_e64 s17, 0, v163
	v_ashrrev_i32_e32 v160, 31, v160
	v_xor_b32_e32 v159, vcc_lo, v159
	v_add_lshl_u32 v162, v37, v126, 2
	v_and_b32_e32 v158, v158, v164
	s_delay_alu instid0(VALU_DEP_4) | instskip(NEXT) | instid1(VALU_DEP_3)
	v_xor_b32_e32 v37, s17, v160
	v_add_nc_u32_e32 v160, 0x420, v162
	s_delay_alu instid0(VALU_DEP_3) | instskip(SKIP_2) | instid1(VALU_DEP_1)
	v_and_b32_e32 v159, v158, v159
	ds_load_b32 v158, v162 offset:1056
	; wave barrier
	v_and_b32_e32 v37, v159, v37
	v_mbcnt_lo_u32_b32 v159, v37, 0
	v_cmp_ne_u32_e64 s17, 0, v37
	s_delay_alu instid0(VALU_DEP_2) | instskip(NEXT) | instid1(VALU_DEP_2)
	v_cmp_eq_u32_e32 vcc_lo, 0, v159
	s_and_b32 s18, s17, vcc_lo
	s_delay_alu instid0(SALU_CYCLE_1)
	s_and_saveexec_b32 s17, s18
	s_cbranch_execz .LBB2086_1034
; %bb.1033:                             ;   in Loop: Header=BB2086_990 Depth=2
	s_waitcnt lgkmcnt(0)
	v_bcnt_u32_b32 v37, v37, v158
	ds_store_b32 v160, v37
.LBB2086_1034:                          ;   in Loop: Header=BB2086_990 Depth=2
	s_or_b32 exec_lo, exec_lo, s17
	v_cmp_lt_i16_e64 vcc_lo, -1, v157
	; wave barrier
	s_delay_alu instid0(VALU_DEP_1) | instskip(NEXT) | instid1(VALU_DEP_1)
	v_cndmask_b32_e64 v37, -1, 0xffff8000, vcc_lo
	v_xor_b32_e32 v157, v37, v157
	s_delay_alu instid0(VALU_DEP_1) | instskip(SKIP_1) | instid1(VALU_DEP_1)
	v_cmp_ne_u16_e64 vcc_lo, 0x7fff, v157
	v_cndmask_b32_e32 v37, 0xffff8000, v157, vcc_lo
	v_and_b32_e32 v37, 0xffff, v37
	s_delay_alu instid0(VALU_DEP_1) | instskip(NEXT) | instid1(VALU_DEP_1)
	v_lshrrev_b32_e32 v37, s49, v37
	v_and_b32_e32 v37, s55, v37
	s_delay_alu instid0(VALU_DEP_1)
	v_and_b32_e32 v162, 1, v37
	v_lshlrev_b32_e32 v163, 30, v37
	v_lshlrev_b32_e32 v164, 29, v37
	;; [unrolled: 1-line block ×4, first 2 shown]
	v_add_co_u32 v162, s17, v162, -1
	s_delay_alu instid0(VALU_DEP_1)
	v_cndmask_b32_e64 v167, 0, 1, s17
	v_not_b32_e32 v173, v163
	v_cmp_gt_i32_e64 s17, 0, v163
	v_not_b32_e32 v163, v164
	v_lshlrev_b32_e32 v171, 26, v37
	v_cmp_ne_u32_e32 vcc_lo, 0, v167
	v_ashrrev_i32_e32 v173, 31, v173
	v_lshlrev_b32_e32 v172, 25, v37
	v_ashrrev_i32_e32 v163, 31, v163
	v_lshlrev_b32_e32 v167, 24, v37
	v_xor_b32_e32 v162, vcc_lo, v162
	v_cmp_gt_i32_e32 vcc_lo, 0, v164
	v_not_b32_e32 v164, v166
	v_xor_b32_e32 v173, s17, v173
	v_cmp_gt_i32_e64 s17, 0, v166
	v_and_b32_e32 v162, exec_lo, v162
	v_not_b32_e32 v166, v168
	v_ashrrev_i32_e32 v164, 31, v164
	v_xor_b32_e32 v163, vcc_lo, v163
	v_cmp_gt_i32_e32 vcc_lo, 0, v168
	v_and_b32_e32 v162, v162, v173
	v_not_b32_e32 v168, v171
	v_ashrrev_i32_e32 v166, 31, v166
	v_xor_b32_e32 v164, s17, v164
	v_cmp_gt_i32_e64 s17, 0, v171
	v_and_b32_e32 v162, v162, v163
	v_not_b32_e32 v163, v172
	v_ashrrev_i32_e32 v168, 31, v168
	v_xor_b32_e32 v166, vcc_lo, v166
	v_cmp_gt_i32_e32 vcc_lo, 0, v172
	v_and_b32_e32 v162, v162, v164
	v_not_b32_e32 v164, v167
	v_ashrrev_i32_e32 v163, 31, v163
	v_xor_b32_e32 v168, s17, v168
	v_mul_u32_u24_e32 v37, 9, v37
	v_and_b32_e32 v162, v162, v166
	v_cmp_gt_i32_e64 s17, 0, v167
	v_ashrrev_i32_e32 v164, 31, v164
	v_xor_b32_e32 v163, vcc_lo, v163
	v_add_lshl_u32 v166, v37, v126, 2
	v_and_b32_e32 v162, v162, v168
	s_delay_alu instid0(VALU_DEP_4) | instskip(NEXT) | instid1(VALU_DEP_3)
	v_xor_b32_e32 v37, s17, v164
	v_add_nc_u32_e32 v164, 0x420, v166
	s_delay_alu instid0(VALU_DEP_3) | instskip(SKIP_2) | instid1(VALU_DEP_1)
	v_and_b32_e32 v163, v162, v163
	ds_load_b32 v162, v166 offset:1056
	; wave barrier
	v_and_b32_e32 v37, v163, v37
	v_mbcnt_lo_u32_b32 v163, v37, 0
	v_cmp_ne_u32_e64 s17, 0, v37
	s_delay_alu instid0(VALU_DEP_2) | instskip(NEXT) | instid1(VALU_DEP_2)
	v_cmp_eq_u32_e32 vcc_lo, 0, v163
	s_and_b32 s18, s17, vcc_lo
	s_delay_alu instid0(SALU_CYCLE_1)
	s_and_saveexec_b32 s17, s18
	s_cbranch_execz .LBB2086_1036
; %bb.1035:                             ;   in Loop: Header=BB2086_990 Depth=2
	s_waitcnt lgkmcnt(0)
	v_bcnt_u32_b32 v37, v37, v162
	ds_store_b32 v164, v37
.LBB2086_1036:                          ;   in Loop: Header=BB2086_990 Depth=2
	s_or_b32 exec_lo, exec_lo, s17
	v_cmp_lt_i16_e64 vcc_lo, -1, v161
	; wave barrier
	s_delay_alu instid0(VALU_DEP_1) | instskip(NEXT) | instid1(VALU_DEP_1)
	v_cndmask_b32_e64 v37, -1, 0xffff8000, vcc_lo
	v_xor_b32_e32 v161, v37, v161
	s_delay_alu instid0(VALU_DEP_1) | instskip(SKIP_1) | instid1(VALU_DEP_1)
	v_cmp_ne_u16_e64 vcc_lo, 0x7fff, v161
	v_cndmask_b32_e32 v37, 0xffff8000, v161, vcc_lo
	v_and_b32_e32 v37, 0xffff, v37
	s_delay_alu instid0(VALU_DEP_1) | instskip(NEXT) | instid1(VALU_DEP_1)
	v_lshrrev_b32_e32 v37, s49, v37
	v_and_b32_e32 v37, s55, v37
	s_delay_alu instid0(VALU_DEP_1)
	v_and_b32_e32 v166, 1, v37
	v_lshlrev_b32_e32 v167, 30, v37
	v_lshlrev_b32_e32 v168, 29, v37
	;; [unrolled: 1-line block ×4, first 2 shown]
	v_add_co_u32 v166, s17, v166, -1
	s_delay_alu instid0(VALU_DEP_1)
	v_cndmask_b32_e64 v172, 0, 1, s17
	v_not_b32_e32 v176, v167
	v_cmp_gt_i32_e64 s17, 0, v167
	v_not_b32_e32 v167, v168
	v_lshlrev_b32_e32 v174, 26, v37
	v_cmp_ne_u32_e32 vcc_lo, 0, v172
	v_ashrrev_i32_e32 v176, 31, v176
	v_lshlrev_b32_e32 v175, 25, v37
	v_ashrrev_i32_e32 v167, 31, v167
	v_lshlrev_b32_e32 v172, 24, v37
	v_xor_b32_e32 v166, vcc_lo, v166
	v_cmp_gt_i32_e32 vcc_lo, 0, v168
	v_not_b32_e32 v168, v171
	v_xor_b32_e32 v176, s17, v176
	v_cmp_gt_i32_e64 s17, 0, v171
	v_and_b32_e32 v166, exec_lo, v166
	v_not_b32_e32 v171, v173
	v_ashrrev_i32_e32 v168, 31, v168
	v_xor_b32_e32 v167, vcc_lo, v167
	v_cmp_gt_i32_e32 vcc_lo, 0, v173
	v_and_b32_e32 v166, v166, v176
	v_not_b32_e32 v173, v174
	v_ashrrev_i32_e32 v171, 31, v171
	v_xor_b32_e32 v168, s17, v168
	v_cmp_gt_i32_e64 s17, 0, v174
	v_and_b32_e32 v166, v166, v167
	v_not_b32_e32 v167, v175
	v_ashrrev_i32_e32 v173, 31, v173
	v_xor_b32_e32 v171, vcc_lo, v171
	v_cmp_gt_i32_e32 vcc_lo, 0, v175
	v_and_b32_e32 v166, v166, v168
	v_not_b32_e32 v168, v172
	v_ashrrev_i32_e32 v167, 31, v167
	v_xor_b32_e32 v173, s17, v173
	v_mul_u32_u24_e32 v37, 9, v37
	v_and_b32_e32 v166, v166, v171
	v_cmp_gt_i32_e64 s17, 0, v172
	v_ashrrev_i32_e32 v168, 31, v168
	v_xor_b32_e32 v167, vcc_lo, v167
	v_add_lshl_u32 v171, v37, v126, 2
	v_and_b32_e32 v166, v166, v173
	s_delay_alu instid0(VALU_DEP_4) | instskip(NEXT) | instid1(VALU_DEP_3)
	v_xor_b32_e32 v37, s17, v168
	v_add_nc_u32_e32 v168, 0x420, v171
	s_delay_alu instid0(VALU_DEP_3) | instskip(SKIP_2) | instid1(VALU_DEP_1)
	v_and_b32_e32 v167, v166, v167
	ds_load_b32 v166, v171 offset:1056
	; wave barrier
	v_and_b32_e32 v37, v167, v37
	v_mbcnt_lo_u32_b32 v167, v37, 0
	v_cmp_ne_u32_e64 s17, 0, v37
	s_delay_alu instid0(VALU_DEP_2) | instskip(NEXT) | instid1(VALU_DEP_2)
	v_cmp_eq_u32_e32 vcc_lo, 0, v167
	s_and_b32 s18, s17, vcc_lo
	s_delay_alu instid0(SALU_CYCLE_1)
	s_and_saveexec_b32 s17, s18
	s_cbranch_execz .LBB2086_1038
; %bb.1037:                             ;   in Loop: Header=BB2086_990 Depth=2
	s_waitcnt lgkmcnt(0)
	v_bcnt_u32_b32 v37, v37, v166
	ds_store_b32 v168, v37
.LBB2086_1038:                          ;   in Loop: Header=BB2086_990 Depth=2
	s_or_b32 exec_lo, exec_lo, s17
	v_cmp_lt_i16_e64 vcc_lo, -1, v165
	; wave barrier
	s_delay_alu instid0(VALU_DEP_1) | instskip(NEXT) | instid1(VALU_DEP_1)
	v_cndmask_b32_e64 v37, -1, 0xffff8000, vcc_lo
	v_xor_b32_e32 v165, v37, v165
	s_delay_alu instid0(VALU_DEP_1) | instskip(SKIP_1) | instid1(VALU_DEP_1)
	v_cmp_ne_u16_e64 vcc_lo, 0x7fff, v165
	v_cndmask_b32_e32 v37, 0xffff8000, v165, vcc_lo
	v_and_b32_e32 v37, 0xffff, v37
	s_delay_alu instid0(VALU_DEP_1) | instskip(NEXT) | instid1(VALU_DEP_1)
	v_lshrrev_b32_e32 v37, s49, v37
	v_and_b32_e32 v37, s55, v37
	s_delay_alu instid0(VALU_DEP_1)
	v_and_b32_e32 v171, 1, v37
	v_lshlrev_b32_e32 v172, 30, v37
	v_lshlrev_b32_e32 v173, 29, v37
	;; [unrolled: 1-line block ×4, first 2 shown]
	v_add_co_u32 v171, s17, v171, -1
	s_delay_alu instid0(VALU_DEP_1)
	v_cndmask_b32_e64 v175, 0, 1, s17
	v_not_b32_e32 v179, v172
	v_cmp_gt_i32_e64 s17, 0, v172
	v_not_b32_e32 v172, v173
	v_lshlrev_b32_e32 v177, 26, v37
	v_cmp_ne_u32_e32 vcc_lo, 0, v175
	v_ashrrev_i32_e32 v179, 31, v179
	v_lshlrev_b32_e32 v178, 25, v37
	v_ashrrev_i32_e32 v172, 31, v172
	v_lshlrev_b32_e32 v175, 24, v37
	v_xor_b32_e32 v171, vcc_lo, v171
	v_cmp_gt_i32_e32 vcc_lo, 0, v173
	v_not_b32_e32 v173, v174
	v_xor_b32_e32 v179, s17, v179
	v_cmp_gt_i32_e64 s17, 0, v174
	v_and_b32_e32 v171, exec_lo, v171
	v_not_b32_e32 v174, v176
	v_ashrrev_i32_e32 v173, 31, v173
	v_xor_b32_e32 v172, vcc_lo, v172
	v_cmp_gt_i32_e32 vcc_lo, 0, v176
	v_and_b32_e32 v171, v171, v179
	v_not_b32_e32 v176, v177
	v_ashrrev_i32_e32 v174, 31, v174
	v_xor_b32_e32 v173, s17, v173
	v_cmp_gt_i32_e64 s17, 0, v177
	v_and_b32_e32 v171, v171, v172
	v_not_b32_e32 v172, v178
	v_ashrrev_i32_e32 v176, 31, v176
	v_xor_b32_e32 v174, vcc_lo, v174
	v_cmp_gt_i32_e32 vcc_lo, 0, v178
	v_and_b32_e32 v171, v171, v173
	v_not_b32_e32 v173, v175
	v_ashrrev_i32_e32 v172, 31, v172
	v_xor_b32_e32 v176, s17, v176
	v_mul_u32_u24_e32 v37, 9, v37
	v_and_b32_e32 v171, v171, v174
	v_cmp_gt_i32_e64 s17, 0, v175
	v_ashrrev_i32_e32 v173, 31, v173
	v_xor_b32_e32 v172, vcc_lo, v172
	v_add_lshl_u32 v174, v37, v126, 2
	v_and_b32_e32 v171, v171, v176
	s_delay_alu instid0(VALU_DEP_4) | instskip(NEXT) | instid1(VALU_DEP_3)
	v_xor_b32_e32 v37, s17, v173
	v_add_nc_u32_e32 v173, 0x420, v174
	s_delay_alu instid0(VALU_DEP_3) | instskip(SKIP_2) | instid1(VALU_DEP_1)
	v_and_b32_e32 v172, v171, v172
	ds_load_b32 v171, v174 offset:1056
	; wave barrier
	v_and_b32_e32 v37, v172, v37
	v_mbcnt_lo_u32_b32 v172, v37, 0
	v_cmp_ne_u32_e64 s17, 0, v37
	s_delay_alu instid0(VALU_DEP_2) | instskip(NEXT) | instid1(VALU_DEP_2)
	v_cmp_eq_u32_e32 vcc_lo, 0, v172
	s_and_b32 s18, s17, vcc_lo
	s_delay_alu instid0(SALU_CYCLE_1)
	s_and_saveexec_b32 s17, s18
	s_cbranch_execz .LBB2086_1040
; %bb.1039:                             ;   in Loop: Header=BB2086_990 Depth=2
	s_waitcnt lgkmcnt(0)
	v_bcnt_u32_b32 v37, v37, v171
	ds_store_b32 v173, v37
.LBB2086_1040:                          ;   in Loop: Header=BB2086_990 Depth=2
	s_or_b32 exec_lo, exec_lo, s17
	v_cmp_lt_i16_e64 vcc_lo, -1, v170
	; wave barrier
	s_delay_alu instid0(VALU_DEP_1) | instskip(NEXT) | instid1(VALU_DEP_1)
	v_cndmask_b32_e64 v37, -1, 0xffff8000, vcc_lo
	v_xor_b32_e32 v170, v37, v170
	s_delay_alu instid0(VALU_DEP_1) | instskip(SKIP_1) | instid1(VALU_DEP_1)
	v_cmp_ne_u16_e64 vcc_lo, 0x7fff, v170
	v_cndmask_b32_e32 v37, 0xffff8000, v170, vcc_lo
	v_and_b32_e32 v37, 0xffff, v37
	s_delay_alu instid0(VALU_DEP_1) | instskip(NEXT) | instid1(VALU_DEP_1)
	v_lshrrev_b32_e32 v37, s49, v37
	v_and_b32_e32 v37, s55, v37
	s_delay_alu instid0(VALU_DEP_1)
	v_and_b32_e32 v174, 1, v37
	v_lshlrev_b32_e32 v175, 30, v37
	v_lshlrev_b32_e32 v176, 29, v37
	;; [unrolled: 1-line block ×4, first 2 shown]
	v_add_co_u32 v174, s17, v174, -1
	s_delay_alu instid0(VALU_DEP_1)
	v_cndmask_b32_e64 v178, 0, 1, s17
	v_not_b32_e32 v182, v175
	v_cmp_gt_i32_e64 s17, 0, v175
	v_not_b32_e32 v175, v176
	v_lshlrev_b32_e32 v180, 26, v37
	v_cmp_ne_u32_e32 vcc_lo, 0, v178
	v_ashrrev_i32_e32 v182, 31, v182
	v_lshlrev_b32_e32 v181, 25, v37
	v_ashrrev_i32_e32 v175, 31, v175
	v_lshlrev_b32_e32 v178, 24, v37
	v_xor_b32_e32 v174, vcc_lo, v174
	v_cmp_gt_i32_e32 vcc_lo, 0, v176
	v_not_b32_e32 v176, v177
	v_xor_b32_e32 v182, s17, v182
	v_cmp_gt_i32_e64 s17, 0, v177
	v_and_b32_e32 v174, exec_lo, v174
	v_not_b32_e32 v177, v179
	v_ashrrev_i32_e32 v176, 31, v176
	v_xor_b32_e32 v175, vcc_lo, v175
	v_cmp_gt_i32_e32 vcc_lo, 0, v179
	v_and_b32_e32 v174, v174, v182
	v_not_b32_e32 v179, v180
	v_ashrrev_i32_e32 v177, 31, v177
	v_xor_b32_e32 v176, s17, v176
	v_cmp_gt_i32_e64 s17, 0, v180
	v_and_b32_e32 v174, v174, v175
	v_not_b32_e32 v175, v181
	v_ashrrev_i32_e32 v179, 31, v179
	v_xor_b32_e32 v177, vcc_lo, v177
	v_cmp_gt_i32_e32 vcc_lo, 0, v181
	v_and_b32_e32 v174, v174, v176
	v_not_b32_e32 v176, v178
	v_ashrrev_i32_e32 v175, 31, v175
	v_xor_b32_e32 v179, s17, v179
	v_mul_u32_u24_e32 v37, 9, v37
	v_and_b32_e32 v174, v174, v177
	v_cmp_gt_i32_e64 s17, 0, v178
	v_ashrrev_i32_e32 v176, 31, v176
	v_xor_b32_e32 v175, vcc_lo, v175
	v_add_lshl_u32 v177, v37, v126, 2
	v_and_b32_e32 v174, v174, v179
	s_delay_alu instid0(VALU_DEP_4) | instskip(NEXT) | instid1(VALU_DEP_3)
	v_xor_b32_e32 v37, s17, v176
	v_add_nc_u32_e32 v176, 0x420, v177
	s_delay_alu instid0(VALU_DEP_3) | instskip(SKIP_2) | instid1(VALU_DEP_1)
	v_and_b32_e32 v175, v174, v175
	ds_load_b32 v174, v177 offset:1056
	; wave barrier
	v_and_b32_e32 v37, v175, v37
	v_mbcnt_lo_u32_b32 v175, v37, 0
	v_cmp_ne_u32_e64 s17, 0, v37
	s_delay_alu instid0(VALU_DEP_2) | instskip(NEXT) | instid1(VALU_DEP_2)
	v_cmp_eq_u32_e32 vcc_lo, 0, v175
	s_and_b32 s18, s17, vcc_lo
	s_delay_alu instid0(SALU_CYCLE_1)
	s_and_saveexec_b32 s17, s18
	s_cbranch_execz .LBB2086_1042
; %bb.1041:                             ;   in Loop: Header=BB2086_990 Depth=2
	s_waitcnt lgkmcnt(0)
	v_bcnt_u32_b32 v37, v37, v174
	ds_store_b32 v176, v37
.LBB2086_1042:                          ;   in Loop: Header=BB2086_990 Depth=2
	s_or_b32 exec_lo, exec_lo, s17
	v_cmp_lt_i16_e64 vcc_lo, -1, v169
	; wave barrier
	s_delay_alu instid0(VALU_DEP_1) | instskip(NEXT) | instid1(VALU_DEP_1)
	v_cndmask_b32_e64 v37, -1, 0xffff8000, vcc_lo
	v_xor_b32_e32 v169, v37, v169
	s_delay_alu instid0(VALU_DEP_1) | instskip(SKIP_1) | instid1(VALU_DEP_1)
	v_cmp_ne_u16_e64 vcc_lo, 0x7fff, v169
	v_cndmask_b32_e32 v37, 0xffff8000, v169, vcc_lo
	v_and_b32_e32 v37, 0xffff, v37
	s_delay_alu instid0(VALU_DEP_1) | instskip(NEXT) | instid1(VALU_DEP_1)
	v_lshrrev_b32_e32 v37, s49, v37
	v_and_b32_e32 v37, s55, v37
	s_delay_alu instid0(VALU_DEP_1)
	v_and_b32_e32 v177, 1, v37
	v_lshlrev_b32_e32 v178, 30, v37
	v_lshlrev_b32_e32 v179, 29, v37
	;; [unrolled: 1-line block ×4, first 2 shown]
	v_add_co_u32 v177, s17, v177, -1
	s_delay_alu instid0(VALU_DEP_1)
	v_cndmask_b32_e64 v181, 0, 1, s17
	v_not_b32_e32 v185, v178
	v_cmp_gt_i32_e64 s17, 0, v178
	v_not_b32_e32 v178, v179
	v_lshlrev_b32_e32 v183, 26, v37
	v_cmp_ne_u32_e32 vcc_lo, 0, v181
	v_ashrrev_i32_e32 v185, 31, v185
	v_lshlrev_b32_e32 v184, 25, v37
	v_ashrrev_i32_e32 v178, 31, v178
	v_lshlrev_b32_e32 v181, 24, v37
	v_xor_b32_e32 v177, vcc_lo, v177
	v_cmp_gt_i32_e32 vcc_lo, 0, v179
	v_not_b32_e32 v179, v180
	v_xor_b32_e32 v185, s17, v185
	v_cmp_gt_i32_e64 s17, 0, v180
	v_and_b32_e32 v177, exec_lo, v177
	v_not_b32_e32 v180, v182
	v_ashrrev_i32_e32 v179, 31, v179
	v_xor_b32_e32 v178, vcc_lo, v178
	v_cmp_gt_i32_e32 vcc_lo, 0, v182
	v_and_b32_e32 v177, v177, v185
	v_not_b32_e32 v182, v183
	v_ashrrev_i32_e32 v180, 31, v180
	v_xor_b32_e32 v179, s17, v179
	v_cmp_gt_i32_e64 s17, 0, v183
	v_and_b32_e32 v177, v177, v178
	v_not_b32_e32 v178, v184
	v_ashrrev_i32_e32 v182, 31, v182
	v_xor_b32_e32 v180, vcc_lo, v180
	v_cmp_gt_i32_e32 vcc_lo, 0, v184
	v_and_b32_e32 v177, v177, v179
	v_not_b32_e32 v179, v181
	v_ashrrev_i32_e32 v178, 31, v178
	v_xor_b32_e32 v182, s17, v182
	v_mul_u32_u24_e32 v37, 9, v37
	v_and_b32_e32 v177, v177, v180
	v_cmp_gt_i32_e64 s17, 0, v181
	v_ashrrev_i32_e32 v179, 31, v179
	v_xor_b32_e32 v178, vcc_lo, v178
	v_add_lshl_u32 v180, v37, v126, 2
	v_and_b32_e32 v177, v177, v182
	s_delay_alu instid0(VALU_DEP_4) | instskip(NEXT) | instid1(VALU_DEP_2)
	v_xor_b32_e32 v37, s17, v179
	v_and_b32_e32 v177, v177, v178
	ds_load_b32 v178, v180 offset:1056
	v_add_nc_u32_e32 v180, 0x420, v180
	; wave barrier
	v_and_b32_e32 v37, v177, v37
	s_delay_alu instid0(VALU_DEP_1) | instskip(SKIP_1) | instid1(VALU_DEP_2)
	v_mbcnt_lo_u32_b32 v179, v37, 0
	v_cmp_ne_u32_e64 s17, 0, v37
	v_cmp_eq_u32_e32 vcc_lo, 0, v179
	s_delay_alu instid0(VALU_DEP_2) | instskip(NEXT) | instid1(SALU_CYCLE_1)
	s_and_b32 s18, s17, vcc_lo
	s_and_saveexec_b32 s17, s18
	s_cbranch_execz .LBB2086_1044
; %bb.1043:                             ;   in Loop: Header=BB2086_990 Depth=2
	s_waitcnt lgkmcnt(0)
	v_bcnt_u32_b32 v37, v37, v178
	ds_store_b32 v180, v37
.LBB2086_1044:                          ;   in Loop: Header=BB2086_990 Depth=2
	s_or_b32 exec_lo, exec_lo, s17
	v_cmp_lt_i16_e32 vcc_lo, -1, v43
	; wave barrier
	v_cndmask_b32_e64 v37, -1, 0xffff8000, vcc_lo
	s_delay_alu instid0(VALU_DEP_1) | instskip(NEXT) | instid1(VALU_DEP_1)
	v_xor_b32_e32 v177, v37, v43
	v_cmp_ne_u16_e64 vcc_lo, 0x7fff, v177
	v_cndmask_b32_e32 v37, 0xffff8000, v177, vcc_lo
	s_delay_alu instid0(VALU_DEP_1) | instskip(NEXT) | instid1(VALU_DEP_1)
	v_and_b32_e32 v37, 0xffff, v37
	v_lshrrev_b32_e32 v37, s49, v37
	s_delay_alu instid0(VALU_DEP_1) | instskip(NEXT) | instid1(VALU_DEP_1)
	v_and_b32_e32 v37, s55, v37
	v_and_b32_e32 v43, 1, v37
	v_lshlrev_b32_e32 v181, 30, v37
	v_lshlrev_b32_e32 v182, 29, v37
	;; [unrolled: 1-line block ×4, first 2 shown]
	v_add_co_u32 v43, s17, v43, -1
	s_delay_alu instid0(VALU_DEP_1)
	v_cndmask_b32_e64 v184, 0, 1, s17
	v_not_b32_e32 v188, v181
	v_cmp_gt_i32_e64 s17, 0, v181
	v_not_b32_e32 v181, v182
	v_lshlrev_b32_e32 v186, 26, v37
	v_cmp_ne_u32_e32 vcc_lo, 0, v184
	v_ashrrev_i32_e32 v188, 31, v188
	v_lshlrev_b32_e32 v187, 25, v37
	v_ashrrev_i32_e32 v181, 31, v181
	v_lshlrev_b32_e32 v184, 24, v37
	v_xor_b32_e32 v43, vcc_lo, v43
	v_cmp_gt_i32_e32 vcc_lo, 0, v182
	v_not_b32_e32 v182, v183
	v_xor_b32_e32 v188, s17, v188
	v_cmp_gt_i32_e64 s17, 0, v183
	v_and_b32_e32 v43, exec_lo, v43
	v_not_b32_e32 v183, v185
	v_ashrrev_i32_e32 v182, 31, v182
	v_xor_b32_e32 v181, vcc_lo, v181
	v_cmp_gt_i32_e32 vcc_lo, 0, v185
	v_and_b32_e32 v43, v43, v188
	v_not_b32_e32 v185, v186
	v_ashrrev_i32_e32 v183, 31, v183
	v_xor_b32_e32 v182, s17, v182
	v_cmp_gt_i32_e64 s17, 0, v186
	v_and_b32_e32 v43, v43, v181
	v_not_b32_e32 v181, v187
	v_ashrrev_i32_e32 v185, 31, v185
	v_xor_b32_e32 v183, vcc_lo, v183
	v_cmp_gt_i32_e32 vcc_lo, 0, v187
	v_and_b32_e32 v43, v43, v182
	v_not_b32_e32 v182, v184
	v_ashrrev_i32_e32 v181, 31, v181
	v_xor_b32_e32 v185, s17, v185
	v_mul_u32_u24_e32 v37, 9, v37
	v_and_b32_e32 v43, v43, v183
	v_cmp_gt_i32_e64 s17, 0, v184
	v_ashrrev_i32_e32 v182, 31, v182
	v_xor_b32_e32 v181, vcc_lo, v181
	v_add_lshl_u32 v184, v37, v126, 2
	v_and_b32_e32 v43, v43, v185
	s_delay_alu instid0(VALU_DEP_4) | instskip(SKIP_3) | instid1(VALU_DEP_2)
	v_xor_b32_e32 v37, s17, v182
	ds_load_b32 v182, v184 offset:1056
	v_and_b32_e32 v43, v43, v181
	v_add_nc_u32_e32 v184, 0x420, v184
	; wave barrier
	v_and_b32_e32 v37, v43, v37
	s_delay_alu instid0(VALU_DEP_1) | instskip(SKIP_1) | instid1(VALU_DEP_2)
	v_mbcnt_lo_u32_b32 v183, v37, 0
	v_cmp_ne_u32_e64 s17, 0, v37
	v_cmp_eq_u32_e32 vcc_lo, 0, v183
	s_delay_alu instid0(VALU_DEP_2) | instskip(NEXT) | instid1(SALU_CYCLE_1)
	s_and_b32 s18, s17, vcc_lo
	s_and_saveexec_b32 s17, s18
	s_cbranch_execz .LBB2086_1046
; %bb.1045:                             ;   in Loop: Header=BB2086_990 Depth=2
	s_waitcnt lgkmcnt(0)
	v_bcnt_u32_b32 v37, v37, v182
	ds_store_b32 v184, v37
.LBB2086_1046:                          ;   in Loop: Header=BB2086_990 Depth=2
	s_or_b32 exec_lo, exec_lo, s17
	v_cmp_lt_i16_e32 vcc_lo, -1, v42
	; wave barrier
	v_cndmask_b32_e64 v37, -1, 0xffff8000, vcc_lo
	s_delay_alu instid0(VALU_DEP_1) | instskip(NEXT) | instid1(VALU_DEP_1)
	v_xor_b32_e32 v181, v37, v42
	v_cmp_ne_u16_e64 vcc_lo, 0x7fff, v181
	v_cndmask_b32_e32 v37, 0xffff8000, v181, vcc_lo
	s_delay_alu instid0(VALU_DEP_1) | instskip(NEXT) | instid1(VALU_DEP_1)
	v_and_b32_e32 v37, 0xffff, v37
	v_lshrrev_b32_e32 v37, s49, v37
	s_delay_alu instid0(VALU_DEP_1) | instskip(NEXT) | instid1(VALU_DEP_1)
	v_and_b32_e32 v37, s55, v37
	v_and_b32_e32 v42, 1, v37
	v_lshlrev_b32_e32 v43, 30, v37
	v_lshlrev_b32_e32 v185, 29, v37
	;; [unrolled: 1-line block ×4, first 2 shown]
	v_add_co_u32 v42, s17, v42, -1
	s_delay_alu instid0(VALU_DEP_1)
	v_cndmask_b32_e64 v187, 0, 1, s17
	v_not_b32_e32 v191, v43
	v_cmp_gt_i32_e64 s17, 0, v43
	v_not_b32_e32 v43, v185
	v_lshlrev_b32_e32 v189, 26, v37
	v_cmp_ne_u32_e32 vcc_lo, 0, v187
	v_ashrrev_i32_e32 v191, 31, v191
	v_lshlrev_b32_e32 v190, 25, v37
	v_ashrrev_i32_e32 v43, 31, v43
	v_lshlrev_b32_e32 v187, 24, v37
	v_xor_b32_e32 v42, vcc_lo, v42
	v_cmp_gt_i32_e32 vcc_lo, 0, v185
	v_not_b32_e32 v185, v186
	v_xor_b32_e32 v191, s17, v191
	v_cmp_gt_i32_e64 s17, 0, v186
	v_and_b32_e32 v42, exec_lo, v42
	v_not_b32_e32 v186, v188
	v_ashrrev_i32_e32 v185, 31, v185
	v_xor_b32_e32 v43, vcc_lo, v43
	v_cmp_gt_i32_e32 vcc_lo, 0, v188
	v_and_b32_e32 v42, v42, v191
	v_not_b32_e32 v188, v189
	v_ashrrev_i32_e32 v186, 31, v186
	v_xor_b32_e32 v185, s17, v185
	v_cmp_gt_i32_e64 s17, 0, v189
	v_and_b32_e32 v42, v42, v43
	v_not_b32_e32 v43, v190
	v_ashrrev_i32_e32 v188, 31, v188
	v_xor_b32_e32 v186, vcc_lo, v186
	v_cmp_gt_i32_e32 vcc_lo, 0, v190
	v_and_b32_e32 v42, v42, v185
	v_not_b32_e32 v185, v187
	v_ashrrev_i32_e32 v43, 31, v43
	v_xor_b32_e32 v188, s17, v188
	v_mul_u32_u24_e32 v37, 9, v37
	v_and_b32_e32 v42, v42, v186
	v_cmp_gt_i32_e64 s17, 0, v187
	v_ashrrev_i32_e32 v185, 31, v185
	v_xor_b32_e32 v43, vcc_lo, v43
	s_delay_alu instid0(VALU_DEP_4) | instskip(SKIP_1) | instid1(VALU_DEP_4)
	v_and_b32_e32 v42, v42, v188
	v_add_lshl_u32 v188, v37, v126, 2
	v_xor_b32_e32 v37, s17, v185
	s_delay_alu instid0(VALU_DEP_3) | instskip(SKIP_3) | instid1(VALU_DEP_1)
	v_and_b32_e32 v42, v42, v43
	ds_load_b32 v186, v188 offset:1056
	v_add_nc_u32_e32 v188, 0x420, v188
	; wave barrier
	v_and_b32_e32 v37, v42, v37
	v_mbcnt_lo_u32_b32 v187, v37, 0
	v_cmp_ne_u32_e64 s17, 0, v37
	s_delay_alu instid0(VALU_DEP_2) | instskip(NEXT) | instid1(VALU_DEP_2)
	v_cmp_eq_u32_e32 vcc_lo, 0, v187
	s_and_b32 s18, s17, vcc_lo
	s_delay_alu instid0(SALU_CYCLE_1)
	s_and_saveexec_b32 s17, s18
	s_cbranch_execz .LBB2086_1048
; %bb.1047:                             ;   in Loop: Header=BB2086_990 Depth=2
	s_waitcnt lgkmcnt(0)
	v_bcnt_u32_b32 v37, v37, v186
	ds_store_b32 v188, v37
.LBB2086_1048:                          ;   in Loop: Header=BB2086_990 Depth=2
	s_or_b32 exec_lo, exec_lo, s17
	v_cmp_lt_i16_e32 vcc_lo, -1, v41
	; wave barrier
	v_cndmask_b32_e64 v37, -1, 0xffff8000, vcc_lo
	s_delay_alu instid0(VALU_DEP_1) | instskip(NEXT) | instid1(VALU_DEP_1)
	v_xor_b32_e32 v185, v37, v41
	v_cmp_ne_u16_e64 vcc_lo, 0x7fff, v185
	v_cndmask_b32_e32 v37, 0xffff8000, v185, vcc_lo
	s_delay_alu instid0(VALU_DEP_1) | instskip(NEXT) | instid1(VALU_DEP_1)
	v_and_b32_e32 v37, 0xffff, v37
	v_lshrrev_b32_e32 v37, s49, v37
	s_delay_alu instid0(VALU_DEP_1) | instskip(NEXT) | instid1(VALU_DEP_1)
	v_and_b32_e32 v37, s55, v37
	v_and_b32_e32 v41, 1, v37
	v_lshlrev_b32_e32 v42, 30, v37
	v_lshlrev_b32_e32 v43, 29, v37
	;; [unrolled: 1-line block ×4, first 2 shown]
	v_add_co_u32 v41, s17, v41, -1
	s_delay_alu instid0(VALU_DEP_1)
	v_cndmask_b32_e64 v190, 0, 1, s17
	v_not_b32_e32 v194, v42
	v_cmp_gt_i32_e64 s17, 0, v42
	v_not_b32_e32 v42, v43
	v_lshlrev_b32_e32 v192, 26, v37
	v_cmp_ne_u32_e32 vcc_lo, 0, v190
	v_ashrrev_i32_e32 v194, 31, v194
	v_lshlrev_b32_e32 v193, 25, v37
	v_ashrrev_i32_e32 v42, 31, v42
	v_lshlrev_b32_e32 v190, 24, v37
	v_xor_b32_e32 v41, vcc_lo, v41
	v_cmp_gt_i32_e32 vcc_lo, 0, v43
	v_not_b32_e32 v43, v189
	v_xor_b32_e32 v194, s17, v194
	v_cmp_gt_i32_e64 s17, 0, v189
	v_and_b32_e32 v41, exec_lo, v41
	v_not_b32_e32 v189, v191
	v_ashrrev_i32_e32 v43, 31, v43
	v_xor_b32_e32 v42, vcc_lo, v42
	v_cmp_gt_i32_e32 vcc_lo, 0, v191
	v_and_b32_e32 v41, v41, v194
	v_not_b32_e32 v191, v192
	v_ashrrev_i32_e32 v189, 31, v189
	v_xor_b32_e32 v43, s17, v43
	v_cmp_gt_i32_e64 s17, 0, v192
	v_and_b32_e32 v41, v41, v42
	v_not_b32_e32 v42, v193
	v_ashrrev_i32_e32 v191, 31, v191
	v_xor_b32_e32 v189, vcc_lo, v189
	v_cmp_gt_i32_e32 vcc_lo, 0, v193
	v_and_b32_e32 v41, v41, v43
	v_not_b32_e32 v43, v190
	v_ashrrev_i32_e32 v42, 31, v42
	v_xor_b32_e32 v191, s17, v191
	v_mul_u32_u24_e32 v37, 9, v37
	v_and_b32_e32 v41, v41, v189
	v_cmp_gt_i32_e64 s17, 0, v190
	v_ashrrev_i32_e32 v43, 31, v43
	v_xor_b32_e32 v42, vcc_lo, v42
	v_add_lshl_u32 v189, v37, v126, 2
	v_and_b32_e32 v41, v41, v191
	s_delay_alu instid0(VALU_DEP_4) | instskip(SKIP_3) | instid1(VALU_DEP_2)
	v_xor_b32_e32 v37, s17, v43
	ds_load_b32 v190, v189 offset:1056
	v_and_b32_e32 v41, v41, v42
	v_add_nc_u32_e32 v192, 0x420, v189
	; wave barrier
	v_and_b32_e32 v37, v41, v37
	s_delay_alu instid0(VALU_DEP_1) | instskip(SKIP_1) | instid1(VALU_DEP_2)
	v_mbcnt_lo_u32_b32 v191, v37, 0
	v_cmp_ne_u32_e64 s17, 0, v37
	v_cmp_eq_u32_e32 vcc_lo, 0, v191
	s_delay_alu instid0(VALU_DEP_2) | instskip(NEXT) | instid1(SALU_CYCLE_1)
	s_and_b32 s18, s17, vcc_lo
	s_and_saveexec_b32 s17, s18
	s_cbranch_execz .LBB2086_1050
; %bb.1049:                             ;   in Loop: Header=BB2086_990 Depth=2
	s_waitcnt lgkmcnt(0)
	v_bcnt_u32_b32 v37, v37, v190
	ds_store_b32 v192, v37
.LBB2086_1050:                          ;   in Loop: Header=BB2086_990 Depth=2
	s_or_b32 exec_lo, exec_lo, s17
	v_cmp_lt_i16_e32 vcc_lo, -1, v40
	; wave barrier
	v_cndmask_b32_e64 v37, -1, 0xffff8000, vcc_lo
	s_delay_alu instid0(VALU_DEP_1) | instskip(NEXT) | instid1(VALU_DEP_1)
	v_xor_b32_e32 v189, v37, v40
	v_cmp_ne_u16_e64 vcc_lo, 0x7fff, v189
	v_cndmask_b32_e32 v37, 0xffff8000, v189, vcc_lo
	s_delay_alu instid0(VALU_DEP_1) | instskip(NEXT) | instid1(VALU_DEP_1)
	v_and_b32_e32 v37, 0xffff, v37
	v_lshrrev_b32_e32 v37, s49, v37
	s_delay_alu instid0(VALU_DEP_1) | instskip(NEXT) | instid1(VALU_DEP_1)
	v_and_b32_e32 v37, s55, v37
	v_and_b32_e32 v40, 1, v37
	v_lshlrev_b32_e32 v41, 30, v37
	v_lshlrev_b32_e32 v42, 29, v37
	v_lshlrev_b32_e32 v43, 28, v37
	v_lshlrev_b32_e32 v194, 27, v37
	v_add_co_u32 v40, s17, v40, -1
	s_delay_alu instid0(VALU_DEP_1)
	v_cndmask_b32_e64 v193, 0, 1, s17
	v_not_b32_e32 v197, v41
	v_cmp_gt_i32_e64 s17, 0, v41
	v_not_b32_e32 v41, v42
	v_lshlrev_b32_e32 v195, 26, v37
	v_cmp_ne_u32_e32 vcc_lo, 0, v193
	v_ashrrev_i32_e32 v197, 31, v197
	v_lshlrev_b32_e32 v196, 25, v37
	v_ashrrev_i32_e32 v41, 31, v41
	v_lshlrev_b32_e32 v193, 24, v37
	v_xor_b32_e32 v40, vcc_lo, v40
	v_cmp_gt_i32_e32 vcc_lo, 0, v42
	v_not_b32_e32 v42, v43
	v_xor_b32_e32 v197, s17, v197
	v_cmp_gt_i32_e64 s17, 0, v43
	v_and_b32_e32 v40, exec_lo, v40
	v_not_b32_e32 v43, v194
	v_ashrrev_i32_e32 v42, 31, v42
	v_xor_b32_e32 v41, vcc_lo, v41
	v_cmp_gt_i32_e32 vcc_lo, 0, v194
	v_and_b32_e32 v40, v40, v197
	v_not_b32_e32 v194, v195
	v_ashrrev_i32_e32 v43, 31, v43
	v_xor_b32_e32 v42, s17, v42
	v_cmp_gt_i32_e64 s17, 0, v195
	v_and_b32_e32 v40, v40, v41
	v_not_b32_e32 v41, v196
	v_ashrrev_i32_e32 v194, 31, v194
	v_xor_b32_e32 v43, vcc_lo, v43
	v_cmp_gt_i32_e32 vcc_lo, 0, v196
	v_and_b32_e32 v40, v40, v42
	v_not_b32_e32 v42, v193
	v_ashrrev_i32_e32 v41, 31, v41
	v_xor_b32_e32 v194, s17, v194
	v_mul_u32_u24_e32 v37, 9, v37
	v_and_b32_e32 v40, v40, v43
	v_cmp_gt_i32_e64 s17, 0, v193
	v_ashrrev_i32_e32 v42, 31, v42
	v_xor_b32_e32 v41, vcc_lo, v41
	v_add_lshl_u32 v43, v37, v126, 2
	v_and_b32_e32 v40, v40, v194
	s_delay_alu instid0(VALU_DEP_4) | instskip(SKIP_3) | instid1(VALU_DEP_2)
	v_xor_b32_e32 v37, s17, v42
	ds_load_b32 v194, v43 offset:1056
	v_and_b32_e32 v40, v40, v41
	v_add_nc_u32_e32 v196, 0x420, v43
	; wave barrier
	v_and_b32_e32 v37, v40, v37
	s_delay_alu instid0(VALU_DEP_1) | instskip(SKIP_1) | instid1(VALU_DEP_2)
	v_mbcnt_lo_u32_b32 v195, v37, 0
	v_cmp_ne_u32_e64 s17, 0, v37
	v_cmp_eq_u32_e32 vcc_lo, 0, v195
	s_delay_alu instid0(VALU_DEP_2) | instskip(NEXT) | instid1(SALU_CYCLE_1)
	s_and_b32 s18, s17, vcc_lo
	s_and_saveexec_b32 s17, s18
	s_cbranch_execz .LBB2086_1052
; %bb.1051:                             ;   in Loop: Header=BB2086_990 Depth=2
	s_waitcnt lgkmcnt(0)
	v_bcnt_u32_b32 v37, v37, v194
	ds_store_b32 v196, v37
.LBB2086_1052:                          ;   in Loop: Header=BB2086_990 Depth=2
	s_or_b32 exec_lo, exec_lo, s17
	v_cmp_lt_i16_e32 vcc_lo, -1, v39
	; wave barrier
	v_cndmask_b32_e64 v37, -1, 0xffff8000, vcc_lo
	s_delay_alu instid0(VALU_DEP_1) | instskip(NEXT) | instid1(VALU_DEP_1)
	v_xor_b32_e32 v193, v37, v39
	v_cmp_ne_u16_e64 vcc_lo, 0x7fff, v193
	v_cndmask_b32_e32 v37, 0xffff8000, v193, vcc_lo
	s_delay_alu instid0(VALU_DEP_1) | instskip(NEXT) | instid1(VALU_DEP_1)
	v_and_b32_e32 v37, 0xffff, v37
	v_lshrrev_b32_e32 v37, s49, v37
	s_delay_alu instid0(VALU_DEP_1) | instskip(NEXT) | instid1(VALU_DEP_1)
	v_and_b32_e32 v37, s55, v37
	v_and_b32_e32 v39, 1, v37
	v_lshlrev_b32_e32 v40, 30, v37
	v_lshlrev_b32_e32 v41, 29, v37
	;; [unrolled: 1-line block ×4, first 2 shown]
	v_add_co_u32 v39, s17, v39, -1
	s_delay_alu instid0(VALU_DEP_1)
	v_cndmask_b32_e64 v43, 0, 1, s17
	v_not_b32_e32 v200, v40
	v_cmp_gt_i32_e64 s17, 0, v40
	v_not_b32_e32 v40, v41
	v_lshlrev_b32_e32 v198, 26, v37
	v_cmp_ne_u32_e32 vcc_lo, 0, v43
	v_ashrrev_i32_e32 v200, 31, v200
	v_lshlrev_b32_e32 v199, 25, v37
	v_ashrrev_i32_e32 v40, 31, v40
	v_lshlrev_b32_e32 v43, 24, v37
	v_xor_b32_e32 v39, vcc_lo, v39
	v_cmp_gt_i32_e32 vcc_lo, 0, v41
	v_not_b32_e32 v41, v42
	v_xor_b32_e32 v200, s17, v200
	v_cmp_gt_i32_e64 s17, 0, v42
	v_and_b32_e32 v39, exec_lo, v39
	v_not_b32_e32 v42, v197
	v_ashrrev_i32_e32 v41, 31, v41
	v_xor_b32_e32 v40, vcc_lo, v40
	v_cmp_gt_i32_e32 vcc_lo, 0, v197
	v_and_b32_e32 v39, v39, v200
	v_not_b32_e32 v197, v198
	v_ashrrev_i32_e32 v42, 31, v42
	v_xor_b32_e32 v41, s17, v41
	v_cmp_gt_i32_e64 s17, 0, v198
	v_and_b32_e32 v39, v39, v40
	v_not_b32_e32 v40, v199
	v_ashrrev_i32_e32 v197, 31, v197
	v_xor_b32_e32 v42, vcc_lo, v42
	v_cmp_gt_i32_e32 vcc_lo, 0, v199
	v_and_b32_e32 v39, v39, v41
	v_not_b32_e32 v41, v43
	v_ashrrev_i32_e32 v40, 31, v40
	v_xor_b32_e32 v197, s17, v197
	v_mul_u32_u24_e32 v37, 9, v37
	v_and_b32_e32 v39, v39, v42
	v_cmp_gt_i32_e64 s17, 0, v43
	v_ashrrev_i32_e32 v41, 31, v41
	v_xor_b32_e32 v40, vcc_lo, v40
	v_add_lshl_u32 v42, v37, v126, 2
	v_and_b32_e32 v39, v39, v197
	s_delay_alu instid0(VALU_DEP_4) | instskip(SKIP_3) | instid1(VALU_DEP_2)
	v_xor_b32_e32 v37, s17, v41
	ds_load_b32 v198, v42 offset:1056
	v_and_b32_e32 v39, v39, v40
	v_add_nc_u32_e32 v200, 0x420, v42
	; wave barrier
	v_and_b32_e32 v37, v39, v37
	s_delay_alu instid0(VALU_DEP_1) | instskip(SKIP_1) | instid1(VALU_DEP_2)
	v_mbcnt_lo_u32_b32 v199, v37, 0
	v_cmp_ne_u32_e64 s17, 0, v37
	v_cmp_eq_u32_e32 vcc_lo, 0, v199
	s_delay_alu instid0(VALU_DEP_2) | instskip(NEXT) | instid1(SALU_CYCLE_1)
	s_and_b32 s18, s17, vcc_lo
	s_and_saveexec_b32 s17, s18
	s_cbranch_execz .LBB2086_1054
; %bb.1053:                             ;   in Loop: Header=BB2086_990 Depth=2
	s_waitcnt lgkmcnt(0)
	v_bcnt_u32_b32 v37, v37, v198
	ds_store_b32 v200, v37
.LBB2086_1054:                          ;   in Loop: Header=BB2086_990 Depth=2
	s_or_b32 exec_lo, exec_lo, s17
	v_cmp_lt_i16_e32 vcc_lo, -1, v38
	; wave barrier
	v_cndmask_b32_e64 v37, -1, 0xffff8000, vcc_lo
	s_delay_alu instid0(VALU_DEP_1) | instskip(NEXT) | instid1(VALU_DEP_1)
	v_xor_b32_e32 v197, v37, v38
	v_cmp_ne_u16_e64 vcc_lo, 0x7fff, v197
	v_cndmask_b32_e32 v37, 0xffff8000, v197, vcc_lo
	s_delay_alu instid0(VALU_DEP_1) | instskip(NEXT) | instid1(VALU_DEP_1)
	v_and_b32_e32 v37, 0xffff, v37
	v_lshrrev_b32_e32 v37, s49, v37
	s_delay_alu instid0(VALU_DEP_1) | instskip(NEXT) | instid1(VALU_DEP_1)
	v_and_b32_e32 v37, s55, v37
	v_and_b32_e32 v38, 1, v37
	v_lshlrev_b32_e32 v39, 30, v37
	v_lshlrev_b32_e32 v40, 29, v37
	;; [unrolled: 1-line block ×4, first 2 shown]
	v_add_co_u32 v38, s17, v38, -1
	s_delay_alu instid0(VALU_DEP_1)
	v_cndmask_b32_e64 v42, 0, 1, s17
	v_not_b32_e32 v203, v39
	v_cmp_gt_i32_e64 s17, 0, v39
	v_not_b32_e32 v39, v40
	v_lshlrev_b32_e32 v201, 26, v37
	v_cmp_ne_u32_e32 vcc_lo, 0, v42
	v_ashrrev_i32_e32 v203, 31, v203
	v_lshlrev_b32_e32 v202, 25, v37
	v_ashrrev_i32_e32 v39, 31, v39
	v_lshlrev_b32_e32 v42, 24, v37
	v_xor_b32_e32 v38, vcc_lo, v38
	v_cmp_gt_i32_e32 vcc_lo, 0, v40
	v_not_b32_e32 v40, v41
	v_xor_b32_e32 v203, s17, v203
	v_cmp_gt_i32_e64 s17, 0, v41
	v_and_b32_e32 v38, exec_lo, v38
	v_not_b32_e32 v41, v43
	v_ashrrev_i32_e32 v40, 31, v40
	v_xor_b32_e32 v39, vcc_lo, v39
	v_cmp_gt_i32_e32 vcc_lo, 0, v43
	v_and_b32_e32 v38, v38, v203
	v_not_b32_e32 v43, v201
	v_ashrrev_i32_e32 v41, 31, v41
	v_xor_b32_e32 v40, s17, v40
	v_cmp_gt_i32_e64 s17, 0, v201
	v_and_b32_e32 v38, v38, v39
	v_not_b32_e32 v39, v202
	v_ashrrev_i32_e32 v43, 31, v43
	v_xor_b32_e32 v41, vcc_lo, v41
	v_cmp_gt_i32_e32 vcc_lo, 0, v202
	v_and_b32_e32 v38, v38, v40
	v_not_b32_e32 v40, v42
	v_ashrrev_i32_e32 v39, 31, v39
	v_xor_b32_e32 v43, s17, v43
	v_mul_u32_u24_e32 v37, 9, v37
	v_and_b32_e32 v38, v38, v41
	v_cmp_gt_i32_e64 s17, 0, v42
	v_ashrrev_i32_e32 v40, 31, v40
	v_xor_b32_e32 v39, vcc_lo, v39
	v_add_lshl_u32 v41, v37, v126, 2
	v_and_b32_e32 v38, v38, v43
	s_delay_alu instid0(VALU_DEP_4) | instskip(SKIP_3) | instid1(VALU_DEP_2)
	v_xor_b32_e32 v37, s17, v40
	ds_load_b32 v202, v41 offset:1056
	v_and_b32_e32 v38, v38, v39
	v_add_nc_u32_e32 v204, 0x420, v41
	; wave barrier
	v_and_b32_e32 v37, v38, v37
	s_delay_alu instid0(VALU_DEP_1) | instskip(SKIP_1) | instid1(VALU_DEP_2)
	v_mbcnt_lo_u32_b32 v203, v37, 0
	v_cmp_ne_u32_e64 s17, 0, v37
	v_cmp_eq_u32_e32 vcc_lo, 0, v203
	s_delay_alu instid0(VALU_DEP_2) | instskip(NEXT) | instid1(SALU_CYCLE_1)
	s_and_b32 s18, s17, vcc_lo
	s_and_saveexec_b32 s17, s18
	s_cbranch_execz .LBB2086_1056
; %bb.1055:                             ;   in Loop: Header=BB2086_990 Depth=2
	s_waitcnt lgkmcnt(0)
	v_bcnt_u32_b32 v37, v37, v202
	ds_store_b32 v204, v37
.LBB2086_1056:                          ;   in Loop: Header=BB2086_990 Depth=2
	s_or_b32 exec_lo, exec_lo, s17
	v_cmp_lt_i16_e32 vcc_lo, -1, v36
	; wave barrier
	v_cndmask_b32_e64 v37, -1, 0xffff8000, vcc_lo
	s_delay_alu instid0(VALU_DEP_1) | instskip(NEXT) | instid1(VALU_DEP_1)
	v_xor_b32_e32 v201, v37, v36
	v_cmp_ne_u16_e64 vcc_lo, 0x7fff, v201
	v_cndmask_b32_e32 v36, 0xffff8000, v201, vcc_lo
	s_delay_alu instid0(VALU_DEP_1) | instskip(NEXT) | instid1(VALU_DEP_1)
	v_and_b32_e32 v36, 0xffff, v36
	v_lshrrev_b32_e32 v36, s49, v36
	s_delay_alu instid0(VALU_DEP_1) | instskip(NEXT) | instid1(VALU_DEP_1)
	v_and_b32_e32 v36, s55, v36
	v_and_b32_e32 v37, 1, v36
	v_lshlrev_b32_e32 v38, 30, v36
	v_lshlrev_b32_e32 v39, 29, v36
	;; [unrolled: 1-line block ×4, first 2 shown]
	v_add_co_u32 v37, s17, v37, -1
	s_delay_alu instid0(VALU_DEP_1)
	v_cndmask_b32_e64 v41, 0, 1, s17
	v_not_b32_e32 v206, v38
	v_cmp_gt_i32_e64 s17, 0, v38
	v_not_b32_e32 v38, v39
	v_lshlrev_b32_e32 v43, 26, v36
	v_cmp_ne_u32_e32 vcc_lo, 0, v41
	v_ashrrev_i32_e32 v206, 31, v206
	v_lshlrev_b32_e32 v205, 25, v36
	v_ashrrev_i32_e32 v38, 31, v38
	v_lshlrev_b32_e32 v41, 24, v36
	v_xor_b32_e32 v37, vcc_lo, v37
	v_cmp_gt_i32_e32 vcc_lo, 0, v39
	v_not_b32_e32 v39, v40
	v_xor_b32_e32 v206, s17, v206
	v_cmp_gt_i32_e64 s17, 0, v40
	v_and_b32_e32 v37, exec_lo, v37
	v_not_b32_e32 v40, v42
	v_ashrrev_i32_e32 v39, 31, v39
	v_xor_b32_e32 v38, vcc_lo, v38
	v_cmp_gt_i32_e32 vcc_lo, 0, v42
	v_and_b32_e32 v37, v37, v206
	v_not_b32_e32 v42, v43
	v_ashrrev_i32_e32 v40, 31, v40
	v_xor_b32_e32 v39, s17, v39
	v_cmp_gt_i32_e64 s17, 0, v43
	v_and_b32_e32 v37, v37, v38
	v_not_b32_e32 v38, v205
	v_ashrrev_i32_e32 v42, 31, v42
	v_xor_b32_e32 v40, vcc_lo, v40
	v_cmp_gt_i32_e32 vcc_lo, 0, v205
	v_and_b32_e32 v37, v37, v39
	v_not_b32_e32 v39, v41
	v_ashrrev_i32_e32 v38, 31, v38
	v_xor_b32_e32 v42, s17, v42
	v_mul_u32_u24_e32 v36, 9, v36
	v_and_b32_e32 v37, v37, v40
	v_cmp_gt_i32_e64 s17, 0, v41
	v_ashrrev_i32_e32 v39, 31, v39
	v_xor_b32_e32 v38, vcc_lo, v38
	v_add_lshl_u32 v40, v36, v126, 2
	v_and_b32_e32 v37, v37, v42
	s_delay_alu instid0(VALU_DEP_4) | instskip(SKIP_3) | instid1(VALU_DEP_2)
	v_xor_b32_e32 v36, s17, v39
	ds_load_b32 v205, v40 offset:1056
	v_and_b32_e32 v37, v37, v38
	v_add_nc_u32_e32 v207, 0x420, v40
	; wave barrier
	v_and_b32_e32 v36, v37, v36
	s_delay_alu instid0(VALU_DEP_1) | instskip(SKIP_1) | instid1(VALU_DEP_2)
	v_mbcnt_lo_u32_b32 v206, v36, 0
	v_cmp_ne_u32_e64 s17, 0, v36
	v_cmp_eq_u32_e32 vcc_lo, 0, v206
	s_delay_alu instid0(VALU_DEP_2) | instskip(NEXT) | instid1(SALU_CYCLE_1)
	s_and_b32 s18, s17, vcc_lo
	s_and_saveexec_b32 s17, s18
	s_cbranch_execz .LBB2086_1058
; %bb.1057:                             ;   in Loop: Header=BB2086_990 Depth=2
	s_waitcnt lgkmcnt(0)
	v_bcnt_u32_b32 v36, v36, v205
	ds_store_b32 v207, v36
.LBB2086_1058:                          ;   in Loop: Header=BB2086_990 Depth=2
	s_or_b32 exec_lo, exec_lo, s17
	; wave barrier
	s_waitcnt lgkmcnt(0)
	s_barrier
	buffer_gl0_inv
	ds_load_b32 v208, v69 offset:1056
	ds_load_2addr_b32 v[42:43], v71 offset0:1 offset1:2
	ds_load_2addr_b32 v[40:41], v71 offset0:3 offset1:4
	;; [unrolled: 1-line block ×4, first 2 shown]
	s_waitcnt lgkmcnt(3)
	v_add3_u32 v209, v42, v208, v43
	s_waitcnt lgkmcnt(2)
	s_delay_alu instid0(VALU_DEP_1) | instskip(SKIP_1) | instid1(VALU_DEP_1)
	v_add3_u32 v209, v209, v40, v41
	s_waitcnt lgkmcnt(1)
	v_add3_u32 v209, v209, v36, v37
	s_waitcnt lgkmcnt(0)
	s_delay_alu instid0(VALU_DEP_1) | instskip(NEXT) | instid1(VALU_DEP_1)
	v_add3_u32 v39, v209, v38, v39
	v_mov_b32_dpp v209, v39 row_shr:1 row_mask:0xf bank_mask:0xf
	s_delay_alu instid0(VALU_DEP_1) | instskip(NEXT) | instid1(VALU_DEP_1)
	v_cndmask_b32_e64 v209, v209, 0, s0
	v_add_nc_u32_e32 v39, v209, v39
	s_delay_alu instid0(VALU_DEP_1) | instskip(NEXT) | instid1(VALU_DEP_1)
	v_mov_b32_dpp v209, v39 row_shr:2 row_mask:0xf bank_mask:0xf
	v_cndmask_b32_e64 v209, 0, v209, s1
	s_delay_alu instid0(VALU_DEP_1) | instskip(NEXT) | instid1(VALU_DEP_1)
	v_add_nc_u32_e32 v39, v39, v209
	v_mov_b32_dpp v209, v39 row_shr:4 row_mask:0xf bank_mask:0xf
	s_delay_alu instid0(VALU_DEP_1) | instskip(NEXT) | instid1(VALU_DEP_1)
	v_cndmask_b32_e64 v209, 0, v209, s8
	v_add_nc_u32_e32 v39, v39, v209
	s_delay_alu instid0(VALU_DEP_1) | instskip(NEXT) | instid1(VALU_DEP_1)
	v_mov_b32_dpp v209, v39 row_shr:8 row_mask:0xf bank_mask:0xf
	v_cndmask_b32_e64 v209, 0, v209, s9
	s_delay_alu instid0(VALU_DEP_1) | instskip(SKIP_3) | instid1(VALU_DEP_1)
	v_add_nc_u32_e32 v39, v39, v209
	ds_swizzle_b32 v209, v39 offset:swizzle(BROADCAST,32,15)
	s_waitcnt lgkmcnt(0)
	v_cndmask_b32_e64 v209, v209, 0, s10
	v_add_nc_u32_e32 v39, v39, v209
	s_and_saveexec_b32 s17, s3
	s_cbranch_execz .LBB2086_1060
; %bb.1059:                             ;   in Loop: Header=BB2086_990 Depth=2
	ds_store_b32 v62, v39 offset:1024
.LBB2086_1060:                          ;   in Loop: Header=BB2086_990 Depth=2
	s_or_b32 exec_lo, exec_lo, s17
	s_waitcnt lgkmcnt(0)
	s_barrier
	buffer_gl0_inv
	s_and_saveexec_b32 s17, s4
	s_cbranch_execz .LBB2086_1062
; %bb.1061:                             ;   in Loop: Header=BB2086_990 Depth=2
	ds_load_b32 v209, v72 offset:1024
	s_waitcnt lgkmcnt(0)
	v_mov_b32_dpp v210, v209 row_shr:1 row_mask:0xf bank_mask:0xf
	s_delay_alu instid0(VALU_DEP_1) | instskip(NEXT) | instid1(VALU_DEP_1)
	v_cndmask_b32_e64 v210, v210, 0, s12
	v_add_nc_u32_e32 v209, v210, v209
	s_delay_alu instid0(VALU_DEP_1) | instskip(NEXT) | instid1(VALU_DEP_1)
	v_mov_b32_dpp v210, v209 row_shr:2 row_mask:0xf bank_mask:0xf
	v_cndmask_b32_e64 v210, 0, v210, s13
	s_delay_alu instid0(VALU_DEP_1) | instskip(NEXT) | instid1(VALU_DEP_1)
	v_add_nc_u32_e32 v209, v209, v210
	v_mov_b32_dpp v210, v209 row_shr:4 row_mask:0xf bank_mask:0xf
	s_delay_alu instid0(VALU_DEP_1) | instskip(NEXT) | instid1(VALU_DEP_1)
	v_cndmask_b32_e64 v210, 0, v210, s16
	v_add_nc_u32_e32 v209, v209, v210
	ds_store_b32 v72, v209 offset:1024
.LBB2086_1062:                          ;   in Loop: Header=BB2086_990 Depth=2
	s_or_b32 exec_lo, exec_lo, s17
	v_mov_b32_e32 v209, 0
	s_waitcnt lgkmcnt(0)
	s_barrier
	buffer_gl0_inv
	s_and_saveexec_b32 s17, s5
	s_cbranch_execz .LBB2086_1064
; %bb.1063:                             ;   in Loop: Header=BB2086_990 Depth=2
	ds_load_b32 v209, v62 offset:1020
.LBB2086_1064:                          ;   in Loop: Header=BB2086_990 Depth=2
	s_or_b32 exec_lo, exec_lo, s17
	s_waitcnt lgkmcnt(0)
	v_add_nc_u32_e32 v39, v209, v39
	ds_bpermute_b32 v39, v105, v39
	s_waitcnt lgkmcnt(0)
	v_cndmask_b32_e64 v39, v39, v209, s11
	s_delay_alu instid0(VALU_DEP_1) | instskip(NEXT) | instid1(VALU_DEP_1)
	v_cndmask_b32_e64 v39, v39, 0, s6
	v_add_nc_u32_e32 v208, v39, v208
	s_delay_alu instid0(VALU_DEP_1) | instskip(NEXT) | instid1(VALU_DEP_1)
	v_add_nc_u32_e32 v42, v208, v42
	v_add_nc_u32_e32 v43, v42, v43
	s_delay_alu instid0(VALU_DEP_1) | instskip(NEXT) | instid1(VALU_DEP_1)
	v_add_nc_u32_e32 v40, v43, v40
	;; [unrolled: 3-line block ×3, first 2 shown]
	v_add_nc_u32_e32 v37, v36, v37
	s_delay_alu instid0(VALU_DEP_1)
	v_add_nc_u32_e32 v38, v37, v38
	ds_store_b32 v69, v39 offset:1056
	ds_store_2addr_b32 v71, v208, v42 offset0:1 offset1:2
	ds_store_2addr_b32 v71, v43, v40 offset0:3 offset1:4
	;; [unrolled: 1-line block ×4, first 2 shown]
	v_mov_b32_e32 v38, 0x1000
	s_waitcnt lgkmcnt(0)
	s_barrier
	buffer_gl0_inv
	ds_load_b32 v39, v152
	ds_load_b32 v40, v156
	;; [unrolled: 1-line block ×16, first 2 shown]
	ds_load_b32 v156, v69 offset:1056
	s_and_saveexec_b32 s17, s7
	s_cbranch_execz .LBB2086_1066
; %bb.1065:                             ;   in Loop: Header=BB2086_990 Depth=2
	ds_load_b32 v38, v73 offset:1056
.LBB2086_1066:                          ;   in Loop: Header=BB2086_990 Depth=2
	s_or_b32 exec_lo, exec_lo, s17
	s_waitcnt lgkmcnt(0)
	s_barrier
	buffer_gl0_inv
	s_and_saveexec_b32 s17, s2
	s_cbranch_execz .LBB2086_1068
; %bb.1067:                             ;   in Loop: Header=BB2086_990 Depth=2
	ds_load_b32 v160, v44
	s_waitcnt lgkmcnt(0)
	v_sub_nc_u32_e32 v156, v160, v156
	ds_store_b32 v44, v156
.LBB2086_1068:                          ;   in Loop: Header=BB2086_990 Depth=2
	s_or_b32 exec_lo, exec_lo, s17
	v_add_nc_u32_e32 v168, v148, v146
	v_add3_u32 v164, v151, v150, v39
	v_add3_u32 v156, v159, v158, v41
	;; [unrolled: 1-line block ×4, first 2 shown]
	v_lshlrev_b32_e32 v158, 1, v168
	v_add3_u32 v154, v167, v166, v43
	v_add3_u32 v152, v172, v171, v152
	;; [unrolled: 1-line block ×3, first 2 shown]
	v_lshlrev_b32_e32 v36, 1, v164
	ds_store_b16 v158, v2 offset:1024
	v_lshlrev_b32_e32 v2, 1, v156
	v_add3_u32 v151, v175, v174, v173
	v_add3_u32 v41, v206, v205, v37
	v_lshlrev_b32_e32 v37, 1, v160
	v_lshlrev_b32_e32 v158, 1, v155
	v_add3_u32 v150, v179, v178, v176
	v_add3_u32 v146, v187, v186, v184
	ds_store_b16 v36, v147 offset:1024
	ds_store_b16 v37, v149 offset:1024
	v_lshlrev_b32_e32 v36, 1, v154
	ds_store_b16 v2, v153 offset:1024
	ds_store_b16 v158, v157 offset:1024
	v_lshlrev_b32_e32 v2, 1, v152
	v_add3_u32 v148, v183, v182, v180
	v_lshlrev_b32_e32 v37, 1, v151
	v_add3_u32 v42, v191, v190, v188
	v_add3_u32 v39, v199, v198, v196
	ds_store_b16 v36, v161 offset:1024
	v_lshlrev_b32_e32 v36, 1, v150
	ds_store_b16 v2, v165 offset:1024
	ds_store_b16 v37, v170 offset:1024
	v_lshlrev_b32_e32 v2, 1, v146
	v_add3_u32 v40, v195, v194, v192
	v_lshlrev_b32_e32 v147, 1, v148
	ds_store_b16 v36, v169 offset:1024
	ds_store_b16 v147, v177 offset:1024
	v_lshlrev_b32_e32 v36, 1, v42
	ds_store_b16 v2, v181 offset:1024
	v_lshlrev_b32_e32 v2, 1, v39
	v_lshlrev_b32_e32 v37, 1, v40
	;; [unrolled: 1-line block ×3, first 2 shown]
	ds_store_b16 v36, v185 offset:1024
	ds_store_b16 v37, v189 offset:1024
	v_lshlrev_b32_e32 v36, 1, v41
	ds_store_b16 v2, v193 offset:1024
	ds_store_b16 v147, v197 offset:1024
	v_cmp_lt_u32_e32 vcc_lo, v1, v145
	v_add_nc_u32_e32 v147, v72, v78
	ds_store_b16 v36, v201 offset:1024
	s_waitcnt lgkmcnt(0)
	s_barrier
	buffer_gl0_inv
	s_and_saveexec_b32 s18, vcc_lo
	s_cbranch_execz .LBB2086_1084
; %bb.1069:                             ;   in Loop: Header=BB2086_990 Depth=2
	ds_load_u16 v149, v147 offset:1024
	s_waitcnt lgkmcnt(0)
	v_cmp_ne_u16_e64 s17, 0x7fff, v149
	s_delay_alu instid0(VALU_DEP_1) | instskip(SKIP_1) | instid1(VALU_DEP_2)
	v_cndmask_b32_e64 v2, 0xffff8000, v149, s17
	v_cmp_lt_i16_e64 s17, -1, v149
	v_and_b32_e32 v2, 0xffff, v2
	s_delay_alu instid0(VALU_DEP_2) | instskip(NEXT) | instid1(VALU_DEP_2)
	v_cndmask_b32_e64 v153, 0xffff8000, -1, s17
	v_lshrrev_b32_e32 v2, s49, v2
	s_delay_alu instid0(VALU_DEP_1) | instskip(NEXT) | instid1(VALU_DEP_1)
	v_and_b32_e32 v2, s55, v2
	v_lshlrev_b32_e32 v2, 2, v2
	ds_load_b32 v2, v2
	s_waitcnt lgkmcnt(0)
	v_add_nc_u32_e32 v2, v2, v1
	s_delay_alu instid0(VALU_DEP_1) | instskip(SKIP_1) | instid1(VALU_DEP_2)
	v_lshlrev_b64 v[36:37], 1, v[2:3]
	v_xor_b32_e32 v2, v153, v149
	v_add_co_u32 v36, s17, s40, v36
	s_delay_alu instid0(VALU_DEP_1) | instskip(SKIP_3) | instid1(VALU_DEP_1)
	v_add_co_ci_u32_e64 v37, s17, s41, v37, s17
	global_store_b16 v[36:37], v2, off
	s_or_b32 exec_lo, exec_lo, s18
	v_cmp_lt_u32_e64 s17, v45, v145
	s_and_saveexec_b32 s19, s17
	s_cbranch_execnz .LBB2086_1085
.LBB2086_1070:                          ;   in Loop: Header=BB2086_990 Depth=2
	s_or_b32 exec_lo, exec_lo, s19
	v_cmp_lt_u32_e64 s18, v46, v145
	s_delay_alu instid0(VALU_DEP_1)
	s_and_saveexec_b32 s20, s18
	s_cbranch_execz .LBB2086_1086
.LBB2086_1071:                          ;   in Loop: Header=BB2086_990 Depth=2
	ds_load_u16 v149, v79 offset:1024
	s_waitcnt lgkmcnt(0)
	v_cmp_ne_u16_e64 s19, 0x7fff, v149
	s_delay_alu instid0(VALU_DEP_1) | instskip(SKIP_1) | instid1(VALU_DEP_2)
	v_cndmask_b32_e64 v2, 0xffff8000, v149, s19
	v_cmp_lt_i16_e64 s19, -1, v149
	v_and_b32_e32 v2, 0xffff, v2
	s_delay_alu instid0(VALU_DEP_2) | instskip(NEXT) | instid1(VALU_DEP_2)
	v_cndmask_b32_e64 v153, 0xffff8000, -1, s19
	v_lshrrev_b32_e32 v2, s49, v2
	s_delay_alu instid0(VALU_DEP_1) | instskip(NEXT) | instid1(VALU_DEP_1)
	v_and_b32_e32 v2, s55, v2
	v_lshlrev_b32_e32 v2, 2, v2
	ds_load_b32 v2, v2
	s_waitcnt lgkmcnt(0)
	v_add_nc_u32_e32 v2, v2, v46
	s_delay_alu instid0(VALU_DEP_1) | instskip(SKIP_1) | instid1(VALU_DEP_2)
	v_lshlrev_b64 v[36:37], 1, v[2:3]
	v_xor_b32_e32 v2, v153, v149
	v_add_co_u32 v36, s19, s40, v36
	s_delay_alu instid0(VALU_DEP_1) | instskip(SKIP_3) | instid1(VALU_DEP_1)
	v_add_co_ci_u32_e64 v37, s19, s41, v37, s19
	global_store_b16 v[36:37], v2, off
	s_or_b32 exec_lo, exec_lo, s20
	v_cmp_lt_u32_e64 s19, v47, v145
	s_and_saveexec_b32 s21, s19
	s_cbranch_execnz .LBB2086_1087
.LBB2086_1072:                          ;   in Loop: Header=BB2086_990 Depth=2
	s_or_b32 exec_lo, exec_lo, s21
	v_cmp_lt_u32_e64 s20, v51, v145
	s_delay_alu instid0(VALU_DEP_1)
	s_and_saveexec_b32 s22, s20
	s_cbranch_execz .LBB2086_1088
.LBB2086_1073:                          ;   in Loop: Header=BB2086_990 Depth=2
	ds_load_u16 v149, v79 offset:2048
	s_waitcnt lgkmcnt(0)
	v_cmp_ne_u16_e64 s21, 0x7fff, v149
	s_delay_alu instid0(VALU_DEP_1) | instskip(SKIP_1) | instid1(VALU_DEP_2)
	v_cndmask_b32_e64 v2, 0xffff8000, v149, s21
	v_cmp_lt_i16_e64 s21, -1, v149
	v_and_b32_e32 v2, 0xffff, v2
	s_delay_alu instid0(VALU_DEP_2) | instskip(NEXT) | instid1(VALU_DEP_2)
	v_cndmask_b32_e64 v153, 0xffff8000, -1, s21
	v_lshrrev_b32_e32 v2, s49, v2
	s_delay_alu instid0(VALU_DEP_1) | instskip(NEXT) | instid1(VALU_DEP_1)
	v_and_b32_e32 v2, s55, v2
	v_lshlrev_b32_e32 v2, 2, v2
	ds_load_b32 v2, v2
	s_waitcnt lgkmcnt(0)
	v_add_nc_u32_e32 v2, v2, v51
	s_delay_alu instid0(VALU_DEP_1) | instskip(SKIP_1) | instid1(VALU_DEP_2)
	v_lshlrev_b64 v[36:37], 1, v[2:3]
	v_xor_b32_e32 v2, v153, v149
	v_add_co_u32 v36, s21, s40, v36
	s_delay_alu instid0(VALU_DEP_1) | instskip(SKIP_3) | instid1(VALU_DEP_1)
	v_add_co_ci_u32_e64 v37, s21, s41, v37, s21
	global_store_b16 v[36:37], v2, off
	s_or_b32 exec_lo, exec_lo, s22
	v_cmp_lt_u32_e64 s21, v52, v145
	s_and_saveexec_b32 s23, s21
	s_cbranch_execnz .LBB2086_1089
.LBB2086_1074:                          ;   in Loop: Header=BB2086_990 Depth=2
	s_or_b32 exec_lo, exec_lo, s23
	v_cmp_lt_u32_e64 s22, v53, v145
	s_delay_alu instid0(VALU_DEP_1)
	s_and_saveexec_b32 s24, s22
	s_cbranch_execz .LBB2086_1090
.LBB2086_1075:                          ;   in Loop: Header=BB2086_990 Depth=2
	ds_load_u16 v149, v79 offset:3072
	s_waitcnt lgkmcnt(0)
	v_cmp_ne_u16_e64 s23, 0x7fff, v149
	s_delay_alu instid0(VALU_DEP_1) | instskip(SKIP_1) | instid1(VALU_DEP_2)
	v_cndmask_b32_e64 v2, 0xffff8000, v149, s23
	v_cmp_lt_i16_e64 s23, -1, v149
	v_and_b32_e32 v2, 0xffff, v2
	s_delay_alu instid0(VALU_DEP_2) | instskip(NEXT) | instid1(VALU_DEP_2)
	v_cndmask_b32_e64 v153, 0xffff8000, -1, s23
	v_lshrrev_b32_e32 v2, s49, v2
	s_delay_alu instid0(VALU_DEP_1) | instskip(NEXT) | instid1(VALU_DEP_1)
	v_and_b32_e32 v2, s55, v2
	v_lshlrev_b32_e32 v2, 2, v2
	ds_load_b32 v2, v2
	s_waitcnt lgkmcnt(0)
	v_add_nc_u32_e32 v2, v2, v53
	s_delay_alu instid0(VALU_DEP_1) | instskip(SKIP_1) | instid1(VALU_DEP_2)
	v_lshlrev_b64 v[36:37], 1, v[2:3]
	v_xor_b32_e32 v2, v153, v149
	v_add_co_u32 v36, s23, s40, v36
	s_delay_alu instid0(VALU_DEP_1) | instskip(SKIP_3) | instid1(VALU_DEP_1)
	v_add_co_ci_u32_e64 v37, s23, s41, v37, s23
	global_store_b16 v[36:37], v2, off
	s_or_b32 exec_lo, exec_lo, s24
	v_cmp_lt_u32_e64 s23, v54, v145
	s_and_saveexec_b32 s25, s23
	s_cbranch_execnz .LBB2086_1091
.LBB2086_1076:                          ;   in Loop: Header=BB2086_990 Depth=2
	s_or_b32 exec_lo, exec_lo, s25
	v_cmp_lt_u32_e64 s24, v55, v145
	s_delay_alu instid0(VALU_DEP_1)
	s_and_saveexec_b32 s26, s24
	s_cbranch_execz .LBB2086_1092
.LBB2086_1077:                          ;   in Loop: Header=BB2086_990 Depth=2
	ds_load_u16 v149, v79 offset:4096
	s_waitcnt lgkmcnt(0)
	v_cmp_ne_u16_e64 s25, 0x7fff, v149
	s_delay_alu instid0(VALU_DEP_1) | instskip(SKIP_1) | instid1(VALU_DEP_2)
	v_cndmask_b32_e64 v2, 0xffff8000, v149, s25
	v_cmp_lt_i16_e64 s25, -1, v149
	v_and_b32_e32 v2, 0xffff, v2
	s_delay_alu instid0(VALU_DEP_2) | instskip(NEXT) | instid1(VALU_DEP_2)
	v_cndmask_b32_e64 v153, 0xffff8000, -1, s25
	v_lshrrev_b32_e32 v2, s49, v2
	s_delay_alu instid0(VALU_DEP_1) | instskip(NEXT) | instid1(VALU_DEP_1)
	v_and_b32_e32 v2, s55, v2
	v_lshlrev_b32_e32 v2, 2, v2
	ds_load_b32 v2, v2
	s_waitcnt lgkmcnt(0)
	v_add_nc_u32_e32 v2, v2, v55
	s_delay_alu instid0(VALU_DEP_1) | instskip(SKIP_1) | instid1(VALU_DEP_2)
	v_lshlrev_b64 v[36:37], 1, v[2:3]
	v_xor_b32_e32 v2, v153, v149
	v_add_co_u32 v36, s25, s40, v36
	s_delay_alu instid0(VALU_DEP_1) | instskip(SKIP_3) | instid1(VALU_DEP_1)
	v_add_co_ci_u32_e64 v37, s25, s41, v37, s25
	global_store_b16 v[36:37], v2, off
	s_or_b32 exec_lo, exec_lo, s26
	v_cmp_lt_u32_e64 s25, v56, v145
	s_and_saveexec_b32 s27, s25
	s_cbranch_execnz .LBB2086_1093
.LBB2086_1078:                          ;   in Loop: Header=BB2086_990 Depth=2
	s_or_b32 exec_lo, exec_lo, s27
	v_cmp_lt_u32_e64 s26, v57, v145
	s_delay_alu instid0(VALU_DEP_1)
	s_and_saveexec_b32 s28, s26
	s_cbranch_execz .LBB2086_1094
.LBB2086_1079:                          ;   in Loop: Header=BB2086_990 Depth=2
	ds_load_u16 v149, v79 offset:5120
	s_waitcnt lgkmcnt(0)
	v_cmp_ne_u16_e64 s27, 0x7fff, v149
	s_delay_alu instid0(VALU_DEP_1) | instskip(SKIP_1) | instid1(VALU_DEP_2)
	v_cndmask_b32_e64 v2, 0xffff8000, v149, s27
	v_cmp_lt_i16_e64 s27, -1, v149
	v_and_b32_e32 v2, 0xffff, v2
	s_delay_alu instid0(VALU_DEP_2) | instskip(NEXT) | instid1(VALU_DEP_2)
	v_cndmask_b32_e64 v153, 0xffff8000, -1, s27
	v_lshrrev_b32_e32 v2, s49, v2
	s_delay_alu instid0(VALU_DEP_1) | instskip(NEXT) | instid1(VALU_DEP_1)
	v_and_b32_e32 v2, s55, v2
	v_lshlrev_b32_e32 v2, 2, v2
	ds_load_b32 v2, v2
	s_waitcnt lgkmcnt(0)
	v_add_nc_u32_e32 v2, v2, v57
	s_delay_alu instid0(VALU_DEP_1) | instskip(SKIP_1) | instid1(VALU_DEP_2)
	v_lshlrev_b64 v[36:37], 1, v[2:3]
	v_xor_b32_e32 v2, v153, v149
	v_add_co_u32 v36, s27, s40, v36
	s_delay_alu instid0(VALU_DEP_1) | instskip(SKIP_3) | instid1(VALU_DEP_1)
	v_add_co_ci_u32_e64 v37, s27, s41, v37, s27
	global_store_b16 v[36:37], v2, off
	s_or_b32 exec_lo, exec_lo, s28
	v_cmp_lt_u32_e64 s27, v58, v145
	s_and_saveexec_b32 s29, s27
	s_cbranch_execnz .LBB2086_1095
.LBB2086_1080:                          ;   in Loop: Header=BB2086_990 Depth=2
	s_or_b32 exec_lo, exec_lo, s29
	v_cmp_lt_u32_e64 s28, v59, v145
	s_delay_alu instid0(VALU_DEP_1)
	s_and_saveexec_b32 s30, s28
	s_cbranch_execz .LBB2086_1096
.LBB2086_1081:                          ;   in Loop: Header=BB2086_990 Depth=2
	ds_load_u16 v149, v79 offset:6144
	s_waitcnt lgkmcnt(0)
	v_cmp_ne_u16_e64 s29, 0x7fff, v149
	s_delay_alu instid0(VALU_DEP_1) | instskip(SKIP_1) | instid1(VALU_DEP_2)
	v_cndmask_b32_e64 v2, 0xffff8000, v149, s29
	v_cmp_lt_i16_e64 s29, -1, v149
	v_and_b32_e32 v2, 0xffff, v2
	s_delay_alu instid0(VALU_DEP_2) | instskip(NEXT) | instid1(VALU_DEP_2)
	v_cndmask_b32_e64 v153, 0xffff8000, -1, s29
	v_lshrrev_b32_e32 v2, s49, v2
	s_delay_alu instid0(VALU_DEP_1) | instskip(NEXT) | instid1(VALU_DEP_1)
	v_and_b32_e32 v2, s55, v2
	v_lshlrev_b32_e32 v2, 2, v2
	ds_load_b32 v2, v2
	s_waitcnt lgkmcnt(0)
	v_add_nc_u32_e32 v2, v2, v59
	s_delay_alu instid0(VALU_DEP_1) | instskip(SKIP_1) | instid1(VALU_DEP_2)
	v_lshlrev_b64 v[36:37], 1, v[2:3]
	v_xor_b32_e32 v2, v153, v149
	v_add_co_u32 v36, s29, s40, v36
	s_delay_alu instid0(VALU_DEP_1) | instskip(SKIP_3) | instid1(VALU_DEP_1)
	v_add_co_ci_u32_e64 v37, s29, s41, v37, s29
	global_store_b16 v[36:37], v2, off
	s_or_b32 exec_lo, exec_lo, s30
	v_cmp_lt_u32_e64 s29, v60, v145
	s_and_saveexec_b32 s31, s29
	s_cbranch_execnz .LBB2086_1097
.LBB2086_1082:                          ;   in Loop: Header=BB2086_990 Depth=2
	s_or_b32 exec_lo, exec_lo, s31
	v_cmp_lt_u32_e64 s30, v61, v145
	s_delay_alu instid0(VALU_DEP_1)
	s_and_saveexec_b32 s33, s30
	s_cbranch_execz .LBB2086_1098
.LBB2086_1083:                          ;   in Loop: Header=BB2086_990 Depth=2
	ds_load_u16 v149, v79 offset:7168
	s_waitcnt lgkmcnt(0)
	v_cmp_ne_u16_e64 s31, 0x7fff, v149
	s_delay_alu instid0(VALU_DEP_1) | instskip(SKIP_1) | instid1(VALU_DEP_2)
	v_cndmask_b32_e64 v2, 0xffff8000, v149, s31
	v_cmp_lt_i16_e64 s31, -1, v149
	v_and_b32_e32 v2, 0xffff, v2
	s_delay_alu instid0(VALU_DEP_2) | instskip(NEXT) | instid1(VALU_DEP_2)
	v_cndmask_b32_e64 v153, 0xffff8000, -1, s31
	v_lshrrev_b32_e32 v2, s49, v2
	s_delay_alu instid0(VALU_DEP_1) | instskip(NEXT) | instid1(VALU_DEP_1)
	v_and_b32_e32 v2, s55, v2
	v_lshlrev_b32_e32 v2, 2, v2
	ds_load_b32 v2, v2
	s_waitcnt lgkmcnt(0)
	v_add_nc_u32_e32 v2, v2, v61
	s_delay_alu instid0(VALU_DEP_1) | instskip(SKIP_1) | instid1(VALU_DEP_2)
	v_lshlrev_b64 v[36:37], 1, v[2:3]
	v_xor_b32_e32 v2, v153, v149
	v_add_co_u32 v36, s31, s40, v36
	s_delay_alu instid0(VALU_DEP_1) | instskip(SKIP_3) | instid1(VALU_DEP_1)
	v_add_co_ci_u32_e64 v37, s31, s41, v37, s31
	global_store_b16 v[36:37], v2, off
	s_or_b32 exec_lo, exec_lo, s33
	v_cmp_lt_u32_e64 s31, v63, v145
	s_and_saveexec_b32 s58, s31
	s_cbranch_execnz .LBB2086_1099
	s_branch .LBB2086_1100
.LBB2086_1084:                          ;   in Loop: Header=BB2086_990 Depth=2
	s_or_b32 exec_lo, exec_lo, s18
	v_cmp_lt_u32_e64 s17, v45, v145
	s_delay_alu instid0(VALU_DEP_1)
	s_and_saveexec_b32 s19, s17
	s_cbranch_execz .LBB2086_1070
.LBB2086_1085:                          ;   in Loop: Header=BB2086_990 Depth=2
	ds_load_u16 v149, v79 offset:512
	s_waitcnt lgkmcnt(0)
	v_cmp_ne_u16_e64 s18, 0x7fff, v149
	s_delay_alu instid0(VALU_DEP_1) | instskip(SKIP_1) | instid1(VALU_DEP_2)
	v_cndmask_b32_e64 v2, 0xffff8000, v149, s18
	v_cmp_lt_i16_e64 s18, -1, v149
	v_and_b32_e32 v2, 0xffff, v2
	s_delay_alu instid0(VALU_DEP_2) | instskip(NEXT) | instid1(VALU_DEP_2)
	v_cndmask_b32_e64 v153, 0xffff8000, -1, s18
	v_lshrrev_b32_e32 v2, s49, v2
	s_delay_alu instid0(VALU_DEP_1) | instskip(NEXT) | instid1(VALU_DEP_1)
	v_and_b32_e32 v2, s55, v2
	v_lshlrev_b32_e32 v2, 2, v2
	ds_load_b32 v2, v2
	s_waitcnt lgkmcnt(0)
	v_add_nc_u32_e32 v2, v2, v45
	s_delay_alu instid0(VALU_DEP_1) | instskip(SKIP_1) | instid1(VALU_DEP_2)
	v_lshlrev_b64 v[36:37], 1, v[2:3]
	v_xor_b32_e32 v2, v153, v149
	v_add_co_u32 v36, s18, s40, v36
	s_delay_alu instid0(VALU_DEP_1) | instskip(SKIP_3) | instid1(VALU_DEP_1)
	v_add_co_ci_u32_e64 v37, s18, s41, v37, s18
	global_store_b16 v[36:37], v2, off
	s_or_b32 exec_lo, exec_lo, s19
	v_cmp_lt_u32_e64 s18, v46, v145
	s_and_saveexec_b32 s20, s18
	s_cbranch_execnz .LBB2086_1071
.LBB2086_1086:                          ;   in Loop: Header=BB2086_990 Depth=2
	s_or_b32 exec_lo, exec_lo, s20
	v_cmp_lt_u32_e64 s19, v47, v145
	s_delay_alu instid0(VALU_DEP_1)
	s_and_saveexec_b32 s21, s19
	s_cbranch_execz .LBB2086_1072
.LBB2086_1087:                          ;   in Loop: Header=BB2086_990 Depth=2
	ds_load_u16 v149, v79 offset:1536
	s_waitcnt lgkmcnt(0)
	v_cmp_ne_u16_e64 s20, 0x7fff, v149
	s_delay_alu instid0(VALU_DEP_1) | instskip(SKIP_1) | instid1(VALU_DEP_2)
	v_cndmask_b32_e64 v2, 0xffff8000, v149, s20
	v_cmp_lt_i16_e64 s20, -1, v149
	v_and_b32_e32 v2, 0xffff, v2
	s_delay_alu instid0(VALU_DEP_2) | instskip(NEXT) | instid1(VALU_DEP_2)
	v_cndmask_b32_e64 v153, 0xffff8000, -1, s20
	v_lshrrev_b32_e32 v2, s49, v2
	s_delay_alu instid0(VALU_DEP_1) | instskip(NEXT) | instid1(VALU_DEP_1)
	v_and_b32_e32 v2, s55, v2
	v_lshlrev_b32_e32 v2, 2, v2
	ds_load_b32 v2, v2
	s_waitcnt lgkmcnt(0)
	v_add_nc_u32_e32 v2, v2, v47
	s_delay_alu instid0(VALU_DEP_1) | instskip(SKIP_1) | instid1(VALU_DEP_2)
	v_lshlrev_b64 v[36:37], 1, v[2:3]
	v_xor_b32_e32 v2, v153, v149
	v_add_co_u32 v36, s20, s40, v36
	s_delay_alu instid0(VALU_DEP_1) | instskip(SKIP_3) | instid1(VALU_DEP_1)
	v_add_co_ci_u32_e64 v37, s20, s41, v37, s20
	global_store_b16 v[36:37], v2, off
	s_or_b32 exec_lo, exec_lo, s21
	v_cmp_lt_u32_e64 s20, v51, v145
	s_and_saveexec_b32 s22, s20
	s_cbranch_execnz .LBB2086_1073
.LBB2086_1088:                          ;   in Loop: Header=BB2086_990 Depth=2
	s_or_b32 exec_lo, exec_lo, s22
	v_cmp_lt_u32_e64 s21, v52, v145
	s_delay_alu instid0(VALU_DEP_1)
	s_and_saveexec_b32 s23, s21
	s_cbranch_execz .LBB2086_1074
.LBB2086_1089:                          ;   in Loop: Header=BB2086_990 Depth=2
	ds_load_u16 v149, v79 offset:2560
	s_waitcnt lgkmcnt(0)
	v_cmp_ne_u16_e64 s22, 0x7fff, v149
	s_delay_alu instid0(VALU_DEP_1) | instskip(SKIP_1) | instid1(VALU_DEP_2)
	v_cndmask_b32_e64 v2, 0xffff8000, v149, s22
	v_cmp_lt_i16_e64 s22, -1, v149
	v_and_b32_e32 v2, 0xffff, v2
	s_delay_alu instid0(VALU_DEP_2) | instskip(NEXT) | instid1(VALU_DEP_2)
	v_cndmask_b32_e64 v153, 0xffff8000, -1, s22
	v_lshrrev_b32_e32 v2, s49, v2
	s_delay_alu instid0(VALU_DEP_1) | instskip(NEXT) | instid1(VALU_DEP_1)
	v_and_b32_e32 v2, s55, v2
	v_lshlrev_b32_e32 v2, 2, v2
	ds_load_b32 v2, v2
	s_waitcnt lgkmcnt(0)
	v_add_nc_u32_e32 v2, v2, v52
	s_delay_alu instid0(VALU_DEP_1) | instskip(SKIP_1) | instid1(VALU_DEP_2)
	v_lshlrev_b64 v[36:37], 1, v[2:3]
	v_xor_b32_e32 v2, v153, v149
	v_add_co_u32 v36, s22, s40, v36
	s_delay_alu instid0(VALU_DEP_1) | instskip(SKIP_3) | instid1(VALU_DEP_1)
	v_add_co_ci_u32_e64 v37, s22, s41, v37, s22
	global_store_b16 v[36:37], v2, off
	s_or_b32 exec_lo, exec_lo, s23
	v_cmp_lt_u32_e64 s22, v53, v145
	s_and_saveexec_b32 s24, s22
	s_cbranch_execnz .LBB2086_1075
.LBB2086_1090:                          ;   in Loop: Header=BB2086_990 Depth=2
	s_or_b32 exec_lo, exec_lo, s24
	v_cmp_lt_u32_e64 s23, v54, v145
	s_delay_alu instid0(VALU_DEP_1)
	s_and_saveexec_b32 s25, s23
	s_cbranch_execz .LBB2086_1076
.LBB2086_1091:                          ;   in Loop: Header=BB2086_990 Depth=2
	ds_load_u16 v149, v79 offset:3584
	s_waitcnt lgkmcnt(0)
	v_cmp_ne_u16_e64 s24, 0x7fff, v149
	s_delay_alu instid0(VALU_DEP_1) | instskip(SKIP_1) | instid1(VALU_DEP_2)
	v_cndmask_b32_e64 v2, 0xffff8000, v149, s24
	v_cmp_lt_i16_e64 s24, -1, v149
	v_and_b32_e32 v2, 0xffff, v2
	s_delay_alu instid0(VALU_DEP_2) | instskip(NEXT) | instid1(VALU_DEP_2)
	v_cndmask_b32_e64 v153, 0xffff8000, -1, s24
	v_lshrrev_b32_e32 v2, s49, v2
	s_delay_alu instid0(VALU_DEP_1) | instskip(NEXT) | instid1(VALU_DEP_1)
	v_and_b32_e32 v2, s55, v2
	v_lshlrev_b32_e32 v2, 2, v2
	ds_load_b32 v2, v2
	s_waitcnt lgkmcnt(0)
	v_add_nc_u32_e32 v2, v2, v54
	s_delay_alu instid0(VALU_DEP_1) | instskip(SKIP_1) | instid1(VALU_DEP_2)
	v_lshlrev_b64 v[36:37], 1, v[2:3]
	v_xor_b32_e32 v2, v153, v149
	v_add_co_u32 v36, s24, s40, v36
	s_delay_alu instid0(VALU_DEP_1) | instskip(SKIP_3) | instid1(VALU_DEP_1)
	v_add_co_ci_u32_e64 v37, s24, s41, v37, s24
	global_store_b16 v[36:37], v2, off
	s_or_b32 exec_lo, exec_lo, s25
	v_cmp_lt_u32_e64 s24, v55, v145
	s_and_saveexec_b32 s26, s24
	s_cbranch_execnz .LBB2086_1077
.LBB2086_1092:                          ;   in Loop: Header=BB2086_990 Depth=2
	s_or_b32 exec_lo, exec_lo, s26
	v_cmp_lt_u32_e64 s25, v56, v145
	s_delay_alu instid0(VALU_DEP_1)
	s_and_saveexec_b32 s27, s25
	s_cbranch_execz .LBB2086_1078
.LBB2086_1093:                          ;   in Loop: Header=BB2086_990 Depth=2
	ds_load_u16 v149, v79 offset:4608
	s_waitcnt lgkmcnt(0)
	v_cmp_ne_u16_e64 s26, 0x7fff, v149
	s_delay_alu instid0(VALU_DEP_1) | instskip(SKIP_1) | instid1(VALU_DEP_2)
	v_cndmask_b32_e64 v2, 0xffff8000, v149, s26
	v_cmp_lt_i16_e64 s26, -1, v149
	v_and_b32_e32 v2, 0xffff, v2
	s_delay_alu instid0(VALU_DEP_2) | instskip(NEXT) | instid1(VALU_DEP_2)
	v_cndmask_b32_e64 v153, 0xffff8000, -1, s26
	v_lshrrev_b32_e32 v2, s49, v2
	s_delay_alu instid0(VALU_DEP_1) | instskip(NEXT) | instid1(VALU_DEP_1)
	v_and_b32_e32 v2, s55, v2
	v_lshlrev_b32_e32 v2, 2, v2
	ds_load_b32 v2, v2
	s_waitcnt lgkmcnt(0)
	v_add_nc_u32_e32 v2, v2, v56
	s_delay_alu instid0(VALU_DEP_1) | instskip(SKIP_1) | instid1(VALU_DEP_2)
	v_lshlrev_b64 v[36:37], 1, v[2:3]
	v_xor_b32_e32 v2, v153, v149
	v_add_co_u32 v36, s26, s40, v36
	s_delay_alu instid0(VALU_DEP_1) | instskip(SKIP_3) | instid1(VALU_DEP_1)
	v_add_co_ci_u32_e64 v37, s26, s41, v37, s26
	global_store_b16 v[36:37], v2, off
	s_or_b32 exec_lo, exec_lo, s27
	v_cmp_lt_u32_e64 s26, v57, v145
	s_and_saveexec_b32 s28, s26
	s_cbranch_execnz .LBB2086_1079
.LBB2086_1094:                          ;   in Loop: Header=BB2086_990 Depth=2
	s_or_b32 exec_lo, exec_lo, s28
	v_cmp_lt_u32_e64 s27, v58, v145
	s_delay_alu instid0(VALU_DEP_1)
	s_and_saveexec_b32 s29, s27
	s_cbranch_execz .LBB2086_1080
.LBB2086_1095:                          ;   in Loop: Header=BB2086_990 Depth=2
	ds_load_u16 v149, v79 offset:5632
	s_waitcnt lgkmcnt(0)
	v_cmp_ne_u16_e64 s28, 0x7fff, v149
	s_delay_alu instid0(VALU_DEP_1) | instskip(SKIP_1) | instid1(VALU_DEP_2)
	v_cndmask_b32_e64 v2, 0xffff8000, v149, s28
	v_cmp_lt_i16_e64 s28, -1, v149
	v_and_b32_e32 v2, 0xffff, v2
	s_delay_alu instid0(VALU_DEP_2) | instskip(NEXT) | instid1(VALU_DEP_2)
	v_cndmask_b32_e64 v153, 0xffff8000, -1, s28
	v_lshrrev_b32_e32 v2, s49, v2
	s_delay_alu instid0(VALU_DEP_1) | instskip(NEXT) | instid1(VALU_DEP_1)
	v_and_b32_e32 v2, s55, v2
	v_lshlrev_b32_e32 v2, 2, v2
	ds_load_b32 v2, v2
	s_waitcnt lgkmcnt(0)
	v_add_nc_u32_e32 v2, v2, v58
	s_delay_alu instid0(VALU_DEP_1) | instskip(SKIP_1) | instid1(VALU_DEP_2)
	v_lshlrev_b64 v[36:37], 1, v[2:3]
	v_xor_b32_e32 v2, v153, v149
	v_add_co_u32 v36, s28, s40, v36
	s_delay_alu instid0(VALU_DEP_1) | instskip(SKIP_3) | instid1(VALU_DEP_1)
	v_add_co_ci_u32_e64 v37, s28, s41, v37, s28
	global_store_b16 v[36:37], v2, off
	s_or_b32 exec_lo, exec_lo, s29
	v_cmp_lt_u32_e64 s28, v59, v145
	s_and_saveexec_b32 s30, s28
	s_cbranch_execnz .LBB2086_1081
.LBB2086_1096:                          ;   in Loop: Header=BB2086_990 Depth=2
	s_or_b32 exec_lo, exec_lo, s30
	v_cmp_lt_u32_e64 s29, v60, v145
	s_delay_alu instid0(VALU_DEP_1)
	s_and_saveexec_b32 s31, s29
	s_cbranch_execz .LBB2086_1082
.LBB2086_1097:                          ;   in Loop: Header=BB2086_990 Depth=2
	ds_load_u16 v149, v79 offset:6656
	s_waitcnt lgkmcnt(0)
	v_cmp_ne_u16_e64 s30, 0x7fff, v149
	s_delay_alu instid0(VALU_DEP_1) | instskip(SKIP_1) | instid1(VALU_DEP_2)
	v_cndmask_b32_e64 v2, 0xffff8000, v149, s30
	v_cmp_lt_i16_e64 s30, -1, v149
	v_and_b32_e32 v2, 0xffff, v2
	s_delay_alu instid0(VALU_DEP_2) | instskip(NEXT) | instid1(VALU_DEP_2)
	v_cndmask_b32_e64 v153, 0xffff8000, -1, s30
	v_lshrrev_b32_e32 v2, s49, v2
	s_delay_alu instid0(VALU_DEP_1) | instskip(NEXT) | instid1(VALU_DEP_1)
	v_and_b32_e32 v2, s55, v2
	v_lshlrev_b32_e32 v2, 2, v2
	ds_load_b32 v2, v2
	s_waitcnt lgkmcnt(0)
	v_add_nc_u32_e32 v2, v2, v60
	s_delay_alu instid0(VALU_DEP_1) | instskip(SKIP_1) | instid1(VALU_DEP_2)
	v_lshlrev_b64 v[36:37], 1, v[2:3]
	v_xor_b32_e32 v2, v153, v149
	v_add_co_u32 v36, s30, s40, v36
	s_delay_alu instid0(VALU_DEP_1) | instskip(SKIP_3) | instid1(VALU_DEP_1)
	v_add_co_ci_u32_e64 v37, s30, s41, v37, s30
	global_store_b16 v[36:37], v2, off
	s_or_b32 exec_lo, exec_lo, s31
	v_cmp_lt_u32_e64 s30, v61, v145
	s_and_saveexec_b32 s33, s30
	s_cbranch_execnz .LBB2086_1083
.LBB2086_1098:                          ;   in Loop: Header=BB2086_990 Depth=2
	s_or_b32 exec_lo, exec_lo, s33
	v_cmp_lt_u32_e64 s31, v63, v145
	s_delay_alu instid0(VALU_DEP_1)
	s_and_saveexec_b32 s58, s31
	s_cbranch_execz .LBB2086_1100
.LBB2086_1099:                          ;   in Loop: Header=BB2086_990 Depth=2
	ds_load_u16 v149, v79 offset:7680
	s_waitcnt lgkmcnt(0)
	v_cmp_ne_u16_e64 s33, 0x7fff, v149
	s_delay_alu instid0(VALU_DEP_1) | instskip(SKIP_1) | instid1(VALU_DEP_2)
	v_cndmask_b32_e64 v2, 0xffff8000, v149, s33
	v_cmp_lt_i16_e64 s33, -1, v149
	v_and_b32_e32 v2, 0xffff, v2
	s_delay_alu instid0(VALU_DEP_2) | instskip(NEXT) | instid1(VALU_DEP_2)
	v_cndmask_b32_e64 v153, 0xffff8000, -1, s33
	v_lshrrev_b32_e32 v2, s49, v2
	s_delay_alu instid0(VALU_DEP_1) | instskip(NEXT) | instid1(VALU_DEP_1)
	v_and_b32_e32 v2, s55, v2
	v_lshlrev_b32_e32 v2, 2, v2
	ds_load_b32 v2, v2
	s_waitcnt lgkmcnt(0)
	v_add_nc_u32_e32 v2, v2, v63
	s_delay_alu instid0(VALU_DEP_1) | instskip(SKIP_1) | instid1(VALU_DEP_2)
	v_lshlrev_b64 v[36:37], 1, v[2:3]
	v_xor_b32_e32 v2, v153, v149
	v_add_co_u32 v36, s33, s40, v36
	s_delay_alu instid0(VALU_DEP_1)
	v_add_co_ci_u32_e64 v37, s33, s41, v37, s33
	global_store_b16 v[36:37], v2, off
.LBB2086_1100:                          ;   in Loop: Header=BB2086_990 Depth=2
	s_or_b32 exec_lo, exec_lo, s58
	s_lshl_b64 s[58:59], s[34:35], 3
	s_delay_alu instid0(SALU_CYCLE_1) | instskip(NEXT) | instid1(VALU_DEP_1)
	v_add_co_u32 v36, s33, v107, s58
	v_add_co_ci_u32_e64 v37, s33, s59, v108, s33
	v_cmp_lt_u32_e64 s33, v106, v145
	s_delay_alu instid0(VALU_DEP_1) | instskip(NEXT) | instid1(SALU_CYCLE_1)
	s_and_saveexec_b32 s34, s33
	s_xor_b32 s33, exec_lo, s34
	s_cbranch_execz .LBB2086_1132
; %bb.1101:                             ;   in Loop: Header=BB2086_990 Depth=2
	global_load_b64 v[34:35], v[36:37], off
	s_or_b32 exec_lo, exec_lo, s33
	s_delay_alu instid0(SALU_CYCLE_1)
	s_mov_b32 s34, exec_lo
	v_cmpx_lt_u32_e64 v109, v145
	s_cbranch_execnz .LBB2086_1133
.LBB2086_1102:                          ;   in Loop: Header=BB2086_990 Depth=2
	s_or_b32 exec_lo, exec_lo, s34
	s_delay_alu instid0(SALU_CYCLE_1)
	s_mov_b32 s34, exec_lo
	v_cmpx_lt_u32_e64 v110, v145
	s_cbranch_execz .LBB2086_1134
.LBB2086_1103:                          ;   in Loop: Header=BB2086_990 Depth=2
	global_load_b64 v[30:31], v[36:37], off offset:512
	s_or_b32 exec_lo, exec_lo, s34
	s_delay_alu instid0(SALU_CYCLE_1)
	s_mov_b32 s34, exec_lo
	v_cmpx_lt_u32_e64 v111, v145
	s_cbranch_execnz .LBB2086_1135
.LBB2086_1104:                          ;   in Loop: Header=BB2086_990 Depth=2
	s_or_b32 exec_lo, exec_lo, s34
	s_delay_alu instid0(SALU_CYCLE_1)
	s_mov_b32 s34, exec_lo
	v_cmpx_lt_u32_e64 v112, v145
	s_cbranch_execz .LBB2086_1136
.LBB2086_1105:                          ;   in Loop: Header=BB2086_990 Depth=2
	global_load_b64 v[26:27], v[36:37], off offset:1024
	s_or_b32 exec_lo, exec_lo, s34
	s_delay_alu instid0(SALU_CYCLE_1)
	s_mov_b32 s34, exec_lo
	v_cmpx_lt_u32_e64 v113, v145
	s_cbranch_execnz .LBB2086_1137
.LBB2086_1106:                          ;   in Loop: Header=BB2086_990 Depth=2
	s_or_b32 exec_lo, exec_lo, s34
	s_delay_alu instid0(SALU_CYCLE_1)
	s_mov_b32 s34, exec_lo
	v_cmpx_lt_u32_e64 v114, v145
	s_cbranch_execz .LBB2086_1138
.LBB2086_1107:                          ;   in Loop: Header=BB2086_990 Depth=2
	global_load_b64 v[22:23], v[36:37], off offset:1536
	s_or_b32 exec_lo, exec_lo, s34
	s_delay_alu instid0(SALU_CYCLE_1)
	s_mov_b32 s34, exec_lo
	v_cmpx_lt_u32_e64 v115, v145
	s_cbranch_execnz .LBB2086_1139
.LBB2086_1108:                          ;   in Loop: Header=BB2086_990 Depth=2
	s_or_b32 exec_lo, exec_lo, s34
	s_delay_alu instid0(SALU_CYCLE_1)
	s_mov_b32 s34, exec_lo
	v_cmpx_lt_u32_e64 v116, v145
	s_cbranch_execz .LBB2086_1140
.LBB2086_1109:                          ;   in Loop: Header=BB2086_990 Depth=2
	global_load_b64 v[18:19], v[36:37], off offset:2048
	s_or_b32 exec_lo, exec_lo, s34
	s_delay_alu instid0(SALU_CYCLE_1)
	s_mov_b32 s34, exec_lo
	v_cmpx_lt_u32_e64 v117, v145
	s_cbranch_execnz .LBB2086_1141
.LBB2086_1110:                          ;   in Loop: Header=BB2086_990 Depth=2
	s_or_b32 exec_lo, exec_lo, s34
	s_delay_alu instid0(SALU_CYCLE_1)
	s_mov_b32 s34, exec_lo
	v_cmpx_lt_u32_e64 v118, v145
	s_cbranch_execz .LBB2086_1142
.LBB2086_1111:                          ;   in Loop: Header=BB2086_990 Depth=2
	global_load_b64 v[14:15], v[36:37], off offset:2560
	s_or_b32 exec_lo, exec_lo, s34
	s_delay_alu instid0(SALU_CYCLE_1)
	s_mov_b32 s34, exec_lo
	v_cmpx_lt_u32_e64 v119, v145
	s_cbranch_execnz .LBB2086_1143
.LBB2086_1112:                          ;   in Loop: Header=BB2086_990 Depth=2
	s_or_b32 exec_lo, exec_lo, s34
	s_delay_alu instid0(SALU_CYCLE_1)
	s_mov_b32 s34, exec_lo
	v_cmpx_lt_u32_e64 v120, v145
	s_cbranch_execz .LBB2086_1144
.LBB2086_1113:                          ;   in Loop: Header=BB2086_990 Depth=2
	global_load_b64 v[10:11], v[36:37], off offset:3072
	s_or_b32 exec_lo, exec_lo, s34
	s_delay_alu instid0(SALU_CYCLE_1)
	s_mov_b32 s34, exec_lo
	v_cmpx_lt_u32_e64 v121, v145
	s_cbranch_execnz .LBB2086_1145
.LBB2086_1114:                          ;   in Loop: Header=BB2086_990 Depth=2
	s_or_b32 exec_lo, exec_lo, s34
	s_delay_alu instid0(SALU_CYCLE_1)
	s_mov_b32 s34, exec_lo
	v_cmpx_lt_u32_e64 v122, v145
	s_cbranch_execz .LBB2086_1146
.LBB2086_1115:                          ;   in Loop: Header=BB2086_990 Depth=2
	global_load_b64 v[6:7], v[36:37], off offset:3584
	s_or_b32 exec_lo, exec_lo, s34
	s_delay_alu instid0(SALU_CYCLE_1)
	s_mov_b32 s34, exec_lo
	v_cmpx_lt_u32_e64 v123, v145
	s_cbranch_execnz .LBB2086_1147
.LBB2086_1116:                          ;   in Loop: Header=BB2086_990 Depth=2
	s_or_b32 exec_lo, exec_lo, s34
	s_and_saveexec_b32 s34, vcc_lo
	s_cbranch_execz .LBB2086_1148
.LBB2086_1117:                          ;   in Loop: Header=BB2086_990 Depth=2
	ds_load_u16 v2, v147 offset:1024
	s_waitcnt lgkmcnt(0)
	v_cmp_ne_u16_e64 s33, 0x7fff, v2
	s_delay_alu instid0(VALU_DEP_1) | instskip(NEXT) | instid1(VALU_DEP_1)
	v_cndmask_b32_e64 v2, 0xffff8000, v2, s33
	v_and_b32_e32 v2, 0xffff, v2
	s_delay_alu instid0(VALU_DEP_1) | instskip(NEXT) | instid1(VALU_DEP_1)
	v_lshrrev_b32_e32 v2, s49, v2
	v_and_b32_e32 v144, s55, v2
	s_or_b32 exec_lo, exec_lo, s34
	s_and_saveexec_b32 s34, s17
	s_cbranch_execnz .LBB2086_1149
.LBB2086_1118:                          ;   in Loop: Header=BB2086_990 Depth=2
	s_or_b32 exec_lo, exec_lo, s34
	s_and_saveexec_b32 s34, s18
	s_cbranch_execz .LBB2086_1150
.LBB2086_1119:                          ;   in Loop: Header=BB2086_990 Depth=2
	ds_load_u16 v2, v79 offset:1024
	s_waitcnt lgkmcnt(0)
	v_cmp_ne_u16_e64 s33, 0x7fff, v2
	s_delay_alu instid0(VALU_DEP_1) | instskip(NEXT) | instid1(VALU_DEP_1)
	v_cndmask_b32_e64 v2, 0xffff8000, v2, s33
	v_and_b32_e32 v2, 0xffff, v2
	s_delay_alu instid0(VALU_DEP_1) | instskip(NEXT) | instid1(VALU_DEP_1)
	v_lshrrev_b32_e32 v2, s49, v2
	v_and_b32_e32 v142, s55, v2
	s_or_b32 exec_lo, exec_lo, s34
	s_and_saveexec_b32 s34, s19
	s_cbranch_execnz .LBB2086_1151
.LBB2086_1120:                          ;   in Loop: Header=BB2086_990 Depth=2
	s_or_b32 exec_lo, exec_lo, s34
	s_and_saveexec_b32 s34, s20
	s_cbranch_execz .LBB2086_1152
.LBB2086_1121:                          ;   in Loop: Header=BB2086_990 Depth=2
	ds_load_u16 v2, v79 offset:2048
	s_waitcnt lgkmcnt(0)
	v_cmp_ne_u16_e64 s33, 0x7fff, v2
	s_delay_alu instid0(VALU_DEP_1) | instskip(NEXT) | instid1(VALU_DEP_1)
	v_cndmask_b32_e64 v2, 0xffff8000, v2, s33
	v_and_b32_e32 v2, 0xffff, v2
	s_delay_alu instid0(VALU_DEP_1) | instskip(NEXT) | instid1(VALU_DEP_1)
	v_lshrrev_b32_e32 v2, s49, v2
	v_and_b32_e32 v140, s55, v2
	s_or_b32 exec_lo, exec_lo, s34
	s_and_saveexec_b32 s34, s21
	s_cbranch_execnz .LBB2086_1153
.LBB2086_1122:                          ;   in Loop: Header=BB2086_990 Depth=2
	s_or_b32 exec_lo, exec_lo, s34
	s_and_saveexec_b32 s34, s22
	s_cbranch_execz .LBB2086_1154
.LBB2086_1123:                          ;   in Loop: Header=BB2086_990 Depth=2
	ds_load_u16 v2, v79 offset:3072
	s_waitcnt lgkmcnt(0)
	v_cmp_ne_u16_e64 s33, 0x7fff, v2
	s_delay_alu instid0(VALU_DEP_1) | instskip(NEXT) | instid1(VALU_DEP_1)
	v_cndmask_b32_e64 v2, 0xffff8000, v2, s33
	v_and_b32_e32 v2, 0xffff, v2
	s_delay_alu instid0(VALU_DEP_1) | instskip(NEXT) | instid1(VALU_DEP_1)
	v_lshrrev_b32_e32 v2, s49, v2
	v_and_b32_e32 v138, s55, v2
	s_or_b32 exec_lo, exec_lo, s34
	s_and_saveexec_b32 s34, s23
	s_cbranch_execnz .LBB2086_1155
.LBB2086_1124:                          ;   in Loop: Header=BB2086_990 Depth=2
	s_or_b32 exec_lo, exec_lo, s34
	s_and_saveexec_b32 s34, s24
	s_cbranch_execz .LBB2086_1156
.LBB2086_1125:                          ;   in Loop: Header=BB2086_990 Depth=2
	ds_load_u16 v2, v79 offset:4096
	s_waitcnt lgkmcnt(0)
	v_cmp_ne_u16_e64 s33, 0x7fff, v2
	s_delay_alu instid0(VALU_DEP_1) | instskip(NEXT) | instid1(VALU_DEP_1)
	v_cndmask_b32_e64 v2, 0xffff8000, v2, s33
	v_and_b32_e32 v2, 0xffff, v2
	s_delay_alu instid0(VALU_DEP_1) | instskip(NEXT) | instid1(VALU_DEP_1)
	v_lshrrev_b32_e32 v2, s49, v2
	v_and_b32_e32 v136, s55, v2
	s_or_b32 exec_lo, exec_lo, s34
	s_and_saveexec_b32 s34, s25
	s_cbranch_execnz .LBB2086_1157
.LBB2086_1126:                          ;   in Loop: Header=BB2086_990 Depth=2
	s_or_b32 exec_lo, exec_lo, s34
	s_and_saveexec_b32 s34, s26
	s_cbranch_execz .LBB2086_1158
.LBB2086_1127:                          ;   in Loop: Header=BB2086_990 Depth=2
	ds_load_u16 v2, v79 offset:5120
	s_waitcnt lgkmcnt(0)
	v_cmp_ne_u16_e64 s33, 0x7fff, v2
	s_delay_alu instid0(VALU_DEP_1) | instskip(NEXT) | instid1(VALU_DEP_1)
	v_cndmask_b32_e64 v2, 0xffff8000, v2, s33
	v_and_b32_e32 v2, 0xffff, v2
	s_delay_alu instid0(VALU_DEP_1) | instskip(NEXT) | instid1(VALU_DEP_1)
	v_lshrrev_b32_e32 v2, s49, v2
	v_and_b32_e32 v134, s55, v2
	s_or_b32 exec_lo, exec_lo, s34
	s_and_saveexec_b32 s34, s27
	s_cbranch_execnz .LBB2086_1159
.LBB2086_1128:                          ;   in Loop: Header=BB2086_990 Depth=2
	s_or_b32 exec_lo, exec_lo, s34
	s_and_saveexec_b32 s34, s28
	s_cbranch_execz .LBB2086_1160
.LBB2086_1129:                          ;   in Loop: Header=BB2086_990 Depth=2
	ds_load_u16 v2, v79 offset:6144
	s_waitcnt lgkmcnt(0)
	v_cmp_ne_u16_e64 s33, 0x7fff, v2
	s_delay_alu instid0(VALU_DEP_1) | instskip(NEXT) | instid1(VALU_DEP_1)
	v_cndmask_b32_e64 v2, 0xffff8000, v2, s33
	v_and_b32_e32 v2, 0xffff, v2
	s_delay_alu instid0(VALU_DEP_1) | instskip(NEXT) | instid1(VALU_DEP_1)
	v_lshrrev_b32_e32 v2, s49, v2
	v_and_b32_e32 v132, s55, v2
	s_or_b32 exec_lo, exec_lo, s34
	s_and_saveexec_b32 s34, s29
	s_cbranch_execnz .LBB2086_1161
.LBB2086_1130:                          ;   in Loop: Header=BB2086_990 Depth=2
	s_or_b32 exec_lo, exec_lo, s34
	s_and_saveexec_b32 s34, s30
	s_cbranch_execz .LBB2086_1162
.LBB2086_1131:                          ;   in Loop: Header=BB2086_990 Depth=2
	ds_load_u16 v2, v79 offset:7168
	s_waitcnt lgkmcnt(0)
	v_cmp_ne_u16_e64 s33, 0x7fff, v2
	s_delay_alu instid0(VALU_DEP_1) | instskip(NEXT) | instid1(VALU_DEP_1)
	v_cndmask_b32_e64 v2, 0xffff8000, v2, s33
	v_and_b32_e32 v2, 0xffff, v2
	s_delay_alu instid0(VALU_DEP_1) | instskip(NEXT) | instid1(VALU_DEP_1)
	v_lshrrev_b32_e32 v2, s49, v2
	v_and_b32_e32 v130, s55, v2
	s_or_b32 exec_lo, exec_lo, s34
	s_and_saveexec_b32 s34, s31
	s_cbranch_execnz .LBB2086_1163
	s_branch .LBB2086_1164
.LBB2086_1132:                          ;   in Loop: Header=BB2086_990 Depth=2
	s_or_b32 exec_lo, exec_lo, s33
	s_delay_alu instid0(SALU_CYCLE_1)
	s_mov_b32 s34, exec_lo
	v_cmpx_lt_u32_e64 v109, v145
	s_cbranch_execz .LBB2086_1102
.LBB2086_1133:                          ;   in Loop: Header=BB2086_990 Depth=2
	global_load_b64 v[32:33], v[36:37], off offset:256
	s_or_b32 exec_lo, exec_lo, s34
	s_delay_alu instid0(SALU_CYCLE_1)
	s_mov_b32 s34, exec_lo
	v_cmpx_lt_u32_e64 v110, v145
	s_cbranch_execnz .LBB2086_1103
.LBB2086_1134:                          ;   in Loop: Header=BB2086_990 Depth=2
	s_or_b32 exec_lo, exec_lo, s34
	s_delay_alu instid0(SALU_CYCLE_1)
	s_mov_b32 s34, exec_lo
	v_cmpx_lt_u32_e64 v111, v145
	s_cbranch_execz .LBB2086_1104
.LBB2086_1135:                          ;   in Loop: Header=BB2086_990 Depth=2
	global_load_b64 v[28:29], v[36:37], off offset:768
	s_or_b32 exec_lo, exec_lo, s34
	s_delay_alu instid0(SALU_CYCLE_1)
	s_mov_b32 s34, exec_lo
	v_cmpx_lt_u32_e64 v112, v145
	s_cbranch_execnz .LBB2086_1105
.LBB2086_1136:                          ;   in Loop: Header=BB2086_990 Depth=2
	s_or_b32 exec_lo, exec_lo, s34
	s_delay_alu instid0(SALU_CYCLE_1)
	s_mov_b32 s34, exec_lo
	v_cmpx_lt_u32_e64 v113, v145
	s_cbranch_execz .LBB2086_1106
.LBB2086_1137:                          ;   in Loop: Header=BB2086_990 Depth=2
	global_load_b64 v[24:25], v[36:37], off offset:1280
	s_or_b32 exec_lo, exec_lo, s34
	s_delay_alu instid0(SALU_CYCLE_1)
	s_mov_b32 s34, exec_lo
	v_cmpx_lt_u32_e64 v114, v145
	s_cbranch_execnz .LBB2086_1107
.LBB2086_1138:                          ;   in Loop: Header=BB2086_990 Depth=2
	s_or_b32 exec_lo, exec_lo, s34
	s_delay_alu instid0(SALU_CYCLE_1)
	s_mov_b32 s34, exec_lo
	v_cmpx_lt_u32_e64 v115, v145
	s_cbranch_execz .LBB2086_1108
.LBB2086_1139:                          ;   in Loop: Header=BB2086_990 Depth=2
	global_load_b64 v[20:21], v[36:37], off offset:1792
	s_or_b32 exec_lo, exec_lo, s34
	s_delay_alu instid0(SALU_CYCLE_1)
	s_mov_b32 s34, exec_lo
	v_cmpx_lt_u32_e64 v116, v145
	s_cbranch_execnz .LBB2086_1109
.LBB2086_1140:                          ;   in Loop: Header=BB2086_990 Depth=2
	s_or_b32 exec_lo, exec_lo, s34
	s_delay_alu instid0(SALU_CYCLE_1)
	s_mov_b32 s34, exec_lo
	v_cmpx_lt_u32_e64 v117, v145
	s_cbranch_execz .LBB2086_1110
.LBB2086_1141:                          ;   in Loop: Header=BB2086_990 Depth=2
	global_load_b64 v[16:17], v[36:37], off offset:2304
	s_or_b32 exec_lo, exec_lo, s34
	s_delay_alu instid0(SALU_CYCLE_1)
	s_mov_b32 s34, exec_lo
	v_cmpx_lt_u32_e64 v118, v145
	s_cbranch_execnz .LBB2086_1111
.LBB2086_1142:                          ;   in Loop: Header=BB2086_990 Depth=2
	s_or_b32 exec_lo, exec_lo, s34
	s_delay_alu instid0(SALU_CYCLE_1)
	s_mov_b32 s34, exec_lo
	v_cmpx_lt_u32_e64 v119, v145
	s_cbranch_execz .LBB2086_1112
.LBB2086_1143:                          ;   in Loop: Header=BB2086_990 Depth=2
	global_load_b64 v[12:13], v[36:37], off offset:2816
	s_or_b32 exec_lo, exec_lo, s34
	s_delay_alu instid0(SALU_CYCLE_1)
	s_mov_b32 s34, exec_lo
	v_cmpx_lt_u32_e64 v120, v145
	s_cbranch_execnz .LBB2086_1113
.LBB2086_1144:                          ;   in Loop: Header=BB2086_990 Depth=2
	s_or_b32 exec_lo, exec_lo, s34
	s_delay_alu instid0(SALU_CYCLE_1)
	s_mov_b32 s34, exec_lo
	v_cmpx_lt_u32_e64 v121, v145
	s_cbranch_execz .LBB2086_1114
.LBB2086_1145:                          ;   in Loop: Header=BB2086_990 Depth=2
	global_load_b64 v[8:9], v[36:37], off offset:3328
	s_or_b32 exec_lo, exec_lo, s34
	s_delay_alu instid0(SALU_CYCLE_1)
	s_mov_b32 s34, exec_lo
	v_cmpx_lt_u32_e64 v122, v145
	s_cbranch_execnz .LBB2086_1115
.LBB2086_1146:                          ;   in Loop: Header=BB2086_990 Depth=2
	s_or_b32 exec_lo, exec_lo, s34
	s_delay_alu instid0(SALU_CYCLE_1)
	s_mov_b32 s34, exec_lo
	v_cmpx_lt_u32_e64 v123, v145
	s_cbranch_execz .LBB2086_1116
.LBB2086_1147:                          ;   in Loop: Header=BB2086_990 Depth=2
	global_load_b64 v[4:5], v[36:37], off offset:3840
	s_or_b32 exec_lo, exec_lo, s34
	s_and_saveexec_b32 s34, vcc_lo
	s_cbranch_execnz .LBB2086_1117
.LBB2086_1148:                          ;   in Loop: Header=BB2086_990 Depth=2
	s_or_b32 exec_lo, exec_lo, s34
	s_and_saveexec_b32 s34, s17
	s_cbranch_execz .LBB2086_1118
.LBB2086_1149:                          ;   in Loop: Header=BB2086_990 Depth=2
	ds_load_u16 v2, v79 offset:512
	s_waitcnt lgkmcnt(0)
	v_cmp_ne_u16_e64 s33, 0x7fff, v2
	s_delay_alu instid0(VALU_DEP_1) | instskip(NEXT) | instid1(VALU_DEP_1)
	v_cndmask_b32_e64 v2, 0xffff8000, v2, s33
	v_and_b32_e32 v2, 0xffff, v2
	s_delay_alu instid0(VALU_DEP_1) | instskip(NEXT) | instid1(VALU_DEP_1)
	v_lshrrev_b32_e32 v2, s49, v2
	v_and_b32_e32 v143, s55, v2
	s_or_b32 exec_lo, exec_lo, s34
	s_and_saveexec_b32 s34, s18
	s_cbranch_execnz .LBB2086_1119
.LBB2086_1150:                          ;   in Loop: Header=BB2086_990 Depth=2
	s_or_b32 exec_lo, exec_lo, s34
	s_and_saveexec_b32 s34, s19
	s_cbranch_execz .LBB2086_1120
.LBB2086_1151:                          ;   in Loop: Header=BB2086_990 Depth=2
	ds_load_u16 v2, v79 offset:1536
	s_waitcnt lgkmcnt(0)
	v_cmp_ne_u16_e64 s33, 0x7fff, v2
	s_delay_alu instid0(VALU_DEP_1) | instskip(NEXT) | instid1(VALU_DEP_1)
	v_cndmask_b32_e64 v2, 0xffff8000, v2, s33
	v_and_b32_e32 v2, 0xffff, v2
	s_delay_alu instid0(VALU_DEP_1) | instskip(NEXT) | instid1(VALU_DEP_1)
	v_lshrrev_b32_e32 v2, s49, v2
	v_and_b32_e32 v141, s55, v2
	s_or_b32 exec_lo, exec_lo, s34
	s_and_saveexec_b32 s34, s20
	s_cbranch_execnz .LBB2086_1121
.LBB2086_1152:                          ;   in Loop: Header=BB2086_990 Depth=2
	s_or_b32 exec_lo, exec_lo, s34
	s_and_saveexec_b32 s34, s21
	s_cbranch_execz .LBB2086_1122
.LBB2086_1153:                          ;   in Loop: Header=BB2086_990 Depth=2
	ds_load_u16 v2, v79 offset:2560
	s_waitcnt lgkmcnt(0)
	v_cmp_ne_u16_e64 s33, 0x7fff, v2
	s_delay_alu instid0(VALU_DEP_1) | instskip(NEXT) | instid1(VALU_DEP_1)
	v_cndmask_b32_e64 v2, 0xffff8000, v2, s33
	v_and_b32_e32 v2, 0xffff, v2
	s_delay_alu instid0(VALU_DEP_1) | instskip(NEXT) | instid1(VALU_DEP_1)
	v_lshrrev_b32_e32 v2, s49, v2
	v_and_b32_e32 v139, s55, v2
	s_or_b32 exec_lo, exec_lo, s34
	s_and_saveexec_b32 s34, s22
	s_cbranch_execnz .LBB2086_1123
.LBB2086_1154:                          ;   in Loop: Header=BB2086_990 Depth=2
	s_or_b32 exec_lo, exec_lo, s34
	s_and_saveexec_b32 s34, s23
	s_cbranch_execz .LBB2086_1124
.LBB2086_1155:                          ;   in Loop: Header=BB2086_990 Depth=2
	ds_load_u16 v2, v79 offset:3584
	s_waitcnt lgkmcnt(0)
	v_cmp_ne_u16_e64 s33, 0x7fff, v2
	s_delay_alu instid0(VALU_DEP_1) | instskip(NEXT) | instid1(VALU_DEP_1)
	v_cndmask_b32_e64 v2, 0xffff8000, v2, s33
	v_and_b32_e32 v2, 0xffff, v2
	s_delay_alu instid0(VALU_DEP_1) | instskip(NEXT) | instid1(VALU_DEP_1)
	v_lshrrev_b32_e32 v2, s49, v2
	v_and_b32_e32 v137, s55, v2
	s_or_b32 exec_lo, exec_lo, s34
	s_and_saveexec_b32 s34, s24
	s_cbranch_execnz .LBB2086_1125
.LBB2086_1156:                          ;   in Loop: Header=BB2086_990 Depth=2
	s_or_b32 exec_lo, exec_lo, s34
	s_and_saveexec_b32 s34, s25
	s_cbranch_execz .LBB2086_1126
.LBB2086_1157:                          ;   in Loop: Header=BB2086_990 Depth=2
	ds_load_u16 v2, v79 offset:4608
	s_waitcnt lgkmcnt(0)
	v_cmp_ne_u16_e64 s33, 0x7fff, v2
	s_delay_alu instid0(VALU_DEP_1) | instskip(NEXT) | instid1(VALU_DEP_1)
	v_cndmask_b32_e64 v2, 0xffff8000, v2, s33
	v_and_b32_e32 v2, 0xffff, v2
	s_delay_alu instid0(VALU_DEP_1) | instskip(NEXT) | instid1(VALU_DEP_1)
	v_lshrrev_b32_e32 v2, s49, v2
	v_and_b32_e32 v135, s55, v2
	s_or_b32 exec_lo, exec_lo, s34
	s_and_saveexec_b32 s34, s26
	s_cbranch_execnz .LBB2086_1127
.LBB2086_1158:                          ;   in Loop: Header=BB2086_990 Depth=2
	s_or_b32 exec_lo, exec_lo, s34
	s_and_saveexec_b32 s34, s27
	s_cbranch_execz .LBB2086_1128
.LBB2086_1159:                          ;   in Loop: Header=BB2086_990 Depth=2
	ds_load_u16 v2, v79 offset:5632
	s_waitcnt lgkmcnt(0)
	v_cmp_ne_u16_e64 s33, 0x7fff, v2
	s_delay_alu instid0(VALU_DEP_1) | instskip(NEXT) | instid1(VALU_DEP_1)
	v_cndmask_b32_e64 v2, 0xffff8000, v2, s33
	v_and_b32_e32 v2, 0xffff, v2
	s_delay_alu instid0(VALU_DEP_1) | instskip(NEXT) | instid1(VALU_DEP_1)
	v_lshrrev_b32_e32 v2, s49, v2
	v_and_b32_e32 v133, s55, v2
	s_or_b32 exec_lo, exec_lo, s34
	s_and_saveexec_b32 s34, s28
	s_cbranch_execnz .LBB2086_1129
.LBB2086_1160:                          ;   in Loop: Header=BB2086_990 Depth=2
	s_or_b32 exec_lo, exec_lo, s34
	s_and_saveexec_b32 s34, s29
	s_cbranch_execz .LBB2086_1130
.LBB2086_1161:                          ;   in Loop: Header=BB2086_990 Depth=2
	ds_load_u16 v2, v79 offset:6656
	s_waitcnt lgkmcnt(0)
	v_cmp_ne_u16_e64 s33, 0x7fff, v2
	s_delay_alu instid0(VALU_DEP_1) | instskip(NEXT) | instid1(VALU_DEP_1)
	v_cndmask_b32_e64 v2, 0xffff8000, v2, s33
	v_and_b32_e32 v2, 0xffff, v2
	s_delay_alu instid0(VALU_DEP_1) | instskip(NEXT) | instid1(VALU_DEP_1)
	v_lshrrev_b32_e32 v2, s49, v2
	v_and_b32_e32 v131, s55, v2
	s_or_b32 exec_lo, exec_lo, s34
	s_and_saveexec_b32 s34, s30
	s_cbranch_execnz .LBB2086_1131
.LBB2086_1162:                          ;   in Loop: Header=BB2086_990 Depth=2
	s_or_b32 exec_lo, exec_lo, s34
	s_and_saveexec_b32 s34, s31
	s_cbranch_execz .LBB2086_1164
.LBB2086_1163:                          ;   in Loop: Header=BB2086_990 Depth=2
	ds_load_u16 v2, v79 offset:7680
	s_waitcnt lgkmcnt(0)
	v_cmp_ne_u16_e64 s33, 0x7fff, v2
	s_delay_alu instid0(VALU_DEP_1) | instskip(NEXT) | instid1(VALU_DEP_1)
	v_cndmask_b32_e64 v2, 0xffff8000, v2, s33
	v_and_b32_e32 v2, 0xffff, v2
	s_delay_alu instid0(VALU_DEP_1) | instskip(NEXT) | instid1(VALU_DEP_1)
	v_lshrrev_b32_e32 v2, s49, v2
	v_and_b32_e32 v129, s55, v2
.LBB2086_1164:                          ;   in Loop: Header=BB2086_990 Depth=2
	s_or_b32 exec_lo, exec_lo, s34
	v_lshlrev_b32_e32 v2, 3, v168
	v_lshlrev_b32_e32 v36, 3, v164
	s_waitcnt vmcnt(0)
	s_waitcnt_vscnt null, 0x0
	s_barrier
	buffer_gl0_inv
	ds_store_b64 v2, v[34:35] offset:1024
	v_lshlrev_b32_e32 v2, 3, v160
	v_lshlrev_b32_e32 v37, 3, v156
	v_lshlrev_b32_e32 v145, 3, v155
	v_lshlrev_b32_e32 v147, 3, v154
	ds_store_b64 v36, v[32:33] offset:1024
	ds_store_b64 v2, v[30:31] offset:1024
	;; [unrolled: 1-line block ×5, first 2 shown]
	v_lshlrev_b32_e32 v2, 3, v152
	v_lshlrev_b32_e32 v36, 3, v151
	;; [unrolled: 1-line block ×5, first 2 shown]
	ds_store_b64 v2, v[22:23] offset:1024
	ds_store_b64 v36, v[20:21] offset:1024
	;; [unrolled: 1-line block ×5, first 2 shown]
	v_lshlrev_b32_e32 v2, 3, v42
	v_lshlrev_b32_e32 v36, 3, v40
	;; [unrolled: 1-line block ×5, first 2 shown]
	ds_store_b64 v2, v[12:13] offset:1024
	ds_store_b64 v36, v[10:11] offset:1024
	;; [unrolled: 1-line block ×5, first 2 shown]
	s_waitcnt lgkmcnt(0)
	s_barrier
	buffer_gl0_inv
	s_and_saveexec_b32 s33, vcc_lo
	s_cbranch_execz .LBB2086_1180
; %bb.1165:                             ;   in Loop: Header=BB2086_990 Depth=2
	v_lshlrev_b32_e32 v2, 2, v144
	ds_load_b32 v2, v2
	ds_load_b64 v[36:37], v80 offset:1024
	s_waitcnt lgkmcnt(1)
	v_add_nc_u32_e32 v2, v2, v1
	s_delay_alu instid0(VALU_DEP_1) | instskip(NEXT) | instid1(VALU_DEP_1)
	v_lshlrev_b64 v[39:40], 3, v[2:3]
	v_add_co_u32 v39, vcc_lo, s46, v39
	s_delay_alu instid0(VALU_DEP_2)
	v_add_co_ci_u32_e32 v40, vcc_lo, s47, v40, vcc_lo
	s_waitcnt lgkmcnt(0)
	global_store_b64 v[39:40], v[36:37], off
	s_or_b32 exec_lo, exec_lo, s33
	v_add_nc_u32_e32 v36, v79, v81
	s_and_saveexec_b32 s33, s17
	s_cbranch_execnz .LBB2086_1181
.LBB2086_1166:                          ;   in Loop: Header=BB2086_990 Depth=2
	s_or_b32 exec_lo, exec_lo, s33
	s_and_saveexec_b32 s17, s18
	s_cbranch_execz .LBB2086_1182
.LBB2086_1167:                          ;   in Loop: Header=BB2086_990 Depth=2
	v_lshlrev_b32_e32 v2, 2, v142
	ds_load_b32 v2, v2
	ds_load_b64 v[39:40], v36 offset:4096
	s_waitcnt lgkmcnt(1)
	v_add_nc_u32_e32 v2, v2, v46
	s_delay_alu instid0(VALU_DEP_1) | instskip(NEXT) | instid1(VALU_DEP_1)
	v_lshlrev_b64 v[41:42], 3, v[2:3]
	v_add_co_u32 v41, vcc_lo, s46, v41
	s_delay_alu instid0(VALU_DEP_2)
	v_add_co_ci_u32_e32 v42, vcc_lo, s47, v42, vcc_lo
	s_waitcnt lgkmcnt(0)
	global_store_b64 v[41:42], v[39:40], off
	s_or_b32 exec_lo, exec_lo, s17
	s_and_saveexec_b32 s17, s19
	s_cbranch_execnz .LBB2086_1183
.LBB2086_1168:                          ;   in Loop: Header=BB2086_990 Depth=2
	s_or_b32 exec_lo, exec_lo, s17
	s_and_saveexec_b32 s17, s20
	s_cbranch_execz .LBB2086_1184
.LBB2086_1169:                          ;   in Loop: Header=BB2086_990 Depth=2
	v_lshlrev_b32_e32 v2, 2, v140
	ds_load_b32 v2, v2
	ds_load_b64 v[39:40], v36 offset:8192
	s_waitcnt lgkmcnt(1)
	v_add_nc_u32_e32 v2, v2, v51
	s_delay_alu instid0(VALU_DEP_1) | instskip(NEXT) | instid1(VALU_DEP_1)
	v_lshlrev_b64 v[41:42], 3, v[2:3]
	v_add_co_u32 v41, vcc_lo, s46, v41
	s_delay_alu instid0(VALU_DEP_2)
	v_add_co_ci_u32_e32 v42, vcc_lo, s47, v42, vcc_lo
	s_waitcnt lgkmcnt(0)
	global_store_b64 v[41:42], v[39:40], off
	s_or_b32 exec_lo, exec_lo, s17
	s_and_saveexec_b32 s17, s21
	s_cbranch_execnz .LBB2086_1185
.LBB2086_1170:                          ;   in Loop: Header=BB2086_990 Depth=2
	s_or_b32 exec_lo, exec_lo, s17
	s_and_saveexec_b32 s17, s22
	s_cbranch_execz .LBB2086_1186
.LBB2086_1171:                          ;   in Loop: Header=BB2086_990 Depth=2
	v_lshlrev_b32_e32 v2, 2, v138
	ds_load_b32 v2, v2
	ds_load_b64 v[39:40], v36 offset:12288
	s_waitcnt lgkmcnt(1)
	v_add_nc_u32_e32 v2, v2, v53
	s_delay_alu instid0(VALU_DEP_1) | instskip(NEXT) | instid1(VALU_DEP_1)
	v_lshlrev_b64 v[41:42], 3, v[2:3]
	v_add_co_u32 v41, vcc_lo, s46, v41
	s_delay_alu instid0(VALU_DEP_2)
	v_add_co_ci_u32_e32 v42, vcc_lo, s47, v42, vcc_lo
	s_waitcnt lgkmcnt(0)
	global_store_b64 v[41:42], v[39:40], off
	s_or_b32 exec_lo, exec_lo, s17
	s_and_saveexec_b32 s17, s23
	s_cbranch_execnz .LBB2086_1187
.LBB2086_1172:                          ;   in Loop: Header=BB2086_990 Depth=2
	s_or_b32 exec_lo, exec_lo, s17
	s_and_saveexec_b32 s17, s24
	s_cbranch_execz .LBB2086_1188
.LBB2086_1173:                          ;   in Loop: Header=BB2086_990 Depth=2
	v_lshlrev_b32_e32 v2, 2, v136
	ds_load_b32 v2, v2
	ds_load_b64 v[39:40], v36 offset:16384
	s_waitcnt lgkmcnt(1)
	v_add_nc_u32_e32 v2, v2, v55
	s_delay_alu instid0(VALU_DEP_1) | instskip(NEXT) | instid1(VALU_DEP_1)
	v_lshlrev_b64 v[41:42], 3, v[2:3]
	v_add_co_u32 v41, vcc_lo, s46, v41
	s_delay_alu instid0(VALU_DEP_2)
	v_add_co_ci_u32_e32 v42, vcc_lo, s47, v42, vcc_lo
	s_waitcnt lgkmcnt(0)
	global_store_b64 v[41:42], v[39:40], off
	s_or_b32 exec_lo, exec_lo, s17
	s_and_saveexec_b32 s17, s25
	s_cbranch_execnz .LBB2086_1189
.LBB2086_1174:                          ;   in Loop: Header=BB2086_990 Depth=2
	s_or_b32 exec_lo, exec_lo, s17
	s_and_saveexec_b32 s17, s26
	s_cbranch_execz .LBB2086_1190
.LBB2086_1175:                          ;   in Loop: Header=BB2086_990 Depth=2
	v_lshlrev_b32_e32 v2, 2, v134
	ds_load_b32 v2, v2
	ds_load_b64 v[39:40], v36 offset:20480
	s_waitcnt lgkmcnt(1)
	v_add_nc_u32_e32 v2, v2, v57
	s_delay_alu instid0(VALU_DEP_1) | instskip(NEXT) | instid1(VALU_DEP_1)
	v_lshlrev_b64 v[41:42], 3, v[2:3]
	v_add_co_u32 v41, vcc_lo, s46, v41
	s_delay_alu instid0(VALU_DEP_2)
	v_add_co_ci_u32_e32 v42, vcc_lo, s47, v42, vcc_lo
	s_waitcnt lgkmcnt(0)
	global_store_b64 v[41:42], v[39:40], off
	s_or_b32 exec_lo, exec_lo, s17
	s_and_saveexec_b32 s17, s27
	s_cbranch_execnz .LBB2086_1191
.LBB2086_1176:                          ;   in Loop: Header=BB2086_990 Depth=2
	s_or_b32 exec_lo, exec_lo, s17
	s_and_saveexec_b32 s17, s28
	s_cbranch_execz .LBB2086_1192
.LBB2086_1177:                          ;   in Loop: Header=BB2086_990 Depth=2
	v_lshlrev_b32_e32 v2, 2, v132
	ds_load_b32 v2, v2
	ds_load_b64 v[39:40], v36 offset:24576
	s_waitcnt lgkmcnt(1)
	v_add_nc_u32_e32 v2, v2, v59
	s_delay_alu instid0(VALU_DEP_1) | instskip(NEXT) | instid1(VALU_DEP_1)
	v_lshlrev_b64 v[41:42], 3, v[2:3]
	v_add_co_u32 v41, vcc_lo, s46, v41
	s_delay_alu instid0(VALU_DEP_2)
	v_add_co_ci_u32_e32 v42, vcc_lo, s47, v42, vcc_lo
	s_waitcnt lgkmcnt(0)
	global_store_b64 v[41:42], v[39:40], off
	s_or_b32 exec_lo, exec_lo, s17
	s_and_saveexec_b32 s17, s29
	s_cbranch_execnz .LBB2086_1193
.LBB2086_1178:                          ;   in Loop: Header=BB2086_990 Depth=2
	s_or_b32 exec_lo, exec_lo, s17
	s_and_saveexec_b32 s17, s30
	s_cbranch_execz .LBB2086_1194
.LBB2086_1179:                          ;   in Loop: Header=BB2086_990 Depth=2
	v_lshlrev_b32_e32 v2, 2, v130
	ds_load_b32 v2, v2
	ds_load_b64 v[39:40], v36 offset:28672
	s_waitcnt lgkmcnt(1)
	v_add_nc_u32_e32 v2, v2, v61
	s_delay_alu instid0(VALU_DEP_1) | instskip(NEXT) | instid1(VALU_DEP_1)
	v_lshlrev_b64 v[41:42], 3, v[2:3]
	v_add_co_u32 v41, vcc_lo, s46, v41
	s_delay_alu instid0(VALU_DEP_2)
	v_add_co_ci_u32_e32 v42, vcc_lo, s47, v42, vcc_lo
	s_waitcnt lgkmcnt(0)
	global_store_b64 v[41:42], v[39:40], off
	s_or_b32 exec_lo, exec_lo, s17
	s_and_saveexec_b32 s17, s31
	s_cbranch_execnz .LBB2086_1195
	s_branch .LBB2086_1196
.LBB2086_1180:                          ;   in Loop: Header=BB2086_990 Depth=2
	s_or_b32 exec_lo, exec_lo, s33
	v_add_nc_u32_e32 v36, v79, v81
	s_and_saveexec_b32 s33, s17
	s_cbranch_execz .LBB2086_1166
.LBB2086_1181:                          ;   in Loop: Header=BB2086_990 Depth=2
	v_lshlrev_b32_e32 v2, 2, v143
	ds_load_b32 v2, v2
	ds_load_b64 v[39:40], v36 offset:2048
	s_waitcnt lgkmcnt(1)
	v_add_nc_u32_e32 v2, v2, v45
	s_delay_alu instid0(VALU_DEP_1) | instskip(NEXT) | instid1(VALU_DEP_1)
	v_lshlrev_b64 v[41:42], 3, v[2:3]
	v_add_co_u32 v41, vcc_lo, s46, v41
	s_delay_alu instid0(VALU_DEP_2)
	v_add_co_ci_u32_e32 v42, vcc_lo, s47, v42, vcc_lo
	s_waitcnt lgkmcnt(0)
	global_store_b64 v[41:42], v[39:40], off
	s_or_b32 exec_lo, exec_lo, s33
	s_and_saveexec_b32 s17, s18
	s_cbranch_execnz .LBB2086_1167
.LBB2086_1182:                          ;   in Loop: Header=BB2086_990 Depth=2
	s_or_b32 exec_lo, exec_lo, s17
	s_and_saveexec_b32 s17, s19
	s_cbranch_execz .LBB2086_1168
.LBB2086_1183:                          ;   in Loop: Header=BB2086_990 Depth=2
	v_lshlrev_b32_e32 v2, 2, v141
	ds_load_b32 v2, v2
	ds_load_b64 v[39:40], v36 offset:6144
	s_waitcnt lgkmcnt(1)
	v_add_nc_u32_e32 v2, v2, v47
	s_delay_alu instid0(VALU_DEP_1) | instskip(NEXT) | instid1(VALU_DEP_1)
	v_lshlrev_b64 v[41:42], 3, v[2:3]
	v_add_co_u32 v41, vcc_lo, s46, v41
	s_delay_alu instid0(VALU_DEP_2)
	v_add_co_ci_u32_e32 v42, vcc_lo, s47, v42, vcc_lo
	s_waitcnt lgkmcnt(0)
	global_store_b64 v[41:42], v[39:40], off
	s_or_b32 exec_lo, exec_lo, s17
	s_and_saveexec_b32 s17, s20
	s_cbranch_execnz .LBB2086_1169
.LBB2086_1184:                          ;   in Loop: Header=BB2086_990 Depth=2
	s_or_b32 exec_lo, exec_lo, s17
	s_and_saveexec_b32 s17, s21
	s_cbranch_execz .LBB2086_1170
.LBB2086_1185:                          ;   in Loop: Header=BB2086_990 Depth=2
	v_lshlrev_b32_e32 v2, 2, v139
	ds_load_b32 v2, v2
	ds_load_b64 v[39:40], v36 offset:10240
	s_waitcnt lgkmcnt(1)
	v_add_nc_u32_e32 v2, v2, v52
	s_delay_alu instid0(VALU_DEP_1) | instskip(NEXT) | instid1(VALU_DEP_1)
	v_lshlrev_b64 v[41:42], 3, v[2:3]
	v_add_co_u32 v41, vcc_lo, s46, v41
	s_delay_alu instid0(VALU_DEP_2)
	v_add_co_ci_u32_e32 v42, vcc_lo, s47, v42, vcc_lo
	s_waitcnt lgkmcnt(0)
	global_store_b64 v[41:42], v[39:40], off
	s_or_b32 exec_lo, exec_lo, s17
	s_and_saveexec_b32 s17, s22
	s_cbranch_execnz .LBB2086_1171
.LBB2086_1186:                          ;   in Loop: Header=BB2086_990 Depth=2
	s_or_b32 exec_lo, exec_lo, s17
	s_and_saveexec_b32 s17, s23
	s_cbranch_execz .LBB2086_1172
.LBB2086_1187:                          ;   in Loop: Header=BB2086_990 Depth=2
	v_lshlrev_b32_e32 v2, 2, v137
	ds_load_b32 v2, v2
	ds_load_b64 v[39:40], v36 offset:14336
	s_waitcnt lgkmcnt(1)
	v_add_nc_u32_e32 v2, v2, v54
	s_delay_alu instid0(VALU_DEP_1) | instskip(NEXT) | instid1(VALU_DEP_1)
	v_lshlrev_b64 v[41:42], 3, v[2:3]
	v_add_co_u32 v41, vcc_lo, s46, v41
	s_delay_alu instid0(VALU_DEP_2)
	v_add_co_ci_u32_e32 v42, vcc_lo, s47, v42, vcc_lo
	s_waitcnt lgkmcnt(0)
	global_store_b64 v[41:42], v[39:40], off
	s_or_b32 exec_lo, exec_lo, s17
	s_and_saveexec_b32 s17, s24
	s_cbranch_execnz .LBB2086_1173
.LBB2086_1188:                          ;   in Loop: Header=BB2086_990 Depth=2
	s_or_b32 exec_lo, exec_lo, s17
	s_and_saveexec_b32 s17, s25
	s_cbranch_execz .LBB2086_1174
.LBB2086_1189:                          ;   in Loop: Header=BB2086_990 Depth=2
	v_lshlrev_b32_e32 v2, 2, v135
	ds_load_b32 v2, v2
	ds_load_b64 v[39:40], v36 offset:18432
	s_waitcnt lgkmcnt(1)
	v_add_nc_u32_e32 v2, v2, v56
	s_delay_alu instid0(VALU_DEP_1) | instskip(NEXT) | instid1(VALU_DEP_1)
	v_lshlrev_b64 v[41:42], 3, v[2:3]
	v_add_co_u32 v41, vcc_lo, s46, v41
	s_delay_alu instid0(VALU_DEP_2)
	v_add_co_ci_u32_e32 v42, vcc_lo, s47, v42, vcc_lo
	s_waitcnt lgkmcnt(0)
	global_store_b64 v[41:42], v[39:40], off
	s_or_b32 exec_lo, exec_lo, s17
	s_and_saveexec_b32 s17, s26
	s_cbranch_execnz .LBB2086_1175
.LBB2086_1190:                          ;   in Loop: Header=BB2086_990 Depth=2
	s_or_b32 exec_lo, exec_lo, s17
	s_and_saveexec_b32 s17, s27
	s_cbranch_execz .LBB2086_1176
.LBB2086_1191:                          ;   in Loop: Header=BB2086_990 Depth=2
	v_lshlrev_b32_e32 v2, 2, v133
	ds_load_b32 v2, v2
	ds_load_b64 v[39:40], v36 offset:22528
	s_waitcnt lgkmcnt(1)
	v_add_nc_u32_e32 v2, v2, v58
	s_delay_alu instid0(VALU_DEP_1) | instskip(NEXT) | instid1(VALU_DEP_1)
	v_lshlrev_b64 v[41:42], 3, v[2:3]
	v_add_co_u32 v41, vcc_lo, s46, v41
	s_delay_alu instid0(VALU_DEP_2)
	v_add_co_ci_u32_e32 v42, vcc_lo, s47, v42, vcc_lo
	s_waitcnt lgkmcnt(0)
	global_store_b64 v[41:42], v[39:40], off
	s_or_b32 exec_lo, exec_lo, s17
	s_and_saveexec_b32 s17, s28
	s_cbranch_execnz .LBB2086_1177
.LBB2086_1192:                          ;   in Loop: Header=BB2086_990 Depth=2
	s_or_b32 exec_lo, exec_lo, s17
	s_and_saveexec_b32 s17, s29
	s_cbranch_execz .LBB2086_1178
.LBB2086_1193:                          ;   in Loop: Header=BB2086_990 Depth=2
	v_lshlrev_b32_e32 v2, 2, v131
	ds_load_b32 v2, v2
	ds_load_b64 v[39:40], v36 offset:26624
	s_waitcnt lgkmcnt(1)
	v_add_nc_u32_e32 v2, v2, v60
	s_delay_alu instid0(VALU_DEP_1) | instskip(NEXT) | instid1(VALU_DEP_1)
	v_lshlrev_b64 v[41:42], 3, v[2:3]
	v_add_co_u32 v41, vcc_lo, s46, v41
	s_delay_alu instid0(VALU_DEP_2)
	v_add_co_ci_u32_e32 v42, vcc_lo, s47, v42, vcc_lo
	s_waitcnt lgkmcnt(0)
	global_store_b64 v[41:42], v[39:40], off
	s_or_b32 exec_lo, exec_lo, s17
	s_and_saveexec_b32 s17, s30
	s_cbranch_execnz .LBB2086_1179
.LBB2086_1194:                          ;   in Loop: Header=BB2086_990 Depth=2
	s_or_b32 exec_lo, exec_lo, s17
	s_and_saveexec_b32 s17, s31
	s_cbranch_execz .LBB2086_1196
.LBB2086_1195:                          ;   in Loop: Header=BB2086_990 Depth=2
	v_lshlrev_b32_e32 v2, 2, v129
	ds_load_b32 v2, v2
	ds_load_b64 v[36:37], v36 offset:30720
	s_waitcnt lgkmcnt(1)
	v_add_nc_u32_e32 v2, v2, v63
	s_delay_alu instid0(VALU_DEP_1) | instskip(NEXT) | instid1(VALU_DEP_1)
	v_lshlrev_b64 v[39:40], 3, v[2:3]
	v_add_co_u32 v39, vcc_lo, s46, v39
	s_delay_alu instid0(VALU_DEP_2)
	v_add_co_ci_u32_e32 v40, vcc_lo, s47, v40, vcc_lo
	s_waitcnt lgkmcnt(0)
	global_store_b64 v[39:40], v[36:37], off
.LBB2086_1196:                          ;   in Loop: Header=BB2086_990 Depth=2
	s_or_b32 exec_lo, exec_lo, s17
	s_waitcnt_vscnt null, 0x0
	s_barrier
	buffer_gl0_inv
	s_and_saveexec_b32 s17, s2
	s_cbranch_execz .LBB2086_989
; %bb.1197:                             ;   in Loop: Header=BB2086_990 Depth=2
	ds_load_b32 v2, v44
	s_waitcnt lgkmcnt(0)
	v_add_nc_u32_e32 v2, v2, v38
	ds_store_b32 v44, v2
	s_branch .LBB2086_989
.LBB2086_1198:
	s_endpgm
	.section	.rodata,"a",@progbits
	.p2align	6, 0x0
	.amdhsa_kernel _ZN7rocprim17ROCPRIM_400000_NS6detail17trampoline_kernelINS0_14default_configENS1_36segmented_radix_sort_config_selectorI12hip_bfloat16lEEZNS1_25segmented_radix_sort_implIS3_Lb0EPKS5_PS5_PKlPlN2at6native12_GLOBAL__N_18offset_tEEE10hipError_tPvRmT1_PNSt15iterator_traitsISL_E10value_typeET2_T3_PNSM_ISR_E10value_typeET4_jRbjT5_SX_jjP12ihipStream_tbEUlT_E2_NS1_11comp_targetILNS1_3genE9ELNS1_11target_archE1100ELNS1_3gpuE3ELNS1_3repE0EEENS1_30default_config_static_selectorELNS0_4arch9wavefront6targetE0EEEvSL_
		.amdhsa_group_segment_fixed_size 33824
		.amdhsa_private_segment_fixed_size 220
		.amdhsa_kernarg_size 336
		.amdhsa_user_sgpr_count 14
		.amdhsa_user_sgpr_dispatch_ptr 0
		.amdhsa_user_sgpr_queue_ptr 0
		.amdhsa_user_sgpr_kernarg_segment_ptr 1
		.amdhsa_user_sgpr_dispatch_id 0
		.amdhsa_user_sgpr_private_segment_size 0
		.amdhsa_wavefront_size32 1
		.amdhsa_uses_dynamic_stack 0
		.amdhsa_enable_private_segment 1
		.amdhsa_system_sgpr_workgroup_id_x 1
		.amdhsa_system_sgpr_workgroup_id_y 1
		.amdhsa_system_sgpr_workgroup_id_z 0
		.amdhsa_system_sgpr_workgroup_info 0
		.amdhsa_system_vgpr_workitem_id 2
		.amdhsa_next_free_vgpr 248
		.amdhsa_next_free_sgpr 60
		.amdhsa_reserve_vcc 1
		.amdhsa_float_round_mode_32 0
		.amdhsa_float_round_mode_16_64 0
		.amdhsa_float_denorm_mode_32 3
		.amdhsa_float_denorm_mode_16_64 3
		.amdhsa_dx10_clamp 1
		.amdhsa_ieee_mode 1
		.amdhsa_fp16_overflow 0
		.amdhsa_workgroup_processor_mode 1
		.amdhsa_memory_ordered 1
		.amdhsa_forward_progress 0
		.amdhsa_shared_vgpr_count 0
		.amdhsa_exception_fp_ieee_invalid_op 0
		.amdhsa_exception_fp_denorm_src 0
		.amdhsa_exception_fp_ieee_div_zero 0
		.amdhsa_exception_fp_ieee_overflow 0
		.amdhsa_exception_fp_ieee_underflow 0
		.amdhsa_exception_fp_ieee_inexact 0
		.amdhsa_exception_int_div_zero 0
	.end_amdhsa_kernel
	.section	.text._ZN7rocprim17ROCPRIM_400000_NS6detail17trampoline_kernelINS0_14default_configENS1_36segmented_radix_sort_config_selectorI12hip_bfloat16lEEZNS1_25segmented_radix_sort_implIS3_Lb0EPKS5_PS5_PKlPlN2at6native12_GLOBAL__N_18offset_tEEE10hipError_tPvRmT1_PNSt15iterator_traitsISL_E10value_typeET2_T3_PNSM_ISR_E10value_typeET4_jRbjT5_SX_jjP12ihipStream_tbEUlT_E2_NS1_11comp_targetILNS1_3genE9ELNS1_11target_archE1100ELNS1_3gpuE3ELNS1_3repE0EEENS1_30default_config_static_selectorELNS0_4arch9wavefront6targetE0EEEvSL_,"axG",@progbits,_ZN7rocprim17ROCPRIM_400000_NS6detail17trampoline_kernelINS0_14default_configENS1_36segmented_radix_sort_config_selectorI12hip_bfloat16lEEZNS1_25segmented_radix_sort_implIS3_Lb0EPKS5_PS5_PKlPlN2at6native12_GLOBAL__N_18offset_tEEE10hipError_tPvRmT1_PNSt15iterator_traitsISL_E10value_typeET2_T3_PNSM_ISR_E10value_typeET4_jRbjT5_SX_jjP12ihipStream_tbEUlT_E2_NS1_11comp_targetILNS1_3genE9ELNS1_11target_archE1100ELNS1_3gpuE3ELNS1_3repE0EEENS1_30default_config_static_selectorELNS0_4arch9wavefront6targetE0EEEvSL_,comdat
.Lfunc_end2086:
	.size	_ZN7rocprim17ROCPRIM_400000_NS6detail17trampoline_kernelINS0_14default_configENS1_36segmented_radix_sort_config_selectorI12hip_bfloat16lEEZNS1_25segmented_radix_sort_implIS3_Lb0EPKS5_PS5_PKlPlN2at6native12_GLOBAL__N_18offset_tEEE10hipError_tPvRmT1_PNSt15iterator_traitsISL_E10value_typeET2_T3_PNSM_ISR_E10value_typeET4_jRbjT5_SX_jjP12ihipStream_tbEUlT_E2_NS1_11comp_targetILNS1_3genE9ELNS1_11target_archE1100ELNS1_3gpuE3ELNS1_3repE0EEENS1_30default_config_static_selectorELNS0_4arch9wavefront6targetE0EEEvSL_, .Lfunc_end2086-_ZN7rocprim17ROCPRIM_400000_NS6detail17trampoline_kernelINS0_14default_configENS1_36segmented_radix_sort_config_selectorI12hip_bfloat16lEEZNS1_25segmented_radix_sort_implIS3_Lb0EPKS5_PS5_PKlPlN2at6native12_GLOBAL__N_18offset_tEEE10hipError_tPvRmT1_PNSt15iterator_traitsISL_E10value_typeET2_T3_PNSM_ISR_E10value_typeET4_jRbjT5_SX_jjP12ihipStream_tbEUlT_E2_NS1_11comp_targetILNS1_3genE9ELNS1_11target_archE1100ELNS1_3gpuE3ELNS1_3repE0EEENS1_30default_config_static_selectorELNS0_4arch9wavefront6targetE0EEEvSL_
                                        ; -- End function
	.section	.AMDGPU.csdata,"",@progbits
; Kernel info:
; codeLenInByte = 80112
; NumSgprs: 62
; NumVgprs: 248
; ScratchSize: 220
; MemoryBound: 0
; FloatMode: 240
; IeeeMode: 1
; LDSByteSize: 33824 bytes/workgroup (compile time only)
; SGPRBlocks: 7
; VGPRBlocks: 30
; NumSGPRsForWavesPerEU: 62
; NumVGPRsForWavesPerEU: 248
; Occupancy: 5
; WaveLimiterHint : 1
; COMPUTE_PGM_RSRC2:SCRATCH_EN: 1
; COMPUTE_PGM_RSRC2:USER_SGPR: 14
; COMPUTE_PGM_RSRC2:TRAP_HANDLER: 0
; COMPUTE_PGM_RSRC2:TGID_X_EN: 1
; COMPUTE_PGM_RSRC2:TGID_Y_EN: 1
; COMPUTE_PGM_RSRC2:TGID_Z_EN: 0
; COMPUTE_PGM_RSRC2:TIDIG_COMP_CNT: 2
	.section	.text._ZN7rocprim17ROCPRIM_400000_NS6detail17trampoline_kernelINS0_14default_configENS1_36segmented_radix_sort_config_selectorI12hip_bfloat16lEEZNS1_25segmented_radix_sort_implIS3_Lb0EPKS5_PS5_PKlPlN2at6native12_GLOBAL__N_18offset_tEEE10hipError_tPvRmT1_PNSt15iterator_traitsISL_E10value_typeET2_T3_PNSM_ISR_E10value_typeET4_jRbjT5_SX_jjP12ihipStream_tbEUlT_E2_NS1_11comp_targetILNS1_3genE8ELNS1_11target_archE1030ELNS1_3gpuE2ELNS1_3repE0EEENS1_30default_config_static_selectorELNS0_4arch9wavefront6targetE0EEEvSL_,"axG",@progbits,_ZN7rocprim17ROCPRIM_400000_NS6detail17trampoline_kernelINS0_14default_configENS1_36segmented_radix_sort_config_selectorI12hip_bfloat16lEEZNS1_25segmented_radix_sort_implIS3_Lb0EPKS5_PS5_PKlPlN2at6native12_GLOBAL__N_18offset_tEEE10hipError_tPvRmT1_PNSt15iterator_traitsISL_E10value_typeET2_T3_PNSM_ISR_E10value_typeET4_jRbjT5_SX_jjP12ihipStream_tbEUlT_E2_NS1_11comp_targetILNS1_3genE8ELNS1_11target_archE1030ELNS1_3gpuE2ELNS1_3repE0EEENS1_30default_config_static_selectorELNS0_4arch9wavefront6targetE0EEEvSL_,comdat
	.globl	_ZN7rocprim17ROCPRIM_400000_NS6detail17trampoline_kernelINS0_14default_configENS1_36segmented_radix_sort_config_selectorI12hip_bfloat16lEEZNS1_25segmented_radix_sort_implIS3_Lb0EPKS5_PS5_PKlPlN2at6native12_GLOBAL__N_18offset_tEEE10hipError_tPvRmT1_PNSt15iterator_traitsISL_E10value_typeET2_T3_PNSM_ISR_E10value_typeET4_jRbjT5_SX_jjP12ihipStream_tbEUlT_E2_NS1_11comp_targetILNS1_3genE8ELNS1_11target_archE1030ELNS1_3gpuE2ELNS1_3repE0EEENS1_30default_config_static_selectorELNS0_4arch9wavefront6targetE0EEEvSL_ ; -- Begin function _ZN7rocprim17ROCPRIM_400000_NS6detail17trampoline_kernelINS0_14default_configENS1_36segmented_radix_sort_config_selectorI12hip_bfloat16lEEZNS1_25segmented_radix_sort_implIS3_Lb0EPKS5_PS5_PKlPlN2at6native12_GLOBAL__N_18offset_tEEE10hipError_tPvRmT1_PNSt15iterator_traitsISL_E10value_typeET2_T3_PNSM_ISR_E10value_typeET4_jRbjT5_SX_jjP12ihipStream_tbEUlT_E2_NS1_11comp_targetILNS1_3genE8ELNS1_11target_archE1030ELNS1_3gpuE2ELNS1_3repE0EEENS1_30default_config_static_selectorELNS0_4arch9wavefront6targetE0EEEvSL_
	.p2align	8
	.type	_ZN7rocprim17ROCPRIM_400000_NS6detail17trampoline_kernelINS0_14default_configENS1_36segmented_radix_sort_config_selectorI12hip_bfloat16lEEZNS1_25segmented_radix_sort_implIS3_Lb0EPKS5_PS5_PKlPlN2at6native12_GLOBAL__N_18offset_tEEE10hipError_tPvRmT1_PNSt15iterator_traitsISL_E10value_typeET2_T3_PNSM_ISR_E10value_typeET4_jRbjT5_SX_jjP12ihipStream_tbEUlT_E2_NS1_11comp_targetILNS1_3genE8ELNS1_11target_archE1030ELNS1_3gpuE2ELNS1_3repE0EEENS1_30default_config_static_selectorELNS0_4arch9wavefront6targetE0EEEvSL_,@function
_ZN7rocprim17ROCPRIM_400000_NS6detail17trampoline_kernelINS0_14default_configENS1_36segmented_radix_sort_config_selectorI12hip_bfloat16lEEZNS1_25segmented_radix_sort_implIS3_Lb0EPKS5_PS5_PKlPlN2at6native12_GLOBAL__N_18offset_tEEE10hipError_tPvRmT1_PNSt15iterator_traitsISL_E10value_typeET2_T3_PNSM_ISR_E10value_typeET4_jRbjT5_SX_jjP12ihipStream_tbEUlT_E2_NS1_11comp_targetILNS1_3genE8ELNS1_11target_archE1030ELNS1_3gpuE2ELNS1_3repE0EEENS1_30default_config_static_selectorELNS0_4arch9wavefront6targetE0EEEvSL_: ; @_ZN7rocprim17ROCPRIM_400000_NS6detail17trampoline_kernelINS0_14default_configENS1_36segmented_radix_sort_config_selectorI12hip_bfloat16lEEZNS1_25segmented_radix_sort_implIS3_Lb0EPKS5_PS5_PKlPlN2at6native12_GLOBAL__N_18offset_tEEE10hipError_tPvRmT1_PNSt15iterator_traitsISL_E10value_typeET2_T3_PNSM_ISR_E10value_typeET4_jRbjT5_SX_jjP12ihipStream_tbEUlT_E2_NS1_11comp_targetILNS1_3genE8ELNS1_11target_archE1030ELNS1_3gpuE2ELNS1_3repE0EEENS1_30default_config_static_selectorELNS0_4arch9wavefront6targetE0EEEvSL_
; %bb.0:
	.section	.rodata,"a",@progbits
	.p2align	6, 0x0
	.amdhsa_kernel _ZN7rocprim17ROCPRIM_400000_NS6detail17trampoline_kernelINS0_14default_configENS1_36segmented_radix_sort_config_selectorI12hip_bfloat16lEEZNS1_25segmented_radix_sort_implIS3_Lb0EPKS5_PS5_PKlPlN2at6native12_GLOBAL__N_18offset_tEEE10hipError_tPvRmT1_PNSt15iterator_traitsISL_E10value_typeET2_T3_PNSM_ISR_E10value_typeET4_jRbjT5_SX_jjP12ihipStream_tbEUlT_E2_NS1_11comp_targetILNS1_3genE8ELNS1_11target_archE1030ELNS1_3gpuE2ELNS1_3repE0EEENS1_30default_config_static_selectorELNS0_4arch9wavefront6targetE0EEEvSL_
		.amdhsa_group_segment_fixed_size 0
		.amdhsa_private_segment_fixed_size 0
		.amdhsa_kernarg_size 80
		.amdhsa_user_sgpr_count 15
		.amdhsa_user_sgpr_dispatch_ptr 0
		.amdhsa_user_sgpr_queue_ptr 0
		.amdhsa_user_sgpr_kernarg_segment_ptr 1
		.amdhsa_user_sgpr_dispatch_id 0
		.amdhsa_user_sgpr_private_segment_size 0
		.amdhsa_wavefront_size32 1
		.amdhsa_uses_dynamic_stack 0
		.amdhsa_enable_private_segment 0
		.amdhsa_system_sgpr_workgroup_id_x 1
		.amdhsa_system_sgpr_workgroup_id_y 0
		.amdhsa_system_sgpr_workgroup_id_z 0
		.amdhsa_system_sgpr_workgroup_info 0
		.amdhsa_system_vgpr_workitem_id 0
		.amdhsa_next_free_vgpr 1
		.amdhsa_next_free_sgpr 1
		.amdhsa_reserve_vcc 0
		.amdhsa_float_round_mode_32 0
		.amdhsa_float_round_mode_16_64 0
		.amdhsa_float_denorm_mode_32 3
		.amdhsa_float_denorm_mode_16_64 3
		.amdhsa_dx10_clamp 1
		.amdhsa_ieee_mode 1
		.amdhsa_fp16_overflow 0
		.amdhsa_workgroup_processor_mode 1
		.amdhsa_memory_ordered 1
		.amdhsa_forward_progress 0
		.amdhsa_shared_vgpr_count 0
		.amdhsa_exception_fp_ieee_invalid_op 0
		.amdhsa_exception_fp_denorm_src 0
		.amdhsa_exception_fp_ieee_div_zero 0
		.amdhsa_exception_fp_ieee_overflow 0
		.amdhsa_exception_fp_ieee_underflow 0
		.amdhsa_exception_fp_ieee_inexact 0
		.amdhsa_exception_int_div_zero 0
	.end_amdhsa_kernel
	.section	.text._ZN7rocprim17ROCPRIM_400000_NS6detail17trampoline_kernelINS0_14default_configENS1_36segmented_radix_sort_config_selectorI12hip_bfloat16lEEZNS1_25segmented_radix_sort_implIS3_Lb0EPKS5_PS5_PKlPlN2at6native12_GLOBAL__N_18offset_tEEE10hipError_tPvRmT1_PNSt15iterator_traitsISL_E10value_typeET2_T3_PNSM_ISR_E10value_typeET4_jRbjT5_SX_jjP12ihipStream_tbEUlT_E2_NS1_11comp_targetILNS1_3genE8ELNS1_11target_archE1030ELNS1_3gpuE2ELNS1_3repE0EEENS1_30default_config_static_selectorELNS0_4arch9wavefront6targetE0EEEvSL_,"axG",@progbits,_ZN7rocprim17ROCPRIM_400000_NS6detail17trampoline_kernelINS0_14default_configENS1_36segmented_radix_sort_config_selectorI12hip_bfloat16lEEZNS1_25segmented_radix_sort_implIS3_Lb0EPKS5_PS5_PKlPlN2at6native12_GLOBAL__N_18offset_tEEE10hipError_tPvRmT1_PNSt15iterator_traitsISL_E10value_typeET2_T3_PNSM_ISR_E10value_typeET4_jRbjT5_SX_jjP12ihipStream_tbEUlT_E2_NS1_11comp_targetILNS1_3genE8ELNS1_11target_archE1030ELNS1_3gpuE2ELNS1_3repE0EEENS1_30default_config_static_selectorELNS0_4arch9wavefront6targetE0EEEvSL_,comdat
.Lfunc_end2087:
	.size	_ZN7rocprim17ROCPRIM_400000_NS6detail17trampoline_kernelINS0_14default_configENS1_36segmented_radix_sort_config_selectorI12hip_bfloat16lEEZNS1_25segmented_radix_sort_implIS3_Lb0EPKS5_PS5_PKlPlN2at6native12_GLOBAL__N_18offset_tEEE10hipError_tPvRmT1_PNSt15iterator_traitsISL_E10value_typeET2_T3_PNSM_ISR_E10value_typeET4_jRbjT5_SX_jjP12ihipStream_tbEUlT_E2_NS1_11comp_targetILNS1_3genE8ELNS1_11target_archE1030ELNS1_3gpuE2ELNS1_3repE0EEENS1_30default_config_static_selectorELNS0_4arch9wavefront6targetE0EEEvSL_, .Lfunc_end2087-_ZN7rocprim17ROCPRIM_400000_NS6detail17trampoline_kernelINS0_14default_configENS1_36segmented_radix_sort_config_selectorI12hip_bfloat16lEEZNS1_25segmented_radix_sort_implIS3_Lb0EPKS5_PS5_PKlPlN2at6native12_GLOBAL__N_18offset_tEEE10hipError_tPvRmT1_PNSt15iterator_traitsISL_E10value_typeET2_T3_PNSM_ISR_E10value_typeET4_jRbjT5_SX_jjP12ihipStream_tbEUlT_E2_NS1_11comp_targetILNS1_3genE8ELNS1_11target_archE1030ELNS1_3gpuE2ELNS1_3repE0EEENS1_30default_config_static_selectorELNS0_4arch9wavefront6targetE0EEEvSL_
                                        ; -- End function
	.section	.AMDGPU.csdata,"",@progbits
; Kernel info:
; codeLenInByte = 0
; NumSgprs: 0
; NumVgprs: 0
; ScratchSize: 0
; MemoryBound: 0
; FloatMode: 240
; IeeeMode: 1
; LDSByteSize: 0 bytes/workgroup (compile time only)
; SGPRBlocks: 0
; VGPRBlocks: 0
; NumSGPRsForWavesPerEU: 1
; NumVGPRsForWavesPerEU: 1
; Occupancy: 16
; WaveLimiterHint : 0
; COMPUTE_PGM_RSRC2:SCRATCH_EN: 0
; COMPUTE_PGM_RSRC2:USER_SGPR: 15
; COMPUTE_PGM_RSRC2:TRAP_HANDLER: 0
; COMPUTE_PGM_RSRC2:TGID_X_EN: 1
; COMPUTE_PGM_RSRC2:TGID_Y_EN: 0
; COMPUTE_PGM_RSRC2:TGID_Z_EN: 0
; COMPUTE_PGM_RSRC2:TIDIG_COMP_CNT: 0
	.text
	.p2alignl 7, 3214868480
	.fill 96, 4, 3214868480
	.protected	_ZN7rocprim17ROCPRIM_400000_NS16block_radix_sortIhLj256ELj1ElLj1ELj1ELj8ELNS0_26block_radix_rank_algorithmE2ELNS0_18block_padding_hintE2ELNS0_4arch9wavefront6targetE0EE19radix_bits_per_passE ; @_ZN7rocprim17ROCPRIM_400000_NS16block_radix_sortIhLj256ELj1ElLj1ELj1ELj8ELNS0_26block_radix_rank_algorithmE2ELNS0_18block_padding_hintE2ELNS0_4arch9wavefront6targetE0EE19radix_bits_per_passE
	.type	_ZN7rocprim17ROCPRIM_400000_NS16block_radix_sortIhLj256ELj1ElLj1ELj1ELj8ELNS0_26block_radix_rank_algorithmE2ELNS0_18block_padding_hintE2ELNS0_4arch9wavefront6targetE0EE19radix_bits_per_passE,@object
	.section	.rodata._ZN7rocprim17ROCPRIM_400000_NS16block_radix_sortIhLj256ELj1ElLj1ELj1ELj8ELNS0_26block_radix_rank_algorithmE2ELNS0_18block_padding_hintE2ELNS0_4arch9wavefront6targetE0EE19radix_bits_per_passE,"aG",@progbits,_ZN7rocprim17ROCPRIM_400000_NS16block_radix_sortIhLj256ELj1ElLj1ELj1ELj8ELNS0_26block_radix_rank_algorithmE2ELNS0_18block_padding_hintE2ELNS0_4arch9wavefront6targetE0EE19radix_bits_per_passE,comdat
	.weak	_ZN7rocprim17ROCPRIM_400000_NS16block_radix_sortIhLj256ELj1ElLj1ELj1ELj8ELNS0_26block_radix_rank_algorithmE2ELNS0_18block_padding_hintE2ELNS0_4arch9wavefront6targetE0EE19radix_bits_per_passE
	.p2align	2, 0x0
_ZN7rocprim17ROCPRIM_400000_NS16block_radix_sortIhLj256ELj1ElLj1ELj1ELj8ELNS0_26block_radix_rank_algorithmE2ELNS0_18block_padding_hintE2ELNS0_4arch9wavefront6targetE0EE19radix_bits_per_passE:
	.long	8                               ; 0x8
	.size	_ZN7rocprim17ROCPRIM_400000_NS16block_radix_sortIhLj256ELj1ElLj1ELj1ELj8ELNS0_26block_radix_rank_algorithmE2ELNS0_18block_padding_hintE2ELNS0_4arch9wavefront6targetE0EE19radix_bits_per_passE, 4

	.protected	_ZN7rocprim17ROCPRIM_400000_NS16block_radix_sortIhLj256ELj2ElLj1ELj1ELj8ELNS0_26block_radix_rank_algorithmE2ELNS0_18block_padding_hintE2ELNS0_4arch9wavefront6targetE0EE19radix_bits_per_passE ; @_ZN7rocprim17ROCPRIM_400000_NS16block_radix_sortIhLj256ELj2ElLj1ELj1ELj8ELNS0_26block_radix_rank_algorithmE2ELNS0_18block_padding_hintE2ELNS0_4arch9wavefront6targetE0EE19radix_bits_per_passE
	.type	_ZN7rocprim17ROCPRIM_400000_NS16block_radix_sortIhLj256ELj2ElLj1ELj1ELj8ELNS0_26block_radix_rank_algorithmE2ELNS0_18block_padding_hintE2ELNS0_4arch9wavefront6targetE0EE19radix_bits_per_passE,@object
	.section	.rodata._ZN7rocprim17ROCPRIM_400000_NS16block_radix_sortIhLj256ELj2ElLj1ELj1ELj8ELNS0_26block_radix_rank_algorithmE2ELNS0_18block_padding_hintE2ELNS0_4arch9wavefront6targetE0EE19radix_bits_per_passE,"aG",@progbits,_ZN7rocprim17ROCPRIM_400000_NS16block_radix_sortIhLj256ELj2ElLj1ELj1ELj8ELNS0_26block_radix_rank_algorithmE2ELNS0_18block_padding_hintE2ELNS0_4arch9wavefront6targetE0EE19radix_bits_per_passE,comdat
	.weak	_ZN7rocprim17ROCPRIM_400000_NS16block_radix_sortIhLj256ELj2ElLj1ELj1ELj8ELNS0_26block_radix_rank_algorithmE2ELNS0_18block_padding_hintE2ELNS0_4arch9wavefront6targetE0EE19radix_bits_per_passE
	.p2align	2, 0x0
_ZN7rocprim17ROCPRIM_400000_NS16block_radix_sortIhLj256ELj2ElLj1ELj1ELj8ELNS0_26block_radix_rank_algorithmE2ELNS0_18block_padding_hintE2ELNS0_4arch9wavefront6targetE0EE19radix_bits_per_passE:
	.long	8                               ; 0x8
	.size	_ZN7rocprim17ROCPRIM_400000_NS16block_radix_sortIhLj256ELj2ElLj1ELj1ELj8ELNS0_26block_radix_rank_algorithmE2ELNS0_18block_padding_hintE2ELNS0_4arch9wavefront6targetE0EE19radix_bits_per_passE, 4

	.protected	_ZN7rocprim17ROCPRIM_400000_NS16block_radix_sortIhLj256ELj4ElLj1ELj1ELj8ELNS0_26block_radix_rank_algorithmE2ELNS0_18block_padding_hintE2ELNS0_4arch9wavefront6targetE0EE19radix_bits_per_passE ; @_ZN7rocprim17ROCPRIM_400000_NS16block_radix_sortIhLj256ELj4ElLj1ELj1ELj8ELNS0_26block_radix_rank_algorithmE2ELNS0_18block_padding_hintE2ELNS0_4arch9wavefront6targetE0EE19radix_bits_per_passE
	.type	_ZN7rocprim17ROCPRIM_400000_NS16block_radix_sortIhLj256ELj4ElLj1ELj1ELj8ELNS0_26block_radix_rank_algorithmE2ELNS0_18block_padding_hintE2ELNS0_4arch9wavefront6targetE0EE19radix_bits_per_passE,@object
	.section	.rodata._ZN7rocprim17ROCPRIM_400000_NS16block_radix_sortIhLj256ELj4ElLj1ELj1ELj8ELNS0_26block_radix_rank_algorithmE2ELNS0_18block_padding_hintE2ELNS0_4arch9wavefront6targetE0EE19radix_bits_per_passE,"aG",@progbits,_ZN7rocprim17ROCPRIM_400000_NS16block_radix_sortIhLj256ELj4ElLj1ELj1ELj8ELNS0_26block_radix_rank_algorithmE2ELNS0_18block_padding_hintE2ELNS0_4arch9wavefront6targetE0EE19radix_bits_per_passE,comdat
	.weak	_ZN7rocprim17ROCPRIM_400000_NS16block_radix_sortIhLj256ELj4ElLj1ELj1ELj8ELNS0_26block_radix_rank_algorithmE2ELNS0_18block_padding_hintE2ELNS0_4arch9wavefront6targetE0EE19radix_bits_per_passE
	.p2align	2, 0x0
_ZN7rocprim17ROCPRIM_400000_NS16block_radix_sortIhLj256ELj4ElLj1ELj1ELj8ELNS0_26block_radix_rank_algorithmE2ELNS0_18block_padding_hintE2ELNS0_4arch9wavefront6targetE0EE19radix_bits_per_passE:
	.long	8                               ; 0x8
	.size	_ZN7rocprim17ROCPRIM_400000_NS16block_radix_sortIhLj256ELj4ElLj1ELj1ELj8ELNS0_26block_radix_rank_algorithmE2ELNS0_18block_padding_hintE2ELNS0_4arch9wavefront6targetE0EE19radix_bits_per_passE, 4

	.protected	_ZN7rocprim17ROCPRIM_400000_NS16block_radix_sortIhLj256ELj8ElLj1ELj1ELj8ELNS0_26block_radix_rank_algorithmE2ELNS0_18block_padding_hintE2ELNS0_4arch9wavefront6targetE0EE19radix_bits_per_passE ; @_ZN7rocprim17ROCPRIM_400000_NS16block_radix_sortIhLj256ELj8ElLj1ELj1ELj8ELNS0_26block_radix_rank_algorithmE2ELNS0_18block_padding_hintE2ELNS0_4arch9wavefront6targetE0EE19radix_bits_per_passE
	.type	_ZN7rocprim17ROCPRIM_400000_NS16block_radix_sortIhLj256ELj8ElLj1ELj1ELj8ELNS0_26block_radix_rank_algorithmE2ELNS0_18block_padding_hintE2ELNS0_4arch9wavefront6targetE0EE19radix_bits_per_passE,@object
	.section	.rodata._ZN7rocprim17ROCPRIM_400000_NS16block_radix_sortIhLj256ELj8ElLj1ELj1ELj8ELNS0_26block_radix_rank_algorithmE2ELNS0_18block_padding_hintE2ELNS0_4arch9wavefront6targetE0EE19radix_bits_per_passE,"aG",@progbits,_ZN7rocprim17ROCPRIM_400000_NS16block_radix_sortIhLj256ELj8ElLj1ELj1ELj8ELNS0_26block_radix_rank_algorithmE2ELNS0_18block_padding_hintE2ELNS0_4arch9wavefront6targetE0EE19radix_bits_per_passE,comdat
	.weak	_ZN7rocprim17ROCPRIM_400000_NS16block_radix_sortIhLj256ELj8ElLj1ELj1ELj8ELNS0_26block_radix_rank_algorithmE2ELNS0_18block_padding_hintE2ELNS0_4arch9wavefront6targetE0EE19radix_bits_per_passE
	.p2align	2, 0x0
_ZN7rocprim17ROCPRIM_400000_NS16block_radix_sortIhLj256ELj8ElLj1ELj1ELj8ELNS0_26block_radix_rank_algorithmE2ELNS0_18block_padding_hintE2ELNS0_4arch9wavefront6targetE0EE19radix_bits_per_passE:
	.long	8                               ; 0x8
	.size	_ZN7rocprim17ROCPRIM_400000_NS16block_radix_sortIhLj256ELj8ElLj1ELj1ELj8ELNS0_26block_radix_rank_algorithmE2ELNS0_18block_padding_hintE2ELNS0_4arch9wavefront6targetE0EE19radix_bits_per_passE, 4

	.protected	_ZN7rocprim17ROCPRIM_400000_NS16block_radix_sortIaLj256ELj1ElLj1ELj1ELj8ELNS0_26block_radix_rank_algorithmE2ELNS0_18block_padding_hintE2ELNS0_4arch9wavefront6targetE0EE19radix_bits_per_passE ; @_ZN7rocprim17ROCPRIM_400000_NS16block_radix_sortIaLj256ELj1ElLj1ELj1ELj8ELNS0_26block_radix_rank_algorithmE2ELNS0_18block_padding_hintE2ELNS0_4arch9wavefront6targetE0EE19radix_bits_per_passE
	.type	_ZN7rocprim17ROCPRIM_400000_NS16block_radix_sortIaLj256ELj1ElLj1ELj1ELj8ELNS0_26block_radix_rank_algorithmE2ELNS0_18block_padding_hintE2ELNS0_4arch9wavefront6targetE0EE19radix_bits_per_passE,@object
	.section	.rodata._ZN7rocprim17ROCPRIM_400000_NS16block_radix_sortIaLj256ELj1ElLj1ELj1ELj8ELNS0_26block_radix_rank_algorithmE2ELNS0_18block_padding_hintE2ELNS0_4arch9wavefront6targetE0EE19radix_bits_per_passE,"aG",@progbits,_ZN7rocprim17ROCPRIM_400000_NS16block_radix_sortIaLj256ELj1ElLj1ELj1ELj8ELNS0_26block_radix_rank_algorithmE2ELNS0_18block_padding_hintE2ELNS0_4arch9wavefront6targetE0EE19radix_bits_per_passE,comdat
	.weak	_ZN7rocprim17ROCPRIM_400000_NS16block_radix_sortIaLj256ELj1ElLj1ELj1ELj8ELNS0_26block_radix_rank_algorithmE2ELNS0_18block_padding_hintE2ELNS0_4arch9wavefront6targetE0EE19radix_bits_per_passE
	.p2align	2, 0x0
_ZN7rocprim17ROCPRIM_400000_NS16block_radix_sortIaLj256ELj1ElLj1ELj1ELj8ELNS0_26block_radix_rank_algorithmE2ELNS0_18block_padding_hintE2ELNS0_4arch9wavefront6targetE0EE19radix_bits_per_passE:
	.long	8                               ; 0x8
	.size	_ZN7rocprim17ROCPRIM_400000_NS16block_radix_sortIaLj256ELj1ElLj1ELj1ELj8ELNS0_26block_radix_rank_algorithmE2ELNS0_18block_padding_hintE2ELNS0_4arch9wavefront6targetE0EE19radix_bits_per_passE, 4

	.protected	_ZN7rocprim17ROCPRIM_400000_NS16block_radix_sortIaLj256ELj2ElLj1ELj1ELj8ELNS0_26block_radix_rank_algorithmE2ELNS0_18block_padding_hintE2ELNS0_4arch9wavefront6targetE0EE19radix_bits_per_passE ; @_ZN7rocprim17ROCPRIM_400000_NS16block_radix_sortIaLj256ELj2ElLj1ELj1ELj8ELNS0_26block_radix_rank_algorithmE2ELNS0_18block_padding_hintE2ELNS0_4arch9wavefront6targetE0EE19radix_bits_per_passE
	.type	_ZN7rocprim17ROCPRIM_400000_NS16block_radix_sortIaLj256ELj2ElLj1ELj1ELj8ELNS0_26block_radix_rank_algorithmE2ELNS0_18block_padding_hintE2ELNS0_4arch9wavefront6targetE0EE19radix_bits_per_passE,@object
	.section	.rodata._ZN7rocprim17ROCPRIM_400000_NS16block_radix_sortIaLj256ELj2ElLj1ELj1ELj8ELNS0_26block_radix_rank_algorithmE2ELNS0_18block_padding_hintE2ELNS0_4arch9wavefront6targetE0EE19radix_bits_per_passE,"aG",@progbits,_ZN7rocprim17ROCPRIM_400000_NS16block_radix_sortIaLj256ELj2ElLj1ELj1ELj8ELNS0_26block_radix_rank_algorithmE2ELNS0_18block_padding_hintE2ELNS0_4arch9wavefront6targetE0EE19radix_bits_per_passE,comdat
	.weak	_ZN7rocprim17ROCPRIM_400000_NS16block_radix_sortIaLj256ELj2ElLj1ELj1ELj8ELNS0_26block_radix_rank_algorithmE2ELNS0_18block_padding_hintE2ELNS0_4arch9wavefront6targetE0EE19radix_bits_per_passE
	.p2align	2, 0x0
_ZN7rocprim17ROCPRIM_400000_NS16block_radix_sortIaLj256ELj2ElLj1ELj1ELj8ELNS0_26block_radix_rank_algorithmE2ELNS0_18block_padding_hintE2ELNS0_4arch9wavefront6targetE0EE19radix_bits_per_passE:
	.long	8                               ; 0x8
	.size	_ZN7rocprim17ROCPRIM_400000_NS16block_radix_sortIaLj256ELj2ElLj1ELj1ELj8ELNS0_26block_radix_rank_algorithmE2ELNS0_18block_padding_hintE2ELNS0_4arch9wavefront6targetE0EE19radix_bits_per_passE, 4

	.protected	_ZN7rocprim17ROCPRIM_400000_NS16block_radix_sortIaLj256ELj4ElLj1ELj1ELj8ELNS0_26block_radix_rank_algorithmE2ELNS0_18block_padding_hintE2ELNS0_4arch9wavefront6targetE0EE19radix_bits_per_passE ; @_ZN7rocprim17ROCPRIM_400000_NS16block_radix_sortIaLj256ELj4ElLj1ELj1ELj8ELNS0_26block_radix_rank_algorithmE2ELNS0_18block_padding_hintE2ELNS0_4arch9wavefront6targetE0EE19radix_bits_per_passE
	.type	_ZN7rocprim17ROCPRIM_400000_NS16block_radix_sortIaLj256ELj4ElLj1ELj1ELj8ELNS0_26block_radix_rank_algorithmE2ELNS0_18block_padding_hintE2ELNS0_4arch9wavefront6targetE0EE19radix_bits_per_passE,@object
	.section	.rodata._ZN7rocprim17ROCPRIM_400000_NS16block_radix_sortIaLj256ELj4ElLj1ELj1ELj8ELNS0_26block_radix_rank_algorithmE2ELNS0_18block_padding_hintE2ELNS0_4arch9wavefront6targetE0EE19radix_bits_per_passE,"aG",@progbits,_ZN7rocprim17ROCPRIM_400000_NS16block_radix_sortIaLj256ELj4ElLj1ELj1ELj8ELNS0_26block_radix_rank_algorithmE2ELNS0_18block_padding_hintE2ELNS0_4arch9wavefront6targetE0EE19radix_bits_per_passE,comdat
	.weak	_ZN7rocprim17ROCPRIM_400000_NS16block_radix_sortIaLj256ELj4ElLj1ELj1ELj8ELNS0_26block_radix_rank_algorithmE2ELNS0_18block_padding_hintE2ELNS0_4arch9wavefront6targetE0EE19radix_bits_per_passE
	.p2align	2, 0x0
_ZN7rocprim17ROCPRIM_400000_NS16block_radix_sortIaLj256ELj4ElLj1ELj1ELj8ELNS0_26block_radix_rank_algorithmE2ELNS0_18block_padding_hintE2ELNS0_4arch9wavefront6targetE0EE19radix_bits_per_passE:
	.long	8                               ; 0x8
	.size	_ZN7rocprim17ROCPRIM_400000_NS16block_radix_sortIaLj256ELj4ElLj1ELj1ELj8ELNS0_26block_radix_rank_algorithmE2ELNS0_18block_padding_hintE2ELNS0_4arch9wavefront6targetE0EE19radix_bits_per_passE, 4

	.protected	_ZN7rocprim17ROCPRIM_400000_NS16block_radix_sortIaLj256ELj8ElLj1ELj1ELj8ELNS0_26block_radix_rank_algorithmE2ELNS0_18block_padding_hintE2ELNS0_4arch9wavefront6targetE0EE19radix_bits_per_passE ; @_ZN7rocprim17ROCPRIM_400000_NS16block_radix_sortIaLj256ELj8ElLj1ELj1ELj8ELNS0_26block_radix_rank_algorithmE2ELNS0_18block_padding_hintE2ELNS0_4arch9wavefront6targetE0EE19radix_bits_per_passE
	.type	_ZN7rocprim17ROCPRIM_400000_NS16block_radix_sortIaLj256ELj8ElLj1ELj1ELj8ELNS0_26block_radix_rank_algorithmE2ELNS0_18block_padding_hintE2ELNS0_4arch9wavefront6targetE0EE19radix_bits_per_passE,@object
	.section	.rodata._ZN7rocprim17ROCPRIM_400000_NS16block_radix_sortIaLj256ELj8ElLj1ELj1ELj8ELNS0_26block_radix_rank_algorithmE2ELNS0_18block_padding_hintE2ELNS0_4arch9wavefront6targetE0EE19radix_bits_per_passE,"aG",@progbits,_ZN7rocprim17ROCPRIM_400000_NS16block_radix_sortIaLj256ELj8ElLj1ELj1ELj8ELNS0_26block_radix_rank_algorithmE2ELNS0_18block_padding_hintE2ELNS0_4arch9wavefront6targetE0EE19radix_bits_per_passE,comdat
	.weak	_ZN7rocprim17ROCPRIM_400000_NS16block_radix_sortIaLj256ELj8ElLj1ELj1ELj8ELNS0_26block_radix_rank_algorithmE2ELNS0_18block_padding_hintE2ELNS0_4arch9wavefront6targetE0EE19radix_bits_per_passE
	.p2align	2, 0x0
_ZN7rocprim17ROCPRIM_400000_NS16block_radix_sortIaLj256ELj8ElLj1ELj1ELj8ELNS0_26block_radix_rank_algorithmE2ELNS0_18block_padding_hintE2ELNS0_4arch9wavefront6targetE0EE19radix_bits_per_passE:
	.long	8                               ; 0x8
	.size	_ZN7rocprim17ROCPRIM_400000_NS16block_radix_sortIaLj256ELj8ElLj1ELj1ELj8ELNS0_26block_radix_rank_algorithmE2ELNS0_18block_padding_hintE2ELNS0_4arch9wavefront6targetE0EE19radix_bits_per_passE, 4

	.protected	_ZN7rocprim17ROCPRIM_400000_NS16block_radix_sortIiLj256ELj1ElLj1ELj1ELj8ELNS0_26block_radix_rank_algorithmE2ELNS0_18block_padding_hintE2ELNS0_4arch9wavefront6targetE0EE19radix_bits_per_passE ; @_ZN7rocprim17ROCPRIM_400000_NS16block_radix_sortIiLj256ELj1ElLj1ELj1ELj8ELNS0_26block_radix_rank_algorithmE2ELNS0_18block_padding_hintE2ELNS0_4arch9wavefront6targetE0EE19radix_bits_per_passE
	.type	_ZN7rocprim17ROCPRIM_400000_NS16block_radix_sortIiLj256ELj1ElLj1ELj1ELj8ELNS0_26block_radix_rank_algorithmE2ELNS0_18block_padding_hintE2ELNS0_4arch9wavefront6targetE0EE19radix_bits_per_passE,@object
	.section	.rodata._ZN7rocprim17ROCPRIM_400000_NS16block_radix_sortIiLj256ELj1ElLj1ELj1ELj8ELNS0_26block_radix_rank_algorithmE2ELNS0_18block_padding_hintE2ELNS0_4arch9wavefront6targetE0EE19radix_bits_per_passE,"aG",@progbits,_ZN7rocprim17ROCPRIM_400000_NS16block_radix_sortIiLj256ELj1ElLj1ELj1ELj8ELNS0_26block_radix_rank_algorithmE2ELNS0_18block_padding_hintE2ELNS0_4arch9wavefront6targetE0EE19radix_bits_per_passE,comdat
	.weak	_ZN7rocprim17ROCPRIM_400000_NS16block_radix_sortIiLj256ELj1ElLj1ELj1ELj8ELNS0_26block_radix_rank_algorithmE2ELNS0_18block_padding_hintE2ELNS0_4arch9wavefront6targetE0EE19radix_bits_per_passE
	.p2align	2, 0x0
_ZN7rocprim17ROCPRIM_400000_NS16block_radix_sortIiLj256ELj1ElLj1ELj1ELj8ELNS0_26block_radix_rank_algorithmE2ELNS0_18block_padding_hintE2ELNS0_4arch9wavefront6targetE0EE19radix_bits_per_passE:
	.long	8                               ; 0x8
	.size	_ZN7rocprim17ROCPRIM_400000_NS16block_radix_sortIiLj256ELj1ElLj1ELj1ELj8ELNS0_26block_radix_rank_algorithmE2ELNS0_18block_padding_hintE2ELNS0_4arch9wavefront6targetE0EE19radix_bits_per_passE, 4

	.protected	_ZN7rocprim17ROCPRIM_400000_NS16block_radix_sortIiLj256ELj2ElLj1ELj1ELj8ELNS0_26block_radix_rank_algorithmE2ELNS0_18block_padding_hintE2ELNS0_4arch9wavefront6targetE0EE19radix_bits_per_passE ; @_ZN7rocprim17ROCPRIM_400000_NS16block_radix_sortIiLj256ELj2ElLj1ELj1ELj8ELNS0_26block_radix_rank_algorithmE2ELNS0_18block_padding_hintE2ELNS0_4arch9wavefront6targetE0EE19radix_bits_per_passE
	.type	_ZN7rocprim17ROCPRIM_400000_NS16block_radix_sortIiLj256ELj2ElLj1ELj1ELj8ELNS0_26block_radix_rank_algorithmE2ELNS0_18block_padding_hintE2ELNS0_4arch9wavefront6targetE0EE19radix_bits_per_passE,@object
	.section	.rodata._ZN7rocprim17ROCPRIM_400000_NS16block_radix_sortIiLj256ELj2ElLj1ELj1ELj8ELNS0_26block_radix_rank_algorithmE2ELNS0_18block_padding_hintE2ELNS0_4arch9wavefront6targetE0EE19radix_bits_per_passE,"aG",@progbits,_ZN7rocprim17ROCPRIM_400000_NS16block_radix_sortIiLj256ELj2ElLj1ELj1ELj8ELNS0_26block_radix_rank_algorithmE2ELNS0_18block_padding_hintE2ELNS0_4arch9wavefront6targetE0EE19radix_bits_per_passE,comdat
	.weak	_ZN7rocprim17ROCPRIM_400000_NS16block_radix_sortIiLj256ELj2ElLj1ELj1ELj8ELNS0_26block_radix_rank_algorithmE2ELNS0_18block_padding_hintE2ELNS0_4arch9wavefront6targetE0EE19radix_bits_per_passE
	.p2align	2, 0x0
_ZN7rocprim17ROCPRIM_400000_NS16block_radix_sortIiLj256ELj2ElLj1ELj1ELj8ELNS0_26block_radix_rank_algorithmE2ELNS0_18block_padding_hintE2ELNS0_4arch9wavefront6targetE0EE19radix_bits_per_passE:
	.long	8                               ; 0x8
	.size	_ZN7rocprim17ROCPRIM_400000_NS16block_radix_sortIiLj256ELj2ElLj1ELj1ELj8ELNS0_26block_radix_rank_algorithmE2ELNS0_18block_padding_hintE2ELNS0_4arch9wavefront6targetE0EE19radix_bits_per_passE, 4

	.protected	_ZN7rocprim17ROCPRIM_400000_NS16block_radix_sortIiLj256ELj4ElLj1ELj1ELj8ELNS0_26block_radix_rank_algorithmE2ELNS0_18block_padding_hintE2ELNS0_4arch9wavefront6targetE0EE19radix_bits_per_passE ; @_ZN7rocprim17ROCPRIM_400000_NS16block_radix_sortIiLj256ELj4ElLj1ELj1ELj8ELNS0_26block_radix_rank_algorithmE2ELNS0_18block_padding_hintE2ELNS0_4arch9wavefront6targetE0EE19radix_bits_per_passE
	.type	_ZN7rocprim17ROCPRIM_400000_NS16block_radix_sortIiLj256ELj4ElLj1ELj1ELj8ELNS0_26block_radix_rank_algorithmE2ELNS0_18block_padding_hintE2ELNS0_4arch9wavefront6targetE0EE19radix_bits_per_passE,@object
	.section	.rodata._ZN7rocprim17ROCPRIM_400000_NS16block_radix_sortIiLj256ELj4ElLj1ELj1ELj8ELNS0_26block_radix_rank_algorithmE2ELNS0_18block_padding_hintE2ELNS0_4arch9wavefront6targetE0EE19radix_bits_per_passE,"aG",@progbits,_ZN7rocprim17ROCPRIM_400000_NS16block_radix_sortIiLj256ELj4ElLj1ELj1ELj8ELNS0_26block_radix_rank_algorithmE2ELNS0_18block_padding_hintE2ELNS0_4arch9wavefront6targetE0EE19radix_bits_per_passE,comdat
	.weak	_ZN7rocprim17ROCPRIM_400000_NS16block_radix_sortIiLj256ELj4ElLj1ELj1ELj8ELNS0_26block_radix_rank_algorithmE2ELNS0_18block_padding_hintE2ELNS0_4arch9wavefront6targetE0EE19radix_bits_per_passE
	.p2align	2, 0x0
_ZN7rocprim17ROCPRIM_400000_NS16block_radix_sortIiLj256ELj4ElLj1ELj1ELj8ELNS0_26block_radix_rank_algorithmE2ELNS0_18block_padding_hintE2ELNS0_4arch9wavefront6targetE0EE19radix_bits_per_passE:
	.long	8                               ; 0x8
	.size	_ZN7rocprim17ROCPRIM_400000_NS16block_radix_sortIiLj256ELj4ElLj1ELj1ELj8ELNS0_26block_radix_rank_algorithmE2ELNS0_18block_padding_hintE2ELNS0_4arch9wavefront6targetE0EE19radix_bits_per_passE, 4

	.protected	_ZN7rocprim17ROCPRIM_400000_NS16block_radix_sortIiLj256ELj8ElLj1ELj1ELj8ELNS0_26block_radix_rank_algorithmE2ELNS0_18block_padding_hintE2ELNS0_4arch9wavefront6targetE0EE19radix_bits_per_passE ; @_ZN7rocprim17ROCPRIM_400000_NS16block_radix_sortIiLj256ELj8ElLj1ELj1ELj8ELNS0_26block_radix_rank_algorithmE2ELNS0_18block_padding_hintE2ELNS0_4arch9wavefront6targetE0EE19radix_bits_per_passE
	.type	_ZN7rocprim17ROCPRIM_400000_NS16block_radix_sortIiLj256ELj8ElLj1ELj1ELj8ELNS0_26block_radix_rank_algorithmE2ELNS0_18block_padding_hintE2ELNS0_4arch9wavefront6targetE0EE19radix_bits_per_passE,@object
	.section	.rodata._ZN7rocprim17ROCPRIM_400000_NS16block_radix_sortIiLj256ELj8ElLj1ELj1ELj8ELNS0_26block_radix_rank_algorithmE2ELNS0_18block_padding_hintE2ELNS0_4arch9wavefront6targetE0EE19radix_bits_per_passE,"aG",@progbits,_ZN7rocprim17ROCPRIM_400000_NS16block_radix_sortIiLj256ELj8ElLj1ELj1ELj8ELNS0_26block_radix_rank_algorithmE2ELNS0_18block_padding_hintE2ELNS0_4arch9wavefront6targetE0EE19radix_bits_per_passE,comdat
	.weak	_ZN7rocprim17ROCPRIM_400000_NS16block_radix_sortIiLj256ELj8ElLj1ELj1ELj8ELNS0_26block_radix_rank_algorithmE2ELNS0_18block_padding_hintE2ELNS0_4arch9wavefront6targetE0EE19radix_bits_per_passE
	.p2align	2, 0x0
_ZN7rocprim17ROCPRIM_400000_NS16block_radix_sortIiLj256ELj8ElLj1ELj1ELj8ELNS0_26block_radix_rank_algorithmE2ELNS0_18block_padding_hintE2ELNS0_4arch9wavefront6targetE0EE19radix_bits_per_passE:
	.long	8                               ; 0x8
	.size	_ZN7rocprim17ROCPRIM_400000_NS16block_radix_sortIiLj256ELj8ElLj1ELj1ELj8ELNS0_26block_radix_rank_algorithmE2ELNS0_18block_padding_hintE2ELNS0_4arch9wavefront6targetE0EE19radix_bits_per_passE, 4

	.protected	_ZN7rocprim17ROCPRIM_400000_NS16block_radix_sortIiLj256ELj16ElLj1ELj1ELj8ELNS0_26block_radix_rank_algorithmE2ELNS0_18block_padding_hintE2ELNS0_4arch9wavefront6targetE0EE19radix_bits_per_passE ; @_ZN7rocprim17ROCPRIM_400000_NS16block_radix_sortIiLj256ELj16ElLj1ELj1ELj8ELNS0_26block_radix_rank_algorithmE2ELNS0_18block_padding_hintE2ELNS0_4arch9wavefront6targetE0EE19radix_bits_per_passE
	.type	_ZN7rocprim17ROCPRIM_400000_NS16block_radix_sortIiLj256ELj16ElLj1ELj1ELj8ELNS0_26block_radix_rank_algorithmE2ELNS0_18block_padding_hintE2ELNS0_4arch9wavefront6targetE0EE19radix_bits_per_passE,@object
	.section	.rodata._ZN7rocprim17ROCPRIM_400000_NS16block_radix_sortIiLj256ELj16ElLj1ELj1ELj8ELNS0_26block_radix_rank_algorithmE2ELNS0_18block_padding_hintE2ELNS0_4arch9wavefront6targetE0EE19radix_bits_per_passE,"aG",@progbits,_ZN7rocprim17ROCPRIM_400000_NS16block_radix_sortIiLj256ELj16ElLj1ELj1ELj8ELNS0_26block_radix_rank_algorithmE2ELNS0_18block_padding_hintE2ELNS0_4arch9wavefront6targetE0EE19radix_bits_per_passE,comdat
	.weak	_ZN7rocprim17ROCPRIM_400000_NS16block_radix_sortIiLj256ELj16ElLj1ELj1ELj8ELNS0_26block_radix_rank_algorithmE2ELNS0_18block_padding_hintE2ELNS0_4arch9wavefront6targetE0EE19radix_bits_per_passE
	.p2align	2, 0x0
_ZN7rocprim17ROCPRIM_400000_NS16block_radix_sortIiLj256ELj16ElLj1ELj1ELj8ELNS0_26block_radix_rank_algorithmE2ELNS0_18block_padding_hintE2ELNS0_4arch9wavefront6targetE0EE19radix_bits_per_passE:
	.long	8                               ; 0x8
	.size	_ZN7rocprim17ROCPRIM_400000_NS16block_radix_sortIiLj256ELj16ElLj1ELj1ELj8ELNS0_26block_radix_rank_algorithmE2ELNS0_18block_padding_hintE2ELNS0_4arch9wavefront6targetE0EE19radix_bits_per_passE, 4

	.protected	_ZN7rocprim17ROCPRIM_400000_NS16block_radix_sortIlLj256ELj1ElLj1ELj1ELj8ELNS0_26block_radix_rank_algorithmE2ELNS0_18block_padding_hintE2ELNS0_4arch9wavefront6targetE0EE19radix_bits_per_passE ; @_ZN7rocprim17ROCPRIM_400000_NS16block_radix_sortIlLj256ELj1ElLj1ELj1ELj8ELNS0_26block_radix_rank_algorithmE2ELNS0_18block_padding_hintE2ELNS0_4arch9wavefront6targetE0EE19radix_bits_per_passE
	.type	_ZN7rocprim17ROCPRIM_400000_NS16block_radix_sortIlLj256ELj1ElLj1ELj1ELj8ELNS0_26block_radix_rank_algorithmE2ELNS0_18block_padding_hintE2ELNS0_4arch9wavefront6targetE0EE19radix_bits_per_passE,@object
	.section	.rodata._ZN7rocprim17ROCPRIM_400000_NS16block_radix_sortIlLj256ELj1ElLj1ELj1ELj8ELNS0_26block_radix_rank_algorithmE2ELNS0_18block_padding_hintE2ELNS0_4arch9wavefront6targetE0EE19radix_bits_per_passE,"aG",@progbits,_ZN7rocprim17ROCPRIM_400000_NS16block_radix_sortIlLj256ELj1ElLj1ELj1ELj8ELNS0_26block_radix_rank_algorithmE2ELNS0_18block_padding_hintE2ELNS0_4arch9wavefront6targetE0EE19radix_bits_per_passE,comdat
	.weak	_ZN7rocprim17ROCPRIM_400000_NS16block_radix_sortIlLj256ELj1ElLj1ELj1ELj8ELNS0_26block_radix_rank_algorithmE2ELNS0_18block_padding_hintE2ELNS0_4arch9wavefront6targetE0EE19radix_bits_per_passE
	.p2align	2, 0x0
_ZN7rocprim17ROCPRIM_400000_NS16block_radix_sortIlLj256ELj1ElLj1ELj1ELj8ELNS0_26block_radix_rank_algorithmE2ELNS0_18block_padding_hintE2ELNS0_4arch9wavefront6targetE0EE19radix_bits_per_passE:
	.long	8                               ; 0x8
	.size	_ZN7rocprim17ROCPRIM_400000_NS16block_radix_sortIlLj256ELj1ElLj1ELj1ELj8ELNS0_26block_radix_rank_algorithmE2ELNS0_18block_padding_hintE2ELNS0_4arch9wavefront6targetE0EE19radix_bits_per_passE, 4

	.protected	_ZN7rocprim17ROCPRIM_400000_NS16block_radix_sortIlLj256ELj2ElLj1ELj1ELj8ELNS0_26block_radix_rank_algorithmE2ELNS0_18block_padding_hintE2ELNS0_4arch9wavefront6targetE0EE19radix_bits_per_passE ; @_ZN7rocprim17ROCPRIM_400000_NS16block_radix_sortIlLj256ELj2ElLj1ELj1ELj8ELNS0_26block_radix_rank_algorithmE2ELNS0_18block_padding_hintE2ELNS0_4arch9wavefront6targetE0EE19radix_bits_per_passE
	.type	_ZN7rocprim17ROCPRIM_400000_NS16block_radix_sortIlLj256ELj2ElLj1ELj1ELj8ELNS0_26block_radix_rank_algorithmE2ELNS0_18block_padding_hintE2ELNS0_4arch9wavefront6targetE0EE19radix_bits_per_passE,@object
	.section	.rodata._ZN7rocprim17ROCPRIM_400000_NS16block_radix_sortIlLj256ELj2ElLj1ELj1ELj8ELNS0_26block_radix_rank_algorithmE2ELNS0_18block_padding_hintE2ELNS0_4arch9wavefront6targetE0EE19radix_bits_per_passE,"aG",@progbits,_ZN7rocprim17ROCPRIM_400000_NS16block_radix_sortIlLj256ELj2ElLj1ELj1ELj8ELNS0_26block_radix_rank_algorithmE2ELNS0_18block_padding_hintE2ELNS0_4arch9wavefront6targetE0EE19radix_bits_per_passE,comdat
	.weak	_ZN7rocprim17ROCPRIM_400000_NS16block_radix_sortIlLj256ELj2ElLj1ELj1ELj8ELNS0_26block_radix_rank_algorithmE2ELNS0_18block_padding_hintE2ELNS0_4arch9wavefront6targetE0EE19radix_bits_per_passE
	.p2align	2, 0x0
_ZN7rocprim17ROCPRIM_400000_NS16block_radix_sortIlLj256ELj2ElLj1ELj1ELj8ELNS0_26block_radix_rank_algorithmE2ELNS0_18block_padding_hintE2ELNS0_4arch9wavefront6targetE0EE19radix_bits_per_passE:
	.long	8                               ; 0x8
	.size	_ZN7rocprim17ROCPRIM_400000_NS16block_radix_sortIlLj256ELj2ElLj1ELj1ELj8ELNS0_26block_radix_rank_algorithmE2ELNS0_18block_padding_hintE2ELNS0_4arch9wavefront6targetE0EE19radix_bits_per_passE, 4

	.protected	_ZN7rocprim17ROCPRIM_400000_NS16block_radix_sortIlLj256ELj4ElLj1ELj1ELj8ELNS0_26block_radix_rank_algorithmE2ELNS0_18block_padding_hintE2ELNS0_4arch9wavefront6targetE0EE19radix_bits_per_passE ; @_ZN7rocprim17ROCPRIM_400000_NS16block_radix_sortIlLj256ELj4ElLj1ELj1ELj8ELNS0_26block_radix_rank_algorithmE2ELNS0_18block_padding_hintE2ELNS0_4arch9wavefront6targetE0EE19radix_bits_per_passE
	.type	_ZN7rocprim17ROCPRIM_400000_NS16block_radix_sortIlLj256ELj4ElLj1ELj1ELj8ELNS0_26block_radix_rank_algorithmE2ELNS0_18block_padding_hintE2ELNS0_4arch9wavefront6targetE0EE19radix_bits_per_passE,@object
	.section	.rodata._ZN7rocprim17ROCPRIM_400000_NS16block_radix_sortIlLj256ELj4ElLj1ELj1ELj8ELNS0_26block_radix_rank_algorithmE2ELNS0_18block_padding_hintE2ELNS0_4arch9wavefront6targetE0EE19radix_bits_per_passE,"aG",@progbits,_ZN7rocprim17ROCPRIM_400000_NS16block_radix_sortIlLj256ELj4ElLj1ELj1ELj8ELNS0_26block_radix_rank_algorithmE2ELNS0_18block_padding_hintE2ELNS0_4arch9wavefront6targetE0EE19radix_bits_per_passE,comdat
	.weak	_ZN7rocprim17ROCPRIM_400000_NS16block_radix_sortIlLj256ELj4ElLj1ELj1ELj8ELNS0_26block_radix_rank_algorithmE2ELNS0_18block_padding_hintE2ELNS0_4arch9wavefront6targetE0EE19radix_bits_per_passE
	.p2align	2, 0x0
_ZN7rocprim17ROCPRIM_400000_NS16block_radix_sortIlLj256ELj4ElLj1ELj1ELj8ELNS0_26block_radix_rank_algorithmE2ELNS0_18block_padding_hintE2ELNS0_4arch9wavefront6targetE0EE19radix_bits_per_passE:
	.long	8                               ; 0x8
	.size	_ZN7rocprim17ROCPRIM_400000_NS16block_radix_sortIlLj256ELj4ElLj1ELj1ELj8ELNS0_26block_radix_rank_algorithmE2ELNS0_18block_padding_hintE2ELNS0_4arch9wavefront6targetE0EE19radix_bits_per_passE, 4

	.protected	_ZN7rocprim17ROCPRIM_400000_NS16block_radix_sortIlLj256ELj8ElLj1ELj1ELj8ELNS0_26block_radix_rank_algorithmE2ELNS0_18block_padding_hintE2ELNS0_4arch9wavefront6targetE0EE19radix_bits_per_passE ; @_ZN7rocprim17ROCPRIM_400000_NS16block_radix_sortIlLj256ELj8ElLj1ELj1ELj8ELNS0_26block_radix_rank_algorithmE2ELNS0_18block_padding_hintE2ELNS0_4arch9wavefront6targetE0EE19radix_bits_per_passE
	.type	_ZN7rocprim17ROCPRIM_400000_NS16block_radix_sortIlLj256ELj8ElLj1ELj1ELj8ELNS0_26block_radix_rank_algorithmE2ELNS0_18block_padding_hintE2ELNS0_4arch9wavefront6targetE0EE19radix_bits_per_passE,@object
	.section	.rodata._ZN7rocprim17ROCPRIM_400000_NS16block_radix_sortIlLj256ELj8ElLj1ELj1ELj8ELNS0_26block_radix_rank_algorithmE2ELNS0_18block_padding_hintE2ELNS0_4arch9wavefront6targetE0EE19radix_bits_per_passE,"aG",@progbits,_ZN7rocprim17ROCPRIM_400000_NS16block_radix_sortIlLj256ELj8ElLj1ELj1ELj8ELNS0_26block_radix_rank_algorithmE2ELNS0_18block_padding_hintE2ELNS0_4arch9wavefront6targetE0EE19radix_bits_per_passE,comdat
	.weak	_ZN7rocprim17ROCPRIM_400000_NS16block_radix_sortIlLj256ELj8ElLj1ELj1ELj8ELNS0_26block_radix_rank_algorithmE2ELNS0_18block_padding_hintE2ELNS0_4arch9wavefront6targetE0EE19radix_bits_per_passE
	.p2align	2, 0x0
_ZN7rocprim17ROCPRIM_400000_NS16block_radix_sortIlLj256ELj8ElLj1ELj1ELj8ELNS0_26block_radix_rank_algorithmE2ELNS0_18block_padding_hintE2ELNS0_4arch9wavefront6targetE0EE19radix_bits_per_passE:
	.long	8                               ; 0x8
	.size	_ZN7rocprim17ROCPRIM_400000_NS16block_radix_sortIlLj256ELj8ElLj1ELj1ELj8ELNS0_26block_radix_rank_algorithmE2ELNS0_18block_padding_hintE2ELNS0_4arch9wavefront6targetE0EE19radix_bits_per_passE, 4

	.protected	_ZN7rocprim17ROCPRIM_400000_NS16block_radix_sortIlLj256ELj16ElLj1ELj1ELj8ELNS0_26block_radix_rank_algorithmE2ELNS0_18block_padding_hintE2ELNS0_4arch9wavefront6targetE0EE19radix_bits_per_passE ; @_ZN7rocprim17ROCPRIM_400000_NS16block_radix_sortIlLj256ELj16ElLj1ELj1ELj8ELNS0_26block_radix_rank_algorithmE2ELNS0_18block_padding_hintE2ELNS0_4arch9wavefront6targetE0EE19radix_bits_per_passE
	.type	_ZN7rocprim17ROCPRIM_400000_NS16block_radix_sortIlLj256ELj16ElLj1ELj1ELj8ELNS0_26block_radix_rank_algorithmE2ELNS0_18block_padding_hintE2ELNS0_4arch9wavefront6targetE0EE19radix_bits_per_passE,@object
	.section	.rodata._ZN7rocprim17ROCPRIM_400000_NS16block_radix_sortIlLj256ELj16ElLj1ELj1ELj8ELNS0_26block_radix_rank_algorithmE2ELNS0_18block_padding_hintE2ELNS0_4arch9wavefront6targetE0EE19radix_bits_per_passE,"aG",@progbits,_ZN7rocprim17ROCPRIM_400000_NS16block_radix_sortIlLj256ELj16ElLj1ELj1ELj8ELNS0_26block_radix_rank_algorithmE2ELNS0_18block_padding_hintE2ELNS0_4arch9wavefront6targetE0EE19radix_bits_per_passE,comdat
	.weak	_ZN7rocprim17ROCPRIM_400000_NS16block_radix_sortIlLj256ELj16ElLj1ELj1ELj8ELNS0_26block_radix_rank_algorithmE2ELNS0_18block_padding_hintE2ELNS0_4arch9wavefront6targetE0EE19radix_bits_per_passE
	.p2align	2, 0x0
_ZN7rocprim17ROCPRIM_400000_NS16block_radix_sortIlLj256ELj16ElLj1ELj1ELj8ELNS0_26block_radix_rank_algorithmE2ELNS0_18block_padding_hintE2ELNS0_4arch9wavefront6targetE0EE19radix_bits_per_passE:
	.long	8                               ; 0x8
	.size	_ZN7rocprim17ROCPRIM_400000_NS16block_radix_sortIlLj256ELj16ElLj1ELj1ELj8ELNS0_26block_radix_rank_algorithmE2ELNS0_18block_padding_hintE2ELNS0_4arch9wavefront6targetE0EE19radix_bits_per_passE, 4

	.protected	_ZN7rocprim17ROCPRIM_400000_NS16block_radix_sortIsLj256ELj1ElLj1ELj1ELj8ELNS0_26block_radix_rank_algorithmE2ELNS0_18block_padding_hintE2ELNS0_4arch9wavefront6targetE0EE19radix_bits_per_passE ; @_ZN7rocprim17ROCPRIM_400000_NS16block_radix_sortIsLj256ELj1ElLj1ELj1ELj8ELNS0_26block_radix_rank_algorithmE2ELNS0_18block_padding_hintE2ELNS0_4arch9wavefront6targetE0EE19radix_bits_per_passE
	.type	_ZN7rocprim17ROCPRIM_400000_NS16block_radix_sortIsLj256ELj1ElLj1ELj1ELj8ELNS0_26block_radix_rank_algorithmE2ELNS0_18block_padding_hintE2ELNS0_4arch9wavefront6targetE0EE19radix_bits_per_passE,@object
	.section	.rodata._ZN7rocprim17ROCPRIM_400000_NS16block_radix_sortIsLj256ELj1ElLj1ELj1ELj8ELNS0_26block_radix_rank_algorithmE2ELNS0_18block_padding_hintE2ELNS0_4arch9wavefront6targetE0EE19radix_bits_per_passE,"aG",@progbits,_ZN7rocprim17ROCPRIM_400000_NS16block_radix_sortIsLj256ELj1ElLj1ELj1ELj8ELNS0_26block_radix_rank_algorithmE2ELNS0_18block_padding_hintE2ELNS0_4arch9wavefront6targetE0EE19radix_bits_per_passE,comdat
	.weak	_ZN7rocprim17ROCPRIM_400000_NS16block_radix_sortIsLj256ELj1ElLj1ELj1ELj8ELNS0_26block_radix_rank_algorithmE2ELNS0_18block_padding_hintE2ELNS0_4arch9wavefront6targetE0EE19radix_bits_per_passE
	.p2align	2, 0x0
_ZN7rocprim17ROCPRIM_400000_NS16block_radix_sortIsLj256ELj1ElLj1ELj1ELj8ELNS0_26block_radix_rank_algorithmE2ELNS0_18block_padding_hintE2ELNS0_4arch9wavefront6targetE0EE19radix_bits_per_passE:
	.long	8                               ; 0x8
	.size	_ZN7rocprim17ROCPRIM_400000_NS16block_radix_sortIsLj256ELj1ElLj1ELj1ELj8ELNS0_26block_radix_rank_algorithmE2ELNS0_18block_padding_hintE2ELNS0_4arch9wavefront6targetE0EE19radix_bits_per_passE, 4

	.protected	_ZN7rocprim17ROCPRIM_400000_NS16block_radix_sortIsLj256ELj2ElLj1ELj1ELj8ELNS0_26block_radix_rank_algorithmE2ELNS0_18block_padding_hintE2ELNS0_4arch9wavefront6targetE0EE19radix_bits_per_passE ; @_ZN7rocprim17ROCPRIM_400000_NS16block_radix_sortIsLj256ELj2ElLj1ELj1ELj8ELNS0_26block_radix_rank_algorithmE2ELNS0_18block_padding_hintE2ELNS0_4arch9wavefront6targetE0EE19radix_bits_per_passE
	.type	_ZN7rocprim17ROCPRIM_400000_NS16block_radix_sortIsLj256ELj2ElLj1ELj1ELj8ELNS0_26block_radix_rank_algorithmE2ELNS0_18block_padding_hintE2ELNS0_4arch9wavefront6targetE0EE19radix_bits_per_passE,@object
	.section	.rodata._ZN7rocprim17ROCPRIM_400000_NS16block_radix_sortIsLj256ELj2ElLj1ELj1ELj8ELNS0_26block_radix_rank_algorithmE2ELNS0_18block_padding_hintE2ELNS0_4arch9wavefront6targetE0EE19radix_bits_per_passE,"aG",@progbits,_ZN7rocprim17ROCPRIM_400000_NS16block_radix_sortIsLj256ELj2ElLj1ELj1ELj8ELNS0_26block_radix_rank_algorithmE2ELNS0_18block_padding_hintE2ELNS0_4arch9wavefront6targetE0EE19radix_bits_per_passE,comdat
	.weak	_ZN7rocprim17ROCPRIM_400000_NS16block_radix_sortIsLj256ELj2ElLj1ELj1ELj8ELNS0_26block_radix_rank_algorithmE2ELNS0_18block_padding_hintE2ELNS0_4arch9wavefront6targetE0EE19radix_bits_per_passE
	.p2align	2, 0x0
_ZN7rocprim17ROCPRIM_400000_NS16block_radix_sortIsLj256ELj2ElLj1ELj1ELj8ELNS0_26block_radix_rank_algorithmE2ELNS0_18block_padding_hintE2ELNS0_4arch9wavefront6targetE0EE19radix_bits_per_passE:
	.long	8                               ; 0x8
	.size	_ZN7rocprim17ROCPRIM_400000_NS16block_radix_sortIsLj256ELj2ElLj1ELj1ELj8ELNS0_26block_radix_rank_algorithmE2ELNS0_18block_padding_hintE2ELNS0_4arch9wavefront6targetE0EE19radix_bits_per_passE, 4

	.protected	_ZN7rocprim17ROCPRIM_400000_NS16block_radix_sortIsLj256ELj4ElLj1ELj1ELj8ELNS0_26block_radix_rank_algorithmE2ELNS0_18block_padding_hintE2ELNS0_4arch9wavefront6targetE0EE19radix_bits_per_passE ; @_ZN7rocprim17ROCPRIM_400000_NS16block_radix_sortIsLj256ELj4ElLj1ELj1ELj8ELNS0_26block_radix_rank_algorithmE2ELNS0_18block_padding_hintE2ELNS0_4arch9wavefront6targetE0EE19radix_bits_per_passE
	.type	_ZN7rocprim17ROCPRIM_400000_NS16block_radix_sortIsLj256ELj4ElLj1ELj1ELj8ELNS0_26block_radix_rank_algorithmE2ELNS0_18block_padding_hintE2ELNS0_4arch9wavefront6targetE0EE19radix_bits_per_passE,@object
	.section	.rodata._ZN7rocprim17ROCPRIM_400000_NS16block_radix_sortIsLj256ELj4ElLj1ELj1ELj8ELNS0_26block_radix_rank_algorithmE2ELNS0_18block_padding_hintE2ELNS0_4arch9wavefront6targetE0EE19radix_bits_per_passE,"aG",@progbits,_ZN7rocprim17ROCPRIM_400000_NS16block_radix_sortIsLj256ELj4ElLj1ELj1ELj8ELNS0_26block_radix_rank_algorithmE2ELNS0_18block_padding_hintE2ELNS0_4arch9wavefront6targetE0EE19radix_bits_per_passE,comdat
	.weak	_ZN7rocprim17ROCPRIM_400000_NS16block_radix_sortIsLj256ELj4ElLj1ELj1ELj8ELNS0_26block_radix_rank_algorithmE2ELNS0_18block_padding_hintE2ELNS0_4arch9wavefront6targetE0EE19radix_bits_per_passE
	.p2align	2, 0x0
_ZN7rocprim17ROCPRIM_400000_NS16block_radix_sortIsLj256ELj4ElLj1ELj1ELj8ELNS0_26block_radix_rank_algorithmE2ELNS0_18block_padding_hintE2ELNS0_4arch9wavefront6targetE0EE19radix_bits_per_passE:
	.long	8                               ; 0x8
	.size	_ZN7rocprim17ROCPRIM_400000_NS16block_radix_sortIsLj256ELj4ElLj1ELj1ELj8ELNS0_26block_radix_rank_algorithmE2ELNS0_18block_padding_hintE2ELNS0_4arch9wavefront6targetE0EE19radix_bits_per_passE, 4

	.protected	_ZN7rocprim17ROCPRIM_400000_NS16block_radix_sortIsLj256ELj8ElLj1ELj1ELj8ELNS0_26block_radix_rank_algorithmE2ELNS0_18block_padding_hintE2ELNS0_4arch9wavefront6targetE0EE19radix_bits_per_passE ; @_ZN7rocprim17ROCPRIM_400000_NS16block_radix_sortIsLj256ELj8ElLj1ELj1ELj8ELNS0_26block_radix_rank_algorithmE2ELNS0_18block_padding_hintE2ELNS0_4arch9wavefront6targetE0EE19radix_bits_per_passE
	.type	_ZN7rocprim17ROCPRIM_400000_NS16block_radix_sortIsLj256ELj8ElLj1ELj1ELj8ELNS0_26block_radix_rank_algorithmE2ELNS0_18block_padding_hintE2ELNS0_4arch9wavefront6targetE0EE19radix_bits_per_passE,@object
	.section	.rodata._ZN7rocprim17ROCPRIM_400000_NS16block_radix_sortIsLj256ELj8ElLj1ELj1ELj8ELNS0_26block_radix_rank_algorithmE2ELNS0_18block_padding_hintE2ELNS0_4arch9wavefront6targetE0EE19radix_bits_per_passE,"aG",@progbits,_ZN7rocprim17ROCPRIM_400000_NS16block_radix_sortIsLj256ELj8ElLj1ELj1ELj8ELNS0_26block_radix_rank_algorithmE2ELNS0_18block_padding_hintE2ELNS0_4arch9wavefront6targetE0EE19radix_bits_per_passE,comdat
	.weak	_ZN7rocprim17ROCPRIM_400000_NS16block_radix_sortIsLj256ELj8ElLj1ELj1ELj8ELNS0_26block_radix_rank_algorithmE2ELNS0_18block_padding_hintE2ELNS0_4arch9wavefront6targetE0EE19radix_bits_per_passE
	.p2align	2, 0x0
_ZN7rocprim17ROCPRIM_400000_NS16block_radix_sortIsLj256ELj8ElLj1ELj1ELj8ELNS0_26block_radix_rank_algorithmE2ELNS0_18block_padding_hintE2ELNS0_4arch9wavefront6targetE0EE19radix_bits_per_passE:
	.long	8                               ; 0x8
	.size	_ZN7rocprim17ROCPRIM_400000_NS16block_radix_sortIsLj256ELj8ElLj1ELj1ELj8ELNS0_26block_radix_rank_algorithmE2ELNS0_18block_padding_hintE2ELNS0_4arch9wavefront6targetE0EE19radix_bits_per_passE, 4

	.protected	_ZN7rocprim17ROCPRIM_400000_NS16block_radix_sortIsLj256ELj16ElLj1ELj1ELj8ELNS0_26block_radix_rank_algorithmE2ELNS0_18block_padding_hintE2ELNS0_4arch9wavefront6targetE0EE19radix_bits_per_passE ; @_ZN7rocprim17ROCPRIM_400000_NS16block_radix_sortIsLj256ELj16ElLj1ELj1ELj8ELNS0_26block_radix_rank_algorithmE2ELNS0_18block_padding_hintE2ELNS0_4arch9wavefront6targetE0EE19radix_bits_per_passE
	.type	_ZN7rocprim17ROCPRIM_400000_NS16block_radix_sortIsLj256ELj16ElLj1ELj1ELj8ELNS0_26block_radix_rank_algorithmE2ELNS0_18block_padding_hintE2ELNS0_4arch9wavefront6targetE0EE19radix_bits_per_passE,@object
	.section	.rodata._ZN7rocprim17ROCPRIM_400000_NS16block_radix_sortIsLj256ELj16ElLj1ELj1ELj8ELNS0_26block_radix_rank_algorithmE2ELNS0_18block_padding_hintE2ELNS0_4arch9wavefront6targetE0EE19radix_bits_per_passE,"aG",@progbits,_ZN7rocprim17ROCPRIM_400000_NS16block_radix_sortIsLj256ELj16ElLj1ELj1ELj8ELNS0_26block_radix_rank_algorithmE2ELNS0_18block_padding_hintE2ELNS0_4arch9wavefront6targetE0EE19radix_bits_per_passE,comdat
	.weak	_ZN7rocprim17ROCPRIM_400000_NS16block_radix_sortIsLj256ELj16ElLj1ELj1ELj8ELNS0_26block_radix_rank_algorithmE2ELNS0_18block_padding_hintE2ELNS0_4arch9wavefront6targetE0EE19radix_bits_per_passE
	.p2align	2, 0x0
_ZN7rocprim17ROCPRIM_400000_NS16block_radix_sortIsLj256ELj16ElLj1ELj1ELj8ELNS0_26block_radix_rank_algorithmE2ELNS0_18block_padding_hintE2ELNS0_4arch9wavefront6targetE0EE19radix_bits_per_passE:
	.long	8                               ; 0x8
	.size	_ZN7rocprim17ROCPRIM_400000_NS16block_radix_sortIsLj256ELj16ElLj1ELj1ELj8ELNS0_26block_radix_rank_algorithmE2ELNS0_18block_padding_hintE2ELNS0_4arch9wavefront6targetE0EE19radix_bits_per_passE, 4

	.protected	_ZN7rocprim17ROCPRIM_400000_NS16block_radix_sortIdLj256ELj1ElLj1ELj1ELj8ELNS0_26block_radix_rank_algorithmE2ELNS0_18block_padding_hintE2ELNS0_4arch9wavefront6targetE0EE19radix_bits_per_passE ; @_ZN7rocprim17ROCPRIM_400000_NS16block_radix_sortIdLj256ELj1ElLj1ELj1ELj8ELNS0_26block_radix_rank_algorithmE2ELNS0_18block_padding_hintE2ELNS0_4arch9wavefront6targetE0EE19radix_bits_per_passE
	.type	_ZN7rocprim17ROCPRIM_400000_NS16block_radix_sortIdLj256ELj1ElLj1ELj1ELj8ELNS0_26block_radix_rank_algorithmE2ELNS0_18block_padding_hintE2ELNS0_4arch9wavefront6targetE0EE19radix_bits_per_passE,@object
	.section	.rodata._ZN7rocprim17ROCPRIM_400000_NS16block_radix_sortIdLj256ELj1ElLj1ELj1ELj8ELNS0_26block_radix_rank_algorithmE2ELNS0_18block_padding_hintE2ELNS0_4arch9wavefront6targetE0EE19radix_bits_per_passE,"aG",@progbits,_ZN7rocprim17ROCPRIM_400000_NS16block_radix_sortIdLj256ELj1ElLj1ELj1ELj8ELNS0_26block_radix_rank_algorithmE2ELNS0_18block_padding_hintE2ELNS0_4arch9wavefront6targetE0EE19radix_bits_per_passE,comdat
	.weak	_ZN7rocprim17ROCPRIM_400000_NS16block_radix_sortIdLj256ELj1ElLj1ELj1ELj8ELNS0_26block_radix_rank_algorithmE2ELNS0_18block_padding_hintE2ELNS0_4arch9wavefront6targetE0EE19radix_bits_per_passE
	.p2align	2, 0x0
_ZN7rocprim17ROCPRIM_400000_NS16block_radix_sortIdLj256ELj1ElLj1ELj1ELj8ELNS0_26block_radix_rank_algorithmE2ELNS0_18block_padding_hintE2ELNS0_4arch9wavefront6targetE0EE19radix_bits_per_passE:
	.long	8                               ; 0x8
	.size	_ZN7rocprim17ROCPRIM_400000_NS16block_radix_sortIdLj256ELj1ElLj1ELj1ELj8ELNS0_26block_radix_rank_algorithmE2ELNS0_18block_padding_hintE2ELNS0_4arch9wavefront6targetE0EE19radix_bits_per_passE, 4

	.protected	_ZN7rocprim17ROCPRIM_400000_NS16block_radix_sortIdLj256ELj2ElLj1ELj1ELj8ELNS0_26block_radix_rank_algorithmE2ELNS0_18block_padding_hintE2ELNS0_4arch9wavefront6targetE0EE19radix_bits_per_passE ; @_ZN7rocprim17ROCPRIM_400000_NS16block_radix_sortIdLj256ELj2ElLj1ELj1ELj8ELNS0_26block_radix_rank_algorithmE2ELNS0_18block_padding_hintE2ELNS0_4arch9wavefront6targetE0EE19radix_bits_per_passE
	.type	_ZN7rocprim17ROCPRIM_400000_NS16block_radix_sortIdLj256ELj2ElLj1ELj1ELj8ELNS0_26block_radix_rank_algorithmE2ELNS0_18block_padding_hintE2ELNS0_4arch9wavefront6targetE0EE19radix_bits_per_passE,@object
	.section	.rodata._ZN7rocprim17ROCPRIM_400000_NS16block_radix_sortIdLj256ELj2ElLj1ELj1ELj8ELNS0_26block_radix_rank_algorithmE2ELNS0_18block_padding_hintE2ELNS0_4arch9wavefront6targetE0EE19radix_bits_per_passE,"aG",@progbits,_ZN7rocprim17ROCPRIM_400000_NS16block_radix_sortIdLj256ELj2ElLj1ELj1ELj8ELNS0_26block_radix_rank_algorithmE2ELNS0_18block_padding_hintE2ELNS0_4arch9wavefront6targetE0EE19radix_bits_per_passE,comdat
	.weak	_ZN7rocprim17ROCPRIM_400000_NS16block_radix_sortIdLj256ELj2ElLj1ELj1ELj8ELNS0_26block_radix_rank_algorithmE2ELNS0_18block_padding_hintE2ELNS0_4arch9wavefront6targetE0EE19radix_bits_per_passE
	.p2align	2, 0x0
_ZN7rocprim17ROCPRIM_400000_NS16block_radix_sortIdLj256ELj2ElLj1ELj1ELj8ELNS0_26block_radix_rank_algorithmE2ELNS0_18block_padding_hintE2ELNS0_4arch9wavefront6targetE0EE19radix_bits_per_passE:
	.long	8                               ; 0x8
	.size	_ZN7rocprim17ROCPRIM_400000_NS16block_radix_sortIdLj256ELj2ElLj1ELj1ELj8ELNS0_26block_radix_rank_algorithmE2ELNS0_18block_padding_hintE2ELNS0_4arch9wavefront6targetE0EE19radix_bits_per_passE, 4

	.protected	_ZN7rocprim17ROCPRIM_400000_NS16block_radix_sortIdLj256ELj4ElLj1ELj1ELj8ELNS0_26block_radix_rank_algorithmE2ELNS0_18block_padding_hintE2ELNS0_4arch9wavefront6targetE0EE19radix_bits_per_passE ; @_ZN7rocprim17ROCPRIM_400000_NS16block_radix_sortIdLj256ELj4ElLj1ELj1ELj8ELNS0_26block_radix_rank_algorithmE2ELNS0_18block_padding_hintE2ELNS0_4arch9wavefront6targetE0EE19radix_bits_per_passE
	.type	_ZN7rocprim17ROCPRIM_400000_NS16block_radix_sortIdLj256ELj4ElLj1ELj1ELj8ELNS0_26block_radix_rank_algorithmE2ELNS0_18block_padding_hintE2ELNS0_4arch9wavefront6targetE0EE19radix_bits_per_passE,@object
	.section	.rodata._ZN7rocprim17ROCPRIM_400000_NS16block_radix_sortIdLj256ELj4ElLj1ELj1ELj8ELNS0_26block_radix_rank_algorithmE2ELNS0_18block_padding_hintE2ELNS0_4arch9wavefront6targetE0EE19radix_bits_per_passE,"aG",@progbits,_ZN7rocprim17ROCPRIM_400000_NS16block_radix_sortIdLj256ELj4ElLj1ELj1ELj8ELNS0_26block_radix_rank_algorithmE2ELNS0_18block_padding_hintE2ELNS0_4arch9wavefront6targetE0EE19radix_bits_per_passE,comdat
	.weak	_ZN7rocprim17ROCPRIM_400000_NS16block_radix_sortIdLj256ELj4ElLj1ELj1ELj8ELNS0_26block_radix_rank_algorithmE2ELNS0_18block_padding_hintE2ELNS0_4arch9wavefront6targetE0EE19radix_bits_per_passE
	.p2align	2, 0x0
_ZN7rocprim17ROCPRIM_400000_NS16block_radix_sortIdLj256ELj4ElLj1ELj1ELj8ELNS0_26block_radix_rank_algorithmE2ELNS0_18block_padding_hintE2ELNS0_4arch9wavefront6targetE0EE19radix_bits_per_passE:
	.long	8                               ; 0x8
	.size	_ZN7rocprim17ROCPRIM_400000_NS16block_radix_sortIdLj256ELj4ElLj1ELj1ELj8ELNS0_26block_radix_rank_algorithmE2ELNS0_18block_padding_hintE2ELNS0_4arch9wavefront6targetE0EE19radix_bits_per_passE, 4

	.protected	_ZN7rocprim17ROCPRIM_400000_NS16block_radix_sortIdLj256ELj8ElLj1ELj1ELj8ELNS0_26block_radix_rank_algorithmE2ELNS0_18block_padding_hintE2ELNS0_4arch9wavefront6targetE0EE19radix_bits_per_passE ; @_ZN7rocprim17ROCPRIM_400000_NS16block_radix_sortIdLj256ELj8ElLj1ELj1ELj8ELNS0_26block_radix_rank_algorithmE2ELNS0_18block_padding_hintE2ELNS0_4arch9wavefront6targetE0EE19radix_bits_per_passE
	.type	_ZN7rocprim17ROCPRIM_400000_NS16block_radix_sortIdLj256ELj8ElLj1ELj1ELj8ELNS0_26block_radix_rank_algorithmE2ELNS0_18block_padding_hintE2ELNS0_4arch9wavefront6targetE0EE19radix_bits_per_passE,@object
	.section	.rodata._ZN7rocprim17ROCPRIM_400000_NS16block_radix_sortIdLj256ELj8ElLj1ELj1ELj8ELNS0_26block_radix_rank_algorithmE2ELNS0_18block_padding_hintE2ELNS0_4arch9wavefront6targetE0EE19radix_bits_per_passE,"aG",@progbits,_ZN7rocprim17ROCPRIM_400000_NS16block_radix_sortIdLj256ELj8ElLj1ELj1ELj8ELNS0_26block_radix_rank_algorithmE2ELNS0_18block_padding_hintE2ELNS0_4arch9wavefront6targetE0EE19radix_bits_per_passE,comdat
	.weak	_ZN7rocprim17ROCPRIM_400000_NS16block_radix_sortIdLj256ELj8ElLj1ELj1ELj8ELNS0_26block_radix_rank_algorithmE2ELNS0_18block_padding_hintE2ELNS0_4arch9wavefront6targetE0EE19radix_bits_per_passE
	.p2align	2, 0x0
_ZN7rocprim17ROCPRIM_400000_NS16block_radix_sortIdLj256ELj8ElLj1ELj1ELj8ELNS0_26block_radix_rank_algorithmE2ELNS0_18block_padding_hintE2ELNS0_4arch9wavefront6targetE0EE19radix_bits_per_passE:
	.long	8                               ; 0x8
	.size	_ZN7rocprim17ROCPRIM_400000_NS16block_radix_sortIdLj256ELj8ElLj1ELj1ELj8ELNS0_26block_radix_rank_algorithmE2ELNS0_18block_padding_hintE2ELNS0_4arch9wavefront6targetE0EE19radix_bits_per_passE, 4

	.protected	_ZN7rocprim17ROCPRIM_400000_NS16block_radix_sortIdLj256ELj16ElLj1ELj1ELj8ELNS0_26block_radix_rank_algorithmE2ELNS0_18block_padding_hintE2ELNS0_4arch9wavefront6targetE0EE19radix_bits_per_passE ; @_ZN7rocprim17ROCPRIM_400000_NS16block_radix_sortIdLj256ELj16ElLj1ELj1ELj8ELNS0_26block_radix_rank_algorithmE2ELNS0_18block_padding_hintE2ELNS0_4arch9wavefront6targetE0EE19radix_bits_per_passE
	.type	_ZN7rocprim17ROCPRIM_400000_NS16block_radix_sortIdLj256ELj16ElLj1ELj1ELj8ELNS0_26block_radix_rank_algorithmE2ELNS0_18block_padding_hintE2ELNS0_4arch9wavefront6targetE0EE19radix_bits_per_passE,@object
	.section	.rodata._ZN7rocprim17ROCPRIM_400000_NS16block_radix_sortIdLj256ELj16ElLj1ELj1ELj8ELNS0_26block_radix_rank_algorithmE2ELNS0_18block_padding_hintE2ELNS0_4arch9wavefront6targetE0EE19radix_bits_per_passE,"aG",@progbits,_ZN7rocprim17ROCPRIM_400000_NS16block_radix_sortIdLj256ELj16ElLj1ELj1ELj8ELNS0_26block_radix_rank_algorithmE2ELNS0_18block_padding_hintE2ELNS0_4arch9wavefront6targetE0EE19radix_bits_per_passE,comdat
	.weak	_ZN7rocprim17ROCPRIM_400000_NS16block_radix_sortIdLj256ELj16ElLj1ELj1ELj8ELNS0_26block_radix_rank_algorithmE2ELNS0_18block_padding_hintE2ELNS0_4arch9wavefront6targetE0EE19radix_bits_per_passE
	.p2align	2, 0x0
_ZN7rocprim17ROCPRIM_400000_NS16block_radix_sortIdLj256ELj16ElLj1ELj1ELj8ELNS0_26block_radix_rank_algorithmE2ELNS0_18block_padding_hintE2ELNS0_4arch9wavefront6targetE0EE19radix_bits_per_passE:
	.long	8                               ; 0x8
	.size	_ZN7rocprim17ROCPRIM_400000_NS16block_radix_sortIdLj256ELj16ElLj1ELj1ELj8ELNS0_26block_radix_rank_algorithmE2ELNS0_18block_padding_hintE2ELNS0_4arch9wavefront6targetE0EE19radix_bits_per_passE, 4

	.protected	_ZN7rocprim17ROCPRIM_400000_NS16block_radix_sortIfLj256ELj1ElLj1ELj1ELj8ELNS0_26block_radix_rank_algorithmE2ELNS0_18block_padding_hintE2ELNS0_4arch9wavefront6targetE0EE19radix_bits_per_passE ; @_ZN7rocprim17ROCPRIM_400000_NS16block_radix_sortIfLj256ELj1ElLj1ELj1ELj8ELNS0_26block_radix_rank_algorithmE2ELNS0_18block_padding_hintE2ELNS0_4arch9wavefront6targetE0EE19radix_bits_per_passE
	.type	_ZN7rocprim17ROCPRIM_400000_NS16block_radix_sortIfLj256ELj1ElLj1ELj1ELj8ELNS0_26block_radix_rank_algorithmE2ELNS0_18block_padding_hintE2ELNS0_4arch9wavefront6targetE0EE19radix_bits_per_passE,@object
	.section	.rodata._ZN7rocprim17ROCPRIM_400000_NS16block_radix_sortIfLj256ELj1ElLj1ELj1ELj8ELNS0_26block_radix_rank_algorithmE2ELNS0_18block_padding_hintE2ELNS0_4arch9wavefront6targetE0EE19radix_bits_per_passE,"aG",@progbits,_ZN7rocprim17ROCPRIM_400000_NS16block_radix_sortIfLj256ELj1ElLj1ELj1ELj8ELNS0_26block_radix_rank_algorithmE2ELNS0_18block_padding_hintE2ELNS0_4arch9wavefront6targetE0EE19radix_bits_per_passE,comdat
	.weak	_ZN7rocprim17ROCPRIM_400000_NS16block_radix_sortIfLj256ELj1ElLj1ELj1ELj8ELNS0_26block_radix_rank_algorithmE2ELNS0_18block_padding_hintE2ELNS0_4arch9wavefront6targetE0EE19radix_bits_per_passE
	.p2align	2, 0x0
_ZN7rocprim17ROCPRIM_400000_NS16block_radix_sortIfLj256ELj1ElLj1ELj1ELj8ELNS0_26block_radix_rank_algorithmE2ELNS0_18block_padding_hintE2ELNS0_4arch9wavefront6targetE0EE19radix_bits_per_passE:
	.long	8                               ; 0x8
	.size	_ZN7rocprim17ROCPRIM_400000_NS16block_radix_sortIfLj256ELj1ElLj1ELj1ELj8ELNS0_26block_radix_rank_algorithmE2ELNS0_18block_padding_hintE2ELNS0_4arch9wavefront6targetE0EE19radix_bits_per_passE, 4

	.protected	_ZN7rocprim17ROCPRIM_400000_NS16block_radix_sortIfLj256ELj2ElLj1ELj1ELj8ELNS0_26block_radix_rank_algorithmE2ELNS0_18block_padding_hintE2ELNS0_4arch9wavefront6targetE0EE19radix_bits_per_passE ; @_ZN7rocprim17ROCPRIM_400000_NS16block_radix_sortIfLj256ELj2ElLj1ELj1ELj8ELNS0_26block_radix_rank_algorithmE2ELNS0_18block_padding_hintE2ELNS0_4arch9wavefront6targetE0EE19radix_bits_per_passE
	.type	_ZN7rocprim17ROCPRIM_400000_NS16block_radix_sortIfLj256ELj2ElLj1ELj1ELj8ELNS0_26block_radix_rank_algorithmE2ELNS0_18block_padding_hintE2ELNS0_4arch9wavefront6targetE0EE19radix_bits_per_passE,@object
	.section	.rodata._ZN7rocprim17ROCPRIM_400000_NS16block_radix_sortIfLj256ELj2ElLj1ELj1ELj8ELNS0_26block_radix_rank_algorithmE2ELNS0_18block_padding_hintE2ELNS0_4arch9wavefront6targetE0EE19radix_bits_per_passE,"aG",@progbits,_ZN7rocprim17ROCPRIM_400000_NS16block_radix_sortIfLj256ELj2ElLj1ELj1ELj8ELNS0_26block_radix_rank_algorithmE2ELNS0_18block_padding_hintE2ELNS0_4arch9wavefront6targetE0EE19radix_bits_per_passE,comdat
	.weak	_ZN7rocprim17ROCPRIM_400000_NS16block_radix_sortIfLj256ELj2ElLj1ELj1ELj8ELNS0_26block_radix_rank_algorithmE2ELNS0_18block_padding_hintE2ELNS0_4arch9wavefront6targetE0EE19radix_bits_per_passE
	.p2align	2, 0x0
_ZN7rocprim17ROCPRIM_400000_NS16block_radix_sortIfLj256ELj2ElLj1ELj1ELj8ELNS0_26block_radix_rank_algorithmE2ELNS0_18block_padding_hintE2ELNS0_4arch9wavefront6targetE0EE19radix_bits_per_passE:
	.long	8                               ; 0x8
	.size	_ZN7rocprim17ROCPRIM_400000_NS16block_radix_sortIfLj256ELj2ElLj1ELj1ELj8ELNS0_26block_radix_rank_algorithmE2ELNS0_18block_padding_hintE2ELNS0_4arch9wavefront6targetE0EE19radix_bits_per_passE, 4

	.protected	_ZN7rocprim17ROCPRIM_400000_NS16block_radix_sortIfLj256ELj4ElLj1ELj1ELj8ELNS0_26block_radix_rank_algorithmE2ELNS0_18block_padding_hintE2ELNS0_4arch9wavefront6targetE0EE19radix_bits_per_passE ; @_ZN7rocprim17ROCPRIM_400000_NS16block_radix_sortIfLj256ELj4ElLj1ELj1ELj8ELNS0_26block_radix_rank_algorithmE2ELNS0_18block_padding_hintE2ELNS0_4arch9wavefront6targetE0EE19radix_bits_per_passE
	.type	_ZN7rocprim17ROCPRIM_400000_NS16block_radix_sortIfLj256ELj4ElLj1ELj1ELj8ELNS0_26block_radix_rank_algorithmE2ELNS0_18block_padding_hintE2ELNS0_4arch9wavefront6targetE0EE19radix_bits_per_passE,@object
	.section	.rodata._ZN7rocprim17ROCPRIM_400000_NS16block_radix_sortIfLj256ELj4ElLj1ELj1ELj8ELNS0_26block_radix_rank_algorithmE2ELNS0_18block_padding_hintE2ELNS0_4arch9wavefront6targetE0EE19radix_bits_per_passE,"aG",@progbits,_ZN7rocprim17ROCPRIM_400000_NS16block_radix_sortIfLj256ELj4ElLj1ELj1ELj8ELNS0_26block_radix_rank_algorithmE2ELNS0_18block_padding_hintE2ELNS0_4arch9wavefront6targetE0EE19radix_bits_per_passE,comdat
	.weak	_ZN7rocprim17ROCPRIM_400000_NS16block_radix_sortIfLj256ELj4ElLj1ELj1ELj8ELNS0_26block_radix_rank_algorithmE2ELNS0_18block_padding_hintE2ELNS0_4arch9wavefront6targetE0EE19radix_bits_per_passE
	.p2align	2, 0x0
_ZN7rocprim17ROCPRIM_400000_NS16block_radix_sortIfLj256ELj4ElLj1ELj1ELj8ELNS0_26block_radix_rank_algorithmE2ELNS0_18block_padding_hintE2ELNS0_4arch9wavefront6targetE0EE19radix_bits_per_passE:
	.long	8                               ; 0x8
	.size	_ZN7rocprim17ROCPRIM_400000_NS16block_radix_sortIfLj256ELj4ElLj1ELj1ELj8ELNS0_26block_radix_rank_algorithmE2ELNS0_18block_padding_hintE2ELNS0_4arch9wavefront6targetE0EE19radix_bits_per_passE, 4

	.protected	_ZN7rocprim17ROCPRIM_400000_NS16block_radix_sortIfLj256ELj8ElLj1ELj1ELj8ELNS0_26block_radix_rank_algorithmE2ELNS0_18block_padding_hintE2ELNS0_4arch9wavefront6targetE0EE19radix_bits_per_passE ; @_ZN7rocprim17ROCPRIM_400000_NS16block_radix_sortIfLj256ELj8ElLj1ELj1ELj8ELNS0_26block_radix_rank_algorithmE2ELNS0_18block_padding_hintE2ELNS0_4arch9wavefront6targetE0EE19radix_bits_per_passE
	.type	_ZN7rocprim17ROCPRIM_400000_NS16block_radix_sortIfLj256ELj8ElLj1ELj1ELj8ELNS0_26block_radix_rank_algorithmE2ELNS0_18block_padding_hintE2ELNS0_4arch9wavefront6targetE0EE19radix_bits_per_passE,@object
	.section	.rodata._ZN7rocprim17ROCPRIM_400000_NS16block_radix_sortIfLj256ELj8ElLj1ELj1ELj8ELNS0_26block_radix_rank_algorithmE2ELNS0_18block_padding_hintE2ELNS0_4arch9wavefront6targetE0EE19radix_bits_per_passE,"aG",@progbits,_ZN7rocprim17ROCPRIM_400000_NS16block_radix_sortIfLj256ELj8ElLj1ELj1ELj8ELNS0_26block_radix_rank_algorithmE2ELNS0_18block_padding_hintE2ELNS0_4arch9wavefront6targetE0EE19radix_bits_per_passE,comdat
	.weak	_ZN7rocprim17ROCPRIM_400000_NS16block_radix_sortIfLj256ELj8ElLj1ELj1ELj8ELNS0_26block_radix_rank_algorithmE2ELNS0_18block_padding_hintE2ELNS0_4arch9wavefront6targetE0EE19radix_bits_per_passE
	.p2align	2, 0x0
_ZN7rocprim17ROCPRIM_400000_NS16block_radix_sortIfLj256ELj8ElLj1ELj1ELj8ELNS0_26block_radix_rank_algorithmE2ELNS0_18block_padding_hintE2ELNS0_4arch9wavefront6targetE0EE19radix_bits_per_passE:
	.long	8                               ; 0x8
	.size	_ZN7rocprim17ROCPRIM_400000_NS16block_radix_sortIfLj256ELj8ElLj1ELj1ELj8ELNS0_26block_radix_rank_algorithmE2ELNS0_18block_padding_hintE2ELNS0_4arch9wavefront6targetE0EE19radix_bits_per_passE, 4

	.protected	_ZN7rocprim17ROCPRIM_400000_NS16block_radix_sortIbLj256ELj1ElLj1ELj1ELj8ELNS0_26block_radix_rank_algorithmE2ELNS0_18block_padding_hintE2ELNS0_4arch9wavefront6targetE0EE19radix_bits_per_passE ; @_ZN7rocprim17ROCPRIM_400000_NS16block_radix_sortIbLj256ELj1ElLj1ELj1ELj8ELNS0_26block_radix_rank_algorithmE2ELNS0_18block_padding_hintE2ELNS0_4arch9wavefront6targetE0EE19radix_bits_per_passE
	.type	_ZN7rocprim17ROCPRIM_400000_NS16block_radix_sortIbLj256ELj1ElLj1ELj1ELj8ELNS0_26block_radix_rank_algorithmE2ELNS0_18block_padding_hintE2ELNS0_4arch9wavefront6targetE0EE19radix_bits_per_passE,@object
	.section	.rodata._ZN7rocprim17ROCPRIM_400000_NS16block_radix_sortIbLj256ELj1ElLj1ELj1ELj8ELNS0_26block_radix_rank_algorithmE2ELNS0_18block_padding_hintE2ELNS0_4arch9wavefront6targetE0EE19radix_bits_per_passE,"aG",@progbits,_ZN7rocprim17ROCPRIM_400000_NS16block_radix_sortIbLj256ELj1ElLj1ELj1ELj8ELNS0_26block_radix_rank_algorithmE2ELNS0_18block_padding_hintE2ELNS0_4arch9wavefront6targetE0EE19radix_bits_per_passE,comdat
	.weak	_ZN7rocprim17ROCPRIM_400000_NS16block_radix_sortIbLj256ELj1ElLj1ELj1ELj8ELNS0_26block_radix_rank_algorithmE2ELNS0_18block_padding_hintE2ELNS0_4arch9wavefront6targetE0EE19radix_bits_per_passE
	.p2align	2, 0x0
_ZN7rocprim17ROCPRIM_400000_NS16block_radix_sortIbLj256ELj1ElLj1ELj1ELj8ELNS0_26block_radix_rank_algorithmE2ELNS0_18block_padding_hintE2ELNS0_4arch9wavefront6targetE0EE19radix_bits_per_passE:
	.long	8                               ; 0x8
	.size	_ZN7rocprim17ROCPRIM_400000_NS16block_radix_sortIbLj256ELj1ElLj1ELj1ELj8ELNS0_26block_radix_rank_algorithmE2ELNS0_18block_padding_hintE2ELNS0_4arch9wavefront6targetE0EE19radix_bits_per_passE, 4

	.protected	_ZN7rocprim17ROCPRIM_400000_NS16block_radix_sortIbLj256ELj2ElLj1ELj1ELj8ELNS0_26block_radix_rank_algorithmE2ELNS0_18block_padding_hintE2ELNS0_4arch9wavefront6targetE0EE19radix_bits_per_passE ; @_ZN7rocprim17ROCPRIM_400000_NS16block_radix_sortIbLj256ELj2ElLj1ELj1ELj8ELNS0_26block_radix_rank_algorithmE2ELNS0_18block_padding_hintE2ELNS0_4arch9wavefront6targetE0EE19radix_bits_per_passE
	.type	_ZN7rocprim17ROCPRIM_400000_NS16block_radix_sortIbLj256ELj2ElLj1ELj1ELj8ELNS0_26block_radix_rank_algorithmE2ELNS0_18block_padding_hintE2ELNS0_4arch9wavefront6targetE0EE19radix_bits_per_passE,@object
	.section	.rodata._ZN7rocprim17ROCPRIM_400000_NS16block_radix_sortIbLj256ELj2ElLj1ELj1ELj8ELNS0_26block_radix_rank_algorithmE2ELNS0_18block_padding_hintE2ELNS0_4arch9wavefront6targetE0EE19radix_bits_per_passE,"aG",@progbits,_ZN7rocprim17ROCPRIM_400000_NS16block_radix_sortIbLj256ELj2ElLj1ELj1ELj8ELNS0_26block_radix_rank_algorithmE2ELNS0_18block_padding_hintE2ELNS0_4arch9wavefront6targetE0EE19radix_bits_per_passE,comdat
	.weak	_ZN7rocprim17ROCPRIM_400000_NS16block_radix_sortIbLj256ELj2ElLj1ELj1ELj8ELNS0_26block_radix_rank_algorithmE2ELNS0_18block_padding_hintE2ELNS0_4arch9wavefront6targetE0EE19radix_bits_per_passE
	.p2align	2, 0x0
_ZN7rocprim17ROCPRIM_400000_NS16block_radix_sortIbLj256ELj2ElLj1ELj1ELj8ELNS0_26block_radix_rank_algorithmE2ELNS0_18block_padding_hintE2ELNS0_4arch9wavefront6targetE0EE19radix_bits_per_passE:
	.long	8                               ; 0x8
	.size	_ZN7rocprim17ROCPRIM_400000_NS16block_radix_sortIbLj256ELj2ElLj1ELj1ELj8ELNS0_26block_radix_rank_algorithmE2ELNS0_18block_padding_hintE2ELNS0_4arch9wavefront6targetE0EE19radix_bits_per_passE, 4

	.protected	_ZN7rocprim17ROCPRIM_400000_NS16block_radix_sortIbLj256ELj4ElLj1ELj1ELj8ELNS0_26block_radix_rank_algorithmE2ELNS0_18block_padding_hintE2ELNS0_4arch9wavefront6targetE0EE19radix_bits_per_passE ; @_ZN7rocprim17ROCPRIM_400000_NS16block_radix_sortIbLj256ELj4ElLj1ELj1ELj8ELNS0_26block_radix_rank_algorithmE2ELNS0_18block_padding_hintE2ELNS0_4arch9wavefront6targetE0EE19radix_bits_per_passE
	.type	_ZN7rocprim17ROCPRIM_400000_NS16block_radix_sortIbLj256ELj4ElLj1ELj1ELj8ELNS0_26block_radix_rank_algorithmE2ELNS0_18block_padding_hintE2ELNS0_4arch9wavefront6targetE0EE19radix_bits_per_passE,@object
	.section	.rodata._ZN7rocprim17ROCPRIM_400000_NS16block_radix_sortIbLj256ELj4ElLj1ELj1ELj8ELNS0_26block_radix_rank_algorithmE2ELNS0_18block_padding_hintE2ELNS0_4arch9wavefront6targetE0EE19radix_bits_per_passE,"aG",@progbits,_ZN7rocprim17ROCPRIM_400000_NS16block_radix_sortIbLj256ELj4ElLj1ELj1ELj8ELNS0_26block_radix_rank_algorithmE2ELNS0_18block_padding_hintE2ELNS0_4arch9wavefront6targetE0EE19radix_bits_per_passE,comdat
	.weak	_ZN7rocprim17ROCPRIM_400000_NS16block_radix_sortIbLj256ELj4ElLj1ELj1ELj8ELNS0_26block_radix_rank_algorithmE2ELNS0_18block_padding_hintE2ELNS0_4arch9wavefront6targetE0EE19radix_bits_per_passE
	.p2align	2, 0x0
_ZN7rocprim17ROCPRIM_400000_NS16block_radix_sortIbLj256ELj4ElLj1ELj1ELj8ELNS0_26block_radix_rank_algorithmE2ELNS0_18block_padding_hintE2ELNS0_4arch9wavefront6targetE0EE19radix_bits_per_passE:
	.long	8                               ; 0x8
	.size	_ZN7rocprim17ROCPRIM_400000_NS16block_radix_sortIbLj256ELj4ElLj1ELj1ELj8ELNS0_26block_radix_rank_algorithmE2ELNS0_18block_padding_hintE2ELNS0_4arch9wavefront6targetE0EE19radix_bits_per_passE, 4

	.protected	_ZN7rocprim17ROCPRIM_400000_NS16block_radix_sortIbLj256ELj8ElLj1ELj1ELj8ELNS0_26block_radix_rank_algorithmE2ELNS0_18block_padding_hintE2ELNS0_4arch9wavefront6targetE0EE19radix_bits_per_passE ; @_ZN7rocprim17ROCPRIM_400000_NS16block_radix_sortIbLj256ELj8ElLj1ELj1ELj8ELNS0_26block_radix_rank_algorithmE2ELNS0_18block_padding_hintE2ELNS0_4arch9wavefront6targetE0EE19radix_bits_per_passE
	.type	_ZN7rocprim17ROCPRIM_400000_NS16block_radix_sortIbLj256ELj8ElLj1ELj1ELj8ELNS0_26block_radix_rank_algorithmE2ELNS0_18block_padding_hintE2ELNS0_4arch9wavefront6targetE0EE19radix_bits_per_passE,@object
	.section	.rodata._ZN7rocprim17ROCPRIM_400000_NS16block_radix_sortIbLj256ELj8ElLj1ELj1ELj8ELNS0_26block_radix_rank_algorithmE2ELNS0_18block_padding_hintE2ELNS0_4arch9wavefront6targetE0EE19radix_bits_per_passE,"aG",@progbits,_ZN7rocprim17ROCPRIM_400000_NS16block_radix_sortIbLj256ELj8ElLj1ELj1ELj8ELNS0_26block_radix_rank_algorithmE2ELNS0_18block_padding_hintE2ELNS0_4arch9wavefront6targetE0EE19radix_bits_per_passE,comdat
	.weak	_ZN7rocprim17ROCPRIM_400000_NS16block_radix_sortIbLj256ELj8ElLj1ELj1ELj8ELNS0_26block_radix_rank_algorithmE2ELNS0_18block_padding_hintE2ELNS0_4arch9wavefront6targetE0EE19radix_bits_per_passE
	.p2align	2, 0x0
_ZN7rocprim17ROCPRIM_400000_NS16block_radix_sortIbLj256ELj8ElLj1ELj1ELj8ELNS0_26block_radix_rank_algorithmE2ELNS0_18block_padding_hintE2ELNS0_4arch9wavefront6targetE0EE19radix_bits_per_passE:
	.long	8                               ; 0x8
	.size	_ZN7rocprim17ROCPRIM_400000_NS16block_radix_sortIbLj256ELj8ElLj1ELj1ELj8ELNS0_26block_radix_rank_algorithmE2ELNS0_18block_padding_hintE2ELNS0_4arch9wavefront6targetE0EE19radix_bits_per_passE, 4

	.protected	_ZN7rocprim17ROCPRIM_400000_NS16block_radix_sortI6__halfLj256ELj1ElLj1ELj1ELj8ELNS0_26block_radix_rank_algorithmE2ELNS0_18block_padding_hintE2ELNS0_4arch9wavefront6targetE0EE19radix_bits_per_passE ; @_ZN7rocprim17ROCPRIM_400000_NS16block_radix_sortI6__halfLj256ELj1ElLj1ELj1ELj8ELNS0_26block_radix_rank_algorithmE2ELNS0_18block_padding_hintE2ELNS0_4arch9wavefront6targetE0EE19radix_bits_per_passE
	.type	_ZN7rocprim17ROCPRIM_400000_NS16block_radix_sortI6__halfLj256ELj1ElLj1ELj1ELj8ELNS0_26block_radix_rank_algorithmE2ELNS0_18block_padding_hintE2ELNS0_4arch9wavefront6targetE0EE19radix_bits_per_passE,@object
	.section	.rodata._ZN7rocprim17ROCPRIM_400000_NS16block_radix_sortI6__halfLj256ELj1ElLj1ELj1ELj8ELNS0_26block_radix_rank_algorithmE2ELNS0_18block_padding_hintE2ELNS0_4arch9wavefront6targetE0EE19radix_bits_per_passE,"aG",@progbits,_ZN7rocprim17ROCPRIM_400000_NS16block_radix_sortI6__halfLj256ELj1ElLj1ELj1ELj8ELNS0_26block_radix_rank_algorithmE2ELNS0_18block_padding_hintE2ELNS0_4arch9wavefront6targetE0EE19radix_bits_per_passE,comdat
	.weak	_ZN7rocprim17ROCPRIM_400000_NS16block_radix_sortI6__halfLj256ELj1ElLj1ELj1ELj8ELNS0_26block_radix_rank_algorithmE2ELNS0_18block_padding_hintE2ELNS0_4arch9wavefront6targetE0EE19radix_bits_per_passE
	.p2align	2, 0x0
_ZN7rocprim17ROCPRIM_400000_NS16block_radix_sortI6__halfLj256ELj1ElLj1ELj1ELj8ELNS0_26block_radix_rank_algorithmE2ELNS0_18block_padding_hintE2ELNS0_4arch9wavefront6targetE0EE19radix_bits_per_passE:
	.long	8                               ; 0x8
	.size	_ZN7rocprim17ROCPRIM_400000_NS16block_radix_sortI6__halfLj256ELj1ElLj1ELj1ELj8ELNS0_26block_radix_rank_algorithmE2ELNS0_18block_padding_hintE2ELNS0_4arch9wavefront6targetE0EE19radix_bits_per_passE, 4

	.protected	_ZN7rocprim17ROCPRIM_400000_NS16block_radix_sortI6__halfLj256ELj2ElLj1ELj1ELj8ELNS0_26block_radix_rank_algorithmE2ELNS0_18block_padding_hintE2ELNS0_4arch9wavefront6targetE0EE19radix_bits_per_passE ; @_ZN7rocprim17ROCPRIM_400000_NS16block_radix_sortI6__halfLj256ELj2ElLj1ELj1ELj8ELNS0_26block_radix_rank_algorithmE2ELNS0_18block_padding_hintE2ELNS0_4arch9wavefront6targetE0EE19radix_bits_per_passE
	.type	_ZN7rocprim17ROCPRIM_400000_NS16block_radix_sortI6__halfLj256ELj2ElLj1ELj1ELj8ELNS0_26block_radix_rank_algorithmE2ELNS0_18block_padding_hintE2ELNS0_4arch9wavefront6targetE0EE19radix_bits_per_passE,@object
	.section	.rodata._ZN7rocprim17ROCPRIM_400000_NS16block_radix_sortI6__halfLj256ELj2ElLj1ELj1ELj8ELNS0_26block_radix_rank_algorithmE2ELNS0_18block_padding_hintE2ELNS0_4arch9wavefront6targetE0EE19radix_bits_per_passE,"aG",@progbits,_ZN7rocprim17ROCPRIM_400000_NS16block_radix_sortI6__halfLj256ELj2ElLj1ELj1ELj8ELNS0_26block_radix_rank_algorithmE2ELNS0_18block_padding_hintE2ELNS0_4arch9wavefront6targetE0EE19radix_bits_per_passE,comdat
	.weak	_ZN7rocprim17ROCPRIM_400000_NS16block_radix_sortI6__halfLj256ELj2ElLj1ELj1ELj8ELNS0_26block_radix_rank_algorithmE2ELNS0_18block_padding_hintE2ELNS0_4arch9wavefront6targetE0EE19radix_bits_per_passE
	.p2align	2, 0x0
_ZN7rocprim17ROCPRIM_400000_NS16block_radix_sortI6__halfLj256ELj2ElLj1ELj1ELj8ELNS0_26block_radix_rank_algorithmE2ELNS0_18block_padding_hintE2ELNS0_4arch9wavefront6targetE0EE19radix_bits_per_passE:
	.long	8                               ; 0x8
	.size	_ZN7rocprim17ROCPRIM_400000_NS16block_radix_sortI6__halfLj256ELj2ElLj1ELj1ELj8ELNS0_26block_radix_rank_algorithmE2ELNS0_18block_padding_hintE2ELNS0_4arch9wavefront6targetE0EE19radix_bits_per_passE, 4

	.protected	_ZN7rocprim17ROCPRIM_400000_NS16block_radix_sortI6__halfLj256ELj4ElLj1ELj1ELj8ELNS0_26block_radix_rank_algorithmE2ELNS0_18block_padding_hintE2ELNS0_4arch9wavefront6targetE0EE19radix_bits_per_passE ; @_ZN7rocprim17ROCPRIM_400000_NS16block_radix_sortI6__halfLj256ELj4ElLj1ELj1ELj8ELNS0_26block_radix_rank_algorithmE2ELNS0_18block_padding_hintE2ELNS0_4arch9wavefront6targetE0EE19radix_bits_per_passE
	.type	_ZN7rocprim17ROCPRIM_400000_NS16block_radix_sortI6__halfLj256ELj4ElLj1ELj1ELj8ELNS0_26block_radix_rank_algorithmE2ELNS0_18block_padding_hintE2ELNS0_4arch9wavefront6targetE0EE19radix_bits_per_passE,@object
	.section	.rodata._ZN7rocprim17ROCPRIM_400000_NS16block_radix_sortI6__halfLj256ELj4ElLj1ELj1ELj8ELNS0_26block_radix_rank_algorithmE2ELNS0_18block_padding_hintE2ELNS0_4arch9wavefront6targetE0EE19radix_bits_per_passE,"aG",@progbits,_ZN7rocprim17ROCPRIM_400000_NS16block_radix_sortI6__halfLj256ELj4ElLj1ELj1ELj8ELNS0_26block_radix_rank_algorithmE2ELNS0_18block_padding_hintE2ELNS0_4arch9wavefront6targetE0EE19radix_bits_per_passE,comdat
	.weak	_ZN7rocprim17ROCPRIM_400000_NS16block_radix_sortI6__halfLj256ELj4ElLj1ELj1ELj8ELNS0_26block_radix_rank_algorithmE2ELNS0_18block_padding_hintE2ELNS0_4arch9wavefront6targetE0EE19radix_bits_per_passE
	.p2align	2, 0x0
_ZN7rocprim17ROCPRIM_400000_NS16block_radix_sortI6__halfLj256ELj4ElLj1ELj1ELj8ELNS0_26block_radix_rank_algorithmE2ELNS0_18block_padding_hintE2ELNS0_4arch9wavefront6targetE0EE19radix_bits_per_passE:
	.long	8                               ; 0x8
	.size	_ZN7rocprim17ROCPRIM_400000_NS16block_radix_sortI6__halfLj256ELj4ElLj1ELj1ELj8ELNS0_26block_radix_rank_algorithmE2ELNS0_18block_padding_hintE2ELNS0_4arch9wavefront6targetE0EE19radix_bits_per_passE, 4

	.protected	_ZN7rocprim17ROCPRIM_400000_NS16block_radix_sortI6__halfLj256ELj8ElLj1ELj1ELj8ELNS0_26block_radix_rank_algorithmE2ELNS0_18block_padding_hintE2ELNS0_4arch9wavefront6targetE0EE19radix_bits_per_passE ; @_ZN7rocprim17ROCPRIM_400000_NS16block_radix_sortI6__halfLj256ELj8ElLj1ELj1ELj8ELNS0_26block_radix_rank_algorithmE2ELNS0_18block_padding_hintE2ELNS0_4arch9wavefront6targetE0EE19radix_bits_per_passE
	.type	_ZN7rocprim17ROCPRIM_400000_NS16block_radix_sortI6__halfLj256ELj8ElLj1ELj1ELj8ELNS0_26block_radix_rank_algorithmE2ELNS0_18block_padding_hintE2ELNS0_4arch9wavefront6targetE0EE19radix_bits_per_passE,@object
	.section	.rodata._ZN7rocprim17ROCPRIM_400000_NS16block_radix_sortI6__halfLj256ELj8ElLj1ELj1ELj8ELNS0_26block_radix_rank_algorithmE2ELNS0_18block_padding_hintE2ELNS0_4arch9wavefront6targetE0EE19radix_bits_per_passE,"aG",@progbits,_ZN7rocprim17ROCPRIM_400000_NS16block_radix_sortI6__halfLj256ELj8ElLj1ELj1ELj8ELNS0_26block_radix_rank_algorithmE2ELNS0_18block_padding_hintE2ELNS0_4arch9wavefront6targetE0EE19radix_bits_per_passE,comdat
	.weak	_ZN7rocprim17ROCPRIM_400000_NS16block_radix_sortI6__halfLj256ELj8ElLj1ELj1ELj8ELNS0_26block_radix_rank_algorithmE2ELNS0_18block_padding_hintE2ELNS0_4arch9wavefront6targetE0EE19radix_bits_per_passE
	.p2align	2, 0x0
_ZN7rocprim17ROCPRIM_400000_NS16block_radix_sortI6__halfLj256ELj8ElLj1ELj1ELj8ELNS0_26block_radix_rank_algorithmE2ELNS0_18block_padding_hintE2ELNS0_4arch9wavefront6targetE0EE19radix_bits_per_passE:
	.long	8                               ; 0x8
	.size	_ZN7rocprim17ROCPRIM_400000_NS16block_radix_sortI6__halfLj256ELj8ElLj1ELj1ELj8ELNS0_26block_radix_rank_algorithmE2ELNS0_18block_padding_hintE2ELNS0_4arch9wavefront6targetE0EE19radix_bits_per_passE, 4

	.protected	_ZN7rocprim17ROCPRIM_400000_NS16block_radix_sortI6__halfLj256ELj16ElLj1ELj1ELj8ELNS0_26block_radix_rank_algorithmE2ELNS0_18block_padding_hintE2ELNS0_4arch9wavefront6targetE0EE19radix_bits_per_passE ; @_ZN7rocprim17ROCPRIM_400000_NS16block_radix_sortI6__halfLj256ELj16ElLj1ELj1ELj8ELNS0_26block_radix_rank_algorithmE2ELNS0_18block_padding_hintE2ELNS0_4arch9wavefront6targetE0EE19radix_bits_per_passE
	.type	_ZN7rocprim17ROCPRIM_400000_NS16block_radix_sortI6__halfLj256ELj16ElLj1ELj1ELj8ELNS0_26block_radix_rank_algorithmE2ELNS0_18block_padding_hintE2ELNS0_4arch9wavefront6targetE0EE19radix_bits_per_passE,@object
	.section	.rodata._ZN7rocprim17ROCPRIM_400000_NS16block_radix_sortI6__halfLj256ELj16ElLj1ELj1ELj8ELNS0_26block_radix_rank_algorithmE2ELNS0_18block_padding_hintE2ELNS0_4arch9wavefront6targetE0EE19radix_bits_per_passE,"aG",@progbits,_ZN7rocprim17ROCPRIM_400000_NS16block_radix_sortI6__halfLj256ELj16ElLj1ELj1ELj8ELNS0_26block_radix_rank_algorithmE2ELNS0_18block_padding_hintE2ELNS0_4arch9wavefront6targetE0EE19radix_bits_per_passE,comdat
	.weak	_ZN7rocprim17ROCPRIM_400000_NS16block_radix_sortI6__halfLj256ELj16ElLj1ELj1ELj8ELNS0_26block_radix_rank_algorithmE2ELNS0_18block_padding_hintE2ELNS0_4arch9wavefront6targetE0EE19radix_bits_per_passE
	.p2align	2, 0x0
_ZN7rocprim17ROCPRIM_400000_NS16block_radix_sortI6__halfLj256ELj16ElLj1ELj1ELj8ELNS0_26block_radix_rank_algorithmE2ELNS0_18block_padding_hintE2ELNS0_4arch9wavefront6targetE0EE19radix_bits_per_passE:
	.long	8                               ; 0x8
	.size	_ZN7rocprim17ROCPRIM_400000_NS16block_radix_sortI6__halfLj256ELj16ElLj1ELj1ELj8ELNS0_26block_radix_rank_algorithmE2ELNS0_18block_padding_hintE2ELNS0_4arch9wavefront6targetE0EE19radix_bits_per_passE, 4

	.protected	_ZN7rocprim17ROCPRIM_400000_NS16block_radix_sortI12hip_bfloat16Lj256ELj1ElLj1ELj1ELj8ELNS0_26block_radix_rank_algorithmE2ELNS0_18block_padding_hintE2ELNS0_4arch9wavefront6targetE0EE19radix_bits_per_passE ; @_ZN7rocprim17ROCPRIM_400000_NS16block_radix_sortI12hip_bfloat16Lj256ELj1ElLj1ELj1ELj8ELNS0_26block_radix_rank_algorithmE2ELNS0_18block_padding_hintE2ELNS0_4arch9wavefront6targetE0EE19radix_bits_per_passE
	.type	_ZN7rocprim17ROCPRIM_400000_NS16block_radix_sortI12hip_bfloat16Lj256ELj1ElLj1ELj1ELj8ELNS0_26block_radix_rank_algorithmE2ELNS0_18block_padding_hintE2ELNS0_4arch9wavefront6targetE0EE19radix_bits_per_passE,@object
	.section	.rodata._ZN7rocprim17ROCPRIM_400000_NS16block_radix_sortI12hip_bfloat16Lj256ELj1ElLj1ELj1ELj8ELNS0_26block_radix_rank_algorithmE2ELNS0_18block_padding_hintE2ELNS0_4arch9wavefront6targetE0EE19radix_bits_per_passE,"aG",@progbits,_ZN7rocprim17ROCPRIM_400000_NS16block_radix_sortI12hip_bfloat16Lj256ELj1ElLj1ELj1ELj8ELNS0_26block_radix_rank_algorithmE2ELNS0_18block_padding_hintE2ELNS0_4arch9wavefront6targetE0EE19radix_bits_per_passE,comdat
	.weak	_ZN7rocprim17ROCPRIM_400000_NS16block_radix_sortI12hip_bfloat16Lj256ELj1ElLj1ELj1ELj8ELNS0_26block_radix_rank_algorithmE2ELNS0_18block_padding_hintE2ELNS0_4arch9wavefront6targetE0EE19radix_bits_per_passE
	.p2align	2, 0x0
_ZN7rocprim17ROCPRIM_400000_NS16block_radix_sortI12hip_bfloat16Lj256ELj1ElLj1ELj1ELj8ELNS0_26block_radix_rank_algorithmE2ELNS0_18block_padding_hintE2ELNS0_4arch9wavefront6targetE0EE19radix_bits_per_passE:
	.long	8                               ; 0x8
	.size	_ZN7rocprim17ROCPRIM_400000_NS16block_radix_sortI12hip_bfloat16Lj256ELj1ElLj1ELj1ELj8ELNS0_26block_radix_rank_algorithmE2ELNS0_18block_padding_hintE2ELNS0_4arch9wavefront6targetE0EE19radix_bits_per_passE, 4

	.protected	_ZN7rocprim17ROCPRIM_400000_NS16block_radix_sortI12hip_bfloat16Lj256ELj2ElLj1ELj1ELj8ELNS0_26block_radix_rank_algorithmE2ELNS0_18block_padding_hintE2ELNS0_4arch9wavefront6targetE0EE19radix_bits_per_passE ; @_ZN7rocprim17ROCPRIM_400000_NS16block_radix_sortI12hip_bfloat16Lj256ELj2ElLj1ELj1ELj8ELNS0_26block_radix_rank_algorithmE2ELNS0_18block_padding_hintE2ELNS0_4arch9wavefront6targetE0EE19radix_bits_per_passE
	.type	_ZN7rocprim17ROCPRIM_400000_NS16block_radix_sortI12hip_bfloat16Lj256ELj2ElLj1ELj1ELj8ELNS0_26block_radix_rank_algorithmE2ELNS0_18block_padding_hintE2ELNS0_4arch9wavefront6targetE0EE19radix_bits_per_passE,@object
	.section	.rodata._ZN7rocprim17ROCPRIM_400000_NS16block_radix_sortI12hip_bfloat16Lj256ELj2ElLj1ELj1ELj8ELNS0_26block_radix_rank_algorithmE2ELNS0_18block_padding_hintE2ELNS0_4arch9wavefront6targetE0EE19radix_bits_per_passE,"aG",@progbits,_ZN7rocprim17ROCPRIM_400000_NS16block_radix_sortI12hip_bfloat16Lj256ELj2ElLj1ELj1ELj8ELNS0_26block_radix_rank_algorithmE2ELNS0_18block_padding_hintE2ELNS0_4arch9wavefront6targetE0EE19radix_bits_per_passE,comdat
	.weak	_ZN7rocprim17ROCPRIM_400000_NS16block_radix_sortI12hip_bfloat16Lj256ELj2ElLj1ELj1ELj8ELNS0_26block_radix_rank_algorithmE2ELNS0_18block_padding_hintE2ELNS0_4arch9wavefront6targetE0EE19radix_bits_per_passE
	.p2align	2, 0x0
_ZN7rocprim17ROCPRIM_400000_NS16block_radix_sortI12hip_bfloat16Lj256ELj2ElLj1ELj1ELj8ELNS0_26block_radix_rank_algorithmE2ELNS0_18block_padding_hintE2ELNS0_4arch9wavefront6targetE0EE19radix_bits_per_passE:
	.long	8                               ; 0x8
	.size	_ZN7rocprim17ROCPRIM_400000_NS16block_radix_sortI12hip_bfloat16Lj256ELj2ElLj1ELj1ELj8ELNS0_26block_radix_rank_algorithmE2ELNS0_18block_padding_hintE2ELNS0_4arch9wavefront6targetE0EE19radix_bits_per_passE, 4

	.protected	_ZN7rocprim17ROCPRIM_400000_NS16block_radix_sortI12hip_bfloat16Lj256ELj4ElLj1ELj1ELj8ELNS0_26block_radix_rank_algorithmE2ELNS0_18block_padding_hintE2ELNS0_4arch9wavefront6targetE0EE19radix_bits_per_passE ; @_ZN7rocprim17ROCPRIM_400000_NS16block_radix_sortI12hip_bfloat16Lj256ELj4ElLj1ELj1ELj8ELNS0_26block_radix_rank_algorithmE2ELNS0_18block_padding_hintE2ELNS0_4arch9wavefront6targetE0EE19radix_bits_per_passE
	.type	_ZN7rocprim17ROCPRIM_400000_NS16block_radix_sortI12hip_bfloat16Lj256ELj4ElLj1ELj1ELj8ELNS0_26block_radix_rank_algorithmE2ELNS0_18block_padding_hintE2ELNS0_4arch9wavefront6targetE0EE19radix_bits_per_passE,@object
	.section	.rodata._ZN7rocprim17ROCPRIM_400000_NS16block_radix_sortI12hip_bfloat16Lj256ELj4ElLj1ELj1ELj8ELNS0_26block_radix_rank_algorithmE2ELNS0_18block_padding_hintE2ELNS0_4arch9wavefront6targetE0EE19radix_bits_per_passE,"aG",@progbits,_ZN7rocprim17ROCPRIM_400000_NS16block_radix_sortI12hip_bfloat16Lj256ELj4ElLj1ELj1ELj8ELNS0_26block_radix_rank_algorithmE2ELNS0_18block_padding_hintE2ELNS0_4arch9wavefront6targetE0EE19radix_bits_per_passE,comdat
	.weak	_ZN7rocprim17ROCPRIM_400000_NS16block_radix_sortI12hip_bfloat16Lj256ELj4ElLj1ELj1ELj8ELNS0_26block_radix_rank_algorithmE2ELNS0_18block_padding_hintE2ELNS0_4arch9wavefront6targetE0EE19radix_bits_per_passE
	.p2align	2, 0x0
_ZN7rocprim17ROCPRIM_400000_NS16block_radix_sortI12hip_bfloat16Lj256ELj4ElLj1ELj1ELj8ELNS0_26block_radix_rank_algorithmE2ELNS0_18block_padding_hintE2ELNS0_4arch9wavefront6targetE0EE19radix_bits_per_passE:
	.long	8                               ; 0x8
	.size	_ZN7rocprim17ROCPRIM_400000_NS16block_radix_sortI12hip_bfloat16Lj256ELj4ElLj1ELj1ELj8ELNS0_26block_radix_rank_algorithmE2ELNS0_18block_padding_hintE2ELNS0_4arch9wavefront6targetE0EE19radix_bits_per_passE, 4

	.protected	_ZN7rocprim17ROCPRIM_400000_NS16block_radix_sortI12hip_bfloat16Lj256ELj8ElLj1ELj1ELj8ELNS0_26block_radix_rank_algorithmE2ELNS0_18block_padding_hintE2ELNS0_4arch9wavefront6targetE0EE19radix_bits_per_passE ; @_ZN7rocprim17ROCPRIM_400000_NS16block_radix_sortI12hip_bfloat16Lj256ELj8ElLj1ELj1ELj8ELNS0_26block_radix_rank_algorithmE2ELNS0_18block_padding_hintE2ELNS0_4arch9wavefront6targetE0EE19radix_bits_per_passE
	.type	_ZN7rocprim17ROCPRIM_400000_NS16block_radix_sortI12hip_bfloat16Lj256ELj8ElLj1ELj1ELj8ELNS0_26block_radix_rank_algorithmE2ELNS0_18block_padding_hintE2ELNS0_4arch9wavefront6targetE0EE19radix_bits_per_passE,@object
	.section	.rodata._ZN7rocprim17ROCPRIM_400000_NS16block_radix_sortI12hip_bfloat16Lj256ELj8ElLj1ELj1ELj8ELNS0_26block_radix_rank_algorithmE2ELNS0_18block_padding_hintE2ELNS0_4arch9wavefront6targetE0EE19radix_bits_per_passE,"aG",@progbits,_ZN7rocprim17ROCPRIM_400000_NS16block_radix_sortI12hip_bfloat16Lj256ELj8ElLj1ELj1ELj8ELNS0_26block_radix_rank_algorithmE2ELNS0_18block_padding_hintE2ELNS0_4arch9wavefront6targetE0EE19radix_bits_per_passE,comdat
	.weak	_ZN7rocprim17ROCPRIM_400000_NS16block_radix_sortI12hip_bfloat16Lj256ELj8ElLj1ELj1ELj8ELNS0_26block_radix_rank_algorithmE2ELNS0_18block_padding_hintE2ELNS0_4arch9wavefront6targetE0EE19radix_bits_per_passE
	.p2align	2, 0x0
_ZN7rocprim17ROCPRIM_400000_NS16block_radix_sortI12hip_bfloat16Lj256ELj8ElLj1ELj1ELj8ELNS0_26block_radix_rank_algorithmE2ELNS0_18block_padding_hintE2ELNS0_4arch9wavefront6targetE0EE19radix_bits_per_passE:
	.long	8                               ; 0x8
	.size	_ZN7rocprim17ROCPRIM_400000_NS16block_radix_sortI12hip_bfloat16Lj256ELj8ElLj1ELj1ELj8ELNS0_26block_radix_rank_algorithmE2ELNS0_18block_padding_hintE2ELNS0_4arch9wavefront6targetE0EE19radix_bits_per_passE, 4

	.protected	_ZN7rocprim17ROCPRIM_400000_NS16block_radix_sortI12hip_bfloat16Lj256ELj16ElLj1ELj1ELj8ELNS0_26block_radix_rank_algorithmE2ELNS0_18block_padding_hintE2ELNS0_4arch9wavefront6targetE0EE19radix_bits_per_passE ; @_ZN7rocprim17ROCPRIM_400000_NS16block_radix_sortI12hip_bfloat16Lj256ELj16ElLj1ELj1ELj8ELNS0_26block_radix_rank_algorithmE2ELNS0_18block_padding_hintE2ELNS0_4arch9wavefront6targetE0EE19radix_bits_per_passE
	.type	_ZN7rocprim17ROCPRIM_400000_NS16block_radix_sortI12hip_bfloat16Lj256ELj16ElLj1ELj1ELj8ELNS0_26block_radix_rank_algorithmE2ELNS0_18block_padding_hintE2ELNS0_4arch9wavefront6targetE0EE19radix_bits_per_passE,@object
	.section	.rodata._ZN7rocprim17ROCPRIM_400000_NS16block_radix_sortI12hip_bfloat16Lj256ELj16ElLj1ELj1ELj8ELNS0_26block_radix_rank_algorithmE2ELNS0_18block_padding_hintE2ELNS0_4arch9wavefront6targetE0EE19radix_bits_per_passE,"aG",@progbits,_ZN7rocprim17ROCPRIM_400000_NS16block_radix_sortI12hip_bfloat16Lj256ELj16ElLj1ELj1ELj8ELNS0_26block_radix_rank_algorithmE2ELNS0_18block_padding_hintE2ELNS0_4arch9wavefront6targetE0EE19radix_bits_per_passE,comdat
	.weak	_ZN7rocprim17ROCPRIM_400000_NS16block_radix_sortI12hip_bfloat16Lj256ELj16ElLj1ELj1ELj8ELNS0_26block_radix_rank_algorithmE2ELNS0_18block_padding_hintE2ELNS0_4arch9wavefront6targetE0EE19radix_bits_per_passE
	.p2align	2, 0x0
_ZN7rocprim17ROCPRIM_400000_NS16block_radix_sortI12hip_bfloat16Lj256ELj16ElLj1ELj1ELj8ELNS0_26block_radix_rank_algorithmE2ELNS0_18block_padding_hintE2ELNS0_4arch9wavefront6targetE0EE19radix_bits_per_passE:
	.long	8                               ; 0x8
	.size	_ZN7rocprim17ROCPRIM_400000_NS16block_radix_sortI12hip_bfloat16Lj256ELj16ElLj1ELj1ELj8ELNS0_26block_radix_rank_algorithmE2ELNS0_18block_padding_hintE2ELNS0_4arch9wavefront6targetE0EE19radix_bits_per_passE, 4

	.type	__hip_cuid_9303314d4450aea9,@object ; @__hip_cuid_9303314d4450aea9
	.section	.bss,"aw",@nobits
	.globl	__hip_cuid_9303314d4450aea9
__hip_cuid_9303314d4450aea9:
	.byte	0                               ; 0x0
	.size	__hip_cuid_9303314d4450aea9, 1

	.ident	"AMD clang version 19.0.0git (https://github.com/RadeonOpenCompute/llvm-project roc-6.4.0 25133 c7fe45cf4b819c5991fe208aaa96edf142730f1d)"
	.section	".note.GNU-stack","",@progbits
	.addrsig
	.addrsig_sym __hip_cuid_9303314d4450aea9
	.amdgpu_metadata
---
amdhsa.kernels:
  - .args:
      - .address_space:  global
        .offset:         0
        .size:           8
        .value_kind:     global_buffer
      - .offset:         8
        .size:           4
        .value_kind:     by_value
      - .offset:         12
        .size:           12
        .value_kind:     by_value
      - .offset:         24
        .size:           4
        .value_kind:     hidden_block_count_x
      - .offset:         28
        .size:           4
        .value_kind:     hidden_block_count_y
      - .offset:         32
        .size:           4
        .value_kind:     hidden_block_count_z
      - .offset:         36
        .size:           2
        .value_kind:     hidden_group_size_x
      - .offset:         38
        .size:           2
        .value_kind:     hidden_group_size_y
      - .offset:         40
        .size:           2
        .value_kind:     hidden_group_size_z
      - .offset:         42
        .size:           2
        .value_kind:     hidden_remainder_x
      - .offset:         44
        .size:           2
        .value_kind:     hidden_remainder_y
      - .offset:         46
        .size:           2
        .value_kind:     hidden_remainder_z
      - .offset:         64
        .size:           8
        .value_kind:     hidden_global_offset_x
      - .offset:         72
        .size:           8
        .value_kind:     hidden_global_offset_y
      - .offset:         80
        .size:           8
        .value_kind:     hidden_global_offset_z
      - .offset:         88
        .size:           2
        .value_kind:     hidden_grid_dims
    .group_segment_fixed_size: 0
    .kernarg_segment_align: 8
    .kernarg_segment_size: 280
    .language:       OpenCL C
    .language_version:
      - 2
      - 0
    .max_flat_workgroup_size: 1024
    .name:           _ZN2at6native12_GLOBAL__N_129fill_index_and_segment_kernelEP15HIP_vector_typeIiLj2EEiNS_4cuda6detail10IntDividerIjEE
    .private_segment_fixed_size: 0
    .sgpr_count:     18
    .sgpr_spill_count: 0
    .symbol:         _ZN2at6native12_GLOBAL__N_129fill_index_and_segment_kernelEP15HIP_vector_typeIiLj2EEiNS_4cuda6detail10IntDividerIjEE.kd
    .uniform_work_group_size: 1
    .uses_dynamic_stack: false
    .vgpr_count:     13
    .vgpr_spill_count: 0
    .wavefront_size: 32
    .workgroup_processor_mode: 1
  - .args:
      - .address_space:  global
        .offset:         0
        .size:           8
        .value_kind:     global_buffer
      - .offset:         8
        .size:           4
        .value_kind:     by_value
      - .offset:         12
        .size:           12
        .value_kind:     by_value
      - .offset:         24
        .size:           4
        .value_kind:     hidden_block_count_x
      - .offset:         28
        .size:           4
        .value_kind:     hidden_block_count_y
      - .offset:         32
        .size:           4
        .value_kind:     hidden_block_count_z
      - .offset:         36
        .size:           2
        .value_kind:     hidden_group_size_x
      - .offset:         38
        .size:           2
        .value_kind:     hidden_group_size_y
      - .offset:         40
        .size:           2
        .value_kind:     hidden_group_size_z
      - .offset:         42
        .size:           2
        .value_kind:     hidden_remainder_x
      - .offset:         44
        .size:           2
        .value_kind:     hidden_remainder_y
      - .offset:         46
        .size:           2
        .value_kind:     hidden_remainder_z
      - .offset:         64
        .size:           8
        .value_kind:     hidden_global_offset_x
      - .offset:         72
        .size:           8
        .value_kind:     hidden_global_offset_y
      - .offset:         80
        .size:           8
        .value_kind:     hidden_global_offset_z
      - .offset:         88
        .size:           2
        .value_kind:     hidden_grid_dims
    .group_segment_fixed_size: 0
    .kernarg_segment_align: 8
    .kernarg_segment_size: 280
    .language:       OpenCL C
    .language_version:
      - 2
      - 0
    .max_flat_workgroup_size: 1024
    .name:           _ZN2at6native12_GLOBAL__N_127fill_reverse_indices_kernelEPliNS_4cuda6detail10IntDividerIjEE
    .private_segment_fixed_size: 0
    .sgpr_count:     18
    .sgpr_spill_count: 0
    .symbol:         _ZN2at6native12_GLOBAL__N_127fill_reverse_indices_kernelEPliNS_4cuda6detail10IntDividerIjEE.kd
    .uniform_work_group_size: 1
    .uses_dynamic_stack: false
    .vgpr_count:     12
    .vgpr_spill_count: 0
    .wavefront_size: 32
    .workgroup_processor_mode: 1
  - .args:
      - .address_space:  global
        .offset:         0
        .size:           8
        .value_kind:     global_buffer
      - .address_space:  global
        .offset:         8
        .size:           8
        .value_kind:     global_buffer
      - .address_space:  global
        .offset:         16
        .size:           8
        .value_kind:     global_buffer
      - .address_space:  global
        .offset:         24
        .size:           8
        .value_kind:     global_buffer
      - .offset:         32
        .size:           4
        .value_kind:     by_value
      - .offset:         36
        .size:           4
        .value_kind:     by_value
      - .offset:         40
        .size:           4
        .value_kind:     hidden_block_count_x
      - .offset:         44
        .size:           4
        .value_kind:     hidden_block_count_y
      - .offset:         48
        .size:           4
        .value_kind:     hidden_block_count_z
      - .offset:         52
        .size:           2
        .value_kind:     hidden_group_size_x
      - .offset:         54
        .size:           2
        .value_kind:     hidden_group_size_y
      - .offset:         56
        .size:           2
        .value_kind:     hidden_group_size_z
      - .offset:         58
        .size:           2
        .value_kind:     hidden_remainder_x
      - .offset:         60
        .size:           2
        .value_kind:     hidden_remainder_y
      - .offset:         62
        .size:           2
        .value_kind:     hidden_remainder_z
      - .offset:         80
        .size:           8
        .value_kind:     hidden_global_offset_x
      - .offset:         88
        .size:           8
        .value_kind:     hidden_global_offset_y
      - .offset:         96
        .size:           8
        .value_kind:     hidden_global_offset_z
      - .offset:         104
        .size:           2
        .value_kind:     hidden_grid_dims
    .group_segment_fixed_size: 0
    .kernarg_segment_align: 8
    .kernarg_segment_size: 296
    .language:       OpenCL C
    .language_version:
      - 2
      - 0
    .max_flat_workgroup_size: 1024
    .name:           _ZN2at6native12_GLOBAL__N_123sort_postprocess_kernelIhEEvPKT_PS3_PlPK15HIP_vector_typeIiLj2EEii
    .private_segment_fixed_size: 0
    .sgpr_count:     18
    .sgpr_spill_count: 0
    .symbol:         _ZN2at6native12_GLOBAL__N_123sort_postprocess_kernelIhEEvPKT_PS3_PlPK15HIP_vector_typeIiLj2EEii.kd
    .uniform_work_group_size: 1
    .uses_dynamic_stack: false
    .vgpr_count:     15
    .vgpr_spill_count: 0
    .wavefront_size: 32
    .workgroup_processor_mode: 1
  - .args:
      - .address_space:  global
        .offset:         0
        .size:           8
        .value_kind:     global_buffer
      - .offset:         8
        .size:           4
        .value_kind:     by_value
      - .offset:         12
        .size:           1
        .value_kind:     by_value
      - .offset:         16
        .size:           4
        .value_kind:     by_value
      - .address_space:  global
        .offset:         24
        .size:           8
        .value_kind:     global_buffer
      - .offset:         32
        .size:           4
        .value_kind:     hidden_block_count_x
      - .offset:         36
        .size:           4
        .value_kind:     hidden_block_count_y
      - .offset:         40
        .size:           4
        .value_kind:     hidden_block_count_z
      - .offset:         44
        .size:           2
        .value_kind:     hidden_group_size_x
      - .offset:         46
        .size:           2
        .value_kind:     hidden_group_size_y
      - .offset:         48
        .size:           2
        .value_kind:     hidden_group_size_z
      - .offset:         50
        .size:           2
        .value_kind:     hidden_remainder_x
      - .offset:         52
        .size:           2
        .value_kind:     hidden_remainder_y
      - .offset:         54
        .size:           2
        .value_kind:     hidden_remainder_z
      - .offset:         72
        .size:           8
        .value_kind:     hidden_global_offset_x
      - .offset:         80
        .size:           8
        .value_kind:     hidden_global_offset_y
      - .offset:         88
        .size:           8
        .value_kind:     hidden_global_offset_z
      - .offset:         96
        .size:           2
        .value_kind:     hidden_grid_dims
    .group_segment_fixed_size: 0
    .kernarg_segment_align: 8
    .kernarg_segment_size: 288
    .language:       OpenCL C
    .language_version:
      - 2
      - 0
    .max_flat_workgroup_size: 256
    .name:           _ZN7rocprim17ROCPRIM_400000_NS6detail31init_lookback_scan_state_kernelINS1_19lookback_scan_stateI15HIP_vector_typeIjLj2EELb0ELb1EEENS1_16block_id_wrapperIjLb0EEEEEvT_jT0_jPNS9_10value_typeE
    .private_segment_fixed_size: 0
    .sgpr_count:     18
    .sgpr_spill_count: 0
    .symbol:         _ZN7rocprim17ROCPRIM_400000_NS6detail31init_lookback_scan_state_kernelINS1_19lookback_scan_stateI15HIP_vector_typeIjLj2EELb0ELb1EEENS1_16block_id_wrapperIjLb0EEEEEvT_jT0_jPNS9_10value_typeE.kd
    .uniform_work_group_size: 1
    .uses_dynamic_stack: false
    .vgpr_count:     9
    .vgpr_spill_count: 0
    .wavefront_size: 32
    .workgroup_processor_mode: 1
  - .args:
      - .offset:         0
        .size:           176
        .value_kind:     by_value
    .group_segment_fixed_size: 0
    .kernarg_segment_align: 8
    .kernarg_segment_size: 176
    .language:       OpenCL C
    .language_version:
      - 2
      - 0
    .max_flat_workgroup_size: 256
    .name:           _ZN7rocprim17ROCPRIM_400000_NS6detail17trampoline_kernelINS0_13select_configILj256ELj13ELNS0_17block_load_methodE3ELS4_3ELS4_3ELNS0_20block_scan_algorithmE0ELj4294967295EEENS1_25partition_config_selectorILNS1_17partition_subalgoE4EjNS0_10empty_typeEbEEZZNS1_14partition_implILS8_4ELb0ES6_15HIP_vector_typeIjLj2EENS0_17counting_iteratorIjlEEPS9_SG_NS0_5tupleIJPjSI_NS0_16reverse_iteratorISI_EEEEENSH_IJSG_SG_SG_EEES9_SI_JZNS1_25segmented_radix_sort_implINS0_14default_configELb1EPKhPhPKlPlN2at6native12_GLOBAL__N_18offset_tEEE10hipError_tPvRmT1_PNSt15iterator_traitsIS12_E10value_typeET2_T3_PNS13_IS18_E10value_typeET4_jRbjT5_S1E_jjP12ihipStream_tbEUljE_ZNSN_ISO_Lb1ESQ_SR_ST_SU_SY_EESZ_S10_S11_S12_S16_S17_S18_S1B_S1C_jS1D_jS1E_S1E_jjS1G_bEUljE0_EEESZ_S10_S11_S18_S1C_S1E_T6_T7_T9_mT8_S1G_bDpT10_ENKUlT_T0_E_clISt17integral_constantIbLb0EES1U_EEDaS1P_S1Q_EUlS1P_E_NS1_11comp_targetILNS1_3genE0ELNS1_11target_archE4294967295ELNS1_3gpuE0ELNS1_3repE0EEENS1_30default_config_static_selectorELNS0_4arch9wavefront6targetE0EEEvS12_
    .private_segment_fixed_size: 0
    .sgpr_count:     0
    .sgpr_spill_count: 0
    .symbol:         _ZN7rocprim17ROCPRIM_400000_NS6detail17trampoline_kernelINS0_13select_configILj256ELj13ELNS0_17block_load_methodE3ELS4_3ELS4_3ELNS0_20block_scan_algorithmE0ELj4294967295EEENS1_25partition_config_selectorILNS1_17partition_subalgoE4EjNS0_10empty_typeEbEEZZNS1_14partition_implILS8_4ELb0ES6_15HIP_vector_typeIjLj2EENS0_17counting_iteratorIjlEEPS9_SG_NS0_5tupleIJPjSI_NS0_16reverse_iteratorISI_EEEEENSH_IJSG_SG_SG_EEES9_SI_JZNS1_25segmented_radix_sort_implINS0_14default_configELb1EPKhPhPKlPlN2at6native12_GLOBAL__N_18offset_tEEE10hipError_tPvRmT1_PNSt15iterator_traitsIS12_E10value_typeET2_T3_PNS13_IS18_E10value_typeET4_jRbjT5_S1E_jjP12ihipStream_tbEUljE_ZNSN_ISO_Lb1ESQ_SR_ST_SU_SY_EESZ_S10_S11_S12_S16_S17_S18_S1B_S1C_jS1D_jS1E_S1E_jjS1G_bEUljE0_EEESZ_S10_S11_S18_S1C_S1E_T6_T7_T9_mT8_S1G_bDpT10_ENKUlT_T0_E_clISt17integral_constantIbLb0EES1U_EEDaS1P_S1Q_EUlS1P_E_NS1_11comp_targetILNS1_3genE0ELNS1_11target_archE4294967295ELNS1_3gpuE0ELNS1_3repE0EEENS1_30default_config_static_selectorELNS0_4arch9wavefront6targetE0EEEvS12_.kd
    .uniform_work_group_size: 1
    .uses_dynamic_stack: false
    .vgpr_count:     0
    .vgpr_spill_count: 0
    .wavefront_size: 32
    .workgroup_processor_mode: 1
  - .args:
      - .offset:         0
        .size:           176
        .value_kind:     by_value
    .group_segment_fixed_size: 0
    .kernarg_segment_align: 8
    .kernarg_segment_size: 176
    .language:       OpenCL C
    .language_version:
      - 2
      - 0
    .max_flat_workgroup_size: 256
    .name:           _ZN7rocprim17ROCPRIM_400000_NS6detail17trampoline_kernelINS0_13select_configILj256ELj13ELNS0_17block_load_methodE3ELS4_3ELS4_3ELNS0_20block_scan_algorithmE0ELj4294967295EEENS1_25partition_config_selectorILNS1_17partition_subalgoE4EjNS0_10empty_typeEbEEZZNS1_14partition_implILS8_4ELb0ES6_15HIP_vector_typeIjLj2EENS0_17counting_iteratorIjlEEPS9_SG_NS0_5tupleIJPjSI_NS0_16reverse_iteratorISI_EEEEENSH_IJSG_SG_SG_EEES9_SI_JZNS1_25segmented_radix_sort_implINS0_14default_configELb1EPKhPhPKlPlN2at6native12_GLOBAL__N_18offset_tEEE10hipError_tPvRmT1_PNSt15iterator_traitsIS12_E10value_typeET2_T3_PNS13_IS18_E10value_typeET4_jRbjT5_S1E_jjP12ihipStream_tbEUljE_ZNSN_ISO_Lb1ESQ_SR_ST_SU_SY_EESZ_S10_S11_S12_S16_S17_S18_S1B_S1C_jS1D_jS1E_S1E_jjS1G_bEUljE0_EEESZ_S10_S11_S18_S1C_S1E_T6_T7_T9_mT8_S1G_bDpT10_ENKUlT_T0_E_clISt17integral_constantIbLb0EES1U_EEDaS1P_S1Q_EUlS1P_E_NS1_11comp_targetILNS1_3genE5ELNS1_11target_archE942ELNS1_3gpuE9ELNS1_3repE0EEENS1_30default_config_static_selectorELNS0_4arch9wavefront6targetE0EEEvS12_
    .private_segment_fixed_size: 0
    .sgpr_count:     0
    .sgpr_spill_count: 0
    .symbol:         _ZN7rocprim17ROCPRIM_400000_NS6detail17trampoline_kernelINS0_13select_configILj256ELj13ELNS0_17block_load_methodE3ELS4_3ELS4_3ELNS0_20block_scan_algorithmE0ELj4294967295EEENS1_25partition_config_selectorILNS1_17partition_subalgoE4EjNS0_10empty_typeEbEEZZNS1_14partition_implILS8_4ELb0ES6_15HIP_vector_typeIjLj2EENS0_17counting_iteratorIjlEEPS9_SG_NS0_5tupleIJPjSI_NS0_16reverse_iteratorISI_EEEEENSH_IJSG_SG_SG_EEES9_SI_JZNS1_25segmented_radix_sort_implINS0_14default_configELb1EPKhPhPKlPlN2at6native12_GLOBAL__N_18offset_tEEE10hipError_tPvRmT1_PNSt15iterator_traitsIS12_E10value_typeET2_T3_PNS13_IS18_E10value_typeET4_jRbjT5_S1E_jjP12ihipStream_tbEUljE_ZNSN_ISO_Lb1ESQ_SR_ST_SU_SY_EESZ_S10_S11_S12_S16_S17_S18_S1B_S1C_jS1D_jS1E_S1E_jjS1G_bEUljE0_EEESZ_S10_S11_S18_S1C_S1E_T6_T7_T9_mT8_S1G_bDpT10_ENKUlT_T0_E_clISt17integral_constantIbLb0EES1U_EEDaS1P_S1Q_EUlS1P_E_NS1_11comp_targetILNS1_3genE5ELNS1_11target_archE942ELNS1_3gpuE9ELNS1_3repE0EEENS1_30default_config_static_selectorELNS0_4arch9wavefront6targetE0EEEvS12_.kd
    .uniform_work_group_size: 1
    .uses_dynamic_stack: false
    .vgpr_count:     0
    .vgpr_spill_count: 0
    .wavefront_size: 32
    .workgroup_processor_mode: 1
  - .args:
      - .offset:         0
        .size:           176
        .value_kind:     by_value
    .group_segment_fixed_size: 0
    .kernarg_segment_align: 8
    .kernarg_segment_size: 176
    .language:       OpenCL C
    .language_version:
      - 2
      - 0
    .max_flat_workgroup_size: 256
    .name:           _ZN7rocprim17ROCPRIM_400000_NS6detail17trampoline_kernelINS0_13select_configILj256ELj13ELNS0_17block_load_methodE3ELS4_3ELS4_3ELNS0_20block_scan_algorithmE0ELj4294967295EEENS1_25partition_config_selectorILNS1_17partition_subalgoE4EjNS0_10empty_typeEbEEZZNS1_14partition_implILS8_4ELb0ES6_15HIP_vector_typeIjLj2EENS0_17counting_iteratorIjlEEPS9_SG_NS0_5tupleIJPjSI_NS0_16reverse_iteratorISI_EEEEENSH_IJSG_SG_SG_EEES9_SI_JZNS1_25segmented_radix_sort_implINS0_14default_configELb1EPKhPhPKlPlN2at6native12_GLOBAL__N_18offset_tEEE10hipError_tPvRmT1_PNSt15iterator_traitsIS12_E10value_typeET2_T3_PNS13_IS18_E10value_typeET4_jRbjT5_S1E_jjP12ihipStream_tbEUljE_ZNSN_ISO_Lb1ESQ_SR_ST_SU_SY_EESZ_S10_S11_S12_S16_S17_S18_S1B_S1C_jS1D_jS1E_S1E_jjS1G_bEUljE0_EEESZ_S10_S11_S18_S1C_S1E_T6_T7_T9_mT8_S1G_bDpT10_ENKUlT_T0_E_clISt17integral_constantIbLb0EES1U_EEDaS1P_S1Q_EUlS1P_E_NS1_11comp_targetILNS1_3genE4ELNS1_11target_archE910ELNS1_3gpuE8ELNS1_3repE0EEENS1_30default_config_static_selectorELNS0_4arch9wavefront6targetE0EEEvS12_
    .private_segment_fixed_size: 0
    .sgpr_count:     0
    .sgpr_spill_count: 0
    .symbol:         _ZN7rocprim17ROCPRIM_400000_NS6detail17trampoline_kernelINS0_13select_configILj256ELj13ELNS0_17block_load_methodE3ELS4_3ELS4_3ELNS0_20block_scan_algorithmE0ELj4294967295EEENS1_25partition_config_selectorILNS1_17partition_subalgoE4EjNS0_10empty_typeEbEEZZNS1_14partition_implILS8_4ELb0ES6_15HIP_vector_typeIjLj2EENS0_17counting_iteratorIjlEEPS9_SG_NS0_5tupleIJPjSI_NS0_16reverse_iteratorISI_EEEEENSH_IJSG_SG_SG_EEES9_SI_JZNS1_25segmented_radix_sort_implINS0_14default_configELb1EPKhPhPKlPlN2at6native12_GLOBAL__N_18offset_tEEE10hipError_tPvRmT1_PNSt15iterator_traitsIS12_E10value_typeET2_T3_PNS13_IS18_E10value_typeET4_jRbjT5_S1E_jjP12ihipStream_tbEUljE_ZNSN_ISO_Lb1ESQ_SR_ST_SU_SY_EESZ_S10_S11_S12_S16_S17_S18_S1B_S1C_jS1D_jS1E_S1E_jjS1G_bEUljE0_EEESZ_S10_S11_S18_S1C_S1E_T6_T7_T9_mT8_S1G_bDpT10_ENKUlT_T0_E_clISt17integral_constantIbLb0EES1U_EEDaS1P_S1Q_EUlS1P_E_NS1_11comp_targetILNS1_3genE4ELNS1_11target_archE910ELNS1_3gpuE8ELNS1_3repE0EEENS1_30default_config_static_selectorELNS0_4arch9wavefront6targetE0EEEvS12_.kd
    .uniform_work_group_size: 1
    .uses_dynamic_stack: false
    .vgpr_count:     0
    .vgpr_spill_count: 0
    .wavefront_size: 32
    .workgroup_processor_mode: 1
  - .args:
      - .offset:         0
        .size:           176
        .value_kind:     by_value
    .group_segment_fixed_size: 0
    .kernarg_segment_align: 8
    .kernarg_segment_size: 176
    .language:       OpenCL C
    .language_version:
      - 2
      - 0
    .max_flat_workgroup_size: 256
    .name:           _ZN7rocprim17ROCPRIM_400000_NS6detail17trampoline_kernelINS0_13select_configILj256ELj13ELNS0_17block_load_methodE3ELS4_3ELS4_3ELNS0_20block_scan_algorithmE0ELj4294967295EEENS1_25partition_config_selectorILNS1_17partition_subalgoE4EjNS0_10empty_typeEbEEZZNS1_14partition_implILS8_4ELb0ES6_15HIP_vector_typeIjLj2EENS0_17counting_iteratorIjlEEPS9_SG_NS0_5tupleIJPjSI_NS0_16reverse_iteratorISI_EEEEENSH_IJSG_SG_SG_EEES9_SI_JZNS1_25segmented_radix_sort_implINS0_14default_configELb1EPKhPhPKlPlN2at6native12_GLOBAL__N_18offset_tEEE10hipError_tPvRmT1_PNSt15iterator_traitsIS12_E10value_typeET2_T3_PNS13_IS18_E10value_typeET4_jRbjT5_S1E_jjP12ihipStream_tbEUljE_ZNSN_ISO_Lb1ESQ_SR_ST_SU_SY_EESZ_S10_S11_S12_S16_S17_S18_S1B_S1C_jS1D_jS1E_S1E_jjS1G_bEUljE0_EEESZ_S10_S11_S18_S1C_S1E_T6_T7_T9_mT8_S1G_bDpT10_ENKUlT_T0_E_clISt17integral_constantIbLb0EES1U_EEDaS1P_S1Q_EUlS1P_E_NS1_11comp_targetILNS1_3genE3ELNS1_11target_archE908ELNS1_3gpuE7ELNS1_3repE0EEENS1_30default_config_static_selectorELNS0_4arch9wavefront6targetE0EEEvS12_
    .private_segment_fixed_size: 0
    .sgpr_count:     0
    .sgpr_spill_count: 0
    .symbol:         _ZN7rocprim17ROCPRIM_400000_NS6detail17trampoline_kernelINS0_13select_configILj256ELj13ELNS0_17block_load_methodE3ELS4_3ELS4_3ELNS0_20block_scan_algorithmE0ELj4294967295EEENS1_25partition_config_selectorILNS1_17partition_subalgoE4EjNS0_10empty_typeEbEEZZNS1_14partition_implILS8_4ELb0ES6_15HIP_vector_typeIjLj2EENS0_17counting_iteratorIjlEEPS9_SG_NS0_5tupleIJPjSI_NS0_16reverse_iteratorISI_EEEEENSH_IJSG_SG_SG_EEES9_SI_JZNS1_25segmented_radix_sort_implINS0_14default_configELb1EPKhPhPKlPlN2at6native12_GLOBAL__N_18offset_tEEE10hipError_tPvRmT1_PNSt15iterator_traitsIS12_E10value_typeET2_T3_PNS13_IS18_E10value_typeET4_jRbjT5_S1E_jjP12ihipStream_tbEUljE_ZNSN_ISO_Lb1ESQ_SR_ST_SU_SY_EESZ_S10_S11_S12_S16_S17_S18_S1B_S1C_jS1D_jS1E_S1E_jjS1G_bEUljE0_EEESZ_S10_S11_S18_S1C_S1E_T6_T7_T9_mT8_S1G_bDpT10_ENKUlT_T0_E_clISt17integral_constantIbLb0EES1U_EEDaS1P_S1Q_EUlS1P_E_NS1_11comp_targetILNS1_3genE3ELNS1_11target_archE908ELNS1_3gpuE7ELNS1_3repE0EEENS1_30default_config_static_selectorELNS0_4arch9wavefront6targetE0EEEvS12_.kd
    .uniform_work_group_size: 1
    .uses_dynamic_stack: false
    .vgpr_count:     0
    .vgpr_spill_count: 0
    .wavefront_size: 32
    .workgroup_processor_mode: 1
  - .args:
      - .offset:         0
        .size:           176
        .value_kind:     by_value
    .group_segment_fixed_size: 0
    .kernarg_segment_align: 8
    .kernarg_segment_size: 176
    .language:       OpenCL C
    .language_version:
      - 2
      - 0
    .max_flat_workgroup_size: 256
    .name:           _ZN7rocprim17ROCPRIM_400000_NS6detail17trampoline_kernelINS0_13select_configILj256ELj13ELNS0_17block_load_methodE3ELS4_3ELS4_3ELNS0_20block_scan_algorithmE0ELj4294967295EEENS1_25partition_config_selectorILNS1_17partition_subalgoE4EjNS0_10empty_typeEbEEZZNS1_14partition_implILS8_4ELb0ES6_15HIP_vector_typeIjLj2EENS0_17counting_iteratorIjlEEPS9_SG_NS0_5tupleIJPjSI_NS0_16reverse_iteratorISI_EEEEENSH_IJSG_SG_SG_EEES9_SI_JZNS1_25segmented_radix_sort_implINS0_14default_configELb1EPKhPhPKlPlN2at6native12_GLOBAL__N_18offset_tEEE10hipError_tPvRmT1_PNSt15iterator_traitsIS12_E10value_typeET2_T3_PNS13_IS18_E10value_typeET4_jRbjT5_S1E_jjP12ihipStream_tbEUljE_ZNSN_ISO_Lb1ESQ_SR_ST_SU_SY_EESZ_S10_S11_S12_S16_S17_S18_S1B_S1C_jS1D_jS1E_S1E_jjS1G_bEUljE0_EEESZ_S10_S11_S18_S1C_S1E_T6_T7_T9_mT8_S1G_bDpT10_ENKUlT_T0_E_clISt17integral_constantIbLb0EES1U_EEDaS1P_S1Q_EUlS1P_E_NS1_11comp_targetILNS1_3genE2ELNS1_11target_archE906ELNS1_3gpuE6ELNS1_3repE0EEENS1_30default_config_static_selectorELNS0_4arch9wavefront6targetE0EEEvS12_
    .private_segment_fixed_size: 0
    .sgpr_count:     0
    .sgpr_spill_count: 0
    .symbol:         _ZN7rocprim17ROCPRIM_400000_NS6detail17trampoline_kernelINS0_13select_configILj256ELj13ELNS0_17block_load_methodE3ELS4_3ELS4_3ELNS0_20block_scan_algorithmE0ELj4294967295EEENS1_25partition_config_selectorILNS1_17partition_subalgoE4EjNS0_10empty_typeEbEEZZNS1_14partition_implILS8_4ELb0ES6_15HIP_vector_typeIjLj2EENS0_17counting_iteratorIjlEEPS9_SG_NS0_5tupleIJPjSI_NS0_16reverse_iteratorISI_EEEEENSH_IJSG_SG_SG_EEES9_SI_JZNS1_25segmented_radix_sort_implINS0_14default_configELb1EPKhPhPKlPlN2at6native12_GLOBAL__N_18offset_tEEE10hipError_tPvRmT1_PNSt15iterator_traitsIS12_E10value_typeET2_T3_PNS13_IS18_E10value_typeET4_jRbjT5_S1E_jjP12ihipStream_tbEUljE_ZNSN_ISO_Lb1ESQ_SR_ST_SU_SY_EESZ_S10_S11_S12_S16_S17_S18_S1B_S1C_jS1D_jS1E_S1E_jjS1G_bEUljE0_EEESZ_S10_S11_S18_S1C_S1E_T6_T7_T9_mT8_S1G_bDpT10_ENKUlT_T0_E_clISt17integral_constantIbLb0EES1U_EEDaS1P_S1Q_EUlS1P_E_NS1_11comp_targetILNS1_3genE2ELNS1_11target_archE906ELNS1_3gpuE6ELNS1_3repE0EEENS1_30default_config_static_selectorELNS0_4arch9wavefront6targetE0EEEvS12_.kd
    .uniform_work_group_size: 1
    .uses_dynamic_stack: false
    .vgpr_count:     0
    .vgpr_spill_count: 0
    .wavefront_size: 32
    .workgroup_processor_mode: 1
  - .args:
      - .offset:         0
        .size:           176
        .value_kind:     by_value
    .group_segment_fixed_size: 0
    .kernarg_segment_align: 8
    .kernarg_segment_size: 176
    .language:       OpenCL C
    .language_version:
      - 2
      - 0
    .max_flat_workgroup_size: 256
    .name:           _ZN7rocprim17ROCPRIM_400000_NS6detail17trampoline_kernelINS0_13select_configILj256ELj13ELNS0_17block_load_methodE3ELS4_3ELS4_3ELNS0_20block_scan_algorithmE0ELj4294967295EEENS1_25partition_config_selectorILNS1_17partition_subalgoE4EjNS0_10empty_typeEbEEZZNS1_14partition_implILS8_4ELb0ES6_15HIP_vector_typeIjLj2EENS0_17counting_iteratorIjlEEPS9_SG_NS0_5tupleIJPjSI_NS0_16reverse_iteratorISI_EEEEENSH_IJSG_SG_SG_EEES9_SI_JZNS1_25segmented_radix_sort_implINS0_14default_configELb1EPKhPhPKlPlN2at6native12_GLOBAL__N_18offset_tEEE10hipError_tPvRmT1_PNSt15iterator_traitsIS12_E10value_typeET2_T3_PNS13_IS18_E10value_typeET4_jRbjT5_S1E_jjP12ihipStream_tbEUljE_ZNSN_ISO_Lb1ESQ_SR_ST_SU_SY_EESZ_S10_S11_S12_S16_S17_S18_S1B_S1C_jS1D_jS1E_S1E_jjS1G_bEUljE0_EEESZ_S10_S11_S18_S1C_S1E_T6_T7_T9_mT8_S1G_bDpT10_ENKUlT_T0_E_clISt17integral_constantIbLb0EES1U_EEDaS1P_S1Q_EUlS1P_E_NS1_11comp_targetILNS1_3genE10ELNS1_11target_archE1200ELNS1_3gpuE4ELNS1_3repE0EEENS1_30default_config_static_selectorELNS0_4arch9wavefront6targetE0EEEvS12_
    .private_segment_fixed_size: 0
    .sgpr_count:     0
    .sgpr_spill_count: 0
    .symbol:         _ZN7rocprim17ROCPRIM_400000_NS6detail17trampoline_kernelINS0_13select_configILj256ELj13ELNS0_17block_load_methodE3ELS4_3ELS4_3ELNS0_20block_scan_algorithmE0ELj4294967295EEENS1_25partition_config_selectorILNS1_17partition_subalgoE4EjNS0_10empty_typeEbEEZZNS1_14partition_implILS8_4ELb0ES6_15HIP_vector_typeIjLj2EENS0_17counting_iteratorIjlEEPS9_SG_NS0_5tupleIJPjSI_NS0_16reverse_iteratorISI_EEEEENSH_IJSG_SG_SG_EEES9_SI_JZNS1_25segmented_radix_sort_implINS0_14default_configELb1EPKhPhPKlPlN2at6native12_GLOBAL__N_18offset_tEEE10hipError_tPvRmT1_PNSt15iterator_traitsIS12_E10value_typeET2_T3_PNS13_IS18_E10value_typeET4_jRbjT5_S1E_jjP12ihipStream_tbEUljE_ZNSN_ISO_Lb1ESQ_SR_ST_SU_SY_EESZ_S10_S11_S12_S16_S17_S18_S1B_S1C_jS1D_jS1E_S1E_jjS1G_bEUljE0_EEESZ_S10_S11_S18_S1C_S1E_T6_T7_T9_mT8_S1G_bDpT10_ENKUlT_T0_E_clISt17integral_constantIbLb0EES1U_EEDaS1P_S1Q_EUlS1P_E_NS1_11comp_targetILNS1_3genE10ELNS1_11target_archE1200ELNS1_3gpuE4ELNS1_3repE0EEENS1_30default_config_static_selectorELNS0_4arch9wavefront6targetE0EEEvS12_.kd
    .uniform_work_group_size: 1
    .uses_dynamic_stack: false
    .vgpr_count:     0
    .vgpr_spill_count: 0
    .wavefront_size: 32
    .workgroup_processor_mode: 1
  - .args:
      - .offset:         0
        .size:           176
        .value_kind:     by_value
    .group_segment_fixed_size: 13340
    .kernarg_segment_align: 8
    .kernarg_segment_size: 176
    .language:       OpenCL C
    .language_version:
      - 2
      - 0
    .max_flat_workgroup_size: 256
    .name:           _ZN7rocprim17ROCPRIM_400000_NS6detail17trampoline_kernelINS0_13select_configILj256ELj13ELNS0_17block_load_methodE3ELS4_3ELS4_3ELNS0_20block_scan_algorithmE0ELj4294967295EEENS1_25partition_config_selectorILNS1_17partition_subalgoE4EjNS0_10empty_typeEbEEZZNS1_14partition_implILS8_4ELb0ES6_15HIP_vector_typeIjLj2EENS0_17counting_iteratorIjlEEPS9_SG_NS0_5tupleIJPjSI_NS0_16reverse_iteratorISI_EEEEENSH_IJSG_SG_SG_EEES9_SI_JZNS1_25segmented_radix_sort_implINS0_14default_configELb1EPKhPhPKlPlN2at6native12_GLOBAL__N_18offset_tEEE10hipError_tPvRmT1_PNSt15iterator_traitsIS12_E10value_typeET2_T3_PNS13_IS18_E10value_typeET4_jRbjT5_S1E_jjP12ihipStream_tbEUljE_ZNSN_ISO_Lb1ESQ_SR_ST_SU_SY_EESZ_S10_S11_S12_S16_S17_S18_S1B_S1C_jS1D_jS1E_S1E_jjS1G_bEUljE0_EEESZ_S10_S11_S18_S1C_S1E_T6_T7_T9_mT8_S1G_bDpT10_ENKUlT_T0_E_clISt17integral_constantIbLb0EES1U_EEDaS1P_S1Q_EUlS1P_E_NS1_11comp_targetILNS1_3genE9ELNS1_11target_archE1100ELNS1_3gpuE3ELNS1_3repE0EEENS1_30default_config_static_selectorELNS0_4arch9wavefront6targetE0EEEvS12_
    .private_segment_fixed_size: 0
    .sgpr_count:     61
    .sgpr_spill_count: 0
    .symbol:         _ZN7rocprim17ROCPRIM_400000_NS6detail17trampoline_kernelINS0_13select_configILj256ELj13ELNS0_17block_load_methodE3ELS4_3ELS4_3ELNS0_20block_scan_algorithmE0ELj4294967295EEENS1_25partition_config_selectorILNS1_17partition_subalgoE4EjNS0_10empty_typeEbEEZZNS1_14partition_implILS8_4ELb0ES6_15HIP_vector_typeIjLj2EENS0_17counting_iteratorIjlEEPS9_SG_NS0_5tupleIJPjSI_NS0_16reverse_iteratorISI_EEEEENSH_IJSG_SG_SG_EEES9_SI_JZNS1_25segmented_radix_sort_implINS0_14default_configELb1EPKhPhPKlPlN2at6native12_GLOBAL__N_18offset_tEEE10hipError_tPvRmT1_PNSt15iterator_traitsIS12_E10value_typeET2_T3_PNS13_IS18_E10value_typeET4_jRbjT5_S1E_jjP12ihipStream_tbEUljE_ZNSN_ISO_Lb1ESQ_SR_ST_SU_SY_EESZ_S10_S11_S12_S16_S17_S18_S1B_S1C_jS1D_jS1E_S1E_jjS1G_bEUljE0_EEESZ_S10_S11_S18_S1C_S1E_T6_T7_T9_mT8_S1G_bDpT10_ENKUlT_T0_E_clISt17integral_constantIbLb0EES1U_EEDaS1P_S1Q_EUlS1P_E_NS1_11comp_targetILNS1_3genE9ELNS1_11target_archE1100ELNS1_3gpuE3ELNS1_3repE0EEENS1_30default_config_static_selectorELNS0_4arch9wavefront6targetE0EEEvS12_.kd
    .uniform_work_group_size: 1
    .uses_dynamic_stack: false
    .vgpr_count:     98
    .vgpr_spill_count: 0
    .wavefront_size: 32
    .workgroup_processor_mode: 1
  - .args:
      - .offset:         0
        .size:           176
        .value_kind:     by_value
    .group_segment_fixed_size: 0
    .kernarg_segment_align: 8
    .kernarg_segment_size: 176
    .language:       OpenCL C
    .language_version:
      - 2
      - 0
    .max_flat_workgroup_size: 256
    .name:           _ZN7rocprim17ROCPRIM_400000_NS6detail17trampoline_kernelINS0_13select_configILj256ELj13ELNS0_17block_load_methodE3ELS4_3ELS4_3ELNS0_20block_scan_algorithmE0ELj4294967295EEENS1_25partition_config_selectorILNS1_17partition_subalgoE4EjNS0_10empty_typeEbEEZZNS1_14partition_implILS8_4ELb0ES6_15HIP_vector_typeIjLj2EENS0_17counting_iteratorIjlEEPS9_SG_NS0_5tupleIJPjSI_NS0_16reverse_iteratorISI_EEEEENSH_IJSG_SG_SG_EEES9_SI_JZNS1_25segmented_radix_sort_implINS0_14default_configELb1EPKhPhPKlPlN2at6native12_GLOBAL__N_18offset_tEEE10hipError_tPvRmT1_PNSt15iterator_traitsIS12_E10value_typeET2_T3_PNS13_IS18_E10value_typeET4_jRbjT5_S1E_jjP12ihipStream_tbEUljE_ZNSN_ISO_Lb1ESQ_SR_ST_SU_SY_EESZ_S10_S11_S12_S16_S17_S18_S1B_S1C_jS1D_jS1E_S1E_jjS1G_bEUljE0_EEESZ_S10_S11_S18_S1C_S1E_T6_T7_T9_mT8_S1G_bDpT10_ENKUlT_T0_E_clISt17integral_constantIbLb0EES1U_EEDaS1P_S1Q_EUlS1P_E_NS1_11comp_targetILNS1_3genE8ELNS1_11target_archE1030ELNS1_3gpuE2ELNS1_3repE0EEENS1_30default_config_static_selectorELNS0_4arch9wavefront6targetE0EEEvS12_
    .private_segment_fixed_size: 0
    .sgpr_count:     0
    .sgpr_spill_count: 0
    .symbol:         _ZN7rocprim17ROCPRIM_400000_NS6detail17trampoline_kernelINS0_13select_configILj256ELj13ELNS0_17block_load_methodE3ELS4_3ELS4_3ELNS0_20block_scan_algorithmE0ELj4294967295EEENS1_25partition_config_selectorILNS1_17partition_subalgoE4EjNS0_10empty_typeEbEEZZNS1_14partition_implILS8_4ELb0ES6_15HIP_vector_typeIjLj2EENS0_17counting_iteratorIjlEEPS9_SG_NS0_5tupleIJPjSI_NS0_16reverse_iteratorISI_EEEEENSH_IJSG_SG_SG_EEES9_SI_JZNS1_25segmented_radix_sort_implINS0_14default_configELb1EPKhPhPKlPlN2at6native12_GLOBAL__N_18offset_tEEE10hipError_tPvRmT1_PNSt15iterator_traitsIS12_E10value_typeET2_T3_PNS13_IS18_E10value_typeET4_jRbjT5_S1E_jjP12ihipStream_tbEUljE_ZNSN_ISO_Lb1ESQ_SR_ST_SU_SY_EESZ_S10_S11_S12_S16_S17_S18_S1B_S1C_jS1D_jS1E_S1E_jjS1G_bEUljE0_EEESZ_S10_S11_S18_S1C_S1E_T6_T7_T9_mT8_S1G_bDpT10_ENKUlT_T0_E_clISt17integral_constantIbLb0EES1U_EEDaS1P_S1Q_EUlS1P_E_NS1_11comp_targetILNS1_3genE8ELNS1_11target_archE1030ELNS1_3gpuE2ELNS1_3repE0EEENS1_30default_config_static_selectorELNS0_4arch9wavefront6targetE0EEEvS12_.kd
    .uniform_work_group_size: 1
    .uses_dynamic_stack: false
    .vgpr_count:     0
    .vgpr_spill_count: 0
    .wavefront_size: 32
    .workgroup_processor_mode: 1
  - .args:
      - .offset:         0
        .size:           40
        .value_kind:     by_value
    .group_segment_fixed_size: 0
    .kernarg_segment_align: 8
    .kernarg_segment_size: 40
    .language:       OpenCL C
    .language_version:
      - 2
      - 0
    .max_flat_workgroup_size: 128
    .name:           _ZN7rocprim17ROCPRIM_400000_NS6detail17trampoline_kernelINS0_14default_configENS1_25transform_config_selectorImLb1EEEZNS1_14transform_implILb1ES3_S5_PmPjNS0_8identityIvEEEE10hipError_tT2_T3_mT4_P12ihipStream_tbEUlT_E_NS1_11comp_targetILNS1_3genE0ELNS1_11target_archE4294967295ELNS1_3gpuE0ELNS1_3repE0EEENS1_30default_config_static_selectorELNS0_4arch9wavefront6targetE0EEEvT1_
    .private_segment_fixed_size: 0
    .sgpr_count:     0
    .sgpr_spill_count: 0
    .symbol:         _ZN7rocprim17ROCPRIM_400000_NS6detail17trampoline_kernelINS0_14default_configENS1_25transform_config_selectorImLb1EEEZNS1_14transform_implILb1ES3_S5_PmPjNS0_8identityIvEEEE10hipError_tT2_T3_mT4_P12ihipStream_tbEUlT_E_NS1_11comp_targetILNS1_3genE0ELNS1_11target_archE4294967295ELNS1_3gpuE0ELNS1_3repE0EEENS1_30default_config_static_selectorELNS0_4arch9wavefront6targetE0EEEvT1_.kd
    .uniform_work_group_size: 1
    .uses_dynamic_stack: false
    .vgpr_count:     0
    .vgpr_spill_count: 0
    .wavefront_size: 32
    .workgroup_processor_mode: 1
  - .args:
      - .offset:         0
        .size:           40
        .value_kind:     by_value
    .group_segment_fixed_size: 0
    .kernarg_segment_align: 8
    .kernarg_segment_size: 40
    .language:       OpenCL C
    .language_version:
      - 2
      - 0
    .max_flat_workgroup_size: 1024
    .name:           _ZN7rocprim17ROCPRIM_400000_NS6detail17trampoline_kernelINS0_14default_configENS1_25transform_config_selectorImLb1EEEZNS1_14transform_implILb1ES3_S5_PmPjNS0_8identityIvEEEE10hipError_tT2_T3_mT4_P12ihipStream_tbEUlT_E_NS1_11comp_targetILNS1_3genE10ELNS1_11target_archE1201ELNS1_3gpuE5ELNS1_3repE0EEENS1_30default_config_static_selectorELNS0_4arch9wavefront6targetE0EEEvT1_
    .private_segment_fixed_size: 0
    .sgpr_count:     0
    .sgpr_spill_count: 0
    .symbol:         _ZN7rocprim17ROCPRIM_400000_NS6detail17trampoline_kernelINS0_14default_configENS1_25transform_config_selectorImLb1EEEZNS1_14transform_implILb1ES3_S5_PmPjNS0_8identityIvEEEE10hipError_tT2_T3_mT4_P12ihipStream_tbEUlT_E_NS1_11comp_targetILNS1_3genE10ELNS1_11target_archE1201ELNS1_3gpuE5ELNS1_3repE0EEENS1_30default_config_static_selectorELNS0_4arch9wavefront6targetE0EEEvT1_.kd
    .uniform_work_group_size: 1
    .uses_dynamic_stack: false
    .vgpr_count:     0
    .vgpr_spill_count: 0
    .wavefront_size: 32
    .workgroup_processor_mode: 1
  - .args:
      - .offset:         0
        .size:           40
        .value_kind:     by_value
    .group_segment_fixed_size: 0
    .kernarg_segment_align: 8
    .kernarg_segment_size: 40
    .language:       OpenCL C
    .language_version:
      - 2
      - 0
    .max_flat_workgroup_size: 512
    .name:           _ZN7rocprim17ROCPRIM_400000_NS6detail17trampoline_kernelINS0_14default_configENS1_25transform_config_selectorImLb1EEEZNS1_14transform_implILb1ES3_S5_PmPjNS0_8identityIvEEEE10hipError_tT2_T3_mT4_P12ihipStream_tbEUlT_E_NS1_11comp_targetILNS1_3genE5ELNS1_11target_archE942ELNS1_3gpuE9ELNS1_3repE0EEENS1_30default_config_static_selectorELNS0_4arch9wavefront6targetE0EEEvT1_
    .private_segment_fixed_size: 0
    .sgpr_count:     0
    .sgpr_spill_count: 0
    .symbol:         _ZN7rocprim17ROCPRIM_400000_NS6detail17trampoline_kernelINS0_14default_configENS1_25transform_config_selectorImLb1EEEZNS1_14transform_implILb1ES3_S5_PmPjNS0_8identityIvEEEE10hipError_tT2_T3_mT4_P12ihipStream_tbEUlT_E_NS1_11comp_targetILNS1_3genE5ELNS1_11target_archE942ELNS1_3gpuE9ELNS1_3repE0EEENS1_30default_config_static_selectorELNS0_4arch9wavefront6targetE0EEEvT1_.kd
    .uniform_work_group_size: 1
    .uses_dynamic_stack: false
    .vgpr_count:     0
    .vgpr_spill_count: 0
    .wavefront_size: 32
    .workgroup_processor_mode: 1
  - .args:
      - .offset:         0
        .size:           40
        .value_kind:     by_value
    .group_segment_fixed_size: 0
    .kernarg_segment_align: 8
    .kernarg_segment_size: 40
    .language:       OpenCL C
    .language_version:
      - 2
      - 0
    .max_flat_workgroup_size: 1024
    .name:           _ZN7rocprim17ROCPRIM_400000_NS6detail17trampoline_kernelINS0_14default_configENS1_25transform_config_selectorImLb1EEEZNS1_14transform_implILb1ES3_S5_PmPjNS0_8identityIvEEEE10hipError_tT2_T3_mT4_P12ihipStream_tbEUlT_E_NS1_11comp_targetILNS1_3genE4ELNS1_11target_archE910ELNS1_3gpuE8ELNS1_3repE0EEENS1_30default_config_static_selectorELNS0_4arch9wavefront6targetE0EEEvT1_
    .private_segment_fixed_size: 0
    .sgpr_count:     0
    .sgpr_spill_count: 0
    .symbol:         _ZN7rocprim17ROCPRIM_400000_NS6detail17trampoline_kernelINS0_14default_configENS1_25transform_config_selectorImLb1EEEZNS1_14transform_implILb1ES3_S5_PmPjNS0_8identityIvEEEE10hipError_tT2_T3_mT4_P12ihipStream_tbEUlT_E_NS1_11comp_targetILNS1_3genE4ELNS1_11target_archE910ELNS1_3gpuE8ELNS1_3repE0EEENS1_30default_config_static_selectorELNS0_4arch9wavefront6targetE0EEEvT1_.kd
    .uniform_work_group_size: 1
    .uses_dynamic_stack: false
    .vgpr_count:     0
    .vgpr_spill_count: 0
    .wavefront_size: 32
    .workgroup_processor_mode: 1
  - .args:
      - .offset:         0
        .size:           40
        .value_kind:     by_value
    .group_segment_fixed_size: 0
    .kernarg_segment_align: 8
    .kernarg_segment_size: 40
    .language:       OpenCL C
    .language_version:
      - 2
      - 0
    .max_flat_workgroup_size: 128
    .name:           _ZN7rocprim17ROCPRIM_400000_NS6detail17trampoline_kernelINS0_14default_configENS1_25transform_config_selectorImLb1EEEZNS1_14transform_implILb1ES3_S5_PmPjNS0_8identityIvEEEE10hipError_tT2_T3_mT4_P12ihipStream_tbEUlT_E_NS1_11comp_targetILNS1_3genE3ELNS1_11target_archE908ELNS1_3gpuE7ELNS1_3repE0EEENS1_30default_config_static_selectorELNS0_4arch9wavefront6targetE0EEEvT1_
    .private_segment_fixed_size: 0
    .sgpr_count:     0
    .sgpr_spill_count: 0
    .symbol:         _ZN7rocprim17ROCPRIM_400000_NS6detail17trampoline_kernelINS0_14default_configENS1_25transform_config_selectorImLb1EEEZNS1_14transform_implILb1ES3_S5_PmPjNS0_8identityIvEEEE10hipError_tT2_T3_mT4_P12ihipStream_tbEUlT_E_NS1_11comp_targetILNS1_3genE3ELNS1_11target_archE908ELNS1_3gpuE7ELNS1_3repE0EEENS1_30default_config_static_selectorELNS0_4arch9wavefront6targetE0EEEvT1_.kd
    .uniform_work_group_size: 1
    .uses_dynamic_stack: false
    .vgpr_count:     0
    .vgpr_spill_count: 0
    .wavefront_size: 32
    .workgroup_processor_mode: 1
  - .args:
      - .offset:         0
        .size:           40
        .value_kind:     by_value
    .group_segment_fixed_size: 0
    .kernarg_segment_align: 8
    .kernarg_segment_size: 40
    .language:       OpenCL C
    .language_version:
      - 2
      - 0
    .max_flat_workgroup_size: 512
    .name:           _ZN7rocprim17ROCPRIM_400000_NS6detail17trampoline_kernelINS0_14default_configENS1_25transform_config_selectorImLb1EEEZNS1_14transform_implILb1ES3_S5_PmPjNS0_8identityIvEEEE10hipError_tT2_T3_mT4_P12ihipStream_tbEUlT_E_NS1_11comp_targetILNS1_3genE2ELNS1_11target_archE906ELNS1_3gpuE6ELNS1_3repE0EEENS1_30default_config_static_selectorELNS0_4arch9wavefront6targetE0EEEvT1_
    .private_segment_fixed_size: 0
    .sgpr_count:     0
    .sgpr_spill_count: 0
    .symbol:         _ZN7rocprim17ROCPRIM_400000_NS6detail17trampoline_kernelINS0_14default_configENS1_25transform_config_selectorImLb1EEEZNS1_14transform_implILb1ES3_S5_PmPjNS0_8identityIvEEEE10hipError_tT2_T3_mT4_P12ihipStream_tbEUlT_E_NS1_11comp_targetILNS1_3genE2ELNS1_11target_archE906ELNS1_3gpuE6ELNS1_3repE0EEENS1_30default_config_static_selectorELNS0_4arch9wavefront6targetE0EEEvT1_.kd
    .uniform_work_group_size: 1
    .uses_dynamic_stack: false
    .vgpr_count:     0
    .vgpr_spill_count: 0
    .wavefront_size: 32
    .workgroup_processor_mode: 1
  - .args:
      - .offset:         0
        .size:           40
        .value_kind:     by_value
      - .offset:         40
        .size:           4
        .value_kind:     hidden_block_count_x
      - .offset:         44
        .size:           4
        .value_kind:     hidden_block_count_y
      - .offset:         48
        .size:           4
        .value_kind:     hidden_block_count_z
      - .offset:         52
        .size:           2
        .value_kind:     hidden_group_size_x
      - .offset:         54
        .size:           2
        .value_kind:     hidden_group_size_y
      - .offset:         56
        .size:           2
        .value_kind:     hidden_group_size_z
      - .offset:         58
        .size:           2
        .value_kind:     hidden_remainder_x
      - .offset:         60
        .size:           2
        .value_kind:     hidden_remainder_y
      - .offset:         62
        .size:           2
        .value_kind:     hidden_remainder_z
      - .offset:         80
        .size:           8
        .value_kind:     hidden_global_offset_x
      - .offset:         88
        .size:           8
        .value_kind:     hidden_global_offset_y
      - .offset:         96
        .size:           8
        .value_kind:     hidden_global_offset_z
      - .offset:         104
        .size:           2
        .value_kind:     hidden_grid_dims
    .group_segment_fixed_size: 0
    .kernarg_segment_align: 8
    .kernarg_segment_size: 296
    .language:       OpenCL C
    .language_version:
      - 2
      - 0
    .max_flat_workgroup_size: 1024
    .name:           _ZN7rocprim17ROCPRIM_400000_NS6detail17trampoline_kernelINS0_14default_configENS1_25transform_config_selectorImLb1EEEZNS1_14transform_implILb1ES3_S5_PmPjNS0_8identityIvEEEE10hipError_tT2_T3_mT4_P12ihipStream_tbEUlT_E_NS1_11comp_targetILNS1_3genE9ELNS1_11target_archE1100ELNS1_3gpuE3ELNS1_3repE0EEENS1_30default_config_static_selectorELNS0_4arch9wavefront6targetE0EEEvT1_
    .private_segment_fixed_size: 0
    .sgpr_count:     18
    .sgpr_spill_count: 0
    .symbol:         _ZN7rocprim17ROCPRIM_400000_NS6detail17trampoline_kernelINS0_14default_configENS1_25transform_config_selectorImLb1EEEZNS1_14transform_implILb1ES3_S5_PmPjNS0_8identityIvEEEE10hipError_tT2_T3_mT4_P12ihipStream_tbEUlT_E_NS1_11comp_targetILNS1_3genE9ELNS1_11target_archE1100ELNS1_3gpuE3ELNS1_3repE0EEENS1_30default_config_static_selectorELNS0_4arch9wavefront6targetE0EEEvT1_.kd
    .uniform_work_group_size: 1
    .uses_dynamic_stack: false
    .vgpr_count:     6
    .vgpr_spill_count: 0
    .wavefront_size: 32
    .workgroup_processor_mode: 1
  - .args:
      - .offset:         0
        .size:           40
        .value_kind:     by_value
    .group_segment_fixed_size: 0
    .kernarg_segment_align: 8
    .kernarg_segment_size: 40
    .language:       OpenCL C
    .language_version:
      - 2
      - 0
    .max_flat_workgroup_size: 1024
    .name:           _ZN7rocprim17ROCPRIM_400000_NS6detail17trampoline_kernelINS0_14default_configENS1_25transform_config_selectorImLb1EEEZNS1_14transform_implILb1ES3_S5_PmPjNS0_8identityIvEEEE10hipError_tT2_T3_mT4_P12ihipStream_tbEUlT_E_NS1_11comp_targetILNS1_3genE8ELNS1_11target_archE1030ELNS1_3gpuE2ELNS1_3repE0EEENS1_30default_config_static_selectorELNS0_4arch9wavefront6targetE0EEEvT1_
    .private_segment_fixed_size: 0
    .sgpr_count:     0
    .sgpr_spill_count: 0
    .symbol:         _ZN7rocprim17ROCPRIM_400000_NS6detail17trampoline_kernelINS0_14default_configENS1_25transform_config_selectorImLb1EEEZNS1_14transform_implILb1ES3_S5_PmPjNS0_8identityIvEEEE10hipError_tT2_T3_mT4_P12ihipStream_tbEUlT_E_NS1_11comp_targetILNS1_3genE8ELNS1_11target_archE1030ELNS1_3gpuE2ELNS1_3repE0EEENS1_30default_config_static_selectorELNS0_4arch9wavefront6targetE0EEEvT1_.kd
    .uniform_work_group_size: 1
    .uses_dynamic_stack: false
    .vgpr_count:     0
    .vgpr_spill_count: 0
    .wavefront_size: 32
    .workgroup_processor_mode: 1
  - .args:
      - .address_space:  global
        .offset:         0
        .size:           8
        .value_kind:     global_buffer
      - .offset:         8
        .size:           4
        .value_kind:     by_value
      - .address_space:  global
        .offset:         16
        .size:           8
        .value_kind:     global_buffer
      - .offset:         24
        .size:           4
        .value_kind:     by_value
      - .address_space:  global
        .offset:         32
        .size:           8
        .value_kind:     global_buffer
      - .offset:         40
        .size:           4
        .value_kind:     hidden_block_count_x
      - .offset:         44
        .size:           4
        .value_kind:     hidden_block_count_y
      - .offset:         48
        .size:           4
        .value_kind:     hidden_block_count_z
      - .offset:         52
        .size:           2
        .value_kind:     hidden_group_size_x
      - .offset:         54
        .size:           2
        .value_kind:     hidden_group_size_y
      - .offset:         56
        .size:           2
        .value_kind:     hidden_group_size_z
      - .offset:         58
        .size:           2
        .value_kind:     hidden_remainder_x
      - .offset:         60
        .size:           2
        .value_kind:     hidden_remainder_y
      - .offset:         62
        .size:           2
        .value_kind:     hidden_remainder_z
      - .offset:         80
        .size:           8
        .value_kind:     hidden_global_offset_x
      - .offset:         88
        .size:           8
        .value_kind:     hidden_global_offset_y
      - .offset:         96
        .size:           8
        .value_kind:     hidden_global_offset_z
      - .offset:         104
        .size:           2
        .value_kind:     hidden_grid_dims
    .group_segment_fixed_size: 0
    .kernarg_segment_align: 8
    .kernarg_segment_size: 296
    .language:       OpenCL C
    .language_version:
      - 2
      - 0
    .max_flat_workgroup_size: 256
    .name:           _ZN7rocprim17ROCPRIM_400000_NS6detail31init_lookback_scan_state_kernelINS1_19lookback_scan_stateI15HIP_vector_typeIjLj2EELb1ELb1EEENS1_16block_id_wrapperIjLb1EEEEEvT_jT0_jPNS9_10value_typeE
    .private_segment_fixed_size: 0
    .sgpr_count:     18
    .sgpr_spill_count: 0
    .symbol:         _ZN7rocprim17ROCPRIM_400000_NS6detail31init_lookback_scan_state_kernelINS1_19lookback_scan_stateI15HIP_vector_typeIjLj2EELb1ELb1EEENS1_16block_id_wrapperIjLb1EEEEEvT_jT0_jPNS9_10value_typeE.kd
    .uniform_work_group_size: 1
    .uses_dynamic_stack: false
    .vgpr_count:     9
    .vgpr_spill_count: 0
    .wavefront_size: 32
    .workgroup_processor_mode: 1
  - .args:
      - .offset:         0
        .size:           184
        .value_kind:     by_value
    .group_segment_fixed_size: 0
    .kernarg_segment_align: 8
    .kernarg_segment_size: 184
    .language:       OpenCL C
    .language_version:
      - 2
      - 0
    .max_flat_workgroup_size: 256
    .name:           _ZN7rocprim17ROCPRIM_400000_NS6detail17trampoline_kernelINS0_13select_configILj256ELj13ELNS0_17block_load_methodE3ELS4_3ELS4_3ELNS0_20block_scan_algorithmE0ELj4294967295EEENS1_25partition_config_selectorILNS1_17partition_subalgoE4EjNS0_10empty_typeEbEEZZNS1_14partition_implILS8_4ELb0ES6_15HIP_vector_typeIjLj2EENS0_17counting_iteratorIjlEEPS9_SG_NS0_5tupleIJPjSI_NS0_16reverse_iteratorISI_EEEEENSH_IJSG_SG_SG_EEES9_SI_JZNS1_25segmented_radix_sort_implINS0_14default_configELb1EPKhPhPKlPlN2at6native12_GLOBAL__N_18offset_tEEE10hipError_tPvRmT1_PNSt15iterator_traitsIS12_E10value_typeET2_T3_PNS13_IS18_E10value_typeET4_jRbjT5_S1E_jjP12ihipStream_tbEUljE_ZNSN_ISO_Lb1ESQ_SR_ST_SU_SY_EESZ_S10_S11_S12_S16_S17_S18_S1B_S1C_jS1D_jS1E_S1E_jjS1G_bEUljE0_EEESZ_S10_S11_S18_S1C_S1E_T6_T7_T9_mT8_S1G_bDpT10_ENKUlT_T0_E_clISt17integral_constantIbLb1EES1U_EEDaS1P_S1Q_EUlS1P_E_NS1_11comp_targetILNS1_3genE0ELNS1_11target_archE4294967295ELNS1_3gpuE0ELNS1_3repE0EEENS1_30default_config_static_selectorELNS0_4arch9wavefront6targetE0EEEvS12_
    .private_segment_fixed_size: 0
    .sgpr_count:     0
    .sgpr_spill_count: 0
    .symbol:         _ZN7rocprim17ROCPRIM_400000_NS6detail17trampoline_kernelINS0_13select_configILj256ELj13ELNS0_17block_load_methodE3ELS4_3ELS4_3ELNS0_20block_scan_algorithmE0ELj4294967295EEENS1_25partition_config_selectorILNS1_17partition_subalgoE4EjNS0_10empty_typeEbEEZZNS1_14partition_implILS8_4ELb0ES6_15HIP_vector_typeIjLj2EENS0_17counting_iteratorIjlEEPS9_SG_NS0_5tupleIJPjSI_NS0_16reverse_iteratorISI_EEEEENSH_IJSG_SG_SG_EEES9_SI_JZNS1_25segmented_radix_sort_implINS0_14default_configELb1EPKhPhPKlPlN2at6native12_GLOBAL__N_18offset_tEEE10hipError_tPvRmT1_PNSt15iterator_traitsIS12_E10value_typeET2_T3_PNS13_IS18_E10value_typeET4_jRbjT5_S1E_jjP12ihipStream_tbEUljE_ZNSN_ISO_Lb1ESQ_SR_ST_SU_SY_EESZ_S10_S11_S12_S16_S17_S18_S1B_S1C_jS1D_jS1E_S1E_jjS1G_bEUljE0_EEESZ_S10_S11_S18_S1C_S1E_T6_T7_T9_mT8_S1G_bDpT10_ENKUlT_T0_E_clISt17integral_constantIbLb1EES1U_EEDaS1P_S1Q_EUlS1P_E_NS1_11comp_targetILNS1_3genE0ELNS1_11target_archE4294967295ELNS1_3gpuE0ELNS1_3repE0EEENS1_30default_config_static_selectorELNS0_4arch9wavefront6targetE0EEEvS12_.kd
    .uniform_work_group_size: 1
    .uses_dynamic_stack: false
    .vgpr_count:     0
    .vgpr_spill_count: 0
    .wavefront_size: 32
    .workgroup_processor_mode: 1
  - .args:
      - .offset:         0
        .size:           184
        .value_kind:     by_value
    .group_segment_fixed_size: 0
    .kernarg_segment_align: 8
    .kernarg_segment_size: 184
    .language:       OpenCL C
    .language_version:
      - 2
      - 0
    .max_flat_workgroup_size: 256
    .name:           _ZN7rocprim17ROCPRIM_400000_NS6detail17trampoline_kernelINS0_13select_configILj256ELj13ELNS0_17block_load_methodE3ELS4_3ELS4_3ELNS0_20block_scan_algorithmE0ELj4294967295EEENS1_25partition_config_selectorILNS1_17partition_subalgoE4EjNS0_10empty_typeEbEEZZNS1_14partition_implILS8_4ELb0ES6_15HIP_vector_typeIjLj2EENS0_17counting_iteratorIjlEEPS9_SG_NS0_5tupleIJPjSI_NS0_16reverse_iteratorISI_EEEEENSH_IJSG_SG_SG_EEES9_SI_JZNS1_25segmented_radix_sort_implINS0_14default_configELb1EPKhPhPKlPlN2at6native12_GLOBAL__N_18offset_tEEE10hipError_tPvRmT1_PNSt15iterator_traitsIS12_E10value_typeET2_T3_PNS13_IS18_E10value_typeET4_jRbjT5_S1E_jjP12ihipStream_tbEUljE_ZNSN_ISO_Lb1ESQ_SR_ST_SU_SY_EESZ_S10_S11_S12_S16_S17_S18_S1B_S1C_jS1D_jS1E_S1E_jjS1G_bEUljE0_EEESZ_S10_S11_S18_S1C_S1E_T6_T7_T9_mT8_S1G_bDpT10_ENKUlT_T0_E_clISt17integral_constantIbLb1EES1U_EEDaS1P_S1Q_EUlS1P_E_NS1_11comp_targetILNS1_3genE5ELNS1_11target_archE942ELNS1_3gpuE9ELNS1_3repE0EEENS1_30default_config_static_selectorELNS0_4arch9wavefront6targetE0EEEvS12_
    .private_segment_fixed_size: 0
    .sgpr_count:     0
    .sgpr_spill_count: 0
    .symbol:         _ZN7rocprim17ROCPRIM_400000_NS6detail17trampoline_kernelINS0_13select_configILj256ELj13ELNS0_17block_load_methodE3ELS4_3ELS4_3ELNS0_20block_scan_algorithmE0ELj4294967295EEENS1_25partition_config_selectorILNS1_17partition_subalgoE4EjNS0_10empty_typeEbEEZZNS1_14partition_implILS8_4ELb0ES6_15HIP_vector_typeIjLj2EENS0_17counting_iteratorIjlEEPS9_SG_NS0_5tupleIJPjSI_NS0_16reverse_iteratorISI_EEEEENSH_IJSG_SG_SG_EEES9_SI_JZNS1_25segmented_radix_sort_implINS0_14default_configELb1EPKhPhPKlPlN2at6native12_GLOBAL__N_18offset_tEEE10hipError_tPvRmT1_PNSt15iterator_traitsIS12_E10value_typeET2_T3_PNS13_IS18_E10value_typeET4_jRbjT5_S1E_jjP12ihipStream_tbEUljE_ZNSN_ISO_Lb1ESQ_SR_ST_SU_SY_EESZ_S10_S11_S12_S16_S17_S18_S1B_S1C_jS1D_jS1E_S1E_jjS1G_bEUljE0_EEESZ_S10_S11_S18_S1C_S1E_T6_T7_T9_mT8_S1G_bDpT10_ENKUlT_T0_E_clISt17integral_constantIbLb1EES1U_EEDaS1P_S1Q_EUlS1P_E_NS1_11comp_targetILNS1_3genE5ELNS1_11target_archE942ELNS1_3gpuE9ELNS1_3repE0EEENS1_30default_config_static_selectorELNS0_4arch9wavefront6targetE0EEEvS12_.kd
    .uniform_work_group_size: 1
    .uses_dynamic_stack: false
    .vgpr_count:     0
    .vgpr_spill_count: 0
    .wavefront_size: 32
    .workgroup_processor_mode: 1
  - .args:
      - .offset:         0
        .size:           184
        .value_kind:     by_value
    .group_segment_fixed_size: 0
    .kernarg_segment_align: 8
    .kernarg_segment_size: 184
    .language:       OpenCL C
    .language_version:
      - 2
      - 0
    .max_flat_workgroup_size: 256
    .name:           _ZN7rocprim17ROCPRIM_400000_NS6detail17trampoline_kernelINS0_13select_configILj256ELj13ELNS0_17block_load_methodE3ELS4_3ELS4_3ELNS0_20block_scan_algorithmE0ELj4294967295EEENS1_25partition_config_selectorILNS1_17partition_subalgoE4EjNS0_10empty_typeEbEEZZNS1_14partition_implILS8_4ELb0ES6_15HIP_vector_typeIjLj2EENS0_17counting_iteratorIjlEEPS9_SG_NS0_5tupleIJPjSI_NS0_16reverse_iteratorISI_EEEEENSH_IJSG_SG_SG_EEES9_SI_JZNS1_25segmented_radix_sort_implINS0_14default_configELb1EPKhPhPKlPlN2at6native12_GLOBAL__N_18offset_tEEE10hipError_tPvRmT1_PNSt15iterator_traitsIS12_E10value_typeET2_T3_PNS13_IS18_E10value_typeET4_jRbjT5_S1E_jjP12ihipStream_tbEUljE_ZNSN_ISO_Lb1ESQ_SR_ST_SU_SY_EESZ_S10_S11_S12_S16_S17_S18_S1B_S1C_jS1D_jS1E_S1E_jjS1G_bEUljE0_EEESZ_S10_S11_S18_S1C_S1E_T6_T7_T9_mT8_S1G_bDpT10_ENKUlT_T0_E_clISt17integral_constantIbLb1EES1U_EEDaS1P_S1Q_EUlS1P_E_NS1_11comp_targetILNS1_3genE4ELNS1_11target_archE910ELNS1_3gpuE8ELNS1_3repE0EEENS1_30default_config_static_selectorELNS0_4arch9wavefront6targetE0EEEvS12_
    .private_segment_fixed_size: 0
    .sgpr_count:     0
    .sgpr_spill_count: 0
    .symbol:         _ZN7rocprim17ROCPRIM_400000_NS6detail17trampoline_kernelINS0_13select_configILj256ELj13ELNS0_17block_load_methodE3ELS4_3ELS4_3ELNS0_20block_scan_algorithmE0ELj4294967295EEENS1_25partition_config_selectorILNS1_17partition_subalgoE4EjNS0_10empty_typeEbEEZZNS1_14partition_implILS8_4ELb0ES6_15HIP_vector_typeIjLj2EENS0_17counting_iteratorIjlEEPS9_SG_NS0_5tupleIJPjSI_NS0_16reverse_iteratorISI_EEEEENSH_IJSG_SG_SG_EEES9_SI_JZNS1_25segmented_radix_sort_implINS0_14default_configELb1EPKhPhPKlPlN2at6native12_GLOBAL__N_18offset_tEEE10hipError_tPvRmT1_PNSt15iterator_traitsIS12_E10value_typeET2_T3_PNS13_IS18_E10value_typeET4_jRbjT5_S1E_jjP12ihipStream_tbEUljE_ZNSN_ISO_Lb1ESQ_SR_ST_SU_SY_EESZ_S10_S11_S12_S16_S17_S18_S1B_S1C_jS1D_jS1E_S1E_jjS1G_bEUljE0_EEESZ_S10_S11_S18_S1C_S1E_T6_T7_T9_mT8_S1G_bDpT10_ENKUlT_T0_E_clISt17integral_constantIbLb1EES1U_EEDaS1P_S1Q_EUlS1P_E_NS1_11comp_targetILNS1_3genE4ELNS1_11target_archE910ELNS1_3gpuE8ELNS1_3repE0EEENS1_30default_config_static_selectorELNS0_4arch9wavefront6targetE0EEEvS12_.kd
    .uniform_work_group_size: 1
    .uses_dynamic_stack: false
    .vgpr_count:     0
    .vgpr_spill_count: 0
    .wavefront_size: 32
    .workgroup_processor_mode: 1
  - .args:
      - .offset:         0
        .size:           184
        .value_kind:     by_value
    .group_segment_fixed_size: 0
    .kernarg_segment_align: 8
    .kernarg_segment_size: 184
    .language:       OpenCL C
    .language_version:
      - 2
      - 0
    .max_flat_workgroup_size: 256
    .name:           _ZN7rocprim17ROCPRIM_400000_NS6detail17trampoline_kernelINS0_13select_configILj256ELj13ELNS0_17block_load_methodE3ELS4_3ELS4_3ELNS0_20block_scan_algorithmE0ELj4294967295EEENS1_25partition_config_selectorILNS1_17partition_subalgoE4EjNS0_10empty_typeEbEEZZNS1_14partition_implILS8_4ELb0ES6_15HIP_vector_typeIjLj2EENS0_17counting_iteratorIjlEEPS9_SG_NS0_5tupleIJPjSI_NS0_16reverse_iteratorISI_EEEEENSH_IJSG_SG_SG_EEES9_SI_JZNS1_25segmented_radix_sort_implINS0_14default_configELb1EPKhPhPKlPlN2at6native12_GLOBAL__N_18offset_tEEE10hipError_tPvRmT1_PNSt15iterator_traitsIS12_E10value_typeET2_T3_PNS13_IS18_E10value_typeET4_jRbjT5_S1E_jjP12ihipStream_tbEUljE_ZNSN_ISO_Lb1ESQ_SR_ST_SU_SY_EESZ_S10_S11_S12_S16_S17_S18_S1B_S1C_jS1D_jS1E_S1E_jjS1G_bEUljE0_EEESZ_S10_S11_S18_S1C_S1E_T6_T7_T9_mT8_S1G_bDpT10_ENKUlT_T0_E_clISt17integral_constantIbLb1EES1U_EEDaS1P_S1Q_EUlS1P_E_NS1_11comp_targetILNS1_3genE3ELNS1_11target_archE908ELNS1_3gpuE7ELNS1_3repE0EEENS1_30default_config_static_selectorELNS0_4arch9wavefront6targetE0EEEvS12_
    .private_segment_fixed_size: 0
    .sgpr_count:     0
    .sgpr_spill_count: 0
    .symbol:         _ZN7rocprim17ROCPRIM_400000_NS6detail17trampoline_kernelINS0_13select_configILj256ELj13ELNS0_17block_load_methodE3ELS4_3ELS4_3ELNS0_20block_scan_algorithmE0ELj4294967295EEENS1_25partition_config_selectorILNS1_17partition_subalgoE4EjNS0_10empty_typeEbEEZZNS1_14partition_implILS8_4ELb0ES6_15HIP_vector_typeIjLj2EENS0_17counting_iteratorIjlEEPS9_SG_NS0_5tupleIJPjSI_NS0_16reverse_iteratorISI_EEEEENSH_IJSG_SG_SG_EEES9_SI_JZNS1_25segmented_radix_sort_implINS0_14default_configELb1EPKhPhPKlPlN2at6native12_GLOBAL__N_18offset_tEEE10hipError_tPvRmT1_PNSt15iterator_traitsIS12_E10value_typeET2_T3_PNS13_IS18_E10value_typeET4_jRbjT5_S1E_jjP12ihipStream_tbEUljE_ZNSN_ISO_Lb1ESQ_SR_ST_SU_SY_EESZ_S10_S11_S12_S16_S17_S18_S1B_S1C_jS1D_jS1E_S1E_jjS1G_bEUljE0_EEESZ_S10_S11_S18_S1C_S1E_T6_T7_T9_mT8_S1G_bDpT10_ENKUlT_T0_E_clISt17integral_constantIbLb1EES1U_EEDaS1P_S1Q_EUlS1P_E_NS1_11comp_targetILNS1_3genE3ELNS1_11target_archE908ELNS1_3gpuE7ELNS1_3repE0EEENS1_30default_config_static_selectorELNS0_4arch9wavefront6targetE0EEEvS12_.kd
    .uniform_work_group_size: 1
    .uses_dynamic_stack: false
    .vgpr_count:     0
    .vgpr_spill_count: 0
    .wavefront_size: 32
    .workgroup_processor_mode: 1
  - .args:
      - .offset:         0
        .size:           184
        .value_kind:     by_value
    .group_segment_fixed_size: 0
    .kernarg_segment_align: 8
    .kernarg_segment_size: 184
    .language:       OpenCL C
    .language_version:
      - 2
      - 0
    .max_flat_workgroup_size: 256
    .name:           _ZN7rocprim17ROCPRIM_400000_NS6detail17trampoline_kernelINS0_13select_configILj256ELj13ELNS0_17block_load_methodE3ELS4_3ELS4_3ELNS0_20block_scan_algorithmE0ELj4294967295EEENS1_25partition_config_selectorILNS1_17partition_subalgoE4EjNS0_10empty_typeEbEEZZNS1_14partition_implILS8_4ELb0ES6_15HIP_vector_typeIjLj2EENS0_17counting_iteratorIjlEEPS9_SG_NS0_5tupleIJPjSI_NS0_16reverse_iteratorISI_EEEEENSH_IJSG_SG_SG_EEES9_SI_JZNS1_25segmented_radix_sort_implINS0_14default_configELb1EPKhPhPKlPlN2at6native12_GLOBAL__N_18offset_tEEE10hipError_tPvRmT1_PNSt15iterator_traitsIS12_E10value_typeET2_T3_PNS13_IS18_E10value_typeET4_jRbjT5_S1E_jjP12ihipStream_tbEUljE_ZNSN_ISO_Lb1ESQ_SR_ST_SU_SY_EESZ_S10_S11_S12_S16_S17_S18_S1B_S1C_jS1D_jS1E_S1E_jjS1G_bEUljE0_EEESZ_S10_S11_S18_S1C_S1E_T6_T7_T9_mT8_S1G_bDpT10_ENKUlT_T0_E_clISt17integral_constantIbLb1EES1U_EEDaS1P_S1Q_EUlS1P_E_NS1_11comp_targetILNS1_3genE2ELNS1_11target_archE906ELNS1_3gpuE6ELNS1_3repE0EEENS1_30default_config_static_selectorELNS0_4arch9wavefront6targetE0EEEvS12_
    .private_segment_fixed_size: 0
    .sgpr_count:     0
    .sgpr_spill_count: 0
    .symbol:         _ZN7rocprim17ROCPRIM_400000_NS6detail17trampoline_kernelINS0_13select_configILj256ELj13ELNS0_17block_load_methodE3ELS4_3ELS4_3ELNS0_20block_scan_algorithmE0ELj4294967295EEENS1_25partition_config_selectorILNS1_17partition_subalgoE4EjNS0_10empty_typeEbEEZZNS1_14partition_implILS8_4ELb0ES6_15HIP_vector_typeIjLj2EENS0_17counting_iteratorIjlEEPS9_SG_NS0_5tupleIJPjSI_NS0_16reverse_iteratorISI_EEEEENSH_IJSG_SG_SG_EEES9_SI_JZNS1_25segmented_radix_sort_implINS0_14default_configELb1EPKhPhPKlPlN2at6native12_GLOBAL__N_18offset_tEEE10hipError_tPvRmT1_PNSt15iterator_traitsIS12_E10value_typeET2_T3_PNS13_IS18_E10value_typeET4_jRbjT5_S1E_jjP12ihipStream_tbEUljE_ZNSN_ISO_Lb1ESQ_SR_ST_SU_SY_EESZ_S10_S11_S12_S16_S17_S18_S1B_S1C_jS1D_jS1E_S1E_jjS1G_bEUljE0_EEESZ_S10_S11_S18_S1C_S1E_T6_T7_T9_mT8_S1G_bDpT10_ENKUlT_T0_E_clISt17integral_constantIbLb1EES1U_EEDaS1P_S1Q_EUlS1P_E_NS1_11comp_targetILNS1_3genE2ELNS1_11target_archE906ELNS1_3gpuE6ELNS1_3repE0EEENS1_30default_config_static_selectorELNS0_4arch9wavefront6targetE0EEEvS12_.kd
    .uniform_work_group_size: 1
    .uses_dynamic_stack: false
    .vgpr_count:     0
    .vgpr_spill_count: 0
    .wavefront_size: 32
    .workgroup_processor_mode: 1
  - .args:
      - .offset:         0
        .size:           184
        .value_kind:     by_value
    .group_segment_fixed_size: 0
    .kernarg_segment_align: 8
    .kernarg_segment_size: 184
    .language:       OpenCL C
    .language_version:
      - 2
      - 0
    .max_flat_workgroup_size: 256
    .name:           _ZN7rocprim17ROCPRIM_400000_NS6detail17trampoline_kernelINS0_13select_configILj256ELj13ELNS0_17block_load_methodE3ELS4_3ELS4_3ELNS0_20block_scan_algorithmE0ELj4294967295EEENS1_25partition_config_selectorILNS1_17partition_subalgoE4EjNS0_10empty_typeEbEEZZNS1_14partition_implILS8_4ELb0ES6_15HIP_vector_typeIjLj2EENS0_17counting_iteratorIjlEEPS9_SG_NS0_5tupleIJPjSI_NS0_16reverse_iteratorISI_EEEEENSH_IJSG_SG_SG_EEES9_SI_JZNS1_25segmented_radix_sort_implINS0_14default_configELb1EPKhPhPKlPlN2at6native12_GLOBAL__N_18offset_tEEE10hipError_tPvRmT1_PNSt15iterator_traitsIS12_E10value_typeET2_T3_PNS13_IS18_E10value_typeET4_jRbjT5_S1E_jjP12ihipStream_tbEUljE_ZNSN_ISO_Lb1ESQ_SR_ST_SU_SY_EESZ_S10_S11_S12_S16_S17_S18_S1B_S1C_jS1D_jS1E_S1E_jjS1G_bEUljE0_EEESZ_S10_S11_S18_S1C_S1E_T6_T7_T9_mT8_S1G_bDpT10_ENKUlT_T0_E_clISt17integral_constantIbLb1EES1U_EEDaS1P_S1Q_EUlS1P_E_NS1_11comp_targetILNS1_3genE10ELNS1_11target_archE1200ELNS1_3gpuE4ELNS1_3repE0EEENS1_30default_config_static_selectorELNS0_4arch9wavefront6targetE0EEEvS12_
    .private_segment_fixed_size: 0
    .sgpr_count:     0
    .sgpr_spill_count: 0
    .symbol:         _ZN7rocprim17ROCPRIM_400000_NS6detail17trampoline_kernelINS0_13select_configILj256ELj13ELNS0_17block_load_methodE3ELS4_3ELS4_3ELNS0_20block_scan_algorithmE0ELj4294967295EEENS1_25partition_config_selectorILNS1_17partition_subalgoE4EjNS0_10empty_typeEbEEZZNS1_14partition_implILS8_4ELb0ES6_15HIP_vector_typeIjLj2EENS0_17counting_iteratorIjlEEPS9_SG_NS0_5tupleIJPjSI_NS0_16reverse_iteratorISI_EEEEENSH_IJSG_SG_SG_EEES9_SI_JZNS1_25segmented_radix_sort_implINS0_14default_configELb1EPKhPhPKlPlN2at6native12_GLOBAL__N_18offset_tEEE10hipError_tPvRmT1_PNSt15iterator_traitsIS12_E10value_typeET2_T3_PNS13_IS18_E10value_typeET4_jRbjT5_S1E_jjP12ihipStream_tbEUljE_ZNSN_ISO_Lb1ESQ_SR_ST_SU_SY_EESZ_S10_S11_S12_S16_S17_S18_S1B_S1C_jS1D_jS1E_S1E_jjS1G_bEUljE0_EEESZ_S10_S11_S18_S1C_S1E_T6_T7_T9_mT8_S1G_bDpT10_ENKUlT_T0_E_clISt17integral_constantIbLb1EES1U_EEDaS1P_S1Q_EUlS1P_E_NS1_11comp_targetILNS1_3genE10ELNS1_11target_archE1200ELNS1_3gpuE4ELNS1_3repE0EEENS1_30default_config_static_selectorELNS0_4arch9wavefront6targetE0EEEvS12_.kd
    .uniform_work_group_size: 1
    .uses_dynamic_stack: false
    .vgpr_count:     0
    .vgpr_spill_count: 0
    .wavefront_size: 32
    .workgroup_processor_mode: 1
  - .args:
      - .offset:         0
        .size:           184
        .value_kind:     by_value
    .group_segment_fixed_size: 13340
    .kernarg_segment_align: 8
    .kernarg_segment_size: 184
    .language:       OpenCL C
    .language_version:
      - 2
      - 0
    .max_flat_workgroup_size: 256
    .name:           _ZN7rocprim17ROCPRIM_400000_NS6detail17trampoline_kernelINS0_13select_configILj256ELj13ELNS0_17block_load_methodE3ELS4_3ELS4_3ELNS0_20block_scan_algorithmE0ELj4294967295EEENS1_25partition_config_selectorILNS1_17partition_subalgoE4EjNS0_10empty_typeEbEEZZNS1_14partition_implILS8_4ELb0ES6_15HIP_vector_typeIjLj2EENS0_17counting_iteratorIjlEEPS9_SG_NS0_5tupleIJPjSI_NS0_16reverse_iteratorISI_EEEEENSH_IJSG_SG_SG_EEES9_SI_JZNS1_25segmented_radix_sort_implINS0_14default_configELb1EPKhPhPKlPlN2at6native12_GLOBAL__N_18offset_tEEE10hipError_tPvRmT1_PNSt15iterator_traitsIS12_E10value_typeET2_T3_PNS13_IS18_E10value_typeET4_jRbjT5_S1E_jjP12ihipStream_tbEUljE_ZNSN_ISO_Lb1ESQ_SR_ST_SU_SY_EESZ_S10_S11_S12_S16_S17_S18_S1B_S1C_jS1D_jS1E_S1E_jjS1G_bEUljE0_EEESZ_S10_S11_S18_S1C_S1E_T6_T7_T9_mT8_S1G_bDpT10_ENKUlT_T0_E_clISt17integral_constantIbLb1EES1U_EEDaS1P_S1Q_EUlS1P_E_NS1_11comp_targetILNS1_3genE9ELNS1_11target_archE1100ELNS1_3gpuE3ELNS1_3repE0EEENS1_30default_config_static_selectorELNS0_4arch9wavefront6targetE0EEEvS12_
    .private_segment_fixed_size: 0
    .sgpr_count:     57
    .sgpr_spill_count: 0
    .symbol:         _ZN7rocprim17ROCPRIM_400000_NS6detail17trampoline_kernelINS0_13select_configILj256ELj13ELNS0_17block_load_methodE3ELS4_3ELS4_3ELNS0_20block_scan_algorithmE0ELj4294967295EEENS1_25partition_config_selectorILNS1_17partition_subalgoE4EjNS0_10empty_typeEbEEZZNS1_14partition_implILS8_4ELb0ES6_15HIP_vector_typeIjLj2EENS0_17counting_iteratorIjlEEPS9_SG_NS0_5tupleIJPjSI_NS0_16reverse_iteratorISI_EEEEENSH_IJSG_SG_SG_EEES9_SI_JZNS1_25segmented_radix_sort_implINS0_14default_configELb1EPKhPhPKlPlN2at6native12_GLOBAL__N_18offset_tEEE10hipError_tPvRmT1_PNSt15iterator_traitsIS12_E10value_typeET2_T3_PNS13_IS18_E10value_typeET4_jRbjT5_S1E_jjP12ihipStream_tbEUljE_ZNSN_ISO_Lb1ESQ_SR_ST_SU_SY_EESZ_S10_S11_S12_S16_S17_S18_S1B_S1C_jS1D_jS1E_S1E_jjS1G_bEUljE0_EEESZ_S10_S11_S18_S1C_S1E_T6_T7_T9_mT8_S1G_bDpT10_ENKUlT_T0_E_clISt17integral_constantIbLb1EES1U_EEDaS1P_S1Q_EUlS1P_E_NS1_11comp_targetILNS1_3genE9ELNS1_11target_archE1100ELNS1_3gpuE3ELNS1_3repE0EEENS1_30default_config_static_selectorELNS0_4arch9wavefront6targetE0EEEvS12_.kd
    .uniform_work_group_size: 1
    .uses_dynamic_stack: false
    .vgpr_count:     103
    .vgpr_spill_count: 0
    .wavefront_size: 32
    .workgroup_processor_mode: 1
  - .args:
      - .offset:         0
        .size:           184
        .value_kind:     by_value
    .group_segment_fixed_size: 0
    .kernarg_segment_align: 8
    .kernarg_segment_size: 184
    .language:       OpenCL C
    .language_version:
      - 2
      - 0
    .max_flat_workgroup_size: 256
    .name:           _ZN7rocprim17ROCPRIM_400000_NS6detail17trampoline_kernelINS0_13select_configILj256ELj13ELNS0_17block_load_methodE3ELS4_3ELS4_3ELNS0_20block_scan_algorithmE0ELj4294967295EEENS1_25partition_config_selectorILNS1_17partition_subalgoE4EjNS0_10empty_typeEbEEZZNS1_14partition_implILS8_4ELb0ES6_15HIP_vector_typeIjLj2EENS0_17counting_iteratorIjlEEPS9_SG_NS0_5tupleIJPjSI_NS0_16reverse_iteratorISI_EEEEENSH_IJSG_SG_SG_EEES9_SI_JZNS1_25segmented_radix_sort_implINS0_14default_configELb1EPKhPhPKlPlN2at6native12_GLOBAL__N_18offset_tEEE10hipError_tPvRmT1_PNSt15iterator_traitsIS12_E10value_typeET2_T3_PNS13_IS18_E10value_typeET4_jRbjT5_S1E_jjP12ihipStream_tbEUljE_ZNSN_ISO_Lb1ESQ_SR_ST_SU_SY_EESZ_S10_S11_S12_S16_S17_S18_S1B_S1C_jS1D_jS1E_S1E_jjS1G_bEUljE0_EEESZ_S10_S11_S18_S1C_S1E_T6_T7_T9_mT8_S1G_bDpT10_ENKUlT_T0_E_clISt17integral_constantIbLb1EES1U_EEDaS1P_S1Q_EUlS1P_E_NS1_11comp_targetILNS1_3genE8ELNS1_11target_archE1030ELNS1_3gpuE2ELNS1_3repE0EEENS1_30default_config_static_selectorELNS0_4arch9wavefront6targetE0EEEvS12_
    .private_segment_fixed_size: 0
    .sgpr_count:     0
    .sgpr_spill_count: 0
    .symbol:         _ZN7rocprim17ROCPRIM_400000_NS6detail17trampoline_kernelINS0_13select_configILj256ELj13ELNS0_17block_load_methodE3ELS4_3ELS4_3ELNS0_20block_scan_algorithmE0ELj4294967295EEENS1_25partition_config_selectorILNS1_17partition_subalgoE4EjNS0_10empty_typeEbEEZZNS1_14partition_implILS8_4ELb0ES6_15HIP_vector_typeIjLj2EENS0_17counting_iteratorIjlEEPS9_SG_NS0_5tupleIJPjSI_NS0_16reverse_iteratorISI_EEEEENSH_IJSG_SG_SG_EEES9_SI_JZNS1_25segmented_radix_sort_implINS0_14default_configELb1EPKhPhPKlPlN2at6native12_GLOBAL__N_18offset_tEEE10hipError_tPvRmT1_PNSt15iterator_traitsIS12_E10value_typeET2_T3_PNS13_IS18_E10value_typeET4_jRbjT5_S1E_jjP12ihipStream_tbEUljE_ZNSN_ISO_Lb1ESQ_SR_ST_SU_SY_EESZ_S10_S11_S12_S16_S17_S18_S1B_S1C_jS1D_jS1E_S1E_jjS1G_bEUljE0_EEESZ_S10_S11_S18_S1C_S1E_T6_T7_T9_mT8_S1G_bDpT10_ENKUlT_T0_E_clISt17integral_constantIbLb1EES1U_EEDaS1P_S1Q_EUlS1P_E_NS1_11comp_targetILNS1_3genE8ELNS1_11target_archE1030ELNS1_3gpuE2ELNS1_3repE0EEENS1_30default_config_static_selectorELNS0_4arch9wavefront6targetE0EEEvS12_.kd
    .uniform_work_group_size: 1
    .uses_dynamic_stack: false
    .vgpr_count:     0
    .vgpr_spill_count: 0
    .wavefront_size: 32
    .workgroup_processor_mode: 1
  - .args:
      - .address_space:  global
        .offset:         0
        .size:           8
        .value_kind:     global_buffer
      - .offset:         8
        .size:           4
        .value_kind:     by_value
      - .offset:         12
        .size:           1
        .value_kind:     by_value
      - .offset:         16
        .size:           4
        .value_kind:     by_value
      - .address_space:  global
        .offset:         24
        .size:           8
        .value_kind:     global_buffer
      - .offset:         32
        .size:           4
        .value_kind:     hidden_block_count_x
      - .offset:         36
        .size:           4
        .value_kind:     hidden_block_count_y
      - .offset:         40
        .size:           4
        .value_kind:     hidden_block_count_z
      - .offset:         44
        .size:           2
        .value_kind:     hidden_group_size_x
      - .offset:         46
        .size:           2
        .value_kind:     hidden_group_size_y
      - .offset:         48
        .size:           2
        .value_kind:     hidden_group_size_z
      - .offset:         50
        .size:           2
        .value_kind:     hidden_remainder_x
      - .offset:         52
        .size:           2
        .value_kind:     hidden_remainder_y
      - .offset:         54
        .size:           2
        .value_kind:     hidden_remainder_z
      - .offset:         72
        .size:           8
        .value_kind:     hidden_global_offset_x
      - .offset:         80
        .size:           8
        .value_kind:     hidden_global_offset_y
      - .offset:         88
        .size:           8
        .value_kind:     hidden_global_offset_z
      - .offset:         96
        .size:           2
        .value_kind:     hidden_grid_dims
    .group_segment_fixed_size: 0
    .kernarg_segment_align: 8
    .kernarg_segment_size: 288
    .language:       OpenCL C
    .language_version:
      - 2
      - 0
    .max_flat_workgroup_size: 256
    .name:           _ZN7rocprim17ROCPRIM_400000_NS6detail31init_lookback_scan_state_kernelINS1_19lookback_scan_stateI15HIP_vector_typeIjLj2EELb1ELb1EEENS1_16block_id_wrapperIjLb0EEEEEvT_jT0_jPNS9_10value_typeE
    .private_segment_fixed_size: 0
    .sgpr_count:     18
    .sgpr_spill_count: 0
    .symbol:         _ZN7rocprim17ROCPRIM_400000_NS6detail31init_lookback_scan_state_kernelINS1_19lookback_scan_stateI15HIP_vector_typeIjLj2EELb1ELb1EEENS1_16block_id_wrapperIjLb0EEEEEvT_jT0_jPNS9_10value_typeE.kd
    .uniform_work_group_size: 1
    .uses_dynamic_stack: false
    .vgpr_count:     9
    .vgpr_spill_count: 0
    .wavefront_size: 32
    .workgroup_processor_mode: 1
  - .args:
      - .offset:         0
        .size:           176
        .value_kind:     by_value
    .group_segment_fixed_size: 0
    .kernarg_segment_align: 8
    .kernarg_segment_size: 176
    .language:       OpenCL C
    .language_version:
      - 2
      - 0
    .max_flat_workgroup_size: 256
    .name:           _ZN7rocprim17ROCPRIM_400000_NS6detail17trampoline_kernelINS0_13select_configILj256ELj13ELNS0_17block_load_methodE3ELS4_3ELS4_3ELNS0_20block_scan_algorithmE0ELj4294967295EEENS1_25partition_config_selectorILNS1_17partition_subalgoE4EjNS0_10empty_typeEbEEZZNS1_14partition_implILS8_4ELb0ES6_15HIP_vector_typeIjLj2EENS0_17counting_iteratorIjlEEPS9_SG_NS0_5tupleIJPjSI_NS0_16reverse_iteratorISI_EEEEENSH_IJSG_SG_SG_EEES9_SI_JZNS1_25segmented_radix_sort_implINS0_14default_configELb1EPKhPhPKlPlN2at6native12_GLOBAL__N_18offset_tEEE10hipError_tPvRmT1_PNSt15iterator_traitsIS12_E10value_typeET2_T3_PNS13_IS18_E10value_typeET4_jRbjT5_S1E_jjP12ihipStream_tbEUljE_ZNSN_ISO_Lb1ESQ_SR_ST_SU_SY_EESZ_S10_S11_S12_S16_S17_S18_S1B_S1C_jS1D_jS1E_S1E_jjS1G_bEUljE0_EEESZ_S10_S11_S18_S1C_S1E_T6_T7_T9_mT8_S1G_bDpT10_ENKUlT_T0_E_clISt17integral_constantIbLb1EES1T_IbLb0EEEEDaS1P_S1Q_EUlS1P_E_NS1_11comp_targetILNS1_3genE0ELNS1_11target_archE4294967295ELNS1_3gpuE0ELNS1_3repE0EEENS1_30default_config_static_selectorELNS0_4arch9wavefront6targetE0EEEvS12_
    .private_segment_fixed_size: 0
    .sgpr_count:     0
    .sgpr_spill_count: 0
    .symbol:         _ZN7rocprim17ROCPRIM_400000_NS6detail17trampoline_kernelINS0_13select_configILj256ELj13ELNS0_17block_load_methodE3ELS4_3ELS4_3ELNS0_20block_scan_algorithmE0ELj4294967295EEENS1_25partition_config_selectorILNS1_17partition_subalgoE4EjNS0_10empty_typeEbEEZZNS1_14partition_implILS8_4ELb0ES6_15HIP_vector_typeIjLj2EENS0_17counting_iteratorIjlEEPS9_SG_NS0_5tupleIJPjSI_NS0_16reverse_iteratorISI_EEEEENSH_IJSG_SG_SG_EEES9_SI_JZNS1_25segmented_radix_sort_implINS0_14default_configELb1EPKhPhPKlPlN2at6native12_GLOBAL__N_18offset_tEEE10hipError_tPvRmT1_PNSt15iterator_traitsIS12_E10value_typeET2_T3_PNS13_IS18_E10value_typeET4_jRbjT5_S1E_jjP12ihipStream_tbEUljE_ZNSN_ISO_Lb1ESQ_SR_ST_SU_SY_EESZ_S10_S11_S12_S16_S17_S18_S1B_S1C_jS1D_jS1E_S1E_jjS1G_bEUljE0_EEESZ_S10_S11_S18_S1C_S1E_T6_T7_T9_mT8_S1G_bDpT10_ENKUlT_T0_E_clISt17integral_constantIbLb1EES1T_IbLb0EEEEDaS1P_S1Q_EUlS1P_E_NS1_11comp_targetILNS1_3genE0ELNS1_11target_archE4294967295ELNS1_3gpuE0ELNS1_3repE0EEENS1_30default_config_static_selectorELNS0_4arch9wavefront6targetE0EEEvS12_.kd
    .uniform_work_group_size: 1
    .uses_dynamic_stack: false
    .vgpr_count:     0
    .vgpr_spill_count: 0
    .wavefront_size: 32
    .workgroup_processor_mode: 1
  - .args:
      - .offset:         0
        .size:           176
        .value_kind:     by_value
    .group_segment_fixed_size: 0
    .kernarg_segment_align: 8
    .kernarg_segment_size: 176
    .language:       OpenCL C
    .language_version:
      - 2
      - 0
    .max_flat_workgroup_size: 256
    .name:           _ZN7rocprim17ROCPRIM_400000_NS6detail17trampoline_kernelINS0_13select_configILj256ELj13ELNS0_17block_load_methodE3ELS4_3ELS4_3ELNS0_20block_scan_algorithmE0ELj4294967295EEENS1_25partition_config_selectorILNS1_17partition_subalgoE4EjNS0_10empty_typeEbEEZZNS1_14partition_implILS8_4ELb0ES6_15HIP_vector_typeIjLj2EENS0_17counting_iteratorIjlEEPS9_SG_NS0_5tupleIJPjSI_NS0_16reverse_iteratorISI_EEEEENSH_IJSG_SG_SG_EEES9_SI_JZNS1_25segmented_radix_sort_implINS0_14default_configELb1EPKhPhPKlPlN2at6native12_GLOBAL__N_18offset_tEEE10hipError_tPvRmT1_PNSt15iterator_traitsIS12_E10value_typeET2_T3_PNS13_IS18_E10value_typeET4_jRbjT5_S1E_jjP12ihipStream_tbEUljE_ZNSN_ISO_Lb1ESQ_SR_ST_SU_SY_EESZ_S10_S11_S12_S16_S17_S18_S1B_S1C_jS1D_jS1E_S1E_jjS1G_bEUljE0_EEESZ_S10_S11_S18_S1C_S1E_T6_T7_T9_mT8_S1G_bDpT10_ENKUlT_T0_E_clISt17integral_constantIbLb1EES1T_IbLb0EEEEDaS1P_S1Q_EUlS1P_E_NS1_11comp_targetILNS1_3genE5ELNS1_11target_archE942ELNS1_3gpuE9ELNS1_3repE0EEENS1_30default_config_static_selectorELNS0_4arch9wavefront6targetE0EEEvS12_
    .private_segment_fixed_size: 0
    .sgpr_count:     0
    .sgpr_spill_count: 0
    .symbol:         _ZN7rocprim17ROCPRIM_400000_NS6detail17trampoline_kernelINS0_13select_configILj256ELj13ELNS0_17block_load_methodE3ELS4_3ELS4_3ELNS0_20block_scan_algorithmE0ELj4294967295EEENS1_25partition_config_selectorILNS1_17partition_subalgoE4EjNS0_10empty_typeEbEEZZNS1_14partition_implILS8_4ELb0ES6_15HIP_vector_typeIjLj2EENS0_17counting_iteratorIjlEEPS9_SG_NS0_5tupleIJPjSI_NS0_16reverse_iteratorISI_EEEEENSH_IJSG_SG_SG_EEES9_SI_JZNS1_25segmented_radix_sort_implINS0_14default_configELb1EPKhPhPKlPlN2at6native12_GLOBAL__N_18offset_tEEE10hipError_tPvRmT1_PNSt15iterator_traitsIS12_E10value_typeET2_T3_PNS13_IS18_E10value_typeET4_jRbjT5_S1E_jjP12ihipStream_tbEUljE_ZNSN_ISO_Lb1ESQ_SR_ST_SU_SY_EESZ_S10_S11_S12_S16_S17_S18_S1B_S1C_jS1D_jS1E_S1E_jjS1G_bEUljE0_EEESZ_S10_S11_S18_S1C_S1E_T6_T7_T9_mT8_S1G_bDpT10_ENKUlT_T0_E_clISt17integral_constantIbLb1EES1T_IbLb0EEEEDaS1P_S1Q_EUlS1P_E_NS1_11comp_targetILNS1_3genE5ELNS1_11target_archE942ELNS1_3gpuE9ELNS1_3repE0EEENS1_30default_config_static_selectorELNS0_4arch9wavefront6targetE0EEEvS12_.kd
    .uniform_work_group_size: 1
    .uses_dynamic_stack: false
    .vgpr_count:     0
    .vgpr_spill_count: 0
    .wavefront_size: 32
    .workgroup_processor_mode: 1
  - .args:
      - .offset:         0
        .size:           176
        .value_kind:     by_value
    .group_segment_fixed_size: 0
    .kernarg_segment_align: 8
    .kernarg_segment_size: 176
    .language:       OpenCL C
    .language_version:
      - 2
      - 0
    .max_flat_workgroup_size: 256
    .name:           _ZN7rocprim17ROCPRIM_400000_NS6detail17trampoline_kernelINS0_13select_configILj256ELj13ELNS0_17block_load_methodE3ELS4_3ELS4_3ELNS0_20block_scan_algorithmE0ELj4294967295EEENS1_25partition_config_selectorILNS1_17partition_subalgoE4EjNS0_10empty_typeEbEEZZNS1_14partition_implILS8_4ELb0ES6_15HIP_vector_typeIjLj2EENS0_17counting_iteratorIjlEEPS9_SG_NS0_5tupleIJPjSI_NS0_16reverse_iteratorISI_EEEEENSH_IJSG_SG_SG_EEES9_SI_JZNS1_25segmented_radix_sort_implINS0_14default_configELb1EPKhPhPKlPlN2at6native12_GLOBAL__N_18offset_tEEE10hipError_tPvRmT1_PNSt15iterator_traitsIS12_E10value_typeET2_T3_PNS13_IS18_E10value_typeET4_jRbjT5_S1E_jjP12ihipStream_tbEUljE_ZNSN_ISO_Lb1ESQ_SR_ST_SU_SY_EESZ_S10_S11_S12_S16_S17_S18_S1B_S1C_jS1D_jS1E_S1E_jjS1G_bEUljE0_EEESZ_S10_S11_S18_S1C_S1E_T6_T7_T9_mT8_S1G_bDpT10_ENKUlT_T0_E_clISt17integral_constantIbLb1EES1T_IbLb0EEEEDaS1P_S1Q_EUlS1P_E_NS1_11comp_targetILNS1_3genE4ELNS1_11target_archE910ELNS1_3gpuE8ELNS1_3repE0EEENS1_30default_config_static_selectorELNS0_4arch9wavefront6targetE0EEEvS12_
    .private_segment_fixed_size: 0
    .sgpr_count:     0
    .sgpr_spill_count: 0
    .symbol:         _ZN7rocprim17ROCPRIM_400000_NS6detail17trampoline_kernelINS0_13select_configILj256ELj13ELNS0_17block_load_methodE3ELS4_3ELS4_3ELNS0_20block_scan_algorithmE0ELj4294967295EEENS1_25partition_config_selectorILNS1_17partition_subalgoE4EjNS0_10empty_typeEbEEZZNS1_14partition_implILS8_4ELb0ES6_15HIP_vector_typeIjLj2EENS0_17counting_iteratorIjlEEPS9_SG_NS0_5tupleIJPjSI_NS0_16reverse_iteratorISI_EEEEENSH_IJSG_SG_SG_EEES9_SI_JZNS1_25segmented_radix_sort_implINS0_14default_configELb1EPKhPhPKlPlN2at6native12_GLOBAL__N_18offset_tEEE10hipError_tPvRmT1_PNSt15iterator_traitsIS12_E10value_typeET2_T3_PNS13_IS18_E10value_typeET4_jRbjT5_S1E_jjP12ihipStream_tbEUljE_ZNSN_ISO_Lb1ESQ_SR_ST_SU_SY_EESZ_S10_S11_S12_S16_S17_S18_S1B_S1C_jS1D_jS1E_S1E_jjS1G_bEUljE0_EEESZ_S10_S11_S18_S1C_S1E_T6_T7_T9_mT8_S1G_bDpT10_ENKUlT_T0_E_clISt17integral_constantIbLb1EES1T_IbLb0EEEEDaS1P_S1Q_EUlS1P_E_NS1_11comp_targetILNS1_3genE4ELNS1_11target_archE910ELNS1_3gpuE8ELNS1_3repE0EEENS1_30default_config_static_selectorELNS0_4arch9wavefront6targetE0EEEvS12_.kd
    .uniform_work_group_size: 1
    .uses_dynamic_stack: false
    .vgpr_count:     0
    .vgpr_spill_count: 0
    .wavefront_size: 32
    .workgroup_processor_mode: 1
  - .args:
      - .offset:         0
        .size:           176
        .value_kind:     by_value
    .group_segment_fixed_size: 0
    .kernarg_segment_align: 8
    .kernarg_segment_size: 176
    .language:       OpenCL C
    .language_version:
      - 2
      - 0
    .max_flat_workgroup_size: 256
    .name:           _ZN7rocprim17ROCPRIM_400000_NS6detail17trampoline_kernelINS0_13select_configILj256ELj13ELNS0_17block_load_methodE3ELS4_3ELS4_3ELNS0_20block_scan_algorithmE0ELj4294967295EEENS1_25partition_config_selectorILNS1_17partition_subalgoE4EjNS0_10empty_typeEbEEZZNS1_14partition_implILS8_4ELb0ES6_15HIP_vector_typeIjLj2EENS0_17counting_iteratorIjlEEPS9_SG_NS0_5tupleIJPjSI_NS0_16reverse_iteratorISI_EEEEENSH_IJSG_SG_SG_EEES9_SI_JZNS1_25segmented_radix_sort_implINS0_14default_configELb1EPKhPhPKlPlN2at6native12_GLOBAL__N_18offset_tEEE10hipError_tPvRmT1_PNSt15iterator_traitsIS12_E10value_typeET2_T3_PNS13_IS18_E10value_typeET4_jRbjT5_S1E_jjP12ihipStream_tbEUljE_ZNSN_ISO_Lb1ESQ_SR_ST_SU_SY_EESZ_S10_S11_S12_S16_S17_S18_S1B_S1C_jS1D_jS1E_S1E_jjS1G_bEUljE0_EEESZ_S10_S11_S18_S1C_S1E_T6_T7_T9_mT8_S1G_bDpT10_ENKUlT_T0_E_clISt17integral_constantIbLb1EES1T_IbLb0EEEEDaS1P_S1Q_EUlS1P_E_NS1_11comp_targetILNS1_3genE3ELNS1_11target_archE908ELNS1_3gpuE7ELNS1_3repE0EEENS1_30default_config_static_selectorELNS0_4arch9wavefront6targetE0EEEvS12_
    .private_segment_fixed_size: 0
    .sgpr_count:     0
    .sgpr_spill_count: 0
    .symbol:         _ZN7rocprim17ROCPRIM_400000_NS6detail17trampoline_kernelINS0_13select_configILj256ELj13ELNS0_17block_load_methodE3ELS4_3ELS4_3ELNS0_20block_scan_algorithmE0ELj4294967295EEENS1_25partition_config_selectorILNS1_17partition_subalgoE4EjNS0_10empty_typeEbEEZZNS1_14partition_implILS8_4ELb0ES6_15HIP_vector_typeIjLj2EENS0_17counting_iteratorIjlEEPS9_SG_NS0_5tupleIJPjSI_NS0_16reverse_iteratorISI_EEEEENSH_IJSG_SG_SG_EEES9_SI_JZNS1_25segmented_radix_sort_implINS0_14default_configELb1EPKhPhPKlPlN2at6native12_GLOBAL__N_18offset_tEEE10hipError_tPvRmT1_PNSt15iterator_traitsIS12_E10value_typeET2_T3_PNS13_IS18_E10value_typeET4_jRbjT5_S1E_jjP12ihipStream_tbEUljE_ZNSN_ISO_Lb1ESQ_SR_ST_SU_SY_EESZ_S10_S11_S12_S16_S17_S18_S1B_S1C_jS1D_jS1E_S1E_jjS1G_bEUljE0_EEESZ_S10_S11_S18_S1C_S1E_T6_T7_T9_mT8_S1G_bDpT10_ENKUlT_T0_E_clISt17integral_constantIbLb1EES1T_IbLb0EEEEDaS1P_S1Q_EUlS1P_E_NS1_11comp_targetILNS1_3genE3ELNS1_11target_archE908ELNS1_3gpuE7ELNS1_3repE0EEENS1_30default_config_static_selectorELNS0_4arch9wavefront6targetE0EEEvS12_.kd
    .uniform_work_group_size: 1
    .uses_dynamic_stack: false
    .vgpr_count:     0
    .vgpr_spill_count: 0
    .wavefront_size: 32
    .workgroup_processor_mode: 1
  - .args:
      - .offset:         0
        .size:           176
        .value_kind:     by_value
    .group_segment_fixed_size: 0
    .kernarg_segment_align: 8
    .kernarg_segment_size: 176
    .language:       OpenCL C
    .language_version:
      - 2
      - 0
    .max_flat_workgroup_size: 256
    .name:           _ZN7rocprim17ROCPRIM_400000_NS6detail17trampoline_kernelINS0_13select_configILj256ELj13ELNS0_17block_load_methodE3ELS4_3ELS4_3ELNS0_20block_scan_algorithmE0ELj4294967295EEENS1_25partition_config_selectorILNS1_17partition_subalgoE4EjNS0_10empty_typeEbEEZZNS1_14partition_implILS8_4ELb0ES6_15HIP_vector_typeIjLj2EENS0_17counting_iteratorIjlEEPS9_SG_NS0_5tupleIJPjSI_NS0_16reverse_iteratorISI_EEEEENSH_IJSG_SG_SG_EEES9_SI_JZNS1_25segmented_radix_sort_implINS0_14default_configELb1EPKhPhPKlPlN2at6native12_GLOBAL__N_18offset_tEEE10hipError_tPvRmT1_PNSt15iterator_traitsIS12_E10value_typeET2_T3_PNS13_IS18_E10value_typeET4_jRbjT5_S1E_jjP12ihipStream_tbEUljE_ZNSN_ISO_Lb1ESQ_SR_ST_SU_SY_EESZ_S10_S11_S12_S16_S17_S18_S1B_S1C_jS1D_jS1E_S1E_jjS1G_bEUljE0_EEESZ_S10_S11_S18_S1C_S1E_T6_T7_T9_mT8_S1G_bDpT10_ENKUlT_T0_E_clISt17integral_constantIbLb1EES1T_IbLb0EEEEDaS1P_S1Q_EUlS1P_E_NS1_11comp_targetILNS1_3genE2ELNS1_11target_archE906ELNS1_3gpuE6ELNS1_3repE0EEENS1_30default_config_static_selectorELNS0_4arch9wavefront6targetE0EEEvS12_
    .private_segment_fixed_size: 0
    .sgpr_count:     0
    .sgpr_spill_count: 0
    .symbol:         _ZN7rocprim17ROCPRIM_400000_NS6detail17trampoline_kernelINS0_13select_configILj256ELj13ELNS0_17block_load_methodE3ELS4_3ELS4_3ELNS0_20block_scan_algorithmE0ELj4294967295EEENS1_25partition_config_selectorILNS1_17partition_subalgoE4EjNS0_10empty_typeEbEEZZNS1_14partition_implILS8_4ELb0ES6_15HIP_vector_typeIjLj2EENS0_17counting_iteratorIjlEEPS9_SG_NS0_5tupleIJPjSI_NS0_16reverse_iteratorISI_EEEEENSH_IJSG_SG_SG_EEES9_SI_JZNS1_25segmented_radix_sort_implINS0_14default_configELb1EPKhPhPKlPlN2at6native12_GLOBAL__N_18offset_tEEE10hipError_tPvRmT1_PNSt15iterator_traitsIS12_E10value_typeET2_T3_PNS13_IS18_E10value_typeET4_jRbjT5_S1E_jjP12ihipStream_tbEUljE_ZNSN_ISO_Lb1ESQ_SR_ST_SU_SY_EESZ_S10_S11_S12_S16_S17_S18_S1B_S1C_jS1D_jS1E_S1E_jjS1G_bEUljE0_EEESZ_S10_S11_S18_S1C_S1E_T6_T7_T9_mT8_S1G_bDpT10_ENKUlT_T0_E_clISt17integral_constantIbLb1EES1T_IbLb0EEEEDaS1P_S1Q_EUlS1P_E_NS1_11comp_targetILNS1_3genE2ELNS1_11target_archE906ELNS1_3gpuE6ELNS1_3repE0EEENS1_30default_config_static_selectorELNS0_4arch9wavefront6targetE0EEEvS12_.kd
    .uniform_work_group_size: 1
    .uses_dynamic_stack: false
    .vgpr_count:     0
    .vgpr_spill_count: 0
    .wavefront_size: 32
    .workgroup_processor_mode: 1
  - .args:
      - .offset:         0
        .size:           176
        .value_kind:     by_value
    .group_segment_fixed_size: 0
    .kernarg_segment_align: 8
    .kernarg_segment_size: 176
    .language:       OpenCL C
    .language_version:
      - 2
      - 0
    .max_flat_workgroup_size: 256
    .name:           _ZN7rocprim17ROCPRIM_400000_NS6detail17trampoline_kernelINS0_13select_configILj256ELj13ELNS0_17block_load_methodE3ELS4_3ELS4_3ELNS0_20block_scan_algorithmE0ELj4294967295EEENS1_25partition_config_selectorILNS1_17partition_subalgoE4EjNS0_10empty_typeEbEEZZNS1_14partition_implILS8_4ELb0ES6_15HIP_vector_typeIjLj2EENS0_17counting_iteratorIjlEEPS9_SG_NS0_5tupleIJPjSI_NS0_16reverse_iteratorISI_EEEEENSH_IJSG_SG_SG_EEES9_SI_JZNS1_25segmented_radix_sort_implINS0_14default_configELb1EPKhPhPKlPlN2at6native12_GLOBAL__N_18offset_tEEE10hipError_tPvRmT1_PNSt15iterator_traitsIS12_E10value_typeET2_T3_PNS13_IS18_E10value_typeET4_jRbjT5_S1E_jjP12ihipStream_tbEUljE_ZNSN_ISO_Lb1ESQ_SR_ST_SU_SY_EESZ_S10_S11_S12_S16_S17_S18_S1B_S1C_jS1D_jS1E_S1E_jjS1G_bEUljE0_EEESZ_S10_S11_S18_S1C_S1E_T6_T7_T9_mT8_S1G_bDpT10_ENKUlT_T0_E_clISt17integral_constantIbLb1EES1T_IbLb0EEEEDaS1P_S1Q_EUlS1P_E_NS1_11comp_targetILNS1_3genE10ELNS1_11target_archE1200ELNS1_3gpuE4ELNS1_3repE0EEENS1_30default_config_static_selectorELNS0_4arch9wavefront6targetE0EEEvS12_
    .private_segment_fixed_size: 0
    .sgpr_count:     0
    .sgpr_spill_count: 0
    .symbol:         _ZN7rocprim17ROCPRIM_400000_NS6detail17trampoline_kernelINS0_13select_configILj256ELj13ELNS0_17block_load_methodE3ELS4_3ELS4_3ELNS0_20block_scan_algorithmE0ELj4294967295EEENS1_25partition_config_selectorILNS1_17partition_subalgoE4EjNS0_10empty_typeEbEEZZNS1_14partition_implILS8_4ELb0ES6_15HIP_vector_typeIjLj2EENS0_17counting_iteratorIjlEEPS9_SG_NS0_5tupleIJPjSI_NS0_16reverse_iteratorISI_EEEEENSH_IJSG_SG_SG_EEES9_SI_JZNS1_25segmented_radix_sort_implINS0_14default_configELb1EPKhPhPKlPlN2at6native12_GLOBAL__N_18offset_tEEE10hipError_tPvRmT1_PNSt15iterator_traitsIS12_E10value_typeET2_T3_PNS13_IS18_E10value_typeET4_jRbjT5_S1E_jjP12ihipStream_tbEUljE_ZNSN_ISO_Lb1ESQ_SR_ST_SU_SY_EESZ_S10_S11_S12_S16_S17_S18_S1B_S1C_jS1D_jS1E_S1E_jjS1G_bEUljE0_EEESZ_S10_S11_S18_S1C_S1E_T6_T7_T9_mT8_S1G_bDpT10_ENKUlT_T0_E_clISt17integral_constantIbLb1EES1T_IbLb0EEEEDaS1P_S1Q_EUlS1P_E_NS1_11comp_targetILNS1_3genE10ELNS1_11target_archE1200ELNS1_3gpuE4ELNS1_3repE0EEENS1_30default_config_static_selectorELNS0_4arch9wavefront6targetE0EEEvS12_.kd
    .uniform_work_group_size: 1
    .uses_dynamic_stack: false
    .vgpr_count:     0
    .vgpr_spill_count: 0
    .wavefront_size: 32
    .workgroup_processor_mode: 1
  - .args:
      - .offset:         0
        .size:           176
        .value_kind:     by_value
    .group_segment_fixed_size: 13340
    .kernarg_segment_align: 8
    .kernarg_segment_size: 176
    .language:       OpenCL C
    .language_version:
      - 2
      - 0
    .max_flat_workgroup_size: 256
    .name:           _ZN7rocprim17ROCPRIM_400000_NS6detail17trampoline_kernelINS0_13select_configILj256ELj13ELNS0_17block_load_methodE3ELS4_3ELS4_3ELNS0_20block_scan_algorithmE0ELj4294967295EEENS1_25partition_config_selectorILNS1_17partition_subalgoE4EjNS0_10empty_typeEbEEZZNS1_14partition_implILS8_4ELb0ES6_15HIP_vector_typeIjLj2EENS0_17counting_iteratorIjlEEPS9_SG_NS0_5tupleIJPjSI_NS0_16reverse_iteratorISI_EEEEENSH_IJSG_SG_SG_EEES9_SI_JZNS1_25segmented_radix_sort_implINS0_14default_configELb1EPKhPhPKlPlN2at6native12_GLOBAL__N_18offset_tEEE10hipError_tPvRmT1_PNSt15iterator_traitsIS12_E10value_typeET2_T3_PNS13_IS18_E10value_typeET4_jRbjT5_S1E_jjP12ihipStream_tbEUljE_ZNSN_ISO_Lb1ESQ_SR_ST_SU_SY_EESZ_S10_S11_S12_S16_S17_S18_S1B_S1C_jS1D_jS1E_S1E_jjS1G_bEUljE0_EEESZ_S10_S11_S18_S1C_S1E_T6_T7_T9_mT8_S1G_bDpT10_ENKUlT_T0_E_clISt17integral_constantIbLb1EES1T_IbLb0EEEEDaS1P_S1Q_EUlS1P_E_NS1_11comp_targetILNS1_3genE9ELNS1_11target_archE1100ELNS1_3gpuE3ELNS1_3repE0EEENS1_30default_config_static_selectorELNS0_4arch9wavefront6targetE0EEEvS12_
    .private_segment_fixed_size: 0
    .sgpr_count:     61
    .sgpr_spill_count: 0
    .symbol:         _ZN7rocprim17ROCPRIM_400000_NS6detail17trampoline_kernelINS0_13select_configILj256ELj13ELNS0_17block_load_methodE3ELS4_3ELS4_3ELNS0_20block_scan_algorithmE0ELj4294967295EEENS1_25partition_config_selectorILNS1_17partition_subalgoE4EjNS0_10empty_typeEbEEZZNS1_14partition_implILS8_4ELb0ES6_15HIP_vector_typeIjLj2EENS0_17counting_iteratorIjlEEPS9_SG_NS0_5tupleIJPjSI_NS0_16reverse_iteratorISI_EEEEENSH_IJSG_SG_SG_EEES9_SI_JZNS1_25segmented_radix_sort_implINS0_14default_configELb1EPKhPhPKlPlN2at6native12_GLOBAL__N_18offset_tEEE10hipError_tPvRmT1_PNSt15iterator_traitsIS12_E10value_typeET2_T3_PNS13_IS18_E10value_typeET4_jRbjT5_S1E_jjP12ihipStream_tbEUljE_ZNSN_ISO_Lb1ESQ_SR_ST_SU_SY_EESZ_S10_S11_S12_S16_S17_S18_S1B_S1C_jS1D_jS1E_S1E_jjS1G_bEUljE0_EEESZ_S10_S11_S18_S1C_S1E_T6_T7_T9_mT8_S1G_bDpT10_ENKUlT_T0_E_clISt17integral_constantIbLb1EES1T_IbLb0EEEEDaS1P_S1Q_EUlS1P_E_NS1_11comp_targetILNS1_3genE9ELNS1_11target_archE1100ELNS1_3gpuE3ELNS1_3repE0EEENS1_30default_config_static_selectorELNS0_4arch9wavefront6targetE0EEEvS12_.kd
    .uniform_work_group_size: 1
    .uses_dynamic_stack: false
    .vgpr_count:     98
    .vgpr_spill_count: 0
    .wavefront_size: 32
    .workgroup_processor_mode: 1
  - .args:
      - .offset:         0
        .size:           176
        .value_kind:     by_value
    .group_segment_fixed_size: 0
    .kernarg_segment_align: 8
    .kernarg_segment_size: 176
    .language:       OpenCL C
    .language_version:
      - 2
      - 0
    .max_flat_workgroup_size: 256
    .name:           _ZN7rocprim17ROCPRIM_400000_NS6detail17trampoline_kernelINS0_13select_configILj256ELj13ELNS0_17block_load_methodE3ELS4_3ELS4_3ELNS0_20block_scan_algorithmE0ELj4294967295EEENS1_25partition_config_selectorILNS1_17partition_subalgoE4EjNS0_10empty_typeEbEEZZNS1_14partition_implILS8_4ELb0ES6_15HIP_vector_typeIjLj2EENS0_17counting_iteratorIjlEEPS9_SG_NS0_5tupleIJPjSI_NS0_16reverse_iteratorISI_EEEEENSH_IJSG_SG_SG_EEES9_SI_JZNS1_25segmented_radix_sort_implINS0_14default_configELb1EPKhPhPKlPlN2at6native12_GLOBAL__N_18offset_tEEE10hipError_tPvRmT1_PNSt15iterator_traitsIS12_E10value_typeET2_T3_PNS13_IS18_E10value_typeET4_jRbjT5_S1E_jjP12ihipStream_tbEUljE_ZNSN_ISO_Lb1ESQ_SR_ST_SU_SY_EESZ_S10_S11_S12_S16_S17_S18_S1B_S1C_jS1D_jS1E_S1E_jjS1G_bEUljE0_EEESZ_S10_S11_S18_S1C_S1E_T6_T7_T9_mT8_S1G_bDpT10_ENKUlT_T0_E_clISt17integral_constantIbLb1EES1T_IbLb0EEEEDaS1P_S1Q_EUlS1P_E_NS1_11comp_targetILNS1_3genE8ELNS1_11target_archE1030ELNS1_3gpuE2ELNS1_3repE0EEENS1_30default_config_static_selectorELNS0_4arch9wavefront6targetE0EEEvS12_
    .private_segment_fixed_size: 0
    .sgpr_count:     0
    .sgpr_spill_count: 0
    .symbol:         _ZN7rocprim17ROCPRIM_400000_NS6detail17trampoline_kernelINS0_13select_configILj256ELj13ELNS0_17block_load_methodE3ELS4_3ELS4_3ELNS0_20block_scan_algorithmE0ELj4294967295EEENS1_25partition_config_selectorILNS1_17partition_subalgoE4EjNS0_10empty_typeEbEEZZNS1_14partition_implILS8_4ELb0ES6_15HIP_vector_typeIjLj2EENS0_17counting_iteratorIjlEEPS9_SG_NS0_5tupleIJPjSI_NS0_16reverse_iteratorISI_EEEEENSH_IJSG_SG_SG_EEES9_SI_JZNS1_25segmented_radix_sort_implINS0_14default_configELb1EPKhPhPKlPlN2at6native12_GLOBAL__N_18offset_tEEE10hipError_tPvRmT1_PNSt15iterator_traitsIS12_E10value_typeET2_T3_PNS13_IS18_E10value_typeET4_jRbjT5_S1E_jjP12ihipStream_tbEUljE_ZNSN_ISO_Lb1ESQ_SR_ST_SU_SY_EESZ_S10_S11_S12_S16_S17_S18_S1B_S1C_jS1D_jS1E_S1E_jjS1G_bEUljE0_EEESZ_S10_S11_S18_S1C_S1E_T6_T7_T9_mT8_S1G_bDpT10_ENKUlT_T0_E_clISt17integral_constantIbLb1EES1T_IbLb0EEEEDaS1P_S1Q_EUlS1P_E_NS1_11comp_targetILNS1_3genE8ELNS1_11target_archE1030ELNS1_3gpuE2ELNS1_3repE0EEENS1_30default_config_static_selectorELNS0_4arch9wavefront6targetE0EEEvS12_.kd
    .uniform_work_group_size: 1
    .uses_dynamic_stack: false
    .vgpr_count:     0
    .vgpr_spill_count: 0
    .wavefront_size: 32
    .workgroup_processor_mode: 1
  - .args:
      - .address_space:  global
        .offset:         0
        .size:           8
        .value_kind:     global_buffer
      - .offset:         8
        .size:           4
        .value_kind:     by_value
      - .address_space:  global
        .offset:         16
        .size:           8
        .value_kind:     global_buffer
      - .offset:         24
        .size:           4
        .value_kind:     by_value
      - .address_space:  global
        .offset:         32
        .size:           8
        .value_kind:     global_buffer
      - .offset:         40
        .size:           4
        .value_kind:     hidden_block_count_x
      - .offset:         44
        .size:           4
        .value_kind:     hidden_block_count_y
      - .offset:         48
        .size:           4
        .value_kind:     hidden_block_count_z
      - .offset:         52
        .size:           2
        .value_kind:     hidden_group_size_x
      - .offset:         54
        .size:           2
        .value_kind:     hidden_group_size_y
      - .offset:         56
        .size:           2
        .value_kind:     hidden_group_size_z
      - .offset:         58
        .size:           2
        .value_kind:     hidden_remainder_x
      - .offset:         60
        .size:           2
        .value_kind:     hidden_remainder_y
      - .offset:         62
        .size:           2
        .value_kind:     hidden_remainder_z
      - .offset:         80
        .size:           8
        .value_kind:     hidden_global_offset_x
      - .offset:         88
        .size:           8
        .value_kind:     hidden_global_offset_y
      - .offset:         96
        .size:           8
        .value_kind:     hidden_global_offset_z
      - .offset:         104
        .size:           2
        .value_kind:     hidden_grid_dims
    .group_segment_fixed_size: 0
    .kernarg_segment_align: 8
    .kernarg_segment_size: 296
    .language:       OpenCL C
    .language_version:
      - 2
      - 0
    .max_flat_workgroup_size: 256
    .name:           _ZN7rocprim17ROCPRIM_400000_NS6detail31init_lookback_scan_state_kernelINS1_19lookback_scan_stateI15HIP_vector_typeIjLj2EELb0ELb1EEENS1_16block_id_wrapperIjLb1EEEEEvT_jT0_jPNS9_10value_typeE
    .private_segment_fixed_size: 0
    .sgpr_count:     18
    .sgpr_spill_count: 0
    .symbol:         _ZN7rocprim17ROCPRIM_400000_NS6detail31init_lookback_scan_state_kernelINS1_19lookback_scan_stateI15HIP_vector_typeIjLj2EELb0ELb1EEENS1_16block_id_wrapperIjLb1EEEEEvT_jT0_jPNS9_10value_typeE.kd
    .uniform_work_group_size: 1
    .uses_dynamic_stack: false
    .vgpr_count:     9
    .vgpr_spill_count: 0
    .wavefront_size: 32
    .workgroup_processor_mode: 1
  - .args:
      - .offset:         0
        .size:           184
        .value_kind:     by_value
    .group_segment_fixed_size: 0
    .kernarg_segment_align: 8
    .kernarg_segment_size: 184
    .language:       OpenCL C
    .language_version:
      - 2
      - 0
    .max_flat_workgroup_size: 256
    .name:           _ZN7rocprim17ROCPRIM_400000_NS6detail17trampoline_kernelINS0_13select_configILj256ELj13ELNS0_17block_load_methodE3ELS4_3ELS4_3ELNS0_20block_scan_algorithmE0ELj4294967295EEENS1_25partition_config_selectorILNS1_17partition_subalgoE4EjNS0_10empty_typeEbEEZZNS1_14partition_implILS8_4ELb0ES6_15HIP_vector_typeIjLj2EENS0_17counting_iteratorIjlEEPS9_SG_NS0_5tupleIJPjSI_NS0_16reverse_iteratorISI_EEEEENSH_IJSG_SG_SG_EEES9_SI_JZNS1_25segmented_radix_sort_implINS0_14default_configELb1EPKhPhPKlPlN2at6native12_GLOBAL__N_18offset_tEEE10hipError_tPvRmT1_PNSt15iterator_traitsIS12_E10value_typeET2_T3_PNS13_IS18_E10value_typeET4_jRbjT5_S1E_jjP12ihipStream_tbEUljE_ZNSN_ISO_Lb1ESQ_SR_ST_SU_SY_EESZ_S10_S11_S12_S16_S17_S18_S1B_S1C_jS1D_jS1E_S1E_jjS1G_bEUljE0_EEESZ_S10_S11_S18_S1C_S1E_T6_T7_T9_mT8_S1G_bDpT10_ENKUlT_T0_E_clISt17integral_constantIbLb0EES1T_IbLb1EEEEDaS1P_S1Q_EUlS1P_E_NS1_11comp_targetILNS1_3genE0ELNS1_11target_archE4294967295ELNS1_3gpuE0ELNS1_3repE0EEENS1_30default_config_static_selectorELNS0_4arch9wavefront6targetE0EEEvS12_
    .private_segment_fixed_size: 0
    .sgpr_count:     0
    .sgpr_spill_count: 0
    .symbol:         _ZN7rocprim17ROCPRIM_400000_NS6detail17trampoline_kernelINS0_13select_configILj256ELj13ELNS0_17block_load_methodE3ELS4_3ELS4_3ELNS0_20block_scan_algorithmE0ELj4294967295EEENS1_25partition_config_selectorILNS1_17partition_subalgoE4EjNS0_10empty_typeEbEEZZNS1_14partition_implILS8_4ELb0ES6_15HIP_vector_typeIjLj2EENS0_17counting_iteratorIjlEEPS9_SG_NS0_5tupleIJPjSI_NS0_16reverse_iteratorISI_EEEEENSH_IJSG_SG_SG_EEES9_SI_JZNS1_25segmented_radix_sort_implINS0_14default_configELb1EPKhPhPKlPlN2at6native12_GLOBAL__N_18offset_tEEE10hipError_tPvRmT1_PNSt15iterator_traitsIS12_E10value_typeET2_T3_PNS13_IS18_E10value_typeET4_jRbjT5_S1E_jjP12ihipStream_tbEUljE_ZNSN_ISO_Lb1ESQ_SR_ST_SU_SY_EESZ_S10_S11_S12_S16_S17_S18_S1B_S1C_jS1D_jS1E_S1E_jjS1G_bEUljE0_EEESZ_S10_S11_S18_S1C_S1E_T6_T7_T9_mT8_S1G_bDpT10_ENKUlT_T0_E_clISt17integral_constantIbLb0EES1T_IbLb1EEEEDaS1P_S1Q_EUlS1P_E_NS1_11comp_targetILNS1_3genE0ELNS1_11target_archE4294967295ELNS1_3gpuE0ELNS1_3repE0EEENS1_30default_config_static_selectorELNS0_4arch9wavefront6targetE0EEEvS12_.kd
    .uniform_work_group_size: 1
    .uses_dynamic_stack: false
    .vgpr_count:     0
    .vgpr_spill_count: 0
    .wavefront_size: 32
    .workgroup_processor_mode: 1
  - .args:
      - .offset:         0
        .size:           184
        .value_kind:     by_value
    .group_segment_fixed_size: 0
    .kernarg_segment_align: 8
    .kernarg_segment_size: 184
    .language:       OpenCL C
    .language_version:
      - 2
      - 0
    .max_flat_workgroup_size: 256
    .name:           _ZN7rocprim17ROCPRIM_400000_NS6detail17trampoline_kernelINS0_13select_configILj256ELj13ELNS0_17block_load_methodE3ELS4_3ELS4_3ELNS0_20block_scan_algorithmE0ELj4294967295EEENS1_25partition_config_selectorILNS1_17partition_subalgoE4EjNS0_10empty_typeEbEEZZNS1_14partition_implILS8_4ELb0ES6_15HIP_vector_typeIjLj2EENS0_17counting_iteratorIjlEEPS9_SG_NS0_5tupleIJPjSI_NS0_16reverse_iteratorISI_EEEEENSH_IJSG_SG_SG_EEES9_SI_JZNS1_25segmented_radix_sort_implINS0_14default_configELb1EPKhPhPKlPlN2at6native12_GLOBAL__N_18offset_tEEE10hipError_tPvRmT1_PNSt15iterator_traitsIS12_E10value_typeET2_T3_PNS13_IS18_E10value_typeET4_jRbjT5_S1E_jjP12ihipStream_tbEUljE_ZNSN_ISO_Lb1ESQ_SR_ST_SU_SY_EESZ_S10_S11_S12_S16_S17_S18_S1B_S1C_jS1D_jS1E_S1E_jjS1G_bEUljE0_EEESZ_S10_S11_S18_S1C_S1E_T6_T7_T9_mT8_S1G_bDpT10_ENKUlT_T0_E_clISt17integral_constantIbLb0EES1T_IbLb1EEEEDaS1P_S1Q_EUlS1P_E_NS1_11comp_targetILNS1_3genE5ELNS1_11target_archE942ELNS1_3gpuE9ELNS1_3repE0EEENS1_30default_config_static_selectorELNS0_4arch9wavefront6targetE0EEEvS12_
    .private_segment_fixed_size: 0
    .sgpr_count:     0
    .sgpr_spill_count: 0
    .symbol:         _ZN7rocprim17ROCPRIM_400000_NS6detail17trampoline_kernelINS0_13select_configILj256ELj13ELNS0_17block_load_methodE3ELS4_3ELS4_3ELNS0_20block_scan_algorithmE0ELj4294967295EEENS1_25partition_config_selectorILNS1_17partition_subalgoE4EjNS0_10empty_typeEbEEZZNS1_14partition_implILS8_4ELb0ES6_15HIP_vector_typeIjLj2EENS0_17counting_iteratorIjlEEPS9_SG_NS0_5tupleIJPjSI_NS0_16reverse_iteratorISI_EEEEENSH_IJSG_SG_SG_EEES9_SI_JZNS1_25segmented_radix_sort_implINS0_14default_configELb1EPKhPhPKlPlN2at6native12_GLOBAL__N_18offset_tEEE10hipError_tPvRmT1_PNSt15iterator_traitsIS12_E10value_typeET2_T3_PNS13_IS18_E10value_typeET4_jRbjT5_S1E_jjP12ihipStream_tbEUljE_ZNSN_ISO_Lb1ESQ_SR_ST_SU_SY_EESZ_S10_S11_S12_S16_S17_S18_S1B_S1C_jS1D_jS1E_S1E_jjS1G_bEUljE0_EEESZ_S10_S11_S18_S1C_S1E_T6_T7_T9_mT8_S1G_bDpT10_ENKUlT_T0_E_clISt17integral_constantIbLb0EES1T_IbLb1EEEEDaS1P_S1Q_EUlS1P_E_NS1_11comp_targetILNS1_3genE5ELNS1_11target_archE942ELNS1_3gpuE9ELNS1_3repE0EEENS1_30default_config_static_selectorELNS0_4arch9wavefront6targetE0EEEvS12_.kd
    .uniform_work_group_size: 1
    .uses_dynamic_stack: false
    .vgpr_count:     0
    .vgpr_spill_count: 0
    .wavefront_size: 32
    .workgroup_processor_mode: 1
  - .args:
      - .offset:         0
        .size:           184
        .value_kind:     by_value
    .group_segment_fixed_size: 0
    .kernarg_segment_align: 8
    .kernarg_segment_size: 184
    .language:       OpenCL C
    .language_version:
      - 2
      - 0
    .max_flat_workgroup_size: 256
    .name:           _ZN7rocprim17ROCPRIM_400000_NS6detail17trampoline_kernelINS0_13select_configILj256ELj13ELNS0_17block_load_methodE3ELS4_3ELS4_3ELNS0_20block_scan_algorithmE0ELj4294967295EEENS1_25partition_config_selectorILNS1_17partition_subalgoE4EjNS0_10empty_typeEbEEZZNS1_14partition_implILS8_4ELb0ES6_15HIP_vector_typeIjLj2EENS0_17counting_iteratorIjlEEPS9_SG_NS0_5tupleIJPjSI_NS0_16reverse_iteratorISI_EEEEENSH_IJSG_SG_SG_EEES9_SI_JZNS1_25segmented_radix_sort_implINS0_14default_configELb1EPKhPhPKlPlN2at6native12_GLOBAL__N_18offset_tEEE10hipError_tPvRmT1_PNSt15iterator_traitsIS12_E10value_typeET2_T3_PNS13_IS18_E10value_typeET4_jRbjT5_S1E_jjP12ihipStream_tbEUljE_ZNSN_ISO_Lb1ESQ_SR_ST_SU_SY_EESZ_S10_S11_S12_S16_S17_S18_S1B_S1C_jS1D_jS1E_S1E_jjS1G_bEUljE0_EEESZ_S10_S11_S18_S1C_S1E_T6_T7_T9_mT8_S1G_bDpT10_ENKUlT_T0_E_clISt17integral_constantIbLb0EES1T_IbLb1EEEEDaS1P_S1Q_EUlS1P_E_NS1_11comp_targetILNS1_3genE4ELNS1_11target_archE910ELNS1_3gpuE8ELNS1_3repE0EEENS1_30default_config_static_selectorELNS0_4arch9wavefront6targetE0EEEvS12_
    .private_segment_fixed_size: 0
    .sgpr_count:     0
    .sgpr_spill_count: 0
    .symbol:         _ZN7rocprim17ROCPRIM_400000_NS6detail17trampoline_kernelINS0_13select_configILj256ELj13ELNS0_17block_load_methodE3ELS4_3ELS4_3ELNS0_20block_scan_algorithmE0ELj4294967295EEENS1_25partition_config_selectorILNS1_17partition_subalgoE4EjNS0_10empty_typeEbEEZZNS1_14partition_implILS8_4ELb0ES6_15HIP_vector_typeIjLj2EENS0_17counting_iteratorIjlEEPS9_SG_NS0_5tupleIJPjSI_NS0_16reverse_iteratorISI_EEEEENSH_IJSG_SG_SG_EEES9_SI_JZNS1_25segmented_radix_sort_implINS0_14default_configELb1EPKhPhPKlPlN2at6native12_GLOBAL__N_18offset_tEEE10hipError_tPvRmT1_PNSt15iterator_traitsIS12_E10value_typeET2_T3_PNS13_IS18_E10value_typeET4_jRbjT5_S1E_jjP12ihipStream_tbEUljE_ZNSN_ISO_Lb1ESQ_SR_ST_SU_SY_EESZ_S10_S11_S12_S16_S17_S18_S1B_S1C_jS1D_jS1E_S1E_jjS1G_bEUljE0_EEESZ_S10_S11_S18_S1C_S1E_T6_T7_T9_mT8_S1G_bDpT10_ENKUlT_T0_E_clISt17integral_constantIbLb0EES1T_IbLb1EEEEDaS1P_S1Q_EUlS1P_E_NS1_11comp_targetILNS1_3genE4ELNS1_11target_archE910ELNS1_3gpuE8ELNS1_3repE0EEENS1_30default_config_static_selectorELNS0_4arch9wavefront6targetE0EEEvS12_.kd
    .uniform_work_group_size: 1
    .uses_dynamic_stack: false
    .vgpr_count:     0
    .vgpr_spill_count: 0
    .wavefront_size: 32
    .workgroup_processor_mode: 1
  - .args:
      - .offset:         0
        .size:           184
        .value_kind:     by_value
    .group_segment_fixed_size: 0
    .kernarg_segment_align: 8
    .kernarg_segment_size: 184
    .language:       OpenCL C
    .language_version:
      - 2
      - 0
    .max_flat_workgroup_size: 256
    .name:           _ZN7rocprim17ROCPRIM_400000_NS6detail17trampoline_kernelINS0_13select_configILj256ELj13ELNS0_17block_load_methodE3ELS4_3ELS4_3ELNS0_20block_scan_algorithmE0ELj4294967295EEENS1_25partition_config_selectorILNS1_17partition_subalgoE4EjNS0_10empty_typeEbEEZZNS1_14partition_implILS8_4ELb0ES6_15HIP_vector_typeIjLj2EENS0_17counting_iteratorIjlEEPS9_SG_NS0_5tupleIJPjSI_NS0_16reverse_iteratorISI_EEEEENSH_IJSG_SG_SG_EEES9_SI_JZNS1_25segmented_radix_sort_implINS0_14default_configELb1EPKhPhPKlPlN2at6native12_GLOBAL__N_18offset_tEEE10hipError_tPvRmT1_PNSt15iterator_traitsIS12_E10value_typeET2_T3_PNS13_IS18_E10value_typeET4_jRbjT5_S1E_jjP12ihipStream_tbEUljE_ZNSN_ISO_Lb1ESQ_SR_ST_SU_SY_EESZ_S10_S11_S12_S16_S17_S18_S1B_S1C_jS1D_jS1E_S1E_jjS1G_bEUljE0_EEESZ_S10_S11_S18_S1C_S1E_T6_T7_T9_mT8_S1G_bDpT10_ENKUlT_T0_E_clISt17integral_constantIbLb0EES1T_IbLb1EEEEDaS1P_S1Q_EUlS1P_E_NS1_11comp_targetILNS1_3genE3ELNS1_11target_archE908ELNS1_3gpuE7ELNS1_3repE0EEENS1_30default_config_static_selectorELNS0_4arch9wavefront6targetE0EEEvS12_
    .private_segment_fixed_size: 0
    .sgpr_count:     0
    .sgpr_spill_count: 0
    .symbol:         _ZN7rocprim17ROCPRIM_400000_NS6detail17trampoline_kernelINS0_13select_configILj256ELj13ELNS0_17block_load_methodE3ELS4_3ELS4_3ELNS0_20block_scan_algorithmE0ELj4294967295EEENS1_25partition_config_selectorILNS1_17partition_subalgoE4EjNS0_10empty_typeEbEEZZNS1_14partition_implILS8_4ELb0ES6_15HIP_vector_typeIjLj2EENS0_17counting_iteratorIjlEEPS9_SG_NS0_5tupleIJPjSI_NS0_16reverse_iteratorISI_EEEEENSH_IJSG_SG_SG_EEES9_SI_JZNS1_25segmented_radix_sort_implINS0_14default_configELb1EPKhPhPKlPlN2at6native12_GLOBAL__N_18offset_tEEE10hipError_tPvRmT1_PNSt15iterator_traitsIS12_E10value_typeET2_T3_PNS13_IS18_E10value_typeET4_jRbjT5_S1E_jjP12ihipStream_tbEUljE_ZNSN_ISO_Lb1ESQ_SR_ST_SU_SY_EESZ_S10_S11_S12_S16_S17_S18_S1B_S1C_jS1D_jS1E_S1E_jjS1G_bEUljE0_EEESZ_S10_S11_S18_S1C_S1E_T6_T7_T9_mT8_S1G_bDpT10_ENKUlT_T0_E_clISt17integral_constantIbLb0EES1T_IbLb1EEEEDaS1P_S1Q_EUlS1P_E_NS1_11comp_targetILNS1_3genE3ELNS1_11target_archE908ELNS1_3gpuE7ELNS1_3repE0EEENS1_30default_config_static_selectorELNS0_4arch9wavefront6targetE0EEEvS12_.kd
    .uniform_work_group_size: 1
    .uses_dynamic_stack: false
    .vgpr_count:     0
    .vgpr_spill_count: 0
    .wavefront_size: 32
    .workgroup_processor_mode: 1
  - .args:
      - .offset:         0
        .size:           184
        .value_kind:     by_value
    .group_segment_fixed_size: 0
    .kernarg_segment_align: 8
    .kernarg_segment_size: 184
    .language:       OpenCL C
    .language_version:
      - 2
      - 0
    .max_flat_workgroup_size: 256
    .name:           _ZN7rocprim17ROCPRIM_400000_NS6detail17trampoline_kernelINS0_13select_configILj256ELj13ELNS0_17block_load_methodE3ELS4_3ELS4_3ELNS0_20block_scan_algorithmE0ELj4294967295EEENS1_25partition_config_selectorILNS1_17partition_subalgoE4EjNS0_10empty_typeEbEEZZNS1_14partition_implILS8_4ELb0ES6_15HIP_vector_typeIjLj2EENS0_17counting_iteratorIjlEEPS9_SG_NS0_5tupleIJPjSI_NS0_16reverse_iteratorISI_EEEEENSH_IJSG_SG_SG_EEES9_SI_JZNS1_25segmented_radix_sort_implINS0_14default_configELb1EPKhPhPKlPlN2at6native12_GLOBAL__N_18offset_tEEE10hipError_tPvRmT1_PNSt15iterator_traitsIS12_E10value_typeET2_T3_PNS13_IS18_E10value_typeET4_jRbjT5_S1E_jjP12ihipStream_tbEUljE_ZNSN_ISO_Lb1ESQ_SR_ST_SU_SY_EESZ_S10_S11_S12_S16_S17_S18_S1B_S1C_jS1D_jS1E_S1E_jjS1G_bEUljE0_EEESZ_S10_S11_S18_S1C_S1E_T6_T7_T9_mT8_S1G_bDpT10_ENKUlT_T0_E_clISt17integral_constantIbLb0EES1T_IbLb1EEEEDaS1P_S1Q_EUlS1P_E_NS1_11comp_targetILNS1_3genE2ELNS1_11target_archE906ELNS1_3gpuE6ELNS1_3repE0EEENS1_30default_config_static_selectorELNS0_4arch9wavefront6targetE0EEEvS12_
    .private_segment_fixed_size: 0
    .sgpr_count:     0
    .sgpr_spill_count: 0
    .symbol:         _ZN7rocprim17ROCPRIM_400000_NS6detail17trampoline_kernelINS0_13select_configILj256ELj13ELNS0_17block_load_methodE3ELS4_3ELS4_3ELNS0_20block_scan_algorithmE0ELj4294967295EEENS1_25partition_config_selectorILNS1_17partition_subalgoE4EjNS0_10empty_typeEbEEZZNS1_14partition_implILS8_4ELb0ES6_15HIP_vector_typeIjLj2EENS0_17counting_iteratorIjlEEPS9_SG_NS0_5tupleIJPjSI_NS0_16reverse_iteratorISI_EEEEENSH_IJSG_SG_SG_EEES9_SI_JZNS1_25segmented_radix_sort_implINS0_14default_configELb1EPKhPhPKlPlN2at6native12_GLOBAL__N_18offset_tEEE10hipError_tPvRmT1_PNSt15iterator_traitsIS12_E10value_typeET2_T3_PNS13_IS18_E10value_typeET4_jRbjT5_S1E_jjP12ihipStream_tbEUljE_ZNSN_ISO_Lb1ESQ_SR_ST_SU_SY_EESZ_S10_S11_S12_S16_S17_S18_S1B_S1C_jS1D_jS1E_S1E_jjS1G_bEUljE0_EEESZ_S10_S11_S18_S1C_S1E_T6_T7_T9_mT8_S1G_bDpT10_ENKUlT_T0_E_clISt17integral_constantIbLb0EES1T_IbLb1EEEEDaS1P_S1Q_EUlS1P_E_NS1_11comp_targetILNS1_3genE2ELNS1_11target_archE906ELNS1_3gpuE6ELNS1_3repE0EEENS1_30default_config_static_selectorELNS0_4arch9wavefront6targetE0EEEvS12_.kd
    .uniform_work_group_size: 1
    .uses_dynamic_stack: false
    .vgpr_count:     0
    .vgpr_spill_count: 0
    .wavefront_size: 32
    .workgroup_processor_mode: 1
  - .args:
      - .offset:         0
        .size:           184
        .value_kind:     by_value
    .group_segment_fixed_size: 0
    .kernarg_segment_align: 8
    .kernarg_segment_size: 184
    .language:       OpenCL C
    .language_version:
      - 2
      - 0
    .max_flat_workgroup_size: 256
    .name:           _ZN7rocprim17ROCPRIM_400000_NS6detail17trampoline_kernelINS0_13select_configILj256ELj13ELNS0_17block_load_methodE3ELS4_3ELS4_3ELNS0_20block_scan_algorithmE0ELj4294967295EEENS1_25partition_config_selectorILNS1_17partition_subalgoE4EjNS0_10empty_typeEbEEZZNS1_14partition_implILS8_4ELb0ES6_15HIP_vector_typeIjLj2EENS0_17counting_iteratorIjlEEPS9_SG_NS0_5tupleIJPjSI_NS0_16reverse_iteratorISI_EEEEENSH_IJSG_SG_SG_EEES9_SI_JZNS1_25segmented_radix_sort_implINS0_14default_configELb1EPKhPhPKlPlN2at6native12_GLOBAL__N_18offset_tEEE10hipError_tPvRmT1_PNSt15iterator_traitsIS12_E10value_typeET2_T3_PNS13_IS18_E10value_typeET4_jRbjT5_S1E_jjP12ihipStream_tbEUljE_ZNSN_ISO_Lb1ESQ_SR_ST_SU_SY_EESZ_S10_S11_S12_S16_S17_S18_S1B_S1C_jS1D_jS1E_S1E_jjS1G_bEUljE0_EEESZ_S10_S11_S18_S1C_S1E_T6_T7_T9_mT8_S1G_bDpT10_ENKUlT_T0_E_clISt17integral_constantIbLb0EES1T_IbLb1EEEEDaS1P_S1Q_EUlS1P_E_NS1_11comp_targetILNS1_3genE10ELNS1_11target_archE1200ELNS1_3gpuE4ELNS1_3repE0EEENS1_30default_config_static_selectorELNS0_4arch9wavefront6targetE0EEEvS12_
    .private_segment_fixed_size: 0
    .sgpr_count:     0
    .sgpr_spill_count: 0
    .symbol:         _ZN7rocprim17ROCPRIM_400000_NS6detail17trampoline_kernelINS0_13select_configILj256ELj13ELNS0_17block_load_methodE3ELS4_3ELS4_3ELNS0_20block_scan_algorithmE0ELj4294967295EEENS1_25partition_config_selectorILNS1_17partition_subalgoE4EjNS0_10empty_typeEbEEZZNS1_14partition_implILS8_4ELb0ES6_15HIP_vector_typeIjLj2EENS0_17counting_iteratorIjlEEPS9_SG_NS0_5tupleIJPjSI_NS0_16reverse_iteratorISI_EEEEENSH_IJSG_SG_SG_EEES9_SI_JZNS1_25segmented_radix_sort_implINS0_14default_configELb1EPKhPhPKlPlN2at6native12_GLOBAL__N_18offset_tEEE10hipError_tPvRmT1_PNSt15iterator_traitsIS12_E10value_typeET2_T3_PNS13_IS18_E10value_typeET4_jRbjT5_S1E_jjP12ihipStream_tbEUljE_ZNSN_ISO_Lb1ESQ_SR_ST_SU_SY_EESZ_S10_S11_S12_S16_S17_S18_S1B_S1C_jS1D_jS1E_S1E_jjS1G_bEUljE0_EEESZ_S10_S11_S18_S1C_S1E_T6_T7_T9_mT8_S1G_bDpT10_ENKUlT_T0_E_clISt17integral_constantIbLb0EES1T_IbLb1EEEEDaS1P_S1Q_EUlS1P_E_NS1_11comp_targetILNS1_3genE10ELNS1_11target_archE1200ELNS1_3gpuE4ELNS1_3repE0EEENS1_30default_config_static_selectorELNS0_4arch9wavefront6targetE0EEEvS12_.kd
    .uniform_work_group_size: 1
    .uses_dynamic_stack: false
    .vgpr_count:     0
    .vgpr_spill_count: 0
    .wavefront_size: 32
    .workgroup_processor_mode: 1
  - .args:
      - .offset:         0
        .size:           184
        .value_kind:     by_value
    .group_segment_fixed_size: 13340
    .kernarg_segment_align: 8
    .kernarg_segment_size: 184
    .language:       OpenCL C
    .language_version:
      - 2
      - 0
    .max_flat_workgroup_size: 256
    .name:           _ZN7rocprim17ROCPRIM_400000_NS6detail17trampoline_kernelINS0_13select_configILj256ELj13ELNS0_17block_load_methodE3ELS4_3ELS4_3ELNS0_20block_scan_algorithmE0ELj4294967295EEENS1_25partition_config_selectorILNS1_17partition_subalgoE4EjNS0_10empty_typeEbEEZZNS1_14partition_implILS8_4ELb0ES6_15HIP_vector_typeIjLj2EENS0_17counting_iteratorIjlEEPS9_SG_NS0_5tupleIJPjSI_NS0_16reverse_iteratorISI_EEEEENSH_IJSG_SG_SG_EEES9_SI_JZNS1_25segmented_radix_sort_implINS0_14default_configELb1EPKhPhPKlPlN2at6native12_GLOBAL__N_18offset_tEEE10hipError_tPvRmT1_PNSt15iterator_traitsIS12_E10value_typeET2_T3_PNS13_IS18_E10value_typeET4_jRbjT5_S1E_jjP12ihipStream_tbEUljE_ZNSN_ISO_Lb1ESQ_SR_ST_SU_SY_EESZ_S10_S11_S12_S16_S17_S18_S1B_S1C_jS1D_jS1E_S1E_jjS1G_bEUljE0_EEESZ_S10_S11_S18_S1C_S1E_T6_T7_T9_mT8_S1G_bDpT10_ENKUlT_T0_E_clISt17integral_constantIbLb0EES1T_IbLb1EEEEDaS1P_S1Q_EUlS1P_E_NS1_11comp_targetILNS1_3genE9ELNS1_11target_archE1100ELNS1_3gpuE3ELNS1_3repE0EEENS1_30default_config_static_selectorELNS0_4arch9wavefront6targetE0EEEvS12_
    .private_segment_fixed_size: 0
    .sgpr_count:     57
    .sgpr_spill_count: 0
    .symbol:         _ZN7rocprim17ROCPRIM_400000_NS6detail17trampoline_kernelINS0_13select_configILj256ELj13ELNS0_17block_load_methodE3ELS4_3ELS4_3ELNS0_20block_scan_algorithmE0ELj4294967295EEENS1_25partition_config_selectorILNS1_17partition_subalgoE4EjNS0_10empty_typeEbEEZZNS1_14partition_implILS8_4ELb0ES6_15HIP_vector_typeIjLj2EENS0_17counting_iteratorIjlEEPS9_SG_NS0_5tupleIJPjSI_NS0_16reverse_iteratorISI_EEEEENSH_IJSG_SG_SG_EEES9_SI_JZNS1_25segmented_radix_sort_implINS0_14default_configELb1EPKhPhPKlPlN2at6native12_GLOBAL__N_18offset_tEEE10hipError_tPvRmT1_PNSt15iterator_traitsIS12_E10value_typeET2_T3_PNS13_IS18_E10value_typeET4_jRbjT5_S1E_jjP12ihipStream_tbEUljE_ZNSN_ISO_Lb1ESQ_SR_ST_SU_SY_EESZ_S10_S11_S12_S16_S17_S18_S1B_S1C_jS1D_jS1E_S1E_jjS1G_bEUljE0_EEESZ_S10_S11_S18_S1C_S1E_T6_T7_T9_mT8_S1G_bDpT10_ENKUlT_T0_E_clISt17integral_constantIbLb0EES1T_IbLb1EEEEDaS1P_S1Q_EUlS1P_E_NS1_11comp_targetILNS1_3genE9ELNS1_11target_archE1100ELNS1_3gpuE3ELNS1_3repE0EEENS1_30default_config_static_selectorELNS0_4arch9wavefront6targetE0EEEvS12_.kd
    .uniform_work_group_size: 1
    .uses_dynamic_stack: false
    .vgpr_count:     103
    .vgpr_spill_count: 0
    .wavefront_size: 32
    .workgroup_processor_mode: 1
  - .args:
      - .offset:         0
        .size:           184
        .value_kind:     by_value
    .group_segment_fixed_size: 0
    .kernarg_segment_align: 8
    .kernarg_segment_size: 184
    .language:       OpenCL C
    .language_version:
      - 2
      - 0
    .max_flat_workgroup_size: 256
    .name:           _ZN7rocprim17ROCPRIM_400000_NS6detail17trampoline_kernelINS0_13select_configILj256ELj13ELNS0_17block_load_methodE3ELS4_3ELS4_3ELNS0_20block_scan_algorithmE0ELj4294967295EEENS1_25partition_config_selectorILNS1_17partition_subalgoE4EjNS0_10empty_typeEbEEZZNS1_14partition_implILS8_4ELb0ES6_15HIP_vector_typeIjLj2EENS0_17counting_iteratorIjlEEPS9_SG_NS0_5tupleIJPjSI_NS0_16reverse_iteratorISI_EEEEENSH_IJSG_SG_SG_EEES9_SI_JZNS1_25segmented_radix_sort_implINS0_14default_configELb1EPKhPhPKlPlN2at6native12_GLOBAL__N_18offset_tEEE10hipError_tPvRmT1_PNSt15iterator_traitsIS12_E10value_typeET2_T3_PNS13_IS18_E10value_typeET4_jRbjT5_S1E_jjP12ihipStream_tbEUljE_ZNSN_ISO_Lb1ESQ_SR_ST_SU_SY_EESZ_S10_S11_S12_S16_S17_S18_S1B_S1C_jS1D_jS1E_S1E_jjS1G_bEUljE0_EEESZ_S10_S11_S18_S1C_S1E_T6_T7_T9_mT8_S1G_bDpT10_ENKUlT_T0_E_clISt17integral_constantIbLb0EES1T_IbLb1EEEEDaS1P_S1Q_EUlS1P_E_NS1_11comp_targetILNS1_3genE8ELNS1_11target_archE1030ELNS1_3gpuE2ELNS1_3repE0EEENS1_30default_config_static_selectorELNS0_4arch9wavefront6targetE0EEEvS12_
    .private_segment_fixed_size: 0
    .sgpr_count:     0
    .sgpr_spill_count: 0
    .symbol:         _ZN7rocprim17ROCPRIM_400000_NS6detail17trampoline_kernelINS0_13select_configILj256ELj13ELNS0_17block_load_methodE3ELS4_3ELS4_3ELNS0_20block_scan_algorithmE0ELj4294967295EEENS1_25partition_config_selectorILNS1_17partition_subalgoE4EjNS0_10empty_typeEbEEZZNS1_14partition_implILS8_4ELb0ES6_15HIP_vector_typeIjLj2EENS0_17counting_iteratorIjlEEPS9_SG_NS0_5tupleIJPjSI_NS0_16reverse_iteratorISI_EEEEENSH_IJSG_SG_SG_EEES9_SI_JZNS1_25segmented_radix_sort_implINS0_14default_configELb1EPKhPhPKlPlN2at6native12_GLOBAL__N_18offset_tEEE10hipError_tPvRmT1_PNSt15iterator_traitsIS12_E10value_typeET2_T3_PNS13_IS18_E10value_typeET4_jRbjT5_S1E_jjP12ihipStream_tbEUljE_ZNSN_ISO_Lb1ESQ_SR_ST_SU_SY_EESZ_S10_S11_S12_S16_S17_S18_S1B_S1C_jS1D_jS1E_S1E_jjS1G_bEUljE0_EEESZ_S10_S11_S18_S1C_S1E_T6_T7_T9_mT8_S1G_bDpT10_ENKUlT_T0_E_clISt17integral_constantIbLb0EES1T_IbLb1EEEEDaS1P_S1Q_EUlS1P_E_NS1_11comp_targetILNS1_3genE8ELNS1_11target_archE1030ELNS1_3gpuE2ELNS1_3repE0EEENS1_30default_config_static_selectorELNS0_4arch9wavefront6targetE0EEEvS12_.kd
    .uniform_work_group_size: 1
    .uses_dynamic_stack: false
    .vgpr_count:     0
    .vgpr_spill_count: 0
    .wavefront_size: 32
    .workgroup_processor_mode: 1
  - .args:
      - .address_space:  global
        .offset:         0
        .size:           8
        .value_kind:     global_buffer
      - .offset:         8
        .size:           4
        .value_kind:     by_value
      - .offset:         12
        .size:           1
        .value_kind:     by_value
      - .offset:         16
        .size:           4
        .value_kind:     by_value
      - .address_space:  global
        .offset:         24
        .size:           8
        .value_kind:     global_buffer
      - .offset:         32
        .size:           4
        .value_kind:     hidden_block_count_x
      - .offset:         36
        .size:           4
        .value_kind:     hidden_block_count_y
      - .offset:         40
        .size:           4
        .value_kind:     hidden_block_count_z
      - .offset:         44
        .size:           2
        .value_kind:     hidden_group_size_x
      - .offset:         46
        .size:           2
        .value_kind:     hidden_group_size_y
      - .offset:         48
        .size:           2
        .value_kind:     hidden_group_size_z
      - .offset:         50
        .size:           2
        .value_kind:     hidden_remainder_x
      - .offset:         52
        .size:           2
        .value_kind:     hidden_remainder_y
      - .offset:         54
        .size:           2
        .value_kind:     hidden_remainder_z
      - .offset:         72
        .size:           8
        .value_kind:     hidden_global_offset_x
      - .offset:         80
        .size:           8
        .value_kind:     hidden_global_offset_y
      - .offset:         88
        .size:           8
        .value_kind:     hidden_global_offset_z
      - .offset:         96
        .size:           2
        .value_kind:     hidden_grid_dims
    .group_segment_fixed_size: 0
    .kernarg_segment_align: 8
    .kernarg_segment_size: 288
    .language:       OpenCL C
    .language_version:
      - 2
      - 0
    .max_flat_workgroup_size: 256
    .name:           _ZN7rocprim17ROCPRIM_400000_NS6detail31init_lookback_scan_state_kernelINS1_19lookback_scan_stateIjLb0ELb1EEENS1_16block_id_wrapperIjLb0EEEEEvT_jT0_jPNS7_10value_typeE
    .private_segment_fixed_size: 0
    .sgpr_count:     18
    .sgpr_spill_count: 0
    .symbol:         _ZN7rocprim17ROCPRIM_400000_NS6detail31init_lookback_scan_state_kernelINS1_19lookback_scan_stateIjLb0ELb1EEENS1_16block_id_wrapperIjLb0EEEEEvT_jT0_jPNS7_10value_typeE.kd
    .uniform_work_group_size: 1
    .uses_dynamic_stack: false
    .vgpr_count:     6
    .vgpr_spill_count: 0
    .wavefront_size: 32
    .workgroup_processor_mode: 1
  - .args:
      - .offset:         0
        .size:           144
        .value_kind:     by_value
    .group_segment_fixed_size: 0
    .kernarg_segment_align: 8
    .kernarg_segment_size: 144
    .language:       OpenCL C
    .language_version:
      - 2
      - 0
    .max_flat_workgroup_size: 256
    .name:           _ZN7rocprim17ROCPRIM_400000_NS6detail17trampoline_kernelINS0_13select_configILj256ELj13ELNS0_17block_load_methodE3ELS4_3ELS4_3ELNS0_20block_scan_algorithmE0ELj4294967295EEENS1_25partition_config_selectorILNS1_17partition_subalgoE3EjNS0_10empty_typeEbEEZZNS1_14partition_implILS8_3ELb0ES6_jNS0_17counting_iteratorIjlEEPS9_SE_NS0_5tupleIJPjSE_EEENSF_IJSE_SE_EEES9_SG_JZNS1_25segmented_radix_sort_implINS0_14default_configELb1EPKhPhPKlPlN2at6native12_GLOBAL__N_18offset_tEEE10hipError_tPvRmT1_PNSt15iterator_traitsISY_E10value_typeET2_T3_PNSZ_IS14_E10value_typeET4_jRbjT5_S1A_jjP12ihipStream_tbEUljE_EEESV_SW_SX_S14_S18_S1A_T6_T7_T9_mT8_S1C_bDpT10_ENKUlT_T0_E_clISt17integral_constantIbLb0EES1P_EEDaS1K_S1L_EUlS1K_E_NS1_11comp_targetILNS1_3genE0ELNS1_11target_archE4294967295ELNS1_3gpuE0ELNS1_3repE0EEENS1_30default_config_static_selectorELNS0_4arch9wavefront6targetE0EEEvSY_
    .private_segment_fixed_size: 0
    .sgpr_count:     0
    .sgpr_spill_count: 0
    .symbol:         _ZN7rocprim17ROCPRIM_400000_NS6detail17trampoline_kernelINS0_13select_configILj256ELj13ELNS0_17block_load_methodE3ELS4_3ELS4_3ELNS0_20block_scan_algorithmE0ELj4294967295EEENS1_25partition_config_selectorILNS1_17partition_subalgoE3EjNS0_10empty_typeEbEEZZNS1_14partition_implILS8_3ELb0ES6_jNS0_17counting_iteratorIjlEEPS9_SE_NS0_5tupleIJPjSE_EEENSF_IJSE_SE_EEES9_SG_JZNS1_25segmented_radix_sort_implINS0_14default_configELb1EPKhPhPKlPlN2at6native12_GLOBAL__N_18offset_tEEE10hipError_tPvRmT1_PNSt15iterator_traitsISY_E10value_typeET2_T3_PNSZ_IS14_E10value_typeET4_jRbjT5_S1A_jjP12ihipStream_tbEUljE_EEESV_SW_SX_S14_S18_S1A_T6_T7_T9_mT8_S1C_bDpT10_ENKUlT_T0_E_clISt17integral_constantIbLb0EES1P_EEDaS1K_S1L_EUlS1K_E_NS1_11comp_targetILNS1_3genE0ELNS1_11target_archE4294967295ELNS1_3gpuE0ELNS1_3repE0EEENS1_30default_config_static_selectorELNS0_4arch9wavefront6targetE0EEEvSY_.kd
    .uniform_work_group_size: 1
    .uses_dynamic_stack: false
    .vgpr_count:     0
    .vgpr_spill_count: 0
    .wavefront_size: 32
    .workgroup_processor_mode: 1
  - .args:
      - .offset:         0
        .size:           144
        .value_kind:     by_value
    .group_segment_fixed_size: 0
    .kernarg_segment_align: 8
    .kernarg_segment_size: 144
    .language:       OpenCL C
    .language_version:
      - 2
      - 0
    .max_flat_workgroup_size: 256
    .name:           _ZN7rocprim17ROCPRIM_400000_NS6detail17trampoline_kernelINS0_13select_configILj256ELj13ELNS0_17block_load_methodE3ELS4_3ELS4_3ELNS0_20block_scan_algorithmE0ELj4294967295EEENS1_25partition_config_selectorILNS1_17partition_subalgoE3EjNS0_10empty_typeEbEEZZNS1_14partition_implILS8_3ELb0ES6_jNS0_17counting_iteratorIjlEEPS9_SE_NS0_5tupleIJPjSE_EEENSF_IJSE_SE_EEES9_SG_JZNS1_25segmented_radix_sort_implINS0_14default_configELb1EPKhPhPKlPlN2at6native12_GLOBAL__N_18offset_tEEE10hipError_tPvRmT1_PNSt15iterator_traitsISY_E10value_typeET2_T3_PNSZ_IS14_E10value_typeET4_jRbjT5_S1A_jjP12ihipStream_tbEUljE_EEESV_SW_SX_S14_S18_S1A_T6_T7_T9_mT8_S1C_bDpT10_ENKUlT_T0_E_clISt17integral_constantIbLb0EES1P_EEDaS1K_S1L_EUlS1K_E_NS1_11comp_targetILNS1_3genE5ELNS1_11target_archE942ELNS1_3gpuE9ELNS1_3repE0EEENS1_30default_config_static_selectorELNS0_4arch9wavefront6targetE0EEEvSY_
    .private_segment_fixed_size: 0
    .sgpr_count:     0
    .sgpr_spill_count: 0
    .symbol:         _ZN7rocprim17ROCPRIM_400000_NS6detail17trampoline_kernelINS0_13select_configILj256ELj13ELNS0_17block_load_methodE3ELS4_3ELS4_3ELNS0_20block_scan_algorithmE0ELj4294967295EEENS1_25partition_config_selectorILNS1_17partition_subalgoE3EjNS0_10empty_typeEbEEZZNS1_14partition_implILS8_3ELb0ES6_jNS0_17counting_iteratorIjlEEPS9_SE_NS0_5tupleIJPjSE_EEENSF_IJSE_SE_EEES9_SG_JZNS1_25segmented_radix_sort_implINS0_14default_configELb1EPKhPhPKlPlN2at6native12_GLOBAL__N_18offset_tEEE10hipError_tPvRmT1_PNSt15iterator_traitsISY_E10value_typeET2_T3_PNSZ_IS14_E10value_typeET4_jRbjT5_S1A_jjP12ihipStream_tbEUljE_EEESV_SW_SX_S14_S18_S1A_T6_T7_T9_mT8_S1C_bDpT10_ENKUlT_T0_E_clISt17integral_constantIbLb0EES1P_EEDaS1K_S1L_EUlS1K_E_NS1_11comp_targetILNS1_3genE5ELNS1_11target_archE942ELNS1_3gpuE9ELNS1_3repE0EEENS1_30default_config_static_selectorELNS0_4arch9wavefront6targetE0EEEvSY_.kd
    .uniform_work_group_size: 1
    .uses_dynamic_stack: false
    .vgpr_count:     0
    .vgpr_spill_count: 0
    .wavefront_size: 32
    .workgroup_processor_mode: 1
  - .args:
      - .offset:         0
        .size:           144
        .value_kind:     by_value
    .group_segment_fixed_size: 0
    .kernarg_segment_align: 8
    .kernarg_segment_size: 144
    .language:       OpenCL C
    .language_version:
      - 2
      - 0
    .max_flat_workgroup_size: 256
    .name:           _ZN7rocprim17ROCPRIM_400000_NS6detail17trampoline_kernelINS0_13select_configILj256ELj13ELNS0_17block_load_methodE3ELS4_3ELS4_3ELNS0_20block_scan_algorithmE0ELj4294967295EEENS1_25partition_config_selectorILNS1_17partition_subalgoE3EjNS0_10empty_typeEbEEZZNS1_14partition_implILS8_3ELb0ES6_jNS0_17counting_iteratorIjlEEPS9_SE_NS0_5tupleIJPjSE_EEENSF_IJSE_SE_EEES9_SG_JZNS1_25segmented_radix_sort_implINS0_14default_configELb1EPKhPhPKlPlN2at6native12_GLOBAL__N_18offset_tEEE10hipError_tPvRmT1_PNSt15iterator_traitsISY_E10value_typeET2_T3_PNSZ_IS14_E10value_typeET4_jRbjT5_S1A_jjP12ihipStream_tbEUljE_EEESV_SW_SX_S14_S18_S1A_T6_T7_T9_mT8_S1C_bDpT10_ENKUlT_T0_E_clISt17integral_constantIbLb0EES1P_EEDaS1K_S1L_EUlS1K_E_NS1_11comp_targetILNS1_3genE4ELNS1_11target_archE910ELNS1_3gpuE8ELNS1_3repE0EEENS1_30default_config_static_selectorELNS0_4arch9wavefront6targetE0EEEvSY_
    .private_segment_fixed_size: 0
    .sgpr_count:     0
    .sgpr_spill_count: 0
    .symbol:         _ZN7rocprim17ROCPRIM_400000_NS6detail17trampoline_kernelINS0_13select_configILj256ELj13ELNS0_17block_load_methodE3ELS4_3ELS4_3ELNS0_20block_scan_algorithmE0ELj4294967295EEENS1_25partition_config_selectorILNS1_17partition_subalgoE3EjNS0_10empty_typeEbEEZZNS1_14partition_implILS8_3ELb0ES6_jNS0_17counting_iteratorIjlEEPS9_SE_NS0_5tupleIJPjSE_EEENSF_IJSE_SE_EEES9_SG_JZNS1_25segmented_radix_sort_implINS0_14default_configELb1EPKhPhPKlPlN2at6native12_GLOBAL__N_18offset_tEEE10hipError_tPvRmT1_PNSt15iterator_traitsISY_E10value_typeET2_T3_PNSZ_IS14_E10value_typeET4_jRbjT5_S1A_jjP12ihipStream_tbEUljE_EEESV_SW_SX_S14_S18_S1A_T6_T7_T9_mT8_S1C_bDpT10_ENKUlT_T0_E_clISt17integral_constantIbLb0EES1P_EEDaS1K_S1L_EUlS1K_E_NS1_11comp_targetILNS1_3genE4ELNS1_11target_archE910ELNS1_3gpuE8ELNS1_3repE0EEENS1_30default_config_static_selectorELNS0_4arch9wavefront6targetE0EEEvSY_.kd
    .uniform_work_group_size: 1
    .uses_dynamic_stack: false
    .vgpr_count:     0
    .vgpr_spill_count: 0
    .wavefront_size: 32
    .workgroup_processor_mode: 1
  - .args:
      - .offset:         0
        .size:           144
        .value_kind:     by_value
    .group_segment_fixed_size: 0
    .kernarg_segment_align: 8
    .kernarg_segment_size: 144
    .language:       OpenCL C
    .language_version:
      - 2
      - 0
    .max_flat_workgroup_size: 256
    .name:           _ZN7rocprim17ROCPRIM_400000_NS6detail17trampoline_kernelINS0_13select_configILj256ELj13ELNS0_17block_load_methodE3ELS4_3ELS4_3ELNS0_20block_scan_algorithmE0ELj4294967295EEENS1_25partition_config_selectorILNS1_17partition_subalgoE3EjNS0_10empty_typeEbEEZZNS1_14partition_implILS8_3ELb0ES6_jNS0_17counting_iteratorIjlEEPS9_SE_NS0_5tupleIJPjSE_EEENSF_IJSE_SE_EEES9_SG_JZNS1_25segmented_radix_sort_implINS0_14default_configELb1EPKhPhPKlPlN2at6native12_GLOBAL__N_18offset_tEEE10hipError_tPvRmT1_PNSt15iterator_traitsISY_E10value_typeET2_T3_PNSZ_IS14_E10value_typeET4_jRbjT5_S1A_jjP12ihipStream_tbEUljE_EEESV_SW_SX_S14_S18_S1A_T6_T7_T9_mT8_S1C_bDpT10_ENKUlT_T0_E_clISt17integral_constantIbLb0EES1P_EEDaS1K_S1L_EUlS1K_E_NS1_11comp_targetILNS1_3genE3ELNS1_11target_archE908ELNS1_3gpuE7ELNS1_3repE0EEENS1_30default_config_static_selectorELNS0_4arch9wavefront6targetE0EEEvSY_
    .private_segment_fixed_size: 0
    .sgpr_count:     0
    .sgpr_spill_count: 0
    .symbol:         _ZN7rocprim17ROCPRIM_400000_NS6detail17trampoline_kernelINS0_13select_configILj256ELj13ELNS0_17block_load_methodE3ELS4_3ELS4_3ELNS0_20block_scan_algorithmE0ELj4294967295EEENS1_25partition_config_selectorILNS1_17partition_subalgoE3EjNS0_10empty_typeEbEEZZNS1_14partition_implILS8_3ELb0ES6_jNS0_17counting_iteratorIjlEEPS9_SE_NS0_5tupleIJPjSE_EEENSF_IJSE_SE_EEES9_SG_JZNS1_25segmented_radix_sort_implINS0_14default_configELb1EPKhPhPKlPlN2at6native12_GLOBAL__N_18offset_tEEE10hipError_tPvRmT1_PNSt15iterator_traitsISY_E10value_typeET2_T3_PNSZ_IS14_E10value_typeET4_jRbjT5_S1A_jjP12ihipStream_tbEUljE_EEESV_SW_SX_S14_S18_S1A_T6_T7_T9_mT8_S1C_bDpT10_ENKUlT_T0_E_clISt17integral_constantIbLb0EES1P_EEDaS1K_S1L_EUlS1K_E_NS1_11comp_targetILNS1_3genE3ELNS1_11target_archE908ELNS1_3gpuE7ELNS1_3repE0EEENS1_30default_config_static_selectorELNS0_4arch9wavefront6targetE0EEEvSY_.kd
    .uniform_work_group_size: 1
    .uses_dynamic_stack: false
    .vgpr_count:     0
    .vgpr_spill_count: 0
    .wavefront_size: 32
    .workgroup_processor_mode: 1
  - .args:
      - .offset:         0
        .size:           144
        .value_kind:     by_value
    .group_segment_fixed_size: 0
    .kernarg_segment_align: 8
    .kernarg_segment_size: 144
    .language:       OpenCL C
    .language_version:
      - 2
      - 0
    .max_flat_workgroup_size: 256
    .name:           _ZN7rocprim17ROCPRIM_400000_NS6detail17trampoline_kernelINS0_13select_configILj256ELj13ELNS0_17block_load_methodE3ELS4_3ELS4_3ELNS0_20block_scan_algorithmE0ELj4294967295EEENS1_25partition_config_selectorILNS1_17partition_subalgoE3EjNS0_10empty_typeEbEEZZNS1_14partition_implILS8_3ELb0ES6_jNS0_17counting_iteratorIjlEEPS9_SE_NS0_5tupleIJPjSE_EEENSF_IJSE_SE_EEES9_SG_JZNS1_25segmented_radix_sort_implINS0_14default_configELb1EPKhPhPKlPlN2at6native12_GLOBAL__N_18offset_tEEE10hipError_tPvRmT1_PNSt15iterator_traitsISY_E10value_typeET2_T3_PNSZ_IS14_E10value_typeET4_jRbjT5_S1A_jjP12ihipStream_tbEUljE_EEESV_SW_SX_S14_S18_S1A_T6_T7_T9_mT8_S1C_bDpT10_ENKUlT_T0_E_clISt17integral_constantIbLb0EES1P_EEDaS1K_S1L_EUlS1K_E_NS1_11comp_targetILNS1_3genE2ELNS1_11target_archE906ELNS1_3gpuE6ELNS1_3repE0EEENS1_30default_config_static_selectorELNS0_4arch9wavefront6targetE0EEEvSY_
    .private_segment_fixed_size: 0
    .sgpr_count:     0
    .sgpr_spill_count: 0
    .symbol:         _ZN7rocprim17ROCPRIM_400000_NS6detail17trampoline_kernelINS0_13select_configILj256ELj13ELNS0_17block_load_methodE3ELS4_3ELS4_3ELNS0_20block_scan_algorithmE0ELj4294967295EEENS1_25partition_config_selectorILNS1_17partition_subalgoE3EjNS0_10empty_typeEbEEZZNS1_14partition_implILS8_3ELb0ES6_jNS0_17counting_iteratorIjlEEPS9_SE_NS0_5tupleIJPjSE_EEENSF_IJSE_SE_EEES9_SG_JZNS1_25segmented_radix_sort_implINS0_14default_configELb1EPKhPhPKlPlN2at6native12_GLOBAL__N_18offset_tEEE10hipError_tPvRmT1_PNSt15iterator_traitsISY_E10value_typeET2_T3_PNSZ_IS14_E10value_typeET4_jRbjT5_S1A_jjP12ihipStream_tbEUljE_EEESV_SW_SX_S14_S18_S1A_T6_T7_T9_mT8_S1C_bDpT10_ENKUlT_T0_E_clISt17integral_constantIbLb0EES1P_EEDaS1K_S1L_EUlS1K_E_NS1_11comp_targetILNS1_3genE2ELNS1_11target_archE906ELNS1_3gpuE6ELNS1_3repE0EEENS1_30default_config_static_selectorELNS0_4arch9wavefront6targetE0EEEvSY_.kd
    .uniform_work_group_size: 1
    .uses_dynamic_stack: false
    .vgpr_count:     0
    .vgpr_spill_count: 0
    .wavefront_size: 32
    .workgroup_processor_mode: 1
  - .args:
      - .offset:         0
        .size:           144
        .value_kind:     by_value
    .group_segment_fixed_size: 0
    .kernarg_segment_align: 8
    .kernarg_segment_size: 144
    .language:       OpenCL C
    .language_version:
      - 2
      - 0
    .max_flat_workgroup_size: 256
    .name:           _ZN7rocprim17ROCPRIM_400000_NS6detail17trampoline_kernelINS0_13select_configILj256ELj13ELNS0_17block_load_methodE3ELS4_3ELS4_3ELNS0_20block_scan_algorithmE0ELj4294967295EEENS1_25partition_config_selectorILNS1_17partition_subalgoE3EjNS0_10empty_typeEbEEZZNS1_14partition_implILS8_3ELb0ES6_jNS0_17counting_iteratorIjlEEPS9_SE_NS0_5tupleIJPjSE_EEENSF_IJSE_SE_EEES9_SG_JZNS1_25segmented_radix_sort_implINS0_14default_configELb1EPKhPhPKlPlN2at6native12_GLOBAL__N_18offset_tEEE10hipError_tPvRmT1_PNSt15iterator_traitsISY_E10value_typeET2_T3_PNSZ_IS14_E10value_typeET4_jRbjT5_S1A_jjP12ihipStream_tbEUljE_EEESV_SW_SX_S14_S18_S1A_T6_T7_T9_mT8_S1C_bDpT10_ENKUlT_T0_E_clISt17integral_constantIbLb0EES1P_EEDaS1K_S1L_EUlS1K_E_NS1_11comp_targetILNS1_3genE10ELNS1_11target_archE1200ELNS1_3gpuE4ELNS1_3repE0EEENS1_30default_config_static_selectorELNS0_4arch9wavefront6targetE0EEEvSY_
    .private_segment_fixed_size: 0
    .sgpr_count:     0
    .sgpr_spill_count: 0
    .symbol:         _ZN7rocprim17ROCPRIM_400000_NS6detail17trampoline_kernelINS0_13select_configILj256ELj13ELNS0_17block_load_methodE3ELS4_3ELS4_3ELNS0_20block_scan_algorithmE0ELj4294967295EEENS1_25partition_config_selectorILNS1_17partition_subalgoE3EjNS0_10empty_typeEbEEZZNS1_14partition_implILS8_3ELb0ES6_jNS0_17counting_iteratorIjlEEPS9_SE_NS0_5tupleIJPjSE_EEENSF_IJSE_SE_EEES9_SG_JZNS1_25segmented_radix_sort_implINS0_14default_configELb1EPKhPhPKlPlN2at6native12_GLOBAL__N_18offset_tEEE10hipError_tPvRmT1_PNSt15iterator_traitsISY_E10value_typeET2_T3_PNSZ_IS14_E10value_typeET4_jRbjT5_S1A_jjP12ihipStream_tbEUljE_EEESV_SW_SX_S14_S18_S1A_T6_T7_T9_mT8_S1C_bDpT10_ENKUlT_T0_E_clISt17integral_constantIbLb0EES1P_EEDaS1K_S1L_EUlS1K_E_NS1_11comp_targetILNS1_3genE10ELNS1_11target_archE1200ELNS1_3gpuE4ELNS1_3repE0EEENS1_30default_config_static_selectorELNS0_4arch9wavefront6targetE0EEEvSY_.kd
    .uniform_work_group_size: 1
    .uses_dynamic_stack: false
    .vgpr_count:     0
    .vgpr_spill_count: 0
    .wavefront_size: 32
    .workgroup_processor_mode: 1
  - .args:
      - .offset:         0
        .size:           144
        .value_kind:     by_value
    .group_segment_fixed_size: 13324
    .kernarg_segment_align: 8
    .kernarg_segment_size: 144
    .language:       OpenCL C
    .language_version:
      - 2
      - 0
    .max_flat_workgroup_size: 256
    .name:           _ZN7rocprim17ROCPRIM_400000_NS6detail17trampoline_kernelINS0_13select_configILj256ELj13ELNS0_17block_load_methodE3ELS4_3ELS4_3ELNS0_20block_scan_algorithmE0ELj4294967295EEENS1_25partition_config_selectorILNS1_17partition_subalgoE3EjNS0_10empty_typeEbEEZZNS1_14partition_implILS8_3ELb0ES6_jNS0_17counting_iteratorIjlEEPS9_SE_NS0_5tupleIJPjSE_EEENSF_IJSE_SE_EEES9_SG_JZNS1_25segmented_radix_sort_implINS0_14default_configELb1EPKhPhPKlPlN2at6native12_GLOBAL__N_18offset_tEEE10hipError_tPvRmT1_PNSt15iterator_traitsISY_E10value_typeET2_T3_PNSZ_IS14_E10value_typeET4_jRbjT5_S1A_jjP12ihipStream_tbEUljE_EEESV_SW_SX_S14_S18_S1A_T6_T7_T9_mT8_S1C_bDpT10_ENKUlT_T0_E_clISt17integral_constantIbLb0EES1P_EEDaS1K_S1L_EUlS1K_E_NS1_11comp_targetILNS1_3genE9ELNS1_11target_archE1100ELNS1_3gpuE3ELNS1_3repE0EEENS1_30default_config_static_selectorELNS0_4arch9wavefront6targetE0EEEvSY_
    .private_segment_fixed_size: 0
    .sgpr_count:     30
    .sgpr_spill_count: 0
    .symbol:         _ZN7rocprim17ROCPRIM_400000_NS6detail17trampoline_kernelINS0_13select_configILj256ELj13ELNS0_17block_load_methodE3ELS4_3ELS4_3ELNS0_20block_scan_algorithmE0ELj4294967295EEENS1_25partition_config_selectorILNS1_17partition_subalgoE3EjNS0_10empty_typeEbEEZZNS1_14partition_implILS8_3ELb0ES6_jNS0_17counting_iteratorIjlEEPS9_SE_NS0_5tupleIJPjSE_EEENSF_IJSE_SE_EEES9_SG_JZNS1_25segmented_radix_sort_implINS0_14default_configELb1EPKhPhPKlPlN2at6native12_GLOBAL__N_18offset_tEEE10hipError_tPvRmT1_PNSt15iterator_traitsISY_E10value_typeET2_T3_PNSZ_IS14_E10value_typeET4_jRbjT5_S1A_jjP12ihipStream_tbEUljE_EEESV_SW_SX_S14_S18_S1A_T6_T7_T9_mT8_S1C_bDpT10_ENKUlT_T0_E_clISt17integral_constantIbLb0EES1P_EEDaS1K_S1L_EUlS1K_E_NS1_11comp_targetILNS1_3genE9ELNS1_11target_archE1100ELNS1_3gpuE3ELNS1_3repE0EEENS1_30default_config_static_selectorELNS0_4arch9wavefront6targetE0EEEvSY_.kd
    .uniform_work_group_size: 1
    .uses_dynamic_stack: false
    .vgpr_count:     57
    .vgpr_spill_count: 0
    .wavefront_size: 32
    .workgroup_processor_mode: 1
  - .args:
      - .offset:         0
        .size:           144
        .value_kind:     by_value
    .group_segment_fixed_size: 0
    .kernarg_segment_align: 8
    .kernarg_segment_size: 144
    .language:       OpenCL C
    .language_version:
      - 2
      - 0
    .max_flat_workgroup_size: 256
    .name:           _ZN7rocprim17ROCPRIM_400000_NS6detail17trampoline_kernelINS0_13select_configILj256ELj13ELNS0_17block_load_methodE3ELS4_3ELS4_3ELNS0_20block_scan_algorithmE0ELj4294967295EEENS1_25partition_config_selectorILNS1_17partition_subalgoE3EjNS0_10empty_typeEbEEZZNS1_14partition_implILS8_3ELb0ES6_jNS0_17counting_iteratorIjlEEPS9_SE_NS0_5tupleIJPjSE_EEENSF_IJSE_SE_EEES9_SG_JZNS1_25segmented_radix_sort_implINS0_14default_configELb1EPKhPhPKlPlN2at6native12_GLOBAL__N_18offset_tEEE10hipError_tPvRmT1_PNSt15iterator_traitsISY_E10value_typeET2_T3_PNSZ_IS14_E10value_typeET4_jRbjT5_S1A_jjP12ihipStream_tbEUljE_EEESV_SW_SX_S14_S18_S1A_T6_T7_T9_mT8_S1C_bDpT10_ENKUlT_T0_E_clISt17integral_constantIbLb0EES1P_EEDaS1K_S1L_EUlS1K_E_NS1_11comp_targetILNS1_3genE8ELNS1_11target_archE1030ELNS1_3gpuE2ELNS1_3repE0EEENS1_30default_config_static_selectorELNS0_4arch9wavefront6targetE0EEEvSY_
    .private_segment_fixed_size: 0
    .sgpr_count:     0
    .sgpr_spill_count: 0
    .symbol:         _ZN7rocprim17ROCPRIM_400000_NS6detail17trampoline_kernelINS0_13select_configILj256ELj13ELNS0_17block_load_methodE3ELS4_3ELS4_3ELNS0_20block_scan_algorithmE0ELj4294967295EEENS1_25partition_config_selectorILNS1_17partition_subalgoE3EjNS0_10empty_typeEbEEZZNS1_14partition_implILS8_3ELb0ES6_jNS0_17counting_iteratorIjlEEPS9_SE_NS0_5tupleIJPjSE_EEENSF_IJSE_SE_EEES9_SG_JZNS1_25segmented_radix_sort_implINS0_14default_configELb1EPKhPhPKlPlN2at6native12_GLOBAL__N_18offset_tEEE10hipError_tPvRmT1_PNSt15iterator_traitsISY_E10value_typeET2_T3_PNSZ_IS14_E10value_typeET4_jRbjT5_S1A_jjP12ihipStream_tbEUljE_EEESV_SW_SX_S14_S18_S1A_T6_T7_T9_mT8_S1C_bDpT10_ENKUlT_T0_E_clISt17integral_constantIbLb0EES1P_EEDaS1K_S1L_EUlS1K_E_NS1_11comp_targetILNS1_3genE8ELNS1_11target_archE1030ELNS1_3gpuE2ELNS1_3repE0EEENS1_30default_config_static_selectorELNS0_4arch9wavefront6targetE0EEEvSY_.kd
    .uniform_work_group_size: 1
    .uses_dynamic_stack: false
    .vgpr_count:     0
    .vgpr_spill_count: 0
    .wavefront_size: 32
    .workgroup_processor_mode: 1
  - .args:
      - .address_space:  global
        .offset:         0
        .size:           8
        .value_kind:     global_buffer
      - .offset:         8
        .size:           4
        .value_kind:     by_value
      - .address_space:  global
        .offset:         16
        .size:           8
        .value_kind:     global_buffer
      - .offset:         24
        .size:           4
        .value_kind:     by_value
      - .address_space:  global
        .offset:         32
        .size:           8
        .value_kind:     global_buffer
      - .offset:         40
        .size:           4
        .value_kind:     hidden_block_count_x
      - .offset:         44
        .size:           4
        .value_kind:     hidden_block_count_y
      - .offset:         48
        .size:           4
        .value_kind:     hidden_block_count_z
      - .offset:         52
        .size:           2
        .value_kind:     hidden_group_size_x
      - .offset:         54
        .size:           2
        .value_kind:     hidden_group_size_y
      - .offset:         56
        .size:           2
        .value_kind:     hidden_group_size_z
      - .offset:         58
        .size:           2
        .value_kind:     hidden_remainder_x
      - .offset:         60
        .size:           2
        .value_kind:     hidden_remainder_y
      - .offset:         62
        .size:           2
        .value_kind:     hidden_remainder_z
      - .offset:         80
        .size:           8
        .value_kind:     hidden_global_offset_x
      - .offset:         88
        .size:           8
        .value_kind:     hidden_global_offset_y
      - .offset:         96
        .size:           8
        .value_kind:     hidden_global_offset_z
      - .offset:         104
        .size:           2
        .value_kind:     hidden_grid_dims
    .group_segment_fixed_size: 0
    .kernarg_segment_align: 8
    .kernarg_segment_size: 296
    .language:       OpenCL C
    .language_version:
      - 2
      - 0
    .max_flat_workgroup_size: 256
    .name:           _ZN7rocprim17ROCPRIM_400000_NS6detail31init_lookback_scan_state_kernelINS1_19lookback_scan_stateIjLb1ELb1EEENS1_16block_id_wrapperIjLb1EEEEEvT_jT0_jPNS7_10value_typeE
    .private_segment_fixed_size: 0
    .sgpr_count:     18
    .sgpr_spill_count: 0
    .symbol:         _ZN7rocprim17ROCPRIM_400000_NS6detail31init_lookback_scan_state_kernelINS1_19lookback_scan_stateIjLb1ELb1EEENS1_16block_id_wrapperIjLb1EEEEEvT_jT0_jPNS7_10value_typeE.kd
    .uniform_work_group_size: 1
    .uses_dynamic_stack: false
    .vgpr_count:     6
    .vgpr_spill_count: 0
    .wavefront_size: 32
    .workgroup_processor_mode: 1
  - .args:
      - .offset:         0
        .size:           152
        .value_kind:     by_value
    .group_segment_fixed_size: 0
    .kernarg_segment_align: 8
    .kernarg_segment_size: 152
    .language:       OpenCL C
    .language_version:
      - 2
      - 0
    .max_flat_workgroup_size: 256
    .name:           _ZN7rocprim17ROCPRIM_400000_NS6detail17trampoline_kernelINS0_13select_configILj256ELj13ELNS0_17block_load_methodE3ELS4_3ELS4_3ELNS0_20block_scan_algorithmE0ELj4294967295EEENS1_25partition_config_selectorILNS1_17partition_subalgoE3EjNS0_10empty_typeEbEEZZNS1_14partition_implILS8_3ELb0ES6_jNS0_17counting_iteratorIjlEEPS9_SE_NS0_5tupleIJPjSE_EEENSF_IJSE_SE_EEES9_SG_JZNS1_25segmented_radix_sort_implINS0_14default_configELb1EPKhPhPKlPlN2at6native12_GLOBAL__N_18offset_tEEE10hipError_tPvRmT1_PNSt15iterator_traitsISY_E10value_typeET2_T3_PNSZ_IS14_E10value_typeET4_jRbjT5_S1A_jjP12ihipStream_tbEUljE_EEESV_SW_SX_S14_S18_S1A_T6_T7_T9_mT8_S1C_bDpT10_ENKUlT_T0_E_clISt17integral_constantIbLb1EES1P_EEDaS1K_S1L_EUlS1K_E_NS1_11comp_targetILNS1_3genE0ELNS1_11target_archE4294967295ELNS1_3gpuE0ELNS1_3repE0EEENS1_30default_config_static_selectorELNS0_4arch9wavefront6targetE0EEEvSY_
    .private_segment_fixed_size: 0
    .sgpr_count:     0
    .sgpr_spill_count: 0
    .symbol:         _ZN7rocprim17ROCPRIM_400000_NS6detail17trampoline_kernelINS0_13select_configILj256ELj13ELNS0_17block_load_methodE3ELS4_3ELS4_3ELNS0_20block_scan_algorithmE0ELj4294967295EEENS1_25partition_config_selectorILNS1_17partition_subalgoE3EjNS0_10empty_typeEbEEZZNS1_14partition_implILS8_3ELb0ES6_jNS0_17counting_iteratorIjlEEPS9_SE_NS0_5tupleIJPjSE_EEENSF_IJSE_SE_EEES9_SG_JZNS1_25segmented_radix_sort_implINS0_14default_configELb1EPKhPhPKlPlN2at6native12_GLOBAL__N_18offset_tEEE10hipError_tPvRmT1_PNSt15iterator_traitsISY_E10value_typeET2_T3_PNSZ_IS14_E10value_typeET4_jRbjT5_S1A_jjP12ihipStream_tbEUljE_EEESV_SW_SX_S14_S18_S1A_T6_T7_T9_mT8_S1C_bDpT10_ENKUlT_T0_E_clISt17integral_constantIbLb1EES1P_EEDaS1K_S1L_EUlS1K_E_NS1_11comp_targetILNS1_3genE0ELNS1_11target_archE4294967295ELNS1_3gpuE0ELNS1_3repE0EEENS1_30default_config_static_selectorELNS0_4arch9wavefront6targetE0EEEvSY_.kd
    .uniform_work_group_size: 1
    .uses_dynamic_stack: false
    .vgpr_count:     0
    .vgpr_spill_count: 0
    .wavefront_size: 32
    .workgroup_processor_mode: 1
  - .args:
      - .offset:         0
        .size:           152
        .value_kind:     by_value
    .group_segment_fixed_size: 0
    .kernarg_segment_align: 8
    .kernarg_segment_size: 152
    .language:       OpenCL C
    .language_version:
      - 2
      - 0
    .max_flat_workgroup_size: 256
    .name:           _ZN7rocprim17ROCPRIM_400000_NS6detail17trampoline_kernelINS0_13select_configILj256ELj13ELNS0_17block_load_methodE3ELS4_3ELS4_3ELNS0_20block_scan_algorithmE0ELj4294967295EEENS1_25partition_config_selectorILNS1_17partition_subalgoE3EjNS0_10empty_typeEbEEZZNS1_14partition_implILS8_3ELb0ES6_jNS0_17counting_iteratorIjlEEPS9_SE_NS0_5tupleIJPjSE_EEENSF_IJSE_SE_EEES9_SG_JZNS1_25segmented_radix_sort_implINS0_14default_configELb1EPKhPhPKlPlN2at6native12_GLOBAL__N_18offset_tEEE10hipError_tPvRmT1_PNSt15iterator_traitsISY_E10value_typeET2_T3_PNSZ_IS14_E10value_typeET4_jRbjT5_S1A_jjP12ihipStream_tbEUljE_EEESV_SW_SX_S14_S18_S1A_T6_T7_T9_mT8_S1C_bDpT10_ENKUlT_T0_E_clISt17integral_constantIbLb1EES1P_EEDaS1K_S1L_EUlS1K_E_NS1_11comp_targetILNS1_3genE5ELNS1_11target_archE942ELNS1_3gpuE9ELNS1_3repE0EEENS1_30default_config_static_selectorELNS0_4arch9wavefront6targetE0EEEvSY_
    .private_segment_fixed_size: 0
    .sgpr_count:     0
    .sgpr_spill_count: 0
    .symbol:         _ZN7rocprim17ROCPRIM_400000_NS6detail17trampoline_kernelINS0_13select_configILj256ELj13ELNS0_17block_load_methodE3ELS4_3ELS4_3ELNS0_20block_scan_algorithmE0ELj4294967295EEENS1_25partition_config_selectorILNS1_17partition_subalgoE3EjNS0_10empty_typeEbEEZZNS1_14partition_implILS8_3ELb0ES6_jNS0_17counting_iteratorIjlEEPS9_SE_NS0_5tupleIJPjSE_EEENSF_IJSE_SE_EEES9_SG_JZNS1_25segmented_radix_sort_implINS0_14default_configELb1EPKhPhPKlPlN2at6native12_GLOBAL__N_18offset_tEEE10hipError_tPvRmT1_PNSt15iterator_traitsISY_E10value_typeET2_T3_PNSZ_IS14_E10value_typeET4_jRbjT5_S1A_jjP12ihipStream_tbEUljE_EEESV_SW_SX_S14_S18_S1A_T6_T7_T9_mT8_S1C_bDpT10_ENKUlT_T0_E_clISt17integral_constantIbLb1EES1P_EEDaS1K_S1L_EUlS1K_E_NS1_11comp_targetILNS1_3genE5ELNS1_11target_archE942ELNS1_3gpuE9ELNS1_3repE0EEENS1_30default_config_static_selectorELNS0_4arch9wavefront6targetE0EEEvSY_.kd
    .uniform_work_group_size: 1
    .uses_dynamic_stack: false
    .vgpr_count:     0
    .vgpr_spill_count: 0
    .wavefront_size: 32
    .workgroup_processor_mode: 1
  - .args:
      - .offset:         0
        .size:           152
        .value_kind:     by_value
    .group_segment_fixed_size: 0
    .kernarg_segment_align: 8
    .kernarg_segment_size: 152
    .language:       OpenCL C
    .language_version:
      - 2
      - 0
    .max_flat_workgroup_size: 256
    .name:           _ZN7rocprim17ROCPRIM_400000_NS6detail17trampoline_kernelINS0_13select_configILj256ELj13ELNS0_17block_load_methodE3ELS4_3ELS4_3ELNS0_20block_scan_algorithmE0ELj4294967295EEENS1_25partition_config_selectorILNS1_17partition_subalgoE3EjNS0_10empty_typeEbEEZZNS1_14partition_implILS8_3ELb0ES6_jNS0_17counting_iteratorIjlEEPS9_SE_NS0_5tupleIJPjSE_EEENSF_IJSE_SE_EEES9_SG_JZNS1_25segmented_radix_sort_implINS0_14default_configELb1EPKhPhPKlPlN2at6native12_GLOBAL__N_18offset_tEEE10hipError_tPvRmT1_PNSt15iterator_traitsISY_E10value_typeET2_T3_PNSZ_IS14_E10value_typeET4_jRbjT5_S1A_jjP12ihipStream_tbEUljE_EEESV_SW_SX_S14_S18_S1A_T6_T7_T9_mT8_S1C_bDpT10_ENKUlT_T0_E_clISt17integral_constantIbLb1EES1P_EEDaS1K_S1L_EUlS1K_E_NS1_11comp_targetILNS1_3genE4ELNS1_11target_archE910ELNS1_3gpuE8ELNS1_3repE0EEENS1_30default_config_static_selectorELNS0_4arch9wavefront6targetE0EEEvSY_
    .private_segment_fixed_size: 0
    .sgpr_count:     0
    .sgpr_spill_count: 0
    .symbol:         _ZN7rocprim17ROCPRIM_400000_NS6detail17trampoline_kernelINS0_13select_configILj256ELj13ELNS0_17block_load_methodE3ELS4_3ELS4_3ELNS0_20block_scan_algorithmE0ELj4294967295EEENS1_25partition_config_selectorILNS1_17partition_subalgoE3EjNS0_10empty_typeEbEEZZNS1_14partition_implILS8_3ELb0ES6_jNS0_17counting_iteratorIjlEEPS9_SE_NS0_5tupleIJPjSE_EEENSF_IJSE_SE_EEES9_SG_JZNS1_25segmented_radix_sort_implINS0_14default_configELb1EPKhPhPKlPlN2at6native12_GLOBAL__N_18offset_tEEE10hipError_tPvRmT1_PNSt15iterator_traitsISY_E10value_typeET2_T3_PNSZ_IS14_E10value_typeET4_jRbjT5_S1A_jjP12ihipStream_tbEUljE_EEESV_SW_SX_S14_S18_S1A_T6_T7_T9_mT8_S1C_bDpT10_ENKUlT_T0_E_clISt17integral_constantIbLb1EES1P_EEDaS1K_S1L_EUlS1K_E_NS1_11comp_targetILNS1_3genE4ELNS1_11target_archE910ELNS1_3gpuE8ELNS1_3repE0EEENS1_30default_config_static_selectorELNS0_4arch9wavefront6targetE0EEEvSY_.kd
    .uniform_work_group_size: 1
    .uses_dynamic_stack: false
    .vgpr_count:     0
    .vgpr_spill_count: 0
    .wavefront_size: 32
    .workgroup_processor_mode: 1
  - .args:
      - .offset:         0
        .size:           152
        .value_kind:     by_value
    .group_segment_fixed_size: 0
    .kernarg_segment_align: 8
    .kernarg_segment_size: 152
    .language:       OpenCL C
    .language_version:
      - 2
      - 0
    .max_flat_workgroup_size: 256
    .name:           _ZN7rocprim17ROCPRIM_400000_NS6detail17trampoline_kernelINS0_13select_configILj256ELj13ELNS0_17block_load_methodE3ELS4_3ELS4_3ELNS0_20block_scan_algorithmE0ELj4294967295EEENS1_25partition_config_selectorILNS1_17partition_subalgoE3EjNS0_10empty_typeEbEEZZNS1_14partition_implILS8_3ELb0ES6_jNS0_17counting_iteratorIjlEEPS9_SE_NS0_5tupleIJPjSE_EEENSF_IJSE_SE_EEES9_SG_JZNS1_25segmented_radix_sort_implINS0_14default_configELb1EPKhPhPKlPlN2at6native12_GLOBAL__N_18offset_tEEE10hipError_tPvRmT1_PNSt15iterator_traitsISY_E10value_typeET2_T3_PNSZ_IS14_E10value_typeET4_jRbjT5_S1A_jjP12ihipStream_tbEUljE_EEESV_SW_SX_S14_S18_S1A_T6_T7_T9_mT8_S1C_bDpT10_ENKUlT_T0_E_clISt17integral_constantIbLb1EES1P_EEDaS1K_S1L_EUlS1K_E_NS1_11comp_targetILNS1_3genE3ELNS1_11target_archE908ELNS1_3gpuE7ELNS1_3repE0EEENS1_30default_config_static_selectorELNS0_4arch9wavefront6targetE0EEEvSY_
    .private_segment_fixed_size: 0
    .sgpr_count:     0
    .sgpr_spill_count: 0
    .symbol:         _ZN7rocprim17ROCPRIM_400000_NS6detail17trampoline_kernelINS0_13select_configILj256ELj13ELNS0_17block_load_methodE3ELS4_3ELS4_3ELNS0_20block_scan_algorithmE0ELj4294967295EEENS1_25partition_config_selectorILNS1_17partition_subalgoE3EjNS0_10empty_typeEbEEZZNS1_14partition_implILS8_3ELb0ES6_jNS0_17counting_iteratorIjlEEPS9_SE_NS0_5tupleIJPjSE_EEENSF_IJSE_SE_EEES9_SG_JZNS1_25segmented_radix_sort_implINS0_14default_configELb1EPKhPhPKlPlN2at6native12_GLOBAL__N_18offset_tEEE10hipError_tPvRmT1_PNSt15iterator_traitsISY_E10value_typeET2_T3_PNSZ_IS14_E10value_typeET4_jRbjT5_S1A_jjP12ihipStream_tbEUljE_EEESV_SW_SX_S14_S18_S1A_T6_T7_T9_mT8_S1C_bDpT10_ENKUlT_T0_E_clISt17integral_constantIbLb1EES1P_EEDaS1K_S1L_EUlS1K_E_NS1_11comp_targetILNS1_3genE3ELNS1_11target_archE908ELNS1_3gpuE7ELNS1_3repE0EEENS1_30default_config_static_selectorELNS0_4arch9wavefront6targetE0EEEvSY_.kd
    .uniform_work_group_size: 1
    .uses_dynamic_stack: false
    .vgpr_count:     0
    .vgpr_spill_count: 0
    .wavefront_size: 32
    .workgroup_processor_mode: 1
  - .args:
      - .offset:         0
        .size:           152
        .value_kind:     by_value
    .group_segment_fixed_size: 0
    .kernarg_segment_align: 8
    .kernarg_segment_size: 152
    .language:       OpenCL C
    .language_version:
      - 2
      - 0
    .max_flat_workgroup_size: 256
    .name:           _ZN7rocprim17ROCPRIM_400000_NS6detail17trampoline_kernelINS0_13select_configILj256ELj13ELNS0_17block_load_methodE3ELS4_3ELS4_3ELNS0_20block_scan_algorithmE0ELj4294967295EEENS1_25partition_config_selectorILNS1_17partition_subalgoE3EjNS0_10empty_typeEbEEZZNS1_14partition_implILS8_3ELb0ES6_jNS0_17counting_iteratorIjlEEPS9_SE_NS0_5tupleIJPjSE_EEENSF_IJSE_SE_EEES9_SG_JZNS1_25segmented_radix_sort_implINS0_14default_configELb1EPKhPhPKlPlN2at6native12_GLOBAL__N_18offset_tEEE10hipError_tPvRmT1_PNSt15iterator_traitsISY_E10value_typeET2_T3_PNSZ_IS14_E10value_typeET4_jRbjT5_S1A_jjP12ihipStream_tbEUljE_EEESV_SW_SX_S14_S18_S1A_T6_T7_T9_mT8_S1C_bDpT10_ENKUlT_T0_E_clISt17integral_constantIbLb1EES1P_EEDaS1K_S1L_EUlS1K_E_NS1_11comp_targetILNS1_3genE2ELNS1_11target_archE906ELNS1_3gpuE6ELNS1_3repE0EEENS1_30default_config_static_selectorELNS0_4arch9wavefront6targetE0EEEvSY_
    .private_segment_fixed_size: 0
    .sgpr_count:     0
    .sgpr_spill_count: 0
    .symbol:         _ZN7rocprim17ROCPRIM_400000_NS6detail17trampoline_kernelINS0_13select_configILj256ELj13ELNS0_17block_load_methodE3ELS4_3ELS4_3ELNS0_20block_scan_algorithmE0ELj4294967295EEENS1_25partition_config_selectorILNS1_17partition_subalgoE3EjNS0_10empty_typeEbEEZZNS1_14partition_implILS8_3ELb0ES6_jNS0_17counting_iteratorIjlEEPS9_SE_NS0_5tupleIJPjSE_EEENSF_IJSE_SE_EEES9_SG_JZNS1_25segmented_radix_sort_implINS0_14default_configELb1EPKhPhPKlPlN2at6native12_GLOBAL__N_18offset_tEEE10hipError_tPvRmT1_PNSt15iterator_traitsISY_E10value_typeET2_T3_PNSZ_IS14_E10value_typeET4_jRbjT5_S1A_jjP12ihipStream_tbEUljE_EEESV_SW_SX_S14_S18_S1A_T6_T7_T9_mT8_S1C_bDpT10_ENKUlT_T0_E_clISt17integral_constantIbLb1EES1P_EEDaS1K_S1L_EUlS1K_E_NS1_11comp_targetILNS1_3genE2ELNS1_11target_archE906ELNS1_3gpuE6ELNS1_3repE0EEENS1_30default_config_static_selectorELNS0_4arch9wavefront6targetE0EEEvSY_.kd
    .uniform_work_group_size: 1
    .uses_dynamic_stack: false
    .vgpr_count:     0
    .vgpr_spill_count: 0
    .wavefront_size: 32
    .workgroup_processor_mode: 1
  - .args:
      - .offset:         0
        .size:           152
        .value_kind:     by_value
    .group_segment_fixed_size: 0
    .kernarg_segment_align: 8
    .kernarg_segment_size: 152
    .language:       OpenCL C
    .language_version:
      - 2
      - 0
    .max_flat_workgroup_size: 256
    .name:           _ZN7rocprim17ROCPRIM_400000_NS6detail17trampoline_kernelINS0_13select_configILj256ELj13ELNS0_17block_load_methodE3ELS4_3ELS4_3ELNS0_20block_scan_algorithmE0ELj4294967295EEENS1_25partition_config_selectorILNS1_17partition_subalgoE3EjNS0_10empty_typeEbEEZZNS1_14partition_implILS8_3ELb0ES6_jNS0_17counting_iteratorIjlEEPS9_SE_NS0_5tupleIJPjSE_EEENSF_IJSE_SE_EEES9_SG_JZNS1_25segmented_radix_sort_implINS0_14default_configELb1EPKhPhPKlPlN2at6native12_GLOBAL__N_18offset_tEEE10hipError_tPvRmT1_PNSt15iterator_traitsISY_E10value_typeET2_T3_PNSZ_IS14_E10value_typeET4_jRbjT5_S1A_jjP12ihipStream_tbEUljE_EEESV_SW_SX_S14_S18_S1A_T6_T7_T9_mT8_S1C_bDpT10_ENKUlT_T0_E_clISt17integral_constantIbLb1EES1P_EEDaS1K_S1L_EUlS1K_E_NS1_11comp_targetILNS1_3genE10ELNS1_11target_archE1200ELNS1_3gpuE4ELNS1_3repE0EEENS1_30default_config_static_selectorELNS0_4arch9wavefront6targetE0EEEvSY_
    .private_segment_fixed_size: 0
    .sgpr_count:     0
    .sgpr_spill_count: 0
    .symbol:         _ZN7rocprim17ROCPRIM_400000_NS6detail17trampoline_kernelINS0_13select_configILj256ELj13ELNS0_17block_load_methodE3ELS4_3ELS4_3ELNS0_20block_scan_algorithmE0ELj4294967295EEENS1_25partition_config_selectorILNS1_17partition_subalgoE3EjNS0_10empty_typeEbEEZZNS1_14partition_implILS8_3ELb0ES6_jNS0_17counting_iteratorIjlEEPS9_SE_NS0_5tupleIJPjSE_EEENSF_IJSE_SE_EEES9_SG_JZNS1_25segmented_radix_sort_implINS0_14default_configELb1EPKhPhPKlPlN2at6native12_GLOBAL__N_18offset_tEEE10hipError_tPvRmT1_PNSt15iterator_traitsISY_E10value_typeET2_T3_PNSZ_IS14_E10value_typeET4_jRbjT5_S1A_jjP12ihipStream_tbEUljE_EEESV_SW_SX_S14_S18_S1A_T6_T7_T9_mT8_S1C_bDpT10_ENKUlT_T0_E_clISt17integral_constantIbLb1EES1P_EEDaS1K_S1L_EUlS1K_E_NS1_11comp_targetILNS1_3genE10ELNS1_11target_archE1200ELNS1_3gpuE4ELNS1_3repE0EEENS1_30default_config_static_selectorELNS0_4arch9wavefront6targetE0EEEvSY_.kd
    .uniform_work_group_size: 1
    .uses_dynamic_stack: false
    .vgpr_count:     0
    .vgpr_spill_count: 0
    .wavefront_size: 32
    .workgroup_processor_mode: 1
  - .args:
      - .offset:         0
        .size:           152
        .value_kind:     by_value
    .group_segment_fixed_size: 13324
    .kernarg_segment_align: 8
    .kernarg_segment_size: 152
    .language:       OpenCL C
    .language_version:
      - 2
      - 0
    .max_flat_workgroup_size: 256
    .name:           _ZN7rocprim17ROCPRIM_400000_NS6detail17trampoline_kernelINS0_13select_configILj256ELj13ELNS0_17block_load_methodE3ELS4_3ELS4_3ELNS0_20block_scan_algorithmE0ELj4294967295EEENS1_25partition_config_selectorILNS1_17partition_subalgoE3EjNS0_10empty_typeEbEEZZNS1_14partition_implILS8_3ELb0ES6_jNS0_17counting_iteratorIjlEEPS9_SE_NS0_5tupleIJPjSE_EEENSF_IJSE_SE_EEES9_SG_JZNS1_25segmented_radix_sort_implINS0_14default_configELb1EPKhPhPKlPlN2at6native12_GLOBAL__N_18offset_tEEE10hipError_tPvRmT1_PNSt15iterator_traitsISY_E10value_typeET2_T3_PNSZ_IS14_E10value_typeET4_jRbjT5_S1A_jjP12ihipStream_tbEUljE_EEESV_SW_SX_S14_S18_S1A_T6_T7_T9_mT8_S1C_bDpT10_ENKUlT_T0_E_clISt17integral_constantIbLb1EES1P_EEDaS1K_S1L_EUlS1K_E_NS1_11comp_targetILNS1_3genE9ELNS1_11target_archE1100ELNS1_3gpuE3ELNS1_3repE0EEENS1_30default_config_static_selectorELNS0_4arch9wavefront6targetE0EEEvSY_
    .private_segment_fixed_size: 0
    .sgpr_count:     28
    .sgpr_spill_count: 0
    .symbol:         _ZN7rocprim17ROCPRIM_400000_NS6detail17trampoline_kernelINS0_13select_configILj256ELj13ELNS0_17block_load_methodE3ELS4_3ELS4_3ELNS0_20block_scan_algorithmE0ELj4294967295EEENS1_25partition_config_selectorILNS1_17partition_subalgoE3EjNS0_10empty_typeEbEEZZNS1_14partition_implILS8_3ELb0ES6_jNS0_17counting_iteratorIjlEEPS9_SE_NS0_5tupleIJPjSE_EEENSF_IJSE_SE_EEES9_SG_JZNS1_25segmented_radix_sort_implINS0_14default_configELb1EPKhPhPKlPlN2at6native12_GLOBAL__N_18offset_tEEE10hipError_tPvRmT1_PNSt15iterator_traitsISY_E10value_typeET2_T3_PNSZ_IS14_E10value_typeET4_jRbjT5_S1A_jjP12ihipStream_tbEUljE_EEESV_SW_SX_S14_S18_S1A_T6_T7_T9_mT8_S1C_bDpT10_ENKUlT_T0_E_clISt17integral_constantIbLb1EES1P_EEDaS1K_S1L_EUlS1K_E_NS1_11comp_targetILNS1_3genE9ELNS1_11target_archE1100ELNS1_3gpuE3ELNS1_3repE0EEENS1_30default_config_static_selectorELNS0_4arch9wavefront6targetE0EEEvSY_.kd
    .uniform_work_group_size: 1
    .uses_dynamic_stack: false
    .vgpr_count:     60
    .vgpr_spill_count: 0
    .wavefront_size: 32
    .workgroup_processor_mode: 1
  - .args:
      - .offset:         0
        .size:           152
        .value_kind:     by_value
    .group_segment_fixed_size: 0
    .kernarg_segment_align: 8
    .kernarg_segment_size: 152
    .language:       OpenCL C
    .language_version:
      - 2
      - 0
    .max_flat_workgroup_size: 256
    .name:           _ZN7rocprim17ROCPRIM_400000_NS6detail17trampoline_kernelINS0_13select_configILj256ELj13ELNS0_17block_load_methodE3ELS4_3ELS4_3ELNS0_20block_scan_algorithmE0ELj4294967295EEENS1_25partition_config_selectorILNS1_17partition_subalgoE3EjNS0_10empty_typeEbEEZZNS1_14partition_implILS8_3ELb0ES6_jNS0_17counting_iteratorIjlEEPS9_SE_NS0_5tupleIJPjSE_EEENSF_IJSE_SE_EEES9_SG_JZNS1_25segmented_radix_sort_implINS0_14default_configELb1EPKhPhPKlPlN2at6native12_GLOBAL__N_18offset_tEEE10hipError_tPvRmT1_PNSt15iterator_traitsISY_E10value_typeET2_T3_PNSZ_IS14_E10value_typeET4_jRbjT5_S1A_jjP12ihipStream_tbEUljE_EEESV_SW_SX_S14_S18_S1A_T6_T7_T9_mT8_S1C_bDpT10_ENKUlT_T0_E_clISt17integral_constantIbLb1EES1P_EEDaS1K_S1L_EUlS1K_E_NS1_11comp_targetILNS1_3genE8ELNS1_11target_archE1030ELNS1_3gpuE2ELNS1_3repE0EEENS1_30default_config_static_selectorELNS0_4arch9wavefront6targetE0EEEvSY_
    .private_segment_fixed_size: 0
    .sgpr_count:     0
    .sgpr_spill_count: 0
    .symbol:         _ZN7rocprim17ROCPRIM_400000_NS6detail17trampoline_kernelINS0_13select_configILj256ELj13ELNS0_17block_load_methodE3ELS4_3ELS4_3ELNS0_20block_scan_algorithmE0ELj4294967295EEENS1_25partition_config_selectorILNS1_17partition_subalgoE3EjNS0_10empty_typeEbEEZZNS1_14partition_implILS8_3ELb0ES6_jNS0_17counting_iteratorIjlEEPS9_SE_NS0_5tupleIJPjSE_EEENSF_IJSE_SE_EEES9_SG_JZNS1_25segmented_radix_sort_implINS0_14default_configELb1EPKhPhPKlPlN2at6native12_GLOBAL__N_18offset_tEEE10hipError_tPvRmT1_PNSt15iterator_traitsISY_E10value_typeET2_T3_PNSZ_IS14_E10value_typeET4_jRbjT5_S1A_jjP12ihipStream_tbEUljE_EEESV_SW_SX_S14_S18_S1A_T6_T7_T9_mT8_S1C_bDpT10_ENKUlT_T0_E_clISt17integral_constantIbLb1EES1P_EEDaS1K_S1L_EUlS1K_E_NS1_11comp_targetILNS1_3genE8ELNS1_11target_archE1030ELNS1_3gpuE2ELNS1_3repE0EEENS1_30default_config_static_selectorELNS0_4arch9wavefront6targetE0EEEvSY_.kd
    .uniform_work_group_size: 1
    .uses_dynamic_stack: false
    .vgpr_count:     0
    .vgpr_spill_count: 0
    .wavefront_size: 32
    .workgroup_processor_mode: 1
  - .args:
      - .address_space:  global
        .offset:         0
        .size:           8
        .value_kind:     global_buffer
      - .offset:         8
        .size:           4
        .value_kind:     by_value
      - .offset:         12
        .size:           1
        .value_kind:     by_value
      - .offset:         16
        .size:           4
        .value_kind:     by_value
      - .address_space:  global
        .offset:         24
        .size:           8
        .value_kind:     global_buffer
      - .offset:         32
        .size:           4
        .value_kind:     hidden_block_count_x
      - .offset:         36
        .size:           4
        .value_kind:     hidden_block_count_y
      - .offset:         40
        .size:           4
        .value_kind:     hidden_block_count_z
      - .offset:         44
        .size:           2
        .value_kind:     hidden_group_size_x
      - .offset:         46
        .size:           2
        .value_kind:     hidden_group_size_y
      - .offset:         48
        .size:           2
        .value_kind:     hidden_group_size_z
      - .offset:         50
        .size:           2
        .value_kind:     hidden_remainder_x
      - .offset:         52
        .size:           2
        .value_kind:     hidden_remainder_y
      - .offset:         54
        .size:           2
        .value_kind:     hidden_remainder_z
      - .offset:         72
        .size:           8
        .value_kind:     hidden_global_offset_x
      - .offset:         80
        .size:           8
        .value_kind:     hidden_global_offset_y
      - .offset:         88
        .size:           8
        .value_kind:     hidden_global_offset_z
      - .offset:         96
        .size:           2
        .value_kind:     hidden_grid_dims
    .group_segment_fixed_size: 0
    .kernarg_segment_align: 8
    .kernarg_segment_size: 288
    .language:       OpenCL C
    .language_version:
      - 2
      - 0
    .max_flat_workgroup_size: 256
    .name:           _ZN7rocprim17ROCPRIM_400000_NS6detail31init_lookback_scan_state_kernelINS1_19lookback_scan_stateIjLb1ELb1EEENS1_16block_id_wrapperIjLb0EEEEEvT_jT0_jPNS7_10value_typeE
    .private_segment_fixed_size: 0
    .sgpr_count:     18
    .sgpr_spill_count: 0
    .symbol:         _ZN7rocprim17ROCPRIM_400000_NS6detail31init_lookback_scan_state_kernelINS1_19lookback_scan_stateIjLb1ELb1EEENS1_16block_id_wrapperIjLb0EEEEEvT_jT0_jPNS7_10value_typeE.kd
    .uniform_work_group_size: 1
    .uses_dynamic_stack: false
    .vgpr_count:     6
    .vgpr_spill_count: 0
    .wavefront_size: 32
    .workgroup_processor_mode: 1
  - .args:
      - .offset:         0
        .size:           144
        .value_kind:     by_value
    .group_segment_fixed_size: 0
    .kernarg_segment_align: 8
    .kernarg_segment_size: 144
    .language:       OpenCL C
    .language_version:
      - 2
      - 0
    .max_flat_workgroup_size: 256
    .name:           _ZN7rocprim17ROCPRIM_400000_NS6detail17trampoline_kernelINS0_13select_configILj256ELj13ELNS0_17block_load_methodE3ELS4_3ELS4_3ELNS0_20block_scan_algorithmE0ELj4294967295EEENS1_25partition_config_selectorILNS1_17partition_subalgoE3EjNS0_10empty_typeEbEEZZNS1_14partition_implILS8_3ELb0ES6_jNS0_17counting_iteratorIjlEEPS9_SE_NS0_5tupleIJPjSE_EEENSF_IJSE_SE_EEES9_SG_JZNS1_25segmented_radix_sort_implINS0_14default_configELb1EPKhPhPKlPlN2at6native12_GLOBAL__N_18offset_tEEE10hipError_tPvRmT1_PNSt15iterator_traitsISY_E10value_typeET2_T3_PNSZ_IS14_E10value_typeET4_jRbjT5_S1A_jjP12ihipStream_tbEUljE_EEESV_SW_SX_S14_S18_S1A_T6_T7_T9_mT8_S1C_bDpT10_ENKUlT_T0_E_clISt17integral_constantIbLb1EES1O_IbLb0EEEEDaS1K_S1L_EUlS1K_E_NS1_11comp_targetILNS1_3genE0ELNS1_11target_archE4294967295ELNS1_3gpuE0ELNS1_3repE0EEENS1_30default_config_static_selectorELNS0_4arch9wavefront6targetE0EEEvSY_
    .private_segment_fixed_size: 0
    .sgpr_count:     0
    .sgpr_spill_count: 0
    .symbol:         _ZN7rocprim17ROCPRIM_400000_NS6detail17trampoline_kernelINS0_13select_configILj256ELj13ELNS0_17block_load_methodE3ELS4_3ELS4_3ELNS0_20block_scan_algorithmE0ELj4294967295EEENS1_25partition_config_selectorILNS1_17partition_subalgoE3EjNS0_10empty_typeEbEEZZNS1_14partition_implILS8_3ELb0ES6_jNS0_17counting_iteratorIjlEEPS9_SE_NS0_5tupleIJPjSE_EEENSF_IJSE_SE_EEES9_SG_JZNS1_25segmented_radix_sort_implINS0_14default_configELb1EPKhPhPKlPlN2at6native12_GLOBAL__N_18offset_tEEE10hipError_tPvRmT1_PNSt15iterator_traitsISY_E10value_typeET2_T3_PNSZ_IS14_E10value_typeET4_jRbjT5_S1A_jjP12ihipStream_tbEUljE_EEESV_SW_SX_S14_S18_S1A_T6_T7_T9_mT8_S1C_bDpT10_ENKUlT_T0_E_clISt17integral_constantIbLb1EES1O_IbLb0EEEEDaS1K_S1L_EUlS1K_E_NS1_11comp_targetILNS1_3genE0ELNS1_11target_archE4294967295ELNS1_3gpuE0ELNS1_3repE0EEENS1_30default_config_static_selectorELNS0_4arch9wavefront6targetE0EEEvSY_.kd
    .uniform_work_group_size: 1
    .uses_dynamic_stack: false
    .vgpr_count:     0
    .vgpr_spill_count: 0
    .wavefront_size: 32
    .workgroup_processor_mode: 1
  - .args:
      - .offset:         0
        .size:           144
        .value_kind:     by_value
    .group_segment_fixed_size: 0
    .kernarg_segment_align: 8
    .kernarg_segment_size: 144
    .language:       OpenCL C
    .language_version:
      - 2
      - 0
    .max_flat_workgroup_size: 256
    .name:           _ZN7rocprim17ROCPRIM_400000_NS6detail17trampoline_kernelINS0_13select_configILj256ELj13ELNS0_17block_load_methodE3ELS4_3ELS4_3ELNS0_20block_scan_algorithmE0ELj4294967295EEENS1_25partition_config_selectorILNS1_17partition_subalgoE3EjNS0_10empty_typeEbEEZZNS1_14partition_implILS8_3ELb0ES6_jNS0_17counting_iteratorIjlEEPS9_SE_NS0_5tupleIJPjSE_EEENSF_IJSE_SE_EEES9_SG_JZNS1_25segmented_radix_sort_implINS0_14default_configELb1EPKhPhPKlPlN2at6native12_GLOBAL__N_18offset_tEEE10hipError_tPvRmT1_PNSt15iterator_traitsISY_E10value_typeET2_T3_PNSZ_IS14_E10value_typeET4_jRbjT5_S1A_jjP12ihipStream_tbEUljE_EEESV_SW_SX_S14_S18_S1A_T6_T7_T9_mT8_S1C_bDpT10_ENKUlT_T0_E_clISt17integral_constantIbLb1EES1O_IbLb0EEEEDaS1K_S1L_EUlS1K_E_NS1_11comp_targetILNS1_3genE5ELNS1_11target_archE942ELNS1_3gpuE9ELNS1_3repE0EEENS1_30default_config_static_selectorELNS0_4arch9wavefront6targetE0EEEvSY_
    .private_segment_fixed_size: 0
    .sgpr_count:     0
    .sgpr_spill_count: 0
    .symbol:         _ZN7rocprim17ROCPRIM_400000_NS6detail17trampoline_kernelINS0_13select_configILj256ELj13ELNS0_17block_load_methodE3ELS4_3ELS4_3ELNS0_20block_scan_algorithmE0ELj4294967295EEENS1_25partition_config_selectorILNS1_17partition_subalgoE3EjNS0_10empty_typeEbEEZZNS1_14partition_implILS8_3ELb0ES6_jNS0_17counting_iteratorIjlEEPS9_SE_NS0_5tupleIJPjSE_EEENSF_IJSE_SE_EEES9_SG_JZNS1_25segmented_radix_sort_implINS0_14default_configELb1EPKhPhPKlPlN2at6native12_GLOBAL__N_18offset_tEEE10hipError_tPvRmT1_PNSt15iterator_traitsISY_E10value_typeET2_T3_PNSZ_IS14_E10value_typeET4_jRbjT5_S1A_jjP12ihipStream_tbEUljE_EEESV_SW_SX_S14_S18_S1A_T6_T7_T9_mT8_S1C_bDpT10_ENKUlT_T0_E_clISt17integral_constantIbLb1EES1O_IbLb0EEEEDaS1K_S1L_EUlS1K_E_NS1_11comp_targetILNS1_3genE5ELNS1_11target_archE942ELNS1_3gpuE9ELNS1_3repE0EEENS1_30default_config_static_selectorELNS0_4arch9wavefront6targetE0EEEvSY_.kd
    .uniform_work_group_size: 1
    .uses_dynamic_stack: false
    .vgpr_count:     0
    .vgpr_spill_count: 0
    .wavefront_size: 32
    .workgroup_processor_mode: 1
  - .args:
      - .offset:         0
        .size:           144
        .value_kind:     by_value
    .group_segment_fixed_size: 0
    .kernarg_segment_align: 8
    .kernarg_segment_size: 144
    .language:       OpenCL C
    .language_version:
      - 2
      - 0
    .max_flat_workgroup_size: 256
    .name:           _ZN7rocprim17ROCPRIM_400000_NS6detail17trampoline_kernelINS0_13select_configILj256ELj13ELNS0_17block_load_methodE3ELS4_3ELS4_3ELNS0_20block_scan_algorithmE0ELj4294967295EEENS1_25partition_config_selectorILNS1_17partition_subalgoE3EjNS0_10empty_typeEbEEZZNS1_14partition_implILS8_3ELb0ES6_jNS0_17counting_iteratorIjlEEPS9_SE_NS0_5tupleIJPjSE_EEENSF_IJSE_SE_EEES9_SG_JZNS1_25segmented_radix_sort_implINS0_14default_configELb1EPKhPhPKlPlN2at6native12_GLOBAL__N_18offset_tEEE10hipError_tPvRmT1_PNSt15iterator_traitsISY_E10value_typeET2_T3_PNSZ_IS14_E10value_typeET4_jRbjT5_S1A_jjP12ihipStream_tbEUljE_EEESV_SW_SX_S14_S18_S1A_T6_T7_T9_mT8_S1C_bDpT10_ENKUlT_T0_E_clISt17integral_constantIbLb1EES1O_IbLb0EEEEDaS1K_S1L_EUlS1K_E_NS1_11comp_targetILNS1_3genE4ELNS1_11target_archE910ELNS1_3gpuE8ELNS1_3repE0EEENS1_30default_config_static_selectorELNS0_4arch9wavefront6targetE0EEEvSY_
    .private_segment_fixed_size: 0
    .sgpr_count:     0
    .sgpr_spill_count: 0
    .symbol:         _ZN7rocprim17ROCPRIM_400000_NS6detail17trampoline_kernelINS0_13select_configILj256ELj13ELNS0_17block_load_methodE3ELS4_3ELS4_3ELNS0_20block_scan_algorithmE0ELj4294967295EEENS1_25partition_config_selectorILNS1_17partition_subalgoE3EjNS0_10empty_typeEbEEZZNS1_14partition_implILS8_3ELb0ES6_jNS0_17counting_iteratorIjlEEPS9_SE_NS0_5tupleIJPjSE_EEENSF_IJSE_SE_EEES9_SG_JZNS1_25segmented_radix_sort_implINS0_14default_configELb1EPKhPhPKlPlN2at6native12_GLOBAL__N_18offset_tEEE10hipError_tPvRmT1_PNSt15iterator_traitsISY_E10value_typeET2_T3_PNSZ_IS14_E10value_typeET4_jRbjT5_S1A_jjP12ihipStream_tbEUljE_EEESV_SW_SX_S14_S18_S1A_T6_T7_T9_mT8_S1C_bDpT10_ENKUlT_T0_E_clISt17integral_constantIbLb1EES1O_IbLb0EEEEDaS1K_S1L_EUlS1K_E_NS1_11comp_targetILNS1_3genE4ELNS1_11target_archE910ELNS1_3gpuE8ELNS1_3repE0EEENS1_30default_config_static_selectorELNS0_4arch9wavefront6targetE0EEEvSY_.kd
    .uniform_work_group_size: 1
    .uses_dynamic_stack: false
    .vgpr_count:     0
    .vgpr_spill_count: 0
    .wavefront_size: 32
    .workgroup_processor_mode: 1
  - .args:
      - .offset:         0
        .size:           144
        .value_kind:     by_value
    .group_segment_fixed_size: 0
    .kernarg_segment_align: 8
    .kernarg_segment_size: 144
    .language:       OpenCL C
    .language_version:
      - 2
      - 0
    .max_flat_workgroup_size: 256
    .name:           _ZN7rocprim17ROCPRIM_400000_NS6detail17trampoline_kernelINS0_13select_configILj256ELj13ELNS0_17block_load_methodE3ELS4_3ELS4_3ELNS0_20block_scan_algorithmE0ELj4294967295EEENS1_25partition_config_selectorILNS1_17partition_subalgoE3EjNS0_10empty_typeEbEEZZNS1_14partition_implILS8_3ELb0ES6_jNS0_17counting_iteratorIjlEEPS9_SE_NS0_5tupleIJPjSE_EEENSF_IJSE_SE_EEES9_SG_JZNS1_25segmented_radix_sort_implINS0_14default_configELb1EPKhPhPKlPlN2at6native12_GLOBAL__N_18offset_tEEE10hipError_tPvRmT1_PNSt15iterator_traitsISY_E10value_typeET2_T3_PNSZ_IS14_E10value_typeET4_jRbjT5_S1A_jjP12ihipStream_tbEUljE_EEESV_SW_SX_S14_S18_S1A_T6_T7_T9_mT8_S1C_bDpT10_ENKUlT_T0_E_clISt17integral_constantIbLb1EES1O_IbLb0EEEEDaS1K_S1L_EUlS1K_E_NS1_11comp_targetILNS1_3genE3ELNS1_11target_archE908ELNS1_3gpuE7ELNS1_3repE0EEENS1_30default_config_static_selectorELNS0_4arch9wavefront6targetE0EEEvSY_
    .private_segment_fixed_size: 0
    .sgpr_count:     0
    .sgpr_spill_count: 0
    .symbol:         _ZN7rocprim17ROCPRIM_400000_NS6detail17trampoline_kernelINS0_13select_configILj256ELj13ELNS0_17block_load_methodE3ELS4_3ELS4_3ELNS0_20block_scan_algorithmE0ELj4294967295EEENS1_25partition_config_selectorILNS1_17partition_subalgoE3EjNS0_10empty_typeEbEEZZNS1_14partition_implILS8_3ELb0ES6_jNS0_17counting_iteratorIjlEEPS9_SE_NS0_5tupleIJPjSE_EEENSF_IJSE_SE_EEES9_SG_JZNS1_25segmented_radix_sort_implINS0_14default_configELb1EPKhPhPKlPlN2at6native12_GLOBAL__N_18offset_tEEE10hipError_tPvRmT1_PNSt15iterator_traitsISY_E10value_typeET2_T3_PNSZ_IS14_E10value_typeET4_jRbjT5_S1A_jjP12ihipStream_tbEUljE_EEESV_SW_SX_S14_S18_S1A_T6_T7_T9_mT8_S1C_bDpT10_ENKUlT_T0_E_clISt17integral_constantIbLb1EES1O_IbLb0EEEEDaS1K_S1L_EUlS1K_E_NS1_11comp_targetILNS1_3genE3ELNS1_11target_archE908ELNS1_3gpuE7ELNS1_3repE0EEENS1_30default_config_static_selectorELNS0_4arch9wavefront6targetE0EEEvSY_.kd
    .uniform_work_group_size: 1
    .uses_dynamic_stack: false
    .vgpr_count:     0
    .vgpr_spill_count: 0
    .wavefront_size: 32
    .workgroup_processor_mode: 1
  - .args:
      - .offset:         0
        .size:           144
        .value_kind:     by_value
    .group_segment_fixed_size: 0
    .kernarg_segment_align: 8
    .kernarg_segment_size: 144
    .language:       OpenCL C
    .language_version:
      - 2
      - 0
    .max_flat_workgroup_size: 256
    .name:           _ZN7rocprim17ROCPRIM_400000_NS6detail17trampoline_kernelINS0_13select_configILj256ELj13ELNS0_17block_load_methodE3ELS4_3ELS4_3ELNS0_20block_scan_algorithmE0ELj4294967295EEENS1_25partition_config_selectorILNS1_17partition_subalgoE3EjNS0_10empty_typeEbEEZZNS1_14partition_implILS8_3ELb0ES6_jNS0_17counting_iteratorIjlEEPS9_SE_NS0_5tupleIJPjSE_EEENSF_IJSE_SE_EEES9_SG_JZNS1_25segmented_radix_sort_implINS0_14default_configELb1EPKhPhPKlPlN2at6native12_GLOBAL__N_18offset_tEEE10hipError_tPvRmT1_PNSt15iterator_traitsISY_E10value_typeET2_T3_PNSZ_IS14_E10value_typeET4_jRbjT5_S1A_jjP12ihipStream_tbEUljE_EEESV_SW_SX_S14_S18_S1A_T6_T7_T9_mT8_S1C_bDpT10_ENKUlT_T0_E_clISt17integral_constantIbLb1EES1O_IbLb0EEEEDaS1K_S1L_EUlS1K_E_NS1_11comp_targetILNS1_3genE2ELNS1_11target_archE906ELNS1_3gpuE6ELNS1_3repE0EEENS1_30default_config_static_selectorELNS0_4arch9wavefront6targetE0EEEvSY_
    .private_segment_fixed_size: 0
    .sgpr_count:     0
    .sgpr_spill_count: 0
    .symbol:         _ZN7rocprim17ROCPRIM_400000_NS6detail17trampoline_kernelINS0_13select_configILj256ELj13ELNS0_17block_load_methodE3ELS4_3ELS4_3ELNS0_20block_scan_algorithmE0ELj4294967295EEENS1_25partition_config_selectorILNS1_17partition_subalgoE3EjNS0_10empty_typeEbEEZZNS1_14partition_implILS8_3ELb0ES6_jNS0_17counting_iteratorIjlEEPS9_SE_NS0_5tupleIJPjSE_EEENSF_IJSE_SE_EEES9_SG_JZNS1_25segmented_radix_sort_implINS0_14default_configELb1EPKhPhPKlPlN2at6native12_GLOBAL__N_18offset_tEEE10hipError_tPvRmT1_PNSt15iterator_traitsISY_E10value_typeET2_T3_PNSZ_IS14_E10value_typeET4_jRbjT5_S1A_jjP12ihipStream_tbEUljE_EEESV_SW_SX_S14_S18_S1A_T6_T7_T9_mT8_S1C_bDpT10_ENKUlT_T0_E_clISt17integral_constantIbLb1EES1O_IbLb0EEEEDaS1K_S1L_EUlS1K_E_NS1_11comp_targetILNS1_3genE2ELNS1_11target_archE906ELNS1_3gpuE6ELNS1_3repE0EEENS1_30default_config_static_selectorELNS0_4arch9wavefront6targetE0EEEvSY_.kd
    .uniform_work_group_size: 1
    .uses_dynamic_stack: false
    .vgpr_count:     0
    .vgpr_spill_count: 0
    .wavefront_size: 32
    .workgroup_processor_mode: 1
  - .args:
      - .offset:         0
        .size:           144
        .value_kind:     by_value
    .group_segment_fixed_size: 0
    .kernarg_segment_align: 8
    .kernarg_segment_size: 144
    .language:       OpenCL C
    .language_version:
      - 2
      - 0
    .max_flat_workgroup_size: 256
    .name:           _ZN7rocprim17ROCPRIM_400000_NS6detail17trampoline_kernelINS0_13select_configILj256ELj13ELNS0_17block_load_methodE3ELS4_3ELS4_3ELNS0_20block_scan_algorithmE0ELj4294967295EEENS1_25partition_config_selectorILNS1_17partition_subalgoE3EjNS0_10empty_typeEbEEZZNS1_14partition_implILS8_3ELb0ES6_jNS0_17counting_iteratorIjlEEPS9_SE_NS0_5tupleIJPjSE_EEENSF_IJSE_SE_EEES9_SG_JZNS1_25segmented_radix_sort_implINS0_14default_configELb1EPKhPhPKlPlN2at6native12_GLOBAL__N_18offset_tEEE10hipError_tPvRmT1_PNSt15iterator_traitsISY_E10value_typeET2_T3_PNSZ_IS14_E10value_typeET4_jRbjT5_S1A_jjP12ihipStream_tbEUljE_EEESV_SW_SX_S14_S18_S1A_T6_T7_T9_mT8_S1C_bDpT10_ENKUlT_T0_E_clISt17integral_constantIbLb1EES1O_IbLb0EEEEDaS1K_S1L_EUlS1K_E_NS1_11comp_targetILNS1_3genE10ELNS1_11target_archE1200ELNS1_3gpuE4ELNS1_3repE0EEENS1_30default_config_static_selectorELNS0_4arch9wavefront6targetE0EEEvSY_
    .private_segment_fixed_size: 0
    .sgpr_count:     0
    .sgpr_spill_count: 0
    .symbol:         _ZN7rocprim17ROCPRIM_400000_NS6detail17trampoline_kernelINS0_13select_configILj256ELj13ELNS0_17block_load_methodE3ELS4_3ELS4_3ELNS0_20block_scan_algorithmE0ELj4294967295EEENS1_25partition_config_selectorILNS1_17partition_subalgoE3EjNS0_10empty_typeEbEEZZNS1_14partition_implILS8_3ELb0ES6_jNS0_17counting_iteratorIjlEEPS9_SE_NS0_5tupleIJPjSE_EEENSF_IJSE_SE_EEES9_SG_JZNS1_25segmented_radix_sort_implINS0_14default_configELb1EPKhPhPKlPlN2at6native12_GLOBAL__N_18offset_tEEE10hipError_tPvRmT1_PNSt15iterator_traitsISY_E10value_typeET2_T3_PNSZ_IS14_E10value_typeET4_jRbjT5_S1A_jjP12ihipStream_tbEUljE_EEESV_SW_SX_S14_S18_S1A_T6_T7_T9_mT8_S1C_bDpT10_ENKUlT_T0_E_clISt17integral_constantIbLb1EES1O_IbLb0EEEEDaS1K_S1L_EUlS1K_E_NS1_11comp_targetILNS1_3genE10ELNS1_11target_archE1200ELNS1_3gpuE4ELNS1_3repE0EEENS1_30default_config_static_selectorELNS0_4arch9wavefront6targetE0EEEvSY_.kd
    .uniform_work_group_size: 1
    .uses_dynamic_stack: false
    .vgpr_count:     0
    .vgpr_spill_count: 0
    .wavefront_size: 32
    .workgroup_processor_mode: 1
  - .args:
      - .offset:         0
        .size:           144
        .value_kind:     by_value
    .group_segment_fixed_size: 13324
    .kernarg_segment_align: 8
    .kernarg_segment_size: 144
    .language:       OpenCL C
    .language_version:
      - 2
      - 0
    .max_flat_workgroup_size: 256
    .name:           _ZN7rocprim17ROCPRIM_400000_NS6detail17trampoline_kernelINS0_13select_configILj256ELj13ELNS0_17block_load_methodE3ELS4_3ELS4_3ELNS0_20block_scan_algorithmE0ELj4294967295EEENS1_25partition_config_selectorILNS1_17partition_subalgoE3EjNS0_10empty_typeEbEEZZNS1_14partition_implILS8_3ELb0ES6_jNS0_17counting_iteratorIjlEEPS9_SE_NS0_5tupleIJPjSE_EEENSF_IJSE_SE_EEES9_SG_JZNS1_25segmented_radix_sort_implINS0_14default_configELb1EPKhPhPKlPlN2at6native12_GLOBAL__N_18offset_tEEE10hipError_tPvRmT1_PNSt15iterator_traitsISY_E10value_typeET2_T3_PNSZ_IS14_E10value_typeET4_jRbjT5_S1A_jjP12ihipStream_tbEUljE_EEESV_SW_SX_S14_S18_S1A_T6_T7_T9_mT8_S1C_bDpT10_ENKUlT_T0_E_clISt17integral_constantIbLb1EES1O_IbLb0EEEEDaS1K_S1L_EUlS1K_E_NS1_11comp_targetILNS1_3genE9ELNS1_11target_archE1100ELNS1_3gpuE3ELNS1_3repE0EEENS1_30default_config_static_selectorELNS0_4arch9wavefront6targetE0EEEvSY_
    .private_segment_fixed_size: 0
    .sgpr_count:     30
    .sgpr_spill_count: 0
    .symbol:         _ZN7rocprim17ROCPRIM_400000_NS6detail17trampoline_kernelINS0_13select_configILj256ELj13ELNS0_17block_load_methodE3ELS4_3ELS4_3ELNS0_20block_scan_algorithmE0ELj4294967295EEENS1_25partition_config_selectorILNS1_17partition_subalgoE3EjNS0_10empty_typeEbEEZZNS1_14partition_implILS8_3ELb0ES6_jNS0_17counting_iteratorIjlEEPS9_SE_NS0_5tupleIJPjSE_EEENSF_IJSE_SE_EEES9_SG_JZNS1_25segmented_radix_sort_implINS0_14default_configELb1EPKhPhPKlPlN2at6native12_GLOBAL__N_18offset_tEEE10hipError_tPvRmT1_PNSt15iterator_traitsISY_E10value_typeET2_T3_PNSZ_IS14_E10value_typeET4_jRbjT5_S1A_jjP12ihipStream_tbEUljE_EEESV_SW_SX_S14_S18_S1A_T6_T7_T9_mT8_S1C_bDpT10_ENKUlT_T0_E_clISt17integral_constantIbLb1EES1O_IbLb0EEEEDaS1K_S1L_EUlS1K_E_NS1_11comp_targetILNS1_3genE9ELNS1_11target_archE1100ELNS1_3gpuE3ELNS1_3repE0EEENS1_30default_config_static_selectorELNS0_4arch9wavefront6targetE0EEEvSY_.kd
    .uniform_work_group_size: 1
    .uses_dynamic_stack: false
    .vgpr_count:     57
    .vgpr_spill_count: 0
    .wavefront_size: 32
    .workgroup_processor_mode: 1
  - .args:
      - .offset:         0
        .size:           144
        .value_kind:     by_value
    .group_segment_fixed_size: 0
    .kernarg_segment_align: 8
    .kernarg_segment_size: 144
    .language:       OpenCL C
    .language_version:
      - 2
      - 0
    .max_flat_workgroup_size: 256
    .name:           _ZN7rocprim17ROCPRIM_400000_NS6detail17trampoline_kernelINS0_13select_configILj256ELj13ELNS0_17block_load_methodE3ELS4_3ELS4_3ELNS0_20block_scan_algorithmE0ELj4294967295EEENS1_25partition_config_selectorILNS1_17partition_subalgoE3EjNS0_10empty_typeEbEEZZNS1_14partition_implILS8_3ELb0ES6_jNS0_17counting_iteratorIjlEEPS9_SE_NS0_5tupleIJPjSE_EEENSF_IJSE_SE_EEES9_SG_JZNS1_25segmented_radix_sort_implINS0_14default_configELb1EPKhPhPKlPlN2at6native12_GLOBAL__N_18offset_tEEE10hipError_tPvRmT1_PNSt15iterator_traitsISY_E10value_typeET2_T3_PNSZ_IS14_E10value_typeET4_jRbjT5_S1A_jjP12ihipStream_tbEUljE_EEESV_SW_SX_S14_S18_S1A_T6_T7_T9_mT8_S1C_bDpT10_ENKUlT_T0_E_clISt17integral_constantIbLb1EES1O_IbLb0EEEEDaS1K_S1L_EUlS1K_E_NS1_11comp_targetILNS1_3genE8ELNS1_11target_archE1030ELNS1_3gpuE2ELNS1_3repE0EEENS1_30default_config_static_selectorELNS0_4arch9wavefront6targetE0EEEvSY_
    .private_segment_fixed_size: 0
    .sgpr_count:     0
    .sgpr_spill_count: 0
    .symbol:         _ZN7rocprim17ROCPRIM_400000_NS6detail17trampoline_kernelINS0_13select_configILj256ELj13ELNS0_17block_load_methodE3ELS4_3ELS4_3ELNS0_20block_scan_algorithmE0ELj4294967295EEENS1_25partition_config_selectorILNS1_17partition_subalgoE3EjNS0_10empty_typeEbEEZZNS1_14partition_implILS8_3ELb0ES6_jNS0_17counting_iteratorIjlEEPS9_SE_NS0_5tupleIJPjSE_EEENSF_IJSE_SE_EEES9_SG_JZNS1_25segmented_radix_sort_implINS0_14default_configELb1EPKhPhPKlPlN2at6native12_GLOBAL__N_18offset_tEEE10hipError_tPvRmT1_PNSt15iterator_traitsISY_E10value_typeET2_T3_PNSZ_IS14_E10value_typeET4_jRbjT5_S1A_jjP12ihipStream_tbEUljE_EEESV_SW_SX_S14_S18_S1A_T6_T7_T9_mT8_S1C_bDpT10_ENKUlT_T0_E_clISt17integral_constantIbLb1EES1O_IbLb0EEEEDaS1K_S1L_EUlS1K_E_NS1_11comp_targetILNS1_3genE8ELNS1_11target_archE1030ELNS1_3gpuE2ELNS1_3repE0EEENS1_30default_config_static_selectorELNS0_4arch9wavefront6targetE0EEEvSY_.kd
    .uniform_work_group_size: 1
    .uses_dynamic_stack: false
    .vgpr_count:     0
    .vgpr_spill_count: 0
    .wavefront_size: 32
    .workgroup_processor_mode: 1
  - .args:
      - .address_space:  global
        .offset:         0
        .size:           8
        .value_kind:     global_buffer
      - .offset:         8
        .size:           4
        .value_kind:     by_value
      - .address_space:  global
        .offset:         16
        .size:           8
        .value_kind:     global_buffer
      - .offset:         24
        .size:           4
        .value_kind:     by_value
      - .address_space:  global
        .offset:         32
        .size:           8
        .value_kind:     global_buffer
      - .offset:         40
        .size:           4
        .value_kind:     hidden_block_count_x
      - .offset:         44
        .size:           4
        .value_kind:     hidden_block_count_y
      - .offset:         48
        .size:           4
        .value_kind:     hidden_block_count_z
      - .offset:         52
        .size:           2
        .value_kind:     hidden_group_size_x
      - .offset:         54
        .size:           2
        .value_kind:     hidden_group_size_y
      - .offset:         56
        .size:           2
        .value_kind:     hidden_group_size_z
      - .offset:         58
        .size:           2
        .value_kind:     hidden_remainder_x
      - .offset:         60
        .size:           2
        .value_kind:     hidden_remainder_y
      - .offset:         62
        .size:           2
        .value_kind:     hidden_remainder_z
      - .offset:         80
        .size:           8
        .value_kind:     hidden_global_offset_x
      - .offset:         88
        .size:           8
        .value_kind:     hidden_global_offset_y
      - .offset:         96
        .size:           8
        .value_kind:     hidden_global_offset_z
      - .offset:         104
        .size:           2
        .value_kind:     hidden_grid_dims
    .group_segment_fixed_size: 0
    .kernarg_segment_align: 8
    .kernarg_segment_size: 296
    .language:       OpenCL C
    .language_version:
      - 2
      - 0
    .max_flat_workgroup_size: 256
    .name:           _ZN7rocprim17ROCPRIM_400000_NS6detail31init_lookback_scan_state_kernelINS1_19lookback_scan_stateIjLb0ELb1EEENS1_16block_id_wrapperIjLb1EEEEEvT_jT0_jPNS7_10value_typeE
    .private_segment_fixed_size: 0
    .sgpr_count:     18
    .sgpr_spill_count: 0
    .symbol:         _ZN7rocprim17ROCPRIM_400000_NS6detail31init_lookback_scan_state_kernelINS1_19lookback_scan_stateIjLb0ELb1EEENS1_16block_id_wrapperIjLb1EEEEEvT_jT0_jPNS7_10value_typeE.kd
    .uniform_work_group_size: 1
    .uses_dynamic_stack: false
    .vgpr_count:     6
    .vgpr_spill_count: 0
    .wavefront_size: 32
    .workgroup_processor_mode: 1
  - .args:
      - .offset:         0
        .size:           152
        .value_kind:     by_value
    .group_segment_fixed_size: 0
    .kernarg_segment_align: 8
    .kernarg_segment_size: 152
    .language:       OpenCL C
    .language_version:
      - 2
      - 0
    .max_flat_workgroup_size: 256
    .name:           _ZN7rocprim17ROCPRIM_400000_NS6detail17trampoline_kernelINS0_13select_configILj256ELj13ELNS0_17block_load_methodE3ELS4_3ELS4_3ELNS0_20block_scan_algorithmE0ELj4294967295EEENS1_25partition_config_selectorILNS1_17partition_subalgoE3EjNS0_10empty_typeEbEEZZNS1_14partition_implILS8_3ELb0ES6_jNS0_17counting_iteratorIjlEEPS9_SE_NS0_5tupleIJPjSE_EEENSF_IJSE_SE_EEES9_SG_JZNS1_25segmented_radix_sort_implINS0_14default_configELb1EPKhPhPKlPlN2at6native12_GLOBAL__N_18offset_tEEE10hipError_tPvRmT1_PNSt15iterator_traitsISY_E10value_typeET2_T3_PNSZ_IS14_E10value_typeET4_jRbjT5_S1A_jjP12ihipStream_tbEUljE_EEESV_SW_SX_S14_S18_S1A_T6_T7_T9_mT8_S1C_bDpT10_ENKUlT_T0_E_clISt17integral_constantIbLb0EES1O_IbLb1EEEEDaS1K_S1L_EUlS1K_E_NS1_11comp_targetILNS1_3genE0ELNS1_11target_archE4294967295ELNS1_3gpuE0ELNS1_3repE0EEENS1_30default_config_static_selectorELNS0_4arch9wavefront6targetE0EEEvSY_
    .private_segment_fixed_size: 0
    .sgpr_count:     0
    .sgpr_spill_count: 0
    .symbol:         _ZN7rocprim17ROCPRIM_400000_NS6detail17trampoline_kernelINS0_13select_configILj256ELj13ELNS0_17block_load_methodE3ELS4_3ELS4_3ELNS0_20block_scan_algorithmE0ELj4294967295EEENS1_25partition_config_selectorILNS1_17partition_subalgoE3EjNS0_10empty_typeEbEEZZNS1_14partition_implILS8_3ELb0ES6_jNS0_17counting_iteratorIjlEEPS9_SE_NS0_5tupleIJPjSE_EEENSF_IJSE_SE_EEES9_SG_JZNS1_25segmented_radix_sort_implINS0_14default_configELb1EPKhPhPKlPlN2at6native12_GLOBAL__N_18offset_tEEE10hipError_tPvRmT1_PNSt15iterator_traitsISY_E10value_typeET2_T3_PNSZ_IS14_E10value_typeET4_jRbjT5_S1A_jjP12ihipStream_tbEUljE_EEESV_SW_SX_S14_S18_S1A_T6_T7_T9_mT8_S1C_bDpT10_ENKUlT_T0_E_clISt17integral_constantIbLb0EES1O_IbLb1EEEEDaS1K_S1L_EUlS1K_E_NS1_11comp_targetILNS1_3genE0ELNS1_11target_archE4294967295ELNS1_3gpuE0ELNS1_3repE0EEENS1_30default_config_static_selectorELNS0_4arch9wavefront6targetE0EEEvSY_.kd
    .uniform_work_group_size: 1
    .uses_dynamic_stack: false
    .vgpr_count:     0
    .vgpr_spill_count: 0
    .wavefront_size: 32
    .workgroup_processor_mode: 1
  - .args:
      - .offset:         0
        .size:           152
        .value_kind:     by_value
    .group_segment_fixed_size: 0
    .kernarg_segment_align: 8
    .kernarg_segment_size: 152
    .language:       OpenCL C
    .language_version:
      - 2
      - 0
    .max_flat_workgroup_size: 256
    .name:           _ZN7rocprim17ROCPRIM_400000_NS6detail17trampoline_kernelINS0_13select_configILj256ELj13ELNS0_17block_load_methodE3ELS4_3ELS4_3ELNS0_20block_scan_algorithmE0ELj4294967295EEENS1_25partition_config_selectorILNS1_17partition_subalgoE3EjNS0_10empty_typeEbEEZZNS1_14partition_implILS8_3ELb0ES6_jNS0_17counting_iteratorIjlEEPS9_SE_NS0_5tupleIJPjSE_EEENSF_IJSE_SE_EEES9_SG_JZNS1_25segmented_radix_sort_implINS0_14default_configELb1EPKhPhPKlPlN2at6native12_GLOBAL__N_18offset_tEEE10hipError_tPvRmT1_PNSt15iterator_traitsISY_E10value_typeET2_T3_PNSZ_IS14_E10value_typeET4_jRbjT5_S1A_jjP12ihipStream_tbEUljE_EEESV_SW_SX_S14_S18_S1A_T6_T7_T9_mT8_S1C_bDpT10_ENKUlT_T0_E_clISt17integral_constantIbLb0EES1O_IbLb1EEEEDaS1K_S1L_EUlS1K_E_NS1_11comp_targetILNS1_3genE5ELNS1_11target_archE942ELNS1_3gpuE9ELNS1_3repE0EEENS1_30default_config_static_selectorELNS0_4arch9wavefront6targetE0EEEvSY_
    .private_segment_fixed_size: 0
    .sgpr_count:     0
    .sgpr_spill_count: 0
    .symbol:         _ZN7rocprim17ROCPRIM_400000_NS6detail17trampoline_kernelINS0_13select_configILj256ELj13ELNS0_17block_load_methodE3ELS4_3ELS4_3ELNS0_20block_scan_algorithmE0ELj4294967295EEENS1_25partition_config_selectorILNS1_17partition_subalgoE3EjNS0_10empty_typeEbEEZZNS1_14partition_implILS8_3ELb0ES6_jNS0_17counting_iteratorIjlEEPS9_SE_NS0_5tupleIJPjSE_EEENSF_IJSE_SE_EEES9_SG_JZNS1_25segmented_radix_sort_implINS0_14default_configELb1EPKhPhPKlPlN2at6native12_GLOBAL__N_18offset_tEEE10hipError_tPvRmT1_PNSt15iterator_traitsISY_E10value_typeET2_T3_PNSZ_IS14_E10value_typeET4_jRbjT5_S1A_jjP12ihipStream_tbEUljE_EEESV_SW_SX_S14_S18_S1A_T6_T7_T9_mT8_S1C_bDpT10_ENKUlT_T0_E_clISt17integral_constantIbLb0EES1O_IbLb1EEEEDaS1K_S1L_EUlS1K_E_NS1_11comp_targetILNS1_3genE5ELNS1_11target_archE942ELNS1_3gpuE9ELNS1_3repE0EEENS1_30default_config_static_selectorELNS0_4arch9wavefront6targetE0EEEvSY_.kd
    .uniform_work_group_size: 1
    .uses_dynamic_stack: false
    .vgpr_count:     0
    .vgpr_spill_count: 0
    .wavefront_size: 32
    .workgroup_processor_mode: 1
  - .args:
      - .offset:         0
        .size:           152
        .value_kind:     by_value
    .group_segment_fixed_size: 0
    .kernarg_segment_align: 8
    .kernarg_segment_size: 152
    .language:       OpenCL C
    .language_version:
      - 2
      - 0
    .max_flat_workgroup_size: 256
    .name:           _ZN7rocprim17ROCPRIM_400000_NS6detail17trampoline_kernelINS0_13select_configILj256ELj13ELNS0_17block_load_methodE3ELS4_3ELS4_3ELNS0_20block_scan_algorithmE0ELj4294967295EEENS1_25partition_config_selectorILNS1_17partition_subalgoE3EjNS0_10empty_typeEbEEZZNS1_14partition_implILS8_3ELb0ES6_jNS0_17counting_iteratorIjlEEPS9_SE_NS0_5tupleIJPjSE_EEENSF_IJSE_SE_EEES9_SG_JZNS1_25segmented_radix_sort_implINS0_14default_configELb1EPKhPhPKlPlN2at6native12_GLOBAL__N_18offset_tEEE10hipError_tPvRmT1_PNSt15iterator_traitsISY_E10value_typeET2_T3_PNSZ_IS14_E10value_typeET4_jRbjT5_S1A_jjP12ihipStream_tbEUljE_EEESV_SW_SX_S14_S18_S1A_T6_T7_T9_mT8_S1C_bDpT10_ENKUlT_T0_E_clISt17integral_constantIbLb0EES1O_IbLb1EEEEDaS1K_S1L_EUlS1K_E_NS1_11comp_targetILNS1_3genE4ELNS1_11target_archE910ELNS1_3gpuE8ELNS1_3repE0EEENS1_30default_config_static_selectorELNS0_4arch9wavefront6targetE0EEEvSY_
    .private_segment_fixed_size: 0
    .sgpr_count:     0
    .sgpr_spill_count: 0
    .symbol:         _ZN7rocprim17ROCPRIM_400000_NS6detail17trampoline_kernelINS0_13select_configILj256ELj13ELNS0_17block_load_methodE3ELS4_3ELS4_3ELNS0_20block_scan_algorithmE0ELj4294967295EEENS1_25partition_config_selectorILNS1_17partition_subalgoE3EjNS0_10empty_typeEbEEZZNS1_14partition_implILS8_3ELb0ES6_jNS0_17counting_iteratorIjlEEPS9_SE_NS0_5tupleIJPjSE_EEENSF_IJSE_SE_EEES9_SG_JZNS1_25segmented_radix_sort_implINS0_14default_configELb1EPKhPhPKlPlN2at6native12_GLOBAL__N_18offset_tEEE10hipError_tPvRmT1_PNSt15iterator_traitsISY_E10value_typeET2_T3_PNSZ_IS14_E10value_typeET4_jRbjT5_S1A_jjP12ihipStream_tbEUljE_EEESV_SW_SX_S14_S18_S1A_T6_T7_T9_mT8_S1C_bDpT10_ENKUlT_T0_E_clISt17integral_constantIbLb0EES1O_IbLb1EEEEDaS1K_S1L_EUlS1K_E_NS1_11comp_targetILNS1_3genE4ELNS1_11target_archE910ELNS1_3gpuE8ELNS1_3repE0EEENS1_30default_config_static_selectorELNS0_4arch9wavefront6targetE0EEEvSY_.kd
    .uniform_work_group_size: 1
    .uses_dynamic_stack: false
    .vgpr_count:     0
    .vgpr_spill_count: 0
    .wavefront_size: 32
    .workgroup_processor_mode: 1
  - .args:
      - .offset:         0
        .size:           152
        .value_kind:     by_value
    .group_segment_fixed_size: 0
    .kernarg_segment_align: 8
    .kernarg_segment_size: 152
    .language:       OpenCL C
    .language_version:
      - 2
      - 0
    .max_flat_workgroup_size: 256
    .name:           _ZN7rocprim17ROCPRIM_400000_NS6detail17trampoline_kernelINS0_13select_configILj256ELj13ELNS0_17block_load_methodE3ELS4_3ELS4_3ELNS0_20block_scan_algorithmE0ELj4294967295EEENS1_25partition_config_selectorILNS1_17partition_subalgoE3EjNS0_10empty_typeEbEEZZNS1_14partition_implILS8_3ELb0ES6_jNS0_17counting_iteratorIjlEEPS9_SE_NS0_5tupleIJPjSE_EEENSF_IJSE_SE_EEES9_SG_JZNS1_25segmented_radix_sort_implINS0_14default_configELb1EPKhPhPKlPlN2at6native12_GLOBAL__N_18offset_tEEE10hipError_tPvRmT1_PNSt15iterator_traitsISY_E10value_typeET2_T3_PNSZ_IS14_E10value_typeET4_jRbjT5_S1A_jjP12ihipStream_tbEUljE_EEESV_SW_SX_S14_S18_S1A_T6_T7_T9_mT8_S1C_bDpT10_ENKUlT_T0_E_clISt17integral_constantIbLb0EES1O_IbLb1EEEEDaS1K_S1L_EUlS1K_E_NS1_11comp_targetILNS1_3genE3ELNS1_11target_archE908ELNS1_3gpuE7ELNS1_3repE0EEENS1_30default_config_static_selectorELNS0_4arch9wavefront6targetE0EEEvSY_
    .private_segment_fixed_size: 0
    .sgpr_count:     0
    .sgpr_spill_count: 0
    .symbol:         _ZN7rocprim17ROCPRIM_400000_NS6detail17trampoline_kernelINS0_13select_configILj256ELj13ELNS0_17block_load_methodE3ELS4_3ELS4_3ELNS0_20block_scan_algorithmE0ELj4294967295EEENS1_25partition_config_selectorILNS1_17partition_subalgoE3EjNS0_10empty_typeEbEEZZNS1_14partition_implILS8_3ELb0ES6_jNS0_17counting_iteratorIjlEEPS9_SE_NS0_5tupleIJPjSE_EEENSF_IJSE_SE_EEES9_SG_JZNS1_25segmented_radix_sort_implINS0_14default_configELb1EPKhPhPKlPlN2at6native12_GLOBAL__N_18offset_tEEE10hipError_tPvRmT1_PNSt15iterator_traitsISY_E10value_typeET2_T3_PNSZ_IS14_E10value_typeET4_jRbjT5_S1A_jjP12ihipStream_tbEUljE_EEESV_SW_SX_S14_S18_S1A_T6_T7_T9_mT8_S1C_bDpT10_ENKUlT_T0_E_clISt17integral_constantIbLb0EES1O_IbLb1EEEEDaS1K_S1L_EUlS1K_E_NS1_11comp_targetILNS1_3genE3ELNS1_11target_archE908ELNS1_3gpuE7ELNS1_3repE0EEENS1_30default_config_static_selectorELNS0_4arch9wavefront6targetE0EEEvSY_.kd
    .uniform_work_group_size: 1
    .uses_dynamic_stack: false
    .vgpr_count:     0
    .vgpr_spill_count: 0
    .wavefront_size: 32
    .workgroup_processor_mode: 1
  - .args:
      - .offset:         0
        .size:           152
        .value_kind:     by_value
    .group_segment_fixed_size: 0
    .kernarg_segment_align: 8
    .kernarg_segment_size: 152
    .language:       OpenCL C
    .language_version:
      - 2
      - 0
    .max_flat_workgroup_size: 256
    .name:           _ZN7rocprim17ROCPRIM_400000_NS6detail17trampoline_kernelINS0_13select_configILj256ELj13ELNS0_17block_load_methodE3ELS4_3ELS4_3ELNS0_20block_scan_algorithmE0ELj4294967295EEENS1_25partition_config_selectorILNS1_17partition_subalgoE3EjNS0_10empty_typeEbEEZZNS1_14partition_implILS8_3ELb0ES6_jNS0_17counting_iteratorIjlEEPS9_SE_NS0_5tupleIJPjSE_EEENSF_IJSE_SE_EEES9_SG_JZNS1_25segmented_radix_sort_implINS0_14default_configELb1EPKhPhPKlPlN2at6native12_GLOBAL__N_18offset_tEEE10hipError_tPvRmT1_PNSt15iterator_traitsISY_E10value_typeET2_T3_PNSZ_IS14_E10value_typeET4_jRbjT5_S1A_jjP12ihipStream_tbEUljE_EEESV_SW_SX_S14_S18_S1A_T6_T7_T9_mT8_S1C_bDpT10_ENKUlT_T0_E_clISt17integral_constantIbLb0EES1O_IbLb1EEEEDaS1K_S1L_EUlS1K_E_NS1_11comp_targetILNS1_3genE2ELNS1_11target_archE906ELNS1_3gpuE6ELNS1_3repE0EEENS1_30default_config_static_selectorELNS0_4arch9wavefront6targetE0EEEvSY_
    .private_segment_fixed_size: 0
    .sgpr_count:     0
    .sgpr_spill_count: 0
    .symbol:         _ZN7rocprim17ROCPRIM_400000_NS6detail17trampoline_kernelINS0_13select_configILj256ELj13ELNS0_17block_load_methodE3ELS4_3ELS4_3ELNS0_20block_scan_algorithmE0ELj4294967295EEENS1_25partition_config_selectorILNS1_17partition_subalgoE3EjNS0_10empty_typeEbEEZZNS1_14partition_implILS8_3ELb0ES6_jNS0_17counting_iteratorIjlEEPS9_SE_NS0_5tupleIJPjSE_EEENSF_IJSE_SE_EEES9_SG_JZNS1_25segmented_radix_sort_implINS0_14default_configELb1EPKhPhPKlPlN2at6native12_GLOBAL__N_18offset_tEEE10hipError_tPvRmT1_PNSt15iterator_traitsISY_E10value_typeET2_T3_PNSZ_IS14_E10value_typeET4_jRbjT5_S1A_jjP12ihipStream_tbEUljE_EEESV_SW_SX_S14_S18_S1A_T6_T7_T9_mT8_S1C_bDpT10_ENKUlT_T0_E_clISt17integral_constantIbLb0EES1O_IbLb1EEEEDaS1K_S1L_EUlS1K_E_NS1_11comp_targetILNS1_3genE2ELNS1_11target_archE906ELNS1_3gpuE6ELNS1_3repE0EEENS1_30default_config_static_selectorELNS0_4arch9wavefront6targetE0EEEvSY_.kd
    .uniform_work_group_size: 1
    .uses_dynamic_stack: false
    .vgpr_count:     0
    .vgpr_spill_count: 0
    .wavefront_size: 32
    .workgroup_processor_mode: 1
  - .args:
      - .offset:         0
        .size:           152
        .value_kind:     by_value
    .group_segment_fixed_size: 0
    .kernarg_segment_align: 8
    .kernarg_segment_size: 152
    .language:       OpenCL C
    .language_version:
      - 2
      - 0
    .max_flat_workgroup_size: 256
    .name:           _ZN7rocprim17ROCPRIM_400000_NS6detail17trampoline_kernelINS0_13select_configILj256ELj13ELNS0_17block_load_methodE3ELS4_3ELS4_3ELNS0_20block_scan_algorithmE0ELj4294967295EEENS1_25partition_config_selectorILNS1_17partition_subalgoE3EjNS0_10empty_typeEbEEZZNS1_14partition_implILS8_3ELb0ES6_jNS0_17counting_iteratorIjlEEPS9_SE_NS0_5tupleIJPjSE_EEENSF_IJSE_SE_EEES9_SG_JZNS1_25segmented_radix_sort_implINS0_14default_configELb1EPKhPhPKlPlN2at6native12_GLOBAL__N_18offset_tEEE10hipError_tPvRmT1_PNSt15iterator_traitsISY_E10value_typeET2_T3_PNSZ_IS14_E10value_typeET4_jRbjT5_S1A_jjP12ihipStream_tbEUljE_EEESV_SW_SX_S14_S18_S1A_T6_T7_T9_mT8_S1C_bDpT10_ENKUlT_T0_E_clISt17integral_constantIbLb0EES1O_IbLb1EEEEDaS1K_S1L_EUlS1K_E_NS1_11comp_targetILNS1_3genE10ELNS1_11target_archE1200ELNS1_3gpuE4ELNS1_3repE0EEENS1_30default_config_static_selectorELNS0_4arch9wavefront6targetE0EEEvSY_
    .private_segment_fixed_size: 0
    .sgpr_count:     0
    .sgpr_spill_count: 0
    .symbol:         _ZN7rocprim17ROCPRIM_400000_NS6detail17trampoline_kernelINS0_13select_configILj256ELj13ELNS0_17block_load_methodE3ELS4_3ELS4_3ELNS0_20block_scan_algorithmE0ELj4294967295EEENS1_25partition_config_selectorILNS1_17partition_subalgoE3EjNS0_10empty_typeEbEEZZNS1_14partition_implILS8_3ELb0ES6_jNS0_17counting_iteratorIjlEEPS9_SE_NS0_5tupleIJPjSE_EEENSF_IJSE_SE_EEES9_SG_JZNS1_25segmented_radix_sort_implINS0_14default_configELb1EPKhPhPKlPlN2at6native12_GLOBAL__N_18offset_tEEE10hipError_tPvRmT1_PNSt15iterator_traitsISY_E10value_typeET2_T3_PNSZ_IS14_E10value_typeET4_jRbjT5_S1A_jjP12ihipStream_tbEUljE_EEESV_SW_SX_S14_S18_S1A_T6_T7_T9_mT8_S1C_bDpT10_ENKUlT_T0_E_clISt17integral_constantIbLb0EES1O_IbLb1EEEEDaS1K_S1L_EUlS1K_E_NS1_11comp_targetILNS1_3genE10ELNS1_11target_archE1200ELNS1_3gpuE4ELNS1_3repE0EEENS1_30default_config_static_selectorELNS0_4arch9wavefront6targetE0EEEvSY_.kd
    .uniform_work_group_size: 1
    .uses_dynamic_stack: false
    .vgpr_count:     0
    .vgpr_spill_count: 0
    .wavefront_size: 32
    .workgroup_processor_mode: 1
  - .args:
      - .offset:         0
        .size:           152
        .value_kind:     by_value
    .group_segment_fixed_size: 13324
    .kernarg_segment_align: 8
    .kernarg_segment_size: 152
    .language:       OpenCL C
    .language_version:
      - 2
      - 0
    .max_flat_workgroup_size: 256
    .name:           _ZN7rocprim17ROCPRIM_400000_NS6detail17trampoline_kernelINS0_13select_configILj256ELj13ELNS0_17block_load_methodE3ELS4_3ELS4_3ELNS0_20block_scan_algorithmE0ELj4294967295EEENS1_25partition_config_selectorILNS1_17partition_subalgoE3EjNS0_10empty_typeEbEEZZNS1_14partition_implILS8_3ELb0ES6_jNS0_17counting_iteratorIjlEEPS9_SE_NS0_5tupleIJPjSE_EEENSF_IJSE_SE_EEES9_SG_JZNS1_25segmented_radix_sort_implINS0_14default_configELb1EPKhPhPKlPlN2at6native12_GLOBAL__N_18offset_tEEE10hipError_tPvRmT1_PNSt15iterator_traitsISY_E10value_typeET2_T3_PNSZ_IS14_E10value_typeET4_jRbjT5_S1A_jjP12ihipStream_tbEUljE_EEESV_SW_SX_S14_S18_S1A_T6_T7_T9_mT8_S1C_bDpT10_ENKUlT_T0_E_clISt17integral_constantIbLb0EES1O_IbLb1EEEEDaS1K_S1L_EUlS1K_E_NS1_11comp_targetILNS1_3genE9ELNS1_11target_archE1100ELNS1_3gpuE3ELNS1_3repE0EEENS1_30default_config_static_selectorELNS0_4arch9wavefront6targetE0EEEvSY_
    .private_segment_fixed_size: 0
    .sgpr_count:     28
    .sgpr_spill_count: 0
    .symbol:         _ZN7rocprim17ROCPRIM_400000_NS6detail17trampoline_kernelINS0_13select_configILj256ELj13ELNS0_17block_load_methodE3ELS4_3ELS4_3ELNS0_20block_scan_algorithmE0ELj4294967295EEENS1_25partition_config_selectorILNS1_17partition_subalgoE3EjNS0_10empty_typeEbEEZZNS1_14partition_implILS8_3ELb0ES6_jNS0_17counting_iteratorIjlEEPS9_SE_NS0_5tupleIJPjSE_EEENSF_IJSE_SE_EEES9_SG_JZNS1_25segmented_radix_sort_implINS0_14default_configELb1EPKhPhPKlPlN2at6native12_GLOBAL__N_18offset_tEEE10hipError_tPvRmT1_PNSt15iterator_traitsISY_E10value_typeET2_T3_PNSZ_IS14_E10value_typeET4_jRbjT5_S1A_jjP12ihipStream_tbEUljE_EEESV_SW_SX_S14_S18_S1A_T6_T7_T9_mT8_S1C_bDpT10_ENKUlT_T0_E_clISt17integral_constantIbLb0EES1O_IbLb1EEEEDaS1K_S1L_EUlS1K_E_NS1_11comp_targetILNS1_3genE9ELNS1_11target_archE1100ELNS1_3gpuE3ELNS1_3repE0EEENS1_30default_config_static_selectorELNS0_4arch9wavefront6targetE0EEEvSY_.kd
    .uniform_work_group_size: 1
    .uses_dynamic_stack: false
    .vgpr_count:     60
    .vgpr_spill_count: 0
    .wavefront_size: 32
    .workgroup_processor_mode: 1
  - .args:
      - .offset:         0
        .size:           152
        .value_kind:     by_value
    .group_segment_fixed_size: 0
    .kernarg_segment_align: 8
    .kernarg_segment_size: 152
    .language:       OpenCL C
    .language_version:
      - 2
      - 0
    .max_flat_workgroup_size: 256
    .name:           _ZN7rocprim17ROCPRIM_400000_NS6detail17trampoline_kernelINS0_13select_configILj256ELj13ELNS0_17block_load_methodE3ELS4_3ELS4_3ELNS0_20block_scan_algorithmE0ELj4294967295EEENS1_25partition_config_selectorILNS1_17partition_subalgoE3EjNS0_10empty_typeEbEEZZNS1_14partition_implILS8_3ELb0ES6_jNS0_17counting_iteratorIjlEEPS9_SE_NS0_5tupleIJPjSE_EEENSF_IJSE_SE_EEES9_SG_JZNS1_25segmented_radix_sort_implINS0_14default_configELb1EPKhPhPKlPlN2at6native12_GLOBAL__N_18offset_tEEE10hipError_tPvRmT1_PNSt15iterator_traitsISY_E10value_typeET2_T3_PNSZ_IS14_E10value_typeET4_jRbjT5_S1A_jjP12ihipStream_tbEUljE_EEESV_SW_SX_S14_S18_S1A_T6_T7_T9_mT8_S1C_bDpT10_ENKUlT_T0_E_clISt17integral_constantIbLb0EES1O_IbLb1EEEEDaS1K_S1L_EUlS1K_E_NS1_11comp_targetILNS1_3genE8ELNS1_11target_archE1030ELNS1_3gpuE2ELNS1_3repE0EEENS1_30default_config_static_selectorELNS0_4arch9wavefront6targetE0EEEvSY_
    .private_segment_fixed_size: 0
    .sgpr_count:     0
    .sgpr_spill_count: 0
    .symbol:         _ZN7rocprim17ROCPRIM_400000_NS6detail17trampoline_kernelINS0_13select_configILj256ELj13ELNS0_17block_load_methodE3ELS4_3ELS4_3ELNS0_20block_scan_algorithmE0ELj4294967295EEENS1_25partition_config_selectorILNS1_17partition_subalgoE3EjNS0_10empty_typeEbEEZZNS1_14partition_implILS8_3ELb0ES6_jNS0_17counting_iteratorIjlEEPS9_SE_NS0_5tupleIJPjSE_EEENSF_IJSE_SE_EEES9_SG_JZNS1_25segmented_radix_sort_implINS0_14default_configELb1EPKhPhPKlPlN2at6native12_GLOBAL__N_18offset_tEEE10hipError_tPvRmT1_PNSt15iterator_traitsISY_E10value_typeET2_T3_PNSZ_IS14_E10value_typeET4_jRbjT5_S1A_jjP12ihipStream_tbEUljE_EEESV_SW_SX_S14_S18_S1A_T6_T7_T9_mT8_S1C_bDpT10_ENKUlT_T0_E_clISt17integral_constantIbLb0EES1O_IbLb1EEEEDaS1K_S1L_EUlS1K_E_NS1_11comp_targetILNS1_3genE8ELNS1_11target_archE1030ELNS1_3gpuE2ELNS1_3repE0EEENS1_30default_config_static_selectorELNS0_4arch9wavefront6targetE0EEEvSY_.kd
    .uniform_work_group_size: 1
    .uses_dynamic_stack: false
    .vgpr_count:     0
    .vgpr_spill_count: 0
    .wavefront_size: 32
    .workgroup_processor_mode: 1
  - .args:
      - .offset:         0
        .size:           96
        .value_kind:     by_value
    .group_segment_fixed_size: 0
    .kernarg_segment_align: 8
    .kernarg_segment_size: 96
    .language:       OpenCL C
    .language_version:
      - 2
      - 0
    .max_flat_workgroup_size: 256
    .name:           _ZN7rocprim17ROCPRIM_400000_NS6detail17trampoline_kernelINS0_14default_configENS1_36segmented_radix_sort_config_selectorIhlEEZNS1_25segmented_radix_sort_implIS3_Lb1EPKhPhPKlPlN2at6native12_GLOBAL__N_18offset_tEEE10hipError_tPvRmT1_PNSt15iterator_traitsISK_E10value_typeET2_T3_PNSL_ISQ_E10value_typeET4_jRbjT5_SW_jjP12ihipStream_tbEUlT_E_NS1_11comp_targetILNS1_3genE0ELNS1_11target_archE4294967295ELNS1_3gpuE0ELNS1_3repE0EEENS1_30default_config_static_selectorELNS0_4arch9wavefront6targetE0EEEvSK_
    .private_segment_fixed_size: 0
    .sgpr_count:     0
    .sgpr_spill_count: 0
    .symbol:         _ZN7rocprim17ROCPRIM_400000_NS6detail17trampoline_kernelINS0_14default_configENS1_36segmented_radix_sort_config_selectorIhlEEZNS1_25segmented_radix_sort_implIS3_Lb1EPKhPhPKlPlN2at6native12_GLOBAL__N_18offset_tEEE10hipError_tPvRmT1_PNSt15iterator_traitsISK_E10value_typeET2_T3_PNSL_ISQ_E10value_typeET4_jRbjT5_SW_jjP12ihipStream_tbEUlT_E_NS1_11comp_targetILNS1_3genE0ELNS1_11target_archE4294967295ELNS1_3gpuE0ELNS1_3repE0EEENS1_30default_config_static_selectorELNS0_4arch9wavefront6targetE0EEEvSK_.kd
    .uniform_work_group_size: 1
    .uses_dynamic_stack: false
    .vgpr_count:     0
    .vgpr_spill_count: 0
    .wavefront_size: 32
    .workgroup_processor_mode: 1
  - .args:
      - .offset:         0
        .size:           96
        .value_kind:     by_value
    .group_segment_fixed_size: 0
    .kernarg_segment_align: 8
    .kernarg_segment_size: 96
    .language:       OpenCL C
    .language_version:
      - 2
      - 0
    .max_flat_workgroup_size: 256
    .name:           _ZN7rocprim17ROCPRIM_400000_NS6detail17trampoline_kernelINS0_14default_configENS1_36segmented_radix_sort_config_selectorIhlEEZNS1_25segmented_radix_sort_implIS3_Lb1EPKhPhPKlPlN2at6native12_GLOBAL__N_18offset_tEEE10hipError_tPvRmT1_PNSt15iterator_traitsISK_E10value_typeET2_T3_PNSL_ISQ_E10value_typeET4_jRbjT5_SW_jjP12ihipStream_tbEUlT_E_NS1_11comp_targetILNS1_3genE5ELNS1_11target_archE942ELNS1_3gpuE9ELNS1_3repE0EEENS1_30default_config_static_selectorELNS0_4arch9wavefront6targetE0EEEvSK_
    .private_segment_fixed_size: 0
    .sgpr_count:     0
    .sgpr_spill_count: 0
    .symbol:         _ZN7rocprim17ROCPRIM_400000_NS6detail17trampoline_kernelINS0_14default_configENS1_36segmented_radix_sort_config_selectorIhlEEZNS1_25segmented_radix_sort_implIS3_Lb1EPKhPhPKlPlN2at6native12_GLOBAL__N_18offset_tEEE10hipError_tPvRmT1_PNSt15iterator_traitsISK_E10value_typeET2_T3_PNSL_ISQ_E10value_typeET4_jRbjT5_SW_jjP12ihipStream_tbEUlT_E_NS1_11comp_targetILNS1_3genE5ELNS1_11target_archE942ELNS1_3gpuE9ELNS1_3repE0EEENS1_30default_config_static_selectorELNS0_4arch9wavefront6targetE0EEEvSK_.kd
    .uniform_work_group_size: 1
    .uses_dynamic_stack: false
    .vgpr_count:     0
    .vgpr_spill_count: 0
    .wavefront_size: 32
    .workgroup_processor_mode: 1
  - .args:
      - .offset:         0
        .size:           96
        .value_kind:     by_value
    .group_segment_fixed_size: 0
    .kernarg_segment_align: 8
    .kernarg_segment_size: 96
    .language:       OpenCL C
    .language_version:
      - 2
      - 0
    .max_flat_workgroup_size: 256
    .name:           _ZN7rocprim17ROCPRIM_400000_NS6detail17trampoline_kernelINS0_14default_configENS1_36segmented_radix_sort_config_selectorIhlEEZNS1_25segmented_radix_sort_implIS3_Lb1EPKhPhPKlPlN2at6native12_GLOBAL__N_18offset_tEEE10hipError_tPvRmT1_PNSt15iterator_traitsISK_E10value_typeET2_T3_PNSL_ISQ_E10value_typeET4_jRbjT5_SW_jjP12ihipStream_tbEUlT_E_NS1_11comp_targetILNS1_3genE4ELNS1_11target_archE910ELNS1_3gpuE8ELNS1_3repE0EEENS1_30default_config_static_selectorELNS0_4arch9wavefront6targetE0EEEvSK_
    .private_segment_fixed_size: 0
    .sgpr_count:     0
    .sgpr_spill_count: 0
    .symbol:         _ZN7rocprim17ROCPRIM_400000_NS6detail17trampoline_kernelINS0_14default_configENS1_36segmented_radix_sort_config_selectorIhlEEZNS1_25segmented_radix_sort_implIS3_Lb1EPKhPhPKlPlN2at6native12_GLOBAL__N_18offset_tEEE10hipError_tPvRmT1_PNSt15iterator_traitsISK_E10value_typeET2_T3_PNSL_ISQ_E10value_typeET4_jRbjT5_SW_jjP12ihipStream_tbEUlT_E_NS1_11comp_targetILNS1_3genE4ELNS1_11target_archE910ELNS1_3gpuE8ELNS1_3repE0EEENS1_30default_config_static_selectorELNS0_4arch9wavefront6targetE0EEEvSK_.kd
    .uniform_work_group_size: 1
    .uses_dynamic_stack: false
    .vgpr_count:     0
    .vgpr_spill_count: 0
    .wavefront_size: 32
    .workgroup_processor_mode: 1
  - .args:
      - .offset:         0
        .size:           96
        .value_kind:     by_value
    .group_segment_fixed_size: 0
    .kernarg_segment_align: 8
    .kernarg_segment_size: 96
    .language:       OpenCL C
    .language_version:
      - 2
      - 0
    .max_flat_workgroup_size: 256
    .name:           _ZN7rocprim17ROCPRIM_400000_NS6detail17trampoline_kernelINS0_14default_configENS1_36segmented_radix_sort_config_selectorIhlEEZNS1_25segmented_radix_sort_implIS3_Lb1EPKhPhPKlPlN2at6native12_GLOBAL__N_18offset_tEEE10hipError_tPvRmT1_PNSt15iterator_traitsISK_E10value_typeET2_T3_PNSL_ISQ_E10value_typeET4_jRbjT5_SW_jjP12ihipStream_tbEUlT_E_NS1_11comp_targetILNS1_3genE3ELNS1_11target_archE908ELNS1_3gpuE7ELNS1_3repE0EEENS1_30default_config_static_selectorELNS0_4arch9wavefront6targetE0EEEvSK_
    .private_segment_fixed_size: 0
    .sgpr_count:     0
    .sgpr_spill_count: 0
    .symbol:         _ZN7rocprim17ROCPRIM_400000_NS6detail17trampoline_kernelINS0_14default_configENS1_36segmented_radix_sort_config_selectorIhlEEZNS1_25segmented_radix_sort_implIS3_Lb1EPKhPhPKlPlN2at6native12_GLOBAL__N_18offset_tEEE10hipError_tPvRmT1_PNSt15iterator_traitsISK_E10value_typeET2_T3_PNSL_ISQ_E10value_typeET4_jRbjT5_SW_jjP12ihipStream_tbEUlT_E_NS1_11comp_targetILNS1_3genE3ELNS1_11target_archE908ELNS1_3gpuE7ELNS1_3repE0EEENS1_30default_config_static_selectorELNS0_4arch9wavefront6targetE0EEEvSK_.kd
    .uniform_work_group_size: 1
    .uses_dynamic_stack: false
    .vgpr_count:     0
    .vgpr_spill_count: 0
    .wavefront_size: 32
    .workgroup_processor_mode: 1
  - .args:
      - .offset:         0
        .size:           96
        .value_kind:     by_value
    .group_segment_fixed_size: 0
    .kernarg_segment_align: 8
    .kernarg_segment_size: 96
    .language:       OpenCL C
    .language_version:
      - 2
      - 0
    .max_flat_workgroup_size: 256
    .name:           _ZN7rocprim17ROCPRIM_400000_NS6detail17trampoline_kernelINS0_14default_configENS1_36segmented_radix_sort_config_selectorIhlEEZNS1_25segmented_radix_sort_implIS3_Lb1EPKhPhPKlPlN2at6native12_GLOBAL__N_18offset_tEEE10hipError_tPvRmT1_PNSt15iterator_traitsISK_E10value_typeET2_T3_PNSL_ISQ_E10value_typeET4_jRbjT5_SW_jjP12ihipStream_tbEUlT_E_NS1_11comp_targetILNS1_3genE2ELNS1_11target_archE906ELNS1_3gpuE6ELNS1_3repE0EEENS1_30default_config_static_selectorELNS0_4arch9wavefront6targetE0EEEvSK_
    .private_segment_fixed_size: 0
    .sgpr_count:     0
    .sgpr_spill_count: 0
    .symbol:         _ZN7rocprim17ROCPRIM_400000_NS6detail17trampoline_kernelINS0_14default_configENS1_36segmented_radix_sort_config_selectorIhlEEZNS1_25segmented_radix_sort_implIS3_Lb1EPKhPhPKlPlN2at6native12_GLOBAL__N_18offset_tEEE10hipError_tPvRmT1_PNSt15iterator_traitsISK_E10value_typeET2_T3_PNSL_ISQ_E10value_typeET4_jRbjT5_SW_jjP12ihipStream_tbEUlT_E_NS1_11comp_targetILNS1_3genE2ELNS1_11target_archE906ELNS1_3gpuE6ELNS1_3repE0EEENS1_30default_config_static_selectorELNS0_4arch9wavefront6targetE0EEEvSK_.kd
    .uniform_work_group_size: 1
    .uses_dynamic_stack: false
    .vgpr_count:     0
    .vgpr_spill_count: 0
    .wavefront_size: 32
    .workgroup_processor_mode: 1
  - .args:
      - .offset:         0
        .size:           96
        .value_kind:     by_value
    .group_segment_fixed_size: 0
    .kernarg_segment_align: 8
    .kernarg_segment_size: 96
    .language:       OpenCL C
    .language_version:
      - 2
      - 0
    .max_flat_workgroup_size: 256
    .name:           _ZN7rocprim17ROCPRIM_400000_NS6detail17trampoline_kernelINS0_14default_configENS1_36segmented_radix_sort_config_selectorIhlEEZNS1_25segmented_radix_sort_implIS3_Lb1EPKhPhPKlPlN2at6native12_GLOBAL__N_18offset_tEEE10hipError_tPvRmT1_PNSt15iterator_traitsISK_E10value_typeET2_T3_PNSL_ISQ_E10value_typeET4_jRbjT5_SW_jjP12ihipStream_tbEUlT_E_NS1_11comp_targetILNS1_3genE10ELNS1_11target_archE1201ELNS1_3gpuE5ELNS1_3repE0EEENS1_30default_config_static_selectorELNS0_4arch9wavefront6targetE0EEEvSK_
    .private_segment_fixed_size: 0
    .sgpr_count:     0
    .sgpr_spill_count: 0
    .symbol:         _ZN7rocprim17ROCPRIM_400000_NS6detail17trampoline_kernelINS0_14default_configENS1_36segmented_radix_sort_config_selectorIhlEEZNS1_25segmented_radix_sort_implIS3_Lb1EPKhPhPKlPlN2at6native12_GLOBAL__N_18offset_tEEE10hipError_tPvRmT1_PNSt15iterator_traitsISK_E10value_typeET2_T3_PNSL_ISQ_E10value_typeET4_jRbjT5_SW_jjP12ihipStream_tbEUlT_E_NS1_11comp_targetILNS1_3genE10ELNS1_11target_archE1201ELNS1_3gpuE5ELNS1_3repE0EEENS1_30default_config_static_selectorELNS0_4arch9wavefront6targetE0EEEvSK_.kd
    .uniform_work_group_size: 1
    .uses_dynamic_stack: false
    .vgpr_count:     0
    .vgpr_spill_count: 0
    .wavefront_size: 32
    .workgroup_processor_mode: 1
  - .args:
      - .offset:         0
        .size:           96
        .value_kind:     by_value
    .group_segment_fixed_size: 0
    .kernarg_segment_align: 8
    .kernarg_segment_size: 96
    .language:       OpenCL C
    .language_version:
      - 2
      - 0
    .max_flat_workgroup_size: 128
    .name:           _ZN7rocprim17ROCPRIM_400000_NS6detail17trampoline_kernelINS0_14default_configENS1_36segmented_radix_sort_config_selectorIhlEEZNS1_25segmented_radix_sort_implIS3_Lb1EPKhPhPKlPlN2at6native12_GLOBAL__N_18offset_tEEE10hipError_tPvRmT1_PNSt15iterator_traitsISK_E10value_typeET2_T3_PNSL_ISQ_E10value_typeET4_jRbjT5_SW_jjP12ihipStream_tbEUlT_E_NS1_11comp_targetILNS1_3genE10ELNS1_11target_archE1200ELNS1_3gpuE4ELNS1_3repE0EEENS1_30default_config_static_selectorELNS0_4arch9wavefront6targetE0EEEvSK_
    .private_segment_fixed_size: 0
    .sgpr_count:     0
    .sgpr_spill_count: 0
    .symbol:         _ZN7rocprim17ROCPRIM_400000_NS6detail17trampoline_kernelINS0_14default_configENS1_36segmented_radix_sort_config_selectorIhlEEZNS1_25segmented_radix_sort_implIS3_Lb1EPKhPhPKlPlN2at6native12_GLOBAL__N_18offset_tEEE10hipError_tPvRmT1_PNSt15iterator_traitsISK_E10value_typeET2_T3_PNSL_ISQ_E10value_typeET4_jRbjT5_SW_jjP12ihipStream_tbEUlT_E_NS1_11comp_targetILNS1_3genE10ELNS1_11target_archE1200ELNS1_3gpuE4ELNS1_3repE0EEENS1_30default_config_static_selectorELNS0_4arch9wavefront6targetE0EEEvSK_.kd
    .uniform_work_group_size: 1
    .uses_dynamic_stack: false
    .vgpr_count:     0
    .vgpr_spill_count: 0
    .wavefront_size: 32
    .workgroup_processor_mode: 1
  - .args:
      - .offset:         0
        .size:           96
        .value_kind:     by_value
      - .offset:         96
        .size:           4
        .value_kind:     hidden_block_count_x
      - .offset:         100
        .size:           4
        .value_kind:     hidden_block_count_y
      - .offset:         104
        .size:           4
        .value_kind:     hidden_block_count_z
      - .offset:         108
        .size:           2
        .value_kind:     hidden_group_size_x
      - .offset:         110
        .size:           2
        .value_kind:     hidden_group_size_y
      - .offset:         112
        .size:           2
        .value_kind:     hidden_group_size_z
      - .offset:         114
        .size:           2
        .value_kind:     hidden_remainder_x
      - .offset:         116
        .size:           2
        .value_kind:     hidden_remainder_y
      - .offset:         118
        .size:           2
        .value_kind:     hidden_remainder_z
      - .offset:         136
        .size:           8
        .value_kind:     hidden_global_offset_x
      - .offset:         144
        .size:           8
        .value_kind:     hidden_global_offset_y
      - .offset:         152
        .size:           8
        .value_kind:     hidden_global_offset_z
      - .offset:         160
        .size:           2
        .value_kind:     hidden_grid_dims
    .group_segment_fixed_size: 17440
    .kernarg_segment_align: 8
    .kernarg_segment_size: 352
    .language:       OpenCL C
    .language_version:
      - 2
      - 0
    .max_flat_workgroup_size: 256
    .name:           _ZN7rocprim17ROCPRIM_400000_NS6detail17trampoline_kernelINS0_14default_configENS1_36segmented_radix_sort_config_selectorIhlEEZNS1_25segmented_radix_sort_implIS3_Lb1EPKhPhPKlPlN2at6native12_GLOBAL__N_18offset_tEEE10hipError_tPvRmT1_PNSt15iterator_traitsISK_E10value_typeET2_T3_PNSL_ISQ_E10value_typeET4_jRbjT5_SW_jjP12ihipStream_tbEUlT_E_NS1_11comp_targetILNS1_3genE9ELNS1_11target_archE1100ELNS1_3gpuE3ELNS1_3repE0EEENS1_30default_config_static_selectorELNS0_4arch9wavefront6targetE0EEEvSK_
    .private_segment_fixed_size: 0
    .sgpr_count:     56
    .sgpr_spill_count: 0
    .symbol:         _ZN7rocprim17ROCPRIM_400000_NS6detail17trampoline_kernelINS0_14default_configENS1_36segmented_radix_sort_config_selectorIhlEEZNS1_25segmented_radix_sort_implIS3_Lb1EPKhPhPKlPlN2at6native12_GLOBAL__N_18offset_tEEE10hipError_tPvRmT1_PNSt15iterator_traitsISK_E10value_typeET2_T3_PNSL_ISQ_E10value_typeET4_jRbjT5_SW_jjP12ihipStream_tbEUlT_E_NS1_11comp_targetILNS1_3genE9ELNS1_11target_archE1100ELNS1_3gpuE3ELNS1_3repE0EEENS1_30default_config_static_selectorELNS0_4arch9wavefront6targetE0EEEvSK_.kd
    .uniform_work_group_size: 1
    .uses_dynamic_stack: false
    .vgpr_count:     183
    .vgpr_spill_count: 0
    .wavefront_size: 32
    .workgroup_processor_mode: 1
  - .args:
      - .offset:         0
        .size:           96
        .value_kind:     by_value
    .group_segment_fixed_size: 0
    .kernarg_segment_align: 8
    .kernarg_segment_size: 96
    .language:       OpenCL C
    .language_version:
      - 2
      - 0
    .max_flat_workgroup_size: 256
    .name:           _ZN7rocprim17ROCPRIM_400000_NS6detail17trampoline_kernelINS0_14default_configENS1_36segmented_radix_sort_config_selectorIhlEEZNS1_25segmented_radix_sort_implIS3_Lb1EPKhPhPKlPlN2at6native12_GLOBAL__N_18offset_tEEE10hipError_tPvRmT1_PNSt15iterator_traitsISK_E10value_typeET2_T3_PNSL_ISQ_E10value_typeET4_jRbjT5_SW_jjP12ihipStream_tbEUlT_E_NS1_11comp_targetILNS1_3genE8ELNS1_11target_archE1030ELNS1_3gpuE2ELNS1_3repE0EEENS1_30default_config_static_selectorELNS0_4arch9wavefront6targetE0EEEvSK_
    .private_segment_fixed_size: 0
    .sgpr_count:     0
    .sgpr_spill_count: 0
    .symbol:         _ZN7rocprim17ROCPRIM_400000_NS6detail17trampoline_kernelINS0_14default_configENS1_36segmented_radix_sort_config_selectorIhlEEZNS1_25segmented_radix_sort_implIS3_Lb1EPKhPhPKlPlN2at6native12_GLOBAL__N_18offset_tEEE10hipError_tPvRmT1_PNSt15iterator_traitsISK_E10value_typeET2_T3_PNSL_ISQ_E10value_typeET4_jRbjT5_SW_jjP12ihipStream_tbEUlT_E_NS1_11comp_targetILNS1_3genE8ELNS1_11target_archE1030ELNS1_3gpuE2ELNS1_3repE0EEENS1_30default_config_static_selectorELNS0_4arch9wavefront6targetE0EEEvSK_.kd
    .uniform_work_group_size: 1
    .uses_dynamic_stack: false
    .vgpr_count:     0
    .vgpr_spill_count: 0
    .wavefront_size: 32
    .workgroup_processor_mode: 1
  - .args:
      - .offset:         0
        .size:           88
        .value_kind:     by_value
    .group_segment_fixed_size: 0
    .kernarg_segment_align: 8
    .kernarg_segment_size: 88
    .language:       OpenCL C
    .language_version:
      - 2
      - 0
    .max_flat_workgroup_size: 256
    .name:           _ZN7rocprim17ROCPRIM_400000_NS6detail17trampoline_kernelINS0_14default_configENS1_36segmented_radix_sort_config_selectorIhlEEZNS1_25segmented_radix_sort_implIS3_Lb1EPKhPhPKlPlN2at6native12_GLOBAL__N_18offset_tEEE10hipError_tPvRmT1_PNSt15iterator_traitsISK_E10value_typeET2_T3_PNSL_ISQ_E10value_typeET4_jRbjT5_SW_jjP12ihipStream_tbEUlT_E0_NS1_11comp_targetILNS1_3genE0ELNS1_11target_archE4294967295ELNS1_3gpuE0ELNS1_3repE0EEENS1_60segmented_radix_sort_warp_sort_medium_config_static_selectorELNS0_4arch9wavefront6targetE0EEEvSK_
    .private_segment_fixed_size: 0
    .sgpr_count:     0
    .sgpr_spill_count: 0
    .symbol:         _ZN7rocprim17ROCPRIM_400000_NS6detail17trampoline_kernelINS0_14default_configENS1_36segmented_radix_sort_config_selectorIhlEEZNS1_25segmented_radix_sort_implIS3_Lb1EPKhPhPKlPlN2at6native12_GLOBAL__N_18offset_tEEE10hipError_tPvRmT1_PNSt15iterator_traitsISK_E10value_typeET2_T3_PNSL_ISQ_E10value_typeET4_jRbjT5_SW_jjP12ihipStream_tbEUlT_E0_NS1_11comp_targetILNS1_3genE0ELNS1_11target_archE4294967295ELNS1_3gpuE0ELNS1_3repE0EEENS1_60segmented_radix_sort_warp_sort_medium_config_static_selectorELNS0_4arch9wavefront6targetE0EEEvSK_.kd
    .uniform_work_group_size: 1
    .uses_dynamic_stack: false
    .vgpr_count:     0
    .vgpr_spill_count: 0
    .wavefront_size: 32
    .workgroup_processor_mode: 1
  - .args:
      - .offset:         0
        .size:           88
        .value_kind:     by_value
    .group_segment_fixed_size: 0
    .kernarg_segment_align: 8
    .kernarg_segment_size: 88
    .language:       OpenCL C
    .language_version:
      - 2
      - 0
    .max_flat_workgroup_size: 256
    .name:           _ZN7rocprim17ROCPRIM_400000_NS6detail17trampoline_kernelINS0_14default_configENS1_36segmented_radix_sort_config_selectorIhlEEZNS1_25segmented_radix_sort_implIS3_Lb1EPKhPhPKlPlN2at6native12_GLOBAL__N_18offset_tEEE10hipError_tPvRmT1_PNSt15iterator_traitsISK_E10value_typeET2_T3_PNSL_ISQ_E10value_typeET4_jRbjT5_SW_jjP12ihipStream_tbEUlT_E0_NS1_11comp_targetILNS1_3genE5ELNS1_11target_archE942ELNS1_3gpuE9ELNS1_3repE0EEENS1_60segmented_radix_sort_warp_sort_medium_config_static_selectorELNS0_4arch9wavefront6targetE0EEEvSK_
    .private_segment_fixed_size: 0
    .sgpr_count:     0
    .sgpr_spill_count: 0
    .symbol:         _ZN7rocprim17ROCPRIM_400000_NS6detail17trampoline_kernelINS0_14default_configENS1_36segmented_radix_sort_config_selectorIhlEEZNS1_25segmented_radix_sort_implIS3_Lb1EPKhPhPKlPlN2at6native12_GLOBAL__N_18offset_tEEE10hipError_tPvRmT1_PNSt15iterator_traitsISK_E10value_typeET2_T3_PNSL_ISQ_E10value_typeET4_jRbjT5_SW_jjP12ihipStream_tbEUlT_E0_NS1_11comp_targetILNS1_3genE5ELNS1_11target_archE942ELNS1_3gpuE9ELNS1_3repE0EEENS1_60segmented_radix_sort_warp_sort_medium_config_static_selectorELNS0_4arch9wavefront6targetE0EEEvSK_.kd
    .uniform_work_group_size: 1
    .uses_dynamic_stack: false
    .vgpr_count:     0
    .vgpr_spill_count: 0
    .wavefront_size: 32
    .workgroup_processor_mode: 1
  - .args:
      - .offset:         0
        .size:           88
        .value_kind:     by_value
    .group_segment_fixed_size: 0
    .kernarg_segment_align: 8
    .kernarg_segment_size: 88
    .language:       OpenCL C
    .language_version:
      - 2
      - 0
    .max_flat_workgroup_size: 256
    .name:           _ZN7rocprim17ROCPRIM_400000_NS6detail17trampoline_kernelINS0_14default_configENS1_36segmented_radix_sort_config_selectorIhlEEZNS1_25segmented_radix_sort_implIS3_Lb1EPKhPhPKlPlN2at6native12_GLOBAL__N_18offset_tEEE10hipError_tPvRmT1_PNSt15iterator_traitsISK_E10value_typeET2_T3_PNSL_ISQ_E10value_typeET4_jRbjT5_SW_jjP12ihipStream_tbEUlT_E0_NS1_11comp_targetILNS1_3genE4ELNS1_11target_archE910ELNS1_3gpuE8ELNS1_3repE0EEENS1_60segmented_radix_sort_warp_sort_medium_config_static_selectorELNS0_4arch9wavefront6targetE0EEEvSK_
    .private_segment_fixed_size: 0
    .sgpr_count:     0
    .sgpr_spill_count: 0
    .symbol:         _ZN7rocprim17ROCPRIM_400000_NS6detail17trampoline_kernelINS0_14default_configENS1_36segmented_radix_sort_config_selectorIhlEEZNS1_25segmented_radix_sort_implIS3_Lb1EPKhPhPKlPlN2at6native12_GLOBAL__N_18offset_tEEE10hipError_tPvRmT1_PNSt15iterator_traitsISK_E10value_typeET2_T3_PNSL_ISQ_E10value_typeET4_jRbjT5_SW_jjP12ihipStream_tbEUlT_E0_NS1_11comp_targetILNS1_3genE4ELNS1_11target_archE910ELNS1_3gpuE8ELNS1_3repE0EEENS1_60segmented_radix_sort_warp_sort_medium_config_static_selectorELNS0_4arch9wavefront6targetE0EEEvSK_.kd
    .uniform_work_group_size: 1
    .uses_dynamic_stack: false
    .vgpr_count:     0
    .vgpr_spill_count: 0
    .wavefront_size: 32
    .workgroup_processor_mode: 1
  - .args:
      - .offset:         0
        .size:           88
        .value_kind:     by_value
    .group_segment_fixed_size: 0
    .kernarg_segment_align: 8
    .kernarg_segment_size: 88
    .language:       OpenCL C
    .language_version:
      - 2
      - 0
    .max_flat_workgroup_size: 256
    .name:           _ZN7rocprim17ROCPRIM_400000_NS6detail17trampoline_kernelINS0_14default_configENS1_36segmented_radix_sort_config_selectorIhlEEZNS1_25segmented_radix_sort_implIS3_Lb1EPKhPhPKlPlN2at6native12_GLOBAL__N_18offset_tEEE10hipError_tPvRmT1_PNSt15iterator_traitsISK_E10value_typeET2_T3_PNSL_ISQ_E10value_typeET4_jRbjT5_SW_jjP12ihipStream_tbEUlT_E0_NS1_11comp_targetILNS1_3genE3ELNS1_11target_archE908ELNS1_3gpuE7ELNS1_3repE0EEENS1_60segmented_radix_sort_warp_sort_medium_config_static_selectorELNS0_4arch9wavefront6targetE0EEEvSK_
    .private_segment_fixed_size: 0
    .sgpr_count:     0
    .sgpr_spill_count: 0
    .symbol:         _ZN7rocprim17ROCPRIM_400000_NS6detail17trampoline_kernelINS0_14default_configENS1_36segmented_radix_sort_config_selectorIhlEEZNS1_25segmented_radix_sort_implIS3_Lb1EPKhPhPKlPlN2at6native12_GLOBAL__N_18offset_tEEE10hipError_tPvRmT1_PNSt15iterator_traitsISK_E10value_typeET2_T3_PNSL_ISQ_E10value_typeET4_jRbjT5_SW_jjP12ihipStream_tbEUlT_E0_NS1_11comp_targetILNS1_3genE3ELNS1_11target_archE908ELNS1_3gpuE7ELNS1_3repE0EEENS1_60segmented_radix_sort_warp_sort_medium_config_static_selectorELNS0_4arch9wavefront6targetE0EEEvSK_.kd
    .uniform_work_group_size: 1
    .uses_dynamic_stack: false
    .vgpr_count:     0
    .vgpr_spill_count: 0
    .wavefront_size: 32
    .workgroup_processor_mode: 1
  - .args:
      - .offset:         0
        .size:           88
        .value_kind:     by_value
    .group_segment_fixed_size: 0
    .kernarg_segment_align: 8
    .kernarg_segment_size: 88
    .language:       OpenCL C
    .language_version:
      - 2
      - 0
    .max_flat_workgroup_size: 256
    .name:           _ZN7rocprim17ROCPRIM_400000_NS6detail17trampoline_kernelINS0_14default_configENS1_36segmented_radix_sort_config_selectorIhlEEZNS1_25segmented_radix_sort_implIS3_Lb1EPKhPhPKlPlN2at6native12_GLOBAL__N_18offset_tEEE10hipError_tPvRmT1_PNSt15iterator_traitsISK_E10value_typeET2_T3_PNSL_ISQ_E10value_typeET4_jRbjT5_SW_jjP12ihipStream_tbEUlT_E0_NS1_11comp_targetILNS1_3genE2ELNS1_11target_archE906ELNS1_3gpuE6ELNS1_3repE0EEENS1_60segmented_radix_sort_warp_sort_medium_config_static_selectorELNS0_4arch9wavefront6targetE0EEEvSK_
    .private_segment_fixed_size: 0
    .sgpr_count:     0
    .sgpr_spill_count: 0
    .symbol:         _ZN7rocprim17ROCPRIM_400000_NS6detail17trampoline_kernelINS0_14default_configENS1_36segmented_radix_sort_config_selectorIhlEEZNS1_25segmented_radix_sort_implIS3_Lb1EPKhPhPKlPlN2at6native12_GLOBAL__N_18offset_tEEE10hipError_tPvRmT1_PNSt15iterator_traitsISK_E10value_typeET2_T3_PNSL_ISQ_E10value_typeET4_jRbjT5_SW_jjP12ihipStream_tbEUlT_E0_NS1_11comp_targetILNS1_3genE2ELNS1_11target_archE906ELNS1_3gpuE6ELNS1_3repE0EEENS1_60segmented_radix_sort_warp_sort_medium_config_static_selectorELNS0_4arch9wavefront6targetE0EEEvSK_.kd
    .uniform_work_group_size: 1
    .uses_dynamic_stack: false
    .vgpr_count:     0
    .vgpr_spill_count: 0
    .wavefront_size: 32
    .workgroup_processor_mode: 1
  - .args:
      - .offset:         0
        .size:           88
        .value_kind:     by_value
    .group_segment_fixed_size: 0
    .kernarg_segment_align: 8
    .kernarg_segment_size: 88
    .language:       OpenCL C
    .language_version:
      - 2
      - 0
    .max_flat_workgroup_size: 256
    .name:           _ZN7rocprim17ROCPRIM_400000_NS6detail17trampoline_kernelINS0_14default_configENS1_36segmented_radix_sort_config_selectorIhlEEZNS1_25segmented_radix_sort_implIS3_Lb1EPKhPhPKlPlN2at6native12_GLOBAL__N_18offset_tEEE10hipError_tPvRmT1_PNSt15iterator_traitsISK_E10value_typeET2_T3_PNSL_ISQ_E10value_typeET4_jRbjT5_SW_jjP12ihipStream_tbEUlT_E0_NS1_11comp_targetILNS1_3genE10ELNS1_11target_archE1201ELNS1_3gpuE5ELNS1_3repE0EEENS1_60segmented_radix_sort_warp_sort_medium_config_static_selectorELNS0_4arch9wavefront6targetE0EEEvSK_
    .private_segment_fixed_size: 0
    .sgpr_count:     0
    .sgpr_spill_count: 0
    .symbol:         _ZN7rocprim17ROCPRIM_400000_NS6detail17trampoline_kernelINS0_14default_configENS1_36segmented_radix_sort_config_selectorIhlEEZNS1_25segmented_radix_sort_implIS3_Lb1EPKhPhPKlPlN2at6native12_GLOBAL__N_18offset_tEEE10hipError_tPvRmT1_PNSt15iterator_traitsISK_E10value_typeET2_T3_PNSL_ISQ_E10value_typeET4_jRbjT5_SW_jjP12ihipStream_tbEUlT_E0_NS1_11comp_targetILNS1_3genE10ELNS1_11target_archE1201ELNS1_3gpuE5ELNS1_3repE0EEENS1_60segmented_radix_sort_warp_sort_medium_config_static_selectorELNS0_4arch9wavefront6targetE0EEEvSK_.kd
    .uniform_work_group_size: 1
    .uses_dynamic_stack: false
    .vgpr_count:     0
    .vgpr_spill_count: 0
    .wavefront_size: 32
    .workgroup_processor_mode: 1
  - .args:
      - .offset:         0
        .size:           88
        .value_kind:     by_value
    .group_segment_fixed_size: 0
    .kernarg_segment_align: 8
    .kernarg_segment_size: 88
    .language:       OpenCL C
    .language_version:
      - 2
      - 0
    .max_flat_workgroup_size: 256
    .name:           _ZN7rocprim17ROCPRIM_400000_NS6detail17trampoline_kernelINS0_14default_configENS1_36segmented_radix_sort_config_selectorIhlEEZNS1_25segmented_radix_sort_implIS3_Lb1EPKhPhPKlPlN2at6native12_GLOBAL__N_18offset_tEEE10hipError_tPvRmT1_PNSt15iterator_traitsISK_E10value_typeET2_T3_PNSL_ISQ_E10value_typeET4_jRbjT5_SW_jjP12ihipStream_tbEUlT_E0_NS1_11comp_targetILNS1_3genE10ELNS1_11target_archE1200ELNS1_3gpuE4ELNS1_3repE0EEENS1_60segmented_radix_sort_warp_sort_medium_config_static_selectorELNS0_4arch9wavefront6targetE0EEEvSK_
    .private_segment_fixed_size: 0
    .sgpr_count:     0
    .sgpr_spill_count: 0
    .symbol:         _ZN7rocprim17ROCPRIM_400000_NS6detail17trampoline_kernelINS0_14default_configENS1_36segmented_radix_sort_config_selectorIhlEEZNS1_25segmented_radix_sort_implIS3_Lb1EPKhPhPKlPlN2at6native12_GLOBAL__N_18offset_tEEE10hipError_tPvRmT1_PNSt15iterator_traitsISK_E10value_typeET2_T3_PNSL_ISQ_E10value_typeET4_jRbjT5_SW_jjP12ihipStream_tbEUlT_E0_NS1_11comp_targetILNS1_3genE10ELNS1_11target_archE1200ELNS1_3gpuE4ELNS1_3repE0EEENS1_60segmented_radix_sort_warp_sort_medium_config_static_selectorELNS0_4arch9wavefront6targetE0EEEvSK_.kd
    .uniform_work_group_size: 1
    .uses_dynamic_stack: false
    .vgpr_count:     0
    .vgpr_spill_count: 0
    .wavefront_size: 32
    .workgroup_processor_mode: 1
  - .args:
      - .offset:         0
        .size:           88
        .value_kind:     by_value
      - .offset:         88
        .size:           4
        .value_kind:     hidden_block_count_x
      - .offset:         92
        .size:           4
        .value_kind:     hidden_block_count_y
      - .offset:         96
        .size:           4
        .value_kind:     hidden_block_count_z
      - .offset:         100
        .size:           2
        .value_kind:     hidden_group_size_x
      - .offset:         102
        .size:           2
        .value_kind:     hidden_group_size_y
      - .offset:         104
        .size:           2
        .value_kind:     hidden_group_size_z
      - .offset:         106
        .size:           2
        .value_kind:     hidden_remainder_x
      - .offset:         108
        .size:           2
        .value_kind:     hidden_remainder_y
      - .offset:         110
        .size:           2
        .value_kind:     hidden_remainder_z
      - .offset:         128
        .size:           8
        .value_kind:     hidden_global_offset_x
      - .offset:         136
        .size:           8
        .value_kind:     hidden_global_offset_y
      - .offset:         144
        .size:           8
        .value_kind:     hidden_global_offset_z
      - .offset:         152
        .size:           2
        .value_kind:     hidden_grid_dims
    .group_segment_fixed_size: 18432
    .kernarg_segment_align: 8
    .kernarg_segment_size: 344
    .language:       OpenCL C
    .language_version:
      - 2
      - 0
    .max_flat_workgroup_size: 256
    .name:           _ZN7rocprim17ROCPRIM_400000_NS6detail17trampoline_kernelINS0_14default_configENS1_36segmented_radix_sort_config_selectorIhlEEZNS1_25segmented_radix_sort_implIS3_Lb1EPKhPhPKlPlN2at6native12_GLOBAL__N_18offset_tEEE10hipError_tPvRmT1_PNSt15iterator_traitsISK_E10value_typeET2_T3_PNSL_ISQ_E10value_typeET4_jRbjT5_SW_jjP12ihipStream_tbEUlT_E0_NS1_11comp_targetILNS1_3genE9ELNS1_11target_archE1100ELNS1_3gpuE3ELNS1_3repE0EEENS1_60segmented_radix_sort_warp_sort_medium_config_static_selectorELNS0_4arch9wavefront6targetE0EEEvSK_
    .private_segment_fixed_size: 0
    .sgpr_count:     46
    .sgpr_spill_count: 0
    .symbol:         _ZN7rocprim17ROCPRIM_400000_NS6detail17trampoline_kernelINS0_14default_configENS1_36segmented_radix_sort_config_selectorIhlEEZNS1_25segmented_radix_sort_implIS3_Lb1EPKhPhPKlPlN2at6native12_GLOBAL__N_18offset_tEEE10hipError_tPvRmT1_PNSt15iterator_traitsISK_E10value_typeET2_T3_PNSL_ISQ_E10value_typeET4_jRbjT5_SW_jjP12ihipStream_tbEUlT_E0_NS1_11comp_targetILNS1_3genE9ELNS1_11target_archE1100ELNS1_3gpuE3ELNS1_3repE0EEENS1_60segmented_radix_sort_warp_sort_medium_config_static_selectorELNS0_4arch9wavefront6targetE0EEEvSK_.kd
    .uniform_work_group_size: 1
    .uses_dynamic_stack: false
    .vgpr_count:     72
    .vgpr_spill_count: 0
    .wavefront_size: 32
    .workgroup_processor_mode: 1
  - .args:
      - .offset:         0
        .size:           88
        .value_kind:     by_value
    .group_segment_fixed_size: 0
    .kernarg_segment_align: 8
    .kernarg_segment_size: 88
    .language:       OpenCL C
    .language_version:
      - 2
      - 0
    .max_flat_workgroup_size: 256
    .name:           _ZN7rocprim17ROCPRIM_400000_NS6detail17trampoline_kernelINS0_14default_configENS1_36segmented_radix_sort_config_selectorIhlEEZNS1_25segmented_radix_sort_implIS3_Lb1EPKhPhPKlPlN2at6native12_GLOBAL__N_18offset_tEEE10hipError_tPvRmT1_PNSt15iterator_traitsISK_E10value_typeET2_T3_PNSL_ISQ_E10value_typeET4_jRbjT5_SW_jjP12ihipStream_tbEUlT_E0_NS1_11comp_targetILNS1_3genE8ELNS1_11target_archE1030ELNS1_3gpuE2ELNS1_3repE0EEENS1_60segmented_radix_sort_warp_sort_medium_config_static_selectorELNS0_4arch9wavefront6targetE0EEEvSK_
    .private_segment_fixed_size: 0
    .sgpr_count:     0
    .sgpr_spill_count: 0
    .symbol:         _ZN7rocprim17ROCPRIM_400000_NS6detail17trampoline_kernelINS0_14default_configENS1_36segmented_radix_sort_config_selectorIhlEEZNS1_25segmented_radix_sort_implIS3_Lb1EPKhPhPKlPlN2at6native12_GLOBAL__N_18offset_tEEE10hipError_tPvRmT1_PNSt15iterator_traitsISK_E10value_typeET2_T3_PNSL_ISQ_E10value_typeET4_jRbjT5_SW_jjP12ihipStream_tbEUlT_E0_NS1_11comp_targetILNS1_3genE8ELNS1_11target_archE1030ELNS1_3gpuE2ELNS1_3repE0EEENS1_60segmented_radix_sort_warp_sort_medium_config_static_selectorELNS0_4arch9wavefront6targetE0EEEvSK_.kd
    .uniform_work_group_size: 1
    .uses_dynamic_stack: false
    .vgpr_count:     0
    .vgpr_spill_count: 0
    .wavefront_size: 32
    .workgroup_processor_mode: 1
  - .args:
      - .offset:         0
        .size:           88
        .value_kind:     by_value
    .group_segment_fixed_size: 0
    .kernarg_segment_align: 8
    .kernarg_segment_size: 88
    .language:       OpenCL C
    .language_version:
      - 2
      - 0
    .max_flat_workgroup_size: 256
    .name:           _ZN7rocprim17ROCPRIM_400000_NS6detail17trampoline_kernelINS0_14default_configENS1_36segmented_radix_sort_config_selectorIhlEEZNS1_25segmented_radix_sort_implIS3_Lb1EPKhPhPKlPlN2at6native12_GLOBAL__N_18offset_tEEE10hipError_tPvRmT1_PNSt15iterator_traitsISK_E10value_typeET2_T3_PNSL_ISQ_E10value_typeET4_jRbjT5_SW_jjP12ihipStream_tbEUlT_E1_NS1_11comp_targetILNS1_3genE0ELNS1_11target_archE4294967295ELNS1_3gpuE0ELNS1_3repE0EEENS1_59segmented_radix_sort_warp_sort_small_config_static_selectorELNS0_4arch9wavefront6targetE0EEEvSK_
    .private_segment_fixed_size: 0
    .sgpr_count:     0
    .sgpr_spill_count: 0
    .symbol:         _ZN7rocprim17ROCPRIM_400000_NS6detail17trampoline_kernelINS0_14default_configENS1_36segmented_radix_sort_config_selectorIhlEEZNS1_25segmented_radix_sort_implIS3_Lb1EPKhPhPKlPlN2at6native12_GLOBAL__N_18offset_tEEE10hipError_tPvRmT1_PNSt15iterator_traitsISK_E10value_typeET2_T3_PNSL_ISQ_E10value_typeET4_jRbjT5_SW_jjP12ihipStream_tbEUlT_E1_NS1_11comp_targetILNS1_3genE0ELNS1_11target_archE4294967295ELNS1_3gpuE0ELNS1_3repE0EEENS1_59segmented_radix_sort_warp_sort_small_config_static_selectorELNS0_4arch9wavefront6targetE0EEEvSK_.kd
    .uniform_work_group_size: 1
    .uses_dynamic_stack: false
    .vgpr_count:     0
    .vgpr_spill_count: 0
    .wavefront_size: 32
    .workgroup_processor_mode: 1
  - .args:
      - .offset:         0
        .size:           88
        .value_kind:     by_value
    .group_segment_fixed_size: 0
    .kernarg_segment_align: 8
    .kernarg_segment_size: 88
    .language:       OpenCL C
    .language_version:
      - 2
      - 0
    .max_flat_workgroup_size: 256
    .name:           _ZN7rocprim17ROCPRIM_400000_NS6detail17trampoline_kernelINS0_14default_configENS1_36segmented_radix_sort_config_selectorIhlEEZNS1_25segmented_radix_sort_implIS3_Lb1EPKhPhPKlPlN2at6native12_GLOBAL__N_18offset_tEEE10hipError_tPvRmT1_PNSt15iterator_traitsISK_E10value_typeET2_T3_PNSL_ISQ_E10value_typeET4_jRbjT5_SW_jjP12ihipStream_tbEUlT_E1_NS1_11comp_targetILNS1_3genE5ELNS1_11target_archE942ELNS1_3gpuE9ELNS1_3repE0EEENS1_59segmented_radix_sort_warp_sort_small_config_static_selectorELNS0_4arch9wavefront6targetE0EEEvSK_
    .private_segment_fixed_size: 0
    .sgpr_count:     0
    .sgpr_spill_count: 0
    .symbol:         _ZN7rocprim17ROCPRIM_400000_NS6detail17trampoline_kernelINS0_14default_configENS1_36segmented_radix_sort_config_selectorIhlEEZNS1_25segmented_radix_sort_implIS3_Lb1EPKhPhPKlPlN2at6native12_GLOBAL__N_18offset_tEEE10hipError_tPvRmT1_PNSt15iterator_traitsISK_E10value_typeET2_T3_PNSL_ISQ_E10value_typeET4_jRbjT5_SW_jjP12ihipStream_tbEUlT_E1_NS1_11comp_targetILNS1_3genE5ELNS1_11target_archE942ELNS1_3gpuE9ELNS1_3repE0EEENS1_59segmented_radix_sort_warp_sort_small_config_static_selectorELNS0_4arch9wavefront6targetE0EEEvSK_.kd
    .uniform_work_group_size: 1
    .uses_dynamic_stack: false
    .vgpr_count:     0
    .vgpr_spill_count: 0
    .wavefront_size: 32
    .workgroup_processor_mode: 1
  - .args:
      - .offset:         0
        .size:           88
        .value_kind:     by_value
    .group_segment_fixed_size: 0
    .kernarg_segment_align: 8
    .kernarg_segment_size: 88
    .language:       OpenCL C
    .language_version:
      - 2
      - 0
    .max_flat_workgroup_size: 256
    .name:           _ZN7rocprim17ROCPRIM_400000_NS6detail17trampoline_kernelINS0_14default_configENS1_36segmented_radix_sort_config_selectorIhlEEZNS1_25segmented_radix_sort_implIS3_Lb1EPKhPhPKlPlN2at6native12_GLOBAL__N_18offset_tEEE10hipError_tPvRmT1_PNSt15iterator_traitsISK_E10value_typeET2_T3_PNSL_ISQ_E10value_typeET4_jRbjT5_SW_jjP12ihipStream_tbEUlT_E1_NS1_11comp_targetILNS1_3genE4ELNS1_11target_archE910ELNS1_3gpuE8ELNS1_3repE0EEENS1_59segmented_radix_sort_warp_sort_small_config_static_selectorELNS0_4arch9wavefront6targetE0EEEvSK_
    .private_segment_fixed_size: 0
    .sgpr_count:     0
    .sgpr_spill_count: 0
    .symbol:         _ZN7rocprim17ROCPRIM_400000_NS6detail17trampoline_kernelINS0_14default_configENS1_36segmented_radix_sort_config_selectorIhlEEZNS1_25segmented_radix_sort_implIS3_Lb1EPKhPhPKlPlN2at6native12_GLOBAL__N_18offset_tEEE10hipError_tPvRmT1_PNSt15iterator_traitsISK_E10value_typeET2_T3_PNSL_ISQ_E10value_typeET4_jRbjT5_SW_jjP12ihipStream_tbEUlT_E1_NS1_11comp_targetILNS1_3genE4ELNS1_11target_archE910ELNS1_3gpuE8ELNS1_3repE0EEENS1_59segmented_radix_sort_warp_sort_small_config_static_selectorELNS0_4arch9wavefront6targetE0EEEvSK_.kd
    .uniform_work_group_size: 1
    .uses_dynamic_stack: false
    .vgpr_count:     0
    .vgpr_spill_count: 0
    .wavefront_size: 32
    .workgroup_processor_mode: 1
  - .args:
      - .offset:         0
        .size:           88
        .value_kind:     by_value
    .group_segment_fixed_size: 0
    .kernarg_segment_align: 8
    .kernarg_segment_size: 88
    .language:       OpenCL C
    .language_version:
      - 2
      - 0
    .max_flat_workgroup_size: 256
    .name:           _ZN7rocprim17ROCPRIM_400000_NS6detail17trampoline_kernelINS0_14default_configENS1_36segmented_radix_sort_config_selectorIhlEEZNS1_25segmented_radix_sort_implIS3_Lb1EPKhPhPKlPlN2at6native12_GLOBAL__N_18offset_tEEE10hipError_tPvRmT1_PNSt15iterator_traitsISK_E10value_typeET2_T3_PNSL_ISQ_E10value_typeET4_jRbjT5_SW_jjP12ihipStream_tbEUlT_E1_NS1_11comp_targetILNS1_3genE3ELNS1_11target_archE908ELNS1_3gpuE7ELNS1_3repE0EEENS1_59segmented_radix_sort_warp_sort_small_config_static_selectorELNS0_4arch9wavefront6targetE0EEEvSK_
    .private_segment_fixed_size: 0
    .sgpr_count:     0
    .sgpr_spill_count: 0
    .symbol:         _ZN7rocprim17ROCPRIM_400000_NS6detail17trampoline_kernelINS0_14default_configENS1_36segmented_radix_sort_config_selectorIhlEEZNS1_25segmented_radix_sort_implIS3_Lb1EPKhPhPKlPlN2at6native12_GLOBAL__N_18offset_tEEE10hipError_tPvRmT1_PNSt15iterator_traitsISK_E10value_typeET2_T3_PNSL_ISQ_E10value_typeET4_jRbjT5_SW_jjP12ihipStream_tbEUlT_E1_NS1_11comp_targetILNS1_3genE3ELNS1_11target_archE908ELNS1_3gpuE7ELNS1_3repE0EEENS1_59segmented_radix_sort_warp_sort_small_config_static_selectorELNS0_4arch9wavefront6targetE0EEEvSK_.kd
    .uniform_work_group_size: 1
    .uses_dynamic_stack: false
    .vgpr_count:     0
    .vgpr_spill_count: 0
    .wavefront_size: 32
    .workgroup_processor_mode: 1
  - .args:
      - .offset:         0
        .size:           88
        .value_kind:     by_value
    .group_segment_fixed_size: 0
    .kernarg_segment_align: 8
    .kernarg_segment_size: 88
    .language:       OpenCL C
    .language_version:
      - 2
      - 0
    .max_flat_workgroup_size: 256
    .name:           _ZN7rocprim17ROCPRIM_400000_NS6detail17trampoline_kernelINS0_14default_configENS1_36segmented_radix_sort_config_selectorIhlEEZNS1_25segmented_radix_sort_implIS3_Lb1EPKhPhPKlPlN2at6native12_GLOBAL__N_18offset_tEEE10hipError_tPvRmT1_PNSt15iterator_traitsISK_E10value_typeET2_T3_PNSL_ISQ_E10value_typeET4_jRbjT5_SW_jjP12ihipStream_tbEUlT_E1_NS1_11comp_targetILNS1_3genE2ELNS1_11target_archE906ELNS1_3gpuE6ELNS1_3repE0EEENS1_59segmented_radix_sort_warp_sort_small_config_static_selectorELNS0_4arch9wavefront6targetE0EEEvSK_
    .private_segment_fixed_size: 0
    .sgpr_count:     0
    .sgpr_spill_count: 0
    .symbol:         _ZN7rocprim17ROCPRIM_400000_NS6detail17trampoline_kernelINS0_14default_configENS1_36segmented_radix_sort_config_selectorIhlEEZNS1_25segmented_radix_sort_implIS3_Lb1EPKhPhPKlPlN2at6native12_GLOBAL__N_18offset_tEEE10hipError_tPvRmT1_PNSt15iterator_traitsISK_E10value_typeET2_T3_PNSL_ISQ_E10value_typeET4_jRbjT5_SW_jjP12ihipStream_tbEUlT_E1_NS1_11comp_targetILNS1_3genE2ELNS1_11target_archE906ELNS1_3gpuE6ELNS1_3repE0EEENS1_59segmented_radix_sort_warp_sort_small_config_static_selectorELNS0_4arch9wavefront6targetE0EEEvSK_.kd
    .uniform_work_group_size: 1
    .uses_dynamic_stack: false
    .vgpr_count:     0
    .vgpr_spill_count: 0
    .wavefront_size: 32
    .workgroup_processor_mode: 1
  - .args:
      - .offset:         0
        .size:           88
        .value_kind:     by_value
    .group_segment_fixed_size: 0
    .kernarg_segment_align: 8
    .kernarg_segment_size: 88
    .language:       OpenCL C
    .language_version:
      - 2
      - 0
    .max_flat_workgroup_size: 256
    .name:           _ZN7rocprim17ROCPRIM_400000_NS6detail17trampoline_kernelINS0_14default_configENS1_36segmented_radix_sort_config_selectorIhlEEZNS1_25segmented_radix_sort_implIS3_Lb1EPKhPhPKlPlN2at6native12_GLOBAL__N_18offset_tEEE10hipError_tPvRmT1_PNSt15iterator_traitsISK_E10value_typeET2_T3_PNSL_ISQ_E10value_typeET4_jRbjT5_SW_jjP12ihipStream_tbEUlT_E1_NS1_11comp_targetILNS1_3genE10ELNS1_11target_archE1201ELNS1_3gpuE5ELNS1_3repE0EEENS1_59segmented_radix_sort_warp_sort_small_config_static_selectorELNS0_4arch9wavefront6targetE0EEEvSK_
    .private_segment_fixed_size: 0
    .sgpr_count:     0
    .sgpr_spill_count: 0
    .symbol:         _ZN7rocprim17ROCPRIM_400000_NS6detail17trampoline_kernelINS0_14default_configENS1_36segmented_radix_sort_config_selectorIhlEEZNS1_25segmented_radix_sort_implIS3_Lb1EPKhPhPKlPlN2at6native12_GLOBAL__N_18offset_tEEE10hipError_tPvRmT1_PNSt15iterator_traitsISK_E10value_typeET2_T3_PNSL_ISQ_E10value_typeET4_jRbjT5_SW_jjP12ihipStream_tbEUlT_E1_NS1_11comp_targetILNS1_3genE10ELNS1_11target_archE1201ELNS1_3gpuE5ELNS1_3repE0EEENS1_59segmented_radix_sort_warp_sort_small_config_static_selectorELNS0_4arch9wavefront6targetE0EEEvSK_.kd
    .uniform_work_group_size: 1
    .uses_dynamic_stack: false
    .vgpr_count:     0
    .vgpr_spill_count: 0
    .wavefront_size: 32
    .workgroup_processor_mode: 1
  - .args:
      - .offset:         0
        .size:           88
        .value_kind:     by_value
    .group_segment_fixed_size: 0
    .kernarg_segment_align: 8
    .kernarg_segment_size: 88
    .language:       OpenCL C
    .language_version:
      - 2
      - 0
    .max_flat_workgroup_size: 256
    .name:           _ZN7rocprim17ROCPRIM_400000_NS6detail17trampoline_kernelINS0_14default_configENS1_36segmented_radix_sort_config_selectorIhlEEZNS1_25segmented_radix_sort_implIS3_Lb1EPKhPhPKlPlN2at6native12_GLOBAL__N_18offset_tEEE10hipError_tPvRmT1_PNSt15iterator_traitsISK_E10value_typeET2_T3_PNSL_ISQ_E10value_typeET4_jRbjT5_SW_jjP12ihipStream_tbEUlT_E1_NS1_11comp_targetILNS1_3genE10ELNS1_11target_archE1200ELNS1_3gpuE4ELNS1_3repE0EEENS1_59segmented_radix_sort_warp_sort_small_config_static_selectorELNS0_4arch9wavefront6targetE0EEEvSK_
    .private_segment_fixed_size: 0
    .sgpr_count:     0
    .sgpr_spill_count: 0
    .symbol:         _ZN7rocprim17ROCPRIM_400000_NS6detail17trampoline_kernelINS0_14default_configENS1_36segmented_radix_sort_config_selectorIhlEEZNS1_25segmented_radix_sort_implIS3_Lb1EPKhPhPKlPlN2at6native12_GLOBAL__N_18offset_tEEE10hipError_tPvRmT1_PNSt15iterator_traitsISK_E10value_typeET2_T3_PNSL_ISQ_E10value_typeET4_jRbjT5_SW_jjP12ihipStream_tbEUlT_E1_NS1_11comp_targetILNS1_3genE10ELNS1_11target_archE1200ELNS1_3gpuE4ELNS1_3repE0EEENS1_59segmented_radix_sort_warp_sort_small_config_static_selectorELNS0_4arch9wavefront6targetE0EEEvSK_.kd
    .uniform_work_group_size: 1
    .uses_dynamic_stack: false
    .vgpr_count:     0
    .vgpr_spill_count: 0
    .wavefront_size: 32
    .workgroup_processor_mode: 1
  - .args:
      - .offset:         0
        .size:           88
        .value_kind:     by_value
      - .offset:         88
        .size:           4
        .value_kind:     hidden_block_count_x
      - .offset:         92
        .size:           4
        .value_kind:     hidden_block_count_y
      - .offset:         96
        .size:           4
        .value_kind:     hidden_block_count_z
      - .offset:         100
        .size:           2
        .value_kind:     hidden_group_size_x
      - .offset:         102
        .size:           2
        .value_kind:     hidden_group_size_y
      - .offset:         104
        .size:           2
        .value_kind:     hidden_group_size_z
      - .offset:         106
        .size:           2
        .value_kind:     hidden_remainder_x
      - .offset:         108
        .size:           2
        .value_kind:     hidden_remainder_y
      - .offset:         110
        .size:           2
        .value_kind:     hidden_remainder_z
      - .offset:         128
        .size:           8
        .value_kind:     hidden_global_offset_x
      - .offset:         136
        .size:           8
        .value_kind:     hidden_global_offset_y
      - .offset:         144
        .size:           8
        .value_kind:     hidden_global_offset_z
      - .offset:         152
        .size:           2
        .value_kind:     hidden_grid_dims
    .group_segment_fixed_size: 9216
    .kernarg_segment_align: 8
    .kernarg_segment_size: 344
    .language:       OpenCL C
    .language_version:
      - 2
      - 0
    .max_flat_workgroup_size: 256
    .name:           _ZN7rocprim17ROCPRIM_400000_NS6detail17trampoline_kernelINS0_14default_configENS1_36segmented_radix_sort_config_selectorIhlEEZNS1_25segmented_radix_sort_implIS3_Lb1EPKhPhPKlPlN2at6native12_GLOBAL__N_18offset_tEEE10hipError_tPvRmT1_PNSt15iterator_traitsISK_E10value_typeET2_T3_PNSL_ISQ_E10value_typeET4_jRbjT5_SW_jjP12ihipStream_tbEUlT_E1_NS1_11comp_targetILNS1_3genE9ELNS1_11target_archE1100ELNS1_3gpuE3ELNS1_3repE0EEENS1_59segmented_radix_sort_warp_sort_small_config_static_selectorELNS0_4arch9wavefront6targetE0EEEvSK_
    .private_segment_fixed_size: 0
    .sgpr_count:     35
    .sgpr_spill_count: 0
    .symbol:         _ZN7rocprim17ROCPRIM_400000_NS6detail17trampoline_kernelINS0_14default_configENS1_36segmented_radix_sort_config_selectorIhlEEZNS1_25segmented_radix_sort_implIS3_Lb1EPKhPhPKlPlN2at6native12_GLOBAL__N_18offset_tEEE10hipError_tPvRmT1_PNSt15iterator_traitsISK_E10value_typeET2_T3_PNSL_ISQ_E10value_typeET4_jRbjT5_SW_jjP12ihipStream_tbEUlT_E1_NS1_11comp_targetILNS1_3genE9ELNS1_11target_archE1100ELNS1_3gpuE3ELNS1_3repE0EEENS1_59segmented_radix_sort_warp_sort_small_config_static_selectorELNS0_4arch9wavefront6targetE0EEEvSK_.kd
    .uniform_work_group_size: 1
    .uses_dynamic_stack: false
    .vgpr_count:     66
    .vgpr_spill_count: 0
    .wavefront_size: 32
    .workgroup_processor_mode: 1
  - .args:
      - .offset:         0
        .size:           88
        .value_kind:     by_value
    .group_segment_fixed_size: 0
    .kernarg_segment_align: 8
    .kernarg_segment_size: 88
    .language:       OpenCL C
    .language_version:
      - 2
      - 0
    .max_flat_workgroup_size: 256
    .name:           _ZN7rocprim17ROCPRIM_400000_NS6detail17trampoline_kernelINS0_14default_configENS1_36segmented_radix_sort_config_selectorIhlEEZNS1_25segmented_radix_sort_implIS3_Lb1EPKhPhPKlPlN2at6native12_GLOBAL__N_18offset_tEEE10hipError_tPvRmT1_PNSt15iterator_traitsISK_E10value_typeET2_T3_PNSL_ISQ_E10value_typeET4_jRbjT5_SW_jjP12ihipStream_tbEUlT_E1_NS1_11comp_targetILNS1_3genE8ELNS1_11target_archE1030ELNS1_3gpuE2ELNS1_3repE0EEENS1_59segmented_radix_sort_warp_sort_small_config_static_selectorELNS0_4arch9wavefront6targetE0EEEvSK_
    .private_segment_fixed_size: 0
    .sgpr_count:     0
    .sgpr_spill_count: 0
    .symbol:         _ZN7rocprim17ROCPRIM_400000_NS6detail17trampoline_kernelINS0_14default_configENS1_36segmented_radix_sort_config_selectorIhlEEZNS1_25segmented_radix_sort_implIS3_Lb1EPKhPhPKlPlN2at6native12_GLOBAL__N_18offset_tEEE10hipError_tPvRmT1_PNSt15iterator_traitsISK_E10value_typeET2_T3_PNSL_ISQ_E10value_typeET4_jRbjT5_SW_jjP12ihipStream_tbEUlT_E1_NS1_11comp_targetILNS1_3genE8ELNS1_11target_archE1030ELNS1_3gpuE2ELNS1_3repE0EEENS1_59segmented_radix_sort_warp_sort_small_config_static_selectorELNS0_4arch9wavefront6targetE0EEEvSK_.kd
    .uniform_work_group_size: 1
    .uses_dynamic_stack: false
    .vgpr_count:     0
    .vgpr_spill_count: 0
    .wavefront_size: 32
    .workgroup_processor_mode: 1
  - .args:
      - .offset:         0
        .size:           80
        .value_kind:     by_value
    .group_segment_fixed_size: 0
    .kernarg_segment_align: 8
    .kernarg_segment_size: 80
    .language:       OpenCL C
    .language_version:
      - 2
      - 0
    .max_flat_workgroup_size: 256
    .name:           _ZN7rocprim17ROCPRIM_400000_NS6detail17trampoline_kernelINS0_14default_configENS1_36segmented_radix_sort_config_selectorIhlEEZNS1_25segmented_radix_sort_implIS3_Lb1EPKhPhPKlPlN2at6native12_GLOBAL__N_18offset_tEEE10hipError_tPvRmT1_PNSt15iterator_traitsISK_E10value_typeET2_T3_PNSL_ISQ_E10value_typeET4_jRbjT5_SW_jjP12ihipStream_tbEUlT_E2_NS1_11comp_targetILNS1_3genE0ELNS1_11target_archE4294967295ELNS1_3gpuE0ELNS1_3repE0EEENS1_30default_config_static_selectorELNS0_4arch9wavefront6targetE0EEEvSK_
    .private_segment_fixed_size: 0
    .sgpr_count:     0
    .sgpr_spill_count: 0
    .symbol:         _ZN7rocprim17ROCPRIM_400000_NS6detail17trampoline_kernelINS0_14default_configENS1_36segmented_radix_sort_config_selectorIhlEEZNS1_25segmented_radix_sort_implIS3_Lb1EPKhPhPKlPlN2at6native12_GLOBAL__N_18offset_tEEE10hipError_tPvRmT1_PNSt15iterator_traitsISK_E10value_typeET2_T3_PNSL_ISQ_E10value_typeET4_jRbjT5_SW_jjP12ihipStream_tbEUlT_E2_NS1_11comp_targetILNS1_3genE0ELNS1_11target_archE4294967295ELNS1_3gpuE0ELNS1_3repE0EEENS1_30default_config_static_selectorELNS0_4arch9wavefront6targetE0EEEvSK_.kd
    .uniform_work_group_size: 1
    .uses_dynamic_stack: false
    .vgpr_count:     0
    .vgpr_spill_count: 0
    .wavefront_size: 32
    .workgroup_processor_mode: 1
  - .args:
      - .offset:         0
        .size:           80
        .value_kind:     by_value
    .group_segment_fixed_size: 0
    .kernarg_segment_align: 8
    .kernarg_segment_size: 80
    .language:       OpenCL C
    .language_version:
      - 2
      - 0
    .max_flat_workgroup_size: 256
    .name:           _ZN7rocprim17ROCPRIM_400000_NS6detail17trampoline_kernelINS0_14default_configENS1_36segmented_radix_sort_config_selectorIhlEEZNS1_25segmented_radix_sort_implIS3_Lb1EPKhPhPKlPlN2at6native12_GLOBAL__N_18offset_tEEE10hipError_tPvRmT1_PNSt15iterator_traitsISK_E10value_typeET2_T3_PNSL_ISQ_E10value_typeET4_jRbjT5_SW_jjP12ihipStream_tbEUlT_E2_NS1_11comp_targetILNS1_3genE5ELNS1_11target_archE942ELNS1_3gpuE9ELNS1_3repE0EEENS1_30default_config_static_selectorELNS0_4arch9wavefront6targetE0EEEvSK_
    .private_segment_fixed_size: 0
    .sgpr_count:     0
    .sgpr_spill_count: 0
    .symbol:         _ZN7rocprim17ROCPRIM_400000_NS6detail17trampoline_kernelINS0_14default_configENS1_36segmented_radix_sort_config_selectorIhlEEZNS1_25segmented_radix_sort_implIS3_Lb1EPKhPhPKlPlN2at6native12_GLOBAL__N_18offset_tEEE10hipError_tPvRmT1_PNSt15iterator_traitsISK_E10value_typeET2_T3_PNSL_ISQ_E10value_typeET4_jRbjT5_SW_jjP12ihipStream_tbEUlT_E2_NS1_11comp_targetILNS1_3genE5ELNS1_11target_archE942ELNS1_3gpuE9ELNS1_3repE0EEENS1_30default_config_static_selectorELNS0_4arch9wavefront6targetE0EEEvSK_.kd
    .uniform_work_group_size: 1
    .uses_dynamic_stack: false
    .vgpr_count:     0
    .vgpr_spill_count: 0
    .wavefront_size: 32
    .workgroup_processor_mode: 1
  - .args:
      - .offset:         0
        .size:           80
        .value_kind:     by_value
    .group_segment_fixed_size: 0
    .kernarg_segment_align: 8
    .kernarg_segment_size: 80
    .language:       OpenCL C
    .language_version:
      - 2
      - 0
    .max_flat_workgroup_size: 256
    .name:           _ZN7rocprim17ROCPRIM_400000_NS6detail17trampoline_kernelINS0_14default_configENS1_36segmented_radix_sort_config_selectorIhlEEZNS1_25segmented_radix_sort_implIS3_Lb1EPKhPhPKlPlN2at6native12_GLOBAL__N_18offset_tEEE10hipError_tPvRmT1_PNSt15iterator_traitsISK_E10value_typeET2_T3_PNSL_ISQ_E10value_typeET4_jRbjT5_SW_jjP12ihipStream_tbEUlT_E2_NS1_11comp_targetILNS1_3genE4ELNS1_11target_archE910ELNS1_3gpuE8ELNS1_3repE0EEENS1_30default_config_static_selectorELNS0_4arch9wavefront6targetE0EEEvSK_
    .private_segment_fixed_size: 0
    .sgpr_count:     0
    .sgpr_spill_count: 0
    .symbol:         _ZN7rocprim17ROCPRIM_400000_NS6detail17trampoline_kernelINS0_14default_configENS1_36segmented_radix_sort_config_selectorIhlEEZNS1_25segmented_radix_sort_implIS3_Lb1EPKhPhPKlPlN2at6native12_GLOBAL__N_18offset_tEEE10hipError_tPvRmT1_PNSt15iterator_traitsISK_E10value_typeET2_T3_PNSL_ISQ_E10value_typeET4_jRbjT5_SW_jjP12ihipStream_tbEUlT_E2_NS1_11comp_targetILNS1_3genE4ELNS1_11target_archE910ELNS1_3gpuE8ELNS1_3repE0EEENS1_30default_config_static_selectorELNS0_4arch9wavefront6targetE0EEEvSK_.kd
    .uniform_work_group_size: 1
    .uses_dynamic_stack: false
    .vgpr_count:     0
    .vgpr_spill_count: 0
    .wavefront_size: 32
    .workgroup_processor_mode: 1
  - .args:
      - .offset:         0
        .size:           80
        .value_kind:     by_value
    .group_segment_fixed_size: 0
    .kernarg_segment_align: 8
    .kernarg_segment_size: 80
    .language:       OpenCL C
    .language_version:
      - 2
      - 0
    .max_flat_workgroup_size: 256
    .name:           _ZN7rocprim17ROCPRIM_400000_NS6detail17trampoline_kernelINS0_14default_configENS1_36segmented_radix_sort_config_selectorIhlEEZNS1_25segmented_radix_sort_implIS3_Lb1EPKhPhPKlPlN2at6native12_GLOBAL__N_18offset_tEEE10hipError_tPvRmT1_PNSt15iterator_traitsISK_E10value_typeET2_T3_PNSL_ISQ_E10value_typeET4_jRbjT5_SW_jjP12ihipStream_tbEUlT_E2_NS1_11comp_targetILNS1_3genE3ELNS1_11target_archE908ELNS1_3gpuE7ELNS1_3repE0EEENS1_30default_config_static_selectorELNS0_4arch9wavefront6targetE0EEEvSK_
    .private_segment_fixed_size: 0
    .sgpr_count:     0
    .sgpr_spill_count: 0
    .symbol:         _ZN7rocprim17ROCPRIM_400000_NS6detail17trampoline_kernelINS0_14default_configENS1_36segmented_radix_sort_config_selectorIhlEEZNS1_25segmented_radix_sort_implIS3_Lb1EPKhPhPKlPlN2at6native12_GLOBAL__N_18offset_tEEE10hipError_tPvRmT1_PNSt15iterator_traitsISK_E10value_typeET2_T3_PNSL_ISQ_E10value_typeET4_jRbjT5_SW_jjP12ihipStream_tbEUlT_E2_NS1_11comp_targetILNS1_3genE3ELNS1_11target_archE908ELNS1_3gpuE7ELNS1_3repE0EEENS1_30default_config_static_selectorELNS0_4arch9wavefront6targetE0EEEvSK_.kd
    .uniform_work_group_size: 1
    .uses_dynamic_stack: false
    .vgpr_count:     0
    .vgpr_spill_count: 0
    .wavefront_size: 32
    .workgroup_processor_mode: 1
  - .args:
      - .offset:         0
        .size:           80
        .value_kind:     by_value
    .group_segment_fixed_size: 0
    .kernarg_segment_align: 8
    .kernarg_segment_size: 80
    .language:       OpenCL C
    .language_version:
      - 2
      - 0
    .max_flat_workgroup_size: 256
    .name:           _ZN7rocprim17ROCPRIM_400000_NS6detail17trampoline_kernelINS0_14default_configENS1_36segmented_radix_sort_config_selectorIhlEEZNS1_25segmented_radix_sort_implIS3_Lb1EPKhPhPKlPlN2at6native12_GLOBAL__N_18offset_tEEE10hipError_tPvRmT1_PNSt15iterator_traitsISK_E10value_typeET2_T3_PNSL_ISQ_E10value_typeET4_jRbjT5_SW_jjP12ihipStream_tbEUlT_E2_NS1_11comp_targetILNS1_3genE2ELNS1_11target_archE906ELNS1_3gpuE6ELNS1_3repE0EEENS1_30default_config_static_selectorELNS0_4arch9wavefront6targetE0EEEvSK_
    .private_segment_fixed_size: 0
    .sgpr_count:     0
    .sgpr_spill_count: 0
    .symbol:         _ZN7rocprim17ROCPRIM_400000_NS6detail17trampoline_kernelINS0_14default_configENS1_36segmented_radix_sort_config_selectorIhlEEZNS1_25segmented_radix_sort_implIS3_Lb1EPKhPhPKlPlN2at6native12_GLOBAL__N_18offset_tEEE10hipError_tPvRmT1_PNSt15iterator_traitsISK_E10value_typeET2_T3_PNSL_ISQ_E10value_typeET4_jRbjT5_SW_jjP12ihipStream_tbEUlT_E2_NS1_11comp_targetILNS1_3genE2ELNS1_11target_archE906ELNS1_3gpuE6ELNS1_3repE0EEENS1_30default_config_static_selectorELNS0_4arch9wavefront6targetE0EEEvSK_.kd
    .uniform_work_group_size: 1
    .uses_dynamic_stack: false
    .vgpr_count:     0
    .vgpr_spill_count: 0
    .wavefront_size: 32
    .workgroup_processor_mode: 1
  - .args:
      - .offset:         0
        .size:           80
        .value_kind:     by_value
    .group_segment_fixed_size: 0
    .kernarg_segment_align: 8
    .kernarg_segment_size: 80
    .language:       OpenCL C
    .language_version:
      - 2
      - 0
    .max_flat_workgroup_size: 256
    .name:           _ZN7rocprim17ROCPRIM_400000_NS6detail17trampoline_kernelINS0_14default_configENS1_36segmented_radix_sort_config_selectorIhlEEZNS1_25segmented_radix_sort_implIS3_Lb1EPKhPhPKlPlN2at6native12_GLOBAL__N_18offset_tEEE10hipError_tPvRmT1_PNSt15iterator_traitsISK_E10value_typeET2_T3_PNSL_ISQ_E10value_typeET4_jRbjT5_SW_jjP12ihipStream_tbEUlT_E2_NS1_11comp_targetILNS1_3genE10ELNS1_11target_archE1201ELNS1_3gpuE5ELNS1_3repE0EEENS1_30default_config_static_selectorELNS0_4arch9wavefront6targetE0EEEvSK_
    .private_segment_fixed_size: 0
    .sgpr_count:     0
    .sgpr_spill_count: 0
    .symbol:         _ZN7rocprim17ROCPRIM_400000_NS6detail17trampoline_kernelINS0_14default_configENS1_36segmented_radix_sort_config_selectorIhlEEZNS1_25segmented_radix_sort_implIS3_Lb1EPKhPhPKlPlN2at6native12_GLOBAL__N_18offset_tEEE10hipError_tPvRmT1_PNSt15iterator_traitsISK_E10value_typeET2_T3_PNSL_ISQ_E10value_typeET4_jRbjT5_SW_jjP12ihipStream_tbEUlT_E2_NS1_11comp_targetILNS1_3genE10ELNS1_11target_archE1201ELNS1_3gpuE5ELNS1_3repE0EEENS1_30default_config_static_selectorELNS0_4arch9wavefront6targetE0EEEvSK_.kd
    .uniform_work_group_size: 1
    .uses_dynamic_stack: false
    .vgpr_count:     0
    .vgpr_spill_count: 0
    .wavefront_size: 32
    .workgroup_processor_mode: 1
  - .args:
      - .offset:         0
        .size:           80
        .value_kind:     by_value
    .group_segment_fixed_size: 0
    .kernarg_segment_align: 8
    .kernarg_segment_size: 80
    .language:       OpenCL C
    .language_version:
      - 2
      - 0
    .max_flat_workgroup_size: 128
    .name:           _ZN7rocprim17ROCPRIM_400000_NS6detail17trampoline_kernelINS0_14default_configENS1_36segmented_radix_sort_config_selectorIhlEEZNS1_25segmented_radix_sort_implIS3_Lb1EPKhPhPKlPlN2at6native12_GLOBAL__N_18offset_tEEE10hipError_tPvRmT1_PNSt15iterator_traitsISK_E10value_typeET2_T3_PNSL_ISQ_E10value_typeET4_jRbjT5_SW_jjP12ihipStream_tbEUlT_E2_NS1_11comp_targetILNS1_3genE10ELNS1_11target_archE1200ELNS1_3gpuE4ELNS1_3repE0EEENS1_30default_config_static_selectorELNS0_4arch9wavefront6targetE0EEEvSK_
    .private_segment_fixed_size: 0
    .sgpr_count:     0
    .sgpr_spill_count: 0
    .symbol:         _ZN7rocprim17ROCPRIM_400000_NS6detail17trampoline_kernelINS0_14default_configENS1_36segmented_radix_sort_config_selectorIhlEEZNS1_25segmented_radix_sort_implIS3_Lb1EPKhPhPKlPlN2at6native12_GLOBAL__N_18offset_tEEE10hipError_tPvRmT1_PNSt15iterator_traitsISK_E10value_typeET2_T3_PNSL_ISQ_E10value_typeET4_jRbjT5_SW_jjP12ihipStream_tbEUlT_E2_NS1_11comp_targetILNS1_3genE10ELNS1_11target_archE1200ELNS1_3gpuE4ELNS1_3repE0EEENS1_30default_config_static_selectorELNS0_4arch9wavefront6targetE0EEEvSK_.kd
    .uniform_work_group_size: 1
    .uses_dynamic_stack: false
    .vgpr_count:     0
    .vgpr_spill_count: 0
    .wavefront_size: 32
    .workgroup_processor_mode: 1
  - .args:
      - .offset:         0
        .size:           80
        .value_kind:     by_value
      - .offset:         80
        .size:           4
        .value_kind:     hidden_block_count_x
      - .offset:         84
        .size:           4
        .value_kind:     hidden_block_count_y
      - .offset:         88
        .size:           4
        .value_kind:     hidden_block_count_z
      - .offset:         92
        .size:           2
        .value_kind:     hidden_group_size_x
      - .offset:         94
        .size:           2
        .value_kind:     hidden_group_size_y
      - .offset:         96
        .size:           2
        .value_kind:     hidden_group_size_z
      - .offset:         98
        .size:           2
        .value_kind:     hidden_remainder_x
      - .offset:         100
        .size:           2
        .value_kind:     hidden_remainder_y
      - .offset:         102
        .size:           2
        .value_kind:     hidden_remainder_z
      - .offset:         120
        .size:           8
        .value_kind:     hidden_global_offset_x
      - .offset:         128
        .size:           8
        .value_kind:     hidden_global_offset_y
      - .offset:         136
        .size:           8
        .value_kind:     hidden_global_offset_z
      - .offset:         144
        .size:           2
        .value_kind:     hidden_grid_dims
    .group_segment_fixed_size: 17440
    .kernarg_segment_align: 8
    .kernarg_segment_size: 336
    .language:       OpenCL C
    .language_version:
      - 2
      - 0
    .max_flat_workgroup_size: 256
    .name:           _ZN7rocprim17ROCPRIM_400000_NS6detail17trampoline_kernelINS0_14default_configENS1_36segmented_radix_sort_config_selectorIhlEEZNS1_25segmented_radix_sort_implIS3_Lb1EPKhPhPKlPlN2at6native12_GLOBAL__N_18offset_tEEE10hipError_tPvRmT1_PNSt15iterator_traitsISK_E10value_typeET2_T3_PNSL_ISQ_E10value_typeET4_jRbjT5_SW_jjP12ihipStream_tbEUlT_E2_NS1_11comp_targetILNS1_3genE9ELNS1_11target_archE1100ELNS1_3gpuE3ELNS1_3repE0EEENS1_30default_config_static_selectorELNS0_4arch9wavefront6targetE0EEEvSK_
    .private_segment_fixed_size: 0
    .sgpr_count:     56
    .sgpr_spill_count: 0
    .symbol:         _ZN7rocprim17ROCPRIM_400000_NS6detail17trampoline_kernelINS0_14default_configENS1_36segmented_radix_sort_config_selectorIhlEEZNS1_25segmented_radix_sort_implIS3_Lb1EPKhPhPKlPlN2at6native12_GLOBAL__N_18offset_tEEE10hipError_tPvRmT1_PNSt15iterator_traitsISK_E10value_typeET2_T3_PNSL_ISQ_E10value_typeET4_jRbjT5_SW_jjP12ihipStream_tbEUlT_E2_NS1_11comp_targetILNS1_3genE9ELNS1_11target_archE1100ELNS1_3gpuE3ELNS1_3repE0EEENS1_30default_config_static_selectorELNS0_4arch9wavefront6targetE0EEEvSK_.kd
    .uniform_work_group_size: 1
    .uses_dynamic_stack: false
    .vgpr_count:     183
    .vgpr_spill_count: 0
    .wavefront_size: 32
    .workgroup_processor_mode: 1
  - .args:
      - .offset:         0
        .size:           80
        .value_kind:     by_value
    .group_segment_fixed_size: 0
    .kernarg_segment_align: 8
    .kernarg_segment_size: 80
    .language:       OpenCL C
    .language_version:
      - 2
      - 0
    .max_flat_workgroup_size: 256
    .name:           _ZN7rocprim17ROCPRIM_400000_NS6detail17trampoline_kernelINS0_14default_configENS1_36segmented_radix_sort_config_selectorIhlEEZNS1_25segmented_radix_sort_implIS3_Lb1EPKhPhPKlPlN2at6native12_GLOBAL__N_18offset_tEEE10hipError_tPvRmT1_PNSt15iterator_traitsISK_E10value_typeET2_T3_PNSL_ISQ_E10value_typeET4_jRbjT5_SW_jjP12ihipStream_tbEUlT_E2_NS1_11comp_targetILNS1_3genE8ELNS1_11target_archE1030ELNS1_3gpuE2ELNS1_3repE0EEENS1_30default_config_static_selectorELNS0_4arch9wavefront6targetE0EEEvSK_
    .private_segment_fixed_size: 0
    .sgpr_count:     0
    .sgpr_spill_count: 0
    .symbol:         _ZN7rocprim17ROCPRIM_400000_NS6detail17trampoline_kernelINS0_14default_configENS1_36segmented_radix_sort_config_selectorIhlEEZNS1_25segmented_radix_sort_implIS3_Lb1EPKhPhPKlPlN2at6native12_GLOBAL__N_18offset_tEEE10hipError_tPvRmT1_PNSt15iterator_traitsISK_E10value_typeET2_T3_PNSL_ISQ_E10value_typeET4_jRbjT5_SW_jjP12ihipStream_tbEUlT_E2_NS1_11comp_targetILNS1_3genE8ELNS1_11target_archE1030ELNS1_3gpuE2ELNS1_3repE0EEENS1_30default_config_static_selectorELNS0_4arch9wavefront6targetE0EEEvSK_.kd
    .uniform_work_group_size: 1
    .uses_dynamic_stack: false
    .vgpr_count:     0
    .vgpr_spill_count: 0
    .wavefront_size: 32
    .workgroup_processor_mode: 1
  - .args:
      - .offset:         0
        .size:           176
        .value_kind:     by_value
    .group_segment_fixed_size: 0
    .kernarg_segment_align: 8
    .kernarg_segment_size: 176
    .language:       OpenCL C
    .language_version:
      - 2
      - 0
    .max_flat_workgroup_size: 256
    .name:           _ZN7rocprim17ROCPRIM_400000_NS6detail17trampoline_kernelINS0_13select_configILj256ELj13ELNS0_17block_load_methodE3ELS4_3ELS4_3ELNS0_20block_scan_algorithmE0ELj4294967295EEENS1_25partition_config_selectorILNS1_17partition_subalgoE4EjNS0_10empty_typeEbEEZZNS1_14partition_implILS8_4ELb0ES6_15HIP_vector_typeIjLj2EENS0_17counting_iteratorIjlEEPS9_SG_NS0_5tupleIJPjSI_NS0_16reverse_iteratorISI_EEEEENSH_IJSG_SG_SG_EEES9_SI_JZNS1_25segmented_radix_sort_implINS0_14default_configELb0EPKhPhPKlPlN2at6native12_GLOBAL__N_18offset_tEEE10hipError_tPvRmT1_PNSt15iterator_traitsIS12_E10value_typeET2_T3_PNS13_IS18_E10value_typeET4_jRbjT5_S1E_jjP12ihipStream_tbEUljE_ZNSN_ISO_Lb0ESQ_SR_ST_SU_SY_EESZ_S10_S11_S12_S16_S17_S18_S1B_S1C_jS1D_jS1E_S1E_jjS1G_bEUljE0_EEESZ_S10_S11_S18_S1C_S1E_T6_T7_T9_mT8_S1G_bDpT10_ENKUlT_T0_E_clISt17integral_constantIbLb0EES1U_EEDaS1P_S1Q_EUlS1P_E_NS1_11comp_targetILNS1_3genE0ELNS1_11target_archE4294967295ELNS1_3gpuE0ELNS1_3repE0EEENS1_30default_config_static_selectorELNS0_4arch9wavefront6targetE0EEEvS12_
    .private_segment_fixed_size: 0
    .sgpr_count:     0
    .sgpr_spill_count: 0
    .symbol:         _ZN7rocprim17ROCPRIM_400000_NS6detail17trampoline_kernelINS0_13select_configILj256ELj13ELNS0_17block_load_methodE3ELS4_3ELS4_3ELNS0_20block_scan_algorithmE0ELj4294967295EEENS1_25partition_config_selectorILNS1_17partition_subalgoE4EjNS0_10empty_typeEbEEZZNS1_14partition_implILS8_4ELb0ES6_15HIP_vector_typeIjLj2EENS0_17counting_iteratorIjlEEPS9_SG_NS0_5tupleIJPjSI_NS0_16reverse_iteratorISI_EEEEENSH_IJSG_SG_SG_EEES9_SI_JZNS1_25segmented_radix_sort_implINS0_14default_configELb0EPKhPhPKlPlN2at6native12_GLOBAL__N_18offset_tEEE10hipError_tPvRmT1_PNSt15iterator_traitsIS12_E10value_typeET2_T3_PNS13_IS18_E10value_typeET4_jRbjT5_S1E_jjP12ihipStream_tbEUljE_ZNSN_ISO_Lb0ESQ_SR_ST_SU_SY_EESZ_S10_S11_S12_S16_S17_S18_S1B_S1C_jS1D_jS1E_S1E_jjS1G_bEUljE0_EEESZ_S10_S11_S18_S1C_S1E_T6_T7_T9_mT8_S1G_bDpT10_ENKUlT_T0_E_clISt17integral_constantIbLb0EES1U_EEDaS1P_S1Q_EUlS1P_E_NS1_11comp_targetILNS1_3genE0ELNS1_11target_archE4294967295ELNS1_3gpuE0ELNS1_3repE0EEENS1_30default_config_static_selectorELNS0_4arch9wavefront6targetE0EEEvS12_.kd
    .uniform_work_group_size: 1
    .uses_dynamic_stack: false
    .vgpr_count:     0
    .vgpr_spill_count: 0
    .wavefront_size: 32
    .workgroup_processor_mode: 1
  - .args:
      - .offset:         0
        .size:           176
        .value_kind:     by_value
    .group_segment_fixed_size: 0
    .kernarg_segment_align: 8
    .kernarg_segment_size: 176
    .language:       OpenCL C
    .language_version:
      - 2
      - 0
    .max_flat_workgroup_size: 256
    .name:           _ZN7rocprim17ROCPRIM_400000_NS6detail17trampoline_kernelINS0_13select_configILj256ELj13ELNS0_17block_load_methodE3ELS4_3ELS4_3ELNS0_20block_scan_algorithmE0ELj4294967295EEENS1_25partition_config_selectorILNS1_17partition_subalgoE4EjNS0_10empty_typeEbEEZZNS1_14partition_implILS8_4ELb0ES6_15HIP_vector_typeIjLj2EENS0_17counting_iteratorIjlEEPS9_SG_NS0_5tupleIJPjSI_NS0_16reverse_iteratorISI_EEEEENSH_IJSG_SG_SG_EEES9_SI_JZNS1_25segmented_radix_sort_implINS0_14default_configELb0EPKhPhPKlPlN2at6native12_GLOBAL__N_18offset_tEEE10hipError_tPvRmT1_PNSt15iterator_traitsIS12_E10value_typeET2_T3_PNS13_IS18_E10value_typeET4_jRbjT5_S1E_jjP12ihipStream_tbEUljE_ZNSN_ISO_Lb0ESQ_SR_ST_SU_SY_EESZ_S10_S11_S12_S16_S17_S18_S1B_S1C_jS1D_jS1E_S1E_jjS1G_bEUljE0_EEESZ_S10_S11_S18_S1C_S1E_T6_T7_T9_mT8_S1G_bDpT10_ENKUlT_T0_E_clISt17integral_constantIbLb0EES1U_EEDaS1P_S1Q_EUlS1P_E_NS1_11comp_targetILNS1_3genE5ELNS1_11target_archE942ELNS1_3gpuE9ELNS1_3repE0EEENS1_30default_config_static_selectorELNS0_4arch9wavefront6targetE0EEEvS12_
    .private_segment_fixed_size: 0
    .sgpr_count:     0
    .sgpr_spill_count: 0
    .symbol:         _ZN7rocprim17ROCPRIM_400000_NS6detail17trampoline_kernelINS0_13select_configILj256ELj13ELNS0_17block_load_methodE3ELS4_3ELS4_3ELNS0_20block_scan_algorithmE0ELj4294967295EEENS1_25partition_config_selectorILNS1_17partition_subalgoE4EjNS0_10empty_typeEbEEZZNS1_14partition_implILS8_4ELb0ES6_15HIP_vector_typeIjLj2EENS0_17counting_iteratorIjlEEPS9_SG_NS0_5tupleIJPjSI_NS0_16reverse_iteratorISI_EEEEENSH_IJSG_SG_SG_EEES9_SI_JZNS1_25segmented_radix_sort_implINS0_14default_configELb0EPKhPhPKlPlN2at6native12_GLOBAL__N_18offset_tEEE10hipError_tPvRmT1_PNSt15iterator_traitsIS12_E10value_typeET2_T3_PNS13_IS18_E10value_typeET4_jRbjT5_S1E_jjP12ihipStream_tbEUljE_ZNSN_ISO_Lb0ESQ_SR_ST_SU_SY_EESZ_S10_S11_S12_S16_S17_S18_S1B_S1C_jS1D_jS1E_S1E_jjS1G_bEUljE0_EEESZ_S10_S11_S18_S1C_S1E_T6_T7_T9_mT8_S1G_bDpT10_ENKUlT_T0_E_clISt17integral_constantIbLb0EES1U_EEDaS1P_S1Q_EUlS1P_E_NS1_11comp_targetILNS1_3genE5ELNS1_11target_archE942ELNS1_3gpuE9ELNS1_3repE0EEENS1_30default_config_static_selectorELNS0_4arch9wavefront6targetE0EEEvS12_.kd
    .uniform_work_group_size: 1
    .uses_dynamic_stack: false
    .vgpr_count:     0
    .vgpr_spill_count: 0
    .wavefront_size: 32
    .workgroup_processor_mode: 1
  - .args:
      - .offset:         0
        .size:           176
        .value_kind:     by_value
    .group_segment_fixed_size: 0
    .kernarg_segment_align: 8
    .kernarg_segment_size: 176
    .language:       OpenCL C
    .language_version:
      - 2
      - 0
    .max_flat_workgroup_size: 256
    .name:           _ZN7rocprim17ROCPRIM_400000_NS6detail17trampoline_kernelINS0_13select_configILj256ELj13ELNS0_17block_load_methodE3ELS4_3ELS4_3ELNS0_20block_scan_algorithmE0ELj4294967295EEENS1_25partition_config_selectorILNS1_17partition_subalgoE4EjNS0_10empty_typeEbEEZZNS1_14partition_implILS8_4ELb0ES6_15HIP_vector_typeIjLj2EENS0_17counting_iteratorIjlEEPS9_SG_NS0_5tupleIJPjSI_NS0_16reverse_iteratorISI_EEEEENSH_IJSG_SG_SG_EEES9_SI_JZNS1_25segmented_radix_sort_implINS0_14default_configELb0EPKhPhPKlPlN2at6native12_GLOBAL__N_18offset_tEEE10hipError_tPvRmT1_PNSt15iterator_traitsIS12_E10value_typeET2_T3_PNS13_IS18_E10value_typeET4_jRbjT5_S1E_jjP12ihipStream_tbEUljE_ZNSN_ISO_Lb0ESQ_SR_ST_SU_SY_EESZ_S10_S11_S12_S16_S17_S18_S1B_S1C_jS1D_jS1E_S1E_jjS1G_bEUljE0_EEESZ_S10_S11_S18_S1C_S1E_T6_T7_T9_mT8_S1G_bDpT10_ENKUlT_T0_E_clISt17integral_constantIbLb0EES1U_EEDaS1P_S1Q_EUlS1P_E_NS1_11comp_targetILNS1_3genE4ELNS1_11target_archE910ELNS1_3gpuE8ELNS1_3repE0EEENS1_30default_config_static_selectorELNS0_4arch9wavefront6targetE0EEEvS12_
    .private_segment_fixed_size: 0
    .sgpr_count:     0
    .sgpr_spill_count: 0
    .symbol:         _ZN7rocprim17ROCPRIM_400000_NS6detail17trampoline_kernelINS0_13select_configILj256ELj13ELNS0_17block_load_methodE3ELS4_3ELS4_3ELNS0_20block_scan_algorithmE0ELj4294967295EEENS1_25partition_config_selectorILNS1_17partition_subalgoE4EjNS0_10empty_typeEbEEZZNS1_14partition_implILS8_4ELb0ES6_15HIP_vector_typeIjLj2EENS0_17counting_iteratorIjlEEPS9_SG_NS0_5tupleIJPjSI_NS0_16reverse_iteratorISI_EEEEENSH_IJSG_SG_SG_EEES9_SI_JZNS1_25segmented_radix_sort_implINS0_14default_configELb0EPKhPhPKlPlN2at6native12_GLOBAL__N_18offset_tEEE10hipError_tPvRmT1_PNSt15iterator_traitsIS12_E10value_typeET2_T3_PNS13_IS18_E10value_typeET4_jRbjT5_S1E_jjP12ihipStream_tbEUljE_ZNSN_ISO_Lb0ESQ_SR_ST_SU_SY_EESZ_S10_S11_S12_S16_S17_S18_S1B_S1C_jS1D_jS1E_S1E_jjS1G_bEUljE0_EEESZ_S10_S11_S18_S1C_S1E_T6_T7_T9_mT8_S1G_bDpT10_ENKUlT_T0_E_clISt17integral_constantIbLb0EES1U_EEDaS1P_S1Q_EUlS1P_E_NS1_11comp_targetILNS1_3genE4ELNS1_11target_archE910ELNS1_3gpuE8ELNS1_3repE0EEENS1_30default_config_static_selectorELNS0_4arch9wavefront6targetE0EEEvS12_.kd
    .uniform_work_group_size: 1
    .uses_dynamic_stack: false
    .vgpr_count:     0
    .vgpr_spill_count: 0
    .wavefront_size: 32
    .workgroup_processor_mode: 1
  - .args:
      - .offset:         0
        .size:           176
        .value_kind:     by_value
    .group_segment_fixed_size: 0
    .kernarg_segment_align: 8
    .kernarg_segment_size: 176
    .language:       OpenCL C
    .language_version:
      - 2
      - 0
    .max_flat_workgroup_size: 256
    .name:           _ZN7rocprim17ROCPRIM_400000_NS6detail17trampoline_kernelINS0_13select_configILj256ELj13ELNS0_17block_load_methodE3ELS4_3ELS4_3ELNS0_20block_scan_algorithmE0ELj4294967295EEENS1_25partition_config_selectorILNS1_17partition_subalgoE4EjNS0_10empty_typeEbEEZZNS1_14partition_implILS8_4ELb0ES6_15HIP_vector_typeIjLj2EENS0_17counting_iteratorIjlEEPS9_SG_NS0_5tupleIJPjSI_NS0_16reverse_iteratorISI_EEEEENSH_IJSG_SG_SG_EEES9_SI_JZNS1_25segmented_radix_sort_implINS0_14default_configELb0EPKhPhPKlPlN2at6native12_GLOBAL__N_18offset_tEEE10hipError_tPvRmT1_PNSt15iterator_traitsIS12_E10value_typeET2_T3_PNS13_IS18_E10value_typeET4_jRbjT5_S1E_jjP12ihipStream_tbEUljE_ZNSN_ISO_Lb0ESQ_SR_ST_SU_SY_EESZ_S10_S11_S12_S16_S17_S18_S1B_S1C_jS1D_jS1E_S1E_jjS1G_bEUljE0_EEESZ_S10_S11_S18_S1C_S1E_T6_T7_T9_mT8_S1G_bDpT10_ENKUlT_T0_E_clISt17integral_constantIbLb0EES1U_EEDaS1P_S1Q_EUlS1P_E_NS1_11comp_targetILNS1_3genE3ELNS1_11target_archE908ELNS1_3gpuE7ELNS1_3repE0EEENS1_30default_config_static_selectorELNS0_4arch9wavefront6targetE0EEEvS12_
    .private_segment_fixed_size: 0
    .sgpr_count:     0
    .sgpr_spill_count: 0
    .symbol:         _ZN7rocprim17ROCPRIM_400000_NS6detail17trampoline_kernelINS0_13select_configILj256ELj13ELNS0_17block_load_methodE3ELS4_3ELS4_3ELNS0_20block_scan_algorithmE0ELj4294967295EEENS1_25partition_config_selectorILNS1_17partition_subalgoE4EjNS0_10empty_typeEbEEZZNS1_14partition_implILS8_4ELb0ES6_15HIP_vector_typeIjLj2EENS0_17counting_iteratorIjlEEPS9_SG_NS0_5tupleIJPjSI_NS0_16reverse_iteratorISI_EEEEENSH_IJSG_SG_SG_EEES9_SI_JZNS1_25segmented_radix_sort_implINS0_14default_configELb0EPKhPhPKlPlN2at6native12_GLOBAL__N_18offset_tEEE10hipError_tPvRmT1_PNSt15iterator_traitsIS12_E10value_typeET2_T3_PNS13_IS18_E10value_typeET4_jRbjT5_S1E_jjP12ihipStream_tbEUljE_ZNSN_ISO_Lb0ESQ_SR_ST_SU_SY_EESZ_S10_S11_S12_S16_S17_S18_S1B_S1C_jS1D_jS1E_S1E_jjS1G_bEUljE0_EEESZ_S10_S11_S18_S1C_S1E_T6_T7_T9_mT8_S1G_bDpT10_ENKUlT_T0_E_clISt17integral_constantIbLb0EES1U_EEDaS1P_S1Q_EUlS1P_E_NS1_11comp_targetILNS1_3genE3ELNS1_11target_archE908ELNS1_3gpuE7ELNS1_3repE0EEENS1_30default_config_static_selectorELNS0_4arch9wavefront6targetE0EEEvS12_.kd
    .uniform_work_group_size: 1
    .uses_dynamic_stack: false
    .vgpr_count:     0
    .vgpr_spill_count: 0
    .wavefront_size: 32
    .workgroup_processor_mode: 1
  - .args:
      - .offset:         0
        .size:           176
        .value_kind:     by_value
    .group_segment_fixed_size: 0
    .kernarg_segment_align: 8
    .kernarg_segment_size: 176
    .language:       OpenCL C
    .language_version:
      - 2
      - 0
    .max_flat_workgroup_size: 256
    .name:           _ZN7rocprim17ROCPRIM_400000_NS6detail17trampoline_kernelINS0_13select_configILj256ELj13ELNS0_17block_load_methodE3ELS4_3ELS4_3ELNS0_20block_scan_algorithmE0ELj4294967295EEENS1_25partition_config_selectorILNS1_17partition_subalgoE4EjNS0_10empty_typeEbEEZZNS1_14partition_implILS8_4ELb0ES6_15HIP_vector_typeIjLj2EENS0_17counting_iteratorIjlEEPS9_SG_NS0_5tupleIJPjSI_NS0_16reverse_iteratorISI_EEEEENSH_IJSG_SG_SG_EEES9_SI_JZNS1_25segmented_radix_sort_implINS0_14default_configELb0EPKhPhPKlPlN2at6native12_GLOBAL__N_18offset_tEEE10hipError_tPvRmT1_PNSt15iterator_traitsIS12_E10value_typeET2_T3_PNS13_IS18_E10value_typeET4_jRbjT5_S1E_jjP12ihipStream_tbEUljE_ZNSN_ISO_Lb0ESQ_SR_ST_SU_SY_EESZ_S10_S11_S12_S16_S17_S18_S1B_S1C_jS1D_jS1E_S1E_jjS1G_bEUljE0_EEESZ_S10_S11_S18_S1C_S1E_T6_T7_T9_mT8_S1G_bDpT10_ENKUlT_T0_E_clISt17integral_constantIbLb0EES1U_EEDaS1P_S1Q_EUlS1P_E_NS1_11comp_targetILNS1_3genE2ELNS1_11target_archE906ELNS1_3gpuE6ELNS1_3repE0EEENS1_30default_config_static_selectorELNS0_4arch9wavefront6targetE0EEEvS12_
    .private_segment_fixed_size: 0
    .sgpr_count:     0
    .sgpr_spill_count: 0
    .symbol:         _ZN7rocprim17ROCPRIM_400000_NS6detail17trampoline_kernelINS0_13select_configILj256ELj13ELNS0_17block_load_methodE3ELS4_3ELS4_3ELNS0_20block_scan_algorithmE0ELj4294967295EEENS1_25partition_config_selectorILNS1_17partition_subalgoE4EjNS0_10empty_typeEbEEZZNS1_14partition_implILS8_4ELb0ES6_15HIP_vector_typeIjLj2EENS0_17counting_iteratorIjlEEPS9_SG_NS0_5tupleIJPjSI_NS0_16reverse_iteratorISI_EEEEENSH_IJSG_SG_SG_EEES9_SI_JZNS1_25segmented_radix_sort_implINS0_14default_configELb0EPKhPhPKlPlN2at6native12_GLOBAL__N_18offset_tEEE10hipError_tPvRmT1_PNSt15iterator_traitsIS12_E10value_typeET2_T3_PNS13_IS18_E10value_typeET4_jRbjT5_S1E_jjP12ihipStream_tbEUljE_ZNSN_ISO_Lb0ESQ_SR_ST_SU_SY_EESZ_S10_S11_S12_S16_S17_S18_S1B_S1C_jS1D_jS1E_S1E_jjS1G_bEUljE0_EEESZ_S10_S11_S18_S1C_S1E_T6_T7_T9_mT8_S1G_bDpT10_ENKUlT_T0_E_clISt17integral_constantIbLb0EES1U_EEDaS1P_S1Q_EUlS1P_E_NS1_11comp_targetILNS1_3genE2ELNS1_11target_archE906ELNS1_3gpuE6ELNS1_3repE0EEENS1_30default_config_static_selectorELNS0_4arch9wavefront6targetE0EEEvS12_.kd
    .uniform_work_group_size: 1
    .uses_dynamic_stack: false
    .vgpr_count:     0
    .vgpr_spill_count: 0
    .wavefront_size: 32
    .workgroup_processor_mode: 1
  - .args:
      - .offset:         0
        .size:           176
        .value_kind:     by_value
    .group_segment_fixed_size: 0
    .kernarg_segment_align: 8
    .kernarg_segment_size: 176
    .language:       OpenCL C
    .language_version:
      - 2
      - 0
    .max_flat_workgroup_size: 256
    .name:           _ZN7rocprim17ROCPRIM_400000_NS6detail17trampoline_kernelINS0_13select_configILj256ELj13ELNS0_17block_load_methodE3ELS4_3ELS4_3ELNS0_20block_scan_algorithmE0ELj4294967295EEENS1_25partition_config_selectorILNS1_17partition_subalgoE4EjNS0_10empty_typeEbEEZZNS1_14partition_implILS8_4ELb0ES6_15HIP_vector_typeIjLj2EENS0_17counting_iteratorIjlEEPS9_SG_NS0_5tupleIJPjSI_NS0_16reverse_iteratorISI_EEEEENSH_IJSG_SG_SG_EEES9_SI_JZNS1_25segmented_radix_sort_implINS0_14default_configELb0EPKhPhPKlPlN2at6native12_GLOBAL__N_18offset_tEEE10hipError_tPvRmT1_PNSt15iterator_traitsIS12_E10value_typeET2_T3_PNS13_IS18_E10value_typeET4_jRbjT5_S1E_jjP12ihipStream_tbEUljE_ZNSN_ISO_Lb0ESQ_SR_ST_SU_SY_EESZ_S10_S11_S12_S16_S17_S18_S1B_S1C_jS1D_jS1E_S1E_jjS1G_bEUljE0_EEESZ_S10_S11_S18_S1C_S1E_T6_T7_T9_mT8_S1G_bDpT10_ENKUlT_T0_E_clISt17integral_constantIbLb0EES1U_EEDaS1P_S1Q_EUlS1P_E_NS1_11comp_targetILNS1_3genE10ELNS1_11target_archE1200ELNS1_3gpuE4ELNS1_3repE0EEENS1_30default_config_static_selectorELNS0_4arch9wavefront6targetE0EEEvS12_
    .private_segment_fixed_size: 0
    .sgpr_count:     0
    .sgpr_spill_count: 0
    .symbol:         _ZN7rocprim17ROCPRIM_400000_NS6detail17trampoline_kernelINS0_13select_configILj256ELj13ELNS0_17block_load_methodE3ELS4_3ELS4_3ELNS0_20block_scan_algorithmE0ELj4294967295EEENS1_25partition_config_selectorILNS1_17partition_subalgoE4EjNS0_10empty_typeEbEEZZNS1_14partition_implILS8_4ELb0ES6_15HIP_vector_typeIjLj2EENS0_17counting_iteratorIjlEEPS9_SG_NS0_5tupleIJPjSI_NS0_16reverse_iteratorISI_EEEEENSH_IJSG_SG_SG_EEES9_SI_JZNS1_25segmented_radix_sort_implINS0_14default_configELb0EPKhPhPKlPlN2at6native12_GLOBAL__N_18offset_tEEE10hipError_tPvRmT1_PNSt15iterator_traitsIS12_E10value_typeET2_T3_PNS13_IS18_E10value_typeET4_jRbjT5_S1E_jjP12ihipStream_tbEUljE_ZNSN_ISO_Lb0ESQ_SR_ST_SU_SY_EESZ_S10_S11_S12_S16_S17_S18_S1B_S1C_jS1D_jS1E_S1E_jjS1G_bEUljE0_EEESZ_S10_S11_S18_S1C_S1E_T6_T7_T9_mT8_S1G_bDpT10_ENKUlT_T0_E_clISt17integral_constantIbLb0EES1U_EEDaS1P_S1Q_EUlS1P_E_NS1_11comp_targetILNS1_3genE10ELNS1_11target_archE1200ELNS1_3gpuE4ELNS1_3repE0EEENS1_30default_config_static_selectorELNS0_4arch9wavefront6targetE0EEEvS12_.kd
    .uniform_work_group_size: 1
    .uses_dynamic_stack: false
    .vgpr_count:     0
    .vgpr_spill_count: 0
    .wavefront_size: 32
    .workgroup_processor_mode: 1
  - .args:
      - .offset:         0
        .size:           176
        .value_kind:     by_value
    .group_segment_fixed_size: 13340
    .kernarg_segment_align: 8
    .kernarg_segment_size: 176
    .language:       OpenCL C
    .language_version:
      - 2
      - 0
    .max_flat_workgroup_size: 256
    .name:           _ZN7rocprim17ROCPRIM_400000_NS6detail17trampoline_kernelINS0_13select_configILj256ELj13ELNS0_17block_load_methodE3ELS4_3ELS4_3ELNS0_20block_scan_algorithmE0ELj4294967295EEENS1_25partition_config_selectorILNS1_17partition_subalgoE4EjNS0_10empty_typeEbEEZZNS1_14partition_implILS8_4ELb0ES6_15HIP_vector_typeIjLj2EENS0_17counting_iteratorIjlEEPS9_SG_NS0_5tupleIJPjSI_NS0_16reverse_iteratorISI_EEEEENSH_IJSG_SG_SG_EEES9_SI_JZNS1_25segmented_radix_sort_implINS0_14default_configELb0EPKhPhPKlPlN2at6native12_GLOBAL__N_18offset_tEEE10hipError_tPvRmT1_PNSt15iterator_traitsIS12_E10value_typeET2_T3_PNS13_IS18_E10value_typeET4_jRbjT5_S1E_jjP12ihipStream_tbEUljE_ZNSN_ISO_Lb0ESQ_SR_ST_SU_SY_EESZ_S10_S11_S12_S16_S17_S18_S1B_S1C_jS1D_jS1E_S1E_jjS1G_bEUljE0_EEESZ_S10_S11_S18_S1C_S1E_T6_T7_T9_mT8_S1G_bDpT10_ENKUlT_T0_E_clISt17integral_constantIbLb0EES1U_EEDaS1P_S1Q_EUlS1P_E_NS1_11comp_targetILNS1_3genE9ELNS1_11target_archE1100ELNS1_3gpuE3ELNS1_3repE0EEENS1_30default_config_static_selectorELNS0_4arch9wavefront6targetE0EEEvS12_
    .private_segment_fixed_size: 0
    .sgpr_count:     61
    .sgpr_spill_count: 0
    .symbol:         _ZN7rocprim17ROCPRIM_400000_NS6detail17trampoline_kernelINS0_13select_configILj256ELj13ELNS0_17block_load_methodE3ELS4_3ELS4_3ELNS0_20block_scan_algorithmE0ELj4294967295EEENS1_25partition_config_selectorILNS1_17partition_subalgoE4EjNS0_10empty_typeEbEEZZNS1_14partition_implILS8_4ELb0ES6_15HIP_vector_typeIjLj2EENS0_17counting_iteratorIjlEEPS9_SG_NS0_5tupleIJPjSI_NS0_16reverse_iteratorISI_EEEEENSH_IJSG_SG_SG_EEES9_SI_JZNS1_25segmented_radix_sort_implINS0_14default_configELb0EPKhPhPKlPlN2at6native12_GLOBAL__N_18offset_tEEE10hipError_tPvRmT1_PNSt15iterator_traitsIS12_E10value_typeET2_T3_PNS13_IS18_E10value_typeET4_jRbjT5_S1E_jjP12ihipStream_tbEUljE_ZNSN_ISO_Lb0ESQ_SR_ST_SU_SY_EESZ_S10_S11_S12_S16_S17_S18_S1B_S1C_jS1D_jS1E_S1E_jjS1G_bEUljE0_EEESZ_S10_S11_S18_S1C_S1E_T6_T7_T9_mT8_S1G_bDpT10_ENKUlT_T0_E_clISt17integral_constantIbLb0EES1U_EEDaS1P_S1Q_EUlS1P_E_NS1_11comp_targetILNS1_3genE9ELNS1_11target_archE1100ELNS1_3gpuE3ELNS1_3repE0EEENS1_30default_config_static_selectorELNS0_4arch9wavefront6targetE0EEEvS12_.kd
    .uniform_work_group_size: 1
    .uses_dynamic_stack: false
    .vgpr_count:     98
    .vgpr_spill_count: 0
    .wavefront_size: 32
    .workgroup_processor_mode: 1
  - .args:
      - .offset:         0
        .size:           176
        .value_kind:     by_value
    .group_segment_fixed_size: 0
    .kernarg_segment_align: 8
    .kernarg_segment_size: 176
    .language:       OpenCL C
    .language_version:
      - 2
      - 0
    .max_flat_workgroup_size: 256
    .name:           _ZN7rocprim17ROCPRIM_400000_NS6detail17trampoline_kernelINS0_13select_configILj256ELj13ELNS0_17block_load_methodE3ELS4_3ELS4_3ELNS0_20block_scan_algorithmE0ELj4294967295EEENS1_25partition_config_selectorILNS1_17partition_subalgoE4EjNS0_10empty_typeEbEEZZNS1_14partition_implILS8_4ELb0ES6_15HIP_vector_typeIjLj2EENS0_17counting_iteratorIjlEEPS9_SG_NS0_5tupleIJPjSI_NS0_16reverse_iteratorISI_EEEEENSH_IJSG_SG_SG_EEES9_SI_JZNS1_25segmented_radix_sort_implINS0_14default_configELb0EPKhPhPKlPlN2at6native12_GLOBAL__N_18offset_tEEE10hipError_tPvRmT1_PNSt15iterator_traitsIS12_E10value_typeET2_T3_PNS13_IS18_E10value_typeET4_jRbjT5_S1E_jjP12ihipStream_tbEUljE_ZNSN_ISO_Lb0ESQ_SR_ST_SU_SY_EESZ_S10_S11_S12_S16_S17_S18_S1B_S1C_jS1D_jS1E_S1E_jjS1G_bEUljE0_EEESZ_S10_S11_S18_S1C_S1E_T6_T7_T9_mT8_S1G_bDpT10_ENKUlT_T0_E_clISt17integral_constantIbLb0EES1U_EEDaS1P_S1Q_EUlS1P_E_NS1_11comp_targetILNS1_3genE8ELNS1_11target_archE1030ELNS1_3gpuE2ELNS1_3repE0EEENS1_30default_config_static_selectorELNS0_4arch9wavefront6targetE0EEEvS12_
    .private_segment_fixed_size: 0
    .sgpr_count:     0
    .sgpr_spill_count: 0
    .symbol:         _ZN7rocprim17ROCPRIM_400000_NS6detail17trampoline_kernelINS0_13select_configILj256ELj13ELNS0_17block_load_methodE3ELS4_3ELS4_3ELNS0_20block_scan_algorithmE0ELj4294967295EEENS1_25partition_config_selectorILNS1_17partition_subalgoE4EjNS0_10empty_typeEbEEZZNS1_14partition_implILS8_4ELb0ES6_15HIP_vector_typeIjLj2EENS0_17counting_iteratorIjlEEPS9_SG_NS0_5tupleIJPjSI_NS0_16reverse_iteratorISI_EEEEENSH_IJSG_SG_SG_EEES9_SI_JZNS1_25segmented_radix_sort_implINS0_14default_configELb0EPKhPhPKlPlN2at6native12_GLOBAL__N_18offset_tEEE10hipError_tPvRmT1_PNSt15iterator_traitsIS12_E10value_typeET2_T3_PNS13_IS18_E10value_typeET4_jRbjT5_S1E_jjP12ihipStream_tbEUljE_ZNSN_ISO_Lb0ESQ_SR_ST_SU_SY_EESZ_S10_S11_S12_S16_S17_S18_S1B_S1C_jS1D_jS1E_S1E_jjS1G_bEUljE0_EEESZ_S10_S11_S18_S1C_S1E_T6_T7_T9_mT8_S1G_bDpT10_ENKUlT_T0_E_clISt17integral_constantIbLb0EES1U_EEDaS1P_S1Q_EUlS1P_E_NS1_11comp_targetILNS1_3genE8ELNS1_11target_archE1030ELNS1_3gpuE2ELNS1_3repE0EEENS1_30default_config_static_selectorELNS0_4arch9wavefront6targetE0EEEvS12_.kd
    .uniform_work_group_size: 1
    .uses_dynamic_stack: false
    .vgpr_count:     0
    .vgpr_spill_count: 0
    .wavefront_size: 32
    .workgroup_processor_mode: 1
  - .args:
      - .offset:         0
        .size:           184
        .value_kind:     by_value
    .group_segment_fixed_size: 0
    .kernarg_segment_align: 8
    .kernarg_segment_size: 184
    .language:       OpenCL C
    .language_version:
      - 2
      - 0
    .max_flat_workgroup_size: 256
    .name:           _ZN7rocprim17ROCPRIM_400000_NS6detail17trampoline_kernelINS0_13select_configILj256ELj13ELNS0_17block_load_methodE3ELS4_3ELS4_3ELNS0_20block_scan_algorithmE0ELj4294967295EEENS1_25partition_config_selectorILNS1_17partition_subalgoE4EjNS0_10empty_typeEbEEZZNS1_14partition_implILS8_4ELb0ES6_15HIP_vector_typeIjLj2EENS0_17counting_iteratorIjlEEPS9_SG_NS0_5tupleIJPjSI_NS0_16reverse_iteratorISI_EEEEENSH_IJSG_SG_SG_EEES9_SI_JZNS1_25segmented_radix_sort_implINS0_14default_configELb0EPKhPhPKlPlN2at6native12_GLOBAL__N_18offset_tEEE10hipError_tPvRmT1_PNSt15iterator_traitsIS12_E10value_typeET2_T3_PNS13_IS18_E10value_typeET4_jRbjT5_S1E_jjP12ihipStream_tbEUljE_ZNSN_ISO_Lb0ESQ_SR_ST_SU_SY_EESZ_S10_S11_S12_S16_S17_S18_S1B_S1C_jS1D_jS1E_S1E_jjS1G_bEUljE0_EEESZ_S10_S11_S18_S1C_S1E_T6_T7_T9_mT8_S1G_bDpT10_ENKUlT_T0_E_clISt17integral_constantIbLb1EES1U_EEDaS1P_S1Q_EUlS1P_E_NS1_11comp_targetILNS1_3genE0ELNS1_11target_archE4294967295ELNS1_3gpuE0ELNS1_3repE0EEENS1_30default_config_static_selectorELNS0_4arch9wavefront6targetE0EEEvS12_
    .private_segment_fixed_size: 0
    .sgpr_count:     0
    .sgpr_spill_count: 0
    .symbol:         _ZN7rocprim17ROCPRIM_400000_NS6detail17trampoline_kernelINS0_13select_configILj256ELj13ELNS0_17block_load_methodE3ELS4_3ELS4_3ELNS0_20block_scan_algorithmE0ELj4294967295EEENS1_25partition_config_selectorILNS1_17partition_subalgoE4EjNS0_10empty_typeEbEEZZNS1_14partition_implILS8_4ELb0ES6_15HIP_vector_typeIjLj2EENS0_17counting_iteratorIjlEEPS9_SG_NS0_5tupleIJPjSI_NS0_16reverse_iteratorISI_EEEEENSH_IJSG_SG_SG_EEES9_SI_JZNS1_25segmented_radix_sort_implINS0_14default_configELb0EPKhPhPKlPlN2at6native12_GLOBAL__N_18offset_tEEE10hipError_tPvRmT1_PNSt15iterator_traitsIS12_E10value_typeET2_T3_PNS13_IS18_E10value_typeET4_jRbjT5_S1E_jjP12ihipStream_tbEUljE_ZNSN_ISO_Lb0ESQ_SR_ST_SU_SY_EESZ_S10_S11_S12_S16_S17_S18_S1B_S1C_jS1D_jS1E_S1E_jjS1G_bEUljE0_EEESZ_S10_S11_S18_S1C_S1E_T6_T7_T9_mT8_S1G_bDpT10_ENKUlT_T0_E_clISt17integral_constantIbLb1EES1U_EEDaS1P_S1Q_EUlS1P_E_NS1_11comp_targetILNS1_3genE0ELNS1_11target_archE4294967295ELNS1_3gpuE0ELNS1_3repE0EEENS1_30default_config_static_selectorELNS0_4arch9wavefront6targetE0EEEvS12_.kd
    .uniform_work_group_size: 1
    .uses_dynamic_stack: false
    .vgpr_count:     0
    .vgpr_spill_count: 0
    .wavefront_size: 32
    .workgroup_processor_mode: 1
  - .args:
      - .offset:         0
        .size:           184
        .value_kind:     by_value
    .group_segment_fixed_size: 0
    .kernarg_segment_align: 8
    .kernarg_segment_size: 184
    .language:       OpenCL C
    .language_version:
      - 2
      - 0
    .max_flat_workgroup_size: 256
    .name:           _ZN7rocprim17ROCPRIM_400000_NS6detail17trampoline_kernelINS0_13select_configILj256ELj13ELNS0_17block_load_methodE3ELS4_3ELS4_3ELNS0_20block_scan_algorithmE0ELj4294967295EEENS1_25partition_config_selectorILNS1_17partition_subalgoE4EjNS0_10empty_typeEbEEZZNS1_14partition_implILS8_4ELb0ES6_15HIP_vector_typeIjLj2EENS0_17counting_iteratorIjlEEPS9_SG_NS0_5tupleIJPjSI_NS0_16reverse_iteratorISI_EEEEENSH_IJSG_SG_SG_EEES9_SI_JZNS1_25segmented_radix_sort_implINS0_14default_configELb0EPKhPhPKlPlN2at6native12_GLOBAL__N_18offset_tEEE10hipError_tPvRmT1_PNSt15iterator_traitsIS12_E10value_typeET2_T3_PNS13_IS18_E10value_typeET4_jRbjT5_S1E_jjP12ihipStream_tbEUljE_ZNSN_ISO_Lb0ESQ_SR_ST_SU_SY_EESZ_S10_S11_S12_S16_S17_S18_S1B_S1C_jS1D_jS1E_S1E_jjS1G_bEUljE0_EEESZ_S10_S11_S18_S1C_S1E_T6_T7_T9_mT8_S1G_bDpT10_ENKUlT_T0_E_clISt17integral_constantIbLb1EES1U_EEDaS1P_S1Q_EUlS1P_E_NS1_11comp_targetILNS1_3genE5ELNS1_11target_archE942ELNS1_3gpuE9ELNS1_3repE0EEENS1_30default_config_static_selectorELNS0_4arch9wavefront6targetE0EEEvS12_
    .private_segment_fixed_size: 0
    .sgpr_count:     0
    .sgpr_spill_count: 0
    .symbol:         _ZN7rocprim17ROCPRIM_400000_NS6detail17trampoline_kernelINS0_13select_configILj256ELj13ELNS0_17block_load_methodE3ELS4_3ELS4_3ELNS0_20block_scan_algorithmE0ELj4294967295EEENS1_25partition_config_selectorILNS1_17partition_subalgoE4EjNS0_10empty_typeEbEEZZNS1_14partition_implILS8_4ELb0ES6_15HIP_vector_typeIjLj2EENS0_17counting_iteratorIjlEEPS9_SG_NS0_5tupleIJPjSI_NS0_16reverse_iteratorISI_EEEEENSH_IJSG_SG_SG_EEES9_SI_JZNS1_25segmented_radix_sort_implINS0_14default_configELb0EPKhPhPKlPlN2at6native12_GLOBAL__N_18offset_tEEE10hipError_tPvRmT1_PNSt15iterator_traitsIS12_E10value_typeET2_T3_PNS13_IS18_E10value_typeET4_jRbjT5_S1E_jjP12ihipStream_tbEUljE_ZNSN_ISO_Lb0ESQ_SR_ST_SU_SY_EESZ_S10_S11_S12_S16_S17_S18_S1B_S1C_jS1D_jS1E_S1E_jjS1G_bEUljE0_EEESZ_S10_S11_S18_S1C_S1E_T6_T7_T9_mT8_S1G_bDpT10_ENKUlT_T0_E_clISt17integral_constantIbLb1EES1U_EEDaS1P_S1Q_EUlS1P_E_NS1_11comp_targetILNS1_3genE5ELNS1_11target_archE942ELNS1_3gpuE9ELNS1_3repE0EEENS1_30default_config_static_selectorELNS0_4arch9wavefront6targetE0EEEvS12_.kd
    .uniform_work_group_size: 1
    .uses_dynamic_stack: false
    .vgpr_count:     0
    .vgpr_spill_count: 0
    .wavefront_size: 32
    .workgroup_processor_mode: 1
  - .args:
      - .offset:         0
        .size:           184
        .value_kind:     by_value
    .group_segment_fixed_size: 0
    .kernarg_segment_align: 8
    .kernarg_segment_size: 184
    .language:       OpenCL C
    .language_version:
      - 2
      - 0
    .max_flat_workgroup_size: 256
    .name:           _ZN7rocprim17ROCPRIM_400000_NS6detail17trampoline_kernelINS0_13select_configILj256ELj13ELNS0_17block_load_methodE3ELS4_3ELS4_3ELNS0_20block_scan_algorithmE0ELj4294967295EEENS1_25partition_config_selectorILNS1_17partition_subalgoE4EjNS0_10empty_typeEbEEZZNS1_14partition_implILS8_4ELb0ES6_15HIP_vector_typeIjLj2EENS0_17counting_iteratorIjlEEPS9_SG_NS0_5tupleIJPjSI_NS0_16reverse_iteratorISI_EEEEENSH_IJSG_SG_SG_EEES9_SI_JZNS1_25segmented_radix_sort_implINS0_14default_configELb0EPKhPhPKlPlN2at6native12_GLOBAL__N_18offset_tEEE10hipError_tPvRmT1_PNSt15iterator_traitsIS12_E10value_typeET2_T3_PNS13_IS18_E10value_typeET4_jRbjT5_S1E_jjP12ihipStream_tbEUljE_ZNSN_ISO_Lb0ESQ_SR_ST_SU_SY_EESZ_S10_S11_S12_S16_S17_S18_S1B_S1C_jS1D_jS1E_S1E_jjS1G_bEUljE0_EEESZ_S10_S11_S18_S1C_S1E_T6_T7_T9_mT8_S1G_bDpT10_ENKUlT_T0_E_clISt17integral_constantIbLb1EES1U_EEDaS1P_S1Q_EUlS1P_E_NS1_11comp_targetILNS1_3genE4ELNS1_11target_archE910ELNS1_3gpuE8ELNS1_3repE0EEENS1_30default_config_static_selectorELNS0_4arch9wavefront6targetE0EEEvS12_
    .private_segment_fixed_size: 0
    .sgpr_count:     0
    .sgpr_spill_count: 0
    .symbol:         _ZN7rocprim17ROCPRIM_400000_NS6detail17trampoline_kernelINS0_13select_configILj256ELj13ELNS0_17block_load_methodE3ELS4_3ELS4_3ELNS0_20block_scan_algorithmE0ELj4294967295EEENS1_25partition_config_selectorILNS1_17partition_subalgoE4EjNS0_10empty_typeEbEEZZNS1_14partition_implILS8_4ELb0ES6_15HIP_vector_typeIjLj2EENS0_17counting_iteratorIjlEEPS9_SG_NS0_5tupleIJPjSI_NS0_16reverse_iteratorISI_EEEEENSH_IJSG_SG_SG_EEES9_SI_JZNS1_25segmented_radix_sort_implINS0_14default_configELb0EPKhPhPKlPlN2at6native12_GLOBAL__N_18offset_tEEE10hipError_tPvRmT1_PNSt15iterator_traitsIS12_E10value_typeET2_T3_PNS13_IS18_E10value_typeET4_jRbjT5_S1E_jjP12ihipStream_tbEUljE_ZNSN_ISO_Lb0ESQ_SR_ST_SU_SY_EESZ_S10_S11_S12_S16_S17_S18_S1B_S1C_jS1D_jS1E_S1E_jjS1G_bEUljE0_EEESZ_S10_S11_S18_S1C_S1E_T6_T7_T9_mT8_S1G_bDpT10_ENKUlT_T0_E_clISt17integral_constantIbLb1EES1U_EEDaS1P_S1Q_EUlS1P_E_NS1_11comp_targetILNS1_3genE4ELNS1_11target_archE910ELNS1_3gpuE8ELNS1_3repE0EEENS1_30default_config_static_selectorELNS0_4arch9wavefront6targetE0EEEvS12_.kd
    .uniform_work_group_size: 1
    .uses_dynamic_stack: false
    .vgpr_count:     0
    .vgpr_spill_count: 0
    .wavefront_size: 32
    .workgroup_processor_mode: 1
  - .args:
      - .offset:         0
        .size:           184
        .value_kind:     by_value
    .group_segment_fixed_size: 0
    .kernarg_segment_align: 8
    .kernarg_segment_size: 184
    .language:       OpenCL C
    .language_version:
      - 2
      - 0
    .max_flat_workgroup_size: 256
    .name:           _ZN7rocprim17ROCPRIM_400000_NS6detail17trampoline_kernelINS0_13select_configILj256ELj13ELNS0_17block_load_methodE3ELS4_3ELS4_3ELNS0_20block_scan_algorithmE0ELj4294967295EEENS1_25partition_config_selectorILNS1_17partition_subalgoE4EjNS0_10empty_typeEbEEZZNS1_14partition_implILS8_4ELb0ES6_15HIP_vector_typeIjLj2EENS0_17counting_iteratorIjlEEPS9_SG_NS0_5tupleIJPjSI_NS0_16reverse_iteratorISI_EEEEENSH_IJSG_SG_SG_EEES9_SI_JZNS1_25segmented_radix_sort_implINS0_14default_configELb0EPKhPhPKlPlN2at6native12_GLOBAL__N_18offset_tEEE10hipError_tPvRmT1_PNSt15iterator_traitsIS12_E10value_typeET2_T3_PNS13_IS18_E10value_typeET4_jRbjT5_S1E_jjP12ihipStream_tbEUljE_ZNSN_ISO_Lb0ESQ_SR_ST_SU_SY_EESZ_S10_S11_S12_S16_S17_S18_S1B_S1C_jS1D_jS1E_S1E_jjS1G_bEUljE0_EEESZ_S10_S11_S18_S1C_S1E_T6_T7_T9_mT8_S1G_bDpT10_ENKUlT_T0_E_clISt17integral_constantIbLb1EES1U_EEDaS1P_S1Q_EUlS1P_E_NS1_11comp_targetILNS1_3genE3ELNS1_11target_archE908ELNS1_3gpuE7ELNS1_3repE0EEENS1_30default_config_static_selectorELNS0_4arch9wavefront6targetE0EEEvS12_
    .private_segment_fixed_size: 0
    .sgpr_count:     0
    .sgpr_spill_count: 0
    .symbol:         _ZN7rocprim17ROCPRIM_400000_NS6detail17trampoline_kernelINS0_13select_configILj256ELj13ELNS0_17block_load_methodE3ELS4_3ELS4_3ELNS0_20block_scan_algorithmE0ELj4294967295EEENS1_25partition_config_selectorILNS1_17partition_subalgoE4EjNS0_10empty_typeEbEEZZNS1_14partition_implILS8_4ELb0ES6_15HIP_vector_typeIjLj2EENS0_17counting_iteratorIjlEEPS9_SG_NS0_5tupleIJPjSI_NS0_16reverse_iteratorISI_EEEEENSH_IJSG_SG_SG_EEES9_SI_JZNS1_25segmented_radix_sort_implINS0_14default_configELb0EPKhPhPKlPlN2at6native12_GLOBAL__N_18offset_tEEE10hipError_tPvRmT1_PNSt15iterator_traitsIS12_E10value_typeET2_T3_PNS13_IS18_E10value_typeET4_jRbjT5_S1E_jjP12ihipStream_tbEUljE_ZNSN_ISO_Lb0ESQ_SR_ST_SU_SY_EESZ_S10_S11_S12_S16_S17_S18_S1B_S1C_jS1D_jS1E_S1E_jjS1G_bEUljE0_EEESZ_S10_S11_S18_S1C_S1E_T6_T7_T9_mT8_S1G_bDpT10_ENKUlT_T0_E_clISt17integral_constantIbLb1EES1U_EEDaS1P_S1Q_EUlS1P_E_NS1_11comp_targetILNS1_3genE3ELNS1_11target_archE908ELNS1_3gpuE7ELNS1_3repE0EEENS1_30default_config_static_selectorELNS0_4arch9wavefront6targetE0EEEvS12_.kd
    .uniform_work_group_size: 1
    .uses_dynamic_stack: false
    .vgpr_count:     0
    .vgpr_spill_count: 0
    .wavefront_size: 32
    .workgroup_processor_mode: 1
  - .args:
      - .offset:         0
        .size:           184
        .value_kind:     by_value
    .group_segment_fixed_size: 0
    .kernarg_segment_align: 8
    .kernarg_segment_size: 184
    .language:       OpenCL C
    .language_version:
      - 2
      - 0
    .max_flat_workgroup_size: 256
    .name:           _ZN7rocprim17ROCPRIM_400000_NS6detail17trampoline_kernelINS0_13select_configILj256ELj13ELNS0_17block_load_methodE3ELS4_3ELS4_3ELNS0_20block_scan_algorithmE0ELj4294967295EEENS1_25partition_config_selectorILNS1_17partition_subalgoE4EjNS0_10empty_typeEbEEZZNS1_14partition_implILS8_4ELb0ES6_15HIP_vector_typeIjLj2EENS0_17counting_iteratorIjlEEPS9_SG_NS0_5tupleIJPjSI_NS0_16reverse_iteratorISI_EEEEENSH_IJSG_SG_SG_EEES9_SI_JZNS1_25segmented_radix_sort_implINS0_14default_configELb0EPKhPhPKlPlN2at6native12_GLOBAL__N_18offset_tEEE10hipError_tPvRmT1_PNSt15iterator_traitsIS12_E10value_typeET2_T3_PNS13_IS18_E10value_typeET4_jRbjT5_S1E_jjP12ihipStream_tbEUljE_ZNSN_ISO_Lb0ESQ_SR_ST_SU_SY_EESZ_S10_S11_S12_S16_S17_S18_S1B_S1C_jS1D_jS1E_S1E_jjS1G_bEUljE0_EEESZ_S10_S11_S18_S1C_S1E_T6_T7_T9_mT8_S1G_bDpT10_ENKUlT_T0_E_clISt17integral_constantIbLb1EES1U_EEDaS1P_S1Q_EUlS1P_E_NS1_11comp_targetILNS1_3genE2ELNS1_11target_archE906ELNS1_3gpuE6ELNS1_3repE0EEENS1_30default_config_static_selectorELNS0_4arch9wavefront6targetE0EEEvS12_
    .private_segment_fixed_size: 0
    .sgpr_count:     0
    .sgpr_spill_count: 0
    .symbol:         _ZN7rocprim17ROCPRIM_400000_NS6detail17trampoline_kernelINS0_13select_configILj256ELj13ELNS0_17block_load_methodE3ELS4_3ELS4_3ELNS0_20block_scan_algorithmE0ELj4294967295EEENS1_25partition_config_selectorILNS1_17partition_subalgoE4EjNS0_10empty_typeEbEEZZNS1_14partition_implILS8_4ELb0ES6_15HIP_vector_typeIjLj2EENS0_17counting_iteratorIjlEEPS9_SG_NS0_5tupleIJPjSI_NS0_16reverse_iteratorISI_EEEEENSH_IJSG_SG_SG_EEES9_SI_JZNS1_25segmented_radix_sort_implINS0_14default_configELb0EPKhPhPKlPlN2at6native12_GLOBAL__N_18offset_tEEE10hipError_tPvRmT1_PNSt15iterator_traitsIS12_E10value_typeET2_T3_PNS13_IS18_E10value_typeET4_jRbjT5_S1E_jjP12ihipStream_tbEUljE_ZNSN_ISO_Lb0ESQ_SR_ST_SU_SY_EESZ_S10_S11_S12_S16_S17_S18_S1B_S1C_jS1D_jS1E_S1E_jjS1G_bEUljE0_EEESZ_S10_S11_S18_S1C_S1E_T6_T7_T9_mT8_S1G_bDpT10_ENKUlT_T0_E_clISt17integral_constantIbLb1EES1U_EEDaS1P_S1Q_EUlS1P_E_NS1_11comp_targetILNS1_3genE2ELNS1_11target_archE906ELNS1_3gpuE6ELNS1_3repE0EEENS1_30default_config_static_selectorELNS0_4arch9wavefront6targetE0EEEvS12_.kd
    .uniform_work_group_size: 1
    .uses_dynamic_stack: false
    .vgpr_count:     0
    .vgpr_spill_count: 0
    .wavefront_size: 32
    .workgroup_processor_mode: 1
  - .args:
      - .offset:         0
        .size:           184
        .value_kind:     by_value
    .group_segment_fixed_size: 0
    .kernarg_segment_align: 8
    .kernarg_segment_size: 184
    .language:       OpenCL C
    .language_version:
      - 2
      - 0
    .max_flat_workgroup_size: 256
    .name:           _ZN7rocprim17ROCPRIM_400000_NS6detail17trampoline_kernelINS0_13select_configILj256ELj13ELNS0_17block_load_methodE3ELS4_3ELS4_3ELNS0_20block_scan_algorithmE0ELj4294967295EEENS1_25partition_config_selectorILNS1_17partition_subalgoE4EjNS0_10empty_typeEbEEZZNS1_14partition_implILS8_4ELb0ES6_15HIP_vector_typeIjLj2EENS0_17counting_iteratorIjlEEPS9_SG_NS0_5tupleIJPjSI_NS0_16reverse_iteratorISI_EEEEENSH_IJSG_SG_SG_EEES9_SI_JZNS1_25segmented_radix_sort_implINS0_14default_configELb0EPKhPhPKlPlN2at6native12_GLOBAL__N_18offset_tEEE10hipError_tPvRmT1_PNSt15iterator_traitsIS12_E10value_typeET2_T3_PNS13_IS18_E10value_typeET4_jRbjT5_S1E_jjP12ihipStream_tbEUljE_ZNSN_ISO_Lb0ESQ_SR_ST_SU_SY_EESZ_S10_S11_S12_S16_S17_S18_S1B_S1C_jS1D_jS1E_S1E_jjS1G_bEUljE0_EEESZ_S10_S11_S18_S1C_S1E_T6_T7_T9_mT8_S1G_bDpT10_ENKUlT_T0_E_clISt17integral_constantIbLb1EES1U_EEDaS1P_S1Q_EUlS1P_E_NS1_11comp_targetILNS1_3genE10ELNS1_11target_archE1200ELNS1_3gpuE4ELNS1_3repE0EEENS1_30default_config_static_selectorELNS0_4arch9wavefront6targetE0EEEvS12_
    .private_segment_fixed_size: 0
    .sgpr_count:     0
    .sgpr_spill_count: 0
    .symbol:         _ZN7rocprim17ROCPRIM_400000_NS6detail17trampoline_kernelINS0_13select_configILj256ELj13ELNS0_17block_load_methodE3ELS4_3ELS4_3ELNS0_20block_scan_algorithmE0ELj4294967295EEENS1_25partition_config_selectorILNS1_17partition_subalgoE4EjNS0_10empty_typeEbEEZZNS1_14partition_implILS8_4ELb0ES6_15HIP_vector_typeIjLj2EENS0_17counting_iteratorIjlEEPS9_SG_NS0_5tupleIJPjSI_NS0_16reverse_iteratorISI_EEEEENSH_IJSG_SG_SG_EEES9_SI_JZNS1_25segmented_radix_sort_implINS0_14default_configELb0EPKhPhPKlPlN2at6native12_GLOBAL__N_18offset_tEEE10hipError_tPvRmT1_PNSt15iterator_traitsIS12_E10value_typeET2_T3_PNS13_IS18_E10value_typeET4_jRbjT5_S1E_jjP12ihipStream_tbEUljE_ZNSN_ISO_Lb0ESQ_SR_ST_SU_SY_EESZ_S10_S11_S12_S16_S17_S18_S1B_S1C_jS1D_jS1E_S1E_jjS1G_bEUljE0_EEESZ_S10_S11_S18_S1C_S1E_T6_T7_T9_mT8_S1G_bDpT10_ENKUlT_T0_E_clISt17integral_constantIbLb1EES1U_EEDaS1P_S1Q_EUlS1P_E_NS1_11comp_targetILNS1_3genE10ELNS1_11target_archE1200ELNS1_3gpuE4ELNS1_3repE0EEENS1_30default_config_static_selectorELNS0_4arch9wavefront6targetE0EEEvS12_.kd
    .uniform_work_group_size: 1
    .uses_dynamic_stack: false
    .vgpr_count:     0
    .vgpr_spill_count: 0
    .wavefront_size: 32
    .workgroup_processor_mode: 1
  - .args:
      - .offset:         0
        .size:           184
        .value_kind:     by_value
    .group_segment_fixed_size: 13340
    .kernarg_segment_align: 8
    .kernarg_segment_size: 184
    .language:       OpenCL C
    .language_version:
      - 2
      - 0
    .max_flat_workgroup_size: 256
    .name:           _ZN7rocprim17ROCPRIM_400000_NS6detail17trampoline_kernelINS0_13select_configILj256ELj13ELNS0_17block_load_methodE3ELS4_3ELS4_3ELNS0_20block_scan_algorithmE0ELj4294967295EEENS1_25partition_config_selectorILNS1_17partition_subalgoE4EjNS0_10empty_typeEbEEZZNS1_14partition_implILS8_4ELb0ES6_15HIP_vector_typeIjLj2EENS0_17counting_iteratorIjlEEPS9_SG_NS0_5tupleIJPjSI_NS0_16reverse_iteratorISI_EEEEENSH_IJSG_SG_SG_EEES9_SI_JZNS1_25segmented_radix_sort_implINS0_14default_configELb0EPKhPhPKlPlN2at6native12_GLOBAL__N_18offset_tEEE10hipError_tPvRmT1_PNSt15iterator_traitsIS12_E10value_typeET2_T3_PNS13_IS18_E10value_typeET4_jRbjT5_S1E_jjP12ihipStream_tbEUljE_ZNSN_ISO_Lb0ESQ_SR_ST_SU_SY_EESZ_S10_S11_S12_S16_S17_S18_S1B_S1C_jS1D_jS1E_S1E_jjS1G_bEUljE0_EEESZ_S10_S11_S18_S1C_S1E_T6_T7_T9_mT8_S1G_bDpT10_ENKUlT_T0_E_clISt17integral_constantIbLb1EES1U_EEDaS1P_S1Q_EUlS1P_E_NS1_11comp_targetILNS1_3genE9ELNS1_11target_archE1100ELNS1_3gpuE3ELNS1_3repE0EEENS1_30default_config_static_selectorELNS0_4arch9wavefront6targetE0EEEvS12_
    .private_segment_fixed_size: 0
    .sgpr_count:     57
    .sgpr_spill_count: 0
    .symbol:         _ZN7rocprim17ROCPRIM_400000_NS6detail17trampoline_kernelINS0_13select_configILj256ELj13ELNS0_17block_load_methodE3ELS4_3ELS4_3ELNS0_20block_scan_algorithmE0ELj4294967295EEENS1_25partition_config_selectorILNS1_17partition_subalgoE4EjNS0_10empty_typeEbEEZZNS1_14partition_implILS8_4ELb0ES6_15HIP_vector_typeIjLj2EENS0_17counting_iteratorIjlEEPS9_SG_NS0_5tupleIJPjSI_NS0_16reverse_iteratorISI_EEEEENSH_IJSG_SG_SG_EEES9_SI_JZNS1_25segmented_radix_sort_implINS0_14default_configELb0EPKhPhPKlPlN2at6native12_GLOBAL__N_18offset_tEEE10hipError_tPvRmT1_PNSt15iterator_traitsIS12_E10value_typeET2_T3_PNS13_IS18_E10value_typeET4_jRbjT5_S1E_jjP12ihipStream_tbEUljE_ZNSN_ISO_Lb0ESQ_SR_ST_SU_SY_EESZ_S10_S11_S12_S16_S17_S18_S1B_S1C_jS1D_jS1E_S1E_jjS1G_bEUljE0_EEESZ_S10_S11_S18_S1C_S1E_T6_T7_T9_mT8_S1G_bDpT10_ENKUlT_T0_E_clISt17integral_constantIbLb1EES1U_EEDaS1P_S1Q_EUlS1P_E_NS1_11comp_targetILNS1_3genE9ELNS1_11target_archE1100ELNS1_3gpuE3ELNS1_3repE0EEENS1_30default_config_static_selectorELNS0_4arch9wavefront6targetE0EEEvS12_.kd
    .uniform_work_group_size: 1
    .uses_dynamic_stack: false
    .vgpr_count:     103
    .vgpr_spill_count: 0
    .wavefront_size: 32
    .workgroup_processor_mode: 1
  - .args:
      - .offset:         0
        .size:           184
        .value_kind:     by_value
    .group_segment_fixed_size: 0
    .kernarg_segment_align: 8
    .kernarg_segment_size: 184
    .language:       OpenCL C
    .language_version:
      - 2
      - 0
    .max_flat_workgroup_size: 256
    .name:           _ZN7rocprim17ROCPRIM_400000_NS6detail17trampoline_kernelINS0_13select_configILj256ELj13ELNS0_17block_load_methodE3ELS4_3ELS4_3ELNS0_20block_scan_algorithmE0ELj4294967295EEENS1_25partition_config_selectorILNS1_17partition_subalgoE4EjNS0_10empty_typeEbEEZZNS1_14partition_implILS8_4ELb0ES6_15HIP_vector_typeIjLj2EENS0_17counting_iteratorIjlEEPS9_SG_NS0_5tupleIJPjSI_NS0_16reverse_iteratorISI_EEEEENSH_IJSG_SG_SG_EEES9_SI_JZNS1_25segmented_radix_sort_implINS0_14default_configELb0EPKhPhPKlPlN2at6native12_GLOBAL__N_18offset_tEEE10hipError_tPvRmT1_PNSt15iterator_traitsIS12_E10value_typeET2_T3_PNS13_IS18_E10value_typeET4_jRbjT5_S1E_jjP12ihipStream_tbEUljE_ZNSN_ISO_Lb0ESQ_SR_ST_SU_SY_EESZ_S10_S11_S12_S16_S17_S18_S1B_S1C_jS1D_jS1E_S1E_jjS1G_bEUljE0_EEESZ_S10_S11_S18_S1C_S1E_T6_T7_T9_mT8_S1G_bDpT10_ENKUlT_T0_E_clISt17integral_constantIbLb1EES1U_EEDaS1P_S1Q_EUlS1P_E_NS1_11comp_targetILNS1_3genE8ELNS1_11target_archE1030ELNS1_3gpuE2ELNS1_3repE0EEENS1_30default_config_static_selectorELNS0_4arch9wavefront6targetE0EEEvS12_
    .private_segment_fixed_size: 0
    .sgpr_count:     0
    .sgpr_spill_count: 0
    .symbol:         _ZN7rocprim17ROCPRIM_400000_NS6detail17trampoline_kernelINS0_13select_configILj256ELj13ELNS0_17block_load_methodE3ELS4_3ELS4_3ELNS0_20block_scan_algorithmE0ELj4294967295EEENS1_25partition_config_selectorILNS1_17partition_subalgoE4EjNS0_10empty_typeEbEEZZNS1_14partition_implILS8_4ELb0ES6_15HIP_vector_typeIjLj2EENS0_17counting_iteratorIjlEEPS9_SG_NS0_5tupleIJPjSI_NS0_16reverse_iteratorISI_EEEEENSH_IJSG_SG_SG_EEES9_SI_JZNS1_25segmented_radix_sort_implINS0_14default_configELb0EPKhPhPKlPlN2at6native12_GLOBAL__N_18offset_tEEE10hipError_tPvRmT1_PNSt15iterator_traitsIS12_E10value_typeET2_T3_PNS13_IS18_E10value_typeET4_jRbjT5_S1E_jjP12ihipStream_tbEUljE_ZNSN_ISO_Lb0ESQ_SR_ST_SU_SY_EESZ_S10_S11_S12_S16_S17_S18_S1B_S1C_jS1D_jS1E_S1E_jjS1G_bEUljE0_EEESZ_S10_S11_S18_S1C_S1E_T6_T7_T9_mT8_S1G_bDpT10_ENKUlT_T0_E_clISt17integral_constantIbLb1EES1U_EEDaS1P_S1Q_EUlS1P_E_NS1_11comp_targetILNS1_3genE8ELNS1_11target_archE1030ELNS1_3gpuE2ELNS1_3repE0EEENS1_30default_config_static_selectorELNS0_4arch9wavefront6targetE0EEEvS12_.kd
    .uniform_work_group_size: 1
    .uses_dynamic_stack: false
    .vgpr_count:     0
    .vgpr_spill_count: 0
    .wavefront_size: 32
    .workgroup_processor_mode: 1
  - .args:
      - .offset:         0
        .size:           176
        .value_kind:     by_value
    .group_segment_fixed_size: 0
    .kernarg_segment_align: 8
    .kernarg_segment_size: 176
    .language:       OpenCL C
    .language_version:
      - 2
      - 0
    .max_flat_workgroup_size: 256
    .name:           _ZN7rocprim17ROCPRIM_400000_NS6detail17trampoline_kernelINS0_13select_configILj256ELj13ELNS0_17block_load_methodE3ELS4_3ELS4_3ELNS0_20block_scan_algorithmE0ELj4294967295EEENS1_25partition_config_selectorILNS1_17partition_subalgoE4EjNS0_10empty_typeEbEEZZNS1_14partition_implILS8_4ELb0ES6_15HIP_vector_typeIjLj2EENS0_17counting_iteratorIjlEEPS9_SG_NS0_5tupleIJPjSI_NS0_16reverse_iteratorISI_EEEEENSH_IJSG_SG_SG_EEES9_SI_JZNS1_25segmented_radix_sort_implINS0_14default_configELb0EPKhPhPKlPlN2at6native12_GLOBAL__N_18offset_tEEE10hipError_tPvRmT1_PNSt15iterator_traitsIS12_E10value_typeET2_T3_PNS13_IS18_E10value_typeET4_jRbjT5_S1E_jjP12ihipStream_tbEUljE_ZNSN_ISO_Lb0ESQ_SR_ST_SU_SY_EESZ_S10_S11_S12_S16_S17_S18_S1B_S1C_jS1D_jS1E_S1E_jjS1G_bEUljE0_EEESZ_S10_S11_S18_S1C_S1E_T6_T7_T9_mT8_S1G_bDpT10_ENKUlT_T0_E_clISt17integral_constantIbLb1EES1T_IbLb0EEEEDaS1P_S1Q_EUlS1P_E_NS1_11comp_targetILNS1_3genE0ELNS1_11target_archE4294967295ELNS1_3gpuE0ELNS1_3repE0EEENS1_30default_config_static_selectorELNS0_4arch9wavefront6targetE0EEEvS12_
    .private_segment_fixed_size: 0
    .sgpr_count:     0
    .sgpr_spill_count: 0
    .symbol:         _ZN7rocprim17ROCPRIM_400000_NS6detail17trampoline_kernelINS0_13select_configILj256ELj13ELNS0_17block_load_methodE3ELS4_3ELS4_3ELNS0_20block_scan_algorithmE0ELj4294967295EEENS1_25partition_config_selectorILNS1_17partition_subalgoE4EjNS0_10empty_typeEbEEZZNS1_14partition_implILS8_4ELb0ES6_15HIP_vector_typeIjLj2EENS0_17counting_iteratorIjlEEPS9_SG_NS0_5tupleIJPjSI_NS0_16reverse_iteratorISI_EEEEENSH_IJSG_SG_SG_EEES9_SI_JZNS1_25segmented_radix_sort_implINS0_14default_configELb0EPKhPhPKlPlN2at6native12_GLOBAL__N_18offset_tEEE10hipError_tPvRmT1_PNSt15iterator_traitsIS12_E10value_typeET2_T3_PNS13_IS18_E10value_typeET4_jRbjT5_S1E_jjP12ihipStream_tbEUljE_ZNSN_ISO_Lb0ESQ_SR_ST_SU_SY_EESZ_S10_S11_S12_S16_S17_S18_S1B_S1C_jS1D_jS1E_S1E_jjS1G_bEUljE0_EEESZ_S10_S11_S18_S1C_S1E_T6_T7_T9_mT8_S1G_bDpT10_ENKUlT_T0_E_clISt17integral_constantIbLb1EES1T_IbLb0EEEEDaS1P_S1Q_EUlS1P_E_NS1_11comp_targetILNS1_3genE0ELNS1_11target_archE4294967295ELNS1_3gpuE0ELNS1_3repE0EEENS1_30default_config_static_selectorELNS0_4arch9wavefront6targetE0EEEvS12_.kd
    .uniform_work_group_size: 1
    .uses_dynamic_stack: false
    .vgpr_count:     0
    .vgpr_spill_count: 0
    .wavefront_size: 32
    .workgroup_processor_mode: 1
  - .args:
      - .offset:         0
        .size:           176
        .value_kind:     by_value
    .group_segment_fixed_size: 0
    .kernarg_segment_align: 8
    .kernarg_segment_size: 176
    .language:       OpenCL C
    .language_version:
      - 2
      - 0
    .max_flat_workgroup_size: 256
    .name:           _ZN7rocprim17ROCPRIM_400000_NS6detail17trampoline_kernelINS0_13select_configILj256ELj13ELNS0_17block_load_methodE3ELS4_3ELS4_3ELNS0_20block_scan_algorithmE0ELj4294967295EEENS1_25partition_config_selectorILNS1_17partition_subalgoE4EjNS0_10empty_typeEbEEZZNS1_14partition_implILS8_4ELb0ES6_15HIP_vector_typeIjLj2EENS0_17counting_iteratorIjlEEPS9_SG_NS0_5tupleIJPjSI_NS0_16reverse_iteratorISI_EEEEENSH_IJSG_SG_SG_EEES9_SI_JZNS1_25segmented_radix_sort_implINS0_14default_configELb0EPKhPhPKlPlN2at6native12_GLOBAL__N_18offset_tEEE10hipError_tPvRmT1_PNSt15iterator_traitsIS12_E10value_typeET2_T3_PNS13_IS18_E10value_typeET4_jRbjT5_S1E_jjP12ihipStream_tbEUljE_ZNSN_ISO_Lb0ESQ_SR_ST_SU_SY_EESZ_S10_S11_S12_S16_S17_S18_S1B_S1C_jS1D_jS1E_S1E_jjS1G_bEUljE0_EEESZ_S10_S11_S18_S1C_S1E_T6_T7_T9_mT8_S1G_bDpT10_ENKUlT_T0_E_clISt17integral_constantIbLb1EES1T_IbLb0EEEEDaS1P_S1Q_EUlS1P_E_NS1_11comp_targetILNS1_3genE5ELNS1_11target_archE942ELNS1_3gpuE9ELNS1_3repE0EEENS1_30default_config_static_selectorELNS0_4arch9wavefront6targetE0EEEvS12_
    .private_segment_fixed_size: 0
    .sgpr_count:     0
    .sgpr_spill_count: 0
    .symbol:         _ZN7rocprim17ROCPRIM_400000_NS6detail17trampoline_kernelINS0_13select_configILj256ELj13ELNS0_17block_load_methodE3ELS4_3ELS4_3ELNS0_20block_scan_algorithmE0ELj4294967295EEENS1_25partition_config_selectorILNS1_17partition_subalgoE4EjNS0_10empty_typeEbEEZZNS1_14partition_implILS8_4ELb0ES6_15HIP_vector_typeIjLj2EENS0_17counting_iteratorIjlEEPS9_SG_NS0_5tupleIJPjSI_NS0_16reverse_iteratorISI_EEEEENSH_IJSG_SG_SG_EEES9_SI_JZNS1_25segmented_radix_sort_implINS0_14default_configELb0EPKhPhPKlPlN2at6native12_GLOBAL__N_18offset_tEEE10hipError_tPvRmT1_PNSt15iterator_traitsIS12_E10value_typeET2_T3_PNS13_IS18_E10value_typeET4_jRbjT5_S1E_jjP12ihipStream_tbEUljE_ZNSN_ISO_Lb0ESQ_SR_ST_SU_SY_EESZ_S10_S11_S12_S16_S17_S18_S1B_S1C_jS1D_jS1E_S1E_jjS1G_bEUljE0_EEESZ_S10_S11_S18_S1C_S1E_T6_T7_T9_mT8_S1G_bDpT10_ENKUlT_T0_E_clISt17integral_constantIbLb1EES1T_IbLb0EEEEDaS1P_S1Q_EUlS1P_E_NS1_11comp_targetILNS1_3genE5ELNS1_11target_archE942ELNS1_3gpuE9ELNS1_3repE0EEENS1_30default_config_static_selectorELNS0_4arch9wavefront6targetE0EEEvS12_.kd
    .uniform_work_group_size: 1
    .uses_dynamic_stack: false
    .vgpr_count:     0
    .vgpr_spill_count: 0
    .wavefront_size: 32
    .workgroup_processor_mode: 1
  - .args:
      - .offset:         0
        .size:           176
        .value_kind:     by_value
    .group_segment_fixed_size: 0
    .kernarg_segment_align: 8
    .kernarg_segment_size: 176
    .language:       OpenCL C
    .language_version:
      - 2
      - 0
    .max_flat_workgroup_size: 256
    .name:           _ZN7rocprim17ROCPRIM_400000_NS6detail17trampoline_kernelINS0_13select_configILj256ELj13ELNS0_17block_load_methodE3ELS4_3ELS4_3ELNS0_20block_scan_algorithmE0ELj4294967295EEENS1_25partition_config_selectorILNS1_17partition_subalgoE4EjNS0_10empty_typeEbEEZZNS1_14partition_implILS8_4ELb0ES6_15HIP_vector_typeIjLj2EENS0_17counting_iteratorIjlEEPS9_SG_NS0_5tupleIJPjSI_NS0_16reverse_iteratorISI_EEEEENSH_IJSG_SG_SG_EEES9_SI_JZNS1_25segmented_radix_sort_implINS0_14default_configELb0EPKhPhPKlPlN2at6native12_GLOBAL__N_18offset_tEEE10hipError_tPvRmT1_PNSt15iterator_traitsIS12_E10value_typeET2_T3_PNS13_IS18_E10value_typeET4_jRbjT5_S1E_jjP12ihipStream_tbEUljE_ZNSN_ISO_Lb0ESQ_SR_ST_SU_SY_EESZ_S10_S11_S12_S16_S17_S18_S1B_S1C_jS1D_jS1E_S1E_jjS1G_bEUljE0_EEESZ_S10_S11_S18_S1C_S1E_T6_T7_T9_mT8_S1G_bDpT10_ENKUlT_T0_E_clISt17integral_constantIbLb1EES1T_IbLb0EEEEDaS1P_S1Q_EUlS1P_E_NS1_11comp_targetILNS1_3genE4ELNS1_11target_archE910ELNS1_3gpuE8ELNS1_3repE0EEENS1_30default_config_static_selectorELNS0_4arch9wavefront6targetE0EEEvS12_
    .private_segment_fixed_size: 0
    .sgpr_count:     0
    .sgpr_spill_count: 0
    .symbol:         _ZN7rocprim17ROCPRIM_400000_NS6detail17trampoline_kernelINS0_13select_configILj256ELj13ELNS0_17block_load_methodE3ELS4_3ELS4_3ELNS0_20block_scan_algorithmE0ELj4294967295EEENS1_25partition_config_selectorILNS1_17partition_subalgoE4EjNS0_10empty_typeEbEEZZNS1_14partition_implILS8_4ELb0ES6_15HIP_vector_typeIjLj2EENS0_17counting_iteratorIjlEEPS9_SG_NS0_5tupleIJPjSI_NS0_16reverse_iteratorISI_EEEEENSH_IJSG_SG_SG_EEES9_SI_JZNS1_25segmented_radix_sort_implINS0_14default_configELb0EPKhPhPKlPlN2at6native12_GLOBAL__N_18offset_tEEE10hipError_tPvRmT1_PNSt15iterator_traitsIS12_E10value_typeET2_T3_PNS13_IS18_E10value_typeET4_jRbjT5_S1E_jjP12ihipStream_tbEUljE_ZNSN_ISO_Lb0ESQ_SR_ST_SU_SY_EESZ_S10_S11_S12_S16_S17_S18_S1B_S1C_jS1D_jS1E_S1E_jjS1G_bEUljE0_EEESZ_S10_S11_S18_S1C_S1E_T6_T7_T9_mT8_S1G_bDpT10_ENKUlT_T0_E_clISt17integral_constantIbLb1EES1T_IbLb0EEEEDaS1P_S1Q_EUlS1P_E_NS1_11comp_targetILNS1_3genE4ELNS1_11target_archE910ELNS1_3gpuE8ELNS1_3repE0EEENS1_30default_config_static_selectorELNS0_4arch9wavefront6targetE0EEEvS12_.kd
    .uniform_work_group_size: 1
    .uses_dynamic_stack: false
    .vgpr_count:     0
    .vgpr_spill_count: 0
    .wavefront_size: 32
    .workgroup_processor_mode: 1
  - .args:
      - .offset:         0
        .size:           176
        .value_kind:     by_value
    .group_segment_fixed_size: 0
    .kernarg_segment_align: 8
    .kernarg_segment_size: 176
    .language:       OpenCL C
    .language_version:
      - 2
      - 0
    .max_flat_workgroup_size: 256
    .name:           _ZN7rocprim17ROCPRIM_400000_NS6detail17trampoline_kernelINS0_13select_configILj256ELj13ELNS0_17block_load_methodE3ELS4_3ELS4_3ELNS0_20block_scan_algorithmE0ELj4294967295EEENS1_25partition_config_selectorILNS1_17partition_subalgoE4EjNS0_10empty_typeEbEEZZNS1_14partition_implILS8_4ELb0ES6_15HIP_vector_typeIjLj2EENS0_17counting_iteratorIjlEEPS9_SG_NS0_5tupleIJPjSI_NS0_16reverse_iteratorISI_EEEEENSH_IJSG_SG_SG_EEES9_SI_JZNS1_25segmented_radix_sort_implINS0_14default_configELb0EPKhPhPKlPlN2at6native12_GLOBAL__N_18offset_tEEE10hipError_tPvRmT1_PNSt15iterator_traitsIS12_E10value_typeET2_T3_PNS13_IS18_E10value_typeET4_jRbjT5_S1E_jjP12ihipStream_tbEUljE_ZNSN_ISO_Lb0ESQ_SR_ST_SU_SY_EESZ_S10_S11_S12_S16_S17_S18_S1B_S1C_jS1D_jS1E_S1E_jjS1G_bEUljE0_EEESZ_S10_S11_S18_S1C_S1E_T6_T7_T9_mT8_S1G_bDpT10_ENKUlT_T0_E_clISt17integral_constantIbLb1EES1T_IbLb0EEEEDaS1P_S1Q_EUlS1P_E_NS1_11comp_targetILNS1_3genE3ELNS1_11target_archE908ELNS1_3gpuE7ELNS1_3repE0EEENS1_30default_config_static_selectorELNS0_4arch9wavefront6targetE0EEEvS12_
    .private_segment_fixed_size: 0
    .sgpr_count:     0
    .sgpr_spill_count: 0
    .symbol:         _ZN7rocprim17ROCPRIM_400000_NS6detail17trampoline_kernelINS0_13select_configILj256ELj13ELNS0_17block_load_methodE3ELS4_3ELS4_3ELNS0_20block_scan_algorithmE0ELj4294967295EEENS1_25partition_config_selectorILNS1_17partition_subalgoE4EjNS0_10empty_typeEbEEZZNS1_14partition_implILS8_4ELb0ES6_15HIP_vector_typeIjLj2EENS0_17counting_iteratorIjlEEPS9_SG_NS0_5tupleIJPjSI_NS0_16reverse_iteratorISI_EEEEENSH_IJSG_SG_SG_EEES9_SI_JZNS1_25segmented_radix_sort_implINS0_14default_configELb0EPKhPhPKlPlN2at6native12_GLOBAL__N_18offset_tEEE10hipError_tPvRmT1_PNSt15iterator_traitsIS12_E10value_typeET2_T3_PNS13_IS18_E10value_typeET4_jRbjT5_S1E_jjP12ihipStream_tbEUljE_ZNSN_ISO_Lb0ESQ_SR_ST_SU_SY_EESZ_S10_S11_S12_S16_S17_S18_S1B_S1C_jS1D_jS1E_S1E_jjS1G_bEUljE0_EEESZ_S10_S11_S18_S1C_S1E_T6_T7_T9_mT8_S1G_bDpT10_ENKUlT_T0_E_clISt17integral_constantIbLb1EES1T_IbLb0EEEEDaS1P_S1Q_EUlS1P_E_NS1_11comp_targetILNS1_3genE3ELNS1_11target_archE908ELNS1_3gpuE7ELNS1_3repE0EEENS1_30default_config_static_selectorELNS0_4arch9wavefront6targetE0EEEvS12_.kd
    .uniform_work_group_size: 1
    .uses_dynamic_stack: false
    .vgpr_count:     0
    .vgpr_spill_count: 0
    .wavefront_size: 32
    .workgroup_processor_mode: 1
  - .args:
      - .offset:         0
        .size:           176
        .value_kind:     by_value
    .group_segment_fixed_size: 0
    .kernarg_segment_align: 8
    .kernarg_segment_size: 176
    .language:       OpenCL C
    .language_version:
      - 2
      - 0
    .max_flat_workgroup_size: 256
    .name:           _ZN7rocprim17ROCPRIM_400000_NS6detail17trampoline_kernelINS0_13select_configILj256ELj13ELNS0_17block_load_methodE3ELS4_3ELS4_3ELNS0_20block_scan_algorithmE0ELj4294967295EEENS1_25partition_config_selectorILNS1_17partition_subalgoE4EjNS0_10empty_typeEbEEZZNS1_14partition_implILS8_4ELb0ES6_15HIP_vector_typeIjLj2EENS0_17counting_iteratorIjlEEPS9_SG_NS0_5tupleIJPjSI_NS0_16reverse_iteratorISI_EEEEENSH_IJSG_SG_SG_EEES9_SI_JZNS1_25segmented_radix_sort_implINS0_14default_configELb0EPKhPhPKlPlN2at6native12_GLOBAL__N_18offset_tEEE10hipError_tPvRmT1_PNSt15iterator_traitsIS12_E10value_typeET2_T3_PNS13_IS18_E10value_typeET4_jRbjT5_S1E_jjP12ihipStream_tbEUljE_ZNSN_ISO_Lb0ESQ_SR_ST_SU_SY_EESZ_S10_S11_S12_S16_S17_S18_S1B_S1C_jS1D_jS1E_S1E_jjS1G_bEUljE0_EEESZ_S10_S11_S18_S1C_S1E_T6_T7_T9_mT8_S1G_bDpT10_ENKUlT_T0_E_clISt17integral_constantIbLb1EES1T_IbLb0EEEEDaS1P_S1Q_EUlS1P_E_NS1_11comp_targetILNS1_3genE2ELNS1_11target_archE906ELNS1_3gpuE6ELNS1_3repE0EEENS1_30default_config_static_selectorELNS0_4arch9wavefront6targetE0EEEvS12_
    .private_segment_fixed_size: 0
    .sgpr_count:     0
    .sgpr_spill_count: 0
    .symbol:         _ZN7rocprim17ROCPRIM_400000_NS6detail17trampoline_kernelINS0_13select_configILj256ELj13ELNS0_17block_load_methodE3ELS4_3ELS4_3ELNS0_20block_scan_algorithmE0ELj4294967295EEENS1_25partition_config_selectorILNS1_17partition_subalgoE4EjNS0_10empty_typeEbEEZZNS1_14partition_implILS8_4ELb0ES6_15HIP_vector_typeIjLj2EENS0_17counting_iteratorIjlEEPS9_SG_NS0_5tupleIJPjSI_NS0_16reverse_iteratorISI_EEEEENSH_IJSG_SG_SG_EEES9_SI_JZNS1_25segmented_radix_sort_implINS0_14default_configELb0EPKhPhPKlPlN2at6native12_GLOBAL__N_18offset_tEEE10hipError_tPvRmT1_PNSt15iterator_traitsIS12_E10value_typeET2_T3_PNS13_IS18_E10value_typeET4_jRbjT5_S1E_jjP12ihipStream_tbEUljE_ZNSN_ISO_Lb0ESQ_SR_ST_SU_SY_EESZ_S10_S11_S12_S16_S17_S18_S1B_S1C_jS1D_jS1E_S1E_jjS1G_bEUljE0_EEESZ_S10_S11_S18_S1C_S1E_T6_T7_T9_mT8_S1G_bDpT10_ENKUlT_T0_E_clISt17integral_constantIbLb1EES1T_IbLb0EEEEDaS1P_S1Q_EUlS1P_E_NS1_11comp_targetILNS1_3genE2ELNS1_11target_archE906ELNS1_3gpuE6ELNS1_3repE0EEENS1_30default_config_static_selectorELNS0_4arch9wavefront6targetE0EEEvS12_.kd
    .uniform_work_group_size: 1
    .uses_dynamic_stack: false
    .vgpr_count:     0
    .vgpr_spill_count: 0
    .wavefront_size: 32
    .workgroup_processor_mode: 1
  - .args:
      - .offset:         0
        .size:           176
        .value_kind:     by_value
    .group_segment_fixed_size: 0
    .kernarg_segment_align: 8
    .kernarg_segment_size: 176
    .language:       OpenCL C
    .language_version:
      - 2
      - 0
    .max_flat_workgroup_size: 256
    .name:           _ZN7rocprim17ROCPRIM_400000_NS6detail17trampoline_kernelINS0_13select_configILj256ELj13ELNS0_17block_load_methodE3ELS4_3ELS4_3ELNS0_20block_scan_algorithmE0ELj4294967295EEENS1_25partition_config_selectorILNS1_17partition_subalgoE4EjNS0_10empty_typeEbEEZZNS1_14partition_implILS8_4ELb0ES6_15HIP_vector_typeIjLj2EENS0_17counting_iteratorIjlEEPS9_SG_NS0_5tupleIJPjSI_NS0_16reverse_iteratorISI_EEEEENSH_IJSG_SG_SG_EEES9_SI_JZNS1_25segmented_radix_sort_implINS0_14default_configELb0EPKhPhPKlPlN2at6native12_GLOBAL__N_18offset_tEEE10hipError_tPvRmT1_PNSt15iterator_traitsIS12_E10value_typeET2_T3_PNS13_IS18_E10value_typeET4_jRbjT5_S1E_jjP12ihipStream_tbEUljE_ZNSN_ISO_Lb0ESQ_SR_ST_SU_SY_EESZ_S10_S11_S12_S16_S17_S18_S1B_S1C_jS1D_jS1E_S1E_jjS1G_bEUljE0_EEESZ_S10_S11_S18_S1C_S1E_T6_T7_T9_mT8_S1G_bDpT10_ENKUlT_T0_E_clISt17integral_constantIbLb1EES1T_IbLb0EEEEDaS1P_S1Q_EUlS1P_E_NS1_11comp_targetILNS1_3genE10ELNS1_11target_archE1200ELNS1_3gpuE4ELNS1_3repE0EEENS1_30default_config_static_selectorELNS0_4arch9wavefront6targetE0EEEvS12_
    .private_segment_fixed_size: 0
    .sgpr_count:     0
    .sgpr_spill_count: 0
    .symbol:         _ZN7rocprim17ROCPRIM_400000_NS6detail17trampoline_kernelINS0_13select_configILj256ELj13ELNS0_17block_load_methodE3ELS4_3ELS4_3ELNS0_20block_scan_algorithmE0ELj4294967295EEENS1_25partition_config_selectorILNS1_17partition_subalgoE4EjNS0_10empty_typeEbEEZZNS1_14partition_implILS8_4ELb0ES6_15HIP_vector_typeIjLj2EENS0_17counting_iteratorIjlEEPS9_SG_NS0_5tupleIJPjSI_NS0_16reverse_iteratorISI_EEEEENSH_IJSG_SG_SG_EEES9_SI_JZNS1_25segmented_radix_sort_implINS0_14default_configELb0EPKhPhPKlPlN2at6native12_GLOBAL__N_18offset_tEEE10hipError_tPvRmT1_PNSt15iterator_traitsIS12_E10value_typeET2_T3_PNS13_IS18_E10value_typeET4_jRbjT5_S1E_jjP12ihipStream_tbEUljE_ZNSN_ISO_Lb0ESQ_SR_ST_SU_SY_EESZ_S10_S11_S12_S16_S17_S18_S1B_S1C_jS1D_jS1E_S1E_jjS1G_bEUljE0_EEESZ_S10_S11_S18_S1C_S1E_T6_T7_T9_mT8_S1G_bDpT10_ENKUlT_T0_E_clISt17integral_constantIbLb1EES1T_IbLb0EEEEDaS1P_S1Q_EUlS1P_E_NS1_11comp_targetILNS1_3genE10ELNS1_11target_archE1200ELNS1_3gpuE4ELNS1_3repE0EEENS1_30default_config_static_selectorELNS0_4arch9wavefront6targetE0EEEvS12_.kd
    .uniform_work_group_size: 1
    .uses_dynamic_stack: false
    .vgpr_count:     0
    .vgpr_spill_count: 0
    .wavefront_size: 32
    .workgroup_processor_mode: 1
  - .args:
      - .offset:         0
        .size:           176
        .value_kind:     by_value
    .group_segment_fixed_size: 13340
    .kernarg_segment_align: 8
    .kernarg_segment_size: 176
    .language:       OpenCL C
    .language_version:
      - 2
      - 0
    .max_flat_workgroup_size: 256
    .name:           _ZN7rocprim17ROCPRIM_400000_NS6detail17trampoline_kernelINS0_13select_configILj256ELj13ELNS0_17block_load_methodE3ELS4_3ELS4_3ELNS0_20block_scan_algorithmE0ELj4294967295EEENS1_25partition_config_selectorILNS1_17partition_subalgoE4EjNS0_10empty_typeEbEEZZNS1_14partition_implILS8_4ELb0ES6_15HIP_vector_typeIjLj2EENS0_17counting_iteratorIjlEEPS9_SG_NS0_5tupleIJPjSI_NS0_16reverse_iteratorISI_EEEEENSH_IJSG_SG_SG_EEES9_SI_JZNS1_25segmented_radix_sort_implINS0_14default_configELb0EPKhPhPKlPlN2at6native12_GLOBAL__N_18offset_tEEE10hipError_tPvRmT1_PNSt15iterator_traitsIS12_E10value_typeET2_T3_PNS13_IS18_E10value_typeET4_jRbjT5_S1E_jjP12ihipStream_tbEUljE_ZNSN_ISO_Lb0ESQ_SR_ST_SU_SY_EESZ_S10_S11_S12_S16_S17_S18_S1B_S1C_jS1D_jS1E_S1E_jjS1G_bEUljE0_EEESZ_S10_S11_S18_S1C_S1E_T6_T7_T9_mT8_S1G_bDpT10_ENKUlT_T0_E_clISt17integral_constantIbLb1EES1T_IbLb0EEEEDaS1P_S1Q_EUlS1P_E_NS1_11comp_targetILNS1_3genE9ELNS1_11target_archE1100ELNS1_3gpuE3ELNS1_3repE0EEENS1_30default_config_static_selectorELNS0_4arch9wavefront6targetE0EEEvS12_
    .private_segment_fixed_size: 0
    .sgpr_count:     61
    .sgpr_spill_count: 0
    .symbol:         _ZN7rocprim17ROCPRIM_400000_NS6detail17trampoline_kernelINS0_13select_configILj256ELj13ELNS0_17block_load_methodE3ELS4_3ELS4_3ELNS0_20block_scan_algorithmE0ELj4294967295EEENS1_25partition_config_selectorILNS1_17partition_subalgoE4EjNS0_10empty_typeEbEEZZNS1_14partition_implILS8_4ELb0ES6_15HIP_vector_typeIjLj2EENS0_17counting_iteratorIjlEEPS9_SG_NS0_5tupleIJPjSI_NS0_16reverse_iteratorISI_EEEEENSH_IJSG_SG_SG_EEES9_SI_JZNS1_25segmented_radix_sort_implINS0_14default_configELb0EPKhPhPKlPlN2at6native12_GLOBAL__N_18offset_tEEE10hipError_tPvRmT1_PNSt15iterator_traitsIS12_E10value_typeET2_T3_PNS13_IS18_E10value_typeET4_jRbjT5_S1E_jjP12ihipStream_tbEUljE_ZNSN_ISO_Lb0ESQ_SR_ST_SU_SY_EESZ_S10_S11_S12_S16_S17_S18_S1B_S1C_jS1D_jS1E_S1E_jjS1G_bEUljE0_EEESZ_S10_S11_S18_S1C_S1E_T6_T7_T9_mT8_S1G_bDpT10_ENKUlT_T0_E_clISt17integral_constantIbLb1EES1T_IbLb0EEEEDaS1P_S1Q_EUlS1P_E_NS1_11comp_targetILNS1_3genE9ELNS1_11target_archE1100ELNS1_3gpuE3ELNS1_3repE0EEENS1_30default_config_static_selectorELNS0_4arch9wavefront6targetE0EEEvS12_.kd
    .uniform_work_group_size: 1
    .uses_dynamic_stack: false
    .vgpr_count:     98
    .vgpr_spill_count: 0
    .wavefront_size: 32
    .workgroup_processor_mode: 1
  - .args:
      - .offset:         0
        .size:           176
        .value_kind:     by_value
    .group_segment_fixed_size: 0
    .kernarg_segment_align: 8
    .kernarg_segment_size: 176
    .language:       OpenCL C
    .language_version:
      - 2
      - 0
    .max_flat_workgroup_size: 256
    .name:           _ZN7rocprim17ROCPRIM_400000_NS6detail17trampoline_kernelINS0_13select_configILj256ELj13ELNS0_17block_load_methodE3ELS4_3ELS4_3ELNS0_20block_scan_algorithmE0ELj4294967295EEENS1_25partition_config_selectorILNS1_17partition_subalgoE4EjNS0_10empty_typeEbEEZZNS1_14partition_implILS8_4ELb0ES6_15HIP_vector_typeIjLj2EENS0_17counting_iteratorIjlEEPS9_SG_NS0_5tupleIJPjSI_NS0_16reverse_iteratorISI_EEEEENSH_IJSG_SG_SG_EEES9_SI_JZNS1_25segmented_radix_sort_implINS0_14default_configELb0EPKhPhPKlPlN2at6native12_GLOBAL__N_18offset_tEEE10hipError_tPvRmT1_PNSt15iterator_traitsIS12_E10value_typeET2_T3_PNS13_IS18_E10value_typeET4_jRbjT5_S1E_jjP12ihipStream_tbEUljE_ZNSN_ISO_Lb0ESQ_SR_ST_SU_SY_EESZ_S10_S11_S12_S16_S17_S18_S1B_S1C_jS1D_jS1E_S1E_jjS1G_bEUljE0_EEESZ_S10_S11_S18_S1C_S1E_T6_T7_T9_mT8_S1G_bDpT10_ENKUlT_T0_E_clISt17integral_constantIbLb1EES1T_IbLb0EEEEDaS1P_S1Q_EUlS1P_E_NS1_11comp_targetILNS1_3genE8ELNS1_11target_archE1030ELNS1_3gpuE2ELNS1_3repE0EEENS1_30default_config_static_selectorELNS0_4arch9wavefront6targetE0EEEvS12_
    .private_segment_fixed_size: 0
    .sgpr_count:     0
    .sgpr_spill_count: 0
    .symbol:         _ZN7rocprim17ROCPRIM_400000_NS6detail17trampoline_kernelINS0_13select_configILj256ELj13ELNS0_17block_load_methodE3ELS4_3ELS4_3ELNS0_20block_scan_algorithmE0ELj4294967295EEENS1_25partition_config_selectorILNS1_17partition_subalgoE4EjNS0_10empty_typeEbEEZZNS1_14partition_implILS8_4ELb0ES6_15HIP_vector_typeIjLj2EENS0_17counting_iteratorIjlEEPS9_SG_NS0_5tupleIJPjSI_NS0_16reverse_iteratorISI_EEEEENSH_IJSG_SG_SG_EEES9_SI_JZNS1_25segmented_radix_sort_implINS0_14default_configELb0EPKhPhPKlPlN2at6native12_GLOBAL__N_18offset_tEEE10hipError_tPvRmT1_PNSt15iterator_traitsIS12_E10value_typeET2_T3_PNS13_IS18_E10value_typeET4_jRbjT5_S1E_jjP12ihipStream_tbEUljE_ZNSN_ISO_Lb0ESQ_SR_ST_SU_SY_EESZ_S10_S11_S12_S16_S17_S18_S1B_S1C_jS1D_jS1E_S1E_jjS1G_bEUljE0_EEESZ_S10_S11_S18_S1C_S1E_T6_T7_T9_mT8_S1G_bDpT10_ENKUlT_T0_E_clISt17integral_constantIbLb1EES1T_IbLb0EEEEDaS1P_S1Q_EUlS1P_E_NS1_11comp_targetILNS1_3genE8ELNS1_11target_archE1030ELNS1_3gpuE2ELNS1_3repE0EEENS1_30default_config_static_selectorELNS0_4arch9wavefront6targetE0EEEvS12_.kd
    .uniform_work_group_size: 1
    .uses_dynamic_stack: false
    .vgpr_count:     0
    .vgpr_spill_count: 0
    .wavefront_size: 32
    .workgroup_processor_mode: 1
  - .args:
      - .offset:         0
        .size:           184
        .value_kind:     by_value
    .group_segment_fixed_size: 0
    .kernarg_segment_align: 8
    .kernarg_segment_size: 184
    .language:       OpenCL C
    .language_version:
      - 2
      - 0
    .max_flat_workgroup_size: 256
    .name:           _ZN7rocprim17ROCPRIM_400000_NS6detail17trampoline_kernelINS0_13select_configILj256ELj13ELNS0_17block_load_methodE3ELS4_3ELS4_3ELNS0_20block_scan_algorithmE0ELj4294967295EEENS1_25partition_config_selectorILNS1_17partition_subalgoE4EjNS0_10empty_typeEbEEZZNS1_14partition_implILS8_4ELb0ES6_15HIP_vector_typeIjLj2EENS0_17counting_iteratorIjlEEPS9_SG_NS0_5tupleIJPjSI_NS0_16reverse_iteratorISI_EEEEENSH_IJSG_SG_SG_EEES9_SI_JZNS1_25segmented_radix_sort_implINS0_14default_configELb0EPKhPhPKlPlN2at6native12_GLOBAL__N_18offset_tEEE10hipError_tPvRmT1_PNSt15iterator_traitsIS12_E10value_typeET2_T3_PNS13_IS18_E10value_typeET4_jRbjT5_S1E_jjP12ihipStream_tbEUljE_ZNSN_ISO_Lb0ESQ_SR_ST_SU_SY_EESZ_S10_S11_S12_S16_S17_S18_S1B_S1C_jS1D_jS1E_S1E_jjS1G_bEUljE0_EEESZ_S10_S11_S18_S1C_S1E_T6_T7_T9_mT8_S1G_bDpT10_ENKUlT_T0_E_clISt17integral_constantIbLb0EES1T_IbLb1EEEEDaS1P_S1Q_EUlS1P_E_NS1_11comp_targetILNS1_3genE0ELNS1_11target_archE4294967295ELNS1_3gpuE0ELNS1_3repE0EEENS1_30default_config_static_selectorELNS0_4arch9wavefront6targetE0EEEvS12_
    .private_segment_fixed_size: 0
    .sgpr_count:     0
    .sgpr_spill_count: 0
    .symbol:         _ZN7rocprim17ROCPRIM_400000_NS6detail17trampoline_kernelINS0_13select_configILj256ELj13ELNS0_17block_load_methodE3ELS4_3ELS4_3ELNS0_20block_scan_algorithmE0ELj4294967295EEENS1_25partition_config_selectorILNS1_17partition_subalgoE4EjNS0_10empty_typeEbEEZZNS1_14partition_implILS8_4ELb0ES6_15HIP_vector_typeIjLj2EENS0_17counting_iteratorIjlEEPS9_SG_NS0_5tupleIJPjSI_NS0_16reverse_iteratorISI_EEEEENSH_IJSG_SG_SG_EEES9_SI_JZNS1_25segmented_radix_sort_implINS0_14default_configELb0EPKhPhPKlPlN2at6native12_GLOBAL__N_18offset_tEEE10hipError_tPvRmT1_PNSt15iterator_traitsIS12_E10value_typeET2_T3_PNS13_IS18_E10value_typeET4_jRbjT5_S1E_jjP12ihipStream_tbEUljE_ZNSN_ISO_Lb0ESQ_SR_ST_SU_SY_EESZ_S10_S11_S12_S16_S17_S18_S1B_S1C_jS1D_jS1E_S1E_jjS1G_bEUljE0_EEESZ_S10_S11_S18_S1C_S1E_T6_T7_T9_mT8_S1G_bDpT10_ENKUlT_T0_E_clISt17integral_constantIbLb0EES1T_IbLb1EEEEDaS1P_S1Q_EUlS1P_E_NS1_11comp_targetILNS1_3genE0ELNS1_11target_archE4294967295ELNS1_3gpuE0ELNS1_3repE0EEENS1_30default_config_static_selectorELNS0_4arch9wavefront6targetE0EEEvS12_.kd
    .uniform_work_group_size: 1
    .uses_dynamic_stack: false
    .vgpr_count:     0
    .vgpr_spill_count: 0
    .wavefront_size: 32
    .workgroup_processor_mode: 1
  - .args:
      - .offset:         0
        .size:           184
        .value_kind:     by_value
    .group_segment_fixed_size: 0
    .kernarg_segment_align: 8
    .kernarg_segment_size: 184
    .language:       OpenCL C
    .language_version:
      - 2
      - 0
    .max_flat_workgroup_size: 256
    .name:           _ZN7rocprim17ROCPRIM_400000_NS6detail17trampoline_kernelINS0_13select_configILj256ELj13ELNS0_17block_load_methodE3ELS4_3ELS4_3ELNS0_20block_scan_algorithmE0ELj4294967295EEENS1_25partition_config_selectorILNS1_17partition_subalgoE4EjNS0_10empty_typeEbEEZZNS1_14partition_implILS8_4ELb0ES6_15HIP_vector_typeIjLj2EENS0_17counting_iteratorIjlEEPS9_SG_NS0_5tupleIJPjSI_NS0_16reverse_iteratorISI_EEEEENSH_IJSG_SG_SG_EEES9_SI_JZNS1_25segmented_radix_sort_implINS0_14default_configELb0EPKhPhPKlPlN2at6native12_GLOBAL__N_18offset_tEEE10hipError_tPvRmT1_PNSt15iterator_traitsIS12_E10value_typeET2_T3_PNS13_IS18_E10value_typeET4_jRbjT5_S1E_jjP12ihipStream_tbEUljE_ZNSN_ISO_Lb0ESQ_SR_ST_SU_SY_EESZ_S10_S11_S12_S16_S17_S18_S1B_S1C_jS1D_jS1E_S1E_jjS1G_bEUljE0_EEESZ_S10_S11_S18_S1C_S1E_T6_T7_T9_mT8_S1G_bDpT10_ENKUlT_T0_E_clISt17integral_constantIbLb0EES1T_IbLb1EEEEDaS1P_S1Q_EUlS1P_E_NS1_11comp_targetILNS1_3genE5ELNS1_11target_archE942ELNS1_3gpuE9ELNS1_3repE0EEENS1_30default_config_static_selectorELNS0_4arch9wavefront6targetE0EEEvS12_
    .private_segment_fixed_size: 0
    .sgpr_count:     0
    .sgpr_spill_count: 0
    .symbol:         _ZN7rocprim17ROCPRIM_400000_NS6detail17trampoline_kernelINS0_13select_configILj256ELj13ELNS0_17block_load_methodE3ELS4_3ELS4_3ELNS0_20block_scan_algorithmE0ELj4294967295EEENS1_25partition_config_selectorILNS1_17partition_subalgoE4EjNS0_10empty_typeEbEEZZNS1_14partition_implILS8_4ELb0ES6_15HIP_vector_typeIjLj2EENS0_17counting_iteratorIjlEEPS9_SG_NS0_5tupleIJPjSI_NS0_16reverse_iteratorISI_EEEEENSH_IJSG_SG_SG_EEES9_SI_JZNS1_25segmented_radix_sort_implINS0_14default_configELb0EPKhPhPKlPlN2at6native12_GLOBAL__N_18offset_tEEE10hipError_tPvRmT1_PNSt15iterator_traitsIS12_E10value_typeET2_T3_PNS13_IS18_E10value_typeET4_jRbjT5_S1E_jjP12ihipStream_tbEUljE_ZNSN_ISO_Lb0ESQ_SR_ST_SU_SY_EESZ_S10_S11_S12_S16_S17_S18_S1B_S1C_jS1D_jS1E_S1E_jjS1G_bEUljE0_EEESZ_S10_S11_S18_S1C_S1E_T6_T7_T9_mT8_S1G_bDpT10_ENKUlT_T0_E_clISt17integral_constantIbLb0EES1T_IbLb1EEEEDaS1P_S1Q_EUlS1P_E_NS1_11comp_targetILNS1_3genE5ELNS1_11target_archE942ELNS1_3gpuE9ELNS1_3repE0EEENS1_30default_config_static_selectorELNS0_4arch9wavefront6targetE0EEEvS12_.kd
    .uniform_work_group_size: 1
    .uses_dynamic_stack: false
    .vgpr_count:     0
    .vgpr_spill_count: 0
    .wavefront_size: 32
    .workgroup_processor_mode: 1
  - .args:
      - .offset:         0
        .size:           184
        .value_kind:     by_value
    .group_segment_fixed_size: 0
    .kernarg_segment_align: 8
    .kernarg_segment_size: 184
    .language:       OpenCL C
    .language_version:
      - 2
      - 0
    .max_flat_workgroup_size: 256
    .name:           _ZN7rocprim17ROCPRIM_400000_NS6detail17trampoline_kernelINS0_13select_configILj256ELj13ELNS0_17block_load_methodE3ELS4_3ELS4_3ELNS0_20block_scan_algorithmE0ELj4294967295EEENS1_25partition_config_selectorILNS1_17partition_subalgoE4EjNS0_10empty_typeEbEEZZNS1_14partition_implILS8_4ELb0ES6_15HIP_vector_typeIjLj2EENS0_17counting_iteratorIjlEEPS9_SG_NS0_5tupleIJPjSI_NS0_16reverse_iteratorISI_EEEEENSH_IJSG_SG_SG_EEES9_SI_JZNS1_25segmented_radix_sort_implINS0_14default_configELb0EPKhPhPKlPlN2at6native12_GLOBAL__N_18offset_tEEE10hipError_tPvRmT1_PNSt15iterator_traitsIS12_E10value_typeET2_T3_PNS13_IS18_E10value_typeET4_jRbjT5_S1E_jjP12ihipStream_tbEUljE_ZNSN_ISO_Lb0ESQ_SR_ST_SU_SY_EESZ_S10_S11_S12_S16_S17_S18_S1B_S1C_jS1D_jS1E_S1E_jjS1G_bEUljE0_EEESZ_S10_S11_S18_S1C_S1E_T6_T7_T9_mT8_S1G_bDpT10_ENKUlT_T0_E_clISt17integral_constantIbLb0EES1T_IbLb1EEEEDaS1P_S1Q_EUlS1P_E_NS1_11comp_targetILNS1_3genE4ELNS1_11target_archE910ELNS1_3gpuE8ELNS1_3repE0EEENS1_30default_config_static_selectorELNS0_4arch9wavefront6targetE0EEEvS12_
    .private_segment_fixed_size: 0
    .sgpr_count:     0
    .sgpr_spill_count: 0
    .symbol:         _ZN7rocprim17ROCPRIM_400000_NS6detail17trampoline_kernelINS0_13select_configILj256ELj13ELNS0_17block_load_methodE3ELS4_3ELS4_3ELNS0_20block_scan_algorithmE0ELj4294967295EEENS1_25partition_config_selectorILNS1_17partition_subalgoE4EjNS0_10empty_typeEbEEZZNS1_14partition_implILS8_4ELb0ES6_15HIP_vector_typeIjLj2EENS0_17counting_iteratorIjlEEPS9_SG_NS0_5tupleIJPjSI_NS0_16reverse_iteratorISI_EEEEENSH_IJSG_SG_SG_EEES9_SI_JZNS1_25segmented_radix_sort_implINS0_14default_configELb0EPKhPhPKlPlN2at6native12_GLOBAL__N_18offset_tEEE10hipError_tPvRmT1_PNSt15iterator_traitsIS12_E10value_typeET2_T3_PNS13_IS18_E10value_typeET4_jRbjT5_S1E_jjP12ihipStream_tbEUljE_ZNSN_ISO_Lb0ESQ_SR_ST_SU_SY_EESZ_S10_S11_S12_S16_S17_S18_S1B_S1C_jS1D_jS1E_S1E_jjS1G_bEUljE0_EEESZ_S10_S11_S18_S1C_S1E_T6_T7_T9_mT8_S1G_bDpT10_ENKUlT_T0_E_clISt17integral_constantIbLb0EES1T_IbLb1EEEEDaS1P_S1Q_EUlS1P_E_NS1_11comp_targetILNS1_3genE4ELNS1_11target_archE910ELNS1_3gpuE8ELNS1_3repE0EEENS1_30default_config_static_selectorELNS0_4arch9wavefront6targetE0EEEvS12_.kd
    .uniform_work_group_size: 1
    .uses_dynamic_stack: false
    .vgpr_count:     0
    .vgpr_spill_count: 0
    .wavefront_size: 32
    .workgroup_processor_mode: 1
  - .args:
      - .offset:         0
        .size:           184
        .value_kind:     by_value
    .group_segment_fixed_size: 0
    .kernarg_segment_align: 8
    .kernarg_segment_size: 184
    .language:       OpenCL C
    .language_version:
      - 2
      - 0
    .max_flat_workgroup_size: 256
    .name:           _ZN7rocprim17ROCPRIM_400000_NS6detail17trampoline_kernelINS0_13select_configILj256ELj13ELNS0_17block_load_methodE3ELS4_3ELS4_3ELNS0_20block_scan_algorithmE0ELj4294967295EEENS1_25partition_config_selectorILNS1_17partition_subalgoE4EjNS0_10empty_typeEbEEZZNS1_14partition_implILS8_4ELb0ES6_15HIP_vector_typeIjLj2EENS0_17counting_iteratorIjlEEPS9_SG_NS0_5tupleIJPjSI_NS0_16reverse_iteratorISI_EEEEENSH_IJSG_SG_SG_EEES9_SI_JZNS1_25segmented_radix_sort_implINS0_14default_configELb0EPKhPhPKlPlN2at6native12_GLOBAL__N_18offset_tEEE10hipError_tPvRmT1_PNSt15iterator_traitsIS12_E10value_typeET2_T3_PNS13_IS18_E10value_typeET4_jRbjT5_S1E_jjP12ihipStream_tbEUljE_ZNSN_ISO_Lb0ESQ_SR_ST_SU_SY_EESZ_S10_S11_S12_S16_S17_S18_S1B_S1C_jS1D_jS1E_S1E_jjS1G_bEUljE0_EEESZ_S10_S11_S18_S1C_S1E_T6_T7_T9_mT8_S1G_bDpT10_ENKUlT_T0_E_clISt17integral_constantIbLb0EES1T_IbLb1EEEEDaS1P_S1Q_EUlS1P_E_NS1_11comp_targetILNS1_3genE3ELNS1_11target_archE908ELNS1_3gpuE7ELNS1_3repE0EEENS1_30default_config_static_selectorELNS0_4arch9wavefront6targetE0EEEvS12_
    .private_segment_fixed_size: 0
    .sgpr_count:     0
    .sgpr_spill_count: 0
    .symbol:         _ZN7rocprim17ROCPRIM_400000_NS6detail17trampoline_kernelINS0_13select_configILj256ELj13ELNS0_17block_load_methodE3ELS4_3ELS4_3ELNS0_20block_scan_algorithmE0ELj4294967295EEENS1_25partition_config_selectorILNS1_17partition_subalgoE4EjNS0_10empty_typeEbEEZZNS1_14partition_implILS8_4ELb0ES6_15HIP_vector_typeIjLj2EENS0_17counting_iteratorIjlEEPS9_SG_NS0_5tupleIJPjSI_NS0_16reverse_iteratorISI_EEEEENSH_IJSG_SG_SG_EEES9_SI_JZNS1_25segmented_radix_sort_implINS0_14default_configELb0EPKhPhPKlPlN2at6native12_GLOBAL__N_18offset_tEEE10hipError_tPvRmT1_PNSt15iterator_traitsIS12_E10value_typeET2_T3_PNS13_IS18_E10value_typeET4_jRbjT5_S1E_jjP12ihipStream_tbEUljE_ZNSN_ISO_Lb0ESQ_SR_ST_SU_SY_EESZ_S10_S11_S12_S16_S17_S18_S1B_S1C_jS1D_jS1E_S1E_jjS1G_bEUljE0_EEESZ_S10_S11_S18_S1C_S1E_T6_T7_T9_mT8_S1G_bDpT10_ENKUlT_T0_E_clISt17integral_constantIbLb0EES1T_IbLb1EEEEDaS1P_S1Q_EUlS1P_E_NS1_11comp_targetILNS1_3genE3ELNS1_11target_archE908ELNS1_3gpuE7ELNS1_3repE0EEENS1_30default_config_static_selectorELNS0_4arch9wavefront6targetE0EEEvS12_.kd
    .uniform_work_group_size: 1
    .uses_dynamic_stack: false
    .vgpr_count:     0
    .vgpr_spill_count: 0
    .wavefront_size: 32
    .workgroup_processor_mode: 1
  - .args:
      - .offset:         0
        .size:           184
        .value_kind:     by_value
    .group_segment_fixed_size: 0
    .kernarg_segment_align: 8
    .kernarg_segment_size: 184
    .language:       OpenCL C
    .language_version:
      - 2
      - 0
    .max_flat_workgroup_size: 256
    .name:           _ZN7rocprim17ROCPRIM_400000_NS6detail17trampoline_kernelINS0_13select_configILj256ELj13ELNS0_17block_load_methodE3ELS4_3ELS4_3ELNS0_20block_scan_algorithmE0ELj4294967295EEENS1_25partition_config_selectorILNS1_17partition_subalgoE4EjNS0_10empty_typeEbEEZZNS1_14partition_implILS8_4ELb0ES6_15HIP_vector_typeIjLj2EENS0_17counting_iteratorIjlEEPS9_SG_NS0_5tupleIJPjSI_NS0_16reverse_iteratorISI_EEEEENSH_IJSG_SG_SG_EEES9_SI_JZNS1_25segmented_radix_sort_implINS0_14default_configELb0EPKhPhPKlPlN2at6native12_GLOBAL__N_18offset_tEEE10hipError_tPvRmT1_PNSt15iterator_traitsIS12_E10value_typeET2_T3_PNS13_IS18_E10value_typeET4_jRbjT5_S1E_jjP12ihipStream_tbEUljE_ZNSN_ISO_Lb0ESQ_SR_ST_SU_SY_EESZ_S10_S11_S12_S16_S17_S18_S1B_S1C_jS1D_jS1E_S1E_jjS1G_bEUljE0_EEESZ_S10_S11_S18_S1C_S1E_T6_T7_T9_mT8_S1G_bDpT10_ENKUlT_T0_E_clISt17integral_constantIbLb0EES1T_IbLb1EEEEDaS1P_S1Q_EUlS1P_E_NS1_11comp_targetILNS1_3genE2ELNS1_11target_archE906ELNS1_3gpuE6ELNS1_3repE0EEENS1_30default_config_static_selectorELNS0_4arch9wavefront6targetE0EEEvS12_
    .private_segment_fixed_size: 0
    .sgpr_count:     0
    .sgpr_spill_count: 0
    .symbol:         _ZN7rocprim17ROCPRIM_400000_NS6detail17trampoline_kernelINS0_13select_configILj256ELj13ELNS0_17block_load_methodE3ELS4_3ELS4_3ELNS0_20block_scan_algorithmE0ELj4294967295EEENS1_25partition_config_selectorILNS1_17partition_subalgoE4EjNS0_10empty_typeEbEEZZNS1_14partition_implILS8_4ELb0ES6_15HIP_vector_typeIjLj2EENS0_17counting_iteratorIjlEEPS9_SG_NS0_5tupleIJPjSI_NS0_16reverse_iteratorISI_EEEEENSH_IJSG_SG_SG_EEES9_SI_JZNS1_25segmented_radix_sort_implINS0_14default_configELb0EPKhPhPKlPlN2at6native12_GLOBAL__N_18offset_tEEE10hipError_tPvRmT1_PNSt15iterator_traitsIS12_E10value_typeET2_T3_PNS13_IS18_E10value_typeET4_jRbjT5_S1E_jjP12ihipStream_tbEUljE_ZNSN_ISO_Lb0ESQ_SR_ST_SU_SY_EESZ_S10_S11_S12_S16_S17_S18_S1B_S1C_jS1D_jS1E_S1E_jjS1G_bEUljE0_EEESZ_S10_S11_S18_S1C_S1E_T6_T7_T9_mT8_S1G_bDpT10_ENKUlT_T0_E_clISt17integral_constantIbLb0EES1T_IbLb1EEEEDaS1P_S1Q_EUlS1P_E_NS1_11comp_targetILNS1_3genE2ELNS1_11target_archE906ELNS1_3gpuE6ELNS1_3repE0EEENS1_30default_config_static_selectorELNS0_4arch9wavefront6targetE0EEEvS12_.kd
    .uniform_work_group_size: 1
    .uses_dynamic_stack: false
    .vgpr_count:     0
    .vgpr_spill_count: 0
    .wavefront_size: 32
    .workgroup_processor_mode: 1
  - .args:
      - .offset:         0
        .size:           184
        .value_kind:     by_value
    .group_segment_fixed_size: 0
    .kernarg_segment_align: 8
    .kernarg_segment_size: 184
    .language:       OpenCL C
    .language_version:
      - 2
      - 0
    .max_flat_workgroup_size: 256
    .name:           _ZN7rocprim17ROCPRIM_400000_NS6detail17trampoline_kernelINS0_13select_configILj256ELj13ELNS0_17block_load_methodE3ELS4_3ELS4_3ELNS0_20block_scan_algorithmE0ELj4294967295EEENS1_25partition_config_selectorILNS1_17partition_subalgoE4EjNS0_10empty_typeEbEEZZNS1_14partition_implILS8_4ELb0ES6_15HIP_vector_typeIjLj2EENS0_17counting_iteratorIjlEEPS9_SG_NS0_5tupleIJPjSI_NS0_16reverse_iteratorISI_EEEEENSH_IJSG_SG_SG_EEES9_SI_JZNS1_25segmented_radix_sort_implINS0_14default_configELb0EPKhPhPKlPlN2at6native12_GLOBAL__N_18offset_tEEE10hipError_tPvRmT1_PNSt15iterator_traitsIS12_E10value_typeET2_T3_PNS13_IS18_E10value_typeET4_jRbjT5_S1E_jjP12ihipStream_tbEUljE_ZNSN_ISO_Lb0ESQ_SR_ST_SU_SY_EESZ_S10_S11_S12_S16_S17_S18_S1B_S1C_jS1D_jS1E_S1E_jjS1G_bEUljE0_EEESZ_S10_S11_S18_S1C_S1E_T6_T7_T9_mT8_S1G_bDpT10_ENKUlT_T0_E_clISt17integral_constantIbLb0EES1T_IbLb1EEEEDaS1P_S1Q_EUlS1P_E_NS1_11comp_targetILNS1_3genE10ELNS1_11target_archE1200ELNS1_3gpuE4ELNS1_3repE0EEENS1_30default_config_static_selectorELNS0_4arch9wavefront6targetE0EEEvS12_
    .private_segment_fixed_size: 0
    .sgpr_count:     0
    .sgpr_spill_count: 0
    .symbol:         _ZN7rocprim17ROCPRIM_400000_NS6detail17trampoline_kernelINS0_13select_configILj256ELj13ELNS0_17block_load_methodE3ELS4_3ELS4_3ELNS0_20block_scan_algorithmE0ELj4294967295EEENS1_25partition_config_selectorILNS1_17partition_subalgoE4EjNS0_10empty_typeEbEEZZNS1_14partition_implILS8_4ELb0ES6_15HIP_vector_typeIjLj2EENS0_17counting_iteratorIjlEEPS9_SG_NS0_5tupleIJPjSI_NS0_16reverse_iteratorISI_EEEEENSH_IJSG_SG_SG_EEES9_SI_JZNS1_25segmented_radix_sort_implINS0_14default_configELb0EPKhPhPKlPlN2at6native12_GLOBAL__N_18offset_tEEE10hipError_tPvRmT1_PNSt15iterator_traitsIS12_E10value_typeET2_T3_PNS13_IS18_E10value_typeET4_jRbjT5_S1E_jjP12ihipStream_tbEUljE_ZNSN_ISO_Lb0ESQ_SR_ST_SU_SY_EESZ_S10_S11_S12_S16_S17_S18_S1B_S1C_jS1D_jS1E_S1E_jjS1G_bEUljE0_EEESZ_S10_S11_S18_S1C_S1E_T6_T7_T9_mT8_S1G_bDpT10_ENKUlT_T0_E_clISt17integral_constantIbLb0EES1T_IbLb1EEEEDaS1P_S1Q_EUlS1P_E_NS1_11comp_targetILNS1_3genE10ELNS1_11target_archE1200ELNS1_3gpuE4ELNS1_3repE0EEENS1_30default_config_static_selectorELNS0_4arch9wavefront6targetE0EEEvS12_.kd
    .uniform_work_group_size: 1
    .uses_dynamic_stack: false
    .vgpr_count:     0
    .vgpr_spill_count: 0
    .wavefront_size: 32
    .workgroup_processor_mode: 1
  - .args:
      - .offset:         0
        .size:           184
        .value_kind:     by_value
    .group_segment_fixed_size: 13340
    .kernarg_segment_align: 8
    .kernarg_segment_size: 184
    .language:       OpenCL C
    .language_version:
      - 2
      - 0
    .max_flat_workgroup_size: 256
    .name:           _ZN7rocprim17ROCPRIM_400000_NS6detail17trampoline_kernelINS0_13select_configILj256ELj13ELNS0_17block_load_methodE3ELS4_3ELS4_3ELNS0_20block_scan_algorithmE0ELj4294967295EEENS1_25partition_config_selectorILNS1_17partition_subalgoE4EjNS0_10empty_typeEbEEZZNS1_14partition_implILS8_4ELb0ES6_15HIP_vector_typeIjLj2EENS0_17counting_iteratorIjlEEPS9_SG_NS0_5tupleIJPjSI_NS0_16reverse_iteratorISI_EEEEENSH_IJSG_SG_SG_EEES9_SI_JZNS1_25segmented_radix_sort_implINS0_14default_configELb0EPKhPhPKlPlN2at6native12_GLOBAL__N_18offset_tEEE10hipError_tPvRmT1_PNSt15iterator_traitsIS12_E10value_typeET2_T3_PNS13_IS18_E10value_typeET4_jRbjT5_S1E_jjP12ihipStream_tbEUljE_ZNSN_ISO_Lb0ESQ_SR_ST_SU_SY_EESZ_S10_S11_S12_S16_S17_S18_S1B_S1C_jS1D_jS1E_S1E_jjS1G_bEUljE0_EEESZ_S10_S11_S18_S1C_S1E_T6_T7_T9_mT8_S1G_bDpT10_ENKUlT_T0_E_clISt17integral_constantIbLb0EES1T_IbLb1EEEEDaS1P_S1Q_EUlS1P_E_NS1_11comp_targetILNS1_3genE9ELNS1_11target_archE1100ELNS1_3gpuE3ELNS1_3repE0EEENS1_30default_config_static_selectorELNS0_4arch9wavefront6targetE0EEEvS12_
    .private_segment_fixed_size: 0
    .sgpr_count:     57
    .sgpr_spill_count: 0
    .symbol:         _ZN7rocprim17ROCPRIM_400000_NS6detail17trampoline_kernelINS0_13select_configILj256ELj13ELNS0_17block_load_methodE3ELS4_3ELS4_3ELNS0_20block_scan_algorithmE0ELj4294967295EEENS1_25partition_config_selectorILNS1_17partition_subalgoE4EjNS0_10empty_typeEbEEZZNS1_14partition_implILS8_4ELb0ES6_15HIP_vector_typeIjLj2EENS0_17counting_iteratorIjlEEPS9_SG_NS0_5tupleIJPjSI_NS0_16reverse_iteratorISI_EEEEENSH_IJSG_SG_SG_EEES9_SI_JZNS1_25segmented_radix_sort_implINS0_14default_configELb0EPKhPhPKlPlN2at6native12_GLOBAL__N_18offset_tEEE10hipError_tPvRmT1_PNSt15iterator_traitsIS12_E10value_typeET2_T3_PNS13_IS18_E10value_typeET4_jRbjT5_S1E_jjP12ihipStream_tbEUljE_ZNSN_ISO_Lb0ESQ_SR_ST_SU_SY_EESZ_S10_S11_S12_S16_S17_S18_S1B_S1C_jS1D_jS1E_S1E_jjS1G_bEUljE0_EEESZ_S10_S11_S18_S1C_S1E_T6_T7_T9_mT8_S1G_bDpT10_ENKUlT_T0_E_clISt17integral_constantIbLb0EES1T_IbLb1EEEEDaS1P_S1Q_EUlS1P_E_NS1_11comp_targetILNS1_3genE9ELNS1_11target_archE1100ELNS1_3gpuE3ELNS1_3repE0EEENS1_30default_config_static_selectorELNS0_4arch9wavefront6targetE0EEEvS12_.kd
    .uniform_work_group_size: 1
    .uses_dynamic_stack: false
    .vgpr_count:     103
    .vgpr_spill_count: 0
    .wavefront_size: 32
    .workgroup_processor_mode: 1
  - .args:
      - .offset:         0
        .size:           184
        .value_kind:     by_value
    .group_segment_fixed_size: 0
    .kernarg_segment_align: 8
    .kernarg_segment_size: 184
    .language:       OpenCL C
    .language_version:
      - 2
      - 0
    .max_flat_workgroup_size: 256
    .name:           _ZN7rocprim17ROCPRIM_400000_NS6detail17trampoline_kernelINS0_13select_configILj256ELj13ELNS0_17block_load_methodE3ELS4_3ELS4_3ELNS0_20block_scan_algorithmE0ELj4294967295EEENS1_25partition_config_selectorILNS1_17partition_subalgoE4EjNS0_10empty_typeEbEEZZNS1_14partition_implILS8_4ELb0ES6_15HIP_vector_typeIjLj2EENS0_17counting_iteratorIjlEEPS9_SG_NS0_5tupleIJPjSI_NS0_16reverse_iteratorISI_EEEEENSH_IJSG_SG_SG_EEES9_SI_JZNS1_25segmented_radix_sort_implINS0_14default_configELb0EPKhPhPKlPlN2at6native12_GLOBAL__N_18offset_tEEE10hipError_tPvRmT1_PNSt15iterator_traitsIS12_E10value_typeET2_T3_PNS13_IS18_E10value_typeET4_jRbjT5_S1E_jjP12ihipStream_tbEUljE_ZNSN_ISO_Lb0ESQ_SR_ST_SU_SY_EESZ_S10_S11_S12_S16_S17_S18_S1B_S1C_jS1D_jS1E_S1E_jjS1G_bEUljE0_EEESZ_S10_S11_S18_S1C_S1E_T6_T7_T9_mT8_S1G_bDpT10_ENKUlT_T0_E_clISt17integral_constantIbLb0EES1T_IbLb1EEEEDaS1P_S1Q_EUlS1P_E_NS1_11comp_targetILNS1_3genE8ELNS1_11target_archE1030ELNS1_3gpuE2ELNS1_3repE0EEENS1_30default_config_static_selectorELNS0_4arch9wavefront6targetE0EEEvS12_
    .private_segment_fixed_size: 0
    .sgpr_count:     0
    .sgpr_spill_count: 0
    .symbol:         _ZN7rocprim17ROCPRIM_400000_NS6detail17trampoline_kernelINS0_13select_configILj256ELj13ELNS0_17block_load_methodE3ELS4_3ELS4_3ELNS0_20block_scan_algorithmE0ELj4294967295EEENS1_25partition_config_selectorILNS1_17partition_subalgoE4EjNS0_10empty_typeEbEEZZNS1_14partition_implILS8_4ELb0ES6_15HIP_vector_typeIjLj2EENS0_17counting_iteratorIjlEEPS9_SG_NS0_5tupleIJPjSI_NS0_16reverse_iteratorISI_EEEEENSH_IJSG_SG_SG_EEES9_SI_JZNS1_25segmented_radix_sort_implINS0_14default_configELb0EPKhPhPKlPlN2at6native12_GLOBAL__N_18offset_tEEE10hipError_tPvRmT1_PNSt15iterator_traitsIS12_E10value_typeET2_T3_PNS13_IS18_E10value_typeET4_jRbjT5_S1E_jjP12ihipStream_tbEUljE_ZNSN_ISO_Lb0ESQ_SR_ST_SU_SY_EESZ_S10_S11_S12_S16_S17_S18_S1B_S1C_jS1D_jS1E_S1E_jjS1G_bEUljE0_EEESZ_S10_S11_S18_S1C_S1E_T6_T7_T9_mT8_S1G_bDpT10_ENKUlT_T0_E_clISt17integral_constantIbLb0EES1T_IbLb1EEEEDaS1P_S1Q_EUlS1P_E_NS1_11comp_targetILNS1_3genE8ELNS1_11target_archE1030ELNS1_3gpuE2ELNS1_3repE0EEENS1_30default_config_static_selectorELNS0_4arch9wavefront6targetE0EEEvS12_.kd
    .uniform_work_group_size: 1
    .uses_dynamic_stack: false
    .vgpr_count:     0
    .vgpr_spill_count: 0
    .wavefront_size: 32
    .workgroup_processor_mode: 1
  - .args:
      - .offset:         0
        .size:           144
        .value_kind:     by_value
    .group_segment_fixed_size: 0
    .kernarg_segment_align: 8
    .kernarg_segment_size: 144
    .language:       OpenCL C
    .language_version:
      - 2
      - 0
    .max_flat_workgroup_size: 256
    .name:           _ZN7rocprim17ROCPRIM_400000_NS6detail17trampoline_kernelINS0_13select_configILj256ELj13ELNS0_17block_load_methodE3ELS4_3ELS4_3ELNS0_20block_scan_algorithmE0ELj4294967295EEENS1_25partition_config_selectorILNS1_17partition_subalgoE3EjNS0_10empty_typeEbEEZZNS1_14partition_implILS8_3ELb0ES6_jNS0_17counting_iteratorIjlEEPS9_SE_NS0_5tupleIJPjSE_EEENSF_IJSE_SE_EEES9_SG_JZNS1_25segmented_radix_sort_implINS0_14default_configELb0EPKhPhPKlPlN2at6native12_GLOBAL__N_18offset_tEEE10hipError_tPvRmT1_PNSt15iterator_traitsISY_E10value_typeET2_T3_PNSZ_IS14_E10value_typeET4_jRbjT5_S1A_jjP12ihipStream_tbEUljE_EEESV_SW_SX_S14_S18_S1A_T6_T7_T9_mT8_S1C_bDpT10_ENKUlT_T0_E_clISt17integral_constantIbLb0EES1P_EEDaS1K_S1L_EUlS1K_E_NS1_11comp_targetILNS1_3genE0ELNS1_11target_archE4294967295ELNS1_3gpuE0ELNS1_3repE0EEENS1_30default_config_static_selectorELNS0_4arch9wavefront6targetE0EEEvSY_
    .private_segment_fixed_size: 0
    .sgpr_count:     0
    .sgpr_spill_count: 0
    .symbol:         _ZN7rocprim17ROCPRIM_400000_NS6detail17trampoline_kernelINS0_13select_configILj256ELj13ELNS0_17block_load_methodE3ELS4_3ELS4_3ELNS0_20block_scan_algorithmE0ELj4294967295EEENS1_25partition_config_selectorILNS1_17partition_subalgoE3EjNS0_10empty_typeEbEEZZNS1_14partition_implILS8_3ELb0ES6_jNS0_17counting_iteratorIjlEEPS9_SE_NS0_5tupleIJPjSE_EEENSF_IJSE_SE_EEES9_SG_JZNS1_25segmented_radix_sort_implINS0_14default_configELb0EPKhPhPKlPlN2at6native12_GLOBAL__N_18offset_tEEE10hipError_tPvRmT1_PNSt15iterator_traitsISY_E10value_typeET2_T3_PNSZ_IS14_E10value_typeET4_jRbjT5_S1A_jjP12ihipStream_tbEUljE_EEESV_SW_SX_S14_S18_S1A_T6_T7_T9_mT8_S1C_bDpT10_ENKUlT_T0_E_clISt17integral_constantIbLb0EES1P_EEDaS1K_S1L_EUlS1K_E_NS1_11comp_targetILNS1_3genE0ELNS1_11target_archE4294967295ELNS1_3gpuE0ELNS1_3repE0EEENS1_30default_config_static_selectorELNS0_4arch9wavefront6targetE0EEEvSY_.kd
    .uniform_work_group_size: 1
    .uses_dynamic_stack: false
    .vgpr_count:     0
    .vgpr_spill_count: 0
    .wavefront_size: 32
    .workgroup_processor_mode: 1
  - .args:
      - .offset:         0
        .size:           144
        .value_kind:     by_value
    .group_segment_fixed_size: 0
    .kernarg_segment_align: 8
    .kernarg_segment_size: 144
    .language:       OpenCL C
    .language_version:
      - 2
      - 0
    .max_flat_workgroup_size: 256
    .name:           _ZN7rocprim17ROCPRIM_400000_NS6detail17trampoline_kernelINS0_13select_configILj256ELj13ELNS0_17block_load_methodE3ELS4_3ELS4_3ELNS0_20block_scan_algorithmE0ELj4294967295EEENS1_25partition_config_selectorILNS1_17partition_subalgoE3EjNS0_10empty_typeEbEEZZNS1_14partition_implILS8_3ELb0ES6_jNS0_17counting_iteratorIjlEEPS9_SE_NS0_5tupleIJPjSE_EEENSF_IJSE_SE_EEES9_SG_JZNS1_25segmented_radix_sort_implINS0_14default_configELb0EPKhPhPKlPlN2at6native12_GLOBAL__N_18offset_tEEE10hipError_tPvRmT1_PNSt15iterator_traitsISY_E10value_typeET2_T3_PNSZ_IS14_E10value_typeET4_jRbjT5_S1A_jjP12ihipStream_tbEUljE_EEESV_SW_SX_S14_S18_S1A_T6_T7_T9_mT8_S1C_bDpT10_ENKUlT_T0_E_clISt17integral_constantIbLb0EES1P_EEDaS1K_S1L_EUlS1K_E_NS1_11comp_targetILNS1_3genE5ELNS1_11target_archE942ELNS1_3gpuE9ELNS1_3repE0EEENS1_30default_config_static_selectorELNS0_4arch9wavefront6targetE0EEEvSY_
    .private_segment_fixed_size: 0
    .sgpr_count:     0
    .sgpr_spill_count: 0
    .symbol:         _ZN7rocprim17ROCPRIM_400000_NS6detail17trampoline_kernelINS0_13select_configILj256ELj13ELNS0_17block_load_methodE3ELS4_3ELS4_3ELNS0_20block_scan_algorithmE0ELj4294967295EEENS1_25partition_config_selectorILNS1_17partition_subalgoE3EjNS0_10empty_typeEbEEZZNS1_14partition_implILS8_3ELb0ES6_jNS0_17counting_iteratorIjlEEPS9_SE_NS0_5tupleIJPjSE_EEENSF_IJSE_SE_EEES9_SG_JZNS1_25segmented_radix_sort_implINS0_14default_configELb0EPKhPhPKlPlN2at6native12_GLOBAL__N_18offset_tEEE10hipError_tPvRmT1_PNSt15iterator_traitsISY_E10value_typeET2_T3_PNSZ_IS14_E10value_typeET4_jRbjT5_S1A_jjP12ihipStream_tbEUljE_EEESV_SW_SX_S14_S18_S1A_T6_T7_T9_mT8_S1C_bDpT10_ENKUlT_T0_E_clISt17integral_constantIbLb0EES1P_EEDaS1K_S1L_EUlS1K_E_NS1_11comp_targetILNS1_3genE5ELNS1_11target_archE942ELNS1_3gpuE9ELNS1_3repE0EEENS1_30default_config_static_selectorELNS0_4arch9wavefront6targetE0EEEvSY_.kd
    .uniform_work_group_size: 1
    .uses_dynamic_stack: false
    .vgpr_count:     0
    .vgpr_spill_count: 0
    .wavefront_size: 32
    .workgroup_processor_mode: 1
  - .args:
      - .offset:         0
        .size:           144
        .value_kind:     by_value
    .group_segment_fixed_size: 0
    .kernarg_segment_align: 8
    .kernarg_segment_size: 144
    .language:       OpenCL C
    .language_version:
      - 2
      - 0
    .max_flat_workgroup_size: 256
    .name:           _ZN7rocprim17ROCPRIM_400000_NS6detail17trampoline_kernelINS0_13select_configILj256ELj13ELNS0_17block_load_methodE3ELS4_3ELS4_3ELNS0_20block_scan_algorithmE0ELj4294967295EEENS1_25partition_config_selectorILNS1_17partition_subalgoE3EjNS0_10empty_typeEbEEZZNS1_14partition_implILS8_3ELb0ES6_jNS0_17counting_iteratorIjlEEPS9_SE_NS0_5tupleIJPjSE_EEENSF_IJSE_SE_EEES9_SG_JZNS1_25segmented_radix_sort_implINS0_14default_configELb0EPKhPhPKlPlN2at6native12_GLOBAL__N_18offset_tEEE10hipError_tPvRmT1_PNSt15iterator_traitsISY_E10value_typeET2_T3_PNSZ_IS14_E10value_typeET4_jRbjT5_S1A_jjP12ihipStream_tbEUljE_EEESV_SW_SX_S14_S18_S1A_T6_T7_T9_mT8_S1C_bDpT10_ENKUlT_T0_E_clISt17integral_constantIbLb0EES1P_EEDaS1K_S1L_EUlS1K_E_NS1_11comp_targetILNS1_3genE4ELNS1_11target_archE910ELNS1_3gpuE8ELNS1_3repE0EEENS1_30default_config_static_selectorELNS0_4arch9wavefront6targetE0EEEvSY_
    .private_segment_fixed_size: 0
    .sgpr_count:     0
    .sgpr_spill_count: 0
    .symbol:         _ZN7rocprim17ROCPRIM_400000_NS6detail17trampoline_kernelINS0_13select_configILj256ELj13ELNS0_17block_load_methodE3ELS4_3ELS4_3ELNS0_20block_scan_algorithmE0ELj4294967295EEENS1_25partition_config_selectorILNS1_17partition_subalgoE3EjNS0_10empty_typeEbEEZZNS1_14partition_implILS8_3ELb0ES6_jNS0_17counting_iteratorIjlEEPS9_SE_NS0_5tupleIJPjSE_EEENSF_IJSE_SE_EEES9_SG_JZNS1_25segmented_radix_sort_implINS0_14default_configELb0EPKhPhPKlPlN2at6native12_GLOBAL__N_18offset_tEEE10hipError_tPvRmT1_PNSt15iterator_traitsISY_E10value_typeET2_T3_PNSZ_IS14_E10value_typeET4_jRbjT5_S1A_jjP12ihipStream_tbEUljE_EEESV_SW_SX_S14_S18_S1A_T6_T7_T9_mT8_S1C_bDpT10_ENKUlT_T0_E_clISt17integral_constantIbLb0EES1P_EEDaS1K_S1L_EUlS1K_E_NS1_11comp_targetILNS1_3genE4ELNS1_11target_archE910ELNS1_3gpuE8ELNS1_3repE0EEENS1_30default_config_static_selectorELNS0_4arch9wavefront6targetE0EEEvSY_.kd
    .uniform_work_group_size: 1
    .uses_dynamic_stack: false
    .vgpr_count:     0
    .vgpr_spill_count: 0
    .wavefront_size: 32
    .workgroup_processor_mode: 1
  - .args:
      - .offset:         0
        .size:           144
        .value_kind:     by_value
    .group_segment_fixed_size: 0
    .kernarg_segment_align: 8
    .kernarg_segment_size: 144
    .language:       OpenCL C
    .language_version:
      - 2
      - 0
    .max_flat_workgroup_size: 256
    .name:           _ZN7rocprim17ROCPRIM_400000_NS6detail17trampoline_kernelINS0_13select_configILj256ELj13ELNS0_17block_load_methodE3ELS4_3ELS4_3ELNS0_20block_scan_algorithmE0ELj4294967295EEENS1_25partition_config_selectorILNS1_17partition_subalgoE3EjNS0_10empty_typeEbEEZZNS1_14partition_implILS8_3ELb0ES6_jNS0_17counting_iteratorIjlEEPS9_SE_NS0_5tupleIJPjSE_EEENSF_IJSE_SE_EEES9_SG_JZNS1_25segmented_radix_sort_implINS0_14default_configELb0EPKhPhPKlPlN2at6native12_GLOBAL__N_18offset_tEEE10hipError_tPvRmT1_PNSt15iterator_traitsISY_E10value_typeET2_T3_PNSZ_IS14_E10value_typeET4_jRbjT5_S1A_jjP12ihipStream_tbEUljE_EEESV_SW_SX_S14_S18_S1A_T6_T7_T9_mT8_S1C_bDpT10_ENKUlT_T0_E_clISt17integral_constantIbLb0EES1P_EEDaS1K_S1L_EUlS1K_E_NS1_11comp_targetILNS1_3genE3ELNS1_11target_archE908ELNS1_3gpuE7ELNS1_3repE0EEENS1_30default_config_static_selectorELNS0_4arch9wavefront6targetE0EEEvSY_
    .private_segment_fixed_size: 0
    .sgpr_count:     0
    .sgpr_spill_count: 0
    .symbol:         _ZN7rocprim17ROCPRIM_400000_NS6detail17trampoline_kernelINS0_13select_configILj256ELj13ELNS0_17block_load_methodE3ELS4_3ELS4_3ELNS0_20block_scan_algorithmE0ELj4294967295EEENS1_25partition_config_selectorILNS1_17partition_subalgoE3EjNS0_10empty_typeEbEEZZNS1_14partition_implILS8_3ELb0ES6_jNS0_17counting_iteratorIjlEEPS9_SE_NS0_5tupleIJPjSE_EEENSF_IJSE_SE_EEES9_SG_JZNS1_25segmented_radix_sort_implINS0_14default_configELb0EPKhPhPKlPlN2at6native12_GLOBAL__N_18offset_tEEE10hipError_tPvRmT1_PNSt15iterator_traitsISY_E10value_typeET2_T3_PNSZ_IS14_E10value_typeET4_jRbjT5_S1A_jjP12ihipStream_tbEUljE_EEESV_SW_SX_S14_S18_S1A_T6_T7_T9_mT8_S1C_bDpT10_ENKUlT_T0_E_clISt17integral_constantIbLb0EES1P_EEDaS1K_S1L_EUlS1K_E_NS1_11comp_targetILNS1_3genE3ELNS1_11target_archE908ELNS1_3gpuE7ELNS1_3repE0EEENS1_30default_config_static_selectorELNS0_4arch9wavefront6targetE0EEEvSY_.kd
    .uniform_work_group_size: 1
    .uses_dynamic_stack: false
    .vgpr_count:     0
    .vgpr_spill_count: 0
    .wavefront_size: 32
    .workgroup_processor_mode: 1
  - .args:
      - .offset:         0
        .size:           144
        .value_kind:     by_value
    .group_segment_fixed_size: 0
    .kernarg_segment_align: 8
    .kernarg_segment_size: 144
    .language:       OpenCL C
    .language_version:
      - 2
      - 0
    .max_flat_workgroup_size: 256
    .name:           _ZN7rocprim17ROCPRIM_400000_NS6detail17trampoline_kernelINS0_13select_configILj256ELj13ELNS0_17block_load_methodE3ELS4_3ELS4_3ELNS0_20block_scan_algorithmE0ELj4294967295EEENS1_25partition_config_selectorILNS1_17partition_subalgoE3EjNS0_10empty_typeEbEEZZNS1_14partition_implILS8_3ELb0ES6_jNS0_17counting_iteratorIjlEEPS9_SE_NS0_5tupleIJPjSE_EEENSF_IJSE_SE_EEES9_SG_JZNS1_25segmented_radix_sort_implINS0_14default_configELb0EPKhPhPKlPlN2at6native12_GLOBAL__N_18offset_tEEE10hipError_tPvRmT1_PNSt15iterator_traitsISY_E10value_typeET2_T3_PNSZ_IS14_E10value_typeET4_jRbjT5_S1A_jjP12ihipStream_tbEUljE_EEESV_SW_SX_S14_S18_S1A_T6_T7_T9_mT8_S1C_bDpT10_ENKUlT_T0_E_clISt17integral_constantIbLb0EES1P_EEDaS1K_S1L_EUlS1K_E_NS1_11comp_targetILNS1_3genE2ELNS1_11target_archE906ELNS1_3gpuE6ELNS1_3repE0EEENS1_30default_config_static_selectorELNS0_4arch9wavefront6targetE0EEEvSY_
    .private_segment_fixed_size: 0
    .sgpr_count:     0
    .sgpr_spill_count: 0
    .symbol:         _ZN7rocprim17ROCPRIM_400000_NS6detail17trampoline_kernelINS0_13select_configILj256ELj13ELNS0_17block_load_methodE3ELS4_3ELS4_3ELNS0_20block_scan_algorithmE0ELj4294967295EEENS1_25partition_config_selectorILNS1_17partition_subalgoE3EjNS0_10empty_typeEbEEZZNS1_14partition_implILS8_3ELb0ES6_jNS0_17counting_iteratorIjlEEPS9_SE_NS0_5tupleIJPjSE_EEENSF_IJSE_SE_EEES9_SG_JZNS1_25segmented_radix_sort_implINS0_14default_configELb0EPKhPhPKlPlN2at6native12_GLOBAL__N_18offset_tEEE10hipError_tPvRmT1_PNSt15iterator_traitsISY_E10value_typeET2_T3_PNSZ_IS14_E10value_typeET4_jRbjT5_S1A_jjP12ihipStream_tbEUljE_EEESV_SW_SX_S14_S18_S1A_T6_T7_T9_mT8_S1C_bDpT10_ENKUlT_T0_E_clISt17integral_constantIbLb0EES1P_EEDaS1K_S1L_EUlS1K_E_NS1_11comp_targetILNS1_3genE2ELNS1_11target_archE906ELNS1_3gpuE6ELNS1_3repE0EEENS1_30default_config_static_selectorELNS0_4arch9wavefront6targetE0EEEvSY_.kd
    .uniform_work_group_size: 1
    .uses_dynamic_stack: false
    .vgpr_count:     0
    .vgpr_spill_count: 0
    .wavefront_size: 32
    .workgroup_processor_mode: 1
  - .args:
      - .offset:         0
        .size:           144
        .value_kind:     by_value
    .group_segment_fixed_size: 0
    .kernarg_segment_align: 8
    .kernarg_segment_size: 144
    .language:       OpenCL C
    .language_version:
      - 2
      - 0
    .max_flat_workgroup_size: 256
    .name:           _ZN7rocprim17ROCPRIM_400000_NS6detail17trampoline_kernelINS0_13select_configILj256ELj13ELNS0_17block_load_methodE3ELS4_3ELS4_3ELNS0_20block_scan_algorithmE0ELj4294967295EEENS1_25partition_config_selectorILNS1_17partition_subalgoE3EjNS0_10empty_typeEbEEZZNS1_14partition_implILS8_3ELb0ES6_jNS0_17counting_iteratorIjlEEPS9_SE_NS0_5tupleIJPjSE_EEENSF_IJSE_SE_EEES9_SG_JZNS1_25segmented_radix_sort_implINS0_14default_configELb0EPKhPhPKlPlN2at6native12_GLOBAL__N_18offset_tEEE10hipError_tPvRmT1_PNSt15iterator_traitsISY_E10value_typeET2_T3_PNSZ_IS14_E10value_typeET4_jRbjT5_S1A_jjP12ihipStream_tbEUljE_EEESV_SW_SX_S14_S18_S1A_T6_T7_T9_mT8_S1C_bDpT10_ENKUlT_T0_E_clISt17integral_constantIbLb0EES1P_EEDaS1K_S1L_EUlS1K_E_NS1_11comp_targetILNS1_3genE10ELNS1_11target_archE1200ELNS1_3gpuE4ELNS1_3repE0EEENS1_30default_config_static_selectorELNS0_4arch9wavefront6targetE0EEEvSY_
    .private_segment_fixed_size: 0
    .sgpr_count:     0
    .sgpr_spill_count: 0
    .symbol:         _ZN7rocprim17ROCPRIM_400000_NS6detail17trampoline_kernelINS0_13select_configILj256ELj13ELNS0_17block_load_methodE3ELS4_3ELS4_3ELNS0_20block_scan_algorithmE0ELj4294967295EEENS1_25partition_config_selectorILNS1_17partition_subalgoE3EjNS0_10empty_typeEbEEZZNS1_14partition_implILS8_3ELb0ES6_jNS0_17counting_iteratorIjlEEPS9_SE_NS0_5tupleIJPjSE_EEENSF_IJSE_SE_EEES9_SG_JZNS1_25segmented_radix_sort_implINS0_14default_configELb0EPKhPhPKlPlN2at6native12_GLOBAL__N_18offset_tEEE10hipError_tPvRmT1_PNSt15iterator_traitsISY_E10value_typeET2_T3_PNSZ_IS14_E10value_typeET4_jRbjT5_S1A_jjP12ihipStream_tbEUljE_EEESV_SW_SX_S14_S18_S1A_T6_T7_T9_mT8_S1C_bDpT10_ENKUlT_T0_E_clISt17integral_constantIbLb0EES1P_EEDaS1K_S1L_EUlS1K_E_NS1_11comp_targetILNS1_3genE10ELNS1_11target_archE1200ELNS1_3gpuE4ELNS1_3repE0EEENS1_30default_config_static_selectorELNS0_4arch9wavefront6targetE0EEEvSY_.kd
    .uniform_work_group_size: 1
    .uses_dynamic_stack: false
    .vgpr_count:     0
    .vgpr_spill_count: 0
    .wavefront_size: 32
    .workgroup_processor_mode: 1
  - .args:
      - .offset:         0
        .size:           144
        .value_kind:     by_value
    .group_segment_fixed_size: 13324
    .kernarg_segment_align: 8
    .kernarg_segment_size: 144
    .language:       OpenCL C
    .language_version:
      - 2
      - 0
    .max_flat_workgroup_size: 256
    .name:           _ZN7rocprim17ROCPRIM_400000_NS6detail17trampoline_kernelINS0_13select_configILj256ELj13ELNS0_17block_load_methodE3ELS4_3ELS4_3ELNS0_20block_scan_algorithmE0ELj4294967295EEENS1_25partition_config_selectorILNS1_17partition_subalgoE3EjNS0_10empty_typeEbEEZZNS1_14partition_implILS8_3ELb0ES6_jNS0_17counting_iteratorIjlEEPS9_SE_NS0_5tupleIJPjSE_EEENSF_IJSE_SE_EEES9_SG_JZNS1_25segmented_radix_sort_implINS0_14default_configELb0EPKhPhPKlPlN2at6native12_GLOBAL__N_18offset_tEEE10hipError_tPvRmT1_PNSt15iterator_traitsISY_E10value_typeET2_T3_PNSZ_IS14_E10value_typeET4_jRbjT5_S1A_jjP12ihipStream_tbEUljE_EEESV_SW_SX_S14_S18_S1A_T6_T7_T9_mT8_S1C_bDpT10_ENKUlT_T0_E_clISt17integral_constantIbLb0EES1P_EEDaS1K_S1L_EUlS1K_E_NS1_11comp_targetILNS1_3genE9ELNS1_11target_archE1100ELNS1_3gpuE3ELNS1_3repE0EEENS1_30default_config_static_selectorELNS0_4arch9wavefront6targetE0EEEvSY_
    .private_segment_fixed_size: 0
    .sgpr_count:     30
    .sgpr_spill_count: 0
    .symbol:         _ZN7rocprim17ROCPRIM_400000_NS6detail17trampoline_kernelINS0_13select_configILj256ELj13ELNS0_17block_load_methodE3ELS4_3ELS4_3ELNS0_20block_scan_algorithmE0ELj4294967295EEENS1_25partition_config_selectorILNS1_17partition_subalgoE3EjNS0_10empty_typeEbEEZZNS1_14partition_implILS8_3ELb0ES6_jNS0_17counting_iteratorIjlEEPS9_SE_NS0_5tupleIJPjSE_EEENSF_IJSE_SE_EEES9_SG_JZNS1_25segmented_radix_sort_implINS0_14default_configELb0EPKhPhPKlPlN2at6native12_GLOBAL__N_18offset_tEEE10hipError_tPvRmT1_PNSt15iterator_traitsISY_E10value_typeET2_T3_PNSZ_IS14_E10value_typeET4_jRbjT5_S1A_jjP12ihipStream_tbEUljE_EEESV_SW_SX_S14_S18_S1A_T6_T7_T9_mT8_S1C_bDpT10_ENKUlT_T0_E_clISt17integral_constantIbLb0EES1P_EEDaS1K_S1L_EUlS1K_E_NS1_11comp_targetILNS1_3genE9ELNS1_11target_archE1100ELNS1_3gpuE3ELNS1_3repE0EEENS1_30default_config_static_selectorELNS0_4arch9wavefront6targetE0EEEvSY_.kd
    .uniform_work_group_size: 1
    .uses_dynamic_stack: false
    .vgpr_count:     57
    .vgpr_spill_count: 0
    .wavefront_size: 32
    .workgroup_processor_mode: 1
  - .args:
      - .offset:         0
        .size:           144
        .value_kind:     by_value
    .group_segment_fixed_size: 0
    .kernarg_segment_align: 8
    .kernarg_segment_size: 144
    .language:       OpenCL C
    .language_version:
      - 2
      - 0
    .max_flat_workgroup_size: 256
    .name:           _ZN7rocprim17ROCPRIM_400000_NS6detail17trampoline_kernelINS0_13select_configILj256ELj13ELNS0_17block_load_methodE3ELS4_3ELS4_3ELNS0_20block_scan_algorithmE0ELj4294967295EEENS1_25partition_config_selectorILNS1_17partition_subalgoE3EjNS0_10empty_typeEbEEZZNS1_14partition_implILS8_3ELb0ES6_jNS0_17counting_iteratorIjlEEPS9_SE_NS0_5tupleIJPjSE_EEENSF_IJSE_SE_EEES9_SG_JZNS1_25segmented_radix_sort_implINS0_14default_configELb0EPKhPhPKlPlN2at6native12_GLOBAL__N_18offset_tEEE10hipError_tPvRmT1_PNSt15iterator_traitsISY_E10value_typeET2_T3_PNSZ_IS14_E10value_typeET4_jRbjT5_S1A_jjP12ihipStream_tbEUljE_EEESV_SW_SX_S14_S18_S1A_T6_T7_T9_mT8_S1C_bDpT10_ENKUlT_T0_E_clISt17integral_constantIbLb0EES1P_EEDaS1K_S1L_EUlS1K_E_NS1_11comp_targetILNS1_3genE8ELNS1_11target_archE1030ELNS1_3gpuE2ELNS1_3repE0EEENS1_30default_config_static_selectorELNS0_4arch9wavefront6targetE0EEEvSY_
    .private_segment_fixed_size: 0
    .sgpr_count:     0
    .sgpr_spill_count: 0
    .symbol:         _ZN7rocprim17ROCPRIM_400000_NS6detail17trampoline_kernelINS0_13select_configILj256ELj13ELNS0_17block_load_methodE3ELS4_3ELS4_3ELNS0_20block_scan_algorithmE0ELj4294967295EEENS1_25partition_config_selectorILNS1_17partition_subalgoE3EjNS0_10empty_typeEbEEZZNS1_14partition_implILS8_3ELb0ES6_jNS0_17counting_iteratorIjlEEPS9_SE_NS0_5tupleIJPjSE_EEENSF_IJSE_SE_EEES9_SG_JZNS1_25segmented_radix_sort_implINS0_14default_configELb0EPKhPhPKlPlN2at6native12_GLOBAL__N_18offset_tEEE10hipError_tPvRmT1_PNSt15iterator_traitsISY_E10value_typeET2_T3_PNSZ_IS14_E10value_typeET4_jRbjT5_S1A_jjP12ihipStream_tbEUljE_EEESV_SW_SX_S14_S18_S1A_T6_T7_T9_mT8_S1C_bDpT10_ENKUlT_T0_E_clISt17integral_constantIbLb0EES1P_EEDaS1K_S1L_EUlS1K_E_NS1_11comp_targetILNS1_3genE8ELNS1_11target_archE1030ELNS1_3gpuE2ELNS1_3repE0EEENS1_30default_config_static_selectorELNS0_4arch9wavefront6targetE0EEEvSY_.kd
    .uniform_work_group_size: 1
    .uses_dynamic_stack: false
    .vgpr_count:     0
    .vgpr_spill_count: 0
    .wavefront_size: 32
    .workgroup_processor_mode: 1
  - .args:
      - .offset:         0
        .size:           152
        .value_kind:     by_value
    .group_segment_fixed_size: 0
    .kernarg_segment_align: 8
    .kernarg_segment_size: 152
    .language:       OpenCL C
    .language_version:
      - 2
      - 0
    .max_flat_workgroup_size: 256
    .name:           _ZN7rocprim17ROCPRIM_400000_NS6detail17trampoline_kernelINS0_13select_configILj256ELj13ELNS0_17block_load_methodE3ELS4_3ELS4_3ELNS0_20block_scan_algorithmE0ELj4294967295EEENS1_25partition_config_selectorILNS1_17partition_subalgoE3EjNS0_10empty_typeEbEEZZNS1_14partition_implILS8_3ELb0ES6_jNS0_17counting_iteratorIjlEEPS9_SE_NS0_5tupleIJPjSE_EEENSF_IJSE_SE_EEES9_SG_JZNS1_25segmented_radix_sort_implINS0_14default_configELb0EPKhPhPKlPlN2at6native12_GLOBAL__N_18offset_tEEE10hipError_tPvRmT1_PNSt15iterator_traitsISY_E10value_typeET2_T3_PNSZ_IS14_E10value_typeET4_jRbjT5_S1A_jjP12ihipStream_tbEUljE_EEESV_SW_SX_S14_S18_S1A_T6_T7_T9_mT8_S1C_bDpT10_ENKUlT_T0_E_clISt17integral_constantIbLb1EES1P_EEDaS1K_S1L_EUlS1K_E_NS1_11comp_targetILNS1_3genE0ELNS1_11target_archE4294967295ELNS1_3gpuE0ELNS1_3repE0EEENS1_30default_config_static_selectorELNS0_4arch9wavefront6targetE0EEEvSY_
    .private_segment_fixed_size: 0
    .sgpr_count:     0
    .sgpr_spill_count: 0
    .symbol:         _ZN7rocprim17ROCPRIM_400000_NS6detail17trampoline_kernelINS0_13select_configILj256ELj13ELNS0_17block_load_methodE3ELS4_3ELS4_3ELNS0_20block_scan_algorithmE0ELj4294967295EEENS1_25partition_config_selectorILNS1_17partition_subalgoE3EjNS0_10empty_typeEbEEZZNS1_14partition_implILS8_3ELb0ES6_jNS0_17counting_iteratorIjlEEPS9_SE_NS0_5tupleIJPjSE_EEENSF_IJSE_SE_EEES9_SG_JZNS1_25segmented_radix_sort_implINS0_14default_configELb0EPKhPhPKlPlN2at6native12_GLOBAL__N_18offset_tEEE10hipError_tPvRmT1_PNSt15iterator_traitsISY_E10value_typeET2_T3_PNSZ_IS14_E10value_typeET4_jRbjT5_S1A_jjP12ihipStream_tbEUljE_EEESV_SW_SX_S14_S18_S1A_T6_T7_T9_mT8_S1C_bDpT10_ENKUlT_T0_E_clISt17integral_constantIbLb1EES1P_EEDaS1K_S1L_EUlS1K_E_NS1_11comp_targetILNS1_3genE0ELNS1_11target_archE4294967295ELNS1_3gpuE0ELNS1_3repE0EEENS1_30default_config_static_selectorELNS0_4arch9wavefront6targetE0EEEvSY_.kd
    .uniform_work_group_size: 1
    .uses_dynamic_stack: false
    .vgpr_count:     0
    .vgpr_spill_count: 0
    .wavefront_size: 32
    .workgroup_processor_mode: 1
  - .args:
      - .offset:         0
        .size:           152
        .value_kind:     by_value
    .group_segment_fixed_size: 0
    .kernarg_segment_align: 8
    .kernarg_segment_size: 152
    .language:       OpenCL C
    .language_version:
      - 2
      - 0
    .max_flat_workgroup_size: 256
    .name:           _ZN7rocprim17ROCPRIM_400000_NS6detail17trampoline_kernelINS0_13select_configILj256ELj13ELNS0_17block_load_methodE3ELS4_3ELS4_3ELNS0_20block_scan_algorithmE0ELj4294967295EEENS1_25partition_config_selectorILNS1_17partition_subalgoE3EjNS0_10empty_typeEbEEZZNS1_14partition_implILS8_3ELb0ES6_jNS0_17counting_iteratorIjlEEPS9_SE_NS0_5tupleIJPjSE_EEENSF_IJSE_SE_EEES9_SG_JZNS1_25segmented_radix_sort_implINS0_14default_configELb0EPKhPhPKlPlN2at6native12_GLOBAL__N_18offset_tEEE10hipError_tPvRmT1_PNSt15iterator_traitsISY_E10value_typeET2_T3_PNSZ_IS14_E10value_typeET4_jRbjT5_S1A_jjP12ihipStream_tbEUljE_EEESV_SW_SX_S14_S18_S1A_T6_T7_T9_mT8_S1C_bDpT10_ENKUlT_T0_E_clISt17integral_constantIbLb1EES1P_EEDaS1K_S1L_EUlS1K_E_NS1_11comp_targetILNS1_3genE5ELNS1_11target_archE942ELNS1_3gpuE9ELNS1_3repE0EEENS1_30default_config_static_selectorELNS0_4arch9wavefront6targetE0EEEvSY_
    .private_segment_fixed_size: 0
    .sgpr_count:     0
    .sgpr_spill_count: 0
    .symbol:         _ZN7rocprim17ROCPRIM_400000_NS6detail17trampoline_kernelINS0_13select_configILj256ELj13ELNS0_17block_load_methodE3ELS4_3ELS4_3ELNS0_20block_scan_algorithmE0ELj4294967295EEENS1_25partition_config_selectorILNS1_17partition_subalgoE3EjNS0_10empty_typeEbEEZZNS1_14partition_implILS8_3ELb0ES6_jNS0_17counting_iteratorIjlEEPS9_SE_NS0_5tupleIJPjSE_EEENSF_IJSE_SE_EEES9_SG_JZNS1_25segmented_radix_sort_implINS0_14default_configELb0EPKhPhPKlPlN2at6native12_GLOBAL__N_18offset_tEEE10hipError_tPvRmT1_PNSt15iterator_traitsISY_E10value_typeET2_T3_PNSZ_IS14_E10value_typeET4_jRbjT5_S1A_jjP12ihipStream_tbEUljE_EEESV_SW_SX_S14_S18_S1A_T6_T7_T9_mT8_S1C_bDpT10_ENKUlT_T0_E_clISt17integral_constantIbLb1EES1P_EEDaS1K_S1L_EUlS1K_E_NS1_11comp_targetILNS1_3genE5ELNS1_11target_archE942ELNS1_3gpuE9ELNS1_3repE0EEENS1_30default_config_static_selectorELNS0_4arch9wavefront6targetE0EEEvSY_.kd
    .uniform_work_group_size: 1
    .uses_dynamic_stack: false
    .vgpr_count:     0
    .vgpr_spill_count: 0
    .wavefront_size: 32
    .workgroup_processor_mode: 1
  - .args:
      - .offset:         0
        .size:           152
        .value_kind:     by_value
    .group_segment_fixed_size: 0
    .kernarg_segment_align: 8
    .kernarg_segment_size: 152
    .language:       OpenCL C
    .language_version:
      - 2
      - 0
    .max_flat_workgroup_size: 256
    .name:           _ZN7rocprim17ROCPRIM_400000_NS6detail17trampoline_kernelINS0_13select_configILj256ELj13ELNS0_17block_load_methodE3ELS4_3ELS4_3ELNS0_20block_scan_algorithmE0ELj4294967295EEENS1_25partition_config_selectorILNS1_17partition_subalgoE3EjNS0_10empty_typeEbEEZZNS1_14partition_implILS8_3ELb0ES6_jNS0_17counting_iteratorIjlEEPS9_SE_NS0_5tupleIJPjSE_EEENSF_IJSE_SE_EEES9_SG_JZNS1_25segmented_radix_sort_implINS0_14default_configELb0EPKhPhPKlPlN2at6native12_GLOBAL__N_18offset_tEEE10hipError_tPvRmT1_PNSt15iterator_traitsISY_E10value_typeET2_T3_PNSZ_IS14_E10value_typeET4_jRbjT5_S1A_jjP12ihipStream_tbEUljE_EEESV_SW_SX_S14_S18_S1A_T6_T7_T9_mT8_S1C_bDpT10_ENKUlT_T0_E_clISt17integral_constantIbLb1EES1P_EEDaS1K_S1L_EUlS1K_E_NS1_11comp_targetILNS1_3genE4ELNS1_11target_archE910ELNS1_3gpuE8ELNS1_3repE0EEENS1_30default_config_static_selectorELNS0_4arch9wavefront6targetE0EEEvSY_
    .private_segment_fixed_size: 0
    .sgpr_count:     0
    .sgpr_spill_count: 0
    .symbol:         _ZN7rocprim17ROCPRIM_400000_NS6detail17trampoline_kernelINS0_13select_configILj256ELj13ELNS0_17block_load_methodE3ELS4_3ELS4_3ELNS0_20block_scan_algorithmE0ELj4294967295EEENS1_25partition_config_selectorILNS1_17partition_subalgoE3EjNS0_10empty_typeEbEEZZNS1_14partition_implILS8_3ELb0ES6_jNS0_17counting_iteratorIjlEEPS9_SE_NS0_5tupleIJPjSE_EEENSF_IJSE_SE_EEES9_SG_JZNS1_25segmented_radix_sort_implINS0_14default_configELb0EPKhPhPKlPlN2at6native12_GLOBAL__N_18offset_tEEE10hipError_tPvRmT1_PNSt15iterator_traitsISY_E10value_typeET2_T3_PNSZ_IS14_E10value_typeET4_jRbjT5_S1A_jjP12ihipStream_tbEUljE_EEESV_SW_SX_S14_S18_S1A_T6_T7_T9_mT8_S1C_bDpT10_ENKUlT_T0_E_clISt17integral_constantIbLb1EES1P_EEDaS1K_S1L_EUlS1K_E_NS1_11comp_targetILNS1_3genE4ELNS1_11target_archE910ELNS1_3gpuE8ELNS1_3repE0EEENS1_30default_config_static_selectorELNS0_4arch9wavefront6targetE0EEEvSY_.kd
    .uniform_work_group_size: 1
    .uses_dynamic_stack: false
    .vgpr_count:     0
    .vgpr_spill_count: 0
    .wavefront_size: 32
    .workgroup_processor_mode: 1
  - .args:
      - .offset:         0
        .size:           152
        .value_kind:     by_value
    .group_segment_fixed_size: 0
    .kernarg_segment_align: 8
    .kernarg_segment_size: 152
    .language:       OpenCL C
    .language_version:
      - 2
      - 0
    .max_flat_workgroup_size: 256
    .name:           _ZN7rocprim17ROCPRIM_400000_NS6detail17trampoline_kernelINS0_13select_configILj256ELj13ELNS0_17block_load_methodE3ELS4_3ELS4_3ELNS0_20block_scan_algorithmE0ELj4294967295EEENS1_25partition_config_selectorILNS1_17partition_subalgoE3EjNS0_10empty_typeEbEEZZNS1_14partition_implILS8_3ELb0ES6_jNS0_17counting_iteratorIjlEEPS9_SE_NS0_5tupleIJPjSE_EEENSF_IJSE_SE_EEES9_SG_JZNS1_25segmented_radix_sort_implINS0_14default_configELb0EPKhPhPKlPlN2at6native12_GLOBAL__N_18offset_tEEE10hipError_tPvRmT1_PNSt15iterator_traitsISY_E10value_typeET2_T3_PNSZ_IS14_E10value_typeET4_jRbjT5_S1A_jjP12ihipStream_tbEUljE_EEESV_SW_SX_S14_S18_S1A_T6_T7_T9_mT8_S1C_bDpT10_ENKUlT_T0_E_clISt17integral_constantIbLb1EES1P_EEDaS1K_S1L_EUlS1K_E_NS1_11comp_targetILNS1_3genE3ELNS1_11target_archE908ELNS1_3gpuE7ELNS1_3repE0EEENS1_30default_config_static_selectorELNS0_4arch9wavefront6targetE0EEEvSY_
    .private_segment_fixed_size: 0
    .sgpr_count:     0
    .sgpr_spill_count: 0
    .symbol:         _ZN7rocprim17ROCPRIM_400000_NS6detail17trampoline_kernelINS0_13select_configILj256ELj13ELNS0_17block_load_methodE3ELS4_3ELS4_3ELNS0_20block_scan_algorithmE0ELj4294967295EEENS1_25partition_config_selectorILNS1_17partition_subalgoE3EjNS0_10empty_typeEbEEZZNS1_14partition_implILS8_3ELb0ES6_jNS0_17counting_iteratorIjlEEPS9_SE_NS0_5tupleIJPjSE_EEENSF_IJSE_SE_EEES9_SG_JZNS1_25segmented_radix_sort_implINS0_14default_configELb0EPKhPhPKlPlN2at6native12_GLOBAL__N_18offset_tEEE10hipError_tPvRmT1_PNSt15iterator_traitsISY_E10value_typeET2_T3_PNSZ_IS14_E10value_typeET4_jRbjT5_S1A_jjP12ihipStream_tbEUljE_EEESV_SW_SX_S14_S18_S1A_T6_T7_T9_mT8_S1C_bDpT10_ENKUlT_T0_E_clISt17integral_constantIbLb1EES1P_EEDaS1K_S1L_EUlS1K_E_NS1_11comp_targetILNS1_3genE3ELNS1_11target_archE908ELNS1_3gpuE7ELNS1_3repE0EEENS1_30default_config_static_selectorELNS0_4arch9wavefront6targetE0EEEvSY_.kd
    .uniform_work_group_size: 1
    .uses_dynamic_stack: false
    .vgpr_count:     0
    .vgpr_spill_count: 0
    .wavefront_size: 32
    .workgroup_processor_mode: 1
  - .args:
      - .offset:         0
        .size:           152
        .value_kind:     by_value
    .group_segment_fixed_size: 0
    .kernarg_segment_align: 8
    .kernarg_segment_size: 152
    .language:       OpenCL C
    .language_version:
      - 2
      - 0
    .max_flat_workgroup_size: 256
    .name:           _ZN7rocprim17ROCPRIM_400000_NS6detail17trampoline_kernelINS0_13select_configILj256ELj13ELNS0_17block_load_methodE3ELS4_3ELS4_3ELNS0_20block_scan_algorithmE0ELj4294967295EEENS1_25partition_config_selectorILNS1_17partition_subalgoE3EjNS0_10empty_typeEbEEZZNS1_14partition_implILS8_3ELb0ES6_jNS0_17counting_iteratorIjlEEPS9_SE_NS0_5tupleIJPjSE_EEENSF_IJSE_SE_EEES9_SG_JZNS1_25segmented_radix_sort_implINS0_14default_configELb0EPKhPhPKlPlN2at6native12_GLOBAL__N_18offset_tEEE10hipError_tPvRmT1_PNSt15iterator_traitsISY_E10value_typeET2_T3_PNSZ_IS14_E10value_typeET4_jRbjT5_S1A_jjP12ihipStream_tbEUljE_EEESV_SW_SX_S14_S18_S1A_T6_T7_T9_mT8_S1C_bDpT10_ENKUlT_T0_E_clISt17integral_constantIbLb1EES1P_EEDaS1K_S1L_EUlS1K_E_NS1_11comp_targetILNS1_3genE2ELNS1_11target_archE906ELNS1_3gpuE6ELNS1_3repE0EEENS1_30default_config_static_selectorELNS0_4arch9wavefront6targetE0EEEvSY_
    .private_segment_fixed_size: 0
    .sgpr_count:     0
    .sgpr_spill_count: 0
    .symbol:         _ZN7rocprim17ROCPRIM_400000_NS6detail17trampoline_kernelINS0_13select_configILj256ELj13ELNS0_17block_load_methodE3ELS4_3ELS4_3ELNS0_20block_scan_algorithmE0ELj4294967295EEENS1_25partition_config_selectorILNS1_17partition_subalgoE3EjNS0_10empty_typeEbEEZZNS1_14partition_implILS8_3ELb0ES6_jNS0_17counting_iteratorIjlEEPS9_SE_NS0_5tupleIJPjSE_EEENSF_IJSE_SE_EEES9_SG_JZNS1_25segmented_radix_sort_implINS0_14default_configELb0EPKhPhPKlPlN2at6native12_GLOBAL__N_18offset_tEEE10hipError_tPvRmT1_PNSt15iterator_traitsISY_E10value_typeET2_T3_PNSZ_IS14_E10value_typeET4_jRbjT5_S1A_jjP12ihipStream_tbEUljE_EEESV_SW_SX_S14_S18_S1A_T6_T7_T9_mT8_S1C_bDpT10_ENKUlT_T0_E_clISt17integral_constantIbLb1EES1P_EEDaS1K_S1L_EUlS1K_E_NS1_11comp_targetILNS1_3genE2ELNS1_11target_archE906ELNS1_3gpuE6ELNS1_3repE0EEENS1_30default_config_static_selectorELNS0_4arch9wavefront6targetE0EEEvSY_.kd
    .uniform_work_group_size: 1
    .uses_dynamic_stack: false
    .vgpr_count:     0
    .vgpr_spill_count: 0
    .wavefront_size: 32
    .workgroup_processor_mode: 1
  - .args:
      - .offset:         0
        .size:           152
        .value_kind:     by_value
    .group_segment_fixed_size: 0
    .kernarg_segment_align: 8
    .kernarg_segment_size: 152
    .language:       OpenCL C
    .language_version:
      - 2
      - 0
    .max_flat_workgroup_size: 256
    .name:           _ZN7rocprim17ROCPRIM_400000_NS6detail17trampoline_kernelINS0_13select_configILj256ELj13ELNS0_17block_load_methodE3ELS4_3ELS4_3ELNS0_20block_scan_algorithmE0ELj4294967295EEENS1_25partition_config_selectorILNS1_17partition_subalgoE3EjNS0_10empty_typeEbEEZZNS1_14partition_implILS8_3ELb0ES6_jNS0_17counting_iteratorIjlEEPS9_SE_NS0_5tupleIJPjSE_EEENSF_IJSE_SE_EEES9_SG_JZNS1_25segmented_radix_sort_implINS0_14default_configELb0EPKhPhPKlPlN2at6native12_GLOBAL__N_18offset_tEEE10hipError_tPvRmT1_PNSt15iterator_traitsISY_E10value_typeET2_T3_PNSZ_IS14_E10value_typeET4_jRbjT5_S1A_jjP12ihipStream_tbEUljE_EEESV_SW_SX_S14_S18_S1A_T6_T7_T9_mT8_S1C_bDpT10_ENKUlT_T0_E_clISt17integral_constantIbLb1EES1P_EEDaS1K_S1L_EUlS1K_E_NS1_11comp_targetILNS1_3genE10ELNS1_11target_archE1200ELNS1_3gpuE4ELNS1_3repE0EEENS1_30default_config_static_selectorELNS0_4arch9wavefront6targetE0EEEvSY_
    .private_segment_fixed_size: 0
    .sgpr_count:     0
    .sgpr_spill_count: 0
    .symbol:         _ZN7rocprim17ROCPRIM_400000_NS6detail17trampoline_kernelINS0_13select_configILj256ELj13ELNS0_17block_load_methodE3ELS4_3ELS4_3ELNS0_20block_scan_algorithmE0ELj4294967295EEENS1_25partition_config_selectorILNS1_17partition_subalgoE3EjNS0_10empty_typeEbEEZZNS1_14partition_implILS8_3ELb0ES6_jNS0_17counting_iteratorIjlEEPS9_SE_NS0_5tupleIJPjSE_EEENSF_IJSE_SE_EEES9_SG_JZNS1_25segmented_radix_sort_implINS0_14default_configELb0EPKhPhPKlPlN2at6native12_GLOBAL__N_18offset_tEEE10hipError_tPvRmT1_PNSt15iterator_traitsISY_E10value_typeET2_T3_PNSZ_IS14_E10value_typeET4_jRbjT5_S1A_jjP12ihipStream_tbEUljE_EEESV_SW_SX_S14_S18_S1A_T6_T7_T9_mT8_S1C_bDpT10_ENKUlT_T0_E_clISt17integral_constantIbLb1EES1P_EEDaS1K_S1L_EUlS1K_E_NS1_11comp_targetILNS1_3genE10ELNS1_11target_archE1200ELNS1_3gpuE4ELNS1_3repE0EEENS1_30default_config_static_selectorELNS0_4arch9wavefront6targetE0EEEvSY_.kd
    .uniform_work_group_size: 1
    .uses_dynamic_stack: false
    .vgpr_count:     0
    .vgpr_spill_count: 0
    .wavefront_size: 32
    .workgroup_processor_mode: 1
  - .args:
      - .offset:         0
        .size:           152
        .value_kind:     by_value
    .group_segment_fixed_size: 13324
    .kernarg_segment_align: 8
    .kernarg_segment_size: 152
    .language:       OpenCL C
    .language_version:
      - 2
      - 0
    .max_flat_workgroup_size: 256
    .name:           _ZN7rocprim17ROCPRIM_400000_NS6detail17trampoline_kernelINS0_13select_configILj256ELj13ELNS0_17block_load_methodE3ELS4_3ELS4_3ELNS0_20block_scan_algorithmE0ELj4294967295EEENS1_25partition_config_selectorILNS1_17partition_subalgoE3EjNS0_10empty_typeEbEEZZNS1_14partition_implILS8_3ELb0ES6_jNS0_17counting_iteratorIjlEEPS9_SE_NS0_5tupleIJPjSE_EEENSF_IJSE_SE_EEES9_SG_JZNS1_25segmented_radix_sort_implINS0_14default_configELb0EPKhPhPKlPlN2at6native12_GLOBAL__N_18offset_tEEE10hipError_tPvRmT1_PNSt15iterator_traitsISY_E10value_typeET2_T3_PNSZ_IS14_E10value_typeET4_jRbjT5_S1A_jjP12ihipStream_tbEUljE_EEESV_SW_SX_S14_S18_S1A_T6_T7_T9_mT8_S1C_bDpT10_ENKUlT_T0_E_clISt17integral_constantIbLb1EES1P_EEDaS1K_S1L_EUlS1K_E_NS1_11comp_targetILNS1_3genE9ELNS1_11target_archE1100ELNS1_3gpuE3ELNS1_3repE0EEENS1_30default_config_static_selectorELNS0_4arch9wavefront6targetE0EEEvSY_
    .private_segment_fixed_size: 0
    .sgpr_count:     28
    .sgpr_spill_count: 0
    .symbol:         _ZN7rocprim17ROCPRIM_400000_NS6detail17trampoline_kernelINS0_13select_configILj256ELj13ELNS0_17block_load_methodE3ELS4_3ELS4_3ELNS0_20block_scan_algorithmE0ELj4294967295EEENS1_25partition_config_selectorILNS1_17partition_subalgoE3EjNS0_10empty_typeEbEEZZNS1_14partition_implILS8_3ELb0ES6_jNS0_17counting_iteratorIjlEEPS9_SE_NS0_5tupleIJPjSE_EEENSF_IJSE_SE_EEES9_SG_JZNS1_25segmented_radix_sort_implINS0_14default_configELb0EPKhPhPKlPlN2at6native12_GLOBAL__N_18offset_tEEE10hipError_tPvRmT1_PNSt15iterator_traitsISY_E10value_typeET2_T3_PNSZ_IS14_E10value_typeET4_jRbjT5_S1A_jjP12ihipStream_tbEUljE_EEESV_SW_SX_S14_S18_S1A_T6_T7_T9_mT8_S1C_bDpT10_ENKUlT_T0_E_clISt17integral_constantIbLb1EES1P_EEDaS1K_S1L_EUlS1K_E_NS1_11comp_targetILNS1_3genE9ELNS1_11target_archE1100ELNS1_3gpuE3ELNS1_3repE0EEENS1_30default_config_static_selectorELNS0_4arch9wavefront6targetE0EEEvSY_.kd
    .uniform_work_group_size: 1
    .uses_dynamic_stack: false
    .vgpr_count:     60
    .vgpr_spill_count: 0
    .wavefront_size: 32
    .workgroup_processor_mode: 1
  - .args:
      - .offset:         0
        .size:           152
        .value_kind:     by_value
    .group_segment_fixed_size: 0
    .kernarg_segment_align: 8
    .kernarg_segment_size: 152
    .language:       OpenCL C
    .language_version:
      - 2
      - 0
    .max_flat_workgroup_size: 256
    .name:           _ZN7rocprim17ROCPRIM_400000_NS6detail17trampoline_kernelINS0_13select_configILj256ELj13ELNS0_17block_load_methodE3ELS4_3ELS4_3ELNS0_20block_scan_algorithmE0ELj4294967295EEENS1_25partition_config_selectorILNS1_17partition_subalgoE3EjNS0_10empty_typeEbEEZZNS1_14partition_implILS8_3ELb0ES6_jNS0_17counting_iteratorIjlEEPS9_SE_NS0_5tupleIJPjSE_EEENSF_IJSE_SE_EEES9_SG_JZNS1_25segmented_radix_sort_implINS0_14default_configELb0EPKhPhPKlPlN2at6native12_GLOBAL__N_18offset_tEEE10hipError_tPvRmT1_PNSt15iterator_traitsISY_E10value_typeET2_T3_PNSZ_IS14_E10value_typeET4_jRbjT5_S1A_jjP12ihipStream_tbEUljE_EEESV_SW_SX_S14_S18_S1A_T6_T7_T9_mT8_S1C_bDpT10_ENKUlT_T0_E_clISt17integral_constantIbLb1EES1P_EEDaS1K_S1L_EUlS1K_E_NS1_11comp_targetILNS1_3genE8ELNS1_11target_archE1030ELNS1_3gpuE2ELNS1_3repE0EEENS1_30default_config_static_selectorELNS0_4arch9wavefront6targetE0EEEvSY_
    .private_segment_fixed_size: 0
    .sgpr_count:     0
    .sgpr_spill_count: 0
    .symbol:         _ZN7rocprim17ROCPRIM_400000_NS6detail17trampoline_kernelINS0_13select_configILj256ELj13ELNS0_17block_load_methodE3ELS4_3ELS4_3ELNS0_20block_scan_algorithmE0ELj4294967295EEENS1_25partition_config_selectorILNS1_17partition_subalgoE3EjNS0_10empty_typeEbEEZZNS1_14partition_implILS8_3ELb0ES6_jNS0_17counting_iteratorIjlEEPS9_SE_NS0_5tupleIJPjSE_EEENSF_IJSE_SE_EEES9_SG_JZNS1_25segmented_radix_sort_implINS0_14default_configELb0EPKhPhPKlPlN2at6native12_GLOBAL__N_18offset_tEEE10hipError_tPvRmT1_PNSt15iterator_traitsISY_E10value_typeET2_T3_PNSZ_IS14_E10value_typeET4_jRbjT5_S1A_jjP12ihipStream_tbEUljE_EEESV_SW_SX_S14_S18_S1A_T6_T7_T9_mT8_S1C_bDpT10_ENKUlT_T0_E_clISt17integral_constantIbLb1EES1P_EEDaS1K_S1L_EUlS1K_E_NS1_11comp_targetILNS1_3genE8ELNS1_11target_archE1030ELNS1_3gpuE2ELNS1_3repE0EEENS1_30default_config_static_selectorELNS0_4arch9wavefront6targetE0EEEvSY_.kd
    .uniform_work_group_size: 1
    .uses_dynamic_stack: false
    .vgpr_count:     0
    .vgpr_spill_count: 0
    .wavefront_size: 32
    .workgroup_processor_mode: 1
  - .args:
      - .offset:         0
        .size:           144
        .value_kind:     by_value
    .group_segment_fixed_size: 0
    .kernarg_segment_align: 8
    .kernarg_segment_size: 144
    .language:       OpenCL C
    .language_version:
      - 2
      - 0
    .max_flat_workgroup_size: 256
    .name:           _ZN7rocprim17ROCPRIM_400000_NS6detail17trampoline_kernelINS0_13select_configILj256ELj13ELNS0_17block_load_methodE3ELS4_3ELS4_3ELNS0_20block_scan_algorithmE0ELj4294967295EEENS1_25partition_config_selectorILNS1_17partition_subalgoE3EjNS0_10empty_typeEbEEZZNS1_14partition_implILS8_3ELb0ES6_jNS0_17counting_iteratorIjlEEPS9_SE_NS0_5tupleIJPjSE_EEENSF_IJSE_SE_EEES9_SG_JZNS1_25segmented_radix_sort_implINS0_14default_configELb0EPKhPhPKlPlN2at6native12_GLOBAL__N_18offset_tEEE10hipError_tPvRmT1_PNSt15iterator_traitsISY_E10value_typeET2_T3_PNSZ_IS14_E10value_typeET4_jRbjT5_S1A_jjP12ihipStream_tbEUljE_EEESV_SW_SX_S14_S18_S1A_T6_T7_T9_mT8_S1C_bDpT10_ENKUlT_T0_E_clISt17integral_constantIbLb1EES1O_IbLb0EEEEDaS1K_S1L_EUlS1K_E_NS1_11comp_targetILNS1_3genE0ELNS1_11target_archE4294967295ELNS1_3gpuE0ELNS1_3repE0EEENS1_30default_config_static_selectorELNS0_4arch9wavefront6targetE0EEEvSY_
    .private_segment_fixed_size: 0
    .sgpr_count:     0
    .sgpr_spill_count: 0
    .symbol:         _ZN7rocprim17ROCPRIM_400000_NS6detail17trampoline_kernelINS0_13select_configILj256ELj13ELNS0_17block_load_methodE3ELS4_3ELS4_3ELNS0_20block_scan_algorithmE0ELj4294967295EEENS1_25partition_config_selectorILNS1_17partition_subalgoE3EjNS0_10empty_typeEbEEZZNS1_14partition_implILS8_3ELb0ES6_jNS0_17counting_iteratorIjlEEPS9_SE_NS0_5tupleIJPjSE_EEENSF_IJSE_SE_EEES9_SG_JZNS1_25segmented_radix_sort_implINS0_14default_configELb0EPKhPhPKlPlN2at6native12_GLOBAL__N_18offset_tEEE10hipError_tPvRmT1_PNSt15iterator_traitsISY_E10value_typeET2_T3_PNSZ_IS14_E10value_typeET4_jRbjT5_S1A_jjP12ihipStream_tbEUljE_EEESV_SW_SX_S14_S18_S1A_T6_T7_T9_mT8_S1C_bDpT10_ENKUlT_T0_E_clISt17integral_constantIbLb1EES1O_IbLb0EEEEDaS1K_S1L_EUlS1K_E_NS1_11comp_targetILNS1_3genE0ELNS1_11target_archE4294967295ELNS1_3gpuE0ELNS1_3repE0EEENS1_30default_config_static_selectorELNS0_4arch9wavefront6targetE0EEEvSY_.kd
    .uniform_work_group_size: 1
    .uses_dynamic_stack: false
    .vgpr_count:     0
    .vgpr_spill_count: 0
    .wavefront_size: 32
    .workgroup_processor_mode: 1
  - .args:
      - .offset:         0
        .size:           144
        .value_kind:     by_value
    .group_segment_fixed_size: 0
    .kernarg_segment_align: 8
    .kernarg_segment_size: 144
    .language:       OpenCL C
    .language_version:
      - 2
      - 0
    .max_flat_workgroup_size: 256
    .name:           _ZN7rocprim17ROCPRIM_400000_NS6detail17trampoline_kernelINS0_13select_configILj256ELj13ELNS0_17block_load_methodE3ELS4_3ELS4_3ELNS0_20block_scan_algorithmE0ELj4294967295EEENS1_25partition_config_selectorILNS1_17partition_subalgoE3EjNS0_10empty_typeEbEEZZNS1_14partition_implILS8_3ELb0ES6_jNS0_17counting_iteratorIjlEEPS9_SE_NS0_5tupleIJPjSE_EEENSF_IJSE_SE_EEES9_SG_JZNS1_25segmented_radix_sort_implINS0_14default_configELb0EPKhPhPKlPlN2at6native12_GLOBAL__N_18offset_tEEE10hipError_tPvRmT1_PNSt15iterator_traitsISY_E10value_typeET2_T3_PNSZ_IS14_E10value_typeET4_jRbjT5_S1A_jjP12ihipStream_tbEUljE_EEESV_SW_SX_S14_S18_S1A_T6_T7_T9_mT8_S1C_bDpT10_ENKUlT_T0_E_clISt17integral_constantIbLb1EES1O_IbLb0EEEEDaS1K_S1L_EUlS1K_E_NS1_11comp_targetILNS1_3genE5ELNS1_11target_archE942ELNS1_3gpuE9ELNS1_3repE0EEENS1_30default_config_static_selectorELNS0_4arch9wavefront6targetE0EEEvSY_
    .private_segment_fixed_size: 0
    .sgpr_count:     0
    .sgpr_spill_count: 0
    .symbol:         _ZN7rocprim17ROCPRIM_400000_NS6detail17trampoline_kernelINS0_13select_configILj256ELj13ELNS0_17block_load_methodE3ELS4_3ELS4_3ELNS0_20block_scan_algorithmE0ELj4294967295EEENS1_25partition_config_selectorILNS1_17partition_subalgoE3EjNS0_10empty_typeEbEEZZNS1_14partition_implILS8_3ELb0ES6_jNS0_17counting_iteratorIjlEEPS9_SE_NS0_5tupleIJPjSE_EEENSF_IJSE_SE_EEES9_SG_JZNS1_25segmented_radix_sort_implINS0_14default_configELb0EPKhPhPKlPlN2at6native12_GLOBAL__N_18offset_tEEE10hipError_tPvRmT1_PNSt15iterator_traitsISY_E10value_typeET2_T3_PNSZ_IS14_E10value_typeET4_jRbjT5_S1A_jjP12ihipStream_tbEUljE_EEESV_SW_SX_S14_S18_S1A_T6_T7_T9_mT8_S1C_bDpT10_ENKUlT_T0_E_clISt17integral_constantIbLb1EES1O_IbLb0EEEEDaS1K_S1L_EUlS1K_E_NS1_11comp_targetILNS1_3genE5ELNS1_11target_archE942ELNS1_3gpuE9ELNS1_3repE0EEENS1_30default_config_static_selectorELNS0_4arch9wavefront6targetE0EEEvSY_.kd
    .uniform_work_group_size: 1
    .uses_dynamic_stack: false
    .vgpr_count:     0
    .vgpr_spill_count: 0
    .wavefront_size: 32
    .workgroup_processor_mode: 1
  - .args:
      - .offset:         0
        .size:           144
        .value_kind:     by_value
    .group_segment_fixed_size: 0
    .kernarg_segment_align: 8
    .kernarg_segment_size: 144
    .language:       OpenCL C
    .language_version:
      - 2
      - 0
    .max_flat_workgroup_size: 256
    .name:           _ZN7rocprim17ROCPRIM_400000_NS6detail17trampoline_kernelINS0_13select_configILj256ELj13ELNS0_17block_load_methodE3ELS4_3ELS4_3ELNS0_20block_scan_algorithmE0ELj4294967295EEENS1_25partition_config_selectorILNS1_17partition_subalgoE3EjNS0_10empty_typeEbEEZZNS1_14partition_implILS8_3ELb0ES6_jNS0_17counting_iteratorIjlEEPS9_SE_NS0_5tupleIJPjSE_EEENSF_IJSE_SE_EEES9_SG_JZNS1_25segmented_radix_sort_implINS0_14default_configELb0EPKhPhPKlPlN2at6native12_GLOBAL__N_18offset_tEEE10hipError_tPvRmT1_PNSt15iterator_traitsISY_E10value_typeET2_T3_PNSZ_IS14_E10value_typeET4_jRbjT5_S1A_jjP12ihipStream_tbEUljE_EEESV_SW_SX_S14_S18_S1A_T6_T7_T9_mT8_S1C_bDpT10_ENKUlT_T0_E_clISt17integral_constantIbLb1EES1O_IbLb0EEEEDaS1K_S1L_EUlS1K_E_NS1_11comp_targetILNS1_3genE4ELNS1_11target_archE910ELNS1_3gpuE8ELNS1_3repE0EEENS1_30default_config_static_selectorELNS0_4arch9wavefront6targetE0EEEvSY_
    .private_segment_fixed_size: 0
    .sgpr_count:     0
    .sgpr_spill_count: 0
    .symbol:         _ZN7rocprim17ROCPRIM_400000_NS6detail17trampoline_kernelINS0_13select_configILj256ELj13ELNS0_17block_load_methodE3ELS4_3ELS4_3ELNS0_20block_scan_algorithmE0ELj4294967295EEENS1_25partition_config_selectorILNS1_17partition_subalgoE3EjNS0_10empty_typeEbEEZZNS1_14partition_implILS8_3ELb0ES6_jNS0_17counting_iteratorIjlEEPS9_SE_NS0_5tupleIJPjSE_EEENSF_IJSE_SE_EEES9_SG_JZNS1_25segmented_radix_sort_implINS0_14default_configELb0EPKhPhPKlPlN2at6native12_GLOBAL__N_18offset_tEEE10hipError_tPvRmT1_PNSt15iterator_traitsISY_E10value_typeET2_T3_PNSZ_IS14_E10value_typeET4_jRbjT5_S1A_jjP12ihipStream_tbEUljE_EEESV_SW_SX_S14_S18_S1A_T6_T7_T9_mT8_S1C_bDpT10_ENKUlT_T0_E_clISt17integral_constantIbLb1EES1O_IbLb0EEEEDaS1K_S1L_EUlS1K_E_NS1_11comp_targetILNS1_3genE4ELNS1_11target_archE910ELNS1_3gpuE8ELNS1_3repE0EEENS1_30default_config_static_selectorELNS0_4arch9wavefront6targetE0EEEvSY_.kd
    .uniform_work_group_size: 1
    .uses_dynamic_stack: false
    .vgpr_count:     0
    .vgpr_spill_count: 0
    .wavefront_size: 32
    .workgroup_processor_mode: 1
  - .args:
      - .offset:         0
        .size:           144
        .value_kind:     by_value
    .group_segment_fixed_size: 0
    .kernarg_segment_align: 8
    .kernarg_segment_size: 144
    .language:       OpenCL C
    .language_version:
      - 2
      - 0
    .max_flat_workgroup_size: 256
    .name:           _ZN7rocprim17ROCPRIM_400000_NS6detail17trampoline_kernelINS0_13select_configILj256ELj13ELNS0_17block_load_methodE3ELS4_3ELS4_3ELNS0_20block_scan_algorithmE0ELj4294967295EEENS1_25partition_config_selectorILNS1_17partition_subalgoE3EjNS0_10empty_typeEbEEZZNS1_14partition_implILS8_3ELb0ES6_jNS0_17counting_iteratorIjlEEPS9_SE_NS0_5tupleIJPjSE_EEENSF_IJSE_SE_EEES9_SG_JZNS1_25segmented_radix_sort_implINS0_14default_configELb0EPKhPhPKlPlN2at6native12_GLOBAL__N_18offset_tEEE10hipError_tPvRmT1_PNSt15iterator_traitsISY_E10value_typeET2_T3_PNSZ_IS14_E10value_typeET4_jRbjT5_S1A_jjP12ihipStream_tbEUljE_EEESV_SW_SX_S14_S18_S1A_T6_T7_T9_mT8_S1C_bDpT10_ENKUlT_T0_E_clISt17integral_constantIbLb1EES1O_IbLb0EEEEDaS1K_S1L_EUlS1K_E_NS1_11comp_targetILNS1_3genE3ELNS1_11target_archE908ELNS1_3gpuE7ELNS1_3repE0EEENS1_30default_config_static_selectorELNS0_4arch9wavefront6targetE0EEEvSY_
    .private_segment_fixed_size: 0
    .sgpr_count:     0
    .sgpr_spill_count: 0
    .symbol:         _ZN7rocprim17ROCPRIM_400000_NS6detail17trampoline_kernelINS0_13select_configILj256ELj13ELNS0_17block_load_methodE3ELS4_3ELS4_3ELNS0_20block_scan_algorithmE0ELj4294967295EEENS1_25partition_config_selectorILNS1_17partition_subalgoE3EjNS0_10empty_typeEbEEZZNS1_14partition_implILS8_3ELb0ES6_jNS0_17counting_iteratorIjlEEPS9_SE_NS0_5tupleIJPjSE_EEENSF_IJSE_SE_EEES9_SG_JZNS1_25segmented_radix_sort_implINS0_14default_configELb0EPKhPhPKlPlN2at6native12_GLOBAL__N_18offset_tEEE10hipError_tPvRmT1_PNSt15iterator_traitsISY_E10value_typeET2_T3_PNSZ_IS14_E10value_typeET4_jRbjT5_S1A_jjP12ihipStream_tbEUljE_EEESV_SW_SX_S14_S18_S1A_T6_T7_T9_mT8_S1C_bDpT10_ENKUlT_T0_E_clISt17integral_constantIbLb1EES1O_IbLb0EEEEDaS1K_S1L_EUlS1K_E_NS1_11comp_targetILNS1_3genE3ELNS1_11target_archE908ELNS1_3gpuE7ELNS1_3repE0EEENS1_30default_config_static_selectorELNS0_4arch9wavefront6targetE0EEEvSY_.kd
    .uniform_work_group_size: 1
    .uses_dynamic_stack: false
    .vgpr_count:     0
    .vgpr_spill_count: 0
    .wavefront_size: 32
    .workgroup_processor_mode: 1
  - .args:
      - .offset:         0
        .size:           144
        .value_kind:     by_value
    .group_segment_fixed_size: 0
    .kernarg_segment_align: 8
    .kernarg_segment_size: 144
    .language:       OpenCL C
    .language_version:
      - 2
      - 0
    .max_flat_workgroup_size: 256
    .name:           _ZN7rocprim17ROCPRIM_400000_NS6detail17trampoline_kernelINS0_13select_configILj256ELj13ELNS0_17block_load_methodE3ELS4_3ELS4_3ELNS0_20block_scan_algorithmE0ELj4294967295EEENS1_25partition_config_selectorILNS1_17partition_subalgoE3EjNS0_10empty_typeEbEEZZNS1_14partition_implILS8_3ELb0ES6_jNS0_17counting_iteratorIjlEEPS9_SE_NS0_5tupleIJPjSE_EEENSF_IJSE_SE_EEES9_SG_JZNS1_25segmented_radix_sort_implINS0_14default_configELb0EPKhPhPKlPlN2at6native12_GLOBAL__N_18offset_tEEE10hipError_tPvRmT1_PNSt15iterator_traitsISY_E10value_typeET2_T3_PNSZ_IS14_E10value_typeET4_jRbjT5_S1A_jjP12ihipStream_tbEUljE_EEESV_SW_SX_S14_S18_S1A_T6_T7_T9_mT8_S1C_bDpT10_ENKUlT_T0_E_clISt17integral_constantIbLb1EES1O_IbLb0EEEEDaS1K_S1L_EUlS1K_E_NS1_11comp_targetILNS1_3genE2ELNS1_11target_archE906ELNS1_3gpuE6ELNS1_3repE0EEENS1_30default_config_static_selectorELNS0_4arch9wavefront6targetE0EEEvSY_
    .private_segment_fixed_size: 0
    .sgpr_count:     0
    .sgpr_spill_count: 0
    .symbol:         _ZN7rocprim17ROCPRIM_400000_NS6detail17trampoline_kernelINS0_13select_configILj256ELj13ELNS0_17block_load_methodE3ELS4_3ELS4_3ELNS0_20block_scan_algorithmE0ELj4294967295EEENS1_25partition_config_selectorILNS1_17partition_subalgoE3EjNS0_10empty_typeEbEEZZNS1_14partition_implILS8_3ELb0ES6_jNS0_17counting_iteratorIjlEEPS9_SE_NS0_5tupleIJPjSE_EEENSF_IJSE_SE_EEES9_SG_JZNS1_25segmented_radix_sort_implINS0_14default_configELb0EPKhPhPKlPlN2at6native12_GLOBAL__N_18offset_tEEE10hipError_tPvRmT1_PNSt15iterator_traitsISY_E10value_typeET2_T3_PNSZ_IS14_E10value_typeET4_jRbjT5_S1A_jjP12ihipStream_tbEUljE_EEESV_SW_SX_S14_S18_S1A_T6_T7_T9_mT8_S1C_bDpT10_ENKUlT_T0_E_clISt17integral_constantIbLb1EES1O_IbLb0EEEEDaS1K_S1L_EUlS1K_E_NS1_11comp_targetILNS1_3genE2ELNS1_11target_archE906ELNS1_3gpuE6ELNS1_3repE0EEENS1_30default_config_static_selectorELNS0_4arch9wavefront6targetE0EEEvSY_.kd
    .uniform_work_group_size: 1
    .uses_dynamic_stack: false
    .vgpr_count:     0
    .vgpr_spill_count: 0
    .wavefront_size: 32
    .workgroup_processor_mode: 1
  - .args:
      - .offset:         0
        .size:           144
        .value_kind:     by_value
    .group_segment_fixed_size: 0
    .kernarg_segment_align: 8
    .kernarg_segment_size: 144
    .language:       OpenCL C
    .language_version:
      - 2
      - 0
    .max_flat_workgroup_size: 256
    .name:           _ZN7rocprim17ROCPRIM_400000_NS6detail17trampoline_kernelINS0_13select_configILj256ELj13ELNS0_17block_load_methodE3ELS4_3ELS4_3ELNS0_20block_scan_algorithmE0ELj4294967295EEENS1_25partition_config_selectorILNS1_17partition_subalgoE3EjNS0_10empty_typeEbEEZZNS1_14partition_implILS8_3ELb0ES6_jNS0_17counting_iteratorIjlEEPS9_SE_NS0_5tupleIJPjSE_EEENSF_IJSE_SE_EEES9_SG_JZNS1_25segmented_radix_sort_implINS0_14default_configELb0EPKhPhPKlPlN2at6native12_GLOBAL__N_18offset_tEEE10hipError_tPvRmT1_PNSt15iterator_traitsISY_E10value_typeET2_T3_PNSZ_IS14_E10value_typeET4_jRbjT5_S1A_jjP12ihipStream_tbEUljE_EEESV_SW_SX_S14_S18_S1A_T6_T7_T9_mT8_S1C_bDpT10_ENKUlT_T0_E_clISt17integral_constantIbLb1EES1O_IbLb0EEEEDaS1K_S1L_EUlS1K_E_NS1_11comp_targetILNS1_3genE10ELNS1_11target_archE1200ELNS1_3gpuE4ELNS1_3repE0EEENS1_30default_config_static_selectorELNS0_4arch9wavefront6targetE0EEEvSY_
    .private_segment_fixed_size: 0
    .sgpr_count:     0
    .sgpr_spill_count: 0
    .symbol:         _ZN7rocprim17ROCPRIM_400000_NS6detail17trampoline_kernelINS0_13select_configILj256ELj13ELNS0_17block_load_methodE3ELS4_3ELS4_3ELNS0_20block_scan_algorithmE0ELj4294967295EEENS1_25partition_config_selectorILNS1_17partition_subalgoE3EjNS0_10empty_typeEbEEZZNS1_14partition_implILS8_3ELb0ES6_jNS0_17counting_iteratorIjlEEPS9_SE_NS0_5tupleIJPjSE_EEENSF_IJSE_SE_EEES9_SG_JZNS1_25segmented_radix_sort_implINS0_14default_configELb0EPKhPhPKlPlN2at6native12_GLOBAL__N_18offset_tEEE10hipError_tPvRmT1_PNSt15iterator_traitsISY_E10value_typeET2_T3_PNSZ_IS14_E10value_typeET4_jRbjT5_S1A_jjP12ihipStream_tbEUljE_EEESV_SW_SX_S14_S18_S1A_T6_T7_T9_mT8_S1C_bDpT10_ENKUlT_T0_E_clISt17integral_constantIbLb1EES1O_IbLb0EEEEDaS1K_S1L_EUlS1K_E_NS1_11comp_targetILNS1_3genE10ELNS1_11target_archE1200ELNS1_3gpuE4ELNS1_3repE0EEENS1_30default_config_static_selectorELNS0_4arch9wavefront6targetE0EEEvSY_.kd
    .uniform_work_group_size: 1
    .uses_dynamic_stack: false
    .vgpr_count:     0
    .vgpr_spill_count: 0
    .wavefront_size: 32
    .workgroup_processor_mode: 1
  - .args:
      - .offset:         0
        .size:           144
        .value_kind:     by_value
    .group_segment_fixed_size: 13324
    .kernarg_segment_align: 8
    .kernarg_segment_size: 144
    .language:       OpenCL C
    .language_version:
      - 2
      - 0
    .max_flat_workgroup_size: 256
    .name:           _ZN7rocprim17ROCPRIM_400000_NS6detail17trampoline_kernelINS0_13select_configILj256ELj13ELNS0_17block_load_methodE3ELS4_3ELS4_3ELNS0_20block_scan_algorithmE0ELj4294967295EEENS1_25partition_config_selectorILNS1_17partition_subalgoE3EjNS0_10empty_typeEbEEZZNS1_14partition_implILS8_3ELb0ES6_jNS0_17counting_iteratorIjlEEPS9_SE_NS0_5tupleIJPjSE_EEENSF_IJSE_SE_EEES9_SG_JZNS1_25segmented_radix_sort_implINS0_14default_configELb0EPKhPhPKlPlN2at6native12_GLOBAL__N_18offset_tEEE10hipError_tPvRmT1_PNSt15iterator_traitsISY_E10value_typeET2_T3_PNSZ_IS14_E10value_typeET4_jRbjT5_S1A_jjP12ihipStream_tbEUljE_EEESV_SW_SX_S14_S18_S1A_T6_T7_T9_mT8_S1C_bDpT10_ENKUlT_T0_E_clISt17integral_constantIbLb1EES1O_IbLb0EEEEDaS1K_S1L_EUlS1K_E_NS1_11comp_targetILNS1_3genE9ELNS1_11target_archE1100ELNS1_3gpuE3ELNS1_3repE0EEENS1_30default_config_static_selectorELNS0_4arch9wavefront6targetE0EEEvSY_
    .private_segment_fixed_size: 0
    .sgpr_count:     30
    .sgpr_spill_count: 0
    .symbol:         _ZN7rocprim17ROCPRIM_400000_NS6detail17trampoline_kernelINS0_13select_configILj256ELj13ELNS0_17block_load_methodE3ELS4_3ELS4_3ELNS0_20block_scan_algorithmE0ELj4294967295EEENS1_25partition_config_selectorILNS1_17partition_subalgoE3EjNS0_10empty_typeEbEEZZNS1_14partition_implILS8_3ELb0ES6_jNS0_17counting_iteratorIjlEEPS9_SE_NS0_5tupleIJPjSE_EEENSF_IJSE_SE_EEES9_SG_JZNS1_25segmented_radix_sort_implINS0_14default_configELb0EPKhPhPKlPlN2at6native12_GLOBAL__N_18offset_tEEE10hipError_tPvRmT1_PNSt15iterator_traitsISY_E10value_typeET2_T3_PNSZ_IS14_E10value_typeET4_jRbjT5_S1A_jjP12ihipStream_tbEUljE_EEESV_SW_SX_S14_S18_S1A_T6_T7_T9_mT8_S1C_bDpT10_ENKUlT_T0_E_clISt17integral_constantIbLb1EES1O_IbLb0EEEEDaS1K_S1L_EUlS1K_E_NS1_11comp_targetILNS1_3genE9ELNS1_11target_archE1100ELNS1_3gpuE3ELNS1_3repE0EEENS1_30default_config_static_selectorELNS0_4arch9wavefront6targetE0EEEvSY_.kd
    .uniform_work_group_size: 1
    .uses_dynamic_stack: false
    .vgpr_count:     57
    .vgpr_spill_count: 0
    .wavefront_size: 32
    .workgroup_processor_mode: 1
  - .args:
      - .offset:         0
        .size:           144
        .value_kind:     by_value
    .group_segment_fixed_size: 0
    .kernarg_segment_align: 8
    .kernarg_segment_size: 144
    .language:       OpenCL C
    .language_version:
      - 2
      - 0
    .max_flat_workgroup_size: 256
    .name:           _ZN7rocprim17ROCPRIM_400000_NS6detail17trampoline_kernelINS0_13select_configILj256ELj13ELNS0_17block_load_methodE3ELS4_3ELS4_3ELNS0_20block_scan_algorithmE0ELj4294967295EEENS1_25partition_config_selectorILNS1_17partition_subalgoE3EjNS0_10empty_typeEbEEZZNS1_14partition_implILS8_3ELb0ES6_jNS0_17counting_iteratorIjlEEPS9_SE_NS0_5tupleIJPjSE_EEENSF_IJSE_SE_EEES9_SG_JZNS1_25segmented_radix_sort_implINS0_14default_configELb0EPKhPhPKlPlN2at6native12_GLOBAL__N_18offset_tEEE10hipError_tPvRmT1_PNSt15iterator_traitsISY_E10value_typeET2_T3_PNSZ_IS14_E10value_typeET4_jRbjT5_S1A_jjP12ihipStream_tbEUljE_EEESV_SW_SX_S14_S18_S1A_T6_T7_T9_mT8_S1C_bDpT10_ENKUlT_T0_E_clISt17integral_constantIbLb1EES1O_IbLb0EEEEDaS1K_S1L_EUlS1K_E_NS1_11comp_targetILNS1_3genE8ELNS1_11target_archE1030ELNS1_3gpuE2ELNS1_3repE0EEENS1_30default_config_static_selectorELNS0_4arch9wavefront6targetE0EEEvSY_
    .private_segment_fixed_size: 0
    .sgpr_count:     0
    .sgpr_spill_count: 0
    .symbol:         _ZN7rocprim17ROCPRIM_400000_NS6detail17trampoline_kernelINS0_13select_configILj256ELj13ELNS0_17block_load_methodE3ELS4_3ELS4_3ELNS0_20block_scan_algorithmE0ELj4294967295EEENS1_25partition_config_selectorILNS1_17partition_subalgoE3EjNS0_10empty_typeEbEEZZNS1_14partition_implILS8_3ELb0ES6_jNS0_17counting_iteratorIjlEEPS9_SE_NS0_5tupleIJPjSE_EEENSF_IJSE_SE_EEES9_SG_JZNS1_25segmented_radix_sort_implINS0_14default_configELb0EPKhPhPKlPlN2at6native12_GLOBAL__N_18offset_tEEE10hipError_tPvRmT1_PNSt15iterator_traitsISY_E10value_typeET2_T3_PNSZ_IS14_E10value_typeET4_jRbjT5_S1A_jjP12ihipStream_tbEUljE_EEESV_SW_SX_S14_S18_S1A_T6_T7_T9_mT8_S1C_bDpT10_ENKUlT_T0_E_clISt17integral_constantIbLb1EES1O_IbLb0EEEEDaS1K_S1L_EUlS1K_E_NS1_11comp_targetILNS1_3genE8ELNS1_11target_archE1030ELNS1_3gpuE2ELNS1_3repE0EEENS1_30default_config_static_selectorELNS0_4arch9wavefront6targetE0EEEvSY_.kd
    .uniform_work_group_size: 1
    .uses_dynamic_stack: false
    .vgpr_count:     0
    .vgpr_spill_count: 0
    .wavefront_size: 32
    .workgroup_processor_mode: 1
  - .args:
      - .offset:         0
        .size:           152
        .value_kind:     by_value
    .group_segment_fixed_size: 0
    .kernarg_segment_align: 8
    .kernarg_segment_size: 152
    .language:       OpenCL C
    .language_version:
      - 2
      - 0
    .max_flat_workgroup_size: 256
    .name:           _ZN7rocprim17ROCPRIM_400000_NS6detail17trampoline_kernelINS0_13select_configILj256ELj13ELNS0_17block_load_methodE3ELS4_3ELS4_3ELNS0_20block_scan_algorithmE0ELj4294967295EEENS1_25partition_config_selectorILNS1_17partition_subalgoE3EjNS0_10empty_typeEbEEZZNS1_14partition_implILS8_3ELb0ES6_jNS0_17counting_iteratorIjlEEPS9_SE_NS0_5tupleIJPjSE_EEENSF_IJSE_SE_EEES9_SG_JZNS1_25segmented_radix_sort_implINS0_14default_configELb0EPKhPhPKlPlN2at6native12_GLOBAL__N_18offset_tEEE10hipError_tPvRmT1_PNSt15iterator_traitsISY_E10value_typeET2_T3_PNSZ_IS14_E10value_typeET4_jRbjT5_S1A_jjP12ihipStream_tbEUljE_EEESV_SW_SX_S14_S18_S1A_T6_T7_T9_mT8_S1C_bDpT10_ENKUlT_T0_E_clISt17integral_constantIbLb0EES1O_IbLb1EEEEDaS1K_S1L_EUlS1K_E_NS1_11comp_targetILNS1_3genE0ELNS1_11target_archE4294967295ELNS1_3gpuE0ELNS1_3repE0EEENS1_30default_config_static_selectorELNS0_4arch9wavefront6targetE0EEEvSY_
    .private_segment_fixed_size: 0
    .sgpr_count:     0
    .sgpr_spill_count: 0
    .symbol:         _ZN7rocprim17ROCPRIM_400000_NS6detail17trampoline_kernelINS0_13select_configILj256ELj13ELNS0_17block_load_methodE3ELS4_3ELS4_3ELNS0_20block_scan_algorithmE0ELj4294967295EEENS1_25partition_config_selectorILNS1_17partition_subalgoE3EjNS0_10empty_typeEbEEZZNS1_14partition_implILS8_3ELb0ES6_jNS0_17counting_iteratorIjlEEPS9_SE_NS0_5tupleIJPjSE_EEENSF_IJSE_SE_EEES9_SG_JZNS1_25segmented_radix_sort_implINS0_14default_configELb0EPKhPhPKlPlN2at6native12_GLOBAL__N_18offset_tEEE10hipError_tPvRmT1_PNSt15iterator_traitsISY_E10value_typeET2_T3_PNSZ_IS14_E10value_typeET4_jRbjT5_S1A_jjP12ihipStream_tbEUljE_EEESV_SW_SX_S14_S18_S1A_T6_T7_T9_mT8_S1C_bDpT10_ENKUlT_T0_E_clISt17integral_constantIbLb0EES1O_IbLb1EEEEDaS1K_S1L_EUlS1K_E_NS1_11comp_targetILNS1_3genE0ELNS1_11target_archE4294967295ELNS1_3gpuE0ELNS1_3repE0EEENS1_30default_config_static_selectorELNS0_4arch9wavefront6targetE0EEEvSY_.kd
    .uniform_work_group_size: 1
    .uses_dynamic_stack: false
    .vgpr_count:     0
    .vgpr_spill_count: 0
    .wavefront_size: 32
    .workgroup_processor_mode: 1
  - .args:
      - .offset:         0
        .size:           152
        .value_kind:     by_value
    .group_segment_fixed_size: 0
    .kernarg_segment_align: 8
    .kernarg_segment_size: 152
    .language:       OpenCL C
    .language_version:
      - 2
      - 0
    .max_flat_workgroup_size: 256
    .name:           _ZN7rocprim17ROCPRIM_400000_NS6detail17trampoline_kernelINS0_13select_configILj256ELj13ELNS0_17block_load_methodE3ELS4_3ELS4_3ELNS0_20block_scan_algorithmE0ELj4294967295EEENS1_25partition_config_selectorILNS1_17partition_subalgoE3EjNS0_10empty_typeEbEEZZNS1_14partition_implILS8_3ELb0ES6_jNS0_17counting_iteratorIjlEEPS9_SE_NS0_5tupleIJPjSE_EEENSF_IJSE_SE_EEES9_SG_JZNS1_25segmented_radix_sort_implINS0_14default_configELb0EPKhPhPKlPlN2at6native12_GLOBAL__N_18offset_tEEE10hipError_tPvRmT1_PNSt15iterator_traitsISY_E10value_typeET2_T3_PNSZ_IS14_E10value_typeET4_jRbjT5_S1A_jjP12ihipStream_tbEUljE_EEESV_SW_SX_S14_S18_S1A_T6_T7_T9_mT8_S1C_bDpT10_ENKUlT_T0_E_clISt17integral_constantIbLb0EES1O_IbLb1EEEEDaS1K_S1L_EUlS1K_E_NS1_11comp_targetILNS1_3genE5ELNS1_11target_archE942ELNS1_3gpuE9ELNS1_3repE0EEENS1_30default_config_static_selectorELNS0_4arch9wavefront6targetE0EEEvSY_
    .private_segment_fixed_size: 0
    .sgpr_count:     0
    .sgpr_spill_count: 0
    .symbol:         _ZN7rocprim17ROCPRIM_400000_NS6detail17trampoline_kernelINS0_13select_configILj256ELj13ELNS0_17block_load_methodE3ELS4_3ELS4_3ELNS0_20block_scan_algorithmE0ELj4294967295EEENS1_25partition_config_selectorILNS1_17partition_subalgoE3EjNS0_10empty_typeEbEEZZNS1_14partition_implILS8_3ELb0ES6_jNS0_17counting_iteratorIjlEEPS9_SE_NS0_5tupleIJPjSE_EEENSF_IJSE_SE_EEES9_SG_JZNS1_25segmented_radix_sort_implINS0_14default_configELb0EPKhPhPKlPlN2at6native12_GLOBAL__N_18offset_tEEE10hipError_tPvRmT1_PNSt15iterator_traitsISY_E10value_typeET2_T3_PNSZ_IS14_E10value_typeET4_jRbjT5_S1A_jjP12ihipStream_tbEUljE_EEESV_SW_SX_S14_S18_S1A_T6_T7_T9_mT8_S1C_bDpT10_ENKUlT_T0_E_clISt17integral_constantIbLb0EES1O_IbLb1EEEEDaS1K_S1L_EUlS1K_E_NS1_11comp_targetILNS1_3genE5ELNS1_11target_archE942ELNS1_3gpuE9ELNS1_3repE0EEENS1_30default_config_static_selectorELNS0_4arch9wavefront6targetE0EEEvSY_.kd
    .uniform_work_group_size: 1
    .uses_dynamic_stack: false
    .vgpr_count:     0
    .vgpr_spill_count: 0
    .wavefront_size: 32
    .workgroup_processor_mode: 1
  - .args:
      - .offset:         0
        .size:           152
        .value_kind:     by_value
    .group_segment_fixed_size: 0
    .kernarg_segment_align: 8
    .kernarg_segment_size: 152
    .language:       OpenCL C
    .language_version:
      - 2
      - 0
    .max_flat_workgroup_size: 256
    .name:           _ZN7rocprim17ROCPRIM_400000_NS6detail17trampoline_kernelINS0_13select_configILj256ELj13ELNS0_17block_load_methodE3ELS4_3ELS4_3ELNS0_20block_scan_algorithmE0ELj4294967295EEENS1_25partition_config_selectorILNS1_17partition_subalgoE3EjNS0_10empty_typeEbEEZZNS1_14partition_implILS8_3ELb0ES6_jNS0_17counting_iteratorIjlEEPS9_SE_NS0_5tupleIJPjSE_EEENSF_IJSE_SE_EEES9_SG_JZNS1_25segmented_radix_sort_implINS0_14default_configELb0EPKhPhPKlPlN2at6native12_GLOBAL__N_18offset_tEEE10hipError_tPvRmT1_PNSt15iterator_traitsISY_E10value_typeET2_T3_PNSZ_IS14_E10value_typeET4_jRbjT5_S1A_jjP12ihipStream_tbEUljE_EEESV_SW_SX_S14_S18_S1A_T6_T7_T9_mT8_S1C_bDpT10_ENKUlT_T0_E_clISt17integral_constantIbLb0EES1O_IbLb1EEEEDaS1K_S1L_EUlS1K_E_NS1_11comp_targetILNS1_3genE4ELNS1_11target_archE910ELNS1_3gpuE8ELNS1_3repE0EEENS1_30default_config_static_selectorELNS0_4arch9wavefront6targetE0EEEvSY_
    .private_segment_fixed_size: 0
    .sgpr_count:     0
    .sgpr_spill_count: 0
    .symbol:         _ZN7rocprim17ROCPRIM_400000_NS6detail17trampoline_kernelINS0_13select_configILj256ELj13ELNS0_17block_load_methodE3ELS4_3ELS4_3ELNS0_20block_scan_algorithmE0ELj4294967295EEENS1_25partition_config_selectorILNS1_17partition_subalgoE3EjNS0_10empty_typeEbEEZZNS1_14partition_implILS8_3ELb0ES6_jNS0_17counting_iteratorIjlEEPS9_SE_NS0_5tupleIJPjSE_EEENSF_IJSE_SE_EEES9_SG_JZNS1_25segmented_radix_sort_implINS0_14default_configELb0EPKhPhPKlPlN2at6native12_GLOBAL__N_18offset_tEEE10hipError_tPvRmT1_PNSt15iterator_traitsISY_E10value_typeET2_T3_PNSZ_IS14_E10value_typeET4_jRbjT5_S1A_jjP12ihipStream_tbEUljE_EEESV_SW_SX_S14_S18_S1A_T6_T7_T9_mT8_S1C_bDpT10_ENKUlT_T0_E_clISt17integral_constantIbLb0EES1O_IbLb1EEEEDaS1K_S1L_EUlS1K_E_NS1_11comp_targetILNS1_3genE4ELNS1_11target_archE910ELNS1_3gpuE8ELNS1_3repE0EEENS1_30default_config_static_selectorELNS0_4arch9wavefront6targetE0EEEvSY_.kd
    .uniform_work_group_size: 1
    .uses_dynamic_stack: false
    .vgpr_count:     0
    .vgpr_spill_count: 0
    .wavefront_size: 32
    .workgroup_processor_mode: 1
  - .args:
      - .offset:         0
        .size:           152
        .value_kind:     by_value
    .group_segment_fixed_size: 0
    .kernarg_segment_align: 8
    .kernarg_segment_size: 152
    .language:       OpenCL C
    .language_version:
      - 2
      - 0
    .max_flat_workgroup_size: 256
    .name:           _ZN7rocprim17ROCPRIM_400000_NS6detail17trampoline_kernelINS0_13select_configILj256ELj13ELNS0_17block_load_methodE3ELS4_3ELS4_3ELNS0_20block_scan_algorithmE0ELj4294967295EEENS1_25partition_config_selectorILNS1_17partition_subalgoE3EjNS0_10empty_typeEbEEZZNS1_14partition_implILS8_3ELb0ES6_jNS0_17counting_iteratorIjlEEPS9_SE_NS0_5tupleIJPjSE_EEENSF_IJSE_SE_EEES9_SG_JZNS1_25segmented_radix_sort_implINS0_14default_configELb0EPKhPhPKlPlN2at6native12_GLOBAL__N_18offset_tEEE10hipError_tPvRmT1_PNSt15iterator_traitsISY_E10value_typeET2_T3_PNSZ_IS14_E10value_typeET4_jRbjT5_S1A_jjP12ihipStream_tbEUljE_EEESV_SW_SX_S14_S18_S1A_T6_T7_T9_mT8_S1C_bDpT10_ENKUlT_T0_E_clISt17integral_constantIbLb0EES1O_IbLb1EEEEDaS1K_S1L_EUlS1K_E_NS1_11comp_targetILNS1_3genE3ELNS1_11target_archE908ELNS1_3gpuE7ELNS1_3repE0EEENS1_30default_config_static_selectorELNS0_4arch9wavefront6targetE0EEEvSY_
    .private_segment_fixed_size: 0
    .sgpr_count:     0
    .sgpr_spill_count: 0
    .symbol:         _ZN7rocprim17ROCPRIM_400000_NS6detail17trampoline_kernelINS0_13select_configILj256ELj13ELNS0_17block_load_methodE3ELS4_3ELS4_3ELNS0_20block_scan_algorithmE0ELj4294967295EEENS1_25partition_config_selectorILNS1_17partition_subalgoE3EjNS0_10empty_typeEbEEZZNS1_14partition_implILS8_3ELb0ES6_jNS0_17counting_iteratorIjlEEPS9_SE_NS0_5tupleIJPjSE_EEENSF_IJSE_SE_EEES9_SG_JZNS1_25segmented_radix_sort_implINS0_14default_configELb0EPKhPhPKlPlN2at6native12_GLOBAL__N_18offset_tEEE10hipError_tPvRmT1_PNSt15iterator_traitsISY_E10value_typeET2_T3_PNSZ_IS14_E10value_typeET4_jRbjT5_S1A_jjP12ihipStream_tbEUljE_EEESV_SW_SX_S14_S18_S1A_T6_T7_T9_mT8_S1C_bDpT10_ENKUlT_T0_E_clISt17integral_constantIbLb0EES1O_IbLb1EEEEDaS1K_S1L_EUlS1K_E_NS1_11comp_targetILNS1_3genE3ELNS1_11target_archE908ELNS1_3gpuE7ELNS1_3repE0EEENS1_30default_config_static_selectorELNS0_4arch9wavefront6targetE0EEEvSY_.kd
    .uniform_work_group_size: 1
    .uses_dynamic_stack: false
    .vgpr_count:     0
    .vgpr_spill_count: 0
    .wavefront_size: 32
    .workgroup_processor_mode: 1
  - .args:
      - .offset:         0
        .size:           152
        .value_kind:     by_value
    .group_segment_fixed_size: 0
    .kernarg_segment_align: 8
    .kernarg_segment_size: 152
    .language:       OpenCL C
    .language_version:
      - 2
      - 0
    .max_flat_workgroup_size: 256
    .name:           _ZN7rocprim17ROCPRIM_400000_NS6detail17trampoline_kernelINS0_13select_configILj256ELj13ELNS0_17block_load_methodE3ELS4_3ELS4_3ELNS0_20block_scan_algorithmE0ELj4294967295EEENS1_25partition_config_selectorILNS1_17partition_subalgoE3EjNS0_10empty_typeEbEEZZNS1_14partition_implILS8_3ELb0ES6_jNS0_17counting_iteratorIjlEEPS9_SE_NS0_5tupleIJPjSE_EEENSF_IJSE_SE_EEES9_SG_JZNS1_25segmented_radix_sort_implINS0_14default_configELb0EPKhPhPKlPlN2at6native12_GLOBAL__N_18offset_tEEE10hipError_tPvRmT1_PNSt15iterator_traitsISY_E10value_typeET2_T3_PNSZ_IS14_E10value_typeET4_jRbjT5_S1A_jjP12ihipStream_tbEUljE_EEESV_SW_SX_S14_S18_S1A_T6_T7_T9_mT8_S1C_bDpT10_ENKUlT_T0_E_clISt17integral_constantIbLb0EES1O_IbLb1EEEEDaS1K_S1L_EUlS1K_E_NS1_11comp_targetILNS1_3genE2ELNS1_11target_archE906ELNS1_3gpuE6ELNS1_3repE0EEENS1_30default_config_static_selectorELNS0_4arch9wavefront6targetE0EEEvSY_
    .private_segment_fixed_size: 0
    .sgpr_count:     0
    .sgpr_spill_count: 0
    .symbol:         _ZN7rocprim17ROCPRIM_400000_NS6detail17trampoline_kernelINS0_13select_configILj256ELj13ELNS0_17block_load_methodE3ELS4_3ELS4_3ELNS0_20block_scan_algorithmE0ELj4294967295EEENS1_25partition_config_selectorILNS1_17partition_subalgoE3EjNS0_10empty_typeEbEEZZNS1_14partition_implILS8_3ELb0ES6_jNS0_17counting_iteratorIjlEEPS9_SE_NS0_5tupleIJPjSE_EEENSF_IJSE_SE_EEES9_SG_JZNS1_25segmented_radix_sort_implINS0_14default_configELb0EPKhPhPKlPlN2at6native12_GLOBAL__N_18offset_tEEE10hipError_tPvRmT1_PNSt15iterator_traitsISY_E10value_typeET2_T3_PNSZ_IS14_E10value_typeET4_jRbjT5_S1A_jjP12ihipStream_tbEUljE_EEESV_SW_SX_S14_S18_S1A_T6_T7_T9_mT8_S1C_bDpT10_ENKUlT_T0_E_clISt17integral_constantIbLb0EES1O_IbLb1EEEEDaS1K_S1L_EUlS1K_E_NS1_11comp_targetILNS1_3genE2ELNS1_11target_archE906ELNS1_3gpuE6ELNS1_3repE0EEENS1_30default_config_static_selectorELNS0_4arch9wavefront6targetE0EEEvSY_.kd
    .uniform_work_group_size: 1
    .uses_dynamic_stack: false
    .vgpr_count:     0
    .vgpr_spill_count: 0
    .wavefront_size: 32
    .workgroup_processor_mode: 1
  - .args:
      - .offset:         0
        .size:           152
        .value_kind:     by_value
    .group_segment_fixed_size: 0
    .kernarg_segment_align: 8
    .kernarg_segment_size: 152
    .language:       OpenCL C
    .language_version:
      - 2
      - 0
    .max_flat_workgroup_size: 256
    .name:           _ZN7rocprim17ROCPRIM_400000_NS6detail17trampoline_kernelINS0_13select_configILj256ELj13ELNS0_17block_load_methodE3ELS4_3ELS4_3ELNS0_20block_scan_algorithmE0ELj4294967295EEENS1_25partition_config_selectorILNS1_17partition_subalgoE3EjNS0_10empty_typeEbEEZZNS1_14partition_implILS8_3ELb0ES6_jNS0_17counting_iteratorIjlEEPS9_SE_NS0_5tupleIJPjSE_EEENSF_IJSE_SE_EEES9_SG_JZNS1_25segmented_radix_sort_implINS0_14default_configELb0EPKhPhPKlPlN2at6native12_GLOBAL__N_18offset_tEEE10hipError_tPvRmT1_PNSt15iterator_traitsISY_E10value_typeET2_T3_PNSZ_IS14_E10value_typeET4_jRbjT5_S1A_jjP12ihipStream_tbEUljE_EEESV_SW_SX_S14_S18_S1A_T6_T7_T9_mT8_S1C_bDpT10_ENKUlT_T0_E_clISt17integral_constantIbLb0EES1O_IbLb1EEEEDaS1K_S1L_EUlS1K_E_NS1_11comp_targetILNS1_3genE10ELNS1_11target_archE1200ELNS1_3gpuE4ELNS1_3repE0EEENS1_30default_config_static_selectorELNS0_4arch9wavefront6targetE0EEEvSY_
    .private_segment_fixed_size: 0
    .sgpr_count:     0
    .sgpr_spill_count: 0
    .symbol:         _ZN7rocprim17ROCPRIM_400000_NS6detail17trampoline_kernelINS0_13select_configILj256ELj13ELNS0_17block_load_methodE3ELS4_3ELS4_3ELNS0_20block_scan_algorithmE0ELj4294967295EEENS1_25partition_config_selectorILNS1_17partition_subalgoE3EjNS0_10empty_typeEbEEZZNS1_14partition_implILS8_3ELb0ES6_jNS0_17counting_iteratorIjlEEPS9_SE_NS0_5tupleIJPjSE_EEENSF_IJSE_SE_EEES9_SG_JZNS1_25segmented_radix_sort_implINS0_14default_configELb0EPKhPhPKlPlN2at6native12_GLOBAL__N_18offset_tEEE10hipError_tPvRmT1_PNSt15iterator_traitsISY_E10value_typeET2_T3_PNSZ_IS14_E10value_typeET4_jRbjT5_S1A_jjP12ihipStream_tbEUljE_EEESV_SW_SX_S14_S18_S1A_T6_T7_T9_mT8_S1C_bDpT10_ENKUlT_T0_E_clISt17integral_constantIbLb0EES1O_IbLb1EEEEDaS1K_S1L_EUlS1K_E_NS1_11comp_targetILNS1_3genE10ELNS1_11target_archE1200ELNS1_3gpuE4ELNS1_3repE0EEENS1_30default_config_static_selectorELNS0_4arch9wavefront6targetE0EEEvSY_.kd
    .uniform_work_group_size: 1
    .uses_dynamic_stack: false
    .vgpr_count:     0
    .vgpr_spill_count: 0
    .wavefront_size: 32
    .workgroup_processor_mode: 1
  - .args:
      - .offset:         0
        .size:           152
        .value_kind:     by_value
    .group_segment_fixed_size: 13324
    .kernarg_segment_align: 8
    .kernarg_segment_size: 152
    .language:       OpenCL C
    .language_version:
      - 2
      - 0
    .max_flat_workgroup_size: 256
    .name:           _ZN7rocprim17ROCPRIM_400000_NS6detail17trampoline_kernelINS0_13select_configILj256ELj13ELNS0_17block_load_methodE3ELS4_3ELS4_3ELNS0_20block_scan_algorithmE0ELj4294967295EEENS1_25partition_config_selectorILNS1_17partition_subalgoE3EjNS0_10empty_typeEbEEZZNS1_14partition_implILS8_3ELb0ES6_jNS0_17counting_iteratorIjlEEPS9_SE_NS0_5tupleIJPjSE_EEENSF_IJSE_SE_EEES9_SG_JZNS1_25segmented_radix_sort_implINS0_14default_configELb0EPKhPhPKlPlN2at6native12_GLOBAL__N_18offset_tEEE10hipError_tPvRmT1_PNSt15iterator_traitsISY_E10value_typeET2_T3_PNSZ_IS14_E10value_typeET4_jRbjT5_S1A_jjP12ihipStream_tbEUljE_EEESV_SW_SX_S14_S18_S1A_T6_T7_T9_mT8_S1C_bDpT10_ENKUlT_T0_E_clISt17integral_constantIbLb0EES1O_IbLb1EEEEDaS1K_S1L_EUlS1K_E_NS1_11comp_targetILNS1_3genE9ELNS1_11target_archE1100ELNS1_3gpuE3ELNS1_3repE0EEENS1_30default_config_static_selectorELNS0_4arch9wavefront6targetE0EEEvSY_
    .private_segment_fixed_size: 0
    .sgpr_count:     28
    .sgpr_spill_count: 0
    .symbol:         _ZN7rocprim17ROCPRIM_400000_NS6detail17trampoline_kernelINS0_13select_configILj256ELj13ELNS0_17block_load_methodE3ELS4_3ELS4_3ELNS0_20block_scan_algorithmE0ELj4294967295EEENS1_25partition_config_selectorILNS1_17partition_subalgoE3EjNS0_10empty_typeEbEEZZNS1_14partition_implILS8_3ELb0ES6_jNS0_17counting_iteratorIjlEEPS9_SE_NS0_5tupleIJPjSE_EEENSF_IJSE_SE_EEES9_SG_JZNS1_25segmented_radix_sort_implINS0_14default_configELb0EPKhPhPKlPlN2at6native12_GLOBAL__N_18offset_tEEE10hipError_tPvRmT1_PNSt15iterator_traitsISY_E10value_typeET2_T3_PNSZ_IS14_E10value_typeET4_jRbjT5_S1A_jjP12ihipStream_tbEUljE_EEESV_SW_SX_S14_S18_S1A_T6_T7_T9_mT8_S1C_bDpT10_ENKUlT_T0_E_clISt17integral_constantIbLb0EES1O_IbLb1EEEEDaS1K_S1L_EUlS1K_E_NS1_11comp_targetILNS1_3genE9ELNS1_11target_archE1100ELNS1_3gpuE3ELNS1_3repE0EEENS1_30default_config_static_selectorELNS0_4arch9wavefront6targetE0EEEvSY_.kd
    .uniform_work_group_size: 1
    .uses_dynamic_stack: false
    .vgpr_count:     60
    .vgpr_spill_count: 0
    .wavefront_size: 32
    .workgroup_processor_mode: 1
  - .args:
      - .offset:         0
        .size:           152
        .value_kind:     by_value
    .group_segment_fixed_size: 0
    .kernarg_segment_align: 8
    .kernarg_segment_size: 152
    .language:       OpenCL C
    .language_version:
      - 2
      - 0
    .max_flat_workgroup_size: 256
    .name:           _ZN7rocprim17ROCPRIM_400000_NS6detail17trampoline_kernelINS0_13select_configILj256ELj13ELNS0_17block_load_methodE3ELS4_3ELS4_3ELNS0_20block_scan_algorithmE0ELj4294967295EEENS1_25partition_config_selectorILNS1_17partition_subalgoE3EjNS0_10empty_typeEbEEZZNS1_14partition_implILS8_3ELb0ES6_jNS0_17counting_iteratorIjlEEPS9_SE_NS0_5tupleIJPjSE_EEENSF_IJSE_SE_EEES9_SG_JZNS1_25segmented_radix_sort_implINS0_14default_configELb0EPKhPhPKlPlN2at6native12_GLOBAL__N_18offset_tEEE10hipError_tPvRmT1_PNSt15iterator_traitsISY_E10value_typeET2_T3_PNSZ_IS14_E10value_typeET4_jRbjT5_S1A_jjP12ihipStream_tbEUljE_EEESV_SW_SX_S14_S18_S1A_T6_T7_T9_mT8_S1C_bDpT10_ENKUlT_T0_E_clISt17integral_constantIbLb0EES1O_IbLb1EEEEDaS1K_S1L_EUlS1K_E_NS1_11comp_targetILNS1_3genE8ELNS1_11target_archE1030ELNS1_3gpuE2ELNS1_3repE0EEENS1_30default_config_static_selectorELNS0_4arch9wavefront6targetE0EEEvSY_
    .private_segment_fixed_size: 0
    .sgpr_count:     0
    .sgpr_spill_count: 0
    .symbol:         _ZN7rocprim17ROCPRIM_400000_NS6detail17trampoline_kernelINS0_13select_configILj256ELj13ELNS0_17block_load_methodE3ELS4_3ELS4_3ELNS0_20block_scan_algorithmE0ELj4294967295EEENS1_25partition_config_selectorILNS1_17partition_subalgoE3EjNS0_10empty_typeEbEEZZNS1_14partition_implILS8_3ELb0ES6_jNS0_17counting_iteratorIjlEEPS9_SE_NS0_5tupleIJPjSE_EEENSF_IJSE_SE_EEES9_SG_JZNS1_25segmented_radix_sort_implINS0_14default_configELb0EPKhPhPKlPlN2at6native12_GLOBAL__N_18offset_tEEE10hipError_tPvRmT1_PNSt15iterator_traitsISY_E10value_typeET2_T3_PNSZ_IS14_E10value_typeET4_jRbjT5_S1A_jjP12ihipStream_tbEUljE_EEESV_SW_SX_S14_S18_S1A_T6_T7_T9_mT8_S1C_bDpT10_ENKUlT_T0_E_clISt17integral_constantIbLb0EES1O_IbLb1EEEEDaS1K_S1L_EUlS1K_E_NS1_11comp_targetILNS1_3genE8ELNS1_11target_archE1030ELNS1_3gpuE2ELNS1_3repE0EEENS1_30default_config_static_selectorELNS0_4arch9wavefront6targetE0EEEvSY_.kd
    .uniform_work_group_size: 1
    .uses_dynamic_stack: false
    .vgpr_count:     0
    .vgpr_spill_count: 0
    .wavefront_size: 32
    .workgroup_processor_mode: 1
  - .args:
      - .offset:         0
        .size:           96
        .value_kind:     by_value
    .group_segment_fixed_size: 0
    .kernarg_segment_align: 8
    .kernarg_segment_size: 96
    .language:       OpenCL C
    .language_version:
      - 2
      - 0
    .max_flat_workgroup_size: 256
    .name:           _ZN7rocprim17ROCPRIM_400000_NS6detail17trampoline_kernelINS0_14default_configENS1_36segmented_radix_sort_config_selectorIhlEEZNS1_25segmented_radix_sort_implIS3_Lb0EPKhPhPKlPlN2at6native12_GLOBAL__N_18offset_tEEE10hipError_tPvRmT1_PNSt15iterator_traitsISK_E10value_typeET2_T3_PNSL_ISQ_E10value_typeET4_jRbjT5_SW_jjP12ihipStream_tbEUlT_E_NS1_11comp_targetILNS1_3genE0ELNS1_11target_archE4294967295ELNS1_3gpuE0ELNS1_3repE0EEENS1_30default_config_static_selectorELNS0_4arch9wavefront6targetE0EEEvSK_
    .private_segment_fixed_size: 0
    .sgpr_count:     0
    .sgpr_spill_count: 0
    .symbol:         _ZN7rocprim17ROCPRIM_400000_NS6detail17trampoline_kernelINS0_14default_configENS1_36segmented_radix_sort_config_selectorIhlEEZNS1_25segmented_radix_sort_implIS3_Lb0EPKhPhPKlPlN2at6native12_GLOBAL__N_18offset_tEEE10hipError_tPvRmT1_PNSt15iterator_traitsISK_E10value_typeET2_T3_PNSL_ISQ_E10value_typeET4_jRbjT5_SW_jjP12ihipStream_tbEUlT_E_NS1_11comp_targetILNS1_3genE0ELNS1_11target_archE4294967295ELNS1_3gpuE0ELNS1_3repE0EEENS1_30default_config_static_selectorELNS0_4arch9wavefront6targetE0EEEvSK_.kd
    .uniform_work_group_size: 1
    .uses_dynamic_stack: false
    .vgpr_count:     0
    .vgpr_spill_count: 0
    .wavefront_size: 32
    .workgroup_processor_mode: 1
  - .args:
      - .offset:         0
        .size:           96
        .value_kind:     by_value
    .group_segment_fixed_size: 0
    .kernarg_segment_align: 8
    .kernarg_segment_size: 96
    .language:       OpenCL C
    .language_version:
      - 2
      - 0
    .max_flat_workgroup_size: 256
    .name:           _ZN7rocprim17ROCPRIM_400000_NS6detail17trampoline_kernelINS0_14default_configENS1_36segmented_radix_sort_config_selectorIhlEEZNS1_25segmented_radix_sort_implIS3_Lb0EPKhPhPKlPlN2at6native12_GLOBAL__N_18offset_tEEE10hipError_tPvRmT1_PNSt15iterator_traitsISK_E10value_typeET2_T3_PNSL_ISQ_E10value_typeET4_jRbjT5_SW_jjP12ihipStream_tbEUlT_E_NS1_11comp_targetILNS1_3genE5ELNS1_11target_archE942ELNS1_3gpuE9ELNS1_3repE0EEENS1_30default_config_static_selectorELNS0_4arch9wavefront6targetE0EEEvSK_
    .private_segment_fixed_size: 0
    .sgpr_count:     0
    .sgpr_spill_count: 0
    .symbol:         _ZN7rocprim17ROCPRIM_400000_NS6detail17trampoline_kernelINS0_14default_configENS1_36segmented_radix_sort_config_selectorIhlEEZNS1_25segmented_radix_sort_implIS3_Lb0EPKhPhPKlPlN2at6native12_GLOBAL__N_18offset_tEEE10hipError_tPvRmT1_PNSt15iterator_traitsISK_E10value_typeET2_T3_PNSL_ISQ_E10value_typeET4_jRbjT5_SW_jjP12ihipStream_tbEUlT_E_NS1_11comp_targetILNS1_3genE5ELNS1_11target_archE942ELNS1_3gpuE9ELNS1_3repE0EEENS1_30default_config_static_selectorELNS0_4arch9wavefront6targetE0EEEvSK_.kd
    .uniform_work_group_size: 1
    .uses_dynamic_stack: false
    .vgpr_count:     0
    .vgpr_spill_count: 0
    .wavefront_size: 32
    .workgroup_processor_mode: 1
  - .args:
      - .offset:         0
        .size:           96
        .value_kind:     by_value
    .group_segment_fixed_size: 0
    .kernarg_segment_align: 8
    .kernarg_segment_size: 96
    .language:       OpenCL C
    .language_version:
      - 2
      - 0
    .max_flat_workgroup_size: 256
    .name:           _ZN7rocprim17ROCPRIM_400000_NS6detail17trampoline_kernelINS0_14default_configENS1_36segmented_radix_sort_config_selectorIhlEEZNS1_25segmented_radix_sort_implIS3_Lb0EPKhPhPKlPlN2at6native12_GLOBAL__N_18offset_tEEE10hipError_tPvRmT1_PNSt15iterator_traitsISK_E10value_typeET2_T3_PNSL_ISQ_E10value_typeET4_jRbjT5_SW_jjP12ihipStream_tbEUlT_E_NS1_11comp_targetILNS1_3genE4ELNS1_11target_archE910ELNS1_3gpuE8ELNS1_3repE0EEENS1_30default_config_static_selectorELNS0_4arch9wavefront6targetE0EEEvSK_
    .private_segment_fixed_size: 0
    .sgpr_count:     0
    .sgpr_spill_count: 0
    .symbol:         _ZN7rocprim17ROCPRIM_400000_NS6detail17trampoline_kernelINS0_14default_configENS1_36segmented_radix_sort_config_selectorIhlEEZNS1_25segmented_radix_sort_implIS3_Lb0EPKhPhPKlPlN2at6native12_GLOBAL__N_18offset_tEEE10hipError_tPvRmT1_PNSt15iterator_traitsISK_E10value_typeET2_T3_PNSL_ISQ_E10value_typeET4_jRbjT5_SW_jjP12ihipStream_tbEUlT_E_NS1_11comp_targetILNS1_3genE4ELNS1_11target_archE910ELNS1_3gpuE8ELNS1_3repE0EEENS1_30default_config_static_selectorELNS0_4arch9wavefront6targetE0EEEvSK_.kd
    .uniform_work_group_size: 1
    .uses_dynamic_stack: false
    .vgpr_count:     0
    .vgpr_spill_count: 0
    .wavefront_size: 32
    .workgroup_processor_mode: 1
  - .args:
      - .offset:         0
        .size:           96
        .value_kind:     by_value
    .group_segment_fixed_size: 0
    .kernarg_segment_align: 8
    .kernarg_segment_size: 96
    .language:       OpenCL C
    .language_version:
      - 2
      - 0
    .max_flat_workgroup_size: 256
    .name:           _ZN7rocprim17ROCPRIM_400000_NS6detail17trampoline_kernelINS0_14default_configENS1_36segmented_radix_sort_config_selectorIhlEEZNS1_25segmented_radix_sort_implIS3_Lb0EPKhPhPKlPlN2at6native12_GLOBAL__N_18offset_tEEE10hipError_tPvRmT1_PNSt15iterator_traitsISK_E10value_typeET2_T3_PNSL_ISQ_E10value_typeET4_jRbjT5_SW_jjP12ihipStream_tbEUlT_E_NS1_11comp_targetILNS1_3genE3ELNS1_11target_archE908ELNS1_3gpuE7ELNS1_3repE0EEENS1_30default_config_static_selectorELNS0_4arch9wavefront6targetE0EEEvSK_
    .private_segment_fixed_size: 0
    .sgpr_count:     0
    .sgpr_spill_count: 0
    .symbol:         _ZN7rocprim17ROCPRIM_400000_NS6detail17trampoline_kernelINS0_14default_configENS1_36segmented_radix_sort_config_selectorIhlEEZNS1_25segmented_radix_sort_implIS3_Lb0EPKhPhPKlPlN2at6native12_GLOBAL__N_18offset_tEEE10hipError_tPvRmT1_PNSt15iterator_traitsISK_E10value_typeET2_T3_PNSL_ISQ_E10value_typeET4_jRbjT5_SW_jjP12ihipStream_tbEUlT_E_NS1_11comp_targetILNS1_3genE3ELNS1_11target_archE908ELNS1_3gpuE7ELNS1_3repE0EEENS1_30default_config_static_selectorELNS0_4arch9wavefront6targetE0EEEvSK_.kd
    .uniform_work_group_size: 1
    .uses_dynamic_stack: false
    .vgpr_count:     0
    .vgpr_spill_count: 0
    .wavefront_size: 32
    .workgroup_processor_mode: 1
  - .args:
      - .offset:         0
        .size:           96
        .value_kind:     by_value
    .group_segment_fixed_size: 0
    .kernarg_segment_align: 8
    .kernarg_segment_size: 96
    .language:       OpenCL C
    .language_version:
      - 2
      - 0
    .max_flat_workgroup_size: 256
    .name:           _ZN7rocprim17ROCPRIM_400000_NS6detail17trampoline_kernelINS0_14default_configENS1_36segmented_radix_sort_config_selectorIhlEEZNS1_25segmented_radix_sort_implIS3_Lb0EPKhPhPKlPlN2at6native12_GLOBAL__N_18offset_tEEE10hipError_tPvRmT1_PNSt15iterator_traitsISK_E10value_typeET2_T3_PNSL_ISQ_E10value_typeET4_jRbjT5_SW_jjP12ihipStream_tbEUlT_E_NS1_11comp_targetILNS1_3genE2ELNS1_11target_archE906ELNS1_3gpuE6ELNS1_3repE0EEENS1_30default_config_static_selectorELNS0_4arch9wavefront6targetE0EEEvSK_
    .private_segment_fixed_size: 0
    .sgpr_count:     0
    .sgpr_spill_count: 0
    .symbol:         _ZN7rocprim17ROCPRIM_400000_NS6detail17trampoline_kernelINS0_14default_configENS1_36segmented_radix_sort_config_selectorIhlEEZNS1_25segmented_radix_sort_implIS3_Lb0EPKhPhPKlPlN2at6native12_GLOBAL__N_18offset_tEEE10hipError_tPvRmT1_PNSt15iterator_traitsISK_E10value_typeET2_T3_PNSL_ISQ_E10value_typeET4_jRbjT5_SW_jjP12ihipStream_tbEUlT_E_NS1_11comp_targetILNS1_3genE2ELNS1_11target_archE906ELNS1_3gpuE6ELNS1_3repE0EEENS1_30default_config_static_selectorELNS0_4arch9wavefront6targetE0EEEvSK_.kd
    .uniform_work_group_size: 1
    .uses_dynamic_stack: false
    .vgpr_count:     0
    .vgpr_spill_count: 0
    .wavefront_size: 32
    .workgroup_processor_mode: 1
  - .args:
      - .offset:         0
        .size:           96
        .value_kind:     by_value
    .group_segment_fixed_size: 0
    .kernarg_segment_align: 8
    .kernarg_segment_size: 96
    .language:       OpenCL C
    .language_version:
      - 2
      - 0
    .max_flat_workgroup_size: 256
    .name:           _ZN7rocprim17ROCPRIM_400000_NS6detail17trampoline_kernelINS0_14default_configENS1_36segmented_radix_sort_config_selectorIhlEEZNS1_25segmented_radix_sort_implIS3_Lb0EPKhPhPKlPlN2at6native12_GLOBAL__N_18offset_tEEE10hipError_tPvRmT1_PNSt15iterator_traitsISK_E10value_typeET2_T3_PNSL_ISQ_E10value_typeET4_jRbjT5_SW_jjP12ihipStream_tbEUlT_E_NS1_11comp_targetILNS1_3genE10ELNS1_11target_archE1201ELNS1_3gpuE5ELNS1_3repE0EEENS1_30default_config_static_selectorELNS0_4arch9wavefront6targetE0EEEvSK_
    .private_segment_fixed_size: 0
    .sgpr_count:     0
    .sgpr_spill_count: 0
    .symbol:         _ZN7rocprim17ROCPRIM_400000_NS6detail17trampoline_kernelINS0_14default_configENS1_36segmented_radix_sort_config_selectorIhlEEZNS1_25segmented_radix_sort_implIS3_Lb0EPKhPhPKlPlN2at6native12_GLOBAL__N_18offset_tEEE10hipError_tPvRmT1_PNSt15iterator_traitsISK_E10value_typeET2_T3_PNSL_ISQ_E10value_typeET4_jRbjT5_SW_jjP12ihipStream_tbEUlT_E_NS1_11comp_targetILNS1_3genE10ELNS1_11target_archE1201ELNS1_3gpuE5ELNS1_3repE0EEENS1_30default_config_static_selectorELNS0_4arch9wavefront6targetE0EEEvSK_.kd
    .uniform_work_group_size: 1
    .uses_dynamic_stack: false
    .vgpr_count:     0
    .vgpr_spill_count: 0
    .wavefront_size: 32
    .workgroup_processor_mode: 1
  - .args:
      - .offset:         0
        .size:           96
        .value_kind:     by_value
    .group_segment_fixed_size: 0
    .kernarg_segment_align: 8
    .kernarg_segment_size: 96
    .language:       OpenCL C
    .language_version:
      - 2
      - 0
    .max_flat_workgroup_size: 128
    .name:           _ZN7rocprim17ROCPRIM_400000_NS6detail17trampoline_kernelINS0_14default_configENS1_36segmented_radix_sort_config_selectorIhlEEZNS1_25segmented_radix_sort_implIS3_Lb0EPKhPhPKlPlN2at6native12_GLOBAL__N_18offset_tEEE10hipError_tPvRmT1_PNSt15iterator_traitsISK_E10value_typeET2_T3_PNSL_ISQ_E10value_typeET4_jRbjT5_SW_jjP12ihipStream_tbEUlT_E_NS1_11comp_targetILNS1_3genE10ELNS1_11target_archE1200ELNS1_3gpuE4ELNS1_3repE0EEENS1_30default_config_static_selectorELNS0_4arch9wavefront6targetE0EEEvSK_
    .private_segment_fixed_size: 0
    .sgpr_count:     0
    .sgpr_spill_count: 0
    .symbol:         _ZN7rocprim17ROCPRIM_400000_NS6detail17trampoline_kernelINS0_14default_configENS1_36segmented_radix_sort_config_selectorIhlEEZNS1_25segmented_radix_sort_implIS3_Lb0EPKhPhPKlPlN2at6native12_GLOBAL__N_18offset_tEEE10hipError_tPvRmT1_PNSt15iterator_traitsISK_E10value_typeET2_T3_PNSL_ISQ_E10value_typeET4_jRbjT5_SW_jjP12ihipStream_tbEUlT_E_NS1_11comp_targetILNS1_3genE10ELNS1_11target_archE1200ELNS1_3gpuE4ELNS1_3repE0EEENS1_30default_config_static_selectorELNS0_4arch9wavefront6targetE0EEEvSK_.kd
    .uniform_work_group_size: 1
    .uses_dynamic_stack: false
    .vgpr_count:     0
    .vgpr_spill_count: 0
    .wavefront_size: 32
    .workgroup_processor_mode: 1
  - .args:
      - .offset:         0
        .size:           96
        .value_kind:     by_value
      - .offset:         96
        .size:           4
        .value_kind:     hidden_block_count_x
      - .offset:         100
        .size:           4
        .value_kind:     hidden_block_count_y
      - .offset:         104
        .size:           4
        .value_kind:     hidden_block_count_z
      - .offset:         108
        .size:           2
        .value_kind:     hidden_group_size_x
      - .offset:         110
        .size:           2
        .value_kind:     hidden_group_size_y
      - .offset:         112
        .size:           2
        .value_kind:     hidden_group_size_z
      - .offset:         114
        .size:           2
        .value_kind:     hidden_remainder_x
      - .offset:         116
        .size:           2
        .value_kind:     hidden_remainder_y
      - .offset:         118
        .size:           2
        .value_kind:     hidden_remainder_z
      - .offset:         136
        .size:           8
        .value_kind:     hidden_global_offset_x
      - .offset:         144
        .size:           8
        .value_kind:     hidden_global_offset_y
      - .offset:         152
        .size:           8
        .value_kind:     hidden_global_offset_z
      - .offset:         160
        .size:           2
        .value_kind:     hidden_grid_dims
    .group_segment_fixed_size: 17440
    .kernarg_segment_align: 8
    .kernarg_segment_size: 352
    .language:       OpenCL C
    .language_version:
      - 2
      - 0
    .max_flat_workgroup_size: 256
    .name:           _ZN7rocprim17ROCPRIM_400000_NS6detail17trampoline_kernelINS0_14default_configENS1_36segmented_radix_sort_config_selectorIhlEEZNS1_25segmented_radix_sort_implIS3_Lb0EPKhPhPKlPlN2at6native12_GLOBAL__N_18offset_tEEE10hipError_tPvRmT1_PNSt15iterator_traitsISK_E10value_typeET2_T3_PNSL_ISQ_E10value_typeET4_jRbjT5_SW_jjP12ihipStream_tbEUlT_E_NS1_11comp_targetILNS1_3genE9ELNS1_11target_archE1100ELNS1_3gpuE3ELNS1_3repE0EEENS1_30default_config_static_selectorELNS0_4arch9wavefront6targetE0EEEvSK_
    .private_segment_fixed_size: 0
    .sgpr_count:     56
    .sgpr_spill_count: 0
    .symbol:         _ZN7rocprim17ROCPRIM_400000_NS6detail17trampoline_kernelINS0_14default_configENS1_36segmented_radix_sort_config_selectorIhlEEZNS1_25segmented_radix_sort_implIS3_Lb0EPKhPhPKlPlN2at6native12_GLOBAL__N_18offset_tEEE10hipError_tPvRmT1_PNSt15iterator_traitsISK_E10value_typeET2_T3_PNSL_ISQ_E10value_typeET4_jRbjT5_SW_jjP12ihipStream_tbEUlT_E_NS1_11comp_targetILNS1_3genE9ELNS1_11target_archE1100ELNS1_3gpuE3ELNS1_3repE0EEENS1_30default_config_static_selectorELNS0_4arch9wavefront6targetE0EEEvSK_.kd
    .uniform_work_group_size: 1
    .uses_dynamic_stack: false
    .vgpr_count:     193
    .vgpr_spill_count: 0
    .wavefront_size: 32
    .workgroup_processor_mode: 1
  - .args:
      - .offset:         0
        .size:           96
        .value_kind:     by_value
    .group_segment_fixed_size: 0
    .kernarg_segment_align: 8
    .kernarg_segment_size: 96
    .language:       OpenCL C
    .language_version:
      - 2
      - 0
    .max_flat_workgroup_size: 256
    .name:           _ZN7rocprim17ROCPRIM_400000_NS6detail17trampoline_kernelINS0_14default_configENS1_36segmented_radix_sort_config_selectorIhlEEZNS1_25segmented_radix_sort_implIS3_Lb0EPKhPhPKlPlN2at6native12_GLOBAL__N_18offset_tEEE10hipError_tPvRmT1_PNSt15iterator_traitsISK_E10value_typeET2_T3_PNSL_ISQ_E10value_typeET4_jRbjT5_SW_jjP12ihipStream_tbEUlT_E_NS1_11comp_targetILNS1_3genE8ELNS1_11target_archE1030ELNS1_3gpuE2ELNS1_3repE0EEENS1_30default_config_static_selectorELNS0_4arch9wavefront6targetE0EEEvSK_
    .private_segment_fixed_size: 0
    .sgpr_count:     0
    .sgpr_spill_count: 0
    .symbol:         _ZN7rocprim17ROCPRIM_400000_NS6detail17trampoline_kernelINS0_14default_configENS1_36segmented_radix_sort_config_selectorIhlEEZNS1_25segmented_radix_sort_implIS3_Lb0EPKhPhPKlPlN2at6native12_GLOBAL__N_18offset_tEEE10hipError_tPvRmT1_PNSt15iterator_traitsISK_E10value_typeET2_T3_PNSL_ISQ_E10value_typeET4_jRbjT5_SW_jjP12ihipStream_tbEUlT_E_NS1_11comp_targetILNS1_3genE8ELNS1_11target_archE1030ELNS1_3gpuE2ELNS1_3repE0EEENS1_30default_config_static_selectorELNS0_4arch9wavefront6targetE0EEEvSK_.kd
    .uniform_work_group_size: 1
    .uses_dynamic_stack: false
    .vgpr_count:     0
    .vgpr_spill_count: 0
    .wavefront_size: 32
    .workgroup_processor_mode: 1
  - .args:
      - .offset:         0
        .size:           88
        .value_kind:     by_value
    .group_segment_fixed_size: 0
    .kernarg_segment_align: 8
    .kernarg_segment_size: 88
    .language:       OpenCL C
    .language_version:
      - 2
      - 0
    .max_flat_workgroup_size: 256
    .name:           _ZN7rocprim17ROCPRIM_400000_NS6detail17trampoline_kernelINS0_14default_configENS1_36segmented_radix_sort_config_selectorIhlEEZNS1_25segmented_radix_sort_implIS3_Lb0EPKhPhPKlPlN2at6native12_GLOBAL__N_18offset_tEEE10hipError_tPvRmT1_PNSt15iterator_traitsISK_E10value_typeET2_T3_PNSL_ISQ_E10value_typeET4_jRbjT5_SW_jjP12ihipStream_tbEUlT_E0_NS1_11comp_targetILNS1_3genE0ELNS1_11target_archE4294967295ELNS1_3gpuE0ELNS1_3repE0EEENS1_60segmented_radix_sort_warp_sort_medium_config_static_selectorELNS0_4arch9wavefront6targetE0EEEvSK_
    .private_segment_fixed_size: 0
    .sgpr_count:     0
    .sgpr_spill_count: 0
    .symbol:         _ZN7rocprim17ROCPRIM_400000_NS6detail17trampoline_kernelINS0_14default_configENS1_36segmented_radix_sort_config_selectorIhlEEZNS1_25segmented_radix_sort_implIS3_Lb0EPKhPhPKlPlN2at6native12_GLOBAL__N_18offset_tEEE10hipError_tPvRmT1_PNSt15iterator_traitsISK_E10value_typeET2_T3_PNSL_ISQ_E10value_typeET4_jRbjT5_SW_jjP12ihipStream_tbEUlT_E0_NS1_11comp_targetILNS1_3genE0ELNS1_11target_archE4294967295ELNS1_3gpuE0ELNS1_3repE0EEENS1_60segmented_radix_sort_warp_sort_medium_config_static_selectorELNS0_4arch9wavefront6targetE0EEEvSK_.kd
    .uniform_work_group_size: 1
    .uses_dynamic_stack: false
    .vgpr_count:     0
    .vgpr_spill_count: 0
    .wavefront_size: 32
    .workgroup_processor_mode: 1
  - .args:
      - .offset:         0
        .size:           88
        .value_kind:     by_value
    .group_segment_fixed_size: 0
    .kernarg_segment_align: 8
    .kernarg_segment_size: 88
    .language:       OpenCL C
    .language_version:
      - 2
      - 0
    .max_flat_workgroup_size: 256
    .name:           _ZN7rocprim17ROCPRIM_400000_NS6detail17trampoline_kernelINS0_14default_configENS1_36segmented_radix_sort_config_selectorIhlEEZNS1_25segmented_radix_sort_implIS3_Lb0EPKhPhPKlPlN2at6native12_GLOBAL__N_18offset_tEEE10hipError_tPvRmT1_PNSt15iterator_traitsISK_E10value_typeET2_T3_PNSL_ISQ_E10value_typeET4_jRbjT5_SW_jjP12ihipStream_tbEUlT_E0_NS1_11comp_targetILNS1_3genE5ELNS1_11target_archE942ELNS1_3gpuE9ELNS1_3repE0EEENS1_60segmented_radix_sort_warp_sort_medium_config_static_selectorELNS0_4arch9wavefront6targetE0EEEvSK_
    .private_segment_fixed_size: 0
    .sgpr_count:     0
    .sgpr_spill_count: 0
    .symbol:         _ZN7rocprim17ROCPRIM_400000_NS6detail17trampoline_kernelINS0_14default_configENS1_36segmented_radix_sort_config_selectorIhlEEZNS1_25segmented_radix_sort_implIS3_Lb0EPKhPhPKlPlN2at6native12_GLOBAL__N_18offset_tEEE10hipError_tPvRmT1_PNSt15iterator_traitsISK_E10value_typeET2_T3_PNSL_ISQ_E10value_typeET4_jRbjT5_SW_jjP12ihipStream_tbEUlT_E0_NS1_11comp_targetILNS1_3genE5ELNS1_11target_archE942ELNS1_3gpuE9ELNS1_3repE0EEENS1_60segmented_radix_sort_warp_sort_medium_config_static_selectorELNS0_4arch9wavefront6targetE0EEEvSK_.kd
    .uniform_work_group_size: 1
    .uses_dynamic_stack: false
    .vgpr_count:     0
    .vgpr_spill_count: 0
    .wavefront_size: 32
    .workgroup_processor_mode: 1
  - .args:
      - .offset:         0
        .size:           88
        .value_kind:     by_value
    .group_segment_fixed_size: 0
    .kernarg_segment_align: 8
    .kernarg_segment_size: 88
    .language:       OpenCL C
    .language_version:
      - 2
      - 0
    .max_flat_workgroup_size: 256
    .name:           _ZN7rocprim17ROCPRIM_400000_NS6detail17trampoline_kernelINS0_14default_configENS1_36segmented_radix_sort_config_selectorIhlEEZNS1_25segmented_radix_sort_implIS3_Lb0EPKhPhPKlPlN2at6native12_GLOBAL__N_18offset_tEEE10hipError_tPvRmT1_PNSt15iterator_traitsISK_E10value_typeET2_T3_PNSL_ISQ_E10value_typeET4_jRbjT5_SW_jjP12ihipStream_tbEUlT_E0_NS1_11comp_targetILNS1_3genE4ELNS1_11target_archE910ELNS1_3gpuE8ELNS1_3repE0EEENS1_60segmented_radix_sort_warp_sort_medium_config_static_selectorELNS0_4arch9wavefront6targetE0EEEvSK_
    .private_segment_fixed_size: 0
    .sgpr_count:     0
    .sgpr_spill_count: 0
    .symbol:         _ZN7rocprim17ROCPRIM_400000_NS6detail17trampoline_kernelINS0_14default_configENS1_36segmented_radix_sort_config_selectorIhlEEZNS1_25segmented_radix_sort_implIS3_Lb0EPKhPhPKlPlN2at6native12_GLOBAL__N_18offset_tEEE10hipError_tPvRmT1_PNSt15iterator_traitsISK_E10value_typeET2_T3_PNSL_ISQ_E10value_typeET4_jRbjT5_SW_jjP12ihipStream_tbEUlT_E0_NS1_11comp_targetILNS1_3genE4ELNS1_11target_archE910ELNS1_3gpuE8ELNS1_3repE0EEENS1_60segmented_radix_sort_warp_sort_medium_config_static_selectorELNS0_4arch9wavefront6targetE0EEEvSK_.kd
    .uniform_work_group_size: 1
    .uses_dynamic_stack: false
    .vgpr_count:     0
    .vgpr_spill_count: 0
    .wavefront_size: 32
    .workgroup_processor_mode: 1
  - .args:
      - .offset:         0
        .size:           88
        .value_kind:     by_value
    .group_segment_fixed_size: 0
    .kernarg_segment_align: 8
    .kernarg_segment_size: 88
    .language:       OpenCL C
    .language_version:
      - 2
      - 0
    .max_flat_workgroup_size: 256
    .name:           _ZN7rocprim17ROCPRIM_400000_NS6detail17trampoline_kernelINS0_14default_configENS1_36segmented_radix_sort_config_selectorIhlEEZNS1_25segmented_radix_sort_implIS3_Lb0EPKhPhPKlPlN2at6native12_GLOBAL__N_18offset_tEEE10hipError_tPvRmT1_PNSt15iterator_traitsISK_E10value_typeET2_T3_PNSL_ISQ_E10value_typeET4_jRbjT5_SW_jjP12ihipStream_tbEUlT_E0_NS1_11comp_targetILNS1_3genE3ELNS1_11target_archE908ELNS1_3gpuE7ELNS1_3repE0EEENS1_60segmented_radix_sort_warp_sort_medium_config_static_selectorELNS0_4arch9wavefront6targetE0EEEvSK_
    .private_segment_fixed_size: 0
    .sgpr_count:     0
    .sgpr_spill_count: 0
    .symbol:         _ZN7rocprim17ROCPRIM_400000_NS6detail17trampoline_kernelINS0_14default_configENS1_36segmented_radix_sort_config_selectorIhlEEZNS1_25segmented_radix_sort_implIS3_Lb0EPKhPhPKlPlN2at6native12_GLOBAL__N_18offset_tEEE10hipError_tPvRmT1_PNSt15iterator_traitsISK_E10value_typeET2_T3_PNSL_ISQ_E10value_typeET4_jRbjT5_SW_jjP12ihipStream_tbEUlT_E0_NS1_11comp_targetILNS1_3genE3ELNS1_11target_archE908ELNS1_3gpuE7ELNS1_3repE0EEENS1_60segmented_radix_sort_warp_sort_medium_config_static_selectorELNS0_4arch9wavefront6targetE0EEEvSK_.kd
    .uniform_work_group_size: 1
    .uses_dynamic_stack: false
    .vgpr_count:     0
    .vgpr_spill_count: 0
    .wavefront_size: 32
    .workgroup_processor_mode: 1
  - .args:
      - .offset:         0
        .size:           88
        .value_kind:     by_value
    .group_segment_fixed_size: 0
    .kernarg_segment_align: 8
    .kernarg_segment_size: 88
    .language:       OpenCL C
    .language_version:
      - 2
      - 0
    .max_flat_workgroup_size: 256
    .name:           _ZN7rocprim17ROCPRIM_400000_NS6detail17trampoline_kernelINS0_14default_configENS1_36segmented_radix_sort_config_selectorIhlEEZNS1_25segmented_radix_sort_implIS3_Lb0EPKhPhPKlPlN2at6native12_GLOBAL__N_18offset_tEEE10hipError_tPvRmT1_PNSt15iterator_traitsISK_E10value_typeET2_T3_PNSL_ISQ_E10value_typeET4_jRbjT5_SW_jjP12ihipStream_tbEUlT_E0_NS1_11comp_targetILNS1_3genE2ELNS1_11target_archE906ELNS1_3gpuE6ELNS1_3repE0EEENS1_60segmented_radix_sort_warp_sort_medium_config_static_selectorELNS0_4arch9wavefront6targetE0EEEvSK_
    .private_segment_fixed_size: 0
    .sgpr_count:     0
    .sgpr_spill_count: 0
    .symbol:         _ZN7rocprim17ROCPRIM_400000_NS6detail17trampoline_kernelINS0_14default_configENS1_36segmented_radix_sort_config_selectorIhlEEZNS1_25segmented_radix_sort_implIS3_Lb0EPKhPhPKlPlN2at6native12_GLOBAL__N_18offset_tEEE10hipError_tPvRmT1_PNSt15iterator_traitsISK_E10value_typeET2_T3_PNSL_ISQ_E10value_typeET4_jRbjT5_SW_jjP12ihipStream_tbEUlT_E0_NS1_11comp_targetILNS1_3genE2ELNS1_11target_archE906ELNS1_3gpuE6ELNS1_3repE0EEENS1_60segmented_radix_sort_warp_sort_medium_config_static_selectorELNS0_4arch9wavefront6targetE0EEEvSK_.kd
    .uniform_work_group_size: 1
    .uses_dynamic_stack: false
    .vgpr_count:     0
    .vgpr_spill_count: 0
    .wavefront_size: 32
    .workgroup_processor_mode: 1
  - .args:
      - .offset:         0
        .size:           88
        .value_kind:     by_value
    .group_segment_fixed_size: 0
    .kernarg_segment_align: 8
    .kernarg_segment_size: 88
    .language:       OpenCL C
    .language_version:
      - 2
      - 0
    .max_flat_workgroup_size: 256
    .name:           _ZN7rocprim17ROCPRIM_400000_NS6detail17trampoline_kernelINS0_14default_configENS1_36segmented_radix_sort_config_selectorIhlEEZNS1_25segmented_radix_sort_implIS3_Lb0EPKhPhPKlPlN2at6native12_GLOBAL__N_18offset_tEEE10hipError_tPvRmT1_PNSt15iterator_traitsISK_E10value_typeET2_T3_PNSL_ISQ_E10value_typeET4_jRbjT5_SW_jjP12ihipStream_tbEUlT_E0_NS1_11comp_targetILNS1_3genE10ELNS1_11target_archE1201ELNS1_3gpuE5ELNS1_3repE0EEENS1_60segmented_radix_sort_warp_sort_medium_config_static_selectorELNS0_4arch9wavefront6targetE0EEEvSK_
    .private_segment_fixed_size: 0
    .sgpr_count:     0
    .sgpr_spill_count: 0
    .symbol:         _ZN7rocprim17ROCPRIM_400000_NS6detail17trampoline_kernelINS0_14default_configENS1_36segmented_radix_sort_config_selectorIhlEEZNS1_25segmented_radix_sort_implIS3_Lb0EPKhPhPKlPlN2at6native12_GLOBAL__N_18offset_tEEE10hipError_tPvRmT1_PNSt15iterator_traitsISK_E10value_typeET2_T3_PNSL_ISQ_E10value_typeET4_jRbjT5_SW_jjP12ihipStream_tbEUlT_E0_NS1_11comp_targetILNS1_3genE10ELNS1_11target_archE1201ELNS1_3gpuE5ELNS1_3repE0EEENS1_60segmented_radix_sort_warp_sort_medium_config_static_selectorELNS0_4arch9wavefront6targetE0EEEvSK_.kd
    .uniform_work_group_size: 1
    .uses_dynamic_stack: false
    .vgpr_count:     0
    .vgpr_spill_count: 0
    .wavefront_size: 32
    .workgroup_processor_mode: 1
  - .args:
      - .offset:         0
        .size:           88
        .value_kind:     by_value
    .group_segment_fixed_size: 0
    .kernarg_segment_align: 8
    .kernarg_segment_size: 88
    .language:       OpenCL C
    .language_version:
      - 2
      - 0
    .max_flat_workgroup_size: 256
    .name:           _ZN7rocprim17ROCPRIM_400000_NS6detail17trampoline_kernelINS0_14default_configENS1_36segmented_radix_sort_config_selectorIhlEEZNS1_25segmented_radix_sort_implIS3_Lb0EPKhPhPKlPlN2at6native12_GLOBAL__N_18offset_tEEE10hipError_tPvRmT1_PNSt15iterator_traitsISK_E10value_typeET2_T3_PNSL_ISQ_E10value_typeET4_jRbjT5_SW_jjP12ihipStream_tbEUlT_E0_NS1_11comp_targetILNS1_3genE10ELNS1_11target_archE1200ELNS1_3gpuE4ELNS1_3repE0EEENS1_60segmented_radix_sort_warp_sort_medium_config_static_selectorELNS0_4arch9wavefront6targetE0EEEvSK_
    .private_segment_fixed_size: 0
    .sgpr_count:     0
    .sgpr_spill_count: 0
    .symbol:         _ZN7rocprim17ROCPRIM_400000_NS6detail17trampoline_kernelINS0_14default_configENS1_36segmented_radix_sort_config_selectorIhlEEZNS1_25segmented_radix_sort_implIS3_Lb0EPKhPhPKlPlN2at6native12_GLOBAL__N_18offset_tEEE10hipError_tPvRmT1_PNSt15iterator_traitsISK_E10value_typeET2_T3_PNSL_ISQ_E10value_typeET4_jRbjT5_SW_jjP12ihipStream_tbEUlT_E0_NS1_11comp_targetILNS1_3genE10ELNS1_11target_archE1200ELNS1_3gpuE4ELNS1_3repE0EEENS1_60segmented_radix_sort_warp_sort_medium_config_static_selectorELNS0_4arch9wavefront6targetE0EEEvSK_.kd
    .uniform_work_group_size: 1
    .uses_dynamic_stack: false
    .vgpr_count:     0
    .vgpr_spill_count: 0
    .wavefront_size: 32
    .workgroup_processor_mode: 1
  - .args:
      - .offset:         0
        .size:           88
        .value_kind:     by_value
      - .offset:         88
        .size:           4
        .value_kind:     hidden_block_count_x
      - .offset:         92
        .size:           4
        .value_kind:     hidden_block_count_y
      - .offset:         96
        .size:           4
        .value_kind:     hidden_block_count_z
      - .offset:         100
        .size:           2
        .value_kind:     hidden_group_size_x
      - .offset:         102
        .size:           2
        .value_kind:     hidden_group_size_y
      - .offset:         104
        .size:           2
        .value_kind:     hidden_group_size_z
      - .offset:         106
        .size:           2
        .value_kind:     hidden_remainder_x
      - .offset:         108
        .size:           2
        .value_kind:     hidden_remainder_y
      - .offset:         110
        .size:           2
        .value_kind:     hidden_remainder_z
      - .offset:         128
        .size:           8
        .value_kind:     hidden_global_offset_x
      - .offset:         136
        .size:           8
        .value_kind:     hidden_global_offset_y
      - .offset:         144
        .size:           8
        .value_kind:     hidden_global_offset_z
      - .offset:         152
        .size:           2
        .value_kind:     hidden_grid_dims
    .group_segment_fixed_size: 18432
    .kernarg_segment_align: 8
    .kernarg_segment_size: 344
    .language:       OpenCL C
    .language_version:
      - 2
      - 0
    .max_flat_workgroup_size: 256
    .name:           _ZN7rocprim17ROCPRIM_400000_NS6detail17trampoline_kernelINS0_14default_configENS1_36segmented_radix_sort_config_selectorIhlEEZNS1_25segmented_radix_sort_implIS3_Lb0EPKhPhPKlPlN2at6native12_GLOBAL__N_18offset_tEEE10hipError_tPvRmT1_PNSt15iterator_traitsISK_E10value_typeET2_T3_PNSL_ISQ_E10value_typeET4_jRbjT5_SW_jjP12ihipStream_tbEUlT_E0_NS1_11comp_targetILNS1_3genE9ELNS1_11target_archE1100ELNS1_3gpuE3ELNS1_3repE0EEENS1_60segmented_radix_sort_warp_sort_medium_config_static_selectorELNS0_4arch9wavefront6targetE0EEEvSK_
    .private_segment_fixed_size: 0
    .sgpr_count:     46
    .sgpr_spill_count: 0
    .symbol:         _ZN7rocprim17ROCPRIM_400000_NS6detail17trampoline_kernelINS0_14default_configENS1_36segmented_radix_sort_config_selectorIhlEEZNS1_25segmented_radix_sort_implIS3_Lb0EPKhPhPKlPlN2at6native12_GLOBAL__N_18offset_tEEE10hipError_tPvRmT1_PNSt15iterator_traitsISK_E10value_typeET2_T3_PNSL_ISQ_E10value_typeET4_jRbjT5_SW_jjP12ihipStream_tbEUlT_E0_NS1_11comp_targetILNS1_3genE9ELNS1_11target_archE1100ELNS1_3gpuE3ELNS1_3repE0EEENS1_60segmented_radix_sort_warp_sort_medium_config_static_selectorELNS0_4arch9wavefront6targetE0EEEvSK_.kd
    .uniform_work_group_size: 1
    .uses_dynamic_stack: false
    .vgpr_count:     69
    .vgpr_spill_count: 0
    .wavefront_size: 32
    .workgroup_processor_mode: 1
  - .args:
      - .offset:         0
        .size:           88
        .value_kind:     by_value
    .group_segment_fixed_size: 0
    .kernarg_segment_align: 8
    .kernarg_segment_size: 88
    .language:       OpenCL C
    .language_version:
      - 2
      - 0
    .max_flat_workgroup_size: 256
    .name:           _ZN7rocprim17ROCPRIM_400000_NS6detail17trampoline_kernelINS0_14default_configENS1_36segmented_radix_sort_config_selectorIhlEEZNS1_25segmented_radix_sort_implIS3_Lb0EPKhPhPKlPlN2at6native12_GLOBAL__N_18offset_tEEE10hipError_tPvRmT1_PNSt15iterator_traitsISK_E10value_typeET2_T3_PNSL_ISQ_E10value_typeET4_jRbjT5_SW_jjP12ihipStream_tbEUlT_E0_NS1_11comp_targetILNS1_3genE8ELNS1_11target_archE1030ELNS1_3gpuE2ELNS1_3repE0EEENS1_60segmented_radix_sort_warp_sort_medium_config_static_selectorELNS0_4arch9wavefront6targetE0EEEvSK_
    .private_segment_fixed_size: 0
    .sgpr_count:     0
    .sgpr_spill_count: 0
    .symbol:         _ZN7rocprim17ROCPRIM_400000_NS6detail17trampoline_kernelINS0_14default_configENS1_36segmented_radix_sort_config_selectorIhlEEZNS1_25segmented_radix_sort_implIS3_Lb0EPKhPhPKlPlN2at6native12_GLOBAL__N_18offset_tEEE10hipError_tPvRmT1_PNSt15iterator_traitsISK_E10value_typeET2_T3_PNSL_ISQ_E10value_typeET4_jRbjT5_SW_jjP12ihipStream_tbEUlT_E0_NS1_11comp_targetILNS1_3genE8ELNS1_11target_archE1030ELNS1_3gpuE2ELNS1_3repE0EEENS1_60segmented_radix_sort_warp_sort_medium_config_static_selectorELNS0_4arch9wavefront6targetE0EEEvSK_.kd
    .uniform_work_group_size: 1
    .uses_dynamic_stack: false
    .vgpr_count:     0
    .vgpr_spill_count: 0
    .wavefront_size: 32
    .workgroup_processor_mode: 1
  - .args:
      - .offset:         0
        .size:           88
        .value_kind:     by_value
    .group_segment_fixed_size: 0
    .kernarg_segment_align: 8
    .kernarg_segment_size: 88
    .language:       OpenCL C
    .language_version:
      - 2
      - 0
    .max_flat_workgroup_size: 256
    .name:           _ZN7rocprim17ROCPRIM_400000_NS6detail17trampoline_kernelINS0_14default_configENS1_36segmented_radix_sort_config_selectorIhlEEZNS1_25segmented_radix_sort_implIS3_Lb0EPKhPhPKlPlN2at6native12_GLOBAL__N_18offset_tEEE10hipError_tPvRmT1_PNSt15iterator_traitsISK_E10value_typeET2_T3_PNSL_ISQ_E10value_typeET4_jRbjT5_SW_jjP12ihipStream_tbEUlT_E1_NS1_11comp_targetILNS1_3genE0ELNS1_11target_archE4294967295ELNS1_3gpuE0ELNS1_3repE0EEENS1_59segmented_radix_sort_warp_sort_small_config_static_selectorELNS0_4arch9wavefront6targetE0EEEvSK_
    .private_segment_fixed_size: 0
    .sgpr_count:     0
    .sgpr_spill_count: 0
    .symbol:         _ZN7rocprim17ROCPRIM_400000_NS6detail17trampoline_kernelINS0_14default_configENS1_36segmented_radix_sort_config_selectorIhlEEZNS1_25segmented_radix_sort_implIS3_Lb0EPKhPhPKlPlN2at6native12_GLOBAL__N_18offset_tEEE10hipError_tPvRmT1_PNSt15iterator_traitsISK_E10value_typeET2_T3_PNSL_ISQ_E10value_typeET4_jRbjT5_SW_jjP12ihipStream_tbEUlT_E1_NS1_11comp_targetILNS1_3genE0ELNS1_11target_archE4294967295ELNS1_3gpuE0ELNS1_3repE0EEENS1_59segmented_radix_sort_warp_sort_small_config_static_selectorELNS0_4arch9wavefront6targetE0EEEvSK_.kd
    .uniform_work_group_size: 1
    .uses_dynamic_stack: false
    .vgpr_count:     0
    .vgpr_spill_count: 0
    .wavefront_size: 32
    .workgroup_processor_mode: 1
  - .args:
      - .offset:         0
        .size:           88
        .value_kind:     by_value
    .group_segment_fixed_size: 0
    .kernarg_segment_align: 8
    .kernarg_segment_size: 88
    .language:       OpenCL C
    .language_version:
      - 2
      - 0
    .max_flat_workgroup_size: 256
    .name:           _ZN7rocprim17ROCPRIM_400000_NS6detail17trampoline_kernelINS0_14default_configENS1_36segmented_radix_sort_config_selectorIhlEEZNS1_25segmented_radix_sort_implIS3_Lb0EPKhPhPKlPlN2at6native12_GLOBAL__N_18offset_tEEE10hipError_tPvRmT1_PNSt15iterator_traitsISK_E10value_typeET2_T3_PNSL_ISQ_E10value_typeET4_jRbjT5_SW_jjP12ihipStream_tbEUlT_E1_NS1_11comp_targetILNS1_3genE5ELNS1_11target_archE942ELNS1_3gpuE9ELNS1_3repE0EEENS1_59segmented_radix_sort_warp_sort_small_config_static_selectorELNS0_4arch9wavefront6targetE0EEEvSK_
    .private_segment_fixed_size: 0
    .sgpr_count:     0
    .sgpr_spill_count: 0
    .symbol:         _ZN7rocprim17ROCPRIM_400000_NS6detail17trampoline_kernelINS0_14default_configENS1_36segmented_radix_sort_config_selectorIhlEEZNS1_25segmented_radix_sort_implIS3_Lb0EPKhPhPKlPlN2at6native12_GLOBAL__N_18offset_tEEE10hipError_tPvRmT1_PNSt15iterator_traitsISK_E10value_typeET2_T3_PNSL_ISQ_E10value_typeET4_jRbjT5_SW_jjP12ihipStream_tbEUlT_E1_NS1_11comp_targetILNS1_3genE5ELNS1_11target_archE942ELNS1_3gpuE9ELNS1_3repE0EEENS1_59segmented_radix_sort_warp_sort_small_config_static_selectorELNS0_4arch9wavefront6targetE0EEEvSK_.kd
    .uniform_work_group_size: 1
    .uses_dynamic_stack: false
    .vgpr_count:     0
    .vgpr_spill_count: 0
    .wavefront_size: 32
    .workgroup_processor_mode: 1
  - .args:
      - .offset:         0
        .size:           88
        .value_kind:     by_value
    .group_segment_fixed_size: 0
    .kernarg_segment_align: 8
    .kernarg_segment_size: 88
    .language:       OpenCL C
    .language_version:
      - 2
      - 0
    .max_flat_workgroup_size: 256
    .name:           _ZN7rocprim17ROCPRIM_400000_NS6detail17trampoline_kernelINS0_14default_configENS1_36segmented_radix_sort_config_selectorIhlEEZNS1_25segmented_radix_sort_implIS3_Lb0EPKhPhPKlPlN2at6native12_GLOBAL__N_18offset_tEEE10hipError_tPvRmT1_PNSt15iterator_traitsISK_E10value_typeET2_T3_PNSL_ISQ_E10value_typeET4_jRbjT5_SW_jjP12ihipStream_tbEUlT_E1_NS1_11comp_targetILNS1_3genE4ELNS1_11target_archE910ELNS1_3gpuE8ELNS1_3repE0EEENS1_59segmented_radix_sort_warp_sort_small_config_static_selectorELNS0_4arch9wavefront6targetE0EEEvSK_
    .private_segment_fixed_size: 0
    .sgpr_count:     0
    .sgpr_spill_count: 0
    .symbol:         _ZN7rocprim17ROCPRIM_400000_NS6detail17trampoline_kernelINS0_14default_configENS1_36segmented_radix_sort_config_selectorIhlEEZNS1_25segmented_radix_sort_implIS3_Lb0EPKhPhPKlPlN2at6native12_GLOBAL__N_18offset_tEEE10hipError_tPvRmT1_PNSt15iterator_traitsISK_E10value_typeET2_T3_PNSL_ISQ_E10value_typeET4_jRbjT5_SW_jjP12ihipStream_tbEUlT_E1_NS1_11comp_targetILNS1_3genE4ELNS1_11target_archE910ELNS1_3gpuE8ELNS1_3repE0EEENS1_59segmented_radix_sort_warp_sort_small_config_static_selectorELNS0_4arch9wavefront6targetE0EEEvSK_.kd
    .uniform_work_group_size: 1
    .uses_dynamic_stack: false
    .vgpr_count:     0
    .vgpr_spill_count: 0
    .wavefront_size: 32
    .workgroup_processor_mode: 1
  - .args:
      - .offset:         0
        .size:           88
        .value_kind:     by_value
    .group_segment_fixed_size: 0
    .kernarg_segment_align: 8
    .kernarg_segment_size: 88
    .language:       OpenCL C
    .language_version:
      - 2
      - 0
    .max_flat_workgroup_size: 256
    .name:           _ZN7rocprim17ROCPRIM_400000_NS6detail17trampoline_kernelINS0_14default_configENS1_36segmented_radix_sort_config_selectorIhlEEZNS1_25segmented_radix_sort_implIS3_Lb0EPKhPhPKlPlN2at6native12_GLOBAL__N_18offset_tEEE10hipError_tPvRmT1_PNSt15iterator_traitsISK_E10value_typeET2_T3_PNSL_ISQ_E10value_typeET4_jRbjT5_SW_jjP12ihipStream_tbEUlT_E1_NS1_11comp_targetILNS1_3genE3ELNS1_11target_archE908ELNS1_3gpuE7ELNS1_3repE0EEENS1_59segmented_radix_sort_warp_sort_small_config_static_selectorELNS0_4arch9wavefront6targetE0EEEvSK_
    .private_segment_fixed_size: 0
    .sgpr_count:     0
    .sgpr_spill_count: 0
    .symbol:         _ZN7rocprim17ROCPRIM_400000_NS6detail17trampoline_kernelINS0_14default_configENS1_36segmented_radix_sort_config_selectorIhlEEZNS1_25segmented_radix_sort_implIS3_Lb0EPKhPhPKlPlN2at6native12_GLOBAL__N_18offset_tEEE10hipError_tPvRmT1_PNSt15iterator_traitsISK_E10value_typeET2_T3_PNSL_ISQ_E10value_typeET4_jRbjT5_SW_jjP12ihipStream_tbEUlT_E1_NS1_11comp_targetILNS1_3genE3ELNS1_11target_archE908ELNS1_3gpuE7ELNS1_3repE0EEENS1_59segmented_radix_sort_warp_sort_small_config_static_selectorELNS0_4arch9wavefront6targetE0EEEvSK_.kd
    .uniform_work_group_size: 1
    .uses_dynamic_stack: false
    .vgpr_count:     0
    .vgpr_spill_count: 0
    .wavefront_size: 32
    .workgroup_processor_mode: 1
  - .args:
      - .offset:         0
        .size:           88
        .value_kind:     by_value
    .group_segment_fixed_size: 0
    .kernarg_segment_align: 8
    .kernarg_segment_size: 88
    .language:       OpenCL C
    .language_version:
      - 2
      - 0
    .max_flat_workgroup_size: 256
    .name:           _ZN7rocprim17ROCPRIM_400000_NS6detail17trampoline_kernelINS0_14default_configENS1_36segmented_radix_sort_config_selectorIhlEEZNS1_25segmented_radix_sort_implIS3_Lb0EPKhPhPKlPlN2at6native12_GLOBAL__N_18offset_tEEE10hipError_tPvRmT1_PNSt15iterator_traitsISK_E10value_typeET2_T3_PNSL_ISQ_E10value_typeET4_jRbjT5_SW_jjP12ihipStream_tbEUlT_E1_NS1_11comp_targetILNS1_3genE2ELNS1_11target_archE906ELNS1_3gpuE6ELNS1_3repE0EEENS1_59segmented_radix_sort_warp_sort_small_config_static_selectorELNS0_4arch9wavefront6targetE0EEEvSK_
    .private_segment_fixed_size: 0
    .sgpr_count:     0
    .sgpr_spill_count: 0
    .symbol:         _ZN7rocprim17ROCPRIM_400000_NS6detail17trampoline_kernelINS0_14default_configENS1_36segmented_radix_sort_config_selectorIhlEEZNS1_25segmented_radix_sort_implIS3_Lb0EPKhPhPKlPlN2at6native12_GLOBAL__N_18offset_tEEE10hipError_tPvRmT1_PNSt15iterator_traitsISK_E10value_typeET2_T3_PNSL_ISQ_E10value_typeET4_jRbjT5_SW_jjP12ihipStream_tbEUlT_E1_NS1_11comp_targetILNS1_3genE2ELNS1_11target_archE906ELNS1_3gpuE6ELNS1_3repE0EEENS1_59segmented_radix_sort_warp_sort_small_config_static_selectorELNS0_4arch9wavefront6targetE0EEEvSK_.kd
    .uniform_work_group_size: 1
    .uses_dynamic_stack: false
    .vgpr_count:     0
    .vgpr_spill_count: 0
    .wavefront_size: 32
    .workgroup_processor_mode: 1
  - .args:
      - .offset:         0
        .size:           88
        .value_kind:     by_value
    .group_segment_fixed_size: 0
    .kernarg_segment_align: 8
    .kernarg_segment_size: 88
    .language:       OpenCL C
    .language_version:
      - 2
      - 0
    .max_flat_workgroup_size: 256
    .name:           _ZN7rocprim17ROCPRIM_400000_NS6detail17trampoline_kernelINS0_14default_configENS1_36segmented_radix_sort_config_selectorIhlEEZNS1_25segmented_radix_sort_implIS3_Lb0EPKhPhPKlPlN2at6native12_GLOBAL__N_18offset_tEEE10hipError_tPvRmT1_PNSt15iterator_traitsISK_E10value_typeET2_T3_PNSL_ISQ_E10value_typeET4_jRbjT5_SW_jjP12ihipStream_tbEUlT_E1_NS1_11comp_targetILNS1_3genE10ELNS1_11target_archE1201ELNS1_3gpuE5ELNS1_3repE0EEENS1_59segmented_radix_sort_warp_sort_small_config_static_selectorELNS0_4arch9wavefront6targetE0EEEvSK_
    .private_segment_fixed_size: 0
    .sgpr_count:     0
    .sgpr_spill_count: 0
    .symbol:         _ZN7rocprim17ROCPRIM_400000_NS6detail17trampoline_kernelINS0_14default_configENS1_36segmented_radix_sort_config_selectorIhlEEZNS1_25segmented_radix_sort_implIS3_Lb0EPKhPhPKlPlN2at6native12_GLOBAL__N_18offset_tEEE10hipError_tPvRmT1_PNSt15iterator_traitsISK_E10value_typeET2_T3_PNSL_ISQ_E10value_typeET4_jRbjT5_SW_jjP12ihipStream_tbEUlT_E1_NS1_11comp_targetILNS1_3genE10ELNS1_11target_archE1201ELNS1_3gpuE5ELNS1_3repE0EEENS1_59segmented_radix_sort_warp_sort_small_config_static_selectorELNS0_4arch9wavefront6targetE0EEEvSK_.kd
    .uniform_work_group_size: 1
    .uses_dynamic_stack: false
    .vgpr_count:     0
    .vgpr_spill_count: 0
    .wavefront_size: 32
    .workgroup_processor_mode: 1
  - .args:
      - .offset:         0
        .size:           88
        .value_kind:     by_value
    .group_segment_fixed_size: 0
    .kernarg_segment_align: 8
    .kernarg_segment_size: 88
    .language:       OpenCL C
    .language_version:
      - 2
      - 0
    .max_flat_workgroup_size: 256
    .name:           _ZN7rocprim17ROCPRIM_400000_NS6detail17trampoline_kernelINS0_14default_configENS1_36segmented_radix_sort_config_selectorIhlEEZNS1_25segmented_radix_sort_implIS3_Lb0EPKhPhPKlPlN2at6native12_GLOBAL__N_18offset_tEEE10hipError_tPvRmT1_PNSt15iterator_traitsISK_E10value_typeET2_T3_PNSL_ISQ_E10value_typeET4_jRbjT5_SW_jjP12ihipStream_tbEUlT_E1_NS1_11comp_targetILNS1_3genE10ELNS1_11target_archE1200ELNS1_3gpuE4ELNS1_3repE0EEENS1_59segmented_radix_sort_warp_sort_small_config_static_selectorELNS0_4arch9wavefront6targetE0EEEvSK_
    .private_segment_fixed_size: 0
    .sgpr_count:     0
    .sgpr_spill_count: 0
    .symbol:         _ZN7rocprim17ROCPRIM_400000_NS6detail17trampoline_kernelINS0_14default_configENS1_36segmented_radix_sort_config_selectorIhlEEZNS1_25segmented_radix_sort_implIS3_Lb0EPKhPhPKlPlN2at6native12_GLOBAL__N_18offset_tEEE10hipError_tPvRmT1_PNSt15iterator_traitsISK_E10value_typeET2_T3_PNSL_ISQ_E10value_typeET4_jRbjT5_SW_jjP12ihipStream_tbEUlT_E1_NS1_11comp_targetILNS1_3genE10ELNS1_11target_archE1200ELNS1_3gpuE4ELNS1_3repE0EEENS1_59segmented_radix_sort_warp_sort_small_config_static_selectorELNS0_4arch9wavefront6targetE0EEEvSK_.kd
    .uniform_work_group_size: 1
    .uses_dynamic_stack: false
    .vgpr_count:     0
    .vgpr_spill_count: 0
    .wavefront_size: 32
    .workgroup_processor_mode: 1
  - .args:
      - .offset:         0
        .size:           88
        .value_kind:     by_value
      - .offset:         88
        .size:           4
        .value_kind:     hidden_block_count_x
      - .offset:         92
        .size:           4
        .value_kind:     hidden_block_count_y
      - .offset:         96
        .size:           4
        .value_kind:     hidden_block_count_z
      - .offset:         100
        .size:           2
        .value_kind:     hidden_group_size_x
      - .offset:         102
        .size:           2
        .value_kind:     hidden_group_size_y
      - .offset:         104
        .size:           2
        .value_kind:     hidden_group_size_z
      - .offset:         106
        .size:           2
        .value_kind:     hidden_remainder_x
      - .offset:         108
        .size:           2
        .value_kind:     hidden_remainder_y
      - .offset:         110
        .size:           2
        .value_kind:     hidden_remainder_z
      - .offset:         128
        .size:           8
        .value_kind:     hidden_global_offset_x
      - .offset:         136
        .size:           8
        .value_kind:     hidden_global_offset_y
      - .offset:         144
        .size:           8
        .value_kind:     hidden_global_offset_z
      - .offset:         152
        .size:           2
        .value_kind:     hidden_grid_dims
    .group_segment_fixed_size: 9216
    .kernarg_segment_align: 8
    .kernarg_segment_size: 344
    .language:       OpenCL C
    .language_version:
      - 2
      - 0
    .max_flat_workgroup_size: 256
    .name:           _ZN7rocprim17ROCPRIM_400000_NS6detail17trampoline_kernelINS0_14default_configENS1_36segmented_radix_sort_config_selectorIhlEEZNS1_25segmented_radix_sort_implIS3_Lb0EPKhPhPKlPlN2at6native12_GLOBAL__N_18offset_tEEE10hipError_tPvRmT1_PNSt15iterator_traitsISK_E10value_typeET2_T3_PNSL_ISQ_E10value_typeET4_jRbjT5_SW_jjP12ihipStream_tbEUlT_E1_NS1_11comp_targetILNS1_3genE9ELNS1_11target_archE1100ELNS1_3gpuE3ELNS1_3repE0EEENS1_59segmented_radix_sort_warp_sort_small_config_static_selectorELNS0_4arch9wavefront6targetE0EEEvSK_
    .private_segment_fixed_size: 0
    .sgpr_count:     35
    .sgpr_spill_count: 0
    .symbol:         _ZN7rocprim17ROCPRIM_400000_NS6detail17trampoline_kernelINS0_14default_configENS1_36segmented_radix_sort_config_selectorIhlEEZNS1_25segmented_radix_sort_implIS3_Lb0EPKhPhPKlPlN2at6native12_GLOBAL__N_18offset_tEEE10hipError_tPvRmT1_PNSt15iterator_traitsISK_E10value_typeET2_T3_PNSL_ISQ_E10value_typeET4_jRbjT5_SW_jjP12ihipStream_tbEUlT_E1_NS1_11comp_targetILNS1_3genE9ELNS1_11target_archE1100ELNS1_3gpuE3ELNS1_3repE0EEENS1_59segmented_radix_sort_warp_sort_small_config_static_selectorELNS0_4arch9wavefront6targetE0EEEvSK_.kd
    .uniform_work_group_size: 1
    .uses_dynamic_stack: false
    .vgpr_count:     65
    .vgpr_spill_count: 0
    .wavefront_size: 32
    .workgroup_processor_mode: 1
  - .args:
      - .offset:         0
        .size:           88
        .value_kind:     by_value
    .group_segment_fixed_size: 0
    .kernarg_segment_align: 8
    .kernarg_segment_size: 88
    .language:       OpenCL C
    .language_version:
      - 2
      - 0
    .max_flat_workgroup_size: 256
    .name:           _ZN7rocprim17ROCPRIM_400000_NS6detail17trampoline_kernelINS0_14default_configENS1_36segmented_radix_sort_config_selectorIhlEEZNS1_25segmented_radix_sort_implIS3_Lb0EPKhPhPKlPlN2at6native12_GLOBAL__N_18offset_tEEE10hipError_tPvRmT1_PNSt15iterator_traitsISK_E10value_typeET2_T3_PNSL_ISQ_E10value_typeET4_jRbjT5_SW_jjP12ihipStream_tbEUlT_E1_NS1_11comp_targetILNS1_3genE8ELNS1_11target_archE1030ELNS1_3gpuE2ELNS1_3repE0EEENS1_59segmented_radix_sort_warp_sort_small_config_static_selectorELNS0_4arch9wavefront6targetE0EEEvSK_
    .private_segment_fixed_size: 0
    .sgpr_count:     0
    .sgpr_spill_count: 0
    .symbol:         _ZN7rocprim17ROCPRIM_400000_NS6detail17trampoline_kernelINS0_14default_configENS1_36segmented_radix_sort_config_selectorIhlEEZNS1_25segmented_radix_sort_implIS3_Lb0EPKhPhPKlPlN2at6native12_GLOBAL__N_18offset_tEEE10hipError_tPvRmT1_PNSt15iterator_traitsISK_E10value_typeET2_T3_PNSL_ISQ_E10value_typeET4_jRbjT5_SW_jjP12ihipStream_tbEUlT_E1_NS1_11comp_targetILNS1_3genE8ELNS1_11target_archE1030ELNS1_3gpuE2ELNS1_3repE0EEENS1_59segmented_radix_sort_warp_sort_small_config_static_selectorELNS0_4arch9wavefront6targetE0EEEvSK_.kd
    .uniform_work_group_size: 1
    .uses_dynamic_stack: false
    .vgpr_count:     0
    .vgpr_spill_count: 0
    .wavefront_size: 32
    .workgroup_processor_mode: 1
  - .args:
      - .offset:         0
        .size:           80
        .value_kind:     by_value
    .group_segment_fixed_size: 0
    .kernarg_segment_align: 8
    .kernarg_segment_size: 80
    .language:       OpenCL C
    .language_version:
      - 2
      - 0
    .max_flat_workgroup_size: 256
    .name:           _ZN7rocprim17ROCPRIM_400000_NS6detail17trampoline_kernelINS0_14default_configENS1_36segmented_radix_sort_config_selectorIhlEEZNS1_25segmented_radix_sort_implIS3_Lb0EPKhPhPKlPlN2at6native12_GLOBAL__N_18offset_tEEE10hipError_tPvRmT1_PNSt15iterator_traitsISK_E10value_typeET2_T3_PNSL_ISQ_E10value_typeET4_jRbjT5_SW_jjP12ihipStream_tbEUlT_E2_NS1_11comp_targetILNS1_3genE0ELNS1_11target_archE4294967295ELNS1_3gpuE0ELNS1_3repE0EEENS1_30default_config_static_selectorELNS0_4arch9wavefront6targetE0EEEvSK_
    .private_segment_fixed_size: 0
    .sgpr_count:     0
    .sgpr_spill_count: 0
    .symbol:         _ZN7rocprim17ROCPRIM_400000_NS6detail17trampoline_kernelINS0_14default_configENS1_36segmented_radix_sort_config_selectorIhlEEZNS1_25segmented_radix_sort_implIS3_Lb0EPKhPhPKlPlN2at6native12_GLOBAL__N_18offset_tEEE10hipError_tPvRmT1_PNSt15iterator_traitsISK_E10value_typeET2_T3_PNSL_ISQ_E10value_typeET4_jRbjT5_SW_jjP12ihipStream_tbEUlT_E2_NS1_11comp_targetILNS1_3genE0ELNS1_11target_archE4294967295ELNS1_3gpuE0ELNS1_3repE0EEENS1_30default_config_static_selectorELNS0_4arch9wavefront6targetE0EEEvSK_.kd
    .uniform_work_group_size: 1
    .uses_dynamic_stack: false
    .vgpr_count:     0
    .vgpr_spill_count: 0
    .wavefront_size: 32
    .workgroup_processor_mode: 1
  - .args:
      - .offset:         0
        .size:           80
        .value_kind:     by_value
    .group_segment_fixed_size: 0
    .kernarg_segment_align: 8
    .kernarg_segment_size: 80
    .language:       OpenCL C
    .language_version:
      - 2
      - 0
    .max_flat_workgroup_size: 256
    .name:           _ZN7rocprim17ROCPRIM_400000_NS6detail17trampoline_kernelINS0_14default_configENS1_36segmented_radix_sort_config_selectorIhlEEZNS1_25segmented_radix_sort_implIS3_Lb0EPKhPhPKlPlN2at6native12_GLOBAL__N_18offset_tEEE10hipError_tPvRmT1_PNSt15iterator_traitsISK_E10value_typeET2_T3_PNSL_ISQ_E10value_typeET4_jRbjT5_SW_jjP12ihipStream_tbEUlT_E2_NS1_11comp_targetILNS1_3genE5ELNS1_11target_archE942ELNS1_3gpuE9ELNS1_3repE0EEENS1_30default_config_static_selectorELNS0_4arch9wavefront6targetE0EEEvSK_
    .private_segment_fixed_size: 0
    .sgpr_count:     0
    .sgpr_spill_count: 0
    .symbol:         _ZN7rocprim17ROCPRIM_400000_NS6detail17trampoline_kernelINS0_14default_configENS1_36segmented_radix_sort_config_selectorIhlEEZNS1_25segmented_radix_sort_implIS3_Lb0EPKhPhPKlPlN2at6native12_GLOBAL__N_18offset_tEEE10hipError_tPvRmT1_PNSt15iterator_traitsISK_E10value_typeET2_T3_PNSL_ISQ_E10value_typeET4_jRbjT5_SW_jjP12ihipStream_tbEUlT_E2_NS1_11comp_targetILNS1_3genE5ELNS1_11target_archE942ELNS1_3gpuE9ELNS1_3repE0EEENS1_30default_config_static_selectorELNS0_4arch9wavefront6targetE0EEEvSK_.kd
    .uniform_work_group_size: 1
    .uses_dynamic_stack: false
    .vgpr_count:     0
    .vgpr_spill_count: 0
    .wavefront_size: 32
    .workgroup_processor_mode: 1
  - .args:
      - .offset:         0
        .size:           80
        .value_kind:     by_value
    .group_segment_fixed_size: 0
    .kernarg_segment_align: 8
    .kernarg_segment_size: 80
    .language:       OpenCL C
    .language_version:
      - 2
      - 0
    .max_flat_workgroup_size: 256
    .name:           _ZN7rocprim17ROCPRIM_400000_NS6detail17trampoline_kernelINS0_14default_configENS1_36segmented_radix_sort_config_selectorIhlEEZNS1_25segmented_radix_sort_implIS3_Lb0EPKhPhPKlPlN2at6native12_GLOBAL__N_18offset_tEEE10hipError_tPvRmT1_PNSt15iterator_traitsISK_E10value_typeET2_T3_PNSL_ISQ_E10value_typeET4_jRbjT5_SW_jjP12ihipStream_tbEUlT_E2_NS1_11comp_targetILNS1_3genE4ELNS1_11target_archE910ELNS1_3gpuE8ELNS1_3repE0EEENS1_30default_config_static_selectorELNS0_4arch9wavefront6targetE0EEEvSK_
    .private_segment_fixed_size: 0
    .sgpr_count:     0
    .sgpr_spill_count: 0
    .symbol:         _ZN7rocprim17ROCPRIM_400000_NS6detail17trampoline_kernelINS0_14default_configENS1_36segmented_radix_sort_config_selectorIhlEEZNS1_25segmented_radix_sort_implIS3_Lb0EPKhPhPKlPlN2at6native12_GLOBAL__N_18offset_tEEE10hipError_tPvRmT1_PNSt15iterator_traitsISK_E10value_typeET2_T3_PNSL_ISQ_E10value_typeET4_jRbjT5_SW_jjP12ihipStream_tbEUlT_E2_NS1_11comp_targetILNS1_3genE4ELNS1_11target_archE910ELNS1_3gpuE8ELNS1_3repE0EEENS1_30default_config_static_selectorELNS0_4arch9wavefront6targetE0EEEvSK_.kd
    .uniform_work_group_size: 1
    .uses_dynamic_stack: false
    .vgpr_count:     0
    .vgpr_spill_count: 0
    .wavefront_size: 32
    .workgroup_processor_mode: 1
  - .args:
      - .offset:         0
        .size:           80
        .value_kind:     by_value
    .group_segment_fixed_size: 0
    .kernarg_segment_align: 8
    .kernarg_segment_size: 80
    .language:       OpenCL C
    .language_version:
      - 2
      - 0
    .max_flat_workgroup_size: 256
    .name:           _ZN7rocprim17ROCPRIM_400000_NS6detail17trampoline_kernelINS0_14default_configENS1_36segmented_radix_sort_config_selectorIhlEEZNS1_25segmented_radix_sort_implIS3_Lb0EPKhPhPKlPlN2at6native12_GLOBAL__N_18offset_tEEE10hipError_tPvRmT1_PNSt15iterator_traitsISK_E10value_typeET2_T3_PNSL_ISQ_E10value_typeET4_jRbjT5_SW_jjP12ihipStream_tbEUlT_E2_NS1_11comp_targetILNS1_3genE3ELNS1_11target_archE908ELNS1_3gpuE7ELNS1_3repE0EEENS1_30default_config_static_selectorELNS0_4arch9wavefront6targetE0EEEvSK_
    .private_segment_fixed_size: 0
    .sgpr_count:     0
    .sgpr_spill_count: 0
    .symbol:         _ZN7rocprim17ROCPRIM_400000_NS6detail17trampoline_kernelINS0_14default_configENS1_36segmented_radix_sort_config_selectorIhlEEZNS1_25segmented_radix_sort_implIS3_Lb0EPKhPhPKlPlN2at6native12_GLOBAL__N_18offset_tEEE10hipError_tPvRmT1_PNSt15iterator_traitsISK_E10value_typeET2_T3_PNSL_ISQ_E10value_typeET4_jRbjT5_SW_jjP12ihipStream_tbEUlT_E2_NS1_11comp_targetILNS1_3genE3ELNS1_11target_archE908ELNS1_3gpuE7ELNS1_3repE0EEENS1_30default_config_static_selectorELNS0_4arch9wavefront6targetE0EEEvSK_.kd
    .uniform_work_group_size: 1
    .uses_dynamic_stack: false
    .vgpr_count:     0
    .vgpr_spill_count: 0
    .wavefront_size: 32
    .workgroup_processor_mode: 1
  - .args:
      - .offset:         0
        .size:           80
        .value_kind:     by_value
    .group_segment_fixed_size: 0
    .kernarg_segment_align: 8
    .kernarg_segment_size: 80
    .language:       OpenCL C
    .language_version:
      - 2
      - 0
    .max_flat_workgroup_size: 256
    .name:           _ZN7rocprim17ROCPRIM_400000_NS6detail17trampoline_kernelINS0_14default_configENS1_36segmented_radix_sort_config_selectorIhlEEZNS1_25segmented_radix_sort_implIS3_Lb0EPKhPhPKlPlN2at6native12_GLOBAL__N_18offset_tEEE10hipError_tPvRmT1_PNSt15iterator_traitsISK_E10value_typeET2_T3_PNSL_ISQ_E10value_typeET4_jRbjT5_SW_jjP12ihipStream_tbEUlT_E2_NS1_11comp_targetILNS1_3genE2ELNS1_11target_archE906ELNS1_3gpuE6ELNS1_3repE0EEENS1_30default_config_static_selectorELNS0_4arch9wavefront6targetE0EEEvSK_
    .private_segment_fixed_size: 0
    .sgpr_count:     0
    .sgpr_spill_count: 0
    .symbol:         _ZN7rocprim17ROCPRIM_400000_NS6detail17trampoline_kernelINS0_14default_configENS1_36segmented_radix_sort_config_selectorIhlEEZNS1_25segmented_radix_sort_implIS3_Lb0EPKhPhPKlPlN2at6native12_GLOBAL__N_18offset_tEEE10hipError_tPvRmT1_PNSt15iterator_traitsISK_E10value_typeET2_T3_PNSL_ISQ_E10value_typeET4_jRbjT5_SW_jjP12ihipStream_tbEUlT_E2_NS1_11comp_targetILNS1_3genE2ELNS1_11target_archE906ELNS1_3gpuE6ELNS1_3repE0EEENS1_30default_config_static_selectorELNS0_4arch9wavefront6targetE0EEEvSK_.kd
    .uniform_work_group_size: 1
    .uses_dynamic_stack: false
    .vgpr_count:     0
    .vgpr_spill_count: 0
    .wavefront_size: 32
    .workgroup_processor_mode: 1
  - .args:
      - .offset:         0
        .size:           80
        .value_kind:     by_value
    .group_segment_fixed_size: 0
    .kernarg_segment_align: 8
    .kernarg_segment_size: 80
    .language:       OpenCL C
    .language_version:
      - 2
      - 0
    .max_flat_workgroup_size: 256
    .name:           _ZN7rocprim17ROCPRIM_400000_NS6detail17trampoline_kernelINS0_14default_configENS1_36segmented_radix_sort_config_selectorIhlEEZNS1_25segmented_radix_sort_implIS3_Lb0EPKhPhPKlPlN2at6native12_GLOBAL__N_18offset_tEEE10hipError_tPvRmT1_PNSt15iterator_traitsISK_E10value_typeET2_T3_PNSL_ISQ_E10value_typeET4_jRbjT5_SW_jjP12ihipStream_tbEUlT_E2_NS1_11comp_targetILNS1_3genE10ELNS1_11target_archE1201ELNS1_3gpuE5ELNS1_3repE0EEENS1_30default_config_static_selectorELNS0_4arch9wavefront6targetE0EEEvSK_
    .private_segment_fixed_size: 0
    .sgpr_count:     0
    .sgpr_spill_count: 0
    .symbol:         _ZN7rocprim17ROCPRIM_400000_NS6detail17trampoline_kernelINS0_14default_configENS1_36segmented_radix_sort_config_selectorIhlEEZNS1_25segmented_radix_sort_implIS3_Lb0EPKhPhPKlPlN2at6native12_GLOBAL__N_18offset_tEEE10hipError_tPvRmT1_PNSt15iterator_traitsISK_E10value_typeET2_T3_PNSL_ISQ_E10value_typeET4_jRbjT5_SW_jjP12ihipStream_tbEUlT_E2_NS1_11comp_targetILNS1_3genE10ELNS1_11target_archE1201ELNS1_3gpuE5ELNS1_3repE0EEENS1_30default_config_static_selectorELNS0_4arch9wavefront6targetE0EEEvSK_.kd
    .uniform_work_group_size: 1
    .uses_dynamic_stack: false
    .vgpr_count:     0
    .vgpr_spill_count: 0
    .wavefront_size: 32
    .workgroup_processor_mode: 1
  - .args:
      - .offset:         0
        .size:           80
        .value_kind:     by_value
    .group_segment_fixed_size: 0
    .kernarg_segment_align: 8
    .kernarg_segment_size: 80
    .language:       OpenCL C
    .language_version:
      - 2
      - 0
    .max_flat_workgroup_size: 128
    .name:           _ZN7rocprim17ROCPRIM_400000_NS6detail17trampoline_kernelINS0_14default_configENS1_36segmented_radix_sort_config_selectorIhlEEZNS1_25segmented_radix_sort_implIS3_Lb0EPKhPhPKlPlN2at6native12_GLOBAL__N_18offset_tEEE10hipError_tPvRmT1_PNSt15iterator_traitsISK_E10value_typeET2_T3_PNSL_ISQ_E10value_typeET4_jRbjT5_SW_jjP12ihipStream_tbEUlT_E2_NS1_11comp_targetILNS1_3genE10ELNS1_11target_archE1200ELNS1_3gpuE4ELNS1_3repE0EEENS1_30default_config_static_selectorELNS0_4arch9wavefront6targetE0EEEvSK_
    .private_segment_fixed_size: 0
    .sgpr_count:     0
    .sgpr_spill_count: 0
    .symbol:         _ZN7rocprim17ROCPRIM_400000_NS6detail17trampoline_kernelINS0_14default_configENS1_36segmented_radix_sort_config_selectorIhlEEZNS1_25segmented_radix_sort_implIS3_Lb0EPKhPhPKlPlN2at6native12_GLOBAL__N_18offset_tEEE10hipError_tPvRmT1_PNSt15iterator_traitsISK_E10value_typeET2_T3_PNSL_ISQ_E10value_typeET4_jRbjT5_SW_jjP12ihipStream_tbEUlT_E2_NS1_11comp_targetILNS1_3genE10ELNS1_11target_archE1200ELNS1_3gpuE4ELNS1_3repE0EEENS1_30default_config_static_selectorELNS0_4arch9wavefront6targetE0EEEvSK_.kd
    .uniform_work_group_size: 1
    .uses_dynamic_stack: false
    .vgpr_count:     0
    .vgpr_spill_count: 0
    .wavefront_size: 32
    .workgroup_processor_mode: 1
  - .args:
      - .offset:         0
        .size:           80
        .value_kind:     by_value
      - .offset:         80
        .size:           4
        .value_kind:     hidden_block_count_x
      - .offset:         84
        .size:           4
        .value_kind:     hidden_block_count_y
      - .offset:         88
        .size:           4
        .value_kind:     hidden_block_count_z
      - .offset:         92
        .size:           2
        .value_kind:     hidden_group_size_x
      - .offset:         94
        .size:           2
        .value_kind:     hidden_group_size_y
      - .offset:         96
        .size:           2
        .value_kind:     hidden_group_size_z
      - .offset:         98
        .size:           2
        .value_kind:     hidden_remainder_x
      - .offset:         100
        .size:           2
        .value_kind:     hidden_remainder_y
      - .offset:         102
        .size:           2
        .value_kind:     hidden_remainder_z
      - .offset:         120
        .size:           8
        .value_kind:     hidden_global_offset_x
      - .offset:         128
        .size:           8
        .value_kind:     hidden_global_offset_y
      - .offset:         136
        .size:           8
        .value_kind:     hidden_global_offset_z
      - .offset:         144
        .size:           2
        .value_kind:     hidden_grid_dims
    .group_segment_fixed_size: 17440
    .kernarg_segment_align: 8
    .kernarg_segment_size: 336
    .language:       OpenCL C
    .language_version:
      - 2
      - 0
    .max_flat_workgroup_size: 256
    .name:           _ZN7rocprim17ROCPRIM_400000_NS6detail17trampoline_kernelINS0_14default_configENS1_36segmented_radix_sort_config_selectorIhlEEZNS1_25segmented_radix_sort_implIS3_Lb0EPKhPhPKlPlN2at6native12_GLOBAL__N_18offset_tEEE10hipError_tPvRmT1_PNSt15iterator_traitsISK_E10value_typeET2_T3_PNSL_ISQ_E10value_typeET4_jRbjT5_SW_jjP12ihipStream_tbEUlT_E2_NS1_11comp_targetILNS1_3genE9ELNS1_11target_archE1100ELNS1_3gpuE3ELNS1_3repE0EEENS1_30default_config_static_selectorELNS0_4arch9wavefront6targetE0EEEvSK_
    .private_segment_fixed_size: 0
    .sgpr_count:     56
    .sgpr_spill_count: 0
    .symbol:         _ZN7rocprim17ROCPRIM_400000_NS6detail17trampoline_kernelINS0_14default_configENS1_36segmented_radix_sort_config_selectorIhlEEZNS1_25segmented_radix_sort_implIS3_Lb0EPKhPhPKlPlN2at6native12_GLOBAL__N_18offset_tEEE10hipError_tPvRmT1_PNSt15iterator_traitsISK_E10value_typeET2_T3_PNSL_ISQ_E10value_typeET4_jRbjT5_SW_jjP12ihipStream_tbEUlT_E2_NS1_11comp_targetILNS1_3genE9ELNS1_11target_archE1100ELNS1_3gpuE3ELNS1_3repE0EEENS1_30default_config_static_selectorELNS0_4arch9wavefront6targetE0EEEvSK_.kd
    .uniform_work_group_size: 1
    .uses_dynamic_stack: false
    .vgpr_count:     193
    .vgpr_spill_count: 0
    .wavefront_size: 32
    .workgroup_processor_mode: 1
  - .args:
      - .offset:         0
        .size:           80
        .value_kind:     by_value
    .group_segment_fixed_size: 0
    .kernarg_segment_align: 8
    .kernarg_segment_size: 80
    .language:       OpenCL C
    .language_version:
      - 2
      - 0
    .max_flat_workgroup_size: 256
    .name:           _ZN7rocprim17ROCPRIM_400000_NS6detail17trampoline_kernelINS0_14default_configENS1_36segmented_radix_sort_config_selectorIhlEEZNS1_25segmented_radix_sort_implIS3_Lb0EPKhPhPKlPlN2at6native12_GLOBAL__N_18offset_tEEE10hipError_tPvRmT1_PNSt15iterator_traitsISK_E10value_typeET2_T3_PNSL_ISQ_E10value_typeET4_jRbjT5_SW_jjP12ihipStream_tbEUlT_E2_NS1_11comp_targetILNS1_3genE8ELNS1_11target_archE1030ELNS1_3gpuE2ELNS1_3repE0EEENS1_30default_config_static_selectorELNS0_4arch9wavefront6targetE0EEEvSK_
    .private_segment_fixed_size: 0
    .sgpr_count:     0
    .sgpr_spill_count: 0
    .symbol:         _ZN7rocprim17ROCPRIM_400000_NS6detail17trampoline_kernelINS0_14default_configENS1_36segmented_radix_sort_config_selectorIhlEEZNS1_25segmented_radix_sort_implIS3_Lb0EPKhPhPKlPlN2at6native12_GLOBAL__N_18offset_tEEE10hipError_tPvRmT1_PNSt15iterator_traitsISK_E10value_typeET2_T3_PNSL_ISQ_E10value_typeET4_jRbjT5_SW_jjP12ihipStream_tbEUlT_E2_NS1_11comp_targetILNS1_3genE8ELNS1_11target_archE1030ELNS1_3gpuE2ELNS1_3repE0EEENS1_30default_config_static_selectorELNS0_4arch9wavefront6targetE0EEEvSK_.kd
    .uniform_work_group_size: 1
    .uses_dynamic_stack: false
    .vgpr_count:     0
    .vgpr_spill_count: 0
    .wavefront_size: 32
    .workgroup_processor_mode: 1
  - .args:
      - .address_space:  global
        .offset:         0
        .size:           8
        .value_kind:     global_buffer
      - .address_space:  global
        .offset:         8
        .size:           8
        .value_kind:     global_buffer
      - .address_space:  global
        .offset:         16
        .size:           8
        .value_kind:     global_buffer
      - .address_space:  global
        .offset:         24
        .size:           8
        .value_kind:     global_buffer
      - .offset:         32
        .size:           4
        .value_kind:     by_value
      - .offset:         36
        .size:           4
        .value_kind:     by_value
      - .offset:         40
        .size:           4
        .value_kind:     hidden_block_count_x
      - .offset:         44
        .size:           4
        .value_kind:     hidden_block_count_y
      - .offset:         48
        .size:           4
        .value_kind:     hidden_block_count_z
      - .offset:         52
        .size:           2
        .value_kind:     hidden_group_size_x
      - .offset:         54
        .size:           2
        .value_kind:     hidden_group_size_y
      - .offset:         56
        .size:           2
        .value_kind:     hidden_group_size_z
      - .offset:         58
        .size:           2
        .value_kind:     hidden_remainder_x
      - .offset:         60
        .size:           2
        .value_kind:     hidden_remainder_y
      - .offset:         62
        .size:           2
        .value_kind:     hidden_remainder_z
      - .offset:         80
        .size:           8
        .value_kind:     hidden_global_offset_x
      - .offset:         88
        .size:           8
        .value_kind:     hidden_global_offset_y
      - .offset:         96
        .size:           8
        .value_kind:     hidden_global_offset_z
      - .offset:         104
        .size:           2
        .value_kind:     hidden_grid_dims
    .group_segment_fixed_size: 0
    .kernarg_segment_align: 8
    .kernarg_segment_size: 296
    .language:       OpenCL C
    .language_version:
      - 2
      - 0
    .max_flat_workgroup_size: 1024
    .name:           _ZN2at6native12_GLOBAL__N_123sort_postprocess_kernelIaEEvPKT_PS3_PlPK15HIP_vector_typeIiLj2EEii
    .private_segment_fixed_size: 0
    .sgpr_count:     18
    .sgpr_spill_count: 0
    .symbol:         _ZN2at6native12_GLOBAL__N_123sort_postprocess_kernelIaEEvPKT_PS3_PlPK15HIP_vector_typeIiLj2EEii.kd
    .uniform_work_group_size: 1
    .uses_dynamic_stack: false
    .vgpr_count:     15
    .vgpr_spill_count: 0
    .wavefront_size: 32
    .workgroup_processor_mode: 1
  - .args:
      - .offset:         0
        .size:           176
        .value_kind:     by_value
    .group_segment_fixed_size: 0
    .kernarg_segment_align: 8
    .kernarg_segment_size: 176
    .language:       OpenCL C
    .language_version:
      - 2
      - 0
    .max_flat_workgroup_size: 256
    .name:           _ZN7rocprim17ROCPRIM_400000_NS6detail17trampoline_kernelINS0_13select_configILj256ELj13ELNS0_17block_load_methodE3ELS4_3ELS4_3ELNS0_20block_scan_algorithmE0ELj4294967295EEENS1_25partition_config_selectorILNS1_17partition_subalgoE4EjNS0_10empty_typeEbEEZZNS1_14partition_implILS8_4ELb0ES6_15HIP_vector_typeIjLj2EENS0_17counting_iteratorIjlEEPS9_SG_NS0_5tupleIJPjSI_NS0_16reverse_iteratorISI_EEEEENSH_IJSG_SG_SG_EEES9_SI_JZNS1_25segmented_radix_sort_implINS0_14default_configELb1EPKaPaPKlPlN2at6native12_GLOBAL__N_18offset_tEEE10hipError_tPvRmT1_PNSt15iterator_traitsIS12_E10value_typeET2_T3_PNS13_IS18_E10value_typeET4_jRbjT5_S1E_jjP12ihipStream_tbEUljE_ZNSN_ISO_Lb1ESQ_SR_ST_SU_SY_EESZ_S10_S11_S12_S16_S17_S18_S1B_S1C_jS1D_jS1E_S1E_jjS1G_bEUljE0_EEESZ_S10_S11_S18_S1C_S1E_T6_T7_T9_mT8_S1G_bDpT10_ENKUlT_T0_E_clISt17integral_constantIbLb0EES1U_EEDaS1P_S1Q_EUlS1P_E_NS1_11comp_targetILNS1_3genE0ELNS1_11target_archE4294967295ELNS1_3gpuE0ELNS1_3repE0EEENS1_30default_config_static_selectorELNS0_4arch9wavefront6targetE0EEEvS12_
    .private_segment_fixed_size: 0
    .sgpr_count:     0
    .sgpr_spill_count: 0
    .symbol:         _ZN7rocprim17ROCPRIM_400000_NS6detail17trampoline_kernelINS0_13select_configILj256ELj13ELNS0_17block_load_methodE3ELS4_3ELS4_3ELNS0_20block_scan_algorithmE0ELj4294967295EEENS1_25partition_config_selectorILNS1_17partition_subalgoE4EjNS0_10empty_typeEbEEZZNS1_14partition_implILS8_4ELb0ES6_15HIP_vector_typeIjLj2EENS0_17counting_iteratorIjlEEPS9_SG_NS0_5tupleIJPjSI_NS0_16reverse_iteratorISI_EEEEENSH_IJSG_SG_SG_EEES9_SI_JZNS1_25segmented_radix_sort_implINS0_14default_configELb1EPKaPaPKlPlN2at6native12_GLOBAL__N_18offset_tEEE10hipError_tPvRmT1_PNSt15iterator_traitsIS12_E10value_typeET2_T3_PNS13_IS18_E10value_typeET4_jRbjT5_S1E_jjP12ihipStream_tbEUljE_ZNSN_ISO_Lb1ESQ_SR_ST_SU_SY_EESZ_S10_S11_S12_S16_S17_S18_S1B_S1C_jS1D_jS1E_S1E_jjS1G_bEUljE0_EEESZ_S10_S11_S18_S1C_S1E_T6_T7_T9_mT8_S1G_bDpT10_ENKUlT_T0_E_clISt17integral_constantIbLb0EES1U_EEDaS1P_S1Q_EUlS1P_E_NS1_11comp_targetILNS1_3genE0ELNS1_11target_archE4294967295ELNS1_3gpuE0ELNS1_3repE0EEENS1_30default_config_static_selectorELNS0_4arch9wavefront6targetE0EEEvS12_.kd
    .uniform_work_group_size: 1
    .uses_dynamic_stack: false
    .vgpr_count:     0
    .vgpr_spill_count: 0
    .wavefront_size: 32
    .workgroup_processor_mode: 1
  - .args:
      - .offset:         0
        .size:           176
        .value_kind:     by_value
    .group_segment_fixed_size: 0
    .kernarg_segment_align: 8
    .kernarg_segment_size: 176
    .language:       OpenCL C
    .language_version:
      - 2
      - 0
    .max_flat_workgroup_size: 256
    .name:           _ZN7rocprim17ROCPRIM_400000_NS6detail17trampoline_kernelINS0_13select_configILj256ELj13ELNS0_17block_load_methodE3ELS4_3ELS4_3ELNS0_20block_scan_algorithmE0ELj4294967295EEENS1_25partition_config_selectorILNS1_17partition_subalgoE4EjNS0_10empty_typeEbEEZZNS1_14partition_implILS8_4ELb0ES6_15HIP_vector_typeIjLj2EENS0_17counting_iteratorIjlEEPS9_SG_NS0_5tupleIJPjSI_NS0_16reverse_iteratorISI_EEEEENSH_IJSG_SG_SG_EEES9_SI_JZNS1_25segmented_radix_sort_implINS0_14default_configELb1EPKaPaPKlPlN2at6native12_GLOBAL__N_18offset_tEEE10hipError_tPvRmT1_PNSt15iterator_traitsIS12_E10value_typeET2_T3_PNS13_IS18_E10value_typeET4_jRbjT5_S1E_jjP12ihipStream_tbEUljE_ZNSN_ISO_Lb1ESQ_SR_ST_SU_SY_EESZ_S10_S11_S12_S16_S17_S18_S1B_S1C_jS1D_jS1E_S1E_jjS1G_bEUljE0_EEESZ_S10_S11_S18_S1C_S1E_T6_T7_T9_mT8_S1G_bDpT10_ENKUlT_T0_E_clISt17integral_constantIbLb0EES1U_EEDaS1P_S1Q_EUlS1P_E_NS1_11comp_targetILNS1_3genE5ELNS1_11target_archE942ELNS1_3gpuE9ELNS1_3repE0EEENS1_30default_config_static_selectorELNS0_4arch9wavefront6targetE0EEEvS12_
    .private_segment_fixed_size: 0
    .sgpr_count:     0
    .sgpr_spill_count: 0
    .symbol:         _ZN7rocprim17ROCPRIM_400000_NS6detail17trampoline_kernelINS0_13select_configILj256ELj13ELNS0_17block_load_methodE3ELS4_3ELS4_3ELNS0_20block_scan_algorithmE0ELj4294967295EEENS1_25partition_config_selectorILNS1_17partition_subalgoE4EjNS0_10empty_typeEbEEZZNS1_14partition_implILS8_4ELb0ES6_15HIP_vector_typeIjLj2EENS0_17counting_iteratorIjlEEPS9_SG_NS0_5tupleIJPjSI_NS0_16reverse_iteratorISI_EEEEENSH_IJSG_SG_SG_EEES9_SI_JZNS1_25segmented_radix_sort_implINS0_14default_configELb1EPKaPaPKlPlN2at6native12_GLOBAL__N_18offset_tEEE10hipError_tPvRmT1_PNSt15iterator_traitsIS12_E10value_typeET2_T3_PNS13_IS18_E10value_typeET4_jRbjT5_S1E_jjP12ihipStream_tbEUljE_ZNSN_ISO_Lb1ESQ_SR_ST_SU_SY_EESZ_S10_S11_S12_S16_S17_S18_S1B_S1C_jS1D_jS1E_S1E_jjS1G_bEUljE0_EEESZ_S10_S11_S18_S1C_S1E_T6_T7_T9_mT8_S1G_bDpT10_ENKUlT_T0_E_clISt17integral_constantIbLb0EES1U_EEDaS1P_S1Q_EUlS1P_E_NS1_11comp_targetILNS1_3genE5ELNS1_11target_archE942ELNS1_3gpuE9ELNS1_3repE0EEENS1_30default_config_static_selectorELNS0_4arch9wavefront6targetE0EEEvS12_.kd
    .uniform_work_group_size: 1
    .uses_dynamic_stack: false
    .vgpr_count:     0
    .vgpr_spill_count: 0
    .wavefront_size: 32
    .workgroup_processor_mode: 1
  - .args:
      - .offset:         0
        .size:           176
        .value_kind:     by_value
    .group_segment_fixed_size: 0
    .kernarg_segment_align: 8
    .kernarg_segment_size: 176
    .language:       OpenCL C
    .language_version:
      - 2
      - 0
    .max_flat_workgroup_size: 256
    .name:           _ZN7rocprim17ROCPRIM_400000_NS6detail17trampoline_kernelINS0_13select_configILj256ELj13ELNS0_17block_load_methodE3ELS4_3ELS4_3ELNS0_20block_scan_algorithmE0ELj4294967295EEENS1_25partition_config_selectorILNS1_17partition_subalgoE4EjNS0_10empty_typeEbEEZZNS1_14partition_implILS8_4ELb0ES6_15HIP_vector_typeIjLj2EENS0_17counting_iteratorIjlEEPS9_SG_NS0_5tupleIJPjSI_NS0_16reverse_iteratorISI_EEEEENSH_IJSG_SG_SG_EEES9_SI_JZNS1_25segmented_radix_sort_implINS0_14default_configELb1EPKaPaPKlPlN2at6native12_GLOBAL__N_18offset_tEEE10hipError_tPvRmT1_PNSt15iterator_traitsIS12_E10value_typeET2_T3_PNS13_IS18_E10value_typeET4_jRbjT5_S1E_jjP12ihipStream_tbEUljE_ZNSN_ISO_Lb1ESQ_SR_ST_SU_SY_EESZ_S10_S11_S12_S16_S17_S18_S1B_S1C_jS1D_jS1E_S1E_jjS1G_bEUljE0_EEESZ_S10_S11_S18_S1C_S1E_T6_T7_T9_mT8_S1G_bDpT10_ENKUlT_T0_E_clISt17integral_constantIbLb0EES1U_EEDaS1P_S1Q_EUlS1P_E_NS1_11comp_targetILNS1_3genE4ELNS1_11target_archE910ELNS1_3gpuE8ELNS1_3repE0EEENS1_30default_config_static_selectorELNS0_4arch9wavefront6targetE0EEEvS12_
    .private_segment_fixed_size: 0
    .sgpr_count:     0
    .sgpr_spill_count: 0
    .symbol:         _ZN7rocprim17ROCPRIM_400000_NS6detail17trampoline_kernelINS0_13select_configILj256ELj13ELNS0_17block_load_methodE3ELS4_3ELS4_3ELNS0_20block_scan_algorithmE0ELj4294967295EEENS1_25partition_config_selectorILNS1_17partition_subalgoE4EjNS0_10empty_typeEbEEZZNS1_14partition_implILS8_4ELb0ES6_15HIP_vector_typeIjLj2EENS0_17counting_iteratorIjlEEPS9_SG_NS0_5tupleIJPjSI_NS0_16reverse_iteratorISI_EEEEENSH_IJSG_SG_SG_EEES9_SI_JZNS1_25segmented_radix_sort_implINS0_14default_configELb1EPKaPaPKlPlN2at6native12_GLOBAL__N_18offset_tEEE10hipError_tPvRmT1_PNSt15iterator_traitsIS12_E10value_typeET2_T3_PNS13_IS18_E10value_typeET4_jRbjT5_S1E_jjP12ihipStream_tbEUljE_ZNSN_ISO_Lb1ESQ_SR_ST_SU_SY_EESZ_S10_S11_S12_S16_S17_S18_S1B_S1C_jS1D_jS1E_S1E_jjS1G_bEUljE0_EEESZ_S10_S11_S18_S1C_S1E_T6_T7_T9_mT8_S1G_bDpT10_ENKUlT_T0_E_clISt17integral_constantIbLb0EES1U_EEDaS1P_S1Q_EUlS1P_E_NS1_11comp_targetILNS1_3genE4ELNS1_11target_archE910ELNS1_3gpuE8ELNS1_3repE0EEENS1_30default_config_static_selectorELNS0_4arch9wavefront6targetE0EEEvS12_.kd
    .uniform_work_group_size: 1
    .uses_dynamic_stack: false
    .vgpr_count:     0
    .vgpr_spill_count: 0
    .wavefront_size: 32
    .workgroup_processor_mode: 1
  - .args:
      - .offset:         0
        .size:           176
        .value_kind:     by_value
    .group_segment_fixed_size: 0
    .kernarg_segment_align: 8
    .kernarg_segment_size: 176
    .language:       OpenCL C
    .language_version:
      - 2
      - 0
    .max_flat_workgroup_size: 256
    .name:           _ZN7rocprim17ROCPRIM_400000_NS6detail17trampoline_kernelINS0_13select_configILj256ELj13ELNS0_17block_load_methodE3ELS4_3ELS4_3ELNS0_20block_scan_algorithmE0ELj4294967295EEENS1_25partition_config_selectorILNS1_17partition_subalgoE4EjNS0_10empty_typeEbEEZZNS1_14partition_implILS8_4ELb0ES6_15HIP_vector_typeIjLj2EENS0_17counting_iteratorIjlEEPS9_SG_NS0_5tupleIJPjSI_NS0_16reverse_iteratorISI_EEEEENSH_IJSG_SG_SG_EEES9_SI_JZNS1_25segmented_radix_sort_implINS0_14default_configELb1EPKaPaPKlPlN2at6native12_GLOBAL__N_18offset_tEEE10hipError_tPvRmT1_PNSt15iterator_traitsIS12_E10value_typeET2_T3_PNS13_IS18_E10value_typeET4_jRbjT5_S1E_jjP12ihipStream_tbEUljE_ZNSN_ISO_Lb1ESQ_SR_ST_SU_SY_EESZ_S10_S11_S12_S16_S17_S18_S1B_S1C_jS1D_jS1E_S1E_jjS1G_bEUljE0_EEESZ_S10_S11_S18_S1C_S1E_T6_T7_T9_mT8_S1G_bDpT10_ENKUlT_T0_E_clISt17integral_constantIbLb0EES1U_EEDaS1P_S1Q_EUlS1P_E_NS1_11comp_targetILNS1_3genE3ELNS1_11target_archE908ELNS1_3gpuE7ELNS1_3repE0EEENS1_30default_config_static_selectorELNS0_4arch9wavefront6targetE0EEEvS12_
    .private_segment_fixed_size: 0
    .sgpr_count:     0
    .sgpr_spill_count: 0
    .symbol:         _ZN7rocprim17ROCPRIM_400000_NS6detail17trampoline_kernelINS0_13select_configILj256ELj13ELNS0_17block_load_methodE3ELS4_3ELS4_3ELNS0_20block_scan_algorithmE0ELj4294967295EEENS1_25partition_config_selectorILNS1_17partition_subalgoE4EjNS0_10empty_typeEbEEZZNS1_14partition_implILS8_4ELb0ES6_15HIP_vector_typeIjLj2EENS0_17counting_iteratorIjlEEPS9_SG_NS0_5tupleIJPjSI_NS0_16reverse_iteratorISI_EEEEENSH_IJSG_SG_SG_EEES9_SI_JZNS1_25segmented_radix_sort_implINS0_14default_configELb1EPKaPaPKlPlN2at6native12_GLOBAL__N_18offset_tEEE10hipError_tPvRmT1_PNSt15iterator_traitsIS12_E10value_typeET2_T3_PNS13_IS18_E10value_typeET4_jRbjT5_S1E_jjP12ihipStream_tbEUljE_ZNSN_ISO_Lb1ESQ_SR_ST_SU_SY_EESZ_S10_S11_S12_S16_S17_S18_S1B_S1C_jS1D_jS1E_S1E_jjS1G_bEUljE0_EEESZ_S10_S11_S18_S1C_S1E_T6_T7_T9_mT8_S1G_bDpT10_ENKUlT_T0_E_clISt17integral_constantIbLb0EES1U_EEDaS1P_S1Q_EUlS1P_E_NS1_11comp_targetILNS1_3genE3ELNS1_11target_archE908ELNS1_3gpuE7ELNS1_3repE0EEENS1_30default_config_static_selectorELNS0_4arch9wavefront6targetE0EEEvS12_.kd
    .uniform_work_group_size: 1
    .uses_dynamic_stack: false
    .vgpr_count:     0
    .vgpr_spill_count: 0
    .wavefront_size: 32
    .workgroup_processor_mode: 1
  - .args:
      - .offset:         0
        .size:           176
        .value_kind:     by_value
    .group_segment_fixed_size: 0
    .kernarg_segment_align: 8
    .kernarg_segment_size: 176
    .language:       OpenCL C
    .language_version:
      - 2
      - 0
    .max_flat_workgroup_size: 256
    .name:           _ZN7rocprim17ROCPRIM_400000_NS6detail17trampoline_kernelINS0_13select_configILj256ELj13ELNS0_17block_load_methodE3ELS4_3ELS4_3ELNS0_20block_scan_algorithmE0ELj4294967295EEENS1_25partition_config_selectorILNS1_17partition_subalgoE4EjNS0_10empty_typeEbEEZZNS1_14partition_implILS8_4ELb0ES6_15HIP_vector_typeIjLj2EENS0_17counting_iteratorIjlEEPS9_SG_NS0_5tupleIJPjSI_NS0_16reverse_iteratorISI_EEEEENSH_IJSG_SG_SG_EEES9_SI_JZNS1_25segmented_radix_sort_implINS0_14default_configELb1EPKaPaPKlPlN2at6native12_GLOBAL__N_18offset_tEEE10hipError_tPvRmT1_PNSt15iterator_traitsIS12_E10value_typeET2_T3_PNS13_IS18_E10value_typeET4_jRbjT5_S1E_jjP12ihipStream_tbEUljE_ZNSN_ISO_Lb1ESQ_SR_ST_SU_SY_EESZ_S10_S11_S12_S16_S17_S18_S1B_S1C_jS1D_jS1E_S1E_jjS1G_bEUljE0_EEESZ_S10_S11_S18_S1C_S1E_T6_T7_T9_mT8_S1G_bDpT10_ENKUlT_T0_E_clISt17integral_constantIbLb0EES1U_EEDaS1P_S1Q_EUlS1P_E_NS1_11comp_targetILNS1_3genE2ELNS1_11target_archE906ELNS1_3gpuE6ELNS1_3repE0EEENS1_30default_config_static_selectorELNS0_4arch9wavefront6targetE0EEEvS12_
    .private_segment_fixed_size: 0
    .sgpr_count:     0
    .sgpr_spill_count: 0
    .symbol:         _ZN7rocprim17ROCPRIM_400000_NS6detail17trampoline_kernelINS0_13select_configILj256ELj13ELNS0_17block_load_methodE3ELS4_3ELS4_3ELNS0_20block_scan_algorithmE0ELj4294967295EEENS1_25partition_config_selectorILNS1_17partition_subalgoE4EjNS0_10empty_typeEbEEZZNS1_14partition_implILS8_4ELb0ES6_15HIP_vector_typeIjLj2EENS0_17counting_iteratorIjlEEPS9_SG_NS0_5tupleIJPjSI_NS0_16reverse_iteratorISI_EEEEENSH_IJSG_SG_SG_EEES9_SI_JZNS1_25segmented_radix_sort_implINS0_14default_configELb1EPKaPaPKlPlN2at6native12_GLOBAL__N_18offset_tEEE10hipError_tPvRmT1_PNSt15iterator_traitsIS12_E10value_typeET2_T3_PNS13_IS18_E10value_typeET4_jRbjT5_S1E_jjP12ihipStream_tbEUljE_ZNSN_ISO_Lb1ESQ_SR_ST_SU_SY_EESZ_S10_S11_S12_S16_S17_S18_S1B_S1C_jS1D_jS1E_S1E_jjS1G_bEUljE0_EEESZ_S10_S11_S18_S1C_S1E_T6_T7_T9_mT8_S1G_bDpT10_ENKUlT_T0_E_clISt17integral_constantIbLb0EES1U_EEDaS1P_S1Q_EUlS1P_E_NS1_11comp_targetILNS1_3genE2ELNS1_11target_archE906ELNS1_3gpuE6ELNS1_3repE0EEENS1_30default_config_static_selectorELNS0_4arch9wavefront6targetE0EEEvS12_.kd
    .uniform_work_group_size: 1
    .uses_dynamic_stack: false
    .vgpr_count:     0
    .vgpr_spill_count: 0
    .wavefront_size: 32
    .workgroup_processor_mode: 1
  - .args:
      - .offset:         0
        .size:           176
        .value_kind:     by_value
    .group_segment_fixed_size: 0
    .kernarg_segment_align: 8
    .kernarg_segment_size: 176
    .language:       OpenCL C
    .language_version:
      - 2
      - 0
    .max_flat_workgroup_size: 256
    .name:           _ZN7rocprim17ROCPRIM_400000_NS6detail17trampoline_kernelINS0_13select_configILj256ELj13ELNS0_17block_load_methodE3ELS4_3ELS4_3ELNS0_20block_scan_algorithmE0ELj4294967295EEENS1_25partition_config_selectorILNS1_17partition_subalgoE4EjNS0_10empty_typeEbEEZZNS1_14partition_implILS8_4ELb0ES6_15HIP_vector_typeIjLj2EENS0_17counting_iteratorIjlEEPS9_SG_NS0_5tupleIJPjSI_NS0_16reverse_iteratorISI_EEEEENSH_IJSG_SG_SG_EEES9_SI_JZNS1_25segmented_radix_sort_implINS0_14default_configELb1EPKaPaPKlPlN2at6native12_GLOBAL__N_18offset_tEEE10hipError_tPvRmT1_PNSt15iterator_traitsIS12_E10value_typeET2_T3_PNS13_IS18_E10value_typeET4_jRbjT5_S1E_jjP12ihipStream_tbEUljE_ZNSN_ISO_Lb1ESQ_SR_ST_SU_SY_EESZ_S10_S11_S12_S16_S17_S18_S1B_S1C_jS1D_jS1E_S1E_jjS1G_bEUljE0_EEESZ_S10_S11_S18_S1C_S1E_T6_T7_T9_mT8_S1G_bDpT10_ENKUlT_T0_E_clISt17integral_constantIbLb0EES1U_EEDaS1P_S1Q_EUlS1P_E_NS1_11comp_targetILNS1_3genE10ELNS1_11target_archE1200ELNS1_3gpuE4ELNS1_3repE0EEENS1_30default_config_static_selectorELNS0_4arch9wavefront6targetE0EEEvS12_
    .private_segment_fixed_size: 0
    .sgpr_count:     0
    .sgpr_spill_count: 0
    .symbol:         _ZN7rocprim17ROCPRIM_400000_NS6detail17trampoline_kernelINS0_13select_configILj256ELj13ELNS0_17block_load_methodE3ELS4_3ELS4_3ELNS0_20block_scan_algorithmE0ELj4294967295EEENS1_25partition_config_selectorILNS1_17partition_subalgoE4EjNS0_10empty_typeEbEEZZNS1_14partition_implILS8_4ELb0ES6_15HIP_vector_typeIjLj2EENS0_17counting_iteratorIjlEEPS9_SG_NS0_5tupleIJPjSI_NS0_16reverse_iteratorISI_EEEEENSH_IJSG_SG_SG_EEES9_SI_JZNS1_25segmented_radix_sort_implINS0_14default_configELb1EPKaPaPKlPlN2at6native12_GLOBAL__N_18offset_tEEE10hipError_tPvRmT1_PNSt15iterator_traitsIS12_E10value_typeET2_T3_PNS13_IS18_E10value_typeET4_jRbjT5_S1E_jjP12ihipStream_tbEUljE_ZNSN_ISO_Lb1ESQ_SR_ST_SU_SY_EESZ_S10_S11_S12_S16_S17_S18_S1B_S1C_jS1D_jS1E_S1E_jjS1G_bEUljE0_EEESZ_S10_S11_S18_S1C_S1E_T6_T7_T9_mT8_S1G_bDpT10_ENKUlT_T0_E_clISt17integral_constantIbLb0EES1U_EEDaS1P_S1Q_EUlS1P_E_NS1_11comp_targetILNS1_3genE10ELNS1_11target_archE1200ELNS1_3gpuE4ELNS1_3repE0EEENS1_30default_config_static_selectorELNS0_4arch9wavefront6targetE0EEEvS12_.kd
    .uniform_work_group_size: 1
    .uses_dynamic_stack: false
    .vgpr_count:     0
    .vgpr_spill_count: 0
    .wavefront_size: 32
    .workgroup_processor_mode: 1
  - .args:
      - .offset:         0
        .size:           176
        .value_kind:     by_value
    .group_segment_fixed_size: 13340
    .kernarg_segment_align: 8
    .kernarg_segment_size: 176
    .language:       OpenCL C
    .language_version:
      - 2
      - 0
    .max_flat_workgroup_size: 256
    .name:           _ZN7rocprim17ROCPRIM_400000_NS6detail17trampoline_kernelINS0_13select_configILj256ELj13ELNS0_17block_load_methodE3ELS4_3ELS4_3ELNS0_20block_scan_algorithmE0ELj4294967295EEENS1_25partition_config_selectorILNS1_17partition_subalgoE4EjNS0_10empty_typeEbEEZZNS1_14partition_implILS8_4ELb0ES6_15HIP_vector_typeIjLj2EENS0_17counting_iteratorIjlEEPS9_SG_NS0_5tupleIJPjSI_NS0_16reverse_iteratorISI_EEEEENSH_IJSG_SG_SG_EEES9_SI_JZNS1_25segmented_radix_sort_implINS0_14default_configELb1EPKaPaPKlPlN2at6native12_GLOBAL__N_18offset_tEEE10hipError_tPvRmT1_PNSt15iterator_traitsIS12_E10value_typeET2_T3_PNS13_IS18_E10value_typeET4_jRbjT5_S1E_jjP12ihipStream_tbEUljE_ZNSN_ISO_Lb1ESQ_SR_ST_SU_SY_EESZ_S10_S11_S12_S16_S17_S18_S1B_S1C_jS1D_jS1E_S1E_jjS1G_bEUljE0_EEESZ_S10_S11_S18_S1C_S1E_T6_T7_T9_mT8_S1G_bDpT10_ENKUlT_T0_E_clISt17integral_constantIbLb0EES1U_EEDaS1P_S1Q_EUlS1P_E_NS1_11comp_targetILNS1_3genE9ELNS1_11target_archE1100ELNS1_3gpuE3ELNS1_3repE0EEENS1_30default_config_static_selectorELNS0_4arch9wavefront6targetE0EEEvS12_
    .private_segment_fixed_size: 0
    .sgpr_count:     61
    .sgpr_spill_count: 0
    .symbol:         _ZN7rocprim17ROCPRIM_400000_NS6detail17trampoline_kernelINS0_13select_configILj256ELj13ELNS0_17block_load_methodE3ELS4_3ELS4_3ELNS0_20block_scan_algorithmE0ELj4294967295EEENS1_25partition_config_selectorILNS1_17partition_subalgoE4EjNS0_10empty_typeEbEEZZNS1_14partition_implILS8_4ELb0ES6_15HIP_vector_typeIjLj2EENS0_17counting_iteratorIjlEEPS9_SG_NS0_5tupleIJPjSI_NS0_16reverse_iteratorISI_EEEEENSH_IJSG_SG_SG_EEES9_SI_JZNS1_25segmented_radix_sort_implINS0_14default_configELb1EPKaPaPKlPlN2at6native12_GLOBAL__N_18offset_tEEE10hipError_tPvRmT1_PNSt15iterator_traitsIS12_E10value_typeET2_T3_PNS13_IS18_E10value_typeET4_jRbjT5_S1E_jjP12ihipStream_tbEUljE_ZNSN_ISO_Lb1ESQ_SR_ST_SU_SY_EESZ_S10_S11_S12_S16_S17_S18_S1B_S1C_jS1D_jS1E_S1E_jjS1G_bEUljE0_EEESZ_S10_S11_S18_S1C_S1E_T6_T7_T9_mT8_S1G_bDpT10_ENKUlT_T0_E_clISt17integral_constantIbLb0EES1U_EEDaS1P_S1Q_EUlS1P_E_NS1_11comp_targetILNS1_3genE9ELNS1_11target_archE1100ELNS1_3gpuE3ELNS1_3repE0EEENS1_30default_config_static_selectorELNS0_4arch9wavefront6targetE0EEEvS12_.kd
    .uniform_work_group_size: 1
    .uses_dynamic_stack: false
    .vgpr_count:     98
    .vgpr_spill_count: 0
    .wavefront_size: 32
    .workgroup_processor_mode: 1
  - .args:
      - .offset:         0
        .size:           176
        .value_kind:     by_value
    .group_segment_fixed_size: 0
    .kernarg_segment_align: 8
    .kernarg_segment_size: 176
    .language:       OpenCL C
    .language_version:
      - 2
      - 0
    .max_flat_workgroup_size: 256
    .name:           _ZN7rocprim17ROCPRIM_400000_NS6detail17trampoline_kernelINS0_13select_configILj256ELj13ELNS0_17block_load_methodE3ELS4_3ELS4_3ELNS0_20block_scan_algorithmE0ELj4294967295EEENS1_25partition_config_selectorILNS1_17partition_subalgoE4EjNS0_10empty_typeEbEEZZNS1_14partition_implILS8_4ELb0ES6_15HIP_vector_typeIjLj2EENS0_17counting_iteratorIjlEEPS9_SG_NS0_5tupleIJPjSI_NS0_16reverse_iteratorISI_EEEEENSH_IJSG_SG_SG_EEES9_SI_JZNS1_25segmented_radix_sort_implINS0_14default_configELb1EPKaPaPKlPlN2at6native12_GLOBAL__N_18offset_tEEE10hipError_tPvRmT1_PNSt15iterator_traitsIS12_E10value_typeET2_T3_PNS13_IS18_E10value_typeET4_jRbjT5_S1E_jjP12ihipStream_tbEUljE_ZNSN_ISO_Lb1ESQ_SR_ST_SU_SY_EESZ_S10_S11_S12_S16_S17_S18_S1B_S1C_jS1D_jS1E_S1E_jjS1G_bEUljE0_EEESZ_S10_S11_S18_S1C_S1E_T6_T7_T9_mT8_S1G_bDpT10_ENKUlT_T0_E_clISt17integral_constantIbLb0EES1U_EEDaS1P_S1Q_EUlS1P_E_NS1_11comp_targetILNS1_3genE8ELNS1_11target_archE1030ELNS1_3gpuE2ELNS1_3repE0EEENS1_30default_config_static_selectorELNS0_4arch9wavefront6targetE0EEEvS12_
    .private_segment_fixed_size: 0
    .sgpr_count:     0
    .sgpr_spill_count: 0
    .symbol:         _ZN7rocprim17ROCPRIM_400000_NS6detail17trampoline_kernelINS0_13select_configILj256ELj13ELNS0_17block_load_methodE3ELS4_3ELS4_3ELNS0_20block_scan_algorithmE0ELj4294967295EEENS1_25partition_config_selectorILNS1_17partition_subalgoE4EjNS0_10empty_typeEbEEZZNS1_14partition_implILS8_4ELb0ES6_15HIP_vector_typeIjLj2EENS0_17counting_iteratorIjlEEPS9_SG_NS0_5tupleIJPjSI_NS0_16reverse_iteratorISI_EEEEENSH_IJSG_SG_SG_EEES9_SI_JZNS1_25segmented_radix_sort_implINS0_14default_configELb1EPKaPaPKlPlN2at6native12_GLOBAL__N_18offset_tEEE10hipError_tPvRmT1_PNSt15iterator_traitsIS12_E10value_typeET2_T3_PNS13_IS18_E10value_typeET4_jRbjT5_S1E_jjP12ihipStream_tbEUljE_ZNSN_ISO_Lb1ESQ_SR_ST_SU_SY_EESZ_S10_S11_S12_S16_S17_S18_S1B_S1C_jS1D_jS1E_S1E_jjS1G_bEUljE0_EEESZ_S10_S11_S18_S1C_S1E_T6_T7_T9_mT8_S1G_bDpT10_ENKUlT_T0_E_clISt17integral_constantIbLb0EES1U_EEDaS1P_S1Q_EUlS1P_E_NS1_11comp_targetILNS1_3genE8ELNS1_11target_archE1030ELNS1_3gpuE2ELNS1_3repE0EEENS1_30default_config_static_selectorELNS0_4arch9wavefront6targetE0EEEvS12_.kd
    .uniform_work_group_size: 1
    .uses_dynamic_stack: false
    .vgpr_count:     0
    .vgpr_spill_count: 0
    .wavefront_size: 32
    .workgroup_processor_mode: 1
  - .args:
      - .offset:         0
        .size:           184
        .value_kind:     by_value
    .group_segment_fixed_size: 0
    .kernarg_segment_align: 8
    .kernarg_segment_size: 184
    .language:       OpenCL C
    .language_version:
      - 2
      - 0
    .max_flat_workgroup_size: 256
    .name:           _ZN7rocprim17ROCPRIM_400000_NS6detail17trampoline_kernelINS0_13select_configILj256ELj13ELNS0_17block_load_methodE3ELS4_3ELS4_3ELNS0_20block_scan_algorithmE0ELj4294967295EEENS1_25partition_config_selectorILNS1_17partition_subalgoE4EjNS0_10empty_typeEbEEZZNS1_14partition_implILS8_4ELb0ES6_15HIP_vector_typeIjLj2EENS0_17counting_iteratorIjlEEPS9_SG_NS0_5tupleIJPjSI_NS0_16reverse_iteratorISI_EEEEENSH_IJSG_SG_SG_EEES9_SI_JZNS1_25segmented_radix_sort_implINS0_14default_configELb1EPKaPaPKlPlN2at6native12_GLOBAL__N_18offset_tEEE10hipError_tPvRmT1_PNSt15iterator_traitsIS12_E10value_typeET2_T3_PNS13_IS18_E10value_typeET4_jRbjT5_S1E_jjP12ihipStream_tbEUljE_ZNSN_ISO_Lb1ESQ_SR_ST_SU_SY_EESZ_S10_S11_S12_S16_S17_S18_S1B_S1C_jS1D_jS1E_S1E_jjS1G_bEUljE0_EEESZ_S10_S11_S18_S1C_S1E_T6_T7_T9_mT8_S1G_bDpT10_ENKUlT_T0_E_clISt17integral_constantIbLb1EES1U_EEDaS1P_S1Q_EUlS1P_E_NS1_11comp_targetILNS1_3genE0ELNS1_11target_archE4294967295ELNS1_3gpuE0ELNS1_3repE0EEENS1_30default_config_static_selectorELNS0_4arch9wavefront6targetE0EEEvS12_
    .private_segment_fixed_size: 0
    .sgpr_count:     0
    .sgpr_spill_count: 0
    .symbol:         _ZN7rocprim17ROCPRIM_400000_NS6detail17trampoline_kernelINS0_13select_configILj256ELj13ELNS0_17block_load_methodE3ELS4_3ELS4_3ELNS0_20block_scan_algorithmE0ELj4294967295EEENS1_25partition_config_selectorILNS1_17partition_subalgoE4EjNS0_10empty_typeEbEEZZNS1_14partition_implILS8_4ELb0ES6_15HIP_vector_typeIjLj2EENS0_17counting_iteratorIjlEEPS9_SG_NS0_5tupleIJPjSI_NS0_16reverse_iteratorISI_EEEEENSH_IJSG_SG_SG_EEES9_SI_JZNS1_25segmented_radix_sort_implINS0_14default_configELb1EPKaPaPKlPlN2at6native12_GLOBAL__N_18offset_tEEE10hipError_tPvRmT1_PNSt15iterator_traitsIS12_E10value_typeET2_T3_PNS13_IS18_E10value_typeET4_jRbjT5_S1E_jjP12ihipStream_tbEUljE_ZNSN_ISO_Lb1ESQ_SR_ST_SU_SY_EESZ_S10_S11_S12_S16_S17_S18_S1B_S1C_jS1D_jS1E_S1E_jjS1G_bEUljE0_EEESZ_S10_S11_S18_S1C_S1E_T6_T7_T9_mT8_S1G_bDpT10_ENKUlT_T0_E_clISt17integral_constantIbLb1EES1U_EEDaS1P_S1Q_EUlS1P_E_NS1_11comp_targetILNS1_3genE0ELNS1_11target_archE4294967295ELNS1_3gpuE0ELNS1_3repE0EEENS1_30default_config_static_selectorELNS0_4arch9wavefront6targetE0EEEvS12_.kd
    .uniform_work_group_size: 1
    .uses_dynamic_stack: false
    .vgpr_count:     0
    .vgpr_spill_count: 0
    .wavefront_size: 32
    .workgroup_processor_mode: 1
  - .args:
      - .offset:         0
        .size:           184
        .value_kind:     by_value
    .group_segment_fixed_size: 0
    .kernarg_segment_align: 8
    .kernarg_segment_size: 184
    .language:       OpenCL C
    .language_version:
      - 2
      - 0
    .max_flat_workgroup_size: 256
    .name:           _ZN7rocprim17ROCPRIM_400000_NS6detail17trampoline_kernelINS0_13select_configILj256ELj13ELNS0_17block_load_methodE3ELS4_3ELS4_3ELNS0_20block_scan_algorithmE0ELj4294967295EEENS1_25partition_config_selectorILNS1_17partition_subalgoE4EjNS0_10empty_typeEbEEZZNS1_14partition_implILS8_4ELb0ES6_15HIP_vector_typeIjLj2EENS0_17counting_iteratorIjlEEPS9_SG_NS0_5tupleIJPjSI_NS0_16reverse_iteratorISI_EEEEENSH_IJSG_SG_SG_EEES9_SI_JZNS1_25segmented_radix_sort_implINS0_14default_configELb1EPKaPaPKlPlN2at6native12_GLOBAL__N_18offset_tEEE10hipError_tPvRmT1_PNSt15iterator_traitsIS12_E10value_typeET2_T3_PNS13_IS18_E10value_typeET4_jRbjT5_S1E_jjP12ihipStream_tbEUljE_ZNSN_ISO_Lb1ESQ_SR_ST_SU_SY_EESZ_S10_S11_S12_S16_S17_S18_S1B_S1C_jS1D_jS1E_S1E_jjS1G_bEUljE0_EEESZ_S10_S11_S18_S1C_S1E_T6_T7_T9_mT8_S1G_bDpT10_ENKUlT_T0_E_clISt17integral_constantIbLb1EES1U_EEDaS1P_S1Q_EUlS1P_E_NS1_11comp_targetILNS1_3genE5ELNS1_11target_archE942ELNS1_3gpuE9ELNS1_3repE0EEENS1_30default_config_static_selectorELNS0_4arch9wavefront6targetE0EEEvS12_
    .private_segment_fixed_size: 0
    .sgpr_count:     0
    .sgpr_spill_count: 0
    .symbol:         _ZN7rocprim17ROCPRIM_400000_NS6detail17trampoline_kernelINS0_13select_configILj256ELj13ELNS0_17block_load_methodE3ELS4_3ELS4_3ELNS0_20block_scan_algorithmE0ELj4294967295EEENS1_25partition_config_selectorILNS1_17partition_subalgoE4EjNS0_10empty_typeEbEEZZNS1_14partition_implILS8_4ELb0ES6_15HIP_vector_typeIjLj2EENS0_17counting_iteratorIjlEEPS9_SG_NS0_5tupleIJPjSI_NS0_16reverse_iteratorISI_EEEEENSH_IJSG_SG_SG_EEES9_SI_JZNS1_25segmented_radix_sort_implINS0_14default_configELb1EPKaPaPKlPlN2at6native12_GLOBAL__N_18offset_tEEE10hipError_tPvRmT1_PNSt15iterator_traitsIS12_E10value_typeET2_T3_PNS13_IS18_E10value_typeET4_jRbjT5_S1E_jjP12ihipStream_tbEUljE_ZNSN_ISO_Lb1ESQ_SR_ST_SU_SY_EESZ_S10_S11_S12_S16_S17_S18_S1B_S1C_jS1D_jS1E_S1E_jjS1G_bEUljE0_EEESZ_S10_S11_S18_S1C_S1E_T6_T7_T9_mT8_S1G_bDpT10_ENKUlT_T0_E_clISt17integral_constantIbLb1EES1U_EEDaS1P_S1Q_EUlS1P_E_NS1_11comp_targetILNS1_3genE5ELNS1_11target_archE942ELNS1_3gpuE9ELNS1_3repE0EEENS1_30default_config_static_selectorELNS0_4arch9wavefront6targetE0EEEvS12_.kd
    .uniform_work_group_size: 1
    .uses_dynamic_stack: false
    .vgpr_count:     0
    .vgpr_spill_count: 0
    .wavefront_size: 32
    .workgroup_processor_mode: 1
  - .args:
      - .offset:         0
        .size:           184
        .value_kind:     by_value
    .group_segment_fixed_size: 0
    .kernarg_segment_align: 8
    .kernarg_segment_size: 184
    .language:       OpenCL C
    .language_version:
      - 2
      - 0
    .max_flat_workgroup_size: 256
    .name:           _ZN7rocprim17ROCPRIM_400000_NS6detail17trampoline_kernelINS0_13select_configILj256ELj13ELNS0_17block_load_methodE3ELS4_3ELS4_3ELNS0_20block_scan_algorithmE0ELj4294967295EEENS1_25partition_config_selectorILNS1_17partition_subalgoE4EjNS0_10empty_typeEbEEZZNS1_14partition_implILS8_4ELb0ES6_15HIP_vector_typeIjLj2EENS0_17counting_iteratorIjlEEPS9_SG_NS0_5tupleIJPjSI_NS0_16reverse_iteratorISI_EEEEENSH_IJSG_SG_SG_EEES9_SI_JZNS1_25segmented_radix_sort_implINS0_14default_configELb1EPKaPaPKlPlN2at6native12_GLOBAL__N_18offset_tEEE10hipError_tPvRmT1_PNSt15iterator_traitsIS12_E10value_typeET2_T3_PNS13_IS18_E10value_typeET4_jRbjT5_S1E_jjP12ihipStream_tbEUljE_ZNSN_ISO_Lb1ESQ_SR_ST_SU_SY_EESZ_S10_S11_S12_S16_S17_S18_S1B_S1C_jS1D_jS1E_S1E_jjS1G_bEUljE0_EEESZ_S10_S11_S18_S1C_S1E_T6_T7_T9_mT8_S1G_bDpT10_ENKUlT_T0_E_clISt17integral_constantIbLb1EES1U_EEDaS1P_S1Q_EUlS1P_E_NS1_11comp_targetILNS1_3genE4ELNS1_11target_archE910ELNS1_3gpuE8ELNS1_3repE0EEENS1_30default_config_static_selectorELNS0_4arch9wavefront6targetE0EEEvS12_
    .private_segment_fixed_size: 0
    .sgpr_count:     0
    .sgpr_spill_count: 0
    .symbol:         _ZN7rocprim17ROCPRIM_400000_NS6detail17trampoline_kernelINS0_13select_configILj256ELj13ELNS0_17block_load_methodE3ELS4_3ELS4_3ELNS0_20block_scan_algorithmE0ELj4294967295EEENS1_25partition_config_selectorILNS1_17partition_subalgoE4EjNS0_10empty_typeEbEEZZNS1_14partition_implILS8_4ELb0ES6_15HIP_vector_typeIjLj2EENS0_17counting_iteratorIjlEEPS9_SG_NS0_5tupleIJPjSI_NS0_16reverse_iteratorISI_EEEEENSH_IJSG_SG_SG_EEES9_SI_JZNS1_25segmented_radix_sort_implINS0_14default_configELb1EPKaPaPKlPlN2at6native12_GLOBAL__N_18offset_tEEE10hipError_tPvRmT1_PNSt15iterator_traitsIS12_E10value_typeET2_T3_PNS13_IS18_E10value_typeET4_jRbjT5_S1E_jjP12ihipStream_tbEUljE_ZNSN_ISO_Lb1ESQ_SR_ST_SU_SY_EESZ_S10_S11_S12_S16_S17_S18_S1B_S1C_jS1D_jS1E_S1E_jjS1G_bEUljE0_EEESZ_S10_S11_S18_S1C_S1E_T6_T7_T9_mT8_S1G_bDpT10_ENKUlT_T0_E_clISt17integral_constantIbLb1EES1U_EEDaS1P_S1Q_EUlS1P_E_NS1_11comp_targetILNS1_3genE4ELNS1_11target_archE910ELNS1_3gpuE8ELNS1_3repE0EEENS1_30default_config_static_selectorELNS0_4arch9wavefront6targetE0EEEvS12_.kd
    .uniform_work_group_size: 1
    .uses_dynamic_stack: false
    .vgpr_count:     0
    .vgpr_spill_count: 0
    .wavefront_size: 32
    .workgroup_processor_mode: 1
  - .args:
      - .offset:         0
        .size:           184
        .value_kind:     by_value
    .group_segment_fixed_size: 0
    .kernarg_segment_align: 8
    .kernarg_segment_size: 184
    .language:       OpenCL C
    .language_version:
      - 2
      - 0
    .max_flat_workgroup_size: 256
    .name:           _ZN7rocprim17ROCPRIM_400000_NS6detail17trampoline_kernelINS0_13select_configILj256ELj13ELNS0_17block_load_methodE3ELS4_3ELS4_3ELNS0_20block_scan_algorithmE0ELj4294967295EEENS1_25partition_config_selectorILNS1_17partition_subalgoE4EjNS0_10empty_typeEbEEZZNS1_14partition_implILS8_4ELb0ES6_15HIP_vector_typeIjLj2EENS0_17counting_iteratorIjlEEPS9_SG_NS0_5tupleIJPjSI_NS0_16reverse_iteratorISI_EEEEENSH_IJSG_SG_SG_EEES9_SI_JZNS1_25segmented_radix_sort_implINS0_14default_configELb1EPKaPaPKlPlN2at6native12_GLOBAL__N_18offset_tEEE10hipError_tPvRmT1_PNSt15iterator_traitsIS12_E10value_typeET2_T3_PNS13_IS18_E10value_typeET4_jRbjT5_S1E_jjP12ihipStream_tbEUljE_ZNSN_ISO_Lb1ESQ_SR_ST_SU_SY_EESZ_S10_S11_S12_S16_S17_S18_S1B_S1C_jS1D_jS1E_S1E_jjS1G_bEUljE0_EEESZ_S10_S11_S18_S1C_S1E_T6_T7_T9_mT8_S1G_bDpT10_ENKUlT_T0_E_clISt17integral_constantIbLb1EES1U_EEDaS1P_S1Q_EUlS1P_E_NS1_11comp_targetILNS1_3genE3ELNS1_11target_archE908ELNS1_3gpuE7ELNS1_3repE0EEENS1_30default_config_static_selectorELNS0_4arch9wavefront6targetE0EEEvS12_
    .private_segment_fixed_size: 0
    .sgpr_count:     0
    .sgpr_spill_count: 0
    .symbol:         _ZN7rocprim17ROCPRIM_400000_NS6detail17trampoline_kernelINS0_13select_configILj256ELj13ELNS0_17block_load_methodE3ELS4_3ELS4_3ELNS0_20block_scan_algorithmE0ELj4294967295EEENS1_25partition_config_selectorILNS1_17partition_subalgoE4EjNS0_10empty_typeEbEEZZNS1_14partition_implILS8_4ELb0ES6_15HIP_vector_typeIjLj2EENS0_17counting_iteratorIjlEEPS9_SG_NS0_5tupleIJPjSI_NS0_16reverse_iteratorISI_EEEEENSH_IJSG_SG_SG_EEES9_SI_JZNS1_25segmented_radix_sort_implINS0_14default_configELb1EPKaPaPKlPlN2at6native12_GLOBAL__N_18offset_tEEE10hipError_tPvRmT1_PNSt15iterator_traitsIS12_E10value_typeET2_T3_PNS13_IS18_E10value_typeET4_jRbjT5_S1E_jjP12ihipStream_tbEUljE_ZNSN_ISO_Lb1ESQ_SR_ST_SU_SY_EESZ_S10_S11_S12_S16_S17_S18_S1B_S1C_jS1D_jS1E_S1E_jjS1G_bEUljE0_EEESZ_S10_S11_S18_S1C_S1E_T6_T7_T9_mT8_S1G_bDpT10_ENKUlT_T0_E_clISt17integral_constantIbLb1EES1U_EEDaS1P_S1Q_EUlS1P_E_NS1_11comp_targetILNS1_3genE3ELNS1_11target_archE908ELNS1_3gpuE7ELNS1_3repE0EEENS1_30default_config_static_selectorELNS0_4arch9wavefront6targetE0EEEvS12_.kd
    .uniform_work_group_size: 1
    .uses_dynamic_stack: false
    .vgpr_count:     0
    .vgpr_spill_count: 0
    .wavefront_size: 32
    .workgroup_processor_mode: 1
  - .args:
      - .offset:         0
        .size:           184
        .value_kind:     by_value
    .group_segment_fixed_size: 0
    .kernarg_segment_align: 8
    .kernarg_segment_size: 184
    .language:       OpenCL C
    .language_version:
      - 2
      - 0
    .max_flat_workgroup_size: 256
    .name:           _ZN7rocprim17ROCPRIM_400000_NS6detail17trampoline_kernelINS0_13select_configILj256ELj13ELNS0_17block_load_methodE3ELS4_3ELS4_3ELNS0_20block_scan_algorithmE0ELj4294967295EEENS1_25partition_config_selectorILNS1_17partition_subalgoE4EjNS0_10empty_typeEbEEZZNS1_14partition_implILS8_4ELb0ES6_15HIP_vector_typeIjLj2EENS0_17counting_iteratorIjlEEPS9_SG_NS0_5tupleIJPjSI_NS0_16reverse_iteratorISI_EEEEENSH_IJSG_SG_SG_EEES9_SI_JZNS1_25segmented_radix_sort_implINS0_14default_configELb1EPKaPaPKlPlN2at6native12_GLOBAL__N_18offset_tEEE10hipError_tPvRmT1_PNSt15iterator_traitsIS12_E10value_typeET2_T3_PNS13_IS18_E10value_typeET4_jRbjT5_S1E_jjP12ihipStream_tbEUljE_ZNSN_ISO_Lb1ESQ_SR_ST_SU_SY_EESZ_S10_S11_S12_S16_S17_S18_S1B_S1C_jS1D_jS1E_S1E_jjS1G_bEUljE0_EEESZ_S10_S11_S18_S1C_S1E_T6_T7_T9_mT8_S1G_bDpT10_ENKUlT_T0_E_clISt17integral_constantIbLb1EES1U_EEDaS1P_S1Q_EUlS1P_E_NS1_11comp_targetILNS1_3genE2ELNS1_11target_archE906ELNS1_3gpuE6ELNS1_3repE0EEENS1_30default_config_static_selectorELNS0_4arch9wavefront6targetE0EEEvS12_
    .private_segment_fixed_size: 0
    .sgpr_count:     0
    .sgpr_spill_count: 0
    .symbol:         _ZN7rocprim17ROCPRIM_400000_NS6detail17trampoline_kernelINS0_13select_configILj256ELj13ELNS0_17block_load_methodE3ELS4_3ELS4_3ELNS0_20block_scan_algorithmE0ELj4294967295EEENS1_25partition_config_selectorILNS1_17partition_subalgoE4EjNS0_10empty_typeEbEEZZNS1_14partition_implILS8_4ELb0ES6_15HIP_vector_typeIjLj2EENS0_17counting_iteratorIjlEEPS9_SG_NS0_5tupleIJPjSI_NS0_16reverse_iteratorISI_EEEEENSH_IJSG_SG_SG_EEES9_SI_JZNS1_25segmented_radix_sort_implINS0_14default_configELb1EPKaPaPKlPlN2at6native12_GLOBAL__N_18offset_tEEE10hipError_tPvRmT1_PNSt15iterator_traitsIS12_E10value_typeET2_T3_PNS13_IS18_E10value_typeET4_jRbjT5_S1E_jjP12ihipStream_tbEUljE_ZNSN_ISO_Lb1ESQ_SR_ST_SU_SY_EESZ_S10_S11_S12_S16_S17_S18_S1B_S1C_jS1D_jS1E_S1E_jjS1G_bEUljE0_EEESZ_S10_S11_S18_S1C_S1E_T6_T7_T9_mT8_S1G_bDpT10_ENKUlT_T0_E_clISt17integral_constantIbLb1EES1U_EEDaS1P_S1Q_EUlS1P_E_NS1_11comp_targetILNS1_3genE2ELNS1_11target_archE906ELNS1_3gpuE6ELNS1_3repE0EEENS1_30default_config_static_selectorELNS0_4arch9wavefront6targetE0EEEvS12_.kd
    .uniform_work_group_size: 1
    .uses_dynamic_stack: false
    .vgpr_count:     0
    .vgpr_spill_count: 0
    .wavefront_size: 32
    .workgroup_processor_mode: 1
  - .args:
      - .offset:         0
        .size:           184
        .value_kind:     by_value
    .group_segment_fixed_size: 0
    .kernarg_segment_align: 8
    .kernarg_segment_size: 184
    .language:       OpenCL C
    .language_version:
      - 2
      - 0
    .max_flat_workgroup_size: 256
    .name:           _ZN7rocprim17ROCPRIM_400000_NS6detail17trampoline_kernelINS0_13select_configILj256ELj13ELNS0_17block_load_methodE3ELS4_3ELS4_3ELNS0_20block_scan_algorithmE0ELj4294967295EEENS1_25partition_config_selectorILNS1_17partition_subalgoE4EjNS0_10empty_typeEbEEZZNS1_14partition_implILS8_4ELb0ES6_15HIP_vector_typeIjLj2EENS0_17counting_iteratorIjlEEPS9_SG_NS0_5tupleIJPjSI_NS0_16reverse_iteratorISI_EEEEENSH_IJSG_SG_SG_EEES9_SI_JZNS1_25segmented_radix_sort_implINS0_14default_configELb1EPKaPaPKlPlN2at6native12_GLOBAL__N_18offset_tEEE10hipError_tPvRmT1_PNSt15iterator_traitsIS12_E10value_typeET2_T3_PNS13_IS18_E10value_typeET4_jRbjT5_S1E_jjP12ihipStream_tbEUljE_ZNSN_ISO_Lb1ESQ_SR_ST_SU_SY_EESZ_S10_S11_S12_S16_S17_S18_S1B_S1C_jS1D_jS1E_S1E_jjS1G_bEUljE0_EEESZ_S10_S11_S18_S1C_S1E_T6_T7_T9_mT8_S1G_bDpT10_ENKUlT_T0_E_clISt17integral_constantIbLb1EES1U_EEDaS1P_S1Q_EUlS1P_E_NS1_11comp_targetILNS1_3genE10ELNS1_11target_archE1200ELNS1_3gpuE4ELNS1_3repE0EEENS1_30default_config_static_selectorELNS0_4arch9wavefront6targetE0EEEvS12_
    .private_segment_fixed_size: 0
    .sgpr_count:     0
    .sgpr_spill_count: 0
    .symbol:         _ZN7rocprim17ROCPRIM_400000_NS6detail17trampoline_kernelINS0_13select_configILj256ELj13ELNS0_17block_load_methodE3ELS4_3ELS4_3ELNS0_20block_scan_algorithmE0ELj4294967295EEENS1_25partition_config_selectorILNS1_17partition_subalgoE4EjNS0_10empty_typeEbEEZZNS1_14partition_implILS8_4ELb0ES6_15HIP_vector_typeIjLj2EENS0_17counting_iteratorIjlEEPS9_SG_NS0_5tupleIJPjSI_NS0_16reverse_iteratorISI_EEEEENSH_IJSG_SG_SG_EEES9_SI_JZNS1_25segmented_radix_sort_implINS0_14default_configELb1EPKaPaPKlPlN2at6native12_GLOBAL__N_18offset_tEEE10hipError_tPvRmT1_PNSt15iterator_traitsIS12_E10value_typeET2_T3_PNS13_IS18_E10value_typeET4_jRbjT5_S1E_jjP12ihipStream_tbEUljE_ZNSN_ISO_Lb1ESQ_SR_ST_SU_SY_EESZ_S10_S11_S12_S16_S17_S18_S1B_S1C_jS1D_jS1E_S1E_jjS1G_bEUljE0_EEESZ_S10_S11_S18_S1C_S1E_T6_T7_T9_mT8_S1G_bDpT10_ENKUlT_T0_E_clISt17integral_constantIbLb1EES1U_EEDaS1P_S1Q_EUlS1P_E_NS1_11comp_targetILNS1_3genE10ELNS1_11target_archE1200ELNS1_3gpuE4ELNS1_3repE0EEENS1_30default_config_static_selectorELNS0_4arch9wavefront6targetE0EEEvS12_.kd
    .uniform_work_group_size: 1
    .uses_dynamic_stack: false
    .vgpr_count:     0
    .vgpr_spill_count: 0
    .wavefront_size: 32
    .workgroup_processor_mode: 1
  - .args:
      - .offset:         0
        .size:           184
        .value_kind:     by_value
    .group_segment_fixed_size: 13340
    .kernarg_segment_align: 8
    .kernarg_segment_size: 184
    .language:       OpenCL C
    .language_version:
      - 2
      - 0
    .max_flat_workgroup_size: 256
    .name:           _ZN7rocprim17ROCPRIM_400000_NS6detail17trampoline_kernelINS0_13select_configILj256ELj13ELNS0_17block_load_methodE3ELS4_3ELS4_3ELNS0_20block_scan_algorithmE0ELj4294967295EEENS1_25partition_config_selectorILNS1_17partition_subalgoE4EjNS0_10empty_typeEbEEZZNS1_14partition_implILS8_4ELb0ES6_15HIP_vector_typeIjLj2EENS0_17counting_iteratorIjlEEPS9_SG_NS0_5tupleIJPjSI_NS0_16reverse_iteratorISI_EEEEENSH_IJSG_SG_SG_EEES9_SI_JZNS1_25segmented_radix_sort_implINS0_14default_configELb1EPKaPaPKlPlN2at6native12_GLOBAL__N_18offset_tEEE10hipError_tPvRmT1_PNSt15iterator_traitsIS12_E10value_typeET2_T3_PNS13_IS18_E10value_typeET4_jRbjT5_S1E_jjP12ihipStream_tbEUljE_ZNSN_ISO_Lb1ESQ_SR_ST_SU_SY_EESZ_S10_S11_S12_S16_S17_S18_S1B_S1C_jS1D_jS1E_S1E_jjS1G_bEUljE0_EEESZ_S10_S11_S18_S1C_S1E_T6_T7_T9_mT8_S1G_bDpT10_ENKUlT_T0_E_clISt17integral_constantIbLb1EES1U_EEDaS1P_S1Q_EUlS1P_E_NS1_11comp_targetILNS1_3genE9ELNS1_11target_archE1100ELNS1_3gpuE3ELNS1_3repE0EEENS1_30default_config_static_selectorELNS0_4arch9wavefront6targetE0EEEvS12_
    .private_segment_fixed_size: 0
    .sgpr_count:     57
    .sgpr_spill_count: 0
    .symbol:         _ZN7rocprim17ROCPRIM_400000_NS6detail17trampoline_kernelINS0_13select_configILj256ELj13ELNS0_17block_load_methodE3ELS4_3ELS4_3ELNS0_20block_scan_algorithmE0ELj4294967295EEENS1_25partition_config_selectorILNS1_17partition_subalgoE4EjNS0_10empty_typeEbEEZZNS1_14partition_implILS8_4ELb0ES6_15HIP_vector_typeIjLj2EENS0_17counting_iteratorIjlEEPS9_SG_NS0_5tupleIJPjSI_NS0_16reverse_iteratorISI_EEEEENSH_IJSG_SG_SG_EEES9_SI_JZNS1_25segmented_radix_sort_implINS0_14default_configELb1EPKaPaPKlPlN2at6native12_GLOBAL__N_18offset_tEEE10hipError_tPvRmT1_PNSt15iterator_traitsIS12_E10value_typeET2_T3_PNS13_IS18_E10value_typeET4_jRbjT5_S1E_jjP12ihipStream_tbEUljE_ZNSN_ISO_Lb1ESQ_SR_ST_SU_SY_EESZ_S10_S11_S12_S16_S17_S18_S1B_S1C_jS1D_jS1E_S1E_jjS1G_bEUljE0_EEESZ_S10_S11_S18_S1C_S1E_T6_T7_T9_mT8_S1G_bDpT10_ENKUlT_T0_E_clISt17integral_constantIbLb1EES1U_EEDaS1P_S1Q_EUlS1P_E_NS1_11comp_targetILNS1_3genE9ELNS1_11target_archE1100ELNS1_3gpuE3ELNS1_3repE0EEENS1_30default_config_static_selectorELNS0_4arch9wavefront6targetE0EEEvS12_.kd
    .uniform_work_group_size: 1
    .uses_dynamic_stack: false
    .vgpr_count:     103
    .vgpr_spill_count: 0
    .wavefront_size: 32
    .workgroup_processor_mode: 1
  - .args:
      - .offset:         0
        .size:           184
        .value_kind:     by_value
    .group_segment_fixed_size: 0
    .kernarg_segment_align: 8
    .kernarg_segment_size: 184
    .language:       OpenCL C
    .language_version:
      - 2
      - 0
    .max_flat_workgroup_size: 256
    .name:           _ZN7rocprim17ROCPRIM_400000_NS6detail17trampoline_kernelINS0_13select_configILj256ELj13ELNS0_17block_load_methodE3ELS4_3ELS4_3ELNS0_20block_scan_algorithmE0ELj4294967295EEENS1_25partition_config_selectorILNS1_17partition_subalgoE4EjNS0_10empty_typeEbEEZZNS1_14partition_implILS8_4ELb0ES6_15HIP_vector_typeIjLj2EENS0_17counting_iteratorIjlEEPS9_SG_NS0_5tupleIJPjSI_NS0_16reverse_iteratorISI_EEEEENSH_IJSG_SG_SG_EEES9_SI_JZNS1_25segmented_radix_sort_implINS0_14default_configELb1EPKaPaPKlPlN2at6native12_GLOBAL__N_18offset_tEEE10hipError_tPvRmT1_PNSt15iterator_traitsIS12_E10value_typeET2_T3_PNS13_IS18_E10value_typeET4_jRbjT5_S1E_jjP12ihipStream_tbEUljE_ZNSN_ISO_Lb1ESQ_SR_ST_SU_SY_EESZ_S10_S11_S12_S16_S17_S18_S1B_S1C_jS1D_jS1E_S1E_jjS1G_bEUljE0_EEESZ_S10_S11_S18_S1C_S1E_T6_T7_T9_mT8_S1G_bDpT10_ENKUlT_T0_E_clISt17integral_constantIbLb1EES1U_EEDaS1P_S1Q_EUlS1P_E_NS1_11comp_targetILNS1_3genE8ELNS1_11target_archE1030ELNS1_3gpuE2ELNS1_3repE0EEENS1_30default_config_static_selectorELNS0_4arch9wavefront6targetE0EEEvS12_
    .private_segment_fixed_size: 0
    .sgpr_count:     0
    .sgpr_spill_count: 0
    .symbol:         _ZN7rocprim17ROCPRIM_400000_NS6detail17trampoline_kernelINS0_13select_configILj256ELj13ELNS0_17block_load_methodE3ELS4_3ELS4_3ELNS0_20block_scan_algorithmE0ELj4294967295EEENS1_25partition_config_selectorILNS1_17partition_subalgoE4EjNS0_10empty_typeEbEEZZNS1_14partition_implILS8_4ELb0ES6_15HIP_vector_typeIjLj2EENS0_17counting_iteratorIjlEEPS9_SG_NS0_5tupleIJPjSI_NS0_16reverse_iteratorISI_EEEEENSH_IJSG_SG_SG_EEES9_SI_JZNS1_25segmented_radix_sort_implINS0_14default_configELb1EPKaPaPKlPlN2at6native12_GLOBAL__N_18offset_tEEE10hipError_tPvRmT1_PNSt15iterator_traitsIS12_E10value_typeET2_T3_PNS13_IS18_E10value_typeET4_jRbjT5_S1E_jjP12ihipStream_tbEUljE_ZNSN_ISO_Lb1ESQ_SR_ST_SU_SY_EESZ_S10_S11_S12_S16_S17_S18_S1B_S1C_jS1D_jS1E_S1E_jjS1G_bEUljE0_EEESZ_S10_S11_S18_S1C_S1E_T6_T7_T9_mT8_S1G_bDpT10_ENKUlT_T0_E_clISt17integral_constantIbLb1EES1U_EEDaS1P_S1Q_EUlS1P_E_NS1_11comp_targetILNS1_3genE8ELNS1_11target_archE1030ELNS1_3gpuE2ELNS1_3repE0EEENS1_30default_config_static_selectorELNS0_4arch9wavefront6targetE0EEEvS12_.kd
    .uniform_work_group_size: 1
    .uses_dynamic_stack: false
    .vgpr_count:     0
    .vgpr_spill_count: 0
    .wavefront_size: 32
    .workgroup_processor_mode: 1
  - .args:
      - .offset:         0
        .size:           176
        .value_kind:     by_value
    .group_segment_fixed_size: 0
    .kernarg_segment_align: 8
    .kernarg_segment_size: 176
    .language:       OpenCL C
    .language_version:
      - 2
      - 0
    .max_flat_workgroup_size: 256
    .name:           _ZN7rocprim17ROCPRIM_400000_NS6detail17trampoline_kernelINS0_13select_configILj256ELj13ELNS0_17block_load_methodE3ELS4_3ELS4_3ELNS0_20block_scan_algorithmE0ELj4294967295EEENS1_25partition_config_selectorILNS1_17partition_subalgoE4EjNS0_10empty_typeEbEEZZNS1_14partition_implILS8_4ELb0ES6_15HIP_vector_typeIjLj2EENS0_17counting_iteratorIjlEEPS9_SG_NS0_5tupleIJPjSI_NS0_16reverse_iteratorISI_EEEEENSH_IJSG_SG_SG_EEES9_SI_JZNS1_25segmented_radix_sort_implINS0_14default_configELb1EPKaPaPKlPlN2at6native12_GLOBAL__N_18offset_tEEE10hipError_tPvRmT1_PNSt15iterator_traitsIS12_E10value_typeET2_T3_PNS13_IS18_E10value_typeET4_jRbjT5_S1E_jjP12ihipStream_tbEUljE_ZNSN_ISO_Lb1ESQ_SR_ST_SU_SY_EESZ_S10_S11_S12_S16_S17_S18_S1B_S1C_jS1D_jS1E_S1E_jjS1G_bEUljE0_EEESZ_S10_S11_S18_S1C_S1E_T6_T7_T9_mT8_S1G_bDpT10_ENKUlT_T0_E_clISt17integral_constantIbLb1EES1T_IbLb0EEEEDaS1P_S1Q_EUlS1P_E_NS1_11comp_targetILNS1_3genE0ELNS1_11target_archE4294967295ELNS1_3gpuE0ELNS1_3repE0EEENS1_30default_config_static_selectorELNS0_4arch9wavefront6targetE0EEEvS12_
    .private_segment_fixed_size: 0
    .sgpr_count:     0
    .sgpr_spill_count: 0
    .symbol:         _ZN7rocprim17ROCPRIM_400000_NS6detail17trampoline_kernelINS0_13select_configILj256ELj13ELNS0_17block_load_methodE3ELS4_3ELS4_3ELNS0_20block_scan_algorithmE0ELj4294967295EEENS1_25partition_config_selectorILNS1_17partition_subalgoE4EjNS0_10empty_typeEbEEZZNS1_14partition_implILS8_4ELb0ES6_15HIP_vector_typeIjLj2EENS0_17counting_iteratorIjlEEPS9_SG_NS0_5tupleIJPjSI_NS0_16reverse_iteratorISI_EEEEENSH_IJSG_SG_SG_EEES9_SI_JZNS1_25segmented_radix_sort_implINS0_14default_configELb1EPKaPaPKlPlN2at6native12_GLOBAL__N_18offset_tEEE10hipError_tPvRmT1_PNSt15iterator_traitsIS12_E10value_typeET2_T3_PNS13_IS18_E10value_typeET4_jRbjT5_S1E_jjP12ihipStream_tbEUljE_ZNSN_ISO_Lb1ESQ_SR_ST_SU_SY_EESZ_S10_S11_S12_S16_S17_S18_S1B_S1C_jS1D_jS1E_S1E_jjS1G_bEUljE0_EEESZ_S10_S11_S18_S1C_S1E_T6_T7_T9_mT8_S1G_bDpT10_ENKUlT_T0_E_clISt17integral_constantIbLb1EES1T_IbLb0EEEEDaS1P_S1Q_EUlS1P_E_NS1_11comp_targetILNS1_3genE0ELNS1_11target_archE4294967295ELNS1_3gpuE0ELNS1_3repE0EEENS1_30default_config_static_selectorELNS0_4arch9wavefront6targetE0EEEvS12_.kd
    .uniform_work_group_size: 1
    .uses_dynamic_stack: false
    .vgpr_count:     0
    .vgpr_spill_count: 0
    .wavefront_size: 32
    .workgroup_processor_mode: 1
  - .args:
      - .offset:         0
        .size:           176
        .value_kind:     by_value
    .group_segment_fixed_size: 0
    .kernarg_segment_align: 8
    .kernarg_segment_size: 176
    .language:       OpenCL C
    .language_version:
      - 2
      - 0
    .max_flat_workgroup_size: 256
    .name:           _ZN7rocprim17ROCPRIM_400000_NS6detail17trampoline_kernelINS0_13select_configILj256ELj13ELNS0_17block_load_methodE3ELS4_3ELS4_3ELNS0_20block_scan_algorithmE0ELj4294967295EEENS1_25partition_config_selectorILNS1_17partition_subalgoE4EjNS0_10empty_typeEbEEZZNS1_14partition_implILS8_4ELb0ES6_15HIP_vector_typeIjLj2EENS0_17counting_iteratorIjlEEPS9_SG_NS0_5tupleIJPjSI_NS0_16reverse_iteratorISI_EEEEENSH_IJSG_SG_SG_EEES9_SI_JZNS1_25segmented_radix_sort_implINS0_14default_configELb1EPKaPaPKlPlN2at6native12_GLOBAL__N_18offset_tEEE10hipError_tPvRmT1_PNSt15iterator_traitsIS12_E10value_typeET2_T3_PNS13_IS18_E10value_typeET4_jRbjT5_S1E_jjP12ihipStream_tbEUljE_ZNSN_ISO_Lb1ESQ_SR_ST_SU_SY_EESZ_S10_S11_S12_S16_S17_S18_S1B_S1C_jS1D_jS1E_S1E_jjS1G_bEUljE0_EEESZ_S10_S11_S18_S1C_S1E_T6_T7_T9_mT8_S1G_bDpT10_ENKUlT_T0_E_clISt17integral_constantIbLb1EES1T_IbLb0EEEEDaS1P_S1Q_EUlS1P_E_NS1_11comp_targetILNS1_3genE5ELNS1_11target_archE942ELNS1_3gpuE9ELNS1_3repE0EEENS1_30default_config_static_selectorELNS0_4arch9wavefront6targetE0EEEvS12_
    .private_segment_fixed_size: 0
    .sgpr_count:     0
    .sgpr_spill_count: 0
    .symbol:         _ZN7rocprim17ROCPRIM_400000_NS6detail17trampoline_kernelINS0_13select_configILj256ELj13ELNS0_17block_load_methodE3ELS4_3ELS4_3ELNS0_20block_scan_algorithmE0ELj4294967295EEENS1_25partition_config_selectorILNS1_17partition_subalgoE4EjNS0_10empty_typeEbEEZZNS1_14partition_implILS8_4ELb0ES6_15HIP_vector_typeIjLj2EENS0_17counting_iteratorIjlEEPS9_SG_NS0_5tupleIJPjSI_NS0_16reverse_iteratorISI_EEEEENSH_IJSG_SG_SG_EEES9_SI_JZNS1_25segmented_radix_sort_implINS0_14default_configELb1EPKaPaPKlPlN2at6native12_GLOBAL__N_18offset_tEEE10hipError_tPvRmT1_PNSt15iterator_traitsIS12_E10value_typeET2_T3_PNS13_IS18_E10value_typeET4_jRbjT5_S1E_jjP12ihipStream_tbEUljE_ZNSN_ISO_Lb1ESQ_SR_ST_SU_SY_EESZ_S10_S11_S12_S16_S17_S18_S1B_S1C_jS1D_jS1E_S1E_jjS1G_bEUljE0_EEESZ_S10_S11_S18_S1C_S1E_T6_T7_T9_mT8_S1G_bDpT10_ENKUlT_T0_E_clISt17integral_constantIbLb1EES1T_IbLb0EEEEDaS1P_S1Q_EUlS1P_E_NS1_11comp_targetILNS1_3genE5ELNS1_11target_archE942ELNS1_3gpuE9ELNS1_3repE0EEENS1_30default_config_static_selectorELNS0_4arch9wavefront6targetE0EEEvS12_.kd
    .uniform_work_group_size: 1
    .uses_dynamic_stack: false
    .vgpr_count:     0
    .vgpr_spill_count: 0
    .wavefront_size: 32
    .workgroup_processor_mode: 1
  - .args:
      - .offset:         0
        .size:           176
        .value_kind:     by_value
    .group_segment_fixed_size: 0
    .kernarg_segment_align: 8
    .kernarg_segment_size: 176
    .language:       OpenCL C
    .language_version:
      - 2
      - 0
    .max_flat_workgroup_size: 256
    .name:           _ZN7rocprim17ROCPRIM_400000_NS6detail17trampoline_kernelINS0_13select_configILj256ELj13ELNS0_17block_load_methodE3ELS4_3ELS4_3ELNS0_20block_scan_algorithmE0ELj4294967295EEENS1_25partition_config_selectorILNS1_17partition_subalgoE4EjNS0_10empty_typeEbEEZZNS1_14partition_implILS8_4ELb0ES6_15HIP_vector_typeIjLj2EENS0_17counting_iteratorIjlEEPS9_SG_NS0_5tupleIJPjSI_NS0_16reverse_iteratorISI_EEEEENSH_IJSG_SG_SG_EEES9_SI_JZNS1_25segmented_radix_sort_implINS0_14default_configELb1EPKaPaPKlPlN2at6native12_GLOBAL__N_18offset_tEEE10hipError_tPvRmT1_PNSt15iterator_traitsIS12_E10value_typeET2_T3_PNS13_IS18_E10value_typeET4_jRbjT5_S1E_jjP12ihipStream_tbEUljE_ZNSN_ISO_Lb1ESQ_SR_ST_SU_SY_EESZ_S10_S11_S12_S16_S17_S18_S1B_S1C_jS1D_jS1E_S1E_jjS1G_bEUljE0_EEESZ_S10_S11_S18_S1C_S1E_T6_T7_T9_mT8_S1G_bDpT10_ENKUlT_T0_E_clISt17integral_constantIbLb1EES1T_IbLb0EEEEDaS1P_S1Q_EUlS1P_E_NS1_11comp_targetILNS1_3genE4ELNS1_11target_archE910ELNS1_3gpuE8ELNS1_3repE0EEENS1_30default_config_static_selectorELNS0_4arch9wavefront6targetE0EEEvS12_
    .private_segment_fixed_size: 0
    .sgpr_count:     0
    .sgpr_spill_count: 0
    .symbol:         _ZN7rocprim17ROCPRIM_400000_NS6detail17trampoline_kernelINS0_13select_configILj256ELj13ELNS0_17block_load_methodE3ELS4_3ELS4_3ELNS0_20block_scan_algorithmE0ELj4294967295EEENS1_25partition_config_selectorILNS1_17partition_subalgoE4EjNS0_10empty_typeEbEEZZNS1_14partition_implILS8_4ELb0ES6_15HIP_vector_typeIjLj2EENS0_17counting_iteratorIjlEEPS9_SG_NS0_5tupleIJPjSI_NS0_16reverse_iteratorISI_EEEEENSH_IJSG_SG_SG_EEES9_SI_JZNS1_25segmented_radix_sort_implINS0_14default_configELb1EPKaPaPKlPlN2at6native12_GLOBAL__N_18offset_tEEE10hipError_tPvRmT1_PNSt15iterator_traitsIS12_E10value_typeET2_T3_PNS13_IS18_E10value_typeET4_jRbjT5_S1E_jjP12ihipStream_tbEUljE_ZNSN_ISO_Lb1ESQ_SR_ST_SU_SY_EESZ_S10_S11_S12_S16_S17_S18_S1B_S1C_jS1D_jS1E_S1E_jjS1G_bEUljE0_EEESZ_S10_S11_S18_S1C_S1E_T6_T7_T9_mT8_S1G_bDpT10_ENKUlT_T0_E_clISt17integral_constantIbLb1EES1T_IbLb0EEEEDaS1P_S1Q_EUlS1P_E_NS1_11comp_targetILNS1_3genE4ELNS1_11target_archE910ELNS1_3gpuE8ELNS1_3repE0EEENS1_30default_config_static_selectorELNS0_4arch9wavefront6targetE0EEEvS12_.kd
    .uniform_work_group_size: 1
    .uses_dynamic_stack: false
    .vgpr_count:     0
    .vgpr_spill_count: 0
    .wavefront_size: 32
    .workgroup_processor_mode: 1
  - .args:
      - .offset:         0
        .size:           176
        .value_kind:     by_value
    .group_segment_fixed_size: 0
    .kernarg_segment_align: 8
    .kernarg_segment_size: 176
    .language:       OpenCL C
    .language_version:
      - 2
      - 0
    .max_flat_workgroup_size: 256
    .name:           _ZN7rocprim17ROCPRIM_400000_NS6detail17trampoline_kernelINS0_13select_configILj256ELj13ELNS0_17block_load_methodE3ELS4_3ELS4_3ELNS0_20block_scan_algorithmE0ELj4294967295EEENS1_25partition_config_selectorILNS1_17partition_subalgoE4EjNS0_10empty_typeEbEEZZNS1_14partition_implILS8_4ELb0ES6_15HIP_vector_typeIjLj2EENS0_17counting_iteratorIjlEEPS9_SG_NS0_5tupleIJPjSI_NS0_16reverse_iteratorISI_EEEEENSH_IJSG_SG_SG_EEES9_SI_JZNS1_25segmented_radix_sort_implINS0_14default_configELb1EPKaPaPKlPlN2at6native12_GLOBAL__N_18offset_tEEE10hipError_tPvRmT1_PNSt15iterator_traitsIS12_E10value_typeET2_T3_PNS13_IS18_E10value_typeET4_jRbjT5_S1E_jjP12ihipStream_tbEUljE_ZNSN_ISO_Lb1ESQ_SR_ST_SU_SY_EESZ_S10_S11_S12_S16_S17_S18_S1B_S1C_jS1D_jS1E_S1E_jjS1G_bEUljE0_EEESZ_S10_S11_S18_S1C_S1E_T6_T7_T9_mT8_S1G_bDpT10_ENKUlT_T0_E_clISt17integral_constantIbLb1EES1T_IbLb0EEEEDaS1P_S1Q_EUlS1P_E_NS1_11comp_targetILNS1_3genE3ELNS1_11target_archE908ELNS1_3gpuE7ELNS1_3repE0EEENS1_30default_config_static_selectorELNS0_4arch9wavefront6targetE0EEEvS12_
    .private_segment_fixed_size: 0
    .sgpr_count:     0
    .sgpr_spill_count: 0
    .symbol:         _ZN7rocprim17ROCPRIM_400000_NS6detail17trampoline_kernelINS0_13select_configILj256ELj13ELNS0_17block_load_methodE3ELS4_3ELS4_3ELNS0_20block_scan_algorithmE0ELj4294967295EEENS1_25partition_config_selectorILNS1_17partition_subalgoE4EjNS0_10empty_typeEbEEZZNS1_14partition_implILS8_4ELb0ES6_15HIP_vector_typeIjLj2EENS0_17counting_iteratorIjlEEPS9_SG_NS0_5tupleIJPjSI_NS0_16reverse_iteratorISI_EEEEENSH_IJSG_SG_SG_EEES9_SI_JZNS1_25segmented_radix_sort_implINS0_14default_configELb1EPKaPaPKlPlN2at6native12_GLOBAL__N_18offset_tEEE10hipError_tPvRmT1_PNSt15iterator_traitsIS12_E10value_typeET2_T3_PNS13_IS18_E10value_typeET4_jRbjT5_S1E_jjP12ihipStream_tbEUljE_ZNSN_ISO_Lb1ESQ_SR_ST_SU_SY_EESZ_S10_S11_S12_S16_S17_S18_S1B_S1C_jS1D_jS1E_S1E_jjS1G_bEUljE0_EEESZ_S10_S11_S18_S1C_S1E_T6_T7_T9_mT8_S1G_bDpT10_ENKUlT_T0_E_clISt17integral_constantIbLb1EES1T_IbLb0EEEEDaS1P_S1Q_EUlS1P_E_NS1_11comp_targetILNS1_3genE3ELNS1_11target_archE908ELNS1_3gpuE7ELNS1_3repE0EEENS1_30default_config_static_selectorELNS0_4arch9wavefront6targetE0EEEvS12_.kd
    .uniform_work_group_size: 1
    .uses_dynamic_stack: false
    .vgpr_count:     0
    .vgpr_spill_count: 0
    .wavefront_size: 32
    .workgroup_processor_mode: 1
  - .args:
      - .offset:         0
        .size:           176
        .value_kind:     by_value
    .group_segment_fixed_size: 0
    .kernarg_segment_align: 8
    .kernarg_segment_size: 176
    .language:       OpenCL C
    .language_version:
      - 2
      - 0
    .max_flat_workgroup_size: 256
    .name:           _ZN7rocprim17ROCPRIM_400000_NS6detail17trampoline_kernelINS0_13select_configILj256ELj13ELNS0_17block_load_methodE3ELS4_3ELS4_3ELNS0_20block_scan_algorithmE0ELj4294967295EEENS1_25partition_config_selectorILNS1_17partition_subalgoE4EjNS0_10empty_typeEbEEZZNS1_14partition_implILS8_4ELb0ES6_15HIP_vector_typeIjLj2EENS0_17counting_iteratorIjlEEPS9_SG_NS0_5tupleIJPjSI_NS0_16reverse_iteratorISI_EEEEENSH_IJSG_SG_SG_EEES9_SI_JZNS1_25segmented_radix_sort_implINS0_14default_configELb1EPKaPaPKlPlN2at6native12_GLOBAL__N_18offset_tEEE10hipError_tPvRmT1_PNSt15iterator_traitsIS12_E10value_typeET2_T3_PNS13_IS18_E10value_typeET4_jRbjT5_S1E_jjP12ihipStream_tbEUljE_ZNSN_ISO_Lb1ESQ_SR_ST_SU_SY_EESZ_S10_S11_S12_S16_S17_S18_S1B_S1C_jS1D_jS1E_S1E_jjS1G_bEUljE0_EEESZ_S10_S11_S18_S1C_S1E_T6_T7_T9_mT8_S1G_bDpT10_ENKUlT_T0_E_clISt17integral_constantIbLb1EES1T_IbLb0EEEEDaS1P_S1Q_EUlS1P_E_NS1_11comp_targetILNS1_3genE2ELNS1_11target_archE906ELNS1_3gpuE6ELNS1_3repE0EEENS1_30default_config_static_selectorELNS0_4arch9wavefront6targetE0EEEvS12_
    .private_segment_fixed_size: 0
    .sgpr_count:     0
    .sgpr_spill_count: 0
    .symbol:         _ZN7rocprim17ROCPRIM_400000_NS6detail17trampoline_kernelINS0_13select_configILj256ELj13ELNS0_17block_load_methodE3ELS4_3ELS4_3ELNS0_20block_scan_algorithmE0ELj4294967295EEENS1_25partition_config_selectorILNS1_17partition_subalgoE4EjNS0_10empty_typeEbEEZZNS1_14partition_implILS8_4ELb0ES6_15HIP_vector_typeIjLj2EENS0_17counting_iteratorIjlEEPS9_SG_NS0_5tupleIJPjSI_NS0_16reverse_iteratorISI_EEEEENSH_IJSG_SG_SG_EEES9_SI_JZNS1_25segmented_radix_sort_implINS0_14default_configELb1EPKaPaPKlPlN2at6native12_GLOBAL__N_18offset_tEEE10hipError_tPvRmT1_PNSt15iterator_traitsIS12_E10value_typeET2_T3_PNS13_IS18_E10value_typeET4_jRbjT5_S1E_jjP12ihipStream_tbEUljE_ZNSN_ISO_Lb1ESQ_SR_ST_SU_SY_EESZ_S10_S11_S12_S16_S17_S18_S1B_S1C_jS1D_jS1E_S1E_jjS1G_bEUljE0_EEESZ_S10_S11_S18_S1C_S1E_T6_T7_T9_mT8_S1G_bDpT10_ENKUlT_T0_E_clISt17integral_constantIbLb1EES1T_IbLb0EEEEDaS1P_S1Q_EUlS1P_E_NS1_11comp_targetILNS1_3genE2ELNS1_11target_archE906ELNS1_3gpuE6ELNS1_3repE0EEENS1_30default_config_static_selectorELNS0_4arch9wavefront6targetE0EEEvS12_.kd
    .uniform_work_group_size: 1
    .uses_dynamic_stack: false
    .vgpr_count:     0
    .vgpr_spill_count: 0
    .wavefront_size: 32
    .workgroup_processor_mode: 1
  - .args:
      - .offset:         0
        .size:           176
        .value_kind:     by_value
    .group_segment_fixed_size: 0
    .kernarg_segment_align: 8
    .kernarg_segment_size: 176
    .language:       OpenCL C
    .language_version:
      - 2
      - 0
    .max_flat_workgroup_size: 256
    .name:           _ZN7rocprim17ROCPRIM_400000_NS6detail17trampoline_kernelINS0_13select_configILj256ELj13ELNS0_17block_load_methodE3ELS4_3ELS4_3ELNS0_20block_scan_algorithmE0ELj4294967295EEENS1_25partition_config_selectorILNS1_17partition_subalgoE4EjNS0_10empty_typeEbEEZZNS1_14partition_implILS8_4ELb0ES6_15HIP_vector_typeIjLj2EENS0_17counting_iteratorIjlEEPS9_SG_NS0_5tupleIJPjSI_NS0_16reverse_iteratorISI_EEEEENSH_IJSG_SG_SG_EEES9_SI_JZNS1_25segmented_radix_sort_implINS0_14default_configELb1EPKaPaPKlPlN2at6native12_GLOBAL__N_18offset_tEEE10hipError_tPvRmT1_PNSt15iterator_traitsIS12_E10value_typeET2_T3_PNS13_IS18_E10value_typeET4_jRbjT5_S1E_jjP12ihipStream_tbEUljE_ZNSN_ISO_Lb1ESQ_SR_ST_SU_SY_EESZ_S10_S11_S12_S16_S17_S18_S1B_S1C_jS1D_jS1E_S1E_jjS1G_bEUljE0_EEESZ_S10_S11_S18_S1C_S1E_T6_T7_T9_mT8_S1G_bDpT10_ENKUlT_T0_E_clISt17integral_constantIbLb1EES1T_IbLb0EEEEDaS1P_S1Q_EUlS1P_E_NS1_11comp_targetILNS1_3genE10ELNS1_11target_archE1200ELNS1_3gpuE4ELNS1_3repE0EEENS1_30default_config_static_selectorELNS0_4arch9wavefront6targetE0EEEvS12_
    .private_segment_fixed_size: 0
    .sgpr_count:     0
    .sgpr_spill_count: 0
    .symbol:         _ZN7rocprim17ROCPRIM_400000_NS6detail17trampoline_kernelINS0_13select_configILj256ELj13ELNS0_17block_load_methodE3ELS4_3ELS4_3ELNS0_20block_scan_algorithmE0ELj4294967295EEENS1_25partition_config_selectorILNS1_17partition_subalgoE4EjNS0_10empty_typeEbEEZZNS1_14partition_implILS8_4ELb0ES6_15HIP_vector_typeIjLj2EENS0_17counting_iteratorIjlEEPS9_SG_NS0_5tupleIJPjSI_NS0_16reverse_iteratorISI_EEEEENSH_IJSG_SG_SG_EEES9_SI_JZNS1_25segmented_radix_sort_implINS0_14default_configELb1EPKaPaPKlPlN2at6native12_GLOBAL__N_18offset_tEEE10hipError_tPvRmT1_PNSt15iterator_traitsIS12_E10value_typeET2_T3_PNS13_IS18_E10value_typeET4_jRbjT5_S1E_jjP12ihipStream_tbEUljE_ZNSN_ISO_Lb1ESQ_SR_ST_SU_SY_EESZ_S10_S11_S12_S16_S17_S18_S1B_S1C_jS1D_jS1E_S1E_jjS1G_bEUljE0_EEESZ_S10_S11_S18_S1C_S1E_T6_T7_T9_mT8_S1G_bDpT10_ENKUlT_T0_E_clISt17integral_constantIbLb1EES1T_IbLb0EEEEDaS1P_S1Q_EUlS1P_E_NS1_11comp_targetILNS1_3genE10ELNS1_11target_archE1200ELNS1_3gpuE4ELNS1_3repE0EEENS1_30default_config_static_selectorELNS0_4arch9wavefront6targetE0EEEvS12_.kd
    .uniform_work_group_size: 1
    .uses_dynamic_stack: false
    .vgpr_count:     0
    .vgpr_spill_count: 0
    .wavefront_size: 32
    .workgroup_processor_mode: 1
  - .args:
      - .offset:         0
        .size:           176
        .value_kind:     by_value
    .group_segment_fixed_size: 13340
    .kernarg_segment_align: 8
    .kernarg_segment_size: 176
    .language:       OpenCL C
    .language_version:
      - 2
      - 0
    .max_flat_workgroup_size: 256
    .name:           _ZN7rocprim17ROCPRIM_400000_NS6detail17trampoline_kernelINS0_13select_configILj256ELj13ELNS0_17block_load_methodE3ELS4_3ELS4_3ELNS0_20block_scan_algorithmE0ELj4294967295EEENS1_25partition_config_selectorILNS1_17partition_subalgoE4EjNS0_10empty_typeEbEEZZNS1_14partition_implILS8_4ELb0ES6_15HIP_vector_typeIjLj2EENS0_17counting_iteratorIjlEEPS9_SG_NS0_5tupleIJPjSI_NS0_16reverse_iteratorISI_EEEEENSH_IJSG_SG_SG_EEES9_SI_JZNS1_25segmented_radix_sort_implINS0_14default_configELb1EPKaPaPKlPlN2at6native12_GLOBAL__N_18offset_tEEE10hipError_tPvRmT1_PNSt15iterator_traitsIS12_E10value_typeET2_T3_PNS13_IS18_E10value_typeET4_jRbjT5_S1E_jjP12ihipStream_tbEUljE_ZNSN_ISO_Lb1ESQ_SR_ST_SU_SY_EESZ_S10_S11_S12_S16_S17_S18_S1B_S1C_jS1D_jS1E_S1E_jjS1G_bEUljE0_EEESZ_S10_S11_S18_S1C_S1E_T6_T7_T9_mT8_S1G_bDpT10_ENKUlT_T0_E_clISt17integral_constantIbLb1EES1T_IbLb0EEEEDaS1P_S1Q_EUlS1P_E_NS1_11comp_targetILNS1_3genE9ELNS1_11target_archE1100ELNS1_3gpuE3ELNS1_3repE0EEENS1_30default_config_static_selectorELNS0_4arch9wavefront6targetE0EEEvS12_
    .private_segment_fixed_size: 0
    .sgpr_count:     61
    .sgpr_spill_count: 0
    .symbol:         _ZN7rocprim17ROCPRIM_400000_NS6detail17trampoline_kernelINS0_13select_configILj256ELj13ELNS0_17block_load_methodE3ELS4_3ELS4_3ELNS0_20block_scan_algorithmE0ELj4294967295EEENS1_25partition_config_selectorILNS1_17partition_subalgoE4EjNS0_10empty_typeEbEEZZNS1_14partition_implILS8_4ELb0ES6_15HIP_vector_typeIjLj2EENS0_17counting_iteratorIjlEEPS9_SG_NS0_5tupleIJPjSI_NS0_16reverse_iteratorISI_EEEEENSH_IJSG_SG_SG_EEES9_SI_JZNS1_25segmented_radix_sort_implINS0_14default_configELb1EPKaPaPKlPlN2at6native12_GLOBAL__N_18offset_tEEE10hipError_tPvRmT1_PNSt15iterator_traitsIS12_E10value_typeET2_T3_PNS13_IS18_E10value_typeET4_jRbjT5_S1E_jjP12ihipStream_tbEUljE_ZNSN_ISO_Lb1ESQ_SR_ST_SU_SY_EESZ_S10_S11_S12_S16_S17_S18_S1B_S1C_jS1D_jS1E_S1E_jjS1G_bEUljE0_EEESZ_S10_S11_S18_S1C_S1E_T6_T7_T9_mT8_S1G_bDpT10_ENKUlT_T0_E_clISt17integral_constantIbLb1EES1T_IbLb0EEEEDaS1P_S1Q_EUlS1P_E_NS1_11comp_targetILNS1_3genE9ELNS1_11target_archE1100ELNS1_3gpuE3ELNS1_3repE0EEENS1_30default_config_static_selectorELNS0_4arch9wavefront6targetE0EEEvS12_.kd
    .uniform_work_group_size: 1
    .uses_dynamic_stack: false
    .vgpr_count:     98
    .vgpr_spill_count: 0
    .wavefront_size: 32
    .workgroup_processor_mode: 1
  - .args:
      - .offset:         0
        .size:           176
        .value_kind:     by_value
    .group_segment_fixed_size: 0
    .kernarg_segment_align: 8
    .kernarg_segment_size: 176
    .language:       OpenCL C
    .language_version:
      - 2
      - 0
    .max_flat_workgroup_size: 256
    .name:           _ZN7rocprim17ROCPRIM_400000_NS6detail17trampoline_kernelINS0_13select_configILj256ELj13ELNS0_17block_load_methodE3ELS4_3ELS4_3ELNS0_20block_scan_algorithmE0ELj4294967295EEENS1_25partition_config_selectorILNS1_17partition_subalgoE4EjNS0_10empty_typeEbEEZZNS1_14partition_implILS8_4ELb0ES6_15HIP_vector_typeIjLj2EENS0_17counting_iteratorIjlEEPS9_SG_NS0_5tupleIJPjSI_NS0_16reverse_iteratorISI_EEEEENSH_IJSG_SG_SG_EEES9_SI_JZNS1_25segmented_radix_sort_implINS0_14default_configELb1EPKaPaPKlPlN2at6native12_GLOBAL__N_18offset_tEEE10hipError_tPvRmT1_PNSt15iterator_traitsIS12_E10value_typeET2_T3_PNS13_IS18_E10value_typeET4_jRbjT5_S1E_jjP12ihipStream_tbEUljE_ZNSN_ISO_Lb1ESQ_SR_ST_SU_SY_EESZ_S10_S11_S12_S16_S17_S18_S1B_S1C_jS1D_jS1E_S1E_jjS1G_bEUljE0_EEESZ_S10_S11_S18_S1C_S1E_T6_T7_T9_mT8_S1G_bDpT10_ENKUlT_T0_E_clISt17integral_constantIbLb1EES1T_IbLb0EEEEDaS1P_S1Q_EUlS1P_E_NS1_11comp_targetILNS1_3genE8ELNS1_11target_archE1030ELNS1_3gpuE2ELNS1_3repE0EEENS1_30default_config_static_selectorELNS0_4arch9wavefront6targetE0EEEvS12_
    .private_segment_fixed_size: 0
    .sgpr_count:     0
    .sgpr_spill_count: 0
    .symbol:         _ZN7rocprim17ROCPRIM_400000_NS6detail17trampoline_kernelINS0_13select_configILj256ELj13ELNS0_17block_load_methodE3ELS4_3ELS4_3ELNS0_20block_scan_algorithmE0ELj4294967295EEENS1_25partition_config_selectorILNS1_17partition_subalgoE4EjNS0_10empty_typeEbEEZZNS1_14partition_implILS8_4ELb0ES6_15HIP_vector_typeIjLj2EENS0_17counting_iteratorIjlEEPS9_SG_NS0_5tupleIJPjSI_NS0_16reverse_iteratorISI_EEEEENSH_IJSG_SG_SG_EEES9_SI_JZNS1_25segmented_radix_sort_implINS0_14default_configELb1EPKaPaPKlPlN2at6native12_GLOBAL__N_18offset_tEEE10hipError_tPvRmT1_PNSt15iterator_traitsIS12_E10value_typeET2_T3_PNS13_IS18_E10value_typeET4_jRbjT5_S1E_jjP12ihipStream_tbEUljE_ZNSN_ISO_Lb1ESQ_SR_ST_SU_SY_EESZ_S10_S11_S12_S16_S17_S18_S1B_S1C_jS1D_jS1E_S1E_jjS1G_bEUljE0_EEESZ_S10_S11_S18_S1C_S1E_T6_T7_T9_mT8_S1G_bDpT10_ENKUlT_T0_E_clISt17integral_constantIbLb1EES1T_IbLb0EEEEDaS1P_S1Q_EUlS1P_E_NS1_11comp_targetILNS1_3genE8ELNS1_11target_archE1030ELNS1_3gpuE2ELNS1_3repE0EEENS1_30default_config_static_selectorELNS0_4arch9wavefront6targetE0EEEvS12_.kd
    .uniform_work_group_size: 1
    .uses_dynamic_stack: false
    .vgpr_count:     0
    .vgpr_spill_count: 0
    .wavefront_size: 32
    .workgroup_processor_mode: 1
  - .args:
      - .offset:         0
        .size:           184
        .value_kind:     by_value
    .group_segment_fixed_size: 0
    .kernarg_segment_align: 8
    .kernarg_segment_size: 184
    .language:       OpenCL C
    .language_version:
      - 2
      - 0
    .max_flat_workgroup_size: 256
    .name:           _ZN7rocprim17ROCPRIM_400000_NS6detail17trampoline_kernelINS0_13select_configILj256ELj13ELNS0_17block_load_methodE3ELS4_3ELS4_3ELNS0_20block_scan_algorithmE0ELj4294967295EEENS1_25partition_config_selectorILNS1_17partition_subalgoE4EjNS0_10empty_typeEbEEZZNS1_14partition_implILS8_4ELb0ES6_15HIP_vector_typeIjLj2EENS0_17counting_iteratorIjlEEPS9_SG_NS0_5tupleIJPjSI_NS0_16reverse_iteratorISI_EEEEENSH_IJSG_SG_SG_EEES9_SI_JZNS1_25segmented_radix_sort_implINS0_14default_configELb1EPKaPaPKlPlN2at6native12_GLOBAL__N_18offset_tEEE10hipError_tPvRmT1_PNSt15iterator_traitsIS12_E10value_typeET2_T3_PNS13_IS18_E10value_typeET4_jRbjT5_S1E_jjP12ihipStream_tbEUljE_ZNSN_ISO_Lb1ESQ_SR_ST_SU_SY_EESZ_S10_S11_S12_S16_S17_S18_S1B_S1C_jS1D_jS1E_S1E_jjS1G_bEUljE0_EEESZ_S10_S11_S18_S1C_S1E_T6_T7_T9_mT8_S1G_bDpT10_ENKUlT_T0_E_clISt17integral_constantIbLb0EES1T_IbLb1EEEEDaS1P_S1Q_EUlS1P_E_NS1_11comp_targetILNS1_3genE0ELNS1_11target_archE4294967295ELNS1_3gpuE0ELNS1_3repE0EEENS1_30default_config_static_selectorELNS0_4arch9wavefront6targetE0EEEvS12_
    .private_segment_fixed_size: 0
    .sgpr_count:     0
    .sgpr_spill_count: 0
    .symbol:         _ZN7rocprim17ROCPRIM_400000_NS6detail17trampoline_kernelINS0_13select_configILj256ELj13ELNS0_17block_load_methodE3ELS4_3ELS4_3ELNS0_20block_scan_algorithmE0ELj4294967295EEENS1_25partition_config_selectorILNS1_17partition_subalgoE4EjNS0_10empty_typeEbEEZZNS1_14partition_implILS8_4ELb0ES6_15HIP_vector_typeIjLj2EENS0_17counting_iteratorIjlEEPS9_SG_NS0_5tupleIJPjSI_NS0_16reverse_iteratorISI_EEEEENSH_IJSG_SG_SG_EEES9_SI_JZNS1_25segmented_radix_sort_implINS0_14default_configELb1EPKaPaPKlPlN2at6native12_GLOBAL__N_18offset_tEEE10hipError_tPvRmT1_PNSt15iterator_traitsIS12_E10value_typeET2_T3_PNS13_IS18_E10value_typeET4_jRbjT5_S1E_jjP12ihipStream_tbEUljE_ZNSN_ISO_Lb1ESQ_SR_ST_SU_SY_EESZ_S10_S11_S12_S16_S17_S18_S1B_S1C_jS1D_jS1E_S1E_jjS1G_bEUljE0_EEESZ_S10_S11_S18_S1C_S1E_T6_T7_T9_mT8_S1G_bDpT10_ENKUlT_T0_E_clISt17integral_constantIbLb0EES1T_IbLb1EEEEDaS1P_S1Q_EUlS1P_E_NS1_11comp_targetILNS1_3genE0ELNS1_11target_archE4294967295ELNS1_3gpuE0ELNS1_3repE0EEENS1_30default_config_static_selectorELNS0_4arch9wavefront6targetE0EEEvS12_.kd
    .uniform_work_group_size: 1
    .uses_dynamic_stack: false
    .vgpr_count:     0
    .vgpr_spill_count: 0
    .wavefront_size: 32
    .workgroup_processor_mode: 1
  - .args:
      - .offset:         0
        .size:           184
        .value_kind:     by_value
    .group_segment_fixed_size: 0
    .kernarg_segment_align: 8
    .kernarg_segment_size: 184
    .language:       OpenCL C
    .language_version:
      - 2
      - 0
    .max_flat_workgroup_size: 256
    .name:           _ZN7rocprim17ROCPRIM_400000_NS6detail17trampoline_kernelINS0_13select_configILj256ELj13ELNS0_17block_load_methodE3ELS4_3ELS4_3ELNS0_20block_scan_algorithmE0ELj4294967295EEENS1_25partition_config_selectorILNS1_17partition_subalgoE4EjNS0_10empty_typeEbEEZZNS1_14partition_implILS8_4ELb0ES6_15HIP_vector_typeIjLj2EENS0_17counting_iteratorIjlEEPS9_SG_NS0_5tupleIJPjSI_NS0_16reverse_iteratorISI_EEEEENSH_IJSG_SG_SG_EEES9_SI_JZNS1_25segmented_radix_sort_implINS0_14default_configELb1EPKaPaPKlPlN2at6native12_GLOBAL__N_18offset_tEEE10hipError_tPvRmT1_PNSt15iterator_traitsIS12_E10value_typeET2_T3_PNS13_IS18_E10value_typeET4_jRbjT5_S1E_jjP12ihipStream_tbEUljE_ZNSN_ISO_Lb1ESQ_SR_ST_SU_SY_EESZ_S10_S11_S12_S16_S17_S18_S1B_S1C_jS1D_jS1E_S1E_jjS1G_bEUljE0_EEESZ_S10_S11_S18_S1C_S1E_T6_T7_T9_mT8_S1G_bDpT10_ENKUlT_T0_E_clISt17integral_constantIbLb0EES1T_IbLb1EEEEDaS1P_S1Q_EUlS1P_E_NS1_11comp_targetILNS1_3genE5ELNS1_11target_archE942ELNS1_3gpuE9ELNS1_3repE0EEENS1_30default_config_static_selectorELNS0_4arch9wavefront6targetE0EEEvS12_
    .private_segment_fixed_size: 0
    .sgpr_count:     0
    .sgpr_spill_count: 0
    .symbol:         _ZN7rocprim17ROCPRIM_400000_NS6detail17trampoline_kernelINS0_13select_configILj256ELj13ELNS0_17block_load_methodE3ELS4_3ELS4_3ELNS0_20block_scan_algorithmE0ELj4294967295EEENS1_25partition_config_selectorILNS1_17partition_subalgoE4EjNS0_10empty_typeEbEEZZNS1_14partition_implILS8_4ELb0ES6_15HIP_vector_typeIjLj2EENS0_17counting_iteratorIjlEEPS9_SG_NS0_5tupleIJPjSI_NS0_16reverse_iteratorISI_EEEEENSH_IJSG_SG_SG_EEES9_SI_JZNS1_25segmented_radix_sort_implINS0_14default_configELb1EPKaPaPKlPlN2at6native12_GLOBAL__N_18offset_tEEE10hipError_tPvRmT1_PNSt15iterator_traitsIS12_E10value_typeET2_T3_PNS13_IS18_E10value_typeET4_jRbjT5_S1E_jjP12ihipStream_tbEUljE_ZNSN_ISO_Lb1ESQ_SR_ST_SU_SY_EESZ_S10_S11_S12_S16_S17_S18_S1B_S1C_jS1D_jS1E_S1E_jjS1G_bEUljE0_EEESZ_S10_S11_S18_S1C_S1E_T6_T7_T9_mT8_S1G_bDpT10_ENKUlT_T0_E_clISt17integral_constantIbLb0EES1T_IbLb1EEEEDaS1P_S1Q_EUlS1P_E_NS1_11comp_targetILNS1_3genE5ELNS1_11target_archE942ELNS1_3gpuE9ELNS1_3repE0EEENS1_30default_config_static_selectorELNS0_4arch9wavefront6targetE0EEEvS12_.kd
    .uniform_work_group_size: 1
    .uses_dynamic_stack: false
    .vgpr_count:     0
    .vgpr_spill_count: 0
    .wavefront_size: 32
    .workgroup_processor_mode: 1
  - .args:
      - .offset:         0
        .size:           184
        .value_kind:     by_value
    .group_segment_fixed_size: 0
    .kernarg_segment_align: 8
    .kernarg_segment_size: 184
    .language:       OpenCL C
    .language_version:
      - 2
      - 0
    .max_flat_workgroup_size: 256
    .name:           _ZN7rocprim17ROCPRIM_400000_NS6detail17trampoline_kernelINS0_13select_configILj256ELj13ELNS0_17block_load_methodE3ELS4_3ELS4_3ELNS0_20block_scan_algorithmE0ELj4294967295EEENS1_25partition_config_selectorILNS1_17partition_subalgoE4EjNS0_10empty_typeEbEEZZNS1_14partition_implILS8_4ELb0ES6_15HIP_vector_typeIjLj2EENS0_17counting_iteratorIjlEEPS9_SG_NS0_5tupleIJPjSI_NS0_16reverse_iteratorISI_EEEEENSH_IJSG_SG_SG_EEES9_SI_JZNS1_25segmented_radix_sort_implINS0_14default_configELb1EPKaPaPKlPlN2at6native12_GLOBAL__N_18offset_tEEE10hipError_tPvRmT1_PNSt15iterator_traitsIS12_E10value_typeET2_T3_PNS13_IS18_E10value_typeET4_jRbjT5_S1E_jjP12ihipStream_tbEUljE_ZNSN_ISO_Lb1ESQ_SR_ST_SU_SY_EESZ_S10_S11_S12_S16_S17_S18_S1B_S1C_jS1D_jS1E_S1E_jjS1G_bEUljE0_EEESZ_S10_S11_S18_S1C_S1E_T6_T7_T9_mT8_S1G_bDpT10_ENKUlT_T0_E_clISt17integral_constantIbLb0EES1T_IbLb1EEEEDaS1P_S1Q_EUlS1P_E_NS1_11comp_targetILNS1_3genE4ELNS1_11target_archE910ELNS1_3gpuE8ELNS1_3repE0EEENS1_30default_config_static_selectorELNS0_4arch9wavefront6targetE0EEEvS12_
    .private_segment_fixed_size: 0
    .sgpr_count:     0
    .sgpr_spill_count: 0
    .symbol:         _ZN7rocprim17ROCPRIM_400000_NS6detail17trampoline_kernelINS0_13select_configILj256ELj13ELNS0_17block_load_methodE3ELS4_3ELS4_3ELNS0_20block_scan_algorithmE0ELj4294967295EEENS1_25partition_config_selectorILNS1_17partition_subalgoE4EjNS0_10empty_typeEbEEZZNS1_14partition_implILS8_4ELb0ES6_15HIP_vector_typeIjLj2EENS0_17counting_iteratorIjlEEPS9_SG_NS0_5tupleIJPjSI_NS0_16reverse_iteratorISI_EEEEENSH_IJSG_SG_SG_EEES9_SI_JZNS1_25segmented_radix_sort_implINS0_14default_configELb1EPKaPaPKlPlN2at6native12_GLOBAL__N_18offset_tEEE10hipError_tPvRmT1_PNSt15iterator_traitsIS12_E10value_typeET2_T3_PNS13_IS18_E10value_typeET4_jRbjT5_S1E_jjP12ihipStream_tbEUljE_ZNSN_ISO_Lb1ESQ_SR_ST_SU_SY_EESZ_S10_S11_S12_S16_S17_S18_S1B_S1C_jS1D_jS1E_S1E_jjS1G_bEUljE0_EEESZ_S10_S11_S18_S1C_S1E_T6_T7_T9_mT8_S1G_bDpT10_ENKUlT_T0_E_clISt17integral_constantIbLb0EES1T_IbLb1EEEEDaS1P_S1Q_EUlS1P_E_NS1_11comp_targetILNS1_3genE4ELNS1_11target_archE910ELNS1_3gpuE8ELNS1_3repE0EEENS1_30default_config_static_selectorELNS0_4arch9wavefront6targetE0EEEvS12_.kd
    .uniform_work_group_size: 1
    .uses_dynamic_stack: false
    .vgpr_count:     0
    .vgpr_spill_count: 0
    .wavefront_size: 32
    .workgroup_processor_mode: 1
  - .args:
      - .offset:         0
        .size:           184
        .value_kind:     by_value
    .group_segment_fixed_size: 0
    .kernarg_segment_align: 8
    .kernarg_segment_size: 184
    .language:       OpenCL C
    .language_version:
      - 2
      - 0
    .max_flat_workgroup_size: 256
    .name:           _ZN7rocprim17ROCPRIM_400000_NS6detail17trampoline_kernelINS0_13select_configILj256ELj13ELNS0_17block_load_methodE3ELS4_3ELS4_3ELNS0_20block_scan_algorithmE0ELj4294967295EEENS1_25partition_config_selectorILNS1_17partition_subalgoE4EjNS0_10empty_typeEbEEZZNS1_14partition_implILS8_4ELb0ES6_15HIP_vector_typeIjLj2EENS0_17counting_iteratorIjlEEPS9_SG_NS0_5tupleIJPjSI_NS0_16reverse_iteratorISI_EEEEENSH_IJSG_SG_SG_EEES9_SI_JZNS1_25segmented_radix_sort_implINS0_14default_configELb1EPKaPaPKlPlN2at6native12_GLOBAL__N_18offset_tEEE10hipError_tPvRmT1_PNSt15iterator_traitsIS12_E10value_typeET2_T3_PNS13_IS18_E10value_typeET4_jRbjT5_S1E_jjP12ihipStream_tbEUljE_ZNSN_ISO_Lb1ESQ_SR_ST_SU_SY_EESZ_S10_S11_S12_S16_S17_S18_S1B_S1C_jS1D_jS1E_S1E_jjS1G_bEUljE0_EEESZ_S10_S11_S18_S1C_S1E_T6_T7_T9_mT8_S1G_bDpT10_ENKUlT_T0_E_clISt17integral_constantIbLb0EES1T_IbLb1EEEEDaS1P_S1Q_EUlS1P_E_NS1_11comp_targetILNS1_3genE3ELNS1_11target_archE908ELNS1_3gpuE7ELNS1_3repE0EEENS1_30default_config_static_selectorELNS0_4arch9wavefront6targetE0EEEvS12_
    .private_segment_fixed_size: 0
    .sgpr_count:     0
    .sgpr_spill_count: 0
    .symbol:         _ZN7rocprim17ROCPRIM_400000_NS6detail17trampoline_kernelINS0_13select_configILj256ELj13ELNS0_17block_load_methodE3ELS4_3ELS4_3ELNS0_20block_scan_algorithmE0ELj4294967295EEENS1_25partition_config_selectorILNS1_17partition_subalgoE4EjNS0_10empty_typeEbEEZZNS1_14partition_implILS8_4ELb0ES6_15HIP_vector_typeIjLj2EENS0_17counting_iteratorIjlEEPS9_SG_NS0_5tupleIJPjSI_NS0_16reverse_iteratorISI_EEEEENSH_IJSG_SG_SG_EEES9_SI_JZNS1_25segmented_radix_sort_implINS0_14default_configELb1EPKaPaPKlPlN2at6native12_GLOBAL__N_18offset_tEEE10hipError_tPvRmT1_PNSt15iterator_traitsIS12_E10value_typeET2_T3_PNS13_IS18_E10value_typeET4_jRbjT5_S1E_jjP12ihipStream_tbEUljE_ZNSN_ISO_Lb1ESQ_SR_ST_SU_SY_EESZ_S10_S11_S12_S16_S17_S18_S1B_S1C_jS1D_jS1E_S1E_jjS1G_bEUljE0_EEESZ_S10_S11_S18_S1C_S1E_T6_T7_T9_mT8_S1G_bDpT10_ENKUlT_T0_E_clISt17integral_constantIbLb0EES1T_IbLb1EEEEDaS1P_S1Q_EUlS1P_E_NS1_11comp_targetILNS1_3genE3ELNS1_11target_archE908ELNS1_3gpuE7ELNS1_3repE0EEENS1_30default_config_static_selectorELNS0_4arch9wavefront6targetE0EEEvS12_.kd
    .uniform_work_group_size: 1
    .uses_dynamic_stack: false
    .vgpr_count:     0
    .vgpr_spill_count: 0
    .wavefront_size: 32
    .workgroup_processor_mode: 1
  - .args:
      - .offset:         0
        .size:           184
        .value_kind:     by_value
    .group_segment_fixed_size: 0
    .kernarg_segment_align: 8
    .kernarg_segment_size: 184
    .language:       OpenCL C
    .language_version:
      - 2
      - 0
    .max_flat_workgroup_size: 256
    .name:           _ZN7rocprim17ROCPRIM_400000_NS6detail17trampoline_kernelINS0_13select_configILj256ELj13ELNS0_17block_load_methodE3ELS4_3ELS4_3ELNS0_20block_scan_algorithmE0ELj4294967295EEENS1_25partition_config_selectorILNS1_17partition_subalgoE4EjNS0_10empty_typeEbEEZZNS1_14partition_implILS8_4ELb0ES6_15HIP_vector_typeIjLj2EENS0_17counting_iteratorIjlEEPS9_SG_NS0_5tupleIJPjSI_NS0_16reverse_iteratorISI_EEEEENSH_IJSG_SG_SG_EEES9_SI_JZNS1_25segmented_radix_sort_implINS0_14default_configELb1EPKaPaPKlPlN2at6native12_GLOBAL__N_18offset_tEEE10hipError_tPvRmT1_PNSt15iterator_traitsIS12_E10value_typeET2_T3_PNS13_IS18_E10value_typeET4_jRbjT5_S1E_jjP12ihipStream_tbEUljE_ZNSN_ISO_Lb1ESQ_SR_ST_SU_SY_EESZ_S10_S11_S12_S16_S17_S18_S1B_S1C_jS1D_jS1E_S1E_jjS1G_bEUljE0_EEESZ_S10_S11_S18_S1C_S1E_T6_T7_T9_mT8_S1G_bDpT10_ENKUlT_T0_E_clISt17integral_constantIbLb0EES1T_IbLb1EEEEDaS1P_S1Q_EUlS1P_E_NS1_11comp_targetILNS1_3genE2ELNS1_11target_archE906ELNS1_3gpuE6ELNS1_3repE0EEENS1_30default_config_static_selectorELNS0_4arch9wavefront6targetE0EEEvS12_
    .private_segment_fixed_size: 0
    .sgpr_count:     0
    .sgpr_spill_count: 0
    .symbol:         _ZN7rocprim17ROCPRIM_400000_NS6detail17trampoline_kernelINS0_13select_configILj256ELj13ELNS0_17block_load_methodE3ELS4_3ELS4_3ELNS0_20block_scan_algorithmE0ELj4294967295EEENS1_25partition_config_selectorILNS1_17partition_subalgoE4EjNS0_10empty_typeEbEEZZNS1_14partition_implILS8_4ELb0ES6_15HIP_vector_typeIjLj2EENS0_17counting_iteratorIjlEEPS9_SG_NS0_5tupleIJPjSI_NS0_16reverse_iteratorISI_EEEEENSH_IJSG_SG_SG_EEES9_SI_JZNS1_25segmented_radix_sort_implINS0_14default_configELb1EPKaPaPKlPlN2at6native12_GLOBAL__N_18offset_tEEE10hipError_tPvRmT1_PNSt15iterator_traitsIS12_E10value_typeET2_T3_PNS13_IS18_E10value_typeET4_jRbjT5_S1E_jjP12ihipStream_tbEUljE_ZNSN_ISO_Lb1ESQ_SR_ST_SU_SY_EESZ_S10_S11_S12_S16_S17_S18_S1B_S1C_jS1D_jS1E_S1E_jjS1G_bEUljE0_EEESZ_S10_S11_S18_S1C_S1E_T6_T7_T9_mT8_S1G_bDpT10_ENKUlT_T0_E_clISt17integral_constantIbLb0EES1T_IbLb1EEEEDaS1P_S1Q_EUlS1P_E_NS1_11comp_targetILNS1_3genE2ELNS1_11target_archE906ELNS1_3gpuE6ELNS1_3repE0EEENS1_30default_config_static_selectorELNS0_4arch9wavefront6targetE0EEEvS12_.kd
    .uniform_work_group_size: 1
    .uses_dynamic_stack: false
    .vgpr_count:     0
    .vgpr_spill_count: 0
    .wavefront_size: 32
    .workgroup_processor_mode: 1
  - .args:
      - .offset:         0
        .size:           184
        .value_kind:     by_value
    .group_segment_fixed_size: 0
    .kernarg_segment_align: 8
    .kernarg_segment_size: 184
    .language:       OpenCL C
    .language_version:
      - 2
      - 0
    .max_flat_workgroup_size: 256
    .name:           _ZN7rocprim17ROCPRIM_400000_NS6detail17trampoline_kernelINS0_13select_configILj256ELj13ELNS0_17block_load_methodE3ELS4_3ELS4_3ELNS0_20block_scan_algorithmE0ELj4294967295EEENS1_25partition_config_selectorILNS1_17partition_subalgoE4EjNS0_10empty_typeEbEEZZNS1_14partition_implILS8_4ELb0ES6_15HIP_vector_typeIjLj2EENS0_17counting_iteratorIjlEEPS9_SG_NS0_5tupleIJPjSI_NS0_16reverse_iteratorISI_EEEEENSH_IJSG_SG_SG_EEES9_SI_JZNS1_25segmented_radix_sort_implINS0_14default_configELb1EPKaPaPKlPlN2at6native12_GLOBAL__N_18offset_tEEE10hipError_tPvRmT1_PNSt15iterator_traitsIS12_E10value_typeET2_T3_PNS13_IS18_E10value_typeET4_jRbjT5_S1E_jjP12ihipStream_tbEUljE_ZNSN_ISO_Lb1ESQ_SR_ST_SU_SY_EESZ_S10_S11_S12_S16_S17_S18_S1B_S1C_jS1D_jS1E_S1E_jjS1G_bEUljE0_EEESZ_S10_S11_S18_S1C_S1E_T6_T7_T9_mT8_S1G_bDpT10_ENKUlT_T0_E_clISt17integral_constantIbLb0EES1T_IbLb1EEEEDaS1P_S1Q_EUlS1P_E_NS1_11comp_targetILNS1_3genE10ELNS1_11target_archE1200ELNS1_3gpuE4ELNS1_3repE0EEENS1_30default_config_static_selectorELNS0_4arch9wavefront6targetE0EEEvS12_
    .private_segment_fixed_size: 0
    .sgpr_count:     0
    .sgpr_spill_count: 0
    .symbol:         _ZN7rocprim17ROCPRIM_400000_NS6detail17trampoline_kernelINS0_13select_configILj256ELj13ELNS0_17block_load_methodE3ELS4_3ELS4_3ELNS0_20block_scan_algorithmE0ELj4294967295EEENS1_25partition_config_selectorILNS1_17partition_subalgoE4EjNS0_10empty_typeEbEEZZNS1_14partition_implILS8_4ELb0ES6_15HIP_vector_typeIjLj2EENS0_17counting_iteratorIjlEEPS9_SG_NS0_5tupleIJPjSI_NS0_16reverse_iteratorISI_EEEEENSH_IJSG_SG_SG_EEES9_SI_JZNS1_25segmented_radix_sort_implINS0_14default_configELb1EPKaPaPKlPlN2at6native12_GLOBAL__N_18offset_tEEE10hipError_tPvRmT1_PNSt15iterator_traitsIS12_E10value_typeET2_T3_PNS13_IS18_E10value_typeET4_jRbjT5_S1E_jjP12ihipStream_tbEUljE_ZNSN_ISO_Lb1ESQ_SR_ST_SU_SY_EESZ_S10_S11_S12_S16_S17_S18_S1B_S1C_jS1D_jS1E_S1E_jjS1G_bEUljE0_EEESZ_S10_S11_S18_S1C_S1E_T6_T7_T9_mT8_S1G_bDpT10_ENKUlT_T0_E_clISt17integral_constantIbLb0EES1T_IbLb1EEEEDaS1P_S1Q_EUlS1P_E_NS1_11comp_targetILNS1_3genE10ELNS1_11target_archE1200ELNS1_3gpuE4ELNS1_3repE0EEENS1_30default_config_static_selectorELNS0_4arch9wavefront6targetE0EEEvS12_.kd
    .uniform_work_group_size: 1
    .uses_dynamic_stack: false
    .vgpr_count:     0
    .vgpr_spill_count: 0
    .wavefront_size: 32
    .workgroup_processor_mode: 1
  - .args:
      - .offset:         0
        .size:           184
        .value_kind:     by_value
    .group_segment_fixed_size: 13340
    .kernarg_segment_align: 8
    .kernarg_segment_size: 184
    .language:       OpenCL C
    .language_version:
      - 2
      - 0
    .max_flat_workgroup_size: 256
    .name:           _ZN7rocprim17ROCPRIM_400000_NS6detail17trampoline_kernelINS0_13select_configILj256ELj13ELNS0_17block_load_methodE3ELS4_3ELS4_3ELNS0_20block_scan_algorithmE0ELj4294967295EEENS1_25partition_config_selectorILNS1_17partition_subalgoE4EjNS0_10empty_typeEbEEZZNS1_14partition_implILS8_4ELb0ES6_15HIP_vector_typeIjLj2EENS0_17counting_iteratorIjlEEPS9_SG_NS0_5tupleIJPjSI_NS0_16reverse_iteratorISI_EEEEENSH_IJSG_SG_SG_EEES9_SI_JZNS1_25segmented_radix_sort_implINS0_14default_configELb1EPKaPaPKlPlN2at6native12_GLOBAL__N_18offset_tEEE10hipError_tPvRmT1_PNSt15iterator_traitsIS12_E10value_typeET2_T3_PNS13_IS18_E10value_typeET4_jRbjT5_S1E_jjP12ihipStream_tbEUljE_ZNSN_ISO_Lb1ESQ_SR_ST_SU_SY_EESZ_S10_S11_S12_S16_S17_S18_S1B_S1C_jS1D_jS1E_S1E_jjS1G_bEUljE0_EEESZ_S10_S11_S18_S1C_S1E_T6_T7_T9_mT8_S1G_bDpT10_ENKUlT_T0_E_clISt17integral_constantIbLb0EES1T_IbLb1EEEEDaS1P_S1Q_EUlS1P_E_NS1_11comp_targetILNS1_3genE9ELNS1_11target_archE1100ELNS1_3gpuE3ELNS1_3repE0EEENS1_30default_config_static_selectorELNS0_4arch9wavefront6targetE0EEEvS12_
    .private_segment_fixed_size: 0
    .sgpr_count:     57
    .sgpr_spill_count: 0
    .symbol:         _ZN7rocprim17ROCPRIM_400000_NS6detail17trampoline_kernelINS0_13select_configILj256ELj13ELNS0_17block_load_methodE3ELS4_3ELS4_3ELNS0_20block_scan_algorithmE0ELj4294967295EEENS1_25partition_config_selectorILNS1_17partition_subalgoE4EjNS0_10empty_typeEbEEZZNS1_14partition_implILS8_4ELb0ES6_15HIP_vector_typeIjLj2EENS0_17counting_iteratorIjlEEPS9_SG_NS0_5tupleIJPjSI_NS0_16reverse_iteratorISI_EEEEENSH_IJSG_SG_SG_EEES9_SI_JZNS1_25segmented_radix_sort_implINS0_14default_configELb1EPKaPaPKlPlN2at6native12_GLOBAL__N_18offset_tEEE10hipError_tPvRmT1_PNSt15iterator_traitsIS12_E10value_typeET2_T3_PNS13_IS18_E10value_typeET4_jRbjT5_S1E_jjP12ihipStream_tbEUljE_ZNSN_ISO_Lb1ESQ_SR_ST_SU_SY_EESZ_S10_S11_S12_S16_S17_S18_S1B_S1C_jS1D_jS1E_S1E_jjS1G_bEUljE0_EEESZ_S10_S11_S18_S1C_S1E_T6_T7_T9_mT8_S1G_bDpT10_ENKUlT_T0_E_clISt17integral_constantIbLb0EES1T_IbLb1EEEEDaS1P_S1Q_EUlS1P_E_NS1_11comp_targetILNS1_3genE9ELNS1_11target_archE1100ELNS1_3gpuE3ELNS1_3repE0EEENS1_30default_config_static_selectorELNS0_4arch9wavefront6targetE0EEEvS12_.kd
    .uniform_work_group_size: 1
    .uses_dynamic_stack: false
    .vgpr_count:     103
    .vgpr_spill_count: 0
    .wavefront_size: 32
    .workgroup_processor_mode: 1
  - .args:
      - .offset:         0
        .size:           184
        .value_kind:     by_value
    .group_segment_fixed_size: 0
    .kernarg_segment_align: 8
    .kernarg_segment_size: 184
    .language:       OpenCL C
    .language_version:
      - 2
      - 0
    .max_flat_workgroup_size: 256
    .name:           _ZN7rocprim17ROCPRIM_400000_NS6detail17trampoline_kernelINS0_13select_configILj256ELj13ELNS0_17block_load_methodE3ELS4_3ELS4_3ELNS0_20block_scan_algorithmE0ELj4294967295EEENS1_25partition_config_selectorILNS1_17partition_subalgoE4EjNS0_10empty_typeEbEEZZNS1_14partition_implILS8_4ELb0ES6_15HIP_vector_typeIjLj2EENS0_17counting_iteratorIjlEEPS9_SG_NS0_5tupleIJPjSI_NS0_16reverse_iteratorISI_EEEEENSH_IJSG_SG_SG_EEES9_SI_JZNS1_25segmented_radix_sort_implINS0_14default_configELb1EPKaPaPKlPlN2at6native12_GLOBAL__N_18offset_tEEE10hipError_tPvRmT1_PNSt15iterator_traitsIS12_E10value_typeET2_T3_PNS13_IS18_E10value_typeET4_jRbjT5_S1E_jjP12ihipStream_tbEUljE_ZNSN_ISO_Lb1ESQ_SR_ST_SU_SY_EESZ_S10_S11_S12_S16_S17_S18_S1B_S1C_jS1D_jS1E_S1E_jjS1G_bEUljE0_EEESZ_S10_S11_S18_S1C_S1E_T6_T7_T9_mT8_S1G_bDpT10_ENKUlT_T0_E_clISt17integral_constantIbLb0EES1T_IbLb1EEEEDaS1P_S1Q_EUlS1P_E_NS1_11comp_targetILNS1_3genE8ELNS1_11target_archE1030ELNS1_3gpuE2ELNS1_3repE0EEENS1_30default_config_static_selectorELNS0_4arch9wavefront6targetE0EEEvS12_
    .private_segment_fixed_size: 0
    .sgpr_count:     0
    .sgpr_spill_count: 0
    .symbol:         _ZN7rocprim17ROCPRIM_400000_NS6detail17trampoline_kernelINS0_13select_configILj256ELj13ELNS0_17block_load_methodE3ELS4_3ELS4_3ELNS0_20block_scan_algorithmE0ELj4294967295EEENS1_25partition_config_selectorILNS1_17partition_subalgoE4EjNS0_10empty_typeEbEEZZNS1_14partition_implILS8_4ELb0ES6_15HIP_vector_typeIjLj2EENS0_17counting_iteratorIjlEEPS9_SG_NS0_5tupleIJPjSI_NS0_16reverse_iteratorISI_EEEEENSH_IJSG_SG_SG_EEES9_SI_JZNS1_25segmented_radix_sort_implINS0_14default_configELb1EPKaPaPKlPlN2at6native12_GLOBAL__N_18offset_tEEE10hipError_tPvRmT1_PNSt15iterator_traitsIS12_E10value_typeET2_T3_PNS13_IS18_E10value_typeET4_jRbjT5_S1E_jjP12ihipStream_tbEUljE_ZNSN_ISO_Lb1ESQ_SR_ST_SU_SY_EESZ_S10_S11_S12_S16_S17_S18_S1B_S1C_jS1D_jS1E_S1E_jjS1G_bEUljE0_EEESZ_S10_S11_S18_S1C_S1E_T6_T7_T9_mT8_S1G_bDpT10_ENKUlT_T0_E_clISt17integral_constantIbLb0EES1T_IbLb1EEEEDaS1P_S1Q_EUlS1P_E_NS1_11comp_targetILNS1_3genE8ELNS1_11target_archE1030ELNS1_3gpuE2ELNS1_3repE0EEENS1_30default_config_static_selectorELNS0_4arch9wavefront6targetE0EEEvS12_.kd
    .uniform_work_group_size: 1
    .uses_dynamic_stack: false
    .vgpr_count:     0
    .vgpr_spill_count: 0
    .wavefront_size: 32
    .workgroup_processor_mode: 1
  - .args:
      - .offset:         0
        .size:           144
        .value_kind:     by_value
    .group_segment_fixed_size: 0
    .kernarg_segment_align: 8
    .kernarg_segment_size: 144
    .language:       OpenCL C
    .language_version:
      - 2
      - 0
    .max_flat_workgroup_size: 256
    .name:           _ZN7rocprim17ROCPRIM_400000_NS6detail17trampoline_kernelINS0_13select_configILj256ELj13ELNS0_17block_load_methodE3ELS4_3ELS4_3ELNS0_20block_scan_algorithmE0ELj4294967295EEENS1_25partition_config_selectorILNS1_17partition_subalgoE3EjNS0_10empty_typeEbEEZZNS1_14partition_implILS8_3ELb0ES6_jNS0_17counting_iteratorIjlEEPS9_SE_NS0_5tupleIJPjSE_EEENSF_IJSE_SE_EEES9_SG_JZNS1_25segmented_radix_sort_implINS0_14default_configELb1EPKaPaPKlPlN2at6native12_GLOBAL__N_18offset_tEEE10hipError_tPvRmT1_PNSt15iterator_traitsISY_E10value_typeET2_T3_PNSZ_IS14_E10value_typeET4_jRbjT5_S1A_jjP12ihipStream_tbEUljE_EEESV_SW_SX_S14_S18_S1A_T6_T7_T9_mT8_S1C_bDpT10_ENKUlT_T0_E_clISt17integral_constantIbLb0EES1P_EEDaS1K_S1L_EUlS1K_E_NS1_11comp_targetILNS1_3genE0ELNS1_11target_archE4294967295ELNS1_3gpuE0ELNS1_3repE0EEENS1_30default_config_static_selectorELNS0_4arch9wavefront6targetE0EEEvSY_
    .private_segment_fixed_size: 0
    .sgpr_count:     0
    .sgpr_spill_count: 0
    .symbol:         _ZN7rocprim17ROCPRIM_400000_NS6detail17trampoline_kernelINS0_13select_configILj256ELj13ELNS0_17block_load_methodE3ELS4_3ELS4_3ELNS0_20block_scan_algorithmE0ELj4294967295EEENS1_25partition_config_selectorILNS1_17partition_subalgoE3EjNS0_10empty_typeEbEEZZNS1_14partition_implILS8_3ELb0ES6_jNS0_17counting_iteratorIjlEEPS9_SE_NS0_5tupleIJPjSE_EEENSF_IJSE_SE_EEES9_SG_JZNS1_25segmented_radix_sort_implINS0_14default_configELb1EPKaPaPKlPlN2at6native12_GLOBAL__N_18offset_tEEE10hipError_tPvRmT1_PNSt15iterator_traitsISY_E10value_typeET2_T3_PNSZ_IS14_E10value_typeET4_jRbjT5_S1A_jjP12ihipStream_tbEUljE_EEESV_SW_SX_S14_S18_S1A_T6_T7_T9_mT8_S1C_bDpT10_ENKUlT_T0_E_clISt17integral_constantIbLb0EES1P_EEDaS1K_S1L_EUlS1K_E_NS1_11comp_targetILNS1_3genE0ELNS1_11target_archE4294967295ELNS1_3gpuE0ELNS1_3repE0EEENS1_30default_config_static_selectorELNS0_4arch9wavefront6targetE0EEEvSY_.kd
    .uniform_work_group_size: 1
    .uses_dynamic_stack: false
    .vgpr_count:     0
    .vgpr_spill_count: 0
    .wavefront_size: 32
    .workgroup_processor_mode: 1
  - .args:
      - .offset:         0
        .size:           144
        .value_kind:     by_value
    .group_segment_fixed_size: 0
    .kernarg_segment_align: 8
    .kernarg_segment_size: 144
    .language:       OpenCL C
    .language_version:
      - 2
      - 0
    .max_flat_workgroup_size: 256
    .name:           _ZN7rocprim17ROCPRIM_400000_NS6detail17trampoline_kernelINS0_13select_configILj256ELj13ELNS0_17block_load_methodE3ELS4_3ELS4_3ELNS0_20block_scan_algorithmE0ELj4294967295EEENS1_25partition_config_selectorILNS1_17partition_subalgoE3EjNS0_10empty_typeEbEEZZNS1_14partition_implILS8_3ELb0ES6_jNS0_17counting_iteratorIjlEEPS9_SE_NS0_5tupleIJPjSE_EEENSF_IJSE_SE_EEES9_SG_JZNS1_25segmented_radix_sort_implINS0_14default_configELb1EPKaPaPKlPlN2at6native12_GLOBAL__N_18offset_tEEE10hipError_tPvRmT1_PNSt15iterator_traitsISY_E10value_typeET2_T3_PNSZ_IS14_E10value_typeET4_jRbjT5_S1A_jjP12ihipStream_tbEUljE_EEESV_SW_SX_S14_S18_S1A_T6_T7_T9_mT8_S1C_bDpT10_ENKUlT_T0_E_clISt17integral_constantIbLb0EES1P_EEDaS1K_S1L_EUlS1K_E_NS1_11comp_targetILNS1_3genE5ELNS1_11target_archE942ELNS1_3gpuE9ELNS1_3repE0EEENS1_30default_config_static_selectorELNS0_4arch9wavefront6targetE0EEEvSY_
    .private_segment_fixed_size: 0
    .sgpr_count:     0
    .sgpr_spill_count: 0
    .symbol:         _ZN7rocprim17ROCPRIM_400000_NS6detail17trampoline_kernelINS0_13select_configILj256ELj13ELNS0_17block_load_methodE3ELS4_3ELS4_3ELNS0_20block_scan_algorithmE0ELj4294967295EEENS1_25partition_config_selectorILNS1_17partition_subalgoE3EjNS0_10empty_typeEbEEZZNS1_14partition_implILS8_3ELb0ES6_jNS0_17counting_iteratorIjlEEPS9_SE_NS0_5tupleIJPjSE_EEENSF_IJSE_SE_EEES9_SG_JZNS1_25segmented_radix_sort_implINS0_14default_configELb1EPKaPaPKlPlN2at6native12_GLOBAL__N_18offset_tEEE10hipError_tPvRmT1_PNSt15iterator_traitsISY_E10value_typeET2_T3_PNSZ_IS14_E10value_typeET4_jRbjT5_S1A_jjP12ihipStream_tbEUljE_EEESV_SW_SX_S14_S18_S1A_T6_T7_T9_mT8_S1C_bDpT10_ENKUlT_T0_E_clISt17integral_constantIbLb0EES1P_EEDaS1K_S1L_EUlS1K_E_NS1_11comp_targetILNS1_3genE5ELNS1_11target_archE942ELNS1_3gpuE9ELNS1_3repE0EEENS1_30default_config_static_selectorELNS0_4arch9wavefront6targetE0EEEvSY_.kd
    .uniform_work_group_size: 1
    .uses_dynamic_stack: false
    .vgpr_count:     0
    .vgpr_spill_count: 0
    .wavefront_size: 32
    .workgroup_processor_mode: 1
  - .args:
      - .offset:         0
        .size:           144
        .value_kind:     by_value
    .group_segment_fixed_size: 0
    .kernarg_segment_align: 8
    .kernarg_segment_size: 144
    .language:       OpenCL C
    .language_version:
      - 2
      - 0
    .max_flat_workgroup_size: 256
    .name:           _ZN7rocprim17ROCPRIM_400000_NS6detail17trampoline_kernelINS0_13select_configILj256ELj13ELNS0_17block_load_methodE3ELS4_3ELS4_3ELNS0_20block_scan_algorithmE0ELj4294967295EEENS1_25partition_config_selectorILNS1_17partition_subalgoE3EjNS0_10empty_typeEbEEZZNS1_14partition_implILS8_3ELb0ES6_jNS0_17counting_iteratorIjlEEPS9_SE_NS0_5tupleIJPjSE_EEENSF_IJSE_SE_EEES9_SG_JZNS1_25segmented_radix_sort_implINS0_14default_configELb1EPKaPaPKlPlN2at6native12_GLOBAL__N_18offset_tEEE10hipError_tPvRmT1_PNSt15iterator_traitsISY_E10value_typeET2_T3_PNSZ_IS14_E10value_typeET4_jRbjT5_S1A_jjP12ihipStream_tbEUljE_EEESV_SW_SX_S14_S18_S1A_T6_T7_T9_mT8_S1C_bDpT10_ENKUlT_T0_E_clISt17integral_constantIbLb0EES1P_EEDaS1K_S1L_EUlS1K_E_NS1_11comp_targetILNS1_3genE4ELNS1_11target_archE910ELNS1_3gpuE8ELNS1_3repE0EEENS1_30default_config_static_selectorELNS0_4arch9wavefront6targetE0EEEvSY_
    .private_segment_fixed_size: 0
    .sgpr_count:     0
    .sgpr_spill_count: 0
    .symbol:         _ZN7rocprim17ROCPRIM_400000_NS6detail17trampoline_kernelINS0_13select_configILj256ELj13ELNS0_17block_load_methodE3ELS4_3ELS4_3ELNS0_20block_scan_algorithmE0ELj4294967295EEENS1_25partition_config_selectorILNS1_17partition_subalgoE3EjNS0_10empty_typeEbEEZZNS1_14partition_implILS8_3ELb0ES6_jNS0_17counting_iteratorIjlEEPS9_SE_NS0_5tupleIJPjSE_EEENSF_IJSE_SE_EEES9_SG_JZNS1_25segmented_radix_sort_implINS0_14default_configELb1EPKaPaPKlPlN2at6native12_GLOBAL__N_18offset_tEEE10hipError_tPvRmT1_PNSt15iterator_traitsISY_E10value_typeET2_T3_PNSZ_IS14_E10value_typeET4_jRbjT5_S1A_jjP12ihipStream_tbEUljE_EEESV_SW_SX_S14_S18_S1A_T6_T7_T9_mT8_S1C_bDpT10_ENKUlT_T0_E_clISt17integral_constantIbLb0EES1P_EEDaS1K_S1L_EUlS1K_E_NS1_11comp_targetILNS1_3genE4ELNS1_11target_archE910ELNS1_3gpuE8ELNS1_3repE0EEENS1_30default_config_static_selectorELNS0_4arch9wavefront6targetE0EEEvSY_.kd
    .uniform_work_group_size: 1
    .uses_dynamic_stack: false
    .vgpr_count:     0
    .vgpr_spill_count: 0
    .wavefront_size: 32
    .workgroup_processor_mode: 1
  - .args:
      - .offset:         0
        .size:           144
        .value_kind:     by_value
    .group_segment_fixed_size: 0
    .kernarg_segment_align: 8
    .kernarg_segment_size: 144
    .language:       OpenCL C
    .language_version:
      - 2
      - 0
    .max_flat_workgroup_size: 256
    .name:           _ZN7rocprim17ROCPRIM_400000_NS6detail17trampoline_kernelINS0_13select_configILj256ELj13ELNS0_17block_load_methodE3ELS4_3ELS4_3ELNS0_20block_scan_algorithmE0ELj4294967295EEENS1_25partition_config_selectorILNS1_17partition_subalgoE3EjNS0_10empty_typeEbEEZZNS1_14partition_implILS8_3ELb0ES6_jNS0_17counting_iteratorIjlEEPS9_SE_NS0_5tupleIJPjSE_EEENSF_IJSE_SE_EEES9_SG_JZNS1_25segmented_radix_sort_implINS0_14default_configELb1EPKaPaPKlPlN2at6native12_GLOBAL__N_18offset_tEEE10hipError_tPvRmT1_PNSt15iterator_traitsISY_E10value_typeET2_T3_PNSZ_IS14_E10value_typeET4_jRbjT5_S1A_jjP12ihipStream_tbEUljE_EEESV_SW_SX_S14_S18_S1A_T6_T7_T9_mT8_S1C_bDpT10_ENKUlT_T0_E_clISt17integral_constantIbLb0EES1P_EEDaS1K_S1L_EUlS1K_E_NS1_11comp_targetILNS1_3genE3ELNS1_11target_archE908ELNS1_3gpuE7ELNS1_3repE0EEENS1_30default_config_static_selectorELNS0_4arch9wavefront6targetE0EEEvSY_
    .private_segment_fixed_size: 0
    .sgpr_count:     0
    .sgpr_spill_count: 0
    .symbol:         _ZN7rocprim17ROCPRIM_400000_NS6detail17trampoline_kernelINS0_13select_configILj256ELj13ELNS0_17block_load_methodE3ELS4_3ELS4_3ELNS0_20block_scan_algorithmE0ELj4294967295EEENS1_25partition_config_selectorILNS1_17partition_subalgoE3EjNS0_10empty_typeEbEEZZNS1_14partition_implILS8_3ELb0ES6_jNS0_17counting_iteratorIjlEEPS9_SE_NS0_5tupleIJPjSE_EEENSF_IJSE_SE_EEES9_SG_JZNS1_25segmented_radix_sort_implINS0_14default_configELb1EPKaPaPKlPlN2at6native12_GLOBAL__N_18offset_tEEE10hipError_tPvRmT1_PNSt15iterator_traitsISY_E10value_typeET2_T3_PNSZ_IS14_E10value_typeET4_jRbjT5_S1A_jjP12ihipStream_tbEUljE_EEESV_SW_SX_S14_S18_S1A_T6_T7_T9_mT8_S1C_bDpT10_ENKUlT_T0_E_clISt17integral_constantIbLb0EES1P_EEDaS1K_S1L_EUlS1K_E_NS1_11comp_targetILNS1_3genE3ELNS1_11target_archE908ELNS1_3gpuE7ELNS1_3repE0EEENS1_30default_config_static_selectorELNS0_4arch9wavefront6targetE0EEEvSY_.kd
    .uniform_work_group_size: 1
    .uses_dynamic_stack: false
    .vgpr_count:     0
    .vgpr_spill_count: 0
    .wavefront_size: 32
    .workgroup_processor_mode: 1
  - .args:
      - .offset:         0
        .size:           144
        .value_kind:     by_value
    .group_segment_fixed_size: 0
    .kernarg_segment_align: 8
    .kernarg_segment_size: 144
    .language:       OpenCL C
    .language_version:
      - 2
      - 0
    .max_flat_workgroup_size: 256
    .name:           _ZN7rocprim17ROCPRIM_400000_NS6detail17trampoline_kernelINS0_13select_configILj256ELj13ELNS0_17block_load_methodE3ELS4_3ELS4_3ELNS0_20block_scan_algorithmE0ELj4294967295EEENS1_25partition_config_selectorILNS1_17partition_subalgoE3EjNS0_10empty_typeEbEEZZNS1_14partition_implILS8_3ELb0ES6_jNS0_17counting_iteratorIjlEEPS9_SE_NS0_5tupleIJPjSE_EEENSF_IJSE_SE_EEES9_SG_JZNS1_25segmented_radix_sort_implINS0_14default_configELb1EPKaPaPKlPlN2at6native12_GLOBAL__N_18offset_tEEE10hipError_tPvRmT1_PNSt15iterator_traitsISY_E10value_typeET2_T3_PNSZ_IS14_E10value_typeET4_jRbjT5_S1A_jjP12ihipStream_tbEUljE_EEESV_SW_SX_S14_S18_S1A_T6_T7_T9_mT8_S1C_bDpT10_ENKUlT_T0_E_clISt17integral_constantIbLb0EES1P_EEDaS1K_S1L_EUlS1K_E_NS1_11comp_targetILNS1_3genE2ELNS1_11target_archE906ELNS1_3gpuE6ELNS1_3repE0EEENS1_30default_config_static_selectorELNS0_4arch9wavefront6targetE0EEEvSY_
    .private_segment_fixed_size: 0
    .sgpr_count:     0
    .sgpr_spill_count: 0
    .symbol:         _ZN7rocprim17ROCPRIM_400000_NS6detail17trampoline_kernelINS0_13select_configILj256ELj13ELNS0_17block_load_methodE3ELS4_3ELS4_3ELNS0_20block_scan_algorithmE0ELj4294967295EEENS1_25partition_config_selectorILNS1_17partition_subalgoE3EjNS0_10empty_typeEbEEZZNS1_14partition_implILS8_3ELb0ES6_jNS0_17counting_iteratorIjlEEPS9_SE_NS0_5tupleIJPjSE_EEENSF_IJSE_SE_EEES9_SG_JZNS1_25segmented_radix_sort_implINS0_14default_configELb1EPKaPaPKlPlN2at6native12_GLOBAL__N_18offset_tEEE10hipError_tPvRmT1_PNSt15iterator_traitsISY_E10value_typeET2_T3_PNSZ_IS14_E10value_typeET4_jRbjT5_S1A_jjP12ihipStream_tbEUljE_EEESV_SW_SX_S14_S18_S1A_T6_T7_T9_mT8_S1C_bDpT10_ENKUlT_T0_E_clISt17integral_constantIbLb0EES1P_EEDaS1K_S1L_EUlS1K_E_NS1_11comp_targetILNS1_3genE2ELNS1_11target_archE906ELNS1_3gpuE6ELNS1_3repE0EEENS1_30default_config_static_selectorELNS0_4arch9wavefront6targetE0EEEvSY_.kd
    .uniform_work_group_size: 1
    .uses_dynamic_stack: false
    .vgpr_count:     0
    .vgpr_spill_count: 0
    .wavefront_size: 32
    .workgroup_processor_mode: 1
  - .args:
      - .offset:         0
        .size:           144
        .value_kind:     by_value
    .group_segment_fixed_size: 0
    .kernarg_segment_align: 8
    .kernarg_segment_size: 144
    .language:       OpenCL C
    .language_version:
      - 2
      - 0
    .max_flat_workgroup_size: 256
    .name:           _ZN7rocprim17ROCPRIM_400000_NS6detail17trampoline_kernelINS0_13select_configILj256ELj13ELNS0_17block_load_methodE3ELS4_3ELS4_3ELNS0_20block_scan_algorithmE0ELj4294967295EEENS1_25partition_config_selectorILNS1_17partition_subalgoE3EjNS0_10empty_typeEbEEZZNS1_14partition_implILS8_3ELb0ES6_jNS0_17counting_iteratorIjlEEPS9_SE_NS0_5tupleIJPjSE_EEENSF_IJSE_SE_EEES9_SG_JZNS1_25segmented_radix_sort_implINS0_14default_configELb1EPKaPaPKlPlN2at6native12_GLOBAL__N_18offset_tEEE10hipError_tPvRmT1_PNSt15iterator_traitsISY_E10value_typeET2_T3_PNSZ_IS14_E10value_typeET4_jRbjT5_S1A_jjP12ihipStream_tbEUljE_EEESV_SW_SX_S14_S18_S1A_T6_T7_T9_mT8_S1C_bDpT10_ENKUlT_T0_E_clISt17integral_constantIbLb0EES1P_EEDaS1K_S1L_EUlS1K_E_NS1_11comp_targetILNS1_3genE10ELNS1_11target_archE1200ELNS1_3gpuE4ELNS1_3repE0EEENS1_30default_config_static_selectorELNS0_4arch9wavefront6targetE0EEEvSY_
    .private_segment_fixed_size: 0
    .sgpr_count:     0
    .sgpr_spill_count: 0
    .symbol:         _ZN7rocprim17ROCPRIM_400000_NS6detail17trampoline_kernelINS0_13select_configILj256ELj13ELNS0_17block_load_methodE3ELS4_3ELS4_3ELNS0_20block_scan_algorithmE0ELj4294967295EEENS1_25partition_config_selectorILNS1_17partition_subalgoE3EjNS0_10empty_typeEbEEZZNS1_14partition_implILS8_3ELb0ES6_jNS0_17counting_iteratorIjlEEPS9_SE_NS0_5tupleIJPjSE_EEENSF_IJSE_SE_EEES9_SG_JZNS1_25segmented_radix_sort_implINS0_14default_configELb1EPKaPaPKlPlN2at6native12_GLOBAL__N_18offset_tEEE10hipError_tPvRmT1_PNSt15iterator_traitsISY_E10value_typeET2_T3_PNSZ_IS14_E10value_typeET4_jRbjT5_S1A_jjP12ihipStream_tbEUljE_EEESV_SW_SX_S14_S18_S1A_T6_T7_T9_mT8_S1C_bDpT10_ENKUlT_T0_E_clISt17integral_constantIbLb0EES1P_EEDaS1K_S1L_EUlS1K_E_NS1_11comp_targetILNS1_3genE10ELNS1_11target_archE1200ELNS1_3gpuE4ELNS1_3repE0EEENS1_30default_config_static_selectorELNS0_4arch9wavefront6targetE0EEEvSY_.kd
    .uniform_work_group_size: 1
    .uses_dynamic_stack: false
    .vgpr_count:     0
    .vgpr_spill_count: 0
    .wavefront_size: 32
    .workgroup_processor_mode: 1
  - .args:
      - .offset:         0
        .size:           144
        .value_kind:     by_value
    .group_segment_fixed_size: 13324
    .kernarg_segment_align: 8
    .kernarg_segment_size: 144
    .language:       OpenCL C
    .language_version:
      - 2
      - 0
    .max_flat_workgroup_size: 256
    .name:           _ZN7rocprim17ROCPRIM_400000_NS6detail17trampoline_kernelINS0_13select_configILj256ELj13ELNS0_17block_load_methodE3ELS4_3ELS4_3ELNS0_20block_scan_algorithmE0ELj4294967295EEENS1_25partition_config_selectorILNS1_17partition_subalgoE3EjNS0_10empty_typeEbEEZZNS1_14partition_implILS8_3ELb0ES6_jNS0_17counting_iteratorIjlEEPS9_SE_NS0_5tupleIJPjSE_EEENSF_IJSE_SE_EEES9_SG_JZNS1_25segmented_radix_sort_implINS0_14default_configELb1EPKaPaPKlPlN2at6native12_GLOBAL__N_18offset_tEEE10hipError_tPvRmT1_PNSt15iterator_traitsISY_E10value_typeET2_T3_PNSZ_IS14_E10value_typeET4_jRbjT5_S1A_jjP12ihipStream_tbEUljE_EEESV_SW_SX_S14_S18_S1A_T6_T7_T9_mT8_S1C_bDpT10_ENKUlT_T0_E_clISt17integral_constantIbLb0EES1P_EEDaS1K_S1L_EUlS1K_E_NS1_11comp_targetILNS1_3genE9ELNS1_11target_archE1100ELNS1_3gpuE3ELNS1_3repE0EEENS1_30default_config_static_selectorELNS0_4arch9wavefront6targetE0EEEvSY_
    .private_segment_fixed_size: 0
    .sgpr_count:     30
    .sgpr_spill_count: 0
    .symbol:         _ZN7rocprim17ROCPRIM_400000_NS6detail17trampoline_kernelINS0_13select_configILj256ELj13ELNS0_17block_load_methodE3ELS4_3ELS4_3ELNS0_20block_scan_algorithmE0ELj4294967295EEENS1_25partition_config_selectorILNS1_17partition_subalgoE3EjNS0_10empty_typeEbEEZZNS1_14partition_implILS8_3ELb0ES6_jNS0_17counting_iteratorIjlEEPS9_SE_NS0_5tupleIJPjSE_EEENSF_IJSE_SE_EEES9_SG_JZNS1_25segmented_radix_sort_implINS0_14default_configELb1EPKaPaPKlPlN2at6native12_GLOBAL__N_18offset_tEEE10hipError_tPvRmT1_PNSt15iterator_traitsISY_E10value_typeET2_T3_PNSZ_IS14_E10value_typeET4_jRbjT5_S1A_jjP12ihipStream_tbEUljE_EEESV_SW_SX_S14_S18_S1A_T6_T7_T9_mT8_S1C_bDpT10_ENKUlT_T0_E_clISt17integral_constantIbLb0EES1P_EEDaS1K_S1L_EUlS1K_E_NS1_11comp_targetILNS1_3genE9ELNS1_11target_archE1100ELNS1_3gpuE3ELNS1_3repE0EEENS1_30default_config_static_selectorELNS0_4arch9wavefront6targetE0EEEvSY_.kd
    .uniform_work_group_size: 1
    .uses_dynamic_stack: false
    .vgpr_count:     57
    .vgpr_spill_count: 0
    .wavefront_size: 32
    .workgroup_processor_mode: 1
  - .args:
      - .offset:         0
        .size:           144
        .value_kind:     by_value
    .group_segment_fixed_size: 0
    .kernarg_segment_align: 8
    .kernarg_segment_size: 144
    .language:       OpenCL C
    .language_version:
      - 2
      - 0
    .max_flat_workgroup_size: 256
    .name:           _ZN7rocprim17ROCPRIM_400000_NS6detail17trampoline_kernelINS0_13select_configILj256ELj13ELNS0_17block_load_methodE3ELS4_3ELS4_3ELNS0_20block_scan_algorithmE0ELj4294967295EEENS1_25partition_config_selectorILNS1_17partition_subalgoE3EjNS0_10empty_typeEbEEZZNS1_14partition_implILS8_3ELb0ES6_jNS0_17counting_iteratorIjlEEPS9_SE_NS0_5tupleIJPjSE_EEENSF_IJSE_SE_EEES9_SG_JZNS1_25segmented_radix_sort_implINS0_14default_configELb1EPKaPaPKlPlN2at6native12_GLOBAL__N_18offset_tEEE10hipError_tPvRmT1_PNSt15iterator_traitsISY_E10value_typeET2_T3_PNSZ_IS14_E10value_typeET4_jRbjT5_S1A_jjP12ihipStream_tbEUljE_EEESV_SW_SX_S14_S18_S1A_T6_T7_T9_mT8_S1C_bDpT10_ENKUlT_T0_E_clISt17integral_constantIbLb0EES1P_EEDaS1K_S1L_EUlS1K_E_NS1_11comp_targetILNS1_3genE8ELNS1_11target_archE1030ELNS1_3gpuE2ELNS1_3repE0EEENS1_30default_config_static_selectorELNS0_4arch9wavefront6targetE0EEEvSY_
    .private_segment_fixed_size: 0
    .sgpr_count:     0
    .sgpr_spill_count: 0
    .symbol:         _ZN7rocprim17ROCPRIM_400000_NS6detail17trampoline_kernelINS0_13select_configILj256ELj13ELNS0_17block_load_methodE3ELS4_3ELS4_3ELNS0_20block_scan_algorithmE0ELj4294967295EEENS1_25partition_config_selectorILNS1_17partition_subalgoE3EjNS0_10empty_typeEbEEZZNS1_14partition_implILS8_3ELb0ES6_jNS0_17counting_iteratorIjlEEPS9_SE_NS0_5tupleIJPjSE_EEENSF_IJSE_SE_EEES9_SG_JZNS1_25segmented_radix_sort_implINS0_14default_configELb1EPKaPaPKlPlN2at6native12_GLOBAL__N_18offset_tEEE10hipError_tPvRmT1_PNSt15iterator_traitsISY_E10value_typeET2_T3_PNSZ_IS14_E10value_typeET4_jRbjT5_S1A_jjP12ihipStream_tbEUljE_EEESV_SW_SX_S14_S18_S1A_T6_T7_T9_mT8_S1C_bDpT10_ENKUlT_T0_E_clISt17integral_constantIbLb0EES1P_EEDaS1K_S1L_EUlS1K_E_NS1_11comp_targetILNS1_3genE8ELNS1_11target_archE1030ELNS1_3gpuE2ELNS1_3repE0EEENS1_30default_config_static_selectorELNS0_4arch9wavefront6targetE0EEEvSY_.kd
    .uniform_work_group_size: 1
    .uses_dynamic_stack: false
    .vgpr_count:     0
    .vgpr_spill_count: 0
    .wavefront_size: 32
    .workgroup_processor_mode: 1
  - .args:
      - .offset:         0
        .size:           152
        .value_kind:     by_value
    .group_segment_fixed_size: 0
    .kernarg_segment_align: 8
    .kernarg_segment_size: 152
    .language:       OpenCL C
    .language_version:
      - 2
      - 0
    .max_flat_workgroup_size: 256
    .name:           _ZN7rocprim17ROCPRIM_400000_NS6detail17trampoline_kernelINS0_13select_configILj256ELj13ELNS0_17block_load_methodE3ELS4_3ELS4_3ELNS0_20block_scan_algorithmE0ELj4294967295EEENS1_25partition_config_selectorILNS1_17partition_subalgoE3EjNS0_10empty_typeEbEEZZNS1_14partition_implILS8_3ELb0ES6_jNS0_17counting_iteratorIjlEEPS9_SE_NS0_5tupleIJPjSE_EEENSF_IJSE_SE_EEES9_SG_JZNS1_25segmented_radix_sort_implINS0_14default_configELb1EPKaPaPKlPlN2at6native12_GLOBAL__N_18offset_tEEE10hipError_tPvRmT1_PNSt15iterator_traitsISY_E10value_typeET2_T3_PNSZ_IS14_E10value_typeET4_jRbjT5_S1A_jjP12ihipStream_tbEUljE_EEESV_SW_SX_S14_S18_S1A_T6_T7_T9_mT8_S1C_bDpT10_ENKUlT_T0_E_clISt17integral_constantIbLb1EES1P_EEDaS1K_S1L_EUlS1K_E_NS1_11comp_targetILNS1_3genE0ELNS1_11target_archE4294967295ELNS1_3gpuE0ELNS1_3repE0EEENS1_30default_config_static_selectorELNS0_4arch9wavefront6targetE0EEEvSY_
    .private_segment_fixed_size: 0
    .sgpr_count:     0
    .sgpr_spill_count: 0
    .symbol:         _ZN7rocprim17ROCPRIM_400000_NS6detail17trampoline_kernelINS0_13select_configILj256ELj13ELNS0_17block_load_methodE3ELS4_3ELS4_3ELNS0_20block_scan_algorithmE0ELj4294967295EEENS1_25partition_config_selectorILNS1_17partition_subalgoE3EjNS0_10empty_typeEbEEZZNS1_14partition_implILS8_3ELb0ES6_jNS0_17counting_iteratorIjlEEPS9_SE_NS0_5tupleIJPjSE_EEENSF_IJSE_SE_EEES9_SG_JZNS1_25segmented_radix_sort_implINS0_14default_configELb1EPKaPaPKlPlN2at6native12_GLOBAL__N_18offset_tEEE10hipError_tPvRmT1_PNSt15iterator_traitsISY_E10value_typeET2_T3_PNSZ_IS14_E10value_typeET4_jRbjT5_S1A_jjP12ihipStream_tbEUljE_EEESV_SW_SX_S14_S18_S1A_T6_T7_T9_mT8_S1C_bDpT10_ENKUlT_T0_E_clISt17integral_constantIbLb1EES1P_EEDaS1K_S1L_EUlS1K_E_NS1_11comp_targetILNS1_3genE0ELNS1_11target_archE4294967295ELNS1_3gpuE0ELNS1_3repE0EEENS1_30default_config_static_selectorELNS0_4arch9wavefront6targetE0EEEvSY_.kd
    .uniform_work_group_size: 1
    .uses_dynamic_stack: false
    .vgpr_count:     0
    .vgpr_spill_count: 0
    .wavefront_size: 32
    .workgroup_processor_mode: 1
  - .args:
      - .offset:         0
        .size:           152
        .value_kind:     by_value
    .group_segment_fixed_size: 0
    .kernarg_segment_align: 8
    .kernarg_segment_size: 152
    .language:       OpenCL C
    .language_version:
      - 2
      - 0
    .max_flat_workgroup_size: 256
    .name:           _ZN7rocprim17ROCPRIM_400000_NS6detail17trampoline_kernelINS0_13select_configILj256ELj13ELNS0_17block_load_methodE3ELS4_3ELS4_3ELNS0_20block_scan_algorithmE0ELj4294967295EEENS1_25partition_config_selectorILNS1_17partition_subalgoE3EjNS0_10empty_typeEbEEZZNS1_14partition_implILS8_3ELb0ES6_jNS0_17counting_iteratorIjlEEPS9_SE_NS0_5tupleIJPjSE_EEENSF_IJSE_SE_EEES9_SG_JZNS1_25segmented_radix_sort_implINS0_14default_configELb1EPKaPaPKlPlN2at6native12_GLOBAL__N_18offset_tEEE10hipError_tPvRmT1_PNSt15iterator_traitsISY_E10value_typeET2_T3_PNSZ_IS14_E10value_typeET4_jRbjT5_S1A_jjP12ihipStream_tbEUljE_EEESV_SW_SX_S14_S18_S1A_T6_T7_T9_mT8_S1C_bDpT10_ENKUlT_T0_E_clISt17integral_constantIbLb1EES1P_EEDaS1K_S1L_EUlS1K_E_NS1_11comp_targetILNS1_3genE5ELNS1_11target_archE942ELNS1_3gpuE9ELNS1_3repE0EEENS1_30default_config_static_selectorELNS0_4arch9wavefront6targetE0EEEvSY_
    .private_segment_fixed_size: 0
    .sgpr_count:     0
    .sgpr_spill_count: 0
    .symbol:         _ZN7rocprim17ROCPRIM_400000_NS6detail17trampoline_kernelINS0_13select_configILj256ELj13ELNS0_17block_load_methodE3ELS4_3ELS4_3ELNS0_20block_scan_algorithmE0ELj4294967295EEENS1_25partition_config_selectorILNS1_17partition_subalgoE3EjNS0_10empty_typeEbEEZZNS1_14partition_implILS8_3ELb0ES6_jNS0_17counting_iteratorIjlEEPS9_SE_NS0_5tupleIJPjSE_EEENSF_IJSE_SE_EEES9_SG_JZNS1_25segmented_radix_sort_implINS0_14default_configELb1EPKaPaPKlPlN2at6native12_GLOBAL__N_18offset_tEEE10hipError_tPvRmT1_PNSt15iterator_traitsISY_E10value_typeET2_T3_PNSZ_IS14_E10value_typeET4_jRbjT5_S1A_jjP12ihipStream_tbEUljE_EEESV_SW_SX_S14_S18_S1A_T6_T7_T9_mT8_S1C_bDpT10_ENKUlT_T0_E_clISt17integral_constantIbLb1EES1P_EEDaS1K_S1L_EUlS1K_E_NS1_11comp_targetILNS1_3genE5ELNS1_11target_archE942ELNS1_3gpuE9ELNS1_3repE0EEENS1_30default_config_static_selectorELNS0_4arch9wavefront6targetE0EEEvSY_.kd
    .uniform_work_group_size: 1
    .uses_dynamic_stack: false
    .vgpr_count:     0
    .vgpr_spill_count: 0
    .wavefront_size: 32
    .workgroup_processor_mode: 1
  - .args:
      - .offset:         0
        .size:           152
        .value_kind:     by_value
    .group_segment_fixed_size: 0
    .kernarg_segment_align: 8
    .kernarg_segment_size: 152
    .language:       OpenCL C
    .language_version:
      - 2
      - 0
    .max_flat_workgroup_size: 256
    .name:           _ZN7rocprim17ROCPRIM_400000_NS6detail17trampoline_kernelINS0_13select_configILj256ELj13ELNS0_17block_load_methodE3ELS4_3ELS4_3ELNS0_20block_scan_algorithmE0ELj4294967295EEENS1_25partition_config_selectorILNS1_17partition_subalgoE3EjNS0_10empty_typeEbEEZZNS1_14partition_implILS8_3ELb0ES6_jNS0_17counting_iteratorIjlEEPS9_SE_NS0_5tupleIJPjSE_EEENSF_IJSE_SE_EEES9_SG_JZNS1_25segmented_radix_sort_implINS0_14default_configELb1EPKaPaPKlPlN2at6native12_GLOBAL__N_18offset_tEEE10hipError_tPvRmT1_PNSt15iterator_traitsISY_E10value_typeET2_T3_PNSZ_IS14_E10value_typeET4_jRbjT5_S1A_jjP12ihipStream_tbEUljE_EEESV_SW_SX_S14_S18_S1A_T6_T7_T9_mT8_S1C_bDpT10_ENKUlT_T0_E_clISt17integral_constantIbLb1EES1P_EEDaS1K_S1L_EUlS1K_E_NS1_11comp_targetILNS1_3genE4ELNS1_11target_archE910ELNS1_3gpuE8ELNS1_3repE0EEENS1_30default_config_static_selectorELNS0_4arch9wavefront6targetE0EEEvSY_
    .private_segment_fixed_size: 0
    .sgpr_count:     0
    .sgpr_spill_count: 0
    .symbol:         _ZN7rocprim17ROCPRIM_400000_NS6detail17trampoline_kernelINS0_13select_configILj256ELj13ELNS0_17block_load_methodE3ELS4_3ELS4_3ELNS0_20block_scan_algorithmE0ELj4294967295EEENS1_25partition_config_selectorILNS1_17partition_subalgoE3EjNS0_10empty_typeEbEEZZNS1_14partition_implILS8_3ELb0ES6_jNS0_17counting_iteratorIjlEEPS9_SE_NS0_5tupleIJPjSE_EEENSF_IJSE_SE_EEES9_SG_JZNS1_25segmented_radix_sort_implINS0_14default_configELb1EPKaPaPKlPlN2at6native12_GLOBAL__N_18offset_tEEE10hipError_tPvRmT1_PNSt15iterator_traitsISY_E10value_typeET2_T3_PNSZ_IS14_E10value_typeET4_jRbjT5_S1A_jjP12ihipStream_tbEUljE_EEESV_SW_SX_S14_S18_S1A_T6_T7_T9_mT8_S1C_bDpT10_ENKUlT_T0_E_clISt17integral_constantIbLb1EES1P_EEDaS1K_S1L_EUlS1K_E_NS1_11comp_targetILNS1_3genE4ELNS1_11target_archE910ELNS1_3gpuE8ELNS1_3repE0EEENS1_30default_config_static_selectorELNS0_4arch9wavefront6targetE0EEEvSY_.kd
    .uniform_work_group_size: 1
    .uses_dynamic_stack: false
    .vgpr_count:     0
    .vgpr_spill_count: 0
    .wavefront_size: 32
    .workgroup_processor_mode: 1
  - .args:
      - .offset:         0
        .size:           152
        .value_kind:     by_value
    .group_segment_fixed_size: 0
    .kernarg_segment_align: 8
    .kernarg_segment_size: 152
    .language:       OpenCL C
    .language_version:
      - 2
      - 0
    .max_flat_workgroup_size: 256
    .name:           _ZN7rocprim17ROCPRIM_400000_NS6detail17trampoline_kernelINS0_13select_configILj256ELj13ELNS0_17block_load_methodE3ELS4_3ELS4_3ELNS0_20block_scan_algorithmE0ELj4294967295EEENS1_25partition_config_selectorILNS1_17partition_subalgoE3EjNS0_10empty_typeEbEEZZNS1_14partition_implILS8_3ELb0ES6_jNS0_17counting_iteratorIjlEEPS9_SE_NS0_5tupleIJPjSE_EEENSF_IJSE_SE_EEES9_SG_JZNS1_25segmented_radix_sort_implINS0_14default_configELb1EPKaPaPKlPlN2at6native12_GLOBAL__N_18offset_tEEE10hipError_tPvRmT1_PNSt15iterator_traitsISY_E10value_typeET2_T3_PNSZ_IS14_E10value_typeET4_jRbjT5_S1A_jjP12ihipStream_tbEUljE_EEESV_SW_SX_S14_S18_S1A_T6_T7_T9_mT8_S1C_bDpT10_ENKUlT_T0_E_clISt17integral_constantIbLb1EES1P_EEDaS1K_S1L_EUlS1K_E_NS1_11comp_targetILNS1_3genE3ELNS1_11target_archE908ELNS1_3gpuE7ELNS1_3repE0EEENS1_30default_config_static_selectorELNS0_4arch9wavefront6targetE0EEEvSY_
    .private_segment_fixed_size: 0
    .sgpr_count:     0
    .sgpr_spill_count: 0
    .symbol:         _ZN7rocprim17ROCPRIM_400000_NS6detail17trampoline_kernelINS0_13select_configILj256ELj13ELNS0_17block_load_methodE3ELS4_3ELS4_3ELNS0_20block_scan_algorithmE0ELj4294967295EEENS1_25partition_config_selectorILNS1_17partition_subalgoE3EjNS0_10empty_typeEbEEZZNS1_14partition_implILS8_3ELb0ES6_jNS0_17counting_iteratorIjlEEPS9_SE_NS0_5tupleIJPjSE_EEENSF_IJSE_SE_EEES9_SG_JZNS1_25segmented_radix_sort_implINS0_14default_configELb1EPKaPaPKlPlN2at6native12_GLOBAL__N_18offset_tEEE10hipError_tPvRmT1_PNSt15iterator_traitsISY_E10value_typeET2_T3_PNSZ_IS14_E10value_typeET4_jRbjT5_S1A_jjP12ihipStream_tbEUljE_EEESV_SW_SX_S14_S18_S1A_T6_T7_T9_mT8_S1C_bDpT10_ENKUlT_T0_E_clISt17integral_constantIbLb1EES1P_EEDaS1K_S1L_EUlS1K_E_NS1_11comp_targetILNS1_3genE3ELNS1_11target_archE908ELNS1_3gpuE7ELNS1_3repE0EEENS1_30default_config_static_selectorELNS0_4arch9wavefront6targetE0EEEvSY_.kd
    .uniform_work_group_size: 1
    .uses_dynamic_stack: false
    .vgpr_count:     0
    .vgpr_spill_count: 0
    .wavefront_size: 32
    .workgroup_processor_mode: 1
  - .args:
      - .offset:         0
        .size:           152
        .value_kind:     by_value
    .group_segment_fixed_size: 0
    .kernarg_segment_align: 8
    .kernarg_segment_size: 152
    .language:       OpenCL C
    .language_version:
      - 2
      - 0
    .max_flat_workgroup_size: 256
    .name:           _ZN7rocprim17ROCPRIM_400000_NS6detail17trampoline_kernelINS0_13select_configILj256ELj13ELNS0_17block_load_methodE3ELS4_3ELS4_3ELNS0_20block_scan_algorithmE0ELj4294967295EEENS1_25partition_config_selectorILNS1_17partition_subalgoE3EjNS0_10empty_typeEbEEZZNS1_14partition_implILS8_3ELb0ES6_jNS0_17counting_iteratorIjlEEPS9_SE_NS0_5tupleIJPjSE_EEENSF_IJSE_SE_EEES9_SG_JZNS1_25segmented_radix_sort_implINS0_14default_configELb1EPKaPaPKlPlN2at6native12_GLOBAL__N_18offset_tEEE10hipError_tPvRmT1_PNSt15iterator_traitsISY_E10value_typeET2_T3_PNSZ_IS14_E10value_typeET4_jRbjT5_S1A_jjP12ihipStream_tbEUljE_EEESV_SW_SX_S14_S18_S1A_T6_T7_T9_mT8_S1C_bDpT10_ENKUlT_T0_E_clISt17integral_constantIbLb1EES1P_EEDaS1K_S1L_EUlS1K_E_NS1_11comp_targetILNS1_3genE2ELNS1_11target_archE906ELNS1_3gpuE6ELNS1_3repE0EEENS1_30default_config_static_selectorELNS0_4arch9wavefront6targetE0EEEvSY_
    .private_segment_fixed_size: 0
    .sgpr_count:     0
    .sgpr_spill_count: 0
    .symbol:         _ZN7rocprim17ROCPRIM_400000_NS6detail17trampoline_kernelINS0_13select_configILj256ELj13ELNS0_17block_load_methodE3ELS4_3ELS4_3ELNS0_20block_scan_algorithmE0ELj4294967295EEENS1_25partition_config_selectorILNS1_17partition_subalgoE3EjNS0_10empty_typeEbEEZZNS1_14partition_implILS8_3ELb0ES6_jNS0_17counting_iteratorIjlEEPS9_SE_NS0_5tupleIJPjSE_EEENSF_IJSE_SE_EEES9_SG_JZNS1_25segmented_radix_sort_implINS0_14default_configELb1EPKaPaPKlPlN2at6native12_GLOBAL__N_18offset_tEEE10hipError_tPvRmT1_PNSt15iterator_traitsISY_E10value_typeET2_T3_PNSZ_IS14_E10value_typeET4_jRbjT5_S1A_jjP12ihipStream_tbEUljE_EEESV_SW_SX_S14_S18_S1A_T6_T7_T9_mT8_S1C_bDpT10_ENKUlT_T0_E_clISt17integral_constantIbLb1EES1P_EEDaS1K_S1L_EUlS1K_E_NS1_11comp_targetILNS1_3genE2ELNS1_11target_archE906ELNS1_3gpuE6ELNS1_3repE0EEENS1_30default_config_static_selectorELNS0_4arch9wavefront6targetE0EEEvSY_.kd
    .uniform_work_group_size: 1
    .uses_dynamic_stack: false
    .vgpr_count:     0
    .vgpr_spill_count: 0
    .wavefront_size: 32
    .workgroup_processor_mode: 1
  - .args:
      - .offset:         0
        .size:           152
        .value_kind:     by_value
    .group_segment_fixed_size: 0
    .kernarg_segment_align: 8
    .kernarg_segment_size: 152
    .language:       OpenCL C
    .language_version:
      - 2
      - 0
    .max_flat_workgroup_size: 256
    .name:           _ZN7rocprim17ROCPRIM_400000_NS6detail17trampoline_kernelINS0_13select_configILj256ELj13ELNS0_17block_load_methodE3ELS4_3ELS4_3ELNS0_20block_scan_algorithmE0ELj4294967295EEENS1_25partition_config_selectorILNS1_17partition_subalgoE3EjNS0_10empty_typeEbEEZZNS1_14partition_implILS8_3ELb0ES6_jNS0_17counting_iteratorIjlEEPS9_SE_NS0_5tupleIJPjSE_EEENSF_IJSE_SE_EEES9_SG_JZNS1_25segmented_radix_sort_implINS0_14default_configELb1EPKaPaPKlPlN2at6native12_GLOBAL__N_18offset_tEEE10hipError_tPvRmT1_PNSt15iterator_traitsISY_E10value_typeET2_T3_PNSZ_IS14_E10value_typeET4_jRbjT5_S1A_jjP12ihipStream_tbEUljE_EEESV_SW_SX_S14_S18_S1A_T6_T7_T9_mT8_S1C_bDpT10_ENKUlT_T0_E_clISt17integral_constantIbLb1EES1P_EEDaS1K_S1L_EUlS1K_E_NS1_11comp_targetILNS1_3genE10ELNS1_11target_archE1200ELNS1_3gpuE4ELNS1_3repE0EEENS1_30default_config_static_selectorELNS0_4arch9wavefront6targetE0EEEvSY_
    .private_segment_fixed_size: 0
    .sgpr_count:     0
    .sgpr_spill_count: 0
    .symbol:         _ZN7rocprim17ROCPRIM_400000_NS6detail17trampoline_kernelINS0_13select_configILj256ELj13ELNS0_17block_load_methodE3ELS4_3ELS4_3ELNS0_20block_scan_algorithmE0ELj4294967295EEENS1_25partition_config_selectorILNS1_17partition_subalgoE3EjNS0_10empty_typeEbEEZZNS1_14partition_implILS8_3ELb0ES6_jNS0_17counting_iteratorIjlEEPS9_SE_NS0_5tupleIJPjSE_EEENSF_IJSE_SE_EEES9_SG_JZNS1_25segmented_radix_sort_implINS0_14default_configELb1EPKaPaPKlPlN2at6native12_GLOBAL__N_18offset_tEEE10hipError_tPvRmT1_PNSt15iterator_traitsISY_E10value_typeET2_T3_PNSZ_IS14_E10value_typeET4_jRbjT5_S1A_jjP12ihipStream_tbEUljE_EEESV_SW_SX_S14_S18_S1A_T6_T7_T9_mT8_S1C_bDpT10_ENKUlT_T0_E_clISt17integral_constantIbLb1EES1P_EEDaS1K_S1L_EUlS1K_E_NS1_11comp_targetILNS1_3genE10ELNS1_11target_archE1200ELNS1_3gpuE4ELNS1_3repE0EEENS1_30default_config_static_selectorELNS0_4arch9wavefront6targetE0EEEvSY_.kd
    .uniform_work_group_size: 1
    .uses_dynamic_stack: false
    .vgpr_count:     0
    .vgpr_spill_count: 0
    .wavefront_size: 32
    .workgroup_processor_mode: 1
  - .args:
      - .offset:         0
        .size:           152
        .value_kind:     by_value
    .group_segment_fixed_size: 13324
    .kernarg_segment_align: 8
    .kernarg_segment_size: 152
    .language:       OpenCL C
    .language_version:
      - 2
      - 0
    .max_flat_workgroup_size: 256
    .name:           _ZN7rocprim17ROCPRIM_400000_NS6detail17trampoline_kernelINS0_13select_configILj256ELj13ELNS0_17block_load_methodE3ELS4_3ELS4_3ELNS0_20block_scan_algorithmE0ELj4294967295EEENS1_25partition_config_selectorILNS1_17partition_subalgoE3EjNS0_10empty_typeEbEEZZNS1_14partition_implILS8_3ELb0ES6_jNS0_17counting_iteratorIjlEEPS9_SE_NS0_5tupleIJPjSE_EEENSF_IJSE_SE_EEES9_SG_JZNS1_25segmented_radix_sort_implINS0_14default_configELb1EPKaPaPKlPlN2at6native12_GLOBAL__N_18offset_tEEE10hipError_tPvRmT1_PNSt15iterator_traitsISY_E10value_typeET2_T3_PNSZ_IS14_E10value_typeET4_jRbjT5_S1A_jjP12ihipStream_tbEUljE_EEESV_SW_SX_S14_S18_S1A_T6_T7_T9_mT8_S1C_bDpT10_ENKUlT_T0_E_clISt17integral_constantIbLb1EES1P_EEDaS1K_S1L_EUlS1K_E_NS1_11comp_targetILNS1_3genE9ELNS1_11target_archE1100ELNS1_3gpuE3ELNS1_3repE0EEENS1_30default_config_static_selectorELNS0_4arch9wavefront6targetE0EEEvSY_
    .private_segment_fixed_size: 0
    .sgpr_count:     28
    .sgpr_spill_count: 0
    .symbol:         _ZN7rocprim17ROCPRIM_400000_NS6detail17trampoline_kernelINS0_13select_configILj256ELj13ELNS0_17block_load_methodE3ELS4_3ELS4_3ELNS0_20block_scan_algorithmE0ELj4294967295EEENS1_25partition_config_selectorILNS1_17partition_subalgoE3EjNS0_10empty_typeEbEEZZNS1_14partition_implILS8_3ELb0ES6_jNS0_17counting_iteratorIjlEEPS9_SE_NS0_5tupleIJPjSE_EEENSF_IJSE_SE_EEES9_SG_JZNS1_25segmented_radix_sort_implINS0_14default_configELb1EPKaPaPKlPlN2at6native12_GLOBAL__N_18offset_tEEE10hipError_tPvRmT1_PNSt15iterator_traitsISY_E10value_typeET2_T3_PNSZ_IS14_E10value_typeET4_jRbjT5_S1A_jjP12ihipStream_tbEUljE_EEESV_SW_SX_S14_S18_S1A_T6_T7_T9_mT8_S1C_bDpT10_ENKUlT_T0_E_clISt17integral_constantIbLb1EES1P_EEDaS1K_S1L_EUlS1K_E_NS1_11comp_targetILNS1_3genE9ELNS1_11target_archE1100ELNS1_3gpuE3ELNS1_3repE0EEENS1_30default_config_static_selectorELNS0_4arch9wavefront6targetE0EEEvSY_.kd
    .uniform_work_group_size: 1
    .uses_dynamic_stack: false
    .vgpr_count:     60
    .vgpr_spill_count: 0
    .wavefront_size: 32
    .workgroup_processor_mode: 1
  - .args:
      - .offset:         0
        .size:           152
        .value_kind:     by_value
    .group_segment_fixed_size: 0
    .kernarg_segment_align: 8
    .kernarg_segment_size: 152
    .language:       OpenCL C
    .language_version:
      - 2
      - 0
    .max_flat_workgroup_size: 256
    .name:           _ZN7rocprim17ROCPRIM_400000_NS6detail17trampoline_kernelINS0_13select_configILj256ELj13ELNS0_17block_load_methodE3ELS4_3ELS4_3ELNS0_20block_scan_algorithmE0ELj4294967295EEENS1_25partition_config_selectorILNS1_17partition_subalgoE3EjNS0_10empty_typeEbEEZZNS1_14partition_implILS8_3ELb0ES6_jNS0_17counting_iteratorIjlEEPS9_SE_NS0_5tupleIJPjSE_EEENSF_IJSE_SE_EEES9_SG_JZNS1_25segmented_radix_sort_implINS0_14default_configELb1EPKaPaPKlPlN2at6native12_GLOBAL__N_18offset_tEEE10hipError_tPvRmT1_PNSt15iterator_traitsISY_E10value_typeET2_T3_PNSZ_IS14_E10value_typeET4_jRbjT5_S1A_jjP12ihipStream_tbEUljE_EEESV_SW_SX_S14_S18_S1A_T6_T7_T9_mT8_S1C_bDpT10_ENKUlT_T0_E_clISt17integral_constantIbLb1EES1P_EEDaS1K_S1L_EUlS1K_E_NS1_11comp_targetILNS1_3genE8ELNS1_11target_archE1030ELNS1_3gpuE2ELNS1_3repE0EEENS1_30default_config_static_selectorELNS0_4arch9wavefront6targetE0EEEvSY_
    .private_segment_fixed_size: 0
    .sgpr_count:     0
    .sgpr_spill_count: 0
    .symbol:         _ZN7rocprim17ROCPRIM_400000_NS6detail17trampoline_kernelINS0_13select_configILj256ELj13ELNS0_17block_load_methodE3ELS4_3ELS4_3ELNS0_20block_scan_algorithmE0ELj4294967295EEENS1_25partition_config_selectorILNS1_17partition_subalgoE3EjNS0_10empty_typeEbEEZZNS1_14partition_implILS8_3ELb0ES6_jNS0_17counting_iteratorIjlEEPS9_SE_NS0_5tupleIJPjSE_EEENSF_IJSE_SE_EEES9_SG_JZNS1_25segmented_radix_sort_implINS0_14default_configELb1EPKaPaPKlPlN2at6native12_GLOBAL__N_18offset_tEEE10hipError_tPvRmT1_PNSt15iterator_traitsISY_E10value_typeET2_T3_PNSZ_IS14_E10value_typeET4_jRbjT5_S1A_jjP12ihipStream_tbEUljE_EEESV_SW_SX_S14_S18_S1A_T6_T7_T9_mT8_S1C_bDpT10_ENKUlT_T0_E_clISt17integral_constantIbLb1EES1P_EEDaS1K_S1L_EUlS1K_E_NS1_11comp_targetILNS1_3genE8ELNS1_11target_archE1030ELNS1_3gpuE2ELNS1_3repE0EEENS1_30default_config_static_selectorELNS0_4arch9wavefront6targetE0EEEvSY_.kd
    .uniform_work_group_size: 1
    .uses_dynamic_stack: false
    .vgpr_count:     0
    .vgpr_spill_count: 0
    .wavefront_size: 32
    .workgroup_processor_mode: 1
  - .args:
      - .offset:         0
        .size:           144
        .value_kind:     by_value
    .group_segment_fixed_size: 0
    .kernarg_segment_align: 8
    .kernarg_segment_size: 144
    .language:       OpenCL C
    .language_version:
      - 2
      - 0
    .max_flat_workgroup_size: 256
    .name:           _ZN7rocprim17ROCPRIM_400000_NS6detail17trampoline_kernelINS0_13select_configILj256ELj13ELNS0_17block_load_methodE3ELS4_3ELS4_3ELNS0_20block_scan_algorithmE0ELj4294967295EEENS1_25partition_config_selectorILNS1_17partition_subalgoE3EjNS0_10empty_typeEbEEZZNS1_14partition_implILS8_3ELb0ES6_jNS0_17counting_iteratorIjlEEPS9_SE_NS0_5tupleIJPjSE_EEENSF_IJSE_SE_EEES9_SG_JZNS1_25segmented_radix_sort_implINS0_14default_configELb1EPKaPaPKlPlN2at6native12_GLOBAL__N_18offset_tEEE10hipError_tPvRmT1_PNSt15iterator_traitsISY_E10value_typeET2_T3_PNSZ_IS14_E10value_typeET4_jRbjT5_S1A_jjP12ihipStream_tbEUljE_EEESV_SW_SX_S14_S18_S1A_T6_T7_T9_mT8_S1C_bDpT10_ENKUlT_T0_E_clISt17integral_constantIbLb1EES1O_IbLb0EEEEDaS1K_S1L_EUlS1K_E_NS1_11comp_targetILNS1_3genE0ELNS1_11target_archE4294967295ELNS1_3gpuE0ELNS1_3repE0EEENS1_30default_config_static_selectorELNS0_4arch9wavefront6targetE0EEEvSY_
    .private_segment_fixed_size: 0
    .sgpr_count:     0
    .sgpr_spill_count: 0
    .symbol:         _ZN7rocprim17ROCPRIM_400000_NS6detail17trampoline_kernelINS0_13select_configILj256ELj13ELNS0_17block_load_methodE3ELS4_3ELS4_3ELNS0_20block_scan_algorithmE0ELj4294967295EEENS1_25partition_config_selectorILNS1_17partition_subalgoE3EjNS0_10empty_typeEbEEZZNS1_14partition_implILS8_3ELb0ES6_jNS0_17counting_iteratorIjlEEPS9_SE_NS0_5tupleIJPjSE_EEENSF_IJSE_SE_EEES9_SG_JZNS1_25segmented_radix_sort_implINS0_14default_configELb1EPKaPaPKlPlN2at6native12_GLOBAL__N_18offset_tEEE10hipError_tPvRmT1_PNSt15iterator_traitsISY_E10value_typeET2_T3_PNSZ_IS14_E10value_typeET4_jRbjT5_S1A_jjP12ihipStream_tbEUljE_EEESV_SW_SX_S14_S18_S1A_T6_T7_T9_mT8_S1C_bDpT10_ENKUlT_T0_E_clISt17integral_constantIbLb1EES1O_IbLb0EEEEDaS1K_S1L_EUlS1K_E_NS1_11comp_targetILNS1_3genE0ELNS1_11target_archE4294967295ELNS1_3gpuE0ELNS1_3repE0EEENS1_30default_config_static_selectorELNS0_4arch9wavefront6targetE0EEEvSY_.kd
    .uniform_work_group_size: 1
    .uses_dynamic_stack: false
    .vgpr_count:     0
    .vgpr_spill_count: 0
    .wavefront_size: 32
    .workgroup_processor_mode: 1
  - .args:
      - .offset:         0
        .size:           144
        .value_kind:     by_value
    .group_segment_fixed_size: 0
    .kernarg_segment_align: 8
    .kernarg_segment_size: 144
    .language:       OpenCL C
    .language_version:
      - 2
      - 0
    .max_flat_workgroup_size: 256
    .name:           _ZN7rocprim17ROCPRIM_400000_NS6detail17trampoline_kernelINS0_13select_configILj256ELj13ELNS0_17block_load_methodE3ELS4_3ELS4_3ELNS0_20block_scan_algorithmE0ELj4294967295EEENS1_25partition_config_selectorILNS1_17partition_subalgoE3EjNS0_10empty_typeEbEEZZNS1_14partition_implILS8_3ELb0ES6_jNS0_17counting_iteratorIjlEEPS9_SE_NS0_5tupleIJPjSE_EEENSF_IJSE_SE_EEES9_SG_JZNS1_25segmented_radix_sort_implINS0_14default_configELb1EPKaPaPKlPlN2at6native12_GLOBAL__N_18offset_tEEE10hipError_tPvRmT1_PNSt15iterator_traitsISY_E10value_typeET2_T3_PNSZ_IS14_E10value_typeET4_jRbjT5_S1A_jjP12ihipStream_tbEUljE_EEESV_SW_SX_S14_S18_S1A_T6_T7_T9_mT8_S1C_bDpT10_ENKUlT_T0_E_clISt17integral_constantIbLb1EES1O_IbLb0EEEEDaS1K_S1L_EUlS1K_E_NS1_11comp_targetILNS1_3genE5ELNS1_11target_archE942ELNS1_3gpuE9ELNS1_3repE0EEENS1_30default_config_static_selectorELNS0_4arch9wavefront6targetE0EEEvSY_
    .private_segment_fixed_size: 0
    .sgpr_count:     0
    .sgpr_spill_count: 0
    .symbol:         _ZN7rocprim17ROCPRIM_400000_NS6detail17trampoline_kernelINS0_13select_configILj256ELj13ELNS0_17block_load_methodE3ELS4_3ELS4_3ELNS0_20block_scan_algorithmE0ELj4294967295EEENS1_25partition_config_selectorILNS1_17partition_subalgoE3EjNS0_10empty_typeEbEEZZNS1_14partition_implILS8_3ELb0ES6_jNS0_17counting_iteratorIjlEEPS9_SE_NS0_5tupleIJPjSE_EEENSF_IJSE_SE_EEES9_SG_JZNS1_25segmented_radix_sort_implINS0_14default_configELb1EPKaPaPKlPlN2at6native12_GLOBAL__N_18offset_tEEE10hipError_tPvRmT1_PNSt15iterator_traitsISY_E10value_typeET2_T3_PNSZ_IS14_E10value_typeET4_jRbjT5_S1A_jjP12ihipStream_tbEUljE_EEESV_SW_SX_S14_S18_S1A_T6_T7_T9_mT8_S1C_bDpT10_ENKUlT_T0_E_clISt17integral_constantIbLb1EES1O_IbLb0EEEEDaS1K_S1L_EUlS1K_E_NS1_11comp_targetILNS1_3genE5ELNS1_11target_archE942ELNS1_3gpuE9ELNS1_3repE0EEENS1_30default_config_static_selectorELNS0_4arch9wavefront6targetE0EEEvSY_.kd
    .uniform_work_group_size: 1
    .uses_dynamic_stack: false
    .vgpr_count:     0
    .vgpr_spill_count: 0
    .wavefront_size: 32
    .workgroup_processor_mode: 1
  - .args:
      - .offset:         0
        .size:           144
        .value_kind:     by_value
    .group_segment_fixed_size: 0
    .kernarg_segment_align: 8
    .kernarg_segment_size: 144
    .language:       OpenCL C
    .language_version:
      - 2
      - 0
    .max_flat_workgroup_size: 256
    .name:           _ZN7rocprim17ROCPRIM_400000_NS6detail17trampoline_kernelINS0_13select_configILj256ELj13ELNS0_17block_load_methodE3ELS4_3ELS4_3ELNS0_20block_scan_algorithmE0ELj4294967295EEENS1_25partition_config_selectorILNS1_17partition_subalgoE3EjNS0_10empty_typeEbEEZZNS1_14partition_implILS8_3ELb0ES6_jNS0_17counting_iteratorIjlEEPS9_SE_NS0_5tupleIJPjSE_EEENSF_IJSE_SE_EEES9_SG_JZNS1_25segmented_radix_sort_implINS0_14default_configELb1EPKaPaPKlPlN2at6native12_GLOBAL__N_18offset_tEEE10hipError_tPvRmT1_PNSt15iterator_traitsISY_E10value_typeET2_T3_PNSZ_IS14_E10value_typeET4_jRbjT5_S1A_jjP12ihipStream_tbEUljE_EEESV_SW_SX_S14_S18_S1A_T6_T7_T9_mT8_S1C_bDpT10_ENKUlT_T0_E_clISt17integral_constantIbLb1EES1O_IbLb0EEEEDaS1K_S1L_EUlS1K_E_NS1_11comp_targetILNS1_3genE4ELNS1_11target_archE910ELNS1_3gpuE8ELNS1_3repE0EEENS1_30default_config_static_selectorELNS0_4arch9wavefront6targetE0EEEvSY_
    .private_segment_fixed_size: 0
    .sgpr_count:     0
    .sgpr_spill_count: 0
    .symbol:         _ZN7rocprim17ROCPRIM_400000_NS6detail17trampoline_kernelINS0_13select_configILj256ELj13ELNS0_17block_load_methodE3ELS4_3ELS4_3ELNS0_20block_scan_algorithmE0ELj4294967295EEENS1_25partition_config_selectorILNS1_17partition_subalgoE3EjNS0_10empty_typeEbEEZZNS1_14partition_implILS8_3ELb0ES6_jNS0_17counting_iteratorIjlEEPS9_SE_NS0_5tupleIJPjSE_EEENSF_IJSE_SE_EEES9_SG_JZNS1_25segmented_radix_sort_implINS0_14default_configELb1EPKaPaPKlPlN2at6native12_GLOBAL__N_18offset_tEEE10hipError_tPvRmT1_PNSt15iterator_traitsISY_E10value_typeET2_T3_PNSZ_IS14_E10value_typeET4_jRbjT5_S1A_jjP12ihipStream_tbEUljE_EEESV_SW_SX_S14_S18_S1A_T6_T7_T9_mT8_S1C_bDpT10_ENKUlT_T0_E_clISt17integral_constantIbLb1EES1O_IbLb0EEEEDaS1K_S1L_EUlS1K_E_NS1_11comp_targetILNS1_3genE4ELNS1_11target_archE910ELNS1_3gpuE8ELNS1_3repE0EEENS1_30default_config_static_selectorELNS0_4arch9wavefront6targetE0EEEvSY_.kd
    .uniform_work_group_size: 1
    .uses_dynamic_stack: false
    .vgpr_count:     0
    .vgpr_spill_count: 0
    .wavefront_size: 32
    .workgroup_processor_mode: 1
  - .args:
      - .offset:         0
        .size:           144
        .value_kind:     by_value
    .group_segment_fixed_size: 0
    .kernarg_segment_align: 8
    .kernarg_segment_size: 144
    .language:       OpenCL C
    .language_version:
      - 2
      - 0
    .max_flat_workgroup_size: 256
    .name:           _ZN7rocprim17ROCPRIM_400000_NS6detail17trampoline_kernelINS0_13select_configILj256ELj13ELNS0_17block_load_methodE3ELS4_3ELS4_3ELNS0_20block_scan_algorithmE0ELj4294967295EEENS1_25partition_config_selectorILNS1_17partition_subalgoE3EjNS0_10empty_typeEbEEZZNS1_14partition_implILS8_3ELb0ES6_jNS0_17counting_iteratorIjlEEPS9_SE_NS0_5tupleIJPjSE_EEENSF_IJSE_SE_EEES9_SG_JZNS1_25segmented_radix_sort_implINS0_14default_configELb1EPKaPaPKlPlN2at6native12_GLOBAL__N_18offset_tEEE10hipError_tPvRmT1_PNSt15iterator_traitsISY_E10value_typeET2_T3_PNSZ_IS14_E10value_typeET4_jRbjT5_S1A_jjP12ihipStream_tbEUljE_EEESV_SW_SX_S14_S18_S1A_T6_T7_T9_mT8_S1C_bDpT10_ENKUlT_T0_E_clISt17integral_constantIbLb1EES1O_IbLb0EEEEDaS1K_S1L_EUlS1K_E_NS1_11comp_targetILNS1_3genE3ELNS1_11target_archE908ELNS1_3gpuE7ELNS1_3repE0EEENS1_30default_config_static_selectorELNS0_4arch9wavefront6targetE0EEEvSY_
    .private_segment_fixed_size: 0
    .sgpr_count:     0
    .sgpr_spill_count: 0
    .symbol:         _ZN7rocprim17ROCPRIM_400000_NS6detail17trampoline_kernelINS0_13select_configILj256ELj13ELNS0_17block_load_methodE3ELS4_3ELS4_3ELNS0_20block_scan_algorithmE0ELj4294967295EEENS1_25partition_config_selectorILNS1_17partition_subalgoE3EjNS0_10empty_typeEbEEZZNS1_14partition_implILS8_3ELb0ES6_jNS0_17counting_iteratorIjlEEPS9_SE_NS0_5tupleIJPjSE_EEENSF_IJSE_SE_EEES9_SG_JZNS1_25segmented_radix_sort_implINS0_14default_configELb1EPKaPaPKlPlN2at6native12_GLOBAL__N_18offset_tEEE10hipError_tPvRmT1_PNSt15iterator_traitsISY_E10value_typeET2_T3_PNSZ_IS14_E10value_typeET4_jRbjT5_S1A_jjP12ihipStream_tbEUljE_EEESV_SW_SX_S14_S18_S1A_T6_T7_T9_mT8_S1C_bDpT10_ENKUlT_T0_E_clISt17integral_constantIbLb1EES1O_IbLb0EEEEDaS1K_S1L_EUlS1K_E_NS1_11comp_targetILNS1_3genE3ELNS1_11target_archE908ELNS1_3gpuE7ELNS1_3repE0EEENS1_30default_config_static_selectorELNS0_4arch9wavefront6targetE0EEEvSY_.kd
    .uniform_work_group_size: 1
    .uses_dynamic_stack: false
    .vgpr_count:     0
    .vgpr_spill_count: 0
    .wavefront_size: 32
    .workgroup_processor_mode: 1
  - .args:
      - .offset:         0
        .size:           144
        .value_kind:     by_value
    .group_segment_fixed_size: 0
    .kernarg_segment_align: 8
    .kernarg_segment_size: 144
    .language:       OpenCL C
    .language_version:
      - 2
      - 0
    .max_flat_workgroup_size: 256
    .name:           _ZN7rocprim17ROCPRIM_400000_NS6detail17trampoline_kernelINS0_13select_configILj256ELj13ELNS0_17block_load_methodE3ELS4_3ELS4_3ELNS0_20block_scan_algorithmE0ELj4294967295EEENS1_25partition_config_selectorILNS1_17partition_subalgoE3EjNS0_10empty_typeEbEEZZNS1_14partition_implILS8_3ELb0ES6_jNS0_17counting_iteratorIjlEEPS9_SE_NS0_5tupleIJPjSE_EEENSF_IJSE_SE_EEES9_SG_JZNS1_25segmented_radix_sort_implINS0_14default_configELb1EPKaPaPKlPlN2at6native12_GLOBAL__N_18offset_tEEE10hipError_tPvRmT1_PNSt15iterator_traitsISY_E10value_typeET2_T3_PNSZ_IS14_E10value_typeET4_jRbjT5_S1A_jjP12ihipStream_tbEUljE_EEESV_SW_SX_S14_S18_S1A_T6_T7_T9_mT8_S1C_bDpT10_ENKUlT_T0_E_clISt17integral_constantIbLb1EES1O_IbLb0EEEEDaS1K_S1L_EUlS1K_E_NS1_11comp_targetILNS1_3genE2ELNS1_11target_archE906ELNS1_3gpuE6ELNS1_3repE0EEENS1_30default_config_static_selectorELNS0_4arch9wavefront6targetE0EEEvSY_
    .private_segment_fixed_size: 0
    .sgpr_count:     0
    .sgpr_spill_count: 0
    .symbol:         _ZN7rocprim17ROCPRIM_400000_NS6detail17trampoline_kernelINS0_13select_configILj256ELj13ELNS0_17block_load_methodE3ELS4_3ELS4_3ELNS0_20block_scan_algorithmE0ELj4294967295EEENS1_25partition_config_selectorILNS1_17partition_subalgoE3EjNS0_10empty_typeEbEEZZNS1_14partition_implILS8_3ELb0ES6_jNS0_17counting_iteratorIjlEEPS9_SE_NS0_5tupleIJPjSE_EEENSF_IJSE_SE_EEES9_SG_JZNS1_25segmented_radix_sort_implINS0_14default_configELb1EPKaPaPKlPlN2at6native12_GLOBAL__N_18offset_tEEE10hipError_tPvRmT1_PNSt15iterator_traitsISY_E10value_typeET2_T3_PNSZ_IS14_E10value_typeET4_jRbjT5_S1A_jjP12ihipStream_tbEUljE_EEESV_SW_SX_S14_S18_S1A_T6_T7_T9_mT8_S1C_bDpT10_ENKUlT_T0_E_clISt17integral_constantIbLb1EES1O_IbLb0EEEEDaS1K_S1L_EUlS1K_E_NS1_11comp_targetILNS1_3genE2ELNS1_11target_archE906ELNS1_3gpuE6ELNS1_3repE0EEENS1_30default_config_static_selectorELNS0_4arch9wavefront6targetE0EEEvSY_.kd
    .uniform_work_group_size: 1
    .uses_dynamic_stack: false
    .vgpr_count:     0
    .vgpr_spill_count: 0
    .wavefront_size: 32
    .workgroup_processor_mode: 1
  - .args:
      - .offset:         0
        .size:           144
        .value_kind:     by_value
    .group_segment_fixed_size: 0
    .kernarg_segment_align: 8
    .kernarg_segment_size: 144
    .language:       OpenCL C
    .language_version:
      - 2
      - 0
    .max_flat_workgroup_size: 256
    .name:           _ZN7rocprim17ROCPRIM_400000_NS6detail17trampoline_kernelINS0_13select_configILj256ELj13ELNS0_17block_load_methodE3ELS4_3ELS4_3ELNS0_20block_scan_algorithmE0ELj4294967295EEENS1_25partition_config_selectorILNS1_17partition_subalgoE3EjNS0_10empty_typeEbEEZZNS1_14partition_implILS8_3ELb0ES6_jNS0_17counting_iteratorIjlEEPS9_SE_NS0_5tupleIJPjSE_EEENSF_IJSE_SE_EEES9_SG_JZNS1_25segmented_radix_sort_implINS0_14default_configELb1EPKaPaPKlPlN2at6native12_GLOBAL__N_18offset_tEEE10hipError_tPvRmT1_PNSt15iterator_traitsISY_E10value_typeET2_T3_PNSZ_IS14_E10value_typeET4_jRbjT5_S1A_jjP12ihipStream_tbEUljE_EEESV_SW_SX_S14_S18_S1A_T6_T7_T9_mT8_S1C_bDpT10_ENKUlT_T0_E_clISt17integral_constantIbLb1EES1O_IbLb0EEEEDaS1K_S1L_EUlS1K_E_NS1_11comp_targetILNS1_3genE10ELNS1_11target_archE1200ELNS1_3gpuE4ELNS1_3repE0EEENS1_30default_config_static_selectorELNS0_4arch9wavefront6targetE0EEEvSY_
    .private_segment_fixed_size: 0
    .sgpr_count:     0
    .sgpr_spill_count: 0
    .symbol:         _ZN7rocprim17ROCPRIM_400000_NS6detail17trampoline_kernelINS0_13select_configILj256ELj13ELNS0_17block_load_methodE3ELS4_3ELS4_3ELNS0_20block_scan_algorithmE0ELj4294967295EEENS1_25partition_config_selectorILNS1_17partition_subalgoE3EjNS0_10empty_typeEbEEZZNS1_14partition_implILS8_3ELb0ES6_jNS0_17counting_iteratorIjlEEPS9_SE_NS0_5tupleIJPjSE_EEENSF_IJSE_SE_EEES9_SG_JZNS1_25segmented_radix_sort_implINS0_14default_configELb1EPKaPaPKlPlN2at6native12_GLOBAL__N_18offset_tEEE10hipError_tPvRmT1_PNSt15iterator_traitsISY_E10value_typeET2_T3_PNSZ_IS14_E10value_typeET4_jRbjT5_S1A_jjP12ihipStream_tbEUljE_EEESV_SW_SX_S14_S18_S1A_T6_T7_T9_mT8_S1C_bDpT10_ENKUlT_T0_E_clISt17integral_constantIbLb1EES1O_IbLb0EEEEDaS1K_S1L_EUlS1K_E_NS1_11comp_targetILNS1_3genE10ELNS1_11target_archE1200ELNS1_3gpuE4ELNS1_3repE0EEENS1_30default_config_static_selectorELNS0_4arch9wavefront6targetE0EEEvSY_.kd
    .uniform_work_group_size: 1
    .uses_dynamic_stack: false
    .vgpr_count:     0
    .vgpr_spill_count: 0
    .wavefront_size: 32
    .workgroup_processor_mode: 1
  - .args:
      - .offset:         0
        .size:           144
        .value_kind:     by_value
    .group_segment_fixed_size: 13324
    .kernarg_segment_align: 8
    .kernarg_segment_size: 144
    .language:       OpenCL C
    .language_version:
      - 2
      - 0
    .max_flat_workgroup_size: 256
    .name:           _ZN7rocprim17ROCPRIM_400000_NS6detail17trampoline_kernelINS0_13select_configILj256ELj13ELNS0_17block_load_methodE3ELS4_3ELS4_3ELNS0_20block_scan_algorithmE0ELj4294967295EEENS1_25partition_config_selectorILNS1_17partition_subalgoE3EjNS0_10empty_typeEbEEZZNS1_14partition_implILS8_3ELb0ES6_jNS0_17counting_iteratorIjlEEPS9_SE_NS0_5tupleIJPjSE_EEENSF_IJSE_SE_EEES9_SG_JZNS1_25segmented_radix_sort_implINS0_14default_configELb1EPKaPaPKlPlN2at6native12_GLOBAL__N_18offset_tEEE10hipError_tPvRmT1_PNSt15iterator_traitsISY_E10value_typeET2_T3_PNSZ_IS14_E10value_typeET4_jRbjT5_S1A_jjP12ihipStream_tbEUljE_EEESV_SW_SX_S14_S18_S1A_T6_T7_T9_mT8_S1C_bDpT10_ENKUlT_T0_E_clISt17integral_constantIbLb1EES1O_IbLb0EEEEDaS1K_S1L_EUlS1K_E_NS1_11comp_targetILNS1_3genE9ELNS1_11target_archE1100ELNS1_3gpuE3ELNS1_3repE0EEENS1_30default_config_static_selectorELNS0_4arch9wavefront6targetE0EEEvSY_
    .private_segment_fixed_size: 0
    .sgpr_count:     30
    .sgpr_spill_count: 0
    .symbol:         _ZN7rocprim17ROCPRIM_400000_NS6detail17trampoline_kernelINS0_13select_configILj256ELj13ELNS0_17block_load_methodE3ELS4_3ELS4_3ELNS0_20block_scan_algorithmE0ELj4294967295EEENS1_25partition_config_selectorILNS1_17partition_subalgoE3EjNS0_10empty_typeEbEEZZNS1_14partition_implILS8_3ELb0ES6_jNS0_17counting_iteratorIjlEEPS9_SE_NS0_5tupleIJPjSE_EEENSF_IJSE_SE_EEES9_SG_JZNS1_25segmented_radix_sort_implINS0_14default_configELb1EPKaPaPKlPlN2at6native12_GLOBAL__N_18offset_tEEE10hipError_tPvRmT1_PNSt15iterator_traitsISY_E10value_typeET2_T3_PNSZ_IS14_E10value_typeET4_jRbjT5_S1A_jjP12ihipStream_tbEUljE_EEESV_SW_SX_S14_S18_S1A_T6_T7_T9_mT8_S1C_bDpT10_ENKUlT_T0_E_clISt17integral_constantIbLb1EES1O_IbLb0EEEEDaS1K_S1L_EUlS1K_E_NS1_11comp_targetILNS1_3genE9ELNS1_11target_archE1100ELNS1_3gpuE3ELNS1_3repE0EEENS1_30default_config_static_selectorELNS0_4arch9wavefront6targetE0EEEvSY_.kd
    .uniform_work_group_size: 1
    .uses_dynamic_stack: false
    .vgpr_count:     57
    .vgpr_spill_count: 0
    .wavefront_size: 32
    .workgroup_processor_mode: 1
  - .args:
      - .offset:         0
        .size:           144
        .value_kind:     by_value
    .group_segment_fixed_size: 0
    .kernarg_segment_align: 8
    .kernarg_segment_size: 144
    .language:       OpenCL C
    .language_version:
      - 2
      - 0
    .max_flat_workgroup_size: 256
    .name:           _ZN7rocprim17ROCPRIM_400000_NS6detail17trampoline_kernelINS0_13select_configILj256ELj13ELNS0_17block_load_methodE3ELS4_3ELS4_3ELNS0_20block_scan_algorithmE0ELj4294967295EEENS1_25partition_config_selectorILNS1_17partition_subalgoE3EjNS0_10empty_typeEbEEZZNS1_14partition_implILS8_3ELb0ES6_jNS0_17counting_iteratorIjlEEPS9_SE_NS0_5tupleIJPjSE_EEENSF_IJSE_SE_EEES9_SG_JZNS1_25segmented_radix_sort_implINS0_14default_configELb1EPKaPaPKlPlN2at6native12_GLOBAL__N_18offset_tEEE10hipError_tPvRmT1_PNSt15iterator_traitsISY_E10value_typeET2_T3_PNSZ_IS14_E10value_typeET4_jRbjT5_S1A_jjP12ihipStream_tbEUljE_EEESV_SW_SX_S14_S18_S1A_T6_T7_T9_mT8_S1C_bDpT10_ENKUlT_T0_E_clISt17integral_constantIbLb1EES1O_IbLb0EEEEDaS1K_S1L_EUlS1K_E_NS1_11comp_targetILNS1_3genE8ELNS1_11target_archE1030ELNS1_3gpuE2ELNS1_3repE0EEENS1_30default_config_static_selectorELNS0_4arch9wavefront6targetE0EEEvSY_
    .private_segment_fixed_size: 0
    .sgpr_count:     0
    .sgpr_spill_count: 0
    .symbol:         _ZN7rocprim17ROCPRIM_400000_NS6detail17trampoline_kernelINS0_13select_configILj256ELj13ELNS0_17block_load_methodE3ELS4_3ELS4_3ELNS0_20block_scan_algorithmE0ELj4294967295EEENS1_25partition_config_selectorILNS1_17partition_subalgoE3EjNS0_10empty_typeEbEEZZNS1_14partition_implILS8_3ELb0ES6_jNS0_17counting_iteratorIjlEEPS9_SE_NS0_5tupleIJPjSE_EEENSF_IJSE_SE_EEES9_SG_JZNS1_25segmented_radix_sort_implINS0_14default_configELb1EPKaPaPKlPlN2at6native12_GLOBAL__N_18offset_tEEE10hipError_tPvRmT1_PNSt15iterator_traitsISY_E10value_typeET2_T3_PNSZ_IS14_E10value_typeET4_jRbjT5_S1A_jjP12ihipStream_tbEUljE_EEESV_SW_SX_S14_S18_S1A_T6_T7_T9_mT8_S1C_bDpT10_ENKUlT_T0_E_clISt17integral_constantIbLb1EES1O_IbLb0EEEEDaS1K_S1L_EUlS1K_E_NS1_11comp_targetILNS1_3genE8ELNS1_11target_archE1030ELNS1_3gpuE2ELNS1_3repE0EEENS1_30default_config_static_selectorELNS0_4arch9wavefront6targetE0EEEvSY_.kd
    .uniform_work_group_size: 1
    .uses_dynamic_stack: false
    .vgpr_count:     0
    .vgpr_spill_count: 0
    .wavefront_size: 32
    .workgroup_processor_mode: 1
  - .args:
      - .offset:         0
        .size:           152
        .value_kind:     by_value
    .group_segment_fixed_size: 0
    .kernarg_segment_align: 8
    .kernarg_segment_size: 152
    .language:       OpenCL C
    .language_version:
      - 2
      - 0
    .max_flat_workgroup_size: 256
    .name:           _ZN7rocprim17ROCPRIM_400000_NS6detail17trampoline_kernelINS0_13select_configILj256ELj13ELNS0_17block_load_methodE3ELS4_3ELS4_3ELNS0_20block_scan_algorithmE0ELj4294967295EEENS1_25partition_config_selectorILNS1_17partition_subalgoE3EjNS0_10empty_typeEbEEZZNS1_14partition_implILS8_3ELb0ES6_jNS0_17counting_iteratorIjlEEPS9_SE_NS0_5tupleIJPjSE_EEENSF_IJSE_SE_EEES9_SG_JZNS1_25segmented_radix_sort_implINS0_14default_configELb1EPKaPaPKlPlN2at6native12_GLOBAL__N_18offset_tEEE10hipError_tPvRmT1_PNSt15iterator_traitsISY_E10value_typeET2_T3_PNSZ_IS14_E10value_typeET4_jRbjT5_S1A_jjP12ihipStream_tbEUljE_EEESV_SW_SX_S14_S18_S1A_T6_T7_T9_mT8_S1C_bDpT10_ENKUlT_T0_E_clISt17integral_constantIbLb0EES1O_IbLb1EEEEDaS1K_S1L_EUlS1K_E_NS1_11comp_targetILNS1_3genE0ELNS1_11target_archE4294967295ELNS1_3gpuE0ELNS1_3repE0EEENS1_30default_config_static_selectorELNS0_4arch9wavefront6targetE0EEEvSY_
    .private_segment_fixed_size: 0
    .sgpr_count:     0
    .sgpr_spill_count: 0
    .symbol:         _ZN7rocprim17ROCPRIM_400000_NS6detail17trampoline_kernelINS0_13select_configILj256ELj13ELNS0_17block_load_methodE3ELS4_3ELS4_3ELNS0_20block_scan_algorithmE0ELj4294967295EEENS1_25partition_config_selectorILNS1_17partition_subalgoE3EjNS0_10empty_typeEbEEZZNS1_14partition_implILS8_3ELb0ES6_jNS0_17counting_iteratorIjlEEPS9_SE_NS0_5tupleIJPjSE_EEENSF_IJSE_SE_EEES9_SG_JZNS1_25segmented_radix_sort_implINS0_14default_configELb1EPKaPaPKlPlN2at6native12_GLOBAL__N_18offset_tEEE10hipError_tPvRmT1_PNSt15iterator_traitsISY_E10value_typeET2_T3_PNSZ_IS14_E10value_typeET4_jRbjT5_S1A_jjP12ihipStream_tbEUljE_EEESV_SW_SX_S14_S18_S1A_T6_T7_T9_mT8_S1C_bDpT10_ENKUlT_T0_E_clISt17integral_constantIbLb0EES1O_IbLb1EEEEDaS1K_S1L_EUlS1K_E_NS1_11comp_targetILNS1_3genE0ELNS1_11target_archE4294967295ELNS1_3gpuE0ELNS1_3repE0EEENS1_30default_config_static_selectorELNS0_4arch9wavefront6targetE0EEEvSY_.kd
    .uniform_work_group_size: 1
    .uses_dynamic_stack: false
    .vgpr_count:     0
    .vgpr_spill_count: 0
    .wavefront_size: 32
    .workgroup_processor_mode: 1
  - .args:
      - .offset:         0
        .size:           152
        .value_kind:     by_value
    .group_segment_fixed_size: 0
    .kernarg_segment_align: 8
    .kernarg_segment_size: 152
    .language:       OpenCL C
    .language_version:
      - 2
      - 0
    .max_flat_workgroup_size: 256
    .name:           _ZN7rocprim17ROCPRIM_400000_NS6detail17trampoline_kernelINS0_13select_configILj256ELj13ELNS0_17block_load_methodE3ELS4_3ELS4_3ELNS0_20block_scan_algorithmE0ELj4294967295EEENS1_25partition_config_selectorILNS1_17partition_subalgoE3EjNS0_10empty_typeEbEEZZNS1_14partition_implILS8_3ELb0ES6_jNS0_17counting_iteratorIjlEEPS9_SE_NS0_5tupleIJPjSE_EEENSF_IJSE_SE_EEES9_SG_JZNS1_25segmented_radix_sort_implINS0_14default_configELb1EPKaPaPKlPlN2at6native12_GLOBAL__N_18offset_tEEE10hipError_tPvRmT1_PNSt15iterator_traitsISY_E10value_typeET2_T3_PNSZ_IS14_E10value_typeET4_jRbjT5_S1A_jjP12ihipStream_tbEUljE_EEESV_SW_SX_S14_S18_S1A_T6_T7_T9_mT8_S1C_bDpT10_ENKUlT_T0_E_clISt17integral_constantIbLb0EES1O_IbLb1EEEEDaS1K_S1L_EUlS1K_E_NS1_11comp_targetILNS1_3genE5ELNS1_11target_archE942ELNS1_3gpuE9ELNS1_3repE0EEENS1_30default_config_static_selectorELNS0_4arch9wavefront6targetE0EEEvSY_
    .private_segment_fixed_size: 0
    .sgpr_count:     0
    .sgpr_spill_count: 0
    .symbol:         _ZN7rocprim17ROCPRIM_400000_NS6detail17trampoline_kernelINS0_13select_configILj256ELj13ELNS0_17block_load_methodE3ELS4_3ELS4_3ELNS0_20block_scan_algorithmE0ELj4294967295EEENS1_25partition_config_selectorILNS1_17partition_subalgoE3EjNS0_10empty_typeEbEEZZNS1_14partition_implILS8_3ELb0ES6_jNS0_17counting_iteratorIjlEEPS9_SE_NS0_5tupleIJPjSE_EEENSF_IJSE_SE_EEES9_SG_JZNS1_25segmented_radix_sort_implINS0_14default_configELb1EPKaPaPKlPlN2at6native12_GLOBAL__N_18offset_tEEE10hipError_tPvRmT1_PNSt15iterator_traitsISY_E10value_typeET2_T3_PNSZ_IS14_E10value_typeET4_jRbjT5_S1A_jjP12ihipStream_tbEUljE_EEESV_SW_SX_S14_S18_S1A_T6_T7_T9_mT8_S1C_bDpT10_ENKUlT_T0_E_clISt17integral_constantIbLb0EES1O_IbLb1EEEEDaS1K_S1L_EUlS1K_E_NS1_11comp_targetILNS1_3genE5ELNS1_11target_archE942ELNS1_3gpuE9ELNS1_3repE0EEENS1_30default_config_static_selectorELNS0_4arch9wavefront6targetE0EEEvSY_.kd
    .uniform_work_group_size: 1
    .uses_dynamic_stack: false
    .vgpr_count:     0
    .vgpr_spill_count: 0
    .wavefront_size: 32
    .workgroup_processor_mode: 1
  - .args:
      - .offset:         0
        .size:           152
        .value_kind:     by_value
    .group_segment_fixed_size: 0
    .kernarg_segment_align: 8
    .kernarg_segment_size: 152
    .language:       OpenCL C
    .language_version:
      - 2
      - 0
    .max_flat_workgroup_size: 256
    .name:           _ZN7rocprim17ROCPRIM_400000_NS6detail17trampoline_kernelINS0_13select_configILj256ELj13ELNS0_17block_load_methodE3ELS4_3ELS4_3ELNS0_20block_scan_algorithmE0ELj4294967295EEENS1_25partition_config_selectorILNS1_17partition_subalgoE3EjNS0_10empty_typeEbEEZZNS1_14partition_implILS8_3ELb0ES6_jNS0_17counting_iteratorIjlEEPS9_SE_NS0_5tupleIJPjSE_EEENSF_IJSE_SE_EEES9_SG_JZNS1_25segmented_radix_sort_implINS0_14default_configELb1EPKaPaPKlPlN2at6native12_GLOBAL__N_18offset_tEEE10hipError_tPvRmT1_PNSt15iterator_traitsISY_E10value_typeET2_T3_PNSZ_IS14_E10value_typeET4_jRbjT5_S1A_jjP12ihipStream_tbEUljE_EEESV_SW_SX_S14_S18_S1A_T6_T7_T9_mT8_S1C_bDpT10_ENKUlT_T0_E_clISt17integral_constantIbLb0EES1O_IbLb1EEEEDaS1K_S1L_EUlS1K_E_NS1_11comp_targetILNS1_3genE4ELNS1_11target_archE910ELNS1_3gpuE8ELNS1_3repE0EEENS1_30default_config_static_selectorELNS0_4arch9wavefront6targetE0EEEvSY_
    .private_segment_fixed_size: 0
    .sgpr_count:     0
    .sgpr_spill_count: 0
    .symbol:         _ZN7rocprim17ROCPRIM_400000_NS6detail17trampoline_kernelINS0_13select_configILj256ELj13ELNS0_17block_load_methodE3ELS4_3ELS4_3ELNS0_20block_scan_algorithmE0ELj4294967295EEENS1_25partition_config_selectorILNS1_17partition_subalgoE3EjNS0_10empty_typeEbEEZZNS1_14partition_implILS8_3ELb0ES6_jNS0_17counting_iteratorIjlEEPS9_SE_NS0_5tupleIJPjSE_EEENSF_IJSE_SE_EEES9_SG_JZNS1_25segmented_radix_sort_implINS0_14default_configELb1EPKaPaPKlPlN2at6native12_GLOBAL__N_18offset_tEEE10hipError_tPvRmT1_PNSt15iterator_traitsISY_E10value_typeET2_T3_PNSZ_IS14_E10value_typeET4_jRbjT5_S1A_jjP12ihipStream_tbEUljE_EEESV_SW_SX_S14_S18_S1A_T6_T7_T9_mT8_S1C_bDpT10_ENKUlT_T0_E_clISt17integral_constantIbLb0EES1O_IbLb1EEEEDaS1K_S1L_EUlS1K_E_NS1_11comp_targetILNS1_3genE4ELNS1_11target_archE910ELNS1_3gpuE8ELNS1_3repE0EEENS1_30default_config_static_selectorELNS0_4arch9wavefront6targetE0EEEvSY_.kd
    .uniform_work_group_size: 1
    .uses_dynamic_stack: false
    .vgpr_count:     0
    .vgpr_spill_count: 0
    .wavefront_size: 32
    .workgroup_processor_mode: 1
  - .args:
      - .offset:         0
        .size:           152
        .value_kind:     by_value
    .group_segment_fixed_size: 0
    .kernarg_segment_align: 8
    .kernarg_segment_size: 152
    .language:       OpenCL C
    .language_version:
      - 2
      - 0
    .max_flat_workgroup_size: 256
    .name:           _ZN7rocprim17ROCPRIM_400000_NS6detail17trampoline_kernelINS0_13select_configILj256ELj13ELNS0_17block_load_methodE3ELS4_3ELS4_3ELNS0_20block_scan_algorithmE0ELj4294967295EEENS1_25partition_config_selectorILNS1_17partition_subalgoE3EjNS0_10empty_typeEbEEZZNS1_14partition_implILS8_3ELb0ES6_jNS0_17counting_iteratorIjlEEPS9_SE_NS0_5tupleIJPjSE_EEENSF_IJSE_SE_EEES9_SG_JZNS1_25segmented_radix_sort_implINS0_14default_configELb1EPKaPaPKlPlN2at6native12_GLOBAL__N_18offset_tEEE10hipError_tPvRmT1_PNSt15iterator_traitsISY_E10value_typeET2_T3_PNSZ_IS14_E10value_typeET4_jRbjT5_S1A_jjP12ihipStream_tbEUljE_EEESV_SW_SX_S14_S18_S1A_T6_T7_T9_mT8_S1C_bDpT10_ENKUlT_T0_E_clISt17integral_constantIbLb0EES1O_IbLb1EEEEDaS1K_S1L_EUlS1K_E_NS1_11comp_targetILNS1_3genE3ELNS1_11target_archE908ELNS1_3gpuE7ELNS1_3repE0EEENS1_30default_config_static_selectorELNS0_4arch9wavefront6targetE0EEEvSY_
    .private_segment_fixed_size: 0
    .sgpr_count:     0
    .sgpr_spill_count: 0
    .symbol:         _ZN7rocprim17ROCPRIM_400000_NS6detail17trampoline_kernelINS0_13select_configILj256ELj13ELNS0_17block_load_methodE3ELS4_3ELS4_3ELNS0_20block_scan_algorithmE0ELj4294967295EEENS1_25partition_config_selectorILNS1_17partition_subalgoE3EjNS0_10empty_typeEbEEZZNS1_14partition_implILS8_3ELb0ES6_jNS0_17counting_iteratorIjlEEPS9_SE_NS0_5tupleIJPjSE_EEENSF_IJSE_SE_EEES9_SG_JZNS1_25segmented_radix_sort_implINS0_14default_configELb1EPKaPaPKlPlN2at6native12_GLOBAL__N_18offset_tEEE10hipError_tPvRmT1_PNSt15iterator_traitsISY_E10value_typeET2_T3_PNSZ_IS14_E10value_typeET4_jRbjT5_S1A_jjP12ihipStream_tbEUljE_EEESV_SW_SX_S14_S18_S1A_T6_T7_T9_mT8_S1C_bDpT10_ENKUlT_T0_E_clISt17integral_constantIbLb0EES1O_IbLb1EEEEDaS1K_S1L_EUlS1K_E_NS1_11comp_targetILNS1_3genE3ELNS1_11target_archE908ELNS1_3gpuE7ELNS1_3repE0EEENS1_30default_config_static_selectorELNS0_4arch9wavefront6targetE0EEEvSY_.kd
    .uniform_work_group_size: 1
    .uses_dynamic_stack: false
    .vgpr_count:     0
    .vgpr_spill_count: 0
    .wavefront_size: 32
    .workgroup_processor_mode: 1
  - .args:
      - .offset:         0
        .size:           152
        .value_kind:     by_value
    .group_segment_fixed_size: 0
    .kernarg_segment_align: 8
    .kernarg_segment_size: 152
    .language:       OpenCL C
    .language_version:
      - 2
      - 0
    .max_flat_workgroup_size: 256
    .name:           _ZN7rocprim17ROCPRIM_400000_NS6detail17trampoline_kernelINS0_13select_configILj256ELj13ELNS0_17block_load_methodE3ELS4_3ELS4_3ELNS0_20block_scan_algorithmE0ELj4294967295EEENS1_25partition_config_selectorILNS1_17partition_subalgoE3EjNS0_10empty_typeEbEEZZNS1_14partition_implILS8_3ELb0ES6_jNS0_17counting_iteratorIjlEEPS9_SE_NS0_5tupleIJPjSE_EEENSF_IJSE_SE_EEES9_SG_JZNS1_25segmented_radix_sort_implINS0_14default_configELb1EPKaPaPKlPlN2at6native12_GLOBAL__N_18offset_tEEE10hipError_tPvRmT1_PNSt15iterator_traitsISY_E10value_typeET2_T3_PNSZ_IS14_E10value_typeET4_jRbjT5_S1A_jjP12ihipStream_tbEUljE_EEESV_SW_SX_S14_S18_S1A_T6_T7_T9_mT8_S1C_bDpT10_ENKUlT_T0_E_clISt17integral_constantIbLb0EES1O_IbLb1EEEEDaS1K_S1L_EUlS1K_E_NS1_11comp_targetILNS1_3genE2ELNS1_11target_archE906ELNS1_3gpuE6ELNS1_3repE0EEENS1_30default_config_static_selectorELNS0_4arch9wavefront6targetE0EEEvSY_
    .private_segment_fixed_size: 0
    .sgpr_count:     0
    .sgpr_spill_count: 0
    .symbol:         _ZN7rocprim17ROCPRIM_400000_NS6detail17trampoline_kernelINS0_13select_configILj256ELj13ELNS0_17block_load_methodE3ELS4_3ELS4_3ELNS0_20block_scan_algorithmE0ELj4294967295EEENS1_25partition_config_selectorILNS1_17partition_subalgoE3EjNS0_10empty_typeEbEEZZNS1_14partition_implILS8_3ELb0ES6_jNS0_17counting_iteratorIjlEEPS9_SE_NS0_5tupleIJPjSE_EEENSF_IJSE_SE_EEES9_SG_JZNS1_25segmented_radix_sort_implINS0_14default_configELb1EPKaPaPKlPlN2at6native12_GLOBAL__N_18offset_tEEE10hipError_tPvRmT1_PNSt15iterator_traitsISY_E10value_typeET2_T3_PNSZ_IS14_E10value_typeET4_jRbjT5_S1A_jjP12ihipStream_tbEUljE_EEESV_SW_SX_S14_S18_S1A_T6_T7_T9_mT8_S1C_bDpT10_ENKUlT_T0_E_clISt17integral_constantIbLb0EES1O_IbLb1EEEEDaS1K_S1L_EUlS1K_E_NS1_11comp_targetILNS1_3genE2ELNS1_11target_archE906ELNS1_3gpuE6ELNS1_3repE0EEENS1_30default_config_static_selectorELNS0_4arch9wavefront6targetE0EEEvSY_.kd
    .uniform_work_group_size: 1
    .uses_dynamic_stack: false
    .vgpr_count:     0
    .vgpr_spill_count: 0
    .wavefront_size: 32
    .workgroup_processor_mode: 1
  - .args:
      - .offset:         0
        .size:           152
        .value_kind:     by_value
    .group_segment_fixed_size: 0
    .kernarg_segment_align: 8
    .kernarg_segment_size: 152
    .language:       OpenCL C
    .language_version:
      - 2
      - 0
    .max_flat_workgroup_size: 256
    .name:           _ZN7rocprim17ROCPRIM_400000_NS6detail17trampoline_kernelINS0_13select_configILj256ELj13ELNS0_17block_load_methodE3ELS4_3ELS4_3ELNS0_20block_scan_algorithmE0ELj4294967295EEENS1_25partition_config_selectorILNS1_17partition_subalgoE3EjNS0_10empty_typeEbEEZZNS1_14partition_implILS8_3ELb0ES6_jNS0_17counting_iteratorIjlEEPS9_SE_NS0_5tupleIJPjSE_EEENSF_IJSE_SE_EEES9_SG_JZNS1_25segmented_radix_sort_implINS0_14default_configELb1EPKaPaPKlPlN2at6native12_GLOBAL__N_18offset_tEEE10hipError_tPvRmT1_PNSt15iterator_traitsISY_E10value_typeET2_T3_PNSZ_IS14_E10value_typeET4_jRbjT5_S1A_jjP12ihipStream_tbEUljE_EEESV_SW_SX_S14_S18_S1A_T6_T7_T9_mT8_S1C_bDpT10_ENKUlT_T0_E_clISt17integral_constantIbLb0EES1O_IbLb1EEEEDaS1K_S1L_EUlS1K_E_NS1_11comp_targetILNS1_3genE10ELNS1_11target_archE1200ELNS1_3gpuE4ELNS1_3repE0EEENS1_30default_config_static_selectorELNS0_4arch9wavefront6targetE0EEEvSY_
    .private_segment_fixed_size: 0
    .sgpr_count:     0
    .sgpr_spill_count: 0
    .symbol:         _ZN7rocprim17ROCPRIM_400000_NS6detail17trampoline_kernelINS0_13select_configILj256ELj13ELNS0_17block_load_methodE3ELS4_3ELS4_3ELNS0_20block_scan_algorithmE0ELj4294967295EEENS1_25partition_config_selectorILNS1_17partition_subalgoE3EjNS0_10empty_typeEbEEZZNS1_14partition_implILS8_3ELb0ES6_jNS0_17counting_iteratorIjlEEPS9_SE_NS0_5tupleIJPjSE_EEENSF_IJSE_SE_EEES9_SG_JZNS1_25segmented_radix_sort_implINS0_14default_configELb1EPKaPaPKlPlN2at6native12_GLOBAL__N_18offset_tEEE10hipError_tPvRmT1_PNSt15iterator_traitsISY_E10value_typeET2_T3_PNSZ_IS14_E10value_typeET4_jRbjT5_S1A_jjP12ihipStream_tbEUljE_EEESV_SW_SX_S14_S18_S1A_T6_T7_T9_mT8_S1C_bDpT10_ENKUlT_T0_E_clISt17integral_constantIbLb0EES1O_IbLb1EEEEDaS1K_S1L_EUlS1K_E_NS1_11comp_targetILNS1_3genE10ELNS1_11target_archE1200ELNS1_3gpuE4ELNS1_3repE0EEENS1_30default_config_static_selectorELNS0_4arch9wavefront6targetE0EEEvSY_.kd
    .uniform_work_group_size: 1
    .uses_dynamic_stack: false
    .vgpr_count:     0
    .vgpr_spill_count: 0
    .wavefront_size: 32
    .workgroup_processor_mode: 1
  - .args:
      - .offset:         0
        .size:           152
        .value_kind:     by_value
    .group_segment_fixed_size: 13324
    .kernarg_segment_align: 8
    .kernarg_segment_size: 152
    .language:       OpenCL C
    .language_version:
      - 2
      - 0
    .max_flat_workgroup_size: 256
    .name:           _ZN7rocprim17ROCPRIM_400000_NS6detail17trampoline_kernelINS0_13select_configILj256ELj13ELNS0_17block_load_methodE3ELS4_3ELS4_3ELNS0_20block_scan_algorithmE0ELj4294967295EEENS1_25partition_config_selectorILNS1_17partition_subalgoE3EjNS0_10empty_typeEbEEZZNS1_14partition_implILS8_3ELb0ES6_jNS0_17counting_iteratorIjlEEPS9_SE_NS0_5tupleIJPjSE_EEENSF_IJSE_SE_EEES9_SG_JZNS1_25segmented_radix_sort_implINS0_14default_configELb1EPKaPaPKlPlN2at6native12_GLOBAL__N_18offset_tEEE10hipError_tPvRmT1_PNSt15iterator_traitsISY_E10value_typeET2_T3_PNSZ_IS14_E10value_typeET4_jRbjT5_S1A_jjP12ihipStream_tbEUljE_EEESV_SW_SX_S14_S18_S1A_T6_T7_T9_mT8_S1C_bDpT10_ENKUlT_T0_E_clISt17integral_constantIbLb0EES1O_IbLb1EEEEDaS1K_S1L_EUlS1K_E_NS1_11comp_targetILNS1_3genE9ELNS1_11target_archE1100ELNS1_3gpuE3ELNS1_3repE0EEENS1_30default_config_static_selectorELNS0_4arch9wavefront6targetE0EEEvSY_
    .private_segment_fixed_size: 0
    .sgpr_count:     28
    .sgpr_spill_count: 0
    .symbol:         _ZN7rocprim17ROCPRIM_400000_NS6detail17trampoline_kernelINS0_13select_configILj256ELj13ELNS0_17block_load_methodE3ELS4_3ELS4_3ELNS0_20block_scan_algorithmE0ELj4294967295EEENS1_25partition_config_selectorILNS1_17partition_subalgoE3EjNS0_10empty_typeEbEEZZNS1_14partition_implILS8_3ELb0ES6_jNS0_17counting_iteratorIjlEEPS9_SE_NS0_5tupleIJPjSE_EEENSF_IJSE_SE_EEES9_SG_JZNS1_25segmented_radix_sort_implINS0_14default_configELb1EPKaPaPKlPlN2at6native12_GLOBAL__N_18offset_tEEE10hipError_tPvRmT1_PNSt15iterator_traitsISY_E10value_typeET2_T3_PNSZ_IS14_E10value_typeET4_jRbjT5_S1A_jjP12ihipStream_tbEUljE_EEESV_SW_SX_S14_S18_S1A_T6_T7_T9_mT8_S1C_bDpT10_ENKUlT_T0_E_clISt17integral_constantIbLb0EES1O_IbLb1EEEEDaS1K_S1L_EUlS1K_E_NS1_11comp_targetILNS1_3genE9ELNS1_11target_archE1100ELNS1_3gpuE3ELNS1_3repE0EEENS1_30default_config_static_selectorELNS0_4arch9wavefront6targetE0EEEvSY_.kd
    .uniform_work_group_size: 1
    .uses_dynamic_stack: false
    .vgpr_count:     60
    .vgpr_spill_count: 0
    .wavefront_size: 32
    .workgroup_processor_mode: 1
  - .args:
      - .offset:         0
        .size:           152
        .value_kind:     by_value
    .group_segment_fixed_size: 0
    .kernarg_segment_align: 8
    .kernarg_segment_size: 152
    .language:       OpenCL C
    .language_version:
      - 2
      - 0
    .max_flat_workgroup_size: 256
    .name:           _ZN7rocprim17ROCPRIM_400000_NS6detail17trampoline_kernelINS0_13select_configILj256ELj13ELNS0_17block_load_methodE3ELS4_3ELS4_3ELNS0_20block_scan_algorithmE0ELj4294967295EEENS1_25partition_config_selectorILNS1_17partition_subalgoE3EjNS0_10empty_typeEbEEZZNS1_14partition_implILS8_3ELb0ES6_jNS0_17counting_iteratorIjlEEPS9_SE_NS0_5tupleIJPjSE_EEENSF_IJSE_SE_EEES9_SG_JZNS1_25segmented_radix_sort_implINS0_14default_configELb1EPKaPaPKlPlN2at6native12_GLOBAL__N_18offset_tEEE10hipError_tPvRmT1_PNSt15iterator_traitsISY_E10value_typeET2_T3_PNSZ_IS14_E10value_typeET4_jRbjT5_S1A_jjP12ihipStream_tbEUljE_EEESV_SW_SX_S14_S18_S1A_T6_T7_T9_mT8_S1C_bDpT10_ENKUlT_T0_E_clISt17integral_constantIbLb0EES1O_IbLb1EEEEDaS1K_S1L_EUlS1K_E_NS1_11comp_targetILNS1_3genE8ELNS1_11target_archE1030ELNS1_3gpuE2ELNS1_3repE0EEENS1_30default_config_static_selectorELNS0_4arch9wavefront6targetE0EEEvSY_
    .private_segment_fixed_size: 0
    .sgpr_count:     0
    .sgpr_spill_count: 0
    .symbol:         _ZN7rocprim17ROCPRIM_400000_NS6detail17trampoline_kernelINS0_13select_configILj256ELj13ELNS0_17block_load_methodE3ELS4_3ELS4_3ELNS0_20block_scan_algorithmE0ELj4294967295EEENS1_25partition_config_selectorILNS1_17partition_subalgoE3EjNS0_10empty_typeEbEEZZNS1_14partition_implILS8_3ELb0ES6_jNS0_17counting_iteratorIjlEEPS9_SE_NS0_5tupleIJPjSE_EEENSF_IJSE_SE_EEES9_SG_JZNS1_25segmented_radix_sort_implINS0_14default_configELb1EPKaPaPKlPlN2at6native12_GLOBAL__N_18offset_tEEE10hipError_tPvRmT1_PNSt15iterator_traitsISY_E10value_typeET2_T3_PNSZ_IS14_E10value_typeET4_jRbjT5_S1A_jjP12ihipStream_tbEUljE_EEESV_SW_SX_S14_S18_S1A_T6_T7_T9_mT8_S1C_bDpT10_ENKUlT_T0_E_clISt17integral_constantIbLb0EES1O_IbLb1EEEEDaS1K_S1L_EUlS1K_E_NS1_11comp_targetILNS1_3genE8ELNS1_11target_archE1030ELNS1_3gpuE2ELNS1_3repE0EEENS1_30default_config_static_selectorELNS0_4arch9wavefront6targetE0EEEvSY_.kd
    .uniform_work_group_size: 1
    .uses_dynamic_stack: false
    .vgpr_count:     0
    .vgpr_spill_count: 0
    .wavefront_size: 32
    .workgroup_processor_mode: 1
  - .args:
      - .offset:         0
        .size:           96
        .value_kind:     by_value
    .group_segment_fixed_size: 0
    .kernarg_segment_align: 8
    .kernarg_segment_size: 96
    .language:       OpenCL C
    .language_version:
      - 2
      - 0
    .max_flat_workgroup_size: 256
    .name:           _ZN7rocprim17ROCPRIM_400000_NS6detail17trampoline_kernelINS0_14default_configENS1_36segmented_radix_sort_config_selectorIalEEZNS1_25segmented_radix_sort_implIS3_Lb1EPKaPaPKlPlN2at6native12_GLOBAL__N_18offset_tEEE10hipError_tPvRmT1_PNSt15iterator_traitsISK_E10value_typeET2_T3_PNSL_ISQ_E10value_typeET4_jRbjT5_SW_jjP12ihipStream_tbEUlT_E_NS1_11comp_targetILNS1_3genE0ELNS1_11target_archE4294967295ELNS1_3gpuE0ELNS1_3repE0EEENS1_30default_config_static_selectorELNS0_4arch9wavefront6targetE0EEEvSK_
    .private_segment_fixed_size: 0
    .sgpr_count:     0
    .sgpr_spill_count: 0
    .symbol:         _ZN7rocprim17ROCPRIM_400000_NS6detail17trampoline_kernelINS0_14default_configENS1_36segmented_radix_sort_config_selectorIalEEZNS1_25segmented_radix_sort_implIS3_Lb1EPKaPaPKlPlN2at6native12_GLOBAL__N_18offset_tEEE10hipError_tPvRmT1_PNSt15iterator_traitsISK_E10value_typeET2_T3_PNSL_ISQ_E10value_typeET4_jRbjT5_SW_jjP12ihipStream_tbEUlT_E_NS1_11comp_targetILNS1_3genE0ELNS1_11target_archE4294967295ELNS1_3gpuE0ELNS1_3repE0EEENS1_30default_config_static_selectorELNS0_4arch9wavefront6targetE0EEEvSK_.kd
    .uniform_work_group_size: 1
    .uses_dynamic_stack: false
    .vgpr_count:     0
    .vgpr_spill_count: 0
    .wavefront_size: 32
    .workgroup_processor_mode: 1
  - .args:
      - .offset:         0
        .size:           96
        .value_kind:     by_value
    .group_segment_fixed_size: 0
    .kernarg_segment_align: 8
    .kernarg_segment_size: 96
    .language:       OpenCL C
    .language_version:
      - 2
      - 0
    .max_flat_workgroup_size: 256
    .name:           _ZN7rocprim17ROCPRIM_400000_NS6detail17trampoline_kernelINS0_14default_configENS1_36segmented_radix_sort_config_selectorIalEEZNS1_25segmented_radix_sort_implIS3_Lb1EPKaPaPKlPlN2at6native12_GLOBAL__N_18offset_tEEE10hipError_tPvRmT1_PNSt15iterator_traitsISK_E10value_typeET2_T3_PNSL_ISQ_E10value_typeET4_jRbjT5_SW_jjP12ihipStream_tbEUlT_E_NS1_11comp_targetILNS1_3genE5ELNS1_11target_archE942ELNS1_3gpuE9ELNS1_3repE0EEENS1_30default_config_static_selectorELNS0_4arch9wavefront6targetE0EEEvSK_
    .private_segment_fixed_size: 0
    .sgpr_count:     0
    .sgpr_spill_count: 0
    .symbol:         _ZN7rocprim17ROCPRIM_400000_NS6detail17trampoline_kernelINS0_14default_configENS1_36segmented_radix_sort_config_selectorIalEEZNS1_25segmented_radix_sort_implIS3_Lb1EPKaPaPKlPlN2at6native12_GLOBAL__N_18offset_tEEE10hipError_tPvRmT1_PNSt15iterator_traitsISK_E10value_typeET2_T3_PNSL_ISQ_E10value_typeET4_jRbjT5_SW_jjP12ihipStream_tbEUlT_E_NS1_11comp_targetILNS1_3genE5ELNS1_11target_archE942ELNS1_3gpuE9ELNS1_3repE0EEENS1_30default_config_static_selectorELNS0_4arch9wavefront6targetE0EEEvSK_.kd
    .uniform_work_group_size: 1
    .uses_dynamic_stack: false
    .vgpr_count:     0
    .vgpr_spill_count: 0
    .wavefront_size: 32
    .workgroup_processor_mode: 1
  - .args:
      - .offset:         0
        .size:           96
        .value_kind:     by_value
    .group_segment_fixed_size: 0
    .kernarg_segment_align: 8
    .kernarg_segment_size: 96
    .language:       OpenCL C
    .language_version:
      - 2
      - 0
    .max_flat_workgroup_size: 256
    .name:           _ZN7rocprim17ROCPRIM_400000_NS6detail17trampoline_kernelINS0_14default_configENS1_36segmented_radix_sort_config_selectorIalEEZNS1_25segmented_radix_sort_implIS3_Lb1EPKaPaPKlPlN2at6native12_GLOBAL__N_18offset_tEEE10hipError_tPvRmT1_PNSt15iterator_traitsISK_E10value_typeET2_T3_PNSL_ISQ_E10value_typeET4_jRbjT5_SW_jjP12ihipStream_tbEUlT_E_NS1_11comp_targetILNS1_3genE4ELNS1_11target_archE910ELNS1_3gpuE8ELNS1_3repE0EEENS1_30default_config_static_selectorELNS0_4arch9wavefront6targetE0EEEvSK_
    .private_segment_fixed_size: 0
    .sgpr_count:     0
    .sgpr_spill_count: 0
    .symbol:         _ZN7rocprim17ROCPRIM_400000_NS6detail17trampoline_kernelINS0_14default_configENS1_36segmented_radix_sort_config_selectorIalEEZNS1_25segmented_radix_sort_implIS3_Lb1EPKaPaPKlPlN2at6native12_GLOBAL__N_18offset_tEEE10hipError_tPvRmT1_PNSt15iterator_traitsISK_E10value_typeET2_T3_PNSL_ISQ_E10value_typeET4_jRbjT5_SW_jjP12ihipStream_tbEUlT_E_NS1_11comp_targetILNS1_3genE4ELNS1_11target_archE910ELNS1_3gpuE8ELNS1_3repE0EEENS1_30default_config_static_selectorELNS0_4arch9wavefront6targetE0EEEvSK_.kd
    .uniform_work_group_size: 1
    .uses_dynamic_stack: false
    .vgpr_count:     0
    .vgpr_spill_count: 0
    .wavefront_size: 32
    .workgroup_processor_mode: 1
  - .args:
      - .offset:         0
        .size:           96
        .value_kind:     by_value
    .group_segment_fixed_size: 0
    .kernarg_segment_align: 8
    .kernarg_segment_size: 96
    .language:       OpenCL C
    .language_version:
      - 2
      - 0
    .max_flat_workgroup_size: 256
    .name:           _ZN7rocprim17ROCPRIM_400000_NS6detail17trampoline_kernelINS0_14default_configENS1_36segmented_radix_sort_config_selectorIalEEZNS1_25segmented_radix_sort_implIS3_Lb1EPKaPaPKlPlN2at6native12_GLOBAL__N_18offset_tEEE10hipError_tPvRmT1_PNSt15iterator_traitsISK_E10value_typeET2_T3_PNSL_ISQ_E10value_typeET4_jRbjT5_SW_jjP12ihipStream_tbEUlT_E_NS1_11comp_targetILNS1_3genE3ELNS1_11target_archE908ELNS1_3gpuE7ELNS1_3repE0EEENS1_30default_config_static_selectorELNS0_4arch9wavefront6targetE0EEEvSK_
    .private_segment_fixed_size: 0
    .sgpr_count:     0
    .sgpr_spill_count: 0
    .symbol:         _ZN7rocprim17ROCPRIM_400000_NS6detail17trampoline_kernelINS0_14default_configENS1_36segmented_radix_sort_config_selectorIalEEZNS1_25segmented_radix_sort_implIS3_Lb1EPKaPaPKlPlN2at6native12_GLOBAL__N_18offset_tEEE10hipError_tPvRmT1_PNSt15iterator_traitsISK_E10value_typeET2_T3_PNSL_ISQ_E10value_typeET4_jRbjT5_SW_jjP12ihipStream_tbEUlT_E_NS1_11comp_targetILNS1_3genE3ELNS1_11target_archE908ELNS1_3gpuE7ELNS1_3repE0EEENS1_30default_config_static_selectorELNS0_4arch9wavefront6targetE0EEEvSK_.kd
    .uniform_work_group_size: 1
    .uses_dynamic_stack: false
    .vgpr_count:     0
    .vgpr_spill_count: 0
    .wavefront_size: 32
    .workgroup_processor_mode: 1
  - .args:
      - .offset:         0
        .size:           96
        .value_kind:     by_value
    .group_segment_fixed_size: 0
    .kernarg_segment_align: 8
    .kernarg_segment_size: 96
    .language:       OpenCL C
    .language_version:
      - 2
      - 0
    .max_flat_workgroup_size: 256
    .name:           _ZN7rocprim17ROCPRIM_400000_NS6detail17trampoline_kernelINS0_14default_configENS1_36segmented_radix_sort_config_selectorIalEEZNS1_25segmented_radix_sort_implIS3_Lb1EPKaPaPKlPlN2at6native12_GLOBAL__N_18offset_tEEE10hipError_tPvRmT1_PNSt15iterator_traitsISK_E10value_typeET2_T3_PNSL_ISQ_E10value_typeET4_jRbjT5_SW_jjP12ihipStream_tbEUlT_E_NS1_11comp_targetILNS1_3genE2ELNS1_11target_archE906ELNS1_3gpuE6ELNS1_3repE0EEENS1_30default_config_static_selectorELNS0_4arch9wavefront6targetE0EEEvSK_
    .private_segment_fixed_size: 0
    .sgpr_count:     0
    .sgpr_spill_count: 0
    .symbol:         _ZN7rocprim17ROCPRIM_400000_NS6detail17trampoline_kernelINS0_14default_configENS1_36segmented_radix_sort_config_selectorIalEEZNS1_25segmented_radix_sort_implIS3_Lb1EPKaPaPKlPlN2at6native12_GLOBAL__N_18offset_tEEE10hipError_tPvRmT1_PNSt15iterator_traitsISK_E10value_typeET2_T3_PNSL_ISQ_E10value_typeET4_jRbjT5_SW_jjP12ihipStream_tbEUlT_E_NS1_11comp_targetILNS1_3genE2ELNS1_11target_archE906ELNS1_3gpuE6ELNS1_3repE0EEENS1_30default_config_static_selectorELNS0_4arch9wavefront6targetE0EEEvSK_.kd
    .uniform_work_group_size: 1
    .uses_dynamic_stack: false
    .vgpr_count:     0
    .vgpr_spill_count: 0
    .wavefront_size: 32
    .workgroup_processor_mode: 1
  - .args:
      - .offset:         0
        .size:           96
        .value_kind:     by_value
    .group_segment_fixed_size: 0
    .kernarg_segment_align: 8
    .kernarg_segment_size: 96
    .language:       OpenCL C
    .language_version:
      - 2
      - 0
    .max_flat_workgroup_size: 256
    .name:           _ZN7rocprim17ROCPRIM_400000_NS6detail17trampoline_kernelINS0_14default_configENS1_36segmented_radix_sort_config_selectorIalEEZNS1_25segmented_radix_sort_implIS3_Lb1EPKaPaPKlPlN2at6native12_GLOBAL__N_18offset_tEEE10hipError_tPvRmT1_PNSt15iterator_traitsISK_E10value_typeET2_T3_PNSL_ISQ_E10value_typeET4_jRbjT5_SW_jjP12ihipStream_tbEUlT_E_NS1_11comp_targetILNS1_3genE10ELNS1_11target_archE1201ELNS1_3gpuE5ELNS1_3repE0EEENS1_30default_config_static_selectorELNS0_4arch9wavefront6targetE0EEEvSK_
    .private_segment_fixed_size: 0
    .sgpr_count:     0
    .sgpr_spill_count: 0
    .symbol:         _ZN7rocprim17ROCPRIM_400000_NS6detail17trampoline_kernelINS0_14default_configENS1_36segmented_radix_sort_config_selectorIalEEZNS1_25segmented_radix_sort_implIS3_Lb1EPKaPaPKlPlN2at6native12_GLOBAL__N_18offset_tEEE10hipError_tPvRmT1_PNSt15iterator_traitsISK_E10value_typeET2_T3_PNSL_ISQ_E10value_typeET4_jRbjT5_SW_jjP12ihipStream_tbEUlT_E_NS1_11comp_targetILNS1_3genE10ELNS1_11target_archE1201ELNS1_3gpuE5ELNS1_3repE0EEENS1_30default_config_static_selectorELNS0_4arch9wavefront6targetE0EEEvSK_.kd
    .uniform_work_group_size: 1
    .uses_dynamic_stack: false
    .vgpr_count:     0
    .vgpr_spill_count: 0
    .wavefront_size: 32
    .workgroup_processor_mode: 1
  - .args:
      - .offset:         0
        .size:           96
        .value_kind:     by_value
    .group_segment_fixed_size: 0
    .kernarg_segment_align: 8
    .kernarg_segment_size: 96
    .language:       OpenCL C
    .language_version:
      - 2
      - 0
    .max_flat_workgroup_size: 128
    .name:           _ZN7rocprim17ROCPRIM_400000_NS6detail17trampoline_kernelINS0_14default_configENS1_36segmented_radix_sort_config_selectorIalEEZNS1_25segmented_radix_sort_implIS3_Lb1EPKaPaPKlPlN2at6native12_GLOBAL__N_18offset_tEEE10hipError_tPvRmT1_PNSt15iterator_traitsISK_E10value_typeET2_T3_PNSL_ISQ_E10value_typeET4_jRbjT5_SW_jjP12ihipStream_tbEUlT_E_NS1_11comp_targetILNS1_3genE10ELNS1_11target_archE1200ELNS1_3gpuE4ELNS1_3repE0EEENS1_30default_config_static_selectorELNS0_4arch9wavefront6targetE0EEEvSK_
    .private_segment_fixed_size: 0
    .sgpr_count:     0
    .sgpr_spill_count: 0
    .symbol:         _ZN7rocprim17ROCPRIM_400000_NS6detail17trampoline_kernelINS0_14default_configENS1_36segmented_radix_sort_config_selectorIalEEZNS1_25segmented_radix_sort_implIS3_Lb1EPKaPaPKlPlN2at6native12_GLOBAL__N_18offset_tEEE10hipError_tPvRmT1_PNSt15iterator_traitsISK_E10value_typeET2_T3_PNSL_ISQ_E10value_typeET4_jRbjT5_SW_jjP12ihipStream_tbEUlT_E_NS1_11comp_targetILNS1_3genE10ELNS1_11target_archE1200ELNS1_3gpuE4ELNS1_3repE0EEENS1_30default_config_static_selectorELNS0_4arch9wavefront6targetE0EEEvSK_.kd
    .uniform_work_group_size: 1
    .uses_dynamic_stack: false
    .vgpr_count:     0
    .vgpr_spill_count: 0
    .wavefront_size: 32
    .workgroup_processor_mode: 1
  - .args:
      - .offset:         0
        .size:           96
        .value_kind:     by_value
      - .offset:         96
        .size:           4
        .value_kind:     hidden_block_count_x
      - .offset:         100
        .size:           4
        .value_kind:     hidden_block_count_y
      - .offset:         104
        .size:           4
        .value_kind:     hidden_block_count_z
      - .offset:         108
        .size:           2
        .value_kind:     hidden_group_size_x
      - .offset:         110
        .size:           2
        .value_kind:     hidden_group_size_y
      - .offset:         112
        .size:           2
        .value_kind:     hidden_group_size_z
      - .offset:         114
        .size:           2
        .value_kind:     hidden_remainder_x
      - .offset:         116
        .size:           2
        .value_kind:     hidden_remainder_y
      - .offset:         118
        .size:           2
        .value_kind:     hidden_remainder_z
      - .offset:         136
        .size:           8
        .value_kind:     hidden_global_offset_x
      - .offset:         144
        .size:           8
        .value_kind:     hidden_global_offset_y
      - .offset:         152
        .size:           8
        .value_kind:     hidden_global_offset_z
      - .offset:         160
        .size:           2
        .value_kind:     hidden_grid_dims
    .group_segment_fixed_size: 17440
    .kernarg_segment_align: 8
    .kernarg_segment_size: 352
    .language:       OpenCL C
    .language_version:
      - 2
      - 0
    .max_flat_workgroup_size: 256
    .name:           _ZN7rocprim17ROCPRIM_400000_NS6detail17trampoline_kernelINS0_14default_configENS1_36segmented_radix_sort_config_selectorIalEEZNS1_25segmented_radix_sort_implIS3_Lb1EPKaPaPKlPlN2at6native12_GLOBAL__N_18offset_tEEE10hipError_tPvRmT1_PNSt15iterator_traitsISK_E10value_typeET2_T3_PNSL_ISQ_E10value_typeET4_jRbjT5_SW_jjP12ihipStream_tbEUlT_E_NS1_11comp_targetILNS1_3genE9ELNS1_11target_archE1100ELNS1_3gpuE3ELNS1_3repE0EEENS1_30default_config_static_selectorELNS0_4arch9wavefront6targetE0EEEvSK_
    .private_segment_fixed_size: 0
    .sgpr_count:     56
    .sgpr_spill_count: 0
    .symbol:         _ZN7rocprim17ROCPRIM_400000_NS6detail17trampoline_kernelINS0_14default_configENS1_36segmented_radix_sort_config_selectorIalEEZNS1_25segmented_radix_sort_implIS3_Lb1EPKaPaPKlPlN2at6native12_GLOBAL__N_18offset_tEEE10hipError_tPvRmT1_PNSt15iterator_traitsISK_E10value_typeET2_T3_PNSL_ISQ_E10value_typeET4_jRbjT5_SW_jjP12ihipStream_tbEUlT_E_NS1_11comp_targetILNS1_3genE9ELNS1_11target_archE1100ELNS1_3gpuE3ELNS1_3repE0EEENS1_30default_config_static_selectorELNS0_4arch9wavefront6targetE0EEEvSK_.kd
    .uniform_work_group_size: 1
    .uses_dynamic_stack: false
    .vgpr_count:     183
    .vgpr_spill_count: 0
    .wavefront_size: 32
    .workgroup_processor_mode: 1
  - .args:
      - .offset:         0
        .size:           96
        .value_kind:     by_value
    .group_segment_fixed_size: 0
    .kernarg_segment_align: 8
    .kernarg_segment_size: 96
    .language:       OpenCL C
    .language_version:
      - 2
      - 0
    .max_flat_workgroup_size: 256
    .name:           _ZN7rocprim17ROCPRIM_400000_NS6detail17trampoline_kernelINS0_14default_configENS1_36segmented_radix_sort_config_selectorIalEEZNS1_25segmented_radix_sort_implIS3_Lb1EPKaPaPKlPlN2at6native12_GLOBAL__N_18offset_tEEE10hipError_tPvRmT1_PNSt15iterator_traitsISK_E10value_typeET2_T3_PNSL_ISQ_E10value_typeET4_jRbjT5_SW_jjP12ihipStream_tbEUlT_E_NS1_11comp_targetILNS1_3genE8ELNS1_11target_archE1030ELNS1_3gpuE2ELNS1_3repE0EEENS1_30default_config_static_selectorELNS0_4arch9wavefront6targetE0EEEvSK_
    .private_segment_fixed_size: 0
    .sgpr_count:     0
    .sgpr_spill_count: 0
    .symbol:         _ZN7rocprim17ROCPRIM_400000_NS6detail17trampoline_kernelINS0_14default_configENS1_36segmented_radix_sort_config_selectorIalEEZNS1_25segmented_radix_sort_implIS3_Lb1EPKaPaPKlPlN2at6native12_GLOBAL__N_18offset_tEEE10hipError_tPvRmT1_PNSt15iterator_traitsISK_E10value_typeET2_T3_PNSL_ISQ_E10value_typeET4_jRbjT5_SW_jjP12ihipStream_tbEUlT_E_NS1_11comp_targetILNS1_3genE8ELNS1_11target_archE1030ELNS1_3gpuE2ELNS1_3repE0EEENS1_30default_config_static_selectorELNS0_4arch9wavefront6targetE0EEEvSK_.kd
    .uniform_work_group_size: 1
    .uses_dynamic_stack: false
    .vgpr_count:     0
    .vgpr_spill_count: 0
    .wavefront_size: 32
    .workgroup_processor_mode: 1
  - .args:
      - .offset:         0
        .size:           88
        .value_kind:     by_value
    .group_segment_fixed_size: 0
    .kernarg_segment_align: 8
    .kernarg_segment_size: 88
    .language:       OpenCL C
    .language_version:
      - 2
      - 0
    .max_flat_workgroup_size: 256
    .name:           _ZN7rocprim17ROCPRIM_400000_NS6detail17trampoline_kernelINS0_14default_configENS1_36segmented_radix_sort_config_selectorIalEEZNS1_25segmented_radix_sort_implIS3_Lb1EPKaPaPKlPlN2at6native12_GLOBAL__N_18offset_tEEE10hipError_tPvRmT1_PNSt15iterator_traitsISK_E10value_typeET2_T3_PNSL_ISQ_E10value_typeET4_jRbjT5_SW_jjP12ihipStream_tbEUlT_E0_NS1_11comp_targetILNS1_3genE0ELNS1_11target_archE4294967295ELNS1_3gpuE0ELNS1_3repE0EEENS1_60segmented_radix_sort_warp_sort_medium_config_static_selectorELNS0_4arch9wavefront6targetE0EEEvSK_
    .private_segment_fixed_size: 0
    .sgpr_count:     0
    .sgpr_spill_count: 0
    .symbol:         _ZN7rocprim17ROCPRIM_400000_NS6detail17trampoline_kernelINS0_14default_configENS1_36segmented_radix_sort_config_selectorIalEEZNS1_25segmented_radix_sort_implIS3_Lb1EPKaPaPKlPlN2at6native12_GLOBAL__N_18offset_tEEE10hipError_tPvRmT1_PNSt15iterator_traitsISK_E10value_typeET2_T3_PNSL_ISQ_E10value_typeET4_jRbjT5_SW_jjP12ihipStream_tbEUlT_E0_NS1_11comp_targetILNS1_3genE0ELNS1_11target_archE4294967295ELNS1_3gpuE0ELNS1_3repE0EEENS1_60segmented_radix_sort_warp_sort_medium_config_static_selectorELNS0_4arch9wavefront6targetE0EEEvSK_.kd
    .uniform_work_group_size: 1
    .uses_dynamic_stack: false
    .vgpr_count:     0
    .vgpr_spill_count: 0
    .wavefront_size: 32
    .workgroup_processor_mode: 1
  - .args:
      - .offset:         0
        .size:           88
        .value_kind:     by_value
    .group_segment_fixed_size: 0
    .kernarg_segment_align: 8
    .kernarg_segment_size: 88
    .language:       OpenCL C
    .language_version:
      - 2
      - 0
    .max_flat_workgroup_size: 256
    .name:           _ZN7rocprim17ROCPRIM_400000_NS6detail17trampoline_kernelINS0_14default_configENS1_36segmented_radix_sort_config_selectorIalEEZNS1_25segmented_radix_sort_implIS3_Lb1EPKaPaPKlPlN2at6native12_GLOBAL__N_18offset_tEEE10hipError_tPvRmT1_PNSt15iterator_traitsISK_E10value_typeET2_T3_PNSL_ISQ_E10value_typeET4_jRbjT5_SW_jjP12ihipStream_tbEUlT_E0_NS1_11comp_targetILNS1_3genE5ELNS1_11target_archE942ELNS1_3gpuE9ELNS1_3repE0EEENS1_60segmented_radix_sort_warp_sort_medium_config_static_selectorELNS0_4arch9wavefront6targetE0EEEvSK_
    .private_segment_fixed_size: 0
    .sgpr_count:     0
    .sgpr_spill_count: 0
    .symbol:         _ZN7rocprim17ROCPRIM_400000_NS6detail17trampoline_kernelINS0_14default_configENS1_36segmented_radix_sort_config_selectorIalEEZNS1_25segmented_radix_sort_implIS3_Lb1EPKaPaPKlPlN2at6native12_GLOBAL__N_18offset_tEEE10hipError_tPvRmT1_PNSt15iterator_traitsISK_E10value_typeET2_T3_PNSL_ISQ_E10value_typeET4_jRbjT5_SW_jjP12ihipStream_tbEUlT_E0_NS1_11comp_targetILNS1_3genE5ELNS1_11target_archE942ELNS1_3gpuE9ELNS1_3repE0EEENS1_60segmented_radix_sort_warp_sort_medium_config_static_selectorELNS0_4arch9wavefront6targetE0EEEvSK_.kd
    .uniform_work_group_size: 1
    .uses_dynamic_stack: false
    .vgpr_count:     0
    .vgpr_spill_count: 0
    .wavefront_size: 32
    .workgroup_processor_mode: 1
  - .args:
      - .offset:         0
        .size:           88
        .value_kind:     by_value
    .group_segment_fixed_size: 0
    .kernarg_segment_align: 8
    .kernarg_segment_size: 88
    .language:       OpenCL C
    .language_version:
      - 2
      - 0
    .max_flat_workgroup_size: 256
    .name:           _ZN7rocprim17ROCPRIM_400000_NS6detail17trampoline_kernelINS0_14default_configENS1_36segmented_radix_sort_config_selectorIalEEZNS1_25segmented_radix_sort_implIS3_Lb1EPKaPaPKlPlN2at6native12_GLOBAL__N_18offset_tEEE10hipError_tPvRmT1_PNSt15iterator_traitsISK_E10value_typeET2_T3_PNSL_ISQ_E10value_typeET4_jRbjT5_SW_jjP12ihipStream_tbEUlT_E0_NS1_11comp_targetILNS1_3genE4ELNS1_11target_archE910ELNS1_3gpuE8ELNS1_3repE0EEENS1_60segmented_radix_sort_warp_sort_medium_config_static_selectorELNS0_4arch9wavefront6targetE0EEEvSK_
    .private_segment_fixed_size: 0
    .sgpr_count:     0
    .sgpr_spill_count: 0
    .symbol:         _ZN7rocprim17ROCPRIM_400000_NS6detail17trampoline_kernelINS0_14default_configENS1_36segmented_radix_sort_config_selectorIalEEZNS1_25segmented_radix_sort_implIS3_Lb1EPKaPaPKlPlN2at6native12_GLOBAL__N_18offset_tEEE10hipError_tPvRmT1_PNSt15iterator_traitsISK_E10value_typeET2_T3_PNSL_ISQ_E10value_typeET4_jRbjT5_SW_jjP12ihipStream_tbEUlT_E0_NS1_11comp_targetILNS1_3genE4ELNS1_11target_archE910ELNS1_3gpuE8ELNS1_3repE0EEENS1_60segmented_radix_sort_warp_sort_medium_config_static_selectorELNS0_4arch9wavefront6targetE0EEEvSK_.kd
    .uniform_work_group_size: 1
    .uses_dynamic_stack: false
    .vgpr_count:     0
    .vgpr_spill_count: 0
    .wavefront_size: 32
    .workgroup_processor_mode: 1
  - .args:
      - .offset:         0
        .size:           88
        .value_kind:     by_value
    .group_segment_fixed_size: 0
    .kernarg_segment_align: 8
    .kernarg_segment_size: 88
    .language:       OpenCL C
    .language_version:
      - 2
      - 0
    .max_flat_workgroup_size: 256
    .name:           _ZN7rocprim17ROCPRIM_400000_NS6detail17trampoline_kernelINS0_14default_configENS1_36segmented_radix_sort_config_selectorIalEEZNS1_25segmented_radix_sort_implIS3_Lb1EPKaPaPKlPlN2at6native12_GLOBAL__N_18offset_tEEE10hipError_tPvRmT1_PNSt15iterator_traitsISK_E10value_typeET2_T3_PNSL_ISQ_E10value_typeET4_jRbjT5_SW_jjP12ihipStream_tbEUlT_E0_NS1_11comp_targetILNS1_3genE3ELNS1_11target_archE908ELNS1_3gpuE7ELNS1_3repE0EEENS1_60segmented_radix_sort_warp_sort_medium_config_static_selectorELNS0_4arch9wavefront6targetE0EEEvSK_
    .private_segment_fixed_size: 0
    .sgpr_count:     0
    .sgpr_spill_count: 0
    .symbol:         _ZN7rocprim17ROCPRIM_400000_NS6detail17trampoline_kernelINS0_14default_configENS1_36segmented_radix_sort_config_selectorIalEEZNS1_25segmented_radix_sort_implIS3_Lb1EPKaPaPKlPlN2at6native12_GLOBAL__N_18offset_tEEE10hipError_tPvRmT1_PNSt15iterator_traitsISK_E10value_typeET2_T3_PNSL_ISQ_E10value_typeET4_jRbjT5_SW_jjP12ihipStream_tbEUlT_E0_NS1_11comp_targetILNS1_3genE3ELNS1_11target_archE908ELNS1_3gpuE7ELNS1_3repE0EEENS1_60segmented_radix_sort_warp_sort_medium_config_static_selectorELNS0_4arch9wavefront6targetE0EEEvSK_.kd
    .uniform_work_group_size: 1
    .uses_dynamic_stack: false
    .vgpr_count:     0
    .vgpr_spill_count: 0
    .wavefront_size: 32
    .workgroup_processor_mode: 1
  - .args:
      - .offset:         0
        .size:           88
        .value_kind:     by_value
    .group_segment_fixed_size: 0
    .kernarg_segment_align: 8
    .kernarg_segment_size: 88
    .language:       OpenCL C
    .language_version:
      - 2
      - 0
    .max_flat_workgroup_size: 256
    .name:           _ZN7rocprim17ROCPRIM_400000_NS6detail17trampoline_kernelINS0_14default_configENS1_36segmented_radix_sort_config_selectorIalEEZNS1_25segmented_radix_sort_implIS3_Lb1EPKaPaPKlPlN2at6native12_GLOBAL__N_18offset_tEEE10hipError_tPvRmT1_PNSt15iterator_traitsISK_E10value_typeET2_T3_PNSL_ISQ_E10value_typeET4_jRbjT5_SW_jjP12ihipStream_tbEUlT_E0_NS1_11comp_targetILNS1_3genE2ELNS1_11target_archE906ELNS1_3gpuE6ELNS1_3repE0EEENS1_60segmented_radix_sort_warp_sort_medium_config_static_selectorELNS0_4arch9wavefront6targetE0EEEvSK_
    .private_segment_fixed_size: 0
    .sgpr_count:     0
    .sgpr_spill_count: 0
    .symbol:         _ZN7rocprim17ROCPRIM_400000_NS6detail17trampoline_kernelINS0_14default_configENS1_36segmented_radix_sort_config_selectorIalEEZNS1_25segmented_radix_sort_implIS3_Lb1EPKaPaPKlPlN2at6native12_GLOBAL__N_18offset_tEEE10hipError_tPvRmT1_PNSt15iterator_traitsISK_E10value_typeET2_T3_PNSL_ISQ_E10value_typeET4_jRbjT5_SW_jjP12ihipStream_tbEUlT_E0_NS1_11comp_targetILNS1_3genE2ELNS1_11target_archE906ELNS1_3gpuE6ELNS1_3repE0EEENS1_60segmented_radix_sort_warp_sort_medium_config_static_selectorELNS0_4arch9wavefront6targetE0EEEvSK_.kd
    .uniform_work_group_size: 1
    .uses_dynamic_stack: false
    .vgpr_count:     0
    .vgpr_spill_count: 0
    .wavefront_size: 32
    .workgroup_processor_mode: 1
  - .args:
      - .offset:         0
        .size:           88
        .value_kind:     by_value
    .group_segment_fixed_size: 0
    .kernarg_segment_align: 8
    .kernarg_segment_size: 88
    .language:       OpenCL C
    .language_version:
      - 2
      - 0
    .max_flat_workgroup_size: 256
    .name:           _ZN7rocprim17ROCPRIM_400000_NS6detail17trampoline_kernelINS0_14default_configENS1_36segmented_radix_sort_config_selectorIalEEZNS1_25segmented_radix_sort_implIS3_Lb1EPKaPaPKlPlN2at6native12_GLOBAL__N_18offset_tEEE10hipError_tPvRmT1_PNSt15iterator_traitsISK_E10value_typeET2_T3_PNSL_ISQ_E10value_typeET4_jRbjT5_SW_jjP12ihipStream_tbEUlT_E0_NS1_11comp_targetILNS1_3genE10ELNS1_11target_archE1201ELNS1_3gpuE5ELNS1_3repE0EEENS1_60segmented_radix_sort_warp_sort_medium_config_static_selectorELNS0_4arch9wavefront6targetE0EEEvSK_
    .private_segment_fixed_size: 0
    .sgpr_count:     0
    .sgpr_spill_count: 0
    .symbol:         _ZN7rocprim17ROCPRIM_400000_NS6detail17trampoline_kernelINS0_14default_configENS1_36segmented_radix_sort_config_selectorIalEEZNS1_25segmented_radix_sort_implIS3_Lb1EPKaPaPKlPlN2at6native12_GLOBAL__N_18offset_tEEE10hipError_tPvRmT1_PNSt15iterator_traitsISK_E10value_typeET2_T3_PNSL_ISQ_E10value_typeET4_jRbjT5_SW_jjP12ihipStream_tbEUlT_E0_NS1_11comp_targetILNS1_3genE10ELNS1_11target_archE1201ELNS1_3gpuE5ELNS1_3repE0EEENS1_60segmented_radix_sort_warp_sort_medium_config_static_selectorELNS0_4arch9wavefront6targetE0EEEvSK_.kd
    .uniform_work_group_size: 1
    .uses_dynamic_stack: false
    .vgpr_count:     0
    .vgpr_spill_count: 0
    .wavefront_size: 32
    .workgroup_processor_mode: 1
  - .args:
      - .offset:         0
        .size:           88
        .value_kind:     by_value
    .group_segment_fixed_size: 0
    .kernarg_segment_align: 8
    .kernarg_segment_size: 88
    .language:       OpenCL C
    .language_version:
      - 2
      - 0
    .max_flat_workgroup_size: 256
    .name:           _ZN7rocprim17ROCPRIM_400000_NS6detail17trampoline_kernelINS0_14default_configENS1_36segmented_radix_sort_config_selectorIalEEZNS1_25segmented_radix_sort_implIS3_Lb1EPKaPaPKlPlN2at6native12_GLOBAL__N_18offset_tEEE10hipError_tPvRmT1_PNSt15iterator_traitsISK_E10value_typeET2_T3_PNSL_ISQ_E10value_typeET4_jRbjT5_SW_jjP12ihipStream_tbEUlT_E0_NS1_11comp_targetILNS1_3genE10ELNS1_11target_archE1200ELNS1_3gpuE4ELNS1_3repE0EEENS1_60segmented_radix_sort_warp_sort_medium_config_static_selectorELNS0_4arch9wavefront6targetE0EEEvSK_
    .private_segment_fixed_size: 0
    .sgpr_count:     0
    .sgpr_spill_count: 0
    .symbol:         _ZN7rocprim17ROCPRIM_400000_NS6detail17trampoline_kernelINS0_14default_configENS1_36segmented_radix_sort_config_selectorIalEEZNS1_25segmented_radix_sort_implIS3_Lb1EPKaPaPKlPlN2at6native12_GLOBAL__N_18offset_tEEE10hipError_tPvRmT1_PNSt15iterator_traitsISK_E10value_typeET2_T3_PNSL_ISQ_E10value_typeET4_jRbjT5_SW_jjP12ihipStream_tbEUlT_E0_NS1_11comp_targetILNS1_3genE10ELNS1_11target_archE1200ELNS1_3gpuE4ELNS1_3repE0EEENS1_60segmented_radix_sort_warp_sort_medium_config_static_selectorELNS0_4arch9wavefront6targetE0EEEvSK_.kd
    .uniform_work_group_size: 1
    .uses_dynamic_stack: false
    .vgpr_count:     0
    .vgpr_spill_count: 0
    .wavefront_size: 32
    .workgroup_processor_mode: 1
  - .args:
      - .offset:         0
        .size:           88
        .value_kind:     by_value
      - .offset:         88
        .size:           4
        .value_kind:     hidden_block_count_x
      - .offset:         92
        .size:           4
        .value_kind:     hidden_block_count_y
      - .offset:         96
        .size:           4
        .value_kind:     hidden_block_count_z
      - .offset:         100
        .size:           2
        .value_kind:     hidden_group_size_x
      - .offset:         102
        .size:           2
        .value_kind:     hidden_group_size_y
      - .offset:         104
        .size:           2
        .value_kind:     hidden_group_size_z
      - .offset:         106
        .size:           2
        .value_kind:     hidden_remainder_x
      - .offset:         108
        .size:           2
        .value_kind:     hidden_remainder_y
      - .offset:         110
        .size:           2
        .value_kind:     hidden_remainder_z
      - .offset:         128
        .size:           8
        .value_kind:     hidden_global_offset_x
      - .offset:         136
        .size:           8
        .value_kind:     hidden_global_offset_y
      - .offset:         144
        .size:           8
        .value_kind:     hidden_global_offset_z
      - .offset:         152
        .size:           2
        .value_kind:     hidden_grid_dims
    .group_segment_fixed_size: 18432
    .kernarg_segment_align: 8
    .kernarg_segment_size: 344
    .language:       OpenCL C
    .language_version:
      - 2
      - 0
    .max_flat_workgroup_size: 256
    .name:           _ZN7rocprim17ROCPRIM_400000_NS6detail17trampoline_kernelINS0_14default_configENS1_36segmented_radix_sort_config_selectorIalEEZNS1_25segmented_radix_sort_implIS3_Lb1EPKaPaPKlPlN2at6native12_GLOBAL__N_18offset_tEEE10hipError_tPvRmT1_PNSt15iterator_traitsISK_E10value_typeET2_T3_PNSL_ISQ_E10value_typeET4_jRbjT5_SW_jjP12ihipStream_tbEUlT_E0_NS1_11comp_targetILNS1_3genE9ELNS1_11target_archE1100ELNS1_3gpuE3ELNS1_3repE0EEENS1_60segmented_radix_sort_warp_sort_medium_config_static_selectorELNS0_4arch9wavefront6targetE0EEEvSK_
    .private_segment_fixed_size: 0
    .sgpr_count:     46
    .sgpr_spill_count: 0
    .symbol:         _ZN7rocprim17ROCPRIM_400000_NS6detail17trampoline_kernelINS0_14default_configENS1_36segmented_radix_sort_config_selectorIalEEZNS1_25segmented_radix_sort_implIS3_Lb1EPKaPaPKlPlN2at6native12_GLOBAL__N_18offset_tEEE10hipError_tPvRmT1_PNSt15iterator_traitsISK_E10value_typeET2_T3_PNSL_ISQ_E10value_typeET4_jRbjT5_SW_jjP12ihipStream_tbEUlT_E0_NS1_11comp_targetILNS1_3genE9ELNS1_11target_archE1100ELNS1_3gpuE3ELNS1_3repE0EEENS1_60segmented_radix_sort_warp_sort_medium_config_static_selectorELNS0_4arch9wavefront6targetE0EEEvSK_.kd
    .uniform_work_group_size: 1
    .uses_dynamic_stack: false
    .vgpr_count:     69
    .vgpr_spill_count: 0
    .wavefront_size: 32
    .workgroup_processor_mode: 1
  - .args:
      - .offset:         0
        .size:           88
        .value_kind:     by_value
    .group_segment_fixed_size: 0
    .kernarg_segment_align: 8
    .kernarg_segment_size: 88
    .language:       OpenCL C
    .language_version:
      - 2
      - 0
    .max_flat_workgroup_size: 256
    .name:           _ZN7rocprim17ROCPRIM_400000_NS6detail17trampoline_kernelINS0_14default_configENS1_36segmented_radix_sort_config_selectorIalEEZNS1_25segmented_radix_sort_implIS3_Lb1EPKaPaPKlPlN2at6native12_GLOBAL__N_18offset_tEEE10hipError_tPvRmT1_PNSt15iterator_traitsISK_E10value_typeET2_T3_PNSL_ISQ_E10value_typeET4_jRbjT5_SW_jjP12ihipStream_tbEUlT_E0_NS1_11comp_targetILNS1_3genE8ELNS1_11target_archE1030ELNS1_3gpuE2ELNS1_3repE0EEENS1_60segmented_radix_sort_warp_sort_medium_config_static_selectorELNS0_4arch9wavefront6targetE0EEEvSK_
    .private_segment_fixed_size: 0
    .sgpr_count:     0
    .sgpr_spill_count: 0
    .symbol:         _ZN7rocprim17ROCPRIM_400000_NS6detail17trampoline_kernelINS0_14default_configENS1_36segmented_radix_sort_config_selectorIalEEZNS1_25segmented_radix_sort_implIS3_Lb1EPKaPaPKlPlN2at6native12_GLOBAL__N_18offset_tEEE10hipError_tPvRmT1_PNSt15iterator_traitsISK_E10value_typeET2_T3_PNSL_ISQ_E10value_typeET4_jRbjT5_SW_jjP12ihipStream_tbEUlT_E0_NS1_11comp_targetILNS1_3genE8ELNS1_11target_archE1030ELNS1_3gpuE2ELNS1_3repE0EEENS1_60segmented_radix_sort_warp_sort_medium_config_static_selectorELNS0_4arch9wavefront6targetE0EEEvSK_.kd
    .uniform_work_group_size: 1
    .uses_dynamic_stack: false
    .vgpr_count:     0
    .vgpr_spill_count: 0
    .wavefront_size: 32
    .workgroup_processor_mode: 1
  - .args:
      - .offset:         0
        .size:           88
        .value_kind:     by_value
    .group_segment_fixed_size: 0
    .kernarg_segment_align: 8
    .kernarg_segment_size: 88
    .language:       OpenCL C
    .language_version:
      - 2
      - 0
    .max_flat_workgroup_size: 256
    .name:           _ZN7rocprim17ROCPRIM_400000_NS6detail17trampoline_kernelINS0_14default_configENS1_36segmented_radix_sort_config_selectorIalEEZNS1_25segmented_radix_sort_implIS3_Lb1EPKaPaPKlPlN2at6native12_GLOBAL__N_18offset_tEEE10hipError_tPvRmT1_PNSt15iterator_traitsISK_E10value_typeET2_T3_PNSL_ISQ_E10value_typeET4_jRbjT5_SW_jjP12ihipStream_tbEUlT_E1_NS1_11comp_targetILNS1_3genE0ELNS1_11target_archE4294967295ELNS1_3gpuE0ELNS1_3repE0EEENS1_59segmented_radix_sort_warp_sort_small_config_static_selectorELNS0_4arch9wavefront6targetE0EEEvSK_
    .private_segment_fixed_size: 0
    .sgpr_count:     0
    .sgpr_spill_count: 0
    .symbol:         _ZN7rocprim17ROCPRIM_400000_NS6detail17trampoline_kernelINS0_14default_configENS1_36segmented_radix_sort_config_selectorIalEEZNS1_25segmented_radix_sort_implIS3_Lb1EPKaPaPKlPlN2at6native12_GLOBAL__N_18offset_tEEE10hipError_tPvRmT1_PNSt15iterator_traitsISK_E10value_typeET2_T3_PNSL_ISQ_E10value_typeET4_jRbjT5_SW_jjP12ihipStream_tbEUlT_E1_NS1_11comp_targetILNS1_3genE0ELNS1_11target_archE4294967295ELNS1_3gpuE0ELNS1_3repE0EEENS1_59segmented_radix_sort_warp_sort_small_config_static_selectorELNS0_4arch9wavefront6targetE0EEEvSK_.kd
    .uniform_work_group_size: 1
    .uses_dynamic_stack: false
    .vgpr_count:     0
    .vgpr_spill_count: 0
    .wavefront_size: 32
    .workgroup_processor_mode: 1
  - .args:
      - .offset:         0
        .size:           88
        .value_kind:     by_value
    .group_segment_fixed_size: 0
    .kernarg_segment_align: 8
    .kernarg_segment_size: 88
    .language:       OpenCL C
    .language_version:
      - 2
      - 0
    .max_flat_workgroup_size: 256
    .name:           _ZN7rocprim17ROCPRIM_400000_NS6detail17trampoline_kernelINS0_14default_configENS1_36segmented_radix_sort_config_selectorIalEEZNS1_25segmented_radix_sort_implIS3_Lb1EPKaPaPKlPlN2at6native12_GLOBAL__N_18offset_tEEE10hipError_tPvRmT1_PNSt15iterator_traitsISK_E10value_typeET2_T3_PNSL_ISQ_E10value_typeET4_jRbjT5_SW_jjP12ihipStream_tbEUlT_E1_NS1_11comp_targetILNS1_3genE5ELNS1_11target_archE942ELNS1_3gpuE9ELNS1_3repE0EEENS1_59segmented_radix_sort_warp_sort_small_config_static_selectorELNS0_4arch9wavefront6targetE0EEEvSK_
    .private_segment_fixed_size: 0
    .sgpr_count:     0
    .sgpr_spill_count: 0
    .symbol:         _ZN7rocprim17ROCPRIM_400000_NS6detail17trampoline_kernelINS0_14default_configENS1_36segmented_radix_sort_config_selectorIalEEZNS1_25segmented_radix_sort_implIS3_Lb1EPKaPaPKlPlN2at6native12_GLOBAL__N_18offset_tEEE10hipError_tPvRmT1_PNSt15iterator_traitsISK_E10value_typeET2_T3_PNSL_ISQ_E10value_typeET4_jRbjT5_SW_jjP12ihipStream_tbEUlT_E1_NS1_11comp_targetILNS1_3genE5ELNS1_11target_archE942ELNS1_3gpuE9ELNS1_3repE0EEENS1_59segmented_radix_sort_warp_sort_small_config_static_selectorELNS0_4arch9wavefront6targetE0EEEvSK_.kd
    .uniform_work_group_size: 1
    .uses_dynamic_stack: false
    .vgpr_count:     0
    .vgpr_spill_count: 0
    .wavefront_size: 32
    .workgroup_processor_mode: 1
  - .args:
      - .offset:         0
        .size:           88
        .value_kind:     by_value
    .group_segment_fixed_size: 0
    .kernarg_segment_align: 8
    .kernarg_segment_size: 88
    .language:       OpenCL C
    .language_version:
      - 2
      - 0
    .max_flat_workgroup_size: 256
    .name:           _ZN7rocprim17ROCPRIM_400000_NS6detail17trampoline_kernelINS0_14default_configENS1_36segmented_radix_sort_config_selectorIalEEZNS1_25segmented_radix_sort_implIS3_Lb1EPKaPaPKlPlN2at6native12_GLOBAL__N_18offset_tEEE10hipError_tPvRmT1_PNSt15iterator_traitsISK_E10value_typeET2_T3_PNSL_ISQ_E10value_typeET4_jRbjT5_SW_jjP12ihipStream_tbEUlT_E1_NS1_11comp_targetILNS1_3genE4ELNS1_11target_archE910ELNS1_3gpuE8ELNS1_3repE0EEENS1_59segmented_radix_sort_warp_sort_small_config_static_selectorELNS0_4arch9wavefront6targetE0EEEvSK_
    .private_segment_fixed_size: 0
    .sgpr_count:     0
    .sgpr_spill_count: 0
    .symbol:         _ZN7rocprim17ROCPRIM_400000_NS6detail17trampoline_kernelINS0_14default_configENS1_36segmented_radix_sort_config_selectorIalEEZNS1_25segmented_radix_sort_implIS3_Lb1EPKaPaPKlPlN2at6native12_GLOBAL__N_18offset_tEEE10hipError_tPvRmT1_PNSt15iterator_traitsISK_E10value_typeET2_T3_PNSL_ISQ_E10value_typeET4_jRbjT5_SW_jjP12ihipStream_tbEUlT_E1_NS1_11comp_targetILNS1_3genE4ELNS1_11target_archE910ELNS1_3gpuE8ELNS1_3repE0EEENS1_59segmented_radix_sort_warp_sort_small_config_static_selectorELNS0_4arch9wavefront6targetE0EEEvSK_.kd
    .uniform_work_group_size: 1
    .uses_dynamic_stack: false
    .vgpr_count:     0
    .vgpr_spill_count: 0
    .wavefront_size: 32
    .workgroup_processor_mode: 1
  - .args:
      - .offset:         0
        .size:           88
        .value_kind:     by_value
    .group_segment_fixed_size: 0
    .kernarg_segment_align: 8
    .kernarg_segment_size: 88
    .language:       OpenCL C
    .language_version:
      - 2
      - 0
    .max_flat_workgroup_size: 256
    .name:           _ZN7rocprim17ROCPRIM_400000_NS6detail17trampoline_kernelINS0_14default_configENS1_36segmented_radix_sort_config_selectorIalEEZNS1_25segmented_radix_sort_implIS3_Lb1EPKaPaPKlPlN2at6native12_GLOBAL__N_18offset_tEEE10hipError_tPvRmT1_PNSt15iterator_traitsISK_E10value_typeET2_T3_PNSL_ISQ_E10value_typeET4_jRbjT5_SW_jjP12ihipStream_tbEUlT_E1_NS1_11comp_targetILNS1_3genE3ELNS1_11target_archE908ELNS1_3gpuE7ELNS1_3repE0EEENS1_59segmented_radix_sort_warp_sort_small_config_static_selectorELNS0_4arch9wavefront6targetE0EEEvSK_
    .private_segment_fixed_size: 0
    .sgpr_count:     0
    .sgpr_spill_count: 0
    .symbol:         _ZN7rocprim17ROCPRIM_400000_NS6detail17trampoline_kernelINS0_14default_configENS1_36segmented_radix_sort_config_selectorIalEEZNS1_25segmented_radix_sort_implIS3_Lb1EPKaPaPKlPlN2at6native12_GLOBAL__N_18offset_tEEE10hipError_tPvRmT1_PNSt15iterator_traitsISK_E10value_typeET2_T3_PNSL_ISQ_E10value_typeET4_jRbjT5_SW_jjP12ihipStream_tbEUlT_E1_NS1_11comp_targetILNS1_3genE3ELNS1_11target_archE908ELNS1_3gpuE7ELNS1_3repE0EEENS1_59segmented_radix_sort_warp_sort_small_config_static_selectorELNS0_4arch9wavefront6targetE0EEEvSK_.kd
    .uniform_work_group_size: 1
    .uses_dynamic_stack: false
    .vgpr_count:     0
    .vgpr_spill_count: 0
    .wavefront_size: 32
    .workgroup_processor_mode: 1
  - .args:
      - .offset:         0
        .size:           88
        .value_kind:     by_value
    .group_segment_fixed_size: 0
    .kernarg_segment_align: 8
    .kernarg_segment_size: 88
    .language:       OpenCL C
    .language_version:
      - 2
      - 0
    .max_flat_workgroup_size: 256
    .name:           _ZN7rocprim17ROCPRIM_400000_NS6detail17trampoline_kernelINS0_14default_configENS1_36segmented_radix_sort_config_selectorIalEEZNS1_25segmented_radix_sort_implIS3_Lb1EPKaPaPKlPlN2at6native12_GLOBAL__N_18offset_tEEE10hipError_tPvRmT1_PNSt15iterator_traitsISK_E10value_typeET2_T3_PNSL_ISQ_E10value_typeET4_jRbjT5_SW_jjP12ihipStream_tbEUlT_E1_NS1_11comp_targetILNS1_3genE2ELNS1_11target_archE906ELNS1_3gpuE6ELNS1_3repE0EEENS1_59segmented_radix_sort_warp_sort_small_config_static_selectorELNS0_4arch9wavefront6targetE0EEEvSK_
    .private_segment_fixed_size: 0
    .sgpr_count:     0
    .sgpr_spill_count: 0
    .symbol:         _ZN7rocprim17ROCPRIM_400000_NS6detail17trampoline_kernelINS0_14default_configENS1_36segmented_radix_sort_config_selectorIalEEZNS1_25segmented_radix_sort_implIS3_Lb1EPKaPaPKlPlN2at6native12_GLOBAL__N_18offset_tEEE10hipError_tPvRmT1_PNSt15iterator_traitsISK_E10value_typeET2_T3_PNSL_ISQ_E10value_typeET4_jRbjT5_SW_jjP12ihipStream_tbEUlT_E1_NS1_11comp_targetILNS1_3genE2ELNS1_11target_archE906ELNS1_3gpuE6ELNS1_3repE0EEENS1_59segmented_radix_sort_warp_sort_small_config_static_selectorELNS0_4arch9wavefront6targetE0EEEvSK_.kd
    .uniform_work_group_size: 1
    .uses_dynamic_stack: false
    .vgpr_count:     0
    .vgpr_spill_count: 0
    .wavefront_size: 32
    .workgroup_processor_mode: 1
  - .args:
      - .offset:         0
        .size:           88
        .value_kind:     by_value
    .group_segment_fixed_size: 0
    .kernarg_segment_align: 8
    .kernarg_segment_size: 88
    .language:       OpenCL C
    .language_version:
      - 2
      - 0
    .max_flat_workgroup_size: 256
    .name:           _ZN7rocprim17ROCPRIM_400000_NS6detail17trampoline_kernelINS0_14default_configENS1_36segmented_radix_sort_config_selectorIalEEZNS1_25segmented_radix_sort_implIS3_Lb1EPKaPaPKlPlN2at6native12_GLOBAL__N_18offset_tEEE10hipError_tPvRmT1_PNSt15iterator_traitsISK_E10value_typeET2_T3_PNSL_ISQ_E10value_typeET4_jRbjT5_SW_jjP12ihipStream_tbEUlT_E1_NS1_11comp_targetILNS1_3genE10ELNS1_11target_archE1201ELNS1_3gpuE5ELNS1_3repE0EEENS1_59segmented_radix_sort_warp_sort_small_config_static_selectorELNS0_4arch9wavefront6targetE0EEEvSK_
    .private_segment_fixed_size: 0
    .sgpr_count:     0
    .sgpr_spill_count: 0
    .symbol:         _ZN7rocprim17ROCPRIM_400000_NS6detail17trampoline_kernelINS0_14default_configENS1_36segmented_radix_sort_config_selectorIalEEZNS1_25segmented_radix_sort_implIS3_Lb1EPKaPaPKlPlN2at6native12_GLOBAL__N_18offset_tEEE10hipError_tPvRmT1_PNSt15iterator_traitsISK_E10value_typeET2_T3_PNSL_ISQ_E10value_typeET4_jRbjT5_SW_jjP12ihipStream_tbEUlT_E1_NS1_11comp_targetILNS1_3genE10ELNS1_11target_archE1201ELNS1_3gpuE5ELNS1_3repE0EEENS1_59segmented_radix_sort_warp_sort_small_config_static_selectorELNS0_4arch9wavefront6targetE0EEEvSK_.kd
    .uniform_work_group_size: 1
    .uses_dynamic_stack: false
    .vgpr_count:     0
    .vgpr_spill_count: 0
    .wavefront_size: 32
    .workgroup_processor_mode: 1
  - .args:
      - .offset:         0
        .size:           88
        .value_kind:     by_value
    .group_segment_fixed_size: 0
    .kernarg_segment_align: 8
    .kernarg_segment_size: 88
    .language:       OpenCL C
    .language_version:
      - 2
      - 0
    .max_flat_workgroup_size: 256
    .name:           _ZN7rocprim17ROCPRIM_400000_NS6detail17trampoline_kernelINS0_14default_configENS1_36segmented_radix_sort_config_selectorIalEEZNS1_25segmented_radix_sort_implIS3_Lb1EPKaPaPKlPlN2at6native12_GLOBAL__N_18offset_tEEE10hipError_tPvRmT1_PNSt15iterator_traitsISK_E10value_typeET2_T3_PNSL_ISQ_E10value_typeET4_jRbjT5_SW_jjP12ihipStream_tbEUlT_E1_NS1_11comp_targetILNS1_3genE10ELNS1_11target_archE1200ELNS1_3gpuE4ELNS1_3repE0EEENS1_59segmented_radix_sort_warp_sort_small_config_static_selectorELNS0_4arch9wavefront6targetE0EEEvSK_
    .private_segment_fixed_size: 0
    .sgpr_count:     0
    .sgpr_spill_count: 0
    .symbol:         _ZN7rocprim17ROCPRIM_400000_NS6detail17trampoline_kernelINS0_14default_configENS1_36segmented_radix_sort_config_selectorIalEEZNS1_25segmented_radix_sort_implIS3_Lb1EPKaPaPKlPlN2at6native12_GLOBAL__N_18offset_tEEE10hipError_tPvRmT1_PNSt15iterator_traitsISK_E10value_typeET2_T3_PNSL_ISQ_E10value_typeET4_jRbjT5_SW_jjP12ihipStream_tbEUlT_E1_NS1_11comp_targetILNS1_3genE10ELNS1_11target_archE1200ELNS1_3gpuE4ELNS1_3repE0EEENS1_59segmented_radix_sort_warp_sort_small_config_static_selectorELNS0_4arch9wavefront6targetE0EEEvSK_.kd
    .uniform_work_group_size: 1
    .uses_dynamic_stack: false
    .vgpr_count:     0
    .vgpr_spill_count: 0
    .wavefront_size: 32
    .workgroup_processor_mode: 1
  - .args:
      - .offset:         0
        .size:           88
        .value_kind:     by_value
      - .offset:         88
        .size:           4
        .value_kind:     hidden_block_count_x
      - .offset:         92
        .size:           4
        .value_kind:     hidden_block_count_y
      - .offset:         96
        .size:           4
        .value_kind:     hidden_block_count_z
      - .offset:         100
        .size:           2
        .value_kind:     hidden_group_size_x
      - .offset:         102
        .size:           2
        .value_kind:     hidden_group_size_y
      - .offset:         104
        .size:           2
        .value_kind:     hidden_group_size_z
      - .offset:         106
        .size:           2
        .value_kind:     hidden_remainder_x
      - .offset:         108
        .size:           2
        .value_kind:     hidden_remainder_y
      - .offset:         110
        .size:           2
        .value_kind:     hidden_remainder_z
      - .offset:         128
        .size:           8
        .value_kind:     hidden_global_offset_x
      - .offset:         136
        .size:           8
        .value_kind:     hidden_global_offset_y
      - .offset:         144
        .size:           8
        .value_kind:     hidden_global_offset_z
      - .offset:         152
        .size:           2
        .value_kind:     hidden_grid_dims
    .group_segment_fixed_size: 9216
    .kernarg_segment_align: 8
    .kernarg_segment_size: 344
    .language:       OpenCL C
    .language_version:
      - 2
      - 0
    .max_flat_workgroup_size: 256
    .name:           _ZN7rocprim17ROCPRIM_400000_NS6detail17trampoline_kernelINS0_14default_configENS1_36segmented_radix_sort_config_selectorIalEEZNS1_25segmented_radix_sort_implIS3_Lb1EPKaPaPKlPlN2at6native12_GLOBAL__N_18offset_tEEE10hipError_tPvRmT1_PNSt15iterator_traitsISK_E10value_typeET2_T3_PNSL_ISQ_E10value_typeET4_jRbjT5_SW_jjP12ihipStream_tbEUlT_E1_NS1_11comp_targetILNS1_3genE9ELNS1_11target_archE1100ELNS1_3gpuE3ELNS1_3repE0EEENS1_59segmented_radix_sort_warp_sort_small_config_static_selectorELNS0_4arch9wavefront6targetE0EEEvSK_
    .private_segment_fixed_size: 0
    .sgpr_count:     35
    .sgpr_spill_count: 0
    .symbol:         _ZN7rocprim17ROCPRIM_400000_NS6detail17trampoline_kernelINS0_14default_configENS1_36segmented_radix_sort_config_selectorIalEEZNS1_25segmented_radix_sort_implIS3_Lb1EPKaPaPKlPlN2at6native12_GLOBAL__N_18offset_tEEE10hipError_tPvRmT1_PNSt15iterator_traitsISK_E10value_typeET2_T3_PNSL_ISQ_E10value_typeET4_jRbjT5_SW_jjP12ihipStream_tbEUlT_E1_NS1_11comp_targetILNS1_3genE9ELNS1_11target_archE1100ELNS1_3gpuE3ELNS1_3repE0EEENS1_59segmented_radix_sort_warp_sort_small_config_static_selectorELNS0_4arch9wavefront6targetE0EEEvSK_.kd
    .uniform_work_group_size: 1
    .uses_dynamic_stack: false
    .vgpr_count:     65
    .vgpr_spill_count: 0
    .wavefront_size: 32
    .workgroup_processor_mode: 1
  - .args:
      - .offset:         0
        .size:           88
        .value_kind:     by_value
    .group_segment_fixed_size: 0
    .kernarg_segment_align: 8
    .kernarg_segment_size: 88
    .language:       OpenCL C
    .language_version:
      - 2
      - 0
    .max_flat_workgroup_size: 256
    .name:           _ZN7rocprim17ROCPRIM_400000_NS6detail17trampoline_kernelINS0_14default_configENS1_36segmented_radix_sort_config_selectorIalEEZNS1_25segmented_radix_sort_implIS3_Lb1EPKaPaPKlPlN2at6native12_GLOBAL__N_18offset_tEEE10hipError_tPvRmT1_PNSt15iterator_traitsISK_E10value_typeET2_T3_PNSL_ISQ_E10value_typeET4_jRbjT5_SW_jjP12ihipStream_tbEUlT_E1_NS1_11comp_targetILNS1_3genE8ELNS1_11target_archE1030ELNS1_3gpuE2ELNS1_3repE0EEENS1_59segmented_radix_sort_warp_sort_small_config_static_selectorELNS0_4arch9wavefront6targetE0EEEvSK_
    .private_segment_fixed_size: 0
    .sgpr_count:     0
    .sgpr_spill_count: 0
    .symbol:         _ZN7rocprim17ROCPRIM_400000_NS6detail17trampoline_kernelINS0_14default_configENS1_36segmented_radix_sort_config_selectorIalEEZNS1_25segmented_radix_sort_implIS3_Lb1EPKaPaPKlPlN2at6native12_GLOBAL__N_18offset_tEEE10hipError_tPvRmT1_PNSt15iterator_traitsISK_E10value_typeET2_T3_PNSL_ISQ_E10value_typeET4_jRbjT5_SW_jjP12ihipStream_tbEUlT_E1_NS1_11comp_targetILNS1_3genE8ELNS1_11target_archE1030ELNS1_3gpuE2ELNS1_3repE0EEENS1_59segmented_radix_sort_warp_sort_small_config_static_selectorELNS0_4arch9wavefront6targetE0EEEvSK_.kd
    .uniform_work_group_size: 1
    .uses_dynamic_stack: false
    .vgpr_count:     0
    .vgpr_spill_count: 0
    .wavefront_size: 32
    .workgroup_processor_mode: 1
  - .args:
      - .offset:         0
        .size:           80
        .value_kind:     by_value
    .group_segment_fixed_size: 0
    .kernarg_segment_align: 8
    .kernarg_segment_size: 80
    .language:       OpenCL C
    .language_version:
      - 2
      - 0
    .max_flat_workgroup_size: 256
    .name:           _ZN7rocprim17ROCPRIM_400000_NS6detail17trampoline_kernelINS0_14default_configENS1_36segmented_radix_sort_config_selectorIalEEZNS1_25segmented_radix_sort_implIS3_Lb1EPKaPaPKlPlN2at6native12_GLOBAL__N_18offset_tEEE10hipError_tPvRmT1_PNSt15iterator_traitsISK_E10value_typeET2_T3_PNSL_ISQ_E10value_typeET4_jRbjT5_SW_jjP12ihipStream_tbEUlT_E2_NS1_11comp_targetILNS1_3genE0ELNS1_11target_archE4294967295ELNS1_3gpuE0ELNS1_3repE0EEENS1_30default_config_static_selectorELNS0_4arch9wavefront6targetE0EEEvSK_
    .private_segment_fixed_size: 0
    .sgpr_count:     0
    .sgpr_spill_count: 0
    .symbol:         _ZN7rocprim17ROCPRIM_400000_NS6detail17trampoline_kernelINS0_14default_configENS1_36segmented_radix_sort_config_selectorIalEEZNS1_25segmented_radix_sort_implIS3_Lb1EPKaPaPKlPlN2at6native12_GLOBAL__N_18offset_tEEE10hipError_tPvRmT1_PNSt15iterator_traitsISK_E10value_typeET2_T3_PNSL_ISQ_E10value_typeET4_jRbjT5_SW_jjP12ihipStream_tbEUlT_E2_NS1_11comp_targetILNS1_3genE0ELNS1_11target_archE4294967295ELNS1_3gpuE0ELNS1_3repE0EEENS1_30default_config_static_selectorELNS0_4arch9wavefront6targetE0EEEvSK_.kd
    .uniform_work_group_size: 1
    .uses_dynamic_stack: false
    .vgpr_count:     0
    .vgpr_spill_count: 0
    .wavefront_size: 32
    .workgroup_processor_mode: 1
  - .args:
      - .offset:         0
        .size:           80
        .value_kind:     by_value
    .group_segment_fixed_size: 0
    .kernarg_segment_align: 8
    .kernarg_segment_size: 80
    .language:       OpenCL C
    .language_version:
      - 2
      - 0
    .max_flat_workgroup_size: 256
    .name:           _ZN7rocprim17ROCPRIM_400000_NS6detail17trampoline_kernelINS0_14default_configENS1_36segmented_radix_sort_config_selectorIalEEZNS1_25segmented_radix_sort_implIS3_Lb1EPKaPaPKlPlN2at6native12_GLOBAL__N_18offset_tEEE10hipError_tPvRmT1_PNSt15iterator_traitsISK_E10value_typeET2_T3_PNSL_ISQ_E10value_typeET4_jRbjT5_SW_jjP12ihipStream_tbEUlT_E2_NS1_11comp_targetILNS1_3genE5ELNS1_11target_archE942ELNS1_3gpuE9ELNS1_3repE0EEENS1_30default_config_static_selectorELNS0_4arch9wavefront6targetE0EEEvSK_
    .private_segment_fixed_size: 0
    .sgpr_count:     0
    .sgpr_spill_count: 0
    .symbol:         _ZN7rocprim17ROCPRIM_400000_NS6detail17trampoline_kernelINS0_14default_configENS1_36segmented_radix_sort_config_selectorIalEEZNS1_25segmented_radix_sort_implIS3_Lb1EPKaPaPKlPlN2at6native12_GLOBAL__N_18offset_tEEE10hipError_tPvRmT1_PNSt15iterator_traitsISK_E10value_typeET2_T3_PNSL_ISQ_E10value_typeET4_jRbjT5_SW_jjP12ihipStream_tbEUlT_E2_NS1_11comp_targetILNS1_3genE5ELNS1_11target_archE942ELNS1_3gpuE9ELNS1_3repE0EEENS1_30default_config_static_selectorELNS0_4arch9wavefront6targetE0EEEvSK_.kd
    .uniform_work_group_size: 1
    .uses_dynamic_stack: false
    .vgpr_count:     0
    .vgpr_spill_count: 0
    .wavefront_size: 32
    .workgroup_processor_mode: 1
  - .args:
      - .offset:         0
        .size:           80
        .value_kind:     by_value
    .group_segment_fixed_size: 0
    .kernarg_segment_align: 8
    .kernarg_segment_size: 80
    .language:       OpenCL C
    .language_version:
      - 2
      - 0
    .max_flat_workgroup_size: 256
    .name:           _ZN7rocprim17ROCPRIM_400000_NS6detail17trampoline_kernelINS0_14default_configENS1_36segmented_radix_sort_config_selectorIalEEZNS1_25segmented_radix_sort_implIS3_Lb1EPKaPaPKlPlN2at6native12_GLOBAL__N_18offset_tEEE10hipError_tPvRmT1_PNSt15iterator_traitsISK_E10value_typeET2_T3_PNSL_ISQ_E10value_typeET4_jRbjT5_SW_jjP12ihipStream_tbEUlT_E2_NS1_11comp_targetILNS1_3genE4ELNS1_11target_archE910ELNS1_3gpuE8ELNS1_3repE0EEENS1_30default_config_static_selectorELNS0_4arch9wavefront6targetE0EEEvSK_
    .private_segment_fixed_size: 0
    .sgpr_count:     0
    .sgpr_spill_count: 0
    .symbol:         _ZN7rocprim17ROCPRIM_400000_NS6detail17trampoline_kernelINS0_14default_configENS1_36segmented_radix_sort_config_selectorIalEEZNS1_25segmented_radix_sort_implIS3_Lb1EPKaPaPKlPlN2at6native12_GLOBAL__N_18offset_tEEE10hipError_tPvRmT1_PNSt15iterator_traitsISK_E10value_typeET2_T3_PNSL_ISQ_E10value_typeET4_jRbjT5_SW_jjP12ihipStream_tbEUlT_E2_NS1_11comp_targetILNS1_3genE4ELNS1_11target_archE910ELNS1_3gpuE8ELNS1_3repE0EEENS1_30default_config_static_selectorELNS0_4arch9wavefront6targetE0EEEvSK_.kd
    .uniform_work_group_size: 1
    .uses_dynamic_stack: false
    .vgpr_count:     0
    .vgpr_spill_count: 0
    .wavefront_size: 32
    .workgroup_processor_mode: 1
  - .args:
      - .offset:         0
        .size:           80
        .value_kind:     by_value
    .group_segment_fixed_size: 0
    .kernarg_segment_align: 8
    .kernarg_segment_size: 80
    .language:       OpenCL C
    .language_version:
      - 2
      - 0
    .max_flat_workgroup_size: 256
    .name:           _ZN7rocprim17ROCPRIM_400000_NS6detail17trampoline_kernelINS0_14default_configENS1_36segmented_radix_sort_config_selectorIalEEZNS1_25segmented_radix_sort_implIS3_Lb1EPKaPaPKlPlN2at6native12_GLOBAL__N_18offset_tEEE10hipError_tPvRmT1_PNSt15iterator_traitsISK_E10value_typeET2_T3_PNSL_ISQ_E10value_typeET4_jRbjT5_SW_jjP12ihipStream_tbEUlT_E2_NS1_11comp_targetILNS1_3genE3ELNS1_11target_archE908ELNS1_3gpuE7ELNS1_3repE0EEENS1_30default_config_static_selectorELNS0_4arch9wavefront6targetE0EEEvSK_
    .private_segment_fixed_size: 0
    .sgpr_count:     0
    .sgpr_spill_count: 0
    .symbol:         _ZN7rocprim17ROCPRIM_400000_NS6detail17trampoline_kernelINS0_14default_configENS1_36segmented_radix_sort_config_selectorIalEEZNS1_25segmented_radix_sort_implIS3_Lb1EPKaPaPKlPlN2at6native12_GLOBAL__N_18offset_tEEE10hipError_tPvRmT1_PNSt15iterator_traitsISK_E10value_typeET2_T3_PNSL_ISQ_E10value_typeET4_jRbjT5_SW_jjP12ihipStream_tbEUlT_E2_NS1_11comp_targetILNS1_3genE3ELNS1_11target_archE908ELNS1_3gpuE7ELNS1_3repE0EEENS1_30default_config_static_selectorELNS0_4arch9wavefront6targetE0EEEvSK_.kd
    .uniform_work_group_size: 1
    .uses_dynamic_stack: false
    .vgpr_count:     0
    .vgpr_spill_count: 0
    .wavefront_size: 32
    .workgroup_processor_mode: 1
  - .args:
      - .offset:         0
        .size:           80
        .value_kind:     by_value
    .group_segment_fixed_size: 0
    .kernarg_segment_align: 8
    .kernarg_segment_size: 80
    .language:       OpenCL C
    .language_version:
      - 2
      - 0
    .max_flat_workgroup_size: 256
    .name:           _ZN7rocprim17ROCPRIM_400000_NS6detail17trampoline_kernelINS0_14default_configENS1_36segmented_radix_sort_config_selectorIalEEZNS1_25segmented_radix_sort_implIS3_Lb1EPKaPaPKlPlN2at6native12_GLOBAL__N_18offset_tEEE10hipError_tPvRmT1_PNSt15iterator_traitsISK_E10value_typeET2_T3_PNSL_ISQ_E10value_typeET4_jRbjT5_SW_jjP12ihipStream_tbEUlT_E2_NS1_11comp_targetILNS1_3genE2ELNS1_11target_archE906ELNS1_3gpuE6ELNS1_3repE0EEENS1_30default_config_static_selectorELNS0_4arch9wavefront6targetE0EEEvSK_
    .private_segment_fixed_size: 0
    .sgpr_count:     0
    .sgpr_spill_count: 0
    .symbol:         _ZN7rocprim17ROCPRIM_400000_NS6detail17trampoline_kernelINS0_14default_configENS1_36segmented_radix_sort_config_selectorIalEEZNS1_25segmented_radix_sort_implIS3_Lb1EPKaPaPKlPlN2at6native12_GLOBAL__N_18offset_tEEE10hipError_tPvRmT1_PNSt15iterator_traitsISK_E10value_typeET2_T3_PNSL_ISQ_E10value_typeET4_jRbjT5_SW_jjP12ihipStream_tbEUlT_E2_NS1_11comp_targetILNS1_3genE2ELNS1_11target_archE906ELNS1_3gpuE6ELNS1_3repE0EEENS1_30default_config_static_selectorELNS0_4arch9wavefront6targetE0EEEvSK_.kd
    .uniform_work_group_size: 1
    .uses_dynamic_stack: false
    .vgpr_count:     0
    .vgpr_spill_count: 0
    .wavefront_size: 32
    .workgroup_processor_mode: 1
  - .args:
      - .offset:         0
        .size:           80
        .value_kind:     by_value
    .group_segment_fixed_size: 0
    .kernarg_segment_align: 8
    .kernarg_segment_size: 80
    .language:       OpenCL C
    .language_version:
      - 2
      - 0
    .max_flat_workgroup_size: 256
    .name:           _ZN7rocprim17ROCPRIM_400000_NS6detail17trampoline_kernelINS0_14default_configENS1_36segmented_radix_sort_config_selectorIalEEZNS1_25segmented_radix_sort_implIS3_Lb1EPKaPaPKlPlN2at6native12_GLOBAL__N_18offset_tEEE10hipError_tPvRmT1_PNSt15iterator_traitsISK_E10value_typeET2_T3_PNSL_ISQ_E10value_typeET4_jRbjT5_SW_jjP12ihipStream_tbEUlT_E2_NS1_11comp_targetILNS1_3genE10ELNS1_11target_archE1201ELNS1_3gpuE5ELNS1_3repE0EEENS1_30default_config_static_selectorELNS0_4arch9wavefront6targetE0EEEvSK_
    .private_segment_fixed_size: 0
    .sgpr_count:     0
    .sgpr_spill_count: 0
    .symbol:         _ZN7rocprim17ROCPRIM_400000_NS6detail17trampoline_kernelINS0_14default_configENS1_36segmented_radix_sort_config_selectorIalEEZNS1_25segmented_radix_sort_implIS3_Lb1EPKaPaPKlPlN2at6native12_GLOBAL__N_18offset_tEEE10hipError_tPvRmT1_PNSt15iterator_traitsISK_E10value_typeET2_T3_PNSL_ISQ_E10value_typeET4_jRbjT5_SW_jjP12ihipStream_tbEUlT_E2_NS1_11comp_targetILNS1_3genE10ELNS1_11target_archE1201ELNS1_3gpuE5ELNS1_3repE0EEENS1_30default_config_static_selectorELNS0_4arch9wavefront6targetE0EEEvSK_.kd
    .uniform_work_group_size: 1
    .uses_dynamic_stack: false
    .vgpr_count:     0
    .vgpr_spill_count: 0
    .wavefront_size: 32
    .workgroup_processor_mode: 1
  - .args:
      - .offset:         0
        .size:           80
        .value_kind:     by_value
    .group_segment_fixed_size: 0
    .kernarg_segment_align: 8
    .kernarg_segment_size: 80
    .language:       OpenCL C
    .language_version:
      - 2
      - 0
    .max_flat_workgroup_size: 128
    .name:           _ZN7rocprim17ROCPRIM_400000_NS6detail17trampoline_kernelINS0_14default_configENS1_36segmented_radix_sort_config_selectorIalEEZNS1_25segmented_radix_sort_implIS3_Lb1EPKaPaPKlPlN2at6native12_GLOBAL__N_18offset_tEEE10hipError_tPvRmT1_PNSt15iterator_traitsISK_E10value_typeET2_T3_PNSL_ISQ_E10value_typeET4_jRbjT5_SW_jjP12ihipStream_tbEUlT_E2_NS1_11comp_targetILNS1_3genE10ELNS1_11target_archE1200ELNS1_3gpuE4ELNS1_3repE0EEENS1_30default_config_static_selectorELNS0_4arch9wavefront6targetE0EEEvSK_
    .private_segment_fixed_size: 0
    .sgpr_count:     0
    .sgpr_spill_count: 0
    .symbol:         _ZN7rocprim17ROCPRIM_400000_NS6detail17trampoline_kernelINS0_14default_configENS1_36segmented_radix_sort_config_selectorIalEEZNS1_25segmented_radix_sort_implIS3_Lb1EPKaPaPKlPlN2at6native12_GLOBAL__N_18offset_tEEE10hipError_tPvRmT1_PNSt15iterator_traitsISK_E10value_typeET2_T3_PNSL_ISQ_E10value_typeET4_jRbjT5_SW_jjP12ihipStream_tbEUlT_E2_NS1_11comp_targetILNS1_3genE10ELNS1_11target_archE1200ELNS1_3gpuE4ELNS1_3repE0EEENS1_30default_config_static_selectorELNS0_4arch9wavefront6targetE0EEEvSK_.kd
    .uniform_work_group_size: 1
    .uses_dynamic_stack: false
    .vgpr_count:     0
    .vgpr_spill_count: 0
    .wavefront_size: 32
    .workgroup_processor_mode: 1
  - .args:
      - .offset:         0
        .size:           80
        .value_kind:     by_value
      - .offset:         80
        .size:           4
        .value_kind:     hidden_block_count_x
      - .offset:         84
        .size:           4
        .value_kind:     hidden_block_count_y
      - .offset:         88
        .size:           4
        .value_kind:     hidden_block_count_z
      - .offset:         92
        .size:           2
        .value_kind:     hidden_group_size_x
      - .offset:         94
        .size:           2
        .value_kind:     hidden_group_size_y
      - .offset:         96
        .size:           2
        .value_kind:     hidden_group_size_z
      - .offset:         98
        .size:           2
        .value_kind:     hidden_remainder_x
      - .offset:         100
        .size:           2
        .value_kind:     hidden_remainder_y
      - .offset:         102
        .size:           2
        .value_kind:     hidden_remainder_z
      - .offset:         120
        .size:           8
        .value_kind:     hidden_global_offset_x
      - .offset:         128
        .size:           8
        .value_kind:     hidden_global_offset_y
      - .offset:         136
        .size:           8
        .value_kind:     hidden_global_offset_z
      - .offset:         144
        .size:           2
        .value_kind:     hidden_grid_dims
    .group_segment_fixed_size: 17440
    .kernarg_segment_align: 8
    .kernarg_segment_size: 336
    .language:       OpenCL C
    .language_version:
      - 2
      - 0
    .max_flat_workgroup_size: 256
    .name:           _ZN7rocprim17ROCPRIM_400000_NS6detail17trampoline_kernelINS0_14default_configENS1_36segmented_radix_sort_config_selectorIalEEZNS1_25segmented_radix_sort_implIS3_Lb1EPKaPaPKlPlN2at6native12_GLOBAL__N_18offset_tEEE10hipError_tPvRmT1_PNSt15iterator_traitsISK_E10value_typeET2_T3_PNSL_ISQ_E10value_typeET4_jRbjT5_SW_jjP12ihipStream_tbEUlT_E2_NS1_11comp_targetILNS1_3genE9ELNS1_11target_archE1100ELNS1_3gpuE3ELNS1_3repE0EEENS1_30default_config_static_selectorELNS0_4arch9wavefront6targetE0EEEvSK_
    .private_segment_fixed_size: 0
    .sgpr_count:     56
    .sgpr_spill_count: 0
    .symbol:         _ZN7rocprim17ROCPRIM_400000_NS6detail17trampoline_kernelINS0_14default_configENS1_36segmented_radix_sort_config_selectorIalEEZNS1_25segmented_radix_sort_implIS3_Lb1EPKaPaPKlPlN2at6native12_GLOBAL__N_18offset_tEEE10hipError_tPvRmT1_PNSt15iterator_traitsISK_E10value_typeET2_T3_PNSL_ISQ_E10value_typeET4_jRbjT5_SW_jjP12ihipStream_tbEUlT_E2_NS1_11comp_targetILNS1_3genE9ELNS1_11target_archE1100ELNS1_3gpuE3ELNS1_3repE0EEENS1_30default_config_static_selectorELNS0_4arch9wavefront6targetE0EEEvSK_.kd
    .uniform_work_group_size: 1
    .uses_dynamic_stack: false
    .vgpr_count:     183
    .vgpr_spill_count: 0
    .wavefront_size: 32
    .workgroup_processor_mode: 1
  - .args:
      - .offset:         0
        .size:           80
        .value_kind:     by_value
    .group_segment_fixed_size: 0
    .kernarg_segment_align: 8
    .kernarg_segment_size: 80
    .language:       OpenCL C
    .language_version:
      - 2
      - 0
    .max_flat_workgroup_size: 256
    .name:           _ZN7rocprim17ROCPRIM_400000_NS6detail17trampoline_kernelINS0_14default_configENS1_36segmented_radix_sort_config_selectorIalEEZNS1_25segmented_radix_sort_implIS3_Lb1EPKaPaPKlPlN2at6native12_GLOBAL__N_18offset_tEEE10hipError_tPvRmT1_PNSt15iterator_traitsISK_E10value_typeET2_T3_PNSL_ISQ_E10value_typeET4_jRbjT5_SW_jjP12ihipStream_tbEUlT_E2_NS1_11comp_targetILNS1_3genE8ELNS1_11target_archE1030ELNS1_3gpuE2ELNS1_3repE0EEENS1_30default_config_static_selectorELNS0_4arch9wavefront6targetE0EEEvSK_
    .private_segment_fixed_size: 0
    .sgpr_count:     0
    .sgpr_spill_count: 0
    .symbol:         _ZN7rocprim17ROCPRIM_400000_NS6detail17trampoline_kernelINS0_14default_configENS1_36segmented_radix_sort_config_selectorIalEEZNS1_25segmented_radix_sort_implIS3_Lb1EPKaPaPKlPlN2at6native12_GLOBAL__N_18offset_tEEE10hipError_tPvRmT1_PNSt15iterator_traitsISK_E10value_typeET2_T3_PNSL_ISQ_E10value_typeET4_jRbjT5_SW_jjP12ihipStream_tbEUlT_E2_NS1_11comp_targetILNS1_3genE8ELNS1_11target_archE1030ELNS1_3gpuE2ELNS1_3repE0EEENS1_30default_config_static_selectorELNS0_4arch9wavefront6targetE0EEEvSK_.kd
    .uniform_work_group_size: 1
    .uses_dynamic_stack: false
    .vgpr_count:     0
    .vgpr_spill_count: 0
    .wavefront_size: 32
    .workgroup_processor_mode: 1
  - .args:
      - .offset:         0
        .size:           176
        .value_kind:     by_value
    .group_segment_fixed_size: 0
    .kernarg_segment_align: 8
    .kernarg_segment_size: 176
    .language:       OpenCL C
    .language_version:
      - 2
      - 0
    .max_flat_workgroup_size: 256
    .name:           _ZN7rocprim17ROCPRIM_400000_NS6detail17trampoline_kernelINS0_13select_configILj256ELj13ELNS0_17block_load_methodE3ELS4_3ELS4_3ELNS0_20block_scan_algorithmE0ELj4294967295EEENS1_25partition_config_selectorILNS1_17partition_subalgoE4EjNS0_10empty_typeEbEEZZNS1_14partition_implILS8_4ELb0ES6_15HIP_vector_typeIjLj2EENS0_17counting_iteratorIjlEEPS9_SG_NS0_5tupleIJPjSI_NS0_16reverse_iteratorISI_EEEEENSH_IJSG_SG_SG_EEES9_SI_JZNS1_25segmented_radix_sort_implINS0_14default_configELb0EPKaPaPKlPlN2at6native12_GLOBAL__N_18offset_tEEE10hipError_tPvRmT1_PNSt15iterator_traitsIS12_E10value_typeET2_T3_PNS13_IS18_E10value_typeET4_jRbjT5_S1E_jjP12ihipStream_tbEUljE_ZNSN_ISO_Lb0ESQ_SR_ST_SU_SY_EESZ_S10_S11_S12_S16_S17_S18_S1B_S1C_jS1D_jS1E_S1E_jjS1G_bEUljE0_EEESZ_S10_S11_S18_S1C_S1E_T6_T7_T9_mT8_S1G_bDpT10_ENKUlT_T0_E_clISt17integral_constantIbLb0EES1U_EEDaS1P_S1Q_EUlS1P_E_NS1_11comp_targetILNS1_3genE0ELNS1_11target_archE4294967295ELNS1_3gpuE0ELNS1_3repE0EEENS1_30default_config_static_selectorELNS0_4arch9wavefront6targetE0EEEvS12_
    .private_segment_fixed_size: 0
    .sgpr_count:     0
    .sgpr_spill_count: 0
    .symbol:         _ZN7rocprim17ROCPRIM_400000_NS6detail17trampoline_kernelINS0_13select_configILj256ELj13ELNS0_17block_load_methodE3ELS4_3ELS4_3ELNS0_20block_scan_algorithmE0ELj4294967295EEENS1_25partition_config_selectorILNS1_17partition_subalgoE4EjNS0_10empty_typeEbEEZZNS1_14partition_implILS8_4ELb0ES6_15HIP_vector_typeIjLj2EENS0_17counting_iteratorIjlEEPS9_SG_NS0_5tupleIJPjSI_NS0_16reverse_iteratorISI_EEEEENSH_IJSG_SG_SG_EEES9_SI_JZNS1_25segmented_radix_sort_implINS0_14default_configELb0EPKaPaPKlPlN2at6native12_GLOBAL__N_18offset_tEEE10hipError_tPvRmT1_PNSt15iterator_traitsIS12_E10value_typeET2_T3_PNS13_IS18_E10value_typeET4_jRbjT5_S1E_jjP12ihipStream_tbEUljE_ZNSN_ISO_Lb0ESQ_SR_ST_SU_SY_EESZ_S10_S11_S12_S16_S17_S18_S1B_S1C_jS1D_jS1E_S1E_jjS1G_bEUljE0_EEESZ_S10_S11_S18_S1C_S1E_T6_T7_T9_mT8_S1G_bDpT10_ENKUlT_T0_E_clISt17integral_constantIbLb0EES1U_EEDaS1P_S1Q_EUlS1P_E_NS1_11comp_targetILNS1_3genE0ELNS1_11target_archE4294967295ELNS1_3gpuE0ELNS1_3repE0EEENS1_30default_config_static_selectorELNS0_4arch9wavefront6targetE0EEEvS12_.kd
    .uniform_work_group_size: 1
    .uses_dynamic_stack: false
    .vgpr_count:     0
    .vgpr_spill_count: 0
    .wavefront_size: 32
    .workgroup_processor_mode: 1
  - .args:
      - .offset:         0
        .size:           176
        .value_kind:     by_value
    .group_segment_fixed_size: 0
    .kernarg_segment_align: 8
    .kernarg_segment_size: 176
    .language:       OpenCL C
    .language_version:
      - 2
      - 0
    .max_flat_workgroup_size: 256
    .name:           _ZN7rocprim17ROCPRIM_400000_NS6detail17trampoline_kernelINS0_13select_configILj256ELj13ELNS0_17block_load_methodE3ELS4_3ELS4_3ELNS0_20block_scan_algorithmE0ELj4294967295EEENS1_25partition_config_selectorILNS1_17partition_subalgoE4EjNS0_10empty_typeEbEEZZNS1_14partition_implILS8_4ELb0ES6_15HIP_vector_typeIjLj2EENS0_17counting_iteratorIjlEEPS9_SG_NS0_5tupleIJPjSI_NS0_16reverse_iteratorISI_EEEEENSH_IJSG_SG_SG_EEES9_SI_JZNS1_25segmented_radix_sort_implINS0_14default_configELb0EPKaPaPKlPlN2at6native12_GLOBAL__N_18offset_tEEE10hipError_tPvRmT1_PNSt15iterator_traitsIS12_E10value_typeET2_T3_PNS13_IS18_E10value_typeET4_jRbjT5_S1E_jjP12ihipStream_tbEUljE_ZNSN_ISO_Lb0ESQ_SR_ST_SU_SY_EESZ_S10_S11_S12_S16_S17_S18_S1B_S1C_jS1D_jS1E_S1E_jjS1G_bEUljE0_EEESZ_S10_S11_S18_S1C_S1E_T6_T7_T9_mT8_S1G_bDpT10_ENKUlT_T0_E_clISt17integral_constantIbLb0EES1U_EEDaS1P_S1Q_EUlS1P_E_NS1_11comp_targetILNS1_3genE5ELNS1_11target_archE942ELNS1_3gpuE9ELNS1_3repE0EEENS1_30default_config_static_selectorELNS0_4arch9wavefront6targetE0EEEvS12_
    .private_segment_fixed_size: 0
    .sgpr_count:     0
    .sgpr_spill_count: 0
    .symbol:         _ZN7rocprim17ROCPRIM_400000_NS6detail17trampoline_kernelINS0_13select_configILj256ELj13ELNS0_17block_load_methodE3ELS4_3ELS4_3ELNS0_20block_scan_algorithmE0ELj4294967295EEENS1_25partition_config_selectorILNS1_17partition_subalgoE4EjNS0_10empty_typeEbEEZZNS1_14partition_implILS8_4ELb0ES6_15HIP_vector_typeIjLj2EENS0_17counting_iteratorIjlEEPS9_SG_NS0_5tupleIJPjSI_NS0_16reverse_iteratorISI_EEEEENSH_IJSG_SG_SG_EEES9_SI_JZNS1_25segmented_radix_sort_implINS0_14default_configELb0EPKaPaPKlPlN2at6native12_GLOBAL__N_18offset_tEEE10hipError_tPvRmT1_PNSt15iterator_traitsIS12_E10value_typeET2_T3_PNS13_IS18_E10value_typeET4_jRbjT5_S1E_jjP12ihipStream_tbEUljE_ZNSN_ISO_Lb0ESQ_SR_ST_SU_SY_EESZ_S10_S11_S12_S16_S17_S18_S1B_S1C_jS1D_jS1E_S1E_jjS1G_bEUljE0_EEESZ_S10_S11_S18_S1C_S1E_T6_T7_T9_mT8_S1G_bDpT10_ENKUlT_T0_E_clISt17integral_constantIbLb0EES1U_EEDaS1P_S1Q_EUlS1P_E_NS1_11comp_targetILNS1_3genE5ELNS1_11target_archE942ELNS1_3gpuE9ELNS1_3repE0EEENS1_30default_config_static_selectorELNS0_4arch9wavefront6targetE0EEEvS12_.kd
    .uniform_work_group_size: 1
    .uses_dynamic_stack: false
    .vgpr_count:     0
    .vgpr_spill_count: 0
    .wavefront_size: 32
    .workgroup_processor_mode: 1
  - .args:
      - .offset:         0
        .size:           176
        .value_kind:     by_value
    .group_segment_fixed_size: 0
    .kernarg_segment_align: 8
    .kernarg_segment_size: 176
    .language:       OpenCL C
    .language_version:
      - 2
      - 0
    .max_flat_workgroup_size: 256
    .name:           _ZN7rocprim17ROCPRIM_400000_NS6detail17trampoline_kernelINS0_13select_configILj256ELj13ELNS0_17block_load_methodE3ELS4_3ELS4_3ELNS0_20block_scan_algorithmE0ELj4294967295EEENS1_25partition_config_selectorILNS1_17partition_subalgoE4EjNS0_10empty_typeEbEEZZNS1_14partition_implILS8_4ELb0ES6_15HIP_vector_typeIjLj2EENS0_17counting_iteratorIjlEEPS9_SG_NS0_5tupleIJPjSI_NS0_16reverse_iteratorISI_EEEEENSH_IJSG_SG_SG_EEES9_SI_JZNS1_25segmented_radix_sort_implINS0_14default_configELb0EPKaPaPKlPlN2at6native12_GLOBAL__N_18offset_tEEE10hipError_tPvRmT1_PNSt15iterator_traitsIS12_E10value_typeET2_T3_PNS13_IS18_E10value_typeET4_jRbjT5_S1E_jjP12ihipStream_tbEUljE_ZNSN_ISO_Lb0ESQ_SR_ST_SU_SY_EESZ_S10_S11_S12_S16_S17_S18_S1B_S1C_jS1D_jS1E_S1E_jjS1G_bEUljE0_EEESZ_S10_S11_S18_S1C_S1E_T6_T7_T9_mT8_S1G_bDpT10_ENKUlT_T0_E_clISt17integral_constantIbLb0EES1U_EEDaS1P_S1Q_EUlS1P_E_NS1_11comp_targetILNS1_3genE4ELNS1_11target_archE910ELNS1_3gpuE8ELNS1_3repE0EEENS1_30default_config_static_selectorELNS0_4arch9wavefront6targetE0EEEvS12_
    .private_segment_fixed_size: 0
    .sgpr_count:     0
    .sgpr_spill_count: 0
    .symbol:         _ZN7rocprim17ROCPRIM_400000_NS6detail17trampoline_kernelINS0_13select_configILj256ELj13ELNS0_17block_load_methodE3ELS4_3ELS4_3ELNS0_20block_scan_algorithmE0ELj4294967295EEENS1_25partition_config_selectorILNS1_17partition_subalgoE4EjNS0_10empty_typeEbEEZZNS1_14partition_implILS8_4ELb0ES6_15HIP_vector_typeIjLj2EENS0_17counting_iteratorIjlEEPS9_SG_NS0_5tupleIJPjSI_NS0_16reverse_iteratorISI_EEEEENSH_IJSG_SG_SG_EEES9_SI_JZNS1_25segmented_radix_sort_implINS0_14default_configELb0EPKaPaPKlPlN2at6native12_GLOBAL__N_18offset_tEEE10hipError_tPvRmT1_PNSt15iterator_traitsIS12_E10value_typeET2_T3_PNS13_IS18_E10value_typeET4_jRbjT5_S1E_jjP12ihipStream_tbEUljE_ZNSN_ISO_Lb0ESQ_SR_ST_SU_SY_EESZ_S10_S11_S12_S16_S17_S18_S1B_S1C_jS1D_jS1E_S1E_jjS1G_bEUljE0_EEESZ_S10_S11_S18_S1C_S1E_T6_T7_T9_mT8_S1G_bDpT10_ENKUlT_T0_E_clISt17integral_constantIbLb0EES1U_EEDaS1P_S1Q_EUlS1P_E_NS1_11comp_targetILNS1_3genE4ELNS1_11target_archE910ELNS1_3gpuE8ELNS1_3repE0EEENS1_30default_config_static_selectorELNS0_4arch9wavefront6targetE0EEEvS12_.kd
    .uniform_work_group_size: 1
    .uses_dynamic_stack: false
    .vgpr_count:     0
    .vgpr_spill_count: 0
    .wavefront_size: 32
    .workgroup_processor_mode: 1
  - .args:
      - .offset:         0
        .size:           176
        .value_kind:     by_value
    .group_segment_fixed_size: 0
    .kernarg_segment_align: 8
    .kernarg_segment_size: 176
    .language:       OpenCL C
    .language_version:
      - 2
      - 0
    .max_flat_workgroup_size: 256
    .name:           _ZN7rocprim17ROCPRIM_400000_NS6detail17trampoline_kernelINS0_13select_configILj256ELj13ELNS0_17block_load_methodE3ELS4_3ELS4_3ELNS0_20block_scan_algorithmE0ELj4294967295EEENS1_25partition_config_selectorILNS1_17partition_subalgoE4EjNS0_10empty_typeEbEEZZNS1_14partition_implILS8_4ELb0ES6_15HIP_vector_typeIjLj2EENS0_17counting_iteratorIjlEEPS9_SG_NS0_5tupleIJPjSI_NS0_16reverse_iteratorISI_EEEEENSH_IJSG_SG_SG_EEES9_SI_JZNS1_25segmented_radix_sort_implINS0_14default_configELb0EPKaPaPKlPlN2at6native12_GLOBAL__N_18offset_tEEE10hipError_tPvRmT1_PNSt15iterator_traitsIS12_E10value_typeET2_T3_PNS13_IS18_E10value_typeET4_jRbjT5_S1E_jjP12ihipStream_tbEUljE_ZNSN_ISO_Lb0ESQ_SR_ST_SU_SY_EESZ_S10_S11_S12_S16_S17_S18_S1B_S1C_jS1D_jS1E_S1E_jjS1G_bEUljE0_EEESZ_S10_S11_S18_S1C_S1E_T6_T7_T9_mT8_S1G_bDpT10_ENKUlT_T0_E_clISt17integral_constantIbLb0EES1U_EEDaS1P_S1Q_EUlS1P_E_NS1_11comp_targetILNS1_3genE3ELNS1_11target_archE908ELNS1_3gpuE7ELNS1_3repE0EEENS1_30default_config_static_selectorELNS0_4arch9wavefront6targetE0EEEvS12_
    .private_segment_fixed_size: 0
    .sgpr_count:     0
    .sgpr_spill_count: 0
    .symbol:         _ZN7rocprim17ROCPRIM_400000_NS6detail17trampoline_kernelINS0_13select_configILj256ELj13ELNS0_17block_load_methodE3ELS4_3ELS4_3ELNS0_20block_scan_algorithmE0ELj4294967295EEENS1_25partition_config_selectorILNS1_17partition_subalgoE4EjNS0_10empty_typeEbEEZZNS1_14partition_implILS8_4ELb0ES6_15HIP_vector_typeIjLj2EENS0_17counting_iteratorIjlEEPS9_SG_NS0_5tupleIJPjSI_NS0_16reverse_iteratorISI_EEEEENSH_IJSG_SG_SG_EEES9_SI_JZNS1_25segmented_radix_sort_implINS0_14default_configELb0EPKaPaPKlPlN2at6native12_GLOBAL__N_18offset_tEEE10hipError_tPvRmT1_PNSt15iterator_traitsIS12_E10value_typeET2_T3_PNS13_IS18_E10value_typeET4_jRbjT5_S1E_jjP12ihipStream_tbEUljE_ZNSN_ISO_Lb0ESQ_SR_ST_SU_SY_EESZ_S10_S11_S12_S16_S17_S18_S1B_S1C_jS1D_jS1E_S1E_jjS1G_bEUljE0_EEESZ_S10_S11_S18_S1C_S1E_T6_T7_T9_mT8_S1G_bDpT10_ENKUlT_T0_E_clISt17integral_constantIbLb0EES1U_EEDaS1P_S1Q_EUlS1P_E_NS1_11comp_targetILNS1_3genE3ELNS1_11target_archE908ELNS1_3gpuE7ELNS1_3repE0EEENS1_30default_config_static_selectorELNS0_4arch9wavefront6targetE0EEEvS12_.kd
    .uniform_work_group_size: 1
    .uses_dynamic_stack: false
    .vgpr_count:     0
    .vgpr_spill_count: 0
    .wavefront_size: 32
    .workgroup_processor_mode: 1
  - .args:
      - .offset:         0
        .size:           176
        .value_kind:     by_value
    .group_segment_fixed_size: 0
    .kernarg_segment_align: 8
    .kernarg_segment_size: 176
    .language:       OpenCL C
    .language_version:
      - 2
      - 0
    .max_flat_workgroup_size: 256
    .name:           _ZN7rocprim17ROCPRIM_400000_NS6detail17trampoline_kernelINS0_13select_configILj256ELj13ELNS0_17block_load_methodE3ELS4_3ELS4_3ELNS0_20block_scan_algorithmE0ELj4294967295EEENS1_25partition_config_selectorILNS1_17partition_subalgoE4EjNS0_10empty_typeEbEEZZNS1_14partition_implILS8_4ELb0ES6_15HIP_vector_typeIjLj2EENS0_17counting_iteratorIjlEEPS9_SG_NS0_5tupleIJPjSI_NS0_16reverse_iteratorISI_EEEEENSH_IJSG_SG_SG_EEES9_SI_JZNS1_25segmented_radix_sort_implINS0_14default_configELb0EPKaPaPKlPlN2at6native12_GLOBAL__N_18offset_tEEE10hipError_tPvRmT1_PNSt15iterator_traitsIS12_E10value_typeET2_T3_PNS13_IS18_E10value_typeET4_jRbjT5_S1E_jjP12ihipStream_tbEUljE_ZNSN_ISO_Lb0ESQ_SR_ST_SU_SY_EESZ_S10_S11_S12_S16_S17_S18_S1B_S1C_jS1D_jS1E_S1E_jjS1G_bEUljE0_EEESZ_S10_S11_S18_S1C_S1E_T6_T7_T9_mT8_S1G_bDpT10_ENKUlT_T0_E_clISt17integral_constantIbLb0EES1U_EEDaS1P_S1Q_EUlS1P_E_NS1_11comp_targetILNS1_3genE2ELNS1_11target_archE906ELNS1_3gpuE6ELNS1_3repE0EEENS1_30default_config_static_selectorELNS0_4arch9wavefront6targetE0EEEvS12_
    .private_segment_fixed_size: 0
    .sgpr_count:     0
    .sgpr_spill_count: 0
    .symbol:         _ZN7rocprim17ROCPRIM_400000_NS6detail17trampoline_kernelINS0_13select_configILj256ELj13ELNS0_17block_load_methodE3ELS4_3ELS4_3ELNS0_20block_scan_algorithmE0ELj4294967295EEENS1_25partition_config_selectorILNS1_17partition_subalgoE4EjNS0_10empty_typeEbEEZZNS1_14partition_implILS8_4ELb0ES6_15HIP_vector_typeIjLj2EENS0_17counting_iteratorIjlEEPS9_SG_NS0_5tupleIJPjSI_NS0_16reverse_iteratorISI_EEEEENSH_IJSG_SG_SG_EEES9_SI_JZNS1_25segmented_radix_sort_implINS0_14default_configELb0EPKaPaPKlPlN2at6native12_GLOBAL__N_18offset_tEEE10hipError_tPvRmT1_PNSt15iterator_traitsIS12_E10value_typeET2_T3_PNS13_IS18_E10value_typeET4_jRbjT5_S1E_jjP12ihipStream_tbEUljE_ZNSN_ISO_Lb0ESQ_SR_ST_SU_SY_EESZ_S10_S11_S12_S16_S17_S18_S1B_S1C_jS1D_jS1E_S1E_jjS1G_bEUljE0_EEESZ_S10_S11_S18_S1C_S1E_T6_T7_T9_mT8_S1G_bDpT10_ENKUlT_T0_E_clISt17integral_constantIbLb0EES1U_EEDaS1P_S1Q_EUlS1P_E_NS1_11comp_targetILNS1_3genE2ELNS1_11target_archE906ELNS1_3gpuE6ELNS1_3repE0EEENS1_30default_config_static_selectorELNS0_4arch9wavefront6targetE0EEEvS12_.kd
    .uniform_work_group_size: 1
    .uses_dynamic_stack: false
    .vgpr_count:     0
    .vgpr_spill_count: 0
    .wavefront_size: 32
    .workgroup_processor_mode: 1
  - .args:
      - .offset:         0
        .size:           176
        .value_kind:     by_value
    .group_segment_fixed_size: 0
    .kernarg_segment_align: 8
    .kernarg_segment_size: 176
    .language:       OpenCL C
    .language_version:
      - 2
      - 0
    .max_flat_workgroup_size: 256
    .name:           _ZN7rocprim17ROCPRIM_400000_NS6detail17trampoline_kernelINS0_13select_configILj256ELj13ELNS0_17block_load_methodE3ELS4_3ELS4_3ELNS0_20block_scan_algorithmE0ELj4294967295EEENS1_25partition_config_selectorILNS1_17partition_subalgoE4EjNS0_10empty_typeEbEEZZNS1_14partition_implILS8_4ELb0ES6_15HIP_vector_typeIjLj2EENS0_17counting_iteratorIjlEEPS9_SG_NS0_5tupleIJPjSI_NS0_16reverse_iteratorISI_EEEEENSH_IJSG_SG_SG_EEES9_SI_JZNS1_25segmented_radix_sort_implINS0_14default_configELb0EPKaPaPKlPlN2at6native12_GLOBAL__N_18offset_tEEE10hipError_tPvRmT1_PNSt15iterator_traitsIS12_E10value_typeET2_T3_PNS13_IS18_E10value_typeET4_jRbjT5_S1E_jjP12ihipStream_tbEUljE_ZNSN_ISO_Lb0ESQ_SR_ST_SU_SY_EESZ_S10_S11_S12_S16_S17_S18_S1B_S1C_jS1D_jS1E_S1E_jjS1G_bEUljE0_EEESZ_S10_S11_S18_S1C_S1E_T6_T7_T9_mT8_S1G_bDpT10_ENKUlT_T0_E_clISt17integral_constantIbLb0EES1U_EEDaS1P_S1Q_EUlS1P_E_NS1_11comp_targetILNS1_3genE10ELNS1_11target_archE1200ELNS1_3gpuE4ELNS1_3repE0EEENS1_30default_config_static_selectorELNS0_4arch9wavefront6targetE0EEEvS12_
    .private_segment_fixed_size: 0
    .sgpr_count:     0
    .sgpr_spill_count: 0
    .symbol:         _ZN7rocprim17ROCPRIM_400000_NS6detail17trampoline_kernelINS0_13select_configILj256ELj13ELNS0_17block_load_methodE3ELS4_3ELS4_3ELNS0_20block_scan_algorithmE0ELj4294967295EEENS1_25partition_config_selectorILNS1_17partition_subalgoE4EjNS0_10empty_typeEbEEZZNS1_14partition_implILS8_4ELb0ES6_15HIP_vector_typeIjLj2EENS0_17counting_iteratorIjlEEPS9_SG_NS0_5tupleIJPjSI_NS0_16reverse_iteratorISI_EEEEENSH_IJSG_SG_SG_EEES9_SI_JZNS1_25segmented_radix_sort_implINS0_14default_configELb0EPKaPaPKlPlN2at6native12_GLOBAL__N_18offset_tEEE10hipError_tPvRmT1_PNSt15iterator_traitsIS12_E10value_typeET2_T3_PNS13_IS18_E10value_typeET4_jRbjT5_S1E_jjP12ihipStream_tbEUljE_ZNSN_ISO_Lb0ESQ_SR_ST_SU_SY_EESZ_S10_S11_S12_S16_S17_S18_S1B_S1C_jS1D_jS1E_S1E_jjS1G_bEUljE0_EEESZ_S10_S11_S18_S1C_S1E_T6_T7_T9_mT8_S1G_bDpT10_ENKUlT_T0_E_clISt17integral_constantIbLb0EES1U_EEDaS1P_S1Q_EUlS1P_E_NS1_11comp_targetILNS1_3genE10ELNS1_11target_archE1200ELNS1_3gpuE4ELNS1_3repE0EEENS1_30default_config_static_selectorELNS0_4arch9wavefront6targetE0EEEvS12_.kd
    .uniform_work_group_size: 1
    .uses_dynamic_stack: false
    .vgpr_count:     0
    .vgpr_spill_count: 0
    .wavefront_size: 32
    .workgroup_processor_mode: 1
  - .args:
      - .offset:         0
        .size:           176
        .value_kind:     by_value
    .group_segment_fixed_size: 13340
    .kernarg_segment_align: 8
    .kernarg_segment_size: 176
    .language:       OpenCL C
    .language_version:
      - 2
      - 0
    .max_flat_workgroup_size: 256
    .name:           _ZN7rocprim17ROCPRIM_400000_NS6detail17trampoline_kernelINS0_13select_configILj256ELj13ELNS0_17block_load_methodE3ELS4_3ELS4_3ELNS0_20block_scan_algorithmE0ELj4294967295EEENS1_25partition_config_selectorILNS1_17partition_subalgoE4EjNS0_10empty_typeEbEEZZNS1_14partition_implILS8_4ELb0ES6_15HIP_vector_typeIjLj2EENS0_17counting_iteratorIjlEEPS9_SG_NS0_5tupleIJPjSI_NS0_16reverse_iteratorISI_EEEEENSH_IJSG_SG_SG_EEES9_SI_JZNS1_25segmented_radix_sort_implINS0_14default_configELb0EPKaPaPKlPlN2at6native12_GLOBAL__N_18offset_tEEE10hipError_tPvRmT1_PNSt15iterator_traitsIS12_E10value_typeET2_T3_PNS13_IS18_E10value_typeET4_jRbjT5_S1E_jjP12ihipStream_tbEUljE_ZNSN_ISO_Lb0ESQ_SR_ST_SU_SY_EESZ_S10_S11_S12_S16_S17_S18_S1B_S1C_jS1D_jS1E_S1E_jjS1G_bEUljE0_EEESZ_S10_S11_S18_S1C_S1E_T6_T7_T9_mT8_S1G_bDpT10_ENKUlT_T0_E_clISt17integral_constantIbLb0EES1U_EEDaS1P_S1Q_EUlS1P_E_NS1_11comp_targetILNS1_3genE9ELNS1_11target_archE1100ELNS1_3gpuE3ELNS1_3repE0EEENS1_30default_config_static_selectorELNS0_4arch9wavefront6targetE0EEEvS12_
    .private_segment_fixed_size: 0
    .sgpr_count:     61
    .sgpr_spill_count: 0
    .symbol:         _ZN7rocprim17ROCPRIM_400000_NS6detail17trampoline_kernelINS0_13select_configILj256ELj13ELNS0_17block_load_methodE3ELS4_3ELS4_3ELNS0_20block_scan_algorithmE0ELj4294967295EEENS1_25partition_config_selectorILNS1_17partition_subalgoE4EjNS0_10empty_typeEbEEZZNS1_14partition_implILS8_4ELb0ES6_15HIP_vector_typeIjLj2EENS0_17counting_iteratorIjlEEPS9_SG_NS0_5tupleIJPjSI_NS0_16reverse_iteratorISI_EEEEENSH_IJSG_SG_SG_EEES9_SI_JZNS1_25segmented_radix_sort_implINS0_14default_configELb0EPKaPaPKlPlN2at6native12_GLOBAL__N_18offset_tEEE10hipError_tPvRmT1_PNSt15iterator_traitsIS12_E10value_typeET2_T3_PNS13_IS18_E10value_typeET4_jRbjT5_S1E_jjP12ihipStream_tbEUljE_ZNSN_ISO_Lb0ESQ_SR_ST_SU_SY_EESZ_S10_S11_S12_S16_S17_S18_S1B_S1C_jS1D_jS1E_S1E_jjS1G_bEUljE0_EEESZ_S10_S11_S18_S1C_S1E_T6_T7_T9_mT8_S1G_bDpT10_ENKUlT_T0_E_clISt17integral_constantIbLb0EES1U_EEDaS1P_S1Q_EUlS1P_E_NS1_11comp_targetILNS1_3genE9ELNS1_11target_archE1100ELNS1_3gpuE3ELNS1_3repE0EEENS1_30default_config_static_selectorELNS0_4arch9wavefront6targetE0EEEvS12_.kd
    .uniform_work_group_size: 1
    .uses_dynamic_stack: false
    .vgpr_count:     98
    .vgpr_spill_count: 0
    .wavefront_size: 32
    .workgroup_processor_mode: 1
  - .args:
      - .offset:         0
        .size:           176
        .value_kind:     by_value
    .group_segment_fixed_size: 0
    .kernarg_segment_align: 8
    .kernarg_segment_size: 176
    .language:       OpenCL C
    .language_version:
      - 2
      - 0
    .max_flat_workgroup_size: 256
    .name:           _ZN7rocprim17ROCPRIM_400000_NS6detail17trampoline_kernelINS0_13select_configILj256ELj13ELNS0_17block_load_methodE3ELS4_3ELS4_3ELNS0_20block_scan_algorithmE0ELj4294967295EEENS1_25partition_config_selectorILNS1_17partition_subalgoE4EjNS0_10empty_typeEbEEZZNS1_14partition_implILS8_4ELb0ES6_15HIP_vector_typeIjLj2EENS0_17counting_iteratorIjlEEPS9_SG_NS0_5tupleIJPjSI_NS0_16reverse_iteratorISI_EEEEENSH_IJSG_SG_SG_EEES9_SI_JZNS1_25segmented_radix_sort_implINS0_14default_configELb0EPKaPaPKlPlN2at6native12_GLOBAL__N_18offset_tEEE10hipError_tPvRmT1_PNSt15iterator_traitsIS12_E10value_typeET2_T3_PNS13_IS18_E10value_typeET4_jRbjT5_S1E_jjP12ihipStream_tbEUljE_ZNSN_ISO_Lb0ESQ_SR_ST_SU_SY_EESZ_S10_S11_S12_S16_S17_S18_S1B_S1C_jS1D_jS1E_S1E_jjS1G_bEUljE0_EEESZ_S10_S11_S18_S1C_S1E_T6_T7_T9_mT8_S1G_bDpT10_ENKUlT_T0_E_clISt17integral_constantIbLb0EES1U_EEDaS1P_S1Q_EUlS1P_E_NS1_11comp_targetILNS1_3genE8ELNS1_11target_archE1030ELNS1_3gpuE2ELNS1_3repE0EEENS1_30default_config_static_selectorELNS0_4arch9wavefront6targetE0EEEvS12_
    .private_segment_fixed_size: 0
    .sgpr_count:     0
    .sgpr_spill_count: 0
    .symbol:         _ZN7rocprim17ROCPRIM_400000_NS6detail17trampoline_kernelINS0_13select_configILj256ELj13ELNS0_17block_load_methodE3ELS4_3ELS4_3ELNS0_20block_scan_algorithmE0ELj4294967295EEENS1_25partition_config_selectorILNS1_17partition_subalgoE4EjNS0_10empty_typeEbEEZZNS1_14partition_implILS8_4ELb0ES6_15HIP_vector_typeIjLj2EENS0_17counting_iteratorIjlEEPS9_SG_NS0_5tupleIJPjSI_NS0_16reverse_iteratorISI_EEEEENSH_IJSG_SG_SG_EEES9_SI_JZNS1_25segmented_radix_sort_implINS0_14default_configELb0EPKaPaPKlPlN2at6native12_GLOBAL__N_18offset_tEEE10hipError_tPvRmT1_PNSt15iterator_traitsIS12_E10value_typeET2_T3_PNS13_IS18_E10value_typeET4_jRbjT5_S1E_jjP12ihipStream_tbEUljE_ZNSN_ISO_Lb0ESQ_SR_ST_SU_SY_EESZ_S10_S11_S12_S16_S17_S18_S1B_S1C_jS1D_jS1E_S1E_jjS1G_bEUljE0_EEESZ_S10_S11_S18_S1C_S1E_T6_T7_T9_mT8_S1G_bDpT10_ENKUlT_T0_E_clISt17integral_constantIbLb0EES1U_EEDaS1P_S1Q_EUlS1P_E_NS1_11comp_targetILNS1_3genE8ELNS1_11target_archE1030ELNS1_3gpuE2ELNS1_3repE0EEENS1_30default_config_static_selectorELNS0_4arch9wavefront6targetE0EEEvS12_.kd
    .uniform_work_group_size: 1
    .uses_dynamic_stack: false
    .vgpr_count:     0
    .vgpr_spill_count: 0
    .wavefront_size: 32
    .workgroup_processor_mode: 1
  - .args:
      - .offset:         0
        .size:           184
        .value_kind:     by_value
    .group_segment_fixed_size: 0
    .kernarg_segment_align: 8
    .kernarg_segment_size: 184
    .language:       OpenCL C
    .language_version:
      - 2
      - 0
    .max_flat_workgroup_size: 256
    .name:           _ZN7rocprim17ROCPRIM_400000_NS6detail17trampoline_kernelINS0_13select_configILj256ELj13ELNS0_17block_load_methodE3ELS4_3ELS4_3ELNS0_20block_scan_algorithmE0ELj4294967295EEENS1_25partition_config_selectorILNS1_17partition_subalgoE4EjNS0_10empty_typeEbEEZZNS1_14partition_implILS8_4ELb0ES6_15HIP_vector_typeIjLj2EENS0_17counting_iteratorIjlEEPS9_SG_NS0_5tupleIJPjSI_NS0_16reverse_iteratorISI_EEEEENSH_IJSG_SG_SG_EEES9_SI_JZNS1_25segmented_radix_sort_implINS0_14default_configELb0EPKaPaPKlPlN2at6native12_GLOBAL__N_18offset_tEEE10hipError_tPvRmT1_PNSt15iterator_traitsIS12_E10value_typeET2_T3_PNS13_IS18_E10value_typeET4_jRbjT5_S1E_jjP12ihipStream_tbEUljE_ZNSN_ISO_Lb0ESQ_SR_ST_SU_SY_EESZ_S10_S11_S12_S16_S17_S18_S1B_S1C_jS1D_jS1E_S1E_jjS1G_bEUljE0_EEESZ_S10_S11_S18_S1C_S1E_T6_T7_T9_mT8_S1G_bDpT10_ENKUlT_T0_E_clISt17integral_constantIbLb1EES1U_EEDaS1P_S1Q_EUlS1P_E_NS1_11comp_targetILNS1_3genE0ELNS1_11target_archE4294967295ELNS1_3gpuE0ELNS1_3repE0EEENS1_30default_config_static_selectorELNS0_4arch9wavefront6targetE0EEEvS12_
    .private_segment_fixed_size: 0
    .sgpr_count:     0
    .sgpr_spill_count: 0
    .symbol:         _ZN7rocprim17ROCPRIM_400000_NS6detail17trampoline_kernelINS0_13select_configILj256ELj13ELNS0_17block_load_methodE3ELS4_3ELS4_3ELNS0_20block_scan_algorithmE0ELj4294967295EEENS1_25partition_config_selectorILNS1_17partition_subalgoE4EjNS0_10empty_typeEbEEZZNS1_14partition_implILS8_4ELb0ES6_15HIP_vector_typeIjLj2EENS0_17counting_iteratorIjlEEPS9_SG_NS0_5tupleIJPjSI_NS0_16reverse_iteratorISI_EEEEENSH_IJSG_SG_SG_EEES9_SI_JZNS1_25segmented_radix_sort_implINS0_14default_configELb0EPKaPaPKlPlN2at6native12_GLOBAL__N_18offset_tEEE10hipError_tPvRmT1_PNSt15iterator_traitsIS12_E10value_typeET2_T3_PNS13_IS18_E10value_typeET4_jRbjT5_S1E_jjP12ihipStream_tbEUljE_ZNSN_ISO_Lb0ESQ_SR_ST_SU_SY_EESZ_S10_S11_S12_S16_S17_S18_S1B_S1C_jS1D_jS1E_S1E_jjS1G_bEUljE0_EEESZ_S10_S11_S18_S1C_S1E_T6_T7_T9_mT8_S1G_bDpT10_ENKUlT_T0_E_clISt17integral_constantIbLb1EES1U_EEDaS1P_S1Q_EUlS1P_E_NS1_11comp_targetILNS1_3genE0ELNS1_11target_archE4294967295ELNS1_3gpuE0ELNS1_3repE0EEENS1_30default_config_static_selectorELNS0_4arch9wavefront6targetE0EEEvS12_.kd
    .uniform_work_group_size: 1
    .uses_dynamic_stack: false
    .vgpr_count:     0
    .vgpr_spill_count: 0
    .wavefront_size: 32
    .workgroup_processor_mode: 1
  - .args:
      - .offset:         0
        .size:           184
        .value_kind:     by_value
    .group_segment_fixed_size: 0
    .kernarg_segment_align: 8
    .kernarg_segment_size: 184
    .language:       OpenCL C
    .language_version:
      - 2
      - 0
    .max_flat_workgroup_size: 256
    .name:           _ZN7rocprim17ROCPRIM_400000_NS6detail17trampoline_kernelINS0_13select_configILj256ELj13ELNS0_17block_load_methodE3ELS4_3ELS4_3ELNS0_20block_scan_algorithmE0ELj4294967295EEENS1_25partition_config_selectorILNS1_17partition_subalgoE4EjNS0_10empty_typeEbEEZZNS1_14partition_implILS8_4ELb0ES6_15HIP_vector_typeIjLj2EENS0_17counting_iteratorIjlEEPS9_SG_NS0_5tupleIJPjSI_NS0_16reverse_iteratorISI_EEEEENSH_IJSG_SG_SG_EEES9_SI_JZNS1_25segmented_radix_sort_implINS0_14default_configELb0EPKaPaPKlPlN2at6native12_GLOBAL__N_18offset_tEEE10hipError_tPvRmT1_PNSt15iterator_traitsIS12_E10value_typeET2_T3_PNS13_IS18_E10value_typeET4_jRbjT5_S1E_jjP12ihipStream_tbEUljE_ZNSN_ISO_Lb0ESQ_SR_ST_SU_SY_EESZ_S10_S11_S12_S16_S17_S18_S1B_S1C_jS1D_jS1E_S1E_jjS1G_bEUljE0_EEESZ_S10_S11_S18_S1C_S1E_T6_T7_T9_mT8_S1G_bDpT10_ENKUlT_T0_E_clISt17integral_constantIbLb1EES1U_EEDaS1P_S1Q_EUlS1P_E_NS1_11comp_targetILNS1_3genE5ELNS1_11target_archE942ELNS1_3gpuE9ELNS1_3repE0EEENS1_30default_config_static_selectorELNS0_4arch9wavefront6targetE0EEEvS12_
    .private_segment_fixed_size: 0
    .sgpr_count:     0
    .sgpr_spill_count: 0
    .symbol:         _ZN7rocprim17ROCPRIM_400000_NS6detail17trampoline_kernelINS0_13select_configILj256ELj13ELNS0_17block_load_methodE3ELS4_3ELS4_3ELNS0_20block_scan_algorithmE0ELj4294967295EEENS1_25partition_config_selectorILNS1_17partition_subalgoE4EjNS0_10empty_typeEbEEZZNS1_14partition_implILS8_4ELb0ES6_15HIP_vector_typeIjLj2EENS0_17counting_iteratorIjlEEPS9_SG_NS0_5tupleIJPjSI_NS0_16reverse_iteratorISI_EEEEENSH_IJSG_SG_SG_EEES9_SI_JZNS1_25segmented_radix_sort_implINS0_14default_configELb0EPKaPaPKlPlN2at6native12_GLOBAL__N_18offset_tEEE10hipError_tPvRmT1_PNSt15iterator_traitsIS12_E10value_typeET2_T3_PNS13_IS18_E10value_typeET4_jRbjT5_S1E_jjP12ihipStream_tbEUljE_ZNSN_ISO_Lb0ESQ_SR_ST_SU_SY_EESZ_S10_S11_S12_S16_S17_S18_S1B_S1C_jS1D_jS1E_S1E_jjS1G_bEUljE0_EEESZ_S10_S11_S18_S1C_S1E_T6_T7_T9_mT8_S1G_bDpT10_ENKUlT_T0_E_clISt17integral_constantIbLb1EES1U_EEDaS1P_S1Q_EUlS1P_E_NS1_11comp_targetILNS1_3genE5ELNS1_11target_archE942ELNS1_3gpuE9ELNS1_3repE0EEENS1_30default_config_static_selectorELNS0_4arch9wavefront6targetE0EEEvS12_.kd
    .uniform_work_group_size: 1
    .uses_dynamic_stack: false
    .vgpr_count:     0
    .vgpr_spill_count: 0
    .wavefront_size: 32
    .workgroup_processor_mode: 1
  - .args:
      - .offset:         0
        .size:           184
        .value_kind:     by_value
    .group_segment_fixed_size: 0
    .kernarg_segment_align: 8
    .kernarg_segment_size: 184
    .language:       OpenCL C
    .language_version:
      - 2
      - 0
    .max_flat_workgroup_size: 256
    .name:           _ZN7rocprim17ROCPRIM_400000_NS6detail17trampoline_kernelINS0_13select_configILj256ELj13ELNS0_17block_load_methodE3ELS4_3ELS4_3ELNS0_20block_scan_algorithmE0ELj4294967295EEENS1_25partition_config_selectorILNS1_17partition_subalgoE4EjNS0_10empty_typeEbEEZZNS1_14partition_implILS8_4ELb0ES6_15HIP_vector_typeIjLj2EENS0_17counting_iteratorIjlEEPS9_SG_NS0_5tupleIJPjSI_NS0_16reverse_iteratorISI_EEEEENSH_IJSG_SG_SG_EEES9_SI_JZNS1_25segmented_radix_sort_implINS0_14default_configELb0EPKaPaPKlPlN2at6native12_GLOBAL__N_18offset_tEEE10hipError_tPvRmT1_PNSt15iterator_traitsIS12_E10value_typeET2_T3_PNS13_IS18_E10value_typeET4_jRbjT5_S1E_jjP12ihipStream_tbEUljE_ZNSN_ISO_Lb0ESQ_SR_ST_SU_SY_EESZ_S10_S11_S12_S16_S17_S18_S1B_S1C_jS1D_jS1E_S1E_jjS1G_bEUljE0_EEESZ_S10_S11_S18_S1C_S1E_T6_T7_T9_mT8_S1G_bDpT10_ENKUlT_T0_E_clISt17integral_constantIbLb1EES1U_EEDaS1P_S1Q_EUlS1P_E_NS1_11comp_targetILNS1_3genE4ELNS1_11target_archE910ELNS1_3gpuE8ELNS1_3repE0EEENS1_30default_config_static_selectorELNS0_4arch9wavefront6targetE0EEEvS12_
    .private_segment_fixed_size: 0
    .sgpr_count:     0
    .sgpr_spill_count: 0
    .symbol:         _ZN7rocprim17ROCPRIM_400000_NS6detail17trampoline_kernelINS0_13select_configILj256ELj13ELNS0_17block_load_methodE3ELS4_3ELS4_3ELNS0_20block_scan_algorithmE0ELj4294967295EEENS1_25partition_config_selectorILNS1_17partition_subalgoE4EjNS0_10empty_typeEbEEZZNS1_14partition_implILS8_4ELb0ES6_15HIP_vector_typeIjLj2EENS0_17counting_iteratorIjlEEPS9_SG_NS0_5tupleIJPjSI_NS0_16reverse_iteratorISI_EEEEENSH_IJSG_SG_SG_EEES9_SI_JZNS1_25segmented_radix_sort_implINS0_14default_configELb0EPKaPaPKlPlN2at6native12_GLOBAL__N_18offset_tEEE10hipError_tPvRmT1_PNSt15iterator_traitsIS12_E10value_typeET2_T3_PNS13_IS18_E10value_typeET4_jRbjT5_S1E_jjP12ihipStream_tbEUljE_ZNSN_ISO_Lb0ESQ_SR_ST_SU_SY_EESZ_S10_S11_S12_S16_S17_S18_S1B_S1C_jS1D_jS1E_S1E_jjS1G_bEUljE0_EEESZ_S10_S11_S18_S1C_S1E_T6_T7_T9_mT8_S1G_bDpT10_ENKUlT_T0_E_clISt17integral_constantIbLb1EES1U_EEDaS1P_S1Q_EUlS1P_E_NS1_11comp_targetILNS1_3genE4ELNS1_11target_archE910ELNS1_3gpuE8ELNS1_3repE0EEENS1_30default_config_static_selectorELNS0_4arch9wavefront6targetE0EEEvS12_.kd
    .uniform_work_group_size: 1
    .uses_dynamic_stack: false
    .vgpr_count:     0
    .vgpr_spill_count: 0
    .wavefront_size: 32
    .workgroup_processor_mode: 1
  - .args:
      - .offset:         0
        .size:           184
        .value_kind:     by_value
    .group_segment_fixed_size: 0
    .kernarg_segment_align: 8
    .kernarg_segment_size: 184
    .language:       OpenCL C
    .language_version:
      - 2
      - 0
    .max_flat_workgroup_size: 256
    .name:           _ZN7rocprim17ROCPRIM_400000_NS6detail17trampoline_kernelINS0_13select_configILj256ELj13ELNS0_17block_load_methodE3ELS4_3ELS4_3ELNS0_20block_scan_algorithmE0ELj4294967295EEENS1_25partition_config_selectorILNS1_17partition_subalgoE4EjNS0_10empty_typeEbEEZZNS1_14partition_implILS8_4ELb0ES6_15HIP_vector_typeIjLj2EENS0_17counting_iteratorIjlEEPS9_SG_NS0_5tupleIJPjSI_NS0_16reverse_iteratorISI_EEEEENSH_IJSG_SG_SG_EEES9_SI_JZNS1_25segmented_radix_sort_implINS0_14default_configELb0EPKaPaPKlPlN2at6native12_GLOBAL__N_18offset_tEEE10hipError_tPvRmT1_PNSt15iterator_traitsIS12_E10value_typeET2_T3_PNS13_IS18_E10value_typeET4_jRbjT5_S1E_jjP12ihipStream_tbEUljE_ZNSN_ISO_Lb0ESQ_SR_ST_SU_SY_EESZ_S10_S11_S12_S16_S17_S18_S1B_S1C_jS1D_jS1E_S1E_jjS1G_bEUljE0_EEESZ_S10_S11_S18_S1C_S1E_T6_T7_T9_mT8_S1G_bDpT10_ENKUlT_T0_E_clISt17integral_constantIbLb1EES1U_EEDaS1P_S1Q_EUlS1P_E_NS1_11comp_targetILNS1_3genE3ELNS1_11target_archE908ELNS1_3gpuE7ELNS1_3repE0EEENS1_30default_config_static_selectorELNS0_4arch9wavefront6targetE0EEEvS12_
    .private_segment_fixed_size: 0
    .sgpr_count:     0
    .sgpr_spill_count: 0
    .symbol:         _ZN7rocprim17ROCPRIM_400000_NS6detail17trampoline_kernelINS0_13select_configILj256ELj13ELNS0_17block_load_methodE3ELS4_3ELS4_3ELNS0_20block_scan_algorithmE0ELj4294967295EEENS1_25partition_config_selectorILNS1_17partition_subalgoE4EjNS0_10empty_typeEbEEZZNS1_14partition_implILS8_4ELb0ES6_15HIP_vector_typeIjLj2EENS0_17counting_iteratorIjlEEPS9_SG_NS0_5tupleIJPjSI_NS0_16reverse_iteratorISI_EEEEENSH_IJSG_SG_SG_EEES9_SI_JZNS1_25segmented_radix_sort_implINS0_14default_configELb0EPKaPaPKlPlN2at6native12_GLOBAL__N_18offset_tEEE10hipError_tPvRmT1_PNSt15iterator_traitsIS12_E10value_typeET2_T3_PNS13_IS18_E10value_typeET4_jRbjT5_S1E_jjP12ihipStream_tbEUljE_ZNSN_ISO_Lb0ESQ_SR_ST_SU_SY_EESZ_S10_S11_S12_S16_S17_S18_S1B_S1C_jS1D_jS1E_S1E_jjS1G_bEUljE0_EEESZ_S10_S11_S18_S1C_S1E_T6_T7_T9_mT8_S1G_bDpT10_ENKUlT_T0_E_clISt17integral_constantIbLb1EES1U_EEDaS1P_S1Q_EUlS1P_E_NS1_11comp_targetILNS1_3genE3ELNS1_11target_archE908ELNS1_3gpuE7ELNS1_3repE0EEENS1_30default_config_static_selectorELNS0_4arch9wavefront6targetE0EEEvS12_.kd
    .uniform_work_group_size: 1
    .uses_dynamic_stack: false
    .vgpr_count:     0
    .vgpr_spill_count: 0
    .wavefront_size: 32
    .workgroup_processor_mode: 1
  - .args:
      - .offset:         0
        .size:           184
        .value_kind:     by_value
    .group_segment_fixed_size: 0
    .kernarg_segment_align: 8
    .kernarg_segment_size: 184
    .language:       OpenCL C
    .language_version:
      - 2
      - 0
    .max_flat_workgroup_size: 256
    .name:           _ZN7rocprim17ROCPRIM_400000_NS6detail17trampoline_kernelINS0_13select_configILj256ELj13ELNS0_17block_load_methodE3ELS4_3ELS4_3ELNS0_20block_scan_algorithmE0ELj4294967295EEENS1_25partition_config_selectorILNS1_17partition_subalgoE4EjNS0_10empty_typeEbEEZZNS1_14partition_implILS8_4ELb0ES6_15HIP_vector_typeIjLj2EENS0_17counting_iteratorIjlEEPS9_SG_NS0_5tupleIJPjSI_NS0_16reverse_iteratorISI_EEEEENSH_IJSG_SG_SG_EEES9_SI_JZNS1_25segmented_radix_sort_implINS0_14default_configELb0EPKaPaPKlPlN2at6native12_GLOBAL__N_18offset_tEEE10hipError_tPvRmT1_PNSt15iterator_traitsIS12_E10value_typeET2_T3_PNS13_IS18_E10value_typeET4_jRbjT5_S1E_jjP12ihipStream_tbEUljE_ZNSN_ISO_Lb0ESQ_SR_ST_SU_SY_EESZ_S10_S11_S12_S16_S17_S18_S1B_S1C_jS1D_jS1E_S1E_jjS1G_bEUljE0_EEESZ_S10_S11_S18_S1C_S1E_T6_T7_T9_mT8_S1G_bDpT10_ENKUlT_T0_E_clISt17integral_constantIbLb1EES1U_EEDaS1P_S1Q_EUlS1P_E_NS1_11comp_targetILNS1_3genE2ELNS1_11target_archE906ELNS1_3gpuE6ELNS1_3repE0EEENS1_30default_config_static_selectorELNS0_4arch9wavefront6targetE0EEEvS12_
    .private_segment_fixed_size: 0
    .sgpr_count:     0
    .sgpr_spill_count: 0
    .symbol:         _ZN7rocprim17ROCPRIM_400000_NS6detail17trampoline_kernelINS0_13select_configILj256ELj13ELNS0_17block_load_methodE3ELS4_3ELS4_3ELNS0_20block_scan_algorithmE0ELj4294967295EEENS1_25partition_config_selectorILNS1_17partition_subalgoE4EjNS0_10empty_typeEbEEZZNS1_14partition_implILS8_4ELb0ES6_15HIP_vector_typeIjLj2EENS0_17counting_iteratorIjlEEPS9_SG_NS0_5tupleIJPjSI_NS0_16reverse_iteratorISI_EEEEENSH_IJSG_SG_SG_EEES9_SI_JZNS1_25segmented_radix_sort_implINS0_14default_configELb0EPKaPaPKlPlN2at6native12_GLOBAL__N_18offset_tEEE10hipError_tPvRmT1_PNSt15iterator_traitsIS12_E10value_typeET2_T3_PNS13_IS18_E10value_typeET4_jRbjT5_S1E_jjP12ihipStream_tbEUljE_ZNSN_ISO_Lb0ESQ_SR_ST_SU_SY_EESZ_S10_S11_S12_S16_S17_S18_S1B_S1C_jS1D_jS1E_S1E_jjS1G_bEUljE0_EEESZ_S10_S11_S18_S1C_S1E_T6_T7_T9_mT8_S1G_bDpT10_ENKUlT_T0_E_clISt17integral_constantIbLb1EES1U_EEDaS1P_S1Q_EUlS1P_E_NS1_11comp_targetILNS1_3genE2ELNS1_11target_archE906ELNS1_3gpuE6ELNS1_3repE0EEENS1_30default_config_static_selectorELNS0_4arch9wavefront6targetE0EEEvS12_.kd
    .uniform_work_group_size: 1
    .uses_dynamic_stack: false
    .vgpr_count:     0
    .vgpr_spill_count: 0
    .wavefront_size: 32
    .workgroup_processor_mode: 1
  - .args:
      - .offset:         0
        .size:           184
        .value_kind:     by_value
    .group_segment_fixed_size: 0
    .kernarg_segment_align: 8
    .kernarg_segment_size: 184
    .language:       OpenCL C
    .language_version:
      - 2
      - 0
    .max_flat_workgroup_size: 256
    .name:           _ZN7rocprim17ROCPRIM_400000_NS6detail17trampoline_kernelINS0_13select_configILj256ELj13ELNS0_17block_load_methodE3ELS4_3ELS4_3ELNS0_20block_scan_algorithmE0ELj4294967295EEENS1_25partition_config_selectorILNS1_17partition_subalgoE4EjNS0_10empty_typeEbEEZZNS1_14partition_implILS8_4ELb0ES6_15HIP_vector_typeIjLj2EENS0_17counting_iteratorIjlEEPS9_SG_NS0_5tupleIJPjSI_NS0_16reverse_iteratorISI_EEEEENSH_IJSG_SG_SG_EEES9_SI_JZNS1_25segmented_radix_sort_implINS0_14default_configELb0EPKaPaPKlPlN2at6native12_GLOBAL__N_18offset_tEEE10hipError_tPvRmT1_PNSt15iterator_traitsIS12_E10value_typeET2_T3_PNS13_IS18_E10value_typeET4_jRbjT5_S1E_jjP12ihipStream_tbEUljE_ZNSN_ISO_Lb0ESQ_SR_ST_SU_SY_EESZ_S10_S11_S12_S16_S17_S18_S1B_S1C_jS1D_jS1E_S1E_jjS1G_bEUljE0_EEESZ_S10_S11_S18_S1C_S1E_T6_T7_T9_mT8_S1G_bDpT10_ENKUlT_T0_E_clISt17integral_constantIbLb1EES1U_EEDaS1P_S1Q_EUlS1P_E_NS1_11comp_targetILNS1_3genE10ELNS1_11target_archE1200ELNS1_3gpuE4ELNS1_3repE0EEENS1_30default_config_static_selectorELNS0_4arch9wavefront6targetE0EEEvS12_
    .private_segment_fixed_size: 0
    .sgpr_count:     0
    .sgpr_spill_count: 0
    .symbol:         _ZN7rocprim17ROCPRIM_400000_NS6detail17trampoline_kernelINS0_13select_configILj256ELj13ELNS0_17block_load_methodE3ELS4_3ELS4_3ELNS0_20block_scan_algorithmE0ELj4294967295EEENS1_25partition_config_selectorILNS1_17partition_subalgoE4EjNS0_10empty_typeEbEEZZNS1_14partition_implILS8_4ELb0ES6_15HIP_vector_typeIjLj2EENS0_17counting_iteratorIjlEEPS9_SG_NS0_5tupleIJPjSI_NS0_16reverse_iteratorISI_EEEEENSH_IJSG_SG_SG_EEES9_SI_JZNS1_25segmented_radix_sort_implINS0_14default_configELb0EPKaPaPKlPlN2at6native12_GLOBAL__N_18offset_tEEE10hipError_tPvRmT1_PNSt15iterator_traitsIS12_E10value_typeET2_T3_PNS13_IS18_E10value_typeET4_jRbjT5_S1E_jjP12ihipStream_tbEUljE_ZNSN_ISO_Lb0ESQ_SR_ST_SU_SY_EESZ_S10_S11_S12_S16_S17_S18_S1B_S1C_jS1D_jS1E_S1E_jjS1G_bEUljE0_EEESZ_S10_S11_S18_S1C_S1E_T6_T7_T9_mT8_S1G_bDpT10_ENKUlT_T0_E_clISt17integral_constantIbLb1EES1U_EEDaS1P_S1Q_EUlS1P_E_NS1_11comp_targetILNS1_3genE10ELNS1_11target_archE1200ELNS1_3gpuE4ELNS1_3repE0EEENS1_30default_config_static_selectorELNS0_4arch9wavefront6targetE0EEEvS12_.kd
    .uniform_work_group_size: 1
    .uses_dynamic_stack: false
    .vgpr_count:     0
    .vgpr_spill_count: 0
    .wavefront_size: 32
    .workgroup_processor_mode: 1
  - .args:
      - .offset:         0
        .size:           184
        .value_kind:     by_value
    .group_segment_fixed_size: 13340
    .kernarg_segment_align: 8
    .kernarg_segment_size: 184
    .language:       OpenCL C
    .language_version:
      - 2
      - 0
    .max_flat_workgroup_size: 256
    .name:           _ZN7rocprim17ROCPRIM_400000_NS6detail17trampoline_kernelINS0_13select_configILj256ELj13ELNS0_17block_load_methodE3ELS4_3ELS4_3ELNS0_20block_scan_algorithmE0ELj4294967295EEENS1_25partition_config_selectorILNS1_17partition_subalgoE4EjNS0_10empty_typeEbEEZZNS1_14partition_implILS8_4ELb0ES6_15HIP_vector_typeIjLj2EENS0_17counting_iteratorIjlEEPS9_SG_NS0_5tupleIJPjSI_NS0_16reverse_iteratorISI_EEEEENSH_IJSG_SG_SG_EEES9_SI_JZNS1_25segmented_radix_sort_implINS0_14default_configELb0EPKaPaPKlPlN2at6native12_GLOBAL__N_18offset_tEEE10hipError_tPvRmT1_PNSt15iterator_traitsIS12_E10value_typeET2_T3_PNS13_IS18_E10value_typeET4_jRbjT5_S1E_jjP12ihipStream_tbEUljE_ZNSN_ISO_Lb0ESQ_SR_ST_SU_SY_EESZ_S10_S11_S12_S16_S17_S18_S1B_S1C_jS1D_jS1E_S1E_jjS1G_bEUljE0_EEESZ_S10_S11_S18_S1C_S1E_T6_T7_T9_mT8_S1G_bDpT10_ENKUlT_T0_E_clISt17integral_constantIbLb1EES1U_EEDaS1P_S1Q_EUlS1P_E_NS1_11comp_targetILNS1_3genE9ELNS1_11target_archE1100ELNS1_3gpuE3ELNS1_3repE0EEENS1_30default_config_static_selectorELNS0_4arch9wavefront6targetE0EEEvS12_
    .private_segment_fixed_size: 0
    .sgpr_count:     57
    .sgpr_spill_count: 0
    .symbol:         _ZN7rocprim17ROCPRIM_400000_NS6detail17trampoline_kernelINS0_13select_configILj256ELj13ELNS0_17block_load_methodE3ELS4_3ELS4_3ELNS0_20block_scan_algorithmE0ELj4294967295EEENS1_25partition_config_selectorILNS1_17partition_subalgoE4EjNS0_10empty_typeEbEEZZNS1_14partition_implILS8_4ELb0ES6_15HIP_vector_typeIjLj2EENS0_17counting_iteratorIjlEEPS9_SG_NS0_5tupleIJPjSI_NS0_16reverse_iteratorISI_EEEEENSH_IJSG_SG_SG_EEES9_SI_JZNS1_25segmented_radix_sort_implINS0_14default_configELb0EPKaPaPKlPlN2at6native12_GLOBAL__N_18offset_tEEE10hipError_tPvRmT1_PNSt15iterator_traitsIS12_E10value_typeET2_T3_PNS13_IS18_E10value_typeET4_jRbjT5_S1E_jjP12ihipStream_tbEUljE_ZNSN_ISO_Lb0ESQ_SR_ST_SU_SY_EESZ_S10_S11_S12_S16_S17_S18_S1B_S1C_jS1D_jS1E_S1E_jjS1G_bEUljE0_EEESZ_S10_S11_S18_S1C_S1E_T6_T7_T9_mT8_S1G_bDpT10_ENKUlT_T0_E_clISt17integral_constantIbLb1EES1U_EEDaS1P_S1Q_EUlS1P_E_NS1_11comp_targetILNS1_3genE9ELNS1_11target_archE1100ELNS1_3gpuE3ELNS1_3repE0EEENS1_30default_config_static_selectorELNS0_4arch9wavefront6targetE0EEEvS12_.kd
    .uniform_work_group_size: 1
    .uses_dynamic_stack: false
    .vgpr_count:     103
    .vgpr_spill_count: 0
    .wavefront_size: 32
    .workgroup_processor_mode: 1
  - .args:
      - .offset:         0
        .size:           184
        .value_kind:     by_value
    .group_segment_fixed_size: 0
    .kernarg_segment_align: 8
    .kernarg_segment_size: 184
    .language:       OpenCL C
    .language_version:
      - 2
      - 0
    .max_flat_workgroup_size: 256
    .name:           _ZN7rocprim17ROCPRIM_400000_NS6detail17trampoline_kernelINS0_13select_configILj256ELj13ELNS0_17block_load_methodE3ELS4_3ELS4_3ELNS0_20block_scan_algorithmE0ELj4294967295EEENS1_25partition_config_selectorILNS1_17partition_subalgoE4EjNS0_10empty_typeEbEEZZNS1_14partition_implILS8_4ELb0ES6_15HIP_vector_typeIjLj2EENS0_17counting_iteratorIjlEEPS9_SG_NS0_5tupleIJPjSI_NS0_16reverse_iteratorISI_EEEEENSH_IJSG_SG_SG_EEES9_SI_JZNS1_25segmented_radix_sort_implINS0_14default_configELb0EPKaPaPKlPlN2at6native12_GLOBAL__N_18offset_tEEE10hipError_tPvRmT1_PNSt15iterator_traitsIS12_E10value_typeET2_T3_PNS13_IS18_E10value_typeET4_jRbjT5_S1E_jjP12ihipStream_tbEUljE_ZNSN_ISO_Lb0ESQ_SR_ST_SU_SY_EESZ_S10_S11_S12_S16_S17_S18_S1B_S1C_jS1D_jS1E_S1E_jjS1G_bEUljE0_EEESZ_S10_S11_S18_S1C_S1E_T6_T7_T9_mT8_S1G_bDpT10_ENKUlT_T0_E_clISt17integral_constantIbLb1EES1U_EEDaS1P_S1Q_EUlS1P_E_NS1_11comp_targetILNS1_3genE8ELNS1_11target_archE1030ELNS1_3gpuE2ELNS1_3repE0EEENS1_30default_config_static_selectorELNS0_4arch9wavefront6targetE0EEEvS12_
    .private_segment_fixed_size: 0
    .sgpr_count:     0
    .sgpr_spill_count: 0
    .symbol:         _ZN7rocprim17ROCPRIM_400000_NS6detail17trampoline_kernelINS0_13select_configILj256ELj13ELNS0_17block_load_methodE3ELS4_3ELS4_3ELNS0_20block_scan_algorithmE0ELj4294967295EEENS1_25partition_config_selectorILNS1_17partition_subalgoE4EjNS0_10empty_typeEbEEZZNS1_14partition_implILS8_4ELb0ES6_15HIP_vector_typeIjLj2EENS0_17counting_iteratorIjlEEPS9_SG_NS0_5tupleIJPjSI_NS0_16reverse_iteratorISI_EEEEENSH_IJSG_SG_SG_EEES9_SI_JZNS1_25segmented_radix_sort_implINS0_14default_configELb0EPKaPaPKlPlN2at6native12_GLOBAL__N_18offset_tEEE10hipError_tPvRmT1_PNSt15iterator_traitsIS12_E10value_typeET2_T3_PNS13_IS18_E10value_typeET4_jRbjT5_S1E_jjP12ihipStream_tbEUljE_ZNSN_ISO_Lb0ESQ_SR_ST_SU_SY_EESZ_S10_S11_S12_S16_S17_S18_S1B_S1C_jS1D_jS1E_S1E_jjS1G_bEUljE0_EEESZ_S10_S11_S18_S1C_S1E_T6_T7_T9_mT8_S1G_bDpT10_ENKUlT_T0_E_clISt17integral_constantIbLb1EES1U_EEDaS1P_S1Q_EUlS1P_E_NS1_11comp_targetILNS1_3genE8ELNS1_11target_archE1030ELNS1_3gpuE2ELNS1_3repE0EEENS1_30default_config_static_selectorELNS0_4arch9wavefront6targetE0EEEvS12_.kd
    .uniform_work_group_size: 1
    .uses_dynamic_stack: false
    .vgpr_count:     0
    .vgpr_spill_count: 0
    .wavefront_size: 32
    .workgroup_processor_mode: 1
  - .args:
      - .offset:         0
        .size:           176
        .value_kind:     by_value
    .group_segment_fixed_size: 0
    .kernarg_segment_align: 8
    .kernarg_segment_size: 176
    .language:       OpenCL C
    .language_version:
      - 2
      - 0
    .max_flat_workgroup_size: 256
    .name:           _ZN7rocprim17ROCPRIM_400000_NS6detail17trampoline_kernelINS0_13select_configILj256ELj13ELNS0_17block_load_methodE3ELS4_3ELS4_3ELNS0_20block_scan_algorithmE0ELj4294967295EEENS1_25partition_config_selectorILNS1_17partition_subalgoE4EjNS0_10empty_typeEbEEZZNS1_14partition_implILS8_4ELb0ES6_15HIP_vector_typeIjLj2EENS0_17counting_iteratorIjlEEPS9_SG_NS0_5tupleIJPjSI_NS0_16reverse_iteratorISI_EEEEENSH_IJSG_SG_SG_EEES9_SI_JZNS1_25segmented_radix_sort_implINS0_14default_configELb0EPKaPaPKlPlN2at6native12_GLOBAL__N_18offset_tEEE10hipError_tPvRmT1_PNSt15iterator_traitsIS12_E10value_typeET2_T3_PNS13_IS18_E10value_typeET4_jRbjT5_S1E_jjP12ihipStream_tbEUljE_ZNSN_ISO_Lb0ESQ_SR_ST_SU_SY_EESZ_S10_S11_S12_S16_S17_S18_S1B_S1C_jS1D_jS1E_S1E_jjS1G_bEUljE0_EEESZ_S10_S11_S18_S1C_S1E_T6_T7_T9_mT8_S1G_bDpT10_ENKUlT_T0_E_clISt17integral_constantIbLb1EES1T_IbLb0EEEEDaS1P_S1Q_EUlS1P_E_NS1_11comp_targetILNS1_3genE0ELNS1_11target_archE4294967295ELNS1_3gpuE0ELNS1_3repE0EEENS1_30default_config_static_selectorELNS0_4arch9wavefront6targetE0EEEvS12_
    .private_segment_fixed_size: 0
    .sgpr_count:     0
    .sgpr_spill_count: 0
    .symbol:         _ZN7rocprim17ROCPRIM_400000_NS6detail17trampoline_kernelINS0_13select_configILj256ELj13ELNS0_17block_load_methodE3ELS4_3ELS4_3ELNS0_20block_scan_algorithmE0ELj4294967295EEENS1_25partition_config_selectorILNS1_17partition_subalgoE4EjNS0_10empty_typeEbEEZZNS1_14partition_implILS8_4ELb0ES6_15HIP_vector_typeIjLj2EENS0_17counting_iteratorIjlEEPS9_SG_NS0_5tupleIJPjSI_NS0_16reverse_iteratorISI_EEEEENSH_IJSG_SG_SG_EEES9_SI_JZNS1_25segmented_radix_sort_implINS0_14default_configELb0EPKaPaPKlPlN2at6native12_GLOBAL__N_18offset_tEEE10hipError_tPvRmT1_PNSt15iterator_traitsIS12_E10value_typeET2_T3_PNS13_IS18_E10value_typeET4_jRbjT5_S1E_jjP12ihipStream_tbEUljE_ZNSN_ISO_Lb0ESQ_SR_ST_SU_SY_EESZ_S10_S11_S12_S16_S17_S18_S1B_S1C_jS1D_jS1E_S1E_jjS1G_bEUljE0_EEESZ_S10_S11_S18_S1C_S1E_T6_T7_T9_mT8_S1G_bDpT10_ENKUlT_T0_E_clISt17integral_constantIbLb1EES1T_IbLb0EEEEDaS1P_S1Q_EUlS1P_E_NS1_11comp_targetILNS1_3genE0ELNS1_11target_archE4294967295ELNS1_3gpuE0ELNS1_3repE0EEENS1_30default_config_static_selectorELNS0_4arch9wavefront6targetE0EEEvS12_.kd
    .uniform_work_group_size: 1
    .uses_dynamic_stack: false
    .vgpr_count:     0
    .vgpr_spill_count: 0
    .wavefront_size: 32
    .workgroup_processor_mode: 1
  - .args:
      - .offset:         0
        .size:           176
        .value_kind:     by_value
    .group_segment_fixed_size: 0
    .kernarg_segment_align: 8
    .kernarg_segment_size: 176
    .language:       OpenCL C
    .language_version:
      - 2
      - 0
    .max_flat_workgroup_size: 256
    .name:           _ZN7rocprim17ROCPRIM_400000_NS6detail17trampoline_kernelINS0_13select_configILj256ELj13ELNS0_17block_load_methodE3ELS4_3ELS4_3ELNS0_20block_scan_algorithmE0ELj4294967295EEENS1_25partition_config_selectorILNS1_17partition_subalgoE4EjNS0_10empty_typeEbEEZZNS1_14partition_implILS8_4ELb0ES6_15HIP_vector_typeIjLj2EENS0_17counting_iteratorIjlEEPS9_SG_NS0_5tupleIJPjSI_NS0_16reverse_iteratorISI_EEEEENSH_IJSG_SG_SG_EEES9_SI_JZNS1_25segmented_radix_sort_implINS0_14default_configELb0EPKaPaPKlPlN2at6native12_GLOBAL__N_18offset_tEEE10hipError_tPvRmT1_PNSt15iterator_traitsIS12_E10value_typeET2_T3_PNS13_IS18_E10value_typeET4_jRbjT5_S1E_jjP12ihipStream_tbEUljE_ZNSN_ISO_Lb0ESQ_SR_ST_SU_SY_EESZ_S10_S11_S12_S16_S17_S18_S1B_S1C_jS1D_jS1E_S1E_jjS1G_bEUljE0_EEESZ_S10_S11_S18_S1C_S1E_T6_T7_T9_mT8_S1G_bDpT10_ENKUlT_T0_E_clISt17integral_constantIbLb1EES1T_IbLb0EEEEDaS1P_S1Q_EUlS1P_E_NS1_11comp_targetILNS1_3genE5ELNS1_11target_archE942ELNS1_3gpuE9ELNS1_3repE0EEENS1_30default_config_static_selectorELNS0_4arch9wavefront6targetE0EEEvS12_
    .private_segment_fixed_size: 0
    .sgpr_count:     0
    .sgpr_spill_count: 0
    .symbol:         _ZN7rocprim17ROCPRIM_400000_NS6detail17trampoline_kernelINS0_13select_configILj256ELj13ELNS0_17block_load_methodE3ELS4_3ELS4_3ELNS0_20block_scan_algorithmE0ELj4294967295EEENS1_25partition_config_selectorILNS1_17partition_subalgoE4EjNS0_10empty_typeEbEEZZNS1_14partition_implILS8_4ELb0ES6_15HIP_vector_typeIjLj2EENS0_17counting_iteratorIjlEEPS9_SG_NS0_5tupleIJPjSI_NS0_16reverse_iteratorISI_EEEEENSH_IJSG_SG_SG_EEES9_SI_JZNS1_25segmented_radix_sort_implINS0_14default_configELb0EPKaPaPKlPlN2at6native12_GLOBAL__N_18offset_tEEE10hipError_tPvRmT1_PNSt15iterator_traitsIS12_E10value_typeET2_T3_PNS13_IS18_E10value_typeET4_jRbjT5_S1E_jjP12ihipStream_tbEUljE_ZNSN_ISO_Lb0ESQ_SR_ST_SU_SY_EESZ_S10_S11_S12_S16_S17_S18_S1B_S1C_jS1D_jS1E_S1E_jjS1G_bEUljE0_EEESZ_S10_S11_S18_S1C_S1E_T6_T7_T9_mT8_S1G_bDpT10_ENKUlT_T0_E_clISt17integral_constantIbLb1EES1T_IbLb0EEEEDaS1P_S1Q_EUlS1P_E_NS1_11comp_targetILNS1_3genE5ELNS1_11target_archE942ELNS1_3gpuE9ELNS1_3repE0EEENS1_30default_config_static_selectorELNS0_4arch9wavefront6targetE0EEEvS12_.kd
    .uniform_work_group_size: 1
    .uses_dynamic_stack: false
    .vgpr_count:     0
    .vgpr_spill_count: 0
    .wavefront_size: 32
    .workgroup_processor_mode: 1
  - .args:
      - .offset:         0
        .size:           176
        .value_kind:     by_value
    .group_segment_fixed_size: 0
    .kernarg_segment_align: 8
    .kernarg_segment_size: 176
    .language:       OpenCL C
    .language_version:
      - 2
      - 0
    .max_flat_workgroup_size: 256
    .name:           _ZN7rocprim17ROCPRIM_400000_NS6detail17trampoline_kernelINS0_13select_configILj256ELj13ELNS0_17block_load_methodE3ELS4_3ELS4_3ELNS0_20block_scan_algorithmE0ELj4294967295EEENS1_25partition_config_selectorILNS1_17partition_subalgoE4EjNS0_10empty_typeEbEEZZNS1_14partition_implILS8_4ELb0ES6_15HIP_vector_typeIjLj2EENS0_17counting_iteratorIjlEEPS9_SG_NS0_5tupleIJPjSI_NS0_16reverse_iteratorISI_EEEEENSH_IJSG_SG_SG_EEES9_SI_JZNS1_25segmented_radix_sort_implINS0_14default_configELb0EPKaPaPKlPlN2at6native12_GLOBAL__N_18offset_tEEE10hipError_tPvRmT1_PNSt15iterator_traitsIS12_E10value_typeET2_T3_PNS13_IS18_E10value_typeET4_jRbjT5_S1E_jjP12ihipStream_tbEUljE_ZNSN_ISO_Lb0ESQ_SR_ST_SU_SY_EESZ_S10_S11_S12_S16_S17_S18_S1B_S1C_jS1D_jS1E_S1E_jjS1G_bEUljE0_EEESZ_S10_S11_S18_S1C_S1E_T6_T7_T9_mT8_S1G_bDpT10_ENKUlT_T0_E_clISt17integral_constantIbLb1EES1T_IbLb0EEEEDaS1P_S1Q_EUlS1P_E_NS1_11comp_targetILNS1_3genE4ELNS1_11target_archE910ELNS1_3gpuE8ELNS1_3repE0EEENS1_30default_config_static_selectorELNS0_4arch9wavefront6targetE0EEEvS12_
    .private_segment_fixed_size: 0
    .sgpr_count:     0
    .sgpr_spill_count: 0
    .symbol:         _ZN7rocprim17ROCPRIM_400000_NS6detail17trampoline_kernelINS0_13select_configILj256ELj13ELNS0_17block_load_methodE3ELS4_3ELS4_3ELNS0_20block_scan_algorithmE0ELj4294967295EEENS1_25partition_config_selectorILNS1_17partition_subalgoE4EjNS0_10empty_typeEbEEZZNS1_14partition_implILS8_4ELb0ES6_15HIP_vector_typeIjLj2EENS0_17counting_iteratorIjlEEPS9_SG_NS0_5tupleIJPjSI_NS0_16reverse_iteratorISI_EEEEENSH_IJSG_SG_SG_EEES9_SI_JZNS1_25segmented_radix_sort_implINS0_14default_configELb0EPKaPaPKlPlN2at6native12_GLOBAL__N_18offset_tEEE10hipError_tPvRmT1_PNSt15iterator_traitsIS12_E10value_typeET2_T3_PNS13_IS18_E10value_typeET4_jRbjT5_S1E_jjP12ihipStream_tbEUljE_ZNSN_ISO_Lb0ESQ_SR_ST_SU_SY_EESZ_S10_S11_S12_S16_S17_S18_S1B_S1C_jS1D_jS1E_S1E_jjS1G_bEUljE0_EEESZ_S10_S11_S18_S1C_S1E_T6_T7_T9_mT8_S1G_bDpT10_ENKUlT_T0_E_clISt17integral_constantIbLb1EES1T_IbLb0EEEEDaS1P_S1Q_EUlS1P_E_NS1_11comp_targetILNS1_3genE4ELNS1_11target_archE910ELNS1_3gpuE8ELNS1_3repE0EEENS1_30default_config_static_selectorELNS0_4arch9wavefront6targetE0EEEvS12_.kd
    .uniform_work_group_size: 1
    .uses_dynamic_stack: false
    .vgpr_count:     0
    .vgpr_spill_count: 0
    .wavefront_size: 32
    .workgroup_processor_mode: 1
  - .args:
      - .offset:         0
        .size:           176
        .value_kind:     by_value
    .group_segment_fixed_size: 0
    .kernarg_segment_align: 8
    .kernarg_segment_size: 176
    .language:       OpenCL C
    .language_version:
      - 2
      - 0
    .max_flat_workgroup_size: 256
    .name:           _ZN7rocprim17ROCPRIM_400000_NS6detail17trampoline_kernelINS0_13select_configILj256ELj13ELNS0_17block_load_methodE3ELS4_3ELS4_3ELNS0_20block_scan_algorithmE0ELj4294967295EEENS1_25partition_config_selectorILNS1_17partition_subalgoE4EjNS0_10empty_typeEbEEZZNS1_14partition_implILS8_4ELb0ES6_15HIP_vector_typeIjLj2EENS0_17counting_iteratorIjlEEPS9_SG_NS0_5tupleIJPjSI_NS0_16reverse_iteratorISI_EEEEENSH_IJSG_SG_SG_EEES9_SI_JZNS1_25segmented_radix_sort_implINS0_14default_configELb0EPKaPaPKlPlN2at6native12_GLOBAL__N_18offset_tEEE10hipError_tPvRmT1_PNSt15iterator_traitsIS12_E10value_typeET2_T3_PNS13_IS18_E10value_typeET4_jRbjT5_S1E_jjP12ihipStream_tbEUljE_ZNSN_ISO_Lb0ESQ_SR_ST_SU_SY_EESZ_S10_S11_S12_S16_S17_S18_S1B_S1C_jS1D_jS1E_S1E_jjS1G_bEUljE0_EEESZ_S10_S11_S18_S1C_S1E_T6_T7_T9_mT8_S1G_bDpT10_ENKUlT_T0_E_clISt17integral_constantIbLb1EES1T_IbLb0EEEEDaS1P_S1Q_EUlS1P_E_NS1_11comp_targetILNS1_3genE3ELNS1_11target_archE908ELNS1_3gpuE7ELNS1_3repE0EEENS1_30default_config_static_selectorELNS0_4arch9wavefront6targetE0EEEvS12_
    .private_segment_fixed_size: 0
    .sgpr_count:     0
    .sgpr_spill_count: 0
    .symbol:         _ZN7rocprim17ROCPRIM_400000_NS6detail17trampoline_kernelINS0_13select_configILj256ELj13ELNS0_17block_load_methodE3ELS4_3ELS4_3ELNS0_20block_scan_algorithmE0ELj4294967295EEENS1_25partition_config_selectorILNS1_17partition_subalgoE4EjNS0_10empty_typeEbEEZZNS1_14partition_implILS8_4ELb0ES6_15HIP_vector_typeIjLj2EENS0_17counting_iteratorIjlEEPS9_SG_NS0_5tupleIJPjSI_NS0_16reverse_iteratorISI_EEEEENSH_IJSG_SG_SG_EEES9_SI_JZNS1_25segmented_radix_sort_implINS0_14default_configELb0EPKaPaPKlPlN2at6native12_GLOBAL__N_18offset_tEEE10hipError_tPvRmT1_PNSt15iterator_traitsIS12_E10value_typeET2_T3_PNS13_IS18_E10value_typeET4_jRbjT5_S1E_jjP12ihipStream_tbEUljE_ZNSN_ISO_Lb0ESQ_SR_ST_SU_SY_EESZ_S10_S11_S12_S16_S17_S18_S1B_S1C_jS1D_jS1E_S1E_jjS1G_bEUljE0_EEESZ_S10_S11_S18_S1C_S1E_T6_T7_T9_mT8_S1G_bDpT10_ENKUlT_T0_E_clISt17integral_constantIbLb1EES1T_IbLb0EEEEDaS1P_S1Q_EUlS1P_E_NS1_11comp_targetILNS1_3genE3ELNS1_11target_archE908ELNS1_3gpuE7ELNS1_3repE0EEENS1_30default_config_static_selectorELNS0_4arch9wavefront6targetE0EEEvS12_.kd
    .uniform_work_group_size: 1
    .uses_dynamic_stack: false
    .vgpr_count:     0
    .vgpr_spill_count: 0
    .wavefront_size: 32
    .workgroup_processor_mode: 1
  - .args:
      - .offset:         0
        .size:           176
        .value_kind:     by_value
    .group_segment_fixed_size: 0
    .kernarg_segment_align: 8
    .kernarg_segment_size: 176
    .language:       OpenCL C
    .language_version:
      - 2
      - 0
    .max_flat_workgroup_size: 256
    .name:           _ZN7rocprim17ROCPRIM_400000_NS6detail17trampoline_kernelINS0_13select_configILj256ELj13ELNS0_17block_load_methodE3ELS4_3ELS4_3ELNS0_20block_scan_algorithmE0ELj4294967295EEENS1_25partition_config_selectorILNS1_17partition_subalgoE4EjNS0_10empty_typeEbEEZZNS1_14partition_implILS8_4ELb0ES6_15HIP_vector_typeIjLj2EENS0_17counting_iteratorIjlEEPS9_SG_NS0_5tupleIJPjSI_NS0_16reverse_iteratorISI_EEEEENSH_IJSG_SG_SG_EEES9_SI_JZNS1_25segmented_radix_sort_implINS0_14default_configELb0EPKaPaPKlPlN2at6native12_GLOBAL__N_18offset_tEEE10hipError_tPvRmT1_PNSt15iterator_traitsIS12_E10value_typeET2_T3_PNS13_IS18_E10value_typeET4_jRbjT5_S1E_jjP12ihipStream_tbEUljE_ZNSN_ISO_Lb0ESQ_SR_ST_SU_SY_EESZ_S10_S11_S12_S16_S17_S18_S1B_S1C_jS1D_jS1E_S1E_jjS1G_bEUljE0_EEESZ_S10_S11_S18_S1C_S1E_T6_T7_T9_mT8_S1G_bDpT10_ENKUlT_T0_E_clISt17integral_constantIbLb1EES1T_IbLb0EEEEDaS1P_S1Q_EUlS1P_E_NS1_11comp_targetILNS1_3genE2ELNS1_11target_archE906ELNS1_3gpuE6ELNS1_3repE0EEENS1_30default_config_static_selectorELNS0_4arch9wavefront6targetE0EEEvS12_
    .private_segment_fixed_size: 0
    .sgpr_count:     0
    .sgpr_spill_count: 0
    .symbol:         _ZN7rocprim17ROCPRIM_400000_NS6detail17trampoline_kernelINS0_13select_configILj256ELj13ELNS0_17block_load_methodE3ELS4_3ELS4_3ELNS0_20block_scan_algorithmE0ELj4294967295EEENS1_25partition_config_selectorILNS1_17partition_subalgoE4EjNS0_10empty_typeEbEEZZNS1_14partition_implILS8_4ELb0ES6_15HIP_vector_typeIjLj2EENS0_17counting_iteratorIjlEEPS9_SG_NS0_5tupleIJPjSI_NS0_16reverse_iteratorISI_EEEEENSH_IJSG_SG_SG_EEES9_SI_JZNS1_25segmented_radix_sort_implINS0_14default_configELb0EPKaPaPKlPlN2at6native12_GLOBAL__N_18offset_tEEE10hipError_tPvRmT1_PNSt15iterator_traitsIS12_E10value_typeET2_T3_PNS13_IS18_E10value_typeET4_jRbjT5_S1E_jjP12ihipStream_tbEUljE_ZNSN_ISO_Lb0ESQ_SR_ST_SU_SY_EESZ_S10_S11_S12_S16_S17_S18_S1B_S1C_jS1D_jS1E_S1E_jjS1G_bEUljE0_EEESZ_S10_S11_S18_S1C_S1E_T6_T7_T9_mT8_S1G_bDpT10_ENKUlT_T0_E_clISt17integral_constantIbLb1EES1T_IbLb0EEEEDaS1P_S1Q_EUlS1P_E_NS1_11comp_targetILNS1_3genE2ELNS1_11target_archE906ELNS1_3gpuE6ELNS1_3repE0EEENS1_30default_config_static_selectorELNS0_4arch9wavefront6targetE0EEEvS12_.kd
    .uniform_work_group_size: 1
    .uses_dynamic_stack: false
    .vgpr_count:     0
    .vgpr_spill_count: 0
    .wavefront_size: 32
    .workgroup_processor_mode: 1
  - .args:
      - .offset:         0
        .size:           176
        .value_kind:     by_value
    .group_segment_fixed_size: 0
    .kernarg_segment_align: 8
    .kernarg_segment_size: 176
    .language:       OpenCL C
    .language_version:
      - 2
      - 0
    .max_flat_workgroup_size: 256
    .name:           _ZN7rocprim17ROCPRIM_400000_NS6detail17trampoline_kernelINS0_13select_configILj256ELj13ELNS0_17block_load_methodE3ELS4_3ELS4_3ELNS0_20block_scan_algorithmE0ELj4294967295EEENS1_25partition_config_selectorILNS1_17partition_subalgoE4EjNS0_10empty_typeEbEEZZNS1_14partition_implILS8_4ELb0ES6_15HIP_vector_typeIjLj2EENS0_17counting_iteratorIjlEEPS9_SG_NS0_5tupleIJPjSI_NS0_16reverse_iteratorISI_EEEEENSH_IJSG_SG_SG_EEES9_SI_JZNS1_25segmented_radix_sort_implINS0_14default_configELb0EPKaPaPKlPlN2at6native12_GLOBAL__N_18offset_tEEE10hipError_tPvRmT1_PNSt15iterator_traitsIS12_E10value_typeET2_T3_PNS13_IS18_E10value_typeET4_jRbjT5_S1E_jjP12ihipStream_tbEUljE_ZNSN_ISO_Lb0ESQ_SR_ST_SU_SY_EESZ_S10_S11_S12_S16_S17_S18_S1B_S1C_jS1D_jS1E_S1E_jjS1G_bEUljE0_EEESZ_S10_S11_S18_S1C_S1E_T6_T7_T9_mT8_S1G_bDpT10_ENKUlT_T0_E_clISt17integral_constantIbLb1EES1T_IbLb0EEEEDaS1P_S1Q_EUlS1P_E_NS1_11comp_targetILNS1_3genE10ELNS1_11target_archE1200ELNS1_3gpuE4ELNS1_3repE0EEENS1_30default_config_static_selectorELNS0_4arch9wavefront6targetE0EEEvS12_
    .private_segment_fixed_size: 0
    .sgpr_count:     0
    .sgpr_spill_count: 0
    .symbol:         _ZN7rocprim17ROCPRIM_400000_NS6detail17trampoline_kernelINS0_13select_configILj256ELj13ELNS0_17block_load_methodE3ELS4_3ELS4_3ELNS0_20block_scan_algorithmE0ELj4294967295EEENS1_25partition_config_selectorILNS1_17partition_subalgoE4EjNS0_10empty_typeEbEEZZNS1_14partition_implILS8_4ELb0ES6_15HIP_vector_typeIjLj2EENS0_17counting_iteratorIjlEEPS9_SG_NS0_5tupleIJPjSI_NS0_16reverse_iteratorISI_EEEEENSH_IJSG_SG_SG_EEES9_SI_JZNS1_25segmented_radix_sort_implINS0_14default_configELb0EPKaPaPKlPlN2at6native12_GLOBAL__N_18offset_tEEE10hipError_tPvRmT1_PNSt15iterator_traitsIS12_E10value_typeET2_T3_PNS13_IS18_E10value_typeET4_jRbjT5_S1E_jjP12ihipStream_tbEUljE_ZNSN_ISO_Lb0ESQ_SR_ST_SU_SY_EESZ_S10_S11_S12_S16_S17_S18_S1B_S1C_jS1D_jS1E_S1E_jjS1G_bEUljE0_EEESZ_S10_S11_S18_S1C_S1E_T6_T7_T9_mT8_S1G_bDpT10_ENKUlT_T0_E_clISt17integral_constantIbLb1EES1T_IbLb0EEEEDaS1P_S1Q_EUlS1P_E_NS1_11comp_targetILNS1_3genE10ELNS1_11target_archE1200ELNS1_3gpuE4ELNS1_3repE0EEENS1_30default_config_static_selectorELNS0_4arch9wavefront6targetE0EEEvS12_.kd
    .uniform_work_group_size: 1
    .uses_dynamic_stack: false
    .vgpr_count:     0
    .vgpr_spill_count: 0
    .wavefront_size: 32
    .workgroup_processor_mode: 1
  - .args:
      - .offset:         0
        .size:           176
        .value_kind:     by_value
    .group_segment_fixed_size: 13340
    .kernarg_segment_align: 8
    .kernarg_segment_size: 176
    .language:       OpenCL C
    .language_version:
      - 2
      - 0
    .max_flat_workgroup_size: 256
    .name:           _ZN7rocprim17ROCPRIM_400000_NS6detail17trampoline_kernelINS0_13select_configILj256ELj13ELNS0_17block_load_methodE3ELS4_3ELS4_3ELNS0_20block_scan_algorithmE0ELj4294967295EEENS1_25partition_config_selectorILNS1_17partition_subalgoE4EjNS0_10empty_typeEbEEZZNS1_14partition_implILS8_4ELb0ES6_15HIP_vector_typeIjLj2EENS0_17counting_iteratorIjlEEPS9_SG_NS0_5tupleIJPjSI_NS0_16reverse_iteratorISI_EEEEENSH_IJSG_SG_SG_EEES9_SI_JZNS1_25segmented_radix_sort_implINS0_14default_configELb0EPKaPaPKlPlN2at6native12_GLOBAL__N_18offset_tEEE10hipError_tPvRmT1_PNSt15iterator_traitsIS12_E10value_typeET2_T3_PNS13_IS18_E10value_typeET4_jRbjT5_S1E_jjP12ihipStream_tbEUljE_ZNSN_ISO_Lb0ESQ_SR_ST_SU_SY_EESZ_S10_S11_S12_S16_S17_S18_S1B_S1C_jS1D_jS1E_S1E_jjS1G_bEUljE0_EEESZ_S10_S11_S18_S1C_S1E_T6_T7_T9_mT8_S1G_bDpT10_ENKUlT_T0_E_clISt17integral_constantIbLb1EES1T_IbLb0EEEEDaS1P_S1Q_EUlS1P_E_NS1_11comp_targetILNS1_3genE9ELNS1_11target_archE1100ELNS1_3gpuE3ELNS1_3repE0EEENS1_30default_config_static_selectorELNS0_4arch9wavefront6targetE0EEEvS12_
    .private_segment_fixed_size: 0
    .sgpr_count:     61
    .sgpr_spill_count: 0
    .symbol:         _ZN7rocprim17ROCPRIM_400000_NS6detail17trampoline_kernelINS0_13select_configILj256ELj13ELNS0_17block_load_methodE3ELS4_3ELS4_3ELNS0_20block_scan_algorithmE0ELj4294967295EEENS1_25partition_config_selectorILNS1_17partition_subalgoE4EjNS0_10empty_typeEbEEZZNS1_14partition_implILS8_4ELb0ES6_15HIP_vector_typeIjLj2EENS0_17counting_iteratorIjlEEPS9_SG_NS0_5tupleIJPjSI_NS0_16reverse_iteratorISI_EEEEENSH_IJSG_SG_SG_EEES9_SI_JZNS1_25segmented_radix_sort_implINS0_14default_configELb0EPKaPaPKlPlN2at6native12_GLOBAL__N_18offset_tEEE10hipError_tPvRmT1_PNSt15iterator_traitsIS12_E10value_typeET2_T3_PNS13_IS18_E10value_typeET4_jRbjT5_S1E_jjP12ihipStream_tbEUljE_ZNSN_ISO_Lb0ESQ_SR_ST_SU_SY_EESZ_S10_S11_S12_S16_S17_S18_S1B_S1C_jS1D_jS1E_S1E_jjS1G_bEUljE0_EEESZ_S10_S11_S18_S1C_S1E_T6_T7_T9_mT8_S1G_bDpT10_ENKUlT_T0_E_clISt17integral_constantIbLb1EES1T_IbLb0EEEEDaS1P_S1Q_EUlS1P_E_NS1_11comp_targetILNS1_3genE9ELNS1_11target_archE1100ELNS1_3gpuE3ELNS1_3repE0EEENS1_30default_config_static_selectorELNS0_4arch9wavefront6targetE0EEEvS12_.kd
    .uniform_work_group_size: 1
    .uses_dynamic_stack: false
    .vgpr_count:     98
    .vgpr_spill_count: 0
    .wavefront_size: 32
    .workgroup_processor_mode: 1
  - .args:
      - .offset:         0
        .size:           176
        .value_kind:     by_value
    .group_segment_fixed_size: 0
    .kernarg_segment_align: 8
    .kernarg_segment_size: 176
    .language:       OpenCL C
    .language_version:
      - 2
      - 0
    .max_flat_workgroup_size: 256
    .name:           _ZN7rocprim17ROCPRIM_400000_NS6detail17trampoline_kernelINS0_13select_configILj256ELj13ELNS0_17block_load_methodE3ELS4_3ELS4_3ELNS0_20block_scan_algorithmE0ELj4294967295EEENS1_25partition_config_selectorILNS1_17partition_subalgoE4EjNS0_10empty_typeEbEEZZNS1_14partition_implILS8_4ELb0ES6_15HIP_vector_typeIjLj2EENS0_17counting_iteratorIjlEEPS9_SG_NS0_5tupleIJPjSI_NS0_16reverse_iteratorISI_EEEEENSH_IJSG_SG_SG_EEES9_SI_JZNS1_25segmented_radix_sort_implINS0_14default_configELb0EPKaPaPKlPlN2at6native12_GLOBAL__N_18offset_tEEE10hipError_tPvRmT1_PNSt15iterator_traitsIS12_E10value_typeET2_T3_PNS13_IS18_E10value_typeET4_jRbjT5_S1E_jjP12ihipStream_tbEUljE_ZNSN_ISO_Lb0ESQ_SR_ST_SU_SY_EESZ_S10_S11_S12_S16_S17_S18_S1B_S1C_jS1D_jS1E_S1E_jjS1G_bEUljE0_EEESZ_S10_S11_S18_S1C_S1E_T6_T7_T9_mT8_S1G_bDpT10_ENKUlT_T0_E_clISt17integral_constantIbLb1EES1T_IbLb0EEEEDaS1P_S1Q_EUlS1P_E_NS1_11comp_targetILNS1_3genE8ELNS1_11target_archE1030ELNS1_3gpuE2ELNS1_3repE0EEENS1_30default_config_static_selectorELNS0_4arch9wavefront6targetE0EEEvS12_
    .private_segment_fixed_size: 0
    .sgpr_count:     0
    .sgpr_spill_count: 0
    .symbol:         _ZN7rocprim17ROCPRIM_400000_NS6detail17trampoline_kernelINS0_13select_configILj256ELj13ELNS0_17block_load_methodE3ELS4_3ELS4_3ELNS0_20block_scan_algorithmE0ELj4294967295EEENS1_25partition_config_selectorILNS1_17partition_subalgoE4EjNS0_10empty_typeEbEEZZNS1_14partition_implILS8_4ELb0ES6_15HIP_vector_typeIjLj2EENS0_17counting_iteratorIjlEEPS9_SG_NS0_5tupleIJPjSI_NS0_16reverse_iteratorISI_EEEEENSH_IJSG_SG_SG_EEES9_SI_JZNS1_25segmented_radix_sort_implINS0_14default_configELb0EPKaPaPKlPlN2at6native12_GLOBAL__N_18offset_tEEE10hipError_tPvRmT1_PNSt15iterator_traitsIS12_E10value_typeET2_T3_PNS13_IS18_E10value_typeET4_jRbjT5_S1E_jjP12ihipStream_tbEUljE_ZNSN_ISO_Lb0ESQ_SR_ST_SU_SY_EESZ_S10_S11_S12_S16_S17_S18_S1B_S1C_jS1D_jS1E_S1E_jjS1G_bEUljE0_EEESZ_S10_S11_S18_S1C_S1E_T6_T7_T9_mT8_S1G_bDpT10_ENKUlT_T0_E_clISt17integral_constantIbLb1EES1T_IbLb0EEEEDaS1P_S1Q_EUlS1P_E_NS1_11comp_targetILNS1_3genE8ELNS1_11target_archE1030ELNS1_3gpuE2ELNS1_3repE0EEENS1_30default_config_static_selectorELNS0_4arch9wavefront6targetE0EEEvS12_.kd
    .uniform_work_group_size: 1
    .uses_dynamic_stack: false
    .vgpr_count:     0
    .vgpr_spill_count: 0
    .wavefront_size: 32
    .workgroup_processor_mode: 1
  - .args:
      - .offset:         0
        .size:           184
        .value_kind:     by_value
    .group_segment_fixed_size: 0
    .kernarg_segment_align: 8
    .kernarg_segment_size: 184
    .language:       OpenCL C
    .language_version:
      - 2
      - 0
    .max_flat_workgroup_size: 256
    .name:           _ZN7rocprim17ROCPRIM_400000_NS6detail17trampoline_kernelINS0_13select_configILj256ELj13ELNS0_17block_load_methodE3ELS4_3ELS4_3ELNS0_20block_scan_algorithmE0ELj4294967295EEENS1_25partition_config_selectorILNS1_17partition_subalgoE4EjNS0_10empty_typeEbEEZZNS1_14partition_implILS8_4ELb0ES6_15HIP_vector_typeIjLj2EENS0_17counting_iteratorIjlEEPS9_SG_NS0_5tupleIJPjSI_NS0_16reverse_iteratorISI_EEEEENSH_IJSG_SG_SG_EEES9_SI_JZNS1_25segmented_radix_sort_implINS0_14default_configELb0EPKaPaPKlPlN2at6native12_GLOBAL__N_18offset_tEEE10hipError_tPvRmT1_PNSt15iterator_traitsIS12_E10value_typeET2_T3_PNS13_IS18_E10value_typeET4_jRbjT5_S1E_jjP12ihipStream_tbEUljE_ZNSN_ISO_Lb0ESQ_SR_ST_SU_SY_EESZ_S10_S11_S12_S16_S17_S18_S1B_S1C_jS1D_jS1E_S1E_jjS1G_bEUljE0_EEESZ_S10_S11_S18_S1C_S1E_T6_T7_T9_mT8_S1G_bDpT10_ENKUlT_T0_E_clISt17integral_constantIbLb0EES1T_IbLb1EEEEDaS1P_S1Q_EUlS1P_E_NS1_11comp_targetILNS1_3genE0ELNS1_11target_archE4294967295ELNS1_3gpuE0ELNS1_3repE0EEENS1_30default_config_static_selectorELNS0_4arch9wavefront6targetE0EEEvS12_
    .private_segment_fixed_size: 0
    .sgpr_count:     0
    .sgpr_spill_count: 0
    .symbol:         _ZN7rocprim17ROCPRIM_400000_NS6detail17trampoline_kernelINS0_13select_configILj256ELj13ELNS0_17block_load_methodE3ELS4_3ELS4_3ELNS0_20block_scan_algorithmE0ELj4294967295EEENS1_25partition_config_selectorILNS1_17partition_subalgoE4EjNS0_10empty_typeEbEEZZNS1_14partition_implILS8_4ELb0ES6_15HIP_vector_typeIjLj2EENS0_17counting_iteratorIjlEEPS9_SG_NS0_5tupleIJPjSI_NS0_16reverse_iteratorISI_EEEEENSH_IJSG_SG_SG_EEES9_SI_JZNS1_25segmented_radix_sort_implINS0_14default_configELb0EPKaPaPKlPlN2at6native12_GLOBAL__N_18offset_tEEE10hipError_tPvRmT1_PNSt15iterator_traitsIS12_E10value_typeET2_T3_PNS13_IS18_E10value_typeET4_jRbjT5_S1E_jjP12ihipStream_tbEUljE_ZNSN_ISO_Lb0ESQ_SR_ST_SU_SY_EESZ_S10_S11_S12_S16_S17_S18_S1B_S1C_jS1D_jS1E_S1E_jjS1G_bEUljE0_EEESZ_S10_S11_S18_S1C_S1E_T6_T7_T9_mT8_S1G_bDpT10_ENKUlT_T0_E_clISt17integral_constantIbLb0EES1T_IbLb1EEEEDaS1P_S1Q_EUlS1P_E_NS1_11comp_targetILNS1_3genE0ELNS1_11target_archE4294967295ELNS1_3gpuE0ELNS1_3repE0EEENS1_30default_config_static_selectorELNS0_4arch9wavefront6targetE0EEEvS12_.kd
    .uniform_work_group_size: 1
    .uses_dynamic_stack: false
    .vgpr_count:     0
    .vgpr_spill_count: 0
    .wavefront_size: 32
    .workgroup_processor_mode: 1
  - .args:
      - .offset:         0
        .size:           184
        .value_kind:     by_value
    .group_segment_fixed_size: 0
    .kernarg_segment_align: 8
    .kernarg_segment_size: 184
    .language:       OpenCL C
    .language_version:
      - 2
      - 0
    .max_flat_workgroup_size: 256
    .name:           _ZN7rocprim17ROCPRIM_400000_NS6detail17trampoline_kernelINS0_13select_configILj256ELj13ELNS0_17block_load_methodE3ELS4_3ELS4_3ELNS0_20block_scan_algorithmE0ELj4294967295EEENS1_25partition_config_selectorILNS1_17partition_subalgoE4EjNS0_10empty_typeEbEEZZNS1_14partition_implILS8_4ELb0ES6_15HIP_vector_typeIjLj2EENS0_17counting_iteratorIjlEEPS9_SG_NS0_5tupleIJPjSI_NS0_16reverse_iteratorISI_EEEEENSH_IJSG_SG_SG_EEES9_SI_JZNS1_25segmented_radix_sort_implINS0_14default_configELb0EPKaPaPKlPlN2at6native12_GLOBAL__N_18offset_tEEE10hipError_tPvRmT1_PNSt15iterator_traitsIS12_E10value_typeET2_T3_PNS13_IS18_E10value_typeET4_jRbjT5_S1E_jjP12ihipStream_tbEUljE_ZNSN_ISO_Lb0ESQ_SR_ST_SU_SY_EESZ_S10_S11_S12_S16_S17_S18_S1B_S1C_jS1D_jS1E_S1E_jjS1G_bEUljE0_EEESZ_S10_S11_S18_S1C_S1E_T6_T7_T9_mT8_S1G_bDpT10_ENKUlT_T0_E_clISt17integral_constantIbLb0EES1T_IbLb1EEEEDaS1P_S1Q_EUlS1P_E_NS1_11comp_targetILNS1_3genE5ELNS1_11target_archE942ELNS1_3gpuE9ELNS1_3repE0EEENS1_30default_config_static_selectorELNS0_4arch9wavefront6targetE0EEEvS12_
    .private_segment_fixed_size: 0
    .sgpr_count:     0
    .sgpr_spill_count: 0
    .symbol:         _ZN7rocprim17ROCPRIM_400000_NS6detail17trampoline_kernelINS0_13select_configILj256ELj13ELNS0_17block_load_methodE3ELS4_3ELS4_3ELNS0_20block_scan_algorithmE0ELj4294967295EEENS1_25partition_config_selectorILNS1_17partition_subalgoE4EjNS0_10empty_typeEbEEZZNS1_14partition_implILS8_4ELb0ES6_15HIP_vector_typeIjLj2EENS0_17counting_iteratorIjlEEPS9_SG_NS0_5tupleIJPjSI_NS0_16reverse_iteratorISI_EEEEENSH_IJSG_SG_SG_EEES9_SI_JZNS1_25segmented_radix_sort_implINS0_14default_configELb0EPKaPaPKlPlN2at6native12_GLOBAL__N_18offset_tEEE10hipError_tPvRmT1_PNSt15iterator_traitsIS12_E10value_typeET2_T3_PNS13_IS18_E10value_typeET4_jRbjT5_S1E_jjP12ihipStream_tbEUljE_ZNSN_ISO_Lb0ESQ_SR_ST_SU_SY_EESZ_S10_S11_S12_S16_S17_S18_S1B_S1C_jS1D_jS1E_S1E_jjS1G_bEUljE0_EEESZ_S10_S11_S18_S1C_S1E_T6_T7_T9_mT8_S1G_bDpT10_ENKUlT_T0_E_clISt17integral_constantIbLb0EES1T_IbLb1EEEEDaS1P_S1Q_EUlS1P_E_NS1_11comp_targetILNS1_3genE5ELNS1_11target_archE942ELNS1_3gpuE9ELNS1_3repE0EEENS1_30default_config_static_selectorELNS0_4arch9wavefront6targetE0EEEvS12_.kd
    .uniform_work_group_size: 1
    .uses_dynamic_stack: false
    .vgpr_count:     0
    .vgpr_spill_count: 0
    .wavefront_size: 32
    .workgroup_processor_mode: 1
  - .args:
      - .offset:         0
        .size:           184
        .value_kind:     by_value
    .group_segment_fixed_size: 0
    .kernarg_segment_align: 8
    .kernarg_segment_size: 184
    .language:       OpenCL C
    .language_version:
      - 2
      - 0
    .max_flat_workgroup_size: 256
    .name:           _ZN7rocprim17ROCPRIM_400000_NS6detail17trampoline_kernelINS0_13select_configILj256ELj13ELNS0_17block_load_methodE3ELS4_3ELS4_3ELNS0_20block_scan_algorithmE0ELj4294967295EEENS1_25partition_config_selectorILNS1_17partition_subalgoE4EjNS0_10empty_typeEbEEZZNS1_14partition_implILS8_4ELb0ES6_15HIP_vector_typeIjLj2EENS0_17counting_iteratorIjlEEPS9_SG_NS0_5tupleIJPjSI_NS0_16reverse_iteratorISI_EEEEENSH_IJSG_SG_SG_EEES9_SI_JZNS1_25segmented_radix_sort_implINS0_14default_configELb0EPKaPaPKlPlN2at6native12_GLOBAL__N_18offset_tEEE10hipError_tPvRmT1_PNSt15iterator_traitsIS12_E10value_typeET2_T3_PNS13_IS18_E10value_typeET4_jRbjT5_S1E_jjP12ihipStream_tbEUljE_ZNSN_ISO_Lb0ESQ_SR_ST_SU_SY_EESZ_S10_S11_S12_S16_S17_S18_S1B_S1C_jS1D_jS1E_S1E_jjS1G_bEUljE0_EEESZ_S10_S11_S18_S1C_S1E_T6_T7_T9_mT8_S1G_bDpT10_ENKUlT_T0_E_clISt17integral_constantIbLb0EES1T_IbLb1EEEEDaS1P_S1Q_EUlS1P_E_NS1_11comp_targetILNS1_3genE4ELNS1_11target_archE910ELNS1_3gpuE8ELNS1_3repE0EEENS1_30default_config_static_selectorELNS0_4arch9wavefront6targetE0EEEvS12_
    .private_segment_fixed_size: 0
    .sgpr_count:     0
    .sgpr_spill_count: 0
    .symbol:         _ZN7rocprim17ROCPRIM_400000_NS6detail17trampoline_kernelINS0_13select_configILj256ELj13ELNS0_17block_load_methodE3ELS4_3ELS4_3ELNS0_20block_scan_algorithmE0ELj4294967295EEENS1_25partition_config_selectorILNS1_17partition_subalgoE4EjNS0_10empty_typeEbEEZZNS1_14partition_implILS8_4ELb0ES6_15HIP_vector_typeIjLj2EENS0_17counting_iteratorIjlEEPS9_SG_NS0_5tupleIJPjSI_NS0_16reverse_iteratorISI_EEEEENSH_IJSG_SG_SG_EEES9_SI_JZNS1_25segmented_radix_sort_implINS0_14default_configELb0EPKaPaPKlPlN2at6native12_GLOBAL__N_18offset_tEEE10hipError_tPvRmT1_PNSt15iterator_traitsIS12_E10value_typeET2_T3_PNS13_IS18_E10value_typeET4_jRbjT5_S1E_jjP12ihipStream_tbEUljE_ZNSN_ISO_Lb0ESQ_SR_ST_SU_SY_EESZ_S10_S11_S12_S16_S17_S18_S1B_S1C_jS1D_jS1E_S1E_jjS1G_bEUljE0_EEESZ_S10_S11_S18_S1C_S1E_T6_T7_T9_mT8_S1G_bDpT10_ENKUlT_T0_E_clISt17integral_constantIbLb0EES1T_IbLb1EEEEDaS1P_S1Q_EUlS1P_E_NS1_11comp_targetILNS1_3genE4ELNS1_11target_archE910ELNS1_3gpuE8ELNS1_3repE0EEENS1_30default_config_static_selectorELNS0_4arch9wavefront6targetE0EEEvS12_.kd
    .uniform_work_group_size: 1
    .uses_dynamic_stack: false
    .vgpr_count:     0
    .vgpr_spill_count: 0
    .wavefront_size: 32
    .workgroup_processor_mode: 1
  - .args:
      - .offset:         0
        .size:           184
        .value_kind:     by_value
    .group_segment_fixed_size: 0
    .kernarg_segment_align: 8
    .kernarg_segment_size: 184
    .language:       OpenCL C
    .language_version:
      - 2
      - 0
    .max_flat_workgroup_size: 256
    .name:           _ZN7rocprim17ROCPRIM_400000_NS6detail17trampoline_kernelINS0_13select_configILj256ELj13ELNS0_17block_load_methodE3ELS4_3ELS4_3ELNS0_20block_scan_algorithmE0ELj4294967295EEENS1_25partition_config_selectorILNS1_17partition_subalgoE4EjNS0_10empty_typeEbEEZZNS1_14partition_implILS8_4ELb0ES6_15HIP_vector_typeIjLj2EENS0_17counting_iteratorIjlEEPS9_SG_NS0_5tupleIJPjSI_NS0_16reverse_iteratorISI_EEEEENSH_IJSG_SG_SG_EEES9_SI_JZNS1_25segmented_radix_sort_implINS0_14default_configELb0EPKaPaPKlPlN2at6native12_GLOBAL__N_18offset_tEEE10hipError_tPvRmT1_PNSt15iterator_traitsIS12_E10value_typeET2_T3_PNS13_IS18_E10value_typeET4_jRbjT5_S1E_jjP12ihipStream_tbEUljE_ZNSN_ISO_Lb0ESQ_SR_ST_SU_SY_EESZ_S10_S11_S12_S16_S17_S18_S1B_S1C_jS1D_jS1E_S1E_jjS1G_bEUljE0_EEESZ_S10_S11_S18_S1C_S1E_T6_T7_T9_mT8_S1G_bDpT10_ENKUlT_T0_E_clISt17integral_constantIbLb0EES1T_IbLb1EEEEDaS1P_S1Q_EUlS1P_E_NS1_11comp_targetILNS1_3genE3ELNS1_11target_archE908ELNS1_3gpuE7ELNS1_3repE0EEENS1_30default_config_static_selectorELNS0_4arch9wavefront6targetE0EEEvS12_
    .private_segment_fixed_size: 0
    .sgpr_count:     0
    .sgpr_spill_count: 0
    .symbol:         _ZN7rocprim17ROCPRIM_400000_NS6detail17trampoline_kernelINS0_13select_configILj256ELj13ELNS0_17block_load_methodE3ELS4_3ELS4_3ELNS0_20block_scan_algorithmE0ELj4294967295EEENS1_25partition_config_selectorILNS1_17partition_subalgoE4EjNS0_10empty_typeEbEEZZNS1_14partition_implILS8_4ELb0ES6_15HIP_vector_typeIjLj2EENS0_17counting_iteratorIjlEEPS9_SG_NS0_5tupleIJPjSI_NS0_16reverse_iteratorISI_EEEEENSH_IJSG_SG_SG_EEES9_SI_JZNS1_25segmented_radix_sort_implINS0_14default_configELb0EPKaPaPKlPlN2at6native12_GLOBAL__N_18offset_tEEE10hipError_tPvRmT1_PNSt15iterator_traitsIS12_E10value_typeET2_T3_PNS13_IS18_E10value_typeET4_jRbjT5_S1E_jjP12ihipStream_tbEUljE_ZNSN_ISO_Lb0ESQ_SR_ST_SU_SY_EESZ_S10_S11_S12_S16_S17_S18_S1B_S1C_jS1D_jS1E_S1E_jjS1G_bEUljE0_EEESZ_S10_S11_S18_S1C_S1E_T6_T7_T9_mT8_S1G_bDpT10_ENKUlT_T0_E_clISt17integral_constantIbLb0EES1T_IbLb1EEEEDaS1P_S1Q_EUlS1P_E_NS1_11comp_targetILNS1_3genE3ELNS1_11target_archE908ELNS1_3gpuE7ELNS1_3repE0EEENS1_30default_config_static_selectorELNS0_4arch9wavefront6targetE0EEEvS12_.kd
    .uniform_work_group_size: 1
    .uses_dynamic_stack: false
    .vgpr_count:     0
    .vgpr_spill_count: 0
    .wavefront_size: 32
    .workgroup_processor_mode: 1
  - .args:
      - .offset:         0
        .size:           184
        .value_kind:     by_value
    .group_segment_fixed_size: 0
    .kernarg_segment_align: 8
    .kernarg_segment_size: 184
    .language:       OpenCL C
    .language_version:
      - 2
      - 0
    .max_flat_workgroup_size: 256
    .name:           _ZN7rocprim17ROCPRIM_400000_NS6detail17trampoline_kernelINS0_13select_configILj256ELj13ELNS0_17block_load_methodE3ELS4_3ELS4_3ELNS0_20block_scan_algorithmE0ELj4294967295EEENS1_25partition_config_selectorILNS1_17partition_subalgoE4EjNS0_10empty_typeEbEEZZNS1_14partition_implILS8_4ELb0ES6_15HIP_vector_typeIjLj2EENS0_17counting_iteratorIjlEEPS9_SG_NS0_5tupleIJPjSI_NS0_16reverse_iteratorISI_EEEEENSH_IJSG_SG_SG_EEES9_SI_JZNS1_25segmented_radix_sort_implINS0_14default_configELb0EPKaPaPKlPlN2at6native12_GLOBAL__N_18offset_tEEE10hipError_tPvRmT1_PNSt15iterator_traitsIS12_E10value_typeET2_T3_PNS13_IS18_E10value_typeET4_jRbjT5_S1E_jjP12ihipStream_tbEUljE_ZNSN_ISO_Lb0ESQ_SR_ST_SU_SY_EESZ_S10_S11_S12_S16_S17_S18_S1B_S1C_jS1D_jS1E_S1E_jjS1G_bEUljE0_EEESZ_S10_S11_S18_S1C_S1E_T6_T7_T9_mT8_S1G_bDpT10_ENKUlT_T0_E_clISt17integral_constantIbLb0EES1T_IbLb1EEEEDaS1P_S1Q_EUlS1P_E_NS1_11comp_targetILNS1_3genE2ELNS1_11target_archE906ELNS1_3gpuE6ELNS1_3repE0EEENS1_30default_config_static_selectorELNS0_4arch9wavefront6targetE0EEEvS12_
    .private_segment_fixed_size: 0
    .sgpr_count:     0
    .sgpr_spill_count: 0
    .symbol:         _ZN7rocprim17ROCPRIM_400000_NS6detail17trampoline_kernelINS0_13select_configILj256ELj13ELNS0_17block_load_methodE3ELS4_3ELS4_3ELNS0_20block_scan_algorithmE0ELj4294967295EEENS1_25partition_config_selectorILNS1_17partition_subalgoE4EjNS0_10empty_typeEbEEZZNS1_14partition_implILS8_4ELb0ES6_15HIP_vector_typeIjLj2EENS0_17counting_iteratorIjlEEPS9_SG_NS0_5tupleIJPjSI_NS0_16reverse_iteratorISI_EEEEENSH_IJSG_SG_SG_EEES9_SI_JZNS1_25segmented_radix_sort_implINS0_14default_configELb0EPKaPaPKlPlN2at6native12_GLOBAL__N_18offset_tEEE10hipError_tPvRmT1_PNSt15iterator_traitsIS12_E10value_typeET2_T3_PNS13_IS18_E10value_typeET4_jRbjT5_S1E_jjP12ihipStream_tbEUljE_ZNSN_ISO_Lb0ESQ_SR_ST_SU_SY_EESZ_S10_S11_S12_S16_S17_S18_S1B_S1C_jS1D_jS1E_S1E_jjS1G_bEUljE0_EEESZ_S10_S11_S18_S1C_S1E_T6_T7_T9_mT8_S1G_bDpT10_ENKUlT_T0_E_clISt17integral_constantIbLb0EES1T_IbLb1EEEEDaS1P_S1Q_EUlS1P_E_NS1_11comp_targetILNS1_3genE2ELNS1_11target_archE906ELNS1_3gpuE6ELNS1_3repE0EEENS1_30default_config_static_selectorELNS0_4arch9wavefront6targetE0EEEvS12_.kd
    .uniform_work_group_size: 1
    .uses_dynamic_stack: false
    .vgpr_count:     0
    .vgpr_spill_count: 0
    .wavefront_size: 32
    .workgroup_processor_mode: 1
  - .args:
      - .offset:         0
        .size:           184
        .value_kind:     by_value
    .group_segment_fixed_size: 0
    .kernarg_segment_align: 8
    .kernarg_segment_size: 184
    .language:       OpenCL C
    .language_version:
      - 2
      - 0
    .max_flat_workgroup_size: 256
    .name:           _ZN7rocprim17ROCPRIM_400000_NS6detail17trampoline_kernelINS0_13select_configILj256ELj13ELNS0_17block_load_methodE3ELS4_3ELS4_3ELNS0_20block_scan_algorithmE0ELj4294967295EEENS1_25partition_config_selectorILNS1_17partition_subalgoE4EjNS0_10empty_typeEbEEZZNS1_14partition_implILS8_4ELb0ES6_15HIP_vector_typeIjLj2EENS0_17counting_iteratorIjlEEPS9_SG_NS0_5tupleIJPjSI_NS0_16reverse_iteratorISI_EEEEENSH_IJSG_SG_SG_EEES9_SI_JZNS1_25segmented_radix_sort_implINS0_14default_configELb0EPKaPaPKlPlN2at6native12_GLOBAL__N_18offset_tEEE10hipError_tPvRmT1_PNSt15iterator_traitsIS12_E10value_typeET2_T3_PNS13_IS18_E10value_typeET4_jRbjT5_S1E_jjP12ihipStream_tbEUljE_ZNSN_ISO_Lb0ESQ_SR_ST_SU_SY_EESZ_S10_S11_S12_S16_S17_S18_S1B_S1C_jS1D_jS1E_S1E_jjS1G_bEUljE0_EEESZ_S10_S11_S18_S1C_S1E_T6_T7_T9_mT8_S1G_bDpT10_ENKUlT_T0_E_clISt17integral_constantIbLb0EES1T_IbLb1EEEEDaS1P_S1Q_EUlS1P_E_NS1_11comp_targetILNS1_3genE10ELNS1_11target_archE1200ELNS1_3gpuE4ELNS1_3repE0EEENS1_30default_config_static_selectorELNS0_4arch9wavefront6targetE0EEEvS12_
    .private_segment_fixed_size: 0
    .sgpr_count:     0
    .sgpr_spill_count: 0
    .symbol:         _ZN7rocprim17ROCPRIM_400000_NS6detail17trampoline_kernelINS0_13select_configILj256ELj13ELNS0_17block_load_methodE3ELS4_3ELS4_3ELNS0_20block_scan_algorithmE0ELj4294967295EEENS1_25partition_config_selectorILNS1_17partition_subalgoE4EjNS0_10empty_typeEbEEZZNS1_14partition_implILS8_4ELb0ES6_15HIP_vector_typeIjLj2EENS0_17counting_iteratorIjlEEPS9_SG_NS0_5tupleIJPjSI_NS0_16reverse_iteratorISI_EEEEENSH_IJSG_SG_SG_EEES9_SI_JZNS1_25segmented_radix_sort_implINS0_14default_configELb0EPKaPaPKlPlN2at6native12_GLOBAL__N_18offset_tEEE10hipError_tPvRmT1_PNSt15iterator_traitsIS12_E10value_typeET2_T3_PNS13_IS18_E10value_typeET4_jRbjT5_S1E_jjP12ihipStream_tbEUljE_ZNSN_ISO_Lb0ESQ_SR_ST_SU_SY_EESZ_S10_S11_S12_S16_S17_S18_S1B_S1C_jS1D_jS1E_S1E_jjS1G_bEUljE0_EEESZ_S10_S11_S18_S1C_S1E_T6_T7_T9_mT8_S1G_bDpT10_ENKUlT_T0_E_clISt17integral_constantIbLb0EES1T_IbLb1EEEEDaS1P_S1Q_EUlS1P_E_NS1_11comp_targetILNS1_3genE10ELNS1_11target_archE1200ELNS1_3gpuE4ELNS1_3repE0EEENS1_30default_config_static_selectorELNS0_4arch9wavefront6targetE0EEEvS12_.kd
    .uniform_work_group_size: 1
    .uses_dynamic_stack: false
    .vgpr_count:     0
    .vgpr_spill_count: 0
    .wavefront_size: 32
    .workgroup_processor_mode: 1
  - .args:
      - .offset:         0
        .size:           184
        .value_kind:     by_value
    .group_segment_fixed_size: 13340
    .kernarg_segment_align: 8
    .kernarg_segment_size: 184
    .language:       OpenCL C
    .language_version:
      - 2
      - 0
    .max_flat_workgroup_size: 256
    .name:           _ZN7rocprim17ROCPRIM_400000_NS6detail17trampoline_kernelINS0_13select_configILj256ELj13ELNS0_17block_load_methodE3ELS4_3ELS4_3ELNS0_20block_scan_algorithmE0ELj4294967295EEENS1_25partition_config_selectorILNS1_17partition_subalgoE4EjNS0_10empty_typeEbEEZZNS1_14partition_implILS8_4ELb0ES6_15HIP_vector_typeIjLj2EENS0_17counting_iteratorIjlEEPS9_SG_NS0_5tupleIJPjSI_NS0_16reverse_iteratorISI_EEEEENSH_IJSG_SG_SG_EEES9_SI_JZNS1_25segmented_radix_sort_implINS0_14default_configELb0EPKaPaPKlPlN2at6native12_GLOBAL__N_18offset_tEEE10hipError_tPvRmT1_PNSt15iterator_traitsIS12_E10value_typeET2_T3_PNS13_IS18_E10value_typeET4_jRbjT5_S1E_jjP12ihipStream_tbEUljE_ZNSN_ISO_Lb0ESQ_SR_ST_SU_SY_EESZ_S10_S11_S12_S16_S17_S18_S1B_S1C_jS1D_jS1E_S1E_jjS1G_bEUljE0_EEESZ_S10_S11_S18_S1C_S1E_T6_T7_T9_mT8_S1G_bDpT10_ENKUlT_T0_E_clISt17integral_constantIbLb0EES1T_IbLb1EEEEDaS1P_S1Q_EUlS1P_E_NS1_11comp_targetILNS1_3genE9ELNS1_11target_archE1100ELNS1_3gpuE3ELNS1_3repE0EEENS1_30default_config_static_selectorELNS0_4arch9wavefront6targetE0EEEvS12_
    .private_segment_fixed_size: 0
    .sgpr_count:     57
    .sgpr_spill_count: 0
    .symbol:         _ZN7rocprim17ROCPRIM_400000_NS6detail17trampoline_kernelINS0_13select_configILj256ELj13ELNS0_17block_load_methodE3ELS4_3ELS4_3ELNS0_20block_scan_algorithmE0ELj4294967295EEENS1_25partition_config_selectorILNS1_17partition_subalgoE4EjNS0_10empty_typeEbEEZZNS1_14partition_implILS8_4ELb0ES6_15HIP_vector_typeIjLj2EENS0_17counting_iteratorIjlEEPS9_SG_NS0_5tupleIJPjSI_NS0_16reverse_iteratorISI_EEEEENSH_IJSG_SG_SG_EEES9_SI_JZNS1_25segmented_radix_sort_implINS0_14default_configELb0EPKaPaPKlPlN2at6native12_GLOBAL__N_18offset_tEEE10hipError_tPvRmT1_PNSt15iterator_traitsIS12_E10value_typeET2_T3_PNS13_IS18_E10value_typeET4_jRbjT5_S1E_jjP12ihipStream_tbEUljE_ZNSN_ISO_Lb0ESQ_SR_ST_SU_SY_EESZ_S10_S11_S12_S16_S17_S18_S1B_S1C_jS1D_jS1E_S1E_jjS1G_bEUljE0_EEESZ_S10_S11_S18_S1C_S1E_T6_T7_T9_mT8_S1G_bDpT10_ENKUlT_T0_E_clISt17integral_constantIbLb0EES1T_IbLb1EEEEDaS1P_S1Q_EUlS1P_E_NS1_11comp_targetILNS1_3genE9ELNS1_11target_archE1100ELNS1_3gpuE3ELNS1_3repE0EEENS1_30default_config_static_selectorELNS0_4arch9wavefront6targetE0EEEvS12_.kd
    .uniform_work_group_size: 1
    .uses_dynamic_stack: false
    .vgpr_count:     103
    .vgpr_spill_count: 0
    .wavefront_size: 32
    .workgroup_processor_mode: 1
  - .args:
      - .offset:         0
        .size:           184
        .value_kind:     by_value
    .group_segment_fixed_size: 0
    .kernarg_segment_align: 8
    .kernarg_segment_size: 184
    .language:       OpenCL C
    .language_version:
      - 2
      - 0
    .max_flat_workgroup_size: 256
    .name:           _ZN7rocprim17ROCPRIM_400000_NS6detail17trampoline_kernelINS0_13select_configILj256ELj13ELNS0_17block_load_methodE3ELS4_3ELS4_3ELNS0_20block_scan_algorithmE0ELj4294967295EEENS1_25partition_config_selectorILNS1_17partition_subalgoE4EjNS0_10empty_typeEbEEZZNS1_14partition_implILS8_4ELb0ES6_15HIP_vector_typeIjLj2EENS0_17counting_iteratorIjlEEPS9_SG_NS0_5tupleIJPjSI_NS0_16reverse_iteratorISI_EEEEENSH_IJSG_SG_SG_EEES9_SI_JZNS1_25segmented_radix_sort_implINS0_14default_configELb0EPKaPaPKlPlN2at6native12_GLOBAL__N_18offset_tEEE10hipError_tPvRmT1_PNSt15iterator_traitsIS12_E10value_typeET2_T3_PNS13_IS18_E10value_typeET4_jRbjT5_S1E_jjP12ihipStream_tbEUljE_ZNSN_ISO_Lb0ESQ_SR_ST_SU_SY_EESZ_S10_S11_S12_S16_S17_S18_S1B_S1C_jS1D_jS1E_S1E_jjS1G_bEUljE0_EEESZ_S10_S11_S18_S1C_S1E_T6_T7_T9_mT8_S1G_bDpT10_ENKUlT_T0_E_clISt17integral_constantIbLb0EES1T_IbLb1EEEEDaS1P_S1Q_EUlS1P_E_NS1_11comp_targetILNS1_3genE8ELNS1_11target_archE1030ELNS1_3gpuE2ELNS1_3repE0EEENS1_30default_config_static_selectorELNS0_4arch9wavefront6targetE0EEEvS12_
    .private_segment_fixed_size: 0
    .sgpr_count:     0
    .sgpr_spill_count: 0
    .symbol:         _ZN7rocprim17ROCPRIM_400000_NS6detail17trampoline_kernelINS0_13select_configILj256ELj13ELNS0_17block_load_methodE3ELS4_3ELS4_3ELNS0_20block_scan_algorithmE0ELj4294967295EEENS1_25partition_config_selectorILNS1_17partition_subalgoE4EjNS0_10empty_typeEbEEZZNS1_14partition_implILS8_4ELb0ES6_15HIP_vector_typeIjLj2EENS0_17counting_iteratorIjlEEPS9_SG_NS0_5tupleIJPjSI_NS0_16reverse_iteratorISI_EEEEENSH_IJSG_SG_SG_EEES9_SI_JZNS1_25segmented_radix_sort_implINS0_14default_configELb0EPKaPaPKlPlN2at6native12_GLOBAL__N_18offset_tEEE10hipError_tPvRmT1_PNSt15iterator_traitsIS12_E10value_typeET2_T3_PNS13_IS18_E10value_typeET4_jRbjT5_S1E_jjP12ihipStream_tbEUljE_ZNSN_ISO_Lb0ESQ_SR_ST_SU_SY_EESZ_S10_S11_S12_S16_S17_S18_S1B_S1C_jS1D_jS1E_S1E_jjS1G_bEUljE0_EEESZ_S10_S11_S18_S1C_S1E_T6_T7_T9_mT8_S1G_bDpT10_ENKUlT_T0_E_clISt17integral_constantIbLb0EES1T_IbLb1EEEEDaS1P_S1Q_EUlS1P_E_NS1_11comp_targetILNS1_3genE8ELNS1_11target_archE1030ELNS1_3gpuE2ELNS1_3repE0EEENS1_30default_config_static_selectorELNS0_4arch9wavefront6targetE0EEEvS12_.kd
    .uniform_work_group_size: 1
    .uses_dynamic_stack: false
    .vgpr_count:     0
    .vgpr_spill_count: 0
    .wavefront_size: 32
    .workgroup_processor_mode: 1
  - .args:
      - .offset:         0
        .size:           144
        .value_kind:     by_value
    .group_segment_fixed_size: 0
    .kernarg_segment_align: 8
    .kernarg_segment_size: 144
    .language:       OpenCL C
    .language_version:
      - 2
      - 0
    .max_flat_workgroup_size: 256
    .name:           _ZN7rocprim17ROCPRIM_400000_NS6detail17trampoline_kernelINS0_13select_configILj256ELj13ELNS0_17block_load_methodE3ELS4_3ELS4_3ELNS0_20block_scan_algorithmE0ELj4294967295EEENS1_25partition_config_selectorILNS1_17partition_subalgoE3EjNS0_10empty_typeEbEEZZNS1_14partition_implILS8_3ELb0ES6_jNS0_17counting_iteratorIjlEEPS9_SE_NS0_5tupleIJPjSE_EEENSF_IJSE_SE_EEES9_SG_JZNS1_25segmented_radix_sort_implINS0_14default_configELb0EPKaPaPKlPlN2at6native12_GLOBAL__N_18offset_tEEE10hipError_tPvRmT1_PNSt15iterator_traitsISY_E10value_typeET2_T3_PNSZ_IS14_E10value_typeET4_jRbjT5_S1A_jjP12ihipStream_tbEUljE_EEESV_SW_SX_S14_S18_S1A_T6_T7_T9_mT8_S1C_bDpT10_ENKUlT_T0_E_clISt17integral_constantIbLb0EES1P_EEDaS1K_S1L_EUlS1K_E_NS1_11comp_targetILNS1_3genE0ELNS1_11target_archE4294967295ELNS1_3gpuE0ELNS1_3repE0EEENS1_30default_config_static_selectorELNS0_4arch9wavefront6targetE0EEEvSY_
    .private_segment_fixed_size: 0
    .sgpr_count:     0
    .sgpr_spill_count: 0
    .symbol:         _ZN7rocprim17ROCPRIM_400000_NS6detail17trampoline_kernelINS0_13select_configILj256ELj13ELNS0_17block_load_methodE3ELS4_3ELS4_3ELNS0_20block_scan_algorithmE0ELj4294967295EEENS1_25partition_config_selectorILNS1_17partition_subalgoE3EjNS0_10empty_typeEbEEZZNS1_14partition_implILS8_3ELb0ES6_jNS0_17counting_iteratorIjlEEPS9_SE_NS0_5tupleIJPjSE_EEENSF_IJSE_SE_EEES9_SG_JZNS1_25segmented_radix_sort_implINS0_14default_configELb0EPKaPaPKlPlN2at6native12_GLOBAL__N_18offset_tEEE10hipError_tPvRmT1_PNSt15iterator_traitsISY_E10value_typeET2_T3_PNSZ_IS14_E10value_typeET4_jRbjT5_S1A_jjP12ihipStream_tbEUljE_EEESV_SW_SX_S14_S18_S1A_T6_T7_T9_mT8_S1C_bDpT10_ENKUlT_T0_E_clISt17integral_constantIbLb0EES1P_EEDaS1K_S1L_EUlS1K_E_NS1_11comp_targetILNS1_3genE0ELNS1_11target_archE4294967295ELNS1_3gpuE0ELNS1_3repE0EEENS1_30default_config_static_selectorELNS0_4arch9wavefront6targetE0EEEvSY_.kd
    .uniform_work_group_size: 1
    .uses_dynamic_stack: false
    .vgpr_count:     0
    .vgpr_spill_count: 0
    .wavefront_size: 32
    .workgroup_processor_mode: 1
  - .args:
      - .offset:         0
        .size:           144
        .value_kind:     by_value
    .group_segment_fixed_size: 0
    .kernarg_segment_align: 8
    .kernarg_segment_size: 144
    .language:       OpenCL C
    .language_version:
      - 2
      - 0
    .max_flat_workgroup_size: 256
    .name:           _ZN7rocprim17ROCPRIM_400000_NS6detail17trampoline_kernelINS0_13select_configILj256ELj13ELNS0_17block_load_methodE3ELS4_3ELS4_3ELNS0_20block_scan_algorithmE0ELj4294967295EEENS1_25partition_config_selectorILNS1_17partition_subalgoE3EjNS0_10empty_typeEbEEZZNS1_14partition_implILS8_3ELb0ES6_jNS0_17counting_iteratorIjlEEPS9_SE_NS0_5tupleIJPjSE_EEENSF_IJSE_SE_EEES9_SG_JZNS1_25segmented_radix_sort_implINS0_14default_configELb0EPKaPaPKlPlN2at6native12_GLOBAL__N_18offset_tEEE10hipError_tPvRmT1_PNSt15iterator_traitsISY_E10value_typeET2_T3_PNSZ_IS14_E10value_typeET4_jRbjT5_S1A_jjP12ihipStream_tbEUljE_EEESV_SW_SX_S14_S18_S1A_T6_T7_T9_mT8_S1C_bDpT10_ENKUlT_T0_E_clISt17integral_constantIbLb0EES1P_EEDaS1K_S1L_EUlS1K_E_NS1_11comp_targetILNS1_3genE5ELNS1_11target_archE942ELNS1_3gpuE9ELNS1_3repE0EEENS1_30default_config_static_selectorELNS0_4arch9wavefront6targetE0EEEvSY_
    .private_segment_fixed_size: 0
    .sgpr_count:     0
    .sgpr_spill_count: 0
    .symbol:         _ZN7rocprim17ROCPRIM_400000_NS6detail17trampoline_kernelINS0_13select_configILj256ELj13ELNS0_17block_load_methodE3ELS4_3ELS4_3ELNS0_20block_scan_algorithmE0ELj4294967295EEENS1_25partition_config_selectorILNS1_17partition_subalgoE3EjNS0_10empty_typeEbEEZZNS1_14partition_implILS8_3ELb0ES6_jNS0_17counting_iteratorIjlEEPS9_SE_NS0_5tupleIJPjSE_EEENSF_IJSE_SE_EEES9_SG_JZNS1_25segmented_radix_sort_implINS0_14default_configELb0EPKaPaPKlPlN2at6native12_GLOBAL__N_18offset_tEEE10hipError_tPvRmT1_PNSt15iterator_traitsISY_E10value_typeET2_T3_PNSZ_IS14_E10value_typeET4_jRbjT5_S1A_jjP12ihipStream_tbEUljE_EEESV_SW_SX_S14_S18_S1A_T6_T7_T9_mT8_S1C_bDpT10_ENKUlT_T0_E_clISt17integral_constantIbLb0EES1P_EEDaS1K_S1L_EUlS1K_E_NS1_11comp_targetILNS1_3genE5ELNS1_11target_archE942ELNS1_3gpuE9ELNS1_3repE0EEENS1_30default_config_static_selectorELNS0_4arch9wavefront6targetE0EEEvSY_.kd
    .uniform_work_group_size: 1
    .uses_dynamic_stack: false
    .vgpr_count:     0
    .vgpr_spill_count: 0
    .wavefront_size: 32
    .workgroup_processor_mode: 1
  - .args:
      - .offset:         0
        .size:           144
        .value_kind:     by_value
    .group_segment_fixed_size: 0
    .kernarg_segment_align: 8
    .kernarg_segment_size: 144
    .language:       OpenCL C
    .language_version:
      - 2
      - 0
    .max_flat_workgroup_size: 256
    .name:           _ZN7rocprim17ROCPRIM_400000_NS6detail17trampoline_kernelINS0_13select_configILj256ELj13ELNS0_17block_load_methodE3ELS4_3ELS4_3ELNS0_20block_scan_algorithmE0ELj4294967295EEENS1_25partition_config_selectorILNS1_17partition_subalgoE3EjNS0_10empty_typeEbEEZZNS1_14partition_implILS8_3ELb0ES6_jNS0_17counting_iteratorIjlEEPS9_SE_NS0_5tupleIJPjSE_EEENSF_IJSE_SE_EEES9_SG_JZNS1_25segmented_radix_sort_implINS0_14default_configELb0EPKaPaPKlPlN2at6native12_GLOBAL__N_18offset_tEEE10hipError_tPvRmT1_PNSt15iterator_traitsISY_E10value_typeET2_T3_PNSZ_IS14_E10value_typeET4_jRbjT5_S1A_jjP12ihipStream_tbEUljE_EEESV_SW_SX_S14_S18_S1A_T6_T7_T9_mT8_S1C_bDpT10_ENKUlT_T0_E_clISt17integral_constantIbLb0EES1P_EEDaS1K_S1L_EUlS1K_E_NS1_11comp_targetILNS1_3genE4ELNS1_11target_archE910ELNS1_3gpuE8ELNS1_3repE0EEENS1_30default_config_static_selectorELNS0_4arch9wavefront6targetE0EEEvSY_
    .private_segment_fixed_size: 0
    .sgpr_count:     0
    .sgpr_spill_count: 0
    .symbol:         _ZN7rocprim17ROCPRIM_400000_NS6detail17trampoline_kernelINS0_13select_configILj256ELj13ELNS0_17block_load_methodE3ELS4_3ELS4_3ELNS0_20block_scan_algorithmE0ELj4294967295EEENS1_25partition_config_selectorILNS1_17partition_subalgoE3EjNS0_10empty_typeEbEEZZNS1_14partition_implILS8_3ELb0ES6_jNS0_17counting_iteratorIjlEEPS9_SE_NS0_5tupleIJPjSE_EEENSF_IJSE_SE_EEES9_SG_JZNS1_25segmented_radix_sort_implINS0_14default_configELb0EPKaPaPKlPlN2at6native12_GLOBAL__N_18offset_tEEE10hipError_tPvRmT1_PNSt15iterator_traitsISY_E10value_typeET2_T3_PNSZ_IS14_E10value_typeET4_jRbjT5_S1A_jjP12ihipStream_tbEUljE_EEESV_SW_SX_S14_S18_S1A_T6_T7_T9_mT8_S1C_bDpT10_ENKUlT_T0_E_clISt17integral_constantIbLb0EES1P_EEDaS1K_S1L_EUlS1K_E_NS1_11comp_targetILNS1_3genE4ELNS1_11target_archE910ELNS1_3gpuE8ELNS1_3repE0EEENS1_30default_config_static_selectorELNS0_4arch9wavefront6targetE0EEEvSY_.kd
    .uniform_work_group_size: 1
    .uses_dynamic_stack: false
    .vgpr_count:     0
    .vgpr_spill_count: 0
    .wavefront_size: 32
    .workgroup_processor_mode: 1
  - .args:
      - .offset:         0
        .size:           144
        .value_kind:     by_value
    .group_segment_fixed_size: 0
    .kernarg_segment_align: 8
    .kernarg_segment_size: 144
    .language:       OpenCL C
    .language_version:
      - 2
      - 0
    .max_flat_workgroup_size: 256
    .name:           _ZN7rocprim17ROCPRIM_400000_NS6detail17trampoline_kernelINS0_13select_configILj256ELj13ELNS0_17block_load_methodE3ELS4_3ELS4_3ELNS0_20block_scan_algorithmE0ELj4294967295EEENS1_25partition_config_selectorILNS1_17partition_subalgoE3EjNS0_10empty_typeEbEEZZNS1_14partition_implILS8_3ELb0ES6_jNS0_17counting_iteratorIjlEEPS9_SE_NS0_5tupleIJPjSE_EEENSF_IJSE_SE_EEES9_SG_JZNS1_25segmented_radix_sort_implINS0_14default_configELb0EPKaPaPKlPlN2at6native12_GLOBAL__N_18offset_tEEE10hipError_tPvRmT1_PNSt15iterator_traitsISY_E10value_typeET2_T3_PNSZ_IS14_E10value_typeET4_jRbjT5_S1A_jjP12ihipStream_tbEUljE_EEESV_SW_SX_S14_S18_S1A_T6_T7_T9_mT8_S1C_bDpT10_ENKUlT_T0_E_clISt17integral_constantIbLb0EES1P_EEDaS1K_S1L_EUlS1K_E_NS1_11comp_targetILNS1_3genE3ELNS1_11target_archE908ELNS1_3gpuE7ELNS1_3repE0EEENS1_30default_config_static_selectorELNS0_4arch9wavefront6targetE0EEEvSY_
    .private_segment_fixed_size: 0
    .sgpr_count:     0
    .sgpr_spill_count: 0
    .symbol:         _ZN7rocprim17ROCPRIM_400000_NS6detail17trampoline_kernelINS0_13select_configILj256ELj13ELNS0_17block_load_methodE3ELS4_3ELS4_3ELNS0_20block_scan_algorithmE0ELj4294967295EEENS1_25partition_config_selectorILNS1_17partition_subalgoE3EjNS0_10empty_typeEbEEZZNS1_14partition_implILS8_3ELb0ES6_jNS0_17counting_iteratorIjlEEPS9_SE_NS0_5tupleIJPjSE_EEENSF_IJSE_SE_EEES9_SG_JZNS1_25segmented_radix_sort_implINS0_14default_configELb0EPKaPaPKlPlN2at6native12_GLOBAL__N_18offset_tEEE10hipError_tPvRmT1_PNSt15iterator_traitsISY_E10value_typeET2_T3_PNSZ_IS14_E10value_typeET4_jRbjT5_S1A_jjP12ihipStream_tbEUljE_EEESV_SW_SX_S14_S18_S1A_T6_T7_T9_mT8_S1C_bDpT10_ENKUlT_T0_E_clISt17integral_constantIbLb0EES1P_EEDaS1K_S1L_EUlS1K_E_NS1_11comp_targetILNS1_3genE3ELNS1_11target_archE908ELNS1_3gpuE7ELNS1_3repE0EEENS1_30default_config_static_selectorELNS0_4arch9wavefront6targetE0EEEvSY_.kd
    .uniform_work_group_size: 1
    .uses_dynamic_stack: false
    .vgpr_count:     0
    .vgpr_spill_count: 0
    .wavefront_size: 32
    .workgroup_processor_mode: 1
  - .args:
      - .offset:         0
        .size:           144
        .value_kind:     by_value
    .group_segment_fixed_size: 0
    .kernarg_segment_align: 8
    .kernarg_segment_size: 144
    .language:       OpenCL C
    .language_version:
      - 2
      - 0
    .max_flat_workgroup_size: 256
    .name:           _ZN7rocprim17ROCPRIM_400000_NS6detail17trampoline_kernelINS0_13select_configILj256ELj13ELNS0_17block_load_methodE3ELS4_3ELS4_3ELNS0_20block_scan_algorithmE0ELj4294967295EEENS1_25partition_config_selectorILNS1_17partition_subalgoE3EjNS0_10empty_typeEbEEZZNS1_14partition_implILS8_3ELb0ES6_jNS0_17counting_iteratorIjlEEPS9_SE_NS0_5tupleIJPjSE_EEENSF_IJSE_SE_EEES9_SG_JZNS1_25segmented_radix_sort_implINS0_14default_configELb0EPKaPaPKlPlN2at6native12_GLOBAL__N_18offset_tEEE10hipError_tPvRmT1_PNSt15iterator_traitsISY_E10value_typeET2_T3_PNSZ_IS14_E10value_typeET4_jRbjT5_S1A_jjP12ihipStream_tbEUljE_EEESV_SW_SX_S14_S18_S1A_T6_T7_T9_mT8_S1C_bDpT10_ENKUlT_T0_E_clISt17integral_constantIbLb0EES1P_EEDaS1K_S1L_EUlS1K_E_NS1_11comp_targetILNS1_3genE2ELNS1_11target_archE906ELNS1_3gpuE6ELNS1_3repE0EEENS1_30default_config_static_selectorELNS0_4arch9wavefront6targetE0EEEvSY_
    .private_segment_fixed_size: 0
    .sgpr_count:     0
    .sgpr_spill_count: 0
    .symbol:         _ZN7rocprim17ROCPRIM_400000_NS6detail17trampoline_kernelINS0_13select_configILj256ELj13ELNS0_17block_load_methodE3ELS4_3ELS4_3ELNS0_20block_scan_algorithmE0ELj4294967295EEENS1_25partition_config_selectorILNS1_17partition_subalgoE3EjNS0_10empty_typeEbEEZZNS1_14partition_implILS8_3ELb0ES6_jNS0_17counting_iteratorIjlEEPS9_SE_NS0_5tupleIJPjSE_EEENSF_IJSE_SE_EEES9_SG_JZNS1_25segmented_radix_sort_implINS0_14default_configELb0EPKaPaPKlPlN2at6native12_GLOBAL__N_18offset_tEEE10hipError_tPvRmT1_PNSt15iterator_traitsISY_E10value_typeET2_T3_PNSZ_IS14_E10value_typeET4_jRbjT5_S1A_jjP12ihipStream_tbEUljE_EEESV_SW_SX_S14_S18_S1A_T6_T7_T9_mT8_S1C_bDpT10_ENKUlT_T0_E_clISt17integral_constantIbLb0EES1P_EEDaS1K_S1L_EUlS1K_E_NS1_11comp_targetILNS1_3genE2ELNS1_11target_archE906ELNS1_3gpuE6ELNS1_3repE0EEENS1_30default_config_static_selectorELNS0_4arch9wavefront6targetE0EEEvSY_.kd
    .uniform_work_group_size: 1
    .uses_dynamic_stack: false
    .vgpr_count:     0
    .vgpr_spill_count: 0
    .wavefront_size: 32
    .workgroup_processor_mode: 1
  - .args:
      - .offset:         0
        .size:           144
        .value_kind:     by_value
    .group_segment_fixed_size: 0
    .kernarg_segment_align: 8
    .kernarg_segment_size: 144
    .language:       OpenCL C
    .language_version:
      - 2
      - 0
    .max_flat_workgroup_size: 256
    .name:           _ZN7rocprim17ROCPRIM_400000_NS6detail17trampoline_kernelINS0_13select_configILj256ELj13ELNS0_17block_load_methodE3ELS4_3ELS4_3ELNS0_20block_scan_algorithmE0ELj4294967295EEENS1_25partition_config_selectorILNS1_17partition_subalgoE3EjNS0_10empty_typeEbEEZZNS1_14partition_implILS8_3ELb0ES6_jNS0_17counting_iteratorIjlEEPS9_SE_NS0_5tupleIJPjSE_EEENSF_IJSE_SE_EEES9_SG_JZNS1_25segmented_radix_sort_implINS0_14default_configELb0EPKaPaPKlPlN2at6native12_GLOBAL__N_18offset_tEEE10hipError_tPvRmT1_PNSt15iterator_traitsISY_E10value_typeET2_T3_PNSZ_IS14_E10value_typeET4_jRbjT5_S1A_jjP12ihipStream_tbEUljE_EEESV_SW_SX_S14_S18_S1A_T6_T7_T9_mT8_S1C_bDpT10_ENKUlT_T0_E_clISt17integral_constantIbLb0EES1P_EEDaS1K_S1L_EUlS1K_E_NS1_11comp_targetILNS1_3genE10ELNS1_11target_archE1200ELNS1_3gpuE4ELNS1_3repE0EEENS1_30default_config_static_selectorELNS0_4arch9wavefront6targetE0EEEvSY_
    .private_segment_fixed_size: 0
    .sgpr_count:     0
    .sgpr_spill_count: 0
    .symbol:         _ZN7rocprim17ROCPRIM_400000_NS6detail17trampoline_kernelINS0_13select_configILj256ELj13ELNS0_17block_load_methodE3ELS4_3ELS4_3ELNS0_20block_scan_algorithmE0ELj4294967295EEENS1_25partition_config_selectorILNS1_17partition_subalgoE3EjNS0_10empty_typeEbEEZZNS1_14partition_implILS8_3ELb0ES6_jNS0_17counting_iteratorIjlEEPS9_SE_NS0_5tupleIJPjSE_EEENSF_IJSE_SE_EEES9_SG_JZNS1_25segmented_radix_sort_implINS0_14default_configELb0EPKaPaPKlPlN2at6native12_GLOBAL__N_18offset_tEEE10hipError_tPvRmT1_PNSt15iterator_traitsISY_E10value_typeET2_T3_PNSZ_IS14_E10value_typeET4_jRbjT5_S1A_jjP12ihipStream_tbEUljE_EEESV_SW_SX_S14_S18_S1A_T6_T7_T9_mT8_S1C_bDpT10_ENKUlT_T0_E_clISt17integral_constantIbLb0EES1P_EEDaS1K_S1L_EUlS1K_E_NS1_11comp_targetILNS1_3genE10ELNS1_11target_archE1200ELNS1_3gpuE4ELNS1_3repE0EEENS1_30default_config_static_selectorELNS0_4arch9wavefront6targetE0EEEvSY_.kd
    .uniform_work_group_size: 1
    .uses_dynamic_stack: false
    .vgpr_count:     0
    .vgpr_spill_count: 0
    .wavefront_size: 32
    .workgroup_processor_mode: 1
  - .args:
      - .offset:         0
        .size:           144
        .value_kind:     by_value
    .group_segment_fixed_size: 13324
    .kernarg_segment_align: 8
    .kernarg_segment_size: 144
    .language:       OpenCL C
    .language_version:
      - 2
      - 0
    .max_flat_workgroup_size: 256
    .name:           _ZN7rocprim17ROCPRIM_400000_NS6detail17trampoline_kernelINS0_13select_configILj256ELj13ELNS0_17block_load_methodE3ELS4_3ELS4_3ELNS0_20block_scan_algorithmE0ELj4294967295EEENS1_25partition_config_selectorILNS1_17partition_subalgoE3EjNS0_10empty_typeEbEEZZNS1_14partition_implILS8_3ELb0ES6_jNS0_17counting_iteratorIjlEEPS9_SE_NS0_5tupleIJPjSE_EEENSF_IJSE_SE_EEES9_SG_JZNS1_25segmented_radix_sort_implINS0_14default_configELb0EPKaPaPKlPlN2at6native12_GLOBAL__N_18offset_tEEE10hipError_tPvRmT1_PNSt15iterator_traitsISY_E10value_typeET2_T3_PNSZ_IS14_E10value_typeET4_jRbjT5_S1A_jjP12ihipStream_tbEUljE_EEESV_SW_SX_S14_S18_S1A_T6_T7_T9_mT8_S1C_bDpT10_ENKUlT_T0_E_clISt17integral_constantIbLb0EES1P_EEDaS1K_S1L_EUlS1K_E_NS1_11comp_targetILNS1_3genE9ELNS1_11target_archE1100ELNS1_3gpuE3ELNS1_3repE0EEENS1_30default_config_static_selectorELNS0_4arch9wavefront6targetE0EEEvSY_
    .private_segment_fixed_size: 0
    .sgpr_count:     30
    .sgpr_spill_count: 0
    .symbol:         _ZN7rocprim17ROCPRIM_400000_NS6detail17trampoline_kernelINS0_13select_configILj256ELj13ELNS0_17block_load_methodE3ELS4_3ELS4_3ELNS0_20block_scan_algorithmE0ELj4294967295EEENS1_25partition_config_selectorILNS1_17partition_subalgoE3EjNS0_10empty_typeEbEEZZNS1_14partition_implILS8_3ELb0ES6_jNS0_17counting_iteratorIjlEEPS9_SE_NS0_5tupleIJPjSE_EEENSF_IJSE_SE_EEES9_SG_JZNS1_25segmented_radix_sort_implINS0_14default_configELb0EPKaPaPKlPlN2at6native12_GLOBAL__N_18offset_tEEE10hipError_tPvRmT1_PNSt15iterator_traitsISY_E10value_typeET2_T3_PNSZ_IS14_E10value_typeET4_jRbjT5_S1A_jjP12ihipStream_tbEUljE_EEESV_SW_SX_S14_S18_S1A_T6_T7_T9_mT8_S1C_bDpT10_ENKUlT_T0_E_clISt17integral_constantIbLb0EES1P_EEDaS1K_S1L_EUlS1K_E_NS1_11comp_targetILNS1_3genE9ELNS1_11target_archE1100ELNS1_3gpuE3ELNS1_3repE0EEENS1_30default_config_static_selectorELNS0_4arch9wavefront6targetE0EEEvSY_.kd
    .uniform_work_group_size: 1
    .uses_dynamic_stack: false
    .vgpr_count:     57
    .vgpr_spill_count: 0
    .wavefront_size: 32
    .workgroup_processor_mode: 1
  - .args:
      - .offset:         0
        .size:           144
        .value_kind:     by_value
    .group_segment_fixed_size: 0
    .kernarg_segment_align: 8
    .kernarg_segment_size: 144
    .language:       OpenCL C
    .language_version:
      - 2
      - 0
    .max_flat_workgroup_size: 256
    .name:           _ZN7rocprim17ROCPRIM_400000_NS6detail17trampoline_kernelINS0_13select_configILj256ELj13ELNS0_17block_load_methodE3ELS4_3ELS4_3ELNS0_20block_scan_algorithmE0ELj4294967295EEENS1_25partition_config_selectorILNS1_17partition_subalgoE3EjNS0_10empty_typeEbEEZZNS1_14partition_implILS8_3ELb0ES6_jNS0_17counting_iteratorIjlEEPS9_SE_NS0_5tupleIJPjSE_EEENSF_IJSE_SE_EEES9_SG_JZNS1_25segmented_radix_sort_implINS0_14default_configELb0EPKaPaPKlPlN2at6native12_GLOBAL__N_18offset_tEEE10hipError_tPvRmT1_PNSt15iterator_traitsISY_E10value_typeET2_T3_PNSZ_IS14_E10value_typeET4_jRbjT5_S1A_jjP12ihipStream_tbEUljE_EEESV_SW_SX_S14_S18_S1A_T6_T7_T9_mT8_S1C_bDpT10_ENKUlT_T0_E_clISt17integral_constantIbLb0EES1P_EEDaS1K_S1L_EUlS1K_E_NS1_11comp_targetILNS1_3genE8ELNS1_11target_archE1030ELNS1_3gpuE2ELNS1_3repE0EEENS1_30default_config_static_selectorELNS0_4arch9wavefront6targetE0EEEvSY_
    .private_segment_fixed_size: 0
    .sgpr_count:     0
    .sgpr_spill_count: 0
    .symbol:         _ZN7rocprim17ROCPRIM_400000_NS6detail17trampoline_kernelINS0_13select_configILj256ELj13ELNS0_17block_load_methodE3ELS4_3ELS4_3ELNS0_20block_scan_algorithmE0ELj4294967295EEENS1_25partition_config_selectorILNS1_17partition_subalgoE3EjNS0_10empty_typeEbEEZZNS1_14partition_implILS8_3ELb0ES6_jNS0_17counting_iteratorIjlEEPS9_SE_NS0_5tupleIJPjSE_EEENSF_IJSE_SE_EEES9_SG_JZNS1_25segmented_radix_sort_implINS0_14default_configELb0EPKaPaPKlPlN2at6native12_GLOBAL__N_18offset_tEEE10hipError_tPvRmT1_PNSt15iterator_traitsISY_E10value_typeET2_T3_PNSZ_IS14_E10value_typeET4_jRbjT5_S1A_jjP12ihipStream_tbEUljE_EEESV_SW_SX_S14_S18_S1A_T6_T7_T9_mT8_S1C_bDpT10_ENKUlT_T0_E_clISt17integral_constantIbLb0EES1P_EEDaS1K_S1L_EUlS1K_E_NS1_11comp_targetILNS1_3genE8ELNS1_11target_archE1030ELNS1_3gpuE2ELNS1_3repE0EEENS1_30default_config_static_selectorELNS0_4arch9wavefront6targetE0EEEvSY_.kd
    .uniform_work_group_size: 1
    .uses_dynamic_stack: false
    .vgpr_count:     0
    .vgpr_spill_count: 0
    .wavefront_size: 32
    .workgroup_processor_mode: 1
  - .args:
      - .offset:         0
        .size:           152
        .value_kind:     by_value
    .group_segment_fixed_size: 0
    .kernarg_segment_align: 8
    .kernarg_segment_size: 152
    .language:       OpenCL C
    .language_version:
      - 2
      - 0
    .max_flat_workgroup_size: 256
    .name:           _ZN7rocprim17ROCPRIM_400000_NS6detail17trampoline_kernelINS0_13select_configILj256ELj13ELNS0_17block_load_methodE3ELS4_3ELS4_3ELNS0_20block_scan_algorithmE0ELj4294967295EEENS1_25partition_config_selectorILNS1_17partition_subalgoE3EjNS0_10empty_typeEbEEZZNS1_14partition_implILS8_3ELb0ES6_jNS0_17counting_iteratorIjlEEPS9_SE_NS0_5tupleIJPjSE_EEENSF_IJSE_SE_EEES9_SG_JZNS1_25segmented_radix_sort_implINS0_14default_configELb0EPKaPaPKlPlN2at6native12_GLOBAL__N_18offset_tEEE10hipError_tPvRmT1_PNSt15iterator_traitsISY_E10value_typeET2_T3_PNSZ_IS14_E10value_typeET4_jRbjT5_S1A_jjP12ihipStream_tbEUljE_EEESV_SW_SX_S14_S18_S1A_T6_T7_T9_mT8_S1C_bDpT10_ENKUlT_T0_E_clISt17integral_constantIbLb1EES1P_EEDaS1K_S1L_EUlS1K_E_NS1_11comp_targetILNS1_3genE0ELNS1_11target_archE4294967295ELNS1_3gpuE0ELNS1_3repE0EEENS1_30default_config_static_selectorELNS0_4arch9wavefront6targetE0EEEvSY_
    .private_segment_fixed_size: 0
    .sgpr_count:     0
    .sgpr_spill_count: 0
    .symbol:         _ZN7rocprim17ROCPRIM_400000_NS6detail17trampoline_kernelINS0_13select_configILj256ELj13ELNS0_17block_load_methodE3ELS4_3ELS4_3ELNS0_20block_scan_algorithmE0ELj4294967295EEENS1_25partition_config_selectorILNS1_17partition_subalgoE3EjNS0_10empty_typeEbEEZZNS1_14partition_implILS8_3ELb0ES6_jNS0_17counting_iteratorIjlEEPS9_SE_NS0_5tupleIJPjSE_EEENSF_IJSE_SE_EEES9_SG_JZNS1_25segmented_radix_sort_implINS0_14default_configELb0EPKaPaPKlPlN2at6native12_GLOBAL__N_18offset_tEEE10hipError_tPvRmT1_PNSt15iterator_traitsISY_E10value_typeET2_T3_PNSZ_IS14_E10value_typeET4_jRbjT5_S1A_jjP12ihipStream_tbEUljE_EEESV_SW_SX_S14_S18_S1A_T6_T7_T9_mT8_S1C_bDpT10_ENKUlT_T0_E_clISt17integral_constantIbLb1EES1P_EEDaS1K_S1L_EUlS1K_E_NS1_11comp_targetILNS1_3genE0ELNS1_11target_archE4294967295ELNS1_3gpuE0ELNS1_3repE0EEENS1_30default_config_static_selectorELNS0_4arch9wavefront6targetE0EEEvSY_.kd
    .uniform_work_group_size: 1
    .uses_dynamic_stack: false
    .vgpr_count:     0
    .vgpr_spill_count: 0
    .wavefront_size: 32
    .workgroup_processor_mode: 1
  - .args:
      - .offset:         0
        .size:           152
        .value_kind:     by_value
    .group_segment_fixed_size: 0
    .kernarg_segment_align: 8
    .kernarg_segment_size: 152
    .language:       OpenCL C
    .language_version:
      - 2
      - 0
    .max_flat_workgroup_size: 256
    .name:           _ZN7rocprim17ROCPRIM_400000_NS6detail17trampoline_kernelINS0_13select_configILj256ELj13ELNS0_17block_load_methodE3ELS4_3ELS4_3ELNS0_20block_scan_algorithmE0ELj4294967295EEENS1_25partition_config_selectorILNS1_17partition_subalgoE3EjNS0_10empty_typeEbEEZZNS1_14partition_implILS8_3ELb0ES6_jNS0_17counting_iteratorIjlEEPS9_SE_NS0_5tupleIJPjSE_EEENSF_IJSE_SE_EEES9_SG_JZNS1_25segmented_radix_sort_implINS0_14default_configELb0EPKaPaPKlPlN2at6native12_GLOBAL__N_18offset_tEEE10hipError_tPvRmT1_PNSt15iterator_traitsISY_E10value_typeET2_T3_PNSZ_IS14_E10value_typeET4_jRbjT5_S1A_jjP12ihipStream_tbEUljE_EEESV_SW_SX_S14_S18_S1A_T6_T7_T9_mT8_S1C_bDpT10_ENKUlT_T0_E_clISt17integral_constantIbLb1EES1P_EEDaS1K_S1L_EUlS1K_E_NS1_11comp_targetILNS1_3genE5ELNS1_11target_archE942ELNS1_3gpuE9ELNS1_3repE0EEENS1_30default_config_static_selectorELNS0_4arch9wavefront6targetE0EEEvSY_
    .private_segment_fixed_size: 0
    .sgpr_count:     0
    .sgpr_spill_count: 0
    .symbol:         _ZN7rocprim17ROCPRIM_400000_NS6detail17trampoline_kernelINS0_13select_configILj256ELj13ELNS0_17block_load_methodE3ELS4_3ELS4_3ELNS0_20block_scan_algorithmE0ELj4294967295EEENS1_25partition_config_selectorILNS1_17partition_subalgoE3EjNS0_10empty_typeEbEEZZNS1_14partition_implILS8_3ELb0ES6_jNS0_17counting_iteratorIjlEEPS9_SE_NS0_5tupleIJPjSE_EEENSF_IJSE_SE_EEES9_SG_JZNS1_25segmented_radix_sort_implINS0_14default_configELb0EPKaPaPKlPlN2at6native12_GLOBAL__N_18offset_tEEE10hipError_tPvRmT1_PNSt15iterator_traitsISY_E10value_typeET2_T3_PNSZ_IS14_E10value_typeET4_jRbjT5_S1A_jjP12ihipStream_tbEUljE_EEESV_SW_SX_S14_S18_S1A_T6_T7_T9_mT8_S1C_bDpT10_ENKUlT_T0_E_clISt17integral_constantIbLb1EES1P_EEDaS1K_S1L_EUlS1K_E_NS1_11comp_targetILNS1_3genE5ELNS1_11target_archE942ELNS1_3gpuE9ELNS1_3repE0EEENS1_30default_config_static_selectorELNS0_4arch9wavefront6targetE0EEEvSY_.kd
    .uniform_work_group_size: 1
    .uses_dynamic_stack: false
    .vgpr_count:     0
    .vgpr_spill_count: 0
    .wavefront_size: 32
    .workgroup_processor_mode: 1
  - .args:
      - .offset:         0
        .size:           152
        .value_kind:     by_value
    .group_segment_fixed_size: 0
    .kernarg_segment_align: 8
    .kernarg_segment_size: 152
    .language:       OpenCL C
    .language_version:
      - 2
      - 0
    .max_flat_workgroup_size: 256
    .name:           _ZN7rocprim17ROCPRIM_400000_NS6detail17trampoline_kernelINS0_13select_configILj256ELj13ELNS0_17block_load_methodE3ELS4_3ELS4_3ELNS0_20block_scan_algorithmE0ELj4294967295EEENS1_25partition_config_selectorILNS1_17partition_subalgoE3EjNS0_10empty_typeEbEEZZNS1_14partition_implILS8_3ELb0ES6_jNS0_17counting_iteratorIjlEEPS9_SE_NS0_5tupleIJPjSE_EEENSF_IJSE_SE_EEES9_SG_JZNS1_25segmented_radix_sort_implINS0_14default_configELb0EPKaPaPKlPlN2at6native12_GLOBAL__N_18offset_tEEE10hipError_tPvRmT1_PNSt15iterator_traitsISY_E10value_typeET2_T3_PNSZ_IS14_E10value_typeET4_jRbjT5_S1A_jjP12ihipStream_tbEUljE_EEESV_SW_SX_S14_S18_S1A_T6_T7_T9_mT8_S1C_bDpT10_ENKUlT_T0_E_clISt17integral_constantIbLb1EES1P_EEDaS1K_S1L_EUlS1K_E_NS1_11comp_targetILNS1_3genE4ELNS1_11target_archE910ELNS1_3gpuE8ELNS1_3repE0EEENS1_30default_config_static_selectorELNS0_4arch9wavefront6targetE0EEEvSY_
    .private_segment_fixed_size: 0
    .sgpr_count:     0
    .sgpr_spill_count: 0
    .symbol:         _ZN7rocprim17ROCPRIM_400000_NS6detail17trampoline_kernelINS0_13select_configILj256ELj13ELNS0_17block_load_methodE3ELS4_3ELS4_3ELNS0_20block_scan_algorithmE0ELj4294967295EEENS1_25partition_config_selectorILNS1_17partition_subalgoE3EjNS0_10empty_typeEbEEZZNS1_14partition_implILS8_3ELb0ES6_jNS0_17counting_iteratorIjlEEPS9_SE_NS0_5tupleIJPjSE_EEENSF_IJSE_SE_EEES9_SG_JZNS1_25segmented_radix_sort_implINS0_14default_configELb0EPKaPaPKlPlN2at6native12_GLOBAL__N_18offset_tEEE10hipError_tPvRmT1_PNSt15iterator_traitsISY_E10value_typeET2_T3_PNSZ_IS14_E10value_typeET4_jRbjT5_S1A_jjP12ihipStream_tbEUljE_EEESV_SW_SX_S14_S18_S1A_T6_T7_T9_mT8_S1C_bDpT10_ENKUlT_T0_E_clISt17integral_constantIbLb1EES1P_EEDaS1K_S1L_EUlS1K_E_NS1_11comp_targetILNS1_3genE4ELNS1_11target_archE910ELNS1_3gpuE8ELNS1_3repE0EEENS1_30default_config_static_selectorELNS0_4arch9wavefront6targetE0EEEvSY_.kd
    .uniform_work_group_size: 1
    .uses_dynamic_stack: false
    .vgpr_count:     0
    .vgpr_spill_count: 0
    .wavefront_size: 32
    .workgroup_processor_mode: 1
  - .args:
      - .offset:         0
        .size:           152
        .value_kind:     by_value
    .group_segment_fixed_size: 0
    .kernarg_segment_align: 8
    .kernarg_segment_size: 152
    .language:       OpenCL C
    .language_version:
      - 2
      - 0
    .max_flat_workgroup_size: 256
    .name:           _ZN7rocprim17ROCPRIM_400000_NS6detail17trampoline_kernelINS0_13select_configILj256ELj13ELNS0_17block_load_methodE3ELS4_3ELS4_3ELNS0_20block_scan_algorithmE0ELj4294967295EEENS1_25partition_config_selectorILNS1_17partition_subalgoE3EjNS0_10empty_typeEbEEZZNS1_14partition_implILS8_3ELb0ES6_jNS0_17counting_iteratorIjlEEPS9_SE_NS0_5tupleIJPjSE_EEENSF_IJSE_SE_EEES9_SG_JZNS1_25segmented_radix_sort_implINS0_14default_configELb0EPKaPaPKlPlN2at6native12_GLOBAL__N_18offset_tEEE10hipError_tPvRmT1_PNSt15iterator_traitsISY_E10value_typeET2_T3_PNSZ_IS14_E10value_typeET4_jRbjT5_S1A_jjP12ihipStream_tbEUljE_EEESV_SW_SX_S14_S18_S1A_T6_T7_T9_mT8_S1C_bDpT10_ENKUlT_T0_E_clISt17integral_constantIbLb1EES1P_EEDaS1K_S1L_EUlS1K_E_NS1_11comp_targetILNS1_3genE3ELNS1_11target_archE908ELNS1_3gpuE7ELNS1_3repE0EEENS1_30default_config_static_selectorELNS0_4arch9wavefront6targetE0EEEvSY_
    .private_segment_fixed_size: 0
    .sgpr_count:     0
    .sgpr_spill_count: 0
    .symbol:         _ZN7rocprim17ROCPRIM_400000_NS6detail17trampoline_kernelINS0_13select_configILj256ELj13ELNS0_17block_load_methodE3ELS4_3ELS4_3ELNS0_20block_scan_algorithmE0ELj4294967295EEENS1_25partition_config_selectorILNS1_17partition_subalgoE3EjNS0_10empty_typeEbEEZZNS1_14partition_implILS8_3ELb0ES6_jNS0_17counting_iteratorIjlEEPS9_SE_NS0_5tupleIJPjSE_EEENSF_IJSE_SE_EEES9_SG_JZNS1_25segmented_radix_sort_implINS0_14default_configELb0EPKaPaPKlPlN2at6native12_GLOBAL__N_18offset_tEEE10hipError_tPvRmT1_PNSt15iterator_traitsISY_E10value_typeET2_T3_PNSZ_IS14_E10value_typeET4_jRbjT5_S1A_jjP12ihipStream_tbEUljE_EEESV_SW_SX_S14_S18_S1A_T6_T7_T9_mT8_S1C_bDpT10_ENKUlT_T0_E_clISt17integral_constantIbLb1EES1P_EEDaS1K_S1L_EUlS1K_E_NS1_11comp_targetILNS1_3genE3ELNS1_11target_archE908ELNS1_3gpuE7ELNS1_3repE0EEENS1_30default_config_static_selectorELNS0_4arch9wavefront6targetE0EEEvSY_.kd
    .uniform_work_group_size: 1
    .uses_dynamic_stack: false
    .vgpr_count:     0
    .vgpr_spill_count: 0
    .wavefront_size: 32
    .workgroup_processor_mode: 1
  - .args:
      - .offset:         0
        .size:           152
        .value_kind:     by_value
    .group_segment_fixed_size: 0
    .kernarg_segment_align: 8
    .kernarg_segment_size: 152
    .language:       OpenCL C
    .language_version:
      - 2
      - 0
    .max_flat_workgroup_size: 256
    .name:           _ZN7rocprim17ROCPRIM_400000_NS6detail17trampoline_kernelINS0_13select_configILj256ELj13ELNS0_17block_load_methodE3ELS4_3ELS4_3ELNS0_20block_scan_algorithmE0ELj4294967295EEENS1_25partition_config_selectorILNS1_17partition_subalgoE3EjNS0_10empty_typeEbEEZZNS1_14partition_implILS8_3ELb0ES6_jNS0_17counting_iteratorIjlEEPS9_SE_NS0_5tupleIJPjSE_EEENSF_IJSE_SE_EEES9_SG_JZNS1_25segmented_radix_sort_implINS0_14default_configELb0EPKaPaPKlPlN2at6native12_GLOBAL__N_18offset_tEEE10hipError_tPvRmT1_PNSt15iterator_traitsISY_E10value_typeET2_T3_PNSZ_IS14_E10value_typeET4_jRbjT5_S1A_jjP12ihipStream_tbEUljE_EEESV_SW_SX_S14_S18_S1A_T6_T7_T9_mT8_S1C_bDpT10_ENKUlT_T0_E_clISt17integral_constantIbLb1EES1P_EEDaS1K_S1L_EUlS1K_E_NS1_11comp_targetILNS1_3genE2ELNS1_11target_archE906ELNS1_3gpuE6ELNS1_3repE0EEENS1_30default_config_static_selectorELNS0_4arch9wavefront6targetE0EEEvSY_
    .private_segment_fixed_size: 0
    .sgpr_count:     0
    .sgpr_spill_count: 0
    .symbol:         _ZN7rocprim17ROCPRIM_400000_NS6detail17trampoline_kernelINS0_13select_configILj256ELj13ELNS0_17block_load_methodE3ELS4_3ELS4_3ELNS0_20block_scan_algorithmE0ELj4294967295EEENS1_25partition_config_selectorILNS1_17partition_subalgoE3EjNS0_10empty_typeEbEEZZNS1_14partition_implILS8_3ELb0ES6_jNS0_17counting_iteratorIjlEEPS9_SE_NS0_5tupleIJPjSE_EEENSF_IJSE_SE_EEES9_SG_JZNS1_25segmented_radix_sort_implINS0_14default_configELb0EPKaPaPKlPlN2at6native12_GLOBAL__N_18offset_tEEE10hipError_tPvRmT1_PNSt15iterator_traitsISY_E10value_typeET2_T3_PNSZ_IS14_E10value_typeET4_jRbjT5_S1A_jjP12ihipStream_tbEUljE_EEESV_SW_SX_S14_S18_S1A_T6_T7_T9_mT8_S1C_bDpT10_ENKUlT_T0_E_clISt17integral_constantIbLb1EES1P_EEDaS1K_S1L_EUlS1K_E_NS1_11comp_targetILNS1_3genE2ELNS1_11target_archE906ELNS1_3gpuE6ELNS1_3repE0EEENS1_30default_config_static_selectorELNS0_4arch9wavefront6targetE0EEEvSY_.kd
    .uniform_work_group_size: 1
    .uses_dynamic_stack: false
    .vgpr_count:     0
    .vgpr_spill_count: 0
    .wavefront_size: 32
    .workgroup_processor_mode: 1
  - .args:
      - .offset:         0
        .size:           152
        .value_kind:     by_value
    .group_segment_fixed_size: 0
    .kernarg_segment_align: 8
    .kernarg_segment_size: 152
    .language:       OpenCL C
    .language_version:
      - 2
      - 0
    .max_flat_workgroup_size: 256
    .name:           _ZN7rocprim17ROCPRIM_400000_NS6detail17trampoline_kernelINS0_13select_configILj256ELj13ELNS0_17block_load_methodE3ELS4_3ELS4_3ELNS0_20block_scan_algorithmE0ELj4294967295EEENS1_25partition_config_selectorILNS1_17partition_subalgoE3EjNS0_10empty_typeEbEEZZNS1_14partition_implILS8_3ELb0ES6_jNS0_17counting_iteratorIjlEEPS9_SE_NS0_5tupleIJPjSE_EEENSF_IJSE_SE_EEES9_SG_JZNS1_25segmented_radix_sort_implINS0_14default_configELb0EPKaPaPKlPlN2at6native12_GLOBAL__N_18offset_tEEE10hipError_tPvRmT1_PNSt15iterator_traitsISY_E10value_typeET2_T3_PNSZ_IS14_E10value_typeET4_jRbjT5_S1A_jjP12ihipStream_tbEUljE_EEESV_SW_SX_S14_S18_S1A_T6_T7_T9_mT8_S1C_bDpT10_ENKUlT_T0_E_clISt17integral_constantIbLb1EES1P_EEDaS1K_S1L_EUlS1K_E_NS1_11comp_targetILNS1_3genE10ELNS1_11target_archE1200ELNS1_3gpuE4ELNS1_3repE0EEENS1_30default_config_static_selectorELNS0_4arch9wavefront6targetE0EEEvSY_
    .private_segment_fixed_size: 0
    .sgpr_count:     0
    .sgpr_spill_count: 0
    .symbol:         _ZN7rocprim17ROCPRIM_400000_NS6detail17trampoline_kernelINS0_13select_configILj256ELj13ELNS0_17block_load_methodE3ELS4_3ELS4_3ELNS0_20block_scan_algorithmE0ELj4294967295EEENS1_25partition_config_selectorILNS1_17partition_subalgoE3EjNS0_10empty_typeEbEEZZNS1_14partition_implILS8_3ELb0ES6_jNS0_17counting_iteratorIjlEEPS9_SE_NS0_5tupleIJPjSE_EEENSF_IJSE_SE_EEES9_SG_JZNS1_25segmented_radix_sort_implINS0_14default_configELb0EPKaPaPKlPlN2at6native12_GLOBAL__N_18offset_tEEE10hipError_tPvRmT1_PNSt15iterator_traitsISY_E10value_typeET2_T3_PNSZ_IS14_E10value_typeET4_jRbjT5_S1A_jjP12ihipStream_tbEUljE_EEESV_SW_SX_S14_S18_S1A_T6_T7_T9_mT8_S1C_bDpT10_ENKUlT_T0_E_clISt17integral_constantIbLb1EES1P_EEDaS1K_S1L_EUlS1K_E_NS1_11comp_targetILNS1_3genE10ELNS1_11target_archE1200ELNS1_3gpuE4ELNS1_3repE0EEENS1_30default_config_static_selectorELNS0_4arch9wavefront6targetE0EEEvSY_.kd
    .uniform_work_group_size: 1
    .uses_dynamic_stack: false
    .vgpr_count:     0
    .vgpr_spill_count: 0
    .wavefront_size: 32
    .workgroup_processor_mode: 1
  - .args:
      - .offset:         0
        .size:           152
        .value_kind:     by_value
    .group_segment_fixed_size: 13324
    .kernarg_segment_align: 8
    .kernarg_segment_size: 152
    .language:       OpenCL C
    .language_version:
      - 2
      - 0
    .max_flat_workgroup_size: 256
    .name:           _ZN7rocprim17ROCPRIM_400000_NS6detail17trampoline_kernelINS0_13select_configILj256ELj13ELNS0_17block_load_methodE3ELS4_3ELS4_3ELNS0_20block_scan_algorithmE0ELj4294967295EEENS1_25partition_config_selectorILNS1_17partition_subalgoE3EjNS0_10empty_typeEbEEZZNS1_14partition_implILS8_3ELb0ES6_jNS0_17counting_iteratorIjlEEPS9_SE_NS0_5tupleIJPjSE_EEENSF_IJSE_SE_EEES9_SG_JZNS1_25segmented_radix_sort_implINS0_14default_configELb0EPKaPaPKlPlN2at6native12_GLOBAL__N_18offset_tEEE10hipError_tPvRmT1_PNSt15iterator_traitsISY_E10value_typeET2_T3_PNSZ_IS14_E10value_typeET4_jRbjT5_S1A_jjP12ihipStream_tbEUljE_EEESV_SW_SX_S14_S18_S1A_T6_T7_T9_mT8_S1C_bDpT10_ENKUlT_T0_E_clISt17integral_constantIbLb1EES1P_EEDaS1K_S1L_EUlS1K_E_NS1_11comp_targetILNS1_3genE9ELNS1_11target_archE1100ELNS1_3gpuE3ELNS1_3repE0EEENS1_30default_config_static_selectorELNS0_4arch9wavefront6targetE0EEEvSY_
    .private_segment_fixed_size: 0
    .sgpr_count:     28
    .sgpr_spill_count: 0
    .symbol:         _ZN7rocprim17ROCPRIM_400000_NS6detail17trampoline_kernelINS0_13select_configILj256ELj13ELNS0_17block_load_methodE3ELS4_3ELS4_3ELNS0_20block_scan_algorithmE0ELj4294967295EEENS1_25partition_config_selectorILNS1_17partition_subalgoE3EjNS0_10empty_typeEbEEZZNS1_14partition_implILS8_3ELb0ES6_jNS0_17counting_iteratorIjlEEPS9_SE_NS0_5tupleIJPjSE_EEENSF_IJSE_SE_EEES9_SG_JZNS1_25segmented_radix_sort_implINS0_14default_configELb0EPKaPaPKlPlN2at6native12_GLOBAL__N_18offset_tEEE10hipError_tPvRmT1_PNSt15iterator_traitsISY_E10value_typeET2_T3_PNSZ_IS14_E10value_typeET4_jRbjT5_S1A_jjP12ihipStream_tbEUljE_EEESV_SW_SX_S14_S18_S1A_T6_T7_T9_mT8_S1C_bDpT10_ENKUlT_T0_E_clISt17integral_constantIbLb1EES1P_EEDaS1K_S1L_EUlS1K_E_NS1_11comp_targetILNS1_3genE9ELNS1_11target_archE1100ELNS1_3gpuE3ELNS1_3repE0EEENS1_30default_config_static_selectorELNS0_4arch9wavefront6targetE0EEEvSY_.kd
    .uniform_work_group_size: 1
    .uses_dynamic_stack: false
    .vgpr_count:     60
    .vgpr_spill_count: 0
    .wavefront_size: 32
    .workgroup_processor_mode: 1
  - .args:
      - .offset:         0
        .size:           152
        .value_kind:     by_value
    .group_segment_fixed_size: 0
    .kernarg_segment_align: 8
    .kernarg_segment_size: 152
    .language:       OpenCL C
    .language_version:
      - 2
      - 0
    .max_flat_workgroup_size: 256
    .name:           _ZN7rocprim17ROCPRIM_400000_NS6detail17trampoline_kernelINS0_13select_configILj256ELj13ELNS0_17block_load_methodE3ELS4_3ELS4_3ELNS0_20block_scan_algorithmE0ELj4294967295EEENS1_25partition_config_selectorILNS1_17partition_subalgoE3EjNS0_10empty_typeEbEEZZNS1_14partition_implILS8_3ELb0ES6_jNS0_17counting_iteratorIjlEEPS9_SE_NS0_5tupleIJPjSE_EEENSF_IJSE_SE_EEES9_SG_JZNS1_25segmented_radix_sort_implINS0_14default_configELb0EPKaPaPKlPlN2at6native12_GLOBAL__N_18offset_tEEE10hipError_tPvRmT1_PNSt15iterator_traitsISY_E10value_typeET2_T3_PNSZ_IS14_E10value_typeET4_jRbjT5_S1A_jjP12ihipStream_tbEUljE_EEESV_SW_SX_S14_S18_S1A_T6_T7_T9_mT8_S1C_bDpT10_ENKUlT_T0_E_clISt17integral_constantIbLb1EES1P_EEDaS1K_S1L_EUlS1K_E_NS1_11comp_targetILNS1_3genE8ELNS1_11target_archE1030ELNS1_3gpuE2ELNS1_3repE0EEENS1_30default_config_static_selectorELNS0_4arch9wavefront6targetE0EEEvSY_
    .private_segment_fixed_size: 0
    .sgpr_count:     0
    .sgpr_spill_count: 0
    .symbol:         _ZN7rocprim17ROCPRIM_400000_NS6detail17trampoline_kernelINS0_13select_configILj256ELj13ELNS0_17block_load_methodE3ELS4_3ELS4_3ELNS0_20block_scan_algorithmE0ELj4294967295EEENS1_25partition_config_selectorILNS1_17partition_subalgoE3EjNS0_10empty_typeEbEEZZNS1_14partition_implILS8_3ELb0ES6_jNS0_17counting_iteratorIjlEEPS9_SE_NS0_5tupleIJPjSE_EEENSF_IJSE_SE_EEES9_SG_JZNS1_25segmented_radix_sort_implINS0_14default_configELb0EPKaPaPKlPlN2at6native12_GLOBAL__N_18offset_tEEE10hipError_tPvRmT1_PNSt15iterator_traitsISY_E10value_typeET2_T3_PNSZ_IS14_E10value_typeET4_jRbjT5_S1A_jjP12ihipStream_tbEUljE_EEESV_SW_SX_S14_S18_S1A_T6_T7_T9_mT8_S1C_bDpT10_ENKUlT_T0_E_clISt17integral_constantIbLb1EES1P_EEDaS1K_S1L_EUlS1K_E_NS1_11comp_targetILNS1_3genE8ELNS1_11target_archE1030ELNS1_3gpuE2ELNS1_3repE0EEENS1_30default_config_static_selectorELNS0_4arch9wavefront6targetE0EEEvSY_.kd
    .uniform_work_group_size: 1
    .uses_dynamic_stack: false
    .vgpr_count:     0
    .vgpr_spill_count: 0
    .wavefront_size: 32
    .workgroup_processor_mode: 1
  - .args:
      - .offset:         0
        .size:           144
        .value_kind:     by_value
    .group_segment_fixed_size: 0
    .kernarg_segment_align: 8
    .kernarg_segment_size: 144
    .language:       OpenCL C
    .language_version:
      - 2
      - 0
    .max_flat_workgroup_size: 256
    .name:           _ZN7rocprim17ROCPRIM_400000_NS6detail17trampoline_kernelINS0_13select_configILj256ELj13ELNS0_17block_load_methodE3ELS4_3ELS4_3ELNS0_20block_scan_algorithmE0ELj4294967295EEENS1_25partition_config_selectorILNS1_17partition_subalgoE3EjNS0_10empty_typeEbEEZZNS1_14partition_implILS8_3ELb0ES6_jNS0_17counting_iteratorIjlEEPS9_SE_NS0_5tupleIJPjSE_EEENSF_IJSE_SE_EEES9_SG_JZNS1_25segmented_radix_sort_implINS0_14default_configELb0EPKaPaPKlPlN2at6native12_GLOBAL__N_18offset_tEEE10hipError_tPvRmT1_PNSt15iterator_traitsISY_E10value_typeET2_T3_PNSZ_IS14_E10value_typeET4_jRbjT5_S1A_jjP12ihipStream_tbEUljE_EEESV_SW_SX_S14_S18_S1A_T6_T7_T9_mT8_S1C_bDpT10_ENKUlT_T0_E_clISt17integral_constantIbLb1EES1O_IbLb0EEEEDaS1K_S1L_EUlS1K_E_NS1_11comp_targetILNS1_3genE0ELNS1_11target_archE4294967295ELNS1_3gpuE0ELNS1_3repE0EEENS1_30default_config_static_selectorELNS0_4arch9wavefront6targetE0EEEvSY_
    .private_segment_fixed_size: 0
    .sgpr_count:     0
    .sgpr_spill_count: 0
    .symbol:         _ZN7rocprim17ROCPRIM_400000_NS6detail17trampoline_kernelINS0_13select_configILj256ELj13ELNS0_17block_load_methodE3ELS4_3ELS4_3ELNS0_20block_scan_algorithmE0ELj4294967295EEENS1_25partition_config_selectorILNS1_17partition_subalgoE3EjNS0_10empty_typeEbEEZZNS1_14partition_implILS8_3ELb0ES6_jNS0_17counting_iteratorIjlEEPS9_SE_NS0_5tupleIJPjSE_EEENSF_IJSE_SE_EEES9_SG_JZNS1_25segmented_radix_sort_implINS0_14default_configELb0EPKaPaPKlPlN2at6native12_GLOBAL__N_18offset_tEEE10hipError_tPvRmT1_PNSt15iterator_traitsISY_E10value_typeET2_T3_PNSZ_IS14_E10value_typeET4_jRbjT5_S1A_jjP12ihipStream_tbEUljE_EEESV_SW_SX_S14_S18_S1A_T6_T7_T9_mT8_S1C_bDpT10_ENKUlT_T0_E_clISt17integral_constantIbLb1EES1O_IbLb0EEEEDaS1K_S1L_EUlS1K_E_NS1_11comp_targetILNS1_3genE0ELNS1_11target_archE4294967295ELNS1_3gpuE0ELNS1_3repE0EEENS1_30default_config_static_selectorELNS0_4arch9wavefront6targetE0EEEvSY_.kd
    .uniform_work_group_size: 1
    .uses_dynamic_stack: false
    .vgpr_count:     0
    .vgpr_spill_count: 0
    .wavefront_size: 32
    .workgroup_processor_mode: 1
  - .args:
      - .offset:         0
        .size:           144
        .value_kind:     by_value
    .group_segment_fixed_size: 0
    .kernarg_segment_align: 8
    .kernarg_segment_size: 144
    .language:       OpenCL C
    .language_version:
      - 2
      - 0
    .max_flat_workgroup_size: 256
    .name:           _ZN7rocprim17ROCPRIM_400000_NS6detail17trampoline_kernelINS0_13select_configILj256ELj13ELNS0_17block_load_methodE3ELS4_3ELS4_3ELNS0_20block_scan_algorithmE0ELj4294967295EEENS1_25partition_config_selectorILNS1_17partition_subalgoE3EjNS0_10empty_typeEbEEZZNS1_14partition_implILS8_3ELb0ES6_jNS0_17counting_iteratorIjlEEPS9_SE_NS0_5tupleIJPjSE_EEENSF_IJSE_SE_EEES9_SG_JZNS1_25segmented_radix_sort_implINS0_14default_configELb0EPKaPaPKlPlN2at6native12_GLOBAL__N_18offset_tEEE10hipError_tPvRmT1_PNSt15iterator_traitsISY_E10value_typeET2_T3_PNSZ_IS14_E10value_typeET4_jRbjT5_S1A_jjP12ihipStream_tbEUljE_EEESV_SW_SX_S14_S18_S1A_T6_T7_T9_mT8_S1C_bDpT10_ENKUlT_T0_E_clISt17integral_constantIbLb1EES1O_IbLb0EEEEDaS1K_S1L_EUlS1K_E_NS1_11comp_targetILNS1_3genE5ELNS1_11target_archE942ELNS1_3gpuE9ELNS1_3repE0EEENS1_30default_config_static_selectorELNS0_4arch9wavefront6targetE0EEEvSY_
    .private_segment_fixed_size: 0
    .sgpr_count:     0
    .sgpr_spill_count: 0
    .symbol:         _ZN7rocprim17ROCPRIM_400000_NS6detail17trampoline_kernelINS0_13select_configILj256ELj13ELNS0_17block_load_methodE3ELS4_3ELS4_3ELNS0_20block_scan_algorithmE0ELj4294967295EEENS1_25partition_config_selectorILNS1_17partition_subalgoE3EjNS0_10empty_typeEbEEZZNS1_14partition_implILS8_3ELb0ES6_jNS0_17counting_iteratorIjlEEPS9_SE_NS0_5tupleIJPjSE_EEENSF_IJSE_SE_EEES9_SG_JZNS1_25segmented_radix_sort_implINS0_14default_configELb0EPKaPaPKlPlN2at6native12_GLOBAL__N_18offset_tEEE10hipError_tPvRmT1_PNSt15iterator_traitsISY_E10value_typeET2_T3_PNSZ_IS14_E10value_typeET4_jRbjT5_S1A_jjP12ihipStream_tbEUljE_EEESV_SW_SX_S14_S18_S1A_T6_T7_T9_mT8_S1C_bDpT10_ENKUlT_T0_E_clISt17integral_constantIbLb1EES1O_IbLb0EEEEDaS1K_S1L_EUlS1K_E_NS1_11comp_targetILNS1_3genE5ELNS1_11target_archE942ELNS1_3gpuE9ELNS1_3repE0EEENS1_30default_config_static_selectorELNS0_4arch9wavefront6targetE0EEEvSY_.kd
    .uniform_work_group_size: 1
    .uses_dynamic_stack: false
    .vgpr_count:     0
    .vgpr_spill_count: 0
    .wavefront_size: 32
    .workgroup_processor_mode: 1
  - .args:
      - .offset:         0
        .size:           144
        .value_kind:     by_value
    .group_segment_fixed_size: 0
    .kernarg_segment_align: 8
    .kernarg_segment_size: 144
    .language:       OpenCL C
    .language_version:
      - 2
      - 0
    .max_flat_workgroup_size: 256
    .name:           _ZN7rocprim17ROCPRIM_400000_NS6detail17trampoline_kernelINS0_13select_configILj256ELj13ELNS0_17block_load_methodE3ELS4_3ELS4_3ELNS0_20block_scan_algorithmE0ELj4294967295EEENS1_25partition_config_selectorILNS1_17partition_subalgoE3EjNS0_10empty_typeEbEEZZNS1_14partition_implILS8_3ELb0ES6_jNS0_17counting_iteratorIjlEEPS9_SE_NS0_5tupleIJPjSE_EEENSF_IJSE_SE_EEES9_SG_JZNS1_25segmented_radix_sort_implINS0_14default_configELb0EPKaPaPKlPlN2at6native12_GLOBAL__N_18offset_tEEE10hipError_tPvRmT1_PNSt15iterator_traitsISY_E10value_typeET2_T3_PNSZ_IS14_E10value_typeET4_jRbjT5_S1A_jjP12ihipStream_tbEUljE_EEESV_SW_SX_S14_S18_S1A_T6_T7_T9_mT8_S1C_bDpT10_ENKUlT_T0_E_clISt17integral_constantIbLb1EES1O_IbLb0EEEEDaS1K_S1L_EUlS1K_E_NS1_11comp_targetILNS1_3genE4ELNS1_11target_archE910ELNS1_3gpuE8ELNS1_3repE0EEENS1_30default_config_static_selectorELNS0_4arch9wavefront6targetE0EEEvSY_
    .private_segment_fixed_size: 0
    .sgpr_count:     0
    .sgpr_spill_count: 0
    .symbol:         _ZN7rocprim17ROCPRIM_400000_NS6detail17trampoline_kernelINS0_13select_configILj256ELj13ELNS0_17block_load_methodE3ELS4_3ELS4_3ELNS0_20block_scan_algorithmE0ELj4294967295EEENS1_25partition_config_selectorILNS1_17partition_subalgoE3EjNS0_10empty_typeEbEEZZNS1_14partition_implILS8_3ELb0ES6_jNS0_17counting_iteratorIjlEEPS9_SE_NS0_5tupleIJPjSE_EEENSF_IJSE_SE_EEES9_SG_JZNS1_25segmented_radix_sort_implINS0_14default_configELb0EPKaPaPKlPlN2at6native12_GLOBAL__N_18offset_tEEE10hipError_tPvRmT1_PNSt15iterator_traitsISY_E10value_typeET2_T3_PNSZ_IS14_E10value_typeET4_jRbjT5_S1A_jjP12ihipStream_tbEUljE_EEESV_SW_SX_S14_S18_S1A_T6_T7_T9_mT8_S1C_bDpT10_ENKUlT_T0_E_clISt17integral_constantIbLb1EES1O_IbLb0EEEEDaS1K_S1L_EUlS1K_E_NS1_11comp_targetILNS1_3genE4ELNS1_11target_archE910ELNS1_3gpuE8ELNS1_3repE0EEENS1_30default_config_static_selectorELNS0_4arch9wavefront6targetE0EEEvSY_.kd
    .uniform_work_group_size: 1
    .uses_dynamic_stack: false
    .vgpr_count:     0
    .vgpr_spill_count: 0
    .wavefront_size: 32
    .workgroup_processor_mode: 1
  - .args:
      - .offset:         0
        .size:           144
        .value_kind:     by_value
    .group_segment_fixed_size: 0
    .kernarg_segment_align: 8
    .kernarg_segment_size: 144
    .language:       OpenCL C
    .language_version:
      - 2
      - 0
    .max_flat_workgroup_size: 256
    .name:           _ZN7rocprim17ROCPRIM_400000_NS6detail17trampoline_kernelINS0_13select_configILj256ELj13ELNS0_17block_load_methodE3ELS4_3ELS4_3ELNS0_20block_scan_algorithmE0ELj4294967295EEENS1_25partition_config_selectorILNS1_17partition_subalgoE3EjNS0_10empty_typeEbEEZZNS1_14partition_implILS8_3ELb0ES6_jNS0_17counting_iteratorIjlEEPS9_SE_NS0_5tupleIJPjSE_EEENSF_IJSE_SE_EEES9_SG_JZNS1_25segmented_radix_sort_implINS0_14default_configELb0EPKaPaPKlPlN2at6native12_GLOBAL__N_18offset_tEEE10hipError_tPvRmT1_PNSt15iterator_traitsISY_E10value_typeET2_T3_PNSZ_IS14_E10value_typeET4_jRbjT5_S1A_jjP12ihipStream_tbEUljE_EEESV_SW_SX_S14_S18_S1A_T6_T7_T9_mT8_S1C_bDpT10_ENKUlT_T0_E_clISt17integral_constantIbLb1EES1O_IbLb0EEEEDaS1K_S1L_EUlS1K_E_NS1_11comp_targetILNS1_3genE3ELNS1_11target_archE908ELNS1_3gpuE7ELNS1_3repE0EEENS1_30default_config_static_selectorELNS0_4arch9wavefront6targetE0EEEvSY_
    .private_segment_fixed_size: 0
    .sgpr_count:     0
    .sgpr_spill_count: 0
    .symbol:         _ZN7rocprim17ROCPRIM_400000_NS6detail17trampoline_kernelINS0_13select_configILj256ELj13ELNS0_17block_load_methodE3ELS4_3ELS4_3ELNS0_20block_scan_algorithmE0ELj4294967295EEENS1_25partition_config_selectorILNS1_17partition_subalgoE3EjNS0_10empty_typeEbEEZZNS1_14partition_implILS8_3ELb0ES6_jNS0_17counting_iteratorIjlEEPS9_SE_NS0_5tupleIJPjSE_EEENSF_IJSE_SE_EEES9_SG_JZNS1_25segmented_radix_sort_implINS0_14default_configELb0EPKaPaPKlPlN2at6native12_GLOBAL__N_18offset_tEEE10hipError_tPvRmT1_PNSt15iterator_traitsISY_E10value_typeET2_T3_PNSZ_IS14_E10value_typeET4_jRbjT5_S1A_jjP12ihipStream_tbEUljE_EEESV_SW_SX_S14_S18_S1A_T6_T7_T9_mT8_S1C_bDpT10_ENKUlT_T0_E_clISt17integral_constantIbLb1EES1O_IbLb0EEEEDaS1K_S1L_EUlS1K_E_NS1_11comp_targetILNS1_3genE3ELNS1_11target_archE908ELNS1_3gpuE7ELNS1_3repE0EEENS1_30default_config_static_selectorELNS0_4arch9wavefront6targetE0EEEvSY_.kd
    .uniform_work_group_size: 1
    .uses_dynamic_stack: false
    .vgpr_count:     0
    .vgpr_spill_count: 0
    .wavefront_size: 32
    .workgroup_processor_mode: 1
  - .args:
      - .offset:         0
        .size:           144
        .value_kind:     by_value
    .group_segment_fixed_size: 0
    .kernarg_segment_align: 8
    .kernarg_segment_size: 144
    .language:       OpenCL C
    .language_version:
      - 2
      - 0
    .max_flat_workgroup_size: 256
    .name:           _ZN7rocprim17ROCPRIM_400000_NS6detail17trampoline_kernelINS0_13select_configILj256ELj13ELNS0_17block_load_methodE3ELS4_3ELS4_3ELNS0_20block_scan_algorithmE0ELj4294967295EEENS1_25partition_config_selectorILNS1_17partition_subalgoE3EjNS0_10empty_typeEbEEZZNS1_14partition_implILS8_3ELb0ES6_jNS0_17counting_iteratorIjlEEPS9_SE_NS0_5tupleIJPjSE_EEENSF_IJSE_SE_EEES9_SG_JZNS1_25segmented_radix_sort_implINS0_14default_configELb0EPKaPaPKlPlN2at6native12_GLOBAL__N_18offset_tEEE10hipError_tPvRmT1_PNSt15iterator_traitsISY_E10value_typeET2_T3_PNSZ_IS14_E10value_typeET4_jRbjT5_S1A_jjP12ihipStream_tbEUljE_EEESV_SW_SX_S14_S18_S1A_T6_T7_T9_mT8_S1C_bDpT10_ENKUlT_T0_E_clISt17integral_constantIbLb1EES1O_IbLb0EEEEDaS1K_S1L_EUlS1K_E_NS1_11comp_targetILNS1_3genE2ELNS1_11target_archE906ELNS1_3gpuE6ELNS1_3repE0EEENS1_30default_config_static_selectorELNS0_4arch9wavefront6targetE0EEEvSY_
    .private_segment_fixed_size: 0
    .sgpr_count:     0
    .sgpr_spill_count: 0
    .symbol:         _ZN7rocprim17ROCPRIM_400000_NS6detail17trampoline_kernelINS0_13select_configILj256ELj13ELNS0_17block_load_methodE3ELS4_3ELS4_3ELNS0_20block_scan_algorithmE0ELj4294967295EEENS1_25partition_config_selectorILNS1_17partition_subalgoE3EjNS0_10empty_typeEbEEZZNS1_14partition_implILS8_3ELb0ES6_jNS0_17counting_iteratorIjlEEPS9_SE_NS0_5tupleIJPjSE_EEENSF_IJSE_SE_EEES9_SG_JZNS1_25segmented_radix_sort_implINS0_14default_configELb0EPKaPaPKlPlN2at6native12_GLOBAL__N_18offset_tEEE10hipError_tPvRmT1_PNSt15iterator_traitsISY_E10value_typeET2_T3_PNSZ_IS14_E10value_typeET4_jRbjT5_S1A_jjP12ihipStream_tbEUljE_EEESV_SW_SX_S14_S18_S1A_T6_T7_T9_mT8_S1C_bDpT10_ENKUlT_T0_E_clISt17integral_constantIbLb1EES1O_IbLb0EEEEDaS1K_S1L_EUlS1K_E_NS1_11comp_targetILNS1_3genE2ELNS1_11target_archE906ELNS1_3gpuE6ELNS1_3repE0EEENS1_30default_config_static_selectorELNS0_4arch9wavefront6targetE0EEEvSY_.kd
    .uniform_work_group_size: 1
    .uses_dynamic_stack: false
    .vgpr_count:     0
    .vgpr_spill_count: 0
    .wavefront_size: 32
    .workgroup_processor_mode: 1
  - .args:
      - .offset:         0
        .size:           144
        .value_kind:     by_value
    .group_segment_fixed_size: 0
    .kernarg_segment_align: 8
    .kernarg_segment_size: 144
    .language:       OpenCL C
    .language_version:
      - 2
      - 0
    .max_flat_workgroup_size: 256
    .name:           _ZN7rocprim17ROCPRIM_400000_NS6detail17trampoline_kernelINS0_13select_configILj256ELj13ELNS0_17block_load_methodE3ELS4_3ELS4_3ELNS0_20block_scan_algorithmE0ELj4294967295EEENS1_25partition_config_selectorILNS1_17partition_subalgoE3EjNS0_10empty_typeEbEEZZNS1_14partition_implILS8_3ELb0ES6_jNS0_17counting_iteratorIjlEEPS9_SE_NS0_5tupleIJPjSE_EEENSF_IJSE_SE_EEES9_SG_JZNS1_25segmented_radix_sort_implINS0_14default_configELb0EPKaPaPKlPlN2at6native12_GLOBAL__N_18offset_tEEE10hipError_tPvRmT1_PNSt15iterator_traitsISY_E10value_typeET2_T3_PNSZ_IS14_E10value_typeET4_jRbjT5_S1A_jjP12ihipStream_tbEUljE_EEESV_SW_SX_S14_S18_S1A_T6_T7_T9_mT8_S1C_bDpT10_ENKUlT_T0_E_clISt17integral_constantIbLb1EES1O_IbLb0EEEEDaS1K_S1L_EUlS1K_E_NS1_11comp_targetILNS1_3genE10ELNS1_11target_archE1200ELNS1_3gpuE4ELNS1_3repE0EEENS1_30default_config_static_selectorELNS0_4arch9wavefront6targetE0EEEvSY_
    .private_segment_fixed_size: 0
    .sgpr_count:     0
    .sgpr_spill_count: 0
    .symbol:         _ZN7rocprim17ROCPRIM_400000_NS6detail17trampoline_kernelINS0_13select_configILj256ELj13ELNS0_17block_load_methodE3ELS4_3ELS4_3ELNS0_20block_scan_algorithmE0ELj4294967295EEENS1_25partition_config_selectorILNS1_17partition_subalgoE3EjNS0_10empty_typeEbEEZZNS1_14partition_implILS8_3ELb0ES6_jNS0_17counting_iteratorIjlEEPS9_SE_NS0_5tupleIJPjSE_EEENSF_IJSE_SE_EEES9_SG_JZNS1_25segmented_radix_sort_implINS0_14default_configELb0EPKaPaPKlPlN2at6native12_GLOBAL__N_18offset_tEEE10hipError_tPvRmT1_PNSt15iterator_traitsISY_E10value_typeET2_T3_PNSZ_IS14_E10value_typeET4_jRbjT5_S1A_jjP12ihipStream_tbEUljE_EEESV_SW_SX_S14_S18_S1A_T6_T7_T9_mT8_S1C_bDpT10_ENKUlT_T0_E_clISt17integral_constantIbLb1EES1O_IbLb0EEEEDaS1K_S1L_EUlS1K_E_NS1_11comp_targetILNS1_3genE10ELNS1_11target_archE1200ELNS1_3gpuE4ELNS1_3repE0EEENS1_30default_config_static_selectorELNS0_4arch9wavefront6targetE0EEEvSY_.kd
    .uniform_work_group_size: 1
    .uses_dynamic_stack: false
    .vgpr_count:     0
    .vgpr_spill_count: 0
    .wavefront_size: 32
    .workgroup_processor_mode: 1
  - .args:
      - .offset:         0
        .size:           144
        .value_kind:     by_value
    .group_segment_fixed_size: 13324
    .kernarg_segment_align: 8
    .kernarg_segment_size: 144
    .language:       OpenCL C
    .language_version:
      - 2
      - 0
    .max_flat_workgroup_size: 256
    .name:           _ZN7rocprim17ROCPRIM_400000_NS6detail17trampoline_kernelINS0_13select_configILj256ELj13ELNS0_17block_load_methodE3ELS4_3ELS4_3ELNS0_20block_scan_algorithmE0ELj4294967295EEENS1_25partition_config_selectorILNS1_17partition_subalgoE3EjNS0_10empty_typeEbEEZZNS1_14partition_implILS8_3ELb0ES6_jNS0_17counting_iteratorIjlEEPS9_SE_NS0_5tupleIJPjSE_EEENSF_IJSE_SE_EEES9_SG_JZNS1_25segmented_radix_sort_implINS0_14default_configELb0EPKaPaPKlPlN2at6native12_GLOBAL__N_18offset_tEEE10hipError_tPvRmT1_PNSt15iterator_traitsISY_E10value_typeET2_T3_PNSZ_IS14_E10value_typeET4_jRbjT5_S1A_jjP12ihipStream_tbEUljE_EEESV_SW_SX_S14_S18_S1A_T6_T7_T9_mT8_S1C_bDpT10_ENKUlT_T0_E_clISt17integral_constantIbLb1EES1O_IbLb0EEEEDaS1K_S1L_EUlS1K_E_NS1_11comp_targetILNS1_3genE9ELNS1_11target_archE1100ELNS1_3gpuE3ELNS1_3repE0EEENS1_30default_config_static_selectorELNS0_4arch9wavefront6targetE0EEEvSY_
    .private_segment_fixed_size: 0
    .sgpr_count:     30
    .sgpr_spill_count: 0
    .symbol:         _ZN7rocprim17ROCPRIM_400000_NS6detail17trampoline_kernelINS0_13select_configILj256ELj13ELNS0_17block_load_methodE3ELS4_3ELS4_3ELNS0_20block_scan_algorithmE0ELj4294967295EEENS1_25partition_config_selectorILNS1_17partition_subalgoE3EjNS0_10empty_typeEbEEZZNS1_14partition_implILS8_3ELb0ES6_jNS0_17counting_iteratorIjlEEPS9_SE_NS0_5tupleIJPjSE_EEENSF_IJSE_SE_EEES9_SG_JZNS1_25segmented_radix_sort_implINS0_14default_configELb0EPKaPaPKlPlN2at6native12_GLOBAL__N_18offset_tEEE10hipError_tPvRmT1_PNSt15iterator_traitsISY_E10value_typeET2_T3_PNSZ_IS14_E10value_typeET4_jRbjT5_S1A_jjP12ihipStream_tbEUljE_EEESV_SW_SX_S14_S18_S1A_T6_T7_T9_mT8_S1C_bDpT10_ENKUlT_T0_E_clISt17integral_constantIbLb1EES1O_IbLb0EEEEDaS1K_S1L_EUlS1K_E_NS1_11comp_targetILNS1_3genE9ELNS1_11target_archE1100ELNS1_3gpuE3ELNS1_3repE0EEENS1_30default_config_static_selectorELNS0_4arch9wavefront6targetE0EEEvSY_.kd
    .uniform_work_group_size: 1
    .uses_dynamic_stack: false
    .vgpr_count:     57
    .vgpr_spill_count: 0
    .wavefront_size: 32
    .workgroup_processor_mode: 1
  - .args:
      - .offset:         0
        .size:           144
        .value_kind:     by_value
    .group_segment_fixed_size: 0
    .kernarg_segment_align: 8
    .kernarg_segment_size: 144
    .language:       OpenCL C
    .language_version:
      - 2
      - 0
    .max_flat_workgroup_size: 256
    .name:           _ZN7rocprim17ROCPRIM_400000_NS6detail17trampoline_kernelINS0_13select_configILj256ELj13ELNS0_17block_load_methodE3ELS4_3ELS4_3ELNS0_20block_scan_algorithmE0ELj4294967295EEENS1_25partition_config_selectorILNS1_17partition_subalgoE3EjNS0_10empty_typeEbEEZZNS1_14partition_implILS8_3ELb0ES6_jNS0_17counting_iteratorIjlEEPS9_SE_NS0_5tupleIJPjSE_EEENSF_IJSE_SE_EEES9_SG_JZNS1_25segmented_radix_sort_implINS0_14default_configELb0EPKaPaPKlPlN2at6native12_GLOBAL__N_18offset_tEEE10hipError_tPvRmT1_PNSt15iterator_traitsISY_E10value_typeET2_T3_PNSZ_IS14_E10value_typeET4_jRbjT5_S1A_jjP12ihipStream_tbEUljE_EEESV_SW_SX_S14_S18_S1A_T6_T7_T9_mT8_S1C_bDpT10_ENKUlT_T0_E_clISt17integral_constantIbLb1EES1O_IbLb0EEEEDaS1K_S1L_EUlS1K_E_NS1_11comp_targetILNS1_3genE8ELNS1_11target_archE1030ELNS1_3gpuE2ELNS1_3repE0EEENS1_30default_config_static_selectorELNS0_4arch9wavefront6targetE0EEEvSY_
    .private_segment_fixed_size: 0
    .sgpr_count:     0
    .sgpr_spill_count: 0
    .symbol:         _ZN7rocprim17ROCPRIM_400000_NS6detail17trampoline_kernelINS0_13select_configILj256ELj13ELNS0_17block_load_methodE3ELS4_3ELS4_3ELNS0_20block_scan_algorithmE0ELj4294967295EEENS1_25partition_config_selectorILNS1_17partition_subalgoE3EjNS0_10empty_typeEbEEZZNS1_14partition_implILS8_3ELb0ES6_jNS0_17counting_iteratorIjlEEPS9_SE_NS0_5tupleIJPjSE_EEENSF_IJSE_SE_EEES9_SG_JZNS1_25segmented_radix_sort_implINS0_14default_configELb0EPKaPaPKlPlN2at6native12_GLOBAL__N_18offset_tEEE10hipError_tPvRmT1_PNSt15iterator_traitsISY_E10value_typeET2_T3_PNSZ_IS14_E10value_typeET4_jRbjT5_S1A_jjP12ihipStream_tbEUljE_EEESV_SW_SX_S14_S18_S1A_T6_T7_T9_mT8_S1C_bDpT10_ENKUlT_T0_E_clISt17integral_constantIbLb1EES1O_IbLb0EEEEDaS1K_S1L_EUlS1K_E_NS1_11comp_targetILNS1_3genE8ELNS1_11target_archE1030ELNS1_3gpuE2ELNS1_3repE0EEENS1_30default_config_static_selectorELNS0_4arch9wavefront6targetE0EEEvSY_.kd
    .uniform_work_group_size: 1
    .uses_dynamic_stack: false
    .vgpr_count:     0
    .vgpr_spill_count: 0
    .wavefront_size: 32
    .workgroup_processor_mode: 1
  - .args:
      - .offset:         0
        .size:           152
        .value_kind:     by_value
    .group_segment_fixed_size: 0
    .kernarg_segment_align: 8
    .kernarg_segment_size: 152
    .language:       OpenCL C
    .language_version:
      - 2
      - 0
    .max_flat_workgroup_size: 256
    .name:           _ZN7rocprim17ROCPRIM_400000_NS6detail17trampoline_kernelINS0_13select_configILj256ELj13ELNS0_17block_load_methodE3ELS4_3ELS4_3ELNS0_20block_scan_algorithmE0ELj4294967295EEENS1_25partition_config_selectorILNS1_17partition_subalgoE3EjNS0_10empty_typeEbEEZZNS1_14partition_implILS8_3ELb0ES6_jNS0_17counting_iteratorIjlEEPS9_SE_NS0_5tupleIJPjSE_EEENSF_IJSE_SE_EEES9_SG_JZNS1_25segmented_radix_sort_implINS0_14default_configELb0EPKaPaPKlPlN2at6native12_GLOBAL__N_18offset_tEEE10hipError_tPvRmT1_PNSt15iterator_traitsISY_E10value_typeET2_T3_PNSZ_IS14_E10value_typeET4_jRbjT5_S1A_jjP12ihipStream_tbEUljE_EEESV_SW_SX_S14_S18_S1A_T6_T7_T9_mT8_S1C_bDpT10_ENKUlT_T0_E_clISt17integral_constantIbLb0EES1O_IbLb1EEEEDaS1K_S1L_EUlS1K_E_NS1_11comp_targetILNS1_3genE0ELNS1_11target_archE4294967295ELNS1_3gpuE0ELNS1_3repE0EEENS1_30default_config_static_selectorELNS0_4arch9wavefront6targetE0EEEvSY_
    .private_segment_fixed_size: 0
    .sgpr_count:     0
    .sgpr_spill_count: 0
    .symbol:         _ZN7rocprim17ROCPRIM_400000_NS6detail17trampoline_kernelINS0_13select_configILj256ELj13ELNS0_17block_load_methodE3ELS4_3ELS4_3ELNS0_20block_scan_algorithmE0ELj4294967295EEENS1_25partition_config_selectorILNS1_17partition_subalgoE3EjNS0_10empty_typeEbEEZZNS1_14partition_implILS8_3ELb0ES6_jNS0_17counting_iteratorIjlEEPS9_SE_NS0_5tupleIJPjSE_EEENSF_IJSE_SE_EEES9_SG_JZNS1_25segmented_radix_sort_implINS0_14default_configELb0EPKaPaPKlPlN2at6native12_GLOBAL__N_18offset_tEEE10hipError_tPvRmT1_PNSt15iterator_traitsISY_E10value_typeET2_T3_PNSZ_IS14_E10value_typeET4_jRbjT5_S1A_jjP12ihipStream_tbEUljE_EEESV_SW_SX_S14_S18_S1A_T6_T7_T9_mT8_S1C_bDpT10_ENKUlT_T0_E_clISt17integral_constantIbLb0EES1O_IbLb1EEEEDaS1K_S1L_EUlS1K_E_NS1_11comp_targetILNS1_3genE0ELNS1_11target_archE4294967295ELNS1_3gpuE0ELNS1_3repE0EEENS1_30default_config_static_selectorELNS0_4arch9wavefront6targetE0EEEvSY_.kd
    .uniform_work_group_size: 1
    .uses_dynamic_stack: false
    .vgpr_count:     0
    .vgpr_spill_count: 0
    .wavefront_size: 32
    .workgroup_processor_mode: 1
  - .args:
      - .offset:         0
        .size:           152
        .value_kind:     by_value
    .group_segment_fixed_size: 0
    .kernarg_segment_align: 8
    .kernarg_segment_size: 152
    .language:       OpenCL C
    .language_version:
      - 2
      - 0
    .max_flat_workgroup_size: 256
    .name:           _ZN7rocprim17ROCPRIM_400000_NS6detail17trampoline_kernelINS0_13select_configILj256ELj13ELNS0_17block_load_methodE3ELS4_3ELS4_3ELNS0_20block_scan_algorithmE0ELj4294967295EEENS1_25partition_config_selectorILNS1_17partition_subalgoE3EjNS0_10empty_typeEbEEZZNS1_14partition_implILS8_3ELb0ES6_jNS0_17counting_iteratorIjlEEPS9_SE_NS0_5tupleIJPjSE_EEENSF_IJSE_SE_EEES9_SG_JZNS1_25segmented_radix_sort_implINS0_14default_configELb0EPKaPaPKlPlN2at6native12_GLOBAL__N_18offset_tEEE10hipError_tPvRmT1_PNSt15iterator_traitsISY_E10value_typeET2_T3_PNSZ_IS14_E10value_typeET4_jRbjT5_S1A_jjP12ihipStream_tbEUljE_EEESV_SW_SX_S14_S18_S1A_T6_T7_T9_mT8_S1C_bDpT10_ENKUlT_T0_E_clISt17integral_constantIbLb0EES1O_IbLb1EEEEDaS1K_S1L_EUlS1K_E_NS1_11comp_targetILNS1_3genE5ELNS1_11target_archE942ELNS1_3gpuE9ELNS1_3repE0EEENS1_30default_config_static_selectorELNS0_4arch9wavefront6targetE0EEEvSY_
    .private_segment_fixed_size: 0
    .sgpr_count:     0
    .sgpr_spill_count: 0
    .symbol:         _ZN7rocprim17ROCPRIM_400000_NS6detail17trampoline_kernelINS0_13select_configILj256ELj13ELNS0_17block_load_methodE3ELS4_3ELS4_3ELNS0_20block_scan_algorithmE0ELj4294967295EEENS1_25partition_config_selectorILNS1_17partition_subalgoE3EjNS0_10empty_typeEbEEZZNS1_14partition_implILS8_3ELb0ES6_jNS0_17counting_iteratorIjlEEPS9_SE_NS0_5tupleIJPjSE_EEENSF_IJSE_SE_EEES9_SG_JZNS1_25segmented_radix_sort_implINS0_14default_configELb0EPKaPaPKlPlN2at6native12_GLOBAL__N_18offset_tEEE10hipError_tPvRmT1_PNSt15iterator_traitsISY_E10value_typeET2_T3_PNSZ_IS14_E10value_typeET4_jRbjT5_S1A_jjP12ihipStream_tbEUljE_EEESV_SW_SX_S14_S18_S1A_T6_T7_T9_mT8_S1C_bDpT10_ENKUlT_T0_E_clISt17integral_constantIbLb0EES1O_IbLb1EEEEDaS1K_S1L_EUlS1K_E_NS1_11comp_targetILNS1_3genE5ELNS1_11target_archE942ELNS1_3gpuE9ELNS1_3repE0EEENS1_30default_config_static_selectorELNS0_4arch9wavefront6targetE0EEEvSY_.kd
    .uniform_work_group_size: 1
    .uses_dynamic_stack: false
    .vgpr_count:     0
    .vgpr_spill_count: 0
    .wavefront_size: 32
    .workgroup_processor_mode: 1
  - .args:
      - .offset:         0
        .size:           152
        .value_kind:     by_value
    .group_segment_fixed_size: 0
    .kernarg_segment_align: 8
    .kernarg_segment_size: 152
    .language:       OpenCL C
    .language_version:
      - 2
      - 0
    .max_flat_workgroup_size: 256
    .name:           _ZN7rocprim17ROCPRIM_400000_NS6detail17trampoline_kernelINS0_13select_configILj256ELj13ELNS0_17block_load_methodE3ELS4_3ELS4_3ELNS0_20block_scan_algorithmE0ELj4294967295EEENS1_25partition_config_selectorILNS1_17partition_subalgoE3EjNS0_10empty_typeEbEEZZNS1_14partition_implILS8_3ELb0ES6_jNS0_17counting_iteratorIjlEEPS9_SE_NS0_5tupleIJPjSE_EEENSF_IJSE_SE_EEES9_SG_JZNS1_25segmented_radix_sort_implINS0_14default_configELb0EPKaPaPKlPlN2at6native12_GLOBAL__N_18offset_tEEE10hipError_tPvRmT1_PNSt15iterator_traitsISY_E10value_typeET2_T3_PNSZ_IS14_E10value_typeET4_jRbjT5_S1A_jjP12ihipStream_tbEUljE_EEESV_SW_SX_S14_S18_S1A_T6_T7_T9_mT8_S1C_bDpT10_ENKUlT_T0_E_clISt17integral_constantIbLb0EES1O_IbLb1EEEEDaS1K_S1L_EUlS1K_E_NS1_11comp_targetILNS1_3genE4ELNS1_11target_archE910ELNS1_3gpuE8ELNS1_3repE0EEENS1_30default_config_static_selectorELNS0_4arch9wavefront6targetE0EEEvSY_
    .private_segment_fixed_size: 0
    .sgpr_count:     0
    .sgpr_spill_count: 0
    .symbol:         _ZN7rocprim17ROCPRIM_400000_NS6detail17trampoline_kernelINS0_13select_configILj256ELj13ELNS0_17block_load_methodE3ELS4_3ELS4_3ELNS0_20block_scan_algorithmE0ELj4294967295EEENS1_25partition_config_selectorILNS1_17partition_subalgoE3EjNS0_10empty_typeEbEEZZNS1_14partition_implILS8_3ELb0ES6_jNS0_17counting_iteratorIjlEEPS9_SE_NS0_5tupleIJPjSE_EEENSF_IJSE_SE_EEES9_SG_JZNS1_25segmented_radix_sort_implINS0_14default_configELb0EPKaPaPKlPlN2at6native12_GLOBAL__N_18offset_tEEE10hipError_tPvRmT1_PNSt15iterator_traitsISY_E10value_typeET2_T3_PNSZ_IS14_E10value_typeET4_jRbjT5_S1A_jjP12ihipStream_tbEUljE_EEESV_SW_SX_S14_S18_S1A_T6_T7_T9_mT8_S1C_bDpT10_ENKUlT_T0_E_clISt17integral_constantIbLb0EES1O_IbLb1EEEEDaS1K_S1L_EUlS1K_E_NS1_11comp_targetILNS1_3genE4ELNS1_11target_archE910ELNS1_3gpuE8ELNS1_3repE0EEENS1_30default_config_static_selectorELNS0_4arch9wavefront6targetE0EEEvSY_.kd
    .uniform_work_group_size: 1
    .uses_dynamic_stack: false
    .vgpr_count:     0
    .vgpr_spill_count: 0
    .wavefront_size: 32
    .workgroup_processor_mode: 1
  - .args:
      - .offset:         0
        .size:           152
        .value_kind:     by_value
    .group_segment_fixed_size: 0
    .kernarg_segment_align: 8
    .kernarg_segment_size: 152
    .language:       OpenCL C
    .language_version:
      - 2
      - 0
    .max_flat_workgroup_size: 256
    .name:           _ZN7rocprim17ROCPRIM_400000_NS6detail17trampoline_kernelINS0_13select_configILj256ELj13ELNS0_17block_load_methodE3ELS4_3ELS4_3ELNS0_20block_scan_algorithmE0ELj4294967295EEENS1_25partition_config_selectorILNS1_17partition_subalgoE3EjNS0_10empty_typeEbEEZZNS1_14partition_implILS8_3ELb0ES6_jNS0_17counting_iteratorIjlEEPS9_SE_NS0_5tupleIJPjSE_EEENSF_IJSE_SE_EEES9_SG_JZNS1_25segmented_radix_sort_implINS0_14default_configELb0EPKaPaPKlPlN2at6native12_GLOBAL__N_18offset_tEEE10hipError_tPvRmT1_PNSt15iterator_traitsISY_E10value_typeET2_T3_PNSZ_IS14_E10value_typeET4_jRbjT5_S1A_jjP12ihipStream_tbEUljE_EEESV_SW_SX_S14_S18_S1A_T6_T7_T9_mT8_S1C_bDpT10_ENKUlT_T0_E_clISt17integral_constantIbLb0EES1O_IbLb1EEEEDaS1K_S1L_EUlS1K_E_NS1_11comp_targetILNS1_3genE3ELNS1_11target_archE908ELNS1_3gpuE7ELNS1_3repE0EEENS1_30default_config_static_selectorELNS0_4arch9wavefront6targetE0EEEvSY_
    .private_segment_fixed_size: 0
    .sgpr_count:     0
    .sgpr_spill_count: 0
    .symbol:         _ZN7rocprim17ROCPRIM_400000_NS6detail17trampoline_kernelINS0_13select_configILj256ELj13ELNS0_17block_load_methodE3ELS4_3ELS4_3ELNS0_20block_scan_algorithmE0ELj4294967295EEENS1_25partition_config_selectorILNS1_17partition_subalgoE3EjNS0_10empty_typeEbEEZZNS1_14partition_implILS8_3ELb0ES6_jNS0_17counting_iteratorIjlEEPS9_SE_NS0_5tupleIJPjSE_EEENSF_IJSE_SE_EEES9_SG_JZNS1_25segmented_radix_sort_implINS0_14default_configELb0EPKaPaPKlPlN2at6native12_GLOBAL__N_18offset_tEEE10hipError_tPvRmT1_PNSt15iterator_traitsISY_E10value_typeET2_T3_PNSZ_IS14_E10value_typeET4_jRbjT5_S1A_jjP12ihipStream_tbEUljE_EEESV_SW_SX_S14_S18_S1A_T6_T7_T9_mT8_S1C_bDpT10_ENKUlT_T0_E_clISt17integral_constantIbLb0EES1O_IbLb1EEEEDaS1K_S1L_EUlS1K_E_NS1_11comp_targetILNS1_3genE3ELNS1_11target_archE908ELNS1_3gpuE7ELNS1_3repE0EEENS1_30default_config_static_selectorELNS0_4arch9wavefront6targetE0EEEvSY_.kd
    .uniform_work_group_size: 1
    .uses_dynamic_stack: false
    .vgpr_count:     0
    .vgpr_spill_count: 0
    .wavefront_size: 32
    .workgroup_processor_mode: 1
  - .args:
      - .offset:         0
        .size:           152
        .value_kind:     by_value
    .group_segment_fixed_size: 0
    .kernarg_segment_align: 8
    .kernarg_segment_size: 152
    .language:       OpenCL C
    .language_version:
      - 2
      - 0
    .max_flat_workgroup_size: 256
    .name:           _ZN7rocprim17ROCPRIM_400000_NS6detail17trampoline_kernelINS0_13select_configILj256ELj13ELNS0_17block_load_methodE3ELS4_3ELS4_3ELNS0_20block_scan_algorithmE0ELj4294967295EEENS1_25partition_config_selectorILNS1_17partition_subalgoE3EjNS0_10empty_typeEbEEZZNS1_14partition_implILS8_3ELb0ES6_jNS0_17counting_iteratorIjlEEPS9_SE_NS0_5tupleIJPjSE_EEENSF_IJSE_SE_EEES9_SG_JZNS1_25segmented_radix_sort_implINS0_14default_configELb0EPKaPaPKlPlN2at6native12_GLOBAL__N_18offset_tEEE10hipError_tPvRmT1_PNSt15iterator_traitsISY_E10value_typeET2_T3_PNSZ_IS14_E10value_typeET4_jRbjT5_S1A_jjP12ihipStream_tbEUljE_EEESV_SW_SX_S14_S18_S1A_T6_T7_T9_mT8_S1C_bDpT10_ENKUlT_T0_E_clISt17integral_constantIbLb0EES1O_IbLb1EEEEDaS1K_S1L_EUlS1K_E_NS1_11comp_targetILNS1_3genE2ELNS1_11target_archE906ELNS1_3gpuE6ELNS1_3repE0EEENS1_30default_config_static_selectorELNS0_4arch9wavefront6targetE0EEEvSY_
    .private_segment_fixed_size: 0
    .sgpr_count:     0
    .sgpr_spill_count: 0
    .symbol:         _ZN7rocprim17ROCPRIM_400000_NS6detail17trampoline_kernelINS0_13select_configILj256ELj13ELNS0_17block_load_methodE3ELS4_3ELS4_3ELNS0_20block_scan_algorithmE0ELj4294967295EEENS1_25partition_config_selectorILNS1_17partition_subalgoE3EjNS0_10empty_typeEbEEZZNS1_14partition_implILS8_3ELb0ES6_jNS0_17counting_iteratorIjlEEPS9_SE_NS0_5tupleIJPjSE_EEENSF_IJSE_SE_EEES9_SG_JZNS1_25segmented_radix_sort_implINS0_14default_configELb0EPKaPaPKlPlN2at6native12_GLOBAL__N_18offset_tEEE10hipError_tPvRmT1_PNSt15iterator_traitsISY_E10value_typeET2_T3_PNSZ_IS14_E10value_typeET4_jRbjT5_S1A_jjP12ihipStream_tbEUljE_EEESV_SW_SX_S14_S18_S1A_T6_T7_T9_mT8_S1C_bDpT10_ENKUlT_T0_E_clISt17integral_constantIbLb0EES1O_IbLb1EEEEDaS1K_S1L_EUlS1K_E_NS1_11comp_targetILNS1_3genE2ELNS1_11target_archE906ELNS1_3gpuE6ELNS1_3repE0EEENS1_30default_config_static_selectorELNS0_4arch9wavefront6targetE0EEEvSY_.kd
    .uniform_work_group_size: 1
    .uses_dynamic_stack: false
    .vgpr_count:     0
    .vgpr_spill_count: 0
    .wavefront_size: 32
    .workgroup_processor_mode: 1
  - .args:
      - .offset:         0
        .size:           152
        .value_kind:     by_value
    .group_segment_fixed_size: 0
    .kernarg_segment_align: 8
    .kernarg_segment_size: 152
    .language:       OpenCL C
    .language_version:
      - 2
      - 0
    .max_flat_workgroup_size: 256
    .name:           _ZN7rocprim17ROCPRIM_400000_NS6detail17trampoline_kernelINS0_13select_configILj256ELj13ELNS0_17block_load_methodE3ELS4_3ELS4_3ELNS0_20block_scan_algorithmE0ELj4294967295EEENS1_25partition_config_selectorILNS1_17partition_subalgoE3EjNS0_10empty_typeEbEEZZNS1_14partition_implILS8_3ELb0ES6_jNS0_17counting_iteratorIjlEEPS9_SE_NS0_5tupleIJPjSE_EEENSF_IJSE_SE_EEES9_SG_JZNS1_25segmented_radix_sort_implINS0_14default_configELb0EPKaPaPKlPlN2at6native12_GLOBAL__N_18offset_tEEE10hipError_tPvRmT1_PNSt15iterator_traitsISY_E10value_typeET2_T3_PNSZ_IS14_E10value_typeET4_jRbjT5_S1A_jjP12ihipStream_tbEUljE_EEESV_SW_SX_S14_S18_S1A_T6_T7_T9_mT8_S1C_bDpT10_ENKUlT_T0_E_clISt17integral_constantIbLb0EES1O_IbLb1EEEEDaS1K_S1L_EUlS1K_E_NS1_11comp_targetILNS1_3genE10ELNS1_11target_archE1200ELNS1_3gpuE4ELNS1_3repE0EEENS1_30default_config_static_selectorELNS0_4arch9wavefront6targetE0EEEvSY_
    .private_segment_fixed_size: 0
    .sgpr_count:     0
    .sgpr_spill_count: 0
    .symbol:         _ZN7rocprim17ROCPRIM_400000_NS6detail17trampoline_kernelINS0_13select_configILj256ELj13ELNS0_17block_load_methodE3ELS4_3ELS4_3ELNS0_20block_scan_algorithmE0ELj4294967295EEENS1_25partition_config_selectorILNS1_17partition_subalgoE3EjNS0_10empty_typeEbEEZZNS1_14partition_implILS8_3ELb0ES6_jNS0_17counting_iteratorIjlEEPS9_SE_NS0_5tupleIJPjSE_EEENSF_IJSE_SE_EEES9_SG_JZNS1_25segmented_radix_sort_implINS0_14default_configELb0EPKaPaPKlPlN2at6native12_GLOBAL__N_18offset_tEEE10hipError_tPvRmT1_PNSt15iterator_traitsISY_E10value_typeET2_T3_PNSZ_IS14_E10value_typeET4_jRbjT5_S1A_jjP12ihipStream_tbEUljE_EEESV_SW_SX_S14_S18_S1A_T6_T7_T9_mT8_S1C_bDpT10_ENKUlT_T0_E_clISt17integral_constantIbLb0EES1O_IbLb1EEEEDaS1K_S1L_EUlS1K_E_NS1_11comp_targetILNS1_3genE10ELNS1_11target_archE1200ELNS1_3gpuE4ELNS1_3repE0EEENS1_30default_config_static_selectorELNS0_4arch9wavefront6targetE0EEEvSY_.kd
    .uniform_work_group_size: 1
    .uses_dynamic_stack: false
    .vgpr_count:     0
    .vgpr_spill_count: 0
    .wavefront_size: 32
    .workgroup_processor_mode: 1
  - .args:
      - .offset:         0
        .size:           152
        .value_kind:     by_value
    .group_segment_fixed_size: 13324
    .kernarg_segment_align: 8
    .kernarg_segment_size: 152
    .language:       OpenCL C
    .language_version:
      - 2
      - 0
    .max_flat_workgroup_size: 256
    .name:           _ZN7rocprim17ROCPRIM_400000_NS6detail17trampoline_kernelINS0_13select_configILj256ELj13ELNS0_17block_load_methodE3ELS4_3ELS4_3ELNS0_20block_scan_algorithmE0ELj4294967295EEENS1_25partition_config_selectorILNS1_17partition_subalgoE3EjNS0_10empty_typeEbEEZZNS1_14partition_implILS8_3ELb0ES6_jNS0_17counting_iteratorIjlEEPS9_SE_NS0_5tupleIJPjSE_EEENSF_IJSE_SE_EEES9_SG_JZNS1_25segmented_radix_sort_implINS0_14default_configELb0EPKaPaPKlPlN2at6native12_GLOBAL__N_18offset_tEEE10hipError_tPvRmT1_PNSt15iterator_traitsISY_E10value_typeET2_T3_PNSZ_IS14_E10value_typeET4_jRbjT5_S1A_jjP12ihipStream_tbEUljE_EEESV_SW_SX_S14_S18_S1A_T6_T7_T9_mT8_S1C_bDpT10_ENKUlT_T0_E_clISt17integral_constantIbLb0EES1O_IbLb1EEEEDaS1K_S1L_EUlS1K_E_NS1_11comp_targetILNS1_3genE9ELNS1_11target_archE1100ELNS1_3gpuE3ELNS1_3repE0EEENS1_30default_config_static_selectorELNS0_4arch9wavefront6targetE0EEEvSY_
    .private_segment_fixed_size: 0
    .sgpr_count:     28
    .sgpr_spill_count: 0
    .symbol:         _ZN7rocprim17ROCPRIM_400000_NS6detail17trampoline_kernelINS0_13select_configILj256ELj13ELNS0_17block_load_methodE3ELS4_3ELS4_3ELNS0_20block_scan_algorithmE0ELj4294967295EEENS1_25partition_config_selectorILNS1_17partition_subalgoE3EjNS0_10empty_typeEbEEZZNS1_14partition_implILS8_3ELb0ES6_jNS0_17counting_iteratorIjlEEPS9_SE_NS0_5tupleIJPjSE_EEENSF_IJSE_SE_EEES9_SG_JZNS1_25segmented_radix_sort_implINS0_14default_configELb0EPKaPaPKlPlN2at6native12_GLOBAL__N_18offset_tEEE10hipError_tPvRmT1_PNSt15iterator_traitsISY_E10value_typeET2_T3_PNSZ_IS14_E10value_typeET4_jRbjT5_S1A_jjP12ihipStream_tbEUljE_EEESV_SW_SX_S14_S18_S1A_T6_T7_T9_mT8_S1C_bDpT10_ENKUlT_T0_E_clISt17integral_constantIbLb0EES1O_IbLb1EEEEDaS1K_S1L_EUlS1K_E_NS1_11comp_targetILNS1_3genE9ELNS1_11target_archE1100ELNS1_3gpuE3ELNS1_3repE0EEENS1_30default_config_static_selectorELNS0_4arch9wavefront6targetE0EEEvSY_.kd
    .uniform_work_group_size: 1
    .uses_dynamic_stack: false
    .vgpr_count:     60
    .vgpr_spill_count: 0
    .wavefront_size: 32
    .workgroup_processor_mode: 1
  - .args:
      - .offset:         0
        .size:           152
        .value_kind:     by_value
    .group_segment_fixed_size: 0
    .kernarg_segment_align: 8
    .kernarg_segment_size: 152
    .language:       OpenCL C
    .language_version:
      - 2
      - 0
    .max_flat_workgroup_size: 256
    .name:           _ZN7rocprim17ROCPRIM_400000_NS6detail17trampoline_kernelINS0_13select_configILj256ELj13ELNS0_17block_load_methodE3ELS4_3ELS4_3ELNS0_20block_scan_algorithmE0ELj4294967295EEENS1_25partition_config_selectorILNS1_17partition_subalgoE3EjNS0_10empty_typeEbEEZZNS1_14partition_implILS8_3ELb0ES6_jNS0_17counting_iteratorIjlEEPS9_SE_NS0_5tupleIJPjSE_EEENSF_IJSE_SE_EEES9_SG_JZNS1_25segmented_radix_sort_implINS0_14default_configELb0EPKaPaPKlPlN2at6native12_GLOBAL__N_18offset_tEEE10hipError_tPvRmT1_PNSt15iterator_traitsISY_E10value_typeET2_T3_PNSZ_IS14_E10value_typeET4_jRbjT5_S1A_jjP12ihipStream_tbEUljE_EEESV_SW_SX_S14_S18_S1A_T6_T7_T9_mT8_S1C_bDpT10_ENKUlT_T0_E_clISt17integral_constantIbLb0EES1O_IbLb1EEEEDaS1K_S1L_EUlS1K_E_NS1_11comp_targetILNS1_3genE8ELNS1_11target_archE1030ELNS1_3gpuE2ELNS1_3repE0EEENS1_30default_config_static_selectorELNS0_4arch9wavefront6targetE0EEEvSY_
    .private_segment_fixed_size: 0
    .sgpr_count:     0
    .sgpr_spill_count: 0
    .symbol:         _ZN7rocprim17ROCPRIM_400000_NS6detail17trampoline_kernelINS0_13select_configILj256ELj13ELNS0_17block_load_methodE3ELS4_3ELS4_3ELNS0_20block_scan_algorithmE0ELj4294967295EEENS1_25partition_config_selectorILNS1_17partition_subalgoE3EjNS0_10empty_typeEbEEZZNS1_14partition_implILS8_3ELb0ES6_jNS0_17counting_iteratorIjlEEPS9_SE_NS0_5tupleIJPjSE_EEENSF_IJSE_SE_EEES9_SG_JZNS1_25segmented_radix_sort_implINS0_14default_configELb0EPKaPaPKlPlN2at6native12_GLOBAL__N_18offset_tEEE10hipError_tPvRmT1_PNSt15iterator_traitsISY_E10value_typeET2_T3_PNSZ_IS14_E10value_typeET4_jRbjT5_S1A_jjP12ihipStream_tbEUljE_EEESV_SW_SX_S14_S18_S1A_T6_T7_T9_mT8_S1C_bDpT10_ENKUlT_T0_E_clISt17integral_constantIbLb0EES1O_IbLb1EEEEDaS1K_S1L_EUlS1K_E_NS1_11comp_targetILNS1_3genE8ELNS1_11target_archE1030ELNS1_3gpuE2ELNS1_3repE0EEENS1_30default_config_static_selectorELNS0_4arch9wavefront6targetE0EEEvSY_.kd
    .uniform_work_group_size: 1
    .uses_dynamic_stack: false
    .vgpr_count:     0
    .vgpr_spill_count: 0
    .wavefront_size: 32
    .workgroup_processor_mode: 1
  - .args:
      - .offset:         0
        .size:           96
        .value_kind:     by_value
    .group_segment_fixed_size: 0
    .kernarg_segment_align: 8
    .kernarg_segment_size: 96
    .language:       OpenCL C
    .language_version:
      - 2
      - 0
    .max_flat_workgroup_size: 256
    .name:           _ZN7rocprim17ROCPRIM_400000_NS6detail17trampoline_kernelINS0_14default_configENS1_36segmented_radix_sort_config_selectorIalEEZNS1_25segmented_radix_sort_implIS3_Lb0EPKaPaPKlPlN2at6native12_GLOBAL__N_18offset_tEEE10hipError_tPvRmT1_PNSt15iterator_traitsISK_E10value_typeET2_T3_PNSL_ISQ_E10value_typeET4_jRbjT5_SW_jjP12ihipStream_tbEUlT_E_NS1_11comp_targetILNS1_3genE0ELNS1_11target_archE4294967295ELNS1_3gpuE0ELNS1_3repE0EEENS1_30default_config_static_selectorELNS0_4arch9wavefront6targetE0EEEvSK_
    .private_segment_fixed_size: 0
    .sgpr_count:     0
    .sgpr_spill_count: 0
    .symbol:         _ZN7rocprim17ROCPRIM_400000_NS6detail17trampoline_kernelINS0_14default_configENS1_36segmented_radix_sort_config_selectorIalEEZNS1_25segmented_radix_sort_implIS3_Lb0EPKaPaPKlPlN2at6native12_GLOBAL__N_18offset_tEEE10hipError_tPvRmT1_PNSt15iterator_traitsISK_E10value_typeET2_T3_PNSL_ISQ_E10value_typeET4_jRbjT5_SW_jjP12ihipStream_tbEUlT_E_NS1_11comp_targetILNS1_3genE0ELNS1_11target_archE4294967295ELNS1_3gpuE0ELNS1_3repE0EEENS1_30default_config_static_selectorELNS0_4arch9wavefront6targetE0EEEvSK_.kd
    .uniform_work_group_size: 1
    .uses_dynamic_stack: false
    .vgpr_count:     0
    .vgpr_spill_count: 0
    .wavefront_size: 32
    .workgroup_processor_mode: 1
  - .args:
      - .offset:         0
        .size:           96
        .value_kind:     by_value
    .group_segment_fixed_size: 0
    .kernarg_segment_align: 8
    .kernarg_segment_size: 96
    .language:       OpenCL C
    .language_version:
      - 2
      - 0
    .max_flat_workgroup_size: 256
    .name:           _ZN7rocprim17ROCPRIM_400000_NS6detail17trampoline_kernelINS0_14default_configENS1_36segmented_radix_sort_config_selectorIalEEZNS1_25segmented_radix_sort_implIS3_Lb0EPKaPaPKlPlN2at6native12_GLOBAL__N_18offset_tEEE10hipError_tPvRmT1_PNSt15iterator_traitsISK_E10value_typeET2_T3_PNSL_ISQ_E10value_typeET4_jRbjT5_SW_jjP12ihipStream_tbEUlT_E_NS1_11comp_targetILNS1_3genE5ELNS1_11target_archE942ELNS1_3gpuE9ELNS1_3repE0EEENS1_30default_config_static_selectorELNS0_4arch9wavefront6targetE0EEEvSK_
    .private_segment_fixed_size: 0
    .sgpr_count:     0
    .sgpr_spill_count: 0
    .symbol:         _ZN7rocprim17ROCPRIM_400000_NS6detail17trampoline_kernelINS0_14default_configENS1_36segmented_radix_sort_config_selectorIalEEZNS1_25segmented_radix_sort_implIS3_Lb0EPKaPaPKlPlN2at6native12_GLOBAL__N_18offset_tEEE10hipError_tPvRmT1_PNSt15iterator_traitsISK_E10value_typeET2_T3_PNSL_ISQ_E10value_typeET4_jRbjT5_SW_jjP12ihipStream_tbEUlT_E_NS1_11comp_targetILNS1_3genE5ELNS1_11target_archE942ELNS1_3gpuE9ELNS1_3repE0EEENS1_30default_config_static_selectorELNS0_4arch9wavefront6targetE0EEEvSK_.kd
    .uniform_work_group_size: 1
    .uses_dynamic_stack: false
    .vgpr_count:     0
    .vgpr_spill_count: 0
    .wavefront_size: 32
    .workgroup_processor_mode: 1
  - .args:
      - .offset:         0
        .size:           96
        .value_kind:     by_value
    .group_segment_fixed_size: 0
    .kernarg_segment_align: 8
    .kernarg_segment_size: 96
    .language:       OpenCL C
    .language_version:
      - 2
      - 0
    .max_flat_workgroup_size: 256
    .name:           _ZN7rocprim17ROCPRIM_400000_NS6detail17trampoline_kernelINS0_14default_configENS1_36segmented_radix_sort_config_selectorIalEEZNS1_25segmented_radix_sort_implIS3_Lb0EPKaPaPKlPlN2at6native12_GLOBAL__N_18offset_tEEE10hipError_tPvRmT1_PNSt15iterator_traitsISK_E10value_typeET2_T3_PNSL_ISQ_E10value_typeET4_jRbjT5_SW_jjP12ihipStream_tbEUlT_E_NS1_11comp_targetILNS1_3genE4ELNS1_11target_archE910ELNS1_3gpuE8ELNS1_3repE0EEENS1_30default_config_static_selectorELNS0_4arch9wavefront6targetE0EEEvSK_
    .private_segment_fixed_size: 0
    .sgpr_count:     0
    .sgpr_spill_count: 0
    .symbol:         _ZN7rocprim17ROCPRIM_400000_NS6detail17trampoline_kernelINS0_14default_configENS1_36segmented_radix_sort_config_selectorIalEEZNS1_25segmented_radix_sort_implIS3_Lb0EPKaPaPKlPlN2at6native12_GLOBAL__N_18offset_tEEE10hipError_tPvRmT1_PNSt15iterator_traitsISK_E10value_typeET2_T3_PNSL_ISQ_E10value_typeET4_jRbjT5_SW_jjP12ihipStream_tbEUlT_E_NS1_11comp_targetILNS1_3genE4ELNS1_11target_archE910ELNS1_3gpuE8ELNS1_3repE0EEENS1_30default_config_static_selectorELNS0_4arch9wavefront6targetE0EEEvSK_.kd
    .uniform_work_group_size: 1
    .uses_dynamic_stack: false
    .vgpr_count:     0
    .vgpr_spill_count: 0
    .wavefront_size: 32
    .workgroup_processor_mode: 1
  - .args:
      - .offset:         0
        .size:           96
        .value_kind:     by_value
    .group_segment_fixed_size: 0
    .kernarg_segment_align: 8
    .kernarg_segment_size: 96
    .language:       OpenCL C
    .language_version:
      - 2
      - 0
    .max_flat_workgroup_size: 256
    .name:           _ZN7rocprim17ROCPRIM_400000_NS6detail17trampoline_kernelINS0_14default_configENS1_36segmented_radix_sort_config_selectorIalEEZNS1_25segmented_radix_sort_implIS3_Lb0EPKaPaPKlPlN2at6native12_GLOBAL__N_18offset_tEEE10hipError_tPvRmT1_PNSt15iterator_traitsISK_E10value_typeET2_T3_PNSL_ISQ_E10value_typeET4_jRbjT5_SW_jjP12ihipStream_tbEUlT_E_NS1_11comp_targetILNS1_3genE3ELNS1_11target_archE908ELNS1_3gpuE7ELNS1_3repE0EEENS1_30default_config_static_selectorELNS0_4arch9wavefront6targetE0EEEvSK_
    .private_segment_fixed_size: 0
    .sgpr_count:     0
    .sgpr_spill_count: 0
    .symbol:         _ZN7rocprim17ROCPRIM_400000_NS6detail17trampoline_kernelINS0_14default_configENS1_36segmented_radix_sort_config_selectorIalEEZNS1_25segmented_radix_sort_implIS3_Lb0EPKaPaPKlPlN2at6native12_GLOBAL__N_18offset_tEEE10hipError_tPvRmT1_PNSt15iterator_traitsISK_E10value_typeET2_T3_PNSL_ISQ_E10value_typeET4_jRbjT5_SW_jjP12ihipStream_tbEUlT_E_NS1_11comp_targetILNS1_3genE3ELNS1_11target_archE908ELNS1_3gpuE7ELNS1_3repE0EEENS1_30default_config_static_selectorELNS0_4arch9wavefront6targetE0EEEvSK_.kd
    .uniform_work_group_size: 1
    .uses_dynamic_stack: false
    .vgpr_count:     0
    .vgpr_spill_count: 0
    .wavefront_size: 32
    .workgroup_processor_mode: 1
  - .args:
      - .offset:         0
        .size:           96
        .value_kind:     by_value
    .group_segment_fixed_size: 0
    .kernarg_segment_align: 8
    .kernarg_segment_size: 96
    .language:       OpenCL C
    .language_version:
      - 2
      - 0
    .max_flat_workgroup_size: 256
    .name:           _ZN7rocprim17ROCPRIM_400000_NS6detail17trampoline_kernelINS0_14default_configENS1_36segmented_radix_sort_config_selectorIalEEZNS1_25segmented_radix_sort_implIS3_Lb0EPKaPaPKlPlN2at6native12_GLOBAL__N_18offset_tEEE10hipError_tPvRmT1_PNSt15iterator_traitsISK_E10value_typeET2_T3_PNSL_ISQ_E10value_typeET4_jRbjT5_SW_jjP12ihipStream_tbEUlT_E_NS1_11comp_targetILNS1_3genE2ELNS1_11target_archE906ELNS1_3gpuE6ELNS1_3repE0EEENS1_30default_config_static_selectorELNS0_4arch9wavefront6targetE0EEEvSK_
    .private_segment_fixed_size: 0
    .sgpr_count:     0
    .sgpr_spill_count: 0
    .symbol:         _ZN7rocprim17ROCPRIM_400000_NS6detail17trampoline_kernelINS0_14default_configENS1_36segmented_radix_sort_config_selectorIalEEZNS1_25segmented_radix_sort_implIS3_Lb0EPKaPaPKlPlN2at6native12_GLOBAL__N_18offset_tEEE10hipError_tPvRmT1_PNSt15iterator_traitsISK_E10value_typeET2_T3_PNSL_ISQ_E10value_typeET4_jRbjT5_SW_jjP12ihipStream_tbEUlT_E_NS1_11comp_targetILNS1_3genE2ELNS1_11target_archE906ELNS1_3gpuE6ELNS1_3repE0EEENS1_30default_config_static_selectorELNS0_4arch9wavefront6targetE0EEEvSK_.kd
    .uniform_work_group_size: 1
    .uses_dynamic_stack: false
    .vgpr_count:     0
    .vgpr_spill_count: 0
    .wavefront_size: 32
    .workgroup_processor_mode: 1
  - .args:
      - .offset:         0
        .size:           96
        .value_kind:     by_value
    .group_segment_fixed_size: 0
    .kernarg_segment_align: 8
    .kernarg_segment_size: 96
    .language:       OpenCL C
    .language_version:
      - 2
      - 0
    .max_flat_workgroup_size: 256
    .name:           _ZN7rocprim17ROCPRIM_400000_NS6detail17trampoline_kernelINS0_14default_configENS1_36segmented_radix_sort_config_selectorIalEEZNS1_25segmented_radix_sort_implIS3_Lb0EPKaPaPKlPlN2at6native12_GLOBAL__N_18offset_tEEE10hipError_tPvRmT1_PNSt15iterator_traitsISK_E10value_typeET2_T3_PNSL_ISQ_E10value_typeET4_jRbjT5_SW_jjP12ihipStream_tbEUlT_E_NS1_11comp_targetILNS1_3genE10ELNS1_11target_archE1201ELNS1_3gpuE5ELNS1_3repE0EEENS1_30default_config_static_selectorELNS0_4arch9wavefront6targetE0EEEvSK_
    .private_segment_fixed_size: 0
    .sgpr_count:     0
    .sgpr_spill_count: 0
    .symbol:         _ZN7rocprim17ROCPRIM_400000_NS6detail17trampoline_kernelINS0_14default_configENS1_36segmented_radix_sort_config_selectorIalEEZNS1_25segmented_radix_sort_implIS3_Lb0EPKaPaPKlPlN2at6native12_GLOBAL__N_18offset_tEEE10hipError_tPvRmT1_PNSt15iterator_traitsISK_E10value_typeET2_T3_PNSL_ISQ_E10value_typeET4_jRbjT5_SW_jjP12ihipStream_tbEUlT_E_NS1_11comp_targetILNS1_3genE10ELNS1_11target_archE1201ELNS1_3gpuE5ELNS1_3repE0EEENS1_30default_config_static_selectorELNS0_4arch9wavefront6targetE0EEEvSK_.kd
    .uniform_work_group_size: 1
    .uses_dynamic_stack: false
    .vgpr_count:     0
    .vgpr_spill_count: 0
    .wavefront_size: 32
    .workgroup_processor_mode: 1
  - .args:
      - .offset:         0
        .size:           96
        .value_kind:     by_value
    .group_segment_fixed_size: 0
    .kernarg_segment_align: 8
    .kernarg_segment_size: 96
    .language:       OpenCL C
    .language_version:
      - 2
      - 0
    .max_flat_workgroup_size: 128
    .name:           _ZN7rocprim17ROCPRIM_400000_NS6detail17trampoline_kernelINS0_14default_configENS1_36segmented_radix_sort_config_selectorIalEEZNS1_25segmented_radix_sort_implIS3_Lb0EPKaPaPKlPlN2at6native12_GLOBAL__N_18offset_tEEE10hipError_tPvRmT1_PNSt15iterator_traitsISK_E10value_typeET2_T3_PNSL_ISQ_E10value_typeET4_jRbjT5_SW_jjP12ihipStream_tbEUlT_E_NS1_11comp_targetILNS1_3genE10ELNS1_11target_archE1200ELNS1_3gpuE4ELNS1_3repE0EEENS1_30default_config_static_selectorELNS0_4arch9wavefront6targetE0EEEvSK_
    .private_segment_fixed_size: 0
    .sgpr_count:     0
    .sgpr_spill_count: 0
    .symbol:         _ZN7rocprim17ROCPRIM_400000_NS6detail17trampoline_kernelINS0_14default_configENS1_36segmented_radix_sort_config_selectorIalEEZNS1_25segmented_radix_sort_implIS3_Lb0EPKaPaPKlPlN2at6native12_GLOBAL__N_18offset_tEEE10hipError_tPvRmT1_PNSt15iterator_traitsISK_E10value_typeET2_T3_PNSL_ISQ_E10value_typeET4_jRbjT5_SW_jjP12ihipStream_tbEUlT_E_NS1_11comp_targetILNS1_3genE10ELNS1_11target_archE1200ELNS1_3gpuE4ELNS1_3repE0EEENS1_30default_config_static_selectorELNS0_4arch9wavefront6targetE0EEEvSK_.kd
    .uniform_work_group_size: 1
    .uses_dynamic_stack: false
    .vgpr_count:     0
    .vgpr_spill_count: 0
    .wavefront_size: 32
    .workgroup_processor_mode: 1
  - .args:
      - .offset:         0
        .size:           96
        .value_kind:     by_value
      - .offset:         96
        .size:           4
        .value_kind:     hidden_block_count_x
      - .offset:         100
        .size:           4
        .value_kind:     hidden_block_count_y
      - .offset:         104
        .size:           4
        .value_kind:     hidden_block_count_z
      - .offset:         108
        .size:           2
        .value_kind:     hidden_group_size_x
      - .offset:         110
        .size:           2
        .value_kind:     hidden_group_size_y
      - .offset:         112
        .size:           2
        .value_kind:     hidden_group_size_z
      - .offset:         114
        .size:           2
        .value_kind:     hidden_remainder_x
      - .offset:         116
        .size:           2
        .value_kind:     hidden_remainder_y
      - .offset:         118
        .size:           2
        .value_kind:     hidden_remainder_z
      - .offset:         136
        .size:           8
        .value_kind:     hidden_global_offset_x
      - .offset:         144
        .size:           8
        .value_kind:     hidden_global_offset_y
      - .offset:         152
        .size:           8
        .value_kind:     hidden_global_offset_z
      - .offset:         160
        .size:           2
        .value_kind:     hidden_grid_dims
    .group_segment_fixed_size: 17440
    .kernarg_segment_align: 8
    .kernarg_segment_size: 352
    .language:       OpenCL C
    .language_version:
      - 2
      - 0
    .max_flat_workgroup_size: 256
    .name:           _ZN7rocprim17ROCPRIM_400000_NS6detail17trampoline_kernelINS0_14default_configENS1_36segmented_radix_sort_config_selectorIalEEZNS1_25segmented_radix_sort_implIS3_Lb0EPKaPaPKlPlN2at6native12_GLOBAL__N_18offset_tEEE10hipError_tPvRmT1_PNSt15iterator_traitsISK_E10value_typeET2_T3_PNSL_ISQ_E10value_typeET4_jRbjT5_SW_jjP12ihipStream_tbEUlT_E_NS1_11comp_targetILNS1_3genE9ELNS1_11target_archE1100ELNS1_3gpuE3ELNS1_3repE0EEENS1_30default_config_static_selectorELNS0_4arch9wavefront6targetE0EEEvSK_
    .private_segment_fixed_size: 0
    .sgpr_count:     56
    .sgpr_spill_count: 0
    .symbol:         _ZN7rocprim17ROCPRIM_400000_NS6detail17trampoline_kernelINS0_14default_configENS1_36segmented_radix_sort_config_selectorIalEEZNS1_25segmented_radix_sort_implIS3_Lb0EPKaPaPKlPlN2at6native12_GLOBAL__N_18offset_tEEE10hipError_tPvRmT1_PNSt15iterator_traitsISK_E10value_typeET2_T3_PNSL_ISQ_E10value_typeET4_jRbjT5_SW_jjP12ihipStream_tbEUlT_E_NS1_11comp_targetILNS1_3genE9ELNS1_11target_archE1100ELNS1_3gpuE3ELNS1_3repE0EEENS1_30default_config_static_selectorELNS0_4arch9wavefront6targetE0EEEvSK_.kd
    .uniform_work_group_size: 1
    .uses_dynamic_stack: false
    .vgpr_count:     183
    .vgpr_spill_count: 0
    .wavefront_size: 32
    .workgroup_processor_mode: 1
  - .args:
      - .offset:         0
        .size:           96
        .value_kind:     by_value
    .group_segment_fixed_size: 0
    .kernarg_segment_align: 8
    .kernarg_segment_size: 96
    .language:       OpenCL C
    .language_version:
      - 2
      - 0
    .max_flat_workgroup_size: 256
    .name:           _ZN7rocprim17ROCPRIM_400000_NS6detail17trampoline_kernelINS0_14default_configENS1_36segmented_radix_sort_config_selectorIalEEZNS1_25segmented_radix_sort_implIS3_Lb0EPKaPaPKlPlN2at6native12_GLOBAL__N_18offset_tEEE10hipError_tPvRmT1_PNSt15iterator_traitsISK_E10value_typeET2_T3_PNSL_ISQ_E10value_typeET4_jRbjT5_SW_jjP12ihipStream_tbEUlT_E_NS1_11comp_targetILNS1_3genE8ELNS1_11target_archE1030ELNS1_3gpuE2ELNS1_3repE0EEENS1_30default_config_static_selectorELNS0_4arch9wavefront6targetE0EEEvSK_
    .private_segment_fixed_size: 0
    .sgpr_count:     0
    .sgpr_spill_count: 0
    .symbol:         _ZN7rocprim17ROCPRIM_400000_NS6detail17trampoline_kernelINS0_14default_configENS1_36segmented_radix_sort_config_selectorIalEEZNS1_25segmented_radix_sort_implIS3_Lb0EPKaPaPKlPlN2at6native12_GLOBAL__N_18offset_tEEE10hipError_tPvRmT1_PNSt15iterator_traitsISK_E10value_typeET2_T3_PNSL_ISQ_E10value_typeET4_jRbjT5_SW_jjP12ihipStream_tbEUlT_E_NS1_11comp_targetILNS1_3genE8ELNS1_11target_archE1030ELNS1_3gpuE2ELNS1_3repE0EEENS1_30default_config_static_selectorELNS0_4arch9wavefront6targetE0EEEvSK_.kd
    .uniform_work_group_size: 1
    .uses_dynamic_stack: false
    .vgpr_count:     0
    .vgpr_spill_count: 0
    .wavefront_size: 32
    .workgroup_processor_mode: 1
  - .args:
      - .offset:         0
        .size:           88
        .value_kind:     by_value
    .group_segment_fixed_size: 0
    .kernarg_segment_align: 8
    .kernarg_segment_size: 88
    .language:       OpenCL C
    .language_version:
      - 2
      - 0
    .max_flat_workgroup_size: 256
    .name:           _ZN7rocprim17ROCPRIM_400000_NS6detail17trampoline_kernelINS0_14default_configENS1_36segmented_radix_sort_config_selectorIalEEZNS1_25segmented_radix_sort_implIS3_Lb0EPKaPaPKlPlN2at6native12_GLOBAL__N_18offset_tEEE10hipError_tPvRmT1_PNSt15iterator_traitsISK_E10value_typeET2_T3_PNSL_ISQ_E10value_typeET4_jRbjT5_SW_jjP12ihipStream_tbEUlT_E0_NS1_11comp_targetILNS1_3genE0ELNS1_11target_archE4294967295ELNS1_3gpuE0ELNS1_3repE0EEENS1_60segmented_radix_sort_warp_sort_medium_config_static_selectorELNS0_4arch9wavefront6targetE0EEEvSK_
    .private_segment_fixed_size: 0
    .sgpr_count:     0
    .sgpr_spill_count: 0
    .symbol:         _ZN7rocprim17ROCPRIM_400000_NS6detail17trampoline_kernelINS0_14default_configENS1_36segmented_radix_sort_config_selectorIalEEZNS1_25segmented_radix_sort_implIS3_Lb0EPKaPaPKlPlN2at6native12_GLOBAL__N_18offset_tEEE10hipError_tPvRmT1_PNSt15iterator_traitsISK_E10value_typeET2_T3_PNSL_ISQ_E10value_typeET4_jRbjT5_SW_jjP12ihipStream_tbEUlT_E0_NS1_11comp_targetILNS1_3genE0ELNS1_11target_archE4294967295ELNS1_3gpuE0ELNS1_3repE0EEENS1_60segmented_radix_sort_warp_sort_medium_config_static_selectorELNS0_4arch9wavefront6targetE0EEEvSK_.kd
    .uniform_work_group_size: 1
    .uses_dynamic_stack: false
    .vgpr_count:     0
    .vgpr_spill_count: 0
    .wavefront_size: 32
    .workgroup_processor_mode: 1
  - .args:
      - .offset:         0
        .size:           88
        .value_kind:     by_value
    .group_segment_fixed_size: 0
    .kernarg_segment_align: 8
    .kernarg_segment_size: 88
    .language:       OpenCL C
    .language_version:
      - 2
      - 0
    .max_flat_workgroup_size: 256
    .name:           _ZN7rocprim17ROCPRIM_400000_NS6detail17trampoline_kernelINS0_14default_configENS1_36segmented_radix_sort_config_selectorIalEEZNS1_25segmented_radix_sort_implIS3_Lb0EPKaPaPKlPlN2at6native12_GLOBAL__N_18offset_tEEE10hipError_tPvRmT1_PNSt15iterator_traitsISK_E10value_typeET2_T3_PNSL_ISQ_E10value_typeET4_jRbjT5_SW_jjP12ihipStream_tbEUlT_E0_NS1_11comp_targetILNS1_3genE5ELNS1_11target_archE942ELNS1_3gpuE9ELNS1_3repE0EEENS1_60segmented_radix_sort_warp_sort_medium_config_static_selectorELNS0_4arch9wavefront6targetE0EEEvSK_
    .private_segment_fixed_size: 0
    .sgpr_count:     0
    .sgpr_spill_count: 0
    .symbol:         _ZN7rocprim17ROCPRIM_400000_NS6detail17trampoline_kernelINS0_14default_configENS1_36segmented_radix_sort_config_selectorIalEEZNS1_25segmented_radix_sort_implIS3_Lb0EPKaPaPKlPlN2at6native12_GLOBAL__N_18offset_tEEE10hipError_tPvRmT1_PNSt15iterator_traitsISK_E10value_typeET2_T3_PNSL_ISQ_E10value_typeET4_jRbjT5_SW_jjP12ihipStream_tbEUlT_E0_NS1_11comp_targetILNS1_3genE5ELNS1_11target_archE942ELNS1_3gpuE9ELNS1_3repE0EEENS1_60segmented_radix_sort_warp_sort_medium_config_static_selectorELNS0_4arch9wavefront6targetE0EEEvSK_.kd
    .uniform_work_group_size: 1
    .uses_dynamic_stack: false
    .vgpr_count:     0
    .vgpr_spill_count: 0
    .wavefront_size: 32
    .workgroup_processor_mode: 1
  - .args:
      - .offset:         0
        .size:           88
        .value_kind:     by_value
    .group_segment_fixed_size: 0
    .kernarg_segment_align: 8
    .kernarg_segment_size: 88
    .language:       OpenCL C
    .language_version:
      - 2
      - 0
    .max_flat_workgroup_size: 256
    .name:           _ZN7rocprim17ROCPRIM_400000_NS6detail17trampoline_kernelINS0_14default_configENS1_36segmented_radix_sort_config_selectorIalEEZNS1_25segmented_radix_sort_implIS3_Lb0EPKaPaPKlPlN2at6native12_GLOBAL__N_18offset_tEEE10hipError_tPvRmT1_PNSt15iterator_traitsISK_E10value_typeET2_T3_PNSL_ISQ_E10value_typeET4_jRbjT5_SW_jjP12ihipStream_tbEUlT_E0_NS1_11comp_targetILNS1_3genE4ELNS1_11target_archE910ELNS1_3gpuE8ELNS1_3repE0EEENS1_60segmented_radix_sort_warp_sort_medium_config_static_selectorELNS0_4arch9wavefront6targetE0EEEvSK_
    .private_segment_fixed_size: 0
    .sgpr_count:     0
    .sgpr_spill_count: 0
    .symbol:         _ZN7rocprim17ROCPRIM_400000_NS6detail17trampoline_kernelINS0_14default_configENS1_36segmented_radix_sort_config_selectorIalEEZNS1_25segmented_radix_sort_implIS3_Lb0EPKaPaPKlPlN2at6native12_GLOBAL__N_18offset_tEEE10hipError_tPvRmT1_PNSt15iterator_traitsISK_E10value_typeET2_T3_PNSL_ISQ_E10value_typeET4_jRbjT5_SW_jjP12ihipStream_tbEUlT_E0_NS1_11comp_targetILNS1_3genE4ELNS1_11target_archE910ELNS1_3gpuE8ELNS1_3repE0EEENS1_60segmented_radix_sort_warp_sort_medium_config_static_selectorELNS0_4arch9wavefront6targetE0EEEvSK_.kd
    .uniform_work_group_size: 1
    .uses_dynamic_stack: false
    .vgpr_count:     0
    .vgpr_spill_count: 0
    .wavefront_size: 32
    .workgroup_processor_mode: 1
  - .args:
      - .offset:         0
        .size:           88
        .value_kind:     by_value
    .group_segment_fixed_size: 0
    .kernarg_segment_align: 8
    .kernarg_segment_size: 88
    .language:       OpenCL C
    .language_version:
      - 2
      - 0
    .max_flat_workgroup_size: 256
    .name:           _ZN7rocprim17ROCPRIM_400000_NS6detail17trampoline_kernelINS0_14default_configENS1_36segmented_radix_sort_config_selectorIalEEZNS1_25segmented_radix_sort_implIS3_Lb0EPKaPaPKlPlN2at6native12_GLOBAL__N_18offset_tEEE10hipError_tPvRmT1_PNSt15iterator_traitsISK_E10value_typeET2_T3_PNSL_ISQ_E10value_typeET4_jRbjT5_SW_jjP12ihipStream_tbEUlT_E0_NS1_11comp_targetILNS1_3genE3ELNS1_11target_archE908ELNS1_3gpuE7ELNS1_3repE0EEENS1_60segmented_radix_sort_warp_sort_medium_config_static_selectorELNS0_4arch9wavefront6targetE0EEEvSK_
    .private_segment_fixed_size: 0
    .sgpr_count:     0
    .sgpr_spill_count: 0
    .symbol:         _ZN7rocprim17ROCPRIM_400000_NS6detail17trampoline_kernelINS0_14default_configENS1_36segmented_radix_sort_config_selectorIalEEZNS1_25segmented_radix_sort_implIS3_Lb0EPKaPaPKlPlN2at6native12_GLOBAL__N_18offset_tEEE10hipError_tPvRmT1_PNSt15iterator_traitsISK_E10value_typeET2_T3_PNSL_ISQ_E10value_typeET4_jRbjT5_SW_jjP12ihipStream_tbEUlT_E0_NS1_11comp_targetILNS1_3genE3ELNS1_11target_archE908ELNS1_3gpuE7ELNS1_3repE0EEENS1_60segmented_radix_sort_warp_sort_medium_config_static_selectorELNS0_4arch9wavefront6targetE0EEEvSK_.kd
    .uniform_work_group_size: 1
    .uses_dynamic_stack: false
    .vgpr_count:     0
    .vgpr_spill_count: 0
    .wavefront_size: 32
    .workgroup_processor_mode: 1
  - .args:
      - .offset:         0
        .size:           88
        .value_kind:     by_value
    .group_segment_fixed_size: 0
    .kernarg_segment_align: 8
    .kernarg_segment_size: 88
    .language:       OpenCL C
    .language_version:
      - 2
      - 0
    .max_flat_workgroup_size: 256
    .name:           _ZN7rocprim17ROCPRIM_400000_NS6detail17trampoline_kernelINS0_14default_configENS1_36segmented_radix_sort_config_selectorIalEEZNS1_25segmented_radix_sort_implIS3_Lb0EPKaPaPKlPlN2at6native12_GLOBAL__N_18offset_tEEE10hipError_tPvRmT1_PNSt15iterator_traitsISK_E10value_typeET2_T3_PNSL_ISQ_E10value_typeET4_jRbjT5_SW_jjP12ihipStream_tbEUlT_E0_NS1_11comp_targetILNS1_3genE2ELNS1_11target_archE906ELNS1_3gpuE6ELNS1_3repE0EEENS1_60segmented_radix_sort_warp_sort_medium_config_static_selectorELNS0_4arch9wavefront6targetE0EEEvSK_
    .private_segment_fixed_size: 0
    .sgpr_count:     0
    .sgpr_spill_count: 0
    .symbol:         _ZN7rocprim17ROCPRIM_400000_NS6detail17trampoline_kernelINS0_14default_configENS1_36segmented_radix_sort_config_selectorIalEEZNS1_25segmented_radix_sort_implIS3_Lb0EPKaPaPKlPlN2at6native12_GLOBAL__N_18offset_tEEE10hipError_tPvRmT1_PNSt15iterator_traitsISK_E10value_typeET2_T3_PNSL_ISQ_E10value_typeET4_jRbjT5_SW_jjP12ihipStream_tbEUlT_E0_NS1_11comp_targetILNS1_3genE2ELNS1_11target_archE906ELNS1_3gpuE6ELNS1_3repE0EEENS1_60segmented_radix_sort_warp_sort_medium_config_static_selectorELNS0_4arch9wavefront6targetE0EEEvSK_.kd
    .uniform_work_group_size: 1
    .uses_dynamic_stack: false
    .vgpr_count:     0
    .vgpr_spill_count: 0
    .wavefront_size: 32
    .workgroup_processor_mode: 1
  - .args:
      - .offset:         0
        .size:           88
        .value_kind:     by_value
    .group_segment_fixed_size: 0
    .kernarg_segment_align: 8
    .kernarg_segment_size: 88
    .language:       OpenCL C
    .language_version:
      - 2
      - 0
    .max_flat_workgroup_size: 256
    .name:           _ZN7rocprim17ROCPRIM_400000_NS6detail17trampoline_kernelINS0_14default_configENS1_36segmented_radix_sort_config_selectorIalEEZNS1_25segmented_radix_sort_implIS3_Lb0EPKaPaPKlPlN2at6native12_GLOBAL__N_18offset_tEEE10hipError_tPvRmT1_PNSt15iterator_traitsISK_E10value_typeET2_T3_PNSL_ISQ_E10value_typeET4_jRbjT5_SW_jjP12ihipStream_tbEUlT_E0_NS1_11comp_targetILNS1_3genE10ELNS1_11target_archE1201ELNS1_3gpuE5ELNS1_3repE0EEENS1_60segmented_radix_sort_warp_sort_medium_config_static_selectorELNS0_4arch9wavefront6targetE0EEEvSK_
    .private_segment_fixed_size: 0
    .sgpr_count:     0
    .sgpr_spill_count: 0
    .symbol:         _ZN7rocprim17ROCPRIM_400000_NS6detail17trampoline_kernelINS0_14default_configENS1_36segmented_radix_sort_config_selectorIalEEZNS1_25segmented_radix_sort_implIS3_Lb0EPKaPaPKlPlN2at6native12_GLOBAL__N_18offset_tEEE10hipError_tPvRmT1_PNSt15iterator_traitsISK_E10value_typeET2_T3_PNSL_ISQ_E10value_typeET4_jRbjT5_SW_jjP12ihipStream_tbEUlT_E0_NS1_11comp_targetILNS1_3genE10ELNS1_11target_archE1201ELNS1_3gpuE5ELNS1_3repE0EEENS1_60segmented_radix_sort_warp_sort_medium_config_static_selectorELNS0_4arch9wavefront6targetE0EEEvSK_.kd
    .uniform_work_group_size: 1
    .uses_dynamic_stack: false
    .vgpr_count:     0
    .vgpr_spill_count: 0
    .wavefront_size: 32
    .workgroup_processor_mode: 1
  - .args:
      - .offset:         0
        .size:           88
        .value_kind:     by_value
    .group_segment_fixed_size: 0
    .kernarg_segment_align: 8
    .kernarg_segment_size: 88
    .language:       OpenCL C
    .language_version:
      - 2
      - 0
    .max_flat_workgroup_size: 256
    .name:           _ZN7rocprim17ROCPRIM_400000_NS6detail17trampoline_kernelINS0_14default_configENS1_36segmented_radix_sort_config_selectorIalEEZNS1_25segmented_radix_sort_implIS3_Lb0EPKaPaPKlPlN2at6native12_GLOBAL__N_18offset_tEEE10hipError_tPvRmT1_PNSt15iterator_traitsISK_E10value_typeET2_T3_PNSL_ISQ_E10value_typeET4_jRbjT5_SW_jjP12ihipStream_tbEUlT_E0_NS1_11comp_targetILNS1_3genE10ELNS1_11target_archE1200ELNS1_3gpuE4ELNS1_3repE0EEENS1_60segmented_radix_sort_warp_sort_medium_config_static_selectorELNS0_4arch9wavefront6targetE0EEEvSK_
    .private_segment_fixed_size: 0
    .sgpr_count:     0
    .sgpr_spill_count: 0
    .symbol:         _ZN7rocprim17ROCPRIM_400000_NS6detail17trampoline_kernelINS0_14default_configENS1_36segmented_radix_sort_config_selectorIalEEZNS1_25segmented_radix_sort_implIS3_Lb0EPKaPaPKlPlN2at6native12_GLOBAL__N_18offset_tEEE10hipError_tPvRmT1_PNSt15iterator_traitsISK_E10value_typeET2_T3_PNSL_ISQ_E10value_typeET4_jRbjT5_SW_jjP12ihipStream_tbEUlT_E0_NS1_11comp_targetILNS1_3genE10ELNS1_11target_archE1200ELNS1_3gpuE4ELNS1_3repE0EEENS1_60segmented_radix_sort_warp_sort_medium_config_static_selectorELNS0_4arch9wavefront6targetE0EEEvSK_.kd
    .uniform_work_group_size: 1
    .uses_dynamic_stack: false
    .vgpr_count:     0
    .vgpr_spill_count: 0
    .wavefront_size: 32
    .workgroup_processor_mode: 1
  - .args:
      - .offset:         0
        .size:           88
        .value_kind:     by_value
      - .offset:         88
        .size:           4
        .value_kind:     hidden_block_count_x
      - .offset:         92
        .size:           4
        .value_kind:     hidden_block_count_y
      - .offset:         96
        .size:           4
        .value_kind:     hidden_block_count_z
      - .offset:         100
        .size:           2
        .value_kind:     hidden_group_size_x
      - .offset:         102
        .size:           2
        .value_kind:     hidden_group_size_y
      - .offset:         104
        .size:           2
        .value_kind:     hidden_group_size_z
      - .offset:         106
        .size:           2
        .value_kind:     hidden_remainder_x
      - .offset:         108
        .size:           2
        .value_kind:     hidden_remainder_y
      - .offset:         110
        .size:           2
        .value_kind:     hidden_remainder_z
      - .offset:         128
        .size:           8
        .value_kind:     hidden_global_offset_x
      - .offset:         136
        .size:           8
        .value_kind:     hidden_global_offset_y
      - .offset:         144
        .size:           8
        .value_kind:     hidden_global_offset_z
      - .offset:         152
        .size:           2
        .value_kind:     hidden_grid_dims
    .group_segment_fixed_size: 18432
    .kernarg_segment_align: 8
    .kernarg_segment_size: 344
    .language:       OpenCL C
    .language_version:
      - 2
      - 0
    .max_flat_workgroup_size: 256
    .name:           _ZN7rocprim17ROCPRIM_400000_NS6detail17trampoline_kernelINS0_14default_configENS1_36segmented_radix_sort_config_selectorIalEEZNS1_25segmented_radix_sort_implIS3_Lb0EPKaPaPKlPlN2at6native12_GLOBAL__N_18offset_tEEE10hipError_tPvRmT1_PNSt15iterator_traitsISK_E10value_typeET2_T3_PNSL_ISQ_E10value_typeET4_jRbjT5_SW_jjP12ihipStream_tbEUlT_E0_NS1_11comp_targetILNS1_3genE9ELNS1_11target_archE1100ELNS1_3gpuE3ELNS1_3repE0EEENS1_60segmented_radix_sort_warp_sort_medium_config_static_selectorELNS0_4arch9wavefront6targetE0EEEvSK_
    .private_segment_fixed_size: 0
    .sgpr_count:     46
    .sgpr_spill_count: 0
    .symbol:         _ZN7rocprim17ROCPRIM_400000_NS6detail17trampoline_kernelINS0_14default_configENS1_36segmented_radix_sort_config_selectorIalEEZNS1_25segmented_radix_sort_implIS3_Lb0EPKaPaPKlPlN2at6native12_GLOBAL__N_18offset_tEEE10hipError_tPvRmT1_PNSt15iterator_traitsISK_E10value_typeET2_T3_PNSL_ISQ_E10value_typeET4_jRbjT5_SW_jjP12ihipStream_tbEUlT_E0_NS1_11comp_targetILNS1_3genE9ELNS1_11target_archE1100ELNS1_3gpuE3ELNS1_3repE0EEENS1_60segmented_radix_sort_warp_sort_medium_config_static_selectorELNS0_4arch9wavefront6targetE0EEEvSK_.kd
    .uniform_work_group_size: 1
    .uses_dynamic_stack: false
    .vgpr_count:     69
    .vgpr_spill_count: 0
    .wavefront_size: 32
    .workgroup_processor_mode: 1
  - .args:
      - .offset:         0
        .size:           88
        .value_kind:     by_value
    .group_segment_fixed_size: 0
    .kernarg_segment_align: 8
    .kernarg_segment_size: 88
    .language:       OpenCL C
    .language_version:
      - 2
      - 0
    .max_flat_workgroup_size: 256
    .name:           _ZN7rocprim17ROCPRIM_400000_NS6detail17trampoline_kernelINS0_14default_configENS1_36segmented_radix_sort_config_selectorIalEEZNS1_25segmented_radix_sort_implIS3_Lb0EPKaPaPKlPlN2at6native12_GLOBAL__N_18offset_tEEE10hipError_tPvRmT1_PNSt15iterator_traitsISK_E10value_typeET2_T3_PNSL_ISQ_E10value_typeET4_jRbjT5_SW_jjP12ihipStream_tbEUlT_E0_NS1_11comp_targetILNS1_3genE8ELNS1_11target_archE1030ELNS1_3gpuE2ELNS1_3repE0EEENS1_60segmented_radix_sort_warp_sort_medium_config_static_selectorELNS0_4arch9wavefront6targetE0EEEvSK_
    .private_segment_fixed_size: 0
    .sgpr_count:     0
    .sgpr_spill_count: 0
    .symbol:         _ZN7rocprim17ROCPRIM_400000_NS6detail17trampoline_kernelINS0_14default_configENS1_36segmented_radix_sort_config_selectorIalEEZNS1_25segmented_radix_sort_implIS3_Lb0EPKaPaPKlPlN2at6native12_GLOBAL__N_18offset_tEEE10hipError_tPvRmT1_PNSt15iterator_traitsISK_E10value_typeET2_T3_PNSL_ISQ_E10value_typeET4_jRbjT5_SW_jjP12ihipStream_tbEUlT_E0_NS1_11comp_targetILNS1_3genE8ELNS1_11target_archE1030ELNS1_3gpuE2ELNS1_3repE0EEENS1_60segmented_radix_sort_warp_sort_medium_config_static_selectorELNS0_4arch9wavefront6targetE0EEEvSK_.kd
    .uniform_work_group_size: 1
    .uses_dynamic_stack: false
    .vgpr_count:     0
    .vgpr_spill_count: 0
    .wavefront_size: 32
    .workgroup_processor_mode: 1
  - .args:
      - .offset:         0
        .size:           88
        .value_kind:     by_value
    .group_segment_fixed_size: 0
    .kernarg_segment_align: 8
    .kernarg_segment_size: 88
    .language:       OpenCL C
    .language_version:
      - 2
      - 0
    .max_flat_workgroup_size: 256
    .name:           _ZN7rocprim17ROCPRIM_400000_NS6detail17trampoline_kernelINS0_14default_configENS1_36segmented_radix_sort_config_selectorIalEEZNS1_25segmented_radix_sort_implIS3_Lb0EPKaPaPKlPlN2at6native12_GLOBAL__N_18offset_tEEE10hipError_tPvRmT1_PNSt15iterator_traitsISK_E10value_typeET2_T3_PNSL_ISQ_E10value_typeET4_jRbjT5_SW_jjP12ihipStream_tbEUlT_E1_NS1_11comp_targetILNS1_3genE0ELNS1_11target_archE4294967295ELNS1_3gpuE0ELNS1_3repE0EEENS1_59segmented_radix_sort_warp_sort_small_config_static_selectorELNS0_4arch9wavefront6targetE0EEEvSK_
    .private_segment_fixed_size: 0
    .sgpr_count:     0
    .sgpr_spill_count: 0
    .symbol:         _ZN7rocprim17ROCPRIM_400000_NS6detail17trampoline_kernelINS0_14default_configENS1_36segmented_radix_sort_config_selectorIalEEZNS1_25segmented_radix_sort_implIS3_Lb0EPKaPaPKlPlN2at6native12_GLOBAL__N_18offset_tEEE10hipError_tPvRmT1_PNSt15iterator_traitsISK_E10value_typeET2_T3_PNSL_ISQ_E10value_typeET4_jRbjT5_SW_jjP12ihipStream_tbEUlT_E1_NS1_11comp_targetILNS1_3genE0ELNS1_11target_archE4294967295ELNS1_3gpuE0ELNS1_3repE0EEENS1_59segmented_radix_sort_warp_sort_small_config_static_selectorELNS0_4arch9wavefront6targetE0EEEvSK_.kd
    .uniform_work_group_size: 1
    .uses_dynamic_stack: false
    .vgpr_count:     0
    .vgpr_spill_count: 0
    .wavefront_size: 32
    .workgroup_processor_mode: 1
  - .args:
      - .offset:         0
        .size:           88
        .value_kind:     by_value
    .group_segment_fixed_size: 0
    .kernarg_segment_align: 8
    .kernarg_segment_size: 88
    .language:       OpenCL C
    .language_version:
      - 2
      - 0
    .max_flat_workgroup_size: 256
    .name:           _ZN7rocprim17ROCPRIM_400000_NS6detail17trampoline_kernelINS0_14default_configENS1_36segmented_radix_sort_config_selectorIalEEZNS1_25segmented_radix_sort_implIS3_Lb0EPKaPaPKlPlN2at6native12_GLOBAL__N_18offset_tEEE10hipError_tPvRmT1_PNSt15iterator_traitsISK_E10value_typeET2_T3_PNSL_ISQ_E10value_typeET4_jRbjT5_SW_jjP12ihipStream_tbEUlT_E1_NS1_11comp_targetILNS1_3genE5ELNS1_11target_archE942ELNS1_3gpuE9ELNS1_3repE0EEENS1_59segmented_radix_sort_warp_sort_small_config_static_selectorELNS0_4arch9wavefront6targetE0EEEvSK_
    .private_segment_fixed_size: 0
    .sgpr_count:     0
    .sgpr_spill_count: 0
    .symbol:         _ZN7rocprim17ROCPRIM_400000_NS6detail17trampoline_kernelINS0_14default_configENS1_36segmented_radix_sort_config_selectorIalEEZNS1_25segmented_radix_sort_implIS3_Lb0EPKaPaPKlPlN2at6native12_GLOBAL__N_18offset_tEEE10hipError_tPvRmT1_PNSt15iterator_traitsISK_E10value_typeET2_T3_PNSL_ISQ_E10value_typeET4_jRbjT5_SW_jjP12ihipStream_tbEUlT_E1_NS1_11comp_targetILNS1_3genE5ELNS1_11target_archE942ELNS1_3gpuE9ELNS1_3repE0EEENS1_59segmented_radix_sort_warp_sort_small_config_static_selectorELNS0_4arch9wavefront6targetE0EEEvSK_.kd
    .uniform_work_group_size: 1
    .uses_dynamic_stack: false
    .vgpr_count:     0
    .vgpr_spill_count: 0
    .wavefront_size: 32
    .workgroup_processor_mode: 1
  - .args:
      - .offset:         0
        .size:           88
        .value_kind:     by_value
    .group_segment_fixed_size: 0
    .kernarg_segment_align: 8
    .kernarg_segment_size: 88
    .language:       OpenCL C
    .language_version:
      - 2
      - 0
    .max_flat_workgroup_size: 256
    .name:           _ZN7rocprim17ROCPRIM_400000_NS6detail17trampoline_kernelINS0_14default_configENS1_36segmented_radix_sort_config_selectorIalEEZNS1_25segmented_radix_sort_implIS3_Lb0EPKaPaPKlPlN2at6native12_GLOBAL__N_18offset_tEEE10hipError_tPvRmT1_PNSt15iterator_traitsISK_E10value_typeET2_T3_PNSL_ISQ_E10value_typeET4_jRbjT5_SW_jjP12ihipStream_tbEUlT_E1_NS1_11comp_targetILNS1_3genE4ELNS1_11target_archE910ELNS1_3gpuE8ELNS1_3repE0EEENS1_59segmented_radix_sort_warp_sort_small_config_static_selectorELNS0_4arch9wavefront6targetE0EEEvSK_
    .private_segment_fixed_size: 0
    .sgpr_count:     0
    .sgpr_spill_count: 0
    .symbol:         _ZN7rocprim17ROCPRIM_400000_NS6detail17trampoline_kernelINS0_14default_configENS1_36segmented_radix_sort_config_selectorIalEEZNS1_25segmented_radix_sort_implIS3_Lb0EPKaPaPKlPlN2at6native12_GLOBAL__N_18offset_tEEE10hipError_tPvRmT1_PNSt15iterator_traitsISK_E10value_typeET2_T3_PNSL_ISQ_E10value_typeET4_jRbjT5_SW_jjP12ihipStream_tbEUlT_E1_NS1_11comp_targetILNS1_3genE4ELNS1_11target_archE910ELNS1_3gpuE8ELNS1_3repE0EEENS1_59segmented_radix_sort_warp_sort_small_config_static_selectorELNS0_4arch9wavefront6targetE0EEEvSK_.kd
    .uniform_work_group_size: 1
    .uses_dynamic_stack: false
    .vgpr_count:     0
    .vgpr_spill_count: 0
    .wavefront_size: 32
    .workgroup_processor_mode: 1
  - .args:
      - .offset:         0
        .size:           88
        .value_kind:     by_value
    .group_segment_fixed_size: 0
    .kernarg_segment_align: 8
    .kernarg_segment_size: 88
    .language:       OpenCL C
    .language_version:
      - 2
      - 0
    .max_flat_workgroup_size: 256
    .name:           _ZN7rocprim17ROCPRIM_400000_NS6detail17trampoline_kernelINS0_14default_configENS1_36segmented_radix_sort_config_selectorIalEEZNS1_25segmented_radix_sort_implIS3_Lb0EPKaPaPKlPlN2at6native12_GLOBAL__N_18offset_tEEE10hipError_tPvRmT1_PNSt15iterator_traitsISK_E10value_typeET2_T3_PNSL_ISQ_E10value_typeET4_jRbjT5_SW_jjP12ihipStream_tbEUlT_E1_NS1_11comp_targetILNS1_3genE3ELNS1_11target_archE908ELNS1_3gpuE7ELNS1_3repE0EEENS1_59segmented_radix_sort_warp_sort_small_config_static_selectorELNS0_4arch9wavefront6targetE0EEEvSK_
    .private_segment_fixed_size: 0
    .sgpr_count:     0
    .sgpr_spill_count: 0
    .symbol:         _ZN7rocprim17ROCPRIM_400000_NS6detail17trampoline_kernelINS0_14default_configENS1_36segmented_radix_sort_config_selectorIalEEZNS1_25segmented_radix_sort_implIS3_Lb0EPKaPaPKlPlN2at6native12_GLOBAL__N_18offset_tEEE10hipError_tPvRmT1_PNSt15iterator_traitsISK_E10value_typeET2_T3_PNSL_ISQ_E10value_typeET4_jRbjT5_SW_jjP12ihipStream_tbEUlT_E1_NS1_11comp_targetILNS1_3genE3ELNS1_11target_archE908ELNS1_3gpuE7ELNS1_3repE0EEENS1_59segmented_radix_sort_warp_sort_small_config_static_selectorELNS0_4arch9wavefront6targetE0EEEvSK_.kd
    .uniform_work_group_size: 1
    .uses_dynamic_stack: false
    .vgpr_count:     0
    .vgpr_spill_count: 0
    .wavefront_size: 32
    .workgroup_processor_mode: 1
  - .args:
      - .offset:         0
        .size:           88
        .value_kind:     by_value
    .group_segment_fixed_size: 0
    .kernarg_segment_align: 8
    .kernarg_segment_size: 88
    .language:       OpenCL C
    .language_version:
      - 2
      - 0
    .max_flat_workgroup_size: 256
    .name:           _ZN7rocprim17ROCPRIM_400000_NS6detail17trampoline_kernelINS0_14default_configENS1_36segmented_radix_sort_config_selectorIalEEZNS1_25segmented_radix_sort_implIS3_Lb0EPKaPaPKlPlN2at6native12_GLOBAL__N_18offset_tEEE10hipError_tPvRmT1_PNSt15iterator_traitsISK_E10value_typeET2_T3_PNSL_ISQ_E10value_typeET4_jRbjT5_SW_jjP12ihipStream_tbEUlT_E1_NS1_11comp_targetILNS1_3genE2ELNS1_11target_archE906ELNS1_3gpuE6ELNS1_3repE0EEENS1_59segmented_radix_sort_warp_sort_small_config_static_selectorELNS0_4arch9wavefront6targetE0EEEvSK_
    .private_segment_fixed_size: 0
    .sgpr_count:     0
    .sgpr_spill_count: 0
    .symbol:         _ZN7rocprim17ROCPRIM_400000_NS6detail17trampoline_kernelINS0_14default_configENS1_36segmented_radix_sort_config_selectorIalEEZNS1_25segmented_radix_sort_implIS3_Lb0EPKaPaPKlPlN2at6native12_GLOBAL__N_18offset_tEEE10hipError_tPvRmT1_PNSt15iterator_traitsISK_E10value_typeET2_T3_PNSL_ISQ_E10value_typeET4_jRbjT5_SW_jjP12ihipStream_tbEUlT_E1_NS1_11comp_targetILNS1_3genE2ELNS1_11target_archE906ELNS1_3gpuE6ELNS1_3repE0EEENS1_59segmented_radix_sort_warp_sort_small_config_static_selectorELNS0_4arch9wavefront6targetE0EEEvSK_.kd
    .uniform_work_group_size: 1
    .uses_dynamic_stack: false
    .vgpr_count:     0
    .vgpr_spill_count: 0
    .wavefront_size: 32
    .workgroup_processor_mode: 1
  - .args:
      - .offset:         0
        .size:           88
        .value_kind:     by_value
    .group_segment_fixed_size: 0
    .kernarg_segment_align: 8
    .kernarg_segment_size: 88
    .language:       OpenCL C
    .language_version:
      - 2
      - 0
    .max_flat_workgroup_size: 256
    .name:           _ZN7rocprim17ROCPRIM_400000_NS6detail17trampoline_kernelINS0_14default_configENS1_36segmented_radix_sort_config_selectorIalEEZNS1_25segmented_radix_sort_implIS3_Lb0EPKaPaPKlPlN2at6native12_GLOBAL__N_18offset_tEEE10hipError_tPvRmT1_PNSt15iterator_traitsISK_E10value_typeET2_T3_PNSL_ISQ_E10value_typeET4_jRbjT5_SW_jjP12ihipStream_tbEUlT_E1_NS1_11comp_targetILNS1_3genE10ELNS1_11target_archE1201ELNS1_3gpuE5ELNS1_3repE0EEENS1_59segmented_radix_sort_warp_sort_small_config_static_selectorELNS0_4arch9wavefront6targetE0EEEvSK_
    .private_segment_fixed_size: 0
    .sgpr_count:     0
    .sgpr_spill_count: 0
    .symbol:         _ZN7rocprim17ROCPRIM_400000_NS6detail17trampoline_kernelINS0_14default_configENS1_36segmented_radix_sort_config_selectorIalEEZNS1_25segmented_radix_sort_implIS3_Lb0EPKaPaPKlPlN2at6native12_GLOBAL__N_18offset_tEEE10hipError_tPvRmT1_PNSt15iterator_traitsISK_E10value_typeET2_T3_PNSL_ISQ_E10value_typeET4_jRbjT5_SW_jjP12ihipStream_tbEUlT_E1_NS1_11comp_targetILNS1_3genE10ELNS1_11target_archE1201ELNS1_3gpuE5ELNS1_3repE0EEENS1_59segmented_radix_sort_warp_sort_small_config_static_selectorELNS0_4arch9wavefront6targetE0EEEvSK_.kd
    .uniform_work_group_size: 1
    .uses_dynamic_stack: false
    .vgpr_count:     0
    .vgpr_spill_count: 0
    .wavefront_size: 32
    .workgroup_processor_mode: 1
  - .args:
      - .offset:         0
        .size:           88
        .value_kind:     by_value
    .group_segment_fixed_size: 0
    .kernarg_segment_align: 8
    .kernarg_segment_size: 88
    .language:       OpenCL C
    .language_version:
      - 2
      - 0
    .max_flat_workgroup_size: 256
    .name:           _ZN7rocprim17ROCPRIM_400000_NS6detail17trampoline_kernelINS0_14default_configENS1_36segmented_radix_sort_config_selectorIalEEZNS1_25segmented_radix_sort_implIS3_Lb0EPKaPaPKlPlN2at6native12_GLOBAL__N_18offset_tEEE10hipError_tPvRmT1_PNSt15iterator_traitsISK_E10value_typeET2_T3_PNSL_ISQ_E10value_typeET4_jRbjT5_SW_jjP12ihipStream_tbEUlT_E1_NS1_11comp_targetILNS1_3genE10ELNS1_11target_archE1200ELNS1_3gpuE4ELNS1_3repE0EEENS1_59segmented_radix_sort_warp_sort_small_config_static_selectorELNS0_4arch9wavefront6targetE0EEEvSK_
    .private_segment_fixed_size: 0
    .sgpr_count:     0
    .sgpr_spill_count: 0
    .symbol:         _ZN7rocprim17ROCPRIM_400000_NS6detail17trampoline_kernelINS0_14default_configENS1_36segmented_radix_sort_config_selectorIalEEZNS1_25segmented_radix_sort_implIS3_Lb0EPKaPaPKlPlN2at6native12_GLOBAL__N_18offset_tEEE10hipError_tPvRmT1_PNSt15iterator_traitsISK_E10value_typeET2_T3_PNSL_ISQ_E10value_typeET4_jRbjT5_SW_jjP12ihipStream_tbEUlT_E1_NS1_11comp_targetILNS1_3genE10ELNS1_11target_archE1200ELNS1_3gpuE4ELNS1_3repE0EEENS1_59segmented_radix_sort_warp_sort_small_config_static_selectorELNS0_4arch9wavefront6targetE0EEEvSK_.kd
    .uniform_work_group_size: 1
    .uses_dynamic_stack: false
    .vgpr_count:     0
    .vgpr_spill_count: 0
    .wavefront_size: 32
    .workgroup_processor_mode: 1
  - .args:
      - .offset:         0
        .size:           88
        .value_kind:     by_value
      - .offset:         88
        .size:           4
        .value_kind:     hidden_block_count_x
      - .offset:         92
        .size:           4
        .value_kind:     hidden_block_count_y
      - .offset:         96
        .size:           4
        .value_kind:     hidden_block_count_z
      - .offset:         100
        .size:           2
        .value_kind:     hidden_group_size_x
      - .offset:         102
        .size:           2
        .value_kind:     hidden_group_size_y
      - .offset:         104
        .size:           2
        .value_kind:     hidden_group_size_z
      - .offset:         106
        .size:           2
        .value_kind:     hidden_remainder_x
      - .offset:         108
        .size:           2
        .value_kind:     hidden_remainder_y
      - .offset:         110
        .size:           2
        .value_kind:     hidden_remainder_z
      - .offset:         128
        .size:           8
        .value_kind:     hidden_global_offset_x
      - .offset:         136
        .size:           8
        .value_kind:     hidden_global_offset_y
      - .offset:         144
        .size:           8
        .value_kind:     hidden_global_offset_z
      - .offset:         152
        .size:           2
        .value_kind:     hidden_grid_dims
    .group_segment_fixed_size: 9216
    .kernarg_segment_align: 8
    .kernarg_segment_size: 344
    .language:       OpenCL C
    .language_version:
      - 2
      - 0
    .max_flat_workgroup_size: 256
    .name:           _ZN7rocprim17ROCPRIM_400000_NS6detail17trampoline_kernelINS0_14default_configENS1_36segmented_radix_sort_config_selectorIalEEZNS1_25segmented_radix_sort_implIS3_Lb0EPKaPaPKlPlN2at6native12_GLOBAL__N_18offset_tEEE10hipError_tPvRmT1_PNSt15iterator_traitsISK_E10value_typeET2_T3_PNSL_ISQ_E10value_typeET4_jRbjT5_SW_jjP12ihipStream_tbEUlT_E1_NS1_11comp_targetILNS1_3genE9ELNS1_11target_archE1100ELNS1_3gpuE3ELNS1_3repE0EEENS1_59segmented_radix_sort_warp_sort_small_config_static_selectorELNS0_4arch9wavefront6targetE0EEEvSK_
    .private_segment_fixed_size: 0
    .sgpr_count:     35
    .sgpr_spill_count: 0
    .symbol:         _ZN7rocprim17ROCPRIM_400000_NS6detail17trampoline_kernelINS0_14default_configENS1_36segmented_radix_sort_config_selectorIalEEZNS1_25segmented_radix_sort_implIS3_Lb0EPKaPaPKlPlN2at6native12_GLOBAL__N_18offset_tEEE10hipError_tPvRmT1_PNSt15iterator_traitsISK_E10value_typeET2_T3_PNSL_ISQ_E10value_typeET4_jRbjT5_SW_jjP12ihipStream_tbEUlT_E1_NS1_11comp_targetILNS1_3genE9ELNS1_11target_archE1100ELNS1_3gpuE3ELNS1_3repE0EEENS1_59segmented_radix_sort_warp_sort_small_config_static_selectorELNS0_4arch9wavefront6targetE0EEEvSK_.kd
    .uniform_work_group_size: 1
    .uses_dynamic_stack: false
    .vgpr_count:     65
    .vgpr_spill_count: 0
    .wavefront_size: 32
    .workgroup_processor_mode: 1
  - .args:
      - .offset:         0
        .size:           88
        .value_kind:     by_value
    .group_segment_fixed_size: 0
    .kernarg_segment_align: 8
    .kernarg_segment_size: 88
    .language:       OpenCL C
    .language_version:
      - 2
      - 0
    .max_flat_workgroup_size: 256
    .name:           _ZN7rocprim17ROCPRIM_400000_NS6detail17trampoline_kernelINS0_14default_configENS1_36segmented_radix_sort_config_selectorIalEEZNS1_25segmented_radix_sort_implIS3_Lb0EPKaPaPKlPlN2at6native12_GLOBAL__N_18offset_tEEE10hipError_tPvRmT1_PNSt15iterator_traitsISK_E10value_typeET2_T3_PNSL_ISQ_E10value_typeET4_jRbjT5_SW_jjP12ihipStream_tbEUlT_E1_NS1_11comp_targetILNS1_3genE8ELNS1_11target_archE1030ELNS1_3gpuE2ELNS1_3repE0EEENS1_59segmented_radix_sort_warp_sort_small_config_static_selectorELNS0_4arch9wavefront6targetE0EEEvSK_
    .private_segment_fixed_size: 0
    .sgpr_count:     0
    .sgpr_spill_count: 0
    .symbol:         _ZN7rocprim17ROCPRIM_400000_NS6detail17trampoline_kernelINS0_14default_configENS1_36segmented_radix_sort_config_selectorIalEEZNS1_25segmented_radix_sort_implIS3_Lb0EPKaPaPKlPlN2at6native12_GLOBAL__N_18offset_tEEE10hipError_tPvRmT1_PNSt15iterator_traitsISK_E10value_typeET2_T3_PNSL_ISQ_E10value_typeET4_jRbjT5_SW_jjP12ihipStream_tbEUlT_E1_NS1_11comp_targetILNS1_3genE8ELNS1_11target_archE1030ELNS1_3gpuE2ELNS1_3repE0EEENS1_59segmented_radix_sort_warp_sort_small_config_static_selectorELNS0_4arch9wavefront6targetE0EEEvSK_.kd
    .uniform_work_group_size: 1
    .uses_dynamic_stack: false
    .vgpr_count:     0
    .vgpr_spill_count: 0
    .wavefront_size: 32
    .workgroup_processor_mode: 1
  - .args:
      - .offset:         0
        .size:           80
        .value_kind:     by_value
    .group_segment_fixed_size: 0
    .kernarg_segment_align: 8
    .kernarg_segment_size: 80
    .language:       OpenCL C
    .language_version:
      - 2
      - 0
    .max_flat_workgroup_size: 256
    .name:           _ZN7rocprim17ROCPRIM_400000_NS6detail17trampoline_kernelINS0_14default_configENS1_36segmented_radix_sort_config_selectorIalEEZNS1_25segmented_radix_sort_implIS3_Lb0EPKaPaPKlPlN2at6native12_GLOBAL__N_18offset_tEEE10hipError_tPvRmT1_PNSt15iterator_traitsISK_E10value_typeET2_T3_PNSL_ISQ_E10value_typeET4_jRbjT5_SW_jjP12ihipStream_tbEUlT_E2_NS1_11comp_targetILNS1_3genE0ELNS1_11target_archE4294967295ELNS1_3gpuE0ELNS1_3repE0EEENS1_30default_config_static_selectorELNS0_4arch9wavefront6targetE0EEEvSK_
    .private_segment_fixed_size: 0
    .sgpr_count:     0
    .sgpr_spill_count: 0
    .symbol:         _ZN7rocprim17ROCPRIM_400000_NS6detail17trampoline_kernelINS0_14default_configENS1_36segmented_radix_sort_config_selectorIalEEZNS1_25segmented_radix_sort_implIS3_Lb0EPKaPaPKlPlN2at6native12_GLOBAL__N_18offset_tEEE10hipError_tPvRmT1_PNSt15iterator_traitsISK_E10value_typeET2_T3_PNSL_ISQ_E10value_typeET4_jRbjT5_SW_jjP12ihipStream_tbEUlT_E2_NS1_11comp_targetILNS1_3genE0ELNS1_11target_archE4294967295ELNS1_3gpuE0ELNS1_3repE0EEENS1_30default_config_static_selectorELNS0_4arch9wavefront6targetE0EEEvSK_.kd
    .uniform_work_group_size: 1
    .uses_dynamic_stack: false
    .vgpr_count:     0
    .vgpr_spill_count: 0
    .wavefront_size: 32
    .workgroup_processor_mode: 1
  - .args:
      - .offset:         0
        .size:           80
        .value_kind:     by_value
    .group_segment_fixed_size: 0
    .kernarg_segment_align: 8
    .kernarg_segment_size: 80
    .language:       OpenCL C
    .language_version:
      - 2
      - 0
    .max_flat_workgroup_size: 256
    .name:           _ZN7rocprim17ROCPRIM_400000_NS6detail17trampoline_kernelINS0_14default_configENS1_36segmented_radix_sort_config_selectorIalEEZNS1_25segmented_radix_sort_implIS3_Lb0EPKaPaPKlPlN2at6native12_GLOBAL__N_18offset_tEEE10hipError_tPvRmT1_PNSt15iterator_traitsISK_E10value_typeET2_T3_PNSL_ISQ_E10value_typeET4_jRbjT5_SW_jjP12ihipStream_tbEUlT_E2_NS1_11comp_targetILNS1_3genE5ELNS1_11target_archE942ELNS1_3gpuE9ELNS1_3repE0EEENS1_30default_config_static_selectorELNS0_4arch9wavefront6targetE0EEEvSK_
    .private_segment_fixed_size: 0
    .sgpr_count:     0
    .sgpr_spill_count: 0
    .symbol:         _ZN7rocprim17ROCPRIM_400000_NS6detail17trampoline_kernelINS0_14default_configENS1_36segmented_radix_sort_config_selectorIalEEZNS1_25segmented_radix_sort_implIS3_Lb0EPKaPaPKlPlN2at6native12_GLOBAL__N_18offset_tEEE10hipError_tPvRmT1_PNSt15iterator_traitsISK_E10value_typeET2_T3_PNSL_ISQ_E10value_typeET4_jRbjT5_SW_jjP12ihipStream_tbEUlT_E2_NS1_11comp_targetILNS1_3genE5ELNS1_11target_archE942ELNS1_3gpuE9ELNS1_3repE0EEENS1_30default_config_static_selectorELNS0_4arch9wavefront6targetE0EEEvSK_.kd
    .uniform_work_group_size: 1
    .uses_dynamic_stack: false
    .vgpr_count:     0
    .vgpr_spill_count: 0
    .wavefront_size: 32
    .workgroup_processor_mode: 1
  - .args:
      - .offset:         0
        .size:           80
        .value_kind:     by_value
    .group_segment_fixed_size: 0
    .kernarg_segment_align: 8
    .kernarg_segment_size: 80
    .language:       OpenCL C
    .language_version:
      - 2
      - 0
    .max_flat_workgroup_size: 256
    .name:           _ZN7rocprim17ROCPRIM_400000_NS6detail17trampoline_kernelINS0_14default_configENS1_36segmented_radix_sort_config_selectorIalEEZNS1_25segmented_radix_sort_implIS3_Lb0EPKaPaPKlPlN2at6native12_GLOBAL__N_18offset_tEEE10hipError_tPvRmT1_PNSt15iterator_traitsISK_E10value_typeET2_T3_PNSL_ISQ_E10value_typeET4_jRbjT5_SW_jjP12ihipStream_tbEUlT_E2_NS1_11comp_targetILNS1_3genE4ELNS1_11target_archE910ELNS1_3gpuE8ELNS1_3repE0EEENS1_30default_config_static_selectorELNS0_4arch9wavefront6targetE0EEEvSK_
    .private_segment_fixed_size: 0
    .sgpr_count:     0
    .sgpr_spill_count: 0
    .symbol:         _ZN7rocprim17ROCPRIM_400000_NS6detail17trampoline_kernelINS0_14default_configENS1_36segmented_radix_sort_config_selectorIalEEZNS1_25segmented_radix_sort_implIS3_Lb0EPKaPaPKlPlN2at6native12_GLOBAL__N_18offset_tEEE10hipError_tPvRmT1_PNSt15iterator_traitsISK_E10value_typeET2_T3_PNSL_ISQ_E10value_typeET4_jRbjT5_SW_jjP12ihipStream_tbEUlT_E2_NS1_11comp_targetILNS1_3genE4ELNS1_11target_archE910ELNS1_3gpuE8ELNS1_3repE0EEENS1_30default_config_static_selectorELNS0_4arch9wavefront6targetE0EEEvSK_.kd
    .uniform_work_group_size: 1
    .uses_dynamic_stack: false
    .vgpr_count:     0
    .vgpr_spill_count: 0
    .wavefront_size: 32
    .workgroup_processor_mode: 1
  - .args:
      - .offset:         0
        .size:           80
        .value_kind:     by_value
    .group_segment_fixed_size: 0
    .kernarg_segment_align: 8
    .kernarg_segment_size: 80
    .language:       OpenCL C
    .language_version:
      - 2
      - 0
    .max_flat_workgroup_size: 256
    .name:           _ZN7rocprim17ROCPRIM_400000_NS6detail17trampoline_kernelINS0_14default_configENS1_36segmented_radix_sort_config_selectorIalEEZNS1_25segmented_radix_sort_implIS3_Lb0EPKaPaPKlPlN2at6native12_GLOBAL__N_18offset_tEEE10hipError_tPvRmT1_PNSt15iterator_traitsISK_E10value_typeET2_T3_PNSL_ISQ_E10value_typeET4_jRbjT5_SW_jjP12ihipStream_tbEUlT_E2_NS1_11comp_targetILNS1_3genE3ELNS1_11target_archE908ELNS1_3gpuE7ELNS1_3repE0EEENS1_30default_config_static_selectorELNS0_4arch9wavefront6targetE0EEEvSK_
    .private_segment_fixed_size: 0
    .sgpr_count:     0
    .sgpr_spill_count: 0
    .symbol:         _ZN7rocprim17ROCPRIM_400000_NS6detail17trampoline_kernelINS0_14default_configENS1_36segmented_radix_sort_config_selectorIalEEZNS1_25segmented_radix_sort_implIS3_Lb0EPKaPaPKlPlN2at6native12_GLOBAL__N_18offset_tEEE10hipError_tPvRmT1_PNSt15iterator_traitsISK_E10value_typeET2_T3_PNSL_ISQ_E10value_typeET4_jRbjT5_SW_jjP12ihipStream_tbEUlT_E2_NS1_11comp_targetILNS1_3genE3ELNS1_11target_archE908ELNS1_3gpuE7ELNS1_3repE0EEENS1_30default_config_static_selectorELNS0_4arch9wavefront6targetE0EEEvSK_.kd
    .uniform_work_group_size: 1
    .uses_dynamic_stack: false
    .vgpr_count:     0
    .vgpr_spill_count: 0
    .wavefront_size: 32
    .workgroup_processor_mode: 1
  - .args:
      - .offset:         0
        .size:           80
        .value_kind:     by_value
    .group_segment_fixed_size: 0
    .kernarg_segment_align: 8
    .kernarg_segment_size: 80
    .language:       OpenCL C
    .language_version:
      - 2
      - 0
    .max_flat_workgroup_size: 256
    .name:           _ZN7rocprim17ROCPRIM_400000_NS6detail17trampoline_kernelINS0_14default_configENS1_36segmented_radix_sort_config_selectorIalEEZNS1_25segmented_radix_sort_implIS3_Lb0EPKaPaPKlPlN2at6native12_GLOBAL__N_18offset_tEEE10hipError_tPvRmT1_PNSt15iterator_traitsISK_E10value_typeET2_T3_PNSL_ISQ_E10value_typeET4_jRbjT5_SW_jjP12ihipStream_tbEUlT_E2_NS1_11comp_targetILNS1_3genE2ELNS1_11target_archE906ELNS1_3gpuE6ELNS1_3repE0EEENS1_30default_config_static_selectorELNS0_4arch9wavefront6targetE0EEEvSK_
    .private_segment_fixed_size: 0
    .sgpr_count:     0
    .sgpr_spill_count: 0
    .symbol:         _ZN7rocprim17ROCPRIM_400000_NS6detail17trampoline_kernelINS0_14default_configENS1_36segmented_radix_sort_config_selectorIalEEZNS1_25segmented_radix_sort_implIS3_Lb0EPKaPaPKlPlN2at6native12_GLOBAL__N_18offset_tEEE10hipError_tPvRmT1_PNSt15iterator_traitsISK_E10value_typeET2_T3_PNSL_ISQ_E10value_typeET4_jRbjT5_SW_jjP12ihipStream_tbEUlT_E2_NS1_11comp_targetILNS1_3genE2ELNS1_11target_archE906ELNS1_3gpuE6ELNS1_3repE0EEENS1_30default_config_static_selectorELNS0_4arch9wavefront6targetE0EEEvSK_.kd
    .uniform_work_group_size: 1
    .uses_dynamic_stack: false
    .vgpr_count:     0
    .vgpr_spill_count: 0
    .wavefront_size: 32
    .workgroup_processor_mode: 1
  - .args:
      - .offset:         0
        .size:           80
        .value_kind:     by_value
    .group_segment_fixed_size: 0
    .kernarg_segment_align: 8
    .kernarg_segment_size: 80
    .language:       OpenCL C
    .language_version:
      - 2
      - 0
    .max_flat_workgroup_size: 256
    .name:           _ZN7rocprim17ROCPRIM_400000_NS6detail17trampoline_kernelINS0_14default_configENS1_36segmented_radix_sort_config_selectorIalEEZNS1_25segmented_radix_sort_implIS3_Lb0EPKaPaPKlPlN2at6native12_GLOBAL__N_18offset_tEEE10hipError_tPvRmT1_PNSt15iterator_traitsISK_E10value_typeET2_T3_PNSL_ISQ_E10value_typeET4_jRbjT5_SW_jjP12ihipStream_tbEUlT_E2_NS1_11comp_targetILNS1_3genE10ELNS1_11target_archE1201ELNS1_3gpuE5ELNS1_3repE0EEENS1_30default_config_static_selectorELNS0_4arch9wavefront6targetE0EEEvSK_
    .private_segment_fixed_size: 0
    .sgpr_count:     0
    .sgpr_spill_count: 0
    .symbol:         _ZN7rocprim17ROCPRIM_400000_NS6detail17trampoline_kernelINS0_14default_configENS1_36segmented_radix_sort_config_selectorIalEEZNS1_25segmented_radix_sort_implIS3_Lb0EPKaPaPKlPlN2at6native12_GLOBAL__N_18offset_tEEE10hipError_tPvRmT1_PNSt15iterator_traitsISK_E10value_typeET2_T3_PNSL_ISQ_E10value_typeET4_jRbjT5_SW_jjP12ihipStream_tbEUlT_E2_NS1_11comp_targetILNS1_3genE10ELNS1_11target_archE1201ELNS1_3gpuE5ELNS1_3repE0EEENS1_30default_config_static_selectorELNS0_4arch9wavefront6targetE0EEEvSK_.kd
    .uniform_work_group_size: 1
    .uses_dynamic_stack: false
    .vgpr_count:     0
    .vgpr_spill_count: 0
    .wavefront_size: 32
    .workgroup_processor_mode: 1
  - .args:
      - .offset:         0
        .size:           80
        .value_kind:     by_value
    .group_segment_fixed_size: 0
    .kernarg_segment_align: 8
    .kernarg_segment_size: 80
    .language:       OpenCL C
    .language_version:
      - 2
      - 0
    .max_flat_workgroup_size: 128
    .name:           _ZN7rocprim17ROCPRIM_400000_NS6detail17trampoline_kernelINS0_14default_configENS1_36segmented_radix_sort_config_selectorIalEEZNS1_25segmented_radix_sort_implIS3_Lb0EPKaPaPKlPlN2at6native12_GLOBAL__N_18offset_tEEE10hipError_tPvRmT1_PNSt15iterator_traitsISK_E10value_typeET2_T3_PNSL_ISQ_E10value_typeET4_jRbjT5_SW_jjP12ihipStream_tbEUlT_E2_NS1_11comp_targetILNS1_3genE10ELNS1_11target_archE1200ELNS1_3gpuE4ELNS1_3repE0EEENS1_30default_config_static_selectorELNS0_4arch9wavefront6targetE0EEEvSK_
    .private_segment_fixed_size: 0
    .sgpr_count:     0
    .sgpr_spill_count: 0
    .symbol:         _ZN7rocprim17ROCPRIM_400000_NS6detail17trampoline_kernelINS0_14default_configENS1_36segmented_radix_sort_config_selectorIalEEZNS1_25segmented_radix_sort_implIS3_Lb0EPKaPaPKlPlN2at6native12_GLOBAL__N_18offset_tEEE10hipError_tPvRmT1_PNSt15iterator_traitsISK_E10value_typeET2_T3_PNSL_ISQ_E10value_typeET4_jRbjT5_SW_jjP12ihipStream_tbEUlT_E2_NS1_11comp_targetILNS1_3genE10ELNS1_11target_archE1200ELNS1_3gpuE4ELNS1_3repE0EEENS1_30default_config_static_selectorELNS0_4arch9wavefront6targetE0EEEvSK_.kd
    .uniform_work_group_size: 1
    .uses_dynamic_stack: false
    .vgpr_count:     0
    .vgpr_spill_count: 0
    .wavefront_size: 32
    .workgroup_processor_mode: 1
  - .args:
      - .offset:         0
        .size:           80
        .value_kind:     by_value
      - .offset:         80
        .size:           4
        .value_kind:     hidden_block_count_x
      - .offset:         84
        .size:           4
        .value_kind:     hidden_block_count_y
      - .offset:         88
        .size:           4
        .value_kind:     hidden_block_count_z
      - .offset:         92
        .size:           2
        .value_kind:     hidden_group_size_x
      - .offset:         94
        .size:           2
        .value_kind:     hidden_group_size_y
      - .offset:         96
        .size:           2
        .value_kind:     hidden_group_size_z
      - .offset:         98
        .size:           2
        .value_kind:     hidden_remainder_x
      - .offset:         100
        .size:           2
        .value_kind:     hidden_remainder_y
      - .offset:         102
        .size:           2
        .value_kind:     hidden_remainder_z
      - .offset:         120
        .size:           8
        .value_kind:     hidden_global_offset_x
      - .offset:         128
        .size:           8
        .value_kind:     hidden_global_offset_y
      - .offset:         136
        .size:           8
        .value_kind:     hidden_global_offset_z
      - .offset:         144
        .size:           2
        .value_kind:     hidden_grid_dims
    .group_segment_fixed_size: 17440
    .kernarg_segment_align: 8
    .kernarg_segment_size: 336
    .language:       OpenCL C
    .language_version:
      - 2
      - 0
    .max_flat_workgroup_size: 256
    .name:           _ZN7rocprim17ROCPRIM_400000_NS6detail17trampoline_kernelINS0_14default_configENS1_36segmented_radix_sort_config_selectorIalEEZNS1_25segmented_radix_sort_implIS3_Lb0EPKaPaPKlPlN2at6native12_GLOBAL__N_18offset_tEEE10hipError_tPvRmT1_PNSt15iterator_traitsISK_E10value_typeET2_T3_PNSL_ISQ_E10value_typeET4_jRbjT5_SW_jjP12ihipStream_tbEUlT_E2_NS1_11comp_targetILNS1_3genE9ELNS1_11target_archE1100ELNS1_3gpuE3ELNS1_3repE0EEENS1_30default_config_static_selectorELNS0_4arch9wavefront6targetE0EEEvSK_
    .private_segment_fixed_size: 0
    .sgpr_count:     56
    .sgpr_spill_count: 0
    .symbol:         _ZN7rocprim17ROCPRIM_400000_NS6detail17trampoline_kernelINS0_14default_configENS1_36segmented_radix_sort_config_selectorIalEEZNS1_25segmented_radix_sort_implIS3_Lb0EPKaPaPKlPlN2at6native12_GLOBAL__N_18offset_tEEE10hipError_tPvRmT1_PNSt15iterator_traitsISK_E10value_typeET2_T3_PNSL_ISQ_E10value_typeET4_jRbjT5_SW_jjP12ihipStream_tbEUlT_E2_NS1_11comp_targetILNS1_3genE9ELNS1_11target_archE1100ELNS1_3gpuE3ELNS1_3repE0EEENS1_30default_config_static_selectorELNS0_4arch9wavefront6targetE0EEEvSK_.kd
    .uniform_work_group_size: 1
    .uses_dynamic_stack: false
    .vgpr_count:     183
    .vgpr_spill_count: 0
    .wavefront_size: 32
    .workgroup_processor_mode: 1
  - .args:
      - .offset:         0
        .size:           80
        .value_kind:     by_value
    .group_segment_fixed_size: 0
    .kernarg_segment_align: 8
    .kernarg_segment_size: 80
    .language:       OpenCL C
    .language_version:
      - 2
      - 0
    .max_flat_workgroup_size: 256
    .name:           _ZN7rocprim17ROCPRIM_400000_NS6detail17trampoline_kernelINS0_14default_configENS1_36segmented_radix_sort_config_selectorIalEEZNS1_25segmented_radix_sort_implIS3_Lb0EPKaPaPKlPlN2at6native12_GLOBAL__N_18offset_tEEE10hipError_tPvRmT1_PNSt15iterator_traitsISK_E10value_typeET2_T3_PNSL_ISQ_E10value_typeET4_jRbjT5_SW_jjP12ihipStream_tbEUlT_E2_NS1_11comp_targetILNS1_3genE8ELNS1_11target_archE1030ELNS1_3gpuE2ELNS1_3repE0EEENS1_30default_config_static_selectorELNS0_4arch9wavefront6targetE0EEEvSK_
    .private_segment_fixed_size: 0
    .sgpr_count:     0
    .sgpr_spill_count: 0
    .symbol:         _ZN7rocprim17ROCPRIM_400000_NS6detail17trampoline_kernelINS0_14default_configENS1_36segmented_radix_sort_config_selectorIalEEZNS1_25segmented_radix_sort_implIS3_Lb0EPKaPaPKlPlN2at6native12_GLOBAL__N_18offset_tEEE10hipError_tPvRmT1_PNSt15iterator_traitsISK_E10value_typeET2_T3_PNSL_ISQ_E10value_typeET4_jRbjT5_SW_jjP12ihipStream_tbEUlT_E2_NS1_11comp_targetILNS1_3genE8ELNS1_11target_archE1030ELNS1_3gpuE2ELNS1_3repE0EEENS1_30default_config_static_selectorELNS0_4arch9wavefront6targetE0EEEvSK_.kd
    .uniform_work_group_size: 1
    .uses_dynamic_stack: false
    .vgpr_count:     0
    .vgpr_spill_count: 0
    .wavefront_size: 32
    .workgroup_processor_mode: 1
  - .args:
      - .address_space:  global
        .offset:         0
        .size:           8
        .value_kind:     global_buffer
      - .address_space:  global
        .offset:         8
        .size:           8
        .value_kind:     global_buffer
      - .address_space:  global
        .offset:         16
        .size:           8
        .value_kind:     global_buffer
      - .address_space:  global
        .offset:         24
        .size:           8
        .value_kind:     global_buffer
      - .offset:         32
        .size:           4
        .value_kind:     by_value
      - .offset:         36
        .size:           4
        .value_kind:     by_value
      - .offset:         40
        .size:           4
        .value_kind:     hidden_block_count_x
      - .offset:         44
        .size:           4
        .value_kind:     hidden_block_count_y
      - .offset:         48
        .size:           4
        .value_kind:     hidden_block_count_z
      - .offset:         52
        .size:           2
        .value_kind:     hidden_group_size_x
      - .offset:         54
        .size:           2
        .value_kind:     hidden_group_size_y
      - .offset:         56
        .size:           2
        .value_kind:     hidden_group_size_z
      - .offset:         58
        .size:           2
        .value_kind:     hidden_remainder_x
      - .offset:         60
        .size:           2
        .value_kind:     hidden_remainder_y
      - .offset:         62
        .size:           2
        .value_kind:     hidden_remainder_z
      - .offset:         80
        .size:           8
        .value_kind:     hidden_global_offset_x
      - .offset:         88
        .size:           8
        .value_kind:     hidden_global_offset_y
      - .offset:         96
        .size:           8
        .value_kind:     hidden_global_offset_z
      - .offset:         104
        .size:           2
        .value_kind:     hidden_grid_dims
    .group_segment_fixed_size: 0
    .kernarg_segment_align: 8
    .kernarg_segment_size: 296
    .language:       OpenCL C
    .language_version:
      - 2
      - 0
    .max_flat_workgroup_size: 1024
    .name:           _ZN2at6native12_GLOBAL__N_123sort_postprocess_kernelIiEEvPKT_PS3_PlPK15HIP_vector_typeIiLj2EEii
    .private_segment_fixed_size: 0
    .sgpr_count:     18
    .sgpr_spill_count: 0
    .symbol:         _ZN2at6native12_GLOBAL__N_123sort_postprocess_kernelIiEEvPKT_PS3_PlPK15HIP_vector_typeIiLj2EEii.kd
    .uniform_work_group_size: 1
    .uses_dynamic_stack: false
    .vgpr_count:     17
    .vgpr_spill_count: 0
    .wavefront_size: 32
    .workgroup_processor_mode: 1
  - .args:
      - .offset:         0
        .size:           176
        .value_kind:     by_value
    .group_segment_fixed_size: 0
    .kernarg_segment_align: 8
    .kernarg_segment_size: 176
    .language:       OpenCL C
    .language_version:
      - 2
      - 0
    .max_flat_workgroup_size: 256
    .name:           _ZN7rocprim17ROCPRIM_400000_NS6detail17trampoline_kernelINS0_13select_configILj256ELj13ELNS0_17block_load_methodE3ELS4_3ELS4_3ELNS0_20block_scan_algorithmE0ELj4294967295EEENS1_25partition_config_selectorILNS1_17partition_subalgoE4EjNS0_10empty_typeEbEEZZNS1_14partition_implILS8_4ELb0ES6_15HIP_vector_typeIjLj2EENS0_17counting_iteratorIjlEEPS9_SG_NS0_5tupleIJPjSI_NS0_16reverse_iteratorISI_EEEEENSH_IJSG_SG_SG_EEES9_SI_JZNS1_25segmented_radix_sort_implINS0_14default_configELb1EPKiPiPKlPlN2at6native12_GLOBAL__N_18offset_tEEE10hipError_tPvRmT1_PNSt15iterator_traitsIS12_E10value_typeET2_T3_PNS13_IS18_E10value_typeET4_jRbjT5_S1E_jjP12ihipStream_tbEUljE_ZNSN_ISO_Lb1ESQ_SR_ST_SU_SY_EESZ_S10_S11_S12_S16_S17_S18_S1B_S1C_jS1D_jS1E_S1E_jjS1G_bEUljE0_EEESZ_S10_S11_S18_S1C_S1E_T6_T7_T9_mT8_S1G_bDpT10_ENKUlT_T0_E_clISt17integral_constantIbLb0EES1U_EEDaS1P_S1Q_EUlS1P_E_NS1_11comp_targetILNS1_3genE0ELNS1_11target_archE4294967295ELNS1_3gpuE0ELNS1_3repE0EEENS1_30default_config_static_selectorELNS0_4arch9wavefront6targetE0EEEvS12_
    .private_segment_fixed_size: 0
    .sgpr_count:     0
    .sgpr_spill_count: 0
    .symbol:         _ZN7rocprim17ROCPRIM_400000_NS6detail17trampoline_kernelINS0_13select_configILj256ELj13ELNS0_17block_load_methodE3ELS4_3ELS4_3ELNS0_20block_scan_algorithmE0ELj4294967295EEENS1_25partition_config_selectorILNS1_17partition_subalgoE4EjNS0_10empty_typeEbEEZZNS1_14partition_implILS8_4ELb0ES6_15HIP_vector_typeIjLj2EENS0_17counting_iteratorIjlEEPS9_SG_NS0_5tupleIJPjSI_NS0_16reverse_iteratorISI_EEEEENSH_IJSG_SG_SG_EEES9_SI_JZNS1_25segmented_radix_sort_implINS0_14default_configELb1EPKiPiPKlPlN2at6native12_GLOBAL__N_18offset_tEEE10hipError_tPvRmT1_PNSt15iterator_traitsIS12_E10value_typeET2_T3_PNS13_IS18_E10value_typeET4_jRbjT5_S1E_jjP12ihipStream_tbEUljE_ZNSN_ISO_Lb1ESQ_SR_ST_SU_SY_EESZ_S10_S11_S12_S16_S17_S18_S1B_S1C_jS1D_jS1E_S1E_jjS1G_bEUljE0_EEESZ_S10_S11_S18_S1C_S1E_T6_T7_T9_mT8_S1G_bDpT10_ENKUlT_T0_E_clISt17integral_constantIbLb0EES1U_EEDaS1P_S1Q_EUlS1P_E_NS1_11comp_targetILNS1_3genE0ELNS1_11target_archE4294967295ELNS1_3gpuE0ELNS1_3repE0EEENS1_30default_config_static_selectorELNS0_4arch9wavefront6targetE0EEEvS12_.kd
    .uniform_work_group_size: 1
    .uses_dynamic_stack: false
    .vgpr_count:     0
    .vgpr_spill_count: 0
    .wavefront_size: 32
    .workgroup_processor_mode: 1
  - .args:
      - .offset:         0
        .size:           176
        .value_kind:     by_value
    .group_segment_fixed_size: 0
    .kernarg_segment_align: 8
    .kernarg_segment_size: 176
    .language:       OpenCL C
    .language_version:
      - 2
      - 0
    .max_flat_workgroup_size: 256
    .name:           _ZN7rocprim17ROCPRIM_400000_NS6detail17trampoline_kernelINS0_13select_configILj256ELj13ELNS0_17block_load_methodE3ELS4_3ELS4_3ELNS0_20block_scan_algorithmE0ELj4294967295EEENS1_25partition_config_selectorILNS1_17partition_subalgoE4EjNS0_10empty_typeEbEEZZNS1_14partition_implILS8_4ELb0ES6_15HIP_vector_typeIjLj2EENS0_17counting_iteratorIjlEEPS9_SG_NS0_5tupleIJPjSI_NS0_16reverse_iteratorISI_EEEEENSH_IJSG_SG_SG_EEES9_SI_JZNS1_25segmented_radix_sort_implINS0_14default_configELb1EPKiPiPKlPlN2at6native12_GLOBAL__N_18offset_tEEE10hipError_tPvRmT1_PNSt15iterator_traitsIS12_E10value_typeET2_T3_PNS13_IS18_E10value_typeET4_jRbjT5_S1E_jjP12ihipStream_tbEUljE_ZNSN_ISO_Lb1ESQ_SR_ST_SU_SY_EESZ_S10_S11_S12_S16_S17_S18_S1B_S1C_jS1D_jS1E_S1E_jjS1G_bEUljE0_EEESZ_S10_S11_S18_S1C_S1E_T6_T7_T9_mT8_S1G_bDpT10_ENKUlT_T0_E_clISt17integral_constantIbLb0EES1U_EEDaS1P_S1Q_EUlS1P_E_NS1_11comp_targetILNS1_3genE5ELNS1_11target_archE942ELNS1_3gpuE9ELNS1_3repE0EEENS1_30default_config_static_selectorELNS0_4arch9wavefront6targetE0EEEvS12_
    .private_segment_fixed_size: 0
    .sgpr_count:     0
    .sgpr_spill_count: 0
    .symbol:         _ZN7rocprim17ROCPRIM_400000_NS6detail17trampoline_kernelINS0_13select_configILj256ELj13ELNS0_17block_load_methodE3ELS4_3ELS4_3ELNS0_20block_scan_algorithmE0ELj4294967295EEENS1_25partition_config_selectorILNS1_17partition_subalgoE4EjNS0_10empty_typeEbEEZZNS1_14partition_implILS8_4ELb0ES6_15HIP_vector_typeIjLj2EENS0_17counting_iteratorIjlEEPS9_SG_NS0_5tupleIJPjSI_NS0_16reverse_iteratorISI_EEEEENSH_IJSG_SG_SG_EEES9_SI_JZNS1_25segmented_radix_sort_implINS0_14default_configELb1EPKiPiPKlPlN2at6native12_GLOBAL__N_18offset_tEEE10hipError_tPvRmT1_PNSt15iterator_traitsIS12_E10value_typeET2_T3_PNS13_IS18_E10value_typeET4_jRbjT5_S1E_jjP12ihipStream_tbEUljE_ZNSN_ISO_Lb1ESQ_SR_ST_SU_SY_EESZ_S10_S11_S12_S16_S17_S18_S1B_S1C_jS1D_jS1E_S1E_jjS1G_bEUljE0_EEESZ_S10_S11_S18_S1C_S1E_T6_T7_T9_mT8_S1G_bDpT10_ENKUlT_T0_E_clISt17integral_constantIbLb0EES1U_EEDaS1P_S1Q_EUlS1P_E_NS1_11comp_targetILNS1_3genE5ELNS1_11target_archE942ELNS1_3gpuE9ELNS1_3repE0EEENS1_30default_config_static_selectorELNS0_4arch9wavefront6targetE0EEEvS12_.kd
    .uniform_work_group_size: 1
    .uses_dynamic_stack: false
    .vgpr_count:     0
    .vgpr_spill_count: 0
    .wavefront_size: 32
    .workgroup_processor_mode: 1
  - .args:
      - .offset:         0
        .size:           176
        .value_kind:     by_value
    .group_segment_fixed_size: 0
    .kernarg_segment_align: 8
    .kernarg_segment_size: 176
    .language:       OpenCL C
    .language_version:
      - 2
      - 0
    .max_flat_workgroup_size: 256
    .name:           _ZN7rocprim17ROCPRIM_400000_NS6detail17trampoline_kernelINS0_13select_configILj256ELj13ELNS0_17block_load_methodE3ELS4_3ELS4_3ELNS0_20block_scan_algorithmE0ELj4294967295EEENS1_25partition_config_selectorILNS1_17partition_subalgoE4EjNS0_10empty_typeEbEEZZNS1_14partition_implILS8_4ELb0ES6_15HIP_vector_typeIjLj2EENS0_17counting_iteratorIjlEEPS9_SG_NS0_5tupleIJPjSI_NS0_16reverse_iteratorISI_EEEEENSH_IJSG_SG_SG_EEES9_SI_JZNS1_25segmented_radix_sort_implINS0_14default_configELb1EPKiPiPKlPlN2at6native12_GLOBAL__N_18offset_tEEE10hipError_tPvRmT1_PNSt15iterator_traitsIS12_E10value_typeET2_T3_PNS13_IS18_E10value_typeET4_jRbjT5_S1E_jjP12ihipStream_tbEUljE_ZNSN_ISO_Lb1ESQ_SR_ST_SU_SY_EESZ_S10_S11_S12_S16_S17_S18_S1B_S1C_jS1D_jS1E_S1E_jjS1G_bEUljE0_EEESZ_S10_S11_S18_S1C_S1E_T6_T7_T9_mT8_S1G_bDpT10_ENKUlT_T0_E_clISt17integral_constantIbLb0EES1U_EEDaS1P_S1Q_EUlS1P_E_NS1_11comp_targetILNS1_3genE4ELNS1_11target_archE910ELNS1_3gpuE8ELNS1_3repE0EEENS1_30default_config_static_selectorELNS0_4arch9wavefront6targetE0EEEvS12_
    .private_segment_fixed_size: 0
    .sgpr_count:     0
    .sgpr_spill_count: 0
    .symbol:         _ZN7rocprim17ROCPRIM_400000_NS6detail17trampoline_kernelINS0_13select_configILj256ELj13ELNS0_17block_load_methodE3ELS4_3ELS4_3ELNS0_20block_scan_algorithmE0ELj4294967295EEENS1_25partition_config_selectorILNS1_17partition_subalgoE4EjNS0_10empty_typeEbEEZZNS1_14partition_implILS8_4ELb0ES6_15HIP_vector_typeIjLj2EENS0_17counting_iteratorIjlEEPS9_SG_NS0_5tupleIJPjSI_NS0_16reverse_iteratorISI_EEEEENSH_IJSG_SG_SG_EEES9_SI_JZNS1_25segmented_radix_sort_implINS0_14default_configELb1EPKiPiPKlPlN2at6native12_GLOBAL__N_18offset_tEEE10hipError_tPvRmT1_PNSt15iterator_traitsIS12_E10value_typeET2_T3_PNS13_IS18_E10value_typeET4_jRbjT5_S1E_jjP12ihipStream_tbEUljE_ZNSN_ISO_Lb1ESQ_SR_ST_SU_SY_EESZ_S10_S11_S12_S16_S17_S18_S1B_S1C_jS1D_jS1E_S1E_jjS1G_bEUljE0_EEESZ_S10_S11_S18_S1C_S1E_T6_T7_T9_mT8_S1G_bDpT10_ENKUlT_T0_E_clISt17integral_constantIbLb0EES1U_EEDaS1P_S1Q_EUlS1P_E_NS1_11comp_targetILNS1_3genE4ELNS1_11target_archE910ELNS1_3gpuE8ELNS1_3repE0EEENS1_30default_config_static_selectorELNS0_4arch9wavefront6targetE0EEEvS12_.kd
    .uniform_work_group_size: 1
    .uses_dynamic_stack: false
    .vgpr_count:     0
    .vgpr_spill_count: 0
    .wavefront_size: 32
    .workgroup_processor_mode: 1
  - .args:
      - .offset:         0
        .size:           176
        .value_kind:     by_value
    .group_segment_fixed_size: 0
    .kernarg_segment_align: 8
    .kernarg_segment_size: 176
    .language:       OpenCL C
    .language_version:
      - 2
      - 0
    .max_flat_workgroup_size: 256
    .name:           _ZN7rocprim17ROCPRIM_400000_NS6detail17trampoline_kernelINS0_13select_configILj256ELj13ELNS0_17block_load_methodE3ELS4_3ELS4_3ELNS0_20block_scan_algorithmE0ELj4294967295EEENS1_25partition_config_selectorILNS1_17partition_subalgoE4EjNS0_10empty_typeEbEEZZNS1_14partition_implILS8_4ELb0ES6_15HIP_vector_typeIjLj2EENS0_17counting_iteratorIjlEEPS9_SG_NS0_5tupleIJPjSI_NS0_16reverse_iteratorISI_EEEEENSH_IJSG_SG_SG_EEES9_SI_JZNS1_25segmented_radix_sort_implINS0_14default_configELb1EPKiPiPKlPlN2at6native12_GLOBAL__N_18offset_tEEE10hipError_tPvRmT1_PNSt15iterator_traitsIS12_E10value_typeET2_T3_PNS13_IS18_E10value_typeET4_jRbjT5_S1E_jjP12ihipStream_tbEUljE_ZNSN_ISO_Lb1ESQ_SR_ST_SU_SY_EESZ_S10_S11_S12_S16_S17_S18_S1B_S1C_jS1D_jS1E_S1E_jjS1G_bEUljE0_EEESZ_S10_S11_S18_S1C_S1E_T6_T7_T9_mT8_S1G_bDpT10_ENKUlT_T0_E_clISt17integral_constantIbLb0EES1U_EEDaS1P_S1Q_EUlS1P_E_NS1_11comp_targetILNS1_3genE3ELNS1_11target_archE908ELNS1_3gpuE7ELNS1_3repE0EEENS1_30default_config_static_selectorELNS0_4arch9wavefront6targetE0EEEvS12_
    .private_segment_fixed_size: 0
    .sgpr_count:     0
    .sgpr_spill_count: 0
    .symbol:         _ZN7rocprim17ROCPRIM_400000_NS6detail17trampoline_kernelINS0_13select_configILj256ELj13ELNS0_17block_load_methodE3ELS4_3ELS4_3ELNS0_20block_scan_algorithmE0ELj4294967295EEENS1_25partition_config_selectorILNS1_17partition_subalgoE4EjNS0_10empty_typeEbEEZZNS1_14partition_implILS8_4ELb0ES6_15HIP_vector_typeIjLj2EENS0_17counting_iteratorIjlEEPS9_SG_NS0_5tupleIJPjSI_NS0_16reverse_iteratorISI_EEEEENSH_IJSG_SG_SG_EEES9_SI_JZNS1_25segmented_radix_sort_implINS0_14default_configELb1EPKiPiPKlPlN2at6native12_GLOBAL__N_18offset_tEEE10hipError_tPvRmT1_PNSt15iterator_traitsIS12_E10value_typeET2_T3_PNS13_IS18_E10value_typeET4_jRbjT5_S1E_jjP12ihipStream_tbEUljE_ZNSN_ISO_Lb1ESQ_SR_ST_SU_SY_EESZ_S10_S11_S12_S16_S17_S18_S1B_S1C_jS1D_jS1E_S1E_jjS1G_bEUljE0_EEESZ_S10_S11_S18_S1C_S1E_T6_T7_T9_mT8_S1G_bDpT10_ENKUlT_T0_E_clISt17integral_constantIbLb0EES1U_EEDaS1P_S1Q_EUlS1P_E_NS1_11comp_targetILNS1_3genE3ELNS1_11target_archE908ELNS1_3gpuE7ELNS1_3repE0EEENS1_30default_config_static_selectorELNS0_4arch9wavefront6targetE0EEEvS12_.kd
    .uniform_work_group_size: 1
    .uses_dynamic_stack: false
    .vgpr_count:     0
    .vgpr_spill_count: 0
    .wavefront_size: 32
    .workgroup_processor_mode: 1
  - .args:
      - .offset:         0
        .size:           176
        .value_kind:     by_value
    .group_segment_fixed_size: 0
    .kernarg_segment_align: 8
    .kernarg_segment_size: 176
    .language:       OpenCL C
    .language_version:
      - 2
      - 0
    .max_flat_workgroup_size: 256
    .name:           _ZN7rocprim17ROCPRIM_400000_NS6detail17trampoline_kernelINS0_13select_configILj256ELj13ELNS0_17block_load_methodE3ELS4_3ELS4_3ELNS0_20block_scan_algorithmE0ELj4294967295EEENS1_25partition_config_selectorILNS1_17partition_subalgoE4EjNS0_10empty_typeEbEEZZNS1_14partition_implILS8_4ELb0ES6_15HIP_vector_typeIjLj2EENS0_17counting_iteratorIjlEEPS9_SG_NS0_5tupleIJPjSI_NS0_16reverse_iteratorISI_EEEEENSH_IJSG_SG_SG_EEES9_SI_JZNS1_25segmented_radix_sort_implINS0_14default_configELb1EPKiPiPKlPlN2at6native12_GLOBAL__N_18offset_tEEE10hipError_tPvRmT1_PNSt15iterator_traitsIS12_E10value_typeET2_T3_PNS13_IS18_E10value_typeET4_jRbjT5_S1E_jjP12ihipStream_tbEUljE_ZNSN_ISO_Lb1ESQ_SR_ST_SU_SY_EESZ_S10_S11_S12_S16_S17_S18_S1B_S1C_jS1D_jS1E_S1E_jjS1G_bEUljE0_EEESZ_S10_S11_S18_S1C_S1E_T6_T7_T9_mT8_S1G_bDpT10_ENKUlT_T0_E_clISt17integral_constantIbLb0EES1U_EEDaS1P_S1Q_EUlS1P_E_NS1_11comp_targetILNS1_3genE2ELNS1_11target_archE906ELNS1_3gpuE6ELNS1_3repE0EEENS1_30default_config_static_selectorELNS0_4arch9wavefront6targetE0EEEvS12_
    .private_segment_fixed_size: 0
    .sgpr_count:     0
    .sgpr_spill_count: 0
    .symbol:         _ZN7rocprim17ROCPRIM_400000_NS6detail17trampoline_kernelINS0_13select_configILj256ELj13ELNS0_17block_load_methodE3ELS4_3ELS4_3ELNS0_20block_scan_algorithmE0ELj4294967295EEENS1_25partition_config_selectorILNS1_17partition_subalgoE4EjNS0_10empty_typeEbEEZZNS1_14partition_implILS8_4ELb0ES6_15HIP_vector_typeIjLj2EENS0_17counting_iteratorIjlEEPS9_SG_NS0_5tupleIJPjSI_NS0_16reverse_iteratorISI_EEEEENSH_IJSG_SG_SG_EEES9_SI_JZNS1_25segmented_radix_sort_implINS0_14default_configELb1EPKiPiPKlPlN2at6native12_GLOBAL__N_18offset_tEEE10hipError_tPvRmT1_PNSt15iterator_traitsIS12_E10value_typeET2_T3_PNS13_IS18_E10value_typeET4_jRbjT5_S1E_jjP12ihipStream_tbEUljE_ZNSN_ISO_Lb1ESQ_SR_ST_SU_SY_EESZ_S10_S11_S12_S16_S17_S18_S1B_S1C_jS1D_jS1E_S1E_jjS1G_bEUljE0_EEESZ_S10_S11_S18_S1C_S1E_T6_T7_T9_mT8_S1G_bDpT10_ENKUlT_T0_E_clISt17integral_constantIbLb0EES1U_EEDaS1P_S1Q_EUlS1P_E_NS1_11comp_targetILNS1_3genE2ELNS1_11target_archE906ELNS1_3gpuE6ELNS1_3repE0EEENS1_30default_config_static_selectorELNS0_4arch9wavefront6targetE0EEEvS12_.kd
    .uniform_work_group_size: 1
    .uses_dynamic_stack: false
    .vgpr_count:     0
    .vgpr_spill_count: 0
    .wavefront_size: 32
    .workgroup_processor_mode: 1
  - .args:
      - .offset:         0
        .size:           176
        .value_kind:     by_value
    .group_segment_fixed_size: 0
    .kernarg_segment_align: 8
    .kernarg_segment_size: 176
    .language:       OpenCL C
    .language_version:
      - 2
      - 0
    .max_flat_workgroup_size: 256
    .name:           _ZN7rocprim17ROCPRIM_400000_NS6detail17trampoline_kernelINS0_13select_configILj256ELj13ELNS0_17block_load_methodE3ELS4_3ELS4_3ELNS0_20block_scan_algorithmE0ELj4294967295EEENS1_25partition_config_selectorILNS1_17partition_subalgoE4EjNS0_10empty_typeEbEEZZNS1_14partition_implILS8_4ELb0ES6_15HIP_vector_typeIjLj2EENS0_17counting_iteratorIjlEEPS9_SG_NS0_5tupleIJPjSI_NS0_16reverse_iteratorISI_EEEEENSH_IJSG_SG_SG_EEES9_SI_JZNS1_25segmented_radix_sort_implINS0_14default_configELb1EPKiPiPKlPlN2at6native12_GLOBAL__N_18offset_tEEE10hipError_tPvRmT1_PNSt15iterator_traitsIS12_E10value_typeET2_T3_PNS13_IS18_E10value_typeET4_jRbjT5_S1E_jjP12ihipStream_tbEUljE_ZNSN_ISO_Lb1ESQ_SR_ST_SU_SY_EESZ_S10_S11_S12_S16_S17_S18_S1B_S1C_jS1D_jS1E_S1E_jjS1G_bEUljE0_EEESZ_S10_S11_S18_S1C_S1E_T6_T7_T9_mT8_S1G_bDpT10_ENKUlT_T0_E_clISt17integral_constantIbLb0EES1U_EEDaS1P_S1Q_EUlS1P_E_NS1_11comp_targetILNS1_3genE10ELNS1_11target_archE1200ELNS1_3gpuE4ELNS1_3repE0EEENS1_30default_config_static_selectorELNS0_4arch9wavefront6targetE0EEEvS12_
    .private_segment_fixed_size: 0
    .sgpr_count:     0
    .sgpr_spill_count: 0
    .symbol:         _ZN7rocprim17ROCPRIM_400000_NS6detail17trampoline_kernelINS0_13select_configILj256ELj13ELNS0_17block_load_methodE3ELS4_3ELS4_3ELNS0_20block_scan_algorithmE0ELj4294967295EEENS1_25partition_config_selectorILNS1_17partition_subalgoE4EjNS0_10empty_typeEbEEZZNS1_14partition_implILS8_4ELb0ES6_15HIP_vector_typeIjLj2EENS0_17counting_iteratorIjlEEPS9_SG_NS0_5tupleIJPjSI_NS0_16reverse_iteratorISI_EEEEENSH_IJSG_SG_SG_EEES9_SI_JZNS1_25segmented_radix_sort_implINS0_14default_configELb1EPKiPiPKlPlN2at6native12_GLOBAL__N_18offset_tEEE10hipError_tPvRmT1_PNSt15iterator_traitsIS12_E10value_typeET2_T3_PNS13_IS18_E10value_typeET4_jRbjT5_S1E_jjP12ihipStream_tbEUljE_ZNSN_ISO_Lb1ESQ_SR_ST_SU_SY_EESZ_S10_S11_S12_S16_S17_S18_S1B_S1C_jS1D_jS1E_S1E_jjS1G_bEUljE0_EEESZ_S10_S11_S18_S1C_S1E_T6_T7_T9_mT8_S1G_bDpT10_ENKUlT_T0_E_clISt17integral_constantIbLb0EES1U_EEDaS1P_S1Q_EUlS1P_E_NS1_11comp_targetILNS1_3genE10ELNS1_11target_archE1200ELNS1_3gpuE4ELNS1_3repE0EEENS1_30default_config_static_selectorELNS0_4arch9wavefront6targetE0EEEvS12_.kd
    .uniform_work_group_size: 1
    .uses_dynamic_stack: false
    .vgpr_count:     0
    .vgpr_spill_count: 0
    .wavefront_size: 32
    .workgroup_processor_mode: 1
  - .args:
      - .offset:         0
        .size:           176
        .value_kind:     by_value
    .group_segment_fixed_size: 13340
    .kernarg_segment_align: 8
    .kernarg_segment_size: 176
    .language:       OpenCL C
    .language_version:
      - 2
      - 0
    .max_flat_workgroup_size: 256
    .name:           _ZN7rocprim17ROCPRIM_400000_NS6detail17trampoline_kernelINS0_13select_configILj256ELj13ELNS0_17block_load_methodE3ELS4_3ELS4_3ELNS0_20block_scan_algorithmE0ELj4294967295EEENS1_25partition_config_selectorILNS1_17partition_subalgoE4EjNS0_10empty_typeEbEEZZNS1_14partition_implILS8_4ELb0ES6_15HIP_vector_typeIjLj2EENS0_17counting_iteratorIjlEEPS9_SG_NS0_5tupleIJPjSI_NS0_16reverse_iteratorISI_EEEEENSH_IJSG_SG_SG_EEES9_SI_JZNS1_25segmented_radix_sort_implINS0_14default_configELb1EPKiPiPKlPlN2at6native12_GLOBAL__N_18offset_tEEE10hipError_tPvRmT1_PNSt15iterator_traitsIS12_E10value_typeET2_T3_PNS13_IS18_E10value_typeET4_jRbjT5_S1E_jjP12ihipStream_tbEUljE_ZNSN_ISO_Lb1ESQ_SR_ST_SU_SY_EESZ_S10_S11_S12_S16_S17_S18_S1B_S1C_jS1D_jS1E_S1E_jjS1G_bEUljE0_EEESZ_S10_S11_S18_S1C_S1E_T6_T7_T9_mT8_S1G_bDpT10_ENKUlT_T0_E_clISt17integral_constantIbLb0EES1U_EEDaS1P_S1Q_EUlS1P_E_NS1_11comp_targetILNS1_3genE9ELNS1_11target_archE1100ELNS1_3gpuE3ELNS1_3repE0EEENS1_30default_config_static_selectorELNS0_4arch9wavefront6targetE0EEEvS12_
    .private_segment_fixed_size: 0
    .sgpr_count:     61
    .sgpr_spill_count: 0
    .symbol:         _ZN7rocprim17ROCPRIM_400000_NS6detail17trampoline_kernelINS0_13select_configILj256ELj13ELNS0_17block_load_methodE3ELS4_3ELS4_3ELNS0_20block_scan_algorithmE0ELj4294967295EEENS1_25partition_config_selectorILNS1_17partition_subalgoE4EjNS0_10empty_typeEbEEZZNS1_14partition_implILS8_4ELb0ES6_15HIP_vector_typeIjLj2EENS0_17counting_iteratorIjlEEPS9_SG_NS0_5tupleIJPjSI_NS0_16reverse_iteratorISI_EEEEENSH_IJSG_SG_SG_EEES9_SI_JZNS1_25segmented_radix_sort_implINS0_14default_configELb1EPKiPiPKlPlN2at6native12_GLOBAL__N_18offset_tEEE10hipError_tPvRmT1_PNSt15iterator_traitsIS12_E10value_typeET2_T3_PNS13_IS18_E10value_typeET4_jRbjT5_S1E_jjP12ihipStream_tbEUljE_ZNSN_ISO_Lb1ESQ_SR_ST_SU_SY_EESZ_S10_S11_S12_S16_S17_S18_S1B_S1C_jS1D_jS1E_S1E_jjS1G_bEUljE0_EEESZ_S10_S11_S18_S1C_S1E_T6_T7_T9_mT8_S1G_bDpT10_ENKUlT_T0_E_clISt17integral_constantIbLb0EES1U_EEDaS1P_S1Q_EUlS1P_E_NS1_11comp_targetILNS1_3genE9ELNS1_11target_archE1100ELNS1_3gpuE3ELNS1_3repE0EEENS1_30default_config_static_selectorELNS0_4arch9wavefront6targetE0EEEvS12_.kd
    .uniform_work_group_size: 1
    .uses_dynamic_stack: false
    .vgpr_count:     98
    .vgpr_spill_count: 0
    .wavefront_size: 32
    .workgroup_processor_mode: 1
  - .args:
      - .offset:         0
        .size:           176
        .value_kind:     by_value
    .group_segment_fixed_size: 0
    .kernarg_segment_align: 8
    .kernarg_segment_size: 176
    .language:       OpenCL C
    .language_version:
      - 2
      - 0
    .max_flat_workgroup_size: 256
    .name:           _ZN7rocprim17ROCPRIM_400000_NS6detail17trampoline_kernelINS0_13select_configILj256ELj13ELNS0_17block_load_methodE3ELS4_3ELS4_3ELNS0_20block_scan_algorithmE0ELj4294967295EEENS1_25partition_config_selectorILNS1_17partition_subalgoE4EjNS0_10empty_typeEbEEZZNS1_14partition_implILS8_4ELb0ES6_15HIP_vector_typeIjLj2EENS0_17counting_iteratorIjlEEPS9_SG_NS0_5tupleIJPjSI_NS0_16reverse_iteratorISI_EEEEENSH_IJSG_SG_SG_EEES9_SI_JZNS1_25segmented_radix_sort_implINS0_14default_configELb1EPKiPiPKlPlN2at6native12_GLOBAL__N_18offset_tEEE10hipError_tPvRmT1_PNSt15iterator_traitsIS12_E10value_typeET2_T3_PNS13_IS18_E10value_typeET4_jRbjT5_S1E_jjP12ihipStream_tbEUljE_ZNSN_ISO_Lb1ESQ_SR_ST_SU_SY_EESZ_S10_S11_S12_S16_S17_S18_S1B_S1C_jS1D_jS1E_S1E_jjS1G_bEUljE0_EEESZ_S10_S11_S18_S1C_S1E_T6_T7_T9_mT8_S1G_bDpT10_ENKUlT_T0_E_clISt17integral_constantIbLb0EES1U_EEDaS1P_S1Q_EUlS1P_E_NS1_11comp_targetILNS1_3genE8ELNS1_11target_archE1030ELNS1_3gpuE2ELNS1_3repE0EEENS1_30default_config_static_selectorELNS0_4arch9wavefront6targetE0EEEvS12_
    .private_segment_fixed_size: 0
    .sgpr_count:     0
    .sgpr_spill_count: 0
    .symbol:         _ZN7rocprim17ROCPRIM_400000_NS6detail17trampoline_kernelINS0_13select_configILj256ELj13ELNS0_17block_load_methodE3ELS4_3ELS4_3ELNS0_20block_scan_algorithmE0ELj4294967295EEENS1_25partition_config_selectorILNS1_17partition_subalgoE4EjNS0_10empty_typeEbEEZZNS1_14partition_implILS8_4ELb0ES6_15HIP_vector_typeIjLj2EENS0_17counting_iteratorIjlEEPS9_SG_NS0_5tupleIJPjSI_NS0_16reverse_iteratorISI_EEEEENSH_IJSG_SG_SG_EEES9_SI_JZNS1_25segmented_radix_sort_implINS0_14default_configELb1EPKiPiPKlPlN2at6native12_GLOBAL__N_18offset_tEEE10hipError_tPvRmT1_PNSt15iterator_traitsIS12_E10value_typeET2_T3_PNS13_IS18_E10value_typeET4_jRbjT5_S1E_jjP12ihipStream_tbEUljE_ZNSN_ISO_Lb1ESQ_SR_ST_SU_SY_EESZ_S10_S11_S12_S16_S17_S18_S1B_S1C_jS1D_jS1E_S1E_jjS1G_bEUljE0_EEESZ_S10_S11_S18_S1C_S1E_T6_T7_T9_mT8_S1G_bDpT10_ENKUlT_T0_E_clISt17integral_constantIbLb0EES1U_EEDaS1P_S1Q_EUlS1P_E_NS1_11comp_targetILNS1_3genE8ELNS1_11target_archE1030ELNS1_3gpuE2ELNS1_3repE0EEENS1_30default_config_static_selectorELNS0_4arch9wavefront6targetE0EEEvS12_.kd
    .uniform_work_group_size: 1
    .uses_dynamic_stack: false
    .vgpr_count:     0
    .vgpr_spill_count: 0
    .wavefront_size: 32
    .workgroup_processor_mode: 1
  - .args:
      - .offset:         0
        .size:           184
        .value_kind:     by_value
    .group_segment_fixed_size: 0
    .kernarg_segment_align: 8
    .kernarg_segment_size: 184
    .language:       OpenCL C
    .language_version:
      - 2
      - 0
    .max_flat_workgroup_size: 256
    .name:           _ZN7rocprim17ROCPRIM_400000_NS6detail17trampoline_kernelINS0_13select_configILj256ELj13ELNS0_17block_load_methodE3ELS4_3ELS4_3ELNS0_20block_scan_algorithmE0ELj4294967295EEENS1_25partition_config_selectorILNS1_17partition_subalgoE4EjNS0_10empty_typeEbEEZZNS1_14partition_implILS8_4ELb0ES6_15HIP_vector_typeIjLj2EENS0_17counting_iteratorIjlEEPS9_SG_NS0_5tupleIJPjSI_NS0_16reverse_iteratorISI_EEEEENSH_IJSG_SG_SG_EEES9_SI_JZNS1_25segmented_radix_sort_implINS0_14default_configELb1EPKiPiPKlPlN2at6native12_GLOBAL__N_18offset_tEEE10hipError_tPvRmT1_PNSt15iterator_traitsIS12_E10value_typeET2_T3_PNS13_IS18_E10value_typeET4_jRbjT5_S1E_jjP12ihipStream_tbEUljE_ZNSN_ISO_Lb1ESQ_SR_ST_SU_SY_EESZ_S10_S11_S12_S16_S17_S18_S1B_S1C_jS1D_jS1E_S1E_jjS1G_bEUljE0_EEESZ_S10_S11_S18_S1C_S1E_T6_T7_T9_mT8_S1G_bDpT10_ENKUlT_T0_E_clISt17integral_constantIbLb1EES1U_EEDaS1P_S1Q_EUlS1P_E_NS1_11comp_targetILNS1_3genE0ELNS1_11target_archE4294967295ELNS1_3gpuE0ELNS1_3repE0EEENS1_30default_config_static_selectorELNS0_4arch9wavefront6targetE0EEEvS12_
    .private_segment_fixed_size: 0
    .sgpr_count:     0
    .sgpr_spill_count: 0
    .symbol:         _ZN7rocprim17ROCPRIM_400000_NS6detail17trampoline_kernelINS0_13select_configILj256ELj13ELNS0_17block_load_methodE3ELS4_3ELS4_3ELNS0_20block_scan_algorithmE0ELj4294967295EEENS1_25partition_config_selectorILNS1_17partition_subalgoE4EjNS0_10empty_typeEbEEZZNS1_14partition_implILS8_4ELb0ES6_15HIP_vector_typeIjLj2EENS0_17counting_iteratorIjlEEPS9_SG_NS0_5tupleIJPjSI_NS0_16reverse_iteratorISI_EEEEENSH_IJSG_SG_SG_EEES9_SI_JZNS1_25segmented_radix_sort_implINS0_14default_configELb1EPKiPiPKlPlN2at6native12_GLOBAL__N_18offset_tEEE10hipError_tPvRmT1_PNSt15iterator_traitsIS12_E10value_typeET2_T3_PNS13_IS18_E10value_typeET4_jRbjT5_S1E_jjP12ihipStream_tbEUljE_ZNSN_ISO_Lb1ESQ_SR_ST_SU_SY_EESZ_S10_S11_S12_S16_S17_S18_S1B_S1C_jS1D_jS1E_S1E_jjS1G_bEUljE0_EEESZ_S10_S11_S18_S1C_S1E_T6_T7_T9_mT8_S1G_bDpT10_ENKUlT_T0_E_clISt17integral_constantIbLb1EES1U_EEDaS1P_S1Q_EUlS1P_E_NS1_11comp_targetILNS1_3genE0ELNS1_11target_archE4294967295ELNS1_3gpuE0ELNS1_3repE0EEENS1_30default_config_static_selectorELNS0_4arch9wavefront6targetE0EEEvS12_.kd
    .uniform_work_group_size: 1
    .uses_dynamic_stack: false
    .vgpr_count:     0
    .vgpr_spill_count: 0
    .wavefront_size: 32
    .workgroup_processor_mode: 1
  - .args:
      - .offset:         0
        .size:           184
        .value_kind:     by_value
    .group_segment_fixed_size: 0
    .kernarg_segment_align: 8
    .kernarg_segment_size: 184
    .language:       OpenCL C
    .language_version:
      - 2
      - 0
    .max_flat_workgroup_size: 256
    .name:           _ZN7rocprim17ROCPRIM_400000_NS6detail17trampoline_kernelINS0_13select_configILj256ELj13ELNS0_17block_load_methodE3ELS4_3ELS4_3ELNS0_20block_scan_algorithmE0ELj4294967295EEENS1_25partition_config_selectorILNS1_17partition_subalgoE4EjNS0_10empty_typeEbEEZZNS1_14partition_implILS8_4ELb0ES6_15HIP_vector_typeIjLj2EENS0_17counting_iteratorIjlEEPS9_SG_NS0_5tupleIJPjSI_NS0_16reverse_iteratorISI_EEEEENSH_IJSG_SG_SG_EEES9_SI_JZNS1_25segmented_radix_sort_implINS0_14default_configELb1EPKiPiPKlPlN2at6native12_GLOBAL__N_18offset_tEEE10hipError_tPvRmT1_PNSt15iterator_traitsIS12_E10value_typeET2_T3_PNS13_IS18_E10value_typeET4_jRbjT5_S1E_jjP12ihipStream_tbEUljE_ZNSN_ISO_Lb1ESQ_SR_ST_SU_SY_EESZ_S10_S11_S12_S16_S17_S18_S1B_S1C_jS1D_jS1E_S1E_jjS1G_bEUljE0_EEESZ_S10_S11_S18_S1C_S1E_T6_T7_T9_mT8_S1G_bDpT10_ENKUlT_T0_E_clISt17integral_constantIbLb1EES1U_EEDaS1P_S1Q_EUlS1P_E_NS1_11comp_targetILNS1_3genE5ELNS1_11target_archE942ELNS1_3gpuE9ELNS1_3repE0EEENS1_30default_config_static_selectorELNS0_4arch9wavefront6targetE0EEEvS12_
    .private_segment_fixed_size: 0
    .sgpr_count:     0
    .sgpr_spill_count: 0
    .symbol:         _ZN7rocprim17ROCPRIM_400000_NS6detail17trampoline_kernelINS0_13select_configILj256ELj13ELNS0_17block_load_methodE3ELS4_3ELS4_3ELNS0_20block_scan_algorithmE0ELj4294967295EEENS1_25partition_config_selectorILNS1_17partition_subalgoE4EjNS0_10empty_typeEbEEZZNS1_14partition_implILS8_4ELb0ES6_15HIP_vector_typeIjLj2EENS0_17counting_iteratorIjlEEPS9_SG_NS0_5tupleIJPjSI_NS0_16reverse_iteratorISI_EEEEENSH_IJSG_SG_SG_EEES9_SI_JZNS1_25segmented_radix_sort_implINS0_14default_configELb1EPKiPiPKlPlN2at6native12_GLOBAL__N_18offset_tEEE10hipError_tPvRmT1_PNSt15iterator_traitsIS12_E10value_typeET2_T3_PNS13_IS18_E10value_typeET4_jRbjT5_S1E_jjP12ihipStream_tbEUljE_ZNSN_ISO_Lb1ESQ_SR_ST_SU_SY_EESZ_S10_S11_S12_S16_S17_S18_S1B_S1C_jS1D_jS1E_S1E_jjS1G_bEUljE0_EEESZ_S10_S11_S18_S1C_S1E_T6_T7_T9_mT8_S1G_bDpT10_ENKUlT_T0_E_clISt17integral_constantIbLb1EES1U_EEDaS1P_S1Q_EUlS1P_E_NS1_11comp_targetILNS1_3genE5ELNS1_11target_archE942ELNS1_3gpuE9ELNS1_3repE0EEENS1_30default_config_static_selectorELNS0_4arch9wavefront6targetE0EEEvS12_.kd
    .uniform_work_group_size: 1
    .uses_dynamic_stack: false
    .vgpr_count:     0
    .vgpr_spill_count: 0
    .wavefront_size: 32
    .workgroup_processor_mode: 1
  - .args:
      - .offset:         0
        .size:           184
        .value_kind:     by_value
    .group_segment_fixed_size: 0
    .kernarg_segment_align: 8
    .kernarg_segment_size: 184
    .language:       OpenCL C
    .language_version:
      - 2
      - 0
    .max_flat_workgroup_size: 256
    .name:           _ZN7rocprim17ROCPRIM_400000_NS6detail17trampoline_kernelINS0_13select_configILj256ELj13ELNS0_17block_load_methodE3ELS4_3ELS4_3ELNS0_20block_scan_algorithmE0ELj4294967295EEENS1_25partition_config_selectorILNS1_17partition_subalgoE4EjNS0_10empty_typeEbEEZZNS1_14partition_implILS8_4ELb0ES6_15HIP_vector_typeIjLj2EENS0_17counting_iteratorIjlEEPS9_SG_NS0_5tupleIJPjSI_NS0_16reverse_iteratorISI_EEEEENSH_IJSG_SG_SG_EEES9_SI_JZNS1_25segmented_radix_sort_implINS0_14default_configELb1EPKiPiPKlPlN2at6native12_GLOBAL__N_18offset_tEEE10hipError_tPvRmT1_PNSt15iterator_traitsIS12_E10value_typeET2_T3_PNS13_IS18_E10value_typeET4_jRbjT5_S1E_jjP12ihipStream_tbEUljE_ZNSN_ISO_Lb1ESQ_SR_ST_SU_SY_EESZ_S10_S11_S12_S16_S17_S18_S1B_S1C_jS1D_jS1E_S1E_jjS1G_bEUljE0_EEESZ_S10_S11_S18_S1C_S1E_T6_T7_T9_mT8_S1G_bDpT10_ENKUlT_T0_E_clISt17integral_constantIbLb1EES1U_EEDaS1P_S1Q_EUlS1P_E_NS1_11comp_targetILNS1_3genE4ELNS1_11target_archE910ELNS1_3gpuE8ELNS1_3repE0EEENS1_30default_config_static_selectorELNS0_4arch9wavefront6targetE0EEEvS12_
    .private_segment_fixed_size: 0
    .sgpr_count:     0
    .sgpr_spill_count: 0
    .symbol:         _ZN7rocprim17ROCPRIM_400000_NS6detail17trampoline_kernelINS0_13select_configILj256ELj13ELNS0_17block_load_methodE3ELS4_3ELS4_3ELNS0_20block_scan_algorithmE0ELj4294967295EEENS1_25partition_config_selectorILNS1_17partition_subalgoE4EjNS0_10empty_typeEbEEZZNS1_14partition_implILS8_4ELb0ES6_15HIP_vector_typeIjLj2EENS0_17counting_iteratorIjlEEPS9_SG_NS0_5tupleIJPjSI_NS0_16reverse_iteratorISI_EEEEENSH_IJSG_SG_SG_EEES9_SI_JZNS1_25segmented_radix_sort_implINS0_14default_configELb1EPKiPiPKlPlN2at6native12_GLOBAL__N_18offset_tEEE10hipError_tPvRmT1_PNSt15iterator_traitsIS12_E10value_typeET2_T3_PNS13_IS18_E10value_typeET4_jRbjT5_S1E_jjP12ihipStream_tbEUljE_ZNSN_ISO_Lb1ESQ_SR_ST_SU_SY_EESZ_S10_S11_S12_S16_S17_S18_S1B_S1C_jS1D_jS1E_S1E_jjS1G_bEUljE0_EEESZ_S10_S11_S18_S1C_S1E_T6_T7_T9_mT8_S1G_bDpT10_ENKUlT_T0_E_clISt17integral_constantIbLb1EES1U_EEDaS1P_S1Q_EUlS1P_E_NS1_11comp_targetILNS1_3genE4ELNS1_11target_archE910ELNS1_3gpuE8ELNS1_3repE0EEENS1_30default_config_static_selectorELNS0_4arch9wavefront6targetE0EEEvS12_.kd
    .uniform_work_group_size: 1
    .uses_dynamic_stack: false
    .vgpr_count:     0
    .vgpr_spill_count: 0
    .wavefront_size: 32
    .workgroup_processor_mode: 1
  - .args:
      - .offset:         0
        .size:           184
        .value_kind:     by_value
    .group_segment_fixed_size: 0
    .kernarg_segment_align: 8
    .kernarg_segment_size: 184
    .language:       OpenCL C
    .language_version:
      - 2
      - 0
    .max_flat_workgroup_size: 256
    .name:           _ZN7rocprim17ROCPRIM_400000_NS6detail17trampoline_kernelINS0_13select_configILj256ELj13ELNS0_17block_load_methodE3ELS4_3ELS4_3ELNS0_20block_scan_algorithmE0ELj4294967295EEENS1_25partition_config_selectorILNS1_17partition_subalgoE4EjNS0_10empty_typeEbEEZZNS1_14partition_implILS8_4ELb0ES6_15HIP_vector_typeIjLj2EENS0_17counting_iteratorIjlEEPS9_SG_NS0_5tupleIJPjSI_NS0_16reverse_iteratorISI_EEEEENSH_IJSG_SG_SG_EEES9_SI_JZNS1_25segmented_radix_sort_implINS0_14default_configELb1EPKiPiPKlPlN2at6native12_GLOBAL__N_18offset_tEEE10hipError_tPvRmT1_PNSt15iterator_traitsIS12_E10value_typeET2_T3_PNS13_IS18_E10value_typeET4_jRbjT5_S1E_jjP12ihipStream_tbEUljE_ZNSN_ISO_Lb1ESQ_SR_ST_SU_SY_EESZ_S10_S11_S12_S16_S17_S18_S1B_S1C_jS1D_jS1E_S1E_jjS1G_bEUljE0_EEESZ_S10_S11_S18_S1C_S1E_T6_T7_T9_mT8_S1G_bDpT10_ENKUlT_T0_E_clISt17integral_constantIbLb1EES1U_EEDaS1P_S1Q_EUlS1P_E_NS1_11comp_targetILNS1_3genE3ELNS1_11target_archE908ELNS1_3gpuE7ELNS1_3repE0EEENS1_30default_config_static_selectorELNS0_4arch9wavefront6targetE0EEEvS12_
    .private_segment_fixed_size: 0
    .sgpr_count:     0
    .sgpr_spill_count: 0
    .symbol:         _ZN7rocprim17ROCPRIM_400000_NS6detail17trampoline_kernelINS0_13select_configILj256ELj13ELNS0_17block_load_methodE3ELS4_3ELS4_3ELNS0_20block_scan_algorithmE0ELj4294967295EEENS1_25partition_config_selectorILNS1_17partition_subalgoE4EjNS0_10empty_typeEbEEZZNS1_14partition_implILS8_4ELb0ES6_15HIP_vector_typeIjLj2EENS0_17counting_iteratorIjlEEPS9_SG_NS0_5tupleIJPjSI_NS0_16reverse_iteratorISI_EEEEENSH_IJSG_SG_SG_EEES9_SI_JZNS1_25segmented_radix_sort_implINS0_14default_configELb1EPKiPiPKlPlN2at6native12_GLOBAL__N_18offset_tEEE10hipError_tPvRmT1_PNSt15iterator_traitsIS12_E10value_typeET2_T3_PNS13_IS18_E10value_typeET4_jRbjT5_S1E_jjP12ihipStream_tbEUljE_ZNSN_ISO_Lb1ESQ_SR_ST_SU_SY_EESZ_S10_S11_S12_S16_S17_S18_S1B_S1C_jS1D_jS1E_S1E_jjS1G_bEUljE0_EEESZ_S10_S11_S18_S1C_S1E_T6_T7_T9_mT8_S1G_bDpT10_ENKUlT_T0_E_clISt17integral_constantIbLb1EES1U_EEDaS1P_S1Q_EUlS1P_E_NS1_11comp_targetILNS1_3genE3ELNS1_11target_archE908ELNS1_3gpuE7ELNS1_3repE0EEENS1_30default_config_static_selectorELNS0_4arch9wavefront6targetE0EEEvS12_.kd
    .uniform_work_group_size: 1
    .uses_dynamic_stack: false
    .vgpr_count:     0
    .vgpr_spill_count: 0
    .wavefront_size: 32
    .workgroup_processor_mode: 1
  - .args:
      - .offset:         0
        .size:           184
        .value_kind:     by_value
    .group_segment_fixed_size: 0
    .kernarg_segment_align: 8
    .kernarg_segment_size: 184
    .language:       OpenCL C
    .language_version:
      - 2
      - 0
    .max_flat_workgroup_size: 256
    .name:           _ZN7rocprim17ROCPRIM_400000_NS6detail17trampoline_kernelINS0_13select_configILj256ELj13ELNS0_17block_load_methodE3ELS4_3ELS4_3ELNS0_20block_scan_algorithmE0ELj4294967295EEENS1_25partition_config_selectorILNS1_17partition_subalgoE4EjNS0_10empty_typeEbEEZZNS1_14partition_implILS8_4ELb0ES6_15HIP_vector_typeIjLj2EENS0_17counting_iteratorIjlEEPS9_SG_NS0_5tupleIJPjSI_NS0_16reverse_iteratorISI_EEEEENSH_IJSG_SG_SG_EEES9_SI_JZNS1_25segmented_radix_sort_implINS0_14default_configELb1EPKiPiPKlPlN2at6native12_GLOBAL__N_18offset_tEEE10hipError_tPvRmT1_PNSt15iterator_traitsIS12_E10value_typeET2_T3_PNS13_IS18_E10value_typeET4_jRbjT5_S1E_jjP12ihipStream_tbEUljE_ZNSN_ISO_Lb1ESQ_SR_ST_SU_SY_EESZ_S10_S11_S12_S16_S17_S18_S1B_S1C_jS1D_jS1E_S1E_jjS1G_bEUljE0_EEESZ_S10_S11_S18_S1C_S1E_T6_T7_T9_mT8_S1G_bDpT10_ENKUlT_T0_E_clISt17integral_constantIbLb1EES1U_EEDaS1P_S1Q_EUlS1P_E_NS1_11comp_targetILNS1_3genE2ELNS1_11target_archE906ELNS1_3gpuE6ELNS1_3repE0EEENS1_30default_config_static_selectorELNS0_4arch9wavefront6targetE0EEEvS12_
    .private_segment_fixed_size: 0
    .sgpr_count:     0
    .sgpr_spill_count: 0
    .symbol:         _ZN7rocprim17ROCPRIM_400000_NS6detail17trampoline_kernelINS0_13select_configILj256ELj13ELNS0_17block_load_methodE3ELS4_3ELS4_3ELNS0_20block_scan_algorithmE0ELj4294967295EEENS1_25partition_config_selectorILNS1_17partition_subalgoE4EjNS0_10empty_typeEbEEZZNS1_14partition_implILS8_4ELb0ES6_15HIP_vector_typeIjLj2EENS0_17counting_iteratorIjlEEPS9_SG_NS0_5tupleIJPjSI_NS0_16reverse_iteratorISI_EEEEENSH_IJSG_SG_SG_EEES9_SI_JZNS1_25segmented_radix_sort_implINS0_14default_configELb1EPKiPiPKlPlN2at6native12_GLOBAL__N_18offset_tEEE10hipError_tPvRmT1_PNSt15iterator_traitsIS12_E10value_typeET2_T3_PNS13_IS18_E10value_typeET4_jRbjT5_S1E_jjP12ihipStream_tbEUljE_ZNSN_ISO_Lb1ESQ_SR_ST_SU_SY_EESZ_S10_S11_S12_S16_S17_S18_S1B_S1C_jS1D_jS1E_S1E_jjS1G_bEUljE0_EEESZ_S10_S11_S18_S1C_S1E_T6_T7_T9_mT8_S1G_bDpT10_ENKUlT_T0_E_clISt17integral_constantIbLb1EES1U_EEDaS1P_S1Q_EUlS1P_E_NS1_11comp_targetILNS1_3genE2ELNS1_11target_archE906ELNS1_3gpuE6ELNS1_3repE0EEENS1_30default_config_static_selectorELNS0_4arch9wavefront6targetE0EEEvS12_.kd
    .uniform_work_group_size: 1
    .uses_dynamic_stack: false
    .vgpr_count:     0
    .vgpr_spill_count: 0
    .wavefront_size: 32
    .workgroup_processor_mode: 1
  - .args:
      - .offset:         0
        .size:           184
        .value_kind:     by_value
    .group_segment_fixed_size: 0
    .kernarg_segment_align: 8
    .kernarg_segment_size: 184
    .language:       OpenCL C
    .language_version:
      - 2
      - 0
    .max_flat_workgroup_size: 256
    .name:           _ZN7rocprim17ROCPRIM_400000_NS6detail17trampoline_kernelINS0_13select_configILj256ELj13ELNS0_17block_load_methodE3ELS4_3ELS4_3ELNS0_20block_scan_algorithmE0ELj4294967295EEENS1_25partition_config_selectorILNS1_17partition_subalgoE4EjNS0_10empty_typeEbEEZZNS1_14partition_implILS8_4ELb0ES6_15HIP_vector_typeIjLj2EENS0_17counting_iteratorIjlEEPS9_SG_NS0_5tupleIJPjSI_NS0_16reverse_iteratorISI_EEEEENSH_IJSG_SG_SG_EEES9_SI_JZNS1_25segmented_radix_sort_implINS0_14default_configELb1EPKiPiPKlPlN2at6native12_GLOBAL__N_18offset_tEEE10hipError_tPvRmT1_PNSt15iterator_traitsIS12_E10value_typeET2_T3_PNS13_IS18_E10value_typeET4_jRbjT5_S1E_jjP12ihipStream_tbEUljE_ZNSN_ISO_Lb1ESQ_SR_ST_SU_SY_EESZ_S10_S11_S12_S16_S17_S18_S1B_S1C_jS1D_jS1E_S1E_jjS1G_bEUljE0_EEESZ_S10_S11_S18_S1C_S1E_T6_T7_T9_mT8_S1G_bDpT10_ENKUlT_T0_E_clISt17integral_constantIbLb1EES1U_EEDaS1P_S1Q_EUlS1P_E_NS1_11comp_targetILNS1_3genE10ELNS1_11target_archE1200ELNS1_3gpuE4ELNS1_3repE0EEENS1_30default_config_static_selectorELNS0_4arch9wavefront6targetE0EEEvS12_
    .private_segment_fixed_size: 0
    .sgpr_count:     0
    .sgpr_spill_count: 0
    .symbol:         _ZN7rocprim17ROCPRIM_400000_NS6detail17trampoline_kernelINS0_13select_configILj256ELj13ELNS0_17block_load_methodE3ELS4_3ELS4_3ELNS0_20block_scan_algorithmE0ELj4294967295EEENS1_25partition_config_selectorILNS1_17partition_subalgoE4EjNS0_10empty_typeEbEEZZNS1_14partition_implILS8_4ELb0ES6_15HIP_vector_typeIjLj2EENS0_17counting_iteratorIjlEEPS9_SG_NS0_5tupleIJPjSI_NS0_16reverse_iteratorISI_EEEEENSH_IJSG_SG_SG_EEES9_SI_JZNS1_25segmented_radix_sort_implINS0_14default_configELb1EPKiPiPKlPlN2at6native12_GLOBAL__N_18offset_tEEE10hipError_tPvRmT1_PNSt15iterator_traitsIS12_E10value_typeET2_T3_PNS13_IS18_E10value_typeET4_jRbjT5_S1E_jjP12ihipStream_tbEUljE_ZNSN_ISO_Lb1ESQ_SR_ST_SU_SY_EESZ_S10_S11_S12_S16_S17_S18_S1B_S1C_jS1D_jS1E_S1E_jjS1G_bEUljE0_EEESZ_S10_S11_S18_S1C_S1E_T6_T7_T9_mT8_S1G_bDpT10_ENKUlT_T0_E_clISt17integral_constantIbLb1EES1U_EEDaS1P_S1Q_EUlS1P_E_NS1_11comp_targetILNS1_3genE10ELNS1_11target_archE1200ELNS1_3gpuE4ELNS1_3repE0EEENS1_30default_config_static_selectorELNS0_4arch9wavefront6targetE0EEEvS12_.kd
    .uniform_work_group_size: 1
    .uses_dynamic_stack: false
    .vgpr_count:     0
    .vgpr_spill_count: 0
    .wavefront_size: 32
    .workgroup_processor_mode: 1
  - .args:
      - .offset:         0
        .size:           184
        .value_kind:     by_value
    .group_segment_fixed_size: 13340
    .kernarg_segment_align: 8
    .kernarg_segment_size: 184
    .language:       OpenCL C
    .language_version:
      - 2
      - 0
    .max_flat_workgroup_size: 256
    .name:           _ZN7rocprim17ROCPRIM_400000_NS6detail17trampoline_kernelINS0_13select_configILj256ELj13ELNS0_17block_load_methodE3ELS4_3ELS4_3ELNS0_20block_scan_algorithmE0ELj4294967295EEENS1_25partition_config_selectorILNS1_17partition_subalgoE4EjNS0_10empty_typeEbEEZZNS1_14partition_implILS8_4ELb0ES6_15HIP_vector_typeIjLj2EENS0_17counting_iteratorIjlEEPS9_SG_NS0_5tupleIJPjSI_NS0_16reverse_iteratorISI_EEEEENSH_IJSG_SG_SG_EEES9_SI_JZNS1_25segmented_radix_sort_implINS0_14default_configELb1EPKiPiPKlPlN2at6native12_GLOBAL__N_18offset_tEEE10hipError_tPvRmT1_PNSt15iterator_traitsIS12_E10value_typeET2_T3_PNS13_IS18_E10value_typeET4_jRbjT5_S1E_jjP12ihipStream_tbEUljE_ZNSN_ISO_Lb1ESQ_SR_ST_SU_SY_EESZ_S10_S11_S12_S16_S17_S18_S1B_S1C_jS1D_jS1E_S1E_jjS1G_bEUljE0_EEESZ_S10_S11_S18_S1C_S1E_T6_T7_T9_mT8_S1G_bDpT10_ENKUlT_T0_E_clISt17integral_constantIbLb1EES1U_EEDaS1P_S1Q_EUlS1P_E_NS1_11comp_targetILNS1_3genE9ELNS1_11target_archE1100ELNS1_3gpuE3ELNS1_3repE0EEENS1_30default_config_static_selectorELNS0_4arch9wavefront6targetE0EEEvS12_
    .private_segment_fixed_size: 0
    .sgpr_count:     57
    .sgpr_spill_count: 0
    .symbol:         _ZN7rocprim17ROCPRIM_400000_NS6detail17trampoline_kernelINS0_13select_configILj256ELj13ELNS0_17block_load_methodE3ELS4_3ELS4_3ELNS0_20block_scan_algorithmE0ELj4294967295EEENS1_25partition_config_selectorILNS1_17partition_subalgoE4EjNS0_10empty_typeEbEEZZNS1_14partition_implILS8_4ELb0ES6_15HIP_vector_typeIjLj2EENS0_17counting_iteratorIjlEEPS9_SG_NS0_5tupleIJPjSI_NS0_16reverse_iteratorISI_EEEEENSH_IJSG_SG_SG_EEES9_SI_JZNS1_25segmented_radix_sort_implINS0_14default_configELb1EPKiPiPKlPlN2at6native12_GLOBAL__N_18offset_tEEE10hipError_tPvRmT1_PNSt15iterator_traitsIS12_E10value_typeET2_T3_PNS13_IS18_E10value_typeET4_jRbjT5_S1E_jjP12ihipStream_tbEUljE_ZNSN_ISO_Lb1ESQ_SR_ST_SU_SY_EESZ_S10_S11_S12_S16_S17_S18_S1B_S1C_jS1D_jS1E_S1E_jjS1G_bEUljE0_EEESZ_S10_S11_S18_S1C_S1E_T6_T7_T9_mT8_S1G_bDpT10_ENKUlT_T0_E_clISt17integral_constantIbLb1EES1U_EEDaS1P_S1Q_EUlS1P_E_NS1_11comp_targetILNS1_3genE9ELNS1_11target_archE1100ELNS1_3gpuE3ELNS1_3repE0EEENS1_30default_config_static_selectorELNS0_4arch9wavefront6targetE0EEEvS12_.kd
    .uniform_work_group_size: 1
    .uses_dynamic_stack: false
    .vgpr_count:     103
    .vgpr_spill_count: 0
    .wavefront_size: 32
    .workgroup_processor_mode: 1
  - .args:
      - .offset:         0
        .size:           184
        .value_kind:     by_value
    .group_segment_fixed_size: 0
    .kernarg_segment_align: 8
    .kernarg_segment_size: 184
    .language:       OpenCL C
    .language_version:
      - 2
      - 0
    .max_flat_workgroup_size: 256
    .name:           _ZN7rocprim17ROCPRIM_400000_NS6detail17trampoline_kernelINS0_13select_configILj256ELj13ELNS0_17block_load_methodE3ELS4_3ELS4_3ELNS0_20block_scan_algorithmE0ELj4294967295EEENS1_25partition_config_selectorILNS1_17partition_subalgoE4EjNS0_10empty_typeEbEEZZNS1_14partition_implILS8_4ELb0ES6_15HIP_vector_typeIjLj2EENS0_17counting_iteratorIjlEEPS9_SG_NS0_5tupleIJPjSI_NS0_16reverse_iteratorISI_EEEEENSH_IJSG_SG_SG_EEES9_SI_JZNS1_25segmented_radix_sort_implINS0_14default_configELb1EPKiPiPKlPlN2at6native12_GLOBAL__N_18offset_tEEE10hipError_tPvRmT1_PNSt15iterator_traitsIS12_E10value_typeET2_T3_PNS13_IS18_E10value_typeET4_jRbjT5_S1E_jjP12ihipStream_tbEUljE_ZNSN_ISO_Lb1ESQ_SR_ST_SU_SY_EESZ_S10_S11_S12_S16_S17_S18_S1B_S1C_jS1D_jS1E_S1E_jjS1G_bEUljE0_EEESZ_S10_S11_S18_S1C_S1E_T6_T7_T9_mT8_S1G_bDpT10_ENKUlT_T0_E_clISt17integral_constantIbLb1EES1U_EEDaS1P_S1Q_EUlS1P_E_NS1_11comp_targetILNS1_3genE8ELNS1_11target_archE1030ELNS1_3gpuE2ELNS1_3repE0EEENS1_30default_config_static_selectorELNS0_4arch9wavefront6targetE0EEEvS12_
    .private_segment_fixed_size: 0
    .sgpr_count:     0
    .sgpr_spill_count: 0
    .symbol:         _ZN7rocprim17ROCPRIM_400000_NS6detail17trampoline_kernelINS0_13select_configILj256ELj13ELNS0_17block_load_methodE3ELS4_3ELS4_3ELNS0_20block_scan_algorithmE0ELj4294967295EEENS1_25partition_config_selectorILNS1_17partition_subalgoE4EjNS0_10empty_typeEbEEZZNS1_14partition_implILS8_4ELb0ES6_15HIP_vector_typeIjLj2EENS0_17counting_iteratorIjlEEPS9_SG_NS0_5tupleIJPjSI_NS0_16reverse_iteratorISI_EEEEENSH_IJSG_SG_SG_EEES9_SI_JZNS1_25segmented_radix_sort_implINS0_14default_configELb1EPKiPiPKlPlN2at6native12_GLOBAL__N_18offset_tEEE10hipError_tPvRmT1_PNSt15iterator_traitsIS12_E10value_typeET2_T3_PNS13_IS18_E10value_typeET4_jRbjT5_S1E_jjP12ihipStream_tbEUljE_ZNSN_ISO_Lb1ESQ_SR_ST_SU_SY_EESZ_S10_S11_S12_S16_S17_S18_S1B_S1C_jS1D_jS1E_S1E_jjS1G_bEUljE0_EEESZ_S10_S11_S18_S1C_S1E_T6_T7_T9_mT8_S1G_bDpT10_ENKUlT_T0_E_clISt17integral_constantIbLb1EES1U_EEDaS1P_S1Q_EUlS1P_E_NS1_11comp_targetILNS1_3genE8ELNS1_11target_archE1030ELNS1_3gpuE2ELNS1_3repE0EEENS1_30default_config_static_selectorELNS0_4arch9wavefront6targetE0EEEvS12_.kd
    .uniform_work_group_size: 1
    .uses_dynamic_stack: false
    .vgpr_count:     0
    .vgpr_spill_count: 0
    .wavefront_size: 32
    .workgroup_processor_mode: 1
  - .args:
      - .offset:         0
        .size:           176
        .value_kind:     by_value
    .group_segment_fixed_size: 0
    .kernarg_segment_align: 8
    .kernarg_segment_size: 176
    .language:       OpenCL C
    .language_version:
      - 2
      - 0
    .max_flat_workgroup_size: 256
    .name:           _ZN7rocprim17ROCPRIM_400000_NS6detail17trampoline_kernelINS0_13select_configILj256ELj13ELNS0_17block_load_methodE3ELS4_3ELS4_3ELNS0_20block_scan_algorithmE0ELj4294967295EEENS1_25partition_config_selectorILNS1_17partition_subalgoE4EjNS0_10empty_typeEbEEZZNS1_14partition_implILS8_4ELb0ES6_15HIP_vector_typeIjLj2EENS0_17counting_iteratorIjlEEPS9_SG_NS0_5tupleIJPjSI_NS0_16reverse_iteratorISI_EEEEENSH_IJSG_SG_SG_EEES9_SI_JZNS1_25segmented_radix_sort_implINS0_14default_configELb1EPKiPiPKlPlN2at6native12_GLOBAL__N_18offset_tEEE10hipError_tPvRmT1_PNSt15iterator_traitsIS12_E10value_typeET2_T3_PNS13_IS18_E10value_typeET4_jRbjT5_S1E_jjP12ihipStream_tbEUljE_ZNSN_ISO_Lb1ESQ_SR_ST_SU_SY_EESZ_S10_S11_S12_S16_S17_S18_S1B_S1C_jS1D_jS1E_S1E_jjS1G_bEUljE0_EEESZ_S10_S11_S18_S1C_S1E_T6_T7_T9_mT8_S1G_bDpT10_ENKUlT_T0_E_clISt17integral_constantIbLb1EES1T_IbLb0EEEEDaS1P_S1Q_EUlS1P_E_NS1_11comp_targetILNS1_3genE0ELNS1_11target_archE4294967295ELNS1_3gpuE0ELNS1_3repE0EEENS1_30default_config_static_selectorELNS0_4arch9wavefront6targetE0EEEvS12_
    .private_segment_fixed_size: 0
    .sgpr_count:     0
    .sgpr_spill_count: 0
    .symbol:         _ZN7rocprim17ROCPRIM_400000_NS6detail17trampoline_kernelINS0_13select_configILj256ELj13ELNS0_17block_load_methodE3ELS4_3ELS4_3ELNS0_20block_scan_algorithmE0ELj4294967295EEENS1_25partition_config_selectorILNS1_17partition_subalgoE4EjNS0_10empty_typeEbEEZZNS1_14partition_implILS8_4ELb0ES6_15HIP_vector_typeIjLj2EENS0_17counting_iteratorIjlEEPS9_SG_NS0_5tupleIJPjSI_NS0_16reverse_iteratorISI_EEEEENSH_IJSG_SG_SG_EEES9_SI_JZNS1_25segmented_radix_sort_implINS0_14default_configELb1EPKiPiPKlPlN2at6native12_GLOBAL__N_18offset_tEEE10hipError_tPvRmT1_PNSt15iterator_traitsIS12_E10value_typeET2_T3_PNS13_IS18_E10value_typeET4_jRbjT5_S1E_jjP12ihipStream_tbEUljE_ZNSN_ISO_Lb1ESQ_SR_ST_SU_SY_EESZ_S10_S11_S12_S16_S17_S18_S1B_S1C_jS1D_jS1E_S1E_jjS1G_bEUljE0_EEESZ_S10_S11_S18_S1C_S1E_T6_T7_T9_mT8_S1G_bDpT10_ENKUlT_T0_E_clISt17integral_constantIbLb1EES1T_IbLb0EEEEDaS1P_S1Q_EUlS1P_E_NS1_11comp_targetILNS1_3genE0ELNS1_11target_archE4294967295ELNS1_3gpuE0ELNS1_3repE0EEENS1_30default_config_static_selectorELNS0_4arch9wavefront6targetE0EEEvS12_.kd
    .uniform_work_group_size: 1
    .uses_dynamic_stack: false
    .vgpr_count:     0
    .vgpr_spill_count: 0
    .wavefront_size: 32
    .workgroup_processor_mode: 1
  - .args:
      - .offset:         0
        .size:           176
        .value_kind:     by_value
    .group_segment_fixed_size: 0
    .kernarg_segment_align: 8
    .kernarg_segment_size: 176
    .language:       OpenCL C
    .language_version:
      - 2
      - 0
    .max_flat_workgroup_size: 256
    .name:           _ZN7rocprim17ROCPRIM_400000_NS6detail17trampoline_kernelINS0_13select_configILj256ELj13ELNS0_17block_load_methodE3ELS4_3ELS4_3ELNS0_20block_scan_algorithmE0ELj4294967295EEENS1_25partition_config_selectorILNS1_17partition_subalgoE4EjNS0_10empty_typeEbEEZZNS1_14partition_implILS8_4ELb0ES6_15HIP_vector_typeIjLj2EENS0_17counting_iteratorIjlEEPS9_SG_NS0_5tupleIJPjSI_NS0_16reverse_iteratorISI_EEEEENSH_IJSG_SG_SG_EEES9_SI_JZNS1_25segmented_radix_sort_implINS0_14default_configELb1EPKiPiPKlPlN2at6native12_GLOBAL__N_18offset_tEEE10hipError_tPvRmT1_PNSt15iterator_traitsIS12_E10value_typeET2_T3_PNS13_IS18_E10value_typeET4_jRbjT5_S1E_jjP12ihipStream_tbEUljE_ZNSN_ISO_Lb1ESQ_SR_ST_SU_SY_EESZ_S10_S11_S12_S16_S17_S18_S1B_S1C_jS1D_jS1E_S1E_jjS1G_bEUljE0_EEESZ_S10_S11_S18_S1C_S1E_T6_T7_T9_mT8_S1G_bDpT10_ENKUlT_T0_E_clISt17integral_constantIbLb1EES1T_IbLb0EEEEDaS1P_S1Q_EUlS1P_E_NS1_11comp_targetILNS1_3genE5ELNS1_11target_archE942ELNS1_3gpuE9ELNS1_3repE0EEENS1_30default_config_static_selectorELNS0_4arch9wavefront6targetE0EEEvS12_
    .private_segment_fixed_size: 0
    .sgpr_count:     0
    .sgpr_spill_count: 0
    .symbol:         _ZN7rocprim17ROCPRIM_400000_NS6detail17trampoline_kernelINS0_13select_configILj256ELj13ELNS0_17block_load_methodE3ELS4_3ELS4_3ELNS0_20block_scan_algorithmE0ELj4294967295EEENS1_25partition_config_selectorILNS1_17partition_subalgoE4EjNS0_10empty_typeEbEEZZNS1_14partition_implILS8_4ELb0ES6_15HIP_vector_typeIjLj2EENS0_17counting_iteratorIjlEEPS9_SG_NS0_5tupleIJPjSI_NS0_16reverse_iteratorISI_EEEEENSH_IJSG_SG_SG_EEES9_SI_JZNS1_25segmented_radix_sort_implINS0_14default_configELb1EPKiPiPKlPlN2at6native12_GLOBAL__N_18offset_tEEE10hipError_tPvRmT1_PNSt15iterator_traitsIS12_E10value_typeET2_T3_PNS13_IS18_E10value_typeET4_jRbjT5_S1E_jjP12ihipStream_tbEUljE_ZNSN_ISO_Lb1ESQ_SR_ST_SU_SY_EESZ_S10_S11_S12_S16_S17_S18_S1B_S1C_jS1D_jS1E_S1E_jjS1G_bEUljE0_EEESZ_S10_S11_S18_S1C_S1E_T6_T7_T9_mT8_S1G_bDpT10_ENKUlT_T0_E_clISt17integral_constantIbLb1EES1T_IbLb0EEEEDaS1P_S1Q_EUlS1P_E_NS1_11comp_targetILNS1_3genE5ELNS1_11target_archE942ELNS1_3gpuE9ELNS1_3repE0EEENS1_30default_config_static_selectorELNS0_4arch9wavefront6targetE0EEEvS12_.kd
    .uniform_work_group_size: 1
    .uses_dynamic_stack: false
    .vgpr_count:     0
    .vgpr_spill_count: 0
    .wavefront_size: 32
    .workgroup_processor_mode: 1
  - .args:
      - .offset:         0
        .size:           176
        .value_kind:     by_value
    .group_segment_fixed_size: 0
    .kernarg_segment_align: 8
    .kernarg_segment_size: 176
    .language:       OpenCL C
    .language_version:
      - 2
      - 0
    .max_flat_workgroup_size: 256
    .name:           _ZN7rocprim17ROCPRIM_400000_NS6detail17trampoline_kernelINS0_13select_configILj256ELj13ELNS0_17block_load_methodE3ELS4_3ELS4_3ELNS0_20block_scan_algorithmE0ELj4294967295EEENS1_25partition_config_selectorILNS1_17partition_subalgoE4EjNS0_10empty_typeEbEEZZNS1_14partition_implILS8_4ELb0ES6_15HIP_vector_typeIjLj2EENS0_17counting_iteratorIjlEEPS9_SG_NS0_5tupleIJPjSI_NS0_16reverse_iteratorISI_EEEEENSH_IJSG_SG_SG_EEES9_SI_JZNS1_25segmented_radix_sort_implINS0_14default_configELb1EPKiPiPKlPlN2at6native12_GLOBAL__N_18offset_tEEE10hipError_tPvRmT1_PNSt15iterator_traitsIS12_E10value_typeET2_T3_PNS13_IS18_E10value_typeET4_jRbjT5_S1E_jjP12ihipStream_tbEUljE_ZNSN_ISO_Lb1ESQ_SR_ST_SU_SY_EESZ_S10_S11_S12_S16_S17_S18_S1B_S1C_jS1D_jS1E_S1E_jjS1G_bEUljE0_EEESZ_S10_S11_S18_S1C_S1E_T6_T7_T9_mT8_S1G_bDpT10_ENKUlT_T0_E_clISt17integral_constantIbLb1EES1T_IbLb0EEEEDaS1P_S1Q_EUlS1P_E_NS1_11comp_targetILNS1_3genE4ELNS1_11target_archE910ELNS1_3gpuE8ELNS1_3repE0EEENS1_30default_config_static_selectorELNS0_4arch9wavefront6targetE0EEEvS12_
    .private_segment_fixed_size: 0
    .sgpr_count:     0
    .sgpr_spill_count: 0
    .symbol:         _ZN7rocprim17ROCPRIM_400000_NS6detail17trampoline_kernelINS0_13select_configILj256ELj13ELNS0_17block_load_methodE3ELS4_3ELS4_3ELNS0_20block_scan_algorithmE0ELj4294967295EEENS1_25partition_config_selectorILNS1_17partition_subalgoE4EjNS0_10empty_typeEbEEZZNS1_14partition_implILS8_4ELb0ES6_15HIP_vector_typeIjLj2EENS0_17counting_iteratorIjlEEPS9_SG_NS0_5tupleIJPjSI_NS0_16reverse_iteratorISI_EEEEENSH_IJSG_SG_SG_EEES9_SI_JZNS1_25segmented_radix_sort_implINS0_14default_configELb1EPKiPiPKlPlN2at6native12_GLOBAL__N_18offset_tEEE10hipError_tPvRmT1_PNSt15iterator_traitsIS12_E10value_typeET2_T3_PNS13_IS18_E10value_typeET4_jRbjT5_S1E_jjP12ihipStream_tbEUljE_ZNSN_ISO_Lb1ESQ_SR_ST_SU_SY_EESZ_S10_S11_S12_S16_S17_S18_S1B_S1C_jS1D_jS1E_S1E_jjS1G_bEUljE0_EEESZ_S10_S11_S18_S1C_S1E_T6_T7_T9_mT8_S1G_bDpT10_ENKUlT_T0_E_clISt17integral_constantIbLb1EES1T_IbLb0EEEEDaS1P_S1Q_EUlS1P_E_NS1_11comp_targetILNS1_3genE4ELNS1_11target_archE910ELNS1_3gpuE8ELNS1_3repE0EEENS1_30default_config_static_selectorELNS0_4arch9wavefront6targetE0EEEvS12_.kd
    .uniform_work_group_size: 1
    .uses_dynamic_stack: false
    .vgpr_count:     0
    .vgpr_spill_count: 0
    .wavefront_size: 32
    .workgroup_processor_mode: 1
  - .args:
      - .offset:         0
        .size:           176
        .value_kind:     by_value
    .group_segment_fixed_size: 0
    .kernarg_segment_align: 8
    .kernarg_segment_size: 176
    .language:       OpenCL C
    .language_version:
      - 2
      - 0
    .max_flat_workgroup_size: 256
    .name:           _ZN7rocprim17ROCPRIM_400000_NS6detail17trampoline_kernelINS0_13select_configILj256ELj13ELNS0_17block_load_methodE3ELS4_3ELS4_3ELNS0_20block_scan_algorithmE0ELj4294967295EEENS1_25partition_config_selectorILNS1_17partition_subalgoE4EjNS0_10empty_typeEbEEZZNS1_14partition_implILS8_4ELb0ES6_15HIP_vector_typeIjLj2EENS0_17counting_iteratorIjlEEPS9_SG_NS0_5tupleIJPjSI_NS0_16reverse_iteratorISI_EEEEENSH_IJSG_SG_SG_EEES9_SI_JZNS1_25segmented_radix_sort_implINS0_14default_configELb1EPKiPiPKlPlN2at6native12_GLOBAL__N_18offset_tEEE10hipError_tPvRmT1_PNSt15iterator_traitsIS12_E10value_typeET2_T3_PNS13_IS18_E10value_typeET4_jRbjT5_S1E_jjP12ihipStream_tbEUljE_ZNSN_ISO_Lb1ESQ_SR_ST_SU_SY_EESZ_S10_S11_S12_S16_S17_S18_S1B_S1C_jS1D_jS1E_S1E_jjS1G_bEUljE0_EEESZ_S10_S11_S18_S1C_S1E_T6_T7_T9_mT8_S1G_bDpT10_ENKUlT_T0_E_clISt17integral_constantIbLb1EES1T_IbLb0EEEEDaS1P_S1Q_EUlS1P_E_NS1_11comp_targetILNS1_3genE3ELNS1_11target_archE908ELNS1_3gpuE7ELNS1_3repE0EEENS1_30default_config_static_selectorELNS0_4arch9wavefront6targetE0EEEvS12_
    .private_segment_fixed_size: 0
    .sgpr_count:     0
    .sgpr_spill_count: 0
    .symbol:         _ZN7rocprim17ROCPRIM_400000_NS6detail17trampoline_kernelINS0_13select_configILj256ELj13ELNS0_17block_load_methodE3ELS4_3ELS4_3ELNS0_20block_scan_algorithmE0ELj4294967295EEENS1_25partition_config_selectorILNS1_17partition_subalgoE4EjNS0_10empty_typeEbEEZZNS1_14partition_implILS8_4ELb0ES6_15HIP_vector_typeIjLj2EENS0_17counting_iteratorIjlEEPS9_SG_NS0_5tupleIJPjSI_NS0_16reverse_iteratorISI_EEEEENSH_IJSG_SG_SG_EEES9_SI_JZNS1_25segmented_radix_sort_implINS0_14default_configELb1EPKiPiPKlPlN2at6native12_GLOBAL__N_18offset_tEEE10hipError_tPvRmT1_PNSt15iterator_traitsIS12_E10value_typeET2_T3_PNS13_IS18_E10value_typeET4_jRbjT5_S1E_jjP12ihipStream_tbEUljE_ZNSN_ISO_Lb1ESQ_SR_ST_SU_SY_EESZ_S10_S11_S12_S16_S17_S18_S1B_S1C_jS1D_jS1E_S1E_jjS1G_bEUljE0_EEESZ_S10_S11_S18_S1C_S1E_T6_T7_T9_mT8_S1G_bDpT10_ENKUlT_T0_E_clISt17integral_constantIbLb1EES1T_IbLb0EEEEDaS1P_S1Q_EUlS1P_E_NS1_11comp_targetILNS1_3genE3ELNS1_11target_archE908ELNS1_3gpuE7ELNS1_3repE0EEENS1_30default_config_static_selectorELNS0_4arch9wavefront6targetE0EEEvS12_.kd
    .uniform_work_group_size: 1
    .uses_dynamic_stack: false
    .vgpr_count:     0
    .vgpr_spill_count: 0
    .wavefront_size: 32
    .workgroup_processor_mode: 1
  - .args:
      - .offset:         0
        .size:           176
        .value_kind:     by_value
    .group_segment_fixed_size: 0
    .kernarg_segment_align: 8
    .kernarg_segment_size: 176
    .language:       OpenCL C
    .language_version:
      - 2
      - 0
    .max_flat_workgroup_size: 256
    .name:           _ZN7rocprim17ROCPRIM_400000_NS6detail17trampoline_kernelINS0_13select_configILj256ELj13ELNS0_17block_load_methodE3ELS4_3ELS4_3ELNS0_20block_scan_algorithmE0ELj4294967295EEENS1_25partition_config_selectorILNS1_17partition_subalgoE4EjNS0_10empty_typeEbEEZZNS1_14partition_implILS8_4ELb0ES6_15HIP_vector_typeIjLj2EENS0_17counting_iteratorIjlEEPS9_SG_NS0_5tupleIJPjSI_NS0_16reverse_iteratorISI_EEEEENSH_IJSG_SG_SG_EEES9_SI_JZNS1_25segmented_radix_sort_implINS0_14default_configELb1EPKiPiPKlPlN2at6native12_GLOBAL__N_18offset_tEEE10hipError_tPvRmT1_PNSt15iterator_traitsIS12_E10value_typeET2_T3_PNS13_IS18_E10value_typeET4_jRbjT5_S1E_jjP12ihipStream_tbEUljE_ZNSN_ISO_Lb1ESQ_SR_ST_SU_SY_EESZ_S10_S11_S12_S16_S17_S18_S1B_S1C_jS1D_jS1E_S1E_jjS1G_bEUljE0_EEESZ_S10_S11_S18_S1C_S1E_T6_T7_T9_mT8_S1G_bDpT10_ENKUlT_T0_E_clISt17integral_constantIbLb1EES1T_IbLb0EEEEDaS1P_S1Q_EUlS1P_E_NS1_11comp_targetILNS1_3genE2ELNS1_11target_archE906ELNS1_3gpuE6ELNS1_3repE0EEENS1_30default_config_static_selectorELNS0_4arch9wavefront6targetE0EEEvS12_
    .private_segment_fixed_size: 0
    .sgpr_count:     0
    .sgpr_spill_count: 0
    .symbol:         _ZN7rocprim17ROCPRIM_400000_NS6detail17trampoline_kernelINS0_13select_configILj256ELj13ELNS0_17block_load_methodE3ELS4_3ELS4_3ELNS0_20block_scan_algorithmE0ELj4294967295EEENS1_25partition_config_selectorILNS1_17partition_subalgoE4EjNS0_10empty_typeEbEEZZNS1_14partition_implILS8_4ELb0ES6_15HIP_vector_typeIjLj2EENS0_17counting_iteratorIjlEEPS9_SG_NS0_5tupleIJPjSI_NS0_16reverse_iteratorISI_EEEEENSH_IJSG_SG_SG_EEES9_SI_JZNS1_25segmented_radix_sort_implINS0_14default_configELb1EPKiPiPKlPlN2at6native12_GLOBAL__N_18offset_tEEE10hipError_tPvRmT1_PNSt15iterator_traitsIS12_E10value_typeET2_T3_PNS13_IS18_E10value_typeET4_jRbjT5_S1E_jjP12ihipStream_tbEUljE_ZNSN_ISO_Lb1ESQ_SR_ST_SU_SY_EESZ_S10_S11_S12_S16_S17_S18_S1B_S1C_jS1D_jS1E_S1E_jjS1G_bEUljE0_EEESZ_S10_S11_S18_S1C_S1E_T6_T7_T9_mT8_S1G_bDpT10_ENKUlT_T0_E_clISt17integral_constantIbLb1EES1T_IbLb0EEEEDaS1P_S1Q_EUlS1P_E_NS1_11comp_targetILNS1_3genE2ELNS1_11target_archE906ELNS1_3gpuE6ELNS1_3repE0EEENS1_30default_config_static_selectorELNS0_4arch9wavefront6targetE0EEEvS12_.kd
    .uniform_work_group_size: 1
    .uses_dynamic_stack: false
    .vgpr_count:     0
    .vgpr_spill_count: 0
    .wavefront_size: 32
    .workgroup_processor_mode: 1
  - .args:
      - .offset:         0
        .size:           176
        .value_kind:     by_value
    .group_segment_fixed_size: 0
    .kernarg_segment_align: 8
    .kernarg_segment_size: 176
    .language:       OpenCL C
    .language_version:
      - 2
      - 0
    .max_flat_workgroup_size: 256
    .name:           _ZN7rocprim17ROCPRIM_400000_NS6detail17trampoline_kernelINS0_13select_configILj256ELj13ELNS0_17block_load_methodE3ELS4_3ELS4_3ELNS0_20block_scan_algorithmE0ELj4294967295EEENS1_25partition_config_selectorILNS1_17partition_subalgoE4EjNS0_10empty_typeEbEEZZNS1_14partition_implILS8_4ELb0ES6_15HIP_vector_typeIjLj2EENS0_17counting_iteratorIjlEEPS9_SG_NS0_5tupleIJPjSI_NS0_16reverse_iteratorISI_EEEEENSH_IJSG_SG_SG_EEES9_SI_JZNS1_25segmented_radix_sort_implINS0_14default_configELb1EPKiPiPKlPlN2at6native12_GLOBAL__N_18offset_tEEE10hipError_tPvRmT1_PNSt15iterator_traitsIS12_E10value_typeET2_T3_PNS13_IS18_E10value_typeET4_jRbjT5_S1E_jjP12ihipStream_tbEUljE_ZNSN_ISO_Lb1ESQ_SR_ST_SU_SY_EESZ_S10_S11_S12_S16_S17_S18_S1B_S1C_jS1D_jS1E_S1E_jjS1G_bEUljE0_EEESZ_S10_S11_S18_S1C_S1E_T6_T7_T9_mT8_S1G_bDpT10_ENKUlT_T0_E_clISt17integral_constantIbLb1EES1T_IbLb0EEEEDaS1P_S1Q_EUlS1P_E_NS1_11comp_targetILNS1_3genE10ELNS1_11target_archE1200ELNS1_3gpuE4ELNS1_3repE0EEENS1_30default_config_static_selectorELNS0_4arch9wavefront6targetE0EEEvS12_
    .private_segment_fixed_size: 0
    .sgpr_count:     0
    .sgpr_spill_count: 0
    .symbol:         _ZN7rocprim17ROCPRIM_400000_NS6detail17trampoline_kernelINS0_13select_configILj256ELj13ELNS0_17block_load_methodE3ELS4_3ELS4_3ELNS0_20block_scan_algorithmE0ELj4294967295EEENS1_25partition_config_selectorILNS1_17partition_subalgoE4EjNS0_10empty_typeEbEEZZNS1_14partition_implILS8_4ELb0ES6_15HIP_vector_typeIjLj2EENS0_17counting_iteratorIjlEEPS9_SG_NS0_5tupleIJPjSI_NS0_16reverse_iteratorISI_EEEEENSH_IJSG_SG_SG_EEES9_SI_JZNS1_25segmented_radix_sort_implINS0_14default_configELb1EPKiPiPKlPlN2at6native12_GLOBAL__N_18offset_tEEE10hipError_tPvRmT1_PNSt15iterator_traitsIS12_E10value_typeET2_T3_PNS13_IS18_E10value_typeET4_jRbjT5_S1E_jjP12ihipStream_tbEUljE_ZNSN_ISO_Lb1ESQ_SR_ST_SU_SY_EESZ_S10_S11_S12_S16_S17_S18_S1B_S1C_jS1D_jS1E_S1E_jjS1G_bEUljE0_EEESZ_S10_S11_S18_S1C_S1E_T6_T7_T9_mT8_S1G_bDpT10_ENKUlT_T0_E_clISt17integral_constantIbLb1EES1T_IbLb0EEEEDaS1P_S1Q_EUlS1P_E_NS1_11comp_targetILNS1_3genE10ELNS1_11target_archE1200ELNS1_3gpuE4ELNS1_3repE0EEENS1_30default_config_static_selectorELNS0_4arch9wavefront6targetE0EEEvS12_.kd
    .uniform_work_group_size: 1
    .uses_dynamic_stack: false
    .vgpr_count:     0
    .vgpr_spill_count: 0
    .wavefront_size: 32
    .workgroup_processor_mode: 1
  - .args:
      - .offset:         0
        .size:           176
        .value_kind:     by_value
    .group_segment_fixed_size: 13340
    .kernarg_segment_align: 8
    .kernarg_segment_size: 176
    .language:       OpenCL C
    .language_version:
      - 2
      - 0
    .max_flat_workgroup_size: 256
    .name:           _ZN7rocprim17ROCPRIM_400000_NS6detail17trampoline_kernelINS0_13select_configILj256ELj13ELNS0_17block_load_methodE3ELS4_3ELS4_3ELNS0_20block_scan_algorithmE0ELj4294967295EEENS1_25partition_config_selectorILNS1_17partition_subalgoE4EjNS0_10empty_typeEbEEZZNS1_14partition_implILS8_4ELb0ES6_15HIP_vector_typeIjLj2EENS0_17counting_iteratorIjlEEPS9_SG_NS0_5tupleIJPjSI_NS0_16reverse_iteratorISI_EEEEENSH_IJSG_SG_SG_EEES9_SI_JZNS1_25segmented_radix_sort_implINS0_14default_configELb1EPKiPiPKlPlN2at6native12_GLOBAL__N_18offset_tEEE10hipError_tPvRmT1_PNSt15iterator_traitsIS12_E10value_typeET2_T3_PNS13_IS18_E10value_typeET4_jRbjT5_S1E_jjP12ihipStream_tbEUljE_ZNSN_ISO_Lb1ESQ_SR_ST_SU_SY_EESZ_S10_S11_S12_S16_S17_S18_S1B_S1C_jS1D_jS1E_S1E_jjS1G_bEUljE0_EEESZ_S10_S11_S18_S1C_S1E_T6_T7_T9_mT8_S1G_bDpT10_ENKUlT_T0_E_clISt17integral_constantIbLb1EES1T_IbLb0EEEEDaS1P_S1Q_EUlS1P_E_NS1_11comp_targetILNS1_3genE9ELNS1_11target_archE1100ELNS1_3gpuE3ELNS1_3repE0EEENS1_30default_config_static_selectorELNS0_4arch9wavefront6targetE0EEEvS12_
    .private_segment_fixed_size: 0
    .sgpr_count:     61
    .sgpr_spill_count: 0
    .symbol:         _ZN7rocprim17ROCPRIM_400000_NS6detail17trampoline_kernelINS0_13select_configILj256ELj13ELNS0_17block_load_methodE3ELS4_3ELS4_3ELNS0_20block_scan_algorithmE0ELj4294967295EEENS1_25partition_config_selectorILNS1_17partition_subalgoE4EjNS0_10empty_typeEbEEZZNS1_14partition_implILS8_4ELb0ES6_15HIP_vector_typeIjLj2EENS0_17counting_iteratorIjlEEPS9_SG_NS0_5tupleIJPjSI_NS0_16reverse_iteratorISI_EEEEENSH_IJSG_SG_SG_EEES9_SI_JZNS1_25segmented_radix_sort_implINS0_14default_configELb1EPKiPiPKlPlN2at6native12_GLOBAL__N_18offset_tEEE10hipError_tPvRmT1_PNSt15iterator_traitsIS12_E10value_typeET2_T3_PNS13_IS18_E10value_typeET4_jRbjT5_S1E_jjP12ihipStream_tbEUljE_ZNSN_ISO_Lb1ESQ_SR_ST_SU_SY_EESZ_S10_S11_S12_S16_S17_S18_S1B_S1C_jS1D_jS1E_S1E_jjS1G_bEUljE0_EEESZ_S10_S11_S18_S1C_S1E_T6_T7_T9_mT8_S1G_bDpT10_ENKUlT_T0_E_clISt17integral_constantIbLb1EES1T_IbLb0EEEEDaS1P_S1Q_EUlS1P_E_NS1_11comp_targetILNS1_3genE9ELNS1_11target_archE1100ELNS1_3gpuE3ELNS1_3repE0EEENS1_30default_config_static_selectorELNS0_4arch9wavefront6targetE0EEEvS12_.kd
    .uniform_work_group_size: 1
    .uses_dynamic_stack: false
    .vgpr_count:     98
    .vgpr_spill_count: 0
    .wavefront_size: 32
    .workgroup_processor_mode: 1
  - .args:
      - .offset:         0
        .size:           176
        .value_kind:     by_value
    .group_segment_fixed_size: 0
    .kernarg_segment_align: 8
    .kernarg_segment_size: 176
    .language:       OpenCL C
    .language_version:
      - 2
      - 0
    .max_flat_workgroup_size: 256
    .name:           _ZN7rocprim17ROCPRIM_400000_NS6detail17trampoline_kernelINS0_13select_configILj256ELj13ELNS0_17block_load_methodE3ELS4_3ELS4_3ELNS0_20block_scan_algorithmE0ELj4294967295EEENS1_25partition_config_selectorILNS1_17partition_subalgoE4EjNS0_10empty_typeEbEEZZNS1_14partition_implILS8_4ELb0ES6_15HIP_vector_typeIjLj2EENS0_17counting_iteratorIjlEEPS9_SG_NS0_5tupleIJPjSI_NS0_16reverse_iteratorISI_EEEEENSH_IJSG_SG_SG_EEES9_SI_JZNS1_25segmented_radix_sort_implINS0_14default_configELb1EPKiPiPKlPlN2at6native12_GLOBAL__N_18offset_tEEE10hipError_tPvRmT1_PNSt15iterator_traitsIS12_E10value_typeET2_T3_PNS13_IS18_E10value_typeET4_jRbjT5_S1E_jjP12ihipStream_tbEUljE_ZNSN_ISO_Lb1ESQ_SR_ST_SU_SY_EESZ_S10_S11_S12_S16_S17_S18_S1B_S1C_jS1D_jS1E_S1E_jjS1G_bEUljE0_EEESZ_S10_S11_S18_S1C_S1E_T6_T7_T9_mT8_S1G_bDpT10_ENKUlT_T0_E_clISt17integral_constantIbLb1EES1T_IbLb0EEEEDaS1P_S1Q_EUlS1P_E_NS1_11comp_targetILNS1_3genE8ELNS1_11target_archE1030ELNS1_3gpuE2ELNS1_3repE0EEENS1_30default_config_static_selectorELNS0_4arch9wavefront6targetE0EEEvS12_
    .private_segment_fixed_size: 0
    .sgpr_count:     0
    .sgpr_spill_count: 0
    .symbol:         _ZN7rocprim17ROCPRIM_400000_NS6detail17trampoline_kernelINS0_13select_configILj256ELj13ELNS0_17block_load_methodE3ELS4_3ELS4_3ELNS0_20block_scan_algorithmE0ELj4294967295EEENS1_25partition_config_selectorILNS1_17partition_subalgoE4EjNS0_10empty_typeEbEEZZNS1_14partition_implILS8_4ELb0ES6_15HIP_vector_typeIjLj2EENS0_17counting_iteratorIjlEEPS9_SG_NS0_5tupleIJPjSI_NS0_16reverse_iteratorISI_EEEEENSH_IJSG_SG_SG_EEES9_SI_JZNS1_25segmented_radix_sort_implINS0_14default_configELb1EPKiPiPKlPlN2at6native12_GLOBAL__N_18offset_tEEE10hipError_tPvRmT1_PNSt15iterator_traitsIS12_E10value_typeET2_T3_PNS13_IS18_E10value_typeET4_jRbjT5_S1E_jjP12ihipStream_tbEUljE_ZNSN_ISO_Lb1ESQ_SR_ST_SU_SY_EESZ_S10_S11_S12_S16_S17_S18_S1B_S1C_jS1D_jS1E_S1E_jjS1G_bEUljE0_EEESZ_S10_S11_S18_S1C_S1E_T6_T7_T9_mT8_S1G_bDpT10_ENKUlT_T0_E_clISt17integral_constantIbLb1EES1T_IbLb0EEEEDaS1P_S1Q_EUlS1P_E_NS1_11comp_targetILNS1_3genE8ELNS1_11target_archE1030ELNS1_3gpuE2ELNS1_3repE0EEENS1_30default_config_static_selectorELNS0_4arch9wavefront6targetE0EEEvS12_.kd
    .uniform_work_group_size: 1
    .uses_dynamic_stack: false
    .vgpr_count:     0
    .vgpr_spill_count: 0
    .wavefront_size: 32
    .workgroup_processor_mode: 1
  - .args:
      - .offset:         0
        .size:           184
        .value_kind:     by_value
    .group_segment_fixed_size: 0
    .kernarg_segment_align: 8
    .kernarg_segment_size: 184
    .language:       OpenCL C
    .language_version:
      - 2
      - 0
    .max_flat_workgroup_size: 256
    .name:           _ZN7rocprim17ROCPRIM_400000_NS6detail17trampoline_kernelINS0_13select_configILj256ELj13ELNS0_17block_load_methodE3ELS4_3ELS4_3ELNS0_20block_scan_algorithmE0ELj4294967295EEENS1_25partition_config_selectorILNS1_17partition_subalgoE4EjNS0_10empty_typeEbEEZZNS1_14partition_implILS8_4ELb0ES6_15HIP_vector_typeIjLj2EENS0_17counting_iteratorIjlEEPS9_SG_NS0_5tupleIJPjSI_NS0_16reverse_iteratorISI_EEEEENSH_IJSG_SG_SG_EEES9_SI_JZNS1_25segmented_radix_sort_implINS0_14default_configELb1EPKiPiPKlPlN2at6native12_GLOBAL__N_18offset_tEEE10hipError_tPvRmT1_PNSt15iterator_traitsIS12_E10value_typeET2_T3_PNS13_IS18_E10value_typeET4_jRbjT5_S1E_jjP12ihipStream_tbEUljE_ZNSN_ISO_Lb1ESQ_SR_ST_SU_SY_EESZ_S10_S11_S12_S16_S17_S18_S1B_S1C_jS1D_jS1E_S1E_jjS1G_bEUljE0_EEESZ_S10_S11_S18_S1C_S1E_T6_T7_T9_mT8_S1G_bDpT10_ENKUlT_T0_E_clISt17integral_constantIbLb0EES1T_IbLb1EEEEDaS1P_S1Q_EUlS1P_E_NS1_11comp_targetILNS1_3genE0ELNS1_11target_archE4294967295ELNS1_3gpuE0ELNS1_3repE0EEENS1_30default_config_static_selectorELNS0_4arch9wavefront6targetE0EEEvS12_
    .private_segment_fixed_size: 0
    .sgpr_count:     0
    .sgpr_spill_count: 0
    .symbol:         _ZN7rocprim17ROCPRIM_400000_NS6detail17trampoline_kernelINS0_13select_configILj256ELj13ELNS0_17block_load_methodE3ELS4_3ELS4_3ELNS0_20block_scan_algorithmE0ELj4294967295EEENS1_25partition_config_selectorILNS1_17partition_subalgoE4EjNS0_10empty_typeEbEEZZNS1_14partition_implILS8_4ELb0ES6_15HIP_vector_typeIjLj2EENS0_17counting_iteratorIjlEEPS9_SG_NS0_5tupleIJPjSI_NS0_16reverse_iteratorISI_EEEEENSH_IJSG_SG_SG_EEES9_SI_JZNS1_25segmented_radix_sort_implINS0_14default_configELb1EPKiPiPKlPlN2at6native12_GLOBAL__N_18offset_tEEE10hipError_tPvRmT1_PNSt15iterator_traitsIS12_E10value_typeET2_T3_PNS13_IS18_E10value_typeET4_jRbjT5_S1E_jjP12ihipStream_tbEUljE_ZNSN_ISO_Lb1ESQ_SR_ST_SU_SY_EESZ_S10_S11_S12_S16_S17_S18_S1B_S1C_jS1D_jS1E_S1E_jjS1G_bEUljE0_EEESZ_S10_S11_S18_S1C_S1E_T6_T7_T9_mT8_S1G_bDpT10_ENKUlT_T0_E_clISt17integral_constantIbLb0EES1T_IbLb1EEEEDaS1P_S1Q_EUlS1P_E_NS1_11comp_targetILNS1_3genE0ELNS1_11target_archE4294967295ELNS1_3gpuE0ELNS1_3repE0EEENS1_30default_config_static_selectorELNS0_4arch9wavefront6targetE0EEEvS12_.kd
    .uniform_work_group_size: 1
    .uses_dynamic_stack: false
    .vgpr_count:     0
    .vgpr_spill_count: 0
    .wavefront_size: 32
    .workgroup_processor_mode: 1
  - .args:
      - .offset:         0
        .size:           184
        .value_kind:     by_value
    .group_segment_fixed_size: 0
    .kernarg_segment_align: 8
    .kernarg_segment_size: 184
    .language:       OpenCL C
    .language_version:
      - 2
      - 0
    .max_flat_workgroup_size: 256
    .name:           _ZN7rocprim17ROCPRIM_400000_NS6detail17trampoline_kernelINS0_13select_configILj256ELj13ELNS0_17block_load_methodE3ELS4_3ELS4_3ELNS0_20block_scan_algorithmE0ELj4294967295EEENS1_25partition_config_selectorILNS1_17partition_subalgoE4EjNS0_10empty_typeEbEEZZNS1_14partition_implILS8_4ELb0ES6_15HIP_vector_typeIjLj2EENS0_17counting_iteratorIjlEEPS9_SG_NS0_5tupleIJPjSI_NS0_16reverse_iteratorISI_EEEEENSH_IJSG_SG_SG_EEES9_SI_JZNS1_25segmented_radix_sort_implINS0_14default_configELb1EPKiPiPKlPlN2at6native12_GLOBAL__N_18offset_tEEE10hipError_tPvRmT1_PNSt15iterator_traitsIS12_E10value_typeET2_T3_PNS13_IS18_E10value_typeET4_jRbjT5_S1E_jjP12ihipStream_tbEUljE_ZNSN_ISO_Lb1ESQ_SR_ST_SU_SY_EESZ_S10_S11_S12_S16_S17_S18_S1B_S1C_jS1D_jS1E_S1E_jjS1G_bEUljE0_EEESZ_S10_S11_S18_S1C_S1E_T6_T7_T9_mT8_S1G_bDpT10_ENKUlT_T0_E_clISt17integral_constantIbLb0EES1T_IbLb1EEEEDaS1P_S1Q_EUlS1P_E_NS1_11comp_targetILNS1_3genE5ELNS1_11target_archE942ELNS1_3gpuE9ELNS1_3repE0EEENS1_30default_config_static_selectorELNS0_4arch9wavefront6targetE0EEEvS12_
    .private_segment_fixed_size: 0
    .sgpr_count:     0
    .sgpr_spill_count: 0
    .symbol:         _ZN7rocprim17ROCPRIM_400000_NS6detail17trampoline_kernelINS0_13select_configILj256ELj13ELNS0_17block_load_methodE3ELS4_3ELS4_3ELNS0_20block_scan_algorithmE0ELj4294967295EEENS1_25partition_config_selectorILNS1_17partition_subalgoE4EjNS0_10empty_typeEbEEZZNS1_14partition_implILS8_4ELb0ES6_15HIP_vector_typeIjLj2EENS0_17counting_iteratorIjlEEPS9_SG_NS0_5tupleIJPjSI_NS0_16reverse_iteratorISI_EEEEENSH_IJSG_SG_SG_EEES9_SI_JZNS1_25segmented_radix_sort_implINS0_14default_configELb1EPKiPiPKlPlN2at6native12_GLOBAL__N_18offset_tEEE10hipError_tPvRmT1_PNSt15iterator_traitsIS12_E10value_typeET2_T3_PNS13_IS18_E10value_typeET4_jRbjT5_S1E_jjP12ihipStream_tbEUljE_ZNSN_ISO_Lb1ESQ_SR_ST_SU_SY_EESZ_S10_S11_S12_S16_S17_S18_S1B_S1C_jS1D_jS1E_S1E_jjS1G_bEUljE0_EEESZ_S10_S11_S18_S1C_S1E_T6_T7_T9_mT8_S1G_bDpT10_ENKUlT_T0_E_clISt17integral_constantIbLb0EES1T_IbLb1EEEEDaS1P_S1Q_EUlS1P_E_NS1_11comp_targetILNS1_3genE5ELNS1_11target_archE942ELNS1_3gpuE9ELNS1_3repE0EEENS1_30default_config_static_selectorELNS0_4arch9wavefront6targetE0EEEvS12_.kd
    .uniform_work_group_size: 1
    .uses_dynamic_stack: false
    .vgpr_count:     0
    .vgpr_spill_count: 0
    .wavefront_size: 32
    .workgroup_processor_mode: 1
  - .args:
      - .offset:         0
        .size:           184
        .value_kind:     by_value
    .group_segment_fixed_size: 0
    .kernarg_segment_align: 8
    .kernarg_segment_size: 184
    .language:       OpenCL C
    .language_version:
      - 2
      - 0
    .max_flat_workgroup_size: 256
    .name:           _ZN7rocprim17ROCPRIM_400000_NS6detail17trampoline_kernelINS0_13select_configILj256ELj13ELNS0_17block_load_methodE3ELS4_3ELS4_3ELNS0_20block_scan_algorithmE0ELj4294967295EEENS1_25partition_config_selectorILNS1_17partition_subalgoE4EjNS0_10empty_typeEbEEZZNS1_14partition_implILS8_4ELb0ES6_15HIP_vector_typeIjLj2EENS0_17counting_iteratorIjlEEPS9_SG_NS0_5tupleIJPjSI_NS0_16reverse_iteratorISI_EEEEENSH_IJSG_SG_SG_EEES9_SI_JZNS1_25segmented_radix_sort_implINS0_14default_configELb1EPKiPiPKlPlN2at6native12_GLOBAL__N_18offset_tEEE10hipError_tPvRmT1_PNSt15iterator_traitsIS12_E10value_typeET2_T3_PNS13_IS18_E10value_typeET4_jRbjT5_S1E_jjP12ihipStream_tbEUljE_ZNSN_ISO_Lb1ESQ_SR_ST_SU_SY_EESZ_S10_S11_S12_S16_S17_S18_S1B_S1C_jS1D_jS1E_S1E_jjS1G_bEUljE0_EEESZ_S10_S11_S18_S1C_S1E_T6_T7_T9_mT8_S1G_bDpT10_ENKUlT_T0_E_clISt17integral_constantIbLb0EES1T_IbLb1EEEEDaS1P_S1Q_EUlS1P_E_NS1_11comp_targetILNS1_3genE4ELNS1_11target_archE910ELNS1_3gpuE8ELNS1_3repE0EEENS1_30default_config_static_selectorELNS0_4arch9wavefront6targetE0EEEvS12_
    .private_segment_fixed_size: 0
    .sgpr_count:     0
    .sgpr_spill_count: 0
    .symbol:         _ZN7rocprim17ROCPRIM_400000_NS6detail17trampoline_kernelINS0_13select_configILj256ELj13ELNS0_17block_load_methodE3ELS4_3ELS4_3ELNS0_20block_scan_algorithmE0ELj4294967295EEENS1_25partition_config_selectorILNS1_17partition_subalgoE4EjNS0_10empty_typeEbEEZZNS1_14partition_implILS8_4ELb0ES6_15HIP_vector_typeIjLj2EENS0_17counting_iteratorIjlEEPS9_SG_NS0_5tupleIJPjSI_NS0_16reverse_iteratorISI_EEEEENSH_IJSG_SG_SG_EEES9_SI_JZNS1_25segmented_radix_sort_implINS0_14default_configELb1EPKiPiPKlPlN2at6native12_GLOBAL__N_18offset_tEEE10hipError_tPvRmT1_PNSt15iterator_traitsIS12_E10value_typeET2_T3_PNS13_IS18_E10value_typeET4_jRbjT5_S1E_jjP12ihipStream_tbEUljE_ZNSN_ISO_Lb1ESQ_SR_ST_SU_SY_EESZ_S10_S11_S12_S16_S17_S18_S1B_S1C_jS1D_jS1E_S1E_jjS1G_bEUljE0_EEESZ_S10_S11_S18_S1C_S1E_T6_T7_T9_mT8_S1G_bDpT10_ENKUlT_T0_E_clISt17integral_constantIbLb0EES1T_IbLb1EEEEDaS1P_S1Q_EUlS1P_E_NS1_11comp_targetILNS1_3genE4ELNS1_11target_archE910ELNS1_3gpuE8ELNS1_3repE0EEENS1_30default_config_static_selectorELNS0_4arch9wavefront6targetE0EEEvS12_.kd
    .uniform_work_group_size: 1
    .uses_dynamic_stack: false
    .vgpr_count:     0
    .vgpr_spill_count: 0
    .wavefront_size: 32
    .workgroup_processor_mode: 1
  - .args:
      - .offset:         0
        .size:           184
        .value_kind:     by_value
    .group_segment_fixed_size: 0
    .kernarg_segment_align: 8
    .kernarg_segment_size: 184
    .language:       OpenCL C
    .language_version:
      - 2
      - 0
    .max_flat_workgroup_size: 256
    .name:           _ZN7rocprim17ROCPRIM_400000_NS6detail17trampoline_kernelINS0_13select_configILj256ELj13ELNS0_17block_load_methodE3ELS4_3ELS4_3ELNS0_20block_scan_algorithmE0ELj4294967295EEENS1_25partition_config_selectorILNS1_17partition_subalgoE4EjNS0_10empty_typeEbEEZZNS1_14partition_implILS8_4ELb0ES6_15HIP_vector_typeIjLj2EENS0_17counting_iteratorIjlEEPS9_SG_NS0_5tupleIJPjSI_NS0_16reverse_iteratorISI_EEEEENSH_IJSG_SG_SG_EEES9_SI_JZNS1_25segmented_radix_sort_implINS0_14default_configELb1EPKiPiPKlPlN2at6native12_GLOBAL__N_18offset_tEEE10hipError_tPvRmT1_PNSt15iterator_traitsIS12_E10value_typeET2_T3_PNS13_IS18_E10value_typeET4_jRbjT5_S1E_jjP12ihipStream_tbEUljE_ZNSN_ISO_Lb1ESQ_SR_ST_SU_SY_EESZ_S10_S11_S12_S16_S17_S18_S1B_S1C_jS1D_jS1E_S1E_jjS1G_bEUljE0_EEESZ_S10_S11_S18_S1C_S1E_T6_T7_T9_mT8_S1G_bDpT10_ENKUlT_T0_E_clISt17integral_constantIbLb0EES1T_IbLb1EEEEDaS1P_S1Q_EUlS1P_E_NS1_11comp_targetILNS1_3genE3ELNS1_11target_archE908ELNS1_3gpuE7ELNS1_3repE0EEENS1_30default_config_static_selectorELNS0_4arch9wavefront6targetE0EEEvS12_
    .private_segment_fixed_size: 0
    .sgpr_count:     0
    .sgpr_spill_count: 0
    .symbol:         _ZN7rocprim17ROCPRIM_400000_NS6detail17trampoline_kernelINS0_13select_configILj256ELj13ELNS0_17block_load_methodE3ELS4_3ELS4_3ELNS0_20block_scan_algorithmE0ELj4294967295EEENS1_25partition_config_selectorILNS1_17partition_subalgoE4EjNS0_10empty_typeEbEEZZNS1_14partition_implILS8_4ELb0ES6_15HIP_vector_typeIjLj2EENS0_17counting_iteratorIjlEEPS9_SG_NS0_5tupleIJPjSI_NS0_16reverse_iteratorISI_EEEEENSH_IJSG_SG_SG_EEES9_SI_JZNS1_25segmented_radix_sort_implINS0_14default_configELb1EPKiPiPKlPlN2at6native12_GLOBAL__N_18offset_tEEE10hipError_tPvRmT1_PNSt15iterator_traitsIS12_E10value_typeET2_T3_PNS13_IS18_E10value_typeET4_jRbjT5_S1E_jjP12ihipStream_tbEUljE_ZNSN_ISO_Lb1ESQ_SR_ST_SU_SY_EESZ_S10_S11_S12_S16_S17_S18_S1B_S1C_jS1D_jS1E_S1E_jjS1G_bEUljE0_EEESZ_S10_S11_S18_S1C_S1E_T6_T7_T9_mT8_S1G_bDpT10_ENKUlT_T0_E_clISt17integral_constantIbLb0EES1T_IbLb1EEEEDaS1P_S1Q_EUlS1P_E_NS1_11comp_targetILNS1_3genE3ELNS1_11target_archE908ELNS1_3gpuE7ELNS1_3repE0EEENS1_30default_config_static_selectorELNS0_4arch9wavefront6targetE0EEEvS12_.kd
    .uniform_work_group_size: 1
    .uses_dynamic_stack: false
    .vgpr_count:     0
    .vgpr_spill_count: 0
    .wavefront_size: 32
    .workgroup_processor_mode: 1
  - .args:
      - .offset:         0
        .size:           184
        .value_kind:     by_value
    .group_segment_fixed_size: 0
    .kernarg_segment_align: 8
    .kernarg_segment_size: 184
    .language:       OpenCL C
    .language_version:
      - 2
      - 0
    .max_flat_workgroup_size: 256
    .name:           _ZN7rocprim17ROCPRIM_400000_NS6detail17trampoline_kernelINS0_13select_configILj256ELj13ELNS0_17block_load_methodE3ELS4_3ELS4_3ELNS0_20block_scan_algorithmE0ELj4294967295EEENS1_25partition_config_selectorILNS1_17partition_subalgoE4EjNS0_10empty_typeEbEEZZNS1_14partition_implILS8_4ELb0ES6_15HIP_vector_typeIjLj2EENS0_17counting_iteratorIjlEEPS9_SG_NS0_5tupleIJPjSI_NS0_16reverse_iteratorISI_EEEEENSH_IJSG_SG_SG_EEES9_SI_JZNS1_25segmented_radix_sort_implINS0_14default_configELb1EPKiPiPKlPlN2at6native12_GLOBAL__N_18offset_tEEE10hipError_tPvRmT1_PNSt15iterator_traitsIS12_E10value_typeET2_T3_PNS13_IS18_E10value_typeET4_jRbjT5_S1E_jjP12ihipStream_tbEUljE_ZNSN_ISO_Lb1ESQ_SR_ST_SU_SY_EESZ_S10_S11_S12_S16_S17_S18_S1B_S1C_jS1D_jS1E_S1E_jjS1G_bEUljE0_EEESZ_S10_S11_S18_S1C_S1E_T6_T7_T9_mT8_S1G_bDpT10_ENKUlT_T0_E_clISt17integral_constantIbLb0EES1T_IbLb1EEEEDaS1P_S1Q_EUlS1P_E_NS1_11comp_targetILNS1_3genE2ELNS1_11target_archE906ELNS1_3gpuE6ELNS1_3repE0EEENS1_30default_config_static_selectorELNS0_4arch9wavefront6targetE0EEEvS12_
    .private_segment_fixed_size: 0
    .sgpr_count:     0
    .sgpr_spill_count: 0
    .symbol:         _ZN7rocprim17ROCPRIM_400000_NS6detail17trampoline_kernelINS0_13select_configILj256ELj13ELNS0_17block_load_methodE3ELS4_3ELS4_3ELNS0_20block_scan_algorithmE0ELj4294967295EEENS1_25partition_config_selectorILNS1_17partition_subalgoE4EjNS0_10empty_typeEbEEZZNS1_14partition_implILS8_4ELb0ES6_15HIP_vector_typeIjLj2EENS0_17counting_iteratorIjlEEPS9_SG_NS0_5tupleIJPjSI_NS0_16reverse_iteratorISI_EEEEENSH_IJSG_SG_SG_EEES9_SI_JZNS1_25segmented_radix_sort_implINS0_14default_configELb1EPKiPiPKlPlN2at6native12_GLOBAL__N_18offset_tEEE10hipError_tPvRmT1_PNSt15iterator_traitsIS12_E10value_typeET2_T3_PNS13_IS18_E10value_typeET4_jRbjT5_S1E_jjP12ihipStream_tbEUljE_ZNSN_ISO_Lb1ESQ_SR_ST_SU_SY_EESZ_S10_S11_S12_S16_S17_S18_S1B_S1C_jS1D_jS1E_S1E_jjS1G_bEUljE0_EEESZ_S10_S11_S18_S1C_S1E_T6_T7_T9_mT8_S1G_bDpT10_ENKUlT_T0_E_clISt17integral_constantIbLb0EES1T_IbLb1EEEEDaS1P_S1Q_EUlS1P_E_NS1_11comp_targetILNS1_3genE2ELNS1_11target_archE906ELNS1_3gpuE6ELNS1_3repE0EEENS1_30default_config_static_selectorELNS0_4arch9wavefront6targetE0EEEvS12_.kd
    .uniform_work_group_size: 1
    .uses_dynamic_stack: false
    .vgpr_count:     0
    .vgpr_spill_count: 0
    .wavefront_size: 32
    .workgroup_processor_mode: 1
  - .args:
      - .offset:         0
        .size:           184
        .value_kind:     by_value
    .group_segment_fixed_size: 0
    .kernarg_segment_align: 8
    .kernarg_segment_size: 184
    .language:       OpenCL C
    .language_version:
      - 2
      - 0
    .max_flat_workgroup_size: 256
    .name:           _ZN7rocprim17ROCPRIM_400000_NS6detail17trampoline_kernelINS0_13select_configILj256ELj13ELNS0_17block_load_methodE3ELS4_3ELS4_3ELNS0_20block_scan_algorithmE0ELj4294967295EEENS1_25partition_config_selectorILNS1_17partition_subalgoE4EjNS0_10empty_typeEbEEZZNS1_14partition_implILS8_4ELb0ES6_15HIP_vector_typeIjLj2EENS0_17counting_iteratorIjlEEPS9_SG_NS0_5tupleIJPjSI_NS0_16reverse_iteratorISI_EEEEENSH_IJSG_SG_SG_EEES9_SI_JZNS1_25segmented_radix_sort_implINS0_14default_configELb1EPKiPiPKlPlN2at6native12_GLOBAL__N_18offset_tEEE10hipError_tPvRmT1_PNSt15iterator_traitsIS12_E10value_typeET2_T3_PNS13_IS18_E10value_typeET4_jRbjT5_S1E_jjP12ihipStream_tbEUljE_ZNSN_ISO_Lb1ESQ_SR_ST_SU_SY_EESZ_S10_S11_S12_S16_S17_S18_S1B_S1C_jS1D_jS1E_S1E_jjS1G_bEUljE0_EEESZ_S10_S11_S18_S1C_S1E_T6_T7_T9_mT8_S1G_bDpT10_ENKUlT_T0_E_clISt17integral_constantIbLb0EES1T_IbLb1EEEEDaS1P_S1Q_EUlS1P_E_NS1_11comp_targetILNS1_3genE10ELNS1_11target_archE1200ELNS1_3gpuE4ELNS1_3repE0EEENS1_30default_config_static_selectorELNS0_4arch9wavefront6targetE0EEEvS12_
    .private_segment_fixed_size: 0
    .sgpr_count:     0
    .sgpr_spill_count: 0
    .symbol:         _ZN7rocprim17ROCPRIM_400000_NS6detail17trampoline_kernelINS0_13select_configILj256ELj13ELNS0_17block_load_methodE3ELS4_3ELS4_3ELNS0_20block_scan_algorithmE0ELj4294967295EEENS1_25partition_config_selectorILNS1_17partition_subalgoE4EjNS0_10empty_typeEbEEZZNS1_14partition_implILS8_4ELb0ES6_15HIP_vector_typeIjLj2EENS0_17counting_iteratorIjlEEPS9_SG_NS0_5tupleIJPjSI_NS0_16reverse_iteratorISI_EEEEENSH_IJSG_SG_SG_EEES9_SI_JZNS1_25segmented_radix_sort_implINS0_14default_configELb1EPKiPiPKlPlN2at6native12_GLOBAL__N_18offset_tEEE10hipError_tPvRmT1_PNSt15iterator_traitsIS12_E10value_typeET2_T3_PNS13_IS18_E10value_typeET4_jRbjT5_S1E_jjP12ihipStream_tbEUljE_ZNSN_ISO_Lb1ESQ_SR_ST_SU_SY_EESZ_S10_S11_S12_S16_S17_S18_S1B_S1C_jS1D_jS1E_S1E_jjS1G_bEUljE0_EEESZ_S10_S11_S18_S1C_S1E_T6_T7_T9_mT8_S1G_bDpT10_ENKUlT_T0_E_clISt17integral_constantIbLb0EES1T_IbLb1EEEEDaS1P_S1Q_EUlS1P_E_NS1_11comp_targetILNS1_3genE10ELNS1_11target_archE1200ELNS1_3gpuE4ELNS1_3repE0EEENS1_30default_config_static_selectorELNS0_4arch9wavefront6targetE0EEEvS12_.kd
    .uniform_work_group_size: 1
    .uses_dynamic_stack: false
    .vgpr_count:     0
    .vgpr_spill_count: 0
    .wavefront_size: 32
    .workgroup_processor_mode: 1
  - .args:
      - .offset:         0
        .size:           184
        .value_kind:     by_value
    .group_segment_fixed_size: 13340
    .kernarg_segment_align: 8
    .kernarg_segment_size: 184
    .language:       OpenCL C
    .language_version:
      - 2
      - 0
    .max_flat_workgroup_size: 256
    .name:           _ZN7rocprim17ROCPRIM_400000_NS6detail17trampoline_kernelINS0_13select_configILj256ELj13ELNS0_17block_load_methodE3ELS4_3ELS4_3ELNS0_20block_scan_algorithmE0ELj4294967295EEENS1_25partition_config_selectorILNS1_17partition_subalgoE4EjNS0_10empty_typeEbEEZZNS1_14partition_implILS8_4ELb0ES6_15HIP_vector_typeIjLj2EENS0_17counting_iteratorIjlEEPS9_SG_NS0_5tupleIJPjSI_NS0_16reverse_iteratorISI_EEEEENSH_IJSG_SG_SG_EEES9_SI_JZNS1_25segmented_radix_sort_implINS0_14default_configELb1EPKiPiPKlPlN2at6native12_GLOBAL__N_18offset_tEEE10hipError_tPvRmT1_PNSt15iterator_traitsIS12_E10value_typeET2_T3_PNS13_IS18_E10value_typeET4_jRbjT5_S1E_jjP12ihipStream_tbEUljE_ZNSN_ISO_Lb1ESQ_SR_ST_SU_SY_EESZ_S10_S11_S12_S16_S17_S18_S1B_S1C_jS1D_jS1E_S1E_jjS1G_bEUljE0_EEESZ_S10_S11_S18_S1C_S1E_T6_T7_T9_mT8_S1G_bDpT10_ENKUlT_T0_E_clISt17integral_constantIbLb0EES1T_IbLb1EEEEDaS1P_S1Q_EUlS1P_E_NS1_11comp_targetILNS1_3genE9ELNS1_11target_archE1100ELNS1_3gpuE3ELNS1_3repE0EEENS1_30default_config_static_selectorELNS0_4arch9wavefront6targetE0EEEvS12_
    .private_segment_fixed_size: 0
    .sgpr_count:     57
    .sgpr_spill_count: 0
    .symbol:         _ZN7rocprim17ROCPRIM_400000_NS6detail17trampoline_kernelINS0_13select_configILj256ELj13ELNS0_17block_load_methodE3ELS4_3ELS4_3ELNS0_20block_scan_algorithmE0ELj4294967295EEENS1_25partition_config_selectorILNS1_17partition_subalgoE4EjNS0_10empty_typeEbEEZZNS1_14partition_implILS8_4ELb0ES6_15HIP_vector_typeIjLj2EENS0_17counting_iteratorIjlEEPS9_SG_NS0_5tupleIJPjSI_NS0_16reverse_iteratorISI_EEEEENSH_IJSG_SG_SG_EEES9_SI_JZNS1_25segmented_radix_sort_implINS0_14default_configELb1EPKiPiPKlPlN2at6native12_GLOBAL__N_18offset_tEEE10hipError_tPvRmT1_PNSt15iterator_traitsIS12_E10value_typeET2_T3_PNS13_IS18_E10value_typeET4_jRbjT5_S1E_jjP12ihipStream_tbEUljE_ZNSN_ISO_Lb1ESQ_SR_ST_SU_SY_EESZ_S10_S11_S12_S16_S17_S18_S1B_S1C_jS1D_jS1E_S1E_jjS1G_bEUljE0_EEESZ_S10_S11_S18_S1C_S1E_T6_T7_T9_mT8_S1G_bDpT10_ENKUlT_T0_E_clISt17integral_constantIbLb0EES1T_IbLb1EEEEDaS1P_S1Q_EUlS1P_E_NS1_11comp_targetILNS1_3genE9ELNS1_11target_archE1100ELNS1_3gpuE3ELNS1_3repE0EEENS1_30default_config_static_selectorELNS0_4arch9wavefront6targetE0EEEvS12_.kd
    .uniform_work_group_size: 1
    .uses_dynamic_stack: false
    .vgpr_count:     103
    .vgpr_spill_count: 0
    .wavefront_size: 32
    .workgroup_processor_mode: 1
  - .args:
      - .offset:         0
        .size:           184
        .value_kind:     by_value
    .group_segment_fixed_size: 0
    .kernarg_segment_align: 8
    .kernarg_segment_size: 184
    .language:       OpenCL C
    .language_version:
      - 2
      - 0
    .max_flat_workgroup_size: 256
    .name:           _ZN7rocprim17ROCPRIM_400000_NS6detail17trampoline_kernelINS0_13select_configILj256ELj13ELNS0_17block_load_methodE3ELS4_3ELS4_3ELNS0_20block_scan_algorithmE0ELj4294967295EEENS1_25partition_config_selectorILNS1_17partition_subalgoE4EjNS0_10empty_typeEbEEZZNS1_14partition_implILS8_4ELb0ES6_15HIP_vector_typeIjLj2EENS0_17counting_iteratorIjlEEPS9_SG_NS0_5tupleIJPjSI_NS0_16reverse_iteratorISI_EEEEENSH_IJSG_SG_SG_EEES9_SI_JZNS1_25segmented_radix_sort_implINS0_14default_configELb1EPKiPiPKlPlN2at6native12_GLOBAL__N_18offset_tEEE10hipError_tPvRmT1_PNSt15iterator_traitsIS12_E10value_typeET2_T3_PNS13_IS18_E10value_typeET4_jRbjT5_S1E_jjP12ihipStream_tbEUljE_ZNSN_ISO_Lb1ESQ_SR_ST_SU_SY_EESZ_S10_S11_S12_S16_S17_S18_S1B_S1C_jS1D_jS1E_S1E_jjS1G_bEUljE0_EEESZ_S10_S11_S18_S1C_S1E_T6_T7_T9_mT8_S1G_bDpT10_ENKUlT_T0_E_clISt17integral_constantIbLb0EES1T_IbLb1EEEEDaS1P_S1Q_EUlS1P_E_NS1_11comp_targetILNS1_3genE8ELNS1_11target_archE1030ELNS1_3gpuE2ELNS1_3repE0EEENS1_30default_config_static_selectorELNS0_4arch9wavefront6targetE0EEEvS12_
    .private_segment_fixed_size: 0
    .sgpr_count:     0
    .sgpr_spill_count: 0
    .symbol:         _ZN7rocprim17ROCPRIM_400000_NS6detail17trampoline_kernelINS0_13select_configILj256ELj13ELNS0_17block_load_methodE3ELS4_3ELS4_3ELNS0_20block_scan_algorithmE0ELj4294967295EEENS1_25partition_config_selectorILNS1_17partition_subalgoE4EjNS0_10empty_typeEbEEZZNS1_14partition_implILS8_4ELb0ES6_15HIP_vector_typeIjLj2EENS0_17counting_iteratorIjlEEPS9_SG_NS0_5tupleIJPjSI_NS0_16reverse_iteratorISI_EEEEENSH_IJSG_SG_SG_EEES9_SI_JZNS1_25segmented_radix_sort_implINS0_14default_configELb1EPKiPiPKlPlN2at6native12_GLOBAL__N_18offset_tEEE10hipError_tPvRmT1_PNSt15iterator_traitsIS12_E10value_typeET2_T3_PNS13_IS18_E10value_typeET4_jRbjT5_S1E_jjP12ihipStream_tbEUljE_ZNSN_ISO_Lb1ESQ_SR_ST_SU_SY_EESZ_S10_S11_S12_S16_S17_S18_S1B_S1C_jS1D_jS1E_S1E_jjS1G_bEUljE0_EEESZ_S10_S11_S18_S1C_S1E_T6_T7_T9_mT8_S1G_bDpT10_ENKUlT_T0_E_clISt17integral_constantIbLb0EES1T_IbLb1EEEEDaS1P_S1Q_EUlS1P_E_NS1_11comp_targetILNS1_3genE8ELNS1_11target_archE1030ELNS1_3gpuE2ELNS1_3repE0EEENS1_30default_config_static_selectorELNS0_4arch9wavefront6targetE0EEEvS12_.kd
    .uniform_work_group_size: 1
    .uses_dynamic_stack: false
    .vgpr_count:     0
    .vgpr_spill_count: 0
    .wavefront_size: 32
    .workgroup_processor_mode: 1
  - .args:
      - .offset:         0
        .size:           144
        .value_kind:     by_value
    .group_segment_fixed_size: 0
    .kernarg_segment_align: 8
    .kernarg_segment_size: 144
    .language:       OpenCL C
    .language_version:
      - 2
      - 0
    .max_flat_workgroup_size: 256
    .name:           _ZN7rocprim17ROCPRIM_400000_NS6detail17trampoline_kernelINS0_13select_configILj256ELj13ELNS0_17block_load_methodE3ELS4_3ELS4_3ELNS0_20block_scan_algorithmE0ELj4294967295EEENS1_25partition_config_selectorILNS1_17partition_subalgoE3EjNS0_10empty_typeEbEEZZNS1_14partition_implILS8_3ELb0ES6_jNS0_17counting_iteratorIjlEEPS9_SE_NS0_5tupleIJPjSE_EEENSF_IJSE_SE_EEES9_SG_JZNS1_25segmented_radix_sort_implINS0_14default_configELb1EPKiPiPKlPlN2at6native12_GLOBAL__N_18offset_tEEE10hipError_tPvRmT1_PNSt15iterator_traitsISY_E10value_typeET2_T3_PNSZ_IS14_E10value_typeET4_jRbjT5_S1A_jjP12ihipStream_tbEUljE_EEESV_SW_SX_S14_S18_S1A_T6_T7_T9_mT8_S1C_bDpT10_ENKUlT_T0_E_clISt17integral_constantIbLb0EES1P_EEDaS1K_S1L_EUlS1K_E_NS1_11comp_targetILNS1_3genE0ELNS1_11target_archE4294967295ELNS1_3gpuE0ELNS1_3repE0EEENS1_30default_config_static_selectorELNS0_4arch9wavefront6targetE0EEEvSY_
    .private_segment_fixed_size: 0
    .sgpr_count:     0
    .sgpr_spill_count: 0
    .symbol:         _ZN7rocprim17ROCPRIM_400000_NS6detail17trampoline_kernelINS0_13select_configILj256ELj13ELNS0_17block_load_methodE3ELS4_3ELS4_3ELNS0_20block_scan_algorithmE0ELj4294967295EEENS1_25partition_config_selectorILNS1_17partition_subalgoE3EjNS0_10empty_typeEbEEZZNS1_14partition_implILS8_3ELb0ES6_jNS0_17counting_iteratorIjlEEPS9_SE_NS0_5tupleIJPjSE_EEENSF_IJSE_SE_EEES9_SG_JZNS1_25segmented_radix_sort_implINS0_14default_configELb1EPKiPiPKlPlN2at6native12_GLOBAL__N_18offset_tEEE10hipError_tPvRmT1_PNSt15iterator_traitsISY_E10value_typeET2_T3_PNSZ_IS14_E10value_typeET4_jRbjT5_S1A_jjP12ihipStream_tbEUljE_EEESV_SW_SX_S14_S18_S1A_T6_T7_T9_mT8_S1C_bDpT10_ENKUlT_T0_E_clISt17integral_constantIbLb0EES1P_EEDaS1K_S1L_EUlS1K_E_NS1_11comp_targetILNS1_3genE0ELNS1_11target_archE4294967295ELNS1_3gpuE0ELNS1_3repE0EEENS1_30default_config_static_selectorELNS0_4arch9wavefront6targetE0EEEvSY_.kd
    .uniform_work_group_size: 1
    .uses_dynamic_stack: false
    .vgpr_count:     0
    .vgpr_spill_count: 0
    .wavefront_size: 32
    .workgroup_processor_mode: 1
  - .args:
      - .offset:         0
        .size:           144
        .value_kind:     by_value
    .group_segment_fixed_size: 0
    .kernarg_segment_align: 8
    .kernarg_segment_size: 144
    .language:       OpenCL C
    .language_version:
      - 2
      - 0
    .max_flat_workgroup_size: 256
    .name:           _ZN7rocprim17ROCPRIM_400000_NS6detail17trampoline_kernelINS0_13select_configILj256ELj13ELNS0_17block_load_methodE3ELS4_3ELS4_3ELNS0_20block_scan_algorithmE0ELj4294967295EEENS1_25partition_config_selectorILNS1_17partition_subalgoE3EjNS0_10empty_typeEbEEZZNS1_14partition_implILS8_3ELb0ES6_jNS0_17counting_iteratorIjlEEPS9_SE_NS0_5tupleIJPjSE_EEENSF_IJSE_SE_EEES9_SG_JZNS1_25segmented_radix_sort_implINS0_14default_configELb1EPKiPiPKlPlN2at6native12_GLOBAL__N_18offset_tEEE10hipError_tPvRmT1_PNSt15iterator_traitsISY_E10value_typeET2_T3_PNSZ_IS14_E10value_typeET4_jRbjT5_S1A_jjP12ihipStream_tbEUljE_EEESV_SW_SX_S14_S18_S1A_T6_T7_T9_mT8_S1C_bDpT10_ENKUlT_T0_E_clISt17integral_constantIbLb0EES1P_EEDaS1K_S1L_EUlS1K_E_NS1_11comp_targetILNS1_3genE5ELNS1_11target_archE942ELNS1_3gpuE9ELNS1_3repE0EEENS1_30default_config_static_selectorELNS0_4arch9wavefront6targetE0EEEvSY_
    .private_segment_fixed_size: 0
    .sgpr_count:     0
    .sgpr_spill_count: 0
    .symbol:         _ZN7rocprim17ROCPRIM_400000_NS6detail17trampoline_kernelINS0_13select_configILj256ELj13ELNS0_17block_load_methodE3ELS4_3ELS4_3ELNS0_20block_scan_algorithmE0ELj4294967295EEENS1_25partition_config_selectorILNS1_17partition_subalgoE3EjNS0_10empty_typeEbEEZZNS1_14partition_implILS8_3ELb0ES6_jNS0_17counting_iteratorIjlEEPS9_SE_NS0_5tupleIJPjSE_EEENSF_IJSE_SE_EEES9_SG_JZNS1_25segmented_radix_sort_implINS0_14default_configELb1EPKiPiPKlPlN2at6native12_GLOBAL__N_18offset_tEEE10hipError_tPvRmT1_PNSt15iterator_traitsISY_E10value_typeET2_T3_PNSZ_IS14_E10value_typeET4_jRbjT5_S1A_jjP12ihipStream_tbEUljE_EEESV_SW_SX_S14_S18_S1A_T6_T7_T9_mT8_S1C_bDpT10_ENKUlT_T0_E_clISt17integral_constantIbLb0EES1P_EEDaS1K_S1L_EUlS1K_E_NS1_11comp_targetILNS1_3genE5ELNS1_11target_archE942ELNS1_3gpuE9ELNS1_3repE0EEENS1_30default_config_static_selectorELNS0_4arch9wavefront6targetE0EEEvSY_.kd
    .uniform_work_group_size: 1
    .uses_dynamic_stack: false
    .vgpr_count:     0
    .vgpr_spill_count: 0
    .wavefront_size: 32
    .workgroup_processor_mode: 1
  - .args:
      - .offset:         0
        .size:           144
        .value_kind:     by_value
    .group_segment_fixed_size: 0
    .kernarg_segment_align: 8
    .kernarg_segment_size: 144
    .language:       OpenCL C
    .language_version:
      - 2
      - 0
    .max_flat_workgroup_size: 256
    .name:           _ZN7rocprim17ROCPRIM_400000_NS6detail17trampoline_kernelINS0_13select_configILj256ELj13ELNS0_17block_load_methodE3ELS4_3ELS4_3ELNS0_20block_scan_algorithmE0ELj4294967295EEENS1_25partition_config_selectorILNS1_17partition_subalgoE3EjNS0_10empty_typeEbEEZZNS1_14partition_implILS8_3ELb0ES6_jNS0_17counting_iteratorIjlEEPS9_SE_NS0_5tupleIJPjSE_EEENSF_IJSE_SE_EEES9_SG_JZNS1_25segmented_radix_sort_implINS0_14default_configELb1EPKiPiPKlPlN2at6native12_GLOBAL__N_18offset_tEEE10hipError_tPvRmT1_PNSt15iterator_traitsISY_E10value_typeET2_T3_PNSZ_IS14_E10value_typeET4_jRbjT5_S1A_jjP12ihipStream_tbEUljE_EEESV_SW_SX_S14_S18_S1A_T6_T7_T9_mT8_S1C_bDpT10_ENKUlT_T0_E_clISt17integral_constantIbLb0EES1P_EEDaS1K_S1L_EUlS1K_E_NS1_11comp_targetILNS1_3genE4ELNS1_11target_archE910ELNS1_3gpuE8ELNS1_3repE0EEENS1_30default_config_static_selectorELNS0_4arch9wavefront6targetE0EEEvSY_
    .private_segment_fixed_size: 0
    .sgpr_count:     0
    .sgpr_spill_count: 0
    .symbol:         _ZN7rocprim17ROCPRIM_400000_NS6detail17trampoline_kernelINS0_13select_configILj256ELj13ELNS0_17block_load_methodE3ELS4_3ELS4_3ELNS0_20block_scan_algorithmE0ELj4294967295EEENS1_25partition_config_selectorILNS1_17partition_subalgoE3EjNS0_10empty_typeEbEEZZNS1_14partition_implILS8_3ELb0ES6_jNS0_17counting_iteratorIjlEEPS9_SE_NS0_5tupleIJPjSE_EEENSF_IJSE_SE_EEES9_SG_JZNS1_25segmented_radix_sort_implINS0_14default_configELb1EPKiPiPKlPlN2at6native12_GLOBAL__N_18offset_tEEE10hipError_tPvRmT1_PNSt15iterator_traitsISY_E10value_typeET2_T3_PNSZ_IS14_E10value_typeET4_jRbjT5_S1A_jjP12ihipStream_tbEUljE_EEESV_SW_SX_S14_S18_S1A_T6_T7_T9_mT8_S1C_bDpT10_ENKUlT_T0_E_clISt17integral_constantIbLb0EES1P_EEDaS1K_S1L_EUlS1K_E_NS1_11comp_targetILNS1_3genE4ELNS1_11target_archE910ELNS1_3gpuE8ELNS1_3repE0EEENS1_30default_config_static_selectorELNS0_4arch9wavefront6targetE0EEEvSY_.kd
    .uniform_work_group_size: 1
    .uses_dynamic_stack: false
    .vgpr_count:     0
    .vgpr_spill_count: 0
    .wavefront_size: 32
    .workgroup_processor_mode: 1
  - .args:
      - .offset:         0
        .size:           144
        .value_kind:     by_value
    .group_segment_fixed_size: 0
    .kernarg_segment_align: 8
    .kernarg_segment_size: 144
    .language:       OpenCL C
    .language_version:
      - 2
      - 0
    .max_flat_workgroup_size: 256
    .name:           _ZN7rocprim17ROCPRIM_400000_NS6detail17trampoline_kernelINS0_13select_configILj256ELj13ELNS0_17block_load_methodE3ELS4_3ELS4_3ELNS0_20block_scan_algorithmE0ELj4294967295EEENS1_25partition_config_selectorILNS1_17partition_subalgoE3EjNS0_10empty_typeEbEEZZNS1_14partition_implILS8_3ELb0ES6_jNS0_17counting_iteratorIjlEEPS9_SE_NS0_5tupleIJPjSE_EEENSF_IJSE_SE_EEES9_SG_JZNS1_25segmented_radix_sort_implINS0_14default_configELb1EPKiPiPKlPlN2at6native12_GLOBAL__N_18offset_tEEE10hipError_tPvRmT1_PNSt15iterator_traitsISY_E10value_typeET2_T3_PNSZ_IS14_E10value_typeET4_jRbjT5_S1A_jjP12ihipStream_tbEUljE_EEESV_SW_SX_S14_S18_S1A_T6_T7_T9_mT8_S1C_bDpT10_ENKUlT_T0_E_clISt17integral_constantIbLb0EES1P_EEDaS1K_S1L_EUlS1K_E_NS1_11comp_targetILNS1_3genE3ELNS1_11target_archE908ELNS1_3gpuE7ELNS1_3repE0EEENS1_30default_config_static_selectorELNS0_4arch9wavefront6targetE0EEEvSY_
    .private_segment_fixed_size: 0
    .sgpr_count:     0
    .sgpr_spill_count: 0
    .symbol:         _ZN7rocprim17ROCPRIM_400000_NS6detail17trampoline_kernelINS0_13select_configILj256ELj13ELNS0_17block_load_methodE3ELS4_3ELS4_3ELNS0_20block_scan_algorithmE0ELj4294967295EEENS1_25partition_config_selectorILNS1_17partition_subalgoE3EjNS0_10empty_typeEbEEZZNS1_14partition_implILS8_3ELb0ES6_jNS0_17counting_iteratorIjlEEPS9_SE_NS0_5tupleIJPjSE_EEENSF_IJSE_SE_EEES9_SG_JZNS1_25segmented_radix_sort_implINS0_14default_configELb1EPKiPiPKlPlN2at6native12_GLOBAL__N_18offset_tEEE10hipError_tPvRmT1_PNSt15iterator_traitsISY_E10value_typeET2_T3_PNSZ_IS14_E10value_typeET4_jRbjT5_S1A_jjP12ihipStream_tbEUljE_EEESV_SW_SX_S14_S18_S1A_T6_T7_T9_mT8_S1C_bDpT10_ENKUlT_T0_E_clISt17integral_constantIbLb0EES1P_EEDaS1K_S1L_EUlS1K_E_NS1_11comp_targetILNS1_3genE3ELNS1_11target_archE908ELNS1_3gpuE7ELNS1_3repE0EEENS1_30default_config_static_selectorELNS0_4arch9wavefront6targetE0EEEvSY_.kd
    .uniform_work_group_size: 1
    .uses_dynamic_stack: false
    .vgpr_count:     0
    .vgpr_spill_count: 0
    .wavefront_size: 32
    .workgroup_processor_mode: 1
  - .args:
      - .offset:         0
        .size:           144
        .value_kind:     by_value
    .group_segment_fixed_size: 0
    .kernarg_segment_align: 8
    .kernarg_segment_size: 144
    .language:       OpenCL C
    .language_version:
      - 2
      - 0
    .max_flat_workgroup_size: 256
    .name:           _ZN7rocprim17ROCPRIM_400000_NS6detail17trampoline_kernelINS0_13select_configILj256ELj13ELNS0_17block_load_methodE3ELS4_3ELS4_3ELNS0_20block_scan_algorithmE0ELj4294967295EEENS1_25partition_config_selectorILNS1_17partition_subalgoE3EjNS0_10empty_typeEbEEZZNS1_14partition_implILS8_3ELb0ES6_jNS0_17counting_iteratorIjlEEPS9_SE_NS0_5tupleIJPjSE_EEENSF_IJSE_SE_EEES9_SG_JZNS1_25segmented_radix_sort_implINS0_14default_configELb1EPKiPiPKlPlN2at6native12_GLOBAL__N_18offset_tEEE10hipError_tPvRmT1_PNSt15iterator_traitsISY_E10value_typeET2_T3_PNSZ_IS14_E10value_typeET4_jRbjT5_S1A_jjP12ihipStream_tbEUljE_EEESV_SW_SX_S14_S18_S1A_T6_T7_T9_mT8_S1C_bDpT10_ENKUlT_T0_E_clISt17integral_constantIbLb0EES1P_EEDaS1K_S1L_EUlS1K_E_NS1_11comp_targetILNS1_3genE2ELNS1_11target_archE906ELNS1_3gpuE6ELNS1_3repE0EEENS1_30default_config_static_selectorELNS0_4arch9wavefront6targetE0EEEvSY_
    .private_segment_fixed_size: 0
    .sgpr_count:     0
    .sgpr_spill_count: 0
    .symbol:         _ZN7rocprim17ROCPRIM_400000_NS6detail17trampoline_kernelINS0_13select_configILj256ELj13ELNS0_17block_load_methodE3ELS4_3ELS4_3ELNS0_20block_scan_algorithmE0ELj4294967295EEENS1_25partition_config_selectorILNS1_17partition_subalgoE3EjNS0_10empty_typeEbEEZZNS1_14partition_implILS8_3ELb0ES6_jNS0_17counting_iteratorIjlEEPS9_SE_NS0_5tupleIJPjSE_EEENSF_IJSE_SE_EEES9_SG_JZNS1_25segmented_radix_sort_implINS0_14default_configELb1EPKiPiPKlPlN2at6native12_GLOBAL__N_18offset_tEEE10hipError_tPvRmT1_PNSt15iterator_traitsISY_E10value_typeET2_T3_PNSZ_IS14_E10value_typeET4_jRbjT5_S1A_jjP12ihipStream_tbEUljE_EEESV_SW_SX_S14_S18_S1A_T6_T7_T9_mT8_S1C_bDpT10_ENKUlT_T0_E_clISt17integral_constantIbLb0EES1P_EEDaS1K_S1L_EUlS1K_E_NS1_11comp_targetILNS1_3genE2ELNS1_11target_archE906ELNS1_3gpuE6ELNS1_3repE0EEENS1_30default_config_static_selectorELNS0_4arch9wavefront6targetE0EEEvSY_.kd
    .uniform_work_group_size: 1
    .uses_dynamic_stack: false
    .vgpr_count:     0
    .vgpr_spill_count: 0
    .wavefront_size: 32
    .workgroup_processor_mode: 1
  - .args:
      - .offset:         0
        .size:           144
        .value_kind:     by_value
    .group_segment_fixed_size: 0
    .kernarg_segment_align: 8
    .kernarg_segment_size: 144
    .language:       OpenCL C
    .language_version:
      - 2
      - 0
    .max_flat_workgroup_size: 256
    .name:           _ZN7rocprim17ROCPRIM_400000_NS6detail17trampoline_kernelINS0_13select_configILj256ELj13ELNS0_17block_load_methodE3ELS4_3ELS4_3ELNS0_20block_scan_algorithmE0ELj4294967295EEENS1_25partition_config_selectorILNS1_17partition_subalgoE3EjNS0_10empty_typeEbEEZZNS1_14partition_implILS8_3ELb0ES6_jNS0_17counting_iteratorIjlEEPS9_SE_NS0_5tupleIJPjSE_EEENSF_IJSE_SE_EEES9_SG_JZNS1_25segmented_radix_sort_implINS0_14default_configELb1EPKiPiPKlPlN2at6native12_GLOBAL__N_18offset_tEEE10hipError_tPvRmT1_PNSt15iterator_traitsISY_E10value_typeET2_T3_PNSZ_IS14_E10value_typeET4_jRbjT5_S1A_jjP12ihipStream_tbEUljE_EEESV_SW_SX_S14_S18_S1A_T6_T7_T9_mT8_S1C_bDpT10_ENKUlT_T0_E_clISt17integral_constantIbLb0EES1P_EEDaS1K_S1L_EUlS1K_E_NS1_11comp_targetILNS1_3genE10ELNS1_11target_archE1200ELNS1_3gpuE4ELNS1_3repE0EEENS1_30default_config_static_selectorELNS0_4arch9wavefront6targetE0EEEvSY_
    .private_segment_fixed_size: 0
    .sgpr_count:     0
    .sgpr_spill_count: 0
    .symbol:         _ZN7rocprim17ROCPRIM_400000_NS6detail17trampoline_kernelINS0_13select_configILj256ELj13ELNS0_17block_load_methodE3ELS4_3ELS4_3ELNS0_20block_scan_algorithmE0ELj4294967295EEENS1_25partition_config_selectorILNS1_17partition_subalgoE3EjNS0_10empty_typeEbEEZZNS1_14partition_implILS8_3ELb0ES6_jNS0_17counting_iteratorIjlEEPS9_SE_NS0_5tupleIJPjSE_EEENSF_IJSE_SE_EEES9_SG_JZNS1_25segmented_radix_sort_implINS0_14default_configELb1EPKiPiPKlPlN2at6native12_GLOBAL__N_18offset_tEEE10hipError_tPvRmT1_PNSt15iterator_traitsISY_E10value_typeET2_T3_PNSZ_IS14_E10value_typeET4_jRbjT5_S1A_jjP12ihipStream_tbEUljE_EEESV_SW_SX_S14_S18_S1A_T6_T7_T9_mT8_S1C_bDpT10_ENKUlT_T0_E_clISt17integral_constantIbLb0EES1P_EEDaS1K_S1L_EUlS1K_E_NS1_11comp_targetILNS1_3genE10ELNS1_11target_archE1200ELNS1_3gpuE4ELNS1_3repE0EEENS1_30default_config_static_selectorELNS0_4arch9wavefront6targetE0EEEvSY_.kd
    .uniform_work_group_size: 1
    .uses_dynamic_stack: false
    .vgpr_count:     0
    .vgpr_spill_count: 0
    .wavefront_size: 32
    .workgroup_processor_mode: 1
  - .args:
      - .offset:         0
        .size:           144
        .value_kind:     by_value
    .group_segment_fixed_size: 13324
    .kernarg_segment_align: 8
    .kernarg_segment_size: 144
    .language:       OpenCL C
    .language_version:
      - 2
      - 0
    .max_flat_workgroup_size: 256
    .name:           _ZN7rocprim17ROCPRIM_400000_NS6detail17trampoline_kernelINS0_13select_configILj256ELj13ELNS0_17block_load_methodE3ELS4_3ELS4_3ELNS0_20block_scan_algorithmE0ELj4294967295EEENS1_25partition_config_selectorILNS1_17partition_subalgoE3EjNS0_10empty_typeEbEEZZNS1_14partition_implILS8_3ELb0ES6_jNS0_17counting_iteratorIjlEEPS9_SE_NS0_5tupleIJPjSE_EEENSF_IJSE_SE_EEES9_SG_JZNS1_25segmented_radix_sort_implINS0_14default_configELb1EPKiPiPKlPlN2at6native12_GLOBAL__N_18offset_tEEE10hipError_tPvRmT1_PNSt15iterator_traitsISY_E10value_typeET2_T3_PNSZ_IS14_E10value_typeET4_jRbjT5_S1A_jjP12ihipStream_tbEUljE_EEESV_SW_SX_S14_S18_S1A_T6_T7_T9_mT8_S1C_bDpT10_ENKUlT_T0_E_clISt17integral_constantIbLb0EES1P_EEDaS1K_S1L_EUlS1K_E_NS1_11comp_targetILNS1_3genE9ELNS1_11target_archE1100ELNS1_3gpuE3ELNS1_3repE0EEENS1_30default_config_static_selectorELNS0_4arch9wavefront6targetE0EEEvSY_
    .private_segment_fixed_size: 0
    .sgpr_count:     30
    .sgpr_spill_count: 0
    .symbol:         _ZN7rocprim17ROCPRIM_400000_NS6detail17trampoline_kernelINS0_13select_configILj256ELj13ELNS0_17block_load_methodE3ELS4_3ELS4_3ELNS0_20block_scan_algorithmE0ELj4294967295EEENS1_25partition_config_selectorILNS1_17partition_subalgoE3EjNS0_10empty_typeEbEEZZNS1_14partition_implILS8_3ELb0ES6_jNS0_17counting_iteratorIjlEEPS9_SE_NS0_5tupleIJPjSE_EEENSF_IJSE_SE_EEES9_SG_JZNS1_25segmented_radix_sort_implINS0_14default_configELb1EPKiPiPKlPlN2at6native12_GLOBAL__N_18offset_tEEE10hipError_tPvRmT1_PNSt15iterator_traitsISY_E10value_typeET2_T3_PNSZ_IS14_E10value_typeET4_jRbjT5_S1A_jjP12ihipStream_tbEUljE_EEESV_SW_SX_S14_S18_S1A_T6_T7_T9_mT8_S1C_bDpT10_ENKUlT_T0_E_clISt17integral_constantIbLb0EES1P_EEDaS1K_S1L_EUlS1K_E_NS1_11comp_targetILNS1_3genE9ELNS1_11target_archE1100ELNS1_3gpuE3ELNS1_3repE0EEENS1_30default_config_static_selectorELNS0_4arch9wavefront6targetE0EEEvSY_.kd
    .uniform_work_group_size: 1
    .uses_dynamic_stack: false
    .vgpr_count:     57
    .vgpr_spill_count: 0
    .wavefront_size: 32
    .workgroup_processor_mode: 1
  - .args:
      - .offset:         0
        .size:           144
        .value_kind:     by_value
    .group_segment_fixed_size: 0
    .kernarg_segment_align: 8
    .kernarg_segment_size: 144
    .language:       OpenCL C
    .language_version:
      - 2
      - 0
    .max_flat_workgroup_size: 256
    .name:           _ZN7rocprim17ROCPRIM_400000_NS6detail17trampoline_kernelINS0_13select_configILj256ELj13ELNS0_17block_load_methodE3ELS4_3ELS4_3ELNS0_20block_scan_algorithmE0ELj4294967295EEENS1_25partition_config_selectorILNS1_17partition_subalgoE3EjNS0_10empty_typeEbEEZZNS1_14partition_implILS8_3ELb0ES6_jNS0_17counting_iteratorIjlEEPS9_SE_NS0_5tupleIJPjSE_EEENSF_IJSE_SE_EEES9_SG_JZNS1_25segmented_radix_sort_implINS0_14default_configELb1EPKiPiPKlPlN2at6native12_GLOBAL__N_18offset_tEEE10hipError_tPvRmT1_PNSt15iterator_traitsISY_E10value_typeET2_T3_PNSZ_IS14_E10value_typeET4_jRbjT5_S1A_jjP12ihipStream_tbEUljE_EEESV_SW_SX_S14_S18_S1A_T6_T7_T9_mT8_S1C_bDpT10_ENKUlT_T0_E_clISt17integral_constantIbLb0EES1P_EEDaS1K_S1L_EUlS1K_E_NS1_11comp_targetILNS1_3genE8ELNS1_11target_archE1030ELNS1_3gpuE2ELNS1_3repE0EEENS1_30default_config_static_selectorELNS0_4arch9wavefront6targetE0EEEvSY_
    .private_segment_fixed_size: 0
    .sgpr_count:     0
    .sgpr_spill_count: 0
    .symbol:         _ZN7rocprim17ROCPRIM_400000_NS6detail17trampoline_kernelINS0_13select_configILj256ELj13ELNS0_17block_load_methodE3ELS4_3ELS4_3ELNS0_20block_scan_algorithmE0ELj4294967295EEENS1_25partition_config_selectorILNS1_17partition_subalgoE3EjNS0_10empty_typeEbEEZZNS1_14partition_implILS8_3ELb0ES6_jNS0_17counting_iteratorIjlEEPS9_SE_NS0_5tupleIJPjSE_EEENSF_IJSE_SE_EEES9_SG_JZNS1_25segmented_radix_sort_implINS0_14default_configELb1EPKiPiPKlPlN2at6native12_GLOBAL__N_18offset_tEEE10hipError_tPvRmT1_PNSt15iterator_traitsISY_E10value_typeET2_T3_PNSZ_IS14_E10value_typeET4_jRbjT5_S1A_jjP12ihipStream_tbEUljE_EEESV_SW_SX_S14_S18_S1A_T6_T7_T9_mT8_S1C_bDpT10_ENKUlT_T0_E_clISt17integral_constantIbLb0EES1P_EEDaS1K_S1L_EUlS1K_E_NS1_11comp_targetILNS1_3genE8ELNS1_11target_archE1030ELNS1_3gpuE2ELNS1_3repE0EEENS1_30default_config_static_selectorELNS0_4arch9wavefront6targetE0EEEvSY_.kd
    .uniform_work_group_size: 1
    .uses_dynamic_stack: false
    .vgpr_count:     0
    .vgpr_spill_count: 0
    .wavefront_size: 32
    .workgroup_processor_mode: 1
  - .args:
      - .offset:         0
        .size:           152
        .value_kind:     by_value
    .group_segment_fixed_size: 0
    .kernarg_segment_align: 8
    .kernarg_segment_size: 152
    .language:       OpenCL C
    .language_version:
      - 2
      - 0
    .max_flat_workgroup_size: 256
    .name:           _ZN7rocprim17ROCPRIM_400000_NS6detail17trampoline_kernelINS0_13select_configILj256ELj13ELNS0_17block_load_methodE3ELS4_3ELS4_3ELNS0_20block_scan_algorithmE0ELj4294967295EEENS1_25partition_config_selectorILNS1_17partition_subalgoE3EjNS0_10empty_typeEbEEZZNS1_14partition_implILS8_3ELb0ES6_jNS0_17counting_iteratorIjlEEPS9_SE_NS0_5tupleIJPjSE_EEENSF_IJSE_SE_EEES9_SG_JZNS1_25segmented_radix_sort_implINS0_14default_configELb1EPKiPiPKlPlN2at6native12_GLOBAL__N_18offset_tEEE10hipError_tPvRmT1_PNSt15iterator_traitsISY_E10value_typeET2_T3_PNSZ_IS14_E10value_typeET4_jRbjT5_S1A_jjP12ihipStream_tbEUljE_EEESV_SW_SX_S14_S18_S1A_T6_T7_T9_mT8_S1C_bDpT10_ENKUlT_T0_E_clISt17integral_constantIbLb1EES1P_EEDaS1K_S1L_EUlS1K_E_NS1_11comp_targetILNS1_3genE0ELNS1_11target_archE4294967295ELNS1_3gpuE0ELNS1_3repE0EEENS1_30default_config_static_selectorELNS0_4arch9wavefront6targetE0EEEvSY_
    .private_segment_fixed_size: 0
    .sgpr_count:     0
    .sgpr_spill_count: 0
    .symbol:         _ZN7rocprim17ROCPRIM_400000_NS6detail17trampoline_kernelINS0_13select_configILj256ELj13ELNS0_17block_load_methodE3ELS4_3ELS4_3ELNS0_20block_scan_algorithmE0ELj4294967295EEENS1_25partition_config_selectorILNS1_17partition_subalgoE3EjNS0_10empty_typeEbEEZZNS1_14partition_implILS8_3ELb0ES6_jNS0_17counting_iteratorIjlEEPS9_SE_NS0_5tupleIJPjSE_EEENSF_IJSE_SE_EEES9_SG_JZNS1_25segmented_radix_sort_implINS0_14default_configELb1EPKiPiPKlPlN2at6native12_GLOBAL__N_18offset_tEEE10hipError_tPvRmT1_PNSt15iterator_traitsISY_E10value_typeET2_T3_PNSZ_IS14_E10value_typeET4_jRbjT5_S1A_jjP12ihipStream_tbEUljE_EEESV_SW_SX_S14_S18_S1A_T6_T7_T9_mT8_S1C_bDpT10_ENKUlT_T0_E_clISt17integral_constantIbLb1EES1P_EEDaS1K_S1L_EUlS1K_E_NS1_11comp_targetILNS1_3genE0ELNS1_11target_archE4294967295ELNS1_3gpuE0ELNS1_3repE0EEENS1_30default_config_static_selectorELNS0_4arch9wavefront6targetE0EEEvSY_.kd
    .uniform_work_group_size: 1
    .uses_dynamic_stack: false
    .vgpr_count:     0
    .vgpr_spill_count: 0
    .wavefront_size: 32
    .workgroup_processor_mode: 1
  - .args:
      - .offset:         0
        .size:           152
        .value_kind:     by_value
    .group_segment_fixed_size: 0
    .kernarg_segment_align: 8
    .kernarg_segment_size: 152
    .language:       OpenCL C
    .language_version:
      - 2
      - 0
    .max_flat_workgroup_size: 256
    .name:           _ZN7rocprim17ROCPRIM_400000_NS6detail17trampoline_kernelINS0_13select_configILj256ELj13ELNS0_17block_load_methodE3ELS4_3ELS4_3ELNS0_20block_scan_algorithmE0ELj4294967295EEENS1_25partition_config_selectorILNS1_17partition_subalgoE3EjNS0_10empty_typeEbEEZZNS1_14partition_implILS8_3ELb0ES6_jNS0_17counting_iteratorIjlEEPS9_SE_NS0_5tupleIJPjSE_EEENSF_IJSE_SE_EEES9_SG_JZNS1_25segmented_radix_sort_implINS0_14default_configELb1EPKiPiPKlPlN2at6native12_GLOBAL__N_18offset_tEEE10hipError_tPvRmT1_PNSt15iterator_traitsISY_E10value_typeET2_T3_PNSZ_IS14_E10value_typeET4_jRbjT5_S1A_jjP12ihipStream_tbEUljE_EEESV_SW_SX_S14_S18_S1A_T6_T7_T9_mT8_S1C_bDpT10_ENKUlT_T0_E_clISt17integral_constantIbLb1EES1P_EEDaS1K_S1L_EUlS1K_E_NS1_11comp_targetILNS1_3genE5ELNS1_11target_archE942ELNS1_3gpuE9ELNS1_3repE0EEENS1_30default_config_static_selectorELNS0_4arch9wavefront6targetE0EEEvSY_
    .private_segment_fixed_size: 0
    .sgpr_count:     0
    .sgpr_spill_count: 0
    .symbol:         _ZN7rocprim17ROCPRIM_400000_NS6detail17trampoline_kernelINS0_13select_configILj256ELj13ELNS0_17block_load_methodE3ELS4_3ELS4_3ELNS0_20block_scan_algorithmE0ELj4294967295EEENS1_25partition_config_selectorILNS1_17partition_subalgoE3EjNS0_10empty_typeEbEEZZNS1_14partition_implILS8_3ELb0ES6_jNS0_17counting_iteratorIjlEEPS9_SE_NS0_5tupleIJPjSE_EEENSF_IJSE_SE_EEES9_SG_JZNS1_25segmented_radix_sort_implINS0_14default_configELb1EPKiPiPKlPlN2at6native12_GLOBAL__N_18offset_tEEE10hipError_tPvRmT1_PNSt15iterator_traitsISY_E10value_typeET2_T3_PNSZ_IS14_E10value_typeET4_jRbjT5_S1A_jjP12ihipStream_tbEUljE_EEESV_SW_SX_S14_S18_S1A_T6_T7_T9_mT8_S1C_bDpT10_ENKUlT_T0_E_clISt17integral_constantIbLb1EES1P_EEDaS1K_S1L_EUlS1K_E_NS1_11comp_targetILNS1_3genE5ELNS1_11target_archE942ELNS1_3gpuE9ELNS1_3repE0EEENS1_30default_config_static_selectorELNS0_4arch9wavefront6targetE0EEEvSY_.kd
    .uniform_work_group_size: 1
    .uses_dynamic_stack: false
    .vgpr_count:     0
    .vgpr_spill_count: 0
    .wavefront_size: 32
    .workgroup_processor_mode: 1
  - .args:
      - .offset:         0
        .size:           152
        .value_kind:     by_value
    .group_segment_fixed_size: 0
    .kernarg_segment_align: 8
    .kernarg_segment_size: 152
    .language:       OpenCL C
    .language_version:
      - 2
      - 0
    .max_flat_workgroup_size: 256
    .name:           _ZN7rocprim17ROCPRIM_400000_NS6detail17trampoline_kernelINS0_13select_configILj256ELj13ELNS0_17block_load_methodE3ELS4_3ELS4_3ELNS0_20block_scan_algorithmE0ELj4294967295EEENS1_25partition_config_selectorILNS1_17partition_subalgoE3EjNS0_10empty_typeEbEEZZNS1_14partition_implILS8_3ELb0ES6_jNS0_17counting_iteratorIjlEEPS9_SE_NS0_5tupleIJPjSE_EEENSF_IJSE_SE_EEES9_SG_JZNS1_25segmented_radix_sort_implINS0_14default_configELb1EPKiPiPKlPlN2at6native12_GLOBAL__N_18offset_tEEE10hipError_tPvRmT1_PNSt15iterator_traitsISY_E10value_typeET2_T3_PNSZ_IS14_E10value_typeET4_jRbjT5_S1A_jjP12ihipStream_tbEUljE_EEESV_SW_SX_S14_S18_S1A_T6_T7_T9_mT8_S1C_bDpT10_ENKUlT_T0_E_clISt17integral_constantIbLb1EES1P_EEDaS1K_S1L_EUlS1K_E_NS1_11comp_targetILNS1_3genE4ELNS1_11target_archE910ELNS1_3gpuE8ELNS1_3repE0EEENS1_30default_config_static_selectorELNS0_4arch9wavefront6targetE0EEEvSY_
    .private_segment_fixed_size: 0
    .sgpr_count:     0
    .sgpr_spill_count: 0
    .symbol:         _ZN7rocprim17ROCPRIM_400000_NS6detail17trampoline_kernelINS0_13select_configILj256ELj13ELNS0_17block_load_methodE3ELS4_3ELS4_3ELNS0_20block_scan_algorithmE0ELj4294967295EEENS1_25partition_config_selectorILNS1_17partition_subalgoE3EjNS0_10empty_typeEbEEZZNS1_14partition_implILS8_3ELb0ES6_jNS0_17counting_iteratorIjlEEPS9_SE_NS0_5tupleIJPjSE_EEENSF_IJSE_SE_EEES9_SG_JZNS1_25segmented_radix_sort_implINS0_14default_configELb1EPKiPiPKlPlN2at6native12_GLOBAL__N_18offset_tEEE10hipError_tPvRmT1_PNSt15iterator_traitsISY_E10value_typeET2_T3_PNSZ_IS14_E10value_typeET4_jRbjT5_S1A_jjP12ihipStream_tbEUljE_EEESV_SW_SX_S14_S18_S1A_T6_T7_T9_mT8_S1C_bDpT10_ENKUlT_T0_E_clISt17integral_constantIbLb1EES1P_EEDaS1K_S1L_EUlS1K_E_NS1_11comp_targetILNS1_3genE4ELNS1_11target_archE910ELNS1_3gpuE8ELNS1_3repE0EEENS1_30default_config_static_selectorELNS0_4arch9wavefront6targetE0EEEvSY_.kd
    .uniform_work_group_size: 1
    .uses_dynamic_stack: false
    .vgpr_count:     0
    .vgpr_spill_count: 0
    .wavefront_size: 32
    .workgroup_processor_mode: 1
  - .args:
      - .offset:         0
        .size:           152
        .value_kind:     by_value
    .group_segment_fixed_size: 0
    .kernarg_segment_align: 8
    .kernarg_segment_size: 152
    .language:       OpenCL C
    .language_version:
      - 2
      - 0
    .max_flat_workgroup_size: 256
    .name:           _ZN7rocprim17ROCPRIM_400000_NS6detail17trampoline_kernelINS0_13select_configILj256ELj13ELNS0_17block_load_methodE3ELS4_3ELS4_3ELNS0_20block_scan_algorithmE0ELj4294967295EEENS1_25partition_config_selectorILNS1_17partition_subalgoE3EjNS0_10empty_typeEbEEZZNS1_14partition_implILS8_3ELb0ES6_jNS0_17counting_iteratorIjlEEPS9_SE_NS0_5tupleIJPjSE_EEENSF_IJSE_SE_EEES9_SG_JZNS1_25segmented_radix_sort_implINS0_14default_configELb1EPKiPiPKlPlN2at6native12_GLOBAL__N_18offset_tEEE10hipError_tPvRmT1_PNSt15iterator_traitsISY_E10value_typeET2_T3_PNSZ_IS14_E10value_typeET4_jRbjT5_S1A_jjP12ihipStream_tbEUljE_EEESV_SW_SX_S14_S18_S1A_T6_T7_T9_mT8_S1C_bDpT10_ENKUlT_T0_E_clISt17integral_constantIbLb1EES1P_EEDaS1K_S1L_EUlS1K_E_NS1_11comp_targetILNS1_3genE3ELNS1_11target_archE908ELNS1_3gpuE7ELNS1_3repE0EEENS1_30default_config_static_selectorELNS0_4arch9wavefront6targetE0EEEvSY_
    .private_segment_fixed_size: 0
    .sgpr_count:     0
    .sgpr_spill_count: 0
    .symbol:         _ZN7rocprim17ROCPRIM_400000_NS6detail17trampoline_kernelINS0_13select_configILj256ELj13ELNS0_17block_load_methodE3ELS4_3ELS4_3ELNS0_20block_scan_algorithmE0ELj4294967295EEENS1_25partition_config_selectorILNS1_17partition_subalgoE3EjNS0_10empty_typeEbEEZZNS1_14partition_implILS8_3ELb0ES6_jNS0_17counting_iteratorIjlEEPS9_SE_NS0_5tupleIJPjSE_EEENSF_IJSE_SE_EEES9_SG_JZNS1_25segmented_radix_sort_implINS0_14default_configELb1EPKiPiPKlPlN2at6native12_GLOBAL__N_18offset_tEEE10hipError_tPvRmT1_PNSt15iterator_traitsISY_E10value_typeET2_T3_PNSZ_IS14_E10value_typeET4_jRbjT5_S1A_jjP12ihipStream_tbEUljE_EEESV_SW_SX_S14_S18_S1A_T6_T7_T9_mT8_S1C_bDpT10_ENKUlT_T0_E_clISt17integral_constantIbLb1EES1P_EEDaS1K_S1L_EUlS1K_E_NS1_11comp_targetILNS1_3genE3ELNS1_11target_archE908ELNS1_3gpuE7ELNS1_3repE0EEENS1_30default_config_static_selectorELNS0_4arch9wavefront6targetE0EEEvSY_.kd
    .uniform_work_group_size: 1
    .uses_dynamic_stack: false
    .vgpr_count:     0
    .vgpr_spill_count: 0
    .wavefront_size: 32
    .workgroup_processor_mode: 1
  - .args:
      - .offset:         0
        .size:           152
        .value_kind:     by_value
    .group_segment_fixed_size: 0
    .kernarg_segment_align: 8
    .kernarg_segment_size: 152
    .language:       OpenCL C
    .language_version:
      - 2
      - 0
    .max_flat_workgroup_size: 256
    .name:           _ZN7rocprim17ROCPRIM_400000_NS6detail17trampoline_kernelINS0_13select_configILj256ELj13ELNS0_17block_load_methodE3ELS4_3ELS4_3ELNS0_20block_scan_algorithmE0ELj4294967295EEENS1_25partition_config_selectorILNS1_17partition_subalgoE3EjNS0_10empty_typeEbEEZZNS1_14partition_implILS8_3ELb0ES6_jNS0_17counting_iteratorIjlEEPS9_SE_NS0_5tupleIJPjSE_EEENSF_IJSE_SE_EEES9_SG_JZNS1_25segmented_radix_sort_implINS0_14default_configELb1EPKiPiPKlPlN2at6native12_GLOBAL__N_18offset_tEEE10hipError_tPvRmT1_PNSt15iterator_traitsISY_E10value_typeET2_T3_PNSZ_IS14_E10value_typeET4_jRbjT5_S1A_jjP12ihipStream_tbEUljE_EEESV_SW_SX_S14_S18_S1A_T6_T7_T9_mT8_S1C_bDpT10_ENKUlT_T0_E_clISt17integral_constantIbLb1EES1P_EEDaS1K_S1L_EUlS1K_E_NS1_11comp_targetILNS1_3genE2ELNS1_11target_archE906ELNS1_3gpuE6ELNS1_3repE0EEENS1_30default_config_static_selectorELNS0_4arch9wavefront6targetE0EEEvSY_
    .private_segment_fixed_size: 0
    .sgpr_count:     0
    .sgpr_spill_count: 0
    .symbol:         _ZN7rocprim17ROCPRIM_400000_NS6detail17trampoline_kernelINS0_13select_configILj256ELj13ELNS0_17block_load_methodE3ELS4_3ELS4_3ELNS0_20block_scan_algorithmE0ELj4294967295EEENS1_25partition_config_selectorILNS1_17partition_subalgoE3EjNS0_10empty_typeEbEEZZNS1_14partition_implILS8_3ELb0ES6_jNS0_17counting_iteratorIjlEEPS9_SE_NS0_5tupleIJPjSE_EEENSF_IJSE_SE_EEES9_SG_JZNS1_25segmented_radix_sort_implINS0_14default_configELb1EPKiPiPKlPlN2at6native12_GLOBAL__N_18offset_tEEE10hipError_tPvRmT1_PNSt15iterator_traitsISY_E10value_typeET2_T3_PNSZ_IS14_E10value_typeET4_jRbjT5_S1A_jjP12ihipStream_tbEUljE_EEESV_SW_SX_S14_S18_S1A_T6_T7_T9_mT8_S1C_bDpT10_ENKUlT_T0_E_clISt17integral_constantIbLb1EES1P_EEDaS1K_S1L_EUlS1K_E_NS1_11comp_targetILNS1_3genE2ELNS1_11target_archE906ELNS1_3gpuE6ELNS1_3repE0EEENS1_30default_config_static_selectorELNS0_4arch9wavefront6targetE0EEEvSY_.kd
    .uniform_work_group_size: 1
    .uses_dynamic_stack: false
    .vgpr_count:     0
    .vgpr_spill_count: 0
    .wavefront_size: 32
    .workgroup_processor_mode: 1
  - .args:
      - .offset:         0
        .size:           152
        .value_kind:     by_value
    .group_segment_fixed_size: 0
    .kernarg_segment_align: 8
    .kernarg_segment_size: 152
    .language:       OpenCL C
    .language_version:
      - 2
      - 0
    .max_flat_workgroup_size: 256
    .name:           _ZN7rocprim17ROCPRIM_400000_NS6detail17trampoline_kernelINS0_13select_configILj256ELj13ELNS0_17block_load_methodE3ELS4_3ELS4_3ELNS0_20block_scan_algorithmE0ELj4294967295EEENS1_25partition_config_selectorILNS1_17partition_subalgoE3EjNS0_10empty_typeEbEEZZNS1_14partition_implILS8_3ELb0ES6_jNS0_17counting_iteratorIjlEEPS9_SE_NS0_5tupleIJPjSE_EEENSF_IJSE_SE_EEES9_SG_JZNS1_25segmented_radix_sort_implINS0_14default_configELb1EPKiPiPKlPlN2at6native12_GLOBAL__N_18offset_tEEE10hipError_tPvRmT1_PNSt15iterator_traitsISY_E10value_typeET2_T3_PNSZ_IS14_E10value_typeET4_jRbjT5_S1A_jjP12ihipStream_tbEUljE_EEESV_SW_SX_S14_S18_S1A_T6_T7_T9_mT8_S1C_bDpT10_ENKUlT_T0_E_clISt17integral_constantIbLb1EES1P_EEDaS1K_S1L_EUlS1K_E_NS1_11comp_targetILNS1_3genE10ELNS1_11target_archE1200ELNS1_3gpuE4ELNS1_3repE0EEENS1_30default_config_static_selectorELNS0_4arch9wavefront6targetE0EEEvSY_
    .private_segment_fixed_size: 0
    .sgpr_count:     0
    .sgpr_spill_count: 0
    .symbol:         _ZN7rocprim17ROCPRIM_400000_NS6detail17trampoline_kernelINS0_13select_configILj256ELj13ELNS0_17block_load_methodE3ELS4_3ELS4_3ELNS0_20block_scan_algorithmE0ELj4294967295EEENS1_25partition_config_selectorILNS1_17partition_subalgoE3EjNS0_10empty_typeEbEEZZNS1_14partition_implILS8_3ELb0ES6_jNS0_17counting_iteratorIjlEEPS9_SE_NS0_5tupleIJPjSE_EEENSF_IJSE_SE_EEES9_SG_JZNS1_25segmented_radix_sort_implINS0_14default_configELb1EPKiPiPKlPlN2at6native12_GLOBAL__N_18offset_tEEE10hipError_tPvRmT1_PNSt15iterator_traitsISY_E10value_typeET2_T3_PNSZ_IS14_E10value_typeET4_jRbjT5_S1A_jjP12ihipStream_tbEUljE_EEESV_SW_SX_S14_S18_S1A_T6_T7_T9_mT8_S1C_bDpT10_ENKUlT_T0_E_clISt17integral_constantIbLb1EES1P_EEDaS1K_S1L_EUlS1K_E_NS1_11comp_targetILNS1_3genE10ELNS1_11target_archE1200ELNS1_3gpuE4ELNS1_3repE0EEENS1_30default_config_static_selectorELNS0_4arch9wavefront6targetE0EEEvSY_.kd
    .uniform_work_group_size: 1
    .uses_dynamic_stack: false
    .vgpr_count:     0
    .vgpr_spill_count: 0
    .wavefront_size: 32
    .workgroup_processor_mode: 1
  - .args:
      - .offset:         0
        .size:           152
        .value_kind:     by_value
    .group_segment_fixed_size: 13324
    .kernarg_segment_align: 8
    .kernarg_segment_size: 152
    .language:       OpenCL C
    .language_version:
      - 2
      - 0
    .max_flat_workgroup_size: 256
    .name:           _ZN7rocprim17ROCPRIM_400000_NS6detail17trampoline_kernelINS0_13select_configILj256ELj13ELNS0_17block_load_methodE3ELS4_3ELS4_3ELNS0_20block_scan_algorithmE0ELj4294967295EEENS1_25partition_config_selectorILNS1_17partition_subalgoE3EjNS0_10empty_typeEbEEZZNS1_14partition_implILS8_3ELb0ES6_jNS0_17counting_iteratorIjlEEPS9_SE_NS0_5tupleIJPjSE_EEENSF_IJSE_SE_EEES9_SG_JZNS1_25segmented_radix_sort_implINS0_14default_configELb1EPKiPiPKlPlN2at6native12_GLOBAL__N_18offset_tEEE10hipError_tPvRmT1_PNSt15iterator_traitsISY_E10value_typeET2_T3_PNSZ_IS14_E10value_typeET4_jRbjT5_S1A_jjP12ihipStream_tbEUljE_EEESV_SW_SX_S14_S18_S1A_T6_T7_T9_mT8_S1C_bDpT10_ENKUlT_T0_E_clISt17integral_constantIbLb1EES1P_EEDaS1K_S1L_EUlS1K_E_NS1_11comp_targetILNS1_3genE9ELNS1_11target_archE1100ELNS1_3gpuE3ELNS1_3repE0EEENS1_30default_config_static_selectorELNS0_4arch9wavefront6targetE0EEEvSY_
    .private_segment_fixed_size: 0
    .sgpr_count:     28
    .sgpr_spill_count: 0
    .symbol:         _ZN7rocprim17ROCPRIM_400000_NS6detail17trampoline_kernelINS0_13select_configILj256ELj13ELNS0_17block_load_methodE3ELS4_3ELS4_3ELNS0_20block_scan_algorithmE0ELj4294967295EEENS1_25partition_config_selectorILNS1_17partition_subalgoE3EjNS0_10empty_typeEbEEZZNS1_14partition_implILS8_3ELb0ES6_jNS0_17counting_iteratorIjlEEPS9_SE_NS0_5tupleIJPjSE_EEENSF_IJSE_SE_EEES9_SG_JZNS1_25segmented_radix_sort_implINS0_14default_configELb1EPKiPiPKlPlN2at6native12_GLOBAL__N_18offset_tEEE10hipError_tPvRmT1_PNSt15iterator_traitsISY_E10value_typeET2_T3_PNSZ_IS14_E10value_typeET4_jRbjT5_S1A_jjP12ihipStream_tbEUljE_EEESV_SW_SX_S14_S18_S1A_T6_T7_T9_mT8_S1C_bDpT10_ENKUlT_T0_E_clISt17integral_constantIbLb1EES1P_EEDaS1K_S1L_EUlS1K_E_NS1_11comp_targetILNS1_3genE9ELNS1_11target_archE1100ELNS1_3gpuE3ELNS1_3repE0EEENS1_30default_config_static_selectorELNS0_4arch9wavefront6targetE0EEEvSY_.kd
    .uniform_work_group_size: 1
    .uses_dynamic_stack: false
    .vgpr_count:     60
    .vgpr_spill_count: 0
    .wavefront_size: 32
    .workgroup_processor_mode: 1
  - .args:
      - .offset:         0
        .size:           152
        .value_kind:     by_value
    .group_segment_fixed_size: 0
    .kernarg_segment_align: 8
    .kernarg_segment_size: 152
    .language:       OpenCL C
    .language_version:
      - 2
      - 0
    .max_flat_workgroup_size: 256
    .name:           _ZN7rocprim17ROCPRIM_400000_NS6detail17trampoline_kernelINS0_13select_configILj256ELj13ELNS0_17block_load_methodE3ELS4_3ELS4_3ELNS0_20block_scan_algorithmE0ELj4294967295EEENS1_25partition_config_selectorILNS1_17partition_subalgoE3EjNS0_10empty_typeEbEEZZNS1_14partition_implILS8_3ELb0ES6_jNS0_17counting_iteratorIjlEEPS9_SE_NS0_5tupleIJPjSE_EEENSF_IJSE_SE_EEES9_SG_JZNS1_25segmented_radix_sort_implINS0_14default_configELb1EPKiPiPKlPlN2at6native12_GLOBAL__N_18offset_tEEE10hipError_tPvRmT1_PNSt15iterator_traitsISY_E10value_typeET2_T3_PNSZ_IS14_E10value_typeET4_jRbjT5_S1A_jjP12ihipStream_tbEUljE_EEESV_SW_SX_S14_S18_S1A_T6_T7_T9_mT8_S1C_bDpT10_ENKUlT_T0_E_clISt17integral_constantIbLb1EES1P_EEDaS1K_S1L_EUlS1K_E_NS1_11comp_targetILNS1_3genE8ELNS1_11target_archE1030ELNS1_3gpuE2ELNS1_3repE0EEENS1_30default_config_static_selectorELNS0_4arch9wavefront6targetE0EEEvSY_
    .private_segment_fixed_size: 0
    .sgpr_count:     0
    .sgpr_spill_count: 0
    .symbol:         _ZN7rocprim17ROCPRIM_400000_NS6detail17trampoline_kernelINS0_13select_configILj256ELj13ELNS0_17block_load_methodE3ELS4_3ELS4_3ELNS0_20block_scan_algorithmE0ELj4294967295EEENS1_25partition_config_selectorILNS1_17partition_subalgoE3EjNS0_10empty_typeEbEEZZNS1_14partition_implILS8_3ELb0ES6_jNS0_17counting_iteratorIjlEEPS9_SE_NS0_5tupleIJPjSE_EEENSF_IJSE_SE_EEES9_SG_JZNS1_25segmented_radix_sort_implINS0_14default_configELb1EPKiPiPKlPlN2at6native12_GLOBAL__N_18offset_tEEE10hipError_tPvRmT1_PNSt15iterator_traitsISY_E10value_typeET2_T3_PNSZ_IS14_E10value_typeET4_jRbjT5_S1A_jjP12ihipStream_tbEUljE_EEESV_SW_SX_S14_S18_S1A_T6_T7_T9_mT8_S1C_bDpT10_ENKUlT_T0_E_clISt17integral_constantIbLb1EES1P_EEDaS1K_S1L_EUlS1K_E_NS1_11comp_targetILNS1_3genE8ELNS1_11target_archE1030ELNS1_3gpuE2ELNS1_3repE0EEENS1_30default_config_static_selectorELNS0_4arch9wavefront6targetE0EEEvSY_.kd
    .uniform_work_group_size: 1
    .uses_dynamic_stack: false
    .vgpr_count:     0
    .vgpr_spill_count: 0
    .wavefront_size: 32
    .workgroup_processor_mode: 1
  - .args:
      - .offset:         0
        .size:           144
        .value_kind:     by_value
    .group_segment_fixed_size: 0
    .kernarg_segment_align: 8
    .kernarg_segment_size: 144
    .language:       OpenCL C
    .language_version:
      - 2
      - 0
    .max_flat_workgroup_size: 256
    .name:           _ZN7rocprim17ROCPRIM_400000_NS6detail17trampoline_kernelINS0_13select_configILj256ELj13ELNS0_17block_load_methodE3ELS4_3ELS4_3ELNS0_20block_scan_algorithmE0ELj4294967295EEENS1_25partition_config_selectorILNS1_17partition_subalgoE3EjNS0_10empty_typeEbEEZZNS1_14partition_implILS8_3ELb0ES6_jNS0_17counting_iteratorIjlEEPS9_SE_NS0_5tupleIJPjSE_EEENSF_IJSE_SE_EEES9_SG_JZNS1_25segmented_radix_sort_implINS0_14default_configELb1EPKiPiPKlPlN2at6native12_GLOBAL__N_18offset_tEEE10hipError_tPvRmT1_PNSt15iterator_traitsISY_E10value_typeET2_T3_PNSZ_IS14_E10value_typeET4_jRbjT5_S1A_jjP12ihipStream_tbEUljE_EEESV_SW_SX_S14_S18_S1A_T6_T7_T9_mT8_S1C_bDpT10_ENKUlT_T0_E_clISt17integral_constantIbLb1EES1O_IbLb0EEEEDaS1K_S1L_EUlS1K_E_NS1_11comp_targetILNS1_3genE0ELNS1_11target_archE4294967295ELNS1_3gpuE0ELNS1_3repE0EEENS1_30default_config_static_selectorELNS0_4arch9wavefront6targetE0EEEvSY_
    .private_segment_fixed_size: 0
    .sgpr_count:     0
    .sgpr_spill_count: 0
    .symbol:         _ZN7rocprim17ROCPRIM_400000_NS6detail17trampoline_kernelINS0_13select_configILj256ELj13ELNS0_17block_load_methodE3ELS4_3ELS4_3ELNS0_20block_scan_algorithmE0ELj4294967295EEENS1_25partition_config_selectorILNS1_17partition_subalgoE3EjNS0_10empty_typeEbEEZZNS1_14partition_implILS8_3ELb0ES6_jNS0_17counting_iteratorIjlEEPS9_SE_NS0_5tupleIJPjSE_EEENSF_IJSE_SE_EEES9_SG_JZNS1_25segmented_radix_sort_implINS0_14default_configELb1EPKiPiPKlPlN2at6native12_GLOBAL__N_18offset_tEEE10hipError_tPvRmT1_PNSt15iterator_traitsISY_E10value_typeET2_T3_PNSZ_IS14_E10value_typeET4_jRbjT5_S1A_jjP12ihipStream_tbEUljE_EEESV_SW_SX_S14_S18_S1A_T6_T7_T9_mT8_S1C_bDpT10_ENKUlT_T0_E_clISt17integral_constantIbLb1EES1O_IbLb0EEEEDaS1K_S1L_EUlS1K_E_NS1_11comp_targetILNS1_3genE0ELNS1_11target_archE4294967295ELNS1_3gpuE0ELNS1_3repE0EEENS1_30default_config_static_selectorELNS0_4arch9wavefront6targetE0EEEvSY_.kd
    .uniform_work_group_size: 1
    .uses_dynamic_stack: false
    .vgpr_count:     0
    .vgpr_spill_count: 0
    .wavefront_size: 32
    .workgroup_processor_mode: 1
  - .args:
      - .offset:         0
        .size:           144
        .value_kind:     by_value
    .group_segment_fixed_size: 0
    .kernarg_segment_align: 8
    .kernarg_segment_size: 144
    .language:       OpenCL C
    .language_version:
      - 2
      - 0
    .max_flat_workgroup_size: 256
    .name:           _ZN7rocprim17ROCPRIM_400000_NS6detail17trampoline_kernelINS0_13select_configILj256ELj13ELNS0_17block_load_methodE3ELS4_3ELS4_3ELNS0_20block_scan_algorithmE0ELj4294967295EEENS1_25partition_config_selectorILNS1_17partition_subalgoE3EjNS0_10empty_typeEbEEZZNS1_14partition_implILS8_3ELb0ES6_jNS0_17counting_iteratorIjlEEPS9_SE_NS0_5tupleIJPjSE_EEENSF_IJSE_SE_EEES9_SG_JZNS1_25segmented_radix_sort_implINS0_14default_configELb1EPKiPiPKlPlN2at6native12_GLOBAL__N_18offset_tEEE10hipError_tPvRmT1_PNSt15iterator_traitsISY_E10value_typeET2_T3_PNSZ_IS14_E10value_typeET4_jRbjT5_S1A_jjP12ihipStream_tbEUljE_EEESV_SW_SX_S14_S18_S1A_T6_T7_T9_mT8_S1C_bDpT10_ENKUlT_T0_E_clISt17integral_constantIbLb1EES1O_IbLb0EEEEDaS1K_S1L_EUlS1K_E_NS1_11comp_targetILNS1_3genE5ELNS1_11target_archE942ELNS1_3gpuE9ELNS1_3repE0EEENS1_30default_config_static_selectorELNS0_4arch9wavefront6targetE0EEEvSY_
    .private_segment_fixed_size: 0
    .sgpr_count:     0
    .sgpr_spill_count: 0
    .symbol:         _ZN7rocprim17ROCPRIM_400000_NS6detail17trampoline_kernelINS0_13select_configILj256ELj13ELNS0_17block_load_methodE3ELS4_3ELS4_3ELNS0_20block_scan_algorithmE0ELj4294967295EEENS1_25partition_config_selectorILNS1_17partition_subalgoE3EjNS0_10empty_typeEbEEZZNS1_14partition_implILS8_3ELb0ES6_jNS0_17counting_iteratorIjlEEPS9_SE_NS0_5tupleIJPjSE_EEENSF_IJSE_SE_EEES9_SG_JZNS1_25segmented_radix_sort_implINS0_14default_configELb1EPKiPiPKlPlN2at6native12_GLOBAL__N_18offset_tEEE10hipError_tPvRmT1_PNSt15iterator_traitsISY_E10value_typeET2_T3_PNSZ_IS14_E10value_typeET4_jRbjT5_S1A_jjP12ihipStream_tbEUljE_EEESV_SW_SX_S14_S18_S1A_T6_T7_T9_mT8_S1C_bDpT10_ENKUlT_T0_E_clISt17integral_constantIbLb1EES1O_IbLb0EEEEDaS1K_S1L_EUlS1K_E_NS1_11comp_targetILNS1_3genE5ELNS1_11target_archE942ELNS1_3gpuE9ELNS1_3repE0EEENS1_30default_config_static_selectorELNS0_4arch9wavefront6targetE0EEEvSY_.kd
    .uniform_work_group_size: 1
    .uses_dynamic_stack: false
    .vgpr_count:     0
    .vgpr_spill_count: 0
    .wavefront_size: 32
    .workgroup_processor_mode: 1
  - .args:
      - .offset:         0
        .size:           144
        .value_kind:     by_value
    .group_segment_fixed_size: 0
    .kernarg_segment_align: 8
    .kernarg_segment_size: 144
    .language:       OpenCL C
    .language_version:
      - 2
      - 0
    .max_flat_workgroup_size: 256
    .name:           _ZN7rocprim17ROCPRIM_400000_NS6detail17trampoline_kernelINS0_13select_configILj256ELj13ELNS0_17block_load_methodE3ELS4_3ELS4_3ELNS0_20block_scan_algorithmE0ELj4294967295EEENS1_25partition_config_selectorILNS1_17partition_subalgoE3EjNS0_10empty_typeEbEEZZNS1_14partition_implILS8_3ELb0ES6_jNS0_17counting_iteratorIjlEEPS9_SE_NS0_5tupleIJPjSE_EEENSF_IJSE_SE_EEES9_SG_JZNS1_25segmented_radix_sort_implINS0_14default_configELb1EPKiPiPKlPlN2at6native12_GLOBAL__N_18offset_tEEE10hipError_tPvRmT1_PNSt15iterator_traitsISY_E10value_typeET2_T3_PNSZ_IS14_E10value_typeET4_jRbjT5_S1A_jjP12ihipStream_tbEUljE_EEESV_SW_SX_S14_S18_S1A_T6_T7_T9_mT8_S1C_bDpT10_ENKUlT_T0_E_clISt17integral_constantIbLb1EES1O_IbLb0EEEEDaS1K_S1L_EUlS1K_E_NS1_11comp_targetILNS1_3genE4ELNS1_11target_archE910ELNS1_3gpuE8ELNS1_3repE0EEENS1_30default_config_static_selectorELNS0_4arch9wavefront6targetE0EEEvSY_
    .private_segment_fixed_size: 0
    .sgpr_count:     0
    .sgpr_spill_count: 0
    .symbol:         _ZN7rocprim17ROCPRIM_400000_NS6detail17trampoline_kernelINS0_13select_configILj256ELj13ELNS0_17block_load_methodE3ELS4_3ELS4_3ELNS0_20block_scan_algorithmE0ELj4294967295EEENS1_25partition_config_selectorILNS1_17partition_subalgoE3EjNS0_10empty_typeEbEEZZNS1_14partition_implILS8_3ELb0ES6_jNS0_17counting_iteratorIjlEEPS9_SE_NS0_5tupleIJPjSE_EEENSF_IJSE_SE_EEES9_SG_JZNS1_25segmented_radix_sort_implINS0_14default_configELb1EPKiPiPKlPlN2at6native12_GLOBAL__N_18offset_tEEE10hipError_tPvRmT1_PNSt15iterator_traitsISY_E10value_typeET2_T3_PNSZ_IS14_E10value_typeET4_jRbjT5_S1A_jjP12ihipStream_tbEUljE_EEESV_SW_SX_S14_S18_S1A_T6_T7_T9_mT8_S1C_bDpT10_ENKUlT_T0_E_clISt17integral_constantIbLb1EES1O_IbLb0EEEEDaS1K_S1L_EUlS1K_E_NS1_11comp_targetILNS1_3genE4ELNS1_11target_archE910ELNS1_3gpuE8ELNS1_3repE0EEENS1_30default_config_static_selectorELNS0_4arch9wavefront6targetE0EEEvSY_.kd
    .uniform_work_group_size: 1
    .uses_dynamic_stack: false
    .vgpr_count:     0
    .vgpr_spill_count: 0
    .wavefront_size: 32
    .workgroup_processor_mode: 1
  - .args:
      - .offset:         0
        .size:           144
        .value_kind:     by_value
    .group_segment_fixed_size: 0
    .kernarg_segment_align: 8
    .kernarg_segment_size: 144
    .language:       OpenCL C
    .language_version:
      - 2
      - 0
    .max_flat_workgroup_size: 256
    .name:           _ZN7rocprim17ROCPRIM_400000_NS6detail17trampoline_kernelINS0_13select_configILj256ELj13ELNS0_17block_load_methodE3ELS4_3ELS4_3ELNS0_20block_scan_algorithmE0ELj4294967295EEENS1_25partition_config_selectorILNS1_17partition_subalgoE3EjNS0_10empty_typeEbEEZZNS1_14partition_implILS8_3ELb0ES6_jNS0_17counting_iteratorIjlEEPS9_SE_NS0_5tupleIJPjSE_EEENSF_IJSE_SE_EEES9_SG_JZNS1_25segmented_radix_sort_implINS0_14default_configELb1EPKiPiPKlPlN2at6native12_GLOBAL__N_18offset_tEEE10hipError_tPvRmT1_PNSt15iterator_traitsISY_E10value_typeET2_T3_PNSZ_IS14_E10value_typeET4_jRbjT5_S1A_jjP12ihipStream_tbEUljE_EEESV_SW_SX_S14_S18_S1A_T6_T7_T9_mT8_S1C_bDpT10_ENKUlT_T0_E_clISt17integral_constantIbLb1EES1O_IbLb0EEEEDaS1K_S1L_EUlS1K_E_NS1_11comp_targetILNS1_3genE3ELNS1_11target_archE908ELNS1_3gpuE7ELNS1_3repE0EEENS1_30default_config_static_selectorELNS0_4arch9wavefront6targetE0EEEvSY_
    .private_segment_fixed_size: 0
    .sgpr_count:     0
    .sgpr_spill_count: 0
    .symbol:         _ZN7rocprim17ROCPRIM_400000_NS6detail17trampoline_kernelINS0_13select_configILj256ELj13ELNS0_17block_load_methodE3ELS4_3ELS4_3ELNS0_20block_scan_algorithmE0ELj4294967295EEENS1_25partition_config_selectorILNS1_17partition_subalgoE3EjNS0_10empty_typeEbEEZZNS1_14partition_implILS8_3ELb0ES6_jNS0_17counting_iteratorIjlEEPS9_SE_NS0_5tupleIJPjSE_EEENSF_IJSE_SE_EEES9_SG_JZNS1_25segmented_radix_sort_implINS0_14default_configELb1EPKiPiPKlPlN2at6native12_GLOBAL__N_18offset_tEEE10hipError_tPvRmT1_PNSt15iterator_traitsISY_E10value_typeET2_T3_PNSZ_IS14_E10value_typeET4_jRbjT5_S1A_jjP12ihipStream_tbEUljE_EEESV_SW_SX_S14_S18_S1A_T6_T7_T9_mT8_S1C_bDpT10_ENKUlT_T0_E_clISt17integral_constantIbLb1EES1O_IbLb0EEEEDaS1K_S1L_EUlS1K_E_NS1_11comp_targetILNS1_3genE3ELNS1_11target_archE908ELNS1_3gpuE7ELNS1_3repE0EEENS1_30default_config_static_selectorELNS0_4arch9wavefront6targetE0EEEvSY_.kd
    .uniform_work_group_size: 1
    .uses_dynamic_stack: false
    .vgpr_count:     0
    .vgpr_spill_count: 0
    .wavefront_size: 32
    .workgroup_processor_mode: 1
  - .args:
      - .offset:         0
        .size:           144
        .value_kind:     by_value
    .group_segment_fixed_size: 0
    .kernarg_segment_align: 8
    .kernarg_segment_size: 144
    .language:       OpenCL C
    .language_version:
      - 2
      - 0
    .max_flat_workgroup_size: 256
    .name:           _ZN7rocprim17ROCPRIM_400000_NS6detail17trampoline_kernelINS0_13select_configILj256ELj13ELNS0_17block_load_methodE3ELS4_3ELS4_3ELNS0_20block_scan_algorithmE0ELj4294967295EEENS1_25partition_config_selectorILNS1_17partition_subalgoE3EjNS0_10empty_typeEbEEZZNS1_14partition_implILS8_3ELb0ES6_jNS0_17counting_iteratorIjlEEPS9_SE_NS0_5tupleIJPjSE_EEENSF_IJSE_SE_EEES9_SG_JZNS1_25segmented_radix_sort_implINS0_14default_configELb1EPKiPiPKlPlN2at6native12_GLOBAL__N_18offset_tEEE10hipError_tPvRmT1_PNSt15iterator_traitsISY_E10value_typeET2_T3_PNSZ_IS14_E10value_typeET4_jRbjT5_S1A_jjP12ihipStream_tbEUljE_EEESV_SW_SX_S14_S18_S1A_T6_T7_T9_mT8_S1C_bDpT10_ENKUlT_T0_E_clISt17integral_constantIbLb1EES1O_IbLb0EEEEDaS1K_S1L_EUlS1K_E_NS1_11comp_targetILNS1_3genE2ELNS1_11target_archE906ELNS1_3gpuE6ELNS1_3repE0EEENS1_30default_config_static_selectorELNS0_4arch9wavefront6targetE0EEEvSY_
    .private_segment_fixed_size: 0
    .sgpr_count:     0
    .sgpr_spill_count: 0
    .symbol:         _ZN7rocprim17ROCPRIM_400000_NS6detail17trampoline_kernelINS0_13select_configILj256ELj13ELNS0_17block_load_methodE3ELS4_3ELS4_3ELNS0_20block_scan_algorithmE0ELj4294967295EEENS1_25partition_config_selectorILNS1_17partition_subalgoE3EjNS0_10empty_typeEbEEZZNS1_14partition_implILS8_3ELb0ES6_jNS0_17counting_iteratorIjlEEPS9_SE_NS0_5tupleIJPjSE_EEENSF_IJSE_SE_EEES9_SG_JZNS1_25segmented_radix_sort_implINS0_14default_configELb1EPKiPiPKlPlN2at6native12_GLOBAL__N_18offset_tEEE10hipError_tPvRmT1_PNSt15iterator_traitsISY_E10value_typeET2_T3_PNSZ_IS14_E10value_typeET4_jRbjT5_S1A_jjP12ihipStream_tbEUljE_EEESV_SW_SX_S14_S18_S1A_T6_T7_T9_mT8_S1C_bDpT10_ENKUlT_T0_E_clISt17integral_constantIbLb1EES1O_IbLb0EEEEDaS1K_S1L_EUlS1K_E_NS1_11comp_targetILNS1_3genE2ELNS1_11target_archE906ELNS1_3gpuE6ELNS1_3repE0EEENS1_30default_config_static_selectorELNS0_4arch9wavefront6targetE0EEEvSY_.kd
    .uniform_work_group_size: 1
    .uses_dynamic_stack: false
    .vgpr_count:     0
    .vgpr_spill_count: 0
    .wavefront_size: 32
    .workgroup_processor_mode: 1
  - .args:
      - .offset:         0
        .size:           144
        .value_kind:     by_value
    .group_segment_fixed_size: 0
    .kernarg_segment_align: 8
    .kernarg_segment_size: 144
    .language:       OpenCL C
    .language_version:
      - 2
      - 0
    .max_flat_workgroup_size: 256
    .name:           _ZN7rocprim17ROCPRIM_400000_NS6detail17trampoline_kernelINS0_13select_configILj256ELj13ELNS0_17block_load_methodE3ELS4_3ELS4_3ELNS0_20block_scan_algorithmE0ELj4294967295EEENS1_25partition_config_selectorILNS1_17partition_subalgoE3EjNS0_10empty_typeEbEEZZNS1_14partition_implILS8_3ELb0ES6_jNS0_17counting_iteratorIjlEEPS9_SE_NS0_5tupleIJPjSE_EEENSF_IJSE_SE_EEES9_SG_JZNS1_25segmented_radix_sort_implINS0_14default_configELb1EPKiPiPKlPlN2at6native12_GLOBAL__N_18offset_tEEE10hipError_tPvRmT1_PNSt15iterator_traitsISY_E10value_typeET2_T3_PNSZ_IS14_E10value_typeET4_jRbjT5_S1A_jjP12ihipStream_tbEUljE_EEESV_SW_SX_S14_S18_S1A_T6_T7_T9_mT8_S1C_bDpT10_ENKUlT_T0_E_clISt17integral_constantIbLb1EES1O_IbLb0EEEEDaS1K_S1L_EUlS1K_E_NS1_11comp_targetILNS1_3genE10ELNS1_11target_archE1200ELNS1_3gpuE4ELNS1_3repE0EEENS1_30default_config_static_selectorELNS0_4arch9wavefront6targetE0EEEvSY_
    .private_segment_fixed_size: 0
    .sgpr_count:     0
    .sgpr_spill_count: 0
    .symbol:         _ZN7rocprim17ROCPRIM_400000_NS6detail17trampoline_kernelINS0_13select_configILj256ELj13ELNS0_17block_load_methodE3ELS4_3ELS4_3ELNS0_20block_scan_algorithmE0ELj4294967295EEENS1_25partition_config_selectorILNS1_17partition_subalgoE3EjNS0_10empty_typeEbEEZZNS1_14partition_implILS8_3ELb0ES6_jNS0_17counting_iteratorIjlEEPS9_SE_NS0_5tupleIJPjSE_EEENSF_IJSE_SE_EEES9_SG_JZNS1_25segmented_radix_sort_implINS0_14default_configELb1EPKiPiPKlPlN2at6native12_GLOBAL__N_18offset_tEEE10hipError_tPvRmT1_PNSt15iterator_traitsISY_E10value_typeET2_T3_PNSZ_IS14_E10value_typeET4_jRbjT5_S1A_jjP12ihipStream_tbEUljE_EEESV_SW_SX_S14_S18_S1A_T6_T7_T9_mT8_S1C_bDpT10_ENKUlT_T0_E_clISt17integral_constantIbLb1EES1O_IbLb0EEEEDaS1K_S1L_EUlS1K_E_NS1_11comp_targetILNS1_3genE10ELNS1_11target_archE1200ELNS1_3gpuE4ELNS1_3repE0EEENS1_30default_config_static_selectorELNS0_4arch9wavefront6targetE0EEEvSY_.kd
    .uniform_work_group_size: 1
    .uses_dynamic_stack: false
    .vgpr_count:     0
    .vgpr_spill_count: 0
    .wavefront_size: 32
    .workgroup_processor_mode: 1
  - .args:
      - .offset:         0
        .size:           144
        .value_kind:     by_value
    .group_segment_fixed_size: 13324
    .kernarg_segment_align: 8
    .kernarg_segment_size: 144
    .language:       OpenCL C
    .language_version:
      - 2
      - 0
    .max_flat_workgroup_size: 256
    .name:           _ZN7rocprim17ROCPRIM_400000_NS6detail17trampoline_kernelINS0_13select_configILj256ELj13ELNS0_17block_load_methodE3ELS4_3ELS4_3ELNS0_20block_scan_algorithmE0ELj4294967295EEENS1_25partition_config_selectorILNS1_17partition_subalgoE3EjNS0_10empty_typeEbEEZZNS1_14partition_implILS8_3ELb0ES6_jNS0_17counting_iteratorIjlEEPS9_SE_NS0_5tupleIJPjSE_EEENSF_IJSE_SE_EEES9_SG_JZNS1_25segmented_radix_sort_implINS0_14default_configELb1EPKiPiPKlPlN2at6native12_GLOBAL__N_18offset_tEEE10hipError_tPvRmT1_PNSt15iterator_traitsISY_E10value_typeET2_T3_PNSZ_IS14_E10value_typeET4_jRbjT5_S1A_jjP12ihipStream_tbEUljE_EEESV_SW_SX_S14_S18_S1A_T6_T7_T9_mT8_S1C_bDpT10_ENKUlT_T0_E_clISt17integral_constantIbLb1EES1O_IbLb0EEEEDaS1K_S1L_EUlS1K_E_NS1_11comp_targetILNS1_3genE9ELNS1_11target_archE1100ELNS1_3gpuE3ELNS1_3repE0EEENS1_30default_config_static_selectorELNS0_4arch9wavefront6targetE0EEEvSY_
    .private_segment_fixed_size: 0
    .sgpr_count:     30
    .sgpr_spill_count: 0
    .symbol:         _ZN7rocprim17ROCPRIM_400000_NS6detail17trampoline_kernelINS0_13select_configILj256ELj13ELNS0_17block_load_methodE3ELS4_3ELS4_3ELNS0_20block_scan_algorithmE0ELj4294967295EEENS1_25partition_config_selectorILNS1_17partition_subalgoE3EjNS0_10empty_typeEbEEZZNS1_14partition_implILS8_3ELb0ES6_jNS0_17counting_iteratorIjlEEPS9_SE_NS0_5tupleIJPjSE_EEENSF_IJSE_SE_EEES9_SG_JZNS1_25segmented_radix_sort_implINS0_14default_configELb1EPKiPiPKlPlN2at6native12_GLOBAL__N_18offset_tEEE10hipError_tPvRmT1_PNSt15iterator_traitsISY_E10value_typeET2_T3_PNSZ_IS14_E10value_typeET4_jRbjT5_S1A_jjP12ihipStream_tbEUljE_EEESV_SW_SX_S14_S18_S1A_T6_T7_T9_mT8_S1C_bDpT10_ENKUlT_T0_E_clISt17integral_constantIbLb1EES1O_IbLb0EEEEDaS1K_S1L_EUlS1K_E_NS1_11comp_targetILNS1_3genE9ELNS1_11target_archE1100ELNS1_3gpuE3ELNS1_3repE0EEENS1_30default_config_static_selectorELNS0_4arch9wavefront6targetE0EEEvSY_.kd
    .uniform_work_group_size: 1
    .uses_dynamic_stack: false
    .vgpr_count:     57
    .vgpr_spill_count: 0
    .wavefront_size: 32
    .workgroup_processor_mode: 1
  - .args:
      - .offset:         0
        .size:           144
        .value_kind:     by_value
    .group_segment_fixed_size: 0
    .kernarg_segment_align: 8
    .kernarg_segment_size: 144
    .language:       OpenCL C
    .language_version:
      - 2
      - 0
    .max_flat_workgroup_size: 256
    .name:           _ZN7rocprim17ROCPRIM_400000_NS6detail17trampoline_kernelINS0_13select_configILj256ELj13ELNS0_17block_load_methodE3ELS4_3ELS4_3ELNS0_20block_scan_algorithmE0ELj4294967295EEENS1_25partition_config_selectorILNS1_17partition_subalgoE3EjNS0_10empty_typeEbEEZZNS1_14partition_implILS8_3ELb0ES6_jNS0_17counting_iteratorIjlEEPS9_SE_NS0_5tupleIJPjSE_EEENSF_IJSE_SE_EEES9_SG_JZNS1_25segmented_radix_sort_implINS0_14default_configELb1EPKiPiPKlPlN2at6native12_GLOBAL__N_18offset_tEEE10hipError_tPvRmT1_PNSt15iterator_traitsISY_E10value_typeET2_T3_PNSZ_IS14_E10value_typeET4_jRbjT5_S1A_jjP12ihipStream_tbEUljE_EEESV_SW_SX_S14_S18_S1A_T6_T7_T9_mT8_S1C_bDpT10_ENKUlT_T0_E_clISt17integral_constantIbLb1EES1O_IbLb0EEEEDaS1K_S1L_EUlS1K_E_NS1_11comp_targetILNS1_3genE8ELNS1_11target_archE1030ELNS1_3gpuE2ELNS1_3repE0EEENS1_30default_config_static_selectorELNS0_4arch9wavefront6targetE0EEEvSY_
    .private_segment_fixed_size: 0
    .sgpr_count:     0
    .sgpr_spill_count: 0
    .symbol:         _ZN7rocprim17ROCPRIM_400000_NS6detail17trampoline_kernelINS0_13select_configILj256ELj13ELNS0_17block_load_methodE3ELS4_3ELS4_3ELNS0_20block_scan_algorithmE0ELj4294967295EEENS1_25partition_config_selectorILNS1_17partition_subalgoE3EjNS0_10empty_typeEbEEZZNS1_14partition_implILS8_3ELb0ES6_jNS0_17counting_iteratorIjlEEPS9_SE_NS0_5tupleIJPjSE_EEENSF_IJSE_SE_EEES9_SG_JZNS1_25segmented_radix_sort_implINS0_14default_configELb1EPKiPiPKlPlN2at6native12_GLOBAL__N_18offset_tEEE10hipError_tPvRmT1_PNSt15iterator_traitsISY_E10value_typeET2_T3_PNSZ_IS14_E10value_typeET4_jRbjT5_S1A_jjP12ihipStream_tbEUljE_EEESV_SW_SX_S14_S18_S1A_T6_T7_T9_mT8_S1C_bDpT10_ENKUlT_T0_E_clISt17integral_constantIbLb1EES1O_IbLb0EEEEDaS1K_S1L_EUlS1K_E_NS1_11comp_targetILNS1_3genE8ELNS1_11target_archE1030ELNS1_3gpuE2ELNS1_3repE0EEENS1_30default_config_static_selectorELNS0_4arch9wavefront6targetE0EEEvSY_.kd
    .uniform_work_group_size: 1
    .uses_dynamic_stack: false
    .vgpr_count:     0
    .vgpr_spill_count: 0
    .wavefront_size: 32
    .workgroup_processor_mode: 1
  - .args:
      - .offset:         0
        .size:           152
        .value_kind:     by_value
    .group_segment_fixed_size: 0
    .kernarg_segment_align: 8
    .kernarg_segment_size: 152
    .language:       OpenCL C
    .language_version:
      - 2
      - 0
    .max_flat_workgroup_size: 256
    .name:           _ZN7rocprim17ROCPRIM_400000_NS6detail17trampoline_kernelINS0_13select_configILj256ELj13ELNS0_17block_load_methodE3ELS4_3ELS4_3ELNS0_20block_scan_algorithmE0ELj4294967295EEENS1_25partition_config_selectorILNS1_17partition_subalgoE3EjNS0_10empty_typeEbEEZZNS1_14partition_implILS8_3ELb0ES6_jNS0_17counting_iteratorIjlEEPS9_SE_NS0_5tupleIJPjSE_EEENSF_IJSE_SE_EEES9_SG_JZNS1_25segmented_radix_sort_implINS0_14default_configELb1EPKiPiPKlPlN2at6native12_GLOBAL__N_18offset_tEEE10hipError_tPvRmT1_PNSt15iterator_traitsISY_E10value_typeET2_T3_PNSZ_IS14_E10value_typeET4_jRbjT5_S1A_jjP12ihipStream_tbEUljE_EEESV_SW_SX_S14_S18_S1A_T6_T7_T9_mT8_S1C_bDpT10_ENKUlT_T0_E_clISt17integral_constantIbLb0EES1O_IbLb1EEEEDaS1K_S1L_EUlS1K_E_NS1_11comp_targetILNS1_3genE0ELNS1_11target_archE4294967295ELNS1_3gpuE0ELNS1_3repE0EEENS1_30default_config_static_selectorELNS0_4arch9wavefront6targetE0EEEvSY_
    .private_segment_fixed_size: 0
    .sgpr_count:     0
    .sgpr_spill_count: 0
    .symbol:         _ZN7rocprim17ROCPRIM_400000_NS6detail17trampoline_kernelINS0_13select_configILj256ELj13ELNS0_17block_load_methodE3ELS4_3ELS4_3ELNS0_20block_scan_algorithmE0ELj4294967295EEENS1_25partition_config_selectorILNS1_17partition_subalgoE3EjNS0_10empty_typeEbEEZZNS1_14partition_implILS8_3ELb0ES6_jNS0_17counting_iteratorIjlEEPS9_SE_NS0_5tupleIJPjSE_EEENSF_IJSE_SE_EEES9_SG_JZNS1_25segmented_radix_sort_implINS0_14default_configELb1EPKiPiPKlPlN2at6native12_GLOBAL__N_18offset_tEEE10hipError_tPvRmT1_PNSt15iterator_traitsISY_E10value_typeET2_T3_PNSZ_IS14_E10value_typeET4_jRbjT5_S1A_jjP12ihipStream_tbEUljE_EEESV_SW_SX_S14_S18_S1A_T6_T7_T9_mT8_S1C_bDpT10_ENKUlT_T0_E_clISt17integral_constantIbLb0EES1O_IbLb1EEEEDaS1K_S1L_EUlS1K_E_NS1_11comp_targetILNS1_3genE0ELNS1_11target_archE4294967295ELNS1_3gpuE0ELNS1_3repE0EEENS1_30default_config_static_selectorELNS0_4arch9wavefront6targetE0EEEvSY_.kd
    .uniform_work_group_size: 1
    .uses_dynamic_stack: false
    .vgpr_count:     0
    .vgpr_spill_count: 0
    .wavefront_size: 32
    .workgroup_processor_mode: 1
  - .args:
      - .offset:         0
        .size:           152
        .value_kind:     by_value
    .group_segment_fixed_size: 0
    .kernarg_segment_align: 8
    .kernarg_segment_size: 152
    .language:       OpenCL C
    .language_version:
      - 2
      - 0
    .max_flat_workgroup_size: 256
    .name:           _ZN7rocprim17ROCPRIM_400000_NS6detail17trampoline_kernelINS0_13select_configILj256ELj13ELNS0_17block_load_methodE3ELS4_3ELS4_3ELNS0_20block_scan_algorithmE0ELj4294967295EEENS1_25partition_config_selectorILNS1_17partition_subalgoE3EjNS0_10empty_typeEbEEZZNS1_14partition_implILS8_3ELb0ES6_jNS0_17counting_iteratorIjlEEPS9_SE_NS0_5tupleIJPjSE_EEENSF_IJSE_SE_EEES9_SG_JZNS1_25segmented_radix_sort_implINS0_14default_configELb1EPKiPiPKlPlN2at6native12_GLOBAL__N_18offset_tEEE10hipError_tPvRmT1_PNSt15iterator_traitsISY_E10value_typeET2_T3_PNSZ_IS14_E10value_typeET4_jRbjT5_S1A_jjP12ihipStream_tbEUljE_EEESV_SW_SX_S14_S18_S1A_T6_T7_T9_mT8_S1C_bDpT10_ENKUlT_T0_E_clISt17integral_constantIbLb0EES1O_IbLb1EEEEDaS1K_S1L_EUlS1K_E_NS1_11comp_targetILNS1_3genE5ELNS1_11target_archE942ELNS1_3gpuE9ELNS1_3repE0EEENS1_30default_config_static_selectorELNS0_4arch9wavefront6targetE0EEEvSY_
    .private_segment_fixed_size: 0
    .sgpr_count:     0
    .sgpr_spill_count: 0
    .symbol:         _ZN7rocprim17ROCPRIM_400000_NS6detail17trampoline_kernelINS0_13select_configILj256ELj13ELNS0_17block_load_methodE3ELS4_3ELS4_3ELNS0_20block_scan_algorithmE0ELj4294967295EEENS1_25partition_config_selectorILNS1_17partition_subalgoE3EjNS0_10empty_typeEbEEZZNS1_14partition_implILS8_3ELb0ES6_jNS0_17counting_iteratorIjlEEPS9_SE_NS0_5tupleIJPjSE_EEENSF_IJSE_SE_EEES9_SG_JZNS1_25segmented_radix_sort_implINS0_14default_configELb1EPKiPiPKlPlN2at6native12_GLOBAL__N_18offset_tEEE10hipError_tPvRmT1_PNSt15iterator_traitsISY_E10value_typeET2_T3_PNSZ_IS14_E10value_typeET4_jRbjT5_S1A_jjP12ihipStream_tbEUljE_EEESV_SW_SX_S14_S18_S1A_T6_T7_T9_mT8_S1C_bDpT10_ENKUlT_T0_E_clISt17integral_constantIbLb0EES1O_IbLb1EEEEDaS1K_S1L_EUlS1K_E_NS1_11comp_targetILNS1_3genE5ELNS1_11target_archE942ELNS1_3gpuE9ELNS1_3repE0EEENS1_30default_config_static_selectorELNS0_4arch9wavefront6targetE0EEEvSY_.kd
    .uniform_work_group_size: 1
    .uses_dynamic_stack: false
    .vgpr_count:     0
    .vgpr_spill_count: 0
    .wavefront_size: 32
    .workgroup_processor_mode: 1
  - .args:
      - .offset:         0
        .size:           152
        .value_kind:     by_value
    .group_segment_fixed_size: 0
    .kernarg_segment_align: 8
    .kernarg_segment_size: 152
    .language:       OpenCL C
    .language_version:
      - 2
      - 0
    .max_flat_workgroup_size: 256
    .name:           _ZN7rocprim17ROCPRIM_400000_NS6detail17trampoline_kernelINS0_13select_configILj256ELj13ELNS0_17block_load_methodE3ELS4_3ELS4_3ELNS0_20block_scan_algorithmE0ELj4294967295EEENS1_25partition_config_selectorILNS1_17partition_subalgoE3EjNS0_10empty_typeEbEEZZNS1_14partition_implILS8_3ELb0ES6_jNS0_17counting_iteratorIjlEEPS9_SE_NS0_5tupleIJPjSE_EEENSF_IJSE_SE_EEES9_SG_JZNS1_25segmented_radix_sort_implINS0_14default_configELb1EPKiPiPKlPlN2at6native12_GLOBAL__N_18offset_tEEE10hipError_tPvRmT1_PNSt15iterator_traitsISY_E10value_typeET2_T3_PNSZ_IS14_E10value_typeET4_jRbjT5_S1A_jjP12ihipStream_tbEUljE_EEESV_SW_SX_S14_S18_S1A_T6_T7_T9_mT8_S1C_bDpT10_ENKUlT_T0_E_clISt17integral_constantIbLb0EES1O_IbLb1EEEEDaS1K_S1L_EUlS1K_E_NS1_11comp_targetILNS1_3genE4ELNS1_11target_archE910ELNS1_3gpuE8ELNS1_3repE0EEENS1_30default_config_static_selectorELNS0_4arch9wavefront6targetE0EEEvSY_
    .private_segment_fixed_size: 0
    .sgpr_count:     0
    .sgpr_spill_count: 0
    .symbol:         _ZN7rocprim17ROCPRIM_400000_NS6detail17trampoline_kernelINS0_13select_configILj256ELj13ELNS0_17block_load_methodE3ELS4_3ELS4_3ELNS0_20block_scan_algorithmE0ELj4294967295EEENS1_25partition_config_selectorILNS1_17partition_subalgoE3EjNS0_10empty_typeEbEEZZNS1_14partition_implILS8_3ELb0ES6_jNS0_17counting_iteratorIjlEEPS9_SE_NS0_5tupleIJPjSE_EEENSF_IJSE_SE_EEES9_SG_JZNS1_25segmented_radix_sort_implINS0_14default_configELb1EPKiPiPKlPlN2at6native12_GLOBAL__N_18offset_tEEE10hipError_tPvRmT1_PNSt15iterator_traitsISY_E10value_typeET2_T3_PNSZ_IS14_E10value_typeET4_jRbjT5_S1A_jjP12ihipStream_tbEUljE_EEESV_SW_SX_S14_S18_S1A_T6_T7_T9_mT8_S1C_bDpT10_ENKUlT_T0_E_clISt17integral_constantIbLb0EES1O_IbLb1EEEEDaS1K_S1L_EUlS1K_E_NS1_11comp_targetILNS1_3genE4ELNS1_11target_archE910ELNS1_3gpuE8ELNS1_3repE0EEENS1_30default_config_static_selectorELNS0_4arch9wavefront6targetE0EEEvSY_.kd
    .uniform_work_group_size: 1
    .uses_dynamic_stack: false
    .vgpr_count:     0
    .vgpr_spill_count: 0
    .wavefront_size: 32
    .workgroup_processor_mode: 1
  - .args:
      - .offset:         0
        .size:           152
        .value_kind:     by_value
    .group_segment_fixed_size: 0
    .kernarg_segment_align: 8
    .kernarg_segment_size: 152
    .language:       OpenCL C
    .language_version:
      - 2
      - 0
    .max_flat_workgroup_size: 256
    .name:           _ZN7rocprim17ROCPRIM_400000_NS6detail17trampoline_kernelINS0_13select_configILj256ELj13ELNS0_17block_load_methodE3ELS4_3ELS4_3ELNS0_20block_scan_algorithmE0ELj4294967295EEENS1_25partition_config_selectorILNS1_17partition_subalgoE3EjNS0_10empty_typeEbEEZZNS1_14partition_implILS8_3ELb0ES6_jNS0_17counting_iteratorIjlEEPS9_SE_NS0_5tupleIJPjSE_EEENSF_IJSE_SE_EEES9_SG_JZNS1_25segmented_radix_sort_implINS0_14default_configELb1EPKiPiPKlPlN2at6native12_GLOBAL__N_18offset_tEEE10hipError_tPvRmT1_PNSt15iterator_traitsISY_E10value_typeET2_T3_PNSZ_IS14_E10value_typeET4_jRbjT5_S1A_jjP12ihipStream_tbEUljE_EEESV_SW_SX_S14_S18_S1A_T6_T7_T9_mT8_S1C_bDpT10_ENKUlT_T0_E_clISt17integral_constantIbLb0EES1O_IbLb1EEEEDaS1K_S1L_EUlS1K_E_NS1_11comp_targetILNS1_3genE3ELNS1_11target_archE908ELNS1_3gpuE7ELNS1_3repE0EEENS1_30default_config_static_selectorELNS0_4arch9wavefront6targetE0EEEvSY_
    .private_segment_fixed_size: 0
    .sgpr_count:     0
    .sgpr_spill_count: 0
    .symbol:         _ZN7rocprim17ROCPRIM_400000_NS6detail17trampoline_kernelINS0_13select_configILj256ELj13ELNS0_17block_load_methodE3ELS4_3ELS4_3ELNS0_20block_scan_algorithmE0ELj4294967295EEENS1_25partition_config_selectorILNS1_17partition_subalgoE3EjNS0_10empty_typeEbEEZZNS1_14partition_implILS8_3ELb0ES6_jNS0_17counting_iteratorIjlEEPS9_SE_NS0_5tupleIJPjSE_EEENSF_IJSE_SE_EEES9_SG_JZNS1_25segmented_radix_sort_implINS0_14default_configELb1EPKiPiPKlPlN2at6native12_GLOBAL__N_18offset_tEEE10hipError_tPvRmT1_PNSt15iterator_traitsISY_E10value_typeET2_T3_PNSZ_IS14_E10value_typeET4_jRbjT5_S1A_jjP12ihipStream_tbEUljE_EEESV_SW_SX_S14_S18_S1A_T6_T7_T9_mT8_S1C_bDpT10_ENKUlT_T0_E_clISt17integral_constantIbLb0EES1O_IbLb1EEEEDaS1K_S1L_EUlS1K_E_NS1_11comp_targetILNS1_3genE3ELNS1_11target_archE908ELNS1_3gpuE7ELNS1_3repE0EEENS1_30default_config_static_selectorELNS0_4arch9wavefront6targetE0EEEvSY_.kd
    .uniform_work_group_size: 1
    .uses_dynamic_stack: false
    .vgpr_count:     0
    .vgpr_spill_count: 0
    .wavefront_size: 32
    .workgroup_processor_mode: 1
  - .args:
      - .offset:         0
        .size:           152
        .value_kind:     by_value
    .group_segment_fixed_size: 0
    .kernarg_segment_align: 8
    .kernarg_segment_size: 152
    .language:       OpenCL C
    .language_version:
      - 2
      - 0
    .max_flat_workgroup_size: 256
    .name:           _ZN7rocprim17ROCPRIM_400000_NS6detail17trampoline_kernelINS0_13select_configILj256ELj13ELNS0_17block_load_methodE3ELS4_3ELS4_3ELNS0_20block_scan_algorithmE0ELj4294967295EEENS1_25partition_config_selectorILNS1_17partition_subalgoE3EjNS0_10empty_typeEbEEZZNS1_14partition_implILS8_3ELb0ES6_jNS0_17counting_iteratorIjlEEPS9_SE_NS0_5tupleIJPjSE_EEENSF_IJSE_SE_EEES9_SG_JZNS1_25segmented_radix_sort_implINS0_14default_configELb1EPKiPiPKlPlN2at6native12_GLOBAL__N_18offset_tEEE10hipError_tPvRmT1_PNSt15iterator_traitsISY_E10value_typeET2_T3_PNSZ_IS14_E10value_typeET4_jRbjT5_S1A_jjP12ihipStream_tbEUljE_EEESV_SW_SX_S14_S18_S1A_T6_T7_T9_mT8_S1C_bDpT10_ENKUlT_T0_E_clISt17integral_constantIbLb0EES1O_IbLb1EEEEDaS1K_S1L_EUlS1K_E_NS1_11comp_targetILNS1_3genE2ELNS1_11target_archE906ELNS1_3gpuE6ELNS1_3repE0EEENS1_30default_config_static_selectorELNS0_4arch9wavefront6targetE0EEEvSY_
    .private_segment_fixed_size: 0
    .sgpr_count:     0
    .sgpr_spill_count: 0
    .symbol:         _ZN7rocprim17ROCPRIM_400000_NS6detail17trampoline_kernelINS0_13select_configILj256ELj13ELNS0_17block_load_methodE3ELS4_3ELS4_3ELNS0_20block_scan_algorithmE0ELj4294967295EEENS1_25partition_config_selectorILNS1_17partition_subalgoE3EjNS0_10empty_typeEbEEZZNS1_14partition_implILS8_3ELb0ES6_jNS0_17counting_iteratorIjlEEPS9_SE_NS0_5tupleIJPjSE_EEENSF_IJSE_SE_EEES9_SG_JZNS1_25segmented_radix_sort_implINS0_14default_configELb1EPKiPiPKlPlN2at6native12_GLOBAL__N_18offset_tEEE10hipError_tPvRmT1_PNSt15iterator_traitsISY_E10value_typeET2_T3_PNSZ_IS14_E10value_typeET4_jRbjT5_S1A_jjP12ihipStream_tbEUljE_EEESV_SW_SX_S14_S18_S1A_T6_T7_T9_mT8_S1C_bDpT10_ENKUlT_T0_E_clISt17integral_constantIbLb0EES1O_IbLb1EEEEDaS1K_S1L_EUlS1K_E_NS1_11comp_targetILNS1_3genE2ELNS1_11target_archE906ELNS1_3gpuE6ELNS1_3repE0EEENS1_30default_config_static_selectorELNS0_4arch9wavefront6targetE0EEEvSY_.kd
    .uniform_work_group_size: 1
    .uses_dynamic_stack: false
    .vgpr_count:     0
    .vgpr_spill_count: 0
    .wavefront_size: 32
    .workgroup_processor_mode: 1
  - .args:
      - .offset:         0
        .size:           152
        .value_kind:     by_value
    .group_segment_fixed_size: 0
    .kernarg_segment_align: 8
    .kernarg_segment_size: 152
    .language:       OpenCL C
    .language_version:
      - 2
      - 0
    .max_flat_workgroup_size: 256
    .name:           _ZN7rocprim17ROCPRIM_400000_NS6detail17trampoline_kernelINS0_13select_configILj256ELj13ELNS0_17block_load_methodE3ELS4_3ELS4_3ELNS0_20block_scan_algorithmE0ELj4294967295EEENS1_25partition_config_selectorILNS1_17partition_subalgoE3EjNS0_10empty_typeEbEEZZNS1_14partition_implILS8_3ELb0ES6_jNS0_17counting_iteratorIjlEEPS9_SE_NS0_5tupleIJPjSE_EEENSF_IJSE_SE_EEES9_SG_JZNS1_25segmented_radix_sort_implINS0_14default_configELb1EPKiPiPKlPlN2at6native12_GLOBAL__N_18offset_tEEE10hipError_tPvRmT1_PNSt15iterator_traitsISY_E10value_typeET2_T3_PNSZ_IS14_E10value_typeET4_jRbjT5_S1A_jjP12ihipStream_tbEUljE_EEESV_SW_SX_S14_S18_S1A_T6_T7_T9_mT8_S1C_bDpT10_ENKUlT_T0_E_clISt17integral_constantIbLb0EES1O_IbLb1EEEEDaS1K_S1L_EUlS1K_E_NS1_11comp_targetILNS1_3genE10ELNS1_11target_archE1200ELNS1_3gpuE4ELNS1_3repE0EEENS1_30default_config_static_selectorELNS0_4arch9wavefront6targetE0EEEvSY_
    .private_segment_fixed_size: 0
    .sgpr_count:     0
    .sgpr_spill_count: 0
    .symbol:         _ZN7rocprim17ROCPRIM_400000_NS6detail17trampoline_kernelINS0_13select_configILj256ELj13ELNS0_17block_load_methodE3ELS4_3ELS4_3ELNS0_20block_scan_algorithmE0ELj4294967295EEENS1_25partition_config_selectorILNS1_17partition_subalgoE3EjNS0_10empty_typeEbEEZZNS1_14partition_implILS8_3ELb0ES6_jNS0_17counting_iteratorIjlEEPS9_SE_NS0_5tupleIJPjSE_EEENSF_IJSE_SE_EEES9_SG_JZNS1_25segmented_radix_sort_implINS0_14default_configELb1EPKiPiPKlPlN2at6native12_GLOBAL__N_18offset_tEEE10hipError_tPvRmT1_PNSt15iterator_traitsISY_E10value_typeET2_T3_PNSZ_IS14_E10value_typeET4_jRbjT5_S1A_jjP12ihipStream_tbEUljE_EEESV_SW_SX_S14_S18_S1A_T6_T7_T9_mT8_S1C_bDpT10_ENKUlT_T0_E_clISt17integral_constantIbLb0EES1O_IbLb1EEEEDaS1K_S1L_EUlS1K_E_NS1_11comp_targetILNS1_3genE10ELNS1_11target_archE1200ELNS1_3gpuE4ELNS1_3repE0EEENS1_30default_config_static_selectorELNS0_4arch9wavefront6targetE0EEEvSY_.kd
    .uniform_work_group_size: 1
    .uses_dynamic_stack: false
    .vgpr_count:     0
    .vgpr_spill_count: 0
    .wavefront_size: 32
    .workgroup_processor_mode: 1
  - .args:
      - .offset:         0
        .size:           152
        .value_kind:     by_value
    .group_segment_fixed_size: 13324
    .kernarg_segment_align: 8
    .kernarg_segment_size: 152
    .language:       OpenCL C
    .language_version:
      - 2
      - 0
    .max_flat_workgroup_size: 256
    .name:           _ZN7rocprim17ROCPRIM_400000_NS6detail17trampoline_kernelINS0_13select_configILj256ELj13ELNS0_17block_load_methodE3ELS4_3ELS4_3ELNS0_20block_scan_algorithmE0ELj4294967295EEENS1_25partition_config_selectorILNS1_17partition_subalgoE3EjNS0_10empty_typeEbEEZZNS1_14partition_implILS8_3ELb0ES6_jNS0_17counting_iteratorIjlEEPS9_SE_NS0_5tupleIJPjSE_EEENSF_IJSE_SE_EEES9_SG_JZNS1_25segmented_radix_sort_implINS0_14default_configELb1EPKiPiPKlPlN2at6native12_GLOBAL__N_18offset_tEEE10hipError_tPvRmT1_PNSt15iterator_traitsISY_E10value_typeET2_T3_PNSZ_IS14_E10value_typeET4_jRbjT5_S1A_jjP12ihipStream_tbEUljE_EEESV_SW_SX_S14_S18_S1A_T6_T7_T9_mT8_S1C_bDpT10_ENKUlT_T0_E_clISt17integral_constantIbLb0EES1O_IbLb1EEEEDaS1K_S1L_EUlS1K_E_NS1_11comp_targetILNS1_3genE9ELNS1_11target_archE1100ELNS1_3gpuE3ELNS1_3repE0EEENS1_30default_config_static_selectorELNS0_4arch9wavefront6targetE0EEEvSY_
    .private_segment_fixed_size: 0
    .sgpr_count:     28
    .sgpr_spill_count: 0
    .symbol:         _ZN7rocprim17ROCPRIM_400000_NS6detail17trampoline_kernelINS0_13select_configILj256ELj13ELNS0_17block_load_methodE3ELS4_3ELS4_3ELNS0_20block_scan_algorithmE0ELj4294967295EEENS1_25partition_config_selectorILNS1_17partition_subalgoE3EjNS0_10empty_typeEbEEZZNS1_14partition_implILS8_3ELb0ES6_jNS0_17counting_iteratorIjlEEPS9_SE_NS0_5tupleIJPjSE_EEENSF_IJSE_SE_EEES9_SG_JZNS1_25segmented_radix_sort_implINS0_14default_configELb1EPKiPiPKlPlN2at6native12_GLOBAL__N_18offset_tEEE10hipError_tPvRmT1_PNSt15iterator_traitsISY_E10value_typeET2_T3_PNSZ_IS14_E10value_typeET4_jRbjT5_S1A_jjP12ihipStream_tbEUljE_EEESV_SW_SX_S14_S18_S1A_T6_T7_T9_mT8_S1C_bDpT10_ENKUlT_T0_E_clISt17integral_constantIbLb0EES1O_IbLb1EEEEDaS1K_S1L_EUlS1K_E_NS1_11comp_targetILNS1_3genE9ELNS1_11target_archE1100ELNS1_3gpuE3ELNS1_3repE0EEENS1_30default_config_static_selectorELNS0_4arch9wavefront6targetE0EEEvSY_.kd
    .uniform_work_group_size: 1
    .uses_dynamic_stack: false
    .vgpr_count:     60
    .vgpr_spill_count: 0
    .wavefront_size: 32
    .workgroup_processor_mode: 1
  - .args:
      - .offset:         0
        .size:           152
        .value_kind:     by_value
    .group_segment_fixed_size: 0
    .kernarg_segment_align: 8
    .kernarg_segment_size: 152
    .language:       OpenCL C
    .language_version:
      - 2
      - 0
    .max_flat_workgroup_size: 256
    .name:           _ZN7rocprim17ROCPRIM_400000_NS6detail17trampoline_kernelINS0_13select_configILj256ELj13ELNS0_17block_load_methodE3ELS4_3ELS4_3ELNS0_20block_scan_algorithmE0ELj4294967295EEENS1_25partition_config_selectorILNS1_17partition_subalgoE3EjNS0_10empty_typeEbEEZZNS1_14partition_implILS8_3ELb0ES6_jNS0_17counting_iteratorIjlEEPS9_SE_NS0_5tupleIJPjSE_EEENSF_IJSE_SE_EEES9_SG_JZNS1_25segmented_radix_sort_implINS0_14default_configELb1EPKiPiPKlPlN2at6native12_GLOBAL__N_18offset_tEEE10hipError_tPvRmT1_PNSt15iterator_traitsISY_E10value_typeET2_T3_PNSZ_IS14_E10value_typeET4_jRbjT5_S1A_jjP12ihipStream_tbEUljE_EEESV_SW_SX_S14_S18_S1A_T6_T7_T9_mT8_S1C_bDpT10_ENKUlT_T0_E_clISt17integral_constantIbLb0EES1O_IbLb1EEEEDaS1K_S1L_EUlS1K_E_NS1_11comp_targetILNS1_3genE8ELNS1_11target_archE1030ELNS1_3gpuE2ELNS1_3repE0EEENS1_30default_config_static_selectorELNS0_4arch9wavefront6targetE0EEEvSY_
    .private_segment_fixed_size: 0
    .sgpr_count:     0
    .sgpr_spill_count: 0
    .symbol:         _ZN7rocprim17ROCPRIM_400000_NS6detail17trampoline_kernelINS0_13select_configILj256ELj13ELNS0_17block_load_methodE3ELS4_3ELS4_3ELNS0_20block_scan_algorithmE0ELj4294967295EEENS1_25partition_config_selectorILNS1_17partition_subalgoE3EjNS0_10empty_typeEbEEZZNS1_14partition_implILS8_3ELb0ES6_jNS0_17counting_iteratorIjlEEPS9_SE_NS0_5tupleIJPjSE_EEENSF_IJSE_SE_EEES9_SG_JZNS1_25segmented_radix_sort_implINS0_14default_configELb1EPKiPiPKlPlN2at6native12_GLOBAL__N_18offset_tEEE10hipError_tPvRmT1_PNSt15iterator_traitsISY_E10value_typeET2_T3_PNSZ_IS14_E10value_typeET4_jRbjT5_S1A_jjP12ihipStream_tbEUljE_EEESV_SW_SX_S14_S18_S1A_T6_T7_T9_mT8_S1C_bDpT10_ENKUlT_T0_E_clISt17integral_constantIbLb0EES1O_IbLb1EEEEDaS1K_S1L_EUlS1K_E_NS1_11comp_targetILNS1_3genE8ELNS1_11target_archE1030ELNS1_3gpuE2ELNS1_3repE0EEENS1_30default_config_static_selectorELNS0_4arch9wavefront6targetE0EEEvSY_.kd
    .uniform_work_group_size: 1
    .uses_dynamic_stack: false
    .vgpr_count:     0
    .vgpr_spill_count: 0
    .wavefront_size: 32
    .workgroup_processor_mode: 1
  - .args:
      - .offset:         0
        .size:           96
        .value_kind:     by_value
    .group_segment_fixed_size: 0
    .kernarg_segment_align: 8
    .kernarg_segment_size: 96
    .language:       OpenCL C
    .language_version:
      - 2
      - 0
    .max_flat_workgroup_size: 256
    .name:           _ZN7rocprim17ROCPRIM_400000_NS6detail17trampoline_kernelINS0_14default_configENS1_36segmented_radix_sort_config_selectorIilEEZNS1_25segmented_radix_sort_implIS3_Lb1EPKiPiPKlPlN2at6native12_GLOBAL__N_18offset_tEEE10hipError_tPvRmT1_PNSt15iterator_traitsISK_E10value_typeET2_T3_PNSL_ISQ_E10value_typeET4_jRbjT5_SW_jjP12ihipStream_tbEUlT_E_NS1_11comp_targetILNS1_3genE0ELNS1_11target_archE4294967295ELNS1_3gpuE0ELNS1_3repE0EEENS1_30default_config_static_selectorELNS0_4arch9wavefront6targetE0EEEvSK_
    .private_segment_fixed_size: 0
    .sgpr_count:     0
    .sgpr_spill_count: 0
    .symbol:         _ZN7rocprim17ROCPRIM_400000_NS6detail17trampoline_kernelINS0_14default_configENS1_36segmented_radix_sort_config_selectorIilEEZNS1_25segmented_radix_sort_implIS3_Lb1EPKiPiPKlPlN2at6native12_GLOBAL__N_18offset_tEEE10hipError_tPvRmT1_PNSt15iterator_traitsISK_E10value_typeET2_T3_PNSL_ISQ_E10value_typeET4_jRbjT5_SW_jjP12ihipStream_tbEUlT_E_NS1_11comp_targetILNS1_3genE0ELNS1_11target_archE4294967295ELNS1_3gpuE0ELNS1_3repE0EEENS1_30default_config_static_selectorELNS0_4arch9wavefront6targetE0EEEvSK_.kd
    .uniform_work_group_size: 1
    .uses_dynamic_stack: false
    .vgpr_count:     0
    .vgpr_spill_count: 0
    .wavefront_size: 32
    .workgroup_processor_mode: 1
  - .args:
      - .offset:         0
        .size:           96
        .value_kind:     by_value
    .group_segment_fixed_size: 0
    .kernarg_segment_align: 8
    .kernarg_segment_size: 96
    .language:       OpenCL C
    .language_version:
      - 2
      - 0
    .max_flat_workgroup_size: 256
    .name:           _ZN7rocprim17ROCPRIM_400000_NS6detail17trampoline_kernelINS0_14default_configENS1_36segmented_radix_sort_config_selectorIilEEZNS1_25segmented_radix_sort_implIS3_Lb1EPKiPiPKlPlN2at6native12_GLOBAL__N_18offset_tEEE10hipError_tPvRmT1_PNSt15iterator_traitsISK_E10value_typeET2_T3_PNSL_ISQ_E10value_typeET4_jRbjT5_SW_jjP12ihipStream_tbEUlT_E_NS1_11comp_targetILNS1_3genE5ELNS1_11target_archE942ELNS1_3gpuE9ELNS1_3repE0EEENS1_30default_config_static_selectorELNS0_4arch9wavefront6targetE0EEEvSK_
    .private_segment_fixed_size: 0
    .sgpr_count:     0
    .sgpr_spill_count: 0
    .symbol:         _ZN7rocprim17ROCPRIM_400000_NS6detail17trampoline_kernelINS0_14default_configENS1_36segmented_radix_sort_config_selectorIilEEZNS1_25segmented_radix_sort_implIS3_Lb1EPKiPiPKlPlN2at6native12_GLOBAL__N_18offset_tEEE10hipError_tPvRmT1_PNSt15iterator_traitsISK_E10value_typeET2_T3_PNSL_ISQ_E10value_typeET4_jRbjT5_SW_jjP12ihipStream_tbEUlT_E_NS1_11comp_targetILNS1_3genE5ELNS1_11target_archE942ELNS1_3gpuE9ELNS1_3repE0EEENS1_30default_config_static_selectorELNS0_4arch9wavefront6targetE0EEEvSK_.kd
    .uniform_work_group_size: 1
    .uses_dynamic_stack: false
    .vgpr_count:     0
    .vgpr_spill_count: 0
    .wavefront_size: 32
    .workgroup_processor_mode: 1
  - .args:
      - .offset:         0
        .size:           96
        .value_kind:     by_value
    .group_segment_fixed_size: 0
    .kernarg_segment_align: 8
    .kernarg_segment_size: 96
    .language:       OpenCL C
    .language_version:
      - 2
      - 0
    .max_flat_workgroup_size: 256
    .name:           _ZN7rocprim17ROCPRIM_400000_NS6detail17trampoline_kernelINS0_14default_configENS1_36segmented_radix_sort_config_selectorIilEEZNS1_25segmented_radix_sort_implIS3_Lb1EPKiPiPKlPlN2at6native12_GLOBAL__N_18offset_tEEE10hipError_tPvRmT1_PNSt15iterator_traitsISK_E10value_typeET2_T3_PNSL_ISQ_E10value_typeET4_jRbjT5_SW_jjP12ihipStream_tbEUlT_E_NS1_11comp_targetILNS1_3genE4ELNS1_11target_archE910ELNS1_3gpuE8ELNS1_3repE0EEENS1_30default_config_static_selectorELNS0_4arch9wavefront6targetE0EEEvSK_
    .private_segment_fixed_size: 0
    .sgpr_count:     0
    .sgpr_spill_count: 0
    .symbol:         _ZN7rocprim17ROCPRIM_400000_NS6detail17trampoline_kernelINS0_14default_configENS1_36segmented_radix_sort_config_selectorIilEEZNS1_25segmented_radix_sort_implIS3_Lb1EPKiPiPKlPlN2at6native12_GLOBAL__N_18offset_tEEE10hipError_tPvRmT1_PNSt15iterator_traitsISK_E10value_typeET2_T3_PNSL_ISQ_E10value_typeET4_jRbjT5_SW_jjP12ihipStream_tbEUlT_E_NS1_11comp_targetILNS1_3genE4ELNS1_11target_archE910ELNS1_3gpuE8ELNS1_3repE0EEENS1_30default_config_static_selectorELNS0_4arch9wavefront6targetE0EEEvSK_.kd
    .uniform_work_group_size: 1
    .uses_dynamic_stack: false
    .vgpr_count:     0
    .vgpr_spill_count: 0
    .wavefront_size: 32
    .workgroup_processor_mode: 1
  - .args:
      - .offset:         0
        .size:           96
        .value_kind:     by_value
    .group_segment_fixed_size: 0
    .kernarg_segment_align: 8
    .kernarg_segment_size: 96
    .language:       OpenCL C
    .language_version:
      - 2
      - 0
    .max_flat_workgroup_size: 256
    .name:           _ZN7rocprim17ROCPRIM_400000_NS6detail17trampoline_kernelINS0_14default_configENS1_36segmented_radix_sort_config_selectorIilEEZNS1_25segmented_radix_sort_implIS3_Lb1EPKiPiPKlPlN2at6native12_GLOBAL__N_18offset_tEEE10hipError_tPvRmT1_PNSt15iterator_traitsISK_E10value_typeET2_T3_PNSL_ISQ_E10value_typeET4_jRbjT5_SW_jjP12ihipStream_tbEUlT_E_NS1_11comp_targetILNS1_3genE3ELNS1_11target_archE908ELNS1_3gpuE7ELNS1_3repE0EEENS1_30default_config_static_selectorELNS0_4arch9wavefront6targetE0EEEvSK_
    .private_segment_fixed_size: 0
    .sgpr_count:     0
    .sgpr_spill_count: 0
    .symbol:         _ZN7rocprim17ROCPRIM_400000_NS6detail17trampoline_kernelINS0_14default_configENS1_36segmented_radix_sort_config_selectorIilEEZNS1_25segmented_radix_sort_implIS3_Lb1EPKiPiPKlPlN2at6native12_GLOBAL__N_18offset_tEEE10hipError_tPvRmT1_PNSt15iterator_traitsISK_E10value_typeET2_T3_PNSL_ISQ_E10value_typeET4_jRbjT5_SW_jjP12ihipStream_tbEUlT_E_NS1_11comp_targetILNS1_3genE3ELNS1_11target_archE908ELNS1_3gpuE7ELNS1_3repE0EEENS1_30default_config_static_selectorELNS0_4arch9wavefront6targetE0EEEvSK_.kd
    .uniform_work_group_size: 1
    .uses_dynamic_stack: false
    .vgpr_count:     0
    .vgpr_spill_count: 0
    .wavefront_size: 32
    .workgroup_processor_mode: 1
  - .args:
      - .offset:         0
        .size:           96
        .value_kind:     by_value
    .group_segment_fixed_size: 0
    .kernarg_segment_align: 8
    .kernarg_segment_size: 96
    .language:       OpenCL C
    .language_version:
      - 2
      - 0
    .max_flat_workgroup_size: 256
    .name:           _ZN7rocprim17ROCPRIM_400000_NS6detail17trampoline_kernelINS0_14default_configENS1_36segmented_radix_sort_config_selectorIilEEZNS1_25segmented_radix_sort_implIS3_Lb1EPKiPiPKlPlN2at6native12_GLOBAL__N_18offset_tEEE10hipError_tPvRmT1_PNSt15iterator_traitsISK_E10value_typeET2_T3_PNSL_ISQ_E10value_typeET4_jRbjT5_SW_jjP12ihipStream_tbEUlT_E_NS1_11comp_targetILNS1_3genE2ELNS1_11target_archE906ELNS1_3gpuE6ELNS1_3repE0EEENS1_30default_config_static_selectorELNS0_4arch9wavefront6targetE0EEEvSK_
    .private_segment_fixed_size: 0
    .sgpr_count:     0
    .sgpr_spill_count: 0
    .symbol:         _ZN7rocprim17ROCPRIM_400000_NS6detail17trampoline_kernelINS0_14default_configENS1_36segmented_radix_sort_config_selectorIilEEZNS1_25segmented_radix_sort_implIS3_Lb1EPKiPiPKlPlN2at6native12_GLOBAL__N_18offset_tEEE10hipError_tPvRmT1_PNSt15iterator_traitsISK_E10value_typeET2_T3_PNSL_ISQ_E10value_typeET4_jRbjT5_SW_jjP12ihipStream_tbEUlT_E_NS1_11comp_targetILNS1_3genE2ELNS1_11target_archE906ELNS1_3gpuE6ELNS1_3repE0EEENS1_30default_config_static_selectorELNS0_4arch9wavefront6targetE0EEEvSK_.kd
    .uniform_work_group_size: 1
    .uses_dynamic_stack: false
    .vgpr_count:     0
    .vgpr_spill_count: 0
    .wavefront_size: 32
    .workgroup_processor_mode: 1
  - .args:
      - .offset:         0
        .size:           96
        .value_kind:     by_value
    .group_segment_fixed_size: 0
    .kernarg_segment_align: 8
    .kernarg_segment_size: 96
    .language:       OpenCL C
    .language_version:
      - 2
      - 0
    .max_flat_workgroup_size: 256
    .name:           _ZN7rocprim17ROCPRIM_400000_NS6detail17trampoline_kernelINS0_14default_configENS1_36segmented_radix_sort_config_selectorIilEEZNS1_25segmented_radix_sort_implIS3_Lb1EPKiPiPKlPlN2at6native12_GLOBAL__N_18offset_tEEE10hipError_tPvRmT1_PNSt15iterator_traitsISK_E10value_typeET2_T3_PNSL_ISQ_E10value_typeET4_jRbjT5_SW_jjP12ihipStream_tbEUlT_E_NS1_11comp_targetILNS1_3genE10ELNS1_11target_archE1201ELNS1_3gpuE5ELNS1_3repE0EEENS1_30default_config_static_selectorELNS0_4arch9wavefront6targetE0EEEvSK_
    .private_segment_fixed_size: 0
    .sgpr_count:     0
    .sgpr_spill_count: 0
    .symbol:         _ZN7rocprim17ROCPRIM_400000_NS6detail17trampoline_kernelINS0_14default_configENS1_36segmented_radix_sort_config_selectorIilEEZNS1_25segmented_radix_sort_implIS3_Lb1EPKiPiPKlPlN2at6native12_GLOBAL__N_18offset_tEEE10hipError_tPvRmT1_PNSt15iterator_traitsISK_E10value_typeET2_T3_PNSL_ISQ_E10value_typeET4_jRbjT5_SW_jjP12ihipStream_tbEUlT_E_NS1_11comp_targetILNS1_3genE10ELNS1_11target_archE1201ELNS1_3gpuE5ELNS1_3repE0EEENS1_30default_config_static_selectorELNS0_4arch9wavefront6targetE0EEEvSK_.kd
    .uniform_work_group_size: 1
    .uses_dynamic_stack: false
    .vgpr_count:     0
    .vgpr_spill_count: 0
    .wavefront_size: 32
    .workgroup_processor_mode: 1
  - .args:
      - .offset:         0
        .size:           96
        .value_kind:     by_value
    .group_segment_fixed_size: 0
    .kernarg_segment_align: 8
    .kernarg_segment_size: 96
    .language:       OpenCL C
    .language_version:
      - 2
      - 0
    .max_flat_workgroup_size: 128
    .name:           _ZN7rocprim17ROCPRIM_400000_NS6detail17trampoline_kernelINS0_14default_configENS1_36segmented_radix_sort_config_selectorIilEEZNS1_25segmented_radix_sort_implIS3_Lb1EPKiPiPKlPlN2at6native12_GLOBAL__N_18offset_tEEE10hipError_tPvRmT1_PNSt15iterator_traitsISK_E10value_typeET2_T3_PNSL_ISQ_E10value_typeET4_jRbjT5_SW_jjP12ihipStream_tbEUlT_E_NS1_11comp_targetILNS1_3genE10ELNS1_11target_archE1200ELNS1_3gpuE4ELNS1_3repE0EEENS1_30default_config_static_selectorELNS0_4arch9wavefront6targetE0EEEvSK_
    .private_segment_fixed_size: 0
    .sgpr_count:     0
    .sgpr_spill_count: 0
    .symbol:         _ZN7rocprim17ROCPRIM_400000_NS6detail17trampoline_kernelINS0_14default_configENS1_36segmented_radix_sort_config_selectorIilEEZNS1_25segmented_radix_sort_implIS3_Lb1EPKiPiPKlPlN2at6native12_GLOBAL__N_18offset_tEEE10hipError_tPvRmT1_PNSt15iterator_traitsISK_E10value_typeET2_T3_PNSL_ISQ_E10value_typeET4_jRbjT5_SW_jjP12ihipStream_tbEUlT_E_NS1_11comp_targetILNS1_3genE10ELNS1_11target_archE1200ELNS1_3gpuE4ELNS1_3repE0EEENS1_30default_config_static_selectorELNS0_4arch9wavefront6targetE0EEEvSK_.kd
    .uniform_work_group_size: 1
    .uses_dynamic_stack: false
    .vgpr_count:     0
    .vgpr_spill_count: 0
    .wavefront_size: 32
    .workgroup_processor_mode: 1
  - .args:
      - .offset:         0
        .size:           96
        .value_kind:     by_value
      - .offset:         96
        .size:           4
        .value_kind:     hidden_block_count_x
      - .offset:         100
        .size:           4
        .value_kind:     hidden_block_count_y
      - .offset:         104
        .size:           4
        .value_kind:     hidden_block_count_z
      - .offset:         108
        .size:           2
        .value_kind:     hidden_group_size_x
      - .offset:         110
        .size:           2
        .value_kind:     hidden_group_size_y
      - .offset:         112
        .size:           2
        .value_kind:     hidden_group_size_z
      - .offset:         114
        .size:           2
        .value_kind:     hidden_remainder_x
      - .offset:         116
        .size:           2
        .value_kind:     hidden_remainder_y
      - .offset:         118
        .size:           2
        .value_kind:     hidden_remainder_z
      - .offset:         136
        .size:           8
        .value_kind:     hidden_global_offset_x
      - .offset:         144
        .size:           8
        .value_kind:     hidden_global_offset_y
      - .offset:         152
        .size:           8
        .value_kind:     hidden_global_offset_z
      - .offset:         160
        .size:           2
        .value_kind:     hidden_grid_dims
    .group_segment_fixed_size: 33824
    .kernarg_segment_align: 8
    .kernarg_segment_size: 352
    .language:       OpenCL C
    .language_version:
      - 2
      - 0
    .max_flat_workgroup_size: 256
    .name:           _ZN7rocprim17ROCPRIM_400000_NS6detail17trampoline_kernelINS0_14default_configENS1_36segmented_radix_sort_config_selectorIilEEZNS1_25segmented_radix_sort_implIS3_Lb1EPKiPiPKlPlN2at6native12_GLOBAL__N_18offset_tEEE10hipError_tPvRmT1_PNSt15iterator_traitsISK_E10value_typeET2_T3_PNSL_ISQ_E10value_typeET4_jRbjT5_SW_jjP12ihipStream_tbEUlT_E_NS1_11comp_targetILNS1_3genE9ELNS1_11target_archE1100ELNS1_3gpuE3ELNS1_3repE0EEENS1_30default_config_static_selectorELNS0_4arch9wavefront6targetE0EEEvSK_
    .private_segment_fixed_size: 352
    .sgpr_count:     65
    .sgpr_spill_count: 0
    .symbol:         _ZN7rocprim17ROCPRIM_400000_NS6detail17trampoline_kernelINS0_14default_configENS1_36segmented_radix_sort_config_selectorIilEEZNS1_25segmented_radix_sort_implIS3_Lb1EPKiPiPKlPlN2at6native12_GLOBAL__N_18offset_tEEE10hipError_tPvRmT1_PNSt15iterator_traitsISK_E10value_typeET2_T3_PNSL_ISQ_E10value_typeET4_jRbjT5_SW_jjP12ihipStream_tbEUlT_E_NS1_11comp_targetILNS1_3genE9ELNS1_11target_archE1100ELNS1_3gpuE3ELNS1_3repE0EEENS1_30default_config_static_selectorELNS0_4arch9wavefront6targetE0EEEvSK_.kd
    .uniform_work_group_size: 1
    .uses_dynamic_stack: false
    .vgpr_count:     248
    .vgpr_spill_count: 0
    .wavefront_size: 32
    .workgroup_processor_mode: 1
  - .args:
      - .offset:         0
        .size:           96
        .value_kind:     by_value
    .group_segment_fixed_size: 0
    .kernarg_segment_align: 8
    .kernarg_segment_size: 96
    .language:       OpenCL C
    .language_version:
      - 2
      - 0
    .max_flat_workgroup_size: 256
    .name:           _ZN7rocprim17ROCPRIM_400000_NS6detail17trampoline_kernelINS0_14default_configENS1_36segmented_radix_sort_config_selectorIilEEZNS1_25segmented_radix_sort_implIS3_Lb1EPKiPiPKlPlN2at6native12_GLOBAL__N_18offset_tEEE10hipError_tPvRmT1_PNSt15iterator_traitsISK_E10value_typeET2_T3_PNSL_ISQ_E10value_typeET4_jRbjT5_SW_jjP12ihipStream_tbEUlT_E_NS1_11comp_targetILNS1_3genE8ELNS1_11target_archE1030ELNS1_3gpuE2ELNS1_3repE0EEENS1_30default_config_static_selectorELNS0_4arch9wavefront6targetE0EEEvSK_
    .private_segment_fixed_size: 0
    .sgpr_count:     0
    .sgpr_spill_count: 0
    .symbol:         _ZN7rocprim17ROCPRIM_400000_NS6detail17trampoline_kernelINS0_14default_configENS1_36segmented_radix_sort_config_selectorIilEEZNS1_25segmented_radix_sort_implIS3_Lb1EPKiPiPKlPlN2at6native12_GLOBAL__N_18offset_tEEE10hipError_tPvRmT1_PNSt15iterator_traitsISK_E10value_typeET2_T3_PNSL_ISQ_E10value_typeET4_jRbjT5_SW_jjP12ihipStream_tbEUlT_E_NS1_11comp_targetILNS1_3genE8ELNS1_11target_archE1030ELNS1_3gpuE2ELNS1_3repE0EEENS1_30default_config_static_selectorELNS0_4arch9wavefront6targetE0EEEvSK_.kd
    .uniform_work_group_size: 1
    .uses_dynamic_stack: false
    .vgpr_count:     0
    .vgpr_spill_count: 0
    .wavefront_size: 32
    .workgroup_processor_mode: 1
  - .args:
      - .offset:         0
        .size:           88
        .value_kind:     by_value
    .group_segment_fixed_size: 0
    .kernarg_segment_align: 8
    .kernarg_segment_size: 88
    .language:       OpenCL C
    .language_version:
      - 2
      - 0
    .max_flat_workgroup_size: 256
    .name:           _ZN7rocprim17ROCPRIM_400000_NS6detail17trampoline_kernelINS0_14default_configENS1_36segmented_radix_sort_config_selectorIilEEZNS1_25segmented_radix_sort_implIS3_Lb1EPKiPiPKlPlN2at6native12_GLOBAL__N_18offset_tEEE10hipError_tPvRmT1_PNSt15iterator_traitsISK_E10value_typeET2_T3_PNSL_ISQ_E10value_typeET4_jRbjT5_SW_jjP12ihipStream_tbEUlT_E0_NS1_11comp_targetILNS1_3genE0ELNS1_11target_archE4294967295ELNS1_3gpuE0ELNS1_3repE0EEENS1_60segmented_radix_sort_warp_sort_medium_config_static_selectorELNS0_4arch9wavefront6targetE0EEEvSK_
    .private_segment_fixed_size: 0
    .sgpr_count:     0
    .sgpr_spill_count: 0
    .symbol:         _ZN7rocprim17ROCPRIM_400000_NS6detail17trampoline_kernelINS0_14default_configENS1_36segmented_radix_sort_config_selectorIilEEZNS1_25segmented_radix_sort_implIS3_Lb1EPKiPiPKlPlN2at6native12_GLOBAL__N_18offset_tEEE10hipError_tPvRmT1_PNSt15iterator_traitsISK_E10value_typeET2_T3_PNSL_ISQ_E10value_typeET4_jRbjT5_SW_jjP12ihipStream_tbEUlT_E0_NS1_11comp_targetILNS1_3genE0ELNS1_11target_archE4294967295ELNS1_3gpuE0ELNS1_3repE0EEENS1_60segmented_radix_sort_warp_sort_medium_config_static_selectorELNS0_4arch9wavefront6targetE0EEEvSK_.kd
    .uniform_work_group_size: 1
    .uses_dynamic_stack: false
    .vgpr_count:     0
    .vgpr_spill_count: 0
    .wavefront_size: 32
    .workgroup_processor_mode: 1
  - .args:
      - .offset:         0
        .size:           88
        .value_kind:     by_value
    .group_segment_fixed_size: 0
    .kernarg_segment_align: 8
    .kernarg_segment_size: 88
    .language:       OpenCL C
    .language_version:
      - 2
      - 0
    .max_flat_workgroup_size: 256
    .name:           _ZN7rocprim17ROCPRIM_400000_NS6detail17trampoline_kernelINS0_14default_configENS1_36segmented_radix_sort_config_selectorIilEEZNS1_25segmented_radix_sort_implIS3_Lb1EPKiPiPKlPlN2at6native12_GLOBAL__N_18offset_tEEE10hipError_tPvRmT1_PNSt15iterator_traitsISK_E10value_typeET2_T3_PNSL_ISQ_E10value_typeET4_jRbjT5_SW_jjP12ihipStream_tbEUlT_E0_NS1_11comp_targetILNS1_3genE5ELNS1_11target_archE942ELNS1_3gpuE9ELNS1_3repE0EEENS1_60segmented_radix_sort_warp_sort_medium_config_static_selectorELNS0_4arch9wavefront6targetE0EEEvSK_
    .private_segment_fixed_size: 0
    .sgpr_count:     0
    .sgpr_spill_count: 0
    .symbol:         _ZN7rocprim17ROCPRIM_400000_NS6detail17trampoline_kernelINS0_14default_configENS1_36segmented_radix_sort_config_selectorIilEEZNS1_25segmented_radix_sort_implIS3_Lb1EPKiPiPKlPlN2at6native12_GLOBAL__N_18offset_tEEE10hipError_tPvRmT1_PNSt15iterator_traitsISK_E10value_typeET2_T3_PNSL_ISQ_E10value_typeET4_jRbjT5_SW_jjP12ihipStream_tbEUlT_E0_NS1_11comp_targetILNS1_3genE5ELNS1_11target_archE942ELNS1_3gpuE9ELNS1_3repE0EEENS1_60segmented_radix_sort_warp_sort_medium_config_static_selectorELNS0_4arch9wavefront6targetE0EEEvSK_.kd
    .uniform_work_group_size: 1
    .uses_dynamic_stack: false
    .vgpr_count:     0
    .vgpr_spill_count: 0
    .wavefront_size: 32
    .workgroup_processor_mode: 1
  - .args:
      - .offset:         0
        .size:           88
        .value_kind:     by_value
    .group_segment_fixed_size: 0
    .kernarg_segment_align: 8
    .kernarg_segment_size: 88
    .language:       OpenCL C
    .language_version:
      - 2
      - 0
    .max_flat_workgroup_size: 256
    .name:           _ZN7rocprim17ROCPRIM_400000_NS6detail17trampoline_kernelINS0_14default_configENS1_36segmented_radix_sort_config_selectorIilEEZNS1_25segmented_radix_sort_implIS3_Lb1EPKiPiPKlPlN2at6native12_GLOBAL__N_18offset_tEEE10hipError_tPvRmT1_PNSt15iterator_traitsISK_E10value_typeET2_T3_PNSL_ISQ_E10value_typeET4_jRbjT5_SW_jjP12ihipStream_tbEUlT_E0_NS1_11comp_targetILNS1_3genE4ELNS1_11target_archE910ELNS1_3gpuE8ELNS1_3repE0EEENS1_60segmented_radix_sort_warp_sort_medium_config_static_selectorELNS0_4arch9wavefront6targetE0EEEvSK_
    .private_segment_fixed_size: 0
    .sgpr_count:     0
    .sgpr_spill_count: 0
    .symbol:         _ZN7rocprim17ROCPRIM_400000_NS6detail17trampoline_kernelINS0_14default_configENS1_36segmented_radix_sort_config_selectorIilEEZNS1_25segmented_radix_sort_implIS3_Lb1EPKiPiPKlPlN2at6native12_GLOBAL__N_18offset_tEEE10hipError_tPvRmT1_PNSt15iterator_traitsISK_E10value_typeET2_T3_PNSL_ISQ_E10value_typeET4_jRbjT5_SW_jjP12ihipStream_tbEUlT_E0_NS1_11comp_targetILNS1_3genE4ELNS1_11target_archE910ELNS1_3gpuE8ELNS1_3repE0EEENS1_60segmented_radix_sort_warp_sort_medium_config_static_selectorELNS0_4arch9wavefront6targetE0EEEvSK_.kd
    .uniform_work_group_size: 1
    .uses_dynamic_stack: false
    .vgpr_count:     0
    .vgpr_spill_count: 0
    .wavefront_size: 32
    .workgroup_processor_mode: 1
  - .args:
      - .offset:         0
        .size:           88
        .value_kind:     by_value
    .group_segment_fixed_size: 0
    .kernarg_segment_align: 8
    .kernarg_segment_size: 88
    .language:       OpenCL C
    .language_version:
      - 2
      - 0
    .max_flat_workgroup_size: 256
    .name:           _ZN7rocprim17ROCPRIM_400000_NS6detail17trampoline_kernelINS0_14default_configENS1_36segmented_radix_sort_config_selectorIilEEZNS1_25segmented_radix_sort_implIS3_Lb1EPKiPiPKlPlN2at6native12_GLOBAL__N_18offset_tEEE10hipError_tPvRmT1_PNSt15iterator_traitsISK_E10value_typeET2_T3_PNSL_ISQ_E10value_typeET4_jRbjT5_SW_jjP12ihipStream_tbEUlT_E0_NS1_11comp_targetILNS1_3genE3ELNS1_11target_archE908ELNS1_3gpuE7ELNS1_3repE0EEENS1_60segmented_radix_sort_warp_sort_medium_config_static_selectorELNS0_4arch9wavefront6targetE0EEEvSK_
    .private_segment_fixed_size: 0
    .sgpr_count:     0
    .sgpr_spill_count: 0
    .symbol:         _ZN7rocprim17ROCPRIM_400000_NS6detail17trampoline_kernelINS0_14default_configENS1_36segmented_radix_sort_config_selectorIilEEZNS1_25segmented_radix_sort_implIS3_Lb1EPKiPiPKlPlN2at6native12_GLOBAL__N_18offset_tEEE10hipError_tPvRmT1_PNSt15iterator_traitsISK_E10value_typeET2_T3_PNSL_ISQ_E10value_typeET4_jRbjT5_SW_jjP12ihipStream_tbEUlT_E0_NS1_11comp_targetILNS1_3genE3ELNS1_11target_archE908ELNS1_3gpuE7ELNS1_3repE0EEENS1_60segmented_radix_sort_warp_sort_medium_config_static_selectorELNS0_4arch9wavefront6targetE0EEEvSK_.kd
    .uniform_work_group_size: 1
    .uses_dynamic_stack: false
    .vgpr_count:     0
    .vgpr_spill_count: 0
    .wavefront_size: 32
    .workgroup_processor_mode: 1
  - .args:
      - .offset:         0
        .size:           88
        .value_kind:     by_value
    .group_segment_fixed_size: 0
    .kernarg_segment_align: 8
    .kernarg_segment_size: 88
    .language:       OpenCL C
    .language_version:
      - 2
      - 0
    .max_flat_workgroup_size: 256
    .name:           _ZN7rocprim17ROCPRIM_400000_NS6detail17trampoline_kernelINS0_14default_configENS1_36segmented_radix_sort_config_selectorIilEEZNS1_25segmented_radix_sort_implIS3_Lb1EPKiPiPKlPlN2at6native12_GLOBAL__N_18offset_tEEE10hipError_tPvRmT1_PNSt15iterator_traitsISK_E10value_typeET2_T3_PNSL_ISQ_E10value_typeET4_jRbjT5_SW_jjP12ihipStream_tbEUlT_E0_NS1_11comp_targetILNS1_3genE2ELNS1_11target_archE906ELNS1_3gpuE6ELNS1_3repE0EEENS1_60segmented_radix_sort_warp_sort_medium_config_static_selectorELNS0_4arch9wavefront6targetE0EEEvSK_
    .private_segment_fixed_size: 0
    .sgpr_count:     0
    .sgpr_spill_count: 0
    .symbol:         _ZN7rocprim17ROCPRIM_400000_NS6detail17trampoline_kernelINS0_14default_configENS1_36segmented_radix_sort_config_selectorIilEEZNS1_25segmented_radix_sort_implIS3_Lb1EPKiPiPKlPlN2at6native12_GLOBAL__N_18offset_tEEE10hipError_tPvRmT1_PNSt15iterator_traitsISK_E10value_typeET2_T3_PNSL_ISQ_E10value_typeET4_jRbjT5_SW_jjP12ihipStream_tbEUlT_E0_NS1_11comp_targetILNS1_3genE2ELNS1_11target_archE906ELNS1_3gpuE6ELNS1_3repE0EEENS1_60segmented_radix_sort_warp_sort_medium_config_static_selectorELNS0_4arch9wavefront6targetE0EEEvSK_.kd
    .uniform_work_group_size: 1
    .uses_dynamic_stack: false
    .vgpr_count:     0
    .vgpr_spill_count: 0
    .wavefront_size: 32
    .workgroup_processor_mode: 1
  - .args:
      - .offset:         0
        .size:           88
        .value_kind:     by_value
    .group_segment_fixed_size: 0
    .kernarg_segment_align: 8
    .kernarg_segment_size: 88
    .language:       OpenCL C
    .language_version:
      - 2
      - 0
    .max_flat_workgroup_size: 256
    .name:           _ZN7rocprim17ROCPRIM_400000_NS6detail17trampoline_kernelINS0_14default_configENS1_36segmented_radix_sort_config_selectorIilEEZNS1_25segmented_radix_sort_implIS3_Lb1EPKiPiPKlPlN2at6native12_GLOBAL__N_18offset_tEEE10hipError_tPvRmT1_PNSt15iterator_traitsISK_E10value_typeET2_T3_PNSL_ISQ_E10value_typeET4_jRbjT5_SW_jjP12ihipStream_tbEUlT_E0_NS1_11comp_targetILNS1_3genE10ELNS1_11target_archE1201ELNS1_3gpuE5ELNS1_3repE0EEENS1_60segmented_radix_sort_warp_sort_medium_config_static_selectorELNS0_4arch9wavefront6targetE0EEEvSK_
    .private_segment_fixed_size: 0
    .sgpr_count:     0
    .sgpr_spill_count: 0
    .symbol:         _ZN7rocprim17ROCPRIM_400000_NS6detail17trampoline_kernelINS0_14default_configENS1_36segmented_radix_sort_config_selectorIilEEZNS1_25segmented_radix_sort_implIS3_Lb1EPKiPiPKlPlN2at6native12_GLOBAL__N_18offset_tEEE10hipError_tPvRmT1_PNSt15iterator_traitsISK_E10value_typeET2_T3_PNSL_ISQ_E10value_typeET4_jRbjT5_SW_jjP12ihipStream_tbEUlT_E0_NS1_11comp_targetILNS1_3genE10ELNS1_11target_archE1201ELNS1_3gpuE5ELNS1_3repE0EEENS1_60segmented_radix_sort_warp_sort_medium_config_static_selectorELNS0_4arch9wavefront6targetE0EEEvSK_.kd
    .uniform_work_group_size: 1
    .uses_dynamic_stack: false
    .vgpr_count:     0
    .vgpr_spill_count: 0
    .wavefront_size: 32
    .workgroup_processor_mode: 1
  - .args:
      - .offset:         0
        .size:           88
        .value_kind:     by_value
    .group_segment_fixed_size: 0
    .kernarg_segment_align: 8
    .kernarg_segment_size: 88
    .language:       OpenCL C
    .language_version:
      - 2
      - 0
    .max_flat_workgroup_size: 256
    .name:           _ZN7rocprim17ROCPRIM_400000_NS6detail17trampoline_kernelINS0_14default_configENS1_36segmented_radix_sort_config_selectorIilEEZNS1_25segmented_radix_sort_implIS3_Lb1EPKiPiPKlPlN2at6native12_GLOBAL__N_18offset_tEEE10hipError_tPvRmT1_PNSt15iterator_traitsISK_E10value_typeET2_T3_PNSL_ISQ_E10value_typeET4_jRbjT5_SW_jjP12ihipStream_tbEUlT_E0_NS1_11comp_targetILNS1_3genE10ELNS1_11target_archE1200ELNS1_3gpuE4ELNS1_3repE0EEENS1_60segmented_radix_sort_warp_sort_medium_config_static_selectorELNS0_4arch9wavefront6targetE0EEEvSK_
    .private_segment_fixed_size: 0
    .sgpr_count:     0
    .sgpr_spill_count: 0
    .symbol:         _ZN7rocprim17ROCPRIM_400000_NS6detail17trampoline_kernelINS0_14default_configENS1_36segmented_radix_sort_config_selectorIilEEZNS1_25segmented_radix_sort_implIS3_Lb1EPKiPiPKlPlN2at6native12_GLOBAL__N_18offset_tEEE10hipError_tPvRmT1_PNSt15iterator_traitsISK_E10value_typeET2_T3_PNSL_ISQ_E10value_typeET4_jRbjT5_SW_jjP12ihipStream_tbEUlT_E0_NS1_11comp_targetILNS1_3genE10ELNS1_11target_archE1200ELNS1_3gpuE4ELNS1_3repE0EEENS1_60segmented_radix_sort_warp_sort_medium_config_static_selectorELNS0_4arch9wavefront6targetE0EEEvSK_.kd
    .uniform_work_group_size: 1
    .uses_dynamic_stack: false
    .vgpr_count:     0
    .vgpr_spill_count: 0
    .wavefront_size: 32
    .workgroup_processor_mode: 1
  - .args:
      - .offset:         0
        .size:           88
        .value_kind:     by_value
      - .offset:         88
        .size:           4
        .value_kind:     hidden_block_count_x
      - .offset:         92
        .size:           4
        .value_kind:     hidden_block_count_y
      - .offset:         96
        .size:           4
        .value_kind:     hidden_block_count_z
      - .offset:         100
        .size:           2
        .value_kind:     hidden_group_size_x
      - .offset:         102
        .size:           2
        .value_kind:     hidden_group_size_y
      - .offset:         104
        .size:           2
        .value_kind:     hidden_group_size_z
      - .offset:         106
        .size:           2
        .value_kind:     hidden_remainder_x
      - .offset:         108
        .size:           2
        .value_kind:     hidden_remainder_y
      - .offset:         110
        .size:           2
        .value_kind:     hidden_remainder_z
      - .offset:         128
        .size:           8
        .value_kind:     hidden_global_offset_x
      - .offset:         136
        .size:           8
        .value_kind:     hidden_global_offset_y
      - .offset:         144
        .size:           8
        .value_kind:     hidden_global_offset_z
      - .offset:         152
        .size:           2
        .value_kind:     hidden_grid_dims
    .group_segment_fixed_size: 24576
    .kernarg_segment_align: 8
    .kernarg_segment_size: 344
    .language:       OpenCL C
    .language_version:
      - 2
      - 0
    .max_flat_workgroup_size: 256
    .name:           _ZN7rocprim17ROCPRIM_400000_NS6detail17trampoline_kernelINS0_14default_configENS1_36segmented_radix_sort_config_selectorIilEEZNS1_25segmented_radix_sort_implIS3_Lb1EPKiPiPKlPlN2at6native12_GLOBAL__N_18offset_tEEE10hipError_tPvRmT1_PNSt15iterator_traitsISK_E10value_typeET2_T3_PNSL_ISQ_E10value_typeET4_jRbjT5_SW_jjP12ihipStream_tbEUlT_E0_NS1_11comp_targetILNS1_3genE9ELNS1_11target_archE1100ELNS1_3gpuE3ELNS1_3repE0EEENS1_60segmented_radix_sort_warp_sort_medium_config_static_selectorELNS0_4arch9wavefront6targetE0EEEvSK_
    .private_segment_fixed_size: 0
    .sgpr_count:     46
    .sgpr_spill_count: 0
    .symbol:         _ZN7rocprim17ROCPRIM_400000_NS6detail17trampoline_kernelINS0_14default_configENS1_36segmented_radix_sort_config_selectorIilEEZNS1_25segmented_radix_sort_implIS3_Lb1EPKiPiPKlPlN2at6native12_GLOBAL__N_18offset_tEEE10hipError_tPvRmT1_PNSt15iterator_traitsISK_E10value_typeET2_T3_PNSL_ISQ_E10value_typeET4_jRbjT5_SW_jjP12ihipStream_tbEUlT_E0_NS1_11comp_targetILNS1_3genE9ELNS1_11target_archE1100ELNS1_3gpuE3ELNS1_3repE0EEENS1_60segmented_radix_sort_warp_sort_medium_config_static_selectorELNS0_4arch9wavefront6targetE0EEEvSK_.kd
    .uniform_work_group_size: 1
    .uses_dynamic_stack: false
    .vgpr_count:     87
    .vgpr_spill_count: 0
    .wavefront_size: 32
    .workgroup_processor_mode: 1
  - .args:
      - .offset:         0
        .size:           88
        .value_kind:     by_value
    .group_segment_fixed_size: 0
    .kernarg_segment_align: 8
    .kernarg_segment_size: 88
    .language:       OpenCL C
    .language_version:
      - 2
      - 0
    .max_flat_workgroup_size: 256
    .name:           _ZN7rocprim17ROCPRIM_400000_NS6detail17trampoline_kernelINS0_14default_configENS1_36segmented_radix_sort_config_selectorIilEEZNS1_25segmented_radix_sort_implIS3_Lb1EPKiPiPKlPlN2at6native12_GLOBAL__N_18offset_tEEE10hipError_tPvRmT1_PNSt15iterator_traitsISK_E10value_typeET2_T3_PNSL_ISQ_E10value_typeET4_jRbjT5_SW_jjP12ihipStream_tbEUlT_E0_NS1_11comp_targetILNS1_3genE8ELNS1_11target_archE1030ELNS1_3gpuE2ELNS1_3repE0EEENS1_60segmented_radix_sort_warp_sort_medium_config_static_selectorELNS0_4arch9wavefront6targetE0EEEvSK_
    .private_segment_fixed_size: 0
    .sgpr_count:     0
    .sgpr_spill_count: 0
    .symbol:         _ZN7rocprim17ROCPRIM_400000_NS6detail17trampoline_kernelINS0_14default_configENS1_36segmented_radix_sort_config_selectorIilEEZNS1_25segmented_radix_sort_implIS3_Lb1EPKiPiPKlPlN2at6native12_GLOBAL__N_18offset_tEEE10hipError_tPvRmT1_PNSt15iterator_traitsISK_E10value_typeET2_T3_PNSL_ISQ_E10value_typeET4_jRbjT5_SW_jjP12ihipStream_tbEUlT_E0_NS1_11comp_targetILNS1_3genE8ELNS1_11target_archE1030ELNS1_3gpuE2ELNS1_3repE0EEENS1_60segmented_radix_sort_warp_sort_medium_config_static_selectorELNS0_4arch9wavefront6targetE0EEEvSK_.kd
    .uniform_work_group_size: 1
    .uses_dynamic_stack: false
    .vgpr_count:     0
    .vgpr_spill_count: 0
    .wavefront_size: 32
    .workgroup_processor_mode: 1
  - .args:
      - .offset:         0
        .size:           88
        .value_kind:     by_value
    .group_segment_fixed_size: 0
    .kernarg_segment_align: 8
    .kernarg_segment_size: 88
    .language:       OpenCL C
    .language_version:
      - 2
      - 0
    .max_flat_workgroup_size: 256
    .name:           _ZN7rocprim17ROCPRIM_400000_NS6detail17trampoline_kernelINS0_14default_configENS1_36segmented_radix_sort_config_selectorIilEEZNS1_25segmented_radix_sort_implIS3_Lb1EPKiPiPKlPlN2at6native12_GLOBAL__N_18offset_tEEE10hipError_tPvRmT1_PNSt15iterator_traitsISK_E10value_typeET2_T3_PNSL_ISQ_E10value_typeET4_jRbjT5_SW_jjP12ihipStream_tbEUlT_E1_NS1_11comp_targetILNS1_3genE0ELNS1_11target_archE4294967295ELNS1_3gpuE0ELNS1_3repE0EEENS1_59segmented_radix_sort_warp_sort_small_config_static_selectorELNS0_4arch9wavefront6targetE0EEEvSK_
    .private_segment_fixed_size: 0
    .sgpr_count:     0
    .sgpr_spill_count: 0
    .symbol:         _ZN7rocprim17ROCPRIM_400000_NS6detail17trampoline_kernelINS0_14default_configENS1_36segmented_radix_sort_config_selectorIilEEZNS1_25segmented_radix_sort_implIS3_Lb1EPKiPiPKlPlN2at6native12_GLOBAL__N_18offset_tEEE10hipError_tPvRmT1_PNSt15iterator_traitsISK_E10value_typeET2_T3_PNSL_ISQ_E10value_typeET4_jRbjT5_SW_jjP12ihipStream_tbEUlT_E1_NS1_11comp_targetILNS1_3genE0ELNS1_11target_archE4294967295ELNS1_3gpuE0ELNS1_3repE0EEENS1_59segmented_radix_sort_warp_sort_small_config_static_selectorELNS0_4arch9wavefront6targetE0EEEvSK_.kd
    .uniform_work_group_size: 1
    .uses_dynamic_stack: false
    .vgpr_count:     0
    .vgpr_spill_count: 0
    .wavefront_size: 32
    .workgroup_processor_mode: 1
  - .args:
      - .offset:         0
        .size:           88
        .value_kind:     by_value
    .group_segment_fixed_size: 0
    .kernarg_segment_align: 8
    .kernarg_segment_size: 88
    .language:       OpenCL C
    .language_version:
      - 2
      - 0
    .max_flat_workgroup_size: 256
    .name:           _ZN7rocprim17ROCPRIM_400000_NS6detail17trampoline_kernelINS0_14default_configENS1_36segmented_radix_sort_config_selectorIilEEZNS1_25segmented_radix_sort_implIS3_Lb1EPKiPiPKlPlN2at6native12_GLOBAL__N_18offset_tEEE10hipError_tPvRmT1_PNSt15iterator_traitsISK_E10value_typeET2_T3_PNSL_ISQ_E10value_typeET4_jRbjT5_SW_jjP12ihipStream_tbEUlT_E1_NS1_11comp_targetILNS1_3genE5ELNS1_11target_archE942ELNS1_3gpuE9ELNS1_3repE0EEENS1_59segmented_radix_sort_warp_sort_small_config_static_selectorELNS0_4arch9wavefront6targetE0EEEvSK_
    .private_segment_fixed_size: 0
    .sgpr_count:     0
    .sgpr_spill_count: 0
    .symbol:         _ZN7rocprim17ROCPRIM_400000_NS6detail17trampoline_kernelINS0_14default_configENS1_36segmented_radix_sort_config_selectorIilEEZNS1_25segmented_radix_sort_implIS3_Lb1EPKiPiPKlPlN2at6native12_GLOBAL__N_18offset_tEEE10hipError_tPvRmT1_PNSt15iterator_traitsISK_E10value_typeET2_T3_PNSL_ISQ_E10value_typeET4_jRbjT5_SW_jjP12ihipStream_tbEUlT_E1_NS1_11comp_targetILNS1_3genE5ELNS1_11target_archE942ELNS1_3gpuE9ELNS1_3repE0EEENS1_59segmented_radix_sort_warp_sort_small_config_static_selectorELNS0_4arch9wavefront6targetE0EEEvSK_.kd
    .uniform_work_group_size: 1
    .uses_dynamic_stack: false
    .vgpr_count:     0
    .vgpr_spill_count: 0
    .wavefront_size: 32
    .workgroup_processor_mode: 1
  - .args:
      - .offset:         0
        .size:           88
        .value_kind:     by_value
    .group_segment_fixed_size: 0
    .kernarg_segment_align: 8
    .kernarg_segment_size: 88
    .language:       OpenCL C
    .language_version:
      - 2
      - 0
    .max_flat_workgroup_size: 256
    .name:           _ZN7rocprim17ROCPRIM_400000_NS6detail17trampoline_kernelINS0_14default_configENS1_36segmented_radix_sort_config_selectorIilEEZNS1_25segmented_radix_sort_implIS3_Lb1EPKiPiPKlPlN2at6native12_GLOBAL__N_18offset_tEEE10hipError_tPvRmT1_PNSt15iterator_traitsISK_E10value_typeET2_T3_PNSL_ISQ_E10value_typeET4_jRbjT5_SW_jjP12ihipStream_tbEUlT_E1_NS1_11comp_targetILNS1_3genE4ELNS1_11target_archE910ELNS1_3gpuE8ELNS1_3repE0EEENS1_59segmented_radix_sort_warp_sort_small_config_static_selectorELNS0_4arch9wavefront6targetE0EEEvSK_
    .private_segment_fixed_size: 0
    .sgpr_count:     0
    .sgpr_spill_count: 0
    .symbol:         _ZN7rocprim17ROCPRIM_400000_NS6detail17trampoline_kernelINS0_14default_configENS1_36segmented_radix_sort_config_selectorIilEEZNS1_25segmented_radix_sort_implIS3_Lb1EPKiPiPKlPlN2at6native12_GLOBAL__N_18offset_tEEE10hipError_tPvRmT1_PNSt15iterator_traitsISK_E10value_typeET2_T3_PNSL_ISQ_E10value_typeET4_jRbjT5_SW_jjP12ihipStream_tbEUlT_E1_NS1_11comp_targetILNS1_3genE4ELNS1_11target_archE910ELNS1_3gpuE8ELNS1_3repE0EEENS1_59segmented_radix_sort_warp_sort_small_config_static_selectorELNS0_4arch9wavefront6targetE0EEEvSK_.kd
    .uniform_work_group_size: 1
    .uses_dynamic_stack: false
    .vgpr_count:     0
    .vgpr_spill_count: 0
    .wavefront_size: 32
    .workgroup_processor_mode: 1
  - .args:
      - .offset:         0
        .size:           88
        .value_kind:     by_value
    .group_segment_fixed_size: 0
    .kernarg_segment_align: 8
    .kernarg_segment_size: 88
    .language:       OpenCL C
    .language_version:
      - 2
      - 0
    .max_flat_workgroup_size: 256
    .name:           _ZN7rocprim17ROCPRIM_400000_NS6detail17trampoline_kernelINS0_14default_configENS1_36segmented_radix_sort_config_selectorIilEEZNS1_25segmented_radix_sort_implIS3_Lb1EPKiPiPKlPlN2at6native12_GLOBAL__N_18offset_tEEE10hipError_tPvRmT1_PNSt15iterator_traitsISK_E10value_typeET2_T3_PNSL_ISQ_E10value_typeET4_jRbjT5_SW_jjP12ihipStream_tbEUlT_E1_NS1_11comp_targetILNS1_3genE3ELNS1_11target_archE908ELNS1_3gpuE7ELNS1_3repE0EEENS1_59segmented_radix_sort_warp_sort_small_config_static_selectorELNS0_4arch9wavefront6targetE0EEEvSK_
    .private_segment_fixed_size: 0
    .sgpr_count:     0
    .sgpr_spill_count: 0
    .symbol:         _ZN7rocprim17ROCPRIM_400000_NS6detail17trampoline_kernelINS0_14default_configENS1_36segmented_radix_sort_config_selectorIilEEZNS1_25segmented_radix_sort_implIS3_Lb1EPKiPiPKlPlN2at6native12_GLOBAL__N_18offset_tEEE10hipError_tPvRmT1_PNSt15iterator_traitsISK_E10value_typeET2_T3_PNSL_ISQ_E10value_typeET4_jRbjT5_SW_jjP12ihipStream_tbEUlT_E1_NS1_11comp_targetILNS1_3genE3ELNS1_11target_archE908ELNS1_3gpuE7ELNS1_3repE0EEENS1_59segmented_radix_sort_warp_sort_small_config_static_selectorELNS0_4arch9wavefront6targetE0EEEvSK_.kd
    .uniform_work_group_size: 1
    .uses_dynamic_stack: false
    .vgpr_count:     0
    .vgpr_spill_count: 0
    .wavefront_size: 32
    .workgroup_processor_mode: 1
  - .args:
      - .offset:         0
        .size:           88
        .value_kind:     by_value
    .group_segment_fixed_size: 0
    .kernarg_segment_align: 8
    .kernarg_segment_size: 88
    .language:       OpenCL C
    .language_version:
      - 2
      - 0
    .max_flat_workgroup_size: 256
    .name:           _ZN7rocprim17ROCPRIM_400000_NS6detail17trampoline_kernelINS0_14default_configENS1_36segmented_radix_sort_config_selectorIilEEZNS1_25segmented_radix_sort_implIS3_Lb1EPKiPiPKlPlN2at6native12_GLOBAL__N_18offset_tEEE10hipError_tPvRmT1_PNSt15iterator_traitsISK_E10value_typeET2_T3_PNSL_ISQ_E10value_typeET4_jRbjT5_SW_jjP12ihipStream_tbEUlT_E1_NS1_11comp_targetILNS1_3genE2ELNS1_11target_archE906ELNS1_3gpuE6ELNS1_3repE0EEENS1_59segmented_radix_sort_warp_sort_small_config_static_selectorELNS0_4arch9wavefront6targetE0EEEvSK_
    .private_segment_fixed_size: 0
    .sgpr_count:     0
    .sgpr_spill_count: 0
    .symbol:         _ZN7rocprim17ROCPRIM_400000_NS6detail17trampoline_kernelINS0_14default_configENS1_36segmented_radix_sort_config_selectorIilEEZNS1_25segmented_radix_sort_implIS3_Lb1EPKiPiPKlPlN2at6native12_GLOBAL__N_18offset_tEEE10hipError_tPvRmT1_PNSt15iterator_traitsISK_E10value_typeET2_T3_PNSL_ISQ_E10value_typeET4_jRbjT5_SW_jjP12ihipStream_tbEUlT_E1_NS1_11comp_targetILNS1_3genE2ELNS1_11target_archE906ELNS1_3gpuE6ELNS1_3repE0EEENS1_59segmented_radix_sort_warp_sort_small_config_static_selectorELNS0_4arch9wavefront6targetE0EEEvSK_.kd
    .uniform_work_group_size: 1
    .uses_dynamic_stack: false
    .vgpr_count:     0
    .vgpr_spill_count: 0
    .wavefront_size: 32
    .workgroup_processor_mode: 1
  - .args:
      - .offset:         0
        .size:           88
        .value_kind:     by_value
    .group_segment_fixed_size: 0
    .kernarg_segment_align: 8
    .kernarg_segment_size: 88
    .language:       OpenCL C
    .language_version:
      - 2
      - 0
    .max_flat_workgroup_size: 256
    .name:           _ZN7rocprim17ROCPRIM_400000_NS6detail17trampoline_kernelINS0_14default_configENS1_36segmented_radix_sort_config_selectorIilEEZNS1_25segmented_radix_sort_implIS3_Lb1EPKiPiPKlPlN2at6native12_GLOBAL__N_18offset_tEEE10hipError_tPvRmT1_PNSt15iterator_traitsISK_E10value_typeET2_T3_PNSL_ISQ_E10value_typeET4_jRbjT5_SW_jjP12ihipStream_tbEUlT_E1_NS1_11comp_targetILNS1_3genE10ELNS1_11target_archE1201ELNS1_3gpuE5ELNS1_3repE0EEENS1_59segmented_radix_sort_warp_sort_small_config_static_selectorELNS0_4arch9wavefront6targetE0EEEvSK_
    .private_segment_fixed_size: 0
    .sgpr_count:     0
    .sgpr_spill_count: 0
    .symbol:         _ZN7rocprim17ROCPRIM_400000_NS6detail17trampoline_kernelINS0_14default_configENS1_36segmented_radix_sort_config_selectorIilEEZNS1_25segmented_radix_sort_implIS3_Lb1EPKiPiPKlPlN2at6native12_GLOBAL__N_18offset_tEEE10hipError_tPvRmT1_PNSt15iterator_traitsISK_E10value_typeET2_T3_PNSL_ISQ_E10value_typeET4_jRbjT5_SW_jjP12ihipStream_tbEUlT_E1_NS1_11comp_targetILNS1_3genE10ELNS1_11target_archE1201ELNS1_3gpuE5ELNS1_3repE0EEENS1_59segmented_radix_sort_warp_sort_small_config_static_selectorELNS0_4arch9wavefront6targetE0EEEvSK_.kd
    .uniform_work_group_size: 1
    .uses_dynamic_stack: false
    .vgpr_count:     0
    .vgpr_spill_count: 0
    .wavefront_size: 32
    .workgroup_processor_mode: 1
  - .args:
      - .offset:         0
        .size:           88
        .value_kind:     by_value
    .group_segment_fixed_size: 0
    .kernarg_segment_align: 8
    .kernarg_segment_size: 88
    .language:       OpenCL C
    .language_version:
      - 2
      - 0
    .max_flat_workgroup_size: 256
    .name:           _ZN7rocprim17ROCPRIM_400000_NS6detail17trampoline_kernelINS0_14default_configENS1_36segmented_radix_sort_config_selectorIilEEZNS1_25segmented_radix_sort_implIS3_Lb1EPKiPiPKlPlN2at6native12_GLOBAL__N_18offset_tEEE10hipError_tPvRmT1_PNSt15iterator_traitsISK_E10value_typeET2_T3_PNSL_ISQ_E10value_typeET4_jRbjT5_SW_jjP12ihipStream_tbEUlT_E1_NS1_11comp_targetILNS1_3genE10ELNS1_11target_archE1200ELNS1_3gpuE4ELNS1_3repE0EEENS1_59segmented_radix_sort_warp_sort_small_config_static_selectorELNS0_4arch9wavefront6targetE0EEEvSK_
    .private_segment_fixed_size: 0
    .sgpr_count:     0
    .sgpr_spill_count: 0
    .symbol:         _ZN7rocprim17ROCPRIM_400000_NS6detail17trampoline_kernelINS0_14default_configENS1_36segmented_radix_sort_config_selectorIilEEZNS1_25segmented_radix_sort_implIS3_Lb1EPKiPiPKlPlN2at6native12_GLOBAL__N_18offset_tEEE10hipError_tPvRmT1_PNSt15iterator_traitsISK_E10value_typeET2_T3_PNSL_ISQ_E10value_typeET4_jRbjT5_SW_jjP12ihipStream_tbEUlT_E1_NS1_11comp_targetILNS1_3genE10ELNS1_11target_archE1200ELNS1_3gpuE4ELNS1_3repE0EEENS1_59segmented_radix_sort_warp_sort_small_config_static_selectorELNS0_4arch9wavefront6targetE0EEEvSK_.kd
    .uniform_work_group_size: 1
    .uses_dynamic_stack: false
    .vgpr_count:     0
    .vgpr_spill_count: 0
    .wavefront_size: 32
    .workgroup_processor_mode: 1
  - .args:
      - .offset:         0
        .size:           88
        .value_kind:     by_value
      - .offset:         88
        .size:           4
        .value_kind:     hidden_block_count_x
      - .offset:         92
        .size:           4
        .value_kind:     hidden_block_count_y
      - .offset:         96
        .size:           4
        .value_kind:     hidden_block_count_z
      - .offset:         100
        .size:           2
        .value_kind:     hidden_group_size_x
      - .offset:         102
        .size:           2
        .value_kind:     hidden_group_size_y
      - .offset:         104
        .size:           2
        .value_kind:     hidden_group_size_z
      - .offset:         106
        .size:           2
        .value_kind:     hidden_remainder_x
      - .offset:         108
        .size:           2
        .value_kind:     hidden_remainder_y
      - .offset:         110
        .size:           2
        .value_kind:     hidden_remainder_z
      - .offset:         128
        .size:           8
        .value_kind:     hidden_global_offset_x
      - .offset:         136
        .size:           8
        .value_kind:     hidden_global_offset_y
      - .offset:         144
        .size:           8
        .value_kind:     hidden_global_offset_z
      - .offset:         152
        .size:           2
        .value_kind:     hidden_grid_dims
    .group_segment_fixed_size: 12288
    .kernarg_segment_align: 8
    .kernarg_segment_size: 344
    .language:       OpenCL C
    .language_version:
      - 2
      - 0
    .max_flat_workgroup_size: 256
    .name:           _ZN7rocprim17ROCPRIM_400000_NS6detail17trampoline_kernelINS0_14default_configENS1_36segmented_radix_sort_config_selectorIilEEZNS1_25segmented_radix_sort_implIS3_Lb1EPKiPiPKlPlN2at6native12_GLOBAL__N_18offset_tEEE10hipError_tPvRmT1_PNSt15iterator_traitsISK_E10value_typeET2_T3_PNSL_ISQ_E10value_typeET4_jRbjT5_SW_jjP12ihipStream_tbEUlT_E1_NS1_11comp_targetILNS1_3genE9ELNS1_11target_archE1100ELNS1_3gpuE3ELNS1_3repE0EEENS1_59segmented_radix_sort_warp_sort_small_config_static_selectorELNS0_4arch9wavefront6targetE0EEEvSK_
    .private_segment_fixed_size: 0
    .sgpr_count:     35
    .sgpr_spill_count: 0
    .symbol:         _ZN7rocprim17ROCPRIM_400000_NS6detail17trampoline_kernelINS0_14default_configENS1_36segmented_radix_sort_config_selectorIilEEZNS1_25segmented_radix_sort_implIS3_Lb1EPKiPiPKlPlN2at6native12_GLOBAL__N_18offset_tEEE10hipError_tPvRmT1_PNSt15iterator_traitsISK_E10value_typeET2_T3_PNSL_ISQ_E10value_typeET4_jRbjT5_SW_jjP12ihipStream_tbEUlT_E1_NS1_11comp_targetILNS1_3genE9ELNS1_11target_archE1100ELNS1_3gpuE3ELNS1_3repE0EEENS1_59segmented_radix_sort_warp_sort_small_config_static_selectorELNS0_4arch9wavefront6targetE0EEEvSK_.kd
    .uniform_work_group_size: 1
    .uses_dynamic_stack: false
    .vgpr_count:     97
    .vgpr_spill_count: 0
    .wavefront_size: 32
    .workgroup_processor_mode: 1
  - .args:
      - .offset:         0
        .size:           88
        .value_kind:     by_value
    .group_segment_fixed_size: 0
    .kernarg_segment_align: 8
    .kernarg_segment_size: 88
    .language:       OpenCL C
    .language_version:
      - 2
      - 0
    .max_flat_workgroup_size: 256
    .name:           _ZN7rocprim17ROCPRIM_400000_NS6detail17trampoline_kernelINS0_14default_configENS1_36segmented_radix_sort_config_selectorIilEEZNS1_25segmented_radix_sort_implIS3_Lb1EPKiPiPKlPlN2at6native12_GLOBAL__N_18offset_tEEE10hipError_tPvRmT1_PNSt15iterator_traitsISK_E10value_typeET2_T3_PNSL_ISQ_E10value_typeET4_jRbjT5_SW_jjP12ihipStream_tbEUlT_E1_NS1_11comp_targetILNS1_3genE8ELNS1_11target_archE1030ELNS1_3gpuE2ELNS1_3repE0EEENS1_59segmented_radix_sort_warp_sort_small_config_static_selectorELNS0_4arch9wavefront6targetE0EEEvSK_
    .private_segment_fixed_size: 0
    .sgpr_count:     0
    .sgpr_spill_count: 0
    .symbol:         _ZN7rocprim17ROCPRIM_400000_NS6detail17trampoline_kernelINS0_14default_configENS1_36segmented_radix_sort_config_selectorIilEEZNS1_25segmented_radix_sort_implIS3_Lb1EPKiPiPKlPlN2at6native12_GLOBAL__N_18offset_tEEE10hipError_tPvRmT1_PNSt15iterator_traitsISK_E10value_typeET2_T3_PNSL_ISQ_E10value_typeET4_jRbjT5_SW_jjP12ihipStream_tbEUlT_E1_NS1_11comp_targetILNS1_3genE8ELNS1_11target_archE1030ELNS1_3gpuE2ELNS1_3repE0EEENS1_59segmented_radix_sort_warp_sort_small_config_static_selectorELNS0_4arch9wavefront6targetE0EEEvSK_.kd
    .uniform_work_group_size: 1
    .uses_dynamic_stack: false
    .vgpr_count:     0
    .vgpr_spill_count: 0
    .wavefront_size: 32
    .workgroup_processor_mode: 1
  - .args:
      - .offset:         0
        .size:           80
        .value_kind:     by_value
    .group_segment_fixed_size: 0
    .kernarg_segment_align: 8
    .kernarg_segment_size: 80
    .language:       OpenCL C
    .language_version:
      - 2
      - 0
    .max_flat_workgroup_size: 256
    .name:           _ZN7rocprim17ROCPRIM_400000_NS6detail17trampoline_kernelINS0_14default_configENS1_36segmented_radix_sort_config_selectorIilEEZNS1_25segmented_radix_sort_implIS3_Lb1EPKiPiPKlPlN2at6native12_GLOBAL__N_18offset_tEEE10hipError_tPvRmT1_PNSt15iterator_traitsISK_E10value_typeET2_T3_PNSL_ISQ_E10value_typeET4_jRbjT5_SW_jjP12ihipStream_tbEUlT_E2_NS1_11comp_targetILNS1_3genE0ELNS1_11target_archE4294967295ELNS1_3gpuE0ELNS1_3repE0EEENS1_30default_config_static_selectorELNS0_4arch9wavefront6targetE0EEEvSK_
    .private_segment_fixed_size: 0
    .sgpr_count:     0
    .sgpr_spill_count: 0
    .symbol:         _ZN7rocprim17ROCPRIM_400000_NS6detail17trampoline_kernelINS0_14default_configENS1_36segmented_radix_sort_config_selectorIilEEZNS1_25segmented_radix_sort_implIS3_Lb1EPKiPiPKlPlN2at6native12_GLOBAL__N_18offset_tEEE10hipError_tPvRmT1_PNSt15iterator_traitsISK_E10value_typeET2_T3_PNSL_ISQ_E10value_typeET4_jRbjT5_SW_jjP12ihipStream_tbEUlT_E2_NS1_11comp_targetILNS1_3genE0ELNS1_11target_archE4294967295ELNS1_3gpuE0ELNS1_3repE0EEENS1_30default_config_static_selectorELNS0_4arch9wavefront6targetE0EEEvSK_.kd
    .uniform_work_group_size: 1
    .uses_dynamic_stack: false
    .vgpr_count:     0
    .vgpr_spill_count: 0
    .wavefront_size: 32
    .workgroup_processor_mode: 1
  - .args:
      - .offset:         0
        .size:           80
        .value_kind:     by_value
    .group_segment_fixed_size: 0
    .kernarg_segment_align: 8
    .kernarg_segment_size: 80
    .language:       OpenCL C
    .language_version:
      - 2
      - 0
    .max_flat_workgroup_size: 256
    .name:           _ZN7rocprim17ROCPRIM_400000_NS6detail17trampoline_kernelINS0_14default_configENS1_36segmented_radix_sort_config_selectorIilEEZNS1_25segmented_radix_sort_implIS3_Lb1EPKiPiPKlPlN2at6native12_GLOBAL__N_18offset_tEEE10hipError_tPvRmT1_PNSt15iterator_traitsISK_E10value_typeET2_T3_PNSL_ISQ_E10value_typeET4_jRbjT5_SW_jjP12ihipStream_tbEUlT_E2_NS1_11comp_targetILNS1_3genE5ELNS1_11target_archE942ELNS1_3gpuE9ELNS1_3repE0EEENS1_30default_config_static_selectorELNS0_4arch9wavefront6targetE0EEEvSK_
    .private_segment_fixed_size: 0
    .sgpr_count:     0
    .sgpr_spill_count: 0
    .symbol:         _ZN7rocprim17ROCPRIM_400000_NS6detail17trampoline_kernelINS0_14default_configENS1_36segmented_radix_sort_config_selectorIilEEZNS1_25segmented_radix_sort_implIS3_Lb1EPKiPiPKlPlN2at6native12_GLOBAL__N_18offset_tEEE10hipError_tPvRmT1_PNSt15iterator_traitsISK_E10value_typeET2_T3_PNSL_ISQ_E10value_typeET4_jRbjT5_SW_jjP12ihipStream_tbEUlT_E2_NS1_11comp_targetILNS1_3genE5ELNS1_11target_archE942ELNS1_3gpuE9ELNS1_3repE0EEENS1_30default_config_static_selectorELNS0_4arch9wavefront6targetE0EEEvSK_.kd
    .uniform_work_group_size: 1
    .uses_dynamic_stack: false
    .vgpr_count:     0
    .vgpr_spill_count: 0
    .wavefront_size: 32
    .workgroup_processor_mode: 1
  - .args:
      - .offset:         0
        .size:           80
        .value_kind:     by_value
    .group_segment_fixed_size: 0
    .kernarg_segment_align: 8
    .kernarg_segment_size: 80
    .language:       OpenCL C
    .language_version:
      - 2
      - 0
    .max_flat_workgroup_size: 256
    .name:           _ZN7rocprim17ROCPRIM_400000_NS6detail17trampoline_kernelINS0_14default_configENS1_36segmented_radix_sort_config_selectorIilEEZNS1_25segmented_radix_sort_implIS3_Lb1EPKiPiPKlPlN2at6native12_GLOBAL__N_18offset_tEEE10hipError_tPvRmT1_PNSt15iterator_traitsISK_E10value_typeET2_T3_PNSL_ISQ_E10value_typeET4_jRbjT5_SW_jjP12ihipStream_tbEUlT_E2_NS1_11comp_targetILNS1_3genE4ELNS1_11target_archE910ELNS1_3gpuE8ELNS1_3repE0EEENS1_30default_config_static_selectorELNS0_4arch9wavefront6targetE0EEEvSK_
    .private_segment_fixed_size: 0
    .sgpr_count:     0
    .sgpr_spill_count: 0
    .symbol:         _ZN7rocprim17ROCPRIM_400000_NS6detail17trampoline_kernelINS0_14default_configENS1_36segmented_radix_sort_config_selectorIilEEZNS1_25segmented_radix_sort_implIS3_Lb1EPKiPiPKlPlN2at6native12_GLOBAL__N_18offset_tEEE10hipError_tPvRmT1_PNSt15iterator_traitsISK_E10value_typeET2_T3_PNSL_ISQ_E10value_typeET4_jRbjT5_SW_jjP12ihipStream_tbEUlT_E2_NS1_11comp_targetILNS1_3genE4ELNS1_11target_archE910ELNS1_3gpuE8ELNS1_3repE0EEENS1_30default_config_static_selectorELNS0_4arch9wavefront6targetE0EEEvSK_.kd
    .uniform_work_group_size: 1
    .uses_dynamic_stack: false
    .vgpr_count:     0
    .vgpr_spill_count: 0
    .wavefront_size: 32
    .workgroup_processor_mode: 1
  - .args:
      - .offset:         0
        .size:           80
        .value_kind:     by_value
    .group_segment_fixed_size: 0
    .kernarg_segment_align: 8
    .kernarg_segment_size: 80
    .language:       OpenCL C
    .language_version:
      - 2
      - 0
    .max_flat_workgroup_size: 256
    .name:           _ZN7rocprim17ROCPRIM_400000_NS6detail17trampoline_kernelINS0_14default_configENS1_36segmented_radix_sort_config_selectorIilEEZNS1_25segmented_radix_sort_implIS3_Lb1EPKiPiPKlPlN2at6native12_GLOBAL__N_18offset_tEEE10hipError_tPvRmT1_PNSt15iterator_traitsISK_E10value_typeET2_T3_PNSL_ISQ_E10value_typeET4_jRbjT5_SW_jjP12ihipStream_tbEUlT_E2_NS1_11comp_targetILNS1_3genE3ELNS1_11target_archE908ELNS1_3gpuE7ELNS1_3repE0EEENS1_30default_config_static_selectorELNS0_4arch9wavefront6targetE0EEEvSK_
    .private_segment_fixed_size: 0
    .sgpr_count:     0
    .sgpr_spill_count: 0
    .symbol:         _ZN7rocprim17ROCPRIM_400000_NS6detail17trampoline_kernelINS0_14default_configENS1_36segmented_radix_sort_config_selectorIilEEZNS1_25segmented_radix_sort_implIS3_Lb1EPKiPiPKlPlN2at6native12_GLOBAL__N_18offset_tEEE10hipError_tPvRmT1_PNSt15iterator_traitsISK_E10value_typeET2_T3_PNSL_ISQ_E10value_typeET4_jRbjT5_SW_jjP12ihipStream_tbEUlT_E2_NS1_11comp_targetILNS1_3genE3ELNS1_11target_archE908ELNS1_3gpuE7ELNS1_3repE0EEENS1_30default_config_static_selectorELNS0_4arch9wavefront6targetE0EEEvSK_.kd
    .uniform_work_group_size: 1
    .uses_dynamic_stack: false
    .vgpr_count:     0
    .vgpr_spill_count: 0
    .wavefront_size: 32
    .workgroup_processor_mode: 1
  - .args:
      - .offset:         0
        .size:           80
        .value_kind:     by_value
    .group_segment_fixed_size: 0
    .kernarg_segment_align: 8
    .kernarg_segment_size: 80
    .language:       OpenCL C
    .language_version:
      - 2
      - 0
    .max_flat_workgroup_size: 256
    .name:           _ZN7rocprim17ROCPRIM_400000_NS6detail17trampoline_kernelINS0_14default_configENS1_36segmented_radix_sort_config_selectorIilEEZNS1_25segmented_radix_sort_implIS3_Lb1EPKiPiPKlPlN2at6native12_GLOBAL__N_18offset_tEEE10hipError_tPvRmT1_PNSt15iterator_traitsISK_E10value_typeET2_T3_PNSL_ISQ_E10value_typeET4_jRbjT5_SW_jjP12ihipStream_tbEUlT_E2_NS1_11comp_targetILNS1_3genE2ELNS1_11target_archE906ELNS1_3gpuE6ELNS1_3repE0EEENS1_30default_config_static_selectorELNS0_4arch9wavefront6targetE0EEEvSK_
    .private_segment_fixed_size: 0
    .sgpr_count:     0
    .sgpr_spill_count: 0
    .symbol:         _ZN7rocprim17ROCPRIM_400000_NS6detail17trampoline_kernelINS0_14default_configENS1_36segmented_radix_sort_config_selectorIilEEZNS1_25segmented_radix_sort_implIS3_Lb1EPKiPiPKlPlN2at6native12_GLOBAL__N_18offset_tEEE10hipError_tPvRmT1_PNSt15iterator_traitsISK_E10value_typeET2_T3_PNSL_ISQ_E10value_typeET4_jRbjT5_SW_jjP12ihipStream_tbEUlT_E2_NS1_11comp_targetILNS1_3genE2ELNS1_11target_archE906ELNS1_3gpuE6ELNS1_3repE0EEENS1_30default_config_static_selectorELNS0_4arch9wavefront6targetE0EEEvSK_.kd
    .uniform_work_group_size: 1
    .uses_dynamic_stack: false
    .vgpr_count:     0
    .vgpr_spill_count: 0
    .wavefront_size: 32
    .workgroup_processor_mode: 1
  - .args:
      - .offset:         0
        .size:           80
        .value_kind:     by_value
    .group_segment_fixed_size: 0
    .kernarg_segment_align: 8
    .kernarg_segment_size: 80
    .language:       OpenCL C
    .language_version:
      - 2
      - 0
    .max_flat_workgroup_size: 256
    .name:           _ZN7rocprim17ROCPRIM_400000_NS6detail17trampoline_kernelINS0_14default_configENS1_36segmented_radix_sort_config_selectorIilEEZNS1_25segmented_radix_sort_implIS3_Lb1EPKiPiPKlPlN2at6native12_GLOBAL__N_18offset_tEEE10hipError_tPvRmT1_PNSt15iterator_traitsISK_E10value_typeET2_T3_PNSL_ISQ_E10value_typeET4_jRbjT5_SW_jjP12ihipStream_tbEUlT_E2_NS1_11comp_targetILNS1_3genE10ELNS1_11target_archE1201ELNS1_3gpuE5ELNS1_3repE0EEENS1_30default_config_static_selectorELNS0_4arch9wavefront6targetE0EEEvSK_
    .private_segment_fixed_size: 0
    .sgpr_count:     0
    .sgpr_spill_count: 0
    .symbol:         _ZN7rocprim17ROCPRIM_400000_NS6detail17trampoline_kernelINS0_14default_configENS1_36segmented_radix_sort_config_selectorIilEEZNS1_25segmented_radix_sort_implIS3_Lb1EPKiPiPKlPlN2at6native12_GLOBAL__N_18offset_tEEE10hipError_tPvRmT1_PNSt15iterator_traitsISK_E10value_typeET2_T3_PNSL_ISQ_E10value_typeET4_jRbjT5_SW_jjP12ihipStream_tbEUlT_E2_NS1_11comp_targetILNS1_3genE10ELNS1_11target_archE1201ELNS1_3gpuE5ELNS1_3repE0EEENS1_30default_config_static_selectorELNS0_4arch9wavefront6targetE0EEEvSK_.kd
    .uniform_work_group_size: 1
    .uses_dynamic_stack: false
    .vgpr_count:     0
    .vgpr_spill_count: 0
    .wavefront_size: 32
    .workgroup_processor_mode: 1
  - .args:
      - .offset:         0
        .size:           80
        .value_kind:     by_value
    .group_segment_fixed_size: 0
    .kernarg_segment_align: 8
    .kernarg_segment_size: 80
    .language:       OpenCL C
    .language_version:
      - 2
      - 0
    .max_flat_workgroup_size: 128
    .name:           _ZN7rocprim17ROCPRIM_400000_NS6detail17trampoline_kernelINS0_14default_configENS1_36segmented_radix_sort_config_selectorIilEEZNS1_25segmented_radix_sort_implIS3_Lb1EPKiPiPKlPlN2at6native12_GLOBAL__N_18offset_tEEE10hipError_tPvRmT1_PNSt15iterator_traitsISK_E10value_typeET2_T3_PNSL_ISQ_E10value_typeET4_jRbjT5_SW_jjP12ihipStream_tbEUlT_E2_NS1_11comp_targetILNS1_3genE10ELNS1_11target_archE1200ELNS1_3gpuE4ELNS1_3repE0EEENS1_30default_config_static_selectorELNS0_4arch9wavefront6targetE0EEEvSK_
    .private_segment_fixed_size: 0
    .sgpr_count:     0
    .sgpr_spill_count: 0
    .symbol:         _ZN7rocprim17ROCPRIM_400000_NS6detail17trampoline_kernelINS0_14default_configENS1_36segmented_radix_sort_config_selectorIilEEZNS1_25segmented_radix_sort_implIS3_Lb1EPKiPiPKlPlN2at6native12_GLOBAL__N_18offset_tEEE10hipError_tPvRmT1_PNSt15iterator_traitsISK_E10value_typeET2_T3_PNSL_ISQ_E10value_typeET4_jRbjT5_SW_jjP12ihipStream_tbEUlT_E2_NS1_11comp_targetILNS1_3genE10ELNS1_11target_archE1200ELNS1_3gpuE4ELNS1_3repE0EEENS1_30default_config_static_selectorELNS0_4arch9wavefront6targetE0EEEvSK_.kd
    .uniform_work_group_size: 1
    .uses_dynamic_stack: false
    .vgpr_count:     0
    .vgpr_spill_count: 0
    .wavefront_size: 32
    .workgroup_processor_mode: 1
  - .args:
      - .offset:         0
        .size:           80
        .value_kind:     by_value
      - .offset:         80
        .size:           4
        .value_kind:     hidden_block_count_x
      - .offset:         84
        .size:           4
        .value_kind:     hidden_block_count_y
      - .offset:         88
        .size:           4
        .value_kind:     hidden_block_count_z
      - .offset:         92
        .size:           2
        .value_kind:     hidden_group_size_x
      - .offset:         94
        .size:           2
        .value_kind:     hidden_group_size_y
      - .offset:         96
        .size:           2
        .value_kind:     hidden_group_size_z
      - .offset:         98
        .size:           2
        .value_kind:     hidden_remainder_x
      - .offset:         100
        .size:           2
        .value_kind:     hidden_remainder_y
      - .offset:         102
        .size:           2
        .value_kind:     hidden_remainder_z
      - .offset:         120
        .size:           8
        .value_kind:     hidden_global_offset_x
      - .offset:         128
        .size:           8
        .value_kind:     hidden_global_offset_y
      - .offset:         136
        .size:           8
        .value_kind:     hidden_global_offset_z
      - .offset:         144
        .size:           2
        .value_kind:     hidden_grid_dims
    .group_segment_fixed_size: 33824
    .kernarg_segment_align: 8
    .kernarg_segment_size: 336
    .language:       OpenCL C
    .language_version:
      - 2
      - 0
    .max_flat_workgroup_size: 256
    .name:           _ZN7rocprim17ROCPRIM_400000_NS6detail17trampoline_kernelINS0_14default_configENS1_36segmented_radix_sort_config_selectorIilEEZNS1_25segmented_radix_sort_implIS3_Lb1EPKiPiPKlPlN2at6native12_GLOBAL__N_18offset_tEEE10hipError_tPvRmT1_PNSt15iterator_traitsISK_E10value_typeET2_T3_PNSL_ISQ_E10value_typeET4_jRbjT5_SW_jjP12ihipStream_tbEUlT_E2_NS1_11comp_targetILNS1_3genE9ELNS1_11target_archE1100ELNS1_3gpuE3ELNS1_3repE0EEENS1_30default_config_static_selectorELNS0_4arch9wavefront6targetE0EEEvSK_
    .private_segment_fixed_size: 352
    .sgpr_count:     65
    .sgpr_spill_count: 0
    .symbol:         _ZN7rocprim17ROCPRIM_400000_NS6detail17trampoline_kernelINS0_14default_configENS1_36segmented_radix_sort_config_selectorIilEEZNS1_25segmented_radix_sort_implIS3_Lb1EPKiPiPKlPlN2at6native12_GLOBAL__N_18offset_tEEE10hipError_tPvRmT1_PNSt15iterator_traitsISK_E10value_typeET2_T3_PNSL_ISQ_E10value_typeET4_jRbjT5_SW_jjP12ihipStream_tbEUlT_E2_NS1_11comp_targetILNS1_3genE9ELNS1_11target_archE1100ELNS1_3gpuE3ELNS1_3repE0EEENS1_30default_config_static_selectorELNS0_4arch9wavefront6targetE0EEEvSK_.kd
    .uniform_work_group_size: 1
    .uses_dynamic_stack: false
    .vgpr_count:     248
    .vgpr_spill_count: 0
    .wavefront_size: 32
    .workgroup_processor_mode: 1
  - .args:
      - .offset:         0
        .size:           80
        .value_kind:     by_value
    .group_segment_fixed_size: 0
    .kernarg_segment_align: 8
    .kernarg_segment_size: 80
    .language:       OpenCL C
    .language_version:
      - 2
      - 0
    .max_flat_workgroup_size: 256
    .name:           _ZN7rocprim17ROCPRIM_400000_NS6detail17trampoline_kernelINS0_14default_configENS1_36segmented_radix_sort_config_selectorIilEEZNS1_25segmented_radix_sort_implIS3_Lb1EPKiPiPKlPlN2at6native12_GLOBAL__N_18offset_tEEE10hipError_tPvRmT1_PNSt15iterator_traitsISK_E10value_typeET2_T3_PNSL_ISQ_E10value_typeET4_jRbjT5_SW_jjP12ihipStream_tbEUlT_E2_NS1_11comp_targetILNS1_3genE8ELNS1_11target_archE1030ELNS1_3gpuE2ELNS1_3repE0EEENS1_30default_config_static_selectorELNS0_4arch9wavefront6targetE0EEEvSK_
    .private_segment_fixed_size: 0
    .sgpr_count:     0
    .sgpr_spill_count: 0
    .symbol:         _ZN7rocprim17ROCPRIM_400000_NS6detail17trampoline_kernelINS0_14default_configENS1_36segmented_radix_sort_config_selectorIilEEZNS1_25segmented_radix_sort_implIS3_Lb1EPKiPiPKlPlN2at6native12_GLOBAL__N_18offset_tEEE10hipError_tPvRmT1_PNSt15iterator_traitsISK_E10value_typeET2_T3_PNSL_ISQ_E10value_typeET4_jRbjT5_SW_jjP12ihipStream_tbEUlT_E2_NS1_11comp_targetILNS1_3genE8ELNS1_11target_archE1030ELNS1_3gpuE2ELNS1_3repE0EEENS1_30default_config_static_selectorELNS0_4arch9wavefront6targetE0EEEvSK_.kd
    .uniform_work_group_size: 1
    .uses_dynamic_stack: false
    .vgpr_count:     0
    .vgpr_spill_count: 0
    .wavefront_size: 32
    .workgroup_processor_mode: 1
  - .args:
      - .offset:         0
        .size:           176
        .value_kind:     by_value
    .group_segment_fixed_size: 0
    .kernarg_segment_align: 8
    .kernarg_segment_size: 176
    .language:       OpenCL C
    .language_version:
      - 2
      - 0
    .max_flat_workgroup_size: 256
    .name:           _ZN7rocprim17ROCPRIM_400000_NS6detail17trampoline_kernelINS0_13select_configILj256ELj13ELNS0_17block_load_methodE3ELS4_3ELS4_3ELNS0_20block_scan_algorithmE0ELj4294967295EEENS1_25partition_config_selectorILNS1_17partition_subalgoE4EjNS0_10empty_typeEbEEZZNS1_14partition_implILS8_4ELb0ES6_15HIP_vector_typeIjLj2EENS0_17counting_iteratorIjlEEPS9_SG_NS0_5tupleIJPjSI_NS0_16reverse_iteratorISI_EEEEENSH_IJSG_SG_SG_EEES9_SI_JZNS1_25segmented_radix_sort_implINS0_14default_configELb0EPKiPiPKlPlN2at6native12_GLOBAL__N_18offset_tEEE10hipError_tPvRmT1_PNSt15iterator_traitsIS12_E10value_typeET2_T3_PNS13_IS18_E10value_typeET4_jRbjT5_S1E_jjP12ihipStream_tbEUljE_ZNSN_ISO_Lb0ESQ_SR_ST_SU_SY_EESZ_S10_S11_S12_S16_S17_S18_S1B_S1C_jS1D_jS1E_S1E_jjS1G_bEUljE0_EEESZ_S10_S11_S18_S1C_S1E_T6_T7_T9_mT8_S1G_bDpT10_ENKUlT_T0_E_clISt17integral_constantIbLb0EES1U_EEDaS1P_S1Q_EUlS1P_E_NS1_11comp_targetILNS1_3genE0ELNS1_11target_archE4294967295ELNS1_3gpuE0ELNS1_3repE0EEENS1_30default_config_static_selectorELNS0_4arch9wavefront6targetE0EEEvS12_
    .private_segment_fixed_size: 0
    .sgpr_count:     0
    .sgpr_spill_count: 0
    .symbol:         _ZN7rocprim17ROCPRIM_400000_NS6detail17trampoline_kernelINS0_13select_configILj256ELj13ELNS0_17block_load_methodE3ELS4_3ELS4_3ELNS0_20block_scan_algorithmE0ELj4294967295EEENS1_25partition_config_selectorILNS1_17partition_subalgoE4EjNS0_10empty_typeEbEEZZNS1_14partition_implILS8_4ELb0ES6_15HIP_vector_typeIjLj2EENS0_17counting_iteratorIjlEEPS9_SG_NS0_5tupleIJPjSI_NS0_16reverse_iteratorISI_EEEEENSH_IJSG_SG_SG_EEES9_SI_JZNS1_25segmented_radix_sort_implINS0_14default_configELb0EPKiPiPKlPlN2at6native12_GLOBAL__N_18offset_tEEE10hipError_tPvRmT1_PNSt15iterator_traitsIS12_E10value_typeET2_T3_PNS13_IS18_E10value_typeET4_jRbjT5_S1E_jjP12ihipStream_tbEUljE_ZNSN_ISO_Lb0ESQ_SR_ST_SU_SY_EESZ_S10_S11_S12_S16_S17_S18_S1B_S1C_jS1D_jS1E_S1E_jjS1G_bEUljE0_EEESZ_S10_S11_S18_S1C_S1E_T6_T7_T9_mT8_S1G_bDpT10_ENKUlT_T0_E_clISt17integral_constantIbLb0EES1U_EEDaS1P_S1Q_EUlS1P_E_NS1_11comp_targetILNS1_3genE0ELNS1_11target_archE4294967295ELNS1_3gpuE0ELNS1_3repE0EEENS1_30default_config_static_selectorELNS0_4arch9wavefront6targetE0EEEvS12_.kd
    .uniform_work_group_size: 1
    .uses_dynamic_stack: false
    .vgpr_count:     0
    .vgpr_spill_count: 0
    .wavefront_size: 32
    .workgroup_processor_mode: 1
  - .args:
      - .offset:         0
        .size:           176
        .value_kind:     by_value
    .group_segment_fixed_size: 0
    .kernarg_segment_align: 8
    .kernarg_segment_size: 176
    .language:       OpenCL C
    .language_version:
      - 2
      - 0
    .max_flat_workgroup_size: 256
    .name:           _ZN7rocprim17ROCPRIM_400000_NS6detail17trampoline_kernelINS0_13select_configILj256ELj13ELNS0_17block_load_methodE3ELS4_3ELS4_3ELNS0_20block_scan_algorithmE0ELj4294967295EEENS1_25partition_config_selectorILNS1_17partition_subalgoE4EjNS0_10empty_typeEbEEZZNS1_14partition_implILS8_4ELb0ES6_15HIP_vector_typeIjLj2EENS0_17counting_iteratorIjlEEPS9_SG_NS0_5tupleIJPjSI_NS0_16reverse_iteratorISI_EEEEENSH_IJSG_SG_SG_EEES9_SI_JZNS1_25segmented_radix_sort_implINS0_14default_configELb0EPKiPiPKlPlN2at6native12_GLOBAL__N_18offset_tEEE10hipError_tPvRmT1_PNSt15iterator_traitsIS12_E10value_typeET2_T3_PNS13_IS18_E10value_typeET4_jRbjT5_S1E_jjP12ihipStream_tbEUljE_ZNSN_ISO_Lb0ESQ_SR_ST_SU_SY_EESZ_S10_S11_S12_S16_S17_S18_S1B_S1C_jS1D_jS1E_S1E_jjS1G_bEUljE0_EEESZ_S10_S11_S18_S1C_S1E_T6_T7_T9_mT8_S1G_bDpT10_ENKUlT_T0_E_clISt17integral_constantIbLb0EES1U_EEDaS1P_S1Q_EUlS1P_E_NS1_11comp_targetILNS1_3genE5ELNS1_11target_archE942ELNS1_3gpuE9ELNS1_3repE0EEENS1_30default_config_static_selectorELNS0_4arch9wavefront6targetE0EEEvS12_
    .private_segment_fixed_size: 0
    .sgpr_count:     0
    .sgpr_spill_count: 0
    .symbol:         _ZN7rocprim17ROCPRIM_400000_NS6detail17trampoline_kernelINS0_13select_configILj256ELj13ELNS0_17block_load_methodE3ELS4_3ELS4_3ELNS0_20block_scan_algorithmE0ELj4294967295EEENS1_25partition_config_selectorILNS1_17partition_subalgoE4EjNS0_10empty_typeEbEEZZNS1_14partition_implILS8_4ELb0ES6_15HIP_vector_typeIjLj2EENS0_17counting_iteratorIjlEEPS9_SG_NS0_5tupleIJPjSI_NS0_16reverse_iteratorISI_EEEEENSH_IJSG_SG_SG_EEES9_SI_JZNS1_25segmented_radix_sort_implINS0_14default_configELb0EPKiPiPKlPlN2at6native12_GLOBAL__N_18offset_tEEE10hipError_tPvRmT1_PNSt15iterator_traitsIS12_E10value_typeET2_T3_PNS13_IS18_E10value_typeET4_jRbjT5_S1E_jjP12ihipStream_tbEUljE_ZNSN_ISO_Lb0ESQ_SR_ST_SU_SY_EESZ_S10_S11_S12_S16_S17_S18_S1B_S1C_jS1D_jS1E_S1E_jjS1G_bEUljE0_EEESZ_S10_S11_S18_S1C_S1E_T6_T7_T9_mT8_S1G_bDpT10_ENKUlT_T0_E_clISt17integral_constantIbLb0EES1U_EEDaS1P_S1Q_EUlS1P_E_NS1_11comp_targetILNS1_3genE5ELNS1_11target_archE942ELNS1_3gpuE9ELNS1_3repE0EEENS1_30default_config_static_selectorELNS0_4arch9wavefront6targetE0EEEvS12_.kd
    .uniform_work_group_size: 1
    .uses_dynamic_stack: false
    .vgpr_count:     0
    .vgpr_spill_count: 0
    .wavefront_size: 32
    .workgroup_processor_mode: 1
  - .args:
      - .offset:         0
        .size:           176
        .value_kind:     by_value
    .group_segment_fixed_size: 0
    .kernarg_segment_align: 8
    .kernarg_segment_size: 176
    .language:       OpenCL C
    .language_version:
      - 2
      - 0
    .max_flat_workgroup_size: 256
    .name:           _ZN7rocprim17ROCPRIM_400000_NS6detail17trampoline_kernelINS0_13select_configILj256ELj13ELNS0_17block_load_methodE3ELS4_3ELS4_3ELNS0_20block_scan_algorithmE0ELj4294967295EEENS1_25partition_config_selectorILNS1_17partition_subalgoE4EjNS0_10empty_typeEbEEZZNS1_14partition_implILS8_4ELb0ES6_15HIP_vector_typeIjLj2EENS0_17counting_iteratorIjlEEPS9_SG_NS0_5tupleIJPjSI_NS0_16reverse_iteratorISI_EEEEENSH_IJSG_SG_SG_EEES9_SI_JZNS1_25segmented_radix_sort_implINS0_14default_configELb0EPKiPiPKlPlN2at6native12_GLOBAL__N_18offset_tEEE10hipError_tPvRmT1_PNSt15iterator_traitsIS12_E10value_typeET2_T3_PNS13_IS18_E10value_typeET4_jRbjT5_S1E_jjP12ihipStream_tbEUljE_ZNSN_ISO_Lb0ESQ_SR_ST_SU_SY_EESZ_S10_S11_S12_S16_S17_S18_S1B_S1C_jS1D_jS1E_S1E_jjS1G_bEUljE0_EEESZ_S10_S11_S18_S1C_S1E_T6_T7_T9_mT8_S1G_bDpT10_ENKUlT_T0_E_clISt17integral_constantIbLb0EES1U_EEDaS1P_S1Q_EUlS1P_E_NS1_11comp_targetILNS1_3genE4ELNS1_11target_archE910ELNS1_3gpuE8ELNS1_3repE0EEENS1_30default_config_static_selectorELNS0_4arch9wavefront6targetE0EEEvS12_
    .private_segment_fixed_size: 0
    .sgpr_count:     0
    .sgpr_spill_count: 0
    .symbol:         _ZN7rocprim17ROCPRIM_400000_NS6detail17trampoline_kernelINS0_13select_configILj256ELj13ELNS0_17block_load_methodE3ELS4_3ELS4_3ELNS0_20block_scan_algorithmE0ELj4294967295EEENS1_25partition_config_selectorILNS1_17partition_subalgoE4EjNS0_10empty_typeEbEEZZNS1_14partition_implILS8_4ELb0ES6_15HIP_vector_typeIjLj2EENS0_17counting_iteratorIjlEEPS9_SG_NS0_5tupleIJPjSI_NS0_16reverse_iteratorISI_EEEEENSH_IJSG_SG_SG_EEES9_SI_JZNS1_25segmented_radix_sort_implINS0_14default_configELb0EPKiPiPKlPlN2at6native12_GLOBAL__N_18offset_tEEE10hipError_tPvRmT1_PNSt15iterator_traitsIS12_E10value_typeET2_T3_PNS13_IS18_E10value_typeET4_jRbjT5_S1E_jjP12ihipStream_tbEUljE_ZNSN_ISO_Lb0ESQ_SR_ST_SU_SY_EESZ_S10_S11_S12_S16_S17_S18_S1B_S1C_jS1D_jS1E_S1E_jjS1G_bEUljE0_EEESZ_S10_S11_S18_S1C_S1E_T6_T7_T9_mT8_S1G_bDpT10_ENKUlT_T0_E_clISt17integral_constantIbLb0EES1U_EEDaS1P_S1Q_EUlS1P_E_NS1_11comp_targetILNS1_3genE4ELNS1_11target_archE910ELNS1_3gpuE8ELNS1_3repE0EEENS1_30default_config_static_selectorELNS0_4arch9wavefront6targetE0EEEvS12_.kd
    .uniform_work_group_size: 1
    .uses_dynamic_stack: false
    .vgpr_count:     0
    .vgpr_spill_count: 0
    .wavefront_size: 32
    .workgroup_processor_mode: 1
  - .args:
      - .offset:         0
        .size:           176
        .value_kind:     by_value
    .group_segment_fixed_size: 0
    .kernarg_segment_align: 8
    .kernarg_segment_size: 176
    .language:       OpenCL C
    .language_version:
      - 2
      - 0
    .max_flat_workgroup_size: 256
    .name:           _ZN7rocprim17ROCPRIM_400000_NS6detail17trampoline_kernelINS0_13select_configILj256ELj13ELNS0_17block_load_methodE3ELS4_3ELS4_3ELNS0_20block_scan_algorithmE0ELj4294967295EEENS1_25partition_config_selectorILNS1_17partition_subalgoE4EjNS0_10empty_typeEbEEZZNS1_14partition_implILS8_4ELb0ES6_15HIP_vector_typeIjLj2EENS0_17counting_iteratorIjlEEPS9_SG_NS0_5tupleIJPjSI_NS0_16reverse_iteratorISI_EEEEENSH_IJSG_SG_SG_EEES9_SI_JZNS1_25segmented_radix_sort_implINS0_14default_configELb0EPKiPiPKlPlN2at6native12_GLOBAL__N_18offset_tEEE10hipError_tPvRmT1_PNSt15iterator_traitsIS12_E10value_typeET2_T3_PNS13_IS18_E10value_typeET4_jRbjT5_S1E_jjP12ihipStream_tbEUljE_ZNSN_ISO_Lb0ESQ_SR_ST_SU_SY_EESZ_S10_S11_S12_S16_S17_S18_S1B_S1C_jS1D_jS1E_S1E_jjS1G_bEUljE0_EEESZ_S10_S11_S18_S1C_S1E_T6_T7_T9_mT8_S1G_bDpT10_ENKUlT_T0_E_clISt17integral_constantIbLb0EES1U_EEDaS1P_S1Q_EUlS1P_E_NS1_11comp_targetILNS1_3genE3ELNS1_11target_archE908ELNS1_3gpuE7ELNS1_3repE0EEENS1_30default_config_static_selectorELNS0_4arch9wavefront6targetE0EEEvS12_
    .private_segment_fixed_size: 0
    .sgpr_count:     0
    .sgpr_spill_count: 0
    .symbol:         _ZN7rocprim17ROCPRIM_400000_NS6detail17trampoline_kernelINS0_13select_configILj256ELj13ELNS0_17block_load_methodE3ELS4_3ELS4_3ELNS0_20block_scan_algorithmE0ELj4294967295EEENS1_25partition_config_selectorILNS1_17partition_subalgoE4EjNS0_10empty_typeEbEEZZNS1_14partition_implILS8_4ELb0ES6_15HIP_vector_typeIjLj2EENS0_17counting_iteratorIjlEEPS9_SG_NS0_5tupleIJPjSI_NS0_16reverse_iteratorISI_EEEEENSH_IJSG_SG_SG_EEES9_SI_JZNS1_25segmented_radix_sort_implINS0_14default_configELb0EPKiPiPKlPlN2at6native12_GLOBAL__N_18offset_tEEE10hipError_tPvRmT1_PNSt15iterator_traitsIS12_E10value_typeET2_T3_PNS13_IS18_E10value_typeET4_jRbjT5_S1E_jjP12ihipStream_tbEUljE_ZNSN_ISO_Lb0ESQ_SR_ST_SU_SY_EESZ_S10_S11_S12_S16_S17_S18_S1B_S1C_jS1D_jS1E_S1E_jjS1G_bEUljE0_EEESZ_S10_S11_S18_S1C_S1E_T6_T7_T9_mT8_S1G_bDpT10_ENKUlT_T0_E_clISt17integral_constantIbLb0EES1U_EEDaS1P_S1Q_EUlS1P_E_NS1_11comp_targetILNS1_3genE3ELNS1_11target_archE908ELNS1_3gpuE7ELNS1_3repE0EEENS1_30default_config_static_selectorELNS0_4arch9wavefront6targetE0EEEvS12_.kd
    .uniform_work_group_size: 1
    .uses_dynamic_stack: false
    .vgpr_count:     0
    .vgpr_spill_count: 0
    .wavefront_size: 32
    .workgroup_processor_mode: 1
  - .args:
      - .offset:         0
        .size:           176
        .value_kind:     by_value
    .group_segment_fixed_size: 0
    .kernarg_segment_align: 8
    .kernarg_segment_size: 176
    .language:       OpenCL C
    .language_version:
      - 2
      - 0
    .max_flat_workgroup_size: 256
    .name:           _ZN7rocprim17ROCPRIM_400000_NS6detail17trampoline_kernelINS0_13select_configILj256ELj13ELNS0_17block_load_methodE3ELS4_3ELS4_3ELNS0_20block_scan_algorithmE0ELj4294967295EEENS1_25partition_config_selectorILNS1_17partition_subalgoE4EjNS0_10empty_typeEbEEZZNS1_14partition_implILS8_4ELb0ES6_15HIP_vector_typeIjLj2EENS0_17counting_iteratorIjlEEPS9_SG_NS0_5tupleIJPjSI_NS0_16reverse_iteratorISI_EEEEENSH_IJSG_SG_SG_EEES9_SI_JZNS1_25segmented_radix_sort_implINS0_14default_configELb0EPKiPiPKlPlN2at6native12_GLOBAL__N_18offset_tEEE10hipError_tPvRmT1_PNSt15iterator_traitsIS12_E10value_typeET2_T3_PNS13_IS18_E10value_typeET4_jRbjT5_S1E_jjP12ihipStream_tbEUljE_ZNSN_ISO_Lb0ESQ_SR_ST_SU_SY_EESZ_S10_S11_S12_S16_S17_S18_S1B_S1C_jS1D_jS1E_S1E_jjS1G_bEUljE0_EEESZ_S10_S11_S18_S1C_S1E_T6_T7_T9_mT8_S1G_bDpT10_ENKUlT_T0_E_clISt17integral_constantIbLb0EES1U_EEDaS1P_S1Q_EUlS1P_E_NS1_11comp_targetILNS1_3genE2ELNS1_11target_archE906ELNS1_3gpuE6ELNS1_3repE0EEENS1_30default_config_static_selectorELNS0_4arch9wavefront6targetE0EEEvS12_
    .private_segment_fixed_size: 0
    .sgpr_count:     0
    .sgpr_spill_count: 0
    .symbol:         _ZN7rocprim17ROCPRIM_400000_NS6detail17trampoline_kernelINS0_13select_configILj256ELj13ELNS0_17block_load_methodE3ELS4_3ELS4_3ELNS0_20block_scan_algorithmE0ELj4294967295EEENS1_25partition_config_selectorILNS1_17partition_subalgoE4EjNS0_10empty_typeEbEEZZNS1_14partition_implILS8_4ELb0ES6_15HIP_vector_typeIjLj2EENS0_17counting_iteratorIjlEEPS9_SG_NS0_5tupleIJPjSI_NS0_16reverse_iteratorISI_EEEEENSH_IJSG_SG_SG_EEES9_SI_JZNS1_25segmented_radix_sort_implINS0_14default_configELb0EPKiPiPKlPlN2at6native12_GLOBAL__N_18offset_tEEE10hipError_tPvRmT1_PNSt15iterator_traitsIS12_E10value_typeET2_T3_PNS13_IS18_E10value_typeET4_jRbjT5_S1E_jjP12ihipStream_tbEUljE_ZNSN_ISO_Lb0ESQ_SR_ST_SU_SY_EESZ_S10_S11_S12_S16_S17_S18_S1B_S1C_jS1D_jS1E_S1E_jjS1G_bEUljE0_EEESZ_S10_S11_S18_S1C_S1E_T6_T7_T9_mT8_S1G_bDpT10_ENKUlT_T0_E_clISt17integral_constantIbLb0EES1U_EEDaS1P_S1Q_EUlS1P_E_NS1_11comp_targetILNS1_3genE2ELNS1_11target_archE906ELNS1_3gpuE6ELNS1_3repE0EEENS1_30default_config_static_selectorELNS0_4arch9wavefront6targetE0EEEvS12_.kd
    .uniform_work_group_size: 1
    .uses_dynamic_stack: false
    .vgpr_count:     0
    .vgpr_spill_count: 0
    .wavefront_size: 32
    .workgroup_processor_mode: 1
  - .args:
      - .offset:         0
        .size:           176
        .value_kind:     by_value
    .group_segment_fixed_size: 0
    .kernarg_segment_align: 8
    .kernarg_segment_size: 176
    .language:       OpenCL C
    .language_version:
      - 2
      - 0
    .max_flat_workgroup_size: 256
    .name:           _ZN7rocprim17ROCPRIM_400000_NS6detail17trampoline_kernelINS0_13select_configILj256ELj13ELNS0_17block_load_methodE3ELS4_3ELS4_3ELNS0_20block_scan_algorithmE0ELj4294967295EEENS1_25partition_config_selectorILNS1_17partition_subalgoE4EjNS0_10empty_typeEbEEZZNS1_14partition_implILS8_4ELb0ES6_15HIP_vector_typeIjLj2EENS0_17counting_iteratorIjlEEPS9_SG_NS0_5tupleIJPjSI_NS0_16reverse_iteratorISI_EEEEENSH_IJSG_SG_SG_EEES9_SI_JZNS1_25segmented_radix_sort_implINS0_14default_configELb0EPKiPiPKlPlN2at6native12_GLOBAL__N_18offset_tEEE10hipError_tPvRmT1_PNSt15iterator_traitsIS12_E10value_typeET2_T3_PNS13_IS18_E10value_typeET4_jRbjT5_S1E_jjP12ihipStream_tbEUljE_ZNSN_ISO_Lb0ESQ_SR_ST_SU_SY_EESZ_S10_S11_S12_S16_S17_S18_S1B_S1C_jS1D_jS1E_S1E_jjS1G_bEUljE0_EEESZ_S10_S11_S18_S1C_S1E_T6_T7_T9_mT8_S1G_bDpT10_ENKUlT_T0_E_clISt17integral_constantIbLb0EES1U_EEDaS1P_S1Q_EUlS1P_E_NS1_11comp_targetILNS1_3genE10ELNS1_11target_archE1200ELNS1_3gpuE4ELNS1_3repE0EEENS1_30default_config_static_selectorELNS0_4arch9wavefront6targetE0EEEvS12_
    .private_segment_fixed_size: 0
    .sgpr_count:     0
    .sgpr_spill_count: 0
    .symbol:         _ZN7rocprim17ROCPRIM_400000_NS6detail17trampoline_kernelINS0_13select_configILj256ELj13ELNS0_17block_load_methodE3ELS4_3ELS4_3ELNS0_20block_scan_algorithmE0ELj4294967295EEENS1_25partition_config_selectorILNS1_17partition_subalgoE4EjNS0_10empty_typeEbEEZZNS1_14partition_implILS8_4ELb0ES6_15HIP_vector_typeIjLj2EENS0_17counting_iteratorIjlEEPS9_SG_NS0_5tupleIJPjSI_NS0_16reverse_iteratorISI_EEEEENSH_IJSG_SG_SG_EEES9_SI_JZNS1_25segmented_radix_sort_implINS0_14default_configELb0EPKiPiPKlPlN2at6native12_GLOBAL__N_18offset_tEEE10hipError_tPvRmT1_PNSt15iterator_traitsIS12_E10value_typeET2_T3_PNS13_IS18_E10value_typeET4_jRbjT5_S1E_jjP12ihipStream_tbEUljE_ZNSN_ISO_Lb0ESQ_SR_ST_SU_SY_EESZ_S10_S11_S12_S16_S17_S18_S1B_S1C_jS1D_jS1E_S1E_jjS1G_bEUljE0_EEESZ_S10_S11_S18_S1C_S1E_T6_T7_T9_mT8_S1G_bDpT10_ENKUlT_T0_E_clISt17integral_constantIbLb0EES1U_EEDaS1P_S1Q_EUlS1P_E_NS1_11comp_targetILNS1_3genE10ELNS1_11target_archE1200ELNS1_3gpuE4ELNS1_3repE0EEENS1_30default_config_static_selectorELNS0_4arch9wavefront6targetE0EEEvS12_.kd
    .uniform_work_group_size: 1
    .uses_dynamic_stack: false
    .vgpr_count:     0
    .vgpr_spill_count: 0
    .wavefront_size: 32
    .workgroup_processor_mode: 1
  - .args:
      - .offset:         0
        .size:           176
        .value_kind:     by_value
    .group_segment_fixed_size: 13340
    .kernarg_segment_align: 8
    .kernarg_segment_size: 176
    .language:       OpenCL C
    .language_version:
      - 2
      - 0
    .max_flat_workgroup_size: 256
    .name:           _ZN7rocprim17ROCPRIM_400000_NS6detail17trampoline_kernelINS0_13select_configILj256ELj13ELNS0_17block_load_methodE3ELS4_3ELS4_3ELNS0_20block_scan_algorithmE0ELj4294967295EEENS1_25partition_config_selectorILNS1_17partition_subalgoE4EjNS0_10empty_typeEbEEZZNS1_14partition_implILS8_4ELb0ES6_15HIP_vector_typeIjLj2EENS0_17counting_iteratorIjlEEPS9_SG_NS0_5tupleIJPjSI_NS0_16reverse_iteratorISI_EEEEENSH_IJSG_SG_SG_EEES9_SI_JZNS1_25segmented_radix_sort_implINS0_14default_configELb0EPKiPiPKlPlN2at6native12_GLOBAL__N_18offset_tEEE10hipError_tPvRmT1_PNSt15iterator_traitsIS12_E10value_typeET2_T3_PNS13_IS18_E10value_typeET4_jRbjT5_S1E_jjP12ihipStream_tbEUljE_ZNSN_ISO_Lb0ESQ_SR_ST_SU_SY_EESZ_S10_S11_S12_S16_S17_S18_S1B_S1C_jS1D_jS1E_S1E_jjS1G_bEUljE0_EEESZ_S10_S11_S18_S1C_S1E_T6_T7_T9_mT8_S1G_bDpT10_ENKUlT_T0_E_clISt17integral_constantIbLb0EES1U_EEDaS1P_S1Q_EUlS1P_E_NS1_11comp_targetILNS1_3genE9ELNS1_11target_archE1100ELNS1_3gpuE3ELNS1_3repE0EEENS1_30default_config_static_selectorELNS0_4arch9wavefront6targetE0EEEvS12_
    .private_segment_fixed_size: 0
    .sgpr_count:     61
    .sgpr_spill_count: 0
    .symbol:         _ZN7rocprim17ROCPRIM_400000_NS6detail17trampoline_kernelINS0_13select_configILj256ELj13ELNS0_17block_load_methodE3ELS4_3ELS4_3ELNS0_20block_scan_algorithmE0ELj4294967295EEENS1_25partition_config_selectorILNS1_17partition_subalgoE4EjNS0_10empty_typeEbEEZZNS1_14partition_implILS8_4ELb0ES6_15HIP_vector_typeIjLj2EENS0_17counting_iteratorIjlEEPS9_SG_NS0_5tupleIJPjSI_NS0_16reverse_iteratorISI_EEEEENSH_IJSG_SG_SG_EEES9_SI_JZNS1_25segmented_radix_sort_implINS0_14default_configELb0EPKiPiPKlPlN2at6native12_GLOBAL__N_18offset_tEEE10hipError_tPvRmT1_PNSt15iterator_traitsIS12_E10value_typeET2_T3_PNS13_IS18_E10value_typeET4_jRbjT5_S1E_jjP12ihipStream_tbEUljE_ZNSN_ISO_Lb0ESQ_SR_ST_SU_SY_EESZ_S10_S11_S12_S16_S17_S18_S1B_S1C_jS1D_jS1E_S1E_jjS1G_bEUljE0_EEESZ_S10_S11_S18_S1C_S1E_T6_T7_T9_mT8_S1G_bDpT10_ENKUlT_T0_E_clISt17integral_constantIbLb0EES1U_EEDaS1P_S1Q_EUlS1P_E_NS1_11comp_targetILNS1_3genE9ELNS1_11target_archE1100ELNS1_3gpuE3ELNS1_3repE0EEENS1_30default_config_static_selectorELNS0_4arch9wavefront6targetE0EEEvS12_.kd
    .uniform_work_group_size: 1
    .uses_dynamic_stack: false
    .vgpr_count:     98
    .vgpr_spill_count: 0
    .wavefront_size: 32
    .workgroup_processor_mode: 1
  - .args:
      - .offset:         0
        .size:           176
        .value_kind:     by_value
    .group_segment_fixed_size: 0
    .kernarg_segment_align: 8
    .kernarg_segment_size: 176
    .language:       OpenCL C
    .language_version:
      - 2
      - 0
    .max_flat_workgroup_size: 256
    .name:           _ZN7rocprim17ROCPRIM_400000_NS6detail17trampoline_kernelINS0_13select_configILj256ELj13ELNS0_17block_load_methodE3ELS4_3ELS4_3ELNS0_20block_scan_algorithmE0ELj4294967295EEENS1_25partition_config_selectorILNS1_17partition_subalgoE4EjNS0_10empty_typeEbEEZZNS1_14partition_implILS8_4ELb0ES6_15HIP_vector_typeIjLj2EENS0_17counting_iteratorIjlEEPS9_SG_NS0_5tupleIJPjSI_NS0_16reverse_iteratorISI_EEEEENSH_IJSG_SG_SG_EEES9_SI_JZNS1_25segmented_radix_sort_implINS0_14default_configELb0EPKiPiPKlPlN2at6native12_GLOBAL__N_18offset_tEEE10hipError_tPvRmT1_PNSt15iterator_traitsIS12_E10value_typeET2_T3_PNS13_IS18_E10value_typeET4_jRbjT5_S1E_jjP12ihipStream_tbEUljE_ZNSN_ISO_Lb0ESQ_SR_ST_SU_SY_EESZ_S10_S11_S12_S16_S17_S18_S1B_S1C_jS1D_jS1E_S1E_jjS1G_bEUljE0_EEESZ_S10_S11_S18_S1C_S1E_T6_T7_T9_mT8_S1G_bDpT10_ENKUlT_T0_E_clISt17integral_constantIbLb0EES1U_EEDaS1P_S1Q_EUlS1P_E_NS1_11comp_targetILNS1_3genE8ELNS1_11target_archE1030ELNS1_3gpuE2ELNS1_3repE0EEENS1_30default_config_static_selectorELNS0_4arch9wavefront6targetE0EEEvS12_
    .private_segment_fixed_size: 0
    .sgpr_count:     0
    .sgpr_spill_count: 0
    .symbol:         _ZN7rocprim17ROCPRIM_400000_NS6detail17trampoline_kernelINS0_13select_configILj256ELj13ELNS0_17block_load_methodE3ELS4_3ELS4_3ELNS0_20block_scan_algorithmE0ELj4294967295EEENS1_25partition_config_selectorILNS1_17partition_subalgoE4EjNS0_10empty_typeEbEEZZNS1_14partition_implILS8_4ELb0ES6_15HIP_vector_typeIjLj2EENS0_17counting_iteratorIjlEEPS9_SG_NS0_5tupleIJPjSI_NS0_16reverse_iteratorISI_EEEEENSH_IJSG_SG_SG_EEES9_SI_JZNS1_25segmented_radix_sort_implINS0_14default_configELb0EPKiPiPKlPlN2at6native12_GLOBAL__N_18offset_tEEE10hipError_tPvRmT1_PNSt15iterator_traitsIS12_E10value_typeET2_T3_PNS13_IS18_E10value_typeET4_jRbjT5_S1E_jjP12ihipStream_tbEUljE_ZNSN_ISO_Lb0ESQ_SR_ST_SU_SY_EESZ_S10_S11_S12_S16_S17_S18_S1B_S1C_jS1D_jS1E_S1E_jjS1G_bEUljE0_EEESZ_S10_S11_S18_S1C_S1E_T6_T7_T9_mT8_S1G_bDpT10_ENKUlT_T0_E_clISt17integral_constantIbLb0EES1U_EEDaS1P_S1Q_EUlS1P_E_NS1_11comp_targetILNS1_3genE8ELNS1_11target_archE1030ELNS1_3gpuE2ELNS1_3repE0EEENS1_30default_config_static_selectorELNS0_4arch9wavefront6targetE0EEEvS12_.kd
    .uniform_work_group_size: 1
    .uses_dynamic_stack: false
    .vgpr_count:     0
    .vgpr_spill_count: 0
    .wavefront_size: 32
    .workgroup_processor_mode: 1
  - .args:
      - .offset:         0
        .size:           184
        .value_kind:     by_value
    .group_segment_fixed_size: 0
    .kernarg_segment_align: 8
    .kernarg_segment_size: 184
    .language:       OpenCL C
    .language_version:
      - 2
      - 0
    .max_flat_workgroup_size: 256
    .name:           _ZN7rocprim17ROCPRIM_400000_NS6detail17trampoline_kernelINS0_13select_configILj256ELj13ELNS0_17block_load_methodE3ELS4_3ELS4_3ELNS0_20block_scan_algorithmE0ELj4294967295EEENS1_25partition_config_selectorILNS1_17partition_subalgoE4EjNS0_10empty_typeEbEEZZNS1_14partition_implILS8_4ELb0ES6_15HIP_vector_typeIjLj2EENS0_17counting_iteratorIjlEEPS9_SG_NS0_5tupleIJPjSI_NS0_16reverse_iteratorISI_EEEEENSH_IJSG_SG_SG_EEES9_SI_JZNS1_25segmented_radix_sort_implINS0_14default_configELb0EPKiPiPKlPlN2at6native12_GLOBAL__N_18offset_tEEE10hipError_tPvRmT1_PNSt15iterator_traitsIS12_E10value_typeET2_T3_PNS13_IS18_E10value_typeET4_jRbjT5_S1E_jjP12ihipStream_tbEUljE_ZNSN_ISO_Lb0ESQ_SR_ST_SU_SY_EESZ_S10_S11_S12_S16_S17_S18_S1B_S1C_jS1D_jS1E_S1E_jjS1G_bEUljE0_EEESZ_S10_S11_S18_S1C_S1E_T6_T7_T9_mT8_S1G_bDpT10_ENKUlT_T0_E_clISt17integral_constantIbLb1EES1U_EEDaS1P_S1Q_EUlS1P_E_NS1_11comp_targetILNS1_3genE0ELNS1_11target_archE4294967295ELNS1_3gpuE0ELNS1_3repE0EEENS1_30default_config_static_selectorELNS0_4arch9wavefront6targetE0EEEvS12_
    .private_segment_fixed_size: 0
    .sgpr_count:     0
    .sgpr_spill_count: 0
    .symbol:         _ZN7rocprim17ROCPRIM_400000_NS6detail17trampoline_kernelINS0_13select_configILj256ELj13ELNS0_17block_load_methodE3ELS4_3ELS4_3ELNS0_20block_scan_algorithmE0ELj4294967295EEENS1_25partition_config_selectorILNS1_17partition_subalgoE4EjNS0_10empty_typeEbEEZZNS1_14partition_implILS8_4ELb0ES6_15HIP_vector_typeIjLj2EENS0_17counting_iteratorIjlEEPS9_SG_NS0_5tupleIJPjSI_NS0_16reverse_iteratorISI_EEEEENSH_IJSG_SG_SG_EEES9_SI_JZNS1_25segmented_radix_sort_implINS0_14default_configELb0EPKiPiPKlPlN2at6native12_GLOBAL__N_18offset_tEEE10hipError_tPvRmT1_PNSt15iterator_traitsIS12_E10value_typeET2_T3_PNS13_IS18_E10value_typeET4_jRbjT5_S1E_jjP12ihipStream_tbEUljE_ZNSN_ISO_Lb0ESQ_SR_ST_SU_SY_EESZ_S10_S11_S12_S16_S17_S18_S1B_S1C_jS1D_jS1E_S1E_jjS1G_bEUljE0_EEESZ_S10_S11_S18_S1C_S1E_T6_T7_T9_mT8_S1G_bDpT10_ENKUlT_T0_E_clISt17integral_constantIbLb1EES1U_EEDaS1P_S1Q_EUlS1P_E_NS1_11comp_targetILNS1_3genE0ELNS1_11target_archE4294967295ELNS1_3gpuE0ELNS1_3repE0EEENS1_30default_config_static_selectorELNS0_4arch9wavefront6targetE0EEEvS12_.kd
    .uniform_work_group_size: 1
    .uses_dynamic_stack: false
    .vgpr_count:     0
    .vgpr_spill_count: 0
    .wavefront_size: 32
    .workgroup_processor_mode: 1
  - .args:
      - .offset:         0
        .size:           184
        .value_kind:     by_value
    .group_segment_fixed_size: 0
    .kernarg_segment_align: 8
    .kernarg_segment_size: 184
    .language:       OpenCL C
    .language_version:
      - 2
      - 0
    .max_flat_workgroup_size: 256
    .name:           _ZN7rocprim17ROCPRIM_400000_NS6detail17trampoline_kernelINS0_13select_configILj256ELj13ELNS0_17block_load_methodE3ELS4_3ELS4_3ELNS0_20block_scan_algorithmE0ELj4294967295EEENS1_25partition_config_selectorILNS1_17partition_subalgoE4EjNS0_10empty_typeEbEEZZNS1_14partition_implILS8_4ELb0ES6_15HIP_vector_typeIjLj2EENS0_17counting_iteratorIjlEEPS9_SG_NS0_5tupleIJPjSI_NS0_16reverse_iteratorISI_EEEEENSH_IJSG_SG_SG_EEES9_SI_JZNS1_25segmented_radix_sort_implINS0_14default_configELb0EPKiPiPKlPlN2at6native12_GLOBAL__N_18offset_tEEE10hipError_tPvRmT1_PNSt15iterator_traitsIS12_E10value_typeET2_T3_PNS13_IS18_E10value_typeET4_jRbjT5_S1E_jjP12ihipStream_tbEUljE_ZNSN_ISO_Lb0ESQ_SR_ST_SU_SY_EESZ_S10_S11_S12_S16_S17_S18_S1B_S1C_jS1D_jS1E_S1E_jjS1G_bEUljE0_EEESZ_S10_S11_S18_S1C_S1E_T6_T7_T9_mT8_S1G_bDpT10_ENKUlT_T0_E_clISt17integral_constantIbLb1EES1U_EEDaS1P_S1Q_EUlS1P_E_NS1_11comp_targetILNS1_3genE5ELNS1_11target_archE942ELNS1_3gpuE9ELNS1_3repE0EEENS1_30default_config_static_selectorELNS0_4arch9wavefront6targetE0EEEvS12_
    .private_segment_fixed_size: 0
    .sgpr_count:     0
    .sgpr_spill_count: 0
    .symbol:         _ZN7rocprim17ROCPRIM_400000_NS6detail17trampoline_kernelINS0_13select_configILj256ELj13ELNS0_17block_load_methodE3ELS4_3ELS4_3ELNS0_20block_scan_algorithmE0ELj4294967295EEENS1_25partition_config_selectorILNS1_17partition_subalgoE4EjNS0_10empty_typeEbEEZZNS1_14partition_implILS8_4ELb0ES6_15HIP_vector_typeIjLj2EENS0_17counting_iteratorIjlEEPS9_SG_NS0_5tupleIJPjSI_NS0_16reverse_iteratorISI_EEEEENSH_IJSG_SG_SG_EEES9_SI_JZNS1_25segmented_radix_sort_implINS0_14default_configELb0EPKiPiPKlPlN2at6native12_GLOBAL__N_18offset_tEEE10hipError_tPvRmT1_PNSt15iterator_traitsIS12_E10value_typeET2_T3_PNS13_IS18_E10value_typeET4_jRbjT5_S1E_jjP12ihipStream_tbEUljE_ZNSN_ISO_Lb0ESQ_SR_ST_SU_SY_EESZ_S10_S11_S12_S16_S17_S18_S1B_S1C_jS1D_jS1E_S1E_jjS1G_bEUljE0_EEESZ_S10_S11_S18_S1C_S1E_T6_T7_T9_mT8_S1G_bDpT10_ENKUlT_T0_E_clISt17integral_constantIbLb1EES1U_EEDaS1P_S1Q_EUlS1P_E_NS1_11comp_targetILNS1_3genE5ELNS1_11target_archE942ELNS1_3gpuE9ELNS1_3repE0EEENS1_30default_config_static_selectorELNS0_4arch9wavefront6targetE0EEEvS12_.kd
    .uniform_work_group_size: 1
    .uses_dynamic_stack: false
    .vgpr_count:     0
    .vgpr_spill_count: 0
    .wavefront_size: 32
    .workgroup_processor_mode: 1
  - .args:
      - .offset:         0
        .size:           184
        .value_kind:     by_value
    .group_segment_fixed_size: 0
    .kernarg_segment_align: 8
    .kernarg_segment_size: 184
    .language:       OpenCL C
    .language_version:
      - 2
      - 0
    .max_flat_workgroup_size: 256
    .name:           _ZN7rocprim17ROCPRIM_400000_NS6detail17trampoline_kernelINS0_13select_configILj256ELj13ELNS0_17block_load_methodE3ELS4_3ELS4_3ELNS0_20block_scan_algorithmE0ELj4294967295EEENS1_25partition_config_selectorILNS1_17partition_subalgoE4EjNS0_10empty_typeEbEEZZNS1_14partition_implILS8_4ELb0ES6_15HIP_vector_typeIjLj2EENS0_17counting_iteratorIjlEEPS9_SG_NS0_5tupleIJPjSI_NS0_16reverse_iteratorISI_EEEEENSH_IJSG_SG_SG_EEES9_SI_JZNS1_25segmented_radix_sort_implINS0_14default_configELb0EPKiPiPKlPlN2at6native12_GLOBAL__N_18offset_tEEE10hipError_tPvRmT1_PNSt15iterator_traitsIS12_E10value_typeET2_T3_PNS13_IS18_E10value_typeET4_jRbjT5_S1E_jjP12ihipStream_tbEUljE_ZNSN_ISO_Lb0ESQ_SR_ST_SU_SY_EESZ_S10_S11_S12_S16_S17_S18_S1B_S1C_jS1D_jS1E_S1E_jjS1G_bEUljE0_EEESZ_S10_S11_S18_S1C_S1E_T6_T7_T9_mT8_S1G_bDpT10_ENKUlT_T0_E_clISt17integral_constantIbLb1EES1U_EEDaS1P_S1Q_EUlS1P_E_NS1_11comp_targetILNS1_3genE4ELNS1_11target_archE910ELNS1_3gpuE8ELNS1_3repE0EEENS1_30default_config_static_selectorELNS0_4arch9wavefront6targetE0EEEvS12_
    .private_segment_fixed_size: 0
    .sgpr_count:     0
    .sgpr_spill_count: 0
    .symbol:         _ZN7rocprim17ROCPRIM_400000_NS6detail17trampoline_kernelINS0_13select_configILj256ELj13ELNS0_17block_load_methodE3ELS4_3ELS4_3ELNS0_20block_scan_algorithmE0ELj4294967295EEENS1_25partition_config_selectorILNS1_17partition_subalgoE4EjNS0_10empty_typeEbEEZZNS1_14partition_implILS8_4ELb0ES6_15HIP_vector_typeIjLj2EENS0_17counting_iteratorIjlEEPS9_SG_NS0_5tupleIJPjSI_NS0_16reverse_iteratorISI_EEEEENSH_IJSG_SG_SG_EEES9_SI_JZNS1_25segmented_radix_sort_implINS0_14default_configELb0EPKiPiPKlPlN2at6native12_GLOBAL__N_18offset_tEEE10hipError_tPvRmT1_PNSt15iterator_traitsIS12_E10value_typeET2_T3_PNS13_IS18_E10value_typeET4_jRbjT5_S1E_jjP12ihipStream_tbEUljE_ZNSN_ISO_Lb0ESQ_SR_ST_SU_SY_EESZ_S10_S11_S12_S16_S17_S18_S1B_S1C_jS1D_jS1E_S1E_jjS1G_bEUljE0_EEESZ_S10_S11_S18_S1C_S1E_T6_T7_T9_mT8_S1G_bDpT10_ENKUlT_T0_E_clISt17integral_constantIbLb1EES1U_EEDaS1P_S1Q_EUlS1P_E_NS1_11comp_targetILNS1_3genE4ELNS1_11target_archE910ELNS1_3gpuE8ELNS1_3repE0EEENS1_30default_config_static_selectorELNS0_4arch9wavefront6targetE0EEEvS12_.kd
    .uniform_work_group_size: 1
    .uses_dynamic_stack: false
    .vgpr_count:     0
    .vgpr_spill_count: 0
    .wavefront_size: 32
    .workgroup_processor_mode: 1
  - .args:
      - .offset:         0
        .size:           184
        .value_kind:     by_value
    .group_segment_fixed_size: 0
    .kernarg_segment_align: 8
    .kernarg_segment_size: 184
    .language:       OpenCL C
    .language_version:
      - 2
      - 0
    .max_flat_workgroup_size: 256
    .name:           _ZN7rocprim17ROCPRIM_400000_NS6detail17trampoline_kernelINS0_13select_configILj256ELj13ELNS0_17block_load_methodE3ELS4_3ELS4_3ELNS0_20block_scan_algorithmE0ELj4294967295EEENS1_25partition_config_selectorILNS1_17partition_subalgoE4EjNS0_10empty_typeEbEEZZNS1_14partition_implILS8_4ELb0ES6_15HIP_vector_typeIjLj2EENS0_17counting_iteratorIjlEEPS9_SG_NS0_5tupleIJPjSI_NS0_16reverse_iteratorISI_EEEEENSH_IJSG_SG_SG_EEES9_SI_JZNS1_25segmented_radix_sort_implINS0_14default_configELb0EPKiPiPKlPlN2at6native12_GLOBAL__N_18offset_tEEE10hipError_tPvRmT1_PNSt15iterator_traitsIS12_E10value_typeET2_T3_PNS13_IS18_E10value_typeET4_jRbjT5_S1E_jjP12ihipStream_tbEUljE_ZNSN_ISO_Lb0ESQ_SR_ST_SU_SY_EESZ_S10_S11_S12_S16_S17_S18_S1B_S1C_jS1D_jS1E_S1E_jjS1G_bEUljE0_EEESZ_S10_S11_S18_S1C_S1E_T6_T7_T9_mT8_S1G_bDpT10_ENKUlT_T0_E_clISt17integral_constantIbLb1EES1U_EEDaS1P_S1Q_EUlS1P_E_NS1_11comp_targetILNS1_3genE3ELNS1_11target_archE908ELNS1_3gpuE7ELNS1_3repE0EEENS1_30default_config_static_selectorELNS0_4arch9wavefront6targetE0EEEvS12_
    .private_segment_fixed_size: 0
    .sgpr_count:     0
    .sgpr_spill_count: 0
    .symbol:         _ZN7rocprim17ROCPRIM_400000_NS6detail17trampoline_kernelINS0_13select_configILj256ELj13ELNS0_17block_load_methodE3ELS4_3ELS4_3ELNS0_20block_scan_algorithmE0ELj4294967295EEENS1_25partition_config_selectorILNS1_17partition_subalgoE4EjNS0_10empty_typeEbEEZZNS1_14partition_implILS8_4ELb0ES6_15HIP_vector_typeIjLj2EENS0_17counting_iteratorIjlEEPS9_SG_NS0_5tupleIJPjSI_NS0_16reverse_iteratorISI_EEEEENSH_IJSG_SG_SG_EEES9_SI_JZNS1_25segmented_radix_sort_implINS0_14default_configELb0EPKiPiPKlPlN2at6native12_GLOBAL__N_18offset_tEEE10hipError_tPvRmT1_PNSt15iterator_traitsIS12_E10value_typeET2_T3_PNS13_IS18_E10value_typeET4_jRbjT5_S1E_jjP12ihipStream_tbEUljE_ZNSN_ISO_Lb0ESQ_SR_ST_SU_SY_EESZ_S10_S11_S12_S16_S17_S18_S1B_S1C_jS1D_jS1E_S1E_jjS1G_bEUljE0_EEESZ_S10_S11_S18_S1C_S1E_T6_T7_T9_mT8_S1G_bDpT10_ENKUlT_T0_E_clISt17integral_constantIbLb1EES1U_EEDaS1P_S1Q_EUlS1P_E_NS1_11comp_targetILNS1_3genE3ELNS1_11target_archE908ELNS1_3gpuE7ELNS1_3repE0EEENS1_30default_config_static_selectorELNS0_4arch9wavefront6targetE0EEEvS12_.kd
    .uniform_work_group_size: 1
    .uses_dynamic_stack: false
    .vgpr_count:     0
    .vgpr_spill_count: 0
    .wavefront_size: 32
    .workgroup_processor_mode: 1
  - .args:
      - .offset:         0
        .size:           184
        .value_kind:     by_value
    .group_segment_fixed_size: 0
    .kernarg_segment_align: 8
    .kernarg_segment_size: 184
    .language:       OpenCL C
    .language_version:
      - 2
      - 0
    .max_flat_workgroup_size: 256
    .name:           _ZN7rocprim17ROCPRIM_400000_NS6detail17trampoline_kernelINS0_13select_configILj256ELj13ELNS0_17block_load_methodE3ELS4_3ELS4_3ELNS0_20block_scan_algorithmE0ELj4294967295EEENS1_25partition_config_selectorILNS1_17partition_subalgoE4EjNS0_10empty_typeEbEEZZNS1_14partition_implILS8_4ELb0ES6_15HIP_vector_typeIjLj2EENS0_17counting_iteratorIjlEEPS9_SG_NS0_5tupleIJPjSI_NS0_16reverse_iteratorISI_EEEEENSH_IJSG_SG_SG_EEES9_SI_JZNS1_25segmented_radix_sort_implINS0_14default_configELb0EPKiPiPKlPlN2at6native12_GLOBAL__N_18offset_tEEE10hipError_tPvRmT1_PNSt15iterator_traitsIS12_E10value_typeET2_T3_PNS13_IS18_E10value_typeET4_jRbjT5_S1E_jjP12ihipStream_tbEUljE_ZNSN_ISO_Lb0ESQ_SR_ST_SU_SY_EESZ_S10_S11_S12_S16_S17_S18_S1B_S1C_jS1D_jS1E_S1E_jjS1G_bEUljE0_EEESZ_S10_S11_S18_S1C_S1E_T6_T7_T9_mT8_S1G_bDpT10_ENKUlT_T0_E_clISt17integral_constantIbLb1EES1U_EEDaS1P_S1Q_EUlS1P_E_NS1_11comp_targetILNS1_3genE2ELNS1_11target_archE906ELNS1_3gpuE6ELNS1_3repE0EEENS1_30default_config_static_selectorELNS0_4arch9wavefront6targetE0EEEvS12_
    .private_segment_fixed_size: 0
    .sgpr_count:     0
    .sgpr_spill_count: 0
    .symbol:         _ZN7rocprim17ROCPRIM_400000_NS6detail17trampoline_kernelINS0_13select_configILj256ELj13ELNS0_17block_load_methodE3ELS4_3ELS4_3ELNS0_20block_scan_algorithmE0ELj4294967295EEENS1_25partition_config_selectorILNS1_17partition_subalgoE4EjNS0_10empty_typeEbEEZZNS1_14partition_implILS8_4ELb0ES6_15HIP_vector_typeIjLj2EENS0_17counting_iteratorIjlEEPS9_SG_NS0_5tupleIJPjSI_NS0_16reverse_iteratorISI_EEEEENSH_IJSG_SG_SG_EEES9_SI_JZNS1_25segmented_radix_sort_implINS0_14default_configELb0EPKiPiPKlPlN2at6native12_GLOBAL__N_18offset_tEEE10hipError_tPvRmT1_PNSt15iterator_traitsIS12_E10value_typeET2_T3_PNS13_IS18_E10value_typeET4_jRbjT5_S1E_jjP12ihipStream_tbEUljE_ZNSN_ISO_Lb0ESQ_SR_ST_SU_SY_EESZ_S10_S11_S12_S16_S17_S18_S1B_S1C_jS1D_jS1E_S1E_jjS1G_bEUljE0_EEESZ_S10_S11_S18_S1C_S1E_T6_T7_T9_mT8_S1G_bDpT10_ENKUlT_T0_E_clISt17integral_constantIbLb1EES1U_EEDaS1P_S1Q_EUlS1P_E_NS1_11comp_targetILNS1_3genE2ELNS1_11target_archE906ELNS1_3gpuE6ELNS1_3repE0EEENS1_30default_config_static_selectorELNS0_4arch9wavefront6targetE0EEEvS12_.kd
    .uniform_work_group_size: 1
    .uses_dynamic_stack: false
    .vgpr_count:     0
    .vgpr_spill_count: 0
    .wavefront_size: 32
    .workgroup_processor_mode: 1
  - .args:
      - .offset:         0
        .size:           184
        .value_kind:     by_value
    .group_segment_fixed_size: 0
    .kernarg_segment_align: 8
    .kernarg_segment_size: 184
    .language:       OpenCL C
    .language_version:
      - 2
      - 0
    .max_flat_workgroup_size: 256
    .name:           _ZN7rocprim17ROCPRIM_400000_NS6detail17trampoline_kernelINS0_13select_configILj256ELj13ELNS0_17block_load_methodE3ELS4_3ELS4_3ELNS0_20block_scan_algorithmE0ELj4294967295EEENS1_25partition_config_selectorILNS1_17partition_subalgoE4EjNS0_10empty_typeEbEEZZNS1_14partition_implILS8_4ELb0ES6_15HIP_vector_typeIjLj2EENS0_17counting_iteratorIjlEEPS9_SG_NS0_5tupleIJPjSI_NS0_16reverse_iteratorISI_EEEEENSH_IJSG_SG_SG_EEES9_SI_JZNS1_25segmented_radix_sort_implINS0_14default_configELb0EPKiPiPKlPlN2at6native12_GLOBAL__N_18offset_tEEE10hipError_tPvRmT1_PNSt15iterator_traitsIS12_E10value_typeET2_T3_PNS13_IS18_E10value_typeET4_jRbjT5_S1E_jjP12ihipStream_tbEUljE_ZNSN_ISO_Lb0ESQ_SR_ST_SU_SY_EESZ_S10_S11_S12_S16_S17_S18_S1B_S1C_jS1D_jS1E_S1E_jjS1G_bEUljE0_EEESZ_S10_S11_S18_S1C_S1E_T6_T7_T9_mT8_S1G_bDpT10_ENKUlT_T0_E_clISt17integral_constantIbLb1EES1U_EEDaS1P_S1Q_EUlS1P_E_NS1_11comp_targetILNS1_3genE10ELNS1_11target_archE1200ELNS1_3gpuE4ELNS1_3repE0EEENS1_30default_config_static_selectorELNS0_4arch9wavefront6targetE0EEEvS12_
    .private_segment_fixed_size: 0
    .sgpr_count:     0
    .sgpr_spill_count: 0
    .symbol:         _ZN7rocprim17ROCPRIM_400000_NS6detail17trampoline_kernelINS0_13select_configILj256ELj13ELNS0_17block_load_methodE3ELS4_3ELS4_3ELNS0_20block_scan_algorithmE0ELj4294967295EEENS1_25partition_config_selectorILNS1_17partition_subalgoE4EjNS0_10empty_typeEbEEZZNS1_14partition_implILS8_4ELb0ES6_15HIP_vector_typeIjLj2EENS0_17counting_iteratorIjlEEPS9_SG_NS0_5tupleIJPjSI_NS0_16reverse_iteratorISI_EEEEENSH_IJSG_SG_SG_EEES9_SI_JZNS1_25segmented_radix_sort_implINS0_14default_configELb0EPKiPiPKlPlN2at6native12_GLOBAL__N_18offset_tEEE10hipError_tPvRmT1_PNSt15iterator_traitsIS12_E10value_typeET2_T3_PNS13_IS18_E10value_typeET4_jRbjT5_S1E_jjP12ihipStream_tbEUljE_ZNSN_ISO_Lb0ESQ_SR_ST_SU_SY_EESZ_S10_S11_S12_S16_S17_S18_S1B_S1C_jS1D_jS1E_S1E_jjS1G_bEUljE0_EEESZ_S10_S11_S18_S1C_S1E_T6_T7_T9_mT8_S1G_bDpT10_ENKUlT_T0_E_clISt17integral_constantIbLb1EES1U_EEDaS1P_S1Q_EUlS1P_E_NS1_11comp_targetILNS1_3genE10ELNS1_11target_archE1200ELNS1_3gpuE4ELNS1_3repE0EEENS1_30default_config_static_selectorELNS0_4arch9wavefront6targetE0EEEvS12_.kd
    .uniform_work_group_size: 1
    .uses_dynamic_stack: false
    .vgpr_count:     0
    .vgpr_spill_count: 0
    .wavefront_size: 32
    .workgroup_processor_mode: 1
  - .args:
      - .offset:         0
        .size:           184
        .value_kind:     by_value
    .group_segment_fixed_size: 13340
    .kernarg_segment_align: 8
    .kernarg_segment_size: 184
    .language:       OpenCL C
    .language_version:
      - 2
      - 0
    .max_flat_workgroup_size: 256
    .name:           _ZN7rocprim17ROCPRIM_400000_NS6detail17trampoline_kernelINS0_13select_configILj256ELj13ELNS0_17block_load_methodE3ELS4_3ELS4_3ELNS0_20block_scan_algorithmE0ELj4294967295EEENS1_25partition_config_selectorILNS1_17partition_subalgoE4EjNS0_10empty_typeEbEEZZNS1_14partition_implILS8_4ELb0ES6_15HIP_vector_typeIjLj2EENS0_17counting_iteratorIjlEEPS9_SG_NS0_5tupleIJPjSI_NS0_16reverse_iteratorISI_EEEEENSH_IJSG_SG_SG_EEES9_SI_JZNS1_25segmented_radix_sort_implINS0_14default_configELb0EPKiPiPKlPlN2at6native12_GLOBAL__N_18offset_tEEE10hipError_tPvRmT1_PNSt15iterator_traitsIS12_E10value_typeET2_T3_PNS13_IS18_E10value_typeET4_jRbjT5_S1E_jjP12ihipStream_tbEUljE_ZNSN_ISO_Lb0ESQ_SR_ST_SU_SY_EESZ_S10_S11_S12_S16_S17_S18_S1B_S1C_jS1D_jS1E_S1E_jjS1G_bEUljE0_EEESZ_S10_S11_S18_S1C_S1E_T6_T7_T9_mT8_S1G_bDpT10_ENKUlT_T0_E_clISt17integral_constantIbLb1EES1U_EEDaS1P_S1Q_EUlS1P_E_NS1_11comp_targetILNS1_3genE9ELNS1_11target_archE1100ELNS1_3gpuE3ELNS1_3repE0EEENS1_30default_config_static_selectorELNS0_4arch9wavefront6targetE0EEEvS12_
    .private_segment_fixed_size: 0
    .sgpr_count:     57
    .sgpr_spill_count: 0
    .symbol:         _ZN7rocprim17ROCPRIM_400000_NS6detail17trampoline_kernelINS0_13select_configILj256ELj13ELNS0_17block_load_methodE3ELS4_3ELS4_3ELNS0_20block_scan_algorithmE0ELj4294967295EEENS1_25partition_config_selectorILNS1_17partition_subalgoE4EjNS0_10empty_typeEbEEZZNS1_14partition_implILS8_4ELb0ES6_15HIP_vector_typeIjLj2EENS0_17counting_iteratorIjlEEPS9_SG_NS0_5tupleIJPjSI_NS0_16reverse_iteratorISI_EEEEENSH_IJSG_SG_SG_EEES9_SI_JZNS1_25segmented_radix_sort_implINS0_14default_configELb0EPKiPiPKlPlN2at6native12_GLOBAL__N_18offset_tEEE10hipError_tPvRmT1_PNSt15iterator_traitsIS12_E10value_typeET2_T3_PNS13_IS18_E10value_typeET4_jRbjT5_S1E_jjP12ihipStream_tbEUljE_ZNSN_ISO_Lb0ESQ_SR_ST_SU_SY_EESZ_S10_S11_S12_S16_S17_S18_S1B_S1C_jS1D_jS1E_S1E_jjS1G_bEUljE0_EEESZ_S10_S11_S18_S1C_S1E_T6_T7_T9_mT8_S1G_bDpT10_ENKUlT_T0_E_clISt17integral_constantIbLb1EES1U_EEDaS1P_S1Q_EUlS1P_E_NS1_11comp_targetILNS1_3genE9ELNS1_11target_archE1100ELNS1_3gpuE3ELNS1_3repE0EEENS1_30default_config_static_selectorELNS0_4arch9wavefront6targetE0EEEvS12_.kd
    .uniform_work_group_size: 1
    .uses_dynamic_stack: false
    .vgpr_count:     103
    .vgpr_spill_count: 0
    .wavefront_size: 32
    .workgroup_processor_mode: 1
  - .args:
      - .offset:         0
        .size:           184
        .value_kind:     by_value
    .group_segment_fixed_size: 0
    .kernarg_segment_align: 8
    .kernarg_segment_size: 184
    .language:       OpenCL C
    .language_version:
      - 2
      - 0
    .max_flat_workgroup_size: 256
    .name:           _ZN7rocprim17ROCPRIM_400000_NS6detail17trampoline_kernelINS0_13select_configILj256ELj13ELNS0_17block_load_methodE3ELS4_3ELS4_3ELNS0_20block_scan_algorithmE0ELj4294967295EEENS1_25partition_config_selectorILNS1_17partition_subalgoE4EjNS0_10empty_typeEbEEZZNS1_14partition_implILS8_4ELb0ES6_15HIP_vector_typeIjLj2EENS0_17counting_iteratorIjlEEPS9_SG_NS0_5tupleIJPjSI_NS0_16reverse_iteratorISI_EEEEENSH_IJSG_SG_SG_EEES9_SI_JZNS1_25segmented_radix_sort_implINS0_14default_configELb0EPKiPiPKlPlN2at6native12_GLOBAL__N_18offset_tEEE10hipError_tPvRmT1_PNSt15iterator_traitsIS12_E10value_typeET2_T3_PNS13_IS18_E10value_typeET4_jRbjT5_S1E_jjP12ihipStream_tbEUljE_ZNSN_ISO_Lb0ESQ_SR_ST_SU_SY_EESZ_S10_S11_S12_S16_S17_S18_S1B_S1C_jS1D_jS1E_S1E_jjS1G_bEUljE0_EEESZ_S10_S11_S18_S1C_S1E_T6_T7_T9_mT8_S1G_bDpT10_ENKUlT_T0_E_clISt17integral_constantIbLb1EES1U_EEDaS1P_S1Q_EUlS1P_E_NS1_11comp_targetILNS1_3genE8ELNS1_11target_archE1030ELNS1_3gpuE2ELNS1_3repE0EEENS1_30default_config_static_selectorELNS0_4arch9wavefront6targetE0EEEvS12_
    .private_segment_fixed_size: 0
    .sgpr_count:     0
    .sgpr_spill_count: 0
    .symbol:         _ZN7rocprim17ROCPRIM_400000_NS6detail17trampoline_kernelINS0_13select_configILj256ELj13ELNS0_17block_load_methodE3ELS4_3ELS4_3ELNS0_20block_scan_algorithmE0ELj4294967295EEENS1_25partition_config_selectorILNS1_17partition_subalgoE4EjNS0_10empty_typeEbEEZZNS1_14partition_implILS8_4ELb0ES6_15HIP_vector_typeIjLj2EENS0_17counting_iteratorIjlEEPS9_SG_NS0_5tupleIJPjSI_NS0_16reverse_iteratorISI_EEEEENSH_IJSG_SG_SG_EEES9_SI_JZNS1_25segmented_radix_sort_implINS0_14default_configELb0EPKiPiPKlPlN2at6native12_GLOBAL__N_18offset_tEEE10hipError_tPvRmT1_PNSt15iterator_traitsIS12_E10value_typeET2_T3_PNS13_IS18_E10value_typeET4_jRbjT5_S1E_jjP12ihipStream_tbEUljE_ZNSN_ISO_Lb0ESQ_SR_ST_SU_SY_EESZ_S10_S11_S12_S16_S17_S18_S1B_S1C_jS1D_jS1E_S1E_jjS1G_bEUljE0_EEESZ_S10_S11_S18_S1C_S1E_T6_T7_T9_mT8_S1G_bDpT10_ENKUlT_T0_E_clISt17integral_constantIbLb1EES1U_EEDaS1P_S1Q_EUlS1P_E_NS1_11comp_targetILNS1_3genE8ELNS1_11target_archE1030ELNS1_3gpuE2ELNS1_3repE0EEENS1_30default_config_static_selectorELNS0_4arch9wavefront6targetE0EEEvS12_.kd
    .uniform_work_group_size: 1
    .uses_dynamic_stack: false
    .vgpr_count:     0
    .vgpr_spill_count: 0
    .wavefront_size: 32
    .workgroup_processor_mode: 1
  - .args:
      - .offset:         0
        .size:           176
        .value_kind:     by_value
    .group_segment_fixed_size: 0
    .kernarg_segment_align: 8
    .kernarg_segment_size: 176
    .language:       OpenCL C
    .language_version:
      - 2
      - 0
    .max_flat_workgroup_size: 256
    .name:           _ZN7rocprim17ROCPRIM_400000_NS6detail17trampoline_kernelINS0_13select_configILj256ELj13ELNS0_17block_load_methodE3ELS4_3ELS4_3ELNS0_20block_scan_algorithmE0ELj4294967295EEENS1_25partition_config_selectorILNS1_17partition_subalgoE4EjNS0_10empty_typeEbEEZZNS1_14partition_implILS8_4ELb0ES6_15HIP_vector_typeIjLj2EENS0_17counting_iteratorIjlEEPS9_SG_NS0_5tupleIJPjSI_NS0_16reverse_iteratorISI_EEEEENSH_IJSG_SG_SG_EEES9_SI_JZNS1_25segmented_radix_sort_implINS0_14default_configELb0EPKiPiPKlPlN2at6native12_GLOBAL__N_18offset_tEEE10hipError_tPvRmT1_PNSt15iterator_traitsIS12_E10value_typeET2_T3_PNS13_IS18_E10value_typeET4_jRbjT5_S1E_jjP12ihipStream_tbEUljE_ZNSN_ISO_Lb0ESQ_SR_ST_SU_SY_EESZ_S10_S11_S12_S16_S17_S18_S1B_S1C_jS1D_jS1E_S1E_jjS1G_bEUljE0_EEESZ_S10_S11_S18_S1C_S1E_T6_T7_T9_mT8_S1G_bDpT10_ENKUlT_T0_E_clISt17integral_constantIbLb1EES1T_IbLb0EEEEDaS1P_S1Q_EUlS1P_E_NS1_11comp_targetILNS1_3genE0ELNS1_11target_archE4294967295ELNS1_3gpuE0ELNS1_3repE0EEENS1_30default_config_static_selectorELNS0_4arch9wavefront6targetE0EEEvS12_
    .private_segment_fixed_size: 0
    .sgpr_count:     0
    .sgpr_spill_count: 0
    .symbol:         _ZN7rocprim17ROCPRIM_400000_NS6detail17trampoline_kernelINS0_13select_configILj256ELj13ELNS0_17block_load_methodE3ELS4_3ELS4_3ELNS0_20block_scan_algorithmE0ELj4294967295EEENS1_25partition_config_selectorILNS1_17partition_subalgoE4EjNS0_10empty_typeEbEEZZNS1_14partition_implILS8_4ELb0ES6_15HIP_vector_typeIjLj2EENS0_17counting_iteratorIjlEEPS9_SG_NS0_5tupleIJPjSI_NS0_16reverse_iteratorISI_EEEEENSH_IJSG_SG_SG_EEES9_SI_JZNS1_25segmented_radix_sort_implINS0_14default_configELb0EPKiPiPKlPlN2at6native12_GLOBAL__N_18offset_tEEE10hipError_tPvRmT1_PNSt15iterator_traitsIS12_E10value_typeET2_T3_PNS13_IS18_E10value_typeET4_jRbjT5_S1E_jjP12ihipStream_tbEUljE_ZNSN_ISO_Lb0ESQ_SR_ST_SU_SY_EESZ_S10_S11_S12_S16_S17_S18_S1B_S1C_jS1D_jS1E_S1E_jjS1G_bEUljE0_EEESZ_S10_S11_S18_S1C_S1E_T6_T7_T9_mT8_S1G_bDpT10_ENKUlT_T0_E_clISt17integral_constantIbLb1EES1T_IbLb0EEEEDaS1P_S1Q_EUlS1P_E_NS1_11comp_targetILNS1_3genE0ELNS1_11target_archE4294967295ELNS1_3gpuE0ELNS1_3repE0EEENS1_30default_config_static_selectorELNS0_4arch9wavefront6targetE0EEEvS12_.kd
    .uniform_work_group_size: 1
    .uses_dynamic_stack: false
    .vgpr_count:     0
    .vgpr_spill_count: 0
    .wavefront_size: 32
    .workgroup_processor_mode: 1
  - .args:
      - .offset:         0
        .size:           176
        .value_kind:     by_value
    .group_segment_fixed_size: 0
    .kernarg_segment_align: 8
    .kernarg_segment_size: 176
    .language:       OpenCL C
    .language_version:
      - 2
      - 0
    .max_flat_workgroup_size: 256
    .name:           _ZN7rocprim17ROCPRIM_400000_NS6detail17trampoline_kernelINS0_13select_configILj256ELj13ELNS0_17block_load_methodE3ELS4_3ELS4_3ELNS0_20block_scan_algorithmE0ELj4294967295EEENS1_25partition_config_selectorILNS1_17partition_subalgoE4EjNS0_10empty_typeEbEEZZNS1_14partition_implILS8_4ELb0ES6_15HIP_vector_typeIjLj2EENS0_17counting_iteratorIjlEEPS9_SG_NS0_5tupleIJPjSI_NS0_16reverse_iteratorISI_EEEEENSH_IJSG_SG_SG_EEES9_SI_JZNS1_25segmented_radix_sort_implINS0_14default_configELb0EPKiPiPKlPlN2at6native12_GLOBAL__N_18offset_tEEE10hipError_tPvRmT1_PNSt15iterator_traitsIS12_E10value_typeET2_T3_PNS13_IS18_E10value_typeET4_jRbjT5_S1E_jjP12ihipStream_tbEUljE_ZNSN_ISO_Lb0ESQ_SR_ST_SU_SY_EESZ_S10_S11_S12_S16_S17_S18_S1B_S1C_jS1D_jS1E_S1E_jjS1G_bEUljE0_EEESZ_S10_S11_S18_S1C_S1E_T6_T7_T9_mT8_S1G_bDpT10_ENKUlT_T0_E_clISt17integral_constantIbLb1EES1T_IbLb0EEEEDaS1P_S1Q_EUlS1P_E_NS1_11comp_targetILNS1_3genE5ELNS1_11target_archE942ELNS1_3gpuE9ELNS1_3repE0EEENS1_30default_config_static_selectorELNS0_4arch9wavefront6targetE0EEEvS12_
    .private_segment_fixed_size: 0
    .sgpr_count:     0
    .sgpr_spill_count: 0
    .symbol:         _ZN7rocprim17ROCPRIM_400000_NS6detail17trampoline_kernelINS0_13select_configILj256ELj13ELNS0_17block_load_methodE3ELS4_3ELS4_3ELNS0_20block_scan_algorithmE0ELj4294967295EEENS1_25partition_config_selectorILNS1_17partition_subalgoE4EjNS0_10empty_typeEbEEZZNS1_14partition_implILS8_4ELb0ES6_15HIP_vector_typeIjLj2EENS0_17counting_iteratorIjlEEPS9_SG_NS0_5tupleIJPjSI_NS0_16reverse_iteratorISI_EEEEENSH_IJSG_SG_SG_EEES9_SI_JZNS1_25segmented_radix_sort_implINS0_14default_configELb0EPKiPiPKlPlN2at6native12_GLOBAL__N_18offset_tEEE10hipError_tPvRmT1_PNSt15iterator_traitsIS12_E10value_typeET2_T3_PNS13_IS18_E10value_typeET4_jRbjT5_S1E_jjP12ihipStream_tbEUljE_ZNSN_ISO_Lb0ESQ_SR_ST_SU_SY_EESZ_S10_S11_S12_S16_S17_S18_S1B_S1C_jS1D_jS1E_S1E_jjS1G_bEUljE0_EEESZ_S10_S11_S18_S1C_S1E_T6_T7_T9_mT8_S1G_bDpT10_ENKUlT_T0_E_clISt17integral_constantIbLb1EES1T_IbLb0EEEEDaS1P_S1Q_EUlS1P_E_NS1_11comp_targetILNS1_3genE5ELNS1_11target_archE942ELNS1_3gpuE9ELNS1_3repE0EEENS1_30default_config_static_selectorELNS0_4arch9wavefront6targetE0EEEvS12_.kd
    .uniform_work_group_size: 1
    .uses_dynamic_stack: false
    .vgpr_count:     0
    .vgpr_spill_count: 0
    .wavefront_size: 32
    .workgroup_processor_mode: 1
  - .args:
      - .offset:         0
        .size:           176
        .value_kind:     by_value
    .group_segment_fixed_size: 0
    .kernarg_segment_align: 8
    .kernarg_segment_size: 176
    .language:       OpenCL C
    .language_version:
      - 2
      - 0
    .max_flat_workgroup_size: 256
    .name:           _ZN7rocprim17ROCPRIM_400000_NS6detail17trampoline_kernelINS0_13select_configILj256ELj13ELNS0_17block_load_methodE3ELS4_3ELS4_3ELNS0_20block_scan_algorithmE0ELj4294967295EEENS1_25partition_config_selectorILNS1_17partition_subalgoE4EjNS0_10empty_typeEbEEZZNS1_14partition_implILS8_4ELb0ES6_15HIP_vector_typeIjLj2EENS0_17counting_iteratorIjlEEPS9_SG_NS0_5tupleIJPjSI_NS0_16reverse_iteratorISI_EEEEENSH_IJSG_SG_SG_EEES9_SI_JZNS1_25segmented_radix_sort_implINS0_14default_configELb0EPKiPiPKlPlN2at6native12_GLOBAL__N_18offset_tEEE10hipError_tPvRmT1_PNSt15iterator_traitsIS12_E10value_typeET2_T3_PNS13_IS18_E10value_typeET4_jRbjT5_S1E_jjP12ihipStream_tbEUljE_ZNSN_ISO_Lb0ESQ_SR_ST_SU_SY_EESZ_S10_S11_S12_S16_S17_S18_S1B_S1C_jS1D_jS1E_S1E_jjS1G_bEUljE0_EEESZ_S10_S11_S18_S1C_S1E_T6_T7_T9_mT8_S1G_bDpT10_ENKUlT_T0_E_clISt17integral_constantIbLb1EES1T_IbLb0EEEEDaS1P_S1Q_EUlS1P_E_NS1_11comp_targetILNS1_3genE4ELNS1_11target_archE910ELNS1_3gpuE8ELNS1_3repE0EEENS1_30default_config_static_selectorELNS0_4arch9wavefront6targetE0EEEvS12_
    .private_segment_fixed_size: 0
    .sgpr_count:     0
    .sgpr_spill_count: 0
    .symbol:         _ZN7rocprim17ROCPRIM_400000_NS6detail17trampoline_kernelINS0_13select_configILj256ELj13ELNS0_17block_load_methodE3ELS4_3ELS4_3ELNS0_20block_scan_algorithmE0ELj4294967295EEENS1_25partition_config_selectorILNS1_17partition_subalgoE4EjNS0_10empty_typeEbEEZZNS1_14partition_implILS8_4ELb0ES6_15HIP_vector_typeIjLj2EENS0_17counting_iteratorIjlEEPS9_SG_NS0_5tupleIJPjSI_NS0_16reverse_iteratorISI_EEEEENSH_IJSG_SG_SG_EEES9_SI_JZNS1_25segmented_radix_sort_implINS0_14default_configELb0EPKiPiPKlPlN2at6native12_GLOBAL__N_18offset_tEEE10hipError_tPvRmT1_PNSt15iterator_traitsIS12_E10value_typeET2_T3_PNS13_IS18_E10value_typeET4_jRbjT5_S1E_jjP12ihipStream_tbEUljE_ZNSN_ISO_Lb0ESQ_SR_ST_SU_SY_EESZ_S10_S11_S12_S16_S17_S18_S1B_S1C_jS1D_jS1E_S1E_jjS1G_bEUljE0_EEESZ_S10_S11_S18_S1C_S1E_T6_T7_T9_mT8_S1G_bDpT10_ENKUlT_T0_E_clISt17integral_constantIbLb1EES1T_IbLb0EEEEDaS1P_S1Q_EUlS1P_E_NS1_11comp_targetILNS1_3genE4ELNS1_11target_archE910ELNS1_3gpuE8ELNS1_3repE0EEENS1_30default_config_static_selectorELNS0_4arch9wavefront6targetE0EEEvS12_.kd
    .uniform_work_group_size: 1
    .uses_dynamic_stack: false
    .vgpr_count:     0
    .vgpr_spill_count: 0
    .wavefront_size: 32
    .workgroup_processor_mode: 1
  - .args:
      - .offset:         0
        .size:           176
        .value_kind:     by_value
    .group_segment_fixed_size: 0
    .kernarg_segment_align: 8
    .kernarg_segment_size: 176
    .language:       OpenCL C
    .language_version:
      - 2
      - 0
    .max_flat_workgroup_size: 256
    .name:           _ZN7rocprim17ROCPRIM_400000_NS6detail17trampoline_kernelINS0_13select_configILj256ELj13ELNS0_17block_load_methodE3ELS4_3ELS4_3ELNS0_20block_scan_algorithmE0ELj4294967295EEENS1_25partition_config_selectorILNS1_17partition_subalgoE4EjNS0_10empty_typeEbEEZZNS1_14partition_implILS8_4ELb0ES6_15HIP_vector_typeIjLj2EENS0_17counting_iteratorIjlEEPS9_SG_NS0_5tupleIJPjSI_NS0_16reverse_iteratorISI_EEEEENSH_IJSG_SG_SG_EEES9_SI_JZNS1_25segmented_radix_sort_implINS0_14default_configELb0EPKiPiPKlPlN2at6native12_GLOBAL__N_18offset_tEEE10hipError_tPvRmT1_PNSt15iterator_traitsIS12_E10value_typeET2_T3_PNS13_IS18_E10value_typeET4_jRbjT5_S1E_jjP12ihipStream_tbEUljE_ZNSN_ISO_Lb0ESQ_SR_ST_SU_SY_EESZ_S10_S11_S12_S16_S17_S18_S1B_S1C_jS1D_jS1E_S1E_jjS1G_bEUljE0_EEESZ_S10_S11_S18_S1C_S1E_T6_T7_T9_mT8_S1G_bDpT10_ENKUlT_T0_E_clISt17integral_constantIbLb1EES1T_IbLb0EEEEDaS1P_S1Q_EUlS1P_E_NS1_11comp_targetILNS1_3genE3ELNS1_11target_archE908ELNS1_3gpuE7ELNS1_3repE0EEENS1_30default_config_static_selectorELNS0_4arch9wavefront6targetE0EEEvS12_
    .private_segment_fixed_size: 0
    .sgpr_count:     0
    .sgpr_spill_count: 0
    .symbol:         _ZN7rocprim17ROCPRIM_400000_NS6detail17trampoline_kernelINS0_13select_configILj256ELj13ELNS0_17block_load_methodE3ELS4_3ELS4_3ELNS0_20block_scan_algorithmE0ELj4294967295EEENS1_25partition_config_selectorILNS1_17partition_subalgoE4EjNS0_10empty_typeEbEEZZNS1_14partition_implILS8_4ELb0ES6_15HIP_vector_typeIjLj2EENS0_17counting_iteratorIjlEEPS9_SG_NS0_5tupleIJPjSI_NS0_16reverse_iteratorISI_EEEEENSH_IJSG_SG_SG_EEES9_SI_JZNS1_25segmented_radix_sort_implINS0_14default_configELb0EPKiPiPKlPlN2at6native12_GLOBAL__N_18offset_tEEE10hipError_tPvRmT1_PNSt15iterator_traitsIS12_E10value_typeET2_T3_PNS13_IS18_E10value_typeET4_jRbjT5_S1E_jjP12ihipStream_tbEUljE_ZNSN_ISO_Lb0ESQ_SR_ST_SU_SY_EESZ_S10_S11_S12_S16_S17_S18_S1B_S1C_jS1D_jS1E_S1E_jjS1G_bEUljE0_EEESZ_S10_S11_S18_S1C_S1E_T6_T7_T9_mT8_S1G_bDpT10_ENKUlT_T0_E_clISt17integral_constantIbLb1EES1T_IbLb0EEEEDaS1P_S1Q_EUlS1P_E_NS1_11comp_targetILNS1_3genE3ELNS1_11target_archE908ELNS1_3gpuE7ELNS1_3repE0EEENS1_30default_config_static_selectorELNS0_4arch9wavefront6targetE0EEEvS12_.kd
    .uniform_work_group_size: 1
    .uses_dynamic_stack: false
    .vgpr_count:     0
    .vgpr_spill_count: 0
    .wavefront_size: 32
    .workgroup_processor_mode: 1
  - .args:
      - .offset:         0
        .size:           176
        .value_kind:     by_value
    .group_segment_fixed_size: 0
    .kernarg_segment_align: 8
    .kernarg_segment_size: 176
    .language:       OpenCL C
    .language_version:
      - 2
      - 0
    .max_flat_workgroup_size: 256
    .name:           _ZN7rocprim17ROCPRIM_400000_NS6detail17trampoline_kernelINS0_13select_configILj256ELj13ELNS0_17block_load_methodE3ELS4_3ELS4_3ELNS0_20block_scan_algorithmE0ELj4294967295EEENS1_25partition_config_selectorILNS1_17partition_subalgoE4EjNS0_10empty_typeEbEEZZNS1_14partition_implILS8_4ELb0ES6_15HIP_vector_typeIjLj2EENS0_17counting_iteratorIjlEEPS9_SG_NS0_5tupleIJPjSI_NS0_16reverse_iteratorISI_EEEEENSH_IJSG_SG_SG_EEES9_SI_JZNS1_25segmented_radix_sort_implINS0_14default_configELb0EPKiPiPKlPlN2at6native12_GLOBAL__N_18offset_tEEE10hipError_tPvRmT1_PNSt15iterator_traitsIS12_E10value_typeET2_T3_PNS13_IS18_E10value_typeET4_jRbjT5_S1E_jjP12ihipStream_tbEUljE_ZNSN_ISO_Lb0ESQ_SR_ST_SU_SY_EESZ_S10_S11_S12_S16_S17_S18_S1B_S1C_jS1D_jS1E_S1E_jjS1G_bEUljE0_EEESZ_S10_S11_S18_S1C_S1E_T6_T7_T9_mT8_S1G_bDpT10_ENKUlT_T0_E_clISt17integral_constantIbLb1EES1T_IbLb0EEEEDaS1P_S1Q_EUlS1P_E_NS1_11comp_targetILNS1_3genE2ELNS1_11target_archE906ELNS1_3gpuE6ELNS1_3repE0EEENS1_30default_config_static_selectorELNS0_4arch9wavefront6targetE0EEEvS12_
    .private_segment_fixed_size: 0
    .sgpr_count:     0
    .sgpr_spill_count: 0
    .symbol:         _ZN7rocprim17ROCPRIM_400000_NS6detail17trampoline_kernelINS0_13select_configILj256ELj13ELNS0_17block_load_methodE3ELS4_3ELS4_3ELNS0_20block_scan_algorithmE0ELj4294967295EEENS1_25partition_config_selectorILNS1_17partition_subalgoE4EjNS0_10empty_typeEbEEZZNS1_14partition_implILS8_4ELb0ES6_15HIP_vector_typeIjLj2EENS0_17counting_iteratorIjlEEPS9_SG_NS0_5tupleIJPjSI_NS0_16reverse_iteratorISI_EEEEENSH_IJSG_SG_SG_EEES9_SI_JZNS1_25segmented_radix_sort_implINS0_14default_configELb0EPKiPiPKlPlN2at6native12_GLOBAL__N_18offset_tEEE10hipError_tPvRmT1_PNSt15iterator_traitsIS12_E10value_typeET2_T3_PNS13_IS18_E10value_typeET4_jRbjT5_S1E_jjP12ihipStream_tbEUljE_ZNSN_ISO_Lb0ESQ_SR_ST_SU_SY_EESZ_S10_S11_S12_S16_S17_S18_S1B_S1C_jS1D_jS1E_S1E_jjS1G_bEUljE0_EEESZ_S10_S11_S18_S1C_S1E_T6_T7_T9_mT8_S1G_bDpT10_ENKUlT_T0_E_clISt17integral_constantIbLb1EES1T_IbLb0EEEEDaS1P_S1Q_EUlS1P_E_NS1_11comp_targetILNS1_3genE2ELNS1_11target_archE906ELNS1_3gpuE6ELNS1_3repE0EEENS1_30default_config_static_selectorELNS0_4arch9wavefront6targetE0EEEvS12_.kd
    .uniform_work_group_size: 1
    .uses_dynamic_stack: false
    .vgpr_count:     0
    .vgpr_spill_count: 0
    .wavefront_size: 32
    .workgroup_processor_mode: 1
  - .args:
      - .offset:         0
        .size:           176
        .value_kind:     by_value
    .group_segment_fixed_size: 0
    .kernarg_segment_align: 8
    .kernarg_segment_size: 176
    .language:       OpenCL C
    .language_version:
      - 2
      - 0
    .max_flat_workgroup_size: 256
    .name:           _ZN7rocprim17ROCPRIM_400000_NS6detail17trampoline_kernelINS0_13select_configILj256ELj13ELNS0_17block_load_methodE3ELS4_3ELS4_3ELNS0_20block_scan_algorithmE0ELj4294967295EEENS1_25partition_config_selectorILNS1_17partition_subalgoE4EjNS0_10empty_typeEbEEZZNS1_14partition_implILS8_4ELb0ES6_15HIP_vector_typeIjLj2EENS0_17counting_iteratorIjlEEPS9_SG_NS0_5tupleIJPjSI_NS0_16reverse_iteratorISI_EEEEENSH_IJSG_SG_SG_EEES9_SI_JZNS1_25segmented_radix_sort_implINS0_14default_configELb0EPKiPiPKlPlN2at6native12_GLOBAL__N_18offset_tEEE10hipError_tPvRmT1_PNSt15iterator_traitsIS12_E10value_typeET2_T3_PNS13_IS18_E10value_typeET4_jRbjT5_S1E_jjP12ihipStream_tbEUljE_ZNSN_ISO_Lb0ESQ_SR_ST_SU_SY_EESZ_S10_S11_S12_S16_S17_S18_S1B_S1C_jS1D_jS1E_S1E_jjS1G_bEUljE0_EEESZ_S10_S11_S18_S1C_S1E_T6_T7_T9_mT8_S1G_bDpT10_ENKUlT_T0_E_clISt17integral_constantIbLb1EES1T_IbLb0EEEEDaS1P_S1Q_EUlS1P_E_NS1_11comp_targetILNS1_3genE10ELNS1_11target_archE1200ELNS1_3gpuE4ELNS1_3repE0EEENS1_30default_config_static_selectorELNS0_4arch9wavefront6targetE0EEEvS12_
    .private_segment_fixed_size: 0
    .sgpr_count:     0
    .sgpr_spill_count: 0
    .symbol:         _ZN7rocprim17ROCPRIM_400000_NS6detail17trampoline_kernelINS0_13select_configILj256ELj13ELNS0_17block_load_methodE3ELS4_3ELS4_3ELNS0_20block_scan_algorithmE0ELj4294967295EEENS1_25partition_config_selectorILNS1_17partition_subalgoE4EjNS0_10empty_typeEbEEZZNS1_14partition_implILS8_4ELb0ES6_15HIP_vector_typeIjLj2EENS0_17counting_iteratorIjlEEPS9_SG_NS0_5tupleIJPjSI_NS0_16reverse_iteratorISI_EEEEENSH_IJSG_SG_SG_EEES9_SI_JZNS1_25segmented_radix_sort_implINS0_14default_configELb0EPKiPiPKlPlN2at6native12_GLOBAL__N_18offset_tEEE10hipError_tPvRmT1_PNSt15iterator_traitsIS12_E10value_typeET2_T3_PNS13_IS18_E10value_typeET4_jRbjT5_S1E_jjP12ihipStream_tbEUljE_ZNSN_ISO_Lb0ESQ_SR_ST_SU_SY_EESZ_S10_S11_S12_S16_S17_S18_S1B_S1C_jS1D_jS1E_S1E_jjS1G_bEUljE0_EEESZ_S10_S11_S18_S1C_S1E_T6_T7_T9_mT8_S1G_bDpT10_ENKUlT_T0_E_clISt17integral_constantIbLb1EES1T_IbLb0EEEEDaS1P_S1Q_EUlS1P_E_NS1_11comp_targetILNS1_3genE10ELNS1_11target_archE1200ELNS1_3gpuE4ELNS1_3repE0EEENS1_30default_config_static_selectorELNS0_4arch9wavefront6targetE0EEEvS12_.kd
    .uniform_work_group_size: 1
    .uses_dynamic_stack: false
    .vgpr_count:     0
    .vgpr_spill_count: 0
    .wavefront_size: 32
    .workgroup_processor_mode: 1
  - .args:
      - .offset:         0
        .size:           176
        .value_kind:     by_value
    .group_segment_fixed_size: 13340
    .kernarg_segment_align: 8
    .kernarg_segment_size: 176
    .language:       OpenCL C
    .language_version:
      - 2
      - 0
    .max_flat_workgroup_size: 256
    .name:           _ZN7rocprim17ROCPRIM_400000_NS6detail17trampoline_kernelINS0_13select_configILj256ELj13ELNS0_17block_load_methodE3ELS4_3ELS4_3ELNS0_20block_scan_algorithmE0ELj4294967295EEENS1_25partition_config_selectorILNS1_17partition_subalgoE4EjNS0_10empty_typeEbEEZZNS1_14partition_implILS8_4ELb0ES6_15HIP_vector_typeIjLj2EENS0_17counting_iteratorIjlEEPS9_SG_NS0_5tupleIJPjSI_NS0_16reverse_iteratorISI_EEEEENSH_IJSG_SG_SG_EEES9_SI_JZNS1_25segmented_radix_sort_implINS0_14default_configELb0EPKiPiPKlPlN2at6native12_GLOBAL__N_18offset_tEEE10hipError_tPvRmT1_PNSt15iterator_traitsIS12_E10value_typeET2_T3_PNS13_IS18_E10value_typeET4_jRbjT5_S1E_jjP12ihipStream_tbEUljE_ZNSN_ISO_Lb0ESQ_SR_ST_SU_SY_EESZ_S10_S11_S12_S16_S17_S18_S1B_S1C_jS1D_jS1E_S1E_jjS1G_bEUljE0_EEESZ_S10_S11_S18_S1C_S1E_T6_T7_T9_mT8_S1G_bDpT10_ENKUlT_T0_E_clISt17integral_constantIbLb1EES1T_IbLb0EEEEDaS1P_S1Q_EUlS1P_E_NS1_11comp_targetILNS1_3genE9ELNS1_11target_archE1100ELNS1_3gpuE3ELNS1_3repE0EEENS1_30default_config_static_selectorELNS0_4arch9wavefront6targetE0EEEvS12_
    .private_segment_fixed_size: 0
    .sgpr_count:     61
    .sgpr_spill_count: 0
    .symbol:         _ZN7rocprim17ROCPRIM_400000_NS6detail17trampoline_kernelINS0_13select_configILj256ELj13ELNS0_17block_load_methodE3ELS4_3ELS4_3ELNS0_20block_scan_algorithmE0ELj4294967295EEENS1_25partition_config_selectorILNS1_17partition_subalgoE4EjNS0_10empty_typeEbEEZZNS1_14partition_implILS8_4ELb0ES6_15HIP_vector_typeIjLj2EENS0_17counting_iteratorIjlEEPS9_SG_NS0_5tupleIJPjSI_NS0_16reverse_iteratorISI_EEEEENSH_IJSG_SG_SG_EEES9_SI_JZNS1_25segmented_radix_sort_implINS0_14default_configELb0EPKiPiPKlPlN2at6native12_GLOBAL__N_18offset_tEEE10hipError_tPvRmT1_PNSt15iterator_traitsIS12_E10value_typeET2_T3_PNS13_IS18_E10value_typeET4_jRbjT5_S1E_jjP12ihipStream_tbEUljE_ZNSN_ISO_Lb0ESQ_SR_ST_SU_SY_EESZ_S10_S11_S12_S16_S17_S18_S1B_S1C_jS1D_jS1E_S1E_jjS1G_bEUljE0_EEESZ_S10_S11_S18_S1C_S1E_T6_T7_T9_mT8_S1G_bDpT10_ENKUlT_T0_E_clISt17integral_constantIbLb1EES1T_IbLb0EEEEDaS1P_S1Q_EUlS1P_E_NS1_11comp_targetILNS1_3genE9ELNS1_11target_archE1100ELNS1_3gpuE3ELNS1_3repE0EEENS1_30default_config_static_selectorELNS0_4arch9wavefront6targetE0EEEvS12_.kd
    .uniform_work_group_size: 1
    .uses_dynamic_stack: false
    .vgpr_count:     98
    .vgpr_spill_count: 0
    .wavefront_size: 32
    .workgroup_processor_mode: 1
  - .args:
      - .offset:         0
        .size:           176
        .value_kind:     by_value
    .group_segment_fixed_size: 0
    .kernarg_segment_align: 8
    .kernarg_segment_size: 176
    .language:       OpenCL C
    .language_version:
      - 2
      - 0
    .max_flat_workgroup_size: 256
    .name:           _ZN7rocprim17ROCPRIM_400000_NS6detail17trampoline_kernelINS0_13select_configILj256ELj13ELNS0_17block_load_methodE3ELS4_3ELS4_3ELNS0_20block_scan_algorithmE0ELj4294967295EEENS1_25partition_config_selectorILNS1_17partition_subalgoE4EjNS0_10empty_typeEbEEZZNS1_14partition_implILS8_4ELb0ES6_15HIP_vector_typeIjLj2EENS0_17counting_iteratorIjlEEPS9_SG_NS0_5tupleIJPjSI_NS0_16reverse_iteratorISI_EEEEENSH_IJSG_SG_SG_EEES9_SI_JZNS1_25segmented_radix_sort_implINS0_14default_configELb0EPKiPiPKlPlN2at6native12_GLOBAL__N_18offset_tEEE10hipError_tPvRmT1_PNSt15iterator_traitsIS12_E10value_typeET2_T3_PNS13_IS18_E10value_typeET4_jRbjT5_S1E_jjP12ihipStream_tbEUljE_ZNSN_ISO_Lb0ESQ_SR_ST_SU_SY_EESZ_S10_S11_S12_S16_S17_S18_S1B_S1C_jS1D_jS1E_S1E_jjS1G_bEUljE0_EEESZ_S10_S11_S18_S1C_S1E_T6_T7_T9_mT8_S1G_bDpT10_ENKUlT_T0_E_clISt17integral_constantIbLb1EES1T_IbLb0EEEEDaS1P_S1Q_EUlS1P_E_NS1_11comp_targetILNS1_3genE8ELNS1_11target_archE1030ELNS1_3gpuE2ELNS1_3repE0EEENS1_30default_config_static_selectorELNS0_4arch9wavefront6targetE0EEEvS12_
    .private_segment_fixed_size: 0
    .sgpr_count:     0
    .sgpr_spill_count: 0
    .symbol:         _ZN7rocprim17ROCPRIM_400000_NS6detail17trampoline_kernelINS0_13select_configILj256ELj13ELNS0_17block_load_methodE3ELS4_3ELS4_3ELNS0_20block_scan_algorithmE0ELj4294967295EEENS1_25partition_config_selectorILNS1_17partition_subalgoE4EjNS0_10empty_typeEbEEZZNS1_14partition_implILS8_4ELb0ES6_15HIP_vector_typeIjLj2EENS0_17counting_iteratorIjlEEPS9_SG_NS0_5tupleIJPjSI_NS0_16reverse_iteratorISI_EEEEENSH_IJSG_SG_SG_EEES9_SI_JZNS1_25segmented_radix_sort_implINS0_14default_configELb0EPKiPiPKlPlN2at6native12_GLOBAL__N_18offset_tEEE10hipError_tPvRmT1_PNSt15iterator_traitsIS12_E10value_typeET2_T3_PNS13_IS18_E10value_typeET4_jRbjT5_S1E_jjP12ihipStream_tbEUljE_ZNSN_ISO_Lb0ESQ_SR_ST_SU_SY_EESZ_S10_S11_S12_S16_S17_S18_S1B_S1C_jS1D_jS1E_S1E_jjS1G_bEUljE0_EEESZ_S10_S11_S18_S1C_S1E_T6_T7_T9_mT8_S1G_bDpT10_ENKUlT_T0_E_clISt17integral_constantIbLb1EES1T_IbLb0EEEEDaS1P_S1Q_EUlS1P_E_NS1_11comp_targetILNS1_3genE8ELNS1_11target_archE1030ELNS1_3gpuE2ELNS1_3repE0EEENS1_30default_config_static_selectorELNS0_4arch9wavefront6targetE0EEEvS12_.kd
    .uniform_work_group_size: 1
    .uses_dynamic_stack: false
    .vgpr_count:     0
    .vgpr_spill_count: 0
    .wavefront_size: 32
    .workgroup_processor_mode: 1
  - .args:
      - .offset:         0
        .size:           184
        .value_kind:     by_value
    .group_segment_fixed_size: 0
    .kernarg_segment_align: 8
    .kernarg_segment_size: 184
    .language:       OpenCL C
    .language_version:
      - 2
      - 0
    .max_flat_workgroup_size: 256
    .name:           _ZN7rocprim17ROCPRIM_400000_NS6detail17trampoline_kernelINS0_13select_configILj256ELj13ELNS0_17block_load_methodE3ELS4_3ELS4_3ELNS0_20block_scan_algorithmE0ELj4294967295EEENS1_25partition_config_selectorILNS1_17partition_subalgoE4EjNS0_10empty_typeEbEEZZNS1_14partition_implILS8_4ELb0ES6_15HIP_vector_typeIjLj2EENS0_17counting_iteratorIjlEEPS9_SG_NS0_5tupleIJPjSI_NS0_16reverse_iteratorISI_EEEEENSH_IJSG_SG_SG_EEES9_SI_JZNS1_25segmented_radix_sort_implINS0_14default_configELb0EPKiPiPKlPlN2at6native12_GLOBAL__N_18offset_tEEE10hipError_tPvRmT1_PNSt15iterator_traitsIS12_E10value_typeET2_T3_PNS13_IS18_E10value_typeET4_jRbjT5_S1E_jjP12ihipStream_tbEUljE_ZNSN_ISO_Lb0ESQ_SR_ST_SU_SY_EESZ_S10_S11_S12_S16_S17_S18_S1B_S1C_jS1D_jS1E_S1E_jjS1G_bEUljE0_EEESZ_S10_S11_S18_S1C_S1E_T6_T7_T9_mT8_S1G_bDpT10_ENKUlT_T0_E_clISt17integral_constantIbLb0EES1T_IbLb1EEEEDaS1P_S1Q_EUlS1P_E_NS1_11comp_targetILNS1_3genE0ELNS1_11target_archE4294967295ELNS1_3gpuE0ELNS1_3repE0EEENS1_30default_config_static_selectorELNS0_4arch9wavefront6targetE0EEEvS12_
    .private_segment_fixed_size: 0
    .sgpr_count:     0
    .sgpr_spill_count: 0
    .symbol:         _ZN7rocprim17ROCPRIM_400000_NS6detail17trampoline_kernelINS0_13select_configILj256ELj13ELNS0_17block_load_methodE3ELS4_3ELS4_3ELNS0_20block_scan_algorithmE0ELj4294967295EEENS1_25partition_config_selectorILNS1_17partition_subalgoE4EjNS0_10empty_typeEbEEZZNS1_14partition_implILS8_4ELb0ES6_15HIP_vector_typeIjLj2EENS0_17counting_iteratorIjlEEPS9_SG_NS0_5tupleIJPjSI_NS0_16reverse_iteratorISI_EEEEENSH_IJSG_SG_SG_EEES9_SI_JZNS1_25segmented_radix_sort_implINS0_14default_configELb0EPKiPiPKlPlN2at6native12_GLOBAL__N_18offset_tEEE10hipError_tPvRmT1_PNSt15iterator_traitsIS12_E10value_typeET2_T3_PNS13_IS18_E10value_typeET4_jRbjT5_S1E_jjP12ihipStream_tbEUljE_ZNSN_ISO_Lb0ESQ_SR_ST_SU_SY_EESZ_S10_S11_S12_S16_S17_S18_S1B_S1C_jS1D_jS1E_S1E_jjS1G_bEUljE0_EEESZ_S10_S11_S18_S1C_S1E_T6_T7_T9_mT8_S1G_bDpT10_ENKUlT_T0_E_clISt17integral_constantIbLb0EES1T_IbLb1EEEEDaS1P_S1Q_EUlS1P_E_NS1_11comp_targetILNS1_3genE0ELNS1_11target_archE4294967295ELNS1_3gpuE0ELNS1_3repE0EEENS1_30default_config_static_selectorELNS0_4arch9wavefront6targetE0EEEvS12_.kd
    .uniform_work_group_size: 1
    .uses_dynamic_stack: false
    .vgpr_count:     0
    .vgpr_spill_count: 0
    .wavefront_size: 32
    .workgroup_processor_mode: 1
  - .args:
      - .offset:         0
        .size:           184
        .value_kind:     by_value
    .group_segment_fixed_size: 0
    .kernarg_segment_align: 8
    .kernarg_segment_size: 184
    .language:       OpenCL C
    .language_version:
      - 2
      - 0
    .max_flat_workgroup_size: 256
    .name:           _ZN7rocprim17ROCPRIM_400000_NS6detail17trampoline_kernelINS0_13select_configILj256ELj13ELNS0_17block_load_methodE3ELS4_3ELS4_3ELNS0_20block_scan_algorithmE0ELj4294967295EEENS1_25partition_config_selectorILNS1_17partition_subalgoE4EjNS0_10empty_typeEbEEZZNS1_14partition_implILS8_4ELb0ES6_15HIP_vector_typeIjLj2EENS0_17counting_iteratorIjlEEPS9_SG_NS0_5tupleIJPjSI_NS0_16reverse_iteratorISI_EEEEENSH_IJSG_SG_SG_EEES9_SI_JZNS1_25segmented_radix_sort_implINS0_14default_configELb0EPKiPiPKlPlN2at6native12_GLOBAL__N_18offset_tEEE10hipError_tPvRmT1_PNSt15iterator_traitsIS12_E10value_typeET2_T3_PNS13_IS18_E10value_typeET4_jRbjT5_S1E_jjP12ihipStream_tbEUljE_ZNSN_ISO_Lb0ESQ_SR_ST_SU_SY_EESZ_S10_S11_S12_S16_S17_S18_S1B_S1C_jS1D_jS1E_S1E_jjS1G_bEUljE0_EEESZ_S10_S11_S18_S1C_S1E_T6_T7_T9_mT8_S1G_bDpT10_ENKUlT_T0_E_clISt17integral_constantIbLb0EES1T_IbLb1EEEEDaS1P_S1Q_EUlS1P_E_NS1_11comp_targetILNS1_3genE5ELNS1_11target_archE942ELNS1_3gpuE9ELNS1_3repE0EEENS1_30default_config_static_selectorELNS0_4arch9wavefront6targetE0EEEvS12_
    .private_segment_fixed_size: 0
    .sgpr_count:     0
    .sgpr_spill_count: 0
    .symbol:         _ZN7rocprim17ROCPRIM_400000_NS6detail17trampoline_kernelINS0_13select_configILj256ELj13ELNS0_17block_load_methodE3ELS4_3ELS4_3ELNS0_20block_scan_algorithmE0ELj4294967295EEENS1_25partition_config_selectorILNS1_17partition_subalgoE4EjNS0_10empty_typeEbEEZZNS1_14partition_implILS8_4ELb0ES6_15HIP_vector_typeIjLj2EENS0_17counting_iteratorIjlEEPS9_SG_NS0_5tupleIJPjSI_NS0_16reverse_iteratorISI_EEEEENSH_IJSG_SG_SG_EEES9_SI_JZNS1_25segmented_radix_sort_implINS0_14default_configELb0EPKiPiPKlPlN2at6native12_GLOBAL__N_18offset_tEEE10hipError_tPvRmT1_PNSt15iterator_traitsIS12_E10value_typeET2_T3_PNS13_IS18_E10value_typeET4_jRbjT5_S1E_jjP12ihipStream_tbEUljE_ZNSN_ISO_Lb0ESQ_SR_ST_SU_SY_EESZ_S10_S11_S12_S16_S17_S18_S1B_S1C_jS1D_jS1E_S1E_jjS1G_bEUljE0_EEESZ_S10_S11_S18_S1C_S1E_T6_T7_T9_mT8_S1G_bDpT10_ENKUlT_T0_E_clISt17integral_constantIbLb0EES1T_IbLb1EEEEDaS1P_S1Q_EUlS1P_E_NS1_11comp_targetILNS1_3genE5ELNS1_11target_archE942ELNS1_3gpuE9ELNS1_3repE0EEENS1_30default_config_static_selectorELNS0_4arch9wavefront6targetE0EEEvS12_.kd
    .uniform_work_group_size: 1
    .uses_dynamic_stack: false
    .vgpr_count:     0
    .vgpr_spill_count: 0
    .wavefront_size: 32
    .workgroup_processor_mode: 1
  - .args:
      - .offset:         0
        .size:           184
        .value_kind:     by_value
    .group_segment_fixed_size: 0
    .kernarg_segment_align: 8
    .kernarg_segment_size: 184
    .language:       OpenCL C
    .language_version:
      - 2
      - 0
    .max_flat_workgroup_size: 256
    .name:           _ZN7rocprim17ROCPRIM_400000_NS6detail17trampoline_kernelINS0_13select_configILj256ELj13ELNS0_17block_load_methodE3ELS4_3ELS4_3ELNS0_20block_scan_algorithmE0ELj4294967295EEENS1_25partition_config_selectorILNS1_17partition_subalgoE4EjNS0_10empty_typeEbEEZZNS1_14partition_implILS8_4ELb0ES6_15HIP_vector_typeIjLj2EENS0_17counting_iteratorIjlEEPS9_SG_NS0_5tupleIJPjSI_NS0_16reverse_iteratorISI_EEEEENSH_IJSG_SG_SG_EEES9_SI_JZNS1_25segmented_radix_sort_implINS0_14default_configELb0EPKiPiPKlPlN2at6native12_GLOBAL__N_18offset_tEEE10hipError_tPvRmT1_PNSt15iterator_traitsIS12_E10value_typeET2_T3_PNS13_IS18_E10value_typeET4_jRbjT5_S1E_jjP12ihipStream_tbEUljE_ZNSN_ISO_Lb0ESQ_SR_ST_SU_SY_EESZ_S10_S11_S12_S16_S17_S18_S1B_S1C_jS1D_jS1E_S1E_jjS1G_bEUljE0_EEESZ_S10_S11_S18_S1C_S1E_T6_T7_T9_mT8_S1G_bDpT10_ENKUlT_T0_E_clISt17integral_constantIbLb0EES1T_IbLb1EEEEDaS1P_S1Q_EUlS1P_E_NS1_11comp_targetILNS1_3genE4ELNS1_11target_archE910ELNS1_3gpuE8ELNS1_3repE0EEENS1_30default_config_static_selectorELNS0_4arch9wavefront6targetE0EEEvS12_
    .private_segment_fixed_size: 0
    .sgpr_count:     0
    .sgpr_spill_count: 0
    .symbol:         _ZN7rocprim17ROCPRIM_400000_NS6detail17trampoline_kernelINS0_13select_configILj256ELj13ELNS0_17block_load_methodE3ELS4_3ELS4_3ELNS0_20block_scan_algorithmE0ELj4294967295EEENS1_25partition_config_selectorILNS1_17partition_subalgoE4EjNS0_10empty_typeEbEEZZNS1_14partition_implILS8_4ELb0ES6_15HIP_vector_typeIjLj2EENS0_17counting_iteratorIjlEEPS9_SG_NS0_5tupleIJPjSI_NS0_16reverse_iteratorISI_EEEEENSH_IJSG_SG_SG_EEES9_SI_JZNS1_25segmented_radix_sort_implINS0_14default_configELb0EPKiPiPKlPlN2at6native12_GLOBAL__N_18offset_tEEE10hipError_tPvRmT1_PNSt15iterator_traitsIS12_E10value_typeET2_T3_PNS13_IS18_E10value_typeET4_jRbjT5_S1E_jjP12ihipStream_tbEUljE_ZNSN_ISO_Lb0ESQ_SR_ST_SU_SY_EESZ_S10_S11_S12_S16_S17_S18_S1B_S1C_jS1D_jS1E_S1E_jjS1G_bEUljE0_EEESZ_S10_S11_S18_S1C_S1E_T6_T7_T9_mT8_S1G_bDpT10_ENKUlT_T0_E_clISt17integral_constantIbLb0EES1T_IbLb1EEEEDaS1P_S1Q_EUlS1P_E_NS1_11comp_targetILNS1_3genE4ELNS1_11target_archE910ELNS1_3gpuE8ELNS1_3repE0EEENS1_30default_config_static_selectorELNS0_4arch9wavefront6targetE0EEEvS12_.kd
    .uniform_work_group_size: 1
    .uses_dynamic_stack: false
    .vgpr_count:     0
    .vgpr_spill_count: 0
    .wavefront_size: 32
    .workgroup_processor_mode: 1
  - .args:
      - .offset:         0
        .size:           184
        .value_kind:     by_value
    .group_segment_fixed_size: 0
    .kernarg_segment_align: 8
    .kernarg_segment_size: 184
    .language:       OpenCL C
    .language_version:
      - 2
      - 0
    .max_flat_workgroup_size: 256
    .name:           _ZN7rocprim17ROCPRIM_400000_NS6detail17trampoline_kernelINS0_13select_configILj256ELj13ELNS0_17block_load_methodE3ELS4_3ELS4_3ELNS0_20block_scan_algorithmE0ELj4294967295EEENS1_25partition_config_selectorILNS1_17partition_subalgoE4EjNS0_10empty_typeEbEEZZNS1_14partition_implILS8_4ELb0ES6_15HIP_vector_typeIjLj2EENS0_17counting_iteratorIjlEEPS9_SG_NS0_5tupleIJPjSI_NS0_16reverse_iteratorISI_EEEEENSH_IJSG_SG_SG_EEES9_SI_JZNS1_25segmented_radix_sort_implINS0_14default_configELb0EPKiPiPKlPlN2at6native12_GLOBAL__N_18offset_tEEE10hipError_tPvRmT1_PNSt15iterator_traitsIS12_E10value_typeET2_T3_PNS13_IS18_E10value_typeET4_jRbjT5_S1E_jjP12ihipStream_tbEUljE_ZNSN_ISO_Lb0ESQ_SR_ST_SU_SY_EESZ_S10_S11_S12_S16_S17_S18_S1B_S1C_jS1D_jS1E_S1E_jjS1G_bEUljE0_EEESZ_S10_S11_S18_S1C_S1E_T6_T7_T9_mT8_S1G_bDpT10_ENKUlT_T0_E_clISt17integral_constantIbLb0EES1T_IbLb1EEEEDaS1P_S1Q_EUlS1P_E_NS1_11comp_targetILNS1_3genE3ELNS1_11target_archE908ELNS1_3gpuE7ELNS1_3repE0EEENS1_30default_config_static_selectorELNS0_4arch9wavefront6targetE0EEEvS12_
    .private_segment_fixed_size: 0
    .sgpr_count:     0
    .sgpr_spill_count: 0
    .symbol:         _ZN7rocprim17ROCPRIM_400000_NS6detail17trampoline_kernelINS0_13select_configILj256ELj13ELNS0_17block_load_methodE3ELS4_3ELS4_3ELNS0_20block_scan_algorithmE0ELj4294967295EEENS1_25partition_config_selectorILNS1_17partition_subalgoE4EjNS0_10empty_typeEbEEZZNS1_14partition_implILS8_4ELb0ES6_15HIP_vector_typeIjLj2EENS0_17counting_iteratorIjlEEPS9_SG_NS0_5tupleIJPjSI_NS0_16reverse_iteratorISI_EEEEENSH_IJSG_SG_SG_EEES9_SI_JZNS1_25segmented_radix_sort_implINS0_14default_configELb0EPKiPiPKlPlN2at6native12_GLOBAL__N_18offset_tEEE10hipError_tPvRmT1_PNSt15iterator_traitsIS12_E10value_typeET2_T3_PNS13_IS18_E10value_typeET4_jRbjT5_S1E_jjP12ihipStream_tbEUljE_ZNSN_ISO_Lb0ESQ_SR_ST_SU_SY_EESZ_S10_S11_S12_S16_S17_S18_S1B_S1C_jS1D_jS1E_S1E_jjS1G_bEUljE0_EEESZ_S10_S11_S18_S1C_S1E_T6_T7_T9_mT8_S1G_bDpT10_ENKUlT_T0_E_clISt17integral_constantIbLb0EES1T_IbLb1EEEEDaS1P_S1Q_EUlS1P_E_NS1_11comp_targetILNS1_3genE3ELNS1_11target_archE908ELNS1_3gpuE7ELNS1_3repE0EEENS1_30default_config_static_selectorELNS0_4arch9wavefront6targetE0EEEvS12_.kd
    .uniform_work_group_size: 1
    .uses_dynamic_stack: false
    .vgpr_count:     0
    .vgpr_spill_count: 0
    .wavefront_size: 32
    .workgroup_processor_mode: 1
  - .args:
      - .offset:         0
        .size:           184
        .value_kind:     by_value
    .group_segment_fixed_size: 0
    .kernarg_segment_align: 8
    .kernarg_segment_size: 184
    .language:       OpenCL C
    .language_version:
      - 2
      - 0
    .max_flat_workgroup_size: 256
    .name:           _ZN7rocprim17ROCPRIM_400000_NS6detail17trampoline_kernelINS0_13select_configILj256ELj13ELNS0_17block_load_methodE3ELS4_3ELS4_3ELNS0_20block_scan_algorithmE0ELj4294967295EEENS1_25partition_config_selectorILNS1_17partition_subalgoE4EjNS0_10empty_typeEbEEZZNS1_14partition_implILS8_4ELb0ES6_15HIP_vector_typeIjLj2EENS0_17counting_iteratorIjlEEPS9_SG_NS0_5tupleIJPjSI_NS0_16reverse_iteratorISI_EEEEENSH_IJSG_SG_SG_EEES9_SI_JZNS1_25segmented_radix_sort_implINS0_14default_configELb0EPKiPiPKlPlN2at6native12_GLOBAL__N_18offset_tEEE10hipError_tPvRmT1_PNSt15iterator_traitsIS12_E10value_typeET2_T3_PNS13_IS18_E10value_typeET4_jRbjT5_S1E_jjP12ihipStream_tbEUljE_ZNSN_ISO_Lb0ESQ_SR_ST_SU_SY_EESZ_S10_S11_S12_S16_S17_S18_S1B_S1C_jS1D_jS1E_S1E_jjS1G_bEUljE0_EEESZ_S10_S11_S18_S1C_S1E_T6_T7_T9_mT8_S1G_bDpT10_ENKUlT_T0_E_clISt17integral_constantIbLb0EES1T_IbLb1EEEEDaS1P_S1Q_EUlS1P_E_NS1_11comp_targetILNS1_3genE2ELNS1_11target_archE906ELNS1_3gpuE6ELNS1_3repE0EEENS1_30default_config_static_selectorELNS0_4arch9wavefront6targetE0EEEvS12_
    .private_segment_fixed_size: 0
    .sgpr_count:     0
    .sgpr_spill_count: 0
    .symbol:         _ZN7rocprim17ROCPRIM_400000_NS6detail17trampoline_kernelINS0_13select_configILj256ELj13ELNS0_17block_load_methodE3ELS4_3ELS4_3ELNS0_20block_scan_algorithmE0ELj4294967295EEENS1_25partition_config_selectorILNS1_17partition_subalgoE4EjNS0_10empty_typeEbEEZZNS1_14partition_implILS8_4ELb0ES6_15HIP_vector_typeIjLj2EENS0_17counting_iteratorIjlEEPS9_SG_NS0_5tupleIJPjSI_NS0_16reverse_iteratorISI_EEEEENSH_IJSG_SG_SG_EEES9_SI_JZNS1_25segmented_radix_sort_implINS0_14default_configELb0EPKiPiPKlPlN2at6native12_GLOBAL__N_18offset_tEEE10hipError_tPvRmT1_PNSt15iterator_traitsIS12_E10value_typeET2_T3_PNS13_IS18_E10value_typeET4_jRbjT5_S1E_jjP12ihipStream_tbEUljE_ZNSN_ISO_Lb0ESQ_SR_ST_SU_SY_EESZ_S10_S11_S12_S16_S17_S18_S1B_S1C_jS1D_jS1E_S1E_jjS1G_bEUljE0_EEESZ_S10_S11_S18_S1C_S1E_T6_T7_T9_mT8_S1G_bDpT10_ENKUlT_T0_E_clISt17integral_constantIbLb0EES1T_IbLb1EEEEDaS1P_S1Q_EUlS1P_E_NS1_11comp_targetILNS1_3genE2ELNS1_11target_archE906ELNS1_3gpuE6ELNS1_3repE0EEENS1_30default_config_static_selectorELNS0_4arch9wavefront6targetE0EEEvS12_.kd
    .uniform_work_group_size: 1
    .uses_dynamic_stack: false
    .vgpr_count:     0
    .vgpr_spill_count: 0
    .wavefront_size: 32
    .workgroup_processor_mode: 1
  - .args:
      - .offset:         0
        .size:           184
        .value_kind:     by_value
    .group_segment_fixed_size: 0
    .kernarg_segment_align: 8
    .kernarg_segment_size: 184
    .language:       OpenCL C
    .language_version:
      - 2
      - 0
    .max_flat_workgroup_size: 256
    .name:           _ZN7rocprim17ROCPRIM_400000_NS6detail17trampoline_kernelINS0_13select_configILj256ELj13ELNS0_17block_load_methodE3ELS4_3ELS4_3ELNS0_20block_scan_algorithmE0ELj4294967295EEENS1_25partition_config_selectorILNS1_17partition_subalgoE4EjNS0_10empty_typeEbEEZZNS1_14partition_implILS8_4ELb0ES6_15HIP_vector_typeIjLj2EENS0_17counting_iteratorIjlEEPS9_SG_NS0_5tupleIJPjSI_NS0_16reverse_iteratorISI_EEEEENSH_IJSG_SG_SG_EEES9_SI_JZNS1_25segmented_radix_sort_implINS0_14default_configELb0EPKiPiPKlPlN2at6native12_GLOBAL__N_18offset_tEEE10hipError_tPvRmT1_PNSt15iterator_traitsIS12_E10value_typeET2_T3_PNS13_IS18_E10value_typeET4_jRbjT5_S1E_jjP12ihipStream_tbEUljE_ZNSN_ISO_Lb0ESQ_SR_ST_SU_SY_EESZ_S10_S11_S12_S16_S17_S18_S1B_S1C_jS1D_jS1E_S1E_jjS1G_bEUljE0_EEESZ_S10_S11_S18_S1C_S1E_T6_T7_T9_mT8_S1G_bDpT10_ENKUlT_T0_E_clISt17integral_constantIbLb0EES1T_IbLb1EEEEDaS1P_S1Q_EUlS1P_E_NS1_11comp_targetILNS1_3genE10ELNS1_11target_archE1200ELNS1_3gpuE4ELNS1_3repE0EEENS1_30default_config_static_selectorELNS0_4arch9wavefront6targetE0EEEvS12_
    .private_segment_fixed_size: 0
    .sgpr_count:     0
    .sgpr_spill_count: 0
    .symbol:         _ZN7rocprim17ROCPRIM_400000_NS6detail17trampoline_kernelINS0_13select_configILj256ELj13ELNS0_17block_load_methodE3ELS4_3ELS4_3ELNS0_20block_scan_algorithmE0ELj4294967295EEENS1_25partition_config_selectorILNS1_17partition_subalgoE4EjNS0_10empty_typeEbEEZZNS1_14partition_implILS8_4ELb0ES6_15HIP_vector_typeIjLj2EENS0_17counting_iteratorIjlEEPS9_SG_NS0_5tupleIJPjSI_NS0_16reverse_iteratorISI_EEEEENSH_IJSG_SG_SG_EEES9_SI_JZNS1_25segmented_radix_sort_implINS0_14default_configELb0EPKiPiPKlPlN2at6native12_GLOBAL__N_18offset_tEEE10hipError_tPvRmT1_PNSt15iterator_traitsIS12_E10value_typeET2_T3_PNS13_IS18_E10value_typeET4_jRbjT5_S1E_jjP12ihipStream_tbEUljE_ZNSN_ISO_Lb0ESQ_SR_ST_SU_SY_EESZ_S10_S11_S12_S16_S17_S18_S1B_S1C_jS1D_jS1E_S1E_jjS1G_bEUljE0_EEESZ_S10_S11_S18_S1C_S1E_T6_T7_T9_mT8_S1G_bDpT10_ENKUlT_T0_E_clISt17integral_constantIbLb0EES1T_IbLb1EEEEDaS1P_S1Q_EUlS1P_E_NS1_11comp_targetILNS1_3genE10ELNS1_11target_archE1200ELNS1_3gpuE4ELNS1_3repE0EEENS1_30default_config_static_selectorELNS0_4arch9wavefront6targetE0EEEvS12_.kd
    .uniform_work_group_size: 1
    .uses_dynamic_stack: false
    .vgpr_count:     0
    .vgpr_spill_count: 0
    .wavefront_size: 32
    .workgroup_processor_mode: 1
  - .args:
      - .offset:         0
        .size:           184
        .value_kind:     by_value
    .group_segment_fixed_size: 13340
    .kernarg_segment_align: 8
    .kernarg_segment_size: 184
    .language:       OpenCL C
    .language_version:
      - 2
      - 0
    .max_flat_workgroup_size: 256
    .name:           _ZN7rocprim17ROCPRIM_400000_NS6detail17trampoline_kernelINS0_13select_configILj256ELj13ELNS0_17block_load_methodE3ELS4_3ELS4_3ELNS0_20block_scan_algorithmE0ELj4294967295EEENS1_25partition_config_selectorILNS1_17partition_subalgoE4EjNS0_10empty_typeEbEEZZNS1_14partition_implILS8_4ELb0ES6_15HIP_vector_typeIjLj2EENS0_17counting_iteratorIjlEEPS9_SG_NS0_5tupleIJPjSI_NS0_16reverse_iteratorISI_EEEEENSH_IJSG_SG_SG_EEES9_SI_JZNS1_25segmented_radix_sort_implINS0_14default_configELb0EPKiPiPKlPlN2at6native12_GLOBAL__N_18offset_tEEE10hipError_tPvRmT1_PNSt15iterator_traitsIS12_E10value_typeET2_T3_PNS13_IS18_E10value_typeET4_jRbjT5_S1E_jjP12ihipStream_tbEUljE_ZNSN_ISO_Lb0ESQ_SR_ST_SU_SY_EESZ_S10_S11_S12_S16_S17_S18_S1B_S1C_jS1D_jS1E_S1E_jjS1G_bEUljE0_EEESZ_S10_S11_S18_S1C_S1E_T6_T7_T9_mT8_S1G_bDpT10_ENKUlT_T0_E_clISt17integral_constantIbLb0EES1T_IbLb1EEEEDaS1P_S1Q_EUlS1P_E_NS1_11comp_targetILNS1_3genE9ELNS1_11target_archE1100ELNS1_3gpuE3ELNS1_3repE0EEENS1_30default_config_static_selectorELNS0_4arch9wavefront6targetE0EEEvS12_
    .private_segment_fixed_size: 0
    .sgpr_count:     57
    .sgpr_spill_count: 0
    .symbol:         _ZN7rocprim17ROCPRIM_400000_NS6detail17trampoline_kernelINS0_13select_configILj256ELj13ELNS0_17block_load_methodE3ELS4_3ELS4_3ELNS0_20block_scan_algorithmE0ELj4294967295EEENS1_25partition_config_selectorILNS1_17partition_subalgoE4EjNS0_10empty_typeEbEEZZNS1_14partition_implILS8_4ELb0ES6_15HIP_vector_typeIjLj2EENS0_17counting_iteratorIjlEEPS9_SG_NS0_5tupleIJPjSI_NS0_16reverse_iteratorISI_EEEEENSH_IJSG_SG_SG_EEES9_SI_JZNS1_25segmented_radix_sort_implINS0_14default_configELb0EPKiPiPKlPlN2at6native12_GLOBAL__N_18offset_tEEE10hipError_tPvRmT1_PNSt15iterator_traitsIS12_E10value_typeET2_T3_PNS13_IS18_E10value_typeET4_jRbjT5_S1E_jjP12ihipStream_tbEUljE_ZNSN_ISO_Lb0ESQ_SR_ST_SU_SY_EESZ_S10_S11_S12_S16_S17_S18_S1B_S1C_jS1D_jS1E_S1E_jjS1G_bEUljE0_EEESZ_S10_S11_S18_S1C_S1E_T6_T7_T9_mT8_S1G_bDpT10_ENKUlT_T0_E_clISt17integral_constantIbLb0EES1T_IbLb1EEEEDaS1P_S1Q_EUlS1P_E_NS1_11comp_targetILNS1_3genE9ELNS1_11target_archE1100ELNS1_3gpuE3ELNS1_3repE0EEENS1_30default_config_static_selectorELNS0_4arch9wavefront6targetE0EEEvS12_.kd
    .uniform_work_group_size: 1
    .uses_dynamic_stack: false
    .vgpr_count:     103
    .vgpr_spill_count: 0
    .wavefront_size: 32
    .workgroup_processor_mode: 1
  - .args:
      - .offset:         0
        .size:           184
        .value_kind:     by_value
    .group_segment_fixed_size: 0
    .kernarg_segment_align: 8
    .kernarg_segment_size: 184
    .language:       OpenCL C
    .language_version:
      - 2
      - 0
    .max_flat_workgroup_size: 256
    .name:           _ZN7rocprim17ROCPRIM_400000_NS6detail17trampoline_kernelINS0_13select_configILj256ELj13ELNS0_17block_load_methodE3ELS4_3ELS4_3ELNS0_20block_scan_algorithmE0ELj4294967295EEENS1_25partition_config_selectorILNS1_17partition_subalgoE4EjNS0_10empty_typeEbEEZZNS1_14partition_implILS8_4ELb0ES6_15HIP_vector_typeIjLj2EENS0_17counting_iteratorIjlEEPS9_SG_NS0_5tupleIJPjSI_NS0_16reverse_iteratorISI_EEEEENSH_IJSG_SG_SG_EEES9_SI_JZNS1_25segmented_radix_sort_implINS0_14default_configELb0EPKiPiPKlPlN2at6native12_GLOBAL__N_18offset_tEEE10hipError_tPvRmT1_PNSt15iterator_traitsIS12_E10value_typeET2_T3_PNS13_IS18_E10value_typeET4_jRbjT5_S1E_jjP12ihipStream_tbEUljE_ZNSN_ISO_Lb0ESQ_SR_ST_SU_SY_EESZ_S10_S11_S12_S16_S17_S18_S1B_S1C_jS1D_jS1E_S1E_jjS1G_bEUljE0_EEESZ_S10_S11_S18_S1C_S1E_T6_T7_T9_mT8_S1G_bDpT10_ENKUlT_T0_E_clISt17integral_constantIbLb0EES1T_IbLb1EEEEDaS1P_S1Q_EUlS1P_E_NS1_11comp_targetILNS1_3genE8ELNS1_11target_archE1030ELNS1_3gpuE2ELNS1_3repE0EEENS1_30default_config_static_selectorELNS0_4arch9wavefront6targetE0EEEvS12_
    .private_segment_fixed_size: 0
    .sgpr_count:     0
    .sgpr_spill_count: 0
    .symbol:         _ZN7rocprim17ROCPRIM_400000_NS6detail17trampoline_kernelINS0_13select_configILj256ELj13ELNS0_17block_load_methodE3ELS4_3ELS4_3ELNS0_20block_scan_algorithmE0ELj4294967295EEENS1_25partition_config_selectorILNS1_17partition_subalgoE4EjNS0_10empty_typeEbEEZZNS1_14partition_implILS8_4ELb0ES6_15HIP_vector_typeIjLj2EENS0_17counting_iteratorIjlEEPS9_SG_NS0_5tupleIJPjSI_NS0_16reverse_iteratorISI_EEEEENSH_IJSG_SG_SG_EEES9_SI_JZNS1_25segmented_radix_sort_implINS0_14default_configELb0EPKiPiPKlPlN2at6native12_GLOBAL__N_18offset_tEEE10hipError_tPvRmT1_PNSt15iterator_traitsIS12_E10value_typeET2_T3_PNS13_IS18_E10value_typeET4_jRbjT5_S1E_jjP12ihipStream_tbEUljE_ZNSN_ISO_Lb0ESQ_SR_ST_SU_SY_EESZ_S10_S11_S12_S16_S17_S18_S1B_S1C_jS1D_jS1E_S1E_jjS1G_bEUljE0_EEESZ_S10_S11_S18_S1C_S1E_T6_T7_T9_mT8_S1G_bDpT10_ENKUlT_T0_E_clISt17integral_constantIbLb0EES1T_IbLb1EEEEDaS1P_S1Q_EUlS1P_E_NS1_11comp_targetILNS1_3genE8ELNS1_11target_archE1030ELNS1_3gpuE2ELNS1_3repE0EEENS1_30default_config_static_selectorELNS0_4arch9wavefront6targetE0EEEvS12_.kd
    .uniform_work_group_size: 1
    .uses_dynamic_stack: false
    .vgpr_count:     0
    .vgpr_spill_count: 0
    .wavefront_size: 32
    .workgroup_processor_mode: 1
  - .args:
      - .offset:         0
        .size:           144
        .value_kind:     by_value
    .group_segment_fixed_size: 0
    .kernarg_segment_align: 8
    .kernarg_segment_size: 144
    .language:       OpenCL C
    .language_version:
      - 2
      - 0
    .max_flat_workgroup_size: 256
    .name:           _ZN7rocprim17ROCPRIM_400000_NS6detail17trampoline_kernelINS0_13select_configILj256ELj13ELNS0_17block_load_methodE3ELS4_3ELS4_3ELNS0_20block_scan_algorithmE0ELj4294967295EEENS1_25partition_config_selectorILNS1_17partition_subalgoE3EjNS0_10empty_typeEbEEZZNS1_14partition_implILS8_3ELb0ES6_jNS0_17counting_iteratorIjlEEPS9_SE_NS0_5tupleIJPjSE_EEENSF_IJSE_SE_EEES9_SG_JZNS1_25segmented_radix_sort_implINS0_14default_configELb0EPKiPiPKlPlN2at6native12_GLOBAL__N_18offset_tEEE10hipError_tPvRmT1_PNSt15iterator_traitsISY_E10value_typeET2_T3_PNSZ_IS14_E10value_typeET4_jRbjT5_S1A_jjP12ihipStream_tbEUljE_EEESV_SW_SX_S14_S18_S1A_T6_T7_T9_mT8_S1C_bDpT10_ENKUlT_T0_E_clISt17integral_constantIbLb0EES1P_EEDaS1K_S1L_EUlS1K_E_NS1_11comp_targetILNS1_3genE0ELNS1_11target_archE4294967295ELNS1_3gpuE0ELNS1_3repE0EEENS1_30default_config_static_selectorELNS0_4arch9wavefront6targetE0EEEvSY_
    .private_segment_fixed_size: 0
    .sgpr_count:     0
    .sgpr_spill_count: 0
    .symbol:         _ZN7rocprim17ROCPRIM_400000_NS6detail17trampoline_kernelINS0_13select_configILj256ELj13ELNS0_17block_load_methodE3ELS4_3ELS4_3ELNS0_20block_scan_algorithmE0ELj4294967295EEENS1_25partition_config_selectorILNS1_17partition_subalgoE3EjNS0_10empty_typeEbEEZZNS1_14partition_implILS8_3ELb0ES6_jNS0_17counting_iteratorIjlEEPS9_SE_NS0_5tupleIJPjSE_EEENSF_IJSE_SE_EEES9_SG_JZNS1_25segmented_radix_sort_implINS0_14default_configELb0EPKiPiPKlPlN2at6native12_GLOBAL__N_18offset_tEEE10hipError_tPvRmT1_PNSt15iterator_traitsISY_E10value_typeET2_T3_PNSZ_IS14_E10value_typeET4_jRbjT5_S1A_jjP12ihipStream_tbEUljE_EEESV_SW_SX_S14_S18_S1A_T6_T7_T9_mT8_S1C_bDpT10_ENKUlT_T0_E_clISt17integral_constantIbLb0EES1P_EEDaS1K_S1L_EUlS1K_E_NS1_11comp_targetILNS1_3genE0ELNS1_11target_archE4294967295ELNS1_3gpuE0ELNS1_3repE0EEENS1_30default_config_static_selectorELNS0_4arch9wavefront6targetE0EEEvSY_.kd
    .uniform_work_group_size: 1
    .uses_dynamic_stack: false
    .vgpr_count:     0
    .vgpr_spill_count: 0
    .wavefront_size: 32
    .workgroup_processor_mode: 1
  - .args:
      - .offset:         0
        .size:           144
        .value_kind:     by_value
    .group_segment_fixed_size: 0
    .kernarg_segment_align: 8
    .kernarg_segment_size: 144
    .language:       OpenCL C
    .language_version:
      - 2
      - 0
    .max_flat_workgroup_size: 256
    .name:           _ZN7rocprim17ROCPRIM_400000_NS6detail17trampoline_kernelINS0_13select_configILj256ELj13ELNS0_17block_load_methodE3ELS4_3ELS4_3ELNS0_20block_scan_algorithmE0ELj4294967295EEENS1_25partition_config_selectorILNS1_17partition_subalgoE3EjNS0_10empty_typeEbEEZZNS1_14partition_implILS8_3ELb0ES6_jNS0_17counting_iteratorIjlEEPS9_SE_NS0_5tupleIJPjSE_EEENSF_IJSE_SE_EEES9_SG_JZNS1_25segmented_radix_sort_implINS0_14default_configELb0EPKiPiPKlPlN2at6native12_GLOBAL__N_18offset_tEEE10hipError_tPvRmT1_PNSt15iterator_traitsISY_E10value_typeET2_T3_PNSZ_IS14_E10value_typeET4_jRbjT5_S1A_jjP12ihipStream_tbEUljE_EEESV_SW_SX_S14_S18_S1A_T6_T7_T9_mT8_S1C_bDpT10_ENKUlT_T0_E_clISt17integral_constantIbLb0EES1P_EEDaS1K_S1L_EUlS1K_E_NS1_11comp_targetILNS1_3genE5ELNS1_11target_archE942ELNS1_3gpuE9ELNS1_3repE0EEENS1_30default_config_static_selectorELNS0_4arch9wavefront6targetE0EEEvSY_
    .private_segment_fixed_size: 0
    .sgpr_count:     0
    .sgpr_spill_count: 0
    .symbol:         _ZN7rocprim17ROCPRIM_400000_NS6detail17trampoline_kernelINS0_13select_configILj256ELj13ELNS0_17block_load_methodE3ELS4_3ELS4_3ELNS0_20block_scan_algorithmE0ELj4294967295EEENS1_25partition_config_selectorILNS1_17partition_subalgoE3EjNS0_10empty_typeEbEEZZNS1_14partition_implILS8_3ELb0ES6_jNS0_17counting_iteratorIjlEEPS9_SE_NS0_5tupleIJPjSE_EEENSF_IJSE_SE_EEES9_SG_JZNS1_25segmented_radix_sort_implINS0_14default_configELb0EPKiPiPKlPlN2at6native12_GLOBAL__N_18offset_tEEE10hipError_tPvRmT1_PNSt15iterator_traitsISY_E10value_typeET2_T3_PNSZ_IS14_E10value_typeET4_jRbjT5_S1A_jjP12ihipStream_tbEUljE_EEESV_SW_SX_S14_S18_S1A_T6_T7_T9_mT8_S1C_bDpT10_ENKUlT_T0_E_clISt17integral_constantIbLb0EES1P_EEDaS1K_S1L_EUlS1K_E_NS1_11comp_targetILNS1_3genE5ELNS1_11target_archE942ELNS1_3gpuE9ELNS1_3repE0EEENS1_30default_config_static_selectorELNS0_4arch9wavefront6targetE0EEEvSY_.kd
    .uniform_work_group_size: 1
    .uses_dynamic_stack: false
    .vgpr_count:     0
    .vgpr_spill_count: 0
    .wavefront_size: 32
    .workgroup_processor_mode: 1
  - .args:
      - .offset:         0
        .size:           144
        .value_kind:     by_value
    .group_segment_fixed_size: 0
    .kernarg_segment_align: 8
    .kernarg_segment_size: 144
    .language:       OpenCL C
    .language_version:
      - 2
      - 0
    .max_flat_workgroup_size: 256
    .name:           _ZN7rocprim17ROCPRIM_400000_NS6detail17trampoline_kernelINS0_13select_configILj256ELj13ELNS0_17block_load_methodE3ELS4_3ELS4_3ELNS0_20block_scan_algorithmE0ELj4294967295EEENS1_25partition_config_selectorILNS1_17partition_subalgoE3EjNS0_10empty_typeEbEEZZNS1_14partition_implILS8_3ELb0ES6_jNS0_17counting_iteratorIjlEEPS9_SE_NS0_5tupleIJPjSE_EEENSF_IJSE_SE_EEES9_SG_JZNS1_25segmented_radix_sort_implINS0_14default_configELb0EPKiPiPKlPlN2at6native12_GLOBAL__N_18offset_tEEE10hipError_tPvRmT1_PNSt15iterator_traitsISY_E10value_typeET2_T3_PNSZ_IS14_E10value_typeET4_jRbjT5_S1A_jjP12ihipStream_tbEUljE_EEESV_SW_SX_S14_S18_S1A_T6_T7_T9_mT8_S1C_bDpT10_ENKUlT_T0_E_clISt17integral_constantIbLb0EES1P_EEDaS1K_S1L_EUlS1K_E_NS1_11comp_targetILNS1_3genE4ELNS1_11target_archE910ELNS1_3gpuE8ELNS1_3repE0EEENS1_30default_config_static_selectorELNS0_4arch9wavefront6targetE0EEEvSY_
    .private_segment_fixed_size: 0
    .sgpr_count:     0
    .sgpr_spill_count: 0
    .symbol:         _ZN7rocprim17ROCPRIM_400000_NS6detail17trampoline_kernelINS0_13select_configILj256ELj13ELNS0_17block_load_methodE3ELS4_3ELS4_3ELNS0_20block_scan_algorithmE0ELj4294967295EEENS1_25partition_config_selectorILNS1_17partition_subalgoE3EjNS0_10empty_typeEbEEZZNS1_14partition_implILS8_3ELb0ES6_jNS0_17counting_iteratorIjlEEPS9_SE_NS0_5tupleIJPjSE_EEENSF_IJSE_SE_EEES9_SG_JZNS1_25segmented_radix_sort_implINS0_14default_configELb0EPKiPiPKlPlN2at6native12_GLOBAL__N_18offset_tEEE10hipError_tPvRmT1_PNSt15iterator_traitsISY_E10value_typeET2_T3_PNSZ_IS14_E10value_typeET4_jRbjT5_S1A_jjP12ihipStream_tbEUljE_EEESV_SW_SX_S14_S18_S1A_T6_T7_T9_mT8_S1C_bDpT10_ENKUlT_T0_E_clISt17integral_constantIbLb0EES1P_EEDaS1K_S1L_EUlS1K_E_NS1_11comp_targetILNS1_3genE4ELNS1_11target_archE910ELNS1_3gpuE8ELNS1_3repE0EEENS1_30default_config_static_selectorELNS0_4arch9wavefront6targetE0EEEvSY_.kd
    .uniform_work_group_size: 1
    .uses_dynamic_stack: false
    .vgpr_count:     0
    .vgpr_spill_count: 0
    .wavefront_size: 32
    .workgroup_processor_mode: 1
  - .args:
      - .offset:         0
        .size:           144
        .value_kind:     by_value
    .group_segment_fixed_size: 0
    .kernarg_segment_align: 8
    .kernarg_segment_size: 144
    .language:       OpenCL C
    .language_version:
      - 2
      - 0
    .max_flat_workgroup_size: 256
    .name:           _ZN7rocprim17ROCPRIM_400000_NS6detail17trampoline_kernelINS0_13select_configILj256ELj13ELNS0_17block_load_methodE3ELS4_3ELS4_3ELNS0_20block_scan_algorithmE0ELj4294967295EEENS1_25partition_config_selectorILNS1_17partition_subalgoE3EjNS0_10empty_typeEbEEZZNS1_14partition_implILS8_3ELb0ES6_jNS0_17counting_iteratorIjlEEPS9_SE_NS0_5tupleIJPjSE_EEENSF_IJSE_SE_EEES9_SG_JZNS1_25segmented_radix_sort_implINS0_14default_configELb0EPKiPiPKlPlN2at6native12_GLOBAL__N_18offset_tEEE10hipError_tPvRmT1_PNSt15iterator_traitsISY_E10value_typeET2_T3_PNSZ_IS14_E10value_typeET4_jRbjT5_S1A_jjP12ihipStream_tbEUljE_EEESV_SW_SX_S14_S18_S1A_T6_T7_T9_mT8_S1C_bDpT10_ENKUlT_T0_E_clISt17integral_constantIbLb0EES1P_EEDaS1K_S1L_EUlS1K_E_NS1_11comp_targetILNS1_3genE3ELNS1_11target_archE908ELNS1_3gpuE7ELNS1_3repE0EEENS1_30default_config_static_selectorELNS0_4arch9wavefront6targetE0EEEvSY_
    .private_segment_fixed_size: 0
    .sgpr_count:     0
    .sgpr_spill_count: 0
    .symbol:         _ZN7rocprim17ROCPRIM_400000_NS6detail17trampoline_kernelINS0_13select_configILj256ELj13ELNS0_17block_load_methodE3ELS4_3ELS4_3ELNS0_20block_scan_algorithmE0ELj4294967295EEENS1_25partition_config_selectorILNS1_17partition_subalgoE3EjNS0_10empty_typeEbEEZZNS1_14partition_implILS8_3ELb0ES6_jNS0_17counting_iteratorIjlEEPS9_SE_NS0_5tupleIJPjSE_EEENSF_IJSE_SE_EEES9_SG_JZNS1_25segmented_radix_sort_implINS0_14default_configELb0EPKiPiPKlPlN2at6native12_GLOBAL__N_18offset_tEEE10hipError_tPvRmT1_PNSt15iterator_traitsISY_E10value_typeET2_T3_PNSZ_IS14_E10value_typeET4_jRbjT5_S1A_jjP12ihipStream_tbEUljE_EEESV_SW_SX_S14_S18_S1A_T6_T7_T9_mT8_S1C_bDpT10_ENKUlT_T0_E_clISt17integral_constantIbLb0EES1P_EEDaS1K_S1L_EUlS1K_E_NS1_11comp_targetILNS1_3genE3ELNS1_11target_archE908ELNS1_3gpuE7ELNS1_3repE0EEENS1_30default_config_static_selectorELNS0_4arch9wavefront6targetE0EEEvSY_.kd
    .uniform_work_group_size: 1
    .uses_dynamic_stack: false
    .vgpr_count:     0
    .vgpr_spill_count: 0
    .wavefront_size: 32
    .workgroup_processor_mode: 1
  - .args:
      - .offset:         0
        .size:           144
        .value_kind:     by_value
    .group_segment_fixed_size: 0
    .kernarg_segment_align: 8
    .kernarg_segment_size: 144
    .language:       OpenCL C
    .language_version:
      - 2
      - 0
    .max_flat_workgroup_size: 256
    .name:           _ZN7rocprim17ROCPRIM_400000_NS6detail17trampoline_kernelINS0_13select_configILj256ELj13ELNS0_17block_load_methodE3ELS4_3ELS4_3ELNS0_20block_scan_algorithmE0ELj4294967295EEENS1_25partition_config_selectorILNS1_17partition_subalgoE3EjNS0_10empty_typeEbEEZZNS1_14partition_implILS8_3ELb0ES6_jNS0_17counting_iteratorIjlEEPS9_SE_NS0_5tupleIJPjSE_EEENSF_IJSE_SE_EEES9_SG_JZNS1_25segmented_radix_sort_implINS0_14default_configELb0EPKiPiPKlPlN2at6native12_GLOBAL__N_18offset_tEEE10hipError_tPvRmT1_PNSt15iterator_traitsISY_E10value_typeET2_T3_PNSZ_IS14_E10value_typeET4_jRbjT5_S1A_jjP12ihipStream_tbEUljE_EEESV_SW_SX_S14_S18_S1A_T6_T7_T9_mT8_S1C_bDpT10_ENKUlT_T0_E_clISt17integral_constantIbLb0EES1P_EEDaS1K_S1L_EUlS1K_E_NS1_11comp_targetILNS1_3genE2ELNS1_11target_archE906ELNS1_3gpuE6ELNS1_3repE0EEENS1_30default_config_static_selectorELNS0_4arch9wavefront6targetE0EEEvSY_
    .private_segment_fixed_size: 0
    .sgpr_count:     0
    .sgpr_spill_count: 0
    .symbol:         _ZN7rocprim17ROCPRIM_400000_NS6detail17trampoline_kernelINS0_13select_configILj256ELj13ELNS0_17block_load_methodE3ELS4_3ELS4_3ELNS0_20block_scan_algorithmE0ELj4294967295EEENS1_25partition_config_selectorILNS1_17partition_subalgoE3EjNS0_10empty_typeEbEEZZNS1_14partition_implILS8_3ELb0ES6_jNS0_17counting_iteratorIjlEEPS9_SE_NS0_5tupleIJPjSE_EEENSF_IJSE_SE_EEES9_SG_JZNS1_25segmented_radix_sort_implINS0_14default_configELb0EPKiPiPKlPlN2at6native12_GLOBAL__N_18offset_tEEE10hipError_tPvRmT1_PNSt15iterator_traitsISY_E10value_typeET2_T3_PNSZ_IS14_E10value_typeET4_jRbjT5_S1A_jjP12ihipStream_tbEUljE_EEESV_SW_SX_S14_S18_S1A_T6_T7_T9_mT8_S1C_bDpT10_ENKUlT_T0_E_clISt17integral_constantIbLb0EES1P_EEDaS1K_S1L_EUlS1K_E_NS1_11comp_targetILNS1_3genE2ELNS1_11target_archE906ELNS1_3gpuE6ELNS1_3repE0EEENS1_30default_config_static_selectorELNS0_4arch9wavefront6targetE0EEEvSY_.kd
    .uniform_work_group_size: 1
    .uses_dynamic_stack: false
    .vgpr_count:     0
    .vgpr_spill_count: 0
    .wavefront_size: 32
    .workgroup_processor_mode: 1
  - .args:
      - .offset:         0
        .size:           144
        .value_kind:     by_value
    .group_segment_fixed_size: 0
    .kernarg_segment_align: 8
    .kernarg_segment_size: 144
    .language:       OpenCL C
    .language_version:
      - 2
      - 0
    .max_flat_workgroup_size: 256
    .name:           _ZN7rocprim17ROCPRIM_400000_NS6detail17trampoline_kernelINS0_13select_configILj256ELj13ELNS0_17block_load_methodE3ELS4_3ELS4_3ELNS0_20block_scan_algorithmE0ELj4294967295EEENS1_25partition_config_selectorILNS1_17partition_subalgoE3EjNS0_10empty_typeEbEEZZNS1_14partition_implILS8_3ELb0ES6_jNS0_17counting_iteratorIjlEEPS9_SE_NS0_5tupleIJPjSE_EEENSF_IJSE_SE_EEES9_SG_JZNS1_25segmented_radix_sort_implINS0_14default_configELb0EPKiPiPKlPlN2at6native12_GLOBAL__N_18offset_tEEE10hipError_tPvRmT1_PNSt15iterator_traitsISY_E10value_typeET2_T3_PNSZ_IS14_E10value_typeET4_jRbjT5_S1A_jjP12ihipStream_tbEUljE_EEESV_SW_SX_S14_S18_S1A_T6_T7_T9_mT8_S1C_bDpT10_ENKUlT_T0_E_clISt17integral_constantIbLb0EES1P_EEDaS1K_S1L_EUlS1K_E_NS1_11comp_targetILNS1_3genE10ELNS1_11target_archE1200ELNS1_3gpuE4ELNS1_3repE0EEENS1_30default_config_static_selectorELNS0_4arch9wavefront6targetE0EEEvSY_
    .private_segment_fixed_size: 0
    .sgpr_count:     0
    .sgpr_spill_count: 0
    .symbol:         _ZN7rocprim17ROCPRIM_400000_NS6detail17trampoline_kernelINS0_13select_configILj256ELj13ELNS0_17block_load_methodE3ELS4_3ELS4_3ELNS0_20block_scan_algorithmE0ELj4294967295EEENS1_25partition_config_selectorILNS1_17partition_subalgoE3EjNS0_10empty_typeEbEEZZNS1_14partition_implILS8_3ELb0ES6_jNS0_17counting_iteratorIjlEEPS9_SE_NS0_5tupleIJPjSE_EEENSF_IJSE_SE_EEES9_SG_JZNS1_25segmented_radix_sort_implINS0_14default_configELb0EPKiPiPKlPlN2at6native12_GLOBAL__N_18offset_tEEE10hipError_tPvRmT1_PNSt15iterator_traitsISY_E10value_typeET2_T3_PNSZ_IS14_E10value_typeET4_jRbjT5_S1A_jjP12ihipStream_tbEUljE_EEESV_SW_SX_S14_S18_S1A_T6_T7_T9_mT8_S1C_bDpT10_ENKUlT_T0_E_clISt17integral_constantIbLb0EES1P_EEDaS1K_S1L_EUlS1K_E_NS1_11comp_targetILNS1_3genE10ELNS1_11target_archE1200ELNS1_3gpuE4ELNS1_3repE0EEENS1_30default_config_static_selectorELNS0_4arch9wavefront6targetE0EEEvSY_.kd
    .uniform_work_group_size: 1
    .uses_dynamic_stack: false
    .vgpr_count:     0
    .vgpr_spill_count: 0
    .wavefront_size: 32
    .workgroup_processor_mode: 1
  - .args:
      - .offset:         0
        .size:           144
        .value_kind:     by_value
    .group_segment_fixed_size: 13324
    .kernarg_segment_align: 8
    .kernarg_segment_size: 144
    .language:       OpenCL C
    .language_version:
      - 2
      - 0
    .max_flat_workgroup_size: 256
    .name:           _ZN7rocprim17ROCPRIM_400000_NS6detail17trampoline_kernelINS0_13select_configILj256ELj13ELNS0_17block_load_methodE3ELS4_3ELS4_3ELNS0_20block_scan_algorithmE0ELj4294967295EEENS1_25partition_config_selectorILNS1_17partition_subalgoE3EjNS0_10empty_typeEbEEZZNS1_14partition_implILS8_3ELb0ES6_jNS0_17counting_iteratorIjlEEPS9_SE_NS0_5tupleIJPjSE_EEENSF_IJSE_SE_EEES9_SG_JZNS1_25segmented_radix_sort_implINS0_14default_configELb0EPKiPiPKlPlN2at6native12_GLOBAL__N_18offset_tEEE10hipError_tPvRmT1_PNSt15iterator_traitsISY_E10value_typeET2_T3_PNSZ_IS14_E10value_typeET4_jRbjT5_S1A_jjP12ihipStream_tbEUljE_EEESV_SW_SX_S14_S18_S1A_T6_T7_T9_mT8_S1C_bDpT10_ENKUlT_T0_E_clISt17integral_constantIbLb0EES1P_EEDaS1K_S1L_EUlS1K_E_NS1_11comp_targetILNS1_3genE9ELNS1_11target_archE1100ELNS1_3gpuE3ELNS1_3repE0EEENS1_30default_config_static_selectorELNS0_4arch9wavefront6targetE0EEEvSY_
    .private_segment_fixed_size: 0
    .sgpr_count:     30
    .sgpr_spill_count: 0
    .symbol:         _ZN7rocprim17ROCPRIM_400000_NS6detail17trampoline_kernelINS0_13select_configILj256ELj13ELNS0_17block_load_methodE3ELS4_3ELS4_3ELNS0_20block_scan_algorithmE0ELj4294967295EEENS1_25partition_config_selectorILNS1_17partition_subalgoE3EjNS0_10empty_typeEbEEZZNS1_14partition_implILS8_3ELb0ES6_jNS0_17counting_iteratorIjlEEPS9_SE_NS0_5tupleIJPjSE_EEENSF_IJSE_SE_EEES9_SG_JZNS1_25segmented_radix_sort_implINS0_14default_configELb0EPKiPiPKlPlN2at6native12_GLOBAL__N_18offset_tEEE10hipError_tPvRmT1_PNSt15iterator_traitsISY_E10value_typeET2_T3_PNSZ_IS14_E10value_typeET4_jRbjT5_S1A_jjP12ihipStream_tbEUljE_EEESV_SW_SX_S14_S18_S1A_T6_T7_T9_mT8_S1C_bDpT10_ENKUlT_T0_E_clISt17integral_constantIbLb0EES1P_EEDaS1K_S1L_EUlS1K_E_NS1_11comp_targetILNS1_3genE9ELNS1_11target_archE1100ELNS1_3gpuE3ELNS1_3repE0EEENS1_30default_config_static_selectorELNS0_4arch9wavefront6targetE0EEEvSY_.kd
    .uniform_work_group_size: 1
    .uses_dynamic_stack: false
    .vgpr_count:     57
    .vgpr_spill_count: 0
    .wavefront_size: 32
    .workgroup_processor_mode: 1
  - .args:
      - .offset:         0
        .size:           144
        .value_kind:     by_value
    .group_segment_fixed_size: 0
    .kernarg_segment_align: 8
    .kernarg_segment_size: 144
    .language:       OpenCL C
    .language_version:
      - 2
      - 0
    .max_flat_workgroup_size: 256
    .name:           _ZN7rocprim17ROCPRIM_400000_NS6detail17trampoline_kernelINS0_13select_configILj256ELj13ELNS0_17block_load_methodE3ELS4_3ELS4_3ELNS0_20block_scan_algorithmE0ELj4294967295EEENS1_25partition_config_selectorILNS1_17partition_subalgoE3EjNS0_10empty_typeEbEEZZNS1_14partition_implILS8_3ELb0ES6_jNS0_17counting_iteratorIjlEEPS9_SE_NS0_5tupleIJPjSE_EEENSF_IJSE_SE_EEES9_SG_JZNS1_25segmented_radix_sort_implINS0_14default_configELb0EPKiPiPKlPlN2at6native12_GLOBAL__N_18offset_tEEE10hipError_tPvRmT1_PNSt15iterator_traitsISY_E10value_typeET2_T3_PNSZ_IS14_E10value_typeET4_jRbjT5_S1A_jjP12ihipStream_tbEUljE_EEESV_SW_SX_S14_S18_S1A_T6_T7_T9_mT8_S1C_bDpT10_ENKUlT_T0_E_clISt17integral_constantIbLb0EES1P_EEDaS1K_S1L_EUlS1K_E_NS1_11comp_targetILNS1_3genE8ELNS1_11target_archE1030ELNS1_3gpuE2ELNS1_3repE0EEENS1_30default_config_static_selectorELNS0_4arch9wavefront6targetE0EEEvSY_
    .private_segment_fixed_size: 0
    .sgpr_count:     0
    .sgpr_spill_count: 0
    .symbol:         _ZN7rocprim17ROCPRIM_400000_NS6detail17trampoline_kernelINS0_13select_configILj256ELj13ELNS0_17block_load_methodE3ELS4_3ELS4_3ELNS0_20block_scan_algorithmE0ELj4294967295EEENS1_25partition_config_selectorILNS1_17partition_subalgoE3EjNS0_10empty_typeEbEEZZNS1_14partition_implILS8_3ELb0ES6_jNS0_17counting_iteratorIjlEEPS9_SE_NS0_5tupleIJPjSE_EEENSF_IJSE_SE_EEES9_SG_JZNS1_25segmented_radix_sort_implINS0_14default_configELb0EPKiPiPKlPlN2at6native12_GLOBAL__N_18offset_tEEE10hipError_tPvRmT1_PNSt15iterator_traitsISY_E10value_typeET2_T3_PNSZ_IS14_E10value_typeET4_jRbjT5_S1A_jjP12ihipStream_tbEUljE_EEESV_SW_SX_S14_S18_S1A_T6_T7_T9_mT8_S1C_bDpT10_ENKUlT_T0_E_clISt17integral_constantIbLb0EES1P_EEDaS1K_S1L_EUlS1K_E_NS1_11comp_targetILNS1_3genE8ELNS1_11target_archE1030ELNS1_3gpuE2ELNS1_3repE0EEENS1_30default_config_static_selectorELNS0_4arch9wavefront6targetE0EEEvSY_.kd
    .uniform_work_group_size: 1
    .uses_dynamic_stack: false
    .vgpr_count:     0
    .vgpr_spill_count: 0
    .wavefront_size: 32
    .workgroup_processor_mode: 1
  - .args:
      - .offset:         0
        .size:           152
        .value_kind:     by_value
    .group_segment_fixed_size: 0
    .kernarg_segment_align: 8
    .kernarg_segment_size: 152
    .language:       OpenCL C
    .language_version:
      - 2
      - 0
    .max_flat_workgroup_size: 256
    .name:           _ZN7rocprim17ROCPRIM_400000_NS6detail17trampoline_kernelINS0_13select_configILj256ELj13ELNS0_17block_load_methodE3ELS4_3ELS4_3ELNS0_20block_scan_algorithmE0ELj4294967295EEENS1_25partition_config_selectorILNS1_17partition_subalgoE3EjNS0_10empty_typeEbEEZZNS1_14partition_implILS8_3ELb0ES6_jNS0_17counting_iteratorIjlEEPS9_SE_NS0_5tupleIJPjSE_EEENSF_IJSE_SE_EEES9_SG_JZNS1_25segmented_radix_sort_implINS0_14default_configELb0EPKiPiPKlPlN2at6native12_GLOBAL__N_18offset_tEEE10hipError_tPvRmT1_PNSt15iterator_traitsISY_E10value_typeET2_T3_PNSZ_IS14_E10value_typeET4_jRbjT5_S1A_jjP12ihipStream_tbEUljE_EEESV_SW_SX_S14_S18_S1A_T6_T7_T9_mT8_S1C_bDpT10_ENKUlT_T0_E_clISt17integral_constantIbLb1EES1P_EEDaS1K_S1L_EUlS1K_E_NS1_11comp_targetILNS1_3genE0ELNS1_11target_archE4294967295ELNS1_3gpuE0ELNS1_3repE0EEENS1_30default_config_static_selectorELNS0_4arch9wavefront6targetE0EEEvSY_
    .private_segment_fixed_size: 0
    .sgpr_count:     0
    .sgpr_spill_count: 0
    .symbol:         _ZN7rocprim17ROCPRIM_400000_NS6detail17trampoline_kernelINS0_13select_configILj256ELj13ELNS0_17block_load_methodE3ELS4_3ELS4_3ELNS0_20block_scan_algorithmE0ELj4294967295EEENS1_25partition_config_selectorILNS1_17partition_subalgoE3EjNS0_10empty_typeEbEEZZNS1_14partition_implILS8_3ELb0ES6_jNS0_17counting_iteratorIjlEEPS9_SE_NS0_5tupleIJPjSE_EEENSF_IJSE_SE_EEES9_SG_JZNS1_25segmented_radix_sort_implINS0_14default_configELb0EPKiPiPKlPlN2at6native12_GLOBAL__N_18offset_tEEE10hipError_tPvRmT1_PNSt15iterator_traitsISY_E10value_typeET2_T3_PNSZ_IS14_E10value_typeET4_jRbjT5_S1A_jjP12ihipStream_tbEUljE_EEESV_SW_SX_S14_S18_S1A_T6_T7_T9_mT8_S1C_bDpT10_ENKUlT_T0_E_clISt17integral_constantIbLb1EES1P_EEDaS1K_S1L_EUlS1K_E_NS1_11comp_targetILNS1_3genE0ELNS1_11target_archE4294967295ELNS1_3gpuE0ELNS1_3repE0EEENS1_30default_config_static_selectorELNS0_4arch9wavefront6targetE0EEEvSY_.kd
    .uniform_work_group_size: 1
    .uses_dynamic_stack: false
    .vgpr_count:     0
    .vgpr_spill_count: 0
    .wavefront_size: 32
    .workgroup_processor_mode: 1
  - .args:
      - .offset:         0
        .size:           152
        .value_kind:     by_value
    .group_segment_fixed_size: 0
    .kernarg_segment_align: 8
    .kernarg_segment_size: 152
    .language:       OpenCL C
    .language_version:
      - 2
      - 0
    .max_flat_workgroup_size: 256
    .name:           _ZN7rocprim17ROCPRIM_400000_NS6detail17trampoline_kernelINS0_13select_configILj256ELj13ELNS0_17block_load_methodE3ELS4_3ELS4_3ELNS0_20block_scan_algorithmE0ELj4294967295EEENS1_25partition_config_selectorILNS1_17partition_subalgoE3EjNS0_10empty_typeEbEEZZNS1_14partition_implILS8_3ELb0ES6_jNS0_17counting_iteratorIjlEEPS9_SE_NS0_5tupleIJPjSE_EEENSF_IJSE_SE_EEES9_SG_JZNS1_25segmented_radix_sort_implINS0_14default_configELb0EPKiPiPKlPlN2at6native12_GLOBAL__N_18offset_tEEE10hipError_tPvRmT1_PNSt15iterator_traitsISY_E10value_typeET2_T3_PNSZ_IS14_E10value_typeET4_jRbjT5_S1A_jjP12ihipStream_tbEUljE_EEESV_SW_SX_S14_S18_S1A_T6_T7_T9_mT8_S1C_bDpT10_ENKUlT_T0_E_clISt17integral_constantIbLb1EES1P_EEDaS1K_S1L_EUlS1K_E_NS1_11comp_targetILNS1_3genE5ELNS1_11target_archE942ELNS1_3gpuE9ELNS1_3repE0EEENS1_30default_config_static_selectorELNS0_4arch9wavefront6targetE0EEEvSY_
    .private_segment_fixed_size: 0
    .sgpr_count:     0
    .sgpr_spill_count: 0
    .symbol:         _ZN7rocprim17ROCPRIM_400000_NS6detail17trampoline_kernelINS0_13select_configILj256ELj13ELNS0_17block_load_methodE3ELS4_3ELS4_3ELNS0_20block_scan_algorithmE0ELj4294967295EEENS1_25partition_config_selectorILNS1_17partition_subalgoE3EjNS0_10empty_typeEbEEZZNS1_14partition_implILS8_3ELb0ES6_jNS0_17counting_iteratorIjlEEPS9_SE_NS0_5tupleIJPjSE_EEENSF_IJSE_SE_EEES9_SG_JZNS1_25segmented_radix_sort_implINS0_14default_configELb0EPKiPiPKlPlN2at6native12_GLOBAL__N_18offset_tEEE10hipError_tPvRmT1_PNSt15iterator_traitsISY_E10value_typeET2_T3_PNSZ_IS14_E10value_typeET4_jRbjT5_S1A_jjP12ihipStream_tbEUljE_EEESV_SW_SX_S14_S18_S1A_T6_T7_T9_mT8_S1C_bDpT10_ENKUlT_T0_E_clISt17integral_constantIbLb1EES1P_EEDaS1K_S1L_EUlS1K_E_NS1_11comp_targetILNS1_3genE5ELNS1_11target_archE942ELNS1_3gpuE9ELNS1_3repE0EEENS1_30default_config_static_selectorELNS0_4arch9wavefront6targetE0EEEvSY_.kd
    .uniform_work_group_size: 1
    .uses_dynamic_stack: false
    .vgpr_count:     0
    .vgpr_spill_count: 0
    .wavefront_size: 32
    .workgroup_processor_mode: 1
  - .args:
      - .offset:         0
        .size:           152
        .value_kind:     by_value
    .group_segment_fixed_size: 0
    .kernarg_segment_align: 8
    .kernarg_segment_size: 152
    .language:       OpenCL C
    .language_version:
      - 2
      - 0
    .max_flat_workgroup_size: 256
    .name:           _ZN7rocprim17ROCPRIM_400000_NS6detail17trampoline_kernelINS0_13select_configILj256ELj13ELNS0_17block_load_methodE3ELS4_3ELS4_3ELNS0_20block_scan_algorithmE0ELj4294967295EEENS1_25partition_config_selectorILNS1_17partition_subalgoE3EjNS0_10empty_typeEbEEZZNS1_14partition_implILS8_3ELb0ES6_jNS0_17counting_iteratorIjlEEPS9_SE_NS0_5tupleIJPjSE_EEENSF_IJSE_SE_EEES9_SG_JZNS1_25segmented_radix_sort_implINS0_14default_configELb0EPKiPiPKlPlN2at6native12_GLOBAL__N_18offset_tEEE10hipError_tPvRmT1_PNSt15iterator_traitsISY_E10value_typeET2_T3_PNSZ_IS14_E10value_typeET4_jRbjT5_S1A_jjP12ihipStream_tbEUljE_EEESV_SW_SX_S14_S18_S1A_T6_T7_T9_mT8_S1C_bDpT10_ENKUlT_T0_E_clISt17integral_constantIbLb1EES1P_EEDaS1K_S1L_EUlS1K_E_NS1_11comp_targetILNS1_3genE4ELNS1_11target_archE910ELNS1_3gpuE8ELNS1_3repE0EEENS1_30default_config_static_selectorELNS0_4arch9wavefront6targetE0EEEvSY_
    .private_segment_fixed_size: 0
    .sgpr_count:     0
    .sgpr_spill_count: 0
    .symbol:         _ZN7rocprim17ROCPRIM_400000_NS6detail17trampoline_kernelINS0_13select_configILj256ELj13ELNS0_17block_load_methodE3ELS4_3ELS4_3ELNS0_20block_scan_algorithmE0ELj4294967295EEENS1_25partition_config_selectorILNS1_17partition_subalgoE3EjNS0_10empty_typeEbEEZZNS1_14partition_implILS8_3ELb0ES6_jNS0_17counting_iteratorIjlEEPS9_SE_NS0_5tupleIJPjSE_EEENSF_IJSE_SE_EEES9_SG_JZNS1_25segmented_radix_sort_implINS0_14default_configELb0EPKiPiPKlPlN2at6native12_GLOBAL__N_18offset_tEEE10hipError_tPvRmT1_PNSt15iterator_traitsISY_E10value_typeET2_T3_PNSZ_IS14_E10value_typeET4_jRbjT5_S1A_jjP12ihipStream_tbEUljE_EEESV_SW_SX_S14_S18_S1A_T6_T7_T9_mT8_S1C_bDpT10_ENKUlT_T0_E_clISt17integral_constantIbLb1EES1P_EEDaS1K_S1L_EUlS1K_E_NS1_11comp_targetILNS1_3genE4ELNS1_11target_archE910ELNS1_3gpuE8ELNS1_3repE0EEENS1_30default_config_static_selectorELNS0_4arch9wavefront6targetE0EEEvSY_.kd
    .uniform_work_group_size: 1
    .uses_dynamic_stack: false
    .vgpr_count:     0
    .vgpr_spill_count: 0
    .wavefront_size: 32
    .workgroup_processor_mode: 1
  - .args:
      - .offset:         0
        .size:           152
        .value_kind:     by_value
    .group_segment_fixed_size: 0
    .kernarg_segment_align: 8
    .kernarg_segment_size: 152
    .language:       OpenCL C
    .language_version:
      - 2
      - 0
    .max_flat_workgroup_size: 256
    .name:           _ZN7rocprim17ROCPRIM_400000_NS6detail17trampoline_kernelINS0_13select_configILj256ELj13ELNS0_17block_load_methodE3ELS4_3ELS4_3ELNS0_20block_scan_algorithmE0ELj4294967295EEENS1_25partition_config_selectorILNS1_17partition_subalgoE3EjNS0_10empty_typeEbEEZZNS1_14partition_implILS8_3ELb0ES6_jNS0_17counting_iteratorIjlEEPS9_SE_NS0_5tupleIJPjSE_EEENSF_IJSE_SE_EEES9_SG_JZNS1_25segmented_radix_sort_implINS0_14default_configELb0EPKiPiPKlPlN2at6native12_GLOBAL__N_18offset_tEEE10hipError_tPvRmT1_PNSt15iterator_traitsISY_E10value_typeET2_T3_PNSZ_IS14_E10value_typeET4_jRbjT5_S1A_jjP12ihipStream_tbEUljE_EEESV_SW_SX_S14_S18_S1A_T6_T7_T9_mT8_S1C_bDpT10_ENKUlT_T0_E_clISt17integral_constantIbLb1EES1P_EEDaS1K_S1L_EUlS1K_E_NS1_11comp_targetILNS1_3genE3ELNS1_11target_archE908ELNS1_3gpuE7ELNS1_3repE0EEENS1_30default_config_static_selectorELNS0_4arch9wavefront6targetE0EEEvSY_
    .private_segment_fixed_size: 0
    .sgpr_count:     0
    .sgpr_spill_count: 0
    .symbol:         _ZN7rocprim17ROCPRIM_400000_NS6detail17trampoline_kernelINS0_13select_configILj256ELj13ELNS0_17block_load_methodE3ELS4_3ELS4_3ELNS0_20block_scan_algorithmE0ELj4294967295EEENS1_25partition_config_selectorILNS1_17partition_subalgoE3EjNS0_10empty_typeEbEEZZNS1_14partition_implILS8_3ELb0ES6_jNS0_17counting_iteratorIjlEEPS9_SE_NS0_5tupleIJPjSE_EEENSF_IJSE_SE_EEES9_SG_JZNS1_25segmented_radix_sort_implINS0_14default_configELb0EPKiPiPKlPlN2at6native12_GLOBAL__N_18offset_tEEE10hipError_tPvRmT1_PNSt15iterator_traitsISY_E10value_typeET2_T3_PNSZ_IS14_E10value_typeET4_jRbjT5_S1A_jjP12ihipStream_tbEUljE_EEESV_SW_SX_S14_S18_S1A_T6_T7_T9_mT8_S1C_bDpT10_ENKUlT_T0_E_clISt17integral_constantIbLb1EES1P_EEDaS1K_S1L_EUlS1K_E_NS1_11comp_targetILNS1_3genE3ELNS1_11target_archE908ELNS1_3gpuE7ELNS1_3repE0EEENS1_30default_config_static_selectorELNS0_4arch9wavefront6targetE0EEEvSY_.kd
    .uniform_work_group_size: 1
    .uses_dynamic_stack: false
    .vgpr_count:     0
    .vgpr_spill_count: 0
    .wavefront_size: 32
    .workgroup_processor_mode: 1
  - .args:
      - .offset:         0
        .size:           152
        .value_kind:     by_value
    .group_segment_fixed_size: 0
    .kernarg_segment_align: 8
    .kernarg_segment_size: 152
    .language:       OpenCL C
    .language_version:
      - 2
      - 0
    .max_flat_workgroup_size: 256
    .name:           _ZN7rocprim17ROCPRIM_400000_NS6detail17trampoline_kernelINS0_13select_configILj256ELj13ELNS0_17block_load_methodE3ELS4_3ELS4_3ELNS0_20block_scan_algorithmE0ELj4294967295EEENS1_25partition_config_selectorILNS1_17partition_subalgoE3EjNS0_10empty_typeEbEEZZNS1_14partition_implILS8_3ELb0ES6_jNS0_17counting_iteratorIjlEEPS9_SE_NS0_5tupleIJPjSE_EEENSF_IJSE_SE_EEES9_SG_JZNS1_25segmented_radix_sort_implINS0_14default_configELb0EPKiPiPKlPlN2at6native12_GLOBAL__N_18offset_tEEE10hipError_tPvRmT1_PNSt15iterator_traitsISY_E10value_typeET2_T3_PNSZ_IS14_E10value_typeET4_jRbjT5_S1A_jjP12ihipStream_tbEUljE_EEESV_SW_SX_S14_S18_S1A_T6_T7_T9_mT8_S1C_bDpT10_ENKUlT_T0_E_clISt17integral_constantIbLb1EES1P_EEDaS1K_S1L_EUlS1K_E_NS1_11comp_targetILNS1_3genE2ELNS1_11target_archE906ELNS1_3gpuE6ELNS1_3repE0EEENS1_30default_config_static_selectorELNS0_4arch9wavefront6targetE0EEEvSY_
    .private_segment_fixed_size: 0
    .sgpr_count:     0
    .sgpr_spill_count: 0
    .symbol:         _ZN7rocprim17ROCPRIM_400000_NS6detail17trampoline_kernelINS0_13select_configILj256ELj13ELNS0_17block_load_methodE3ELS4_3ELS4_3ELNS0_20block_scan_algorithmE0ELj4294967295EEENS1_25partition_config_selectorILNS1_17partition_subalgoE3EjNS0_10empty_typeEbEEZZNS1_14partition_implILS8_3ELb0ES6_jNS0_17counting_iteratorIjlEEPS9_SE_NS0_5tupleIJPjSE_EEENSF_IJSE_SE_EEES9_SG_JZNS1_25segmented_radix_sort_implINS0_14default_configELb0EPKiPiPKlPlN2at6native12_GLOBAL__N_18offset_tEEE10hipError_tPvRmT1_PNSt15iterator_traitsISY_E10value_typeET2_T3_PNSZ_IS14_E10value_typeET4_jRbjT5_S1A_jjP12ihipStream_tbEUljE_EEESV_SW_SX_S14_S18_S1A_T6_T7_T9_mT8_S1C_bDpT10_ENKUlT_T0_E_clISt17integral_constantIbLb1EES1P_EEDaS1K_S1L_EUlS1K_E_NS1_11comp_targetILNS1_3genE2ELNS1_11target_archE906ELNS1_3gpuE6ELNS1_3repE0EEENS1_30default_config_static_selectorELNS0_4arch9wavefront6targetE0EEEvSY_.kd
    .uniform_work_group_size: 1
    .uses_dynamic_stack: false
    .vgpr_count:     0
    .vgpr_spill_count: 0
    .wavefront_size: 32
    .workgroup_processor_mode: 1
  - .args:
      - .offset:         0
        .size:           152
        .value_kind:     by_value
    .group_segment_fixed_size: 0
    .kernarg_segment_align: 8
    .kernarg_segment_size: 152
    .language:       OpenCL C
    .language_version:
      - 2
      - 0
    .max_flat_workgroup_size: 256
    .name:           _ZN7rocprim17ROCPRIM_400000_NS6detail17trampoline_kernelINS0_13select_configILj256ELj13ELNS0_17block_load_methodE3ELS4_3ELS4_3ELNS0_20block_scan_algorithmE0ELj4294967295EEENS1_25partition_config_selectorILNS1_17partition_subalgoE3EjNS0_10empty_typeEbEEZZNS1_14partition_implILS8_3ELb0ES6_jNS0_17counting_iteratorIjlEEPS9_SE_NS0_5tupleIJPjSE_EEENSF_IJSE_SE_EEES9_SG_JZNS1_25segmented_radix_sort_implINS0_14default_configELb0EPKiPiPKlPlN2at6native12_GLOBAL__N_18offset_tEEE10hipError_tPvRmT1_PNSt15iterator_traitsISY_E10value_typeET2_T3_PNSZ_IS14_E10value_typeET4_jRbjT5_S1A_jjP12ihipStream_tbEUljE_EEESV_SW_SX_S14_S18_S1A_T6_T7_T9_mT8_S1C_bDpT10_ENKUlT_T0_E_clISt17integral_constantIbLb1EES1P_EEDaS1K_S1L_EUlS1K_E_NS1_11comp_targetILNS1_3genE10ELNS1_11target_archE1200ELNS1_3gpuE4ELNS1_3repE0EEENS1_30default_config_static_selectorELNS0_4arch9wavefront6targetE0EEEvSY_
    .private_segment_fixed_size: 0
    .sgpr_count:     0
    .sgpr_spill_count: 0
    .symbol:         _ZN7rocprim17ROCPRIM_400000_NS6detail17trampoline_kernelINS0_13select_configILj256ELj13ELNS0_17block_load_methodE3ELS4_3ELS4_3ELNS0_20block_scan_algorithmE0ELj4294967295EEENS1_25partition_config_selectorILNS1_17partition_subalgoE3EjNS0_10empty_typeEbEEZZNS1_14partition_implILS8_3ELb0ES6_jNS0_17counting_iteratorIjlEEPS9_SE_NS0_5tupleIJPjSE_EEENSF_IJSE_SE_EEES9_SG_JZNS1_25segmented_radix_sort_implINS0_14default_configELb0EPKiPiPKlPlN2at6native12_GLOBAL__N_18offset_tEEE10hipError_tPvRmT1_PNSt15iterator_traitsISY_E10value_typeET2_T3_PNSZ_IS14_E10value_typeET4_jRbjT5_S1A_jjP12ihipStream_tbEUljE_EEESV_SW_SX_S14_S18_S1A_T6_T7_T9_mT8_S1C_bDpT10_ENKUlT_T0_E_clISt17integral_constantIbLb1EES1P_EEDaS1K_S1L_EUlS1K_E_NS1_11comp_targetILNS1_3genE10ELNS1_11target_archE1200ELNS1_3gpuE4ELNS1_3repE0EEENS1_30default_config_static_selectorELNS0_4arch9wavefront6targetE0EEEvSY_.kd
    .uniform_work_group_size: 1
    .uses_dynamic_stack: false
    .vgpr_count:     0
    .vgpr_spill_count: 0
    .wavefront_size: 32
    .workgroup_processor_mode: 1
  - .args:
      - .offset:         0
        .size:           152
        .value_kind:     by_value
    .group_segment_fixed_size: 13324
    .kernarg_segment_align: 8
    .kernarg_segment_size: 152
    .language:       OpenCL C
    .language_version:
      - 2
      - 0
    .max_flat_workgroup_size: 256
    .name:           _ZN7rocprim17ROCPRIM_400000_NS6detail17trampoline_kernelINS0_13select_configILj256ELj13ELNS0_17block_load_methodE3ELS4_3ELS4_3ELNS0_20block_scan_algorithmE0ELj4294967295EEENS1_25partition_config_selectorILNS1_17partition_subalgoE3EjNS0_10empty_typeEbEEZZNS1_14partition_implILS8_3ELb0ES6_jNS0_17counting_iteratorIjlEEPS9_SE_NS0_5tupleIJPjSE_EEENSF_IJSE_SE_EEES9_SG_JZNS1_25segmented_radix_sort_implINS0_14default_configELb0EPKiPiPKlPlN2at6native12_GLOBAL__N_18offset_tEEE10hipError_tPvRmT1_PNSt15iterator_traitsISY_E10value_typeET2_T3_PNSZ_IS14_E10value_typeET4_jRbjT5_S1A_jjP12ihipStream_tbEUljE_EEESV_SW_SX_S14_S18_S1A_T6_T7_T9_mT8_S1C_bDpT10_ENKUlT_T0_E_clISt17integral_constantIbLb1EES1P_EEDaS1K_S1L_EUlS1K_E_NS1_11comp_targetILNS1_3genE9ELNS1_11target_archE1100ELNS1_3gpuE3ELNS1_3repE0EEENS1_30default_config_static_selectorELNS0_4arch9wavefront6targetE0EEEvSY_
    .private_segment_fixed_size: 0
    .sgpr_count:     28
    .sgpr_spill_count: 0
    .symbol:         _ZN7rocprim17ROCPRIM_400000_NS6detail17trampoline_kernelINS0_13select_configILj256ELj13ELNS0_17block_load_methodE3ELS4_3ELS4_3ELNS0_20block_scan_algorithmE0ELj4294967295EEENS1_25partition_config_selectorILNS1_17partition_subalgoE3EjNS0_10empty_typeEbEEZZNS1_14partition_implILS8_3ELb0ES6_jNS0_17counting_iteratorIjlEEPS9_SE_NS0_5tupleIJPjSE_EEENSF_IJSE_SE_EEES9_SG_JZNS1_25segmented_radix_sort_implINS0_14default_configELb0EPKiPiPKlPlN2at6native12_GLOBAL__N_18offset_tEEE10hipError_tPvRmT1_PNSt15iterator_traitsISY_E10value_typeET2_T3_PNSZ_IS14_E10value_typeET4_jRbjT5_S1A_jjP12ihipStream_tbEUljE_EEESV_SW_SX_S14_S18_S1A_T6_T7_T9_mT8_S1C_bDpT10_ENKUlT_T0_E_clISt17integral_constantIbLb1EES1P_EEDaS1K_S1L_EUlS1K_E_NS1_11comp_targetILNS1_3genE9ELNS1_11target_archE1100ELNS1_3gpuE3ELNS1_3repE0EEENS1_30default_config_static_selectorELNS0_4arch9wavefront6targetE0EEEvSY_.kd
    .uniform_work_group_size: 1
    .uses_dynamic_stack: false
    .vgpr_count:     60
    .vgpr_spill_count: 0
    .wavefront_size: 32
    .workgroup_processor_mode: 1
  - .args:
      - .offset:         0
        .size:           152
        .value_kind:     by_value
    .group_segment_fixed_size: 0
    .kernarg_segment_align: 8
    .kernarg_segment_size: 152
    .language:       OpenCL C
    .language_version:
      - 2
      - 0
    .max_flat_workgroup_size: 256
    .name:           _ZN7rocprim17ROCPRIM_400000_NS6detail17trampoline_kernelINS0_13select_configILj256ELj13ELNS0_17block_load_methodE3ELS4_3ELS4_3ELNS0_20block_scan_algorithmE0ELj4294967295EEENS1_25partition_config_selectorILNS1_17partition_subalgoE3EjNS0_10empty_typeEbEEZZNS1_14partition_implILS8_3ELb0ES6_jNS0_17counting_iteratorIjlEEPS9_SE_NS0_5tupleIJPjSE_EEENSF_IJSE_SE_EEES9_SG_JZNS1_25segmented_radix_sort_implINS0_14default_configELb0EPKiPiPKlPlN2at6native12_GLOBAL__N_18offset_tEEE10hipError_tPvRmT1_PNSt15iterator_traitsISY_E10value_typeET2_T3_PNSZ_IS14_E10value_typeET4_jRbjT5_S1A_jjP12ihipStream_tbEUljE_EEESV_SW_SX_S14_S18_S1A_T6_T7_T9_mT8_S1C_bDpT10_ENKUlT_T0_E_clISt17integral_constantIbLb1EES1P_EEDaS1K_S1L_EUlS1K_E_NS1_11comp_targetILNS1_3genE8ELNS1_11target_archE1030ELNS1_3gpuE2ELNS1_3repE0EEENS1_30default_config_static_selectorELNS0_4arch9wavefront6targetE0EEEvSY_
    .private_segment_fixed_size: 0
    .sgpr_count:     0
    .sgpr_spill_count: 0
    .symbol:         _ZN7rocprim17ROCPRIM_400000_NS6detail17trampoline_kernelINS0_13select_configILj256ELj13ELNS0_17block_load_methodE3ELS4_3ELS4_3ELNS0_20block_scan_algorithmE0ELj4294967295EEENS1_25partition_config_selectorILNS1_17partition_subalgoE3EjNS0_10empty_typeEbEEZZNS1_14partition_implILS8_3ELb0ES6_jNS0_17counting_iteratorIjlEEPS9_SE_NS0_5tupleIJPjSE_EEENSF_IJSE_SE_EEES9_SG_JZNS1_25segmented_radix_sort_implINS0_14default_configELb0EPKiPiPKlPlN2at6native12_GLOBAL__N_18offset_tEEE10hipError_tPvRmT1_PNSt15iterator_traitsISY_E10value_typeET2_T3_PNSZ_IS14_E10value_typeET4_jRbjT5_S1A_jjP12ihipStream_tbEUljE_EEESV_SW_SX_S14_S18_S1A_T6_T7_T9_mT8_S1C_bDpT10_ENKUlT_T0_E_clISt17integral_constantIbLb1EES1P_EEDaS1K_S1L_EUlS1K_E_NS1_11comp_targetILNS1_3genE8ELNS1_11target_archE1030ELNS1_3gpuE2ELNS1_3repE0EEENS1_30default_config_static_selectorELNS0_4arch9wavefront6targetE0EEEvSY_.kd
    .uniform_work_group_size: 1
    .uses_dynamic_stack: false
    .vgpr_count:     0
    .vgpr_spill_count: 0
    .wavefront_size: 32
    .workgroup_processor_mode: 1
  - .args:
      - .offset:         0
        .size:           144
        .value_kind:     by_value
    .group_segment_fixed_size: 0
    .kernarg_segment_align: 8
    .kernarg_segment_size: 144
    .language:       OpenCL C
    .language_version:
      - 2
      - 0
    .max_flat_workgroup_size: 256
    .name:           _ZN7rocprim17ROCPRIM_400000_NS6detail17trampoline_kernelINS0_13select_configILj256ELj13ELNS0_17block_load_methodE3ELS4_3ELS4_3ELNS0_20block_scan_algorithmE0ELj4294967295EEENS1_25partition_config_selectorILNS1_17partition_subalgoE3EjNS0_10empty_typeEbEEZZNS1_14partition_implILS8_3ELb0ES6_jNS0_17counting_iteratorIjlEEPS9_SE_NS0_5tupleIJPjSE_EEENSF_IJSE_SE_EEES9_SG_JZNS1_25segmented_radix_sort_implINS0_14default_configELb0EPKiPiPKlPlN2at6native12_GLOBAL__N_18offset_tEEE10hipError_tPvRmT1_PNSt15iterator_traitsISY_E10value_typeET2_T3_PNSZ_IS14_E10value_typeET4_jRbjT5_S1A_jjP12ihipStream_tbEUljE_EEESV_SW_SX_S14_S18_S1A_T6_T7_T9_mT8_S1C_bDpT10_ENKUlT_T0_E_clISt17integral_constantIbLb1EES1O_IbLb0EEEEDaS1K_S1L_EUlS1K_E_NS1_11comp_targetILNS1_3genE0ELNS1_11target_archE4294967295ELNS1_3gpuE0ELNS1_3repE0EEENS1_30default_config_static_selectorELNS0_4arch9wavefront6targetE0EEEvSY_
    .private_segment_fixed_size: 0
    .sgpr_count:     0
    .sgpr_spill_count: 0
    .symbol:         _ZN7rocprim17ROCPRIM_400000_NS6detail17trampoline_kernelINS0_13select_configILj256ELj13ELNS0_17block_load_methodE3ELS4_3ELS4_3ELNS0_20block_scan_algorithmE0ELj4294967295EEENS1_25partition_config_selectorILNS1_17partition_subalgoE3EjNS0_10empty_typeEbEEZZNS1_14partition_implILS8_3ELb0ES6_jNS0_17counting_iteratorIjlEEPS9_SE_NS0_5tupleIJPjSE_EEENSF_IJSE_SE_EEES9_SG_JZNS1_25segmented_radix_sort_implINS0_14default_configELb0EPKiPiPKlPlN2at6native12_GLOBAL__N_18offset_tEEE10hipError_tPvRmT1_PNSt15iterator_traitsISY_E10value_typeET2_T3_PNSZ_IS14_E10value_typeET4_jRbjT5_S1A_jjP12ihipStream_tbEUljE_EEESV_SW_SX_S14_S18_S1A_T6_T7_T9_mT8_S1C_bDpT10_ENKUlT_T0_E_clISt17integral_constantIbLb1EES1O_IbLb0EEEEDaS1K_S1L_EUlS1K_E_NS1_11comp_targetILNS1_3genE0ELNS1_11target_archE4294967295ELNS1_3gpuE0ELNS1_3repE0EEENS1_30default_config_static_selectorELNS0_4arch9wavefront6targetE0EEEvSY_.kd
    .uniform_work_group_size: 1
    .uses_dynamic_stack: false
    .vgpr_count:     0
    .vgpr_spill_count: 0
    .wavefront_size: 32
    .workgroup_processor_mode: 1
  - .args:
      - .offset:         0
        .size:           144
        .value_kind:     by_value
    .group_segment_fixed_size: 0
    .kernarg_segment_align: 8
    .kernarg_segment_size: 144
    .language:       OpenCL C
    .language_version:
      - 2
      - 0
    .max_flat_workgroup_size: 256
    .name:           _ZN7rocprim17ROCPRIM_400000_NS6detail17trampoline_kernelINS0_13select_configILj256ELj13ELNS0_17block_load_methodE3ELS4_3ELS4_3ELNS0_20block_scan_algorithmE0ELj4294967295EEENS1_25partition_config_selectorILNS1_17partition_subalgoE3EjNS0_10empty_typeEbEEZZNS1_14partition_implILS8_3ELb0ES6_jNS0_17counting_iteratorIjlEEPS9_SE_NS0_5tupleIJPjSE_EEENSF_IJSE_SE_EEES9_SG_JZNS1_25segmented_radix_sort_implINS0_14default_configELb0EPKiPiPKlPlN2at6native12_GLOBAL__N_18offset_tEEE10hipError_tPvRmT1_PNSt15iterator_traitsISY_E10value_typeET2_T3_PNSZ_IS14_E10value_typeET4_jRbjT5_S1A_jjP12ihipStream_tbEUljE_EEESV_SW_SX_S14_S18_S1A_T6_T7_T9_mT8_S1C_bDpT10_ENKUlT_T0_E_clISt17integral_constantIbLb1EES1O_IbLb0EEEEDaS1K_S1L_EUlS1K_E_NS1_11comp_targetILNS1_3genE5ELNS1_11target_archE942ELNS1_3gpuE9ELNS1_3repE0EEENS1_30default_config_static_selectorELNS0_4arch9wavefront6targetE0EEEvSY_
    .private_segment_fixed_size: 0
    .sgpr_count:     0
    .sgpr_spill_count: 0
    .symbol:         _ZN7rocprim17ROCPRIM_400000_NS6detail17trampoline_kernelINS0_13select_configILj256ELj13ELNS0_17block_load_methodE3ELS4_3ELS4_3ELNS0_20block_scan_algorithmE0ELj4294967295EEENS1_25partition_config_selectorILNS1_17partition_subalgoE3EjNS0_10empty_typeEbEEZZNS1_14partition_implILS8_3ELb0ES6_jNS0_17counting_iteratorIjlEEPS9_SE_NS0_5tupleIJPjSE_EEENSF_IJSE_SE_EEES9_SG_JZNS1_25segmented_radix_sort_implINS0_14default_configELb0EPKiPiPKlPlN2at6native12_GLOBAL__N_18offset_tEEE10hipError_tPvRmT1_PNSt15iterator_traitsISY_E10value_typeET2_T3_PNSZ_IS14_E10value_typeET4_jRbjT5_S1A_jjP12ihipStream_tbEUljE_EEESV_SW_SX_S14_S18_S1A_T6_T7_T9_mT8_S1C_bDpT10_ENKUlT_T0_E_clISt17integral_constantIbLb1EES1O_IbLb0EEEEDaS1K_S1L_EUlS1K_E_NS1_11comp_targetILNS1_3genE5ELNS1_11target_archE942ELNS1_3gpuE9ELNS1_3repE0EEENS1_30default_config_static_selectorELNS0_4arch9wavefront6targetE0EEEvSY_.kd
    .uniform_work_group_size: 1
    .uses_dynamic_stack: false
    .vgpr_count:     0
    .vgpr_spill_count: 0
    .wavefront_size: 32
    .workgroup_processor_mode: 1
  - .args:
      - .offset:         0
        .size:           144
        .value_kind:     by_value
    .group_segment_fixed_size: 0
    .kernarg_segment_align: 8
    .kernarg_segment_size: 144
    .language:       OpenCL C
    .language_version:
      - 2
      - 0
    .max_flat_workgroup_size: 256
    .name:           _ZN7rocprim17ROCPRIM_400000_NS6detail17trampoline_kernelINS0_13select_configILj256ELj13ELNS0_17block_load_methodE3ELS4_3ELS4_3ELNS0_20block_scan_algorithmE0ELj4294967295EEENS1_25partition_config_selectorILNS1_17partition_subalgoE3EjNS0_10empty_typeEbEEZZNS1_14partition_implILS8_3ELb0ES6_jNS0_17counting_iteratorIjlEEPS9_SE_NS0_5tupleIJPjSE_EEENSF_IJSE_SE_EEES9_SG_JZNS1_25segmented_radix_sort_implINS0_14default_configELb0EPKiPiPKlPlN2at6native12_GLOBAL__N_18offset_tEEE10hipError_tPvRmT1_PNSt15iterator_traitsISY_E10value_typeET2_T3_PNSZ_IS14_E10value_typeET4_jRbjT5_S1A_jjP12ihipStream_tbEUljE_EEESV_SW_SX_S14_S18_S1A_T6_T7_T9_mT8_S1C_bDpT10_ENKUlT_T0_E_clISt17integral_constantIbLb1EES1O_IbLb0EEEEDaS1K_S1L_EUlS1K_E_NS1_11comp_targetILNS1_3genE4ELNS1_11target_archE910ELNS1_3gpuE8ELNS1_3repE0EEENS1_30default_config_static_selectorELNS0_4arch9wavefront6targetE0EEEvSY_
    .private_segment_fixed_size: 0
    .sgpr_count:     0
    .sgpr_spill_count: 0
    .symbol:         _ZN7rocprim17ROCPRIM_400000_NS6detail17trampoline_kernelINS0_13select_configILj256ELj13ELNS0_17block_load_methodE3ELS4_3ELS4_3ELNS0_20block_scan_algorithmE0ELj4294967295EEENS1_25partition_config_selectorILNS1_17partition_subalgoE3EjNS0_10empty_typeEbEEZZNS1_14partition_implILS8_3ELb0ES6_jNS0_17counting_iteratorIjlEEPS9_SE_NS0_5tupleIJPjSE_EEENSF_IJSE_SE_EEES9_SG_JZNS1_25segmented_radix_sort_implINS0_14default_configELb0EPKiPiPKlPlN2at6native12_GLOBAL__N_18offset_tEEE10hipError_tPvRmT1_PNSt15iterator_traitsISY_E10value_typeET2_T3_PNSZ_IS14_E10value_typeET4_jRbjT5_S1A_jjP12ihipStream_tbEUljE_EEESV_SW_SX_S14_S18_S1A_T6_T7_T9_mT8_S1C_bDpT10_ENKUlT_T0_E_clISt17integral_constantIbLb1EES1O_IbLb0EEEEDaS1K_S1L_EUlS1K_E_NS1_11comp_targetILNS1_3genE4ELNS1_11target_archE910ELNS1_3gpuE8ELNS1_3repE0EEENS1_30default_config_static_selectorELNS0_4arch9wavefront6targetE0EEEvSY_.kd
    .uniform_work_group_size: 1
    .uses_dynamic_stack: false
    .vgpr_count:     0
    .vgpr_spill_count: 0
    .wavefront_size: 32
    .workgroup_processor_mode: 1
  - .args:
      - .offset:         0
        .size:           144
        .value_kind:     by_value
    .group_segment_fixed_size: 0
    .kernarg_segment_align: 8
    .kernarg_segment_size: 144
    .language:       OpenCL C
    .language_version:
      - 2
      - 0
    .max_flat_workgroup_size: 256
    .name:           _ZN7rocprim17ROCPRIM_400000_NS6detail17trampoline_kernelINS0_13select_configILj256ELj13ELNS0_17block_load_methodE3ELS4_3ELS4_3ELNS0_20block_scan_algorithmE0ELj4294967295EEENS1_25partition_config_selectorILNS1_17partition_subalgoE3EjNS0_10empty_typeEbEEZZNS1_14partition_implILS8_3ELb0ES6_jNS0_17counting_iteratorIjlEEPS9_SE_NS0_5tupleIJPjSE_EEENSF_IJSE_SE_EEES9_SG_JZNS1_25segmented_radix_sort_implINS0_14default_configELb0EPKiPiPKlPlN2at6native12_GLOBAL__N_18offset_tEEE10hipError_tPvRmT1_PNSt15iterator_traitsISY_E10value_typeET2_T3_PNSZ_IS14_E10value_typeET4_jRbjT5_S1A_jjP12ihipStream_tbEUljE_EEESV_SW_SX_S14_S18_S1A_T6_T7_T9_mT8_S1C_bDpT10_ENKUlT_T0_E_clISt17integral_constantIbLb1EES1O_IbLb0EEEEDaS1K_S1L_EUlS1K_E_NS1_11comp_targetILNS1_3genE3ELNS1_11target_archE908ELNS1_3gpuE7ELNS1_3repE0EEENS1_30default_config_static_selectorELNS0_4arch9wavefront6targetE0EEEvSY_
    .private_segment_fixed_size: 0
    .sgpr_count:     0
    .sgpr_spill_count: 0
    .symbol:         _ZN7rocprim17ROCPRIM_400000_NS6detail17trampoline_kernelINS0_13select_configILj256ELj13ELNS0_17block_load_methodE3ELS4_3ELS4_3ELNS0_20block_scan_algorithmE0ELj4294967295EEENS1_25partition_config_selectorILNS1_17partition_subalgoE3EjNS0_10empty_typeEbEEZZNS1_14partition_implILS8_3ELb0ES6_jNS0_17counting_iteratorIjlEEPS9_SE_NS0_5tupleIJPjSE_EEENSF_IJSE_SE_EEES9_SG_JZNS1_25segmented_radix_sort_implINS0_14default_configELb0EPKiPiPKlPlN2at6native12_GLOBAL__N_18offset_tEEE10hipError_tPvRmT1_PNSt15iterator_traitsISY_E10value_typeET2_T3_PNSZ_IS14_E10value_typeET4_jRbjT5_S1A_jjP12ihipStream_tbEUljE_EEESV_SW_SX_S14_S18_S1A_T6_T7_T9_mT8_S1C_bDpT10_ENKUlT_T0_E_clISt17integral_constantIbLb1EES1O_IbLb0EEEEDaS1K_S1L_EUlS1K_E_NS1_11comp_targetILNS1_3genE3ELNS1_11target_archE908ELNS1_3gpuE7ELNS1_3repE0EEENS1_30default_config_static_selectorELNS0_4arch9wavefront6targetE0EEEvSY_.kd
    .uniform_work_group_size: 1
    .uses_dynamic_stack: false
    .vgpr_count:     0
    .vgpr_spill_count: 0
    .wavefront_size: 32
    .workgroup_processor_mode: 1
  - .args:
      - .offset:         0
        .size:           144
        .value_kind:     by_value
    .group_segment_fixed_size: 0
    .kernarg_segment_align: 8
    .kernarg_segment_size: 144
    .language:       OpenCL C
    .language_version:
      - 2
      - 0
    .max_flat_workgroup_size: 256
    .name:           _ZN7rocprim17ROCPRIM_400000_NS6detail17trampoline_kernelINS0_13select_configILj256ELj13ELNS0_17block_load_methodE3ELS4_3ELS4_3ELNS0_20block_scan_algorithmE0ELj4294967295EEENS1_25partition_config_selectorILNS1_17partition_subalgoE3EjNS0_10empty_typeEbEEZZNS1_14partition_implILS8_3ELb0ES6_jNS0_17counting_iteratorIjlEEPS9_SE_NS0_5tupleIJPjSE_EEENSF_IJSE_SE_EEES9_SG_JZNS1_25segmented_radix_sort_implINS0_14default_configELb0EPKiPiPKlPlN2at6native12_GLOBAL__N_18offset_tEEE10hipError_tPvRmT1_PNSt15iterator_traitsISY_E10value_typeET2_T3_PNSZ_IS14_E10value_typeET4_jRbjT5_S1A_jjP12ihipStream_tbEUljE_EEESV_SW_SX_S14_S18_S1A_T6_T7_T9_mT8_S1C_bDpT10_ENKUlT_T0_E_clISt17integral_constantIbLb1EES1O_IbLb0EEEEDaS1K_S1L_EUlS1K_E_NS1_11comp_targetILNS1_3genE2ELNS1_11target_archE906ELNS1_3gpuE6ELNS1_3repE0EEENS1_30default_config_static_selectorELNS0_4arch9wavefront6targetE0EEEvSY_
    .private_segment_fixed_size: 0
    .sgpr_count:     0
    .sgpr_spill_count: 0
    .symbol:         _ZN7rocprim17ROCPRIM_400000_NS6detail17trampoline_kernelINS0_13select_configILj256ELj13ELNS0_17block_load_methodE3ELS4_3ELS4_3ELNS0_20block_scan_algorithmE0ELj4294967295EEENS1_25partition_config_selectorILNS1_17partition_subalgoE3EjNS0_10empty_typeEbEEZZNS1_14partition_implILS8_3ELb0ES6_jNS0_17counting_iteratorIjlEEPS9_SE_NS0_5tupleIJPjSE_EEENSF_IJSE_SE_EEES9_SG_JZNS1_25segmented_radix_sort_implINS0_14default_configELb0EPKiPiPKlPlN2at6native12_GLOBAL__N_18offset_tEEE10hipError_tPvRmT1_PNSt15iterator_traitsISY_E10value_typeET2_T3_PNSZ_IS14_E10value_typeET4_jRbjT5_S1A_jjP12ihipStream_tbEUljE_EEESV_SW_SX_S14_S18_S1A_T6_T7_T9_mT8_S1C_bDpT10_ENKUlT_T0_E_clISt17integral_constantIbLb1EES1O_IbLb0EEEEDaS1K_S1L_EUlS1K_E_NS1_11comp_targetILNS1_3genE2ELNS1_11target_archE906ELNS1_3gpuE6ELNS1_3repE0EEENS1_30default_config_static_selectorELNS0_4arch9wavefront6targetE0EEEvSY_.kd
    .uniform_work_group_size: 1
    .uses_dynamic_stack: false
    .vgpr_count:     0
    .vgpr_spill_count: 0
    .wavefront_size: 32
    .workgroup_processor_mode: 1
  - .args:
      - .offset:         0
        .size:           144
        .value_kind:     by_value
    .group_segment_fixed_size: 0
    .kernarg_segment_align: 8
    .kernarg_segment_size: 144
    .language:       OpenCL C
    .language_version:
      - 2
      - 0
    .max_flat_workgroup_size: 256
    .name:           _ZN7rocprim17ROCPRIM_400000_NS6detail17trampoline_kernelINS0_13select_configILj256ELj13ELNS0_17block_load_methodE3ELS4_3ELS4_3ELNS0_20block_scan_algorithmE0ELj4294967295EEENS1_25partition_config_selectorILNS1_17partition_subalgoE3EjNS0_10empty_typeEbEEZZNS1_14partition_implILS8_3ELb0ES6_jNS0_17counting_iteratorIjlEEPS9_SE_NS0_5tupleIJPjSE_EEENSF_IJSE_SE_EEES9_SG_JZNS1_25segmented_radix_sort_implINS0_14default_configELb0EPKiPiPKlPlN2at6native12_GLOBAL__N_18offset_tEEE10hipError_tPvRmT1_PNSt15iterator_traitsISY_E10value_typeET2_T3_PNSZ_IS14_E10value_typeET4_jRbjT5_S1A_jjP12ihipStream_tbEUljE_EEESV_SW_SX_S14_S18_S1A_T6_T7_T9_mT8_S1C_bDpT10_ENKUlT_T0_E_clISt17integral_constantIbLb1EES1O_IbLb0EEEEDaS1K_S1L_EUlS1K_E_NS1_11comp_targetILNS1_3genE10ELNS1_11target_archE1200ELNS1_3gpuE4ELNS1_3repE0EEENS1_30default_config_static_selectorELNS0_4arch9wavefront6targetE0EEEvSY_
    .private_segment_fixed_size: 0
    .sgpr_count:     0
    .sgpr_spill_count: 0
    .symbol:         _ZN7rocprim17ROCPRIM_400000_NS6detail17trampoline_kernelINS0_13select_configILj256ELj13ELNS0_17block_load_methodE3ELS4_3ELS4_3ELNS0_20block_scan_algorithmE0ELj4294967295EEENS1_25partition_config_selectorILNS1_17partition_subalgoE3EjNS0_10empty_typeEbEEZZNS1_14partition_implILS8_3ELb0ES6_jNS0_17counting_iteratorIjlEEPS9_SE_NS0_5tupleIJPjSE_EEENSF_IJSE_SE_EEES9_SG_JZNS1_25segmented_radix_sort_implINS0_14default_configELb0EPKiPiPKlPlN2at6native12_GLOBAL__N_18offset_tEEE10hipError_tPvRmT1_PNSt15iterator_traitsISY_E10value_typeET2_T3_PNSZ_IS14_E10value_typeET4_jRbjT5_S1A_jjP12ihipStream_tbEUljE_EEESV_SW_SX_S14_S18_S1A_T6_T7_T9_mT8_S1C_bDpT10_ENKUlT_T0_E_clISt17integral_constantIbLb1EES1O_IbLb0EEEEDaS1K_S1L_EUlS1K_E_NS1_11comp_targetILNS1_3genE10ELNS1_11target_archE1200ELNS1_3gpuE4ELNS1_3repE0EEENS1_30default_config_static_selectorELNS0_4arch9wavefront6targetE0EEEvSY_.kd
    .uniform_work_group_size: 1
    .uses_dynamic_stack: false
    .vgpr_count:     0
    .vgpr_spill_count: 0
    .wavefront_size: 32
    .workgroup_processor_mode: 1
  - .args:
      - .offset:         0
        .size:           144
        .value_kind:     by_value
    .group_segment_fixed_size: 13324
    .kernarg_segment_align: 8
    .kernarg_segment_size: 144
    .language:       OpenCL C
    .language_version:
      - 2
      - 0
    .max_flat_workgroup_size: 256
    .name:           _ZN7rocprim17ROCPRIM_400000_NS6detail17trampoline_kernelINS0_13select_configILj256ELj13ELNS0_17block_load_methodE3ELS4_3ELS4_3ELNS0_20block_scan_algorithmE0ELj4294967295EEENS1_25partition_config_selectorILNS1_17partition_subalgoE3EjNS0_10empty_typeEbEEZZNS1_14partition_implILS8_3ELb0ES6_jNS0_17counting_iteratorIjlEEPS9_SE_NS0_5tupleIJPjSE_EEENSF_IJSE_SE_EEES9_SG_JZNS1_25segmented_radix_sort_implINS0_14default_configELb0EPKiPiPKlPlN2at6native12_GLOBAL__N_18offset_tEEE10hipError_tPvRmT1_PNSt15iterator_traitsISY_E10value_typeET2_T3_PNSZ_IS14_E10value_typeET4_jRbjT5_S1A_jjP12ihipStream_tbEUljE_EEESV_SW_SX_S14_S18_S1A_T6_T7_T9_mT8_S1C_bDpT10_ENKUlT_T0_E_clISt17integral_constantIbLb1EES1O_IbLb0EEEEDaS1K_S1L_EUlS1K_E_NS1_11comp_targetILNS1_3genE9ELNS1_11target_archE1100ELNS1_3gpuE3ELNS1_3repE0EEENS1_30default_config_static_selectorELNS0_4arch9wavefront6targetE0EEEvSY_
    .private_segment_fixed_size: 0
    .sgpr_count:     30
    .sgpr_spill_count: 0
    .symbol:         _ZN7rocprim17ROCPRIM_400000_NS6detail17trampoline_kernelINS0_13select_configILj256ELj13ELNS0_17block_load_methodE3ELS4_3ELS4_3ELNS0_20block_scan_algorithmE0ELj4294967295EEENS1_25partition_config_selectorILNS1_17partition_subalgoE3EjNS0_10empty_typeEbEEZZNS1_14partition_implILS8_3ELb0ES6_jNS0_17counting_iteratorIjlEEPS9_SE_NS0_5tupleIJPjSE_EEENSF_IJSE_SE_EEES9_SG_JZNS1_25segmented_radix_sort_implINS0_14default_configELb0EPKiPiPKlPlN2at6native12_GLOBAL__N_18offset_tEEE10hipError_tPvRmT1_PNSt15iterator_traitsISY_E10value_typeET2_T3_PNSZ_IS14_E10value_typeET4_jRbjT5_S1A_jjP12ihipStream_tbEUljE_EEESV_SW_SX_S14_S18_S1A_T6_T7_T9_mT8_S1C_bDpT10_ENKUlT_T0_E_clISt17integral_constantIbLb1EES1O_IbLb0EEEEDaS1K_S1L_EUlS1K_E_NS1_11comp_targetILNS1_3genE9ELNS1_11target_archE1100ELNS1_3gpuE3ELNS1_3repE0EEENS1_30default_config_static_selectorELNS0_4arch9wavefront6targetE0EEEvSY_.kd
    .uniform_work_group_size: 1
    .uses_dynamic_stack: false
    .vgpr_count:     57
    .vgpr_spill_count: 0
    .wavefront_size: 32
    .workgroup_processor_mode: 1
  - .args:
      - .offset:         0
        .size:           144
        .value_kind:     by_value
    .group_segment_fixed_size: 0
    .kernarg_segment_align: 8
    .kernarg_segment_size: 144
    .language:       OpenCL C
    .language_version:
      - 2
      - 0
    .max_flat_workgroup_size: 256
    .name:           _ZN7rocprim17ROCPRIM_400000_NS6detail17trampoline_kernelINS0_13select_configILj256ELj13ELNS0_17block_load_methodE3ELS4_3ELS4_3ELNS0_20block_scan_algorithmE0ELj4294967295EEENS1_25partition_config_selectorILNS1_17partition_subalgoE3EjNS0_10empty_typeEbEEZZNS1_14partition_implILS8_3ELb0ES6_jNS0_17counting_iteratorIjlEEPS9_SE_NS0_5tupleIJPjSE_EEENSF_IJSE_SE_EEES9_SG_JZNS1_25segmented_radix_sort_implINS0_14default_configELb0EPKiPiPKlPlN2at6native12_GLOBAL__N_18offset_tEEE10hipError_tPvRmT1_PNSt15iterator_traitsISY_E10value_typeET2_T3_PNSZ_IS14_E10value_typeET4_jRbjT5_S1A_jjP12ihipStream_tbEUljE_EEESV_SW_SX_S14_S18_S1A_T6_T7_T9_mT8_S1C_bDpT10_ENKUlT_T0_E_clISt17integral_constantIbLb1EES1O_IbLb0EEEEDaS1K_S1L_EUlS1K_E_NS1_11comp_targetILNS1_3genE8ELNS1_11target_archE1030ELNS1_3gpuE2ELNS1_3repE0EEENS1_30default_config_static_selectorELNS0_4arch9wavefront6targetE0EEEvSY_
    .private_segment_fixed_size: 0
    .sgpr_count:     0
    .sgpr_spill_count: 0
    .symbol:         _ZN7rocprim17ROCPRIM_400000_NS6detail17trampoline_kernelINS0_13select_configILj256ELj13ELNS0_17block_load_methodE3ELS4_3ELS4_3ELNS0_20block_scan_algorithmE0ELj4294967295EEENS1_25partition_config_selectorILNS1_17partition_subalgoE3EjNS0_10empty_typeEbEEZZNS1_14partition_implILS8_3ELb0ES6_jNS0_17counting_iteratorIjlEEPS9_SE_NS0_5tupleIJPjSE_EEENSF_IJSE_SE_EEES9_SG_JZNS1_25segmented_radix_sort_implINS0_14default_configELb0EPKiPiPKlPlN2at6native12_GLOBAL__N_18offset_tEEE10hipError_tPvRmT1_PNSt15iterator_traitsISY_E10value_typeET2_T3_PNSZ_IS14_E10value_typeET4_jRbjT5_S1A_jjP12ihipStream_tbEUljE_EEESV_SW_SX_S14_S18_S1A_T6_T7_T9_mT8_S1C_bDpT10_ENKUlT_T0_E_clISt17integral_constantIbLb1EES1O_IbLb0EEEEDaS1K_S1L_EUlS1K_E_NS1_11comp_targetILNS1_3genE8ELNS1_11target_archE1030ELNS1_3gpuE2ELNS1_3repE0EEENS1_30default_config_static_selectorELNS0_4arch9wavefront6targetE0EEEvSY_.kd
    .uniform_work_group_size: 1
    .uses_dynamic_stack: false
    .vgpr_count:     0
    .vgpr_spill_count: 0
    .wavefront_size: 32
    .workgroup_processor_mode: 1
  - .args:
      - .offset:         0
        .size:           152
        .value_kind:     by_value
    .group_segment_fixed_size: 0
    .kernarg_segment_align: 8
    .kernarg_segment_size: 152
    .language:       OpenCL C
    .language_version:
      - 2
      - 0
    .max_flat_workgroup_size: 256
    .name:           _ZN7rocprim17ROCPRIM_400000_NS6detail17trampoline_kernelINS0_13select_configILj256ELj13ELNS0_17block_load_methodE3ELS4_3ELS4_3ELNS0_20block_scan_algorithmE0ELj4294967295EEENS1_25partition_config_selectorILNS1_17partition_subalgoE3EjNS0_10empty_typeEbEEZZNS1_14partition_implILS8_3ELb0ES6_jNS0_17counting_iteratorIjlEEPS9_SE_NS0_5tupleIJPjSE_EEENSF_IJSE_SE_EEES9_SG_JZNS1_25segmented_radix_sort_implINS0_14default_configELb0EPKiPiPKlPlN2at6native12_GLOBAL__N_18offset_tEEE10hipError_tPvRmT1_PNSt15iterator_traitsISY_E10value_typeET2_T3_PNSZ_IS14_E10value_typeET4_jRbjT5_S1A_jjP12ihipStream_tbEUljE_EEESV_SW_SX_S14_S18_S1A_T6_T7_T9_mT8_S1C_bDpT10_ENKUlT_T0_E_clISt17integral_constantIbLb0EES1O_IbLb1EEEEDaS1K_S1L_EUlS1K_E_NS1_11comp_targetILNS1_3genE0ELNS1_11target_archE4294967295ELNS1_3gpuE0ELNS1_3repE0EEENS1_30default_config_static_selectorELNS0_4arch9wavefront6targetE0EEEvSY_
    .private_segment_fixed_size: 0
    .sgpr_count:     0
    .sgpr_spill_count: 0
    .symbol:         _ZN7rocprim17ROCPRIM_400000_NS6detail17trampoline_kernelINS0_13select_configILj256ELj13ELNS0_17block_load_methodE3ELS4_3ELS4_3ELNS0_20block_scan_algorithmE0ELj4294967295EEENS1_25partition_config_selectorILNS1_17partition_subalgoE3EjNS0_10empty_typeEbEEZZNS1_14partition_implILS8_3ELb0ES6_jNS0_17counting_iteratorIjlEEPS9_SE_NS0_5tupleIJPjSE_EEENSF_IJSE_SE_EEES9_SG_JZNS1_25segmented_radix_sort_implINS0_14default_configELb0EPKiPiPKlPlN2at6native12_GLOBAL__N_18offset_tEEE10hipError_tPvRmT1_PNSt15iterator_traitsISY_E10value_typeET2_T3_PNSZ_IS14_E10value_typeET4_jRbjT5_S1A_jjP12ihipStream_tbEUljE_EEESV_SW_SX_S14_S18_S1A_T6_T7_T9_mT8_S1C_bDpT10_ENKUlT_T0_E_clISt17integral_constantIbLb0EES1O_IbLb1EEEEDaS1K_S1L_EUlS1K_E_NS1_11comp_targetILNS1_3genE0ELNS1_11target_archE4294967295ELNS1_3gpuE0ELNS1_3repE0EEENS1_30default_config_static_selectorELNS0_4arch9wavefront6targetE0EEEvSY_.kd
    .uniform_work_group_size: 1
    .uses_dynamic_stack: false
    .vgpr_count:     0
    .vgpr_spill_count: 0
    .wavefront_size: 32
    .workgroup_processor_mode: 1
  - .args:
      - .offset:         0
        .size:           152
        .value_kind:     by_value
    .group_segment_fixed_size: 0
    .kernarg_segment_align: 8
    .kernarg_segment_size: 152
    .language:       OpenCL C
    .language_version:
      - 2
      - 0
    .max_flat_workgroup_size: 256
    .name:           _ZN7rocprim17ROCPRIM_400000_NS6detail17trampoline_kernelINS0_13select_configILj256ELj13ELNS0_17block_load_methodE3ELS4_3ELS4_3ELNS0_20block_scan_algorithmE0ELj4294967295EEENS1_25partition_config_selectorILNS1_17partition_subalgoE3EjNS0_10empty_typeEbEEZZNS1_14partition_implILS8_3ELb0ES6_jNS0_17counting_iteratorIjlEEPS9_SE_NS0_5tupleIJPjSE_EEENSF_IJSE_SE_EEES9_SG_JZNS1_25segmented_radix_sort_implINS0_14default_configELb0EPKiPiPKlPlN2at6native12_GLOBAL__N_18offset_tEEE10hipError_tPvRmT1_PNSt15iterator_traitsISY_E10value_typeET2_T3_PNSZ_IS14_E10value_typeET4_jRbjT5_S1A_jjP12ihipStream_tbEUljE_EEESV_SW_SX_S14_S18_S1A_T6_T7_T9_mT8_S1C_bDpT10_ENKUlT_T0_E_clISt17integral_constantIbLb0EES1O_IbLb1EEEEDaS1K_S1L_EUlS1K_E_NS1_11comp_targetILNS1_3genE5ELNS1_11target_archE942ELNS1_3gpuE9ELNS1_3repE0EEENS1_30default_config_static_selectorELNS0_4arch9wavefront6targetE0EEEvSY_
    .private_segment_fixed_size: 0
    .sgpr_count:     0
    .sgpr_spill_count: 0
    .symbol:         _ZN7rocprim17ROCPRIM_400000_NS6detail17trampoline_kernelINS0_13select_configILj256ELj13ELNS0_17block_load_methodE3ELS4_3ELS4_3ELNS0_20block_scan_algorithmE0ELj4294967295EEENS1_25partition_config_selectorILNS1_17partition_subalgoE3EjNS0_10empty_typeEbEEZZNS1_14partition_implILS8_3ELb0ES6_jNS0_17counting_iteratorIjlEEPS9_SE_NS0_5tupleIJPjSE_EEENSF_IJSE_SE_EEES9_SG_JZNS1_25segmented_radix_sort_implINS0_14default_configELb0EPKiPiPKlPlN2at6native12_GLOBAL__N_18offset_tEEE10hipError_tPvRmT1_PNSt15iterator_traitsISY_E10value_typeET2_T3_PNSZ_IS14_E10value_typeET4_jRbjT5_S1A_jjP12ihipStream_tbEUljE_EEESV_SW_SX_S14_S18_S1A_T6_T7_T9_mT8_S1C_bDpT10_ENKUlT_T0_E_clISt17integral_constantIbLb0EES1O_IbLb1EEEEDaS1K_S1L_EUlS1K_E_NS1_11comp_targetILNS1_3genE5ELNS1_11target_archE942ELNS1_3gpuE9ELNS1_3repE0EEENS1_30default_config_static_selectorELNS0_4arch9wavefront6targetE0EEEvSY_.kd
    .uniform_work_group_size: 1
    .uses_dynamic_stack: false
    .vgpr_count:     0
    .vgpr_spill_count: 0
    .wavefront_size: 32
    .workgroup_processor_mode: 1
  - .args:
      - .offset:         0
        .size:           152
        .value_kind:     by_value
    .group_segment_fixed_size: 0
    .kernarg_segment_align: 8
    .kernarg_segment_size: 152
    .language:       OpenCL C
    .language_version:
      - 2
      - 0
    .max_flat_workgroup_size: 256
    .name:           _ZN7rocprim17ROCPRIM_400000_NS6detail17trampoline_kernelINS0_13select_configILj256ELj13ELNS0_17block_load_methodE3ELS4_3ELS4_3ELNS0_20block_scan_algorithmE0ELj4294967295EEENS1_25partition_config_selectorILNS1_17partition_subalgoE3EjNS0_10empty_typeEbEEZZNS1_14partition_implILS8_3ELb0ES6_jNS0_17counting_iteratorIjlEEPS9_SE_NS0_5tupleIJPjSE_EEENSF_IJSE_SE_EEES9_SG_JZNS1_25segmented_radix_sort_implINS0_14default_configELb0EPKiPiPKlPlN2at6native12_GLOBAL__N_18offset_tEEE10hipError_tPvRmT1_PNSt15iterator_traitsISY_E10value_typeET2_T3_PNSZ_IS14_E10value_typeET4_jRbjT5_S1A_jjP12ihipStream_tbEUljE_EEESV_SW_SX_S14_S18_S1A_T6_T7_T9_mT8_S1C_bDpT10_ENKUlT_T0_E_clISt17integral_constantIbLb0EES1O_IbLb1EEEEDaS1K_S1L_EUlS1K_E_NS1_11comp_targetILNS1_3genE4ELNS1_11target_archE910ELNS1_3gpuE8ELNS1_3repE0EEENS1_30default_config_static_selectorELNS0_4arch9wavefront6targetE0EEEvSY_
    .private_segment_fixed_size: 0
    .sgpr_count:     0
    .sgpr_spill_count: 0
    .symbol:         _ZN7rocprim17ROCPRIM_400000_NS6detail17trampoline_kernelINS0_13select_configILj256ELj13ELNS0_17block_load_methodE3ELS4_3ELS4_3ELNS0_20block_scan_algorithmE0ELj4294967295EEENS1_25partition_config_selectorILNS1_17partition_subalgoE3EjNS0_10empty_typeEbEEZZNS1_14partition_implILS8_3ELb0ES6_jNS0_17counting_iteratorIjlEEPS9_SE_NS0_5tupleIJPjSE_EEENSF_IJSE_SE_EEES9_SG_JZNS1_25segmented_radix_sort_implINS0_14default_configELb0EPKiPiPKlPlN2at6native12_GLOBAL__N_18offset_tEEE10hipError_tPvRmT1_PNSt15iterator_traitsISY_E10value_typeET2_T3_PNSZ_IS14_E10value_typeET4_jRbjT5_S1A_jjP12ihipStream_tbEUljE_EEESV_SW_SX_S14_S18_S1A_T6_T7_T9_mT8_S1C_bDpT10_ENKUlT_T0_E_clISt17integral_constantIbLb0EES1O_IbLb1EEEEDaS1K_S1L_EUlS1K_E_NS1_11comp_targetILNS1_3genE4ELNS1_11target_archE910ELNS1_3gpuE8ELNS1_3repE0EEENS1_30default_config_static_selectorELNS0_4arch9wavefront6targetE0EEEvSY_.kd
    .uniform_work_group_size: 1
    .uses_dynamic_stack: false
    .vgpr_count:     0
    .vgpr_spill_count: 0
    .wavefront_size: 32
    .workgroup_processor_mode: 1
  - .args:
      - .offset:         0
        .size:           152
        .value_kind:     by_value
    .group_segment_fixed_size: 0
    .kernarg_segment_align: 8
    .kernarg_segment_size: 152
    .language:       OpenCL C
    .language_version:
      - 2
      - 0
    .max_flat_workgroup_size: 256
    .name:           _ZN7rocprim17ROCPRIM_400000_NS6detail17trampoline_kernelINS0_13select_configILj256ELj13ELNS0_17block_load_methodE3ELS4_3ELS4_3ELNS0_20block_scan_algorithmE0ELj4294967295EEENS1_25partition_config_selectorILNS1_17partition_subalgoE3EjNS0_10empty_typeEbEEZZNS1_14partition_implILS8_3ELb0ES6_jNS0_17counting_iteratorIjlEEPS9_SE_NS0_5tupleIJPjSE_EEENSF_IJSE_SE_EEES9_SG_JZNS1_25segmented_radix_sort_implINS0_14default_configELb0EPKiPiPKlPlN2at6native12_GLOBAL__N_18offset_tEEE10hipError_tPvRmT1_PNSt15iterator_traitsISY_E10value_typeET2_T3_PNSZ_IS14_E10value_typeET4_jRbjT5_S1A_jjP12ihipStream_tbEUljE_EEESV_SW_SX_S14_S18_S1A_T6_T7_T9_mT8_S1C_bDpT10_ENKUlT_T0_E_clISt17integral_constantIbLb0EES1O_IbLb1EEEEDaS1K_S1L_EUlS1K_E_NS1_11comp_targetILNS1_3genE3ELNS1_11target_archE908ELNS1_3gpuE7ELNS1_3repE0EEENS1_30default_config_static_selectorELNS0_4arch9wavefront6targetE0EEEvSY_
    .private_segment_fixed_size: 0
    .sgpr_count:     0
    .sgpr_spill_count: 0
    .symbol:         _ZN7rocprim17ROCPRIM_400000_NS6detail17trampoline_kernelINS0_13select_configILj256ELj13ELNS0_17block_load_methodE3ELS4_3ELS4_3ELNS0_20block_scan_algorithmE0ELj4294967295EEENS1_25partition_config_selectorILNS1_17partition_subalgoE3EjNS0_10empty_typeEbEEZZNS1_14partition_implILS8_3ELb0ES6_jNS0_17counting_iteratorIjlEEPS9_SE_NS0_5tupleIJPjSE_EEENSF_IJSE_SE_EEES9_SG_JZNS1_25segmented_radix_sort_implINS0_14default_configELb0EPKiPiPKlPlN2at6native12_GLOBAL__N_18offset_tEEE10hipError_tPvRmT1_PNSt15iterator_traitsISY_E10value_typeET2_T3_PNSZ_IS14_E10value_typeET4_jRbjT5_S1A_jjP12ihipStream_tbEUljE_EEESV_SW_SX_S14_S18_S1A_T6_T7_T9_mT8_S1C_bDpT10_ENKUlT_T0_E_clISt17integral_constantIbLb0EES1O_IbLb1EEEEDaS1K_S1L_EUlS1K_E_NS1_11comp_targetILNS1_3genE3ELNS1_11target_archE908ELNS1_3gpuE7ELNS1_3repE0EEENS1_30default_config_static_selectorELNS0_4arch9wavefront6targetE0EEEvSY_.kd
    .uniform_work_group_size: 1
    .uses_dynamic_stack: false
    .vgpr_count:     0
    .vgpr_spill_count: 0
    .wavefront_size: 32
    .workgroup_processor_mode: 1
  - .args:
      - .offset:         0
        .size:           152
        .value_kind:     by_value
    .group_segment_fixed_size: 0
    .kernarg_segment_align: 8
    .kernarg_segment_size: 152
    .language:       OpenCL C
    .language_version:
      - 2
      - 0
    .max_flat_workgroup_size: 256
    .name:           _ZN7rocprim17ROCPRIM_400000_NS6detail17trampoline_kernelINS0_13select_configILj256ELj13ELNS0_17block_load_methodE3ELS4_3ELS4_3ELNS0_20block_scan_algorithmE0ELj4294967295EEENS1_25partition_config_selectorILNS1_17partition_subalgoE3EjNS0_10empty_typeEbEEZZNS1_14partition_implILS8_3ELb0ES6_jNS0_17counting_iteratorIjlEEPS9_SE_NS0_5tupleIJPjSE_EEENSF_IJSE_SE_EEES9_SG_JZNS1_25segmented_radix_sort_implINS0_14default_configELb0EPKiPiPKlPlN2at6native12_GLOBAL__N_18offset_tEEE10hipError_tPvRmT1_PNSt15iterator_traitsISY_E10value_typeET2_T3_PNSZ_IS14_E10value_typeET4_jRbjT5_S1A_jjP12ihipStream_tbEUljE_EEESV_SW_SX_S14_S18_S1A_T6_T7_T9_mT8_S1C_bDpT10_ENKUlT_T0_E_clISt17integral_constantIbLb0EES1O_IbLb1EEEEDaS1K_S1L_EUlS1K_E_NS1_11comp_targetILNS1_3genE2ELNS1_11target_archE906ELNS1_3gpuE6ELNS1_3repE0EEENS1_30default_config_static_selectorELNS0_4arch9wavefront6targetE0EEEvSY_
    .private_segment_fixed_size: 0
    .sgpr_count:     0
    .sgpr_spill_count: 0
    .symbol:         _ZN7rocprim17ROCPRIM_400000_NS6detail17trampoline_kernelINS0_13select_configILj256ELj13ELNS0_17block_load_methodE3ELS4_3ELS4_3ELNS0_20block_scan_algorithmE0ELj4294967295EEENS1_25partition_config_selectorILNS1_17partition_subalgoE3EjNS0_10empty_typeEbEEZZNS1_14partition_implILS8_3ELb0ES6_jNS0_17counting_iteratorIjlEEPS9_SE_NS0_5tupleIJPjSE_EEENSF_IJSE_SE_EEES9_SG_JZNS1_25segmented_radix_sort_implINS0_14default_configELb0EPKiPiPKlPlN2at6native12_GLOBAL__N_18offset_tEEE10hipError_tPvRmT1_PNSt15iterator_traitsISY_E10value_typeET2_T3_PNSZ_IS14_E10value_typeET4_jRbjT5_S1A_jjP12ihipStream_tbEUljE_EEESV_SW_SX_S14_S18_S1A_T6_T7_T9_mT8_S1C_bDpT10_ENKUlT_T0_E_clISt17integral_constantIbLb0EES1O_IbLb1EEEEDaS1K_S1L_EUlS1K_E_NS1_11comp_targetILNS1_3genE2ELNS1_11target_archE906ELNS1_3gpuE6ELNS1_3repE0EEENS1_30default_config_static_selectorELNS0_4arch9wavefront6targetE0EEEvSY_.kd
    .uniform_work_group_size: 1
    .uses_dynamic_stack: false
    .vgpr_count:     0
    .vgpr_spill_count: 0
    .wavefront_size: 32
    .workgroup_processor_mode: 1
  - .args:
      - .offset:         0
        .size:           152
        .value_kind:     by_value
    .group_segment_fixed_size: 0
    .kernarg_segment_align: 8
    .kernarg_segment_size: 152
    .language:       OpenCL C
    .language_version:
      - 2
      - 0
    .max_flat_workgroup_size: 256
    .name:           _ZN7rocprim17ROCPRIM_400000_NS6detail17trampoline_kernelINS0_13select_configILj256ELj13ELNS0_17block_load_methodE3ELS4_3ELS4_3ELNS0_20block_scan_algorithmE0ELj4294967295EEENS1_25partition_config_selectorILNS1_17partition_subalgoE3EjNS0_10empty_typeEbEEZZNS1_14partition_implILS8_3ELb0ES6_jNS0_17counting_iteratorIjlEEPS9_SE_NS0_5tupleIJPjSE_EEENSF_IJSE_SE_EEES9_SG_JZNS1_25segmented_radix_sort_implINS0_14default_configELb0EPKiPiPKlPlN2at6native12_GLOBAL__N_18offset_tEEE10hipError_tPvRmT1_PNSt15iterator_traitsISY_E10value_typeET2_T3_PNSZ_IS14_E10value_typeET4_jRbjT5_S1A_jjP12ihipStream_tbEUljE_EEESV_SW_SX_S14_S18_S1A_T6_T7_T9_mT8_S1C_bDpT10_ENKUlT_T0_E_clISt17integral_constantIbLb0EES1O_IbLb1EEEEDaS1K_S1L_EUlS1K_E_NS1_11comp_targetILNS1_3genE10ELNS1_11target_archE1200ELNS1_3gpuE4ELNS1_3repE0EEENS1_30default_config_static_selectorELNS0_4arch9wavefront6targetE0EEEvSY_
    .private_segment_fixed_size: 0
    .sgpr_count:     0
    .sgpr_spill_count: 0
    .symbol:         _ZN7rocprim17ROCPRIM_400000_NS6detail17trampoline_kernelINS0_13select_configILj256ELj13ELNS0_17block_load_methodE3ELS4_3ELS4_3ELNS0_20block_scan_algorithmE0ELj4294967295EEENS1_25partition_config_selectorILNS1_17partition_subalgoE3EjNS0_10empty_typeEbEEZZNS1_14partition_implILS8_3ELb0ES6_jNS0_17counting_iteratorIjlEEPS9_SE_NS0_5tupleIJPjSE_EEENSF_IJSE_SE_EEES9_SG_JZNS1_25segmented_radix_sort_implINS0_14default_configELb0EPKiPiPKlPlN2at6native12_GLOBAL__N_18offset_tEEE10hipError_tPvRmT1_PNSt15iterator_traitsISY_E10value_typeET2_T3_PNSZ_IS14_E10value_typeET4_jRbjT5_S1A_jjP12ihipStream_tbEUljE_EEESV_SW_SX_S14_S18_S1A_T6_T7_T9_mT8_S1C_bDpT10_ENKUlT_T0_E_clISt17integral_constantIbLb0EES1O_IbLb1EEEEDaS1K_S1L_EUlS1K_E_NS1_11comp_targetILNS1_3genE10ELNS1_11target_archE1200ELNS1_3gpuE4ELNS1_3repE0EEENS1_30default_config_static_selectorELNS0_4arch9wavefront6targetE0EEEvSY_.kd
    .uniform_work_group_size: 1
    .uses_dynamic_stack: false
    .vgpr_count:     0
    .vgpr_spill_count: 0
    .wavefront_size: 32
    .workgroup_processor_mode: 1
  - .args:
      - .offset:         0
        .size:           152
        .value_kind:     by_value
    .group_segment_fixed_size: 13324
    .kernarg_segment_align: 8
    .kernarg_segment_size: 152
    .language:       OpenCL C
    .language_version:
      - 2
      - 0
    .max_flat_workgroup_size: 256
    .name:           _ZN7rocprim17ROCPRIM_400000_NS6detail17trampoline_kernelINS0_13select_configILj256ELj13ELNS0_17block_load_methodE3ELS4_3ELS4_3ELNS0_20block_scan_algorithmE0ELj4294967295EEENS1_25partition_config_selectorILNS1_17partition_subalgoE3EjNS0_10empty_typeEbEEZZNS1_14partition_implILS8_3ELb0ES6_jNS0_17counting_iteratorIjlEEPS9_SE_NS0_5tupleIJPjSE_EEENSF_IJSE_SE_EEES9_SG_JZNS1_25segmented_radix_sort_implINS0_14default_configELb0EPKiPiPKlPlN2at6native12_GLOBAL__N_18offset_tEEE10hipError_tPvRmT1_PNSt15iterator_traitsISY_E10value_typeET2_T3_PNSZ_IS14_E10value_typeET4_jRbjT5_S1A_jjP12ihipStream_tbEUljE_EEESV_SW_SX_S14_S18_S1A_T6_T7_T9_mT8_S1C_bDpT10_ENKUlT_T0_E_clISt17integral_constantIbLb0EES1O_IbLb1EEEEDaS1K_S1L_EUlS1K_E_NS1_11comp_targetILNS1_3genE9ELNS1_11target_archE1100ELNS1_3gpuE3ELNS1_3repE0EEENS1_30default_config_static_selectorELNS0_4arch9wavefront6targetE0EEEvSY_
    .private_segment_fixed_size: 0
    .sgpr_count:     28
    .sgpr_spill_count: 0
    .symbol:         _ZN7rocprim17ROCPRIM_400000_NS6detail17trampoline_kernelINS0_13select_configILj256ELj13ELNS0_17block_load_methodE3ELS4_3ELS4_3ELNS0_20block_scan_algorithmE0ELj4294967295EEENS1_25partition_config_selectorILNS1_17partition_subalgoE3EjNS0_10empty_typeEbEEZZNS1_14partition_implILS8_3ELb0ES6_jNS0_17counting_iteratorIjlEEPS9_SE_NS0_5tupleIJPjSE_EEENSF_IJSE_SE_EEES9_SG_JZNS1_25segmented_radix_sort_implINS0_14default_configELb0EPKiPiPKlPlN2at6native12_GLOBAL__N_18offset_tEEE10hipError_tPvRmT1_PNSt15iterator_traitsISY_E10value_typeET2_T3_PNSZ_IS14_E10value_typeET4_jRbjT5_S1A_jjP12ihipStream_tbEUljE_EEESV_SW_SX_S14_S18_S1A_T6_T7_T9_mT8_S1C_bDpT10_ENKUlT_T0_E_clISt17integral_constantIbLb0EES1O_IbLb1EEEEDaS1K_S1L_EUlS1K_E_NS1_11comp_targetILNS1_3genE9ELNS1_11target_archE1100ELNS1_3gpuE3ELNS1_3repE0EEENS1_30default_config_static_selectorELNS0_4arch9wavefront6targetE0EEEvSY_.kd
    .uniform_work_group_size: 1
    .uses_dynamic_stack: false
    .vgpr_count:     60
    .vgpr_spill_count: 0
    .wavefront_size: 32
    .workgroup_processor_mode: 1
  - .args:
      - .offset:         0
        .size:           152
        .value_kind:     by_value
    .group_segment_fixed_size: 0
    .kernarg_segment_align: 8
    .kernarg_segment_size: 152
    .language:       OpenCL C
    .language_version:
      - 2
      - 0
    .max_flat_workgroup_size: 256
    .name:           _ZN7rocprim17ROCPRIM_400000_NS6detail17trampoline_kernelINS0_13select_configILj256ELj13ELNS0_17block_load_methodE3ELS4_3ELS4_3ELNS0_20block_scan_algorithmE0ELj4294967295EEENS1_25partition_config_selectorILNS1_17partition_subalgoE3EjNS0_10empty_typeEbEEZZNS1_14partition_implILS8_3ELb0ES6_jNS0_17counting_iteratorIjlEEPS9_SE_NS0_5tupleIJPjSE_EEENSF_IJSE_SE_EEES9_SG_JZNS1_25segmented_radix_sort_implINS0_14default_configELb0EPKiPiPKlPlN2at6native12_GLOBAL__N_18offset_tEEE10hipError_tPvRmT1_PNSt15iterator_traitsISY_E10value_typeET2_T3_PNSZ_IS14_E10value_typeET4_jRbjT5_S1A_jjP12ihipStream_tbEUljE_EEESV_SW_SX_S14_S18_S1A_T6_T7_T9_mT8_S1C_bDpT10_ENKUlT_T0_E_clISt17integral_constantIbLb0EES1O_IbLb1EEEEDaS1K_S1L_EUlS1K_E_NS1_11comp_targetILNS1_3genE8ELNS1_11target_archE1030ELNS1_3gpuE2ELNS1_3repE0EEENS1_30default_config_static_selectorELNS0_4arch9wavefront6targetE0EEEvSY_
    .private_segment_fixed_size: 0
    .sgpr_count:     0
    .sgpr_spill_count: 0
    .symbol:         _ZN7rocprim17ROCPRIM_400000_NS6detail17trampoline_kernelINS0_13select_configILj256ELj13ELNS0_17block_load_methodE3ELS4_3ELS4_3ELNS0_20block_scan_algorithmE0ELj4294967295EEENS1_25partition_config_selectorILNS1_17partition_subalgoE3EjNS0_10empty_typeEbEEZZNS1_14partition_implILS8_3ELb0ES6_jNS0_17counting_iteratorIjlEEPS9_SE_NS0_5tupleIJPjSE_EEENSF_IJSE_SE_EEES9_SG_JZNS1_25segmented_radix_sort_implINS0_14default_configELb0EPKiPiPKlPlN2at6native12_GLOBAL__N_18offset_tEEE10hipError_tPvRmT1_PNSt15iterator_traitsISY_E10value_typeET2_T3_PNSZ_IS14_E10value_typeET4_jRbjT5_S1A_jjP12ihipStream_tbEUljE_EEESV_SW_SX_S14_S18_S1A_T6_T7_T9_mT8_S1C_bDpT10_ENKUlT_T0_E_clISt17integral_constantIbLb0EES1O_IbLb1EEEEDaS1K_S1L_EUlS1K_E_NS1_11comp_targetILNS1_3genE8ELNS1_11target_archE1030ELNS1_3gpuE2ELNS1_3repE0EEENS1_30default_config_static_selectorELNS0_4arch9wavefront6targetE0EEEvSY_.kd
    .uniform_work_group_size: 1
    .uses_dynamic_stack: false
    .vgpr_count:     0
    .vgpr_spill_count: 0
    .wavefront_size: 32
    .workgroup_processor_mode: 1
  - .args:
      - .offset:         0
        .size:           96
        .value_kind:     by_value
    .group_segment_fixed_size: 0
    .kernarg_segment_align: 8
    .kernarg_segment_size: 96
    .language:       OpenCL C
    .language_version:
      - 2
      - 0
    .max_flat_workgroup_size: 256
    .name:           _ZN7rocprim17ROCPRIM_400000_NS6detail17trampoline_kernelINS0_14default_configENS1_36segmented_radix_sort_config_selectorIilEEZNS1_25segmented_radix_sort_implIS3_Lb0EPKiPiPKlPlN2at6native12_GLOBAL__N_18offset_tEEE10hipError_tPvRmT1_PNSt15iterator_traitsISK_E10value_typeET2_T3_PNSL_ISQ_E10value_typeET4_jRbjT5_SW_jjP12ihipStream_tbEUlT_E_NS1_11comp_targetILNS1_3genE0ELNS1_11target_archE4294967295ELNS1_3gpuE0ELNS1_3repE0EEENS1_30default_config_static_selectorELNS0_4arch9wavefront6targetE0EEEvSK_
    .private_segment_fixed_size: 0
    .sgpr_count:     0
    .sgpr_spill_count: 0
    .symbol:         _ZN7rocprim17ROCPRIM_400000_NS6detail17trampoline_kernelINS0_14default_configENS1_36segmented_radix_sort_config_selectorIilEEZNS1_25segmented_radix_sort_implIS3_Lb0EPKiPiPKlPlN2at6native12_GLOBAL__N_18offset_tEEE10hipError_tPvRmT1_PNSt15iterator_traitsISK_E10value_typeET2_T3_PNSL_ISQ_E10value_typeET4_jRbjT5_SW_jjP12ihipStream_tbEUlT_E_NS1_11comp_targetILNS1_3genE0ELNS1_11target_archE4294967295ELNS1_3gpuE0ELNS1_3repE0EEENS1_30default_config_static_selectorELNS0_4arch9wavefront6targetE0EEEvSK_.kd
    .uniform_work_group_size: 1
    .uses_dynamic_stack: false
    .vgpr_count:     0
    .vgpr_spill_count: 0
    .wavefront_size: 32
    .workgroup_processor_mode: 1
  - .args:
      - .offset:         0
        .size:           96
        .value_kind:     by_value
    .group_segment_fixed_size: 0
    .kernarg_segment_align: 8
    .kernarg_segment_size: 96
    .language:       OpenCL C
    .language_version:
      - 2
      - 0
    .max_flat_workgroup_size: 256
    .name:           _ZN7rocprim17ROCPRIM_400000_NS6detail17trampoline_kernelINS0_14default_configENS1_36segmented_radix_sort_config_selectorIilEEZNS1_25segmented_radix_sort_implIS3_Lb0EPKiPiPKlPlN2at6native12_GLOBAL__N_18offset_tEEE10hipError_tPvRmT1_PNSt15iterator_traitsISK_E10value_typeET2_T3_PNSL_ISQ_E10value_typeET4_jRbjT5_SW_jjP12ihipStream_tbEUlT_E_NS1_11comp_targetILNS1_3genE5ELNS1_11target_archE942ELNS1_3gpuE9ELNS1_3repE0EEENS1_30default_config_static_selectorELNS0_4arch9wavefront6targetE0EEEvSK_
    .private_segment_fixed_size: 0
    .sgpr_count:     0
    .sgpr_spill_count: 0
    .symbol:         _ZN7rocprim17ROCPRIM_400000_NS6detail17trampoline_kernelINS0_14default_configENS1_36segmented_radix_sort_config_selectorIilEEZNS1_25segmented_radix_sort_implIS3_Lb0EPKiPiPKlPlN2at6native12_GLOBAL__N_18offset_tEEE10hipError_tPvRmT1_PNSt15iterator_traitsISK_E10value_typeET2_T3_PNSL_ISQ_E10value_typeET4_jRbjT5_SW_jjP12ihipStream_tbEUlT_E_NS1_11comp_targetILNS1_3genE5ELNS1_11target_archE942ELNS1_3gpuE9ELNS1_3repE0EEENS1_30default_config_static_selectorELNS0_4arch9wavefront6targetE0EEEvSK_.kd
    .uniform_work_group_size: 1
    .uses_dynamic_stack: false
    .vgpr_count:     0
    .vgpr_spill_count: 0
    .wavefront_size: 32
    .workgroup_processor_mode: 1
  - .args:
      - .offset:         0
        .size:           96
        .value_kind:     by_value
    .group_segment_fixed_size: 0
    .kernarg_segment_align: 8
    .kernarg_segment_size: 96
    .language:       OpenCL C
    .language_version:
      - 2
      - 0
    .max_flat_workgroup_size: 256
    .name:           _ZN7rocprim17ROCPRIM_400000_NS6detail17trampoline_kernelINS0_14default_configENS1_36segmented_radix_sort_config_selectorIilEEZNS1_25segmented_radix_sort_implIS3_Lb0EPKiPiPKlPlN2at6native12_GLOBAL__N_18offset_tEEE10hipError_tPvRmT1_PNSt15iterator_traitsISK_E10value_typeET2_T3_PNSL_ISQ_E10value_typeET4_jRbjT5_SW_jjP12ihipStream_tbEUlT_E_NS1_11comp_targetILNS1_3genE4ELNS1_11target_archE910ELNS1_3gpuE8ELNS1_3repE0EEENS1_30default_config_static_selectorELNS0_4arch9wavefront6targetE0EEEvSK_
    .private_segment_fixed_size: 0
    .sgpr_count:     0
    .sgpr_spill_count: 0
    .symbol:         _ZN7rocprim17ROCPRIM_400000_NS6detail17trampoline_kernelINS0_14default_configENS1_36segmented_radix_sort_config_selectorIilEEZNS1_25segmented_radix_sort_implIS3_Lb0EPKiPiPKlPlN2at6native12_GLOBAL__N_18offset_tEEE10hipError_tPvRmT1_PNSt15iterator_traitsISK_E10value_typeET2_T3_PNSL_ISQ_E10value_typeET4_jRbjT5_SW_jjP12ihipStream_tbEUlT_E_NS1_11comp_targetILNS1_3genE4ELNS1_11target_archE910ELNS1_3gpuE8ELNS1_3repE0EEENS1_30default_config_static_selectorELNS0_4arch9wavefront6targetE0EEEvSK_.kd
    .uniform_work_group_size: 1
    .uses_dynamic_stack: false
    .vgpr_count:     0
    .vgpr_spill_count: 0
    .wavefront_size: 32
    .workgroup_processor_mode: 1
  - .args:
      - .offset:         0
        .size:           96
        .value_kind:     by_value
    .group_segment_fixed_size: 0
    .kernarg_segment_align: 8
    .kernarg_segment_size: 96
    .language:       OpenCL C
    .language_version:
      - 2
      - 0
    .max_flat_workgroup_size: 256
    .name:           _ZN7rocprim17ROCPRIM_400000_NS6detail17trampoline_kernelINS0_14default_configENS1_36segmented_radix_sort_config_selectorIilEEZNS1_25segmented_radix_sort_implIS3_Lb0EPKiPiPKlPlN2at6native12_GLOBAL__N_18offset_tEEE10hipError_tPvRmT1_PNSt15iterator_traitsISK_E10value_typeET2_T3_PNSL_ISQ_E10value_typeET4_jRbjT5_SW_jjP12ihipStream_tbEUlT_E_NS1_11comp_targetILNS1_3genE3ELNS1_11target_archE908ELNS1_3gpuE7ELNS1_3repE0EEENS1_30default_config_static_selectorELNS0_4arch9wavefront6targetE0EEEvSK_
    .private_segment_fixed_size: 0
    .sgpr_count:     0
    .sgpr_spill_count: 0
    .symbol:         _ZN7rocprim17ROCPRIM_400000_NS6detail17trampoline_kernelINS0_14default_configENS1_36segmented_radix_sort_config_selectorIilEEZNS1_25segmented_radix_sort_implIS3_Lb0EPKiPiPKlPlN2at6native12_GLOBAL__N_18offset_tEEE10hipError_tPvRmT1_PNSt15iterator_traitsISK_E10value_typeET2_T3_PNSL_ISQ_E10value_typeET4_jRbjT5_SW_jjP12ihipStream_tbEUlT_E_NS1_11comp_targetILNS1_3genE3ELNS1_11target_archE908ELNS1_3gpuE7ELNS1_3repE0EEENS1_30default_config_static_selectorELNS0_4arch9wavefront6targetE0EEEvSK_.kd
    .uniform_work_group_size: 1
    .uses_dynamic_stack: false
    .vgpr_count:     0
    .vgpr_spill_count: 0
    .wavefront_size: 32
    .workgroup_processor_mode: 1
  - .args:
      - .offset:         0
        .size:           96
        .value_kind:     by_value
    .group_segment_fixed_size: 0
    .kernarg_segment_align: 8
    .kernarg_segment_size: 96
    .language:       OpenCL C
    .language_version:
      - 2
      - 0
    .max_flat_workgroup_size: 256
    .name:           _ZN7rocprim17ROCPRIM_400000_NS6detail17trampoline_kernelINS0_14default_configENS1_36segmented_radix_sort_config_selectorIilEEZNS1_25segmented_radix_sort_implIS3_Lb0EPKiPiPKlPlN2at6native12_GLOBAL__N_18offset_tEEE10hipError_tPvRmT1_PNSt15iterator_traitsISK_E10value_typeET2_T3_PNSL_ISQ_E10value_typeET4_jRbjT5_SW_jjP12ihipStream_tbEUlT_E_NS1_11comp_targetILNS1_3genE2ELNS1_11target_archE906ELNS1_3gpuE6ELNS1_3repE0EEENS1_30default_config_static_selectorELNS0_4arch9wavefront6targetE0EEEvSK_
    .private_segment_fixed_size: 0
    .sgpr_count:     0
    .sgpr_spill_count: 0
    .symbol:         _ZN7rocprim17ROCPRIM_400000_NS6detail17trampoline_kernelINS0_14default_configENS1_36segmented_radix_sort_config_selectorIilEEZNS1_25segmented_radix_sort_implIS3_Lb0EPKiPiPKlPlN2at6native12_GLOBAL__N_18offset_tEEE10hipError_tPvRmT1_PNSt15iterator_traitsISK_E10value_typeET2_T3_PNSL_ISQ_E10value_typeET4_jRbjT5_SW_jjP12ihipStream_tbEUlT_E_NS1_11comp_targetILNS1_3genE2ELNS1_11target_archE906ELNS1_3gpuE6ELNS1_3repE0EEENS1_30default_config_static_selectorELNS0_4arch9wavefront6targetE0EEEvSK_.kd
    .uniform_work_group_size: 1
    .uses_dynamic_stack: false
    .vgpr_count:     0
    .vgpr_spill_count: 0
    .wavefront_size: 32
    .workgroup_processor_mode: 1
  - .args:
      - .offset:         0
        .size:           96
        .value_kind:     by_value
    .group_segment_fixed_size: 0
    .kernarg_segment_align: 8
    .kernarg_segment_size: 96
    .language:       OpenCL C
    .language_version:
      - 2
      - 0
    .max_flat_workgroup_size: 256
    .name:           _ZN7rocprim17ROCPRIM_400000_NS6detail17trampoline_kernelINS0_14default_configENS1_36segmented_radix_sort_config_selectorIilEEZNS1_25segmented_radix_sort_implIS3_Lb0EPKiPiPKlPlN2at6native12_GLOBAL__N_18offset_tEEE10hipError_tPvRmT1_PNSt15iterator_traitsISK_E10value_typeET2_T3_PNSL_ISQ_E10value_typeET4_jRbjT5_SW_jjP12ihipStream_tbEUlT_E_NS1_11comp_targetILNS1_3genE10ELNS1_11target_archE1201ELNS1_3gpuE5ELNS1_3repE0EEENS1_30default_config_static_selectorELNS0_4arch9wavefront6targetE0EEEvSK_
    .private_segment_fixed_size: 0
    .sgpr_count:     0
    .sgpr_spill_count: 0
    .symbol:         _ZN7rocprim17ROCPRIM_400000_NS6detail17trampoline_kernelINS0_14default_configENS1_36segmented_radix_sort_config_selectorIilEEZNS1_25segmented_radix_sort_implIS3_Lb0EPKiPiPKlPlN2at6native12_GLOBAL__N_18offset_tEEE10hipError_tPvRmT1_PNSt15iterator_traitsISK_E10value_typeET2_T3_PNSL_ISQ_E10value_typeET4_jRbjT5_SW_jjP12ihipStream_tbEUlT_E_NS1_11comp_targetILNS1_3genE10ELNS1_11target_archE1201ELNS1_3gpuE5ELNS1_3repE0EEENS1_30default_config_static_selectorELNS0_4arch9wavefront6targetE0EEEvSK_.kd
    .uniform_work_group_size: 1
    .uses_dynamic_stack: false
    .vgpr_count:     0
    .vgpr_spill_count: 0
    .wavefront_size: 32
    .workgroup_processor_mode: 1
  - .args:
      - .offset:         0
        .size:           96
        .value_kind:     by_value
    .group_segment_fixed_size: 0
    .kernarg_segment_align: 8
    .kernarg_segment_size: 96
    .language:       OpenCL C
    .language_version:
      - 2
      - 0
    .max_flat_workgroup_size: 128
    .name:           _ZN7rocprim17ROCPRIM_400000_NS6detail17trampoline_kernelINS0_14default_configENS1_36segmented_radix_sort_config_selectorIilEEZNS1_25segmented_radix_sort_implIS3_Lb0EPKiPiPKlPlN2at6native12_GLOBAL__N_18offset_tEEE10hipError_tPvRmT1_PNSt15iterator_traitsISK_E10value_typeET2_T3_PNSL_ISQ_E10value_typeET4_jRbjT5_SW_jjP12ihipStream_tbEUlT_E_NS1_11comp_targetILNS1_3genE10ELNS1_11target_archE1200ELNS1_3gpuE4ELNS1_3repE0EEENS1_30default_config_static_selectorELNS0_4arch9wavefront6targetE0EEEvSK_
    .private_segment_fixed_size: 0
    .sgpr_count:     0
    .sgpr_spill_count: 0
    .symbol:         _ZN7rocprim17ROCPRIM_400000_NS6detail17trampoline_kernelINS0_14default_configENS1_36segmented_radix_sort_config_selectorIilEEZNS1_25segmented_radix_sort_implIS3_Lb0EPKiPiPKlPlN2at6native12_GLOBAL__N_18offset_tEEE10hipError_tPvRmT1_PNSt15iterator_traitsISK_E10value_typeET2_T3_PNSL_ISQ_E10value_typeET4_jRbjT5_SW_jjP12ihipStream_tbEUlT_E_NS1_11comp_targetILNS1_3genE10ELNS1_11target_archE1200ELNS1_3gpuE4ELNS1_3repE0EEENS1_30default_config_static_selectorELNS0_4arch9wavefront6targetE0EEEvSK_.kd
    .uniform_work_group_size: 1
    .uses_dynamic_stack: false
    .vgpr_count:     0
    .vgpr_spill_count: 0
    .wavefront_size: 32
    .workgroup_processor_mode: 1
  - .args:
      - .offset:         0
        .size:           96
        .value_kind:     by_value
      - .offset:         96
        .size:           4
        .value_kind:     hidden_block_count_x
      - .offset:         100
        .size:           4
        .value_kind:     hidden_block_count_y
      - .offset:         104
        .size:           4
        .value_kind:     hidden_block_count_z
      - .offset:         108
        .size:           2
        .value_kind:     hidden_group_size_x
      - .offset:         110
        .size:           2
        .value_kind:     hidden_group_size_y
      - .offset:         112
        .size:           2
        .value_kind:     hidden_group_size_z
      - .offset:         114
        .size:           2
        .value_kind:     hidden_remainder_x
      - .offset:         116
        .size:           2
        .value_kind:     hidden_remainder_y
      - .offset:         118
        .size:           2
        .value_kind:     hidden_remainder_z
      - .offset:         136
        .size:           8
        .value_kind:     hidden_global_offset_x
      - .offset:         144
        .size:           8
        .value_kind:     hidden_global_offset_y
      - .offset:         152
        .size:           8
        .value_kind:     hidden_global_offset_z
      - .offset:         160
        .size:           2
        .value_kind:     hidden_grid_dims
    .group_segment_fixed_size: 33824
    .kernarg_segment_align: 8
    .kernarg_segment_size: 352
    .language:       OpenCL C
    .language_version:
      - 2
      - 0
    .max_flat_workgroup_size: 256
    .name:           _ZN7rocprim17ROCPRIM_400000_NS6detail17trampoline_kernelINS0_14default_configENS1_36segmented_radix_sort_config_selectorIilEEZNS1_25segmented_radix_sort_implIS3_Lb0EPKiPiPKlPlN2at6native12_GLOBAL__N_18offset_tEEE10hipError_tPvRmT1_PNSt15iterator_traitsISK_E10value_typeET2_T3_PNSL_ISQ_E10value_typeET4_jRbjT5_SW_jjP12ihipStream_tbEUlT_E_NS1_11comp_targetILNS1_3genE9ELNS1_11target_archE1100ELNS1_3gpuE3ELNS1_3repE0EEENS1_30default_config_static_selectorELNS0_4arch9wavefront6targetE0EEEvSK_
    .private_segment_fixed_size: 352
    .sgpr_count:     65
    .sgpr_spill_count: 0
    .symbol:         _ZN7rocprim17ROCPRIM_400000_NS6detail17trampoline_kernelINS0_14default_configENS1_36segmented_radix_sort_config_selectorIilEEZNS1_25segmented_radix_sort_implIS3_Lb0EPKiPiPKlPlN2at6native12_GLOBAL__N_18offset_tEEE10hipError_tPvRmT1_PNSt15iterator_traitsISK_E10value_typeET2_T3_PNSL_ISQ_E10value_typeET4_jRbjT5_SW_jjP12ihipStream_tbEUlT_E_NS1_11comp_targetILNS1_3genE9ELNS1_11target_archE1100ELNS1_3gpuE3ELNS1_3repE0EEENS1_30default_config_static_selectorELNS0_4arch9wavefront6targetE0EEEvSK_.kd
    .uniform_work_group_size: 1
    .uses_dynamic_stack: false
    .vgpr_count:     248
    .vgpr_spill_count: 0
    .wavefront_size: 32
    .workgroup_processor_mode: 1
  - .args:
      - .offset:         0
        .size:           96
        .value_kind:     by_value
    .group_segment_fixed_size: 0
    .kernarg_segment_align: 8
    .kernarg_segment_size: 96
    .language:       OpenCL C
    .language_version:
      - 2
      - 0
    .max_flat_workgroup_size: 256
    .name:           _ZN7rocprim17ROCPRIM_400000_NS6detail17trampoline_kernelINS0_14default_configENS1_36segmented_radix_sort_config_selectorIilEEZNS1_25segmented_radix_sort_implIS3_Lb0EPKiPiPKlPlN2at6native12_GLOBAL__N_18offset_tEEE10hipError_tPvRmT1_PNSt15iterator_traitsISK_E10value_typeET2_T3_PNSL_ISQ_E10value_typeET4_jRbjT5_SW_jjP12ihipStream_tbEUlT_E_NS1_11comp_targetILNS1_3genE8ELNS1_11target_archE1030ELNS1_3gpuE2ELNS1_3repE0EEENS1_30default_config_static_selectorELNS0_4arch9wavefront6targetE0EEEvSK_
    .private_segment_fixed_size: 0
    .sgpr_count:     0
    .sgpr_spill_count: 0
    .symbol:         _ZN7rocprim17ROCPRIM_400000_NS6detail17trampoline_kernelINS0_14default_configENS1_36segmented_radix_sort_config_selectorIilEEZNS1_25segmented_radix_sort_implIS3_Lb0EPKiPiPKlPlN2at6native12_GLOBAL__N_18offset_tEEE10hipError_tPvRmT1_PNSt15iterator_traitsISK_E10value_typeET2_T3_PNSL_ISQ_E10value_typeET4_jRbjT5_SW_jjP12ihipStream_tbEUlT_E_NS1_11comp_targetILNS1_3genE8ELNS1_11target_archE1030ELNS1_3gpuE2ELNS1_3repE0EEENS1_30default_config_static_selectorELNS0_4arch9wavefront6targetE0EEEvSK_.kd
    .uniform_work_group_size: 1
    .uses_dynamic_stack: false
    .vgpr_count:     0
    .vgpr_spill_count: 0
    .wavefront_size: 32
    .workgroup_processor_mode: 1
  - .args:
      - .offset:         0
        .size:           88
        .value_kind:     by_value
    .group_segment_fixed_size: 0
    .kernarg_segment_align: 8
    .kernarg_segment_size: 88
    .language:       OpenCL C
    .language_version:
      - 2
      - 0
    .max_flat_workgroup_size: 256
    .name:           _ZN7rocprim17ROCPRIM_400000_NS6detail17trampoline_kernelINS0_14default_configENS1_36segmented_radix_sort_config_selectorIilEEZNS1_25segmented_radix_sort_implIS3_Lb0EPKiPiPKlPlN2at6native12_GLOBAL__N_18offset_tEEE10hipError_tPvRmT1_PNSt15iterator_traitsISK_E10value_typeET2_T3_PNSL_ISQ_E10value_typeET4_jRbjT5_SW_jjP12ihipStream_tbEUlT_E0_NS1_11comp_targetILNS1_3genE0ELNS1_11target_archE4294967295ELNS1_3gpuE0ELNS1_3repE0EEENS1_60segmented_radix_sort_warp_sort_medium_config_static_selectorELNS0_4arch9wavefront6targetE0EEEvSK_
    .private_segment_fixed_size: 0
    .sgpr_count:     0
    .sgpr_spill_count: 0
    .symbol:         _ZN7rocprim17ROCPRIM_400000_NS6detail17trampoline_kernelINS0_14default_configENS1_36segmented_radix_sort_config_selectorIilEEZNS1_25segmented_radix_sort_implIS3_Lb0EPKiPiPKlPlN2at6native12_GLOBAL__N_18offset_tEEE10hipError_tPvRmT1_PNSt15iterator_traitsISK_E10value_typeET2_T3_PNSL_ISQ_E10value_typeET4_jRbjT5_SW_jjP12ihipStream_tbEUlT_E0_NS1_11comp_targetILNS1_3genE0ELNS1_11target_archE4294967295ELNS1_3gpuE0ELNS1_3repE0EEENS1_60segmented_radix_sort_warp_sort_medium_config_static_selectorELNS0_4arch9wavefront6targetE0EEEvSK_.kd
    .uniform_work_group_size: 1
    .uses_dynamic_stack: false
    .vgpr_count:     0
    .vgpr_spill_count: 0
    .wavefront_size: 32
    .workgroup_processor_mode: 1
  - .args:
      - .offset:         0
        .size:           88
        .value_kind:     by_value
    .group_segment_fixed_size: 0
    .kernarg_segment_align: 8
    .kernarg_segment_size: 88
    .language:       OpenCL C
    .language_version:
      - 2
      - 0
    .max_flat_workgroup_size: 256
    .name:           _ZN7rocprim17ROCPRIM_400000_NS6detail17trampoline_kernelINS0_14default_configENS1_36segmented_radix_sort_config_selectorIilEEZNS1_25segmented_radix_sort_implIS3_Lb0EPKiPiPKlPlN2at6native12_GLOBAL__N_18offset_tEEE10hipError_tPvRmT1_PNSt15iterator_traitsISK_E10value_typeET2_T3_PNSL_ISQ_E10value_typeET4_jRbjT5_SW_jjP12ihipStream_tbEUlT_E0_NS1_11comp_targetILNS1_3genE5ELNS1_11target_archE942ELNS1_3gpuE9ELNS1_3repE0EEENS1_60segmented_radix_sort_warp_sort_medium_config_static_selectorELNS0_4arch9wavefront6targetE0EEEvSK_
    .private_segment_fixed_size: 0
    .sgpr_count:     0
    .sgpr_spill_count: 0
    .symbol:         _ZN7rocprim17ROCPRIM_400000_NS6detail17trampoline_kernelINS0_14default_configENS1_36segmented_radix_sort_config_selectorIilEEZNS1_25segmented_radix_sort_implIS3_Lb0EPKiPiPKlPlN2at6native12_GLOBAL__N_18offset_tEEE10hipError_tPvRmT1_PNSt15iterator_traitsISK_E10value_typeET2_T3_PNSL_ISQ_E10value_typeET4_jRbjT5_SW_jjP12ihipStream_tbEUlT_E0_NS1_11comp_targetILNS1_3genE5ELNS1_11target_archE942ELNS1_3gpuE9ELNS1_3repE0EEENS1_60segmented_radix_sort_warp_sort_medium_config_static_selectorELNS0_4arch9wavefront6targetE0EEEvSK_.kd
    .uniform_work_group_size: 1
    .uses_dynamic_stack: false
    .vgpr_count:     0
    .vgpr_spill_count: 0
    .wavefront_size: 32
    .workgroup_processor_mode: 1
  - .args:
      - .offset:         0
        .size:           88
        .value_kind:     by_value
    .group_segment_fixed_size: 0
    .kernarg_segment_align: 8
    .kernarg_segment_size: 88
    .language:       OpenCL C
    .language_version:
      - 2
      - 0
    .max_flat_workgroup_size: 256
    .name:           _ZN7rocprim17ROCPRIM_400000_NS6detail17trampoline_kernelINS0_14default_configENS1_36segmented_radix_sort_config_selectorIilEEZNS1_25segmented_radix_sort_implIS3_Lb0EPKiPiPKlPlN2at6native12_GLOBAL__N_18offset_tEEE10hipError_tPvRmT1_PNSt15iterator_traitsISK_E10value_typeET2_T3_PNSL_ISQ_E10value_typeET4_jRbjT5_SW_jjP12ihipStream_tbEUlT_E0_NS1_11comp_targetILNS1_3genE4ELNS1_11target_archE910ELNS1_3gpuE8ELNS1_3repE0EEENS1_60segmented_radix_sort_warp_sort_medium_config_static_selectorELNS0_4arch9wavefront6targetE0EEEvSK_
    .private_segment_fixed_size: 0
    .sgpr_count:     0
    .sgpr_spill_count: 0
    .symbol:         _ZN7rocprim17ROCPRIM_400000_NS6detail17trampoline_kernelINS0_14default_configENS1_36segmented_radix_sort_config_selectorIilEEZNS1_25segmented_radix_sort_implIS3_Lb0EPKiPiPKlPlN2at6native12_GLOBAL__N_18offset_tEEE10hipError_tPvRmT1_PNSt15iterator_traitsISK_E10value_typeET2_T3_PNSL_ISQ_E10value_typeET4_jRbjT5_SW_jjP12ihipStream_tbEUlT_E0_NS1_11comp_targetILNS1_3genE4ELNS1_11target_archE910ELNS1_3gpuE8ELNS1_3repE0EEENS1_60segmented_radix_sort_warp_sort_medium_config_static_selectorELNS0_4arch9wavefront6targetE0EEEvSK_.kd
    .uniform_work_group_size: 1
    .uses_dynamic_stack: false
    .vgpr_count:     0
    .vgpr_spill_count: 0
    .wavefront_size: 32
    .workgroup_processor_mode: 1
  - .args:
      - .offset:         0
        .size:           88
        .value_kind:     by_value
    .group_segment_fixed_size: 0
    .kernarg_segment_align: 8
    .kernarg_segment_size: 88
    .language:       OpenCL C
    .language_version:
      - 2
      - 0
    .max_flat_workgroup_size: 256
    .name:           _ZN7rocprim17ROCPRIM_400000_NS6detail17trampoline_kernelINS0_14default_configENS1_36segmented_radix_sort_config_selectorIilEEZNS1_25segmented_radix_sort_implIS3_Lb0EPKiPiPKlPlN2at6native12_GLOBAL__N_18offset_tEEE10hipError_tPvRmT1_PNSt15iterator_traitsISK_E10value_typeET2_T3_PNSL_ISQ_E10value_typeET4_jRbjT5_SW_jjP12ihipStream_tbEUlT_E0_NS1_11comp_targetILNS1_3genE3ELNS1_11target_archE908ELNS1_3gpuE7ELNS1_3repE0EEENS1_60segmented_radix_sort_warp_sort_medium_config_static_selectorELNS0_4arch9wavefront6targetE0EEEvSK_
    .private_segment_fixed_size: 0
    .sgpr_count:     0
    .sgpr_spill_count: 0
    .symbol:         _ZN7rocprim17ROCPRIM_400000_NS6detail17trampoline_kernelINS0_14default_configENS1_36segmented_radix_sort_config_selectorIilEEZNS1_25segmented_radix_sort_implIS3_Lb0EPKiPiPKlPlN2at6native12_GLOBAL__N_18offset_tEEE10hipError_tPvRmT1_PNSt15iterator_traitsISK_E10value_typeET2_T3_PNSL_ISQ_E10value_typeET4_jRbjT5_SW_jjP12ihipStream_tbEUlT_E0_NS1_11comp_targetILNS1_3genE3ELNS1_11target_archE908ELNS1_3gpuE7ELNS1_3repE0EEENS1_60segmented_radix_sort_warp_sort_medium_config_static_selectorELNS0_4arch9wavefront6targetE0EEEvSK_.kd
    .uniform_work_group_size: 1
    .uses_dynamic_stack: false
    .vgpr_count:     0
    .vgpr_spill_count: 0
    .wavefront_size: 32
    .workgroup_processor_mode: 1
  - .args:
      - .offset:         0
        .size:           88
        .value_kind:     by_value
    .group_segment_fixed_size: 0
    .kernarg_segment_align: 8
    .kernarg_segment_size: 88
    .language:       OpenCL C
    .language_version:
      - 2
      - 0
    .max_flat_workgroup_size: 256
    .name:           _ZN7rocprim17ROCPRIM_400000_NS6detail17trampoline_kernelINS0_14default_configENS1_36segmented_radix_sort_config_selectorIilEEZNS1_25segmented_radix_sort_implIS3_Lb0EPKiPiPKlPlN2at6native12_GLOBAL__N_18offset_tEEE10hipError_tPvRmT1_PNSt15iterator_traitsISK_E10value_typeET2_T3_PNSL_ISQ_E10value_typeET4_jRbjT5_SW_jjP12ihipStream_tbEUlT_E0_NS1_11comp_targetILNS1_3genE2ELNS1_11target_archE906ELNS1_3gpuE6ELNS1_3repE0EEENS1_60segmented_radix_sort_warp_sort_medium_config_static_selectorELNS0_4arch9wavefront6targetE0EEEvSK_
    .private_segment_fixed_size: 0
    .sgpr_count:     0
    .sgpr_spill_count: 0
    .symbol:         _ZN7rocprim17ROCPRIM_400000_NS6detail17trampoline_kernelINS0_14default_configENS1_36segmented_radix_sort_config_selectorIilEEZNS1_25segmented_radix_sort_implIS3_Lb0EPKiPiPKlPlN2at6native12_GLOBAL__N_18offset_tEEE10hipError_tPvRmT1_PNSt15iterator_traitsISK_E10value_typeET2_T3_PNSL_ISQ_E10value_typeET4_jRbjT5_SW_jjP12ihipStream_tbEUlT_E0_NS1_11comp_targetILNS1_3genE2ELNS1_11target_archE906ELNS1_3gpuE6ELNS1_3repE0EEENS1_60segmented_radix_sort_warp_sort_medium_config_static_selectorELNS0_4arch9wavefront6targetE0EEEvSK_.kd
    .uniform_work_group_size: 1
    .uses_dynamic_stack: false
    .vgpr_count:     0
    .vgpr_spill_count: 0
    .wavefront_size: 32
    .workgroup_processor_mode: 1
  - .args:
      - .offset:         0
        .size:           88
        .value_kind:     by_value
    .group_segment_fixed_size: 0
    .kernarg_segment_align: 8
    .kernarg_segment_size: 88
    .language:       OpenCL C
    .language_version:
      - 2
      - 0
    .max_flat_workgroup_size: 256
    .name:           _ZN7rocprim17ROCPRIM_400000_NS6detail17trampoline_kernelINS0_14default_configENS1_36segmented_radix_sort_config_selectorIilEEZNS1_25segmented_radix_sort_implIS3_Lb0EPKiPiPKlPlN2at6native12_GLOBAL__N_18offset_tEEE10hipError_tPvRmT1_PNSt15iterator_traitsISK_E10value_typeET2_T3_PNSL_ISQ_E10value_typeET4_jRbjT5_SW_jjP12ihipStream_tbEUlT_E0_NS1_11comp_targetILNS1_3genE10ELNS1_11target_archE1201ELNS1_3gpuE5ELNS1_3repE0EEENS1_60segmented_radix_sort_warp_sort_medium_config_static_selectorELNS0_4arch9wavefront6targetE0EEEvSK_
    .private_segment_fixed_size: 0
    .sgpr_count:     0
    .sgpr_spill_count: 0
    .symbol:         _ZN7rocprim17ROCPRIM_400000_NS6detail17trampoline_kernelINS0_14default_configENS1_36segmented_radix_sort_config_selectorIilEEZNS1_25segmented_radix_sort_implIS3_Lb0EPKiPiPKlPlN2at6native12_GLOBAL__N_18offset_tEEE10hipError_tPvRmT1_PNSt15iterator_traitsISK_E10value_typeET2_T3_PNSL_ISQ_E10value_typeET4_jRbjT5_SW_jjP12ihipStream_tbEUlT_E0_NS1_11comp_targetILNS1_3genE10ELNS1_11target_archE1201ELNS1_3gpuE5ELNS1_3repE0EEENS1_60segmented_radix_sort_warp_sort_medium_config_static_selectorELNS0_4arch9wavefront6targetE0EEEvSK_.kd
    .uniform_work_group_size: 1
    .uses_dynamic_stack: false
    .vgpr_count:     0
    .vgpr_spill_count: 0
    .wavefront_size: 32
    .workgroup_processor_mode: 1
  - .args:
      - .offset:         0
        .size:           88
        .value_kind:     by_value
    .group_segment_fixed_size: 0
    .kernarg_segment_align: 8
    .kernarg_segment_size: 88
    .language:       OpenCL C
    .language_version:
      - 2
      - 0
    .max_flat_workgroup_size: 256
    .name:           _ZN7rocprim17ROCPRIM_400000_NS6detail17trampoline_kernelINS0_14default_configENS1_36segmented_radix_sort_config_selectorIilEEZNS1_25segmented_radix_sort_implIS3_Lb0EPKiPiPKlPlN2at6native12_GLOBAL__N_18offset_tEEE10hipError_tPvRmT1_PNSt15iterator_traitsISK_E10value_typeET2_T3_PNSL_ISQ_E10value_typeET4_jRbjT5_SW_jjP12ihipStream_tbEUlT_E0_NS1_11comp_targetILNS1_3genE10ELNS1_11target_archE1200ELNS1_3gpuE4ELNS1_3repE0EEENS1_60segmented_radix_sort_warp_sort_medium_config_static_selectorELNS0_4arch9wavefront6targetE0EEEvSK_
    .private_segment_fixed_size: 0
    .sgpr_count:     0
    .sgpr_spill_count: 0
    .symbol:         _ZN7rocprim17ROCPRIM_400000_NS6detail17trampoline_kernelINS0_14default_configENS1_36segmented_radix_sort_config_selectorIilEEZNS1_25segmented_radix_sort_implIS3_Lb0EPKiPiPKlPlN2at6native12_GLOBAL__N_18offset_tEEE10hipError_tPvRmT1_PNSt15iterator_traitsISK_E10value_typeET2_T3_PNSL_ISQ_E10value_typeET4_jRbjT5_SW_jjP12ihipStream_tbEUlT_E0_NS1_11comp_targetILNS1_3genE10ELNS1_11target_archE1200ELNS1_3gpuE4ELNS1_3repE0EEENS1_60segmented_radix_sort_warp_sort_medium_config_static_selectorELNS0_4arch9wavefront6targetE0EEEvSK_.kd
    .uniform_work_group_size: 1
    .uses_dynamic_stack: false
    .vgpr_count:     0
    .vgpr_spill_count: 0
    .wavefront_size: 32
    .workgroup_processor_mode: 1
  - .args:
      - .offset:         0
        .size:           88
        .value_kind:     by_value
      - .offset:         88
        .size:           4
        .value_kind:     hidden_block_count_x
      - .offset:         92
        .size:           4
        .value_kind:     hidden_block_count_y
      - .offset:         96
        .size:           4
        .value_kind:     hidden_block_count_z
      - .offset:         100
        .size:           2
        .value_kind:     hidden_group_size_x
      - .offset:         102
        .size:           2
        .value_kind:     hidden_group_size_y
      - .offset:         104
        .size:           2
        .value_kind:     hidden_group_size_z
      - .offset:         106
        .size:           2
        .value_kind:     hidden_remainder_x
      - .offset:         108
        .size:           2
        .value_kind:     hidden_remainder_y
      - .offset:         110
        .size:           2
        .value_kind:     hidden_remainder_z
      - .offset:         128
        .size:           8
        .value_kind:     hidden_global_offset_x
      - .offset:         136
        .size:           8
        .value_kind:     hidden_global_offset_y
      - .offset:         144
        .size:           8
        .value_kind:     hidden_global_offset_z
      - .offset:         152
        .size:           2
        .value_kind:     hidden_grid_dims
    .group_segment_fixed_size: 24576
    .kernarg_segment_align: 8
    .kernarg_segment_size: 344
    .language:       OpenCL C
    .language_version:
      - 2
      - 0
    .max_flat_workgroup_size: 256
    .name:           _ZN7rocprim17ROCPRIM_400000_NS6detail17trampoline_kernelINS0_14default_configENS1_36segmented_radix_sort_config_selectorIilEEZNS1_25segmented_radix_sort_implIS3_Lb0EPKiPiPKlPlN2at6native12_GLOBAL__N_18offset_tEEE10hipError_tPvRmT1_PNSt15iterator_traitsISK_E10value_typeET2_T3_PNSL_ISQ_E10value_typeET4_jRbjT5_SW_jjP12ihipStream_tbEUlT_E0_NS1_11comp_targetILNS1_3genE9ELNS1_11target_archE1100ELNS1_3gpuE3ELNS1_3repE0EEENS1_60segmented_radix_sort_warp_sort_medium_config_static_selectorELNS0_4arch9wavefront6targetE0EEEvSK_
    .private_segment_fixed_size: 0
    .sgpr_count:     46
    .sgpr_spill_count: 0
    .symbol:         _ZN7rocprim17ROCPRIM_400000_NS6detail17trampoline_kernelINS0_14default_configENS1_36segmented_radix_sort_config_selectorIilEEZNS1_25segmented_radix_sort_implIS3_Lb0EPKiPiPKlPlN2at6native12_GLOBAL__N_18offset_tEEE10hipError_tPvRmT1_PNSt15iterator_traitsISK_E10value_typeET2_T3_PNSL_ISQ_E10value_typeET4_jRbjT5_SW_jjP12ihipStream_tbEUlT_E0_NS1_11comp_targetILNS1_3genE9ELNS1_11target_archE1100ELNS1_3gpuE3ELNS1_3repE0EEENS1_60segmented_radix_sort_warp_sort_medium_config_static_selectorELNS0_4arch9wavefront6targetE0EEEvSK_.kd
    .uniform_work_group_size: 1
    .uses_dynamic_stack: false
    .vgpr_count:     87
    .vgpr_spill_count: 0
    .wavefront_size: 32
    .workgroup_processor_mode: 1
  - .args:
      - .offset:         0
        .size:           88
        .value_kind:     by_value
    .group_segment_fixed_size: 0
    .kernarg_segment_align: 8
    .kernarg_segment_size: 88
    .language:       OpenCL C
    .language_version:
      - 2
      - 0
    .max_flat_workgroup_size: 256
    .name:           _ZN7rocprim17ROCPRIM_400000_NS6detail17trampoline_kernelINS0_14default_configENS1_36segmented_radix_sort_config_selectorIilEEZNS1_25segmented_radix_sort_implIS3_Lb0EPKiPiPKlPlN2at6native12_GLOBAL__N_18offset_tEEE10hipError_tPvRmT1_PNSt15iterator_traitsISK_E10value_typeET2_T3_PNSL_ISQ_E10value_typeET4_jRbjT5_SW_jjP12ihipStream_tbEUlT_E0_NS1_11comp_targetILNS1_3genE8ELNS1_11target_archE1030ELNS1_3gpuE2ELNS1_3repE0EEENS1_60segmented_radix_sort_warp_sort_medium_config_static_selectorELNS0_4arch9wavefront6targetE0EEEvSK_
    .private_segment_fixed_size: 0
    .sgpr_count:     0
    .sgpr_spill_count: 0
    .symbol:         _ZN7rocprim17ROCPRIM_400000_NS6detail17trampoline_kernelINS0_14default_configENS1_36segmented_radix_sort_config_selectorIilEEZNS1_25segmented_radix_sort_implIS3_Lb0EPKiPiPKlPlN2at6native12_GLOBAL__N_18offset_tEEE10hipError_tPvRmT1_PNSt15iterator_traitsISK_E10value_typeET2_T3_PNSL_ISQ_E10value_typeET4_jRbjT5_SW_jjP12ihipStream_tbEUlT_E0_NS1_11comp_targetILNS1_3genE8ELNS1_11target_archE1030ELNS1_3gpuE2ELNS1_3repE0EEENS1_60segmented_radix_sort_warp_sort_medium_config_static_selectorELNS0_4arch9wavefront6targetE0EEEvSK_.kd
    .uniform_work_group_size: 1
    .uses_dynamic_stack: false
    .vgpr_count:     0
    .vgpr_spill_count: 0
    .wavefront_size: 32
    .workgroup_processor_mode: 1
  - .args:
      - .offset:         0
        .size:           88
        .value_kind:     by_value
    .group_segment_fixed_size: 0
    .kernarg_segment_align: 8
    .kernarg_segment_size: 88
    .language:       OpenCL C
    .language_version:
      - 2
      - 0
    .max_flat_workgroup_size: 256
    .name:           _ZN7rocprim17ROCPRIM_400000_NS6detail17trampoline_kernelINS0_14default_configENS1_36segmented_radix_sort_config_selectorIilEEZNS1_25segmented_radix_sort_implIS3_Lb0EPKiPiPKlPlN2at6native12_GLOBAL__N_18offset_tEEE10hipError_tPvRmT1_PNSt15iterator_traitsISK_E10value_typeET2_T3_PNSL_ISQ_E10value_typeET4_jRbjT5_SW_jjP12ihipStream_tbEUlT_E1_NS1_11comp_targetILNS1_3genE0ELNS1_11target_archE4294967295ELNS1_3gpuE0ELNS1_3repE0EEENS1_59segmented_radix_sort_warp_sort_small_config_static_selectorELNS0_4arch9wavefront6targetE0EEEvSK_
    .private_segment_fixed_size: 0
    .sgpr_count:     0
    .sgpr_spill_count: 0
    .symbol:         _ZN7rocprim17ROCPRIM_400000_NS6detail17trampoline_kernelINS0_14default_configENS1_36segmented_radix_sort_config_selectorIilEEZNS1_25segmented_radix_sort_implIS3_Lb0EPKiPiPKlPlN2at6native12_GLOBAL__N_18offset_tEEE10hipError_tPvRmT1_PNSt15iterator_traitsISK_E10value_typeET2_T3_PNSL_ISQ_E10value_typeET4_jRbjT5_SW_jjP12ihipStream_tbEUlT_E1_NS1_11comp_targetILNS1_3genE0ELNS1_11target_archE4294967295ELNS1_3gpuE0ELNS1_3repE0EEENS1_59segmented_radix_sort_warp_sort_small_config_static_selectorELNS0_4arch9wavefront6targetE0EEEvSK_.kd
    .uniform_work_group_size: 1
    .uses_dynamic_stack: false
    .vgpr_count:     0
    .vgpr_spill_count: 0
    .wavefront_size: 32
    .workgroup_processor_mode: 1
  - .args:
      - .offset:         0
        .size:           88
        .value_kind:     by_value
    .group_segment_fixed_size: 0
    .kernarg_segment_align: 8
    .kernarg_segment_size: 88
    .language:       OpenCL C
    .language_version:
      - 2
      - 0
    .max_flat_workgroup_size: 256
    .name:           _ZN7rocprim17ROCPRIM_400000_NS6detail17trampoline_kernelINS0_14default_configENS1_36segmented_radix_sort_config_selectorIilEEZNS1_25segmented_radix_sort_implIS3_Lb0EPKiPiPKlPlN2at6native12_GLOBAL__N_18offset_tEEE10hipError_tPvRmT1_PNSt15iterator_traitsISK_E10value_typeET2_T3_PNSL_ISQ_E10value_typeET4_jRbjT5_SW_jjP12ihipStream_tbEUlT_E1_NS1_11comp_targetILNS1_3genE5ELNS1_11target_archE942ELNS1_3gpuE9ELNS1_3repE0EEENS1_59segmented_radix_sort_warp_sort_small_config_static_selectorELNS0_4arch9wavefront6targetE0EEEvSK_
    .private_segment_fixed_size: 0
    .sgpr_count:     0
    .sgpr_spill_count: 0
    .symbol:         _ZN7rocprim17ROCPRIM_400000_NS6detail17trampoline_kernelINS0_14default_configENS1_36segmented_radix_sort_config_selectorIilEEZNS1_25segmented_radix_sort_implIS3_Lb0EPKiPiPKlPlN2at6native12_GLOBAL__N_18offset_tEEE10hipError_tPvRmT1_PNSt15iterator_traitsISK_E10value_typeET2_T3_PNSL_ISQ_E10value_typeET4_jRbjT5_SW_jjP12ihipStream_tbEUlT_E1_NS1_11comp_targetILNS1_3genE5ELNS1_11target_archE942ELNS1_3gpuE9ELNS1_3repE0EEENS1_59segmented_radix_sort_warp_sort_small_config_static_selectorELNS0_4arch9wavefront6targetE0EEEvSK_.kd
    .uniform_work_group_size: 1
    .uses_dynamic_stack: false
    .vgpr_count:     0
    .vgpr_spill_count: 0
    .wavefront_size: 32
    .workgroup_processor_mode: 1
  - .args:
      - .offset:         0
        .size:           88
        .value_kind:     by_value
    .group_segment_fixed_size: 0
    .kernarg_segment_align: 8
    .kernarg_segment_size: 88
    .language:       OpenCL C
    .language_version:
      - 2
      - 0
    .max_flat_workgroup_size: 256
    .name:           _ZN7rocprim17ROCPRIM_400000_NS6detail17trampoline_kernelINS0_14default_configENS1_36segmented_radix_sort_config_selectorIilEEZNS1_25segmented_radix_sort_implIS3_Lb0EPKiPiPKlPlN2at6native12_GLOBAL__N_18offset_tEEE10hipError_tPvRmT1_PNSt15iterator_traitsISK_E10value_typeET2_T3_PNSL_ISQ_E10value_typeET4_jRbjT5_SW_jjP12ihipStream_tbEUlT_E1_NS1_11comp_targetILNS1_3genE4ELNS1_11target_archE910ELNS1_3gpuE8ELNS1_3repE0EEENS1_59segmented_radix_sort_warp_sort_small_config_static_selectorELNS0_4arch9wavefront6targetE0EEEvSK_
    .private_segment_fixed_size: 0
    .sgpr_count:     0
    .sgpr_spill_count: 0
    .symbol:         _ZN7rocprim17ROCPRIM_400000_NS6detail17trampoline_kernelINS0_14default_configENS1_36segmented_radix_sort_config_selectorIilEEZNS1_25segmented_radix_sort_implIS3_Lb0EPKiPiPKlPlN2at6native12_GLOBAL__N_18offset_tEEE10hipError_tPvRmT1_PNSt15iterator_traitsISK_E10value_typeET2_T3_PNSL_ISQ_E10value_typeET4_jRbjT5_SW_jjP12ihipStream_tbEUlT_E1_NS1_11comp_targetILNS1_3genE4ELNS1_11target_archE910ELNS1_3gpuE8ELNS1_3repE0EEENS1_59segmented_radix_sort_warp_sort_small_config_static_selectorELNS0_4arch9wavefront6targetE0EEEvSK_.kd
    .uniform_work_group_size: 1
    .uses_dynamic_stack: false
    .vgpr_count:     0
    .vgpr_spill_count: 0
    .wavefront_size: 32
    .workgroup_processor_mode: 1
  - .args:
      - .offset:         0
        .size:           88
        .value_kind:     by_value
    .group_segment_fixed_size: 0
    .kernarg_segment_align: 8
    .kernarg_segment_size: 88
    .language:       OpenCL C
    .language_version:
      - 2
      - 0
    .max_flat_workgroup_size: 256
    .name:           _ZN7rocprim17ROCPRIM_400000_NS6detail17trampoline_kernelINS0_14default_configENS1_36segmented_radix_sort_config_selectorIilEEZNS1_25segmented_radix_sort_implIS3_Lb0EPKiPiPKlPlN2at6native12_GLOBAL__N_18offset_tEEE10hipError_tPvRmT1_PNSt15iterator_traitsISK_E10value_typeET2_T3_PNSL_ISQ_E10value_typeET4_jRbjT5_SW_jjP12ihipStream_tbEUlT_E1_NS1_11comp_targetILNS1_3genE3ELNS1_11target_archE908ELNS1_3gpuE7ELNS1_3repE0EEENS1_59segmented_radix_sort_warp_sort_small_config_static_selectorELNS0_4arch9wavefront6targetE0EEEvSK_
    .private_segment_fixed_size: 0
    .sgpr_count:     0
    .sgpr_spill_count: 0
    .symbol:         _ZN7rocprim17ROCPRIM_400000_NS6detail17trampoline_kernelINS0_14default_configENS1_36segmented_radix_sort_config_selectorIilEEZNS1_25segmented_radix_sort_implIS3_Lb0EPKiPiPKlPlN2at6native12_GLOBAL__N_18offset_tEEE10hipError_tPvRmT1_PNSt15iterator_traitsISK_E10value_typeET2_T3_PNSL_ISQ_E10value_typeET4_jRbjT5_SW_jjP12ihipStream_tbEUlT_E1_NS1_11comp_targetILNS1_3genE3ELNS1_11target_archE908ELNS1_3gpuE7ELNS1_3repE0EEENS1_59segmented_radix_sort_warp_sort_small_config_static_selectorELNS0_4arch9wavefront6targetE0EEEvSK_.kd
    .uniform_work_group_size: 1
    .uses_dynamic_stack: false
    .vgpr_count:     0
    .vgpr_spill_count: 0
    .wavefront_size: 32
    .workgroup_processor_mode: 1
  - .args:
      - .offset:         0
        .size:           88
        .value_kind:     by_value
    .group_segment_fixed_size: 0
    .kernarg_segment_align: 8
    .kernarg_segment_size: 88
    .language:       OpenCL C
    .language_version:
      - 2
      - 0
    .max_flat_workgroup_size: 256
    .name:           _ZN7rocprim17ROCPRIM_400000_NS6detail17trampoline_kernelINS0_14default_configENS1_36segmented_radix_sort_config_selectorIilEEZNS1_25segmented_radix_sort_implIS3_Lb0EPKiPiPKlPlN2at6native12_GLOBAL__N_18offset_tEEE10hipError_tPvRmT1_PNSt15iterator_traitsISK_E10value_typeET2_T3_PNSL_ISQ_E10value_typeET4_jRbjT5_SW_jjP12ihipStream_tbEUlT_E1_NS1_11comp_targetILNS1_3genE2ELNS1_11target_archE906ELNS1_3gpuE6ELNS1_3repE0EEENS1_59segmented_radix_sort_warp_sort_small_config_static_selectorELNS0_4arch9wavefront6targetE0EEEvSK_
    .private_segment_fixed_size: 0
    .sgpr_count:     0
    .sgpr_spill_count: 0
    .symbol:         _ZN7rocprim17ROCPRIM_400000_NS6detail17trampoline_kernelINS0_14default_configENS1_36segmented_radix_sort_config_selectorIilEEZNS1_25segmented_radix_sort_implIS3_Lb0EPKiPiPKlPlN2at6native12_GLOBAL__N_18offset_tEEE10hipError_tPvRmT1_PNSt15iterator_traitsISK_E10value_typeET2_T3_PNSL_ISQ_E10value_typeET4_jRbjT5_SW_jjP12ihipStream_tbEUlT_E1_NS1_11comp_targetILNS1_3genE2ELNS1_11target_archE906ELNS1_3gpuE6ELNS1_3repE0EEENS1_59segmented_radix_sort_warp_sort_small_config_static_selectorELNS0_4arch9wavefront6targetE0EEEvSK_.kd
    .uniform_work_group_size: 1
    .uses_dynamic_stack: false
    .vgpr_count:     0
    .vgpr_spill_count: 0
    .wavefront_size: 32
    .workgroup_processor_mode: 1
  - .args:
      - .offset:         0
        .size:           88
        .value_kind:     by_value
    .group_segment_fixed_size: 0
    .kernarg_segment_align: 8
    .kernarg_segment_size: 88
    .language:       OpenCL C
    .language_version:
      - 2
      - 0
    .max_flat_workgroup_size: 256
    .name:           _ZN7rocprim17ROCPRIM_400000_NS6detail17trampoline_kernelINS0_14default_configENS1_36segmented_radix_sort_config_selectorIilEEZNS1_25segmented_radix_sort_implIS3_Lb0EPKiPiPKlPlN2at6native12_GLOBAL__N_18offset_tEEE10hipError_tPvRmT1_PNSt15iterator_traitsISK_E10value_typeET2_T3_PNSL_ISQ_E10value_typeET4_jRbjT5_SW_jjP12ihipStream_tbEUlT_E1_NS1_11comp_targetILNS1_3genE10ELNS1_11target_archE1201ELNS1_3gpuE5ELNS1_3repE0EEENS1_59segmented_radix_sort_warp_sort_small_config_static_selectorELNS0_4arch9wavefront6targetE0EEEvSK_
    .private_segment_fixed_size: 0
    .sgpr_count:     0
    .sgpr_spill_count: 0
    .symbol:         _ZN7rocprim17ROCPRIM_400000_NS6detail17trampoline_kernelINS0_14default_configENS1_36segmented_radix_sort_config_selectorIilEEZNS1_25segmented_radix_sort_implIS3_Lb0EPKiPiPKlPlN2at6native12_GLOBAL__N_18offset_tEEE10hipError_tPvRmT1_PNSt15iterator_traitsISK_E10value_typeET2_T3_PNSL_ISQ_E10value_typeET4_jRbjT5_SW_jjP12ihipStream_tbEUlT_E1_NS1_11comp_targetILNS1_3genE10ELNS1_11target_archE1201ELNS1_3gpuE5ELNS1_3repE0EEENS1_59segmented_radix_sort_warp_sort_small_config_static_selectorELNS0_4arch9wavefront6targetE0EEEvSK_.kd
    .uniform_work_group_size: 1
    .uses_dynamic_stack: false
    .vgpr_count:     0
    .vgpr_spill_count: 0
    .wavefront_size: 32
    .workgroup_processor_mode: 1
  - .args:
      - .offset:         0
        .size:           88
        .value_kind:     by_value
    .group_segment_fixed_size: 0
    .kernarg_segment_align: 8
    .kernarg_segment_size: 88
    .language:       OpenCL C
    .language_version:
      - 2
      - 0
    .max_flat_workgroup_size: 256
    .name:           _ZN7rocprim17ROCPRIM_400000_NS6detail17trampoline_kernelINS0_14default_configENS1_36segmented_radix_sort_config_selectorIilEEZNS1_25segmented_radix_sort_implIS3_Lb0EPKiPiPKlPlN2at6native12_GLOBAL__N_18offset_tEEE10hipError_tPvRmT1_PNSt15iterator_traitsISK_E10value_typeET2_T3_PNSL_ISQ_E10value_typeET4_jRbjT5_SW_jjP12ihipStream_tbEUlT_E1_NS1_11comp_targetILNS1_3genE10ELNS1_11target_archE1200ELNS1_3gpuE4ELNS1_3repE0EEENS1_59segmented_radix_sort_warp_sort_small_config_static_selectorELNS0_4arch9wavefront6targetE0EEEvSK_
    .private_segment_fixed_size: 0
    .sgpr_count:     0
    .sgpr_spill_count: 0
    .symbol:         _ZN7rocprim17ROCPRIM_400000_NS6detail17trampoline_kernelINS0_14default_configENS1_36segmented_radix_sort_config_selectorIilEEZNS1_25segmented_radix_sort_implIS3_Lb0EPKiPiPKlPlN2at6native12_GLOBAL__N_18offset_tEEE10hipError_tPvRmT1_PNSt15iterator_traitsISK_E10value_typeET2_T3_PNSL_ISQ_E10value_typeET4_jRbjT5_SW_jjP12ihipStream_tbEUlT_E1_NS1_11comp_targetILNS1_3genE10ELNS1_11target_archE1200ELNS1_3gpuE4ELNS1_3repE0EEENS1_59segmented_radix_sort_warp_sort_small_config_static_selectorELNS0_4arch9wavefront6targetE0EEEvSK_.kd
    .uniform_work_group_size: 1
    .uses_dynamic_stack: false
    .vgpr_count:     0
    .vgpr_spill_count: 0
    .wavefront_size: 32
    .workgroup_processor_mode: 1
  - .args:
      - .offset:         0
        .size:           88
        .value_kind:     by_value
      - .offset:         88
        .size:           4
        .value_kind:     hidden_block_count_x
      - .offset:         92
        .size:           4
        .value_kind:     hidden_block_count_y
      - .offset:         96
        .size:           4
        .value_kind:     hidden_block_count_z
      - .offset:         100
        .size:           2
        .value_kind:     hidden_group_size_x
      - .offset:         102
        .size:           2
        .value_kind:     hidden_group_size_y
      - .offset:         104
        .size:           2
        .value_kind:     hidden_group_size_z
      - .offset:         106
        .size:           2
        .value_kind:     hidden_remainder_x
      - .offset:         108
        .size:           2
        .value_kind:     hidden_remainder_y
      - .offset:         110
        .size:           2
        .value_kind:     hidden_remainder_z
      - .offset:         128
        .size:           8
        .value_kind:     hidden_global_offset_x
      - .offset:         136
        .size:           8
        .value_kind:     hidden_global_offset_y
      - .offset:         144
        .size:           8
        .value_kind:     hidden_global_offset_z
      - .offset:         152
        .size:           2
        .value_kind:     hidden_grid_dims
    .group_segment_fixed_size: 12288
    .kernarg_segment_align: 8
    .kernarg_segment_size: 344
    .language:       OpenCL C
    .language_version:
      - 2
      - 0
    .max_flat_workgroup_size: 256
    .name:           _ZN7rocprim17ROCPRIM_400000_NS6detail17trampoline_kernelINS0_14default_configENS1_36segmented_radix_sort_config_selectorIilEEZNS1_25segmented_radix_sort_implIS3_Lb0EPKiPiPKlPlN2at6native12_GLOBAL__N_18offset_tEEE10hipError_tPvRmT1_PNSt15iterator_traitsISK_E10value_typeET2_T3_PNSL_ISQ_E10value_typeET4_jRbjT5_SW_jjP12ihipStream_tbEUlT_E1_NS1_11comp_targetILNS1_3genE9ELNS1_11target_archE1100ELNS1_3gpuE3ELNS1_3repE0EEENS1_59segmented_radix_sort_warp_sort_small_config_static_selectorELNS0_4arch9wavefront6targetE0EEEvSK_
    .private_segment_fixed_size: 0
    .sgpr_count:     35
    .sgpr_spill_count: 0
    .symbol:         _ZN7rocprim17ROCPRIM_400000_NS6detail17trampoline_kernelINS0_14default_configENS1_36segmented_radix_sort_config_selectorIilEEZNS1_25segmented_radix_sort_implIS3_Lb0EPKiPiPKlPlN2at6native12_GLOBAL__N_18offset_tEEE10hipError_tPvRmT1_PNSt15iterator_traitsISK_E10value_typeET2_T3_PNSL_ISQ_E10value_typeET4_jRbjT5_SW_jjP12ihipStream_tbEUlT_E1_NS1_11comp_targetILNS1_3genE9ELNS1_11target_archE1100ELNS1_3gpuE3ELNS1_3repE0EEENS1_59segmented_radix_sort_warp_sort_small_config_static_selectorELNS0_4arch9wavefront6targetE0EEEvSK_.kd
    .uniform_work_group_size: 1
    .uses_dynamic_stack: false
    .vgpr_count:     97
    .vgpr_spill_count: 0
    .wavefront_size: 32
    .workgroup_processor_mode: 1
  - .args:
      - .offset:         0
        .size:           88
        .value_kind:     by_value
    .group_segment_fixed_size: 0
    .kernarg_segment_align: 8
    .kernarg_segment_size: 88
    .language:       OpenCL C
    .language_version:
      - 2
      - 0
    .max_flat_workgroup_size: 256
    .name:           _ZN7rocprim17ROCPRIM_400000_NS6detail17trampoline_kernelINS0_14default_configENS1_36segmented_radix_sort_config_selectorIilEEZNS1_25segmented_radix_sort_implIS3_Lb0EPKiPiPKlPlN2at6native12_GLOBAL__N_18offset_tEEE10hipError_tPvRmT1_PNSt15iterator_traitsISK_E10value_typeET2_T3_PNSL_ISQ_E10value_typeET4_jRbjT5_SW_jjP12ihipStream_tbEUlT_E1_NS1_11comp_targetILNS1_3genE8ELNS1_11target_archE1030ELNS1_3gpuE2ELNS1_3repE0EEENS1_59segmented_radix_sort_warp_sort_small_config_static_selectorELNS0_4arch9wavefront6targetE0EEEvSK_
    .private_segment_fixed_size: 0
    .sgpr_count:     0
    .sgpr_spill_count: 0
    .symbol:         _ZN7rocprim17ROCPRIM_400000_NS6detail17trampoline_kernelINS0_14default_configENS1_36segmented_radix_sort_config_selectorIilEEZNS1_25segmented_radix_sort_implIS3_Lb0EPKiPiPKlPlN2at6native12_GLOBAL__N_18offset_tEEE10hipError_tPvRmT1_PNSt15iterator_traitsISK_E10value_typeET2_T3_PNSL_ISQ_E10value_typeET4_jRbjT5_SW_jjP12ihipStream_tbEUlT_E1_NS1_11comp_targetILNS1_3genE8ELNS1_11target_archE1030ELNS1_3gpuE2ELNS1_3repE0EEENS1_59segmented_radix_sort_warp_sort_small_config_static_selectorELNS0_4arch9wavefront6targetE0EEEvSK_.kd
    .uniform_work_group_size: 1
    .uses_dynamic_stack: false
    .vgpr_count:     0
    .vgpr_spill_count: 0
    .wavefront_size: 32
    .workgroup_processor_mode: 1
  - .args:
      - .offset:         0
        .size:           80
        .value_kind:     by_value
    .group_segment_fixed_size: 0
    .kernarg_segment_align: 8
    .kernarg_segment_size: 80
    .language:       OpenCL C
    .language_version:
      - 2
      - 0
    .max_flat_workgroup_size: 256
    .name:           _ZN7rocprim17ROCPRIM_400000_NS6detail17trampoline_kernelINS0_14default_configENS1_36segmented_radix_sort_config_selectorIilEEZNS1_25segmented_radix_sort_implIS3_Lb0EPKiPiPKlPlN2at6native12_GLOBAL__N_18offset_tEEE10hipError_tPvRmT1_PNSt15iterator_traitsISK_E10value_typeET2_T3_PNSL_ISQ_E10value_typeET4_jRbjT5_SW_jjP12ihipStream_tbEUlT_E2_NS1_11comp_targetILNS1_3genE0ELNS1_11target_archE4294967295ELNS1_3gpuE0ELNS1_3repE0EEENS1_30default_config_static_selectorELNS0_4arch9wavefront6targetE0EEEvSK_
    .private_segment_fixed_size: 0
    .sgpr_count:     0
    .sgpr_spill_count: 0
    .symbol:         _ZN7rocprim17ROCPRIM_400000_NS6detail17trampoline_kernelINS0_14default_configENS1_36segmented_radix_sort_config_selectorIilEEZNS1_25segmented_radix_sort_implIS3_Lb0EPKiPiPKlPlN2at6native12_GLOBAL__N_18offset_tEEE10hipError_tPvRmT1_PNSt15iterator_traitsISK_E10value_typeET2_T3_PNSL_ISQ_E10value_typeET4_jRbjT5_SW_jjP12ihipStream_tbEUlT_E2_NS1_11comp_targetILNS1_3genE0ELNS1_11target_archE4294967295ELNS1_3gpuE0ELNS1_3repE0EEENS1_30default_config_static_selectorELNS0_4arch9wavefront6targetE0EEEvSK_.kd
    .uniform_work_group_size: 1
    .uses_dynamic_stack: false
    .vgpr_count:     0
    .vgpr_spill_count: 0
    .wavefront_size: 32
    .workgroup_processor_mode: 1
  - .args:
      - .offset:         0
        .size:           80
        .value_kind:     by_value
    .group_segment_fixed_size: 0
    .kernarg_segment_align: 8
    .kernarg_segment_size: 80
    .language:       OpenCL C
    .language_version:
      - 2
      - 0
    .max_flat_workgroup_size: 256
    .name:           _ZN7rocprim17ROCPRIM_400000_NS6detail17trampoline_kernelINS0_14default_configENS1_36segmented_radix_sort_config_selectorIilEEZNS1_25segmented_radix_sort_implIS3_Lb0EPKiPiPKlPlN2at6native12_GLOBAL__N_18offset_tEEE10hipError_tPvRmT1_PNSt15iterator_traitsISK_E10value_typeET2_T3_PNSL_ISQ_E10value_typeET4_jRbjT5_SW_jjP12ihipStream_tbEUlT_E2_NS1_11comp_targetILNS1_3genE5ELNS1_11target_archE942ELNS1_3gpuE9ELNS1_3repE0EEENS1_30default_config_static_selectorELNS0_4arch9wavefront6targetE0EEEvSK_
    .private_segment_fixed_size: 0
    .sgpr_count:     0
    .sgpr_spill_count: 0
    .symbol:         _ZN7rocprim17ROCPRIM_400000_NS6detail17trampoline_kernelINS0_14default_configENS1_36segmented_radix_sort_config_selectorIilEEZNS1_25segmented_radix_sort_implIS3_Lb0EPKiPiPKlPlN2at6native12_GLOBAL__N_18offset_tEEE10hipError_tPvRmT1_PNSt15iterator_traitsISK_E10value_typeET2_T3_PNSL_ISQ_E10value_typeET4_jRbjT5_SW_jjP12ihipStream_tbEUlT_E2_NS1_11comp_targetILNS1_3genE5ELNS1_11target_archE942ELNS1_3gpuE9ELNS1_3repE0EEENS1_30default_config_static_selectorELNS0_4arch9wavefront6targetE0EEEvSK_.kd
    .uniform_work_group_size: 1
    .uses_dynamic_stack: false
    .vgpr_count:     0
    .vgpr_spill_count: 0
    .wavefront_size: 32
    .workgroup_processor_mode: 1
  - .args:
      - .offset:         0
        .size:           80
        .value_kind:     by_value
    .group_segment_fixed_size: 0
    .kernarg_segment_align: 8
    .kernarg_segment_size: 80
    .language:       OpenCL C
    .language_version:
      - 2
      - 0
    .max_flat_workgroup_size: 256
    .name:           _ZN7rocprim17ROCPRIM_400000_NS6detail17trampoline_kernelINS0_14default_configENS1_36segmented_radix_sort_config_selectorIilEEZNS1_25segmented_radix_sort_implIS3_Lb0EPKiPiPKlPlN2at6native12_GLOBAL__N_18offset_tEEE10hipError_tPvRmT1_PNSt15iterator_traitsISK_E10value_typeET2_T3_PNSL_ISQ_E10value_typeET4_jRbjT5_SW_jjP12ihipStream_tbEUlT_E2_NS1_11comp_targetILNS1_3genE4ELNS1_11target_archE910ELNS1_3gpuE8ELNS1_3repE0EEENS1_30default_config_static_selectorELNS0_4arch9wavefront6targetE0EEEvSK_
    .private_segment_fixed_size: 0
    .sgpr_count:     0
    .sgpr_spill_count: 0
    .symbol:         _ZN7rocprim17ROCPRIM_400000_NS6detail17trampoline_kernelINS0_14default_configENS1_36segmented_radix_sort_config_selectorIilEEZNS1_25segmented_radix_sort_implIS3_Lb0EPKiPiPKlPlN2at6native12_GLOBAL__N_18offset_tEEE10hipError_tPvRmT1_PNSt15iterator_traitsISK_E10value_typeET2_T3_PNSL_ISQ_E10value_typeET4_jRbjT5_SW_jjP12ihipStream_tbEUlT_E2_NS1_11comp_targetILNS1_3genE4ELNS1_11target_archE910ELNS1_3gpuE8ELNS1_3repE0EEENS1_30default_config_static_selectorELNS0_4arch9wavefront6targetE0EEEvSK_.kd
    .uniform_work_group_size: 1
    .uses_dynamic_stack: false
    .vgpr_count:     0
    .vgpr_spill_count: 0
    .wavefront_size: 32
    .workgroup_processor_mode: 1
  - .args:
      - .offset:         0
        .size:           80
        .value_kind:     by_value
    .group_segment_fixed_size: 0
    .kernarg_segment_align: 8
    .kernarg_segment_size: 80
    .language:       OpenCL C
    .language_version:
      - 2
      - 0
    .max_flat_workgroup_size: 256
    .name:           _ZN7rocprim17ROCPRIM_400000_NS6detail17trampoline_kernelINS0_14default_configENS1_36segmented_radix_sort_config_selectorIilEEZNS1_25segmented_radix_sort_implIS3_Lb0EPKiPiPKlPlN2at6native12_GLOBAL__N_18offset_tEEE10hipError_tPvRmT1_PNSt15iterator_traitsISK_E10value_typeET2_T3_PNSL_ISQ_E10value_typeET4_jRbjT5_SW_jjP12ihipStream_tbEUlT_E2_NS1_11comp_targetILNS1_3genE3ELNS1_11target_archE908ELNS1_3gpuE7ELNS1_3repE0EEENS1_30default_config_static_selectorELNS0_4arch9wavefront6targetE0EEEvSK_
    .private_segment_fixed_size: 0
    .sgpr_count:     0
    .sgpr_spill_count: 0
    .symbol:         _ZN7rocprim17ROCPRIM_400000_NS6detail17trampoline_kernelINS0_14default_configENS1_36segmented_radix_sort_config_selectorIilEEZNS1_25segmented_radix_sort_implIS3_Lb0EPKiPiPKlPlN2at6native12_GLOBAL__N_18offset_tEEE10hipError_tPvRmT1_PNSt15iterator_traitsISK_E10value_typeET2_T3_PNSL_ISQ_E10value_typeET4_jRbjT5_SW_jjP12ihipStream_tbEUlT_E2_NS1_11comp_targetILNS1_3genE3ELNS1_11target_archE908ELNS1_3gpuE7ELNS1_3repE0EEENS1_30default_config_static_selectorELNS0_4arch9wavefront6targetE0EEEvSK_.kd
    .uniform_work_group_size: 1
    .uses_dynamic_stack: false
    .vgpr_count:     0
    .vgpr_spill_count: 0
    .wavefront_size: 32
    .workgroup_processor_mode: 1
  - .args:
      - .offset:         0
        .size:           80
        .value_kind:     by_value
    .group_segment_fixed_size: 0
    .kernarg_segment_align: 8
    .kernarg_segment_size: 80
    .language:       OpenCL C
    .language_version:
      - 2
      - 0
    .max_flat_workgroup_size: 256
    .name:           _ZN7rocprim17ROCPRIM_400000_NS6detail17trampoline_kernelINS0_14default_configENS1_36segmented_radix_sort_config_selectorIilEEZNS1_25segmented_radix_sort_implIS3_Lb0EPKiPiPKlPlN2at6native12_GLOBAL__N_18offset_tEEE10hipError_tPvRmT1_PNSt15iterator_traitsISK_E10value_typeET2_T3_PNSL_ISQ_E10value_typeET4_jRbjT5_SW_jjP12ihipStream_tbEUlT_E2_NS1_11comp_targetILNS1_3genE2ELNS1_11target_archE906ELNS1_3gpuE6ELNS1_3repE0EEENS1_30default_config_static_selectorELNS0_4arch9wavefront6targetE0EEEvSK_
    .private_segment_fixed_size: 0
    .sgpr_count:     0
    .sgpr_spill_count: 0
    .symbol:         _ZN7rocprim17ROCPRIM_400000_NS6detail17trampoline_kernelINS0_14default_configENS1_36segmented_radix_sort_config_selectorIilEEZNS1_25segmented_radix_sort_implIS3_Lb0EPKiPiPKlPlN2at6native12_GLOBAL__N_18offset_tEEE10hipError_tPvRmT1_PNSt15iterator_traitsISK_E10value_typeET2_T3_PNSL_ISQ_E10value_typeET4_jRbjT5_SW_jjP12ihipStream_tbEUlT_E2_NS1_11comp_targetILNS1_3genE2ELNS1_11target_archE906ELNS1_3gpuE6ELNS1_3repE0EEENS1_30default_config_static_selectorELNS0_4arch9wavefront6targetE0EEEvSK_.kd
    .uniform_work_group_size: 1
    .uses_dynamic_stack: false
    .vgpr_count:     0
    .vgpr_spill_count: 0
    .wavefront_size: 32
    .workgroup_processor_mode: 1
  - .args:
      - .offset:         0
        .size:           80
        .value_kind:     by_value
    .group_segment_fixed_size: 0
    .kernarg_segment_align: 8
    .kernarg_segment_size: 80
    .language:       OpenCL C
    .language_version:
      - 2
      - 0
    .max_flat_workgroup_size: 256
    .name:           _ZN7rocprim17ROCPRIM_400000_NS6detail17trampoline_kernelINS0_14default_configENS1_36segmented_radix_sort_config_selectorIilEEZNS1_25segmented_radix_sort_implIS3_Lb0EPKiPiPKlPlN2at6native12_GLOBAL__N_18offset_tEEE10hipError_tPvRmT1_PNSt15iterator_traitsISK_E10value_typeET2_T3_PNSL_ISQ_E10value_typeET4_jRbjT5_SW_jjP12ihipStream_tbEUlT_E2_NS1_11comp_targetILNS1_3genE10ELNS1_11target_archE1201ELNS1_3gpuE5ELNS1_3repE0EEENS1_30default_config_static_selectorELNS0_4arch9wavefront6targetE0EEEvSK_
    .private_segment_fixed_size: 0
    .sgpr_count:     0
    .sgpr_spill_count: 0
    .symbol:         _ZN7rocprim17ROCPRIM_400000_NS6detail17trampoline_kernelINS0_14default_configENS1_36segmented_radix_sort_config_selectorIilEEZNS1_25segmented_radix_sort_implIS3_Lb0EPKiPiPKlPlN2at6native12_GLOBAL__N_18offset_tEEE10hipError_tPvRmT1_PNSt15iterator_traitsISK_E10value_typeET2_T3_PNSL_ISQ_E10value_typeET4_jRbjT5_SW_jjP12ihipStream_tbEUlT_E2_NS1_11comp_targetILNS1_3genE10ELNS1_11target_archE1201ELNS1_3gpuE5ELNS1_3repE0EEENS1_30default_config_static_selectorELNS0_4arch9wavefront6targetE0EEEvSK_.kd
    .uniform_work_group_size: 1
    .uses_dynamic_stack: false
    .vgpr_count:     0
    .vgpr_spill_count: 0
    .wavefront_size: 32
    .workgroup_processor_mode: 1
  - .args:
      - .offset:         0
        .size:           80
        .value_kind:     by_value
    .group_segment_fixed_size: 0
    .kernarg_segment_align: 8
    .kernarg_segment_size: 80
    .language:       OpenCL C
    .language_version:
      - 2
      - 0
    .max_flat_workgroup_size: 128
    .name:           _ZN7rocprim17ROCPRIM_400000_NS6detail17trampoline_kernelINS0_14default_configENS1_36segmented_radix_sort_config_selectorIilEEZNS1_25segmented_radix_sort_implIS3_Lb0EPKiPiPKlPlN2at6native12_GLOBAL__N_18offset_tEEE10hipError_tPvRmT1_PNSt15iterator_traitsISK_E10value_typeET2_T3_PNSL_ISQ_E10value_typeET4_jRbjT5_SW_jjP12ihipStream_tbEUlT_E2_NS1_11comp_targetILNS1_3genE10ELNS1_11target_archE1200ELNS1_3gpuE4ELNS1_3repE0EEENS1_30default_config_static_selectorELNS0_4arch9wavefront6targetE0EEEvSK_
    .private_segment_fixed_size: 0
    .sgpr_count:     0
    .sgpr_spill_count: 0
    .symbol:         _ZN7rocprim17ROCPRIM_400000_NS6detail17trampoline_kernelINS0_14default_configENS1_36segmented_radix_sort_config_selectorIilEEZNS1_25segmented_radix_sort_implIS3_Lb0EPKiPiPKlPlN2at6native12_GLOBAL__N_18offset_tEEE10hipError_tPvRmT1_PNSt15iterator_traitsISK_E10value_typeET2_T3_PNSL_ISQ_E10value_typeET4_jRbjT5_SW_jjP12ihipStream_tbEUlT_E2_NS1_11comp_targetILNS1_3genE10ELNS1_11target_archE1200ELNS1_3gpuE4ELNS1_3repE0EEENS1_30default_config_static_selectorELNS0_4arch9wavefront6targetE0EEEvSK_.kd
    .uniform_work_group_size: 1
    .uses_dynamic_stack: false
    .vgpr_count:     0
    .vgpr_spill_count: 0
    .wavefront_size: 32
    .workgroup_processor_mode: 1
  - .args:
      - .offset:         0
        .size:           80
        .value_kind:     by_value
      - .offset:         80
        .size:           4
        .value_kind:     hidden_block_count_x
      - .offset:         84
        .size:           4
        .value_kind:     hidden_block_count_y
      - .offset:         88
        .size:           4
        .value_kind:     hidden_block_count_z
      - .offset:         92
        .size:           2
        .value_kind:     hidden_group_size_x
      - .offset:         94
        .size:           2
        .value_kind:     hidden_group_size_y
      - .offset:         96
        .size:           2
        .value_kind:     hidden_group_size_z
      - .offset:         98
        .size:           2
        .value_kind:     hidden_remainder_x
      - .offset:         100
        .size:           2
        .value_kind:     hidden_remainder_y
      - .offset:         102
        .size:           2
        .value_kind:     hidden_remainder_z
      - .offset:         120
        .size:           8
        .value_kind:     hidden_global_offset_x
      - .offset:         128
        .size:           8
        .value_kind:     hidden_global_offset_y
      - .offset:         136
        .size:           8
        .value_kind:     hidden_global_offset_z
      - .offset:         144
        .size:           2
        .value_kind:     hidden_grid_dims
    .group_segment_fixed_size: 33824
    .kernarg_segment_align: 8
    .kernarg_segment_size: 336
    .language:       OpenCL C
    .language_version:
      - 2
      - 0
    .max_flat_workgroup_size: 256
    .name:           _ZN7rocprim17ROCPRIM_400000_NS6detail17trampoline_kernelINS0_14default_configENS1_36segmented_radix_sort_config_selectorIilEEZNS1_25segmented_radix_sort_implIS3_Lb0EPKiPiPKlPlN2at6native12_GLOBAL__N_18offset_tEEE10hipError_tPvRmT1_PNSt15iterator_traitsISK_E10value_typeET2_T3_PNSL_ISQ_E10value_typeET4_jRbjT5_SW_jjP12ihipStream_tbEUlT_E2_NS1_11comp_targetILNS1_3genE9ELNS1_11target_archE1100ELNS1_3gpuE3ELNS1_3repE0EEENS1_30default_config_static_selectorELNS0_4arch9wavefront6targetE0EEEvSK_
    .private_segment_fixed_size: 352
    .sgpr_count:     65
    .sgpr_spill_count: 0
    .symbol:         _ZN7rocprim17ROCPRIM_400000_NS6detail17trampoline_kernelINS0_14default_configENS1_36segmented_radix_sort_config_selectorIilEEZNS1_25segmented_radix_sort_implIS3_Lb0EPKiPiPKlPlN2at6native12_GLOBAL__N_18offset_tEEE10hipError_tPvRmT1_PNSt15iterator_traitsISK_E10value_typeET2_T3_PNSL_ISQ_E10value_typeET4_jRbjT5_SW_jjP12ihipStream_tbEUlT_E2_NS1_11comp_targetILNS1_3genE9ELNS1_11target_archE1100ELNS1_3gpuE3ELNS1_3repE0EEENS1_30default_config_static_selectorELNS0_4arch9wavefront6targetE0EEEvSK_.kd
    .uniform_work_group_size: 1
    .uses_dynamic_stack: false
    .vgpr_count:     248
    .vgpr_spill_count: 0
    .wavefront_size: 32
    .workgroup_processor_mode: 1
  - .args:
      - .offset:         0
        .size:           80
        .value_kind:     by_value
    .group_segment_fixed_size: 0
    .kernarg_segment_align: 8
    .kernarg_segment_size: 80
    .language:       OpenCL C
    .language_version:
      - 2
      - 0
    .max_flat_workgroup_size: 256
    .name:           _ZN7rocprim17ROCPRIM_400000_NS6detail17trampoline_kernelINS0_14default_configENS1_36segmented_radix_sort_config_selectorIilEEZNS1_25segmented_radix_sort_implIS3_Lb0EPKiPiPKlPlN2at6native12_GLOBAL__N_18offset_tEEE10hipError_tPvRmT1_PNSt15iterator_traitsISK_E10value_typeET2_T3_PNSL_ISQ_E10value_typeET4_jRbjT5_SW_jjP12ihipStream_tbEUlT_E2_NS1_11comp_targetILNS1_3genE8ELNS1_11target_archE1030ELNS1_3gpuE2ELNS1_3repE0EEENS1_30default_config_static_selectorELNS0_4arch9wavefront6targetE0EEEvSK_
    .private_segment_fixed_size: 0
    .sgpr_count:     0
    .sgpr_spill_count: 0
    .symbol:         _ZN7rocprim17ROCPRIM_400000_NS6detail17trampoline_kernelINS0_14default_configENS1_36segmented_radix_sort_config_selectorIilEEZNS1_25segmented_radix_sort_implIS3_Lb0EPKiPiPKlPlN2at6native12_GLOBAL__N_18offset_tEEE10hipError_tPvRmT1_PNSt15iterator_traitsISK_E10value_typeET2_T3_PNSL_ISQ_E10value_typeET4_jRbjT5_SW_jjP12ihipStream_tbEUlT_E2_NS1_11comp_targetILNS1_3genE8ELNS1_11target_archE1030ELNS1_3gpuE2ELNS1_3repE0EEENS1_30default_config_static_selectorELNS0_4arch9wavefront6targetE0EEEvSK_.kd
    .uniform_work_group_size: 1
    .uses_dynamic_stack: false
    .vgpr_count:     0
    .vgpr_spill_count: 0
    .wavefront_size: 32
    .workgroup_processor_mode: 1
  - .args:
      - .address_space:  global
        .offset:         0
        .size:           8
        .value_kind:     global_buffer
      - .address_space:  global
        .offset:         8
        .size:           8
        .value_kind:     global_buffer
      - .address_space:  global
        .offset:         16
        .size:           8
        .value_kind:     global_buffer
      - .address_space:  global
        .offset:         24
        .size:           8
        .value_kind:     global_buffer
      - .offset:         32
        .size:           4
        .value_kind:     by_value
      - .offset:         36
        .size:           4
        .value_kind:     by_value
      - .offset:         40
        .size:           4
        .value_kind:     hidden_block_count_x
      - .offset:         44
        .size:           4
        .value_kind:     hidden_block_count_y
      - .offset:         48
        .size:           4
        .value_kind:     hidden_block_count_z
      - .offset:         52
        .size:           2
        .value_kind:     hidden_group_size_x
      - .offset:         54
        .size:           2
        .value_kind:     hidden_group_size_y
      - .offset:         56
        .size:           2
        .value_kind:     hidden_group_size_z
      - .offset:         58
        .size:           2
        .value_kind:     hidden_remainder_x
      - .offset:         60
        .size:           2
        .value_kind:     hidden_remainder_y
      - .offset:         62
        .size:           2
        .value_kind:     hidden_remainder_z
      - .offset:         80
        .size:           8
        .value_kind:     hidden_global_offset_x
      - .offset:         88
        .size:           8
        .value_kind:     hidden_global_offset_y
      - .offset:         96
        .size:           8
        .value_kind:     hidden_global_offset_z
      - .offset:         104
        .size:           2
        .value_kind:     hidden_grid_dims
    .group_segment_fixed_size: 0
    .kernarg_segment_align: 8
    .kernarg_segment_size: 296
    .language:       OpenCL C
    .language_version:
      - 2
      - 0
    .max_flat_workgroup_size: 1024
    .name:           _ZN2at6native12_GLOBAL__N_123sort_postprocess_kernelIlEEvPKT_PS3_PlPK15HIP_vector_typeIiLj2EEii
    .private_segment_fixed_size: 0
    .sgpr_count:     18
    .sgpr_spill_count: 0
    .symbol:         _ZN2at6native12_GLOBAL__N_123sort_postprocess_kernelIlEEvPKT_PS3_PlPK15HIP_vector_typeIiLj2EEii.kd
    .uniform_work_group_size: 1
    .uses_dynamic_stack: false
    .vgpr_count:     15
    .vgpr_spill_count: 0
    .wavefront_size: 32
    .workgroup_processor_mode: 1
  - .args:
      - .offset:         0
        .size:           176
        .value_kind:     by_value
    .group_segment_fixed_size: 0
    .kernarg_segment_align: 8
    .kernarg_segment_size: 176
    .language:       OpenCL C
    .language_version:
      - 2
      - 0
    .max_flat_workgroup_size: 256
    .name:           _ZN7rocprim17ROCPRIM_400000_NS6detail17trampoline_kernelINS0_13select_configILj256ELj13ELNS0_17block_load_methodE3ELS4_3ELS4_3ELNS0_20block_scan_algorithmE0ELj4294967295EEENS1_25partition_config_selectorILNS1_17partition_subalgoE4EjNS0_10empty_typeEbEEZZNS1_14partition_implILS8_4ELb0ES6_15HIP_vector_typeIjLj2EENS0_17counting_iteratorIjlEEPS9_SG_NS0_5tupleIJPjSI_NS0_16reverse_iteratorISI_EEEEENSH_IJSG_SG_SG_EEES9_SI_JZNS1_25segmented_radix_sort_implINS0_14default_configELb1EPKlPlSQ_SR_N2at6native12_GLOBAL__N_18offset_tEEE10hipError_tPvRmT1_PNSt15iterator_traitsISZ_E10value_typeET2_T3_PNS10_IS15_E10value_typeET4_jRbjT5_S1B_jjP12ihipStream_tbEUljE_ZNSN_ISO_Lb1ESQ_SR_SQ_SR_SV_EESW_SX_SY_SZ_S13_S14_S15_S18_S19_jS1A_jS1B_S1B_jjS1D_bEUljE0_EEESW_SX_SY_S15_S19_S1B_T6_T7_T9_mT8_S1D_bDpT10_ENKUlT_T0_E_clISt17integral_constantIbLb0EES1R_EEDaS1M_S1N_EUlS1M_E_NS1_11comp_targetILNS1_3genE0ELNS1_11target_archE4294967295ELNS1_3gpuE0ELNS1_3repE0EEENS1_30default_config_static_selectorELNS0_4arch9wavefront6targetE0EEEvSZ_
    .private_segment_fixed_size: 0
    .sgpr_count:     0
    .sgpr_spill_count: 0
    .symbol:         _ZN7rocprim17ROCPRIM_400000_NS6detail17trampoline_kernelINS0_13select_configILj256ELj13ELNS0_17block_load_methodE3ELS4_3ELS4_3ELNS0_20block_scan_algorithmE0ELj4294967295EEENS1_25partition_config_selectorILNS1_17partition_subalgoE4EjNS0_10empty_typeEbEEZZNS1_14partition_implILS8_4ELb0ES6_15HIP_vector_typeIjLj2EENS0_17counting_iteratorIjlEEPS9_SG_NS0_5tupleIJPjSI_NS0_16reverse_iteratorISI_EEEEENSH_IJSG_SG_SG_EEES9_SI_JZNS1_25segmented_radix_sort_implINS0_14default_configELb1EPKlPlSQ_SR_N2at6native12_GLOBAL__N_18offset_tEEE10hipError_tPvRmT1_PNSt15iterator_traitsISZ_E10value_typeET2_T3_PNS10_IS15_E10value_typeET4_jRbjT5_S1B_jjP12ihipStream_tbEUljE_ZNSN_ISO_Lb1ESQ_SR_SQ_SR_SV_EESW_SX_SY_SZ_S13_S14_S15_S18_S19_jS1A_jS1B_S1B_jjS1D_bEUljE0_EEESW_SX_SY_S15_S19_S1B_T6_T7_T9_mT8_S1D_bDpT10_ENKUlT_T0_E_clISt17integral_constantIbLb0EES1R_EEDaS1M_S1N_EUlS1M_E_NS1_11comp_targetILNS1_3genE0ELNS1_11target_archE4294967295ELNS1_3gpuE0ELNS1_3repE0EEENS1_30default_config_static_selectorELNS0_4arch9wavefront6targetE0EEEvSZ_.kd
    .uniform_work_group_size: 1
    .uses_dynamic_stack: false
    .vgpr_count:     0
    .vgpr_spill_count: 0
    .wavefront_size: 32
    .workgroup_processor_mode: 1
  - .args:
      - .offset:         0
        .size:           176
        .value_kind:     by_value
    .group_segment_fixed_size: 0
    .kernarg_segment_align: 8
    .kernarg_segment_size: 176
    .language:       OpenCL C
    .language_version:
      - 2
      - 0
    .max_flat_workgroup_size: 256
    .name:           _ZN7rocprim17ROCPRIM_400000_NS6detail17trampoline_kernelINS0_13select_configILj256ELj13ELNS0_17block_load_methodE3ELS4_3ELS4_3ELNS0_20block_scan_algorithmE0ELj4294967295EEENS1_25partition_config_selectorILNS1_17partition_subalgoE4EjNS0_10empty_typeEbEEZZNS1_14partition_implILS8_4ELb0ES6_15HIP_vector_typeIjLj2EENS0_17counting_iteratorIjlEEPS9_SG_NS0_5tupleIJPjSI_NS0_16reverse_iteratorISI_EEEEENSH_IJSG_SG_SG_EEES9_SI_JZNS1_25segmented_radix_sort_implINS0_14default_configELb1EPKlPlSQ_SR_N2at6native12_GLOBAL__N_18offset_tEEE10hipError_tPvRmT1_PNSt15iterator_traitsISZ_E10value_typeET2_T3_PNS10_IS15_E10value_typeET4_jRbjT5_S1B_jjP12ihipStream_tbEUljE_ZNSN_ISO_Lb1ESQ_SR_SQ_SR_SV_EESW_SX_SY_SZ_S13_S14_S15_S18_S19_jS1A_jS1B_S1B_jjS1D_bEUljE0_EEESW_SX_SY_S15_S19_S1B_T6_T7_T9_mT8_S1D_bDpT10_ENKUlT_T0_E_clISt17integral_constantIbLb0EES1R_EEDaS1M_S1N_EUlS1M_E_NS1_11comp_targetILNS1_3genE5ELNS1_11target_archE942ELNS1_3gpuE9ELNS1_3repE0EEENS1_30default_config_static_selectorELNS0_4arch9wavefront6targetE0EEEvSZ_
    .private_segment_fixed_size: 0
    .sgpr_count:     0
    .sgpr_spill_count: 0
    .symbol:         _ZN7rocprim17ROCPRIM_400000_NS6detail17trampoline_kernelINS0_13select_configILj256ELj13ELNS0_17block_load_methodE3ELS4_3ELS4_3ELNS0_20block_scan_algorithmE0ELj4294967295EEENS1_25partition_config_selectorILNS1_17partition_subalgoE4EjNS0_10empty_typeEbEEZZNS1_14partition_implILS8_4ELb0ES6_15HIP_vector_typeIjLj2EENS0_17counting_iteratorIjlEEPS9_SG_NS0_5tupleIJPjSI_NS0_16reverse_iteratorISI_EEEEENSH_IJSG_SG_SG_EEES9_SI_JZNS1_25segmented_radix_sort_implINS0_14default_configELb1EPKlPlSQ_SR_N2at6native12_GLOBAL__N_18offset_tEEE10hipError_tPvRmT1_PNSt15iterator_traitsISZ_E10value_typeET2_T3_PNS10_IS15_E10value_typeET4_jRbjT5_S1B_jjP12ihipStream_tbEUljE_ZNSN_ISO_Lb1ESQ_SR_SQ_SR_SV_EESW_SX_SY_SZ_S13_S14_S15_S18_S19_jS1A_jS1B_S1B_jjS1D_bEUljE0_EEESW_SX_SY_S15_S19_S1B_T6_T7_T9_mT8_S1D_bDpT10_ENKUlT_T0_E_clISt17integral_constantIbLb0EES1R_EEDaS1M_S1N_EUlS1M_E_NS1_11comp_targetILNS1_3genE5ELNS1_11target_archE942ELNS1_3gpuE9ELNS1_3repE0EEENS1_30default_config_static_selectorELNS0_4arch9wavefront6targetE0EEEvSZ_.kd
    .uniform_work_group_size: 1
    .uses_dynamic_stack: false
    .vgpr_count:     0
    .vgpr_spill_count: 0
    .wavefront_size: 32
    .workgroup_processor_mode: 1
  - .args:
      - .offset:         0
        .size:           176
        .value_kind:     by_value
    .group_segment_fixed_size: 0
    .kernarg_segment_align: 8
    .kernarg_segment_size: 176
    .language:       OpenCL C
    .language_version:
      - 2
      - 0
    .max_flat_workgroup_size: 256
    .name:           _ZN7rocprim17ROCPRIM_400000_NS6detail17trampoline_kernelINS0_13select_configILj256ELj13ELNS0_17block_load_methodE3ELS4_3ELS4_3ELNS0_20block_scan_algorithmE0ELj4294967295EEENS1_25partition_config_selectorILNS1_17partition_subalgoE4EjNS0_10empty_typeEbEEZZNS1_14partition_implILS8_4ELb0ES6_15HIP_vector_typeIjLj2EENS0_17counting_iteratorIjlEEPS9_SG_NS0_5tupleIJPjSI_NS0_16reverse_iteratorISI_EEEEENSH_IJSG_SG_SG_EEES9_SI_JZNS1_25segmented_radix_sort_implINS0_14default_configELb1EPKlPlSQ_SR_N2at6native12_GLOBAL__N_18offset_tEEE10hipError_tPvRmT1_PNSt15iterator_traitsISZ_E10value_typeET2_T3_PNS10_IS15_E10value_typeET4_jRbjT5_S1B_jjP12ihipStream_tbEUljE_ZNSN_ISO_Lb1ESQ_SR_SQ_SR_SV_EESW_SX_SY_SZ_S13_S14_S15_S18_S19_jS1A_jS1B_S1B_jjS1D_bEUljE0_EEESW_SX_SY_S15_S19_S1B_T6_T7_T9_mT8_S1D_bDpT10_ENKUlT_T0_E_clISt17integral_constantIbLb0EES1R_EEDaS1M_S1N_EUlS1M_E_NS1_11comp_targetILNS1_3genE4ELNS1_11target_archE910ELNS1_3gpuE8ELNS1_3repE0EEENS1_30default_config_static_selectorELNS0_4arch9wavefront6targetE0EEEvSZ_
    .private_segment_fixed_size: 0
    .sgpr_count:     0
    .sgpr_spill_count: 0
    .symbol:         _ZN7rocprim17ROCPRIM_400000_NS6detail17trampoline_kernelINS0_13select_configILj256ELj13ELNS0_17block_load_methodE3ELS4_3ELS4_3ELNS0_20block_scan_algorithmE0ELj4294967295EEENS1_25partition_config_selectorILNS1_17partition_subalgoE4EjNS0_10empty_typeEbEEZZNS1_14partition_implILS8_4ELb0ES6_15HIP_vector_typeIjLj2EENS0_17counting_iteratorIjlEEPS9_SG_NS0_5tupleIJPjSI_NS0_16reverse_iteratorISI_EEEEENSH_IJSG_SG_SG_EEES9_SI_JZNS1_25segmented_radix_sort_implINS0_14default_configELb1EPKlPlSQ_SR_N2at6native12_GLOBAL__N_18offset_tEEE10hipError_tPvRmT1_PNSt15iterator_traitsISZ_E10value_typeET2_T3_PNS10_IS15_E10value_typeET4_jRbjT5_S1B_jjP12ihipStream_tbEUljE_ZNSN_ISO_Lb1ESQ_SR_SQ_SR_SV_EESW_SX_SY_SZ_S13_S14_S15_S18_S19_jS1A_jS1B_S1B_jjS1D_bEUljE0_EEESW_SX_SY_S15_S19_S1B_T6_T7_T9_mT8_S1D_bDpT10_ENKUlT_T0_E_clISt17integral_constantIbLb0EES1R_EEDaS1M_S1N_EUlS1M_E_NS1_11comp_targetILNS1_3genE4ELNS1_11target_archE910ELNS1_3gpuE8ELNS1_3repE0EEENS1_30default_config_static_selectorELNS0_4arch9wavefront6targetE0EEEvSZ_.kd
    .uniform_work_group_size: 1
    .uses_dynamic_stack: false
    .vgpr_count:     0
    .vgpr_spill_count: 0
    .wavefront_size: 32
    .workgroup_processor_mode: 1
  - .args:
      - .offset:         0
        .size:           176
        .value_kind:     by_value
    .group_segment_fixed_size: 0
    .kernarg_segment_align: 8
    .kernarg_segment_size: 176
    .language:       OpenCL C
    .language_version:
      - 2
      - 0
    .max_flat_workgroup_size: 256
    .name:           _ZN7rocprim17ROCPRIM_400000_NS6detail17trampoline_kernelINS0_13select_configILj256ELj13ELNS0_17block_load_methodE3ELS4_3ELS4_3ELNS0_20block_scan_algorithmE0ELj4294967295EEENS1_25partition_config_selectorILNS1_17partition_subalgoE4EjNS0_10empty_typeEbEEZZNS1_14partition_implILS8_4ELb0ES6_15HIP_vector_typeIjLj2EENS0_17counting_iteratorIjlEEPS9_SG_NS0_5tupleIJPjSI_NS0_16reverse_iteratorISI_EEEEENSH_IJSG_SG_SG_EEES9_SI_JZNS1_25segmented_radix_sort_implINS0_14default_configELb1EPKlPlSQ_SR_N2at6native12_GLOBAL__N_18offset_tEEE10hipError_tPvRmT1_PNSt15iterator_traitsISZ_E10value_typeET2_T3_PNS10_IS15_E10value_typeET4_jRbjT5_S1B_jjP12ihipStream_tbEUljE_ZNSN_ISO_Lb1ESQ_SR_SQ_SR_SV_EESW_SX_SY_SZ_S13_S14_S15_S18_S19_jS1A_jS1B_S1B_jjS1D_bEUljE0_EEESW_SX_SY_S15_S19_S1B_T6_T7_T9_mT8_S1D_bDpT10_ENKUlT_T0_E_clISt17integral_constantIbLb0EES1R_EEDaS1M_S1N_EUlS1M_E_NS1_11comp_targetILNS1_3genE3ELNS1_11target_archE908ELNS1_3gpuE7ELNS1_3repE0EEENS1_30default_config_static_selectorELNS0_4arch9wavefront6targetE0EEEvSZ_
    .private_segment_fixed_size: 0
    .sgpr_count:     0
    .sgpr_spill_count: 0
    .symbol:         _ZN7rocprim17ROCPRIM_400000_NS6detail17trampoline_kernelINS0_13select_configILj256ELj13ELNS0_17block_load_methodE3ELS4_3ELS4_3ELNS0_20block_scan_algorithmE0ELj4294967295EEENS1_25partition_config_selectorILNS1_17partition_subalgoE4EjNS0_10empty_typeEbEEZZNS1_14partition_implILS8_4ELb0ES6_15HIP_vector_typeIjLj2EENS0_17counting_iteratorIjlEEPS9_SG_NS0_5tupleIJPjSI_NS0_16reverse_iteratorISI_EEEEENSH_IJSG_SG_SG_EEES9_SI_JZNS1_25segmented_radix_sort_implINS0_14default_configELb1EPKlPlSQ_SR_N2at6native12_GLOBAL__N_18offset_tEEE10hipError_tPvRmT1_PNSt15iterator_traitsISZ_E10value_typeET2_T3_PNS10_IS15_E10value_typeET4_jRbjT5_S1B_jjP12ihipStream_tbEUljE_ZNSN_ISO_Lb1ESQ_SR_SQ_SR_SV_EESW_SX_SY_SZ_S13_S14_S15_S18_S19_jS1A_jS1B_S1B_jjS1D_bEUljE0_EEESW_SX_SY_S15_S19_S1B_T6_T7_T9_mT8_S1D_bDpT10_ENKUlT_T0_E_clISt17integral_constantIbLb0EES1R_EEDaS1M_S1N_EUlS1M_E_NS1_11comp_targetILNS1_3genE3ELNS1_11target_archE908ELNS1_3gpuE7ELNS1_3repE0EEENS1_30default_config_static_selectorELNS0_4arch9wavefront6targetE0EEEvSZ_.kd
    .uniform_work_group_size: 1
    .uses_dynamic_stack: false
    .vgpr_count:     0
    .vgpr_spill_count: 0
    .wavefront_size: 32
    .workgroup_processor_mode: 1
  - .args:
      - .offset:         0
        .size:           176
        .value_kind:     by_value
    .group_segment_fixed_size: 0
    .kernarg_segment_align: 8
    .kernarg_segment_size: 176
    .language:       OpenCL C
    .language_version:
      - 2
      - 0
    .max_flat_workgroup_size: 256
    .name:           _ZN7rocprim17ROCPRIM_400000_NS6detail17trampoline_kernelINS0_13select_configILj256ELj13ELNS0_17block_load_methodE3ELS4_3ELS4_3ELNS0_20block_scan_algorithmE0ELj4294967295EEENS1_25partition_config_selectorILNS1_17partition_subalgoE4EjNS0_10empty_typeEbEEZZNS1_14partition_implILS8_4ELb0ES6_15HIP_vector_typeIjLj2EENS0_17counting_iteratorIjlEEPS9_SG_NS0_5tupleIJPjSI_NS0_16reverse_iteratorISI_EEEEENSH_IJSG_SG_SG_EEES9_SI_JZNS1_25segmented_radix_sort_implINS0_14default_configELb1EPKlPlSQ_SR_N2at6native12_GLOBAL__N_18offset_tEEE10hipError_tPvRmT1_PNSt15iterator_traitsISZ_E10value_typeET2_T3_PNS10_IS15_E10value_typeET4_jRbjT5_S1B_jjP12ihipStream_tbEUljE_ZNSN_ISO_Lb1ESQ_SR_SQ_SR_SV_EESW_SX_SY_SZ_S13_S14_S15_S18_S19_jS1A_jS1B_S1B_jjS1D_bEUljE0_EEESW_SX_SY_S15_S19_S1B_T6_T7_T9_mT8_S1D_bDpT10_ENKUlT_T0_E_clISt17integral_constantIbLb0EES1R_EEDaS1M_S1N_EUlS1M_E_NS1_11comp_targetILNS1_3genE2ELNS1_11target_archE906ELNS1_3gpuE6ELNS1_3repE0EEENS1_30default_config_static_selectorELNS0_4arch9wavefront6targetE0EEEvSZ_
    .private_segment_fixed_size: 0
    .sgpr_count:     0
    .sgpr_spill_count: 0
    .symbol:         _ZN7rocprim17ROCPRIM_400000_NS6detail17trampoline_kernelINS0_13select_configILj256ELj13ELNS0_17block_load_methodE3ELS4_3ELS4_3ELNS0_20block_scan_algorithmE0ELj4294967295EEENS1_25partition_config_selectorILNS1_17partition_subalgoE4EjNS0_10empty_typeEbEEZZNS1_14partition_implILS8_4ELb0ES6_15HIP_vector_typeIjLj2EENS0_17counting_iteratorIjlEEPS9_SG_NS0_5tupleIJPjSI_NS0_16reverse_iteratorISI_EEEEENSH_IJSG_SG_SG_EEES9_SI_JZNS1_25segmented_radix_sort_implINS0_14default_configELb1EPKlPlSQ_SR_N2at6native12_GLOBAL__N_18offset_tEEE10hipError_tPvRmT1_PNSt15iterator_traitsISZ_E10value_typeET2_T3_PNS10_IS15_E10value_typeET4_jRbjT5_S1B_jjP12ihipStream_tbEUljE_ZNSN_ISO_Lb1ESQ_SR_SQ_SR_SV_EESW_SX_SY_SZ_S13_S14_S15_S18_S19_jS1A_jS1B_S1B_jjS1D_bEUljE0_EEESW_SX_SY_S15_S19_S1B_T6_T7_T9_mT8_S1D_bDpT10_ENKUlT_T0_E_clISt17integral_constantIbLb0EES1R_EEDaS1M_S1N_EUlS1M_E_NS1_11comp_targetILNS1_3genE2ELNS1_11target_archE906ELNS1_3gpuE6ELNS1_3repE0EEENS1_30default_config_static_selectorELNS0_4arch9wavefront6targetE0EEEvSZ_.kd
    .uniform_work_group_size: 1
    .uses_dynamic_stack: false
    .vgpr_count:     0
    .vgpr_spill_count: 0
    .wavefront_size: 32
    .workgroup_processor_mode: 1
  - .args:
      - .offset:         0
        .size:           176
        .value_kind:     by_value
    .group_segment_fixed_size: 0
    .kernarg_segment_align: 8
    .kernarg_segment_size: 176
    .language:       OpenCL C
    .language_version:
      - 2
      - 0
    .max_flat_workgroup_size: 256
    .name:           _ZN7rocprim17ROCPRIM_400000_NS6detail17trampoline_kernelINS0_13select_configILj256ELj13ELNS0_17block_load_methodE3ELS4_3ELS4_3ELNS0_20block_scan_algorithmE0ELj4294967295EEENS1_25partition_config_selectorILNS1_17partition_subalgoE4EjNS0_10empty_typeEbEEZZNS1_14partition_implILS8_4ELb0ES6_15HIP_vector_typeIjLj2EENS0_17counting_iteratorIjlEEPS9_SG_NS0_5tupleIJPjSI_NS0_16reverse_iteratorISI_EEEEENSH_IJSG_SG_SG_EEES9_SI_JZNS1_25segmented_radix_sort_implINS0_14default_configELb1EPKlPlSQ_SR_N2at6native12_GLOBAL__N_18offset_tEEE10hipError_tPvRmT1_PNSt15iterator_traitsISZ_E10value_typeET2_T3_PNS10_IS15_E10value_typeET4_jRbjT5_S1B_jjP12ihipStream_tbEUljE_ZNSN_ISO_Lb1ESQ_SR_SQ_SR_SV_EESW_SX_SY_SZ_S13_S14_S15_S18_S19_jS1A_jS1B_S1B_jjS1D_bEUljE0_EEESW_SX_SY_S15_S19_S1B_T6_T7_T9_mT8_S1D_bDpT10_ENKUlT_T0_E_clISt17integral_constantIbLb0EES1R_EEDaS1M_S1N_EUlS1M_E_NS1_11comp_targetILNS1_3genE10ELNS1_11target_archE1200ELNS1_3gpuE4ELNS1_3repE0EEENS1_30default_config_static_selectorELNS0_4arch9wavefront6targetE0EEEvSZ_
    .private_segment_fixed_size: 0
    .sgpr_count:     0
    .sgpr_spill_count: 0
    .symbol:         _ZN7rocprim17ROCPRIM_400000_NS6detail17trampoline_kernelINS0_13select_configILj256ELj13ELNS0_17block_load_methodE3ELS4_3ELS4_3ELNS0_20block_scan_algorithmE0ELj4294967295EEENS1_25partition_config_selectorILNS1_17partition_subalgoE4EjNS0_10empty_typeEbEEZZNS1_14partition_implILS8_4ELb0ES6_15HIP_vector_typeIjLj2EENS0_17counting_iteratorIjlEEPS9_SG_NS0_5tupleIJPjSI_NS0_16reverse_iteratorISI_EEEEENSH_IJSG_SG_SG_EEES9_SI_JZNS1_25segmented_radix_sort_implINS0_14default_configELb1EPKlPlSQ_SR_N2at6native12_GLOBAL__N_18offset_tEEE10hipError_tPvRmT1_PNSt15iterator_traitsISZ_E10value_typeET2_T3_PNS10_IS15_E10value_typeET4_jRbjT5_S1B_jjP12ihipStream_tbEUljE_ZNSN_ISO_Lb1ESQ_SR_SQ_SR_SV_EESW_SX_SY_SZ_S13_S14_S15_S18_S19_jS1A_jS1B_S1B_jjS1D_bEUljE0_EEESW_SX_SY_S15_S19_S1B_T6_T7_T9_mT8_S1D_bDpT10_ENKUlT_T0_E_clISt17integral_constantIbLb0EES1R_EEDaS1M_S1N_EUlS1M_E_NS1_11comp_targetILNS1_3genE10ELNS1_11target_archE1200ELNS1_3gpuE4ELNS1_3repE0EEENS1_30default_config_static_selectorELNS0_4arch9wavefront6targetE0EEEvSZ_.kd
    .uniform_work_group_size: 1
    .uses_dynamic_stack: false
    .vgpr_count:     0
    .vgpr_spill_count: 0
    .wavefront_size: 32
    .workgroup_processor_mode: 1
  - .args:
      - .offset:         0
        .size:           176
        .value_kind:     by_value
    .group_segment_fixed_size: 13340
    .kernarg_segment_align: 8
    .kernarg_segment_size: 176
    .language:       OpenCL C
    .language_version:
      - 2
      - 0
    .max_flat_workgroup_size: 256
    .name:           _ZN7rocprim17ROCPRIM_400000_NS6detail17trampoline_kernelINS0_13select_configILj256ELj13ELNS0_17block_load_methodE3ELS4_3ELS4_3ELNS0_20block_scan_algorithmE0ELj4294967295EEENS1_25partition_config_selectorILNS1_17partition_subalgoE4EjNS0_10empty_typeEbEEZZNS1_14partition_implILS8_4ELb0ES6_15HIP_vector_typeIjLj2EENS0_17counting_iteratorIjlEEPS9_SG_NS0_5tupleIJPjSI_NS0_16reverse_iteratorISI_EEEEENSH_IJSG_SG_SG_EEES9_SI_JZNS1_25segmented_radix_sort_implINS0_14default_configELb1EPKlPlSQ_SR_N2at6native12_GLOBAL__N_18offset_tEEE10hipError_tPvRmT1_PNSt15iterator_traitsISZ_E10value_typeET2_T3_PNS10_IS15_E10value_typeET4_jRbjT5_S1B_jjP12ihipStream_tbEUljE_ZNSN_ISO_Lb1ESQ_SR_SQ_SR_SV_EESW_SX_SY_SZ_S13_S14_S15_S18_S19_jS1A_jS1B_S1B_jjS1D_bEUljE0_EEESW_SX_SY_S15_S19_S1B_T6_T7_T9_mT8_S1D_bDpT10_ENKUlT_T0_E_clISt17integral_constantIbLb0EES1R_EEDaS1M_S1N_EUlS1M_E_NS1_11comp_targetILNS1_3genE9ELNS1_11target_archE1100ELNS1_3gpuE3ELNS1_3repE0EEENS1_30default_config_static_selectorELNS0_4arch9wavefront6targetE0EEEvSZ_
    .private_segment_fixed_size: 0
    .sgpr_count:     61
    .sgpr_spill_count: 0
    .symbol:         _ZN7rocprim17ROCPRIM_400000_NS6detail17trampoline_kernelINS0_13select_configILj256ELj13ELNS0_17block_load_methodE3ELS4_3ELS4_3ELNS0_20block_scan_algorithmE0ELj4294967295EEENS1_25partition_config_selectorILNS1_17partition_subalgoE4EjNS0_10empty_typeEbEEZZNS1_14partition_implILS8_4ELb0ES6_15HIP_vector_typeIjLj2EENS0_17counting_iteratorIjlEEPS9_SG_NS0_5tupleIJPjSI_NS0_16reverse_iteratorISI_EEEEENSH_IJSG_SG_SG_EEES9_SI_JZNS1_25segmented_radix_sort_implINS0_14default_configELb1EPKlPlSQ_SR_N2at6native12_GLOBAL__N_18offset_tEEE10hipError_tPvRmT1_PNSt15iterator_traitsISZ_E10value_typeET2_T3_PNS10_IS15_E10value_typeET4_jRbjT5_S1B_jjP12ihipStream_tbEUljE_ZNSN_ISO_Lb1ESQ_SR_SQ_SR_SV_EESW_SX_SY_SZ_S13_S14_S15_S18_S19_jS1A_jS1B_S1B_jjS1D_bEUljE0_EEESW_SX_SY_S15_S19_S1B_T6_T7_T9_mT8_S1D_bDpT10_ENKUlT_T0_E_clISt17integral_constantIbLb0EES1R_EEDaS1M_S1N_EUlS1M_E_NS1_11comp_targetILNS1_3genE9ELNS1_11target_archE1100ELNS1_3gpuE3ELNS1_3repE0EEENS1_30default_config_static_selectorELNS0_4arch9wavefront6targetE0EEEvSZ_.kd
    .uniform_work_group_size: 1
    .uses_dynamic_stack: false
    .vgpr_count:     98
    .vgpr_spill_count: 0
    .wavefront_size: 32
    .workgroup_processor_mode: 1
  - .args:
      - .offset:         0
        .size:           176
        .value_kind:     by_value
    .group_segment_fixed_size: 0
    .kernarg_segment_align: 8
    .kernarg_segment_size: 176
    .language:       OpenCL C
    .language_version:
      - 2
      - 0
    .max_flat_workgroup_size: 256
    .name:           _ZN7rocprim17ROCPRIM_400000_NS6detail17trampoline_kernelINS0_13select_configILj256ELj13ELNS0_17block_load_methodE3ELS4_3ELS4_3ELNS0_20block_scan_algorithmE0ELj4294967295EEENS1_25partition_config_selectorILNS1_17partition_subalgoE4EjNS0_10empty_typeEbEEZZNS1_14partition_implILS8_4ELb0ES6_15HIP_vector_typeIjLj2EENS0_17counting_iteratorIjlEEPS9_SG_NS0_5tupleIJPjSI_NS0_16reverse_iteratorISI_EEEEENSH_IJSG_SG_SG_EEES9_SI_JZNS1_25segmented_radix_sort_implINS0_14default_configELb1EPKlPlSQ_SR_N2at6native12_GLOBAL__N_18offset_tEEE10hipError_tPvRmT1_PNSt15iterator_traitsISZ_E10value_typeET2_T3_PNS10_IS15_E10value_typeET4_jRbjT5_S1B_jjP12ihipStream_tbEUljE_ZNSN_ISO_Lb1ESQ_SR_SQ_SR_SV_EESW_SX_SY_SZ_S13_S14_S15_S18_S19_jS1A_jS1B_S1B_jjS1D_bEUljE0_EEESW_SX_SY_S15_S19_S1B_T6_T7_T9_mT8_S1D_bDpT10_ENKUlT_T0_E_clISt17integral_constantIbLb0EES1R_EEDaS1M_S1N_EUlS1M_E_NS1_11comp_targetILNS1_3genE8ELNS1_11target_archE1030ELNS1_3gpuE2ELNS1_3repE0EEENS1_30default_config_static_selectorELNS0_4arch9wavefront6targetE0EEEvSZ_
    .private_segment_fixed_size: 0
    .sgpr_count:     0
    .sgpr_spill_count: 0
    .symbol:         _ZN7rocprim17ROCPRIM_400000_NS6detail17trampoline_kernelINS0_13select_configILj256ELj13ELNS0_17block_load_methodE3ELS4_3ELS4_3ELNS0_20block_scan_algorithmE0ELj4294967295EEENS1_25partition_config_selectorILNS1_17partition_subalgoE4EjNS0_10empty_typeEbEEZZNS1_14partition_implILS8_4ELb0ES6_15HIP_vector_typeIjLj2EENS0_17counting_iteratorIjlEEPS9_SG_NS0_5tupleIJPjSI_NS0_16reverse_iteratorISI_EEEEENSH_IJSG_SG_SG_EEES9_SI_JZNS1_25segmented_radix_sort_implINS0_14default_configELb1EPKlPlSQ_SR_N2at6native12_GLOBAL__N_18offset_tEEE10hipError_tPvRmT1_PNSt15iterator_traitsISZ_E10value_typeET2_T3_PNS10_IS15_E10value_typeET4_jRbjT5_S1B_jjP12ihipStream_tbEUljE_ZNSN_ISO_Lb1ESQ_SR_SQ_SR_SV_EESW_SX_SY_SZ_S13_S14_S15_S18_S19_jS1A_jS1B_S1B_jjS1D_bEUljE0_EEESW_SX_SY_S15_S19_S1B_T6_T7_T9_mT8_S1D_bDpT10_ENKUlT_T0_E_clISt17integral_constantIbLb0EES1R_EEDaS1M_S1N_EUlS1M_E_NS1_11comp_targetILNS1_3genE8ELNS1_11target_archE1030ELNS1_3gpuE2ELNS1_3repE0EEENS1_30default_config_static_selectorELNS0_4arch9wavefront6targetE0EEEvSZ_.kd
    .uniform_work_group_size: 1
    .uses_dynamic_stack: false
    .vgpr_count:     0
    .vgpr_spill_count: 0
    .wavefront_size: 32
    .workgroup_processor_mode: 1
  - .args:
      - .offset:         0
        .size:           184
        .value_kind:     by_value
    .group_segment_fixed_size: 0
    .kernarg_segment_align: 8
    .kernarg_segment_size: 184
    .language:       OpenCL C
    .language_version:
      - 2
      - 0
    .max_flat_workgroup_size: 256
    .name:           _ZN7rocprim17ROCPRIM_400000_NS6detail17trampoline_kernelINS0_13select_configILj256ELj13ELNS0_17block_load_methodE3ELS4_3ELS4_3ELNS0_20block_scan_algorithmE0ELj4294967295EEENS1_25partition_config_selectorILNS1_17partition_subalgoE4EjNS0_10empty_typeEbEEZZNS1_14partition_implILS8_4ELb0ES6_15HIP_vector_typeIjLj2EENS0_17counting_iteratorIjlEEPS9_SG_NS0_5tupleIJPjSI_NS0_16reverse_iteratorISI_EEEEENSH_IJSG_SG_SG_EEES9_SI_JZNS1_25segmented_radix_sort_implINS0_14default_configELb1EPKlPlSQ_SR_N2at6native12_GLOBAL__N_18offset_tEEE10hipError_tPvRmT1_PNSt15iterator_traitsISZ_E10value_typeET2_T3_PNS10_IS15_E10value_typeET4_jRbjT5_S1B_jjP12ihipStream_tbEUljE_ZNSN_ISO_Lb1ESQ_SR_SQ_SR_SV_EESW_SX_SY_SZ_S13_S14_S15_S18_S19_jS1A_jS1B_S1B_jjS1D_bEUljE0_EEESW_SX_SY_S15_S19_S1B_T6_T7_T9_mT8_S1D_bDpT10_ENKUlT_T0_E_clISt17integral_constantIbLb1EES1R_EEDaS1M_S1N_EUlS1M_E_NS1_11comp_targetILNS1_3genE0ELNS1_11target_archE4294967295ELNS1_3gpuE0ELNS1_3repE0EEENS1_30default_config_static_selectorELNS0_4arch9wavefront6targetE0EEEvSZ_
    .private_segment_fixed_size: 0
    .sgpr_count:     0
    .sgpr_spill_count: 0
    .symbol:         _ZN7rocprim17ROCPRIM_400000_NS6detail17trampoline_kernelINS0_13select_configILj256ELj13ELNS0_17block_load_methodE3ELS4_3ELS4_3ELNS0_20block_scan_algorithmE0ELj4294967295EEENS1_25partition_config_selectorILNS1_17partition_subalgoE4EjNS0_10empty_typeEbEEZZNS1_14partition_implILS8_4ELb0ES6_15HIP_vector_typeIjLj2EENS0_17counting_iteratorIjlEEPS9_SG_NS0_5tupleIJPjSI_NS0_16reverse_iteratorISI_EEEEENSH_IJSG_SG_SG_EEES9_SI_JZNS1_25segmented_radix_sort_implINS0_14default_configELb1EPKlPlSQ_SR_N2at6native12_GLOBAL__N_18offset_tEEE10hipError_tPvRmT1_PNSt15iterator_traitsISZ_E10value_typeET2_T3_PNS10_IS15_E10value_typeET4_jRbjT5_S1B_jjP12ihipStream_tbEUljE_ZNSN_ISO_Lb1ESQ_SR_SQ_SR_SV_EESW_SX_SY_SZ_S13_S14_S15_S18_S19_jS1A_jS1B_S1B_jjS1D_bEUljE0_EEESW_SX_SY_S15_S19_S1B_T6_T7_T9_mT8_S1D_bDpT10_ENKUlT_T0_E_clISt17integral_constantIbLb1EES1R_EEDaS1M_S1N_EUlS1M_E_NS1_11comp_targetILNS1_3genE0ELNS1_11target_archE4294967295ELNS1_3gpuE0ELNS1_3repE0EEENS1_30default_config_static_selectorELNS0_4arch9wavefront6targetE0EEEvSZ_.kd
    .uniform_work_group_size: 1
    .uses_dynamic_stack: false
    .vgpr_count:     0
    .vgpr_spill_count: 0
    .wavefront_size: 32
    .workgroup_processor_mode: 1
  - .args:
      - .offset:         0
        .size:           184
        .value_kind:     by_value
    .group_segment_fixed_size: 0
    .kernarg_segment_align: 8
    .kernarg_segment_size: 184
    .language:       OpenCL C
    .language_version:
      - 2
      - 0
    .max_flat_workgroup_size: 256
    .name:           _ZN7rocprim17ROCPRIM_400000_NS6detail17trampoline_kernelINS0_13select_configILj256ELj13ELNS0_17block_load_methodE3ELS4_3ELS4_3ELNS0_20block_scan_algorithmE0ELj4294967295EEENS1_25partition_config_selectorILNS1_17partition_subalgoE4EjNS0_10empty_typeEbEEZZNS1_14partition_implILS8_4ELb0ES6_15HIP_vector_typeIjLj2EENS0_17counting_iteratorIjlEEPS9_SG_NS0_5tupleIJPjSI_NS0_16reverse_iteratorISI_EEEEENSH_IJSG_SG_SG_EEES9_SI_JZNS1_25segmented_radix_sort_implINS0_14default_configELb1EPKlPlSQ_SR_N2at6native12_GLOBAL__N_18offset_tEEE10hipError_tPvRmT1_PNSt15iterator_traitsISZ_E10value_typeET2_T3_PNS10_IS15_E10value_typeET4_jRbjT5_S1B_jjP12ihipStream_tbEUljE_ZNSN_ISO_Lb1ESQ_SR_SQ_SR_SV_EESW_SX_SY_SZ_S13_S14_S15_S18_S19_jS1A_jS1B_S1B_jjS1D_bEUljE0_EEESW_SX_SY_S15_S19_S1B_T6_T7_T9_mT8_S1D_bDpT10_ENKUlT_T0_E_clISt17integral_constantIbLb1EES1R_EEDaS1M_S1N_EUlS1M_E_NS1_11comp_targetILNS1_3genE5ELNS1_11target_archE942ELNS1_3gpuE9ELNS1_3repE0EEENS1_30default_config_static_selectorELNS0_4arch9wavefront6targetE0EEEvSZ_
    .private_segment_fixed_size: 0
    .sgpr_count:     0
    .sgpr_spill_count: 0
    .symbol:         _ZN7rocprim17ROCPRIM_400000_NS6detail17trampoline_kernelINS0_13select_configILj256ELj13ELNS0_17block_load_methodE3ELS4_3ELS4_3ELNS0_20block_scan_algorithmE0ELj4294967295EEENS1_25partition_config_selectorILNS1_17partition_subalgoE4EjNS0_10empty_typeEbEEZZNS1_14partition_implILS8_4ELb0ES6_15HIP_vector_typeIjLj2EENS0_17counting_iteratorIjlEEPS9_SG_NS0_5tupleIJPjSI_NS0_16reverse_iteratorISI_EEEEENSH_IJSG_SG_SG_EEES9_SI_JZNS1_25segmented_radix_sort_implINS0_14default_configELb1EPKlPlSQ_SR_N2at6native12_GLOBAL__N_18offset_tEEE10hipError_tPvRmT1_PNSt15iterator_traitsISZ_E10value_typeET2_T3_PNS10_IS15_E10value_typeET4_jRbjT5_S1B_jjP12ihipStream_tbEUljE_ZNSN_ISO_Lb1ESQ_SR_SQ_SR_SV_EESW_SX_SY_SZ_S13_S14_S15_S18_S19_jS1A_jS1B_S1B_jjS1D_bEUljE0_EEESW_SX_SY_S15_S19_S1B_T6_T7_T9_mT8_S1D_bDpT10_ENKUlT_T0_E_clISt17integral_constantIbLb1EES1R_EEDaS1M_S1N_EUlS1M_E_NS1_11comp_targetILNS1_3genE5ELNS1_11target_archE942ELNS1_3gpuE9ELNS1_3repE0EEENS1_30default_config_static_selectorELNS0_4arch9wavefront6targetE0EEEvSZ_.kd
    .uniform_work_group_size: 1
    .uses_dynamic_stack: false
    .vgpr_count:     0
    .vgpr_spill_count: 0
    .wavefront_size: 32
    .workgroup_processor_mode: 1
  - .args:
      - .offset:         0
        .size:           184
        .value_kind:     by_value
    .group_segment_fixed_size: 0
    .kernarg_segment_align: 8
    .kernarg_segment_size: 184
    .language:       OpenCL C
    .language_version:
      - 2
      - 0
    .max_flat_workgroup_size: 256
    .name:           _ZN7rocprim17ROCPRIM_400000_NS6detail17trampoline_kernelINS0_13select_configILj256ELj13ELNS0_17block_load_methodE3ELS4_3ELS4_3ELNS0_20block_scan_algorithmE0ELj4294967295EEENS1_25partition_config_selectorILNS1_17partition_subalgoE4EjNS0_10empty_typeEbEEZZNS1_14partition_implILS8_4ELb0ES6_15HIP_vector_typeIjLj2EENS0_17counting_iteratorIjlEEPS9_SG_NS0_5tupleIJPjSI_NS0_16reverse_iteratorISI_EEEEENSH_IJSG_SG_SG_EEES9_SI_JZNS1_25segmented_radix_sort_implINS0_14default_configELb1EPKlPlSQ_SR_N2at6native12_GLOBAL__N_18offset_tEEE10hipError_tPvRmT1_PNSt15iterator_traitsISZ_E10value_typeET2_T3_PNS10_IS15_E10value_typeET4_jRbjT5_S1B_jjP12ihipStream_tbEUljE_ZNSN_ISO_Lb1ESQ_SR_SQ_SR_SV_EESW_SX_SY_SZ_S13_S14_S15_S18_S19_jS1A_jS1B_S1B_jjS1D_bEUljE0_EEESW_SX_SY_S15_S19_S1B_T6_T7_T9_mT8_S1D_bDpT10_ENKUlT_T0_E_clISt17integral_constantIbLb1EES1R_EEDaS1M_S1N_EUlS1M_E_NS1_11comp_targetILNS1_3genE4ELNS1_11target_archE910ELNS1_3gpuE8ELNS1_3repE0EEENS1_30default_config_static_selectorELNS0_4arch9wavefront6targetE0EEEvSZ_
    .private_segment_fixed_size: 0
    .sgpr_count:     0
    .sgpr_spill_count: 0
    .symbol:         _ZN7rocprim17ROCPRIM_400000_NS6detail17trampoline_kernelINS0_13select_configILj256ELj13ELNS0_17block_load_methodE3ELS4_3ELS4_3ELNS0_20block_scan_algorithmE0ELj4294967295EEENS1_25partition_config_selectorILNS1_17partition_subalgoE4EjNS0_10empty_typeEbEEZZNS1_14partition_implILS8_4ELb0ES6_15HIP_vector_typeIjLj2EENS0_17counting_iteratorIjlEEPS9_SG_NS0_5tupleIJPjSI_NS0_16reverse_iteratorISI_EEEEENSH_IJSG_SG_SG_EEES9_SI_JZNS1_25segmented_radix_sort_implINS0_14default_configELb1EPKlPlSQ_SR_N2at6native12_GLOBAL__N_18offset_tEEE10hipError_tPvRmT1_PNSt15iterator_traitsISZ_E10value_typeET2_T3_PNS10_IS15_E10value_typeET4_jRbjT5_S1B_jjP12ihipStream_tbEUljE_ZNSN_ISO_Lb1ESQ_SR_SQ_SR_SV_EESW_SX_SY_SZ_S13_S14_S15_S18_S19_jS1A_jS1B_S1B_jjS1D_bEUljE0_EEESW_SX_SY_S15_S19_S1B_T6_T7_T9_mT8_S1D_bDpT10_ENKUlT_T0_E_clISt17integral_constantIbLb1EES1R_EEDaS1M_S1N_EUlS1M_E_NS1_11comp_targetILNS1_3genE4ELNS1_11target_archE910ELNS1_3gpuE8ELNS1_3repE0EEENS1_30default_config_static_selectorELNS0_4arch9wavefront6targetE0EEEvSZ_.kd
    .uniform_work_group_size: 1
    .uses_dynamic_stack: false
    .vgpr_count:     0
    .vgpr_spill_count: 0
    .wavefront_size: 32
    .workgroup_processor_mode: 1
  - .args:
      - .offset:         0
        .size:           184
        .value_kind:     by_value
    .group_segment_fixed_size: 0
    .kernarg_segment_align: 8
    .kernarg_segment_size: 184
    .language:       OpenCL C
    .language_version:
      - 2
      - 0
    .max_flat_workgroup_size: 256
    .name:           _ZN7rocprim17ROCPRIM_400000_NS6detail17trampoline_kernelINS0_13select_configILj256ELj13ELNS0_17block_load_methodE3ELS4_3ELS4_3ELNS0_20block_scan_algorithmE0ELj4294967295EEENS1_25partition_config_selectorILNS1_17partition_subalgoE4EjNS0_10empty_typeEbEEZZNS1_14partition_implILS8_4ELb0ES6_15HIP_vector_typeIjLj2EENS0_17counting_iteratorIjlEEPS9_SG_NS0_5tupleIJPjSI_NS0_16reverse_iteratorISI_EEEEENSH_IJSG_SG_SG_EEES9_SI_JZNS1_25segmented_radix_sort_implINS0_14default_configELb1EPKlPlSQ_SR_N2at6native12_GLOBAL__N_18offset_tEEE10hipError_tPvRmT1_PNSt15iterator_traitsISZ_E10value_typeET2_T3_PNS10_IS15_E10value_typeET4_jRbjT5_S1B_jjP12ihipStream_tbEUljE_ZNSN_ISO_Lb1ESQ_SR_SQ_SR_SV_EESW_SX_SY_SZ_S13_S14_S15_S18_S19_jS1A_jS1B_S1B_jjS1D_bEUljE0_EEESW_SX_SY_S15_S19_S1B_T6_T7_T9_mT8_S1D_bDpT10_ENKUlT_T0_E_clISt17integral_constantIbLb1EES1R_EEDaS1M_S1N_EUlS1M_E_NS1_11comp_targetILNS1_3genE3ELNS1_11target_archE908ELNS1_3gpuE7ELNS1_3repE0EEENS1_30default_config_static_selectorELNS0_4arch9wavefront6targetE0EEEvSZ_
    .private_segment_fixed_size: 0
    .sgpr_count:     0
    .sgpr_spill_count: 0
    .symbol:         _ZN7rocprim17ROCPRIM_400000_NS6detail17trampoline_kernelINS0_13select_configILj256ELj13ELNS0_17block_load_methodE3ELS4_3ELS4_3ELNS0_20block_scan_algorithmE0ELj4294967295EEENS1_25partition_config_selectorILNS1_17partition_subalgoE4EjNS0_10empty_typeEbEEZZNS1_14partition_implILS8_4ELb0ES6_15HIP_vector_typeIjLj2EENS0_17counting_iteratorIjlEEPS9_SG_NS0_5tupleIJPjSI_NS0_16reverse_iteratorISI_EEEEENSH_IJSG_SG_SG_EEES9_SI_JZNS1_25segmented_radix_sort_implINS0_14default_configELb1EPKlPlSQ_SR_N2at6native12_GLOBAL__N_18offset_tEEE10hipError_tPvRmT1_PNSt15iterator_traitsISZ_E10value_typeET2_T3_PNS10_IS15_E10value_typeET4_jRbjT5_S1B_jjP12ihipStream_tbEUljE_ZNSN_ISO_Lb1ESQ_SR_SQ_SR_SV_EESW_SX_SY_SZ_S13_S14_S15_S18_S19_jS1A_jS1B_S1B_jjS1D_bEUljE0_EEESW_SX_SY_S15_S19_S1B_T6_T7_T9_mT8_S1D_bDpT10_ENKUlT_T0_E_clISt17integral_constantIbLb1EES1R_EEDaS1M_S1N_EUlS1M_E_NS1_11comp_targetILNS1_3genE3ELNS1_11target_archE908ELNS1_3gpuE7ELNS1_3repE0EEENS1_30default_config_static_selectorELNS0_4arch9wavefront6targetE0EEEvSZ_.kd
    .uniform_work_group_size: 1
    .uses_dynamic_stack: false
    .vgpr_count:     0
    .vgpr_spill_count: 0
    .wavefront_size: 32
    .workgroup_processor_mode: 1
  - .args:
      - .offset:         0
        .size:           184
        .value_kind:     by_value
    .group_segment_fixed_size: 0
    .kernarg_segment_align: 8
    .kernarg_segment_size: 184
    .language:       OpenCL C
    .language_version:
      - 2
      - 0
    .max_flat_workgroup_size: 256
    .name:           _ZN7rocprim17ROCPRIM_400000_NS6detail17trampoline_kernelINS0_13select_configILj256ELj13ELNS0_17block_load_methodE3ELS4_3ELS4_3ELNS0_20block_scan_algorithmE0ELj4294967295EEENS1_25partition_config_selectorILNS1_17partition_subalgoE4EjNS0_10empty_typeEbEEZZNS1_14partition_implILS8_4ELb0ES6_15HIP_vector_typeIjLj2EENS0_17counting_iteratorIjlEEPS9_SG_NS0_5tupleIJPjSI_NS0_16reverse_iteratorISI_EEEEENSH_IJSG_SG_SG_EEES9_SI_JZNS1_25segmented_radix_sort_implINS0_14default_configELb1EPKlPlSQ_SR_N2at6native12_GLOBAL__N_18offset_tEEE10hipError_tPvRmT1_PNSt15iterator_traitsISZ_E10value_typeET2_T3_PNS10_IS15_E10value_typeET4_jRbjT5_S1B_jjP12ihipStream_tbEUljE_ZNSN_ISO_Lb1ESQ_SR_SQ_SR_SV_EESW_SX_SY_SZ_S13_S14_S15_S18_S19_jS1A_jS1B_S1B_jjS1D_bEUljE0_EEESW_SX_SY_S15_S19_S1B_T6_T7_T9_mT8_S1D_bDpT10_ENKUlT_T0_E_clISt17integral_constantIbLb1EES1R_EEDaS1M_S1N_EUlS1M_E_NS1_11comp_targetILNS1_3genE2ELNS1_11target_archE906ELNS1_3gpuE6ELNS1_3repE0EEENS1_30default_config_static_selectorELNS0_4arch9wavefront6targetE0EEEvSZ_
    .private_segment_fixed_size: 0
    .sgpr_count:     0
    .sgpr_spill_count: 0
    .symbol:         _ZN7rocprim17ROCPRIM_400000_NS6detail17trampoline_kernelINS0_13select_configILj256ELj13ELNS0_17block_load_methodE3ELS4_3ELS4_3ELNS0_20block_scan_algorithmE0ELj4294967295EEENS1_25partition_config_selectorILNS1_17partition_subalgoE4EjNS0_10empty_typeEbEEZZNS1_14partition_implILS8_4ELb0ES6_15HIP_vector_typeIjLj2EENS0_17counting_iteratorIjlEEPS9_SG_NS0_5tupleIJPjSI_NS0_16reverse_iteratorISI_EEEEENSH_IJSG_SG_SG_EEES9_SI_JZNS1_25segmented_radix_sort_implINS0_14default_configELb1EPKlPlSQ_SR_N2at6native12_GLOBAL__N_18offset_tEEE10hipError_tPvRmT1_PNSt15iterator_traitsISZ_E10value_typeET2_T3_PNS10_IS15_E10value_typeET4_jRbjT5_S1B_jjP12ihipStream_tbEUljE_ZNSN_ISO_Lb1ESQ_SR_SQ_SR_SV_EESW_SX_SY_SZ_S13_S14_S15_S18_S19_jS1A_jS1B_S1B_jjS1D_bEUljE0_EEESW_SX_SY_S15_S19_S1B_T6_T7_T9_mT8_S1D_bDpT10_ENKUlT_T0_E_clISt17integral_constantIbLb1EES1R_EEDaS1M_S1N_EUlS1M_E_NS1_11comp_targetILNS1_3genE2ELNS1_11target_archE906ELNS1_3gpuE6ELNS1_3repE0EEENS1_30default_config_static_selectorELNS0_4arch9wavefront6targetE0EEEvSZ_.kd
    .uniform_work_group_size: 1
    .uses_dynamic_stack: false
    .vgpr_count:     0
    .vgpr_spill_count: 0
    .wavefront_size: 32
    .workgroup_processor_mode: 1
  - .args:
      - .offset:         0
        .size:           184
        .value_kind:     by_value
    .group_segment_fixed_size: 0
    .kernarg_segment_align: 8
    .kernarg_segment_size: 184
    .language:       OpenCL C
    .language_version:
      - 2
      - 0
    .max_flat_workgroup_size: 256
    .name:           _ZN7rocprim17ROCPRIM_400000_NS6detail17trampoline_kernelINS0_13select_configILj256ELj13ELNS0_17block_load_methodE3ELS4_3ELS4_3ELNS0_20block_scan_algorithmE0ELj4294967295EEENS1_25partition_config_selectorILNS1_17partition_subalgoE4EjNS0_10empty_typeEbEEZZNS1_14partition_implILS8_4ELb0ES6_15HIP_vector_typeIjLj2EENS0_17counting_iteratorIjlEEPS9_SG_NS0_5tupleIJPjSI_NS0_16reverse_iteratorISI_EEEEENSH_IJSG_SG_SG_EEES9_SI_JZNS1_25segmented_radix_sort_implINS0_14default_configELb1EPKlPlSQ_SR_N2at6native12_GLOBAL__N_18offset_tEEE10hipError_tPvRmT1_PNSt15iterator_traitsISZ_E10value_typeET2_T3_PNS10_IS15_E10value_typeET4_jRbjT5_S1B_jjP12ihipStream_tbEUljE_ZNSN_ISO_Lb1ESQ_SR_SQ_SR_SV_EESW_SX_SY_SZ_S13_S14_S15_S18_S19_jS1A_jS1B_S1B_jjS1D_bEUljE0_EEESW_SX_SY_S15_S19_S1B_T6_T7_T9_mT8_S1D_bDpT10_ENKUlT_T0_E_clISt17integral_constantIbLb1EES1R_EEDaS1M_S1N_EUlS1M_E_NS1_11comp_targetILNS1_3genE10ELNS1_11target_archE1200ELNS1_3gpuE4ELNS1_3repE0EEENS1_30default_config_static_selectorELNS0_4arch9wavefront6targetE0EEEvSZ_
    .private_segment_fixed_size: 0
    .sgpr_count:     0
    .sgpr_spill_count: 0
    .symbol:         _ZN7rocprim17ROCPRIM_400000_NS6detail17trampoline_kernelINS0_13select_configILj256ELj13ELNS0_17block_load_methodE3ELS4_3ELS4_3ELNS0_20block_scan_algorithmE0ELj4294967295EEENS1_25partition_config_selectorILNS1_17partition_subalgoE4EjNS0_10empty_typeEbEEZZNS1_14partition_implILS8_4ELb0ES6_15HIP_vector_typeIjLj2EENS0_17counting_iteratorIjlEEPS9_SG_NS0_5tupleIJPjSI_NS0_16reverse_iteratorISI_EEEEENSH_IJSG_SG_SG_EEES9_SI_JZNS1_25segmented_radix_sort_implINS0_14default_configELb1EPKlPlSQ_SR_N2at6native12_GLOBAL__N_18offset_tEEE10hipError_tPvRmT1_PNSt15iterator_traitsISZ_E10value_typeET2_T3_PNS10_IS15_E10value_typeET4_jRbjT5_S1B_jjP12ihipStream_tbEUljE_ZNSN_ISO_Lb1ESQ_SR_SQ_SR_SV_EESW_SX_SY_SZ_S13_S14_S15_S18_S19_jS1A_jS1B_S1B_jjS1D_bEUljE0_EEESW_SX_SY_S15_S19_S1B_T6_T7_T9_mT8_S1D_bDpT10_ENKUlT_T0_E_clISt17integral_constantIbLb1EES1R_EEDaS1M_S1N_EUlS1M_E_NS1_11comp_targetILNS1_3genE10ELNS1_11target_archE1200ELNS1_3gpuE4ELNS1_3repE0EEENS1_30default_config_static_selectorELNS0_4arch9wavefront6targetE0EEEvSZ_.kd
    .uniform_work_group_size: 1
    .uses_dynamic_stack: false
    .vgpr_count:     0
    .vgpr_spill_count: 0
    .wavefront_size: 32
    .workgroup_processor_mode: 1
  - .args:
      - .offset:         0
        .size:           184
        .value_kind:     by_value
    .group_segment_fixed_size: 13340
    .kernarg_segment_align: 8
    .kernarg_segment_size: 184
    .language:       OpenCL C
    .language_version:
      - 2
      - 0
    .max_flat_workgroup_size: 256
    .name:           _ZN7rocprim17ROCPRIM_400000_NS6detail17trampoline_kernelINS0_13select_configILj256ELj13ELNS0_17block_load_methodE3ELS4_3ELS4_3ELNS0_20block_scan_algorithmE0ELj4294967295EEENS1_25partition_config_selectorILNS1_17partition_subalgoE4EjNS0_10empty_typeEbEEZZNS1_14partition_implILS8_4ELb0ES6_15HIP_vector_typeIjLj2EENS0_17counting_iteratorIjlEEPS9_SG_NS0_5tupleIJPjSI_NS0_16reverse_iteratorISI_EEEEENSH_IJSG_SG_SG_EEES9_SI_JZNS1_25segmented_radix_sort_implINS0_14default_configELb1EPKlPlSQ_SR_N2at6native12_GLOBAL__N_18offset_tEEE10hipError_tPvRmT1_PNSt15iterator_traitsISZ_E10value_typeET2_T3_PNS10_IS15_E10value_typeET4_jRbjT5_S1B_jjP12ihipStream_tbEUljE_ZNSN_ISO_Lb1ESQ_SR_SQ_SR_SV_EESW_SX_SY_SZ_S13_S14_S15_S18_S19_jS1A_jS1B_S1B_jjS1D_bEUljE0_EEESW_SX_SY_S15_S19_S1B_T6_T7_T9_mT8_S1D_bDpT10_ENKUlT_T0_E_clISt17integral_constantIbLb1EES1R_EEDaS1M_S1N_EUlS1M_E_NS1_11comp_targetILNS1_3genE9ELNS1_11target_archE1100ELNS1_3gpuE3ELNS1_3repE0EEENS1_30default_config_static_selectorELNS0_4arch9wavefront6targetE0EEEvSZ_
    .private_segment_fixed_size: 0
    .sgpr_count:     57
    .sgpr_spill_count: 0
    .symbol:         _ZN7rocprim17ROCPRIM_400000_NS6detail17trampoline_kernelINS0_13select_configILj256ELj13ELNS0_17block_load_methodE3ELS4_3ELS4_3ELNS0_20block_scan_algorithmE0ELj4294967295EEENS1_25partition_config_selectorILNS1_17partition_subalgoE4EjNS0_10empty_typeEbEEZZNS1_14partition_implILS8_4ELb0ES6_15HIP_vector_typeIjLj2EENS0_17counting_iteratorIjlEEPS9_SG_NS0_5tupleIJPjSI_NS0_16reverse_iteratorISI_EEEEENSH_IJSG_SG_SG_EEES9_SI_JZNS1_25segmented_radix_sort_implINS0_14default_configELb1EPKlPlSQ_SR_N2at6native12_GLOBAL__N_18offset_tEEE10hipError_tPvRmT1_PNSt15iterator_traitsISZ_E10value_typeET2_T3_PNS10_IS15_E10value_typeET4_jRbjT5_S1B_jjP12ihipStream_tbEUljE_ZNSN_ISO_Lb1ESQ_SR_SQ_SR_SV_EESW_SX_SY_SZ_S13_S14_S15_S18_S19_jS1A_jS1B_S1B_jjS1D_bEUljE0_EEESW_SX_SY_S15_S19_S1B_T6_T7_T9_mT8_S1D_bDpT10_ENKUlT_T0_E_clISt17integral_constantIbLb1EES1R_EEDaS1M_S1N_EUlS1M_E_NS1_11comp_targetILNS1_3genE9ELNS1_11target_archE1100ELNS1_3gpuE3ELNS1_3repE0EEENS1_30default_config_static_selectorELNS0_4arch9wavefront6targetE0EEEvSZ_.kd
    .uniform_work_group_size: 1
    .uses_dynamic_stack: false
    .vgpr_count:     103
    .vgpr_spill_count: 0
    .wavefront_size: 32
    .workgroup_processor_mode: 1
  - .args:
      - .offset:         0
        .size:           184
        .value_kind:     by_value
    .group_segment_fixed_size: 0
    .kernarg_segment_align: 8
    .kernarg_segment_size: 184
    .language:       OpenCL C
    .language_version:
      - 2
      - 0
    .max_flat_workgroup_size: 256
    .name:           _ZN7rocprim17ROCPRIM_400000_NS6detail17trampoline_kernelINS0_13select_configILj256ELj13ELNS0_17block_load_methodE3ELS4_3ELS4_3ELNS0_20block_scan_algorithmE0ELj4294967295EEENS1_25partition_config_selectorILNS1_17partition_subalgoE4EjNS0_10empty_typeEbEEZZNS1_14partition_implILS8_4ELb0ES6_15HIP_vector_typeIjLj2EENS0_17counting_iteratorIjlEEPS9_SG_NS0_5tupleIJPjSI_NS0_16reverse_iteratorISI_EEEEENSH_IJSG_SG_SG_EEES9_SI_JZNS1_25segmented_radix_sort_implINS0_14default_configELb1EPKlPlSQ_SR_N2at6native12_GLOBAL__N_18offset_tEEE10hipError_tPvRmT1_PNSt15iterator_traitsISZ_E10value_typeET2_T3_PNS10_IS15_E10value_typeET4_jRbjT5_S1B_jjP12ihipStream_tbEUljE_ZNSN_ISO_Lb1ESQ_SR_SQ_SR_SV_EESW_SX_SY_SZ_S13_S14_S15_S18_S19_jS1A_jS1B_S1B_jjS1D_bEUljE0_EEESW_SX_SY_S15_S19_S1B_T6_T7_T9_mT8_S1D_bDpT10_ENKUlT_T0_E_clISt17integral_constantIbLb1EES1R_EEDaS1M_S1N_EUlS1M_E_NS1_11comp_targetILNS1_3genE8ELNS1_11target_archE1030ELNS1_3gpuE2ELNS1_3repE0EEENS1_30default_config_static_selectorELNS0_4arch9wavefront6targetE0EEEvSZ_
    .private_segment_fixed_size: 0
    .sgpr_count:     0
    .sgpr_spill_count: 0
    .symbol:         _ZN7rocprim17ROCPRIM_400000_NS6detail17trampoline_kernelINS0_13select_configILj256ELj13ELNS0_17block_load_methodE3ELS4_3ELS4_3ELNS0_20block_scan_algorithmE0ELj4294967295EEENS1_25partition_config_selectorILNS1_17partition_subalgoE4EjNS0_10empty_typeEbEEZZNS1_14partition_implILS8_4ELb0ES6_15HIP_vector_typeIjLj2EENS0_17counting_iteratorIjlEEPS9_SG_NS0_5tupleIJPjSI_NS0_16reverse_iteratorISI_EEEEENSH_IJSG_SG_SG_EEES9_SI_JZNS1_25segmented_radix_sort_implINS0_14default_configELb1EPKlPlSQ_SR_N2at6native12_GLOBAL__N_18offset_tEEE10hipError_tPvRmT1_PNSt15iterator_traitsISZ_E10value_typeET2_T3_PNS10_IS15_E10value_typeET4_jRbjT5_S1B_jjP12ihipStream_tbEUljE_ZNSN_ISO_Lb1ESQ_SR_SQ_SR_SV_EESW_SX_SY_SZ_S13_S14_S15_S18_S19_jS1A_jS1B_S1B_jjS1D_bEUljE0_EEESW_SX_SY_S15_S19_S1B_T6_T7_T9_mT8_S1D_bDpT10_ENKUlT_T0_E_clISt17integral_constantIbLb1EES1R_EEDaS1M_S1N_EUlS1M_E_NS1_11comp_targetILNS1_3genE8ELNS1_11target_archE1030ELNS1_3gpuE2ELNS1_3repE0EEENS1_30default_config_static_selectorELNS0_4arch9wavefront6targetE0EEEvSZ_.kd
    .uniform_work_group_size: 1
    .uses_dynamic_stack: false
    .vgpr_count:     0
    .vgpr_spill_count: 0
    .wavefront_size: 32
    .workgroup_processor_mode: 1
  - .args:
      - .offset:         0
        .size:           176
        .value_kind:     by_value
    .group_segment_fixed_size: 0
    .kernarg_segment_align: 8
    .kernarg_segment_size: 176
    .language:       OpenCL C
    .language_version:
      - 2
      - 0
    .max_flat_workgroup_size: 256
    .name:           _ZN7rocprim17ROCPRIM_400000_NS6detail17trampoline_kernelINS0_13select_configILj256ELj13ELNS0_17block_load_methodE3ELS4_3ELS4_3ELNS0_20block_scan_algorithmE0ELj4294967295EEENS1_25partition_config_selectorILNS1_17partition_subalgoE4EjNS0_10empty_typeEbEEZZNS1_14partition_implILS8_4ELb0ES6_15HIP_vector_typeIjLj2EENS0_17counting_iteratorIjlEEPS9_SG_NS0_5tupleIJPjSI_NS0_16reverse_iteratorISI_EEEEENSH_IJSG_SG_SG_EEES9_SI_JZNS1_25segmented_radix_sort_implINS0_14default_configELb1EPKlPlSQ_SR_N2at6native12_GLOBAL__N_18offset_tEEE10hipError_tPvRmT1_PNSt15iterator_traitsISZ_E10value_typeET2_T3_PNS10_IS15_E10value_typeET4_jRbjT5_S1B_jjP12ihipStream_tbEUljE_ZNSN_ISO_Lb1ESQ_SR_SQ_SR_SV_EESW_SX_SY_SZ_S13_S14_S15_S18_S19_jS1A_jS1B_S1B_jjS1D_bEUljE0_EEESW_SX_SY_S15_S19_S1B_T6_T7_T9_mT8_S1D_bDpT10_ENKUlT_T0_E_clISt17integral_constantIbLb1EES1Q_IbLb0EEEEDaS1M_S1N_EUlS1M_E_NS1_11comp_targetILNS1_3genE0ELNS1_11target_archE4294967295ELNS1_3gpuE0ELNS1_3repE0EEENS1_30default_config_static_selectorELNS0_4arch9wavefront6targetE0EEEvSZ_
    .private_segment_fixed_size: 0
    .sgpr_count:     0
    .sgpr_spill_count: 0
    .symbol:         _ZN7rocprim17ROCPRIM_400000_NS6detail17trampoline_kernelINS0_13select_configILj256ELj13ELNS0_17block_load_methodE3ELS4_3ELS4_3ELNS0_20block_scan_algorithmE0ELj4294967295EEENS1_25partition_config_selectorILNS1_17partition_subalgoE4EjNS0_10empty_typeEbEEZZNS1_14partition_implILS8_4ELb0ES6_15HIP_vector_typeIjLj2EENS0_17counting_iteratorIjlEEPS9_SG_NS0_5tupleIJPjSI_NS0_16reverse_iteratorISI_EEEEENSH_IJSG_SG_SG_EEES9_SI_JZNS1_25segmented_radix_sort_implINS0_14default_configELb1EPKlPlSQ_SR_N2at6native12_GLOBAL__N_18offset_tEEE10hipError_tPvRmT1_PNSt15iterator_traitsISZ_E10value_typeET2_T3_PNS10_IS15_E10value_typeET4_jRbjT5_S1B_jjP12ihipStream_tbEUljE_ZNSN_ISO_Lb1ESQ_SR_SQ_SR_SV_EESW_SX_SY_SZ_S13_S14_S15_S18_S19_jS1A_jS1B_S1B_jjS1D_bEUljE0_EEESW_SX_SY_S15_S19_S1B_T6_T7_T9_mT8_S1D_bDpT10_ENKUlT_T0_E_clISt17integral_constantIbLb1EES1Q_IbLb0EEEEDaS1M_S1N_EUlS1M_E_NS1_11comp_targetILNS1_3genE0ELNS1_11target_archE4294967295ELNS1_3gpuE0ELNS1_3repE0EEENS1_30default_config_static_selectorELNS0_4arch9wavefront6targetE0EEEvSZ_.kd
    .uniform_work_group_size: 1
    .uses_dynamic_stack: false
    .vgpr_count:     0
    .vgpr_spill_count: 0
    .wavefront_size: 32
    .workgroup_processor_mode: 1
  - .args:
      - .offset:         0
        .size:           176
        .value_kind:     by_value
    .group_segment_fixed_size: 0
    .kernarg_segment_align: 8
    .kernarg_segment_size: 176
    .language:       OpenCL C
    .language_version:
      - 2
      - 0
    .max_flat_workgroup_size: 256
    .name:           _ZN7rocprim17ROCPRIM_400000_NS6detail17trampoline_kernelINS0_13select_configILj256ELj13ELNS0_17block_load_methodE3ELS4_3ELS4_3ELNS0_20block_scan_algorithmE0ELj4294967295EEENS1_25partition_config_selectorILNS1_17partition_subalgoE4EjNS0_10empty_typeEbEEZZNS1_14partition_implILS8_4ELb0ES6_15HIP_vector_typeIjLj2EENS0_17counting_iteratorIjlEEPS9_SG_NS0_5tupleIJPjSI_NS0_16reverse_iteratorISI_EEEEENSH_IJSG_SG_SG_EEES9_SI_JZNS1_25segmented_radix_sort_implINS0_14default_configELb1EPKlPlSQ_SR_N2at6native12_GLOBAL__N_18offset_tEEE10hipError_tPvRmT1_PNSt15iterator_traitsISZ_E10value_typeET2_T3_PNS10_IS15_E10value_typeET4_jRbjT5_S1B_jjP12ihipStream_tbEUljE_ZNSN_ISO_Lb1ESQ_SR_SQ_SR_SV_EESW_SX_SY_SZ_S13_S14_S15_S18_S19_jS1A_jS1B_S1B_jjS1D_bEUljE0_EEESW_SX_SY_S15_S19_S1B_T6_T7_T9_mT8_S1D_bDpT10_ENKUlT_T0_E_clISt17integral_constantIbLb1EES1Q_IbLb0EEEEDaS1M_S1N_EUlS1M_E_NS1_11comp_targetILNS1_3genE5ELNS1_11target_archE942ELNS1_3gpuE9ELNS1_3repE0EEENS1_30default_config_static_selectorELNS0_4arch9wavefront6targetE0EEEvSZ_
    .private_segment_fixed_size: 0
    .sgpr_count:     0
    .sgpr_spill_count: 0
    .symbol:         _ZN7rocprim17ROCPRIM_400000_NS6detail17trampoline_kernelINS0_13select_configILj256ELj13ELNS0_17block_load_methodE3ELS4_3ELS4_3ELNS0_20block_scan_algorithmE0ELj4294967295EEENS1_25partition_config_selectorILNS1_17partition_subalgoE4EjNS0_10empty_typeEbEEZZNS1_14partition_implILS8_4ELb0ES6_15HIP_vector_typeIjLj2EENS0_17counting_iteratorIjlEEPS9_SG_NS0_5tupleIJPjSI_NS0_16reverse_iteratorISI_EEEEENSH_IJSG_SG_SG_EEES9_SI_JZNS1_25segmented_radix_sort_implINS0_14default_configELb1EPKlPlSQ_SR_N2at6native12_GLOBAL__N_18offset_tEEE10hipError_tPvRmT1_PNSt15iterator_traitsISZ_E10value_typeET2_T3_PNS10_IS15_E10value_typeET4_jRbjT5_S1B_jjP12ihipStream_tbEUljE_ZNSN_ISO_Lb1ESQ_SR_SQ_SR_SV_EESW_SX_SY_SZ_S13_S14_S15_S18_S19_jS1A_jS1B_S1B_jjS1D_bEUljE0_EEESW_SX_SY_S15_S19_S1B_T6_T7_T9_mT8_S1D_bDpT10_ENKUlT_T0_E_clISt17integral_constantIbLb1EES1Q_IbLb0EEEEDaS1M_S1N_EUlS1M_E_NS1_11comp_targetILNS1_3genE5ELNS1_11target_archE942ELNS1_3gpuE9ELNS1_3repE0EEENS1_30default_config_static_selectorELNS0_4arch9wavefront6targetE0EEEvSZ_.kd
    .uniform_work_group_size: 1
    .uses_dynamic_stack: false
    .vgpr_count:     0
    .vgpr_spill_count: 0
    .wavefront_size: 32
    .workgroup_processor_mode: 1
  - .args:
      - .offset:         0
        .size:           176
        .value_kind:     by_value
    .group_segment_fixed_size: 0
    .kernarg_segment_align: 8
    .kernarg_segment_size: 176
    .language:       OpenCL C
    .language_version:
      - 2
      - 0
    .max_flat_workgroup_size: 256
    .name:           _ZN7rocprim17ROCPRIM_400000_NS6detail17trampoline_kernelINS0_13select_configILj256ELj13ELNS0_17block_load_methodE3ELS4_3ELS4_3ELNS0_20block_scan_algorithmE0ELj4294967295EEENS1_25partition_config_selectorILNS1_17partition_subalgoE4EjNS0_10empty_typeEbEEZZNS1_14partition_implILS8_4ELb0ES6_15HIP_vector_typeIjLj2EENS0_17counting_iteratorIjlEEPS9_SG_NS0_5tupleIJPjSI_NS0_16reverse_iteratorISI_EEEEENSH_IJSG_SG_SG_EEES9_SI_JZNS1_25segmented_radix_sort_implINS0_14default_configELb1EPKlPlSQ_SR_N2at6native12_GLOBAL__N_18offset_tEEE10hipError_tPvRmT1_PNSt15iterator_traitsISZ_E10value_typeET2_T3_PNS10_IS15_E10value_typeET4_jRbjT5_S1B_jjP12ihipStream_tbEUljE_ZNSN_ISO_Lb1ESQ_SR_SQ_SR_SV_EESW_SX_SY_SZ_S13_S14_S15_S18_S19_jS1A_jS1B_S1B_jjS1D_bEUljE0_EEESW_SX_SY_S15_S19_S1B_T6_T7_T9_mT8_S1D_bDpT10_ENKUlT_T0_E_clISt17integral_constantIbLb1EES1Q_IbLb0EEEEDaS1M_S1N_EUlS1M_E_NS1_11comp_targetILNS1_3genE4ELNS1_11target_archE910ELNS1_3gpuE8ELNS1_3repE0EEENS1_30default_config_static_selectorELNS0_4arch9wavefront6targetE0EEEvSZ_
    .private_segment_fixed_size: 0
    .sgpr_count:     0
    .sgpr_spill_count: 0
    .symbol:         _ZN7rocprim17ROCPRIM_400000_NS6detail17trampoline_kernelINS0_13select_configILj256ELj13ELNS0_17block_load_methodE3ELS4_3ELS4_3ELNS0_20block_scan_algorithmE0ELj4294967295EEENS1_25partition_config_selectorILNS1_17partition_subalgoE4EjNS0_10empty_typeEbEEZZNS1_14partition_implILS8_4ELb0ES6_15HIP_vector_typeIjLj2EENS0_17counting_iteratorIjlEEPS9_SG_NS0_5tupleIJPjSI_NS0_16reverse_iteratorISI_EEEEENSH_IJSG_SG_SG_EEES9_SI_JZNS1_25segmented_radix_sort_implINS0_14default_configELb1EPKlPlSQ_SR_N2at6native12_GLOBAL__N_18offset_tEEE10hipError_tPvRmT1_PNSt15iterator_traitsISZ_E10value_typeET2_T3_PNS10_IS15_E10value_typeET4_jRbjT5_S1B_jjP12ihipStream_tbEUljE_ZNSN_ISO_Lb1ESQ_SR_SQ_SR_SV_EESW_SX_SY_SZ_S13_S14_S15_S18_S19_jS1A_jS1B_S1B_jjS1D_bEUljE0_EEESW_SX_SY_S15_S19_S1B_T6_T7_T9_mT8_S1D_bDpT10_ENKUlT_T0_E_clISt17integral_constantIbLb1EES1Q_IbLb0EEEEDaS1M_S1N_EUlS1M_E_NS1_11comp_targetILNS1_3genE4ELNS1_11target_archE910ELNS1_3gpuE8ELNS1_3repE0EEENS1_30default_config_static_selectorELNS0_4arch9wavefront6targetE0EEEvSZ_.kd
    .uniform_work_group_size: 1
    .uses_dynamic_stack: false
    .vgpr_count:     0
    .vgpr_spill_count: 0
    .wavefront_size: 32
    .workgroup_processor_mode: 1
  - .args:
      - .offset:         0
        .size:           176
        .value_kind:     by_value
    .group_segment_fixed_size: 0
    .kernarg_segment_align: 8
    .kernarg_segment_size: 176
    .language:       OpenCL C
    .language_version:
      - 2
      - 0
    .max_flat_workgroup_size: 256
    .name:           _ZN7rocprim17ROCPRIM_400000_NS6detail17trampoline_kernelINS0_13select_configILj256ELj13ELNS0_17block_load_methodE3ELS4_3ELS4_3ELNS0_20block_scan_algorithmE0ELj4294967295EEENS1_25partition_config_selectorILNS1_17partition_subalgoE4EjNS0_10empty_typeEbEEZZNS1_14partition_implILS8_4ELb0ES6_15HIP_vector_typeIjLj2EENS0_17counting_iteratorIjlEEPS9_SG_NS0_5tupleIJPjSI_NS0_16reverse_iteratorISI_EEEEENSH_IJSG_SG_SG_EEES9_SI_JZNS1_25segmented_radix_sort_implINS0_14default_configELb1EPKlPlSQ_SR_N2at6native12_GLOBAL__N_18offset_tEEE10hipError_tPvRmT1_PNSt15iterator_traitsISZ_E10value_typeET2_T3_PNS10_IS15_E10value_typeET4_jRbjT5_S1B_jjP12ihipStream_tbEUljE_ZNSN_ISO_Lb1ESQ_SR_SQ_SR_SV_EESW_SX_SY_SZ_S13_S14_S15_S18_S19_jS1A_jS1B_S1B_jjS1D_bEUljE0_EEESW_SX_SY_S15_S19_S1B_T6_T7_T9_mT8_S1D_bDpT10_ENKUlT_T0_E_clISt17integral_constantIbLb1EES1Q_IbLb0EEEEDaS1M_S1N_EUlS1M_E_NS1_11comp_targetILNS1_3genE3ELNS1_11target_archE908ELNS1_3gpuE7ELNS1_3repE0EEENS1_30default_config_static_selectorELNS0_4arch9wavefront6targetE0EEEvSZ_
    .private_segment_fixed_size: 0
    .sgpr_count:     0
    .sgpr_spill_count: 0
    .symbol:         _ZN7rocprim17ROCPRIM_400000_NS6detail17trampoline_kernelINS0_13select_configILj256ELj13ELNS0_17block_load_methodE3ELS4_3ELS4_3ELNS0_20block_scan_algorithmE0ELj4294967295EEENS1_25partition_config_selectorILNS1_17partition_subalgoE4EjNS0_10empty_typeEbEEZZNS1_14partition_implILS8_4ELb0ES6_15HIP_vector_typeIjLj2EENS0_17counting_iteratorIjlEEPS9_SG_NS0_5tupleIJPjSI_NS0_16reverse_iteratorISI_EEEEENSH_IJSG_SG_SG_EEES9_SI_JZNS1_25segmented_radix_sort_implINS0_14default_configELb1EPKlPlSQ_SR_N2at6native12_GLOBAL__N_18offset_tEEE10hipError_tPvRmT1_PNSt15iterator_traitsISZ_E10value_typeET2_T3_PNS10_IS15_E10value_typeET4_jRbjT5_S1B_jjP12ihipStream_tbEUljE_ZNSN_ISO_Lb1ESQ_SR_SQ_SR_SV_EESW_SX_SY_SZ_S13_S14_S15_S18_S19_jS1A_jS1B_S1B_jjS1D_bEUljE0_EEESW_SX_SY_S15_S19_S1B_T6_T7_T9_mT8_S1D_bDpT10_ENKUlT_T0_E_clISt17integral_constantIbLb1EES1Q_IbLb0EEEEDaS1M_S1N_EUlS1M_E_NS1_11comp_targetILNS1_3genE3ELNS1_11target_archE908ELNS1_3gpuE7ELNS1_3repE0EEENS1_30default_config_static_selectorELNS0_4arch9wavefront6targetE0EEEvSZ_.kd
    .uniform_work_group_size: 1
    .uses_dynamic_stack: false
    .vgpr_count:     0
    .vgpr_spill_count: 0
    .wavefront_size: 32
    .workgroup_processor_mode: 1
  - .args:
      - .offset:         0
        .size:           176
        .value_kind:     by_value
    .group_segment_fixed_size: 0
    .kernarg_segment_align: 8
    .kernarg_segment_size: 176
    .language:       OpenCL C
    .language_version:
      - 2
      - 0
    .max_flat_workgroup_size: 256
    .name:           _ZN7rocprim17ROCPRIM_400000_NS6detail17trampoline_kernelINS0_13select_configILj256ELj13ELNS0_17block_load_methodE3ELS4_3ELS4_3ELNS0_20block_scan_algorithmE0ELj4294967295EEENS1_25partition_config_selectorILNS1_17partition_subalgoE4EjNS0_10empty_typeEbEEZZNS1_14partition_implILS8_4ELb0ES6_15HIP_vector_typeIjLj2EENS0_17counting_iteratorIjlEEPS9_SG_NS0_5tupleIJPjSI_NS0_16reverse_iteratorISI_EEEEENSH_IJSG_SG_SG_EEES9_SI_JZNS1_25segmented_radix_sort_implINS0_14default_configELb1EPKlPlSQ_SR_N2at6native12_GLOBAL__N_18offset_tEEE10hipError_tPvRmT1_PNSt15iterator_traitsISZ_E10value_typeET2_T3_PNS10_IS15_E10value_typeET4_jRbjT5_S1B_jjP12ihipStream_tbEUljE_ZNSN_ISO_Lb1ESQ_SR_SQ_SR_SV_EESW_SX_SY_SZ_S13_S14_S15_S18_S19_jS1A_jS1B_S1B_jjS1D_bEUljE0_EEESW_SX_SY_S15_S19_S1B_T6_T7_T9_mT8_S1D_bDpT10_ENKUlT_T0_E_clISt17integral_constantIbLb1EES1Q_IbLb0EEEEDaS1M_S1N_EUlS1M_E_NS1_11comp_targetILNS1_3genE2ELNS1_11target_archE906ELNS1_3gpuE6ELNS1_3repE0EEENS1_30default_config_static_selectorELNS0_4arch9wavefront6targetE0EEEvSZ_
    .private_segment_fixed_size: 0
    .sgpr_count:     0
    .sgpr_spill_count: 0
    .symbol:         _ZN7rocprim17ROCPRIM_400000_NS6detail17trampoline_kernelINS0_13select_configILj256ELj13ELNS0_17block_load_methodE3ELS4_3ELS4_3ELNS0_20block_scan_algorithmE0ELj4294967295EEENS1_25partition_config_selectorILNS1_17partition_subalgoE4EjNS0_10empty_typeEbEEZZNS1_14partition_implILS8_4ELb0ES6_15HIP_vector_typeIjLj2EENS0_17counting_iteratorIjlEEPS9_SG_NS0_5tupleIJPjSI_NS0_16reverse_iteratorISI_EEEEENSH_IJSG_SG_SG_EEES9_SI_JZNS1_25segmented_radix_sort_implINS0_14default_configELb1EPKlPlSQ_SR_N2at6native12_GLOBAL__N_18offset_tEEE10hipError_tPvRmT1_PNSt15iterator_traitsISZ_E10value_typeET2_T3_PNS10_IS15_E10value_typeET4_jRbjT5_S1B_jjP12ihipStream_tbEUljE_ZNSN_ISO_Lb1ESQ_SR_SQ_SR_SV_EESW_SX_SY_SZ_S13_S14_S15_S18_S19_jS1A_jS1B_S1B_jjS1D_bEUljE0_EEESW_SX_SY_S15_S19_S1B_T6_T7_T9_mT8_S1D_bDpT10_ENKUlT_T0_E_clISt17integral_constantIbLb1EES1Q_IbLb0EEEEDaS1M_S1N_EUlS1M_E_NS1_11comp_targetILNS1_3genE2ELNS1_11target_archE906ELNS1_3gpuE6ELNS1_3repE0EEENS1_30default_config_static_selectorELNS0_4arch9wavefront6targetE0EEEvSZ_.kd
    .uniform_work_group_size: 1
    .uses_dynamic_stack: false
    .vgpr_count:     0
    .vgpr_spill_count: 0
    .wavefront_size: 32
    .workgroup_processor_mode: 1
  - .args:
      - .offset:         0
        .size:           176
        .value_kind:     by_value
    .group_segment_fixed_size: 0
    .kernarg_segment_align: 8
    .kernarg_segment_size: 176
    .language:       OpenCL C
    .language_version:
      - 2
      - 0
    .max_flat_workgroup_size: 256
    .name:           _ZN7rocprim17ROCPRIM_400000_NS6detail17trampoline_kernelINS0_13select_configILj256ELj13ELNS0_17block_load_methodE3ELS4_3ELS4_3ELNS0_20block_scan_algorithmE0ELj4294967295EEENS1_25partition_config_selectorILNS1_17partition_subalgoE4EjNS0_10empty_typeEbEEZZNS1_14partition_implILS8_4ELb0ES6_15HIP_vector_typeIjLj2EENS0_17counting_iteratorIjlEEPS9_SG_NS0_5tupleIJPjSI_NS0_16reverse_iteratorISI_EEEEENSH_IJSG_SG_SG_EEES9_SI_JZNS1_25segmented_radix_sort_implINS0_14default_configELb1EPKlPlSQ_SR_N2at6native12_GLOBAL__N_18offset_tEEE10hipError_tPvRmT1_PNSt15iterator_traitsISZ_E10value_typeET2_T3_PNS10_IS15_E10value_typeET4_jRbjT5_S1B_jjP12ihipStream_tbEUljE_ZNSN_ISO_Lb1ESQ_SR_SQ_SR_SV_EESW_SX_SY_SZ_S13_S14_S15_S18_S19_jS1A_jS1B_S1B_jjS1D_bEUljE0_EEESW_SX_SY_S15_S19_S1B_T6_T7_T9_mT8_S1D_bDpT10_ENKUlT_T0_E_clISt17integral_constantIbLb1EES1Q_IbLb0EEEEDaS1M_S1N_EUlS1M_E_NS1_11comp_targetILNS1_3genE10ELNS1_11target_archE1200ELNS1_3gpuE4ELNS1_3repE0EEENS1_30default_config_static_selectorELNS0_4arch9wavefront6targetE0EEEvSZ_
    .private_segment_fixed_size: 0
    .sgpr_count:     0
    .sgpr_spill_count: 0
    .symbol:         _ZN7rocprim17ROCPRIM_400000_NS6detail17trampoline_kernelINS0_13select_configILj256ELj13ELNS0_17block_load_methodE3ELS4_3ELS4_3ELNS0_20block_scan_algorithmE0ELj4294967295EEENS1_25partition_config_selectorILNS1_17partition_subalgoE4EjNS0_10empty_typeEbEEZZNS1_14partition_implILS8_4ELb0ES6_15HIP_vector_typeIjLj2EENS0_17counting_iteratorIjlEEPS9_SG_NS0_5tupleIJPjSI_NS0_16reverse_iteratorISI_EEEEENSH_IJSG_SG_SG_EEES9_SI_JZNS1_25segmented_radix_sort_implINS0_14default_configELb1EPKlPlSQ_SR_N2at6native12_GLOBAL__N_18offset_tEEE10hipError_tPvRmT1_PNSt15iterator_traitsISZ_E10value_typeET2_T3_PNS10_IS15_E10value_typeET4_jRbjT5_S1B_jjP12ihipStream_tbEUljE_ZNSN_ISO_Lb1ESQ_SR_SQ_SR_SV_EESW_SX_SY_SZ_S13_S14_S15_S18_S19_jS1A_jS1B_S1B_jjS1D_bEUljE0_EEESW_SX_SY_S15_S19_S1B_T6_T7_T9_mT8_S1D_bDpT10_ENKUlT_T0_E_clISt17integral_constantIbLb1EES1Q_IbLb0EEEEDaS1M_S1N_EUlS1M_E_NS1_11comp_targetILNS1_3genE10ELNS1_11target_archE1200ELNS1_3gpuE4ELNS1_3repE0EEENS1_30default_config_static_selectorELNS0_4arch9wavefront6targetE0EEEvSZ_.kd
    .uniform_work_group_size: 1
    .uses_dynamic_stack: false
    .vgpr_count:     0
    .vgpr_spill_count: 0
    .wavefront_size: 32
    .workgroup_processor_mode: 1
  - .args:
      - .offset:         0
        .size:           176
        .value_kind:     by_value
    .group_segment_fixed_size: 13340
    .kernarg_segment_align: 8
    .kernarg_segment_size: 176
    .language:       OpenCL C
    .language_version:
      - 2
      - 0
    .max_flat_workgroup_size: 256
    .name:           _ZN7rocprim17ROCPRIM_400000_NS6detail17trampoline_kernelINS0_13select_configILj256ELj13ELNS0_17block_load_methodE3ELS4_3ELS4_3ELNS0_20block_scan_algorithmE0ELj4294967295EEENS1_25partition_config_selectorILNS1_17partition_subalgoE4EjNS0_10empty_typeEbEEZZNS1_14partition_implILS8_4ELb0ES6_15HIP_vector_typeIjLj2EENS0_17counting_iteratorIjlEEPS9_SG_NS0_5tupleIJPjSI_NS0_16reverse_iteratorISI_EEEEENSH_IJSG_SG_SG_EEES9_SI_JZNS1_25segmented_radix_sort_implINS0_14default_configELb1EPKlPlSQ_SR_N2at6native12_GLOBAL__N_18offset_tEEE10hipError_tPvRmT1_PNSt15iterator_traitsISZ_E10value_typeET2_T3_PNS10_IS15_E10value_typeET4_jRbjT5_S1B_jjP12ihipStream_tbEUljE_ZNSN_ISO_Lb1ESQ_SR_SQ_SR_SV_EESW_SX_SY_SZ_S13_S14_S15_S18_S19_jS1A_jS1B_S1B_jjS1D_bEUljE0_EEESW_SX_SY_S15_S19_S1B_T6_T7_T9_mT8_S1D_bDpT10_ENKUlT_T0_E_clISt17integral_constantIbLb1EES1Q_IbLb0EEEEDaS1M_S1N_EUlS1M_E_NS1_11comp_targetILNS1_3genE9ELNS1_11target_archE1100ELNS1_3gpuE3ELNS1_3repE0EEENS1_30default_config_static_selectorELNS0_4arch9wavefront6targetE0EEEvSZ_
    .private_segment_fixed_size: 0
    .sgpr_count:     61
    .sgpr_spill_count: 0
    .symbol:         _ZN7rocprim17ROCPRIM_400000_NS6detail17trampoline_kernelINS0_13select_configILj256ELj13ELNS0_17block_load_methodE3ELS4_3ELS4_3ELNS0_20block_scan_algorithmE0ELj4294967295EEENS1_25partition_config_selectorILNS1_17partition_subalgoE4EjNS0_10empty_typeEbEEZZNS1_14partition_implILS8_4ELb0ES6_15HIP_vector_typeIjLj2EENS0_17counting_iteratorIjlEEPS9_SG_NS0_5tupleIJPjSI_NS0_16reverse_iteratorISI_EEEEENSH_IJSG_SG_SG_EEES9_SI_JZNS1_25segmented_radix_sort_implINS0_14default_configELb1EPKlPlSQ_SR_N2at6native12_GLOBAL__N_18offset_tEEE10hipError_tPvRmT1_PNSt15iterator_traitsISZ_E10value_typeET2_T3_PNS10_IS15_E10value_typeET4_jRbjT5_S1B_jjP12ihipStream_tbEUljE_ZNSN_ISO_Lb1ESQ_SR_SQ_SR_SV_EESW_SX_SY_SZ_S13_S14_S15_S18_S19_jS1A_jS1B_S1B_jjS1D_bEUljE0_EEESW_SX_SY_S15_S19_S1B_T6_T7_T9_mT8_S1D_bDpT10_ENKUlT_T0_E_clISt17integral_constantIbLb1EES1Q_IbLb0EEEEDaS1M_S1N_EUlS1M_E_NS1_11comp_targetILNS1_3genE9ELNS1_11target_archE1100ELNS1_3gpuE3ELNS1_3repE0EEENS1_30default_config_static_selectorELNS0_4arch9wavefront6targetE0EEEvSZ_.kd
    .uniform_work_group_size: 1
    .uses_dynamic_stack: false
    .vgpr_count:     98
    .vgpr_spill_count: 0
    .wavefront_size: 32
    .workgroup_processor_mode: 1
  - .args:
      - .offset:         0
        .size:           176
        .value_kind:     by_value
    .group_segment_fixed_size: 0
    .kernarg_segment_align: 8
    .kernarg_segment_size: 176
    .language:       OpenCL C
    .language_version:
      - 2
      - 0
    .max_flat_workgroup_size: 256
    .name:           _ZN7rocprim17ROCPRIM_400000_NS6detail17trampoline_kernelINS0_13select_configILj256ELj13ELNS0_17block_load_methodE3ELS4_3ELS4_3ELNS0_20block_scan_algorithmE0ELj4294967295EEENS1_25partition_config_selectorILNS1_17partition_subalgoE4EjNS0_10empty_typeEbEEZZNS1_14partition_implILS8_4ELb0ES6_15HIP_vector_typeIjLj2EENS0_17counting_iteratorIjlEEPS9_SG_NS0_5tupleIJPjSI_NS0_16reverse_iteratorISI_EEEEENSH_IJSG_SG_SG_EEES9_SI_JZNS1_25segmented_radix_sort_implINS0_14default_configELb1EPKlPlSQ_SR_N2at6native12_GLOBAL__N_18offset_tEEE10hipError_tPvRmT1_PNSt15iterator_traitsISZ_E10value_typeET2_T3_PNS10_IS15_E10value_typeET4_jRbjT5_S1B_jjP12ihipStream_tbEUljE_ZNSN_ISO_Lb1ESQ_SR_SQ_SR_SV_EESW_SX_SY_SZ_S13_S14_S15_S18_S19_jS1A_jS1B_S1B_jjS1D_bEUljE0_EEESW_SX_SY_S15_S19_S1B_T6_T7_T9_mT8_S1D_bDpT10_ENKUlT_T0_E_clISt17integral_constantIbLb1EES1Q_IbLb0EEEEDaS1M_S1N_EUlS1M_E_NS1_11comp_targetILNS1_3genE8ELNS1_11target_archE1030ELNS1_3gpuE2ELNS1_3repE0EEENS1_30default_config_static_selectorELNS0_4arch9wavefront6targetE0EEEvSZ_
    .private_segment_fixed_size: 0
    .sgpr_count:     0
    .sgpr_spill_count: 0
    .symbol:         _ZN7rocprim17ROCPRIM_400000_NS6detail17trampoline_kernelINS0_13select_configILj256ELj13ELNS0_17block_load_methodE3ELS4_3ELS4_3ELNS0_20block_scan_algorithmE0ELj4294967295EEENS1_25partition_config_selectorILNS1_17partition_subalgoE4EjNS0_10empty_typeEbEEZZNS1_14partition_implILS8_4ELb0ES6_15HIP_vector_typeIjLj2EENS0_17counting_iteratorIjlEEPS9_SG_NS0_5tupleIJPjSI_NS0_16reverse_iteratorISI_EEEEENSH_IJSG_SG_SG_EEES9_SI_JZNS1_25segmented_radix_sort_implINS0_14default_configELb1EPKlPlSQ_SR_N2at6native12_GLOBAL__N_18offset_tEEE10hipError_tPvRmT1_PNSt15iterator_traitsISZ_E10value_typeET2_T3_PNS10_IS15_E10value_typeET4_jRbjT5_S1B_jjP12ihipStream_tbEUljE_ZNSN_ISO_Lb1ESQ_SR_SQ_SR_SV_EESW_SX_SY_SZ_S13_S14_S15_S18_S19_jS1A_jS1B_S1B_jjS1D_bEUljE0_EEESW_SX_SY_S15_S19_S1B_T6_T7_T9_mT8_S1D_bDpT10_ENKUlT_T0_E_clISt17integral_constantIbLb1EES1Q_IbLb0EEEEDaS1M_S1N_EUlS1M_E_NS1_11comp_targetILNS1_3genE8ELNS1_11target_archE1030ELNS1_3gpuE2ELNS1_3repE0EEENS1_30default_config_static_selectorELNS0_4arch9wavefront6targetE0EEEvSZ_.kd
    .uniform_work_group_size: 1
    .uses_dynamic_stack: false
    .vgpr_count:     0
    .vgpr_spill_count: 0
    .wavefront_size: 32
    .workgroup_processor_mode: 1
  - .args:
      - .offset:         0
        .size:           184
        .value_kind:     by_value
    .group_segment_fixed_size: 0
    .kernarg_segment_align: 8
    .kernarg_segment_size: 184
    .language:       OpenCL C
    .language_version:
      - 2
      - 0
    .max_flat_workgroup_size: 256
    .name:           _ZN7rocprim17ROCPRIM_400000_NS6detail17trampoline_kernelINS0_13select_configILj256ELj13ELNS0_17block_load_methodE3ELS4_3ELS4_3ELNS0_20block_scan_algorithmE0ELj4294967295EEENS1_25partition_config_selectorILNS1_17partition_subalgoE4EjNS0_10empty_typeEbEEZZNS1_14partition_implILS8_4ELb0ES6_15HIP_vector_typeIjLj2EENS0_17counting_iteratorIjlEEPS9_SG_NS0_5tupleIJPjSI_NS0_16reverse_iteratorISI_EEEEENSH_IJSG_SG_SG_EEES9_SI_JZNS1_25segmented_radix_sort_implINS0_14default_configELb1EPKlPlSQ_SR_N2at6native12_GLOBAL__N_18offset_tEEE10hipError_tPvRmT1_PNSt15iterator_traitsISZ_E10value_typeET2_T3_PNS10_IS15_E10value_typeET4_jRbjT5_S1B_jjP12ihipStream_tbEUljE_ZNSN_ISO_Lb1ESQ_SR_SQ_SR_SV_EESW_SX_SY_SZ_S13_S14_S15_S18_S19_jS1A_jS1B_S1B_jjS1D_bEUljE0_EEESW_SX_SY_S15_S19_S1B_T6_T7_T9_mT8_S1D_bDpT10_ENKUlT_T0_E_clISt17integral_constantIbLb0EES1Q_IbLb1EEEEDaS1M_S1N_EUlS1M_E_NS1_11comp_targetILNS1_3genE0ELNS1_11target_archE4294967295ELNS1_3gpuE0ELNS1_3repE0EEENS1_30default_config_static_selectorELNS0_4arch9wavefront6targetE0EEEvSZ_
    .private_segment_fixed_size: 0
    .sgpr_count:     0
    .sgpr_spill_count: 0
    .symbol:         _ZN7rocprim17ROCPRIM_400000_NS6detail17trampoline_kernelINS0_13select_configILj256ELj13ELNS0_17block_load_methodE3ELS4_3ELS4_3ELNS0_20block_scan_algorithmE0ELj4294967295EEENS1_25partition_config_selectorILNS1_17partition_subalgoE4EjNS0_10empty_typeEbEEZZNS1_14partition_implILS8_4ELb0ES6_15HIP_vector_typeIjLj2EENS0_17counting_iteratorIjlEEPS9_SG_NS0_5tupleIJPjSI_NS0_16reverse_iteratorISI_EEEEENSH_IJSG_SG_SG_EEES9_SI_JZNS1_25segmented_radix_sort_implINS0_14default_configELb1EPKlPlSQ_SR_N2at6native12_GLOBAL__N_18offset_tEEE10hipError_tPvRmT1_PNSt15iterator_traitsISZ_E10value_typeET2_T3_PNS10_IS15_E10value_typeET4_jRbjT5_S1B_jjP12ihipStream_tbEUljE_ZNSN_ISO_Lb1ESQ_SR_SQ_SR_SV_EESW_SX_SY_SZ_S13_S14_S15_S18_S19_jS1A_jS1B_S1B_jjS1D_bEUljE0_EEESW_SX_SY_S15_S19_S1B_T6_T7_T9_mT8_S1D_bDpT10_ENKUlT_T0_E_clISt17integral_constantIbLb0EES1Q_IbLb1EEEEDaS1M_S1N_EUlS1M_E_NS1_11comp_targetILNS1_3genE0ELNS1_11target_archE4294967295ELNS1_3gpuE0ELNS1_3repE0EEENS1_30default_config_static_selectorELNS0_4arch9wavefront6targetE0EEEvSZ_.kd
    .uniform_work_group_size: 1
    .uses_dynamic_stack: false
    .vgpr_count:     0
    .vgpr_spill_count: 0
    .wavefront_size: 32
    .workgroup_processor_mode: 1
  - .args:
      - .offset:         0
        .size:           184
        .value_kind:     by_value
    .group_segment_fixed_size: 0
    .kernarg_segment_align: 8
    .kernarg_segment_size: 184
    .language:       OpenCL C
    .language_version:
      - 2
      - 0
    .max_flat_workgroup_size: 256
    .name:           _ZN7rocprim17ROCPRIM_400000_NS6detail17trampoline_kernelINS0_13select_configILj256ELj13ELNS0_17block_load_methodE3ELS4_3ELS4_3ELNS0_20block_scan_algorithmE0ELj4294967295EEENS1_25partition_config_selectorILNS1_17partition_subalgoE4EjNS0_10empty_typeEbEEZZNS1_14partition_implILS8_4ELb0ES6_15HIP_vector_typeIjLj2EENS0_17counting_iteratorIjlEEPS9_SG_NS0_5tupleIJPjSI_NS0_16reverse_iteratorISI_EEEEENSH_IJSG_SG_SG_EEES9_SI_JZNS1_25segmented_radix_sort_implINS0_14default_configELb1EPKlPlSQ_SR_N2at6native12_GLOBAL__N_18offset_tEEE10hipError_tPvRmT1_PNSt15iterator_traitsISZ_E10value_typeET2_T3_PNS10_IS15_E10value_typeET4_jRbjT5_S1B_jjP12ihipStream_tbEUljE_ZNSN_ISO_Lb1ESQ_SR_SQ_SR_SV_EESW_SX_SY_SZ_S13_S14_S15_S18_S19_jS1A_jS1B_S1B_jjS1D_bEUljE0_EEESW_SX_SY_S15_S19_S1B_T6_T7_T9_mT8_S1D_bDpT10_ENKUlT_T0_E_clISt17integral_constantIbLb0EES1Q_IbLb1EEEEDaS1M_S1N_EUlS1M_E_NS1_11comp_targetILNS1_3genE5ELNS1_11target_archE942ELNS1_3gpuE9ELNS1_3repE0EEENS1_30default_config_static_selectorELNS0_4arch9wavefront6targetE0EEEvSZ_
    .private_segment_fixed_size: 0
    .sgpr_count:     0
    .sgpr_spill_count: 0
    .symbol:         _ZN7rocprim17ROCPRIM_400000_NS6detail17trampoline_kernelINS0_13select_configILj256ELj13ELNS0_17block_load_methodE3ELS4_3ELS4_3ELNS0_20block_scan_algorithmE0ELj4294967295EEENS1_25partition_config_selectorILNS1_17partition_subalgoE4EjNS0_10empty_typeEbEEZZNS1_14partition_implILS8_4ELb0ES6_15HIP_vector_typeIjLj2EENS0_17counting_iteratorIjlEEPS9_SG_NS0_5tupleIJPjSI_NS0_16reverse_iteratorISI_EEEEENSH_IJSG_SG_SG_EEES9_SI_JZNS1_25segmented_radix_sort_implINS0_14default_configELb1EPKlPlSQ_SR_N2at6native12_GLOBAL__N_18offset_tEEE10hipError_tPvRmT1_PNSt15iterator_traitsISZ_E10value_typeET2_T3_PNS10_IS15_E10value_typeET4_jRbjT5_S1B_jjP12ihipStream_tbEUljE_ZNSN_ISO_Lb1ESQ_SR_SQ_SR_SV_EESW_SX_SY_SZ_S13_S14_S15_S18_S19_jS1A_jS1B_S1B_jjS1D_bEUljE0_EEESW_SX_SY_S15_S19_S1B_T6_T7_T9_mT8_S1D_bDpT10_ENKUlT_T0_E_clISt17integral_constantIbLb0EES1Q_IbLb1EEEEDaS1M_S1N_EUlS1M_E_NS1_11comp_targetILNS1_3genE5ELNS1_11target_archE942ELNS1_3gpuE9ELNS1_3repE0EEENS1_30default_config_static_selectorELNS0_4arch9wavefront6targetE0EEEvSZ_.kd
    .uniform_work_group_size: 1
    .uses_dynamic_stack: false
    .vgpr_count:     0
    .vgpr_spill_count: 0
    .wavefront_size: 32
    .workgroup_processor_mode: 1
  - .args:
      - .offset:         0
        .size:           184
        .value_kind:     by_value
    .group_segment_fixed_size: 0
    .kernarg_segment_align: 8
    .kernarg_segment_size: 184
    .language:       OpenCL C
    .language_version:
      - 2
      - 0
    .max_flat_workgroup_size: 256
    .name:           _ZN7rocprim17ROCPRIM_400000_NS6detail17trampoline_kernelINS0_13select_configILj256ELj13ELNS0_17block_load_methodE3ELS4_3ELS4_3ELNS0_20block_scan_algorithmE0ELj4294967295EEENS1_25partition_config_selectorILNS1_17partition_subalgoE4EjNS0_10empty_typeEbEEZZNS1_14partition_implILS8_4ELb0ES6_15HIP_vector_typeIjLj2EENS0_17counting_iteratorIjlEEPS9_SG_NS0_5tupleIJPjSI_NS0_16reverse_iteratorISI_EEEEENSH_IJSG_SG_SG_EEES9_SI_JZNS1_25segmented_radix_sort_implINS0_14default_configELb1EPKlPlSQ_SR_N2at6native12_GLOBAL__N_18offset_tEEE10hipError_tPvRmT1_PNSt15iterator_traitsISZ_E10value_typeET2_T3_PNS10_IS15_E10value_typeET4_jRbjT5_S1B_jjP12ihipStream_tbEUljE_ZNSN_ISO_Lb1ESQ_SR_SQ_SR_SV_EESW_SX_SY_SZ_S13_S14_S15_S18_S19_jS1A_jS1B_S1B_jjS1D_bEUljE0_EEESW_SX_SY_S15_S19_S1B_T6_T7_T9_mT8_S1D_bDpT10_ENKUlT_T0_E_clISt17integral_constantIbLb0EES1Q_IbLb1EEEEDaS1M_S1N_EUlS1M_E_NS1_11comp_targetILNS1_3genE4ELNS1_11target_archE910ELNS1_3gpuE8ELNS1_3repE0EEENS1_30default_config_static_selectorELNS0_4arch9wavefront6targetE0EEEvSZ_
    .private_segment_fixed_size: 0
    .sgpr_count:     0
    .sgpr_spill_count: 0
    .symbol:         _ZN7rocprim17ROCPRIM_400000_NS6detail17trampoline_kernelINS0_13select_configILj256ELj13ELNS0_17block_load_methodE3ELS4_3ELS4_3ELNS0_20block_scan_algorithmE0ELj4294967295EEENS1_25partition_config_selectorILNS1_17partition_subalgoE4EjNS0_10empty_typeEbEEZZNS1_14partition_implILS8_4ELb0ES6_15HIP_vector_typeIjLj2EENS0_17counting_iteratorIjlEEPS9_SG_NS0_5tupleIJPjSI_NS0_16reverse_iteratorISI_EEEEENSH_IJSG_SG_SG_EEES9_SI_JZNS1_25segmented_radix_sort_implINS0_14default_configELb1EPKlPlSQ_SR_N2at6native12_GLOBAL__N_18offset_tEEE10hipError_tPvRmT1_PNSt15iterator_traitsISZ_E10value_typeET2_T3_PNS10_IS15_E10value_typeET4_jRbjT5_S1B_jjP12ihipStream_tbEUljE_ZNSN_ISO_Lb1ESQ_SR_SQ_SR_SV_EESW_SX_SY_SZ_S13_S14_S15_S18_S19_jS1A_jS1B_S1B_jjS1D_bEUljE0_EEESW_SX_SY_S15_S19_S1B_T6_T7_T9_mT8_S1D_bDpT10_ENKUlT_T0_E_clISt17integral_constantIbLb0EES1Q_IbLb1EEEEDaS1M_S1N_EUlS1M_E_NS1_11comp_targetILNS1_3genE4ELNS1_11target_archE910ELNS1_3gpuE8ELNS1_3repE0EEENS1_30default_config_static_selectorELNS0_4arch9wavefront6targetE0EEEvSZ_.kd
    .uniform_work_group_size: 1
    .uses_dynamic_stack: false
    .vgpr_count:     0
    .vgpr_spill_count: 0
    .wavefront_size: 32
    .workgroup_processor_mode: 1
  - .args:
      - .offset:         0
        .size:           184
        .value_kind:     by_value
    .group_segment_fixed_size: 0
    .kernarg_segment_align: 8
    .kernarg_segment_size: 184
    .language:       OpenCL C
    .language_version:
      - 2
      - 0
    .max_flat_workgroup_size: 256
    .name:           _ZN7rocprim17ROCPRIM_400000_NS6detail17trampoline_kernelINS0_13select_configILj256ELj13ELNS0_17block_load_methodE3ELS4_3ELS4_3ELNS0_20block_scan_algorithmE0ELj4294967295EEENS1_25partition_config_selectorILNS1_17partition_subalgoE4EjNS0_10empty_typeEbEEZZNS1_14partition_implILS8_4ELb0ES6_15HIP_vector_typeIjLj2EENS0_17counting_iteratorIjlEEPS9_SG_NS0_5tupleIJPjSI_NS0_16reverse_iteratorISI_EEEEENSH_IJSG_SG_SG_EEES9_SI_JZNS1_25segmented_radix_sort_implINS0_14default_configELb1EPKlPlSQ_SR_N2at6native12_GLOBAL__N_18offset_tEEE10hipError_tPvRmT1_PNSt15iterator_traitsISZ_E10value_typeET2_T3_PNS10_IS15_E10value_typeET4_jRbjT5_S1B_jjP12ihipStream_tbEUljE_ZNSN_ISO_Lb1ESQ_SR_SQ_SR_SV_EESW_SX_SY_SZ_S13_S14_S15_S18_S19_jS1A_jS1B_S1B_jjS1D_bEUljE0_EEESW_SX_SY_S15_S19_S1B_T6_T7_T9_mT8_S1D_bDpT10_ENKUlT_T0_E_clISt17integral_constantIbLb0EES1Q_IbLb1EEEEDaS1M_S1N_EUlS1M_E_NS1_11comp_targetILNS1_3genE3ELNS1_11target_archE908ELNS1_3gpuE7ELNS1_3repE0EEENS1_30default_config_static_selectorELNS0_4arch9wavefront6targetE0EEEvSZ_
    .private_segment_fixed_size: 0
    .sgpr_count:     0
    .sgpr_spill_count: 0
    .symbol:         _ZN7rocprim17ROCPRIM_400000_NS6detail17trampoline_kernelINS0_13select_configILj256ELj13ELNS0_17block_load_methodE3ELS4_3ELS4_3ELNS0_20block_scan_algorithmE0ELj4294967295EEENS1_25partition_config_selectorILNS1_17partition_subalgoE4EjNS0_10empty_typeEbEEZZNS1_14partition_implILS8_4ELb0ES6_15HIP_vector_typeIjLj2EENS0_17counting_iteratorIjlEEPS9_SG_NS0_5tupleIJPjSI_NS0_16reverse_iteratorISI_EEEEENSH_IJSG_SG_SG_EEES9_SI_JZNS1_25segmented_radix_sort_implINS0_14default_configELb1EPKlPlSQ_SR_N2at6native12_GLOBAL__N_18offset_tEEE10hipError_tPvRmT1_PNSt15iterator_traitsISZ_E10value_typeET2_T3_PNS10_IS15_E10value_typeET4_jRbjT5_S1B_jjP12ihipStream_tbEUljE_ZNSN_ISO_Lb1ESQ_SR_SQ_SR_SV_EESW_SX_SY_SZ_S13_S14_S15_S18_S19_jS1A_jS1B_S1B_jjS1D_bEUljE0_EEESW_SX_SY_S15_S19_S1B_T6_T7_T9_mT8_S1D_bDpT10_ENKUlT_T0_E_clISt17integral_constantIbLb0EES1Q_IbLb1EEEEDaS1M_S1N_EUlS1M_E_NS1_11comp_targetILNS1_3genE3ELNS1_11target_archE908ELNS1_3gpuE7ELNS1_3repE0EEENS1_30default_config_static_selectorELNS0_4arch9wavefront6targetE0EEEvSZ_.kd
    .uniform_work_group_size: 1
    .uses_dynamic_stack: false
    .vgpr_count:     0
    .vgpr_spill_count: 0
    .wavefront_size: 32
    .workgroup_processor_mode: 1
  - .args:
      - .offset:         0
        .size:           184
        .value_kind:     by_value
    .group_segment_fixed_size: 0
    .kernarg_segment_align: 8
    .kernarg_segment_size: 184
    .language:       OpenCL C
    .language_version:
      - 2
      - 0
    .max_flat_workgroup_size: 256
    .name:           _ZN7rocprim17ROCPRIM_400000_NS6detail17trampoline_kernelINS0_13select_configILj256ELj13ELNS0_17block_load_methodE3ELS4_3ELS4_3ELNS0_20block_scan_algorithmE0ELj4294967295EEENS1_25partition_config_selectorILNS1_17partition_subalgoE4EjNS0_10empty_typeEbEEZZNS1_14partition_implILS8_4ELb0ES6_15HIP_vector_typeIjLj2EENS0_17counting_iteratorIjlEEPS9_SG_NS0_5tupleIJPjSI_NS0_16reverse_iteratorISI_EEEEENSH_IJSG_SG_SG_EEES9_SI_JZNS1_25segmented_radix_sort_implINS0_14default_configELb1EPKlPlSQ_SR_N2at6native12_GLOBAL__N_18offset_tEEE10hipError_tPvRmT1_PNSt15iterator_traitsISZ_E10value_typeET2_T3_PNS10_IS15_E10value_typeET4_jRbjT5_S1B_jjP12ihipStream_tbEUljE_ZNSN_ISO_Lb1ESQ_SR_SQ_SR_SV_EESW_SX_SY_SZ_S13_S14_S15_S18_S19_jS1A_jS1B_S1B_jjS1D_bEUljE0_EEESW_SX_SY_S15_S19_S1B_T6_T7_T9_mT8_S1D_bDpT10_ENKUlT_T0_E_clISt17integral_constantIbLb0EES1Q_IbLb1EEEEDaS1M_S1N_EUlS1M_E_NS1_11comp_targetILNS1_3genE2ELNS1_11target_archE906ELNS1_3gpuE6ELNS1_3repE0EEENS1_30default_config_static_selectorELNS0_4arch9wavefront6targetE0EEEvSZ_
    .private_segment_fixed_size: 0
    .sgpr_count:     0
    .sgpr_spill_count: 0
    .symbol:         _ZN7rocprim17ROCPRIM_400000_NS6detail17trampoline_kernelINS0_13select_configILj256ELj13ELNS0_17block_load_methodE3ELS4_3ELS4_3ELNS0_20block_scan_algorithmE0ELj4294967295EEENS1_25partition_config_selectorILNS1_17partition_subalgoE4EjNS0_10empty_typeEbEEZZNS1_14partition_implILS8_4ELb0ES6_15HIP_vector_typeIjLj2EENS0_17counting_iteratorIjlEEPS9_SG_NS0_5tupleIJPjSI_NS0_16reverse_iteratorISI_EEEEENSH_IJSG_SG_SG_EEES9_SI_JZNS1_25segmented_radix_sort_implINS0_14default_configELb1EPKlPlSQ_SR_N2at6native12_GLOBAL__N_18offset_tEEE10hipError_tPvRmT1_PNSt15iterator_traitsISZ_E10value_typeET2_T3_PNS10_IS15_E10value_typeET4_jRbjT5_S1B_jjP12ihipStream_tbEUljE_ZNSN_ISO_Lb1ESQ_SR_SQ_SR_SV_EESW_SX_SY_SZ_S13_S14_S15_S18_S19_jS1A_jS1B_S1B_jjS1D_bEUljE0_EEESW_SX_SY_S15_S19_S1B_T6_T7_T9_mT8_S1D_bDpT10_ENKUlT_T0_E_clISt17integral_constantIbLb0EES1Q_IbLb1EEEEDaS1M_S1N_EUlS1M_E_NS1_11comp_targetILNS1_3genE2ELNS1_11target_archE906ELNS1_3gpuE6ELNS1_3repE0EEENS1_30default_config_static_selectorELNS0_4arch9wavefront6targetE0EEEvSZ_.kd
    .uniform_work_group_size: 1
    .uses_dynamic_stack: false
    .vgpr_count:     0
    .vgpr_spill_count: 0
    .wavefront_size: 32
    .workgroup_processor_mode: 1
  - .args:
      - .offset:         0
        .size:           184
        .value_kind:     by_value
    .group_segment_fixed_size: 0
    .kernarg_segment_align: 8
    .kernarg_segment_size: 184
    .language:       OpenCL C
    .language_version:
      - 2
      - 0
    .max_flat_workgroup_size: 256
    .name:           _ZN7rocprim17ROCPRIM_400000_NS6detail17trampoline_kernelINS0_13select_configILj256ELj13ELNS0_17block_load_methodE3ELS4_3ELS4_3ELNS0_20block_scan_algorithmE0ELj4294967295EEENS1_25partition_config_selectorILNS1_17partition_subalgoE4EjNS0_10empty_typeEbEEZZNS1_14partition_implILS8_4ELb0ES6_15HIP_vector_typeIjLj2EENS0_17counting_iteratorIjlEEPS9_SG_NS0_5tupleIJPjSI_NS0_16reverse_iteratorISI_EEEEENSH_IJSG_SG_SG_EEES9_SI_JZNS1_25segmented_radix_sort_implINS0_14default_configELb1EPKlPlSQ_SR_N2at6native12_GLOBAL__N_18offset_tEEE10hipError_tPvRmT1_PNSt15iterator_traitsISZ_E10value_typeET2_T3_PNS10_IS15_E10value_typeET4_jRbjT5_S1B_jjP12ihipStream_tbEUljE_ZNSN_ISO_Lb1ESQ_SR_SQ_SR_SV_EESW_SX_SY_SZ_S13_S14_S15_S18_S19_jS1A_jS1B_S1B_jjS1D_bEUljE0_EEESW_SX_SY_S15_S19_S1B_T6_T7_T9_mT8_S1D_bDpT10_ENKUlT_T0_E_clISt17integral_constantIbLb0EES1Q_IbLb1EEEEDaS1M_S1N_EUlS1M_E_NS1_11comp_targetILNS1_3genE10ELNS1_11target_archE1200ELNS1_3gpuE4ELNS1_3repE0EEENS1_30default_config_static_selectorELNS0_4arch9wavefront6targetE0EEEvSZ_
    .private_segment_fixed_size: 0
    .sgpr_count:     0
    .sgpr_spill_count: 0
    .symbol:         _ZN7rocprim17ROCPRIM_400000_NS6detail17trampoline_kernelINS0_13select_configILj256ELj13ELNS0_17block_load_methodE3ELS4_3ELS4_3ELNS0_20block_scan_algorithmE0ELj4294967295EEENS1_25partition_config_selectorILNS1_17partition_subalgoE4EjNS0_10empty_typeEbEEZZNS1_14partition_implILS8_4ELb0ES6_15HIP_vector_typeIjLj2EENS0_17counting_iteratorIjlEEPS9_SG_NS0_5tupleIJPjSI_NS0_16reverse_iteratorISI_EEEEENSH_IJSG_SG_SG_EEES9_SI_JZNS1_25segmented_radix_sort_implINS0_14default_configELb1EPKlPlSQ_SR_N2at6native12_GLOBAL__N_18offset_tEEE10hipError_tPvRmT1_PNSt15iterator_traitsISZ_E10value_typeET2_T3_PNS10_IS15_E10value_typeET4_jRbjT5_S1B_jjP12ihipStream_tbEUljE_ZNSN_ISO_Lb1ESQ_SR_SQ_SR_SV_EESW_SX_SY_SZ_S13_S14_S15_S18_S19_jS1A_jS1B_S1B_jjS1D_bEUljE0_EEESW_SX_SY_S15_S19_S1B_T6_T7_T9_mT8_S1D_bDpT10_ENKUlT_T0_E_clISt17integral_constantIbLb0EES1Q_IbLb1EEEEDaS1M_S1N_EUlS1M_E_NS1_11comp_targetILNS1_3genE10ELNS1_11target_archE1200ELNS1_3gpuE4ELNS1_3repE0EEENS1_30default_config_static_selectorELNS0_4arch9wavefront6targetE0EEEvSZ_.kd
    .uniform_work_group_size: 1
    .uses_dynamic_stack: false
    .vgpr_count:     0
    .vgpr_spill_count: 0
    .wavefront_size: 32
    .workgroup_processor_mode: 1
  - .args:
      - .offset:         0
        .size:           184
        .value_kind:     by_value
    .group_segment_fixed_size: 13340
    .kernarg_segment_align: 8
    .kernarg_segment_size: 184
    .language:       OpenCL C
    .language_version:
      - 2
      - 0
    .max_flat_workgroup_size: 256
    .name:           _ZN7rocprim17ROCPRIM_400000_NS6detail17trampoline_kernelINS0_13select_configILj256ELj13ELNS0_17block_load_methodE3ELS4_3ELS4_3ELNS0_20block_scan_algorithmE0ELj4294967295EEENS1_25partition_config_selectorILNS1_17partition_subalgoE4EjNS0_10empty_typeEbEEZZNS1_14partition_implILS8_4ELb0ES6_15HIP_vector_typeIjLj2EENS0_17counting_iteratorIjlEEPS9_SG_NS0_5tupleIJPjSI_NS0_16reverse_iteratorISI_EEEEENSH_IJSG_SG_SG_EEES9_SI_JZNS1_25segmented_radix_sort_implINS0_14default_configELb1EPKlPlSQ_SR_N2at6native12_GLOBAL__N_18offset_tEEE10hipError_tPvRmT1_PNSt15iterator_traitsISZ_E10value_typeET2_T3_PNS10_IS15_E10value_typeET4_jRbjT5_S1B_jjP12ihipStream_tbEUljE_ZNSN_ISO_Lb1ESQ_SR_SQ_SR_SV_EESW_SX_SY_SZ_S13_S14_S15_S18_S19_jS1A_jS1B_S1B_jjS1D_bEUljE0_EEESW_SX_SY_S15_S19_S1B_T6_T7_T9_mT8_S1D_bDpT10_ENKUlT_T0_E_clISt17integral_constantIbLb0EES1Q_IbLb1EEEEDaS1M_S1N_EUlS1M_E_NS1_11comp_targetILNS1_3genE9ELNS1_11target_archE1100ELNS1_3gpuE3ELNS1_3repE0EEENS1_30default_config_static_selectorELNS0_4arch9wavefront6targetE0EEEvSZ_
    .private_segment_fixed_size: 0
    .sgpr_count:     57
    .sgpr_spill_count: 0
    .symbol:         _ZN7rocprim17ROCPRIM_400000_NS6detail17trampoline_kernelINS0_13select_configILj256ELj13ELNS0_17block_load_methodE3ELS4_3ELS4_3ELNS0_20block_scan_algorithmE0ELj4294967295EEENS1_25partition_config_selectorILNS1_17partition_subalgoE4EjNS0_10empty_typeEbEEZZNS1_14partition_implILS8_4ELb0ES6_15HIP_vector_typeIjLj2EENS0_17counting_iteratorIjlEEPS9_SG_NS0_5tupleIJPjSI_NS0_16reverse_iteratorISI_EEEEENSH_IJSG_SG_SG_EEES9_SI_JZNS1_25segmented_radix_sort_implINS0_14default_configELb1EPKlPlSQ_SR_N2at6native12_GLOBAL__N_18offset_tEEE10hipError_tPvRmT1_PNSt15iterator_traitsISZ_E10value_typeET2_T3_PNS10_IS15_E10value_typeET4_jRbjT5_S1B_jjP12ihipStream_tbEUljE_ZNSN_ISO_Lb1ESQ_SR_SQ_SR_SV_EESW_SX_SY_SZ_S13_S14_S15_S18_S19_jS1A_jS1B_S1B_jjS1D_bEUljE0_EEESW_SX_SY_S15_S19_S1B_T6_T7_T9_mT8_S1D_bDpT10_ENKUlT_T0_E_clISt17integral_constantIbLb0EES1Q_IbLb1EEEEDaS1M_S1N_EUlS1M_E_NS1_11comp_targetILNS1_3genE9ELNS1_11target_archE1100ELNS1_3gpuE3ELNS1_3repE0EEENS1_30default_config_static_selectorELNS0_4arch9wavefront6targetE0EEEvSZ_.kd
    .uniform_work_group_size: 1
    .uses_dynamic_stack: false
    .vgpr_count:     103
    .vgpr_spill_count: 0
    .wavefront_size: 32
    .workgroup_processor_mode: 1
  - .args:
      - .offset:         0
        .size:           184
        .value_kind:     by_value
    .group_segment_fixed_size: 0
    .kernarg_segment_align: 8
    .kernarg_segment_size: 184
    .language:       OpenCL C
    .language_version:
      - 2
      - 0
    .max_flat_workgroup_size: 256
    .name:           _ZN7rocprim17ROCPRIM_400000_NS6detail17trampoline_kernelINS0_13select_configILj256ELj13ELNS0_17block_load_methodE3ELS4_3ELS4_3ELNS0_20block_scan_algorithmE0ELj4294967295EEENS1_25partition_config_selectorILNS1_17partition_subalgoE4EjNS0_10empty_typeEbEEZZNS1_14partition_implILS8_4ELb0ES6_15HIP_vector_typeIjLj2EENS0_17counting_iteratorIjlEEPS9_SG_NS0_5tupleIJPjSI_NS0_16reverse_iteratorISI_EEEEENSH_IJSG_SG_SG_EEES9_SI_JZNS1_25segmented_radix_sort_implINS0_14default_configELb1EPKlPlSQ_SR_N2at6native12_GLOBAL__N_18offset_tEEE10hipError_tPvRmT1_PNSt15iterator_traitsISZ_E10value_typeET2_T3_PNS10_IS15_E10value_typeET4_jRbjT5_S1B_jjP12ihipStream_tbEUljE_ZNSN_ISO_Lb1ESQ_SR_SQ_SR_SV_EESW_SX_SY_SZ_S13_S14_S15_S18_S19_jS1A_jS1B_S1B_jjS1D_bEUljE0_EEESW_SX_SY_S15_S19_S1B_T6_T7_T9_mT8_S1D_bDpT10_ENKUlT_T0_E_clISt17integral_constantIbLb0EES1Q_IbLb1EEEEDaS1M_S1N_EUlS1M_E_NS1_11comp_targetILNS1_3genE8ELNS1_11target_archE1030ELNS1_3gpuE2ELNS1_3repE0EEENS1_30default_config_static_selectorELNS0_4arch9wavefront6targetE0EEEvSZ_
    .private_segment_fixed_size: 0
    .sgpr_count:     0
    .sgpr_spill_count: 0
    .symbol:         _ZN7rocprim17ROCPRIM_400000_NS6detail17trampoline_kernelINS0_13select_configILj256ELj13ELNS0_17block_load_methodE3ELS4_3ELS4_3ELNS0_20block_scan_algorithmE0ELj4294967295EEENS1_25partition_config_selectorILNS1_17partition_subalgoE4EjNS0_10empty_typeEbEEZZNS1_14partition_implILS8_4ELb0ES6_15HIP_vector_typeIjLj2EENS0_17counting_iteratorIjlEEPS9_SG_NS0_5tupleIJPjSI_NS0_16reverse_iteratorISI_EEEEENSH_IJSG_SG_SG_EEES9_SI_JZNS1_25segmented_radix_sort_implINS0_14default_configELb1EPKlPlSQ_SR_N2at6native12_GLOBAL__N_18offset_tEEE10hipError_tPvRmT1_PNSt15iterator_traitsISZ_E10value_typeET2_T3_PNS10_IS15_E10value_typeET4_jRbjT5_S1B_jjP12ihipStream_tbEUljE_ZNSN_ISO_Lb1ESQ_SR_SQ_SR_SV_EESW_SX_SY_SZ_S13_S14_S15_S18_S19_jS1A_jS1B_S1B_jjS1D_bEUljE0_EEESW_SX_SY_S15_S19_S1B_T6_T7_T9_mT8_S1D_bDpT10_ENKUlT_T0_E_clISt17integral_constantIbLb0EES1Q_IbLb1EEEEDaS1M_S1N_EUlS1M_E_NS1_11comp_targetILNS1_3genE8ELNS1_11target_archE1030ELNS1_3gpuE2ELNS1_3repE0EEENS1_30default_config_static_selectorELNS0_4arch9wavefront6targetE0EEEvSZ_.kd
    .uniform_work_group_size: 1
    .uses_dynamic_stack: false
    .vgpr_count:     0
    .vgpr_spill_count: 0
    .wavefront_size: 32
    .workgroup_processor_mode: 1
  - .args:
      - .offset:         0
        .size:           144
        .value_kind:     by_value
    .group_segment_fixed_size: 0
    .kernarg_segment_align: 8
    .kernarg_segment_size: 144
    .language:       OpenCL C
    .language_version:
      - 2
      - 0
    .max_flat_workgroup_size: 256
    .name:           _ZN7rocprim17ROCPRIM_400000_NS6detail17trampoline_kernelINS0_13select_configILj256ELj13ELNS0_17block_load_methodE3ELS4_3ELS4_3ELNS0_20block_scan_algorithmE0ELj4294967295EEENS1_25partition_config_selectorILNS1_17partition_subalgoE3EjNS0_10empty_typeEbEEZZNS1_14partition_implILS8_3ELb0ES6_jNS0_17counting_iteratorIjlEEPS9_SE_NS0_5tupleIJPjSE_EEENSF_IJSE_SE_EEES9_SG_JZNS1_25segmented_radix_sort_implINS0_14default_configELb1EPKlPlSM_SN_N2at6native12_GLOBAL__N_18offset_tEEE10hipError_tPvRmT1_PNSt15iterator_traitsISV_E10value_typeET2_T3_PNSW_IS11_E10value_typeET4_jRbjT5_S17_jjP12ihipStream_tbEUljE_EEESS_ST_SU_S11_S15_S17_T6_T7_T9_mT8_S19_bDpT10_ENKUlT_T0_E_clISt17integral_constantIbLb0EES1M_EEDaS1H_S1I_EUlS1H_E_NS1_11comp_targetILNS1_3genE0ELNS1_11target_archE4294967295ELNS1_3gpuE0ELNS1_3repE0EEENS1_30default_config_static_selectorELNS0_4arch9wavefront6targetE0EEEvSV_
    .private_segment_fixed_size: 0
    .sgpr_count:     0
    .sgpr_spill_count: 0
    .symbol:         _ZN7rocprim17ROCPRIM_400000_NS6detail17trampoline_kernelINS0_13select_configILj256ELj13ELNS0_17block_load_methodE3ELS4_3ELS4_3ELNS0_20block_scan_algorithmE0ELj4294967295EEENS1_25partition_config_selectorILNS1_17partition_subalgoE3EjNS0_10empty_typeEbEEZZNS1_14partition_implILS8_3ELb0ES6_jNS0_17counting_iteratorIjlEEPS9_SE_NS0_5tupleIJPjSE_EEENSF_IJSE_SE_EEES9_SG_JZNS1_25segmented_radix_sort_implINS0_14default_configELb1EPKlPlSM_SN_N2at6native12_GLOBAL__N_18offset_tEEE10hipError_tPvRmT1_PNSt15iterator_traitsISV_E10value_typeET2_T3_PNSW_IS11_E10value_typeET4_jRbjT5_S17_jjP12ihipStream_tbEUljE_EEESS_ST_SU_S11_S15_S17_T6_T7_T9_mT8_S19_bDpT10_ENKUlT_T0_E_clISt17integral_constantIbLb0EES1M_EEDaS1H_S1I_EUlS1H_E_NS1_11comp_targetILNS1_3genE0ELNS1_11target_archE4294967295ELNS1_3gpuE0ELNS1_3repE0EEENS1_30default_config_static_selectorELNS0_4arch9wavefront6targetE0EEEvSV_.kd
    .uniform_work_group_size: 1
    .uses_dynamic_stack: false
    .vgpr_count:     0
    .vgpr_spill_count: 0
    .wavefront_size: 32
    .workgroup_processor_mode: 1
  - .args:
      - .offset:         0
        .size:           144
        .value_kind:     by_value
    .group_segment_fixed_size: 0
    .kernarg_segment_align: 8
    .kernarg_segment_size: 144
    .language:       OpenCL C
    .language_version:
      - 2
      - 0
    .max_flat_workgroup_size: 256
    .name:           _ZN7rocprim17ROCPRIM_400000_NS6detail17trampoline_kernelINS0_13select_configILj256ELj13ELNS0_17block_load_methodE3ELS4_3ELS4_3ELNS0_20block_scan_algorithmE0ELj4294967295EEENS1_25partition_config_selectorILNS1_17partition_subalgoE3EjNS0_10empty_typeEbEEZZNS1_14partition_implILS8_3ELb0ES6_jNS0_17counting_iteratorIjlEEPS9_SE_NS0_5tupleIJPjSE_EEENSF_IJSE_SE_EEES9_SG_JZNS1_25segmented_radix_sort_implINS0_14default_configELb1EPKlPlSM_SN_N2at6native12_GLOBAL__N_18offset_tEEE10hipError_tPvRmT1_PNSt15iterator_traitsISV_E10value_typeET2_T3_PNSW_IS11_E10value_typeET4_jRbjT5_S17_jjP12ihipStream_tbEUljE_EEESS_ST_SU_S11_S15_S17_T6_T7_T9_mT8_S19_bDpT10_ENKUlT_T0_E_clISt17integral_constantIbLb0EES1M_EEDaS1H_S1I_EUlS1H_E_NS1_11comp_targetILNS1_3genE5ELNS1_11target_archE942ELNS1_3gpuE9ELNS1_3repE0EEENS1_30default_config_static_selectorELNS0_4arch9wavefront6targetE0EEEvSV_
    .private_segment_fixed_size: 0
    .sgpr_count:     0
    .sgpr_spill_count: 0
    .symbol:         _ZN7rocprim17ROCPRIM_400000_NS6detail17trampoline_kernelINS0_13select_configILj256ELj13ELNS0_17block_load_methodE3ELS4_3ELS4_3ELNS0_20block_scan_algorithmE0ELj4294967295EEENS1_25partition_config_selectorILNS1_17partition_subalgoE3EjNS0_10empty_typeEbEEZZNS1_14partition_implILS8_3ELb0ES6_jNS0_17counting_iteratorIjlEEPS9_SE_NS0_5tupleIJPjSE_EEENSF_IJSE_SE_EEES9_SG_JZNS1_25segmented_radix_sort_implINS0_14default_configELb1EPKlPlSM_SN_N2at6native12_GLOBAL__N_18offset_tEEE10hipError_tPvRmT1_PNSt15iterator_traitsISV_E10value_typeET2_T3_PNSW_IS11_E10value_typeET4_jRbjT5_S17_jjP12ihipStream_tbEUljE_EEESS_ST_SU_S11_S15_S17_T6_T7_T9_mT8_S19_bDpT10_ENKUlT_T0_E_clISt17integral_constantIbLb0EES1M_EEDaS1H_S1I_EUlS1H_E_NS1_11comp_targetILNS1_3genE5ELNS1_11target_archE942ELNS1_3gpuE9ELNS1_3repE0EEENS1_30default_config_static_selectorELNS0_4arch9wavefront6targetE0EEEvSV_.kd
    .uniform_work_group_size: 1
    .uses_dynamic_stack: false
    .vgpr_count:     0
    .vgpr_spill_count: 0
    .wavefront_size: 32
    .workgroup_processor_mode: 1
  - .args:
      - .offset:         0
        .size:           144
        .value_kind:     by_value
    .group_segment_fixed_size: 0
    .kernarg_segment_align: 8
    .kernarg_segment_size: 144
    .language:       OpenCL C
    .language_version:
      - 2
      - 0
    .max_flat_workgroup_size: 256
    .name:           _ZN7rocprim17ROCPRIM_400000_NS6detail17trampoline_kernelINS0_13select_configILj256ELj13ELNS0_17block_load_methodE3ELS4_3ELS4_3ELNS0_20block_scan_algorithmE0ELj4294967295EEENS1_25partition_config_selectorILNS1_17partition_subalgoE3EjNS0_10empty_typeEbEEZZNS1_14partition_implILS8_3ELb0ES6_jNS0_17counting_iteratorIjlEEPS9_SE_NS0_5tupleIJPjSE_EEENSF_IJSE_SE_EEES9_SG_JZNS1_25segmented_radix_sort_implINS0_14default_configELb1EPKlPlSM_SN_N2at6native12_GLOBAL__N_18offset_tEEE10hipError_tPvRmT1_PNSt15iterator_traitsISV_E10value_typeET2_T3_PNSW_IS11_E10value_typeET4_jRbjT5_S17_jjP12ihipStream_tbEUljE_EEESS_ST_SU_S11_S15_S17_T6_T7_T9_mT8_S19_bDpT10_ENKUlT_T0_E_clISt17integral_constantIbLb0EES1M_EEDaS1H_S1I_EUlS1H_E_NS1_11comp_targetILNS1_3genE4ELNS1_11target_archE910ELNS1_3gpuE8ELNS1_3repE0EEENS1_30default_config_static_selectorELNS0_4arch9wavefront6targetE0EEEvSV_
    .private_segment_fixed_size: 0
    .sgpr_count:     0
    .sgpr_spill_count: 0
    .symbol:         _ZN7rocprim17ROCPRIM_400000_NS6detail17trampoline_kernelINS0_13select_configILj256ELj13ELNS0_17block_load_methodE3ELS4_3ELS4_3ELNS0_20block_scan_algorithmE0ELj4294967295EEENS1_25partition_config_selectorILNS1_17partition_subalgoE3EjNS0_10empty_typeEbEEZZNS1_14partition_implILS8_3ELb0ES6_jNS0_17counting_iteratorIjlEEPS9_SE_NS0_5tupleIJPjSE_EEENSF_IJSE_SE_EEES9_SG_JZNS1_25segmented_radix_sort_implINS0_14default_configELb1EPKlPlSM_SN_N2at6native12_GLOBAL__N_18offset_tEEE10hipError_tPvRmT1_PNSt15iterator_traitsISV_E10value_typeET2_T3_PNSW_IS11_E10value_typeET4_jRbjT5_S17_jjP12ihipStream_tbEUljE_EEESS_ST_SU_S11_S15_S17_T6_T7_T9_mT8_S19_bDpT10_ENKUlT_T0_E_clISt17integral_constantIbLb0EES1M_EEDaS1H_S1I_EUlS1H_E_NS1_11comp_targetILNS1_3genE4ELNS1_11target_archE910ELNS1_3gpuE8ELNS1_3repE0EEENS1_30default_config_static_selectorELNS0_4arch9wavefront6targetE0EEEvSV_.kd
    .uniform_work_group_size: 1
    .uses_dynamic_stack: false
    .vgpr_count:     0
    .vgpr_spill_count: 0
    .wavefront_size: 32
    .workgroup_processor_mode: 1
  - .args:
      - .offset:         0
        .size:           144
        .value_kind:     by_value
    .group_segment_fixed_size: 0
    .kernarg_segment_align: 8
    .kernarg_segment_size: 144
    .language:       OpenCL C
    .language_version:
      - 2
      - 0
    .max_flat_workgroup_size: 256
    .name:           _ZN7rocprim17ROCPRIM_400000_NS6detail17trampoline_kernelINS0_13select_configILj256ELj13ELNS0_17block_load_methodE3ELS4_3ELS4_3ELNS0_20block_scan_algorithmE0ELj4294967295EEENS1_25partition_config_selectorILNS1_17partition_subalgoE3EjNS0_10empty_typeEbEEZZNS1_14partition_implILS8_3ELb0ES6_jNS0_17counting_iteratorIjlEEPS9_SE_NS0_5tupleIJPjSE_EEENSF_IJSE_SE_EEES9_SG_JZNS1_25segmented_radix_sort_implINS0_14default_configELb1EPKlPlSM_SN_N2at6native12_GLOBAL__N_18offset_tEEE10hipError_tPvRmT1_PNSt15iterator_traitsISV_E10value_typeET2_T3_PNSW_IS11_E10value_typeET4_jRbjT5_S17_jjP12ihipStream_tbEUljE_EEESS_ST_SU_S11_S15_S17_T6_T7_T9_mT8_S19_bDpT10_ENKUlT_T0_E_clISt17integral_constantIbLb0EES1M_EEDaS1H_S1I_EUlS1H_E_NS1_11comp_targetILNS1_3genE3ELNS1_11target_archE908ELNS1_3gpuE7ELNS1_3repE0EEENS1_30default_config_static_selectorELNS0_4arch9wavefront6targetE0EEEvSV_
    .private_segment_fixed_size: 0
    .sgpr_count:     0
    .sgpr_spill_count: 0
    .symbol:         _ZN7rocprim17ROCPRIM_400000_NS6detail17trampoline_kernelINS0_13select_configILj256ELj13ELNS0_17block_load_methodE3ELS4_3ELS4_3ELNS0_20block_scan_algorithmE0ELj4294967295EEENS1_25partition_config_selectorILNS1_17partition_subalgoE3EjNS0_10empty_typeEbEEZZNS1_14partition_implILS8_3ELb0ES6_jNS0_17counting_iteratorIjlEEPS9_SE_NS0_5tupleIJPjSE_EEENSF_IJSE_SE_EEES9_SG_JZNS1_25segmented_radix_sort_implINS0_14default_configELb1EPKlPlSM_SN_N2at6native12_GLOBAL__N_18offset_tEEE10hipError_tPvRmT1_PNSt15iterator_traitsISV_E10value_typeET2_T3_PNSW_IS11_E10value_typeET4_jRbjT5_S17_jjP12ihipStream_tbEUljE_EEESS_ST_SU_S11_S15_S17_T6_T7_T9_mT8_S19_bDpT10_ENKUlT_T0_E_clISt17integral_constantIbLb0EES1M_EEDaS1H_S1I_EUlS1H_E_NS1_11comp_targetILNS1_3genE3ELNS1_11target_archE908ELNS1_3gpuE7ELNS1_3repE0EEENS1_30default_config_static_selectorELNS0_4arch9wavefront6targetE0EEEvSV_.kd
    .uniform_work_group_size: 1
    .uses_dynamic_stack: false
    .vgpr_count:     0
    .vgpr_spill_count: 0
    .wavefront_size: 32
    .workgroup_processor_mode: 1
  - .args:
      - .offset:         0
        .size:           144
        .value_kind:     by_value
    .group_segment_fixed_size: 0
    .kernarg_segment_align: 8
    .kernarg_segment_size: 144
    .language:       OpenCL C
    .language_version:
      - 2
      - 0
    .max_flat_workgroup_size: 256
    .name:           _ZN7rocprim17ROCPRIM_400000_NS6detail17trampoline_kernelINS0_13select_configILj256ELj13ELNS0_17block_load_methodE3ELS4_3ELS4_3ELNS0_20block_scan_algorithmE0ELj4294967295EEENS1_25partition_config_selectorILNS1_17partition_subalgoE3EjNS0_10empty_typeEbEEZZNS1_14partition_implILS8_3ELb0ES6_jNS0_17counting_iteratorIjlEEPS9_SE_NS0_5tupleIJPjSE_EEENSF_IJSE_SE_EEES9_SG_JZNS1_25segmented_radix_sort_implINS0_14default_configELb1EPKlPlSM_SN_N2at6native12_GLOBAL__N_18offset_tEEE10hipError_tPvRmT1_PNSt15iterator_traitsISV_E10value_typeET2_T3_PNSW_IS11_E10value_typeET4_jRbjT5_S17_jjP12ihipStream_tbEUljE_EEESS_ST_SU_S11_S15_S17_T6_T7_T9_mT8_S19_bDpT10_ENKUlT_T0_E_clISt17integral_constantIbLb0EES1M_EEDaS1H_S1I_EUlS1H_E_NS1_11comp_targetILNS1_3genE2ELNS1_11target_archE906ELNS1_3gpuE6ELNS1_3repE0EEENS1_30default_config_static_selectorELNS0_4arch9wavefront6targetE0EEEvSV_
    .private_segment_fixed_size: 0
    .sgpr_count:     0
    .sgpr_spill_count: 0
    .symbol:         _ZN7rocprim17ROCPRIM_400000_NS6detail17trampoline_kernelINS0_13select_configILj256ELj13ELNS0_17block_load_methodE3ELS4_3ELS4_3ELNS0_20block_scan_algorithmE0ELj4294967295EEENS1_25partition_config_selectorILNS1_17partition_subalgoE3EjNS0_10empty_typeEbEEZZNS1_14partition_implILS8_3ELb0ES6_jNS0_17counting_iteratorIjlEEPS9_SE_NS0_5tupleIJPjSE_EEENSF_IJSE_SE_EEES9_SG_JZNS1_25segmented_radix_sort_implINS0_14default_configELb1EPKlPlSM_SN_N2at6native12_GLOBAL__N_18offset_tEEE10hipError_tPvRmT1_PNSt15iterator_traitsISV_E10value_typeET2_T3_PNSW_IS11_E10value_typeET4_jRbjT5_S17_jjP12ihipStream_tbEUljE_EEESS_ST_SU_S11_S15_S17_T6_T7_T9_mT8_S19_bDpT10_ENKUlT_T0_E_clISt17integral_constantIbLb0EES1M_EEDaS1H_S1I_EUlS1H_E_NS1_11comp_targetILNS1_3genE2ELNS1_11target_archE906ELNS1_3gpuE6ELNS1_3repE0EEENS1_30default_config_static_selectorELNS0_4arch9wavefront6targetE0EEEvSV_.kd
    .uniform_work_group_size: 1
    .uses_dynamic_stack: false
    .vgpr_count:     0
    .vgpr_spill_count: 0
    .wavefront_size: 32
    .workgroup_processor_mode: 1
  - .args:
      - .offset:         0
        .size:           144
        .value_kind:     by_value
    .group_segment_fixed_size: 0
    .kernarg_segment_align: 8
    .kernarg_segment_size: 144
    .language:       OpenCL C
    .language_version:
      - 2
      - 0
    .max_flat_workgroup_size: 256
    .name:           _ZN7rocprim17ROCPRIM_400000_NS6detail17trampoline_kernelINS0_13select_configILj256ELj13ELNS0_17block_load_methodE3ELS4_3ELS4_3ELNS0_20block_scan_algorithmE0ELj4294967295EEENS1_25partition_config_selectorILNS1_17partition_subalgoE3EjNS0_10empty_typeEbEEZZNS1_14partition_implILS8_3ELb0ES6_jNS0_17counting_iteratorIjlEEPS9_SE_NS0_5tupleIJPjSE_EEENSF_IJSE_SE_EEES9_SG_JZNS1_25segmented_radix_sort_implINS0_14default_configELb1EPKlPlSM_SN_N2at6native12_GLOBAL__N_18offset_tEEE10hipError_tPvRmT1_PNSt15iterator_traitsISV_E10value_typeET2_T3_PNSW_IS11_E10value_typeET4_jRbjT5_S17_jjP12ihipStream_tbEUljE_EEESS_ST_SU_S11_S15_S17_T6_T7_T9_mT8_S19_bDpT10_ENKUlT_T0_E_clISt17integral_constantIbLb0EES1M_EEDaS1H_S1I_EUlS1H_E_NS1_11comp_targetILNS1_3genE10ELNS1_11target_archE1200ELNS1_3gpuE4ELNS1_3repE0EEENS1_30default_config_static_selectorELNS0_4arch9wavefront6targetE0EEEvSV_
    .private_segment_fixed_size: 0
    .sgpr_count:     0
    .sgpr_spill_count: 0
    .symbol:         _ZN7rocprim17ROCPRIM_400000_NS6detail17trampoline_kernelINS0_13select_configILj256ELj13ELNS0_17block_load_methodE3ELS4_3ELS4_3ELNS0_20block_scan_algorithmE0ELj4294967295EEENS1_25partition_config_selectorILNS1_17partition_subalgoE3EjNS0_10empty_typeEbEEZZNS1_14partition_implILS8_3ELb0ES6_jNS0_17counting_iteratorIjlEEPS9_SE_NS0_5tupleIJPjSE_EEENSF_IJSE_SE_EEES9_SG_JZNS1_25segmented_radix_sort_implINS0_14default_configELb1EPKlPlSM_SN_N2at6native12_GLOBAL__N_18offset_tEEE10hipError_tPvRmT1_PNSt15iterator_traitsISV_E10value_typeET2_T3_PNSW_IS11_E10value_typeET4_jRbjT5_S17_jjP12ihipStream_tbEUljE_EEESS_ST_SU_S11_S15_S17_T6_T7_T9_mT8_S19_bDpT10_ENKUlT_T0_E_clISt17integral_constantIbLb0EES1M_EEDaS1H_S1I_EUlS1H_E_NS1_11comp_targetILNS1_3genE10ELNS1_11target_archE1200ELNS1_3gpuE4ELNS1_3repE0EEENS1_30default_config_static_selectorELNS0_4arch9wavefront6targetE0EEEvSV_.kd
    .uniform_work_group_size: 1
    .uses_dynamic_stack: false
    .vgpr_count:     0
    .vgpr_spill_count: 0
    .wavefront_size: 32
    .workgroup_processor_mode: 1
  - .args:
      - .offset:         0
        .size:           144
        .value_kind:     by_value
    .group_segment_fixed_size: 13324
    .kernarg_segment_align: 8
    .kernarg_segment_size: 144
    .language:       OpenCL C
    .language_version:
      - 2
      - 0
    .max_flat_workgroup_size: 256
    .name:           _ZN7rocprim17ROCPRIM_400000_NS6detail17trampoline_kernelINS0_13select_configILj256ELj13ELNS0_17block_load_methodE3ELS4_3ELS4_3ELNS0_20block_scan_algorithmE0ELj4294967295EEENS1_25partition_config_selectorILNS1_17partition_subalgoE3EjNS0_10empty_typeEbEEZZNS1_14partition_implILS8_3ELb0ES6_jNS0_17counting_iteratorIjlEEPS9_SE_NS0_5tupleIJPjSE_EEENSF_IJSE_SE_EEES9_SG_JZNS1_25segmented_radix_sort_implINS0_14default_configELb1EPKlPlSM_SN_N2at6native12_GLOBAL__N_18offset_tEEE10hipError_tPvRmT1_PNSt15iterator_traitsISV_E10value_typeET2_T3_PNSW_IS11_E10value_typeET4_jRbjT5_S17_jjP12ihipStream_tbEUljE_EEESS_ST_SU_S11_S15_S17_T6_T7_T9_mT8_S19_bDpT10_ENKUlT_T0_E_clISt17integral_constantIbLb0EES1M_EEDaS1H_S1I_EUlS1H_E_NS1_11comp_targetILNS1_3genE9ELNS1_11target_archE1100ELNS1_3gpuE3ELNS1_3repE0EEENS1_30default_config_static_selectorELNS0_4arch9wavefront6targetE0EEEvSV_
    .private_segment_fixed_size: 0
    .sgpr_count:     30
    .sgpr_spill_count: 0
    .symbol:         _ZN7rocprim17ROCPRIM_400000_NS6detail17trampoline_kernelINS0_13select_configILj256ELj13ELNS0_17block_load_methodE3ELS4_3ELS4_3ELNS0_20block_scan_algorithmE0ELj4294967295EEENS1_25partition_config_selectorILNS1_17partition_subalgoE3EjNS0_10empty_typeEbEEZZNS1_14partition_implILS8_3ELb0ES6_jNS0_17counting_iteratorIjlEEPS9_SE_NS0_5tupleIJPjSE_EEENSF_IJSE_SE_EEES9_SG_JZNS1_25segmented_radix_sort_implINS0_14default_configELb1EPKlPlSM_SN_N2at6native12_GLOBAL__N_18offset_tEEE10hipError_tPvRmT1_PNSt15iterator_traitsISV_E10value_typeET2_T3_PNSW_IS11_E10value_typeET4_jRbjT5_S17_jjP12ihipStream_tbEUljE_EEESS_ST_SU_S11_S15_S17_T6_T7_T9_mT8_S19_bDpT10_ENKUlT_T0_E_clISt17integral_constantIbLb0EES1M_EEDaS1H_S1I_EUlS1H_E_NS1_11comp_targetILNS1_3genE9ELNS1_11target_archE1100ELNS1_3gpuE3ELNS1_3repE0EEENS1_30default_config_static_selectorELNS0_4arch9wavefront6targetE0EEEvSV_.kd
    .uniform_work_group_size: 1
    .uses_dynamic_stack: false
    .vgpr_count:     57
    .vgpr_spill_count: 0
    .wavefront_size: 32
    .workgroup_processor_mode: 1
  - .args:
      - .offset:         0
        .size:           144
        .value_kind:     by_value
    .group_segment_fixed_size: 0
    .kernarg_segment_align: 8
    .kernarg_segment_size: 144
    .language:       OpenCL C
    .language_version:
      - 2
      - 0
    .max_flat_workgroup_size: 256
    .name:           _ZN7rocprim17ROCPRIM_400000_NS6detail17trampoline_kernelINS0_13select_configILj256ELj13ELNS0_17block_load_methodE3ELS4_3ELS4_3ELNS0_20block_scan_algorithmE0ELj4294967295EEENS1_25partition_config_selectorILNS1_17partition_subalgoE3EjNS0_10empty_typeEbEEZZNS1_14partition_implILS8_3ELb0ES6_jNS0_17counting_iteratorIjlEEPS9_SE_NS0_5tupleIJPjSE_EEENSF_IJSE_SE_EEES9_SG_JZNS1_25segmented_radix_sort_implINS0_14default_configELb1EPKlPlSM_SN_N2at6native12_GLOBAL__N_18offset_tEEE10hipError_tPvRmT1_PNSt15iterator_traitsISV_E10value_typeET2_T3_PNSW_IS11_E10value_typeET4_jRbjT5_S17_jjP12ihipStream_tbEUljE_EEESS_ST_SU_S11_S15_S17_T6_T7_T9_mT8_S19_bDpT10_ENKUlT_T0_E_clISt17integral_constantIbLb0EES1M_EEDaS1H_S1I_EUlS1H_E_NS1_11comp_targetILNS1_3genE8ELNS1_11target_archE1030ELNS1_3gpuE2ELNS1_3repE0EEENS1_30default_config_static_selectorELNS0_4arch9wavefront6targetE0EEEvSV_
    .private_segment_fixed_size: 0
    .sgpr_count:     0
    .sgpr_spill_count: 0
    .symbol:         _ZN7rocprim17ROCPRIM_400000_NS6detail17trampoline_kernelINS0_13select_configILj256ELj13ELNS0_17block_load_methodE3ELS4_3ELS4_3ELNS0_20block_scan_algorithmE0ELj4294967295EEENS1_25partition_config_selectorILNS1_17partition_subalgoE3EjNS0_10empty_typeEbEEZZNS1_14partition_implILS8_3ELb0ES6_jNS0_17counting_iteratorIjlEEPS9_SE_NS0_5tupleIJPjSE_EEENSF_IJSE_SE_EEES9_SG_JZNS1_25segmented_radix_sort_implINS0_14default_configELb1EPKlPlSM_SN_N2at6native12_GLOBAL__N_18offset_tEEE10hipError_tPvRmT1_PNSt15iterator_traitsISV_E10value_typeET2_T3_PNSW_IS11_E10value_typeET4_jRbjT5_S17_jjP12ihipStream_tbEUljE_EEESS_ST_SU_S11_S15_S17_T6_T7_T9_mT8_S19_bDpT10_ENKUlT_T0_E_clISt17integral_constantIbLb0EES1M_EEDaS1H_S1I_EUlS1H_E_NS1_11comp_targetILNS1_3genE8ELNS1_11target_archE1030ELNS1_3gpuE2ELNS1_3repE0EEENS1_30default_config_static_selectorELNS0_4arch9wavefront6targetE0EEEvSV_.kd
    .uniform_work_group_size: 1
    .uses_dynamic_stack: false
    .vgpr_count:     0
    .vgpr_spill_count: 0
    .wavefront_size: 32
    .workgroup_processor_mode: 1
  - .args:
      - .offset:         0
        .size:           152
        .value_kind:     by_value
    .group_segment_fixed_size: 0
    .kernarg_segment_align: 8
    .kernarg_segment_size: 152
    .language:       OpenCL C
    .language_version:
      - 2
      - 0
    .max_flat_workgroup_size: 256
    .name:           _ZN7rocprim17ROCPRIM_400000_NS6detail17trampoline_kernelINS0_13select_configILj256ELj13ELNS0_17block_load_methodE3ELS4_3ELS4_3ELNS0_20block_scan_algorithmE0ELj4294967295EEENS1_25partition_config_selectorILNS1_17partition_subalgoE3EjNS0_10empty_typeEbEEZZNS1_14partition_implILS8_3ELb0ES6_jNS0_17counting_iteratorIjlEEPS9_SE_NS0_5tupleIJPjSE_EEENSF_IJSE_SE_EEES9_SG_JZNS1_25segmented_radix_sort_implINS0_14default_configELb1EPKlPlSM_SN_N2at6native12_GLOBAL__N_18offset_tEEE10hipError_tPvRmT1_PNSt15iterator_traitsISV_E10value_typeET2_T3_PNSW_IS11_E10value_typeET4_jRbjT5_S17_jjP12ihipStream_tbEUljE_EEESS_ST_SU_S11_S15_S17_T6_T7_T9_mT8_S19_bDpT10_ENKUlT_T0_E_clISt17integral_constantIbLb1EES1M_EEDaS1H_S1I_EUlS1H_E_NS1_11comp_targetILNS1_3genE0ELNS1_11target_archE4294967295ELNS1_3gpuE0ELNS1_3repE0EEENS1_30default_config_static_selectorELNS0_4arch9wavefront6targetE0EEEvSV_
    .private_segment_fixed_size: 0
    .sgpr_count:     0
    .sgpr_spill_count: 0
    .symbol:         _ZN7rocprim17ROCPRIM_400000_NS6detail17trampoline_kernelINS0_13select_configILj256ELj13ELNS0_17block_load_methodE3ELS4_3ELS4_3ELNS0_20block_scan_algorithmE0ELj4294967295EEENS1_25partition_config_selectorILNS1_17partition_subalgoE3EjNS0_10empty_typeEbEEZZNS1_14partition_implILS8_3ELb0ES6_jNS0_17counting_iteratorIjlEEPS9_SE_NS0_5tupleIJPjSE_EEENSF_IJSE_SE_EEES9_SG_JZNS1_25segmented_radix_sort_implINS0_14default_configELb1EPKlPlSM_SN_N2at6native12_GLOBAL__N_18offset_tEEE10hipError_tPvRmT1_PNSt15iterator_traitsISV_E10value_typeET2_T3_PNSW_IS11_E10value_typeET4_jRbjT5_S17_jjP12ihipStream_tbEUljE_EEESS_ST_SU_S11_S15_S17_T6_T7_T9_mT8_S19_bDpT10_ENKUlT_T0_E_clISt17integral_constantIbLb1EES1M_EEDaS1H_S1I_EUlS1H_E_NS1_11comp_targetILNS1_3genE0ELNS1_11target_archE4294967295ELNS1_3gpuE0ELNS1_3repE0EEENS1_30default_config_static_selectorELNS0_4arch9wavefront6targetE0EEEvSV_.kd
    .uniform_work_group_size: 1
    .uses_dynamic_stack: false
    .vgpr_count:     0
    .vgpr_spill_count: 0
    .wavefront_size: 32
    .workgroup_processor_mode: 1
  - .args:
      - .offset:         0
        .size:           152
        .value_kind:     by_value
    .group_segment_fixed_size: 0
    .kernarg_segment_align: 8
    .kernarg_segment_size: 152
    .language:       OpenCL C
    .language_version:
      - 2
      - 0
    .max_flat_workgroup_size: 256
    .name:           _ZN7rocprim17ROCPRIM_400000_NS6detail17trampoline_kernelINS0_13select_configILj256ELj13ELNS0_17block_load_methodE3ELS4_3ELS4_3ELNS0_20block_scan_algorithmE0ELj4294967295EEENS1_25partition_config_selectorILNS1_17partition_subalgoE3EjNS0_10empty_typeEbEEZZNS1_14partition_implILS8_3ELb0ES6_jNS0_17counting_iteratorIjlEEPS9_SE_NS0_5tupleIJPjSE_EEENSF_IJSE_SE_EEES9_SG_JZNS1_25segmented_radix_sort_implINS0_14default_configELb1EPKlPlSM_SN_N2at6native12_GLOBAL__N_18offset_tEEE10hipError_tPvRmT1_PNSt15iterator_traitsISV_E10value_typeET2_T3_PNSW_IS11_E10value_typeET4_jRbjT5_S17_jjP12ihipStream_tbEUljE_EEESS_ST_SU_S11_S15_S17_T6_T7_T9_mT8_S19_bDpT10_ENKUlT_T0_E_clISt17integral_constantIbLb1EES1M_EEDaS1H_S1I_EUlS1H_E_NS1_11comp_targetILNS1_3genE5ELNS1_11target_archE942ELNS1_3gpuE9ELNS1_3repE0EEENS1_30default_config_static_selectorELNS0_4arch9wavefront6targetE0EEEvSV_
    .private_segment_fixed_size: 0
    .sgpr_count:     0
    .sgpr_spill_count: 0
    .symbol:         _ZN7rocprim17ROCPRIM_400000_NS6detail17trampoline_kernelINS0_13select_configILj256ELj13ELNS0_17block_load_methodE3ELS4_3ELS4_3ELNS0_20block_scan_algorithmE0ELj4294967295EEENS1_25partition_config_selectorILNS1_17partition_subalgoE3EjNS0_10empty_typeEbEEZZNS1_14partition_implILS8_3ELb0ES6_jNS0_17counting_iteratorIjlEEPS9_SE_NS0_5tupleIJPjSE_EEENSF_IJSE_SE_EEES9_SG_JZNS1_25segmented_radix_sort_implINS0_14default_configELb1EPKlPlSM_SN_N2at6native12_GLOBAL__N_18offset_tEEE10hipError_tPvRmT1_PNSt15iterator_traitsISV_E10value_typeET2_T3_PNSW_IS11_E10value_typeET4_jRbjT5_S17_jjP12ihipStream_tbEUljE_EEESS_ST_SU_S11_S15_S17_T6_T7_T9_mT8_S19_bDpT10_ENKUlT_T0_E_clISt17integral_constantIbLb1EES1M_EEDaS1H_S1I_EUlS1H_E_NS1_11comp_targetILNS1_3genE5ELNS1_11target_archE942ELNS1_3gpuE9ELNS1_3repE0EEENS1_30default_config_static_selectorELNS0_4arch9wavefront6targetE0EEEvSV_.kd
    .uniform_work_group_size: 1
    .uses_dynamic_stack: false
    .vgpr_count:     0
    .vgpr_spill_count: 0
    .wavefront_size: 32
    .workgroup_processor_mode: 1
  - .args:
      - .offset:         0
        .size:           152
        .value_kind:     by_value
    .group_segment_fixed_size: 0
    .kernarg_segment_align: 8
    .kernarg_segment_size: 152
    .language:       OpenCL C
    .language_version:
      - 2
      - 0
    .max_flat_workgroup_size: 256
    .name:           _ZN7rocprim17ROCPRIM_400000_NS6detail17trampoline_kernelINS0_13select_configILj256ELj13ELNS0_17block_load_methodE3ELS4_3ELS4_3ELNS0_20block_scan_algorithmE0ELj4294967295EEENS1_25partition_config_selectorILNS1_17partition_subalgoE3EjNS0_10empty_typeEbEEZZNS1_14partition_implILS8_3ELb0ES6_jNS0_17counting_iteratorIjlEEPS9_SE_NS0_5tupleIJPjSE_EEENSF_IJSE_SE_EEES9_SG_JZNS1_25segmented_radix_sort_implINS0_14default_configELb1EPKlPlSM_SN_N2at6native12_GLOBAL__N_18offset_tEEE10hipError_tPvRmT1_PNSt15iterator_traitsISV_E10value_typeET2_T3_PNSW_IS11_E10value_typeET4_jRbjT5_S17_jjP12ihipStream_tbEUljE_EEESS_ST_SU_S11_S15_S17_T6_T7_T9_mT8_S19_bDpT10_ENKUlT_T0_E_clISt17integral_constantIbLb1EES1M_EEDaS1H_S1I_EUlS1H_E_NS1_11comp_targetILNS1_3genE4ELNS1_11target_archE910ELNS1_3gpuE8ELNS1_3repE0EEENS1_30default_config_static_selectorELNS0_4arch9wavefront6targetE0EEEvSV_
    .private_segment_fixed_size: 0
    .sgpr_count:     0
    .sgpr_spill_count: 0
    .symbol:         _ZN7rocprim17ROCPRIM_400000_NS6detail17trampoline_kernelINS0_13select_configILj256ELj13ELNS0_17block_load_methodE3ELS4_3ELS4_3ELNS0_20block_scan_algorithmE0ELj4294967295EEENS1_25partition_config_selectorILNS1_17partition_subalgoE3EjNS0_10empty_typeEbEEZZNS1_14partition_implILS8_3ELb0ES6_jNS0_17counting_iteratorIjlEEPS9_SE_NS0_5tupleIJPjSE_EEENSF_IJSE_SE_EEES9_SG_JZNS1_25segmented_radix_sort_implINS0_14default_configELb1EPKlPlSM_SN_N2at6native12_GLOBAL__N_18offset_tEEE10hipError_tPvRmT1_PNSt15iterator_traitsISV_E10value_typeET2_T3_PNSW_IS11_E10value_typeET4_jRbjT5_S17_jjP12ihipStream_tbEUljE_EEESS_ST_SU_S11_S15_S17_T6_T7_T9_mT8_S19_bDpT10_ENKUlT_T0_E_clISt17integral_constantIbLb1EES1M_EEDaS1H_S1I_EUlS1H_E_NS1_11comp_targetILNS1_3genE4ELNS1_11target_archE910ELNS1_3gpuE8ELNS1_3repE0EEENS1_30default_config_static_selectorELNS0_4arch9wavefront6targetE0EEEvSV_.kd
    .uniform_work_group_size: 1
    .uses_dynamic_stack: false
    .vgpr_count:     0
    .vgpr_spill_count: 0
    .wavefront_size: 32
    .workgroup_processor_mode: 1
  - .args:
      - .offset:         0
        .size:           152
        .value_kind:     by_value
    .group_segment_fixed_size: 0
    .kernarg_segment_align: 8
    .kernarg_segment_size: 152
    .language:       OpenCL C
    .language_version:
      - 2
      - 0
    .max_flat_workgroup_size: 256
    .name:           _ZN7rocprim17ROCPRIM_400000_NS6detail17trampoline_kernelINS0_13select_configILj256ELj13ELNS0_17block_load_methodE3ELS4_3ELS4_3ELNS0_20block_scan_algorithmE0ELj4294967295EEENS1_25partition_config_selectorILNS1_17partition_subalgoE3EjNS0_10empty_typeEbEEZZNS1_14partition_implILS8_3ELb0ES6_jNS0_17counting_iteratorIjlEEPS9_SE_NS0_5tupleIJPjSE_EEENSF_IJSE_SE_EEES9_SG_JZNS1_25segmented_radix_sort_implINS0_14default_configELb1EPKlPlSM_SN_N2at6native12_GLOBAL__N_18offset_tEEE10hipError_tPvRmT1_PNSt15iterator_traitsISV_E10value_typeET2_T3_PNSW_IS11_E10value_typeET4_jRbjT5_S17_jjP12ihipStream_tbEUljE_EEESS_ST_SU_S11_S15_S17_T6_T7_T9_mT8_S19_bDpT10_ENKUlT_T0_E_clISt17integral_constantIbLb1EES1M_EEDaS1H_S1I_EUlS1H_E_NS1_11comp_targetILNS1_3genE3ELNS1_11target_archE908ELNS1_3gpuE7ELNS1_3repE0EEENS1_30default_config_static_selectorELNS0_4arch9wavefront6targetE0EEEvSV_
    .private_segment_fixed_size: 0
    .sgpr_count:     0
    .sgpr_spill_count: 0
    .symbol:         _ZN7rocprim17ROCPRIM_400000_NS6detail17trampoline_kernelINS0_13select_configILj256ELj13ELNS0_17block_load_methodE3ELS4_3ELS4_3ELNS0_20block_scan_algorithmE0ELj4294967295EEENS1_25partition_config_selectorILNS1_17partition_subalgoE3EjNS0_10empty_typeEbEEZZNS1_14partition_implILS8_3ELb0ES6_jNS0_17counting_iteratorIjlEEPS9_SE_NS0_5tupleIJPjSE_EEENSF_IJSE_SE_EEES9_SG_JZNS1_25segmented_radix_sort_implINS0_14default_configELb1EPKlPlSM_SN_N2at6native12_GLOBAL__N_18offset_tEEE10hipError_tPvRmT1_PNSt15iterator_traitsISV_E10value_typeET2_T3_PNSW_IS11_E10value_typeET4_jRbjT5_S17_jjP12ihipStream_tbEUljE_EEESS_ST_SU_S11_S15_S17_T6_T7_T9_mT8_S19_bDpT10_ENKUlT_T0_E_clISt17integral_constantIbLb1EES1M_EEDaS1H_S1I_EUlS1H_E_NS1_11comp_targetILNS1_3genE3ELNS1_11target_archE908ELNS1_3gpuE7ELNS1_3repE0EEENS1_30default_config_static_selectorELNS0_4arch9wavefront6targetE0EEEvSV_.kd
    .uniform_work_group_size: 1
    .uses_dynamic_stack: false
    .vgpr_count:     0
    .vgpr_spill_count: 0
    .wavefront_size: 32
    .workgroup_processor_mode: 1
  - .args:
      - .offset:         0
        .size:           152
        .value_kind:     by_value
    .group_segment_fixed_size: 0
    .kernarg_segment_align: 8
    .kernarg_segment_size: 152
    .language:       OpenCL C
    .language_version:
      - 2
      - 0
    .max_flat_workgroup_size: 256
    .name:           _ZN7rocprim17ROCPRIM_400000_NS6detail17trampoline_kernelINS0_13select_configILj256ELj13ELNS0_17block_load_methodE3ELS4_3ELS4_3ELNS0_20block_scan_algorithmE0ELj4294967295EEENS1_25partition_config_selectorILNS1_17partition_subalgoE3EjNS0_10empty_typeEbEEZZNS1_14partition_implILS8_3ELb0ES6_jNS0_17counting_iteratorIjlEEPS9_SE_NS0_5tupleIJPjSE_EEENSF_IJSE_SE_EEES9_SG_JZNS1_25segmented_radix_sort_implINS0_14default_configELb1EPKlPlSM_SN_N2at6native12_GLOBAL__N_18offset_tEEE10hipError_tPvRmT1_PNSt15iterator_traitsISV_E10value_typeET2_T3_PNSW_IS11_E10value_typeET4_jRbjT5_S17_jjP12ihipStream_tbEUljE_EEESS_ST_SU_S11_S15_S17_T6_T7_T9_mT8_S19_bDpT10_ENKUlT_T0_E_clISt17integral_constantIbLb1EES1M_EEDaS1H_S1I_EUlS1H_E_NS1_11comp_targetILNS1_3genE2ELNS1_11target_archE906ELNS1_3gpuE6ELNS1_3repE0EEENS1_30default_config_static_selectorELNS0_4arch9wavefront6targetE0EEEvSV_
    .private_segment_fixed_size: 0
    .sgpr_count:     0
    .sgpr_spill_count: 0
    .symbol:         _ZN7rocprim17ROCPRIM_400000_NS6detail17trampoline_kernelINS0_13select_configILj256ELj13ELNS0_17block_load_methodE3ELS4_3ELS4_3ELNS0_20block_scan_algorithmE0ELj4294967295EEENS1_25partition_config_selectorILNS1_17partition_subalgoE3EjNS0_10empty_typeEbEEZZNS1_14partition_implILS8_3ELb0ES6_jNS0_17counting_iteratorIjlEEPS9_SE_NS0_5tupleIJPjSE_EEENSF_IJSE_SE_EEES9_SG_JZNS1_25segmented_radix_sort_implINS0_14default_configELb1EPKlPlSM_SN_N2at6native12_GLOBAL__N_18offset_tEEE10hipError_tPvRmT1_PNSt15iterator_traitsISV_E10value_typeET2_T3_PNSW_IS11_E10value_typeET4_jRbjT5_S17_jjP12ihipStream_tbEUljE_EEESS_ST_SU_S11_S15_S17_T6_T7_T9_mT8_S19_bDpT10_ENKUlT_T0_E_clISt17integral_constantIbLb1EES1M_EEDaS1H_S1I_EUlS1H_E_NS1_11comp_targetILNS1_3genE2ELNS1_11target_archE906ELNS1_3gpuE6ELNS1_3repE0EEENS1_30default_config_static_selectorELNS0_4arch9wavefront6targetE0EEEvSV_.kd
    .uniform_work_group_size: 1
    .uses_dynamic_stack: false
    .vgpr_count:     0
    .vgpr_spill_count: 0
    .wavefront_size: 32
    .workgroup_processor_mode: 1
  - .args:
      - .offset:         0
        .size:           152
        .value_kind:     by_value
    .group_segment_fixed_size: 0
    .kernarg_segment_align: 8
    .kernarg_segment_size: 152
    .language:       OpenCL C
    .language_version:
      - 2
      - 0
    .max_flat_workgroup_size: 256
    .name:           _ZN7rocprim17ROCPRIM_400000_NS6detail17trampoline_kernelINS0_13select_configILj256ELj13ELNS0_17block_load_methodE3ELS4_3ELS4_3ELNS0_20block_scan_algorithmE0ELj4294967295EEENS1_25partition_config_selectorILNS1_17partition_subalgoE3EjNS0_10empty_typeEbEEZZNS1_14partition_implILS8_3ELb0ES6_jNS0_17counting_iteratorIjlEEPS9_SE_NS0_5tupleIJPjSE_EEENSF_IJSE_SE_EEES9_SG_JZNS1_25segmented_radix_sort_implINS0_14default_configELb1EPKlPlSM_SN_N2at6native12_GLOBAL__N_18offset_tEEE10hipError_tPvRmT1_PNSt15iterator_traitsISV_E10value_typeET2_T3_PNSW_IS11_E10value_typeET4_jRbjT5_S17_jjP12ihipStream_tbEUljE_EEESS_ST_SU_S11_S15_S17_T6_T7_T9_mT8_S19_bDpT10_ENKUlT_T0_E_clISt17integral_constantIbLb1EES1M_EEDaS1H_S1I_EUlS1H_E_NS1_11comp_targetILNS1_3genE10ELNS1_11target_archE1200ELNS1_3gpuE4ELNS1_3repE0EEENS1_30default_config_static_selectorELNS0_4arch9wavefront6targetE0EEEvSV_
    .private_segment_fixed_size: 0
    .sgpr_count:     0
    .sgpr_spill_count: 0
    .symbol:         _ZN7rocprim17ROCPRIM_400000_NS6detail17trampoline_kernelINS0_13select_configILj256ELj13ELNS0_17block_load_methodE3ELS4_3ELS4_3ELNS0_20block_scan_algorithmE0ELj4294967295EEENS1_25partition_config_selectorILNS1_17partition_subalgoE3EjNS0_10empty_typeEbEEZZNS1_14partition_implILS8_3ELb0ES6_jNS0_17counting_iteratorIjlEEPS9_SE_NS0_5tupleIJPjSE_EEENSF_IJSE_SE_EEES9_SG_JZNS1_25segmented_radix_sort_implINS0_14default_configELb1EPKlPlSM_SN_N2at6native12_GLOBAL__N_18offset_tEEE10hipError_tPvRmT1_PNSt15iterator_traitsISV_E10value_typeET2_T3_PNSW_IS11_E10value_typeET4_jRbjT5_S17_jjP12ihipStream_tbEUljE_EEESS_ST_SU_S11_S15_S17_T6_T7_T9_mT8_S19_bDpT10_ENKUlT_T0_E_clISt17integral_constantIbLb1EES1M_EEDaS1H_S1I_EUlS1H_E_NS1_11comp_targetILNS1_3genE10ELNS1_11target_archE1200ELNS1_3gpuE4ELNS1_3repE0EEENS1_30default_config_static_selectorELNS0_4arch9wavefront6targetE0EEEvSV_.kd
    .uniform_work_group_size: 1
    .uses_dynamic_stack: false
    .vgpr_count:     0
    .vgpr_spill_count: 0
    .wavefront_size: 32
    .workgroup_processor_mode: 1
  - .args:
      - .offset:         0
        .size:           152
        .value_kind:     by_value
    .group_segment_fixed_size: 13324
    .kernarg_segment_align: 8
    .kernarg_segment_size: 152
    .language:       OpenCL C
    .language_version:
      - 2
      - 0
    .max_flat_workgroup_size: 256
    .name:           _ZN7rocprim17ROCPRIM_400000_NS6detail17trampoline_kernelINS0_13select_configILj256ELj13ELNS0_17block_load_methodE3ELS4_3ELS4_3ELNS0_20block_scan_algorithmE0ELj4294967295EEENS1_25partition_config_selectorILNS1_17partition_subalgoE3EjNS0_10empty_typeEbEEZZNS1_14partition_implILS8_3ELb0ES6_jNS0_17counting_iteratorIjlEEPS9_SE_NS0_5tupleIJPjSE_EEENSF_IJSE_SE_EEES9_SG_JZNS1_25segmented_radix_sort_implINS0_14default_configELb1EPKlPlSM_SN_N2at6native12_GLOBAL__N_18offset_tEEE10hipError_tPvRmT1_PNSt15iterator_traitsISV_E10value_typeET2_T3_PNSW_IS11_E10value_typeET4_jRbjT5_S17_jjP12ihipStream_tbEUljE_EEESS_ST_SU_S11_S15_S17_T6_T7_T9_mT8_S19_bDpT10_ENKUlT_T0_E_clISt17integral_constantIbLb1EES1M_EEDaS1H_S1I_EUlS1H_E_NS1_11comp_targetILNS1_3genE9ELNS1_11target_archE1100ELNS1_3gpuE3ELNS1_3repE0EEENS1_30default_config_static_selectorELNS0_4arch9wavefront6targetE0EEEvSV_
    .private_segment_fixed_size: 0
    .sgpr_count:     28
    .sgpr_spill_count: 0
    .symbol:         _ZN7rocprim17ROCPRIM_400000_NS6detail17trampoline_kernelINS0_13select_configILj256ELj13ELNS0_17block_load_methodE3ELS4_3ELS4_3ELNS0_20block_scan_algorithmE0ELj4294967295EEENS1_25partition_config_selectorILNS1_17partition_subalgoE3EjNS0_10empty_typeEbEEZZNS1_14partition_implILS8_3ELb0ES6_jNS0_17counting_iteratorIjlEEPS9_SE_NS0_5tupleIJPjSE_EEENSF_IJSE_SE_EEES9_SG_JZNS1_25segmented_radix_sort_implINS0_14default_configELb1EPKlPlSM_SN_N2at6native12_GLOBAL__N_18offset_tEEE10hipError_tPvRmT1_PNSt15iterator_traitsISV_E10value_typeET2_T3_PNSW_IS11_E10value_typeET4_jRbjT5_S17_jjP12ihipStream_tbEUljE_EEESS_ST_SU_S11_S15_S17_T6_T7_T9_mT8_S19_bDpT10_ENKUlT_T0_E_clISt17integral_constantIbLb1EES1M_EEDaS1H_S1I_EUlS1H_E_NS1_11comp_targetILNS1_3genE9ELNS1_11target_archE1100ELNS1_3gpuE3ELNS1_3repE0EEENS1_30default_config_static_selectorELNS0_4arch9wavefront6targetE0EEEvSV_.kd
    .uniform_work_group_size: 1
    .uses_dynamic_stack: false
    .vgpr_count:     60
    .vgpr_spill_count: 0
    .wavefront_size: 32
    .workgroup_processor_mode: 1
  - .args:
      - .offset:         0
        .size:           152
        .value_kind:     by_value
    .group_segment_fixed_size: 0
    .kernarg_segment_align: 8
    .kernarg_segment_size: 152
    .language:       OpenCL C
    .language_version:
      - 2
      - 0
    .max_flat_workgroup_size: 256
    .name:           _ZN7rocprim17ROCPRIM_400000_NS6detail17trampoline_kernelINS0_13select_configILj256ELj13ELNS0_17block_load_methodE3ELS4_3ELS4_3ELNS0_20block_scan_algorithmE0ELj4294967295EEENS1_25partition_config_selectorILNS1_17partition_subalgoE3EjNS0_10empty_typeEbEEZZNS1_14partition_implILS8_3ELb0ES6_jNS0_17counting_iteratorIjlEEPS9_SE_NS0_5tupleIJPjSE_EEENSF_IJSE_SE_EEES9_SG_JZNS1_25segmented_radix_sort_implINS0_14default_configELb1EPKlPlSM_SN_N2at6native12_GLOBAL__N_18offset_tEEE10hipError_tPvRmT1_PNSt15iterator_traitsISV_E10value_typeET2_T3_PNSW_IS11_E10value_typeET4_jRbjT5_S17_jjP12ihipStream_tbEUljE_EEESS_ST_SU_S11_S15_S17_T6_T7_T9_mT8_S19_bDpT10_ENKUlT_T0_E_clISt17integral_constantIbLb1EES1M_EEDaS1H_S1I_EUlS1H_E_NS1_11comp_targetILNS1_3genE8ELNS1_11target_archE1030ELNS1_3gpuE2ELNS1_3repE0EEENS1_30default_config_static_selectorELNS0_4arch9wavefront6targetE0EEEvSV_
    .private_segment_fixed_size: 0
    .sgpr_count:     0
    .sgpr_spill_count: 0
    .symbol:         _ZN7rocprim17ROCPRIM_400000_NS6detail17trampoline_kernelINS0_13select_configILj256ELj13ELNS0_17block_load_methodE3ELS4_3ELS4_3ELNS0_20block_scan_algorithmE0ELj4294967295EEENS1_25partition_config_selectorILNS1_17partition_subalgoE3EjNS0_10empty_typeEbEEZZNS1_14partition_implILS8_3ELb0ES6_jNS0_17counting_iteratorIjlEEPS9_SE_NS0_5tupleIJPjSE_EEENSF_IJSE_SE_EEES9_SG_JZNS1_25segmented_radix_sort_implINS0_14default_configELb1EPKlPlSM_SN_N2at6native12_GLOBAL__N_18offset_tEEE10hipError_tPvRmT1_PNSt15iterator_traitsISV_E10value_typeET2_T3_PNSW_IS11_E10value_typeET4_jRbjT5_S17_jjP12ihipStream_tbEUljE_EEESS_ST_SU_S11_S15_S17_T6_T7_T9_mT8_S19_bDpT10_ENKUlT_T0_E_clISt17integral_constantIbLb1EES1M_EEDaS1H_S1I_EUlS1H_E_NS1_11comp_targetILNS1_3genE8ELNS1_11target_archE1030ELNS1_3gpuE2ELNS1_3repE0EEENS1_30default_config_static_selectorELNS0_4arch9wavefront6targetE0EEEvSV_.kd
    .uniform_work_group_size: 1
    .uses_dynamic_stack: false
    .vgpr_count:     0
    .vgpr_spill_count: 0
    .wavefront_size: 32
    .workgroup_processor_mode: 1
  - .args:
      - .offset:         0
        .size:           144
        .value_kind:     by_value
    .group_segment_fixed_size: 0
    .kernarg_segment_align: 8
    .kernarg_segment_size: 144
    .language:       OpenCL C
    .language_version:
      - 2
      - 0
    .max_flat_workgroup_size: 256
    .name:           _ZN7rocprim17ROCPRIM_400000_NS6detail17trampoline_kernelINS0_13select_configILj256ELj13ELNS0_17block_load_methodE3ELS4_3ELS4_3ELNS0_20block_scan_algorithmE0ELj4294967295EEENS1_25partition_config_selectorILNS1_17partition_subalgoE3EjNS0_10empty_typeEbEEZZNS1_14partition_implILS8_3ELb0ES6_jNS0_17counting_iteratorIjlEEPS9_SE_NS0_5tupleIJPjSE_EEENSF_IJSE_SE_EEES9_SG_JZNS1_25segmented_radix_sort_implINS0_14default_configELb1EPKlPlSM_SN_N2at6native12_GLOBAL__N_18offset_tEEE10hipError_tPvRmT1_PNSt15iterator_traitsISV_E10value_typeET2_T3_PNSW_IS11_E10value_typeET4_jRbjT5_S17_jjP12ihipStream_tbEUljE_EEESS_ST_SU_S11_S15_S17_T6_T7_T9_mT8_S19_bDpT10_ENKUlT_T0_E_clISt17integral_constantIbLb1EES1L_IbLb0EEEEDaS1H_S1I_EUlS1H_E_NS1_11comp_targetILNS1_3genE0ELNS1_11target_archE4294967295ELNS1_3gpuE0ELNS1_3repE0EEENS1_30default_config_static_selectorELNS0_4arch9wavefront6targetE0EEEvSV_
    .private_segment_fixed_size: 0
    .sgpr_count:     0
    .sgpr_spill_count: 0
    .symbol:         _ZN7rocprim17ROCPRIM_400000_NS6detail17trampoline_kernelINS0_13select_configILj256ELj13ELNS0_17block_load_methodE3ELS4_3ELS4_3ELNS0_20block_scan_algorithmE0ELj4294967295EEENS1_25partition_config_selectorILNS1_17partition_subalgoE3EjNS0_10empty_typeEbEEZZNS1_14partition_implILS8_3ELb0ES6_jNS0_17counting_iteratorIjlEEPS9_SE_NS0_5tupleIJPjSE_EEENSF_IJSE_SE_EEES9_SG_JZNS1_25segmented_radix_sort_implINS0_14default_configELb1EPKlPlSM_SN_N2at6native12_GLOBAL__N_18offset_tEEE10hipError_tPvRmT1_PNSt15iterator_traitsISV_E10value_typeET2_T3_PNSW_IS11_E10value_typeET4_jRbjT5_S17_jjP12ihipStream_tbEUljE_EEESS_ST_SU_S11_S15_S17_T6_T7_T9_mT8_S19_bDpT10_ENKUlT_T0_E_clISt17integral_constantIbLb1EES1L_IbLb0EEEEDaS1H_S1I_EUlS1H_E_NS1_11comp_targetILNS1_3genE0ELNS1_11target_archE4294967295ELNS1_3gpuE0ELNS1_3repE0EEENS1_30default_config_static_selectorELNS0_4arch9wavefront6targetE0EEEvSV_.kd
    .uniform_work_group_size: 1
    .uses_dynamic_stack: false
    .vgpr_count:     0
    .vgpr_spill_count: 0
    .wavefront_size: 32
    .workgroup_processor_mode: 1
  - .args:
      - .offset:         0
        .size:           144
        .value_kind:     by_value
    .group_segment_fixed_size: 0
    .kernarg_segment_align: 8
    .kernarg_segment_size: 144
    .language:       OpenCL C
    .language_version:
      - 2
      - 0
    .max_flat_workgroup_size: 256
    .name:           _ZN7rocprim17ROCPRIM_400000_NS6detail17trampoline_kernelINS0_13select_configILj256ELj13ELNS0_17block_load_methodE3ELS4_3ELS4_3ELNS0_20block_scan_algorithmE0ELj4294967295EEENS1_25partition_config_selectorILNS1_17partition_subalgoE3EjNS0_10empty_typeEbEEZZNS1_14partition_implILS8_3ELb0ES6_jNS0_17counting_iteratorIjlEEPS9_SE_NS0_5tupleIJPjSE_EEENSF_IJSE_SE_EEES9_SG_JZNS1_25segmented_radix_sort_implINS0_14default_configELb1EPKlPlSM_SN_N2at6native12_GLOBAL__N_18offset_tEEE10hipError_tPvRmT1_PNSt15iterator_traitsISV_E10value_typeET2_T3_PNSW_IS11_E10value_typeET4_jRbjT5_S17_jjP12ihipStream_tbEUljE_EEESS_ST_SU_S11_S15_S17_T6_T7_T9_mT8_S19_bDpT10_ENKUlT_T0_E_clISt17integral_constantIbLb1EES1L_IbLb0EEEEDaS1H_S1I_EUlS1H_E_NS1_11comp_targetILNS1_3genE5ELNS1_11target_archE942ELNS1_3gpuE9ELNS1_3repE0EEENS1_30default_config_static_selectorELNS0_4arch9wavefront6targetE0EEEvSV_
    .private_segment_fixed_size: 0
    .sgpr_count:     0
    .sgpr_spill_count: 0
    .symbol:         _ZN7rocprim17ROCPRIM_400000_NS6detail17trampoline_kernelINS0_13select_configILj256ELj13ELNS0_17block_load_methodE3ELS4_3ELS4_3ELNS0_20block_scan_algorithmE0ELj4294967295EEENS1_25partition_config_selectorILNS1_17partition_subalgoE3EjNS0_10empty_typeEbEEZZNS1_14partition_implILS8_3ELb0ES6_jNS0_17counting_iteratorIjlEEPS9_SE_NS0_5tupleIJPjSE_EEENSF_IJSE_SE_EEES9_SG_JZNS1_25segmented_radix_sort_implINS0_14default_configELb1EPKlPlSM_SN_N2at6native12_GLOBAL__N_18offset_tEEE10hipError_tPvRmT1_PNSt15iterator_traitsISV_E10value_typeET2_T3_PNSW_IS11_E10value_typeET4_jRbjT5_S17_jjP12ihipStream_tbEUljE_EEESS_ST_SU_S11_S15_S17_T6_T7_T9_mT8_S19_bDpT10_ENKUlT_T0_E_clISt17integral_constantIbLb1EES1L_IbLb0EEEEDaS1H_S1I_EUlS1H_E_NS1_11comp_targetILNS1_3genE5ELNS1_11target_archE942ELNS1_3gpuE9ELNS1_3repE0EEENS1_30default_config_static_selectorELNS0_4arch9wavefront6targetE0EEEvSV_.kd
    .uniform_work_group_size: 1
    .uses_dynamic_stack: false
    .vgpr_count:     0
    .vgpr_spill_count: 0
    .wavefront_size: 32
    .workgroup_processor_mode: 1
  - .args:
      - .offset:         0
        .size:           144
        .value_kind:     by_value
    .group_segment_fixed_size: 0
    .kernarg_segment_align: 8
    .kernarg_segment_size: 144
    .language:       OpenCL C
    .language_version:
      - 2
      - 0
    .max_flat_workgroup_size: 256
    .name:           _ZN7rocprim17ROCPRIM_400000_NS6detail17trampoline_kernelINS0_13select_configILj256ELj13ELNS0_17block_load_methodE3ELS4_3ELS4_3ELNS0_20block_scan_algorithmE0ELj4294967295EEENS1_25partition_config_selectorILNS1_17partition_subalgoE3EjNS0_10empty_typeEbEEZZNS1_14partition_implILS8_3ELb0ES6_jNS0_17counting_iteratorIjlEEPS9_SE_NS0_5tupleIJPjSE_EEENSF_IJSE_SE_EEES9_SG_JZNS1_25segmented_radix_sort_implINS0_14default_configELb1EPKlPlSM_SN_N2at6native12_GLOBAL__N_18offset_tEEE10hipError_tPvRmT1_PNSt15iterator_traitsISV_E10value_typeET2_T3_PNSW_IS11_E10value_typeET4_jRbjT5_S17_jjP12ihipStream_tbEUljE_EEESS_ST_SU_S11_S15_S17_T6_T7_T9_mT8_S19_bDpT10_ENKUlT_T0_E_clISt17integral_constantIbLb1EES1L_IbLb0EEEEDaS1H_S1I_EUlS1H_E_NS1_11comp_targetILNS1_3genE4ELNS1_11target_archE910ELNS1_3gpuE8ELNS1_3repE0EEENS1_30default_config_static_selectorELNS0_4arch9wavefront6targetE0EEEvSV_
    .private_segment_fixed_size: 0
    .sgpr_count:     0
    .sgpr_spill_count: 0
    .symbol:         _ZN7rocprim17ROCPRIM_400000_NS6detail17trampoline_kernelINS0_13select_configILj256ELj13ELNS0_17block_load_methodE3ELS4_3ELS4_3ELNS0_20block_scan_algorithmE0ELj4294967295EEENS1_25partition_config_selectorILNS1_17partition_subalgoE3EjNS0_10empty_typeEbEEZZNS1_14partition_implILS8_3ELb0ES6_jNS0_17counting_iteratorIjlEEPS9_SE_NS0_5tupleIJPjSE_EEENSF_IJSE_SE_EEES9_SG_JZNS1_25segmented_radix_sort_implINS0_14default_configELb1EPKlPlSM_SN_N2at6native12_GLOBAL__N_18offset_tEEE10hipError_tPvRmT1_PNSt15iterator_traitsISV_E10value_typeET2_T3_PNSW_IS11_E10value_typeET4_jRbjT5_S17_jjP12ihipStream_tbEUljE_EEESS_ST_SU_S11_S15_S17_T6_T7_T9_mT8_S19_bDpT10_ENKUlT_T0_E_clISt17integral_constantIbLb1EES1L_IbLb0EEEEDaS1H_S1I_EUlS1H_E_NS1_11comp_targetILNS1_3genE4ELNS1_11target_archE910ELNS1_3gpuE8ELNS1_3repE0EEENS1_30default_config_static_selectorELNS0_4arch9wavefront6targetE0EEEvSV_.kd
    .uniform_work_group_size: 1
    .uses_dynamic_stack: false
    .vgpr_count:     0
    .vgpr_spill_count: 0
    .wavefront_size: 32
    .workgroup_processor_mode: 1
  - .args:
      - .offset:         0
        .size:           144
        .value_kind:     by_value
    .group_segment_fixed_size: 0
    .kernarg_segment_align: 8
    .kernarg_segment_size: 144
    .language:       OpenCL C
    .language_version:
      - 2
      - 0
    .max_flat_workgroup_size: 256
    .name:           _ZN7rocprim17ROCPRIM_400000_NS6detail17trampoline_kernelINS0_13select_configILj256ELj13ELNS0_17block_load_methodE3ELS4_3ELS4_3ELNS0_20block_scan_algorithmE0ELj4294967295EEENS1_25partition_config_selectorILNS1_17partition_subalgoE3EjNS0_10empty_typeEbEEZZNS1_14partition_implILS8_3ELb0ES6_jNS0_17counting_iteratorIjlEEPS9_SE_NS0_5tupleIJPjSE_EEENSF_IJSE_SE_EEES9_SG_JZNS1_25segmented_radix_sort_implINS0_14default_configELb1EPKlPlSM_SN_N2at6native12_GLOBAL__N_18offset_tEEE10hipError_tPvRmT1_PNSt15iterator_traitsISV_E10value_typeET2_T3_PNSW_IS11_E10value_typeET4_jRbjT5_S17_jjP12ihipStream_tbEUljE_EEESS_ST_SU_S11_S15_S17_T6_T7_T9_mT8_S19_bDpT10_ENKUlT_T0_E_clISt17integral_constantIbLb1EES1L_IbLb0EEEEDaS1H_S1I_EUlS1H_E_NS1_11comp_targetILNS1_3genE3ELNS1_11target_archE908ELNS1_3gpuE7ELNS1_3repE0EEENS1_30default_config_static_selectorELNS0_4arch9wavefront6targetE0EEEvSV_
    .private_segment_fixed_size: 0
    .sgpr_count:     0
    .sgpr_spill_count: 0
    .symbol:         _ZN7rocprim17ROCPRIM_400000_NS6detail17trampoline_kernelINS0_13select_configILj256ELj13ELNS0_17block_load_methodE3ELS4_3ELS4_3ELNS0_20block_scan_algorithmE0ELj4294967295EEENS1_25partition_config_selectorILNS1_17partition_subalgoE3EjNS0_10empty_typeEbEEZZNS1_14partition_implILS8_3ELb0ES6_jNS0_17counting_iteratorIjlEEPS9_SE_NS0_5tupleIJPjSE_EEENSF_IJSE_SE_EEES9_SG_JZNS1_25segmented_radix_sort_implINS0_14default_configELb1EPKlPlSM_SN_N2at6native12_GLOBAL__N_18offset_tEEE10hipError_tPvRmT1_PNSt15iterator_traitsISV_E10value_typeET2_T3_PNSW_IS11_E10value_typeET4_jRbjT5_S17_jjP12ihipStream_tbEUljE_EEESS_ST_SU_S11_S15_S17_T6_T7_T9_mT8_S19_bDpT10_ENKUlT_T0_E_clISt17integral_constantIbLb1EES1L_IbLb0EEEEDaS1H_S1I_EUlS1H_E_NS1_11comp_targetILNS1_3genE3ELNS1_11target_archE908ELNS1_3gpuE7ELNS1_3repE0EEENS1_30default_config_static_selectorELNS0_4arch9wavefront6targetE0EEEvSV_.kd
    .uniform_work_group_size: 1
    .uses_dynamic_stack: false
    .vgpr_count:     0
    .vgpr_spill_count: 0
    .wavefront_size: 32
    .workgroup_processor_mode: 1
  - .args:
      - .offset:         0
        .size:           144
        .value_kind:     by_value
    .group_segment_fixed_size: 0
    .kernarg_segment_align: 8
    .kernarg_segment_size: 144
    .language:       OpenCL C
    .language_version:
      - 2
      - 0
    .max_flat_workgroup_size: 256
    .name:           _ZN7rocprim17ROCPRIM_400000_NS6detail17trampoline_kernelINS0_13select_configILj256ELj13ELNS0_17block_load_methodE3ELS4_3ELS4_3ELNS0_20block_scan_algorithmE0ELj4294967295EEENS1_25partition_config_selectorILNS1_17partition_subalgoE3EjNS0_10empty_typeEbEEZZNS1_14partition_implILS8_3ELb0ES6_jNS0_17counting_iteratorIjlEEPS9_SE_NS0_5tupleIJPjSE_EEENSF_IJSE_SE_EEES9_SG_JZNS1_25segmented_radix_sort_implINS0_14default_configELb1EPKlPlSM_SN_N2at6native12_GLOBAL__N_18offset_tEEE10hipError_tPvRmT1_PNSt15iterator_traitsISV_E10value_typeET2_T3_PNSW_IS11_E10value_typeET4_jRbjT5_S17_jjP12ihipStream_tbEUljE_EEESS_ST_SU_S11_S15_S17_T6_T7_T9_mT8_S19_bDpT10_ENKUlT_T0_E_clISt17integral_constantIbLb1EES1L_IbLb0EEEEDaS1H_S1I_EUlS1H_E_NS1_11comp_targetILNS1_3genE2ELNS1_11target_archE906ELNS1_3gpuE6ELNS1_3repE0EEENS1_30default_config_static_selectorELNS0_4arch9wavefront6targetE0EEEvSV_
    .private_segment_fixed_size: 0
    .sgpr_count:     0
    .sgpr_spill_count: 0
    .symbol:         _ZN7rocprim17ROCPRIM_400000_NS6detail17trampoline_kernelINS0_13select_configILj256ELj13ELNS0_17block_load_methodE3ELS4_3ELS4_3ELNS0_20block_scan_algorithmE0ELj4294967295EEENS1_25partition_config_selectorILNS1_17partition_subalgoE3EjNS0_10empty_typeEbEEZZNS1_14partition_implILS8_3ELb0ES6_jNS0_17counting_iteratorIjlEEPS9_SE_NS0_5tupleIJPjSE_EEENSF_IJSE_SE_EEES9_SG_JZNS1_25segmented_radix_sort_implINS0_14default_configELb1EPKlPlSM_SN_N2at6native12_GLOBAL__N_18offset_tEEE10hipError_tPvRmT1_PNSt15iterator_traitsISV_E10value_typeET2_T3_PNSW_IS11_E10value_typeET4_jRbjT5_S17_jjP12ihipStream_tbEUljE_EEESS_ST_SU_S11_S15_S17_T6_T7_T9_mT8_S19_bDpT10_ENKUlT_T0_E_clISt17integral_constantIbLb1EES1L_IbLb0EEEEDaS1H_S1I_EUlS1H_E_NS1_11comp_targetILNS1_3genE2ELNS1_11target_archE906ELNS1_3gpuE6ELNS1_3repE0EEENS1_30default_config_static_selectorELNS0_4arch9wavefront6targetE0EEEvSV_.kd
    .uniform_work_group_size: 1
    .uses_dynamic_stack: false
    .vgpr_count:     0
    .vgpr_spill_count: 0
    .wavefront_size: 32
    .workgroup_processor_mode: 1
  - .args:
      - .offset:         0
        .size:           144
        .value_kind:     by_value
    .group_segment_fixed_size: 0
    .kernarg_segment_align: 8
    .kernarg_segment_size: 144
    .language:       OpenCL C
    .language_version:
      - 2
      - 0
    .max_flat_workgroup_size: 256
    .name:           _ZN7rocprim17ROCPRIM_400000_NS6detail17trampoline_kernelINS0_13select_configILj256ELj13ELNS0_17block_load_methodE3ELS4_3ELS4_3ELNS0_20block_scan_algorithmE0ELj4294967295EEENS1_25partition_config_selectorILNS1_17partition_subalgoE3EjNS0_10empty_typeEbEEZZNS1_14partition_implILS8_3ELb0ES6_jNS0_17counting_iteratorIjlEEPS9_SE_NS0_5tupleIJPjSE_EEENSF_IJSE_SE_EEES9_SG_JZNS1_25segmented_radix_sort_implINS0_14default_configELb1EPKlPlSM_SN_N2at6native12_GLOBAL__N_18offset_tEEE10hipError_tPvRmT1_PNSt15iterator_traitsISV_E10value_typeET2_T3_PNSW_IS11_E10value_typeET4_jRbjT5_S17_jjP12ihipStream_tbEUljE_EEESS_ST_SU_S11_S15_S17_T6_T7_T9_mT8_S19_bDpT10_ENKUlT_T0_E_clISt17integral_constantIbLb1EES1L_IbLb0EEEEDaS1H_S1I_EUlS1H_E_NS1_11comp_targetILNS1_3genE10ELNS1_11target_archE1200ELNS1_3gpuE4ELNS1_3repE0EEENS1_30default_config_static_selectorELNS0_4arch9wavefront6targetE0EEEvSV_
    .private_segment_fixed_size: 0
    .sgpr_count:     0
    .sgpr_spill_count: 0
    .symbol:         _ZN7rocprim17ROCPRIM_400000_NS6detail17trampoline_kernelINS0_13select_configILj256ELj13ELNS0_17block_load_methodE3ELS4_3ELS4_3ELNS0_20block_scan_algorithmE0ELj4294967295EEENS1_25partition_config_selectorILNS1_17partition_subalgoE3EjNS0_10empty_typeEbEEZZNS1_14partition_implILS8_3ELb0ES6_jNS0_17counting_iteratorIjlEEPS9_SE_NS0_5tupleIJPjSE_EEENSF_IJSE_SE_EEES9_SG_JZNS1_25segmented_radix_sort_implINS0_14default_configELb1EPKlPlSM_SN_N2at6native12_GLOBAL__N_18offset_tEEE10hipError_tPvRmT1_PNSt15iterator_traitsISV_E10value_typeET2_T3_PNSW_IS11_E10value_typeET4_jRbjT5_S17_jjP12ihipStream_tbEUljE_EEESS_ST_SU_S11_S15_S17_T6_T7_T9_mT8_S19_bDpT10_ENKUlT_T0_E_clISt17integral_constantIbLb1EES1L_IbLb0EEEEDaS1H_S1I_EUlS1H_E_NS1_11comp_targetILNS1_3genE10ELNS1_11target_archE1200ELNS1_3gpuE4ELNS1_3repE0EEENS1_30default_config_static_selectorELNS0_4arch9wavefront6targetE0EEEvSV_.kd
    .uniform_work_group_size: 1
    .uses_dynamic_stack: false
    .vgpr_count:     0
    .vgpr_spill_count: 0
    .wavefront_size: 32
    .workgroup_processor_mode: 1
  - .args:
      - .offset:         0
        .size:           144
        .value_kind:     by_value
    .group_segment_fixed_size: 13324
    .kernarg_segment_align: 8
    .kernarg_segment_size: 144
    .language:       OpenCL C
    .language_version:
      - 2
      - 0
    .max_flat_workgroup_size: 256
    .name:           _ZN7rocprim17ROCPRIM_400000_NS6detail17trampoline_kernelINS0_13select_configILj256ELj13ELNS0_17block_load_methodE3ELS4_3ELS4_3ELNS0_20block_scan_algorithmE0ELj4294967295EEENS1_25partition_config_selectorILNS1_17partition_subalgoE3EjNS0_10empty_typeEbEEZZNS1_14partition_implILS8_3ELb0ES6_jNS0_17counting_iteratorIjlEEPS9_SE_NS0_5tupleIJPjSE_EEENSF_IJSE_SE_EEES9_SG_JZNS1_25segmented_radix_sort_implINS0_14default_configELb1EPKlPlSM_SN_N2at6native12_GLOBAL__N_18offset_tEEE10hipError_tPvRmT1_PNSt15iterator_traitsISV_E10value_typeET2_T3_PNSW_IS11_E10value_typeET4_jRbjT5_S17_jjP12ihipStream_tbEUljE_EEESS_ST_SU_S11_S15_S17_T6_T7_T9_mT8_S19_bDpT10_ENKUlT_T0_E_clISt17integral_constantIbLb1EES1L_IbLb0EEEEDaS1H_S1I_EUlS1H_E_NS1_11comp_targetILNS1_3genE9ELNS1_11target_archE1100ELNS1_3gpuE3ELNS1_3repE0EEENS1_30default_config_static_selectorELNS0_4arch9wavefront6targetE0EEEvSV_
    .private_segment_fixed_size: 0
    .sgpr_count:     30
    .sgpr_spill_count: 0
    .symbol:         _ZN7rocprim17ROCPRIM_400000_NS6detail17trampoline_kernelINS0_13select_configILj256ELj13ELNS0_17block_load_methodE3ELS4_3ELS4_3ELNS0_20block_scan_algorithmE0ELj4294967295EEENS1_25partition_config_selectorILNS1_17partition_subalgoE3EjNS0_10empty_typeEbEEZZNS1_14partition_implILS8_3ELb0ES6_jNS0_17counting_iteratorIjlEEPS9_SE_NS0_5tupleIJPjSE_EEENSF_IJSE_SE_EEES9_SG_JZNS1_25segmented_radix_sort_implINS0_14default_configELb1EPKlPlSM_SN_N2at6native12_GLOBAL__N_18offset_tEEE10hipError_tPvRmT1_PNSt15iterator_traitsISV_E10value_typeET2_T3_PNSW_IS11_E10value_typeET4_jRbjT5_S17_jjP12ihipStream_tbEUljE_EEESS_ST_SU_S11_S15_S17_T6_T7_T9_mT8_S19_bDpT10_ENKUlT_T0_E_clISt17integral_constantIbLb1EES1L_IbLb0EEEEDaS1H_S1I_EUlS1H_E_NS1_11comp_targetILNS1_3genE9ELNS1_11target_archE1100ELNS1_3gpuE3ELNS1_3repE0EEENS1_30default_config_static_selectorELNS0_4arch9wavefront6targetE0EEEvSV_.kd
    .uniform_work_group_size: 1
    .uses_dynamic_stack: false
    .vgpr_count:     57
    .vgpr_spill_count: 0
    .wavefront_size: 32
    .workgroup_processor_mode: 1
  - .args:
      - .offset:         0
        .size:           144
        .value_kind:     by_value
    .group_segment_fixed_size: 0
    .kernarg_segment_align: 8
    .kernarg_segment_size: 144
    .language:       OpenCL C
    .language_version:
      - 2
      - 0
    .max_flat_workgroup_size: 256
    .name:           _ZN7rocprim17ROCPRIM_400000_NS6detail17trampoline_kernelINS0_13select_configILj256ELj13ELNS0_17block_load_methodE3ELS4_3ELS4_3ELNS0_20block_scan_algorithmE0ELj4294967295EEENS1_25partition_config_selectorILNS1_17partition_subalgoE3EjNS0_10empty_typeEbEEZZNS1_14partition_implILS8_3ELb0ES6_jNS0_17counting_iteratorIjlEEPS9_SE_NS0_5tupleIJPjSE_EEENSF_IJSE_SE_EEES9_SG_JZNS1_25segmented_radix_sort_implINS0_14default_configELb1EPKlPlSM_SN_N2at6native12_GLOBAL__N_18offset_tEEE10hipError_tPvRmT1_PNSt15iterator_traitsISV_E10value_typeET2_T3_PNSW_IS11_E10value_typeET4_jRbjT5_S17_jjP12ihipStream_tbEUljE_EEESS_ST_SU_S11_S15_S17_T6_T7_T9_mT8_S19_bDpT10_ENKUlT_T0_E_clISt17integral_constantIbLb1EES1L_IbLb0EEEEDaS1H_S1I_EUlS1H_E_NS1_11comp_targetILNS1_3genE8ELNS1_11target_archE1030ELNS1_3gpuE2ELNS1_3repE0EEENS1_30default_config_static_selectorELNS0_4arch9wavefront6targetE0EEEvSV_
    .private_segment_fixed_size: 0
    .sgpr_count:     0
    .sgpr_spill_count: 0
    .symbol:         _ZN7rocprim17ROCPRIM_400000_NS6detail17trampoline_kernelINS0_13select_configILj256ELj13ELNS0_17block_load_methodE3ELS4_3ELS4_3ELNS0_20block_scan_algorithmE0ELj4294967295EEENS1_25partition_config_selectorILNS1_17partition_subalgoE3EjNS0_10empty_typeEbEEZZNS1_14partition_implILS8_3ELb0ES6_jNS0_17counting_iteratorIjlEEPS9_SE_NS0_5tupleIJPjSE_EEENSF_IJSE_SE_EEES9_SG_JZNS1_25segmented_radix_sort_implINS0_14default_configELb1EPKlPlSM_SN_N2at6native12_GLOBAL__N_18offset_tEEE10hipError_tPvRmT1_PNSt15iterator_traitsISV_E10value_typeET2_T3_PNSW_IS11_E10value_typeET4_jRbjT5_S17_jjP12ihipStream_tbEUljE_EEESS_ST_SU_S11_S15_S17_T6_T7_T9_mT8_S19_bDpT10_ENKUlT_T0_E_clISt17integral_constantIbLb1EES1L_IbLb0EEEEDaS1H_S1I_EUlS1H_E_NS1_11comp_targetILNS1_3genE8ELNS1_11target_archE1030ELNS1_3gpuE2ELNS1_3repE0EEENS1_30default_config_static_selectorELNS0_4arch9wavefront6targetE0EEEvSV_.kd
    .uniform_work_group_size: 1
    .uses_dynamic_stack: false
    .vgpr_count:     0
    .vgpr_spill_count: 0
    .wavefront_size: 32
    .workgroup_processor_mode: 1
  - .args:
      - .offset:         0
        .size:           152
        .value_kind:     by_value
    .group_segment_fixed_size: 0
    .kernarg_segment_align: 8
    .kernarg_segment_size: 152
    .language:       OpenCL C
    .language_version:
      - 2
      - 0
    .max_flat_workgroup_size: 256
    .name:           _ZN7rocprim17ROCPRIM_400000_NS6detail17trampoline_kernelINS0_13select_configILj256ELj13ELNS0_17block_load_methodE3ELS4_3ELS4_3ELNS0_20block_scan_algorithmE0ELj4294967295EEENS1_25partition_config_selectorILNS1_17partition_subalgoE3EjNS0_10empty_typeEbEEZZNS1_14partition_implILS8_3ELb0ES6_jNS0_17counting_iteratorIjlEEPS9_SE_NS0_5tupleIJPjSE_EEENSF_IJSE_SE_EEES9_SG_JZNS1_25segmented_radix_sort_implINS0_14default_configELb1EPKlPlSM_SN_N2at6native12_GLOBAL__N_18offset_tEEE10hipError_tPvRmT1_PNSt15iterator_traitsISV_E10value_typeET2_T3_PNSW_IS11_E10value_typeET4_jRbjT5_S17_jjP12ihipStream_tbEUljE_EEESS_ST_SU_S11_S15_S17_T6_T7_T9_mT8_S19_bDpT10_ENKUlT_T0_E_clISt17integral_constantIbLb0EES1L_IbLb1EEEEDaS1H_S1I_EUlS1H_E_NS1_11comp_targetILNS1_3genE0ELNS1_11target_archE4294967295ELNS1_3gpuE0ELNS1_3repE0EEENS1_30default_config_static_selectorELNS0_4arch9wavefront6targetE0EEEvSV_
    .private_segment_fixed_size: 0
    .sgpr_count:     0
    .sgpr_spill_count: 0
    .symbol:         _ZN7rocprim17ROCPRIM_400000_NS6detail17trampoline_kernelINS0_13select_configILj256ELj13ELNS0_17block_load_methodE3ELS4_3ELS4_3ELNS0_20block_scan_algorithmE0ELj4294967295EEENS1_25partition_config_selectorILNS1_17partition_subalgoE3EjNS0_10empty_typeEbEEZZNS1_14partition_implILS8_3ELb0ES6_jNS0_17counting_iteratorIjlEEPS9_SE_NS0_5tupleIJPjSE_EEENSF_IJSE_SE_EEES9_SG_JZNS1_25segmented_radix_sort_implINS0_14default_configELb1EPKlPlSM_SN_N2at6native12_GLOBAL__N_18offset_tEEE10hipError_tPvRmT1_PNSt15iterator_traitsISV_E10value_typeET2_T3_PNSW_IS11_E10value_typeET4_jRbjT5_S17_jjP12ihipStream_tbEUljE_EEESS_ST_SU_S11_S15_S17_T6_T7_T9_mT8_S19_bDpT10_ENKUlT_T0_E_clISt17integral_constantIbLb0EES1L_IbLb1EEEEDaS1H_S1I_EUlS1H_E_NS1_11comp_targetILNS1_3genE0ELNS1_11target_archE4294967295ELNS1_3gpuE0ELNS1_3repE0EEENS1_30default_config_static_selectorELNS0_4arch9wavefront6targetE0EEEvSV_.kd
    .uniform_work_group_size: 1
    .uses_dynamic_stack: false
    .vgpr_count:     0
    .vgpr_spill_count: 0
    .wavefront_size: 32
    .workgroup_processor_mode: 1
  - .args:
      - .offset:         0
        .size:           152
        .value_kind:     by_value
    .group_segment_fixed_size: 0
    .kernarg_segment_align: 8
    .kernarg_segment_size: 152
    .language:       OpenCL C
    .language_version:
      - 2
      - 0
    .max_flat_workgroup_size: 256
    .name:           _ZN7rocprim17ROCPRIM_400000_NS6detail17trampoline_kernelINS0_13select_configILj256ELj13ELNS0_17block_load_methodE3ELS4_3ELS4_3ELNS0_20block_scan_algorithmE0ELj4294967295EEENS1_25partition_config_selectorILNS1_17partition_subalgoE3EjNS0_10empty_typeEbEEZZNS1_14partition_implILS8_3ELb0ES6_jNS0_17counting_iteratorIjlEEPS9_SE_NS0_5tupleIJPjSE_EEENSF_IJSE_SE_EEES9_SG_JZNS1_25segmented_radix_sort_implINS0_14default_configELb1EPKlPlSM_SN_N2at6native12_GLOBAL__N_18offset_tEEE10hipError_tPvRmT1_PNSt15iterator_traitsISV_E10value_typeET2_T3_PNSW_IS11_E10value_typeET4_jRbjT5_S17_jjP12ihipStream_tbEUljE_EEESS_ST_SU_S11_S15_S17_T6_T7_T9_mT8_S19_bDpT10_ENKUlT_T0_E_clISt17integral_constantIbLb0EES1L_IbLb1EEEEDaS1H_S1I_EUlS1H_E_NS1_11comp_targetILNS1_3genE5ELNS1_11target_archE942ELNS1_3gpuE9ELNS1_3repE0EEENS1_30default_config_static_selectorELNS0_4arch9wavefront6targetE0EEEvSV_
    .private_segment_fixed_size: 0
    .sgpr_count:     0
    .sgpr_spill_count: 0
    .symbol:         _ZN7rocprim17ROCPRIM_400000_NS6detail17trampoline_kernelINS0_13select_configILj256ELj13ELNS0_17block_load_methodE3ELS4_3ELS4_3ELNS0_20block_scan_algorithmE0ELj4294967295EEENS1_25partition_config_selectorILNS1_17partition_subalgoE3EjNS0_10empty_typeEbEEZZNS1_14partition_implILS8_3ELb0ES6_jNS0_17counting_iteratorIjlEEPS9_SE_NS0_5tupleIJPjSE_EEENSF_IJSE_SE_EEES9_SG_JZNS1_25segmented_radix_sort_implINS0_14default_configELb1EPKlPlSM_SN_N2at6native12_GLOBAL__N_18offset_tEEE10hipError_tPvRmT1_PNSt15iterator_traitsISV_E10value_typeET2_T3_PNSW_IS11_E10value_typeET4_jRbjT5_S17_jjP12ihipStream_tbEUljE_EEESS_ST_SU_S11_S15_S17_T6_T7_T9_mT8_S19_bDpT10_ENKUlT_T0_E_clISt17integral_constantIbLb0EES1L_IbLb1EEEEDaS1H_S1I_EUlS1H_E_NS1_11comp_targetILNS1_3genE5ELNS1_11target_archE942ELNS1_3gpuE9ELNS1_3repE0EEENS1_30default_config_static_selectorELNS0_4arch9wavefront6targetE0EEEvSV_.kd
    .uniform_work_group_size: 1
    .uses_dynamic_stack: false
    .vgpr_count:     0
    .vgpr_spill_count: 0
    .wavefront_size: 32
    .workgroup_processor_mode: 1
  - .args:
      - .offset:         0
        .size:           152
        .value_kind:     by_value
    .group_segment_fixed_size: 0
    .kernarg_segment_align: 8
    .kernarg_segment_size: 152
    .language:       OpenCL C
    .language_version:
      - 2
      - 0
    .max_flat_workgroup_size: 256
    .name:           _ZN7rocprim17ROCPRIM_400000_NS6detail17trampoline_kernelINS0_13select_configILj256ELj13ELNS0_17block_load_methodE3ELS4_3ELS4_3ELNS0_20block_scan_algorithmE0ELj4294967295EEENS1_25partition_config_selectorILNS1_17partition_subalgoE3EjNS0_10empty_typeEbEEZZNS1_14partition_implILS8_3ELb0ES6_jNS0_17counting_iteratorIjlEEPS9_SE_NS0_5tupleIJPjSE_EEENSF_IJSE_SE_EEES9_SG_JZNS1_25segmented_radix_sort_implINS0_14default_configELb1EPKlPlSM_SN_N2at6native12_GLOBAL__N_18offset_tEEE10hipError_tPvRmT1_PNSt15iterator_traitsISV_E10value_typeET2_T3_PNSW_IS11_E10value_typeET4_jRbjT5_S17_jjP12ihipStream_tbEUljE_EEESS_ST_SU_S11_S15_S17_T6_T7_T9_mT8_S19_bDpT10_ENKUlT_T0_E_clISt17integral_constantIbLb0EES1L_IbLb1EEEEDaS1H_S1I_EUlS1H_E_NS1_11comp_targetILNS1_3genE4ELNS1_11target_archE910ELNS1_3gpuE8ELNS1_3repE0EEENS1_30default_config_static_selectorELNS0_4arch9wavefront6targetE0EEEvSV_
    .private_segment_fixed_size: 0
    .sgpr_count:     0
    .sgpr_spill_count: 0
    .symbol:         _ZN7rocprim17ROCPRIM_400000_NS6detail17trampoline_kernelINS0_13select_configILj256ELj13ELNS0_17block_load_methodE3ELS4_3ELS4_3ELNS0_20block_scan_algorithmE0ELj4294967295EEENS1_25partition_config_selectorILNS1_17partition_subalgoE3EjNS0_10empty_typeEbEEZZNS1_14partition_implILS8_3ELb0ES6_jNS0_17counting_iteratorIjlEEPS9_SE_NS0_5tupleIJPjSE_EEENSF_IJSE_SE_EEES9_SG_JZNS1_25segmented_radix_sort_implINS0_14default_configELb1EPKlPlSM_SN_N2at6native12_GLOBAL__N_18offset_tEEE10hipError_tPvRmT1_PNSt15iterator_traitsISV_E10value_typeET2_T3_PNSW_IS11_E10value_typeET4_jRbjT5_S17_jjP12ihipStream_tbEUljE_EEESS_ST_SU_S11_S15_S17_T6_T7_T9_mT8_S19_bDpT10_ENKUlT_T0_E_clISt17integral_constantIbLb0EES1L_IbLb1EEEEDaS1H_S1I_EUlS1H_E_NS1_11comp_targetILNS1_3genE4ELNS1_11target_archE910ELNS1_3gpuE8ELNS1_3repE0EEENS1_30default_config_static_selectorELNS0_4arch9wavefront6targetE0EEEvSV_.kd
    .uniform_work_group_size: 1
    .uses_dynamic_stack: false
    .vgpr_count:     0
    .vgpr_spill_count: 0
    .wavefront_size: 32
    .workgroup_processor_mode: 1
  - .args:
      - .offset:         0
        .size:           152
        .value_kind:     by_value
    .group_segment_fixed_size: 0
    .kernarg_segment_align: 8
    .kernarg_segment_size: 152
    .language:       OpenCL C
    .language_version:
      - 2
      - 0
    .max_flat_workgroup_size: 256
    .name:           _ZN7rocprim17ROCPRIM_400000_NS6detail17trampoline_kernelINS0_13select_configILj256ELj13ELNS0_17block_load_methodE3ELS4_3ELS4_3ELNS0_20block_scan_algorithmE0ELj4294967295EEENS1_25partition_config_selectorILNS1_17partition_subalgoE3EjNS0_10empty_typeEbEEZZNS1_14partition_implILS8_3ELb0ES6_jNS0_17counting_iteratorIjlEEPS9_SE_NS0_5tupleIJPjSE_EEENSF_IJSE_SE_EEES9_SG_JZNS1_25segmented_radix_sort_implINS0_14default_configELb1EPKlPlSM_SN_N2at6native12_GLOBAL__N_18offset_tEEE10hipError_tPvRmT1_PNSt15iterator_traitsISV_E10value_typeET2_T3_PNSW_IS11_E10value_typeET4_jRbjT5_S17_jjP12ihipStream_tbEUljE_EEESS_ST_SU_S11_S15_S17_T6_T7_T9_mT8_S19_bDpT10_ENKUlT_T0_E_clISt17integral_constantIbLb0EES1L_IbLb1EEEEDaS1H_S1I_EUlS1H_E_NS1_11comp_targetILNS1_3genE3ELNS1_11target_archE908ELNS1_3gpuE7ELNS1_3repE0EEENS1_30default_config_static_selectorELNS0_4arch9wavefront6targetE0EEEvSV_
    .private_segment_fixed_size: 0
    .sgpr_count:     0
    .sgpr_spill_count: 0
    .symbol:         _ZN7rocprim17ROCPRIM_400000_NS6detail17trampoline_kernelINS0_13select_configILj256ELj13ELNS0_17block_load_methodE3ELS4_3ELS4_3ELNS0_20block_scan_algorithmE0ELj4294967295EEENS1_25partition_config_selectorILNS1_17partition_subalgoE3EjNS0_10empty_typeEbEEZZNS1_14partition_implILS8_3ELb0ES6_jNS0_17counting_iteratorIjlEEPS9_SE_NS0_5tupleIJPjSE_EEENSF_IJSE_SE_EEES9_SG_JZNS1_25segmented_radix_sort_implINS0_14default_configELb1EPKlPlSM_SN_N2at6native12_GLOBAL__N_18offset_tEEE10hipError_tPvRmT1_PNSt15iterator_traitsISV_E10value_typeET2_T3_PNSW_IS11_E10value_typeET4_jRbjT5_S17_jjP12ihipStream_tbEUljE_EEESS_ST_SU_S11_S15_S17_T6_T7_T9_mT8_S19_bDpT10_ENKUlT_T0_E_clISt17integral_constantIbLb0EES1L_IbLb1EEEEDaS1H_S1I_EUlS1H_E_NS1_11comp_targetILNS1_3genE3ELNS1_11target_archE908ELNS1_3gpuE7ELNS1_3repE0EEENS1_30default_config_static_selectorELNS0_4arch9wavefront6targetE0EEEvSV_.kd
    .uniform_work_group_size: 1
    .uses_dynamic_stack: false
    .vgpr_count:     0
    .vgpr_spill_count: 0
    .wavefront_size: 32
    .workgroup_processor_mode: 1
  - .args:
      - .offset:         0
        .size:           152
        .value_kind:     by_value
    .group_segment_fixed_size: 0
    .kernarg_segment_align: 8
    .kernarg_segment_size: 152
    .language:       OpenCL C
    .language_version:
      - 2
      - 0
    .max_flat_workgroup_size: 256
    .name:           _ZN7rocprim17ROCPRIM_400000_NS6detail17trampoline_kernelINS0_13select_configILj256ELj13ELNS0_17block_load_methodE3ELS4_3ELS4_3ELNS0_20block_scan_algorithmE0ELj4294967295EEENS1_25partition_config_selectorILNS1_17partition_subalgoE3EjNS0_10empty_typeEbEEZZNS1_14partition_implILS8_3ELb0ES6_jNS0_17counting_iteratorIjlEEPS9_SE_NS0_5tupleIJPjSE_EEENSF_IJSE_SE_EEES9_SG_JZNS1_25segmented_radix_sort_implINS0_14default_configELb1EPKlPlSM_SN_N2at6native12_GLOBAL__N_18offset_tEEE10hipError_tPvRmT1_PNSt15iterator_traitsISV_E10value_typeET2_T3_PNSW_IS11_E10value_typeET4_jRbjT5_S17_jjP12ihipStream_tbEUljE_EEESS_ST_SU_S11_S15_S17_T6_T7_T9_mT8_S19_bDpT10_ENKUlT_T0_E_clISt17integral_constantIbLb0EES1L_IbLb1EEEEDaS1H_S1I_EUlS1H_E_NS1_11comp_targetILNS1_3genE2ELNS1_11target_archE906ELNS1_3gpuE6ELNS1_3repE0EEENS1_30default_config_static_selectorELNS0_4arch9wavefront6targetE0EEEvSV_
    .private_segment_fixed_size: 0
    .sgpr_count:     0
    .sgpr_spill_count: 0
    .symbol:         _ZN7rocprim17ROCPRIM_400000_NS6detail17trampoline_kernelINS0_13select_configILj256ELj13ELNS0_17block_load_methodE3ELS4_3ELS4_3ELNS0_20block_scan_algorithmE0ELj4294967295EEENS1_25partition_config_selectorILNS1_17partition_subalgoE3EjNS0_10empty_typeEbEEZZNS1_14partition_implILS8_3ELb0ES6_jNS0_17counting_iteratorIjlEEPS9_SE_NS0_5tupleIJPjSE_EEENSF_IJSE_SE_EEES9_SG_JZNS1_25segmented_radix_sort_implINS0_14default_configELb1EPKlPlSM_SN_N2at6native12_GLOBAL__N_18offset_tEEE10hipError_tPvRmT1_PNSt15iterator_traitsISV_E10value_typeET2_T3_PNSW_IS11_E10value_typeET4_jRbjT5_S17_jjP12ihipStream_tbEUljE_EEESS_ST_SU_S11_S15_S17_T6_T7_T9_mT8_S19_bDpT10_ENKUlT_T0_E_clISt17integral_constantIbLb0EES1L_IbLb1EEEEDaS1H_S1I_EUlS1H_E_NS1_11comp_targetILNS1_3genE2ELNS1_11target_archE906ELNS1_3gpuE6ELNS1_3repE0EEENS1_30default_config_static_selectorELNS0_4arch9wavefront6targetE0EEEvSV_.kd
    .uniform_work_group_size: 1
    .uses_dynamic_stack: false
    .vgpr_count:     0
    .vgpr_spill_count: 0
    .wavefront_size: 32
    .workgroup_processor_mode: 1
  - .args:
      - .offset:         0
        .size:           152
        .value_kind:     by_value
    .group_segment_fixed_size: 0
    .kernarg_segment_align: 8
    .kernarg_segment_size: 152
    .language:       OpenCL C
    .language_version:
      - 2
      - 0
    .max_flat_workgroup_size: 256
    .name:           _ZN7rocprim17ROCPRIM_400000_NS6detail17trampoline_kernelINS0_13select_configILj256ELj13ELNS0_17block_load_methodE3ELS4_3ELS4_3ELNS0_20block_scan_algorithmE0ELj4294967295EEENS1_25partition_config_selectorILNS1_17partition_subalgoE3EjNS0_10empty_typeEbEEZZNS1_14partition_implILS8_3ELb0ES6_jNS0_17counting_iteratorIjlEEPS9_SE_NS0_5tupleIJPjSE_EEENSF_IJSE_SE_EEES9_SG_JZNS1_25segmented_radix_sort_implINS0_14default_configELb1EPKlPlSM_SN_N2at6native12_GLOBAL__N_18offset_tEEE10hipError_tPvRmT1_PNSt15iterator_traitsISV_E10value_typeET2_T3_PNSW_IS11_E10value_typeET4_jRbjT5_S17_jjP12ihipStream_tbEUljE_EEESS_ST_SU_S11_S15_S17_T6_T7_T9_mT8_S19_bDpT10_ENKUlT_T0_E_clISt17integral_constantIbLb0EES1L_IbLb1EEEEDaS1H_S1I_EUlS1H_E_NS1_11comp_targetILNS1_3genE10ELNS1_11target_archE1200ELNS1_3gpuE4ELNS1_3repE0EEENS1_30default_config_static_selectorELNS0_4arch9wavefront6targetE0EEEvSV_
    .private_segment_fixed_size: 0
    .sgpr_count:     0
    .sgpr_spill_count: 0
    .symbol:         _ZN7rocprim17ROCPRIM_400000_NS6detail17trampoline_kernelINS0_13select_configILj256ELj13ELNS0_17block_load_methodE3ELS4_3ELS4_3ELNS0_20block_scan_algorithmE0ELj4294967295EEENS1_25partition_config_selectorILNS1_17partition_subalgoE3EjNS0_10empty_typeEbEEZZNS1_14partition_implILS8_3ELb0ES6_jNS0_17counting_iteratorIjlEEPS9_SE_NS0_5tupleIJPjSE_EEENSF_IJSE_SE_EEES9_SG_JZNS1_25segmented_radix_sort_implINS0_14default_configELb1EPKlPlSM_SN_N2at6native12_GLOBAL__N_18offset_tEEE10hipError_tPvRmT1_PNSt15iterator_traitsISV_E10value_typeET2_T3_PNSW_IS11_E10value_typeET4_jRbjT5_S17_jjP12ihipStream_tbEUljE_EEESS_ST_SU_S11_S15_S17_T6_T7_T9_mT8_S19_bDpT10_ENKUlT_T0_E_clISt17integral_constantIbLb0EES1L_IbLb1EEEEDaS1H_S1I_EUlS1H_E_NS1_11comp_targetILNS1_3genE10ELNS1_11target_archE1200ELNS1_3gpuE4ELNS1_3repE0EEENS1_30default_config_static_selectorELNS0_4arch9wavefront6targetE0EEEvSV_.kd
    .uniform_work_group_size: 1
    .uses_dynamic_stack: false
    .vgpr_count:     0
    .vgpr_spill_count: 0
    .wavefront_size: 32
    .workgroup_processor_mode: 1
  - .args:
      - .offset:         0
        .size:           152
        .value_kind:     by_value
    .group_segment_fixed_size: 13324
    .kernarg_segment_align: 8
    .kernarg_segment_size: 152
    .language:       OpenCL C
    .language_version:
      - 2
      - 0
    .max_flat_workgroup_size: 256
    .name:           _ZN7rocprim17ROCPRIM_400000_NS6detail17trampoline_kernelINS0_13select_configILj256ELj13ELNS0_17block_load_methodE3ELS4_3ELS4_3ELNS0_20block_scan_algorithmE0ELj4294967295EEENS1_25partition_config_selectorILNS1_17partition_subalgoE3EjNS0_10empty_typeEbEEZZNS1_14partition_implILS8_3ELb0ES6_jNS0_17counting_iteratorIjlEEPS9_SE_NS0_5tupleIJPjSE_EEENSF_IJSE_SE_EEES9_SG_JZNS1_25segmented_radix_sort_implINS0_14default_configELb1EPKlPlSM_SN_N2at6native12_GLOBAL__N_18offset_tEEE10hipError_tPvRmT1_PNSt15iterator_traitsISV_E10value_typeET2_T3_PNSW_IS11_E10value_typeET4_jRbjT5_S17_jjP12ihipStream_tbEUljE_EEESS_ST_SU_S11_S15_S17_T6_T7_T9_mT8_S19_bDpT10_ENKUlT_T0_E_clISt17integral_constantIbLb0EES1L_IbLb1EEEEDaS1H_S1I_EUlS1H_E_NS1_11comp_targetILNS1_3genE9ELNS1_11target_archE1100ELNS1_3gpuE3ELNS1_3repE0EEENS1_30default_config_static_selectorELNS0_4arch9wavefront6targetE0EEEvSV_
    .private_segment_fixed_size: 0
    .sgpr_count:     28
    .sgpr_spill_count: 0
    .symbol:         _ZN7rocprim17ROCPRIM_400000_NS6detail17trampoline_kernelINS0_13select_configILj256ELj13ELNS0_17block_load_methodE3ELS4_3ELS4_3ELNS0_20block_scan_algorithmE0ELj4294967295EEENS1_25partition_config_selectorILNS1_17partition_subalgoE3EjNS0_10empty_typeEbEEZZNS1_14partition_implILS8_3ELb0ES6_jNS0_17counting_iteratorIjlEEPS9_SE_NS0_5tupleIJPjSE_EEENSF_IJSE_SE_EEES9_SG_JZNS1_25segmented_radix_sort_implINS0_14default_configELb1EPKlPlSM_SN_N2at6native12_GLOBAL__N_18offset_tEEE10hipError_tPvRmT1_PNSt15iterator_traitsISV_E10value_typeET2_T3_PNSW_IS11_E10value_typeET4_jRbjT5_S17_jjP12ihipStream_tbEUljE_EEESS_ST_SU_S11_S15_S17_T6_T7_T9_mT8_S19_bDpT10_ENKUlT_T0_E_clISt17integral_constantIbLb0EES1L_IbLb1EEEEDaS1H_S1I_EUlS1H_E_NS1_11comp_targetILNS1_3genE9ELNS1_11target_archE1100ELNS1_3gpuE3ELNS1_3repE0EEENS1_30default_config_static_selectorELNS0_4arch9wavefront6targetE0EEEvSV_.kd
    .uniform_work_group_size: 1
    .uses_dynamic_stack: false
    .vgpr_count:     60
    .vgpr_spill_count: 0
    .wavefront_size: 32
    .workgroup_processor_mode: 1
  - .args:
      - .offset:         0
        .size:           152
        .value_kind:     by_value
    .group_segment_fixed_size: 0
    .kernarg_segment_align: 8
    .kernarg_segment_size: 152
    .language:       OpenCL C
    .language_version:
      - 2
      - 0
    .max_flat_workgroup_size: 256
    .name:           _ZN7rocprim17ROCPRIM_400000_NS6detail17trampoline_kernelINS0_13select_configILj256ELj13ELNS0_17block_load_methodE3ELS4_3ELS4_3ELNS0_20block_scan_algorithmE0ELj4294967295EEENS1_25partition_config_selectorILNS1_17partition_subalgoE3EjNS0_10empty_typeEbEEZZNS1_14partition_implILS8_3ELb0ES6_jNS0_17counting_iteratorIjlEEPS9_SE_NS0_5tupleIJPjSE_EEENSF_IJSE_SE_EEES9_SG_JZNS1_25segmented_radix_sort_implINS0_14default_configELb1EPKlPlSM_SN_N2at6native12_GLOBAL__N_18offset_tEEE10hipError_tPvRmT1_PNSt15iterator_traitsISV_E10value_typeET2_T3_PNSW_IS11_E10value_typeET4_jRbjT5_S17_jjP12ihipStream_tbEUljE_EEESS_ST_SU_S11_S15_S17_T6_T7_T9_mT8_S19_bDpT10_ENKUlT_T0_E_clISt17integral_constantIbLb0EES1L_IbLb1EEEEDaS1H_S1I_EUlS1H_E_NS1_11comp_targetILNS1_3genE8ELNS1_11target_archE1030ELNS1_3gpuE2ELNS1_3repE0EEENS1_30default_config_static_selectorELNS0_4arch9wavefront6targetE0EEEvSV_
    .private_segment_fixed_size: 0
    .sgpr_count:     0
    .sgpr_spill_count: 0
    .symbol:         _ZN7rocprim17ROCPRIM_400000_NS6detail17trampoline_kernelINS0_13select_configILj256ELj13ELNS0_17block_load_methodE3ELS4_3ELS4_3ELNS0_20block_scan_algorithmE0ELj4294967295EEENS1_25partition_config_selectorILNS1_17partition_subalgoE3EjNS0_10empty_typeEbEEZZNS1_14partition_implILS8_3ELb0ES6_jNS0_17counting_iteratorIjlEEPS9_SE_NS0_5tupleIJPjSE_EEENSF_IJSE_SE_EEES9_SG_JZNS1_25segmented_radix_sort_implINS0_14default_configELb1EPKlPlSM_SN_N2at6native12_GLOBAL__N_18offset_tEEE10hipError_tPvRmT1_PNSt15iterator_traitsISV_E10value_typeET2_T3_PNSW_IS11_E10value_typeET4_jRbjT5_S17_jjP12ihipStream_tbEUljE_EEESS_ST_SU_S11_S15_S17_T6_T7_T9_mT8_S19_bDpT10_ENKUlT_T0_E_clISt17integral_constantIbLb0EES1L_IbLb1EEEEDaS1H_S1I_EUlS1H_E_NS1_11comp_targetILNS1_3genE8ELNS1_11target_archE1030ELNS1_3gpuE2ELNS1_3repE0EEENS1_30default_config_static_selectorELNS0_4arch9wavefront6targetE0EEEvSV_.kd
    .uniform_work_group_size: 1
    .uses_dynamic_stack: false
    .vgpr_count:     0
    .vgpr_spill_count: 0
    .wavefront_size: 32
    .workgroup_processor_mode: 1
  - .args:
      - .offset:         0
        .size:           96
        .value_kind:     by_value
    .group_segment_fixed_size: 0
    .kernarg_segment_align: 8
    .kernarg_segment_size: 96
    .language:       OpenCL C
    .language_version:
      - 2
      - 0
    .max_flat_workgroup_size: 256
    .name:           _ZN7rocprim17ROCPRIM_400000_NS6detail17trampoline_kernelINS0_14default_configENS1_36segmented_radix_sort_config_selectorIllEEZNS1_25segmented_radix_sort_implIS3_Lb1EPKlPlS8_S9_N2at6native12_GLOBAL__N_18offset_tEEE10hipError_tPvRmT1_PNSt15iterator_traitsISH_E10value_typeET2_T3_PNSI_ISN_E10value_typeET4_jRbjT5_ST_jjP12ihipStream_tbEUlT_E_NS1_11comp_targetILNS1_3genE0ELNS1_11target_archE4294967295ELNS1_3gpuE0ELNS1_3repE0EEENS1_30default_config_static_selectorELNS0_4arch9wavefront6targetE0EEEvSH_
    .private_segment_fixed_size: 0
    .sgpr_count:     0
    .sgpr_spill_count: 0
    .symbol:         _ZN7rocprim17ROCPRIM_400000_NS6detail17trampoline_kernelINS0_14default_configENS1_36segmented_radix_sort_config_selectorIllEEZNS1_25segmented_radix_sort_implIS3_Lb1EPKlPlS8_S9_N2at6native12_GLOBAL__N_18offset_tEEE10hipError_tPvRmT1_PNSt15iterator_traitsISH_E10value_typeET2_T3_PNSI_ISN_E10value_typeET4_jRbjT5_ST_jjP12ihipStream_tbEUlT_E_NS1_11comp_targetILNS1_3genE0ELNS1_11target_archE4294967295ELNS1_3gpuE0ELNS1_3repE0EEENS1_30default_config_static_selectorELNS0_4arch9wavefront6targetE0EEEvSH_.kd
    .uniform_work_group_size: 1
    .uses_dynamic_stack: false
    .vgpr_count:     0
    .vgpr_spill_count: 0
    .wavefront_size: 32
    .workgroup_processor_mode: 1
  - .args:
      - .offset:         0
        .size:           96
        .value_kind:     by_value
    .group_segment_fixed_size: 0
    .kernarg_segment_align: 8
    .kernarg_segment_size: 96
    .language:       OpenCL C
    .language_version:
      - 2
      - 0
    .max_flat_workgroup_size: 256
    .name:           _ZN7rocprim17ROCPRIM_400000_NS6detail17trampoline_kernelINS0_14default_configENS1_36segmented_radix_sort_config_selectorIllEEZNS1_25segmented_radix_sort_implIS3_Lb1EPKlPlS8_S9_N2at6native12_GLOBAL__N_18offset_tEEE10hipError_tPvRmT1_PNSt15iterator_traitsISH_E10value_typeET2_T3_PNSI_ISN_E10value_typeET4_jRbjT5_ST_jjP12ihipStream_tbEUlT_E_NS1_11comp_targetILNS1_3genE5ELNS1_11target_archE942ELNS1_3gpuE9ELNS1_3repE0EEENS1_30default_config_static_selectorELNS0_4arch9wavefront6targetE0EEEvSH_
    .private_segment_fixed_size: 0
    .sgpr_count:     0
    .sgpr_spill_count: 0
    .symbol:         _ZN7rocprim17ROCPRIM_400000_NS6detail17trampoline_kernelINS0_14default_configENS1_36segmented_radix_sort_config_selectorIllEEZNS1_25segmented_radix_sort_implIS3_Lb1EPKlPlS8_S9_N2at6native12_GLOBAL__N_18offset_tEEE10hipError_tPvRmT1_PNSt15iterator_traitsISH_E10value_typeET2_T3_PNSI_ISN_E10value_typeET4_jRbjT5_ST_jjP12ihipStream_tbEUlT_E_NS1_11comp_targetILNS1_3genE5ELNS1_11target_archE942ELNS1_3gpuE9ELNS1_3repE0EEENS1_30default_config_static_selectorELNS0_4arch9wavefront6targetE0EEEvSH_.kd
    .uniform_work_group_size: 1
    .uses_dynamic_stack: false
    .vgpr_count:     0
    .vgpr_spill_count: 0
    .wavefront_size: 32
    .workgroup_processor_mode: 1
  - .args:
      - .offset:         0
        .size:           96
        .value_kind:     by_value
    .group_segment_fixed_size: 0
    .kernarg_segment_align: 8
    .kernarg_segment_size: 96
    .language:       OpenCL C
    .language_version:
      - 2
      - 0
    .max_flat_workgroup_size: 256
    .name:           _ZN7rocprim17ROCPRIM_400000_NS6detail17trampoline_kernelINS0_14default_configENS1_36segmented_radix_sort_config_selectorIllEEZNS1_25segmented_radix_sort_implIS3_Lb1EPKlPlS8_S9_N2at6native12_GLOBAL__N_18offset_tEEE10hipError_tPvRmT1_PNSt15iterator_traitsISH_E10value_typeET2_T3_PNSI_ISN_E10value_typeET4_jRbjT5_ST_jjP12ihipStream_tbEUlT_E_NS1_11comp_targetILNS1_3genE4ELNS1_11target_archE910ELNS1_3gpuE8ELNS1_3repE0EEENS1_30default_config_static_selectorELNS0_4arch9wavefront6targetE0EEEvSH_
    .private_segment_fixed_size: 0
    .sgpr_count:     0
    .sgpr_spill_count: 0
    .symbol:         _ZN7rocprim17ROCPRIM_400000_NS6detail17trampoline_kernelINS0_14default_configENS1_36segmented_radix_sort_config_selectorIllEEZNS1_25segmented_radix_sort_implIS3_Lb1EPKlPlS8_S9_N2at6native12_GLOBAL__N_18offset_tEEE10hipError_tPvRmT1_PNSt15iterator_traitsISH_E10value_typeET2_T3_PNSI_ISN_E10value_typeET4_jRbjT5_ST_jjP12ihipStream_tbEUlT_E_NS1_11comp_targetILNS1_3genE4ELNS1_11target_archE910ELNS1_3gpuE8ELNS1_3repE0EEENS1_30default_config_static_selectorELNS0_4arch9wavefront6targetE0EEEvSH_.kd
    .uniform_work_group_size: 1
    .uses_dynamic_stack: false
    .vgpr_count:     0
    .vgpr_spill_count: 0
    .wavefront_size: 32
    .workgroup_processor_mode: 1
  - .args:
      - .offset:         0
        .size:           96
        .value_kind:     by_value
    .group_segment_fixed_size: 0
    .kernarg_segment_align: 8
    .kernarg_segment_size: 96
    .language:       OpenCL C
    .language_version:
      - 2
      - 0
    .max_flat_workgroup_size: 256
    .name:           _ZN7rocprim17ROCPRIM_400000_NS6detail17trampoline_kernelINS0_14default_configENS1_36segmented_radix_sort_config_selectorIllEEZNS1_25segmented_radix_sort_implIS3_Lb1EPKlPlS8_S9_N2at6native12_GLOBAL__N_18offset_tEEE10hipError_tPvRmT1_PNSt15iterator_traitsISH_E10value_typeET2_T3_PNSI_ISN_E10value_typeET4_jRbjT5_ST_jjP12ihipStream_tbEUlT_E_NS1_11comp_targetILNS1_3genE3ELNS1_11target_archE908ELNS1_3gpuE7ELNS1_3repE0EEENS1_30default_config_static_selectorELNS0_4arch9wavefront6targetE0EEEvSH_
    .private_segment_fixed_size: 0
    .sgpr_count:     0
    .sgpr_spill_count: 0
    .symbol:         _ZN7rocprim17ROCPRIM_400000_NS6detail17trampoline_kernelINS0_14default_configENS1_36segmented_radix_sort_config_selectorIllEEZNS1_25segmented_radix_sort_implIS3_Lb1EPKlPlS8_S9_N2at6native12_GLOBAL__N_18offset_tEEE10hipError_tPvRmT1_PNSt15iterator_traitsISH_E10value_typeET2_T3_PNSI_ISN_E10value_typeET4_jRbjT5_ST_jjP12ihipStream_tbEUlT_E_NS1_11comp_targetILNS1_3genE3ELNS1_11target_archE908ELNS1_3gpuE7ELNS1_3repE0EEENS1_30default_config_static_selectorELNS0_4arch9wavefront6targetE0EEEvSH_.kd
    .uniform_work_group_size: 1
    .uses_dynamic_stack: false
    .vgpr_count:     0
    .vgpr_spill_count: 0
    .wavefront_size: 32
    .workgroup_processor_mode: 1
  - .args:
      - .offset:         0
        .size:           96
        .value_kind:     by_value
    .group_segment_fixed_size: 0
    .kernarg_segment_align: 8
    .kernarg_segment_size: 96
    .language:       OpenCL C
    .language_version:
      - 2
      - 0
    .max_flat_workgroup_size: 256
    .name:           _ZN7rocprim17ROCPRIM_400000_NS6detail17trampoline_kernelINS0_14default_configENS1_36segmented_radix_sort_config_selectorIllEEZNS1_25segmented_radix_sort_implIS3_Lb1EPKlPlS8_S9_N2at6native12_GLOBAL__N_18offset_tEEE10hipError_tPvRmT1_PNSt15iterator_traitsISH_E10value_typeET2_T3_PNSI_ISN_E10value_typeET4_jRbjT5_ST_jjP12ihipStream_tbEUlT_E_NS1_11comp_targetILNS1_3genE2ELNS1_11target_archE906ELNS1_3gpuE6ELNS1_3repE0EEENS1_30default_config_static_selectorELNS0_4arch9wavefront6targetE0EEEvSH_
    .private_segment_fixed_size: 0
    .sgpr_count:     0
    .sgpr_spill_count: 0
    .symbol:         _ZN7rocprim17ROCPRIM_400000_NS6detail17trampoline_kernelINS0_14default_configENS1_36segmented_radix_sort_config_selectorIllEEZNS1_25segmented_radix_sort_implIS3_Lb1EPKlPlS8_S9_N2at6native12_GLOBAL__N_18offset_tEEE10hipError_tPvRmT1_PNSt15iterator_traitsISH_E10value_typeET2_T3_PNSI_ISN_E10value_typeET4_jRbjT5_ST_jjP12ihipStream_tbEUlT_E_NS1_11comp_targetILNS1_3genE2ELNS1_11target_archE906ELNS1_3gpuE6ELNS1_3repE0EEENS1_30default_config_static_selectorELNS0_4arch9wavefront6targetE0EEEvSH_.kd
    .uniform_work_group_size: 1
    .uses_dynamic_stack: false
    .vgpr_count:     0
    .vgpr_spill_count: 0
    .wavefront_size: 32
    .workgroup_processor_mode: 1
  - .args:
      - .offset:         0
        .size:           96
        .value_kind:     by_value
    .group_segment_fixed_size: 0
    .kernarg_segment_align: 8
    .kernarg_segment_size: 96
    .language:       OpenCL C
    .language_version:
      - 2
      - 0
    .max_flat_workgroup_size: 256
    .name:           _ZN7rocprim17ROCPRIM_400000_NS6detail17trampoline_kernelINS0_14default_configENS1_36segmented_radix_sort_config_selectorIllEEZNS1_25segmented_radix_sort_implIS3_Lb1EPKlPlS8_S9_N2at6native12_GLOBAL__N_18offset_tEEE10hipError_tPvRmT1_PNSt15iterator_traitsISH_E10value_typeET2_T3_PNSI_ISN_E10value_typeET4_jRbjT5_ST_jjP12ihipStream_tbEUlT_E_NS1_11comp_targetILNS1_3genE10ELNS1_11target_archE1201ELNS1_3gpuE5ELNS1_3repE0EEENS1_30default_config_static_selectorELNS0_4arch9wavefront6targetE0EEEvSH_
    .private_segment_fixed_size: 0
    .sgpr_count:     0
    .sgpr_spill_count: 0
    .symbol:         _ZN7rocprim17ROCPRIM_400000_NS6detail17trampoline_kernelINS0_14default_configENS1_36segmented_radix_sort_config_selectorIllEEZNS1_25segmented_radix_sort_implIS3_Lb1EPKlPlS8_S9_N2at6native12_GLOBAL__N_18offset_tEEE10hipError_tPvRmT1_PNSt15iterator_traitsISH_E10value_typeET2_T3_PNSI_ISN_E10value_typeET4_jRbjT5_ST_jjP12ihipStream_tbEUlT_E_NS1_11comp_targetILNS1_3genE10ELNS1_11target_archE1201ELNS1_3gpuE5ELNS1_3repE0EEENS1_30default_config_static_selectorELNS0_4arch9wavefront6targetE0EEEvSH_.kd
    .uniform_work_group_size: 1
    .uses_dynamic_stack: false
    .vgpr_count:     0
    .vgpr_spill_count: 0
    .wavefront_size: 32
    .workgroup_processor_mode: 1
  - .args:
      - .offset:         0
        .size:           96
        .value_kind:     by_value
    .group_segment_fixed_size: 0
    .kernarg_segment_align: 8
    .kernarg_segment_size: 96
    .language:       OpenCL C
    .language_version:
      - 2
      - 0
    .max_flat_workgroup_size: 128
    .name:           _ZN7rocprim17ROCPRIM_400000_NS6detail17trampoline_kernelINS0_14default_configENS1_36segmented_radix_sort_config_selectorIllEEZNS1_25segmented_radix_sort_implIS3_Lb1EPKlPlS8_S9_N2at6native12_GLOBAL__N_18offset_tEEE10hipError_tPvRmT1_PNSt15iterator_traitsISH_E10value_typeET2_T3_PNSI_ISN_E10value_typeET4_jRbjT5_ST_jjP12ihipStream_tbEUlT_E_NS1_11comp_targetILNS1_3genE10ELNS1_11target_archE1200ELNS1_3gpuE4ELNS1_3repE0EEENS1_30default_config_static_selectorELNS0_4arch9wavefront6targetE0EEEvSH_
    .private_segment_fixed_size: 0
    .sgpr_count:     0
    .sgpr_spill_count: 0
    .symbol:         _ZN7rocprim17ROCPRIM_400000_NS6detail17trampoline_kernelINS0_14default_configENS1_36segmented_radix_sort_config_selectorIllEEZNS1_25segmented_radix_sort_implIS3_Lb1EPKlPlS8_S9_N2at6native12_GLOBAL__N_18offset_tEEE10hipError_tPvRmT1_PNSt15iterator_traitsISH_E10value_typeET2_T3_PNSI_ISN_E10value_typeET4_jRbjT5_ST_jjP12ihipStream_tbEUlT_E_NS1_11comp_targetILNS1_3genE10ELNS1_11target_archE1200ELNS1_3gpuE4ELNS1_3repE0EEENS1_30default_config_static_selectorELNS0_4arch9wavefront6targetE0EEEvSH_.kd
    .uniform_work_group_size: 1
    .uses_dynamic_stack: false
    .vgpr_count:     0
    .vgpr_spill_count: 0
    .wavefront_size: 32
    .workgroup_processor_mode: 1
  - .args:
      - .offset:         0
        .size:           96
        .value_kind:     by_value
      - .offset:         96
        .size:           4
        .value_kind:     hidden_block_count_x
      - .offset:         100
        .size:           4
        .value_kind:     hidden_block_count_y
      - .offset:         104
        .size:           4
        .value_kind:     hidden_block_count_z
      - .offset:         108
        .size:           2
        .value_kind:     hidden_group_size_x
      - .offset:         110
        .size:           2
        .value_kind:     hidden_group_size_y
      - .offset:         112
        .size:           2
        .value_kind:     hidden_group_size_z
      - .offset:         114
        .size:           2
        .value_kind:     hidden_remainder_x
      - .offset:         116
        .size:           2
        .value_kind:     hidden_remainder_y
      - .offset:         118
        .size:           2
        .value_kind:     hidden_remainder_z
      - .offset:         136
        .size:           8
        .value_kind:     hidden_global_offset_x
      - .offset:         144
        .size:           8
        .value_kind:     hidden_global_offset_y
      - .offset:         152
        .size:           8
        .value_kind:     hidden_global_offset_z
      - .offset:         160
        .size:           2
        .value_kind:     hidden_grid_dims
    .group_segment_fixed_size: 33824
    .kernarg_segment_align: 8
    .kernarg_segment_size: 352
    .language:       OpenCL C
    .language_version:
      - 2
      - 0
    .max_flat_workgroup_size: 256
    .name:           _ZN7rocprim17ROCPRIM_400000_NS6detail17trampoline_kernelINS0_14default_configENS1_36segmented_radix_sort_config_selectorIllEEZNS1_25segmented_radix_sort_implIS3_Lb1EPKlPlS8_S9_N2at6native12_GLOBAL__N_18offset_tEEE10hipError_tPvRmT1_PNSt15iterator_traitsISH_E10value_typeET2_T3_PNSI_ISN_E10value_typeET4_jRbjT5_ST_jjP12ihipStream_tbEUlT_E_NS1_11comp_targetILNS1_3genE9ELNS1_11target_archE1100ELNS1_3gpuE3ELNS1_3repE0EEENS1_30default_config_static_selectorELNS0_4arch9wavefront6targetE0EEEvSH_
    .private_segment_fixed_size: 200
    .sgpr_count:     65
    .sgpr_spill_count: 0
    .symbol:         _ZN7rocprim17ROCPRIM_400000_NS6detail17trampoline_kernelINS0_14default_configENS1_36segmented_radix_sort_config_selectorIllEEZNS1_25segmented_radix_sort_implIS3_Lb1EPKlPlS8_S9_N2at6native12_GLOBAL__N_18offset_tEEE10hipError_tPvRmT1_PNSt15iterator_traitsISH_E10value_typeET2_T3_PNSI_ISN_E10value_typeET4_jRbjT5_ST_jjP12ihipStream_tbEUlT_E_NS1_11comp_targetILNS1_3genE9ELNS1_11target_archE1100ELNS1_3gpuE3ELNS1_3repE0EEENS1_30default_config_static_selectorELNS0_4arch9wavefront6targetE0EEEvSH_.kd
    .uniform_work_group_size: 1
    .uses_dynamic_stack: false
    .vgpr_count:     248
    .vgpr_spill_count: 0
    .wavefront_size: 32
    .workgroup_processor_mode: 1
  - .args:
      - .offset:         0
        .size:           96
        .value_kind:     by_value
    .group_segment_fixed_size: 0
    .kernarg_segment_align: 8
    .kernarg_segment_size: 96
    .language:       OpenCL C
    .language_version:
      - 2
      - 0
    .max_flat_workgroup_size: 256
    .name:           _ZN7rocprim17ROCPRIM_400000_NS6detail17trampoline_kernelINS0_14default_configENS1_36segmented_radix_sort_config_selectorIllEEZNS1_25segmented_radix_sort_implIS3_Lb1EPKlPlS8_S9_N2at6native12_GLOBAL__N_18offset_tEEE10hipError_tPvRmT1_PNSt15iterator_traitsISH_E10value_typeET2_T3_PNSI_ISN_E10value_typeET4_jRbjT5_ST_jjP12ihipStream_tbEUlT_E_NS1_11comp_targetILNS1_3genE8ELNS1_11target_archE1030ELNS1_3gpuE2ELNS1_3repE0EEENS1_30default_config_static_selectorELNS0_4arch9wavefront6targetE0EEEvSH_
    .private_segment_fixed_size: 0
    .sgpr_count:     0
    .sgpr_spill_count: 0
    .symbol:         _ZN7rocprim17ROCPRIM_400000_NS6detail17trampoline_kernelINS0_14default_configENS1_36segmented_radix_sort_config_selectorIllEEZNS1_25segmented_radix_sort_implIS3_Lb1EPKlPlS8_S9_N2at6native12_GLOBAL__N_18offset_tEEE10hipError_tPvRmT1_PNSt15iterator_traitsISH_E10value_typeET2_T3_PNSI_ISN_E10value_typeET4_jRbjT5_ST_jjP12ihipStream_tbEUlT_E_NS1_11comp_targetILNS1_3genE8ELNS1_11target_archE1030ELNS1_3gpuE2ELNS1_3repE0EEENS1_30default_config_static_selectorELNS0_4arch9wavefront6targetE0EEEvSH_.kd
    .uniform_work_group_size: 1
    .uses_dynamic_stack: false
    .vgpr_count:     0
    .vgpr_spill_count: 0
    .wavefront_size: 32
    .workgroup_processor_mode: 1
  - .args:
      - .offset:         0
        .size:           88
        .value_kind:     by_value
    .group_segment_fixed_size: 0
    .kernarg_segment_align: 8
    .kernarg_segment_size: 88
    .language:       OpenCL C
    .language_version:
      - 2
      - 0
    .max_flat_workgroup_size: 256
    .name:           _ZN7rocprim17ROCPRIM_400000_NS6detail17trampoline_kernelINS0_14default_configENS1_36segmented_radix_sort_config_selectorIllEEZNS1_25segmented_radix_sort_implIS3_Lb1EPKlPlS8_S9_N2at6native12_GLOBAL__N_18offset_tEEE10hipError_tPvRmT1_PNSt15iterator_traitsISH_E10value_typeET2_T3_PNSI_ISN_E10value_typeET4_jRbjT5_ST_jjP12ihipStream_tbEUlT_E0_NS1_11comp_targetILNS1_3genE0ELNS1_11target_archE4294967295ELNS1_3gpuE0ELNS1_3repE0EEENS1_60segmented_radix_sort_warp_sort_medium_config_static_selectorELNS0_4arch9wavefront6targetE0EEEvSH_
    .private_segment_fixed_size: 0
    .sgpr_count:     0
    .sgpr_spill_count: 0
    .symbol:         _ZN7rocprim17ROCPRIM_400000_NS6detail17trampoline_kernelINS0_14default_configENS1_36segmented_radix_sort_config_selectorIllEEZNS1_25segmented_radix_sort_implIS3_Lb1EPKlPlS8_S9_N2at6native12_GLOBAL__N_18offset_tEEE10hipError_tPvRmT1_PNSt15iterator_traitsISH_E10value_typeET2_T3_PNSI_ISN_E10value_typeET4_jRbjT5_ST_jjP12ihipStream_tbEUlT_E0_NS1_11comp_targetILNS1_3genE0ELNS1_11target_archE4294967295ELNS1_3gpuE0ELNS1_3repE0EEENS1_60segmented_radix_sort_warp_sort_medium_config_static_selectorELNS0_4arch9wavefront6targetE0EEEvSH_.kd
    .uniform_work_group_size: 1
    .uses_dynamic_stack: false
    .vgpr_count:     0
    .vgpr_spill_count: 0
    .wavefront_size: 32
    .workgroup_processor_mode: 1
  - .args:
      - .offset:         0
        .size:           88
        .value_kind:     by_value
    .group_segment_fixed_size: 0
    .kernarg_segment_align: 8
    .kernarg_segment_size: 88
    .language:       OpenCL C
    .language_version:
      - 2
      - 0
    .max_flat_workgroup_size: 256
    .name:           _ZN7rocprim17ROCPRIM_400000_NS6detail17trampoline_kernelINS0_14default_configENS1_36segmented_radix_sort_config_selectorIllEEZNS1_25segmented_radix_sort_implIS3_Lb1EPKlPlS8_S9_N2at6native12_GLOBAL__N_18offset_tEEE10hipError_tPvRmT1_PNSt15iterator_traitsISH_E10value_typeET2_T3_PNSI_ISN_E10value_typeET4_jRbjT5_ST_jjP12ihipStream_tbEUlT_E0_NS1_11comp_targetILNS1_3genE5ELNS1_11target_archE942ELNS1_3gpuE9ELNS1_3repE0EEENS1_60segmented_radix_sort_warp_sort_medium_config_static_selectorELNS0_4arch9wavefront6targetE0EEEvSH_
    .private_segment_fixed_size: 0
    .sgpr_count:     0
    .sgpr_spill_count: 0
    .symbol:         _ZN7rocprim17ROCPRIM_400000_NS6detail17trampoline_kernelINS0_14default_configENS1_36segmented_radix_sort_config_selectorIllEEZNS1_25segmented_radix_sort_implIS3_Lb1EPKlPlS8_S9_N2at6native12_GLOBAL__N_18offset_tEEE10hipError_tPvRmT1_PNSt15iterator_traitsISH_E10value_typeET2_T3_PNSI_ISN_E10value_typeET4_jRbjT5_ST_jjP12ihipStream_tbEUlT_E0_NS1_11comp_targetILNS1_3genE5ELNS1_11target_archE942ELNS1_3gpuE9ELNS1_3repE0EEENS1_60segmented_radix_sort_warp_sort_medium_config_static_selectorELNS0_4arch9wavefront6targetE0EEEvSH_.kd
    .uniform_work_group_size: 1
    .uses_dynamic_stack: false
    .vgpr_count:     0
    .vgpr_spill_count: 0
    .wavefront_size: 32
    .workgroup_processor_mode: 1
  - .args:
      - .offset:         0
        .size:           88
        .value_kind:     by_value
    .group_segment_fixed_size: 0
    .kernarg_segment_align: 8
    .kernarg_segment_size: 88
    .language:       OpenCL C
    .language_version:
      - 2
      - 0
    .max_flat_workgroup_size: 256
    .name:           _ZN7rocprim17ROCPRIM_400000_NS6detail17trampoline_kernelINS0_14default_configENS1_36segmented_radix_sort_config_selectorIllEEZNS1_25segmented_radix_sort_implIS3_Lb1EPKlPlS8_S9_N2at6native12_GLOBAL__N_18offset_tEEE10hipError_tPvRmT1_PNSt15iterator_traitsISH_E10value_typeET2_T3_PNSI_ISN_E10value_typeET4_jRbjT5_ST_jjP12ihipStream_tbEUlT_E0_NS1_11comp_targetILNS1_3genE4ELNS1_11target_archE910ELNS1_3gpuE8ELNS1_3repE0EEENS1_60segmented_radix_sort_warp_sort_medium_config_static_selectorELNS0_4arch9wavefront6targetE0EEEvSH_
    .private_segment_fixed_size: 0
    .sgpr_count:     0
    .sgpr_spill_count: 0
    .symbol:         _ZN7rocprim17ROCPRIM_400000_NS6detail17trampoline_kernelINS0_14default_configENS1_36segmented_radix_sort_config_selectorIllEEZNS1_25segmented_radix_sort_implIS3_Lb1EPKlPlS8_S9_N2at6native12_GLOBAL__N_18offset_tEEE10hipError_tPvRmT1_PNSt15iterator_traitsISH_E10value_typeET2_T3_PNSI_ISN_E10value_typeET4_jRbjT5_ST_jjP12ihipStream_tbEUlT_E0_NS1_11comp_targetILNS1_3genE4ELNS1_11target_archE910ELNS1_3gpuE8ELNS1_3repE0EEENS1_60segmented_radix_sort_warp_sort_medium_config_static_selectorELNS0_4arch9wavefront6targetE0EEEvSH_.kd
    .uniform_work_group_size: 1
    .uses_dynamic_stack: false
    .vgpr_count:     0
    .vgpr_spill_count: 0
    .wavefront_size: 32
    .workgroup_processor_mode: 1
  - .args:
      - .offset:         0
        .size:           88
        .value_kind:     by_value
    .group_segment_fixed_size: 0
    .kernarg_segment_align: 8
    .kernarg_segment_size: 88
    .language:       OpenCL C
    .language_version:
      - 2
      - 0
    .max_flat_workgroup_size: 256
    .name:           _ZN7rocprim17ROCPRIM_400000_NS6detail17trampoline_kernelINS0_14default_configENS1_36segmented_radix_sort_config_selectorIllEEZNS1_25segmented_radix_sort_implIS3_Lb1EPKlPlS8_S9_N2at6native12_GLOBAL__N_18offset_tEEE10hipError_tPvRmT1_PNSt15iterator_traitsISH_E10value_typeET2_T3_PNSI_ISN_E10value_typeET4_jRbjT5_ST_jjP12ihipStream_tbEUlT_E0_NS1_11comp_targetILNS1_3genE3ELNS1_11target_archE908ELNS1_3gpuE7ELNS1_3repE0EEENS1_60segmented_radix_sort_warp_sort_medium_config_static_selectorELNS0_4arch9wavefront6targetE0EEEvSH_
    .private_segment_fixed_size: 0
    .sgpr_count:     0
    .sgpr_spill_count: 0
    .symbol:         _ZN7rocprim17ROCPRIM_400000_NS6detail17trampoline_kernelINS0_14default_configENS1_36segmented_radix_sort_config_selectorIllEEZNS1_25segmented_radix_sort_implIS3_Lb1EPKlPlS8_S9_N2at6native12_GLOBAL__N_18offset_tEEE10hipError_tPvRmT1_PNSt15iterator_traitsISH_E10value_typeET2_T3_PNSI_ISN_E10value_typeET4_jRbjT5_ST_jjP12ihipStream_tbEUlT_E0_NS1_11comp_targetILNS1_3genE3ELNS1_11target_archE908ELNS1_3gpuE7ELNS1_3repE0EEENS1_60segmented_radix_sort_warp_sort_medium_config_static_selectorELNS0_4arch9wavefront6targetE0EEEvSH_.kd
    .uniform_work_group_size: 1
    .uses_dynamic_stack: false
    .vgpr_count:     0
    .vgpr_spill_count: 0
    .wavefront_size: 32
    .workgroup_processor_mode: 1
  - .args:
      - .offset:         0
        .size:           88
        .value_kind:     by_value
    .group_segment_fixed_size: 0
    .kernarg_segment_align: 8
    .kernarg_segment_size: 88
    .language:       OpenCL C
    .language_version:
      - 2
      - 0
    .max_flat_workgroup_size: 256
    .name:           _ZN7rocprim17ROCPRIM_400000_NS6detail17trampoline_kernelINS0_14default_configENS1_36segmented_radix_sort_config_selectorIllEEZNS1_25segmented_radix_sort_implIS3_Lb1EPKlPlS8_S9_N2at6native12_GLOBAL__N_18offset_tEEE10hipError_tPvRmT1_PNSt15iterator_traitsISH_E10value_typeET2_T3_PNSI_ISN_E10value_typeET4_jRbjT5_ST_jjP12ihipStream_tbEUlT_E0_NS1_11comp_targetILNS1_3genE2ELNS1_11target_archE906ELNS1_3gpuE6ELNS1_3repE0EEENS1_60segmented_radix_sort_warp_sort_medium_config_static_selectorELNS0_4arch9wavefront6targetE0EEEvSH_
    .private_segment_fixed_size: 0
    .sgpr_count:     0
    .sgpr_spill_count: 0
    .symbol:         _ZN7rocprim17ROCPRIM_400000_NS6detail17trampoline_kernelINS0_14default_configENS1_36segmented_radix_sort_config_selectorIllEEZNS1_25segmented_radix_sort_implIS3_Lb1EPKlPlS8_S9_N2at6native12_GLOBAL__N_18offset_tEEE10hipError_tPvRmT1_PNSt15iterator_traitsISH_E10value_typeET2_T3_PNSI_ISN_E10value_typeET4_jRbjT5_ST_jjP12ihipStream_tbEUlT_E0_NS1_11comp_targetILNS1_3genE2ELNS1_11target_archE906ELNS1_3gpuE6ELNS1_3repE0EEENS1_60segmented_radix_sort_warp_sort_medium_config_static_selectorELNS0_4arch9wavefront6targetE0EEEvSH_.kd
    .uniform_work_group_size: 1
    .uses_dynamic_stack: false
    .vgpr_count:     0
    .vgpr_spill_count: 0
    .wavefront_size: 32
    .workgroup_processor_mode: 1
  - .args:
      - .offset:         0
        .size:           88
        .value_kind:     by_value
    .group_segment_fixed_size: 0
    .kernarg_segment_align: 8
    .kernarg_segment_size: 88
    .language:       OpenCL C
    .language_version:
      - 2
      - 0
    .max_flat_workgroup_size: 256
    .name:           _ZN7rocprim17ROCPRIM_400000_NS6detail17trampoline_kernelINS0_14default_configENS1_36segmented_radix_sort_config_selectorIllEEZNS1_25segmented_radix_sort_implIS3_Lb1EPKlPlS8_S9_N2at6native12_GLOBAL__N_18offset_tEEE10hipError_tPvRmT1_PNSt15iterator_traitsISH_E10value_typeET2_T3_PNSI_ISN_E10value_typeET4_jRbjT5_ST_jjP12ihipStream_tbEUlT_E0_NS1_11comp_targetILNS1_3genE10ELNS1_11target_archE1201ELNS1_3gpuE5ELNS1_3repE0EEENS1_60segmented_radix_sort_warp_sort_medium_config_static_selectorELNS0_4arch9wavefront6targetE0EEEvSH_
    .private_segment_fixed_size: 0
    .sgpr_count:     0
    .sgpr_spill_count: 0
    .symbol:         _ZN7rocprim17ROCPRIM_400000_NS6detail17trampoline_kernelINS0_14default_configENS1_36segmented_radix_sort_config_selectorIllEEZNS1_25segmented_radix_sort_implIS3_Lb1EPKlPlS8_S9_N2at6native12_GLOBAL__N_18offset_tEEE10hipError_tPvRmT1_PNSt15iterator_traitsISH_E10value_typeET2_T3_PNSI_ISN_E10value_typeET4_jRbjT5_ST_jjP12ihipStream_tbEUlT_E0_NS1_11comp_targetILNS1_3genE10ELNS1_11target_archE1201ELNS1_3gpuE5ELNS1_3repE0EEENS1_60segmented_radix_sort_warp_sort_medium_config_static_selectorELNS0_4arch9wavefront6targetE0EEEvSH_.kd
    .uniform_work_group_size: 1
    .uses_dynamic_stack: false
    .vgpr_count:     0
    .vgpr_spill_count: 0
    .wavefront_size: 32
    .workgroup_processor_mode: 1
  - .args:
      - .offset:         0
        .size:           88
        .value_kind:     by_value
    .group_segment_fixed_size: 0
    .kernarg_segment_align: 8
    .kernarg_segment_size: 88
    .language:       OpenCL C
    .language_version:
      - 2
      - 0
    .max_flat_workgroup_size: 256
    .name:           _ZN7rocprim17ROCPRIM_400000_NS6detail17trampoline_kernelINS0_14default_configENS1_36segmented_radix_sort_config_selectorIllEEZNS1_25segmented_radix_sort_implIS3_Lb1EPKlPlS8_S9_N2at6native12_GLOBAL__N_18offset_tEEE10hipError_tPvRmT1_PNSt15iterator_traitsISH_E10value_typeET2_T3_PNSI_ISN_E10value_typeET4_jRbjT5_ST_jjP12ihipStream_tbEUlT_E0_NS1_11comp_targetILNS1_3genE10ELNS1_11target_archE1200ELNS1_3gpuE4ELNS1_3repE0EEENS1_60segmented_radix_sort_warp_sort_medium_config_static_selectorELNS0_4arch9wavefront6targetE0EEEvSH_
    .private_segment_fixed_size: 0
    .sgpr_count:     0
    .sgpr_spill_count: 0
    .symbol:         _ZN7rocprim17ROCPRIM_400000_NS6detail17trampoline_kernelINS0_14default_configENS1_36segmented_radix_sort_config_selectorIllEEZNS1_25segmented_radix_sort_implIS3_Lb1EPKlPlS8_S9_N2at6native12_GLOBAL__N_18offset_tEEE10hipError_tPvRmT1_PNSt15iterator_traitsISH_E10value_typeET2_T3_PNSI_ISN_E10value_typeET4_jRbjT5_ST_jjP12ihipStream_tbEUlT_E0_NS1_11comp_targetILNS1_3genE10ELNS1_11target_archE1200ELNS1_3gpuE4ELNS1_3repE0EEENS1_60segmented_radix_sort_warp_sort_medium_config_static_selectorELNS0_4arch9wavefront6targetE0EEEvSH_.kd
    .uniform_work_group_size: 1
    .uses_dynamic_stack: false
    .vgpr_count:     0
    .vgpr_spill_count: 0
    .wavefront_size: 32
    .workgroup_processor_mode: 1
  - .args:
      - .offset:         0
        .size:           88
        .value_kind:     by_value
      - .offset:         88
        .size:           4
        .value_kind:     hidden_block_count_x
      - .offset:         92
        .size:           4
        .value_kind:     hidden_block_count_y
      - .offset:         96
        .size:           4
        .value_kind:     hidden_block_count_z
      - .offset:         100
        .size:           2
        .value_kind:     hidden_group_size_x
      - .offset:         102
        .size:           2
        .value_kind:     hidden_group_size_y
      - .offset:         104
        .size:           2
        .value_kind:     hidden_group_size_z
      - .offset:         106
        .size:           2
        .value_kind:     hidden_remainder_x
      - .offset:         108
        .size:           2
        .value_kind:     hidden_remainder_y
      - .offset:         110
        .size:           2
        .value_kind:     hidden_remainder_z
      - .offset:         128
        .size:           8
        .value_kind:     hidden_global_offset_x
      - .offset:         136
        .size:           8
        .value_kind:     hidden_global_offset_y
      - .offset:         144
        .size:           8
        .value_kind:     hidden_global_offset_z
      - .offset:         152
        .size:           2
        .value_kind:     hidden_grid_dims
    .group_segment_fixed_size: 32768
    .kernarg_segment_align: 8
    .kernarg_segment_size: 344
    .language:       OpenCL C
    .language_version:
      - 2
      - 0
    .max_flat_workgroup_size: 256
    .name:           _ZN7rocprim17ROCPRIM_400000_NS6detail17trampoline_kernelINS0_14default_configENS1_36segmented_radix_sort_config_selectorIllEEZNS1_25segmented_radix_sort_implIS3_Lb1EPKlPlS8_S9_N2at6native12_GLOBAL__N_18offset_tEEE10hipError_tPvRmT1_PNSt15iterator_traitsISH_E10value_typeET2_T3_PNSI_ISN_E10value_typeET4_jRbjT5_ST_jjP12ihipStream_tbEUlT_E0_NS1_11comp_targetILNS1_3genE9ELNS1_11target_archE1100ELNS1_3gpuE3ELNS1_3repE0EEENS1_60segmented_radix_sort_warp_sort_medium_config_static_selectorELNS0_4arch9wavefront6targetE0EEEvSH_
    .private_segment_fixed_size: 0
    .sgpr_count:     46
    .sgpr_spill_count: 0
    .symbol:         _ZN7rocprim17ROCPRIM_400000_NS6detail17trampoline_kernelINS0_14default_configENS1_36segmented_radix_sort_config_selectorIllEEZNS1_25segmented_radix_sort_implIS3_Lb1EPKlPlS8_S9_N2at6native12_GLOBAL__N_18offset_tEEE10hipError_tPvRmT1_PNSt15iterator_traitsISH_E10value_typeET2_T3_PNSI_ISN_E10value_typeET4_jRbjT5_ST_jjP12ihipStream_tbEUlT_E0_NS1_11comp_targetILNS1_3genE9ELNS1_11target_archE1100ELNS1_3gpuE3ELNS1_3repE0EEENS1_60segmented_radix_sort_warp_sort_medium_config_static_selectorELNS0_4arch9wavefront6targetE0EEEvSH_.kd
    .uniform_work_group_size: 1
    .uses_dynamic_stack: false
    .vgpr_count:     99
    .vgpr_spill_count: 0
    .wavefront_size: 32
    .workgroup_processor_mode: 1
  - .args:
      - .offset:         0
        .size:           88
        .value_kind:     by_value
    .group_segment_fixed_size: 0
    .kernarg_segment_align: 8
    .kernarg_segment_size: 88
    .language:       OpenCL C
    .language_version:
      - 2
      - 0
    .max_flat_workgroup_size: 256
    .name:           _ZN7rocprim17ROCPRIM_400000_NS6detail17trampoline_kernelINS0_14default_configENS1_36segmented_radix_sort_config_selectorIllEEZNS1_25segmented_radix_sort_implIS3_Lb1EPKlPlS8_S9_N2at6native12_GLOBAL__N_18offset_tEEE10hipError_tPvRmT1_PNSt15iterator_traitsISH_E10value_typeET2_T3_PNSI_ISN_E10value_typeET4_jRbjT5_ST_jjP12ihipStream_tbEUlT_E0_NS1_11comp_targetILNS1_3genE8ELNS1_11target_archE1030ELNS1_3gpuE2ELNS1_3repE0EEENS1_60segmented_radix_sort_warp_sort_medium_config_static_selectorELNS0_4arch9wavefront6targetE0EEEvSH_
    .private_segment_fixed_size: 0
    .sgpr_count:     0
    .sgpr_spill_count: 0
    .symbol:         _ZN7rocprim17ROCPRIM_400000_NS6detail17trampoline_kernelINS0_14default_configENS1_36segmented_radix_sort_config_selectorIllEEZNS1_25segmented_radix_sort_implIS3_Lb1EPKlPlS8_S9_N2at6native12_GLOBAL__N_18offset_tEEE10hipError_tPvRmT1_PNSt15iterator_traitsISH_E10value_typeET2_T3_PNSI_ISN_E10value_typeET4_jRbjT5_ST_jjP12ihipStream_tbEUlT_E0_NS1_11comp_targetILNS1_3genE8ELNS1_11target_archE1030ELNS1_3gpuE2ELNS1_3repE0EEENS1_60segmented_radix_sort_warp_sort_medium_config_static_selectorELNS0_4arch9wavefront6targetE0EEEvSH_.kd
    .uniform_work_group_size: 1
    .uses_dynamic_stack: false
    .vgpr_count:     0
    .vgpr_spill_count: 0
    .wavefront_size: 32
    .workgroup_processor_mode: 1
  - .args:
      - .offset:         0
        .size:           88
        .value_kind:     by_value
    .group_segment_fixed_size: 0
    .kernarg_segment_align: 8
    .kernarg_segment_size: 88
    .language:       OpenCL C
    .language_version:
      - 2
      - 0
    .max_flat_workgroup_size: 256
    .name:           _ZN7rocprim17ROCPRIM_400000_NS6detail17trampoline_kernelINS0_14default_configENS1_36segmented_radix_sort_config_selectorIllEEZNS1_25segmented_radix_sort_implIS3_Lb1EPKlPlS8_S9_N2at6native12_GLOBAL__N_18offset_tEEE10hipError_tPvRmT1_PNSt15iterator_traitsISH_E10value_typeET2_T3_PNSI_ISN_E10value_typeET4_jRbjT5_ST_jjP12ihipStream_tbEUlT_E1_NS1_11comp_targetILNS1_3genE0ELNS1_11target_archE4294967295ELNS1_3gpuE0ELNS1_3repE0EEENS1_59segmented_radix_sort_warp_sort_small_config_static_selectorELNS0_4arch9wavefront6targetE0EEEvSH_
    .private_segment_fixed_size: 0
    .sgpr_count:     0
    .sgpr_spill_count: 0
    .symbol:         _ZN7rocprim17ROCPRIM_400000_NS6detail17trampoline_kernelINS0_14default_configENS1_36segmented_radix_sort_config_selectorIllEEZNS1_25segmented_radix_sort_implIS3_Lb1EPKlPlS8_S9_N2at6native12_GLOBAL__N_18offset_tEEE10hipError_tPvRmT1_PNSt15iterator_traitsISH_E10value_typeET2_T3_PNSI_ISN_E10value_typeET4_jRbjT5_ST_jjP12ihipStream_tbEUlT_E1_NS1_11comp_targetILNS1_3genE0ELNS1_11target_archE4294967295ELNS1_3gpuE0ELNS1_3repE0EEENS1_59segmented_radix_sort_warp_sort_small_config_static_selectorELNS0_4arch9wavefront6targetE0EEEvSH_.kd
    .uniform_work_group_size: 1
    .uses_dynamic_stack: false
    .vgpr_count:     0
    .vgpr_spill_count: 0
    .wavefront_size: 32
    .workgroup_processor_mode: 1
  - .args:
      - .offset:         0
        .size:           88
        .value_kind:     by_value
    .group_segment_fixed_size: 0
    .kernarg_segment_align: 8
    .kernarg_segment_size: 88
    .language:       OpenCL C
    .language_version:
      - 2
      - 0
    .max_flat_workgroup_size: 256
    .name:           _ZN7rocprim17ROCPRIM_400000_NS6detail17trampoline_kernelINS0_14default_configENS1_36segmented_radix_sort_config_selectorIllEEZNS1_25segmented_radix_sort_implIS3_Lb1EPKlPlS8_S9_N2at6native12_GLOBAL__N_18offset_tEEE10hipError_tPvRmT1_PNSt15iterator_traitsISH_E10value_typeET2_T3_PNSI_ISN_E10value_typeET4_jRbjT5_ST_jjP12ihipStream_tbEUlT_E1_NS1_11comp_targetILNS1_3genE5ELNS1_11target_archE942ELNS1_3gpuE9ELNS1_3repE0EEENS1_59segmented_radix_sort_warp_sort_small_config_static_selectorELNS0_4arch9wavefront6targetE0EEEvSH_
    .private_segment_fixed_size: 0
    .sgpr_count:     0
    .sgpr_spill_count: 0
    .symbol:         _ZN7rocprim17ROCPRIM_400000_NS6detail17trampoline_kernelINS0_14default_configENS1_36segmented_radix_sort_config_selectorIllEEZNS1_25segmented_radix_sort_implIS3_Lb1EPKlPlS8_S9_N2at6native12_GLOBAL__N_18offset_tEEE10hipError_tPvRmT1_PNSt15iterator_traitsISH_E10value_typeET2_T3_PNSI_ISN_E10value_typeET4_jRbjT5_ST_jjP12ihipStream_tbEUlT_E1_NS1_11comp_targetILNS1_3genE5ELNS1_11target_archE942ELNS1_3gpuE9ELNS1_3repE0EEENS1_59segmented_radix_sort_warp_sort_small_config_static_selectorELNS0_4arch9wavefront6targetE0EEEvSH_.kd
    .uniform_work_group_size: 1
    .uses_dynamic_stack: false
    .vgpr_count:     0
    .vgpr_spill_count: 0
    .wavefront_size: 32
    .workgroup_processor_mode: 1
  - .args:
      - .offset:         0
        .size:           88
        .value_kind:     by_value
    .group_segment_fixed_size: 0
    .kernarg_segment_align: 8
    .kernarg_segment_size: 88
    .language:       OpenCL C
    .language_version:
      - 2
      - 0
    .max_flat_workgroup_size: 256
    .name:           _ZN7rocprim17ROCPRIM_400000_NS6detail17trampoline_kernelINS0_14default_configENS1_36segmented_radix_sort_config_selectorIllEEZNS1_25segmented_radix_sort_implIS3_Lb1EPKlPlS8_S9_N2at6native12_GLOBAL__N_18offset_tEEE10hipError_tPvRmT1_PNSt15iterator_traitsISH_E10value_typeET2_T3_PNSI_ISN_E10value_typeET4_jRbjT5_ST_jjP12ihipStream_tbEUlT_E1_NS1_11comp_targetILNS1_3genE4ELNS1_11target_archE910ELNS1_3gpuE8ELNS1_3repE0EEENS1_59segmented_radix_sort_warp_sort_small_config_static_selectorELNS0_4arch9wavefront6targetE0EEEvSH_
    .private_segment_fixed_size: 0
    .sgpr_count:     0
    .sgpr_spill_count: 0
    .symbol:         _ZN7rocprim17ROCPRIM_400000_NS6detail17trampoline_kernelINS0_14default_configENS1_36segmented_radix_sort_config_selectorIllEEZNS1_25segmented_radix_sort_implIS3_Lb1EPKlPlS8_S9_N2at6native12_GLOBAL__N_18offset_tEEE10hipError_tPvRmT1_PNSt15iterator_traitsISH_E10value_typeET2_T3_PNSI_ISN_E10value_typeET4_jRbjT5_ST_jjP12ihipStream_tbEUlT_E1_NS1_11comp_targetILNS1_3genE4ELNS1_11target_archE910ELNS1_3gpuE8ELNS1_3repE0EEENS1_59segmented_radix_sort_warp_sort_small_config_static_selectorELNS0_4arch9wavefront6targetE0EEEvSH_.kd
    .uniform_work_group_size: 1
    .uses_dynamic_stack: false
    .vgpr_count:     0
    .vgpr_spill_count: 0
    .wavefront_size: 32
    .workgroup_processor_mode: 1
  - .args:
      - .offset:         0
        .size:           88
        .value_kind:     by_value
    .group_segment_fixed_size: 0
    .kernarg_segment_align: 8
    .kernarg_segment_size: 88
    .language:       OpenCL C
    .language_version:
      - 2
      - 0
    .max_flat_workgroup_size: 256
    .name:           _ZN7rocprim17ROCPRIM_400000_NS6detail17trampoline_kernelINS0_14default_configENS1_36segmented_radix_sort_config_selectorIllEEZNS1_25segmented_radix_sort_implIS3_Lb1EPKlPlS8_S9_N2at6native12_GLOBAL__N_18offset_tEEE10hipError_tPvRmT1_PNSt15iterator_traitsISH_E10value_typeET2_T3_PNSI_ISN_E10value_typeET4_jRbjT5_ST_jjP12ihipStream_tbEUlT_E1_NS1_11comp_targetILNS1_3genE3ELNS1_11target_archE908ELNS1_3gpuE7ELNS1_3repE0EEENS1_59segmented_radix_sort_warp_sort_small_config_static_selectorELNS0_4arch9wavefront6targetE0EEEvSH_
    .private_segment_fixed_size: 0
    .sgpr_count:     0
    .sgpr_spill_count: 0
    .symbol:         _ZN7rocprim17ROCPRIM_400000_NS6detail17trampoline_kernelINS0_14default_configENS1_36segmented_radix_sort_config_selectorIllEEZNS1_25segmented_radix_sort_implIS3_Lb1EPKlPlS8_S9_N2at6native12_GLOBAL__N_18offset_tEEE10hipError_tPvRmT1_PNSt15iterator_traitsISH_E10value_typeET2_T3_PNSI_ISN_E10value_typeET4_jRbjT5_ST_jjP12ihipStream_tbEUlT_E1_NS1_11comp_targetILNS1_3genE3ELNS1_11target_archE908ELNS1_3gpuE7ELNS1_3repE0EEENS1_59segmented_radix_sort_warp_sort_small_config_static_selectorELNS0_4arch9wavefront6targetE0EEEvSH_.kd
    .uniform_work_group_size: 1
    .uses_dynamic_stack: false
    .vgpr_count:     0
    .vgpr_spill_count: 0
    .wavefront_size: 32
    .workgroup_processor_mode: 1
  - .args:
      - .offset:         0
        .size:           88
        .value_kind:     by_value
    .group_segment_fixed_size: 0
    .kernarg_segment_align: 8
    .kernarg_segment_size: 88
    .language:       OpenCL C
    .language_version:
      - 2
      - 0
    .max_flat_workgroup_size: 256
    .name:           _ZN7rocprim17ROCPRIM_400000_NS6detail17trampoline_kernelINS0_14default_configENS1_36segmented_radix_sort_config_selectorIllEEZNS1_25segmented_radix_sort_implIS3_Lb1EPKlPlS8_S9_N2at6native12_GLOBAL__N_18offset_tEEE10hipError_tPvRmT1_PNSt15iterator_traitsISH_E10value_typeET2_T3_PNSI_ISN_E10value_typeET4_jRbjT5_ST_jjP12ihipStream_tbEUlT_E1_NS1_11comp_targetILNS1_3genE2ELNS1_11target_archE906ELNS1_3gpuE6ELNS1_3repE0EEENS1_59segmented_radix_sort_warp_sort_small_config_static_selectorELNS0_4arch9wavefront6targetE0EEEvSH_
    .private_segment_fixed_size: 0
    .sgpr_count:     0
    .sgpr_spill_count: 0
    .symbol:         _ZN7rocprim17ROCPRIM_400000_NS6detail17trampoline_kernelINS0_14default_configENS1_36segmented_radix_sort_config_selectorIllEEZNS1_25segmented_radix_sort_implIS3_Lb1EPKlPlS8_S9_N2at6native12_GLOBAL__N_18offset_tEEE10hipError_tPvRmT1_PNSt15iterator_traitsISH_E10value_typeET2_T3_PNSI_ISN_E10value_typeET4_jRbjT5_ST_jjP12ihipStream_tbEUlT_E1_NS1_11comp_targetILNS1_3genE2ELNS1_11target_archE906ELNS1_3gpuE6ELNS1_3repE0EEENS1_59segmented_radix_sort_warp_sort_small_config_static_selectorELNS0_4arch9wavefront6targetE0EEEvSH_.kd
    .uniform_work_group_size: 1
    .uses_dynamic_stack: false
    .vgpr_count:     0
    .vgpr_spill_count: 0
    .wavefront_size: 32
    .workgroup_processor_mode: 1
  - .args:
      - .offset:         0
        .size:           88
        .value_kind:     by_value
    .group_segment_fixed_size: 0
    .kernarg_segment_align: 8
    .kernarg_segment_size: 88
    .language:       OpenCL C
    .language_version:
      - 2
      - 0
    .max_flat_workgroup_size: 256
    .name:           _ZN7rocprim17ROCPRIM_400000_NS6detail17trampoline_kernelINS0_14default_configENS1_36segmented_radix_sort_config_selectorIllEEZNS1_25segmented_radix_sort_implIS3_Lb1EPKlPlS8_S9_N2at6native12_GLOBAL__N_18offset_tEEE10hipError_tPvRmT1_PNSt15iterator_traitsISH_E10value_typeET2_T3_PNSI_ISN_E10value_typeET4_jRbjT5_ST_jjP12ihipStream_tbEUlT_E1_NS1_11comp_targetILNS1_3genE10ELNS1_11target_archE1201ELNS1_3gpuE5ELNS1_3repE0EEENS1_59segmented_radix_sort_warp_sort_small_config_static_selectorELNS0_4arch9wavefront6targetE0EEEvSH_
    .private_segment_fixed_size: 0
    .sgpr_count:     0
    .sgpr_spill_count: 0
    .symbol:         _ZN7rocprim17ROCPRIM_400000_NS6detail17trampoline_kernelINS0_14default_configENS1_36segmented_radix_sort_config_selectorIllEEZNS1_25segmented_radix_sort_implIS3_Lb1EPKlPlS8_S9_N2at6native12_GLOBAL__N_18offset_tEEE10hipError_tPvRmT1_PNSt15iterator_traitsISH_E10value_typeET2_T3_PNSI_ISN_E10value_typeET4_jRbjT5_ST_jjP12ihipStream_tbEUlT_E1_NS1_11comp_targetILNS1_3genE10ELNS1_11target_archE1201ELNS1_3gpuE5ELNS1_3repE0EEENS1_59segmented_radix_sort_warp_sort_small_config_static_selectorELNS0_4arch9wavefront6targetE0EEEvSH_.kd
    .uniform_work_group_size: 1
    .uses_dynamic_stack: false
    .vgpr_count:     0
    .vgpr_spill_count: 0
    .wavefront_size: 32
    .workgroup_processor_mode: 1
  - .args:
      - .offset:         0
        .size:           88
        .value_kind:     by_value
    .group_segment_fixed_size: 0
    .kernarg_segment_align: 8
    .kernarg_segment_size: 88
    .language:       OpenCL C
    .language_version:
      - 2
      - 0
    .max_flat_workgroup_size: 256
    .name:           _ZN7rocprim17ROCPRIM_400000_NS6detail17trampoline_kernelINS0_14default_configENS1_36segmented_radix_sort_config_selectorIllEEZNS1_25segmented_radix_sort_implIS3_Lb1EPKlPlS8_S9_N2at6native12_GLOBAL__N_18offset_tEEE10hipError_tPvRmT1_PNSt15iterator_traitsISH_E10value_typeET2_T3_PNSI_ISN_E10value_typeET4_jRbjT5_ST_jjP12ihipStream_tbEUlT_E1_NS1_11comp_targetILNS1_3genE10ELNS1_11target_archE1200ELNS1_3gpuE4ELNS1_3repE0EEENS1_59segmented_radix_sort_warp_sort_small_config_static_selectorELNS0_4arch9wavefront6targetE0EEEvSH_
    .private_segment_fixed_size: 0
    .sgpr_count:     0
    .sgpr_spill_count: 0
    .symbol:         _ZN7rocprim17ROCPRIM_400000_NS6detail17trampoline_kernelINS0_14default_configENS1_36segmented_radix_sort_config_selectorIllEEZNS1_25segmented_radix_sort_implIS3_Lb1EPKlPlS8_S9_N2at6native12_GLOBAL__N_18offset_tEEE10hipError_tPvRmT1_PNSt15iterator_traitsISH_E10value_typeET2_T3_PNSI_ISN_E10value_typeET4_jRbjT5_ST_jjP12ihipStream_tbEUlT_E1_NS1_11comp_targetILNS1_3genE10ELNS1_11target_archE1200ELNS1_3gpuE4ELNS1_3repE0EEENS1_59segmented_radix_sort_warp_sort_small_config_static_selectorELNS0_4arch9wavefront6targetE0EEEvSH_.kd
    .uniform_work_group_size: 1
    .uses_dynamic_stack: false
    .vgpr_count:     0
    .vgpr_spill_count: 0
    .wavefront_size: 32
    .workgroup_processor_mode: 1
  - .args:
      - .offset:         0
        .size:           88
        .value_kind:     by_value
      - .offset:         88
        .size:           4
        .value_kind:     hidden_block_count_x
      - .offset:         92
        .size:           4
        .value_kind:     hidden_block_count_y
      - .offset:         96
        .size:           4
        .value_kind:     hidden_block_count_z
      - .offset:         100
        .size:           2
        .value_kind:     hidden_group_size_x
      - .offset:         102
        .size:           2
        .value_kind:     hidden_group_size_y
      - .offset:         104
        .size:           2
        .value_kind:     hidden_group_size_z
      - .offset:         106
        .size:           2
        .value_kind:     hidden_remainder_x
      - .offset:         108
        .size:           2
        .value_kind:     hidden_remainder_y
      - .offset:         110
        .size:           2
        .value_kind:     hidden_remainder_z
      - .offset:         128
        .size:           8
        .value_kind:     hidden_global_offset_x
      - .offset:         136
        .size:           8
        .value_kind:     hidden_global_offset_y
      - .offset:         144
        .size:           8
        .value_kind:     hidden_global_offset_z
      - .offset:         152
        .size:           2
        .value_kind:     hidden_grid_dims
    .group_segment_fixed_size: 16384
    .kernarg_segment_align: 8
    .kernarg_segment_size: 344
    .language:       OpenCL C
    .language_version:
      - 2
      - 0
    .max_flat_workgroup_size: 256
    .name:           _ZN7rocprim17ROCPRIM_400000_NS6detail17trampoline_kernelINS0_14default_configENS1_36segmented_radix_sort_config_selectorIllEEZNS1_25segmented_radix_sort_implIS3_Lb1EPKlPlS8_S9_N2at6native12_GLOBAL__N_18offset_tEEE10hipError_tPvRmT1_PNSt15iterator_traitsISH_E10value_typeET2_T3_PNSI_ISN_E10value_typeET4_jRbjT5_ST_jjP12ihipStream_tbEUlT_E1_NS1_11comp_targetILNS1_3genE9ELNS1_11target_archE1100ELNS1_3gpuE3ELNS1_3repE0EEENS1_59segmented_radix_sort_warp_sort_small_config_static_selectorELNS0_4arch9wavefront6targetE0EEEvSH_
    .private_segment_fixed_size: 0
    .sgpr_count:     35
    .sgpr_spill_count: 0
    .symbol:         _ZN7rocprim17ROCPRIM_400000_NS6detail17trampoline_kernelINS0_14default_configENS1_36segmented_radix_sort_config_selectorIllEEZNS1_25segmented_radix_sort_implIS3_Lb1EPKlPlS8_S9_N2at6native12_GLOBAL__N_18offset_tEEE10hipError_tPvRmT1_PNSt15iterator_traitsISH_E10value_typeET2_T3_PNSI_ISN_E10value_typeET4_jRbjT5_ST_jjP12ihipStream_tbEUlT_E1_NS1_11comp_targetILNS1_3genE9ELNS1_11target_archE1100ELNS1_3gpuE3ELNS1_3repE0EEENS1_59segmented_radix_sort_warp_sort_small_config_static_selectorELNS0_4arch9wavefront6targetE0EEEvSH_.kd
    .uniform_work_group_size: 1
    .uses_dynamic_stack: false
    .vgpr_count:     97
    .vgpr_spill_count: 0
    .wavefront_size: 32
    .workgroup_processor_mode: 1
  - .args:
      - .offset:         0
        .size:           88
        .value_kind:     by_value
    .group_segment_fixed_size: 0
    .kernarg_segment_align: 8
    .kernarg_segment_size: 88
    .language:       OpenCL C
    .language_version:
      - 2
      - 0
    .max_flat_workgroup_size: 256
    .name:           _ZN7rocprim17ROCPRIM_400000_NS6detail17trampoline_kernelINS0_14default_configENS1_36segmented_radix_sort_config_selectorIllEEZNS1_25segmented_radix_sort_implIS3_Lb1EPKlPlS8_S9_N2at6native12_GLOBAL__N_18offset_tEEE10hipError_tPvRmT1_PNSt15iterator_traitsISH_E10value_typeET2_T3_PNSI_ISN_E10value_typeET4_jRbjT5_ST_jjP12ihipStream_tbEUlT_E1_NS1_11comp_targetILNS1_3genE8ELNS1_11target_archE1030ELNS1_3gpuE2ELNS1_3repE0EEENS1_59segmented_radix_sort_warp_sort_small_config_static_selectorELNS0_4arch9wavefront6targetE0EEEvSH_
    .private_segment_fixed_size: 0
    .sgpr_count:     0
    .sgpr_spill_count: 0
    .symbol:         _ZN7rocprim17ROCPRIM_400000_NS6detail17trampoline_kernelINS0_14default_configENS1_36segmented_radix_sort_config_selectorIllEEZNS1_25segmented_radix_sort_implIS3_Lb1EPKlPlS8_S9_N2at6native12_GLOBAL__N_18offset_tEEE10hipError_tPvRmT1_PNSt15iterator_traitsISH_E10value_typeET2_T3_PNSI_ISN_E10value_typeET4_jRbjT5_ST_jjP12ihipStream_tbEUlT_E1_NS1_11comp_targetILNS1_3genE8ELNS1_11target_archE1030ELNS1_3gpuE2ELNS1_3repE0EEENS1_59segmented_radix_sort_warp_sort_small_config_static_selectorELNS0_4arch9wavefront6targetE0EEEvSH_.kd
    .uniform_work_group_size: 1
    .uses_dynamic_stack: false
    .vgpr_count:     0
    .vgpr_spill_count: 0
    .wavefront_size: 32
    .workgroup_processor_mode: 1
  - .args:
      - .offset:         0
        .size:           80
        .value_kind:     by_value
    .group_segment_fixed_size: 0
    .kernarg_segment_align: 8
    .kernarg_segment_size: 80
    .language:       OpenCL C
    .language_version:
      - 2
      - 0
    .max_flat_workgroup_size: 256
    .name:           _ZN7rocprim17ROCPRIM_400000_NS6detail17trampoline_kernelINS0_14default_configENS1_36segmented_radix_sort_config_selectorIllEEZNS1_25segmented_radix_sort_implIS3_Lb1EPKlPlS8_S9_N2at6native12_GLOBAL__N_18offset_tEEE10hipError_tPvRmT1_PNSt15iterator_traitsISH_E10value_typeET2_T3_PNSI_ISN_E10value_typeET4_jRbjT5_ST_jjP12ihipStream_tbEUlT_E2_NS1_11comp_targetILNS1_3genE0ELNS1_11target_archE4294967295ELNS1_3gpuE0ELNS1_3repE0EEENS1_30default_config_static_selectorELNS0_4arch9wavefront6targetE0EEEvSH_
    .private_segment_fixed_size: 0
    .sgpr_count:     0
    .sgpr_spill_count: 0
    .symbol:         _ZN7rocprim17ROCPRIM_400000_NS6detail17trampoline_kernelINS0_14default_configENS1_36segmented_radix_sort_config_selectorIllEEZNS1_25segmented_radix_sort_implIS3_Lb1EPKlPlS8_S9_N2at6native12_GLOBAL__N_18offset_tEEE10hipError_tPvRmT1_PNSt15iterator_traitsISH_E10value_typeET2_T3_PNSI_ISN_E10value_typeET4_jRbjT5_ST_jjP12ihipStream_tbEUlT_E2_NS1_11comp_targetILNS1_3genE0ELNS1_11target_archE4294967295ELNS1_3gpuE0ELNS1_3repE0EEENS1_30default_config_static_selectorELNS0_4arch9wavefront6targetE0EEEvSH_.kd
    .uniform_work_group_size: 1
    .uses_dynamic_stack: false
    .vgpr_count:     0
    .vgpr_spill_count: 0
    .wavefront_size: 32
    .workgroup_processor_mode: 1
  - .args:
      - .offset:         0
        .size:           80
        .value_kind:     by_value
    .group_segment_fixed_size: 0
    .kernarg_segment_align: 8
    .kernarg_segment_size: 80
    .language:       OpenCL C
    .language_version:
      - 2
      - 0
    .max_flat_workgroup_size: 256
    .name:           _ZN7rocprim17ROCPRIM_400000_NS6detail17trampoline_kernelINS0_14default_configENS1_36segmented_radix_sort_config_selectorIllEEZNS1_25segmented_radix_sort_implIS3_Lb1EPKlPlS8_S9_N2at6native12_GLOBAL__N_18offset_tEEE10hipError_tPvRmT1_PNSt15iterator_traitsISH_E10value_typeET2_T3_PNSI_ISN_E10value_typeET4_jRbjT5_ST_jjP12ihipStream_tbEUlT_E2_NS1_11comp_targetILNS1_3genE5ELNS1_11target_archE942ELNS1_3gpuE9ELNS1_3repE0EEENS1_30default_config_static_selectorELNS0_4arch9wavefront6targetE0EEEvSH_
    .private_segment_fixed_size: 0
    .sgpr_count:     0
    .sgpr_spill_count: 0
    .symbol:         _ZN7rocprim17ROCPRIM_400000_NS6detail17trampoline_kernelINS0_14default_configENS1_36segmented_radix_sort_config_selectorIllEEZNS1_25segmented_radix_sort_implIS3_Lb1EPKlPlS8_S9_N2at6native12_GLOBAL__N_18offset_tEEE10hipError_tPvRmT1_PNSt15iterator_traitsISH_E10value_typeET2_T3_PNSI_ISN_E10value_typeET4_jRbjT5_ST_jjP12ihipStream_tbEUlT_E2_NS1_11comp_targetILNS1_3genE5ELNS1_11target_archE942ELNS1_3gpuE9ELNS1_3repE0EEENS1_30default_config_static_selectorELNS0_4arch9wavefront6targetE0EEEvSH_.kd
    .uniform_work_group_size: 1
    .uses_dynamic_stack: false
    .vgpr_count:     0
    .vgpr_spill_count: 0
    .wavefront_size: 32
    .workgroup_processor_mode: 1
  - .args:
      - .offset:         0
        .size:           80
        .value_kind:     by_value
    .group_segment_fixed_size: 0
    .kernarg_segment_align: 8
    .kernarg_segment_size: 80
    .language:       OpenCL C
    .language_version:
      - 2
      - 0
    .max_flat_workgroup_size: 256
    .name:           _ZN7rocprim17ROCPRIM_400000_NS6detail17trampoline_kernelINS0_14default_configENS1_36segmented_radix_sort_config_selectorIllEEZNS1_25segmented_radix_sort_implIS3_Lb1EPKlPlS8_S9_N2at6native12_GLOBAL__N_18offset_tEEE10hipError_tPvRmT1_PNSt15iterator_traitsISH_E10value_typeET2_T3_PNSI_ISN_E10value_typeET4_jRbjT5_ST_jjP12ihipStream_tbEUlT_E2_NS1_11comp_targetILNS1_3genE4ELNS1_11target_archE910ELNS1_3gpuE8ELNS1_3repE0EEENS1_30default_config_static_selectorELNS0_4arch9wavefront6targetE0EEEvSH_
    .private_segment_fixed_size: 0
    .sgpr_count:     0
    .sgpr_spill_count: 0
    .symbol:         _ZN7rocprim17ROCPRIM_400000_NS6detail17trampoline_kernelINS0_14default_configENS1_36segmented_radix_sort_config_selectorIllEEZNS1_25segmented_radix_sort_implIS3_Lb1EPKlPlS8_S9_N2at6native12_GLOBAL__N_18offset_tEEE10hipError_tPvRmT1_PNSt15iterator_traitsISH_E10value_typeET2_T3_PNSI_ISN_E10value_typeET4_jRbjT5_ST_jjP12ihipStream_tbEUlT_E2_NS1_11comp_targetILNS1_3genE4ELNS1_11target_archE910ELNS1_3gpuE8ELNS1_3repE0EEENS1_30default_config_static_selectorELNS0_4arch9wavefront6targetE0EEEvSH_.kd
    .uniform_work_group_size: 1
    .uses_dynamic_stack: false
    .vgpr_count:     0
    .vgpr_spill_count: 0
    .wavefront_size: 32
    .workgroup_processor_mode: 1
  - .args:
      - .offset:         0
        .size:           80
        .value_kind:     by_value
    .group_segment_fixed_size: 0
    .kernarg_segment_align: 8
    .kernarg_segment_size: 80
    .language:       OpenCL C
    .language_version:
      - 2
      - 0
    .max_flat_workgroup_size: 256
    .name:           _ZN7rocprim17ROCPRIM_400000_NS6detail17trampoline_kernelINS0_14default_configENS1_36segmented_radix_sort_config_selectorIllEEZNS1_25segmented_radix_sort_implIS3_Lb1EPKlPlS8_S9_N2at6native12_GLOBAL__N_18offset_tEEE10hipError_tPvRmT1_PNSt15iterator_traitsISH_E10value_typeET2_T3_PNSI_ISN_E10value_typeET4_jRbjT5_ST_jjP12ihipStream_tbEUlT_E2_NS1_11comp_targetILNS1_3genE3ELNS1_11target_archE908ELNS1_3gpuE7ELNS1_3repE0EEENS1_30default_config_static_selectorELNS0_4arch9wavefront6targetE0EEEvSH_
    .private_segment_fixed_size: 0
    .sgpr_count:     0
    .sgpr_spill_count: 0
    .symbol:         _ZN7rocprim17ROCPRIM_400000_NS6detail17trampoline_kernelINS0_14default_configENS1_36segmented_radix_sort_config_selectorIllEEZNS1_25segmented_radix_sort_implIS3_Lb1EPKlPlS8_S9_N2at6native12_GLOBAL__N_18offset_tEEE10hipError_tPvRmT1_PNSt15iterator_traitsISH_E10value_typeET2_T3_PNSI_ISN_E10value_typeET4_jRbjT5_ST_jjP12ihipStream_tbEUlT_E2_NS1_11comp_targetILNS1_3genE3ELNS1_11target_archE908ELNS1_3gpuE7ELNS1_3repE0EEENS1_30default_config_static_selectorELNS0_4arch9wavefront6targetE0EEEvSH_.kd
    .uniform_work_group_size: 1
    .uses_dynamic_stack: false
    .vgpr_count:     0
    .vgpr_spill_count: 0
    .wavefront_size: 32
    .workgroup_processor_mode: 1
  - .args:
      - .offset:         0
        .size:           80
        .value_kind:     by_value
    .group_segment_fixed_size: 0
    .kernarg_segment_align: 8
    .kernarg_segment_size: 80
    .language:       OpenCL C
    .language_version:
      - 2
      - 0
    .max_flat_workgroup_size: 256
    .name:           _ZN7rocprim17ROCPRIM_400000_NS6detail17trampoline_kernelINS0_14default_configENS1_36segmented_radix_sort_config_selectorIllEEZNS1_25segmented_radix_sort_implIS3_Lb1EPKlPlS8_S9_N2at6native12_GLOBAL__N_18offset_tEEE10hipError_tPvRmT1_PNSt15iterator_traitsISH_E10value_typeET2_T3_PNSI_ISN_E10value_typeET4_jRbjT5_ST_jjP12ihipStream_tbEUlT_E2_NS1_11comp_targetILNS1_3genE2ELNS1_11target_archE906ELNS1_3gpuE6ELNS1_3repE0EEENS1_30default_config_static_selectorELNS0_4arch9wavefront6targetE0EEEvSH_
    .private_segment_fixed_size: 0
    .sgpr_count:     0
    .sgpr_spill_count: 0
    .symbol:         _ZN7rocprim17ROCPRIM_400000_NS6detail17trampoline_kernelINS0_14default_configENS1_36segmented_radix_sort_config_selectorIllEEZNS1_25segmented_radix_sort_implIS3_Lb1EPKlPlS8_S9_N2at6native12_GLOBAL__N_18offset_tEEE10hipError_tPvRmT1_PNSt15iterator_traitsISH_E10value_typeET2_T3_PNSI_ISN_E10value_typeET4_jRbjT5_ST_jjP12ihipStream_tbEUlT_E2_NS1_11comp_targetILNS1_3genE2ELNS1_11target_archE906ELNS1_3gpuE6ELNS1_3repE0EEENS1_30default_config_static_selectorELNS0_4arch9wavefront6targetE0EEEvSH_.kd
    .uniform_work_group_size: 1
    .uses_dynamic_stack: false
    .vgpr_count:     0
    .vgpr_spill_count: 0
    .wavefront_size: 32
    .workgroup_processor_mode: 1
  - .args:
      - .offset:         0
        .size:           80
        .value_kind:     by_value
    .group_segment_fixed_size: 0
    .kernarg_segment_align: 8
    .kernarg_segment_size: 80
    .language:       OpenCL C
    .language_version:
      - 2
      - 0
    .max_flat_workgroup_size: 256
    .name:           _ZN7rocprim17ROCPRIM_400000_NS6detail17trampoline_kernelINS0_14default_configENS1_36segmented_radix_sort_config_selectorIllEEZNS1_25segmented_radix_sort_implIS3_Lb1EPKlPlS8_S9_N2at6native12_GLOBAL__N_18offset_tEEE10hipError_tPvRmT1_PNSt15iterator_traitsISH_E10value_typeET2_T3_PNSI_ISN_E10value_typeET4_jRbjT5_ST_jjP12ihipStream_tbEUlT_E2_NS1_11comp_targetILNS1_3genE10ELNS1_11target_archE1201ELNS1_3gpuE5ELNS1_3repE0EEENS1_30default_config_static_selectorELNS0_4arch9wavefront6targetE0EEEvSH_
    .private_segment_fixed_size: 0
    .sgpr_count:     0
    .sgpr_spill_count: 0
    .symbol:         _ZN7rocprim17ROCPRIM_400000_NS6detail17trampoline_kernelINS0_14default_configENS1_36segmented_radix_sort_config_selectorIllEEZNS1_25segmented_radix_sort_implIS3_Lb1EPKlPlS8_S9_N2at6native12_GLOBAL__N_18offset_tEEE10hipError_tPvRmT1_PNSt15iterator_traitsISH_E10value_typeET2_T3_PNSI_ISN_E10value_typeET4_jRbjT5_ST_jjP12ihipStream_tbEUlT_E2_NS1_11comp_targetILNS1_3genE10ELNS1_11target_archE1201ELNS1_3gpuE5ELNS1_3repE0EEENS1_30default_config_static_selectorELNS0_4arch9wavefront6targetE0EEEvSH_.kd
    .uniform_work_group_size: 1
    .uses_dynamic_stack: false
    .vgpr_count:     0
    .vgpr_spill_count: 0
    .wavefront_size: 32
    .workgroup_processor_mode: 1
  - .args:
      - .offset:         0
        .size:           80
        .value_kind:     by_value
    .group_segment_fixed_size: 0
    .kernarg_segment_align: 8
    .kernarg_segment_size: 80
    .language:       OpenCL C
    .language_version:
      - 2
      - 0
    .max_flat_workgroup_size: 128
    .name:           _ZN7rocprim17ROCPRIM_400000_NS6detail17trampoline_kernelINS0_14default_configENS1_36segmented_radix_sort_config_selectorIllEEZNS1_25segmented_radix_sort_implIS3_Lb1EPKlPlS8_S9_N2at6native12_GLOBAL__N_18offset_tEEE10hipError_tPvRmT1_PNSt15iterator_traitsISH_E10value_typeET2_T3_PNSI_ISN_E10value_typeET4_jRbjT5_ST_jjP12ihipStream_tbEUlT_E2_NS1_11comp_targetILNS1_3genE10ELNS1_11target_archE1200ELNS1_3gpuE4ELNS1_3repE0EEENS1_30default_config_static_selectorELNS0_4arch9wavefront6targetE0EEEvSH_
    .private_segment_fixed_size: 0
    .sgpr_count:     0
    .sgpr_spill_count: 0
    .symbol:         _ZN7rocprim17ROCPRIM_400000_NS6detail17trampoline_kernelINS0_14default_configENS1_36segmented_radix_sort_config_selectorIllEEZNS1_25segmented_radix_sort_implIS3_Lb1EPKlPlS8_S9_N2at6native12_GLOBAL__N_18offset_tEEE10hipError_tPvRmT1_PNSt15iterator_traitsISH_E10value_typeET2_T3_PNSI_ISN_E10value_typeET4_jRbjT5_ST_jjP12ihipStream_tbEUlT_E2_NS1_11comp_targetILNS1_3genE10ELNS1_11target_archE1200ELNS1_3gpuE4ELNS1_3repE0EEENS1_30default_config_static_selectorELNS0_4arch9wavefront6targetE0EEEvSH_.kd
    .uniform_work_group_size: 1
    .uses_dynamic_stack: false
    .vgpr_count:     0
    .vgpr_spill_count: 0
    .wavefront_size: 32
    .workgroup_processor_mode: 1
  - .args:
      - .offset:         0
        .size:           80
        .value_kind:     by_value
      - .offset:         80
        .size:           4
        .value_kind:     hidden_block_count_x
      - .offset:         84
        .size:           4
        .value_kind:     hidden_block_count_y
      - .offset:         88
        .size:           4
        .value_kind:     hidden_block_count_z
      - .offset:         92
        .size:           2
        .value_kind:     hidden_group_size_x
      - .offset:         94
        .size:           2
        .value_kind:     hidden_group_size_y
      - .offset:         96
        .size:           2
        .value_kind:     hidden_group_size_z
      - .offset:         98
        .size:           2
        .value_kind:     hidden_remainder_x
      - .offset:         100
        .size:           2
        .value_kind:     hidden_remainder_y
      - .offset:         102
        .size:           2
        .value_kind:     hidden_remainder_z
      - .offset:         120
        .size:           8
        .value_kind:     hidden_global_offset_x
      - .offset:         128
        .size:           8
        .value_kind:     hidden_global_offset_y
      - .offset:         136
        .size:           8
        .value_kind:     hidden_global_offset_z
      - .offset:         144
        .size:           2
        .value_kind:     hidden_grid_dims
    .group_segment_fixed_size: 33824
    .kernarg_segment_align: 8
    .kernarg_segment_size: 336
    .language:       OpenCL C
    .language_version:
      - 2
      - 0
    .max_flat_workgroup_size: 256
    .name:           _ZN7rocprim17ROCPRIM_400000_NS6detail17trampoline_kernelINS0_14default_configENS1_36segmented_radix_sort_config_selectorIllEEZNS1_25segmented_radix_sort_implIS3_Lb1EPKlPlS8_S9_N2at6native12_GLOBAL__N_18offset_tEEE10hipError_tPvRmT1_PNSt15iterator_traitsISH_E10value_typeET2_T3_PNSI_ISN_E10value_typeET4_jRbjT5_ST_jjP12ihipStream_tbEUlT_E2_NS1_11comp_targetILNS1_3genE9ELNS1_11target_archE1100ELNS1_3gpuE3ELNS1_3repE0EEENS1_30default_config_static_selectorELNS0_4arch9wavefront6targetE0EEEvSH_
    .private_segment_fixed_size: 200
    .sgpr_count:     65
    .sgpr_spill_count: 0
    .symbol:         _ZN7rocprim17ROCPRIM_400000_NS6detail17trampoline_kernelINS0_14default_configENS1_36segmented_radix_sort_config_selectorIllEEZNS1_25segmented_radix_sort_implIS3_Lb1EPKlPlS8_S9_N2at6native12_GLOBAL__N_18offset_tEEE10hipError_tPvRmT1_PNSt15iterator_traitsISH_E10value_typeET2_T3_PNSI_ISN_E10value_typeET4_jRbjT5_ST_jjP12ihipStream_tbEUlT_E2_NS1_11comp_targetILNS1_3genE9ELNS1_11target_archE1100ELNS1_3gpuE3ELNS1_3repE0EEENS1_30default_config_static_selectorELNS0_4arch9wavefront6targetE0EEEvSH_.kd
    .uniform_work_group_size: 1
    .uses_dynamic_stack: false
    .vgpr_count:     248
    .vgpr_spill_count: 0
    .wavefront_size: 32
    .workgroup_processor_mode: 1
  - .args:
      - .offset:         0
        .size:           80
        .value_kind:     by_value
    .group_segment_fixed_size: 0
    .kernarg_segment_align: 8
    .kernarg_segment_size: 80
    .language:       OpenCL C
    .language_version:
      - 2
      - 0
    .max_flat_workgroup_size: 256
    .name:           _ZN7rocprim17ROCPRIM_400000_NS6detail17trampoline_kernelINS0_14default_configENS1_36segmented_radix_sort_config_selectorIllEEZNS1_25segmented_radix_sort_implIS3_Lb1EPKlPlS8_S9_N2at6native12_GLOBAL__N_18offset_tEEE10hipError_tPvRmT1_PNSt15iterator_traitsISH_E10value_typeET2_T3_PNSI_ISN_E10value_typeET4_jRbjT5_ST_jjP12ihipStream_tbEUlT_E2_NS1_11comp_targetILNS1_3genE8ELNS1_11target_archE1030ELNS1_3gpuE2ELNS1_3repE0EEENS1_30default_config_static_selectorELNS0_4arch9wavefront6targetE0EEEvSH_
    .private_segment_fixed_size: 0
    .sgpr_count:     0
    .sgpr_spill_count: 0
    .symbol:         _ZN7rocprim17ROCPRIM_400000_NS6detail17trampoline_kernelINS0_14default_configENS1_36segmented_radix_sort_config_selectorIllEEZNS1_25segmented_radix_sort_implIS3_Lb1EPKlPlS8_S9_N2at6native12_GLOBAL__N_18offset_tEEE10hipError_tPvRmT1_PNSt15iterator_traitsISH_E10value_typeET2_T3_PNSI_ISN_E10value_typeET4_jRbjT5_ST_jjP12ihipStream_tbEUlT_E2_NS1_11comp_targetILNS1_3genE8ELNS1_11target_archE1030ELNS1_3gpuE2ELNS1_3repE0EEENS1_30default_config_static_selectorELNS0_4arch9wavefront6targetE0EEEvSH_.kd
    .uniform_work_group_size: 1
    .uses_dynamic_stack: false
    .vgpr_count:     0
    .vgpr_spill_count: 0
    .wavefront_size: 32
    .workgroup_processor_mode: 1
  - .args:
      - .offset:         0
        .size:           176
        .value_kind:     by_value
    .group_segment_fixed_size: 0
    .kernarg_segment_align: 8
    .kernarg_segment_size: 176
    .language:       OpenCL C
    .language_version:
      - 2
      - 0
    .max_flat_workgroup_size: 256
    .name:           _ZN7rocprim17ROCPRIM_400000_NS6detail17trampoline_kernelINS0_13select_configILj256ELj13ELNS0_17block_load_methodE3ELS4_3ELS4_3ELNS0_20block_scan_algorithmE0ELj4294967295EEENS1_25partition_config_selectorILNS1_17partition_subalgoE4EjNS0_10empty_typeEbEEZZNS1_14partition_implILS8_4ELb0ES6_15HIP_vector_typeIjLj2EENS0_17counting_iteratorIjlEEPS9_SG_NS0_5tupleIJPjSI_NS0_16reverse_iteratorISI_EEEEENSH_IJSG_SG_SG_EEES9_SI_JZNS1_25segmented_radix_sort_implINS0_14default_configELb0EPKlPlSQ_SR_N2at6native12_GLOBAL__N_18offset_tEEE10hipError_tPvRmT1_PNSt15iterator_traitsISZ_E10value_typeET2_T3_PNS10_IS15_E10value_typeET4_jRbjT5_S1B_jjP12ihipStream_tbEUljE_ZNSN_ISO_Lb0ESQ_SR_SQ_SR_SV_EESW_SX_SY_SZ_S13_S14_S15_S18_S19_jS1A_jS1B_S1B_jjS1D_bEUljE0_EEESW_SX_SY_S15_S19_S1B_T6_T7_T9_mT8_S1D_bDpT10_ENKUlT_T0_E_clISt17integral_constantIbLb0EES1R_EEDaS1M_S1N_EUlS1M_E_NS1_11comp_targetILNS1_3genE0ELNS1_11target_archE4294967295ELNS1_3gpuE0ELNS1_3repE0EEENS1_30default_config_static_selectorELNS0_4arch9wavefront6targetE0EEEvSZ_
    .private_segment_fixed_size: 0
    .sgpr_count:     0
    .sgpr_spill_count: 0
    .symbol:         _ZN7rocprim17ROCPRIM_400000_NS6detail17trampoline_kernelINS0_13select_configILj256ELj13ELNS0_17block_load_methodE3ELS4_3ELS4_3ELNS0_20block_scan_algorithmE0ELj4294967295EEENS1_25partition_config_selectorILNS1_17partition_subalgoE4EjNS0_10empty_typeEbEEZZNS1_14partition_implILS8_4ELb0ES6_15HIP_vector_typeIjLj2EENS0_17counting_iteratorIjlEEPS9_SG_NS0_5tupleIJPjSI_NS0_16reverse_iteratorISI_EEEEENSH_IJSG_SG_SG_EEES9_SI_JZNS1_25segmented_radix_sort_implINS0_14default_configELb0EPKlPlSQ_SR_N2at6native12_GLOBAL__N_18offset_tEEE10hipError_tPvRmT1_PNSt15iterator_traitsISZ_E10value_typeET2_T3_PNS10_IS15_E10value_typeET4_jRbjT5_S1B_jjP12ihipStream_tbEUljE_ZNSN_ISO_Lb0ESQ_SR_SQ_SR_SV_EESW_SX_SY_SZ_S13_S14_S15_S18_S19_jS1A_jS1B_S1B_jjS1D_bEUljE0_EEESW_SX_SY_S15_S19_S1B_T6_T7_T9_mT8_S1D_bDpT10_ENKUlT_T0_E_clISt17integral_constantIbLb0EES1R_EEDaS1M_S1N_EUlS1M_E_NS1_11comp_targetILNS1_3genE0ELNS1_11target_archE4294967295ELNS1_3gpuE0ELNS1_3repE0EEENS1_30default_config_static_selectorELNS0_4arch9wavefront6targetE0EEEvSZ_.kd
    .uniform_work_group_size: 1
    .uses_dynamic_stack: false
    .vgpr_count:     0
    .vgpr_spill_count: 0
    .wavefront_size: 32
    .workgroup_processor_mode: 1
  - .args:
      - .offset:         0
        .size:           176
        .value_kind:     by_value
    .group_segment_fixed_size: 0
    .kernarg_segment_align: 8
    .kernarg_segment_size: 176
    .language:       OpenCL C
    .language_version:
      - 2
      - 0
    .max_flat_workgroup_size: 256
    .name:           _ZN7rocprim17ROCPRIM_400000_NS6detail17trampoline_kernelINS0_13select_configILj256ELj13ELNS0_17block_load_methodE3ELS4_3ELS4_3ELNS0_20block_scan_algorithmE0ELj4294967295EEENS1_25partition_config_selectorILNS1_17partition_subalgoE4EjNS0_10empty_typeEbEEZZNS1_14partition_implILS8_4ELb0ES6_15HIP_vector_typeIjLj2EENS0_17counting_iteratorIjlEEPS9_SG_NS0_5tupleIJPjSI_NS0_16reverse_iteratorISI_EEEEENSH_IJSG_SG_SG_EEES9_SI_JZNS1_25segmented_radix_sort_implINS0_14default_configELb0EPKlPlSQ_SR_N2at6native12_GLOBAL__N_18offset_tEEE10hipError_tPvRmT1_PNSt15iterator_traitsISZ_E10value_typeET2_T3_PNS10_IS15_E10value_typeET4_jRbjT5_S1B_jjP12ihipStream_tbEUljE_ZNSN_ISO_Lb0ESQ_SR_SQ_SR_SV_EESW_SX_SY_SZ_S13_S14_S15_S18_S19_jS1A_jS1B_S1B_jjS1D_bEUljE0_EEESW_SX_SY_S15_S19_S1B_T6_T7_T9_mT8_S1D_bDpT10_ENKUlT_T0_E_clISt17integral_constantIbLb0EES1R_EEDaS1M_S1N_EUlS1M_E_NS1_11comp_targetILNS1_3genE5ELNS1_11target_archE942ELNS1_3gpuE9ELNS1_3repE0EEENS1_30default_config_static_selectorELNS0_4arch9wavefront6targetE0EEEvSZ_
    .private_segment_fixed_size: 0
    .sgpr_count:     0
    .sgpr_spill_count: 0
    .symbol:         _ZN7rocprim17ROCPRIM_400000_NS6detail17trampoline_kernelINS0_13select_configILj256ELj13ELNS0_17block_load_methodE3ELS4_3ELS4_3ELNS0_20block_scan_algorithmE0ELj4294967295EEENS1_25partition_config_selectorILNS1_17partition_subalgoE4EjNS0_10empty_typeEbEEZZNS1_14partition_implILS8_4ELb0ES6_15HIP_vector_typeIjLj2EENS0_17counting_iteratorIjlEEPS9_SG_NS0_5tupleIJPjSI_NS0_16reverse_iteratorISI_EEEEENSH_IJSG_SG_SG_EEES9_SI_JZNS1_25segmented_radix_sort_implINS0_14default_configELb0EPKlPlSQ_SR_N2at6native12_GLOBAL__N_18offset_tEEE10hipError_tPvRmT1_PNSt15iterator_traitsISZ_E10value_typeET2_T3_PNS10_IS15_E10value_typeET4_jRbjT5_S1B_jjP12ihipStream_tbEUljE_ZNSN_ISO_Lb0ESQ_SR_SQ_SR_SV_EESW_SX_SY_SZ_S13_S14_S15_S18_S19_jS1A_jS1B_S1B_jjS1D_bEUljE0_EEESW_SX_SY_S15_S19_S1B_T6_T7_T9_mT8_S1D_bDpT10_ENKUlT_T0_E_clISt17integral_constantIbLb0EES1R_EEDaS1M_S1N_EUlS1M_E_NS1_11comp_targetILNS1_3genE5ELNS1_11target_archE942ELNS1_3gpuE9ELNS1_3repE0EEENS1_30default_config_static_selectorELNS0_4arch9wavefront6targetE0EEEvSZ_.kd
    .uniform_work_group_size: 1
    .uses_dynamic_stack: false
    .vgpr_count:     0
    .vgpr_spill_count: 0
    .wavefront_size: 32
    .workgroup_processor_mode: 1
  - .args:
      - .offset:         0
        .size:           176
        .value_kind:     by_value
    .group_segment_fixed_size: 0
    .kernarg_segment_align: 8
    .kernarg_segment_size: 176
    .language:       OpenCL C
    .language_version:
      - 2
      - 0
    .max_flat_workgroup_size: 256
    .name:           _ZN7rocprim17ROCPRIM_400000_NS6detail17trampoline_kernelINS0_13select_configILj256ELj13ELNS0_17block_load_methodE3ELS4_3ELS4_3ELNS0_20block_scan_algorithmE0ELj4294967295EEENS1_25partition_config_selectorILNS1_17partition_subalgoE4EjNS0_10empty_typeEbEEZZNS1_14partition_implILS8_4ELb0ES6_15HIP_vector_typeIjLj2EENS0_17counting_iteratorIjlEEPS9_SG_NS0_5tupleIJPjSI_NS0_16reverse_iteratorISI_EEEEENSH_IJSG_SG_SG_EEES9_SI_JZNS1_25segmented_radix_sort_implINS0_14default_configELb0EPKlPlSQ_SR_N2at6native12_GLOBAL__N_18offset_tEEE10hipError_tPvRmT1_PNSt15iterator_traitsISZ_E10value_typeET2_T3_PNS10_IS15_E10value_typeET4_jRbjT5_S1B_jjP12ihipStream_tbEUljE_ZNSN_ISO_Lb0ESQ_SR_SQ_SR_SV_EESW_SX_SY_SZ_S13_S14_S15_S18_S19_jS1A_jS1B_S1B_jjS1D_bEUljE0_EEESW_SX_SY_S15_S19_S1B_T6_T7_T9_mT8_S1D_bDpT10_ENKUlT_T0_E_clISt17integral_constantIbLb0EES1R_EEDaS1M_S1N_EUlS1M_E_NS1_11comp_targetILNS1_3genE4ELNS1_11target_archE910ELNS1_3gpuE8ELNS1_3repE0EEENS1_30default_config_static_selectorELNS0_4arch9wavefront6targetE0EEEvSZ_
    .private_segment_fixed_size: 0
    .sgpr_count:     0
    .sgpr_spill_count: 0
    .symbol:         _ZN7rocprim17ROCPRIM_400000_NS6detail17trampoline_kernelINS0_13select_configILj256ELj13ELNS0_17block_load_methodE3ELS4_3ELS4_3ELNS0_20block_scan_algorithmE0ELj4294967295EEENS1_25partition_config_selectorILNS1_17partition_subalgoE4EjNS0_10empty_typeEbEEZZNS1_14partition_implILS8_4ELb0ES6_15HIP_vector_typeIjLj2EENS0_17counting_iteratorIjlEEPS9_SG_NS0_5tupleIJPjSI_NS0_16reverse_iteratorISI_EEEEENSH_IJSG_SG_SG_EEES9_SI_JZNS1_25segmented_radix_sort_implINS0_14default_configELb0EPKlPlSQ_SR_N2at6native12_GLOBAL__N_18offset_tEEE10hipError_tPvRmT1_PNSt15iterator_traitsISZ_E10value_typeET2_T3_PNS10_IS15_E10value_typeET4_jRbjT5_S1B_jjP12ihipStream_tbEUljE_ZNSN_ISO_Lb0ESQ_SR_SQ_SR_SV_EESW_SX_SY_SZ_S13_S14_S15_S18_S19_jS1A_jS1B_S1B_jjS1D_bEUljE0_EEESW_SX_SY_S15_S19_S1B_T6_T7_T9_mT8_S1D_bDpT10_ENKUlT_T0_E_clISt17integral_constantIbLb0EES1R_EEDaS1M_S1N_EUlS1M_E_NS1_11comp_targetILNS1_3genE4ELNS1_11target_archE910ELNS1_3gpuE8ELNS1_3repE0EEENS1_30default_config_static_selectorELNS0_4arch9wavefront6targetE0EEEvSZ_.kd
    .uniform_work_group_size: 1
    .uses_dynamic_stack: false
    .vgpr_count:     0
    .vgpr_spill_count: 0
    .wavefront_size: 32
    .workgroup_processor_mode: 1
  - .args:
      - .offset:         0
        .size:           176
        .value_kind:     by_value
    .group_segment_fixed_size: 0
    .kernarg_segment_align: 8
    .kernarg_segment_size: 176
    .language:       OpenCL C
    .language_version:
      - 2
      - 0
    .max_flat_workgroup_size: 256
    .name:           _ZN7rocprim17ROCPRIM_400000_NS6detail17trampoline_kernelINS0_13select_configILj256ELj13ELNS0_17block_load_methodE3ELS4_3ELS4_3ELNS0_20block_scan_algorithmE0ELj4294967295EEENS1_25partition_config_selectorILNS1_17partition_subalgoE4EjNS0_10empty_typeEbEEZZNS1_14partition_implILS8_4ELb0ES6_15HIP_vector_typeIjLj2EENS0_17counting_iteratorIjlEEPS9_SG_NS0_5tupleIJPjSI_NS0_16reverse_iteratorISI_EEEEENSH_IJSG_SG_SG_EEES9_SI_JZNS1_25segmented_radix_sort_implINS0_14default_configELb0EPKlPlSQ_SR_N2at6native12_GLOBAL__N_18offset_tEEE10hipError_tPvRmT1_PNSt15iterator_traitsISZ_E10value_typeET2_T3_PNS10_IS15_E10value_typeET4_jRbjT5_S1B_jjP12ihipStream_tbEUljE_ZNSN_ISO_Lb0ESQ_SR_SQ_SR_SV_EESW_SX_SY_SZ_S13_S14_S15_S18_S19_jS1A_jS1B_S1B_jjS1D_bEUljE0_EEESW_SX_SY_S15_S19_S1B_T6_T7_T9_mT8_S1D_bDpT10_ENKUlT_T0_E_clISt17integral_constantIbLb0EES1R_EEDaS1M_S1N_EUlS1M_E_NS1_11comp_targetILNS1_3genE3ELNS1_11target_archE908ELNS1_3gpuE7ELNS1_3repE0EEENS1_30default_config_static_selectorELNS0_4arch9wavefront6targetE0EEEvSZ_
    .private_segment_fixed_size: 0
    .sgpr_count:     0
    .sgpr_spill_count: 0
    .symbol:         _ZN7rocprim17ROCPRIM_400000_NS6detail17trampoline_kernelINS0_13select_configILj256ELj13ELNS0_17block_load_methodE3ELS4_3ELS4_3ELNS0_20block_scan_algorithmE0ELj4294967295EEENS1_25partition_config_selectorILNS1_17partition_subalgoE4EjNS0_10empty_typeEbEEZZNS1_14partition_implILS8_4ELb0ES6_15HIP_vector_typeIjLj2EENS0_17counting_iteratorIjlEEPS9_SG_NS0_5tupleIJPjSI_NS0_16reverse_iteratorISI_EEEEENSH_IJSG_SG_SG_EEES9_SI_JZNS1_25segmented_radix_sort_implINS0_14default_configELb0EPKlPlSQ_SR_N2at6native12_GLOBAL__N_18offset_tEEE10hipError_tPvRmT1_PNSt15iterator_traitsISZ_E10value_typeET2_T3_PNS10_IS15_E10value_typeET4_jRbjT5_S1B_jjP12ihipStream_tbEUljE_ZNSN_ISO_Lb0ESQ_SR_SQ_SR_SV_EESW_SX_SY_SZ_S13_S14_S15_S18_S19_jS1A_jS1B_S1B_jjS1D_bEUljE0_EEESW_SX_SY_S15_S19_S1B_T6_T7_T9_mT8_S1D_bDpT10_ENKUlT_T0_E_clISt17integral_constantIbLb0EES1R_EEDaS1M_S1N_EUlS1M_E_NS1_11comp_targetILNS1_3genE3ELNS1_11target_archE908ELNS1_3gpuE7ELNS1_3repE0EEENS1_30default_config_static_selectorELNS0_4arch9wavefront6targetE0EEEvSZ_.kd
    .uniform_work_group_size: 1
    .uses_dynamic_stack: false
    .vgpr_count:     0
    .vgpr_spill_count: 0
    .wavefront_size: 32
    .workgroup_processor_mode: 1
  - .args:
      - .offset:         0
        .size:           176
        .value_kind:     by_value
    .group_segment_fixed_size: 0
    .kernarg_segment_align: 8
    .kernarg_segment_size: 176
    .language:       OpenCL C
    .language_version:
      - 2
      - 0
    .max_flat_workgroup_size: 256
    .name:           _ZN7rocprim17ROCPRIM_400000_NS6detail17trampoline_kernelINS0_13select_configILj256ELj13ELNS0_17block_load_methodE3ELS4_3ELS4_3ELNS0_20block_scan_algorithmE0ELj4294967295EEENS1_25partition_config_selectorILNS1_17partition_subalgoE4EjNS0_10empty_typeEbEEZZNS1_14partition_implILS8_4ELb0ES6_15HIP_vector_typeIjLj2EENS0_17counting_iteratorIjlEEPS9_SG_NS0_5tupleIJPjSI_NS0_16reverse_iteratorISI_EEEEENSH_IJSG_SG_SG_EEES9_SI_JZNS1_25segmented_radix_sort_implINS0_14default_configELb0EPKlPlSQ_SR_N2at6native12_GLOBAL__N_18offset_tEEE10hipError_tPvRmT1_PNSt15iterator_traitsISZ_E10value_typeET2_T3_PNS10_IS15_E10value_typeET4_jRbjT5_S1B_jjP12ihipStream_tbEUljE_ZNSN_ISO_Lb0ESQ_SR_SQ_SR_SV_EESW_SX_SY_SZ_S13_S14_S15_S18_S19_jS1A_jS1B_S1B_jjS1D_bEUljE0_EEESW_SX_SY_S15_S19_S1B_T6_T7_T9_mT8_S1D_bDpT10_ENKUlT_T0_E_clISt17integral_constantIbLb0EES1R_EEDaS1M_S1N_EUlS1M_E_NS1_11comp_targetILNS1_3genE2ELNS1_11target_archE906ELNS1_3gpuE6ELNS1_3repE0EEENS1_30default_config_static_selectorELNS0_4arch9wavefront6targetE0EEEvSZ_
    .private_segment_fixed_size: 0
    .sgpr_count:     0
    .sgpr_spill_count: 0
    .symbol:         _ZN7rocprim17ROCPRIM_400000_NS6detail17trampoline_kernelINS0_13select_configILj256ELj13ELNS0_17block_load_methodE3ELS4_3ELS4_3ELNS0_20block_scan_algorithmE0ELj4294967295EEENS1_25partition_config_selectorILNS1_17partition_subalgoE4EjNS0_10empty_typeEbEEZZNS1_14partition_implILS8_4ELb0ES6_15HIP_vector_typeIjLj2EENS0_17counting_iteratorIjlEEPS9_SG_NS0_5tupleIJPjSI_NS0_16reverse_iteratorISI_EEEEENSH_IJSG_SG_SG_EEES9_SI_JZNS1_25segmented_radix_sort_implINS0_14default_configELb0EPKlPlSQ_SR_N2at6native12_GLOBAL__N_18offset_tEEE10hipError_tPvRmT1_PNSt15iterator_traitsISZ_E10value_typeET2_T3_PNS10_IS15_E10value_typeET4_jRbjT5_S1B_jjP12ihipStream_tbEUljE_ZNSN_ISO_Lb0ESQ_SR_SQ_SR_SV_EESW_SX_SY_SZ_S13_S14_S15_S18_S19_jS1A_jS1B_S1B_jjS1D_bEUljE0_EEESW_SX_SY_S15_S19_S1B_T6_T7_T9_mT8_S1D_bDpT10_ENKUlT_T0_E_clISt17integral_constantIbLb0EES1R_EEDaS1M_S1N_EUlS1M_E_NS1_11comp_targetILNS1_3genE2ELNS1_11target_archE906ELNS1_3gpuE6ELNS1_3repE0EEENS1_30default_config_static_selectorELNS0_4arch9wavefront6targetE0EEEvSZ_.kd
    .uniform_work_group_size: 1
    .uses_dynamic_stack: false
    .vgpr_count:     0
    .vgpr_spill_count: 0
    .wavefront_size: 32
    .workgroup_processor_mode: 1
  - .args:
      - .offset:         0
        .size:           176
        .value_kind:     by_value
    .group_segment_fixed_size: 0
    .kernarg_segment_align: 8
    .kernarg_segment_size: 176
    .language:       OpenCL C
    .language_version:
      - 2
      - 0
    .max_flat_workgroup_size: 256
    .name:           _ZN7rocprim17ROCPRIM_400000_NS6detail17trampoline_kernelINS0_13select_configILj256ELj13ELNS0_17block_load_methodE3ELS4_3ELS4_3ELNS0_20block_scan_algorithmE0ELj4294967295EEENS1_25partition_config_selectorILNS1_17partition_subalgoE4EjNS0_10empty_typeEbEEZZNS1_14partition_implILS8_4ELb0ES6_15HIP_vector_typeIjLj2EENS0_17counting_iteratorIjlEEPS9_SG_NS0_5tupleIJPjSI_NS0_16reverse_iteratorISI_EEEEENSH_IJSG_SG_SG_EEES9_SI_JZNS1_25segmented_radix_sort_implINS0_14default_configELb0EPKlPlSQ_SR_N2at6native12_GLOBAL__N_18offset_tEEE10hipError_tPvRmT1_PNSt15iterator_traitsISZ_E10value_typeET2_T3_PNS10_IS15_E10value_typeET4_jRbjT5_S1B_jjP12ihipStream_tbEUljE_ZNSN_ISO_Lb0ESQ_SR_SQ_SR_SV_EESW_SX_SY_SZ_S13_S14_S15_S18_S19_jS1A_jS1B_S1B_jjS1D_bEUljE0_EEESW_SX_SY_S15_S19_S1B_T6_T7_T9_mT8_S1D_bDpT10_ENKUlT_T0_E_clISt17integral_constantIbLb0EES1R_EEDaS1M_S1N_EUlS1M_E_NS1_11comp_targetILNS1_3genE10ELNS1_11target_archE1200ELNS1_3gpuE4ELNS1_3repE0EEENS1_30default_config_static_selectorELNS0_4arch9wavefront6targetE0EEEvSZ_
    .private_segment_fixed_size: 0
    .sgpr_count:     0
    .sgpr_spill_count: 0
    .symbol:         _ZN7rocprim17ROCPRIM_400000_NS6detail17trampoline_kernelINS0_13select_configILj256ELj13ELNS0_17block_load_methodE3ELS4_3ELS4_3ELNS0_20block_scan_algorithmE0ELj4294967295EEENS1_25partition_config_selectorILNS1_17partition_subalgoE4EjNS0_10empty_typeEbEEZZNS1_14partition_implILS8_4ELb0ES6_15HIP_vector_typeIjLj2EENS0_17counting_iteratorIjlEEPS9_SG_NS0_5tupleIJPjSI_NS0_16reverse_iteratorISI_EEEEENSH_IJSG_SG_SG_EEES9_SI_JZNS1_25segmented_radix_sort_implINS0_14default_configELb0EPKlPlSQ_SR_N2at6native12_GLOBAL__N_18offset_tEEE10hipError_tPvRmT1_PNSt15iterator_traitsISZ_E10value_typeET2_T3_PNS10_IS15_E10value_typeET4_jRbjT5_S1B_jjP12ihipStream_tbEUljE_ZNSN_ISO_Lb0ESQ_SR_SQ_SR_SV_EESW_SX_SY_SZ_S13_S14_S15_S18_S19_jS1A_jS1B_S1B_jjS1D_bEUljE0_EEESW_SX_SY_S15_S19_S1B_T6_T7_T9_mT8_S1D_bDpT10_ENKUlT_T0_E_clISt17integral_constantIbLb0EES1R_EEDaS1M_S1N_EUlS1M_E_NS1_11comp_targetILNS1_3genE10ELNS1_11target_archE1200ELNS1_3gpuE4ELNS1_3repE0EEENS1_30default_config_static_selectorELNS0_4arch9wavefront6targetE0EEEvSZ_.kd
    .uniform_work_group_size: 1
    .uses_dynamic_stack: false
    .vgpr_count:     0
    .vgpr_spill_count: 0
    .wavefront_size: 32
    .workgroup_processor_mode: 1
  - .args:
      - .offset:         0
        .size:           176
        .value_kind:     by_value
    .group_segment_fixed_size: 13340
    .kernarg_segment_align: 8
    .kernarg_segment_size: 176
    .language:       OpenCL C
    .language_version:
      - 2
      - 0
    .max_flat_workgroup_size: 256
    .name:           _ZN7rocprim17ROCPRIM_400000_NS6detail17trampoline_kernelINS0_13select_configILj256ELj13ELNS0_17block_load_methodE3ELS4_3ELS4_3ELNS0_20block_scan_algorithmE0ELj4294967295EEENS1_25partition_config_selectorILNS1_17partition_subalgoE4EjNS0_10empty_typeEbEEZZNS1_14partition_implILS8_4ELb0ES6_15HIP_vector_typeIjLj2EENS0_17counting_iteratorIjlEEPS9_SG_NS0_5tupleIJPjSI_NS0_16reverse_iteratorISI_EEEEENSH_IJSG_SG_SG_EEES9_SI_JZNS1_25segmented_radix_sort_implINS0_14default_configELb0EPKlPlSQ_SR_N2at6native12_GLOBAL__N_18offset_tEEE10hipError_tPvRmT1_PNSt15iterator_traitsISZ_E10value_typeET2_T3_PNS10_IS15_E10value_typeET4_jRbjT5_S1B_jjP12ihipStream_tbEUljE_ZNSN_ISO_Lb0ESQ_SR_SQ_SR_SV_EESW_SX_SY_SZ_S13_S14_S15_S18_S19_jS1A_jS1B_S1B_jjS1D_bEUljE0_EEESW_SX_SY_S15_S19_S1B_T6_T7_T9_mT8_S1D_bDpT10_ENKUlT_T0_E_clISt17integral_constantIbLb0EES1R_EEDaS1M_S1N_EUlS1M_E_NS1_11comp_targetILNS1_3genE9ELNS1_11target_archE1100ELNS1_3gpuE3ELNS1_3repE0EEENS1_30default_config_static_selectorELNS0_4arch9wavefront6targetE0EEEvSZ_
    .private_segment_fixed_size: 0
    .sgpr_count:     61
    .sgpr_spill_count: 0
    .symbol:         _ZN7rocprim17ROCPRIM_400000_NS6detail17trampoline_kernelINS0_13select_configILj256ELj13ELNS0_17block_load_methodE3ELS4_3ELS4_3ELNS0_20block_scan_algorithmE0ELj4294967295EEENS1_25partition_config_selectorILNS1_17partition_subalgoE4EjNS0_10empty_typeEbEEZZNS1_14partition_implILS8_4ELb0ES6_15HIP_vector_typeIjLj2EENS0_17counting_iteratorIjlEEPS9_SG_NS0_5tupleIJPjSI_NS0_16reverse_iteratorISI_EEEEENSH_IJSG_SG_SG_EEES9_SI_JZNS1_25segmented_radix_sort_implINS0_14default_configELb0EPKlPlSQ_SR_N2at6native12_GLOBAL__N_18offset_tEEE10hipError_tPvRmT1_PNSt15iterator_traitsISZ_E10value_typeET2_T3_PNS10_IS15_E10value_typeET4_jRbjT5_S1B_jjP12ihipStream_tbEUljE_ZNSN_ISO_Lb0ESQ_SR_SQ_SR_SV_EESW_SX_SY_SZ_S13_S14_S15_S18_S19_jS1A_jS1B_S1B_jjS1D_bEUljE0_EEESW_SX_SY_S15_S19_S1B_T6_T7_T9_mT8_S1D_bDpT10_ENKUlT_T0_E_clISt17integral_constantIbLb0EES1R_EEDaS1M_S1N_EUlS1M_E_NS1_11comp_targetILNS1_3genE9ELNS1_11target_archE1100ELNS1_3gpuE3ELNS1_3repE0EEENS1_30default_config_static_selectorELNS0_4arch9wavefront6targetE0EEEvSZ_.kd
    .uniform_work_group_size: 1
    .uses_dynamic_stack: false
    .vgpr_count:     98
    .vgpr_spill_count: 0
    .wavefront_size: 32
    .workgroup_processor_mode: 1
  - .args:
      - .offset:         0
        .size:           176
        .value_kind:     by_value
    .group_segment_fixed_size: 0
    .kernarg_segment_align: 8
    .kernarg_segment_size: 176
    .language:       OpenCL C
    .language_version:
      - 2
      - 0
    .max_flat_workgroup_size: 256
    .name:           _ZN7rocprim17ROCPRIM_400000_NS6detail17trampoline_kernelINS0_13select_configILj256ELj13ELNS0_17block_load_methodE3ELS4_3ELS4_3ELNS0_20block_scan_algorithmE0ELj4294967295EEENS1_25partition_config_selectorILNS1_17partition_subalgoE4EjNS0_10empty_typeEbEEZZNS1_14partition_implILS8_4ELb0ES6_15HIP_vector_typeIjLj2EENS0_17counting_iteratorIjlEEPS9_SG_NS0_5tupleIJPjSI_NS0_16reverse_iteratorISI_EEEEENSH_IJSG_SG_SG_EEES9_SI_JZNS1_25segmented_radix_sort_implINS0_14default_configELb0EPKlPlSQ_SR_N2at6native12_GLOBAL__N_18offset_tEEE10hipError_tPvRmT1_PNSt15iterator_traitsISZ_E10value_typeET2_T3_PNS10_IS15_E10value_typeET4_jRbjT5_S1B_jjP12ihipStream_tbEUljE_ZNSN_ISO_Lb0ESQ_SR_SQ_SR_SV_EESW_SX_SY_SZ_S13_S14_S15_S18_S19_jS1A_jS1B_S1B_jjS1D_bEUljE0_EEESW_SX_SY_S15_S19_S1B_T6_T7_T9_mT8_S1D_bDpT10_ENKUlT_T0_E_clISt17integral_constantIbLb0EES1R_EEDaS1M_S1N_EUlS1M_E_NS1_11comp_targetILNS1_3genE8ELNS1_11target_archE1030ELNS1_3gpuE2ELNS1_3repE0EEENS1_30default_config_static_selectorELNS0_4arch9wavefront6targetE0EEEvSZ_
    .private_segment_fixed_size: 0
    .sgpr_count:     0
    .sgpr_spill_count: 0
    .symbol:         _ZN7rocprim17ROCPRIM_400000_NS6detail17trampoline_kernelINS0_13select_configILj256ELj13ELNS0_17block_load_methodE3ELS4_3ELS4_3ELNS0_20block_scan_algorithmE0ELj4294967295EEENS1_25partition_config_selectorILNS1_17partition_subalgoE4EjNS0_10empty_typeEbEEZZNS1_14partition_implILS8_4ELb0ES6_15HIP_vector_typeIjLj2EENS0_17counting_iteratorIjlEEPS9_SG_NS0_5tupleIJPjSI_NS0_16reverse_iteratorISI_EEEEENSH_IJSG_SG_SG_EEES9_SI_JZNS1_25segmented_radix_sort_implINS0_14default_configELb0EPKlPlSQ_SR_N2at6native12_GLOBAL__N_18offset_tEEE10hipError_tPvRmT1_PNSt15iterator_traitsISZ_E10value_typeET2_T3_PNS10_IS15_E10value_typeET4_jRbjT5_S1B_jjP12ihipStream_tbEUljE_ZNSN_ISO_Lb0ESQ_SR_SQ_SR_SV_EESW_SX_SY_SZ_S13_S14_S15_S18_S19_jS1A_jS1B_S1B_jjS1D_bEUljE0_EEESW_SX_SY_S15_S19_S1B_T6_T7_T9_mT8_S1D_bDpT10_ENKUlT_T0_E_clISt17integral_constantIbLb0EES1R_EEDaS1M_S1N_EUlS1M_E_NS1_11comp_targetILNS1_3genE8ELNS1_11target_archE1030ELNS1_3gpuE2ELNS1_3repE0EEENS1_30default_config_static_selectorELNS0_4arch9wavefront6targetE0EEEvSZ_.kd
    .uniform_work_group_size: 1
    .uses_dynamic_stack: false
    .vgpr_count:     0
    .vgpr_spill_count: 0
    .wavefront_size: 32
    .workgroup_processor_mode: 1
  - .args:
      - .offset:         0
        .size:           184
        .value_kind:     by_value
    .group_segment_fixed_size: 0
    .kernarg_segment_align: 8
    .kernarg_segment_size: 184
    .language:       OpenCL C
    .language_version:
      - 2
      - 0
    .max_flat_workgroup_size: 256
    .name:           _ZN7rocprim17ROCPRIM_400000_NS6detail17trampoline_kernelINS0_13select_configILj256ELj13ELNS0_17block_load_methodE3ELS4_3ELS4_3ELNS0_20block_scan_algorithmE0ELj4294967295EEENS1_25partition_config_selectorILNS1_17partition_subalgoE4EjNS0_10empty_typeEbEEZZNS1_14partition_implILS8_4ELb0ES6_15HIP_vector_typeIjLj2EENS0_17counting_iteratorIjlEEPS9_SG_NS0_5tupleIJPjSI_NS0_16reverse_iteratorISI_EEEEENSH_IJSG_SG_SG_EEES9_SI_JZNS1_25segmented_radix_sort_implINS0_14default_configELb0EPKlPlSQ_SR_N2at6native12_GLOBAL__N_18offset_tEEE10hipError_tPvRmT1_PNSt15iterator_traitsISZ_E10value_typeET2_T3_PNS10_IS15_E10value_typeET4_jRbjT5_S1B_jjP12ihipStream_tbEUljE_ZNSN_ISO_Lb0ESQ_SR_SQ_SR_SV_EESW_SX_SY_SZ_S13_S14_S15_S18_S19_jS1A_jS1B_S1B_jjS1D_bEUljE0_EEESW_SX_SY_S15_S19_S1B_T6_T7_T9_mT8_S1D_bDpT10_ENKUlT_T0_E_clISt17integral_constantIbLb1EES1R_EEDaS1M_S1N_EUlS1M_E_NS1_11comp_targetILNS1_3genE0ELNS1_11target_archE4294967295ELNS1_3gpuE0ELNS1_3repE0EEENS1_30default_config_static_selectorELNS0_4arch9wavefront6targetE0EEEvSZ_
    .private_segment_fixed_size: 0
    .sgpr_count:     0
    .sgpr_spill_count: 0
    .symbol:         _ZN7rocprim17ROCPRIM_400000_NS6detail17trampoline_kernelINS0_13select_configILj256ELj13ELNS0_17block_load_methodE3ELS4_3ELS4_3ELNS0_20block_scan_algorithmE0ELj4294967295EEENS1_25partition_config_selectorILNS1_17partition_subalgoE4EjNS0_10empty_typeEbEEZZNS1_14partition_implILS8_4ELb0ES6_15HIP_vector_typeIjLj2EENS0_17counting_iteratorIjlEEPS9_SG_NS0_5tupleIJPjSI_NS0_16reverse_iteratorISI_EEEEENSH_IJSG_SG_SG_EEES9_SI_JZNS1_25segmented_radix_sort_implINS0_14default_configELb0EPKlPlSQ_SR_N2at6native12_GLOBAL__N_18offset_tEEE10hipError_tPvRmT1_PNSt15iterator_traitsISZ_E10value_typeET2_T3_PNS10_IS15_E10value_typeET4_jRbjT5_S1B_jjP12ihipStream_tbEUljE_ZNSN_ISO_Lb0ESQ_SR_SQ_SR_SV_EESW_SX_SY_SZ_S13_S14_S15_S18_S19_jS1A_jS1B_S1B_jjS1D_bEUljE0_EEESW_SX_SY_S15_S19_S1B_T6_T7_T9_mT8_S1D_bDpT10_ENKUlT_T0_E_clISt17integral_constantIbLb1EES1R_EEDaS1M_S1N_EUlS1M_E_NS1_11comp_targetILNS1_3genE0ELNS1_11target_archE4294967295ELNS1_3gpuE0ELNS1_3repE0EEENS1_30default_config_static_selectorELNS0_4arch9wavefront6targetE0EEEvSZ_.kd
    .uniform_work_group_size: 1
    .uses_dynamic_stack: false
    .vgpr_count:     0
    .vgpr_spill_count: 0
    .wavefront_size: 32
    .workgroup_processor_mode: 1
  - .args:
      - .offset:         0
        .size:           184
        .value_kind:     by_value
    .group_segment_fixed_size: 0
    .kernarg_segment_align: 8
    .kernarg_segment_size: 184
    .language:       OpenCL C
    .language_version:
      - 2
      - 0
    .max_flat_workgroup_size: 256
    .name:           _ZN7rocprim17ROCPRIM_400000_NS6detail17trampoline_kernelINS0_13select_configILj256ELj13ELNS0_17block_load_methodE3ELS4_3ELS4_3ELNS0_20block_scan_algorithmE0ELj4294967295EEENS1_25partition_config_selectorILNS1_17partition_subalgoE4EjNS0_10empty_typeEbEEZZNS1_14partition_implILS8_4ELb0ES6_15HIP_vector_typeIjLj2EENS0_17counting_iteratorIjlEEPS9_SG_NS0_5tupleIJPjSI_NS0_16reverse_iteratorISI_EEEEENSH_IJSG_SG_SG_EEES9_SI_JZNS1_25segmented_radix_sort_implINS0_14default_configELb0EPKlPlSQ_SR_N2at6native12_GLOBAL__N_18offset_tEEE10hipError_tPvRmT1_PNSt15iterator_traitsISZ_E10value_typeET2_T3_PNS10_IS15_E10value_typeET4_jRbjT5_S1B_jjP12ihipStream_tbEUljE_ZNSN_ISO_Lb0ESQ_SR_SQ_SR_SV_EESW_SX_SY_SZ_S13_S14_S15_S18_S19_jS1A_jS1B_S1B_jjS1D_bEUljE0_EEESW_SX_SY_S15_S19_S1B_T6_T7_T9_mT8_S1D_bDpT10_ENKUlT_T0_E_clISt17integral_constantIbLb1EES1R_EEDaS1M_S1N_EUlS1M_E_NS1_11comp_targetILNS1_3genE5ELNS1_11target_archE942ELNS1_3gpuE9ELNS1_3repE0EEENS1_30default_config_static_selectorELNS0_4arch9wavefront6targetE0EEEvSZ_
    .private_segment_fixed_size: 0
    .sgpr_count:     0
    .sgpr_spill_count: 0
    .symbol:         _ZN7rocprim17ROCPRIM_400000_NS6detail17trampoline_kernelINS0_13select_configILj256ELj13ELNS0_17block_load_methodE3ELS4_3ELS4_3ELNS0_20block_scan_algorithmE0ELj4294967295EEENS1_25partition_config_selectorILNS1_17partition_subalgoE4EjNS0_10empty_typeEbEEZZNS1_14partition_implILS8_4ELb0ES6_15HIP_vector_typeIjLj2EENS0_17counting_iteratorIjlEEPS9_SG_NS0_5tupleIJPjSI_NS0_16reverse_iteratorISI_EEEEENSH_IJSG_SG_SG_EEES9_SI_JZNS1_25segmented_radix_sort_implINS0_14default_configELb0EPKlPlSQ_SR_N2at6native12_GLOBAL__N_18offset_tEEE10hipError_tPvRmT1_PNSt15iterator_traitsISZ_E10value_typeET2_T3_PNS10_IS15_E10value_typeET4_jRbjT5_S1B_jjP12ihipStream_tbEUljE_ZNSN_ISO_Lb0ESQ_SR_SQ_SR_SV_EESW_SX_SY_SZ_S13_S14_S15_S18_S19_jS1A_jS1B_S1B_jjS1D_bEUljE0_EEESW_SX_SY_S15_S19_S1B_T6_T7_T9_mT8_S1D_bDpT10_ENKUlT_T0_E_clISt17integral_constantIbLb1EES1R_EEDaS1M_S1N_EUlS1M_E_NS1_11comp_targetILNS1_3genE5ELNS1_11target_archE942ELNS1_3gpuE9ELNS1_3repE0EEENS1_30default_config_static_selectorELNS0_4arch9wavefront6targetE0EEEvSZ_.kd
    .uniform_work_group_size: 1
    .uses_dynamic_stack: false
    .vgpr_count:     0
    .vgpr_spill_count: 0
    .wavefront_size: 32
    .workgroup_processor_mode: 1
  - .args:
      - .offset:         0
        .size:           184
        .value_kind:     by_value
    .group_segment_fixed_size: 0
    .kernarg_segment_align: 8
    .kernarg_segment_size: 184
    .language:       OpenCL C
    .language_version:
      - 2
      - 0
    .max_flat_workgroup_size: 256
    .name:           _ZN7rocprim17ROCPRIM_400000_NS6detail17trampoline_kernelINS0_13select_configILj256ELj13ELNS0_17block_load_methodE3ELS4_3ELS4_3ELNS0_20block_scan_algorithmE0ELj4294967295EEENS1_25partition_config_selectorILNS1_17partition_subalgoE4EjNS0_10empty_typeEbEEZZNS1_14partition_implILS8_4ELb0ES6_15HIP_vector_typeIjLj2EENS0_17counting_iteratorIjlEEPS9_SG_NS0_5tupleIJPjSI_NS0_16reverse_iteratorISI_EEEEENSH_IJSG_SG_SG_EEES9_SI_JZNS1_25segmented_radix_sort_implINS0_14default_configELb0EPKlPlSQ_SR_N2at6native12_GLOBAL__N_18offset_tEEE10hipError_tPvRmT1_PNSt15iterator_traitsISZ_E10value_typeET2_T3_PNS10_IS15_E10value_typeET4_jRbjT5_S1B_jjP12ihipStream_tbEUljE_ZNSN_ISO_Lb0ESQ_SR_SQ_SR_SV_EESW_SX_SY_SZ_S13_S14_S15_S18_S19_jS1A_jS1B_S1B_jjS1D_bEUljE0_EEESW_SX_SY_S15_S19_S1B_T6_T7_T9_mT8_S1D_bDpT10_ENKUlT_T0_E_clISt17integral_constantIbLb1EES1R_EEDaS1M_S1N_EUlS1M_E_NS1_11comp_targetILNS1_3genE4ELNS1_11target_archE910ELNS1_3gpuE8ELNS1_3repE0EEENS1_30default_config_static_selectorELNS0_4arch9wavefront6targetE0EEEvSZ_
    .private_segment_fixed_size: 0
    .sgpr_count:     0
    .sgpr_spill_count: 0
    .symbol:         _ZN7rocprim17ROCPRIM_400000_NS6detail17trampoline_kernelINS0_13select_configILj256ELj13ELNS0_17block_load_methodE3ELS4_3ELS4_3ELNS0_20block_scan_algorithmE0ELj4294967295EEENS1_25partition_config_selectorILNS1_17partition_subalgoE4EjNS0_10empty_typeEbEEZZNS1_14partition_implILS8_4ELb0ES6_15HIP_vector_typeIjLj2EENS0_17counting_iteratorIjlEEPS9_SG_NS0_5tupleIJPjSI_NS0_16reverse_iteratorISI_EEEEENSH_IJSG_SG_SG_EEES9_SI_JZNS1_25segmented_radix_sort_implINS0_14default_configELb0EPKlPlSQ_SR_N2at6native12_GLOBAL__N_18offset_tEEE10hipError_tPvRmT1_PNSt15iterator_traitsISZ_E10value_typeET2_T3_PNS10_IS15_E10value_typeET4_jRbjT5_S1B_jjP12ihipStream_tbEUljE_ZNSN_ISO_Lb0ESQ_SR_SQ_SR_SV_EESW_SX_SY_SZ_S13_S14_S15_S18_S19_jS1A_jS1B_S1B_jjS1D_bEUljE0_EEESW_SX_SY_S15_S19_S1B_T6_T7_T9_mT8_S1D_bDpT10_ENKUlT_T0_E_clISt17integral_constantIbLb1EES1R_EEDaS1M_S1N_EUlS1M_E_NS1_11comp_targetILNS1_3genE4ELNS1_11target_archE910ELNS1_3gpuE8ELNS1_3repE0EEENS1_30default_config_static_selectorELNS0_4arch9wavefront6targetE0EEEvSZ_.kd
    .uniform_work_group_size: 1
    .uses_dynamic_stack: false
    .vgpr_count:     0
    .vgpr_spill_count: 0
    .wavefront_size: 32
    .workgroup_processor_mode: 1
  - .args:
      - .offset:         0
        .size:           184
        .value_kind:     by_value
    .group_segment_fixed_size: 0
    .kernarg_segment_align: 8
    .kernarg_segment_size: 184
    .language:       OpenCL C
    .language_version:
      - 2
      - 0
    .max_flat_workgroup_size: 256
    .name:           _ZN7rocprim17ROCPRIM_400000_NS6detail17trampoline_kernelINS0_13select_configILj256ELj13ELNS0_17block_load_methodE3ELS4_3ELS4_3ELNS0_20block_scan_algorithmE0ELj4294967295EEENS1_25partition_config_selectorILNS1_17partition_subalgoE4EjNS0_10empty_typeEbEEZZNS1_14partition_implILS8_4ELb0ES6_15HIP_vector_typeIjLj2EENS0_17counting_iteratorIjlEEPS9_SG_NS0_5tupleIJPjSI_NS0_16reverse_iteratorISI_EEEEENSH_IJSG_SG_SG_EEES9_SI_JZNS1_25segmented_radix_sort_implINS0_14default_configELb0EPKlPlSQ_SR_N2at6native12_GLOBAL__N_18offset_tEEE10hipError_tPvRmT1_PNSt15iterator_traitsISZ_E10value_typeET2_T3_PNS10_IS15_E10value_typeET4_jRbjT5_S1B_jjP12ihipStream_tbEUljE_ZNSN_ISO_Lb0ESQ_SR_SQ_SR_SV_EESW_SX_SY_SZ_S13_S14_S15_S18_S19_jS1A_jS1B_S1B_jjS1D_bEUljE0_EEESW_SX_SY_S15_S19_S1B_T6_T7_T9_mT8_S1D_bDpT10_ENKUlT_T0_E_clISt17integral_constantIbLb1EES1R_EEDaS1M_S1N_EUlS1M_E_NS1_11comp_targetILNS1_3genE3ELNS1_11target_archE908ELNS1_3gpuE7ELNS1_3repE0EEENS1_30default_config_static_selectorELNS0_4arch9wavefront6targetE0EEEvSZ_
    .private_segment_fixed_size: 0
    .sgpr_count:     0
    .sgpr_spill_count: 0
    .symbol:         _ZN7rocprim17ROCPRIM_400000_NS6detail17trampoline_kernelINS0_13select_configILj256ELj13ELNS0_17block_load_methodE3ELS4_3ELS4_3ELNS0_20block_scan_algorithmE0ELj4294967295EEENS1_25partition_config_selectorILNS1_17partition_subalgoE4EjNS0_10empty_typeEbEEZZNS1_14partition_implILS8_4ELb0ES6_15HIP_vector_typeIjLj2EENS0_17counting_iteratorIjlEEPS9_SG_NS0_5tupleIJPjSI_NS0_16reverse_iteratorISI_EEEEENSH_IJSG_SG_SG_EEES9_SI_JZNS1_25segmented_radix_sort_implINS0_14default_configELb0EPKlPlSQ_SR_N2at6native12_GLOBAL__N_18offset_tEEE10hipError_tPvRmT1_PNSt15iterator_traitsISZ_E10value_typeET2_T3_PNS10_IS15_E10value_typeET4_jRbjT5_S1B_jjP12ihipStream_tbEUljE_ZNSN_ISO_Lb0ESQ_SR_SQ_SR_SV_EESW_SX_SY_SZ_S13_S14_S15_S18_S19_jS1A_jS1B_S1B_jjS1D_bEUljE0_EEESW_SX_SY_S15_S19_S1B_T6_T7_T9_mT8_S1D_bDpT10_ENKUlT_T0_E_clISt17integral_constantIbLb1EES1R_EEDaS1M_S1N_EUlS1M_E_NS1_11comp_targetILNS1_3genE3ELNS1_11target_archE908ELNS1_3gpuE7ELNS1_3repE0EEENS1_30default_config_static_selectorELNS0_4arch9wavefront6targetE0EEEvSZ_.kd
    .uniform_work_group_size: 1
    .uses_dynamic_stack: false
    .vgpr_count:     0
    .vgpr_spill_count: 0
    .wavefront_size: 32
    .workgroup_processor_mode: 1
  - .args:
      - .offset:         0
        .size:           184
        .value_kind:     by_value
    .group_segment_fixed_size: 0
    .kernarg_segment_align: 8
    .kernarg_segment_size: 184
    .language:       OpenCL C
    .language_version:
      - 2
      - 0
    .max_flat_workgroup_size: 256
    .name:           _ZN7rocprim17ROCPRIM_400000_NS6detail17trampoline_kernelINS0_13select_configILj256ELj13ELNS0_17block_load_methodE3ELS4_3ELS4_3ELNS0_20block_scan_algorithmE0ELj4294967295EEENS1_25partition_config_selectorILNS1_17partition_subalgoE4EjNS0_10empty_typeEbEEZZNS1_14partition_implILS8_4ELb0ES6_15HIP_vector_typeIjLj2EENS0_17counting_iteratorIjlEEPS9_SG_NS0_5tupleIJPjSI_NS0_16reverse_iteratorISI_EEEEENSH_IJSG_SG_SG_EEES9_SI_JZNS1_25segmented_radix_sort_implINS0_14default_configELb0EPKlPlSQ_SR_N2at6native12_GLOBAL__N_18offset_tEEE10hipError_tPvRmT1_PNSt15iterator_traitsISZ_E10value_typeET2_T3_PNS10_IS15_E10value_typeET4_jRbjT5_S1B_jjP12ihipStream_tbEUljE_ZNSN_ISO_Lb0ESQ_SR_SQ_SR_SV_EESW_SX_SY_SZ_S13_S14_S15_S18_S19_jS1A_jS1B_S1B_jjS1D_bEUljE0_EEESW_SX_SY_S15_S19_S1B_T6_T7_T9_mT8_S1D_bDpT10_ENKUlT_T0_E_clISt17integral_constantIbLb1EES1R_EEDaS1M_S1N_EUlS1M_E_NS1_11comp_targetILNS1_3genE2ELNS1_11target_archE906ELNS1_3gpuE6ELNS1_3repE0EEENS1_30default_config_static_selectorELNS0_4arch9wavefront6targetE0EEEvSZ_
    .private_segment_fixed_size: 0
    .sgpr_count:     0
    .sgpr_spill_count: 0
    .symbol:         _ZN7rocprim17ROCPRIM_400000_NS6detail17trampoline_kernelINS0_13select_configILj256ELj13ELNS0_17block_load_methodE3ELS4_3ELS4_3ELNS0_20block_scan_algorithmE0ELj4294967295EEENS1_25partition_config_selectorILNS1_17partition_subalgoE4EjNS0_10empty_typeEbEEZZNS1_14partition_implILS8_4ELb0ES6_15HIP_vector_typeIjLj2EENS0_17counting_iteratorIjlEEPS9_SG_NS0_5tupleIJPjSI_NS0_16reverse_iteratorISI_EEEEENSH_IJSG_SG_SG_EEES9_SI_JZNS1_25segmented_radix_sort_implINS0_14default_configELb0EPKlPlSQ_SR_N2at6native12_GLOBAL__N_18offset_tEEE10hipError_tPvRmT1_PNSt15iterator_traitsISZ_E10value_typeET2_T3_PNS10_IS15_E10value_typeET4_jRbjT5_S1B_jjP12ihipStream_tbEUljE_ZNSN_ISO_Lb0ESQ_SR_SQ_SR_SV_EESW_SX_SY_SZ_S13_S14_S15_S18_S19_jS1A_jS1B_S1B_jjS1D_bEUljE0_EEESW_SX_SY_S15_S19_S1B_T6_T7_T9_mT8_S1D_bDpT10_ENKUlT_T0_E_clISt17integral_constantIbLb1EES1R_EEDaS1M_S1N_EUlS1M_E_NS1_11comp_targetILNS1_3genE2ELNS1_11target_archE906ELNS1_3gpuE6ELNS1_3repE0EEENS1_30default_config_static_selectorELNS0_4arch9wavefront6targetE0EEEvSZ_.kd
    .uniform_work_group_size: 1
    .uses_dynamic_stack: false
    .vgpr_count:     0
    .vgpr_spill_count: 0
    .wavefront_size: 32
    .workgroup_processor_mode: 1
  - .args:
      - .offset:         0
        .size:           184
        .value_kind:     by_value
    .group_segment_fixed_size: 0
    .kernarg_segment_align: 8
    .kernarg_segment_size: 184
    .language:       OpenCL C
    .language_version:
      - 2
      - 0
    .max_flat_workgroup_size: 256
    .name:           _ZN7rocprim17ROCPRIM_400000_NS6detail17trampoline_kernelINS0_13select_configILj256ELj13ELNS0_17block_load_methodE3ELS4_3ELS4_3ELNS0_20block_scan_algorithmE0ELj4294967295EEENS1_25partition_config_selectorILNS1_17partition_subalgoE4EjNS0_10empty_typeEbEEZZNS1_14partition_implILS8_4ELb0ES6_15HIP_vector_typeIjLj2EENS0_17counting_iteratorIjlEEPS9_SG_NS0_5tupleIJPjSI_NS0_16reverse_iteratorISI_EEEEENSH_IJSG_SG_SG_EEES9_SI_JZNS1_25segmented_radix_sort_implINS0_14default_configELb0EPKlPlSQ_SR_N2at6native12_GLOBAL__N_18offset_tEEE10hipError_tPvRmT1_PNSt15iterator_traitsISZ_E10value_typeET2_T3_PNS10_IS15_E10value_typeET4_jRbjT5_S1B_jjP12ihipStream_tbEUljE_ZNSN_ISO_Lb0ESQ_SR_SQ_SR_SV_EESW_SX_SY_SZ_S13_S14_S15_S18_S19_jS1A_jS1B_S1B_jjS1D_bEUljE0_EEESW_SX_SY_S15_S19_S1B_T6_T7_T9_mT8_S1D_bDpT10_ENKUlT_T0_E_clISt17integral_constantIbLb1EES1R_EEDaS1M_S1N_EUlS1M_E_NS1_11comp_targetILNS1_3genE10ELNS1_11target_archE1200ELNS1_3gpuE4ELNS1_3repE0EEENS1_30default_config_static_selectorELNS0_4arch9wavefront6targetE0EEEvSZ_
    .private_segment_fixed_size: 0
    .sgpr_count:     0
    .sgpr_spill_count: 0
    .symbol:         _ZN7rocprim17ROCPRIM_400000_NS6detail17trampoline_kernelINS0_13select_configILj256ELj13ELNS0_17block_load_methodE3ELS4_3ELS4_3ELNS0_20block_scan_algorithmE0ELj4294967295EEENS1_25partition_config_selectorILNS1_17partition_subalgoE4EjNS0_10empty_typeEbEEZZNS1_14partition_implILS8_4ELb0ES6_15HIP_vector_typeIjLj2EENS0_17counting_iteratorIjlEEPS9_SG_NS0_5tupleIJPjSI_NS0_16reverse_iteratorISI_EEEEENSH_IJSG_SG_SG_EEES9_SI_JZNS1_25segmented_radix_sort_implINS0_14default_configELb0EPKlPlSQ_SR_N2at6native12_GLOBAL__N_18offset_tEEE10hipError_tPvRmT1_PNSt15iterator_traitsISZ_E10value_typeET2_T3_PNS10_IS15_E10value_typeET4_jRbjT5_S1B_jjP12ihipStream_tbEUljE_ZNSN_ISO_Lb0ESQ_SR_SQ_SR_SV_EESW_SX_SY_SZ_S13_S14_S15_S18_S19_jS1A_jS1B_S1B_jjS1D_bEUljE0_EEESW_SX_SY_S15_S19_S1B_T6_T7_T9_mT8_S1D_bDpT10_ENKUlT_T0_E_clISt17integral_constantIbLb1EES1R_EEDaS1M_S1N_EUlS1M_E_NS1_11comp_targetILNS1_3genE10ELNS1_11target_archE1200ELNS1_3gpuE4ELNS1_3repE0EEENS1_30default_config_static_selectorELNS0_4arch9wavefront6targetE0EEEvSZ_.kd
    .uniform_work_group_size: 1
    .uses_dynamic_stack: false
    .vgpr_count:     0
    .vgpr_spill_count: 0
    .wavefront_size: 32
    .workgroup_processor_mode: 1
  - .args:
      - .offset:         0
        .size:           184
        .value_kind:     by_value
    .group_segment_fixed_size: 13340
    .kernarg_segment_align: 8
    .kernarg_segment_size: 184
    .language:       OpenCL C
    .language_version:
      - 2
      - 0
    .max_flat_workgroup_size: 256
    .name:           _ZN7rocprim17ROCPRIM_400000_NS6detail17trampoline_kernelINS0_13select_configILj256ELj13ELNS0_17block_load_methodE3ELS4_3ELS4_3ELNS0_20block_scan_algorithmE0ELj4294967295EEENS1_25partition_config_selectorILNS1_17partition_subalgoE4EjNS0_10empty_typeEbEEZZNS1_14partition_implILS8_4ELb0ES6_15HIP_vector_typeIjLj2EENS0_17counting_iteratorIjlEEPS9_SG_NS0_5tupleIJPjSI_NS0_16reverse_iteratorISI_EEEEENSH_IJSG_SG_SG_EEES9_SI_JZNS1_25segmented_radix_sort_implINS0_14default_configELb0EPKlPlSQ_SR_N2at6native12_GLOBAL__N_18offset_tEEE10hipError_tPvRmT1_PNSt15iterator_traitsISZ_E10value_typeET2_T3_PNS10_IS15_E10value_typeET4_jRbjT5_S1B_jjP12ihipStream_tbEUljE_ZNSN_ISO_Lb0ESQ_SR_SQ_SR_SV_EESW_SX_SY_SZ_S13_S14_S15_S18_S19_jS1A_jS1B_S1B_jjS1D_bEUljE0_EEESW_SX_SY_S15_S19_S1B_T6_T7_T9_mT8_S1D_bDpT10_ENKUlT_T0_E_clISt17integral_constantIbLb1EES1R_EEDaS1M_S1N_EUlS1M_E_NS1_11comp_targetILNS1_3genE9ELNS1_11target_archE1100ELNS1_3gpuE3ELNS1_3repE0EEENS1_30default_config_static_selectorELNS0_4arch9wavefront6targetE0EEEvSZ_
    .private_segment_fixed_size: 0
    .sgpr_count:     57
    .sgpr_spill_count: 0
    .symbol:         _ZN7rocprim17ROCPRIM_400000_NS6detail17trampoline_kernelINS0_13select_configILj256ELj13ELNS0_17block_load_methodE3ELS4_3ELS4_3ELNS0_20block_scan_algorithmE0ELj4294967295EEENS1_25partition_config_selectorILNS1_17partition_subalgoE4EjNS0_10empty_typeEbEEZZNS1_14partition_implILS8_4ELb0ES6_15HIP_vector_typeIjLj2EENS0_17counting_iteratorIjlEEPS9_SG_NS0_5tupleIJPjSI_NS0_16reverse_iteratorISI_EEEEENSH_IJSG_SG_SG_EEES9_SI_JZNS1_25segmented_radix_sort_implINS0_14default_configELb0EPKlPlSQ_SR_N2at6native12_GLOBAL__N_18offset_tEEE10hipError_tPvRmT1_PNSt15iterator_traitsISZ_E10value_typeET2_T3_PNS10_IS15_E10value_typeET4_jRbjT5_S1B_jjP12ihipStream_tbEUljE_ZNSN_ISO_Lb0ESQ_SR_SQ_SR_SV_EESW_SX_SY_SZ_S13_S14_S15_S18_S19_jS1A_jS1B_S1B_jjS1D_bEUljE0_EEESW_SX_SY_S15_S19_S1B_T6_T7_T9_mT8_S1D_bDpT10_ENKUlT_T0_E_clISt17integral_constantIbLb1EES1R_EEDaS1M_S1N_EUlS1M_E_NS1_11comp_targetILNS1_3genE9ELNS1_11target_archE1100ELNS1_3gpuE3ELNS1_3repE0EEENS1_30default_config_static_selectorELNS0_4arch9wavefront6targetE0EEEvSZ_.kd
    .uniform_work_group_size: 1
    .uses_dynamic_stack: false
    .vgpr_count:     103
    .vgpr_spill_count: 0
    .wavefront_size: 32
    .workgroup_processor_mode: 1
  - .args:
      - .offset:         0
        .size:           184
        .value_kind:     by_value
    .group_segment_fixed_size: 0
    .kernarg_segment_align: 8
    .kernarg_segment_size: 184
    .language:       OpenCL C
    .language_version:
      - 2
      - 0
    .max_flat_workgroup_size: 256
    .name:           _ZN7rocprim17ROCPRIM_400000_NS6detail17trampoline_kernelINS0_13select_configILj256ELj13ELNS0_17block_load_methodE3ELS4_3ELS4_3ELNS0_20block_scan_algorithmE0ELj4294967295EEENS1_25partition_config_selectorILNS1_17partition_subalgoE4EjNS0_10empty_typeEbEEZZNS1_14partition_implILS8_4ELb0ES6_15HIP_vector_typeIjLj2EENS0_17counting_iteratorIjlEEPS9_SG_NS0_5tupleIJPjSI_NS0_16reverse_iteratorISI_EEEEENSH_IJSG_SG_SG_EEES9_SI_JZNS1_25segmented_radix_sort_implINS0_14default_configELb0EPKlPlSQ_SR_N2at6native12_GLOBAL__N_18offset_tEEE10hipError_tPvRmT1_PNSt15iterator_traitsISZ_E10value_typeET2_T3_PNS10_IS15_E10value_typeET4_jRbjT5_S1B_jjP12ihipStream_tbEUljE_ZNSN_ISO_Lb0ESQ_SR_SQ_SR_SV_EESW_SX_SY_SZ_S13_S14_S15_S18_S19_jS1A_jS1B_S1B_jjS1D_bEUljE0_EEESW_SX_SY_S15_S19_S1B_T6_T7_T9_mT8_S1D_bDpT10_ENKUlT_T0_E_clISt17integral_constantIbLb1EES1R_EEDaS1M_S1N_EUlS1M_E_NS1_11comp_targetILNS1_3genE8ELNS1_11target_archE1030ELNS1_3gpuE2ELNS1_3repE0EEENS1_30default_config_static_selectorELNS0_4arch9wavefront6targetE0EEEvSZ_
    .private_segment_fixed_size: 0
    .sgpr_count:     0
    .sgpr_spill_count: 0
    .symbol:         _ZN7rocprim17ROCPRIM_400000_NS6detail17trampoline_kernelINS0_13select_configILj256ELj13ELNS0_17block_load_methodE3ELS4_3ELS4_3ELNS0_20block_scan_algorithmE0ELj4294967295EEENS1_25partition_config_selectorILNS1_17partition_subalgoE4EjNS0_10empty_typeEbEEZZNS1_14partition_implILS8_4ELb0ES6_15HIP_vector_typeIjLj2EENS0_17counting_iteratorIjlEEPS9_SG_NS0_5tupleIJPjSI_NS0_16reverse_iteratorISI_EEEEENSH_IJSG_SG_SG_EEES9_SI_JZNS1_25segmented_radix_sort_implINS0_14default_configELb0EPKlPlSQ_SR_N2at6native12_GLOBAL__N_18offset_tEEE10hipError_tPvRmT1_PNSt15iterator_traitsISZ_E10value_typeET2_T3_PNS10_IS15_E10value_typeET4_jRbjT5_S1B_jjP12ihipStream_tbEUljE_ZNSN_ISO_Lb0ESQ_SR_SQ_SR_SV_EESW_SX_SY_SZ_S13_S14_S15_S18_S19_jS1A_jS1B_S1B_jjS1D_bEUljE0_EEESW_SX_SY_S15_S19_S1B_T6_T7_T9_mT8_S1D_bDpT10_ENKUlT_T0_E_clISt17integral_constantIbLb1EES1R_EEDaS1M_S1N_EUlS1M_E_NS1_11comp_targetILNS1_3genE8ELNS1_11target_archE1030ELNS1_3gpuE2ELNS1_3repE0EEENS1_30default_config_static_selectorELNS0_4arch9wavefront6targetE0EEEvSZ_.kd
    .uniform_work_group_size: 1
    .uses_dynamic_stack: false
    .vgpr_count:     0
    .vgpr_spill_count: 0
    .wavefront_size: 32
    .workgroup_processor_mode: 1
  - .args:
      - .offset:         0
        .size:           176
        .value_kind:     by_value
    .group_segment_fixed_size: 0
    .kernarg_segment_align: 8
    .kernarg_segment_size: 176
    .language:       OpenCL C
    .language_version:
      - 2
      - 0
    .max_flat_workgroup_size: 256
    .name:           _ZN7rocprim17ROCPRIM_400000_NS6detail17trampoline_kernelINS0_13select_configILj256ELj13ELNS0_17block_load_methodE3ELS4_3ELS4_3ELNS0_20block_scan_algorithmE0ELj4294967295EEENS1_25partition_config_selectorILNS1_17partition_subalgoE4EjNS0_10empty_typeEbEEZZNS1_14partition_implILS8_4ELb0ES6_15HIP_vector_typeIjLj2EENS0_17counting_iteratorIjlEEPS9_SG_NS0_5tupleIJPjSI_NS0_16reverse_iteratorISI_EEEEENSH_IJSG_SG_SG_EEES9_SI_JZNS1_25segmented_radix_sort_implINS0_14default_configELb0EPKlPlSQ_SR_N2at6native12_GLOBAL__N_18offset_tEEE10hipError_tPvRmT1_PNSt15iterator_traitsISZ_E10value_typeET2_T3_PNS10_IS15_E10value_typeET4_jRbjT5_S1B_jjP12ihipStream_tbEUljE_ZNSN_ISO_Lb0ESQ_SR_SQ_SR_SV_EESW_SX_SY_SZ_S13_S14_S15_S18_S19_jS1A_jS1B_S1B_jjS1D_bEUljE0_EEESW_SX_SY_S15_S19_S1B_T6_T7_T9_mT8_S1D_bDpT10_ENKUlT_T0_E_clISt17integral_constantIbLb1EES1Q_IbLb0EEEEDaS1M_S1N_EUlS1M_E_NS1_11comp_targetILNS1_3genE0ELNS1_11target_archE4294967295ELNS1_3gpuE0ELNS1_3repE0EEENS1_30default_config_static_selectorELNS0_4arch9wavefront6targetE0EEEvSZ_
    .private_segment_fixed_size: 0
    .sgpr_count:     0
    .sgpr_spill_count: 0
    .symbol:         _ZN7rocprim17ROCPRIM_400000_NS6detail17trampoline_kernelINS0_13select_configILj256ELj13ELNS0_17block_load_methodE3ELS4_3ELS4_3ELNS0_20block_scan_algorithmE0ELj4294967295EEENS1_25partition_config_selectorILNS1_17partition_subalgoE4EjNS0_10empty_typeEbEEZZNS1_14partition_implILS8_4ELb0ES6_15HIP_vector_typeIjLj2EENS0_17counting_iteratorIjlEEPS9_SG_NS0_5tupleIJPjSI_NS0_16reverse_iteratorISI_EEEEENSH_IJSG_SG_SG_EEES9_SI_JZNS1_25segmented_radix_sort_implINS0_14default_configELb0EPKlPlSQ_SR_N2at6native12_GLOBAL__N_18offset_tEEE10hipError_tPvRmT1_PNSt15iterator_traitsISZ_E10value_typeET2_T3_PNS10_IS15_E10value_typeET4_jRbjT5_S1B_jjP12ihipStream_tbEUljE_ZNSN_ISO_Lb0ESQ_SR_SQ_SR_SV_EESW_SX_SY_SZ_S13_S14_S15_S18_S19_jS1A_jS1B_S1B_jjS1D_bEUljE0_EEESW_SX_SY_S15_S19_S1B_T6_T7_T9_mT8_S1D_bDpT10_ENKUlT_T0_E_clISt17integral_constantIbLb1EES1Q_IbLb0EEEEDaS1M_S1N_EUlS1M_E_NS1_11comp_targetILNS1_3genE0ELNS1_11target_archE4294967295ELNS1_3gpuE0ELNS1_3repE0EEENS1_30default_config_static_selectorELNS0_4arch9wavefront6targetE0EEEvSZ_.kd
    .uniform_work_group_size: 1
    .uses_dynamic_stack: false
    .vgpr_count:     0
    .vgpr_spill_count: 0
    .wavefront_size: 32
    .workgroup_processor_mode: 1
  - .args:
      - .offset:         0
        .size:           176
        .value_kind:     by_value
    .group_segment_fixed_size: 0
    .kernarg_segment_align: 8
    .kernarg_segment_size: 176
    .language:       OpenCL C
    .language_version:
      - 2
      - 0
    .max_flat_workgroup_size: 256
    .name:           _ZN7rocprim17ROCPRIM_400000_NS6detail17trampoline_kernelINS0_13select_configILj256ELj13ELNS0_17block_load_methodE3ELS4_3ELS4_3ELNS0_20block_scan_algorithmE0ELj4294967295EEENS1_25partition_config_selectorILNS1_17partition_subalgoE4EjNS0_10empty_typeEbEEZZNS1_14partition_implILS8_4ELb0ES6_15HIP_vector_typeIjLj2EENS0_17counting_iteratorIjlEEPS9_SG_NS0_5tupleIJPjSI_NS0_16reverse_iteratorISI_EEEEENSH_IJSG_SG_SG_EEES9_SI_JZNS1_25segmented_radix_sort_implINS0_14default_configELb0EPKlPlSQ_SR_N2at6native12_GLOBAL__N_18offset_tEEE10hipError_tPvRmT1_PNSt15iterator_traitsISZ_E10value_typeET2_T3_PNS10_IS15_E10value_typeET4_jRbjT5_S1B_jjP12ihipStream_tbEUljE_ZNSN_ISO_Lb0ESQ_SR_SQ_SR_SV_EESW_SX_SY_SZ_S13_S14_S15_S18_S19_jS1A_jS1B_S1B_jjS1D_bEUljE0_EEESW_SX_SY_S15_S19_S1B_T6_T7_T9_mT8_S1D_bDpT10_ENKUlT_T0_E_clISt17integral_constantIbLb1EES1Q_IbLb0EEEEDaS1M_S1N_EUlS1M_E_NS1_11comp_targetILNS1_3genE5ELNS1_11target_archE942ELNS1_3gpuE9ELNS1_3repE0EEENS1_30default_config_static_selectorELNS0_4arch9wavefront6targetE0EEEvSZ_
    .private_segment_fixed_size: 0
    .sgpr_count:     0
    .sgpr_spill_count: 0
    .symbol:         _ZN7rocprim17ROCPRIM_400000_NS6detail17trampoline_kernelINS0_13select_configILj256ELj13ELNS0_17block_load_methodE3ELS4_3ELS4_3ELNS0_20block_scan_algorithmE0ELj4294967295EEENS1_25partition_config_selectorILNS1_17partition_subalgoE4EjNS0_10empty_typeEbEEZZNS1_14partition_implILS8_4ELb0ES6_15HIP_vector_typeIjLj2EENS0_17counting_iteratorIjlEEPS9_SG_NS0_5tupleIJPjSI_NS0_16reverse_iteratorISI_EEEEENSH_IJSG_SG_SG_EEES9_SI_JZNS1_25segmented_radix_sort_implINS0_14default_configELb0EPKlPlSQ_SR_N2at6native12_GLOBAL__N_18offset_tEEE10hipError_tPvRmT1_PNSt15iterator_traitsISZ_E10value_typeET2_T3_PNS10_IS15_E10value_typeET4_jRbjT5_S1B_jjP12ihipStream_tbEUljE_ZNSN_ISO_Lb0ESQ_SR_SQ_SR_SV_EESW_SX_SY_SZ_S13_S14_S15_S18_S19_jS1A_jS1B_S1B_jjS1D_bEUljE0_EEESW_SX_SY_S15_S19_S1B_T6_T7_T9_mT8_S1D_bDpT10_ENKUlT_T0_E_clISt17integral_constantIbLb1EES1Q_IbLb0EEEEDaS1M_S1N_EUlS1M_E_NS1_11comp_targetILNS1_3genE5ELNS1_11target_archE942ELNS1_3gpuE9ELNS1_3repE0EEENS1_30default_config_static_selectorELNS0_4arch9wavefront6targetE0EEEvSZ_.kd
    .uniform_work_group_size: 1
    .uses_dynamic_stack: false
    .vgpr_count:     0
    .vgpr_spill_count: 0
    .wavefront_size: 32
    .workgroup_processor_mode: 1
  - .args:
      - .offset:         0
        .size:           176
        .value_kind:     by_value
    .group_segment_fixed_size: 0
    .kernarg_segment_align: 8
    .kernarg_segment_size: 176
    .language:       OpenCL C
    .language_version:
      - 2
      - 0
    .max_flat_workgroup_size: 256
    .name:           _ZN7rocprim17ROCPRIM_400000_NS6detail17trampoline_kernelINS0_13select_configILj256ELj13ELNS0_17block_load_methodE3ELS4_3ELS4_3ELNS0_20block_scan_algorithmE0ELj4294967295EEENS1_25partition_config_selectorILNS1_17partition_subalgoE4EjNS0_10empty_typeEbEEZZNS1_14partition_implILS8_4ELb0ES6_15HIP_vector_typeIjLj2EENS0_17counting_iteratorIjlEEPS9_SG_NS0_5tupleIJPjSI_NS0_16reverse_iteratorISI_EEEEENSH_IJSG_SG_SG_EEES9_SI_JZNS1_25segmented_radix_sort_implINS0_14default_configELb0EPKlPlSQ_SR_N2at6native12_GLOBAL__N_18offset_tEEE10hipError_tPvRmT1_PNSt15iterator_traitsISZ_E10value_typeET2_T3_PNS10_IS15_E10value_typeET4_jRbjT5_S1B_jjP12ihipStream_tbEUljE_ZNSN_ISO_Lb0ESQ_SR_SQ_SR_SV_EESW_SX_SY_SZ_S13_S14_S15_S18_S19_jS1A_jS1B_S1B_jjS1D_bEUljE0_EEESW_SX_SY_S15_S19_S1B_T6_T7_T9_mT8_S1D_bDpT10_ENKUlT_T0_E_clISt17integral_constantIbLb1EES1Q_IbLb0EEEEDaS1M_S1N_EUlS1M_E_NS1_11comp_targetILNS1_3genE4ELNS1_11target_archE910ELNS1_3gpuE8ELNS1_3repE0EEENS1_30default_config_static_selectorELNS0_4arch9wavefront6targetE0EEEvSZ_
    .private_segment_fixed_size: 0
    .sgpr_count:     0
    .sgpr_spill_count: 0
    .symbol:         _ZN7rocprim17ROCPRIM_400000_NS6detail17trampoline_kernelINS0_13select_configILj256ELj13ELNS0_17block_load_methodE3ELS4_3ELS4_3ELNS0_20block_scan_algorithmE0ELj4294967295EEENS1_25partition_config_selectorILNS1_17partition_subalgoE4EjNS0_10empty_typeEbEEZZNS1_14partition_implILS8_4ELb0ES6_15HIP_vector_typeIjLj2EENS0_17counting_iteratorIjlEEPS9_SG_NS0_5tupleIJPjSI_NS0_16reverse_iteratorISI_EEEEENSH_IJSG_SG_SG_EEES9_SI_JZNS1_25segmented_radix_sort_implINS0_14default_configELb0EPKlPlSQ_SR_N2at6native12_GLOBAL__N_18offset_tEEE10hipError_tPvRmT1_PNSt15iterator_traitsISZ_E10value_typeET2_T3_PNS10_IS15_E10value_typeET4_jRbjT5_S1B_jjP12ihipStream_tbEUljE_ZNSN_ISO_Lb0ESQ_SR_SQ_SR_SV_EESW_SX_SY_SZ_S13_S14_S15_S18_S19_jS1A_jS1B_S1B_jjS1D_bEUljE0_EEESW_SX_SY_S15_S19_S1B_T6_T7_T9_mT8_S1D_bDpT10_ENKUlT_T0_E_clISt17integral_constantIbLb1EES1Q_IbLb0EEEEDaS1M_S1N_EUlS1M_E_NS1_11comp_targetILNS1_3genE4ELNS1_11target_archE910ELNS1_3gpuE8ELNS1_3repE0EEENS1_30default_config_static_selectorELNS0_4arch9wavefront6targetE0EEEvSZ_.kd
    .uniform_work_group_size: 1
    .uses_dynamic_stack: false
    .vgpr_count:     0
    .vgpr_spill_count: 0
    .wavefront_size: 32
    .workgroup_processor_mode: 1
  - .args:
      - .offset:         0
        .size:           176
        .value_kind:     by_value
    .group_segment_fixed_size: 0
    .kernarg_segment_align: 8
    .kernarg_segment_size: 176
    .language:       OpenCL C
    .language_version:
      - 2
      - 0
    .max_flat_workgroup_size: 256
    .name:           _ZN7rocprim17ROCPRIM_400000_NS6detail17trampoline_kernelINS0_13select_configILj256ELj13ELNS0_17block_load_methodE3ELS4_3ELS4_3ELNS0_20block_scan_algorithmE0ELj4294967295EEENS1_25partition_config_selectorILNS1_17partition_subalgoE4EjNS0_10empty_typeEbEEZZNS1_14partition_implILS8_4ELb0ES6_15HIP_vector_typeIjLj2EENS0_17counting_iteratorIjlEEPS9_SG_NS0_5tupleIJPjSI_NS0_16reverse_iteratorISI_EEEEENSH_IJSG_SG_SG_EEES9_SI_JZNS1_25segmented_radix_sort_implINS0_14default_configELb0EPKlPlSQ_SR_N2at6native12_GLOBAL__N_18offset_tEEE10hipError_tPvRmT1_PNSt15iterator_traitsISZ_E10value_typeET2_T3_PNS10_IS15_E10value_typeET4_jRbjT5_S1B_jjP12ihipStream_tbEUljE_ZNSN_ISO_Lb0ESQ_SR_SQ_SR_SV_EESW_SX_SY_SZ_S13_S14_S15_S18_S19_jS1A_jS1B_S1B_jjS1D_bEUljE0_EEESW_SX_SY_S15_S19_S1B_T6_T7_T9_mT8_S1D_bDpT10_ENKUlT_T0_E_clISt17integral_constantIbLb1EES1Q_IbLb0EEEEDaS1M_S1N_EUlS1M_E_NS1_11comp_targetILNS1_3genE3ELNS1_11target_archE908ELNS1_3gpuE7ELNS1_3repE0EEENS1_30default_config_static_selectorELNS0_4arch9wavefront6targetE0EEEvSZ_
    .private_segment_fixed_size: 0
    .sgpr_count:     0
    .sgpr_spill_count: 0
    .symbol:         _ZN7rocprim17ROCPRIM_400000_NS6detail17trampoline_kernelINS0_13select_configILj256ELj13ELNS0_17block_load_methodE3ELS4_3ELS4_3ELNS0_20block_scan_algorithmE0ELj4294967295EEENS1_25partition_config_selectorILNS1_17partition_subalgoE4EjNS0_10empty_typeEbEEZZNS1_14partition_implILS8_4ELb0ES6_15HIP_vector_typeIjLj2EENS0_17counting_iteratorIjlEEPS9_SG_NS0_5tupleIJPjSI_NS0_16reverse_iteratorISI_EEEEENSH_IJSG_SG_SG_EEES9_SI_JZNS1_25segmented_radix_sort_implINS0_14default_configELb0EPKlPlSQ_SR_N2at6native12_GLOBAL__N_18offset_tEEE10hipError_tPvRmT1_PNSt15iterator_traitsISZ_E10value_typeET2_T3_PNS10_IS15_E10value_typeET4_jRbjT5_S1B_jjP12ihipStream_tbEUljE_ZNSN_ISO_Lb0ESQ_SR_SQ_SR_SV_EESW_SX_SY_SZ_S13_S14_S15_S18_S19_jS1A_jS1B_S1B_jjS1D_bEUljE0_EEESW_SX_SY_S15_S19_S1B_T6_T7_T9_mT8_S1D_bDpT10_ENKUlT_T0_E_clISt17integral_constantIbLb1EES1Q_IbLb0EEEEDaS1M_S1N_EUlS1M_E_NS1_11comp_targetILNS1_3genE3ELNS1_11target_archE908ELNS1_3gpuE7ELNS1_3repE0EEENS1_30default_config_static_selectorELNS0_4arch9wavefront6targetE0EEEvSZ_.kd
    .uniform_work_group_size: 1
    .uses_dynamic_stack: false
    .vgpr_count:     0
    .vgpr_spill_count: 0
    .wavefront_size: 32
    .workgroup_processor_mode: 1
  - .args:
      - .offset:         0
        .size:           176
        .value_kind:     by_value
    .group_segment_fixed_size: 0
    .kernarg_segment_align: 8
    .kernarg_segment_size: 176
    .language:       OpenCL C
    .language_version:
      - 2
      - 0
    .max_flat_workgroup_size: 256
    .name:           _ZN7rocprim17ROCPRIM_400000_NS6detail17trampoline_kernelINS0_13select_configILj256ELj13ELNS0_17block_load_methodE3ELS4_3ELS4_3ELNS0_20block_scan_algorithmE0ELj4294967295EEENS1_25partition_config_selectorILNS1_17partition_subalgoE4EjNS0_10empty_typeEbEEZZNS1_14partition_implILS8_4ELb0ES6_15HIP_vector_typeIjLj2EENS0_17counting_iteratorIjlEEPS9_SG_NS0_5tupleIJPjSI_NS0_16reverse_iteratorISI_EEEEENSH_IJSG_SG_SG_EEES9_SI_JZNS1_25segmented_radix_sort_implINS0_14default_configELb0EPKlPlSQ_SR_N2at6native12_GLOBAL__N_18offset_tEEE10hipError_tPvRmT1_PNSt15iterator_traitsISZ_E10value_typeET2_T3_PNS10_IS15_E10value_typeET4_jRbjT5_S1B_jjP12ihipStream_tbEUljE_ZNSN_ISO_Lb0ESQ_SR_SQ_SR_SV_EESW_SX_SY_SZ_S13_S14_S15_S18_S19_jS1A_jS1B_S1B_jjS1D_bEUljE0_EEESW_SX_SY_S15_S19_S1B_T6_T7_T9_mT8_S1D_bDpT10_ENKUlT_T0_E_clISt17integral_constantIbLb1EES1Q_IbLb0EEEEDaS1M_S1N_EUlS1M_E_NS1_11comp_targetILNS1_3genE2ELNS1_11target_archE906ELNS1_3gpuE6ELNS1_3repE0EEENS1_30default_config_static_selectorELNS0_4arch9wavefront6targetE0EEEvSZ_
    .private_segment_fixed_size: 0
    .sgpr_count:     0
    .sgpr_spill_count: 0
    .symbol:         _ZN7rocprim17ROCPRIM_400000_NS6detail17trampoline_kernelINS0_13select_configILj256ELj13ELNS0_17block_load_methodE3ELS4_3ELS4_3ELNS0_20block_scan_algorithmE0ELj4294967295EEENS1_25partition_config_selectorILNS1_17partition_subalgoE4EjNS0_10empty_typeEbEEZZNS1_14partition_implILS8_4ELb0ES6_15HIP_vector_typeIjLj2EENS0_17counting_iteratorIjlEEPS9_SG_NS0_5tupleIJPjSI_NS0_16reverse_iteratorISI_EEEEENSH_IJSG_SG_SG_EEES9_SI_JZNS1_25segmented_radix_sort_implINS0_14default_configELb0EPKlPlSQ_SR_N2at6native12_GLOBAL__N_18offset_tEEE10hipError_tPvRmT1_PNSt15iterator_traitsISZ_E10value_typeET2_T3_PNS10_IS15_E10value_typeET4_jRbjT5_S1B_jjP12ihipStream_tbEUljE_ZNSN_ISO_Lb0ESQ_SR_SQ_SR_SV_EESW_SX_SY_SZ_S13_S14_S15_S18_S19_jS1A_jS1B_S1B_jjS1D_bEUljE0_EEESW_SX_SY_S15_S19_S1B_T6_T7_T9_mT8_S1D_bDpT10_ENKUlT_T0_E_clISt17integral_constantIbLb1EES1Q_IbLb0EEEEDaS1M_S1N_EUlS1M_E_NS1_11comp_targetILNS1_3genE2ELNS1_11target_archE906ELNS1_3gpuE6ELNS1_3repE0EEENS1_30default_config_static_selectorELNS0_4arch9wavefront6targetE0EEEvSZ_.kd
    .uniform_work_group_size: 1
    .uses_dynamic_stack: false
    .vgpr_count:     0
    .vgpr_spill_count: 0
    .wavefront_size: 32
    .workgroup_processor_mode: 1
  - .args:
      - .offset:         0
        .size:           176
        .value_kind:     by_value
    .group_segment_fixed_size: 0
    .kernarg_segment_align: 8
    .kernarg_segment_size: 176
    .language:       OpenCL C
    .language_version:
      - 2
      - 0
    .max_flat_workgroup_size: 256
    .name:           _ZN7rocprim17ROCPRIM_400000_NS6detail17trampoline_kernelINS0_13select_configILj256ELj13ELNS0_17block_load_methodE3ELS4_3ELS4_3ELNS0_20block_scan_algorithmE0ELj4294967295EEENS1_25partition_config_selectorILNS1_17partition_subalgoE4EjNS0_10empty_typeEbEEZZNS1_14partition_implILS8_4ELb0ES6_15HIP_vector_typeIjLj2EENS0_17counting_iteratorIjlEEPS9_SG_NS0_5tupleIJPjSI_NS0_16reverse_iteratorISI_EEEEENSH_IJSG_SG_SG_EEES9_SI_JZNS1_25segmented_radix_sort_implINS0_14default_configELb0EPKlPlSQ_SR_N2at6native12_GLOBAL__N_18offset_tEEE10hipError_tPvRmT1_PNSt15iterator_traitsISZ_E10value_typeET2_T3_PNS10_IS15_E10value_typeET4_jRbjT5_S1B_jjP12ihipStream_tbEUljE_ZNSN_ISO_Lb0ESQ_SR_SQ_SR_SV_EESW_SX_SY_SZ_S13_S14_S15_S18_S19_jS1A_jS1B_S1B_jjS1D_bEUljE0_EEESW_SX_SY_S15_S19_S1B_T6_T7_T9_mT8_S1D_bDpT10_ENKUlT_T0_E_clISt17integral_constantIbLb1EES1Q_IbLb0EEEEDaS1M_S1N_EUlS1M_E_NS1_11comp_targetILNS1_3genE10ELNS1_11target_archE1200ELNS1_3gpuE4ELNS1_3repE0EEENS1_30default_config_static_selectorELNS0_4arch9wavefront6targetE0EEEvSZ_
    .private_segment_fixed_size: 0
    .sgpr_count:     0
    .sgpr_spill_count: 0
    .symbol:         _ZN7rocprim17ROCPRIM_400000_NS6detail17trampoline_kernelINS0_13select_configILj256ELj13ELNS0_17block_load_methodE3ELS4_3ELS4_3ELNS0_20block_scan_algorithmE0ELj4294967295EEENS1_25partition_config_selectorILNS1_17partition_subalgoE4EjNS0_10empty_typeEbEEZZNS1_14partition_implILS8_4ELb0ES6_15HIP_vector_typeIjLj2EENS0_17counting_iteratorIjlEEPS9_SG_NS0_5tupleIJPjSI_NS0_16reverse_iteratorISI_EEEEENSH_IJSG_SG_SG_EEES9_SI_JZNS1_25segmented_radix_sort_implINS0_14default_configELb0EPKlPlSQ_SR_N2at6native12_GLOBAL__N_18offset_tEEE10hipError_tPvRmT1_PNSt15iterator_traitsISZ_E10value_typeET2_T3_PNS10_IS15_E10value_typeET4_jRbjT5_S1B_jjP12ihipStream_tbEUljE_ZNSN_ISO_Lb0ESQ_SR_SQ_SR_SV_EESW_SX_SY_SZ_S13_S14_S15_S18_S19_jS1A_jS1B_S1B_jjS1D_bEUljE0_EEESW_SX_SY_S15_S19_S1B_T6_T7_T9_mT8_S1D_bDpT10_ENKUlT_T0_E_clISt17integral_constantIbLb1EES1Q_IbLb0EEEEDaS1M_S1N_EUlS1M_E_NS1_11comp_targetILNS1_3genE10ELNS1_11target_archE1200ELNS1_3gpuE4ELNS1_3repE0EEENS1_30default_config_static_selectorELNS0_4arch9wavefront6targetE0EEEvSZ_.kd
    .uniform_work_group_size: 1
    .uses_dynamic_stack: false
    .vgpr_count:     0
    .vgpr_spill_count: 0
    .wavefront_size: 32
    .workgroup_processor_mode: 1
  - .args:
      - .offset:         0
        .size:           176
        .value_kind:     by_value
    .group_segment_fixed_size: 13340
    .kernarg_segment_align: 8
    .kernarg_segment_size: 176
    .language:       OpenCL C
    .language_version:
      - 2
      - 0
    .max_flat_workgroup_size: 256
    .name:           _ZN7rocprim17ROCPRIM_400000_NS6detail17trampoline_kernelINS0_13select_configILj256ELj13ELNS0_17block_load_methodE3ELS4_3ELS4_3ELNS0_20block_scan_algorithmE0ELj4294967295EEENS1_25partition_config_selectorILNS1_17partition_subalgoE4EjNS0_10empty_typeEbEEZZNS1_14partition_implILS8_4ELb0ES6_15HIP_vector_typeIjLj2EENS0_17counting_iteratorIjlEEPS9_SG_NS0_5tupleIJPjSI_NS0_16reverse_iteratorISI_EEEEENSH_IJSG_SG_SG_EEES9_SI_JZNS1_25segmented_radix_sort_implINS0_14default_configELb0EPKlPlSQ_SR_N2at6native12_GLOBAL__N_18offset_tEEE10hipError_tPvRmT1_PNSt15iterator_traitsISZ_E10value_typeET2_T3_PNS10_IS15_E10value_typeET4_jRbjT5_S1B_jjP12ihipStream_tbEUljE_ZNSN_ISO_Lb0ESQ_SR_SQ_SR_SV_EESW_SX_SY_SZ_S13_S14_S15_S18_S19_jS1A_jS1B_S1B_jjS1D_bEUljE0_EEESW_SX_SY_S15_S19_S1B_T6_T7_T9_mT8_S1D_bDpT10_ENKUlT_T0_E_clISt17integral_constantIbLb1EES1Q_IbLb0EEEEDaS1M_S1N_EUlS1M_E_NS1_11comp_targetILNS1_3genE9ELNS1_11target_archE1100ELNS1_3gpuE3ELNS1_3repE0EEENS1_30default_config_static_selectorELNS0_4arch9wavefront6targetE0EEEvSZ_
    .private_segment_fixed_size: 0
    .sgpr_count:     61
    .sgpr_spill_count: 0
    .symbol:         _ZN7rocprim17ROCPRIM_400000_NS6detail17trampoline_kernelINS0_13select_configILj256ELj13ELNS0_17block_load_methodE3ELS4_3ELS4_3ELNS0_20block_scan_algorithmE0ELj4294967295EEENS1_25partition_config_selectorILNS1_17partition_subalgoE4EjNS0_10empty_typeEbEEZZNS1_14partition_implILS8_4ELb0ES6_15HIP_vector_typeIjLj2EENS0_17counting_iteratorIjlEEPS9_SG_NS0_5tupleIJPjSI_NS0_16reverse_iteratorISI_EEEEENSH_IJSG_SG_SG_EEES9_SI_JZNS1_25segmented_radix_sort_implINS0_14default_configELb0EPKlPlSQ_SR_N2at6native12_GLOBAL__N_18offset_tEEE10hipError_tPvRmT1_PNSt15iterator_traitsISZ_E10value_typeET2_T3_PNS10_IS15_E10value_typeET4_jRbjT5_S1B_jjP12ihipStream_tbEUljE_ZNSN_ISO_Lb0ESQ_SR_SQ_SR_SV_EESW_SX_SY_SZ_S13_S14_S15_S18_S19_jS1A_jS1B_S1B_jjS1D_bEUljE0_EEESW_SX_SY_S15_S19_S1B_T6_T7_T9_mT8_S1D_bDpT10_ENKUlT_T0_E_clISt17integral_constantIbLb1EES1Q_IbLb0EEEEDaS1M_S1N_EUlS1M_E_NS1_11comp_targetILNS1_3genE9ELNS1_11target_archE1100ELNS1_3gpuE3ELNS1_3repE0EEENS1_30default_config_static_selectorELNS0_4arch9wavefront6targetE0EEEvSZ_.kd
    .uniform_work_group_size: 1
    .uses_dynamic_stack: false
    .vgpr_count:     98
    .vgpr_spill_count: 0
    .wavefront_size: 32
    .workgroup_processor_mode: 1
  - .args:
      - .offset:         0
        .size:           176
        .value_kind:     by_value
    .group_segment_fixed_size: 0
    .kernarg_segment_align: 8
    .kernarg_segment_size: 176
    .language:       OpenCL C
    .language_version:
      - 2
      - 0
    .max_flat_workgroup_size: 256
    .name:           _ZN7rocprim17ROCPRIM_400000_NS6detail17trampoline_kernelINS0_13select_configILj256ELj13ELNS0_17block_load_methodE3ELS4_3ELS4_3ELNS0_20block_scan_algorithmE0ELj4294967295EEENS1_25partition_config_selectorILNS1_17partition_subalgoE4EjNS0_10empty_typeEbEEZZNS1_14partition_implILS8_4ELb0ES6_15HIP_vector_typeIjLj2EENS0_17counting_iteratorIjlEEPS9_SG_NS0_5tupleIJPjSI_NS0_16reverse_iteratorISI_EEEEENSH_IJSG_SG_SG_EEES9_SI_JZNS1_25segmented_radix_sort_implINS0_14default_configELb0EPKlPlSQ_SR_N2at6native12_GLOBAL__N_18offset_tEEE10hipError_tPvRmT1_PNSt15iterator_traitsISZ_E10value_typeET2_T3_PNS10_IS15_E10value_typeET4_jRbjT5_S1B_jjP12ihipStream_tbEUljE_ZNSN_ISO_Lb0ESQ_SR_SQ_SR_SV_EESW_SX_SY_SZ_S13_S14_S15_S18_S19_jS1A_jS1B_S1B_jjS1D_bEUljE0_EEESW_SX_SY_S15_S19_S1B_T6_T7_T9_mT8_S1D_bDpT10_ENKUlT_T0_E_clISt17integral_constantIbLb1EES1Q_IbLb0EEEEDaS1M_S1N_EUlS1M_E_NS1_11comp_targetILNS1_3genE8ELNS1_11target_archE1030ELNS1_3gpuE2ELNS1_3repE0EEENS1_30default_config_static_selectorELNS0_4arch9wavefront6targetE0EEEvSZ_
    .private_segment_fixed_size: 0
    .sgpr_count:     0
    .sgpr_spill_count: 0
    .symbol:         _ZN7rocprim17ROCPRIM_400000_NS6detail17trampoline_kernelINS0_13select_configILj256ELj13ELNS0_17block_load_methodE3ELS4_3ELS4_3ELNS0_20block_scan_algorithmE0ELj4294967295EEENS1_25partition_config_selectorILNS1_17partition_subalgoE4EjNS0_10empty_typeEbEEZZNS1_14partition_implILS8_4ELb0ES6_15HIP_vector_typeIjLj2EENS0_17counting_iteratorIjlEEPS9_SG_NS0_5tupleIJPjSI_NS0_16reverse_iteratorISI_EEEEENSH_IJSG_SG_SG_EEES9_SI_JZNS1_25segmented_radix_sort_implINS0_14default_configELb0EPKlPlSQ_SR_N2at6native12_GLOBAL__N_18offset_tEEE10hipError_tPvRmT1_PNSt15iterator_traitsISZ_E10value_typeET2_T3_PNS10_IS15_E10value_typeET4_jRbjT5_S1B_jjP12ihipStream_tbEUljE_ZNSN_ISO_Lb0ESQ_SR_SQ_SR_SV_EESW_SX_SY_SZ_S13_S14_S15_S18_S19_jS1A_jS1B_S1B_jjS1D_bEUljE0_EEESW_SX_SY_S15_S19_S1B_T6_T7_T9_mT8_S1D_bDpT10_ENKUlT_T0_E_clISt17integral_constantIbLb1EES1Q_IbLb0EEEEDaS1M_S1N_EUlS1M_E_NS1_11comp_targetILNS1_3genE8ELNS1_11target_archE1030ELNS1_3gpuE2ELNS1_3repE0EEENS1_30default_config_static_selectorELNS0_4arch9wavefront6targetE0EEEvSZ_.kd
    .uniform_work_group_size: 1
    .uses_dynamic_stack: false
    .vgpr_count:     0
    .vgpr_spill_count: 0
    .wavefront_size: 32
    .workgroup_processor_mode: 1
  - .args:
      - .offset:         0
        .size:           184
        .value_kind:     by_value
    .group_segment_fixed_size: 0
    .kernarg_segment_align: 8
    .kernarg_segment_size: 184
    .language:       OpenCL C
    .language_version:
      - 2
      - 0
    .max_flat_workgroup_size: 256
    .name:           _ZN7rocprim17ROCPRIM_400000_NS6detail17trampoline_kernelINS0_13select_configILj256ELj13ELNS0_17block_load_methodE3ELS4_3ELS4_3ELNS0_20block_scan_algorithmE0ELj4294967295EEENS1_25partition_config_selectorILNS1_17partition_subalgoE4EjNS0_10empty_typeEbEEZZNS1_14partition_implILS8_4ELb0ES6_15HIP_vector_typeIjLj2EENS0_17counting_iteratorIjlEEPS9_SG_NS0_5tupleIJPjSI_NS0_16reverse_iteratorISI_EEEEENSH_IJSG_SG_SG_EEES9_SI_JZNS1_25segmented_radix_sort_implINS0_14default_configELb0EPKlPlSQ_SR_N2at6native12_GLOBAL__N_18offset_tEEE10hipError_tPvRmT1_PNSt15iterator_traitsISZ_E10value_typeET2_T3_PNS10_IS15_E10value_typeET4_jRbjT5_S1B_jjP12ihipStream_tbEUljE_ZNSN_ISO_Lb0ESQ_SR_SQ_SR_SV_EESW_SX_SY_SZ_S13_S14_S15_S18_S19_jS1A_jS1B_S1B_jjS1D_bEUljE0_EEESW_SX_SY_S15_S19_S1B_T6_T7_T9_mT8_S1D_bDpT10_ENKUlT_T0_E_clISt17integral_constantIbLb0EES1Q_IbLb1EEEEDaS1M_S1N_EUlS1M_E_NS1_11comp_targetILNS1_3genE0ELNS1_11target_archE4294967295ELNS1_3gpuE0ELNS1_3repE0EEENS1_30default_config_static_selectorELNS0_4arch9wavefront6targetE0EEEvSZ_
    .private_segment_fixed_size: 0
    .sgpr_count:     0
    .sgpr_spill_count: 0
    .symbol:         _ZN7rocprim17ROCPRIM_400000_NS6detail17trampoline_kernelINS0_13select_configILj256ELj13ELNS0_17block_load_methodE3ELS4_3ELS4_3ELNS0_20block_scan_algorithmE0ELj4294967295EEENS1_25partition_config_selectorILNS1_17partition_subalgoE4EjNS0_10empty_typeEbEEZZNS1_14partition_implILS8_4ELb0ES6_15HIP_vector_typeIjLj2EENS0_17counting_iteratorIjlEEPS9_SG_NS0_5tupleIJPjSI_NS0_16reverse_iteratorISI_EEEEENSH_IJSG_SG_SG_EEES9_SI_JZNS1_25segmented_radix_sort_implINS0_14default_configELb0EPKlPlSQ_SR_N2at6native12_GLOBAL__N_18offset_tEEE10hipError_tPvRmT1_PNSt15iterator_traitsISZ_E10value_typeET2_T3_PNS10_IS15_E10value_typeET4_jRbjT5_S1B_jjP12ihipStream_tbEUljE_ZNSN_ISO_Lb0ESQ_SR_SQ_SR_SV_EESW_SX_SY_SZ_S13_S14_S15_S18_S19_jS1A_jS1B_S1B_jjS1D_bEUljE0_EEESW_SX_SY_S15_S19_S1B_T6_T7_T9_mT8_S1D_bDpT10_ENKUlT_T0_E_clISt17integral_constantIbLb0EES1Q_IbLb1EEEEDaS1M_S1N_EUlS1M_E_NS1_11comp_targetILNS1_3genE0ELNS1_11target_archE4294967295ELNS1_3gpuE0ELNS1_3repE0EEENS1_30default_config_static_selectorELNS0_4arch9wavefront6targetE0EEEvSZ_.kd
    .uniform_work_group_size: 1
    .uses_dynamic_stack: false
    .vgpr_count:     0
    .vgpr_spill_count: 0
    .wavefront_size: 32
    .workgroup_processor_mode: 1
  - .args:
      - .offset:         0
        .size:           184
        .value_kind:     by_value
    .group_segment_fixed_size: 0
    .kernarg_segment_align: 8
    .kernarg_segment_size: 184
    .language:       OpenCL C
    .language_version:
      - 2
      - 0
    .max_flat_workgroup_size: 256
    .name:           _ZN7rocprim17ROCPRIM_400000_NS6detail17trampoline_kernelINS0_13select_configILj256ELj13ELNS0_17block_load_methodE3ELS4_3ELS4_3ELNS0_20block_scan_algorithmE0ELj4294967295EEENS1_25partition_config_selectorILNS1_17partition_subalgoE4EjNS0_10empty_typeEbEEZZNS1_14partition_implILS8_4ELb0ES6_15HIP_vector_typeIjLj2EENS0_17counting_iteratorIjlEEPS9_SG_NS0_5tupleIJPjSI_NS0_16reverse_iteratorISI_EEEEENSH_IJSG_SG_SG_EEES9_SI_JZNS1_25segmented_radix_sort_implINS0_14default_configELb0EPKlPlSQ_SR_N2at6native12_GLOBAL__N_18offset_tEEE10hipError_tPvRmT1_PNSt15iterator_traitsISZ_E10value_typeET2_T3_PNS10_IS15_E10value_typeET4_jRbjT5_S1B_jjP12ihipStream_tbEUljE_ZNSN_ISO_Lb0ESQ_SR_SQ_SR_SV_EESW_SX_SY_SZ_S13_S14_S15_S18_S19_jS1A_jS1B_S1B_jjS1D_bEUljE0_EEESW_SX_SY_S15_S19_S1B_T6_T7_T9_mT8_S1D_bDpT10_ENKUlT_T0_E_clISt17integral_constantIbLb0EES1Q_IbLb1EEEEDaS1M_S1N_EUlS1M_E_NS1_11comp_targetILNS1_3genE5ELNS1_11target_archE942ELNS1_3gpuE9ELNS1_3repE0EEENS1_30default_config_static_selectorELNS0_4arch9wavefront6targetE0EEEvSZ_
    .private_segment_fixed_size: 0
    .sgpr_count:     0
    .sgpr_spill_count: 0
    .symbol:         _ZN7rocprim17ROCPRIM_400000_NS6detail17trampoline_kernelINS0_13select_configILj256ELj13ELNS0_17block_load_methodE3ELS4_3ELS4_3ELNS0_20block_scan_algorithmE0ELj4294967295EEENS1_25partition_config_selectorILNS1_17partition_subalgoE4EjNS0_10empty_typeEbEEZZNS1_14partition_implILS8_4ELb0ES6_15HIP_vector_typeIjLj2EENS0_17counting_iteratorIjlEEPS9_SG_NS0_5tupleIJPjSI_NS0_16reverse_iteratorISI_EEEEENSH_IJSG_SG_SG_EEES9_SI_JZNS1_25segmented_radix_sort_implINS0_14default_configELb0EPKlPlSQ_SR_N2at6native12_GLOBAL__N_18offset_tEEE10hipError_tPvRmT1_PNSt15iterator_traitsISZ_E10value_typeET2_T3_PNS10_IS15_E10value_typeET4_jRbjT5_S1B_jjP12ihipStream_tbEUljE_ZNSN_ISO_Lb0ESQ_SR_SQ_SR_SV_EESW_SX_SY_SZ_S13_S14_S15_S18_S19_jS1A_jS1B_S1B_jjS1D_bEUljE0_EEESW_SX_SY_S15_S19_S1B_T6_T7_T9_mT8_S1D_bDpT10_ENKUlT_T0_E_clISt17integral_constantIbLb0EES1Q_IbLb1EEEEDaS1M_S1N_EUlS1M_E_NS1_11comp_targetILNS1_3genE5ELNS1_11target_archE942ELNS1_3gpuE9ELNS1_3repE0EEENS1_30default_config_static_selectorELNS0_4arch9wavefront6targetE0EEEvSZ_.kd
    .uniform_work_group_size: 1
    .uses_dynamic_stack: false
    .vgpr_count:     0
    .vgpr_spill_count: 0
    .wavefront_size: 32
    .workgroup_processor_mode: 1
  - .args:
      - .offset:         0
        .size:           184
        .value_kind:     by_value
    .group_segment_fixed_size: 0
    .kernarg_segment_align: 8
    .kernarg_segment_size: 184
    .language:       OpenCL C
    .language_version:
      - 2
      - 0
    .max_flat_workgroup_size: 256
    .name:           _ZN7rocprim17ROCPRIM_400000_NS6detail17trampoline_kernelINS0_13select_configILj256ELj13ELNS0_17block_load_methodE3ELS4_3ELS4_3ELNS0_20block_scan_algorithmE0ELj4294967295EEENS1_25partition_config_selectorILNS1_17partition_subalgoE4EjNS0_10empty_typeEbEEZZNS1_14partition_implILS8_4ELb0ES6_15HIP_vector_typeIjLj2EENS0_17counting_iteratorIjlEEPS9_SG_NS0_5tupleIJPjSI_NS0_16reverse_iteratorISI_EEEEENSH_IJSG_SG_SG_EEES9_SI_JZNS1_25segmented_radix_sort_implINS0_14default_configELb0EPKlPlSQ_SR_N2at6native12_GLOBAL__N_18offset_tEEE10hipError_tPvRmT1_PNSt15iterator_traitsISZ_E10value_typeET2_T3_PNS10_IS15_E10value_typeET4_jRbjT5_S1B_jjP12ihipStream_tbEUljE_ZNSN_ISO_Lb0ESQ_SR_SQ_SR_SV_EESW_SX_SY_SZ_S13_S14_S15_S18_S19_jS1A_jS1B_S1B_jjS1D_bEUljE0_EEESW_SX_SY_S15_S19_S1B_T6_T7_T9_mT8_S1D_bDpT10_ENKUlT_T0_E_clISt17integral_constantIbLb0EES1Q_IbLb1EEEEDaS1M_S1N_EUlS1M_E_NS1_11comp_targetILNS1_3genE4ELNS1_11target_archE910ELNS1_3gpuE8ELNS1_3repE0EEENS1_30default_config_static_selectorELNS0_4arch9wavefront6targetE0EEEvSZ_
    .private_segment_fixed_size: 0
    .sgpr_count:     0
    .sgpr_spill_count: 0
    .symbol:         _ZN7rocprim17ROCPRIM_400000_NS6detail17trampoline_kernelINS0_13select_configILj256ELj13ELNS0_17block_load_methodE3ELS4_3ELS4_3ELNS0_20block_scan_algorithmE0ELj4294967295EEENS1_25partition_config_selectorILNS1_17partition_subalgoE4EjNS0_10empty_typeEbEEZZNS1_14partition_implILS8_4ELb0ES6_15HIP_vector_typeIjLj2EENS0_17counting_iteratorIjlEEPS9_SG_NS0_5tupleIJPjSI_NS0_16reverse_iteratorISI_EEEEENSH_IJSG_SG_SG_EEES9_SI_JZNS1_25segmented_radix_sort_implINS0_14default_configELb0EPKlPlSQ_SR_N2at6native12_GLOBAL__N_18offset_tEEE10hipError_tPvRmT1_PNSt15iterator_traitsISZ_E10value_typeET2_T3_PNS10_IS15_E10value_typeET4_jRbjT5_S1B_jjP12ihipStream_tbEUljE_ZNSN_ISO_Lb0ESQ_SR_SQ_SR_SV_EESW_SX_SY_SZ_S13_S14_S15_S18_S19_jS1A_jS1B_S1B_jjS1D_bEUljE0_EEESW_SX_SY_S15_S19_S1B_T6_T7_T9_mT8_S1D_bDpT10_ENKUlT_T0_E_clISt17integral_constantIbLb0EES1Q_IbLb1EEEEDaS1M_S1N_EUlS1M_E_NS1_11comp_targetILNS1_3genE4ELNS1_11target_archE910ELNS1_3gpuE8ELNS1_3repE0EEENS1_30default_config_static_selectorELNS0_4arch9wavefront6targetE0EEEvSZ_.kd
    .uniform_work_group_size: 1
    .uses_dynamic_stack: false
    .vgpr_count:     0
    .vgpr_spill_count: 0
    .wavefront_size: 32
    .workgroup_processor_mode: 1
  - .args:
      - .offset:         0
        .size:           184
        .value_kind:     by_value
    .group_segment_fixed_size: 0
    .kernarg_segment_align: 8
    .kernarg_segment_size: 184
    .language:       OpenCL C
    .language_version:
      - 2
      - 0
    .max_flat_workgroup_size: 256
    .name:           _ZN7rocprim17ROCPRIM_400000_NS6detail17trampoline_kernelINS0_13select_configILj256ELj13ELNS0_17block_load_methodE3ELS4_3ELS4_3ELNS0_20block_scan_algorithmE0ELj4294967295EEENS1_25partition_config_selectorILNS1_17partition_subalgoE4EjNS0_10empty_typeEbEEZZNS1_14partition_implILS8_4ELb0ES6_15HIP_vector_typeIjLj2EENS0_17counting_iteratorIjlEEPS9_SG_NS0_5tupleIJPjSI_NS0_16reverse_iteratorISI_EEEEENSH_IJSG_SG_SG_EEES9_SI_JZNS1_25segmented_radix_sort_implINS0_14default_configELb0EPKlPlSQ_SR_N2at6native12_GLOBAL__N_18offset_tEEE10hipError_tPvRmT1_PNSt15iterator_traitsISZ_E10value_typeET2_T3_PNS10_IS15_E10value_typeET4_jRbjT5_S1B_jjP12ihipStream_tbEUljE_ZNSN_ISO_Lb0ESQ_SR_SQ_SR_SV_EESW_SX_SY_SZ_S13_S14_S15_S18_S19_jS1A_jS1B_S1B_jjS1D_bEUljE0_EEESW_SX_SY_S15_S19_S1B_T6_T7_T9_mT8_S1D_bDpT10_ENKUlT_T0_E_clISt17integral_constantIbLb0EES1Q_IbLb1EEEEDaS1M_S1N_EUlS1M_E_NS1_11comp_targetILNS1_3genE3ELNS1_11target_archE908ELNS1_3gpuE7ELNS1_3repE0EEENS1_30default_config_static_selectorELNS0_4arch9wavefront6targetE0EEEvSZ_
    .private_segment_fixed_size: 0
    .sgpr_count:     0
    .sgpr_spill_count: 0
    .symbol:         _ZN7rocprim17ROCPRIM_400000_NS6detail17trampoline_kernelINS0_13select_configILj256ELj13ELNS0_17block_load_methodE3ELS4_3ELS4_3ELNS0_20block_scan_algorithmE0ELj4294967295EEENS1_25partition_config_selectorILNS1_17partition_subalgoE4EjNS0_10empty_typeEbEEZZNS1_14partition_implILS8_4ELb0ES6_15HIP_vector_typeIjLj2EENS0_17counting_iteratorIjlEEPS9_SG_NS0_5tupleIJPjSI_NS0_16reverse_iteratorISI_EEEEENSH_IJSG_SG_SG_EEES9_SI_JZNS1_25segmented_radix_sort_implINS0_14default_configELb0EPKlPlSQ_SR_N2at6native12_GLOBAL__N_18offset_tEEE10hipError_tPvRmT1_PNSt15iterator_traitsISZ_E10value_typeET2_T3_PNS10_IS15_E10value_typeET4_jRbjT5_S1B_jjP12ihipStream_tbEUljE_ZNSN_ISO_Lb0ESQ_SR_SQ_SR_SV_EESW_SX_SY_SZ_S13_S14_S15_S18_S19_jS1A_jS1B_S1B_jjS1D_bEUljE0_EEESW_SX_SY_S15_S19_S1B_T6_T7_T9_mT8_S1D_bDpT10_ENKUlT_T0_E_clISt17integral_constantIbLb0EES1Q_IbLb1EEEEDaS1M_S1N_EUlS1M_E_NS1_11comp_targetILNS1_3genE3ELNS1_11target_archE908ELNS1_3gpuE7ELNS1_3repE0EEENS1_30default_config_static_selectorELNS0_4arch9wavefront6targetE0EEEvSZ_.kd
    .uniform_work_group_size: 1
    .uses_dynamic_stack: false
    .vgpr_count:     0
    .vgpr_spill_count: 0
    .wavefront_size: 32
    .workgroup_processor_mode: 1
  - .args:
      - .offset:         0
        .size:           184
        .value_kind:     by_value
    .group_segment_fixed_size: 0
    .kernarg_segment_align: 8
    .kernarg_segment_size: 184
    .language:       OpenCL C
    .language_version:
      - 2
      - 0
    .max_flat_workgroup_size: 256
    .name:           _ZN7rocprim17ROCPRIM_400000_NS6detail17trampoline_kernelINS0_13select_configILj256ELj13ELNS0_17block_load_methodE3ELS4_3ELS4_3ELNS0_20block_scan_algorithmE0ELj4294967295EEENS1_25partition_config_selectorILNS1_17partition_subalgoE4EjNS0_10empty_typeEbEEZZNS1_14partition_implILS8_4ELb0ES6_15HIP_vector_typeIjLj2EENS0_17counting_iteratorIjlEEPS9_SG_NS0_5tupleIJPjSI_NS0_16reverse_iteratorISI_EEEEENSH_IJSG_SG_SG_EEES9_SI_JZNS1_25segmented_radix_sort_implINS0_14default_configELb0EPKlPlSQ_SR_N2at6native12_GLOBAL__N_18offset_tEEE10hipError_tPvRmT1_PNSt15iterator_traitsISZ_E10value_typeET2_T3_PNS10_IS15_E10value_typeET4_jRbjT5_S1B_jjP12ihipStream_tbEUljE_ZNSN_ISO_Lb0ESQ_SR_SQ_SR_SV_EESW_SX_SY_SZ_S13_S14_S15_S18_S19_jS1A_jS1B_S1B_jjS1D_bEUljE0_EEESW_SX_SY_S15_S19_S1B_T6_T7_T9_mT8_S1D_bDpT10_ENKUlT_T0_E_clISt17integral_constantIbLb0EES1Q_IbLb1EEEEDaS1M_S1N_EUlS1M_E_NS1_11comp_targetILNS1_3genE2ELNS1_11target_archE906ELNS1_3gpuE6ELNS1_3repE0EEENS1_30default_config_static_selectorELNS0_4arch9wavefront6targetE0EEEvSZ_
    .private_segment_fixed_size: 0
    .sgpr_count:     0
    .sgpr_spill_count: 0
    .symbol:         _ZN7rocprim17ROCPRIM_400000_NS6detail17trampoline_kernelINS0_13select_configILj256ELj13ELNS0_17block_load_methodE3ELS4_3ELS4_3ELNS0_20block_scan_algorithmE0ELj4294967295EEENS1_25partition_config_selectorILNS1_17partition_subalgoE4EjNS0_10empty_typeEbEEZZNS1_14partition_implILS8_4ELb0ES6_15HIP_vector_typeIjLj2EENS0_17counting_iteratorIjlEEPS9_SG_NS0_5tupleIJPjSI_NS0_16reverse_iteratorISI_EEEEENSH_IJSG_SG_SG_EEES9_SI_JZNS1_25segmented_radix_sort_implINS0_14default_configELb0EPKlPlSQ_SR_N2at6native12_GLOBAL__N_18offset_tEEE10hipError_tPvRmT1_PNSt15iterator_traitsISZ_E10value_typeET2_T3_PNS10_IS15_E10value_typeET4_jRbjT5_S1B_jjP12ihipStream_tbEUljE_ZNSN_ISO_Lb0ESQ_SR_SQ_SR_SV_EESW_SX_SY_SZ_S13_S14_S15_S18_S19_jS1A_jS1B_S1B_jjS1D_bEUljE0_EEESW_SX_SY_S15_S19_S1B_T6_T7_T9_mT8_S1D_bDpT10_ENKUlT_T0_E_clISt17integral_constantIbLb0EES1Q_IbLb1EEEEDaS1M_S1N_EUlS1M_E_NS1_11comp_targetILNS1_3genE2ELNS1_11target_archE906ELNS1_3gpuE6ELNS1_3repE0EEENS1_30default_config_static_selectorELNS0_4arch9wavefront6targetE0EEEvSZ_.kd
    .uniform_work_group_size: 1
    .uses_dynamic_stack: false
    .vgpr_count:     0
    .vgpr_spill_count: 0
    .wavefront_size: 32
    .workgroup_processor_mode: 1
  - .args:
      - .offset:         0
        .size:           184
        .value_kind:     by_value
    .group_segment_fixed_size: 0
    .kernarg_segment_align: 8
    .kernarg_segment_size: 184
    .language:       OpenCL C
    .language_version:
      - 2
      - 0
    .max_flat_workgroup_size: 256
    .name:           _ZN7rocprim17ROCPRIM_400000_NS6detail17trampoline_kernelINS0_13select_configILj256ELj13ELNS0_17block_load_methodE3ELS4_3ELS4_3ELNS0_20block_scan_algorithmE0ELj4294967295EEENS1_25partition_config_selectorILNS1_17partition_subalgoE4EjNS0_10empty_typeEbEEZZNS1_14partition_implILS8_4ELb0ES6_15HIP_vector_typeIjLj2EENS0_17counting_iteratorIjlEEPS9_SG_NS0_5tupleIJPjSI_NS0_16reverse_iteratorISI_EEEEENSH_IJSG_SG_SG_EEES9_SI_JZNS1_25segmented_radix_sort_implINS0_14default_configELb0EPKlPlSQ_SR_N2at6native12_GLOBAL__N_18offset_tEEE10hipError_tPvRmT1_PNSt15iterator_traitsISZ_E10value_typeET2_T3_PNS10_IS15_E10value_typeET4_jRbjT5_S1B_jjP12ihipStream_tbEUljE_ZNSN_ISO_Lb0ESQ_SR_SQ_SR_SV_EESW_SX_SY_SZ_S13_S14_S15_S18_S19_jS1A_jS1B_S1B_jjS1D_bEUljE0_EEESW_SX_SY_S15_S19_S1B_T6_T7_T9_mT8_S1D_bDpT10_ENKUlT_T0_E_clISt17integral_constantIbLb0EES1Q_IbLb1EEEEDaS1M_S1N_EUlS1M_E_NS1_11comp_targetILNS1_3genE10ELNS1_11target_archE1200ELNS1_3gpuE4ELNS1_3repE0EEENS1_30default_config_static_selectorELNS0_4arch9wavefront6targetE0EEEvSZ_
    .private_segment_fixed_size: 0
    .sgpr_count:     0
    .sgpr_spill_count: 0
    .symbol:         _ZN7rocprim17ROCPRIM_400000_NS6detail17trampoline_kernelINS0_13select_configILj256ELj13ELNS0_17block_load_methodE3ELS4_3ELS4_3ELNS0_20block_scan_algorithmE0ELj4294967295EEENS1_25partition_config_selectorILNS1_17partition_subalgoE4EjNS0_10empty_typeEbEEZZNS1_14partition_implILS8_4ELb0ES6_15HIP_vector_typeIjLj2EENS0_17counting_iteratorIjlEEPS9_SG_NS0_5tupleIJPjSI_NS0_16reverse_iteratorISI_EEEEENSH_IJSG_SG_SG_EEES9_SI_JZNS1_25segmented_radix_sort_implINS0_14default_configELb0EPKlPlSQ_SR_N2at6native12_GLOBAL__N_18offset_tEEE10hipError_tPvRmT1_PNSt15iterator_traitsISZ_E10value_typeET2_T3_PNS10_IS15_E10value_typeET4_jRbjT5_S1B_jjP12ihipStream_tbEUljE_ZNSN_ISO_Lb0ESQ_SR_SQ_SR_SV_EESW_SX_SY_SZ_S13_S14_S15_S18_S19_jS1A_jS1B_S1B_jjS1D_bEUljE0_EEESW_SX_SY_S15_S19_S1B_T6_T7_T9_mT8_S1D_bDpT10_ENKUlT_T0_E_clISt17integral_constantIbLb0EES1Q_IbLb1EEEEDaS1M_S1N_EUlS1M_E_NS1_11comp_targetILNS1_3genE10ELNS1_11target_archE1200ELNS1_3gpuE4ELNS1_3repE0EEENS1_30default_config_static_selectorELNS0_4arch9wavefront6targetE0EEEvSZ_.kd
    .uniform_work_group_size: 1
    .uses_dynamic_stack: false
    .vgpr_count:     0
    .vgpr_spill_count: 0
    .wavefront_size: 32
    .workgroup_processor_mode: 1
  - .args:
      - .offset:         0
        .size:           184
        .value_kind:     by_value
    .group_segment_fixed_size: 13340
    .kernarg_segment_align: 8
    .kernarg_segment_size: 184
    .language:       OpenCL C
    .language_version:
      - 2
      - 0
    .max_flat_workgroup_size: 256
    .name:           _ZN7rocprim17ROCPRIM_400000_NS6detail17trampoline_kernelINS0_13select_configILj256ELj13ELNS0_17block_load_methodE3ELS4_3ELS4_3ELNS0_20block_scan_algorithmE0ELj4294967295EEENS1_25partition_config_selectorILNS1_17partition_subalgoE4EjNS0_10empty_typeEbEEZZNS1_14partition_implILS8_4ELb0ES6_15HIP_vector_typeIjLj2EENS0_17counting_iteratorIjlEEPS9_SG_NS0_5tupleIJPjSI_NS0_16reverse_iteratorISI_EEEEENSH_IJSG_SG_SG_EEES9_SI_JZNS1_25segmented_radix_sort_implINS0_14default_configELb0EPKlPlSQ_SR_N2at6native12_GLOBAL__N_18offset_tEEE10hipError_tPvRmT1_PNSt15iterator_traitsISZ_E10value_typeET2_T3_PNS10_IS15_E10value_typeET4_jRbjT5_S1B_jjP12ihipStream_tbEUljE_ZNSN_ISO_Lb0ESQ_SR_SQ_SR_SV_EESW_SX_SY_SZ_S13_S14_S15_S18_S19_jS1A_jS1B_S1B_jjS1D_bEUljE0_EEESW_SX_SY_S15_S19_S1B_T6_T7_T9_mT8_S1D_bDpT10_ENKUlT_T0_E_clISt17integral_constantIbLb0EES1Q_IbLb1EEEEDaS1M_S1N_EUlS1M_E_NS1_11comp_targetILNS1_3genE9ELNS1_11target_archE1100ELNS1_3gpuE3ELNS1_3repE0EEENS1_30default_config_static_selectorELNS0_4arch9wavefront6targetE0EEEvSZ_
    .private_segment_fixed_size: 0
    .sgpr_count:     57
    .sgpr_spill_count: 0
    .symbol:         _ZN7rocprim17ROCPRIM_400000_NS6detail17trampoline_kernelINS0_13select_configILj256ELj13ELNS0_17block_load_methodE3ELS4_3ELS4_3ELNS0_20block_scan_algorithmE0ELj4294967295EEENS1_25partition_config_selectorILNS1_17partition_subalgoE4EjNS0_10empty_typeEbEEZZNS1_14partition_implILS8_4ELb0ES6_15HIP_vector_typeIjLj2EENS0_17counting_iteratorIjlEEPS9_SG_NS0_5tupleIJPjSI_NS0_16reverse_iteratorISI_EEEEENSH_IJSG_SG_SG_EEES9_SI_JZNS1_25segmented_radix_sort_implINS0_14default_configELb0EPKlPlSQ_SR_N2at6native12_GLOBAL__N_18offset_tEEE10hipError_tPvRmT1_PNSt15iterator_traitsISZ_E10value_typeET2_T3_PNS10_IS15_E10value_typeET4_jRbjT5_S1B_jjP12ihipStream_tbEUljE_ZNSN_ISO_Lb0ESQ_SR_SQ_SR_SV_EESW_SX_SY_SZ_S13_S14_S15_S18_S19_jS1A_jS1B_S1B_jjS1D_bEUljE0_EEESW_SX_SY_S15_S19_S1B_T6_T7_T9_mT8_S1D_bDpT10_ENKUlT_T0_E_clISt17integral_constantIbLb0EES1Q_IbLb1EEEEDaS1M_S1N_EUlS1M_E_NS1_11comp_targetILNS1_3genE9ELNS1_11target_archE1100ELNS1_3gpuE3ELNS1_3repE0EEENS1_30default_config_static_selectorELNS0_4arch9wavefront6targetE0EEEvSZ_.kd
    .uniform_work_group_size: 1
    .uses_dynamic_stack: false
    .vgpr_count:     103
    .vgpr_spill_count: 0
    .wavefront_size: 32
    .workgroup_processor_mode: 1
  - .args:
      - .offset:         0
        .size:           184
        .value_kind:     by_value
    .group_segment_fixed_size: 0
    .kernarg_segment_align: 8
    .kernarg_segment_size: 184
    .language:       OpenCL C
    .language_version:
      - 2
      - 0
    .max_flat_workgroup_size: 256
    .name:           _ZN7rocprim17ROCPRIM_400000_NS6detail17trampoline_kernelINS0_13select_configILj256ELj13ELNS0_17block_load_methodE3ELS4_3ELS4_3ELNS0_20block_scan_algorithmE0ELj4294967295EEENS1_25partition_config_selectorILNS1_17partition_subalgoE4EjNS0_10empty_typeEbEEZZNS1_14partition_implILS8_4ELb0ES6_15HIP_vector_typeIjLj2EENS0_17counting_iteratorIjlEEPS9_SG_NS0_5tupleIJPjSI_NS0_16reverse_iteratorISI_EEEEENSH_IJSG_SG_SG_EEES9_SI_JZNS1_25segmented_radix_sort_implINS0_14default_configELb0EPKlPlSQ_SR_N2at6native12_GLOBAL__N_18offset_tEEE10hipError_tPvRmT1_PNSt15iterator_traitsISZ_E10value_typeET2_T3_PNS10_IS15_E10value_typeET4_jRbjT5_S1B_jjP12ihipStream_tbEUljE_ZNSN_ISO_Lb0ESQ_SR_SQ_SR_SV_EESW_SX_SY_SZ_S13_S14_S15_S18_S19_jS1A_jS1B_S1B_jjS1D_bEUljE0_EEESW_SX_SY_S15_S19_S1B_T6_T7_T9_mT8_S1D_bDpT10_ENKUlT_T0_E_clISt17integral_constantIbLb0EES1Q_IbLb1EEEEDaS1M_S1N_EUlS1M_E_NS1_11comp_targetILNS1_3genE8ELNS1_11target_archE1030ELNS1_3gpuE2ELNS1_3repE0EEENS1_30default_config_static_selectorELNS0_4arch9wavefront6targetE0EEEvSZ_
    .private_segment_fixed_size: 0
    .sgpr_count:     0
    .sgpr_spill_count: 0
    .symbol:         _ZN7rocprim17ROCPRIM_400000_NS6detail17trampoline_kernelINS0_13select_configILj256ELj13ELNS0_17block_load_methodE3ELS4_3ELS4_3ELNS0_20block_scan_algorithmE0ELj4294967295EEENS1_25partition_config_selectorILNS1_17partition_subalgoE4EjNS0_10empty_typeEbEEZZNS1_14partition_implILS8_4ELb0ES6_15HIP_vector_typeIjLj2EENS0_17counting_iteratorIjlEEPS9_SG_NS0_5tupleIJPjSI_NS0_16reverse_iteratorISI_EEEEENSH_IJSG_SG_SG_EEES9_SI_JZNS1_25segmented_radix_sort_implINS0_14default_configELb0EPKlPlSQ_SR_N2at6native12_GLOBAL__N_18offset_tEEE10hipError_tPvRmT1_PNSt15iterator_traitsISZ_E10value_typeET2_T3_PNS10_IS15_E10value_typeET4_jRbjT5_S1B_jjP12ihipStream_tbEUljE_ZNSN_ISO_Lb0ESQ_SR_SQ_SR_SV_EESW_SX_SY_SZ_S13_S14_S15_S18_S19_jS1A_jS1B_S1B_jjS1D_bEUljE0_EEESW_SX_SY_S15_S19_S1B_T6_T7_T9_mT8_S1D_bDpT10_ENKUlT_T0_E_clISt17integral_constantIbLb0EES1Q_IbLb1EEEEDaS1M_S1N_EUlS1M_E_NS1_11comp_targetILNS1_3genE8ELNS1_11target_archE1030ELNS1_3gpuE2ELNS1_3repE0EEENS1_30default_config_static_selectorELNS0_4arch9wavefront6targetE0EEEvSZ_.kd
    .uniform_work_group_size: 1
    .uses_dynamic_stack: false
    .vgpr_count:     0
    .vgpr_spill_count: 0
    .wavefront_size: 32
    .workgroup_processor_mode: 1
  - .args:
      - .offset:         0
        .size:           144
        .value_kind:     by_value
    .group_segment_fixed_size: 0
    .kernarg_segment_align: 8
    .kernarg_segment_size: 144
    .language:       OpenCL C
    .language_version:
      - 2
      - 0
    .max_flat_workgroup_size: 256
    .name:           _ZN7rocprim17ROCPRIM_400000_NS6detail17trampoline_kernelINS0_13select_configILj256ELj13ELNS0_17block_load_methodE3ELS4_3ELS4_3ELNS0_20block_scan_algorithmE0ELj4294967295EEENS1_25partition_config_selectorILNS1_17partition_subalgoE3EjNS0_10empty_typeEbEEZZNS1_14partition_implILS8_3ELb0ES6_jNS0_17counting_iteratorIjlEEPS9_SE_NS0_5tupleIJPjSE_EEENSF_IJSE_SE_EEES9_SG_JZNS1_25segmented_radix_sort_implINS0_14default_configELb0EPKlPlSM_SN_N2at6native12_GLOBAL__N_18offset_tEEE10hipError_tPvRmT1_PNSt15iterator_traitsISV_E10value_typeET2_T3_PNSW_IS11_E10value_typeET4_jRbjT5_S17_jjP12ihipStream_tbEUljE_EEESS_ST_SU_S11_S15_S17_T6_T7_T9_mT8_S19_bDpT10_ENKUlT_T0_E_clISt17integral_constantIbLb0EES1M_EEDaS1H_S1I_EUlS1H_E_NS1_11comp_targetILNS1_3genE0ELNS1_11target_archE4294967295ELNS1_3gpuE0ELNS1_3repE0EEENS1_30default_config_static_selectorELNS0_4arch9wavefront6targetE0EEEvSV_
    .private_segment_fixed_size: 0
    .sgpr_count:     0
    .sgpr_spill_count: 0
    .symbol:         _ZN7rocprim17ROCPRIM_400000_NS6detail17trampoline_kernelINS0_13select_configILj256ELj13ELNS0_17block_load_methodE3ELS4_3ELS4_3ELNS0_20block_scan_algorithmE0ELj4294967295EEENS1_25partition_config_selectorILNS1_17partition_subalgoE3EjNS0_10empty_typeEbEEZZNS1_14partition_implILS8_3ELb0ES6_jNS0_17counting_iteratorIjlEEPS9_SE_NS0_5tupleIJPjSE_EEENSF_IJSE_SE_EEES9_SG_JZNS1_25segmented_radix_sort_implINS0_14default_configELb0EPKlPlSM_SN_N2at6native12_GLOBAL__N_18offset_tEEE10hipError_tPvRmT1_PNSt15iterator_traitsISV_E10value_typeET2_T3_PNSW_IS11_E10value_typeET4_jRbjT5_S17_jjP12ihipStream_tbEUljE_EEESS_ST_SU_S11_S15_S17_T6_T7_T9_mT8_S19_bDpT10_ENKUlT_T0_E_clISt17integral_constantIbLb0EES1M_EEDaS1H_S1I_EUlS1H_E_NS1_11comp_targetILNS1_3genE0ELNS1_11target_archE4294967295ELNS1_3gpuE0ELNS1_3repE0EEENS1_30default_config_static_selectorELNS0_4arch9wavefront6targetE0EEEvSV_.kd
    .uniform_work_group_size: 1
    .uses_dynamic_stack: false
    .vgpr_count:     0
    .vgpr_spill_count: 0
    .wavefront_size: 32
    .workgroup_processor_mode: 1
  - .args:
      - .offset:         0
        .size:           144
        .value_kind:     by_value
    .group_segment_fixed_size: 0
    .kernarg_segment_align: 8
    .kernarg_segment_size: 144
    .language:       OpenCL C
    .language_version:
      - 2
      - 0
    .max_flat_workgroup_size: 256
    .name:           _ZN7rocprim17ROCPRIM_400000_NS6detail17trampoline_kernelINS0_13select_configILj256ELj13ELNS0_17block_load_methodE3ELS4_3ELS4_3ELNS0_20block_scan_algorithmE0ELj4294967295EEENS1_25partition_config_selectorILNS1_17partition_subalgoE3EjNS0_10empty_typeEbEEZZNS1_14partition_implILS8_3ELb0ES6_jNS0_17counting_iteratorIjlEEPS9_SE_NS0_5tupleIJPjSE_EEENSF_IJSE_SE_EEES9_SG_JZNS1_25segmented_radix_sort_implINS0_14default_configELb0EPKlPlSM_SN_N2at6native12_GLOBAL__N_18offset_tEEE10hipError_tPvRmT1_PNSt15iterator_traitsISV_E10value_typeET2_T3_PNSW_IS11_E10value_typeET4_jRbjT5_S17_jjP12ihipStream_tbEUljE_EEESS_ST_SU_S11_S15_S17_T6_T7_T9_mT8_S19_bDpT10_ENKUlT_T0_E_clISt17integral_constantIbLb0EES1M_EEDaS1H_S1I_EUlS1H_E_NS1_11comp_targetILNS1_3genE5ELNS1_11target_archE942ELNS1_3gpuE9ELNS1_3repE0EEENS1_30default_config_static_selectorELNS0_4arch9wavefront6targetE0EEEvSV_
    .private_segment_fixed_size: 0
    .sgpr_count:     0
    .sgpr_spill_count: 0
    .symbol:         _ZN7rocprim17ROCPRIM_400000_NS6detail17trampoline_kernelINS0_13select_configILj256ELj13ELNS0_17block_load_methodE3ELS4_3ELS4_3ELNS0_20block_scan_algorithmE0ELj4294967295EEENS1_25partition_config_selectorILNS1_17partition_subalgoE3EjNS0_10empty_typeEbEEZZNS1_14partition_implILS8_3ELb0ES6_jNS0_17counting_iteratorIjlEEPS9_SE_NS0_5tupleIJPjSE_EEENSF_IJSE_SE_EEES9_SG_JZNS1_25segmented_radix_sort_implINS0_14default_configELb0EPKlPlSM_SN_N2at6native12_GLOBAL__N_18offset_tEEE10hipError_tPvRmT1_PNSt15iterator_traitsISV_E10value_typeET2_T3_PNSW_IS11_E10value_typeET4_jRbjT5_S17_jjP12ihipStream_tbEUljE_EEESS_ST_SU_S11_S15_S17_T6_T7_T9_mT8_S19_bDpT10_ENKUlT_T0_E_clISt17integral_constantIbLb0EES1M_EEDaS1H_S1I_EUlS1H_E_NS1_11comp_targetILNS1_3genE5ELNS1_11target_archE942ELNS1_3gpuE9ELNS1_3repE0EEENS1_30default_config_static_selectorELNS0_4arch9wavefront6targetE0EEEvSV_.kd
    .uniform_work_group_size: 1
    .uses_dynamic_stack: false
    .vgpr_count:     0
    .vgpr_spill_count: 0
    .wavefront_size: 32
    .workgroup_processor_mode: 1
  - .args:
      - .offset:         0
        .size:           144
        .value_kind:     by_value
    .group_segment_fixed_size: 0
    .kernarg_segment_align: 8
    .kernarg_segment_size: 144
    .language:       OpenCL C
    .language_version:
      - 2
      - 0
    .max_flat_workgroup_size: 256
    .name:           _ZN7rocprim17ROCPRIM_400000_NS6detail17trampoline_kernelINS0_13select_configILj256ELj13ELNS0_17block_load_methodE3ELS4_3ELS4_3ELNS0_20block_scan_algorithmE0ELj4294967295EEENS1_25partition_config_selectorILNS1_17partition_subalgoE3EjNS0_10empty_typeEbEEZZNS1_14partition_implILS8_3ELb0ES6_jNS0_17counting_iteratorIjlEEPS9_SE_NS0_5tupleIJPjSE_EEENSF_IJSE_SE_EEES9_SG_JZNS1_25segmented_radix_sort_implINS0_14default_configELb0EPKlPlSM_SN_N2at6native12_GLOBAL__N_18offset_tEEE10hipError_tPvRmT1_PNSt15iterator_traitsISV_E10value_typeET2_T3_PNSW_IS11_E10value_typeET4_jRbjT5_S17_jjP12ihipStream_tbEUljE_EEESS_ST_SU_S11_S15_S17_T6_T7_T9_mT8_S19_bDpT10_ENKUlT_T0_E_clISt17integral_constantIbLb0EES1M_EEDaS1H_S1I_EUlS1H_E_NS1_11comp_targetILNS1_3genE4ELNS1_11target_archE910ELNS1_3gpuE8ELNS1_3repE0EEENS1_30default_config_static_selectorELNS0_4arch9wavefront6targetE0EEEvSV_
    .private_segment_fixed_size: 0
    .sgpr_count:     0
    .sgpr_spill_count: 0
    .symbol:         _ZN7rocprim17ROCPRIM_400000_NS6detail17trampoline_kernelINS0_13select_configILj256ELj13ELNS0_17block_load_methodE3ELS4_3ELS4_3ELNS0_20block_scan_algorithmE0ELj4294967295EEENS1_25partition_config_selectorILNS1_17partition_subalgoE3EjNS0_10empty_typeEbEEZZNS1_14partition_implILS8_3ELb0ES6_jNS0_17counting_iteratorIjlEEPS9_SE_NS0_5tupleIJPjSE_EEENSF_IJSE_SE_EEES9_SG_JZNS1_25segmented_radix_sort_implINS0_14default_configELb0EPKlPlSM_SN_N2at6native12_GLOBAL__N_18offset_tEEE10hipError_tPvRmT1_PNSt15iterator_traitsISV_E10value_typeET2_T3_PNSW_IS11_E10value_typeET4_jRbjT5_S17_jjP12ihipStream_tbEUljE_EEESS_ST_SU_S11_S15_S17_T6_T7_T9_mT8_S19_bDpT10_ENKUlT_T0_E_clISt17integral_constantIbLb0EES1M_EEDaS1H_S1I_EUlS1H_E_NS1_11comp_targetILNS1_3genE4ELNS1_11target_archE910ELNS1_3gpuE8ELNS1_3repE0EEENS1_30default_config_static_selectorELNS0_4arch9wavefront6targetE0EEEvSV_.kd
    .uniform_work_group_size: 1
    .uses_dynamic_stack: false
    .vgpr_count:     0
    .vgpr_spill_count: 0
    .wavefront_size: 32
    .workgroup_processor_mode: 1
  - .args:
      - .offset:         0
        .size:           144
        .value_kind:     by_value
    .group_segment_fixed_size: 0
    .kernarg_segment_align: 8
    .kernarg_segment_size: 144
    .language:       OpenCL C
    .language_version:
      - 2
      - 0
    .max_flat_workgroup_size: 256
    .name:           _ZN7rocprim17ROCPRIM_400000_NS6detail17trampoline_kernelINS0_13select_configILj256ELj13ELNS0_17block_load_methodE3ELS4_3ELS4_3ELNS0_20block_scan_algorithmE0ELj4294967295EEENS1_25partition_config_selectorILNS1_17partition_subalgoE3EjNS0_10empty_typeEbEEZZNS1_14partition_implILS8_3ELb0ES6_jNS0_17counting_iteratorIjlEEPS9_SE_NS0_5tupleIJPjSE_EEENSF_IJSE_SE_EEES9_SG_JZNS1_25segmented_radix_sort_implINS0_14default_configELb0EPKlPlSM_SN_N2at6native12_GLOBAL__N_18offset_tEEE10hipError_tPvRmT1_PNSt15iterator_traitsISV_E10value_typeET2_T3_PNSW_IS11_E10value_typeET4_jRbjT5_S17_jjP12ihipStream_tbEUljE_EEESS_ST_SU_S11_S15_S17_T6_T7_T9_mT8_S19_bDpT10_ENKUlT_T0_E_clISt17integral_constantIbLb0EES1M_EEDaS1H_S1I_EUlS1H_E_NS1_11comp_targetILNS1_3genE3ELNS1_11target_archE908ELNS1_3gpuE7ELNS1_3repE0EEENS1_30default_config_static_selectorELNS0_4arch9wavefront6targetE0EEEvSV_
    .private_segment_fixed_size: 0
    .sgpr_count:     0
    .sgpr_spill_count: 0
    .symbol:         _ZN7rocprim17ROCPRIM_400000_NS6detail17trampoline_kernelINS0_13select_configILj256ELj13ELNS0_17block_load_methodE3ELS4_3ELS4_3ELNS0_20block_scan_algorithmE0ELj4294967295EEENS1_25partition_config_selectorILNS1_17partition_subalgoE3EjNS0_10empty_typeEbEEZZNS1_14partition_implILS8_3ELb0ES6_jNS0_17counting_iteratorIjlEEPS9_SE_NS0_5tupleIJPjSE_EEENSF_IJSE_SE_EEES9_SG_JZNS1_25segmented_radix_sort_implINS0_14default_configELb0EPKlPlSM_SN_N2at6native12_GLOBAL__N_18offset_tEEE10hipError_tPvRmT1_PNSt15iterator_traitsISV_E10value_typeET2_T3_PNSW_IS11_E10value_typeET4_jRbjT5_S17_jjP12ihipStream_tbEUljE_EEESS_ST_SU_S11_S15_S17_T6_T7_T9_mT8_S19_bDpT10_ENKUlT_T0_E_clISt17integral_constantIbLb0EES1M_EEDaS1H_S1I_EUlS1H_E_NS1_11comp_targetILNS1_3genE3ELNS1_11target_archE908ELNS1_3gpuE7ELNS1_3repE0EEENS1_30default_config_static_selectorELNS0_4arch9wavefront6targetE0EEEvSV_.kd
    .uniform_work_group_size: 1
    .uses_dynamic_stack: false
    .vgpr_count:     0
    .vgpr_spill_count: 0
    .wavefront_size: 32
    .workgroup_processor_mode: 1
  - .args:
      - .offset:         0
        .size:           144
        .value_kind:     by_value
    .group_segment_fixed_size: 0
    .kernarg_segment_align: 8
    .kernarg_segment_size: 144
    .language:       OpenCL C
    .language_version:
      - 2
      - 0
    .max_flat_workgroup_size: 256
    .name:           _ZN7rocprim17ROCPRIM_400000_NS6detail17trampoline_kernelINS0_13select_configILj256ELj13ELNS0_17block_load_methodE3ELS4_3ELS4_3ELNS0_20block_scan_algorithmE0ELj4294967295EEENS1_25partition_config_selectorILNS1_17partition_subalgoE3EjNS0_10empty_typeEbEEZZNS1_14partition_implILS8_3ELb0ES6_jNS0_17counting_iteratorIjlEEPS9_SE_NS0_5tupleIJPjSE_EEENSF_IJSE_SE_EEES9_SG_JZNS1_25segmented_radix_sort_implINS0_14default_configELb0EPKlPlSM_SN_N2at6native12_GLOBAL__N_18offset_tEEE10hipError_tPvRmT1_PNSt15iterator_traitsISV_E10value_typeET2_T3_PNSW_IS11_E10value_typeET4_jRbjT5_S17_jjP12ihipStream_tbEUljE_EEESS_ST_SU_S11_S15_S17_T6_T7_T9_mT8_S19_bDpT10_ENKUlT_T0_E_clISt17integral_constantIbLb0EES1M_EEDaS1H_S1I_EUlS1H_E_NS1_11comp_targetILNS1_3genE2ELNS1_11target_archE906ELNS1_3gpuE6ELNS1_3repE0EEENS1_30default_config_static_selectorELNS0_4arch9wavefront6targetE0EEEvSV_
    .private_segment_fixed_size: 0
    .sgpr_count:     0
    .sgpr_spill_count: 0
    .symbol:         _ZN7rocprim17ROCPRIM_400000_NS6detail17trampoline_kernelINS0_13select_configILj256ELj13ELNS0_17block_load_methodE3ELS4_3ELS4_3ELNS0_20block_scan_algorithmE0ELj4294967295EEENS1_25partition_config_selectorILNS1_17partition_subalgoE3EjNS0_10empty_typeEbEEZZNS1_14partition_implILS8_3ELb0ES6_jNS0_17counting_iteratorIjlEEPS9_SE_NS0_5tupleIJPjSE_EEENSF_IJSE_SE_EEES9_SG_JZNS1_25segmented_radix_sort_implINS0_14default_configELb0EPKlPlSM_SN_N2at6native12_GLOBAL__N_18offset_tEEE10hipError_tPvRmT1_PNSt15iterator_traitsISV_E10value_typeET2_T3_PNSW_IS11_E10value_typeET4_jRbjT5_S17_jjP12ihipStream_tbEUljE_EEESS_ST_SU_S11_S15_S17_T6_T7_T9_mT8_S19_bDpT10_ENKUlT_T0_E_clISt17integral_constantIbLb0EES1M_EEDaS1H_S1I_EUlS1H_E_NS1_11comp_targetILNS1_3genE2ELNS1_11target_archE906ELNS1_3gpuE6ELNS1_3repE0EEENS1_30default_config_static_selectorELNS0_4arch9wavefront6targetE0EEEvSV_.kd
    .uniform_work_group_size: 1
    .uses_dynamic_stack: false
    .vgpr_count:     0
    .vgpr_spill_count: 0
    .wavefront_size: 32
    .workgroup_processor_mode: 1
  - .args:
      - .offset:         0
        .size:           144
        .value_kind:     by_value
    .group_segment_fixed_size: 0
    .kernarg_segment_align: 8
    .kernarg_segment_size: 144
    .language:       OpenCL C
    .language_version:
      - 2
      - 0
    .max_flat_workgroup_size: 256
    .name:           _ZN7rocprim17ROCPRIM_400000_NS6detail17trampoline_kernelINS0_13select_configILj256ELj13ELNS0_17block_load_methodE3ELS4_3ELS4_3ELNS0_20block_scan_algorithmE0ELj4294967295EEENS1_25partition_config_selectorILNS1_17partition_subalgoE3EjNS0_10empty_typeEbEEZZNS1_14partition_implILS8_3ELb0ES6_jNS0_17counting_iteratorIjlEEPS9_SE_NS0_5tupleIJPjSE_EEENSF_IJSE_SE_EEES9_SG_JZNS1_25segmented_radix_sort_implINS0_14default_configELb0EPKlPlSM_SN_N2at6native12_GLOBAL__N_18offset_tEEE10hipError_tPvRmT1_PNSt15iterator_traitsISV_E10value_typeET2_T3_PNSW_IS11_E10value_typeET4_jRbjT5_S17_jjP12ihipStream_tbEUljE_EEESS_ST_SU_S11_S15_S17_T6_T7_T9_mT8_S19_bDpT10_ENKUlT_T0_E_clISt17integral_constantIbLb0EES1M_EEDaS1H_S1I_EUlS1H_E_NS1_11comp_targetILNS1_3genE10ELNS1_11target_archE1200ELNS1_3gpuE4ELNS1_3repE0EEENS1_30default_config_static_selectorELNS0_4arch9wavefront6targetE0EEEvSV_
    .private_segment_fixed_size: 0
    .sgpr_count:     0
    .sgpr_spill_count: 0
    .symbol:         _ZN7rocprim17ROCPRIM_400000_NS6detail17trampoline_kernelINS0_13select_configILj256ELj13ELNS0_17block_load_methodE3ELS4_3ELS4_3ELNS0_20block_scan_algorithmE0ELj4294967295EEENS1_25partition_config_selectorILNS1_17partition_subalgoE3EjNS0_10empty_typeEbEEZZNS1_14partition_implILS8_3ELb0ES6_jNS0_17counting_iteratorIjlEEPS9_SE_NS0_5tupleIJPjSE_EEENSF_IJSE_SE_EEES9_SG_JZNS1_25segmented_radix_sort_implINS0_14default_configELb0EPKlPlSM_SN_N2at6native12_GLOBAL__N_18offset_tEEE10hipError_tPvRmT1_PNSt15iterator_traitsISV_E10value_typeET2_T3_PNSW_IS11_E10value_typeET4_jRbjT5_S17_jjP12ihipStream_tbEUljE_EEESS_ST_SU_S11_S15_S17_T6_T7_T9_mT8_S19_bDpT10_ENKUlT_T0_E_clISt17integral_constantIbLb0EES1M_EEDaS1H_S1I_EUlS1H_E_NS1_11comp_targetILNS1_3genE10ELNS1_11target_archE1200ELNS1_3gpuE4ELNS1_3repE0EEENS1_30default_config_static_selectorELNS0_4arch9wavefront6targetE0EEEvSV_.kd
    .uniform_work_group_size: 1
    .uses_dynamic_stack: false
    .vgpr_count:     0
    .vgpr_spill_count: 0
    .wavefront_size: 32
    .workgroup_processor_mode: 1
  - .args:
      - .offset:         0
        .size:           144
        .value_kind:     by_value
    .group_segment_fixed_size: 13324
    .kernarg_segment_align: 8
    .kernarg_segment_size: 144
    .language:       OpenCL C
    .language_version:
      - 2
      - 0
    .max_flat_workgroup_size: 256
    .name:           _ZN7rocprim17ROCPRIM_400000_NS6detail17trampoline_kernelINS0_13select_configILj256ELj13ELNS0_17block_load_methodE3ELS4_3ELS4_3ELNS0_20block_scan_algorithmE0ELj4294967295EEENS1_25partition_config_selectorILNS1_17partition_subalgoE3EjNS0_10empty_typeEbEEZZNS1_14partition_implILS8_3ELb0ES6_jNS0_17counting_iteratorIjlEEPS9_SE_NS0_5tupleIJPjSE_EEENSF_IJSE_SE_EEES9_SG_JZNS1_25segmented_radix_sort_implINS0_14default_configELb0EPKlPlSM_SN_N2at6native12_GLOBAL__N_18offset_tEEE10hipError_tPvRmT1_PNSt15iterator_traitsISV_E10value_typeET2_T3_PNSW_IS11_E10value_typeET4_jRbjT5_S17_jjP12ihipStream_tbEUljE_EEESS_ST_SU_S11_S15_S17_T6_T7_T9_mT8_S19_bDpT10_ENKUlT_T0_E_clISt17integral_constantIbLb0EES1M_EEDaS1H_S1I_EUlS1H_E_NS1_11comp_targetILNS1_3genE9ELNS1_11target_archE1100ELNS1_3gpuE3ELNS1_3repE0EEENS1_30default_config_static_selectorELNS0_4arch9wavefront6targetE0EEEvSV_
    .private_segment_fixed_size: 0
    .sgpr_count:     30
    .sgpr_spill_count: 0
    .symbol:         _ZN7rocprim17ROCPRIM_400000_NS6detail17trampoline_kernelINS0_13select_configILj256ELj13ELNS0_17block_load_methodE3ELS4_3ELS4_3ELNS0_20block_scan_algorithmE0ELj4294967295EEENS1_25partition_config_selectorILNS1_17partition_subalgoE3EjNS0_10empty_typeEbEEZZNS1_14partition_implILS8_3ELb0ES6_jNS0_17counting_iteratorIjlEEPS9_SE_NS0_5tupleIJPjSE_EEENSF_IJSE_SE_EEES9_SG_JZNS1_25segmented_radix_sort_implINS0_14default_configELb0EPKlPlSM_SN_N2at6native12_GLOBAL__N_18offset_tEEE10hipError_tPvRmT1_PNSt15iterator_traitsISV_E10value_typeET2_T3_PNSW_IS11_E10value_typeET4_jRbjT5_S17_jjP12ihipStream_tbEUljE_EEESS_ST_SU_S11_S15_S17_T6_T7_T9_mT8_S19_bDpT10_ENKUlT_T0_E_clISt17integral_constantIbLb0EES1M_EEDaS1H_S1I_EUlS1H_E_NS1_11comp_targetILNS1_3genE9ELNS1_11target_archE1100ELNS1_3gpuE3ELNS1_3repE0EEENS1_30default_config_static_selectorELNS0_4arch9wavefront6targetE0EEEvSV_.kd
    .uniform_work_group_size: 1
    .uses_dynamic_stack: false
    .vgpr_count:     57
    .vgpr_spill_count: 0
    .wavefront_size: 32
    .workgroup_processor_mode: 1
  - .args:
      - .offset:         0
        .size:           144
        .value_kind:     by_value
    .group_segment_fixed_size: 0
    .kernarg_segment_align: 8
    .kernarg_segment_size: 144
    .language:       OpenCL C
    .language_version:
      - 2
      - 0
    .max_flat_workgroup_size: 256
    .name:           _ZN7rocprim17ROCPRIM_400000_NS6detail17trampoline_kernelINS0_13select_configILj256ELj13ELNS0_17block_load_methodE3ELS4_3ELS4_3ELNS0_20block_scan_algorithmE0ELj4294967295EEENS1_25partition_config_selectorILNS1_17partition_subalgoE3EjNS0_10empty_typeEbEEZZNS1_14partition_implILS8_3ELb0ES6_jNS0_17counting_iteratorIjlEEPS9_SE_NS0_5tupleIJPjSE_EEENSF_IJSE_SE_EEES9_SG_JZNS1_25segmented_radix_sort_implINS0_14default_configELb0EPKlPlSM_SN_N2at6native12_GLOBAL__N_18offset_tEEE10hipError_tPvRmT1_PNSt15iterator_traitsISV_E10value_typeET2_T3_PNSW_IS11_E10value_typeET4_jRbjT5_S17_jjP12ihipStream_tbEUljE_EEESS_ST_SU_S11_S15_S17_T6_T7_T9_mT8_S19_bDpT10_ENKUlT_T0_E_clISt17integral_constantIbLb0EES1M_EEDaS1H_S1I_EUlS1H_E_NS1_11comp_targetILNS1_3genE8ELNS1_11target_archE1030ELNS1_3gpuE2ELNS1_3repE0EEENS1_30default_config_static_selectorELNS0_4arch9wavefront6targetE0EEEvSV_
    .private_segment_fixed_size: 0
    .sgpr_count:     0
    .sgpr_spill_count: 0
    .symbol:         _ZN7rocprim17ROCPRIM_400000_NS6detail17trampoline_kernelINS0_13select_configILj256ELj13ELNS0_17block_load_methodE3ELS4_3ELS4_3ELNS0_20block_scan_algorithmE0ELj4294967295EEENS1_25partition_config_selectorILNS1_17partition_subalgoE3EjNS0_10empty_typeEbEEZZNS1_14partition_implILS8_3ELb0ES6_jNS0_17counting_iteratorIjlEEPS9_SE_NS0_5tupleIJPjSE_EEENSF_IJSE_SE_EEES9_SG_JZNS1_25segmented_radix_sort_implINS0_14default_configELb0EPKlPlSM_SN_N2at6native12_GLOBAL__N_18offset_tEEE10hipError_tPvRmT1_PNSt15iterator_traitsISV_E10value_typeET2_T3_PNSW_IS11_E10value_typeET4_jRbjT5_S17_jjP12ihipStream_tbEUljE_EEESS_ST_SU_S11_S15_S17_T6_T7_T9_mT8_S19_bDpT10_ENKUlT_T0_E_clISt17integral_constantIbLb0EES1M_EEDaS1H_S1I_EUlS1H_E_NS1_11comp_targetILNS1_3genE8ELNS1_11target_archE1030ELNS1_3gpuE2ELNS1_3repE0EEENS1_30default_config_static_selectorELNS0_4arch9wavefront6targetE0EEEvSV_.kd
    .uniform_work_group_size: 1
    .uses_dynamic_stack: false
    .vgpr_count:     0
    .vgpr_spill_count: 0
    .wavefront_size: 32
    .workgroup_processor_mode: 1
  - .args:
      - .offset:         0
        .size:           152
        .value_kind:     by_value
    .group_segment_fixed_size: 0
    .kernarg_segment_align: 8
    .kernarg_segment_size: 152
    .language:       OpenCL C
    .language_version:
      - 2
      - 0
    .max_flat_workgroup_size: 256
    .name:           _ZN7rocprim17ROCPRIM_400000_NS6detail17trampoline_kernelINS0_13select_configILj256ELj13ELNS0_17block_load_methodE3ELS4_3ELS4_3ELNS0_20block_scan_algorithmE0ELj4294967295EEENS1_25partition_config_selectorILNS1_17partition_subalgoE3EjNS0_10empty_typeEbEEZZNS1_14partition_implILS8_3ELb0ES6_jNS0_17counting_iteratorIjlEEPS9_SE_NS0_5tupleIJPjSE_EEENSF_IJSE_SE_EEES9_SG_JZNS1_25segmented_radix_sort_implINS0_14default_configELb0EPKlPlSM_SN_N2at6native12_GLOBAL__N_18offset_tEEE10hipError_tPvRmT1_PNSt15iterator_traitsISV_E10value_typeET2_T3_PNSW_IS11_E10value_typeET4_jRbjT5_S17_jjP12ihipStream_tbEUljE_EEESS_ST_SU_S11_S15_S17_T6_T7_T9_mT8_S19_bDpT10_ENKUlT_T0_E_clISt17integral_constantIbLb1EES1M_EEDaS1H_S1I_EUlS1H_E_NS1_11comp_targetILNS1_3genE0ELNS1_11target_archE4294967295ELNS1_3gpuE0ELNS1_3repE0EEENS1_30default_config_static_selectorELNS0_4arch9wavefront6targetE0EEEvSV_
    .private_segment_fixed_size: 0
    .sgpr_count:     0
    .sgpr_spill_count: 0
    .symbol:         _ZN7rocprim17ROCPRIM_400000_NS6detail17trampoline_kernelINS0_13select_configILj256ELj13ELNS0_17block_load_methodE3ELS4_3ELS4_3ELNS0_20block_scan_algorithmE0ELj4294967295EEENS1_25partition_config_selectorILNS1_17partition_subalgoE3EjNS0_10empty_typeEbEEZZNS1_14partition_implILS8_3ELb0ES6_jNS0_17counting_iteratorIjlEEPS9_SE_NS0_5tupleIJPjSE_EEENSF_IJSE_SE_EEES9_SG_JZNS1_25segmented_radix_sort_implINS0_14default_configELb0EPKlPlSM_SN_N2at6native12_GLOBAL__N_18offset_tEEE10hipError_tPvRmT1_PNSt15iterator_traitsISV_E10value_typeET2_T3_PNSW_IS11_E10value_typeET4_jRbjT5_S17_jjP12ihipStream_tbEUljE_EEESS_ST_SU_S11_S15_S17_T6_T7_T9_mT8_S19_bDpT10_ENKUlT_T0_E_clISt17integral_constantIbLb1EES1M_EEDaS1H_S1I_EUlS1H_E_NS1_11comp_targetILNS1_3genE0ELNS1_11target_archE4294967295ELNS1_3gpuE0ELNS1_3repE0EEENS1_30default_config_static_selectorELNS0_4arch9wavefront6targetE0EEEvSV_.kd
    .uniform_work_group_size: 1
    .uses_dynamic_stack: false
    .vgpr_count:     0
    .vgpr_spill_count: 0
    .wavefront_size: 32
    .workgroup_processor_mode: 1
  - .args:
      - .offset:         0
        .size:           152
        .value_kind:     by_value
    .group_segment_fixed_size: 0
    .kernarg_segment_align: 8
    .kernarg_segment_size: 152
    .language:       OpenCL C
    .language_version:
      - 2
      - 0
    .max_flat_workgroup_size: 256
    .name:           _ZN7rocprim17ROCPRIM_400000_NS6detail17trampoline_kernelINS0_13select_configILj256ELj13ELNS0_17block_load_methodE3ELS4_3ELS4_3ELNS0_20block_scan_algorithmE0ELj4294967295EEENS1_25partition_config_selectorILNS1_17partition_subalgoE3EjNS0_10empty_typeEbEEZZNS1_14partition_implILS8_3ELb0ES6_jNS0_17counting_iteratorIjlEEPS9_SE_NS0_5tupleIJPjSE_EEENSF_IJSE_SE_EEES9_SG_JZNS1_25segmented_radix_sort_implINS0_14default_configELb0EPKlPlSM_SN_N2at6native12_GLOBAL__N_18offset_tEEE10hipError_tPvRmT1_PNSt15iterator_traitsISV_E10value_typeET2_T3_PNSW_IS11_E10value_typeET4_jRbjT5_S17_jjP12ihipStream_tbEUljE_EEESS_ST_SU_S11_S15_S17_T6_T7_T9_mT8_S19_bDpT10_ENKUlT_T0_E_clISt17integral_constantIbLb1EES1M_EEDaS1H_S1I_EUlS1H_E_NS1_11comp_targetILNS1_3genE5ELNS1_11target_archE942ELNS1_3gpuE9ELNS1_3repE0EEENS1_30default_config_static_selectorELNS0_4arch9wavefront6targetE0EEEvSV_
    .private_segment_fixed_size: 0
    .sgpr_count:     0
    .sgpr_spill_count: 0
    .symbol:         _ZN7rocprim17ROCPRIM_400000_NS6detail17trampoline_kernelINS0_13select_configILj256ELj13ELNS0_17block_load_methodE3ELS4_3ELS4_3ELNS0_20block_scan_algorithmE0ELj4294967295EEENS1_25partition_config_selectorILNS1_17partition_subalgoE3EjNS0_10empty_typeEbEEZZNS1_14partition_implILS8_3ELb0ES6_jNS0_17counting_iteratorIjlEEPS9_SE_NS0_5tupleIJPjSE_EEENSF_IJSE_SE_EEES9_SG_JZNS1_25segmented_radix_sort_implINS0_14default_configELb0EPKlPlSM_SN_N2at6native12_GLOBAL__N_18offset_tEEE10hipError_tPvRmT1_PNSt15iterator_traitsISV_E10value_typeET2_T3_PNSW_IS11_E10value_typeET4_jRbjT5_S17_jjP12ihipStream_tbEUljE_EEESS_ST_SU_S11_S15_S17_T6_T7_T9_mT8_S19_bDpT10_ENKUlT_T0_E_clISt17integral_constantIbLb1EES1M_EEDaS1H_S1I_EUlS1H_E_NS1_11comp_targetILNS1_3genE5ELNS1_11target_archE942ELNS1_3gpuE9ELNS1_3repE0EEENS1_30default_config_static_selectorELNS0_4arch9wavefront6targetE0EEEvSV_.kd
    .uniform_work_group_size: 1
    .uses_dynamic_stack: false
    .vgpr_count:     0
    .vgpr_spill_count: 0
    .wavefront_size: 32
    .workgroup_processor_mode: 1
  - .args:
      - .offset:         0
        .size:           152
        .value_kind:     by_value
    .group_segment_fixed_size: 0
    .kernarg_segment_align: 8
    .kernarg_segment_size: 152
    .language:       OpenCL C
    .language_version:
      - 2
      - 0
    .max_flat_workgroup_size: 256
    .name:           _ZN7rocprim17ROCPRIM_400000_NS6detail17trampoline_kernelINS0_13select_configILj256ELj13ELNS0_17block_load_methodE3ELS4_3ELS4_3ELNS0_20block_scan_algorithmE0ELj4294967295EEENS1_25partition_config_selectorILNS1_17partition_subalgoE3EjNS0_10empty_typeEbEEZZNS1_14partition_implILS8_3ELb0ES6_jNS0_17counting_iteratorIjlEEPS9_SE_NS0_5tupleIJPjSE_EEENSF_IJSE_SE_EEES9_SG_JZNS1_25segmented_radix_sort_implINS0_14default_configELb0EPKlPlSM_SN_N2at6native12_GLOBAL__N_18offset_tEEE10hipError_tPvRmT1_PNSt15iterator_traitsISV_E10value_typeET2_T3_PNSW_IS11_E10value_typeET4_jRbjT5_S17_jjP12ihipStream_tbEUljE_EEESS_ST_SU_S11_S15_S17_T6_T7_T9_mT8_S19_bDpT10_ENKUlT_T0_E_clISt17integral_constantIbLb1EES1M_EEDaS1H_S1I_EUlS1H_E_NS1_11comp_targetILNS1_3genE4ELNS1_11target_archE910ELNS1_3gpuE8ELNS1_3repE0EEENS1_30default_config_static_selectorELNS0_4arch9wavefront6targetE0EEEvSV_
    .private_segment_fixed_size: 0
    .sgpr_count:     0
    .sgpr_spill_count: 0
    .symbol:         _ZN7rocprim17ROCPRIM_400000_NS6detail17trampoline_kernelINS0_13select_configILj256ELj13ELNS0_17block_load_methodE3ELS4_3ELS4_3ELNS0_20block_scan_algorithmE0ELj4294967295EEENS1_25partition_config_selectorILNS1_17partition_subalgoE3EjNS0_10empty_typeEbEEZZNS1_14partition_implILS8_3ELb0ES6_jNS0_17counting_iteratorIjlEEPS9_SE_NS0_5tupleIJPjSE_EEENSF_IJSE_SE_EEES9_SG_JZNS1_25segmented_radix_sort_implINS0_14default_configELb0EPKlPlSM_SN_N2at6native12_GLOBAL__N_18offset_tEEE10hipError_tPvRmT1_PNSt15iterator_traitsISV_E10value_typeET2_T3_PNSW_IS11_E10value_typeET4_jRbjT5_S17_jjP12ihipStream_tbEUljE_EEESS_ST_SU_S11_S15_S17_T6_T7_T9_mT8_S19_bDpT10_ENKUlT_T0_E_clISt17integral_constantIbLb1EES1M_EEDaS1H_S1I_EUlS1H_E_NS1_11comp_targetILNS1_3genE4ELNS1_11target_archE910ELNS1_3gpuE8ELNS1_3repE0EEENS1_30default_config_static_selectorELNS0_4arch9wavefront6targetE0EEEvSV_.kd
    .uniform_work_group_size: 1
    .uses_dynamic_stack: false
    .vgpr_count:     0
    .vgpr_spill_count: 0
    .wavefront_size: 32
    .workgroup_processor_mode: 1
  - .args:
      - .offset:         0
        .size:           152
        .value_kind:     by_value
    .group_segment_fixed_size: 0
    .kernarg_segment_align: 8
    .kernarg_segment_size: 152
    .language:       OpenCL C
    .language_version:
      - 2
      - 0
    .max_flat_workgroup_size: 256
    .name:           _ZN7rocprim17ROCPRIM_400000_NS6detail17trampoline_kernelINS0_13select_configILj256ELj13ELNS0_17block_load_methodE3ELS4_3ELS4_3ELNS0_20block_scan_algorithmE0ELj4294967295EEENS1_25partition_config_selectorILNS1_17partition_subalgoE3EjNS0_10empty_typeEbEEZZNS1_14partition_implILS8_3ELb0ES6_jNS0_17counting_iteratorIjlEEPS9_SE_NS0_5tupleIJPjSE_EEENSF_IJSE_SE_EEES9_SG_JZNS1_25segmented_radix_sort_implINS0_14default_configELb0EPKlPlSM_SN_N2at6native12_GLOBAL__N_18offset_tEEE10hipError_tPvRmT1_PNSt15iterator_traitsISV_E10value_typeET2_T3_PNSW_IS11_E10value_typeET4_jRbjT5_S17_jjP12ihipStream_tbEUljE_EEESS_ST_SU_S11_S15_S17_T6_T7_T9_mT8_S19_bDpT10_ENKUlT_T0_E_clISt17integral_constantIbLb1EES1M_EEDaS1H_S1I_EUlS1H_E_NS1_11comp_targetILNS1_3genE3ELNS1_11target_archE908ELNS1_3gpuE7ELNS1_3repE0EEENS1_30default_config_static_selectorELNS0_4arch9wavefront6targetE0EEEvSV_
    .private_segment_fixed_size: 0
    .sgpr_count:     0
    .sgpr_spill_count: 0
    .symbol:         _ZN7rocprim17ROCPRIM_400000_NS6detail17trampoline_kernelINS0_13select_configILj256ELj13ELNS0_17block_load_methodE3ELS4_3ELS4_3ELNS0_20block_scan_algorithmE0ELj4294967295EEENS1_25partition_config_selectorILNS1_17partition_subalgoE3EjNS0_10empty_typeEbEEZZNS1_14partition_implILS8_3ELb0ES6_jNS0_17counting_iteratorIjlEEPS9_SE_NS0_5tupleIJPjSE_EEENSF_IJSE_SE_EEES9_SG_JZNS1_25segmented_radix_sort_implINS0_14default_configELb0EPKlPlSM_SN_N2at6native12_GLOBAL__N_18offset_tEEE10hipError_tPvRmT1_PNSt15iterator_traitsISV_E10value_typeET2_T3_PNSW_IS11_E10value_typeET4_jRbjT5_S17_jjP12ihipStream_tbEUljE_EEESS_ST_SU_S11_S15_S17_T6_T7_T9_mT8_S19_bDpT10_ENKUlT_T0_E_clISt17integral_constantIbLb1EES1M_EEDaS1H_S1I_EUlS1H_E_NS1_11comp_targetILNS1_3genE3ELNS1_11target_archE908ELNS1_3gpuE7ELNS1_3repE0EEENS1_30default_config_static_selectorELNS0_4arch9wavefront6targetE0EEEvSV_.kd
    .uniform_work_group_size: 1
    .uses_dynamic_stack: false
    .vgpr_count:     0
    .vgpr_spill_count: 0
    .wavefront_size: 32
    .workgroup_processor_mode: 1
  - .args:
      - .offset:         0
        .size:           152
        .value_kind:     by_value
    .group_segment_fixed_size: 0
    .kernarg_segment_align: 8
    .kernarg_segment_size: 152
    .language:       OpenCL C
    .language_version:
      - 2
      - 0
    .max_flat_workgroup_size: 256
    .name:           _ZN7rocprim17ROCPRIM_400000_NS6detail17trampoline_kernelINS0_13select_configILj256ELj13ELNS0_17block_load_methodE3ELS4_3ELS4_3ELNS0_20block_scan_algorithmE0ELj4294967295EEENS1_25partition_config_selectorILNS1_17partition_subalgoE3EjNS0_10empty_typeEbEEZZNS1_14partition_implILS8_3ELb0ES6_jNS0_17counting_iteratorIjlEEPS9_SE_NS0_5tupleIJPjSE_EEENSF_IJSE_SE_EEES9_SG_JZNS1_25segmented_radix_sort_implINS0_14default_configELb0EPKlPlSM_SN_N2at6native12_GLOBAL__N_18offset_tEEE10hipError_tPvRmT1_PNSt15iterator_traitsISV_E10value_typeET2_T3_PNSW_IS11_E10value_typeET4_jRbjT5_S17_jjP12ihipStream_tbEUljE_EEESS_ST_SU_S11_S15_S17_T6_T7_T9_mT8_S19_bDpT10_ENKUlT_T0_E_clISt17integral_constantIbLb1EES1M_EEDaS1H_S1I_EUlS1H_E_NS1_11comp_targetILNS1_3genE2ELNS1_11target_archE906ELNS1_3gpuE6ELNS1_3repE0EEENS1_30default_config_static_selectorELNS0_4arch9wavefront6targetE0EEEvSV_
    .private_segment_fixed_size: 0
    .sgpr_count:     0
    .sgpr_spill_count: 0
    .symbol:         _ZN7rocprim17ROCPRIM_400000_NS6detail17trampoline_kernelINS0_13select_configILj256ELj13ELNS0_17block_load_methodE3ELS4_3ELS4_3ELNS0_20block_scan_algorithmE0ELj4294967295EEENS1_25partition_config_selectorILNS1_17partition_subalgoE3EjNS0_10empty_typeEbEEZZNS1_14partition_implILS8_3ELb0ES6_jNS0_17counting_iteratorIjlEEPS9_SE_NS0_5tupleIJPjSE_EEENSF_IJSE_SE_EEES9_SG_JZNS1_25segmented_radix_sort_implINS0_14default_configELb0EPKlPlSM_SN_N2at6native12_GLOBAL__N_18offset_tEEE10hipError_tPvRmT1_PNSt15iterator_traitsISV_E10value_typeET2_T3_PNSW_IS11_E10value_typeET4_jRbjT5_S17_jjP12ihipStream_tbEUljE_EEESS_ST_SU_S11_S15_S17_T6_T7_T9_mT8_S19_bDpT10_ENKUlT_T0_E_clISt17integral_constantIbLb1EES1M_EEDaS1H_S1I_EUlS1H_E_NS1_11comp_targetILNS1_3genE2ELNS1_11target_archE906ELNS1_3gpuE6ELNS1_3repE0EEENS1_30default_config_static_selectorELNS0_4arch9wavefront6targetE0EEEvSV_.kd
    .uniform_work_group_size: 1
    .uses_dynamic_stack: false
    .vgpr_count:     0
    .vgpr_spill_count: 0
    .wavefront_size: 32
    .workgroup_processor_mode: 1
  - .args:
      - .offset:         0
        .size:           152
        .value_kind:     by_value
    .group_segment_fixed_size: 0
    .kernarg_segment_align: 8
    .kernarg_segment_size: 152
    .language:       OpenCL C
    .language_version:
      - 2
      - 0
    .max_flat_workgroup_size: 256
    .name:           _ZN7rocprim17ROCPRIM_400000_NS6detail17trampoline_kernelINS0_13select_configILj256ELj13ELNS0_17block_load_methodE3ELS4_3ELS4_3ELNS0_20block_scan_algorithmE0ELj4294967295EEENS1_25partition_config_selectorILNS1_17partition_subalgoE3EjNS0_10empty_typeEbEEZZNS1_14partition_implILS8_3ELb0ES6_jNS0_17counting_iteratorIjlEEPS9_SE_NS0_5tupleIJPjSE_EEENSF_IJSE_SE_EEES9_SG_JZNS1_25segmented_radix_sort_implINS0_14default_configELb0EPKlPlSM_SN_N2at6native12_GLOBAL__N_18offset_tEEE10hipError_tPvRmT1_PNSt15iterator_traitsISV_E10value_typeET2_T3_PNSW_IS11_E10value_typeET4_jRbjT5_S17_jjP12ihipStream_tbEUljE_EEESS_ST_SU_S11_S15_S17_T6_T7_T9_mT8_S19_bDpT10_ENKUlT_T0_E_clISt17integral_constantIbLb1EES1M_EEDaS1H_S1I_EUlS1H_E_NS1_11comp_targetILNS1_3genE10ELNS1_11target_archE1200ELNS1_3gpuE4ELNS1_3repE0EEENS1_30default_config_static_selectorELNS0_4arch9wavefront6targetE0EEEvSV_
    .private_segment_fixed_size: 0
    .sgpr_count:     0
    .sgpr_spill_count: 0
    .symbol:         _ZN7rocprim17ROCPRIM_400000_NS6detail17trampoline_kernelINS0_13select_configILj256ELj13ELNS0_17block_load_methodE3ELS4_3ELS4_3ELNS0_20block_scan_algorithmE0ELj4294967295EEENS1_25partition_config_selectorILNS1_17partition_subalgoE3EjNS0_10empty_typeEbEEZZNS1_14partition_implILS8_3ELb0ES6_jNS0_17counting_iteratorIjlEEPS9_SE_NS0_5tupleIJPjSE_EEENSF_IJSE_SE_EEES9_SG_JZNS1_25segmented_radix_sort_implINS0_14default_configELb0EPKlPlSM_SN_N2at6native12_GLOBAL__N_18offset_tEEE10hipError_tPvRmT1_PNSt15iterator_traitsISV_E10value_typeET2_T3_PNSW_IS11_E10value_typeET4_jRbjT5_S17_jjP12ihipStream_tbEUljE_EEESS_ST_SU_S11_S15_S17_T6_T7_T9_mT8_S19_bDpT10_ENKUlT_T0_E_clISt17integral_constantIbLb1EES1M_EEDaS1H_S1I_EUlS1H_E_NS1_11comp_targetILNS1_3genE10ELNS1_11target_archE1200ELNS1_3gpuE4ELNS1_3repE0EEENS1_30default_config_static_selectorELNS0_4arch9wavefront6targetE0EEEvSV_.kd
    .uniform_work_group_size: 1
    .uses_dynamic_stack: false
    .vgpr_count:     0
    .vgpr_spill_count: 0
    .wavefront_size: 32
    .workgroup_processor_mode: 1
  - .args:
      - .offset:         0
        .size:           152
        .value_kind:     by_value
    .group_segment_fixed_size: 13324
    .kernarg_segment_align: 8
    .kernarg_segment_size: 152
    .language:       OpenCL C
    .language_version:
      - 2
      - 0
    .max_flat_workgroup_size: 256
    .name:           _ZN7rocprim17ROCPRIM_400000_NS6detail17trampoline_kernelINS0_13select_configILj256ELj13ELNS0_17block_load_methodE3ELS4_3ELS4_3ELNS0_20block_scan_algorithmE0ELj4294967295EEENS1_25partition_config_selectorILNS1_17partition_subalgoE3EjNS0_10empty_typeEbEEZZNS1_14partition_implILS8_3ELb0ES6_jNS0_17counting_iteratorIjlEEPS9_SE_NS0_5tupleIJPjSE_EEENSF_IJSE_SE_EEES9_SG_JZNS1_25segmented_radix_sort_implINS0_14default_configELb0EPKlPlSM_SN_N2at6native12_GLOBAL__N_18offset_tEEE10hipError_tPvRmT1_PNSt15iterator_traitsISV_E10value_typeET2_T3_PNSW_IS11_E10value_typeET4_jRbjT5_S17_jjP12ihipStream_tbEUljE_EEESS_ST_SU_S11_S15_S17_T6_T7_T9_mT8_S19_bDpT10_ENKUlT_T0_E_clISt17integral_constantIbLb1EES1M_EEDaS1H_S1I_EUlS1H_E_NS1_11comp_targetILNS1_3genE9ELNS1_11target_archE1100ELNS1_3gpuE3ELNS1_3repE0EEENS1_30default_config_static_selectorELNS0_4arch9wavefront6targetE0EEEvSV_
    .private_segment_fixed_size: 0
    .sgpr_count:     28
    .sgpr_spill_count: 0
    .symbol:         _ZN7rocprim17ROCPRIM_400000_NS6detail17trampoline_kernelINS0_13select_configILj256ELj13ELNS0_17block_load_methodE3ELS4_3ELS4_3ELNS0_20block_scan_algorithmE0ELj4294967295EEENS1_25partition_config_selectorILNS1_17partition_subalgoE3EjNS0_10empty_typeEbEEZZNS1_14partition_implILS8_3ELb0ES6_jNS0_17counting_iteratorIjlEEPS9_SE_NS0_5tupleIJPjSE_EEENSF_IJSE_SE_EEES9_SG_JZNS1_25segmented_radix_sort_implINS0_14default_configELb0EPKlPlSM_SN_N2at6native12_GLOBAL__N_18offset_tEEE10hipError_tPvRmT1_PNSt15iterator_traitsISV_E10value_typeET2_T3_PNSW_IS11_E10value_typeET4_jRbjT5_S17_jjP12ihipStream_tbEUljE_EEESS_ST_SU_S11_S15_S17_T6_T7_T9_mT8_S19_bDpT10_ENKUlT_T0_E_clISt17integral_constantIbLb1EES1M_EEDaS1H_S1I_EUlS1H_E_NS1_11comp_targetILNS1_3genE9ELNS1_11target_archE1100ELNS1_3gpuE3ELNS1_3repE0EEENS1_30default_config_static_selectorELNS0_4arch9wavefront6targetE0EEEvSV_.kd
    .uniform_work_group_size: 1
    .uses_dynamic_stack: false
    .vgpr_count:     60
    .vgpr_spill_count: 0
    .wavefront_size: 32
    .workgroup_processor_mode: 1
  - .args:
      - .offset:         0
        .size:           152
        .value_kind:     by_value
    .group_segment_fixed_size: 0
    .kernarg_segment_align: 8
    .kernarg_segment_size: 152
    .language:       OpenCL C
    .language_version:
      - 2
      - 0
    .max_flat_workgroup_size: 256
    .name:           _ZN7rocprim17ROCPRIM_400000_NS6detail17trampoline_kernelINS0_13select_configILj256ELj13ELNS0_17block_load_methodE3ELS4_3ELS4_3ELNS0_20block_scan_algorithmE0ELj4294967295EEENS1_25partition_config_selectorILNS1_17partition_subalgoE3EjNS0_10empty_typeEbEEZZNS1_14partition_implILS8_3ELb0ES6_jNS0_17counting_iteratorIjlEEPS9_SE_NS0_5tupleIJPjSE_EEENSF_IJSE_SE_EEES9_SG_JZNS1_25segmented_radix_sort_implINS0_14default_configELb0EPKlPlSM_SN_N2at6native12_GLOBAL__N_18offset_tEEE10hipError_tPvRmT1_PNSt15iterator_traitsISV_E10value_typeET2_T3_PNSW_IS11_E10value_typeET4_jRbjT5_S17_jjP12ihipStream_tbEUljE_EEESS_ST_SU_S11_S15_S17_T6_T7_T9_mT8_S19_bDpT10_ENKUlT_T0_E_clISt17integral_constantIbLb1EES1M_EEDaS1H_S1I_EUlS1H_E_NS1_11comp_targetILNS1_3genE8ELNS1_11target_archE1030ELNS1_3gpuE2ELNS1_3repE0EEENS1_30default_config_static_selectorELNS0_4arch9wavefront6targetE0EEEvSV_
    .private_segment_fixed_size: 0
    .sgpr_count:     0
    .sgpr_spill_count: 0
    .symbol:         _ZN7rocprim17ROCPRIM_400000_NS6detail17trampoline_kernelINS0_13select_configILj256ELj13ELNS0_17block_load_methodE3ELS4_3ELS4_3ELNS0_20block_scan_algorithmE0ELj4294967295EEENS1_25partition_config_selectorILNS1_17partition_subalgoE3EjNS0_10empty_typeEbEEZZNS1_14partition_implILS8_3ELb0ES6_jNS0_17counting_iteratorIjlEEPS9_SE_NS0_5tupleIJPjSE_EEENSF_IJSE_SE_EEES9_SG_JZNS1_25segmented_radix_sort_implINS0_14default_configELb0EPKlPlSM_SN_N2at6native12_GLOBAL__N_18offset_tEEE10hipError_tPvRmT1_PNSt15iterator_traitsISV_E10value_typeET2_T3_PNSW_IS11_E10value_typeET4_jRbjT5_S17_jjP12ihipStream_tbEUljE_EEESS_ST_SU_S11_S15_S17_T6_T7_T9_mT8_S19_bDpT10_ENKUlT_T0_E_clISt17integral_constantIbLb1EES1M_EEDaS1H_S1I_EUlS1H_E_NS1_11comp_targetILNS1_3genE8ELNS1_11target_archE1030ELNS1_3gpuE2ELNS1_3repE0EEENS1_30default_config_static_selectorELNS0_4arch9wavefront6targetE0EEEvSV_.kd
    .uniform_work_group_size: 1
    .uses_dynamic_stack: false
    .vgpr_count:     0
    .vgpr_spill_count: 0
    .wavefront_size: 32
    .workgroup_processor_mode: 1
  - .args:
      - .offset:         0
        .size:           144
        .value_kind:     by_value
    .group_segment_fixed_size: 0
    .kernarg_segment_align: 8
    .kernarg_segment_size: 144
    .language:       OpenCL C
    .language_version:
      - 2
      - 0
    .max_flat_workgroup_size: 256
    .name:           _ZN7rocprim17ROCPRIM_400000_NS6detail17trampoline_kernelINS0_13select_configILj256ELj13ELNS0_17block_load_methodE3ELS4_3ELS4_3ELNS0_20block_scan_algorithmE0ELj4294967295EEENS1_25partition_config_selectorILNS1_17partition_subalgoE3EjNS0_10empty_typeEbEEZZNS1_14partition_implILS8_3ELb0ES6_jNS0_17counting_iteratorIjlEEPS9_SE_NS0_5tupleIJPjSE_EEENSF_IJSE_SE_EEES9_SG_JZNS1_25segmented_radix_sort_implINS0_14default_configELb0EPKlPlSM_SN_N2at6native12_GLOBAL__N_18offset_tEEE10hipError_tPvRmT1_PNSt15iterator_traitsISV_E10value_typeET2_T3_PNSW_IS11_E10value_typeET4_jRbjT5_S17_jjP12ihipStream_tbEUljE_EEESS_ST_SU_S11_S15_S17_T6_T7_T9_mT8_S19_bDpT10_ENKUlT_T0_E_clISt17integral_constantIbLb1EES1L_IbLb0EEEEDaS1H_S1I_EUlS1H_E_NS1_11comp_targetILNS1_3genE0ELNS1_11target_archE4294967295ELNS1_3gpuE0ELNS1_3repE0EEENS1_30default_config_static_selectorELNS0_4arch9wavefront6targetE0EEEvSV_
    .private_segment_fixed_size: 0
    .sgpr_count:     0
    .sgpr_spill_count: 0
    .symbol:         _ZN7rocprim17ROCPRIM_400000_NS6detail17trampoline_kernelINS0_13select_configILj256ELj13ELNS0_17block_load_methodE3ELS4_3ELS4_3ELNS0_20block_scan_algorithmE0ELj4294967295EEENS1_25partition_config_selectorILNS1_17partition_subalgoE3EjNS0_10empty_typeEbEEZZNS1_14partition_implILS8_3ELb0ES6_jNS0_17counting_iteratorIjlEEPS9_SE_NS0_5tupleIJPjSE_EEENSF_IJSE_SE_EEES9_SG_JZNS1_25segmented_radix_sort_implINS0_14default_configELb0EPKlPlSM_SN_N2at6native12_GLOBAL__N_18offset_tEEE10hipError_tPvRmT1_PNSt15iterator_traitsISV_E10value_typeET2_T3_PNSW_IS11_E10value_typeET4_jRbjT5_S17_jjP12ihipStream_tbEUljE_EEESS_ST_SU_S11_S15_S17_T6_T7_T9_mT8_S19_bDpT10_ENKUlT_T0_E_clISt17integral_constantIbLb1EES1L_IbLb0EEEEDaS1H_S1I_EUlS1H_E_NS1_11comp_targetILNS1_3genE0ELNS1_11target_archE4294967295ELNS1_3gpuE0ELNS1_3repE0EEENS1_30default_config_static_selectorELNS0_4arch9wavefront6targetE0EEEvSV_.kd
    .uniform_work_group_size: 1
    .uses_dynamic_stack: false
    .vgpr_count:     0
    .vgpr_spill_count: 0
    .wavefront_size: 32
    .workgroup_processor_mode: 1
  - .args:
      - .offset:         0
        .size:           144
        .value_kind:     by_value
    .group_segment_fixed_size: 0
    .kernarg_segment_align: 8
    .kernarg_segment_size: 144
    .language:       OpenCL C
    .language_version:
      - 2
      - 0
    .max_flat_workgroup_size: 256
    .name:           _ZN7rocprim17ROCPRIM_400000_NS6detail17trampoline_kernelINS0_13select_configILj256ELj13ELNS0_17block_load_methodE3ELS4_3ELS4_3ELNS0_20block_scan_algorithmE0ELj4294967295EEENS1_25partition_config_selectorILNS1_17partition_subalgoE3EjNS0_10empty_typeEbEEZZNS1_14partition_implILS8_3ELb0ES6_jNS0_17counting_iteratorIjlEEPS9_SE_NS0_5tupleIJPjSE_EEENSF_IJSE_SE_EEES9_SG_JZNS1_25segmented_radix_sort_implINS0_14default_configELb0EPKlPlSM_SN_N2at6native12_GLOBAL__N_18offset_tEEE10hipError_tPvRmT1_PNSt15iterator_traitsISV_E10value_typeET2_T3_PNSW_IS11_E10value_typeET4_jRbjT5_S17_jjP12ihipStream_tbEUljE_EEESS_ST_SU_S11_S15_S17_T6_T7_T9_mT8_S19_bDpT10_ENKUlT_T0_E_clISt17integral_constantIbLb1EES1L_IbLb0EEEEDaS1H_S1I_EUlS1H_E_NS1_11comp_targetILNS1_3genE5ELNS1_11target_archE942ELNS1_3gpuE9ELNS1_3repE0EEENS1_30default_config_static_selectorELNS0_4arch9wavefront6targetE0EEEvSV_
    .private_segment_fixed_size: 0
    .sgpr_count:     0
    .sgpr_spill_count: 0
    .symbol:         _ZN7rocprim17ROCPRIM_400000_NS6detail17trampoline_kernelINS0_13select_configILj256ELj13ELNS0_17block_load_methodE3ELS4_3ELS4_3ELNS0_20block_scan_algorithmE0ELj4294967295EEENS1_25partition_config_selectorILNS1_17partition_subalgoE3EjNS0_10empty_typeEbEEZZNS1_14partition_implILS8_3ELb0ES6_jNS0_17counting_iteratorIjlEEPS9_SE_NS0_5tupleIJPjSE_EEENSF_IJSE_SE_EEES9_SG_JZNS1_25segmented_radix_sort_implINS0_14default_configELb0EPKlPlSM_SN_N2at6native12_GLOBAL__N_18offset_tEEE10hipError_tPvRmT1_PNSt15iterator_traitsISV_E10value_typeET2_T3_PNSW_IS11_E10value_typeET4_jRbjT5_S17_jjP12ihipStream_tbEUljE_EEESS_ST_SU_S11_S15_S17_T6_T7_T9_mT8_S19_bDpT10_ENKUlT_T0_E_clISt17integral_constantIbLb1EES1L_IbLb0EEEEDaS1H_S1I_EUlS1H_E_NS1_11comp_targetILNS1_3genE5ELNS1_11target_archE942ELNS1_3gpuE9ELNS1_3repE0EEENS1_30default_config_static_selectorELNS0_4arch9wavefront6targetE0EEEvSV_.kd
    .uniform_work_group_size: 1
    .uses_dynamic_stack: false
    .vgpr_count:     0
    .vgpr_spill_count: 0
    .wavefront_size: 32
    .workgroup_processor_mode: 1
  - .args:
      - .offset:         0
        .size:           144
        .value_kind:     by_value
    .group_segment_fixed_size: 0
    .kernarg_segment_align: 8
    .kernarg_segment_size: 144
    .language:       OpenCL C
    .language_version:
      - 2
      - 0
    .max_flat_workgroup_size: 256
    .name:           _ZN7rocprim17ROCPRIM_400000_NS6detail17trampoline_kernelINS0_13select_configILj256ELj13ELNS0_17block_load_methodE3ELS4_3ELS4_3ELNS0_20block_scan_algorithmE0ELj4294967295EEENS1_25partition_config_selectorILNS1_17partition_subalgoE3EjNS0_10empty_typeEbEEZZNS1_14partition_implILS8_3ELb0ES6_jNS0_17counting_iteratorIjlEEPS9_SE_NS0_5tupleIJPjSE_EEENSF_IJSE_SE_EEES9_SG_JZNS1_25segmented_radix_sort_implINS0_14default_configELb0EPKlPlSM_SN_N2at6native12_GLOBAL__N_18offset_tEEE10hipError_tPvRmT1_PNSt15iterator_traitsISV_E10value_typeET2_T3_PNSW_IS11_E10value_typeET4_jRbjT5_S17_jjP12ihipStream_tbEUljE_EEESS_ST_SU_S11_S15_S17_T6_T7_T9_mT8_S19_bDpT10_ENKUlT_T0_E_clISt17integral_constantIbLb1EES1L_IbLb0EEEEDaS1H_S1I_EUlS1H_E_NS1_11comp_targetILNS1_3genE4ELNS1_11target_archE910ELNS1_3gpuE8ELNS1_3repE0EEENS1_30default_config_static_selectorELNS0_4arch9wavefront6targetE0EEEvSV_
    .private_segment_fixed_size: 0
    .sgpr_count:     0
    .sgpr_spill_count: 0
    .symbol:         _ZN7rocprim17ROCPRIM_400000_NS6detail17trampoline_kernelINS0_13select_configILj256ELj13ELNS0_17block_load_methodE3ELS4_3ELS4_3ELNS0_20block_scan_algorithmE0ELj4294967295EEENS1_25partition_config_selectorILNS1_17partition_subalgoE3EjNS0_10empty_typeEbEEZZNS1_14partition_implILS8_3ELb0ES6_jNS0_17counting_iteratorIjlEEPS9_SE_NS0_5tupleIJPjSE_EEENSF_IJSE_SE_EEES9_SG_JZNS1_25segmented_radix_sort_implINS0_14default_configELb0EPKlPlSM_SN_N2at6native12_GLOBAL__N_18offset_tEEE10hipError_tPvRmT1_PNSt15iterator_traitsISV_E10value_typeET2_T3_PNSW_IS11_E10value_typeET4_jRbjT5_S17_jjP12ihipStream_tbEUljE_EEESS_ST_SU_S11_S15_S17_T6_T7_T9_mT8_S19_bDpT10_ENKUlT_T0_E_clISt17integral_constantIbLb1EES1L_IbLb0EEEEDaS1H_S1I_EUlS1H_E_NS1_11comp_targetILNS1_3genE4ELNS1_11target_archE910ELNS1_3gpuE8ELNS1_3repE0EEENS1_30default_config_static_selectorELNS0_4arch9wavefront6targetE0EEEvSV_.kd
    .uniform_work_group_size: 1
    .uses_dynamic_stack: false
    .vgpr_count:     0
    .vgpr_spill_count: 0
    .wavefront_size: 32
    .workgroup_processor_mode: 1
  - .args:
      - .offset:         0
        .size:           144
        .value_kind:     by_value
    .group_segment_fixed_size: 0
    .kernarg_segment_align: 8
    .kernarg_segment_size: 144
    .language:       OpenCL C
    .language_version:
      - 2
      - 0
    .max_flat_workgroup_size: 256
    .name:           _ZN7rocprim17ROCPRIM_400000_NS6detail17trampoline_kernelINS0_13select_configILj256ELj13ELNS0_17block_load_methodE3ELS4_3ELS4_3ELNS0_20block_scan_algorithmE0ELj4294967295EEENS1_25partition_config_selectorILNS1_17partition_subalgoE3EjNS0_10empty_typeEbEEZZNS1_14partition_implILS8_3ELb0ES6_jNS0_17counting_iteratorIjlEEPS9_SE_NS0_5tupleIJPjSE_EEENSF_IJSE_SE_EEES9_SG_JZNS1_25segmented_radix_sort_implINS0_14default_configELb0EPKlPlSM_SN_N2at6native12_GLOBAL__N_18offset_tEEE10hipError_tPvRmT1_PNSt15iterator_traitsISV_E10value_typeET2_T3_PNSW_IS11_E10value_typeET4_jRbjT5_S17_jjP12ihipStream_tbEUljE_EEESS_ST_SU_S11_S15_S17_T6_T7_T9_mT8_S19_bDpT10_ENKUlT_T0_E_clISt17integral_constantIbLb1EES1L_IbLb0EEEEDaS1H_S1I_EUlS1H_E_NS1_11comp_targetILNS1_3genE3ELNS1_11target_archE908ELNS1_3gpuE7ELNS1_3repE0EEENS1_30default_config_static_selectorELNS0_4arch9wavefront6targetE0EEEvSV_
    .private_segment_fixed_size: 0
    .sgpr_count:     0
    .sgpr_spill_count: 0
    .symbol:         _ZN7rocprim17ROCPRIM_400000_NS6detail17trampoline_kernelINS0_13select_configILj256ELj13ELNS0_17block_load_methodE3ELS4_3ELS4_3ELNS0_20block_scan_algorithmE0ELj4294967295EEENS1_25partition_config_selectorILNS1_17partition_subalgoE3EjNS0_10empty_typeEbEEZZNS1_14partition_implILS8_3ELb0ES6_jNS0_17counting_iteratorIjlEEPS9_SE_NS0_5tupleIJPjSE_EEENSF_IJSE_SE_EEES9_SG_JZNS1_25segmented_radix_sort_implINS0_14default_configELb0EPKlPlSM_SN_N2at6native12_GLOBAL__N_18offset_tEEE10hipError_tPvRmT1_PNSt15iterator_traitsISV_E10value_typeET2_T3_PNSW_IS11_E10value_typeET4_jRbjT5_S17_jjP12ihipStream_tbEUljE_EEESS_ST_SU_S11_S15_S17_T6_T7_T9_mT8_S19_bDpT10_ENKUlT_T0_E_clISt17integral_constantIbLb1EES1L_IbLb0EEEEDaS1H_S1I_EUlS1H_E_NS1_11comp_targetILNS1_3genE3ELNS1_11target_archE908ELNS1_3gpuE7ELNS1_3repE0EEENS1_30default_config_static_selectorELNS0_4arch9wavefront6targetE0EEEvSV_.kd
    .uniform_work_group_size: 1
    .uses_dynamic_stack: false
    .vgpr_count:     0
    .vgpr_spill_count: 0
    .wavefront_size: 32
    .workgroup_processor_mode: 1
  - .args:
      - .offset:         0
        .size:           144
        .value_kind:     by_value
    .group_segment_fixed_size: 0
    .kernarg_segment_align: 8
    .kernarg_segment_size: 144
    .language:       OpenCL C
    .language_version:
      - 2
      - 0
    .max_flat_workgroup_size: 256
    .name:           _ZN7rocprim17ROCPRIM_400000_NS6detail17trampoline_kernelINS0_13select_configILj256ELj13ELNS0_17block_load_methodE3ELS4_3ELS4_3ELNS0_20block_scan_algorithmE0ELj4294967295EEENS1_25partition_config_selectorILNS1_17partition_subalgoE3EjNS0_10empty_typeEbEEZZNS1_14partition_implILS8_3ELb0ES6_jNS0_17counting_iteratorIjlEEPS9_SE_NS0_5tupleIJPjSE_EEENSF_IJSE_SE_EEES9_SG_JZNS1_25segmented_radix_sort_implINS0_14default_configELb0EPKlPlSM_SN_N2at6native12_GLOBAL__N_18offset_tEEE10hipError_tPvRmT1_PNSt15iterator_traitsISV_E10value_typeET2_T3_PNSW_IS11_E10value_typeET4_jRbjT5_S17_jjP12ihipStream_tbEUljE_EEESS_ST_SU_S11_S15_S17_T6_T7_T9_mT8_S19_bDpT10_ENKUlT_T0_E_clISt17integral_constantIbLb1EES1L_IbLb0EEEEDaS1H_S1I_EUlS1H_E_NS1_11comp_targetILNS1_3genE2ELNS1_11target_archE906ELNS1_3gpuE6ELNS1_3repE0EEENS1_30default_config_static_selectorELNS0_4arch9wavefront6targetE0EEEvSV_
    .private_segment_fixed_size: 0
    .sgpr_count:     0
    .sgpr_spill_count: 0
    .symbol:         _ZN7rocprim17ROCPRIM_400000_NS6detail17trampoline_kernelINS0_13select_configILj256ELj13ELNS0_17block_load_methodE3ELS4_3ELS4_3ELNS0_20block_scan_algorithmE0ELj4294967295EEENS1_25partition_config_selectorILNS1_17partition_subalgoE3EjNS0_10empty_typeEbEEZZNS1_14partition_implILS8_3ELb0ES6_jNS0_17counting_iteratorIjlEEPS9_SE_NS0_5tupleIJPjSE_EEENSF_IJSE_SE_EEES9_SG_JZNS1_25segmented_radix_sort_implINS0_14default_configELb0EPKlPlSM_SN_N2at6native12_GLOBAL__N_18offset_tEEE10hipError_tPvRmT1_PNSt15iterator_traitsISV_E10value_typeET2_T3_PNSW_IS11_E10value_typeET4_jRbjT5_S17_jjP12ihipStream_tbEUljE_EEESS_ST_SU_S11_S15_S17_T6_T7_T9_mT8_S19_bDpT10_ENKUlT_T0_E_clISt17integral_constantIbLb1EES1L_IbLb0EEEEDaS1H_S1I_EUlS1H_E_NS1_11comp_targetILNS1_3genE2ELNS1_11target_archE906ELNS1_3gpuE6ELNS1_3repE0EEENS1_30default_config_static_selectorELNS0_4arch9wavefront6targetE0EEEvSV_.kd
    .uniform_work_group_size: 1
    .uses_dynamic_stack: false
    .vgpr_count:     0
    .vgpr_spill_count: 0
    .wavefront_size: 32
    .workgroup_processor_mode: 1
  - .args:
      - .offset:         0
        .size:           144
        .value_kind:     by_value
    .group_segment_fixed_size: 0
    .kernarg_segment_align: 8
    .kernarg_segment_size: 144
    .language:       OpenCL C
    .language_version:
      - 2
      - 0
    .max_flat_workgroup_size: 256
    .name:           _ZN7rocprim17ROCPRIM_400000_NS6detail17trampoline_kernelINS0_13select_configILj256ELj13ELNS0_17block_load_methodE3ELS4_3ELS4_3ELNS0_20block_scan_algorithmE0ELj4294967295EEENS1_25partition_config_selectorILNS1_17partition_subalgoE3EjNS0_10empty_typeEbEEZZNS1_14partition_implILS8_3ELb0ES6_jNS0_17counting_iteratorIjlEEPS9_SE_NS0_5tupleIJPjSE_EEENSF_IJSE_SE_EEES9_SG_JZNS1_25segmented_radix_sort_implINS0_14default_configELb0EPKlPlSM_SN_N2at6native12_GLOBAL__N_18offset_tEEE10hipError_tPvRmT1_PNSt15iterator_traitsISV_E10value_typeET2_T3_PNSW_IS11_E10value_typeET4_jRbjT5_S17_jjP12ihipStream_tbEUljE_EEESS_ST_SU_S11_S15_S17_T6_T7_T9_mT8_S19_bDpT10_ENKUlT_T0_E_clISt17integral_constantIbLb1EES1L_IbLb0EEEEDaS1H_S1I_EUlS1H_E_NS1_11comp_targetILNS1_3genE10ELNS1_11target_archE1200ELNS1_3gpuE4ELNS1_3repE0EEENS1_30default_config_static_selectorELNS0_4arch9wavefront6targetE0EEEvSV_
    .private_segment_fixed_size: 0
    .sgpr_count:     0
    .sgpr_spill_count: 0
    .symbol:         _ZN7rocprim17ROCPRIM_400000_NS6detail17trampoline_kernelINS0_13select_configILj256ELj13ELNS0_17block_load_methodE3ELS4_3ELS4_3ELNS0_20block_scan_algorithmE0ELj4294967295EEENS1_25partition_config_selectorILNS1_17partition_subalgoE3EjNS0_10empty_typeEbEEZZNS1_14partition_implILS8_3ELb0ES6_jNS0_17counting_iteratorIjlEEPS9_SE_NS0_5tupleIJPjSE_EEENSF_IJSE_SE_EEES9_SG_JZNS1_25segmented_radix_sort_implINS0_14default_configELb0EPKlPlSM_SN_N2at6native12_GLOBAL__N_18offset_tEEE10hipError_tPvRmT1_PNSt15iterator_traitsISV_E10value_typeET2_T3_PNSW_IS11_E10value_typeET4_jRbjT5_S17_jjP12ihipStream_tbEUljE_EEESS_ST_SU_S11_S15_S17_T6_T7_T9_mT8_S19_bDpT10_ENKUlT_T0_E_clISt17integral_constantIbLb1EES1L_IbLb0EEEEDaS1H_S1I_EUlS1H_E_NS1_11comp_targetILNS1_3genE10ELNS1_11target_archE1200ELNS1_3gpuE4ELNS1_3repE0EEENS1_30default_config_static_selectorELNS0_4arch9wavefront6targetE0EEEvSV_.kd
    .uniform_work_group_size: 1
    .uses_dynamic_stack: false
    .vgpr_count:     0
    .vgpr_spill_count: 0
    .wavefront_size: 32
    .workgroup_processor_mode: 1
  - .args:
      - .offset:         0
        .size:           144
        .value_kind:     by_value
    .group_segment_fixed_size: 13324
    .kernarg_segment_align: 8
    .kernarg_segment_size: 144
    .language:       OpenCL C
    .language_version:
      - 2
      - 0
    .max_flat_workgroup_size: 256
    .name:           _ZN7rocprim17ROCPRIM_400000_NS6detail17trampoline_kernelINS0_13select_configILj256ELj13ELNS0_17block_load_methodE3ELS4_3ELS4_3ELNS0_20block_scan_algorithmE0ELj4294967295EEENS1_25partition_config_selectorILNS1_17partition_subalgoE3EjNS0_10empty_typeEbEEZZNS1_14partition_implILS8_3ELb0ES6_jNS0_17counting_iteratorIjlEEPS9_SE_NS0_5tupleIJPjSE_EEENSF_IJSE_SE_EEES9_SG_JZNS1_25segmented_radix_sort_implINS0_14default_configELb0EPKlPlSM_SN_N2at6native12_GLOBAL__N_18offset_tEEE10hipError_tPvRmT1_PNSt15iterator_traitsISV_E10value_typeET2_T3_PNSW_IS11_E10value_typeET4_jRbjT5_S17_jjP12ihipStream_tbEUljE_EEESS_ST_SU_S11_S15_S17_T6_T7_T9_mT8_S19_bDpT10_ENKUlT_T0_E_clISt17integral_constantIbLb1EES1L_IbLb0EEEEDaS1H_S1I_EUlS1H_E_NS1_11comp_targetILNS1_3genE9ELNS1_11target_archE1100ELNS1_3gpuE3ELNS1_3repE0EEENS1_30default_config_static_selectorELNS0_4arch9wavefront6targetE0EEEvSV_
    .private_segment_fixed_size: 0
    .sgpr_count:     30
    .sgpr_spill_count: 0
    .symbol:         _ZN7rocprim17ROCPRIM_400000_NS6detail17trampoline_kernelINS0_13select_configILj256ELj13ELNS0_17block_load_methodE3ELS4_3ELS4_3ELNS0_20block_scan_algorithmE0ELj4294967295EEENS1_25partition_config_selectorILNS1_17partition_subalgoE3EjNS0_10empty_typeEbEEZZNS1_14partition_implILS8_3ELb0ES6_jNS0_17counting_iteratorIjlEEPS9_SE_NS0_5tupleIJPjSE_EEENSF_IJSE_SE_EEES9_SG_JZNS1_25segmented_radix_sort_implINS0_14default_configELb0EPKlPlSM_SN_N2at6native12_GLOBAL__N_18offset_tEEE10hipError_tPvRmT1_PNSt15iterator_traitsISV_E10value_typeET2_T3_PNSW_IS11_E10value_typeET4_jRbjT5_S17_jjP12ihipStream_tbEUljE_EEESS_ST_SU_S11_S15_S17_T6_T7_T9_mT8_S19_bDpT10_ENKUlT_T0_E_clISt17integral_constantIbLb1EES1L_IbLb0EEEEDaS1H_S1I_EUlS1H_E_NS1_11comp_targetILNS1_3genE9ELNS1_11target_archE1100ELNS1_3gpuE3ELNS1_3repE0EEENS1_30default_config_static_selectorELNS0_4arch9wavefront6targetE0EEEvSV_.kd
    .uniform_work_group_size: 1
    .uses_dynamic_stack: false
    .vgpr_count:     57
    .vgpr_spill_count: 0
    .wavefront_size: 32
    .workgroup_processor_mode: 1
  - .args:
      - .offset:         0
        .size:           144
        .value_kind:     by_value
    .group_segment_fixed_size: 0
    .kernarg_segment_align: 8
    .kernarg_segment_size: 144
    .language:       OpenCL C
    .language_version:
      - 2
      - 0
    .max_flat_workgroup_size: 256
    .name:           _ZN7rocprim17ROCPRIM_400000_NS6detail17trampoline_kernelINS0_13select_configILj256ELj13ELNS0_17block_load_methodE3ELS4_3ELS4_3ELNS0_20block_scan_algorithmE0ELj4294967295EEENS1_25partition_config_selectorILNS1_17partition_subalgoE3EjNS0_10empty_typeEbEEZZNS1_14partition_implILS8_3ELb0ES6_jNS0_17counting_iteratorIjlEEPS9_SE_NS0_5tupleIJPjSE_EEENSF_IJSE_SE_EEES9_SG_JZNS1_25segmented_radix_sort_implINS0_14default_configELb0EPKlPlSM_SN_N2at6native12_GLOBAL__N_18offset_tEEE10hipError_tPvRmT1_PNSt15iterator_traitsISV_E10value_typeET2_T3_PNSW_IS11_E10value_typeET4_jRbjT5_S17_jjP12ihipStream_tbEUljE_EEESS_ST_SU_S11_S15_S17_T6_T7_T9_mT8_S19_bDpT10_ENKUlT_T0_E_clISt17integral_constantIbLb1EES1L_IbLb0EEEEDaS1H_S1I_EUlS1H_E_NS1_11comp_targetILNS1_3genE8ELNS1_11target_archE1030ELNS1_3gpuE2ELNS1_3repE0EEENS1_30default_config_static_selectorELNS0_4arch9wavefront6targetE0EEEvSV_
    .private_segment_fixed_size: 0
    .sgpr_count:     0
    .sgpr_spill_count: 0
    .symbol:         _ZN7rocprim17ROCPRIM_400000_NS6detail17trampoline_kernelINS0_13select_configILj256ELj13ELNS0_17block_load_methodE3ELS4_3ELS4_3ELNS0_20block_scan_algorithmE0ELj4294967295EEENS1_25partition_config_selectorILNS1_17partition_subalgoE3EjNS0_10empty_typeEbEEZZNS1_14partition_implILS8_3ELb0ES6_jNS0_17counting_iteratorIjlEEPS9_SE_NS0_5tupleIJPjSE_EEENSF_IJSE_SE_EEES9_SG_JZNS1_25segmented_radix_sort_implINS0_14default_configELb0EPKlPlSM_SN_N2at6native12_GLOBAL__N_18offset_tEEE10hipError_tPvRmT1_PNSt15iterator_traitsISV_E10value_typeET2_T3_PNSW_IS11_E10value_typeET4_jRbjT5_S17_jjP12ihipStream_tbEUljE_EEESS_ST_SU_S11_S15_S17_T6_T7_T9_mT8_S19_bDpT10_ENKUlT_T0_E_clISt17integral_constantIbLb1EES1L_IbLb0EEEEDaS1H_S1I_EUlS1H_E_NS1_11comp_targetILNS1_3genE8ELNS1_11target_archE1030ELNS1_3gpuE2ELNS1_3repE0EEENS1_30default_config_static_selectorELNS0_4arch9wavefront6targetE0EEEvSV_.kd
    .uniform_work_group_size: 1
    .uses_dynamic_stack: false
    .vgpr_count:     0
    .vgpr_spill_count: 0
    .wavefront_size: 32
    .workgroup_processor_mode: 1
  - .args:
      - .offset:         0
        .size:           152
        .value_kind:     by_value
    .group_segment_fixed_size: 0
    .kernarg_segment_align: 8
    .kernarg_segment_size: 152
    .language:       OpenCL C
    .language_version:
      - 2
      - 0
    .max_flat_workgroup_size: 256
    .name:           _ZN7rocprim17ROCPRIM_400000_NS6detail17trampoline_kernelINS0_13select_configILj256ELj13ELNS0_17block_load_methodE3ELS4_3ELS4_3ELNS0_20block_scan_algorithmE0ELj4294967295EEENS1_25partition_config_selectorILNS1_17partition_subalgoE3EjNS0_10empty_typeEbEEZZNS1_14partition_implILS8_3ELb0ES6_jNS0_17counting_iteratorIjlEEPS9_SE_NS0_5tupleIJPjSE_EEENSF_IJSE_SE_EEES9_SG_JZNS1_25segmented_radix_sort_implINS0_14default_configELb0EPKlPlSM_SN_N2at6native12_GLOBAL__N_18offset_tEEE10hipError_tPvRmT1_PNSt15iterator_traitsISV_E10value_typeET2_T3_PNSW_IS11_E10value_typeET4_jRbjT5_S17_jjP12ihipStream_tbEUljE_EEESS_ST_SU_S11_S15_S17_T6_T7_T9_mT8_S19_bDpT10_ENKUlT_T0_E_clISt17integral_constantIbLb0EES1L_IbLb1EEEEDaS1H_S1I_EUlS1H_E_NS1_11comp_targetILNS1_3genE0ELNS1_11target_archE4294967295ELNS1_3gpuE0ELNS1_3repE0EEENS1_30default_config_static_selectorELNS0_4arch9wavefront6targetE0EEEvSV_
    .private_segment_fixed_size: 0
    .sgpr_count:     0
    .sgpr_spill_count: 0
    .symbol:         _ZN7rocprim17ROCPRIM_400000_NS6detail17trampoline_kernelINS0_13select_configILj256ELj13ELNS0_17block_load_methodE3ELS4_3ELS4_3ELNS0_20block_scan_algorithmE0ELj4294967295EEENS1_25partition_config_selectorILNS1_17partition_subalgoE3EjNS0_10empty_typeEbEEZZNS1_14partition_implILS8_3ELb0ES6_jNS0_17counting_iteratorIjlEEPS9_SE_NS0_5tupleIJPjSE_EEENSF_IJSE_SE_EEES9_SG_JZNS1_25segmented_radix_sort_implINS0_14default_configELb0EPKlPlSM_SN_N2at6native12_GLOBAL__N_18offset_tEEE10hipError_tPvRmT1_PNSt15iterator_traitsISV_E10value_typeET2_T3_PNSW_IS11_E10value_typeET4_jRbjT5_S17_jjP12ihipStream_tbEUljE_EEESS_ST_SU_S11_S15_S17_T6_T7_T9_mT8_S19_bDpT10_ENKUlT_T0_E_clISt17integral_constantIbLb0EES1L_IbLb1EEEEDaS1H_S1I_EUlS1H_E_NS1_11comp_targetILNS1_3genE0ELNS1_11target_archE4294967295ELNS1_3gpuE0ELNS1_3repE0EEENS1_30default_config_static_selectorELNS0_4arch9wavefront6targetE0EEEvSV_.kd
    .uniform_work_group_size: 1
    .uses_dynamic_stack: false
    .vgpr_count:     0
    .vgpr_spill_count: 0
    .wavefront_size: 32
    .workgroup_processor_mode: 1
  - .args:
      - .offset:         0
        .size:           152
        .value_kind:     by_value
    .group_segment_fixed_size: 0
    .kernarg_segment_align: 8
    .kernarg_segment_size: 152
    .language:       OpenCL C
    .language_version:
      - 2
      - 0
    .max_flat_workgroup_size: 256
    .name:           _ZN7rocprim17ROCPRIM_400000_NS6detail17trampoline_kernelINS0_13select_configILj256ELj13ELNS0_17block_load_methodE3ELS4_3ELS4_3ELNS0_20block_scan_algorithmE0ELj4294967295EEENS1_25partition_config_selectorILNS1_17partition_subalgoE3EjNS0_10empty_typeEbEEZZNS1_14partition_implILS8_3ELb0ES6_jNS0_17counting_iteratorIjlEEPS9_SE_NS0_5tupleIJPjSE_EEENSF_IJSE_SE_EEES9_SG_JZNS1_25segmented_radix_sort_implINS0_14default_configELb0EPKlPlSM_SN_N2at6native12_GLOBAL__N_18offset_tEEE10hipError_tPvRmT1_PNSt15iterator_traitsISV_E10value_typeET2_T3_PNSW_IS11_E10value_typeET4_jRbjT5_S17_jjP12ihipStream_tbEUljE_EEESS_ST_SU_S11_S15_S17_T6_T7_T9_mT8_S19_bDpT10_ENKUlT_T0_E_clISt17integral_constantIbLb0EES1L_IbLb1EEEEDaS1H_S1I_EUlS1H_E_NS1_11comp_targetILNS1_3genE5ELNS1_11target_archE942ELNS1_3gpuE9ELNS1_3repE0EEENS1_30default_config_static_selectorELNS0_4arch9wavefront6targetE0EEEvSV_
    .private_segment_fixed_size: 0
    .sgpr_count:     0
    .sgpr_spill_count: 0
    .symbol:         _ZN7rocprim17ROCPRIM_400000_NS6detail17trampoline_kernelINS0_13select_configILj256ELj13ELNS0_17block_load_methodE3ELS4_3ELS4_3ELNS0_20block_scan_algorithmE0ELj4294967295EEENS1_25partition_config_selectorILNS1_17partition_subalgoE3EjNS0_10empty_typeEbEEZZNS1_14partition_implILS8_3ELb0ES6_jNS0_17counting_iteratorIjlEEPS9_SE_NS0_5tupleIJPjSE_EEENSF_IJSE_SE_EEES9_SG_JZNS1_25segmented_radix_sort_implINS0_14default_configELb0EPKlPlSM_SN_N2at6native12_GLOBAL__N_18offset_tEEE10hipError_tPvRmT1_PNSt15iterator_traitsISV_E10value_typeET2_T3_PNSW_IS11_E10value_typeET4_jRbjT5_S17_jjP12ihipStream_tbEUljE_EEESS_ST_SU_S11_S15_S17_T6_T7_T9_mT8_S19_bDpT10_ENKUlT_T0_E_clISt17integral_constantIbLb0EES1L_IbLb1EEEEDaS1H_S1I_EUlS1H_E_NS1_11comp_targetILNS1_3genE5ELNS1_11target_archE942ELNS1_3gpuE9ELNS1_3repE0EEENS1_30default_config_static_selectorELNS0_4arch9wavefront6targetE0EEEvSV_.kd
    .uniform_work_group_size: 1
    .uses_dynamic_stack: false
    .vgpr_count:     0
    .vgpr_spill_count: 0
    .wavefront_size: 32
    .workgroup_processor_mode: 1
  - .args:
      - .offset:         0
        .size:           152
        .value_kind:     by_value
    .group_segment_fixed_size: 0
    .kernarg_segment_align: 8
    .kernarg_segment_size: 152
    .language:       OpenCL C
    .language_version:
      - 2
      - 0
    .max_flat_workgroup_size: 256
    .name:           _ZN7rocprim17ROCPRIM_400000_NS6detail17trampoline_kernelINS0_13select_configILj256ELj13ELNS0_17block_load_methodE3ELS4_3ELS4_3ELNS0_20block_scan_algorithmE0ELj4294967295EEENS1_25partition_config_selectorILNS1_17partition_subalgoE3EjNS0_10empty_typeEbEEZZNS1_14partition_implILS8_3ELb0ES6_jNS0_17counting_iteratorIjlEEPS9_SE_NS0_5tupleIJPjSE_EEENSF_IJSE_SE_EEES9_SG_JZNS1_25segmented_radix_sort_implINS0_14default_configELb0EPKlPlSM_SN_N2at6native12_GLOBAL__N_18offset_tEEE10hipError_tPvRmT1_PNSt15iterator_traitsISV_E10value_typeET2_T3_PNSW_IS11_E10value_typeET4_jRbjT5_S17_jjP12ihipStream_tbEUljE_EEESS_ST_SU_S11_S15_S17_T6_T7_T9_mT8_S19_bDpT10_ENKUlT_T0_E_clISt17integral_constantIbLb0EES1L_IbLb1EEEEDaS1H_S1I_EUlS1H_E_NS1_11comp_targetILNS1_3genE4ELNS1_11target_archE910ELNS1_3gpuE8ELNS1_3repE0EEENS1_30default_config_static_selectorELNS0_4arch9wavefront6targetE0EEEvSV_
    .private_segment_fixed_size: 0
    .sgpr_count:     0
    .sgpr_spill_count: 0
    .symbol:         _ZN7rocprim17ROCPRIM_400000_NS6detail17trampoline_kernelINS0_13select_configILj256ELj13ELNS0_17block_load_methodE3ELS4_3ELS4_3ELNS0_20block_scan_algorithmE0ELj4294967295EEENS1_25partition_config_selectorILNS1_17partition_subalgoE3EjNS0_10empty_typeEbEEZZNS1_14partition_implILS8_3ELb0ES6_jNS0_17counting_iteratorIjlEEPS9_SE_NS0_5tupleIJPjSE_EEENSF_IJSE_SE_EEES9_SG_JZNS1_25segmented_radix_sort_implINS0_14default_configELb0EPKlPlSM_SN_N2at6native12_GLOBAL__N_18offset_tEEE10hipError_tPvRmT1_PNSt15iterator_traitsISV_E10value_typeET2_T3_PNSW_IS11_E10value_typeET4_jRbjT5_S17_jjP12ihipStream_tbEUljE_EEESS_ST_SU_S11_S15_S17_T6_T7_T9_mT8_S19_bDpT10_ENKUlT_T0_E_clISt17integral_constantIbLb0EES1L_IbLb1EEEEDaS1H_S1I_EUlS1H_E_NS1_11comp_targetILNS1_3genE4ELNS1_11target_archE910ELNS1_3gpuE8ELNS1_3repE0EEENS1_30default_config_static_selectorELNS0_4arch9wavefront6targetE0EEEvSV_.kd
    .uniform_work_group_size: 1
    .uses_dynamic_stack: false
    .vgpr_count:     0
    .vgpr_spill_count: 0
    .wavefront_size: 32
    .workgroup_processor_mode: 1
  - .args:
      - .offset:         0
        .size:           152
        .value_kind:     by_value
    .group_segment_fixed_size: 0
    .kernarg_segment_align: 8
    .kernarg_segment_size: 152
    .language:       OpenCL C
    .language_version:
      - 2
      - 0
    .max_flat_workgroup_size: 256
    .name:           _ZN7rocprim17ROCPRIM_400000_NS6detail17trampoline_kernelINS0_13select_configILj256ELj13ELNS0_17block_load_methodE3ELS4_3ELS4_3ELNS0_20block_scan_algorithmE0ELj4294967295EEENS1_25partition_config_selectorILNS1_17partition_subalgoE3EjNS0_10empty_typeEbEEZZNS1_14partition_implILS8_3ELb0ES6_jNS0_17counting_iteratorIjlEEPS9_SE_NS0_5tupleIJPjSE_EEENSF_IJSE_SE_EEES9_SG_JZNS1_25segmented_radix_sort_implINS0_14default_configELb0EPKlPlSM_SN_N2at6native12_GLOBAL__N_18offset_tEEE10hipError_tPvRmT1_PNSt15iterator_traitsISV_E10value_typeET2_T3_PNSW_IS11_E10value_typeET4_jRbjT5_S17_jjP12ihipStream_tbEUljE_EEESS_ST_SU_S11_S15_S17_T6_T7_T9_mT8_S19_bDpT10_ENKUlT_T0_E_clISt17integral_constantIbLb0EES1L_IbLb1EEEEDaS1H_S1I_EUlS1H_E_NS1_11comp_targetILNS1_3genE3ELNS1_11target_archE908ELNS1_3gpuE7ELNS1_3repE0EEENS1_30default_config_static_selectorELNS0_4arch9wavefront6targetE0EEEvSV_
    .private_segment_fixed_size: 0
    .sgpr_count:     0
    .sgpr_spill_count: 0
    .symbol:         _ZN7rocprim17ROCPRIM_400000_NS6detail17trampoline_kernelINS0_13select_configILj256ELj13ELNS0_17block_load_methodE3ELS4_3ELS4_3ELNS0_20block_scan_algorithmE0ELj4294967295EEENS1_25partition_config_selectorILNS1_17partition_subalgoE3EjNS0_10empty_typeEbEEZZNS1_14partition_implILS8_3ELb0ES6_jNS0_17counting_iteratorIjlEEPS9_SE_NS0_5tupleIJPjSE_EEENSF_IJSE_SE_EEES9_SG_JZNS1_25segmented_radix_sort_implINS0_14default_configELb0EPKlPlSM_SN_N2at6native12_GLOBAL__N_18offset_tEEE10hipError_tPvRmT1_PNSt15iterator_traitsISV_E10value_typeET2_T3_PNSW_IS11_E10value_typeET4_jRbjT5_S17_jjP12ihipStream_tbEUljE_EEESS_ST_SU_S11_S15_S17_T6_T7_T9_mT8_S19_bDpT10_ENKUlT_T0_E_clISt17integral_constantIbLb0EES1L_IbLb1EEEEDaS1H_S1I_EUlS1H_E_NS1_11comp_targetILNS1_3genE3ELNS1_11target_archE908ELNS1_3gpuE7ELNS1_3repE0EEENS1_30default_config_static_selectorELNS0_4arch9wavefront6targetE0EEEvSV_.kd
    .uniform_work_group_size: 1
    .uses_dynamic_stack: false
    .vgpr_count:     0
    .vgpr_spill_count: 0
    .wavefront_size: 32
    .workgroup_processor_mode: 1
  - .args:
      - .offset:         0
        .size:           152
        .value_kind:     by_value
    .group_segment_fixed_size: 0
    .kernarg_segment_align: 8
    .kernarg_segment_size: 152
    .language:       OpenCL C
    .language_version:
      - 2
      - 0
    .max_flat_workgroup_size: 256
    .name:           _ZN7rocprim17ROCPRIM_400000_NS6detail17trampoline_kernelINS0_13select_configILj256ELj13ELNS0_17block_load_methodE3ELS4_3ELS4_3ELNS0_20block_scan_algorithmE0ELj4294967295EEENS1_25partition_config_selectorILNS1_17partition_subalgoE3EjNS0_10empty_typeEbEEZZNS1_14partition_implILS8_3ELb0ES6_jNS0_17counting_iteratorIjlEEPS9_SE_NS0_5tupleIJPjSE_EEENSF_IJSE_SE_EEES9_SG_JZNS1_25segmented_radix_sort_implINS0_14default_configELb0EPKlPlSM_SN_N2at6native12_GLOBAL__N_18offset_tEEE10hipError_tPvRmT1_PNSt15iterator_traitsISV_E10value_typeET2_T3_PNSW_IS11_E10value_typeET4_jRbjT5_S17_jjP12ihipStream_tbEUljE_EEESS_ST_SU_S11_S15_S17_T6_T7_T9_mT8_S19_bDpT10_ENKUlT_T0_E_clISt17integral_constantIbLb0EES1L_IbLb1EEEEDaS1H_S1I_EUlS1H_E_NS1_11comp_targetILNS1_3genE2ELNS1_11target_archE906ELNS1_3gpuE6ELNS1_3repE0EEENS1_30default_config_static_selectorELNS0_4arch9wavefront6targetE0EEEvSV_
    .private_segment_fixed_size: 0
    .sgpr_count:     0
    .sgpr_spill_count: 0
    .symbol:         _ZN7rocprim17ROCPRIM_400000_NS6detail17trampoline_kernelINS0_13select_configILj256ELj13ELNS0_17block_load_methodE3ELS4_3ELS4_3ELNS0_20block_scan_algorithmE0ELj4294967295EEENS1_25partition_config_selectorILNS1_17partition_subalgoE3EjNS0_10empty_typeEbEEZZNS1_14partition_implILS8_3ELb0ES6_jNS0_17counting_iteratorIjlEEPS9_SE_NS0_5tupleIJPjSE_EEENSF_IJSE_SE_EEES9_SG_JZNS1_25segmented_radix_sort_implINS0_14default_configELb0EPKlPlSM_SN_N2at6native12_GLOBAL__N_18offset_tEEE10hipError_tPvRmT1_PNSt15iterator_traitsISV_E10value_typeET2_T3_PNSW_IS11_E10value_typeET4_jRbjT5_S17_jjP12ihipStream_tbEUljE_EEESS_ST_SU_S11_S15_S17_T6_T7_T9_mT8_S19_bDpT10_ENKUlT_T0_E_clISt17integral_constantIbLb0EES1L_IbLb1EEEEDaS1H_S1I_EUlS1H_E_NS1_11comp_targetILNS1_3genE2ELNS1_11target_archE906ELNS1_3gpuE6ELNS1_3repE0EEENS1_30default_config_static_selectorELNS0_4arch9wavefront6targetE0EEEvSV_.kd
    .uniform_work_group_size: 1
    .uses_dynamic_stack: false
    .vgpr_count:     0
    .vgpr_spill_count: 0
    .wavefront_size: 32
    .workgroup_processor_mode: 1
  - .args:
      - .offset:         0
        .size:           152
        .value_kind:     by_value
    .group_segment_fixed_size: 0
    .kernarg_segment_align: 8
    .kernarg_segment_size: 152
    .language:       OpenCL C
    .language_version:
      - 2
      - 0
    .max_flat_workgroup_size: 256
    .name:           _ZN7rocprim17ROCPRIM_400000_NS6detail17trampoline_kernelINS0_13select_configILj256ELj13ELNS0_17block_load_methodE3ELS4_3ELS4_3ELNS0_20block_scan_algorithmE0ELj4294967295EEENS1_25partition_config_selectorILNS1_17partition_subalgoE3EjNS0_10empty_typeEbEEZZNS1_14partition_implILS8_3ELb0ES6_jNS0_17counting_iteratorIjlEEPS9_SE_NS0_5tupleIJPjSE_EEENSF_IJSE_SE_EEES9_SG_JZNS1_25segmented_radix_sort_implINS0_14default_configELb0EPKlPlSM_SN_N2at6native12_GLOBAL__N_18offset_tEEE10hipError_tPvRmT1_PNSt15iterator_traitsISV_E10value_typeET2_T3_PNSW_IS11_E10value_typeET4_jRbjT5_S17_jjP12ihipStream_tbEUljE_EEESS_ST_SU_S11_S15_S17_T6_T7_T9_mT8_S19_bDpT10_ENKUlT_T0_E_clISt17integral_constantIbLb0EES1L_IbLb1EEEEDaS1H_S1I_EUlS1H_E_NS1_11comp_targetILNS1_3genE10ELNS1_11target_archE1200ELNS1_3gpuE4ELNS1_3repE0EEENS1_30default_config_static_selectorELNS0_4arch9wavefront6targetE0EEEvSV_
    .private_segment_fixed_size: 0
    .sgpr_count:     0
    .sgpr_spill_count: 0
    .symbol:         _ZN7rocprim17ROCPRIM_400000_NS6detail17trampoline_kernelINS0_13select_configILj256ELj13ELNS0_17block_load_methodE3ELS4_3ELS4_3ELNS0_20block_scan_algorithmE0ELj4294967295EEENS1_25partition_config_selectorILNS1_17partition_subalgoE3EjNS0_10empty_typeEbEEZZNS1_14partition_implILS8_3ELb0ES6_jNS0_17counting_iteratorIjlEEPS9_SE_NS0_5tupleIJPjSE_EEENSF_IJSE_SE_EEES9_SG_JZNS1_25segmented_radix_sort_implINS0_14default_configELb0EPKlPlSM_SN_N2at6native12_GLOBAL__N_18offset_tEEE10hipError_tPvRmT1_PNSt15iterator_traitsISV_E10value_typeET2_T3_PNSW_IS11_E10value_typeET4_jRbjT5_S17_jjP12ihipStream_tbEUljE_EEESS_ST_SU_S11_S15_S17_T6_T7_T9_mT8_S19_bDpT10_ENKUlT_T0_E_clISt17integral_constantIbLb0EES1L_IbLb1EEEEDaS1H_S1I_EUlS1H_E_NS1_11comp_targetILNS1_3genE10ELNS1_11target_archE1200ELNS1_3gpuE4ELNS1_3repE0EEENS1_30default_config_static_selectorELNS0_4arch9wavefront6targetE0EEEvSV_.kd
    .uniform_work_group_size: 1
    .uses_dynamic_stack: false
    .vgpr_count:     0
    .vgpr_spill_count: 0
    .wavefront_size: 32
    .workgroup_processor_mode: 1
  - .args:
      - .offset:         0
        .size:           152
        .value_kind:     by_value
    .group_segment_fixed_size: 13324
    .kernarg_segment_align: 8
    .kernarg_segment_size: 152
    .language:       OpenCL C
    .language_version:
      - 2
      - 0
    .max_flat_workgroup_size: 256
    .name:           _ZN7rocprim17ROCPRIM_400000_NS6detail17trampoline_kernelINS0_13select_configILj256ELj13ELNS0_17block_load_methodE3ELS4_3ELS4_3ELNS0_20block_scan_algorithmE0ELj4294967295EEENS1_25partition_config_selectorILNS1_17partition_subalgoE3EjNS0_10empty_typeEbEEZZNS1_14partition_implILS8_3ELb0ES6_jNS0_17counting_iteratorIjlEEPS9_SE_NS0_5tupleIJPjSE_EEENSF_IJSE_SE_EEES9_SG_JZNS1_25segmented_radix_sort_implINS0_14default_configELb0EPKlPlSM_SN_N2at6native12_GLOBAL__N_18offset_tEEE10hipError_tPvRmT1_PNSt15iterator_traitsISV_E10value_typeET2_T3_PNSW_IS11_E10value_typeET4_jRbjT5_S17_jjP12ihipStream_tbEUljE_EEESS_ST_SU_S11_S15_S17_T6_T7_T9_mT8_S19_bDpT10_ENKUlT_T0_E_clISt17integral_constantIbLb0EES1L_IbLb1EEEEDaS1H_S1I_EUlS1H_E_NS1_11comp_targetILNS1_3genE9ELNS1_11target_archE1100ELNS1_3gpuE3ELNS1_3repE0EEENS1_30default_config_static_selectorELNS0_4arch9wavefront6targetE0EEEvSV_
    .private_segment_fixed_size: 0
    .sgpr_count:     28
    .sgpr_spill_count: 0
    .symbol:         _ZN7rocprim17ROCPRIM_400000_NS6detail17trampoline_kernelINS0_13select_configILj256ELj13ELNS0_17block_load_methodE3ELS4_3ELS4_3ELNS0_20block_scan_algorithmE0ELj4294967295EEENS1_25partition_config_selectorILNS1_17partition_subalgoE3EjNS0_10empty_typeEbEEZZNS1_14partition_implILS8_3ELb0ES6_jNS0_17counting_iteratorIjlEEPS9_SE_NS0_5tupleIJPjSE_EEENSF_IJSE_SE_EEES9_SG_JZNS1_25segmented_radix_sort_implINS0_14default_configELb0EPKlPlSM_SN_N2at6native12_GLOBAL__N_18offset_tEEE10hipError_tPvRmT1_PNSt15iterator_traitsISV_E10value_typeET2_T3_PNSW_IS11_E10value_typeET4_jRbjT5_S17_jjP12ihipStream_tbEUljE_EEESS_ST_SU_S11_S15_S17_T6_T7_T9_mT8_S19_bDpT10_ENKUlT_T0_E_clISt17integral_constantIbLb0EES1L_IbLb1EEEEDaS1H_S1I_EUlS1H_E_NS1_11comp_targetILNS1_3genE9ELNS1_11target_archE1100ELNS1_3gpuE3ELNS1_3repE0EEENS1_30default_config_static_selectorELNS0_4arch9wavefront6targetE0EEEvSV_.kd
    .uniform_work_group_size: 1
    .uses_dynamic_stack: false
    .vgpr_count:     60
    .vgpr_spill_count: 0
    .wavefront_size: 32
    .workgroup_processor_mode: 1
  - .args:
      - .offset:         0
        .size:           152
        .value_kind:     by_value
    .group_segment_fixed_size: 0
    .kernarg_segment_align: 8
    .kernarg_segment_size: 152
    .language:       OpenCL C
    .language_version:
      - 2
      - 0
    .max_flat_workgroup_size: 256
    .name:           _ZN7rocprim17ROCPRIM_400000_NS6detail17trampoline_kernelINS0_13select_configILj256ELj13ELNS0_17block_load_methodE3ELS4_3ELS4_3ELNS0_20block_scan_algorithmE0ELj4294967295EEENS1_25partition_config_selectorILNS1_17partition_subalgoE3EjNS0_10empty_typeEbEEZZNS1_14partition_implILS8_3ELb0ES6_jNS0_17counting_iteratorIjlEEPS9_SE_NS0_5tupleIJPjSE_EEENSF_IJSE_SE_EEES9_SG_JZNS1_25segmented_radix_sort_implINS0_14default_configELb0EPKlPlSM_SN_N2at6native12_GLOBAL__N_18offset_tEEE10hipError_tPvRmT1_PNSt15iterator_traitsISV_E10value_typeET2_T3_PNSW_IS11_E10value_typeET4_jRbjT5_S17_jjP12ihipStream_tbEUljE_EEESS_ST_SU_S11_S15_S17_T6_T7_T9_mT8_S19_bDpT10_ENKUlT_T0_E_clISt17integral_constantIbLb0EES1L_IbLb1EEEEDaS1H_S1I_EUlS1H_E_NS1_11comp_targetILNS1_3genE8ELNS1_11target_archE1030ELNS1_3gpuE2ELNS1_3repE0EEENS1_30default_config_static_selectorELNS0_4arch9wavefront6targetE0EEEvSV_
    .private_segment_fixed_size: 0
    .sgpr_count:     0
    .sgpr_spill_count: 0
    .symbol:         _ZN7rocprim17ROCPRIM_400000_NS6detail17trampoline_kernelINS0_13select_configILj256ELj13ELNS0_17block_load_methodE3ELS4_3ELS4_3ELNS0_20block_scan_algorithmE0ELj4294967295EEENS1_25partition_config_selectorILNS1_17partition_subalgoE3EjNS0_10empty_typeEbEEZZNS1_14partition_implILS8_3ELb0ES6_jNS0_17counting_iteratorIjlEEPS9_SE_NS0_5tupleIJPjSE_EEENSF_IJSE_SE_EEES9_SG_JZNS1_25segmented_radix_sort_implINS0_14default_configELb0EPKlPlSM_SN_N2at6native12_GLOBAL__N_18offset_tEEE10hipError_tPvRmT1_PNSt15iterator_traitsISV_E10value_typeET2_T3_PNSW_IS11_E10value_typeET4_jRbjT5_S17_jjP12ihipStream_tbEUljE_EEESS_ST_SU_S11_S15_S17_T6_T7_T9_mT8_S19_bDpT10_ENKUlT_T0_E_clISt17integral_constantIbLb0EES1L_IbLb1EEEEDaS1H_S1I_EUlS1H_E_NS1_11comp_targetILNS1_3genE8ELNS1_11target_archE1030ELNS1_3gpuE2ELNS1_3repE0EEENS1_30default_config_static_selectorELNS0_4arch9wavefront6targetE0EEEvSV_.kd
    .uniform_work_group_size: 1
    .uses_dynamic_stack: false
    .vgpr_count:     0
    .vgpr_spill_count: 0
    .wavefront_size: 32
    .workgroup_processor_mode: 1
  - .args:
      - .offset:         0
        .size:           96
        .value_kind:     by_value
    .group_segment_fixed_size: 0
    .kernarg_segment_align: 8
    .kernarg_segment_size: 96
    .language:       OpenCL C
    .language_version:
      - 2
      - 0
    .max_flat_workgroup_size: 256
    .name:           _ZN7rocprim17ROCPRIM_400000_NS6detail17trampoline_kernelINS0_14default_configENS1_36segmented_radix_sort_config_selectorIllEEZNS1_25segmented_radix_sort_implIS3_Lb0EPKlPlS8_S9_N2at6native12_GLOBAL__N_18offset_tEEE10hipError_tPvRmT1_PNSt15iterator_traitsISH_E10value_typeET2_T3_PNSI_ISN_E10value_typeET4_jRbjT5_ST_jjP12ihipStream_tbEUlT_E_NS1_11comp_targetILNS1_3genE0ELNS1_11target_archE4294967295ELNS1_3gpuE0ELNS1_3repE0EEENS1_30default_config_static_selectorELNS0_4arch9wavefront6targetE0EEEvSH_
    .private_segment_fixed_size: 0
    .sgpr_count:     0
    .sgpr_spill_count: 0
    .symbol:         _ZN7rocprim17ROCPRIM_400000_NS6detail17trampoline_kernelINS0_14default_configENS1_36segmented_radix_sort_config_selectorIllEEZNS1_25segmented_radix_sort_implIS3_Lb0EPKlPlS8_S9_N2at6native12_GLOBAL__N_18offset_tEEE10hipError_tPvRmT1_PNSt15iterator_traitsISH_E10value_typeET2_T3_PNSI_ISN_E10value_typeET4_jRbjT5_ST_jjP12ihipStream_tbEUlT_E_NS1_11comp_targetILNS1_3genE0ELNS1_11target_archE4294967295ELNS1_3gpuE0ELNS1_3repE0EEENS1_30default_config_static_selectorELNS0_4arch9wavefront6targetE0EEEvSH_.kd
    .uniform_work_group_size: 1
    .uses_dynamic_stack: false
    .vgpr_count:     0
    .vgpr_spill_count: 0
    .wavefront_size: 32
    .workgroup_processor_mode: 1
  - .args:
      - .offset:         0
        .size:           96
        .value_kind:     by_value
    .group_segment_fixed_size: 0
    .kernarg_segment_align: 8
    .kernarg_segment_size: 96
    .language:       OpenCL C
    .language_version:
      - 2
      - 0
    .max_flat_workgroup_size: 256
    .name:           _ZN7rocprim17ROCPRIM_400000_NS6detail17trampoline_kernelINS0_14default_configENS1_36segmented_radix_sort_config_selectorIllEEZNS1_25segmented_radix_sort_implIS3_Lb0EPKlPlS8_S9_N2at6native12_GLOBAL__N_18offset_tEEE10hipError_tPvRmT1_PNSt15iterator_traitsISH_E10value_typeET2_T3_PNSI_ISN_E10value_typeET4_jRbjT5_ST_jjP12ihipStream_tbEUlT_E_NS1_11comp_targetILNS1_3genE5ELNS1_11target_archE942ELNS1_3gpuE9ELNS1_3repE0EEENS1_30default_config_static_selectorELNS0_4arch9wavefront6targetE0EEEvSH_
    .private_segment_fixed_size: 0
    .sgpr_count:     0
    .sgpr_spill_count: 0
    .symbol:         _ZN7rocprim17ROCPRIM_400000_NS6detail17trampoline_kernelINS0_14default_configENS1_36segmented_radix_sort_config_selectorIllEEZNS1_25segmented_radix_sort_implIS3_Lb0EPKlPlS8_S9_N2at6native12_GLOBAL__N_18offset_tEEE10hipError_tPvRmT1_PNSt15iterator_traitsISH_E10value_typeET2_T3_PNSI_ISN_E10value_typeET4_jRbjT5_ST_jjP12ihipStream_tbEUlT_E_NS1_11comp_targetILNS1_3genE5ELNS1_11target_archE942ELNS1_3gpuE9ELNS1_3repE0EEENS1_30default_config_static_selectorELNS0_4arch9wavefront6targetE0EEEvSH_.kd
    .uniform_work_group_size: 1
    .uses_dynamic_stack: false
    .vgpr_count:     0
    .vgpr_spill_count: 0
    .wavefront_size: 32
    .workgroup_processor_mode: 1
  - .args:
      - .offset:         0
        .size:           96
        .value_kind:     by_value
    .group_segment_fixed_size: 0
    .kernarg_segment_align: 8
    .kernarg_segment_size: 96
    .language:       OpenCL C
    .language_version:
      - 2
      - 0
    .max_flat_workgroup_size: 256
    .name:           _ZN7rocprim17ROCPRIM_400000_NS6detail17trampoline_kernelINS0_14default_configENS1_36segmented_radix_sort_config_selectorIllEEZNS1_25segmented_radix_sort_implIS3_Lb0EPKlPlS8_S9_N2at6native12_GLOBAL__N_18offset_tEEE10hipError_tPvRmT1_PNSt15iterator_traitsISH_E10value_typeET2_T3_PNSI_ISN_E10value_typeET4_jRbjT5_ST_jjP12ihipStream_tbEUlT_E_NS1_11comp_targetILNS1_3genE4ELNS1_11target_archE910ELNS1_3gpuE8ELNS1_3repE0EEENS1_30default_config_static_selectorELNS0_4arch9wavefront6targetE0EEEvSH_
    .private_segment_fixed_size: 0
    .sgpr_count:     0
    .sgpr_spill_count: 0
    .symbol:         _ZN7rocprim17ROCPRIM_400000_NS6detail17trampoline_kernelINS0_14default_configENS1_36segmented_radix_sort_config_selectorIllEEZNS1_25segmented_radix_sort_implIS3_Lb0EPKlPlS8_S9_N2at6native12_GLOBAL__N_18offset_tEEE10hipError_tPvRmT1_PNSt15iterator_traitsISH_E10value_typeET2_T3_PNSI_ISN_E10value_typeET4_jRbjT5_ST_jjP12ihipStream_tbEUlT_E_NS1_11comp_targetILNS1_3genE4ELNS1_11target_archE910ELNS1_3gpuE8ELNS1_3repE0EEENS1_30default_config_static_selectorELNS0_4arch9wavefront6targetE0EEEvSH_.kd
    .uniform_work_group_size: 1
    .uses_dynamic_stack: false
    .vgpr_count:     0
    .vgpr_spill_count: 0
    .wavefront_size: 32
    .workgroup_processor_mode: 1
  - .args:
      - .offset:         0
        .size:           96
        .value_kind:     by_value
    .group_segment_fixed_size: 0
    .kernarg_segment_align: 8
    .kernarg_segment_size: 96
    .language:       OpenCL C
    .language_version:
      - 2
      - 0
    .max_flat_workgroup_size: 256
    .name:           _ZN7rocprim17ROCPRIM_400000_NS6detail17trampoline_kernelINS0_14default_configENS1_36segmented_radix_sort_config_selectorIllEEZNS1_25segmented_radix_sort_implIS3_Lb0EPKlPlS8_S9_N2at6native12_GLOBAL__N_18offset_tEEE10hipError_tPvRmT1_PNSt15iterator_traitsISH_E10value_typeET2_T3_PNSI_ISN_E10value_typeET4_jRbjT5_ST_jjP12ihipStream_tbEUlT_E_NS1_11comp_targetILNS1_3genE3ELNS1_11target_archE908ELNS1_3gpuE7ELNS1_3repE0EEENS1_30default_config_static_selectorELNS0_4arch9wavefront6targetE0EEEvSH_
    .private_segment_fixed_size: 0
    .sgpr_count:     0
    .sgpr_spill_count: 0
    .symbol:         _ZN7rocprim17ROCPRIM_400000_NS6detail17trampoline_kernelINS0_14default_configENS1_36segmented_radix_sort_config_selectorIllEEZNS1_25segmented_radix_sort_implIS3_Lb0EPKlPlS8_S9_N2at6native12_GLOBAL__N_18offset_tEEE10hipError_tPvRmT1_PNSt15iterator_traitsISH_E10value_typeET2_T3_PNSI_ISN_E10value_typeET4_jRbjT5_ST_jjP12ihipStream_tbEUlT_E_NS1_11comp_targetILNS1_3genE3ELNS1_11target_archE908ELNS1_3gpuE7ELNS1_3repE0EEENS1_30default_config_static_selectorELNS0_4arch9wavefront6targetE0EEEvSH_.kd
    .uniform_work_group_size: 1
    .uses_dynamic_stack: false
    .vgpr_count:     0
    .vgpr_spill_count: 0
    .wavefront_size: 32
    .workgroup_processor_mode: 1
  - .args:
      - .offset:         0
        .size:           96
        .value_kind:     by_value
    .group_segment_fixed_size: 0
    .kernarg_segment_align: 8
    .kernarg_segment_size: 96
    .language:       OpenCL C
    .language_version:
      - 2
      - 0
    .max_flat_workgroup_size: 256
    .name:           _ZN7rocprim17ROCPRIM_400000_NS6detail17trampoline_kernelINS0_14default_configENS1_36segmented_radix_sort_config_selectorIllEEZNS1_25segmented_radix_sort_implIS3_Lb0EPKlPlS8_S9_N2at6native12_GLOBAL__N_18offset_tEEE10hipError_tPvRmT1_PNSt15iterator_traitsISH_E10value_typeET2_T3_PNSI_ISN_E10value_typeET4_jRbjT5_ST_jjP12ihipStream_tbEUlT_E_NS1_11comp_targetILNS1_3genE2ELNS1_11target_archE906ELNS1_3gpuE6ELNS1_3repE0EEENS1_30default_config_static_selectorELNS0_4arch9wavefront6targetE0EEEvSH_
    .private_segment_fixed_size: 0
    .sgpr_count:     0
    .sgpr_spill_count: 0
    .symbol:         _ZN7rocprim17ROCPRIM_400000_NS6detail17trampoline_kernelINS0_14default_configENS1_36segmented_radix_sort_config_selectorIllEEZNS1_25segmented_radix_sort_implIS3_Lb0EPKlPlS8_S9_N2at6native12_GLOBAL__N_18offset_tEEE10hipError_tPvRmT1_PNSt15iterator_traitsISH_E10value_typeET2_T3_PNSI_ISN_E10value_typeET4_jRbjT5_ST_jjP12ihipStream_tbEUlT_E_NS1_11comp_targetILNS1_3genE2ELNS1_11target_archE906ELNS1_3gpuE6ELNS1_3repE0EEENS1_30default_config_static_selectorELNS0_4arch9wavefront6targetE0EEEvSH_.kd
    .uniform_work_group_size: 1
    .uses_dynamic_stack: false
    .vgpr_count:     0
    .vgpr_spill_count: 0
    .wavefront_size: 32
    .workgroup_processor_mode: 1
  - .args:
      - .offset:         0
        .size:           96
        .value_kind:     by_value
    .group_segment_fixed_size: 0
    .kernarg_segment_align: 8
    .kernarg_segment_size: 96
    .language:       OpenCL C
    .language_version:
      - 2
      - 0
    .max_flat_workgroup_size: 256
    .name:           _ZN7rocprim17ROCPRIM_400000_NS6detail17trampoline_kernelINS0_14default_configENS1_36segmented_radix_sort_config_selectorIllEEZNS1_25segmented_radix_sort_implIS3_Lb0EPKlPlS8_S9_N2at6native12_GLOBAL__N_18offset_tEEE10hipError_tPvRmT1_PNSt15iterator_traitsISH_E10value_typeET2_T3_PNSI_ISN_E10value_typeET4_jRbjT5_ST_jjP12ihipStream_tbEUlT_E_NS1_11comp_targetILNS1_3genE10ELNS1_11target_archE1201ELNS1_3gpuE5ELNS1_3repE0EEENS1_30default_config_static_selectorELNS0_4arch9wavefront6targetE0EEEvSH_
    .private_segment_fixed_size: 0
    .sgpr_count:     0
    .sgpr_spill_count: 0
    .symbol:         _ZN7rocprim17ROCPRIM_400000_NS6detail17trampoline_kernelINS0_14default_configENS1_36segmented_radix_sort_config_selectorIllEEZNS1_25segmented_radix_sort_implIS3_Lb0EPKlPlS8_S9_N2at6native12_GLOBAL__N_18offset_tEEE10hipError_tPvRmT1_PNSt15iterator_traitsISH_E10value_typeET2_T3_PNSI_ISN_E10value_typeET4_jRbjT5_ST_jjP12ihipStream_tbEUlT_E_NS1_11comp_targetILNS1_3genE10ELNS1_11target_archE1201ELNS1_3gpuE5ELNS1_3repE0EEENS1_30default_config_static_selectorELNS0_4arch9wavefront6targetE0EEEvSH_.kd
    .uniform_work_group_size: 1
    .uses_dynamic_stack: false
    .vgpr_count:     0
    .vgpr_spill_count: 0
    .wavefront_size: 32
    .workgroup_processor_mode: 1
  - .args:
      - .offset:         0
        .size:           96
        .value_kind:     by_value
    .group_segment_fixed_size: 0
    .kernarg_segment_align: 8
    .kernarg_segment_size: 96
    .language:       OpenCL C
    .language_version:
      - 2
      - 0
    .max_flat_workgroup_size: 128
    .name:           _ZN7rocprim17ROCPRIM_400000_NS6detail17trampoline_kernelINS0_14default_configENS1_36segmented_radix_sort_config_selectorIllEEZNS1_25segmented_radix_sort_implIS3_Lb0EPKlPlS8_S9_N2at6native12_GLOBAL__N_18offset_tEEE10hipError_tPvRmT1_PNSt15iterator_traitsISH_E10value_typeET2_T3_PNSI_ISN_E10value_typeET4_jRbjT5_ST_jjP12ihipStream_tbEUlT_E_NS1_11comp_targetILNS1_3genE10ELNS1_11target_archE1200ELNS1_3gpuE4ELNS1_3repE0EEENS1_30default_config_static_selectorELNS0_4arch9wavefront6targetE0EEEvSH_
    .private_segment_fixed_size: 0
    .sgpr_count:     0
    .sgpr_spill_count: 0
    .symbol:         _ZN7rocprim17ROCPRIM_400000_NS6detail17trampoline_kernelINS0_14default_configENS1_36segmented_radix_sort_config_selectorIllEEZNS1_25segmented_radix_sort_implIS3_Lb0EPKlPlS8_S9_N2at6native12_GLOBAL__N_18offset_tEEE10hipError_tPvRmT1_PNSt15iterator_traitsISH_E10value_typeET2_T3_PNSI_ISN_E10value_typeET4_jRbjT5_ST_jjP12ihipStream_tbEUlT_E_NS1_11comp_targetILNS1_3genE10ELNS1_11target_archE1200ELNS1_3gpuE4ELNS1_3repE0EEENS1_30default_config_static_selectorELNS0_4arch9wavefront6targetE0EEEvSH_.kd
    .uniform_work_group_size: 1
    .uses_dynamic_stack: false
    .vgpr_count:     0
    .vgpr_spill_count: 0
    .wavefront_size: 32
    .workgroup_processor_mode: 1
  - .args:
      - .offset:         0
        .size:           96
        .value_kind:     by_value
      - .offset:         96
        .size:           4
        .value_kind:     hidden_block_count_x
      - .offset:         100
        .size:           4
        .value_kind:     hidden_block_count_y
      - .offset:         104
        .size:           4
        .value_kind:     hidden_block_count_z
      - .offset:         108
        .size:           2
        .value_kind:     hidden_group_size_x
      - .offset:         110
        .size:           2
        .value_kind:     hidden_group_size_y
      - .offset:         112
        .size:           2
        .value_kind:     hidden_group_size_z
      - .offset:         114
        .size:           2
        .value_kind:     hidden_remainder_x
      - .offset:         116
        .size:           2
        .value_kind:     hidden_remainder_y
      - .offset:         118
        .size:           2
        .value_kind:     hidden_remainder_z
      - .offset:         136
        .size:           8
        .value_kind:     hidden_global_offset_x
      - .offset:         144
        .size:           8
        .value_kind:     hidden_global_offset_y
      - .offset:         152
        .size:           8
        .value_kind:     hidden_global_offset_z
      - .offset:         160
        .size:           2
        .value_kind:     hidden_grid_dims
    .group_segment_fixed_size: 33824
    .kernarg_segment_align: 8
    .kernarg_segment_size: 352
    .language:       OpenCL C
    .language_version:
      - 2
      - 0
    .max_flat_workgroup_size: 256
    .name:           _ZN7rocprim17ROCPRIM_400000_NS6detail17trampoline_kernelINS0_14default_configENS1_36segmented_radix_sort_config_selectorIllEEZNS1_25segmented_radix_sort_implIS3_Lb0EPKlPlS8_S9_N2at6native12_GLOBAL__N_18offset_tEEE10hipError_tPvRmT1_PNSt15iterator_traitsISH_E10value_typeET2_T3_PNSI_ISN_E10value_typeET4_jRbjT5_ST_jjP12ihipStream_tbEUlT_E_NS1_11comp_targetILNS1_3genE9ELNS1_11target_archE1100ELNS1_3gpuE3ELNS1_3repE0EEENS1_30default_config_static_selectorELNS0_4arch9wavefront6targetE0EEEvSH_
    .private_segment_fixed_size: 200
    .sgpr_count:     68
    .sgpr_spill_count: 0
    .symbol:         _ZN7rocprim17ROCPRIM_400000_NS6detail17trampoline_kernelINS0_14default_configENS1_36segmented_radix_sort_config_selectorIllEEZNS1_25segmented_radix_sort_implIS3_Lb0EPKlPlS8_S9_N2at6native12_GLOBAL__N_18offset_tEEE10hipError_tPvRmT1_PNSt15iterator_traitsISH_E10value_typeET2_T3_PNSI_ISN_E10value_typeET4_jRbjT5_ST_jjP12ihipStream_tbEUlT_E_NS1_11comp_targetILNS1_3genE9ELNS1_11target_archE1100ELNS1_3gpuE3ELNS1_3repE0EEENS1_30default_config_static_selectorELNS0_4arch9wavefront6targetE0EEEvSH_.kd
    .uniform_work_group_size: 1
    .uses_dynamic_stack: false
    .vgpr_count:     248
    .vgpr_spill_count: 0
    .wavefront_size: 32
    .workgroup_processor_mode: 1
  - .args:
      - .offset:         0
        .size:           96
        .value_kind:     by_value
    .group_segment_fixed_size: 0
    .kernarg_segment_align: 8
    .kernarg_segment_size: 96
    .language:       OpenCL C
    .language_version:
      - 2
      - 0
    .max_flat_workgroup_size: 256
    .name:           _ZN7rocprim17ROCPRIM_400000_NS6detail17trampoline_kernelINS0_14default_configENS1_36segmented_radix_sort_config_selectorIllEEZNS1_25segmented_radix_sort_implIS3_Lb0EPKlPlS8_S9_N2at6native12_GLOBAL__N_18offset_tEEE10hipError_tPvRmT1_PNSt15iterator_traitsISH_E10value_typeET2_T3_PNSI_ISN_E10value_typeET4_jRbjT5_ST_jjP12ihipStream_tbEUlT_E_NS1_11comp_targetILNS1_3genE8ELNS1_11target_archE1030ELNS1_3gpuE2ELNS1_3repE0EEENS1_30default_config_static_selectorELNS0_4arch9wavefront6targetE0EEEvSH_
    .private_segment_fixed_size: 0
    .sgpr_count:     0
    .sgpr_spill_count: 0
    .symbol:         _ZN7rocprim17ROCPRIM_400000_NS6detail17trampoline_kernelINS0_14default_configENS1_36segmented_radix_sort_config_selectorIllEEZNS1_25segmented_radix_sort_implIS3_Lb0EPKlPlS8_S9_N2at6native12_GLOBAL__N_18offset_tEEE10hipError_tPvRmT1_PNSt15iterator_traitsISH_E10value_typeET2_T3_PNSI_ISN_E10value_typeET4_jRbjT5_ST_jjP12ihipStream_tbEUlT_E_NS1_11comp_targetILNS1_3genE8ELNS1_11target_archE1030ELNS1_3gpuE2ELNS1_3repE0EEENS1_30default_config_static_selectorELNS0_4arch9wavefront6targetE0EEEvSH_.kd
    .uniform_work_group_size: 1
    .uses_dynamic_stack: false
    .vgpr_count:     0
    .vgpr_spill_count: 0
    .wavefront_size: 32
    .workgroup_processor_mode: 1
  - .args:
      - .offset:         0
        .size:           88
        .value_kind:     by_value
    .group_segment_fixed_size: 0
    .kernarg_segment_align: 8
    .kernarg_segment_size: 88
    .language:       OpenCL C
    .language_version:
      - 2
      - 0
    .max_flat_workgroup_size: 256
    .name:           _ZN7rocprim17ROCPRIM_400000_NS6detail17trampoline_kernelINS0_14default_configENS1_36segmented_radix_sort_config_selectorIllEEZNS1_25segmented_radix_sort_implIS3_Lb0EPKlPlS8_S9_N2at6native12_GLOBAL__N_18offset_tEEE10hipError_tPvRmT1_PNSt15iterator_traitsISH_E10value_typeET2_T3_PNSI_ISN_E10value_typeET4_jRbjT5_ST_jjP12ihipStream_tbEUlT_E0_NS1_11comp_targetILNS1_3genE0ELNS1_11target_archE4294967295ELNS1_3gpuE0ELNS1_3repE0EEENS1_60segmented_radix_sort_warp_sort_medium_config_static_selectorELNS0_4arch9wavefront6targetE0EEEvSH_
    .private_segment_fixed_size: 0
    .sgpr_count:     0
    .sgpr_spill_count: 0
    .symbol:         _ZN7rocprim17ROCPRIM_400000_NS6detail17trampoline_kernelINS0_14default_configENS1_36segmented_radix_sort_config_selectorIllEEZNS1_25segmented_radix_sort_implIS3_Lb0EPKlPlS8_S9_N2at6native12_GLOBAL__N_18offset_tEEE10hipError_tPvRmT1_PNSt15iterator_traitsISH_E10value_typeET2_T3_PNSI_ISN_E10value_typeET4_jRbjT5_ST_jjP12ihipStream_tbEUlT_E0_NS1_11comp_targetILNS1_3genE0ELNS1_11target_archE4294967295ELNS1_3gpuE0ELNS1_3repE0EEENS1_60segmented_radix_sort_warp_sort_medium_config_static_selectorELNS0_4arch9wavefront6targetE0EEEvSH_.kd
    .uniform_work_group_size: 1
    .uses_dynamic_stack: false
    .vgpr_count:     0
    .vgpr_spill_count: 0
    .wavefront_size: 32
    .workgroup_processor_mode: 1
  - .args:
      - .offset:         0
        .size:           88
        .value_kind:     by_value
    .group_segment_fixed_size: 0
    .kernarg_segment_align: 8
    .kernarg_segment_size: 88
    .language:       OpenCL C
    .language_version:
      - 2
      - 0
    .max_flat_workgroup_size: 256
    .name:           _ZN7rocprim17ROCPRIM_400000_NS6detail17trampoline_kernelINS0_14default_configENS1_36segmented_radix_sort_config_selectorIllEEZNS1_25segmented_radix_sort_implIS3_Lb0EPKlPlS8_S9_N2at6native12_GLOBAL__N_18offset_tEEE10hipError_tPvRmT1_PNSt15iterator_traitsISH_E10value_typeET2_T3_PNSI_ISN_E10value_typeET4_jRbjT5_ST_jjP12ihipStream_tbEUlT_E0_NS1_11comp_targetILNS1_3genE5ELNS1_11target_archE942ELNS1_3gpuE9ELNS1_3repE0EEENS1_60segmented_radix_sort_warp_sort_medium_config_static_selectorELNS0_4arch9wavefront6targetE0EEEvSH_
    .private_segment_fixed_size: 0
    .sgpr_count:     0
    .sgpr_spill_count: 0
    .symbol:         _ZN7rocprim17ROCPRIM_400000_NS6detail17trampoline_kernelINS0_14default_configENS1_36segmented_radix_sort_config_selectorIllEEZNS1_25segmented_radix_sort_implIS3_Lb0EPKlPlS8_S9_N2at6native12_GLOBAL__N_18offset_tEEE10hipError_tPvRmT1_PNSt15iterator_traitsISH_E10value_typeET2_T3_PNSI_ISN_E10value_typeET4_jRbjT5_ST_jjP12ihipStream_tbEUlT_E0_NS1_11comp_targetILNS1_3genE5ELNS1_11target_archE942ELNS1_3gpuE9ELNS1_3repE0EEENS1_60segmented_radix_sort_warp_sort_medium_config_static_selectorELNS0_4arch9wavefront6targetE0EEEvSH_.kd
    .uniform_work_group_size: 1
    .uses_dynamic_stack: false
    .vgpr_count:     0
    .vgpr_spill_count: 0
    .wavefront_size: 32
    .workgroup_processor_mode: 1
  - .args:
      - .offset:         0
        .size:           88
        .value_kind:     by_value
    .group_segment_fixed_size: 0
    .kernarg_segment_align: 8
    .kernarg_segment_size: 88
    .language:       OpenCL C
    .language_version:
      - 2
      - 0
    .max_flat_workgroup_size: 256
    .name:           _ZN7rocprim17ROCPRIM_400000_NS6detail17trampoline_kernelINS0_14default_configENS1_36segmented_radix_sort_config_selectorIllEEZNS1_25segmented_radix_sort_implIS3_Lb0EPKlPlS8_S9_N2at6native12_GLOBAL__N_18offset_tEEE10hipError_tPvRmT1_PNSt15iterator_traitsISH_E10value_typeET2_T3_PNSI_ISN_E10value_typeET4_jRbjT5_ST_jjP12ihipStream_tbEUlT_E0_NS1_11comp_targetILNS1_3genE4ELNS1_11target_archE910ELNS1_3gpuE8ELNS1_3repE0EEENS1_60segmented_radix_sort_warp_sort_medium_config_static_selectorELNS0_4arch9wavefront6targetE0EEEvSH_
    .private_segment_fixed_size: 0
    .sgpr_count:     0
    .sgpr_spill_count: 0
    .symbol:         _ZN7rocprim17ROCPRIM_400000_NS6detail17trampoline_kernelINS0_14default_configENS1_36segmented_radix_sort_config_selectorIllEEZNS1_25segmented_radix_sort_implIS3_Lb0EPKlPlS8_S9_N2at6native12_GLOBAL__N_18offset_tEEE10hipError_tPvRmT1_PNSt15iterator_traitsISH_E10value_typeET2_T3_PNSI_ISN_E10value_typeET4_jRbjT5_ST_jjP12ihipStream_tbEUlT_E0_NS1_11comp_targetILNS1_3genE4ELNS1_11target_archE910ELNS1_3gpuE8ELNS1_3repE0EEENS1_60segmented_radix_sort_warp_sort_medium_config_static_selectorELNS0_4arch9wavefront6targetE0EEEvSH_.kd
    .uniform_work_group_size: 1
    .uses_dynamic_stack: false
    .vgpr_count:     0
    .vgpr_spill_count: 0
    .wavefront_size: 32
    .workgroup_processor_mode: 1
  - .args:
      - .offset:         0
        .size:           88
        .value_kind:     by_value
    .group_segment_fixed_size: 0
    .kernarg_segment_align: 8
    .kernarg_segment_size: 88
    .language:       OpenCL C
    .language_version:
      - 2
      - 0
    .max_flat_workgroup_size: 256
    .name:           _ZN7rocprim17ROCPRIM_400000_NS6detail17trampoline_kernelINS0_14default_configENS1_36segmented_radix_sort_config_selectorIllEEZNS1_25segmented_radix_sort_implIS3_Lb0EPKlPlS8_S9_N2at6native12_GLOBAL__N_18offset_tEEE10hipError_tPvRmT1_PNSt15iterator_traitsISH_E10value_typeET2_T3_PNSI_ISN_E10value_typeET4_jRbjT5_ST_jjP12ihipStream_tbEUlT_E0_NS1_11comp_targetILNS1_3genE3ELNS1_11target_archE908ELNS1_3gpuE7ELNS1_3repE0EEENS1_60segmented_radix_sort_warp_sort_medium_config_static_selectorELNS0_4arch9wavefront6targetE0EEEvSH_
    .private_segment_fixed_size: 0
    .sgpr_count:     0
    .sgpr_spill_count: 0
    .symbol:         _ZN7rocprim17ROCPRIM_400000_NS6detail17trampoline_kernelINS0_14default_configENS1_36segmented_radix_sort_config_selectorIllEEZNS1_25segmented_radix_sort_implIS3_Lb0EPKlPlS8_S9_N2at6native12_GLOBAL__N_18offset_tEEE10hipError_tPvRmT1_PNSt15iterator_traitsISH_E10value_typeET2_T3_PNSI_ISN_E10value_typeET4_jRbjT5_ST_jjP12ihipStream_tbEUlT_E0_NS1_11comp_targetILNS1_3genE3ELNS1_11target_archE908ELNS1_3gpuE7ELNS1_3repE0EEENS1_60segmented_radix_sort_warp_sort_medium_config_static_selectorELNS0_4arch9wavefront6targetE0EEEvSH_.kd
    .uniform_work_group_size: 1
    .uses_dynamic_stack: false
    .vgpr_count:     0
    .vgpr_spill_count: 0
    .wavefront_size: 32
    .workgroup_processor_mode: 1
  - .args:
      - .offset:         0
        .size:           88
        .value_kind:     by_value
    .group_segment_fixed_size: 0
    .kernarg_segment_align: 8
    .kernarg_segment_size: 88
    .language:       OpenCL C
    .language_version:
      - 2
      - 0
    .max_flat_workgroup_size: 256
    .name:           _ZN7rocprim17ROCPRIM_400000_NS6detail17trampoline_kernelINS0_14default_configENS1_36segmented_radix_sort_config_selectorIllEEZNS1_25segmented_radix_sort_implIS3_Lb0EPKlPlS8_S9_N2at6native12_GLOBAL__N_18offset_tEEE10hipError_tPvRmT1_PNSt15iterator_traitsISH_E10value_typeET2_T3_PNSI_ISN_E10value_typeET4_jRbjT5_ST_jjP12ihipStream_tbEUlT_E0_NS1_11comp_targetILNS1_3genE2ELNS1_11target_archE906ELNS1_3gpuE6ELNS1_3repE0EEENS1_60segmented_radix_sort_warp_sort_medium_config_static_selectorELNS0_4arch9wavefront6targetE0EEEvSH_
    .private_segment_fixed_size: 0
    .sgpr_count:     0
    .sgpr_spill_count: 0
    .symbol:         _ZN7rocprim17ROCPRIM_400000_NS6detail17trampoline_kernelINS0_14default_configENS1_36segmented_radix_sort_config_selectorIllEEZNS1_25segmented_radix_sort_implIS3_Lb0EPKlPlS8_S9_N2at6native12_GLOBAL__N_18offset_tEEE10hipError_tPvRmT1_PNSt15iterator_traitsISH_E10value_typeET2_T3_PNSI_ISN_E10value_typeET4_jRbjT5_ST_jjP12ihipStream_tbEUlT_E0_NS1_11comp_targetILNS1_3genE2ELNS1_11target_archE906ELNS1_3gpuE6ELNS1_3repE0EEENS1_60segmented_radix_sort_warp_sort_medium_config_static_selectorELNS0_4arch9wavefront6targetE0EEEvSH_.kd
    .uniform_work_group_size: 1
    .uses_dynamic_stack: false
    .vgpr_count:     0
    .vgpr_spill_count: 0
    .wavefront_size: 32
    .workgroup_processor_mode: 1
  - .args:
      - .offset:         0
        .size:           88
        .value_kind:     by_value
    .group_segment_fixed_size: 0
    .kernarg_segment_align: 8
    .kernarg_segment_size: 88
    .language:       OpenCL C
    .language_version:
      - 2
      - 0
    .max_flat_workgroup_size: 256
    .name:           _ZN7rocprim17ROCPRIM_400000_NS6detail17trampoline_kernelINS0_14default_configENS1_36segmented_radix_sort_config_selectorIllEEZNS1_25segmented_radix_sort_implIS3_Lb0EPKlPlS8_S9_N2at6native12_GLOBAL__N_18offset_tEEE10hipError_tPvRmT1_PNSt15iterator_traitsISH_E10value_typeET2_T3_PNSI_ISN_E10value_typeET4_jRbjT5_ST_jjP12ihipStream_tbEUlT_E0_NS1_11comp_targetILNS1_3genE10ELNS1_11target_archE1201ELNS1_3gpuE5ELNS1_3repE0EEENS1_60segmented_radix_sort_warp_sort_medium_config_static_selectorELNS0_4arch9wavefront6targetE0EEEvSH_
    .private_segment_fixed_size: 0
    .sgpr_count:     0
    .sgpr_spill_count: 0
    .symbol:         _ZN7rocprim17ROCPRIM_400000_NS6detail17trampoline_kernelINS0_14default_configENS1_36segmented_radix_sort_config_selectorIllEEZNS1_25segmented_radix_sort_implIS3_Lb0EPKlPlS8_S9_N2at6native12_GLOBAL__N_18offset_tEEE10hipError_tPvRmT1_PNSt15iterator_traitsISH_E10value_typeET2_T3_PNSI_ISN_E10value_typeET4_jRbjT5_ST_jjP12ihipStream_tbEUlT_E0_NS1_11comp_targetILNS1_3genE10ELNS1_11target_archE1201ELNS1_3gpuE5ELNS1_3repE0EEENS1_60segmented_radix_sort_warp_sort_medium_config_static_selectorELNS0_4arch9wavefront6targetE0EEEvSH_.kd
    .uniform_work_group_size: 1
    .uses_dynamic_stack: false
    .vgpr_count:     0
    .vgpr_spill_count: 0
    .wavefront_size: 32
    .workgroup_processor_mode: 1
  - .args:
      - .offset:         0
        .size:           88
        .value_kind:     by_value
    .group_segment_fixed_size: 0
    .kernarg_segment_align: 8
    .kernarg_segment_size: 88
    .language:       OpenCL C
    .language_version:
      - 2
      - 0
    .max_flat_workgroup_size: 256
    .name:           _ZN7rocprim17ROCPRIM_400000_NS6detail17trampoline_kernelINS0_14default_configENS1_36segmented_radix_sort_config_selectorIllEEZNS1_25segmented_radix_sort_implIS3_Lb0EPKlPlS8_S9_N2at6native12_GLOBAL__N_18offset_tEEE10hipError_tPvRmT1_PNSt15iterator_traitsISH_E10value_typeET2_T3_PNSI_ISN_E10value_typeET4_jRbjT5_ST_jjP12ihipStream_tbEUlT_E0_NS1_11comp_targetILNS1_3genE10ELNS1_11target_archE1200ELNS1_3gpuE4ELNS1_3repE0EEENS1_60segmented_radix_sort_warp_sort_medium_config_static_selectorELNS0_4arch9wavefront6targetE0EEEvSH_
    .private_segment_fixed_size: 0
    .sgpr_count:     0
    .sgpr_spill_count: 0
    .symbol:         _ZN7rocprim17ROCPRIM_400000_NS6detail17trampoline_kernelINS0_14default_configENS1_36segmented_radix_sort_config_selectorIllEEZNS1_25segmented_radix_sort_implIS3_Lb0EPKlPlS8_S9_N2at6native12_GLOBAL__N_18offset_tEEE10hipError_tPvRmT1_PNSt15iterator_traitsISH_E10value_typeET2_T3_PNSI_ISN_E10value_typeET4_jRbjT5_ST_jjP12ihipStream_tbEUlT_E0_NS1_11comp_targetILNS1_3genE10ELNS1_11target_archE1200ELNS1_3gpuE4ELNS1_3repE0EEENS1_60segmented_radix_sort_warp_sort_medium_config_static_selectorELNS0_4arch9wavefront6targetE0EEEvSH_.kd
    .uniform_work_group_size: 1
    .uses_dynamic_stack: false
    .vgpr_count:     0
    .vgpr_spill_count: 0
    .wavefront_size: 32
    .workgroup_processor_mode: 1
  - .args:
      - .offset:         0
        .size:           88
        .value_kind:     by_value
      - .offset:         88
        .size:           4
        .value_kind:     hidden_block_count_x
      - .offset:         92
        .size:           4
        .value_kind:     hidden_block_count_y
      - .offset:         96
        .size:           4
        .value_kind:     hidden_block_count_z
      - .offset:         100
        .size:           2
        .value_kind:     hidden_group_size_x
      - .offset:         102
        .size:           2
        .value_kind:     hidden_group_size_y
      - .offset:         104
        .size:           2
        .value_kind:     hidden_group_size_z
      - .offset:         106
        .size:           2
        .value_kind:     hidden_remainder_x
      - .offset:         108
        .size:           2
        .value_kind:     hidden_remainder_y
      - .offset:         110
        .size:           2
        .value_kind:     hidden_remainder_z
      - .offset:         128
        .size:           8
        .value_kind:     hidden_global_offset_x
      - .offset:         136
        .size:           8
        .value_kind:     hidden_global_offset_y
      - .offset:         144
        .size:           8
        .value_kind:     hidden_global_offset_z
      - .offset:         152
        .size:           2
        .value_kind:     hidden_grid_dims
    .group_segment_fixed_size: 32768
    .kernarg_segment_align: 8
    .kernarg_segment_size: 344
    .language:       OpenCL C
    .language_version:
      - 2
      - 0
    .max_flat_workgroup_size: 256
    .name:           _ZN7rocprim17ROCPRIM_400000_NS6detail17trampoline_kernelINS0_14default_configENS1_36segmented_radix_sort_config_selectorIllEEZNS1_25segmented_radix_sort_implIS3_Lb0EPKlPlS8_S9_N2at6native12_GLOBAL__N_18offset_tEEE10hipError_tPvRmT1_PNSt15iterator_traitsISH_E10value_typeET2_T3_PNSI_ISN_E10value_typeET4_jRbjT5_ST_jjP12ihipStream_tbEUlT_E0_NS1_11comp_targetILNS1_3genE9ELNS1_11target_archE1100ELNS1_3gpuE3ELNS1_3repE0EEENS1_60segmented_radix_sort_warp_sort_medium_config_static_selectorELNS0_4arch9wavefront6targetE0EEEvSH_
    .private_segment_fixed_size: 0
    .sgpr_count:     46
    .sgpr_spill_count: 0
    .symbol:         _ZN7rocprim17ROCPRIM_400000_NS6detail17trampoline_kernelINS0_14default_configENS1_36segmented_radix_sort_config_selectorIllEEZNS1_25segmented_radix_sort_implIS3_Lb0EPKlPlS8_S9_N2at6native12_GLOBAL__N_18offset_tEEE10hipError_tPvRmT1_PNSt15iterator_traitsISH_E10value_typeET2_T3_PNSI_ISN_E10value_typeET4_jRbjT5_ST_jjP12ihipStream_tbEUlT_E0_NS1_11comp_targetILNS1_3genE9ELNS1_11target_archE1100ELNS1_3gpuE3ELNS1_3repE0EEENS1_60segmented_radix_sort_warp_sort_medium_config_static_selectorELNS0_4arch9wavefront6targetE0EEEvSH_.kd
    .uniform_work_group_size: 1
    .uses_dynamic_stack: false
    .vgpr_count:     99
    .vgpr_spill_count: 0
    .wavefront_size: 32
    .workgroup_processor_mode: 1
  - .args:
      - .offset:         0
        .size:           88
        .value_kind:     by_value
    .group_segment_fixed_size: 0
    .kernarg_segment_align: 8
    .kernarg_segment_size: 88
    .language:       OpenCL C
    .language_version:
      - 2
      - 0
    .max_flat_workgroup_size: 256
    .name:           _ZN7rocprim17ROCPRIM_400000_NS6detail17trampoline_kernelINS0_14default_configENS1_36segmented_radix_sort_config_selectorIllEEZNS1_25segmented_radix_sort_implIS3_Lb0EPKlPlS8_S9_N2at6native12_GLOBAL__N_18offset_tEEE10hipError_tPvRmT1_PNSt15iterator_traitsISH_E10value_typeET2_T3_PNSI_ISN_E10value_typeET4_jRbjT5_ST_jjP12ihipStream_tbEUlT_E0_NS1_11comp_targetILNS1_3genE8ELNS1_11target_archE1030ELNS1_3gpuE2ELNS1_3repE0EEENS1_60segmented_radix_sort_warp_sort_medium_config_static_selectorELNS0_4arch9wavefront6targetE0EEEvSH_
    .private_segment_fixed_size: 0
    .sgpr_count:     0
    .sgpr_spill_count: 0
    .symbol:         _ZN7rocprim17ROCPRIM_400000_NS6detail17trampoline_kernelINS0_14default_configENS1_36segmented_radix_sort_config_selectorIllEEZNS1_25segmented_radix_sort_implIS3_Lb0EPKlPlS8_S9_N2at6native12_GLOBAL__N_18offset_tEEE10hipError_tPvRmT1_PNSt15iterator_traitsISH_E10value_typeET2_T3_PNSI_ISN_E10value_typeET4_jRbjT5_ST_jjP12ihipStream_tbEUlT_E0_NS1_11comp_targetILNS1_3genE8ELNS1_11target_archE1030ELNS1_3gpuE2ELNS1_3repE0EEENS1_60segmented_radix_sort_warp_sort_medium_config_static_selectorELNS0_4arch9wavefront6targetE0EEEvSH_.kd
    .uniform_work_group_size: 1
    .uses_dynamic_stack: false
    .vgpr_count:     0
    .vgpr_spill_count: 0
    .wavefront_size: 32
    .workgroup_processor_mode: 1
  - .args:
      - .offset:         0
        .size:           88
        .value_kind:     by_value
    .group_segment_fixed_size: 0
    .kernarg_segment_align: 8
    .kernarg_segment_size: 88
    .language:       OpenCL C
    .language_version:
      - 2
      - 0
    .max_flat_workgroup_size: 256
    .name:           _ZN7rocprim17ROCPRIM_400000_NS6detail17trampoline_kernelINS0_14default_configENS1_36segmented_radix_sort_config_selectorIllEEZNS1_25segmented_radix_sort_implIS3_Lb0EPKlPlS8_S9_N2at6native12_GLOBAL__N_18offset_tEEE10hipError_tPvRmT1_PNSt15iterator_traitsISH_E10value_typeET2_T3_PNSI_ISN_E10value_typeET4_jRbjT5_ST_jjP12ihipStream_tbEUlT_E1_NS1_11comp_targetILNS1_3genE0ELNS1_11target_archE4294967295ELNS1_3gpuE0ELNS1_3repE0EEENS1_59segmented_radix_sort_warp_sort_small_config_static_selectorELNS0_4arch9wavefront6targetE0EEEvSH_
    .private_segment_fixed_size: 0
    .sgpr_count:     0
    .sgpr_spill_count: 0
    .symbol:         _ZN7rocprim17ROCPRIM_400000_NS6detail17trampoline_kernelINS0_14default_configENS1_36segmented_radix_sort_config_selectorIllEEZNS1_25segmented_radix_sort_implIS3_Lb0EPKlPlS8_S9_N2at6native12_GLOBAL__N_18offset_tEEE10hipError_tPvRmT1_PNSt15iterator_traitsISH_E10value_typeET2_T3_PNSI_ISN_E10value_typeET4_jRbjT5_ST_jjP12ihipStream_tbEUlT_E1_NS1_11comp_targetILNS1_3genE0ELNS1_11target_archE4294967295ELNS1_3gpuE0ELNS1_3repE0EEENS1_59segmented_radix_sort_warp_sort_small_config_static_selectorELNS0_4arch9wavefront6targetE0EEEvSH_.kd
    .uniform_work_group_size: 1
    .uses_dynamic_stack: false
    .vgpr_count:     0
    .vgpr_spill_count: 0
    .wavefront_size: 32
    .workgroup_processor_mode: 1
  - .args:
      - .offset:         0
        .size:           88
        .value_kind:     by_value
    .group_segment_fixed_size: 0
    .kernarg_segment_align: 8
    .kernarg_segment_size: 88
    .language:       OpenCL C
    .language_version:
      - 2
      - 0
    .max_flat_workgroup_size: 256
    .name:           _ZN7rocprim17ROCPRIM_400000_NS6detail17trampoline_kernelINS0_14default_configENS1_36segmented_radix_sort_config_selectorIllEEZNS1_25segmented_radix_sort_implIS3_Lb0EPKlPlS8_S9_N2at6native12_GLOBAL__N_18offset_tEEE10hipError_tPvRmT1_PNSt15iterator_traitsISH_E10value_typeET2_T3_PNSI_ISN_E10value_typeET4_jRbjT5_ST_jjP12ihipStream_tbEUlT_E1_NS1_11comp_targetILNS1_3genE5ELNS1_11target_archE942ELNS1_3gpuE9ELNS1_3repE0EEENS1_59segmented_radix_sort_warp_sort_small_config_static_selectorELNS0_4arch9wavefront6targetE0EEEvSH_
    .private_segment_fixed_size: 0
    .sgpr_count:     0
    .sgpr_spill_count: 0
    .symbol:         _ZN7rocprim17ROCPRIM_400000_NS6detail17trampoline_kernelINS0_14default_configENS1_36segmented_radix_sort_config_selectorIllEEZNS1_25segmented_radix_sort_implIS3_Lb0EPKlPlS8_S9_N2at6native12_GLOBAL__N_18offset_tEEE10hipError_tPvRmT1_PNSt15iterator_traitsISH_E10value_typeET2_T3_PNSI_ISN_E10value_typeET4_jRbjT5_ST_jjP12ihipStream_tbEUlT_E1_NS1_11comp_targetILNS1_3genE5ELNS1_11target_archE942ELNS1_3gpuE9ELNS1_3repE0EEENS1_59segmented_radix_sort_warp_sort_small_config_static_selectorELNS0_4arch9wavefront6targetE0EEEvSH_.kd
    .uniform_work_group_size: 1
    .uses_dynamic_stack: false
    .vgpr_count:     0
    .vgpr_spill_count: 0
    .wavefront_size: 32
    .workgroup_processor_mode: 1
  - .args:
      - .offset:         0
        .size:           88
        .value_kind:     by_value
    .group_segment_fixed_size: 0
    .kernarg_segment_align: 8
    .kernarg_segment_size: 88
    .language:       OpenCL C
    .language_version:
      - 2
      - 0
    .max_flat_workgroup_size: 256
    .name:           _ZN7rocprim17ROCPRIM_400000_NS6detail17trampoline_kernelINS0_14default_configENS1_36segmented_radix_sort_config_selectorIllEEZNS1_25segmented_radix_sort_implIS3_Lb0EPKlPlS8_S9_N2at6native12_GLOBAL__N_18offset_tEEE10hipError_tPvRmT1_PNSt15iterator_traitsISH_E10value_typeET2_T3_PNSI_ISN_E10value_typeET4_jRbjT5_ST_jjP12ihipStream_tbEUlT_E1_NS1_11comp_targetILNS1_3genE4ELNS1_11target_archE910ELNS1_3gpuE8ELNS1_3repE0EEENS1_59segmented_radix_sort_warp_sort_small_config_static_selectorELNS0_4arch9wavefront6targetE0EEEvSH_
    .private_segment_fixed_size: 0
    .sgpr_count:     0
    .sgpr_spill_count: 0
    .symbol:         _ZN7rocprim17ROCPRIM_400000_NS6detail17trampoline_kernelINS0_14default_configENS1_36segmented_radix_sort_config_selectorIllEEZNS1_25segmented_radix_sort_implIS3_Lb0EPKlPlS8_S9_N2at6native12_GLOBAL__N_18offset_tEEE10hipError_tPvRmT1_PNSt15iterator_traitsISH_E10value_typeET2_T3_PNSI_ISN_E10value_typeET4_jRbjT5_ST_jjP12ihipStream_tbEUlT_E1_NS1_11comp_targetILNS1_3genE4ELNS1_11target_archE910ELNS1_3gpuE8ELNS1_3repE0EEENS1_59segmented_radix_sort_warp_sort_small_config_static_selectorELNS0_4arch9wavefront6targetE0EEEvSH_.kd
    .uniform_work_group_size: 1
    .uses_dynamic_stack: false
    .vgpr_count:     0
    .vgpr_spill_count: 0
    .wavefront_size: 32
    .workgroup_processor_mode: 1
  - .args:
      - .offset:         0
        .size:           88
        .value_kind:     by_value
    .group_segment_fixed_size: 0
    .kernarg_segment_align: 8
    .kernarg_segment_size: 88
    .language:       OpenCL C
    .language_version:
      - 2
      - 0
    .max_flat_workgroup_size: 256
    .name:           _ZN7rocprim17ROCPRIM_400000_NS6detail17trampoline_kernelINS0_14default_configENS1_36segmented_radix_sort_config_selectorIllEEZNS1_25segmented_radix_sort_implIS3_Lb0EPKlPlS8_S9_N2at6native12_GLOBAL__N_18offset_tEEE10hipError_tPvRmT1_PNSt15iterator_traitsISH_E10value_typeET2_T3_PNSI_ISN_E10value_typeET4_jRbjT5_ST_jjP12ihipStream_tbEUlT_E1_NS1_11comp_targetILNS1_3genE3ELNS1_11target_archE908ELNS1_3gpuE7ELNS1_3repE0EEENS1_59segmented_radix_sort_warp_sort_small_config_static_selectorELNS0_4arch9wavefront6targetE0EEEvSH_
    .private_segment_fixed_size: 0
    .sgpr_count:     0
    .sgpr_spill_count: 0
    .symbol:         _ZN7rocprim17ROCPRIM_400000_NS6detail17trampoline_kernelINS0_14default_configENS1_36segmented_radix_sort_config_selectorIllEEZNS1_25segmented_radix_sort_implIS3_Lb0EPKlPlS8_S9_N2at6native12_GLOBAL__N_18offset_tEEE10hipError_tPvRmT1_PNSt15iterator_traitsISH_E10value_typeET2_T3_PNSI_ISN_E10value_typeET4_jRbjT5_ST_jjP12ihipStream_tbEUlT_E1_NS1_11comp_targetILNS1_3genE3ELNS1_11target_archE908ELNS1_3gpuE7ELNS1_3repE0EEENS1_59segmented_radix_sort_warp_sort_small_config_static_selectorELNS0_4arch9wavefront6targetE0EEEvSH_.kd
    .uniform_work_group_size: 1
    .uses_dynamic_stack: false
    .vgpr_count:     0
    .vgpr_spill_count: 0
    .wavefront_size: 32
    .workgroup_processor_mode: 1
  - .args:
      - .offset:         0
        .size:           88
        .value_kind:     by_value
    .group_segment_fixed_size: 0
    .kernarg_segment_align: 8
    .kernarg_segment_size: 88
    .language:       OpenCL C
    .language_version:
      - 2
      - 0
    .max_flat_workgroup_size: 256
    .name:           _ZN7rocprim17ROCPRIM_400000_NS6detail17trampoline_kernelINS0_14default_configENS1_36segmented_radix_sort_config_selectorIllEEZNS1_25segmented_radix_sort_implIS3_Lb0EPKlPlS8_S9_N2at6native12_GLOBAL__N_18offset_tEEE10hipError_tPvRmT1_PNSt15iterator_traitsISH_E10value_typeET2_T3_PNSI_ISN_E10value_typeET4_jRbjT5_ST_jjP12ihipStream_tbEUlT_E1_NS1_11comp_targetILNS1_3genE2ELNS1_11target_archE906ELNS1_3gpuE6ELNS1_3repE0EEENS1_59segmented_radix_sort_warp_sort_small_config_static_selectorELNS0_4arch9wavefront6targetE0EEEvSH_
    .private_segment_fixed_size: 0
    .sgpr_count:     0
    .sgpr_spill_count: 0
    .symbol:         _ZN7rocprim17ROCPRIM_400000_NS6detail17trampoline_kernelINS0_14default_configENS1_36segmented_radix_sort_config_selectorIllEEZNS1_25segmented_radix_sort_implIS3_Lb0EPKlPlS8_S9_N2at6native12_GLOBAL__N_18offset_tEEE10hipError_tPvRmT1_PNSt15iterator_traitsISH_E10value_typeET2_T3_PNSI_ISN_E10value_typeET4_jRbjT5_ST_jjP12ihipStream_tbEUlT_E1_NS1_11comp_targetILNS1_3genE2ELNS1_11target_archE906ELNS1_3gpuE6ELNS1_3repE0EEENS1_59segmented_radix_sort_warp_sort_small_config_static_selectorELNS0_4arch9wavefront6targetE0EEEvSH_.kd
    .uniform_work_group_size: 1
    .uses_dynamic_stack: false
    .vgpr_count:     0
    .vgpr_spill_count: 0
    .wavefront_size: 32
    .workgroup_processor_mode: 1
  - .args:
      - .offset:         0
        .size:           88
        .value_kind:     by_value
    .group_segment_fixed_size: 0
    .kernarg_segment_align: 8
    .kernarg_segment_size: 88
    .language:       OpenCL C
    .language_version:
      - 2
      - 0
    .max_flat_workgroup_size: 256
    .name:           _ZN7rocprim17ROCPRIM_400000_NS6detail17trampoline_kernelINS0_14default_configENS1_36segmented_radix_sort_config_selectorIllEEZNS1_25segmented_radix_sort_implIS3_Lb0EPKlPlS8_S9_N2at6native12_GLOBAL__N_18offset_tEEE10hipError_tPvRmT1_PNSt15iterator_traitsISH_E10value_typeET2_T3_PNSI_ISN_E10value_typeET4_jRbjT5_ST_jjP12ihipStream_tbEUlT_E1_NS1_11comp_targetILNS1_3genE10ELNS1_11target_archE1201ELNS1_3gpuE5ELNS1_3repE0EEENS1_59segmented_radix_sort_warp_sort_small_config_static_selectorELNS0_4arch9wavefront6targetE0EEEvSH_
    .private_segment_fixed_size: 0
    .sgpr_count:     0
    .sgpr_spill_count: 0
    .symbol:         _ZN7rocprim17ROCPRIM_400000_NS6detail17trampoline_kernelINS0_14default_configENS1_36segmented_radix_sort_config_selectorIllEEZNS1_25segmented_radix_sort_implIS3_Lb0EPKlPlS8_S9_N2at6native12_GLOBAL__N_18offset_tEEE10hipError_tPvRmT1_PNSt15iterator_traitsISH_E10value_typeET2_T3_PNSI_ISN_E10value_typeET4_jRbjT5_ST_jjP12ihipStream_tbEUlT_E1_NS1_11comp_targetILNS1_3genE10ELNS1_11target_archE1201ELNS1_3gpuE5ELNS1_3repE0EEENS1_59segmented_radix_sort_warp_sort_small_config_static_selectorELNS0_4arch9wavefront6targetE0EEEvSH_.kd
    .uniform_work_group_size: 1
    .uses_dynamic_stack: false
    .vgpr_count:     0
    .vgpr_spill_count: 0
    .wavefront_size: 32
    .workgroup_processor_mode: 1
  - .args:
      - .offset:         0
        .size:           88
        .value_kind:     by_value
    .group_segment_fixed_size: 0
    .kernarg_segment_align: 8
    .kernarg_segment_size: 88
    .language:       OpenCL C
    .language_version:
      - 2
      - 0
    .max_flat_workgroup_size: 256
    .name:           _ZN7rocprim17ROCPRIM_400000_NS6detail17trampoline_kernelINS0_14default_configENS1_36segmented_radix_sort_config_selectorIllEEZNS1_25segmented_radix_sort_implIS3_Lb0EPKlPlS8_S9_N2at6native12_GLOBAL__N_18offset_tEEE10hipError_tPvRmT1_PNSt15iterator_traitsISH_E10value_typeET2_T3_PNSI_ISN_E10value_typeET4_jRbjT5_ST_jjP12ihipStream_tbEUlT_E1_NS1_11comp_targetILNS1_3genE10ELNS1_11target_archE1200ELNS1_3gpuE4ELNS1_3repE0EEENS1_59segmented_radix_sort_warp_sort_small_config_static_selectorELNS0_4arch9wavefront6targetE0EEEvSH_
    .private_segment_fixed_size: 0
    .sgpr_count:     0
    .sgpr_spill_count: 0
    .symbol:         _ZN7rocprim17ROCPRIM_400000_NS6detail17trampoline_kernelINS0_14default_configENS1_36segmented_radix_sort_config_selectorIllEEZNS1_25segmented_radix_sort_implIS3_Lb0EPKlPlS8_S9_N2at6native12_GLOBAL__N_18offset_tEEE10hipError_tPvRmT1_PNSt15iterator_traitsISH_E10value_typeET2_T3_PNSI_ISN_E10value_typeET4_jRbjT5_ST_jjP12ihipStream_tbEUlT_E1_NS1_11comp_targetILNS1_3genE10ELNS1_11target_archE1200ELNS1_3gpuE4ELNS1_3repE0EEENS1_59segmented_radix_sort_warp_sort_small_config_static_selectorELNS0_4arch9wavefront6targetE0EEEvSH_.kd
    .uniform_work_group_size: 1
    .uses_dynamic_stack: false
    .vgpr_count:     0
    .vgpr_spill_count: 0
    .wavefront_size: 32
    .workgroup_processor_mode: 1
  - .args:
      - .offset:         0
        .size:           88
        .value_kind:     by_value
      - .offset:         88
        .size:           4
        .value_kind:     hidden_block_count_x
      - .offset:         92
        .size:           4
        .value_kind:     hidden_block_count_y
      - .offset:         96
        .size:           4
        .value_kind:     hidden_block_count_z
      - .offset:         100
        .size:           2
        .value_kind:     hidden_group_size_x
      - .offset:         102
        .size:           2
        .value_kind:     hidden_group_size_y
      - .offset:         104
        .size:           2
        .value_kind:     hidden_group_size_z
      - .offset:         106
        .size:           2
        .value_kind:     hidden_remainder_x
      - .offset:         108
        .size:           2
        .value_kind:     hidden_remainder_y
      - .offset:         110
        .size:           2
        .value_kind:     hidden_remainder_z
      - .offset:         128
        .size:           8
        .value_kind:     hidden_global_offset_x
      - .offset:         136
        .size:           8
        .value_kind:     hidden_global_offset_y
      - .offset:         144
        .size:           8
        .value_kind:     hidden_global_offset_z
      - .offset:         152
        .size:           2
        .value_kind:     hidden_grid_dims
    .group_segment_fixed_size: 16384
    .kernarg_segment_align: 8
    .kernarg_segment_size: 344
    .language:       OpenCL C
    .language_version:
      - 2
      - 0
    .max_flat_workgroup_size: 256
    .name:           _ZN7rocprim17ROCPRIM_400000_NS6detail17trampoline_kernelINS0_14default_configENS1_36segmented_radix_sort_config_selectorIllEEZNS1_25segmented_radix_sort_implIS3_Lb0EPKlPlS8_S9_N2at6native12_GLOBAL__N_18offset_tEEE10hipError_tPvRmT1_PNSt15iterator_traitsISH_E10value_typeET2_T3_PNSI_ISN_E10value_typeET4_jRbjT5_ST_jjP12ihipStream_tbEUlT_E1_NS1_11comp_targetILNS1_3genE9ELNS1_11target_archE1100ELNS1_3gpuE3ELNS1_3repE0EEENS1_59segmented_radix_sort_warp_sort_small_config_static_selectorELNS0_4arch9wavefront6targetE0EEEvSH_
    .private_segment_fixed_size: 0
    .sgpr_count:     35
    .sgpr_spill_count: 0
    .symbol:         _ZN7rocprim17ROCPRIM_400000_NS6detail17trampoline_kernelINS0_14default_configENS1_36segmented_radix_sort_config_selectorIllEEZNS1_25segmented_radix_sort_implIS3_Lb0EPKlPlS8_S9_N2at6native12_GLOBAL__N_18offset_tEEE10hipError_tPvRmT1_PNSt15iterator_traitsISH_E10value_typeET2_T3_PNSI_ISN_E10value_typeET4_jRbjT5_ST_jjP12ihipStream_tbEUlT_E1_NS1_11comp_targetILNS1_3genE9ELNS1_11target_archE1100ELNS1_3gpuE3ELNS1_3repE0EEENS1_59segmented_radix_sort_warp_sort_small_config_static_selectorELNS0_4arch9wavefront6targetE0EEEvSH_.kd
    .uniform_work_group_size: 1
    .uses_dynamic_stack: false
    .vgpr_count:     97
    .vgpr_spill_count: 0
    .wavefront_size: 32
    .workgroup_processor_mode: 1
  - .args:
      - .offset:         0
        .size:           88
        .value_kind:     by_value
    .group_segment_fixed_size: 0
    .kernarg_segment_align: 8
    .kernarg_segment_size: 88
    .language:       OpenCL C
    .language_version:
      - 2
      - 0
    .max_flat_workgroup_size: 256
    .name:           _ZN7rocprim17ROCPRIM_400000_NS6detail17trampoline_kernelINS0_14default_configENS1_36segmented_radix_sort_config_selectorIllEEZNS1_25segmented_radix_sort_implIS3_Lb0EPKlPlS8_S9_N2at6native12_GLOBAL__N_18offset_tEEE10hipError_tPvRmT1_PNSt15iterator_traitsISH_E10value_typeET2_T3_PNSI_ISN_E10value_typeET4_jRbjT5_ST_jjP12ihipStream_tbEUlT_E1_NS1_11comp_targetILNS1_3genE8ELNS1_11target_archE1030ELNS1_3gpuE2ELNS1_3repE0EEENS1_59segmented_radix_sort_warp_sort_small_config_static_selectorELNS0_4arch9wavefront6targetE0EEEvSH_
    .private_segment_fixed_size: 0
    .sgpr_count:     0
    .sgpr_spill_count: 0
    .symbol:         _ZN7rocprim17ROCPRIM_400000_NS6detail17trampoline_kernelINS0_14default_configENS1_36segmented_radix_sort_config_selectorIllEEZNS1_25segmented_radix_sort_implIS3_Lb0EPKlPlS8_S9_N2at6native12_GLOBAL__N_18offset_tEEE10hipError_tPvRmT1_PNSt15iterator_traitsISH_E10value_typeET2_T3_PNSI_ISN_E10value_typeET4_jRbjT5_ST_jjP12ihipStream_tbEUlT_E1_NS1_11comp_targetILNS1_3genE8ELNS1_11target_archE1030ELNS1_3gpuE2ELNS1_3repE0EEENS1_59segmented_radix_sort_warp_sort_small_config_static_selectorELNS0_4arch9wavefront6targetE0EEEvSH_.kd
    .uniform_work_group_size: 1
    .uses_dynamic_stack: false
    .vgpr_count:     0
    .vgpr_spill_count: 0
    .wavefront_size: 32
    .workgroup_processor_mode: 1
  - .args:
      - .offset:         0
        .size:           80
        .value_kind:     by_value
    .group_segment_fixed_size: 0
    .kernarg_segment_align: 8
    .kernarg_segment_size: 80
    .language:       OpenCL C
    .language_version:
      - 2
      - 0
    .max_flat_workgroup_size: 256
    .name:           _ZN7rocprim17ROCPRIM_400000_NS6detail17trampoline_kernelINS0_14default_configENS1_36segmented_radix_sort_config_selectorIllEEZNS1_25segmented_radix_sort_implIS3_Lb0EPKlPlS8_S9_N2at6native12_GLOBAL__N_18offset_tEEE10hipError_tPvRmT1_PNSt15iterator_traitsISH_E10value_typeET2_T3_PNSI_ISN_E10value_typeET4_jRbjT5_ST_jjP12ihipStream_tbEUlT_E2_NS1_11comp_targetILNS1_3genE0ELNS1_11target_archE4294967295ELNS1_3gpuE0ELNS1_3repE0EEENS1_30default_config_static_selectorELNS0_4arch9wavefront6targetE0EEEvSH_
    .private_segment_fixed_size: 0
    .sgpr_count:     0
    .sgpr_spill_count: 0
    .symbol:         _ZN7rocprim17ROCPRIM_400000_NS6detail17trampoline_kernelINS0_14default_configENS1_36segmented_radix_sort_config_selectorIllEEZNS1_25segmented_radix_sort_implIS3_Lb0EPKlPlS8_S9_N2at6native12_GLOBAL__N_18offset_tEEE10hipError_tPvRmT1_PNSt15iterator_traitsISH_E10value_typeET2_T3_PNSI_ISN_E10value_typeET4_jRbjT5_ST_jjP12ihipStream_tbEUlT_E2_NS1_11comp_targetILNS1_3genE0ELNS1_11target_archE4294967295ELNS1_3gpuE0ELNS1_3repE0EEENS1_30default_config_static_selectorELNS0_4arch9wavefront6targetE0EEEvSH_.kd
    .uniform_work_group_size: 1
    .uses_dynamic_stack: false
    .vgpr_count:     0
    .vgpr_spill_count: 0
    .wavefront_size: 32
    .workgroup_processor_mode: 1
  - .args:
      - .offset:         0
        .size:           80
        .value_kind:     by_value
    .group_segment_fixed_size: 0
    .kernarg_segment_align: 8
    .kernarg_segment_size: 80
    .language:       OpenCL C
    .language_version:
      - 2
      - 0
    .max_flat_workgroup_size: 256
    .name:           _ZN7rocprim17ROCPRIM_400000_NS6detail17trampoline_kernelINS0_14default_configENS1_36segmented_radix_sort_config_selectorIllEEZNS1_25segmented_radix_sort_implIS3_Lb0EPKlPlS8_S9_N2at6native12_GLOBAL__N_18offset_tEEE10hipError_tPvRmT1_PNSt15iterator_traitsISH_E10value_typeET2_T3_PNSI_ISN_E10value_typeET4_jRbjT5_ST_jjP12ihipStream_tbEUlT_E2_NS1_11comp_targetILNS1_3genE5ELNS1_11target_archE942ELNS1_3gpuE9ELNS1_3repE0EEENS1_30default_config_static_selectorELNS0_4arch9wavefront6targetE0EEEvSH_
    .private_segment_fixed_size: 0
    .sgpr_count:     0
    .sgpr_spill_count: 0
    .symbol:         _ZN7rocprim17ROCPRIM_400000_NS6detail17trampoline_kernelINS0_14default_configENS1_36segmented_radix_sort_config_selectorIllEEZNS1_25segmented_radix_sort_implIS3_Lb0EPKlPlS8_S9_N2at6native12_GLOBAL__N_18offset_tEEE10hipError_tPvRmT1_PNSt15iterator_traitsISH_E10value_typeET2_T3_PNSI_ISN_E10value_typeET4_jRbjT5_ST_jjP12ihipStream_tbEUlT_E2_NS1_11comp_targetILNS1_3genE5ELNS1_11target_archE942ELNS1_3gpuE9ELNS1_3repE0EEENS1_30default_config_static_selectorELNS0_4arch9wavefront6targetE0EEEvSH_.kd
    .uniform_work_group_size: 1
    .uses_dynamic_stack: false
    .vgpr_count:     0
    .vgpr_spill_count: 0
    .wavefront_size: 32
    .workgroup_processor_mode: 1
  - .args:
      - .offset:         0
        .size:           80
        .value_kind:     by_value
    .group_segment_fixed_size: 0
    .kernarg_segment_align: 8
    .kernarg_segment_size: 80
    .language:       OpenCL C
    .language_version:
      - 2
      - 0
    .max_flat_workgroup_size: 256
    .name:           _ZN7rocprim17ROCPRIM_400000_NS6detail17trampoline_kernelINS0_14default_configENS1_36segmented_radix_sort_config_selectorIllEEZNS1_25segmented_radix_sort_implIS3_Lb0EPKlPlS8_S9_N2at6native12_GLOBAL__N_18offset_tEEE10hipError_tPvRmT1_PNSt15iterator_traitsISH_E10value_typeET2_T3_PNSI_ISN_E10value_typeET4_jRbjT5_ST_jjP12ihipStream_tbEUlT_E2_NS1_11comp_targetILNS1_3genE4ELNS1_11target_archE910ELNS1_3gpuE8ELNS1_3repE0EEENS1_30default_config_static_selectorELNS0_4arch9wavefront6targetE0EEEvSH_
    .private_segment_fixed_size: 0
    .sgpr_count:     0
    .sgpr_spill_count: 0
    .symbol:         _ZN7rocprim17ROCPRIM_400000_NS6detail17trampoline_kernelINS0_14default_configENS1_36segmented_radix_sort_config_selectorIllEEZNS1_25segmented_radix_sort_implIS3_Lb0EPKlPlS8_S9_N2at6native12_GLOBAL__N_18offset_tEEE10hipError_tPvRmT1_PNSt15iterator_traitsISH_E10value_typeET2_T3_PNSI_ISN_E10value_typeET4_jRbjT5_ST_jjP12ihipStream_tbEUlT_E2_NS1_11comp_targetILNS1_3genE4ELNS1_11target_archE910ELNS1_3gpuE8ELNS1_3repE0EEENS1_30default_config_static_selectorELNS0_4arch9wavefront6targetE0EEEvSH_.kd
    .uniform_work_group_size: 1
    .uses_dynamic_stack: false
    .vgpr_count:     0
    .vgpr_spill_count: 0
    .wavefront_size: 32
    .workgroup_processor_mode: 1
  - .args:
      - .offset:         0
        .size:           80
        .value_kind:     by_value
    .group_segment_fixed_size: 0
    .kernarg_segment_align: 8
    .kernarg_segment_size: 80
    .language:       OpenCL C
    .language_version:
      - 2
      - 0
    .max_flat_workgroup_size: 256
    .name:           _ZN7rocprim17ROCPRIM_400000_NS6detail17trampoline_kernelINS0_14default_configENS1_36segmented_radix_sort_config_selectorIllEEZNS1_25segmented_radix_sort_implIS3_Lb0EPKlPlS8_S9_N2at6native12_GLOBAL__N_18offset_tEEE10hipError_tPvRmT1_PNSt15iterator_traitsISH_E10value_typeET2_T3_PNSI_ISN_E10value_typeET4_jRbjT5_ST_jjP12ihipStream_tbEUlT_E2_NS1_11comp_targetILNS1_3genE3ELNS1_11target_archE908ELNS1_3gpuE7ELNS1_3repE0EEENS1_30default_config_static_selectorELNS0_4arch9wavefront6targetE0EEEvSH_
    .private_segment_fixed_size: 0
    .sgpr_count:     0
    .sgpr_spill_count: 0
    .symbol:         _ZN7rocprim17ROCPRIM_400000_NS6detail17trampoline_kernelINS0_14default_configENS1_36segmented_radix_sort_config_selectorIllEEZNS1_25segmented_radix_sort_implIS3_Lb0EPKlPlS8_S9_N2at6native12_GLOBAL__N_18offset_tEEE10hipError_tPvRmT1_PNSt15iterator_traitsISH_E10value_typeET2_T3_PNSI_ISN_E10value_typeET4_jRbjT5_ST_jjP12ihipStream_tbEUlT_E2_NS1_11comp_targetILNS1_3genE3ELNS1_11target_archE908ELNS1_3gpuE7ELNS1_3repE0EEENS1_30default_config_static_selectorELNS0_4arch9wavefront6targetE0EEEvSH_.kd
    .uniform_work_group_size: 1
    .uses_dynamic_stack: false
    .vgpr_count:     0
    .vgpr_spill_count: 0
    .wavefront_size: 32
    .workgroup_processor_mode: 1
  - .args:
      - .offset:         0
        .size:           80
        .value_kind:     by_value
    .group_segment_fixed_size: 0
    .kernarg_segment_align: 8
    .kernarg_segment_size: 80
    .language:       OpenCL C
    .language_version:
      - 2
      - 0
    .max_flat_workgroup_size: 256
    .name:           _ZN7rocprim17ROCPRIM_400000_NS6detail17trampoline_kernelINS0_14default_configENS1_36segmented_radix_sort_config_selectorIllEEZNS1_25segmented_radix_sort_implIS3_Lb0EPKlPlS8_S9_N2at6native12_GLOBAL__N_18offset_tEEE10hipError_tPvRmT1_PNSt15iterator_traitsISH_E10value_typeET2_T3_PNSI_ISN_E10value_typeET4_jRbjT5_ST_jjP12ihipStream_tbEUlT_E2_NS1_11comp_targetILNS1_3genE2ELNS1_11target_archE906ELNS1_3gpuE6ELNS1_3repE0EEENS1_30default_config_static_selectorELNS0_4arch9wavefront6targetE0EEEvSH_
    .private_segment_fixed_size: 0
    .sgpr_count:     0
    .sgpr_spill_count: 0
    .symbol:         _ZN7rocprim17ROCPRIM_400000_NS6detail17trampoline_kernelINS0_14default_configENS1_36segmented_radix_sort_config_selectorIllEEZNS1_25segmented_radix_sort_implIS3_Lb0EPKlPlS8_S9_N2at6native12_GLOBAL__N_18offset_tEEE10hipError_tPvRmT1_PNSt15iterator_traitsISH_E10value_typeET2_T3_PNSI_ISN_E10value_typeET4_jRbjT5_ST_jjP12ihipStream_tbEUlT_E2_NS1_11comp_targetILNS1_3genE2ELNS1_11target_archE906ELNS1_3gpuE6ELNS1_3repE0EEENS1_30default_config_static_selectorELNS0_4arch9wavefront6targetE0EEEvSH_.kd
    .uniform_work_group_size: 1
    .uses_dynamic_stack: false
    .vgpr_count:     0
    .vgpr_spill_count: 0
    .wavefront_size: 32
    .workgroup_processor_mode: 1
  - .args:
      - .offset:         0
        .size:           80
        .value_kind:     by_value
    .group_segment_fixed_size: 0
    .kernarg_segment_align: 8
    .kernarg_segment_size: 80
    .language:       OpenCL C
    .language_version:
      - 2
      - 0
    .max_flat_workgroup_size: 256
    .name:           _ZN7rocprim17ROCPRIM_400000_NS6detail17trampoline_kernelINS0_14default_configENS1_36segmented_radix_sort_config_selectorIllEEZNS1_25segmented_radix_sort_implIS3_Lb0EPKlPlS8_S9_N2at6native12_GLOBAL__N_18offset_tEEE10hipError_tPvRmT1_PNSt15iterator_traitsISH_E10value_typeET2_T3_PNSI_ISN_E10value_typeET4_jRbjT5_ST_jjP12ihipStream_tbEUlT_E2_NS1_11comp_targetILNS1_3genE10ELNS1_11target_archE1201ELNS1_3gpuE5ELNS1_3repE0EEENS1_30default_config_static_selectorELNS0_4arch9wavefront6targetE0EEEvSH_
    .private_segment_fixed_size: 0
    .sgpr_count:     0
    .sgpr_spill_count: 0
    .symbol:         _ZN7rocprim17ROCPRIM_400000_NS6detail17trampoline_kernelINS0_14default_configENS1_36segmented_radix_sort_config_selectorIllEEZNS1_25segmented_radix_sort_implIS3_Lb0EPKlPlS8_S9_N2at6native12_GLOBAL__N_18offset_tEEE10hipError_tPvRmT1_PNSt15iterator_traitsISH_E10value_typeET2_T3_PNSI_ISN_E10value_typeET4_jRbjT5_ST_jjP12ihipStream_tbEUlT_E2_NS1_11comp_targetILNS1_3genE10ELNS1_11target_archE1201ELNS1_3gpuE5ELNS1_3repE0EEENS1_30default_config_static_selectorELNS0_4arch9wavefront6targetE0EEEvSH_.kd
    .uniform_work_group_size: 1
    .uses_dynamic_stack: false
    .vgpr_count:     0
    .vgpr_spill_count: 0
    .wavefront_size: 32
    .workgroup_processor_mode: 1
  - .args:
      - .offset:         0
        .size:           80
        .value_kind:     by_value
    .group_segment_fixed_size: 0
    .kernarg_segment_align: 8
    .kernarg_segment_size: 80
    .language:       OpenCL C
    .language_version:
      - 2
      - 0
    .max_flat_workgroup_size: 128
    .name:           _ZN7rocprim17ROCPRIM_400000_NS6detail17trampoline_kernelINS0_14default_configENS1_36segmented_radix_sort_config_selectorIllEEZNS1_25segmented_radix_sort_implIS3_Lb0EPKlPlS8_S9_N2at6native12_GLOBAL__N_18offset_tEEE10hipError_tPvRmT1_PNSt15iterator_traitsISH_E10value_typeET2_T3_PNSI_ISN_E10value_typeET4_jRbjT5_ST_jjP12ihipStream_tbEUlT_E2_NS1_11comp_targetILNS1_3genE10ELNS1_11target_archE1200ELNS1_3gpuE4ELNS1_3repE0EEENS1_30default_config_static_selectorELNS0_4arch9wavefront6targetE0EEEvSH_
    .private_segment_fixed_size: 0
    .sgpr_count:     0
    .sgpr_spill_count: 0
    .symbol:         _ZN7rocprim17ROCPRIM_400000_NS6detail17trampoline_kernelINS0_14default_configENS1_36segmented_radix_sort_config_selectorIllEEZNS1_25segmented_radix_sort_implIS3_Lb0EPKlPlS8_S9_N2at6native12_GLOBAL__N_18offset_tEEE10hipError_tPvRmT1_PNSt15iterator_traitsISH_E10value_typeET2_T3_PNSI_ISN_E10value_typeET4_jRbjT5_ST_jjP12ihipStream_tbEUlT_E2_NS1_11comp_targetILNS1_3genE10ELNS1_11target_archE1200ELNS1_3gpuE4ELNS1_3repE0EEENS1_30default_config_static_selectorELNS0_4arch9wavefront6targetE0EEEvSH_.kd
    .uniform_work_group_size: 1
    .uses_dynamic_stack: false
    .vgpr_count:     0
    .vgpr_spill_count: 0
    .wavefront_size: 32
    .workgroup_processor_mode: 1
  - .args:
      - .offset:         0
        .size:           80
        .value_kind:     by_value
      - .offset:         80
        .size:           4
        .value_kind:     hidden_block_count_x
      - .offset:         84
        .size:           4
        .value_kind:     hidden_block_count_y
      - .offset:         88
        .size:           4
        .value_kind:     hidden_block_count_z
      - .offset:         92
        .size:           2
        .value_kind:     hidden_group_size_x
      - .offset:         94
        .size:           2
        .value_kind:     hidden_group_size_y
      - .offset:         96
        .size:           2
        .value_kind:     hidden_group_size_z
      - .offset:         98
        .size:           2
        .value_kind:     hidden_remainder_x
      - .offset:         100
        .size:           2
        .value_kind:     hidden_remainder_y
      - .offset:         102
        .size:           2
        .value_kind:     hidden_remainder_z
      - .offset:         120
        .size:           8
        .value_kind:     hidden_global_offset_x
      - .offset:         128
        .size:           8
        .value_kind:     hidden_global_offset_y
      - .offset:         136
        .size:           8
        .value_kind:     hidden_global_offset_z
      - .offset:         144
        .size:           2
        .value_kind:     hidden_grid_dims
    .group_segment_fixed_size: 33824
    .kernarg_segment_align: 8
    .kernarg_segment_size: 336
    .language:       OpenCL C
    .language_version:
      - 2
      - 0
    .max_flat_workgroup_size: 256
    .name:           _ZN7rocprim17ROCPRIM_400000_NS6detail17trampoline_kernelINS0_14default_configENS1_36segmented_radix_sort_config_selectorIllEEZNS1_25segmented_radix_sort_implIS3_Lb0EPKlPlS8_S9_N2at6native12_GLOBAL__N_18offset_tEEE10hipError_tPvRmT1_PNSt15iterator_traitsISH_E10value_typeET2_T3_PNSI_ISN_E10value_typeET4_jRbjT5_ST_jjP12ihipStream_tbEUlT_E2_NS1_11comp_targetILNS1_3genE9ELNS1_11target_archE1100ELNS1_3gpuE3ELNS1_3repE0EEENS1_30default_config_static_selectorELNS0_4arch9wavefront6targetE0EEEvSH_
    .private_segment_fixed_size: 200
    .sgpr_count:     68
    .sgpr_spill_count: 0
    .symbol:         _ZN7rocprim17ROCPRIM_400000_NS6detail17trampoline_kernelINS0_14default_configENS1_36segmented_radix_sort_config_selectorIllEEZNS1_25segmented_radix_sort_implIS3_Lb0EPKlPlS8_S9_N2at6native12_GLOBAL__N_18offset_tEEE10hipError_tPvRmT1_PNSt15iterator_traitsISH_E10value_typeET2_T3_PNSI_ISN_E10value_typeET4_jRbjT5_ST_jjP12ihipStream_tbEUlT_E2_NS1_11comp_targetILNS1_3genE9ELNS1_11target_archE1100ELNS1_3gpuE3ELNS1_3repE0EEENS1_30default_config_static_selectorELNS0_4arch9wavefront6targetE0EEEvSH_.kd
    .uniform_work_group_size: 1
    .uses_dynamic_stack: false
    .vgpr_count:     248
    .vgpr_spill_count: 0
    .wavefront_size: 32
    .workgroup_processor_mode: 1
  - .args:
      - .offset:         0
        .size:           80
        .value_kind:     by_value
    .group_segment_fixed_size: 0
    .kernarg_segment_align: 8
    .kernarg_segment_size: 80
    .language:       OpenCL C
    .language_version:
      - 2
      - 0
    .max_flat_workgroup_size: 256
    .name:           _ZN7rocprim17ROCPRIM_400000_NS6detail17trampoline_kernelINS0_14default_configENS1_36segmented_radix_sort_config_selectorIllEEZNS1_25segmented_radix_sort_implIS3_Lb0EPKlPlS8_S9_N2at6native12_GLOBAL__N_18offset_tEEE10hipError_tPvRmT1_PNSt15iterator_traitsISH_E10value_typeET2_T3_PNSI_ISN_E10value_typeET4_jRbjT5_ST_jjP12ihipStream_tbEUlT_E2_NS1_11comp_targetILNS1_3genE8ELNS1_11target_archE1030ELNS1_3gpuE2ELNS1_3repE0EEENS1_30default_config_static_selectorELNS0_4arch9wavefront6targetE0EEEvSH_
    .private_segment_fixed_size: 0
    .sgpr_count:     0
    .sgpr_spill_count: 0
    .symbol:         _ZN7rocprim17ROCPRIM_400000_NS6detail17trampoline_kernelINS0_14default_configENS1_36segmented_radix_sort_config_selectorIllEEZNS1_25segmented_radix_sort_implIS3_Lb0EPKlPlS8_S9_N2at6native12_GLOBAL__N_18offset_tEEE10hipError_tPvRmT1_PNSt15iterator_traitsISH_E10value_typeET2_T3_PNSI_ISN_E10value_typeET4_jRbjT5_ST_jjP12ihipStream_tbEUlT_E2_NS1_11comp_targetILNS1_3genE8ELNS1_11target_archE1030ELNS1_3gpuE2ELNS1_3repE0EEENS1_30default_config_static_selectorELNS0_4arch9wavefront6targetE0EEEvSH_.kd
    .uniform_work_group_size: 1
    .uses_dynamic_stack: false
    .vgpr_count:     0
    .vgpr_spill_count: 0
    .wavefront_size: 32
    .workgroup_processor_mode: 1
  - .args:
      - .address_space:  global
        .offset:         0
        .size:           8
        .value_kind:     global_buffer
      - .address_space:  global
        .offset:         8
        .size:           8
        .value_kind:     global_buffer
      - .address_space:  global
        .offset:         16
        .size:           8
        .value_kind:     global_buffer
      - .address_space:  global
        .offset:         24
        .size:           8
        .value_kind:     global_buffer
      - .offset:         32
        .size:           4
        .value_kind:     by_value
      - .offset:         36
        .size:           4
        .value_kind:     by_value
      - .offset:         40
        .size:           4
        .value_kind:     hidden_block_count_x
      - .offset:         44
        .size:           4
        .value_kind:     hidden_block_count_y
      - .offset:         48
        .size:           4
        .value_kind:     hidden_block_count_z
      - .offset:         52
        .size:           2
        .value_kind:     hidden_group_size_x
      - .offset:         54
        .size:           2
        .value_kind:     hidden_group_size_y
      - .offset:         56
        .size:           2
        .value_kind:     hidden_group_size_z
      - .offset:         58
        .size:           2
        .value_kind:     hidden_remainder_x
      - .offset:         60
        .size:           2
        .value_kind:     hidden_remainder_y
      - .offset:         62
        .size:           2
        .value_kind:     hidden_remainder_z
      - .offset:         80
        .size:           8
        .value_kind:     hidden_global_offset_x
      - .offset:         88
        .size:           8
        .value_kind:     hidden_global_offset_y
      - .offset:         96
        .size:           8
        .value_kind:     hidden_global_offset_z
      - .offset:         104
        .size:           2
        .value_kind:     hidden_grid_dims
    .group_segment_fixed_size: 0
    .kernarg_segment_align: 8
    .kernarg_segment_size: 296
    .language:       OpenCL C
    .language_version:
      - 2
      - 0
    .max_flat_workgroup_size: 1024
    .name:           _ZN2at6native12_GLOBAL__N_123sort_postprocess_kernelIsEEvPKT_PS3_PlPK15HIP_vector_typeIiLj2EEii
    .private_segment_fixed_size: 0
    .sgpr_count:     18
    .sgpr_spill_count: 0
    .symbol:         _ZN2at6native12_GLOBAL__N_123sort_postprocess_kernelIsEEvPKT_PS3_PlPK15HIP_vector_typeIiLj2EEii.kd
    .uniform_work_group_size: 1
    .uses_dynamic_stack: false
    .vgpr_count:     17
    .vgpr_spill_count: 0
    .wavefront_size: 32
    .workgroup_processor_mode: 1
  - .args:
      - .offset:         0
        .size:           176
        .value_kind:     by_value
    .group_segment_fixed_size: 0
    .kernarg_segment_align: 8
    .kernarg_segment_size: 176
    .language:       OpenCL C
    .language_version:
      - 2
      - 0
    .max_flat_workgroup_size: 256
    .name:           _ZN7rocprim17ROCPRIM_400000_NS6detail17trampoline_kernelINS0_13select_configILj256ELj13ELNS0_17block_load_methodE3ELS4_3ELS4_3ELNS0_20block_scan_algorithmE0ELj4294967295EEENS1_25partition_config_selectorILNS1_17partition_subalgoE4EjNS0_10empty_typeEbEEZZNS1_14partition_implILS8_4ELb0ES6_15HIP_vector_typeIjLj2EENS0_17counting_iteratorIjlEEPS9_SG_NS0_5tupleIJPjSI_NS0_16reverse_iteratorISI_EEEEENSH_IJSG_SG_SG_EEES9_SI_JZNS1_25segmented_radix_sort_implINS0_14default_configELb1EPKsPsPKlPlN2at6native12_GLOBAL__N_18offset_tEEE10hipError_tPvRmT1_PNSt15iterator_traitsIS12_E10value_typeET2_T3_PNS13_IS18_E10value_typeET4_jRbjT5_S1E_jjP12ihipStream_tbEUljE_ZNSN_ISO_Lb1ESQ_SR_ST_SU_SY_EESZ_S10_S11_S12_S16_S17_S18_S1B_S1C_jS1D_jS1E_S1E_jjS1G_bEUljE0_EEESZ_S10_S11_S18_S1C_S1E_T6_T7_T9_mT8_S1G_bDpT10_ENKUlT_T0_E_clISt17integral_constantIbLb0EES1U_EEDaS1P_S1Q_EUlS1P_E_NS1_11comp_targetILNS1_3genE0ELNS1_11target_archE4294967295ELNS1_3gpuE0ELNS1_3repE0EEENS1_30default_config_static_selectorELNS0_4arch9wavefront6targetE0EEEvS12_
    .private_segment_fixed_size: 0
    .sgpr_count:     0
    .sgpr_spill_count: 0
    .symbol:         _ZN7rocprim17ROCPRIM_400000_NS6detail17trampoline_kernelINS0_13select_configILj256ELj13ELNS0_17block_load_methodE3ELS4_3ELS4_3ELNS0_20block_scan_algorithmE0ELj4294967295EEENS1_25partition_config_selectorILNS1_17partition_subalgoE4EjNS0_10empty_typeEbEEZZNS1_14partition_implILS8_4ELb0ES6_15HIP_vector_typeIjLj2EENS0_17counting_iteratorIjlEEPS9_SG_NS0_5tupleIJPjSI_NS0_16reverse_iteratorISI_EEEEENSH_IJSG_SG_SG_EEES9_SI_JZNS1_25segmented_radix_sort_implINS0_14default_configELb1EPKsPsPKlPlN2at6native12_GLOBAL__N_18offset_tEEE10hipError_tPvRmT1_PNSt15iterator_traitsIS12_E10value_typeET2_T3_PNS13_IS18_E10value_typeET4_jRbjT5_S1E_jjP12ihipStream_tbEUljE_ZNSN_ISO_Lb1ESQ_SR_ST_SU_SY_EESZ_S10_S11_S12_S16_S17_S18_S1B_S1C_jS1D_jS1E_S1E_jjS1G_bEUljE0_EEESZ_S10_S11_S18_S1C_S1E_T6_T7_T9_mT8_S1G_bDpT10_ENKUlT_T0_E_clISt17integral_constantIbLb0EES1U_EEDaS1P_S1Q_EUlS1P_E_NS1_11comp_targetILNS1_3genE0ELNS1_11target_archE4294967295ELNS1_3gpuE0ELNS1_3repE0EEENS1_30default_config_static_selectorELNS0_4arch9wavefront6targetE0EEEvS12_.kd
    .uniform_work_group_size: 1
    .uses_dynamic_stack: false
    .vgpr_count:     0
    .vgpr_spill_count: 0
    .wavefront_size: 32
    .workgroup_processor_mode: 1
  - .args:
      - .offset:         0
        .size:           176
        .value_kind:     by_value
    .group_segment_fixed_size: 0
    .kernarg_segment_align: 8
    .kernarg_segment_size: 176
    .language:       OpenCL C
    .language_version:
      - 2
      - 0
    .max_flat_workgroup_size: 256
    .name:           _ZN7rocprim17ROCPRIM_400000_NS6detail17trampoline_kernelINS0_13select_configILj256ELj13ELNS0_17block_load_methodE3ELS4_3ELS4_3ELNS0_20block_scan_algorithmE0ELj4294967295EEENS1_25partition_config_selectorILNS1_17partition_subalgoE4EjNS0_10empty_typeEbEEZZNS1_14partition_implILS8_4ELb0ES6_15HIP_vector_typeIjLj2EENS0_17counting_iteratorIjlEEPS9_SG_NS0_5tupleIJPjSI_NS0_16reverse_iteratorISI_EEEEENSH_IJSG_SG_SG_EEES9_SI_JZNS1_25segmented_radix_sort_implINS0_14default_configELb1EPKsPsPKlPlN2at6native12_GLOBAL__N_18offset_tEEE10hipError_tPvRmT1_PNSt15iterator_traitsIS12_E10value_typeET2_T3_PNS13_IS18_E10value_typeET4_jRbjT5_S1E_jjP12ihipStream_tbEUljE_ZNSN_ISO_Lb1ESQ_SR_ST_SU_SY_EESZ_S10_S11_S12_S16_S17_S18_S1B_S1C_jS1D_jS1E_S1E_jjS1G_bEUljE0_EEESZ_S10_S11_S18_S1C_S1E_T6_T7_T9_mT8_S1G_bDpT10_ENKUlT_T0_E_clISt17integral_constantIbLb0EES1U_EEDaS1P_S1Q_EUlS1P_E_NS1_11comp_targetILNS1_3genE5ELNS1_11target_archE942ELNS1_3gpuE9ELNS1_3repE0EEENS1_30default_config_static_selectorELNS0_4arch9wavefront6targetE0EEEvS12_
    .private_segment_fixed_size: 0
    .sgpr_count:     0
    .sgpr_spill_count: 0
    .symbol:         _ZN7rocprim17ROCPRIM_400000_NS6detail17trampoline_kernelINS0_13select_configILj256ELj13ELNS0_17block_load_methodE3ELS4_3ELS4_3ELNS0_20block_scan_algorithmE0ELj4294967295EEENS1_25partition_config_selectorILNS1_17partition_subalgoE4EjNS0_10empty_typeEbEEZZNS1_14partition_implILS8_4ELb0ES6_15HIP_vector_typeIjLj2EENS0_17counting_iteratorIjlEEPS9_SG_NS0_5tupleIJPjSI_NS0_16reverse_iteratorISI_EEEEENSH_IJSG_SG_SG_EEES9_SI_JZNS1_25segmented_radix_sort_implINS0_14default_configELb1EPKsPsPKlPlN2at6native12_GLOBAL__N_18offset_tEEE10hipError_tPvRmT1_PNSt15iterator_traitsIS12_E10value_typeET2_T3_PNS13_IS18_E10value_typeET4_jRbjT5_S1E_jjP12ihipStream_tbEUljE_ZNSN_ISO_Lb1ESQ_SR_ST_SU_SY_EESZ_S10_S11_S12_S16_S17_S18_S1B_S1C_jS1D_jS1E_S1E_jjS1G_bEUljE0_EEESZ_S10_S11_S18_S1C_S1E_T6_T7_T9_mT8_S1G_bDpT10_ENKUlT_T0_E_clISt17integral_constantIbLb0EES1U_EEDaS1P_S1Q_EUlS1P_E_NS1_11comp_targetILNS1_3genE5ELNS1_11target_archE942ELNS1_3gpuE9ELNS1_3repE0EEENS1_30default_config_static_selectorELNS0_4arch9wavefront6targetE0EEEvS12_.kd
    .uniform_work_group_size: 1
    .uses_dynamic_stack: false
    .vgpr_count:     0
    .vgpr_spill_count: 0
    .wavefront_size: 32
    .workgroup_processor_mode: 1
  - .args:
      - .offset:         0
        .size:           176
        .value_kind:     by_value
    .group_segment_fixed_size: 0
    .kernarg_segment_align: 8
    .kernarg_segment_size: 176
    .language:       OpenCL C
    .language_version:
      - 2
      - 0
    .max_flat_workgroup_size: 256
    .name:           _ZN7rocprim17ROCPRIM_400000_NS6detail17trampoline_kernelINS0_13select_configILj256ELj13ELNS0_17block_load_methodE3ELS4_3ELS4_3ELNS0_20block_scan_algorithmE0ELj4294967295EEENS1_25partition_config_selectorILNS1_17partition_subalgoE4EjNS0_10empty_typeEbEEZZNS1_14partition_implILS8_4ELb0ES6_15HIP_vector_typeIjLj2EENS0_17counting_iteratorIjlEEPS9_SG_NS0_5tupleIJPjSI_NS0_16reverse_iteratorISI_EEEEENSH_IJSG_SG_SG_EEES9_SI_JZNS1_25segmented_radix_sort_implINS0_14default_configELb1EPKsPsPKlPlN2at6native12_GLOBAL__N_18offset_tEEE10hipError_tPvRmT1_PNSt15iterator_traitsIS12_E10value_typeET2_T3_PNS13_IS18_E10value_typeET4_jRbjT5_S1E_jjP12ihipStream_tbEUljE_ZNSN_ISO_Lb1ESQ_SR_ST_SU_SY_EESZ_S10_S11_S12_S16_S17_S18_S1B_S1C_jS1D_jS1E_S1E_jjS1G_bEUljE0_EEESZ_S10_S11_S18_S1C_S1E_T6_T7_T9_mT8_S1G_bDpT10_ENKUlT_T0_E_clISt17integral_constantIbLb0EES1U_EEDaS1P_S1Q_EUlS1P_E_NS1_11comp_targetILNS1_3genE4ELNS1_11target_archE910ELNS1_3gpuE8ELNS1_3repE0EEENS1_30default_config_static_selectorELNS0_4arch9wavefront6targetE0EEEvS12_
    .private_segment_fixed_size: 0
    .sgpr_count:     0
    .sgpr_spill_count: 0
    .symbol:         _ZN7rocprim17ROCPRIM_400000_NS6detail17trampoline_kernelINS0_13select_configILj256ELj13ELNS0_17block_load_methodE3ELS4_3ELS4_3ELNS0_20block_scan_algorithmE0ELj4294967295EEENS1_25partition_config_selectorILNS1_17partition_subalgoE4EjNS0_10empty_typeEbEEZZNS1_14partition_implILS8_4ELb0ES6_15HIP_vector_typeIjLj2EENS0_17counting_iteratorIjlEEPS9_SG_NS0_5tupleIJPjSI_NS0_16reverse_iteratorISI_EEEEENSH_IJSG_SG_SG_EEES9_SI_JZNS1_25segmented_radix_sort_implINS0_14default_configELb1EPKsPsPKlPlN2at6native12_GLOBAL__N_18offset_tEEE10hipError_tPvRmT1_PNSt15iterator_traitsIS12_E10value_typeET2_T3_PNS13_IS18_E10value_typeET4_jRbjT5_S1E_jjP12ihipStream_tbEUljE_ZNSN_ISO_Lb1ESQ_SR_ST_SU_SY_EESZ_S10_S11_S12_S16_S17_S18_S1B_S1C_jS1D_jS1E_S1E_jjS1G_bEUljE0_EEESZ_S10_S11_S18_S1C_S1E_T6_T7_T9_mT8_S1G_bDpT10_ENKUlT_T0_E_clISt17integral_constantIbLb0EES1U_EEDaS1P_S1Q_EUlS1P_E_NS1_11comp_targetILNS1_3genE4ELNS1_11target_archE910ELNS1_3gpuE8ELNS1_3repE0EEENS1_30default_config_static_selectorELNS0_4arch9wavefront6targetE0EEEvS12_.kd
    .uniform_work_group_size: 1
    .uses_dynamic_stack: false
    .vgpr_count:     0
    .vgpr_spill_count: 0
    .wavefront_size: 32
    .workgroup_processor_mode: 1
  - .args:
      - .offset:         0
        .size:           176
        .value_kind:     by_value
    .group_segment_fixed_size: 0
    .kernarg_segment_align: 8
    .kernarg_segment_size: 176
    .language:       OpenCL C
    .language_version:
      - 2
      - 0
    .max_flat_workgroup_size: 256
    .name:           _ZN7rocprim17ROCPRIM_400000_NS6detail17trampoline_kernelINS0_13select_configILj256ELj13ELNS0_17block_load_methodE3ELS4_3ELS4_3ELNS0_20block_scan_algorithmE0ELj4294967295EEENS1_25partition_config_selectorILNS1_17partition_subalgoE4EjNS0_10empty_typeEbEEZZNS1_14partition_implILS8_4ELb0ES6_15HIP_vector_typeIjLj2EENS0_17counting_iteratorIjlEEPS9_SG_NS0_5tupleIJPjSI_NS0_16reverse_iteratorISI_EEEEENSH_IJSG_SG_SG_EEES9_SI_JZNS1_25segmented_radix_sort_implINS0_14default_configELb1EPKsPsPKlPlN2at6native12_GLOBAL__N_18offset_tEEE10hipError_tPvRmT1_PNSt15iterator_traitsIS12_E10value_typeET2_T3_PNS13_IS18_E10value_typeET4_jRbjT5_S1E_jjP12ihipStream_tbEUljE_ZNSN_ISO_Lb1ESQ_SR_ST_SU_SY_EESZ_S10_S11_S12_S16_S17_S18_S1B_S1C_jS1D_jS1E_S1E_jjS1G_bEUljE0_EEESZ_S10_S11_S18_S1C_S1E_T6_T7_T9_mT8_S1G_bDpT10_ENKUlT_T0_E_clISt17integral_constantIbLb0EES1U_EEDaS1P_S1Q_EUlS1P_E_NS1_11comp_targetILNS1_3genE3ELNS1_11target_archE908ELNS1_3gpuE7ELNS1_3repE0EEENS1_30default_config_static_selectorELNS0_4arch9wavefront6targetE0EEEvS12_
    .private_segment_fixed_size: 0
    .sgpr_count:     0
    .sgpr_spill_count: 0
    .symbol:         _ZN7rocprim17ROCPRIM_400000_NS6detail17trampoline_kernelINS0_13select_configILj256ELj13ELNS0_17block_load_methodE3ELS4_3ELS4_3ELNS0_20block_scan_algorithmE0ELj4294967295EEENS1_25partition_config_selectorILNS1_17partition_subalgoE4EjNS0_10empty_typeEbEEZZNS1_14partition_implILS8_4ELb0ES6_15HIP_vector_typeIjLj2EENS0_17counting_iteratorIjlEEPS9_SG_NS0_5tupleIJPjSI_NS0_16reverse_iteratorISI_EEEEENSH_IJSG_SG_SG_EEES9_SI_JZNS1_25segmented_radix_sort_implINS0_14default_configELb1EPKsPsPKlPlN2at6native12_GLOBAL__N_18offset_tEEE10hipError_tPvRmT1_PNSt15iterator_traitsIS12_E10value_typeET2_T3_PNS13_IS18_E10value_typeET4_jRbjT5_S1E_jjP12ihipStream_tbEUljE_ZNSN_ISO_Lb1ESQ_SR_ST_SU_SY_EESZ_S10_S11_S12_S16_S17_S18_S1B_S1C_jS1D_jS1E_S1E_jjS1G_bEUljE0_EEESZ_S10_S11_S18_S1C_S1E_T6_T7_T9_mT8_S1G_bDpT10_ENKUlT_T0_E_clISt17integral_constantIbLb0EES1U_EEDaS1P_S1Q_EUlS1P_E_NS1_11comp_targetILNS1_3genE3ELNS1_11target_archE908ELNS1_3gpuE7ELNS1_3repE0EEENS1_30default_config_static_selectorELNS0_4arch9wavefront6targetE0EEEvS12_.kd
    .uniform_work_group_size: 1
    .uses_dynamic_stack: false
    .vgpr_count:     0
    .vgpr_spill_count: 0
    .wavefront_size: 32
    .workgroup_processor_mode: 1
  - .args:
      - .offset:         0
        .size:           176
        .value_kind:     by_value
    .group_segment_fixed_size: 0
    .kernarg_segment_align: 8
    .kernarg_segment_size: 176
    .language:       OpenCL C
    .language_version:
      - 2
      - 0
    .max_flat_workgroup_size: 256
    .name:           _ZN7rocprim17ROCPRIM_400000_NS6detail17trampoline_kernelINS0_13select_configILj256ELj13ELNS0_17block_load_methodE3ELS4_3ELS4_3ELNS0_20block_scan_algorithmE0ELj4294967295EEENS1_25partition_config_selectorILNS1_17partition_subalgoE4EjNS0_10empty_typeEbEEZZNS1_14partition_implILS8_4ELb0ES6_15HIP_vector_typeIjLj2EENS0_17counting_iteratorIjlEEPS9_SG_NS0_5tupleIJPjSI_NS0_16reverse_iteratorISI_EEEEENSH_IJSG_SG_SG_EEES9_SI_JZNS1_25segmented_radix_sort_implINS0_14default_configELb1EPKsPsPKlPlN2at6native12_GLOBAL__N_18offset_tEEE10hipError_tPvRmT1_PNSt15iterator_traitsIS12_E10value_typeET2_T3_PNS13_IS18_E10value_typeET4_jRbjT5_S1E_jjP12ihipStream_tbEUljE_ZNSN_ISO_Lb1ESQ_SR_ST_SU_SY_EESZ_S10_S11_S12_S16_S17_S18_S1B_S1C_jS1D_jS1E_S1E_jjS1G_bEUljE0_EEESZ_S10_S11_S18_S1C_S1E_T6_T7_T9_mT8_S1G_bDpT10_ENKUlT_T0_E_clISt17integral_constantIbLb0EES1U_EEDaS1P_S1Q_EUlS1P_E_NS1_11comp_targetILNS1_3genE2ELNS1_11target_archE906ELNS1_3gpuE6ELNS1_3repE0EEENS1_30default_config_static_selectorELNS0_4arch9wavefront6targetE0EEEvS12_
    .private_segment_fixed_size: 0
    .sgpr_count:     0
    .sgpr_spill_count: 0
    .symbol:         _ZN7rocprim17ROCPRIM_400000_NS6detail17trampoline_kernelINS0_13select_configILj256ELj13ELNS0_17block_load_methodE3ELS4_3ELS4_3ELNS0_20block_scan_algorithmE0ELj4294967295EEENS1_25partition_config_selectorILNS1_17partition_subalgoE4EjNS0_10empty_typeEbEEZZNS1_14partition_implILS8_4ELb0ES6_15HIP_vector_typeIjLj2EENS0_17counting_iteratorIjlEEPS9_SG_NS0_5tupleIJPjSI_NS0_16reverse_iteratorISI_EEEEENSH_IJSG_SG_SG_EEES9_SI_JZNS1_25segmented_radix_sort_implINS0_14default_configELb1EPKsPsPKlPlN2at6native12_GLOBAL__N_18offset_tEEE10hipError_tPvRmT1_PNSt15iterator_traitsIS12_E10value_typeET2_T3_PNS13_IS18_E10value_typeET4_jRbjT5_S1E_jjP12ihipStream_tbEUljE_ZNSN_ISO_Lb1ESQ_SR_ST_SU_SY_EESZ_S10_S11_S12_S16_S17_S18_S1B_S1C_jS1D_jS1E_S1E_jjS1G_bEUljE0_EEESZ_S10_S11_S18_S1C_S1E_T6_T7_T9_mT8_S1G_bDpT10_ENKUlT_T0_E_clISt17integral_constantIbLb0EES1U_EEDaS1P_S1Q_EUlS1P_E_NS1_11comp_targetILNS1_3genE2ELNS1_11target_archE906ELNS1_3gpuE6ELNS1_3repE0EEENS1_30default_config_static_selectorELNS0_4arch9wavefront6targetE0EEEvS12_.kd
    .uniform_work_group_size: 1
    .uses_dynamic_stack: false
    .vgpr_count:     0
    .vgpr_spill_count: 0
    .wavefront_size: 32
    .workgroup_processor_mode: 1
  - .args:
      - .offset:         0
        .size:           176
        .value_kind:     by_value
    .group_segment_fixed_size: 0
    .kernarg_segment_align: 8
    .kernarg_segment_size: 176
    .language:       OpenCL C
    .language_version:
      - 2
      - 0
    .max_flat_workgroup_size: 256
    .name:           _ZN7rocprim17ROCPRIM_400000_NS6detail17trampoline_kernelINS0_13select_configILj256ELj13ELNS0_17block_load_methodE3ELS4_3ELS4_3ELNS0_20block_scan_algorithmE0ELj4294967295EEENS1_25partition_config_selectorILNS1_17partition_subalgoE4EjNS0_10empty_typeEbEEZZNS1_14partition_implILS8_4ELb0ES6_15HIP_vector_typeIjLj2EENS0_17counting_iteratorIjlEEPS9_SG_NS0_5tupleIJPjSI_NS0_16reverse_iteratorISI_EEEEENSH_IJSG_SG_SG_EEES9_SI_JZNS1_25segmented_radix_sort_implINS0_14default_configELb1EPKsPsPKlPlN2at6native12_GLOBAL__N_18offset_tEEE10hipError_tPvRmT1_PNSt15iterator_traitsIS12_E10value_typeET2_T3_PNS13_IS18_E10value_typeET4_jRbjT5_S1E_jjP12ihipStream_tbEUljE_ZNSN_ISO_Lb1ESQ_SR_ST_SU_SY_EESZ_S10_S11_S12_S16_S17_S18_S1B_S1C_jS1D_jS1E_S1E_jjS1G_bEUljE0_EEESZ_S10_S11_S18_S1C_S1E_T6_T7_T9_mT8_S1G_bDpT10_ENKUlT_T0_E_clISt17integral_constantIbLb0EES1U_EEDaS1P_S1Q_EUlS1P_E_NS1_11comp_targetILNS1_3genE10ELNS1_11target_archE1200ELNS1_3gpuE4ELNS1_3repE0EEENS1_30default_config_static_selectorELNS0_4arch9wavefront6targetE0EEEvS12_
    .private_segment_fixed_size: 0
    .sgpr_count:     0
    .sgpr_spill_count: 0
    .symbol:         _ZN7rocprim17ROCPRIM_400000_NS6detail17trampoline_kernelINS0_13select_configILj256ELj13ELNS0_17block_load_methodE3ELS4_3ELS4_3ELNS0_20block_scan_algorithmE0ELj4294967295EEENS1_25partition_config_selectorILNS1_17partition_subalgoE4EjNS0_10empty_typeEbEEZZNS1_14partition_implILS8_4ELb0ES6_15HIP_vector_typeIjLj2EENS0_17counting_iteratorIjlEEPS9_SG_NS0_5tupleIJPjSI_NS0_16reverse_iteratorISI_EEEEENSH_IJSG_SG_SG_EEES9_SI_JZNS1_25segmented_radix_sort_implINS0_14default_configELb1EPKsPsPKlPlN2at6native12_GLOBAL__N_18offset_tEEE10hipError_tPvRmT1_PNSt15iterator_traitsIS12_E10value_typeET2_T3_PNS13_IS18_E10value_typeET4_jRbjT5_S1E_jjP12ihipStream_tbEUljE_ZNSN_ISO_Lb1ESQ_SR_ST_SU_SY_EESZ_S10_S11_S12_S16_S17_S18_S1B_S1C_jS1D_jS1E_S1E_jjS1G_bEUljE0_EEESZ_S10_S11_S18_S1C_S1E_T6_T7_T9_mT8_S1G_bDpT10_ENKUlT_T0_E_clISt17integral_constantIbLb0EES1U_EEDaS1P_S1Q_EUlS1P_E_NS1_11comp_targetILNS1_3genE10ELNS1_11target_archE1200ELNS1_3gpuE4ELNS1_3repE0EEENS1_30default_config_static_selectorELNS0_4arch9wavefront6targetE0EEEvS12_.kd
    .uniform_work_group_size: 1
    .uses_dynamic_stack: false
    .vgpr_count:     0
    .vgpr_spill_count: 0
    .wavefront_size: 32
    .workgroup_processor_mode: 1
  - .args:
      - .offset:         0
        .size:           176
        .value_kind:     by_value
    .group_segment_fixed_size: 13340
    .kernarg_segment_align: 8
    .kernarg_segment_size: 176
    .language:       OpenCL C
    .language_version:
      - 2
      - 0
    .max_flat_workgroup_size: 256
    .name:           _ZN7rocprim17ROCPRIM_400000_NS6detail17trampoline_kernelINS0_13select_configILj256ELj13ELNS0_17block_load_methodE3ELS4_3ELS4_3ELNS0_20block_scan_algorithmE0ELj4294967295EEENS1_25partition_config_selectorILNS1_17partition_subalgoE4EjNS0_10empty_typeEbEEZZNS1_14partition_implILS8_4ELb0ES6_15HIP_vector_typeIjLj2EENS0_17counting_iteratorIjlEEPS9_SG_NS0_5tupleIJPjSI_NS0_16reverse_iteratorISI_EEEEENSH_IJSG_SG_SG_EEES9_SI_JZNS1_25segmented_radix_sort_implINS0_14default_configELb1EPKsPsPKlPlN2at6native12_GLOBAL__N_18offset_tEEE10hipError_tPvRmT1_PNSt15iterator_traitsIS12_E10value_typeET2_T3_PNS13_IS18_E10value_typeET4_jRbjT5_S1E_jjP12ihipStream_tbEUljE_ZNSN_ISO_Lb1ESQ_SR_ST_SU_SY_EESZ_S10_S11_S12_S16_S17_S18_S1B_S1C_jS1D_jS1E_S1E_jjS1G_bEUljE0_EEESZ_S10_S11_S18_S1C_S1E_T6_T7_T9_mT8_S1G_bDpT10_ENKUlT_T0_E_clISt17integral_constantIbLb0EES1U_EEDaS1P_S1Q_EUlS1P_E_NS1_11comp_targetILNS1_3genE9ELNS1_11target_archE1100ELNS1_3gpuE3ELNS1_3repE0EEENS1_30default_config_static_selectorELNS0_4arch9wavefront6targetE0EEEvS12_
    .private_segment_fixed_size: 0
    .sgpr_count:     61
    .sgpr_spill_count: 0
    .symbol:         _ZN7rocprim17ROCPRIM_400000_NS6detail17trampoline_kernelINS0_13select_configILj256ELj13ELNS0_17block_load_methodE3ELS4_3ELS4_3ELNS0_20block_scan_algorithmE0ELj4294967295EEENS1_25partition_config_selectorILNS1_17partition_subalgoE4EjNS0_10empty_typeEbEEZZNS1_14partition_implILS8_4ELb0ES6_15HIP_vector_typeIjLj2EENS0_17counting_iteratorIjlEEPS9_SG_NS0_5tupleIJPjSI_NS0_16reverse_iteratorISI_EEEEENSH_IJSG_SG_SG_EEES9_SI_JZNS1_25segmented_radix_sort_implINS0_14default_configELb1EPKsPsPKlPlN2at6native12_GLOBAL__N_18offset_tEEE10hipError_tPvRmT1_PNSt15iterator_traitsIS12_E10value_typeET2_T3_PNS13_IS18_E10value_typeET4_jRbjT5_S1E_jjP12ihipStream_tbEUljE_ZNSN_ISO_Lb1ESQ_SR_ST_SU_SY_EESZ_S10_S11_S12_S16_S17_S18_S1B_S1C_jS1D_jS1E_S1E_jjS1G_bEUljE0_EEESZ_S10_S11_S18_S1C_S1E_T6_T7_T9_mT8_S1G_bDpT10_ENKUlT_T0_E_clISt17integral_constantIbLb0EES1U_EEDaS1P_S1Q_EUlS1P_E_NS1_11comp_targetILNS1_3genE9ELNS1_11target_archE1100ELNS1_3gpuE3ELNS1_3repE0EEENS1_30default_config_static_selectorELNS0_4arch9wavefront6targetE0EEEvS12_.kd
    .uniform_work_group_size: 1
    .uses_dynamic_stack: false
    .vgpr_count:     98
    .vgpr_spill_count: 0
    .wavefront_size: 32
    .workgroup_processor_mode: 1
  - .args:
      - .offset:         0
        .size:           176
        .value_kind:     by_value
    .group_segment_fixed_size: 0
    .kernarg_segment_align: 8
    .kernarg_segment_size: 176
    .language:       OpenCL C
    .language_version:
      - 2
      - 0
    .max_flat_workgroup_size: 256
    .name:           _ZN7rocprim17ROCPRIM_400000_NS6detail17trampoline_kernelINS0_13select_configILj256ELj13ELNS0_17block_load_methodE3ELS4_3ELS4_3ELNS0_20block_scan_algorithmE0ELj4294967295EEENS1_25partition_config_selectorILNS1_17partition_subalgoE4EjNS0_10empty_typeEbEEZZNS1_14partition_implILS8_4ELb0ES6_15HIP_vector_typeIjLj2EENS0_17counting_iteratorIjlEEPS9_SG_NS0_5tupleIJPjSI_NS0_16reverse_iteratorISI_EEEEENSH_IJSG_SG_SG_EEES9_SI_JZNS1_25segmented_radix_sort_implINS0_14default_configELb1EPKsPsPKlPlN2at6native12_GLOBAL__N_18offset_tEEE10hipError_tPvRmT1_PNSt15iterator_traitsIS12_E10value_typeET2_T3_PNS13_IS18_E10value_typeET4_jRbjT5_S1E_jjP12ihipStream_tbEUljE_ZNSN_ISO_Lb1ESQ_SR_ST_SU_SY_EESZ_S10_S11_S12_S16_S17_S18_S1B_S1C_jS1D_jS1E_S1E_jjS1G_bEUljE0_EEESZ_S10_S11_S18_S1C_S1E_T6_T7_T9_mT8_S1G_bDpT10_ENKUlT_T0_E_clISt17integral_constantIbLb0EES1U_EEDaS1P_S1Q_EUlS1P_E_NS1_11comp_targetILNS1_3genE8ELNS1_11target_archE1030ELNS1_3gpuE2ELNS1_3repE0EEENS1_30default_config_static_selectorELNS0_4arch9wavefront6targetE0EEEvS12_
    .private_segment_fixed_size: 0
    .sgpr_count:     0
    .sgpr_spill_count: 0
    .symbol:         _ZN7rocprim17ROCPRIM_400000_NS6detail17trampoline_kernelINS0_13select_configILj256ELj13ELNS0_17block_load_methodE3ELS4_3ELS4_3ELNS0_20block_scan_algorithmE0ELj4294967295EEENS1_25partition_config_selectorILNS1_17partition_subalgoE4EjNS0_10empty_typeEbEEZZNS1_14partition_implILS8_4ELb0ES6_15HIP_vector_typeIjLj2EENS0_17counting_iteratorIjlEEPS9_SG_NS0_5tupleIJPjSI_NS0_16reverse_iteratorISI_EEEEENSH_IJSG_SG_SG_EEES9_SI_JZNS1_25segmented_radix_sort_implINS0_14default_configELb1EPKsPsPKlPlN2at6native12_GLOBAL__N_18offset_tEEE10hipError_tPvRmT1_PNSt15iterator_traitsIS12_E10value_typeET2_T3_PNS13_IS18_E10value_typeET4_jRbjT5_S1E_jjP12ihipStream_tbEUljE_ZNSN_ISO_Lb1ESQ_SR_ST_SU_SY_EESZ_S10_S11_S12_S16_S17_S18_S1B_S1C_jS1D_jS1E_S1E_jjS1G_bEUljE0_EEESZ_S10_S11_S18_S1C_S1E_T6_T7_T9_mT8_S1G_bDpT10_ENKUlT_T0_E_clISt17integral_constantIbLb0EES1U_EEDaS1P_S1Q_EUlS1P_E_NS1_11comp_targetILNS1_3genE8ELNS1_11target_archE1030ELNS1_3gpuE2ELNS1_3repE0EEENS1_30default_config_static_selectorELNS0_4arch9wavefront6targetE0EEEvS12_.kd
    .uniform_work_group_size: 1
    .uses_dynamic_stack: false
    .vgpr_count:     0
    .vgpr_spill_count: 0
    .wavefront_size: 32
    .workgroup_processor_mode: 1
  - .args:
      - .offset:         0
        .size:           184
        .value_kind:     by_value
    .group_segment_fixed_size: 0
    .kernarg_segment_align: 8
    .kernarg_segment_size: 184
    .language:       OpenCL C
    .language_version:
      - 2
      - 0
    .max_flat_workgroup_size: 256
    .name:           _ZN7rocprim17ROCPRIM_400000_NS6detail17trampoline_kernelINS0_13select_configILj256ELj13ELNS0_17block_load_methodE3ELS4_3ELS4_3ELNS0_20block_scan_algorithmE0ELj4294967295EEENS1_25partition_config_selectorILNS1_17partition_subalgoE4EjNS0_10empty_typeEbEEZZNS1_14partition_implILS8_4ELb0ES6_15HIP_vector_typeIjLj2EENS0_17counting_iteratorIjlEEPS9_SG_NS0_5tupleIJPjSI_NS0_16reverse_iteratorISI_EEEEENSH_IJSG_SG_SG_EEES9_SI_JZNS1_25segmented_radix_sort_implINS0_14default_configELb1EPKsPsPKlPlN2at6native12_GLOBAL__N_18offset_tEEE10hipError_tPvRmT1_PNSt15iterator_traitsIS12_E10value_typeET2_T3_PNS13_IS18_E10value_typeET4_jRbjT5_S1E_jjP12ihipStream_tbEUljE_ZNSN_ISO_Lb1ESQ_SR_ST_SU_SY_EESZ_S10_S11_S12_S16_S17_S18_S1B_S1C_jS1D_jS1E_S1E_jjS1G_bEUljE0_EEESZ_S10_S11_S18_S1C_S1E_T6_T7_T9_mT8_S1G_bDpT10_ENKUlT_T0_E_clISt17integral_constantIbLb1EES1U_EEDaS1P_S1Q_EUlS1P_E_NS1_11comp_targetILNS1_3genE0ELNS1_11target_archE4294967295ELNS1_3gpuE0ELNS1_3repE0EEENS1_30default_config_static_selectorELNS0_4arch9wavefront6targetE0EEEvS12_
    .private_segment_fixed_size: 0
    .sgpr_count:     0
    .sgpr_spill_count: 0
    .symbol:         _ZN7rocprim17ROCPRIM_400000_NS6detail17trampoline_kernelINS0_13select_configILj256ELj13ELNS0_17block_load_methodE3ELS4_3ELS4_3ELNS0_20block_scan_algorithmE0ELj4294967295EEENS1_25partition_config_selectorILNS1_17partition_subalgoE4EjNS0_10empty_typeEbEEZZNS1_14partition_implILS8_4ELb0ES6_15HIP_vector_typeIjLj2EENS0_17counting_iteratorIjlEEPS9_SG_NS0_5tupleIJPjSI_NS0_16reverse_iteratorISI_EEEEENSH_IJSG_SG_SG_EEES9_SI_JZNS1_25segmented_radix_sort_implINS0_14default_configELb1EPKsPsPKlPlN2at6native12_GLOBAL__N_18offset_tEEE10hipError_tPvRmT1_PNSt15iterator_traitsIS12_E10value_typeET2_T3_PNS13_IS18_E10value_typeET4_jRbjT5_S1E_jjP12ihipStream_tbEUljE_ZNSN_ISO_Lb1ESQ_SR_ST_SU_SY_EESZ_S10_S11_S12_S16_S17_S18_S1B_S1C_jS1D_jS1E_S1E_jjS1G_bEUljE0_EEESZ_S10_S11_S18_S1C_S1E_T6_T7_T9_mT8_S1G_bDpT10_ENKUlT_T0_E_clISt17integral_constantIbLb1EES1U_EEDaS1P_S1Q_EUlS1P_E_NS1_11comp_targetILNS1_3genE0ELNS1_11target_archE4294967295ELNS1_3gpuE0ELNS1_3repE0EEENS1_30default_config_static_selectorELNS0_4arch9wavefront6targetE0EEEvS12_.kd
    .uniform_work_group_size: 1
    .uses_dynamic_stack: false
    .vgpr_count:     0
    .vgpr_spill_count: 0
    .wavefront_size: 32
    .workgroup_processor_mode: 1
  - .args:
      - .offset:         0
        .size:           184
        .value_kind:     by_value
    .group_segment_fixed_size: 0
    .kernarg_segment_align: 8
    .kernarg_segment_size: 184
    .language:       OpenCL C
    .language_version:
      - 2
      - 0
    .max_flat_workgroup_size: 256
    .name:           _ZN7rocprim17ROCPRIM_400000_NS6detail17trampoline_kernelINS0_13select_configILj256ELj13ELNS0_17block_load_methodE3ELS4_3ELS4_3ELNS0_20block_scan_algorithmE0ELj4294967295EEENS1_25partition_config_selectorILNS1_17partition_subalgoE4EjNS0_10empty_typeEbEEZZNS1_14partition_implILS8_4ELb0ES6_15HIP_vector_typeIjLj2EENS0_17counting_iteratorIjlEEPS9_SG_NS0_5tupleIJPjSI_NS0_16reverse_iteratorISI_EEEEENSH_IJSG_SG_SG_EEES9_SI_JZNS1_25segmented_radix_sort_implINS0_14default_configELb1EPKsPsPKlPlN2at6native12_GLOBAL__N_18offset_tEEE10hipError_tPvRmT1_PNSt15iterator_traitsIS12_E10value_typeET2_T3_PNS13_IS18_E10value_typeET4_jRbjT5_S1E_jjP12ihipStream_tbEUljE_ZNSN_ISO_Lb1ESQ_SR_ST_SU_SY_EESZ_S10_S11_S12_S16_S17_S18_S1B_S1C_jS1D_jS1E_S1E_jjS1G_bEUljE0_EEESZ_S10_S11_S18_S1C_S1E_T6_T7_T9_mT8_S1G_bDpT10_ENKUlT_T0_E_clISt17integral_constantIbLb1EES1U_EEDaS1P_S1Q_EUlS1P_E_NS1_11comp_targetILNS1_3genE5ELNS1_11target_archE942ELNS1_3gpuE9ELNS1_3repE0EEENS1_30default_config_static_selectorELNS0_4arch9wavefront6targetE0EEEvS12_
    .private_segment_fixed_size: 0
    .sgpr_count:     0
    .sgpr_spill_count: 0
    .symbol:         _ZN7rocprim17ROCPRIM_400000_NS6detail17trampoline_kernelINS0_13select_configILj256ELj13ELNS0_17block_load_methodE3ELS4_3ELS4_3ELNS0_20block_scan_algorithmE0ELj4294967295EEENS1_25partition_config_selectorILNS1_17partition_subalgoE4EjNS0_10empty_typeEbEEZZNS1_14partition_implILS8_4ELb0ES6_15HIP_vector_typeIjLj2EENS0_17counting_iteratorIjlEEPS9_SG_NS0_5tupleIJPjSI_NS0_16reverse_iteratorISI_EEEEENSH_IJSG_SG_SG_EEES9_SI_JZNS1_25segmented_radix_sort_implINS0_14default_configELb1EPKsPsPKlPlN2at6native12_GLOBAL__N_18offset_tEEE10hipError_tPvRmT1_PNSt15iterator_traitsIS12_E10value_typeET2_T3_PNS13_IS18_E10value_typeET4_jRbjT5_S1E_jjP12ihipStream_tbEUljE_ZNSN_ISO_Lb1ESQ_SR_ST_SU_SY_EESZ_S10_S11_S12_S16_S17_S18_S1B_S1C_jS1D_jS1E_S1E_jjS1G_bEUljE0_EEESZ_S10_S11_S18_S1C_S1E_T6_T7_T9_mT8_S1G_bDpT10_ENKUlT_T0_E_clISt17integral_constantIbLb1EES1U_EEDaS1P_S1Q_EUlS1P_E_NS1_11comp_targetILNS1_3genE5ELNS1_11target_archE942ELNS1_3gpuE9ELNS1_3repE0EEENS1_30default_config_static_selectorELNS0_4arch9wavefront6targetE0EEEvS12_.kd
    .uniform_work_group_size: 1
    .uses_dynamic_stack: false
    .vgpr_count:     0
    .vgpr_spill_count: 0
    .wavefront_size: 32
    .workgroup_processor_mode: 1
  - .args:
      - .offset:         0
        .size:           184
        .value_kind:     by_value
    .group_segment_fixed_size: 0
    .kernarg_segment_align: 8
    .kernarg_segment_size: 184
    .language:       OpenCL C
    .language_version:
      - 2
      - 0
    .max_flat_workgroup_size: 256
    .name:           _ZN7rocprim17ROCPRIM_400000_NS6detail17trampoline_kernelINS0_13select_configILj256ELj13ELNS0_17block_load_methodE3ELS4_3ELS4_3ELNS0_20block_scan_algorithmE0ELj4294967295EEENS1_25partition_config_selectorILNS1_17partition_subalgoE4EjNS0_10empty_typeEbEEZZNS1_14partition_implILS8_4ELb0ES6_15HIP_vector_typeIjLj2EENS0_17counting_iteratorIjlEEPS9_SG_NS0_5tupleIJPjSI_NS0_16reverse_iteratorISI_EEEEENSH_IJSG_SG_SG_EEES9_SI_JZNS1_25segmented_radix_sort_implINS0_14default_configELb1EPKsPsPKlPlN2at6native12_GLOBAL__N_18offset_tEEE10hipError_tPvRmT1_PNSt15iterator_traitsIS12_E10value_typeET2_T3_PNS13_IS18_E10value_typeET4_jRbjT5_S1E_jjP12ihipStream_tbEUljE_ZNSN_ISO_Lb1ESQ_SR_ST_SU_SY_EESZ_S10_S11_S12_S16_S17_S18_S1B_S1C_jS1D_jS1E_S1E_jjS1G_bEUljE0_EEESZ_S10_S11_S18_S1C_S1E_T6_T7_T9_mT8_S1G_bDpT10_ENKUlT_T0_E_clISt17integral_constantIbLb1EES1U_EEDaS1P_S1Q_EUlS1P_E_NS1_11comp_targetILNS1_3genE4ELNS1_11target_archE910ELNS1_3gpuE8ELNS1_3repE0EEENS1_30default_config_static_selectorELNS0_4arch9wavefront6targetE0EEEvS12_
    .private_segment_fixed_size: 0
    .sgpr_count:     0
    .sgpr_spill_count: 0
    .symbol:         _ZN7rocprim17ROCPRIM_400000_NS6detail17trampoline_kernelINS0_13select_configILj256ELj13ELNS0_17block_load_methodE3ELS4_3ELS4_3ELNS0_20block_scan_algorithmE0ELj4294967295EEENS1_25partition_config_selectorILNS1_17partition_subalgoE4EjNS0_10empty_typeEbEEZZNS1_14partition_implILS8_4ELb0ES6_15HIP_vector_typeIjLj2EENS0_17counting_iteratorIjlEEPS9_SG_NS0_5tupleIJPjSI_NS0_16reverse_iteratorISI_EEEEENSH_IJSG_SG_SG_EEES9_SI_JZNS1_25segmented_radix_sort_implINS0_14default_configELb1EPKsPsPKlPlN2at6native12_GLOBAL__N_18offset_tEEE10hipError_tPvRmT1_PNSt15iterator_traitsIS12_E10value_typeET2_T3_PNS13_IS18_E10value_typeET4_jRbjT5_S1E_jjP12ihipStream_tbEUljE_ZNSN_ISO_Lb1ESQ_SR_ST_SU_SY_EESZ_S10_S11_S12_S16_S17_S18_S1B_S1C_jS1D_jS1E_S1E_jjS1G_bEUljE0_EEESZ_S10_S11_S18_S1C_S1E_T6_T7_T9_mT8_S1G_bDpT10_ENKUlT_T0_E_clISt17integral_constantIbLb1EES1U_EEDaS1P_S1Q_EUlS1P_E_NS1_11comp_targetILNS1_3genE4ELNS1_11target_archE910ELNS1_3gpuE8ELNS1_3repE0EEENS1_30default_config_static_selectorELNS0_4arch9wavefront6targetE0EEEvS12_.kd
    .uniform_work_group_size: 1
    .uses_dynamic_stack: false
    .vgpr_count:     0
    .vgpr_spill_count: 0
    .wavefront_size: 32
    .workgroup_processor_mode: 1
  - .args:
      - .offset:         0
        .size:           184
        .value_kind:     by_value
    .group_segment_fixed_size: 0
    .kernarg_segment_align: 8
    .kernarg_segment_size: 184
    .language:       OpenCL C
    .language_version:
      - 2
      - 0
    .max_flat_workgroup_size: 256
    .name:           _ZN7rocprim17ROCPRIM_400000_NS6detail17trampoline_kernelINS0_13select_configILj256ELj13ELNS0_17block_load_methodE3ELS4_3ELS4_3ELNS0_20block_scan_algorithmE0ELj4294967295EEENS1_25partition_config_selectorILNS1_17partition_subalgoE4EjNS0_10empty_typeEbEEZZNS1_14partition_implILS8_4ELb0ES6_15HIP_vector_typeIjLj2EENS0_17counting_iteratorIjlEEPS9_SG_NS0_5tupleIJPjSI_NS0_16reverse_iteratorISI_EEEEENSH_IJSG_SG_SG_EEES9_SI_JZNS1_25segmented_radix_sort_implINS0_14default_configELb1EPKsPsPKlPlN2at6native12_GLOBAL__N_18offset_tEEE10hipError_tPvRmT1_PNSt15iterator_traitsIS12_E10value_typeET2_T3_PNS13_IS18_E10value_typeET4_jRbjT5_S1E_jjP12ihipStream_tbEUljE_ZNSN_ISO_Lb1ESQ_SR_ST_SU_SY_EESZ_S10_S11_S12_S16_S17_S18_S1B_S1C_jS1D_jS1E_S1E_jjS1G_bEUljE0_EEESZ_S10_S11_S18_S1C_S1E_T6_T7_T9_mT8_S1G_bDpT10_ENKUlT_T0_E_clISt17integral_constantIbLb1EES1U_EEDaS1P_S1Q_EUlS1P_E_NS1_11comp_targetILNS1_3genE3ELNS1_11target_archE908ELNS1_3gpuE7ELNS1_3repE0EEENS1_30default_config_static_selectorELNS0_4arch9wavefront6targetE0EEEvS12_
    .private_segment_fixed_size: 0
    .sgpr_count:     0
    .sgpr_spill_count: 0
    .symbol:         _ZN7rocprim17ROCPRIM_400000_NS6detail17trampoline_kernelINS0_13select_configILj256ELj13ELNS0_17block_load_methodE3ELS4_3ELS4_3ELNS0_20block_scan_algorithmE0ELj4294967295EEENS1_25partition_config_selectorILNS1_17partition_subalgoE4EjNS0_10empty_typeEbEEZZNS1_14partition_implILS8_4ELb0ES6_15HIP_vector_typeIjLj2EENS0_17counting_iteratorIjlEEPS9_SG_NS0_5tupleIJPjSI_NS0_16reverse_iteratorISI_EEEEENSH_IJSG_SG_SG_EEES9_SI_JZNS1_25segmented_radix_sort_implINS0_14default_configELb1EPKsPsPKlPlN2at6native12_GLOBAL__N_18offset_tEEE10hipError_tPvRmT1_PNSt15iterator_traitsIS12_E10value_typeET2_T3_PNS13_IS18_E10value_typeET4_jRbjT5_S1E_jjP12ihipStream_tbEUljE_ZNSN_ISO_Lb1ESQ_SR_ST_SU_SY_EESZ_S10_S11_S12_S16_S17_S18_S1B_S1C_jS1D_jS1E_S1E_jjS1G_bEUljE0_EEESZ_S10_S11_S18_S1C_S1E_T6_T7_T9_mT8_S1G_bDpT10_ENKUlT_T0_E_clISt17integral_constantIbLb1EES1U_EEDaS1P_S1Q_EUlS1P_E_NS1_11comp_targetILNS1_3genE3ELNS1_11target_archE908ELNS1_3gpuE7ELNS1_3repE0EEENS1_30default_config_static_selectorELNS0_4arch9wavefront6targetE0EEEvS12_.kd
    .uniform_work_group_size: 1
    .uses_dynamic_stack: false
    .vgpr_count:     0
    .vgpr_spill_count: 0
    .wavefront_size: 32
    .workgroup_processor_mode: 1
  - .args:
      - .offset:         0
        .size:           184
        .value_kind:     by_value
    .group_segment_fixed_size: 0
    .kernarg_segment_align: 8
    .kernarg_segment_size: 184
    .language:       OpenCL C
    .language_version:
      - 2
      - 0
    .max_flat_workgroup_size: 256
    .name:           _ZN7rocprim17ROCPRIM_400000_NS6detail17trampoline_kernelINS0_13select_configILj256ELj13ELNS0_17block_load_methodE3ELS4_3ELS4_3ELNS0_20block_scan_algorithmE0ELj4294967295EEENS1_25partition_config_selectorILNS1_17partition_subalgoE4EjNS0_10empty_typeEbEEZZNS1_14partition_implILS8_4ELb0ES6_15HIP_vector_typeIjLj2EENS0_17counting_iteratorIjlEEPS9_SG_NS0_5tupleIJPjSI_NS0_16reverse_iteratorISI_EEEEENSH_IJSG_SG_SG_EEES9_SI_JZNS1_25segmented_radix_sort_implINS0_14default_configELb1EPKsPsPKlPlN2at6native12_GLOBAL__N_18offset_tEEE10hipError_tPvRmT1_PNSt15iterator_traitsIS12_E10value_typeET2_T3_PNS13_IS18_E10value_typeET4_jRbjT5_S1E_jjP12ihipStream_tbEUljE_ZNSN_ISO_Lb1ESQ_SR_ST_SU_SY_EESZ_S10_S11_S12_S16_S17_S18_S1B_S1C_jS1D_jS1E_S1E_jjS1G_bEUljE0_EEESZ_S10_S11_S18_S1C_S1E_T6_T7_T9_mT8_S1G_bDpT10_ENKUlT_T0_E_clISt17integral_constantIbLb1EES1U_EEDaS1P_S1Q_EUlS1P_E_NS1_11comp_targetILNS1_3genE2ELNS1_11target_archE906ELNS1_3gpuE6ELNS1_3repE0EEENS1_30default_config_static_selectorELNS0_4arch9wavefront6targetE0EEEvS12_
    .private_segment_fixed_size: 0
    .sgpr_count:     0
    .sgpr_spill_count: 0
    .symbol:         _ZN7rocprim17ROCPRIM_400000_NS6detail17trampoline_kernelINS0_13select_configILj256ELj13ELNS0_17block_load_methodE3ELS4_3ELS4_3ELNS0_20block_scan_algorithmE0ELj4294967295EEENS1_25partition_config_selectorILNS1_17partition_subalgoE4EjNS0_10empty_typeEbEEZZNS1_14partition_implILS8_4ELb0ES6_15HIP_vector_typeIjLj2EENS0_17counting_iteratorIjlEEPS9_SG_NS0_5tupleIJPjSI_NS0_16reverse_iteratorISI_EEEEENSH_IJSG_SG_SG_EEES9_SI_JZNS1_25segmented_radix_sort_implINS0_14default_configELb1EPKsPsPKlPlN2at6native12_GLOBAL__N_18offset_tEEE10hipError_tPvRmT1_PNSt15iterator_traitsIS12_E10value_typeET2_T3_PNS13_IS18_E10value_typeET4_jRbjT5_S1E_jjP12ihipStream_tbEUljE_ZNSN_ISO_Lb1ESQ_SR_ST_SU_SY_EESZ_S10_S11_S12_S16_S17_S18_S1B_S1C_jS1D_jS1E_S1E_jjS1G_bEUljE0_EEESZ_S10_S11_S18_S1C_S1E_T6_T7_T9_mT8_S1G_bDpT10_ENKUlT_T0_E_clISt17integral_constantIbLb1EES1U_EEDaS1P_S1Q_EUlS1P_E_NS1_11comp_targetILNS1_3genE2ELNS1_11target_archE906ELNS1_3gpuE6ELNS1_3repE0EEENS1_30default_config_static_selectorELNS0_4arch9wavefront6targetE0EEEvS12_.kd
    .uniform_work_group_size: 1
    .uses_dynamic_stack: false
    .vgpr_count:     0
    .vgpr_spill_count: 0
    .wavefront_size: 32
    .workgroup_processor_mode: 1
  - .args:
      - .offset:         0
        .size:           184
        .value_kind:     by_value
    .group_segment_fixed_size: 0
    .kernarg_segment_align: 8
    .kernarg_segment_size: 184
    .language:       OpenCL C
    .language_version:
      - 2
      - 0
    .max_flat_workgroup_size: 256
    .name:           _ZN7rocprim17ROCPRIM_400000_NS6detail17trampoline_kernelINS0_13select_configILj256ELj13ELNS0_17block_load_methodE3ELS4_3ELS4_3ELNS0_20block_scan_algorithmE0ELj4294967295EEENS1_25partition_config_selectorILNS1_17partition_subalgoE4EjNS0_10empty_typeEbEEZZNS1_14partition_implILS8_4ELb0ES6_15HIP_vector_typeIjLj2EENS0_17counting_iteratorIjlEEPS9_SG_NS0_5tupleIJPjSI_NS0_16reverse_iteratorISI_EEEEENSH_IJSG_SG_SG_EEES9_SI_JZNS1_25segmented_radix_sort_implINS0_14default_configELb1EPKsPsPKlPlN2at6native12_GLOBAL__N_18offset_tEEE10hipError_tPvRmT1_PNSt15iterator_traitsIS12_E10value_typeET2_T3_PNS13_IS18_E10value_typeET4_jRbjT5_S1E_jjP12ihipStream_tbEUljE_ZNSN_ISO_Lb1ESQ_SR_ST_SU_SY_EESZ_S10_S11_S12_S16_S17_S18_S1B_S1C_jS1D_jS1E_S1E_jjS1G_bEUljE0_EEESZ_S10_S11_S18_S1C_S1E_T6_T7_T9_mT8_S1G_bDpT10_ENKUlT_T0_E_clISt17integral_constantIbLb1EES1U_EEDaS1P_S1Q_EUlS1P_E_NS1_11comp_targetILNS1_3genE10ELNS1_11target_archE1200ELNS1_3gpuE4ELNS1_3repE0EEENS1_30default_config_static_selectorELNS0_4arch9wavefront6targetE0EEEvS12_
    .private_segment_fixed_size: 0
    .sgpr_count:     0
    .sgpr_spill_count: 0
    .symbol:         _ZN7rocprim17ROCPRIM_400000_NS6detail17trampoline_kernelINS0_13select_configILj256ELj13ELNS0_17block_load_methodE3ELS4_3ELS4_3ELNS0_20block_scan_algorithmE0ELj4294967295EEENS1_25partition_config_selectorILNS1_17partition_subalgoE4EjNS0_10empty_typeEbEEZZNS1_14partition_implILS8_4ELb0ES6_15HIP_vector_typeIjLj2EENS0_17counting_iteratorIjlEEPS9_SG_NS0_5tupleIJPjSI_NS0_16reverse_iteratorISI_EEEEENSH_IJSG_SG_SG_EEES9_SI_JZNS1_25segmented_radix_sort_implINS0_14default_configELb1EPKsPsPKlPlN2at6native12_GLOBAL__N_18offset_tEEE10hipError_tPvRmT1_PNSt15iterator_traitsIS12_E10value_typeET2_T3_PNS13_IS18_E10value_typeET4_jRbjT5_S1E_jjP12ihipStream_tbEUljE_ZNSN_ISO_Lb1ESQ_SR_ST_SU_SY_EESZ_S10_S11_S12_S16_S17_S18_S1B_S1C_jS1D_jS1E_S1E_jjS1G_bEUljE0_EEESZ_S10_S11_S18_S1C_S1E_T6_T7_T9_mT8_S1G_bDpT10_ENKUlT_T0_E_clISt17integral_constantIbLb1EES1U_EEDaS1P_S1Q_EUlS1P_E_NS1_11comp_targetILNS1_3genE10ELNS1_11target_archE1200ELNS1_3gpuE4ELNS1_3repE0EEENS1_30default_config_static_selectorELNS0_4arch9wavefront6targetE0EEEvS12_.kd
    .uniform_work_group_size: 1
    .uses_dynamic_stack: false
    .vgpr_count:     0
    .vgpr_spill_count: 0
    .wavefront_size: 32
    .workgroup_processor_mode: 1
  - .args:
      - .offset:         0
        .size:           184
        .value_kind:     by_value
    .group_segment_fixed_size: 13340
    .kernarg_segment_align: 8
    .kernarg_segment_size: 184
    .language:       OpenCL C
    .language_version:
      - 2
      - 0
    .max_flat_workgroup_size: 256
    .name:           _ZN7rocprim17ROCPRIM_400000_NS6detail17trampoline_kernelINS0_13select_configILj256ELj13ELNS0_17block_load_methodE3ELS4_3ELS4_3ELNS0_20block_scan_algorithmE0ELj4294967295EEENS1_25partition_config_selectorILNS1_17partition_subalgoE4EjNS0_10empty_typeEbEEZZNS1_14partition_implILS8_4ELb0ES6_15HIP_vector_typeIjLj2EENS0_17counting_iteratorIjlEEPS9_SG_NS0_5tupleIJPjSI_NS0_16reverse_iteratorISI_EEEEENSH_IJSG_SG_SG_EEES9_SI_JZNS1_25segmented_radix_sort_implINS0_14default_configELb1EPKsPsPKlPlN2at6native12_GLOBAL__N_18offset_tEEE10hipError_tPvRmT1_PNSt15iterator_traitsIS12_E10value_typeET2_T3_PNS13_IS18_E10value_typeET4_jRbjT5_S1E_jjP12ihipStream_tbEUljE_ZNSN_ISO_Lb1ESQ_SR_ST_SU_SY_EESZ_S10_S11_S12_S16_S17_S18_S1B_S1C_jS1D_jS1E_S1E_jjS1G_bEUljE0_EEESZ_S10_S11_S18_S1C_S1E_T6_T7_T9_mT8_S1G_bDpT10_ENKUlT_T0_E_clISt17integral_constantIbLb1EES1U_EEDaS1P_S1Q_EUlS1P_E_NS1_11comp_targetILNS1_3genE9ELNS1_11target_archE1100ELNS1_3gpuE3ELNS1_3repE0EEENS1_30default_config_static_selectorELNS0_4arch9wavefront6targetE0EEEvS12_
    .private_segment_fixed_size: 0
    .sgpr_count:     57
    .sgpr_spill_count: 0
    .symbol:         _ZN7rocprim17ROCPRIM_400000_NS6detail17trampoline_kernelINS0_13select_configILj256ELj13ELNS0_17block_load_methodE3ELS4_3ELS4_3ELNS0_20block_scan_algorithmE0ELj4294967295EEENS1_25partition_config_selectorILNS1_17partition_subalgoE4EjNS0_10empty_typeEbEEZZNS1_14partition_implILS8_4ELb0ES6_15HIP_vector_typeIjLj2EENS0_17counting_iteratorIjlEEPS9_SG_NS0_5tupleIJPjSI_NS0_16reverse_iteratorISI_EEEEENSH_IJSG_SG_SG_EEES9_SI_JZNS1_25segmented_radix_sort_implINS0_14default_configELb1EPKsPsPKlPlN2at6native12_GLOBAL__N_18offset_tEEE10hipError_tPvRmT1_PNSt15iterator_traitsIS12_E10value_typeET2_T3_PNS13_IS18_E10value_typeET4_jRbjT5_S1E_jjP12ihipStream_tbEUljE_ZNSN_ISO_Lb1ESQ_SR_ST_SU_SY_EESZ_S10_S11_S12_S16_S17_S18_S1B_S1C_jS1D_jS1E_S1E_jjS1G_bEUljE0_EEESZ_S10_S11_S18_S1C_S1E_T6_T7_T9_mT8_S1G_bDpT10_ENKUlT_T0_E_clISt17integral_constantIbLb1EES1U_EEDaS1P_S1Q_EUlS1P_E_NS1_11comp_targetILNS1_3genE9ELNS1_11target_archE1100ELNS1_3gpuE3ELNS1_3repE0EEENS1_30default_config_static_selectorELNS0_4arch9wavefront6targetE0EEEvS12_.kd
    .uniform_work_group_size: 1
    .uses_dynamic_stack: false
    .vgpr_count:     103
    .vgpr_spill_count: 0
    .wavefront_size: 32
    .workgroup_processor_mode: 1
  - .args:
      - .offset:         0
        .size:           184
        .value_kind:     by_value
    .group_segment_fixed_size: 0
    .kernarg_segment_align: 8
    .kernarg_segment_size: 184
    .language:       OpenCL C
    .language_version:
      - 2
      - 0
    .max_flat_workgroup_size: 256
    .name:           _ZN7rocprim17ROCPRIM_400000_NS6detail17trampoline_kernelINS0_13select_configILj256ELj13ELNS0_17block_load_methodE3ELS4_3ELS4_3ELNS0_20block_scan_algorithmE0ELj4294967295EEENS1_25partition_config_selectorILNS1_17partition_subalgoE4EjNS0_10empty_typeEbEEZZNS1_14partition_implILS8_4ELb0ES6_15HIP_vector_typeIjLj2EENS0_17counting_iteratorIjlEEPS9_SG_NS0_5tupleIJPjSI_NS0_16reverse_iteratorISI_EEEEENSH_IJSG_SG_SG_EEES9_SI_JZNS1_25segmented_radix_sort_implINS0_14default_configELb1EPKsPsPKlPlN2at6native12_GLOBAL__N_18offset_tEEE10hipError_tPvRmT1_PNSt15iterator_traitsIS12_E10value_typeET2_T3_PNS13_IS18_E10value_typeET4_jRbjT5_S1E_jjP12ihipStream_tbEUljE_ZNSN_ISO_Lb1ESQ_SR_ST_SU_SY_EESZ_S10_S11_S12_S16_S17_S18_S1B_S1C_jS1D_jS1E_S1E_jjS1G_bEUljE0_EEESZ_S10_S11_S18_S1C_S1E_T6_T7_T9_mT8_S1G_bDpT10_ENKUlT_T0_E_clISt17integral_constantIbLb1EES1U_EEDaS1P_S1Q_EUlS1P_E_NS1_11comp_targetILNS1_3genE8ELNS1_11target_archE1030ELNS1_3gpuE2ELNS1_3repE0EEENS1_30default_config_static_selectorELNS0_4arch9wavefront6targetE0EEEvS12_
    .private_segment_fixed_size: 0
    .sgpr_count:     0
    .sgpr_spill_count: 0
    .symbol:         _ZN7rocprim17ROCPRIM_400000_NS6detail17trampoline_kernelINS0_13select_configILj256ELj13ELNS0_17block_load_methodE3ELS4_3ELS4_3ELNS0_20block_scan_algorithmE0ELj4294967295EEENS1_25partition_config_selectorILNS1_17partition_subalgoE4EjNS0_10empty_typeEbEEZZNS1_14partition_implILS8_4ELb0ES6_15HIP_vector_typeIjLj2EENS0_17counting_iteratorIjlEEPS9_SG_NS0_5tupleIJPjSI_NS0_16reverse_iteratorISI_EEEEENSH_IJSG_SG_SG_EEES9_SI_JZNS1_25segmented_radix_sort_implINS0_14default_configELb1EPKsPsPKlPlN2at6native12_GLOBAL__N_18offset_tEEE10hipError_tPvRmT1_PNSt15iterator_traitsIS12_E10value_typeET2_T3_PNS13_IS18_E10value_typeET4_jRbjT5_S1E_jjP12ihipStream_tbEUljE_ZNSN_ISO_Lb1ESQ_SR_ST_SU_SY_EESZ_S10_S11_S12_S16_S17_S18_S1B_S1C_jS1D_jS1E_S1E_jjS1G_bEUljE0_EEESZ_S10_S11_S18_S1C_S1E_T6_T7_T9_mT8_S1G_bDpT10_ENKUlT_T0_E_clISt17integral_constantIbLb1EES1U_EEDaS1P_S1Q_EUlS1P_E_NS1_11comp_targetILNS1_3genE8ELNS1_11target_archE1030ELNS1_3gpuE2ELNS1_3repE0EEENS1_30default_config_static_selectorELNS0_4arch9wavefront6targetE0EEEvS12_.kd
    .uniform_work_group_size: 1
    .uses_dynamic_stack: false
    .vgpr_count:     0
    .vgpr_spill_count: 0
    .wavefront_size: 32
    .workgroup_processor_mode: 1
  - .args:
      - .offset:         0
        .size:           176
        .value_kind:     by_value
    .group_segment_fixed_size: 0
    .kernarg_segment_align: 8
    .kernarg_segment_size: 176
    .language:       OpenCL C
    .language_version:
      - 2
      - 0
    .max_flat_workgroup_size: 256
    .name:           _ZN7rocprim17ROCPRIM_400000_NS6detail17trampoline_kernelINS0_13select_configILj256ELj13ELNS0_17block_load_methodE3ELS4_3ELS4_3ELNS0_20block_scan_algorithmE0ELj4294967295EEENS1_25partition_config_selectorILNS1_17partition_subalgoE4EjNS0_10empty_typeEbEEZZNS1_14partition_implILS8_4ELb0ES6_15HIP_vector_typeIjLj2EENS0_17counting_iteratorIjlEEPS9_SG_NS0_5tupleIJPjSI_NS0_16reverse_iteratorISI_EEEEENSH_IJSG_SG_SG_EEES9_SI_JZNS1_25segmented_radix_sort_implINS0_14default_configELb1EPKsPsPKlPlN2at6native12_GLOBAL__N_18offset_tEEE10hipError_tPvRmT1_PNSt15iterator_traitsIS12_E10value_typeET2_T3_PNS13_IS18_E10value_typeET4_jRbjT5_S1E_jjP12ihipStream_tbEUljE_ZNSN_ISO_Lb1ESQ_SR_ST_SU_SY_EESZ_S10_S11_S12_S16_S17_S18_S1B_S1C_jS1D_jS1E_S1E_jjS1G_bEUljE0_EEESZ_S10_S11_S18_S1C_S1E_T6_T7_T9_mT8_S1G_bDpT10_ENKUlT_T0_E_clISt17integral_constantIbLb1EES1T_IbLb0EEEEDaS1P_S1Q_EUlS1P_E_NS1_11comp_targetILNS1_3genE0ELNS1_11target_archE4294967295ELNS1_3gpuE0ELNS1_3repE0EEENS1_30default_config_static_selectorELNS0_4arch9wavefront6targetE0EEEvS12_
    .private_segment_fixed_size: 0
    .sgpr_count:     0
    .sgpr_spill_count: 0
    .symbol:         _ZN7rocprim17ROCPRIM_400000_NS6detail17trampoline_kernelINS0_13select_configILj256ELj13ELNS0_17block_load_methodE3ELS4_3ELS4_3ELNS0_20block_scan_algorithmE0ELj4294967295EEENS1_25partition_config_selectorILNS1_17partition_subalgoE4EjNS0_10empty_typeEbEEZZNS1_14partition_implILS8_4ELb0ES6_15HIP_vector_typeIjLj2EENS0_17counting_iteratorIjlEEPS9_SG_NS0_5tupleIJPjSI_NS0_16reverse_iteratorISI_EEEEENSH_IJSG_SG_SG_EEES9_SI_JZNS1_25segmented_radix_sort_implINS0_14default_configELb1EPKsPsPKlPlN2at6native12_GLOBAL__N_18offset_tEEE10hipError_tPvRmT1_PNSt15iterator_traitsIS12_E10value_typeET2_T3_PNS13_IS18_E10value_typeET4_jRbjT5_S1E_jjP12ihipStream_tbEUljE_ZNSN_ISO_Lb1ESQ_SR_ST_SU_SY_EESZ_S10_S11_S12_S16_S17_S18_S1B_S1C_jS1D_jS1E_S1E_jjS1G_bEUljE0_EEESZ_S10_S11_S18_S1C_S1E_T6_T7_T9_mT8_S1G_bDpT10_ENKUlT_T0_E_clISt17integral_constantIbLb1EES1T_IbLb0EEEEDaS1P_S1Q_EUlS1P_E_NS1_11comp_targetILNS1_3genE0ELNS1_11target_archE4294967295ELNS1_3gpuE0ELNS1_3repE0EEENS1_30default_config_static_selectorELNS0_4arch9wavefront6targetE0EEEvS12_.kd
    .uniform_work_group_size: 1
    .uses_dynamic_stack: false
    .vgpr_count:     0
    .vgpr_spill_count: 0
    .wavefront_size: 32
    .workgroup_processor_mode: 1
  - .args:
      - .offset:         0
        .size:           176
        .value_kind:     by_value
    .group_segment_fixed_size: 0
    .kernarg_segment_align: 8
    .kernarg_segment_size: 176
    .language:       OpenCL C
    .language_version:
      - 2
      - 0
    .max_flat_workgroup_size: 256
    .name:           _ZN7rocprim17ROCPRIM_400000_NS6detail17trampoline_kernelINS0_13select_configILj256ELj13ELNS0_17block_load_methodE3ELS4_3ELS4_3ELNS0_20block_scan_algorithmE0ELj4294967295EEENS1_25partition_config_selectorILNS1_17partition_subalgoE4EjNS0_10empty_typeEbEEZZNS1_14partition_implILS8_4ELb0ES6_15HIP_vector_typeIjLj2EENS0_17counting_iteratorIjlEEPS9_SG_NS0_5tupleIJPjSI_NS0_16reverse_iteratorISI_EEEEENSH_IJSG_SG_SG_EEES9_SI_JZNS1_25segmented_radix_sort_implINS0_14default_configELb1EPKsPsPKlPlN2at6native12_GLOBAL__N_18offset_tEEE10hipError_tPvRmT1_PNSt15iterator_traitsIS12_E10value_typeET2_T3_PNS13_IS18_E10value_typeET4_jRbjT5_S1E_jjP12ihipStream_tbEUljE_ZNSN_ISO_Lb1ESQ_SR_ST_SU_SY_EESZ_S10_S11_S12_S16_S17_S18_S1B_S1C_jS1D_jS1E_S1E_jjS1G_bEUljE0_EEESZ_S10_S11_S18_S1C_S1E_T6_T7_T9_mT8_S1G_bDpT10_ENKUlT_T0_E_clISt17integral_constantIbLb1EES1T_IbLb0EEEEDaS1P_S1Q_EUlS1P_E_NS1_11comp_targetILNS1_3genE5ELNS1_11target_archE942ELNS1_3gpuE9ELNS1_3repE0EEENS1_30default_config_static_selectorELNS0_4arch9wavefront6targetE0EEEvS12_
    .private_segment_fixed_size: 0
    .sgpr_count:     0
    .sgpr_spill_count: 0
    .symbol:         _ZN7rocprim17ROCPRIM_400000_NS6detail17trampoline_kernelINS0_13select_configILj256ELj13ELNS0_17block_load_methodE3ELS4_3ELS4_3ELNS0_20block_scan_algorithmE0ELj4294967295EEENS1_25partition_config_selectorILNS1_17partition_subalgoE4EjNS0_10empty_typeEbEEZZNS1_14partition_implILS8_4ELb0ES6_15HIP_vector_typeIjLj2EENS0_17counting_iteratorIjlEEPS9_SG_NS0_5tupleIJPjSI_NS0_16reverse_iteratorISI_EEEEENSH_IJSG_SG_SG_EEES9_SI_JZNS1_25segmented_radix_sort_implINS0_14default_configELb1EPKsPsPKlPlN2at6native12_GLOBAL__N_18offset_tEEE10hipError_tPvRmT1_PNSt15iterator_traitsIS12_E10value_typeET2_T3_PNS13_IS18_E10value_typeET4_jRbjT5_S1E_jjP12ihipStream_tbEUljE_ZNSN_ISO_Lb1ESQ_SR_ST_SU_SY_EESZ_S10_S11_S12_S16_S17_S18_S1B_S1C_jS1D_jS1E_S1E_jjS1G_bEUljE0_EEESZ_S10_S11_S18_S1C_S1E_T6_T7_T9_mT8_S1G_bDpT10_ENKUlT_T0_E_clISt17integral_constantIbLb1EES1T_IbLb0EEEEDaS1P_S1Q_EUlS1P_E_NS1_11comp_targetILNS1_3genE5ELNS1_11target_archE942ELNS1_3gpuE9ELNS1_3repE0EEENS1_30default_config_static_selectorELNS0_4arch9wavefront6targetE0EEEvS12_.kd
    .uniform_work_group_size: 1
    .uses_dynamic_stack: false
    .vgpr_count:     0
    .vgpr_spill_count: 0
    .wavefront_size: 32
    .workgroup_processor_mode: 1
  - .args:
      - .offset:         0
        .size:           176
        .value_kind:     by_value
    .group_segment_fixed_size: 0
    .kernarg_segment_align: 8
    .kernarg_segment_size: 176
    .language:       OpenCL C
    .language_version:
      - 2
      - 0
    .max_flat_workgroup_size: 256
    .name:           _ZN7rocprim17ROCPRIM_400000_NS6detail17trampoline_kernelINS0_13select_configILj256ELj13ELNS0_17block_load_methodE3ELS4_3ELS4_3ELNS0_20block_scan_algorithmE0ELj4294967295EEENS1_25partition_config_selectorILNS1_17partition_subalgoE4EjNS0_10empty_typeEbEEZZNS1_14partition_implILS8_4ELb0ES6_15HIP_vector_typeIjLj2EENS0_17counting_iteratorIjlEEPS9_SG_NS0_5tupleIJPjSI_NS0_16reverse_iteratorISI_EEEEENSH_IJSG_SG_SG_EEES9_SI_JZNS1_25segmented_radix_sort_implINS0_14default_configELb1EPKsPsPKlPlN2at6native12_GLOBAL__N_18offset_tEEE10hipError_tPvRmT1_PNSt15iterator_traitsIS12_E10value_typeET2_T3_PNS13_IS18_E10value_typeET4_jRbjT5_S1E_jjP12ihipStream_tbEUljE_ZNSN_ISO_Lb1ESQ_SR_ST_SU_SY_EESZ_S10_S11_S12_S16_S17_S18_S1B_S1C_jS1D_jS1E_S1E_jjS1G_bEUljE0_EEESZ_S10_S11_S18_S1C_S1E_T6_T7_T9_mT8_S1G_bDpT10_ENKUlT_T0_E_clISt17integral_constantIbLb1EES1T_IbLb0EEEEDaS1P_S1Q_EUlS1P_E_NS1_11comp_targetILNS1_3genE4ELNS1_11target_archE910ELNS1_3gpuE8ELNS1_3repE0EEENS1_30default_config_static_selectorELNS0_4arch9wavefront6targetE0EEEvS12_
    .private_segment_fixed_size: 0
    .sgpr_count:     0
    .sgpr_spill_count: 0
    .symbol:         _ZN7rocprim17ROCPRIM_400000_NS6detail17trampoline_kernelINS0_13select_configILj256ELj13ELNS0_17block_load_methodE3ELS4_3ELS4_3ELNS0_20block_scan_algorithmE0ELj4294967295EEENS1_25partition_config_selectorILNS1_17partition_subalgoE4EjNS0_10empty_typeEbEEZZNS1_14partition_implILS8_4ELb0ES6_15HIP_vector_typeIjLj2EENS0_17counting_iteratorIjlEEPS9_SG_NS0_5tupleIJPjSI_NS0_16reverse_iteratorISI_EEEEENSH_IJSG_SG_SG_EEES9_SI_JZNS1_25segmented_radix_sort_implINS0_14default_configELb1EPKsPsPKlPlN2at6native12_GLOBAL__N_18offset_tEEE10hipError_tPvRmT1_PNSt15iterator_traitsIS12_E10value_typeET2_T3_PNS13_IS18_E10value_typeET4_jRbjT5_S1E_jjP12ihipStream_tbEUljE_ZNSN_ISO_Lb1ESQ_SR_ST_SU_SY_EESZ_S10_S11_S12_S16_S17_S18_S1B_S1C_jS1D_jS1E_S1E_jjS1G_bEUljE0_EEESZ_S10_S11_S18_S1C_S1E_T6_T7_T9_mT8_S1G_bDpT10_ENKUlT_T0_E_clISt17integral_constantIbLb1EES1T_IbLb0EEEEDaS1P_S1Q_EUlS1P_E_NS1_11comp_targetILNS1_3genE4ELNS1_11target_archE910ELNS1_3gpuE8ELNS1_3repE0EEENS1_30default_config_static_selectorELNS0_4arch9wavefront6targetE0EEEvS12_.kd
    .uniform_work_group_size: 1
    .uses_dynamic_stack: false
    .vgpr_count:     0
    .vgpr_spill_count: 0
    .wavefront_size: 32
    .workgroup_processor_mode: 1
  - .args:
      - .offset:         0
        .size:           176
        .value_kind:     by_value
    .group_segment_fixed_size: 0
    .kernarg_segment_align: 8
    .kernarg_segment_size: 176
    .language:       OpenCL C
    .language_version:
      - 2
      - 0
    .max_flat_workgroup_size: 256
    .name:           _ZN7rocprim17ROCPRIM_400000_NS6detail17trampoline_kernelINS0_13select_configILj256ELj13ELNS0_17block_load_methodE3ELS4_3ELS4_3ELNS0_20block_scan_algorithmE0ELj4294967295EEENS1_25partition_config_selectorILNS1_17partition_subalgoE4EjNS0_10empty_typeEbEEZZNS1_14partition_implILS8_4ELb0ES6_15HIP_vector_typeIjLj2EENS0_17counting_iteratorIjlEEPS9_SG_NS0_5tupleIJPjSI_NS0_16reverse_iteratorISI_EEEEENSH_IJSG_SG_SG_EEES9_SI_JZNS1_25segmented_radix_sort_implINS0_14default_configELb1EPKsPsPKlPlN2at6native12_GLOBAL__N_18offset_tEEE10hipError_tPvRmT1_PNSt15iterator_traitsIS12_E10value_typeET2_T3_PNS13_IS18_E10value_typeET4_jRbjT5_S1E_jjP12ihipStream_tbEUljE_ZNSN_ISO_Lb1ESQ_SR_ST_SU_SY_EESZ_S10_S11_S12_S16_S17_S18_S1B_S1C_jS1D_jS1E_S1E_jjS1G_bEUljE0_EEESZ_S10_S11_S18_S1C_S1E_T6_T7_T9_mT8_S1G_bDpT10_ENKUlT_T0_E_clISt17integral_constantIbLb1EES1T_IbLb0EEEEDaS1P_S1Q_EUlS1P_E_NS1_11comp_targetILNS1_3genE3ELNS1_11target_archE908ELNS1_3gpuE7ELNS1_3repE0EEENS1_30default_config_static_selectorELNS0_4arch9wavefront6targetE0EEEvS12_
    .private_segment_fixed_size: 0
    .sgpr_count:     0
    .sgpr_spill_count: 0
    .symbol:         _ZN7rocprim17ROCPRIM_400000_NS6detail17trampoline_kernelINS0_13select_configILj256ELj13ELNS0_17block_load_methodE3ELS4_3ELS4_3ELNS0_20block_scan_algorithmE0ELj4294967295EEENS1_25partition_config_selectorILNS1_17partition_subalgoE4EjNS0_10empty_typeEbEEZZNS1_14partition_implILS8_4ELb0ES6_15HIP_vector_typeIjLj2EENS0_17counting_iteratorIjlEEPS9_SG_NS0_5tupleIJPjSI_NS0_16reverse_iteratorISI_EEEEENSH_IJSG_SG_SG_EEES9_SI_JZNS1_25segmented_radix_sort_implINS0_14default_configELb1EPKsPsPKlPlN2at6native12_GLOBAL__N_18offset_tEEE10hipError_tPvRmT1_PNSt15iterator_traitsIS12_E10value_typeET2_T3_PNS13_IS18_E10value_typeET4_jRbjT5_S1E_jjP12ihipStream_tbEUljE_ZNSN_ISO_Lb1ESQ_SR_ST_SU_SY_EESZ_S10_S11_S12_S16_S17_S18_S1B_S1C_jS1D_jS1E_S1E_jjS1G_bEUljE0_EEESZ_S10_S11_S18_S1C_S1E_T6_T7_T9_mT8_S1G_bDpT10_ENKUlT_T0_E_clISt17integral_constantIbLb1EES1T_IbLb0EEEEDaS1P_S1Q_EUlS1P_E_NS1_11comp_targetILNS1_3genE3ELNS1_11target_archE908ELNS1_3gpuE7ELNS1_3repE0EEENS1_30default_config_static_selectorELNS0_4arch9wavefront6targetE0EEEvS12_.kd
    .uniform_work_group_size: 1
    .uses_dynamic_stack: false
    .vgpr_count:     0
    .vgpr_spill_count: 0
    .wavefront_size: 32
    .workgroup_processor_mode: 1
  - .args:
      - .offset:         0
        .size:           176
        .value_kind:     by_value
    .group_segment_fixed_size: 0
    .kernarg_segment_align: 8
    .kernarg_segment_size: 176
    .language:       OpenCL C
    .language_version:
      - 2
      - 0
    .max_flat_workgroup_size: 256
    .name:           _ZN7rocprim17ROCPRIM_400000_NS6detail17trampoline_kernelINS0_13select_configILj256ELj13ELNS0_17block_load_methodE3ELS4_3ELS4_3ELNS0_20block_scan_algorithmE0ELj4294967295EEENS1_25partition_config_selectorILNS1_17partition_subalgoE4EjNS0_10empty_typeEbEEZZNS1_14partition_implILS8_4ELb0ES6_15HIP_vector_typeIjLj2EENS0_17counting_iteratorIjlEEPS9_SG_NS0_5tupleIJPjSI_NS0_16reverse_iteratorISI_EEEEENSH_IJSG_SG_SG_EEES9_SI_JZNS1_25segmented_radix_sort_implINS0_14default_configELb1EPKsPsPKlPlN2at6native12_GLOBAL__N_18offset_tEEE10hipError_tPvRmT1_PNSt15iterator_traitsIS12_E10value_typeET2_T3_PNS13_IS18_E10value_typeET4_jRbjT5_S1E_jjP12ihipStream_tbEUljE_ZNSN_ISO_Lb1ESQ_SR_ST_SU_SY_EESZ_S10_S11_S12_S16_S17_S18_S1B_S1C_jS1D_jS1E_S1E_jjS1G_bEUljE0_EEESZ_S10_S11_S18_S1C_S1E_T6_T7_T9_mT8_S1G_bDpT10_ENKUlT_T0_E_clISt17integral_constantIbLb1EES1T_IbLb0EEEEDaS1P_S1Q_EUlS1P_E_NS1_11comp_targetILNS1_3genE2ELNS1_11target_archE906ELNS1_3gpuE6ELNS1_3repE0EEENS1_30default_config_static_selectorELNS0_4arch9wavefront6targetE0EEEvS12_
    .private_segment_fixed_size: 0
    .sgpr_count:     0
    .sgpr_spill_count: 0
    .symbol:         _ZN7rocprim17ROCPRIM_400000_NS6detail17trampoline_kernelINS0_13select_configILj256ELj13ELNS0_17block_load_methodE3ELS4_3ELS4_3ELNS0_20block_scan_algorithmE0ELj4294967295EEENS1_25partition_config_selectorILNS1_17partition_subalgoE4EjNS0_10empty_typeEbEEZZNS1_14partition_implILS8_4ELb0ES6_15HIP_vector_typeIjLj2EENS0_17counting_iteratorIjlEEPS9_SG_NS0_5tupleIJPjSI_NS0_16reverse_iteratorISI_EEEEENSH_IJSG_SG_SG_EEES9_SI_JZNS1_25segmented_radix_sort_implINS0_14default_configELb1EPKsPsPKlPlN2at6native12_GLOBAL__N_18offset_tEEE10hipError_tPvRmT1_PNSt15iterator_traitsIS12_E10value_typeET2_T3_PNS13_IS18_E10value_typeET4_jRbjT5_S1E_jjP12ihipStream_tbEUljE_ZNSN_ISO_Lb1ESQ_SR_ST_SU_SY_EESZ_S10_S11_S12_S16_S17_S18_S1B_S1C_jS1D_jS1E_S1E_jjS1G_bEUljE0_EEESZ_S10_S11_S18_S1C_S1E_T6_T7_T9_mT8_S1G_bDpT10_ENKUlT_T0_E_clISt17integral_constantIbLb1EES1T_IbLb0EEEEDaS1P_S1Q_EUlS1P_E_NS1_11comp_targetILNS1_3genE2ELNS1_11target_archE906ELNS1_3gpuE6ELNS1_3repE0EEENS1_30default_config_static_selectorELNS0_4arch9wavefront6targetE0EEEvS12_.kd
    .uniform_work_group_size: 1
    .uses_dynamic_stack: false
    .vgpr_count:     0
    .vgpr_spill_count: 0
    .wavefront_size: 32
    .workgroup_processor_mode: 1
  - .args:
      - .offset:         0
        .size:           176
        .value_kind:     by_value
    .group_segment_fixed_size: 0
    .kernarg_segment_align: 8
    .kernarg_segment_size: 176
    .language:       OpenCL C
    .language_version:
      - 2
      - 0
    .max_flat_workgroup_size: 256
    .name:           _ZN7rocprim17ROCPRIM_400000_NS6detail17trampoline_kernelINS0_13select_configILj256ELj13ELNS0_17block_load_methodE3ELS4_3ELS4_3ELNS0_20block_scan_algorithmE0ELj4294967295EEENS1_25partition_config_selectorILNS1_17partition_subalgoE4EjNS0_10empty_typeEbEEZZNS1_14partition_implILS8_4ELb0ES6_15HIP_vector_typeIjLj2EENS0_17counting_iteratorIjlEEPS9_SG_NS0_5tupleIJPjSI_NS0_16reverse_iteratorISI_EEEEENSH_IJSG_SG_SG_EEES9_SI_JZNS1_25segmented_radix_sort_implINS0_14default_configELb1EPKsPsPKlPlN2at6native12_GLOBAL__N_18offset_tEEE10hipError_tPvRmT1_PNSt15iterator_traitsIS12_E10value_typeET2_T3_PNS13_IS18_E10value_typeET4_jRbjT5_S1E_jjP12ihipStream_tbEUljE_ZNSN_ISO_Lb1ESQ_SR_ST_SU_SY_EESZ_S10_S11_S12_S16_S17_S18_S1B_S1C_jS1D_jS1E_S1E_jjS1G_bEUljE0_EEESZ_S10_S11_S18_S1C_S1E_T6_T7_T9_mT8_S1G_bDpT10_ENKUlT_T0_E_clISt17integral_constantIbLb1EES1T_IbLb0EEEEDaS1P_S1Q_EUlS1P_E_NS1_11comp_targetILNS1_3genE10ELNS1_11target_archE1200ELNS1_3gpuE4ELNS1_3repE0EEENS1_30default_config_static_selectorELNS0_4arch9wavefront6targetE0EEEvS12_
    .private_segment_fixed_size: 0
    .sgpr_count:     0
    .sgpr_spill_count: 0
    .symbol:         _ZN7rocprim17ROCPRIM_400000_NS6detail17trampoline_kernelINS0_13select_configILj256ELj13ELNS0_17block_load_methodE3ELS4_3ELS4_3ELNS0_20block_scan_algorithmE0ELj4294967295EEENS1_25partition_config_selectorILNS1_17partition_subalgoE4EjNS0_10empty_typeEbEEZZNS1_14partition_implILS8_4ELb0ES6_15HIP_vector_typeIjLj2EENS0_17counting_iteratorIjlEEPS9_SG_NS0_5tupleIJPjSI_NS0_16reverse_iteratorISI_EEEEENSH_IJSG_SG_SG_EEES9_SI_JZNS1_25segmented_radix_sort_implINS0_14default_configELb1EPKsPsPKlPlN2at6native12_GLOBAL__N_18offset_tEEE10hipError_tPvRmT1_PNSt15iterator_traitsIS12_E10value_typeET2_T3_PNS13_IS18_E10value_typeET4_jRbjT5_S1E_jjP12ihipStream_tbEUljE_ZNSN_ISO_Lb1ESQ_SR_ST_SU_SY_EESZ_S10_S11_S12_S16_S17_S18_S1B_S1C_jS1D_jS1E_S1E_jjS1G_bEUljE0_EEESZ_S10_S11_S18_S1C_S1E_T6_T7_T9_mT8_S1G_bDpT10_ENKUlT_T0_E_clISt17integral_constantIbLb1EES1T_IbLb0EEEEDaS1P_S1Q_EUlS1P_E_NS1_11comp_targetILNS1_3genE10ELNS1_11target_archE1200ELNS1_3gpuE4ELNS1_3repE0EEENS1_30default_config_static_selectorELNS0_4arch9wavefront6targetE0EEEvS12_.kd
    .uniform_work_group_size: 1
    .uses_dynamic_stack: false
    .vgpr_count:     0
    .vgpr_spill_count: 0
    .wavefront_size: 32
    .workgroup_processor_mode: 1
  - .args:
      - .offset:         0
        .size:           176
        .value_kind:     by_value
    .group_segment_fixed_size: 13340
    .kernarg_segment_align: 8
    .kernarg_segment_size: 176
    .language:       OpenCL C
    .language_version:
      - 2
      - 0
    .max_flat_workgroup_size: 256
    .name:           _ZN7rocprim17ROCPRIM_400000_NS6detail17trampoline_kernelINS0_13select_configILj256ELj13ELNS0_17block_load_methodE3ELS4_3ELS4_3ELNS0_20block_scan_algorithmE0ELj4294967295EEENS1_25partition_config_selectorILNS1_17partition_subalgoE4EjNS0_10empty_typeEbEEZZNS1_14partition_implILS8_4ELb0ES6_15HIP_vector_typeIjLj2EENS0_17counting_iteratorIjlEEPS9_SG_NS0_5tupleIJPjSI_NS0_16reverse_iteratorISI_EEEEENSH_IJSG_SG_SG_EEES9_SI_JZNS1_25segmented_radix_sort_implINS0_14default_configELb1EPKsPsPKlPlN2at6native12_GLOBAL__N_18offset_tEEE10hipError_tPvRmT1_PNSt15iterator_traitsIS12_E10value_typeET2_T3_PNS13_IS18_E10value_typeET4_jRbjT5_S1E_jjP12ihipStream_tbEUljE_ZNSN_ISO_Lb1ESQ_SR_ST_SU_SY_EESZ_S10_S11_S12_S16_S17_S18_S1B_S1C_jS1D_jS1E_S1E_jjS1G_bEUljE0_EEESZ_S10_S11_S18_S1C_S1E_T6_T7_T9_mT8_S1G_bDpT10_ENKUlT_T0_E_clISt17integral_constantIbLb1EES1T_IbLb0EEEEDaS1P_S1Q_EUlS1P_E_NS1_11comp_targetILNS1_3genE9ELNS1_11target_archE1100ELNS1_3gpuE3ELNS1_3repE0EEENS1_30default_config_static_selectorELNS0_4arch9wavefront6targetE0EEEvS12_
    .private_segment_fixed_size: 0
    .sgpr_count:     61
    .sgpr_spill_count: 0
    .symbol:         _ZN7rocprim17ROCPRIM_400000_NS6detail17trampoline_kernelINS0_13select_configILj256ELj13ELNS0_17block_load_methodE3ELS4_3ELS4_3ELNS0_20block_scan_algorithmE0ELj4294967295EEENS1_25partition_config_selectorILNS1_17partition_subalgoE4EjNS0_10empty_typeEbEEZZNS1_14partition_implILS8_4ELb0ES6_15HIP_vector_typeIjLj2EENS0_17counting_iteratorIjlEEPS9_SG_NS0_5tupleIJPjSI_NS0_16reverse_iteratorISI_EEEEENSH_IJSG_SG_SG_EEES9_SI_JZNS1_25segmented_radix_sort_implINS0_14default_configELb1EPKsPsPKlPlN2at6native12_GLOBAL__N_18offset_tEEE10hipError_tPvRmT1_PNSt15iterator_traitsIS12_E10value_typeET2_T3_PNS13_IS18_E10value_typeET4_jRbjT5_S1E_jjP12ihipStream_tbEUljE_ZNSN_ISO_Lb1ESQ_SR_ST_SU_SY_EESZ_S10_S11_S12_S16_S17_S18_S1B_S1C_jS1D_jS1E_S1E_jjS1G_bEUljE0_EEESZ_S10_S11_S18_S1C_S1E_T6_T7_T9_mT8_S1G_bDpT10_ENKUlT_T0_E_clISt17integral_constantIbLb1EES1T_IbLb0EEEEDaS1P_S1Q_EUlS1P_E_NS1_11comp_targetILNS1_3genE9ELNS1_11target_archE1100ELNS1_3gpuE3ELNS1_3repE0EEENS1_30default_config_static_selectorELNS0_4arch9wavefront6targetE0EEEvS12_.kd
    .uniform_work_group_size: 1
    .uses_dynamic_stack: false
    .vgpr_count:     98
    .vgpr_spill_count: 0
    .wavefront_size: 32
    .workgroup_processor_mode: 1
  - .args:
      - .offset:         0
        .size:           176
        .value_kind:     by_value
    .group_segment_fixed_size: 0
    .kernarg_segment_align: 8
    .kernarg_segment_size: 176
    .language:       OpenCL C
    .language_version:
      - 2
      - 0
    .max_flat_workgroup_size: 256
    .name:           _ZN7rocprim17ROCPRIM_400000_NS6detail17trampoline_kernelINS0_13select_configILj256ELj13ELNS0_17block_load_methodE3ELS4_3ELS4_3ELNS0_20block_scan_algorithmE0ELj4294967295EEENS1_25partition_config_selectorILNS1_17partition_subalgoE4EjNS0_10empty_typeEbEEZZNS1_14partition_implILS8_4ELb0ES6_15HIP_vector_typeIjLj2EENS0_17counting_iteratorIjlEEPS9_SG_NS0_5tupleIJPjSI_NS0_16reverse_iteratorISI_EEEEENSH_IJSG_SG_SG_EEES9_SI_JZNS1_25segmented_radix_sort_implINS0_14default_configELb1EPKsPsPKlPlN2at6native12_GLOBAL__N_18offset_tEEE10hipError_tPvRmT1_PNSt15iterator_traitsIS12_E10value_typeET2_T3_PNS13_IS18_E10value_typeET4_jRbjT5_S1E_jjP12ihipStream_tbEUljE_ZNSN_ISO_Lb1ESQ_SR_ST_SU_SY_EESZ_S10_S11_S12_S16_S17_S18_S1B_S1C_jS1D_jS1E_S1E_jjS1G_bEUljE0_EEESZ_S10_S11_S18_S1C_S1E_T6_T7_T9_mT8_S1G_bDpT10_ENKUlT_T0_E_clISt17integral_constantIbLb1EES1T_IbLb0EEEEDaS1P_S1Q_EUlS1P_E_NS1_11comp_targetILNS1_3genE8ELNS1_11target_archE1030ELNS1_3gpuE2ELNS1_3repE0EEENS1_30default_config_static_selectorELNS0_4arch9wavefront6targetE0EEEvS12_
    .private_segment_fixed_size: 0
    .sgpr_count:     0
    .sgpr_spill_count: 0
    .symbol:         _ZN7rocprim17ROCPRIM_400000_NS6detail17trampoline_kernelINS0_13select_configILj256ELj13ELNS0_17block_load_methodE3ELS4_3ELS4_3ELNS0_20block_scan_algorithmE0ELj4294967295EEENS1_25partition_config_selectorILNS1_17partition_subalgoE4EjNS0_10empty_typeEbEEZZNS1_14partition_implILS8_4ELb0ES6_15HIP_vector_typeIjLj2EENS0_17counting_iteratorIjlEEPS9_SG_NS0_5tupleIJPjSI_NS0_16reverse_iteratorISI_EEEEENSH_IJSG_SG_SG_EEES9_SI_JZNS1_25segmented_radix_sort_implINS0_14default_configELb1EPKsPsPKlPlN2at6native12_GLOBAL__N_18offset_tEEE10hipError_tPvRmT1_PNSt15iterator_traitsIS12_E10value_typeET2_T3_PNS13_IS18_E10value_typeET4_jRbjT5_S1E_jjP12ihipStream_tbEUljE_ZNSN_ISO_Lb1ESQ_SR_ST_SU_SY_EESZ_S10_S11_S12_S16_S17_S18_S1B_S1C_jS1D_jS1E_S1E_jjS1G_bEUljE0_EEESZ_S10_S11_S18_S1C_S1E_T6_T7_T9_mT8_S1G_bDpT10_ENKUlT_T0_E_clISt17integral_constantIbLb1EES1T_IbLb0EEEEDaS1P_S1Q_EUlS1P_E_NS1_11comp_targetILNS1_3genE8ELNS1_11target_archE1030ELNS1_3gpuE2ELNS1_3repE0EEENS1_30default_config_static_selectorELNS0_4arch9wavefront6targetE0EEEvS12_.kd
    .uniform_work_group_size: 1
    .uses_dynamic_stack: false
    .vgpr_count:     0
    .vgpr_spill_count: 0
    .wavefront_size: 32
    .workgroup_processor_mode: 1
  - .args:
      - .offset:         0
        .size:           184
        .value_kind:     by_value
    .group_segment_fixed_size: 0
    .kernarg_segment_align: 8
    .kernarg_segment_size: 184
    .language:       OpenCL C
    .language_version:
      - 2
      - 0
    .max_flat_workgroup_size: 256
    .name:           _ZN7rocprim17ROCPRIM_400000_NS6detail17trampoline_kernelINS0_13select_configILj256ELj13ELNS0_17block_load_methodE3ELS4_3ELS4_3ELNS0_20block_scan_algorithmE0ELj4294967295EEENS1_25partition_config_selectorILNS1_17partition_subalgoE4EjNS0_10empty_typeEbEEZZNS1_14partition_implILS8_4ELb0ES6_15HIP_vector_typeIjLj2EENS0_17counting_iteratorIjlEEPS9_SG_NS0_5tupleIJPjSI_NS0_16reverse_iteratorISI_EEEEENSH_IJSG_SG_SG_EEES9_SI_JZNS1_25segmented_radix_sort_implINS0_14default_configELb1EPKsPsPKlPlN2at6native12_GLOBAL__N_18offset_tEEE10hipError_tPvRmT1_PNSt15iterator_traitsIS12_E10value_typeET2_T3_PNS13_IS18_E10value_typeET4_jRbjT5_S1E_jjP12ihipStream_tbEUljE_ZNSN_ISO_Lb1ESQ_SR_ST_SU_SY_EESZ_S10_S11_S12_S16_S17_S18_S1B_S1C_jS1D_jS1E_S1E_jjS1G_bEUljE0_EEESZ_S10_S11_S18_S1C_S1E_T6_T7_T9_mT8_S1G_bDpT10_ENKUlT_T0_E_clISt17integral_constantIbLb0EES1T_IbLb1EEEEDaS1P_S1Q_EUlS1P_E_NS1_11comp_targetILNS1_3genE0ELNS1_11target_archE4294967295ELNS1_3gpuE0ELNS1_3repE0EEENS1_30default_config_static_selectorELNS0_4arch9wavefront6targetE0EEEvS12_
    .private_segment_fixed_size: 0
    .sgpr_count:     0
    .sgpr_spill_count: 0
    .symbol:         _ZN7rocprim17ROCPRIM_400000_NS6detail17trampoline_kernelINS0_13select_configILj256ELj13ELNS0_17block_load_methodE3ELS4_3ELS4_3ELNS0_20block_scan_algorithmE0ELj4294967295EEENS1_25partition_config_selectorILNS1_17partition_subalgoE4EjNS0_10empty_typeEbEEZZNS1_14partition_implILS8_4ELb0ES6_15HIP_vector_typeIjLj2EENS0_17counting_iteratorIjlEEPS9_SG_NS0_5tupleIJPjSI_NS0_16reverse_iteratorISI_EEEEENSH_IJSG_SG_SG_EEES9_SI_JZNS1_25segmented_radix_sort_implINS0_14default_configELb1EPKsPsPKlPlN2at6native12_GLOBAL__N_18offset_tEEE10hipError_tPvRmT1_PNSt15iterator_traitsIS12_E10value_typeET2_T3_PNS13_IS18_E10value_typeET4_jRbjT5_S1E_jjP12ihipStream_tbEUljE_ZNSN_ISO_Lb1ESQ_SR_ST_SU_SY_EESZ_S10_S11_S12_S16_S17_S18_S1B_S1C_jS1D_jS1E_S1E_jjS1G_bEUljE0_EEESZ_S10_S11_S18_S1C_S1E_T6_T7_T9_mT8_S1G_bDpT10_ENKUlT_T0_E_clISt17integral_constantIbLb0EES1T_IbLb1EEEEDaS1P_S1Q_EUlS1P_E_NS1_11comp_targetILNS1_3genE0ELNS1_11target_archE4294967295ELNS1_3gpuE0ELNS1_3repE0EEENS1_30default_config_static_selectorELNS0_4arch9wavefront6targetE0EEEvS12_.kd
    .uniform_work_group_size: 1
    .uses_dynamic_stack: false
    .vgpr_count:     0
    .vgpr_spill_count: 0
    .wavefront_size: 32
    .workgroup_processor_mode: 1
  - .args:
      - .offset:         0
        .size:           184
        .value_kind:     by_value
    .group_segment_fixed_size: 0
    .kernarg_segment_align: 8
    .kernarg_segment_size: 184
    .language:       OpenCL C
    .language_version:
      - 2
      - 0
    .max_flat_workgroup_size: 256
    .name:           _ZN7rocprim17ROCPRIM_400000_NS6detail17trampoline_kernelINS0_13select_configILj256ELj13ELNS0_17block_load_methodE3ELS4_3ELS4_3ELNS0_20block_scan_algorithmE0ELj4294967295EEENS1_25partition_config_selectorILNS1_17partition_subalgoE4EjNS0_10empty_typeEbEEZZNS1_14partition_implILS8_4ELb0ES6_15HIP_vector_typeIjLj2EENS0_17counting_iteratorIjlEEPS9_SG_NS0_5tupleIJPjSI_NS0_16reverse_iteratorISI_EEEEENSH_IJSG_SG_SG_EEES9_SI_JZNS1_25segmented_radix_sort_implINS0_14default_configELb1EPKsPsPKlPlN2at6native12_GLOBAL__N_18offset_tEEE10hipError_tPvRmT1_PNSt15iterator_traitsIS12_E10value_typeET2_T3_PNS13_IS18_E10value_typeET4_jRbjT5_S1E_jjP12ihipStream_tbEUljE_ZNSN_ISO_Lb1ESQ_SR_ST_SU_SY_EESZ_S10_S11_S12_S16_S17_S18_S1B_S1C_jS1D_jS1E_S1E_jjS1G_bEUljE0_EEESZ_S10_S11_S18_S1C_S1E_T6_T7_T9_mT8_S1G_bDpT10_ENKUlT_T0_E_clISt17integral_constantIbLb0EES1T_IbLb1EEEEDaS1P_S1Q_EUlS1P_E_NS1_11comp_targetILNS1_3genE5ELNS1_11target_archE942ELNS1_3gpuE9ELNS1_3repE0EEENS1_30default_config_static_selectorELNS0_4arch9wavefront6targetE0EEEvS12_
    .private_segment_fixed_size: 0
    .sgpr_count:     0
    .sgpr_spill_count: 0
    .symbol:         _ZN7rocprim17ROCPRIM_400000_NS6detail17trampoline_kernelINS0_13select_configILj256ELj13ELNS0_17block_load_methodE3ELS4_3ELS4_3ELNS0_20block_scan_algorithmE0ELj4294967295EEENS1_25partition_config_selectorILNS1_17partition_subalgoE4EjNS0_10empty_typeEbEEZZNS1_14partition_implILS8_4ELb0ES6_15HIP_vector_typeIjLj2EENS0_17counting_iteratorIjlEEPS9_SG_NS0_5tupleIJPjSI_NS0_16reverse_iteratorISI_EEEEENSH_IJSG_SG_SG_EEES9_SI_JZNS1_25segmented_radix_sort_implINS0_14default_configELb1EPKsPsPKlPlN2at6native12_GLOBAL__N_18offset_tEEE10hipError_tPvRmT1_PNSt15iterator_traitsIS12_E10value_typeET2_T3_PNS13_IS18_E10value_typeET4_jRbjT5_S1E_jjP12ihipStream_tbEUljE_ZNSN_ISO_Lb1ESQ_SR_ST_SU_SY_EESZ_S10_S11_S12_S16_S17_S18_S1B_S1C_jS1D_jS1E_S1E_jjS1G_bEUljE0_EEESZ_S10_S11_S18_S1C_S1E_T6_T7_T9_mT8_S1G_bDpT10_ENKUlT_T0_E_clISt17integral_constantIbLb0EES1T_IbLb1EEEEDaS1P_S1Q_EUlS1P_E_NS1_11comp_targetILNS1_3genE5ELNS1_11target_archE942ELNS1_3gpuE9ELNS1_3repE0EEENS1_30default_config_static_selectorELNS0_4arch9wavefront6targetE0EEEvS12_.kd
    .uniform_work_group_size: 1
    .uses_dynamic_stack: false
    .vgpr_count:     0
    .vgpr_spill_count: 0
    .wavefront_size: 32
    .workgroup_processor_mode: 1
  - .args:
      - .offset:         0
        .size:           184
        .value_kind:     by_value
    .group_segment_fixed_size: 0
    .kernarg_segment_align: 8
    .kernarg_segment_size: 184
    .language:       OpenCL C
    .language_version:
      - 2
      - 0
    .max_flat_workgroup_size: 256
    .name:           _ZN7rocprim17ROCPRIM_400000_NS6detail17trampoline_kernelINS0_13select_configILj256ELj13ELNS0_17block_load_methodE3ELS4_3ELS4_3ELNS0_20block_scan_algorithmE0ELj4294967295EEENS1_25partition_config_selectorILNS1_17partition_subalgoE4EjNS0_10empty_typeEbEEZZNS1_14partition_implILS8_4ELb0ES6_15HIP_vector_typeIjLj2EENS0_17counting_iteratorIjlEEPS9_SG_NS0_5tupleIJPjSI_NS0_16reverse_iteratorISI_EEEEENSH_IJSG_SG_SG_EEES9_SI_JZNS1_25segmented_radix_sort_implINS0_14default_configELb1EPKsPsPKlPlN2at6native12_GLOBAL__N_18offset_tEEE10hipError_tPvRmT1_PNSt15iterator_traitsIS12_E10value_typeET2_T3_PNS13_IS18_E10value_typeET4_jRbjT5_S1E_jjP12ihipStream_tbEUljE_ZNSN_ISO_Lb1ESQ_SR_ST_SU_SY_EESZ_S10_S11_S12_S16_S17_S18_S1B_S1C_jS1D_jS1E_S1E_jjS1G_bEUljE0_EEESZ_S10_S11_S18_S1C_S1E_T6_T7_T9_mT8_S1G_bDpT10_ENKUlT_T0_E_clISt17integral_constantIbLb0EES1T_IbLb1EEEEDaS1P_S1Q_EUlS1P_E_NS1_11comp_targetILNS1_3genE4ELNS1_11target_archE910ELNS1_3gpuE8ELNS1_3repE0EEENS1_30default_config_static_selectorELNS0_4arch9wavefront6targetE0EEEvS12_
    .private_segment_fixed_size: 0
    .sgpr_count:     0
    .sgpr_spill_count: 0
    .symbol:         _ZN7rocprim17ROCPRIM_400000_NS6detail17trampoline_kernelINS0_13select_configILj256ELj13ELNS0_17block_load_methodE3ELS4_3ELS4_3ELNS0_20block_scan_algorithmE0ELj4294967295EEENS1_25partition_config_selectorILNS1_17partition_subalgoE4EjNS0_10empty_typeEbEEZZNS1_14partition_implILS8_4ELb0ES6_15HIP_vector_typeIjLj2EENS0_17counting_iteratorIjlEEPS9_SG_NS0_5tupleIJPjSI_NS0_16reverse_iteratorISI_EEEEENSH_IJSG_SG_SG_EEES9_SI_JZNS1_25segmented_radix_sort_implINS0_14default_configELb1EPKsPsPKlPlN2at6native12_GLOBAL__N_18offset_tEEE10hipError_tPvRmT1_PNSt15iterator_traitsIS12_E10value_typeET2_T3_PNS13_IS18_E10value_typeET4_jRbjT5_S1E_jjP12ihipStream_tbEUljE_ZNSN_ISO_Lb1ESQ_SR_ST_SU_SY_EESZ_S10_S11_S12_S16_S17_S18_S1B_S1C_jS1D_jS1E_S1E_jjS1G_bEUljE0_EEESZ_S10_S11_S18_S1C_S1E_T6_T7_T9_mT8_S1G_bDpT10_ENKUlT_T0_E_clISt17integral_constantIbLb0EES1T_IbLb1EEEEDaS1P_S1Q_EUlS1P_E_NS1_11comp_targetILNS1_3genE4ELNS1_11target_archE910ELNS1_3gpuE8ELNS1_3repE0EEENS1_30default_config_static_selectorELNS0_4arch9wavefront6targetE0EEEvS12_.kd
    .uniform_work_group_size: 1
    .uses_dynamic_stack: false
    .vgpr_count:     0
    .vgpr_spill_count: 0
    .wavefront_size: 32
    .workgroup_processor_mode: 1
  - .args:
      - .offset:         0
        .size:           184
        .value_kind:     by_value
    .group_segment_fixed_size: 0
    .kernarg_segment_align: 8
    .kernarg_segment_size: 184
    .language:       OpenCL C
    .language_version:
      - 2
      - 0
    .max_flat_workgroup_size: 256
    .name:           _ZN7rocprim17ROCPRIM_400000_NS6detail17trampoline_kernelINS0_13select_configILj256ELj13ELNS0_17block_load_methodE3ELS4_3ELS4_3ELNS0_20block_scan_algorithmE0ELj4294967295EEENS1_25partition_config_selectorILNS1_17partition_subalgoE4EjNS0_10empty_typeEbEEZZNS1_14partition_implILS8_4ELb0ES6_15HIP_vector_typeIjLj2EENS0_17counting_iteratorIjlEEPS9_SG_NS0_5tupleIJPjSI_NS0_16reverse_iteratorISI_EEEEENSH_IJSG_SG_SG_EEES9_SI_JZNS1_25segmented_radix_sort_implINS0_14default_configELb1EPKsPsPKlPlN2at6native12_GLOBAL__N_18offset_tEEE10hipError_tPvRmT1_PNSt15iterator_traitsIS12_E10value_typeET2_T3_PNS13_IS18_E10value_typeET4_jRbjT5_S1E_jjP12ihipStream_tbEUljE_ZNSN_ISO_Lb1ESQ_SR_ST_SU_SY_EESZ_S10_S11_S12_S16_S17_S18_S1B_S1C_jS1D_jS1E_S1E_jjS1G_bEUljE0_EEESZ_S10_S11_S18_S1C_S1E_T6_T7_T9_mT8_S1G_bDpT10_ENKUlT_T0_E_clISt17integral_constantIbLb0EES1T_IbLb1EEEEDaS1P_S1Q_EUlS1P_E_NS1_11comp_targetILNS1_3genE3ELNS1_11target_archE908ELNS1_3gpuE7ELNS1_3repE0EEENS1_30default_config_static_selectorELNS0_4arch9wavefront6targetE0EEEvS12_
    .private_segment_fixed_size: 0
    .sgpr_count:     0
    .sgpr_spill_count: 0
    .symbol:         _ZN7rocprim17ROCPRIM_400000_NS6detail17trampoline_kernelINS0_13select_configILj256ELj13ELNS0_17block_load_methodE3ELS4_3ELS4_3ELNS0_20block_scan_algorithmE0ELj4294967295EEENS1_25partition_config_selectorILNS1_17partition_subalgoE4EjNS0_10empty_typeEbEEZZNS1_14partition_implILS8_4ELb0ES6_15HIP_vector_typeIjLj2EENS0_17counting_iteratorIjlEEPS9_SG_NS0_5tupleIJPjSI_NS0_16reverse_iteratorISI_EEEEENSH_IJSG_SG_SG_EEES9_SI_JZNS1_25segmented_radix_sort_implINS0_14default_configELb1EPKsPsPKlPlN2at6native12_GLOBAL__N_18offset_tEEE10hipError_tPvRmT1_PNSt15iterator_traitsIS12_E10value_typeET2_T3_PNS13_IS18_E10value_typeET4_jRbjT5_S1E_jjP12ihipStream_tbEUljE_ZNSN_ISO_Lb1ESQ_SR_ST_SU_SY_EESZ_S10_S11_S12_S16_S17_S18_S1B_S1C_jS1D_jS1E_S1E_jjS1G_bEUljE0_EEESZ_S10_S11_S18_S1C_S1E_T6_T7_T9_mT8_S1G_bDpT10_ENKUlT_T0_E_clISt17integral_constantIbLb0EES1T_IbLb1EEEEDaS1P_S1Q_EUlS1P_E_NS1_11comp_targetILNS1_3genE3ELNS1_11target_archE908ELNS1_3gpuE7ELNS1_3repE0EEENS1_30default_config_static_selectorELNS0_4arch9wavefront6targetE0EEEvS12_.kd
    .uniform_work_group_size: 1
    .uses_dynamic_stack: false
    .vgpr_count:     0
    .vgpr_spill_count: 0
    .wavefront_size: 32
    .workgroup_processor_mode: 1
  - .args:
      - .offset:         0
        .size:           184
        .value_kind:     by_value
    .group_segment_fixed_size: 0
    .kernarg_segment_align: 8
    .kernarg_segment_size: 184
    .language:       OpenCL C
    .language_version:
      - 2
      - 0
    .max_flat_workgroup_size: 256
    .name:           _ZN7rocprim17ROCPRIM_400000_NS6detail17trampoline_kernelINS0_13select_configILj256ELj13ELNS0_17block_load_methodE3ELS4_3ELS4_3ELNS0_20block_scan_algorithmE0ELj4294967295EEENS1_25partition_config_selectorILNS1_17partition_subalgoE4EjNS0_10empty_typeEbEEZZNS1_14partition_implILS8_4ELb0ES6_15HIP_vector_typeIjLj2EENS0_17counting_iteratorIjlEEPS9_SG_NS0_5tupleIJPjSI_NS0_16reverse_iteratorISI_EEEEENSH_IJSG_SG_SG_EEES9_SI_JZNS1_25segmented_radix_sort_implINS0_14default_configELb1EPKsPsPKlPlN2at6native12_GLOBAL__N_18offset_tEEE10hipError_tPvRmT1_PNSt15iterator_traitsIS12_E10value_typeET2_T3_PNS13_IS18_E10value_typeET4_jRbjT5_S1E_jjP12ihipStream_tbEUljE_ZNSN_ISO_Lb1ESQ_SR_ST_SU_SY_EESZ_S10_S11_S12_S16_S17_S18_S1B_S1C_jS1D_jS1E_S1E_jjS1G_bEUljE0_EEESZ_S10_S11_S18_S1C_S1E_T6_T7_T9_mT8_S1G_bDpT10_ENKUlT_T0_E_clISt17integral_constantIbLb0EES1T_IbLb1EEEEDaS1P_S1Q_EUlS1P_E_NS1_11comp_targetILNS1_3genE2ELNS1_11target_archE906ELNS1_3gpuE6ELNS1_3repE0EEENS1_30default_config_static_selectorELNS0_4arch9wavefront6targetE0EEEvS12_
    .private_segment_fixed_size: 0
    .sgpr_count:     0
    .sgpr_spill_count: 0
    .symbol:         _ZN7rocprim17ROCPRIM_400000_NS6detail17trampoline_kernelINS0_13select_configILj256ELj13ELNS0_17block_load_methodE3ELS4_3ELS4_3ELNS0_20block_scan_algorithmE0ELj4294967295EEENS1_25partition_config_selectorILNS1_17partition_subalgoE4EjNS0_10empty_typeEbEEZZNS1_14partition_implILS8_4ELb0ES6_15HIP_vector_typeIjLj2EENS0_17counting_iteratorIjlEEPS9_SG_NS0_5tupleIJPjSI_NS0_16reverse_iteratorISI_EEEEENSH_IJSG_SG_SG_EEES9_SI_JZNS1_25segmented_radix_sort_implINS0_14default_configELb1EPKsPsPKlPlN2at6native12_GLOBAL__N_18offset_tEEE10hipError_tPvRmT1_PNSt15iterator_traitsIS12_E10value_typeET2_T3_PNS13_IS18_E10value_typeET4_jRbjT5_S1E_jjP12ihipStream_tbEUljE_ZNSN_ISO_Lb1ESQ_SR_ST_SU_SY_EESZ_S10_S11_S12_S16_S17_S18_S1B_S1C_jS1D_jS1E_S1E_jjS1G_bEUljE0_EEESZ_S10_S11_S18_S1C_S1E_T6_T7_T9_mT8_S1G_bDpT10_ENKUlT_T0_E_clISt17integral_constantIbLb0EES1T_IbLb1EEEEDaS1P_S1Q_EUlS1P_E_NS1_11comp_targetILNS1_3genE2ELNS1_11target_archE906ELNS1_3gpuE6ELNS1_3repE0EEENS1_30default_config_static_selectorELNS0_4arch9wavefront6targetE0EEEvS12_.kd
    .uniform_work_group_size: 1
    .uses_dynamic_stack: false
    .vgpr_count:     0
    .vgpr_spill_count: 0
    .wavefront_size: 32
    .workgroup_processor_mode: 1
  - .args:
      - .offset:         0
        .size:           184
        .value_kind:     by_value
    .group_segment_fixed_size: 0
    .kernarg_segment_align: 8
    .kernarg_segment_size: 184
    .language:       OpenCL C
    .language_version:
      - 2
      - 0
    .max_flat_workgroup_size: 256
    .name:           _ZN7rocprim17ROCPRIM_400000_NS6detail17trampoline_kernelINS0_13select_configILj256ELj13ELNS0_17block_load_methodE3ELS4_3ELS4_3ELNS0_20block_scan_algorithmE0ELj4294967295EEENS1_25partition_config_selectorILNS1_17partition_subalgoE4EjNS0_10empty_typeEbEEZZNS1_14partition_implILS8_4ELb0ES6_15HIP_vector_typeIjLj2EENS0_17counting_iteratorIjlEEPS9_SG_NS0_5tupleIJPjSI_NS0_16reverse_iteratorISI_EEEEENSH_IJSG_SG_SG_EEES9_SI_JZNS1_25segmented_radix_sort_implINS0_14default_configELb1EPKsPsPKlPlN2at6native12_GLOBAL__N_18offset_tEEE10hipError_tPvRmT1_PNSt15iterator_traitsIS12_E10value_typeET2_T3_PNS13_IS18_E10value_typeET4_jRbjT5_S1E_jjP12ihipStream_tbEUljE_ZNSN_ISO_Lb1ESQ_SR_ST_SU_SY_EESZ_S10_S11_S12_S16_S17_S18_S1B_S1C_jS1D_jS1E_S1E_jjS1G_bEUljE0_EEESZ_S10_S11_S18_S1C_S1E_T6_T7_T9_mT8_S1G_bDpT10_ENKUlT_T0_E_clISt17integral_constantIbLb0EES1T_IbLb1EEEEDaS1P_S1Q_EUlS1P_E_NS1_11comp_targetILNS1_3genE10ELNS1_11target_archE1200ELNS1_3gpuE4ELNS1_3repE0EEENS1_30default_config_static_selectorELNS0_4arch9wavefront6targetE0EEEvS12_
    .private_segment_fixed_size: 0
    .sgpr_count:     0
    .sgpr_spill_count: 0
    .symbol:         _ZN7rocprim17ROCPRIM_400000_NS6detail17trampoline_kernelINS0_13select_configILj256ELj13ELNS0_17block_load_methodE3ELS4_3ELS4_3ELNS0_20block_scan_algorithmE0ELj4294967295EEENS1_25partition_config_selectorILNS1_17partition_subalgoE4EjNS0_10empty_typeEbEEZZNS1_14partition_implILS8_4ELb0ES6_15HIP_vector_typeIjLj2EENS0_17counting_iteratorIjlEEPS9_SG_NS0_5tupleIJPjSI_NS0_16reverse_iteratorISI_EEEEENSH_IJSG_SG_SG_EEES9_SI_JZNS1_25segmented_radix_sort_implINS0_14default_configELb1EPKsPsPKlPlN2at6native12_GLOBAL__N_18offset_tEEE10hipError_tPvRmT1_PNSt15iterator_traitsIS12_E10value_typeET2_T3_PNS13_IS18_E10value_typeET4_jRbjT5_S1E_jjP12ihipStream_tbEUljE_ZNSN_ISO_Lb1ESQ_SR_ST_SU_SY_EESZ_S10_S11_S12_S16_S17_S18_S1B_S1C_jS1D_jS1E_S1E_jjS1G_bEUljE0_EEESZ_S10_S11_S18_S1C_S1E_T6_T7_T9_mT8_S1G_bDpT10_ENKUlT_T0_E_clISt17integral_constantIbLb0EES1T_IbLb1EEEEDaS1P_S1Q_EUlS1P_E_NS1_11comp_targetILNS1_3genE10ELNS1_11target_archE1200ELNS1_3gpuE4ELNS1_3repE0EEENS1_30default_config_static_selectorELNS0_4arch9wavefront6targetE0EEEvS12_.kd
    .uniform_work_group_size: 1
    .uses_dynamic_stack: false
    .vgpr_count:     0
    .vgpr_spill_count: 0
    .wavefront_size: 32
    .workgroup_processor_mode: 1
  - .args:
      - .offset:         0
        .size:           184
        .value_kind:     by_value
    .group_segment_fixed_size: 13340
    .kernarg_segment_align: 8
    .kernarg_segment_size: 184
    .language:       OpenCL C
    .language_version:
      - 2
      - 0
    .max_flat_workgroup_size: 256
    .name:           _ZN7rocprim17ROCPRIM_400000_NS6detail17trampoline_kernelINS0_13select_configILj256ELj13ELNS0_17block_load_methodE3ELS4_3ELS4_3ELNS0_20block_scan_algorithmE0ELj4294967295EEENS1_25partition_config_selectorILNS1_17partition_subalgoE4EjNS0_10empty_typeEbEEZZNS1_14partition_implILS8_4ELb0ES6_15HIP_vector_typeIjLj2EENS0_17counting_iteratorIjlEEPS9_SG_NS0_5tupleIJPjSI_NS0_16reverse_iteratorISI_EEEEENSH_IJSG_SG_SG_EEES9_SI_JZNS1_25segmented_radix_sort_implINS0_14default_configELb1EPKsPsPKlPlN2at6native12_GLOBAL__N_18offset_tEEE10hipError_tPvRmT1_PNSt15iterator_traitsIS12_E10value_typeET2_T3_PNS13_IS18_E10value_typeET4_jRbjT5_S1E_jjP12ihipStream_tbEUljE_ZNSN_ISO_Lb1ESQ_SR_ST_SU_SY_EESZ_S10_S11_S12_S16_S17_S18_S1B_S1C_jS1D_jS1E_S1E_jjS1G_bEUljE0_EEESZ_S10_S11_S18_S1C_S1E_T6_T7_T9_mT8_S1G_bDpT10_ENKUlT_T0_E_clISt17integral_constantIbLb0EES1T_IbLb1EEEEDaS1P_S1Q_EUlS1P_E_NS1_11comp_targetILNS1_3genE9ELNS1_11target_archE1100ELNS1_3gpuE3ELNS1_3repE0EEENS1_30default_config_static_selectorELNS0_4arch9wavefront6targetE0EEEvS12_
    .private_segment_fixed_size: 0
    .sgpr_count:     57
    .sgpr_spill_count: 0
    .symbol:         _ZN7rocprim17ROCPRIM_400000_NS6detail17trampoline_kernelINS0_13select_configILj256ELj13ELNS0_17block_load_methodE3ELS4_3ELS4_3ELNS0_20block_scan_algorithmE0ELj4294967295EEENS1_25partition_config_selectorILNS1_17partition_subalgoE4EjNS0_10empty_typeEbEEZZNS1_14partition_implILS8_4ELb0ES6_15HIP_vector_typeIjLj2EENS0_17counting_iteratorIjlEEPS9_SG_NS0_5tupleIJPjSI_NS0_16reverse_iteratorISI_EEEEENSH_IJSG_SG_SG_EEES9_SI_JZNS1_25segmented_radix_sort_implINS0_14default_configELb1EPKsPsPKlPlN2at6native12_GLOBAL__N_18offset_tEEE10hipError_tPvRmT1_PNSt15iterator_traitsIS12_E10value_typeET2_T3_PNS13_IS18_E10value_typeET4_jRbjT5_S1E_jjP12ihipStream_tbEUljE_ZNSN_ISO_Lb1ESQ_SR_ST_SU_SY_EESZ_S10_S11_S12_S16_S17_S18_S1B_S1C_jS1D_jS1E_S1E_jjS1G_bEUljE0_EEESZ_S10_S11_S18_S1C_S1E_T6_T7_T9_mT8_S1G_bDpT10_ENKUlT_T0_E_clISt17integral_constantIbLb0EES1T_IbLb1EEEEDaS1P_S1Q_EUlS1P_E_NS1_11comp_targetILNS1_3genE9ELNS1_11target_archE1100ELNS1_3gpuE3ELNS1_3repE0EEENS1_30default_config_static_selectorELNS0_4arch9wavefront6targetE0EEEvS12_.kd
    .uniform_work_group_size: 1
    .uses_dynamic_stack: false
    .vgpr_count:     103
    .vgpr_spill_count: 0
    .wavefront_size: 32
    .workgroup_processor_mode: 1
  - .args:
      - .offset:         0
        .size:           184
        .value_kind:     by_value
    .group_segment_fixed_size: 0
    .kernarg_segment_align: 8
    .kernarg_segment_size: 184
    .language:       OpenCL C
    .language_version:
      - 2
      - 0
    .max_flat_workgroup_size: 256
    .name:           _ZN7rocprim17ROCPRIM_400000_NS6detail17trampoline_kernelINS0_13select_configILj256ELj13ELNS0_17block_load_methodE3ELS4_3ELS4_3ELNS0_20block_scan_algorithmE0ELj4294967295EEENS1_25partition_config_selectorILNS1_17partition_subalgoE4EjNS0_10empty_typeEbEEZZNS1_14partition_implILS8_4ELb0ES6_15HIP_vector_typeIjLj2EENS0_17counting_iteratorIjlEEPS9_SG_NS0_5tupleIJPjSI_NS0_16reverse_iteratorISI_EEEEENSH_IJSG_SG_SG_EEES9_SI_JZNS1_25segmented_radix_sort_implINS0_14default_configELb1EPKsPsPKlPlN2at6native12_GLOBAL__N_18offset_tEEE10hipError_tPvRmT1_PNSt15iterator_traitsIS12_E10value_typeET2_T3_PNS13_IS18_E10value_typeET4_jRbjT5_S1E_jjP12ihipStream_tbEUljE_ZNSN_ISO_Lb1ESQ_SR_ST_SU_SY_EESZ_S10_S11_S12_S16_S17_S18_S1B_S1C_jS1D_jS1E_S1E_jjS1G_bEUljE0_EEESZ_S10_S11_S18_S1C_S1E_T6_T7_T9_mT8_S1G_bDpT10_ENKUlT_T0_E_clISt17integral_constantIbLb0EES1T_IbLb1EEEEDaS1P_S1Q_EUlS1P_E_NS1_11comp_targetILNS1_3genE8ELNS1_11target_archE1030ELNS1_3gpuE2ELNS1_3repE0EEENS1_30default_config_static_selectorELNS0_4arch9wavefront6targetE0EEEvS12_
    .private_segment_fixed_size: 0
    .sgpr_count:     0
    .sgpr_spill_count: 0
    .symbol:         _ZN7rocprim17ROCPRIM_400000_NS6detail17trampoline_kernelINS0_13select_configILj256ELj13ELNS0_17block_load_methodE3ELS4_3ELS4_3ELNS0_20block_scan_algorithmE0ELj4294967295EEENS1_25partition_config_selectorILNS1_17partition_subalgoE4EjNS0_10empty_typeEbEEZZNS1_14partition_implILS8_4ELb0ES6_15HIP_vector_typeIjLj2EENS0_17counting_iteratorIjlEEPS9_SG_NS0_5tupleIJPjSI_NS0_16reverse_iteratorISI_EEEEENSH_IJSG_SG_SG_EEES9_SI_JZNS1_25segmented_radix_sort_implINS0_14default_configELb1EPKsPsPKlPlN2at6native12_GLOBAL__N_18offset_tEEE10hipError_tPvRmT1_PNSt15iterator_traitsIS12_E10value_typeET2_T3_PNS13_IS18_E10value_typeET4_jRbjT5_S1E_jjP12ihipStream_tbEUljE_ZNSN_ISO_Lb1ESQ_SR_ST_SU_SY_EESZ_S10_S11_S12_S16_S17_S18_S1B_S1C_jS1D_jS1E_S1E_jjS1G_bEUljE0_EEESZ_S10_S11_S18_S1C_S1E_T6_T7_T9_mT8_S1G_bDpT10_ENKUlT_T0_E_clISt17integral_constantIbLb0EES1T_IbLb1EEEEDaS1P_S1Q_EUlS1P_E_NS1_11comp_targetILNS1_3genE8ELNS1_11target_archE1030ELNS1_3gpuE2ELNS1_3repE0EEENS1_30default_config_static_selectorELNS0_4arch9wavefront6targetE0EEEvS12_.kd
    .uniform_work_group_size: 1
    .uses_dynamic_stack: false
    .vgpr_count:     0
    .vgpr_spill_count: 0
    .wavefront_size: 32
    .workgroup_processor_mode: 1
  - .args:
      - .offset:         0
        .size:           144
        .value_kind:     by_value
    .group_segment_fixed_size: 0
    .kernarg_segment_align: 8
    .kernarg_segment_size: 144
    .language:       OpenCL C
    .language_version:
      - 2
      - 0
    .max_flat_workgroup_size: 256
    .name:           _ZN7rocprim17ROCPRIM_400000_NS6detail17trampoline_kernelINS0_13select_configILj256ELj13ELNS0_17block_load_methodE3ELS4_3ELS4_3ELNS0_20block_scan_algorithmE0ELj4294967295EEENS1_25partition_config_selectorILNS1_17partition_subalgoE3EjNS0_10empty_typeEbEEZZNS1_14partition_implILS8_3ELb0ES6_jNS0_17counting_iteratorIjlEEPS9_SE_NS0_5tupleIJPjSE_EEENSF_IJSE_SE_EEES9_SG_JZNS1_25segmented_radix_sort_implINS0_14default_configELb1EPKsPsPKlPlN2at6native12_GLOBAL__N_18offset_tEEE10hipError_tPvRmT1_PNSt15iterator_traitsISY_E10value_typeET2_T3_PNSZ_IS14_E10value_typeET4_jRbjT5_S1A_jjP12ihipStream_tbEUljE_EEESV_SW_SX_S14_S18_S1A_T6_T7_T9_mT8_S1C_bDpT10_ENKUlT_T0_E_clISt17integral_constantIbLb0EES1P_EEDaS1K_S1L_EUlS1K_E_NS1_11comp_targetILNS1_3genE0ELNS1_11target_archE4294967295ELNS1_3gpuE0ELNS1_3repE0EEENS1_30default_config_static_selectorELNS0_4arch9wavefront6targetE0EEEvSY_
    .private_segment_fixed_size: 0
    .sgpr_count:     0
    .sgpr_spill_count: 0
    .symbol:         _ZN7rocprim17ROCPRIM_400000_NS6detail17trampoline_kernelINS0_13select_configILj256ELj13ELNS0_17block_load_methodE3ELS4_3ELS4_3ELNS0_20block_scan_algorithmE0ELj4294967295EEENS1_25partition_config_selectorILNS1_17partition_subalgoE3EjNS0_10empty_typeEbEEZZNS1_14partition_implILS8_3ELb0ES6_jNS0_17counting_iteratorIjlEEPS9_SE_NS0_5tupleIJPjSE_EEENSF_IJSE_SE_EEES9_SG_JZNS1_25segmented_radix_sort_implINS0_14default_configELb1EPKsPsPKlPlN2at6native12_GLOBAL__N_18offset_tEEE10hipError_tPvRmT1_PNSt15iterator_traitsISY_E10value_typeET2_T3_PNSZ_IS14_E10value_typeET4_jRbjT5_S1A_jjP12ihipStream_tbEUljE_EEESV_SW_SX_S14_S18_S1A_T6_T7_T9_mT8_S1C_bDpT10_ENKUlT_T0_E_clISt17integral_constantIbLb0EES1P_EEDaS1K_S1L_EUlS1K_E_NS1_11comp_targetILNS1_3genE0ELNS1_11target_archE4294967295ELNS1_3gpuE0ELNS1_3repE0EEENS1_30default_config_static_selectorELNS0_4arch9wavefront6targetE0EEEvSY_.kd
    .uniform_work_group_size: 1
    .uses_dynamic_stack: false
    .vgpr_count:     0
    .vgpr_spill_count: 0
    .wavefront_size: 32
    .workgroup_processor_mode: 1
  - .args:
      - .offset:         0
        .size:           144
        .value_kind:     by_value
    .group_segment_fixed_size: 0
    .kernarg_segment_align: 8
    .kernarg_segment_size: 144
    .language:       OpenCL C
    .language_version:
      - 2
      - 0
    .max_flat_workgroup_size: 256
    .name:           _ZN7rocprim17ROCPRIM_400000_NS6detail17trampoline_kernelINS0_13select_configILj256ELj13ELNS0_17block_load_methodE3ELS4_3ELS4_3ELNS0_20block_scan_algorithmE0ELj4294967295EEENS1_25partition_config_selectorILNS1_17partition_subalgoE3EjNS0_10empty_typeEbEEZZNS1_14partition_implILS8_3ELb0ES6_jNS0_17counting_iteratorIjlEEPS9_SE_NS0_5tupleIJPjSE_EEENSF_IJSE_SE_EEES9_SG_JZNS1_25segmented_radix_sort_implINS0_14default_configELb1EPKsPsPKlPlN2at6native12_GLOBAL__N_18offset_tEEE10hipError_tPvRmT1_PNSt15iterator_traitsISY_E10value_typeET2_T3_PNSZ_IS14_E10value_typeET4_jRbjT5_S1A_jjP12ihipStream_tbEUljE_EEESV_SW_SX_S14_S18_S1A_T6_T7_T9_mT8_S1C_bDpT10_ENKUlT_T0_E_clISt17integral_constantIbLb0EES1P_EEDaS1K_S1L_EUlS1K_E_NS1_11comp_targetILNS1_3genE5ELNS1_11target_archE942ELNS1_3gpuE9ELNS1_3repE0EEENS1_30default_config_static_selectorELNS0_4arch9wavefront6targetE0EEEvSY_
    .private_segment_fixed_size: 0
    .sgpr_count:     0
    .sgpr_spill_count: 0
    .symbol:         _ZN7rocprim17ROCPRIM_400000_NS6detail17trampoline_kernelINS0_13select_configILj256ELj13ELNS0_17block_load_methodE3ELS4_3ELS4_3ELNS0_20block_scan_algorithmE0ELj4294967295EEENS1_25partition_config_selectorILNS1_17partition_subalgoE3EjNS0_10empty_typeEbEEZZNS1_14partition_implILS8_3ELb0ES6_jNS0_17counting_iteratorIjlEEPS9_SE_NS0_5tupleIJPjSE_EEENSF_IJSE_SE_EEES9_SG_JZNS1_25segmented_radix_sort_implINS0_14default_configELb1EPKsPsPKlPlN2at6native12_GLOBAL__N_18offset_tEEE10hipError_tPvRmT1_PNSt15iterator_traitsISY_E10value_typeET2_T3_PNSZ_IS14_E10value_typeET4_jRbjT5_S1A_jjP12ihipStream_tbEUljE_EEESV_SW_SX_S14_S18_S1A_T6_T7_T9_mT8_S1C_bDpT10_ENKUlT_T0_E_clISt17integral_constantIbLb0EES1P_EEDaS1K_S1L_EUlS1K_E_NS1_11comp_targetILNS1_3genE5ELNS1_11target_archE942ELNS1_3gpuE9ELNS1_3repE0EEENS1_30default_config_static_selectorELNS0_4arch9wavefront6targetE0EEEvSY_.kd
    .uniform_work_group_size: 1
    .uses_dynamic_stack: false
    .vgpr_count:     0
    .vgpr_spill_count: 0
    .wavefront_size: 32
    .workgroup_processor_mode: 1
  - .args:
      - .offset:         0
        .size:           144
        .value_kind:     by_value
    .group_segment_fixed_size: 0
    .kernarg_segment_align: 8
    .kernarg_segment_size: 144
    .language:       OpenCL C
    .language_version:
      - 2
      - 0
    .max_flat_workgroup_size: 256
    .name:           _ZN7rocprim17ROCPRIM_400000_NS6detail17trampoline_kernelINS0_13select_configILj256ELj13ELNS0_17block_load_methodE3ELS4_3ELS4_3ELNS0_20block_scan_algorithmE0ELj4294967295EEENS1_25partition_config_selectorILNS1_17partition_subalgoE3EjNS0_10empty_typeEbEEZZNS1_14partition_implILS8_3ELb0ES6_jNS0_17counting_iteratorIjlEEPS9_SE_NS0_5tupleIJPjSE_EEENSF_IJSE_SE_EEES9_SG_JZNS1_25segmented_radix_sort_implINS0_14default_configELb1EPKsPsPKlPlN2at6native12_GLOBAL__N_18offset_tEEE10hipError_tPvRmT1_PNSt15iterator_traitsISY_E10value_typeET2_T3_PNSZ_IS14_E10value_typeET4_jRbjT5_S1A_jjP12ihipStream_tbEUljE_EEESV_SW_SX_S14_S18_S1A_T6_T7_T9_mT8_S1C_bDpT10_ENKUlT_T0_E_clISt17integral_constantIbLb0EES1P_EEDaS1K_S1L_EUlS1K_E_NS1_11comp_targetILNS1_3genE4ELNS1_11target_archE910ELNS1_3gpuE8ELNS1_3repE0EEENS1_30default_config_static_selectorELNS0_4arch9wavefront6targetE0EEEvSY_
    .private_segment_fixed_size: 0
    .sgpr_count:     0
    .sgpr_spill_count: 0
    .symbol:         _ZN7rocprim17ROCPRIM_400000_NS6detail17trampoline_kernelINS0_13select_configILj256ELj13ELNS0_17block_load_methodE3ELS4_3ELS4_3ELNS0_20block_scan_algorithmE0ELj4294967295EEENS1_25partition_config_selectorILNS1_17partition_subalgoE3EjNS0_10empty_typeEbEEZZNS1_14partition_implILS8_3ELb0ES6_jNS0_17counting_iteratorIjlEEPS9_SE_NS0_5tupleIJPjSE_EEENSF_IJSE_SE_EEES9_SG_JZNS1_25segmented_radix_sort_implINS0_14default_configELb1EPKsPsPKlPlN2at6native12_GLOBAL__N_18offset_tEEE10hipError_tPvRmT1_PNSt15iterator_traitsISY_E10value_typeET2_T3_PNSZ_IS14_E10value_typeET4_jRbjT5_S1A_jjP12ihipStream_tbEUljE_EEESV_SW_SX_S14_S18_S1A_T6_T7_T9_mT8_S1C_bDpT10_ENKUlT_T0_E_clISt17integral_constantIbLb0EES1P_EEDaS1K_S1L_EUlS1K_E_NS1_11comp_targetILNS1_3genE4ELNS1_11target_archE910ELNS1_3gpuE8ELNS1_3repE0EEENS1_30default_config_static_selectorELNS0_4arch9wavefront6targetE0EEEvSY_.kd
    .uniform_work_group_size: 1
    .uses_dynamic_stack: false
    .vgpr_count:     0
    .vgpr_spill_count: 0
    .wavefront_size: 32
    .workgroup_processor_mode: 1
  - .args:
      - .offset:         0
        .size:           144
        .value_kind:     by_value
    .group_segment_fixed_size: 0
    .kernarg_segment_align: 8
    .kernarg_segment_size: 144
    .language:       OpenCL C
    .language_version:
      - 2
      - 0
    .max_flat_workgroup_size: 256
    .name:           _ZN7rocprim17ROCPRIM_400000_NS6detail17trampoline_kernelINS0_13select_configILj256ELj13ELNS0_17block_load_methodE3ELS4_3ELS4_3ELNS0_20block_scan_algorithmE0ELj4294967295EEENS1_25partition_config_selectorILNS1_17partition_subalgoE3EjNS0_10empty_typeEbEEZZNS1_14partition_implILS8_3ELb0ES6_jNS0_17counting_iteratorIjlEEPS9_SE_NS0_5tupleIJPjSE_EEENSF_IJSE_SE_EEES9_SG_JZNS1_25segmented_radix_sort_implINS0_14default_configELb1EPKsPsPKlPlN2at6native12_GLOBAL__N_18offset_tEEE10hipError_tPvRmT1_PNSt15iterator_traitsISY_E10value_typeET2_T3_PNSZ_IS14_E10value_typeET4_jRbjT5_S1A_jjP12ihipStream_tbEUljE_EEESV_SW_SX_S14_S18_S1A_T6_T7_T9_mT8_S1C_bDpT10_ENKUlT_T0_E_clISt17integral_constantIbLb0EES1P_EEDaS1K_S1L_EUlS1K_E_NS1_11comp_targetILNS1_3genE3ELNS1_11target_archE908ELNS1_3gpuE7ELNS1_3repE0EEENS1_30default_config_static_selectorELNS0_4arch9wavefront6targetE0EEEvSY_
    .private_segment_fixed_size: 0
    .sgpr_count:     0
    .sgpr_spill_count: 0
    .symbol:         _ZN7rocprim17ROCPRIM_400000_NS6detail17trampoline_kernelINS0_13select_configILj256ELj13ELNS0_17block_load_methodE3ELS4_3ELS4_3ELNS0_20block_scan_algorithmE0ELj4294967295EEENS1_25partition_config_selectorILNS1_17partition_subalgoE3EjNS0_10empty_typeEbEEZZNS1_14partition_implILS8_3ELb0ES6_jNS0_17counting_iteratorIjlEEPS9_SE_NS0_5tupleIJPjSE_EEENSF_IJSE_SE_EEES9_SG_JZNS1_25segmented_radix_sort_implINS0_14default_configELb1EPKsPsPKlPlN2at6native12_GLOBAL__N_18offset_tEEE10hipError_tPvRmT1_PNSt15iterator_traitsISY_E10value_typeET2_T3_PNSZ_IS14_E10value_typeET4_jRbjT5_S1A_jjP12ihipStream_tbEUljE_EEESV_SW_SX_S14_S18_S1A_T6_T7_T9_mT8_S1C_bDpT10_ENKUlT_T0_E_clISt17integral_constantIbLb0EES1P_EEDaS1K_S1L_EUlS1K_E_NS1_11comp_targetILNS1_3genE3ELNS1_11target_archE908ELNS1_3gpuE7ELNS1_3repE0EEENS1_30default_config_static_selectorELNS0_4arch9wavefront6targetE0EEEvSY_.kd
    .uniform_work_group_size: 1
    .uses_dynamic_stack: false
    .vgpr_count:     0
    .vgpr_spill_count: 0
    .wavefront_size: 32
    .workgroup_processor_mode: 1
  - .args:
      - .offset:         0
        .size:           144
        .value_kind:     by_value
    .group_segment_fixed_size: 0
    .kernarg_segment_align: 8
    .kernarg_segment_size: 144
    .language:       OpenCL C
    .language_version:
      - 2
      - 0
    .max_flat_workgroup_size: 256
    .name:           _ZN7rocprim17ROCPRIM_400000_NS6detail17trampoline_kernelINS0_13select_configILj256ELj13ELNS0_17block_load_methodE3ELS4_3ELS4_3ELNS0_20block_scan_algorithmE0ELj4294967295EEENS1_25partition_config_selectorILNS1_17partition_subalgoE3EjNS0_10empty_typeEbEEZZNS1_14partition_implILS8_3ELb0ES6_jNS0_17counting_iteratorIjlEEPS9_SE_NS0_5tupleIJPjSE_EEENSF_IJSE_SE_EEES9_SG_JZNS1_25segmented_radix_sort_implINS0_14default_configELb1EPKsPsPKlPlN2at6native12_GLOBAL__N_18offset_tEEE10hipError_tPvRmT1_PNSt15iterator_traitsISY_E10value_typeET2_T3_PNSZ_IS14_E10value_typeET4_jRbjT5_S1A_jjP12ihipStream_tbEUljE_EEESV_SW_SX_S14_S18_S1A_T6_T7_T9_mT8_S1C_bDpT10_ENKUlT_T0_E_clISt17integral_constantIbLb0EES1P_EEDaS1K_S1L_EUlS1K_E_NS1_11comp_targetILNS1_3genE2ELNS1_11target_archE906ELNS1_3gpuE6ELNS1_3repE0EEENS1_30default_config_static_selectorELNS0_4arch9wavefront6targetE0EEEvSY_
    .private_segment_fixed_size: 0
    .sgpr_count:     0
    .sgpr_spill_count: 0
    .symbol:         _ZN7rocprim17ROCPRIM_400000_NS6detail17trampoline_kernelINS0_13select_configILj256ELj13ELNS0_17block_load_methodE3ELS4_3ELS4_3ELNS0_20block_scan_algorithmE0ELj4294967295EEENS1_25partition_config_selectorILNS1_17partition_subalgoE3EjNS0_10empty_typeEbEEZZNS1_14partition_implILS8_3ELb0ES6_jNS0_17counting_iteratorIjlEEPS9_SE_NS0_5tupleIJPjSE_EEENSF_IJSE_SE_EEES9_SG_JZNS1_25segmented_radix_sort_implINS0_14default_configELb1EPKsPsPKlPlN2at6native12_GLOBAL__N_18offset_tEEE10hipError_tPvRmT1_PNSt15iterator_traitsISY_E10value_typeET2_T3_PNSZ_IS14_E10value_typeET4_jRbjT5_S1A_jjP12ihipStream_tbEUljE_EEESV_SW_SX_S14_S18_S1A_T6_T7_T9_mT8_S1C_bDpT10_ENKUlT_T0_E_clISt17integral_constantIbLb0EES1P_EEDaS1K_S1L_EUlS1K_E_NS1_11comp_targetILNS1_3genE2ELNS1_11target_archE906ELNS1_3gpuE6ELNS1_3repE0EEENS1_30default_config_static_selectorELNS0_4arch9wavefront6targetE0EEEvSY_.kd
    .uniform_work_group_size: 1
    .uses_dynamic_stack: false
    .vgpr_count:     0
    .vgpr_spill_count: 0
    .wavefront_size: 32
    .workgroup_processor_mode: 1
  - .args:
      - .offset:         0
        .size:           144
        .value_kind:     by_value
    .group_segment_fixed_size: 0
    .kernarg_segment_align: 8
    .kernarg_segment_size: 144
    .language:       OpenCL C
    .language_version:
      - 2
      - 0
    .max_flat_workgroup_size: 256
    .name:           _ZN7rocprim17ROCPRIM_400000_NS6detail17trampoline_kernelINS0_13select_configILj256ELj13ELNS0_17block_load_methodE3ELS4_3ELS4_3ELNS0_20block_scan_algorithmE0ELj4294967295EEENS1_25partition_config_selectorILNS1_17partition_subalgoE3EjNS0_10empty_typeEbEEZZNS1_14partition_implILS8_3ELb0ES6_jNS0_17counting_iteratorIjlEEPS9_SE_NS0_5tupleIJPjSE_EEENSF_IJSE_SE_EEES9_SG_JZNS1_25segmented_radix_sort_implINS0_14default_configELb1EPKsPsPKlPlN2at6native12_GLOBAL__N_18offset_tEEE10hipError_tPvRmT1_PNSt15iterator_traitsISY_E10value_typeET2_T3_PNSZ_IS14_E10value_typeET4_jRbjT5_S1A_jjP12ihipStream_tbEUljE_EEESV_SW_SX_S14_S18_S1A_T6_T7_T9_mT8_S1C_bDpT10_ENKUlT_T0_E_clISt17integral_constantIbLb0EES1P_EEDaS1K_S1L_EUlS1K_E_NS1_11comp_targetILNS1_3genE10ELNS1_11target_archE1200ELNS1_3gpuE4ELNS1_3repE0EEENS1_30default_config_static_selectorELNS0_4arch9wavefront6targetE0EEEvSY_
    .private_segment_fixed_size: 0
    .sgpr_count:     0
    .sgpr_spill_count: 0
    .symbol:         _ZN7rocprim17ROCPRIM_400000_NS6detail17trampoline_kernelINS0_13select_configILj256ELj13ELNS0_17block_load_methodE3ELS4_3ELS4_3ELNS0_20block_scan_algorithmE0ELj4294967295EEENS1_25partition_config_selectorILNS1_17partition_subalgoE3EjNS0_10empty_typeEbEEZZNS1_14partition_implILS8_3ELb0ES6_jNS0_17counting_iteratorIjlEEPS9_SE_NS0_5tupleIJPjSE_EEENSF_IJSE_SE_EEES9_SG_JZNS1_25segmented_radix_sort_implINS0_14default_configELb1EPKsPsPKlPlN2at6native12_GLOBAL__N_18offset_tEEE10hipError_tPvRmT1_PNSt15iterator_traitsISY_E10value_typeET2_T3_PNSZ_IS14_E10value_typeET4_jRbjT5_S1A_jjP12ihipStream_tbEUljE_EEESV_SW_SX_S14_S18_S1A_T6_T7_T9_mT8_S1C_bDpT10_ENKUlT_T0_E_clISt17integral_constantIbLb0EES1P_EEDaS1K_S1L_EUlS1K_E_NS1_11comp_targetILNS1_3genE10ELNS1_11target_archE1200ELNS1_3gpuE4ELNS1_3repE0EEENS1_30default_config_static_selectorELNS0_4arch9wavefront6targetE0EEEvSY_.kd
    .uniform_work_group_size: 1
    .uses_dynamic_stack: false
    .vgpr_count:     0
    .vgpr_spill_count: 0
    .wavefront_size: 32
    .workgroup_processor_mode: 1
  - .args:
      - .offset:         0
        .size:           144
        .value_kind:     by_value
    .group_segment_fixed_size: 13324
    .kernarg_segment_align: 8
    .kernarg_segment_size: 144
    .language:       OpenCL C
    .language_version:
      - 2
      - 0
    .max_flat_workgroup_size: 256
    .name:           _ZN7rocprim17ROCPRIM_400000_NS6detail17trampoline_kernelINS0_13select_configILj256ELj13ELNS0_17block_load_methodE3ELS4_3ELS4_3ELNS0_20block_scan_algorithmE0ELj4294967295EEENS1_25partition_config_selectorILNS1_17partition_subalgoE3EjNS0_10empty_typeEbEEZZNS1_14partition_implILS8_3ELb0ES6_jNS0_17counting_iteratorIjlEEPS9_SE_NS0_5tupleIJPjSE_EEENSF_IJSE_SE_EEES9_SG_JZNS1_25segmented_radix_sort_implINS0_14default_configELb1EPKsPsPKlPlN2at6native12_GLOBAL__N_18offset_tEEE10hipError_tPvRmT1_PNSt15iterator_traitsISY_E10value_typeET2_T3_PNSZ_IS14_E10value_typeET4_jRbjT5_S1A_jjP12ihipStream_tbEUljE_EEESV_SW_SX_S14_S18_S1A_T6_T7_T9_mT8_S1C_bDpT10_ENKUlT_T0_E_clISt17integral_constantIbLb0EES1P_EEDaS1K_S1L_EUlS1K_E_NS1_11comp_targetILNS1_3genE9ELNS1_11target_archE1100ELNS1_3gpuE3ELNS1_3repE0EEENS1_30default_config_static_selectorELNS0_4arch9wavefront6targetE0EEEvSY_
    .private_segment_fixed_size: 0
    .sgpr_count:     30
    .sgpr_spill_count: 0
    .symbol:         _ZN7rocprim17ROCPRIM_400000_NS6detail17trampoline_kernelINS0_13select_configILj256ELj13ELNS0_17block_load_methodE3ELS4_3ELS4_3ELNS0_20block_scan_algorithmE0ELj4294967295EEENS1_25partition_config_selectorILNS1_17partition_subalgoE3EjNS0_10empty_typeEbEEZZNS1_14partition_implILS8_3ELb0ES6_jNS0_17counting_iteratorIjlEEPS9_SE_NS0_5tupleIJPjSE_EEENSF_IJSE_SE_EEES9_SG_JZNS1_25segmented_radix_sort_implINS0_14default_configELb1EPKsPsPKlPlN2at6native12_GLOBAL__N_18offset_tEEE10hipError_tPvRmT1_PNSt15iterator_traitsISY_E10value_typeET2_T3_PNSZ_IS14_E10value_typeET4_jRbjT5_S1A_jjP12ihipStream_tbEUljE_EEESV_SW_SX_S14_S18_S1A_T6_T7_T9_mT8_S1C_bDpT10_ENKUlT_T0_E_clISt17integral_constantIbLb0EES1P_EEDaS1K_S1L_EUlS1K_E_NS1_11comp_targetILNS1_3genE9ELNS1_11target_archE1100ELNS1_3gpuE3ELNS1_3repE0EEENS1_30default_config_static_selectorELNS0_4arch9wavefront6targetE0EEEvSY_.kd
    .uniform_work_group_size: 1
    .uses_dynamic_stack: false
    .vgpr_count:     57
    .vgpr_spill_count: 0
    .wavefront_size: 32
    .workgroup_processor_mode: 1
  - .args:
      - .offset:         0
        .size:           144
        .value_kind:     by_value
    .group_segment_fixed_size: 0
    .kernarg_segment_align: 8
    .kernarg_segment_size: 144
    .language:       OpenCL C
    .language_version:
      - 2
      - 0
    .max_flat_workgroup_size: 256
    .name:           _ZN7rocprim17ROCPRIM_400000_NS6detail17trampoline_kernelINS0_13select_configILj256ELj13ELNS0_17block_load_methodE3ELS4_3ELS4_3ELNS0_20block_scan_algorithmE0ELj4294967295EEENS1_25partition_config_selectorILNS1_17partition_subalgoE3EjNS0_10empty_typeEbEEZZNS1_14partition_implILS8_3ELb0ES6_jNS0_17counting_iteratorIjlEEPS9_SE_NS0_5tupleIJPjSE_EEENSF_IJSE_SE_EEES9_SG_JZNS1_25segmented_radix_sort_implINS0_14default_configELb1EPKsPsPKlPlN2at6native12_GLOBAL__N_18offset_tEEE10hipError_tPvRmT1_PNSt15iterator_traitsISY_E10value_typeET2_T3_PNSZ_IS14_E10value_typeET4_jRbjT5_S1A_jjP12ihipStream_tbEUljE_EEESV_SW_SX_S14_S18_S1A_T6_T7_T9_mT8_S1C_bDpT10_ENKUlT_T0_E_clISt17integral_constantIbLb0EES1P_EEDaS1K_S1L_EUlS1K_E_NS1_11comp_targetILNS1_3genE8ELNS1_11target_archE1030ELNS1_3gpuE2ELNS1_3repE0EEENS1_30default_config_static_selectorELNS0_4arch9wavefront6targetE0EEEvSY_
    .private_segment_fixed_size: 0
    .sgpr_count:     0
    .sgpr_spill_count: 0
    .symbol:         _ZN7rocprim17ROCPRIM_400000_NS6detail17trampoline_kernelINS0_13select_configILj256ELj13ELNS0_17block_load_methodE3ELS4_3ELS4_3ELNS0_20block_scan_algorithmE0ELj4294967295EEENS1_25partition_config_selectorILNS1_17partition_subalgoE3EjNS0_10empty_typeEbEEZZNS1_14partition_implILS8_3ELb0ES6_jNS0_17counting_iteratorIjlEEPS9_SE_NS0_5tupleIJPjSE_EEENSF_IJSE_SE_EEES9_SG_JZNS1_25segmented_radix_sort_implINS0_14default_configELb1EPKsPsPKlPlN2at6native12_GLOBAL__N_18offset_tEEE10hipError_tPvRmT1_PNSt15iterator_traitsISY_E10value_typeET2_T3_PNSZ_IS14_E10value_typeET4_jRbjT5_S1A_jjP12ihipStream_tbEUljE_EEESV_SW_SX_S14_S18_S1A_T6_T7_T9_mT8_S1C_bDpT10_ENKUlT_T0_E_clISt17integral_constantIbLb0EES1P_EEDaS1K_S1L_EUlS1K_E_NS1_11comp_targetILNS1_3genE8ELNS1_11target_archE1030ELNS1_3gpuE2ELNS1_3repE0EEENS1_30default_config_static_selectorELNS0_4arch9wavefront6targetE0EEEvSY_.kd
    .uniform_work_group_size: 1
    .uses_dynamic_stack: false
    .vgpr_count:     0
    .vgpr_spill_count: 0
    .wavefront_size: 32
    .workgroup_processor_mode: 1
  - .args:
      - .offset:         0
        .size:           152
        .value_kind:     by_value
    .group_segment_fixed_size: 0
    .kernarg_segment_align: 8
    .kernarg_segment_size: 152
    .language:       OpenCL C
    .language_version:
      - 2
      - 0
    .max_flat_workgroup_size: 256
    .name:           _ZN7rocprim17ROCPRIM_400000_NS6detail17trampoline_kernelINS0_13select_configILj256ELj13ELNS0_17block_load_methodE3ELS4_3ELS4_3ELNS0_20block_scan_algorithmE0ELj4294967295EEENS1_25partition_config_selectorILNS1_17partition_subalgoE3EjNS0_10empty_typeEbEEZZNS1_14partition_implILS8_3ELb0ES6_jNS0_17counting_iteratorIjlEEPS9_SE_NS0_5tupleIJPjSE_EEENSF_IJSE_SE_EEES9_SG_JZNS1_25segmented_radix_sort_implINS0_14default_configELb1EPKsPsPKlPlN2at6native12_GLOBAL__N_18offset_tEEE10hipError_tPvRmT1_PNSt15iterator_traitsISY_E10value_typeET2_T3_PNSZ_IS14_E10value_typeET4_jRbjT5_S1A_jjP12ihipStream_tbEUljE_EEESV_SW_SX_S14_S18_S1A_T6_T7_T9_mT8_S1C_bDpT10_ENKUlT_T0_E_clISt17integral_constantIbLb1EES1P_EEDaS1K_S1L_EUlS1K_E_NS1_11comp_targetILNS1_3genE0ELNS1_11target_archE4294967295ELNS1_3gpuE0ELNS1_3repE0EEENS1_30default_config_static_selectorELNS0_4arch9wavefront6targetE0EEEvSY_
    .private_segment_fixed_size: 0
    .sgpr_count:     0
    .sgpr_spill_count: 0
    .symbol:         _ZN7rocprim17ROCPRIM_400000_NS6detail17trampoline_kernelINS0_13select_configILj256ELj13ELNS0_17block_load_methodE3ELS4_3ELS4_3ELNS0_20block_scan_algorithmE0ELj4294967295EEENS1_25partition_config_selectorILNS1_17partition_subalgoE3EjNS0_10empty_typeEbEEZZNS1_14partition_implILS8_3ELb0ES6_jNS0_17counting_iteratorIjlEEPS9_SE_NS0_5tupleIJPjSE_EEENSF_IJSE_SE_EEES9_SG_JZNS1_25segmented_radix_sort_implINS0_14default_configELb1EPKsPsPKlPlN2at6native12_GLOBAL__N_18offset_tEEE10hipError_tPvRmT1_PNSt15iterator_traitsISY_E10value_typeET2_T3_PNSZ_IS14_E10value_typeET4_jRbjT5_S1A_jjP12ihipStream_tbEUljE_EEESV_SW_SX_S14_S18_S1A_T6_T7_T9_mT8_S1C_bDpT10_ENKUlT_T0_E_clISt17integral_constantIbLb1EES1P_EEDaS1K_S1L_EUlS1K_E_NS1_11comp_targetILNS1_3genE0ELNS1_11target_archE4294967295ELNS1_3gpuE0ELNS1_3repE0EEENS1_30default_config_static_selectorELNS0_4arch9wavefront6targetE0EEEvSY_.kd
    .uniform_work_group_size: 1
    .uses_dynamic_stack: false
    .vgpr_count:     0
    .vgpr_spill_count: 0
    .wavefront_size: 32
    .workgroup_processor_mode: 1
  - .args:
      - .offset:         0
        .size:           152
        .value_kind:     by_value
    .group_segment_fixed_size: 0
    .kernarg_segment_align: 8
    .kernarg_segment_size: 152
    .language:       OpenCL C
    .language_version:
      - 2
      - 0
    .max_flat_workgroup_size: 256
    .name:           _ZN7rocprim17ROCPRIM_400000_NS6detail17trampoline_kernelINS0_13select_configILj256ELj13ELNS0_17block_load_methodE3ELS4_3ELS4_3ELNS0_20block_scan_algorithmE0ELj4294967295EEENS1_25partition_config_selectorILNS1_17partition_subalgoE3EjNS0_10empty_typeEbEEZZNS1_14partition_implILS8_3ELb0ES6_jNS0_17counting_iteratorIjlEEPS9_SE_NS0_5tupleIJPjSE_EEENSF_IJSE_SE_EEES9_SG_JZNS1_25segmented_radix_sort_implINS0_14default_configELb1EPKsPsPKlPlN2at6native12_GLOBAL__N_18offset_tEEE10hipError_tPvRmT1_PNSt15iterator_traitsISY_E10value_typeET2_T3_PNSZ_IS14_E10value_typeET4_jRbjT5_S1A_jjP12ihipStream_tbEUljE_EEESV_SW_SX_S14_S18_S1A_T6_T7_T9_mT8_S1C_bDpT10_ENKUlT_T0_E_clISt17integral_constantIbLb1EES1P_EEDaS1K_S1L_EUlS1K_E_NS1_11comp_targetILNS1_3genE5ELNS1_11target_archE942ELNS1_3gpuE9ELNS1_3repE0EEENS1_30default_config_static_selectorELNS0_4arch9wavefront6targetE0EEEvSY_
    .private_segment_fixed_size: 0
    .sgpr_count:     0
    .sgpr_spill_count: 0
    .symbol:         _ZN7rocprim17ROCPRIM_400000_NS6detail17trampoline_kernelINS0_13select_configILj256ELj13ELNS0_17block_load_methodE3ELS4_3ELS4_3ELNS0_20block_scan_algorithmE0ELj4294967295EEENS1_25partition_config_selectorILNS1_17partition_subalgoE3EjNS0_10empty_typeEbEEZZNS1_14partition_implILS8_3ELb0ES6_jNS0_17counting_iteratorIjlEEPS9_SE_NS0_5tupleIJPjSE_EEENSF_IJSE_SE_EEES9_SG_JZNS1_25segmented_radix_sort_implINS0_14default_configELb1EPKsPsPKlPlN2at6native12_GLOBAL__N_18offset_tEEE10hipError_tPvRmT1_PNSt15iterator_traitsISY_E10value_typeET2_T3_PNSZ_IS14_E10value_typeET4_jRbjT5_S1A_jjP12ihipStream_tbEUljE_EEESV_SW_SX_S14_S18_S1A_T6_T7_T9_mT8_S1C_bDpT10_ENKUlT_T0_E_clISt17integral_constantIbLb1EES1P_EEDaS1K_S1L_EUlS1K_E_NS1_11comp_targetILNS1_3genE5ELNS1_11target_archE942ELNS1_3gpuE9ELNS1_3repE0EEENS1_30default_config_static_selectorELNS0_4arch9wavefront6targetE0EEEvSY_.kd
    .uniform_work_group_size: 1
    .uses_dynamic_stack: false
    .vgpr_count:     0
    .vgpr_spill_count: 0
    .wavefront_size: 32
    .workgroup_processor_mode: 1
  - .args:
      - .offset:         0
        .size:           152
        .value_kind:     by_value
    .group_segment_fixed_size: 0
    .kernarg_segment_align: 8
    .kernarg_segment_size: 152
    .language:       OpenCL C
    .language_version:
      - 2
      - 0
    .max_flat_workgroup_size: 256
    .name:           _ZN7rocprim17ROCPRIM_400000_NS6detail17trampoline_kernelINS0_13select_configILj256ELj13ELNS0_17block_load_methodE3ELS4_3ELS4_3ELNS0_20block_scan_algorithmE0ELj4294967295EEENS1_25partition_config_selectorILNS1_17partition_subalgoE3EjNS0_10empty_typeEbEEZZNS1_14partition_implILS8_3ELb0ES6_jNS0_17counting_iteratorIjlEEPS9_SE_NS0_5tupleIJPjSE_EEENSF_IJSE_SE_EEES9_SG_JZNS1_25segmented_radix_sort_implINS0_14default_configELb1EPKsPsPKlPlN2at6native12_GLOBAL__N_18offset_tEEE10hipError_tPvRmT1_PNSt15iterator_traitsISY_E10value_typeET2_T3_PNSZ_IS14_E10value_typeET4_jRbjT5_S1A_jjP12ihipStream_tbEUljE_EEESV_SW_SX_S14_S18_S1A_T6_T7_T9_mT8_S1C_bDpT10_ENKUlT_T0_E_clISt17integral_constantIbLb1EES1P_EEDaS1K_S1L_EUlS1K_E_NS1_11comp_targetILNS1_3genE4ELNS1_11target_archE910ELNS1_3gpuE8ELNS1_3repE0EEENS1_30default_config_static_selectorELNS0_4arch9wavefront6targetE0EEEvSY_
    .private_segment_fixed_size: 0
    .sgpr_count:     0
    .sgpr_spill_count: 0
    .symbol:         _ZN7rocprim17ROCPRIM_400000_NS6detail17trampoline_kernelINS0_13select_configILj256ELj13ELNS0_17block_load_methodE3ELS4_3ELS4_3ELNS0_20block_scan_algorithmE0ELj4294967295EEENS1_25partition_config_selectorILNS1_17partition_subalgoE3EjNS0_10empty_typeEbEEZZNS1_14partition_implILS8_3ELb0ES6_jNS0_17counting_iteratorIjlEEPS9_SE_NS0_5tupleIJPjSE_EEENSF_IJSE_SE_EEES9_SG_JZNS1_25segmented_radix_sort_implINS0_14default_configELb1EPKsPsPKlPlN2at6native12_GLOBAL__N_18offset_tEEE10hipError_tPvRmT1_PNSt15iterator_traitsISY_E10value_typeET2_T3_PNSZ_IS14_E10value_typeET4_jRbjT5_S1A_jjP12ihipStream_tbEUljE_EEESV_SW_SX_S14_S18_S1A_T6_T7_T9_mT8_S1C_bDpT10_ENKUlT_T0_E_clISt17integral_constantIbLb1EES1P_EEDaS1K_S1L_EUlS1K_E_NS1_11comp_targetILNS1_3genE4ELNS1_11target_archE910ELNS1_3gpuE8ELNS1_3repE0EEENS1_30default_config_static_selectorELNS0_4arch9wavefront6targetE0EEEvSY_.kd
    .uniform_work_group_size: 1
    .uses_dynamic_stack: false
    .vgpr_count:     0
    .vgpr_spill_count: 0
    .wavefront_size: 32
    .workgroup_processor_mode: 1
  - .args:
      - .offset:         0
        .size:           152
        .value_kind:     by_value
    .group_segment_fixed_size: 0
    .kernarg_segment_align: 8
    .kernarg_segment_size: 152
    .language:       OpenCL C
    .language_version:
      - 2
      - 0
    .max_flat_workgroup_size: 256
    .name:           _ZN7rocprim17ROCPRIM_400000_NS6detail17trampoline_kernelINS0_13select_configILj256ELj13ELNS0_17block_load_methodE3ELS4_3ELS4_3ELNS0_20block_scan_algorithmE0ELj4294967295EEENS1_25partition_config_selectorILNS1_17partition_subalgoE3EjNS0_10empty_typeEbEEZZNS1_14partition_implILS8_3ELb0ES6_jNS0_17counting_iteratorIjlEEPS9_SE_NS0_5tupleIJPjSE_EEENSF_IJSE_SE_EEES9_SG_JZNS1_25segmented_radix_sort_implINS0_14default_configELb1EPKsPsPKlPlN2at6native12_GLOBAL__N_18offset_tEEE10hipError_tPvRmT1_PNSt15iterator_traitsISY_E10value_typeET2_T3_PNSZ_IS14_E10value_typeET4_jRbjT5_S1A_jjP12ihipStream_tbEUljE_EEESV_SW_SX_S14_S18_S1A_T6_T7_T9_mT8_S1C_bDpT10_ENKUlT_T0_E_clISt17integral_constantIbLb1EES1P_EEDaS1K_S1L_EUlS1K_E_NS1_11comp_targetILNS1_3genE3ELNS1_11target_archE908ELNS1_3gpuE7ELNS1_3repE0EEENS1_30default_config_static_selectorELNS0_4arch9wavefront6targetE0EEEvSY_
    .private_segment_fixed_size: 0
    .sgpr_count:     0
    .sgpr_spill_count: 0
    .symbol:         _ZN7rocprim17ROCPRIM_400000_NS6detail17trampoline_kernelINS0_13select_configILj256ELj13ELNS0_17block_load_methodE3ELS4_3ELS4_3ELNS0_20block_scan_algorithmE0ELj4294967295EEENS1_25partition_config_selectorILNS1_17partition_subalgoE3EjNS0_10empty_typeEbEEZZNS1_14partition_implILS8_3ELb0ES6_jNS0_17counting_iteratorIjlEEPS9_SE_NS0_5tupleIJPjSE_EEENSF_IJSE_SE_EEES9_SG_JZNS1_25segmented_radix_sort_implINS0_14default_configELb1EPKsPsPKlPlN2at6native12_GLOBAL__N_18offset_tEEE10hipError_tPvRmT1_PNSt15iterator_traitsISY_E10value_typeET2_T3_PNSZ_IS14_E10value_typeET4_jRbjT5_S1A_jjP12ihipStream_tbEUljE_EEESV_SW_SX_S14_S18_S1A_T6_T7_T9_mT8_S1C_bDpT10_ENKUlT_T0_E_clISt17integral_constantIbLb1EES1P_EEDaS1K_S1L_EUlS1K_E_NS1_11comp_targetILNS1_3genE3ELNS1_11target_archE908ELNS1_3gpuE7ELNS1_3repE0EEENS1_30default_config_static_selectorELNS0_4arch9wavefront6targetE0EEEvSY_.kd
    .uniform_work_group_size: 1
    .uses_dynamic_stack: false
    .vgpr_count:     0
    .vgpr_spill_count: 0
    .wavefront_size: 32
    .workgroup_processor_mode: 1
  - .args:
      - .offset:         0
        .size:           152
        .value_kind:     by_value
    .group_segment_fixed_size: 0
    .kernarg_segment_align: 8
    .kernarg_segment_size: 152
    .language:       OpenCL C
    .language_version:
      - 2
      - 0
    .max_flat_workgroup_size: 256
    .name:           _ZN7rocprim17ROCPRIM_400000_NS6detail17trampoline_kernelINS0_13select_configILj256ELj13ELNS0_17block_load_methodE3ELS4_3ELS4_3ELNS0_20block_scan_algorithmE0ELj4294967295EEENS1_25partition_config_selectorILNS1_17partition_subalgoE3EjNS0_10empty_typeEbEEZZNS1_14partition_implILS8_3ELb0ES6_jNS0_17counting_iteratorIjlEEPS9_SE_NS0_5tupleIJPjSE_EEENSF_IJSE_SE_EEES9_SG_JZNS1_25segmented_radix_sort_implINS0_14default_configELb1EPKsPsPKlPlN2at6native12_GLOBAL__N_18offset_tEEE10hipError_tPvRmT1_PNSt15iterator_traitsISY_E10value_typeET2_T3_PNSZ_IS14_E10value_typeET4_jRbjT5_S1A_jjP12ihipStream_tbEUljE_EEESV_SW_SX_S14_S18_S1A_T6_T7_T9_mT8_S1C_bDpT10_ENKUlT_T0_E_clISt17integral_constantIbLb1EES1P_EEDaS1K_S1L_EUlS1K_E_NS1_11comp_targetILNS1_3genE2ELNS1_11target_archE906ELNS1_3gpuE6ELNS1_3repE0EEENS1_30default_config_static_selectorELNS0_4arch9wavefront6targetE0EEEvSY_
    .private_segment_fixed_size: 0
    .sgpr_count:     0
    .sgpr_spill_count: 0
    .symbol:         _ZN7rocprim17ROCPRIM_400000_NS6detail17trampoline_kernelINS0_13select_configILj256ELj13ELNS0_17block_load_methodE3ELS4_3ELS4_3ELNS0_20block_scan_algorithmE0ELj4294967295EEENS1_25partition_config_selectorILNS1_17partition_subalgoE3EjNS0_10empty_typeEbEEZZNS1_14partition_implILS8_3ELb0ES6_jNS0_17counting_iteratorIjlEEPS9_SE_NS0_5tupleIJPjSE_EEENSF_IJSE_SE_EEES9_SG_JZNS1_25segmented_radix_sort_implINS0_14default_configELb1EPKsPsPKlPlN2at6native12_GLOBAL__N_18offset_tEEE10hipError_tPvRmT1_PNSt15iterator_traitsISY_E10value_typeET2_T3_PNSZ_IS14_E10value_typeET4_jRbjT5_S1A_jjP12ihipStream_tbEUljE_EEESV_SW_SX_S14_S18_S1A_T6_T7_T9_mT8_S1C_bDpT10_ENKUlT_T0_E_clISt17integral_constantIbLb1EES1P_EEDaS1K_S1L_EUlS1K_E_NS1_11comp_targetILNS1_3genE2ELNS1_11target_archE906ELNS1_3gpuE6ELNS1_3repE0EEENS1_30default_config_static_selectorELNS0_4arch9wavefront6targetE0EEEvSY_.kd
    .uniform_work_group_size: 1
    .uses_dynamic_stack: false
    .vgpr_count:     0
    .vgpr_spill_count: 0
    .wavefront_size: 32
    .workgroup_processor_mode: 1
  - .args:
      - .offset:         0
        .size:           152
        .value_kind:     by_value
    .group_segment_fixed_size: 0
    .kernarg_segment_align: 8
    .kernarg_segment_size: 152
    .language:       OpenCL C
    .language_version:
      - 2
      - 0
    .max_flat_workgroup_size: 256
    .name:           _ZN7rocprim17ROCPRIM_400000_NS6detail17trampoline_kernelINS0_13select_configILj256ELj13ELNS0_17block_load_methodE3ELS4_3ELS4_3ELNS0_20block_scan_algorithmE0ELj4294967295EEENS1_25partition_config_selectorILNS1_17partition_subalgoE3EjNS0_10empty_typeEbEEZZNS1_14partition_implILS8_3ELb0ES6_jNS0_17counting_iteratorIjlEEPS9_SE_NS0_5tupleIJPjSE_EEENSF_IJSE_SE_EEES9_SG_JZNS1_25segmented_radix_sort_implINS0_14default_configELb1EPKsPsPKlPlN2at6native12_GLOBAL__N_18offset_tEEE10hipError_tPvRmT1_PNSt15iterator_traitsISY_E10value_typeET2_T3_PNSZ_IS14_E10value_typeET4_jRbjT5_S1A_jjP12ihipStream_tbEUljE_EEESV_SW_SX_S14_S18_S1A_T6_T7_T9_mT8_S1C_bDpT10_ENKUlT_T0_E_clISt17integral_constantIbLb1EES1P_EEDaS1K_S1L_EUlS1K_E_NS1_11comp_targetILNS1_3genE10ELNS1_11target_archE1200ELNS1_3gpuE4ELNS1_3repE0EEENS1_30default_config_static_selectorELNS0_4arch9wavefront6targetE0EEEvSY_
    .private_segment_fixed_size: 0
    .sgpr_count:     0
    .sgpr_spill_count: 0
    .symbol:         _ZN7rocprim17ROCPRIM_400000_NS6detail17trampoline_kernelINS0_13select_configILj256ELj13ELNS0_17block_load_methodE3ELS4_3ELS4_3ELNS0_20block_scan_algorithmE0ELj4294967295EEENS1_25partition_config_selectorILNS1_17partition_subalgoE3EjNS0_10empty_typeEbEEZZNS1_14partition_implILS8_3ELb0ES6_jNS0_17counting_iteratorIjlEEPS9_SE_NS0_5tupleIJPjSE_EEENSF_IJSE_SE_EEES9_SG_JZNS1_25segmented_radix_sort_implINS0_14default_configELb1EPKsPsPKlPlN2at6native12_GLOBAL__N_18offset_tEEE10hipError_tPvRmT1_PNSt15iterator_traitsISY_E10value_typeET2_T3_PNSZ_IS14_E10value_typeET4_jRbjT5_S1A_jjP12ihipStream_tbEUljE_EEESV_SW_SX_S14_S18_S1A_T6_T7_T9_mT8_S1C_bDpT10_ENKUlT_T0_E_clISt17integral_constantIbLb1EES1P_EEDaS1K_S1L_EUlS1K_E_NS1_11comp_targetILNS1_3genE10ELNS1_11target_archE1200ELNS1_3gpuE4ELNS1_3repE0EEENS1_30default_config_static_selectorELNS0_4arch9wavefront6targetE0EEEvSY_.kd
    .uniform_work_group_size: 1
    .uses_dynamic_stack: false
    .vgpr_count:     0
    .vgpr_spill_count: 0
    .wavefront_size: 32
    .workgroup_processor_mode: 1
  - .args:
      - .offset:         0
        .size:           152
        .value_kind:     by_value
    .group_segment_fixed_size: 13324
    .kernarg_segment_align: 8
    .kernarg_segment_size: 152
    .language:       OpenCL C
    .language_version:
      - 2
      - 0
    .max_flat_workgroup_size: 256
    .name:           _ZN7rocprim17ROCPRIM_400000_NS6detail17trampoline_kernelINS0_13select_configILj256ELj13ELNS0_17block_load_methodE3ELS4_3ELS4_3ELNS0_20block_scan_algorithmE0ELj4294967295EEENS1_25partition_config_selectorILNS1_17partition_subalgoE3EjNS0_10empty_typeEbEEZZNS1_14partition_implILS8_3ELb0ES6_jNS0_17counting_iteratorIjlEEPS9_SE_NS0_5tupleIJPjSE_EEENSF_IJSE_SE_EEES9_SG_JZNS1_25segmented_radix_sort_implINS0_14default_configELb1EPKsPsPKlPlN2at6native12_GLOBAL__N_18offset_tEEE10hipError_tPvRmT1_PNSt15iterator_traitsISY_E10value_typeET2_T3_PNSZ_IS14_E10value_typeET4_jRbjT5_S1A_jjP12ihipStream_tbEUljE_EEESV_SW_SX_S14_S18_S1A_T6_T7_T9_mT8_S1C_bDpT10_ENKUlT_T0_E_clISt17integral_constantIbLb1EES1P_EEDaS1K_S1L_EUlS1K_E_NS1_11comp_targetILNS1_3genE9ELNS1_11target_archE1100ELNS1_3gpuE3ELNS1_3repE0EEENS1_30default_config_static_selectorELNS0_4arch9wavefront6targetE0EEEvSY_
    .private_segment_fixed_size: 0
    .sgpr_count:     28
    .sgpr_spill_count: 0
    .symbol:         _ZN7rocprim17ROCPRIM_400000_NS6detail17trampoline_kernelINS0_13select_configILj256ELj13ELNS0_17block_load_methodE3ELS4_3ELS4_3ELNS0_20block_scan_algorithmE0ELj4294967295EEENS1_25partition_config_selectorILNS1_17partition_subalgoE3EjNS0_10empty_typeEbEEZZNS1_14partition_implILS8_3ELb0ES6_jNS0_17counting_iteratorIjlEEPS9_SE_NS0_5tupleIJPjSE_EEENSF_IJSE_SE_EEES9_SG_JZNS1_25segmented_radix_sort_implINS0_14default_configELb1EPKsPsPKlPlN2at6native12_GLOBAL__N_18offset_tEEE10hipError_tPvRmT1_PNSt15iterator_traitsISY_E10value_typeET2_T3_PNSZ_IS14_E10value_typeET4_jRbjT5_S1A_jjP12ihipStream_tbEUljE_EEESV_SW_SX_S14_S18_S1A_T6_T7_T9_mT8_S1C_bDpT10_ENKUlT_T0_E_clISt17integral_constantIbLb1EES1P_EEDaS1K_S1L_EUlS1K_E_NS1_11comp_targetILNS1_3genE9ELNS1_11target_archE1100ELNS1_3gpuE3ELNS1_3repE0EEENS1_30default_config_static_selectorELNS0_4arch9wavefront6targetE0EEEvSY_.kd
    .uniform_work_group_size: 1
    .uses_dynamic_stack: false
    .vgpr_count:     60
    .vgpr_spill_count: 0
    .wavefront_size: 32
    .workgroup_processor_mode: 1
  - .args:
      - .offset:         0
        .size:           152
        .value_kind:     by_value
    .group_segment_fixed_size: 0
    .kernarg_segment_align: 8
    .kernarg_segment_size: 152
    .language:       OpenCL C
    .language_version:
      - 2
      - 0
    .max_flat_workgroup_size: 256
    .name:           _ZN7rocprim17ROCPRIM_400000_NS6detail17trampoline_kernelINS0_13select_configILj256ELj13ELNS0_17block_load_methodE3ELS4_3ELS4_3ELNS0_20block_scan_algorithmE0ELj4294967295EEENS1_25partition_config_selectorILNS1_17partition_subalgoE3EjNS0_10empty_typeEbEEZZNS1_14partition_implILS8_3ELb0ES6_jNS0_17counting_iteratorIjlEEPS9_SE_NS0_5tupleIJPjSE_EEENSF_IJSE_SE_EEES9_SG_JZNS1_25segmented_radix_sort_implINS0_14default_configELb1EPKsPsPKlPlN2at6native12_GLOBAL__N_18offset_tEEE10hipError_tPvRmT1_PNSt15iterator_traitsISY_E10value_typeET2_T3_PNSZ_IS14_E10value_typeET4_jRbjT5_S1A_jjP12ihipStream_tbEUljE_EEESV_SW_SX_S14_S18_S1A_T6_T7_T9_mT8_S1C_bDpT10_ENKUlT_T0_E_clISt17integral_constantIbLb1EES1P_EEDaS1K_S1L_EUlS1K_E_NS1_11comp_targetILNS1_3genE8ELNS1_11target_archE1030ELNS1_3gpuE2ELNS1_3repE0EEENS1_30default_config_static_selectorELNS0_4arch9wavefront6targetE0EEEvSY_
    .private_segment_fixed_size: 0
    .sgpr_count:     0
    .sgpr_spill_count: 0
    .symbol:         _ZN7rocprim17ROCPRIM_400000_NS6detail17trampoline_kernelINS0_13select_configILj256ELj13ELNS0_17block_load_methodE3ELS4_3ELS4_3ELNS0_20block_scan_algorithmE0ELj4294967295EEENS1_25partition_config_selectorILNS1_17partition_subalgoE3EjNS0_10empty_typeEbEEZZNS1_14partition_implILS8_3ELb0ES6_jNS0_17counting_iteratorIjlEEPS9_SE_NS0_5tupleIJPjSE_EEENSF_IJSE_SE_EEES9_SG_JZNS1_25segmented_radix_sort_implINS0_14default_configELb1EPKsPsPKlPlN2at6native12_GLOBAL__N_18offset_tEEE10hipError_tPvRmT1_PNSt15iterator_traitsISY_E10value_typeET2_T3_PNSZ_IS14_E10value_typeET4_jRbjT5_S1A_jjP12ihipStream_tbEUljE_EEESV_SW_SX_S14_S18_S1A_T6_T7_T9_mT8_S1C_bDpT10_ENKUlT_T0_E_clISt17integral_constantIbLb1EES1P_EEDaS1K_S1L_EUlS1K_E_NS1_11comp_targetILNS1_3genE8ELNS1_11target_archE1030ELNS1_3gpuE2ELNS1_3repE0EEENS1_30default_config_static_selectorELNS0_4arch9wavefront6targetE0EEEvSY_.kd
    .uniform_work_group_size: 1
    .uses_dynamic_stack: false
    .vgpr_count:     0
    .vgpr_spill_count: 0
    .wavefront_size: 32
    .workgroup_processor_mode: 1
  - .args:
      - .offset:         0
        .size:           144
        .value_kind:     by_value
    .group_segment_fixed_size: 0
    .kernarg_segment_align: 8
    .kernarg_segment_size: 144
    .language:       OpenCL C
    .language_version:
      - 2
      - 0
    .max_flat_workgroup_size: 256
    .name:           _ZN7rocprim17ROCPRIM_400000_NS6detail17trampoline_kernelINS0_13select_configILj256ELj13ELNS0_17block_load_methodE3ELS4_3ELS4_3ELNS0_20block_scan_algorithmE0ELj4294967295EEENS1_25partition_config_selectorILNS1_17partition_subalgoE3EjNS0_10empty_typeEbEEZZNS1_14partition_implILS8_3ELb0ES6_jNS0_17counting_iteratorIjlEEPS9_SE_NS0_5tupleIJPjSE_EEENSF_IJSE_SE_EEES9_SG_JZNS1_25segmented_radix_sort_implINS0_14default_configELb1EPKsPsPKlPlN2at6native12_GLOBAL__N_18offset_tEEE10hipError_tPvRmT1_PNSt15iterator_traitsISY_E10value_typeET2_T3_PNSZ_IS14_E10value_typeET4_jRbjT5_S1A_jjP12ihipStream_tbEUljE_EEESV_SW_SX_S14_S18_S1A_T6_T7_T9_mT8_S1C_bDpT10_ENKUlT_T0_E_clISt17integral_constantIbLb1EES1O_IbLb0EEEEDaS1K_S1L_EUlS1K_E_NS1_11comp_targetILNS1_3genE0ELNS1_11target_archE4294967295ELNS1_3gpuE0ELNS1_3repE0EEENS1_30default_config_static_selectorELNS0_4arch9wavefront6targetE0EEEvSY_
    .private_segment_fixed_size: 0
    .sgpr_count:     0
    .sgpr_spill_count: 0
    .symbol:         _ZN7rocprim17ROCPRIM_400000_NS6detail17trampoline_kernelINS0_13select_configILj256ELj13ELNS0_17block_load_methodE3ELS4_3ELS4_3ELNS0_20block_scan_algorithmE0ELj4294967295EEENS1_25partition_config_selectorILNS1_17partition_subalgoE3EjNS0_10empty_typeEbEEZZNS1_14partition_implILS8_3ELb0ES6_jNS0_17counting_iteratorIjlEEPS9_SE_NS0_5tupleIJPjSE_EEENSF_IJSE_SE_EEES9_SG_JZNS1_25segmented_radix_sort_implINS0_14default_configELb1EPKsPsPKlPlN2at6native12_GLOBAL__N_18offset_tEEE10hipError_tPvRmT1_PNSt15iterator_traitsISY_E10value_typeET2_T3_PNSZ_IS14_E10value_typeET4_jRbjT5_S1A_jjP12ihipStream_tbEUljE_EEESV_SW_SX_S14_S18_S1A_T6_T7_T9_mT8_S1C_bDpT10_ENKUlT_T0_E_clISt17integral_constantIbLb1EES1O_IbLb0EEEEDaS1K_S1L_EUlS1K_E_NS1_11comp_targetILNS1_3genE0ELNS1_11target_archE4294967295ELNS1_3gpuE0ELNS1_3repE0EEENS1_30default_config_static_selectorELNS0_4arch9wavefront6targetE0EEEvSY_.kd
    .uniform_work_group_size: 1
    .uses_dynamic_stack: false
    .vgpr_count:     0
    .vgpr_spill_count: 0
    .wavefront_size: 32
    .workgroup_processor_mode: 1
  - .args:
      - .offset:         0
        .size:           144
        .value_kind:     by_value
    .group_segment_fixed_size: 0
    .kernarg_segment_align: 8
    .kernarg_segment_size: 144
    .language:       OpenCL C
    .language_version:
      - 2
      - 0
    .max_flat_workgroup_size: 256
    .name:           _ZN7rocprim17ROCPRIM_400000_NS6detail17trampoline_kernelINS0_13select_configILj256ELj13ELNS0_17block_load_methodE3ELS4_3ELS4_3ELNS0_20block_scan_algorithmE0ELj4294967295EEENS1_25partition_config_selectorILNS1_17partition_subalgoE3EjNS0_10empty_typeEbEEZZNS1_14partition_implILS8_3ELb0ES6_jNS0_17counting_iteratorIjlEEPS9_SE_NS0_5tupleIJPjSE_EEENSF_IJSE_SE_EEES9_SG_JZNS1_25segmented_radix_sort_implINS0_14default_configELb1EPKsPsPKlPlN2at6native12_GLOBAL__N_18offset_tEEE10hipError_tPvRmT1_PNSt15iterator_traitsISY_E10value_typeET2_T3_PNSZ_IS14_E10value_typeET4_jRbjT5_S1A_jjP12ihipStream_tbEUljE_EEESV_SW_SX_S14_S18_S1A_T6_T7_T9_mT8_S1C_bDpT10_ENKUlT_T0_E_clISt17integral_constantIbLb1EES1O_IbLb0EEEEDaS1K_S1L_EUlS1K_E_NS1_11comp_targetILNS1_3genE5ELNS1_11target_archE942ELNS1_3gpuE9ELNS1_3repE0EEENS1_30default_config_static_selectorELNS0_4arch9wavefront6targetE0EEEvSY_
    .private_segment_fixed_size: 0
    .sgpr_count:     0
    .sgpr_spill_count: 0
    .symbol:         _ZN7rocprim17ROCPRIM_400000_NS6detail17trampoline_kernelINS0_13select_configILj256ELj13ELNS0_17block_load_methodE3ELS4_3ELS4_3ELNS0_20block_scan_algorithmE0ELj4294967295EEENS1_25partition_config_selectorILNS1_17partition_subalgoE3EjNS0_10empty_typeEbEEZZNS1_14partition_implILS8_3ELb0ES6_jNS0_17counting_iteratorIjlEEPS9_SE_NS0_5tupleIJPjSE_EEENSF_IJSE_SE_EEES9_SG_JZNS1_25segmented_radix_sort_implINS0_14default_configELb1EPKsPsPKlPlN2at6native12_GLOBAL__N_18offset_tEEE10hipError_tPvRmT1_PNSt15iterator_traitsISY_E10value_typeET2_T3_PNSZ_IS14_E10value_typeET4_jRbjT5_S1A_jjP12ihipStream_tbEUljE_EEESV_SW_SX_S14_S18_S1A_T6_T7_T9_mT8_S1C_bDpT10_ENKUlT_T0_E_clISt17integral_constantIbLb1EES1O_IbLb0EEEEDaS1K_S1L_EUlS1K_E_NS1_11comp_targetILNS1_3genE5ELNS1_11target_archE942ELNS1_3gpuE9ELNS1_3repE0EEENS1_30default_config_static_selectorELNS0_4arch9wavefront6targetE0EEEvSY_.kd
    .uniform_work_group_size: 1
    .uses_dynamic_stack: false
    .vgpr_count:     0
    .vgpr_spill_count: 0
    .wavefront_size: 32
    .workgroup_processor_mode: 1
  - .args:
      - .offset:         0
        .size:           144
        .value_kind:     by_value
    .group_segment_fixed_size: 0
    .kernarg_segment_align: 8
    .kernarg_segment_size: 144
    .language:       OpenCL C
    .language_version:
      - 2
      - 0
    .max_flat_workgroup_size: 256
    .name:           _ZN7rocprim17ROCPRIM_400000_NS6detail17trampoline_kernelINS0_13select_configILj256ELj13ELNS0_17block_load_methodE3ELS4_3ELS4_3ELNS0_20block_scan_algorithmE0ELj4294967295EEENS1_25partition_config_selectorILNS1_17partition_subalgoE3EjNS0_10empty_typeEbEEZZNS1_14partition_implILS8_3ELb0ES6_jNS0_17counting_iteratorIjlEEPS9_SE_NS0_5tupleIJPjSE_EEENSF_IJSE_SE_EEES9_SG_JZNS1_25segmented_radix_sort_implINS0_14default_configELb1EPKsPsPKlPlN2at6native12_GLOBAL__N_18offset_tEEE10hipError_tPvRmT1_PNSt15iterator_traitsISY_E10value_typeET2_T3_PNSZ_IS14_E10value_typeET4_jRbjT5_S1A_jjP12ihipStream_tbEUljE_EEESV_SW_SX_S14_S18_S1A_T6_T7_T9_mT8_S1C_bDpT10_ENKUlT_T0_E_clISt17integral_constantIbLb1EES1O_IbLb0EEEEDaS1K_S1L_EUlS1K_E_NS1_11comp_targetILNS1_3genE4ELNS1_11target_archE910ELNS1_3gpuE8ELNS1_3repE0EEENS1_30default_config_static_selectorELNS0_4arch9wavefront6targetE0EEEvSY_
    .private_segment_fixed_size: 0
    .sgpr_count:     0
    .sgpr_spill_count: 0
    .symbol:         _ZN7rocprim17ROCPRIM_400000_NS6detail17trampoline_kernelINS0_13select_configILj256ELj13ELNS0_17block_load_methodE3ELS4_3ELS4_3ELNS0_20block_scan_algorithmE0ELj4294967295EEENS1_25partition_config_selectorILNS1_17partition_subalgoE3EjNS0_10empty_typeEbEEZZNS1_14partition_implILS8_3ELb0ES6_jNS0_17counting_iteratorIjlEEPS9_SE_NS0_5tupleIJPjSE_EEENSF_IJSE_SE_EEES9_SG_JZNS1_25segmented_radix_sort_implINS0_14default_configELb1EPKsPsPKlPlN2at6native12_GLOBAL__N_18offset_tEEE10hipError_tPvRmT1_PNSt15iterator_traitsISY_E10value_typeET2_T3_PNSZ_IS14_E10value_typeET4_jRbjT5_S1A_jjP12ihipStream_tbEUljE_EEESV_SW_SX_S14_S18_S1A_T6_T7_T9_mT8_S1C_bDpT10_ENKUlT_T0_E_clISt17integral_constantIbLb1EES1O_IbLb0EEEEDaS1K_S1L_EUlS1K_E_NS1_11comp_targetILNS1_3genE4ELNS1_11target_archE910ELNS1_3gpuE8ELNS1_3repE0EEENS1_30default_config_static_selectorELNS0_4arch9wavefront6targetE0EEEvSY_.kd
    .uniform_work_group_size: 1
    .uses_dynamic_stack: false
    .vgpr_count:     0
    .vgpr_spill_count: 0
    .wavefront_size: 32
    .workgroup_processor_mode: 1
  - .args:
      - .offset:         0
        .size:           144
        .value_kind:     by_value
    .group_segment_fixed_size: 0
    .kernarg_segment_align: 8
    .kernarg_segment_size: 144
    .language:       OpenCL C
    .language_version:
      - 2
      - 0
    .max_flat_workgroup_size: 256
    .name:           _ZN7rocprim17ROCPRIM_400000_NS6detail17trampoline_kernelINS0_13select_configILj256ELj13ELNS0_17block_load_methodE3ELS4_3ELS4_3ELNS0_20block_scan_algorithmE0ELj4294967295EEENS1_25partition_config_selectorILNS1_17partition_subalgoE3EjNS0_10empty_typeEbEEZZNS1_14partition_implILS8_3ELb0ES6_jNS0_17counting_iteratorIjlEEPS9_SE_NS0_5tupleIJPjSE_EEENSF_IJSE_SE_EEES9_SG_JZNS1_25segmented_radix_sort_implINS0_14default_configELb1EPKsPsPKlPlN2at6native12_GLOBAL__N_18offset_tEEE10hipError_tPvRmT1_PNSt15iterator_traitsISY_E10value_typeET2_T3_PNSZ_IS14_E10value_typeET4_jRbjT5_S1A_jjP12ihipStream_tbEUljE_EEESV_SW_SX_S14_S18_S1A_T6_T7_T9_mT8_S1C_bDpT10_ENKUlT_T0_E_clISt17integral_constantIbLb1EES1O_IbLb0EEEEDaS1K_S1L_EUlS1K_E_NS1_11comp_targetILNS1_3genE3ELNS1_11target_archE908ELNS1_3gpuE7ELNS1_3repE0EEENS1_30default_config_static_selectorELNS0_4arch9wavefront6targetE0EEEvSY_
    .private_segment_fixed_size: 0
    .sgpr_count:     0
    .sgpr_spill_count: 0
    .symbol:         _ZN7rocprim17ROCPRIM_400000_NS6detail17trampoline_kernelINS0_13select_configILj256ELj13ELNS0_17block_load_methodE3ELS4_3ELS4_3ELNS0_20block_scan_algorithmE0ELj4294967295EEENS1_25partition_config_selectorILNS1_17partition_subalgoE3EjNS0_10empty_typeEbEEZZNS1_14partition_implILS8_3ELb0ES6_jNS0_17counting_iteratorIjlEEPS9_SE_NS0_5tupleIJPjSE_EEENSF_IJSE_SE_EEES9_SG_JZNS1_25segmented_radix_sort_implINS0_14default_configELb1EPKsPsPKlPlN2at6native12_GLOBAL__N_18offset_tEEE10hipError_tPvRmT1_PNSt15iterator_traitsISY_E10value_typeET2_T3_PNSZ_IS14_E10value_typeET4_jRbjT5_S1A_jjP12ihipStream_tbEUljE_EEESV_SW_SX_S14_S18_S1A_T6_T7_T9_mT8_S1C_bDpT10_ENKUlT_T0_E_clISt17integral_constantIbLb1EES1O_IbLb0EEEEDaS1K_S1L_EUlS1K_E_NS1_11comp_targetILNS1_3genE3ELNS1_11target_archE908ELNS1_3gpuE7ELNS1_3repE0EEENS1_30default_config_static_selectorELNS0_4arch9wavefront6targetE0EEEvSY_.kd
    .uniform_work_group_size: 1
    .uses_dynamic_stack: false
    .vgpr_count:     0
    .vgpr_spill_count: 0
    .wavefront_size: 32
    .workgroup_processor_mode: 1
  - .args:
      - .offset:         0
        .size:           144
        .value_kind:     by_value
    .group_segment_fixed_size: 0
    .kernarg_segment_align: 8
    .kernarg_segment_size: 144
    .language:       OpenCL C
    .language_version:
      - 2
      - 0
    .max_flat_workgroup_size: 256
    .name:           _ZN7rocprim17ROCPRIM_400000_NS6detail17trampoline_kernelINS0_13select_configILj256ELj13ELNS0_17block_load_methodE3ELS4_3ELS4_3ELNS0_20block_scan_algorithmE0ELj4294967295EEENS1_25partition_config_selectorILNS1_17partition_subalgoE3EjNS0_10empty_typeEbEEZZNS1_14partition_implILS8_3ELb0ES6_jNS0_17counting_iteratorIjlEEPS9_SE_NS0_5tupleIJPjSE_EEENSF_IJSE_SE_EEES9_SG_JZNS1_25segmented_radix_sort_implINS0_14default_configELb1EPKsPsPKlPlN2at6native12_GLOBAL__N_18offset_tEEE10hipError_tPvRmT1_PNSt15iterator_traitsISY_E10value_typeET2_T3_PNSZ_IS14_E10value_typeET4_jRbjT5_S1A_jjP12ihipStream_tbEUljE_EEESV_SW_SX_S14_S18_S1A_T6_T7_T9_mT8_S1C_bDpT10_ENKUlT_T0_E_clISt17integral_constantIbLb1EES1O_IbLb0EEEEDaS1K_S1L_EUlS1K_E_NS1_11comp_targetILNS1_3genE2ELNS1_11target_archE906ELNS1_3gpuE6ELNS1_3repE0EEENS1_30default_config_static_selectorELNS0_4arch9wavefront6targetE0EEEvSY_
    .private_segment_fixed_size: 0
    .sgpr_count:     0
    .sgpr_spill_count: 0
    .symbol:         _ZN7rocprim17ROCPRIM_400000_NS6detail17trampoline_kernelINS0_13select_configILj256ELj13ELNS0_17block_load_methodE3ELS4_3ELS4_3ELNS0_20block_scan_algorithmE0ELj4294967295EEENS1_25partition_config_selectorILNS1_17partition_subalgoE3EjNS0_10empty_typeEbEEZZNS1_14partition_implILS8_3ELb0ES6_jNS0_17counting_iteratorIjlEEPS9_SE_NS0_5tupleIJPjSE_EEENSF_IJSE_SE_EEES9_SG_JZNS1_25segmented_radix_sort_implINS0_14default_configELb1EPKsPsPKlPlN2at6native12_GLOBAL__N_18offset_tEEE10hipError_tPvRmT1_PNSt15iterator_traitsISY_E10value_typeET2_T3_PNSZ_IS14_E10value_typeET4_jRbjT5_S1A_jjP12ihipStream_tbEUljE_EEESV_SW_SX_S14_S18_S1A_T6_T7_T9_mT8_S1C_bDpT10_ENKUlT_T0_E_clISt17integral_constantIbLb1EES1O_IbLb0EEEEDaS1K_S1L_EUlS1K_E_NS1_11comp_targetILNS1_3genE2ELNS1_11target_archE906ELNS1_3gpuE6ELNS1_3repE0EEENS1_30default_config_static_selectorELNS0_4arch9wavefront6targetE0EEEvSY_.kd
    .uniform_work_group_size: 1
    .uses_dynamic_stack: false
    .vgpr_count:     0
    .vgpr_spill_count: 0
    .wavefront_size: 32
    .workgroup_processor_mode: 1
  - .args:
      - .offset:         0
        .size:           144
        .value_kind:     by_value
    .group_segment_fixed_size: 0
    .kernarg_segment_align: 8
    .kernarg_segment_size: 144
    .language:       OpenCL C
    .language_version:
      - 2
      - 0
    .max_flat_workgroup_size: 256
    .name:           _ZN7rocprim17ROCPRIM_400000_NS6detail17trampoline_kernelINS0_13select_configILj256ELj13ELNS0_17block_load_methodE3ELS4_3ELS4_3ELNS0_20block_scan_algorithmE0ELj4294967295EEENS1_25partition_config_selectorILNS1_17partition_subalgoE3EjNS0_10empty_typeEbEEZZNS1_14partition_implILS8_3ELb0ES6_jNS0_17counting_iteratorIjlEEPS9_SE_NS0_5tupleIJPjSE_EEENSF_IJSE_SE_EEES9_SG_JZNS1_25segmented_radix_sort_implINS0_14default_configELb1EPKsPsPKlPlN2at6native12_GLOBAL__N_18offset_tEEE10hipError_tPvRmT1_PNSt15iterator_traitsISY_E10value_typeET2_T3_PNSZ_IS14_E10value_typeET4_jRbjT5_S1A_jjP12ihipStream_tbEUljE_EEESV_SW_SX_S14_S18_S1A_T6_T7_T9_mT8_S1C_bDpT10_ENKUlT_T0_E_clISt17integral_constantIbLb1EES1O_IbLb0EEEEDaS1K_S1L_EUlS1K_E_NS1_11comp_targetILNS1_3genE10ELNS1_11target_archE1200ELNS1_3gpuE4ELNS1_3repE0EEENS1_30default_config_static_selectorELNS0_4arch9wavefront6targetE0EEEvSY_
    .private_segment_fixed_size: 0
    .sgpr_count:     0
    .sgpr_spill_count: 0
    .symbol:         _ZN7rocprim17ROCPRIM_400000_NS6detail17trampoline_kernelINS0_13select_configILj256ELj13ELNS0_17block_load_methodE3ELS4_3ELS4_3ELNS0_20block_scan_algorithmE0ELj4294967295EEENS1_25partition_config_selectorILNS1_17partition_subalgoE3EjNS0_10empty_typeEbEEZZNS1_14partition_implILS8_3ELb0ES6_jNS0_17counting_iteratorIjlEEPS9_SE_NS0_5tupleIJPjSE_EEENSF_IJSE_SE_EEES9_SG_JZNS1_25segmented_radix_sort_implINS0_14default_configELb1EPKsPsPKlPlN2at6native12_GLOBAL__N_18offset_tEEE10hipError_tPvRmT1_PNSt15iterator_traitsISY_E10value_typeET2_T3_PNSZ_IS14_E10value_typeET4_jRbjT5_S1A_jjP12ihipStream_tbEUljE_EEESV_SW_SX_S14_S18_S1A_T6_T7_T9_mT8_S1C_bDpT10_ENKUlT_T0_E_clISt17integral_constantIbLb1EES1O_IbLb0EEEEDaS1K_S1L_EUlS1K_E_NS1_11comp_targetILNS1_3genE10ELNS1_11target_archE1200ELNS1_3gpuE4ELNS1_3repE0EEENS1_30default_config_static_selectorELNS0_4arch9wavefront6targetE0EEEvSY_.kd
    .uniform_work_group_size: 1
    .uses_dynamic_stack: false
    .vgpr_count:     0
    .vgpr_spill_count: 0
    .wavefront_size: 32
    .workgroup_processor_mode: 1
  - .args:
      - .offset:         0
        .size:           144
        .value_kind:     by_value
    .group_segment_fixed_size: 13324
    .kernarg_segment_align: 8
    .kernarg_segment_size: 144
    .language:       OpenCL C
    .language_version:
      - 2
      - 0
    .max_flat_workgroup_size: 256
    .name:           _ZN7rocprim17ROCPRIM_400000_NS6detail17trampoline_kernelINS0_13select_configILj256ELj13ELNS0_17block_load_methodE3ELS4_3ELS4_3ELNS0_20block_scan_algorithmE0ELj4294967295EEENS1_25partition_config_selectorILNS1_17partition_subalgoE3EjNS0_10empty_typeEbEEZZNS1_14partition_implILS8_3ELb0ES6_jNS0_17counting_iteratorIjlEEPS9_SE_NS0_5tupleIJPjSE_EEENSF_IJSE_SE_EEES9_SG_JZNS1_25segmented_radix_sort_implINS0_14default_configELb1EPKsPsPKlPlN2at6native12_GLOBAL__N_18offset_tEEE10hipError_tPvRmT1_PNSt15iterator_traitsISY_E10value_typeET2_T3_PNSZ_IS14_E10value_typeET4_jRbjT5_S1A_jjP12ihipStream_tbEUljE_EEESV_SW_SX_S14_S18_S1A_T6_T7_T9_mT8_S1C_bDpT10_ENKUlT_T0_E_clISt17integral_constantIbLb1EES1O_IbLb0EEEEDaS1K_S1L_EUlS1K_E_NS1_11comp_targetILNS1_3genE9ELNS1_11target_archE1100ELNS1_3gpuE3ELNS1_3repE0EEENS1_30default_config_static_selectorELNS0_4arch9wavefront6targetE0EEEvSY_
    .private_segment_fixed_size: 0
    .sgpr_count:     30
    .sgpr_spill_count: 0
    .symbol:         _ZN7rocprim17ROCPRIM_400000_NS6detail17trampoline_kernelINS0_13select_configILj256ELj13ELNS0_17block_load_methodE3ELS4_3ELS4_3ELNS0_20block_scan_algorithmE0ELj4294967295EEENS1_25partition_config_selectorILNS1_17partition_subalgoE3EjNS0_10empty_typeEbEEZZNS1_14partition_implILS8_3ELb0ES6_jNS0_17counting_iteratorIjlEEPS9_SE_NS0_5tupleIJPjSE_EEENSF_IJSE_SE_EEES9_SG_JZNS1_25segmented_radix_sort_implINS0_14default_configELb1EPKsPsPKlPlN2at6native12_GLOBAL__N_18offset_tEEE10hipError_tPvRmT1_PNSt15iterator_traitsISY_E10value_typeET2_T3_PNSZ_IS14_E10value_typeET4_jRbjT5_S1A_jjP12ihipStream_tbEUljE_EEESV_SW_SX_S14_S18_S1A_T6_T7_T9_mT8_S1C_bDpT10_ENKUlT_T0_E_clISt17integral_constantIbLb1EES1O_IbLb0EEEEDaS1K_S1L_EUlS1K_E_NS1_11comp_targetILNS1_3genE9ELNS1_11target_archE1100ELNS1_3gpuE3ELNS1_3repE0EEENS1_30default_config_static_selectorELNS0_4arch9wavefront6targetE0EEEvSY_.kd
    .uniform_work_group_size: 1
    .uses_dynamic_stack: false
    .vgpr_count:     57
    .vgpr_spill_count: 0
    .wavefront_size: 32
    .workgroup_processor_mode: 1
  - .args:
      - .offset:         0
        .size:           144
        .value_kind:     by_value
    .group_segment_fixed_size: 0
    .kernarg_segment_align: 8
    .kernarg_segment_size: 144
    .language:       OpenCL C
    .language_version:
      - 2
      - 0
    .max_flat_workgroup_size: 256
    .name:           _ZN7rocprim17ROCPRIM_400000_NS6detail17trampoline_kernelINS0_13select_configILj256ELj13ELNS0_17block_load_methodE3ELS4_3ELS4_3ELNS0_20block_scan_algorithmE0ELj4294967295EEENS1_25partition_config_selectorILNS1_17partition_subalgoE3EjNS0_10empty_typeEbEEZZNS1_14partition_implILS8_3ELb0ES6_jNS0_17counting_iteratorIjlEEPS9_SE_NS0_5tupleIJPjSE_EEENSF_IJSE_SE_EEES9_SG_JZNS1_25segmented_radix_sort_implINS0_14default_configELb1EPKsPsPKlPlN2at6native12_GLOBAL__N_18offset_tEEE10hipError_tPvRmT1_PNSt15iterator_traitsISY_E10value_typeET2_T3_PNSZ_IS14_E10value_typeET4_jRbjT5_S1A_jjP12ihipStream_tbEUljE_EEESV_SW_SX_S14_S18_S1A_T6_T7_T9_mT8_S1C_bDpT10_ENKUlT_T0_E_clISt17integral_constantIbLb1EES1O_IbLb0EEEEDaS1K_S1L_EUlS1K_E_NS1_11comp_targetILNS1_3genE8ELNS1_11target_archE1030ELNS1_3gpuE2ELNS1_3repE0EEENS1_30default_config_static_selectorELNS0_4arch9wavefront6targetE0EEEvSY_
    .private_segment_fixed_size: 0
    .sgpr_count:     0
    .sgpr_spill_count: 0
    .symbol:         _ZN7rocprim17ROCPRIM_400000_NS6detail17trampoline_kernelINS0_13select_configILj256ELj13ELNS0_17block_load_methodE3ELS4_3ELS4_3ELNS0_20block_scan_algorithmE0ELj4294967295EEENS1_25partition_config_selectorILNS1_17partition_subalgoE3EjNS0_10empty_typeEbEEZZNS1_14partition_implILS8_3ELb0ES6_jNS0_17counting_iteratorIjlEEPS9_SE_NS0_5tupleIJPjSE_EEENSF_IJSE_SE_EEES9_SG_JZNS1_25segmented_radix_sort_implINS0_14default_configELb1EPKsPsPKlPlN2at6native12_GLOBAL__N_18offset_tEEE10hipError_tPvRmT1_PNSt15iterator_traitsISY_E10value_typeET2_T3_PNSZ_IS14_E10value_typeET4_jRbjT5_S1A_jjP12ihipStream_tbEUljE_EEESV_SW_SX_S14_S18_S1A_T6_T7_T9_mT8_S1C_bDpT10_ENKUlT_T0_E_clISt17integral_constantIbLb1EES1O_IbLb0EEEEDaS1K_S1L_EUlS1K_E_NS1_11comp_targetILNS1_3genE8ELNS1_11target_archE1030ELNS1_3gpuE2ELNS1_3repE0EEENS1_30default_config_static_selectorELNS0_4arch9wavefront6targetE0EEEvSY_.kd
    .uniform_work_group_size: 1
    .uses_dynamic_stack: false
    .vgpr_count:     0
    .vgpr_spill_count: 0
    .wavefront_size: 32
    .workgroup_processor_mode: 1
  - .args:
      - .offset:         0
        .size:           152
        .value_kind:     by_value
    .group_segment_fixed_size: 0
    .kernarg_segment_align: 8
    .kernarg_segment_size: 152
    .language:       OpenCL C
    .language_version:
      - 2
      - 0
    .max_flat_workgroup_size: 256
    .name:           _ZN7rocprim17ROCPRIM_400000_NS6detail17trampoline_kernelINS0_13select_configILj256ELj13ELNS0_17block_load_methodE3ELS4_3ELS4_3ELNS0_20block_scan_algorithmE0ELj4294967295EEENS1_25partition_config_selectorILNS1_17partition_subalgoE3EjNS0_10empty_typeEbEEZZNS1_14partition_implILS8_3ELb0ES6_jNS0_17counting_iteratorIjlEEPS9_SE_NS0_5tupleIJPjSE_EEENSF_IJSE_SE_EEES9_SG_JZNS1_25segmented_radix_sort_implINS0_14default_configELb1EPKsPsPKlPlN2at6native12_GLOBAL__N_18offset_tEEE10hipError_tPvRmT1_PNSt15iterator_traitsISY_E10value_typeET2_T3_PNSZ_IS14_E10value_typeET4_jRbjT5_S1A_jjP12ihipStream_tbEUljE_EEESV_SW_SX_S14_S18_S1A_T6_T7_T9_mT8_S1C_bDpT10_ENKUlT_T0_E_clISt17integral_constantIbLb0EES1O_IbLb1EEEEDaS1K_S1L_EUlS1K_E_NS1_11comp_targetILNS1_3genE0ELNS1_11target_archE4294967295ELNS1_3gpuE0ELNS1_3repE0EEENS1_30default_config_static_selectorELNS0_4arch9wavefront6targetE0EEEvSY_
    .private_segment_fixed_size: 0
    .sgpr_count:     0
    .sgpr_spill_count: 0
    .symbol:         _ZN7rocprim17ROCPRIM_400000_NS6detail17trampoline_kernelINS0_13select_configILj256ELj13ELNS0_17block_load_methodE3ELS4_3ELS4_3ELNS0_20block_scan_algorithmE0ELj4294967295EEENS1_25partition_config_selectorILNS1_17partition_subalgoE3EjNS0_10empty_typeEbEEZZNS1_14partition_implILS8_3ELb0ES6_jNS0_17counting_iteratorIjlEEPS9_SE_NS0_5tupleIJPjSE_EEENSF_IJSE_SE_EEES9_SG_JZNS1_25segmented_radix_sort_implINS0_14default_configELb1EPKsPsPKlPlN2at6native12_GLOBAL__N_18offset_tEEE10hipError_tPvRmT1_PNSt15iterator_traitsISY_E10value_typeET2_T3_PNSZ_IS14_E10value_typeET4_jRbjT5_S1A_jjP12ihipStream_tbEUljE_EEESV_SW_SX_S14_S18_S1A_T6_T7_T9_mT8_S1C_bDpT10_ENKUlT_T0_E_clISt17integral_constantIbLb0EES1O_IbLb1EEEEDaS1K_S1L_EUlS1K_E_NS1_11comp_targetILNS1_3genE0ELNS1_11target_archE4294967295ELNS1_3gpuE0ELNS1_3repE0EEENS1_30default_config_static_selectorELNS0_4arch9wavefront6targetE0EEEvSY_.kd
    .uniform_work_group_size: 1
    .uses_dynamic_stack: false
    .vgpr_count:     0
    .vgpr_spill_count: 0
    .wavefront_size: 32
    .workgroup_processor_mode: 1
  - .args:
      - .offset:         0
        .size:           152
        .value_kind:     by_value
    .group_segment_fixed_size: 0
    .kernarg_segment_align: 8
    .kernarg_segment_size: 152
    .language:       OpenCL C
    .language_version:
      - 2
      - 0
    .max_flat_workgroup_size: 256
    .name:           _ZN7rocprim17ROCPRIM_400000_NS6detail17trampoline_kernelINS0_13select_configILj256ELj13ELNS0_17block_load_methodE3ELS4_3ELS4_3ELNS0_20block_scan_algorithmE0ELj4294967295EEENS1_25partition_config_selectorILNS1_17partition_subalgoE3EjNS0_10empty_typeEbEEZZNS1_14partition_implILS8_3ELb0ES6_jNS0_17counting_iteratorIjlEEPS9_SE_NS0_5tupleIJPjSE_EEENSF_IJSE_SE_EEES9_SG_JZNS1_25segmented_radix_sort_implINS0_14default_configELb1EPKsPsPKlPlN2at6native12_GLOBAL__N_18offset_tEEE10hipError_tPvRmT1_PNSt15iterator_traitsISY_E10value_typeET2_T3_PNSZ_IS14_E10value_typeET4_jRbjT5_S1A_jjP12ihipStream_tbEUljE_EEESV_SW_SX_S14_S18_S1A_T6_T7_T9_mT8_S1C_bDpT10_ENKUlT_T0_E_clISt17integral_constantIbLb0EES1O_IbLb1EEEEDaS1K_S1L_EUlS1K_E_NS1_11comp_targetILNS1_3genE5ELNS1_11target_archE942ELNS1_3gpuE9ELNS1_3repE0EEENS1_30default_config_static_selectorELNS0_4arch9wavefront6targetE0EEEvSY_
    .private_segment_fixed_size: 0
    .sgpr_count:     0
    .sgpr_spill_count: 0
    .symbol:         _ZN7rocprim17ROCPRIM_400000_NS6detail17trampoline_kernelINS0_13select_configILj256ELj13ELNS0_17block_load_methodE3ELS4_3ELS4_3ELNS0_20block_scan_algorithmE0ELj4294967295EEENS1_25partition_config_selectorILNS1_17partition_subalgoE3EjNS0_10empty_typeEbEEZZNS1_14partition_implILS8_3ELb0ES6_jNS0_17counting_iteratorIjlEEPS9_SE_NS0_5tupleIJPjSE_EEENSF_IJSE_SE_EEES9_SG_JZNS1_25segmented_radix_sort_implINS0_14default_configELb1EPKsPsPKlPlN2at6native12_GLOBAL__N_18offset_tEEE10hipError_tPvRmT1_PNSt15iterator_traitsISY_E10value_typeET2_T3_PNSZ_IS14_E10value_typeET4_jRbjT5_S1A_jjP12ihipStream_tbEUljE_EEESV_SW_SX_S14_S18_S1A_T6_T7_T9_mT8_S1C_bDpT10_ENKUlT_T0_E_clISt17integral_constantIbLb0EES1O_IbLb1EEEEDaS1K_S1L_EUlS1K_E_NS1_11comp_targetILNS1_3genE5ELNS1_11target_archE942ELNS1_3gpuE9ELNS1_3repE0EEENS1_30default_config_static_selectorELNS0_4arch9wavefront6targetE0EEEvSY_.kd
    .uniform_work_group_size: 1
    .uses_dynamic_stack: false
    .vgpr_count:     0
    .vgpr_spill_count: 0
    .wavefront_size: 32
    .workgroup_processor_mode: 1
  - .args:
      - .offset:         0
        .size:           152
        .value_kind:     by_value
    .group_segment_fixed_size: 0
    .kernarg_segment_align: 8
    .kernarg_segment_size: 152
    .language:       OpenCL C
    .language_version:
      - 2
      - 0
    .max_flat_workgroup_size: 256
    .name:           _ZN7rocprim17ROCPRIM_400000_NS6detail17trampoline_kernelINS0_13select_configILj256ELj13ELNS0_17block_load_methodE3ELS4_3ELS4_3ELNS0_20block_scan_algorithmE0ELj4294967295EEENS1_25partition_config_selectorILNS1_17partition_subalgoE3EjNS0_10empty_typeEbEEZZNS1_14partition_implILS8_3ELb0ES6_jNS0_17counting_iteratorIjlEEPS9_SE_NS0_5tupleIJPjSE_EEENSF_IJSE_SE_EEES9_SG_JZNS1_25segmented_radix_sort_implINS0_14default_configELb1EPKsPsPKlPlN2at6native12_GLOBAL__N_18offset_tEEE10hipError_tPvRmT1_PNSt15iterator_traitsISY_E10value_typeET2_T3_PNSZ_IS14_E10value_typeET4_jRbjT5_S1A_jjP12ihipStream_tbEUljE_EEESV_SW_SX_S14_S18_S1A_T6_T7_T9_mT8_S1C_bDpT10_ENKUlT_T0_E_clISt17integral_constantIbLb0EES1O_IbLb1EEEEDaS1K_S1L_EUlS1K_E_NS1_11comp_targetILNS1_3genE4ELNS1_11target_archE910ELNS1_3gpuE8ELNS1_3repE0EEENS1_30default_config_static_selectorELNS0_4arch9wavefront6targetE0EEEvSY_
    .private_segment_fixed_size: 0
    .sgpr_count:     0
    .sgpr_spill_count: 0
    .symbol:         _ZN7rocprim17ROCPRIM_400000_NS6detail17trampoline_kernelINS0_13select_configILj256ELj13ELNS0_17block_load_methodE3ELS4_3ELS4_3ELNS0_20block_scan_algorithmE0ELj4294967295EEENS1_25partition_config_selectorILNS1_17partition_subalgoE3EjNS0_10empty_typeEbEEZZNS1_14partition_implILS8_3ELb0ES6_jNS0_17counting_iteratorIjlEEPS9_SE_NS0_5tupleIJPjSE_EEENSF_IJSE_SE_EEES9_SG_JZNS1_25segmented_radix_sort_implINS0_14default_configELb1EPKsPsPKlPlN2at6native12_GLOBAL__N_18offset_tEEE10hipError_tPvRmT1_PNSt15iterator_traitsISY_E10value_typeET2_T3_PNSZ_IS14_E10value_typeET4_jRbjT5_S1A_jjP12ihipStream_tbEUljE_EEESV_SW_SX_S14_S18_S1A_T6_T7_T9_mT8_S1C_bDpT10_ENKUlT_T0_E_clISt17integral_constantIbLb0EES1O_IbLb1EEEEDaS1K_S1L_EUlS1K_E_NS1_11comp_targetILNS1_3genE4ELNS1_11target_archE910ELNS1_3gpuE8ELNS1_3repE0EEENS1_30default_config_static_selectorELNS0_4arch9wavefront6targetE0EEEvSY_.kd
    .uniform_work_group_size: 1
    .uses_dynamic_stack: false
    .vgpr_count:     0
    .vgpr_spill_count: 0
    .wavefront_size: 32
    .workgroup_processor_mode: 1
  - .args:
      - .offset:         0
        .size:           152
        .value_kind:     by_value
    .group_segment_fixed_size: 0
    .kernarg_segment_align: 8
    .kernarg_segment_size: 152
    .language:       OpenCL C
    .language_version:
      - 2
      - 0
    .max_flat_workgroup_size: 256
    .name:           _ZN7rocprim17ROCPRIM_400000_NS6detail17trampoline_kernelINS0_13select_configILj256ELj13ELNS0_17block_load_methodE3ELS4_3ELS4_3ELNS0_20block_scan_algorithmE0ELj4294967295EEENS1_25partition_config_selectorILNS1_17partition_subalgoE3EjNS0_10empty_typeEbEEZZNS1_14partition_implILS8_3ELb0ES6_jNS0_17counting_iteratorIjlEEPS9_SE_NS0_5tupleIJPjSE_EEENSF_IJSE_SE_EEES9_SG_JZNS1_25segmented_radix_sort_implINS0_14default_configELb1EPKsPsPKlPlN2at6native12_GLOBAL__N_18offset_tEEE10hipError_tPvRmT1_PNSt15iterator_traitsISY_E10value_typeET2_T3_PNSZ_IS14_E10value_typeET4_jRbjT5_S1A_jjP12ihipStream_tbEUljE_EEESV_SW_SX_S14_S18_S1A_T6_T7_T9_mT8_S1C_bDpT10_ENKUlT_T0_E_clISt17integral_constantIbLb0EES1O_IbLb1EEEEDaS1K_S1L_EUlS1K_E_NS1_11comp_targetILNS1_3genE3ELNS1_11target_archE908ELNS1_3gpuE7ELNS1_3repE0EEENS1_30default_config_static_selectorELNS0_4arch9wavefront6targetE0EEEvSY_
    .private_segment_fixed_size: 0
    .sgpr_count:     0
    .sgpr_spill_count: 0
    .symbol:         _ZN7rocprim17ROCPRIM_400000_NS6detail17trampoline_kernelINS0_13select_configILj256ELj13ELNS0_17block_load_methodE3ELS4_3ELS4_3ELNS0_20block_scan_algorithmE0ELj4294967295EEENS1_25partition_config_selectorILNS1_17partition_subalgoE3EjNS0_10empty_typeEbEEZZNS1_14partition_implILS8_3ELb0ES6_jNS0_17counting_iteratorIjlEEPS9_SE_NS0_5tupleIJPjSE_EEENSF_IJSE_SE_EEES9_SG_JZNS1_25segmented_radix_sort_implINS0_14default_configELb1EPKsPsPKlPlN2at6native12_GLOBAL__N_18offset_tEEE10hipError_tPvRmT1_PNSt15iterator_traitsISY_E10value_typeET2_T3_PNSZ_IS14_E10value_typeET4_jRbjT5_S1A_jjP12ihipStream_tbEUljE_EEESV_SW_SX_S14_S18_S1A_T6_T7_T9_mT8_S1C_bDpT10_ENKUlT_T0_E_clISt17integral_constantIbLb0EES1O_IbLb1EEEEDaS1K_S1L_EUlS1K_E_NS1_11comp_targetILNS1_3genE3ELNS1_11target_archE908ELNS1_3gpuE7ELNS1_3repE0EEENS1_30default_config_static_selectorELNS0_4arch9wavefront6targetE0EEEvSY_.kd
    .uniform_work_group_size: 1
    .uses_dynamic_stack: false
    .vgpr_count:     0
    .vgpr_spill_count: 0
    .wavefront_size: 32
    .workgroup_processor_mode: 1
  - .args:
      - .offset:         0
        .size:           152
        .value_kind:     by_value
    .group_segment_fixed_size: 0
    .kernarg_segment_align: 8
    .kernarg_segment_size: 152
    .language:       OpenCL C
    .language_version:
      - 2
      - 0
    .max_flat_workgroup_size: 256
    .name:           _ZN7rocprim17ROCPRIM_400000_NS6detail17trampoline_kernelINS0_13select_configILj256ELj13ELNS0_17block_load_methodE3ELS4_3ELS4_3ELNS0_20block_scan_algorithmE0ELj4294967295EEENS1_25partition_config_selectorILNS1_17partition_subalgoE3EjNS0_10empty_typeEbEEZZNS1_14partition_implILS8_3ELb0ES6_jNS0_17counting_iteratorIjlEEPS9_SE_NS0_5tupleIJPjSE_EEENSF_IJSE_SE_EEES9_SG_JZNS1_25segmented_radix_sort_implINS0_14default_configELb1EPKsPsPKlPlN2at6native12_GLOBAL__N_18offset_tEEE10hipError_tPvRmT1_PNSt15iterator_traitsISY_E10value_typeET2_T3_PNSZ_IS14_E10value_typeET4_jRbjT5_S1A_jjP12ihipStream_tbEUljE_EEESV_SW_SX_S14_S18_S1A_T6_T7_T9_mT8_S1C_bDpT10_ENKUlT_T0_E_clISt17integral_constantIbLb0EES1O_IbLb1EEEEDaS1K_S1L_EUlS1K_E_NS1_11comp_targetILNS1_3genE2ELNS1_11target_archE906ELNS1_3gpuE6ELNS1_3repE0EEENS1_30default_config_static_selectorELNS0_4arch9wavefront6targetE0EEEvSY_
    .private_segment_fixed_size: 0
    .sgpr_count:     0
    .sgpr_spill_count: 0
    .symbol:         _ZN7rocprim17ROCPRIM_400000_NS6detail17trampoline_kernelINS0_13select_configILj256ELj13ELNS0_17block_load_methodE3ELS4_3ELS4_3ELNS0_20block_scan_algorithmE0ELj4294967295EEENS1_25partition_config_selectorILNS1_17partition_subalgoE3EjNS0_10empty_typeEbEEZZNS1_14partition_implILS8_3ELb0ES6_jNS0_17counting_iteratorIjlEEPS9_SE_NS0_5tupleIJPjSE_EEENSF_IJSE_SE_EEES9_SG_JZNS1_25segmented_radix_sort_implINS0_14default_configELb1EPKsPsPKlPlN2at6native12_GLOBAL__N_18offset_tEEE10hipError_tPvRmT1_PNSt15iterator_traitsISY_E10value_typeET2_T3_PNSZ_IS14_E10value_typeET4_jRbjT5_S1A_jjP12ihipStream_tbEUljE_EEESV_SW_SX_S14_S18_S1A_T6_T7_T9_mT8_S1C_bDpT10_ENKUlT_T0_E_clISt17integral_constantIbLb0EES1O_IbLb1EEEEDaS1K_S1L_EUlS1K_E_NS1_11comp_targetILNS1_3genE2ELNS1_11target_archE906ELNS1_3gpuE6ELNS1_3repE0EEENS1_30default_config_static_selectorELNS0_4arch9wavefront6targetE0EEEvSY_.kd
    .uniform_work_group_size: 1
    .uses_dynamic_stack: false
    .vgpr_count:     0
    .vgpr_spill_count: 0
    .wavefront_size: 32
    .workgroup_processor_mode: 1
  - .args:
      - .offset:         0
        .size:           152
        .value_kind:     by_value
    .group_segment_fixed_size: 0
    .kernarg_segment_align: 8
    .kernarg_segment_size: 152
    .language:       OpenCL C
    .language_version:
      - 2
      - 0
    .max_flat_workgroup_size: 256
    .name:           _ZN7rocprim17ROCPRIM_400000_NS6detail17trampoline_kernelINS0_13select_configILj256ELj13ELNS0_17block_load_methodE3ELS4_3ELS4_3ELNS0_20block_scan_algorithmE0ELj4294967295EEENS1_25partition_config_selectorILNS1_17partition_subalgoE3EjNS0_10empty_typeEbEEZZNS1_14partition_implILS8_3ELb0ES6_jNS0_17counting_iteratorIjlEEPS9_SE_NS0_5tupleIJPjSE_EEENSF_IJSE_SE_EEES9_SG_JZNS1_25segmented_radix_sort_implINS0_14default_configELb1EPKsPsPKlPlN2at6native12_GLOBAL__N_18offset_tEEE10hipError_tPvRmT1_PNSt15iterator_traitsISY_E10value_typeET2_T3_PNSZ_IS14_E10value_typeET4_jRbjT5_S1A_jjP12ihipStream_tbEUljE_EEESV_SW_SX_S14_S18_S1A_T6_T7_T9_mT8_S1C_bDpT10_ENKUlT_T0_E_clISt17integral_constantIbLb0EES1O_IbLb1EEEEDaS1K_S1L_EUlS1K_E_NS1_11comp_targetILNS1_3genE10ELNS1_11target_archE1200ELNS1_3gpuE4ELNS1_3repE0EEENS1_30default_config_static_selectorELNS0_4arch9wavefront6targetE0EEEvSY_
    .private_segment_fixed_size: 0
    .sgpr_count:     0
    .sgpr_spill_count: 0
    .symbol:         _ZN7rocprim17ROCPRIM_400000_NS6detail17trampoline_kernelINS0_13select_configILj256ELj13ELNS0_17block_load_methodE3ELS4_3ELS4_3ELNS0_20block_scan_algorithmE0ELj4294967295EEENS1_25partition_config_selectorILNS1_17partition_subalgoE3EjNS0_10empty_typeEbEEZZNS1_14partition_implILS8_3ELb0ES6_jNS0_17counting_iteratorIjlEEPS9_SE_NS0_5tupleIJPjSE_EEENSF_IJSE_SE_EEES9_SG_JZNS1_25segmented_radix_sort_implINS0_14default_configELb1EPKsPsPKlPlN2at6native12_GLOBAL__N_18offset_tEEE10hipError_tPvRmT1_PNSt15iterator_traitsISY_E10value_typeET2_T3_PNSZ_IS14_E10value_typeET4_jRbjT5_S1A_jjP12ihipStream_tbEUljE_EEESV_SW_SX_S14_S18_S1A_T6_T7_T9_mT8_S1C_bDpT10_ENKUlT_T0_E_clISt17integral_constantIbLb0EES1O_IbLb1EEEEDaS1K_S1L_EUlS1K_E_NS1_11comp_targetILNS1_3genE10ELNS1_11target_archE1200ELNS1_3gpuE4ELNS1_3repE0EEENS1_30default_config_static_selectorELNS0_4arch9wavefront6targetE0EEEvSY_.kd
    .uniform_work_group_size: 1
    .uses_dynamic_stack: false
    .vgpr_count:     0
    .vgpr_spill_count: 0
    .wavefront_size: 32
    .workgroup_processor_mode: 1
  - .args:
      - .offset:         0
        .size:           152
        .value_kind:     by_value
    .group_segment_fixed_size: 13324
    .kernarg_segment_align: 8
    .kernarg_segment_size: 152
    .language:       OpenCL C
    .language_version:
      - 2
      - 0
    .max_flat_workgroup_size: 256
    .name:           _ZN7rocprim17ROCPRIM_400000_NS6detail17trampoline_kernelINS0_13select_configILj256ELj13ELNS0_17block_load_methodE3ELS4_3ELS4_3ELNS0_20block_scan_algorithmE0ELj4294967295EEENS1_25partition_config_selectorILNS1_17partition_subalgoE3EjNS0_10empty_typeEbEEZZNS1_14partition_implILS8_3ELb0ES6_jNS0_17counting_iteratorIjlEEPS9_SE_NS0_5tupleIJPjSE_EEENSF_IJSE_SE_EEES9_SG_JZNS1_25segmented_radix_sort_implINS0_14default_configELb1EPKsPsPKlPlN2at6native12_GLOBAL__N_18offset_tEEE10hipError_tPvRmT1_PNSt15iterator_traitsISY_E10value_typeET2_T3_PNSZ_IS14_E10value_typeET4_jRbjT5_S1A_jjP12ihipStream_tbEUljE_EEESV_SW_SX_S14_S18_S1A_T6_T7_T9_mT8_S1C_bDpT10_ENKUlT_T0_E_clISt17integral_constantIbLb0EES1O_IbLb1EEEEDaS1K_S1L_EUlS1K_E_NS1_11comp_targetILNS1_3genE9ELNS1_11target_archE1100ELNS1_3gpuE3ELNS1_3repE0EEENS1_30default_config_static_selectorELNS0_4arch9wavefront6targetE0EEEvSY_
    .private_segment_fixed_size: 0
    .sgpr_count:     28
    .sgpr_spill_count: 0
    .symbol:         _ZN7rocprim17ROCPRIM_400000_NS6detail17trampoline_kernelINS0_13select_configILj256ELj13ELNS0_17block_load_methodE3ELS4_3ELS4_3ELNS0_20block_scan_algorithmE0ELj4294967295EEENS1_25partition_config_selectorILNS1_17partition_subalgoE3EjNS0_10empty_typeEbEEZZNS1_14partition_implILS8_3ELb0ES6_jNS0_17counting_iteratorIjlEEPS9_SE_NS0_5tupleIJPjSE_EEENSF_IJSE_SE_EEES9_SG_JZNS1_25segmented_radix_sort_implINS0_14default_configELb1EPKsPsPKlPlN2at6native12_GLOBAL__N_18offset_tEEE10hipError_tPvRmT1_PNSt15iterator_traitsISY_E10value_typeET2_T3_PNSZ_IS14_E10value_typeET4_jRbjT5_S1A_jjP12ihipStream_tbEUljE_EEESV_SW_SX_S14_S18_S1A_T6_T7_T9_mT8_S1C_bDpT10_ENKUlT_T0_E_clISt17integral_constantIbLb0EES1O_IbLb1EEEEDaS1K_S1L_EUlS1K_E_NS1_11comp_targetILNS1_3genE9ELNS1_11target_archE1100ELNS1_3gpuE3ELNS1_3repE0EEENS1_30default_config_static_selectorELNS0_4arch9wavefront6targetE0EEEvSY_.kd
    .uniform_work_group_size: 1
    .uses_dynamic_stack: false
    .vgpr_count:     60
    .vgpr_spill_count: 0
    .wavefront_size: 32
    .workgroup_processor_mode: 1
  - .args:
      - .offset:         0
        .size:           152
        .value_kind:     by_value
    .group_segment_fixed_size: 0
    .kernarg_segment_align: 8
    .kernarg_segment_size: 152
    .language:       OpenCL C
    .language_version:
      - 2
      - 0
    .max_flat_workgroup_size: 256
    .name:           _ZN7rocprim17ROCPRIM_400000_NS6detail17trampoline_kernelINS0_13select_configILj256ELj13ELNS0_17block_load_methodE3ELS4_3ELS4_3ELNS0_20block_scan_algorithmE0ELj4294967295EEENS1_25partition_config_selectorILNS1_17partition_subalgoE3EjNS0_10empty_typeEbEEZZNS1_14partition_implILS8_3ELb0ES6_jNS0_17counting_iteratorIjlEEPS9_SE_NS0_5tupleIJPjSE_EEENSF_IJSE_SE_EEES9_SG_JZNS1_25segmented_radix_sort_implINS0_14default_configELb1EPKsPsPKlPlN2at6native12_GLOBAL__N_18offset_tEEE10hipError_tPvRmT1_PNSt15iterator_traitsISY_E10value_typeET2_T3_PNSZ_IS14_E10value_typeET4_jRbjT5_S1A_jjP12ihipStream_tbEUljE_EEESV_SW_SX_S14_S18_S1A_T6_T7_T9_mT8_S1C_bDpT10_ENKUlT_T0_E_clISt17integral_constantIbLb0EES1O_IbLb1EEEEDaS1K_S1L_EUlS1K_E_NS1_11comp_targetILNS1_3genE8ELNS1_11target_archE1030ELNS1_3gpuE2ELNS1_3repE0EEENS1_30default_config_static_selectorELNS0_4arch9wavefront6targetE0EEEvSY_
    .private_segment_fixed_size: 0
    .sgpr_count:     0
    .sgpr_spill_count: 0
    .symbol:         _ZN7rocprim17ROCPRIM_400000_NS6detail17trampoline_kernelINS0_13select_configILj256ELj13ELNS0_17block_load_methodE3ELS4_3ELS4_3ELNS0_20block_scan_algorithmE0ELj4294967295EEENS1_25partition_config_selectorILNS1_17partition_subalgoE3EjNS0_10empty_typeEbEEZZNS1_14partition_implILS8_3ELb0ES6_jNS0_17counting_iteratorIjlEEPS9_SE_NS0_5tupleIJPjSE_EEENSF_IJSE_SE_EEES9_SG_JZNS1_25segmented_radix_sort_implINS0_14default_configELb1EPKsPsPKlPlN2at6native12_GLOBAL__N_18offset_tEEE10hipError_tPvRmT1_PNSt15iterator_traitsISY_E10value_typeET2_T3_PNSZ_IS14_E10value_typeET4_jRbjT5_S1A_jjP12ihipStream_tbEUljE_EEESV_SW_SX_S14_S18_S1A_T6_T7_T9_mT8_S1C_bDpT10_ENKUlT_T0_E_clISt17integral_constantIbLb0EES1O_IbLb1EEEEDaS1K_S1L_EUlS1K_E_NS1_11comp_targetILNS1_3genE8ELNS1_11target_archE1030ELNS1_3gpuE2ELNS1_3repE0EEENS1_30default_config_static_selectorELNS0_4arch9wavefront6targetE0EEEvSY_.kd
    .uniform_work_group_size: 1
    .uses_dynamic_stack: false
    .vgpr_count:     0
    .vgpr_spill_count: 0
    .wavefront_size: 32
    .workgroup_processor_mode: 1
  - .args:
      - .offset:         0
        .size:           96
        .value_kind:     by_value
    .group_segment_fixed_size: 0
    .kernarg_segment_align: 8
    .kernarg_segment_size: 96
    .language:       OpenCL C
    .language_version:
      - 2
      - 0
    .max_flat_workgroup_size: 256
    .name:           _ZN7rocprim17ROCPRIM_400000_NS6detail17trampoline_kernelINS0_14default_configENS1_36segmented_radix_sort_config_selectorIslEEZNS1_25segmented_radix_sort_implIS3_Lb1EPKsPsPKlPlN2at6native12_GLOBAL__N_18offset_tEEE10hipError_tPvRmT1_PNSt15iterator_traitsISK_E10value_typeET2_T3_PNSL_ISQ_E10value_typeET4_jRbjT5_SW_jjP12ihipStream_tbEUlT_E_NS1_11comp_targetILNS1_3genE0ELNS1_11target_archE4294967295ELNS1_3gpuE0ELNS1_3repE0EEENS1_30default_config_static_selectorELNS0_4arch9wavefront6targetE0EEEvSK_
    .private_segment_fixed_size: 0
    .sgpr_count:     0
    .sgpr_spill_count: 0
    .symbol:         _ZN7rocprim17ROCPRIM_400000_NS6detail17trampoline_kernelINS0_14default_configENS1_36segmented_radix_sort_config_selectorIslEEZNS1_25segmented_radix_sort_implIS3_Lb1EPKsPsPKlPlN2at6native12_GLOBAL__N_18offset_tEEE10hipError_tPvRmT1_PNSt15iterator_traitsISK_E10value_typeET2_T3_PNSL_ISQ_E10value_typeET4_jRbjT5_SW_jjP12ihipStream_tbEUlT_E_NS1_11comp_targetILNS1_3genE0ELNS1_11target_archE4294967295ELNS1_3gpuE0ELNS1_3repE0EEENS1_30default_config_static_selectorELNS0_4arch9wavefront6targetE0EEEvSK_.kd
    .uniform_work_group_size: 1
    .uses_dynamic_stack: false
    .vgpr_count:     0
    .vgpr_spill_count: 0
    .wavefront_size: 32
    .workgroup_processor_mode: 1
  - .args:
      - .offset:         0
        .size:           96
        .value_kind:     by_value
    .group_segment_fixed_size: 0
    .kernarg_segment_align: 8
    .kernarg_segment_size: 96
    .language:       OpenCL C
    .language_version:
      - 2
      - 0
    .max_flat_workgroup_size: 256
    .name:           _ZN7rocprim17ROCPRIM_400000_NS6detail17trampoline_kernelINS0_14default_configENS1_36segmented_radix_sort_config_selectorIslEEZNS1_25segmented_radix_sort_implIS3_Lb1EPKsPsPKlPlN2at6native12_GLOBAL__N_18offset_tEEE10hipError_tPvRmT1_PNSt15iterator_traitsISK_E10value_typeET2_T3_PNSL_ISQ_E10value_typeET4_jRbjT5_SW_jjP12ihipStream_tbEUlT_E_NS1_11comp_targetILNS1_3genE5ELNS1_11target_archE942ELNS1_3gpuE9ELNS1_3repE0EEENS1_30default_config_static_selectorELNS0_4arch9wavefront6targetE0EEEvSK_
    .private_segment_fixed_size: 0
    .sgpr_count:     0
    .sgpr_spill_count: 0
    .symbol:         _ZN7rocprim17ROCPRIM_400000_NS6detail17trampoline_kernelINS0_14default_configENS1_36segmented_radix_sort_config_selectorIslEEZNS1_25segmented_radix_sort_implIS3_Lb1EPKsPsPKlPlN2at6native12_GLOBAL__N_18offset_tEEE10hipError_tPvRmT1_PNSt15iterator_traitsISK_E10value_typeET2_T3_PNSL_ISQ_E10value_typeET4_jRbjT5_SW_jjP12ihipStream_tbEUlT_E_NS1_11comp_targetILNS1_3genE5ELNS1_11target_archE942ELNS1_3gpuE9ELNS1_3repE0EEENS1_30default_config_static_selectorELNS0_4arch9wavefront6targetE0EEEvSK_.kd
    .uniform_work_group_size: 1
    .uses_dynamic_stack: false
    .vgpr_count:     0
    .vgpr_spill_count: 0
    .wavefront_size: 32
    .workgroup_processor_mode: 1
  - .args:
      - .offset:         0
        .size:           96
        .value_kind:     by_value
    .group_segment_fixed_size: 0
    .kernarg_segment_align: 8
    .kernarg_segment_size: 96
    .language:       OpenCL C
    .language_version:
      - 2
      - 0
    .max_flat_workgroup_size: 256
    .name:           _ZN7rocprim17ROCPRIM_400000_NS6detail17trampoline_kernelINS0_14default_configENS1_36segmented_radix_sort_config_selectorIslEEZNS1_25segmented_radix_sort_implIS3_Lb1EPKsPsPKlPlN2at6native12_GLOBAL__N_18offset_tEEE10hipError_tPvRmT1_PNSt15iterator_traitsISK_E10value_typeET2_T3_PNSL_ISQ_E10value_typeET4_jRbjT5_SW_jjP12ihipStream_tbEUlT_E_NS1_11comp_targetILNS1_3genE4ELNS1_11target_archE910ELNS1_3gpuE8ELNS1_3repE0EEENS1_30default_config_static_selectorELNS0_4arch9wavefront6targetE0EEEvSK_
    .private_segment_fixed_size: 0
    .sgpr_count:     0
    .sgpr_spill_count: 0
    .symbol:         _ZN7rocprim17ROCPRIM_400000_NS6detail17trampoline_kernelINS0_14default_configENS1_36segmented_radix_sort_config_selectorIslEEZNS1_25segmented_radix_sort_implIS3_Lb1EPKsPsPKlPlN2at6native12_GLOBAL__N_18offset_tEEE10hipError_tPvRmT1_PNSt15iterator_traitsISK_E10value_typeET2_T3_PNSL_ISQ_E10value_typeET4_jRbjT5_SW_jjP12ihipStream_tbEUlT_E_NS1_11comp_targetILNS1_3genE4ELNS1_11target_archE910ELNS1_3gpuE8ELNS1_3repE0EEENS1_30default_config_static_selectorELNS0_4arch9wavefront6targetE0EEEvSK_.kd
    .uniform_work_group_size: 1
    .uses_dynamic_stack: false
    .vgpr_count:     0
    .vgpr_spill_count: 0
    .wavefront_size: 32
    .workgroup_processor_mode: 1
  - .args:
      - .offset:         0
        .size:           96
        .value_kind:     by_value
    .group_segment_fixed_size: 0
    .kernarg_segment_align: 8
    .kernarg_segment_size: 96
    .language:       OpenCL C
    .language_version:
      - 2
      - 0
    .max_flat_workgroup_size: 256
    .name:           _ZN7rocprim17ROCPRIM_400000_NS6detail17trampoline_kernelINS0_14default_configENS1_36segmented_radix_sort_config_selectorIslEEZNS1_25segmented_radix_sort_implIS3_Lb1EPKsPsPKlPlN2at6native12_GLOBAL__N_18offset_tEEE10hipError_tPvRmT1_PNSt15iterator_traitsISK_E10value_typeET2_T3_PNSL_ISQ_E10value_typeET4_jRbjT5_SW_jjP12ihipStream_tbEUlT_E_NS1_11comp_targetILNS1_3genE3ELNS1_11target_archE908ELNS1_3gpuE7ELNS1_3repE0EEENS1_30default_config_static_selectorELNS0_4arch9wavefront6targetE0EEEvSK_
    .private_segment_fixed_size: 0
    .sgpr_count:     0
    .sgpr_spill_count: 0
    .symbol:         _ZN7rocprim17ROCPRIM_400000_NS6detail17trampoline_kernelINS0_14default_configENS1_36segmented_radix_sort_config_selectorIslEEZNS1_25segmented_radix_sort_implIS3_Lb1EPKsPsPKlPlN2at6native12_GLOBAL__N_18offset_tEEE10hipError_tPvRmT1_PNSt15iterator_traitsISK_E10value_typeET2_T3_PNSL_ISQ_E10value_typeET4_jRbjT5_SW_jjP12ihipStream_tbEUlT_E_NS1_11comp_targetILNS1_3genE3ELNS1_11target_archE908ELNS1_3gpuE7ELNS1_3repE0EEENS1_30default_config_static_selectorELNS0_4arch9wavefront6targetE0EEEvSK_.kd
    .uniform_work_group_size: 1
    .uses_dynamic_stack: false
    .vgpr_count:     0
    .vgpr_spill_count: 0
    .wavefront_size: 32
    .workgroup_processor_mode: 1
  - .args:
      - .offset:         0
        .size:           96
        .value_kind:     by_value
    .group_segment_fixed_size: 0
    .kernarg_segment_align: 8
    .kernarg_segment_size: 96
    .language:       OpenCL C
    .language_version:
      - 2
      - 0
    .max_flat_workgroup_size: 256
    .name:           _ZN7rocprim17ROCPRIM_400000_NS6detail17trampoline_kernelINS0_14default_configENS1_36segmented_radix_sort_config_selectorIslEEZNS1_25segmented_radix_sort_implIS3_Lb1EPKsPsPKlPlN2at6native12_GLOBAL__N_18offset_tEEE10hipError_tPvRmT1_PNSt15iterator_traitsISK_E10value_typeET2_T3_PNSL_ISQ_E10value_typeET4_jRbjT5_SW_jjP12ihipStream_tbEUlT_E_NS1_11comp_targetILNS1_3genE2ELNS1_11target_archE906ELNS1_3gpuE6ELNS1_3repE0EEENS1_30default_config_static_selectorELNS0_4arch9wavefront6targetE0EEEvSK_
    .private_segment_fixed_size: 0
    .sgpr_count:     0
    .sgpr_spill_count: 0
    .symbol:         _ZN7rocprim17ROCPRIM_400000_NS6detail17trampoline_kernelINS0_14default_configENS1_36segmented_radix_sort_config_selectorIslEEZNS1_25segmented_radix_sort_implIS3_Lb1EPKsPsPKlPlN2at6native12_GLOBAL__N_18offset_tEEE10hipError_tPvRmT1_PNSt15iterator_traitsISK_E10value_typeET2_T3_PNSL_ISQ_E10value_typeET4_jRbjT5_SW_jjP12ihipStream_tbEUlT_E_NS1_11comp_targetILNS1_3genE2ELNS1_11target_archE906ELNS1_3gpuE6ELNS1_3repE0EEENS1_30default_config_static_selectorELNS0_4arch9wavefront6targetE0EEEvSK_.kd
    .uniform_work_group_size: 1
    .uses_dynamic_stack: false
    .vgpr_count:     0
    .vgpr_spill_count: 0
    .wavefront_size: 32
    .workgroup_processor_mode: 1
  - .args:
      - .offset:         0
        .size:           96
        .value_kind:     by_value
    .group_segment_fixed_size: 0
    .kernarg_segment_align: 8
    .kernarg_segment_size: 96
    .language:       OpenCL C
    .language_version:
      - 2
      - 0
    .max_flat_workgroup_size: 256
    .name:           _ZN7rocprim17ROCPRIM_400000_NS6detail17trampoline_kernelINS0_14default_configENS1_36segmented_radix_sort_config_selectorIslEEZNS1_25segmented_radix_sort_implIS3_Lb1EPKsPsPKlPlN2at6native12_GLOBAL__N_18offset_tEEE10hipError_tPvRmT1_PNSt15iterator_traitsISK_E10value_typeET2_T3_PNSL_ISQ_E10value_typeET4_jRbjT5_SW_jjP12ihipStream_tbEUlT_E_NS1_11comp_targetILNS1_3genE10ELNS1_11target_archE1201ELNS1_3gpuE5ELNS1_3repE0EEENS1_30default_config_static_selectorELNS0_4arch9wavefront6targetE0EEEvSK_
    .private_segment_fixed_size: 0
    .sgpr_count:     0
    .sgpr_spill_count: 0
    .symbol:         _ZN7rocprim17ROCPRIM_400000_NS6detail17trampoline_kernelINS0_14default_configENS1_36segmented_radix_sort_config_selectorIslEEZNS1_25segmented_radix_sort_implIS3_Lb1EPKsPsPKlPlN2at6native12_GLOBAL__N_18offset_tEEE10hipError_tPvRmT1_PNSt15iterator_traitsISK_E10value_typeET2_T3_PNSL_ISQ_E10value_typeET4_jRbjT5_SW_jjP12ihipStream_tbEUlT_E_NS1_11comp_targetILNS1_3genE10ELNS1_11target_archE1201ELNS1_3gpuE5ELNS1_3repE0EEENS1_30default_config_static_selectorELNS0_4arch9wavefront6targetE0EEEvSK_.kd
    .uniform_work_group_size: 1
    .uses_dynamic_stack: false
    .vgpr_count:     0
    .vgpr_spill_count: 0
    .wavefront_size: 32
    .workgroup_processor_mode: 1
  - .args:
      - .offset:         0
        .size:           96
        .value_kind:     by_value
    .group_segment_fixed_size: 0
    .kernarg_segment_align: 8
    .kernarg_segment_size: 96
    .language:       OpenCL C
    .language_version:
      - 2
      - 0
    .max_flat_workgroup_size: 128
    .name:           _ZN7rocprim17ROCPRIM_400000_NS6detail17trampoline_kernelINS0_14default_configENS1_36segmented_radix_sort_config_selectorIslEEZNS1_25segmented_radix_sort_implIS3_Lb1EPKsPsPKlPlN2at6native12_GLOBAL__N_18offset_tEEE10hipError_tPvRmT1_PNSt15iterator_traitsISK_E10value_typeET2_T3_PNSL_ISQ_E10value_typeET4_jRbjT5_SW_jjP12ihipStream_tbEUlT_E_NS1_11comp_targetILNS1_3genE10ELNS1_11target_archE1200ELNS1_3gpuE4ELNS1_3repE0EEENS1_30default_config_static_selectorELNS0_4arch9wavefront6targetE0EEEvSK_
    .private_segment_fixed_size: 0
    .sgpr_count:     0
    .sgpr_spill_count: 0
    .symbol:         _ZN7rocprim17ROCPRIM_400000_NS6detail17trampoline_kernelINS0_14default_configENS1_36segmented_radix_sort_config_selectorIslEEZNS1_25segmented_radix_sort_implIS3_Lb1EPKsPsPKlPlN2at6native12_GLOBAL__N_18offset_tEEE10hipError_tPvRmT1_PNSt15iterator_traitsISK_E10value_typeET2_T3_PNSL_ISQ_E10value_typeET4_jRbjT5_SW_jjP12ihipStream_tbEUlT_E_NS1_11comp_targetILNS1_3genE10ELNS1_11target_archE1200ELNS1_3gpuE4ELNS1_3repE0EEENS1_30default_config_static_selectorELNS0_4arch9wavefront6targetE0EEEvSK_.kd
    .uniform_work_group_size: 1
    .uses_dynamic_stack: false
    .vgpr_count:     0
    .vgpr_spill_count: 0
    .wavefront_size: 32
    .workgroup_processor_mode: 1
  - .args:
      - .offset:         0
        .size:           96
        .value_kind:     by_value
      - .offset:         96
        .size:           4
        .value_kind:     hidden_block_count_x
      - .offset:         100
        .size:           4
        .value_kind:     hidden_block_count_y
      - .offset:         104
        .size:           4
        .value_kind:     hidden_block_count_z
      - .offset:         108
        .size:           2
        .value_kind:     hidden_group_size_x
      - .offset:         110
        .size:           2
        .value_kind:     hidden_group_size_y
      - .offset:         112
        .size:           2
        .value_kind:     hidden_group_size_z
      - .offset:         114
        .size:           2
        .value_kind:     hidden_remainder_x
      - .offset:         116
        .size:           2
        .value_kind:     hidden_remainder_y
      - .offset:         118
        .size:           2
        .value_kind:     hidden_remainder_z
      - .offset:         136
        .size:           8
        .value_kind:     hidden_global_offset_x
      - .offset:         144
        .size:           8
        .value_kind:     hidden_global_offset_y
      - .offset:         152
        .size:           8
        .value_kind:     hidden_global_offset_z
      - .offset:         160
        .size:           2
        .value_kind:     hidden_grid_dims
    .group_segment_fixed_size: 33824
    .kernarg_segment_align: 8
    .kernarg_segment_size: 352
    .language:       OpenCL C
    .language_version:
      - 2
      - 0
    .max_flat_workgroup_size: 256
    .name:           _ZN7rocprim17ROCPRIM_400000_NS6detail17trampoline_kernelINS0_14default_configENS1_36segmented_radix_sort_config_selectorIslEEZNS1_25segmented_radix_sort_implIS3_Lb1EPKsPsPKlPlN2at6native12_GLOBAL__N_18offset_tEEE10hipError_tPvRmT1_PNSt15iterator_traitsISK_E10value_typeET2_T3_PNSL_ISQ_E10value_typeET4_jRbjT5_SW_jjP12ihipStream_tbEUlT_E_NS1_11comp_targetILNS1_3genE9ELNS1_11target_archE1100ELNS1_3gpuE3ELNS1_3repE0EEENS1_30default_config_static_selectorELNS0_4arch9wavefront6targetE0EEEvSK_
    .private_segment_fixed_size: 188
    .sgpr_count:     68
    .sgpr_spill_count: 0
    .symbol:         _ZN7rocprim17ROCPRIM_400000_NS6detail17trampoline_kernelINS0_14default_configENS1_36segmented_radix_sort_config_selectorIslEEZNS1_25segmented_radix_sort_implIS3_Lb1EPKsPsPKlPlN2at6native12_GLOBAL__N_18offset_tEEE10hipError_tPvRmT1_PNSt15iterator_traitsISK_E10value_typeET2_T3_PNSL_ISQ_E10value_typeET4_jRbjT5_SW_jjP12ihipStream_tbEUlT_E_NS1_11comp_targetILNS1_3genE9ELNS1_11target_archE1100ELNS1_3gpuE3ELNS1_3repE0EEENS1_30default_config_static_selectorELNS0_4arch9wavefront6targetE0EEEvSK_.kd
    .uniform_work_group_size: 1
    .uses_dynamic_stack: false
    .vgpr_count:     248
    .vgpr_spill_count: 0
    .wavefront_size: 32
    .workgroup_processor_mode: 1
  - .args:
      - .offset:         0
        .size:           96
        .value_kind:     by_value
    .group_segment_fixed_size: 0
    .kernarg_segment_align: 8
    .kernarg_segment_size: 96
    .language:       OpenCL C
    .language_version:
      - 2
      - 0
    .max_flat_workgroup_size: 256
    .name:           _ZN7rocprim17ROCPRIM_400000_NS6detail17trampoline_kernelINS0_14default_configENS1_36segmented_radix_sort_config_selectorIslEEZNS1_25segmented_radix_sort_implIS3_Lb1EPKsPsPKlPlN2at6native12_GLOBAL__N_18offset_tEEE10hipError_tPvRmT1_PNSt15iterator_traitsISK_E10value_typeET2_T3_PNSL_ISQ_E10value_typeET4_jRbjT5_SW_jjP12ihipStream_tbEUlT_E_NS1_11comp_targetILNS1_3genE8ELNS1_11target_archE1030ELNS1_3gpuE2ELNS1_3repE0EEENS1_30default_config_static_selectorELNS0_4arch9wavefront6targetE0EEEvSK_
    .private_segment_fixed_size: 0
    .sgpr_count:     0
    .sgpr_spill_count: 0
    .symbol:         _ZN7rocprim17ROCPRIM_400000_NS6detail17trampoline_kernelINS0_14default_configENS1_36segmented_radix_sort_config_selectorIslEEZNS1_25segmented_radix_sort_implIS3_Lb1EPKsPsPKlPlN2at6native12_GLOBAL__N_18offset_tEEE10hipError_tPvRmT1_PNSt15iterator_traitsISK_E10value_typeET2_T3_PNSL_ISQ_E10value_typeET4_jRbjT5_SW_jjP12ihipStream_tbEUlT_E_NS1_11comp_targetILNS1_3genE8ELNS1_11target_archE1030ELNS1_3gpuE2ELNS1_3repE0EEENS1_30default_config_static_selectorELNS0_4arch9wavefront6targetE0EEEvSK_.kd
    .uniform_work_group_size: 1
    .uses_dynamic_stack: false
    .vgpr_count:     0
    .vgpr_spill_count: 0
    .wavefront_size: 32
    .workgroup_processor_mode: 1
  - .args:
      - .offset:         0
        .size:           88
        .value_kind:     by_value
    .group_segment_fixed_size: 0
    .kernarg_segment_align: 8
    .kernarg_segment_size: 88
    .language:       OpenCL C
    .language_version:
      - 2
      - 0
    .max_flat_workgroup_size: 256
    .name:           _ZN7rocprim17ROCPRIM_400000_NS6detail17trampoline_kernelINS0_14default_configENS1_36segmented_radix_sort_config_selectorIslEEZNS1_25segmented_radix_sort_implIS3_Lb1EPKsPsPKlPlN2at6native12_GLOBAL__N_18offset_tEEE10hipError_tPvRmT1_PNSt15iterator_traitsISK_E10value_typeET2_T3_PNSL_ISQ_E10value_typeET4_jRbjT5_SW_jjP12ihipStream_tbEUlT_E0_NS1_11comp_targetILNS1_3genE0ELNS1_11target_archE4294967295ELNS1_3gpuE0ELNS1_3repE0EEENS1_60segmented_radix_sort_warp_sort_medium_config_static_selectorELNS0_4arch9wavefront6targetE0EEEvSK_
    .private_segment_fixed_size: 0
    .sgpr_count:     0
    .sgpr_spill_count: 0
    .symbol:         _ZN7rocprim17ROCPRIM_400000_NS6detail17trampoline_kernelINS0_14default_configENS1_36segmented_radix_sort_config_selectorIslEEZNS1_25segmented_radix_sort_implIS3_Lb1EPKsPsPKlPlN2at6native12_GLOBAL__N_18offset_tEEE10hipError_tPvRmT1_PNSt15iterator_traitsISK_E10value_typeET2_T3_PNSL_ISQ_E10value_typeET4_jRbjT5_SW_jjP12ihipStream_tbEUlT_E0_NS1_11comp_targetILNS1_3genE0ELNS1_11target_archE4294967295ELNS1_3gpuE0ELNS1_3repE0EEENS1_60segmented_radix_sort_warp_sort_medium_config_static_selectorELNS0_4arch9wavefront6targetE0EEEvSK_.kd
    .uniform_work_group_size: 1
    .uses_dynamic_stack: false
    .vgpr_count:     0
    .vgpr_spill_count: 0
    .wavefront_size: 32
    .workgroup_processor_mode: 1
  - .args:
      - .offset:         0
        .size:           88
        .value_kind:     by_value
    .group_segment_fixed_size: 0
    .kernarg_segment_align: 8
    .kernarg_segment_size: 88
    .language:       OpenCL C
    .language_version:
      - 2
      - 0
    .max_flat_workgroup_size: 256
    .name:           _ZN7rocprim17ROCPRIM_400000_NS6detail17trampoline_kernelINS0_14default_configENS1_36segmented_radix_sort_config_selectorIslEEZNS1_25segmented_radix_sort_implIS3_Lb1EPKsPsPKlPlN2at6native12_GLOBAL__N_18offset_tEEE10hipError_tPvRmT1_PNSt15iterator_traitsISK_E10value_typeET2_T3_PNSL_ISQ_E10value_typeET4_jRbjT5_SW_jjP12ihipStream_tbEUlT_E0_NS1_11comp_targetILNS1_3genE5ELNS1_11target_archE942ELNS1_3gpuE9ELNS1_3repE0EEENS1_60segmented_radix_sort_warp_sort_medium_config_static_selectorELNS0_4arch9wavefront6targetE0EEEvSK_
    .private_segment_fixed_size: 0
    .sgpr_count:     0
    .sgpr_spill_count: 0
    .symbol:         _ZN7rocprim17ROCPRIM_400000_NS6detail17trampoline_kernelINS0_14default_configENS1_36segmented_radix_sort_config_selectorIslEEZNS1_25segmented_radix_sort_implIS3_Lb1EPKsPsPKlPlN2at6native12_GLOBAL__N_18offset_tEEE10hipError_tPvRmT1_PNSt15iterator_traitsISK_E10value_typeET2_T3_PNSL_ISQ_E10value_typeET4_jRbjT5_SW_jjP12ihipStream_tbEUlT_E0_NS1_11comp_targetILNS1_3genE5ELNS1_11target_archE942ELNS1_3gpuE9ELNS1_3repE0EEENS1_60segmented_radix_sort_warp_sort_medium_config_static_selectorELNS0_4arch9wavefront6targetE0EEEvSK_.kd
    .uniform_work_group_size: 1
    .uses_dynamic_stack: false
    .vgpr_count:     0
    .vgpr_spill_count: 0
    .wavefront_size: 32
    .workgroup_processor_mode: 1
  - .args:
      - .offset:         0
        .size:           88
        .value_kind:     by_value
    .group_segment_fixed_size: 0
    .kernarg_segment_align: 8
    .kernarg_segment_size: 88
    .language:       OpenCL C
    .language_version:
      - 2
      - 0
    .max_flat_workgroup_size: 256
    .name:           _ZN7rocprim17ROCPRIM_400000_NS6detail17trampoline_kernelINS0_14default_configENS1_36segmented_radix_sort_config_selectorIslEEZNS1_25segmented_radix_sort_implIS3_Lb1EPKsPsPKlPlN2at6native12_GLOBAL__N_18offset_tEEE10hipError_tPvRmT1_PNSt15iterator_traitsISK_E10value_typeET2_T3_PNSL_ISQ_E10value_typeET4_jRbjT5_SW_jjP12ihipStream_tbEUlT_E0_NS1_11comp_targetILNS1_3genE4ELNS1_11target_archE910ELNS1_3gpuE8ELNS1_3repE0EEENS1_60segmented_radix_sort_warp_sort_medium_config_static_selectorELNS0_4arch9wavefront6targetE0EEEvSK_
    .private_segment_fixed_size: 0
    .sgpr_count:     0
    .sgpr_spill_count: 0
    .symbol:         _ZN7rocprim17ROCPRIM_400000_NS6detail17trampoline_kernelINS0_14default_configENS1_36segmented_radix_sort_config_selectorIslEEZNS1_25segmented_radix_sort_implIS3_Lb1EPKsPsPKlPlN2at6native12_GLOBAL__N_18offset_tEEE10hipError_tPvRmT1_PNSt15iterator_traitsISK_E10value_typeET2_T3_PNSL_ISQ_E10value_typeET4_jRbjT5_SW_jjP12ihipStream_tbEUlT_E0_NS1_11comp_targetILNS1_3genE4ELNS1_11target_archE910ELNS1_3gpuE8ELNS1_3repE0EEENS1_60segmented_radix_sort_warp_sort_medium_config_static_selectorELNS0_4arch9wavefront6targetE0EEEvSK_.kd
    .uniform_work_group_size: 1
    .uses_dynamic_stack: false
    .vgpr_count:     0
    .vgpr_spill_count: 0
    .wavefront_size: 32
    .workgroup_processor_mode: 1
  - .args:
      - .offset:         0
        .size:           88
        .value_kind:     by_value
    .group_segment_fixed_size: 0
    .kernarg_segment_align: 8
    .kernarg_segment_size: 88
    .language:       OpenCL C
    .language_version:
      - 2
      - 0
    .max_flat_workgroup_size: 256
    .name:           _ZN7rocprim17ROCPRIM_400000_NS6detail17trampoline_kernelINS0_14default_configENS1_36segmented_radix_sort_config_selectorIslEEZNS1_25segmented_radix_sort_implIS3_Lb1EPKsPsPKlPlN2at6native12_GLOBAL__N_18offset_tEEE10hipError_tPvRmT1_PNSt15iterator_traitsISK_E10value_typeET2_T3_PNSL_ISQ_E10value_typeET4_jRbjT5_SW_jjP12ihipStream_tbEUlT_E0_NS1_11comp_targetILNS1_3genE3ELNS1_11target_archE908ELNS1_3gpuE7ELNS1_3repE0EEENS1_60segmented_radix_sort_warp_sort_medium_config_static_selectorELNS0_4arch9wavefront6targetE0EEEvSK_
    .private_segment_fixed_size: 0
    .sgpr_count:     0
    .sgpr_spill_count: 0
    .symbol:         _ZN7rocprim17ROCPRIM_400000_NS6detail17trampoline_kernelINS0_14default_configENS1_36segmented_radix_sort_config_selectorIslEEZNS1_25segmented_radix_sort_implIS3_Lb1EPKsPsPKlPlN2at6native12_GLOBAL__N_18offset_tEEE10hipError_tPvRmT1_PNSt15iterator_traitsISK_E10value_typeET2_T3_PNSL_ISQ_E10value_typeET4_jRbjT5_SW_jjP12ihipStream_tbEUlT_E0_NS1_11comp_targetILNS1_3genE3ELNS1_11target_archE908ELNS1_3gpuE7ELNS1_3repE0EEENS1_60segmented_radix_sort_warp_sort_medium_config_static_selectorELNS0_4arch9wavefront6targetE0EEEvSK_.kd
    .uniform_work_group_size: 1
    .uses_dynamic_stack: false
    .vgpr_count:     0
    .vgpr_spill_count: 0
    .wavefront_size: 32
    .workgroup_processor_mode: 1
  - .args:
      - .offset:         0
        .size:           88
        .value_kind:     by_value
    .group_segment_fixed_size: 0
    .kernarg_segment_align: 8
    .kernarg_segment_size: 88
    .language:       OpenCL C
    .language_version:
      - 2
      - 0
    .max_flat_workgroup_size: 256
    .name:           _ZN7rocprim17ROCPRIM_400000_NS6detail17trampoline_kernelINS0_14default_configENS1_36segmented_radix_sort_config_selectorIslEEZNS1_25segmented_radix_sort_implIS3_Lb1EPKsPsPKlPlN2at6native12_GLOBAL__N_18offset_tEEE10hipError_tPvRmT1_PNSt15iterator_traitsISK_E10value_typeET2_T3_PNSL_ISQ_E10value_typeET4_jRbjT5_SW_jjP12ihipStream_tbEUlT_E0_NS1_11comp_targetILNS1_3genE2ELNS1_11target_archE906ELNS1_3gpuE6ELNS1_3repE0EEENS1_60segmented_radix_sort_warp_sort_medium_config_static_selectorELNS0_4arch9wavefront6targetE0EEEvSK_
    .private_segment_fixed_size: 0
    .sgpr_count:     0
    .sgpr_spill_count: 0
    .symbol:         _ZN7rocprim17ROCPRIM_400000_NS6detail17trampoline_kernelINS0_14default_configENS1_36segmented_radix_sort_config_selectorIslEEZNS1_25segmented_radix_sort_implIS3_Lb1EPKsPsPKlPlN2at6native12_GLOBAL__N_18offset_tEEE10hipError_tPvRmT1_PNSt15iterator_traitsISK_E10value_typeET2_T3_PNSL_ISQ_E10value_typeET4_jRbjT5_SW_jjP12ihipStream_tbEUlT_E0_NS1_11comp_targetILNS1_3genE2ELNS1_11target_archE906ELNS1_3gpuE6ELNS1_3repE0EEENS1_60segmented_radix_sort_warp_sort_medium_config_static_selectorELNS0_4arch9wavefront6targetE0EEEvSK_.kd
    .uniform_work_group_size: 1
    .uses_dynamic_stack: false
    .vgpr_count:     0
    .vgpr_spill_count: 0
    .wavefront_size: 32
    .workgroup_processor_mode: 1
  - .args:
      - .offset:         0
        .size:           88
        .value_kind:     by_value
    .group_segment_fixed_size: 0
    .kernarg_segment_align: 8
    .kernarg_segment_size: 88
    .language:       OpenCL C
    .language_version:
      - 2
      - 0
    .max_flat_workgroup_size: 256
    .name:           _ZN7rocprim17ROCPRIM_400000_NS6detail17trampoline_kernelINS0_14default_configENS1_36segmented_radix_sort_config_selectorIslEEZNS1_25segmented_radix_sort_implIS3_Lb1EPKsPsPKlPlN2at6native12_GLOBAL__N_18offset_tEEE10hipError_tPvRmT1_PNSt15iterator_traitsISK_E10value_typeET2_T3_PNSL_ISQ_E10value_typeET4_jRbjT5_SW_jjP12ihipStream_tbEUlT_E0_NS1_11comp_targetILNS1_3genE10ELNS1_11target_archE1201ELNS1_3gpuE5ELNS1_3repE0EEENS1_60segmented_radix_sort_warp_sort_medium_config_static_selectorELNS0_4arch9wavefront6targetE0EEEvSK_
    .private_segment_fixed_size: 0
    .sgpr_count:     0
    .sgpr_spill_count: 0
    .symbol:         _ZN7rocprim17ROCPRIM_400000_NS6detail17trampoline_kernelINS0_14default_configENS1_36segmented_radix_sort_config_selectorIslEEZNS1_25segmented_radix_sort_implIS3_Lb1EPKsPsPKlPlN2at6native12_GLOBAL__N_18offset_tEEE10hipError_tPvRmT1_PNSt15iterator_traitsISK_E10value_typeET2_T3_PNSL_ISQ_E10value_typeET4_jRbjT5_SW_jjP12ihipStream_tbEUlT_E0_NS1_11comp_targetILNS1_3genE10ELNS1_11target_archE1201ELNS1_3gpuE5ELNS1_3repE0EEENS1_60segmented_radix_sort_warp_sort_medium_config_static_selectorELNS0_4arch9wavefront6targetE0EEEvSK_.kd
    .uniform_work_group_size: 1
    .uses_dynamic_stack: false
    .vgpr_count:     0
    .vgpr_spill_count: 0
    .wavefront_size: 32
    .workgroup_processor_mode: 1
  - .args:
      - .offset:         0
        .size:           88
        .value_kind:     by_value
    .group_segment_fixed_size: 0
    .kernarg_segment_align: 8
    .kernarg_segment_size: 88
    .language:       OpenCL C
    .language_version:
      - 2
      - 0
    .max_flat_workgroup_size: 256
    .name:           _ZN7rocprim17ROCPRIM_400000_NS6detail17trampoline_kernelINS0_14default_configENS1_36segmented_radix_sort_config_selectorIslEEZNS1_25segmented_radix_sort_implIS3_Lb1EPKsPsPKlPlN2at6native12_GLOBAL__N_18offset_tEEE10hipError_tPvRmT1_PNSt15iterator_traitsISK_E10value_typeET2_T3_PNSL_ISQ_E10value_typeET4_jRbjT5_SW_jjP12ihipStream_tbEUlT_E0_NS1_11comp_targetILNS1_3genE10ELNS1_11target_archE1200ELNS1_3gpuE4ELNS1_3repE0EEENS1_60segmented_radix_sort_warp_sort_medium_config_static_selectorELNS0_4arch9wavefront6targetE0EEEvSK_
    .private_segment_fixed_size: 0
    .sgpr_count:     0
    .sgpr_spill_count: 0
    .symbol:         _ZN7rocprim17ROCPRIM_400000_NS6detail17trampoline_kernelINS0_14default_configENS1_36segmented_radix_sort_config_selectorIslEEZNS1_25segmented_radix_sort_implIS3_Lb1EPKsPsPKlPlN2at6native12_GLOBAL__N_18offset_tEEE10hipError_tPvRmT1_PNSt15iterator_traitsISK_E10value_typeET2_T3_PNSL_ISQ_E10value_typeET4_jRbjT5_SW_jjP12ihipStream_tbEUlT_E0_NS1_11comp_targetILNS1_3genE10ELNS1_11target_archE1200ELNS1_3gpuE4ELNS1_3repE0EEENS1_60segmented_radix_sort_warp_sort_medium_config_static_selectorELNS0_4arch9wavefront6targetE0EEEvSK_.kd
    .uniform_work_group_size: 1
    .uses_dynamic_stack: false
    .vgpr_count:     0
    .vgpr_spill_count: 0
    .wavefront_size: 32
    .workgroup_processor_mode: 1
  - .args:
      - .offset:         0
        .size:           88
        .value_kind:     by_value
      - .offset:         88
        .size:           4
        .value_kind:     hidden_block_count_x
      - .offset:         92
        .size:           4
        .value_kind:     hidden_block_count_y
      - .offset:         96
        .size:           4
        .value_kind:     hidden_block_count_z
      - .offset:         100
        .size:           2
        .value_kind:     hidden_group_size_x
      - .offset:         102
        .size:           2
        .value_kind:     hidden_group_size_y
      - .offset:         104
        .size:           2
        .value_kind:     hidden_group_size_z
      - .offset:         106
        .size:           2
        .value_kind:     hidden_remainder_x
      - .offset:         108
        .size:           2
        .value_kind:     hidden_remainder_y
      - .offset:         110
        .size:           2
        .value_kind:     hidden_remainder_z
      - .offset:         128
        .size:           8
        .value_kind:     hidden_global_offset_x
      - .offset:         136
        .size:           8
        .value_kind:     hidden_global_offset_y
      - .offset:         144
        .size:           8
        .value_kind:     hidden_global_offset_z
      - .offset:         152
        .size:           2
        .value_kind:     hidden_grid_dims
    .group_segment_fixed_size: 20480
    .kernarg_segment_align: 8
    .kernarg_segment_size: 344
    .language:       OpenCL C
    .language_version:
      - 2
      - 0
    .max_flat_workgroup_size: 256
    .name:           _ZN7rocprim17ROCPRIM_400000_NS6detail17trampoline_kernelINS0_14default_configENS1_36segmented_radix_sort_config_selectorIslEEZNS1_25segmented_radix_sort_implIS3_Lb1EPKsPsPKlPlN2at6native12_GLOBAL__N_18offset_tEEE10hipError_tPvRmT1_PNSt15iterator_traitsISK_E10value_typeET2_T3_PNSL_ISQ_E10value_typeET4_jRbjT5_SW_jjP12ihipStream_tbEUlT_E0_NS1_11comp_targetILNS1_3genE9ELNS1_11target_archE1100ELNS1_3gpuE3ELNS1_3repE0EEENS1_60segmented_radix_sort_warp_sort_medium_config_static_selectorELNS0_4arch9wavefront6targetE0EEEvSK_
    .private_segment_fixed_size: 0
    .sgpr_count:     46
    .sgpr_spill_count: 0
    .symbol:         _ZN7rocprim17ROCPRIM_400000_NS6detail17trampoline_kernelINS0_14default_configENS1_36segmented_radix_sort_config_selectorIslEEZNS1_25segmented_radix_sort_implIS3_Lb1EPKsPsPKlPlN2at6native12_GLOBAL__N_18offset_tEEE10hipError_tPvRmT1_PNSt15iterator_traitsISK_E10value_typeET2_T3_PNSL_ISQ_E10value_typeET4_jRbjT5_SW_jjP12ihipStream_tbEUlT_E0_NS1_11comp_targetILNS1_3genE9ELNS1_11target_archE1100ELNS1_3gpuE3ELNS1_3repE0EEENS1_60segmented_radix_sort_warp_sort_medium_config_static_selectorELNS0_4arch9wavefront6targetE0EEEvSK_.kd
    .uniform_work_group_size: 1
    .uses_dynamic_stack: false
    .vgpr_count:     82
    .vgpr_spill_count: 0
    .wavefront_size: 32
    .workgroup_processor_mode: 1
  - .args:
      - .offset:         0
        .size:           88
        .value_kind:     by_value
    .group_segment_fixed_size: 0
    .kernarg_segment_align: 8
    .kernarg_segment_size: 88
    .language:       OpenCL C
    .language_version:
      - 2
      - 0
    .max_flat_workgroup_size: 256
    .name:           _ZN7rocprim17ROCPRIM_400000_NS6detail17trampoline_kernelINS0_14default_configENS1_36segmented_radix_sort_config_selectorIslEEZNS1_25segmented_radix_sort_implIS3_Lb1EPKsPsPKlPlN2at6native12_GLOBAL__N_18offset_tEEE10hipError_tPvRmT1_PNSt15iterator_traitsISK_E10value_typeET2_T3_PNSL_ISQ_E10value_typeET4_jRbjT5_SW_jjP12ihipStream_tbEUlT_E0_NS1_11comp_targetILNS1_3genE8ELNS1_11target_archE1030ELNS1_3gpuE2ELNS1_3repE0EEENS1_60segmented_radix_sort_warp_sort_medium_config_static_selectorELNS0_4arch9wavefront6targetE0EEEvSK_
    .private_segment_fixed_size: 0
    .sgpr_count:     0
    .sgpr_spill_count: 0
    .symbol:         _ZN7rocprim17ROCPRIM_400000_NS6detail17trampoline_kernelINS0_14default_configENS1_36segmented_radix_sort_config_selectorIslEEZNS1_25segmented_radix_sort_implIS3_Lb1EPKsPsPKlPlN2at6native12_GLOBAL__N_18offset_tEEE10hipError_tPvRmT1_PNSt15iterator_traitsISK_E10value_typeET2_T3_PNSL_ISQ_E10value_typeET4_jRbjT5_SW_jjP12ihipStream_tbEUlT_E0_NS1_11comp_targetILNS1_3genE8ELNS1_11target_archE1030ELNS1_3gpuE2ELNS1_3repE0EEENS1_60segmented_radix_sort_warp_sort_medium_config_static_selectorELNS0_4arch9wavefront6targetE0EEEvSK_.kd
    .uniform_work_group_size: 1
    .uses_dynamic_stack: false
    .vgpr_count:     0
    .vgpr_spill_count: 0
    .wavefront_size: 32
    .workgroup_processor_mode: 1
  - .args:
      - .offset:         0
        .size:           88
        .value_kind:     by_value
    .group_segment_fixed_size: 0
    .kernarg_segment_align: 8
    .kernarg_segment_size: 88
    .language:       OpenCL C
    .language_version:
      - 2
      - 0
    .max_flat_workgroup_size: 256
    .name:           _ZN7rocprim17ROCPRIM_400000_NS6detail17trampoline_kernelINS0_14default_configENS1_36segmented_radix_sort_config_selectorIslEEZNS1_25segmented_radix_sort_implIS3_Lb1EPKsPsPKlPlN2at6native12_GLOBAL__N_18offset_tEEE10hipError_tPvRmT1_PNSt15iterator_traitsISK_E10value_typeET2_T3_PNSL_ISQ_E10value_typeET4_jRbjT5_SW_jjP12ihipStream_tbEUlT_E1_NS1_11comp_targetILNS1_3genE0ELNS1_11target_archE4294967295ELNS1_3gpuE0ELNS1_3repE0EEENS1_59segmented_radix_sort_warp_sort_small_config_static_selectorELNS0_4arch9wavefront6targetE0EEEvSK_
    .private_segment_fixed_size: 0
    .sgpr_count:     0
    .sgpr_spill_count: 0
    .symbol:         _ZN7rocprim17ROCPRIM_400000_NS6detail17trampoline_kernelINS0_14default_configENS1_36segmented_radix_sort_config_selectorIslEEZNS1_25segmented_radix_sort_implIS3_Lb1EPKsPsPKlPlN2at6native12_GLOBAL__N_18offset_tEEE10hipError_tPvRmT1_PNSt15iterator_traitsISK_E10value_typeET2_T3_PNSL_ISQ_E10value_typeET4_jRbjT5_SW_jjP12ihipStream_tbEUlT_E1_NS1_11comp_targetILNS1_3genE0ELNS1_11target_archE4294967295ELNS1_3gpuE0ELNS1_3repE0EEENS1_59segmented_radix_sort_warp_sort_small_config_static_selectorELNS0_4arch9wavefront6targetE0EEEvSK_.kd
    .uniform_work_group_size: 1
    .uses_dynamic_stack: false
    .vgpr_count:     0
    .vgpr_spill_count: 0
    .wavefront_size: 32
    .workgroup_processor_mode: 1
  - .args:
      - .offset:         0
        .size:           88
        .value_kind:     by_value
    .group_segment_fixed_size: 0
    .kernarg_segment_align: 8
    .kernarg_segment_size: 88
    .language:       OpenCL C
    .language_version:
      - 2
      - 0
    .max_flat_workgroup_size: 256
    .name:           _ZN7rocprim17ROCPRIM_400000_NS6detail17trampoline_kernelINS0_14default_configENS1_36segmented_radix_sort_config_selectorIslEEZNS1_25segmented_radix_sort_implIS3_Lb1EPKsPsPKlPlN2at6native12_GLOBAL__N_18offset_tEEE10hipError_tPvRmT1_PNSt15iterator_traitsISK_E10value_typeET2_T3_PNSL_ISQ_E10value_typeET4_jRbjT5_SW_jjP12ihipStream_tbEUlT_E1_NS1_11comp_targetILNS1_3genE5ELNS1_11target_archE942ELNS1_3gpuE9ELNS1_3repE0EEENS1_59segmented_radix_sort_warp_sort_small_config_static_selectorELNS0_4arch9wavefront6targetE0EEEvSK_
    .private_segment_fixed_size: 0
    .sgpr_count:     0
    .sgpr_spill_count: 0
    .symbol:         _ZN7rocprim17ROCPRIM_400000_NS6detail17trampoline_kernelINS0_14default_configENS1_36segmented_radix_sort_config_selectorIslEEZNS1_25segmented_radix_sort_implIS3_Lb1EPKsPsPKlPlN2at6native12_GLOBAL__N_18offset_tEEE10hipError_tPvRmT1_PNSt15iterator_traitsISK_E10value_typeET2_T3_PNSL_ISQ_E10value_typeET4_jRbjT5_SW_jjP12ihipStream_tbEUlT_E1_NS1_11comp_targetILNS1_3genE5ELNS1_11target_archE942ELNS1_3gpuE9ELNS1_3repE0EEENS1_59segmented_radix_sort_warp_sort_small_config_static_selectorELNS0_4arch9wavefront6targetE0EEEvSK_.kd
    .uniform_work_group_size: 1
    .uses_dynamic_stack: false
    .vgpr_count:     0
    .vgpr_spill_count: 0
    .wavefront_size: 32
    .workgroup_processor_mode: 1
  - .args:
      - .offset:         0
        .size:           88
        .value_kind:     by_value
    .group_segment_fixed_size: 0
    .kernarg_segment_align: 8
    .kernarg_segment_size: 88
    .language:       OpenCL C
    .language_version:
      - 2
      - 0
    .max_flat_workgroup_size: 256
    .name:           _ZN7rocprim17ROCPRIM_400000_NS6detail17trampoline_kernelINS0_14default_configENS1_36segmented_radix_sort_config_selectorIslEEZNS1_25segmented_radix_sort_implIS3_Lb1EPKsPsPKlPlN2at6native12_GLOBAL__N_18offset_tEEE10hipError_tPvRmT1_PNSt15iterator_traitsISK_E10value_typeET2_T3_PNSL_ISQ_E10value_typeET4_jRbjT5_SW_jjP12ihipStream_tbEUlT_E1_NS1_11comp_targetILNS1_3genE4ELNS1_11target_archE910ELNS1_3gpuE8ELNS1_3repE0EEENS1_59segmented_radix_sort_warp_sort_small_config_static_selectorELNS0_4arch9wavefront6targetE0EEEvSK_
    .private_segment_fixed_size: 0
    .sgpr_count:     0
    .sgpr_spill_count: 0
    .symbol:         _ZN7rocprim17ROCPRIM_400000_NS6detail17trampoline_kernelINS0_14default_configENS1_36segmented_radix_sort_config_selectorIslEEZNS1_25segmented_radix_sort_implIS3_Lb1EPKsPsPKlPlN2at6native12_GLOBAL__N_18offset_tEEE10hipError_tPvRmT1_PNSt15iterator_traitsISK_E10value_typeET2_T3_PNSL_ISQ_E10value_typeET4_jRbjT5_SW_jjP12ihipStream_tbEUlT_E1_NS1_11comp_targetILNS1_3genE4ELNS1_11target_archE910ELNS1_3gpuE8ELNS1_3repE0EEENS1_59segmented_radix_sort_warp_sort_small_config_static_selectorELNS0_4arch9wavefront6targetE0EEEvSK_.kd
    .uniform_work_group_size: 1
    .uses_dynamic_stack: false
    .vgpr_count:     0
    .vgpr_spill_count: 0
    .wavefront_size: 32
    .workgroup_processor_mode: 1
  - .args:
      - .offset:         0
        .size:           88
        .value_kind:     by_value
    .group_segment_fixed_size: 0
    .kernarg_segment_align: 8
    .kernarg_segment_size: 88
    .language:       OpenCL C
    .language_version:
      - 2
      - 0
    .max_flat_workgroup_size: 256
    .name:           _ZN7rocprim17ROCPRIM_400000_NS6detail17trampoline_kernelINS0_14default_configENS1_36segmented_radix_sort_config_selectorIslEEZNS1_25segmented_radix_sort_implIS3_Lb1EPKsPsPKlPlN2at6native12_GLOBAL__N_18offset_tEEE10hipError_tPvRmT1_PNSt15iterator_traitsISK_E10value_typeET2_T3_PNSL_ISQ_E10value_typeET4_jRbjT5_SW_jjP12ihipStream_tbEUlT_E1_NS1_11comp_targetILNS1_3genE3ELNS1_11target_archE908ELNS1_3gpuE7ELNS1_3repE0EEENS1_59segmented_radix_sort_warp_sort_small_config_static_selectorELNS0_4arch9wavefront6targetE0EEEvSK_
    .private_segment_fixed_size: 0
    .sgpr_count:     0
    .sgpr_spill_count: 0
    .symbol:         _ZN7rocprim17ROCPRIM_400000_NS6detail17trampoline_kernelINS0_14default_configENS1_36segmented_radix_sort_config_selectorIslEEZNS1_25segmented_radix_sort_implIS3_Lb1EPKsPsPKlPlN2at6native12_GLOBAL__N_18offset_tEEE10hipError_tPvRmT1_PNSt15iterator_traitsISK_E10value_typeET2_T3_PNSL_ISQ_E10value_typeET4_jRbjT5_SW_jjP12ihipStream_tbEUlT_E1_NS1_11comp_targetILNS1_3genE3ELNS1_11target_archE908ELNS1_3gpuE7ELNS1_3repE0EEENS1_59segmented_radix_sort_warp_sort_small_config_static_selectorELNS0_4arch9wavefront6targetE0EEEvSK_.kd
    .uniform_work_group_size: 1
    .uses_dynamic_stack: false
    .vgpr_count:     0
    .vgpr_spill_count: 0
    .wavefront_size: 32
    .workgroup_processor_mode: 1
  - .args:
      - .offset:         0
        .size:           88
        .value_kind:     by_value
    .group_segment_fixed_size: 0
    .kernarg_segment_align: 8
    .kernarg_segment_size: 88
    .language:       OpenCL C
    .language_version:
      - 2
      - 0
    .max_flat_workgroup_size: 256
    .name:           _ZN7rocprim17ROCPRIM_400000_NS6detail17trampoline_kernelINS0_14default_configENS1_36segmented_radix_sort_config_selectorIslEEZNS1_25segmented_radix_sort_implIS3_Lb1EPKsPsPKlPlN2at6native12_GLOBAL__N_18offset_tEEE10hipError_tPvRmT1_PNSt15iterator_traitsISK_E10value_typeET2_T3_PNSL_ISQ_E10value_typeET4_jRbjT5_SW_jjP12ihipStream_tbEUlT_E1_NS1_11comp_targetILNS1_3genE2ELNS1_11target_archE906ELNS1_3gpuE6ELNS1_3repE0EEENS1_59segmented_radix_sort_warp_sort_small_config_static_selectorELNS0_4arch9wavefront6targetE0EEEvSK_
    .private_segment_fixed_size: 0
    .sgpr_count:     0
    .sgpr_spill_count: 0
    .symbol:         _ZN7rocprim17ROCPRIM_400000_NS6detail17trampoline_kernelINS0_14default_configENS1_36segmented_radix_sort_config_selectorIslEEZNS1_25segmented_radix_sort_implIS3_Lb1EPKsPsPKlPlN2at6native12_GLOBAL__N_18offset_tEEE10hipError_tPvRmT1_PNSt15iterator_traitsISK_E10value_typeET2_T3_PNSL_ISQ_E10value_typeET4_jRbjT5_SW_jjP12ihipStream_tbEUlT_E1_NS1_11comp_targetILNS1_3genE2ELNS1_11target_archE906ELNS1_3gpuE6ELNS1_3repE0EEENS1_59segmented_radix_sort_warp_sort_small_config_static_selectorELNS0_4arch9wavefront6targetE0EEEvSK_.kd
    .uniform_work_group_size: 1
    .uses_dynamic_stack: false
    .vgpr_count:     0
    .vgpr_spill_count: 0
    .wavefront_size: 32
    .workgroup_processor_mode: 1
  - .args:
      - .offset:         0
        .size:           88
        .value_kind:     by_value
    .group_segment_fixed_size: 0
    .kernarg_segment_align: 8
    .kernarg_segment_size: 88
    .language:       OpenCL C
    .language_version:
      - 2
      - 0
    .max_flat_workgroup_size: 256
    .name:           _ZN7rocprim17ROCPRIM_400000_NS6detail17trampoline_kernelINS0_14default_configENS1_36segmented_radix_sort_config_selectorIslEEZNS1_25segmented_radix_sort_implIS3_Lb1EPKsPsPKlPlN2at6native12_GLOBAL__N_18offset_tEEE10hipError_tPvRmT1_PNSt15iterator_traitsISK_E10value_typeET2_T3_PNSL_ISQ_E10value_typeET4_jRbjT5_SW_jjP12ihipStream_tbEUlT_E1_NS1_11comp_targetILNS1_3genE10ELNS1_11target_archE1201ELNS1_3gpuE5ELNS1_3repE0EEENS1_59segmented_radix_sort_warp_sort_small_config_static_selectorELNS0_4arch9wavefront6targetE0EEEvSK_
    .private_segment_fixed_size: 0
    .sgpr_count:     0
    .sgpr_spill_count: 0
    .symbol:         _ZN7rocprim17ROCPRIM_400000_NS6detail17trampoline_kernelINS0_14default_configENS1_36segmented_radix_sort_config_selectorIslEEZNS1_25segmented_radix_sort_implIS3_Lb1EPKsPsPKlPlN2at6native12_GLOBAL__N_18offset_tEEE10hipError_tPvRmT1_PNSt15iterator_traitsISK_E10value_typeET2_T3_PNSL_ISQ_E10value_typeET4_jRbjT5_SW_jjP12ihipStream_tbEUlT_E1_NS1_11comp_targetILNS1_3genE10ELNS1_11target_archE1201ELNS1_3gpuE5ELNS1_3repE0EEENS1_59segmented_radix_sort_warp_sort_small_config_static_selectorELNS0_4arch9wavefront6targetE0EEEvSK_.kd
    .uniform_work_group_size: 1
    .uses_dynamic_stack: false
    .vgpr_count:     0
    .vgpr_spill_count: 0
    .wavefront_size: 32
    .workgroup_processor_mode: 1
  - .args:
      - .offset:         0
        .size:           88
        .value_kind:     by_value
    .group_segment_fixed_size: 0
    .kernarg_segment_align: 8
    .kernarg_segment_size: 88
    .language:       OpenCL C
    .language_version:
      - 2
      - 0
    .max_flat_workgroup_size: 256
    .name:           _ZN7rocprim17ROCPRIM_400000_NS6detail17trampoline_kernelINS0_14default_configENS1_36segmented_radix_sort_config_selectorIslEEZNS1_25segmented_radix_sort_implIS3_Lb1EPKsPsPKlPlN2at6native12_GLOBAL__N_18offset_tEEE10hipError_tPvRmT1_PNSt15iterator_traitsISK_E10value_typeET2_T3_PNSL_ISQ_E10value_typeET4_jRbjT5_SW_jjP12ihipStream_tbEUlT_E1_NS1_11comp_targetILNS1_3genE10ELNS1_11target_archE1200ELNS1_3gpuE4ELNS1_3repE0EEENS1_59segmented_radix_sort_warp_sort_small_config_static_selectorELNS0_4arch9wavefront6targetE0EEEvSK_
    .private_segment_fixed_size: 0
    .sgpr_count:     0
    .sgpr_spill_count: 0
    .symbol:         _ZN7rocprim17ROCPRIM_400000_NS6detail17trampoline_kernelINS0_14default_configENS1_36segmented_radix_sort_config_selectorIslEEZNS1_25segmented_radix_sort_implIS3_Lb1EPKsPsPKlPlN2at6native12_GLOBAL__N_18offset_tEEE10hipError_tPvRmT1_PNSt15iterator_traitsISK_E10value_typeET2_T3_PNSL_ISQ_E10value_typeET4_jRbjT5_SW_jjP12ihipStream_tbEUlT_E1_NS1_11comp_targetILNS1_3genE10ELNS1_11target_archE1200ELNS1_3gpuE4ELNS1_3repE0EEENS1_59segmented_radix_sort_warp_sort_small_config_static_selectorELNS0_4arch9wavefront6targetE0EEEvSK_.kd
    .uniform_work_group_size: 1
    .uses_dynamic_stack: false
    .vgpr_count:     0
    .vgpr_spill_count: 0
    .wavefront_size: 32
    .workgroup_processor_mode: 1
  - .args:
      - .offset:         0
        .size:           88
        .value_kind:     by_value
      - .offset:         88
        .size:           4
        .value_kind:     hidden_block_count_x
      - .offset:         92
        .size:           4
        .value_kind:     hidden_block_count_y
      - .offset:         96
        .size:           4
        .value_kind:     hidden_block_count_z
      - .offset:         100
        .size:           2
        .value_kind:     hidden_group_size_x
      - .offset:         102
        .size:           2
        .value_kind:     hidden_group_size_y
      - .offset:         104
        .size:           2
        .value_kind:     hidden_group_size_z
      - .offset:         106
        .size:           2
        .value_kind:     hidden_remainder_x
      - .offset:         108
        .size:           2
        .value_kind:     hidden_remainder_y
      - .offset:         110
        .size:           2
        .value_kind:     hidden_remainder_z
      - .offset:         128
        .size:           8
        .value_kind:     hidden_global_offset_x
      - .offset:         136
        .size:           8
        .value_kind:     hidden_global_offset_y
      - .offset:         144
        .size:           8
        .value_kind:     hidden_global_offset_z
      - .offset:         152
        .size:           2
        .value_kind:     hidden_grid_dims
    .group_segment_fixed_size: 10240
    .kernarg_segment_align: 8
    .kernarg_segment_size: 344
    .language:       OpenCL C
    .language_version:
      - 2
      - 0
    .max_flat_workgroup_size: 256
    .name:           _ZN7rocprim17ROCPRIM_400000_NS6detail17trampoline_kernelINS0_14default_configENS1_36segmented_radix_sort_config_selectorIslEEZNS1_25segmented_radix_sort_implIS3_Lb1EPKsPsPKlPlN2at6native12_GLOBAL__N_18offset_tEEE10hipError_tPvRmT1_PNSt15iterator_traitsISK_E10value_typeET2_T3_PNSL_ISQ_E10value_typeET4_jRbjT5_SW_jjP12ihipStream_tbEUlT_E1_NS1_11comp_targetILNS1_3genE9ELNS1_11target_archE1100ELNS1_3gpuE3ELNS1_3repE0EEENS1_59segmented_radix_sort_warp_sort_small_config_static_selectorELNS0_4arch9wavefront6targetE0EEEvSK_
    .private_segment_fixed_size: 0
    .sgpr_count:     35
    .sgpr_spill_count: 0
    .symbol:         _ZN7rocprim17ROCPRIM_400000_NS6detail17trampoline_kernelINS0_14default_configENS1_36segmented_radix_sort_config_selectorIslEEZNS1_25segmented_radix_sort_implIS3_Lb1EPKsPsPKlPlN2at6native12_GLOBAL__N_18offset_tEEE10hipError_tPvRmT1_PNSt15iterator_traitsISK_E10value_typeET2_T3_PNSL_ISQ_E10value_typeET4_jRbjT5_SW_jjP12ihipStream_tbEUlT_E1_NS1_11comp_targetILNS1_3genE9ELNS1_11target_archE1100ELNS1_3gpuE3ELNS1_3repE0EEENS1_59segmented_radix_sort_warp_sort_small_config_static_selectorELNS0_4arch9wavefront6targetE0EEEvSK_.kd
    .uniform_work_group_size: 1
    .uses_dynamic_stack: false
    .vgpr_count:     88
    .vgpr_spill_count: 0
    .wavefront_size: 32
    .workgroup_processor_mode: 1
  - .args:
      - .offset:         0
        .size:           88
        .value_kind:     by_value
    .group_segment_fixed_size: 0
    .kernarg_segment_align: 8
    .kernarg_segment_size: 88
    .language:       OpenCL C
    .language_version:
      - 2
      - 0
    .max_flat_workgroup_size: 256
    .name:           _ZN7rocprim17ROCPRIM_400000_NS6detail17trampoline_kernelINS0_14default_configENS1_36segmented_radix_sort_config_selectorIslEEZNS1_25segmented_radix_sort_implIS3_Lb1EPKsPsPKlPlN2at6native12_GLOBAL__N_18offset_tEEE10hipError_tPvRmT1_PNSt15iterator_traitsISK_E10value_typeET2_T3_PNSL_ISQ_E10value_typeET4_jRbjT5_SW_jjP12ihipStream_tbEUlT_E1_NS1_11comp_targetILNS1_3genE8ELNS1_11target_archE1030ELNS1_3gpuE2ELNS1_3repE0EEENS1_59segmented_radix_sort_warp_sort_small_config_static_selectorELNS0_4arch9wavefront6targetE0EEEvSK_
    .private_segment_fixed_size: 0
    .sgpr_count:     0
    .sgpr_spill_count: 0
    .symbol:         _ZN7rocprim17ROCPRIM_400000_NS6detail17trampoline_kernelINS0_14default_configENS1_36segmented_radix_sort_config_selectorIslEEZNS1_25segmented_radix_sort_implIS3_Lb1EPKsPsPKlPlN2at6native12_GLOBAL__N_18offset_tEEE10hipError_tPvRmT1_PNSt15iterator_traitsISK_E10value_typeET2_T3_PNSL_ISQ_E10value_typeET4_jRbjT5_SW_jjP12ihipStream_tbEUlT_E1_NS1_11comp_targetILNS1_3genE8ELNS1_11target_archE1030ELNS1_3gpuE2ELNS1_3repE0EEENS1_59segmented_radix_sort_warp_sort_small_config_static_selectorELNS0_4arch9wavefront6targetE0EEEvSK_.kd
    .uniform_work_group_size: 1
    .uses_dynamic_stack: false
    .vgpr_count:     0
    .vgpr_spill_count: 0
    .wavefront_size: 32
    .workgroup_processor_mode: 1
  - .args:
      - .offset:         0
        .size:           80
        .value_kind:     by_value
    .group_segment_fixed_size: 0
    .kernarg_segment_align: 8
    .kernarg_segment_size: 80
    .language:       OpenCL C
    .language_version:
      - 2
      - 0
    .max_flat_workgroup_size: 256
    .name:           _ZN7rocprim17ROCPRIM_400000_NS6detail17trampoline_kernelINS0_14default_configENS1_36segmented_radix_sort_config_selectorIslEEZNS1_25segmented_radix_sort_implIS3_Lb1EPKsPsPKlPlN2at6native12_GLOBAL__N_18offset_tEEE10hipError_tPvRmT1_PNSt15iterator_traitsISK_E10value_typeET2_T3_PNSL_ISQ_E10value_typeET4_jRbjT5_SW_jjP12ihipStream_tbEUlT_E2_NS1_11comp_targetILNS1_3genE0ELNS1_11target_archE4294967295ELNS1_3gpuE0ELNS1_3repE0EEENS1_30default_config_static_selectorELNS0_4arch9wavefront6targetE0EEEvSK_
    .private_segment_fixed_size: 0
    .sgpr_count:     0
    .sgpr_spill_count: 0
    .symbol:         _ZN7rocprim17ROCPRIM_400000_NS6detail17trampoline_kernelINS0_14default_configENS1_36segmented_radix_sort_config_selectorIslEEZNS1_25segmented_radix_sort_implIS3_Lb1EPKsPsPKlPlN2at6native12_GLOBAL__N_18offset_tEEE10hipError_tPvRmT1_PNSt15iterator_traitsISK_E10value_typeET2_T3_PNSL_ISQ_E10value_typeET4_jRbjT5_SW_jjP12ihipStream_tbEUlT_E2_NS1_11comp_targetILNS1_3genE0ELNS1_11target_archE4294967295ELNS1_3gpuE0ELNS1_3repE0EEENS1_30default_config_static_selectorELNS0_4arch9wavefront6targetE0EEEvSK_.kd
    .uniform_work_group_size: 1
    .uses_dynamic_stack: false
    .vgpr_count:     0
    .vgpr_spill_count: 0
    .wavefront_size: 32
    .workgroup_processor_mode: 1
  - .args:
      - .offset:         0
        .size:           80
        .value_kind:     by_value
    .group_segment_fixed_size: 0
    .kernarg_segment_align: 8
    .kernarg_segment_size: 80
    .language:       OpenCL C
    .language_version:
      - 2
      - 0
    .max_flat_workgroup_size: 256
    .name:           _ZN7rocprim17ROCPRIM_400000_NS6detail17trampoline_kernelINS0_14default_configENS1_36segmented_radix_sort_config_selectorIslEEZNS1_25segmented_radix_sort_implIS3_Lb1EPKsPsPKlPlN2at6native12_GLOBAL__N_18offset_tEEE10hipError_tPvRmT1_PNSt15iterator_traitsISK_E10value_typeET2_T3_PNSL_ISQ_E10value_typeET4_jRbjT5_SW_jjP12ihipStream_tbEUlT_E2_NS1_11comp_targetILNS1_3genE5ELNS1_11target_archE942ELNS1_3gpuE9ELNS1_3repE0EEENS1_30default_config_static_selectorELNS0_4arch9wavefront6targetE0EEEvSK_
    .private_segment_fixed_size: 0
    .sgpr_count:     0
    .sgpr_spill_count: 0
    .symbol:         _ZN7rocprim17ROCPRIM_400000_NS6detail17trampoline_kernelINS0_14default_configENS1_36segmented_radix_sort_config_selectorIslEEZNS1_25segmented_radix_sort_implIS3_Lb1EPKsPsPKlPlN2at6native12_GLOBAL__N_18offset_tEEE10hipError_tPvRmT1_PNSt15iterator_traitsISK_E10value_typeET2_T3_PNSL_ISQ_E10value_typeET4_jRbjT5_SW_jjP12ihipStream_tbEUlT_E2_NS1_11comp_targetILNS1_3genE5ELNS1_11target_archE942ELNS1_3gpuE9ELNS1_3repE0EEENS1_30default_config_static_selectorELNS0_4arch9wavefront6targetE0EEEvSK_.kd
    .uniform_work_group_size: 1
    .uses_dynamic_stack: false
    .vgpr_count:     0
    .vgpr_spill_count: 0
    .wavefront_size: 32
    .workgroup_processor_mode: 1
  - .args:
      - .offset:         0
        .size:           80
        .value_kind:     by_value
    .group_segment_fixed_size: 0
    .kernarg_segment_align: 8
    .kernarg_segment_size: 80
    .language:       OpenCL C
    .language_version:
      - 2
      - 0
    .max_flat_workgroup_size: 256
    .name:           _ZN7rocprim17ROCPRIM_400000_NS6detail17trampoline_kernelINS0_14default_configENS1_36segmented_radix_sort_config_selectorIslEEZNS1_25segmented_radix_sort_implIS3_Lb1EPKsPsPKlPlN2at6native12_GLOBAL__N_18offset_tEEE10hipError_tPvRmT1_PNSt15iterator_traitsISK_E10value_typeET2_T3_PNSL_ISQ_E10value_typeET4_jRbjT5_SW_jjP12ihipStream_tbEUlT_E2_NS1_11comp_targetILNS1_3genE4ELNS1_11target_archE910ELNS1_3gpuE8ELNS1_3repE0EEENS1_30default_config_static_selectorELNS0_4arch9wavefront6targetE0EEEvSK_
    .private_segment_fixed_size: 0
    .sgpr_count:     0
    .sgpr_spill_count: 0
    .symbol:         _ZN7rocprim17ROCPRIM_400000_NS6detail17trampoline_kernelINS0_14default_configENS1_36segmented_radix_sort_config_selectorIslEEZNS1_25segmented_radix_sort_implIS3_Lb1EPKsPsPKlPlN2at6native12_GLOBAL__N_18offset_tEEE10hipError_tPvRmT1_PNSt15iterator_traitsISK_E10value_typeET2_T3_PNSL_ISQ_E10value_typeET4_jRbjT5_SW_jjP12ihipStream_tbEUlT_E2_NS1_11comp_targetILNS1_3genE4ELNS1_11target_archE910ELNS1_3gpuE8ELNS1_3repE0EEENS1_30default_config_static_selectorELNS0_4arch9wavefront6targetE0EEEvSK_.kd
    .uniform_work_group_size: 1
    .uses_dynamic_stack: false
    .vgpr_count:     0
    .vgpr_spill_count: 0
    .wavefront_size: 32
    .workgroup_processor_mode: 1
  - .args:
      - .offset:         0
        .size:           80
        .value_kind:     by_value
    .group_segment_fixed_size: 0
    .kernarg_segment_align: 8
    .kernarg_segment_size: 80
    .language:       OpenCL C
    .language_version:
      - 2
      - 0
    .max_flat_workgroup_size: 256
    .name:           _ZN7rocprim17ROCPRIM_400000_NS6detail17trampoline_kernelINS0_14default_configENS1_36segmented_radix_sort_config_selectorIslEEZNS1_25segmented_radix_sort_implIS3_Lb1EPKsPsPKlPlN2at6native12_GLOBAL__N_18offset_tEEE10hipError_tPvRmT1_PNSt15iterator_traitsISK_E10value_typeET2_T3_PNSL_ISQ_E10value_typeET4_jRbjT5_SW_jjP12ihipStream_tbEUlT_E2_NS1_11comp_targetILNS1_3genE3ELNS1_11target_archE908ELNS1_3gpuE7ELNS1_3repE0EEENS1_30default_config_static_selectorELNS0_4arch9wavefront6targetE0EEEvSK_
    .private_segment_fixed_size: 0
    .sgpr_count:     0
    .sgpr_spill_count: 0
    .symbol:         _ZN7rocprim17ROCPRIM_400000_NS6detail17trampoline_kernelINS0_14default_configENS1_36segmented_radix_sort_config_selectorIslEEZNS1_25segmented_radix_sort_implIS3_Lb1EPKsPsPKlPlN2at6native12_GLOBAL__N_18offset_tEEE10hipError_tPvRmT1_PNSt15iterator_traitsISK_E10value_typeET2_T3_PNSL_ISQ_E10value_typeET4_jRbjT5_SW_jjP12ihipStream_tbEUlT_E2_NS1_11comp_targetILNS1_3genE3ELNS1_11target_archE908ELNS1_3gpuE7ELNS1_3repE0EEENS1_30default_config_static_selectorELNS0_4arch9wavefront6targetE0EEEvSK_.kd
    .uniform_work_group_size: 1
    .uses_dynamic_stack: false
    .vgpr_count:     0
    .vgpr_spill_count: 0
    .wavefront_size: 32
    .workgroup_processor_mode: 1
  - .args:
      - .offset:         0
        .size:           80
        .value_kind:     by_value
    .group_segment_fixed_size: 0
    .kernarg_segment_align: 8
    .kernarg_segment_size: 80
    .language:       OpenCL C
    .language_version:
      - 2
      - 0
    .max_flat_workgroup_size: 256
    .name:           _ZN7rocprim17ROCPRIM_400000_NS6detail17trampoline_kernelINS0_14default_configENS1_36segmented_radix_sort_config_selectorIslEEZNS1_25segmented_radix_sort_implIS3_Lb1EPKsPsPKlPlN2at6native12_GLOBAL__N_18offset_tEEE10hipError_tPvRmT1_PNSt15iterator_traitsISK_E10value_typeET2_T3_PNSL_ISQ_E10value_typeET4_jRbjT5_SW_jjP12ihipStream_tbEUlT_E2_NS1_11comp_targetILNS1_3genE2ELNS1_11target_archE906ELNS1_3gpuE6ELNS1_3repE0EEENS1_30default_config_static_selectorELNS0_4arch9wavefront6targetE0EEEvSK_
    .private_segment_fixed_size: 0
    .sgpr_count:     0
    .sgpr_spill_count: 0
    .symbol:         _ZN7rocprim17ROCPRIM_400000_NS6detail17trampoline_kernelINS0_14default_configENS1_36segmented_radix_sort_config_selectorIslEEZNS1_25segmented_radix_sort_implIS3_Lb1EPKsPsPKlPlN2at6native12_GLOBAL__N_18offset_tEEE10hipError_tPvRmT1_PNSt15iterator_traitsISK_E10value_typeET2_T3_PNSL_ISQ_E10value_typeET4_jRbjT5_SW_jjP12ihipStream_tbEUlT_E2_NS1_11comp_targetILNS1_3genE2ELNS1_11target_archE906ELNS1_3gpuE6ELNS1_3repE0EEENS1_30default_config_static_selectorELNS0_4arch9wavefront6targetE0EEEvSK_.kd
    .uniform_work_group_size: 1
    .uses_dynamic_stack: false
    .vgpr_count:     0
    .vgpr_spill_count: 0
    .wavefront_size: 32
    .workgroup_processor_mode: 1
  - .args:
      - .offset:         0
        .size:           80
        .value_kind:     by_value
    .group_segment_fixed_size: 0
    .kernarg_segment_align: 8
    .kernarg_segment_size: 80
    .language:       OpenCL C
    .language_version:
      - 2
      - 0
    .max_flat_workgroup_size: 256
    .name:           _ZN7rocprim17ROCPRIM_400000_NS6detail17trampoline_kernelINS0_14default_configENS1_36segmented_radix_sort_config_selectorIslEEZNS1_25segmented_radix_sort_implIS3_Lb1EPKsPsPKlPlN2at6native12_GLOBAL__N_18offset_tEEE10hipError_tPvRmT1_PNSt15iterator_traitsISK_E10value_typeET2_T3_PNSL_ISQ_E10value_typeET4_jRbjT5_SW_jjP12ihipStream_tbEUlT_E2_NS1_11comp_targetILNS1_3genE10ELNS1_11target_archE1201ELNS1_3gpuE5ELNS1_3repE0EEENS1_30default_config_static_selectorELNS0_4arch9wavefront6targetE0EEEvSK_
    .private_segment_fixed_size: 0
    .sgpr_count:     0
    .sgpr_spill_count: 0
    .symbol:         _ZN7rocprim17ROCPRIM_400000_NS6detail17trampoline_kernelINS0_14default_configENS1_36segmented_radix_sort_config_selectorIslEEZNS1_25segmented_radix_sort_implIS3_Lb1EPKsPsPKlPlN2at6native12_GLOBAL__N_18offset_tEEE10hipError_tPvRmT1_PNSt15iterator_traitsISK_E10value_typeET2_T3_PNSL_ISQ_E10value_typeET4_jRbjT5_SW_jjP12ihipStream_tbEUlT_E2_NS1_11comp_targetILNS1_3genE10ELNS1_11target_archE1201ELNS1_3gpuE5ELNS1_3repE0EEENS1_30default_config_static_selectorELNS0_4arch9wavefront6targetE0EEEvSK_.kd
    .uniform_work_group_size: 1
    .uses_dynamic_stack: false
    .vgpr_count:     0
    .vgpr_spill_count: 0
    .wavefront_size: 32
    .workgroup_processor_mode: 1
  - .args:
      - .offset:         0
        .size:           80
        .value_kind:     by_value
    .group_segment_fixed_size: 0
    .kernarg_segment_align: 8
    .kernarg_segment_size: 80
    .language:       OpenCL C
    .language_version:
      - 2
      - 0
    .max_flat_workgroup_size: 128
    .name:           _ZN7rocprim17ROCPRIM_400000_NS6detail17trampoline_kernelINS0_14default_configENS1_36segmented_radix_sort_config_selectorIslEEZNS1_25segmented_radix_sort_implIS3_Lb1EPKsPsPKlPlN2at6native12_GLOBAL__N_18offset_tEEE10hipError_tPvRmT1_PNSt15iterator_traitsISK_E10value_typeET2_T3_PNSL_ISQ_E10value_typeET4_jRbjT5_SW_jjP12ihipStream_tbEUlT_E2_NS1_11comp_targetILNS1_3genE10ELNS1_11target_archE1200ELNS1_3gpuE4ELNS1_3repE0EEENS1_30default_config_static_selectorELNS0_4arch9wavefront6targetE0EEEvSK_
    .private_segment_fixed_size: 0
    .sgpr_count:     0
    .sgpr_spill_count: 0
    .symbol:         _ZN7rocprim17ROCPRIM_400000_NS6detail17trampoline_kernelINS0_14default_configENS1_36segmented_radix_sort_config_selectorIslEEZNS1_25segmented_radix_sort_implIS3_Lb1EPKsPsPKlPlN2at6native12_GLOBAL__N_18offset_tEEE10hipError_tPvRmT1_PNSt15iterator_traitsISK_E10value_typeET2_T3_PNSL_ISQ_E10value_typeET4_jRbjT5_SW_jjP12ihipStream_tbEUlT_E2_NS1_11comp_targetILNS1_3genE10ELNS1_11target_archE1200ELNS1_3gpuE4ELNS1_3repE0EEENS1_30default_config_static_selectorELNS0_4arch9wavefront6targetE0EEEvSK_.kd
    .uniform_work_group_size: 1
    .uses_dynamic_stack: false
    .vgpr_count:     0
    .vgpr_spill_count: 0
    .wavefront_size: 32
    .workgroup_processor_mode: 1
  - .args:
      - .offset:         0
        .size:           80
        .value_kind:     by_value
      - .offset:         80
        .size:           4
        .value_kind:     hidden_block_count_x
      - .offset:         84
        .size:           4
        .value_kind:     hidden_block_count_y
      - .offset:         88
        .size:           4
        .value_kind:     hidden_block_count_z
      - .offset:         92
        .size:           2
        .value_kind:     hidden_group_size_x
      - .offset:         94
        .size:           2
        .value_kind:     hidden_group_size_y
      - .offset:         96
        .size:           2
        .value_kind:     hidden_group_size_z
      - .offset:         98
        .size:           2
        .value_kind:     hidden_remainder_x
      - .offset:         100
        .size:           2
        .value_kind:     hidden_remainder_y
      - .offset:         102
        .size:           2
        .value_kind:     hidden_remainder_z
      - .offset:         120
        .size:           8
        .value_kind:     hidden_global_offset_x
      - .offset:         128
        .size:           8
        .value_kind:     hidden_global_offset_y
      - .offset:         136
        .size:           8
        .value_kind:     hidden_global_offset_z
      - .offset:         144
        .size:           2
        .value_kind:     hidden_grid_dims
    .group_segment_fixed_size: 33824
    .kernarg_segment_align: 8
    .kernarg_segment_size: 336
    .language:       OpenCL C
    .language_version:
      - 2
      - 0
    .max_flat_workgroup_size: 256
    .name:           _ZN7rocprim17ROCPRIM_400000_NS6detail17trampoline_kernelINS0_14default_configENS1_36segmented_radix_sort_config_selectorIslEEZNS1_25segmented_radix_sort_implIS3_Lb1EPKsPsPKlPlN2at6native12_GLOBAL__N_18offset_tEEE10hipError_tPvRmT1_PNSt15iterator_traitsISK_E10value_typeET2_T3_PNSL_ISQ_E10value_typeET4_jRbjT5_SW_jjP12ihipStream_tbEUlT_E2_NS1_11comp_targetILNS1_3genE9ELNS1_11target_archE1100ELNS1_3gpuE3ELNS1_3repE0EEENS1_30default_config_static_selectorELNS0_4arch9wavefront6targetE0EEEvSK_
    .private_segment_fixed_size: 188
    .sgpr_count:     68
    .sgpr_spill_count: 0
    .symbol:         _ZN7rocprim17ROCPRIM_400000_NS6detail17trampoline_kernelINS0_14default_configENS1_36segmented_radix_sort_config_selectorIslEEZNS1_25segmented_radix_sort_implIS3_Lb1EPKsPsPKlPlN2at6native12_GLOBAL__N_18offset_tEEE10hipError_tPvRmT1_PNSt15iterator_traitsISK_E10value_typeET2_T3_PNSL_ISQ_E10value_typeET4_jRbjT5_SW_jjP12ihipStream_tbEUlT_E2_NS1_11comp_targetILNS1_3genE9ELNS1_11target_archE1100ELNS1_3gpuE3ELNS1_3repE0EEENS1_30default_config_static_selectorELNS0_4arch9wavefront6targetE0EEEvSK_.kd
    .uniform_work_group_size: 1
    .uses_dynamic_stack: false
    .vgpr_count:     248
    .vgpr_spill_count: 0
    .wavefront_size: 32
    .workgroup_processor_mode: 1
  - .args:
      - .offset:         0
        .size:           80
        .value_kind:     by_value
    .group_segment_fixed_size: 0
    .kernarg_segment_align: 8
    .kernarg_segment_size: 80
    .language:       OpenCL C
    .language_version:
      - 2
      - 0
    .max_flat_workgroup_size: 256
    .name:           _ZN7rocprim17ROCPRIM_400000_NS6detail17trampoline_kernelINS0_14default_configENS1_36segmented_radix_sort_config_selectorIslEEZNS1_25segmented_radix_sort_implIS3_Lb1EPKsPsPKlPlN2at6native12_GLOBAL__N_18offset_tEEE10hipError_tPvRmT1_PNSt15iterator_traitsISK_E10value_typeET2_T3_PNSL_ISQ_E10value_typeET4_jRbjT5_SW_jjP12ihipStream_tbEUlT_E2_NS1_11comp_targetILNS1_3genE8ELNS1_11target_archE1030ELNS1_3gpuE2ELNS1_3repE0EEENS1_30default_config_static_selectorELNS0_4arch9wavefront6targetE0EEEvSK_
    .private_segment_fixed_size: 0
    .sgpr_count:     0
    .sgpr_spill_count: 0
    .symbol:         _ZN7rocprim17ROCPRIM_400000_NS6detail17trampoline_kernelINS0_14default_configENS1_36segmented_radix_sort_config_selectorIslEEZNS1_25segmented_radix_sort_implIS3_Lb1EPKsPsPKlPlN2at6native12_GLOBAL__N_18offset_tEEE10hipError_tPvRmT1_PNSt15iterator_traitsISK_E10value_typeET2_T3_PNSL_ISQ_E10value_typeET4_jRbjT5_SW_jjP12ihipStream_tbEUlT_E2_NS1_11comp_targetILNS1_3genE8ELNS1_11target_archE1030ELNS1_3gpuE2ELNS1_3repE0EEENS1_30default_config_static_selectorELNS0_4arch9wavefront6targetE0EEEvSK_.kd
    .uniform_work_group_size: 1
    .uses_dynamic_stack: false
    .vgpr_count:     0
    .vgpr_spill_count: 0
    .wavefront_size: 32
    .workgroup_processor_mode: 1
  - .args:
      - .offset:         0
        .size:           176
        .value_kind:     by_value
    .group_segment_fixed_size: 0
    .kernarg_segment_align: 8
    .kernarg_segment_size: 176
    .language:       OpenCL C
    .language_version:
      - 2
      - 0
    .max_flat_workgroup_size: 256
    .name:           _ZN7rocprim17ROCPRIM_400000_NS6detail17trampoline_kernelINS0_13select_configILj256ELj13ELNS0_17block_load_methodE3ELS4_3ELS4_3ELNS0_20block_scan_algorithmE0ELj4294967295EEENS1_25partition_config_selectorILNS1_17partition_subalgoE4EjNS0_10empty_typeEbEEZZNS1_14partition_implILS8_4ELb0ES6_15HIP_vector_typeIjLj2EENS0_17counting_iteratorIjlEEPS9_SG_NS0_5tupleIJPjSI_NS0_16reverse_iteratorISI_EEEEENSH_IJSG_SG_SG_EEES9_SI_JZNS1_25segmented_radix_sort_implINS0_14default_configELb0EPKsPsPKlPlN2at6native12_GLOBAL__N_18offset_tEEE10hipError_tPvRmT1_PNSt15iterator_traitsIS12_E10value_typeET2_T3_PNS13_IS18_E10value_typeET4_jRbjT5_S1E_jjP12ihipStream_tbEUljE_ZNSN_ISO_Lb0ESQ_SR_ST_SU_SY_EESZ_S10_S11_S12_S16_S17_S18_S1B_S1C_jS1D_jS1E_S1E_jjS1G_bEUljE0_EEESZ_S10_S11_S18_S1C_S1E_T6_T7_T9_mT8_S1G_bDpT10_ENKUlT_T0_E_clISt17integral_constantIbLb0EES1U_EEDaS1P_S1Q_EUlS1P_E_NS1_11comp_targetILNS1_3genE0ELNS1_11target_archE4294967295ELNS1_3gpuE0ELNS1_3repE0EEENS1_30default_config_static_selectorELNS0_4arch9wavefront6targetE0EEEvS12_
    .private_segment_fixed_size: 0
    .sgpr_count:     0
    .sgpr_spill_count: 0
    .symbol:         _ZN7rocprim17ROCPRIM_400000_NS6detail17trampoline_kernelINS0_13select_configILj256ELj13ELNS0_17block_load_methodE3ELS4_3ELS4_3ELNS0_20block_scan_algorithmE0ELj4294967295EEENS1_25partition_config_selectorILNS1_17partition_subalgoE4EjNS0_10empty_typeEbEEZZNS1_14partition_implILS8_4ELb0ES6_15HIP_vector_typeIjLj2EENS0_17counting_iteratorIjlEEPS9_SG_NS0_5tupleIJPjSI_NS0_16reverse_iteratorISI_EEEEENSH_IJSG_SG_SG_EEES9_SI_JZNS1_25segmented_radix_sort_implINS0_14default_configELb0EPKsPsPKlPlN2at6native12_GLOBAL__N_18offset_tEEE10hipError_tPvRmT1_PNSt15iterator_traitsIS12_E10value_typeET2_T3_PNS13_IS18_E10value_typeET4_jRbjT5_S1E_jjP12ihipStream_tbEUljE_ZNSN_ISO_Lb0ESQ_SR_ST_SU_SY_EESZ_S10_S11_S12_S16_S17_S18_S1B_S1C_jS1D_jS1E_S1E_jjS1G_bEUljE0_EEESZ_S10_S11_S18_S1C_S1E_T6_T7_T9_mT8_S1G_bDpT10_ENKUlT_T0_E_clISt17integral_constantIbLb0EES1U_EEDaS1P_S1Q_EUlS1P_E_NS1_11comp_targetILNS1_3genE0ELNS1_11target_archE4294967295ELNS1_3gpuE0ELNS1_3repE0EEENS1_30default_config_static_selectorELNS0_4arch9wavefront6targetE0EEEvS12_.kd
    .uniform_work_group_size: 1
    .uses_dynamic_stack: false
    .vgpr_count:     0
    .vgpr_spill_count: 0
    .wavefront_size: 32
    .workgroup_processor_mode: 1
  - .args:
      - .offset:         0
        .size:           176
        .value_kind:     by_value
    .group_segment_fixed_size: 0
    .kernarg_segment_align: 8
    .kernarg_segment_size: 176
    .language:       OpenCL C
    .language_version:
      - 2
      - 0
    .max_flat_workgroup_size: 256
    .name:           _ZN7rocprim17ROCPRIM_400000_NS6detail17trampoline_kernelINS0_13select_configILj256ELj13ELNS0_17block_load_methodE3ELS4_3ELS4_3ELNS0_20block_scan_algorithmE0ELj4294967295EEENS1_25partition_config_selectorILNS1_17partition_subalgoE4EjNS0_10empty_typeEbEEZZNS1_14partition_implILS8_4ELb0ES6_15HIP_vector_typeIjLj2EENS0_17counting_iteratorIjlEEPS9_SG_NS0_5tupleIJPjSI_NS0_16reverse_iteratorISI_EEEEENSH_IJSG_SG_SG_EEES9_SI_JZNS1_25segmented_radix_sort_implINS0_14default_configELb0EPKsPsPKlPlN2at6native12_GLOBAL__N_18offset_tEEE10hipError_tPvRmT1_PNSt15iterator_traitsIS12_E10value_typeET2_T3_PNS13_IS18_E10value_typeET4_jRbjT5_S1E_jjP12ihipStream_tbEUljE_ZNSN_ISO_Lb0ESQ_SR_ST_SU_SY_EESZ_S10_S11_S12_S16_S17_S18_S1B_S1C_jS1D_jS1E_S1E_jjS1G_bEUljE0_EEESZ_S10_S11_S18_S1C_S1E_T6_T7_T9_mT8_S1G_bDpT10_ENKUlT_T0_E_clISt17integral_constantIbLb0EES1U_EEDaS1P_S1Q_EUlS1P_E_NS1_11comp_targetILNS1_3genE5ELNS1_11target_archE942ELNS1_3gpuE9ELNS1_3repE0EEENS1_30default_config_static_selectorELNS0_4arch9wavefront6targetE0EEEvS12_
    .private_segment_fixed_size: 0
    .sgpr_count:     0
    .sgpr_spill_count: 0
    .symbol:         _ZN7rocprim17ROCPRIM_400000_NS6detail17trampoline_kernelINS0_13select_configILj256ELj13ELNS0_17block_load_methodE3ELS4_3ELS4_3ELNS0_20block_scan_algorithmE0ELj4294967295EEENS1_25partition_config_selectorILNS1_17partition_subalgoE4EjNS0_10empty_typeEbEEZZNS1_14partition_implILS8_4ELb0ES6_15HIP_vector_typeIjLj2EENS0_17counting_iteratorIjlEEPS9_SG_NS0_5tupleIJPjSI_NS0_16reverse_iteratorISI_EEEEENSH_IJSG_SG_SG_EEES9_SI_JZNS1_25segmented_radix_sort_implINS0_14default_configELb0EPKsPsPKlPlN2at6native12_GLOBAL__N_18offset_tEEE10hipError_tPvRmT1_PNSt15iterator_traitsIS12_E10value_typeET2_T3_PNS13_IS18_E10value_typeET4_jRbjT5_S1E_jjP12ihipStream_tbEUljE_ZNSN_ISO_Lb0ESQ_SR_ST_SU_SY_EESZ_S10_S11_S12_S16_S17_S18_S1B_S1C_jS1D_jS1E_S1E_jjS1G_bEUljE0_EEESZ_S10_S11_S18_S1C_S1E_T6_T7_T9_mT8_S1G_bDpT10_ENKUlT_T0_E_clISt17integral_constantIbLb0EES1U_EEDaS1P_S1Q_EUlS1P_E_NS1_11comp_targetILNS1_3genE5ELNS1_11target_archE942ELNS1_3gpuE9ELNS1_3repE0EEENS1_30default_config_static_selectorELNS0_4arch9wavefront6targetE0EEEvS12_.kd
    .uniform_work_group_size: 1
    .uses_dynamic_stack: false
    .vgpr_count:     0
    .vgpr_spill_count: 0
    .wavefront_size: 32
    .workgroup_processor_mode: 1
  - .args:
      - .offset:         0
        .size:           176
        .value_kind:     by_value
    .group_segment_fixed_size: 0
    .kernarg_segment_align: 8
    .kernarg_segment_size: 176
    .language:       OpenCL C
    .language_version:
      - 2
      - 0
    .max_flat_workgroup_size: 256
    .name:           _ZN7rocprim17ROCPRIM_400000_NS6detail17trampoline_kernelINS0_13select_configILj256ELj13ELNS0_17block_load_methodE3ELS4_3ELS4_3ELNS0_20block_scan_algorithmE0ELj4294967295EEENS1_25partition_config_selectorILNS1_17partition_subalgoE4EjNS0_10empty_typeEbEEZZNS1_14partition_implILS8_4ELb0ES6_15HIP_vector_typeIjLj2EENS0_17counting_iteratorIjlEEPS9_SG_NS0_5tupleIJPjSI_NS0_16reverse_iteratorISI_EEEEENSH_IJSG_SG_SG_EEES9_SI_JZNS1_25segmented_radix_sort_implINS0_14default_configELb0EPKsPsPKlPlN2at6native12_GLOBAL__N_18offset_tEEE10hipError_tPvRmT1_PNSt15iterator_traitsIS12_E10value_typeET2_T3_PNS13_IS18_E10value_typeET4_jRbjT5_S1E_jjP12ihipStream_tbEUljE_ZNSN_ISO_Lb0ESQ_SR_ST_SU_SY_EESZ_S10_S11_S12_S16_S17_S18_S1B_S1C_jS1D_jS1E_S1E_jjS1G_bEUljE0_EEESZ_S10_S11_S18_S1C_S1E_T6_T7_T9_mT8_S1G_bDpT10_ENKUlT_T0_E_clISt17integral_constantIbLb0EES1U_EEDaS1P_S1Q_EUlS1P_E_NS1_11comp_targetILNS1_3genE4ELNS1_11target_archE910ELNS1_3gpuE8ELNS1_3repE0EEENS1_30default_config_static_selectorELNS0_4arch9wavefront6targetE0EEEvS12_
    .private_segment_fixed_size: 0
    .sgpr_count:     0
    .sgpr_spill_count: 0
    .symbol:         _ZN7rocprim17ROCPRIM_400000_NS6detail17trampoline_kernelINS0_13select_configILj256ELj13ELNS0_17block_load_methodE3ELS4_3ELS4_3ELNS0_20block_scan_algorithmE0ELj4294967295EEENS1_25partition_config_selectorILNS1_17partition_subalgoE4EjNS0_10empty_typeEbEEZZNS1_14partition_implILS8_4ELb0ES6_15HIP_vector_typeIjLj2EENS0_17counting_iteratorIjlEEPS9_SG_NS0_5tupleIJPjSI_NS0_16reverse_iteratorISI_EEEEENSH_IJSG_SG_SG_EEES9_SI_JZNS1_25segmented_radix_sort_implINS0_14default_configELb0EPKsPsPKlPlN2at6native12_GLOBAL__N_18offset_tEEE10hipError_tPvRmT1_PNSt15iterator_traitsIS12_E10value_typeET2_T3_PNS13_IS18_E10value_typeET4_jRbjT5_S1E_jjP12ihipStream_tbEUljE_ZNSN_ISO_Lb0ESQ_SR_ST_SU_SY_EESZ_S10_S11_S12_S16_S17_S18_S1B_S1C_jS1D_jS1E_S1E_jjS1G_bEUljE0_EEESZ_S10_S11_S18_S1C_S1E_T6_T7_T9_mT8_S1G_bDpT10_ENKUlT_T0_E_clISt17integral_constantIbLb0EES1U_EEDaS1P_S1Q_EUlS1P_E_NS1_11comp_targetILNS1_3genE4ELNS1_11target_archE910ELNS1_3gpuE8ELNS1_3repE0EEENS1_30default_config_static_selectorELNS0_4arch9wavefront6targetE0EEEvS12_.kd
    .uniform_work_group_size: 1
    .uses_dynamic_stack: false
    .vgpr_count:     0
    .vgpr_spill_count: 0
    .wavefront_size: 32
    .workgroup_processor_mode: 1
  - .args:
      - .offset:         0
        .size:           176
        .value_kind:     by_value
    .group_segment_fixed_size: 0
    .kernarg_segment_align: 8
    .kernarg_segment_size: 176
    .language:       OpenCL C
    .language_version:
      - 2
      - 0
    .max_flat_workgroup_size: 256
    .name:           _ZN7rocprim17ROCPRIM_400000_NS6detail17trampoline_kernelINS0_13select_configILj256ELj13ELNS0_17block_load_methodE3ELS4_3ELS4_3ELNS0_20block_scan_algorithmE0ELj4294967295EEENS1_25partition_config_selectorILNS1_17partition_subalgoE4EjNS0_10empty_typeEbEEZZNS1_14partition_implILS8_4ELb0ES6_15HIP_vector_typeIjLj2EENS0_17counting_iteratorIjlEEPS9_SG_NS0_5tupleIJPjSI_NS0_16reverse_iteratorISI_EEEEENSH_IJSG_SG_SG_EEES9_SI_JZNS1_25segmented_radix_sort_implINS0_14default_configELb0EPKsPsPKlPlN2at6native12_GLOBAL__N_18offset_tEEE10hipError_tPvRmT1_PNSt15iterator_traitsIS12_E10value_typeET2_T3_PNS13_IS18_E10value_typeET4_jRbjT5_S1E_jjP12ihipStream_tbEUljE_ZNSN_ISO_Lb0ESQ_SR_ST_SU_SY_EESZ_S10_S11_S12_S16_S17_S18_S1B_S1C_jS1D_jS1E_S1E_jjS1G_bEUljE0_EEESZ_S10_S11_S18_S1C_S1E_T6_T7_T9_mT8_S1G_bDpT10_ENKUlT_T0_E_clISt17integral_constantIbLb0EES1U_EEDaS1P_S1Q_EUlS1P_E_NS1_11comp_targetILNS1_3genE3ELNS1_11target_archE908ELNS1_3gpuE7ELNS1_3repE0EEENS1_30default_config_static_selectorELNS0_4arch9wavefront6targetE0EEEvS12_
    .private_segment_fixed_size: 0
    .sgpr_count:     0
    .sgpr_spill_count: 0
    .symbol:         _ZN7rocprim17ROCPRIM_400000_NS6detail17trampoline_kernelINS0_13select_configILj256ELj13ELNS0_17block_load_methodE3ELS4_3ELS4_3ELNS0_20block_scan_algorithmE0ELj4294967295EEENS1_25partition_config_selectorILNS1_17partition_subalgoE4EjNS0_10empty_typeEbEEZZNS1_14partition_implILS8_4ELb0ES6_15HIP_vector_typeIjLj2EENS0_17counting_iteratorIjlEEPS9_SG_NS0_5tupleIJPjSI_NS0_16reverse_iteratorISI_EEEEENSH_IJSG_SG_SG_EEES9_SI_JZNS1_25segmented_radix_sort_implINS0_14default_configELb0EPKsPsPKlPlN2at6native12_GLOBAL__N_18offset_tEEE10hipError_tPvRmT1_PNSt15iterator_traitsIS12_E10value_typeET2_T3_PNS13_IS18_E10value_typeET4_jRbjT5_S1E_jjP12ihipStream_tbEUljE_ZNSN_ISO_Lb0ESQ_SR_ST_SU_SY_EESZ_S10_S11_S12_S16_S17_S18_S1B_S1C_jS1D_jS1E_S1E_jjS1G_bEUljE0_EEESZ_S10_S11_S18_S1C_S1E_T6_T7_T9_mT8_S1G_bDpT10_ENKUlT_T0_E_clISt17integral_constantIbLb0EES1U_EEDaS1P_S1Q_EUlS1P_E_NS1_11comp_targetILNS1_3genE3ELNS1_11target_archE908ELNS1_3gpuE7ELNS1_3repE0EEENS1_30default_config_static_selectorELNS0_4arch9wavefront6targetE0EEEvS12_.kd
    .uniform_work_group_size: 1
    .uses_dynamic_stack: false
    .vgpr_count:     0
    .vgpr_spill_count: 0
    .wavefront_size: 32
    .workgroup_processor_mode: 1
  - .args:
      - .offset:         0
        .size:           176
        .value_kind:     by_value
    .group_segment_fixed_size: 0
    .kernarg_segment_align: 8
    .kernarg_segment_size: 176
    .language:       OpenCL C
    .language_version:
      - 2
      - 0
    .max_flat_workgroup_size: 256
    .name:           _ZN7rocprim17ROCPRIM_400000_NS6detail17trampoline_kernelINS0_13select_configILj256ELj13ELNS0_17block_load_methodE3ELS4_3ELS4_3ELNS0_20block_scan_algorithmE0ELj4294967295EEENS1_25partition_config_selectorILNS1_17partition_subalgoE4EjNS0_10empty_typeEbEEZZNS1_14partition_implILS8_4ELb0ES6_15HIP_vector_typeIjLj2EENS0_17counting_iteratorIjlEEPS9_SG_NS0_5tupleIJPjSI_NS0_16reverse_iteratorISI_EEEEENSH_IJSG_SG_SG_EEES9_SI_JZNS1_25segmented_radix_sort_implINS0_14default_configELb0EPKsPsPKlPlN2at6native12_GLOBAL__N_18offset_tEEE10hipError_tPvRmT1_PNSt15iterator_traitsIS12_E10value_typeET2_T3_PNS13_IS18_E10value_typeET4_jRbjT5_S1E_jjP12ihipStream_tbEUljE_ZNSN_ISO_Lb0ESQ_SR_ST_SU_SY_EESZ_S10_S11_S12_S16_S17_S18_S1B_S1C_jS1D_jS1E_S1E_jjS1G_bEUljE0_EEESZ_S10_S11_S18_S1C_S1E_T6_T7_T9_mT8_S1G_bDpT10_ENKUlT_T0_E_clISt17integral_constantIbLb0EES1U_EEDaS1P_S1Q_EUlS1P_E_NS1_11comp_targetILNS1_3genE2ELNS1_11target_archE906ELNS1_3gpuE6ELNS1_3repE0EEENS1_30default_config_static_selectorELNS0_4arch9wavefront6targetE0EEEvS12_
    .private_segment_fixed_size: 0
    .sgpr_count:     0
    .sgpr_spill_count: 0
    .symbol:         _ZN7rocprim17ROCPRIM_400000_NS6detail17trampoline_kernelINS0_13select_configILj256ELj13ELNS0_17block_load_methodE3ELS4_3ELS4_3ELNS0_20block_scan_algorithmE0ELj4294967295EEENS1_25partition_config_selectorILNS1_17partition_subalgoE4EjNS0_10empty_typeEbEEZZNS1_14partition_implILS8_4ELb0ES6_15HIP_vector_typeIjLj2EENS0_17counting_iteratorIjlEEPS9_SG_NS0_5tupleIJPjSI_NS0_16reverse_iteratorISI_EEEEENSH_IJSG_SG_SG_EEES9_SI_JZNS1_25segmented_radix_sort_implINS0_14default_configELb0EPKsPsPKlPlN2at6native12_GLOBAL__N_18offset_tEEE10hipError_tPvRmT1_PNSt15iterator_traitsIS12_E10value_typeET2_T3_PNS13_IS18_E10value_typeET4_jRbjT5_S1E_jjP12ihipStream_tbEUljE_ZNSN_ISO_Lb0ESQ_SR_ST_SU_SY_EESZ_S10_S11_S12_S16_S17_S18_S1B_S1C_jS1D_jS1E_S1E_jjS1G_bEUljE0_EEESZ_S10_S11_S18_S1C_S1E_T6_T7_T9_mT8_S1G_bDpT10_ENKUlT_T0_E_clISt17integral_constantIbLb0EES1U_EEDaS1P_S1Q_EUlS1P_E_NS1_11comp_targetILNS1_3genE2ELNS1_11target_archE906ELNS1_3gpuE6ELNS1_3repE0EEENS1_30default_config_static_selectorELNS0_4arch9wavefront6targetE0EEEvS12_.kd
    .uniform_work_group_size: 1
    .uses_dynamic_stack: false
    .vgpr_count:     0
    .vgpr_spill_count: 0
    .wavefront_size: 32
    .workgroup_processor_mode: 1
  - .args:
      - .offset:         0
        .size:           176
        .value_kind:     by_value
    .group_segment_fixed_size: 0
    .kernarg_segment_align: 8
    .kernarg_segment_size: 176
    .language:       OpenCL C
    .language_version:
      - 2
      - 0
    .max_flat_workgroup_size: 256
    .name:           _ZN7rocprim17ROCPRIM_400000_NS6detail17trampoline_kernelINS0_13select_configILj256ELj13ELNS0_17block_load_methodE3ELS4_3ELS4_3ELNS0_20block_scan_algorithmE0ELj4294967295EEENS1_25partition_config_selectorILNS1_17partition_subalgoE4EjNS0_10empty_typeEbEEZZNS1_14partition_implILS8_4ELb0ES6_15HIP_vector_typeIjLj2EENS0_17counting_iteratorIjlEEPS9_SG_NS0_5tupleIJPjSI_NS0_16reverse_iteratorISI_EEEEENSH_IJSG_SG_SG_EEES9_SI_JZNS1_25segmented_radix_sort_implINS0_14default_configELb0EPKsPsPKlPlN2at6native12_GLOBAL__N_18offset_tEEE10hipError_tPvRmT1_PNSt15iterator_traitsIS12_E10value_typeET2_T3_PNS13_IS18_E10value_typeET4_jRbjT5_S1E_jjP12ihipStream_tbEUljE_ZNSN_ISO_Lb0ESQ_SR_ST_SU_SY_EESZ_S10_S11_S12_S16_S17_S18_S1B_S1C_jS1D_jS1E_S1E_jjS1G_bEUljE0_EEESZ_S10_S11_S18_S1C_S1E_T6_T7_T9_mT8_S1G_bDpT10_ENKUlT_T0_E_clISt17integral_constantIbLb0EES1U_EEDaS1P_S1Q_EUlS1P_E_NS1_11comp_targetILNS1_3genE10ELNS1_11target_archE1200ELNS1_3gpuE4ELNS1_3repE0EEENS1_30default_config_static_selectorELNS0_4arch9wavefront6targetE0EEEvS12_
    .private_segment_fixed_size: 0
    .sgpr_count:     0
    .sgpr_spill_count: 0
    .symbol:         _ZN7rocprim17ROCPRIM_400000_NS6detail17trampoline_kernelINS0_13select_configILj256ELj13ELNS0_17block_load_methodE3ELS4_3ELS4_3ELNS0_20block_scan_algorithmE0ELj4294967295EEENS1_25partition_config_selectorILNS1_17partition_subalgoE4EjNS0_10empty_typeEbEEZZNS1_14partition_implILS8_4ELb0ES6_15HIP_vector_typeIjLj2EENS0_17counting_iteratorIjlEEPS9_SG_NS0_5tupleIJPjSI_NS0_16reverse_iteratorISI_EEEEENSH_IJSG_SG_SG_EEES9_SI_JZNS1_25segmented_radix_sort_implINS0_14default_configELb0EPKsPsPKlPlN2at6native12_GLOBAL__N_18offset_tEEE10hipError_tPvRmT1_PNSt15iterator_traitsIS12_E10value_typeET2_T3_PNS13_IS18_E10value_typeET4_jRbjT5_S1E_jjP12ihipStream_tbEUljE_ZNSN_ISO_Lb0ESQ_SR_ST_SU_SY_EESZ_S10_S11_S12_S16_S17_S18_S1B_S1C_jS1D_jS1E_S1E_jjS1G_bEUljE0_EEESZ_S10_S11_S18_S1C_S1E_T6_T7_T9_mT8_S1G_bDpT10_ENKUlT_T0_E_clISt17integral_constantIbLb0EES1U_EEDaS1P_S1Q_EUlS1P_E_NS1_11comp_targetILNS1_3genE10ELNS1_11target_archE1200ELNS1_3gpuE4ELNS1_3repE0EEENS1_30default_config_static_selectorELNS0_4arch9wavefront6targetE0EEEvS12_.kd
    .uniform_work_group_size: 1
    .uses_dynamic_stack: false
    .vgpr_count:     0
    .vgpr_spill_count: 0
    .wavefront_size: 32
    .workgroup_processor_mode: 1
  - .args:
      - .offset:         0
        .size:           176
        .value_kind:     by_value
    .group_segment_fixed_size: 13340
    .kernarg_segment_align: 8
    .kernarg_segment_size: 176
    .language:       OpenCL C
    .language_version:
      - 2
      - 0
    .max_flat_workgroup_size: 256
    .name:           _ZN7rocprim17ROCPRIM_400000_NS6detail17trampoline_kernelINS0_13select_configILj256ELj13ELNS0_17block_load_methodE3ELS4_3ELS4_3ELNS0_20block_scan_algorithmE0ELj4294967295EEENS1_25partition_config_selectorILNS1_17partition_subalgoE4EjNS0_10empty_typeEbEEZZNS1_14partition_implILS8_4ELb0ES6_15HIP_vector_typeIjLj2EENS0_17counting_iteratorIjlEEPS9_SG_NS0_5tupleIJPjSI_NS0_16reverse_iteratorISI_EEEEENSH_IJSG_SG_SG_EEES9_SI_JZNS1_25segmented_radix_sort_implINS0_14default_configELb0EPKsPsPKlPlN2at6native12_GLOBAL__N_18offset_tEEE10hipError_tPvRmT1_PNSt15iterator_traitsIS12_E10value_typeET2_T3_PNS13_IS18_E10value_typeET4_jRbjT5_S1E_jjP12ihipStream_tbEUljE_ZNSN_ISO_Lb0ESQ_SR_ST_SU_SY_EESZ_S10_S11_S12_S16_S17_S18_S1B_S1C_jS1D_jS1E_S1E_jjS1G_bEUljE0_EEESZ_S10_S11_S18_S1C_S1E_T6_T7_T9_mT8_S1G_bDpT10_ENKUlT_T0_E_clISt17integral_constantIbLb0EES1U_EEDaS1P_S1Q_EUlS1P_E_NS1_11comp_targetILNS1_3genE9ELNS1_11target_archE1100ELNS1_3gpuE3ELNS1_3repE0EEENS1_30default_config_static_selectorELNS0_4arch9wavefront6targetE0EEEvS12_
    .private_segment_fixed_size: 0
    .sgpr_count:     61
    .sgpr_spill_count: 0
    .symbol:         _ZN7rocprim17ROCPRIM_400000_NS6detail17trampoline_kernelINS0_13select_configILj256ELj13ELNS0_17block_load_methodE3ELS4_3ELS4_3ELNS0_20block_scan_algorithmE0ELj4294967295EEENS1_25partition_config_selectorILNS1_17partition_subalgoE4EjNS0_10empty_typeEbEEZZNS1_14partition_implILS8_4ELb0ES6_15HIP_vector_typeIjLj2EENS0_17counting_iteratorIjlEEPS9_SG_NS0_5tupleIJPjSI_NS0_16reverse_iteratorISI_EEEEENSH_IJSG_SG_SG_EEES9_SI_JZNS1_25segmented_radix_sort_implINS0_14default_configELb0EPKsPsPKlPlN2at6native12_GLOBAL__N_18offset_tEEE10hipError_tPvRmT1_PNSt15iterator_traitsIS12_E10value_typeET2_T3_PNS13_IS18_E10value_typeET4_jRbjT5_S1E_jjP12ihipStream_tbEUljE_ZNSN_ISO_Lb0ESQ_SR_ST_SU_SY_EESZ_S10_S11_S12_S16_S17_S18_S1B_S1C_jS1D_jS1E_S1E_jjS1G_bEUljE0_EEESZ_S10_S11_S18_S1C_S1E_T6_T7_T9_mT8_S1G_bDpT10_ENKUlT_T0_E_clISt17integral_constantIbLb0EES1U_EEDaS1P_S1Q_EUlS1P_E_NS1_11comp_targetILNS1_3genE9ELNS1_11target_archE1100ELNS1_3gpuE3ELNS1_3repE0EEENS1_30default_config_static_selectorELNS0_4arch9wavefront6targetE0EEEvS12_.kd
    .uniform_work_group_size: 1
    .uses_dynamic_stack: false
    .vgpr_count:     98
    .vgpr_spill_count: 0
    .wavefront_size: 32
    .workgroup_processor_mode: 1
  - .args:
      - .offset:         0
        .size:           176
        .value_kind:     by_value
    .group_segment_fixed_size: 0
    .kernarg_segment_align: 8
    .kernarg_segment_size: 176
    .language:       OpenCL C
    .language_version:
      - 2
      - 0
    .max_flat_workgroup_size: 256
    .name:           _ZN7rocprim17ROCPRIM_400000_NS6detail17trampoline_kernelINS0_13select_configILj256ELj13ELNS0_17block_load_methodE3ELS4_3ELS4_3ELNS0_20block_scan_algorithmE0ELj4294967295EEENS1_25partition_config_selectorILNS1_17partition_subalgoE4EjNS0_10empty_typeEbEEZZNS1_14partition_implILS8_4ELb0ES6_15HIP_vector_typeIjLj2EENS0_17counting_iteratorIjlEEPS9_SG_NS0_5tupleIJPjSI_NS0_16reverse_iteratorISI_EEEEENSH_IJSG_SG_SG_EEES9_SI_JZNS1_25segmented_radix_sort_implINS0_14default_configELb0EPKsPsPKlPlN2at6native12_GLOBAL__N_18offset_tEEE10hipError_tPvRmT1_PNSt15iterator_traitsIS12_E10value_typeET2_T3_PNS13_IS18_E10value_typeET4_jRbjT5_S1E_jjP12ihipStream_tbEUljE_ZNSN_ISO_Lb0ESQ_SR_ST_SU_SY_EESZ_S10_S11_S12_S16_S17_S18_S1B_S1C_jS1D_jS1E_S1E_jjS1G_bEUljE0_EEESZ_S10_S11_S18_S1C_S1E_T6_T7_T9_mT8_S1G_bDpT10_ENKUlT_T0_E_clISt17integral_constantIbLb0EES1U_EEDaS1P_S1Q_EUlS1P_E_NS1_11comp_targetILNS1_3genE8ELNS1_11target_archE1030ELNS1_3gpuE2ELNS1_3repE0EEENS1_30default_config_static_selectorELNS0_4arch9wavefront6targetE0EEEvS12_
    .private_segment_fixed_size: 0
    .sgpr_count:     0
    .sgpr_spill_count: 0
    .symbol:         _ZN7rocprim17ROCPRIM_400000_NS6detail17trampoline_kernelINS0_13select_configILj256ELj13ELNS0_17block_load_methodE3ELS4_3ELS4_3ELNS0_20block_scan_algorithmE0ELj4294967295EEENS1_25partition_config_selectorILNS1_17partition_subalgoE4EjNS0_10empty_typeEbEEZZNS1_14partition_implILS8_4ELb0ES6_15HIP_vector_typeIjLj2EENS0_17counting_iteratorIjlEEPS9_SG_NS0_5tupleIJPjSI_NS0_16reverse_iteratorISI_EEEEENSH_IJSG_SG_SG_EEES9_SI_JZNS1_25segmented_radix_sort_implINS0_14default_configELb0EPKsPsPKlPlN2at6native12_GLOBAL__N_18offset_tEEE10hipError_tPvRmT1_PNSt15iterator_traitsIS12_E10value_typeET2_T3_PNS13_IS18_E10value_typeET4_jRbjT5_S1E_jjP12ihipStream_tbEUljE_ZNSN_ISO_Lb0ESQ_SR_ST_SU_SY_EESZ_S10_S11_S12_S16_S17_S18_S1B_S1C_jS1D_jS1E_S1E_jjS1G_bEUljE0_EEESZ_S10_S11_S18_S1C_S1E_T6_T7_T9_mT8_S1G_bDpT10_ENKUlT_T0_E_clISt17integral_constantIbLb0EES1U_EEDaS1P_S1Q_EUlS1P_E_NS1_11comp_targetILNS1_3genE8ELNS1_11target_archE1030ELNS1_3gpuE2ELNS1_3repE0EEENS1_30default_config_static_selectorELNS0_4arch9wavefront6targetE0EEEvS12_.kd
    .uniform_work_group_size: 1
    .uses_dynamic_stack: false
    .vgpr_count:     0
    .vgpr_spill_count: 0
    .wavefront_size: 32
    .workgroup_processor_mode: 1
  - .args:
      - .offset:         0
        .size:           184
        .value_kind:     by_value
    .group_segment_fixed_size: 0
    .kernarg_segment_align: 8
    .kernarg_segment_size: 184
    .language:       OpenCL C
    .language_version:
      - 2
      - 0
    .max_flat_workgroup_size: 256
    .name:           _ZN7rocprim17ROCPRIM_400000_NS6detail17trampoline_kernelINS0_13select_configILj256ELj13ELNS0_17block_load_methodE3ELS4_3ELS4_3ELNS0_20block_scan_algorithmE0ELj4294967295EEENS1_25partition_config_selectorILNS1_17partition_subalgoE4EjNS0_10empty_typeEbEEZZNS1_14partition_implILS8_4ELb0ES6_15HIP_vector_typeIjLj2EENS0_17counting_iteratorIjlEEPS9_SG_NS0_5tupleIJPjSI_NS0_16reverse_iteratorISI_EEEEENSH_IJSG_SG_SG_EEES9_SI_JZNS1_25segmented_radix_sort_implINS0_14default_configELb0EPKsPsPKlPlN2at6native12_GLOBAL__N_18offset_tEEE10hipError_tPvRmT1_PNSt15iterator_traitsIS12_E10value_typeET2_T3_PNS13_IS18_E10value_typeET4_jRbjT5_S1E_jjP12ihipStream_tbEUljE_ZNSN_ISO_Lb0ESQ_SR_ST_SU_SY_EESZ_S10_S11_S12_S16_S17_S18_S1B_S1C_jS1D_jS1E_S1E_jjS1G_bEUljE0_EEESZ_S10_S11_S18_S1C_S1E_T6_T7_T9_mT8_S1G_bDpT10_ENKUlT_T0_E_clISt17integral_constantIbLb1EES1U_EEDaS1P_S1Q_EUlS1P_E_NS1_11comp_targetILNS1_3genE0ELNS1_11target_archE4294967295ELNS1_3gpuE0ELNS1_3repE0EEENS1_30default_config_static_selectorELNS0_4arch9wavefront6targetE0EEEvS12_
    .private_segment_fixed_size: 0
    .sgpr_count:     0
    .sgpr_spill_count: 0
    .symbol:         _ZN7rocprim17ROCPRIM_400000_NS6detail17trampoline_kernelINS0_13select_configILj256ELj13ELNS0_17block_load_methodE3ELS4_3ELS4_3ELNS0_20block_scan_algorithmE0ELj4294967295EEENS1_25partition_config_selectorILNS1_17partition_subalgoE4EjNS0_10empty_typeEbEEZZNS1_14partition_implILS8_4ELb0ES6_15HIP_vector_typeIjLj2EENS0_17counting_iteratorIjlEEPS9_SG_NS0_5tupleIJPjSI_NS0_16reverse_iteratorISI_EEEEENSH_IJSG_SG_SG_EEES9_SI_JZNS1_25segmented_radix_sort_implINS0_14default_configELb0EPKsPsPKlPlN2at6native12_GLOBAL__N_18offset_tEEE10hipError_tPvRmT1_PNSt15iterator_traitsIS12_E10value_typeET2_T3_PNS13_IS18_E10value_typeET4_jRbjT5_S1E_jjP12ihipStream_tbEUljE_ZNSN_ISO_Lb0ESQ_SR_ST_SU_SY_EESZ_S10_S11_S12_S16_S17_S18_S1B_S1C_jS1D_jS1E_S1E_jjS1G_bEUljE0_EEESZ_S10_S11_S18_S1C_S1E_T6_T7_T9_mT8_S1G_bDpT10_ENKUlT_T0_E_clISt17integral_constantIbLb1EES1U_EEDaS1P_S1Q_EUlS1P_E_NS1_11comp_targetILNS1_3genE0ELNS1_11target_archE4294967295ELNS1_3gpuE0ELNS1_3repE0EEENS1_30default_config_static_selectorELNS0_4arch9wavefront6targetE0EEEvS12_.kd
    .uniform_work_group_size: 1
    .uses_dynamic_stack: false
    .vgpr_count:     0
    .vgpr_spill_count: 0
    .wavefront_size: 32
    .workgroup_processor_mode: 1
  - .args:
      - .offset:         0
        .size:           184
        .value_kind:     by_value
    .group_segment_fixed_size: 0
    .kernarg_segment_align: 8
    .kernarg_segment_size: 184
    .language:       OpenCL C
    .language_version:
      - 2
      - 0
    .max_flat_workgroup_size: 256
    .name:           _ZN7rocprim17ROCPRIM_400000_NS6detail17trampoline_kernelINS0_13select_configILj256ELj13ELNS0_17block_load_methodE3ELS4_3ELS4_3ELNS0_20block_scan_algorithmE0ELj4294967295EEENS1_25partition_config_selectorILNS1_17partition_subalgoE4EjNS0_10empty_typeEbEEZZNS1_14partition_implILS8_4ELb0ES6_15HIP_vector_typeIjLj2EENS0_17counting_iteratorIjlEEPS9_SG_NS0_5tupleIJPjSI_NS0_16reverse_iteratorISI_EEEEENSH_IJSG_SG_SG_EEES9_SI_JZNS1_25segmented_radix_sort_implINS0_14default_configELb0EPKsPsPKlPlN2at6native12_GLOBAL__N_18offset_tEEE10hipError_tPvRmT1_PNSt15iterator_traitsIS12_E10value_typeET2_T3_PNS13_IS18_E10value_typeET4_jRbjT5_S1E_jjP12ihipStream_tbEUljE_ZNSN_ISO_Lb0ESQ_SR_ST_SU_SY_EESZ_S10_S11_S12_S16_S17_S18_S1B_S1C_jS1D_jS1E_S1E_jjS1G_bEUljE0_EEESZ_S10_S11_S18_S1C_S1E_T6_T7_T9_mT8_S1G_bDpT10_ENKUlT_T0_E_clISt17integral_constantIbLb1EES1U_EEDaS1P_S1Q_EUlS1P_E_NS1_11comp_targetILNS1_3genE5ELNS1_11target_archE942ELNS1_3gpuE9ELNS1_3repE0EEENS1_30default_config_static_selectorELNS0_4arch9wavefront6targetE0EEEvS12_
    .private_segment_fixed_size: 0
    .sgpr_count:     0
    .sgpr_spill_count: 0
    .symbol:         _ZN7rocprim17ROCPRIM_400000_NS6detail17trampoline_kernelINS0_13select_configILj256ELj13ELNS0_17block_load_methodE3ELS4_3ELS4_3ELNS0_20block_scan_algorithmE0ELj4294967295EEENS1_25partition_config_selectorILNS1_17partition_subalgoE4EjNS0_10empty_typeEbEEZZNS1_14partition_implILS8_4ELb0ES6_15HIP_vector_typeIjLj2EENS0_17counting_iteratorIjlEEPS9_SG_NS0_5tupleIJPjSI_NS0_16reverse_iteratorISI_EEEEENSH_IJSG_SG_SG_EEES9_SI_JZNS1_25segmented_radix_sort_implINS0_14default_configELb0EPKsPsPKlPlN2at6native12_GLOBAL__N_18offset_tEEE10hipError_tPvRmT1_PNSt15iterator_traitsIS12_E10value_typeET2_T3_PNS13_IS18_E10value_typeET4_jRbjT5_S1E_jjP12ihipStream_tbEUljE_ZNSN_ISO_Lb0ESQ_SR_ST_SU_SY_EESZ_S10_S11_S12_S16_S17_S18_S1B_S1C_jS1D_jS1E_S1E_jjS1G_bEUljE0_EEESZ_S10_S11_S18_S1C_S1E_T6_T7_T9_mT8_S1G_bDpT10_ENKUlT_T0_E_clISt17integral_constantIbLb1EES1U_EEDaS1P_S1Q_EUlS1P_E_NS1_11comp_targetILNS1_3genE5ELNS1_11target_archE942ELNS1_3gpuE9ELNS1_3repE0EEENS1_30default_config_static_selectorELNS0_4arch9wavefront6targetE0EEEvS12_.kd
    .uniform_work_group_size: 1
    .uses_dynamic_stack: false
    .vgpr_count:     0
    .vgpr_spill_count: 0
    .wavefront_size: 32
    .workgroup_processor_mode: 1
  - .args:
      - .offset:         0
        .size:           184
        .value_kind:     by_value
    .group_segment_fixed_size: 0
    .kernarg_segment_align: 8
    .kernarg_segment_size: 184
    .language:       OpenCL C
    .language_version:
      - 2
      - 0
    .max_flat_workgroup_size: 256
    .name:           _ZN7rocprim17ROCPRIM_400000_NS6detail17trampoline_kernelINS0_13select_configILj256ELj13ELNS0_17block_load_methodE3ELS4_3ELS4_3ELNS0_20block_scan_algorithmE0ELj4294967295EEENS1_25partition_config_selectorILNS1_17partition_subalgoE4EjNS0_10empty_typeEbEEZZNS1_14partition_implILS8_4ELb0ES6_15HIP_vector_typeIjLj2EENS0_17counting_iteratorIjlEEPS9_SG_NS0_5tupleIJPjSI_NS0_16reverse_iteratorISI_EEEEENSH_IJSG_SG_SG_EEES9_SI_JZNS1_25segmented_radix_sort_implINS0_14default_configELb0EPKsPsPKlPlN2at6native12_GLOBAL__N_18offset_tEEE10hipError_tPvRmT1_PNSt15iterator_traitsIS12_E10value_typeET2_T3_PNS13_IS18_E10value_typeET4_jRbjT5_S1E_jjP12ihipStream_tbEUljE_ZNSN_ISO_Lb0ESQ_SR_ST_SU_SY_EESZ_S10_S11_S12_S16_S17_S18_S1B_S1C_jS1D_jS1E_S1E_jjS1G_bEUljE0_EEESZ_S10_S11_S18_S1C_S1E_T6_T7_T9_mT8_S1G_bDpT10_ENKUlT_T0_E_clISt17integral_constantIbLb1EES1U_EEDaS1P_S1Q_EUlS1P_E_NS1_11comp_targetILNS1_3genE4ELNS1_11target_archE910ELNS1_3gpuE8ELNS1_3repE0EEENS1_30default_config_static_selectorELNS0_4arch9wavefront6targetE0EEEvS12_
    .private_segment_fixed_size: 0
    .sgpr_count:     0
    .sgpr_spill_count: 0
    .symbol:         _ZN7rocprim17ROCPRIM_400000_NS6detail17trampoline_kernelINS0_13select_configILj256ELj13ELNS0_17block_load_methodE3ELS4_3ELS4_3ELNS0_20block_scan_algorithmE0ELj4294967295EEENS1_25partition_config_selectorILNS1_17partition_subalgoE4EjNS0_10empty_typeEbEEZZNS1_14partition_implILS8_4ELb0ES6_15HIP_vector_typeIjLj2EENS0_17counting_iteratorIjlEEPS9_SG_NS0_5tupleIJPjSI_NS0_16reverse_iteratorISI_EEEEENSH_IJSG_SG_SG_EEES9_SI_JZNS1_25segmented_radix_sort_implINS0_14default_configELb0EPKsPsPKlPlN2at6native12_GLOBAL__N_18offset_tEEE10hipError_tPvRmT1_PNSt15iterator_traitsIS12_E10value_typeET2_T3_PNS13_IS18_E10value_typeET4_jRbjT5_S1E_jjP12ihipStream_tbEUljE_ZNSN_ISO_Lb0ESQ_SR_ST_SU_SY_EESZ_S10_S11_S12_S16_S17_S18_S1B_S1C_jS1D_jS1E_S1E_jjS1G_bEUljE0_EEESZ_S10_S11_S18_S1C_S1E_T6_T7_T9_mT8_S1G_bDpT10_ENKUlT_T0_E_clISt17integral_constantIbLb1EES1U_EEDaS1P_S1Q_EUlS1P_E_NS1_11comp_targetILNS1_3genE4ELNS1_11target_archE910ELNS1_3gpuE8ELNS1_3repE0EEENS1_30default_config_static_selectorELNS0_4arch9wavefront6targetE0EEEvS12_.kd
    .uniform_work_group_size: 1
    .uses_dynamic_stack: false
    .vgpr_count:     0
    .vgpr_spill_count: 0
    .wavefront_size: 32
    .workgroup_processor_mode: 1
  - .args:
      - .offset:         0
        .size:           184
        .value_kind:     by_value
    .group_segment_fixed_size: 0
    .kernarg_segment_align: 8
    .kernarg_segment_size: 184
    .language:       OpenCL C
    .language_version:
      - 2
      - 0
    .max_flat_workgroup_size: 256
    .name:           _ZN7rocprim17ROCPRIM_400000_NS6detail17trampoline_kernelINS0_13select_configILj256ELj13ELNS0_17block_load_methodE3ELS4_3ELS4_3ELNS0_20block_scan_algorithmE0ELj4294967295EEENS1_25partition_config_selectorILNS1_17partition_subalgoE4EjNS0_10empty_typeEbEEZZNS1_14partition_implILS8_4ELb0ES6_15HIP_vector_typeIjLj2EENS0_17counting_iteratorIjlEEPS9_SG_NS0_5tupleIJPjSI_NS0_16reverse_iteratorISI_EEEEENSH_IJSG_SG_SG_EEES9_SI_JZNS1_25segmented_radix_sort_implINS0_14default_configELb0EPKsPsPKlPlN2at6native12_GLOBAL__N_18offset_tEEE10hipError_tPvRmT1_PNSt15iterator_traitsIS12_E10value_typeET2_T3_PNS13_IS18_E10value_typeET4_jRbjT5_S1E_jjP12ihipStream_tbEUljE_ZNSN_ISO_Lb0ESQ_SR_ST_SU_SY_EESZ_S10_S11_S12_S16_S17_S18_S1B_S1C_jS1D_jS1E_S1E_jjS1G_bEUljE0_EEESZ_S10_S11_S18_S1C_S1E_T6_T7_T9_mT8_S1G_bDpT10_ENKUlT_T0_E_clISt17integral_constantIbLb1EES1U_EEDaS1P_S1Q_EUlS1P_E_NS1_11comp_targetILNS1_3genE3ELNS1_11target_archE908ELNS1_3gpuE7ELNS1_3repE0EEENS1_30default_config_static_selectorELNS0_4arch9wavefront6targetE0EEEvS12_
    .private_segment_fixed_size: 0
    .sgpr_count:     0
    .sgpr_spill_count: 0
    .symbol:         _ZN7rocprim17ROCPRIM_400000_NS6detail17trampoline_kernelINS0_13select_configILj256ELj13ELNS0_17block_load_methodE3ELS4_3ELS4_3ELNS0_20block_scan_algorithmE0ELj4294967295EEENS1_25partition_config_selectorILNS1_17partition_subalgoE4EjNS0_10empty_typeEbEEZZNS1_14partition_implILS8_4ELb0ES6_15HIP_vector_typeIjLj2EENS0_17counting_iteratorIjlEEPS9_SG_NS0_5tupleIJPjSI_NS0_16reverse_iteratorISI_EEEEENSH_IJSG_SG_SG_EEES9_SI_JZNS1_25segmented_radix_sort_implINS0_14default_configELb0EPKsPsPKlPlN2at6native12_GLOBAL__N_18offset_tEEE10hipError_tPvRmT1_PNSt15iterator_traitsIS12_E10value_typeET2_T3_PNS13_IS18_E10value_typeET4_jRbjT5_S1E_jjP12ihipStream_tbEUljE_ZNSN_ISO_Lb0ESQ_SR_ST_SU_SY_EESZ_S10_S11_S12_S16_S17_S18_S1B_S1C_jS1D_jS1E_S1E_jjS1G_bEUljE0_EEESZ_S10_S11_S18_S1C_S1E_T6_T7_T9_mT8_S1G_bDpT10_ENKUlT_T0_E_clISt17integral_constantIbLb1EES1U_EEDaS1P_S1Q_EUlS1P_E_NS1_11comp_targetILNS1_3genE3ELNS1_11target_archE908ELNS1_3gpuE7ELNS1_3repE0EEENS1_30default_config_static_selectorELNS0_4arch9wavefront6targetE0EEEvS12_.kd
    .uniform_work_group_size: 1
    .uses_dynamic_stack: false
    .vgpr_count:     0
    .vgpr_spill_count: 0
    .wavefront_size: 32
    .workgroup_processor_mode: 1
  - .args:
      - .offset:         0
        .size:           184
        .value_kind:     by_value
    .group_segment_fixed_size: 0
    .kernarg_segment_align: 8
    .kernarg_segment_size: 184
    .language:       OpenCL C
    .language_version:
      - 2
      - 0
    .max_flat_workgroup_size: 256
    .name:           _ZN7rocprim17ROCPRIM_400000_NS6detail17trampoline_kernelINS0_13select_configILj256ELj13ELNS0_17block_load_methodE3ELS4_3ELS4_3ELNS0_20block_scan_algorithmE0ELj4294967295EEENS1_25partition_config_selectorILNS1_17partition_subalgoE4EjNS0_10empty_typeEbEEZZNS1_14partition_implILS8_4ELb0ES6_15HIP_vector_typeIjLj2EENS0_17counting_iteratorIjlEEPS9_SG_NS0_5tupleIJPjSI_NS0_16reverse_iteratorISI_EEEEENSH_IJSG_SG_SG_EEES9_SI_JZNS1_25segmented_radix_sort_implINS0_14default_configELb0EPKsPsPKlPlN2at6native12_GLOBAL__N_18offset_tEEE10hipError_tPvRmT1_PNSt15iterator_traitsIS12_E10value_typeET2_T3_PNS13_IS18_E10value_typeET4_jRbjT5_S1E_jjP12ihipStream_tbEUljE_ZNSN_ISO_Lb0ESQ_SR_ST_SU_SY_EESZ_S10_S11_S12_S16_S17_S18_S1B_S1C_jS1D_jS1E_S1E_jjS1G_bEUljE0_EEESZ_S10_S11_S18_S1C_S1E_T6_T7_T9_mT8_S1G_bDpT10_ENKUlT_T0_E_clISt17integral_constantIbLb1EES1U_EEDaS1P_S1Q_EUlS1P_E_NS1_11comp_targetILNS1_3genE2ELNS1_11target_archE906ELNS1_3gpuE6ELNS1_3repE0EEENS1_30default_config_static_selectorELNS0_4arch9wavefront6targetE0EEEvS12_
    .private_segment_fixed_size: 0
    .sgpr_count:     0
    .sgpr_spill_count: 0
    .symbol:         _ZN7rocprim17ROCPRIM_400000_NS6detail17trampoline_kernelINS0_13select_configILj256ELj13ELNS0_17block_load_methodE3ELS4_3ELS4_3ELNS0_20block_scan_algorithmE0ELj4294967295EEENS1_25partition_config_selectorILNS1_17partition_subalgoE4EjNS0_10empty_typeEbEEZZNS1_14partition_implILS8_4ELb0ES6_15HIP_vector_typeIjLj2EENS0_17counting_iteratorIjlEEPS9_SG_NS0_5tupleIJPjSI_NS0_16reverse_iteratorISI_EEEEENSH_IJSG_SG_SG_EEES9_SI_JZNS1_25segmented_radix_sort_implINS0_14default_configELb0EPKsPsPKlPlN2at6native12_GLOBAL__N_18offset_tEEE10hipError_tPvRmT1_PNSt15iterator_traitsIS12_E10value_typeET2_T3_PNS13_IS18_E10value_typeET4_jRbjT5_S1E_jjP12ihipStream_tbEUljE_ZNSN_ISO_Lb0ESQ_SR_ST_SU_SY_EESZ_S10_S11_S12_S16_S17_S18_S1B_S1C_jS1D_jS1E_S1E_jjS1G_bEUljE0_EEESZ_S10_S11_S18_S1C_S1E_T6_T7_T9_mT8_S1G_bDpT10_ENKUlT_T0_E_clISt17integral_constantIbLb1EES1U_EEDaS1P_S1Q_EUlS1P_E_NS1_11comp_targetILNS1_3genE2ELNS1_11target_archE906ELNS1_3gpuE6ELNS1_3repE0EEENS1_30default_config_static_selectorELNS0_4arch9wavefront6targetE0EEEvS12_.kd
    .uniform_work_group_size: 1
    .uses_dynamic_stack: false
    .vgpr_count:     0
    .vgpr_spill_count: 0
    .wavefront_size: 32
    .workgroup_processor_mode: 1
  - .args:
      - .offset:         0
        .size:           184
        .value_kind:     by_value
    .group_segment_fixed_size: 0
    .kernarg_segment_align: 8
    .kernarg_segment_size: 184
    .language:       OpenCL C
    .language_version:
      - 2
      - 0
    .max_flat_workgroup_size: 256
    .name:           _ZN7rocprim17ROCPRIM_400000_NS6detail17trampoline_kernelINS0_13select_configILj256ELj13ELNS0_17block_load_methodE3ELS4_3ELS4_3ELNS0_20block_scan_algorithmE0ELj4294967295EEENS1_25partition_config_selectorILNS1_17partition_subalgoE4EjNS0_10empty_typeEbEEZZNS1_14partition_implILS8_4ELb0ES6_15HIP_vector_typeIjLj2EENS0_17counting_iteratorIjlEEPS9_SG_NS0_5tupleIJPjSI_NS0_16reverse_iteratorISI_EEEEENSH_IJSG_SG_SG_EEES9_SI_JZNS1_25segmented_radix_sort_implINS0_14default_configELb0EPKsPsPKlPlN2at6native12_GLOBAL__N_18offset_tEEE10hipError_tPvRmT1_PNSt15iterator_traitsIS12_E10value_typeET2_T3_PNS13_IS18_E10value_typeET4_jRbjT5_S1E_jjP12ihipStream_tbEUljE_ZNSN_ISO_Lb0ESQ_SR_ST_SU_SY_EESZ_S10_S11_S12_S16_S17_S18_S1B_S1C_jS1D_jS1E_S1E_jjS1G_bEUljE0_EEESZ_S10_S11_S18_S1C_S1E_T6_T7_T9_mT8_S1G_bDpT10_ENKUlT_T0_E_clISt17integral_constantIbLb1EES1U_EEDaS1P_S1Q_EUlS1P_E_NS1_11comp_targetILNS1_3genE10ELNS1_11target_archE1200ELNS1_3gpuE4ELNS1_3repE0EEENS1_30default_config_static_selectorELNS0_4arch9wavefront6targetE0EEEvS12_
    .private_segment_fixed_size: 0
    .sgpr_count:     0
    .sgpr_spill_count: 0
    .symbol:         _ZN7rocprim17ROCPRIM_400000_NS6detail17trampoline_kernelINS0_13select_configILj256ELj13ELNS0_17block_load_methodE3ELS4_3ELS4_3ELNS0_20block_scan_algorithmE0ELj4294967295EEENS1_25partition_config_selectorILNS1_17partition_subalgoE4EjNS0_10empty_typeEbEEZZNS1_14partition_implILS8_4ELb0ES6_15HIP_vector_typeIjLj2EENS0_17counting_iteratorIjlEEPS9_SG_NS0_5tupleIJPjSI_NS0_16reverse_iteratorISI_EEEEENSH_IJSG_SG_SG_EEES9_SI_JZNS1_25segmented_radix_sort_implINS0_14default_configELb0EPKsPsPKlPlN2at6native12_GLOBAL__N_18offset_tEEE10hipError_tPvRmT1_PNSt15iterator_traitsIS12_E10value_typeET2_T3_PNS13_IS18_E10value_typeET4_jRbjT5_S1E_jjP12ihipStream_tbEUljE_ZNSN_ISO_Lb0ESQ_SR_ST_SU_SY_EESZ_S10_S11_S12_S16_S17_S18_S1B_S1C_jS1D_jS1E_S1E_jjS1G_bEUljE0_EEESZ_S10_S11_S18_S1C_S1E_T6_T7_T9_mT8_S1G_bDpT10_ENKUlT_T0_E_clISt17integral_constantIbLb1EES1U_EEDaS1P_S1Q_EUlS1P_E_NS1_11comp_targetILNS1_3genE10ELNS1_11target_archE1200ELNS1_3gpuE4ELNS1_3repE0EEENS1_30default_config_static_selectorELNS0_4arch9wavefront6targetE0EEEvS12_.kd
    .uniform_work_group_size: 1
    .uses_dynamic_stack: false
    .vgpr_count:     0
    .vgpr_spill_count: 0
    .wavefront_size: 32
    .workgroup_processor_mode: 1
  - .args:
      - .offset:         0
        .size:           184
        .value_kind:     by_value
    .group_segment_fixed_size: 13340
    .kernarg_segment_align: 8
    .kernarg_segment_size: 184
    .language:       OpenCL C
    .language_version:
      - 2
      - 0
    .max_flat_workgroup_size: 256
    .name:           _ZN7rocprim17ROCPRIM_400000_NS6detail17trampoline_kernelINS0_13select_configILj256ELj13ELNS0_17block_load_methodE3ELS4_3ELS4_3ELNS0_20block_scan_algorithmE0ELj4294967295EEENS1_25partition_config_selectorILNS1_17partition_subalgoE4EjNS0_10empty_typeEbEEZZNS1_14partition_implILS8_4ELb0ES6_15HIP_vector_typeIjLj2EENS0_17counting_iteratorIjlEEPS9_SG_NS0_5tupleIJPjSI_NS0_16reverse_iteratorISI_EEEEENSH_IJSG_SG_SG_EEES9_SI_JZNS1_25segmented_radix_sort_implINS0_14default_configELb0EPKsPsPKlPlN2at6native12_GLOBAL__N_18offset_tEEE10hipError_tPvRmT1_PNSt15iterator_traitsIS12_E10value_typeET2_T3_PNS13_IS18_E10value_typeET4_jRbjT5_S1E_jjP12ihipStream_tbEUljE_ZNSN_ISO_Lb0ESQ_SR_ST_SU_SY_EESZ_S10_S11_S12_S16_S17_S18_S1B_S1C_jS1D_jS1E_S1E_jjS1G_bEUljE0_EEESZ_S10_S11_S18_S1C_S1E_T6_T7_T9_mT8_S1G_bDpT10_ENKUlT_T0_E_clISt17integral_constantIbLb1EES1U_EEDaS1P_S1Q_EUlS1P_E_NS1_11comp_targetILNS1_3genE9ELNS1_11target_archE1100ELNS1_3gpuE3ELNS1_3repE0EEENS1_30default_config_static_selectorELNS0_4arch9wavefront6targetE0EEEvS12_
    .private_segment_fixed_size: 0
    .sgpr_count:     57
    .sgpr_spill_count: 0
    .symbol:         _ZN7rocprim17ROCPRIM_400000_NS6detail17trampoline_kernelINS0_13select_configILj256ELj13ELNS0_17block_load_methodE3ELS4_3ELS4_3ELNS0_20block_scan_algorithmE0ELj4294967295EEENS1_25partition_config_selectorILNS1_17partition_subalgoE4EjNS0_10empty_typeEbEEZZNS1_14partition_implILS8_4ELb0ES6_15HIP_vector_typeIjLj2EENS0_17counting_iteratorIjlEEPS9_SG_NS0_5tupleIJPjSI_NS0_16reverse_iteratorISI_EEEEENSH_IJSG_SG_SG_EEES9_SI_JZNS1_25segmented_radix_sort_implINS0_14default_configELb0EPKsPsPKlPlN2at6native12_GLOBAL__N_18offset_tEEE10hipError_tPvRmT1_PNSt15iterator_traitsIS12_E10value_typeET2_T3_PNS13_IS18_E10value_typeET4_jRbjT5_S1E_jjP12ihipStream_tbEUljE_ZNSN_ISO_Lb0ESQ_SR_ST_SU_SY_EESZ_S10_S11_S12_S16_S17_S18_S1B_S1C_jS1D_jS1E_S1E_jjS1G_bEUljE0_EEESZ_S10_S11_S18_S1C_S1E_T6_T7_T9_mT8_S1G_bDpT10_ENKUlT_T0_E_clISt17integral_constantIbLb1EES1U_EEDaS1P_S1Q_EUlS1P_E_NS1_11comp_targetILNS1_3genE9ELNS1_11target_archE1100ELNS1_3gpuE3ELNS1_3repE0EEENS1_30default_config_static_selectorELNS0_4arch9wavefront6targetE0EEEvS12_.kd
    .uniform_work_group_size: 1
    .uses_dynamic_stack: false
    .vgpr_count:     103
    .vgpr_spill_count: 0
    .wavefront_size: 32
    .workgroup_processor_mode: 1
  - .args:
      - .offset:         0
        .size:           184
        .value_kind:     by_value
    .group_segment_fixed_size: 0
    .kernarg_segment_align: 8
    .kernarg_segment_size: 184
    .language:       OpenCL C
    .language_version:
      - 2
      - 0
    .max_flat_workgroup_size: 256
    .name:           _ZN7rocprim17ROCPRIM_400000_NS6detail17trampoline_kernelINS0_13select_configILj256ELj13ELNS0_17block_load_methodE3ELS4_3ELS4_3ELNS0_20block_scan_algorithmE0ELj4294967295EEENS1_25partition_config_selectorILNS1_17partition_subalgoE4EjNS0_10empty_typeEbEEZZNS1_14partition_implILS8_4ELb0ES6_15HIP_vector_typeIjLj2EENS0_17counting_iteratorIjlEEPS9_SG_NS0_5tupleIJPjSI_NS0_16reverse_iteratorISI_EEEEENSH_IJSG_SG_SG_EEES9_SI_JZNS1_25segmented_radix_sort_implINS0_14default_configELb0EPKsPsPKlPlN2at6native12_GLOBAL__N_18offset_tEEE10hipError_tPvRmT1_PNSt15iterator_traitsIS12_E10value_typeET2_T3_PNS13_IS18_E10value_typeET4_jRbjT5_S1E_jjP12ihipStream_tbEUljE_ZNSN_ISO_Lb0ESQ_SR_ST_SU_SY_EESZ_S10_S11_S12_S16_S17_S18_S1B_S1C_jS1D_jS1E_S1E_jjS1G_bEUljE0_EEESZ_S10_S11_S18_S1C_S1E_T6_T7_T9_mT8_S1G_bDpT10_ENKUlT_T0_E_clISt17integral_constantIbLb1EES1U_EEDaS1P_S1Q_EUlS1P_E_NS1_11comp_targetILNS1_3genE8ELNS1_11target_archE1030ELNS1_3gpuE2ELNS1_3repE0EEENS1_30default_config_static_selectorELNS0_4arch9wavefront6targetE0EEEvS12_
    .private_segment_fixed_size: 0
    .sgpr_count:     0
    .sgpr_spill_count: 0
    .symbol:         _ZN7rocprim17ROCPRIM_400000_NS6detail17trampoline_kernelINS0_13select_configILj256ELj13ELNS0_17block_load_methodE3ELS4_3ELS4_3ELNS0_20block_scan_algorithmE0ELj4294967295EEENS1_25partition_config_selectorILNS1_17partition_subalgoE4EjNS0_10empty_typeEbEEZZNS1_14partition_implILS8_4ELb0ES6_15HIP_vector_typeIjLj2EENS0_17counting_iteratorIjlEEPS9_SG_NS0_5tupleIJPjSI_NS0_16reverse_iteratorISI_EEEEENSH_IJSG_SG_SG_EEES9_SI_JZNS1_25segmented_radix_sort_implINS0_14default_configELb0EPKsPsPKlPlN2at6native12_GLOBAL__N_18offset_tEEE10hipError_tPvRmT1_PNSt15iterator_traitsIS12_E10value_typeET2_T3_PNS13_IS18_E10value_typeET4_jRbjT5_S1E_jjP12ihipStream_tbEUljE_ZNSN_ISO_Lb0ESQ_SR_ST_SU_SY_EESZ_S10_S11_S12_S16_S17_S18_S1B_S1C_jS1D_jS1E_S1E_jjS1G_bEUljE0_EEESZ_S10_S11_S18_S1C_S1E_T6_T7_T9_mT8_S1G_bDpT10_ENKUlT_T0_E_clISt17integral_constantIbLb1EES1U_EEDaS1P_S1Q_EUlS1P_E_NS1_11comp_targetILNS1_3genE8ELNS1_11target_archE1030ELNS1_3gpuE2ELNS1_3repE0EEENS1_30default_config_static_selectorELNS0_4arch9wavefront6targetE0EEEvS12_.kd
    .uniform_work_group_size: 1
    .uses_dynamic_stack: false
    .vgpr_count:     0
    .vgpr_spill_count: 0
    .wavefront_size: 32
    .workgroup_processor_mode: 1
  - .args:
      - .offset:         0
        .size:           176
        .value_kind:     by_value
    .group_segment_fixed_size: 0
    .kernarg_segment_align: 8
    .kernarg_segment_size: 176
    .language:       OpenCL C
    .language_version:
      - 2
      - 0
    .max_flat_workgroup_size: 256
    .name:           _ZN7rocprim17ROCPRIM_400000_NS6detail17trampoline_kernelINS0_13select_configILj256ELj13ELNS0_17block_load_methodE3ELS4_3ELS4_3ELNS0_20block_scan_algorithmE0ELj4294967295EEENS1_25partition_config_selectorILNS1_17partition_subalgoE4EjNS0_10empty_typeEbEEZZNS1_14partition_implILS8_4ELb0ES6_15HIP_vector_typeIjLj2EENS0_17counting_iteratorIjlEEPS9_SG_NS0_5tupleIJPjSI_NS0_16reverse_iteratorISI_EEEEENSH_IJSG_SG_SG_EEES9_SI_JZNS1_25segmented_radix_sort_implINS0_14default_configELb0EPKsPsPKlPlN2at6native12_GLOBAL__N_18offset_tEEE10hipError_tPvRmT1_PNSt15iterator_traitsIS12_E10value_typeET2_T3_PNS13_IS18_E10value_typeET4_jRbjT5_S1E_jjP12ihipStream_tbEUljE_ZNSN_ISO_Lb0ESQ_SR_ST_SU_SY_EESZ_S10_S11_S12_S16_S17_S18_S1B_S1C_jS1D_jS1E_S1E_jjS1G_bEUljE0_EEESZ_S10_S11_S18_S1C_S1E_T6_T7_T9_mT8_S1G_bDpT10_ENKUlT_T0_E_clISt17integral_constantIbLb1EES1T_IbLb0EEEEDaS1P_S1Q_EUlS1P_E_NS1_11comp_targetILNS1_3genE0ELNS1_11target_archE4294967295ELNS1_3gpuE0ELNS1_3repE0EEENS1_30default_config_static_selectorELNS0_4arch9wavefront6targetE0EEEvS12_
    .private_segment_fixed_size: 0
    .sgpr_count:     0
    .sgpr_spill_count: 0
    .symbol:         _ZN7rocprim17ROCPRIM_400000_NS6detail17trampoline_kernelINS0_13select_configILj256ELj13ELNS0_17block_load_methodE3ELS4_3ELS4_3ELNS0_20block_scan_algorithmE0ELj4294967295EEENS1_25partition_config_selectorILNS1_17partition_subalgoE4EjNS0_10empty_typeEbEEZZNS1_14partition_implILS8_4ELb0ES6_15HIP_vector_typeIjLj2EENS0_17counting_iteratorIjlEEPS9_SG_NS0_5tupleIJPjSI_NS0_16reverse_iteratorISI_EEEEENSH_IJSG_SG_SG_EEES9_SI_JZNS1_25segmented_radix_sort_implINS0_14default_configELb0EPKsPsPKlPlN2at6native12_GLOBAL__N_18offset_tEEE10hipError_tPvRmT1_PNSt15iterator_traitsIS12_E10value_typeET2_T3_PNS13_IS18_E10value_typeET4_jRbjT5_S1E_jjP12ihipStream_tbEUljE_ZNSN_ISO_Lb0ESQ_SR_ST_SU_SY_EESZ_S10_S11_S12_S16_S17_S18_S1B_S1C_jS1D_jS1E_S1E_jjS1G_bEUljE0_EEESZ_S10_S11_S18_S1C_S1E_T6_T7_T9_mT8_S1G_bDpT10_ENKUlT_T0_E_clISt17integral_constantIbLb1EES1T_IbLb0EEEEDaS1P_S1Q_EUlS1P_E_NS1_11comp_targetILNS1_3genE0ELNS1_11target_archE4294967295ELNS1_3gpuE0ELNS1_3repE0EEENS1_30default_config_static_selectorELNS0_4arch9wavefront6targetE0EEEvS12_.kd
    .uniform_work_group_size: 1
    .uses_dynamic_stack: false
    .vgpr_count:     0
    .vgpr_spill_count: 0
    .wavefront_size: 32
    .workgroup_processor_mode: 1
  - .args:
      - .offset:         0
        .size:           176
        .value_kind:     by_value
    .group_segment_fixed_size: 0
    .kernarg_segment_align: 8
    .kernarg_segment_size: 176
    .language:       OpenCL C
    .language_version:
      - 2
      - 0
    .max_flat_workgroup_size: 256
    .name:           _ZN7rocprim17ROCPRIM_400000_NS6detail17trampoline_kernelINS0_13select_configILj256ELj13ELNS0_17block_load_methodE3ELS4_3ELS4_3ELNS0_20block_scan_algorithmE0ELj4294967295EEENS1_25partition_config_selectorILNS1_17partition_subalgoE4EjNS0_10empty_typeEbEEZZNS1_14partition_implILS8_4ELb0ES6_15HIP_vector_typeIjLj2EENS0_17counting_iteratorIjlEEPS9_SG_NS0_5tupleIJPjSI_NS0_16reverse_iteratorISI_EEEEENSH_IJSG_SG_SG_EEES9_SI_JZNS1_25segmented_radix_sort_implINS0_14default_configELb0EPKsPsPKlPlN2at6native12_GLOBAL__N_18offset_tEEE10hipError_tPvRmT1_PNSt15iterator_traitsIS12_E10value_typeET2_T3_PNS13_IS18_E10value_typeET4_jRbjT5_S1E_jjP12ihipStream_tbEUljE_ZNSN_ISO_Lb0ESQ_SR_ST_SU_SY_EESZ_S10_S11_S12_S16_S17_S18_S1B_S1C_jS1D_jS1E_S1E_jjS1G_bEUljE0_EEESZ_S10_S11_S18_S1C_S1E_T6_T7_T9_mT8_S1G_bDpT10_ENKUlT_T0_E_clISt17integral_constantIbLb1EES1T_IbLb0EEEEDaS1P_S1Q_EUlS1P_E_NS1_11comp_targetILNS1_3genE5ELNS1_11target_archE942ELNS1_3gpuE9ELNS1_3repE0EEENS1_30default_config_static_selectorELNS0_4arch9wavefront6targetE0EEEvS12_
    .private_segment_fixed_size: 0
    .sgpr_count:     0
    .sgpr_spill_count: 0
    .symbol:         _ZN7rocprim17ROCPRIM_400000_NS6detail17trampoline_kernelINS0_13select_configILj256ELj13ELNS0_17block_load_methodE3ELS4_3ELS4_3ELNS0_20block_scan_algorithmE0ELj4294967295EEENS1_25partition_config_selectorILNS1_17partition_subalgoE4EjNS0_10empty_typeEbEEZZNS1_14partition_implILS8_4ELb0ES6_15HIP_vector_typeIjLj2EENS0_17counting_iteratorIjlEEPS9_SG_NS0_5tupleIJPjSI_NS0_16reverse_iteratorISI_EEEEENSH_IJSG_SG_SG_EEES9_SI_JZNS1_25segmented_radix_sort_implINS0_14default_configELb0EPKsPsPKlPlN2at6native12_GLOBAL__N_18offset_tEEE10hipError_tPvRmT1_PNSt15iterator_traitsIS12_E10value_typeET2_T3_PNS13_IS18_E10value_typeET4_jRbjT5_S1E_jjP12ihipStream_tbEUljE_ZNSN_ISO_Lb0ESQ_SR_ST_SU_SY_EESZ_S10_S11_S12_S16_S17_S18_S1B_S1C_jS1D_jS1E_S1E_jjS1G_bEUljE0_EEESZ_S10_S11_S18_S1C_S1E_T6_T7_T9_mT8_S1G_bDpT10_ENKUlT_T0_E_clISt17integral_constantIbLb1EES1T_IbLb0EEEEDaS1P_S1Q_EUlS1P_E_NS1_11comp_targetILNS1_3genE5ELNS1_11target_archE942ELNS1_3gpuE9ELNS1_3repE0EEENS1_30default_config_static_selectorELNS0_4arch9wavefront6targetE0EEEvS12_.kd
    .uniform_work_group_size: 1
    .uses_dynamic_stack: false
    .vgpr_count:     0
    .vgpr_spill_count: 0
    .wavefront_size: 32
    .workgroup_processor_mode: 1
  - .args:
      - .offset:         0
        .size:           176
        .value_kind:     by_value
    .group_segment_fixed_size: 0
    .kernarg_segment_align: 8
    .kernarg_segment_size: 176
    .language:       OpenCL C
    .language_version:
      - 2
      - 0
    .max_flat_workgroup_size: 256
    .name:           _ZN7rocprim17ROCPRIM_400000_NS6detail17trampoline_kernelINS0_13select_configILj256ELj13ELNS0_17block_load_methodE3ELS4_3ELS4_3ELNS0_20block_scan_algorithmE0ELj4294967295EEENS1_25partition_config_selectorILNS1_17partition_subalgoE4EjNS0_10empty_typeEbEEZZNS1_14partition_implILS8_4ELb0ES6_15HIP_vector_typeIjLj2EENS0_17counting_iteratorIjlEEPS9_SG_NS0_5tupleIJPjSI_NS0_16reverse_iteratorISI_EEEEENSH_IJSG_SG_SG_EEES9_SI_JZNS1_25segmented_radix_sort_implINS0_14default_configELb0EPKsPsPKlPlN2at6native12_GLOBAL__N_18offset_tEEE10hipError_tPvRmT1_PNSt15iterator_traitsIS12_E10value_typeET2_T3_PNS13_IS18_E10value_typeET4_jRbjT5_S1E_jjP12ihipStream_tbEUljE_ZNSN_ISO_Lb0ESQ_SR_ST_SU_SY_EESZ_S10_S11_S12_S16_S17_S18_S1B_S1C_jS1D_jS1E_S1E_jjS1G_bEUljE0_EEESZ_S10_S11_S18_S1C_S1E_T6_T7_T9_mT8_S1G_bDpT10_ENKUlT_T0_E_clISt17integral_constantIbLb1EES1T_IbLb0EEEEDaS1P_S1Q_EUlS1P_E_NS1_11comp_targetILNS1_3genE4ELNS1_11target_archE910ELNS1_3gpuE8ELNS1_3repE0EEENS1_30default_config_static_selectorELNS0_4arch9wavefront6targetE0EEEvS12_
    .private_segment_fixed_size: 0
    .sgpr_count:     0
    .sgpr_spill_count: 0
    .symbol:         _ZN7rocprim17ROCPRIM_400000_NS6detail17trampoline_kernelINS0_13select_configILj256ELj13ELNS0_17block_load_methodE3ELS4_3ELS4_3ELNS0_20block_scan_algorithmE0ELj4294967295EEENS1_25partition_config_selectorILNS1_17partition_subalgoE4EjNS0_10empty_typeEbEEZZNS1_14partition_implILS8_4ELb0ES6_15HIP_vector_typeIjLj2EENS0_17counting_iteratorIjlEEPS9_SG_NS0_5tupleIJPjSI_NS0_16reverse_iteratorISI_EEEEENSH_IJSG_SG_SG_EEES9_SI_JZNS1_25segmented_radix_sort_implINS0_14default_configELb0EPKsPsPKlPlN2at6native12_GLOBAL__N_18offset_tEEE10hipError_tPvRmT1_PNSt15iterator_traitsIS12_E10value_typeET2_T3_PNS13_IS18_E10value_typeET4_jRbjT5_S1E_jjP12ihipStream_tbEUljE_ZNSN_ISO_Lb0ESQ_SR_ST_SU_SY_EESZ_S10_S11_S12_S16_S17_S18_S1B_S1C_jS1D_jS1E_S1E_jjS1G_bEUljE0_EEESZ_S10_S11_S18_S1C_S1E_T6_T7_T9_mT8_S1G_bDpT10_ENKUlT_T0_E_clISt17integral_constantIbLb1EES1T_IbLb0EEEEDaS1P_S1Q_EUlS1P_E_NS1_11comp_targetILNS1_3genE4ELNS1_11target_archE910ELNS1_3gpuE8ELNS1_3repE0EEENS1_30default_config_static_selectorELNS0_4arch9wavefront6targetE0EEEvS12_.kd
    .uniform_work_group_size: 1
    .uses_dynamic_stack: false
    .vgpr_count:     0
    .vgpr_spill_count: 0
    .wavefront_size: 32
    .workgroup_processor_mode: 1
  - .args:
      - .offset:         0
        .size:           176
        .value_kind:     by_value
    .group_segment_fixed_size: 0
    .kernarg_segment_align: 8
    .kernarg_segment_size: 176
    .language:       OpenCL C
    .language_version:
      - 2
      - 0
    .max_flat_workgroup_size: 256
    .name:           _ZN7rocprim17ROCPRIM_400000_NS6detail17trampoline_kernelINS0_13select_configILj256ELj13ELNS0_17block_load_methodE3ELS4_3ELS4_3ELNS0_20block_scan_algorithmE0ELj4294967295EEENS1_25partition_config_selectorILNS1_17partition_subalgoE4EjNS0_10empty_typeEbEEZZNS1_14partition_implILS8_4ELb0ES6_15HIP_vector_typeIjLj2EENS0_17counting_iteratorIjlEEPS9_SG_NS0_5tupleIJPjSI_NS0_16reverse_iteratorISI_EEEEENSH_IJSG_SG_SG_EEES9_SI_JZNS1_25segmented_radix_sort_implINS0_14default_configELb0EPKsPsPKlPlN2at6native12_GLOBAL__N_18offset_tEEE10hipError_tPvRmT1_PNSt15iterator_traitsIS12_E10value_typeET2_T3_PNS13_IS18_E10value_typeET4_jRbjT5_S1E_jjP12ihipStream_tbEUljE_ZNSN_ISO_Lb0ESQ_SR_ST_SU_SY_EESZ_S10_S11_S12_S16_S17_S18_S1B_S1C_jS1D_jS1E_S1E_jjS1G_bEUljE0_EEESZ_S10_S11_S18_S1C_S1E_T6_T7_T9_mT8_S1G_bDpT10_ENKUlT_T0_E_clISt17integral_constantIbLb1EES1T_IbLb0EEEEDaS1P_S1Q_EUlS1P_E_NS1_11comp_targetILNS1_3genE3ELNS1_11target_archE908ELNS1_3gpuE7ELNS1_3repE0EEENS1_30default_config_static_selectorELNS0_4arch9wavefront6targetE0EEEvS12_
    .private_segment_fixed_size: 0
    .sgpr_count:     0
    .sgpr_spill_count: 0
    .symbol:         _ZN7rocprim17ROCPRIM_400000_NS6detail17trampoline_kernelINS0_13select_configILj256ELj13ELNS0_17block_load_methodE3ELS4_3ELS4_3ELNS0_20block_scan_algorithmE0ELj4294967295EEENS1_25partition_config_selectorILNS1_17partition_subalgoE4EjNS0_10empty_typeEbEEZZNS1_14partition_implILS8_4ELb0ES6_15HIP_vector_typeIjLj2EENS0_17counting_iteratorIjlEEPS9_SG_NS0_5tupleIJPjSI_NS0_16reverse_iteratorISI_EEEEENSH_IJSG_SG_SG_EEES9_SI_JZNS1_25segmented_radix_sort_implINS0_14default_configELb0EPKsPsPKlPlN2at6native12_GLOBAL__N_18offset_tEEE10hipError_tPvRmT1_PNSt15iterator_traitsIS12_E10value_typeET2_T3_PNS13_IS18_E10value_typeET4_jRbjT5_S1E_jjP12ihipStream_tbEUljE_ZNSN_ISO_Lb0ESQ_SR_ST_SU_SY_EESZ_S10_S11_S12_S16_S17_S18_S1B_S1C_jS1D_jS1E_S1E_jjS1G_bEUljE0_EEESZ_S10_S11_S18_S1C_S1E_T6_T7_T9_mT8_S1G_bDpT10_ENKUlT_T0_E_clISt17integral_constantIbLb1EES1T_IbLb0EEEEDaS1P_S1Q_EUlS1P_E_NS1_11comp_targetILNS1_3genE3ELNS1_11target_archE908ELNS1_3gpuE7ELNS1_3repE0EEENS1_30default_config_static_selectorELNS0_4arch9wavefront6targetE0EEEvS12_.kd
    .uniform_work_group_size: 1
    .uses_dynamic_stack: false
    .vgpr_count:     0
    .vgpr_spill_count: 0
    .wavefront_size: 32
    .workgroup_processor_mode: 1
  - .args:
      - .offset:         0
        .size:           176
        .value_kind:     by_value
    .group_segment_fixed_size: 0
    .kernarg_segment_align: 8
    .kernarg_segment_size: 176
    .language:       OpenCL C
    .language_version:
      - 2
      - 0
    .max_flat_workgroup_size: 256
    .name:           _ZN7rocprim17ROCPRIM_400000_NS6detail17trampoline_kernelINS0_13select_configILj256ELj13ELNS0_17block_load_methodE3ELS4_3ELS4_3ELNS0_20block_scan_algorithmE0ELj4294967295EEENS1_25partition_config_selectorILNS1_17partition_subalgoE4EjNS0_10empty_typeEbEEZZNS1_14partition_implILS8_4ELb0ES6_15HIP_vector_typeIjLj2EENS0_17counting_iteratorIjlEEPS9_SG_NS0_5tupleIJPjSI_NS0_16reverse_iteratorISI_EEEEENSH_IJSG_SG_SG_EEES9_SI_JZNS1_25segmented_radix_sort_implINS0_14default_configELb0EPKsPsPKlPlN2at6native12_GLOBAL__N_18offset_tEEE10hipError_tPvRmT1_PNSt15iterator_traitsIS12_E10value_typeET2_T3_PNS13_IS18_E10value_typeET4_jRbjT5_S1E_jjP12ihipStream_tbEUljE_ZNSN_ISO_Lb0ESQ_SR_ST_SU_SY_EESZ_S10_S11_S12_S16_S17_S18_S1B_S1C_jS1D_jS1E_S1E_jjS1G_bEUljE0_EEESZ_S10_S11_S18_S1C_S1E_T6_T7_T9_mT8_S1G_bDpT10_ENKUlT_T0_E_clISt17integral_constantIbLb1EES1T_IbLb0EEEEDaS1P_S1Q_EUlS1P_E_NS1_11comp_targetILNS1_3genE2ELNS1_11target_archE906ELNS1_3gpuE6ELNS1_3repE0EEENS1_30default_config_static_selectorELNS0_4arch9wavefront6targetE0EEEvS12_
    .private_segment_fixed_size: 0
    .sgpr_count:     0
    .sgpr_spill_count: 0
    .symbol:         _ZN7rocprim17ROCPRIM_400000_NS6detail17trampoline_kernelINS0_13select_configILj256ELj13ELNS0_17block_load_methodE3ELS4_3ELS4_3ELNS0_20block_scan_algorithmE0ELj4294967295EEENS1_25partition_config_selectorILNS1_17partition_subalgoE4EjNS0_10empty_typeEbEEZZNS1_14partition_implILS8_4ELb0ES6_15HIP_vector_typeIjLj2EENS0_17counting_iteratorIjlEEPS9_SG_NS0_5tupleIJPjSI_NS0_16reverse_iteratorISI_EEEEENSH_IJSG_SG_SG_EEES9_SI_JZNS1_25segmented_radix_sort_implINS0_14default_configELb0EPKsPsPKlPlN2at6native12_GLOBAL__N_18offset_tEEE10hipError_tPvRmT1_PNSt15iterator_traitsIS12_E10value_typeET2_T3_PNS13_IS18_E10value_typeET4_jRbjT5_S1E_jjP12ihipStream_tbEUljE_ZNSN_ISO_Lb0ESQ_SR_ST_SU_SY_EESZ_S10_S11_S12_S16_S17_S18_S1B_S1C_jS1D_jS1E_S1E_jjS1G_bEUljE0_EEESZ_S10_S11_S18_S1C_S1E_T6_T7_T9_mT8_S1G_bDpT10_ENKUlT_T0_E_clISt17integral_constantIbLb1EES1T_IbLb0EEEEDaS1P_S1Q_EUlS1P_E_NS1_11comp_targetILNS1_3genE2ELNS1_11target_archE906ELNS1_3gpuE6ELNS1_3repE0EEENS1_30default_config_static_selectorELNS0_4arch9wavefront6targetE0EEEvS12_.kd
    .uniform_work_group_size: 1
    .uses_dynamic_stack: false
    .vgpr_count:     0
    .vgpr_spill_count: 0
    .wavefront_size: 32
    .workgroup_processor_mode: 1
  - .args:
      - .offset:         0
        .size:           176
        .value_kind:     by_value
    .group_segment_fixed_size: 0
    .kernarg_segment_align: 8
    .kernarg_segment_size: 176
    .language:       OpenCL C
    .language_version:
      - 2
      - 0
    .max_flat_workgroup_size: 256
    .name:           _ZN7rocprim17ROCPRIM_400000_NS6detail17trampoline_kernelINS0_13select_configILj256ELj13ELNS0_17block_load_methodE3ELS4_3ELS4_3ELNS0_20block_scan_algorithmE0ELj4294967295EEENS1_25partition_config_selectorILNS1_17partition_subalgoE4EjNS0_10empty_typeEbEEZZNS1_14partition_implILS8_4ELb0ES6_15HIP_vector_typeIjLj2EENS0_17counting_iteratorIjlEEPS9_SG_NS0_5tupleIJPjSI_NS0_16reverse_iteratorISI_EEEEENSH_IJSG_SG_SG_EEES9_SI_JZNS1_25segmented_radix_sort_implINS0_14default_configELb0EPKsPsPKlPlN2at6native12_GLOBAL__N_18offset_tEEE10hipError_tPvRmT1_PNSt15iterator_traitsIS12_E10value_typeET2_T3_PNS13_IS18_E10value_typeET4_jRbjT5_S1E_jjP12ihipStream_tbEUljE_ZNSN_ISO_Lb0ESQ_SR_ST_SU_SY_EESZ_S10_S11_S12_S16_S17_S18_S1B_S1C_jS1D_jS1E_S1E_jjS1G_bEUljE0_EEESZ_S10_S11_S18_S1C_S1E_T6_T7_T9_mT8_S1G_bDpT10_ENKUlT_T0_E_clISt17integral_constantIbLb1EES1T_IbLb0EEEEDaS1P_S1Q_EUlS1P_E_NS1_11comp_targetILNS1_3genE10ELNS1_11target_archE1200ELNS1_3gpuE4ELNS1_3repE0EEENS1_30default_config_static_selectorELNS0_4arch9wavefront6targetE0EEEvS12_
    .private_segment_fixed_size: 0
    .sgpr_count:     0
    .sgpr_spill_count: 0
    .symbol:         _ZN7rocprim17ROCPRIM_400000_NS6detail17trampoline_kernelINS0_13select_configILj256ELj13ELNS0_17block_load_methodE3ELS4_3ELS4_3ELNS0_20block_scan_algorithmE0ELj4294967295EEENS1_25partition_config_selectorILNS1_17partition_subalgoE4EjNS0_10empty_typeEbEEZZNS1_14partition_implILS8_4ELb0ES6_15HIP_vector_typeIjLj2EENS0_17counting_iteratorIjlEEPS9_SG_NS0_5tupleIJPjSI_NS0_16reverse_iteratorISI_EEEEENSH_IJSG_SG_SG_EEES9_SI_JZNS1_25segmented_radix_sort_implINS0_14default_configELb0EPKsPsPKlPlN2at6native12_GLOBAL__N_18offset_tEEE10hipError_tPvRmT1_PNSt15iterator_traitsIS12_E10value_typeET2_T3_PNS13_IS18_E10value_typeET4_jRbjT5_S1E_jjP12ihipStream_tbEUljE_ZNSN_ISO_Lb0ESQ_SR_ST_SU_SY_EESZ_S10_S11_S12_S16_S17_S18_S1B_S1C_jS1D_jS1E_S1E_jjS1G_bEUljE0_EEESZ_S10_S11_S18_S1C_S1E_T6_T7_T9_mT8_S1G_bDpT10_ENKUlT_T0_E_clISt17integral_constantIbLb1EES1T_IbLb0EEEEDaS1P_S1Q_EUlS1P_E_NS1_11comp_targetILNS1_3genE10ELNS1_11target_archE1200ELNS1_3gpuE4ELNS1_3repE0EEENS1_30default_config_static_selectorELNS0_4arch9wavefront6targetE0EEEvS12_.kd
    .uniform_work_group_size: 1
    .uses_dynamic_stack: false
    .vgpr_count:     0
    .vgpr_spill_count: 0
    .wavefront_size: 32
    .workgroup_processor_mode: 1
  - .args:
      - .offset:         0
        .size:           176
        .value_kind:     by_value
    .group_segment_fixed_size: 13340
    .kernarg_segment_align: 8
    .kernarg_segment_size: 176
    .language:       OpenCL C
    .language_version:
      - 2
      - 0
    .max_flat_workgroup_size: 256
    .name:           _ZN7rocprim17ROCPRIM_400000_NS6detail17trampoline_kernelINS0_13select_configILj256ELj13ELNS0_17block_load_methodE3ELS4_3ELS4_3ELNS0_20block_scan_algorithmE0ELj4294967295EEENS1_25partition_config_selectorILNS1_17partition_subalgoE4EjNS0_10empty_typeEbEEZZNS1_14partition_implILS8_4ELb0ES6_15HIP_vector_typeIjLj2EENS0_17counting_iteratorIjlEEPS9_SG_NS0_5tupleIJPjSI_NS0_16reverse_iteratorISI_EEEEENSH_IJSG_SG_SG_EEES9_SI_JZNS1_25segmented_radix_sort_implINS0_14default_configELb0EPKsPsPKlPlN2at6native12_GLOBAL__N_18offset_tEEE10hipError_tPvRmT1_PNSt15iterator_traitsIS12_E10value_typeET2_T3_PNS13_IS18_E10value_typeET4_jRbjT5_S1E_jjP12ihipStream_tbEUljE_ZNSN_ISO_Lb0ESQ_SR_ST_SU_SY_EESZ_S10_S11_S12_S16_S17_S18_S1B_S1C_jS1D_jS1E_S1E_jjS1G_bEUljE0_EEESZ_S10_S11_S18_S1C_S1E_T6_T7_T9_mT8_S1G_bDpT10_ENKUlT_T0_E_clISt17integral_constantIbLb1EES1T_IbLb0EEEEDaS1P_S1Q_EUlS1P_E_NS1_11comp_targetILNS1_3genE9ELNS1_11target_archE1100ELNS1_3gpuE3ELNS1_3repE0EEENS1_30default_config_static_selectorELNS0_4arch9wavefront6targetE0EEEvS12_
    .private_segment_fixed_size: 0
    .sgpr_count:     61
    .sgpr_spill_count: 0
    .symbol:         _ZN7rocprim17ROCPRIM_400000_NS6detail17trampoline_kernelINS0_13select_configILj256ELj13ELNS0_17block_load_methodE3ELS4_3ELS4_3ELNS0_20block_scan_algorithmE0ELj4294967295EEENS1_25partition_config_selectorILNS1_17partition_subalgoE4EjNS0_10empty_typeEbEEZZNS1_14partition_implILS8_4ELb0ES6_15HIP_vector_typeIjLj2EENS0_17counting_iteratorIjlEEPS9_SG_NS0_5tupleIJPjSI_NS0_16reverse_iteratorISI_EEEEENSH_IJSG_SG_SG_EEES9_SI_JZNS1_25segmented_radix_sort_implINS0_14default_configELb0EPKsPsPKlPlN2at6native12_GLOBAL__N_18offset_tEEE10hipError_tPvRmT1_PNSt15iterator_traitsIS12_E10value_typeET2_T3_PNS13_IS18_E10value_typeET4_jRbjT5_S1E_jjP12ihipStream_tbEUljE_ZNSN_ISO_Lb0ESQ_SR_ST_SU_SY_EESZ_S10_S11_S12_S16_S17_S18_S1B_S1C_jS1D_jS1E_S1E_jjS1G_bEUljE0_EEESZ_S10_S11_S18_S1C_S1E_T6_T7_T9_mT8_S1G_bDpT10_ENKUlT_T0_E_clISt17integral_constantIbLb1EES1T_IbLb0EEEEDaS1P_S1Q_EUlS1P_E_NS1_11comp_targetILNS1_3genE9ELNS1_11target_archE1100ELNS1_3gpuE3ELNS1_3repE0EEENS1_30default_config_static_selectorELNS0_4arch9wavefront6targetE0EEEvS12_.kd
    .uniform_work_group_size: 1
    .uses_dynamic_stack: false
    .vgpr_count:     98
    .vgpr_spill_count: 0
    .wavefront_size: 32
    .workgroup_processor_mode: 1
  - .args:
      - .offset:         0
        .size:           176
        .value_kind:     by_value
    .group_segment_fixed_size: 0
    .kernarg_segment_align: 8
    .kernarg_segment_size: 176
    .language:       OpenCL C
    .language_version:
      - 2
      - 0
    .max_flat_workgroup_size: 256
    .name:           _ZN7rocprim17ROCPRIM_400000_NS6detail17trampoline_kernelINS0_13select_configILj256ELj13ELNS0_17block_load_methodE3ELS4_3ELS4_3ELNS0_20block_scan_algorithmE0ELj4294967295EEENS1_25partition_config_selectorILNS1_17partition_subalgoE4EjNS0_10empty_typeEbEEZZNS1_14partition_implILS8_4ELb0ES6_15HIP_vector_typeIjLj2EENS0_17counting_iteratorIjlEEPS9_SG_NS0_5tupleIJPjSI_NS0_16reverse_iteratorISI_EEEEENSH_IJSG_SG_SG_EEES9_SI_JZNS1_25segmented_radix_sort_implINS0_14default_configELb0EPKsPsPKlPlN2at6native12_GLOBAL__N_18offset_tEEE10hipError_tPvRmT1_PNSt15iterator_traitsIS12_E10value_typeET2_T3_PNS13_IS18_E10value_typeET4_jRbjT5_S1E_jjP12ihipStream_tbEUljE_ZNSN_ISO_Lb0ESQ_SR_ST_SU_SY_EESZ_S10_S11_S12_S16_S17_S18_S1B_S1C_jS1D_jS1E_S1E_jjS1G_bEUljE0_EEESZ_S10_S11_S18_S1C_S1E_T6_T7_T9_mT8_S1G_bDpT10_ENKUlT_T0_E_clISt17integral_constantIbLb1EES1T_IbLb0EEEEDaS1P_S1Q_EUlS1P_E_NS1_11comp_targetILNS1_3genE8ELNS1_11target_archE1030ELNS1_3gpuE2ELNS1_3repE0EEENS1_30default_config_static_selectorELNS0_4arch9wavefront6targetE0EEEvS12_
    .private_segment_fixed_size: 0
    .sgpr_count:     0
    .sgpr_spill_count: 0
    .symbol:         _ZN7rocprim17ROCPRIM_400000_NS6detail17trampoline_kernelINS0_13select_configILj256ELj13ELNS0_17block_load_methodE3ELS4_3ELS4_3ELNS0_20block_scan_algorithmE0ELj4294967295EEENS1_25partition_config_selectorILNS1_17partition_subalgoE4EjNS0_10empty_typeEbEEZZNS1_14partition_implILS8_4ELb0ES6_15HIP_vector_typeIjLj2EENS0_17counting_iteratorIjlEEPS9_SG_NS0_5tupleIJPjSI_NS0_16reverse_iteratorISI_EEEEENSH_IJSG_SG_SG_EEES9_SI_JZNS1_25segmented_radix_sort_implINS0_14default_configELb0EPKsPsPKlPlN2at6native12_GLOBAL__N_18offset_tEEE10hipError_tPvRmT1_PNSt15iterator_traitsIS12_E10value_typeET2_T3_PNS13_IS18_E10value_typeET4_jRbjT5_S1E_jjP12ihipStream_tbEUljE_ZNSN_ISO_Lb0ESQ_SR_ST_SU_SY_EESZ_S10_S11_S12_S16_S17_S18_S1B_S1C_jS1D_jS1E_S1E_jjS1G_bEUljE0_EEESZ_S10_S11_S18_S1C_S1E_T6_T7_T9_mT8_S1G_bDpT10_ENKUlT_T0_E_clISt17integral_constantIbLb1EES1T_IbLb0EEEEDaS1P_S1Q_EUlS1P_E_NS1_11comp_targetILNS1_3genE8ELNS1_11target_archE1030ELNS1_3gpuE2ELNS1_3repE0EEENS1_30default_config_static_selectorELNS0_4arch9wavefront6targetE0EEEvS12_.kd
    .uniform_work_group_size: 1
    .uses_dynamic_stack: false
    .vgpr_count:     0
    .vgpr_spill_count: 0
    .wavefront_size: 32
    .workgroup_processor_mode: 1
  - .args:
      - .offset:         0
        .size:           184
        .value_kind:     by_value
    .group_segment_fixed_size: 0
    .kernarg_segment_align: 8
    .kernarg_segment_size: 184
    .language:       OpenCL C
    .language_version:
      - 2
      - 0
    .max_flat_workgroup_size: 256
    .name:           _ZN7rocprim17ROCPRIM_400000_NS6detail17trampoline_kernelINS0_13select_configILj256ELj13ELNS0_17block_load_methodE3ELS4_3ELS4_3ELNS0_20block_scan_algorithmE0ELj4294967295EEENS1_25partition_config_selectorILNS1_17partition_subalgoE4EjNS0_10empty_typeEbEEZZNS1_14partition_implILS8_4ELb0ES6_15HIP_vector_typeIjLj2EENS0_17counting_iteratorIjlEEPS9_SG_NS0_5tupleIJPjSI_NS0_16reverse_iteratorISI_EEEEENSH_IJSG_SG_SG_EEES9_SI_JZNS1_25segmented_radix_sort_implINS0_14default_configELb0EPKsPsPKlPlN2at6native12_GLOBAL__N_18offset_tEEE10hipError_tPvRmT1_PNSt15iterator_traitsIS12_E10value_typeET2_T3_PNS13_IS18_E10value_typeET4_jRbjT5_S1E_jjP12ihipStream_tbEUljE_ZNSN_ISO_Lb0ESQ_SR_ST_SU_SY_EESZ_S10_S11_S12_S16_S17_S18_S1B_S1C_jS1D_jS1E_S1E_jjS1G_bEUljE0_EEESZ_S10_S11_S18_S1C_S1E_T6_T7_T9_mT8_S1G_bDpT10_ENKUlT_T0_E_clISt17integral_constantIbLb0EES1T_IbLb1EEEEDaS1P_S1Q_EUlS1P_E_NS1_11comp_targetILNS1_3genE0ELNS1_11target_archE4294967295ELNS1_3gpuE0ELNS1_3repE0EEENS1_30default_config_static_selectorELNS0_4arch9wavefront6targetE0EEEvS12_
    .private_segment_fixed_size: 0
    .sgpr_count:     0
    .sgpr_spill_count: 0
    .symbol:         _ZN7rocprim17ROCPRIM_400000_NS6detail17trampoline_kernelINS0_13select_configILj256ELj13ELNS0_17block_load_methodE3ELS4_3ELS4_3ELNS0_20block_scan_algorithmE0ELj4294967295EEENS1_25partition_config_selectorILNS1_17partition_subalgoE4EjNS0_10empty_typeEbEEZZNS1_14partition_implILS8_4ELb0ES6_15HIP_vector_typeIjLj2EENS0_17counting_iteratorIjlEEPS9_SG_NS0_5tupleIJPjSI_NS0_16reverse_iteratorISI_EEEEENSH_IJSG_SG_SG_EEES9_SI_JZNS1_25segmented_radix_sort_implINS0_14default_configELb0EPKsPsPKlPlN2at6native12_GLOBAL__N_18offset_tEEE10hipError_tPvRmT1_PNSt15iterator_traitsIS12_E10value_typeET2_T3_PNS13_IS18_E10value_typeET4_jRbjT5_S1E_jjP12ihipStream_tbEUljE_ZNSN_ISO_Lb0ESQ_SR_ST_SU_SY_EESZ_S10_S11_S12_S16_S17_S18_S1B_S1C_jS1D_jS1E_S1E_jjS1G_bEUljE0_EEESZ_S10_S11_S18_S1C_S1E_T6_T7_T9_mT8_S1G_bDpT10_ENKUlT_T0_E_clISt17integral_constantIbLb0EES1T_IbLb1EEEEDaS1P_S1Q_EUlS1P_E_NS1_11comp_targetILNS1_3genE0ELNS1_11target_archE4294967295ELNS1_3gpuE0ELNS1_3repE0EEENS1_30default_config_static_selectorELNS0_4arch9wavefront6targetE0EEEvS12_.kd
    .uniform_work_group_size: 1
    .uses_dynamic_stack: false
    .vgpr_count:     0
    .vgpr_spill_count: 0
    .wavefront_size: 32
    .workgroup_processor_mode: 1
  - .args:
      - .offset:         0
        .size:           184
        .value_kind:     by_value
    .group_segment_fixed_size: 0
    .kernarg_segment_align: 8
    .kernarg_segment_size: 184
    .language:       OpenCL C
    .language_version:
      - 2
      - 0
    .max_flat_workgroup_size: 256
    .name:           _ZN7rocprim17ROCPRIM_400000_NS6detail17trampoline_kernelINS0_13select_configILj256ELj13ELNS0_17block_load_methodE3ELS4_3ELS4_3ELNS0_20block_scan_algorithmE0ELj4294967295EEENS1_25partition_config_selectorILNS1_17partition_subalgoE4EjNS0_10empty_typeEbEEZZNS1_14partition_implILS8_4ELb0ES6_15HIP_vector_typeIjLj2EENS0_17counting_iteratorIjlEEPS9_SG_NS0_5tupleIJPjSI_NS0_16reverse_iteratorISI_EEEEENSH_IJSG_SG_SG_EEES9_SI_JZNS1_25segmented_radix_sort_implINS0_14default_configELb0EPKsPsPKlPlN2at6native12_GLOBAL__N_18offset_tEEE10hipError_tPvRmT1_PNSt15iterator_traitsIS12_E10value_typeET2_T3_PNS13_IS18_E10value_typeET4_jRbjT5_S1E_jjP12ihipStream_tbEUljE_ZNSN_ISO_Lb0ESQ_SR_ST_SU_SY_EESZ_S10_S11_S12_S16_S17_S18_S1B_S1C_jS1D_jS1E_S1E_jjS1G_bEUljE0_EEESZ_S10_S11_S18_S1C_S1E_T6_T7_T9_mT8_S1G_bDpT10_ENKUlT_T0_E_clISt17integral_constantIbLb0EES1T_IbLb1EEEEDaS1P_S1Q_EUlS1P_E_NS1_11comp_targetILNS1_3genE5ELNS1_11target_archE942ELNS1_3gpuE9ELNS1_3repE0EEENS1_30default_config_static_selectorELNS0_4arch9wavefront6targetE0EEEvS12_
    .private_segment_fixed_size: 0
    .sgpr_count:     0
    .sgpr_spill_count: 0
    .symbol:         _ZN7rocprim17ROCPRIM_400000_NS6detail17trampoline_kernelINS0_13select_configILj256ELj13ELNS0_17block_load_methodE3ELS4_3ELS4_3ELNS0_20block_scan_algorithmE0ELj4294967295EEENS1_25partition_config_selectorILNS1_17partition_subalgoE4EjNS0_10empty_typeEbEEZZNS1_14partition_implILS8_4ELb0ES6_15HIP_vector_typeIjLj2EENS0_17counting_iteratorIjlEEPS9_SG_NS0_5tupleIJPjSI_NS0_16reverse_iteratorISI_EEEEENSH_IJSG_SG_SG_EEES9_SI_JZNS1_25segmented_radix_sort_implINS0_14default_configELb0EPKsPsPKlPlN2at6native12_GLOBAL__N_18offset_tEEE10hipError_tPvRmT1_PNSt15iterator_traitsIS12_E10value_typeET2_T3_PNS13_IS18_E10value_typeET4_jRbjT5_S1E_jjP12ihipStream_tbEUljE_ZNSN_ISO_Lb0ESQ_SR_ST_SU_SY_EESZ_S10_S11_S12_S16_S17_S18_S1B_S1C_jS1D_jS1E_S1E_jjS1G_bEUljE0_EEESZ_S10_S11_S18_S1C_S1E_T6_T7_T9_mT8_S1G_bDpT10_ENKUlT_T0_E_clISt17integral_constantIbLb0EES1T_IbLb1EEEEDaS1P_S1Q_EUlS1P_E_NS1_11comp_targetILNS1_3genE5ELNS1_11target_archE942ELNS1_3gpuE9ELNS1_3repE0EEENS1_30default_config_static_selectorELNS0_4arch9wavefront6targetE0EEEvS12_.kd
    .uniform_work_group_size: 1
    .uses_dynamic_stack: false
    .vgpr_count:     0
    .vgpr_spill_count: 0
    .wavefront_size: 32
    .workgroup_processor_mode: 1
  - .args:
      - .offset:         0
        .size:           184
        .value_kind:     by_value
    .group_segment_fixed_size: 0
    .kernarg_segment_align: 8
    .kernarg_segment_size: 184
    .language:       OpenCL C
    .language_version:
      - 2
      - 0
    .max_flat_workgroup_size: 256
    .name:           _ZN7rocprim17ROCPRIM_400000_NS6detail17trampoline_kernelINS0_13select_configILj256ELj13ELNS0_17block_load_methodE3ELS4_3ELS4_3ELNS0_20block_scan_algorithmE0ELj4294967295EEENS1_25partition_config_selectorILNS1_17partition_subalgoE4EjNS0_10empty_typeEbEEZZNS1_14partition_implILS8_4ELb0ES6_15HIP_vector_typeIjLj2EENS0_17counting_iteratorIjlEEPS9_SG_NS0_5tupleIJPjSI_NS0_16reverse_iteratorISI_EEEEENSH_IJSG_SG_SG_EEES9_SI_JZNS1_25segmented_radix_sort_implINS0_14default_configELb0EPKsPsPKlPlN2at6native12_GLOBAL__N_18offset_tEEE10hipError_tPvRmT1_PNSt15iterator_traitsIS12_E10value_typeET2_T3_PNS13_IS18_E10value_typeET4_jRbjT5_S1E_jjP12ihipStream_tbEUljE_ZNSN_ISO_Lb0ESQ_SR_ST_SU_SY_EESZ_S10_S11_S12_S16_S17_S18_S1B_S1C_jS1D_jS1E_S1E_jjS1G_bEUljE0_EEESZ_S10_S11_S18_S1C_S1E_T6_T7_T9_mT8_S1G_bDpT10_ENKUlT_T0_E_clISt17integral_constantIbLb0EES1T_IbLb1EEEEDaS1P_S1Q_EUlS1P_E_NS1_11comp_targetILNS1_3genE4ELNS1_11target_archE910ELNS1_3gpuE8ELNS1_3repE0EEENS1_30default_config_static_selectorELNS0_4arch9wavefront6targetE0EEEvS12_
    .private_segment_fixed_size: 0
    .sgpr_count:     0
    .sgpr_spill_count: 0
    .symbol:         _ZN7rocprim17ROCPRIM_400000_NS6detail17trampoline_kernelINS0_13select_configILj256ELj13ELNS0_17block_load_methodE3ELS4_3ELS4_3ELNS0_20block_scan_algorithmE0ELj4294967295EEENS1_25partition_config_selectorILNS1_17partition_subalgoE4EjNS0_10empty_typeEbEEZZNS1_14partition_implILS8_4ELb0ES6_15HIP_vector_typeIjLj2EENS0_17counting_iteratorIjlEEPS9_SG_NS0_5tupleIJPjSI_NS0_16reverse_iteratorISI_EEEEENSH_IJSG_SG_SG_EEES9_SI_JZNS1_25segmented_radix_sort_implINS0_14default_configELb0EPKsPsPKlPlN2at6native12_GLOBAL__N_18offset_tEEE10hipError_tPvRmT1_PNSt15iterator_traitsIS12_E10value_typeET2_T3_PNS13_IS18_E10value_typeET4_jRbjT5_S1E_jjP12ihipStream_tbEUljE_ZNSN_ISO_Lb0ESQ_SR_ST_SU_SY_EESZ_S10_S11_S12_S16_S17_S18_S1B_S1C_jS1D_jS1E_S1E_jjS1G_bEUljE0_EEESZ_S10_S11_S18_S1C_S1E_T6_T7_T9_mT8_S1G_bDpT10_ENKUlT_T0_E_clISt17integral_constantIbLb0EES1T_IbLb1EEEEDaS1P_S1Q_EUlS1P_E_NS1_11comp_targetILNS1_3genE4ELNS1_11target_archE910ELNS1_3gpuE8ELNS1_3repE0EEENS1_30default_config_static_selectorELNS0_4arch9wavefront6targetE0EEEvS12_.kd
    .uniform_work_group_size: 1
    .uses_dynamic_stack: false
    .vgpr_count:     0
    .vgpr_spill_count: 0
    .wavefront_size: 32
    .workgroup_processor_mode: 1
  - .args:
      - .offset:         0
        .size:           184
        .value_kind:     by_value
    .group_segment_fixed_size: 0
    .kernarg_segment_align: 8
    .kernarg_segment_size: 184
    .language:       OpenCL C
    .language_version:
      - 2
      - 0
    .max_flat_workgroup_size: 256
    .name:           _ZN7rocprim17ROCPRIM_400000_NS6detail17trampoline_kernelINS0_13select_configILj256ELj13ELNS0_17block_load_methodE3ELS4_3ELS4_3ELNS0_20block_scan_algorithmE0ELj4294967295EEENS1_25partition_config_selectorILNS1_17partition_subalgoE4EjNS0_10empty_typeEbEEZZNS1_14partition_implILS8_4ELb0ES6_15HIP_vector_typeIjLj2EENS0_17counting_iteratorIjlEEPS9_SG_NS0_5tupleIJPjSI_NS0_16reverse_iteratorISI_EEEEENSH_IJSG_SG_SG_EEES9_SI_JZNS1_25segmented_radix_sort_implINS0_14default_configELb0EPKsPsPKlPlN2at6native12_GLOBAL__N_18offset_tEEE10hipError_tPvRmT1_PNSt15iterator_traitsIS12_E10value_typeET2_T3_PNS13_IS18_E10value_typeET4_jRbjT5_S1E_jjP12ihipStream_tbEUljE_ZNSN_ISO_Lb0ESQ_SR_ST_SU_SY_EESZ_S10_S11_S12_S16_S17_S18_S1B_S1C_jS1D_jS1E_S1E_jjS1G_bEUljE0_EEESZ_S10_S11_S18_S1C_S1E_T6_T7_T9_mT8_S1G_bDpT10_ENKUlT_T0_E_clISt17integral_constantIbLb0EES1T_IbLb1EEEEDaS1P_S1Q_EUlS1P_E_NS1_11comp_targetILNS1_3genE3ELNS1_11target_archE908ELNS1_3gpuE7ELNS1_3repE0EEENS1_30default_config_static_selectorELNS0_4arch9wavefront6targetE0EEEvS12_
    .private_segment_fixed_size: 0
    .sgpr_count:     0
    .sgpr_spill_count: 0
    .symbol:         _ZN7rocprim17ROCPRIM_400000_NS6detail17trampoline_kernelINS0_13select_configILj256ELj13ELNS0_17block_load_methodE3ELS4_3ELS4_3ELNS0_20block_scan_algorithmE0ELj4294967295EEENS1_25partition_config_selectorILNS1_17partition_subalgoE4EjNS0_10empty_typeEbEEZZNS1_14partition_implILS8_4ELb0ES6_15HIP_vector_typeIjLj2EENS0_17counting_iteratorIjlEEPS9_SG_NS0_5tupleIJPjSI_NS0_16reverse_iteratorISI_EEEEENSH_IJSG_SG_SG_EEES9_SI_JZNS1_25segmented_radix_sort_implINS0_14default_configELb0EPKsPsPKlPlN2at6native12_GLOBAL__N_18offset_tEEE10hipError_tPvRmT1_PNSt15iterator_traitsIS12_E10value_typeET2_T3_PNS13_IS18_E10value_typeET4_jRbjT5_S1E_jjP12ihipStream_tbEUljE_ZNSN_ISO_Lb0ESQ_SR_ST_SU_SY_EESZ_S10_S11_S12_S16_S17_S18_S1B_S1C_jS1D_jS1E_S1E_jjS1G_bEUljE0_EEESZ_S10_S11_S18_S1C_S1E_T6_T7_T9_mT8_S1G_bDpT10_ENKUlT_T0_E_clISt17integral_constantIbLb0EES1T_IbLb1EEEEDaS1P_S1Q_EUlS1P_E_NS1_11comp_targetILNS1_3genE3ELNS1_11target_archE908ELNS1_3gpuE7ELNS1_3repE0EEENS1_30default_config_static_selectorELNS0_4arch9wavefront6targetE0EEEvS12_.kd
    .uniform_work_group_size: 1
    .uses_dynamic_stack: false
    .vgpr_count:     0
    .vgpr_spill_count: 0
    .wavefront_size: 32
    .workgroup_processor_mode: 1
  - .args:
      - .offset:         0
        .size:           184
        .value_kind:     by_value
    .group_segment_fixed_size: 0
    .kernarg_segment_align: 8
    .kernarg_segment_size: 184
    .language:       OpenCL C
    .language_version:
      - 2
      - 0
    .max_flat_workgroup_size: 256
    .name:           _ZN7rocprim17ROCPRIM_400000_NS6detail17trampoline_kernelINS0_13select_configILj256ELj13ELNS0_17block_load_methodE3ELS4_3ELS4_3ELNS0_20block_scan_algorithmE0ELj4294967295EEENS1_25partition_config_selectorILNS1_17partition_subalgoE4EjNS0_10empty_typeEbEEZZNS1_14partition_implILS8_4ELb0ES6_15HIP_vector_typeIjLj2EENS0_17counting_iteratorIjlEEPS9_SG_NS0_5tupleIJPjSI_NS0_16reverse_iteratorISI_EEEEENSH_IJSG_SG_SG_EEES9_SI_JZNS1_25segmented_radix_sort_implINS0_14default_configELb0EPKsPsPKlPlN2at6native12_GLOBAL__N_18offset_tEEE10hipError_tPvRmT1_PNSt15iterator_traitsIS12_E10value_typeET2_T3_PNS13_IS18_E10value_typeET4_jRbjT5_S1E_jjP12ihipStream_tbEUljE_ZNSN_ISO_Lb0ESQ_SR_ST_SU_SY_EESZ_S10_S11_S12_S16_S17_S18_S1B_S1C_jS1D_jS1E_S1E_jjS1G_bEUljE0_EEESZ_S10_S11_S18_S1C_S1E_T6_T7_T9_mT8_S1G_bDpT10_ENKUlT_T0_E_clISt17integral_constantIbLb0EES1T_IbLb1EEEEDaS1P_S1Q_EUlS1P_E_NS1_11comp_targetILNS1_3genE2ELNS1_11target_archE906ELNS1_3gpuE6ELNS1_3repE0EEENS1_30default_config_static_selectorELNS0_4arch9wavefront6targetE0EEEvS12_
    .private_segment_fixed_size: 0
    .sgpr_count:     0
    .sgpr_spill_count: 0
    .symbol:         _ZN7rocprim17ROCPRIM_400000_NS6detail17trampoline_kernelINS0_13select_configILj256ELj13ELNS0_17block_load_methodE3ELS4_3ELS4_3ELNS0_20block_scan_algorithmE0ELj4294967295EEENS1_25partition_config_selectorILNS1_17partition_subalgoE4EjNS0_10empty_typeEbEEZZNS1_14partition_implILS8_4ELb0ES6_15HIP_vector_typeIjLj2EENS0_17counting_iteratorIjlEEPS9_SG_NS0_5tupleIJPjSI_NS0_16reverse_iteratorISI_EEEEENSH_IJSG_SG_SG_EEES9_SI_JZNS1_25segmented_radix_sort_implINS0_14default_configELb0EPKsPsPKlPlN2at6native12_GLOBAL__N_18offset_tEEE10hipError_tPvRmT1_PNSt15iterator_traitsIS12_E10value_typeET2_T3_PNS13_IS18_E10value_typeET4_jRbjT5_S1E_jjP12ihipStream_tbEUljE_ZNSN_ISO_Lb0ESQ_SR_ST_SU_SY_EESZ_S10_S11_S12_S16_S17_S18_S1B_S1C_jS1D_jS1E_S1E_jjS1G_bEUljE0_EEESZ_S10_S11_S18_S1C_S1E_T6_T7_T9_mT8_S1G_bDpT10_ENKUlT_T0_E_clISt17integral_constantIbLb0EES1T_IbLb1EEEEDaS1P_S1Q_EUlS1P_E_NS1_11comp_targetILNS1_3genE2ELNS1_11target_archE906ELNS1_3gpuE6ELNS1_3repE0EEENS1_30default_config_static_selectorELNS0_4arch9wavefront6targetE0EEEvS12_.kd
    .uniform_work_group_size: 1
    .uses_dynamic_stack: false
    .vgpr_count:     0
    .vgpr_spill_count: 0
    .wavefront_size: 32
    .workgroup_processor_mode: 1
  - .args:
      - .offset:         0
        .size:           184
        .value_kind:     by_value
    .group_segment_fixed_size: 0
    .kernarg_segment_align: 8
    .kernarg_segment_size: 184
    .language:       OpenCL C
    .language_version:
      - 2
      - 0
    .max_flat_workgroup_size: 256
    .name:           _ZN7rocprim17ROCPRIM_400000_NS6detail17trampoline_kernelINS0_13select_configILj256ELj13ELNS0_17block_load_methodE3ELS4_3ELS4_3ELNS0_20block_scan_algorithmE0ELj4294967295EEENS1_25partition_config_selectorILNS1_17partition_subalgoE4EjNS0_10empty_typeEbEEZZNS1_14partition_implILS8_4ELb0ES6_15HIP_vector_typeIjLj2EENS0_17counting_iteratorIjlEEPS9_SG_NS0_5tupleIJPjSI_NS0_16reverse_iteratorISI_EEEEENSH_IJSG_SG_SG_EEES9_SI_JZNS1_25segmented_radix_sort_implINS0_14default_configELb0EPKsPsPKlPlN2at6native12_GLOBAL__N_18offset_tEEE10hipError_tPvRmT1_PNSt15iterator_traitsIS12_E10value_typeET2_T3_PNS13_IS18_E10value_typeET4_jRbjT5_S1E_jjP12ihipStream_tbEUljE_ZNSN_ISO_Lb0ESQ_SR_ST_SU_SY_EESZ_S10_S11_S12_S16_S17_S18_S1B_S1C_jS1D_jS1E_S1E_jjS1G_bEUljE0_EEESZ_S10_S11_S18_S1C_S1E_T6_T7_T9_mT8_S1G_bDpT10_ENKUlT_T0_E_clISt17integral_constantIbLb0EES1T_IbLb1EEEEDaS1P_S1Q_EUlS1P_E_NS1_11comp_targetILNS1_3genE10ELNS1_11target_archE1200ELNS1_3gpuE4ELNS1_3repE0EEENS1_30default_config_static_selectorELNS0_4arch9wavefront6targetE0EEEvS12_
    .private_segment_fixed_size: 0
    .sgpr_count:     0
    .sgpr_spill_count: 0
    .symbol:         _ZN7rocprim17ROCPRIM_400000_NS6detail17trampoline_kernelINS0_13select_configILj256ELj13ELNS0_17block_load_methodE3ELS4_3ELS4_3ELNS0_20block_scan_algorithmE0ELj4294967295EEENS1_25partition_config_selectorILNS1_17partition_subalgoE4EjNS0_10empty_typeEbEEZZNS1_14partition_implILS8_4ELb0ES6_15HIP_vector_typeIjLj2EENS0_17counting_iteratorIjlEEPS9_SG_NS0_5tupleIJPjSI_NS0_16reverse_iteratorISI_EEEEENSH_IJSG_SG_SG_EEES9_SI_JZNS1_25segmented_radix_sort_implINS0_14default_configELb0EPKsPsPKlPlN2at6native12_GLOBAL__N_18offset_tEEE10hipError_tPvRmT1_PNSt15iterator_traitsIS12_E10value_typeET2_T3_PNS13_IS18_E10value_typeET4_jRbjT5_S1E_jjP12ihipStream_tbEUljE_ZNSN_ISO_Lb0ESQ_SR_ST_SU_SY_EESZ_S10_S11_S12_S16_S17_S18_S1B_S1C_jS1D_jS1E_S1E_jjS1G_bEUljE0_EEESZ_S10_S11_S18_S1C_S1E_T6_T7_T9_mT8_S1G_bDpT10_ENKUlT_T0_E_clISt17integral_constantIbLb0EES1T_IbLb1EEEEDaS1P_S1Q_EUlS1P_E_NS1_11comp_targetILNS1_3genE10ELNS1_11target_archE1200ELNS1_3gpuE4ELNS1_3repE0EEENS1_30default_config_static_selectorELNS0_4arch9wavefront6targetE0EEEvS12_.kd
    .uniform_work_group_size: 1
    .uses_dynamic_stack: false
    .vgpr_count:     0
    .vgpr_spill_count: 0
    .wavefront_size: 32
    .workgroup_processor_mode: 1
  - .args:
      - .offset:         0
        .size:           184
        .value_kind:     by_value
    .group_segment_fixed_size: 13340
    .kernarg_segment_align: 8
    .kernarg_segment_size: 184
    .language:       OpenCL C
    .language_version:
      - 2
      - 0
    .max_flat_workgroup_size: 256
    .name:           _ZN7rocprim17ROCPRIM_400000_NS6detail17trampoline_kernelINS0_13select_configILj256ELj13ELNS0_17block_load_methodE3ELS4_3ELS4_3ELNS0_20block_scan_algorithmE0ELj4294967295EEENS1_25partition_config_selectorILNS1_17partition_subalgoE4EjNS0_10empty_typeEbEEZZNS1_14partition_implILS8_4ELb0ES6_15HIP_vector_typeIjLj2EENS0_17counting_iteratorIjlEEPS9_SG_NS0_5tupleIJPjSI_NS0_16reverse_iteratorISI_EEEEENSH_IJSG_SG_SG_EEES9_SI_JZNS1_25segmented_radix_sort_implINS0_14default_configELb0EPKsPsPKlPlN2at6native12_GLOBAL__N_18offset_tEEE10hipError_tPvRmT1_PNSt15iterator_traitsIS12_E10value_typeET2_T3_PNS13_IS18_E10value_typeET4_jRbjT5_S1E_jjP12ihipStream_tbEUljE_ZNSN_ISO_Lb0ESQ_SR_ST_SU_SY_EESZ_S10_S11_S12_S16_S17_S18_S1B_S1C_jS1D_jS1E_S1E_jjS1G_bEUljE0_EEESZ_S10_S11_S18_S1C_S1E_T6_T7_T9_mT8_S1G_bDpT10_ENKUlT_T0_E_clISt17integral_constantIbLb0EES1T_IbLb1EEEEDaS1P_S1Q_EUlS1P_E_NS1_11comp_targetILNS1_3genE9ELNS1_11target_archE1100ELNS1_3gpuE3ELNS1_3repE0EEENS1_30default_config_static_selectorELNS0_4arch9wavefront6targetE0EEEvS12_
    .private_segment_fixed_size: 0
    .sgpr_count:     57
    .sgpr_spill_count: 0
    .symbol:         _ZN7rocprim17ROCPRIM_400000_NS6detail17trampoline_kernelINS0_13select_configILj256ELj13ELNS0_17block_load_methodE3ELS4_3ELS4_3ELNS0_20block_scan_algorithmE0ELj4294967295EEENS1_25partition_config_selectorILNS1_17partition_subalgoE4EjNS0_10empty_typeEbEEZZNS1_14partition_implILS8_4ELb0ES6_15HIP_vector_typeIjLj2EENS0_17counting_iteratorIjlEEPS9_SG_NS0_5tupleIJPjSI_NS0_16reverse_iteratorISI_EEEEENSH_IJSG_SG_SG_EEES9_SI_JZNS1_25segmented_radix_sort_implINS0_14default_configELb0EPKsPsPKlPlN2at6native12_GLOBAL__N_18offset_tEEE10hipError_tPvRmT1_PNSt15iterator_traitsIS12_E10value_typeET2_T3_PNS13_IS18_E10value_typeET4_jRbjT5_S1E_jjP12ihipStream_tbEUljE_ZNSN_ISO_Lb0ESQ_SR_ST_SU_SY_EESZ_S10_S11_S12_S16_S17_S18_S1B_S1C_jS1D_jS1E_S1E_jjS1G_bEUljE0_EEESZ_S10_S11_S18_S1C_S1E_T6_T7_T9_mT8_S1G_bDpT10_ENKUlT_T0_E_clISt17integral_constantIbLb0EES1T_IbLb1EEEEDaS1P_S1Q_EUlS1P_E_NS1_11comp_targetILNS1_3genE9ELNS1_11target_archE1100ELNS1_3gpuE3ELNS1_3repE0EEENS1_30default_config_static_selectorELNS0_4arch9wavefront6targetE0EEEvS12_.kd
    .uniform_work_group_size: 1
    .uses_dynamic_stack: false
    .vgpr_count:     103
    .vgpr_spill_count: 0
    .wavefront_size: 32
    .workgroup_processor_mode: 1
  - .args:
      - .offset:         0
        .size:           184
        .value_kind:     by_value
    .group_segment_fixed_size: 0
    .kernarg_segment_align: 8
    .kernarg_segment_size: 184
    .language:       OpenCL C
    .language_version:
      - 2
      - 0
    .max_flat_workgroup_size: 256
    .name:           _ZN7rocprim17ROCPRIM_400000_NS6detail17trampoline_kernelINS0_13select_configILj256ELj13ELNS0_17block_load_methodE3ELS4_3ELS4_3ELNS0_20block_scan_algorithmE0ELj4294967295EEENS1_25partition_config_selectorILNS1_17partition_subalgoE4EjNS0_10empty_typeEbEEZZNS1_14partition_implILS8_4ELb0ES6_15HIP_vector_typeIjLj2EENS0_17counting_iteratorIjlEEPS9_SG_NS0_5tupleIJPjSI_NS0_16reverse_iteratorISI_EEEEENSH_IJSG_SG_SG_EEES9_SI_JZNS1_25segmented_radix_sort_implINS0_14default_configELb0EPKsPsPKlPlN2at6native12_GLOBAL__N_18offset_tEEE10hipError_tPvRmT1_PNSt15iterator_traitsIS12_E10value_typeET2_T3_PNS13_IS18_E10value_typeET4_jRbjT5_S1E_jjP12ihipStream_tbEUljE_ZNSN_ISO_Lb0ESQ_SR_ST_SU_SY_EESZ_S10_S11_S12_S16_S17_S18_S1B_S1C_jS1D_jS1E_S1E_jjS1G_bEUljE0_EEESZ_S10_S11_S18_S1C_S1E_T6_T7_T9_mT8_S1G_bDpT10_ENKUlT_T0_E_clISt17integral_constantIbLb0EES1T_IbLb1EEEEDaS1P_S1Q_EUlS1P_E_NS1_11comp_targetILNS1_3genE8ELNS1_11target_archE1030ELNS1_3gpuE2ELNS1_3repE0EEENS1_30default_config_static_selectorELNS0_4arch9wavefront6targetE0EEEvS12_
    .private_segment_fixed_size: 0
    .sgpr_count:     0
    .sgpr_spill_count: 0
    .symbol:         _ZN7rocprim17ROCPRIM_400000_NS6detail17trampoline_kernelINS0_13select_configILj256ELj13ELNS0_17block_load_methodE3ELS4_3ELS4_3ELNS0_20block_scan_algorithmE0ELj4294967295EEENS1_25partition_config_selectorILNS1_17partition_subalgoE4EjNS0_10empty_typeEbEEZZNS1_14partition_implILS8_4ELb0ES6_15HIP_vector_typeIjLj2EENS0_17counting_iteratorIjlEEPS9_SG_NS0_5tupleIJPjSI_NS0_16reverse_iteratorISI_EEEEENSH_IJSG_SG_SG_EEES9_SI_JZNS1_25segmented_radix_sort_implINS0_14default_configELb0EPKsPsPKlPlN2at6native12_GLOBAL__N_18offset_tEEE10hipError_tPvRmT1_PNSt15iterator_traitsIS12_E10value_typeET2_T3_PNS13_IS18_E10value_typeET4_jRbjT5_S1E_jjP12ihipStream_tbEUljE_ZNSN_ISO_Lb0ESQ_SR_ST_SU_SY_EESZ_S10_S11_S12_S16_S17_S18_S1B_S1C_jS1D_jS1E_S1E_jjS1G_bEUljE0_EEESZ_S10_S11_S18_S1C_S1E_T6_T7_T9_mT8_S1G_bDpT10_ENKUlT_T0_E_clISt17integral_constantIbLb0EES1T_IbLb1EEEEDaS1P_S1Q_EUlS1P_E_NS1_11comp_targetILNS1_3genE8ELNS1_11target_archE1030ELNS1_3gpuE2ELNS1_3repE0EEENS1_30default_config_static_selectorELNS0_4arch9wavefront6targetE0EEEvS12_.kd
    .uniform_work_group_size: 1
    .uses_dynamic_stack: false
    .vgpr_count:     0
    .vgpr_spill_count: 0
    .wavefront_size: 32
    .workgroup_processor_mode: 1
  - .args:
      - .offset:         0
        .size:           144
        .value_kind:     by_value
    .group_segment_fixed_size: 0
    .kernarg_segment_align: 8
    .kernarg_segment_size: 144
    .language:       OpenCL C
    .language_version:
      - 2
      - 0
    .max_flat_workgroup_size: 256
    .name:           _ZN7rocprim17ROCPRIM_400000_NS6detail17trampoline_kernelINS0_13select_configILj256ELj13ELNS0_17block_load_methodE3ELS4_3ELS4_3ELNS0_20block_scan_algorithmE0ELj4294967295EEENS1_25partition_config_selectorILNS1_17partition_subalgoE3EjNS0_10empty_typeEbEEZZNS1_14partition_implILS8_3ELb0ES6_jNS0_17counting_iteratorIjlEEPS9_SE_NS0_5tupleIJPjSE_EEENSF_IJSE_SE_EEES9_SG_JZNS1_25segmented_radix_sort_implINS0_14default_configELb0EPKsPsPKlPlN2at6native12_GLOBAL__N_18offset_tEEE10hipError_tPvRmT1_PNSt15iterator_traitsISY_E10value_typeET2_T3_PNSZ_IS14_E10value_typeET4_jRbjT5_S1A_jjP12ihipStream_tbEUljE_EEESV_SW_SX_S14_S18_S1A_T6_T7_T9_mT8_S1C_bDpT10_ENKUlT_T0_E_clISt17integral_constantIbLb0EES1P_EEDaS1K_S1L_EUlS1K_E_NS1_11comp_targetILNS1_3genE0ELNS1_11target_archE4294967295ELNS1_3gpuE0ELNS1_3repE0EEENS1_30default_config_static_selectorELNS0_4arch9wavefront6targetE0EEEvSY_
    .private_segment_fixed_size: 0
    .sgpr_count:     0
    .sgpr_spill_count: 0
    .symbol:         _ZN7rocprim17ROCPRIM_400000_NS6detail17trampoline_kernelINS0_13select_configILj256ELj13ELNS0_17block_load_methodE3ELS4_3ELS4_3ELNS0_20block_scan_algorithmE0ELj4294967295EEENS1_25partition_config_selectorILNS1_17partition_subalgoE3EjNS0_10empty_typeEbEEZZNS1_14partition_implILS8_3ELb0ES6_jNS0_17counting_iteratorIjlEEPS9_SE_NS0_5tupleIJPjSE_EEENSF_IJSE_SE_EEES9_SG_JZNS1_25segmented_radix_sort_implINS0_14default_configELb0EPKsPsPKlPlN2at6native12_GLOBAL__N_18offset_tEEE10hipError_tPvRmT1_PNSt15iterator_traitsISY_E10value_typeET2_T3_PNSZ_IS14_E10value_typeET4_jRbjT5_S1A_jjP12ihipStream_tbEUljE_EEESV_SW_SX_S14_S18_S1A_T6_T7_T9_mT8_S1C_bDpT10_ENKUlT_T0_E_clISt17integral_constantIbLb0EES1P_EEDaS1K_S1L_EUlS1K_E_NS1_11comp_targetILNS1_3genE0ELNS1_11target_archE4294967295ELNS1_3gpuE0ELNS1_3repE0EEENS1_30default_config_static_selectorELNS0_4arch9wavefront6targetE0EEEvSY_.kd
    .uniform_work_group_size: 1
    .uses_dynamic_stack: false
    .vgpr_count:     0
    .vgpr_spill_count: 0
    .wavefront_size: 32
    .workgroup_processor_mode: 1
  - .args:
      - .offset:         0
        .size:           144
        .value_kind:     by_value
    .group_segment_fixed_size: 0
    .kernarg_segment_align: 8
    .kernarg_segment_size: 144
    .language:       OpenCL C
    .language_version:
      - 2
      - 0
    .max_flat_workgroup_size: 256
    .name:           _ZN7rocprim17ROCPRIM_400000_NS6detail17trampoline_kernelINS0_13select_configILj256ELj13ELNS0_17block_load_methodE3ELS4_3ELS4_3ELNS0_20block_scan_algorithmE0ELj4294967295EEENS1_25partition_config_selectorILNS1_17partition_subalgoE3EjNS0_10empty_typeEbEEZZNS1_14partition_implILS8_3ELb0ES6_jNS0_17counting_iteratorIjlEEPS9_SE_NS0_5tupleIJPjSE_EEENSF_IJSE_SE_EEES9_SG_JZNS1_25segmented_radix_sort_implINS0_14default_configELb0EPKsPsPKlPlN2at6native12_GLOBAL__N_18offset_tEEE10hipError_tPvRmT1_PNSt15iterator_traitsISY_E10value_typeET2_T3_PNSZ_IS14_E10value_typeET4_jRbjT5_S1A_jjP12ihipStream_tbEUljE_EEESV_SW_SX_S14_S18_S1A_T6_T7_T9_mT8_S1C_bDpT10_ENKUlT_T0_E_clISt17integral_constantIbLb0EES1P_EEDaS1K_S1L_EUlS1K_E_NS1_11comp_targetILNS1_3genE5ELNS1_11target_archE942ELNS1_3gpuE9ELNS1_3repE0EEENS1_30default_config_static_selectorELNS0_4arch9wavefront6targetE0EEEvSY_
    .private_segment_fixed_size: 0
    .sgpr_count:     0
    .sgpr_spill_count: 0
    .symbol:         _ZN7rocprim17ROCPRIM_400000_NS6detail17trampoline_kernelINS0_13select_configILj256ELj13ELNS0_17block_load_methodE3ELS4_3ELS4_3ELNS0_20block_scan_algorithmE0ELj4294967295EEENS1_25partition_config_selectorILNS1_17partition_subalgoE3EjNS0_10empty_typeEbEEZZNS1_14partition_implILS8_3ELb0ES6_jNS0_17counting_iteratorIjlEEPS9_SE_NS0_5tupleIJPjSE_EEENSF_IJSE_SE_EEES9_SG_JZNS1_25segmented_radix_sort_implINS0_14default_configELb0EPKsPsPKlPlN2at6native12_GLOBAL__N_18offset_tEEE10hipError_tPvRmT1_PNSt15iterator_traitsISY_E10value_typeET2_T3_PNSZ_IS14_E10value_typeET4_jRbjT5_S1A_jjP12ihipStream_tbEUljE_EEESV_SW_SX_S14_S18_S1A_T6_T7_T9_mT8_S1C_bDpT10_ENKUlT_T0_E_clISt17integral_constantIbLb0EES1P_EEDaS1K_S1L_EUlS1K_E_NS1_11comp_targetILNS1_3genE5ELNS1_11target_archE942ELNS1_3gpuE9ELNS1_3repE0EEENS1_30default_config_static_selectorELNS0_4arch9wavefront6targetE0EEEvSY_.kd
    .uniform_work_group_size: 1
    .uses_dynamic_stack: false
    .vgpr_count:     0
    .vgpr_spill_count: 0
    .wavefront_size: 32
    .workgroup_processor_mode: 1
  - .args:
      - .offset:         0
        .size:           144
        .value_kind:     by_value
    .group_segment_fixed_size: 0
    .kernarg_segment_align: 8
    .kernarg_segment_size: 144
    .language:       OpenCL C
    .language_version:
      - 2
      - 0
    .max_flat_workgroup_size: 256
    .name:           _ZN7rocprim17ROCPRIM_400000_NS6detail17trampoline_kernelINS0_13select_configILj256ELj13ELNS0_17block_load_methodE3ELS4_3ELS4_3ELNS0_20block_scan_algorithmE0ELj4294967295EEENS1_25partition_config_selectorILNS1_17partition_subalgoE3EjNS0_10empty_typeEbEEZZNS1_14partition_implILS8_3ELb0ES6_jNS0_17counting_iteratorIjlEEPS9_SE_NS0_5tupleIJPjSE_EEENSF_IJSE_SE_EEES9_SG_JZNS1_25segmented_radix_sort_implINS0_14default_configELb0EPKsPsPKlPlN2at6native12_GLOBAL__N_18offset_tEEE10hipError_tPvRmT1_PNSt15iterator_traitsISY_E10value_typeET2_T3_PNSZ_IS14_E10value_typeET4_jRbjT5_S1A_jjP12ihipStream_tbEUljE_EEESV_SW_SX_S14_S18_S1A_T6_T7_T9_mT8_S1C_bDpT10_ENKUlT_T0_E_clISt17integral_constantIbLb0EES1P_EEDaS1K_S1L_EUlS1K_E_NS1_11comp_targetILNS1_3genE4ELNS1_11target_archE910ELNS1_3gpuE8ELNS1_3repE0EEENS1_30default_config_static_selectorELNS0_4arch9wavefront6targetE0EEEvSY_
    .private_segment_fixed_size: 0
    .sgpr_count:     0
    .sgpr_spill_count: 0
    .symbol:         _ZN7rocprim17ROCPRIM_400000_NS6detail17trampoline_kernelINS0_13select_configILj256ELj13ELNS0_17block_load_methodE3ELS4_3ELS4_3ELNS0_20block_scan_algorithmE0ELj4294967295EEENS1_25partition_config_selectorILNS1_17partition_subalgoE3EjNS0_10empty_typeEbEEZZNS1_14partition_implILS8_3ELb0ES6_jNS0_17counting_iteratorIjlEEPS9_SE_NS0_5tupleIJPjSE_EEENSF_IJSE_SE_EEES9_SG_JZNS1_25segmented_radix_sort_implINS0_14default_configELb0EPKsPsPKlPlN2at6native12_GLOBAL__N_18offset_tEEE10hipError_tPvRmT1_PNSt15iterator_traitsISY_E10value_typeET2_T3_PNSZ_IS14_E10value_typeET4_jRbjT5_S1A_jjP12ihipStream_tbEUljE_EEESV_SW_SX_S14_S18_S1A_T6_T7_T9_mT8_S1C_bDpT10_ENKUlT_T0_E_clISt17integral_constantIbLb0EES1P_EEDaS1K_S1L_EUlS1K_E_NS1_11comp_targetILNS1_3genE4ELNS1_11target_archE910ELNS1_3gpuE8ELNS1_3repE0EEENS1_30default_config_static_selectorELNS0_4arch9wavefront6targetE0EEEvSY_.kd
    .uniform_work_group_size: 1
    .uses_dynamic_stack: false
    .vgpr_count:     0
    .vgpr_spill_count: 0
    .wavefront_size: 32
    .workgroup_processor_mode: 1
  - .args:
      - .offset:         0
        .size:           144
        .value_kind:     by_value
    .group_segment_fixed_size: 0
    .kernarg_segment_align: 8
    .kernarg_segment_size: 144
    .language:       OpenCL C
    .language_version:
      - 2
      - 0
    .max_flat_workgroup_size: 256
    .name:           _ZN7rocprim17ROCPRIM_400000_NS6detail17trampoline_kernelINS0_13select_configILj256ELj13ELNS0_17block_load_methodE3ELS4_3ELS4_3ELNS0_20block_scan_algorithmE0ELj4294967295EEENS1_25partition_config_selectorILNS1_17partition_subalgoE3EjNS0_10empty_typeEbEEZZNS1_14partition_implILS8_3ELb0ES6_jNS0_17counting_iteratorIjlEEPS9_SE_NS0_5tupleIJPjSE_EEENSF_IJSE_SE_EEES9_SG_JZNS1_25segmented_radix_sort_implINS0_14default_configELb0EPKsPsPKlPlN2at6native12_GLOBAL__N_18offset_tEEE10hipError_tPvRmT1_PNSt15iterator_traitsISY_E10value_typeET2_T3_PNSZ_IS14_E10value_typeET4_jRbjT5_S1A_jjP12ihipStream_tbEUljE_EEESV_SW_SX_S14_S18_S1A_T6_T7_T9_mT8_S1C_bDpT10_ENKUlT_T0_E_clISt17integral_constantIbLb0EES1P_EEDaS1K_S1L_EUlS1K_E_NS1_11comp_targetILNS1_3genE3ELNS1_11target_archE908ELNS1_3gpuE7ELNS1_3repE0EEENS1_30default_config_static_selectorELNS0_4arch9wavefront6targetE0EEEvSY_
    .private_segment_fixed_size: 0
    .sgpr_count:     0
    .sgpr_spill_count: 0
    .symbol:         _ZN7rocprim17ROCPRIM_400000_NS6detail17trampoline_kernelINS0_13select_configILj256ELj13ELNS0_17block_load_methodE3ELS4_3ELS4_3ELNS0_20block_scan_algorithmE0ELj4294967295EEENS1_25partition_config_selectorILNS1_17partition_subalgoE3EjNS0_10empty_typeEbEEZZNS1_14partition_implILS8_3ELb0ES6_jNS0_17counting_iteratorIjlEEPS9_SE_NS0_5tupleIJPjSE_EEENSF_IJSE_SE_EEES9_SG_JZNS1_25segmented_radix_sort_implINS0_14default_configELb0EPKsPsPKlPlN2at6native12_GLOBAL__N_18offset_tEEE10hipError_tPvRmT1_PNSt15iterator_traitsISY_E10value_typeET2_T3_PNSZ_IS14_E10value_typeET4_jRbjT5_S1A_jjP12ihipStream_tbEUljE_EEESV_SW_SX_S14_S18_S1A_T6_T7_T9_mT8_S1C_bDpT10_ENKUlT_T0_E_clISt17integral_constantIbLb0EES1P_EEDaS1K_S1L_EUlS1K_E_NS1_11comp_targetILNS1_3genE3ELNS1_11target_archE908ELNS1_3gpuE7ELNS1_3repE0EEENS1_30default_config_static_selectorELNS0_4arch9wavefront6targetE0EEEvSY_.kd
    .uniform_work_group_size: 1
    .uses_dynamic_stack: false
    .vgpr_count:     0
    .vgpr_spill_count: 0
    .wavefront_size: 32
    .workgroup_processor_mode: 1
  - .args:
      - .offset:         0
        .size:           144
        .value_kind:     by_value
    .group_segment_fixed_size: 0
    .kernarg_segment_align: 8
    .kernarg_segment_size: 144
    .language:       OpenCL C
    .language_version:
      - 2
      - 0
    .max_flat_workgroup_size: 256
    .name:           _ZN7rocprim17ROCPRIM_400000_NS6detail17trampoline_kernelINS0_13select_configILj256ELj13ELNS0_17block_load_methodE3ELS4_3ELS4_3ELNS0_20block_scan_algorithmE0ELj4294967295EEENS1_25partition_config_selectorILNS1_17partition_subalgoE3EjNS0_10empty_typeEbEEZZNS1_14partition_implILS8_3ELb0ES6_jNS0_17counting_iteratorIjlEEPS9_SE_NS0_5tupleIJPjSE_EEENSF_IJSE_SE_EEES9_SG_JZNS1_25segmented_radix_sort_implINS0_14default_configELb0EPKsPsPKlPlN2at6native12_GLOBAL__N_18offset_tEEE10hipError_tPvRmT1_PNSt15iterator_traitsISY_E10value_typeET2_T3_PNSZ_IS14_E10value_typeET4_jRbjT5_S1A_jjP12ihipStream_tbEUljE_EEESV_SW_SX_S14_S18_S1A_T6_T7_T9_mT8_S1C_bDpT10_ENKUlT_T0_E_clISt17integral_constantIbLb0EES1P_EEDaS1K_S1L_EUlS1K_E_NS1_11comp_targetILNS1_3genE2ELNS1_11target_archE906ELNS1_3gpuE6ELNS1_3repE0EEENS1_30default_config_static_selectorELNS0_4arch9wavefront6targetE0EEEvSY_
    .private_segment_fixed_size: 0
    .sgpr_count:     0
    .sgpr_spill_count: 0
    .symbol:         _ZN7rocprim17ROCPRIM_400000_NS6detail17trampoline_kernelINS0_13select_configILj256ELj13ELNS0_17block_load_methodE3ELS4_3ELS4_3ELNS0_20block_scan_algorithmE0ELj4294967295EEENS1_25partition_config_selectorILNS1_17partition_subalgoE3EjNS0_10empty_typeEbEEZZNS1_14partition_implILS8_3ELb0ES6_jNS0_17counting_iteratorIjlEEPS9_SE_NS0_5tupleIJPjSE_EEENSF_IJSE_SE_EEES9_SG_JZNS1_25segmented_radix_sort_implINS0_14default_configELb0EPKsPsPKlPlN2at6native12_GLOBAL__N_18offset_tEEE10hipError_tPvRmT1_PNSt15iterator_traitsISY_E10value_typeET2_T3_PNSZ_IS14_E10value_typeET4_jRbjT5_S1A_jjP12ihipStream_tbEUljE_EEESV_SW_SX_S14_S18_S1A_T6_T7_T9_mT8_S1C_bDpT10_ENKUlT_T0_E_clISt17integral_constantIbLb0EES1P_EEDaS1K_S1L_EUlS1K_E_NS1_11comp_targetILNS1_3genE2ELNS1_11target_archE906ELNS1_3gpuE6ELNS1_3repE0EEENS1_30default_config_static_selectorELNS0_4arch9wavefront6targetE0EEEvSY_.kd
    .uniform_work_group_size: 1
    .uses_dynamic_stack: false
    .vgpr_count:     0
    .vgpr_spill_count: 0
    .wavefront_size: 32
    .workgroup_processor_mode: 1
  - .args:
      - .offset:         0
        .size:           144
        .value_kind:     by_value
    .group_segment_fixed_size: 0
    .kernarg_segment_align: 8
    .kernarg_segment_size: 144
    .language:       OpenCL C
    .language_version:
      - 2
      - 0
    .max_flat_workgroup_size: 256
    .name:           _ZN7rocprim17ROCPRIM_400000_NS6detail17trampoline_kernelINS0_13select_configILj256ELj13ELNS0_17block_load_methodE3ELS4_3ELS4_3ELNS0_20block_scan_algorithmE0ELj4294967295EEENS1_25partition_config_selectorILNS1_17partition_subalgoE3EjNS0_10empty_typeEbEEZZNS1_14partition_implILS8_3ELb0ES6_jNS0_17counting_iteratorIjlEEPS9_SE_NS0_5tupleIJPjSE_EEENSF_IJSE_SE_EEES9_SG_JZNS1_25segmented_radix_sort_implINS0_14default_configELb0EPKsPsPKlPlN2at6native12_GLOBAL__N_18offset_tEEE10hipError_tPvRmT1_PNSt15iterator_traitsISY_E10value_typeET2_T3_PNSZ_IS14_E10value_typeET4_jRbjT5_S1A_jjP12ihipStream_tbEUljE_EEESV_SW_SX_S14_S18_S1A_T6_T7_T9_mT8_S1C_bDpT10_ENKUlT_T0_E_clISt17integral_constantIbLb0EES1P_EEDaS1K_S1L_EUlS1K_E_NS1_11comp_targetILNS1_3genE10ELNS1_11target_archE1200ELNS1_3gpuE4ELNS1_3repE0EEENS1_30default_config_static_selectorELNS0_4arch9wavefront6targetE0EEEvSY_
    .private_segment_fixed_size: 0
    .sgpr_count:     0
    .sgpr_spill_count: 0
    .symbol:         _ZN7rocprim17ROCPRIM_400000_NS6detail17trampoline_kernelINS0_13select_configILj256ELj13ELNS0_17block_load_methodE3ELS4_3ELS4_3ELNS0_20block_scan_algorithmE0ELj4294967295EEENS1_25partition_config_selectorILNS1_17partition_subalgoE3EjNS0_10empty_typeEbEEZZNS1_14partition_implILS8_3ELb0ES6_jNS0_17counting_iteratorIjlEEPS9_SE_NS0_5tupleIJPjSE_EEENSF_IJSE_SE_EEES9_SG_JZNS1_25segmented_radix_sort_implINS0_14default_configELb0EPKsPsPKlPlN2at6native12_GLOBAL__N_18offset_tEEE10hipError_tPvRmT1_PNSt15iterator_traitsISY_E10value_typeET2_T3_PNSZ_IS14_E10value_typeET4_jRbjT5_S1A_jjP12ihipStream_tbEUljE_EEESV_SW_SX_S14_S18_S1A_T6_T7_T9_mT8_S1C_bDpT10_ENKUlT_T0_E_clISt17integral_constantIbLb0EES1P_EEDaS1K_S1L_EUlS1K_E_NS1_11comp_targetILNS1_3genE10ELNS1_11target_archE1200ELNS1_3gpuE4ELNS1_3repE0EEENS1_30default_config_static_selectorELNS0_4arch9wavefront6targetE0EEEvSY_.kd
    .uniform_work_group_size: 1
    .uses_dynamic_stack: false
    .vgpr_count:     0
    .vgpr_spill_count: 0
    .wavefront_size: 32
    .workgroup_processor_mode: 1
  - .args:
      - .offset:         0
        .size:           144
        .value_kind:     by_value
    .group_segment_fixed_size: 13324
    .kernarg_segment_align: 8
    .kernarg_segment_size: 144
    .language:       OpenCL C
    .language_version:
      - 2
      - 0
    .max_flat_workgroup_size: 256
    .name:           _ZN7rocprim17ROCPRIM_400000_NS6detail17trampoline_kernelINS0_13select_configILj256ELj13ELNS0_17block_load_methodE3ELS4_3ELS4_3ELNS0_20block_scan_algorithmE0ELj4294967295EEENS1_25partition_config_selectorILNS1_17partition_subalgoE3EjNS0_10empty_typeEbEEZZNS1_14partition_implILS8_3ELb0ES6_jNS0_17counting_iteratorIjlEEPS9_SE_NS0_5tupleIJPjSE_EEENSF_IJSE_SE_EEES9_SG_JZNS1_25segmented_radix_sort_implINS0_14default_configELb0EPKsPsPKlPlN2at6native12_GLOBAL__N_18offset_tEEE10hipError_tPvRmT1_PNSt15iterator_traitsISY_E10value_typeET2_T3_PNSZ_IS14_E10value_typeET4_jRbjT5_S1A_jjP12ihipStream_tbEUljE_EEESV_SW_SX_S14_S18_S1A_T6_T7_T9_mT8_S1C_bDpT10_ENKUlT_T0_E_clISt17integral_constantIbLb0EES1P_EEDaS1K_S1L_EUlS1K_E_NS1_11comp_targetILNS1_3genE9ELNS1_11target_archE1100ELNS1_3gpuE3ELNS1_3repE0EEENS1_30default_config_static_selectorELNS0_4arch9wavefront6targetE0EEEvSY_
    .private_segment_fixed_size: 0
    .sgpr_count:     30
    .sgpr_spill_count: 0
    .symbol:         _ZN7rocprim17ROCPRIM_400000_NS6detail17trampoline_kernelINS0_13select_configILj256ELj13ELNS0_17block_load_methodE3ELS4_3ELS4_3ELNS0_20block_scan_algorithmE0ELj4294967295EEENS1_25partition_config_selectorILNS1_17partition_subalgoE3EjNS0_10empty_typeEbEEZZNS1_14partition_implILS8_3ELb0ES6_jNS0_17counting_iteratorIjlEEPS9_SE_NS0_5tupleIJPjSE_EEENSF_IJSE_SE_EEES9_SG_JZNS1_25segmented_radix_sort_implINS0_14default_configELb0EPKsPsPKlPlN2at6native12_GLOBAL__N_18offset_tEEE10hipError_tPvRmT1_PNSt15iterator_traitsISY_E10value_typeET2_T3_PNSZ_IS14_E10value_typeET4_jRbjT5_S1A_jjP12ihipStream_tbEUljE_EEESV_SW_SX_S14_S18_S1A_T6_T7_T9_mT8_S1C_bDpT10_ENKUlT_T0_E_clISt17integral_constantIbLb0EES1P_EEDaS1K_S1L_EUlS1K_E_NS1_11comp_targetILNS1_3genE9ELNS1_11target_archE1100ELNS1_3gpuE3ELNS1_3repE0EEENS1_30default_config_static_selectorELNS0_4arch9wavefront6targetE0EEEvSY_.kd
    .uniform_work_group_size: 1
    .uses_dynamic_stack: false
    .vgpr_count:     57
    .vgpr_spill_count: 0
    .wavefront_size: 32
    .workgroup_processor_mode: 1
  - .args:
      - .offset:         0
        .size:           144
        .value_kind:     by_value
    .group_segment_fixed_size: 0
    .kernarg_segment_align: 8
    .kernarg_segment_size: 144
    .language:       OpenCL C
    .language_version:
      - 2
      - 0
    .max_flat_workgroup_size: 256
    .name:           _ZN7rocprim17ROCPRIM_400000_NS6detail17trampoline_kernelINS0_13select_configILj256ELj13ELNS0_17block_load_methodE3ELS4_3ELS4_3ELNS0_20block_scan_algorithmE0ELj4294967295EEENS1_25partition_config_selectorILNS1_17partition_subalgoE3EjNS0_10empty_typeEbEEZZNS1_14partition_implILS8_3ELb0ES6_jNS0_17counting_iteratorIjlEEPS9_SE_NS0_5tupleIJPjSE_EEENSF_IJSE_SE_EEES9_SG_JZNS1_25segmented_radix_sort_implINS0_14default_configELb0EPKsPsPKlPlN2at6native12_GLOBAL__N_18offset_tEEE10hipError_tPvRmT1_PNSt15iterator_traitsISY_E10value_typeET2_T3_PNSZ_IS14_E10value_typeET4_jRbjT5_S1A_jjP12ihipStream_tbEUljE_EEESV_SW_SX_S14_S18_S1A_T6_T7_T9_mT8_S1C_bDpT10_ENKUlT_T0_E_clISt17integral_constantIbLb0EES1P_EEDaS1K_S1L_EUlS1K_E_NS1_11comp_targetILNS1_3genE8ELNS1_11target_archE1030ELNS1_3gpuE2ELNS1_3repE0EEENS1_30default_config_static_selectorELNS0_4arch9wavefront6targetE0EEEvSY_
    .private_segment_fixed_size: 0
    .sgpr_count:     0
    .sgpr_spill_count: 0
    .symbol:         _ZN7rocprim17ROCPRIM_400000_NS6detail17trampoline_kernelINS0_13select_configILj256ELj13ELNS0_17block_load_methodE3ELS4_3ELS4_3ELNS0_20block_scan_algorithmE0ELj4294967295EEENS1_25partition_config_selectorILNS1_17partition_subalgoE3EjNS0_10empty_typeEbEEZZNS1_14partition_implILS8_3ELb0ES6_jNS0_17counting_iteratorIjlEEPS9_SE_NS0_5tupleIJPjSE_EEENSF_IJSE_SE_EEES9_SG_JZNS1_25segmented_radix_sort_implINS0_14default_configELb0EPKsPsPKlPlN2at6native12_GLOBAL__N_18offset_tEEE10hipError_tPvRmT1_PNSt15iterator_traitsISY_E10value_typeET2_T3_PNSZ_IS14_E10value_typeET4_jRbjT5_S1A_jjP12ihipStream_tbEUljE_EEESV_SW_SX_S14_S18_S1A_T6_T7_T9_mT8_S1C_bDpT10_ENKUlT_T0_E_clISt17integral_constantIbLb0EES1P_EEDaS1K_S1L_EUlS1K_E_NS1_11comp_targetILNS1_3genE8ELNS1_11target_archE1030ELNS1_3gpuE2ELNS1_3repE0EEENS1_30default_config_static_selectorELNS0_4arch9wavefront6targetE0EEEvSY_.kd
    .uniform_work_group_size: 1
    .uses_dynamic_stack: false
    .vgpr_count:     0
    .vgpr_spill_count: 0
    .wavefront_size: 32
    .workgroup_processor_mode: 1
  - .args:
      - .offset:         0
        .size:           152
        .value_kind:     by_value
    .group_segment_fixed_size: 0
    .kernarg_segment_align: 8
    .kernarg_segment_size: 152
    .language:       OpenCL C
    .language_version:
      - 2
      - 0
    .max_flat_workgroup_size: 256
    .name:           _ZN7rocprim17ROCPRIM_400000_NS6detail17trampoline_kernelINS0_13select_configILj256ELj13ELNS0_17block_load_methodE3ELS4_3ELS4_3ELNS0_20block_scan_algorithmE0ELj4294967295EEENS1_25partition_config_selectorILNS1_17partition_subalgoE3EjNS0_10empty_typeEbEEZZNS1_14partition_implILS8_3ELb0ES6_jNS0_17counting_iteratorIjlEEPS9_SE_NS0_5tupleIJPjSE_EEENSF_IJSE_SE_EEES9_SG_JZNS1_25segmented_radix_sort_implINS0_14default_configELb0EPKsPsPKlPlN2at6native12_GLOBAL__N_18offset_tEEE10hipError_tPvRmT1_PNSt15iterator_traitsISY_E10value_typeET2_T3_PNSZ_IS14_E10value_typeET4_jRbjT5_S1A_jjP12ihipStream_tbEUljE_EEESV_SW_SX_S14_S18_S1A_T6_T7_T9_mT8_S1C_bDpT10_ENKUlT_T0_E_clISt17integral_constantIbLb1EES1P_EEDaS1K_S1L_EUlS1K_E_NS1_11comp_targetILNS1_3genE0ELNS1_11target_archE4294967295ELNS1_3gpuE0ELNS1_3repE0EEENS1_30default_config_static_selectorELNS0_4arch9wavefront6targetE0EEEvSY_
    .private_segment_fixed_size: 0
    .sgpr_count:     0
    .sgpr_spill_count: 0
    .symbol:         _ZN7rocprim17ROCPRIM_400000_NS6detail17trampoline_kernelINS0_13select_configILj256ELj13ELNS0_17block_load_methodE3ELS4_3ELS4_3ELNS0_20block_scan_algorithmE0ELj4294967295EEENS1_25partition_config_selectorILNS1_17partition_subalgoE3EjNS0_10empty_typeEbEEZZNS1_14partition_implILS8_3ELb0ES6_jNS0_17counting_iteratorIjlEEPS9_SE_NS0_5tupleIJPjSE_EEENSF_IJSE_SE_EEES9_SG_JZNS1_25segmented_radix_sort_implINS0_14default_configELb0EPKsPsPKlPlN2at6native12_GLOBAL__N_18offset_tEEE10hipError_tPvRmT1_PNSt15iterator_traitsISY_E10value_typeET2_T3_PNSZ_IS14_E10value_typeET4_jRbjT5_S1A_jjP12ihipStream_tbEUljE_EEESV_SW_SX_S14_S18_S1A_T6_T7_T9_mT8_S1C_bDpT10_ENKUlT_T0_E_clISt17integral_constantIbLb1EES1P_EEDaS1K_S1L_EUlS1K_E_NS1_11comp_targetILNS1_3genE0ELNS1_11target_archE4294967295ELNS1_3gpuE0ELNS1_3repE0EEENS1_30default_config_static_selectorELNS0_4arch9wavefront6targetE0EEEvSY_.kd
    .uniform_work_group_size: 1
    .uses_dynamic_stack: false
    .vgpr_count:     0
    .vgpr_spill_count: 0
    .wavefront_size: 32
    .workgroup_processor_mode: 1
  - .args:
      - .offset:         0
        .size:           152
        .value_kind:     by_value
    .group_segment_fixed_size: 0
    .kernarg_segment_align: 8
    .kernarg_segment_size: 152
    .language:       OpenCL C
    .language_version:
      - 2
      - 0
    .max_flat_workgroup_size: 256
    .name:           _ZN7rocprim17ROCPRIM_400000_NS6detail17trampoline_kernelINS0_13select_configILj256ELj13ELNS0_17block_load_methodE3ELS4_3ELS4_3ELNS0_20block_scan_algorithmE0ELj4294967295EEENS1_25partition_config_selectorILNS1_17partition_subalgoE3EjNS0_10empty_typeEbEEZZNS1_14partition_implILS8_3ELb0ES6_jNS0_17counting_iteratorIjlEEPS9_SE_NS0_5tupleIJPjSE_EEENSF_IJSE_SE_EEES9_SG_JZNS1_25segmented_radix_sort_implINS0_14default_configELb0EPKsPsPKlPlN2at6native12_GLOBAL__N_18offset_tEEE10hipError_tPvRmT1_PNSt15iterator_traitsISY_E10value_typeET2_T3_PNSZ_IS14_E10value_typeET4_jRbjT5_S1A_jjP12ihipStream_tbEUljE_EEESV_SW_SX_S14_S18_S1A_T6_T7_T9_mT8_S1C_bDpT10_ENKUlT_T0_E_clISt17integral_constantIbLb1EES1P_EEDaS1K_S1L_EUlS1K_E_NS1_11comp_targetILNS1_3genE5ELNS1_11target_archE942ELNS1_3gpuE9ELNS1_3repE0EEENS1_30default_config_static_selectorELNS0_4arch9wavefront6targetE0EEEvSY_
    .private_segment_fixed_size: 0
    .sgpr_count:     0
    .sgpr_spill_count: 0
    .symbol:         _ZN7rocprim17ROCPRIM_400000_NS6detail17trampoline_kernelINS0_13select_configILj256ELj13ELNS0_17block_load_methodE3ELS4_3ELS4_3ELNS0_20block_scan_algorithmE0ELj4294967295EEENS1_25partition_config_selectorILNS1_17partition_subalgoE3EjNS0_10empty_typeEbEEZZNS1_14partition_implILS8_3ELb0ES6_jNS0_17counting_iteratorIjlEEPS9_SE_NS0_5tupleIJPjSE_EEENSF_IJSE_SE_EEES9_SG_JZNS1_25segmented_radix_sort_implINS0_14default_configELb0EPKsPsPKlPlN2at6native12_GLOBAL__N_18offset_tEEE10hipError_tPvRmT1_PNSt15iterator_traitsISY_E10value_typeET2_T3_PNSZ_IS14_E10value_typeET4_jRbjT5_S1A_jjP12ihipStream_tbEUljE_EEESV_SW_SX_S14_S18_S1A_T6_T7_T9_mT8_S1C_bDpT10_ENKUlT_T0_E_clISt17integral_constantIbLb1EES1P_EEDaS1K_S1L_EUlS1K_E_NS1_11comp_targetILNS1_3genE5ELNS1_11target_archE942ELNS1_3gpuE9ELNS1_3repE0EEENS1_30default_config_static_selectorELNS0_4arch9wavefront6targetE0EEEvSY_.kd
    .uniform_work_group_size: 1
    .uses_dynamic_stack: false
    .vgpr_count:     0
    .vgpr_spill_count: 0
    .wavefront_size: 32
    .workgroup_processor_mode: 1
  - .args:
      - .offset:         0
        .size:           152
        .value_kind:     by_value
    .group_segment_fixed_size: 0
    .kernarg_segment_align: 8
    .kernarg_segment_size: 152
    .language:       OpenCL C
    .language_version:
      - 2
      - 0
    .max_flat_workgroup_size: 256
    .name:           _ZN7rocprim17ROCPRIM_400000_NS6detail17trampoline_kernelINS0_13select_configILj256ELj13ELNS0_17block_load_methodE3ELS4_3ELS4_3ELNS0_20block_scan_algorithmE0ELj4294967295EEENS1_25partition_config_selectorILNS1_17partition_subalgoE3EjNS0_10empty_typeEbEEZZNS1_14partition_implILS8_3ELb0ES6_jNS0_17counting_iteratorIjlEEPS9_SE_NS0_5tupleIJPjSE_EEENSF_IJSE_SE_EEES9_SG_JZNS1_25segmented_radix_sort_implINS0_14default_configELb0EPKsPsPKlPlN2at6native12_GLOBAL__N_18offset_tEEE10hipError_tPvRmT1_PNSt15iterator_traitsISY_E10value_typeET2_T3_PNSZ_IS14_E10value_typeET4_jRbjT5_S1A_jjP12ihipStream_tbEUljE_EEESV_SW_SX_S14_S18_S1A_T6_T7_T9_mT8_S1C_bDpT10_ENKUlT_T0_E_clISt17integral_constantIbLb1EES1P_EEDaS1K_S1L_EUlS1K_E_NS1_11comp_targetILNS1_3genE4ELNS1_11target_archE910ELNS1_3gpuE8ELNS1_3repE0EEENS1_30default_config_static_selectorELNS0_4arch9wavefront6targetE0EEEvSY_
    .private_segment_fixed_size: 0
    .sgpr_count:     0
    .sgpr_spill_count: 0
    .symbol:         _ZN7rocprim17ROCPRIM_400000_NS6detail17trampoline_kernelINS0_13select_configILj256ELj13ELNS0_17block_load_methodE3ELS4_3ELS4_3ELNS0_20block_scan_algorithmE0ELj4294967295EEENS1_25partition_config_selectorILNS1_17partition_subalgoE3EjNS0_10empty_typeEbEEZZNS1_14partition_implILS8_3ELb0ES6_jNS0_17counting_iteratorIjlEEPS9_SE_NS0_5tupleIJPjSE_EEENSF_IJSE_SE_EEES9_SG_JZNS1_25segmented_radix_sort_implINS0_14default_configELb0EPKsPsPKlPlN2at6native12_GLOBAL__N_18offset_tEEE10hipError_tPvRmT1_PNSt15iterator_traitsISY_E10value_typeET2_T3_PNSZ_IS14_E10value_typeET4_jRbjT5_S1A_jjP12ihipStream_tbEUljE_EEESV_SW_SX_S14_S18_S1A_T6_T7_T9_mT8_S1C_bDpT10_ENKUlT_T0_E_clISt17integral_constantIbLb1EES1P_EEDaS1K_S1L_EUlS1K_E_NS1_11comp_targetILNS1_3genE4ELNS1_11target_archE910ELNS1_3gpuE8ELNS1_3repE0EEENS1_30default_config_static_selectorELNS0_4arch9wavefront6targetE0EEEvSY_.kd
    .uniform_work_group_size: 1
    .uses_dynamic_stack: false
    .vgpr_count:     0
    .vgpr_spill_count: 0
    .wavefront_size: 32
    .workgroup_processor_mode: 1
  - .args:
      - .offset:         0
        .size:           152
        .value_kind:     by_value
    .group_segment_fixed_size: 0
    .kernarg_segment_align: 8
    .kernarg_segment_size: 152
    .language:       OpenCL C
    .language_version:
      - 2
      - 0
    .max_flat_workgroup_size: 256
    .name:           _ZN7rocprim17ROCPRIM_400000_NS6detail17trampoline_kernelINS0_13select_configILj256ELj13ELNS0_17block_load_methodE3ELS4_3ELS4_3ELNS0_20block_scan_algorithmE0ELj4294967295EEENS1_25partition_config_selectorILNS1_17partition_subalgoE3EjNS0_10empty_typeEbEEZZNS1_14partition_implILS8_3ELb0ES6_jNS0_17counting_iteratorIjlEEPS9_SE_NS0_5tupleIJPjSE_EEENSF_IJSE_SE_EEES9_SG_JZNS1_25segmented_radix_sort_implINS0_14default_configELb0EPKsPsPKlPlN2at6native12_GLOBAL__N_18offset_tEEE10hipError_tPvRmT1_PNSt15iterator_traitsISY_E10value_typeET2_T3_PNSZ_IS14_E10value_typeET4_jRbjT5_S1A_jjP12ihipStream_tbEUljE_EEESV_SW_SX_S14_S18_S1A_T6_T7_T9_mT8_S1C_bDpT10_ENKUlT_T0_E_clISt17integral_constantIbLb1EES1P_EEDaS1K_S1L_EUlS1K_E_NS1_11comp_targetILNS1_3genE3ELNS1_11target_archE908ELNS1_3gpuE7ELNS1_3repE0EEENS1_30default_config_static_selectorELNS0_4arch9wavefront6targetE0EEEvSY_
    .private_segment_fixed_size: 0
    .sgpr_count:     0
    .sgpr_spill_count: 0
    .symbol:         _ZN7rocprim17ROCPRIM_400000_NS6detail17trampoline_kernelINS0_13select_configILj256ELj13ELNS0_17block_load_methodE3ELS4_3ELS4_3ELNS0_20block_scan_algorithmE0ELj4294967295EEENS1_25partition_config_selectorILNS1_17partition_subalgoE3EjNS0_10empty_typeEbEEZZNS1_14partition_implILS8_3ELb0ES6_jNS0_17counting_iteratorIjlEEPS9_SE_NS0_5tupleIJPjSE_EEENSF_IJSE_SE_EEES9_SG_JZNS1_25segmented_radix_sort_implINS0_14default_configELb0EPKsPsPKlPlN2at6native12_GLOBAL__N_18offset_tEEE10hipError_tPvRmT1_PNSt15iterator_traitsISY_E10value_typeET2_T3_PNSZ_IS14_E10value_typeET4_jRbjT5_S1A_jjP12ihipStream_tbEUljE_EEESV_SW_SX_S14_S18_S1A_T6_T7_T9_mT8_S1C_bDpT10_ENKUlT_T0_E_clISt17integral_constantIbLb1EES1P_EEDaS1K_S1L_EUlS1K_E_NS1_11comp_targetILNS1_3genE3ELNS1_11target_archE908ELNS1_3gpuE7ELNS1_3repE0EEENS1_30default_config_static_selectorELNS0_4arch9wavefront6targetE0EEEvSY_.kd
    .uniform_work_group_size: 1
    .uses_dynamic_stack: false
    .vgpr_count:     0
    .vgpr_spill_count: 0
    .wavefront_size: 32
    .workgroup_processor_mode: 1
  - .args:
      - .offset:         0
        .size:           152
        .value_kind:     by_value
    .group_segment_fixed_size: 0
    .kernarg_segment_align: 8
    .kernarg_segment_size: 152
    .language:       OpenCL C
    .language_version:
      - 2
      - 0
    .max_flat_workgroup_size: 256
    .name:           _ZN7rocprim17ROCPRIM_400000_NS6detail17trampoline_kernelINS0_13select_configILj256ELj13ELNS0_17block_load_methodE3ELS4_3ELS4_3ELNS0_20block_scan_algorithmE0ELj4294967295EEENS1_25partition_config_selectorILNS1_17partition_subalgoE3EjNS0_10empty_typeEbEEZZNS1_14partition_implILS8_3ELb0ES6_jNS0_17counting_iteratorIjlEEPS9_SE_NS0_5tupleIJPjSE_EEENSF_IJSE_SE_EEES9_SG_JZNS1_25segmented_radix_sort_implINS0_14default_configELb0EPKsPsPKlPlN2at6native12_GLOBAL__N_18offset_tEEE10hipError_tPvRmT1_PNSt15iterator_traitsISY_E10value_typeET2_T3_PNSZ_IS14_E10value_typeET4_jRbjT5_S1A_jjP12ihipStream_tbEUljE_EEESV_SW_SX_S14_S18_S1A_T6_T7_T9_mT8_S1C_bDpT10_ENKUlT_T0_E_clISt17integral_constantIbLb1EES1P_EEDaS1K_S1L_EUlS1K_E_NS1_11comp_targetILNS1_3genE2ELNS1_11target_archE906ELNS1_3gpuE6ELNS1_3repE0EEENS1_30default_config_static_selectorELNS0_4arch9wavefront6targetE0EEEvSY_
    .private_segment_fixed_size: 0
    .sgpr_count:     0
    .sgpr_spill_count: 0
    .symbol:         _ZN7rocprim17ROCPRIM_400000_NS6detail17trampoline_kernelINS0_13select_configILj256ELj13ELNS0_17block_load_methodE3ELS4_3ELS4_3ELNS0_20block_scan_algorithmE0ELj4294967295EEENS1_25partition_config_selectorILNS1_17partition_subalgoE3EjNS0_10empty_typeEbEEZZNS1_14partition_implILS8_3ELb0ES6_jNS0_17counting_iteratorIjlEEPS9_SE_NS0_5tupleIJPjSE_EEENSF_IJSE_SE_EEES9_SG_JZNS1_25segmented_radix_sort_implINS0_14default_configELb0EPKsPsPKlPlN2at6native12_GLOBAL__N_18offset_tEEE10hipError_tPvRmT1_PNSt15iterator_traitsISY_E10value_typeET2_T3_PNSZ_IS14_E10value_typeET4_jRbjT5_S1A_jjP12ihipStream_tbEUljE_EEESV_SW_SX_S14_S18_S1A_T6_T7_T9_mT8_S1C_bDpT10_ENKUlT_T0_E_clISt17integral_constantIbLb1EES1P_EEDaS1K_S1L_EUlS1K_E_NS1_11comp_targetILNS1_3genE2ELNS1_11target_archE906ELNS1_3gpuE6ELNS1_3repE0EEENS1_30default_config_static_selectorELNS0_4arch9wavefront6targetE0EEEvSY_.kd
    .uniform_work_group_size: 1
    .uses_dynamic_stack: false
    .vgpr_count:     0
    .vgpr_spill_count: 0
    .wavefront_size: 32
    .workgroup_processor_mode: 1
  - .args:
      - .offset:         0
        .size:           152
        .value_kind:     by_value
    .group_segment_fixed_size: 0
    .kernarg_segment_align: 8
    .kernarg_segment_size: 152
    .language:       OpenCL C
    .language_version:
      - 2
      - 0
    .max_flat_workgroup_size: 256
    .name:           _ZN7rocprim17ROCPRIM_400000_NS6detail17trampoline_kernelINS0_13select_configILj256ELj13ELNS0_17block_load_methodE3ELS4_3ELS4_3ELNS0_20block_scan_algorithmE0ELj4294967295EEENS1_25partition_config_selectorILNS1_17partition_subalgoE3EjNS0_10empty_typeEbEEZZNS1_14partition_implILS8_3ELb0ES6_jNS0_17counting_iteratorIjlEEPS9_SE_NS0_5tupleIJPjSE_EEENSF_IJSE_SE_EEES9_SG_JZNS1_25segmented_radix_sort_implINS0_14default_configELb0EPKsPsPKlPlN2at6native12_GLOBAL__N_18offset_tEEE10hipError_tPvRmT1_PNSt15iterator_traitsISY_E10value_typeET2_T3_PNSZ_IS14_E10value_typeET4_jRbjT5_S1A_jjP12ihipStream_tbEUljE_EEESV_SW_SX_S14_S18_S1A_T6_T7_T9_mT8_S1C_bDpT10_ENKUlT_T0_E_clISt17integral_constantIbLb1EES1P_EEDaS1K_S1L_EUlS1K_E_NS1_11comp_targetILNS1_3genE10ELNS1_11target_archE1200ELNS1_3gpuE4ELNS1_3repE0EEENS1_30default_config_static_selectorELNS0_4arch9wavefront6targetE0EEEvSY_
    .private_segment_fixed_size: 0
    .sgpr_count:     0
    .sgpr_spill_count: 0
    .symbol:         _ZN7rocprim17ROCPRIM_400000_NS6detail17trampoline_kernelINS0_13select_configILj256ELj13ELNS0_17block_load_methodE3ELS4_3ELS4_3ELNS0_20block_scan_algorithmE0ELj4294967295EEENS1_25partition_config_selectorILNS1_17partition_subalgoE3EjNS0_10empty_typeEbEEZZNS1_14partition_implILS8_3ELb0ES6_jNS0_17counting_iteratorIjlEEPS9_SE_NS0_5tupleIJPjSE_EEENSF_IJSE_SE_EEES9_SG_JZNS1_25segmented_radix_sort_implINS0_14default_configELb0EPKsPsPKlPlN2at6native12_GLOBAL__N_18offset_tEEE10hipError_tPvRmT1_PNSt15iterator_traitsISY_E10value_typeET2_T3_PNSZ_IS14_E10value_typeET4_jRbjT5_S1A_jjP12ihipStream_tbEUljE_EEESV_SW_SX_S14_S18_S1A_T6_T7_T9_mT8_S1C_bDpT10_ENKUlT_T0_E_clISt17integral_constantIbLb1EES1P_EEDaS1K_S1L_EUlS1K_E_NS1_11comp_targetILNS1_3genE10ELNS1_11target_archE1200ELNS1_3gpuE4ELNS1_3repE0EEENS1_30default_config_static_selectorELNS0_4arch9wavefront6targetE0EEEvSY_.kd
    .uniform_work_group_size: 1
    .uses_dynamic_stack: false
    .vgpr_count:     0
    .vgpr_spill_count: 0
    .wavefront_size: 32
    .workgroup_processor_mode: 1
  - .args:
      - .offset:         0
        .size:           152
        .value_kind:     by_value
    .group_segment_fixed_size: 13324
    .kernarg_segment_align: 8
    .kernarg_segment_size: 152
    .language:       OpenCL C
    .language_version:
      - 2
      - 0
    .max_flat_workgroup_size: 256
    .name:           _ZN7rocprim17ROCPRIM_400000_NS6detail17trampoline_kernelINS0_13select_configILj256ELj13ELNS0_17block_load_methodE3ELS4_3ELS4_3ELNS0_20block_scan_algorithmE0ELj4294967295EEENS1_25partition_config_selectorILNS1_17partition_subalgoE3EjNS0_10empty_typeEbEEZZNS1_14partition_implILS8_3ELb0ES6_jNS0_17counting_iteratorIjlEEPS9_SE_NS0_5tupleIJPjSE_EEENSF_IJSE_SE_EEES9_SG_JZNS1_25segmented_radix_sort_implINS0_14default_configELb0EPKsPsPKlPlN2at6native12_GLOBAL__N_18offset_tEEE10hipError_tPvRmT1_PNSt15iterator_traitsISY_E10value_typeET2_T3_PNSZ_IS14_E10value_typeET4_jRbjT5_S1A_jjP12ihipStream_tbEUljE_EEESV_SW_SX_S14_S18_S1A_T6_T7_T9_mT8_S1C_bDpT10_ENKUlT_T0_E_clISt17integral_constantIbLb1EES1P_EEDaS1K_S1L_EUlS1K_E_NS1_11comp_targetILNS1_3genE9ELNS1_11target_archE1100ELNS1_3gpuE3ELNS1_3repE0EEENS1_30default_config_static_selectorELNS0_4arch9wavefront6targetE0EEEvSY_
    .private_segment_fixed_size: 0
    .sgpr_count:     28
    .sgpr_spill_count: 0
    .symbol:         _ZN7rocprim17ROCPRIM_400000_NS6detail17trampoline_kernelINS0_13select_configILj256ELj13ELNS0_17block_load_methodE3ELS4_3ELS4_3ELNS0_20block_scan_algorithmE0ELj4294967295EEENS1_25partition_config_selectorILNS1_17partition_subalgoE3EjNS0_10empty_typeEbEEZZNS1_14partition_implILS8_3ELb0ES6_jNS0_17counting_iteratorIjlEEPS9_SE_NS0_5tupleIJPjSE_EEENSF_IJSE_SE_EEES9_SG_JZNS1_25segmented_radix_sort_implINS0_14default_configELb0EPKsPsPKlPlN2at6native12_GLOBAL__N_18offset_tEEE10hipError_tPvRmT1_PNSt15iterator_traitsISY_E10value_typeET2_T3_PNSZ_IS14_E10value_typeET4_jRbjT5_S1A_jjP12ihipStream_tbEUljE_EEESV_SW_SX_S14_S18_S1A_T6_T7_T9_mT8_S1C_bDpT10_ENKUlT_T0_E_clISt17integral_constantIbLb1EES1P_EEDaS1K_S1L_EUlS1K_E_NS1_11comp_targetILNS1_3genE9ELNS1_11target_archE1100ELNS1_3gpuE3ELNS1_3repE0EEENS1_30default_config_static_selectorELNS0_4arch9wavefront6targetE0EEEvSY_.kd
    .uniform_work_group_size: 1
    .uses_dynamic_stack: false
    .vgpr_count:     60
    .vgpr_spill_count: 0
    .wavefront_size: 32
    .workgroup_processor_mode: 1
  - .args:
      - .offset:         0
        .size:           152
        .value_kind:     by_value
    .group_segment_fixed_size: 0
    .kernarg_segment_align: 8
    .kernarg_segment_size: 152
    .language:       OpenCL C
    .language_version:
      - 2
      - 0
    .max_flat_workgroup_size: 256
    .name:           _ZN7rocprim17ROCPRIM_400000_NS6detail17trampoline_kernelINS0_13select_configILj256ELj13ELNS0_17block_load_methodE3ELS4_3ELS4_3ELNS0_20block_scan_algorithmE0ELj4294967295EEENS1_25partition_config_selectorILNS1_17partition_subalgoE3EjNS0_10empty_typeEbEEZZNS1_14partition_implILS8_3ELb0ES6_jNS0_17counting_iteratorIjlEEPS9_SE_NS0_5tupleIJPjSE_EEENSF_IJSE_SE_EEES9_SG_JZNS1_25segmented_radix_sort_implINS0_14default_configELb0EPKsPsPKlPlN2at6native12_GLOBAL__N_18offset_tEEE10hipError_tPvRmT1_PNSt15iterator_traitsISY_E10value_typeET2_T3_PNSZ_IS14_E10value_typeET4_jRbjT5_S1A_jjP12ihipStream_tbEUljE_EEESV_SW_SX_S14_S18_S1A_T6_T7_T9_mT8_S1C_bDpT10_ENKUlT_T0_E_clISt17integral_constantIbLb1EES1P_EEDaS1K_S1L_EUlS1K_E_NS1_11comp_targetILNS1_3genE8ELNS1_11target_archE1030ELNS1_3gpuE2ELNS1_3repE0EEENS1_30default_config_static_selectorELNS0_4arch9wavefront6targetE0EEEvSY_
    .private_segment_fixed_size: 0
    .sgpr_count:     0
    .sgpr_spill_count: 0
    .symbol:         _ZN7rocprim17ROCPRIM_400000_NS6detail17trampoline_kernelINS0_13select_configILj256ELj13ELNS0_17block_load_methodE3ELS4_3ELS4_3ELNS0_20block_scan_algorithmE0ELj4294967295EEENS1_25partition_config_selectorILNS1_17partition_subalgoE3EjNS0_10empty_typeEbEEZZNS1_14partition_implILS8_3ELb0ES6_jNS0_17counting_iteratorIjlEEPS9_SE_NS0_5tupleIJPjSE_EEENSF_IJSE_SE_EEES9_SG_JZNS1_25segmented_radix_sort_implINS0_14default_configELb0EPKsPsPKlPlN2at6native12_GLOBAL__N_18offset_tEEE10hipError_tPvRmT1_PNSt15iterator_traitsISY_E10value_typeET2_T3_PNSZ_IS14_E10value_typeET4_jRbjT5_S1A_jjP12ihipStream_tbEUljE_EEESV_SW_SX_S14_S18_S1A_T6_T7_T9_mT8_S1C_bDpT10_ENKUlT_T0_E_clISt17integral_constantIbLb1EES1P_EEDaS1K_S1L_EUlS1K_E_NS1_11comp_targetILNS1_3genE8ELNS1_11target_archE1030ELNS1_3gpuE2ELNS1_3repE0EEENS1_30default_config_static_selectorELNS0_4arch9wavefront6targetE0EEEvSY_.kd
    .uniform_work_group_size: 1
    .uses_dynamic_stack: false
    .vgpr_count:     0
    .vgpr_spill_count: 0
    .wavefront_size: 32
    .workgroup_processor_mode: 1
  - .args:
      - .offset:         0
        .size:           144
        .value_kind:     by_value
    .group_segment_fixed_size: 0
    .kernarg_segment_align: 8
    .kernarg_segment_size: 144
    .language:       OpenCL C
    .language_version:
      - 2
      - 0
    .max_flat_workgroup_size: 256
    .name:           _ZN7rocprim17ROCPRIM_400000_NS6detail17trampoline_kernelINS0_13select_configILj256ELj13ELNS0_17block_load_methodE3ELS4_3ELS4_3ELNS0_20block_scan_algorithmE0ELj4294967295EEENS1_25partition_config_selectorILNS1_17partition_subalgoE3EjNS0_10empty_typeEbEEZZNS1_14partition_implILS8_3ELb0ES6_jNS0_17counting_iteratorIjlEEPS9_SE_NS0_5tupleIJPjSE_EEENSF_IJSE_SE_EEES9_SG_JZNS1_25segmented_radix_sort_implINS0_14default_configELb0EPKsPsPKlPlN2at6native12_GLOBAL__N_18offset_tEEE10hipError_tPvRmT1_PNSt15iterator_traitsISY_E10value_typeET2_T3_PNSZ_IS14_E10value_typeET4_jRbjT5_S1A_jjP12ihipStream_tbEUljE_EEESV_SW_SX_S14_S18_S1A_T6_T7_T9_mT8_S1C_bDpT10_ENKUlT_T0_E_clISt17integral_constantIbLb1EES1O_IbLb0EEEEDaS1K_S1L_EUlS1K_E_NS1_11comp_targetILNS1_3genE0ELNS1_11target_archE4294967295ELNS1_3gpuE0ELNS1_3repE0EEENS1_30default_config_static_selectorELNS0_4arch9wavefront6targetE0EEEvSY_
    .private_segment_fixed_size: 0
    .sgpr_count:     0
    .sgpr_spill_count: 0
    .symbol:         _ZN7rocprim17ROCPRIM_400000_NS6detail17trampoline_kernelINS0_13select_configILj256ELj13ELNS0_17block_load_methodE3ELS4_3ELS4_3ELNS0_20block_scan_algorithmE0ELj4294967295EEENS1_25partition_config_selectorILNS1_17partition_subalgoE3EjNS0_10empty_typeEbEEZZNS1_14partition_implILS8_3ELb0ES6_jNS0_17counting_iteratorIjlEEPS9_SE_NS0_5tupleIJPjSE_EEENSF_IJSE_SE_EEES9_SG_JZNS1_25segmented_radix_sort_implINS0_14default_configELb0EPKsPsPKlPlN2at6native12_GLOBAL__N_18offset_tEEE10hipError_tPvRmT1_PNSt15iterator_traitsISY_E10value_typeET2_T3_PNSZ_IS14_E10value_typeET4_jRbjT5_S1A_jjP12ihipStream_tbEUljE_EEESV_SW_SX_S14_S18_S1A_T6_T7_T9_mT8_S1C_bDpT10_ENKUlT_T0_E_clISt17integral_constantIbLb1EES1O_IbLb0EEEEDaS1K_S1L_EUlS1K_E_NS1_11comp_targetILNS1_3genE0ELNS1_11target_archE4294967295ELNS1_3gpuE0ELNS1_3repE0EEENS1_30default_config_static_selectorELNS0_4arch9wavefront6targetE0EEEvSY_.kd
    .uniform_work_group_size: 1
    .uses_dynamic_stack: false
    .vgpr_count:     0
    .vgpr_spill_count: 0
    .wavefront_size: 32
    .workgroup_processor_mode: 1
  - .args:
      - .offset:         0
        .size:           144
        .value_kind:     by_value
    .group_segment_fixed_size: 0
    .kernarg_segment_align: 8
    .kernarg_segment_size: 144
    .language:       OpenCL C
    .language_version:
      - 2
      - 0
    .max_flat_workgroup_size: 256
    .name:           _ZN7rocprim17ROCPRIM_400000_NS6detail17trampoline_kernelINS0_13select_configILj256ELj13ELNS0_17block_load_methodE3ELS4_3ELS4_3ELNS0_20block_scan_algorithmE0ELj4294967295EEENS1_25partition_config_selectorILNS1_17partition_subalgoE3EjNS0_10empty_typeEbEEZZNS1_14partition_implILS8_3ELb0ES6_jNS0_17counting_iteratorIjlEEPS9_SE_NS0_5tupleIJPjSE_EEENSF_IJSE_SE_EEES9_SG_JZNS1_25segmented_radix_sort_implINS0_14default_configELb0EPKsPsPKlPlN2at6native12_GLOBAL__N_18offset_tEEE10hipError_tPvRmT1_PNSt15iterator_traitsISY_E10value_typeET2_T3_PNSZ_IS14_E10value_typeET4_jRbjT5_S1A_jjP12ihipStream_tbEUljE_EEESV_SW_SX_S14_S18_S1A_T6_T7_T9_mT8_S1C_bDpT10_ENKUlT_T0_E_clISt17integral_constantIbLb1EES1O_IbLb0EEEEDaS1K_S1L_EUlS1K_E_NS1_11comp_targetILNS1_3genE5ELNS1_11target_archE942ELNS1_3gpuE9ELNS1_3repE0EEENS1_30default_config_static_selectorELNS0_4arch9wavefront6targetE0EEEvSY_
    .private_segment_fixed_size: 0
    .sgpr_count:     0
    .sgpr_spill_count: 0
    .symbol:         _ZN7rocprim17ROCPRIM_400000_NS6detail17trampoline_kernelINS0_13select_configILj256ELj13ELNS0_17block_load_methodE3ELS4_3ELS4_3ELNS0_20block_scan_algorithmE0ELj4294967295EEENS1_25partition_config_selectorILNS1_17partition_subalgoE3EjNS0_10empty_typeEbEEZZNS1_14partition_implILS8_3ELb0ES6_jNS0_17counting_iteratorIjlEEPS9_SE_NS0_5tupleIJPjSE_EEENSF_IJSE_SE_EEES9_SG_JZNS1_25segmented_radix_sort_implINS0_14default_configELb0EPKsPsPKlPlN2at6native12_GLOBAL__N_18offset_tEEE10hipError_tPvRmT1_PNSt15iterator_traitsISY_E10value_typeET2_T3_PNSZ_IS14_E10value_typeET4_jRbjT5_S1A_jjP12ihipStream_tbEUljE_EEESV_SW_SX_S14_S18_S1A_T6_T7_T9_mT8_S1C_bDpT10_ENKUlT_T0_E_clISt17integral_constantIbLb1EES1O_IbLb0EEEEDaS1K_S1L_EUlS1K_E_NS1_11comp_targetILNS1_3genE5ELNS1_11target_archE942ELNS1_3gpuE9ELNS1_3repE0EEENS1_30default_config_static_selectorELNS0_4arch9wavefront6targetE0EEEvSY_.kd
    .uniform_work_group_size: 1
    .uses_dynamic_stack: false
    .vgpr_count:     0
    .vgpr_spill_count: 0
    .wavefront_size: 32
    .workgroup_processor_mode: 1
  - .args:
      - .offset:         0
        .size:           144
        .value_kind:     by_value
    .group_segment_fixed_size: 0
    .kernarg_segment_align: 8
    .kernarg_segment_size: 144
    .language:       OpenCL C
    .language_version:
      - 2
      - 0
    .max_flat_workgroup_size: 256
    .name:           _ZN7rocprim17ROCPRIM_400000_NS6detail17trampoline_kernelINS0_13select_configILj256ELj13ELNS0_17block_load_methodE3ELS4_3ELS4_3ELNS0_20block_scan_algorithmE0ELj4294967295EEENS1_25partition_config_selectorILNS1_17partition_subalgoE3EjNS0_10empty_typeEbEEZZNS1_14partition_implILS8_3ELb0ES6_jNS0_17counting_iteratorIjlEEPS9_SE_NS0_5tupleIJPjSE_EEENSF_IJSE_SE_EEES9_SG_JZNS1_25segmented_radix_sort_implINS0_14default_configELb0EPKsPsPKlPlN2at6native12_GLOBAL__N_18offset_tEEE10hipError_tPvRmT1_PNSt15iterator_traitsISY_E10value_typeET2_T3_PNSZ_IS14_E10value_typeET4_jRbjT5_S1A_jjP12ihipStream_tbEUljE_EEESV_SW_SX_S14_S18_S1A_T6_T7_T9_mT8_S1C_bDpT10_ENKUlT_T0_E_clISt17integral_constantIbLb1EES1O_IbLb0EEEEDaS1K_S1L_EUlS1K_E_NS1_11comp_targetILNS1_3genE4ELNS1_11target_archE910ELNS1_3gpuE8ELNS1_3repE0EEENS1_30default_config_static_selectorELNS0_4arch9wavefront6targetE0EEEvSY_
    .private_segment_fixed_size: 0
    .sgpr_count:     0
    .sgpr_spill_count: 0
    .symbol:         _ZN7rocprim17ROCPRIM_400000_NS6detail17trampoline_kernelINS0_13select_configILj256ELj13ELNS0_17block_load_methodE3ELS4_3ELS4_3ELNS0_20block_scan_algorithmE0ELj4294967295EEENS1_25partition_config_selectorILNS1_17partition_subalgoE3EjNS0_10empty_typeEbEEZZNS1_14partition_implILS8_3ELb0ES6_jNS0_17counting_iteratorIjlEEPS9_SE_NS0_5tupleIJPjSE_EEENSF_IJSE_SE_EEES9_SG_JZNS1_25segmented_radix_sort_implINS0_14default_configELb0EPKsPsPKlPlN2at6native12_GLOBAL__N_18offset_tEEE10hipError_tPvRmT1_PNSt15iterator_traitsISY_E10value_typeET2_T3_PNSZ_IS14_E10value_typeET4_jRbjT5_S1A_jjP12ihipStream_tbEUljE_EEESV_SW_SX_S14_S18_S1A_T6_T7_T9_mT8_S1C_bDpT10_ENKUlT_T0_E_clISt17integral_constantIbLb1EES1O_IbLb0EEEEDaS1K_S1L_EUlS1K_E_NS1_11comp_targetILNS1_3genE4ELNS1_11target_archE910ELNS1_3gpuE8ELNS1_3repE0EEENS1_30default_config_static_selectorELNS0_4arch9wavefront6targetE0EEEvSY_.kd
    .uniform_work_group_size: 1
    .uses_dynamic_stack: false
    .vgpr_count:     0
    .vgpr_spill_count: 0
    .wavefront_size: 32
    .workgroup_processor_mode: 1
  - .args:
      - .offset:         0
        .size:           144
        .value_kind:     by_value
    .group_segment_fixed_size: 0
    .kernarg_segment_align: 8
    .kernarg_segment_size: 144
    .language:       OpenCL C
    .language_version:
      - 2
      - 0
    .max_flat_workgroup_size: 256
    .name:           _ZN7rocprim17ROCPRIM_400000_NS6detail17trampoline_kernelINS0_13select_configILj256ELj13ELNS0_17block_load_methodE3ELS4_3ELS4_3ELNS0_20block_scan_algorithmE0ELj4294967295EEENS1_25partition_config_selectorILNS1_17partition_subalgoE3EjNS0_10empty_typeEbEEZZNS1_14partition_implILS8_3ELb0ES6_jNS0_17counting_iteratorIjlEEPS9_SE_NS0_5tupleIJPjSE_EEENSF_IJSE_SE_EEES9_SG_JZNS1_25segmented_radix_sort_implINS0_14default_configELb0EPKsPsPKlPlN2at6native12_GLOBAL__N_18offset_tEEE10hipError_tPvRmT1_PNSt15iterator_traitsISY_E10value_typeET2_T3_PNSZ_IS14_E10value_typeET4_jRbjT5_S1A_jjP12ihipStream_tbEUljE_EEESV_SW_SX_S14_S18_S1A_T6_T7_T9_mT8_S1C_bDpT10_ENKUlT_T0_E_clISt17integral_constantIbLb1EES1O_IbLb0EEEEDaS1K_S1L_EUlS1K_E_NS1_11comp_targetILNS1_3genE3ELNS1_11target_archE908ELNS1_3gpuE7ELNS1_3repE0EEENS1_30default_config_static_selectorELNS0_4arch9wavefront6targetE0EEEvSY_
    .private_segment_fixed_size: 0
    .sgpr_count:     0
    .sgpr_spill_count: 0
    .symbol:         _ZN7rocprim17ROCPRIM_400000_NS6detail17trampoline_kernelINS0_13select_configILj256ELj13ELNS0_17block_load_methodE3ELS4_3ELS4_3ELNS0_20block_scan_algorithmE0ELj4294967295EEENS1_25partition_config_selectorILNS1_17partition_subalgoE3EjNS0_10empty_typeEbEEZZNS1_14partition_implILS8_3ELb0ES6_jNS0_17counting_iteratorIjlEEPS9_SE_NS0_5tupleIJPjSE_EEENSF_IJSE_SE_EEES9_SG_JZNS1_25segmented_radix_sort_implINS0_14default_configELb0EPKsPsPKlPlN2at6native12_GLOBAL__N_18offset_tEEE10hipError_tPvRmT1_PNSt15iterator_traitsISY_E10value_typeET2_T3_PNSZ_IS14_E10value_typeET4_jRbjT5_S1A_jjP12ihipStream_tbEUljE_EEESV_SW_SX_S14_S18_S1A_T6_T7_T9_mT8_S1C_bDpT10_ENKUlT_T0_E_clISt17integral_constantIbLb1EES1O_IbLb0EEEEDaS1K_S1L_EUlS1K_E_NS1_11comp_targetILNS1_3genE3ELNS1_11target_archE908ELNS1_3gpuE7ELNS1_3repE0EEENS1_30default_config_static_selectorELNS0_4arch9wavefront6targetE0EEEvSY_.kd
    .uniform_work_group_size: 1
    .uses_dynamic_stack: false
    .vgpr_count:     0
    .vgpr_spill_count: 0
    .wavefront_size: 32
    .workgroup_processor_mode: 1
  - .args:
      - .offset:         0
        .size:           144
        .value_kind:     by_value
    .group_segment_fixed_size: 0
    .kernarg_segment_align: 8
    .kernarg_segment_size: 144
    .language:       OpenCL C
    .language_version:
      - 2
      - 0
    .max_flat_workgroup_size: 256
    .name:           _ZN7rocprim17ROCPRIM_400000_NS6detail17trampoline_kernelINS0_13select_configILj256ELj13ELNS0_17block_load_methodE3ELS4_3ELS4_3ELNS0_20block_scan_algorithmE0ELj4294967295EEENS1_25partition_config_selectorILNS1_17partition_subalgoE3EjNS0_10empty_typeEbEEZZNS1_14partition_implILS8_3ELb0ES6_jNS0_17counting_iteratorIjlEEPS9_SE_NS0_5tupleIJPjSE_EEENSF_IJSE_SE_EEES9_SG_JZNS1_25segmented_radix_sort_implINS0_14default_configELb0EPKsPsPKlPlN2at6native12_GLOBAL__N_18offset_tEEE10hipError_tPvRmT1_PNSt15iterator_traitsISY_E10value_typeET2_T3_PNSZ_IS14_E10value_typeET4_jRbjT5_S1A_jjP12ihipStream_tbEUljE_EEESV_SW_SX_S14_S18_S1A_T6_T7_T9_mT8_S1C_bDpT10_ENKUlT_T0_E_clISt17integral_constantIbLb1EES1O_IbLb0EEEEDaS1K_S1L_EUlS1K_E_NS1_11comp_targetILNS1_3genE2ELNS1_11target_archE906ELNS1_3gpuE6ELNS1_3repE0EEENS1_30default_config_static_selectorELNS0_4arch9wavefront6targetE0EEEvSY_
    .private_segment_fixed_size: 0
    .sgpr_count:     0
    .sgpr_spill_count: 0
    .symbol:         _ZN7rocprim17ROCPRIM_400000_NS6detail17trampoline_kernelINS0_13select_configILj256ELj13ELNS0_17block_load_methodE3ELS4_3ELS4_3ELNS0_20block_scan_algorithmE0ELj4294967295EEENS1_25partition_config_selectorILNS1_17partition_subalgoE3EjNS0_10empty_typeEbEEZZNS1_14partition_implILS8_3ELb0ES6_jNS0_17counting_iteratorIjlEEPS9_SE_NS0_5tupleIJPjSE_EEENSF_IJSE_SE_EEES9_SG_JZNS1_25segmented_radix_sort_implINS0_14default_configELb0EPKsPsPKlPlN2at6native12_GLOBAL__N_18offset_tEEE10hipError_tPvRmT1_PNSt15iterator_traitsISY_E10value_typeET2_T3_PNSZ_IS14_E10value_typeET4_jRbjT5_S1A_jjP12ihipStream_tbEUljE_EEESV_SW_SX_S14_S18_S1A_T6_T7_T9_mT8_S1C_bDpT10_ENKUlT_T0_E_clISt17integral_constantIbLb1EES1O_IbLb0EEEEDaS1K_S1L_EUlS1K_E_NS1_11comp_targetILNS1_3genE2ELNS1_11target_archE906ELNS1_3gpuE6ELNS1_3repE0EEENS1_30default_config_static_selectorELNS0_4arch9wavefront6targetE0EEEvSY_.kd
    .uniform_work_group_size: 1
    .uses_dynamic_stack: false
    .vgpr_count:     0
    .vgpr_spill_count: 0
    .wavefront_size: 32
    .workgroup_processor_mode: 1
  - .args:
      - .offset:         0
        .size:           144
        .value_kind:     by_value
    .group_segment_fixed_size: 0
    .kernarg_segment_align: 8
    .kernarg_segment_size: 144
    .language:       OpenCL C
    .language_version:
      - 2
      - 0
    .max_flat_workgroup_size: 256
    .name:           _ZN7rocprim17ROCPRIM_400000_NS6detail17trampoline_kernelINS0_13select_configILj256ELj13ELNS0_17block_load_methodE3ELS4_3ELS4_3ELNS0_20block_scan_algorithmE0ELj4294967295EEENS1_25partition_config_selectorILNS1_17partition_subalgoE3EjNS0_10empty_typeEbEEZZNS1_14partition_implILS8_3ELb0ES6_jNS0_17counting_iteratorIjlEEPS9_SE_NS0_5tupleIJPjSE_EEENSF_IJSE_SE_EEES9_SG_JZNS1_25segmented_radix_sort_implINS0_14default_configELb0EPKsPsPKlPlN2at6native12_GLOBAL__N_18offset_tEEE10hipError_tPvRmT1_PNSt15iterator_traitsISY_E10value_typeET2_T3_PNSZ_IS14_E10value_typeET4_jRbjT5_S1A_jjP12ihipStream_tbEUljE_EEESV_SW_SX_S14_S18_S1A_T6_T7_T9_mT8_S1C_bDpT10_ENKUlT_T0_E_clISt17integral_constantIbLb1EES1O_IbLb0EEEEDaS1K_S1L_EUlS1K_E_NS1_11comp_targetILNS1_3genE10ELNS1_11target_archE1200ELNS1_3gpuE4ELNS1_3repE0EEENS1_30default_config_static_selectorELNS0_4arch9wavefront6targetE0EEEvSY_
    .private_segment_fixed_size: 0
    .sgpr_count:     0
    .sgpr_spill_count: 0
    .symbol:         _ZN7rocprim17ROCPRIM_400000_NS6detail17trampoline_kernelINS0_13select_configILj256ELj13ELNS0_17block_load_methodE3ELS4_3ELS4_3ELNS0_20block_scan_algorithmE0ELj4294967295EEENS1_25partition_config_selectorILNS1_17partition_subalgoE3EjNS0_10empty_typeEbEEZZNS1_14partition_implILS8_3ELb0ES6_jNS0_17counting_iteratorIjlEEPS9_SE_NS0_5tupleIJPjSE_EEENSF_IJSE_SE_EEES9_SG_JZNS1_25segmented_radix_sort_implINS0_14default_configELb0EPKsPsPKlPlN2at6native12_GLOBAL__N_18offset_tEEE10hipError_tPvRmT1_PNSt15iterator_traitsISY_E10value_typeET2_T3_PNSZ_IS14_E10value_typeET4_jRbjT5_S1A_jjP12ihipStream_tbEUljE_EEESV_SW_SX_S14_S18_S1A_T6_T7_T9_mT8_S1C_bDpT10_ENKUlT_T0_E_clISt17integral_constantIbLb1EES1O_IbLb0EEEEDaS1K_S1L_EUlS1K_E_NS1_11comp_targetILNS1_3genE10ELNS1_11target_archE1200ELNS1_3gpuE4ELNS1_3repE0EEENS1_30default_config_static_selectorELNS0_4arch9wavefront6targetE0EEEvSY_.kd
    .uniform_work_group_size: 1
    .uses_dynamic_stack: false
    .vgpr_count:     0
    .vgpr_spill_count: 0
    .wavefront_size: 32
    .workgroup_processor_mode: 1
  - .args:
      - .offset:         0
        .size:           144
        .value_kind:     by_value
    .group_segment_fixed_size: 13324
    .kernarg_segment_align: 8
    .kernarg_segment_size: 144
    .language:       OpenCL C
    .language_version:
      - 2
      - 0
    .max_flat_workgroup_size: 256
    .name:           _ZN7rocprim17ROCPRIM_400000_NS6detail17trampoline_kernelINS0_13select_configILj256ELj13ELNS0_17block_load_methodE3ELS4_3ELS4_3ELNS0_20block_scan_algorithmE0ELj4294967295EEENS1_25partition_config_selectorILNS1_17partition_subalgoE3EjNS0_10empty_typeEbEEZZNS1_14partition_implILS8_3ELb0ES6_jNS0_17counting_iteratorIjlEEPS9_SE_NS0_5tupleIJPjSE_EEENSF_IJSE_SE_EEES9_SG_JZNS1_25segmented_radix_sort_implINS0_14default_configELb0EPKsPsPKlPlN2at6native12_GLOBAL__N_18offset_tEEE10hipError_tPvRmT1_PNSt15iterator_traitsISY_E10value_typeET2_T3_PNSZ_IS14_E10value_typeET4_jRbjT5_S1A_jjP12ihipStream_tbEUljE_EEESV_SW_SX_S14_S18_S1A_T6_T7_T9_mT8_S1C_bDpT10_ENKUlT_T0_E_clISt17integral_constantIbLb1EES1O_IbLb0EEEEDaS1K_S1L_EUlS1K_E_NS1_11comp_targetILNS1_3genE9ELNS1_11target_archE1100ELNS1_3gpuE3ELNS1_3repE0EEENS1_30default_config_static_selectorELNS0_4arch9wavefront6targetE0EEEvSY_
    .private_segment_fixed_size: 0
    .sgpr_count:     30
    .sgpr_spill_count: 0
    .symbol:         _ZN7rocprim17ROCPRIM_400000_NS6detail17trampoline_kernelINS0_13select_configILj256ELj13ELNS0_17block_load_methodE3ELS4_3ELS4_3ELNS0_20block_scan_algorithmE0ELj4294967295EEENS1_25partition_config_selectorILNS1_17partition_subalgoE3EjNS0_10empty_typeEbEEZZNS1_14partition_implILS8_3ELb0ES6_jNS0_17counting_iteratorIjlEEPS9_SE_NS0_5tupleIJPjSE_EEENSF_IJSE_SE_EEES9_SG_JZNS1_25segmented_radix_sort_implINS0_14default_configELb0EPKsPsPKlPlN2at6native12_GLOBAL__N_18offset_tEEE10hipError_tPvRmT1_PNSt15iterator_traitsISY_E10value_typeET2_T3_PNSZ_IS14_E10value_typeET4_jRbjT5_S1A_jjP12ihipStream_tbEUljE_EEESV_SW_SX_S14_S18_S1A_T6_T7_T9_mT8_S1C_bDpT10_ENKUlT_T0_E_clISt17integral_constantIbLb1EES1O_IbLb0EEEEDaS1K_S1L_EUlS1K_E_NS1_11comp_targetILNS1_3genE9ELNS1_11target_archE1100ELNS1_3gpuE3ELNS1_3repE0EEENS1_30default_config_static_selectorELNS0_4arch9wavefront6targetE0EEEvSY_.kd
    .uniform_work_group_size: 1
    .uses_dynamic_stack: false
    .vgpr_count:     57
    .vgpr_spill_count: 0
    .wavefront_size: 32
    .workgroup_processor_mode: 1
  - .args:
      - .offset:         0
        .size:           144
        .value_kind:     by_value
    .group_segment_fixed_size: 0
    .kernarg_segment_align: 8
    .kernarg_segment_size: 144
    .language:       OpenCL C
    .language_version:
      - 2
      - 0
    .max_flat_workgroup_size: 256
    .name:           _ZN7rocprim17ROCPRIM_400000_NS6detail17trampoline_kernelINS0_13select_configILj256ELj13ELNS0_17block_load_methodE3ELS4_3ELS4_3ELNS0_20block_scan_algorithmE0ELj4294967295EEENS1_25partition_config_selectorILNS1_17partition_subalgoE3EjNS0_10empty_typeEbEEZZNS1_14partition_implILS8_3ELb0ES6_jNS0_17counting_iteratorIjlEEPS9_SE_NS0_5tupleIJPjSE_EEENSF_IJSE_SE_EEES9_SG_JZNS1_25segmented_radix_sort_implINS0_14default_configELb0EPKsPsPKlPlN2at6native12_GLOBAL__N_18offset_tEEE10hipError_tPvRmT1_PNSt15iterator_traitsISY_E10value_typeET2_T3_PNSZ_IS14_E10value_typeET4_jRbjT5_S1A_jjP12ihipStream_tbEUljE_EEESV_SW_SX_S14_S18_S1A_T6_T7_T9_mT8_S1C_bDpT10_ENKUlT_T0_E_clISt17integral_constantIbLb1EES1O_IbLb0EEEEDaS1K_S1L_EUlS1K_E_NS1_11comp_targetILNS1_3genE8ELNS1_11target_archE1030ELNS1_3gpuE2ELNS1_3repE0EEENS1_30default_config_static_selectorELNS0_4arch9wavefront6targetE0EEEvSY_
    .private_segment_fixed_size: 0
    .sgpr_count:     0
    .sgpr_spill_count: 0
    .symbol:         _ZN7rocprim17ROCPRIM_400000_NS6detail17trampoline_kernelINS0_13select_configILj256ELj13ELNS0_17block_load_methodE3ELS4_3ELS4_3ELNS0_20block_scan_algorithmE0ELj4294967295EEENS1_25partition_config_selectorILNS1_17partition_subalgoE3EjNS0_10empty_typeEbEEZZNS1_14partition_implILS8_3ELb0ES6_jNS0_17counting_iteratorIjlEEPS9_SE_NS0_5tupleIJPjSE_EEENSF_IJSE_SE_EEES9_SG_JZNS1_25segmented_radix_sort_implINS0_14default_configELb0EPKsPsPKlPlN2at6native12_GLOBAL__N_18offset_tEEE10hipError_tPvRmT1_PNSt15iterator_traitsISY_E10value_typeET2_T3_PNSZ_IS14_E10value_typeET4_jRbjT5_S1A_jjP12ihipStream_tbEUljE_EEESV_SW_SX_S14_S18_S1A_T6_T7_T9_mT8_S1C_bDpT10_ENKUlT_T0_E_clISt17integral_constantIbLb1EES1O_IbLb0EEEEDaS1K_S1L_EUlS1K_E_NS1_11comp_targetILNS1_3genE8ELNS1_11target_archE1030ELNS1_3gpuE2ELNS1_3repE0EEENS1_30default_config_static_selectorELNS0_4arch9wavefront6targetE0EEEvSY_.kd
    .uniform_work_group_size: 1
    .uses_dynamic_stack: false
    .vgpr_count:     0
    .vgpr_spill_count: 0
    .wavefront_size: 32
    .workgroup_processor_mode: 1
  - .args:
      - .offset:         0
        .size:           152
        .value_kind:     by_value
    .group_segment_fixed_size: 0
    .kernarg_segment_align: 8
    .kernarg_segment_size: 152
    .language:       OpenCL C
    .language_version:
      - 2
      - 0
    .max_flat_workgroup_size: 256
    .name:           _ZN7rocprim17ROCPRIM_400000_NS6detail17trampoline_kernelINS0_13select_configILj256ELj13ELNS0_17block_load_methodE3ELS4_3ELS4_3ELNS0_20block_scan_algorithmE0ELj4294967295EEENS1_25partition_config_selectorILNS1_17partition_subalgoE3EjNS0_10empty_typeEbEEZZNS1_14partition_implILS8_3ELb0ES6_jNS0_17counting_iteratorIjlEEPS9_SE_NS0_5tupleIJPjSE_EEENSF_IJSE_SE_EEES9_SG_JZNS1_25segmented_radix_sort_implINS0_14default_configELb0EPKsPsPKlPlN2at6native12_GLOBAL__N_18offset_tEEE10hipError_tPvRmT1_PNSt15iterator_traitsISY_E10value_typeET2_T3_PNSZ_IS14_E10value_typeET4_jRbjT5_S1A_jjP12ihipStream_tbEUljE_EEESV_SW_SX_S14_S18_S1A_T6_T7_T9_mT8_S1C_bDpT10_ENKUlT_T0_E_clISt17integral_constantIbLb0EES1O_IbLb1EEEEDaS1K_S1L_EUlS1K_E_NS1_11comp_targetILNS1_3genE0ELNS1_11target_archE4294967295ELNS1_3gpuE0ELNS1_3repE0EEENS1_30default_config_static_selectorELNS0_4arch9wavefront6targetE0EEEvSY_
    .private_segment_fixed_size: 0
    .sgpr_count:     0
    .sgpr_spill_count: 0
    .symbol:         _ZN7rocprim17ROCPRIM_400000_NS6detail17trampoline_kernelINS0_13select_configILj256ELj13ELNS0_17block_load_methodE3ELS4_3ELS4_3ELNS0_20block_scan_algorithmE0ELj4294967295EEENS1_25partition_config_selectorILNS1_17partition_subalgoE3EjNS0_10empty_typeEbEEZZNS1_14partition_implILS8_3ELb0ES6_jNS0_17counting_iteratorIjlEEPS9_SE_NS0_5tupleIJPjSE_EEENSF_IJSE_SE_EEES9_SG_JZNS1_25segmented_radix_sort_implINS0_14default_configELb0EPKsPsPKlPlN2at6native12_GLOBAL__N_18offset_tEEE10hipError_tPvRmT1_PNSt15iterator_traitsISY_E10value_typeET2_T3_PNSZ_IS14_E10value_typeET4_jRbjT5_S1A_jjP12ihipStream_tbEUljE_EEESV_SW_SX_S14_S18_S1A_T6_T7_T9_mT8_S1C_bDpT10_ENKUlT_T0_E_clISt17integral_constantIbLb0EES1O_IbLb1EEEEDaS1K_S1L_EUlS1K_E_NS1_11comp_targetILNS1_3genE0ELNS1_11target_archE4294967295ELNS1_3gpuE0ELNS1_3repE0EEENS1_30default_config_static_selectorELNS0_4arch9wavefront6targetE0EEEvSY_.kd
    .uniform_work_group_size: 1
    .uses_dynamic_stack: false
    .vgpr_count:     0
    .vgpr_spill_count: 0
    .wavefront_size: 32
    .workgroup_processor_mode: 1
  - .args:
      - .offset:         0
        .size:           152
        .value_kind:     by_value
    .group_segment_fixed_size: 0
    .kernarg_segment_align: 8
    .kernarg_segment_size: 152
    .language:       OpenCL C
    .language_version:
      - 2
      - 0
    .max_flat_workgroup_size: 256
    .name:           _ZN7rocprim17ROCPRIM_400000_NS6detail17trampoline_kernelINS0_13select_configILj256ELj13ELNS0_17block_load_methodE3ELS4_3ELS4_3ELNS0_20block_scan_algorithmE0ELj4294967295EEENS1_25partition_config_selectorILNS1_17partition_subalgoE3EjNS0_10empty_typeEbEEZZNS1_14partition_implILS8_3ELb0ES6_jNS0_17counting_iteratorIjlEEPS9_SE_NS0_5tupleIJPjSE_EEENSF_IJSE_SE_EEES9_SG_JZNS1_25segmented_radix_sort_implINS0_14default_configELb0EPKsPsPKlPlN2at6native12_GLOBAL__N_18offset_tEEE10hipError_tPvRmT1_PNSt15iterator_traitsISY_E10value_typeET2_T3_PNSZ_IS14_E10value_typeET4_jRbjT5_S1A_jjP12ihipStream_tbEUljE_EEESV_SW_SX_S14_S18_S1A_T6_T7_T9_mT8_S1C_bDpT10_ENKUlT_T0_E_clISt17integral_constantIbLb0EES1O_IbLb1EEEEDaS1K_S1L_EUlS1K_E_NS1_11comp_targetILNS1_3genE5ELNS1_11target_archE942ELNS1_3gpuE9ELNS1_3repE0EEENS1_30default_config_static_selectorELNS0_4arch9wavefront6targetE0EEEvSY_
    .private_segment_fixed_size: 0
    .sgpr_count:     0
    .sgpr_spill_count: 0
    .symbol:         _ZN7rocprim17ROCPRIM_400000_NS6detail17trampoline_kernelINS0_13select_configILj256ELj13ELNS0_17block_load_methodE3ELS4_3ELS4_3ELNS0_20block_scan_algorithmE0ELj4294967295EEENS1_25partition_config_selectorILNS1_17partition_subalgoE3EjNS0_10empty_typeEbEEZZNS1_14partition_implILS8_3ELb0ES6_jNS0_17counting_iteratorIjlEEPS9_SE_NS0_5tupleIJPjSE_EEENSF_IJSE_SE_EEES9_SG_JZNS1_25segmented_radix_sort_implINS0_14default_configELb0EPKsPsPKlPlN2at6native12_GLOBAL__N_18offset_tEEE10hipError_tPvRmT1_PNSt15iterator_traitsISY_E10value_typeET2_T3_PNSZ_IS14_E10value_typeET4_jRbjT5_S1A_jjP12ihipStream_tbEUljE_EEESV_SW_SX_S14_S18_S1A_T6_T7_T9_mT8_S1C_bDpT10_ENKUlT_T0_E_clISt17integral_constantIbLb0EES1O_IbLb1EEEEDaS1K_S1L_EUlS1K_E_NS1_11comp_targetILNS1_3genE5ELNS1_11target_archE942ELNS1_3gpuE9ELNS1_3repE0EEENS1_30default_config_static_selectorELNS0_4arch9wavefront6targetE0EEEvSY_.kd
    .uniform_work_group_size: 1
    .uses_dynamic_stack: false
    .vgpr_count:     0
    .vgpr_spill_count: 0
    .wavefront_size: 32
    .workgroup_processor_mode: 1
  - .args:
      - .offset:         0
        .size:           152
        .value_kind:     by_value
    .group_segment_fixed_size: 0
    .kernarg_segment_align: 8
    .kernarg_segment_size: 152
    .language:       OpenCL C
    .language_version:
      - 2
      - 0
    .max_flat_workgroup_size: 256
    .name:           _ZN7rocprim17ROCPRIM_400000_NS6detail17trampoline_kernelINS0_13select_configILj256ELj13ELNS0_17block_load_methodE3ELS4_3ELS4_3ELNS0_20block_scan_algorithmE0ELj4294967295EEENS1_25partition_config_selectorILNS1_17partition_subalgoE3EjNS0_10empty_typeEbEEZZNS1_14partition_implILS8_3ELb0ES6_jNS0_17counting_iteratorIjlEEPS9_SE_NS0_5tupleIJPjSE_EEENSF_IJSE_SE_EEES9_SG_JZNS1_25segmented_radix_sort_implINS0_14default_configELb0EPKsPsPKlPlN2at6native12_GLOBAL__N_18offset_tEEE10hipError_tPvRmT1_PNSt15iterator_traitsISY_E10value_typeET2_T3_PNSZ_IS14_E10value_typeET4_jRbjT5_S1A_jjP12ihipStream_tbEUljE_EEESV_SW_SX_S14_S18_S1A_T6_T7_T9_mT8_S1C_bDpT10_ENKUlT_T0_E_clISt17integral_constantIbLb0EES1O_IbLb1EEEEDaS1K_S1L_EUlS1K_E_NS1_11comp_targetILNS1_3genE4ELNS1_11target_archE910ELNS1_3gpuE8ELNS1_3repE0EEENS1_30default_config_static_selectorELNS0_4arch9wavefront6targetE0EEEvSY_
    .private_segment_fixed_size: 0
    .sgpr_count:     0
    .sgpr_spill_count: 0
    .symbol:         _ZN7rocprim17ROCPRIM_400000_NS6detail17trampoline_kernelINS0_13select_configILj256ELj13ELNS0_17block_load_methodE3ELS4_3ELS4_3ELNS0_20block_scan_algorithmE0ELj4294967295EEENS1_25partition_config_selectorILNS1_17partition_subalgoE3EjNS0_10empty_typeEbEEZZNS1_14partition_implILS8_3ELb0ES6_jNS0_17counting_iteratorIjlEEPS9_SE_NS0_5tupleIJPjSE_EEENSF_IJSE_SE_EEES9_SG_JZNS1_25segmented_radix_sort_implINS0_14default_configELb0EPKsPsPKlPlN2at6native12_GLOBAL__N_18offset_tEEE10hipError_tPvRmT1_PNSt15iterator_traitsISY_E10value_typeET2_T3_PNSZ_IS14_E10value_typeET4_jRbjT5_S1A_jjP12ihipStream_tbEUljE_EEESV_SW_SX_S14_S18_S1A_T6_T7_T9_mT8_S1C_bDpT10_ENKUlT_T0_E_clISt17integral_constantIbLb0EES1O_IbLb1EEEEDaS1K_S1L_EUlS1K_E_NS1_11comp_targetILNS1_3genE4ELNS1_11target_archE910ELNS1_3gpuE8ELNS1_3repE0EEENS1_30default_config_static_selectorELNS0_4arch9wavefront6targetE0EEEvSY_.kd
    .uniform_work_group_size: 1
    .uses_dynamic_stack: false
    .vgpr_count:     0
    .vgpr_spill_count: 0
    .wavefront_size: 32
    .workgroup_processor_mode: 1
  - .args:
      - .offset:         0
        .size:           152
        .value_kind:     by_value
    .group_segment_fixed_size: 0
    .kernarg_segment_align: 8
    .kernarg_segment_size: 152
    .language:       OpenCL C
    .language_version:
      - 2
      - 0
    .max_flat_workgroup_size: 256
    .name:           _ZN7rocprim17ROCPRIM_400000_NS6detail17trampoline_kernelINS0_13select_configILj256ELj13ELNS0_17block_load_methodE3ELS4_3ELS4_3ELNS0_20block_scan_algorithmE0ELj4294967295EEENS1_25partition_config_selectorILNS1_17partition_subalgoE3EjNS0_10empty_typeEbEEZZNS1_14partition_implILS8_3ELb0ES6_jNS0_17counting_iteratorIjlEEPS9_SE_NS0_5tupleIJPjSE_EEENSF_IJSE_SE_EEES9_SG_JZNS1_25segmented_radix_sort_implINS0_14default_configELb0EPKsPsPKlPlN2at6native12_GLOBAL__N_18offset_tEEE10hipError_tPvRmT1_PNSt15iterator_traitsISY_E10value_typeET2_T3_PNSZ_IS14_E10value_typeET4_jRbjT5_S1A_jjP12ihipStream_tbEUljE_EEESV_SW_SX_S14_S18_S1A_T6_T7_T9_mT8_S1C_bDpT10_ENKUlT_T0_E_clISt17integral_constantIbLb0EES1O_IbLb1EEEEDaS1K_S1L_EUlS1K_E_NS1_11comp_targetILNS1_3genE3ELNS1_11target_archE908ELNS1_3gpuE7ELNS1_3repE0EEENS1_30default_config_static_selectorELNS0_4arch9wavefront6targetE0EEEvSY_
    .private_segment_fixed_size: 0
    .sgpr_count:     0
    .sgpr_spill_count: 0
    .symbol:         _ZN7rocprim17ROCPRIM_400000_NS6detail17trampoline_kernelINS0_13select_configILj256ELj13ELNS0_17block_load_methodE3ELS4_3ELS4_3ELNS0_20block_scan_algorithmE0ELj4294967295EEENS1_25partition_config_selectorILNS1_17partition_subalgoE3EjNS0_10empty_typeEbEEZZNS1_14partition_implILS8_3ELb0ES6_jNS0_17counting_iteratorIjlEEPS9_SE_NS0_5tupleIJPjSE_EEENSF_IJSE_SE_EEES9_SG_JZNS1_25segmented_radix_sort_implINS0_14default_configELb0EPKsPsPKlPlN2at6native12_GLOBAL__N_18offset_tEEE10hipError_tPvRmT1_PNSt15iterator_traitsISY_E10value_typeET2_T3_PNSZ_IS14_E10value_typeET4_jRbjT5_S1A_jjP12ihipStream_tbEUljE_EEESV_SW_SX_S14_S18_S1A_T6_T7_T9_mT8_S1C_bDpT10_ENKUlT_T0_E_clISt17integral_constantIbLb0EES1O_IbLb1EEEEDaS1K_S1L_EUlS1K_E_NS1_11comp_targetILNS1_3genE3ELNS1_11target_archE908ELNS1_3gpuE7ELNS1_3repE0EEENS1_30default_config_static_selectorELNS0_4arch9wavefront6targetE0EEEvSY_.kd
    .uniform_work_group_size: 1
    .uses_dynamic_stack: false
    .vgpr_count:     0
    .vgpr_spill_count: 0
    .wavefront_size: 32
    .workgroup_processor_mode: 1
  - .args:
      - .offset:         0
        .size:           152
        .value_kind:     by_value
    .group_segment_fixed_size: 0
    .kernarg_segment_align: 8
    .kernarg_segment_size: 152
    .language:       OpenCL C
    .language_version:
      - 2
      - 0
    .max_flat_workgroup_size: 256
    .name:           _ZN7rocprim17ROCPRIM_400000_NS6detail17trampoline_kernelINS0_13select_configILj256ELj13ELNS0_17block_load_methodE3ELS4_3ELS4_3ELNS0_20block_scan_algorithmE0ELj4294967295EEENS1_25partition_config_selectorILNS1_17partition_subalgoE3EjNS0_10empty_typeEbEEZZNS1_14partition_implILS8_3ELb0ES6_jNS0_17counting_iteratorIjlEEPS9_SE_NS0_5tupleIJPjSE_EEENSF_IJSE_SE_EEES9_SG_JZNS1_25segmented_radix_sort_implINS0_14default_configELb0EPKsPsPKlPlN2at6native12_GLOBAL__N_18offset_tEEE10hipError_tPvRmT1_PNSt15iterator_traitsISY_E10value_typeET2_T3_PNSZ_IS14_E10value_typeET4_jRbjT5_S1A_jjP12ihipStream_tbEUljE_EEESV_SW_SX_S14_S18_S1A_T6_T7_T9_mT8_S1C_bDpT10_ENKUlT_T0_E_clISt17integral_constantIbLb0EES1O_IbLb1EEEEDaS1K_S1L_EUlS1K_E_NS1_11comp_targetILNS1_3genE2ELNS1_11target_archE906ELNS1_3gpuE6ELNS1_3repE0EEENS1_30default_config_static_selectorELNS0_4arch9wavefront6targetE0EEEvSY_
    .private_segment_fixed_size: 0
    .sgpr_count:     0
    .sgpr_spill_count: 0
    .symbol:         _ZN7rocprim17ROCPRIM_400000_NS6detail17trampoline_kernelINS0_13select_configILj256ELj13ELNS0_17block_load_methodE3ELS4_3ELS4_3ELNS0_20block_scan_algorithmE0ELj4294967295EEENS1_25partition_config_selectorILNS1_17partition_subalgoE3EjNS0_10empty_typeEbEEZZNS1_14partition_implILS8_3ELb0ES6_jNS0_17counting_iteratorIjlEEPS9_SE_NS0_5tupleIJPjSE_EEENSF_IJSE_SE_EEES9_SG_JZNS1_25segmented_radix_sort_implINS0_14default_configELb0EPKsPsPKlPlN2at6native12_GLOBAL__N_18offset_tEEE10hipError_tPvRmT1_PNSt15iterator_traitsISY_E10value_typeET2_T3_PNSZ_IS14_E10value_typeET4_jRbjT5_S1A_jjP12ihipStream_tbEUljE_EEESV_SW_SX_S14_S18_S1A_T6_T7_T9_mT8_S1C_bDpT10_ENKUlT_T0_E_clISt17integral_constantIbLb0EES1O_IbLb1EEEEDaS1K_S1L_EUlS1K_E_NS1_11comp_targetILNS1_3genE2ELNS1_11target_archE906ELNS1_3gpuE6ELNS1_3repE0EEENS1_30default_config_static_selectorELNS0_4arch9wavefront6targetE0EEEvSY_.kd
    .uniform_work_group_size: 1
    .uses_dynamic_stack: false
    .vgpr_count:     0
    .vgpr_spill_count: 0
    .wavefront_size: 32
    .workgroup_processor_mode: 1
  - .args:
      - .offset:         0
        .size:           152
        .value_kind:     by_value
    .group_segment_fixed_size: 0
    .kernarg_segment_align: 8
    .kernarg_segment_size: 152
    .language:       OpenCL C
    .language_version:
      - 2
      - 0
    .max_flat_workgroup_size: 256
    .name:           _ZN7rocprim17ROCPRIM_400000_NS6detail17trampoline_kernelINS0_13select_configILj256ELj13ELNS0_17block_load_methodE3ELS4_3ELS4_3ELNS0_20block_scan_algorithmE0ELj4294967295EEENS1_25partition_config_selectorILNS1_17partition_subalgoE3EjNS0_10empty_typeEbEEZZNS1_14partition_implILS8_3ELb0ES6_jNS0_17counting_iteratorIjlEEPS9_SE_NS0_5tupleIJPjSE_EEENSF_IJSE_SE_EEES9_SG_JZNS1_25segmented_radix_sort_implINS0_14default_configELb0EPKsPsPKlPlN2at6native12_GLOBAL__N_18offset_tEEE10hipError_tPvRmT1_PNSt15iterator_traitsISY_E10value_typeET2_T3_PNSZ_IS14_E10value_typeET4_jRbjT5_S1A_jjP12ihipStream_tbEUljE_EEESV_SW_SX_S14_S18_S1A_T6_T7_T9_mT8_S1C_bDpT10_ENKUlT_T0_E_clISt17integral_constantIbLb0EES1O_IbLb1EEEEDaS1K_S1L_EUlS1K_E_NS1_11comp_targetILNS1_3genE10ELNS1_11target_archE1200ELNS1_3gpuE4ELNS1_3repE0EEENS1_30default_config_static_selectorELNS0_4arch9wavefront6targetE0EEEvSY_
    .private_segment_fixed_size: 0
    .sgpr_count:     0
    .sgpr_spill_count: 0
    .symbol:         _ZN7rocprim17ROCPRIM_400000_NS6detail17trampoline_kernelINS0_13select_configILj256ELj13ELNS0_17block_load_methodE3ELS4_3ELS4_3ELNS0_20block_scan_algorithmE0ELj4294967295EEENS1_25partition_config_selectorILNS1_17partition_subalgoE3EjNS0_10empty_typeEbEEZZNS1_14partition_implILS8_3ELb0ES6_jNS0_17counting_iteratorIjlEEPS9_SE_NS0_5tupleIJPjSE_EEENSF_IJSE_SE_EEES9_SG_JZNS1_25segmented_radix_sort_implINS0_14default_configELb0EPKsPsPKlPlN2at6native12_GLOBAL__N_18offset_tEEE10hipError_tPvRmT1_PNSt15iterator_traitsISY_E10value_typeET2_T3_PNSZ_IS14_E10value_typeET4_jRbjT5_S1A_jjP12ihipStream_tbEUljE_EEESV_SW_SX_S14_S18_S1A_T6_T7_T9_mT8_S1C_bDpT10_ENKUlT_T0_E_clISt17integral_constantIbLb0EES1O_IbLb1EEEEDaS1K_S1L_EUlS1K_E_NS1_11comp_targetILNS1_3genE10ELNS1_11target_archE1200ELNS1_3gpuE4ELNS1_3repE0EEENS1_30default_config_static_selectorELNS0_4arch9wavefront6targetE0EEEvSY_.kd
    .uniform_work_group_size: 1
    .uses_dynamic_stack: false
    .vgpr_count:     0
    .vgpr_spill_count: 0
    .wavefront_size: 32
    .workgroup_processor_mode: 1
  - .args:
      - .offset:         0
        .size:           152
        .value_kind:     by_value
    .group_segment_fixed_size: 13324
    .kernarg_segment_align: 8
    .kernarg_segment_size: 152
    .language:       OpenCL C
    .language_version:
      - 2
      - 0
    .max_flat_workgroup_size: 256
    .name:           _ZN7rocprim17ROCPRIM_400000_NS6detail17trampoline_kernelINS0_13select_configILj256ELj13ELNS0_17block_load_methodE3ELS4_3ELS4_3ELNS0_20block_scan_algorithmE0ELj4294967295EEENS1_25partition_config_selectorILNS1_17partition_subalgoE3EjNS0_10empty_typeEbEEZZNS1_14partition_implILS8_3ELb0ES6_jNS0_17counting_iteratorIjlEEPS9_SE_NS0_5tupleIJPjSE_EEENSF_IJSE_SE_EEES9_SG_JZNS1_25segmented_radix_sort_implINS0_14default_configELb0EPKsPsPKlPlN2at6native12_GLOBAL__N_18offset_tEEE10hipError_tPvRmT1_PNSt15iterator_traitsISY_E10value_typeET2_T3_PNSZ_IS14_E10value_typeET4_jRbjT5_S1A_jjP12ihipStream_tbEUljE_EEESV_SW_SX_S14_S18_S1A_T6_T7_T9_mT8_S1C_bDpT10_ENKUlT_T0_E_clISt17integral_constantIbLb0EES1O_IbLb1EEEEDaS1K_S1L_EUlS1K_E_NS1_11comp_targetILNS1_3genE9ELNS1_11target_archE1100ELNS1_3gpuE3ELNS1_3repE0EEENS1_30default_config_static_selectorELNS0_4arch9wavefront6targetE0EEEvSY_
    .private_segment_fixed_size: 0
    .sgpr_count:     28
    .sgpr_spill_count: 0
    .symbol:         _ZN7rocprim17ROCPRIM_400000_NS6detail17trampoline_kernelINS0_13select_configILj256ELj13ELNS0_17block_load_methodE3ELS4_3ELS4_3ELNS0_20block_scan_algorithmE0ELj4294967295EEENS1_25partition_config_selectorILNS1_17partition_subalgoE3EjNS0_10empty_typeEbEEZZNS1_14partition_implILS8_3ELb0ES6_jNS0_17counting_iteratorIjlEEPS9_SE_NS0_5tupleIJPjSE_EEENSF_IJSE_SE_EEES9_SG_JZNS1_25segmented_radix_sort_implINS0_14default_configELb0EPKsPsPKlPlN2at6native12_GLOBAL__N_18offset_tEEE10hipError_tPvRmT1_PNSt15iterator_traitsISY_E10value_typeET2_T3_PNSZ_IS14_E10value_typeET4_jRbjT5_S1A_jjP12ihipStream_tbEUljE_EEESV_SW_SX_S14_S18_S1A_T6_T7_T9_mT8_S1C_bDpT10_ENKUlT_T0_E_clISt17integral_constantIbLb0EES1O_IbLb1EEEEDaS1K_S1L_EUlS1K_E_NS1_11comp_targetILNS1_3genE9ELNS1_11target_archE1100ELNS1_3gpuE3ELNS1_3repE0EEENS1_30default_config_static_selectorELNS0_4arch9wavefront6targetE0EEEvSY_.kd
    .uniform_work_group_size: 1
    .uses_dynamic_stack: false
    .vgpr_count:     60
    .vgpr_spill_count: 0
    .wavefront_size: 32
    .workgroup_processor_mode: 1
  - .args:
      - .offset:         0
        .size:           152
        .value_kind:     by_value
    .group_segment_fixed_size: 0
    .kernarg_segment_align: 8
    .kernarg_segment_size: 152
    .language:       OpenCL C
    .language_version:
      - 2
      - 0
    .max_flat_workgroup_size: 256
    .name:           _ZN7rocprim17ROCPRIM_400000_NS6detail17trampoline_kernelINS0_13select_configILj256ELj13ELNS0_17block_load_methodE3ELS4_3ELS4_3ELNS0_20block_scan_algorithmE0ELj4294967295EEENS1_25partition_config_selectorILNS1_17partition_subalgoE3EjNS0_10empty_typeEbEEZZNS1_14partition_implILS8_3ELb0ES6_jNS0_17counting_iteratorIjlEEPS9_SE_NS0_5tupleIJPjSE_EEENSF_IJSE_SE_EEES9_SG_JZNS1_25segmented_radix_sort_implINS0_14default_configELb0EPKsPsPKlPlN2at6native12_GLOBAL__N_18offset_tEEE10hipError_tPvRmT1_PNSt15iterator_traitsISY_E10value_typeET2_T3_PNSZ_IS14_E10value_typeET4_jRbjT5_S1A_jjP12ihipStream_tbEUljE_EEESV_SW_SX_S14_S18_S1A_T6_T7_T9_mT8_S1C_bDpT10_ENKUlT_T0_E_clISt17integral_constantIbLb0EES1O_IbLb1EEEEDaS1K_S1L_EUlS1K_E_NS1_11comp_targetILNS1_3genE8ELNS1_11target_archE1030ELNS1_3gpuE2ELNS1_3repE0EEENS1_30default_config_static_selectorELNS0_4arch9wavefront6targetE0EEEvSY_
    .private_segment_fixed_size: 0
    .sgpr_count:     0
    .sgpr_spill_count: 0
    .symbol:         _ZN7rocprim17ROCPRIM_400000_NS6detail17trampoline_kernelINS0_13select_configILj256ELj13ELNS0_17block_load_methodE3ELS4_3ELS4_3ELNS0_20block_scan_algorithmE0ELj4294967295EEENS1_25partition_config_selectorILNS1_17partition_subalgoE3EjNS0_10empty_typeEbEEZZNS1_14partition_implILS8_3ELb0ES6_jNS0_17counting_iteratorIjlEEPS9_SE_NS0_5tupleIJPjSE_EEENSF_IJSE_SE_EEES9_SG_JZNS1_25segmented_radix_sort_implINS0_14default_configELb0EPKsPsPKlPlN2at6native12_GLOBAL__N_18offset_tEEE10hipError_tPvRmT1_PNSt15iterator_traitsISY_E10value_typeET2_T3_PNSZ_IS14_E10value_typeET4_jRbjT5_S1A_jjP12ihipStream_tbEUljE_EEESV_SW_SX_S14_S18_S1A_T6_T7_T9_mT8_S1C_bDpT10_ENKUlT_T0_E_clISt17integral_constantIbLb0EES1O_IbLb1EEEEDaS1K_S1L_EUlS1K_E_NS1_11comp_targetILNS1_3genE8ELNS1_11target_archE1030ELNS1_3gpuE2ELNS1_3repE0EEENS1_30default_config_static_selectorELNS0_4arch9wavefront6targetE0EEEvSY_.kd
    .uniform_work_group_size: 1
    .uses_dynamic_stack: false
    .vgpr_count:     0
    .vgpr_spill_count: 0
    .wavefront_size: 32
    .workgroup_processor_mode: 1
  - .args:
      - .offset:         0
        .size:           96
        .value_kind:     by_value
    .group_segment_fixed_size: 0
    .kernarg_segment_align: 8
    .kernarg_segment_size: 96
    .language:       OpenCL C
    .language_version:
      - 2
      - 0
    .max_flat_workgroup_size: 256
    .name:           _ZN7rocprim17ROCPRIM_400000_NS6detail17trampoline_kernelINS0_14default_configENS1_36segmented_radix_sort_config_selectorIslEEZNS1_25segmented_radix_sort_implIS3_Lb0EPKsPsPKlPlN2at6native12_GLOBAL__N_18offset_tEEE10hipError_tPvRmT1_PNSt15iterator_traitsISK_E10value_typeET2_T3_PNSL_ISQ_E10value_typeET4_jRbjT5_SW_jjP12ihipStream_tbEUlT_E_NS1_11comp_targetILNS1_3genE0ELNS1_11target_archE4294967295ELNS1_3gpuE0ELNS1_3repE0EEENS1_30default_config_static_selectorELNS0_4arch9wavefront6targetE0EEEvSK_
    .private_segment_fixed_size: 0
    .sgpr_count:     0
    .sgpr_spill_count: 0
    .symbol:         _ZN7rocprim17ROCPRIM_400000_NS6detail17trampoline_kernelINS0_14default_configENS1_36segmented_radix_sort_config_selectorIslEEZNS1_25segmented_radix_sort_implIS3_Lb0EPKsPsPKlPlN2at6native12_GLOBAL__N_18offset_tEEE10hipError_tPvRmT1_PNSt15iterator_traitsISK_E10value_typeET2_T3_PNSL_ISQ_E10value_typeET4_jRbjT5_SW_jjP12ihipStream_tbEUlT_E_NS1_11comp_targetILNS1_3genE0ELNS1_11target_archE4294967295ELNS1_3gpuE0ELNS1_3repE0EEENS1_30default_config_static_selectorELNS0_4arch9wavefront6targetE0EEEvSK_.kd
    .uniform_work_group_size: 1
    .uses_dynamic_stack: false
    .vgpr_count:     0
    .vgpr_spill_count: 0
    .wavefront_size: 32
    .workgroup_processor_mode: 1
  - .args:
      - .offset:         0
        .size:           96
        .value_kind:     by_value
    .group_segment_fixed_size: 0
    .kernarg_segment_align: 8
    .kernarg_segment_size: 96
    .language:       OpenCL C
    .language_version:
      - 2
      - 0
    .max_flat_workgroup_size: 256
    .name:           _ZN7rocprim17ROCPRIM_400000_NS6detail17trampoline_kernelINS0_14default_configENS1_36segmented_radix_sort_config_selectorIslEEZNS1_25segmented_radix_sort_implIS3_Lb0EPKsPsPKlPlN2at6native12_GLOBAL__N_18offset_tEEE10hipError_tPvRmT1_PNSt15iterator_traitsISK_E10value_typeET2_T3_PNSL_ISQ_E10value_typeET4_jRbjT5_SW_jjP12ihipStream_tbEUlT_E_NS1_11comp_targetILNS1_3genE5ELNS1_11target_archE942ELNS1_3gpuE9ELNS1_3repE0EEENS1_30default_config_static_selectorELNS0_4arch9wavefront6targetE0EEEvSK_
    .private_segment_fixed_size: 0
    .sgpr_count:     0
    .sgpr_spill_count: 0
    .symbol:         _ZN7rocprim17ROCPRIM_400000_NS6detail17trampoline_kernelINS0_14default_configENS1_36segmented_radix_sort_config_selectorIslEEZNS1_25segmented_radix_sort_implIS3_Lb0EPKsPsPKlPlN2at6native12_GLOBAL__N_18offset_tEEE10hipError_tPvRmT1_PNSt15iterator_traitsISK_E10value_typeET2_T3_PNSL_ISQ_E10value_typeET4_jRbjT5_SW_jjP12ihipStream_tbEUlT_E_NS1_11comp_targetILNS1_3genE5ELNS1_11target_archE942ELNS1_3gpuE9ELNS1_3repE0EEENS1_30default_config_static_selectorELNS0_4arch9wavefront6targetE0EEEvSK_.kd
    .uniform_work_group_size: 1
    .uses_dynamic_stack: false
    .vgpr_count:     0
    .vgpr_spill_count: 0
    .wavefront_size: 32
    .workgroup_processor_mode: 1
  - .args:
      - .offset:         0
        .size:           96
        .value_kind:     by_value
    .group_segment_fixed_size: 0
    .kernarg_segment_align: 8
    .kernarg_segment_size: 96
    .language:       OpenCL C
    .language_version:
      - 2
      - 0
    .max_flat_workgroup_size: 256
    .name:           _ZN7rocprim17ROCPRIM_400000_NS6detail17trampoline_kernelINS0_14default_configENS1_36segmented_radix_sort_config_selectorIslEEZNS1_25segmented_radix_sort_implIS3_Lb0EPKsPsPKlPlN2at6native12_GLOBAL__N_18offset_tEEE10hipError_tPvRmT1_PNSt15iterator_traitsISK_E10value_typeET2_T3_PNSL_ISQ_E10value_typeET4_jRbjT5_SW_jjP12ihipStream_tbEUlT_E_NS1_11comp_targetILNS1_3genE4ELNS1_11target_archE910ELNS1_3gpuE8ELNS1_3repE0EEENS1_30default_config_static_selectorELNS0_4arch9wavefront6targetE0EEEvSK_
    .private_segment_fixed_size: 0
    .sgpr_count:     0
    .sgpr_spill_count: 0
    .symbol:         _ZN7rocprim17ROCPRIM_400000_NS6detail17trampoline_kernelINS0_14default_configENS1_36segmented_radix_sort_config_selectorIslEEZNS1_25segmented_radix_sort_implIS3_Lb0EPKsPsPKlPlN2at6native12_GLOBAL__N_18offset_tEEE10hipError_tPvRmT1_PNSt15iterator_traitsISK_E10value_typeET2_T3_PNSL_ISQ_E10value_typeET4_jRbjT5_SW_jjP12ihipStream_tbEUlT_E_NS1_11comp_targetILNS1_3genE4ELNS1_11target_archE910ELNS1_3gpuE8ELNS1_3repE0EEENS1_30default_config_static_selectorELNS0_4arch9wavefront6targetE0EEEvSK_.kd
    .uniform_work_group_size: 1
    .uses_dynamic_stack: false
    .vgpr_count:     0
    .vgpr_spill_count: 0
    .wavefront_size: 32
    .workgroup_processor_mode: 1
  - .args:
      - .offset:         0
        .size:           96
        .value_kind:     by_value
    .group_segment_fixed_size: 0
    .kernarg_segment_align: 8
    .kernarg_segment_size: 96
    .language:       OpenCL C
    .language_version:
      - 2
      - 0
    .max_flat_workgroup_size: 256
    .name:           _ZN7rocprim17ROCPRIM_400000_NS6detail17trampoline_kernelINS0_14default_configENS1_36segmented_radix_sort_config_selectorIslEEZNS1_25segmented_radix_sort_implIS3_Lb0EPKsPsPKlPlN2at6native12_GLOBAL__N_18offset_tEEE10hipError_tPvRmT1_PNSt15iterator_traitsISK_E10value_typeET2_T3_PNSL_ISQ_E10value_typeET4_jRbjT5_SW_jjP12ihipStream_tbEUlT_E_NS1_11comp_targetILNS1_3genE3ELNS1_11target_archE908ELNS1_3gpuE7ELNS1_3repE0EEENS1_30default_config_static_selectorELNS0_4arch9wavefront6targetE0EEEvSK_
    .private_segment_fixed_size: 0
    .sgpr_count:     0
    .sgpr_spill_count: 0
    .symbol:         _ZN7rocprim17ROCPRIM_400000_NS6detail17trampoline_kernelINS0_14default_configENS1_36segmented_radix_sort_config_selectorIslEEZNS1_25segmented_radix_sort_implIS3_Lb0EPKsPsPKlPlN2at6native12_GLOBAL__N_18offset_tEEE10hipError_tPvRmT1_PNSt15iterator_traitsISK_E10value_typeET2_T3_PNSL_ISQ_E10value_typeET4_jRbjT5_SW_jjP12ihipStream_tbEUlT_E_NS1_11comp_targetILNS1_3genE3ELNS1_11target_archE908ELNS1_3gpuE7ELNS1_3repE0EEENS1_30default_config_static_selectorELNS0_4arch9wavefront6targetE0EEEvSK_.kd
    .uniform_work_group_size: 1
    .uses_dynamic_stack: false
    .vgpr_count:     0
    .vgpr_spill_count: 0
    .wavefront_size: 32
    .workgroup_processor_mode: 1
  - .args:
      - .offset:         0
        .size:           96
        .value_kind:     by_value
    .group_segment_fixed_size: 0
    .kernarg_segment_align: 8
    .kernarg_segment_size: 96
    .language:       OpenCL C
    .language_version:
      - 2
      - 0
    .max_flat_workgroup_size: 256
    .name:           _ZN7rocprim17ROCPRIM_400000_NS6detail17trampoline_kernelINS0_14default_configENS1_36segmented_radix_sort_config_selectorIslEEZNS1_25segmented_radix_sort_implIS3_Lb0EPKsPsPKlPlN2at6native12_GLOBAL__N_18offset_tEEE10hipError_tPvRmT1_PNSt15iterator_traitsISK_E10value_typeET2_T3_PNSL_ISQ_E10value_typeET4_jRbjT5_SW_jjP12ihipStream_tbEUlT_E_NS1_11comp_targetILNS1_3genE2ELNS1_11target_archE906ELNS1_3gpuE6ELNS1_3repE0EEENS1_30default_config_static_selectorELNS0_4arch9wavefront6targetE0EEEvSK_
    .private_segment_fixed_size: 0
    .sgpr_count:     0
    .sgpr_spill_count: 0
    .symbol:         _ZN7rocprim17ROCPRIM_400000_NS6detail17trampoline_kernelINS0_14default_configENS1_36segmented_radix_sort_config_selectorIslEEZNS1_25segmented_radix_sort_implIS3_Lb0EPKsPsPKlPlN2at6native12_GLOBAL__N_18offset_tEEE10hipError_tPvRmT1_PNSt15iterator_traitsISK_E10value_typeET2_T3_PNSL_ISQ_E10value_typeET4_jRbjT5_SW_jjP12ihipStream_tbEUlT_E_NS1_11comp_targetILNS1_3genE2ELNS1_11target_archE906ELNS1_3gpuE6ELNS1_3repE0EEENS1_30default_config_static_selectorELNS0_4arch9wavefront6targetE0EEEvSK_.kd
    .uniform_work_group_size: 1
    .uses_dynamic_stack: false
    .vgpr_count:     0
    .vgpr_spill_count: 0
    .wavefront_size: 32
    .workgroup_processor_mode: 1
  - .args:
      - .offset:         0
        .size:           96
        .value_kind:     by_value
    .group_segment_fixed_size: 0
    .kernarg_segment_align: 8
    .kernarg_segment_size: 96
    .language:       OpenCL C
    .language_version:
      - 2
      - 0
    .max_flat_workgroup_size: 256
    .name:           _ZN7rocprim17ROCPRIM_400000_NS6detail17trampoline_kernelINS0_14default_configENS1_36segmented_radix_sort_config_selectorIslEEZNS1_25segmented_radix_sort_implIS3_Lb0EPKsPsPKlPlN2at6native12_GLOBAL__N_18offset_tEEE10hipError_tPvRmT1_PNSt15iterator_traitsISK_E10value_typeET2_T3_PNSL_ISQ_E10value_typeET4_jRbjT5_SW_jjP12ihipStream_tbEUlT_E_NS1_11comp_targetILNS1_3genE10ELNS1_11target_archE1201ELNS1_3gpuE5ELNS1_3repE0EEENS1_30default_config_static_selectorELNS0_4arch9wavefront6targetE0EEEvSK_
    .private_segment_fixed_size: 0
    .sgpr_count:     0
    .sgpr_spill_count: 0
    .symbol:         _ZN7rocprim17ROCPRIM_400000_NS6detail17trampoline_kernelINS0_14default_configENS1_36segmented_radix_sort_config_selectorIslEEZNS1_25segmented_radix_sort_implIS3_Lb0EPKsPsPKlPlN2at6native12_GLOBAL__N_18offset_tEEE10hipError_tPvRmT1_PNSt15iterator_traitsISK_E10value_typeET2_T3_PNSL_ISQ_E10value_typeET4_jRbjT5_SW_jjP12ihipStream_tbEUlT_E_NS1_11comp_targetILNS1_3genE10ELNS1_11target_archE1201ELNS1_3gpuE5ELNS1_3repE0EEENS1_30default_config_static_selectorELNS0_4arch9wavefront6targetE0EEEvSK_.kd
    .uniform_work_group_size: 1
    .uses_dynamic_stack: false
    .vgpr_count:     0
    .vgpr_spill_count: 0
    .wavefront_size: 32
    .workgroup_processor_mode: 1
  - .args:
      - .offset:         0
        .size:           96
        .value_kind:     by_value
    .group_segment_fixed_size: 0
    .kernarg_segment_align: 8
    .kernarg_segment_size: 96
    .language:       OpenCL C
    .language_version:
      - 2
      - 0
    .max_flat_workgroup_size: 128
    .name:           _ZN7rocprim17ROCPRIM_400000_NS6detail17trampoline_kernelINS0_14default_configENS1_36segmented_radix_sort_config_selectorIslEEZNS1_25segmented_radix_sort_implIS3_Lb0EPKsPsPKlPlN2at6native12_GLOBAL__N_18offset_tEEE10hipError_tPvRmT1_PNSt15iterator_traitsISK_E10value_typeET2_T3_PNSL_ISQ_E10value_typeET4_jRbjT5_SW_jjP12ihipStream_tbEUlT_E_NS1_11comp_targetILNS1_3genE10ELNS1_11target_archE1200ELNS1_3gpuE4ELNS1_3repE0EEENS1_30default_config_static_selectorELNS0_4arch9wavefront6targetE0EEEvSK_
    .private_segment_fixed_size: 0
    .sgpr_count:     0
    .sgpr_spill_count: 0
    .symbol:         _ZN7rocprim17ROCPRIM_400000_NS6detail17trampoline_kernelINS0_14default_configENS1_36segmented_radix_sort_config_selectorIslEEZNS1_25segmented_radix_sort_implIS3_Lb0EPKsPsPKlPlN2at6native12_GLOBAL__N_18offset_tEEE10hipError_tPvRmT1_PNSt15iterator_traitsISK_E10value_typeET2_T3_PNSL_ISQ_E10value_typeET4_jRbjT5_SW_jjP12ihipStream_tbEUlT_E_NS1_11comp_targetILNS1_3genE10ELNS1_11target_archE1200ELNS1_3gpuE4ELNS1_3repE0EEENS1_30default_config_static_selectorELNS0_4arch9wavefront6targetE0EEEvSK_.kd
    .uniform_work_group_size: 1
    .uses_dynamic_stack: false
    .vgpr_count:     0
    .vgpr_spill_count: 0
    .wavefront_size: 32
    .workgroup_processor_mode: 1
  - .args:
      - .offset:         0
        .size:           96
        .value_kind:     by_value
      - .offset:         96
        .size:           4
        .value_kind:     hidden_block_count_x
      - .offset:         100
        .size:           4
        .value_kind:     hidden_block_count_y
      - .offset:         104
        .size:           4
        .value_kind:     hidden_block_count_z
      - .offset:         108
        .size:           2
        .value_kind:     hidden_group_size_x
      - .offset:         110
        .size:           2
        .value_kind:     hidden_group_size_y
      - .offset:         112
        .size:           2
        .value_kind:     hidden_group_size_z
      - .offset:         114
        .size:           2
        .value_kind:     hidden_remainder_x
      - .offset:         116
        .size:           2
        .value_kind:     hidden_remainder_y
      - .offset:         118
        .size:           2
        .value_kind:     hidden_remainder_z
      - .offset:         136
        .size:           8
        .value_kind:     hidden_global_offset_x
      - .offset:         144
        .size:           8
        .value_kind:     hidden_global_offset_y
      - .offset:         152
        .size:           8
        .value_kind:     hidden_global_offset_z
      - .offset:         160
        .size:           2
        .value_kind:     hidden_grid_dims
    .group_segment_fixed_size: 33824
    .kernarg_segment_align: 8
    .kernarg_segment_size: 352
    .language:       OpenCL C
    .language_version:
      - 2
      - 0
    .max_flat_workgroup_size: 256
    .name:           _ZN7rocprim17ROCPRIM_400000_NS6detail17trampoline_kernelINS0_14default_configENS1_36segmented_radix_sort_config_selectorIslEEZNS1_25segmented_radix_sort_implIS3_Lb0EPKsPsPKlPlN2at6native12_GLOBAL__N_18offset_tEEE10hipError_tPvRmT1_PNSt15iterator_traitsISK_E10value_typeET2_T3_PNSL_ISQ_E10value_typeET4_jRbjT5_SW_jjP12ihipStream_tbEUlT_E_NS1_11comp_targetILNS1_3genE9ELNS1_11target_archE1100ELNS1_3gpuE3ELNS1_3repE0EEENS1_30default_config_static_selectorELNS0_4arch9wavefront6targetE0EEEvSK_
    .private_segment_fixed_size: 188
    .sgpr_count:     68
    .sgpr_spill_count: 0
    .symbol:         _ZN7rocprim17ROCPRIM_400000_NS6detail17trampoline_kernelINS0_14default_configENS1_36segmented_radix_sort_config_selectorIslEEZNS1_25segmented_radix_sort_implIS3_Lb0EPKsPsPKlPlN2at6native12_GLOBAL__N_18offset_tEEE10hipError_tPvRmT1_PNSt15iterator_traitsISK_E10value_typeET2_T3_PNSL_ISQ_E10value_typeET4_jRbjT5_SW_jjP12ihipStream_tbEUlT_E_NS1_11comp_targetILNS1_3genE9ELNS1_11target_archE1100ELNS1_3gpuE3ELNS1_3repE0EEENS1_30default_config_static_selectorELNS0_4arch9wavefront6targetE0EEEvSK_.kd
    .uniform_work_group_size: 1
    .uses_dynamic_stack: false
    .vgpr_count:     248
    .vgpr_spill_count: 0
    .wavefront_size: 32
    .workgroup_processor_mode: 1
  - .args:
      - .offset:         0
        .size:           96
        .value_kind:     by_value
    .group_segment_fixed_size: 0
    .kernarg_segment_align: 8
    .kernarg_segment_size: 96
    .language:       OpenCL C
    .language_version:
      - 2
      - 0
    .max_flat_workgroup_size: 256
    .name:           _ZN7rocprim17ROCPRIM_400000_NS6detail17trampoline_kernelINS0_14default_configENS1_36segmented_radix_sort_config_selectorIslEEZNS1_25segmented_radix_sort_implIS3_Lb0EPKsPsPKlPlN2at6native12_GLOBAL__N_18offset_tEEE10hipError_tPvRmT1_PNSt15iterator_traitsISK_E10value_typeET2_T3_PNSL_ISQ_E10value_typeET4_jRbjT5_SW_jjP12ihipStream_tbEUlT_E_NS1_11comp_targetILNS1_3genE8ELNS1_11target_archE1030ELNS1_3gpuE2ELNS1_3repE0EEENS1_30default_config_static_selectorELNS0_4arch9wavefront6targetE0EEEvSK_
    .private_segment_fixed_size: 0
    .sgpr_count:     0
    .sgpr_spill_count: 0
    .symbol:         _ZN7rocprim17ROCPRIM_400000_NS6detail17trampoline_kernelINS0_14default_configENS1_36segmented_radix_sort_config_selectorIslEEZNS1_25segmented_radix_sort_implIS3_Lb0EPKsPsPKlPlN2at6native12_GLOBAL__N_18offset_tEEE10hipError_tPvRmT1_PNSt15iterator_traitsISK_E10value_typeET2_T3_PNSL_ISQ_E10value_typeET4_jRbjT5_SW_jjP12ihipStream_tbEUlT_E_NS1_11comp_targetILNS1_3genE8ELNS1_11target_archE1030ELNS1_3gpuE2ELNS1_3repE0EEENS1_30default_config_static_selectorELNS0_4arch9wavefront6targetE0EEEvSK_.kd
    .uniform_work_group_size: 1
    .uses_dynamic_stack: false
    .vgpr_count:     0
    .vgpr_spill_count: 0
    .wavefront_size: 32
    .workgroup_processor_mode: 1
  - .args:
      - .offset:         0
        .size:           88
        .value_kind:     by_value
    .group_segment_fixed_size: 0
    .kernarg_segment_align: 8
    .kernarg_segment_size: 88
    .language:       OpenCL C
    .language_version:
      - 2
      - 0
    .max_flat_workgroup_size: 256
    .name:           _ZN7rocprim17ROCPRIM_400000_NS6detail17trampoline_kernelINS0_14default_configENS1_36segmented_radix_sort_config_selectorIslEEZNS1_25segmented_radix_sort_implIS3_Lb0EPKsPsPKlPlN2at6native12_GLOBAL__N_18offset_tEEE10hipError_tPvRmT1_PNSt15iterator_traitsISK_E10value_typeET2_T3_PNSL_ISQ_E10value_typeET4_jRbjT5_SW_jjP12ihipStream_tbEUlT_E0_NS1_11comp_targetILNS1_3genE0ELNS1_11target_archE4294967295ELNS1_3gpuE0ELNS1_3repE0EEENS1_60segmented_radix_sort_warp_sort_medium_config_static_selectorELNS0_4arch9wavefront6targetE0EEEvSK_
    .private_segment_fixed_size: 0
    .sgpr_count:     0
    .sgpr_spill_count: 0
    .symbol:         _ZN7rocprim17ROCPRIM_400000_NS6detail17trampoline_kernelINS0_14default_configENS1_36segmented_radix_sort_config_selectorIslEEZNS1_25segmented_radix_sort_implIS3_Lb0EPKsPsPKlPlN2at6native12_GLOBAL__N_18offset_tEEE10hipError_tPvRmT1_PNSt15iterator_traitsISK_E10value_typeET2_T3_PNSL_ISQ_E10value_typeET4_jRbjT5_SW_jjP12ihipStream_tbEUlT_E0_NS1_11comp_targetILNS1_3genE0ELNS1_11target_archE4294967295ELNS1_3gpuE0ELNS1_3repE0EEENS1_60segmented_radix_sort_warp_sort_medium_config_static_selectorELNS0_4arch9wavefront6targetE0EEEvSK_.kd
    .uniform_work_group_size: 1
    .uses_dynamic_stack: false
    .vgpr_count:     0
    .vgpr_spill_count: 0
    .wavefront_size: 32
    .workgroup_processor_mode: 1
  - .args:
      - .offset:         0
        .size:           88
        .value_kind:     by_value
    .group_segment_fixed_size: 0
    .kernarg_segment_align: 8
    .kernarg_segment_size: 88
    .language:       OpenCL C
    .language_version:
      - 2
      - 0
    .max_flat_workgroup_size: 256
    .name:           _ZN7rocprim17ROCPRIM_400000_NS6detail17trampoline_kernelINS0_14default_configENS1_36segmented_radix_sort_config_selectorIslEEZNS1_25segmented_radix_sort_implIS3_Lb0EPKsPsPKlPlN2at6native12_GLOBAL__N_18offset_tEEE10hipError_tPvRmT1_PNSt15iterator_traitsISK_E10value_typeET2_T3_PNSL_ISQ_E10value_typeET4_jRbjT5_SW_jjP12ihipStream_tbEUlT_E0_NS1_11comp_targetILNS1_3genE5ELNS1_11target_archE942ELNS1_3gpuE9ELNS1_3repE0EEENS1_60segmented_radix_sort_warp_sort_medium_config_static_selectorELNS0_4arch9wavefront6targetE0EEEvSK_
    .private_segment_fixed_size: 0
    .sgpr_count:     0
    .sgpr_spill_count: 0
    .symbol:         _ZN7rocprim17ROCPRIM_400000_NS6detail17trampoline_kernelINS0_14default_configENS1_36segmented_radix_sort_config_selectorIslEEZNS1_25segmented_radix_sort_implIS3_Lb0EPKsPsPKlPlN2at6native12_GLOBAL__N_18offset_tEEE10hipError_tPvRmT1_PNSt15iterator_traitsISK_E10value_typeET2_T3_PNSL_ISQ_E10value_typeET4_jRbjT5_SW_jjP12ihipStream_tbEUlT_E0_NS1_11comp_targetILNS1_3genE5ELNS1_11target_archE942ELNS1_3gpuE9ELNS1_3repE0EEENS1_60segmented_radix_sort_warp_sort_medium_config_static_selectorELNS0_4arch9wavefront6targetE0EEEvSK_.kd
    .uniform_work_group_size: 1
    .uses_dynamic_stack: false
    .vgpr_count:     0
    .vgpr_spill_count: 0
    .wavefront_size: 32
    .workgroup_processor_mode: 1
  - .args:
      - .offset:         0
        .size:           88
        .value_kind:     by_value
    .group_segment_fixed_size: 0
    .kernarg_segment_align: 8
    .kernarg_segment_size: 88
    .language:       OpenCL C
    .language_version:
      - 2
      - 0
    .max_flat_workgroup_size: 256
    .name:           _ZN7rocprim17ROCPRIM_400000_NS6detail17trampoline_kernelINS0_14default_configENS1_36segmented_radix_sort_config_selectorIslEEZNS1_25segmented_radix_sort_implIS3_Lb0EPKsPsPKlPlN2at6native12_GLOBAL__N_18offset_tEEE10hipError_tPvRmT1_PNSt15iterator_traitsISK_E10value_typeET2_T3_PNSL_ISQ_E10value_typeET4_jRbjT5_SW_jjP12ihipStream_tbEUlT_E0_NS1_11comp_targetILNS1_3genE4ELNS1_11target_archE910ELNS1_3gpuE8ELNS1_3repE0EEENS1_60segmented_radix_sort_warp_sort_medium_config_static_selectorELNS0_4arch9wavefront6targetE0EEEvSK_
    .private_segment_fixed_size: 0
    .sgpr_count:     0
    .sgpr_spill_count: 0
    .symbol:         _ZN7rocprim17ROCPRIM_400000_NS6detail17trampoline_kernelINS0_14default_configENS1_36segmented_radix_sort_config_selectorIslEEZNS1_25segmented_radix_sort_implIS3_Lb0EPKsPsPKlPlN2at6native12_GLOBAL__N_18offset_tEEE10hipError_tPvRmT1_PNSt15iterator_traitsISK_E10value_typeET2_T3_PNSL_ISQ_E10value_typeET4_jRbjT5_SW_jjP12ihipStream_tbEUlT_E0_NS1_11comp_targetILNS1_3genE4ELNS1_11target_archE910ELNS1_3gpuE8ELNS1_3repE0EEENS1_60segmented_radix_sort_warp_sort_medium_config_static_selectorELNS0_4arch9wavefront6targetE0EEEvSK_.kd
    .uniform_work_group_size: 1
    .uses_dynamic_stack: false
    .vgpr_count:     0
    .vgpr_spill_count: 0
    .wavefront_size: 32
    .workgroup_processor_mode: 1
  - .args:
      - .offset:         0
        .size:           88
        .value_kind:     by_value
    .group_segment_fixed_size: 0
    .kernarg_segment_align: 8
    .kernarg_segment_size: 88
    .language:       OpenCL C
    .language_version:
      - 2
      - 0
    .max_flat_workgroup_size: 256
    .name:           _ZN7rocprim17ROCPRIM_400000_NS6detail17trampoline_kernelINS0_14default_configENS1_36segmented_radix_sort_config_selectorIslEEZNS1_25segmented_radix_sort_implIS3_Lb0EPKsPsPKlPlN2at6native12_GLOBAL__N_18offset_tEEE10hipError_tPvRmT1_PNSt15iterator_traitsISK_E10value_typeET2_T3_PNSL_ISQ_E10value_typeET4_jRbjT5_SW_jjP12ihipStream_tbEUlT_E0_NS1_11comp_targetILNS1_3genE3ELNS1_11target_archE908ELNS1_3gpuE7ELNS1_3repE0EEENS1_60segmented_radix_sort_warp_sort_medium_config_static_selectorELNS0_4arch9wavefront6targetE0EEEvSK_
    .private_segment_fixed_size: 0
    .sgpr_count:     0
    .sgpr_spill_count: 0
    .symbol:         _ZN7rocprim17ROCPRIM_400000_NS6detail17trampoline_kernelINS0_14default_configENS1_36segmented_radix_sort_config_selectorIslEEZNS1_25segmented_radix_sort_implIS3_Lb0EPKsPsPKlPlN2at6native12_GLOBAL__N_18offset_tEEE10hipError_tPvRmT1_PNSt15iterator_traitsISK_E10value_typeET2_T3_PNSL_ISQ_E10value_typeET4_jRbjT5_SW_jjP12ihipStream_tbEUlT_E0_NS1_11comp_targetILNS1_3genE3ELNS1_11target_archE908ELNS1_3gpuE7ELNS1_3repE0EEENS1_60segmented_radix_sort_warp_sort_medium_config_static_selectorELNS0_4arch9wavefront6targetE0EEEvSK_.kd
    .uniform_work_group_size: 1
    .uses_dynamic_stack: false
    .vgpr_count:     0
    .vgpr_spill_count: 0
    .wavefront_size: 32
    .workgroup_processor_mode: 1
  - .args:
      - .offset:         0
        .size:           88
        .value_kind:     by_value
    .group_segment_fixed_size: 0
    .kernarg_segment_align: 8
    .kernarg_segment_size: 88
    .language:       OpenCL C
    .language_version:
      - 2
      - 0
    .max_flat_workgroup_size: 256
    .name:           _ZN7rocprim17ROCPRIM_400000_NS6detail17trampoline_kernelINS0_14default_configENS1_36segmented_radix_sort_config_selectorIslEEZNS1_25segmented_radix_sort_implIS3_Lb0EPKsPsPKlPlN2at6native12_GLOBAL__N_18offset_tEEE10hipError_tPvRmT1_PNSt15iterator_traitsISK_E10value_typeET2_T3_PNSL_ISQ_E10value_typeET4_jRbjT5_SW_jjP12ihipStream_tbEUlT_E0_NS1_11comp_targetILNS1_3genE2ELNS1_11target_archE906ELNS1_3gpuE6ELNS1_3repE0EEENS1_60segmented_radix_sort_warp_sort_medium_config_static_selectorELNS0_4arch9wavefront6targetE0EEEvSK_
    .private_segment_fixed_size: 0
    .sgpr_count:     0
    .sgpr_spill_count: 0
    .symbol:         _ZN7rocprim17ROCPRIM_400000_NS6detail17trampoline_kernelINS0_14default_configENS1_36segmented_radix_sort_config_selectorIslEEZNS1_25segmented_radix_sort_implIS3_Lb0EPKsPsPKlPlN2at6native12_GLOBAL__N_18offset_tEEE10hipError_tPvRmT1_PNSt15iterator_traitsISK_E10value_typeET2_T3_PNSL_ISQ_E10value_typeET4_jRbjT5_SW_jjP12ihipStream_tbEUlT_E0_NS1_11comp_targetILNS1_3genE2ELNS1_11target_archE906ELNS1_3gpuE6ELNS1_3repE0EEENS1_60segmented_radix_sort_warp_sort_medium_config_static_selectorELNS0_4arch9wavefront6targetE0EEEvSK_.kd
    .uniform_work_group_size: 1
    .uses_dynamic_stack: false
    .vgpr_count:     0
    .vgpr_spill_count: 0
    .wavefront_size: 32
    .workgroup_processor_mode: 1
  - .args:
      - .offset:         0
        .size:           88
        .value_kind:     by_value
    .group_segment_fixed_size: 0
    .kernarg_segment_align: 8
    .kernarg_segment_size: 88
    .language:       OpenCL C
    .language_version:
      - 2
      - 0
    .max_flat_workgroup_size: 256
    .name:           _ZN7rocprim17ROCPRIM_400000_NS6detail17trampoline_kernelINS0_14default_configENS1_36segmented_radix_sort_config_selectorIslEEZNS1_25segmented_radix_sort_implIS3_Lb0EPKsPsPKlPlN2at6native12_GLOBAL__N_18offset_tEEE10hipError_tPvRmT1_PNSt15iterator_traitsISK_E10value_typeET2_T3_PNSL_ISQ_E10value_typeET4_jRbjT5_SW_jjP12ihipStream_tbEUlT_E0_NS1_11comp_targetILNS1_3genE10ELNS1_11target_archE1201ELNS1_3gpuE5ELNS1_3repE0EEENS1_60segmented_radix_sort_warp_sort_medium_config_static_selectorELNS0_4arch9wavefront6targetE0EEEvSK_
    .private_segment_fixed_size: 0
    .sgpr_count:     0
    .sgpr_spill_count: 0
    .symbol:         _ZN7rocprim17ROCPRIM_400000_NS6detail17trampoline_kernelINS0_14default_configENS1_36segmented_radix_sort_config_selectorIslEEZNS1_25segmented_radix_sort_implIS3_Lb0EPKsPsPKlPlN2at6native12_GLOBAL__N_18offset_tEEE10hipError_tPvRmT1_PNSt15iterator_traitsISK_E10value_typeET2_T3_PNSL_ISQ_E10value_typeET4_jRbjT5_SW_jjP12ihipStream_tbEUlT_E0_NS1_11comp_targetILNS1_3genE10ELNS1_11target_archE1201ELNS1_3gpuE5ELNS1_3repE0EEENS1_60segmented_radix_sort_warp_sort_medium_config_static_selectorELNS0_4arch9wavefront6targetE0EEEvSK_.kd
    .uniform_work_group_size: 1
    .uses_dynamic_stack: false
    .vgpr_count:     0
    .vgpr_spill_count: 0
    .wavefront_size: 32
    .workgroup_processor_mode: 1
  - .args:
      - .offset:         0
        .size:           88
        .value_kind:     by_value
    .group_segment_fixed_size: 0
    .kernarg_segment_align: 8
    .kernarg_segment_size: 88
    .language:       OpenCL C
    .language_version:
      - 2
      - 0
    .max_flat_workgroup_size: 256
    .name:           _ZN7rocprim17ROCPRIM_400000_NS6detail17trampoline_kernelINS0_14default_configENS1_36segmented_radix_sort_config_selectorIslEEZNS1_25segmented_radix_sort_implIS3_Lb0EPKsPsPKlPlN2at6native12_GLOBAL__N_18offset_tEEE10hipError_tPvRmT1_PNSt15iterator_traitsISK_E10value_typeET2_T3_PNSL_ISQ_E10value_typeET4_jRbjT5_SW_jjP12ihipStream_tbEUlT_E0_NS1_11comp_targetILNS1_3genE10ELNS1_11target_archE1200ELNS1_3gpuE4ELNS1_3repE0EEENS1_60segmented_radix_sort_warp_sort_medium_config_static_selectorELNS0_4arch9wavefront6targetE0EEEvSK_
    .private_segment_fixed_size: 0
    .sgpr_count:     0
    .sgpr_spill_count: 0
    .symbol:         _ZN7rocprim17ROCPRIM_400000_NS6detail17trampoline_kernelINS0_14default_configENS1_36segmented_radix_sort_config_selectorIslEEZNS1_25segmented_radix_sort_implIS3_Lb0EPKsPsPKlPlN2at6native12_GLOBAL__N_18offset_tEEE10hipError_tPvRmT1_PNSt15iterator_traitsISK_E10value_typeET2_T3_PNSL_ISQ_E10value_typeET4_jRbjT5_SW_jjP12ihipStream_tbEUlT_E0_NS1_11comp_targetILNS1_3genE10ELNS1_11target_archE1200ELNS1_3gpuE4ELNS1_3repE0EEENS1_60segmented_radix_sort_warp_sort_medium_config_static_selectorELNS0_4arch9wavefront6targetE0EEEvSK_.kd
    .uniform_work_group_size: 1
    .uses_dynamic_stack: false
    .vgpr_count:     0
    .vgpr_spill_count: 0
    .wavefront_size: 32
    .workgroup_processor_mode: 1
  - .args:
      - .offset:         0
        .size:           88
        .value_kind:     by_value
      - .offset:         88
        .size:           4
        .value_kind:     hidden_block_count_x
      - .offset:         92
        .size:           4
        .value_kind:     hidden_block_count_y
      - .offset:         96
        .size:           4
        .value_kind:     hidden_block_count_z
      - .offset:         100
        .size:           2
        .value_kind:     hidden_group_size_x
      - .offset:         102
        .size:           2
        .value_kind:     hidden_group_size_y
      - .offset:         104
        .size:           2
        .value_kind:     hidden_group_size_z
      - .offset:         106
        .size:           2
        .value_kind:     hidden_remainder_x
      - .offset:         108
        .size:           2
        .value_kind:     hidden_remainder_y
      - .offset:         110
        .size:           2
        .value_kind:     hidden_remainder_z
      - .offset:         128
        .size:           8
        .value_kind:     hidden_global_offset_x
      - .offset:         136
        .size:           8
        .value_kind:     hidden_global_offset_y
      - .offset:         144
        .size:           8
        .value_kind:     hidden_global_offset_z
      - .offset:         152
        .size:           2
        .value_kind:     hidden_grid_dims
    .group_segment_fixed_size: 20480
    .kernarg_segment_align: 8
    .kernarg_segment_size: 344
    .language:       OpenCL C
    .language_version:
      - 2
      - 0
    .max_flat_workgroup_size: 256
    .name:           _ZN7rocprim17ROCPRIM_400000_NS6detail17trampoline_kernelINS0_14default_configENS1_36segmented_radix_sort_config_selectorIslEEZNS1_25segmented_radix_sort_implIS3_Lb0EPKsPsPKlPlN2at6native12_GLOBAL__N_18offset_tEEE10hipError_tPvRmT1_PNSt15iterator_traitsISK_E10value_typeET2_T3_PNSL_ISQ_E10value_typeET4_jRbjT5_SW_jjP12ihipStream_tbEUlT_E0_NS1_11comp_targetILNS1_3genE9ELNS1_11target_archE1100ELNS1_3gpuE3ELNS1_3repE0EEENS1_60segmented_radix_sort_warp_sort_medium_config_static_selectorELNS0_4arch9wavefront6targetE0EEEvSK_
    .private_segment_fixed_size: 0
    .sgpr_count:     46
    .sgpr_spill_count: 0
    .symbol:         _ZN7rocprim17ROCPRIM_400000_NS6detail17trampoline_kernelINS0_14default_configENS1_36segmented_radix_sort_config_selectorIslEEZNS1_25segmented_radix_sort_implIS3_Lb0EPKsPsPKlPlN2at6native12_GLOBAL__N_18offset_tEEE10hipError_tPvRmT1_PNSt15iterator_traitsISK_E10value_typeET2_T3_PNSL_ISQ_E10value_typeET4_jRbjT5_SW_jjP12ihipStream_tbEUlT_E0_NS1_11comp_targetILNS1_3genE9ELNS1_11target_archE1100ELNS1_3gpuE3ELNS1_3repE0EEENS1_60segmented_radix_sort_warp_sort_medium_config_static_selectorELNS0_4arch9wavefront6targetE0EEEvSK_.kd
    .uniform_work_group_size: 1
    .uses_dynamic_stack: false
    .vgpr_count:     82
    .vgpr_spill_count: 0
    .wavefront_size: 32
    .workgroup_processor_mode: 1
  - .args:
      - .offset:         0
        .size:           88
        .value_kind:     by_value
    .group_segment_fixed_size: 0
    .kernarg_segment_align: 8
    .kernarg_segment_size: 88
    .language:       OpenCL C
    .language_version:
      - 2
      - 0
    .max_flat_workgroup_size: 256
    .name:           _ZN7rocprim17ROCPRIM_400000_NS6detail17trampoline_kernelINS0_14default_configENS1_36segmented_radix_sort_config_selectorIslEEZNS1_25segmented_radix_sort_implIS3_Lb0EPKsPsPKlPlN2at6native12_GLOBAL__N_18offset_tEEE10hipError_tPvRmT1_PNSt15iterator_traitsISK_E10value_typeET2_T3_PNSL_ISQ_E10value_typeET4_jRbjT5_SW_jjP12ihipStream_tbEUlT_E0_NS1_11comp_targetILNS1_3genE8ELNS1_11target_archE1030ELNS1_3gpuE2ELNS1_3repE0EEENS1_60segmented_radix_sort_warp_sort_medium_config_static_selectorELNS0_4arch9wavefront6targetE0EEEvSK_
    .private_segment_fixed_size: 0
    .sgpr_count:     0
    .sgpr_spill_count: 0
    .symbol:         _ZN7rocprim17ROCPRIM_400000_NS6detail17trampoline_kernelINS0_14default_configENS1_36segmented_radix_sort_config_selectorIslEEZNS1_25segmented_radix_sort_implIS3_Lb0EPKsPsPKlPlN2at6native12_GLOBAL__N_18offset_tEEE10hipError_tPvRmT1_PNSt15iterator_traitsISK_E10value_typeET2_T3_PNSL_ISQ_E10value_typeET4_jRbjT5_SW_jjP12ihipStream_tbEUlT_E0_NS1_11comp_targetILNS1_3genE8ELNS1_11target_archE1030ELNS1_3gpuE2ELNS1_3repE0EEENS1_60segmented_radix_sort_warp_sort_medium_config_static_selectorELNS0_4arch9wavefront6targetE0EEEvSK_.kd
    .uniform_work_group_size: 1
    .uses_dynamic_stack: false
    .vgpr_count:     0
    .vgpr_spill_count: 0
    .wavefront_size: 32
    .workgroup_processor_mode: 1
  - .args:
      - .offset:         0
        .size:           88
        .value_kind:     by_value
    .group_segment_fixed_size: 0
    .kernarg_segment_align: 8
    .kernarg_segment_size: 88
    .language:       OpenCL C
    .language_version:
      - 2
      - 0
    .max_flat_workgroup_size: 256
    .name:           _ZN7rocprim17ROCPRIM_400000_NS6detail17trampoline_kernelINS0_14default_configENS1_36segmented_radix_sort_config_selectorIslEEZNS1_25segmented_radix_sort_implIS3_Lb0EPKsPsPKlPlN2at6native12_GLOBAL__N_18offset_tEEE10hipError_tPvRmT1_PNSt15iterator_traitsISK_E10value_typeET2_T3_PNSL_ISQ_E10value_typeET4_jRbjT5_SW_jjP12ihipStream_tbEUlT_E1_NS1_11comp_targetILNS1_3genE0ELNS1_11target_archE4294967295ELNS1_3gpuE0ELNS1_3repE0EEENS1_59segmented_radix_sort_warp_sort_small_config_static_selectorELNS0_4arch9wavefront6targetE0EEEvSK_
    .private_segment_fixed_size: 0
    .sgpr_count:     0
    .sgpr_spill_count: 0
    .symbol:         _ZN7rocprim17ROCPRIM_400000_NS6detail17trampoline_kernelINS0_14default_configENS1_36segmented_radix_sort_config_selectorIslEEZNS1_25segmented_radix_sort_implIS3_Lb0EPKsPsPKlPlN2at6native12_GLOBAL__N_18offset_tEEE10hipError_tPvRmT1_PNSt15iterator_traitsISK_E10value_typeET2_T3_PNSL_ISQ_E10value_typeET4_jRbjT5_SW_jjP12ihipStream_tbEUlT_E1_NS1_11comp_targetILNS1_3genE0ELNS1_11target_archE4294967295ELNS1_3gpuE0ELNS1_3repE0EEENS1_59segmented_radix_sort_warp_sort_small_config_static_selectorELNS0_4arch9wavefront6targetE0EEEvSK_.kd
    .uniform_work_group_size: 1
    .uses_dynamic_stack: false
    .vgpr_count:     0
    .vgpr_spill_count: 0
    .wavefront_size: 32
    .workgroup_processor_mode: 1
  - .args:
      - .offset:         0
        .size:           88
        .value_kind:     by_value
    .group_segment_fixed_size: 0
    .kernarg_segment_align: 8
    .kernarg_segment_size: 88
    .language:       OpenCL C
    .language_version:
      - 2
      - 0
    .max_flat_workgroup_size: 256
    .name:           _ZN7rocprim17ROCPRIM_400000_NS6detail17trampoline_kernelINS0_14default_configENS1_36segmented_radix_sort_config_selectorIslEEZNS1_25segmented_radix_sort_implIS3_Lb0EPKsPsPKlPlN2at6native12_GLOBAL__N_18offset_tEEE10hipError_tPvRmT1_PNSt15iterator_traitsISK_E10value_typeET2_T3_PNSL_ISQ_E10value_typeET4_jRbjT5_SW_jjP12ihipStream_tbEUlT_E1_NS1_11comp_targetILNS1_3genE5ELNS1_11target_archE942ELNS1_3gpuE9ELNS1_3repE0EEENS1_59segmented_radix_sort_warp_sort_small_config_static_selectorELNS0_4arch9wavefront6targetE0EEEvSK_
    .private_segment_fixed_size: 0
    .sgpr_count:     0
    .sgpr_spill_count: 0
    .symbol:         _ZN7rocprim17ROCPRIM_400000_NS6detail17trampoline_kernelINS0_14default_configENS1_36segmented_radix_sort_config_selectorIslEEZNS1_25segmented_radix_sort_implIS3_Lb0EPKsPsPKlPlN2at6native12_GLOBAL__N_18offset_tEEE10hipError_tPvRmT1_PNSt15iterator_traitsISK_E10value_typeET2_T3_PNSL_ISQ_E10value_typeET4_jRbjT5_SW_jjP12ihipStream_tbEUlT_E1_NS1_11comp_targetILNS1_3genE5ELNS1_11target_archE942ELNS1_3gpuE9ELNS1_3repE0EEENS1_59segmented_radix_sort_warp_sort_small_config_static_selectorELNS0_4arch9wavefront6targetE0EEEvSK_.kd
    .uniform_work_group_size: 1
    .uses_dynamic_stack: false
    .vgpr_count:     0
    .vgpr_spill_count: 0
    .wavefront_size: 32
    .workgroup_processor_mode: 1
  - .args:
      - .offset:         0
        .size:           88
        .value_kind:     by_value
    .group_segment_fixed_size: 0
    .kernarg_segment_align: 8
    .kernarg_segment_size: 88
    .language:       OpenCL C
    .language_version:
      - 2
      - 0
    .max_flat_workgroup_size: 256
    .name:           _ZN7rocprim17ROCPRIM_400000_NS6detail17trampoline_kernelINS0_14default_configENS1_36segmented_radix_sort_config_selectorIslEEZNS1_25segmented_radix_sort_implIS3_Lb0EPKsPsPKlPlN2at6native12_GLOBAL__N_18offset_tEEE10hipError_tPvRmT1_PNSt15iterator_traitsISK_E10value_typeET2_T3_PNSL_ISQ_E10value_typeET4_jRbjT5_SW_jjP12ihipStream_tbEUlT_E1_NS1_11comp_targetILNS1_3genE4ELNS1_11target_archE910ELNS1_3gpuE8ELNS1_3repE0EEENS1_59segmented_radix_sort_warp_sort_small_config_static_selectorELNS0_4arch9wavefront6targetE0EEEvSK_
    .private_segment_fixed_size: 0
    .sgpr_count:     0
    .sgpr_spill_count: 0
    .symbol:         _ZN7rocprim17ROCPRIM_400000_NS6detail17trampoline_kernelINS0_14default_configENS1_36segmented_radix_sort_config_selectorIslEEZNS1_25segmented_radix_sort_implIS3_Lb0EPKsPsPKlPlN2at6native12_GLOBAL__N_18offset_tEEE10hipError_tPvRmT1_PNSt15iterator_traitsISK_E10value_typeET2_T3_PNSL_ISQ_E10value_typeET4_jRbjT5_SW_jjP12ihipStream_tbEUlT_E1_NS1_11comp_targetILNS1_3genE4ELNS1_11target_archE910ELNS1_3gpuE8ELNS1_3repE0EEENS1_59segmented_radix_sort_warp_sort_small_config_static_selectorELNS0_4arch9wavefront6targetE0EEEvSK_.kd
    .uniform_work_group_size: 1
    .uses_dynamic_stack: false
    .vgpr_count:     0
    .vgpr_spill_count: 0
    .wavefront_size: 32
    .workgroup_processor_mode: 1
  - .args:
      - .offset:         0
        .size:           88
        .value_kind:     by_value
    .group_segment_fixed_size: 0
    .kernarg_segment_align: 8
    .kernarg_segment_size: 88
    .language:       OpenCL C
    .language_version:
      - 2
      - 0
    .max_flat_workgroup_size: 256
    .name:           _ZN7rocprim17ROCPRIM_400000_NS6detail17trampoline_kernelINS0_14default_configENS1_36segmented_radix_sort_config_selectorIslEEZNS1_25segmented_radix_sort_implIS3_Lb0EPKsPsPKlPlN2at6native12_GLOBAL__N_18offset_tEEE10hipError_tPvRmT1_PNSt15iterator_traitsISK_E10value_typeET2_T3_PNSL_ISQ_E10value_typeET4_jRbjT5_SW_jjP12ihipStream_tbEUlT_E1_NS1_11comp_targetILNS1_3genE3ELNS1_11target_archE908ELNS1_3gpuE7ELNS1_3repE0EEENS1_59segmented_radix_sort_warp_sort_small_config_static_selectorELNS0_4arch9wavefront6targetE0EEEvSK_
    .private_segment_fixed_size: 0
    .sgpr_count:     0
    .sgpr_spill_count: 0
    .symbol:         _ZN7rocprim17ROCPRIM_400000_NS6detail17trampoline_kernelINS0_14default_configENS1_36segmented_radix_sort_config_selectorIslEEZNS1_25segmented_radix_sort_implIS3_Lb0EPKsPsPKlPlN2at6native12_GLOBAL__N_18offset_tEEE10hipError_tPvRmT1_PNSt15iterator_traitsISK_E10value_typeET2_T3_PNSL_ISQ_E10value_typeET4_jRbjT5_SW_jjP12ihipStream_tbEUlT_E1_NS1_11comp_targetILNS1_3genE3ELNS1_11target_archE908ELNS1_3gpuE7ELNS1_3repE0EEENS1_59segmented_radix_sort_warp_sort_small_config_static_selectorELNS0_4arch9wavefront6targetE0EEEvSK_.kd
    .uniform_work_group_size: 1
    .uses_dynamic_stack: false
    .vgpr_count:     0
    .vgpr_spill_count: 0
    .wavefront_size: 32
    .workgroup_processor_mode: 1
  - .args:
      - .offset:         0
        .size:           88
        .value_kind:     by_value
    .group_segment_fixed_size: 0
    .kernarg_segment_align: 8
    .kernarg_segment_size: 88
    .language:       OpenCL C
    .language_version:
      - 2
      - 0
    .max_flat_workgroup_size: 256
    .name:           _ZN7rocprim17ROCPRIM_400000_NS6detail17trampoline_kernelINS0_14default_configENS1_36segmented_radix_sort_config_selectorIslEEZNS1_25segmented_radix_sort_implIS3_Lb0EPKsPsPKlPlN2at6native12_GLOBAL__N_18offset_tEEE10hipError_tPvRmT1_PNSt15iterator_traitsISK_E10value_typeET2_T3_PNSL_ISQ_E10value_typeET4_jRbjT5_SW_jjP12ihipStream_tbEUlT_E1_NS1_11comp_targetILNS1_3genE2ELNS1_11target_archE906ELNS1_3gpuE6ELNS1_3repE0EEENS1_59segmented_radix_sort_warp_sort_small_config_static_selectorELNS0_4arch9wavefront6targetE0EEEvSK_
    .private_segment_fixed_size: 0
    .sgpr_count:     0
    .sgpr_spill_count: 0
    .symbol:         _ZN7rocprim17ROCPRIM_400000_NS6detail17trampoline_kernelINS0_14default_configENS1_36segmented_radix_sort_config_selectorIslEEZNS1_25segmented_radix_sort_implIS3_Lb0EPKsPsPKlPlN2at6native12_GLOBAL__N_18offset_tEEE10hipError_tPvRmT1_PNSt15iterator_traitsISK_E10value_typeET2_T3_PNSL_ISQ_E10value_typeET4_jRbjT5_SW_jjP12ihipStream_tbEUlT_E1_NS1_11comp_targetILNS1_3genE2ELNS1_11target_archE906ELNS1_3gpuE6ELNS1_3repE0EEENS1_59segmented_radix_sort_warp_sort_small_config_static_selectorELNS0_4arch9wavefront6targetE0EEEvSK_.kd
    .uniform_work_group_size: 1
    .uses_dynamic_stack: false
    .vgpr_count:     0
    .vgpr_spill_count: 0
    .wavefront_size: 32
    .workgroup_processor_mode: 1
  - .args:
      - .offset:         0
        .size:           88
        .value_kind:     by_value
    .group_segment_fixed_size: 0
    .kernarg_segment_align: 8
    .kernarg_segment_size: 88
    .language:       OpenCL C
    .language_version:
      - 2
      - 0
    .max_flat_workgroup_size: 256
    .name:           _ZN7rocprim17ROCPRIM_400000_NS6detail17trampoline_kernelINS0_14default_configENS1_36segmented_radix_sort_config_selectorIslEEZNS1_25segmented_radix_sort_implIS3_Lb0EPKsPsPKlPlN2at6native12_GLOBAL__N_18offset_tEEE10hipError_tPvRmT1_PNSt15iterator_traitsISK_E10value_typeET2_T3_PNSL_ISQ_E10value_typeET4_jRbjT5_SW_jjP12ihipStream_tbEUlT_E1_NS1_11comp_targetILNS1_3genE10ELNS1_11target_archE1201ELNS1_3gpuE5ELNS1_3repE0EEENS1_59segmented_radix_sort_warp_sort_small_config_static_selectorELNS0_4arch9wavefront6targetE0EEEvSK_
    .private_segment_fixed_size: 0
    .sgpr_count:     0
    .sgpr_spill_count: 0
    .symbol:         _ZN7rocprim17ROCPRIM_400000_NS6detail17trampoline_kernelINS0_14default_configENS1_36segmented_radix_sort_config_selectorIslEEZNS1_25segmented_radix_sort_implIS3_Lb0EPKsPsPKlPlN2at6native12_GLOBAL__N_18offset_tEEE10hipError_tPvRmT1_PNSt15iterator_traitsISK_E10value_typeET2_T3_PNSL_ISQ_E10value_typeET4_jRbjT5_SW_jjP12ihipStream_tbEUlT_E1_NS1_11comp_targetILNS1_3genE10ELNS1_11target_archE1201ELNS1_3gpuE5ELNS1_3repE0EEENS1_59segmented_radix_sort_warp_sort_small_config_static_selectorELNS0_4arch9wavefront6targetE0EEEvSK_.kd
    .uniform_work_group_size: 1
    .uses_dynamic_stack: false
    .vgpr_count:     0
    .vgpr_spill_count: 0
    .wavefront_size: 32
    .workgroup_processor_mode: 1
  - .args:
      - .offset:         0
        .size:           88
        .value_kind:     by_value
    .group_segment_fixed_size: 0
    .kernarg_segment_align: 8
    .kernarg_segment_size: 88
    .language:       OpenCL C
    .language_version:
      - 2
      - 0
    .max_flat_workgroup_size: 256
    .name:           _ZN7rocprim17ROCPRIM_400000_NS6detail17trampoline_kernelINS0_14default_configENS1_36segmented_radix_sort_config_selectorIslEEZNS1_25segmented_radix_sort_implIS3_Lb0EPKsPsPKlPlN2at6native12_GLOBAL__N_18offset_tEEE10hipError_tPvRmT1_PNSt15iterator_traitsISK_E10value_typeET2_T3_PNSL_ISQ_E10value_typeET4_jRbjT5_SW_jjP12ihipStream_tbEUlT_E1_NS1_11comp_targetILNS1_3genE10ELNS1_11target_archE1200ELNS1_3gpuE4ELNS1_3repE0EEENS1_59segmented_radix_sort_warp_sort_small_config_static_selectorELNS0_4arch9wavefront6targetE0EEEvSK_
    .private_segment_fixed_size: 0
    .sgpr_count:     0
    .sgpr_spill_count: 0
    .symbol:         _ZN7rocprim17ROCPRIM_400000_NS6detail17trampoline_kernelINS0_14default_configENS1_36segmented_radix_sort_config_selectorIslEEZNS1_25segmented_radix_sort_implIS3_Lb0EPKsPsPKlPlN2at6native12_GLOBAL__N_18offset_tEEE10hipError_tPvRmT1_PNSt15iterator_traitsISK_E10value_typeET2_T3_PNSL_ISQ_E10value_typeET4_jRbjT5_SW_jjP12ihipStream_tbEUlT_E1_NS1_11comp_targetILNS1_3genE10ELNS1_11target_archE1200ELNS1_3gpuE4ELNS1_3repE0EEENS1_59segmented_radix_sort_warp_sort_small_config_static_selectorELNS0_4arch9wavefront6targetE0EEEvSK_.kd
    .uniform_work_group_size: 1
    .uses_dynamic_stack: false
    .vgpr_count:     0
    .vgpr_spill_count: 0
    .wavefront_size: 32
    .workgroup_processor_mode: 1
  - .args:
      - .offset:         0
        .size:           88
        .value_kind:     by_value
      - .offset:         88
        .size:           4
        .value_kind:     hidden_block_count_x
      - .offset:         92
        .size:           4
        .value_kind:     hidden_block_count_y
      - .offset:         96
        .size:           4
        .value_kind:     hidden_block_count_z
      - .offset:         100
        .size:           2
        .value_kind:     hidden_group_size_x
      - .offset:         102
        .size:           2
        .value_kind:     hidden_group_size_y
      - .offset:         104
        .size:           2
        .value_kind:     hidden_group_size_z
      - .offset:         106
        .size:           2
        .value_kind:     hidden_remainder_x
      - .offset:         108
        .size:           2
        .value_kind:     hidden_remainder_y
      - .offset:         110
        .size:           2
        .value_kind:     hidden_remainder_z
      - .offset:         128
        .size:           8
        .value_kind:     hidden_global_offset_x
      - .offset:         136
        .size:           8
        .value_kind:     hidden_global_offset_y
      - .offset:         144
        .size:           8
        .value_kind:     hidden_global_offset_z
      - .offset:         152
        .size:           2
        .value_kind:     hidden_grid_dims
    .group_segment_fixed_size: 10240
    .kernarg_segment_align: 8
    .kernarg_segment_size: 344
    .language:       OpenCL C
    .language_version:
      - 2
      - 0
    .max_flat_workgroup_size: 256
    .name:           _ZN7rocprim17ROCPRIM_400000_NS6detail17trampoline_kernelINS0_14default_configENS1_36segmented_radix_sort_config_selectorIslEEZNS1_25segmented_radix_sort_implIS3_Lb0EPKsPsPKlPlN2at6native12_GLOBAL__N_18offset_tEEE10hipError_tPvRmT1_PNSt15iterator_traitsISK_E10value_typeET2_T3_PNSL_ISQ_E10value_typeET4_jRbjT5_SW_jjP12ihipStream_tbEUlT_E1_NS1_11comp_targetILNS1_3genE9ELNS1_11target_archE1100ELNS1_3gpuE3ELNS1_3repE0EEENS1_59segmented_radix_sort_warp_sort_small_config_static_selectorELNS0_4arch9wavefront6targetE0EEEvSK_
    .private_segment_fixed_size: 0
    .sgpr_count:     35
    .sgpr_spill_count: 0
    .symbol:         _ZN7rocprim17ROCPRIM_400000_NS6detail17trampoline_kernelINS0_14default_configENS1_36segmented_radix_sort_config_selectorIslEEZNS1_25segmented_radix_sort_implIS3_Lb0EPKsPsPKlPlN2at6native12_GLOBAL__N_18offset_tEEE10hipError_tPvRmT1_PNSt15iterator_traitsISK_E10value_typeET2_T3_PNSL_ISQ_E10value_typeET4_jRbjT5_SW_jjP12ihipStream_tbEUlT_E1_NS1_11comp_targetILNS1_3genE9ELNS1_11target_archE1100ELNS1_3gpuE3ELNS1_3repE0EEENS1_59segmented_radix_sort_warp_sort_small_config_static_selectorELNS0_4arch9wavefront6targetE0EEEvSK_.kd
    .uniform_work_group_size: 1
    .uses_dynamic_stack: false
    .vgpr_count:     88
    .vgpr_spill_count: 0
    .wavefront_size: 32
    .workgroup_processor_mode: 1
  - .args:
      - .offset:         0
        .size:           88
        .value_kind:     by_value
    .group_segment_fixed_size: 0
    .kernarg_segment_align: 8
    .kernarg_segment_size: 88
    .language:       OpenCL C
    .language_version:
      - 2
      - 0
    .max_flat_workgroup_size: 256
    .name:           _ZN7rocprim17ROCPRIM_400000_NS6detail17trampoline_kernelINS0_14default_configENS1_36segmented_radix_sort_config_selectorIslEEZNS1_25segmented_radix_sort_implIS3_Lb0EPKsPsPKlPlN2at6native12_GLOBAL__N_18offset_tEEE10hipError_tPvRmT1_PNSt15iterator_traitsISK_E10value_typeET2_T3_PNSL_ISQ_E10value_typeET4_jRbjT5_SW_jjP12ihipStream_tbEUlT_E1_NS1_11comp_targetILNS1_3genE8ELNS1_11target_archE1030ELNS1_3gpuE2ELNS1_3repE0EEENS1_59segmented_radix_sort_warp_sort_small_config_static_selectorELNS0_4arch9wavefront6targetE0EEEvSK_
    .private_segment_fixed_size: 0
    .sgpr_count:     0
    .sgpr_spill_count: 0
    .symbol:         _ZN7rocprim17ROCPRIM_400000_NS6detail17trampoline_kernelINS0_14default_configENS1_36segmented_radix_sort_config_selectorIslEEZNS1_25segmented_radix_sort_implIS3_Lb0EPKsPsPKlPlN2at6native12_GLOBAL__N_18offset_tEEE10hipError_tPvRmT1_PNSt15iterator_traitsISK_E10value_typeET2_T3_PNSL_ISQ_E10value_typeET4_jRbjT5_SW_jjP12ihipStream_tbEUlT_E1_NS1_11comp_targetILNS1_3genE8ELNS1_11target_archE1030ELNS1_3gpuE2ELNS1_3repE0EEENS1_59segmented_radix_sort_warp_sort_small_config_static_selectorELNS0_4arch9wavefront6targetE0EEEvSK_.kd
    .uniform_work_group_size: 1
    .uses_dynamic_stack: false
    .vgpr_count:     0
    .vgpr_spill_count: 0
    .wavefront_size: 32
    .workgroup_processor_mode: 1
  - .args:
      - .offset:         0
        .size:           80
        .value_kind:     by_value
    .group_segment_fixed_size: 0
    .kernarg_segment_align: 8
    .kernarg_segment_size: 80
    .language:       OpenCL C
    .language_version:
      - 2
      - 0
    .max_flat_workgroup_size: 256
    .name:           _ZN7rocprim17ROCPRIM_400000_NS6detail17trampoline_kernelINS0_14default_configENS1_36segmented_radix_sort_config_selectorIslEEZNS1_25segmented_radix_sort_implIS3_Lb0EPKsPsPKlPlN2at6native12_GLOBAL__N_18offset_tEEE10hipError_tPvRmT1_PNSt15iterator_traitsISK_E10value_typeET2_T3_PNSL_ISQ_E10value_typeET4_jRbjT5_SW_jjP12ihipStream_tbEUlT_E2_NS1_11comp_targetILNS1_3genE0ELNS1_11target_archE4294967295ELNS1_3gpuE0ELNS1_3repE0EEENS1_30default_config_static_selectorELNS0_4arch9wavefront6targetE0EEEvSK_
    .private_segment_fixed_size: 0
    .sgpr_count:     0
    .sgpr_spill_count: 0
    .symbol:         _ZN7rocprim17ROCPRIM_400000_NS6detail17trampoline_kernelINS0_14default_configENS1_36segmented_radix_sort_config_selectorIslEEZNS1_25segmented_radix_sort_implIS3_Lb0EPKsPsPKlPlN2at6native12_GLOBAL__N_18offset_tEEE10hipError_tPvRmT1_PNSt15iterator_traitsISK_E10value_typeET2_T3_PNSL_ISQ_E10value_typeET4_jRbjT5_SW_jjP12ihipStream_tbEUlT_E2_NS1_11comp_targetILNS1_3genE0ELNS1_11target_archE4294967295ELNS1_3gpuE0ELNS1_3repE0EEENS1_30default_config_static_selectorELNS0_4arch9wavefront6targetE0EEEvSK_.kd
    .uniform_work_group_size: 1
    .uses_dynamic_stack: false
    .vgpr_count:     0
    .vgpr_spill_count: 0
    .wavefront_size: 32
    .workgroup_processor_mode: 1
  - .args:
      - .offset:         0
        .size:           80
        .value_kind:     by_value
    .group_segment_fixed_size: 0
    .kernarg_segment_align: 8
    .kernarg_segment_size: 80
    .language:       OpenCL C
    .language_version:
      - 2
      - 0
    .max_flat_workgroup_size: 256
    .name:           _ZN7rocprim17ROCPRIM_400000_NS6detail17trampoline_kernelINS0_14default_configENS1_36segmented_radix_sort_config_selectorIslEEZNS1_25segmented_radix_sort_implIS3_Lb0EPKsPsPKlPlN2at6native12_GLOBAL__N_18offset_tEEE10hipError_tPvRmT1_PNSt15iterator_traitsISK_E10value_typeET2_T3_PNSL_ISQ_E10value_typeET4_jRbjT5_SW_jjP12ihipStream_tbEUlT_E2_NS1_11comp_targetILNS1_3genE5ELNS1_11target_archE942ELNS1_3gpuE9ELNS1_3repE0EEENS1_30default_config_static_selectorELNS0_4arch9wavefront6targetE0EEEvSK_
    .private_segment_fixed_size: 0
    .sgpr_count:     0
    .sgpr_spill_count: 0
    .symbol:         _ZN7rocprim17ROCPRIM_400000_NS6detail17trampoline_kernelINS0_14default_configENS1_36segmented_radix_sort_config_selectorIslEEZNS1_25segmented_radix_sort_implIS3_Lb0EPKsPsPKlPlN2at6native12_GLOBAL__N_18offset_tEEE10hipError_tPvRmT1_PNSt15iterator_traitsISK_E10value_typeET2_T3_PNSL_ISQ_E10value_typeET4_jRbjT5_SW_jjP12ihipStream_tbEUlT_E2_NS1_11comp_targetILNS1_3genE5ELNS1_11target_archE942ELNS1_3gpuE9ELNS1_3repE0EEENS1_30default_config_static_selectorELNS0_4arch9wavefront6targetE0EEEvSK_.kd
    .uniform_work_group_size: 1
    .uses_dynamic_stack: false
    .vgpr_count:     0
    .vgpr_spill_count: 0
    .wavefront_size: 32
    .workgroup_processor_mode: 1
  - .args:
      - .offset:         0
        .size:           80
        .value_kind:     by_value
    .group_segment_fixed_size: 0
    .kernarg_segment_align: 8
    .kernarg_segment_size: 80
    .language:       OpenCL C
    .language_version:
      - 2
      - 0
    .max_flat_workgroup_size: 256
    .name:           _ZN7rocprim17ROCPRIM_400000_NS6detail17trampoline_kernelINS0_14default_configENS1_36segmented_radix_sort_config_selectorIslEEZNS1_25segmented_radix_sort_implIS3_Lb0EPKsPsPKlPlN2at6native12_GLOBAL__N_18offset_tEEE10hipError_tPvRmT1_PNSt15iterator_traitsISK_E10value_typeET2_T3_PNSL_ISQ_E10value_typeET4_jRbjT5_SW_jjP12ihipStream_tbEUlT_E2_NS1_11comp_targetILNS1_3genE4ELNS1_11target_archE910ELNS1_3gpuE8ELNS1_3repE0EEENS1_30default_config_static_selectorELNS0_4arch9wavefront6targetE0EEEvSK_
    .private_segment_fixed_size: 0
    .sgpr_count:     0
    .sgpr_spill_count: 0
    .symbol:         _ZN7rocprim17ROCPRIM_400000_NS6detail17trampoline_kernelINS0_14default_configENS1_36segmented_radix_sort_config_selectorIslEEZNS1_25segmented_radix_sort_implIS3_Lb0EPKsPsPKlPlN2at6native12_GLOBAL__N_18offset_tEEE10hipError_tPvRmT1_PNSt15iterator_traitsISK_E10value_typeET2_T3_PNSL_ISQ_E10value_typeET4_jRbjT5_SW_jjP12ihipStream_tbEUlT_E2_NS1_11comp_targetILNS1_3genE4ELNS1_11target_archE910ELNS1_3gpuE8ELNS1_3repE0EEENS1_30default_config_static_selectorELNS0_4arch9wavefront6targetE0EEEvSK_.kd
    .uniform_work_group_size: 1
    .uses_dynamic_stack: false
    .vgpr_count:     0
    .vgpr_spill_count: 0
    .wavefront_size: 32
    .workgroup_processor_mode: 1
  - .args:
      - .offset:         0
        .size:           80
        .value_kind:     by_value
    .group_segment_fixed_size: 0
    .kernarg_segment_align: 8
    .kernarg_segment_size: 80
    .language:       OpenCL C
    .language_version:
      - 2
      - 0
    .max_flat_workgroup_size: 256
    .name:           _ZN7rocprim17ROCPRIM_400000_NS6detail17trampoline_kernelINS0_14default_configENS1_36segmented_radix_sort_config_selectorIslEEZNS1_25segmented_radix_sort_implIS3_Lb0EPKsPsPKlPlN2at6native12_GLOBAL__N_18offset_tEEE10hipError_tPvRmT1_PNSt15iterator_traitsISK_E10value_typeET2_T3_PNSL_ISQ_E10value_typeET4_jRbjT5_SW_jjP12ihipStream_tbEUlT_E2_NS1_11comp_targetILNS1_3genE3ELNS1_11target_archE908ELNS1_3gpuE7ELNS1_3repE0EEENS1_30default_config_static_selectorELNS0_4arch9wavefront6targetE0EEEvSK_
    .private_segment_fixed_size: 0
    .sgpr_count:     0
    .sgpr_spill_count: 0
    .symbol:         _ZN7rocprim17ROCPRIM_400000_NS6detail17trampoline_kernelINS0_14default_configENS1_36segmented_radix_sort_config_selectorIslEEZNS1_25segmented_radix_sort_implIS3_Lb0EPKsPsPKlPlN2at6native12_GLOBAL__N_18offset_tEEE10hipError_tPvRmT1_PNSt15iterator_traitsISK_E10value_typeET2_T3_PNSL_ISQ_E10value_typeET4_jRbjT5_SW_jjP12ihipStream_tbEUlT_E2_NS1_11comp_targetILNS1_3genE3ELNS1_11target_archE908ELNS1_3gpuE7ELNS1_3repE0EEENS1_30default_config_static_selectorELNS0_4arch9wavefront6targetE0EEEvSK_.kd
    .uniform_work_group_size: 1
    .uses_dynamic_stack: false
    .vgpr_count:     0
    .vgpr_spill_count: 0
    .wavefront_size: 32
    .workgroup_processor_mode: 1
  - .args:
      - .offset:         0
        .size:           80
        .value_kind:     by_value
    .group_segment_fixed_size: 0
    .kernarg_segment_align: 8
    .kernarg_segment_size: 80
    .language:       OpenCL C
    .language_version:
      - 2
      - 0
    .max_flat_workgroup_size: 256
    .name:           _ZN7rocprim17ROCPRIM_400000_NS6detail17trampoline_kernelINS0_14default_configENS1_36segmented_radix_sort_config_selectorIslEEZNS1_25segmented_radix_sort_implIS3_Lb0EPKsPsPKlPlN2at6native12_GLOBAL__N_18offset_tEEE10hipError_tPvRmT1_PNSt15iterator_traitsISK_E10value_typeET2_T3_PNSL_ISQ_E10value_typeET4_jRbjT5_SW_jjP12ihipStream_tbEUlT_E2_NS1_11comp_targetILNS1_3genE2ELNS1_11target_archE906ELNS1_3gpuE6ELNS1_3repE0EEENS1_30default_config_static_selectorELNS0_4arch9wavefront6targetE0EEEvSK_
    .private_segment_fixed_size: 0
    .sgpr_count:     0
    .sgpr_spill_count: 0
    .symbol:         _ZN7rocprim17ROCPRIM_400000_NS6detail17trampoline_kernelINS0_14default_configENS1_36segmented_radix_sort_config_selectorIslEEZNS1_25segmented_radix_sort_implIS3_Lb0EPKsPsPKlPlN2at6native12_GLOBAL__N_18offset_tEEE10hipError_tPvRmT1_PNSt15iterator_traitsISK_E10value_typeET2_T3_PNSL_ISQ_E10value_typeET4_jRbjT5_SW_jjP12ihipStream_tbEUlT_E2_NS1_11comp_targetILNS1_3genE2ELNS1_11target_archE906ELNS1_3gpuE6ELNS1_3repE0EEENS1_30default_config_static_selectorELNS0_4arch9wavefront6targetE0EEEvSK_.kd
    .uniform_work_group_size: 1
    .uses_dynamic_stack: false
    .vgpr_count:     0
    .vgpr_spill_count: 0
    .wavefront_size: 32
    .workgroup_processor_mode: 1
  - .args:
      - .offset:         0
        .size:           80
        .value_kind:     by_value
    .group_segment_fixed_size: 0
    .kernarg_segment_align: 8
    .kernarg_segment_size: 80
    .language:       OpenCL C
    .language_version:
      - 2
      - 0
    .max_flat_workgroup_size: 256
    .name:           _ZN7rocprim17ROCPRIM_400000_NS6detail17trampoline_kernelINS0_14default_configENS1_36segmented_radix_sort_config_selectorIslEEZNS1_25segmented_radix_sort_implIS3_Lb0EPKsPsPKlPlN2at6native12_GLOBAL__N_18offset_tEEE10hipError_tPvRmT1_PNSt15iterator_traitsISK_E10value_typeET2_T3_PNSL_ISQ_E10value_typeET4_jRbjT5_SW_jjP12ihipStream_tbEUlT_E2_NS1_11comp_targetILNS1_3genE10ELNS1_11target_archE1201ELNS1_3gpuE5ELNS1_3repE0EEENS1_30default_config_static_selectorELNS0_4arch9wavefront6targetE0EEEvSK_
    .private_segment_fixed_size: 0
    .sgpr_count:     0
    .sgpr_spill_count: 0
    .symbol:         _ZN7rocprim17ROCPRIM_400000_NS6detail17trampoline_kernelINS0_14default_configENS1_36segmented_radix_sort_config_selectorIslEEZNS1_25segmented_radix_sort_implIS3_Lb0EPKsPsPKlPlN2at6native12_GLOBAL__N_18offset_tEEE10hipError_tPvRmT1_PNSt15iterator_traitsISK_E10value_typeET2_T3_PNSL_ISQ_E10value_typeET4_jRbjT5_SW_jjP12ihipStream_tbEUlT_E2_NS1_11comp_targetILNS1_3genE10ELNS1_11target_archE1201ELNS1_3gpuE5ELNS1_3repE0EEENS1_30default_config_static_selectorELNS0_4arch9wavefront6targetE0EEEvSK_.kd
    .uniform_work_group_size: 1
    .uses_dynamic_stack: false
    .vgpr_count:     0
    .vgpr_spill_count: 0
    .wavefront_size: 32
    .workgroup_processor_mode: 1
  - .args:
      - .offset:         0
        .size:           80
        .value_kind:     by_value
    .group_segment_fixed_size: 0
    .kernarg_segment_align: 8
    .kernarg_segment_size: 80
    .language:       OpenCL C
    .language_version:
      - 2
      - 0
    .max_flat_workgroup_size: 128
    .name:           _ZN7rocprim17ROCPRIM_400000_NS6detail17trampoline_kernelINS0_14default_configENS1_36segmented_radix_sort_config_selectorIslEEZNS1_25segmented_radix_sort_implIS3_Lb0EPKsPsPKlPlN2at6native12_GLOBAL__N_18offset_tEEE10hipError_tPvRmT1_PNSt15iterator_traitsISK_E10value_typeET2_T3_PNSL_ISQ_E10value_typeET4_jRbjT5_SW_jjP12ihipStream_tbEUlT_E2_NS1_11comp_targetILNS1_3genE10ELNS1_11target_archE1200ELNS1_3gpuE4ELNS1_3repE0EEENS1_30default_config_static_selectorELNS0_4arch9wavefront6targetE0EEEvSK_
    .private_segment_fixed_size: 0
    .sgpr_count:     0
    .sgpr_spill_count: 0
    .symbol:         _ZN7rocprim17ROCPRIM_400000_NS6detail17trampoline_kernelINS0_14default_configENS1_36segmented_radix_sort_config_selectorIslEEZNS1_25segmented_radix_sort_implIS3_Lb0EPKsPsPKlPlN2at6native12_GLOBAL__N_18offset_tEEE10hipError_tPvRmT1_PNSt15iterator_traitsISK_E10value_typeET2_T3_PNSL_ISQ_E10value_typeET4_jRbjT5_SW_jjP12ihipStream_tbEUlT_E2_NS1_11comp_targetILNS1_3genE10ELNS1_11target_archE1200ELNS1_3gpuE4ELNS1_3repE0EEENS1_30default_config_static_selectorELNS0_4arch9wavefront6targetE0EEEvSK_.kd
    .uniform_work_group_size: 1
    .uses_dynamic_stack: false
    .vgpr_count:     0
    .vgpr_spill_count: 0
    .wavefront_size: 32
    .workgroup_processor_mode: 1
  - .args:
      - .offset:         0
        .size:           80
        .value_kind:     by_value
      - .offset:         80
        .size:           4
        .value_kind:     hidden_block_count_x
      - .offset:         84
        .size:           4
        .value_kind:     hidden_block_count_y
      - .offset:         88
        .size:           4
        .value_kind:     hidden_block_count_z
      - .offset:         92
        .size:           2
        .value_kind:     hidden_group_size_x
      - .offset:         94
        .size:           2
        .value_kind:     hidden_group_size_y
      - .offset:         96
        .size:           2
        .value_kind:     hidden_group_size_z
      - .offset:         98
        .size:           2
        .value_kind:     hidden_remainder_x
      - .offset:         100
        .size:           2
        .value_kind:     hidden_remainder_y
      - .offset:         102
        .size:           2
        .value_kind:     hidden_remainder_z
      - .offset:         120
        .size:           8
        .value_kind:     hidden_global_offset_x
      - .offset:         128
        .size:           8
        .value_kind:     hidden_global_offset_y
      - .offset:         136
        .size:           8
        .value_kind:     hidden_global_offset_z
      - .offset:         144
        .size:           2
        .value_kind:     hidden_grid_dims
    .group_segment_fixed_size: 33824
    .kernarg_segment_align: 8
    .kernarg_segment_size: 336
    .language:       OpenCL C
    .language_version:
      - 2
      - 0
    .max_flat_workgroup_size: 256
    .name:           _ZN7rocprim17ROCPRIM_400000_NS6detail17trampoline_kernelINS0_14default_configENS1_36segmented_radix_sort_config_selectorIslEEZNS1_25segmented_radix_sort_implIS3_Lb0EPKsPsPKlPlN2at6native12_GLOBAL__N_18offset_tEEE10hipError_tPvRmT1_PNSt15iterator_traitsISK_E10value_typeET2_T3_PNSL_ISQ_E10value_typeET4_jRbjT5_SW_jjP12ihipStream_tbEUlT_E2_NS1_11comp_targetILNS1_3genE9ELNS1_11target_archE1100ELNS1_3gpuE3ELNS1_3repE0EEENS1_30default_config_static_selectorELNS0_4arch9wavefront6targetE0EEEvSK_
    .private_segment_fixed_size: 188
    .sgpr_count:     68
    .sgpr_spill_count: 0
    .symbol:         _ZN7rocprim17ROCPRIM_400000_NS6detail17trampoline_kernelINS0_14default_configENS1_36segmented_radix_sort_config_selectorIslEEZNS1_25segmented_radix_sort_implIS3_Lb0EPKsPsPKlPlN2at6native12_GLOBAL__N_18offset_tEEE10hipError_tPvRmT1_PNSt15iterator_traitsISK_E10value_typeET2_T3_PNSL_ISQ_E10value_typeET4_jRbjT5_SW_jjP12ihipStream_tbEUlT_E2_NS1_11comp_targetILNS1_3genE9ELNS1_11target_archE1100ELNS1_3gpuE3ELNS1_3repE0EEENS1_30default_config_static_selectorELNS0_4arch9wavefront6targetE0EEEvSK_.kd
    .uniform_work_group_size: 1
    .uses_dynamic_stack: false
    .vgpr_count:     248
    .vgpr_spill_count: 0
    .wavefront_size: 32
    .workgroup_processor_mode: 1
  - .args:
      - .offset:         0
        .size:           80
        .value_kind:     by_value
    .group_segment_fixed_size: 0
    .kernarg_segment_align: 8
    .kernarg_segment_size: 80
    .language:       OpenCL C
    .language_version:
      - 2
      - 0
    .max_flat_workgroup_size: 256
    .name:           _ZN7rocprim17ROCPRIM_400000_NS6detail17trampoline_kernelINS0_14default_configENS1_36segmented_radix_sort_config_selectorIslEEZNS1_25segmented_radix_sort_implIS3_Lb0EPKsPsPKlPlN2at6native12_GLOBAL__N_18offset_tEEE10hipError_tPvRmT1_PNSt15iterator_traitsISK_E10value_typeET2_T3_PNSL_ISQ_E10value_typeET4_jRbjT5_SW_jjP12ihipStream_tbEUlT_E2_NS1_11comp_targetILNS1_3genE8ELNS1_11target_archE1030ELNS1_3gpuE2ELNS1_3repE0EEENS1_30default_config_static_selectorELNS0_4arch9wavefront6targetE0EEEvSK_
    .private_segment_fixed_size: 0
    .sgpr_count:     0
    .sgpr_spill_count: 0
    .symbol:         _ZN7rocprim17ROCPRIM_400000_NS6detail17trampoline_kernelINS0_14default_configENS1_36segmented_radix_sort_config_selectorIslEEZNS1_25segmented_radix_sort_implIS3_Lb0EPKsPsPKlPlN2at6native12_GLOBAL__N_18offset_tEEE10hipError_tPvRmT1_PNSt15iterator_traitsISK_E10value_typeET2_T3_PNSL_ISQ_E10value_typeET4_jRbjT5_SW_jjP12ihipStream_tbEUlT_E2_NS1_11comp_targetILNS1_3genE8ELNS1_11target_archE1030ELNS1_3gpuE2ELNS1_3repE0EEENS1_30default_config_static_selectorELNS0_4arch9wavefront6targetE0EEEvSK_.kd
    .uniform_work_group_size: 1
    .uses_dynamic_stack: false
    .vgpr_count:     0
    .vgpr_spill_count: 0
    .wavefront_size: 32
    .workgroup_processor_mode: 1
  - .args:
      - .address_space:  global
        .offset:         0
        .size:           8
        .value_kind:     global_buffer
      - .address_space:  global
        .offset:         8
        .size:           8
        .value_kind:     global_buffer
      - .address_space:  global
        .offset:         16
        .size:           8
        .value_kind:     global_buffer
      - .address_space:  global
        .offset:         24
        .size:           8
        .value_kind:     global_buffer
      - .offset:         32
        .size:           4
        .value_kind:     by_value
      - .offset:         36
        .size:           4
        .value_kind:     by_value
      - .offset:         40
        .size:           4
        .value_kind:     hidden_block_count_x
      - .offset:         44
        .size:           4
        .value_kind:     hidden_block_count_y
      - .offset:         48
        .size:           4
        .value_kind:     hidden_block_count_z
      - .offset:         52
        .size:           2
        .value_kind:     hidden_group_size_x
      - .offset:         54
        .size:           2
        .value_kind:     hidden_group_size_y
      - .offset:         56
        .size:           2
        .value_kind:     hidden_group_size_z
      - .offset:         58
        .size:           2
        .value_kind:     hidden_remainder_x
      - .offset:         60
        .size:           2
        .value_kind:     hidden_remainder_y
      - .offset:         62
        .size:           2
        .value_kind:     hidden_remainder_z
      - .offset:         80
        .size:           8
        .value_kind:     hidden_global_offset_x
      - .offset:         88
        .size:           8
        .value_kind:     hidden_global_offset_y
      - .offset:         96
        .size:           8
        .value_kind:     hidden_global_offset_z
      - .offset:         104
        .size:           2
        .value_kind:     hidden_grid_dims
    .group_segment_fixed_size: 0
    .kernarg_segment_align: 8
    .kernarg_segment_size: 296
    .language:       OpenCL C
    .language_version:
      - 2
      - 0
    .max_flat_workgroup_size: 1024
    .name:           _ZN2at6native12_GLOBAL__N_123sort_postprocess_kernelIdEEvPKT_PS3_PlPK15HIP_vector_typeIiLj2EEii
    .private_segment_fixed_size: 0
    .sgpr_count:     18
    .sgpr_spill_count: 0
    .symbol:         _ZN2at6native12_GLOBAL__N_123sort_postprocess_kernelIdEEvPKT_PS3_PlPK15HIP_vector_typeIiLj2EEii.kd
    .uniform_work_group_size: 1
    .uses_dynamic_stack: false
    .vgpr_count:     15
    .vgpr_spill_count: 0
    .wavefront_size: 32
    .workgroup_processor_mode: 1
  - .args:
      - .offset:         0
        .size:           176
        .value_kind:     by_value
    .group_segment_fixed_size: 0
    .kernarg_segment_align: 8
    .kernarg_segment_size: 176
    .language:       OpenCL C
    .language_version:
      - 2
      - 0
    .max_flat_workgroup_size: 256
    .name:           _ZN7rocprim17ROCPRIM_400000_NS6detail17trampoline_kernelINS0_13select_configILj256ELj13ELNS0_17block_load_methodE3ELS4_3ELS4_3ELNS0_20block_scan_algorithmE0ELj4294967295EEENS1_25partition_config_selectorILNS1_17partition_subalgoE4EjNS0_10empty_typeEbEEZZNS1_14partition_implILS8_4ELb0ES6_15HIP_vector_typeIjLj2EENS0_17counting_iteratorIjlEEPS9_SG_NS0_5tupleIJPjSI_NS0_16reverse_iteratorISI_EEEEENSH_IJSG_SG_SG_EEES9_SI_JZNS1_25segmented_radix_sort_implINS0_14default_configELb1EPKdPdPKlPlN2at6native12_GLOBAL__N_18offset_tEEE10hipError_tPvRmT1_PNSt15iterator_traitsIS12_E10value_typeET2_T3_PNS13_IS18_E10value_typeET4_jRbjT5_S1E_jjP12ihipStream_tbEUljE_ZNSN_ISO_Lb1ESQ_SR_ST_SU_SY_EESZ_S10_S11_S12_S16_S17_S18_S1B_S1C_jS1D_jS1E_S1E_jjS1G_bEUljE0_EEESZ_S10_S11_S18_S1C_S1E_T6_T7_T9_mT8_S1G_bDpT10_ENKUlT_T0_E_clISt17integral_constantIbLb0EES1U_EEDaS1P_S1Q_EUlS1P_E_NS1_11comp_targetILNS1_3genE0ELNS1_11target_archE4294967295ELNS1_3gpuE0ELNS1_3repE0EEENS1_30default_config_static_selectorELNS0_4arch9wavefront6targetE0EEEvS12_
    .private_segment_fixed_size: 0
    .sgpr_count:     0
    .sgpr_spill_count: 0
    .symbol:         _ZN7rocprim17ROCPRIM_400000_NS6detail17trampoline_kernelINS0_13select_configILj256ELj13ELNS0_17block_load_methodE3ELS4_3ELS4_3ELNS0_20block_scan_algorithmE0ELj4294967295EEENS1_25partition_config_selectorILNS1_17partition_subalgoE4EjNS0_10empty_typeEbEEZZNS1_14partition_implILS8_4ELb0ES6_15HIP_vector_typeIjLj2EENS0_17counting_iteratorIjlEEPS9_SG_NS0_5tupleIJPjSI_NS0_16reverse_iteratorISI_EEEEENSH_IJSG_SG_SG_EEES9_SI_JZNS1_25segmented_radix_sort_implINS0_14default_configELb1EPKdPdPKlPlN2at6native12_GLOBAL__N_18offset_tEEE10hipError_tPvRmT1_PNSt15iterator_traitsIS12_E10value_typeET2_T3_PNS13_IS18_E10value_typeET4_jRbjT5_S1E_jjP12ihipStream_tbEUljE_ZNSN_ISO_Lb1ESQ_SR_ST_SU_SY_EESZ_S10_S11_S12_S16_S17_S18_S1B_S1C_jS1D_jS1E_S1E_jjS1G_bEUljE0_EEESZ_S10_S11_S18_S1C_S1E_T6_T7_T9_mT8_S1G_bDpT10_ENKUlT_T0_E_clISt17integral_constantIbLb0EES1U_EEDaS1P_S1Q_EUlS1P_E_NS1_11comp_targetILNS1_3genE0ELNS1_11target_archE4294967295ELNS1_3gpuE0ELNS1_3repE0EEENS1_30default_config_static_selectorELNS0_4arch9wavefront6targetE0EEEvS12_.kd
    .uniform_work_group_size: 1
    .uses_dynamic_stack: false
    .vgpr_count:     0
    .vgpr_spill_count: 0
    .wavefront_size: 32
    .workgroup_processor_mode: 1
  - .args:
      - .offset:         0
        .size:           176
        .value_kind:     by_value
    .group_segment_fixed_size: 0
    .kernarg_segment_align: 8
    .kernarg_segment_size: 176
    .language:       OpenCL C
    .language_version:
      - 2
      - 0
    .max_flat_workgroup_size: 256
    .name:           _ZN7rocprim17ROCPRIM_400000_NS6detail17trampoline_kernelINS0_13select_configILj256ELj13ELNS0_17block_load_methodE3ELS4_3ELS4_3ELNS0_20block_scan_algorithmE0ELj4294967295EEENS1_25partition_config_selectorILNS1_17partition_subalgoE4EjNS0_10empty_typeEbEEZZNS1_14partition_implILS8_4ELb0ES6_15HIP_vector_typeIjLj2EENS0_17counting_iteratorIjlEEPS9_SG_NS0_5tupleIJPjSI_NS0_16reverse_iteratorISI_EEEEENSH_IJSG_SG_SG_EEES9_SI_JZNS1_25segmented_radix_sort_implINS0_14default_configELb1EPKdPdPKlPlN2at6native12_GLOBAL__N_18offset_tEEE10hipError_tPvRmT1_PNSt15iterator_traitsIS12_E10value_typeET2_T3_PNS13_IS18_E10value_typeET4_jRbjT5_S1E_jjP12ihipStream_tbEUljE_ZNSN_ISO_Lb1ESQ_SR_ST_SU_SY_EESZ_S10_S11_S12_S16_S17_S18_S1B_S1C_jS1D_jS1E_S1E_jjS1G_bEUljE0_EEESZ_S10_S11_S18_S1C_S1E_T6_T7_T9_mT8_S1G_bDpT10_ENKUlT_T0_E_clISt17integral_constantIbLb0EES1U_EEDaS1P_S1Q_EUlS1P_E_NS1_11comp_targetILNS1_3genE5ELNS1_11target_archE942ELNS1_3gpuE9ELNS1_3repE0EEENS1_30default_config_static_selectorELNS0_4arch9wavefront6targetE0EEEvS12_
    .private_segment_fixed_size: 0
    .sgpr_count:     0
    .sgpr_spill_count: 0
    .symbol:         _ZN7rocprim17ROCPRIM_400000_NS6detail17trampoline_kernelINS0_13select_configILj256ELj13ELNS0_17block_load_methodE3ELS4_3ELS4_3ELNS0_20block_scan_algorithmE0ELj4294967295EEENS1_25partition_config_selectorILNS1_17partition_subalgoE4EjNS0_10empty_typeEbEEZZNS1_14partition_implILS8_4ELb0ES6_15HIP_vector_typeIjLj2EENS0_17counting_iteratorIjlEEPS9_SG_NS0_5tupleIJPjSI_NS0_16reverse_iteratorISI_EEEEENSH_IJSG_SG_SG_EEES9_SI_JZNS1_25segmented_radix_sort_implINS0_14default_configELb1EPKdPdPKlPlN2at6native12_GLOBAL__N_18offset_tEEE10hipError_tPvRmT1_PNSt15iterator_traitsIS12_E10value_typeET2_T3_PNS13_IS18_E10value_typeET4_jRbjT5_S1E_jjP12ihipStream_tbEUljE_ZNSN_ISO_Lb1ESQ_SR_ST_SU_SY_EESZ_S10_S11_S12_S16_S17_S18_S1B_S1C_jS1D_jS1E_S1E_jjS1G_bEUljE0_EEESZ_S10_S11_S18_S1C_S1E_T6_T7_T9_mT8_S1G_bDpT10_ENKUlT_T0_E_clISt17integral_constantIbLb0EES1U_EEDaS1P_S1Q_EUlS1P_E_NS1_11comp_targetILNS1_3genE5ELNS1_11target_archE942ELNS1_3gpuE9ELNS1_3repE0EEENS1_30default_config_static_selectorELNS0_4arch9wavefront6targetE0EEEvS12_.kd
    .uniform_work_group_size: 1
    .uses_dynamic_stack: false
    .vgpr_count:     0
    .vgpr_spill_count: 0
    .wavefront_size: 32
    .workgroup_processor_mode: 1
  - .args:
      - .offset:         0
        .size:           176
        .value_kind:     by_value
    .group_segment_fixed_size: 0
    .kernarg_segment_align: 8
    .kernarg_segment_size: 176
    .language:       OpenCL C
    .language_version:
      - 2
      - 0
    .max_flat_workgroup_size: 256
    .name:           _ZN7rocprim17ROCPRIM_400000_NS6detail17trampoline_kernelINS0_13select_configILj256ELj13ELNS0_17block_load_methodE3ELS4_3ELS4_3ELNS0_20block_scan_algorithmE0ELj4294967295EEENS1_25partition_config_selectorILNS1_17partition_subalgoE4EjNS0_10empty_typeEbEEZZNS1_14partition_implILS8_4ELb0ES6_15HIP_vector_typeIjLj2EENS0_17counting_iteratorIjlEEPS9_SG_NS0_5tupleIJPjSI_NS0_16reverse_iteratorISI_EEEEENSH_IJSG_SG_SG_EEES9_SI_JZNS1_25segmented_radix_sort_implINS0_14default_configELb1EPKdPdPKlPlN2at6native12_GLOBAL__N_18offset_tEEE10hipError_tPvRmT1_PNSt15iterator_traitsIS12_E10value_typeET2_T3_PNS13_IS18_E10value_typeET4_jRbjT5_S1E_jjP12ihipStream_tbEUljE_ZNSN_ISO_Lb1ESQ_SR_ST_SU_SY_EESZ_S10_S11_S12_S16_S17_S18_S1B_S1C_jS1D_jS1E_S1E_jjS1G_bEUljE0_EEESZ_S10_S11_S18_S1C_S1E_T6_T7_T9_mT8_S1G_bDpT10_ENKUlT_T0_E_clISt17integral_constantIbLb0EES1U_EEDaS1P_S1Q_EUlS1P_E_NS1_11comp_targetILNS1_3genE4ELNS1_11target_archE910ELNS1_3gpuE8ELNS1_3repE0EEENS1_30default_config_static_selectorELNS0_4arch9wavefront6targetE0EEEvS12_
    .private_segment_fixed_size: 0
    .sgpr_count:     0
    .sgpr_spill_count: 0
    .symbol:         _ZN7rocprim17ROCPRIM_400000_NS6detail17trampoline_kernelINS0_13select_configILj256ELj13ELNS0_17block_load_methodE3ELS4_3ELS4_3ELNS0_20block_scan_algorithmE0ELj4294967295EEENS1_25partition_config_selectorILNS1_17partition_subalgoE4EjNS0_10empty_typeEbEEZZNS1_14partition_implILS8_4ELb0ES6_15HIP_vector_typeIjLj2EENS0_17counting_iteratorIjlEEPS9_SG_NS0_5tupleIJPjSI_NS0_16reverse_iteratorISI_EEEEENSH_IJSG_SG_SG_EEES9_SI_JZNS1_25segmented_radix_sort_implINS0_14default_configELb1EPKdPdPKlPlN2at6native12_GLOBAL__N_18offset_tEEE10hipError_tPvRmT1_PNSt15iterator_traitsIS12_E10value_typeET2_T3_PNS13_IS18_E10value_typeET4_jRbjT5_S1E_jjP12ihipStream_tbEUljE_ZNSN_ISO_Lb1ESQ_SR_ST_SU_SY_EESZ_S10_S11_S12_S16_S17_S18_S1B_S1C_jS1D_jS1E_S1E_jjS1G_bEUljE0_EEESZ_S10_S11_S18_S1C_S1E_T6_T7_T9_mT8_S1G_bDpT10_ENKUlT_T0_E_clISt17integral_constantIbLb0EES1U_EEDaS1P_S1Q_EUlS1P_E_NS1_11comp_targetILNS1_3genE4ELNS1_11target_archE910ELNS1_3gpuE8ELNS1_3repE0EEENS1_30default_config_static_selectorELNS0_4arch9wavefront6targetE0EEEvS12_.kd
    .uniform_work_group_size: 1
    .uses_dynamic_stack: false
    .vgpr_count:     0
    .vgpr_spill_count: 0
    .wavefront_size: 32
    .workgroup_processor_mode: 1
  - .args:
      - .offset:         0
        .size:           176
        .value_kind:     by_value
    .group_segment_fixed_size: 0
    .kernarg_segment_align: 8
    .kernarg_segment_size: 176
    .language:       OpenCL C
    .language_version:
      - 2
      - 0
    .max_flat_workgroup_size: 256
    .name:           _ZN7rocprim17ROCPRIM_400000_NS6detail17trampoline_kernelINS0_13select_configILj256ELj13ELNS0_17block_load_methodE3ELS4_3ELS4_3ELNS0_20block_scan_algorithmE0ELj4294967295EEENS1_25partition_config_selectorILNS1_17partition_subalgoE4EjNS0_10empty_typeEbEEZZNS1_14partition_implILS8_4ELb0ES6_15HIP_vector_typeIjLj2EENS0_17counting_iteratorIjlEEPS9_SG_NS0_5tupleIJPjSI_NS0_16reverse_iteratorISI_EEEEENSH_IJSG_SG_SG_EEES9_SI_JZNS1_25segmented_radix_sort_implINS0_14default_configELb1EPKdPdPKlPlN2at6native12_GLOBAL__N_18offset_tEEE10hipError_tPvRmT1_PNSt15iterator_traitsIS12_E10value_typeET2_T3_PNS13_IS18_E10value_typeET4_jRbjT5_S1E_jjP12ihipStream_tbEUljE_ZNSN_ISO_Lb1ESQ_SR_ST_SU_SY_EESZ_S10_S11_S12_S16_S17_S18_S1B_S1C_jS1D_jS1E_S1E_jjS1G_bEUljE0_EEESZ_S10_S11_S18_S1C_S1E_T6_T7_T9_mT8_S1G_bDpT10_ENKUlT_T0_E_clISt17integral_constantIbLb0EES1U_EEDaS1P_S1Q_EUlS1P_E_NS1_11comp_targetILNS1_3genE3ELNS1_11target_archE908ELNS1_3gpuE7ELNS1_3repE0EEENS1_30default_config_static_selectorELNS0_4arch9wavefront6targetE0EEEvS12_
    .private_segment_fixed_size: 0
    .sgpr_count:     0
    .sgpr_spill_count: 0
    .symbol:         _ZN7rocprim17ROCPRIM_400000_NS6detail17trampoline_kernelINS0_13select_configILj256ELj13ELNS0_17block_load_methodE3ELS4_3ELS4_3ELNS0_20block_scan_algorithmE0ELj4294967295EEENS1_25partition_config_selectorILNS1_17partition_subalgoE4EjNS0_10empty_typeEbEEZZNS1_14partition_implILS8_4ELb0ES6_15HIP_vector_typeIjLj2EENS0_17counting_iteratorIjlEEPS9_SG_NS0_5tupleIJPjSI_NS0_16reverse_iteratorISI_EEEEENSH_IJSG_SG_SG_EEES9_SI_JZNS1_25segmented_radix_sort_implINS0_14default_configELb1EPKdPdPKlPlN2at6native12_GLOBAL__N_18offset_tEEE10hipError_tPvRmT1_PNSt15iterator_traitsIS12_E10value_typeET2_T3_PNS13_IS18_E10value_typeET4_jRbjT5_S1E_jjP12ihipStream_tbEUljE_ZNSN_ISO_Lb1ESQ_SR_ST_SU_SY_EESZ_S10_S11_S12_S16_S17_S18_S1B_S1C_jS1D_jS1E_S1E_jjS1G_bEUljE0_EEESZ_S10_S11_S18_S1C_S1E_T6_T7_T9_mT8_S1G_bDpT10_ENKUlT_T0_E_clISt17integral_constantIbLb0EES1U_EEDaS1P_S1Q_EUlS1P_E_NS1_11comp_targetILNS1_3genE3ELNS1_11target_archE908ELNS1_3gpuE7ELNS1_3repE0EEENS1_30default_config_static_selectorELNS0_4arch9wavefront6targetE0EEEvS12_.kd
    .uniform_work_group_size: 1
    .uses_dynamic_stack: false
    .vgpr_count:     0
    .vgpr_spill_count: 0
    .wavefront_size: 32
    .workgroup_processor_mode: 1
  - .args:
      - .offset:         0
        .size:           176
        .value_kind:     by_value
    .group_segment_fixed_size: 0
    .kernarg_segment_align: 8
    .kernarg_segment_size: 176
    .language:       OpenCL C
    .language_version:
      - 2
      - 0
    .max_flat_workgroup_size: 256
    .name:           _ZN7rocprim17ROCPRIM_400000_NS6detail17trampoline_kernelINS0_13select_configILj256ELj13ELNS0_17block_load_methodE3ELS4_3ELS4_3ELNS0_20block_scan_algorithmE0ELj4294967295EEENS1_25partition_config_selectorILNS1_17partition_subalgoE4EjNS0_10empty_typeEbEEZZNS1_14partition_implILS8_4ELb0ES6_15HIP_vector_typeIjLj2EENS0_17counting_iteratorIjlEEPS9_SG_NS0_5tupleIJPjSI_NS0_16reverse_iteratorISI_EEEEENSH_IJSG_SG_SG_EEES9_SI_JZNS1_25segmented_radix_sort_implINS0_14default_configELb1EPKdPdPKlPlN2at6native12_GLOBAL__N_18offset_tEEE10hipError_tPvRmT1_PNSt15iterator_traitsIS12_E10value_typeET2_T3_PNS13_IS18_E10value_typeET4_jRbjT5_S1E_jjP12ihipStream_tbEUljE_ZNSN_ISO_Lb1ESQ_SR_ST_SU_SY_EESZ_S10_S11_S12_S16_S17_S18_S1B_S1C_jS1D_jS1E_S1E_jjS1G_bEUljE0_EEESZ_S10_S11_S18_S1C_S1E_T6_T7_T9_mT8_S1G_bDpT10_ENKUlT_T0_E_clISt17integral_constantIbLb0EES1U_EEDaS1P_S1Q_EUlS1P_E_NS1_11comp_targetILNS1_3genE2ELNS1_11target_archE906ELNS1_3gpuE6ELNS1_3repE0EEENS1_30default_config_static_selectorELNS0_4arch9wavefront6targetE0EEEvS12_
    .private_segment_fixed_size: 0
    .sgpr_count:     0
    .sgpr_spill_count: 0
    .symbol:         _ZN7rocprim17ROCPRIM_400000_NS6detail17trampoline_kernelINS0_13select_configILj256ELj13ELNS0_17block_load_methodE3ELS4_3ELS4_3ELNS0_20block_scan_algorithmE0ELj4294967295EEENS1_25partition_config_selectorILNS1_17partition_subalgoE4EjNS0_10empty_typeEbEEZZNS1_14partition_implILS8_4ELb0ES6_15HIP_vector_typeIjLj2EENS0_17counting_iteratorIjlEEPS9_SG_NS0_5tupleIJPjSI_NS0_16reverse_iteratorISI_EEEEENSH_IJSG_SG_SG_EEES9_SI_JZNS1_25segmented_radix_sort_implINS0_14default_configELb1EPKdPdPKlPlN2at6native12_GLOBAL__N_18offset_tEEE10hipError_tPvRmT1_PNSt15iterator_traitsIS12_E10value_typeET2_T3_PNS13_IS18_E10value_typeET4_jRbjT5_S1E_jjP12ihipStream_tbEUljE_ZNSN_ISO_Lb1ESQ_SR_ST_SU_SY_EESZ_S10_S11_S12_S16_S17_S18_S1B_S1C_jS1D_jS1E_S1E_jjS1G_bEUljE0_EEESZ_S10_S11_S18_S1C_S1E_T6_T7_T9_mT8_S1G_bDpT10_ENKUlT_T0_E_clISt17integral_constantIbLb0EES1U_EEDaS1P_S1Q_EUlS1P_E_NS1_11comp_targetILNS1_3genE2ELNS1_11target_archE906ELNS1_3gpuE6ELNS1_3repE0EEENS1_30default_config_static_selectorELNS0_4arch9wavefront6targetE0EEEvS12_.kd
    .uniform_work_group_size: 1
    .uses_dynamic_stack: false
    .vgpr_count:     0
    .vgpr_spill_count: 0
    .wavefront_size: 32
    .workgroup_processor_mode: 1
  - .args:
      - .offset:         0
        .size:           176
        .value_kind:     by_value
    .group_segment_fixed_size: 0
    .kernarg_segment_align: 8
    .kernarg_segment_size: 176
    .language:       OpenCL C
    .language_version:
      - 2
      - 0
    .max_flat_workgroup_size: 256
    .name:           _ZN7rocprim17ROCPRIM_400000_NS6detail17trampoline_kernelINS0_13select_configILj256ELj13ELNS0_17block_load_methodE3ELS4_3ELS4_3ELNS0_20block_scan_algorithmE0ELj4294967295EEENS1_25partition_config_selectorILNS1_17partition_subalgoE4EjNS0_10empty_typeEbEEZZNS1_14partition_implILS8_4ELb0ES6_15HIP_vector_typeIjLj2EENS0_17counting_iteratorIjlEEPS9_SG_NS0_5tupleIJPjSI_NS0_16reverse_iteratorISI_EEEEENSH_IJSG_SG_SG_EEES9_SI_JZNS1_25segmented_radix_sort_implINS0_14default_configELb1EPKdPdPKlPlN2at6native12_GLOBAL__N_18offset_tEEE10hipError_tPvRmT1_PNSt15iterator_traitsIS12_E10value_typeET2_T3_PNS13_IS18_E10value_typeET4_jRbjT5_S1E_jjP12ihipStream_tbEUljE_ZNSN_ISO_Lb1ESQ_SR_ST_SU_SY_EESZ_S10_S11_S12_S16_S17_S18_S1B_S1C_jS1D_jS1E_S1E_jjS1G_bEUljE0_EEESZ_S10_S11_S18_S1C_S1E_T6_T7_T9_mT8_S1G_bDpT10_ENKUlT_T0_E_clISt17integral_constantIbLb0EES1U_EEDaS1P_S1Q_EUlS1P_E_NS1_11comp_targetILNS1_3genE10ELNS1_11target_archE1200ELNS1_3gpuE4ELNS1_3repE0EEENS1_30default_config_static_selectorELNS0_4arch9wavefront6targetE0EEEvS12_
    .private_segment_fixed_size: 0
    .sgpr_count:     0
    .sgpr_spill_count: 0
    .symbol:         _ZN7rocprim17ROCPRIM_400000_NS6detail17trampoline_kernelINS0_13select_configILj256ELj13ELNS0_17block_load_methodE3ELS4_3ELS4_3ELNS0_20block_scan_algorithmE0ELj4294967295EEENS1_25partition_config_selectorILNS1_17partition_subalgoE4EjNS0_10empty_typeEbEEZZNS1_14partition_implILS8_4ELb0ES6_15HIP_vector_typeIjLj2EENS0_17counting_iteratorIjlEEPS9_SG_NS0_5tupleIJPjSI_NS0_16reverse_iteratorISI_EEEEENSH_IJSG_SG_SG_EEES9_SI_JZNS1_25segmented_radix_sort_implINS0_14default_configELb1EPKdPdPKlPlN2at6native12_GLOBAL__N_18offset_tEEE10hipError_tPvRmT1_PNSt15iterator_traitsIS12_E10value_typeET2_T3_PNS13_IS18_E10value_typeET4_jRbjT5_S1E_jjP12ihipStream_tbEUljE_ZNSN_ISO_Lb1ESQ_SR_ST_SU_SY_EESZ_S10_S11_S12_S16_S17_S18_S1B_S1C_jS1D_jS1E_S1E_jjS1G_bEUljE0_EEESZ_S10_S11_S18_S1C_S1E_T6_T7_T9_mT8_S1G_bDpT10_ENKUlT_T0_E_clISt17integral_constantIbLb0EES1U_EEDaS1P_S1Q_EUlS1P_E_NS1_11comp_targetILNS1_3genE10ELNS1_11target_archE1200ELNS1_3gpuE4ELNS1_3repE0EEENS1_30default_config_static_selectorELNS0_4arch9wavefront6targetE0EEEvS12_.kd
    .uniform_work_group_size: 1
    .uses_dynamic_stack: false
    .vgpr_count:     0
    .vgpr_spill_count: 0
    .wavefront_size: 32
    .workgroup_processor_mode: 1
  - .args:
      - .offset:         0
        .size:           176
        .value_kind:     by_value
    .group_segment_fixed_size: 13340
    .kernarg_segment_align: 8
    .kernarg_segment_size: 176
    .language:       OpenCL C
    .language_version:
      - 2
      - 0
    .max_flat_workgroup_size: 256
    .name:           _ZN7rocprim17ROCPRIM_400000_NS6detail17trampoline_kernelINS0_13select_configILj256ELj13ELNS0_17block_load_methodE3ELS4_3ELS4_3ELNS0_20block_scan_algorithmE0ELj4294967295EEENS1_25partition_config_selectorILNS1_17partition_subalgoE4EjNS0_10empty_typeEbEEZZNS1_14partition_implILS8_4ELb0ES6_15HIP_vector_typeIjLj2EENS0_17counting_iteratorIjlEEPS9_SG_NS0_5tupleIJPjSI_NS0_16reverse_iteratorISI_EEEEENSH_IJSG_SG_SG_EEES9_SI_JZNS1_25segmented_radix_sort_implINS0_14default_configELb1EPKdPdPKlPlN2at6native12_GLOBAL__N_18offset_tEEE10hipError_tPvRmT1_PNSt15iterator_traitsIS12_E10value_typeET2_T3_PNS13_IS18_E10value_typeET4_jRbjT5_S1E_jjP12ihipStream_tbEUljE_ZNSN_ISO_Lb1ESQ_SR_ST_SU_SY_EESZ_S10_S11_S12_S16_S17_S18_S1B_S1C_jS1D_jS1E_S1E_jjS1G_bEUljE0_EEESZ_S10_S11_S18_S1C_S1E_T6_T7_T9_mT8_S1G_bDpT10_ENKUlT_T0_E_clISt17integral_constantIbLb0EES1U_EEDaS1P_S1Q_EUlS1P_E_NS1_11comp_targetILNS1_3genE9ELNS1_11target_archE1100ELNS1_3gpuE3ELNS1_3repE0EEENS1_30default_config_static_selectorELNS0_4arch9wavefront6targetE0EEEvS12_
    .private_segment_fixed_size: 0
    .sgpr_count:     61
    .sgpr_spill_count: 0
    .symbol:         _ZN7rocprim17ROCPRIM_400000_NS6detail17trampoline_kernelINS0_13select_configILj256ELj13ELNS0_17block_load_methodE3ELS4_3ELS4_3ELNS0_20block_scan_algorithmE0ELj4294967295EEENS1_25partition_config_selectorILNS1_17partition_subalgoE4EjNS0_10empty_typeEbEEZZNS1_14partition_implILS8_4ELb0ES6_15HIP_vector_typeIjLj2EENS0_17counting_iteratorIjlEEPS9_SG_NS0_5tupleIJPjSI_NS0_16reverse_iteratorISI_EEEEENSH_IJSG_SG_SG_EEES9_SI_JZNS1_25segmented_radix_sort_implINS0_14default_configELb1EPKdPdPKlPlN2at6native12_GLOBAL__N_18offset_tEEE10hipError_tPvRmT1_PNSt15iterator_traitsIS12_E10value_typeET2_T3_PNS13_IS18_E10value_typeET4_jRbjT5_S1E_jjP12ihipStream_tbEUljE_ZNSN_ISO_Lb1ESQ_SR_ST_SU_SY_EESZ_S10_S11_S12_S16_S17_S18_S1B_S1C_jS1D_jS1E_S1E_jjS1G_bEUljE0_EEESZ_S10_S11_S18_S1C_S1E_T6_T7_T9_mT8_S1G_bDpT10_ENKUlT_T0_E_clISt17integral_constantIbLb0EES1U_EEDaS1P_S1Q_EUlS1P_E_NS1_11comp_targetILNS1_3genE9ELNS1_11target_archE1100ELNS1_3gpuE3ELNS1_3repE0EEENS1_30default_config_static_selectorELNS0_4arch9wavefront6targetE0EEEvS12_.kd
    .uniform_work_group_size: 1
    .uses_dynamic_stack: false
    .vgpr_count:     98
    .vgpr_spill_count: 0
    .wavefront_size: 32
    .workgroup_processor_mode: 1
  - .args:
      - .offset:         0
        .size:           176
        .value_kind:     by_value
    .group_segment_fixed_size: 0
    .kernarg_segment_align: 8
    .kernarg_segment_size: 176
    .language:       OpenCL C
    .language_version:
      - 2
      - 0
    .max_flat_workgroup_size: 256
    .name:           _ZN7rocprim17ROCPRIM_400000_NS6detail17trampoline_kernelINS0_13select_configILj256ELj13ELNS0_17block_load_methodE3ELS4_3ELS4_3ELNS0_20block_scan_algorithmE0ELj4294967295EEENS1_25partition_config_selectorILNS1_17partition_subalgoE4EjNS0_10empty_typeEbEEZZNS1_14partition_implILS8_4ELb0ES6_15HIP_vector_typeIjLj2EENS0_17counting_iteratorIjlEEPS9_SG_NS0_5tupleIJPjSI_NS0_16reverse_iteratorISI_EEEEENSH_IJSG_SG_SG_EEES9_SI_JZNS1_25segmented_radix_sort_implINS0_14default_configELb1EPKdPdPKlPlN2at6native12_GLOBAL__N_18offset_tEEE10hipError_tPvRmT1_PNSt15iterator_traitsIS12_E10value_typeET2_T3_PNS13_IS18_E10value_typeET4_jRbjT5_S1E_jjP12ihipStream_tbEUljE_ZNSN_ISO_Lb1ESQ_SR_ST_SU_SY_EESZ_S10_S11_S12_S16_S17_S18_S1B_S1C_jS1D_jS1E_S1E_jjS1G_bEUljE0_EEESZ_S10_S11_S18_S1C_S1E_T6_T7_T9_mT8_S1G_bDpT10_ENKUlT_T0_E_clISt17integral_constantIbLb0EES1U_EEDaS1P_S1Q_EUlS1P_E_NS1_11comp_targetILNS1_3genE8ELNS1_11target_archE1030ELNS1_3gpuE2ELNS1_3repE0EEENS1_30default_config_static_selectorELNS0_4arch9wavefront6targetE0EEEvS12_
    .private_segment_fixed_size: 0
    .sgpr_count:     0
    .sgpr_spill_count: 0
    .symbol:         _ZN7rocprim17ROCPRIM_400000_NS6detail17trampoline_kernelINS0_13select_configILj256ELj13ELNS0_17block_load_methodE3ELS4_3ELS4_3ELNS0_20block_scan_algorithmE0ELj4294967295EEENS1_25partition_config_selectorILNS1_17partition_subalgoE4EjNS0_10empty_typeEbEEZZNS1_14partition_implILS8_4ELb0ES6_15HIP_vector_typeIjLj2EENS0_17counting_iteratorIjlEEPS9_SG_NS0_5tupleIJPjSI_NS0_16reverse_iteratorISI_EEEEENSH_IJSG_SG_SG_EEES9_SI_JZNS1_25segmented_radix_sort_implINS0_14default_configELb1EPKdPdPKlPlN2at6native12_GLOBAL__N_18offset_tEEE10hipError_tPvRmT1_PNSt15iterator_traitsIS12_E10value_typeET2_T3_PNS13_IS18_E10value_typeET4_jRbjT5_S1E_jjP12ihipStream_tbEUljE_ZNSN_ISO_Lb1ESQ_SR_ST_SU_SY_EESZ_S10_S11_S12_S16_S17_S18_S1B_S1C_jS1D_jS1E_S1E_jjS1G_bEUljE0_EEESZ_S10_S11_S18_S1C_S1E_T6_T7_T9_mT8_S1G_bDpT10_ENKUlT_T0_E_clISt17integral_constantIbLb0EES1U_EEDaS1P_S1Q_EUlS1P_E_NS1_11comp_targetILNS1_3genE8ELNS1_11target_archE1030ELNS1_3gpuE2ELNS1_3repE0EEENS1_30default_config_static_selectorELNS0_4arch9wavefront6targetE0EEEvS12_.kd
    .uniform_work_group_size: 1
    .uses_dynamic_stack: false
    .vgpr_count:     0
    .vgpr_spill_count: 0
    .wavefront_size: 32
    .workgroup_processor_mode: 1
  - .args:
      - .offset:         0
        .size:           184
        .value_kind:     by_value
    .group_segment_fixed_size: 0
    .kernarg_segment_align: 8
    .kernarg_segment_size: 184
    .language:       OpenCL C
    .language_version:
      - 2
      - 0
    .max_flat_workgroup_size: 256
    .name:           _ZN7rocprim17ROCPRIM_400000_NS6detail17trampoline_kernelINS0_13select_configILj256ELj13ELNS0_17block_load_methodE3ELS4_3ELS4_3ELNS0_20block_scan_algorithmE0ELj4294967295EEENS1_25partition_config_selectorILNS1_17partition_subalgoE4EjNS0_10empty_typeEbEEZZNS1_14partition_implILS8_4ELb0ES6_15HIP_vector_typeIjLj2EENS0_17counting_iteratorIjlEEPS9_SG_NS0_5tupleIJPjSI_NS0_16reverse_iteratorISI_EEEEENSH_IJSG_SG_SG_EEES9_SI_JZNS1_25segmented_radix_sort_implINS0_14default_configELb1EPKdPdPKlPlN2at6native12_GLOBAL__N_18offset_tEEE10hipError_tPvRmT1_PNSt15iterator_traitsIS12_E10value_typeET2_T3_PNS13_IS18_E10value_typeET4_jRbjT5_S1E_jjP12ihipStream_tbEUljE_ZNSN_ISO_Lb1ESQ_SR_ST_SU_SY_EESZ_S10_S11_S12_S16_S17_S18_S1B_S1C_jS1D_jS1E_S1E_jjS1G_bEUljE0_EEESZ_S10_S11_S18_S1C_S1E_T6_T7_T9_mT8_S1G_bDpT10_ENKUlT_T0_E_clISt17integral_constantIbLb1EES1U_EEDaS1P_S1Q_EUlS1P_E_NS1_11comp_targetILNS1_3genE0ELNS1_11target_archE4294967295ELNS1_3gpuE0ELNS1_3repE0EEENS1_30default_config_static_selectorELNS0_4arch9wavefront6targetE0EEEvS12_
    .private_segment_fixed_size: 0
    .sgpr_count:     0
    .sgpr_spill_count: 0
    .symbol:         _ZN7rocprim17ROCPRIM_400000_NS6detail17trampoline_kernelINS0_13select_configILj256ELj13ELNS0_17block_load_methodE3ELS4_3ELS4_3ELNS0_20block_scan_algorithmE0ELj4294967295EEENS1_25partition_config_selectorILNS1_17partition_subalgoE4EjNS0_10empty_typeEbEEZZNS1_14partition_implILS8_4ELb0ES6_15HIP_vector_typeIjLj2EENS0_17counting_iteratorIjlEEPS9_SG_NS0_5tupleIJPjSI_NS0_16reverse_iteratorISI_EEEEENSH_IJSG_SG_SG_EEES9_SI_JZNS1_25segmented_radix_sort_implINS0_14default_configELb1EPKdPdPKlPlN2at6native12_GLOBAL__N_18offset_tEEE10hipError_tPvRmT1_PNSt15iterator_traitsIS12_E10value_typeET2_T3_PNS13_IS18_E10value_typeET4_jRbjT5_S1E_jjP12ihipStream_tbEUljE_ZNSN_ISO_Lb1ESQ_SR_ST_SU_SY_EESZ_S10_S11_S12_S16_S17_S18_S1B_S1C_jS1D_jS1E_S1E_jjS1G_bEUljE0_EEESZ_S10_S11_S18_S1C_S1E_T6_T7_T9_mT8_S1G_bDpT10_ENKUlT_T0_E_clISt17integral_constantIbLb1EES1U_EEDaS1P_S1Q_EUlS1P_E_NS1_11comp_targetILNS1_3genE0ELNS1_11target_archE4294967295ELNS1_3gpuE0ELNS1_3repE0EEENS1_30default_config_static_selectorELNS0_4arch9wavefront6targetE0EEEvS12_.kd
    .uniform_work_group_size: 1
    .uses_dynamic_stack: false
    .vgpr_count:     0
    .vgpr_spill_count: 0
    .wavefront_size: 32
    .workgroup_processor_mode: 1
  - .args:
      - .offset:         0
        .size:           184
        .value_kind:     by_value
    .group_segment_fixed_size: 0
    .kernarg_segment_align: 8
    .kernarg_segment_size: 184
    .language:       OpenCL C
    .language_version:
      - 2
      - 0
    .max_flat_workgroup_size: 256
    .name:           _ZN7rocprim17ROCPRIM_400000_NS6detail17trampoline_kernelINS0_13select_configILj256ELj13ELNS0_17block_load_methodE3ELS4_3ELS4_3ELNS0_20block_scan_algorithmE0ELj4294967295EEENS1_25partition_config_selectorILNS1_17partition_subalgoE4EjNS0_10empty_typeEbEEZZNS1_14partition_implILS8_4ELb0ES6_15HIP_vector_typeIjLj2EENS0_17counting_iteratorIjlEEPS9_SG_NS0_5tupleIJPjSI_NS0_16reverse_iteratorISI_EEEEENSH_IJSG_SG_SG_EEES9_SI_JZNS1_25segmented_radix_sort_implINS0_14default_configELb1EPKdPdPKlPlN2at6native12_GLOBAL__N_18offset_tEEE10hipError_tPvRmT1_PNSt15iterator_traitsIS12_E10value_typeET2_T3_PNS13_IS18_E10value_typeET4_jRbjT5_S1E_jjP12ihipStream_tbEUljE_ZNSN_ISO_Lb1ESQ_SR_ST_SU_SY_EESZ_S10_S11_S12_S16_S17_S18_S1B_S1C_jS1D_jS1E_S1E_jjS1G_bEUljE0_EEESZ_S10_S11_S18_S1C_S1E_T6_T7_T9_mT8_S1G_bDpT10_ENKUlT_T0_E_clISt17integral_constantIbLb1EES1U_EEDaS1P_S1Q_EUlS1P_E_NS1_11comp_targetILNS1_3genE5ELNS1_11target_archE942ELNS1_3gpuE9ELNS1_3repE0EEENS1_30default_config_static_selectorELNS0_4arch9wavefront6targetE0EEEvS12_
    .private_segment_fixed_size: 0
    .sgpr_count:     0
    .sgpr_spill_count: 0
    .symbol:         _ZN7rocprim17ROCPRIM_400000_NS6detail17trampoline_kernelINS0_13select_configILj256ELj13ELNS0_17block_load_methodE3ELS4_3ELS4_3ELNS0_20block_scan_algorithmE0ELj4294967295EEENS1_25partition_config_selectorILNS1_17partition_subalgoE4EjNS0_10empty_typeEbEEZZNS1_14partition_implILS8_4ELb0ES6_15HIP_vector_typeIjLj2EENS0_17counting_iteratorIjlEEPS9_SG_NS0_5tupleIJPjSI_NS0_16reverse_iteratorISI_EEEEENSH_IJSG_SG_SG_EEES9_SI_JZNS1_25segmented_radix_sort_implINS0_14default_configELb1EPKdPdPKlPlN2at6native12_GLOBAL__N_18offset_tEEE10hipError_tPvRmT1_PNSt15iterator_traitsIS12_E10value_typeET2_T3_PNS13_IS18_E10value_typeET4_jRbjT5_S1E_jjP12ihipStream_tbEUljE_ZNSN_ISO_Lb1ESQ_SR_ST_SU_SY_EESZ_S10_S11_S12_S16_S17_S18_S1B_S1C_jS1D_jS1E_S1E_jjS1G_bEUljE0_EEESZ_S10_S11_S18_S1C_S1E_T6_T7_T9_mT8_S1G_bDpT10_ENKUlT_T0_E_clISt17integral_constantIbLb1EES1U_EEDaS1P_S1Q_EUlS1P_E_NS1_11comp_targetILNS1_3genE5ELNS1_11target_archE942ELNS1_3gpuE9ELNS1_3repE0EEENS1_30default_config_static_selectorELNS0_4arch9wavefront6targetE0EEEvS12_.kd
    .uniform_work_group_size: 1
    .uses_dynamic_stack: false
    .vgpr_count:     0
    .vgpr_spill_count: 0
    .wavefront_size: 32
    .workgroup_processor_mode: 1
  - .args:
      - .offset:         0
        .size:           184
        .value_kind:     by_value
    .group_segment_fixed_size: 0
    .kernarg_segment_align: 8
    .kernarg_segment_size: 184
    .language:       OpenCL C
    .language_version:
      - 2
      - 0
    .max_flat_workgroup_size: 256
    .name:           _ZN7rocprim17ROCPRIM_400000_NS6detail17trampoline_kernelINS0_13select_configILj256ELj13ELNS0_17block_load_methodE3ELS4_3ELS4_3ELNS0_20block_scan_algorithmE0ELj4294967295EEENS1_25partition_config_selectorILNS1_17partition_subalgoE4EjNS0_10empty_typeEbEEZZNS1_14partition_implILS8_4ELb0ES6_15HIP_vector_typeIjLj2EENS0_17counting_iteratorIjlEEPS9_SG_NS0_5tupleIJPjSI_NS0_16reverse_iteratorISI_EEEEENSH_IJSG_SG_SG_EEES9_SI_JZNS1_25segmented_radix_sort_implINS0_14default_configELb1EPKdPdPKlPlN2at6native12_GLOBAL__N_18offset_tEEE10hipError_tPvRmT1_PNSt15iterator_traitsIS12_E10value_typeET2_T3_PNS13_IS18_E10value_typeET4_jRbjT5_S1E_jjP12ihipStream_tbEUljE_ZNSN_ISO_Lb1ESQ_SR_ST_SU_SY_EESZ_S10_S11_S12_S16_S17_S18_S1B_S1C_jS1D_jS1E_S1E_jjS1G_bEUljE0_EEESZ_S10_S11_S18_S1C_S1E_T6_T7_T9_mT8_S1G_bDpT10_ENKUlT_T0_E_clISt17integral_constantIbLb1EES1U_EEDaS1P_S1Q_EUlS1P_E_NS1_11comp_targetILNS1_3genE4ELNS1_11target_archE910ELNS1_3gpuE8ELNS1_3repE0EEENS1_30default_config_static_selectorELNS0_4arch9wavefront6targetE0EEEvS12_
    .private_segment_fixed_size: 0
    .sgpr_count:     0
    .sgpr_spill_count: 0
    .symbol:         _ZN7rocprim17ROCPRIM_400000_NS6detail17trampoline_kernelINS0_13select_configILj256ELj13ELNS0_17block_load_methodE3ELS4_3ELS4_3ELNS0_20block_scan_algorithmE0ELj4294967295EEENS1_25partition_config_selectorILNS1_17partition_subalgoE4EjNS0_10empty_typeEbEEZZNS1_14partition_implILS8_4ELb0ES6_15HIP_vector_typeIjLj2EENS0_17counting_iteratorIjlEEPS9_SG_NS0_5tupleIJPjSI_NS0_16reverse_iteratorISI_EEEEENSH_IJSG_SG_SG_EEES9_SI_JZNS1_25segmented_radix_sort_implINS0_14default_configELb1EPKdPdPKlPlN2at6native12_GLOBAL__N_18offset_tEEE10hipError_tPvRmT1_PNSt15iterator_traitsIS12_E10value_typeET2_T3_PNS13_IS18_E10value_typeET4_jRbjT5_S1E_jjP12ihipStream_tbEUljE_ZNSN_ISO_Lb1ESQ_SR_ST_SU_SY_EESZ_S10_S11_S12_S16_S17_S18_S1B_S1C_jS1D_jS1E_S1E_jjS1G_bEUljE0_EEESZ_S10_S11_S18_S1C_S1E_T6_T7_T9_mT8_S1G_bDpT10_ENKUlT_T0_E_clISt17integral_constantIbLb1EES1U_EEDaS1P_S1Q_EUlS1P_E_NS1_11comp_targetILNS1_3genE4ELNS1_11target_archE910ELNS1_3gpuE8ELNS1_3repE0EEENS1_30default_config_static_selectorELNS0_4arch9wavefront6targetE0EEEvS12_.kd
    .uniform_work_group_size: 1
    .uses_dynamic_stack: false
    .vgpr_count:     0
    .vgpr_spill_count: 0
    .wavefront_size: 32
    .workgroup_processor_mode: 1
  - .args:
      - .offset:         0
        .size:           184
        .value_kind:     by_value
    .group_segment_fixed_size: 0
    .kernarg_segment_align: 8
    .kernarg_segment_size: 184
    .language:       OpenCL C
    .language_version:
      - 2
      - 0
    .max_flat_workgroup_size: 256
    .name:           _ZN7rocprim17ROCPRIM_400000_NS6detail17trampoline_kernelINS0_13select_configILj256ELj13ELNS0_17block_load_methodE3ELS4_3ELS4_3ELNS0_20block_scan_algorithmE0ELj4294967295EEENS1_25partition_config_selectorILNS1_17partition_subalgoE4EjNS0_10empty_typeEbEEZZNS1_14partition_implILS8_4ELb0ES6_15HIP_vector_typeIjLj2EENS0_17counting_iteratorIjlEEPS9_SG_NS0_5tupleIJPjSI_NS0_16reverse_iteratorISI_EEEEENSH_IJSG_SG_SG_EEES9_SI_JZNS1_25segmented_radix_sort_implINS0_14default_configELb1EPKdPdPKlPlN2at6native12_GLOBAL__N_18offset_tEEE10hipError_tPvRmT1_PNSt15iterator_traitsIS12_E10value_typeET2_T3_PNS13_IS18_E10value_typeET4_jRbjT5_S1E_jjP12ihipStream_tbEUljE_ZNSN_ISO_Lb1ESQ_SR_ST_SU_SY_EESZ_S10_S11_S12_S16_S17_S18_S1B_S1C_jS1D_jS1E_S1E_jjS1G_bEUljE0_EEESZ_S10_S11_S18_S1C_S1E_T6_T7_T9_mT8_S1G_bDpT10_ENKUlT_T0_E_clISt17integral_constantIbLb1EES1U_EEDaS1P_S1Q_EUlS1P_E_NS1_11comp_targetILNS1_3genE3ELNS1_11target_archE908ELNS1_3gpuE7ELNS1_3repE0EEENS1_30default_config_static_selectorELNS0_4arch9wavefront6targetE0EEEvS12_
    .private_segment_fixed_size: 0
    .sgpr_count:     0
    .sgpr_spill_count: 0
    .symbol:         _ZN7rocprim17ROCPRIM_400000_NS6detail17trampoline_kernelINS0_13select_configILj256ELj13ELNS0_17block_load_methodE3ELS4_3ELS4_3ELNS0_20block_scan_algorithmE0ELj4294967295EEENS1_25partition_config_selectorILNS1_17partition_subalgoE4EjNS0_10empty_typeEbEEZZNS1_14partition_implILS8_4ELb0ES6_15HIP_vector_typeIjLj2EENS0_17counting_iteratorIjlEEPS9_SG_NS0_5tupleIJPjSI_NS0_16reverse_iteratorISI_EEEEENSH_IJSG_SG_SG_EEES9_SI_JZNS1_25segmented_radix_sort_implINS0_14default_configELb1EPKdPdPKlPlN2at6native12_GLOBAL__N_18offset_tEEE10hipError_tPvRmT1_PNSt15iterator_traitsIS12_E10value_typeET2_T3_PNS13_IS18_E10value_typeET4_jRbjT5_S1E_jjP12ihipStream_tbEUljE_ZNSN_ISO_Lb1ESQ_SR_ST_SU_SY_EESZ_S10_S11_S12_S16_S17_S18_S1B_S1C_jS1D_jS1E_S1E_jjS1G_bEUljE0_EEESZ_S10_S11_S18_S1C_S1E_T6_T7_T9_mT8_S1G_bDpT10_ENKUlT_T0_E_clISt17integral_constantIbLb1EES1U_EEDaS1P_S1Q_EUlS1P_E_NS1_11comp_targetILNS1_3genE3ELNS1_11target_archE908ELNS1_3gpuE7ELNS1_3repE0EEENS1_30default_config_static_selectorELNS0_4arch9wavefront6targetE0EEEvS12_.kd
    .uniform_work_group_size: 1
    .uses_dynamic_stack: false
    .vgpr_count:     0
    .vgpr_spill_count: 0
    .wavefront_size: 32
    .workgroup_processor_mode: 1
  - .args:
      - .offset:         0
        .size:           184
        .value_kind:     by_value
    .group_segment_fixed_size: 0
    .kernarg_segment_align: 8
    .kernarg_segment_size: 184
    .language:       OpenCL C
    .language_version:
      - 2
      - 0
    .max_flat_workgroup_size: 256
    .name:           _ZN7rocprim17ROCPRIM_400000_NS6detail17trampoline_kernelINS0_13select_configILj256ELj13ELNS0_17block_load_methodE3ELS4_3ELS4_3ELNS0_20block_scan_algorithmE0ELj4294967295EEENS1_25partition_config_selectorILNS1_17partition_subalgoE4EjNS0_10empty_typeEbEEZZNS1_14partition_implILS8_4ELb0ES6_15HIP_vector_typeIjLj2EENS0_17counting_iteratorIjlEEPS9_SG_NS0_5tupleIJPjSI_NS0_16reverse_iteratorISI_EEEEENSH_IJSG_SG_SG_EEES9_SI_JZNS1_25segmented_radix_sort_implINS0_14default_configELb1EPKdPdPKlPlN2at6native12_GLOBAL__N_18offset_tEEE10hipError_tPvRmT1_PNSt15iterator_traitsIS12_E10value_typeET2_T3_PNS13_IS18_E10value_typeET4_jRbjT5_S1E_jjP12ihipStream_tbEUljE_ZNSN_ISO_Lb1ESQ_SR_ST_SU_SY_EESZ_S10_S11_S12_S16_S17_S18_S1B_S1C_jS1D_jS1E_S1E_jjS1G_bEUljE0_EEESZ_S10_S11_S18_S1C_S1E_T6_T7_T9_mT8_S1G_bDpT10_ENKUlT_T0_E_clISt17integral_constantIbLb1EES1U_EEDaS1P_S1Q_EUlS1P_E_NS1_11comp_targetILNS1_3genE2ELNS1_11target_archE906ELNS1_3gpuE6ELNS1_3repE0EEENS1_30default_config_static_selectorELNS0_4arch9wavefront6targetE0EEEvS12_
    .private_segment_fixed_size: 0
    .sgpr_count:     0
    .sgpr_spill_count: 0
    .symbol:         _ZN7rocprim17ROCPRIM_400000_NS6detail17trampoline_kernelINS0_13select_configILj256ELj13ELNS0_17block_load_methodE3ELS4_3ELS4_3ELNS0_20block_scan_algorithmE0ELj4294967295EEENS1_25partition_config_selectorILNS1_17partition_subalgoE4EjNS0_10empty_typeEbEEZZNS1_14partition_implILS8_4ELb0ES6_15HIP_vector_typeIjLj2EENS0_17counting_iteratorIjlEEPS9_SG_NS0_5tupleIJPjSI_NS0_16reverse_iteratorISI_EEEEENSH_IJSG_SG_SG_EEES9_SI_JZNS1_25segmented_radix_sort_implINS0_14default_configELb1EPKdPdPKlPlN2at6native12_GLOBAL__N_18offset_tEEE10hipError_tPvRmT1_PNSt15iterator_traitsIS12_E10value_typeET2_T3_PNS13_IS18_E10value_typeET4_jRbjT5_S1E_jjP12ihipStream_tbEUljE_ZNSN_ISO_Lb1ESQ_SR_ST_SU_SY_EESZ_S10_S11_S12_S16_S17_S18_S1B_S1C_jS1D_jS1E_S1E_jjS1G_bEUljE0_EEESZ_S10_S11_S18_S1C_S1E_T6_T7_T9_mT8_S1G_bDpT10_ENKUlT_T0_E_clISt17integral_constantIbLb1EES1U_EEDaS1P_S1Q_EUlS1P_E_NS1_11comp_targetILNS1_3genE2ELNS1_11target_archE906ELNS1_3gpuE6ELNS1_3repE0EEENS1_30default_config_static_selectorELNS0_4arch9wavefront6targetE0EEEvS12_.kd
    .uniform_work_group_size: 1
    .uses_dynamic_stack: false
    .vgpr_count:     0
    .vgpr_spill_count: 0
    .wavefront_size: 32
    .workgroup_processor_mode: 1
  - .args:
      - .offset:         0
        .size:           184
        .value_kind:     by_value
    .group_segment_fixed_size: 0
    .kernarg_segment_align: 8
    .kernarg_segment_size: 184
    .language:       OpenCL C
    .language_version:
      - 2
      - 0
    .max_flat_workgroup_size: 256
    .name:           _ZN7rocprim17ROCPRIM_400000_NS6detail17trampoline_kernelINS0_13select_configILj256ELj13ELNS0_17block_load_methodE3ELS4_3ELS4_3ELNS0_20block_scan_algorithmE0ELj4294967295EEENS1_25partition_config_selectorILNS1_17partition_subalgoE4EjNS0_10empty_typeEbEEZZNS1_14partition_implILS8_4ELb0ES6_15HIP_vector_typeIjLj2EENS0_17counting_iteratorIjlEEPS9_SG_NS0_5tupleIJPjSI_NS0_16reverse_iteratorISI_EEEEENSH_IJSG_SG_SG_EEES9_SI_JZNS1_25segmented_radix_sort_implINS0_14default_configELb1EPKdPdPKlPlN2at6native12_GLOBAL__N_18offset_tEEE10hipError_tPvRmT1_PNSt15iterator_traitsIS12_E10value_typeET2_T3_PNS13_IS18_E10value_typeET4_jRbjT5_S1E_jjP12ihipStream_tbEUljE_ZNSN_ISO_Lb1ESQ_SR_ST_SU_SY_EESZ_S10_S11_S12_S16_S17_S18_S1B_S1C_jS1D_jS1E_S1E_jjS1G_bEUljE0_EEESZ_S10_S11_S18_S1C_S1E_T6_T7_T9_mT8_S1G_bDpT10_ENKUlT_T0_E_clISt17integral_constantIbLb1EES1U_EEDaS1P_S1Q_EUlS1P_E_NS1_11comp_targetILNS1_3genE10ELNS1_11target_archE1200ELNS1_3gpuE4ELNS1_3repE0EEENS1_30default_config_static_selectorELNS0_4arch9wavefront6targetE0EEEvS12_
    .private_segment_fixed_size: 0
    .sgpr_count:     0
    .sgpr_spill_count: 0
    .symbol:         _ZN7rocprim17ROCPRIM_400000_NS6detail17trampoline_kernelINS0_13select_configILj256ELj13ELNS0_17block_load_methodE3ELS4_3ELS4_3ELNS0_20block_scan_algorithmE0ELj4294967295EEENS1_25partition_config_selectorILNS1_17partition_subalgoE4EjNS0_10empty_typeEbEEZZNS1_14partition_implILS8_4ELb0ES6_15HIP_vector_typeIjLj2EENS0_17counting_iteratorIjlEEPS9_SG_NS0_5tupleIJPjSI_NS0_16reverse_iteratorISI_EEEEENSH_IJSG_SG_SG_EEES9_SI_JZNS1_25segmented_radix_sort_implINS0_14default_configELb1EPKdPdPKlPlN2at6native12_GLOBAL__N_18offset_tEEE10hipError_tPvRmT1_PNSt15iterator_traitsIS12_E10value_typeET2_T3_PNS13_IS18_E10value_typeET4_jRbjT5_S1E_jjP12ihipStream_tbEUljE_ZNSN_ISO_Lb1ESQ_SR_ST_SU_SY_EESZ_S10_S11_S12_S16_S17_S18_S1B_S1C_jS1D_jS1E_S1E_jjS1G_bEUljE0_EEESZ_S10_S11_S18_S1C_S1E_T6_T7_T9_mT8_S1G_bDpT10_ENKUlT_T0_E_clISt17integral_constantIbLb1EES1U_EEDaS1P_S1Q_EUlS1P_E_NS1_11comp_targetILNS1_3genE10ELNS1_11target_archE1200ELNS1_3gpuE4ELNS1_3repE0EEENS1_30default_config_static_selectorELNS0_4arch9wavefront6targetE0EEEvS12_.kd
    .uniform_work_group_size: 1
    .uses_dynamic_stack: false
    .vgpr_count:     0
    .vgpr_spill_count: 0
    .wavefront_size: 32
    .workgroup_processor_mode: 1
  - .args:
      - .offset:         0
        .size:           184
        .value_kind:     by_value
    .group_segment_fixed_size: 13340
    .kernarg_segment_align: 8
    .kernarg_segment_size: 184
    .language:       OpenCL C
    .language_version:
      - 2
      - 0
    .max_flat_workgroup_size: 256
    .name:           _ZN7rocprim17ROCPRIM_400000_NS6detail17trampoline_kernelINS0_13select_configILj256ELj13ELNS0_17block_load_methodE3ELS4_3ELS4_3ELNS0_20block_scan_algorithmE0ELj4294967295EEENS1_25partition_config_selectorILNS1_17partition_subalgoE4EjNS0_10empty_typeEbEEZZNS1_14partition_implILS8_4ELb0ES6_15HIP_vector_typeIjLj2EENS0_17counting_iteratorIjlEEPS9_SG_NS0_5tupleIJPjSI_NS0_16reverse_iteratorISI_EEEEENSH_IJSG_SG_SG_EEES9_SI_JZNS1_25segmented_radix_sort_implINS0_14default_configELb1EPKdPdPKlPlN2at6native12_GLOBAL__N_18offset_tEEE10hipError_tPvRmT1_PNSt15iterator_traitsIS12_E10value_typeET2_T3_PNS13_IS18_E10value_typeET4_jRbjT5_S1E_jjP12ihipStream_tbEUljE_ZNSN_ISO_Lb1ESQ_SR_ST_SU_SY_EESZ_S10_S11_S12_S16_S17_S18_S1B_S1C_jS1D_jS1E_S1E_jjS1G_bEUljE0_EEESZ_S10_S11_S18_S1C_S1E_T6_T7_T9_mT8_S1G_bDpT10_ENKUlT_T0_E_clISt17integral_constantIbLb1EES1U_EEDaS1P_S1Q_EUlS1P_E_NS1_11comp_targetILNS1_3genE9ELNS1_11target_archE1100ELNS1_3gpuE3ELNS1_3repE0EEENS1_30default_config_static_selectorELNS0_4arch9wavefront6targetE0EEEvS12_
    .private_segment_fixed_size: 0
    .sgpr_count:     57
    .sgpr_spill_count: 0
    .symbol:         _ZN7rocprim17ROCPRIM_400000_NS6detail17trampoline_kernelINS0_13select_configILj256ELj13ELNS0_17block_load_methodE3ELS4_3ELS4_3ELNS0_20block_scan_algorithmE0ELj4294967295EEENS1_25partition_config_selectorILNS1_17partition_subalgoE4EjNS0_10empty_typeEbEEZZNS1_14partition_implILS8_4ELb0ES6_15HIP_vector_typeIjLj2EENS0_17counting_iteratorIjlEEPS9_SG_NS0_5tupleIJPjSI_NS0_16reverse_iteratorISI_EEEEENSH_IJSG_SG_SG_EEES9_SI_JZNS1_25segmented_radix_sort_implINS0_14default_configELb1EPKdPdPKlPlN2at6native12_GLOBAL__N_18offset_tEEE10hipError_tPvRmT1_PNSt15iterator_traitsIS12_E10value_typeET2_T3_PNS13_IS18_E10value_typeET4_jRbjT5_S1E_jjP12ihipStream_tbEUljE_ZNSN_ISO_Lb1ESQ_SR_ST_SU_SY_EESZ_S10_S11_S12_S16_S17_S18_S1B_S1C_jS1D_jS1E_S1E_jjS1G_bEUljE0_EEESZ_S10_S11_S18_S1C_S1E_T6_T7_T9_mT8_S1G_bDpT10_ENKUlT_T0_E_clISt17integral_constantIbLb1EES1U_EEDaS1P_S1Q_EUlS1P_E_NS1_11comp_targetILNS1_3genE9ELNS1_11target_archE1100ELNS1_3gpuE3ELNS1_3repE0EEENS1_30default_config_static_selectorELNS0_4arch9wavefront6targetE0EEEvS12_.kd
    .uniform_work_group_size: 1
    .uses_dynamic_stack: false
    .vgpr_count:     103
    .vgpr_spill_count: 0
    .wavefront_size: 32
    .workgroup_processor_mode: 1
  - .args:
      - .offset:         0
        .size:           184
        .value_kind:     by_value
    .group_segment_fixed_size: 0
    .kernarg_segment_align: 8
    .kernarg_segment_size: 184
    .language:       OpenCL C
    .language_version:
      - 2
      - 0
    .max_flat_workgroup_size: 256
    .name:           _ZN7rocprim17ROCPRIM_400000_NS6detail17trampoline_kernelINS0_13select_configILj256ELj13ELNS0_17block_load_methodE3ELS4_3ELS4_3ELNS0_20block_scan_algorithmE0ELj4294967295EEENS1_25partition_config_selectorILNS1_17partition_subalgoE4EjNS0_10empty_typeEbEEZZNS1_14partition_implILS8_4ELb0ES6_15HIP_vector_typeIjLj2EENS0_17counting_iteratorIjlEEPS9_SG_NS0_5tupleIJPjSI_NS0_16reverse_iteratorISI_EEEEENSH_IJSG_SG_SG_EEES9_SI_JZNS1_25segmented_radix_sort_implINS0_14default_configELb1EPKdPdPKlPlN2at6native12_GLOBAL__N_18offset_tEEE10hipError_tPvRmT1_PNSt15iterator_traitsIS12_E10value_typeET2_T3_PNS13_IS18_E10value_typeET4_jRbjT5_S1E_jjP12ihipStream_tbEUljE_ZNSN_ISO_Lb1ESQ_SR_ST_SU_SY_EESZ_S10_S11_S12_S16_S17_S18_S1B_S1C_jS1D_jS1E_S1E_jjS1G_bEUljE0_EEESZ_S10_S11_S18_S1C_S1E_T6_T7_T9_mT8_S1G_bDpT10_ENKUlT_T0_E_clISt17integral_constantIbLb1EES1U_EEDaS1P_S1Q_EUlS1P_E_NS1_11comp_targetILNS1_3genE8ELNS1_11target_archE1030ELNS1_3gpuE2ELNS1_3repE0EEENS1_30default_config_static_selectorELNS0_4arch9wavefront6targetE0EEEvS12_
    .private_segment_fixed_size: 0
    .sgpr_count:     0
    .sgpr_spill_count: 0
    .symbol:         _ZN7rocprim17ROCPRIM_400000_NS6detail17trampoline_kernelINS0_13select_configILj256ELj13ELNS0_17block_load_methodE3ELS4_3ELS4_3ELNS0_20block_scan_algorithmE0ELj4294967295EEENS1_25partition_config_selectorILNS1_17partition_subalgoE4EjNS0_10empty_typeEbEEZZNS1_14partition_implILS8_4ELb0ES6_15HIP_vector_typeIjLj2EENS0_17counting_iteratorIjlEEPS9_SG_NS0_5tupleIJPjSI_NS0_16reverse_iteratorISI_EEEEENSH_IJSG_SG_SG_EEES9_SI_JZNS1_25segmented_radix_sort_implINS0_14default_configELb1EPKdPdPKlPlN2at6native12_GLOBAL__N_18offset_tEEE10hipError_tPvRmT1_PNSt15iterator_traitsIS12_E10value_typeET2_T3_PNS13_IS18_E10value_typeET4_jRbjT5_S1E_jjP12ihipStream_tbEUljE_ZNSN_ISO_Lb1ESQ_SR_ST_SU_SY_EESZ_S10_S11_S12_S16_S17_S18_S1B_S1C_jS1D_jS1E_S1E_jjS1G_bEUljE0_EEESZ_S10_S11_S18_S1C_S1E_T6_T7_T9_mT8_S1G_bDpT10_ENKUlT_T0_E_clISt17integral_constantIbLb1EES1U_EEDaS1P_S1Q_EUlS1P_E_NS1_11comp_targetILNS1_3genE8ELNS1_11target_archE1030ELNS1_3gpuE2ELNS1_3repE0EEENS1_30default_config_static_selectorELNS0_4arch9wavefront6targetE0EEEvS12_.kd
    .uniform_work_group_size: 1
    .uses_dynamic_stack: false
    .vgpr_count:     0
    .vgpr_spill_count: 0
    .wavefront_size: 32
    .workgroup_processor_mode: 1
  - .args:
      - .offset:         0
        .size:           176
        .value_kind:     by_value
    .group_segment_fixed_size: 0
    .kernarg_segment_align: 8
    .kernarg_segment_size: 176
    .language:       OpenCL C
    .language_version:
      - 2
      - 0
    .max_flat_workgroup_size: 256
    .name:           _ZN7rocprim17ROCPRIM_400000_NS6detail17trampoline_kernelINS0_13select_configILj256ELj13ELNS0_17block_load_methodE3ELS4_3ELS4_3ELNS0_20block_scan_algorithmE0ELj4294967295EEENS1_25partition_config_selectorILNS1_17partition_subalgoE4EjNS0_10empty_typeEbEEZZNS1_14partition_implILS8_4ELb0ES6_15HIP_vector_typeIjLj2EENS0_17counting_iteratorIjlEEPS9_SG_NS0_5tupleIJPjSI_NS0_16reverse_iteratorISI_EEEEENSH_IJSG_SG_SG_EEES9_SI_JZNS1_25segmented_radix_sort_implINS0_14default_configELb1EPKdPdPKlPlN2at6native12_GLOBAL__N_18offset_tEEE10hipError_tPvRmT1_PNSt15iterator_traitsIS12_E10value_typeET2_T3_PNS13_IS18_E10value_typeET4_jRbjT5_S1E_jjP12ihipStream_tbEUljE_ZNSN_ISO_Lb1ESQ_SR_ST_SU_SY_EESZ_S10_S11_S12_S16_S17_S18_S1B_S1C_jS1D_jS1E_S1E_jjS1G_bEUljE0_EEESZ_S10_S11_S18_S1C_S1E_T6_T7_T9_mT8_S1G_bDpT10_ENKUlT_T0_E_clISt17integral_constantIbLb1EES1T_IbLb0EEEEDaS1P_S1Q_EUlS1P_E_NS1_11comp_targetILNS1_3genE0ELNS1_11target_archE4294967295ELNS1_3gpuE0ELNS1_3repE0EEENS1_30default_config_static_selectorELNS0_4arch9wavefront6targetE0EEEvS12_
    .private_segment_fixed_size: 0
    .sgpr_count:     0
    .sgpr_spill_count: 0
    .symbol:         _ZN7rocprim17ROCPRIM_400000_NS6detail17trampoline_kernelINS0_13select_configILj256ELj13ELNS0_17block_load_methodE3ELS4_3ELS4_3ELNS0_20block_scan_algorithmE0ELj4294967295EEENS1_25partition_config_selectorILNS1_17partition_subalgoE4EjNS0_10empty_typeEbEEZZNS1_14partition_implILS8_4ELb0ES6_15HIP_vector_typeIjLj2EENS0_17counting_iteratorIjlEEPS9_SG_NS0_5tupleIJPjSI_NS0_16reverse_iteratorISI_EEEEENSH_IJSG_SG_SG_EEES9_SI_JZNS1_25segmented_radix_sort_implINS0_14default_configELb1EPKdPdPKlPlN2at6native12_GLOBAL__N_18offset_tEEE10hipError_tPvRmT1_PNSt15iterator_traitsIS12_E10value_typeET2_T3_PNS13_IS18_E10value_typeET4_jRbjT5_S1E_jjP12ihipStream_tbEUljE_ZNSN_ISO_Lb1ESQ_SR_ST_SU_SY_EESZ_S10_S11_S12_S16_S17_S18_S1B_S1C_jS1D_jS1E_S1E_jjS1G_bEUljE0_EEESZ_S10_S11_S18_S1C_S1E_T6_T7_T9_mT8_S1G_bDpT10_ENKUlT_T0_E_clISt17integral_constantIbLb1EES1T_IbLb0EEEEDaS1P_S1Q_EUlS1P_E_NS1_11comp_targetILNS1_3genE0ELNS1_11target_archE4294967295ELNS1_3gpuE0ELNS1_3repE0EEENS1_30default_config_static_selectorELNS0_4arch9wavefront6targetE0EEEvS12_.kd
    .uniform_work_group_size: 1
    .uses_dynamic_stack: false
    .vgpr_count:     0
    .vgpr_spill_count: 0
    .wavefront_size: 32
    .workgroup_processor_mode: 1
  - .args:
      - .offset:         0
        .size:           176
        .value_kind:     by_value
    .group_segment_fixed_size: 0
    .kernarg_segment_align: 8
    .kernarg_segment_size: 176
    .language:       OpenCL C
    .language_version:
      - 2
      - 0
    .max_flat_workgroup_size: 256
    .name:           _ZN7rocprim17ROCPRIM_400000_NS6detail17trampoline_kernelINS0_13select_configILj256ELj13ELNS0_17block_load_methodE3ELS4_3ELS4_3ELNS0_20block_scan_algorithmE0ELj4294967295EEENS1_25partition_config_selectorILNS1_17partition_subalgoE4EjNS0_10empty_typeEbEEZZNS1_14partition_implILS8_4ELb0ES6_15HIP_vector_typeIjLj2EENS0_17counting_iteratorIjlEEPS9_SG_NS0_5tupleIJPjSI_NS0_16reverse_iteratorISI_EEEEENSH_IJSG_SG_SG_EEES9_SI_JZNS1_25segmented_radix_sort_implINS0_14default_configELb1EPKdPdPKlPlN2at6native12_GLOBAL__N_18offset_tEEE10hipError_tPvRmT1_PNSt15iterator_traitsIS12_E10value_typeET2_T3_PNS13_IS18_E10value_typeET4_jRbjT5_S1E_jjP12ihipStream_tbEUljE_ZNSN_ISO_Lb1ESQ_SR_ST_SU_SY_EESZ_S10_S11_S12_S16_S17_S18_S1B_S1C_jS1D_jS1E_S1E_jjS1G_bEUljE0_EEESZ_S10_S11_S18_S1C_S1E_T6_T7_T9_mT8_S1G_bDpT10_ENKUlT_T0_E_clISt17integral_constantIbLb1EES1T_IbLb0EEEEDaS1P_S1Q_EUlS1P_E_NS1_11comp_targetILNS1_3genE5ELNS1_11target_archE942ELNS1_3gpuE9ELNS1_3repE0EEENS1_30default_config_static_selectorELNS0_4arch9wavefront6targetE0EEEvS12_
    .private_segment_fixed_size: 0
    .sgpr_count:     0
    .sgpr_spill_count: 0
    .symbol:         _ZN7rocprim17ROCPRIM_400000_NS6detail17trampoline_kernelINS0_13select_configILj256ELj13ELNS0_17block_load_methodE3ELS4_3ELS4_3ELNS0_20block_scan_algorithmE0ELj4294967295EEENS1_25partition_config_selectorILNS1_17partition_subalgoE4EjNS0_10empty_typeEbEEZZNS1_14partition_implILS8_4ELb0ES6_15HIP_vector_typeIjLj2EENS0_17counting_iteratorIjlEEPS9_SG_NS0_5tupleIJPjSI_NS0_16reverse_iteratorISI_EEEEENSH_IJSG_SG_SG_EEES9_SI_JZNS1_25segmented_radix_sort_implINS0_14default_configELb1EPKdPdPKlPlN2at6native12_GLOBAL__N_18offset_tEEE10hipError_tPvRmT1_PNSt15iterator_traitsIS12_E10value_typeET2_T3_PNS13_IS18_E10value_typeET4_jRbjT5_S1E_jjP12ihipStream_tbEUljE_ZNSN_ISO_Lb1ESQ_SR_ST_SU_SY_EESZ_S10_S11_S12_S16_S17_S18_S1B_S1C_jS1D_jS1E_S1E_jjS1G_bEUljE0_EEESZ_S10_S11_S18_S1C_S1E_T6_T7_T9_mT8_S1G_bDpT10_ENKUlT_T0_E_clISt17integral_constantIbLb1EES1T_IbLb0EEEEDaS1P_S1Q_EUlS1P_E_NS1_11comp_targetILNS1_3genE5ELNS1_11target_archE942ELNS1_3gpuE9ELNS1_3repE0EEENS1_30default_config_static_selectorELNS0_4arch9wavefront6targetE0EEEvS12_.kd
    .uniform_work_group_size: 1
    .uses_dynamic_stack: false
    .vgpr_count:     0
    .vgpr_spill_count: 0
    .wavefront_size: 32
    .workgroup_processor_mode: 1
  - .args:
      - .offset:         0
        .size:           176
        .value_kind:     by_value
    .group_segment_fixed_size: 0
    .kernarg_segment_align: 8
    .kernarg_segment_size: 176
    .language:       OpenCL C
    .language_version:
      - 2
      - 0
    .max_flat_workgroup_size: 256
    .name:           _ZN7rocprim17ROCPRIM_400000_NS6detail17trampoline_kernelINS0_13select_configILj256ELj13ELNS0_17block_load_methodE3ELS4_3ELS4_3ELNS0_20block_scan_algorithmE0ELj4294967295EEENS1_25partition_config_selectorILNS1_17partition_subalgoE4EjNS0_10empty_typeEbEEZZNS1_14partition_implILS8_4ELb0ES6_15HIP_vector_typeIjLj2EENS0_17counting_iteratorIjlEEPS9_SG_NS0_5tupleIJPjSI_NS0_16reverse_iteratorISI_EEEEENSH_IJSG_SG_SG_EEES9_SI_JZNS1_25segmented_radix_sort_implINS0_14default_configELb1EPKdPdPKlPlN2at6native12_GLOBAL__N_18offset_tEEE10hipError_tPvRmT1_PNSt15iterator_traitsIS12_E10value_typeET2_T3_PNS13_IS18_E10value_typeET4_jRbjT5_S1E_jjP12ihipStream_tbEUljE_ZNSN_ISO_Lb1ESQ_SR_ST_SU_SY_EESZ_S10_S11_S12_S16_S17_S18_S1B_S1C_jS1D_jS1E_S1E_jjS1G_bEUljE0_EEESZ_S10_S11_S18_S1C_S1E_T6_T7_T9_mT8_S1G_bDpT10_ENKUlT_T0_E_clISt17integral_constantIbLb1EES1T_IbLb0EEEEDaS1P_S1Q_EUlS1P_E_NS1_11comp_targetILNS1_3genE4ELNS1_11target_archE910ELNS1_3gpuE8ELNS1_3repE0EEENS1_30default_config_static_selectorELNS0_4arch9wavefront6targetE0EEEvS12_
    .private_segment_fixed_size: 0
    .sgpr_count:     0
    .sgpr_spill_count: 0
    .symbol:         _ZN7rocprim17ROCPRIM_400000_NS6detail17trampoline_kernelINS0_13select_configILj256ELj13ELNS0_17block_load_methodE3ELS4_3ELS4_3ELNS0_20block_scan_algorithmE0ELj4294967295EEENS1_25partition_config_selectorILNS1_17partition_subalgoE4EjNS0_10empty_typeEbEEZZNS1_14partition_implILS8_4ELb0ES6_15HIP_vector_typeIjLj2EENS0_17counting_iteratorIjlEEPS9_SG_NS0_5tupleIJPjSI_NS0_16reverse_iteratorISI_EEEEENSH_IJSG_SG_SG_EEES9_SI_JZNS1_25segmented_radix_sort_implINS0_14default_configELb1EPKdPdPKlPlN2at6native12_GLOBAL__N_18offset_tEEE10hipError_tPvRmT1_PNSt15iterator_traitsIS12_E10value_typeET2_T3_PNS13_IS18_E10value_typeET4_jRbjT5_S1E_jjP12ihipStream_tbEUljE_ZNSN_ISO_Lb1ESQ_SR_ST_SU_SY_EESZ_S10_S11_S12_S16_S17_S18_S1B_S1C_jS1D_jS1E_S1E_jjS1G_bEUljE0_EEESZ_S10_S11_S18_S1C_S1E_T6_T7_T9_mT8_S1G_bDpT10_ENKUlT_T0_E_clISt17integral_constantIbLb1EES1T_IbLb0EEEEDaS1P_S1Q_EUlS1P_E_NS1_11comp_targetILNS1_3genE4ELNS1_11target_archE910ELNS1_3gpuE8ELNS1_3repE0EEENS1_30default_config_static_selectorELNS0_4arch9wavefront6targetE0EEEvS12_.kd
    .uniform_work_group_size: 1
    .uses_dynamic_stack: false
    .vgpr_count:     0
    .vgpr_spill_count: 0
    .wavefront_size: 32
    .workgroup_processor_mode: 1
  - .args:
      - .offset:         0
        .size:           176
        .value_kind:     by_value
    .group_segment_fixed_size: 0
    .kernarg_segment_align: 8
    .kernarg_segment_size: 176
    .language:       OpenCL C
    .language_version:
      - 2
      - 0
    .max_flat_workgroup_size: 256
    .name:           _ZN7rocprim17ROCPRIM_400000_NS6detail17trampoline_kernelINS0_13select_configILj256ELj13ELNS0_17block_load_methodE3ELS4_3ELS4_3ELNS0_20block_scan_algorithmE0ELj4294967295EEENS1_25partition_config_selectorILNS1_17partition_subalgoE4EjNS0_10empty_typeEbEEZZNS1_14partition_implILS8_4ELb0ES6_15HIP_vector_typeIjLj2EENS0_17counting_iteratorIjlEEPS9_SG_NS0_5tupleIJPjSI_NS0_16reverse_iteratorISI_EEEEENSH_IJSG_SG_SG_EEES9_SI_JZNS1_25segmented_radix_sort_implINS0_14default_configELb1EPKdPdPKlPlN2at6native12_GLOBAL__N_18offset_tEEE10hipError_tPvRmT1_PNSt15iterator_traitsIS12_E10value_typeET2_T3_PNS13_IS18_E10value_typeET4_jRbjT5_S1E_jjP12ihipStream_tbEUljE_ZNSN_ISO_Lb1ESQ_SR_ST_SU_SY_EESZ_S10_S11_S12_S16_S17_S18_S1B_S1C_jS1D_jS1E_S1E_jjS1G_bEUljE0_EEESZ_S10_S11_S18_S1C_S1E_T6_T7_T9_mT8_S1G_bDpT10_ENKUlT_T0_E_clISt17integral_constantIbLb1EES1T_IbLb0EEEEDaS1P_S1Q_EUlS1P_E_NS1_11comp_targetILNS1_3genE3ELNS1_11target_archE908ELNS1_3gpuE7ELNS1_3repE0EEENS1_30default_config_static_selectorELNS0_4arch9wavefront6targetE0EEEvS12_
    .private_segment_fixed_size: 0
    .sgpr_count:     0
    .sgpr_spill_count: 0
    .symbol:         _ZN7rocprim17ROCPRIM_400000_NS6detail17trampoline_kernelINS0_13select_configILj256ELj13ELNS0_17block_load_methodE3ELS4_3ELS4_3ELNS0_20block_scan_algorithmE0ELj4294967295EEENS1_25partition_config_selectorILNS1_17partition_subalgoE4EjNS0_10empty_typeEbEEZZNS1_14partition_implILS8_4ELb0ES6_15HIP_vector_typeIjLj2EENS0_17counting_iteratorIjlEEPS9_SG_NS0_5tupleIJPjSI_NS0_16reverse_iteratorISI_EEEEENSH_IJSG_SG_SG_EEES9_SI_JZNS1_25segmented_radix_sort_implINS0_14default_configELb1EPKdPdPKlPlN2at6native12_GLOBAL__N_18offset_tEEE10hipError_tPvRmT1_PNSt15iterator_traitsIS12_E10value_typeET2_T3_PNS13_IS18_E10value_typeET4_jRbjT5_S1E_jjP12ihipStream_tbEUljE_ZNSN_ISO_Lb1ESQ_SR_ST_SU_SY_EESZ_S10_S11_S12_S16_S17_S18_S1B_S1C_jS1D_jS1E_S1E_jjS1G_bEUljE0_EEESZ_S10_S11_S18_S1C_S1E_T6_T7_T9_mT8_S1G_bDpT10_ENKUlT_T0_E_clISt17integral_constantIbLb1EES1T_IbLb0EEEEDaS1P_S1Q_EUlS1P_E_NS1_11comp_targetILNS1_3genE3ELNS1_11target_archE908ELNS1_3gpuE7ELNS1_3repE0EEENS1_30default_config_static_selectorELNS0_4arch9wavefront6targetE0EEEvS12_.kd
    .uniform_work_group_size: 1
    .uses_dynamic_stack: false
    .vgpr_count:     0
    .vgpr_spill_count: 0
    .wavefront_size: 32
    .workgroup_processor_mode: 1
  - .args:
      - .offset:         0
        .size:           176
        .value_kind:     by_value
    .group_segment_fixed_size: 0
    .kernarg_segment_align: 8
    .kernarg_segment_size: 176
    .language:       OpenCL C
    .language_version:
      - 2
      - 0
    .max_flat_workgroup_size: 256
    .name:           _ZN7rocprim17ROCPRIM_400000_NS6detail17trampoline_kernelINS0_13select_configILj256ELj13ELNS0_17block_load_methodE3ELS4_3ELS4_3ELNS0_20block_scan_algorithmE0ELj4294967295EEENS1_25partition_config_selectorILNS1_17partition_subalgoE4EjNS0_10empty_typeEbEEZZNS1_14partition_implILS8_4ELb0ES6_15HIP_vector_typeIjLj2EENS0_17counting_iteratorIjlEEPS9_SG_NS0_5tupleIJPjSI_NS0_16reverse_iteratorISI_EEEEENSH_IJSG_SG_SG_EEES9_SI_JZNS1_25segmented_radix_sort_implINS0_14default_configELb1EPKdPdPKlPlN2at6native12_GLOBAL__N_18offset_tEEE10hipError_tPvRmT1_PNSt15iterator_traitsIS12_E10value_typeET2_T3_PNS13_IS18_E10value_typeET4_jRbjT5_S1E_jjP12ihipStream_tbEUljE_ZNSN_ISO_Lb1ESQ_SR_ST_SU_SY_EESZ_S10_S11_S12_S16_S17_S18_S1B_S1C_jS1D_jS1E_S1E_jjS1G_bEUljE0_EEESZ_S10_S11_S18_S1C_S1E_T6_T7_T9_mT8_S1G_bDpT10_ENKUlT_T0_E_clISt17integral_constantIbLb1EES1T_IbLb0EEEEDaS1P_S1Q_EUlS1P_E_NS1_11comp_targetILNS1_3genE2ELNS1_11target_archE906ELNS1_3gpuE6ELNS1_3repE0EEENS1_30default_config_static_selectorELNS0_4arch9wavefront6targetE0EEEvS12_
    .private_segment_fixed_size: 0
    .sgpr_count:     0
    .sgpr_spill_count: 0
    .symbol:         _ZN7rocprim17ROCPRIM_400000_NS6detail17trampoline_kernelINS0_13select_configILj256ELj13ELNS0_17block_load_methodE3ELS4_3ELS4_3ELNS0_20block_scan_algorithmE0ELj4294967295EEENS1_25partition_config_selectorILNS1_17partition_subalgoE4EjNS0_10empty_typeEbEEZZNS1_14partition_implILS8_4ELb0ES6_15HIP_vector_typeIjLj2EENS0_17counting_iteratorIjlEEPS9_SG_NS0_5tupleIJPjSI_NS0_16reverse_iteratorISI_EEEEENSH_IJSG_SG_SG_EEES9_SI_JZNS1_25segmented_radix_sort_implINS0_14default_configELb1EPKdPdPKlPlN2at6native12_GLOBAL__N_18offset_tEEE10hipError_tPvRmT1_PNSt15iterator_traitsIS12_E10value_typeET2_T3_PNS13_IS18_E10value_typeET4_jRbjT5_S1E_jjP12ihipStream_tbEUljE_ZNSN_ISO_Lb1ESQ_SR_ST_SU_SY_EESZ_S10_S11_S12_S16_S17_S18_S1B_S1C_jS1D_jS1E_S1E_jjS1G_bEUljE0_EEESZ_S10_S11_S18_S1C_S1E_T6_T7_T9_mT8_S1G_bDpT10_ENKUlT_T0_E_clISt17integral_constantIbLb1EES1T_IbLb0EEEEDaS1P_S1Q_EUlS1P_E_NS1_11comp_targetILNS1_3genE2ELNS1_11target_archE906ELNS1_3gpuE6ELNS1_3repE0EEENS1_30default_config_static_selectorELNS0_4arch9wavefront6targetE0EEEvS12_.kd
    .uniform_work_group_size: 1
    .uses_dynamic_stack: false
    .vgpr_count:     0
    .vgpr_spill_count: 0
    .wavefront_size: 32
    .workgroup_processor_mode: 1
  - .args:
      - .offset:         0
        .size:           176
        .value_kind:     by_value
    .group_segment_fixed_size: 0
    .kernarg_segment_align: 8
    .kernarg_segment_size: 176
    .language:       OpenCL C
    .language_version:
      - 2
      - 0
    .max_flat_workgroup_size: 256
    .name:           _ZN7rocprim17ROCPRIM_400000_NS6detail17trampoline_kernelINS0_13select_configILj256ELj13ELNS0_17block_load_methodE3ELS4_3ELS4_3ELNS0_20block_scan_algorithmE0ELj4294967295EEENS1_25partition_config_selectorILNS1_17partition_subalgoE4EjNS0_10empty_typeEbEEZZNS1_14partition_implILS8_4ELb0ES6_15HIP_vector_typeIjLj2EENS0_17counting_iteratorIjlEEPS9_SG_NS0_5tupleIJPjSI_NS0_16reverse_iteratorISI_EEEEENSH_IJSG_SG_SG_EEES9_SI_JZNS1_25segmented_radix_sort_implINS0_14default_configELb1EPKdPdPKlPlN2at6native12_GLOBAL__N_18offset_tEEE10hipError_tPvRmT1_PNSt15iterator_traitsIS12_E10value_typeET2_T3_PNS13_IS18_E10value_typeET4_jRbjT5_S1E_jjP12ihipStream_tbEUljE_ZNSN_ISO_Lb1ESQ_SR_ST_SU_SY_EESZ_S10_S11_S12_S16_S17_S18_S1B_S1C_jS1D_jS1E_S1E_jjS1G_bEUljE0_EEESZ_S10_S11_S18_S1C_S1E_T6_T7_T9_mT8_S1G_bDpT10_ENKUlT_T0_E_clISt17integral_constantIbLb1EES1T_IbLb0EEEEDaS1P_S1Q_EUlS1P_E_NS1_11comp_targetILNS1_3genE10ELNS1_11target_archE1200ELNS1_3gpuE4ELNS1_3repE0EEENS1_30default_config_static_selectorELNS0_4arch9wavefront6targetE0EEEvS12_
    .private_segment_fixed_size: 0
    .sgpr_count:     0
    .sgpr_spill_count: 0
    .symbol:         _ZN7rocprim17ROCPRIM_400000_NS6detail17trampoline_kernelINS0_13select_configILj256ELj13ELNS0_17block_load_methodE3ELS4_3ELS4_3ELNS0_20block_scan_algorithmE0ELj4294967295EEENS1_25partition_config_selectorILNS1_17partition_subalgoE4EjNS0_10empty_typeEbEEZZNS1_14partition_implILS8_4ELb0ES6_15HIP_vector_typeIjLj2EENS0_17counting_iteratorIjlEEPS9_SG_NS0_5tupleIJPjSI_NS0_16reverse_iteratorISI_EEEEENSH_IJSG_SG_SG_EEES9_SI_JZNS1_25segmented_radix_sort_implINS0_14default_configELb1EPKdPdPKlPlN2at6native12_GLOBAL__N_18offset_tEEE10hipError_tPvRmT1_PNSt15iterator_traitsIS12_E10value_typeET2_T3_PNS13_IS18_E10value_typeET4_jRbjT5_S1E_jjP12ihipStream_tbEUljE_ZNSN_ISO_Lb1ESQ_SR_ST_SU_SY_EESZ_S10_S11_S12_S16_S17_S18_S1B_S1C_jS1D_jS1E_S1E_jjS1G_bEUljE0_EEESZ_S10_S11_S18_S1C_S1E_T6_T7_T9_mT8_S1G_bDpT10_ENKUlT_T0_E_clISt17integral_constantIbLb1EES1T_IbLb0EEEEDaS1P_S1Q_EUlS1P_E_NS1_11comp_targetILNS1_3genE10ELNS1_11target_archE1200ELNS1_3gpuE4ELNS1_3repE0EEENS1_30default_config_static_selectorELNS0_4arch9wavefront6targetE0EEEvS12_.kd
    .uniform_work_group_size: 1
    .uses_dynamic_stack: false
    .vgpr_count:     0
    .vgpr_spill_count: 0
    .wavefront_size: 32
    .workgroup_processor_mode: 1
  - .args:
      - .offset:         0
        .size:           176
        .value_kind:     by_value
    .group_segment_fixed_size: 13340
    .kernarg_segment_align: 8
    .kernarg_segment_size: 176
    .language:       OpenCL C
    .language_version:
      - 2
      - 0
    .max_flat_workgroup_size: 256
    .name:           _ZN7rocprim17ROCPRIM_400000_NS6detail17trampoline_kernelINS0_13select_configILj256ELj13ELNS0_17block_load_methodE3ELS4_3ELS4_3ELNS0_20block_scan_algorithmE0ELj4294967295EEENS1_25partition_config_selectorILNS1_17partition_subalgoE4EjNS0_10empty_typeEbEEZZNS1_14partition_implILS8_4ELb0ES6_15HIP_vector_typeIjLj2EENS0_17counting_iteratorIjlEEPS9_SG_NS0_5tupleIJPjSI_NS0_16reverse_iteratorISI_EEEEENSH_IJSG_SG_SG_EEES9_SI_JZNS1_25segmented_radix_sort_implINS0_14default_configELb1EPKdPdPKlPlN2at6native12_GLOBAL__N_18offset_tEEE10hipError_tPvRmT1_PNSt15iterator_traitsIS12_E10value_typeET2_T3_PNS13_IS18_E10value_typeET4_jRbjT5_S1E_jjP12ihipStream_tbEUljE_ZNSN_ISO_Lb1ESQ_SR_ST_SU_SY_EESZ_S10_S11_S12_S16_S17_S18_S1B_S1C_jS1D_jS1E_S1E_jjS1G_bEUljE0_EEESZ_S10_S11_S18_S1C_S1E_T6_T7_T9_mT8_S1G_bDpT10_ENKUlT_T0_E_clISt17integral_constantIbLb1EES1T_IbLb0EEEEDaS1P_S1Q_EUlS1P_E_NS1_11comp_targetILNS1_3genE9ELNS1_11target_archE1100ELNS1_3gpuE3ELNS1_3repE0EEENS1_30default_config_static_selectorELNS0_4arch9wavefront6targetE0EEEvS12_
    .private_segment_fixed_size: 0
    .sgpr_count:     61
    .sgpr_spill_count: 0
    .symbol:         _ZN7rocprim17ROCPRIM_400000_NS6detail17trampoline_kernelINS0_13select_configILj256ELj13ELNS0_17block_load_methodE3ELS4_3ELS4_3ELNS0_20block_scan_algorithmE0ELj4294967295EEENS1_25partition_config_selectorILNS1_17partition_subalgoE4EjNS0_10empty_typeEbEEZZNS1_14partition_implILS8_4ELb0ES6_15HIP_vector_typeIjLj2EENS0_17counting_iteratorIjlEEPS9_SG_NS0_5tupleIJPjSI_NS0_16reverse_iteratorISI_EEEEENSH_IJSG_SG_SG_EEES9_SI_JZNS1_25segmented_radix_sort_implINS0_14default_configELb1EPKdPdPKlPlN2at6native12_GLOBAL__N_18offset_tEEE10hipError_tPvRmT1_PNSt15iterator_traitsIS12_E10value_typeET2_T3_PNS13_IS18_E10value_typeET4_jRbjT5_S1E_jjP12ihipStream_tbEUljE_ZNSN_ISO_Lb1ESQ_SR_ST_SU_SY_EESZ_S10_S11_S12_S16_S17_S18_S1B_S1C_jS1D_jS1E_S1E_jjS1G_bEUljE0_EEESZ_S10_S11_S18_S1C_S1E_T6_T7_T9_mT8_S1G_bDpT10_ENKUlT_T0_E_clISt17integral_constantIbLb1EES1T_IbLb0EEEEDaS1P_S1Q_EUlS1P_E_NS1_11comp_targetILNS1_3genE9ELNS1_11target_archE1100ELNS1_3gpuE3ELNS1_3repE0EEENS1_30default_config_static_selectorELNS0_4arch9wavefront6targetE0EEEvS12_.kd
    .uniform_work_group_size: 1
    .uses_dynamic_stack: false
    .vgpr_count:     98
    .vgpr_spill_count: 0
    .wavefront_size: 32
    .workgroup_processor_mode: 1
  - .args:
      - .offset:         0
        .size:           176
        .value_kind:     by_value
    .group_segment_fixed_size: 0
    .kernarg_segment_align: 8
    .kernarg_segment_size: 176
    .language:       OpenCL C
    .language_version:
      - 2
      - 0
    .max_flat_workgroup_size: 256
    .name:           _ZN7rocprim17ROCPRIM_400000_NS6detail17trampoline_kernelINS0_13select_configILj256ELj13ELNS0_17block_load_methodE3ELS4_3ELS4_3ELNS0_20block_scan_algorithmE0ELj4294967295EEENS1_25partition_config_selectorILNS1_17partition_subalgoE4EjNS0_10empty_typeEbEEZZNS1_14partition_implILS8_4ELb0ES6_15HIP_vector_typeIjLj2EENS0_17counting_iteratorIjlEEPS9_SG_NS0_5tupleIJPjSI_NS0_16reverse_iteratorISI_EEEEENSH_IJSG_SG_SG_EEES9_SI_JZNS1_25segmented_radix_sort_implINS0_14default_configELb1EPKdPdPKlPlN2at6native12_GLOBAL__N_18offset_tEEE10hipError_tPvRmT1_PNSt15iterator_traitsIS12_E10value_typeET2_T3_PNS13_IS18_E10value_typeET4_jRbjT5_S1E_jjP12ihipStream_tbEUljE_ZNSN_ISO_Lb1ESQ_SR_ST_SU_SY_EESZ_S10_S11_S12_S16_S17_S18_S1B_S1C_jS1D_jS1E_S1E_jjS1G_bEUljE0_EEESZ_S10_S11_S18_S1C_S1E_T6_T7_T9_mT8_S1G_bDpT10_ENKUlT_T0_E_clISt17integral_constantIbLb1EES1T_IbLb0EEEEDaS1P_S1Q_EUlS1P_E_NS1_11comp_targetILNS1_3genE8ELNS1_11target_archE1030ELNS1_3gpuE2ELNS1_3repE0EEENS1_30default_config_static_selectorELNS0_4arch9wavefront6targetE0EEEvS12_
    .private_segment_fixed_size: 0
    .sgpr_count:     0
    .sgpr_spill_count: 0
    .symbol:         _ZN7rocprim17ROCPRIM_400000_NS6detail17trampoline_kernelINS0_13select_configILj256ELj13ELNS0_17block_load_methodE3ELS4_3ELS4_3ELNS0_20block_scan_algorithmE0ELj4294967295EEENS1_25partition_config_selectorILNS1_17partition_subalgoE4EjNS0_10empty_typeEbEEZZNS1_14partition_implILS8_4ELb0ES6_15HIP_vector_typeIjLj2EENS0_17counting_iteratorIjlEEPS9_SG_NS0_5tupleIJPjSI_NS0_16reverse_iteratorISI_EEEEENSH_IJSG_SG_SG_EEES9_SI_JZNS1_25segmented_radix_sort_implINS0_14default_configELb1EPKdPdPKlPlN2at6native12_GLOBAL__N_18offset_tEEE10hipError_tPvRmT1_PNSt15iterator_traitsIS12_E10value_typeET2_T3_PNS13_IS18_E10value_typeET4_jRbjT5_S1E_jjP12ihipStream_tbEUljE_ZNSN_ISO_Lb1ESQ_SR_ST_SU_SY_EESZ_S10_S11_S12_S16_S17_S18_S1B_S1C_jS1D_jS1E_S1E_jjS1G_bEUljE0_EEESZ_S10_S11_S18_S1C_S1E_T6_T7_T9_mT8_S1G_bDpT10_ENKUlT_T0_E_clISt17integral_constantIbLb1EES1T_IbLb0EEEEDaS1P_S1Q_EUlS1P_E_NS1_11comp_targetILNS1_3genE8ELNS1_11target_archE1030ELNS1_3gpuE2ELNS1_3repE0EEENS1_30default_config_static_selectorELNS0_4arch9wavefront6targetE0EEEvS12_.kd
    .uniform_work_group_size: 1
    .uses_dynamic_stack: false
    .vgpr_count:     0
    .vgpr_spill_count: 0
    .wavefront_size: 32
    .workgroup_processor_mode: 1
  - .args:
      - .offset:         0
        .size:           184
        .value_kind:     by_value
    .group_segment_fixed_size: 0
    .kernarg_segment_align: 8
    .kernarg_segment_size: 184
    .language:       OpenCL C
    .language_version:
      - 2
      - 0
    .max_flat_workgroup_size: 256
    .name:           _ZN7rocprim17ROCPRIM_400000_NS6detail17trampoline_kernelINS0_13select_configILj256ELj13ELNS0_17block_load_methodE3ELS4_3ELS4_3ELNS0_20block_scan_algorithmE0ELj4294967295EEENS1_25partition_config_selectorILNS1_17partition_subalgoE4EjNS0_10empty_typeEbEEZZNS1_14partition_implILS8_4ELb0ES6_15HIP_vector_typeIjLj2EENS0_17counting_iteratorIjlEEPS9_SG_NS0_5tupleIJPjSI_NS0_16reverse_iteratorISI_EEEEENSH_IJSG_SG_SG_EEES9_SI_JZNS1_25segmented_radix_sort_implINS0_14default_configELb1EPKdPdPKlPlN2at6native12_GLOBAL__N_18offset_tEEE10hipError_tPvRmT1_PNSt15iterator_traitsIS12_E10value_typeET2_T3_PNS13_IS18_E10value_typeET4_jRbjT5_S1E_jjP12ihipStream_tbEUljE_ZNSN_ISO_Lb1ESQ_SR_ST_SU_SY_EESZ_S10_S11_S12_S16_S17_S18_S1B_S1C_jS1D_jS1E_S1E_jjS1G_bEUljE0_EEESZ_S10_S11_S18_S1C_S1E_T6_T7_T9_mT8_S1G_bDpT10_ENKUlT_T0_E_clISt17integral_constantIbLb0EES1T_IbLb1EEEEDaS1P_S1Q_EUlS1P_E_NS1_11comp_targetILNS1_3genE0ELNS1_11target_archE4294967295ELNS1_3gpuE0ELNS1_3repE0EEENS1_30default_config_static_selectorELNS0_4arch9wavefront6targetE0EEEvS12_
    .private_segment_fixed_size: 0
    .sgpr_count:     0
    .sgpr_spill_count: 0
    .symbol:         _ZN7rocprim17ROCPRIM_400000_NS6detail17trampoline_kernelINS0_13select_configILj256ELj13ELNS0_17block_load_methodE3ELS4_3ELS4_3ELNS0_20block_scan_algorithmE0ELj4294967295EEENS1_25partition_config_selectorILNS1_17partition_subalgoE4EjNS0_10empty_typeEbEEZZNS1_14partition_implILS8_4ELb0ES6_15HIP_vector_typeIjLj2EENS0_17counting_iteratorIjlEEPS9_SG_NS0_5tupleIJPjSI_NS0_16reverse_iteratorISI_EEEEENSH_IJSG_SG_SG_EEES9_SI_JZNS1_25segmented_radix_sort_implINS0_14default_configELb1EPKdPdPKlPlN2at6native12_GLOBAL__N_18offset_tEEE10hipError_tPvRmT1_PNSt15iterator_traitsIS12_E10value_typeET2_T3_PNS13_IS18_E10value_typeET4_jRbjT5_S1E_jjP12ihipStream_tbEUljE_ZNSN_ISO_Lb1ESQ_SR_ST_SU_SY_EESZ_S10_S11_S12_S16_S17_S18_S1B_S1C_jS1D_jS1E_S1E_jjS1G_bEUljE0_EEESZ_S10_S11_S18_S1C_S1E_T6_T7_T9_mT8_S1G_bDpT10_ENKUlT_T0_E_clISt17integral_constantIbLb0EES1T_IbLb1EEEEDaS1P_S1Q_EUlS1P_E_NS1_11comp_targetILNS1_3genE0ELNS1_11target_archE4294967295ELNS1_3gpuE0ELNS1_3repE0EEENS1_30default_config_static_selectorELNS0_4arch9wavefront6targetE0EEEvS12_.kd
    .uniform_work_group_size: 1
    .uses_dynamic_stack: false
    .vgpr_count:     0
    .vgpr_spill_count: 0
    .wavefront_size: 32
    .workgroup_processor_mode: 1
  - .args:
      - .offset:         0
        .size:           184
        .value_kind:     by_value
    .group_segment_fixed_size: 0
    .kernarg_segment_align: 8
    .kernarg_segment_size: 184
    .language:       OpenCL C
    .language_version:
      - 2
      - 0
    .max_flat_workgroup_size: 256
    .name:           _ZN7rocprim17ROCPRIM_400000_NS6detail17trampoline_kernelINS0_13select_configILj256ELj13ELNS0_17block_load_methodE3ELS4_3ELS4_3ELNS0_20block_scan_algorithmE0ELj4294967295EEENS1_25partition_config_selectorILNS1_17partition_subalgoE4EjNS0_10empty_typeEbEEZZNS1_14partition_implILS8_4ELb0ES6_15HIP_vector_typeIjLj2EENS0_17counting_iteratorIjlEEPS9_SG_NS0_5tupleIJPjSI_NS0_16reverse_iteratorISI_EEEEENSH_IJSG_SG_SG_EEES9_SI_JZNS1_25segmented_radix_sort_implINS0_14default_configELb1EPKdPdPKlPlN2at6native12_GLOBAL__N_18offset_tEEE10hipError_tPvRmT1_PNSt15iterator_traitsIS12_E10value_typeET2_T3_PNS13_IS18_E10value_typeET4_jRbjT5_S1E_jjP12ihipStream_tbEUljE_ZNSN_ISO_Lb1ESQ_SR_ST_SU_SY_EESZ_S10_S11_S12_S16_S17_S18_S1B_S1C_jS1D_jS1E_S1E_jjS1G_bEUljE0_EEESZ_S10_S11_S18_S1C_S1E_T6_T7_T9_mT8_S1G_bDpT10_ENKUlT_T0_E_clISt17integral_constantIbLb0EES1T_IbLb1EEEEDaS1P_S1Q_EUlS1P_E_NS1_11comp_targetILNS1_3genE5ELNS1_11target_archE942ELNS1_3gpuE9ELNS1_3repE0EEENS1_30default_config_static_selectorELNS0_4arch9wavefront6targetE0EEEvS12_
    .private_segment_fixed_size: 0
    .sgpr_count:     0
    .sgpr_spill_count: 0
    .symbol:         _ZN7rocprim17ROCPRIM_400000_NS6detail17trampoline_kernelINS0_13select_configILj256ELj13ELNS0_17block_load_methodE3ELS4_3ELS4_3ELNS0_20block_scan_algorithmE0ELj4294967295EEENS1_25partition_config_selectorILNS1_17partition_subalgoE4EjNS0_10empty_typeEbEEZZNS1_14partition_implILS8_4ELb0ES6_15HIP_vector_typeIjLj2EENS0_17counting_iteratorIjlEEPS9_SG_NS0_5tupleIJPjSI_NS0_16reverse_iteratorISI_EEEEENSH_IJSG_SG_SG_EEES9_SI_JZNS1_25segmented_radix_sort_implINS0_14default_configELb1EPKdPdPKlPlN2at6native12_GLOBAL__N_18offset_tEEE10hipError_tPvRmT1_PNSt15iterator_traitsIS12_E10value_typeET2_T3_PNS13_IS18_E10value_typeET4_jRbjT5_S1E_jjP12ihipStream_tbEUljE_ZNSN_ISO_Lb1ESQ_SR_ST_SU_SY_EESZ_S10_S11_S12_S16_S17_S18_S1B_S1C_jS1D_jS1E_S1E_jjS1G_bEUljE0_EEESZ_S10_S11_S18_S1C_S1E_T6_T7_T9_mT8_S1G_bDpT10_ENKUlT_T0_E_clISt17integral_constantIbLb0EES1T_IbLb1EEEEDaS1P_S1Q_EUlS1P_E_NS1_11comp_targetILNS1_3genE5ELNS1_11target_archE942ELNS1_3gpuE9ELNS1_3repE0EEENS1_30default_config_static_selectorELNS0_4arch9wavefront6targetE0EEEvS12_.kd
    .uniform_work_group_size: 1
    .uses_dynamic_stack: false
    .vgpr_count:     0
    .vgpr_spill_count: 0
    .wavefront_size: 32
    .workgroup_processor_mode: 1
  - .args:
      - .offset:         0
        .size:           184
        .value_kind:     by_value
    .group_segment_fixed_size: 0
    .kernarg_segment_align: 8
    .kernarg_segment_size: 184
    .language:       OpenCL C
    .language_version:
      - 2
      - 0
    .max_flat_workgroup_size: 256
    .name:           _ZN7rocprim17ROCPRIM_400000_NS6detail17trampoline_kernelINS0_13select_configILj256ELj13ELNS0_17block_load_methodE3ELS4_3ELS4_3ELNS0_20block_scan_algorithmE0ELj4294967295EEENS1_25partition_config_selectorILNS1_17partition_subalgoE4EjNS0_10empty_typeEbEEZZNS1_14partition_implILS8_4ELb0ES6_15HIP_vector_typeIjLj2EENS0_17counting_iteratorIjlEEPS9_SG_NS0_5tupleIJPjSI_NS0_16reverse_iteratorISI_EEEEENSH_IJSG_SG_SG_EEES9_SI_JZNS1_25segmented_radix_sort_implINS0_14default_configELb1EPKdPdPKlPlN2at6native12_GLOBAL__N_18offset_tEEE10hipError_tPvRmT1_PNSt15iterator_traitsIS12_E10value_typeET2_T3_PNS13_IS18_E10value_typeET4_jRbjT5_S1E_jjP12ihipStream_tbEUljE_ZNSN_ISO_Lb1ESQ_SR_ST_SU_SY_EESZ_S10_S11_S12_S16_S17_S18_S1B_S1C_jS1D_jS1E_S1E_jjS1G_bEUljE0_EEESZ_S10_S11_S18_S1C_S1E_T6_T7_T9_mT8_S1G_bDpT10_ENKUlT_T0_E_clISt17integral_constantIbLb0EES1T_IbLb1EEEEDaS1P_S1Q_EUlS1P_E_NS1_11comp_targetILNS1_3genE4ELNS1_11target_archE910ELNS1_3gpuE8ELNS1_3repE0EEENS1_30default_config_static_selectorELNS0_4arch9wavefront6targetE0EEEvS12_
    .private_segment_fixed_size: 0
    .sgpr_count:     0
    .sgpr_spill_count: 0
    .symbol:         _ZN7rocprim17ROCPRIM_400000_NS6detail17trampoline_kernelINS0_13select_configILj256ELj13ELNS0_17block_load_methodE3ELS4_3ELS4_3ELNS0_20block_scan_algorithmE0ELj4294967295EEENS1_25partition_config_selectorILNS1_17partition_subalgoE4EjNS0_10empty_typeEbEEZZNS1_14partition_implILS8_4ELb0ES6_15HIP_vector_typeIjLj2EENS0_17counting_iteratorIjlEEPS9_SG_NS0_5tupleIJPjSI_NS0_16reverse_iteratorISI_EEEEENSH_IJSG_SG_SG_EEES9_SI_JZNS1_25segmented_radix_sort_implINS0_14default_configELb1EPKdPdPKlPlN2at6native12_GLOBAL__N_18offset_tEEE10hipError_tPvRmT1_PNSt15iterator_traitsIS12_E10value_typeET2_T3_PNS13_IS18_E10value_typeET4_jRbjT5_S1E_jjP12ihipStream_tbEUljE_ZNSN_ISO_Lb1ESQ_SR_ST_SU_SY_EESZ_S10_S11_S12_S16_S17_S18_S1B_S1C_jS1D_jS1E_S1E_jjS1G_bEUljE0_EEESZ_S10_S11_S18_S1C_S1E_T6_T7_T9_mT8_S1G_bDpT10_ENKUlT_T0_E_clISt17integral_constantIbLb0EES1T_IbLb1EEEEDaS1P_S1Q_EUlS1P_E_NS1_11comp_targetILNS1_3genE4ELNS1_11target_archE910ELNS1_3gpuE8ELNS1_3repE0EEENS1_30default_config_static_selectorELNS0_4arch9wavefront6targetE0EEEvS12_.kd
    .uniform_work_group_size: 1
    .uses_dynamic_stack: false
    .vgpr_count:     0
    .vgpr_spill_count: 0
    .wavefront_size: 32
    .workgroup_processor_mode: 1
  - .args:
      - .offset:         0
        .size:           184
        .value_kind:     by_value
    .group_segment_fixed_size: 0
    .kernarg_segment_align: 8
    .kernarg_segment_size: 184
    .language:       OpenCL C
    .language_version:
      - 2
      - 0
    .max_flat_workgroup_size: 256
    .name:           _ZN7rocprim17ROCPRIM_400000_NS6detail17trampoline_kernelINS0_13select_configILj256ELj13ELNS0_17block_load_methodE3ELS4_3ELS4_3ELNS0_20block_scan_algorithmE0ELj4294967295EEENS1_25partition_config_selectorILNS1_17partition_subalgoE4EjNS0_10empty_typeEbEEZZNS1_14partition_implILS8_4ELb0ES6_15HIP_vector_typeIjLj2EENS0_17counting_iteratorIjlEEPS9_SG_NS0_5tupleIJPjSI_NS0_16reverse_iteratorISI_EEEEENSH_IJSG_SG_SG_EEES9_SI_JZNS1_25segmented_radix_sort_implINS0_14default_configELb1EPKdPdPKlPlN2at6native12_GLOBAL__N_18offset_tEEE10hipError_tPvRmT1_PNSt15iterator_traitsIS12_E10value_typeET2_T3_PNS13_IS18_E10value_typeET4_jRbjT5_S1E_jjP12ihipStream_tbEUljE_ZNSN_ISO_Lb1ESQ_SR_ST_SU_SY_EESZ_S10_S11_S12_S16_S17_S18_S1B_S1C_jS1D_jS1E_S1E_jjS1G_bEUljE0_EEESZ_S10_S11_S18_S1C_S1E_T6_T7_T9_mT8_S1G_bDpT10_ENKUlT_T0_E_clISt17integral_constantIbLb0EES1T_IbLb1EEEEDaS1P_S1Q_EUlS1P_E_NS1_11comp_targetILNS1_3genE3ELNS1_11target_archE908ELNS1_3gpuE7ELNS1_3repE0EEENS1_30default_config_static_selectorELNS0_4arch9wavefront6targetE0EEEvS12_
    .private_segment_fixed_size: 0
    .sgpr_count:     0
    .sgpr_spill_count: 0
    .symbol:         _ZN7rocprim17ROCPRIM_400000_NS6detail17trampoline_kernelINS0_13select_configILj256ELj13ELNS0_17block_load_methodE3ELS4_3ELS4_3ELNS0_20block_scan_algorithmE0ELj4294967295EEENS1_25partition_config_selectorILNS1_17partition_subalgoE4EjNS0_10empty_typeEbEEZZNS1_14partition_implILS8_4ELb0ES6_15HIP_vector_typeIjLj2EENS0_17counting_iteratorIjlEEPS9_SG_NS0_5tupleIJPjSI_NS0_16reverse_iteratorISI_EEEEENSH_IJSG_SG_SG_EEES9_SI_JZNS1_25segmented_radix_sort_implINS0_14default_configELb1EPKdPdPKlPlN2at6native12_GLOBAL__N_18offset_tEEE10hipError_tPvRmT1_PNSt15iterator_traitsIS12_E10value_typeET2_T3_PNS13_IS18_E10value_typeET4_jRbjT5_S1E_jjP12ihipStream_tbEUljE_ZNSN_ISO_Lb1ESQ_SR_ST_SU_SY_EESZ_S10_S11_S12_S16_S17_S18_S1B_S1C_jS1D_jS1E_S1E_jjS1G_bEUljE0_EEESZ_S10_S11_S18_S1C_S1E_T6_T7_T9_mT8_S1G_bDpT10_ENKUlT_T0_E_clISt17integral_constantIbLb0EES1T_IbLb1EEEEDaS1P_S1Q_EUlS1P_E_NS1_11comp_targetILNS1_3genE3ELNS1_11target_archE908ELNS1_3gpuE7ELNS1_3repE0EEENS1_30default_config_static_selectorELNS0_4arch9wavefront6targetE0EEEvS12_.kd
    .uniform_work_group_size: 1
    .uses_dynamic_stack: false
    .vgpr_count:     0
    .vgpr_spill_count: 0
    .wavefront_size: 32
    .workgroup_processor_mode: 1
  - .args:
      - .offset:         0
        .size:           184
        .value_kind:     by_value
    .group_segment_fixed_size: 0
    .kernarg_segment_align: 8
    .kernarg_segment_size: 184
    .language:       OpenCL C
    .language_version:
      - 2
      - 0
    .max_flat_workgroup_size: 256
    .name:           _ZN7rocprim17ROCPRIM_400000_NS6detail17trampoline_kernelINS0_13select_configILj256ELj13ELNS0_17block_load_methodE3ELS4_3ELS4_3ELNS0_20block_scan_algorithmE0ELj4294967295EEENS1_25partition_config_selectorILNS1_17partition_subalgoE4EjNS0_10empty_typeEbEEZZNS1_14partition_implILS8_4ELb0ES6_15HIP_vector_typeIjLj2EENS0_17counting_iteratorIjlEEPS9_SG_NS0_5tupleIJPjSI_NS0_16reverse_iteratorISI_EEEEENSH_IJSG_SG_SG_EEES9_SI_JZNS1_25segmented_radix_sort_implINS0_14default_configELb1EPKdPdPKlPlN2at6native12_GLOBAL__N_18offset_tEEE10hipError_tPvRmT1_PNSt15iterator_traitsIS12_E10value_typeET2_T3_PNS13_IS18_E10value_typeET4_jRbjT5_S1E_jjP12ihipStream_tbEUljE_ZNSN_ISO_Lb1ESQ_SR_ST_SU_SY_EESZ_S10_S11_S12_S16_S17_S18_S1B_S1C_jS1D_jS1E_S1E_jjS1G_bEUljE0_EEESZ_S10_S11_S18_S1C_S1E_T6_T7_T9_mT8_S1G_bDpT10_ENKUlT_T0_E_clISt17integral_constantIbLb0EES1T_IbLb1EEEEDaS1P_S1Q_EUlS1P_E_NS1_11comp_targetILNS1_3genE2ELNS1_11target_archE906ELNS1_3gpuE6ELNS1_3repE0EEENS1_30default_config_static_selectorELNS0_4arch9wavefront6targetE0EEEvS12_
    .private_segment_fixed_size: 0
    .sgpr_count:     0
    .sgpr_spill_count: 0
    .symbol:         _ZN7rocprim17ROCPRIM_400000_NS6detail17trampoline_kernelINS0_13select_configILj256ELj13ELNS0_17block_load_methodE3ELS4_3ELS4_3ELNS0_20block_scan_algorithmE0ELj4294967295EEENS1_25partition_config_selectorILNS1_17partition_subalgoE4EjNS0_10empty_typeEbEEZZNS1_14partition_implILS8_4ELb0ES6_15HIP_vector_typeIjLj2EENS0_17counting_iteratorIjlEEPS9_SG_NS0_5tupleIJPjSI_NS0_16reverse_iteratorISI_EEEEENSH_IJSG_SG_SG_EEES9_SI_JZNS1_25segmented_radix_sort_implINS0_14default_configELb1EPKdPdPKlPlN2at6native12_GLOBAL__N_18offset_tEEE10hipError_tPvRmT1_PNSt15iterator_traitsIS12_E10value_typeET2_T3_PNS13_IS18_E10value_typeET4_jRbjT5_S1E_jjP12ihipStream_tbEUljE_ZNSN_ISO_Lb1ESQ_SR_ST_SU_SY_EESZ_S10_S11_S12_S16_S17_S18_S1B_S1C_jS1D_jS1E_S1E_jjS1G_bEUljE0_EEESZ_S10_S11_S18_S1C_S1E_T6_T7_T9_mT8_S1G_bDpT10_ENKUlT_T0_E_clISt17integral_constantIbLb0EES1T_IbLb1EEEEDaS1P_S1Q_EUlS1P_E_NS1_11comp_targetILNS1_3genE2ELNS1_11target_archE906ELNS1_3gpuE6ELNS1_3repE0EEENS1_30default_config_static_selectorELNS0_4arch9wavefront6targetE0EEEvS12_.kd
    .uniform_work_group_size: 1
    .uses_dynamic_stack: false
    .vgpr_count:     0
    .vgpr_spill_count: 0
    .wavefront_size: 32
    .workgroup_processor_mode: 1
  - .args:
      - .offset:         0
        .size:           184
        .value_kind:     by_value
    .group_segment_fixed_size: 0
    .kernarg_segment_align: 8
    .kernarg_segment_size: 184
    .language:       OpenCL C
    .language_version:
      - 2
      - 0
    .max_flat_workgroup_size: 256
    .name:           _ZN7rocprim17ROCPRIM_400000_NS6detail17trampoline_kernelINS0_13select_configILj256ELj13ELNS0_17block_load_methodE3ELS4_3ELS4_3ELNS0_20block_scan_algorithmE0ELj4294967295EEENS1_25partition_config_selectorILNS1_17partition_subalgoE4EjNS0_10empty_typeEbEEZZNS1_14partition_implILS8_4ELb0ES6_15HIP_vector_typeIjLj2EENS0_17counting_iteratorIjlEEPS9_SG_NS0_5tupleIJPjSI_NS0_16reverse_iteratorISI_EEEEENSH_IJSG_SG_SG_EEES9_SI_JZNS1_25segmented_radix_sort_implINS0_14default_configELb1EPKdPdPKlPlN2at6native12_GLOBAL__N_18offset_tEEE10hipError_tPvRmT1_PNSt15iterator_traitsIS12_E10value_typeET2_T3_PNS13_IS18_E10value_typeET4_jRbjT5_S1E_jjP12ihipStream_tbEUljE_ZNSN_ISO_Lb1ESQ_SR_ST_SU_SY_EESZ_S10_S11_S12_S16_S17_S18_S1B_S1C_jS1D_jS1E_S1E_jjS1G_bEUljE0_EEESZ_S10_S11_S18_S1C_S1E_T6_T7_T9_mT8_S1G_bDpT10_ENKUlT_T0_E_clISt17integral_constantIbLb0EES1T_IbLb1EEEEDaS1P_S1Q_EUlS1P_E_NS1_11comp_targetILNS1_3genE10ELNS1_11target_archE1200ELNS1_3gpuE4ELNS1_3repE0EEENS1_30default_config_static_selectorELNS0_4arch9wavefront6targetE0EEEvS12_
    .private_segment_fixed_size: 0
    .sgpr_count:     0
    .sgpr_spill_count: 0
    .symbol:         _ZN7rocprim17ROCPRIM_400000_NS6detail17trampoline_kernelINS0_13select_configILj256ELj13ELNS0_17block_load_methodE3ELS4_3ELS4_3ELNS0_20block_scan_algorithmE0ELj4294967295EEENS1_25partition_config_selectorILNS1_17partition_subalgoE4EjNS0_10empty_typeEbEEZZNS1_14partition_implILS8_4ELb0ES6_15HIP_vector_typeIjLj2EENS0_17counting_iteratorIjlEEPS9_SG_NS0_5tupleIJPjSI_NS0_16reverse_iteratorISI_EEEEENSH_IJSG_SG_SG_EEES9_SI_JZNS1_25segmented_radix_sort_implINS0_14default_configELb1EPKdPdPKlPlN2at6native12_GLOBAL__N_18offset_tEEE10hipError_tPvRmT1_PNSt15iterator_traitsIS12_E10value_typeET2_T3_PNS13_IS18_E10value_typeET4_jRbjT5_S1E_jjP12ihipStream_tbEUljE_ZNSN_ISO_Lb1ESQ_SR_ST_SU_SY_EESZ_S10_S11_S12_S16_S17_S18_S1B_S1C_jS1D_jS1E_S1E_jjS1G_bEUljE0_EEESZ_S10_S11_S18_S1C_S1E_T6_T7_T9_mT8_S1G_bDpT10_ENKUlT_T0_E_clISt17integral_constantIbLb0EES1T_IbLb1EEEEDaS1P_S1Q_EUlS1P_E_NS1_11comp_targetILNS1_3genE10ELNS1_11target_archE1200ELNS1_3gpuE4ELNS1_3repE0EEENS1_30default_config_static_selectorELNS0_4arch9wavefront6targetE0EEEvS12_.kd
    .uniform_work_group_size: 1
    .uses_dynamic_stack: false
    .vgpr_count:     0
    .vgpr_spill_count: 0
    .wavefront_size: 32
    .workgroup_processor_mode: 1
  - .args:
      - .offset:         0
        .size:           184
        .value_kind:     by_value
    .group_segment_fixed_size: 13340
    .kernarg_segment_align: 8
    .kernarg_segment_size: 184
    .language:       OpenCL C
    .language_version:
      - 2
      - 0
    .max_flat_workgroup_size: 256
    .name:           _ZN7rocprim17ROCPRIM_400000_NS6detail17trampoline_kernelINS0_13select_configILj256ELj13ELNS0_17block_load_methodE3ELS4_3ELS4_3ELNS0_20block_scan_algorithmE0ELj4294967295EEENS1_25partition_config_selectorILNS1_17partition_subalgoE4EjNS0_10empty_typeEbEEZZNS1_14partition_implILS8_4ELb0ES6_15HIP_vector_typeIjLj2EENS0_17counting_iteratorIjlEEPS9_SG_NS0_5tupleIJPjSI_NS0_16reverse_iteratorISI_EEEEENSH_IJSG_SG_SG_EEES9_SI_JZNS1_25segmented_radix_sort_implINS0_14default_configELb1EPKdPdPKlPlN2at6native12_GLOBAL__N_18offset_tEEE10hipError_tPvRmT1_PNSt15iterator_traitsIS12_E10value_typeET2_T3_PNS13_IS18_E10value_typeET4_jRbjT5_S1E_jjP12ihipStream_tbEUljE_ZNSN_ISO_Lb1ESQ_SR_ST_SU_SY_EESZ_S10_S11_S12_S16_S17_S18_S1B_S1C_jS1D_jS1E_S1E_jjS1G_bEUljE0_EEESZ_S10_S11_S18_S1C_S1E_T6_T7_T9_mT8_S1G_bDpT10_ENKUlT_T0_E_clISt17integral_constantIbLb0EES1T_IbLb1EEEEDaS1P_S1Q_EUlS1P_E_NS1_11comp_targetILNS1_3genE9ELNS1_11target_archE1100ELNS1_3gpuE3ELNS1_3repE0EEENS1_30default_config_static_selectorELNS0_4arch9wavefront6targetE0EEEvS12_
    .private_segment_fixed_size: 0
    .sgpr_count:     57
    .sgpr_spill_count: 0
    .symbol:         _ZN7rocprim17ROCPRIM_400000_NS6detail17trampoline_kernelINS0_13select_configILj256ELj13ELNS0_17block_load_methodE3ELS4_3ELS4_3ELNS0_20block_scan_algorithmE0ELj4294967295EEENS1_25partition_config_selectorILNS1_17partition_subalgoE4EjNS0_10empty_typeEbEEZZNS1_14partition_implILS8_4ELb0ES6_15HIP_vector_typeIjLj2EENS0_17counting_iteratorIjlEEPS9_SG_NS0_5tupleIJPjSI_NS0_16reverse_iteratorISI_EEEEENSH_IJSG_SG_SG_EEES9_SI_JZNS1_25segmented_radix_sort_implINS0_14default_configELb1EPKdPdPKlPlN2at6native12_GLOBAL__N_18offset_tEEE10hipError_tPvRmT1_PNSt15iterator_traitsIS12_E10value_typeET2_T3_PNS13_IS18_E10value_typeET4_jRbjT5_S1E_jjP12ihipStream_tbEUljE_ZNSN_ISO_Lb1ESQ_SR_ST_SU_SY_EESZ_S10_S11_S12_S16_S17_S18_S1B_S1C_jS1D_jS1E_S1E_jjS1G_bEUljE0_EEESZ_S10_S11_S18_S1C_S1E_T6_T7_T9_mT8_S1G_bDpT10_ENKUlT_T0_E_clISt17integral_constantIbLb0EES1T_IbLb1EEEEDaS1P_S1Q_EUlS1P_E_NS1_11comp_targetILNS1_3genE9ELNS1_11target_archE1100ELNS1_3gpuE3ELNS1_3repE0EEENS1_30default_config_static_selectorELNS0_4arch9wavefront6targetE0EEEvS12_.kd
    .uniform_work_group_size: 1
    .uses_dynamic_stack: false
    .vgpr_count:     103
    .vgpr_spill_count: 0
    .wavefront_size: 32
    .workgroup_processor_mode: 1
  - .args:
      - .offset:         0
        .size:           184
        .value_kind:     by_value
    .group_segment_fixed_size: 0
    .kernarg_segment_align: 8
    .kernarg_segment_size: 184
    .language:       OpenCL C
    .language_version:
      - 2
      - 0
    .max_flat_workgroup_size: 256
    .name:           _ZN7rocprim17ROCPRIM_400000_NS6detail17trampoline_kernelINS0_13select_configILj256ELj13ELNS0_17block_load_methodE3ELS4_3ELS4_3ELNS0_20block_scan_algorithmE0ELj4294967295EEENS1_25partition_config_selectorILNS1_17partition_subalgoE4EjNS0_10empty_typeEbEEZZNS1_14partition_implILS8_4ELb0ES6_15HIP_vector_typeIjLj2EENS0_17counting_iteratorIjlEEPS9_SG_NS0_5tupleIJPjSI_NS0_16reverse_iteratorISI_EEEEENSH_IJSG_SG_SG_EEES9_SI_JZNS1_25segmented_radix_sort_implINS0_14default_configELb1EPKdPdPKlPlN2at6native12_GLOBAL__N_18offset_tEEE10hipError_tPvRmT1_PNSt15iterator_traitsIS12_E10value_typeET2_T3_PNS13_IS18_E10value_typeET4_jRbjT5_S1E_jjP12ihipStream_tbEUljE_ZNSN_ISO_Lb1ESQ_SR_ST_SU_SY_EESZ_S10_S11_S12_S16_S17_S18_S1B_S1C_jS1D_jS1E_S1E_jjS1G_bEUljE0_EEESZ_S10_S11_S18_S1C_S1E_T6_T7_T9_mT8_S1G_bDpT10_ENKUlT_T0_E_clISt17integral_constantIbLb0EES1T_IbLb1EEEEDaS1P_S1Q_EUlS1P_E_NS1_11comp_targetILNS1_3genE8ELNS1_11target_archE1030ELNS1_3gpuE2ELNS1_3repE0EEENS1_30default_config_static_selectorELNS0_4arch9wavefront6targetE0EEEvS12_
    .private_segment_fixed_size: 0
    .sgpr_count:     0
    .sgpr_spill_count: 0
    .symbol:         _ZN7rocprim17ROCPRIM_400000_NS6detail17trampoline_kernelINS0_13select_configILj256ELj13ELNS0_17block_load_methodE3ELS4_3ELS4_3ELNS0_20block_scan_algorithmE0ELj4294967295EEENS1_25partition_config_selectorILNS1_17partition_subalgoE4EjNS0_10empty_typeEbEEZZNS1_14partition_implILS8_4ELb0ES6_15HIP_vector_typeIjLj2EENS0_17counting_iteratorIjlEEPS9_SG_NS0_5tupleIJPjSI_NS0_16reverse_iteratorISI_EEEEENSH_IJSG_SG_SG_EEES9_SI_JZNS1_25segmented_radix_sort_implINS0_14default_configELb1EPKdPdPKlPlN2at6native12_GLOBAL__N_18offset_tEEE10hipError_tPvRmT1_PNSt15iterator_traitsIS12_E10value_typeET2_T3_PNS13_IS18_E10value_typeET4_jRbjT5_S1E_jjP12ihipStream_tbEUljE_ZNSN_ISO_Lb1ESQ_SR_ST_SU_SY_EESZ_S10_S11_S12_S16_S17_S18_S1B_S1C_jS1D_jS1E_S1E_jjS1G_bEUljE0_EEESZ_S10_S11_S18_S1C_S1E_T6_T7_T9_mT8_S1G_bDpT10_ENKUlT_T0_E_clISt17integral_constantIbLb0EES1T_IbLb1EEEEDaS1P_S1Q_EUlS1P_E_NS1_11comp_targetILNS1_3genE8ELNS1_11target_archE1030ELNS1_3gpuE2ELNS1_3repE0EEENS1_30default_config_static_selectorELNS0_4arch9wavefront6targetE0EEEvS12_.kd
    .uniform_work_group_size: 1
    .uses_dynamic_stack: false
    .vgpr_count:     0
    .vgpr_spill_count: 0
    .wavefront_size: 32
    .workgroup_processor_mode: 1
  - .args:
      - .offset:         0
        .size:           144
        .value_kind:     by_value
    .group_segment_fixed_size: 0
    .kernarg_segment_align: 8
    .kernarg_segment_size: 144
    .language:       OpenCL C
    .language_version:
      - 2
      - 0
    .max_flat_workgroup_size: 256
    .name:           _ZN7rocprim17ROCPRIM_400000_NS6detail17trampoline_kernelINS0_13select_configILj256ELj13ELNS0_17block_load_methodE3ELS4_3ELS4_3ELNS0_20block_scan_algorithmE0ELj4294967295EEENS1_25partition_config_selectorILNS1_17partition_subalgoE3EjNS0_10empty_typeEbEEZZNS1_14partition_implILS8_3ELb0ES6_jNS0_17counting_iteratorIjlEEPS9_SE_NS0_5tupleIJPjSE_EEENSF_IJSE_SE_EEES9_SG_JZNS1_25segmented_radix_sort_implINS0_14default_configELb1EPKdPdPKlPlN2at6native12_GLOBAL__N_18offset_tEEE10hipError_tPvRmT1_PNSt15iterator_traitsISY_E10value_typeET2_T3_PNSZ_IS14_E10value_typeET4_jRbjT5_S1A_jjP12ihipStream_tbEUljE_EEESV_SW_SX_S14_S18_S1A_T6_T7_T9_mT8_S1C_bDpT10_ENKUlT_T0_E_clISt17integral_constantIbLb0EES1P_EEDaS1K_S1L_EUlS1K_E_NS1_11comp_targetILNS1_3genE0ELNS1_11target_archE4294967295ELNS1_3gpuE0ELNS1_3repE0EEENS1_30default_config_static_selectorELNS0_4arch9wavefront6targetE0EEEvSY_
    .private_segment_fixed_size: 0
    .sgpr_count:     0
    .sgpr_spill_count: 0
    .symbol:         _ZN7rocprim17ROCPRIM_400000_NS6detail17trampoline_kernelINS0_13select_configILj256ELj13ELNS0_17block_load_methodE3ELS4_3ELS4_3ELNS0_20block_scan_algorithmE0ELj4294967295EEENS1_25partition_config_selectorILNS1_17partition_subalgoE3EjNS0_10empty_typeEbEEZZNS1_14partition_implILS8_3ELb0ES6_jNS0_17counting_iteratorIjlEEPS9_SE_NS0_5tupleIJPjSE_EEENSF_IJSE_SE_EEES9_SG_JZNS1_25segmented_radix_sort_implINS0_14default_configELb1EPKdPdPKlPlN2at6native12_GLOBAL__N_18offset_tEEE10hipError_tPvRmT1_PNSt15iterator_traitsISY_E10value_typeET2_T3_PNSZ_IS14_E10value_typeET4_jRbjT5_S1A_jjP12ihipStream_tbEUljE_EEESV_SW_SX_S14_S18_S1A_T6_T7_T9_mT8_S1C_bDpT10_ENKUlT_T0_E_clISt17integral_constantIbLb0EES1P_EEDaS1K_S1L_EUlS1K_E_NS1_11comp_targetILNS1_3genE0ELNS1_11target_archE4294967295ELNS1_3gpuE0ELNS1_3repE0EEENS1_30default_config_static_selectorELNS0_4arch9wavefront6targetE0EEEvSY_.kd
    .uniform_work_group_size: 1
    .uses_dynamic_stack: false
    .vgpr_count:     0
    .vgpr_spill_count: 0
    .wavefront_size: 32
    .workgroup_processor_mode: 1
  - .args:
      - .offset:         0
        .size:           144
        .value_kind:     by_value
    .group_segment_fixed_size: 0
    .kernarg_segment_align: 8
    .kernarg_segment_size: 144
    .language:       OpenCL C
    .language_version:
      - 2
      - 0
    .max_flat_workgroup_size: 256
    .name:           _ZN7rocprim17ROCPRIM_400000_NS6detail17trampoline_kernelINS0_13select_configILj256ELj13ELNS0_17block_load_methodE3ELS4_3ELS4_3ELNS0_20block_scan_algorithmE0ELj4294967295EEENS1_25partition_config_selectorILNS1_17partition_subalgoE3EjNS0_10empty_typeEbEEZZNS1_14partition_implILS8_3ELb0ES6_jNS0_17counting_iteratorIjlEEPS9_SE_NS0_5tupleIJPjSE_EEENSF_IJSE_SE_EEES9_SG_JZNS1_25segmented_radix_sort_implINS0_14default_configELb1EPKdPdPKlPlN2at6native12_GLOBAL__N_18offset_tEEE10hipError_tPvRmT1_PNSt15iterator_traitsISY_E10value_typeET2_T3_PNSZ_IS14_E10value_typeET4_jRbjT5_S1A_jjP12ihipStream_tbEUljE_EEESV_SW_SX_S14_S18_S1A_T6_T7_T9_mT8_S1C_bDpT10_ENKUlT_T0_E_clISt17integral_constantIbLb0EES1P_EEDaS1K_S1L_EUlS1K_E_NS1_11comp_targetILNS1_3genE5ELNS1_11target_archE942ELNS1_3gpuE9ELNS1_3repE0EEENS1_30default_config_static_selectorELNS0_4arch9wavefront6targetE0EEEvSY_
    .private_segment_fixed_size: 0
    .sgpr_count:     0
    .sgpr_spill_count: 0
    .symbol:         _ZN7rocprim17ROCPRIM_400000_NS6detail17trampoline_kernelINS0_13select_configILj256ELj13ELNS0_17block_load_methodE3ELS4_3ELS4_3ELNS0_20block_scan_algorithmE0ELj4294967295EEENS1_25partition_config_selectorILNS1_17partition_subalgoE3EjNS0_10empty_typeEbEEZZNS1_14partition_implILS8_3ELb0ES6_jNS0_17counting_iteratorIjlEEPS9_SE_NS0_5tupleIJPjSE_EEENSF_IJSE_SE_EEES9_SG_JZNS1_25segmented_radix_sort_implINS0_14default_configELb1EPKdPdPKlPlN2at6native12_GLOBAL__N_18offset_tEEE10hipError_tPvRmT1_PNSt15iterator_traitsISY_E10value_typeET2_T3_PNSZ_IS14_E10value_typeET4_jRbjT5_S1A_jjP12ihipStream_tbEUljE_EEESV_SW_SX_S14_S18_S1A_T6_T7_T9_mT8_S1C_bDpT10_ENKUlT_T0_E_clISt17integral_constantIbLb0EES1P_EEDaS1K_S1L_EUlS1K_E_NS1_11comp_targetILNS1_3genE5ELNS1_11target_archE942ELNS1_3gpuE9ELNS1_3repE0EEENS1_30default_config_static_selectorELNS0_4arch9wavefront6targetE0EEEvSY_.kd
    .uniform_work_group_size: 1
    .uses_dynamic_stack: false
    .vgpr_count:     0
    .vgpr_spill_count: 0
    .wavefront_size: 32
    .workgroup_processor_mode: 1
  - .args:
      - .offset:         0
        .size:           144
        .value_kind:     by_value
    .group_segment_fixed_size: 0
    .kernarg_segment_align: 8
    .kernarg_segment_size: 144
    .language:       OpenCL C
    .language_version:
      - 2
      - 0
    .max_flat_workgroup_size: 256
    .name:           _ZN7rocprim17ROCPRIM_400000_NS6detail17trampoline_kernelINS0_13select_configILj256ELj13ELNS0_17block_load_methodE3ELS4_3ELS4_3ELNS0_20block_scan_algorithmE0ELj4294967295EEENS1_25partition_config_selectorILNS1_17partition_subalgoE3EjNS0_10empty_typeEbEEZZNS1_14partition_implILS8_3ELb0ES6_jNS0_17counting_iteratorIjlEEPS9_SE_NS0_5tupleIJPjSE_EEENSF_IJSE_SE_EEES9_SG_JZNS1_25segmented_radix_sort_implINS0_14default_configELb1EPKdPdPKlPlN2at6native12_GLOBAL__N_18offset_tEEE10hipError_tPvRmT1_PNSt15iterator_traitsISY_E10value_typeET2_T3_PNSZ_IS14_E10value_typeET4_jRbjT5_S1A_jjP12ihipStream_tbEUljE_EEESV_SW_SX_S14_S18_S1A_T6_T7_T9_mT8_S1C_bDpT10_ENKUlT_T0_E_clISt17integral_constantIbLb0EES1P_EEDaS1K_S1L_EUlS1K_E_NS1_11comp_targetILNS1_3genE4ELNS1_11target_archE910ELNS1_3gpuE8ELNS1_3repE0EEENS1_30default_config_static_selectorELNS0_4arch9wavefront6targetE0EEEvSY_
    .private_segment_fixed_size: 0
    .sgpr_count:     0
    .sgpr_spill_count: 0
    .symbol:         _ZN7rocprim17ROCPRIM_400000_NS6detail17trampoline_kernelINS0_13select_configILj256ELj13ELNS0_17block_load_methodE3ELS4_3ELS4_3ELNS0_20block_scan_algorithmE0ELj4294967295EEENS1_25partition_config_selectorILNS1_17partition_subalgoE3EjNS0_10empty_typeEbEEZZNS1_14partition_implILS8_3ELb0ES6_jNS0_17counting_iteratorIjlEEPS9_SE_NS0_5tupleIJPjSE_EEENSF_IJSE_SE_EEES9_SG_JZNS1_25segmented_radix_sort_implINS0_14default_configELb1EPKdPdPKlPlN2at6native12_GLOBAL__N_18offset_tEEE10hipError_tPvRmT1_PNSt15iterator_traitsISY_E10value_typeET2_T3_PNSZ_IS14_E10value_typeET4_jRbjT5_S1A_jjP12ihipStream_tbEUljE_EEESV_SW_SX_S14_S18_S1A_T6_T7_T9_mT8_S1C_bDpT10_ENKUlT_T0_E_clISt17integral_constantIbLb0EES1P_EEDaS1K_S1L_EUlS1K_E_NS1_11comp_targetILNS1_3genE4ELNS1_11target_archE910ELNS1_3gpuE8ELNS1_3repE0EEENS1_30default_config_static_selectorELNS0_4arch9wavefront6targetE0EEEvSY_.kd
    .uniform_work_group_size: 1
    .uses_dynamic_stack: false
    .vgpr_count:     0
    .vgpr_spill_count: 0
    .wavefront_size: 32
    .workgroup_processor_mode: 1
  - .args:
      - .offset:         0
        .size:           144
        .value_kind:     by_value
    .group_segment_fixed_size: 0
    .kernarg_segment_align: 8
    .kernarg_segment_size: 144
    .language:       OpenCL C
    .language_version:
      - 2
      - 0
    .max_flat_workgroup_size: 256
    .name:           _ZN7rocprim17ROCPRIM_400000_NS6detail17trampoline_kernelINS0_13select_configILj256ELj13ELNS0_17block_load_methodE3ELS4_3ELS4_3ELNS0_20block_scan_algorithmE0ELj4294967295EEENS1_25partition_config_selectorILNS1_17partition_subalgoE3EjNS0_10empty_typeEbEEZZNS1_14partition_implILS8_3ELb0ES6_jNS0_17counting_iteratorIjlEEPS9_SE_NS0_5tupleIJPjSE_EEENSF_IJSE_SE_EEES9_SG_JZNS1_25segmented_radix_sort_implINS0_14default_configELb1EPKdPdPKlPlN2at6native12_GLOBAL__N_18offset_tEEE10hipError_tPvRmT1_PNSt15iterator_traitsISY_E10value_typeET2_T3_PNSZ_IS14_E10value_typeET4_jRbjT5_S1A_jjP12ihipStream_tbEUljE_EEESV_SW_SX_S14_S18_S1A_T6_T7_T9_mT8_S1C_bDpT10_ENKUlT_T0_E_clISt17integral_constantIbLb0EES1P_EEDaS1K_S1L_EUlS1K_E_NS1_11comp_targetILNS1_3genE3ELNS1_11target_archE908ELNS1_3gpuE7ELNS1_3repE0EEENS1_30default_config_static_selectorELNS0_4arch9wavefront6targetE0EEEvSY_
    .private_segment_fixed_size: 0
    .sgpr_count:     0
    .sgpr_spill_count: 0
    .symbol:         _ZN7rocprim17ROCPRIM_400000_NS6detail17trampoline_kernelINS0_13select_configILj256ELj13ELNS0_17block_load_methodE3ELS4_3ELS4_3ELNS0_20block_scan_algorithmE0ELj4294967295EEENS1_25partition_config_selectorILNS1_17partition_subalgoE3EjNS0_10empty_typeEbEEZZNS1_14partition_implILS8_3ELb0ES6_jNS0_17counting_iteratorIjlEEPS9_SE_NS0_5tupleIJPjSE_EEENSF_IJSE_SE_EEES9_SG_JZNS1_25segmented_radix_sort_implINS0_14default_configELb1EPKdPdPKlPlN2at6native12_GLOBAL__N_18offset_tEEE10hipError_tPvRmT1_PNSt15iterator_traitsISY_E10value_typeET2_T3_PNSZ_IS14_E10value_typeET4_jRbjT5_S1A_jjP12ihipStream_tbEUljE_EEESV_SW_SX_S14_S18_S1A_T6_T7_T9_mT8_S1C_bDpT10_ENKUlT_T0_E_clISt17integral_constantIbLb0EES1P_EEDaS1K_S1L_EUlS1K_E_NS1_11comp_targetILNS1_3genE3ELNS1_11target_archE908ELNS1_3gpuE7ELNS1_3repE0EEENS1_30default_config_static_selectorELNS0_4arch9wavefront6targetE0EEEvSY_.kd
    .uniform_work_group_size: 1
    .uses_dynamic_stack: false
    .vgpr_count:     0
    .vgpr_spill_count: 0
    .wavefront_size: 32
    .workgroup_processor_mode: 1
  - .args:
      - .offset:         0
        .size:           144
        .value_kind:     by_value
    .group_segment_fixed_size: 0
    .kernarg_segment_align: 8
    .kernarg_segment_size: 144
    .language:       OpenCL C
    .language_version:
      - 2
      - 0
    .max_flat_workgroup_size: 256
    .name:           _ZN7rocprim17ROCPRIM_400000_NS6detail17trampoline_kernelINS0_13select_configILj256ELj13ELNS0_17block_load_methodE3ELS4_3ELS4_3ELNS0_20block_scan_algorithmE0ELj4294967295EEENS1_25partition_config_selectorILNS1_17partition_subalgoE3EjNS0_10empty_typeEbEEZZNS1_14partition_implILS8_3ELb0ES6_jNS0_17counting_iteratorIjlEEPS9_SE_NS0_5tupleIJPjSE_EEENSF_IJSE_SE_EEES9_SG_JZNS1_25segmented_radix_sort_implINS0_14default_configELb1EPKdPdPKlPlN2at6native12_GLOBAL__N_18offset_tEEE10hipError_tPvRmT1_PNSt15iterator_traitsISY_E10value_typeET2_T3_PNSZ_IS14_E10value_typeET4_jRbjT5_S1A_jjP12ihipStream_tbEUljE_EEESV_SW_SX_S14_S18_S1A_T6_T7_T9_mT8_S1C_bDpT10_ENKUlT_T0_E_clISt17integral_constantIbLb0EES1P_EEDaS1K_S1L_EUlS1K_E_NS1_11comp_targetILNS1_3genE2ELNS1_11target_archE906ELNS1_3gpuE6ELNS1_3repE0EEENS1_30default_config_static_selectorELNS0_4arch9wavefront6targetE0EEEvSY_
    .private_segment_fixed_size: 0
    .sgpr_count:     0
    .sgpr_spill_count: 0
    .symbol:         _ZN7rocprim17ROCPRIM_400000_NS6detail17trampoline_kernelINS0_13select_configILj256ELj13ELNS0_17block_load_methodE3ELS4_3ELS4_3ELNS0_20block_scan_algorithmE0ELj4294967295EEENS1_25partition_config_selectorILNS1_17partition_subalgoE3EjNS0_10empty_typeEbEEZZNS1_14partition_implILS8_3ELb0ES6_jNS0_17counting_iteratorIjlEEPS9_SE_NS0_5tupleIJPjSE_EEENSF_IJSE_SE_EEES9_SG_JZNS1_25segmented_radix_sort_implINS0_14default_configELb1EPKdPdPKlPlN2at6native12_GLOBAL__N_18offset_tEEE10hipError_tPvRmT1_PNSt15iterator_traitsISY_E10value_typeET2_T3_PNSZ_IS14_E10value_typeET4_jRbjT5_S1A_jjP12ihipStream_tbEUljE_EEESV_SW_SX_S14_S18_S1A_T6_T7_T9_mT8_S1C_bDpT10_ENKUlT_T0_E_clISt17integral_constantIbLb0EES1P_EEDaS1K_S1L_EUlS1K_E_NS1_11comp_targetILNS1_3genE2ELNS1_11target_archE906ELNS1_3gpuE6ELNS1_3repE0EEENS1_30default_config_static_selectorELNS0_4arch9wavefront6targetE0EEEvSY_.kd
    .uniform_work_group_size: 1
    .uses_dynamic_stack: false
    .vgpr_count:     0
    .vgpr_spill_count: 0
    .wavefront_size: 32
    .workgroup_processor_mode: 1
  - .args:
      - .offset:         0
        .size:           144
        .value_kind:     by_value
    .group_segment_fixed_size: 0
    .kernarg_segment_align: 8
    .kernarg_segment_size: 144
    .language:       OpenCL C
    .language_version:
      - 2
      - 0
    .max_flat_workgroup_size: 256
    .name:           _ZN7rocprim17ROCPRIM_400000_NS6detail17trampoline_kernelINS0_13select_configILj256ELj13ELNS0_17block_load_methodE3ELS4_3ELS4_3ELNS0_20block_scan_algorithmE0ELj4294967295EEENS1_25partition_config_selectorILNS1_17partition_subalgoE3EjNS0_10empty_typeEbEEZZNS1_14partition_implILS8_3ELb0ES6_jNS0_17counting_iteratorIjlEEPS9_SE_NS0_5tupleIJPjSE_EEENSF_IJSE_SE_EEES9_SG_JZNS1_25segmented_radix_sort_implINS0_14default_configELb1EPKdPdPKlPlN2at6native12_GLOBAL__N_18offset_tEEE10hipError_tPvRmT1_PNSt15iterator_traitsISY_E10value_typeET2_T3_PNSZ_IS14_E10value_typeET4_jRbjT5_S1A_jjP12ihipStream_tbEUljE_EEESV_SW_SX_S14_S18_S1A_T6_T7_T9_mT8_S1C_bDpT10_ENKUlT_T0_E_clISt17integral_constantIbLb0EES1P_EEDaS1K_S1L_EUlS1K_E_NS1_11comp_targetILNS1_3genE10ELNS1_11target_archE1200ELNS1_3gpuE4ELNS1_3repE0EEENS1_30default_config_static_selectorELNS0_4arch9wavefront6targetE0EEEvSY_
    .private_segment_fixed_size: 0
    .sgpr_count:     0
    .sgpr_spill_count: 0
    .symbol:         _ZN7rocprim17ROCPRIM_400000_NS6detail17trampoline_kernelINS0_13select_configILj256ELj13ELNS0_17block_load_methodE3ELS4_3ELS4_3ELNS0_20block_scan_algorithmE0ELj4294967295EEENS1_25partition_config_selectorILNS1_17partition_subalgoE3EjNS0_10empty_typeEbEEZZNS1_14partition_implILS8_3ELb0ES6_jNS0_17counting_iteratorIjlEEPS9_SE_NS0_5tupleIJPjSE_EEENSF_IJSE_SE_EEES9_SG_JZNS1_25segmented_radix_sort_implINS0_14default_configELb1EPKdPdPKlPlN2at6native12_GLOBAL__N_18offset_tEEE10hipError_tPvRmT1_PNSt15iterator_traitsISY_E10value_typeET2_T3_PNSZ_IS14_E10value_typeET4_jRbjT5_S1A_jjP12ihipStream_tbEUljE_EEESV_SW_SX_S14_S18_S1A_T6_T7_T9_mT8_S1C_bDpT10_ENKUlT_T0_E_clISt17integral_constantIbLb0EES1P_EEDaS1K_S1L_EUlS1K_E_NS1_11comp_targetILNS1_3genE10ELNS1_11target_archE1200ELNS1_3gpuE4ELNS1_3repE0EEENS1_30default_config_static_selectorELNS0_4arch9wavefront6targetE0EEEvSY_.kd
    .uniform_work_group_size: 1
    .uses_dynamic_stack: false
    .vgpr_count:     0
    .vgpr_spill_count: 0
    .wavefront_size: 32
    .workgroup_processor_mode: 1
  - .args:
      - .offset:         0
        .size:           144
        .value_kind:     by_value
    .group_segment_fixed_size: 13324
    .kernarg_segment_align: 8
    .kernarg_segment_size: 144
    .language:       OpenCL C
    .language_version:
      - 2
      - 0
    .max_flat_workgroup_size: 256
    .name:           _ZN7rocprim17ROCPRIM_400000_NS6detail17trampoline_kernelINS0_13select_configILj256ELj13ELNS0_17block_load_methodE3ELS4_3ELS4_3ELNS0_20block_scan_algorithmE0ELj4294967295EEENS1_25partition_config_selectorILNS1_17partition_subalgoE3EjNS0_10empty_typeEbEEZZNS1_14partition_implILS8_3ELb0ES6_jNS0_17counting_iteratorIjlEEPS9_SE_NS0_5tupleIJPjSE_EEENSF_IJSE_SE_EEES9_SG_JZNS1_25segmented_radix_sort_implINS0_14default_configELb1EPKdPdPKlPlN2at6native12_GLOBAL__N_18offset_tEEE10hipError_tPvRmT1_PNSt15iterator_traitsISY_E10value_typeET2_T3_PNSZ_IS14_E10value_typeET4_jRbjT5_S1A_jjP12ihipStream_tbEUljE_EEESV_SW_SX_S14_S18_S1A_T6_T7_T9_mT8_S1C_bDpT10_ENKUlT_T0_E_clISt17integral_constantIbLb0EES1P_EEDaS1K_S1L_EUlS1K_E_NS1_11comp_targetILNS1_3genE9ELNS1_11target_archE1100ELNS1_3gpuE3ELNS1_3repE0EEENS1_30default_config_static_selectorELNS0_4arch9wavefront6targetE0EEEvSY_
    .private_segment_fixed_size: 0
    .sgpr_count:     30
    .sgpr_spill_count: 0
    .symbol:         _ZN7rocprim17ROCPRIM_400000_NS6detail17trampoline_kernelINS0_13select_configILj256ELj13ELNS0_17block_load_methodE3ELS4_3ELS4_3ELNS0_20block_scan_algorithmE0ELj4294967295EEENS1_25partition_config_selectorILNS1_17partition_subalgoE3EjNS0_10empty_typeEbEEZZNS1_14partition_implILS8_3ELb0ES6_jNS0_17counting_iteratorIjlEEPS9_SE_NS0_5tupleIJPjSE_EEENSF_IJSE_SE_EEES9_SG_JZNS1_25segmented_radix_sort_implINS0_14default_configELb1EPKdPdPKlPlN2at6native12_GLOBAL__N_18offset_tEEE10hipError_tPvRmT1_PNSt15iterator_traitsISY_E10value_typeET2_T3_PNSZ_IS14_E10value_typeET4_jRbjT5_S1A_jjP12ihipStream_tbEUljE_EEESV_SW_SX_S14_S18_S1A_T6_T7_T9_mT8_S1C_bDpT10_ENKUlT_T0_E_clISt17integral_constantIbLb0EES1P_EEDaS1K_S1L_EUlS1K_E_NS1_11comp_targetILNS1_3genE9ELNS1_11target_archE1100ELNS1_3gpuE3ELNS1_3repE0EEENS1_30default_config_static_selectorELNS0_4arch9wavefront6targetE0EEEvSY_.kd
    .uniform_work_group_size: 1
    .uses_dynamic_stack: false
    .vgpr_count:     57
    .vgpr_spill_count: 0
    .wavefront_size: 32
    .workgroup_processor_mode: 1
  - .args:
      - .offset:         0
        .size:           144
        .value_kind:     by_value
    .group_segment_fixed_size: 0
    .kernarg_segment_align: 8
    .kernarg_segment_size: 144
    .language:       OpenCL C
    .language_version:
      - 2
      - 0
    .max_flat_workgroup_size: 256
    .name:           _ZN7rocprim17ROCPRIM_400000_NS6detail17trampoline_kernelINS0_13select_configILj256ELj13ELNS0_17block_load_methodE3ELS4_3ELS4_3ELNS0_20block_scan_algorithmE0ELj4294967295EEENS1_25partition_config_selectorILNS1_17partition_subalgoE3EjNS0_10empty_typeEbEEZZNS1_14partition_implILS8_3ELb0ES6_jNS0_17counting_iteratorIjlEEPS9_SE_NS0_5tupleIJPjSE_EEENSF_IJSE_SE_EEES9_SG_JZNS1_25segmented_radix_sort_implINS0_14default_configELb1EPKdPdPKlPlN2at6native12_GLOBAL__N_18offset_tEEE10hipError_tPvRmT1_PNSt15iterator_traitsISY_E10value_typeET2_T3_PNSZ_IS14_E10value_typeET4_jRbjT5_S1A_jjP12ihipStream_tbEUljE_EEESV_SW_SX_S14_S18_S1A_T6_T7_T9_mT8_S1C_bDpT10_ENKUlT_T0_E_clISt17integral_constantIbLb0EES1P_EEDaS1K_S1L_EUlS1K_E_NS1_11comp_targetILNS1_3genE8ELNS1_11target_archE1030ELNS1_3gpuE2ELNS1_3repE0EEENS1_30default_config_static_selectorELNS0_4arch9wavefront6targetE0EEEvSY_
    .private_segment_fixed_size: 0
    .sgpr_count:     0
    .sgpr_spill_count: 0
    .symbol:         _ZN7rocprim17ROCPRIM_400000_NS6detail17trampoline_kernelINS0_13select_configILj256ELj13ELNS0_17block_load_methodE3ELS4_3ELS4_3ELNS0_20block_scan_algorithmE0ELj4294967295EEENS1_25partition_config_selectorILNS1_17partition_subalgoE3EjNS0_10empty_typeEbEEZZNS1_14partition_implILS8_3ELb0ES6_jNS0_17counting_iteratorIjlEEPS9_SE_NS0_5tupleIJPjSE_EEENSF_IJSE_SE_EEES9_SG_JZNS1_25segmented_radix_sort_implINS0_14default_configELb1EPKdPdPKlPlN2at6native12_GLOBAL__N_18offset_tEEE10hipError_tPvRmT1_PNSt15iterator_traitsISY_E10value_typeET2_T3_PNSZ_IS14_E10value_typeET4_jRbjT5_S1A_jjP12ihipStream_tbEUljE_EEESV_SW_SX_S14_S18_S1A_T6_T7_T9_mT8_S1C_bDpT10_ENKUlT_T0_E_clISt17integral_constantIbLb0EES1P_EEDaS1K_S1L_EUlS1K_E_NS1_11comp_targetILNS1_3genE8ELNS1_11target_archE1030ELNS1_3gpuE2ELNS1_3repE0EEENS1_30default_config_static_selectorELNS0_4arch9wavefront6targetE0EEEvSY_.kd
    .uniform_work_group_size: 1
    .uses_dynamic_stack: false
    .vgpr_count:     0
    .vgpr_spill_count: 0
    .wavefront_size: 32
    .workgroup_processor_mode: 1
  - .args:
      - .offset:         0
        .size:           152
        .value_kind:     by_value
    .group_segment_fixed_size: 0
    .kernarg_segment_align: 8
    .kernarg_segment_size: 152
    .language:       OpenCL C
    .language_version:
      - 2
      - 0
    .max_flat_workgroup_size: 256
    .name:           _ZN7rocprim17ROCPRIM_400000_NS6detail17trampoline_kernelINS0_13select_configILj256ELj13ELNS0_17block_load_methodE3ELS4_3ELS4_3ELNS0_20block_scan_algorithmE0ELj4294967295EEENS1_25partition_config_selectorILNS1_17partition_subalgoE3EjNS0_10empty_typeEbEEZZNS1_14partition_implILS8_3ELb0ES6_jNS0_17counting_iteratorIjlEEPS9_SE_NS0_5tupleIJPjSE_EEENSF_IJSE_SE_EEES9_SG_JZNS1_25segmented_radix_sort_implINS0_14default_configELb1EPKdPdPKlPlN2at6native12_GLOBAL__N_18offset_tEEE10hipError_tPvRmT1_PNSt15iterator_traitsISY_E10value_typeET2_T3_PNSZ_IS14_E10value_typeET4_jRbjT5_S1A_jjP12ihipStream_tbEUljE_EEESV_SW_SX_S14_S18_S1A_T6_T7_T9_mT8_S1C_bDpT10_ENKUlT_T0_E_clISt17integral_constantIbLb1EES1P_EEDaS1K_S1L_EUlS1K_E_NS1_11comp_targetILNS1_3genE0ELNS1_11target_archE4294967295ELNS1_3gpuE0ELNS1_3repE0EEENS1_30default_config_static_selectorELNS0_4arch9wavefront6targetE0EEEvSY_
    .private_segment_fixed_size: 0
    .sgpr_count:     0
    .sgpr_spill_count: 0
    .symbol:         _ZN7rocprim17ROCPRIM_400000_NS6detail17trampoline_kernelINS0_13select_configILj256ELj13ELNS0_17block_load_methodE3ELS4_3ELS4_3ELNS0_20block_scan_algorithmE0ELj4294967295EEENS1_25partition_config_selectorILNS1_17partition_subalgoE3EjNS0_10empty_typeEbEEZZNS1_14partition_implILS8_3ELb0ES6_jNS0_17counting_iteratorIjlEEPS9_SE_NS0_5tupleIJPjSE_EEENSF_IJSE_SE_EEES9_SG_JZNS1_25segmented_radix_sort_implINS0_14default_configELb1EPKdPdPKlPlN2at6native12_GLOBAL__N_18offset_tEEE10hipError_tPvRmT1_PNSt15iterator_traitsISY_E10value_typeET2_T3_PNSZ_IS14_E10value_typeET4_jRbjT5_S1A_jjP12ihipStream_tbEUljE_EEESV_SW_SX_S14_S18_S1A_T6_T7_T9_mT8_S1C_bDpT10_ENKUlT_T0_E_clISt17integral_constantIbLb1EES1P_EEDaS1K_S1L_EUlS1K_E_NS1_11comp_targetILNS1_3genE0ELNS1_11target_archE4294967295ELNS1_3gpuE0ELNS1_3repE0EEENS1_30default_config_static_selectorELNS0_4arch9wavefront6targetE0EEEvSY_.kd
    .uniform_work_group_size: 1
    .uses_dynamic_stack: false
    .vgpr_count:     0
    .vgpr_spill_count: 0
    .wavefront_size: 32
    .workgroup_processor_mode: 1
  - .args:
      - .offset:         0
        .size:           152
        .value_kind:     by_value
    .group_segment_fixed_size: 0
    .kernarg_segment_align: 8
    .kernarg_segment_size: 152
    .language:       OpenCL C
    .language_version:
      - 2
      - 0
    .max_flat_workgroup_size: 256
    .name:           _ZN7rocprim17ROCPRIM_400000_NS6detail17trampoline_kernelINS0_13select_configILj256ELj13ELNS0_17block_load_methodE3ELS4_3ELS4_3ELNS0_20block_scan_algorithmE0ELj4294967295EEENS1_25partition_config_selectorILNS1_17partition_subalgoE3EjNS0_10empty_typeEbEEZZNS1_14partition_implILS8_3ELb0ES6_jNS0_17counting_iteratorIjlEEPS9_SE_NS0_5tupleIJPjSE_EEENSF_IJSE_SE_EEES9_SG_JZNS1_25segmented_radix_sort_implINS0_14default_configELb1EPKdPdPKlPlN2at6native12_GLOBAL__N_18offset_tEEE10hipError_tPvRmT1_PNSt15iterator_traitsISY_E10value_typeET2_T3_PNSZ_IS14_E10value_typeET4_jRbjT5_S1A_jjP12ihipStream_tbEUljE_EEESV_SW_SX_S14_S18_S1A_T6_T7_T9_mT8_S1C_bDpT10_ENKUlT_T0_E_clISt17integral_constantIbLb1EES1P_EEDaS1K_S1L_EUlS1K_E_NS1_11comp_targetILNS1_3genE5ELNS1_11target_archE942ELNS1_3gpuE9ELNS1_3repE0EEENS1_30default_config_static_selectorELNS0_4arch9wavefront6targetE0EEEvSY_
    .private_segment_fixed_size: 0
    .sgpr_count:     0
    .sgpr_spill_count: 0
    .symbol:         _ZN7rocprim17ROCPRIM_400000_NS6detail17trampoline_kernelINS0_13select_configILj256ELj13ELNS0_17block_load_methodE3ELS4_3ELS4_3ELNS0_20block_scan_algorithmE0ELj4294967295EEENS1_25partition_config_selectorILNS1_17partition_subalgoE3EjNS0_10empty_typeEbEEZZNS1_14partition_implILS8_3ELb0ES6_jNS0_17counting_iteratorIjlEEPS9_SE_NS0_5tupleIJPjSE_EEENSF_IJSE_SE_EEES9_SG_JZNS1_25segmented_radix_sort_implINS0_14default_configELb1EPKdPdPKlPlN2at6native12_GLOBAL__N_18offset_tEEE10hipError_tPvRmT1_PNSt15iterator_traitsISY_E10value_typeET2_T3_PNSZ_IS14_E10value_typeET4_jRbjT5_S1A_jjP12ihipStream_tbEUljE_EEESV_SW_SX_S14_S18_S1A_T6_T7_T9_mT8_S1C_bDpT10_ENKUlT_T0_E_clISt17integral_constantIbLb1EES1P_EEDaS1K_S1L_EUlS1K_E_NS1_11comp_targetILNS1_3genE5ELNS1_11target_archE942ELNS1_3gpuE9ELNS1_3repE0EEENS1_30default_config_static_selectorELNS0_4arch9wavefront6targetE0EEEvSY_.kd
    .uniform_work_group_size: 1
    .uses_dynamic_stack: false
    .vgpr_count:     0
    .vgpr_spill_count: 0
    .wavefront_size: 32
    .workgroup_processor_mode: 1
  - .args:
      - .offset:         0
        .size:           152
        .value_kind:     by_value
    .group_segment_fixed_size: 0
    .kernarg_segment_align: 8
    .kernarg_segment_size: 152
    .language:       OpenCL C
    .language_version:
      - 2
      - 0
    .max_flat_workgroup_size: 256
    .name:           _ZN7rocprim17ROCPRIM_400000_NS6detail17trampoline_kernelINS0_13select_configILj256ELj13ELNS0_17block_load_methodE3ELS4_3ELS4_3ELNS0_20block_scan_algorithmE0ELj4294967295EEENS1_25partition_config_selectorILNS1_17partition_subalgoE3EjNS0_10empty_typeEbEEZZNS1_14partition_implILS8_3ELb0ES6_jNS0_17counting_iteratorIjlEEPS9_SE_NS0_5tupleIJPjSE_EEENSF_IJSE_SE_EEES9_SG_JZNS1_25segmented_radix_sort_implINS0_14default_configELb1EPKdPdPKlPlN2at6native12_GLOBAL__N_18offset_tEEE10hipError_tPvRmT1_PNSt15iterator_traitsISY_E10value_typeET2_T3_PNSZ_IS14_E10value_typeET4_jRbjT5_S1A_jjP12ihipStream_tbEUljE_EEESV_SW_SX_S14_S18_S1A_T6_T7_T9_mT8_S1C_bDpT10_ENKUlT_T0_E_clISt17integral_constantIbLb1EES1P_EEDaS1K_S1L_EUlS1K_E_NS1_11comp_targetILNS1_3genE4ELNS1_11target_archE910ELNS1_3gpuE8ELNS1_3repE0EEENS1_30default_config_static_selectorELNS0_4arch9wavefront6targetE0EEEvSY_
    .private_segment_fixed_size: 0
    .sgpr_count:     0
    .sgpr_spill_count: 0
    .symbol:         _ZN7rocprim17ROCPRIM_400000_NS6detail17trampoline_kernelINS0_13select_configILj256ELj13ELNS0_17block_load_methodE3ELS4_3ELS4_3ELNS0_20block_scan_algorithmE0ELj4294967295EEENS1_25partition_config_selectorILNS1_17partition_subalgoE3EjNS0_10empty_typeEbEEZZNS1_14partition_implILS8_3ELb0ES6_jNS0_17counting_iteratorIjlEEPS9_SE_NS0_5tupleIJPjSE_EEENSF_IJSE_SE_EEES9_SG_JZNS1_25segmented_radix_sort_implINS0_14default_configELb1EPKdPdPKlPlN2at6native12_GLOBAL__N_18offset_tEEE10hipError_tPvRmT1_PNSt15iterator_traitsISY_E10value_typeET2_T3_PNSZ_IS14_E10value_typeET4_jRbjT5_S1A_jjP12ihipStream_tbEUljE_EEESV_SW_SX_S14_S18_S1A_T6_T7_T9_mT8_S1C_bDpT10_ENKUlT_T0_E_clISt17integral_constantIbLb1EES1P_EEDaS1K_S1L_EUlS1K_E_NS1_11comp_targetILNS1_3genE4ELNS1_11target_archE910ELNS1_3gpuE8ELNS1_3repE0EEENS1_30default_config_static_selectorELNS0_4arch9wavefront6targetE0EEEvSY_.kd
    .uniform_work_group_size: 1
    .uses_dynamic_stack: false
    .vgpr_count:     0
    .vgpr_spill_count: 0
    .wavefront_size: 32
    .workgroup_processor_mode: 1
  - .args:
      - .offset:         0
        .size:           152
        .value_kind:     by_value
    .group_segment_fixed_size: 0
    .kernarg_segment_align: 8
    .kernarg_segment_size: 152
    .language:       OpenCL C
    .language_version:
      - 2
      - 0
    .max_flat_workgroup_size: 256
    .name:           _ZN7rocprim17ROCPRIM_400000_NS6detail17trampoline_kernelINS0_13select_configILj256ELj13ELNS0_17block_load_methodE3ELS4_3ELS4_3ELNS0_20block_scan_algorithmE0ELj4294967295EEENS1_25partition_config_selectorILNS1_17partition_subalgoE3EjNS0_10empty_typeEbEEZZNS1_14partition_implILS8_3ELb0ES6_jNS0_17counting_iteratorIjlEEPS9_SE_NS0_5tupleIJPjSE_EEENSF_IJSE_SE_EEES9_SG_JZNS1_25segmented_radix_sort_implINS0_14default_configELb1EPKdPdPKlPlN2at6native12_GLOBAL__N_18offset_tEEE10hipError_tPvRmT1_PNSt15iterator_traitsISY_E10value_typeET2_T3_PNSZ_IS14_E10value_typeET4_jRbjT5_S1A_jjP12ihipStream_tbEUljE_EEESV_SW_SX_S14_S18_S1A_T6_T7_T9_mT8_S1C_bDpT10_ENKUlT_T0_E_clISt17integral_constantIbLb1EES1P_EEDaS1K_S1L_EUlS1K_E_NS1_11comp_targetILNS1_3genE3ELNS1_11target_archE908ELNS1_3gpuE7ELNS1_3repE0EEENS1_30default_config_static_selectorELNS0_4arch9wavefront6targetE0EEEvSY_
    .private_segment_fixed_size: 0
    .sgpr_count:     0
    .sgpr_spill_count: 0
    .symbol:         _ZN7rocprim17ROCPRIM_400000_NS6detail17trampoline_kernelINS0_13select_configILj256ELj13ELNS0_17block_load_methodE3ELS4_3ELS4_3ELNS0_20block_scan_algorithmE0ELj4294967295EEENS1_25partition_config_selectorILNS1_17partition_subalgoE3EjNS0_10empty_typeEbEEZZNS1_14partition_implILS8_3ELb0ES6_jNS0_17counting_iteratorIjlEEPS9_SE_NS0_5tupleIJPjSE_EEENSF_IJSE_SE_EEES9_SG_JZNS1_25segmented_radix_sort_implINS0_14default_configELb1EPKdPdPKlPlN2at6native12_GLOBAL__N_18offset_tEEE10hipError_tPvRmT1_PNSt15iterator_traitsISY_E10value_typeET2_T3_PNSZ_IS14_E10value_typeET4_jRbjT5_S1A_jjP12ihipStream_tbEUljE_EEESV_SW_SX_S14_S18_S1A_T6_T7_T9_mT8_S1C_bDpT10_ENKUlT_T0_E_clISt17integral_constantIbLb1EES1P_EEDaS1K_S1L_EUlS1K_E_NS1_11comp_targetILNS1_3genE3ELNS1_11target_archE908ELNS1_3gpuE7ELNS1_3repE0EEENS1_30default_config_static_selectorELNS0_4arch9wavefront6targetE0EEEvSY_.kd
    .uniform_work_group_size: 1
    .uses_dynamic_stack: false
    .vgpr_count:     0
    .vgpr_spill_count: 0
    .wavefront_size: 32
    .workgroup_processor_mode: 1
  - .args:
      - .offset:         0
        .size:           152
        .value_kind:     by_value
    .group_segment_fixed_size: 0
    .kernarg_segment_align: 8
    .kernarg_segment_size: 152
    .language:       OpenCL C
    .language_version:
      - 2
      - 0
    .max_flat_workgroup_size: 256
    .name:           _ZN7rocprim17ROCPRIM_400000_NS6detail17trampoline_kernelINS0_13select_configILj256ELj13ELNS0_17block_load_methodE3ELS4_3ELS4_3ELNS0_20block_scan_algorithmE0ELj4294967295EEENS1_25partition_config_selectorILNS1_17partition_subalgoE3EjNS0_10empty_typeEbEEZZNS1_14partition_implILS8_3ELb0ES6_jNS0_17counting_iteratorIjlEEPS9_SE_NS0_5tupleIJPjSE_EEENSF_IJSE_SE_EEES9_SG_JZNS1_25segmented_radix_sort_implINS0_14default_configELb1EPKdPdPKlPlN2at6native12_GLOBAL__N_18offset_tEEE10hipError_tPvRmT1_PNSt15iterator_traitsISY_E10value_typeET2_T3_PNSZ_IS14_E10value_typeET4_jRbjT5_S1A_jjP12ihipStream_tbEUljE_EEESV_SW_SX_S14_S18_S1A_T6_T7_T9_mT8_S1C_bDpT10_ENKUlT_T0_E_clISt17integral_constantIbLb1EES1P_EEDaS1K_S1L_EUlS1K_E_NS1_11comp_targetILNS1_3genE2ELNS1_11target_archE906ELNS1_3gpuE6ELNS1_3repE0EEENS1_30default_config_static_selectorELNS0_4arch9wavefront6targetE0EEEvSY_
    .private_segment_fixed_size: 0
    .sgpr_count:     0
    .sgpr_spill_count: 0
    .symbol:         _ZN7rocprim17ROCPRIM_400000_NS6detail17trampoline_kernelINS0_13select_configILj256ELj13ELNS0_17block_load_methodE3ELS4_3ELS4_3ELNS0_20block_scan_algorithmE0ELj4294967295EEENS1_25partition_config_selectorILNS1_17partition_subalgoE3EjNS0_10empty_typeEbEEZZNS1_14partition_implILS8_3ELb0ES6_jNS0_17counting_iteratorIjlEEPS9_SE_NS0_5tupleIJPjSE_EEENSF_IJSE_SE_EEES9_SG_JZNS1_25segmented_radix_sort_implINS0_14default_configELb1EPKdPdPKlPlN2at6native12_GLOBAL__N_18offset_tEEE10hipError_tPvRmT1_PNSt15iterator_traitsISY_E10value_typeET2_T3_PNSZ_IS14_E10value_typeET4_jRbjT5_S1A_jjP12ihipStream_tbEUljE_EEESV_SW_SX_S14_S18_S1A_T6_T7_T9_mT8_S1C_bDpT10_ENKUlT_T0_E_clISt17integral_constantIbLb1EES1P_EEDaS1K_S1L_EUlS1K_E_NS1_11comp_targetILNS1_3genE2ELNS1_11target_archE906ELNS1_3gpuE6ELNS1_3repE0EEENS1_30default_config_static_selectorELNS0_4arch9wavefront6targetE0EEEvSY_.kd
    .uniform_work_group_size: 1
    .uses_dynamic_stack: false
    .vgpr_count:     0
    .vgpr_spill_count: 0
    .wavefront_size: 32
    .workgroup_processor_mode: 1
  - .args:
      - .offset:         0
        .size:           152
        .value_kind:     by_value
    .group_segment_fixed_size: 0
    .kernarg_segment_align: 8
    .kernarg_segment_size: 152
    .language:       OpenCL C
    .language_version:
      - 2
      - 0
    .max_flat_workgroup_size: 256
    .name:           _ZN7rocprim17ROCPRIM_400000_NS6detail17trampoline_kernelINS0_13select_configILj256ELj13ELNS0_17block_load_methodE3ELS4_3ELS4_3ELNS0_20block_scan_algorithmE0ELj4294967295EEENS1_25partition_config_selectorILNS1_17partition_subalgoE3EjNS0_10empty_typeEbEEZZNS1_14partition_implILS8_3ELb0ES6_jNS0_17counting_iteratorIjlEEPS9_SE_NS0_5tupleIJPjSE_EEENSF_IJSE_SE_EEES9_SG_JZNS1_25segmented_radix_sort_implINS0_14default_configELb1EPKdPdPKlPlN2at6native12_GLOBAL__N_18offset_tEEE10hipError_tPvRmT1_PNSt15iterator_traitsISY_E10value_typeET2_T3_PNSZ_IS14_E10value_typeET4_jRbjT5_S1A_jjP12ihipStream_tbEUljE_EEESV_SW_SX_S14_S18_S1A_T6_T7_T9_mT8_S1C_bDpT10_ENKUlT_T0_E_clISt17integral_constantIbLb1EES1P_EEDaS1K_S1L_EUlS1K_E_NS1_11comp_targetILNS1_3genE10ELNS1_11target_archE1200ELNS1_3gpuE4ELNS1_3repE0EEENS1_30default_config_static_selectorELNS0_4arch9wavefront6targetE0EEEvSY_
    .private_segment_fixed_size: 0
    .sgpr_count:     0
    .sgpr_spill_count: 0
    .symbol:         _ZN7rocprim17ROCPRIM_400000_NS6detail17trampoline_kernelINS0_13select_configILj256ELj13ELNS0_17block_load_methodE3ELS4_3ELS4_3ELNS0_20block_scan_algorithmE0ELj4294967295EEENS1_25partition_config_selectorILNS1_17partition_subalgoE3EjNS0_10empty_typeEbEEZZNS1_14partition_implILS8_3ELb0ES6_jNS0_17counting_iteratorIjlEEPS9_SE_NS0_5tupleIJPjSE_EEENSF_IJSE_SE_EEES9_SG_JZNS1_25segmented_radix_sort_implINS0_14default_configELb1EPKdPdPKlPlN2at6native12_GLOBAL__N_18offset_tEEE10hipError_tPvRmT1_PNSt15iterator_traitsISY_E10value_typeET2_T3_PNSZ_IS14_E10value_typeET4_jRbjT5_S1A_jjP12ihipStream_tbEUljE_EEESV_SW_SX_S14_S18_S1A_T6_T7_T9_mT8_S1C_bDpT10_ENKUlT_T0_E_clISt17integral_constantIbLb1EES1P_EEDaS1K_S1L_EUlS1K_E_NS1_11comp_targetILNS1_3genE10ELNS1_11target_archE1200ELNS1_3gpuE4ELNS1_3repE0EEENS1_30default_config_static_selectorELNS0_4arch9wavefront6targetE0EEEvSY_.kd
    .uniform_work_group_size: 1
    .uses_dynamic_stack: false
    .vgpr_count:     0
    .vgpr_spill_count: 0
    .wavefront_size: 32
    .workgroup_processor_mode: 1
  - .args:
      - .offset:         0
        .size:           152
        .value_kind:     by_value
    .group_segment_fixed_size: 13324
    .kernarg_segment_align: 8
    .kernarg_segment_size: 152
    .language:       OpenCL C
    .language_version:
      - 2
      - 0
    .max_flat_workgroup_size: 256
    .name:           _ZN7rocprim17ROCPRIM_400000_NS6detail17trampoline_kernelINS0_13select_configILj256ELj13ELNS0_17block_load_methodE3ELS4_3ELS4_3ELNS0_20block_scan_algorithmE0ELj4294967295EEENS1_25partition_config_selectorILNS1_17partition_subalgoE3EjNS0_10empty_typeEbEEZZNS1_14partition_implILS8_3ELb0ES6_jNS0_17counting_iteratorIjlEEPS9_SE_NS0_5tupleIJPjSE_EEENSF_IJSE_SE_EEES9_SG_JZNS1_25segmented_radix_sort_implINS0_14default_configELb1EPKdPdPKlPlN2at6native12_GLOBAL__N_18offset_tEEE10hipError_tPvRmT1_PNSt15iterator_traitsISY_E10value_typeET2_T3_PNSZ_IS14_E10value_typeET4_jRbjT5_S1A_jjP12ihipStream_tbEUljE_EEESV_SW_SX_S14_S18_S1A_T6_T7_T9_mT8_S1C_bDpT10_ENKUlT_T0_E_clISt17integral_constantIbLb1EES1P_EEDaS1K_S1L_EUlS1K_E_NS1_11comp_targetILNS1_3genE9ELNS1_11target_archE1100ELNS1_3gpuE3ELNS1_3repE0EEENS1_30default_config_static_selectorELNS0_4arch9wavefront6targetE0EEEvSY_
    .private_segment_fixed_size: 0
    .sgpr_count:     28
    .sgpr_spill_count: 0
    .symbol:         _ZN7rocprim17ROCPRIM_400000_NS6detail17trampoline_kernelINS0_13select_configILj256ELj13ELNS0_17block_load_methodE3ELS4_3ELS4_3ELNS0_20block_scan_algorithmE0ELj4294967295EEENS1_25partition_config_selectorILNS1_17partition_subalgoE3EjNS0_10empty_typeEbEEZZNS1_14partition_implILS8_3ELb0ES6_jNS0_17counting_iteratorIjlEEPS9_SE_NS0_5tupleIJPjSE_EEENSF_IJSE_SE_EEES9_SG_JZNS1_25segmented_radix_sort_implINS0_14default_configELb1EPKdPdPKlPlN2at6native12_GLOBAL__N_18offset_tEEE10hipError_tPvRmT1_PNSt15iterator_traitsISY_E10value_typeET2_T3_PNSZ_IS14_E10value_typeET4_jRbjT5_S1A_jjP12ihipStream_tbEUljE_EEESV_SW_SX_S14_S18_S1A_T6_T7_T9_mT8_S1C_bDpT10_ENKUlT_T0_E_clISt17integral_constantIbLb1EES1P_EEDaS1K_S1L_EUlS1K_E_NS1_11comp_targetILNS1_3genE9ELNS1_11target_archE1100ELNS1_3gpuE3ELNS1_3repE0EEENS1_30default_config_static_selectorELNS0_4arch9wavefront6targetE0EEEvSY_.kd
    .uniform_work_group_size: 1
    .uses_dynamic_stack: false
    .vgpr_count:     60
    .vgpr_spill_count: 0
    .wavefront_size: 32
    .workgroup_processor_mode: 1
  - .args:
      - .offset:         0
        .size:           152
        .value_kind:     by_value
    .group_segment_fixed_size: 0
    .kernarg_segment_align: 8
    .kernarg_segment_size: 152
    .language:       OpenCL C
    .language_version:
      - 2
      - 0
    .max_flat_workgroup_size: 256
    .name:           _ZN7rocprim17ROCPRIM_400000_NS6detail17trampoline_kernelINS0_13select_configILj256ELj13ELNS0_17block_load_methodE3ELS4_3ELS4_3ELNS0_20block_scan_algorithmE0ELj4294967295EEENS1_25partition_config_selectorILNS1_17partition_subalgoE3EjNS0_10empty_typeEbEEZZNS1_14partition_implILS8_3ELb0ES6_jNS0_17counting_iteratorIjlEEPS9_SE_NS0_5tupleIJPjSE_EEENSF_IJSE_SE_EEES9_SG_JZNS1_25segmented_radix_sort_implINS0_14default_configELb1EPKdPdPKlPlN2at6native12_GLOBAL__N_18offset_tEEE10hipError_tPvRmT1_PNSt15iterator_traitsISY_E10value_typeET2_T3_PNSZ_IS14_E10value_typeET4_jRbjT5_S1A_jjP12ihipStream_tbEUljE_EEESV_SW_SX_S14_S18_S1A_T6_T7_T9_mT8_S1C_bDpT10_ENKUlT_T0_E_clISt17integral_constantIbLb1EES1P_EEDaS1K_S1L_EUlS1K_E_NS1_11comp_targetILNS1_3genE8ELNS1_11target_archE1030ELNS1_3gpuE2ELNS1_3repE0EEENS1_30default_config_static_selectorELNS0_4arch9wavefront6targetE0EEEvSY_
    .private_segment_fixed_size: 0
    .sgpr_count:     0
    .sgpr_spill_count: 0
    .symbol:         _ZN7rocprim17ROCPRIM_400000_NS6detail17trampoline_kernelINS0_13select_configILj256ELj13ELNS0_17block_load_methodE3ELS4_3ELS4_3ELNS0_20block_scan_algorithmE0ELj4294967295EEENS1_25partition_config_selectorILNS1_17partition_subalgoE3EjNS0_10empty_typeEbEEZZNS1_14partition_implILS8_3ELb0ES6_jNS0_17counting_iteratorIjlEEPS9_SE_NS0_5tupleIJPjSE_EEENSF_IJSE_SE_EEES9_SG_JZNS1_25segmented_radix_sort_implINS0_14default_configELb1EPKdPdPKlPlN2at6native12_GLOBAL__N_18offset_tEEE10hipError_tPvRmT1_PNSt15iterator_traitsISY_E10value_typeET2_T3_PNSZ_IS14_E10value_typeET4_jRbjT5_S1A_jjP12ihipStream_tbEUljE_EEESV_SW_SX_S14_S18_S1A_T6_T7_T9_mT8_S1C_bDpT10_ENKUlT_T0_E_clISt17integral_constantIbLb1EES1P_EEDaS1K_S1L_EUlS1K_E_NS1_11comp_targetILNS1_3genE8ELNS1_11target_archE1030ELNS1_3gpuE2ELNS1_3repE0EEENS1_30default_config_static_selectorELNS0_4arch9wavefront6targetE0EEEvSY_.kd
    .uniform_work_group_size: 1
    .uses_dynamic_stack: false
    .vgpr_count:     0
    .vgpr_spill_count: 0
    .wavefront_size: 32
    .workgroup_processor_mode: 1
  - .args:
      - .offset:         0
        .size:           144
        .value_kind:     by_value
    .group_segment_fixed_size: 0
    .kernarg_segment_align: 8
    .kernarg_segment_size: 144
    .language:       OpenCL C
    .language_version:
      - 2
      - 0
    .max_flat_workgroup_size: 256
    .name:           _ZN7rocprim17ROCPRIM_400000_NS6detail17trampoline_kernelINS0_13select_configILj256ELj13ELNS0_17block_load_methodE3ELS4_3ELS4_3ELNS0_20block_scan_algorithmE0ELj4294967295EEENS1_25partition_config_selectorILNS1_17partition_subalgoE3EjNS0_10empty_typeEbEEZZNS1_14partition_implILS8_3ELb0ES6_jNS0_17counting_iteratorIjlEEPS9_SE_NS0_5tupleIJPjSE_EEENSF_IJSE_SE_EEES9_SG_JZNS1_25segmented_radix_sort_implINS0_14default_configELb1EPKdPdPKlPlN2at6native12_GLOBAL__N_18offset_tEEE10hipError_tPvRmT1_PNSt15iterator_traitsISY_E10value_typeET2_T3_PNSZ_IS14_E10value_typeET4_jRbjT5_S1A_jjP12ihipStream_tbEUljE_EEESV_SW_SX_S14_S18_S1A_T6_T7_T9_mT8_S1C_bDpT10_ENKUlT_T0_E_clISt17integral_constantIbLb1EES1O_IbLb0EEEEDaS1K_S1L_EUlS1K_E_NS1_11comp_targetILNS1_3genE0ELNS1_11target_archE4294967295ELNS1_3gpuE0ELNS1_3repE0EEENS1_30default_config_static_selectorELNS0_4arch9wavefront6targetE0EEEvSY_
    .private_segment_fixed_size: 0
    .sgpr_count:     0
    .sgpr_spill_count: 0
    .symbol:         _ZN7rocprim17ROCPRIM_400000_NS6detail17trampoline_kernelINS0_13select_configILj256ELj13ELNS0_17block_load_methodE3ELS4_3ELS4_3ELNS0_20block_scan_algorithmE0ELj4294967295EEENS1_25partition_config_selectorILNS1_17partition_subalgoE3EjNS0_10empty_typeEbEEZZNS1_14partition_implILS8_3ELb0ES6_jNS0_17counting_iteratorIjlEEPS9_SE_NS0_5tupleIJPjSE_EEENSF_IJSE_SE_EEES9_SG_JZNS1_25segmented_radix_sort_implINS0_14default_configELb1EPKdPdPKlPlN2at6native12_GLOBAL__N_18offset_tEEE10hipError_tPvRmT1_PNSt15iterator_traitsISY_E10value_typeET2_T3_PNSZ_IS14_E10value_typeET4_jRbjT5_S1A_jjP12ihipStream_tbEUljE_EEESV_SW_SX_S14_S18_S1A_T6_T7_T9_mT8_S1C_bDpT10_ENKUlT_T0_E_clISt17integral_constantIbLb1EES1O_IbLb0EEEEDaS1K_S1L_EUlS1K_E_NS1_11comp_targetILNS1_3genE0ELNS1_11target_archE4294967295ELNS1_3gpuE0ELNS1_3repE0EEENS1_30default_config_static_selectorELNS0_4arch9wavefront6targetE0EEEvSY_.kd
    .uniform_work_group_size: 1
    .uses_dynamic_stack: false
    .vgpr_count:     0
    .vgpr_spill_count: 0
    .wavefront_size: 32
    .workgroup_processor_mode: 1
  - .args:
      - .offset:         0
        .size:           144
        .value_kind:     by_value
    .group_segment_fixed_size: 0
    .kernarg_segment_align: 8
    .kernarg_segment_size: 144
    .language:       OpenCL C
    .language_version:
      - 2
      - 0
    .max_flat_workgroup_size: 256
    .name:           _ZN7rocprim17ROCPRIM_400000_NS6detail17trampoline_kernelINS0_13select_configILj256ELj13ELNS0_17block_load_methodE3ELS4_3ELS4_3ELNS0_20block_scan_algorithmE0ELj4294967295EEENS1_25partition_config_selectorILNS1_17partition_subalgoE3EjNS0_10empty_typeEbEEZZNS1_14partition_implILS8_3ELb0ES6_jNS0_17counting_iteratorIjlEEPS9_SE_NS0_5tupleIJPjSE_EEENSF_IJSE_SE_EEES9_SG_JZNS1_25segmented_radix_sort_implINS0_14default_configELb1EPKdPdPKlPlN2at6native12_GLOBAL__N_18offset_tEEE10hipError_tPvRmT1_PNSt15iterator_traitsISY_E10value_typeET2_T3_PNSZ_IS14_E10value_typeET4_jRbjT5_S1A_jjP12ihipStream_tbEUljE_EEESV_SW_SX_S14_S18_S1A_T6_T7_T9_mT8_S1C_bDpT10_ENKUlT_T0_E_clISt17integral_constantIbLb1EES1O_IbLb0EEEEDaS1K_S1L_EUlS1K_E_NS1_11comp_targetILNS1_3genE5ELNS1_11target_archE942ELNS1_3gpuE9ELNS1_3repE0EEENS1_30default_config_static_selectorELNS0_4arch9wavefront6targetE0EEEvSY_
    .private_segment_fixed_size: 0
    .sgpr_count:     0
    .sgpr_spill_count: 0
    .symbol:         _ZN7rocprim17ROCPRIM_400000_NS6detail17trampoline_kernelINS0_13select_configILj256ELj13ELNS0_17block_load_methodE3ELS4_3ELS4_3ELNS0_20block_scan_algorithmE0ELj4294967295EEENS1_25partition_config_selectorILNS1_17partition_subalgoE3EjNS0_10empty_typeEbEEZZNS1_14partition_implILS8_3ELb0ES6_jNS0_17counting_iteratorIjlEEPS9_SE_NS0_5tupleIJPjSE_EEENSF_IJSE_SE_EEES9_SG_JZNS1_25segmented_radix_sort_implINS0_14default_configELb1EPKdPdPKlPlN2at6native12_GLOBAL__N_18offset_tEEE10hipError_tPvRmT1_PNSt15iterator_traitsISY_E10value_typeET2_T3_PNSZ_IS14_E10value_typeET4_jRbjT5_S1A_jjP12ihipStream_tbEUljE_EEESV_SW_SX_S14_S18_S1A_T6_T7_T9_mT8_S1C_bDpT10_ENKUlT_T0_E_clISt17integral_constantIbLb1EES1O_IbLb0EEEEDaS1K_S1L_EUlS1K_E_NS1_11comp_targetILNS1_3genE5ELNS1_11target_archE942ELNS1_3gpuE9ELNS1_3repE0EEENS1_30default_config_static_selectorELNS0_4arch9wavefront6targetE0EEEvSY_.kd
    .uniform_work_group_size: 1
    .uses_dynamic_stack: false
    .vgpr_count:     0
    .vgpr_spill_count: 0
    .wavefront_size: 32
    .workgroup_processor_mode: 1
  - .args:
      - .offset:         0
        .size:           144
        .value_kind:     by_value
    .group_segment_fixed_size: 0
    .kernarg_segment_align: 8
    .kernarg_segment_size: 144
    .language:       OpenCL C
    .language_version:
      - 2
      - 0
    .max_flat_workgroup_size: 256
    .name:           _ZN7rocprim17ROCPRIM_400000_NS6detail17trampoline_kernelINS0_13select_configILj256ELj13ELNS0_17block_load_methodE3ELS4_3ELS4_3ELNS0_20block_scan_algorithmE0ELj4294967295EEENS1_25partition_config_selectorILNS1_17partition_subalgoE3EjNS0_10empty_typeEbEEZZNS1_14partition_implILS8_3ELb0ES6_jNS0_17counting_iteratorIjlEEPS9_SE_NS0_5tupleIJPjSE_EEENSF_IJSE_SE_EEES9_SG_JZNS1_25segmented_radix_sort_implINS0_14default_configELb1EPKdPdPKlPlN2at6native12_GLOBAL__N_18offset_tEEE10hipError_tPvRmT1_PNSt15iterator_traitsISY_E10value_typeET2_T3_PNSZ_IS14_E10value_typeET4_jRbjT5_S1A_jjP12ihipStream_tbEUljE_EEESV_SW_SX_S14_S18_S1A_T6_T7_T9_mT8_S1C_bDpT10_ENKUlT_T0_E_clISt17integral_constantIbLb1EES1O_IbLb0EEEEDaS1K_S1L_EUlS1K_E_NS1_11comp_targetILNS1_3genE4ELNS1_11target_archE910ELNS1_3gpuE8ELNS1_3repE0EEENS1_30default_config_static_selectorELNS0_4arch9wavefront6targetE0EEEvSY_
    .private_segment_fixed_size: 0
    .sgpr_count:     0
    .sgpr_spill_count: 0
    .symbol:         _ZN7rocprim17ROCPRIM_400000_NS6detail17trampoline_kernelINS0_13select_configILj256ELj13ELNS0_17block_load_methodE3ELS4_3ELS4_3ELNS0_20block_scan_algorithmE0ELj4294967295EEENS1_25partition_config_selectorILNS1_17partition_subalgoE3EjNS0_10empty_typeEbEEZZNS1_14partition_implILS8_3ELb0ES6_jNS0_17counting_iteratorIjlEEPS9_SE_NS0_5tupleIJPjSE_EEENSF_IJSE_SE_EEES9_SG_JZNS1_25segmented_radix_sort_implINS0_14default_configELb1EPKdPdPKlPlN2at6native12_GLOBAL__N_18offset_tEEE10hipError_tPvRmT1_PNSt15iterator_traitsISY_E10value_typeET2_T3_PNSZ_IS14_E10value_typeET4_jRbjT5_S1A_jjP12ihipStream_tbEUljE_EEESV_SW_SX_S14_S18_S1A_T6_T7_T9_mT8_S1C_bDpT10_ENKUlT_T0_E_clISt17integral_constantIbLb1EES1O_IbLb0EEEEDaS1K_S1L_EUlS1K_E_NS1_11comp_targetILNS1_3genE4ELNS1_11target_archE910ELNS1_3gpuE8ELNS1_3repE0EEENS1_30default_config_static_selectorELNS0_4arch9wavefront6targetE0EEEvSY_.kd
    .uniform_work_group_size: 1
    .uses_dynamic_stack: false
    .vgpr_count:     0
    .vgpr_spill_count: 0
    .wavefront_size: 32
    .workgroup_processor_mode: 1
  - .args:
      - .offset:         0
        .size:           144
        .value_kind:     by_value
    .group_segment_fixed_size: 0
    .kernarg_segment_align: 8
    .kernarg_segment_size: 144
    .language:       OpenCL C
    .language_version:
      - 2
      - 0
    .max_flat_workgroup_size: 256
    .name:           _ZN7rocprim17ROCPRIM_400000_NS6detail17trampoline_kernelINS0_13select_configILj256ELj13ELNS0_17block_load_methodE3ELS4_3ELS4_3ELNS0_20block_scan_algorithmE0ELj4294967295EEENS1_25partition_config_selectorILNS1_17partition_subalgoE3EjNS0_10empty_typeEbEEZZNS1_14partition_implILS8_3ELb0ES6_jNS0_17counting_iteratorIjlEEPS9_SE_NS0_5tupleIJPjSE_EEENSF_IJSE_SE_EEES9_SG_JZNS1_25segmented_radix_sort_implINS0_14default_configELb1EPKdPdPKlPlN2at6native12_GLOBAL__N_18offset_tEEE10hipError_tPvRmT1_PNSt15iterator_traitsISY_E10value_typeET2_T3_PNSZ_IS14_E10value_typeET4_jRbjT5_S1A_jjP12ihipStream_tbEUljE_EEESV_SW_SX_S14_S18_S1A_T6_T7_T9_mT8_S1C_bDpT10_ENKUlT_T0_E_clISt17integral_constantIbLb1EES1O_IbLb0EEEEDaS1K_S1L_EUlS1K_E_NS1_11comp_targetILNS1_3genE3ELNS1_11target_archE908ELNS1_3gpuE7ELNS1_3repE0EEENS1_30default_config_static_selectorELNS0_4arch9wavefront6targetE0EEEvSY_
    .private_segment_fixed_size: 0
    .sgpr_count:     0
    .sgpr_spill_count: 0
    .symbol:         _ZN7rocprim17ROCPRIM_400000_NS6detail17trampoline_kernelINS0_13select_configILj256ELj13ELNS0_17block_load_methodE3ELS4_3ELS4_3ELNS0_20block_scan_algorithmE0ELj4294967295EEENS1_25partition_config_selectorILNS1_17partition_subalgoE3EjNS0_10empty_typeEbEEZZNS1_14partition_implILS8_3ELb0ES6_jNS0_17counting_iteratorIjlEEPS9_SE_NS0_5tupleIJPjSE_EEENSF_IJSE_SE_EEES9_SG_JZNS1_25segmented_radix_sort_implINS0_14default_configELb1EPKdPdPKlPlN2at6native12_GLOBAL__N_18offset_tEEE10hipError_tPvRmT1_PNSt15iterator_traitsISY_E10value_typeET2_T3_PNSZ_IS14_E10value_typeET4_jRbjT5_S1A_jjP12ihipStream_tbEUljE_EEESV_SW_SX_S14_S18_S1A_T6_T7_T9_mT8_S1C_bDpT10_ENKUlT_T0_E_clISt17integral_constantIbLb1EES1O_IbLb0EEEEDaS1K_S1L_EUlS1K_E_NS1_11comp_targetILNS1_3genE3ELNS1_11target_archE908ELNS1_3gpuE7ELNS1_3repE0EEENS1_30default_config_static_selectorELNS0_4arch9wavefront6targetE0EEEvSY_.kd
    .uniform_work_group_size: 1
    .uses_dynamic_stack: false
    .vgpr_count:     0
    .vgpr_spill_count: 0
    .wavefront_size: 32
    .workgroup_processor_mode: 1
  - .args:
      - .offset:         0
        .size:           144
        .value_kind:     by_value
    .group_segment_fixed_size: 0
    .kernarg_segment_align: 8
    .kernarg_segment_size: 144
    .language:       OpenCL C
    .language_version:
      - 2
      - 0
    .max_flat_workgroup_size: 256
    .name:           _ZN7rocprim17ROCPRIM_400000_NS6detail17trampoline_kernelINS0_13select_configILj256ELj13ELNS0_17block_load_methodE3ELS4_3ELS4_3ELNS0_20block_scan_algorithmE0ELj4294967295EEENS1_25partition_config_selectorILNS1_17partition_subalgoE3EjNS0_10empty_typeEbEEZZNS1_14partition_implILS8_3ELb0ES6_jNS0_17counting_iteratorIjlEEPS9_SE_NS0_5tupleIJPjSE_EEENSF_IJSE_SE_EEES9_SG_JZNS1_25segmented_radix_sort_implINS0_14default_configELb1EPKdPdPKlPlN2at6native12_GLOBAL__N_18offset_tEEE10hipError_tPvRmT1_PNSt15iterator_traitsISY_E10value_typeET2_T3_PNSZ_IS14_E10value_typeET4_jRbjT5_S1A_jjP12ihipStream_tbEUljE_EEESV_SW_SX_S14_S18_S1A_T6_T7_T9_mT8_S1C_bDpT10_ENKUlT_T0_E_clISt17integral_constantIbLb1EES1O_IbLb0EEEEDaS1K_S1L_EUlS1K_E_NS1_11comp_targetILNS1_3genE2ELNS1_11target_archE906ELNS1_3gpuE6ELNS1_3repE0EEENS1_30default_config_static_selectorELNS0_4arch9wavefront6targetE0EEEvSY_
    .private_segment_fixed_size: 0
    .sgpr_count:     0
    .sgpr_spill_count: 0
    .symbol:         _ZN7rocprim17ROCPRIM_400000_NS6detail17trampoline_kernelINS0_13select_configILj256ELj13ELNS0_17block_load_methodE3ELS4_3ELS4_3ELNS0_20block_scan_algorithmE0ELj4294967295EEENS1_25partition_config_selectorILNS1_17partition_subalgoE3EjNS0_10empty_typeEbEEZZNS1_14partition_implILS8_3ELb0ES6_jNS0_17counting_iteratorIjlEEPS9_SE_NS0_5tupleIJPjSE_EEENSF_IJSE_SE_EEES9_SG_JZNS1_25segmented_radix_sort_implINS0_14default_configELb1EPKdPdPKlPlN2at6native12_GLOBAL__N_18offset_tEEE10hipError_tPvRmT1_PNSt15iterator_traitsISY_E10value_typeET2_T3_PNSZ_IS14_E10value_typeET4_jRbjT5_S1A_jjP12ihipStream_tbEUljE_EEESV_SW_SX_S14_S18_S1A_T6_T7_T9_mT8_S1C_bDpT10_ENKUlT_T0_E_clISt17integral_constantIbLb1EES1O_IbLb0EEEEDaS1K_S1L_EUlS1K_E_NS1_11comp_targetILNS1_3genE2ELNS1_11target_archE906ELNS1_3gpuE6ELNS1_3repE0EEENS1_30default_config_static_selectorELNS0_4arch9wavefront6targetE0EEEvSY_.kd
    .uniform_work_group_size: 1
    .uses_dynamic_stack: false
    .vgpr_count:     0
    .vgpr_spill_count: 0
    .wavefront_size: 32
    .workgroup_processor_mode: 1
  - .args:
      - .offset:         0
        .size:           144
        .value_kind:     by_value
    .group_segment_fixed_size: 0
    .kernarg_segment_align: 8
    .kernarg_segment_size: 144
    .language:       OpenCL C
    .language_version:
      - 2
      - 0
    .max_flat_workgroup_size: 256
    .name:           _ZN7rocprim17ROCPRIM_400000_NS6detail17trampoline_kernelINS0_13select_configILj256ELj13ELNS0_17block_load_methodE3ELS4_3ELS4_3ELNS0_20block_scan_algorithmE0ELj4294967295EEENS1_25partition_config_selectorILNS1_17partition_subalgoE3EjNS0_10empty_typeEbEEZZNS1_14partition_implILS8_3ELb0ES6_jNS0_17counting_iteratorIjlEEPS9_SE_NS0_5tupleIJPjSE_EEENSF_IJSE_SE_EEES9_SG_JZNS1_25segmented_radix_sort_implINS0_14default_configELb1EPKdPdPKlPlN2at6native12_GLOBAL__N_18offset_tEEE10hipError_tPvRmT1_PNSt15iterator_traitsISY_E10value_typeET2_T3_PNSZ_IS14_E10value_typeET4_jRbjT5_S1A_jjP12ihipStream_tbEUljE_EEESV_SW_SX_S14_S18_S1A_T6_T7_T9_mT8_S1C_bDpT10_ENKUlT_T0_E_clISt17integral_constantIbLb1EES1O_IbLb0EEEEDaS1K_S1L_EUlS1K_E_NS1_11comp_targetILNS1_3genE10ELNS1_11target_archE1200ELNS1_3gpuE4ELNS1_3repE0EEENS1_30default_config_static_selectorELNS0_4arch9wavefront6targetE0EEEvSY_
    .private_segment_fixed_size: 0
    .sgpr_count:     0
    .sgpr_spill_count: 0
    .symbol:         _ZN7rocprim17ROCPRIM_400000_NS6detail17trampoline_kernelINS0_13select_configILj256ELj13ELNS0_17block_load_methodE3ELS4_3ELS4_3ELNS0_20block_scan_algorithmE0ELj4294967295EEENS1_25partition_config_selectorILNS1_17partition_subalgoE3EjNS0_10empty_typeEbEEZZNS1_14partition_implILS8_3ELb0ES6_jNS0_17counting_iteratorIjlEEPS9_SE_NS0_5tupleIJPjSE_EEENSF_IJSE_SE_EEES9_SG_JZNS1_25segmented_radix_sort_implINS0_14default_configELb1EPKdPdPKlPlN2at6native12_GLOBAL__N_18offset_tEEE10hipError_tPvRmT1_PNSt15iterator_traitsISY_E10value_typeET2_T3_PNSZ_IS14_E10value_typeET4_jRbjT5_S1A_jjP12ihipStream_tbEUljE_EEESV_SW_SX_S14_S18_S1A_T6_T7_T9_mT8_S1C_bDpT10_ENKUlT_T0_E_clISt17integral_constantIbLb1EES1O_IbLb0EEEEDaS1K_S1L_EUlS1K_E_NS1_11comp_targetILNS1_3genE10ELNS1_11target_archE1200ELNS1_3gpuE4ELNS1_3repE0EEENS1_30default_config_static_selectorELNS0_4arch9wavefront6targetE0EEEvSY_.kd
    .uniform_work_group_size: 1
    .uses_dynamic_stack: false
    .vgpr_count:     0
    .vgpr_spill_count: 0
    .wavefront_size: 32
    .workgroup_processor_mode: 1
  - .args:
      - .offset:         0
        .size:           144
        .value_kind:     by_value
    .group_segment_fixed_size: 13324
    .kernarg_segment_align: 8
    .kernarg_segment_size: 144
    .language:       OpenCL C
    .language_version:
      - 2
      - 0
    .max_flat_workgroup_size: 256
    .name:           _ZN7rocprim17ROCPRIM_400000_NS6detail17trampoline_kernelINS0_13select_configILj256ELj13ELNS0_17block_load_methodE3ELS4_3ELS4_3ELNS0_20block_scan_algorithmE0ELj4294967295EEENS1_25partition_config_selectorILNS1_17partition_subalgoE3EjNS0_10empty_typeEbEEZZNS1_14partition_implILS8_3ELb0ES6_jNS0_17counting_iteratorIjlEEPS9_SE_NS0_5tupleIJPjSE_EEENSF_IJSE_SE_EEES9_SG_JZNS1_25segmented_radix_sort_implINS0_14default_configELb1EPKdPdPKlPlN2at6native12_GLOBAL__N_18offset_tEEE10hipError_tPvRmT1_PNSt15iterator_traitsISY_E10value_typeET2_T3_PNSZ_IS14_E10value_typeET4_jRbjT5_S1A_jjP12ihipStream_tbEUljE_EEESV_SW_SX_S14_S18_S1A_T6_T7_T9_mT8_S1C_bDpT10_ENKUlT_T0_E_clISt17integral_constantIbLb1EES1O_IbLb0EEEEDaS1K_S1L_EUlS1K_E_NS1_11comp_targetILNS1_3genE9ELNS1_11target_archE1100ELNS1_3gpuE3ELNS1_3repE0EEENS1_30default_config_static_selectorELNS0_4arch9wavefront6targetE0EEEvSY_
    .private_segment_fixed_size: 0
    .sgpr_count:     30
    .sgpr_spill_count: 0
    .symbol:         _ZN7rocprim17ROCPRIM_400000_NS6detail17trampoline_kernelINS0_13select_configILj256ELj13ELNS0_17block_load_methodE3ELS4_3ELS4_3ELNS0_20block_scan_algorithmE0ELj4294967295EEENS1_25partition_config_selectorILNS1_17partition_subalgoE3EjNS0_10empty_typeEbEEZZNS1_14partition_implILS8_3ELb0ES6_jNS0_17counting_iteratorIjlEEPS9_SE_NS0_5tupleIJPjSE_EEENSF_IJSE_SE_EEES9_SG_JZNS1_25segmented_radix_sort_implINS0_14default_configELb1EPKdPdPKlPlN2at6native12_GLOBAL__N_18offset_tEEE10hipError_tPvRmT1_PNSt15iterator_traitsISY_E10value_typeET2_T3_PNSZ_IS14_E10value_typeET4_jRbjT5_S1A_jjP12ihipStream_tbEUljE_EEESV_SW_SX_S14_S18_S1A_T6_T7_T9_mT8_S1C_bDpT10_ENKUlT_T0_E_clISt17integral_constantIbLb1EES1O_IbLb0EEEEDaS1K_S1L_EUlS1K_E_NS1_11comp_targetILNS1_3genE9ELNS1_11target_archE1100ELNS1_3gpuE3ELNS1_3repE0EEENS1_30default_config_static_selectorELNS0_4arch9wavefront6targetE0EEEvSY_.kd
    .uniform_work_group_size: 1
    .uses_dynamic_stack: false
    .vgpr_count:     57
    .vgpr_spill_count: 0
    .wavefront_size: 32
    .workgroup_processor_mode: 1
  - .args:
      - .offset:         0
        .size:           144
        .value_kind:     by_value
    .group_segment_fixed_size: 0
    .kernarg_segment_align: 8
    .kernarg_segment_size: 144
    .language:       OpenCL C
    .language_version:
      - 2
      - 0
    .max_flat_workgroup_size: 256
    .name:           _ZN7rocprim17ROCPRIM_400000_NS6detail17trampoline_kernelINS0_13select_configILj256ELj13ELNS0_17block_load_methodE3ELS4_3ELS4_3ELNS0_20block_scan_algorithmE0ELj4294967295EEENS1_25partition_config_selectorILNS1_17partition_subalgoE3EjNS0_10empty_typeEbEEZZNS1_14partition_implILS8_3ELb0ES6_jNS0_17counting_iteratorIjlEEPS9_SE_NS0_5tupleIJPjSE_EEENSF_IJSE_SE_EEES9_SG_JZNS1_25segmented_radix_sort_implINS0_14default_configELb1EPKdPdPKlPlN2at6native12_GLOBAL__N_18offset_tEEE10hipError_tPvRmT1_PNSt15iterator_traitsISY_E10value_typeET2_T3_PNSZ_IS14_E10value_typeET4_jRbjT5_S1A_jjP12ihipStream_tbEUljE_EEESV_SW_SX_S14_S18_S1A_T6_T7_T9_mT8_S1C_bDpT10_ENKUlT_T0_E_clISt17integral_constantIbLb1EES1O_IbLb0EEEEDaS1K_S1L_EUlS1K_E_NS1_11comp_targetILNS1_3genE8ELNS1_11target_archE1030ELNS1_3gpuE2ELNS1_3repE0EEENS1_30default_config_static_selectorELNS0_4arch9wavefront6targetE0EEEvSY_
    .private_segment_fixed_size: 0
    .sgpr_count:     0
    .sgpr_spill_count: 0
    .symbol:         _ZN7rocprim17ROCPRIM_400000_NS6detail17trampoline_kernelINS0_13select_configILj256ELj13ELNS0_17block_load_methodE3ELS4_3ELS4_3ELNS0_20block_scan_algorithmE0ELj4294967295EEENS1_25partition_config_selectorILNS1_17partition_subalgoE3EjNS0_10empty_typeEbEEZZNS1_14partition_implILS8_3ELb0ES6_jNS0_17counting_iteratorIjlEEPS9_SE_NS0_5tupleIJPjSE_EEENSF_IJSE_SE_EEES9_SG_JZNS1_25segmented_radix_sort_implINS0_14default_configELb1EPKdPdPKlPlN2at6native12_GLOBAL__N_18offset_tEEE10hipError_tPvRmT1_PNSt15iterator_traitsISY_E10value_typeET2_T3_PNSZ_IS14_E10value_typeET4_jRbjT5_S1A_jjP12ihipStream_tbEUljE_EEESV_SW_SX_S14_S18_S1A_T6_T7_T9_mT8_S1C_bDpT10_ENKUlT_T0_E_clISt17integral_constantIbLb1EES1O_IbLb0EEEEDaS1K_S1L_EUlS1K_E_NS1_11comp_targetILNS1_3genE8ELNS1_11target_archE1030ELNS1_3gpuE2ELNS1_3repE0EEENS1_30default_config_static_selectorELNS0_4arch9wavefront6targetE0EEEvSY_.kd
    .uniform_work_group_size: 1
    .uses_dynamic_stack: false
    .vgpr_count:     0
    .vgpr_spill_count: 0
    .wavefront_size: 32
    .workgroup_processor_mode: 1
  - .args:
      - .offset:         0
        .size:           152
        .value_kind:     by_value
    .group_segment_fixed_size: 0
    .kernarg_segment_align: 8
    .kernarg_segment_size: 152
    .language:       OpenCL C
    .language_version:
      - 2
      - 0
    .max_flat_workgroup_size: 256
    .name:           _ZN7rocprim17ROCPRIM_400000_NS6detail17trampoline_kernelINS0_13select_configILj256ELj13ELNS0_17block_load_methodE3ELS4_3ELS4_3ELNS0_20block_scan_algorithmE0ELj4294967295EEENS1_25partition_config_selectorILNS1_17partition_subalgoE3EjNS0_10empty_typeEbEEZZNS1_14partition_implILS8_3ELb0ES6_jNS0_17counting_iteratorIjlEEPS9_SE_NS0_5tupleIJPjSE_EEENSF_IJSE_SE_EEES9_SG_JZNS1_25segmented_radix_sort_implINS0_14default_configELb1EPKdPdPKlPlN2at6native12_GLOBAL__N_18offset_tEEE10hipError_tPvRmT1_PNSt15iterator_traitsISY_E10value_typeET2_T3_PNSZ_IS14_E10value_typeET4_jRbjT5_S1A_jjP12ihipStream_tbEUljE_EEESV_SW_SX_S14_S18_S1A_T6_T7_T9_mT8_S1C_bDpT10_ENKUlT_T0_E_clISt17integral_constantIbLb0EES1O_IbLb1EEEEDaS1K_S1L_EUlS1K_E_NS1_11comp_targetILNS1_3genE0ELNS1_11target_archE4294967295ELNS1_3gpuE0ELNS1_3repE0EEENS1_30default_config_static_selectorELNS0_4arch9wavefront6targetE0EEEvSY_
    .private_segment_fixed_size: 0
    .sgpr_count:     0
    .sgpr_spill_count: 0
    .symbol:         _ZN7rocprim17ROCPRIM_400000_NS6detail17trampoline_kernelINS0_13select_configILj256ELj13ELNS0_17block_load_methodE3ELS4_3ELS4_3ELNS0_20block_scan_algorithmE0ELj4294967295EEENS1_25partition_config_selectorILNS1_17partition_subalgoE3EjNS0_10empty_typeEbEEZZNS1_14partition_implILS8_3ELb0ES6_jNS0_17counting_iteratorIjlEEPS9_SE_NS0_5tupleIJPjSE_EEENSF_IJSE_SE_EEES9_SG_JZNS1_25segmented_radix_sort_implINS0_14default_configELb1EPKdPdPKlPlN2at6native12_GLOBAL__N_18offset_tEEE10hipError_tPvRmT1_PNSt15iterator_traitsISY_E10value_typeET2_T3_PNSZ_IS14_E10value_typeET4_jRbjT5_S1A_jjP12ihipStream_tbEUljE_EEESV_SW_SX_S14_S18_S1A_T6_T7_T9_mT8_S1C_bDpT10_ENKUlT_T0_E_clISt17integral_constantIbLb0EES1O_IbLb1EEEEDaS1K_S1L_EUlS1K_E_NS1_11comp_targetILNS1_3genE0ELNS1_11target_archE4294967295ELNS1_3gpuE0ELNS1_3repE0EEENS1_30default_config_static_selectorELNS0_4arch9wavefront6targetE0EEEvSY_.kd
    .uniform_work_group_size: 1
    .uses_dynamic_stack: false
    .vgpr_count:     0
    .vgpr_spill_count: 0
    .wavefront_size: 32
    .workgroup_processor_mode: 1
  - .args:
      - .offset:         0
        .size:           152
        .value_kind:     by_value
    .group_segment_fixed_size: 0
    .kernarg_segment_align: 8
    .kernarg_segment_size: 152
    .language:       OpenCL C
    .language_version:
      - 2
      - 0
    .max_flat_workgroup_size: 256
    .name:           _ZN7rocprim17ROCPRIM_400000_NS6detail17trampoline_kernelINS0_13select_configILj256ELj13ELNS0_17block_load_methodE3ELS4_3ELS4_3ELNS0_20block_scan_algorithmE0ELj4294967295EEENS1_25partition_config_selectorILNS1_17partition_subalgoE3EjNS0_10empty_typeEbEEZZNS1_14partition_implILS8_3ELb0ES6_jNS0_17counting_iteratorIjlEEPS9_SE_NS0_5tupleIJPjSE_EEENSF_IJSE_SE_EEES9_SG_JZNS1_25segmented_radix_sort_implINS0_14default_configELb1EPKdPdPKlPlN2at6native12_GLOBAL__N_18offset_tEEE10hipError_tPvRmT1_PNSt15iterator_traitsISY_E10value_typeET2_T3_PNSZ_IS14_E10value_typeET4_jRbjT5_S1A_jjP12ihipStream_tbEUljE_EEESV_SW_SX_S14_S18_S1A_T6_T7_T9_mT8_S1C_bDpT10_ENKUlT_T0_E_clISt17integral_constantIbLb0EES1O_IbLb1EEEEDaS1K_S1L_EUlS1K_E_NS1_11comp_targetILNS1_3genE5ELNS1_11target_archE942ELNS1_3gpuE9ELNS1_3repE0EEENS1_30default_config_static_selectorELNS0_4arch9wavefront6targetE0EEEvSY_
    .private_segment_fixed_size: 0
    .sgpr_count:     0
    .sgpr_spill_count: 0
    .symbol:         _ZN7rocprim17ROCPRIM_400000_NS6detail17trampoline_kernelINS0_13select_configILj256ELj13ELNS0_17block_load_methodE3ELS4_3ELS4_3ELNS0_20block_scan_algorithmE0ELj4294967295EEENS1_25partition_config_selectorILNS1_17partition_subalgoE3EjNS0_10empty_typeEbEEZZNS1_14partition_implILS8_3ELb0ES6_jNS0_17counting_iteratorIjlEEPS9_SE_NS0_5tupleIJPjSE_EEENSF_IJSE_SE_EEES9_SG_JZNS1_25segmented_radix_sort_implINS0_14default_configELb1EPKdPdPKlPlN2at6native12_GLOBAL__N_18offset_tEEE10hipError_tPvRmT1_PNSt15iterator_traitsISY_E10value_typeET2_T3_PNSZ_IS14_E10value_typeET4_jRbjT5_S1A_jjP12ihipStream_tbEUljE_EEESV_SW_SX_S14_S18_S1A_T6_T7_T9_mT8_S1C_bDpT10_ENKUlT_T0_E_clISt17integral_constantIbLb0EES1O_IbLb1EEEEDaS1K_S1L_EUlS1K_E_NS1_11comp_targetILNS1_3genE5ELNS1_11target_archE942ELNS1_3gpuE9ELNS1_3repE0EEENS1_30default_config_static_selectorELNS0_4arch9wavefront6targetE0EEEvSY_.kd
    .uniform_work_group_size: 1
    .uses_dynamic_stack: false
    .vgpr_count:     0
    .vgpr_spill_count: 0
    .wavefront_size: 32
    .workgroup_processor_mode: 1
  - .args:
      - .offset:         0
        .size:           152
        .value_kind:     by_value
    .group_segment_fixed_size: 0
    .kernarg_segment_align: 8
    .kernarg_segment_size: 152
    .language:       OpenCL C
    .language_version:
      - 2
      - 0
    .max_flat_workgroup_size: 256
    .name:           _ZN7rocprim17ROCPRIM_400000_NS6detail17trampoline_kernelINS0_13select_configILj256ELj13ELNS0_17block_load_methodE3ELS4_3ELS4_3ELNS0_20block_scan_algorithmE0ELj4294967295EEENS1_25partition_config_selectorILNS1_17partition_subalgoE3EjNS0_10empty_typeEbEEZZNS1_14partition_implILS8_3ELb0ES6_jNS0_17counting_iteratorIjlEEPS9_SE_NS0_5tupleIJPjSE_EEENSF_IJSE_SE_EEES9_SG_JZNS1_25segmented_radix_sort_implINS0_14default_configELb1EPKdPdPKlPlN2at6native12_GLOBAL__N_18offset_tEEE10hipError_tPvRmT1_PNSt15iterator_traitsISY_E10value_typeET2_T3_PNSZ_IS14_E10value_typeET4_jRbjT5_S1A_jjP12ihipStream_tbEUljE_EEESV_SW_SX_S14_S18_S1A_T6_T7_T9_mT8_S1C_bDpT10_ENKUlT_T0_E_clISt17integral_constantIbLb0EES1O_IbLb1EEEEDaS1K_S1L_EUlS1K_E_NS1_11comp_targetILNS1_3genE4ELNS1_11target_archE910ELNS1_3gpuE8ELNS1_3repE0EEENS1_30default_config_static_selectorELNS0_4arch9wavefront6targetE0EEEvSY_
    .private_segment_fixed_size: 0
    .sgpr_count:     0
    .sgpr_spill_count: 0
    .symbol:         _ZN7rocprim17ROCPRIM_400000_NS6detail17trampoline_kernelINS0_13select_configILj256ELj13ELNS0_17block_load_methodE3ELS4_3ELS4_3ELNS0_20block_scan_algorithmE0ELj4294967295EEENS1_25partition_config_selectorILNS1_17partition_subalgoE3EjNS0_10empty_typeEbEEZZNS1_14partition_implILS8_3ELb0ES6_jNS0_17counting_iteratorIjlEEPS9_SE_NS0_5tupleIJPjSE_EEENSF_IJSE_SE_EEES9_SG_JZNS1_25segmented_radix_sort_implINS0_14default_configELb1EPKdPdPKlPlN2at6native12_GLOBAL__N_18offset_tEEE10hipError_tPvRmT1_PNSt15iterator_traitsISY_E10value_typeET2_T3_PNSZ_IS14_E10value_typeET4_jRbjT5_S1A_jjP12ihipStream_tbEUljE_EEESV_SW_SX_S14_S18_S1A_T6_T7_T9_mT8_S1C_bDpT10_ENKUlT_T0_E_clISt17integral_constantIbLb0EES1O_IbLb1EEEEDaS1K_S1L_EUlS1K_E_NS1_11comp_targetILNS1_3genE4ELNS1_11target_archE910ELNS1_3gpuE8ELNS1_3repE0EEENS1_30default_config_static_selectorELNS0_4arch9wavefront6targetE0EEEvSY_.kd
    .uniform_work_group_size: 1
    .uses_dynamic_stack: false
    .vgpr_count:     0
    .vgpr_spill_count: 0
    .wavefront_size: 32
    .workgroup_processor_mode: 1
  - .args:
      - .offset:         0
        .size:           152
        .value_kind:     by_value
    .group_segment_fixed_size: 0
    .kernarg_segment_align: 8
    .kernarg_segment_size: 152
    .language:       OpenCL C
    .language_version:
      - 2
      - 0
    .max_flat_workgroup_size: 256
    .name:           _ZN7rocprim17ROCPRIM_400000_NS6detail17trampoline_kernelINS0_13select_configILj256ELj13ELNS0_17block_load_methodE3ELS4_3ELS4_3ELNS0_20block_scan_algorithmE0ELj4294967295EEENS1_25partition_config_selectorILNS1_17partition_subalgoE3EjNS0_10empty_typeEbEEZZNS1_14partition_implILS8_3ELb0ES6_jNS0_17counting_iteratorIjlEEPS9_SE_NS0_5tupleIJPjSE_EEENSF_IJSE_SE_EEES9_SG_JZNS1_25segmented_radix_sort_implINS0_14default_configELb1EPKdPdPKlPlN2at6native12_GLOBAL__N_18offset_tEEE10hipError_tPvRmT1_PNSt15iterator_traitsISY_E10value_typeET2_T3_PNSZ_IS14_E10value_typeET4_jRbjT5_S1A_jjP12ihipStream_tbEUljE_EEESV_SW_SX_S14_S18_S1A_T6_T7_T9_mT8_S1C_bDpT10_ENKUlT_T0_E_clISt17integral_constantIbLb0EES1O_IbLb1EEEEDaS1K_S1L_EUlS1K_E_NS1_11comp_targetILNS1_3genE3ELNS1_11target_archE908ELNS1_3gpuE7ELNS1_3repE0EEENS1_30default_config_static_selectorELNS0_4arch9wavefront6targetE0EEEvSY_
    .private_segment_fixed_size: 0
    .sgpr_count:     0
    .sgpr_spill_count: 0
    .symbol:         _ZN7rocprim17ROCPRIM_400000_NS6detail17trampoline_kernelINS0_13select_configILj256ELj13ELNS0_17block_load_methodE3ELS4_3ELS4_3ELNS0_20block_scan_algorithmE0ELj4294967295EEENS1_25partition_config_selectorILNS1_17partition_subalgoE3EjNS0_10empty_typeEbEEZZNS1_14partition_implILS8_3ELb0ES6_jNS0_17counting_iteratorIjlEEPS9_SE_NS0_5tupleIJPjSE_EEENSF_IJSE_SE_EEES9_SG_JZNS1_25segmented_radix_sort_implINS0_14default_configELb1EPKdPdPKlPlN2at6native12_GLOBAL__N_18offset_tEEE10hipError_tPvRmT1_PNSt15iterator_traitsISY_E10value_typeET2_T3_PNSZ_IS14_E10value_typeET4_jRbjT5_S1A_jjP12ihipStream_tbEUljE_EEESV_SW_SX_S14_S18_S1A_T6_T7_T9_mT8_S1C_bDpT10_ENKUlT_T0_E_clISt17integral_constantIbLb0EES1O_IbLb1EEEEDaS1K_S1L_EUlS1K_E_NS1_11comp_targetILNS1_3genE3ELNS1_11target_archE908ELNS1_3gpuE7ELNS1_3repE0EEENS1_30default_config_static_selectorELNS0_4arch9wavefront6targetE0EEEvSY_.kd
    .uniform_work_group_size: 1
    .uses_dynamic_stack: false
    .vgpr_count:     0
    .vgpr_spill_count: 0
    .wavefront_size: 32
    .workgroup_processor_mode: 1
  - .args:
      - .offset:         0
        .size:           152
        .value_kind:     by_value
    .group_segment_fixed_size: 0
    .kernarg_segment_align: 8
    .kernarg_segment_size: 152
    .language:       OpenCL C
    .language_version:
      - 2
      - 0
    .max_flat_workgroup_size: 256
    .name:           _ZN7rocprim17ROCPRIM_400000_NS6detail17trampoline_kernelINS0_13select_configILj256ELj13ELNS0_17block_load_methodE3ELS4_3ELS4_3ELNS0_20block_scan_algorithmE0ELj4294967295EEENS1_25partition_config_selectorILNS1_17partition_subalgoE3EjNS0_10empty_typeEbEEZZNS1_14partition_implILS8_3ELb0ES6_jNS0_17counting_iteratorIjlEEPS9_SE_NS0_5tupleIJPjSE_EEENSF_IJSE_SE_EEES9_SG_JZNS1_25segmented_radix_sort_implINS0_14default_configELb1EPKdPdPKlPlN2at6native12_GLOBAL__N_18offset_tEEE10hipError_tPvRmT1_PNSt15iterator_traitsISY_E10value_typeET2_T3_PNSZ_IS14_E10value_typeET4_jRbjT5_S1A_jjP12ihipStream_tbEUljE_EEESV_SW_SX_S14_S18_S1A_T6_T7_T9_mT8_S1C_bDpT10_ENKUlT_T0_E_clISt17integral_constantIbLb0EES1O_IbLb1EEEEDaS1K_S1L_EUlS1K_E_NS1_11comp_targetILNS1_3genE2ELNS1_11target_archE906ELNS1_3gpuE6ELNS1_3repE0EEENS1_30default_config_static_selectorELNS0_4arch9wavefront6targetE0EEEvSY_
    .private_segment_fixed_size: 0
    .sgpr_count:     0
    .sgpr_spill_count: 0
    .symbol:         _ZN7rocprim17ROCPRIM_400000_NS6detail17trampoline_kernelINS0_13select_configILj256ELj13ELNS0_17block_load_methodE3ELS4_3ELS4_3ELNS0_20block_scan_algorithmE0ELj4294967295EEENS1_25partition_config_selectorILNS1_17partition_subalgoE3EjNS0_10empty_typeEbEEZZNS1_14partition_implILS8_3ELb0ES6_jNS0_17counting_iteratorIjlEEPS9_SE_NS0_5tupleIJPjSE_EEENSF_IJSE_SE_EEES9_SG_JZNS1_25segmented_radix_sort_implINS0_14default_configELb1EPKdPdPKlPlN2at6native12_GLOBAL__N_18offset_tEEE10hipError_tPvRmT1_PNSt15iterator_traitsISY_E10value_typeET2_T3_PNSZ_IS14_E10value_typeET4_jRbjT5_S1A_jjP12ihipStream_tbEUljE_EEESV_SW_SX_S14_S18_S1A_T6_T7_T9_mT8_S1C_bDpT10_ENKUlT_T0_E_clISt17integral_constantIbLb0EES1O_IbLb1EEEEDaS1K_S1L_EUlS1K_E_NS1_11comp_targetILNS1_3genE2ELNS1_11target_archE906ELNS1_3gpuE6ELNS1_3repE0EEENS1_30default_config_static_selectorELNS0_4arch9wavefront6targetE0EEEvSY_.kd
    .uniform_work_group_size: 1
    .uses_dynamic_stack: false
    .vgpr_count:     0
    .vgpr_spill_count: 0
    .wavefront_size: 32
    .workgroup_processor_mode: 1
  - .args:
      - .offset:         0
        .size:           152
        .value_kind:     by_value
    .group_segment_fixed_size: 0
    .kernarg_segment_align: 8
    .kernarg_segment_size: 152
    .language:       OpenCL C
    .language_version:
      - 2
      - 0
    .max_flat_workgroup_size: 256
    .name:           _ZN7rocprim17ROCPRIM_400000_NS6detail17trampoline_kernelINS0_13select_configILj256ELj13ELNS0_17block_load_methodE3ELS4_3ELS4_3ELNS0_20block_scan_algorithmE0ELj4294967295EEENS1_25partition_config_selectorILNS1_17partition_subalgoE3EjNS0_10empty_typeEbEEZZNS1_14partition_implILS8_3ELb0ES6_jNS0_17counting_iteratorIjlEEPS9_SE_NS0_5tupleIJPjSE_EEENSF_IJSE_SE_EEES9_SG_JZNS1_25segmented_radix_sort_implINS0_14default_configELb1EPKdPdPKlPlN2at6native12_GLOBAL__N_18offset_tEEE10hipError_tPvRmT1_PNSt15iterator_traitsISY_E10value_typeET2_T3_PNSZ_IS14_E10value_typeET4_jRbjT5_S1A_jjP12ihipStream_tbEUljE_EEESV_SW_SX_S14_S18_S1A_T6_T7_T9_mT8_S1C_bDpT10_ENKUlT_T0_E_clISt17integral_constantIbLb0EES1O_IbLb1EEEEDaS1K_S1L_EUlS1K_E_NS1_11comp_targetILNS1_3genE10ELNS1_11target_archE1200ELNS1_3gpuE4ELNS1_3repE0EEENS1_30default_config_static_selectorELNS0_4arch9wavefront6targetE0EEEvSY_
    .private_segment_fixed_size: 0
    .sgpr_count:     0
    .sgpr_spill_count: 0
    .symbol:         _ZN7rocprim17ROCPRIM_400000_NS6detail17trampoline_kernelINS0_13select_configILj256ELj13ELNS0_17block_load_methodE3ELS4_3ELS4_3ELNS0_20block_scan_algorithmE0ELj4294967295EEENS1_25partition_config_selectorILNS1_17partition_subalgoE3EjNS0_10empty_typeEbEEZZNS1_14partition_implILS8_3ELb0ES6_jNS0_17counting_iteratorIjlEEPS9_SE_NS0_5tupleIJPjSE_EEENSF_IJSE_SE_EEES9_SG_JZNS1_25segmented_radix_sort_implINS0_14default_configELb1EPKdPdPKlPlN2at6native12_GLOBAL__N_18offset_tEEE10hipError_tPvRmT1_PNSt15iterator_traitsISY_E10value_typeET2_T3_PNSZ_IS14_E10value_typeET4_jRbjT5_S1A_jjP12ihipStream_tbEUljE_EEESV_SW_SX_S14_S18_S1A_T6_T7_T9_mT8_S1C_bDpT10_ENKUlT_T0_E_clISt17integral_constantIbLb0EES1O_IbLb1EEEEDaS1K_S1L_EUlS1K_E_NS1_11comp_targetILNS1_3genE10ELNS1_11target_archE1200ELNS1_3gpuE4ELNS1_3repE0EEENS1_30default_config_static_selectorELNS0_4arch9wavefront6targetE0EEEvSY_.kd
    .uniform_work_group_size: 1
    .uses_dynamic_stack: false
    .vgpr_count:     0
    .vgpr_spill_count: 0
    .wavefront_size: 32
    .workgroup_processor_mode: 1
  - .args:
      - .offset:         0
        .size:           152
        .value_kind:     by_value
    .group_segment_fixed_size: 13324
    .kernarg_segment_align: 8
    .kernarg_segment_size: 152
    .language:       OpenCL C
    .language_version:
      - 2
      - 0
    .max_flat_workgroup_size: 256
    .name:           _ZN7rocprim17ROCPRIM_400000_NS6detail17trampoline_kernelINS0_13select_configILj256ELj13ELNS0_17block_load_methodE3ELS4_3ELS4_3ELNS0_20block_scan_algorithmE0ELj4294967295EEENS1_25partition_config_selectorILNS1_17partition_subalgoE3EjNS0_10empty_typeEbEEZZNS1_14partition_implILS8_3ELb0ES6_jNS0_17counting_iteratorIjlEEPS9_SE_NS0_5tupleIJPjSE_EEENSF_IJSE_SE_EEES9_SG_JZNS1_25segmented_radix_sort_implINS0_14default_configELb1EPKdPdPKlPlN2at6native12_GLOBAL__N_18offset_tEEE10hipError_tPvRmT1_PNSt15iterator_traitsISY_E10value_typeET2_T3_PNSZ_IS14_E10value_typeET4_jRbjT5_S1A_jjP12ihipStream_tbEUljE_EEESV_SW_SX_S14_S18_S1A_T6_T7_T9_mT8_S1C_bDpT10_ENKUlT_T0_E_clISt17integral_constantIbLb0EES1O_IbLb1EEEEDaS1K_S1L_EUlS1K_E_NS1_11comp_targetILNS1_3genE9ELNS1_11target_archE1100ELNS1_3gpuE3ELNS1_3repE0EEENS1_30default_config_static_selectorELNS0_4arch9wavefront6targetE0EEEvSY_
    .private_segment_fixed_size: 0
    .sgpr_count:     28
    .sgpr_spill_count: 0
    .symbol:         _ZN7rocprim17ROCPRIM_400000_NS6detail17trampoline_kernelINS0_13select_configILj256ELj13ELNS0_17block_load_methodE3ELS4_3ELS4_3ELNS0_20block_scan_algorithmE0ELj4294967295EEENS1_25partition_config_selectorILNS1_17partition_subalgoE3EjNS0_10empty_typeEbEEZZNS1_14partition_implILS8_3ELb0ES6_jNS0_17counting_iteratorIjlEEPS9_SE_NS0_5tupleIJPjSE_EEENSF_IJSE_SE_EEES9_SG_JZNS1_25segmented_radix_sort_implINS0_14default_configELb1EPKdPdPKlPlN2at6native12_GLOBAL__N_18offset_tEEE10hipError_tPvRmT1_PNSt15iterator_traitsISY_E10value_typeET2_T3_PNSZ_IS14_E10value_typeET4_jRbjT5_S1A_jjP12ihipStream_tbEUljE_EEESV_SW_SX_S14_S18_S1A_T6_T7_T9_mT8_S1C_bDpT10_ENKUlT_T0_E_clISt17integral_constantIbLb0EES1O_IbLb1EEEEDaS1K_S1L_EUlS1K_E_NS1_11comp_targetILNS1_3genE9ELNS1_11target_archE1100ELNS1_3gpuE3ELNS1_3repE0EEENS1_30default_config_static_selectorELNS0_4arch9wavefront6targetE0EEEvSY_.kd
    .uniform_work_group_size: 1
    .uses_dynamic_stack: false
    .vgpr_count:     60
    .vgpr_spill_count: 0
    .wavefront_size: 32
    .workgroup_processor_mode: 1
  - .args:
      - .offset:         0
        .size:           152
        .value_kind:     by_value
    .group_segment_fixed_size: 0
    .kernarg_segment_align: 8
    .kernarg_segment_size: 152
    .language:       OpenCL C
    .language_version:
      - 2
      - 0
    .max_flat_workgroup_size: 256
    .name:           _ZN7rocprim17ROCPRIM_400000_NS6detail17trampoline_kernelINS0_13select_configILj256ELj13ELNS0_17block_load_methodE3ELS4_3ELS4_3ELNS0_20block_scan_algorithmE0ELj4294967295EEENS1_25partition_config_selectorILNS1_17partition_subalgoE3EjNS0_10empty_typeEbEEZZNS1_14partition_implILS8_3ELb0ES6_jNS0_17counting_iteratorIjlEEPS9_SE_NS0_5tupleIJPjSE_EEENSF_IJSE_SE_EEES9_SG_JZNS1_25segmented_radix_sort_implINS0_14default_configELb1EPKdPdPKlPlN2at6native12_GLOBAL__N_18offset_tEEE10hipError_tPvRmT1_PNSt15iterator_traitsISY_E10value_typeET2_T3_PNSZ_IS14_E10value_typeET4_jRbjT5_S1A_jjP12ihipStream_tbEUljE_EEESV_SW_SX_S14_S18_S1A_T6_T7_T9_mT8_S1C_bDpT10_ENKUlT_T0_E_clISt17integral_constantIbLb0EES1O_IbLb1EEEEDaS1K_S1L_EUlS1K_E_NS1_11comp_targetILNS1_3genE8ELNS1_11target_archE1030ELNS1_3gpuE2ELNS1_3repE0EEENS1_30default_config_static_selectorELNS0_4arch9wavefront6targetE0EEEvSY_
    .private_segment_fixed_size: 0
    .sgpr_count:     0
    .sgpr_spill_count: 0
    .symbol:         _ZN7rocprim17ROCPRIM_400000_NS6detail17trampoline_kernelINS0_13select_configILj256ELj13ELNS0_17block_load_methodE3ELS4_3ELS4_3ELNS0_20block_scan_algorithmE0ELj4294967295EEENS1_25partition_config_selectorILNS1_17partition_subalgoE3EjNS0_10empty_typeEbEEZZNS1_14partition_implILS8_3ELb0ES6_jNS0_17counting_iteratorIjlEEPS9_SE_NS0_5tupleIJPjSE_EEENSF_IJSE_SE_EEES9_SG_JZNS1_25segmented_radix_sort_implINS0_14default_configELb1EPKdPdPKlPlN2at6native12_GLOBAL__N_18offset_tEEE10hipError_tPvRmT1_PNSt15iterator_traitsISY_E10value_typeET2_T3_PNSZ_IS14_E10value_typeET4_jRbjT5_S1A_jjP12ihipStream_tbEUljE_EEESV_SW_SX_S14_S18_S1A_T6_T7_T9_mT8_S1C_bDpT10_ENKUlT_T0_E_clISt17integral_constantIbLb0EES1O_IbLb1EEEEDaS1K_S1L_EUlS1K_E_NS1_11comp_targetILNS1_3genE8ELNS1_11target_archE1030ELNS1_3gpuE2ELNS1_3repE0EEENS1_30default_config_static_selectorELNS0_4arch9wavefront6targetE0EEEvSY_.kd
    .uniform_work_group_size: 1
    .uses_dynamic_stack: false
    .vgpr_count:     0
    .vgpr_spill_count: 0
    .wavefront_size: 32
    .workgroup_processor_mode: 1
  - .args:
      - .offset:         0
        .size:           96
        .value_kind:     by_value
    .group_segment_fixed_size: 0
    .kernarg_segment_align: 8
    .kernarg_segment_size: 96
    .language:       OpenCL C
    .language_version:
      - 2
      - 0
    .max_flat_workgroup_size: 256
    .name:           _ZN7rocprim17ROCPRIM_400000_NS6detail17trampoline_kernelINS0_14default_configENS1_36segmented_radix_sort_config_selectorIdlEEZNS1_25segmented_radix_sort_implIS3_Lb1EPKdPdPKlPlN2at6native12_GLOBAL__N_18offset_tEEE10hipError_tPvRmT1_PNSt15iterator_traitsISK_E10value_typeET2_T3_PNSL_ISQ_E10value_typeET4_jRbjT5_SW_jjP12ihipStream_tbEUlT_E_NS1_11comp_targetILNS1_3genE0ELNS1_11target_archE4294967295ELNS1_3gpuE0ELNS1_3repE0EEENS1_30default_config_static_selectorELNS0_4arch9wavefront6targetE0EEEvSK_
    .private_segment_fixed_size: 0
    .sgpr_count:     0
    .sgpr_spill_count: 0
    .symbol:         _ZN7rocprim17ROCPRIM_400000_NS6detail17trampoline_kernelINS0_14default_configENS1_36segmented_radix_sort_config_selectorIdlEEZNS1_25segmented_radix_sort_implIS3_Lb1EPKdPdPKlPlN2at6native12_GLOBAL__N_18offset_tEEE10hipError_tPvRmT1_PNSt15iterator_traitsISK_E10value_typeET2_T3_PNSL_ISQ_E10value_typeET4_jRbjT5_SW_jjP12ihipStream_tbEUlT_E_NS1_11comp_targetILNS1_3genE0ELNS1_11target_archE4294967295ELNS1_3gpuE0ELNS1_3repE0EEENS1_30default_config_static_selectorELNS0_4arch9wavefront6targetE0EEEvSK_.kd
    .uniform_work_group_size: 1
    .uses_dynamic_stack: false
    .vgpr_count:     0
    .vgpr_spill_count: 0
    .wavefront_size: 32
    .workgroup_processor_mode: 1
  - .args:
      - .offset:         0
        .size:           96
        .value_kind:     by_value
    .group_segment_fixed_size: 0
    .kernarg_segment_align: 8
    .kernarg_segment_size: 96
    .language:       OpenCL C
    .language_version:
      - 2
      - 0
    .max_flat_workgroup_size: 256
    .name:           _ZN7rocprim17ROCPRIM_400000_NS6detail17trampoline_kernelINS0_14default_configENS1_36segmented_radix_sort_config_selectorIdlEEZNS1_25segmented_radix_sort_implIS3_Lb1EPKdPdPKlPlN2at6native12_GLOBAL__N_18offset_tEEE10hipError_tPvRmT1_PNSt15iterator_traitsISK_E10value_typeET2_T3_PNSL_ISQ_E10value_typeET4_jRbjT5_SW_jjP12ihipStream_tbEUlT_E_NS1_11comp_targetILNS1_3genE5ELNS1_11target_archE942ELNS1_3gpuE9ELNS1_3repE0EEENS1_30default_config_static_selectorELNS0_4arch9wavefront6targetE0EEEvSK_
    .private_segment_fixed_size: 0
    .sgpr_count:     0
    .sgpr_spill_count: 0
    .symbol:         _ZN7rocprim17ROCPRIM_400000_NS6detail17trampoline_kernelINS0_14default_configENS1_36segmented_radix_sort_config_selectorIdlEEZNS1_25segmented_radix_sort_implIS3_Lb1EPKdPdPKlPlN2at6native12_GLOBAL__N_18offset_tEEE10hipError_tPvRmT1_PNSt15iterator_traitsISK_E10value_typeET2_T3_PNSL_ISQ_E10value_typeET4_jRbjT5_SW_jjP12ihipStream_tbEUlT_E_NS1_11comp_targetILNS1_3genE5ELNS1_11target_archE942ELNS1_3gpuE9ELNS1_3repE0EEENS1_30default_config_static_selectorELNS0_4arch9wavefront6targetE0EEEvSK_.kd
    .uniform_work_group_size: 1
    .uses_dynamic_stack: false
    .vgpr_count:     0
    .vgpr_spill_count: 0
    .wavefront_size: 32
    .workgroup_processor_mode: 1
  - .args:
      - .offset:         0
        .size:           96
        .value_kind:     by_value
    .group_segment_fixed_size: 0
    .kernarg_segment_align: 8
    .kernarg_segment_size: 96
    .language:       OpenCL C
    .language_version:
      - 2
      - 0
    .max_flat_workgroup_size: 256
    .name:           _ZN7rocprim17ROCPRIM_400000_NS6detail17trampoline_kernelINS0_14default_configENS1_36segmented_radix_sort_config_selectorIdlEEZNS1_25segmented_radix_sort_implIS3_Lb1EPKdPdPKlPlN2at6native12_GLOBAL__N_18offset_tEEE10hipError_tPvRmT1_PNSt15iterator_traitsISK_E10value_typeET2_T3_PNSL_ISQ_E10value_typeET4_jRbjT5_SW_jjP12ihipStream_tbEUlT_E_NS1_11comp_targetILNS1_3genE4ELNS1_11target_archE910ELNS1_3gpuE8ELNS1_3repE0EEENS1_30default_config_static_selectorELNS0_4arch9wavefront6targetE0EEEvSK_
    .private_segment_fixed_size: 0
    .sgpr_count:     0
    .sgpr_spill_count: 0
    .symbol:         _ZN7rocprim17ROCPRIM_400000_NS6detail17trampoline_kernelINS0_14default_configENS1_36segmented_radix_sort_config_selectorIdlEEZNS1_25segmented_radix_sort_implIS3_Lb1EPKdPdPKlPlN2at6native12_GLOBAL__N_18offset_tEEE10hipError_tPvRmT1_PNSt15iterator_traitsISK_E10value_typeET2_T3_PNSL_ISQ_E10value_typeET4_jRbjT5_SW_jjP12ihipStream_tbEUlT_E_NS1_11comp_targetILNS1_3genE4ELNS1_11target_archE910ELNS1_3gpuE8ELNS1_3repE0EEENS1_30default_config_static_selectorELNS0_4arch9wavefront6targetE0EEEvSK_.kd
    .uniform_work_group_size: 1
    .uses_dynamic_stack: false
    .vgpr_count:     0
    .vgpr_spill_count: 0
    .wavefront_size: 32
    .workgroup_processor_mode: 1
  - .args:
      - .offset:         0
        .size:           96
        .value_kind:     by_value
    .group_segment_fixed_size: 0
    .kernarg_segment_align: 8
    .kernarg_segment_size: 96
    .language:       OpenCL C
    .language_version:
      - 2
      - 0
    .max_flat_workgroup_size: 256
    .name:           _ZN7rocprim17ROCPRIM_400000_NS6detail17trampoline_kernelINS0_14default_configENS1_36segmented_radix_sort_config_selectorIdlEEZNS1_25segmented_radix_sort_implIS3_Lb1EPKdPdPKlPlN2at6native12_GLOBAL__N_18offset_tEEE10hipError_tPvRmT1_PNSt15iterator_traitsISK_E10value_typeET2_T3_PNSL_ISQ_E10value_typeET4_jRbjT5_SW_jjP12ihipStream_tbEUlT_E_NS1_11comp_targetILNS1_3genE3ELNS1_11target_archE908ELNS1_3gpuE7ELNS1_3repE0EEENS1_30default_config_static_selectorELNS0_4arch9wavefront6targetE0EEEvSK_
    .private_segment_fixed_size: 0
    .sgpr_count:     0
    .sgpr_spill_count: 0
    .symbol:         _ZN7rocprim17ROCPRIM_400000_NS6detail17trampoline_kernelINS0_14default_configENS1_36segmented_radix_sort_config_selectorIdlEEZNS1_25segmented_radix_sort_implIS3_Lb1EPKdPdPKlPlN2at6native12_GLOBAL__N_18offset_tEEE10hipError_tPvRmT1_PNSt15iterator_traitsISK_E10value_typeET2_T3_PNSL_ISQ_E10value_typeET4_jRbjT5_SW_jjP12ihipStream_tbEUlT_E_NS1_11comp_targetILNS1_3genE3ELNS1_11target_archE908ELNS1_3gpuE7ELNS1_3repE0EEENS1_30default_config_static_selectorELNS0_4arch9wavefront6targetE0EEEvSK_.kd
    .uniform_work_group_size: 1
    .uses_dynamic_stack: false
    .vgpr_count:     0
    .vgpr_spill_count: 0
    .wavefront_size: 32
    .workgroup_processor_mode: 1
  - .args:
      - .offset:         0
        .size:           96
        .value_kind:     by_value
    .group_segment_fixed_size: 0
    .kernarg_segment_align: 8
    .kernarg_segment_size: 96
    .language:       OpenCL C
    .language_version:
      - 2
      - 0
    .max_flat_workgroup_size: 256
    .name:           _ZN7rocprim17ROCPRIM_400000_NS6detail17trampoline_kernelINS0_14default_configENS1_36segmented_radix_sort_config_selectorIdlEEZNS1_25segmented_radix_sort_implIS3_Lb1EPKdPdPKlPlN2at6native12_GLOBAL__N_18offset_tEEE10hipError_tPvRmT1_PNSt15iterator_traitsISK_E10value_typeET2_T3_PNSL_ISQ_E10value_typeET4_jRbjT5_SW_jjP12ihipStream_tbEUlT_E_NS1_11comp_targetILNS1_3genE2ELNS1_11target_archE906ELNS1_3gpuE6ELNS1_3repE0EEENS1_30default_config_static_selectorELNS0_4arch9wavefront6targetE0EEEvSK_
    .private_segment_fixed_size: 0
    .sgpr_count:     0
    .sgpr_spill_count: 0
    .symbol:         _ZN7rocprim17ROCPRIM_400000_NS6detail17trampoline_kernelINS0_14default_configENS1_36segmented_radix_sort_config_selectorIdlEEZNS1_25segmented_radix_sort_implIS3_Lb1EPKdPdPKlPlN2at6native12_GLOBAL__N_18offset_tEEE10hipError_tPvRmT1_PNSt15iterator_traitsISK_E10value_typeET2_T3_PNSL_ISQ_E10value_typeET4_jRbjT5_SW_jjP12ihipStream_tbEUlT_E_NS1_11comp_targetILNS1_3genE2ELNS1_11target_archE906ELNS1_3gpuE6ELNS1_3repE0EEENS1_30default_config_static_selectorELNS0_4arch9wavefront6targetE0EEEvSK_.kd
    .uniform_work_group_size: 1
    .uses_dynamic_stack: false
    .vgpr_count:     0
    .vgpr_spill_count: 0
    .wavefront_size: 32
    .workgroup_processor_mode: 1
  - .args:
      - .offset:         0
        .size:           96
        .value_kind:     by_value
    .group_segment_fixed_size: 0
    .kernarg_segment_align: 8
    .kernarg_segment_size: 96
    .language:       OpenCL C
    .language_version:
      - 2
      - 0
    .max_flat_workgroup_size: 256
    .name:           _ZN7rocprim17ROCPRIM_400000_NS6detail17trampoline_kernelINS0_14default_configENS1_36segmented_radix_sort_config_selectorIdlEEZNS1_25segmented_radix_sort_implIS3_Lb1EPKdPdPKlPlN2at6native12_GLOBAL__N_18offset_tEEE10hipError_tPvRmT1_PNSt15iterator_traitsISK_E10value_typeET2_T3_PNSL_ISQ_E10value_typeET4_jRbjT5_SW_jjP12ihipStream_tbEUlT_E_NS1_11comp_targetILNS1_3genE10ELNS1_11target_archE1201ELNS1_3gpuE5ELNS1_3repE0EEENS1_30default_config_static_selectorELNS0_4arch9wavefront6targetE0EEEvSK_
    .private_segment_fixed_size: 0
    .sgpr_count:     0
    .sgpr_spill_count: 0
    .symbol:         _ZN7rocprim17ROCPRIM_400000_NS6detail17trampoline_kernelINS0_14default_configENS1_36segmented_radix_sort_config_selectorIdlEEZNS1_25segmented_radix_sort_implIS3_Lb1EPKdPdPKlPlN2at6native12_GLOBAL__N_18offset_tEEE10hipError_tPvRmT1_PNSt15iterator_traitsISK_E10value_typeET2_T3_PNSL_ISQ_E10value_typeET4_jRbjT5_SW_jjP12ihipStream_tbEUlT_E_NS1_11comp_targetILNS1_3genE10ELNS1_11target_archE1201ELNS1_3gpuE5ELNS1_3repE0EEENS1_30default_config_static_selectorELNS0_4arch9wavefront6targetE0EEEvSK_.kd
    .uniform_work_group_size: 1
    .uses_dynamic_stack: false
    .vgpr_count:     0
    .vgpr_spill_count: 0
    .wavefront_size: 32
    .workgroup_processor_mode: 1
  - .args:
      - .offset:         0
        .size:           96
        .value_kind:     by_value
    .group_segment_fixed_size: 0
    .kernarg_segment_align: 8
    .kernarg_segment_size: 96
    .language:       OpenCL C
    .language_version:
      - 2
      - 0
    .max_flat_workgroup_size: 128
    .name:           _ZN7rocprim17ROCPRIM_400000_NS6detail17trampoline_kernelINS0_14default_configENS1_36segmented_radix_sort_config_selectorIdlEEZNS1_25segmented_radix_sort_implIS3_Lb1EPKdPdPKlPlN2at6native12_GLOBAL__N_18offset_tEEE10hipError_tPvRmT1_PNSt15iterator_traitsISK_E10value_typeET2_T3_PNSL_ISQ_E10value_typeET4_jRbjT5_SW_jjP12ihipStream_tbEUlT_E_NS1_11comp_targetILNS1_3genE10ELNS1_11target_archE1200ELNS1_3gpuE4ELNS1_3repE0EEENS1_30default_config_static_selectorELNS0_4arch9wavefront6targetE0EEEvSK_
    .private_segment_fixed_size: 0
    .sgpr_count:     0
    .sgpr_spill_count: 0
    .symbol:         _ZN7rocprim17ROCPRIM_400000_NS6detail17trampoline_kernelINS0_14default_configENS1_36segmented_radix_sort_config_selectorIdlEEZNS1_25segmented_radix_sort_implIS3_Lb1EPKdPdPKlPlN2at6native12_GLOBAL__N_18offset_tEEE10hipError_tPvRmT1_PNSt15iterator_traitsISK_E10value_typeET2_T3_PNSL_ISQ_E10value_typeET4_jRbjT5_SW_jjP12ihipStream_tbEUlT_E_NS1_11comp_targetILNS1_3genE10ELNS1_11target_archE1200ELNS1_3gpuE4ELNS1_3repE0EEENS1_30default_config_static_selectorELNS0_4arch9wavefront6targetE0EEEvSK_.kd
    .uniform_work_group_size: 1
    .uses_dynamic_stack: false
    .vgpr_count:     0
    .vgpr_spill_count: 0
    .wavefront_size: 32
    .workgroup_processor_mode: 1
  - .args:
      - .offset:         0
        .size:           96
        .value_kind:     by_value
      - .offset:         96
        .size:           4
        .value_kind:     hidden_block_count_x
      - .offset:         100
        .size:           4
        .value_kind:     hidden_block_count_y
      - .offset:         104
        .size:           4
        .value_kind:     hidden_block_count_z
      - .offset:         108
        .size:           2
        .value_kind:     hidden_group_size_x
      - .offset:         110
        .size:           2
        .value_kind:     hidden_group_size_y
      - .offset:         112
        .size:           2
        .value_kind:     hidden_group_size_z
      - .offset:         114
        .size:           2
        .value_kind:     hidden_remainder_x
      - .offset:         116
        .size:           2
        .value_kind:     hidden_remainder_y
      - .offset:         118
        .size:           2
        .value_kind:     hidden_remainder_z
      - .offset:         136
        .size:           8
        .value_kind:     hidden_global_offset_x
      - .offset:         144
        .size:           8
        .value_kind:     hidden_global_offset_y
      - .offset:         152
        .size:           8
        .value_kind:     hidden_global_offset_z
      - .offset:         160
        .size:           2
        .value_kind:     hidden_grid_dims
    .group_segment_fixed_size: 33824
    .kernarg_segment_align: 8
    .kernarg_segment_size: 352
    .language:       OpenCL C
    .language_version:
      - 2
      - 0
    .max_flat_workgroup_size: 256
    .name:           _ZN7rocprim17ROCPRIM_400000_NS6detail17trampoline_kernelINS0_14default_configENS1_36segmented_radix_sort_config_selectorIdlEEZNS1_25segmented_radix_sort_implIS3_Lb1EPKdPdPKlPlN2at6native12_GLOBAL__N_18offset_tEEE10hipError_tPvRmT1_PNSt15iterator_traitsISK_E10value_typeET2_T3_PNSL_ISQ_E10value_typeET4_jRbjT5_SW_jjP12ihipStream_tbEUlT_E_NS1_11comp_targetILNS1_3genE9ELNS1_11target_archE1100ELNS1_3gpuE3ELNS1_3repE0EEENS1_30default_config_static_selectorELNS0_4arch9wavefront6targetE0EEEvSK_
    .private_segment_fixed_size: 200
    .sgpr_count:     65
    .sgpr_spill_count: 0
    .symbol:         _ZN7rocprim17ROCPRIM_400000_NS6detail17trampoline_kernelINS0_14default_configENS1_36segmented_radix_sort_config_selectorIdlEEZNS1_25segmented_radix_sort_implIS3_Lb1EPKdPdPKlPlN2at6native12_GLOBAL__N_18offset_tEEE10hipError_tPvRmT1_PNSt15iterator_traitsISK_E10value_typeET2_T3_PNSL_ISQ_E10value_typeET4_jRbjT5_SW_jjP12ihipStream_tbEUlT_E_NS1_11comp_targetILNS1_3genE9ELNS1_11target_archE1100ELNS1_3gpuE3ELNS1_3repE0EEENS1_30default_config_static_selectorELNS0_4arch9wavefront6targetE0EEEvSK_.kd
    .uniform_work_group_size: 1
    .uses_dynamic_stack: false
    .vgpr_count:     248
    .vgpr_spill_count: 0
    .wavefront_size: 32
    .workgroup_processor_mode: 1
  - .args:
      - .offset:         0
        .size:           96
        .value_kind:     by_value
    .group_segment_fixed_size: 0
    .kernarg_segment_align: 8
    .kernarg_segment_size: 96
    .language:       OpenCL C
    .language_version:
      - 2
      - 0
    .max_flat_workgroup_size: 256
    .name:           _ZN7rocprim17ROCPRIM_400000_NS6detail17trampoline_kernelINS0_14default_configENS1_36segmented_radix_sort_config_selectorIdlEEZNS1_25segmented_radix_sort_implIS3_Lb1EPKdPdPKlPlN2at6native12_GLOBAL__N_18offset_tEEE10hipError_tPvRmT1_PNSt15iterator_traitsISK_E10value_typeET2_T3_PNSL_ISQ_E10value_typeET4_jRbjT5_SW_jjP12ihipStream_tbEUlT_E_NS1_11comp_targetILNS1_3genE8ELNS1_11target_archE1030ELNS1_3gpuE2ELNS1_3repE0EEENS1_30default_config_static_selectorELNS0_4arch9wavefront6targetE0EEEvSK_
    .private_segment_fixed_size: 0
    .sgpr_count:     0
    .sgpr_spill_count: 0
    .symbol:         _ZN7rocprim17ROCPRIM_400000_NS6detail17trampoline_kernelINS0_14default_configENS1_36segmented_radix_sort_config_selectorIdlEEZNS1_25segmented_radix_sort_implIS3_Lb1EPKdPdPKlPlN2at6native12_GLOBAL__N_18offset_tEEE10hipError_tPvRmT1_PNSt15iterator_traitsISK_E10value_typeET2_T3_PNSL_ISQ_E10value_typeET4_jRbjT5_SW_jjP12ihipStream_tbEUlT_E_NS1_11comp_targetILNS1_3genE8ELNS1_11target_archE1030ELNS1_3gpuE2ELNS1_3repE0EEENS1_30default_config_static_selectorELNS0_4arch9wavefront6targetE0EEEvSK_.kd
    .uniform_work_group_size: 1
    .uses_dynamic_stack: false
    .vgpr_count:     0
    .vgpr_spill_count: 0
    .wavefront_size: 32
    .workgroup_processor_mode: 1
  - .args:
      - .offset:         0
        .size:           88
        .value_kind:     by_value
    .group_segment_fixed_size: 0
    .kernarg_segment_align: 8
    .kernarg_segment_size: 88
    .language:       OpenCL C
    .language_version:
      - 2
      - 0
    .max_flat_workgroup_size: 256
    .name:           _ZN7rocprim17ROCPRIM_400000_NS6detail17trampoline_kernelINS0_14default_configENS1_36segmented_radix_sort_config_selectorIdlEEZNS1_25segmented_radix_sort_implIS3_Lb1EPKdPdPKlPlN2at6native12_GLOBAL__N_18offset_tEEE10hipError_tPvRmT1_PNSt15iterator_traitsISK_E10value_typeET2_T3_PNSL_ISQ_E10value_typeET4_jRbjT5_SW_jjP12ihipStream_tbEUlT_E0_NS1_11comp_targetILNS1_3genE0ELNS1_11target_archE4294967295ELNS1_3gpuE0ELNS1_3repE0EEENS1_60segmented_radix_sort_warp_sort_medium_config_static_selectorELNS0_4arch9wavefront6targetE0EEEvSK_
    .private_segment_fixed_size: 0
    .sgpr_count:     0
    .sgpr_spill_count: 0
    .symbol:         _ZN7rocprim17ROCPRIM_400000_NS6detail17trampoline_kernelINS0_14default_configENS1_36segmented_radix_sort_config_selectorIdlEEZNS1_25segmented_radix_sort_implIS3_Lb1EPKdPdPKlPlN2at6native12_GLOBAL__N_18offset_tEEE10hipError_tPvRmT1_PNSt15iterator_traitsISK_E10value_typeET2_T3_PNSL_ISQ_E10value_typeET4_jRbjT5_SW_jjP12ihipStream_tbEUlT_E0_NS1_11comp_targetILNS1_3genE0ELNS1_11target_archE4294967295ELNS1_3gpuE0ELNS1_3repE0EEENS1_60segmented_radix_sort_warp_sort_medium_config_static_selectorELNS0_4arch9wavefront6targetE0EEEvSK_.kd
    .uniform_work_group_size: 1
    .uses_dynamic_stack: false
    .vgpr_count:     0
    .vgpr_spill_count: 0
    .wavefront_size: 32
    .workgroup_processor_mode: 1
  - .args:
      - .offset:         0
        .size:           88
        .value_kind:     by_value
    .group_segment_fixed_size: 0
    .kernarg_segment_align: 8
    .kernarg_segment_size: 88
    .language:       OpenCL C
    .language_version:
      - 2
      - 0
    .max_flat_workgroup_size: 256
    .name:           _ZN7rocprim17ROCPRIM_400000_NS6detail17trampoline_kernelINS0_14default_configENS1_36segmented_radix_sort_config_selectorIdlEEZNS1_25segmented_radix_sort_implIS3_Lb1EPKdPdPKlPlN2at6native12_GLOBAL__N_18offset_tEEE10hipError_tPvRmT1_PNSt15iterator_traitsISK_E10value_typeET2_T3_PNSL_ISQ_E10value_typeET4_jRbjT5_SW_jjP12ihipStream_tbEUlT_E0_NS1_11comp_targetILNS1_3genE5ELNS1_11target_archE942ELNS1_3gpuE9ELNS1_3repE0EEENS1_60segmented_radix_sort_warp_sort_medium_config_static_selectorELNS0_4arch9wavefront6targetE0EEEvSK_
    .private_segment_fixed_size: 0
    .sgpr_count:     0
    .sgpr_spill_count: 0
    .symbol:         _ZN7rocprim17ROCPRIM_400000_NS6detail17trampoline_kernelINS0_14default_configENS1_36segmented_radix_sort_config_selectorIdlEEZNS1_25segmented_radix_sort_implIS3_Lb1EPKdPdPKlPlN2at6native12_GLOBAL__N_18offset_tEEE10hipError_tPvRmT1_PNSt15iterator_traitsISK_E10value_typeET2_T3_PNSL_ISQ_E10value_typeET4_jRbjT5_SW_jjP12ihipStream_tbEUlT_E0_NS1_11comp_targetILNS1_3genE5ELNS1_11target_archE942ELNS1_3gpuE9ELNS1_3repE0EEENS1_60segmented_radix_sort_warp_sort_medium_config_static_selectorELNS0_4arch9wavefront6targetE0EEEvSK_.kd
    .uniform_work_group_size: 1
    .uses_dynamic_stack: false
    .vgpr_count:     0
    .vgpr_spill_count: 0
    .wavefront_size: 32
    .workgroup_processor_mode: 1
  - .args:
      - .offset:         0
        .size:           88
        .value_kind:     by_value
    .group_segment_fixed_size: 0
    .kernarg_segment_align: 8
    .kernarg_segment_size: 88
    .language:       OpenCL C
    .language_version:
      - 2
      - 0
    .max_flat_workgroup_size: 256
    .name:           _ZN7rocprim17ROCPRIM_400000_NS6detail17trampoline_kernelINS0_14default_configENS1_36segmented_radix_sort_config_selectorIdlEEZNS1_25segmented_radix_sort_implIS3_Lb1EPKdPdPKlPlN2at6native12_GLOBAL__N_18offset_tEEE10hipError_tPvRmT1_PNSt15iterator_traitsISK_E10value_typeET2_T3_PNSL_ISQ_E10value_typeET4_jRbjT5_SW_jjP12ihipStream_tbEUlT_E0_NS1_11comp_targetILNS1_3genE4ELNS1_11target_archE910ELNS1_3gpuE8ELNS1_3repE0EEENS1_60segmented_radix_sort_warp_sort_medium_config_static_selectorELNS0_4arch9wavefront6targetE0EEEvSK_
    .private_segment_fixed_size: 0
    .sgpr_count:     0
    .sgpr_spill_count: 0
    .symbol:         _ZN7rocprim17ROCPRIM_400000_NS6detail17trampoline_kernelINS0_14default_configENS1_36segmented_radix_sort_config_selectorIdlEEZNS1_25segmented_radix_sort_implIS3_Lb1EPKdPdPKlPlN2at6native12_GLOBAL__N_18offset_tEEE10hipError_tPvRmT1_PNSt15iterator_traitsISK_E10value_typeET2_T3_PNSL_ISQ_E10value_typeET4_jRbjT5_SW_jjP12ihipStream_tbEUlT_E0_NS1_11comp_targetILNS1_3genE4ELNS1_11target_archE910ELNS1_3gpuE8ELNS1_3repE0EEENS1_60segmented_radix_sort_warp_sort_medium_config_static_selectorELNS0_4arch9wavefront6targetE0EEEvSK_.kd
    .uniform_work_group_size: 1
    .uses_dynamic_stack: false
    .vgpr_count:     0
    .vgpr_spill_count: 0
    .wavefront_size: 32
    .workgroup_processor_mode: 1
  - .args:
      - .offset:         0
        .size:           88
        .value_kind:     by_value
    .group_segment_fixed_size: 0
    .kernarg_segment_align: 8
    .kernarg_segment_size: 88
    .language:       OpenCL C
    .language_version:
      - 2
      - 0
    .max_flat_workgroup_size: 256
    .name:           _ZN7rocprim17ROCPRIM_400000_NS6detail17trampoline_kernelINS0_14default_configENS1_36segmented_radix_sort_config_selectorIdlEEZNS1_25segmented_radix_sort_implIS3_Lb1EPKdPdPKlPlN2at6native12_GLOBAL__N_18offset_tEEE10hipError_tPvRmT1_PNSt15iterator_traitsISK_E10value_typeET2_T3_PNSL_ISQ_E10value_typeET4_jRbjT5_SW_jjP12ihipStream_tbEUlT_E0_NS1_11comp_targetILNS1_3genE3ELNS1_11target_archE908ELNS1_3gpuE7ELNS1_3repE0EEENS1_60segmented_radix_sort_warp_sort_medium_config_static_selectorELNS0_4arch9wavefront6targetE0EEEvSK_
    .private_segment_fixed_size: 0
    .sgpr_count:     0
    .sgpr_spill_count: 0
    .symbol:         _ZN7rocprim17ROCPRIM_400000_NS6detail17trampoline_kernelINS0_14default_configENS1_36segmented_radix_sort_config_selectorIdlEEZNS1_25segmented_radix_sort_implIS3_Lb1EPKdPdPKlPlN2at6native12_GLOBAL__N_18offset_tEEE10hipError_tPvRmT1_PNSt15iterator_traitsISK_E10value_typeET2_T3_PNSL_ISQ_E10value_typeET4_jRbjT5_SW_jjP12ihipStream_tbEUlT_E0_NS1_11comp_targetILNS1_3genE3ELNS1_11target_archE908ELNS1_3gpuE7ELNS1_3repE0EEENS1_60segmented_radix_sort_warp_sort_medium_config_static_selectorELNS0_4arch9wavefront6targetE0EEEvSK_.kd
    .uniform_work_group_size: 1
    .uses_dynamic_stack: false
    .vgpr_count:     0
    .vgpr_spill_count: 0
    .wavefront_size: 32
    .workgroup_processor_mode: 1
  - .args:
      - .offset:         0
        .size:           88
        .value_kind:     by_value
    .group_segment_fixed_size: 0
    .kernarg_segment_align: 8
    .kernarg_segment_size: 88
    .language:       OpenCL C
    .language_version:
      - 2
      - 0
    .max_flat_workgroup_size: 256
    .name:           _ZN7rocprim17ROCPRIM_400000_NS6detail17trampoline_kernelINS0_14default_configENS1_36segmented_radix_sort_config_selectorIdlEEZNS1_25segmented_radix_sort_implIS3_Lb1EPKdPdPKlPlN2at6native12_GLOBAL__N_18offset_tEEE10hipError_tPvRmT1_PNSt15iterator_traitsISK_E10value_typeET2_T3_PNSL_ISQ_E10value_typeET4_jRbjT5_SW_jjP12ihipStream_tbEUlT_E0_NS1_11comp_targetILNS1_3genE2ELNS1_11target_archE906ELNS1_3gpuE6ELNS1_3repE0EEENS1_60segmented_radix_sort_warp_sort_medium_config_static_selectorELNS0_4arch9wavefront6targetE0EEEvSK_
    .private_segment_fixed_size: 0
    .sgpr_count:     0
    .sgpr_spill_count: 0
    .symbol:         _ZN7rocprim17ROCPRIM_400000_NS6detail17trampoline_kernelINS0_14default_configENS1_36segmented_radix_sort_config_selectorIdlEEZNS1_25segmented_radix_sort_implIS3_Lb1EPKdPdPKlPlN2at6native12_GLOBAL__N_18offset_tEEE10hipError_tPvRmT1_PNSt15iterator_traitsISK_E10value_typeET2_T3_PNSL_ISQ_E10value_typeET4_jRbjT5_SW_jjP12ihipStream_tbEUlT_E0_NS1_11comp_targetILNS1_3genE2ELNS1_11target_archE906ELNS1_3gpuE6ELNS1_3repE0EEENS1_60segmented_radix_sort_warp_sort_medium_config_static_selectorELNS0_4arch9wavefront6targetE0EEEvSK_.kd
    .uniform_work_group_size: 1
    .uses_dynamic_stack: false
    .vgpr_count:     0
    .vgpr_spill_count: 0
    .wavefront_size: 32
    .workgroup_processor_mode: 1
  - .args:
      - .offset:         0
        .size:           88
        .value_kind:     by_value
    .group_segment_fixed_size: 0
    .kernarg_segment_align: 8
    .kernarg_segment_size: 88
    .language:       OpenCL C
    .language_version:
      - 2
      - 0
    .max_flat_workgroup_size: 256
    .name:           _ZN7rocprim17ROCPRIM_400000_NS6detail17trampoline_kernelINS0_14default_configENS1_36segmented_radix_sort_config_selectorIdlEEZNS1_25segmented_radix_sort_implIS3_Lb1EPKdPdPKlPlN2at6native12_GLOBAL__N_18offset_tEEE10hipError_tPvRmT1_PNSt15iterator_traitsISK_E10value_typeET2_T3_PNSL_ISQ_E10value_typeET4_jRbjT5_SW_jjP12ihipStream_tbEUlT_E0_NS1_11comp_targetILNS1_3genE10ELNS1_11target_archE1201ELNS1_3gpuE5ELNS1_3repE0EEENS1_60segmented_radix_sort_warp_sort_medium_config_static_selectorELNS0_4arch9wavefront6targetE0EEEvSK_
    .private_segment_fixed_size: 0
    .sgpr_count:     0
    .sgpr_spill_count: 0
    .symbol:         _ZN7rocprim17ROCPRIM_400000_NS6detail17trampoline_kernelINS0_14default_configENS1_36segmented_radix_sort_config_selectorIdlEEZNS1_25segmented_radix_sort_implIS3_Lb1EPKdPdPKlPlN2at6native12_GLOBAL__N_18offset_tEEE10hipError_tPvRmT1_PNSt15iterator_traitsISK_E10value_typeET2_T3_PNSL_ISQ_E10value_typeET4_jRbjT5_SW_jjP12ihipStream_tbEUlT_E0_NS1_11comp_targetILNS1_3genE10ELNS1_11target_archE1201ELNS1_3gpuE5ELNS1_3repE0EEENS1_60segmented_radix_sort_warp_sort_medium_config_static_selectorELNS0_4arch9wavefront6targetE0EEEvSK_.kd
    .uniform_work_group_size: 1
    .uses_dynamic_stack: false
    .vgpr_count:     0
    .vgpr_spill_count: 0
    .wavefront_size: 32
    .workgroup_processor_mode: 1
  - .args:
      - .offset:         0
        .size:           88
        .value_kind:     by_value
    .group_segment_fixed_size: 0
    .kernarg_segment_align: 8
    .kernarg_segment_size: 88
    .language:       OpenCL C
    .language_version:
      - 2
      - 0
    .max_flat_workgroup_size: 256
    .name:           _ZN7rocprim17ROCPRIM_400000_NS6detail17trampoline_kernelINS0_14default_configENS1_36segmented_radix_sort_config_selectorIdlEEZNS1_25segmented_radix_sort_implIS3_Lb1EPKdPdPKlPlN2at6native12_GLOBAL__N_18offset_tEEE10hipError_tPvRmT1_PNSt15iterator_traitsISK_E10value_typeET2_T3_PNSL_ISQ_E10value_typeET4_jRbjT5_SW_jjP12ihipStream_tbEUlT_E0_NS1_11comp_targetILNS1_3genE10ELNS1_11target_archE1200ELNS1_3gpuE4ELNS1_3repE0EEENS1_60segmented_radix_sort_warp_sort_medium_config_static_selectorELNS0_4arch9wavefront6targetE0EEEvSK_
    .private_segment_fixed_size: 0
    .sgpr_count:     0
    .sgpr_spill_count: 0
    .symbol:         _ZN7rocprim17ROCPRIM_400000_NS6detail17trampoline_kernelINS0_14default_configENS1_36segmented_radix_sort_config_selectorIdlEEZNS1_25segmented_radix_sort_implIS3_Lb1EPKdPdPKlPlN2at6native12_GLOBAL__N_18offset_tEEE10hipError_tPvRmT1_PNSt15iterator_traitsISK_E10value_typeET2_T3_PNSL_ISQ_E10value_typeET4_jRbjT5_SW_jjP12ihipStream_tbEUlT_E0_NS1_11comp_targetILNS1_3genE10ELNS1_11target_archE1200ELNS1_3gpuE4ELNS1_3repE0EEENS1_60segmented_radix_sort_warp_sort_medium_config_static_selectorELNS0_4arch9wavefront6targetE0EEEvSK_.kd
    .uniform_work_group_size: 1
    .uses_dynamic_stack: false
    .vgpr_count:     0
    .vgpr_spill_count: 0
    .wavefront_size: 32
    .workgroup_processor_mode: 1
  - .args:
      - .offset:         0
        .size:           88
        .value_kind:     by_value
      - .offset:         88
        .size:           4
        .value_kind:     hidden_block_count_x
      - .offset:         92
        .size:           4
        .value_kind:     hidden_block_count_y
      - .offset:         96
        .size:           4
        .value_kind:     hidden_block_count_z
      - .offset:         100
        .size:           2
        .value_kind:     hidden_group_size_x
      - .offset:         102
        .size:           2
        .value_kind:     hidden_group_size_y
      - .offset:         104
        .size:           2
        .value_kind:     hidden_group_size_z
      - .offset:         106
        .size:           2
        .value_kind:     hidden_remainder_x
      - .offset:         108
        .size:           2
        .value_kind:     hidden_remainder_y
      - .offset:         110
        .size:           2
        .value_kind:     hidden_remainder_z
      - .offset:         128
        .size:           8
        .value_kind:     hidden_global_offset_x
      - .offset:         136
        .size:           8
        .value_kind:     hidden_global_offset_y
      - .offset:         144
        .size:           8
        .value_kind:     hidden_global_offset_z
      - .offset:         152
        .size:           2
        .value_kind:     hidden_grid_dims
    .group_segment_fixed_size: 32768
    .kernarg_segment_align: 8
    .kernarg_segment_size: 344
    .language:       OpenCL C
    .language_version:
      - 2
      - 0
    .max_flat_workgroup_size: 256
    .name:           _ZN7rocprim17ROCPRIM_400000_NS6detail17trampoline_kernelINS0_14default_configENS1_36segmented_radix_sort_config_selectorIdlEEZNS1_25segmented_radix_sort_implIS3_Lb1EPKdPdPKlPlN2at6native12_GLOBAL__N_18offset_tEEE10hipError_tPvRmT1_PNSt15iterator_traitsISK_E10value_typeET2_T3_PNSL_ISQ_E10value_typeET4_jRbjT5_SW_jjP12ihipStream_tbEUlT_E0_NS1_11comp_targetILNS1_3genE9ELNS1_11target_archE1100ELNS1_3gpuE3ELNS1_3repE0EEENS1_60segmented_radix_sort_warp_sort_medium_config_static_selectorELNS0_4arch9wavefront6targetE0EEEvSK_
    .private_segment_fixed_size: 0
    .sgpr_count:     42
    .sgpr_spill_count: 0
    .symbol:         _ZN7rocprim17ROCPRIM_400000_NS6detail17trampoline_kernelINS0_14default_configENS1_36segmented_radix_sort_config_selectorIdlEEZNS1_25segmented_radix_sort_implIS3_Lb1EPKdPdPKlPlN2at6native12_GLOBAL__N_18offset_tEEE10hipError_tPvRmT1_PNSt15iterator_traitsISK_E10value_typeET2_T3_PNSL_ISQ_E10value_typeET4_jRbjT5_SW_jjP12ihipStream_tbEUlT_E0_NS1_11comp_targetILNS1_3genE9ELNS1_11target_archE1100ELNS1_3gpuE3ELNS1_3repE0EEENS1_60segmented_radix_sort_warp_sort_medium_config_static_selectorELNS0_4arch9wavefront6targetE0EEEvSK_.kd
    .uniform_work_group_size: 1
    .uses_dynamic_stack: false
    .vgpr_count:     101
    .vgpr_spill_count: 0
    .wavefront_size: 32
    .workgroup_processor_mode: 1
  - .args:
      - .offset:         0
        .size:           88
        .value_kind:     by_value
    .group_segment_fixed_size: 0
    .kernarg_segment_align: 8
    .kernarg_segment_size: 88
    .language:       OpenCL C
    .language_version:
      - 2
      - 0
    .max_flat_workgroup_size: 256
    .name:           _ZN7rocprim17ROCPRIM_400000_NS6detail17trampoline_kernelINS0_14default_configENS1_36segmented_radix_sort_config_selectorIdlEEZNS1_25segmented_radix_sort_implIS3_Lb1EPKdPdPKlPlN2at6native12_GLOBAL__N_18offset_tEEE10hipError_tPvRmT1_PNSt15iterator_traitsISK_E10value_typeET2_T3_PNSL_ISQ_E10value_typeET4_jRbjT5_SW_jjP12ihipStream_tbEUlT_E0_NS1_11comp_targetILNS1_3genE8ELNS1_11target_archE1030ELNS1_3gpuE2ELNS1_3repE0EEENS1_60segmented_radix_sort_warp_sort_medium_config_static_selectorELNS0_4arch9wavefront6targetE0EEEvSK_
    .private_segment_fixed_size: 0
    .sgpr_count:     0
    .sgpr_spill_count: 0
    .symbol:         _ZN7rocprim17ROCPRIM_400000_NS6detail17trampoline_kernelINS0_14default_configENS1_36segmented_radix_sort_config_selectorIdlEEZNS1_25segmented_radix_sort_implIS3_Lb1EPKdPdPKlPlN2at6native12_GLOBAL__N_18offset_tEEE10hipError_tPvRmT1_PNSt15iterator_traitsISK_E10value_typeET2_T3_PNSL_ISQ_E10value_typeET4_jRbjT5_SW_jjP12ihipStream_tbEUlT_E0_NS1_11comp_targetILNS1_3genE8ELNS1_11target_archE1030ELNS1_3gpuE2ELNS1_3repE0EEENS1_60segmented_radix_sort_warp_sort_medium_config_static_selectorELNS0_4arch9wavefront6targetE0EEEvSK_.kd
    .uniform_work_group_size: 1
    .uses_dynamic_stack: false
    .vgpr_count:     0
    .vgpr_spill_count: 0
    .wavefront_size: 32
    .workgroup_processor_mode: 1
  - .args:
      - .offset:         0
        .size:           88
        .value_kind:     by_value
    .group_segment_fixed_size: 0
    .kernarg_segment_align: 8
    .kernarg_segment_size: 88
    .language:       OpenCL C
    .language_version:
      - 2
      - 0
    .max_flat_workgroup_size: 256
    .name:           _ZN7rocprim17ROCPRIM_400000_NS6detail17trampoline_kernelINS0_14default_configENS1_36segmented_radix_sort_config_selectorIdlEEZNS1_25segmented_radix_sort_implIS3_Lb1EPKdPdPKlPlN2at6native12_GLOBAL__N_18offset_tEEE10hipError_tPvRmT1_PNSt15iterator_traitsISK_E10value_typeET2_T3_PNSL_ISQ_E10value_typeET4_jRbjT5_SW_jjP12ihipStream_tbEUlT_E1_NS1_11comp_targetILNS1_3genE0ELNS1_11target_archE4294967295ELNS1_3gpuE0ELNS1_3repE0EEENS1_59segmented_radix_sort_warp_sort_small_config_static_selectorELNS0_4arch9wavefront6targetE0EEEvSK_
    .private_segment_fixed_size: 0
    .sgpr_count:     0
    .sgpr_spill_count: 0
    .symbol:         _ZN7rocprim17ROCPRIM_400000_NS6detail17trampoline_kernelINS0_14default_configENS1_36segmented_radix_sort_config_selectorIdlEEZNS1_25segmented_radix_sort_implIS3_Lb1EPKdPdPKlPlN2at6native12_GLOBAL__N_18offset_tEEE10hipError_tPvRmT1_PNSt15iterator_traitsISK_E10value_typeET2_T3_PNSL_ISQ_E10value_typeET4_jRbjT5_SW_jjP12ihipStream_tbEUlT_E1_NS1_11comp_targetILNS1_3genE0ELNS1_11target_archE4294967295ELNS1_3gpuE0ELNS1_3repE0EEENS1_59segmented_radix_sort_warp_sort_small_config_static_selectorELNS0_4arch9wavefront6targetE0EEEvSK_.kd
    .uniform_work_group_size: 1
    .uses_dynamic_stack: false
    .vgpr_count:     0
    .vgpr_spill_count: 0
    .wavefront_size: 32
    .workgroup_processor_mode: 1
  - .args:
      - .offset:         0
        .size:           88
        .value_kind:     by_value
    .group_segment_fixed_size: 0
    .kernarg_segment_align: 8
    .kernarg_segment_size: 88
    .language:       OpenCL C
    .language_version:
      - 2
      - 0
    .max_flat_workgroup_size: 256
    .name:           _ZN7rocprim17ROCPRIM_400000_NS6detail17trampoline_kernelINS0_14default_configENS1_36segmented_radix_sort_config_selectorIdlEEZNS1_25segmented_radix_sort_implIS3_Lb1EPKdPdPKlPlN2at6native12_GLOBAL__N_18offset_tEEE10hipError_tPvRmT1_PNSt15iterator_traitsISK_E10value_typeET2_T3_PNSL_ISQ_E10value_typeET4_jRbjT5_SW_jjP12ihipStream_tbEUlT_E1_NS1_11comp_targetILNS1_3genE5ELNS1_11target_archE942ELNS1_3gpuE9ELNS1_3repE0EEENS1_59segmented_radix_sort_warp_sort_small_config_static_selectorELNS0_4arch9wavefront6targetE0EEEvSK_
    .private_segment_fixed_size: 0
    .sgpr_count:     0
    .sgpr_spill_count: 0
    .symbol:         _ZN7rocprim17ROCPRIM_400000_NS6detail17trampoline_kernelINS0_14default_configENS1_36segmented_radix_sort_config_selectorIdlEEZNS1_25segmented_radix_sort_implIS3_Lb1EPKdPdPKlPlN2at6native12_GLOBAL__N_18offset_tEEE10hipError_tPvRmT1_PNSt15iterator_traitsISK_E10value_typeET2_T3_PNSL_ISQ_E10value_typeET4_jRbjT5_SW_jjP12ihipStream_tbEUlT_E1_NS1_11comp_targetILNS1_3genE5ELNS1_11target_archE942ELNS1_3gpuE9ELNS1_3repE0EEENS1_59segmented_radix_sort_warp_sort_small_config_static_selectorELNS0_4arch9wavefront6targetE0EEEvSK_.kd
    .uniform_work_group_size: 1
    .uses_dynamic_stack: false
    .vgpr_count:     0
    .vgpr_spill_count: 0
    .wavefront_size: 32
    .workgroup_processor_mode: 1
  - .args:
      - .offset:         0
        .size:           88
        .value_kind:     by_value
    .group_segment_fixed_size: 0
    .kernarg_segment_align: 8
    .kernarg_segment_size: 88
    .language:       OpenCL C
    .language_version:
      - 2
      - 0
    .max_flat_workgroup_size: 256
    .name:           _ZN7rocprim17ROCPRIM_400000_NS6detail17trampoline_kernelINS0_14default_configENS1_36segmented_radix_sort_config_selectorIdlEEZNS1_25segmented_radix_sort_implIS3_Lb1EPKdPdPKlPlN2at6native12_GLOBAL__N_18offset_tEEE10hipError_tPvRmT1_PNSt15iterator_traitsISK_E10value_typeET2_T3_PNSL_ISQ_E10value_typeET4_jRbjT5_SW_jjP12ihipStream_tbEUlT_E1_NS1_11comp_targetILNS1_3genE4ELNS1_11target_archE910ELNS1_3gpuE8ELNS1_3repE0EEENS1_59segmented_radix_sort_warp_sort_small_config_static_selectorELNS0_4arch9wavefront6targetE0EEEvSK_
    .private_segment_fixed_size: 0
    .sgpr_count:     0
    .sgpr_spill_count: 0
    .symbol:         _ZN7rocprim17ROCPRIM_400000_NS6detail17trampoline_kernelINS0_14default_configENS1_36segmented_radix_sort_config_selectorIdlEEZNS1_25segmented_radix_sort_implIS3_Lb1EPKdPdPKlPlN2at6native12_GLOBAL__N_18offset_tEEE10hipError_tPvRmT1_PNSt15iterator_traitsISK_E10value_typeET2_T3_PNSL_ISQ_E10value_typeET4_jRbjT5_SW_jjP12ihipStream_tbEUlT_E1_NS1_11comp_targetILNS1_3genE4ELNS1_11target_archE910ELNS1_3gpuE8ELNS1_3repE0EEENS1_59segmented_radix_sort_warp_sort_small_config_static_selectorELNS0_4arch9wavefront6targetE0EEEvSK_.kd
    .uniform_work_group_size: 1
    .uses_dynamic_stack: false
    .vgpr_count:     0
    .vgpr_spill_count: 0
    .wavefront_size: 32
    .workgroup_processor_mode: 1
  - .args:
      - .offset:         0
        .size:           88
        .value_kind:     by_value
    .group_segment_fixed_size: 0
    .kernarg_segment_align: 8
    .kernarg_segment_size: 88
    .language:       OpenCL C
    .language_version:
      - 2
      - 0
    .max_flat_workgroup_size: 256
    .name:           _ZN7rocprim17ROCPRIM_400000_NS6detail17trampoline_kernelINS0_14default_configENS1_36segmented_radix_sort_config_selectorIdlEEZNS1_25segmented_radix_sort_implIS3_Lb1EPKdPdPKlPlN2at6native12_GLOBAL__N_18offset_tEEE10hipError_tPvRmT1_PNSt15iterator_traitsISK_E10value_typeET2_T3_PNSL_ISQ_E10value_typeET4_jRbjT5_SW_jjP12ihipStream_tbEUlT_E1_NS1_11comp_targetILNS1_3genE3ELNS1_11target_archE908ELNS1_3gpuE7ELNS1_3repE0EEENS1_59segmented_radix_sort_warp_sort_small_config_static_selectorELNS0_4arch9wavefront6targetE0EEEvSK_
    .private_segment_fixed_size: 0
    .sgpr_count:     0
    .sgpr_spill_count: 0
    .symbol:         _ZN7rocprim17ROCPRIM_400000_NS6detail17trampoline_kernelINS0_14default_configENS1_36segmented_radix_sort_config_selectorIdlEEZNS1_25segmented_radix_sort_implIS3_Lb1EPKdPdPKlPlN2at6native12_GLOBAL__N_18offset_tEEE10hipError_tPvRmT1_PNSt15iterator_traitsISK_E10value_typeET2_T3_PNSL_ISQ_E10value_typeET4_jRbjT5_SW_jjP12ihipStream_tbEUlT_E1_NS1_11comp_targetILNS1_3genE3ELNS1_11target_archE908ELNS1_3gpuE7ELNS1_3repE0EEENS1_59segmented_radix_sort_warp_sort_small_config_static_selectorELNS0_4arch9wavefront6targetE0EEEvSK_.kd
    .uniform_work_group_size: 1
    .uses_dynamic_stack: false
    .vgpr_count:     0
    .vgpr_spill_count: 0
    .wavefront_size: 32
    .workgroup_processor_mode: 1
  - .args:
      - .offset:         0
        .size:           88
        .value_kind:     by_value
    .group_segment_fixed_size: 0
    .kernarg_segment_align: 8
    .kernarg_segment_size: 88
    .language:       OpenCL C
    .language_version:
      - 2
      - 0
    .max_flat_workgroup_size: 256
    .name:           _ZN7rocprim17ROCPRIM_400000_NS6detail17trampoline_kernelINS0_14default_configENS1_36segmented_radix_sort_config_selectorIdlEEZNS1_25segmented_radix_sort_implIS3_Lb1EPKdPdPKlPlN2at6native12_GLOBAL__N_18offset_tEEE10hipError_tPvRmT1_PNSt15iterator_traitsISK_E10value_typeET2_T3_PNSL_ISQ_E10value_typeET4_jRbjT5_SW_jjP12ihipStream_tbEUlT_E1_NS1_11comp_targetILNS1_3genE2ELNS1_11target_archE906ELNS1_3gpuE6ELNS1_3repE0EEENS1_59segmented_radix_sort_warp_sort_small_config_static_selectorELNS0_4arch9wavefront6targetE0EEEvSK_
    .private_segment_fixed_size: 0
    .sgpr_count:     0
    .sgpr_spill_count: 0
    .symbol:         _ZN7rocprim17ROCPRIM_400000_NS6detail17trampoline_kernelINS0_14default_configENS1_36segmented_radix_sort_config_selectorIdlEEZNS1_25segmented_radix_sort_implIS3_Lb1EPKdPdPKlPlN2at6native12_GLOBAL__N_18offset_tEEE10hipError_tPvRmT1_PNSt15iterator_traitsISK_E10value_typeET2_T3_PNSL_ISQ_E10value_typeET4_jRbjT5_SW_jjP12ihipStream_tbEUlT_E1_NS1_11comp_targetILNS1_3genE2ELNS1_11target_archE906ELNS1_3gpuE6ELNS1_3repE0EEENS1_59segmented_radix_sort_warp_sort_small_config_static_selectorELNS0_4arch9wavefront6targetE0EEEvSK_.kd
    .uniform_work_group_size: 1
    .uses_dynamic_stack: false
    .vgpr_count:     0
    .vgpr_spill_count: 0
    .wavefront_size: 32
    .workgroup_processor_mode: 1
  - .args:
      - .offset:         0
        .size:           88
        .value_kind:     by_value
    .group_segment_fixed_size: 0
    .kernarg_segment_align: 8
    .kernarg_segment_size: 88
    .language:       OpenCL C
    .language_version:
      - 2
      - 0
    .max_flat_workgroup_size: 256
    .name:           _ZN7rocprim17ROCPRIM_400000_NS6detail17trampoline_kernelINS0_14default_configENS1_36segmented_radix_sort_config_selectorIdlEEZNS1_25segmented_radix_sort_implIS3_Lb1EPKdPdPKlPlN2at6native12_GLOBAL__N_18offset_tEEE10hipError_tPvRmT1_PNSt15iterator_traitsISK_E10value_typeET2_T3_PNSL_ISQ_E10value_typeET4_jRbjT5_SW_jjP12ihipStream_tbEUlT_E1_NS1_11comp_targetILNS1_3genE10ELNS1_11target_archE1201ELNS1_3gpuE5ELNS1_3repE0EEENS1_59segmented_radix_sort_warp_sort_small_config_static_selectorELNS0_4arch9wavefront6targetE0EEEvSK_
    .private_segment_fixed_size: 0
    .sgpr_count:     0
    .sgpr_spill_count: 0
    .symbol:         _ZN7rocprim17ROCPRIM_400000_NS6detail17trampoline_kernelINS0_14default_configENS1_36segmented_radix_sort_config_selectorIdlEEZNS1_25segmented_radix_sort_implIS3_Lb1EPKdPdPKlPlN2at6native12_GLOBAL__N_18offset_tEEE10hipError_tPvRmT1_PNSt15iterator_traitsISK_E10value_typeET2_T3_PNSL_ISQ_E10value_typeET4_jRbjT5_SW_jjP12ihipStream_tbEUlT_E1_NS1_11comp_targetILNS1_3genE10ELNS1_11target_archE1201ELNS1_3gpuE5ELNS1_3repE0EEENS1_59segmented_radix_sort_warp_sort_small_config_static_selectorELNS0_4arch9wavefront6targetE0EEEvSK_.kd
    .uniform_work_group_size: 1
    .uses_dynamic_stack: false
    .vgpr_count:     0
    .vgpr_spill_count: 0
    .wavefront_size: 32
    .workgroup_processor_mode: 1
  - .args:
      - .offset:         0
        .size:           88
        .value_kind:     by_value
    .group_segment_fixed_size: 0
    .kernarg_segment_align: 8
    .kernarg_segment_size: 88
    .language:       OpenCL C
    .language_version:
      - 2
      - 0
    .max_flat_workgroup_size: 256
    .name:           _ZN7rocprim17ROCPRIM_400000_NS6detail17trampoline_kernelINS0_14default_configENS1_36segmented_radix_sort_config_selectorIdlEEZNS1_25segmented_radix_sort_implIS3_Lb1EPKdPdPKlPlN2at6native12_GLOBAL__N_18offset_tEEE10hipError_tPvRmT1_PNSt15iterator_traitsISK_E10value_typeET2_T3_PNSL_ISQ_E10value_typeET4_jRbjT5_SW_jjP12ihipStream_tbEUlT_E1_NS1_11comp_targetILNS1_3genE10ELNS1_11target_archE1200ELNS1_3gpuE4ELNS1_3repE0EEENS1_59segmented_radix_sort_warp_sort_small_config_static_selectorELNS0_4arch9wavefront6targetE0EEEvSK_
    .private_segment_fixed_size: 0
    .sgpr_count:     0
    .sgpr_spill_count: 0
    .symbol:         _ZN7rocprim17ROCPRIM_400000_NS6detail17trampoline_kernelINS0_14default_configENS1_36segmented_radix_sort_config_selectorIdlEEZNS1_25segmented_radix_sort_implIS3_Lb1EPKdPdPKlPlN2at6native12_GLOBAL__N_18offset_tEEE10hipError_tPvRmT1_PNSt15iterator_traitsISK_E10value_typeET2_T3_PNSL_ISQ_E10value_typeET4_jRbjT5_SW_jjP12ihipStream_tbEUlT_E1_NS1_11comp_targetILNS1_3genE10ELNS1_11target_archE1200ELNS1_3gpuE4ELNS1_3repE0EEENS1_59segmented_radix_sort_warp_sort_small_config_static_selectorELNS0_4arch9wavefront6targetE0EEEvSK_.kd
    .uniform_work_group_size: 1
    .uses_dynamic_stack: false
    .vgpr_count:     0
    .vgpr_spill_count: 0
    .wavefront_size: 32
    .workgroup_processor_mode: 1
  - .args:
      - .offset:         0
        .size:           88
        .value_kind:     by_value
      - .offset:         88
        .size:           4
        .value_kind:     hidden_block_count_x
      - .offset:         92
        .size:           4
        .value_kind:     hidden_block_count_y
      - .offset:         96
        .size:           4
        .value_kind:     hidden_block_count_z
      - .offset:         100
        .size:           2
        .value_kind:     hidden_group_size_x
      - .offset:         102
        .size:           2
        .value_kind:     hidden_group_size_y
      - .offset:         104
        .size:           2
        .value_kind:     hidden_group_size_z
      - .offset:         106
        .size:           2
        .value_kind:     hidden_remainder_x
      - .offset:         108
        .size:           2
        .value_kind:     hidden_remainder_y
      - .offset:         110
        .size:           2
        .value_kind:     hidden_remainder_z
      - .offset:         128
        .size:           8
        .value_kind:     hidden_global_offset_x
      - .offset:         136
        .size:           8
        .value_kind:     hidden_global_offset_y
      - .offset:         144
        .size:           8
        .value_kind:     hidden_global_offset_z
      - .offset:         152
        .size:           2
        .value_kind:     hidden_grid_dims
    .group_segment_fixed_size: 16384
    .kernarg_segment_align: 8
    .kernarg_segment_size: 344
    .language:       OpenCL C
    .language_version:
      - 2
      - 0
    .max_flat_workgroup_size: 256
    .name:           _ZN7rocprim17ROCPRIM_400000_NS6detail17trampoline_kernelINS0_14default_configENS1_36segmented_radix_sort_config_selectorIdlEEZNS1_25segmented_radix_sort_implIS3_Lb1EPKdPdPKlPlN2at6native12_GLOBAL__N_18offset_tEEE10hipError_tPvRmT1_PNSt15iterator_traitsISK_E10value_typeET2_T3_PNSL_ISQ_E10value_typeET4_jRbjT5_SW_jjP12ihipStream_tbEUlT_E1_NS1_11comp_targetILNS1_3genE9ELNS1_11target_archE1100ELNS1_3gpuE3ELNS1_3repE0EEENS1_59segmented_radix_sort_warp_sort_small_config_static_selectorELNS0_4arch9wavefront6targetE0EEEvSK_
    .private_segment_fixed_size: 0
    .sgpr_count:     35
    .sgpr_spill_count: 0
    .symbol:         _ZN7rocprim17ROCPRIM_400000_NS6detail17trampoline_kernelINS0_14default_configENS1_36segmented_radix_sort_config_selectorIdlEEZNS1_25segmented_radix_sort_implIS3_Lb1EPKdPdPKlPlN2at6native12_GLOBAL__N_18offset_tEEE10hipError_tPvRmT1_PNSt15iterator_traitsISK_E10value_typeET2_T3_PNSL_ISQ_E10value_typeET4_jRbjT5_SW_jjP12ihipStream_tbEUlT_E1_NS1_11comp_targetILNS1_3genE9ELNS1_11target_archE1100ELNS1_3gpuE3ELNS1_3repE0EEENS1_59segmented_radix_sort_warp_sort_small_config_static_selectorELNS0_4arch9wavefront6targetE0EEEvSK_.kd
    .uniform_work_group_size: 1
    .uses_dynamic_stack: false
    .vgpr_count:     85
    .vgpr_spill_count: 0
    .wavefront_size: 32
    .workgroup_processor_mode: 1
  - .args:
      - .offset:         0
        .size:           88
        .value_kind:     by_value
    .group_segment_fixed_size: 0
    .kernarg_segment_align: 8
    .kernarg_segment_size: 88
    .language:       OpenCL C
    .language_version:
      - 2
      - 0
    .max_flat_workgroup_size: 256
    .name:           _ZN7rocprim17ROCPRIM_400000_NS6detail17trampoline_kernelINS0_14default_configENS1_36segmented_radix_sort_config_selectorIdlEEZNS1_25segmented_radix_sort_implIS3_Lb1EPKdPdPKlPlN2at6native12_GLOBAL__N_18offset_tEEE10hipError_tPvRmT1_PNSt15iterator_traitsISK_E10value_typeET2_T3_PNSL_ISQ_E10value_typeET4_jRbjT5_SW_jjP12ihipStream_tbEUlT_E1_NS1_11comp_targetILNS1_3genE8ELNS1_11target_archE1030ELNS1_3gpuE2ELNS1_3repE0EEENS1_59segmented_radix_sort_warp_sort_small_config_static_selectorELNS0_4arch9wavefront6targetE0EEEvSK_
    .private_segment_fixed_size: 0
    .sgpr_count:     0
    .sgpr_spill_count: 0
    .symbol:         _ZN7rocprim17ROCPRIM_400000_NS6detail17trampoline_kernelINS0_14default_configENS1_36segmented_radix_sort_config_selectorIdlEEZNS1_25segmented_radix_sort_implIS3_Lb1EPKdPdPKlPlN2at6native12_GLOBAL__N_18offset_tEEE10hipError_tPvRmT1_PNSt15iterator_traitsISK_E10value_typeET2_T3_PNSL_ISQ_E10value_typeET4_jRbjT5_SW_jjP12ihipStream_tbEUlT_E1_NS1_11comp_targetILNS1_3genE8ELNS1_11target_archE1030ELNS1_3gpuE2ELNS1_3repE0EEENS1_59segmented_radix_sort_warp_sort_small_config_static_selectorELNS0_4arch9wavefront6targetE0EEEvSK_.kd
    .uniform_work_group_size: 1
    .uses_dynamic_stack: false
    .vgpr_count:     0
    .vgpr_spill_count: 0
    .wavefront_size: 32
    .workgroup_processor_mode: 1
  - .args:
      - .offset:         0
        .size:           80
        .value_kind:     by_value
    .group_segment_fixed_size: 0
    .kernarg_segment_align: 8
    .kernarg_segment_size: 80
    .language:       OpenCL C
    .language_version:
      - 2
      - 0
    .max_flat_workgroup_size: 256
    .name:           _ZN7rocprim17ROCPRIM_400000_NS6detail17trampoline_kernelINS0_14default_configENS1_36segmented_radix_sort_config_selectorIdlEEZNS1_25segmented_radix_sort_implIS3_Lb1EPKdPdPKlPlN2at6native12_GLOBAL__N_18offset_tEEE10hipError_tPvRmT1_PNSt15iterator_traitsISK_E10value_typeET2_T3_PNSL_ISQ_E10value_typeET4_jRbjT5_SW_jjP12ihipStream_tbEUlT_E2_NS1_11comp_targetILNS1_3genE0ELNS1_11target_archE4294967295ELNS1_3gpuE0ELNS1_3repE0EEENS1_30default_config_static_selectorELNS0_4arch9wavefront6targetE0EEEvSK_
    .private_segment_fixed_size: 0
    .sgpr_count:     0
    .sgpr_spill_count: 0
    .symbol:         _ZN7rocprim17ROCPRIM_400000_NS6detail17trampoline_kernelINS0_14default_configENS1_36segmented_radix_sort_config_selectorIdlEEZNS1_25segmented_radix_sort_implIS3_Lb1EPKdPdPKlPlN2at6native12_GLOBAL__N_18offset_tEEE10hipError_tPvRmT1_PNSt15iterator_traitsISK_E10value_typeET2_T3_PNSL_ISQ_E10value_typeET4_jRbjT5_SW_jjP12ihipStream_tbEUlT_E2_NS1_11comp_targetILNS1_3genE0ELNS1_11target_archE4294967295ELNS1_3gpuE0ELNS1_3repE0EEENS1_30default_config_static_selectorELNS0_4arch9wavefront6targetE0EEEvSK_.kd
    .uniform_work_group_size: 1
    .uses_dynamic_stack: false
    .vgpr_count:     0
    .vgpr_spill_count: 0
    .wavefront_size: 32
    .workgroup_processor_mode: 1
  - .args:
      - .offset:         0
        .size:           80
        .value_kind:     by_value
    .group_segment_fixed_size: 0
    .kernarg_segment_align: 8
    .kernarg_segment_size: 80
    .language:       OpenCL C
    .language_version:
      - 2
      - 0
    .max_flat_workgroup_size: 256
    .name:           _ZN7rocprim17ROCPRIM_400000_NS6detail17trampoline_kernelINS0_14default_configENS1_36segmented_radix_sort_config_selectorIdlEEZNS1_25segmented_radix_sort_implIS3_Lb1EPKdPdPKlPlN2at6native12_GLOBAL__N_18offset_tEEE10hipError_tPvRmT1_PNSt15iterator_traitsISK_E10value_typeET2_T3_PNSL_ISQ_E10value_typeET4_jRbjT5_SW_jjP12ihipStream_tbEUlT_E2_NS1_11comp_targetILNS1_3genE5ELNS1_11target_archE942ELNS1_3gpuE9ELNS1_3repE0EEENS1_30default_config_static_selectorELNS0_4arch9wavefront6targetE0EEEvSK_
    .private_segment_fixed_size: 0
    .sgpr_count:     0
    .sgpr_spill_count: 0
    .symbol:         _ZN7rocprim17ROCPRIM_400000_NS6detail17trampoline_kernelINS0_14default_configENS1_36segmented_radix_sort_config_selectorIdlEEZNS1_25segmented_radix_sort_implIS3_Lb1EPKdPdPKlPlN2at6native12_GLOBAL__N_18offset_tEEE10hipError_tPvRmT1_PNSt15iterator_traitsISK_E10value_typeET2_T3_PNSL_ISQ_E10value_typeET4_jRbjT5_SW_jjP12ihipStream_tbEUlT_E2_NS1_11comp_targetILNS1_3genE5ELNS1_11target_archE942ELNS1_3gpuE9ELNS1_3repE0EEENS1_30default_config_static_selectorELNS0_4arch9wavefront6targetE0EEEvSK_.kd
    .uniform_work_group_size: 1
    .uses_dynamic_stack: false
    .vgpr_count:     0
    .vgpr_spill_count: 0
    .wavefront_size: 32
    .workgroup_processor_mode: 1
  - .args:
      - .offset:         0
        .size:           80
        .value_kind:     by_value
    .group_segment_fixed_size: 0
    .kernarg_segment_align: 8
    .kernarg_segment_size: 80
    .language:       OpenCL C
    .language_version:
      - 2
      - 0
    .max_flat_workgroup_size: 256
    .name:           _ZN7rocprim17ROCPRIM_400000_NS6detail17trampoline_kernelINS0_14default_configENS1_36segmented_radix_sort_config_selectorIdlEEZNS1_25segmented_radix_sort_implIS3_Lb1EPKdPdPKlPlN2at6native12_GLOBAL__N_18offset_tEEE10hipError_tPvRmT1_PNSt15iterator_traitsISK_E10value_typeET2_T3_PNSL_ISQ_E10value_typeET4_jRbjT5_SW_jjP12ihipStream_tbEUlT_E2_NS1_11comp_targetILNS1_3genE4ELNS1_11target_archE910ELNS1_3gpuE8ELNS1_3repE0EEENS1_30default_config_static_selectorELNS0_4arch9wavefront6targetE0EEEvSK_
    .private_segment_fixed_size: 0
    .sgpr_count:     0
    .sgpr_spill_count: 0
    .symbol:         _ZN7rocprim17ROCPRIM_400000_NS6detail17trampoline_kernelINS0_14default_configENS1_36segmented_radix_sort_config_selectorIdlEEZNS1_25segmented_radix_sort_implIS3_Lb1EPKdPdPKlPlN2at6native12_GLOBAL__N_18offset_tEEE10hipError_tPvRmT1_PNSt15iterator_traitsISK_E10value_typeET2_T3_PNSL_ISQ_E10value_typeET4_jRbjT5_SW_jjP12ihipStream_tbEUlT_E2_NS1_11comp_targetILNS1_3genE4ELNS1_11target_archE910ELNS1_3gpuE8ELNS1_3repE0EEENS1_30default_config_static_selectorELNS0_4arch9wavefront6targetE0EEEvSK_.kd
    .uniform_work_group_size: 1
    .uses_dynamic_stack: false
    .vgpr_count:     0
    .vgpr_spill_count: 0
    .wavefront_size: 32
    .workgroup_processor_mode: 1
  - .args:
      - .offset:         0
        .size:           80
        .value_kind:     by_value
    .group_segment_fixed_size: 0
    .kernarg_segment_align: 8
    .kernarg_segment_size: 80
    .language:       OpenCL C
    .language_version:
      - 2
      - 0
    .max_flat_workgroup_size: 256
    .name:           _ZN7rocprim17ROCPRIM_400000_NS6detail17trampoline_kernelINS0_14default_configENS1_36segmented_radix_sort_config_selectorIdlEEZNS1_25segmented_radix_sort_implIS3_Lb1EPKdPdPKlPlN2at6native12_GLOBAL__N_18offset_tEEE10hipError_tPvRmT1_PNSt15iterator_traitsISK_E10value_typeET2_T3_PNSL_ISQ_E10value_typeET4_jRbjT5_SW_jjP12ihipStream_tbEUlT_E2_NS1_11comp_targetILNS1_3genE3ELNS1_11target_archE908ELNS1_3gpuE7ELNS1_3repE0EEENS1_30default_config_static_selectorELNS0_4arch9wavefront6targetE0EEEvSK_
    .private_segment_fixed_size: 0
    .sgpr_count:     0
    .sgpr_spill_count: 0
    .symbol:         _ZN7rocprim17ROCPRIM_400000_NS6detail17trampoline_kernelINS0_14default_configENS1_36segmented_radix_sort_config_selectorIdlEEZNS1_25segmented_radix_sort_implIS3_Lb1EPKdPdPKlPlN2at6native12_GLOBAL__N_18offset_tEEE10hipError_tPvRmT1_PNSt15iterator_traitsISK_E10value_typeET2_T3_PNSL_ISQ_E10value_typeET4_jRbjT5_SW_jjP12ihipStream_tbEUlT_E2_NS1_11comp_targetILNS1_3genE3ELNS1_11target_archE908ELNS1_3gpuE7ELNS1_3repE0EEENS1_30default_config_static_selectorELNS0_4arch9wavefront6targetE0EEEvSK_.kd
    .uniform_work_group_size: 1
    .uses_dynamic_stack: false
    .vgpr_count:     0
    .vgpr_spill_count: 0
    .wavefront_size: 32
    .workgroup_processor_mode: 1
  - .args:
      - .offset:         0
        .size:           80
        .value_kind:     by_value
    .group_segment_fixed_size: 0
    .kernarg_segment_align: 8
    .kernarg_segment_size: 80
    .language:       OpenCL C
    .language_version:
      - 2
      - 0
    .max_flat_workgroup_size: 256
    .name:           _ZN7rocprim17ROCPRIM_400000_NS6detail17trampoline_kernelINS0_14default_configENS1_36segmented_radix_sort_config_selectorIdlEEZNS1_25segmented_radix_sort_implIS3_Lb1EPKdPdPKlPlN2at6native12_GLOBAL__N_18offset_tEEE10hipError_tPvRmT1_PNSt15iterator_traitsISK_E10value_typeET2_T3_PNSL_ISQ_E10value_typeET4_jRbjT5_SW_jjP12ihipStream_tbEUlT_E2_NS1_11comp_targetILNS1_3genE2ELNS1_11target_archE906ELNS1_3gpuE6ELNS1_3repE0EEENS1_30default_config_static_selectorELNS0_4arch9wavefront6targetE0EEEvSK_
    .private_segment_fixed_size: 0
    .sgpr_count:     0
    .sgpr_spill_count: 0
    .symbol:         _ZN7rocprim17ROCPRIM_400000_NS6detail17trampoline_kernelINS0_14default_configENS1_36segmented_radix_sort_config_selectorIdlEEZNS1_25segmented_radix_sort_implIS3_Lb1EPKdPdPKlPlN2at6native12_GLOBAL__N_18offset_tEEE10hipError_tPvRmT1_PNSt15iterator_traitsISK_E10value_typeET2_T3_PNSL_ISQ_E10value_typeET4_jRbjT5_SW_jjP12ihipStream_tbEUlT_E2_NS1_11comp_targetILNS1_3genE2ELNS1_11target_archE906ELNS1_3gpuE6ELNS1_3repE0EEENS1_30default_config_static_selectorELNS0_4arch9wavefront6targetE0EEEvSK_.kd
    .uniform_work_group_size: 1
    .uses_dynamic_stack: false
    .vgpr_count:     0
    .vgpr_spill_count: 0
    .wavefront_size: 32
    .workgroup_processor_mode: 1
  - .args:
      - .offset:         0
        .size:           80
        .value_kind:     by_value
    .group_segment_fixed_size: 0
    .kernarg_segment_align: 8
    .kernarg_segment_size: 80
    .language:       OpenCL C
    .language_version:
      - 2
      - 0
    .max_flat_workgroup_size: 256
    .name:           _ZN7rocprim17ROCPRIM_400000_NS6detail17trampoline_kernelINS0_14default_configENS1_36segmented_radix_sort_config_selectorIdlEEZNS1_25segmented_radix_sort_implIS3_Lb1EPKdPdPKlPlN2at6native12_GLOBAL__N_18offset_tEEE10hipError_tPvRmT1_PNSt15iterator_traitsISK_E10value_typeET2_T3_PNSL_ISQ_E10value_typeET4_jRbjT5_SW_jjP12ihipStream_tbEUlT_E2_NS1_11comp_targetILNS1_3genE10ELNS1_11target_archE1201ELNS1_3gpuE5ELNS1_3repE0EEENS1_30default_config_static_selectorELNS0_4arch9wavefront6targetE0EEEvSK_
    .private_segment_fixed_size: 0
    .sgpr_count:     0
    .sgpr_spill_count: 0
    .symbol:         _ZN7rocprim17ROCPRIM_400000_NS6detail17trampoline_kernelINS0_14default_configENS1_36segmented_radix_sort_config_selectorIdlEEZNS1_25segmented_radix_sort_implIS3_Lb1EPKdPdPKlPlN2at6native12_GLOBAL__N_18offset_tEEE10hipError_tPvRmT1_PNSt15iterator_traitsISK_E10value_typeET2_T3_PNSL_ISQ_E10value_typeET4_jRbjT5_SW_jjP12ihipStream_tbEUlT_E2_NS1_11comp_targetILNS1_3genE10ELNS1_11target_archE1201ELNS1_3gpuE5ELNS1_3repE0EEENS1_30default_config_static_selectorELNS0_4arch9wavefront6targetE0EEEvSK_.kd
    .uniform_work_group_size: 1
    .uses_dynamic_stack: false
    .vgpr_count:     0
    .vgpr_spill_count: 0
    .wavefront_size: 32
    .workgroup_processor_mode: 1
  - .args:
      - .offset:         0
        .size:           80
        .value_kind:     by_value
    .group_segment_fixed_size: 0
    .kernarg_segment_align: 8
    .kernarg_segment_size: 80
    .language:       OpenCL C
    .language_version:
      - 2
      - 0
    .max_flat_workgroup_size: 128
    .name:           _ZN7rocprim17ROCPRIM_400000_NS6detail17trampoline_kernelINS0_14default_configENS1_36segmented_radix_sort_config_selectorIdlEEZNS1_25segmented_radix_sort_implIS3_Lb1EPKdPdPKlPlN2at6native12_GLOBAL__N_18offset_tEEE10hipError_tPvRmT1_PNSt15iterator_traitsISK_E10value_typeET2_T3_PNSL_ISQ_E10value_typeET4_jRbjT5_SW_jjP12ihipStream_tbEUlT_E2_NS1_11comp_targetILNS1_3genE10ELNS1_11target_archE1200ELNS1_3gpuE4ELNS1_3repE0EEENS1_30default_config_static_selectorELNS0_4arch9wavefront6targetE0EEEvSK_
    .private_segment_fixed_size: 0
    .sgpr_count:     0
    .sgpr_spill_count: 0
    .symbol:         _ZN7rocprim17ROCPRIM_400000_NS6detail17trampoline_kernelINS0_14default_configENS1_36segmented_radix_sort_config_selectorIdlEEZNS1_25segmented_radix_sort_implIS3_Lb1EPKdPdPKlPlN2at6native12_GLOBAL__N_18offset_tEEE10hipError_tPvRmT1_PNSt15iterator_traitsISK_E10value_typeET2_T3_PNSL_ISQ_E10value_typeET4_jRbjT5_SW_jjP12ihipStream_tbEUlT_E2_NS1_11comp_targetILNS1_3genE10ELNS1_11target_archE1200ELNS1_3gpuE4ELNS1_3repE0EEENS1_30default_config_static_selectorELNS0_4arch9wavefront6targetE0EEEvSK_.kd
    .uniform_work_group_size: 1
    .uses_dynamic_stack: false
    .vgpr_count:     0
    .vgpr_spill_count: 0
    .wavefront_size: 32
    .workgroup_processor_mode: 1
  - .args:
      - .offset:         0
        .size:           80
        .value_kind:     by_value
      - .offset:         80
        .size:           4
        .value_kind:     hidden_block_count_x
      - .offset:         84
        .size:           4
        .value_kind:     hidden_block_count_y
      - .offset:         88
        .size:           4
        .value_kind:     hidden_block_count_z
      - .offset:         92
        .size:           2
        .value_kind:     hidden_group_size_x
      - .offset:         94
        .size:           2
        .value_kind:     hidden_group_size_y
      - .offset:         96
        .size:           2
        .value_kind:     hidden_group_size_z
      - .offset:         98
        .size:           2
        .value_kind:     hidden_remainder_x
      - .offset:         100
        .size:           2
        .value_kind:     hidden_remainder_y
      - .offset:         102
        .size:           2
        .value_kind:     hidden_remainder_z
      - .offset:         120
        .size:           8
        .value_kind:     hidden_global_offset_x
      - .offset:         128
        .size:           8
        .value_kind:     hidden_global_offset_y
      - .offset:         136
        .size:           8
        .value_kind:     hidden_global_offset_z
      - .offset:         144
        .size:           2
        .value_kind:     hidden_grid_dims
    .group_segment_fixed_size: 33824
    .kernarg_segment_align: 8
    .kernarg_segment_size: 336
    .language:       OpenCL C
    .language_version:
      - 2
      - 0
    .max_flat_workgroup_size: 256
    .name:           _ZN7rocprim17ROCPRIM_400000_NS6detail17trampoline_kernelINS0_14default_configENS1_36segmented_radix_sort_config_selectorIdlEEZNS1_25segmented_radix_sort_implIS3_Lb1EPKdPdPKlPlN2at6native12_GLOBAL__N_18offset_tEEE10hipError_tPvRmT1_PNSt15iterator_traitsISK_E10value_typeET2_T3_PNSL_ISQ_E10value_typeET4_jRbjT5_SW_jjP12ihipStream_tbEUlT_E2_NS1_11comp_targetILNS1_3genE9ELNS1_11target_archE1100ELNS1_3gpuE3ELNS1_3repE0EEENS1_30default_config_static_selectorELNS0_4arch9wavefront6targetE0EEEvSK_
    .private_segment_fixed_size: 200
    .sgpr_count:     65
    .sgpr_spill_count: 0
    .symbol:         _ZN7rocprim17ROCPRIM_400000_NS6detail17trampoline_kernelINS0_14default_configENS1_36segmented_radix_sort_config_selectorIdlEEZNS1_25segmented_radix_sort_implIS3_Lb1EPKdPdPKlPlN2at6native12_GLOBAL__N_18offset_tEEE10hipError_tPvRmT1_PNSt15iterator_traitsISK_E10value_typeET2_T3_PNSL_ISQ_E10value_typeET4_jRbjT5_SW_jjP12ihipStream_tbEUlT_E2_NS1_11comp_targetILNS1_3genE9ELNS1_11target_archE1100ELNS1_3gpuE3ELNS1_3repE0EEENS1_30default_config_static_selectorELNS0_4arch9wavefront6targetE0EEEvSK_.kd
    .uniform_work_group_size: 1
    .uses_dynamic_stack: false
    .vgpr_count:     248
    .vgpr_spill_count: 0
    .wavefront_size: 32
    .workgroup_processor_mode: 1
  - .args:
      - .offset:         0
        .size:           80
        .value_kind:     by_value
    .group_segment_fixed_size: 0
    .kernarg_segment_align: 8
    .kernarg_segment_size: 80
    .language:       OpenCL C
    .language_version:
      - 2
      - 0
    .max_flat_workgroup_size: 256
    .name:           _ZN7rocprim17ROCPRIM_400000_NS6detail17trampoline_kernelINS0_14default_configENS1_36segmented_radix_sort_config_selectorIdlEEZNS1_25segmented_radix_sort_implIS3_Lb1EPKdPdPKlPlN2at6native12_GLOBAL__N_18offset_tEEE10hipError_tPvRmT1_PNSt15iterator_traitsISK_E10value_typeET2_T3_PNSL_ISQ_E10value_typeET4_jRbjT5_SW_jjP12ihipStream_tbEUlT_E2_NS1_11comp_targetILNS1_3genE8ELNS1_11target_archE1030ELNS1_3gpuE2ELNS1_3repE0EEENS1_30default_config_static_selectorELNS0_4arch9wavefront6targetE0EEEvSK_
    .private_segment_fixed_size: 0
    .sgpr_count:     0
    .sgpr_spill_count: 0
    .symbol:         _ZN7rocprim17ROCPRIM_400000_NS6detail17trampoline_kernelINS0_14default_configENS1_36segmented_radix_sort_config_selectorIdlEEZNS1_25segmented_radix_sort_implIS3_Lb1EPKdPdPKlPlN2at6native12_GLOBAL__N_18offset_tEEE10hipError_tPvRmT1_PNSt15iterator_traitsISK_E10value_typeET2_T3_PNSL_ISQ_E10value_typeET4_jRbjT5_SW_jjP12ihipStream_tbEUlT_E2_NS1_11comp_targetILNS1_3genE8ELNS1_11target_archE1030ELNS1_3gpuE2ELNS1_3repE0EEENS1_30default_config_static_selectorELNS0_4arch9wavefront6targetE0EEEvSK_.kd
    .uniform_work_group_size: 1
    .uses_dynamic_stack: false
    .vgpr_count:     0
    .vgpr_spill_count: 0
    .wavefront_size: 32
    .workgroup_processor_mode: 1
  - .args:
      - .offset:         0
        .size:           176
        .value_kind:     by_value
    .group_segment_fixed_size: 0
    .kernarg_segment_align: 8
    .kernarg_segment_size: 176
    .language:       OpenCL C
    .language_version:
      - 2
      - 0
    .max_flat_workgroup_size: 256
    .name:           _ZN7rocprim17ROCPRIM_400000_NS6detail17trampoline_kernelINS0_13select_configILj256ELj13ELNS0_17block_load_methodE3ELS4_3ELS4_3ELNS0_20block_scan_algorithmE0ELj4294967295EEENS1_25partition_config_selectorILNS1_17partition_subalgoE4EjNS0_10empty_typeEbEEZZNS1_14partition_implILS8_4ELb0ES6_15HIP_vector_typeIjLj2EENS0_17counting_iteratorIjlEEPS9_SG_NS0_5tupleIJPjSI_NS0_16reverse_iteratorISI_EEEEENSH_IJSG_SG_SG_EEES9_SI_JZNS1_25segmented_radix_sort_implINS0_14default_configELb0EPKdPdPKlPlN2at6native12_GLOBAL__N_18offset_tEEE10hipError_tPvRmT1_PNSt15iterator_traitsIS12_E10value_typeET2_T3_PNS13_IS18_E10value_typeET4_jRbjT5_S1E_jjP12ihipStream_tbEUljE_ZNSN_ISO_Lb0ESQ_SR_ST_SU_SY_EESZ_S10_S11_S12_S16_S17_S18_S1B_S1C_jS1D_jS1E_S1E_jjS1G_bEUljE0_EEESZ_S10_S11_S18_S1C_S1E_T6_T7_T9_mT8_S1G_bDpT10_ENKUlT_T0_E_clISt17integral_constantIbLb0EES1U_EEDaS1P_S1Q_EUlS1P_E_NS1_11comp_targetILNS1_3genE0ELNS1_11target_archE4294967295ELNS1_3gpuE0ELNS1_3repE0EEENS1_30default_config_static_selectorELNS0_4arch9wavefront6targetE0EEEvS12_
    .private_segment_fixed_size: 0
    .sgpr_count:     0
    .sgpr_spill_count: 0
    .symbol:         _ZN7rocprim17ROCPRIM_400000_NS6detail17trampoline_kernelINS0_13select_configILj256ELj13ELNS0_17block_load_methodE3ELS4_3ELS4_3ELNS0_20block_scan_algorithmE0ELj4294967295EEENS1_25partition_config_selectorILNS1_17partition_subalgoE4EjNS0_10empty_typeEbEEZZNS1_14partition_implILS8_4ELb0ES6_15HIP_vector_typeIjLj2EENS0_17counting_iteratorIjlEEPS9_SG_NS0_5tupleIJPjSI_NS0_16reverse_iteratorISI_EEEEENSH_IJSG_SG_SG_EEES9_SI_JZNS1_25segmented_radix_sort_implINS0_14default_configELb0EPKdPdPKlPlN2at6native12_GLOBAL__N_18offset_tEEE10hipError_tPvRmT1_PNSt15iterator_traitsIS12_E10value_typeET2_T3_PNS13_IS18_E10value_typeET4_jRbjT5_S1E_jjP12ihipStream_tbEUljE_ZNSN_ISO_Lb0ESQ_SR_ST_SU_SY_EESZ_S10_S11_S12_S16_S17_S18_S1B_S1C_jS1D_jS1E_S1E_jjS1G_bEUljE0_EEESZ_S10_S11_S18_S1C_S1E_T6_T7_T9_mT8_S1G_bDpT10_ENKUlT_T0_E_clISt17integral_constantIbLb0EES1U_EEDaS1P_S1Q_EUlS1P_E_NS1_11comp_targetILNS1_3genE0ELNS1_11target_archE4294967295ELNS1_3gpuE0ELNS1_3repE0EEENS1_30default_config_static_selectorELNS0_4arch9wavefront6targetE0EEEvS12_.kd
    .uniform_work_group_size: 1
    .uses_dynamic_stack: false
    .vgpr_count:     0
    .vgpr_spill_count: 0
    .wavefront_size: 32
    .workgroup_processor_mode: 1
  - .args:
      - .offset:         0
        .size:           176
        .value_kind:     by_value
    .group_segment_fixed_size: 0
    .kernarg_segment_align: 8
    .kernarg_segment_size: 176
    .language:       OpenCL C
    .language_version:
      - 2
      - 0
    .max_flat_workgroup_size: 256
    .name:           _ZN7rocprim17ROCPRIM_400000_NS6detail17trampoline_kernelINS0_13select_configILj256ELj13ELNS0_17block_load_methodE3ELS4_3ELS4_3ELNS0_20block_scan_algorithmE0ELj4294967295EEENS1_25partition_config_selectorILNS1_17partition_subalgoE4EjNS0_10empty_typeEbEEZZNS1_14partition_implILS8_4ELb0ES6_15HIP_vector_typeIjLj2EENS0_17counting_iteratorIjlEEPS9_SG_NS0_5tupleIJPjSI_NS0_16reverse_iteratorISI_EEEEENSH_IJSG_SG_SG_EEES9_SI_JZNS1_25segmented_radix_sort_implINS0_14default_configELb0EPKdPdPKlPlN2at6native12_GLOBAL__N_18offset_tEEE10hipError_tPvRmT1_PNSt15iterator_traitsIS12_E10value_typeET2_T3_PNS13_IS18_E10value_typeET4_jRbjT5_S1E_jjP12ihipStream_tbEUljE_ZNSN_ISO_Lb0ESQ_SR_ST_SU_SY_EESZ_S10_S11_S12_S16_S17_S18_S1B_S1C_jS1D_jS1E_S1E_jjS1G_bEUljE0_EEESZ_S10_S11_S18_S1C_S1E_T6_T7_T9_mT8_S1G_bDpT10_ENKUlT_T0_E_clISt17integral_constantIbLb0EES1U_EEDaS1P_S1Q_EUlS1P_E_NS1_11comp_targetILNS1_3genE5ELNS1_11target_archE942ELNS1_3gpuE9ELNS1_3repE0EEENS1_30default_config_static_selectorELNS0_4arch9wavefront6targetE0EEEvS12_
    .private_segment_fixed_size: 0
    .sgpr_count:     0
    .sgpr_spill_count: 0
    .symbol:         _ZN7rocprim17ROCPRIM_400000_NS6detail17trampoline_kernelINS0_13select_configILj256ELj13ELNS0_17block_load_methodE3ELS4_3ELS4_3ELNS0_20block_scan_algorithmE0ELj4294967295EEENS1_25partition_config_selectorILNS1_17partition_subalgoE4EjNS0_10empty_typeEbEEZZNS1_14partition_implILS8_4ELb0ES6_15HIP_vector_typeIjLj2EENS0_17counting_iteratorIjlEEPS9_SG_NS0_5tupleIJPjSI_NS0_16reverse_iteratorISI_EEEEENSH_IJSG_SG_SG_EEES9_SI_JZNS1_25segmented_radix_sort_implINS0_14default_configELb0EPKdPdPKlPlN2at6native12_GLOBAL__N_18offset_tEEE10hipError_tPvRmT1_PNSt15iterator_traitsIS12_E10value_typeET2_T3_PNS13_IS18_E10value_typeET4_jRbjT5_S1E_jjP12ihipStream_tbEUljE_ZNSN_ISO_Lb0ESQ_SR_ST_SU_SY_EESZ_S10_S11_S12_S16_S17_S18_S1B_S1C_jS1D_jS1E_S1E_jjS1G_bEUljE0_EEESZ_S10_S11_S18_S1C_S1E_T6_T7_T9_mT8_S1G_bDpT10_ENKUlT_T0_E_clISt17integral_constantIbLb0EES1U_EEDaS1P_S1Q_EUlS1P_E_NS1_11comp_targetILNS1_3genE5ELNS1_11target_archE942ELNS1_3gpuE9ELNS1_3repE0EEENS1_30default_config_static_selectorELNS0_4arch9wavefront6targetE0EEEvS12_.kd
    .uniform_work_group_size: 1
    .uses_dynamic_stack: false
    .vgpr_count:     0
    .vgpr_spill_count: 0
    .wavefront_size: 32
    .workgroup_processor_mode: 1
  - .args:
      - .offset:         0
        .size:           176
        .value_kind:     by_value
    .group_segment_fixed_size: 0
    .kernarg_segment_align: 8
    .kernarg_segment_size: 176
    .language:       OpenCL C
    .language_version:
      - 2
      - 0
    .max_flat_workgroup_size: 256
    .name:           _ZN7rocprim17ROCPRIM_400000_NS6detail17trampoline_kernelINS0_13select_configILj256ELj13ELNS0_17block_load_methodE3ELS4_3ELS4_3ELNS0_20block_scan_algorithmE0ELj4294967295EEENS1_25partition_config_selectorILNS1_17partition_subalgoE4EjNS0_10empty_typeEbEEZZNS1_14partition_implILS8_4ELb0ES6_15HIP_vector_typeIjLj2EENS0_17counting_iteratorIjlEEPS9_SG_NS0_5tupleIJPjSI_NS0_16reverse_iteratorISI_EEEEENSH_IJSG_SG_SG_EEES9_SI_JZNS1_25segmented_radix_sort_implINS0_14default_configELb0EPKdPdPKlPlN2at6native12_GLOBAL__N_18offset_tEEE10hipError_tPvRmT1_PNSt15iterator_traitsIS12_E10value_typeET2_T3_PNS13_IS18_E10value_typeET4_jRbjT5_S1E_jjP12ihipStream_tbEUljE_ZNSN_ISO_Lb0ESQ_SR_ST_SU_SY_EESZ_S10_S11_S12_S16_S17_S18_S1B_S1C_jS1D_jS1E_S1E_jjS1G_bEUljE0_EEESZ_S10_S11_S18_S1C_S1E_T6_T7_T9_mT8_S1G_bDpT10_ENKUlT_T0_E_clISt17integral_constantIbLb0EES1U_EEDaS1P_S1Q_EUlS1P_E_NS1_11comp_targetILNS1_3genE4ELNS1_11target_archE910ELNS1_3gpuE8ELNS1_3repE0EEENS1_30default_config_static_selectorELNS0_4arch9wavefront6targetE0EEEvS12_
    .private_segment_fixed_size: 0
    .sgpr_count:     0
    .sgpr_spill_count: 0
    .symbol:         _ZN7rocprim17ROCPRIM_400000_NS6detail17trampoline_kernelINS0_13select_configILj256ELj13ELNS0_17block_load_methodE3ELS4_3ELS4_3ELNS0_20block_scan_algorithmE0ELj4294967295EEENS1_25partition_config_selectorILNS1_17partition_subalgoE4EjNS0_10empty_typeEbEEZZNS1_14partition_implILS8_4ELb0ES6_15HIP_vector_typeIjLj2EENS0_17counting_iteratorIjlEEPS9_SG_NS0_5tupleIJPjSI_NS0_16reverse_iteratorISI_EEEEENSH_IJSG_SG_SG_EEES9_SI_JZNS1_25segmented_radix_sort_implINS0_14default_configELb0EPKdPdPKlPlN2at6native12_GLOBAL__N_18offset_tEEE10hipError_tPvRmT1_PNSt15iterator_traitsIS12_E10value_typeET2_T3_PNS13_IS18_E10value_typeET4_jRbjT5_S1E_jjP12ihipStream_tbEUljE_ZNSN_ISO_Lb0ESQ_SR_ST_SU_SY_EESZ_S10_S11_S12_S16_S17_S18_S1B_S1C_jS1D_jS1E_S1E_jjS1G_bEUljE0_EEESZ_S10_S11_S18_S1C_S1E_T6_T7_T9_mT8_S1G_bDpT10_ENKUlT_T0_E_clISt17integral_constantIbLb0EES1U_EEDaS1P_S1Q_EUlS1P_E_NS1_11comp_targetILNS1_3genE4ELNS1_11target_archE910ELNS1_3gpuE8ELNS1_3repE0EEENS1_30default_config_static_selectorELNS0_4arch9wavefront6targetE0EEEvS12_.kd
    .uniform_work_group_size: 1
    .uses_dynamic_stack: false
    .vgpr_count:     0
    .vgpr_spill_count: 0
    .wavefront_size: 32
    .workgroup_processor_mode: 1
  - .args:
      - .offset:         0
        .size:           176
        .value_kind:     by_value
    .group_segment_fixed_size: 0
    .kernarg_segment_align: 8
    .kernarg_segment_size: 176
    .language:       OpenCL C
    .language_version:
      - 2
      - 0
    .max_flat_workgroup_size: 256
    .name:           _ZN7rocprim17ROCPRIM_400000_NS6detail17trampoline_kernelINS0_13select_configILj256ELj13ELNS0_17block_load_methodE3ELS4_3ELS4_3ELNS0_20block_scan_algorithmE0ELj4294967295EEENS1_25partition_config_selectorILNS1_17partition_subalgoE4EjNS0_10empty_typeEbEEZZNS1_14partition_implILS8_4ELb0ES6_15HIP_vector_typeIjLj2EENS0_17counting_iteratorIjlEEPS9_SG_NS0_5tupleIJPjSI_NS0_16reverse_iteratorISI_EEEEENSH_IJSG_SG_SG_EEES9_SI_JZNS1_25segmented_radix_sort_implINS0_14default_configELb0EPKdPdPKlPlN2at6native12_GLOBAL__N_18offset_tEEE10hipError_tPvRmT1_PNSt15iterator_traitsIS12_E10value_typeET2_T3_PNS13_IS18_E10value_typeET4_jRbjT5_S1E_jjP12ihipStream_tbEUljE_ZNSN_ISO_Lb0ESQ_SR_ST_SU_SY_EESZ_S10_S11_S12_S16_S17_S18_S1B_S1C_jS1D_jS1E_S1E_jjS1G_bEUljE0_EEESZ_S10_S11_S18_S1C_S1E_T6_T7_T9_mT8_S1G_bDpT10_ENKUlT_T0_E_clISt17integral_constantIbLb0EES1U_EEDaS1P_S1Q_EUlS1P_E_NS1_11comp_targetILNS1_3genE3ELNS1_11target_archE908ELNS1_3gpuE7ELNS1_3repE0EEENS1_30default_config_static_selectorELNS0_4arch9wavefront6targetE0EEEvS12_
    .private_segment_fixed_size: 0
    .sgpr_count:     0
    .sgpr_spill_count: 0
    .symbol:         _ZN7rocprim17ROCPRIM_400000_NS6detail17trampoline_kernelINS0_13select_configILj256ELj13ELNS0_17block_load_methodE3ELS4_3ELS4_3ELNS0_20block_scan_algorithmE0ELj4294967295EEENS1_25partition_config_selectorILNS1_17partition_subalgoE4EjNS0_10empty_typeEbEEZZNS1_14partition_implILS8_4ELb0ES6_15HIP_vector_typeIjLj2EENS0_17counting_iteratorIjlEEPS9_SG_NS0_5tupleIJPjSI_NS0_16reverse_iteratorISI_EEEEENSH_IJSG_SG_SG_EEES9_SI_JZNS1_25segmented_radix_sort_implINS0_14default_configELb0EPKdPdPKlPlN2at6native12_GLOBAL__N_18offset_tEEE10hipError_tPvRmT1_PNSt15iterator_traitsIS12_E10value_typeET2_T3_PNS13_IS18_E10value_typeET4_jRbjT5_S1E_jjP12ihipStream_tbEUljE_ZNSN_ISO_Lb0ESQ_SR_ST_SU_SY_EESZ_S10_S11_S12_S16_S17_S18_S1B_S1C_jS1D_jS1E_S1E_jjS1G_bEUljE0_EEESZ_S10_S11_S18_S1C_S1E_T6_T7_T9_mT8_S1G_bDpT10_ENKUlT_T0_E_clISt17integral_constantIbLb0EES1U_EEDaS1P_S1Q_EUlS1P_E_NS1_11comp_targetILNS1_3genE3ELNS1_11target_archE908ELNS1_3gpuE7ELNS1_3repE0EEENS1_30default_config_static_selectorELNS0_4arch9wavefront6targetE0EEEvS12_.kd
    .uniform_work_group_size: 1
    .uses_dynamic_stack: false
    .vgpr_count:     0
    .vgpr_spill_count: 0
    .wavefront_size: 32
    .workgroup_processor_mode: 1
  - .args:
      - .offset:         0
        .size:           176
        .value_kind:     by_value
    .group_segment_fixed_size: 0
    .kernarg_segment_align: 8
    .kernarg_segment_size: 176
    .language:       OpenCL C
    .language_version:
      - 2
      - 0
    .max_flat_workgroup_size: 256
    .name:           _ZN7rocprim17ROCPRIM_400000_NS6detail17trampoline_kernelINS0_13select_configILj256ELj13ELNS0_17block_load_methodE3ELS4_3ELS4_3ELNS0_20block_scan_algorithmE0ELj4294967295EEENS1_25partition_config_selectorILNS1_17partition_subalgoE4EjNS0_10empty_typeEbEEZZNS1_14partition_implILS8_4ELb0ES6_15HIP_vector_typeIjLj2EENS0_17counting_iteratorIjlEEPS9_SG_NS0_5tupleIJPjSI_NS0_16reverse_iteratorISI_EEEEENSH_IJSG_SG_SG_EEES9_SI_JZNS1_25segmented_radix_sort_implINS0_14default_configELb0EPKdPdPKlPlN2at6native12_GLOBAL__N_18offset_tEEE10hipError_tPvRmT1_PNSt15iterator_traitsIS12_E10value_typeET2_T3_PNS13_IS18_E10value_typeET4_jRbjT5_S1E_jjP12ihipStream_tbEUljE_ZNSN_ISO_Lb0ESQ_SR_ST_SU_SY_EESZ_S10_S11_S12_S16_S17_S18_S1B_S1C_jS1D_jS1E_S1E_jjS1G_bEUljE0_EEESZ_S10_S11_S18_S1C_S1E_T6_T7_T9_mT8_S1G_bDpT10_ENKUlT_T0_E_clISt17integral_constantIbLb0EES1U_EEDaS1P_S1Q_EUlS1P_E_NS1_11comp_targetILNS1_3genE2ELNS1_11target_archE906ELNS1_3gpuE6ELNS1_3repE0EEENS1_30default_config_static_selectorELNS0_4arch9wavefront6targetE0EEEvS12_
    .private_segment_fixed_size: 0
    .sgpr_count:     0
    .sgpr_spill_count: 0
    .symbol:         _ZN7rocprim17ROCPRIM_400000_NS6detail17trampoline_kernelINS0_13select_configILj256ELj13ELNS0_17block_load_methodE3ELS4_3ELS4_3ELNS0_20block_scan_algorithmE0ELj4294967295EEENS1_25partition_config_selectorILNS1_17partition_subalgoE4EjNS0_10empty_typeEbEEZZNS1_14partition_implILS8_4ELb0ES6_15HIP_vector_typeIjLj2EENS0_17counting_iteratorIjlEEPS9_SG_NS0_5tupleIJPjSI_NS0_16reverse_iteratorISI_EEEEENSH_IJSG_SG_SG_EEES9_SI_JZNS1_25segmented_radix_sort_implINS0_14default_configELb0EPKdPdPKlPlN2at6native12_GLOBAL__N_18offset_tEEE10hipError_tPvRmT1_PNSt15iterator_traitsIS12_E10value_typeET2_T3_PNS13_IS18_E10value_typeET4_jRbjT5_S1E_jjP12ihipStream_tbEUljE_ZNSN_ISO_Lb0ESQ_SR_ST_SU_SY_EESZ_S10_S11_S12_S16_S17_S18_S1B_S1C_jS1D_jS1E_S1E_jjS1G_bEUljE0_EEESZ_S10_S11_S18_S1C_S1E_T6_T7_T9_mT8_S1G_bDpT10_ENKUlT_T0_E_clISt17integral_constantIbLb0EES1U_EEDaS1P_S1Q_EUlS1P_E_NS1_11comp_targetILNS1_3genE2ELNS1_11target_archE906ELNS1_3gpuE6ELNS1_3repE0EEENS1_30default_config_static_selectorELNS0_4arch9wavefront6targetE0EEEvS12_.kd
    .uniform_work_group_size: 1
    .uses_dynamic_stack: false
    .vgpr_count:     0
    .vgpr_spill_count: 0
    .wavefront_size: 32
    .workgroup_processor_mode: 1
  - .args:
      - .offset:         0
        .size:           176
        .value_kind:     by_value
    .group_segment_fixed_size: 0
    .kernarg_segment_align: 8
    .kernarg_segment_size: 176
    .language:       OpenCL C
    .language_version:
      - 2
      - 0
    .max_flat_workgroup_size: 256
    .name:           _ZN7rocprim17ROCPRIM_400000_NS6detail17trampoline_kernelINS0_13select_configILj256ELj13ELNS0_17block_load_methodE3ELS4_3ELS4_3ELNS0_20block_scan_algorithmE0ELj4294967295EEENS1_25partition_config_selectorILNS1_17partition_subalgoE4EjNS0_10empty_typeEbEEZZNS1_14partition_implILS8_4ELb0ES6_15HIP_vector_typeIjLj2EENS0_17counting_iteratorIjlEEPS9_SG_NS0_5tupleIJPjSI_NS0_16reverse_iteratorISI_EEEEENSH_IJSG_SG_SG_EEES9_SI_JZNS1_25segmented_radix_sort_implINS0_14default_configELb0EPKdPdPKlPlN2at6native12_GLOBAL__N_18offset_tEEE10hipError_tPvRmT1_PNSt15iterator_traitsIS12_E10value_typeET2_T3_PNS13_IS18_E10value_typeET4_jRbjT5_S1E_jjP12ihipStream_tbEUljE_ZNSN_ISO_Lb0ESQ_SR_ST_SU_SY_EESZ_S10_S11_S12_S16_S17_S18_S1B_S1C_jS1D_jS1E_S1E_jjS1G_bEUljE0_EEESZ_S10_S11_S18_S1C_S1E_T6_T7_T9_mT8_S1G_bDpT10_ENKUlT_T0_E_clISt17integral_constantIbLb0EES1U_EEDaS1P_S1Q_EUlS1P_E_NS1_11comp_targetILNS1_3genE10ELNS1_11target_archE1200ELNS1_3gpuE4ELNS1_3repE0EEENS1_30default_config_static_selectorELNS0_4arch9wavefront6targetE0EEEvS12_
    .private_segment_fixed_size: 0
    .sgpr_count:     0
    .sgpr_spill_count: 0
    .symbol:         _ZN7rocprim17ROCPRIM_400000_NS6detail17trampoline_kernelINS0_13select_configILj256ELj13ELNS0_17block_load_methodE3ELS4_3ELS4_3ELNS0_20block_scan_algorithmE0ELj4294967295EEENS1_25partition_config_selectorILNS1_17partition_subalgoE4EjNS0_10empty_typeEbEEZZNS1_14partition_implILS8_4ELb0ES6_15HIP_vector_typeIjLj2EENS0_17counting_iteratorIjlEEPS9_SG_NS0_5tupleIJPjSI_NS0_16reverse_iteratorISI_EEEEENSH_IJSG_SG_SG_EEES9_SI_JZNS1_25segmented_radix_sort_implINS0_14default_configELb0EPKdPdPKlPlN2at6native12_GLOBAL__N_18offset_tEEE10hipError_tPvRmT1_PNSt15iterator_traitsIS12_E10value_typeET2_T3_PNS13_IS18_E10value_typeET4_jRbjT5_S1E_jjP12ihipStream_tbEUljE_ZNSN_ISO_Lb0ESQ_SR_ST_SU_SY_EESZ_S10_S11_S12_S16_S17_S18_S1B_S1C_jS1D_jS1E_S1E_jjS1G_bEUljE0_EEESZ_S10_S11_S18_S1C_S1E_T6_T7_T9_mT8_S1G_bDpT10_ENKUlT_T0_E_clISt17integral_constantIbLb0EES1U_EEDaS1P_S1Q_EUlS1P_E_NS1_11comp_targetILNS1_3genE10ELNS1_11target_archE1200ELNS1_3gpuE4ELNS1_3repE0EEENS1_30default_config_static_selectorELNS0_4arch9wavefront6targetE0EEEvS12_.kd
    .uniform_work_group_size: 1
    .uses_dynamic_stack: false
    .vgpr_count:     0
    .vgpr_spill_count: 0
    .wavefront_size: 32
    .workgroup_processor_mode: 1
  - .args:
      - .offset:         0
        .size:           176
        .value_kind:     by_value
    .group_segment_fixed_size: 13340
    .kernarg_segment_align: 8
    .kernarg_segment_size: 176
    .language:       OpenCL C
    .language_version:
      - 2
      - 0
    .max_flat_workgroup_size: 256
    .name:           _ZN7rocprim17ROCPRIM_400000_NS6detail17trampoline_kernelINS0_13select_configILj256ELj13ELNS0_17block_load_methodE3ELS4_3ELS4_3ELNS0_20block_scan_algorithmE0ELj4294967295EEENS1_25partition_config_selectorILNS1_17partition_subalgoE4EjNS0_10empty_typeEbEEZZNS1_14partition_implILS8_4ELb0ES6_15HIP_vector_typeIjLj2EENS0_17counting_iteratorIjlEEPS9_SG_NS0_5tupleIJPjSI_NS0_16reverse_iteratorISI_EEEEENSH_IJSG_SG_SG_EEES9_SI_JZNS1_25segmented_radix_sort_implINS0_14default_configELb0EPKdPdPKlPlN2at6native12_GLOBAL__N_18offset_tEEE10hipError_tPvRmT1_PNSt15iterator_traitsIS12_E10value_typeET2_T3_PNS13_IS18_E10value_typeET4_jRbjT5_S1E_jjP12ihipStream_tbEUljE_ZNSN_ISO_Lb0ESQ_SR_ST_SU_SY_EESZ_S10_S11_S12_S16_S17_S18_S1B_S1C_jS1D_jS1E_S1E_jjS1G_bEUljE0_EEESZ_S10_S11_S18_S1C_S1E_T6_T7_T9_mT8_S1G_bDpT10_ENKUlT_T0_E_clISt17integral_constantIbLb0EES1U_EEDaS1P_S1Q_EUlS1P_E_NS1_11comp_targetILNS1_3genE9ELNS1_11target_archE1100ELNS1_3gpuE3ELNS1_3repE0EEENS1_30default_config_static_selectorELNS0_4arch9wavefront6targetE0EEEvS12_
    .private_segment_fixed_size: 0
    .sgpr_count:     61
    .sgpr_spill_count: 0
    .symbol:         _ZN7rocprim17ROCPRIM_400000_NS6detail17trampoline_kernelINS0_13select_configILj256ELj13ELNS0_17block_load_methodE3ELS4_3ELS4_3ELNS0_20block_scan_algorithmE0ELj4294967295EEENS1_25partition_config_selectorILNS1_17partition_subalgoE4EjNS0_10empty_typeEbEEZZNS1_14partition_implILS8_4ELb0ES6_15HIP_vector_typeIjLj2EENS0_17counting_iteratorIjlEEPS9_SG_NS0_5tupleIJPjSI_NS0_16reverse_iteratorISI_EEEEENSH_IJSG_SG_SG_EEES9_SI_JZNS1_25segmented_radix_sort_implINS0_14default_configELb0EPKdPdPKlPlN2at6native12_GLOBAL__N_18offset_tEEE10hipError_tPvRmT1_PNSt15iterator_traitsIS12_E10value_typeET2_T3_PNS13_IS18_E10value_typeET4_jRbjT5_S1E_jjP12ihipStream_tbEUljE_ZNSN_ISO_Lb0ESQ_SR_ST_SU_SY_EESZ_S10_S11_S12_S16_S17_S18_S1B_S1C_jS1D_jS1E_S1E_jjS1G_bEUljE0_EEESZ_S10_S11_S18_S1C_S1E_T6_T7_T9_mT8_S1G_bDpT10_ENKUlT_T0_E_clISt17integral_constantIbLb0EES1U_EEDaS1P_S1Q_EUlS1P_E_NS1_11comp_targetILNS1_3genE9ELNS1_11target_archE1100ELNS1_3gpuE3ELNS1_3repE0EEENS1_30default_config_static_selectorELNS0_4arch9wavefront6targetE0EEEvS12_.kd
    .uniform_work_group_size: 1
    .uses_dynamic_stack: false
    .vgpr_count:     98
    .vgpr_spill_count: 0
    .wavefront_size: 32
    .workgroup_processor_mode: 1
  - .args:
      - .offset:         0
        .size:           176
        .value_kind:     by_value
    .group_segment_fixed_size: 0
    .kernarg_segment_align: 8
    .kernarg_segment_size: 176
    .language:       OpenCL C
    .language_version:
      - 2
      - 0
    .max_flat_workgroup_size: 256
    .name:           _ZN7rocprim17ROCPRIM_400000_NS6detail17trampoline_kernelINS0_13select_configILj256ELj13ELNS0_17block_load_methodE3ELS4_3ELS4_3ELNS0_20block_scan_algorithmE0ELj4294967295EEENS1_25partition_config_selectorILNS1_17partition_subalgoE4EjNS0_10empty_typeEbEEZZNS1_14partition_implILS8_4ELb0ES6_15HIP_vector_typeIjLj2EENS0_17counting_iteratorIjlEEPS9_SG_NS0_5tupleIJPjSI_NS0_16reverse_iteratorISI_EEEEENSH_IJSG_SG_SG_EEES9_SI_JZNS1_25segmented_radix_sort_implINS0_14default_configELb0EPKdPdPKlPlN2at6native12_GLOBAL__N_18offset_tEEE10hipError_tPvRmT1_PNSt15iterator_traitsIS12_E10value_typeET2_T3_PNS13_IS18_E10value_typeET4_jRbjT5_S1E_jjP12ihipStream_tbEUljE_ZNSN_ISO_Lb0ESQ_SR_ST_SU_SY_EESZ_S10_S11_S12_S16_S17_S18_S1B_S1C_jS1D_jS1E_S1E_jjS1G_bEUljE0_EEESZ_S10_S11_S18_S1C_S1E_T6_T7_T9_mT8_S1G_bDpT10_ENKUlT_T0_E_clISt17integral_constantIbLb0EES1U_EEDaS1P_S1Q_EUlS1P_E_NS1_11comp_targetILNS1_3genE8ELNS1_11target_archE1030ELNS1_3gpuE2ELNS1_3repE0EEENS1_30default_config_static_selectorELNS0_4arch9wavefront6targetE0EEEvS12_
    .private_segment_fixed_size: 0
    .sgpr_count:     0
    .sgpr_spill_count: 0
    .symbol:         _ZN7rocprim17ROCPRIM_400000_NS6detail17trampoline_kernelINS0_13select_configILj256ELj13ELNS0_17block_load_methodE3ELS4_3ELS4_3ELNS0_20block_scan_algorithmE0ELj4294967295EEENS1_25partition_config_selectorILNS1_17partition_subalgoE4EjNS0_10empty_typeEbEEZZNS1_14partition_implILS8_4ELb0ES6_15HIP_vector_typeIjLj2EENS0_17counting_iteratorIjlEEPS9_SG_NS0_5tupleIJPjSI_NS0_16reverse_iteratorISI_EEEEENSH_IJSG_SG_SG_EEES9_SI_JZNS1_25segmented_radix_sort_implINS0_14default_configELb0EPKdPdPKlPlN2at6native12_GLOBAL__N_18offset_tEEE10hipError_tPvRmT1_PNSt15iterator_traitsIS12_E10value_typeET2_T3_PNS13_IS18_E10value_typeET4_jRbjT5_S1E_jjP12ihipStream_tbEUljE_ZNSN_ISO_Lb0ESQ_SR_ST_SU_SY_EESZ_S10_S11_S12_S16_S17_S18_S1B_S1C_jS1D_jS1E_S1E_jjS1G_bEUljE0_EEESZ_S10_S11_S18_S1C_S1E_T6_T7_T9_mT8_S1G_bDpT10_ENKUlT_T0_E_clISt17integral_constantIbLb0EES1U_EEDaS1P_S1Q_EUlS1P_E_NS1_11comp_targetILNS1_3genE8ELNS1_11target_archE1030ELNS1_3gpuE2ELNS1_3repE0EEENS1_30default_config_static_selectorELNS0_4arch9wavefront6targetE0EEEvS12_.kd
    .uniform_work_group_size: 1
    .uses_dynamic_stack: false
    .vgpr_count:     0
    .vgpr_spill_count: 0
    .wavefront_size: 32
    .workgroup_processor_mode: 1
  - .args:
      - .offset:         0
        .size:           184
        .value_kind:     by_value
    .group_segment_fixed_size: 0
    .kernarg_segment_align: 8
    .kernarg_segment_size: 184
    .language:       OpenCL C
    .language_version:
      - 2
      - 0
    .max_flat_workgroup_size: 256
    .name:           _ZN7rocprim17ROCPRIM_400000_NS6detail17trampoline_kernelINS0_13select_configILj256ELj13ELNS0_17block_load_methodE3ELS4_3ELS4_3ELNS0_20block_scan_algorithmE0ELj4294967295EEENS1_25partition_config_selectorILNS1_17partition_subalgoE4EjNS0_10empty_typeEbEEZZNS1_14partition_implILS8_4ELb0ES6_15HIP_vector_typeIjLj2EENS0_17counting_iteratorIjlEEPS9_SG_NS0_5tupleIJPjSI_NS0_16reverse_iteratorISI_EEEEENSH_IJSG_SG_SG_EEES9_SI_JZNS1_25segmented_radix_sort_implINS0_14default_configELb0EPKdPdPKlPlN2at6native12_GLOBAL__N_18offset_tEEE10hipError_tPvRmT1_PNSt15iterator_traitsIS12_E10value_typeET2_T3_PNS13_IS18_E10value_typeET4_jRbjT5_S1E_jjP12ihipStream_tbEUljE_ZNSN_ISO_Lb0ESQ_SR_ST_SU_SY_EESZ_S10_S11_S12_S16_S17_S18_S1B_S1C_jS1D_jS1E_S1E_jjS1G_bEUljE0_EEESZ_S10_S11_S18_S1C_S1E_T6_T7_T9_mT8_S1G_bDpT10_ENKUlT_T0_E_clISt17integral_constantIbLb1EES1U_EEDaS1P_S1Q_EUlS1P_E_NS1_11comp_targetILNS1_3genE0ELNS1_11target_archE4294967295ELNS1_3gpuE0ELNS1_3repE0EEENS1_30default_config_static_selectorELNS0_4arch9wavefront6targetE0EEEvS12_
    .private_segment_fixed_size: 0
    .sgpr_count:     0
    .sgpr_spill_count: 0
    .symbol:         _ZN7rocprim17ROCPRIM_400000_NS6detail17trampoline_kernelINS0_13select_configILj256ELj13ELNS0_17block_load_methodE3ELS4_3ELS4_3ELNS0_20block_scan_algorithmE0ELj4294967295EEENS1_25partition_config_selectorILNS1_17partition_subalgoE4EjNS0_10empty_typeEbEEZZNS1_14partition_implILS8_4ELb0ES6_15HIP_vector_typeIjLj2EENS0_17counting_iteratorIjlEEPS9_SG_NS0_5tupleIJPjSI_NS0_16reverse_iteratorISI_EEEEENSH_IJSG_SG_SG_EEES9_SI_JZNS1_25segmented_radix_sort_implINS0_14default_configELb0EPKdPdPKlPlN2at6native12_GLOBAL__N_18offset_tEEE10hipError_tPvRmT1_PNSt15iterator_traitsIS12_E10value_typeET2_T3_PNS13_IS18_E10value_typeET4_jRbjT5_S1E_jjP12ihipStream_tbEUljE_ZNSN_ISO_Lb0ESQ_SR_ST_SU_SY_EESZ_S10_S11_S12_S16_S17_S18_S1B_S1C_jS1D_jS1E_S1E_jjS1G_bEUljE0_EEESZ_S10_S11_S18_S1C_S1E_T6_T7_T9_mT8_S1G_bDpT10_ENKUlT_T0_E_clISt17integral_constantIbLb1EES1U_EEDaS1P_S1Q_EUlS1P_E_NS1_11comp_targetILNS1_3genE0ELNS1_11target_archE4294967295ELNS1_3gpuE0ELNS1_3repE0EEENS1_30default_config_static_selectorELNS0_4arch9wavefront6targetE0EEEvS12_.kd
    .uniform_work_group_size: 1
    .uses_dynamic_stack: false
    .vgpr_count:     0
    .vgpr_spill_count: 0
    .wavefront_size: 32
    .workgroup_processor_mode: 1
  - .args:
      - .offset:         0
        .size:           184
        .value_kind:     by_value
    .group_segment_fixed_size: 0
    .kernarg_segment_align: 8
    .kernarg_segment_size: 184
    .language:       OpenCL C
    .language_version:
      - 2
      - 0
    .max_flat_workgroup_size: 256
    .name:           _ZN7rocprim17ROCPRIM_400000_NS6detail17trampoline_kernelINS0_13select_configILj256ELj13ELNS0_17block_load_methodE3ELS4_3ELS4_3ELNS0_20block_scan_algorithmE0ELj4294967295EEENS1_25partition_config_selectorILNS1_17partition_subalgoE4EjNS0_10empty_typeEbEEZZNS1_14partition_implILS8_4ELb0ES6_15HIP_vector_typeIjLj2EENS0_17counting_iteratorIjlEEPS9_SG_NS0_5tupleIJPjSI_NS0_16reverse_iteratorISI_EEEEENSH_IJSG_SG_SG_EEES9_SI_JZNS1_25segmented_radix_sort_implINS0_14default_configELb0EPKdPdPKlPlN2at6native12_GLOBAL__N_18offset_tEEE10hipError_tPvRmT1_PNSt15iterator_traitsIS12_E10value_typeET2_T3_PNS13_IS18_E10value_typeET4_jRbjT5_S1E_jjP12ihipStream_tbEUljE_ZNSN_ISO_Lb0ESQ_SR_ST_SU_SY_EESZ_S10_S11_S12_S16_S17_S18_S1B_S1C_jS1D_jS1E_S1E_jjS1G_bEUljE0_EEESZ_S10_S11_S18_S1C_S1E_T6_T7_T9_mT8_S1G_bDpT10_ENKUlT_T0_E_clISt17integral_constantIbLb1EES1U_EEDaS1P_S1Q_EUlS1P_E_NS1_11comp_targetILNS1_3genE5ELNS1_11target_archE942ELNS1_3gpuE9ELNS1_3repE0EEENS1_30default_config_static_selectorELNS0_4arch9wavefront6targetE0EEEvS12_
    .private_segment_fixed_size: 0
    .sgpr_count:     0
    .sgpr_spill_count: 0
    .symbol:         _ZN7rocprim17ROCPRIM_400000_NS6detail17trampoline_kernelINS0_13select_configILj256ELj13ELNS0_17block_load_methodE3ELS4_3ELS4_3ELNS0_20block_scan_algorithmE0ELj4294967295EEENS1_25partition_config_selectorILNS1_17partition_subalgoE4EjNS0_10empty_typeEbEEZZNS1_14partition_implILS8_4ELb0ES6_15HIP_vector_typeIjLj2EENS0_17counting_iteratorIjlEEPS9_SG_NS0_5tupleIJPjSI_NS0_16reverse_iteratorISI_EEEEENSH_IJSG_SG_SG_EEES9_SI_JZNS1_25segmented_radix_sort_implINS0_14default_configELb0EPKdPdPKlPlN2at6native12_GLOBAL__N_18offset_tEEE10hipError_tPvRmT1_PNSt15iterator_traitsIS12_E10value_typeET2_T3_PNS13_IS18_E10value_typeET4_jRbjT5_S1E_jjP12ihipStream_tbEUljE_ZNSN_ISO_Lb0ESQ_SR_ST_SU_SY_EESZ_S10_S11_S12_S16_S17_S18_S1B_S1C_jS1D_jS1E_S1E_jjS1G_bEUljE0_EEESZ_S10_S11_S18_S1C_S1E_T6_T7_T9_mT8_S1G_bDpT10_ENKUlT_T0_E_clISt17integral_constantIbLb1EES1U_EEDaS1P_S1Q_EUlS1P_E_NS1_11comp_targetILNS1_3genE5ELNS1_11target_archE942ELNS1_3gpuE9ELNS1_3repE0EEENS1_30default_config_static_selectorELNS0_4arch9wavefront6targetE0EEEvS12_.kd
    .uniform_work_group_size: 1
    .uses_dynamic_stack: false
    .vgpr_count:     0
    .vgpr_spill_count: 0
    .wavefront_size: 32
    .workgroup_processor_mode: 1
  - .args:
      - .offset:         0
        .size:           184
        .value_kind:     by_value
    .group_segment_fixed_size: 0
    .kernarg_segment_align: 8
    .kernarg_segment_size: 184
    .language:       OpenCL C
    .language_version:
      - 2
      - 0
    .max_flat_workgroup_size: 256
    .name:           _ZN7rocprim17ROCPRIM_400000_NS6detail17trampoline_kernelINS0_13select_configILj256ELj13ELNS0_17block_load_methodE3ELS4_3ELS4_3ELNS0_20block_scan_algorithmE0ELj4294967295EEENS1_25partition_config_selectorILNS1_17partition_subalgoE4EjNS0_10empty_typeEbEEZZNS1_14partition_implILS8_4ELb0ES6_15HIP_vector_typeIjLj2EENS0_17counting_iteratorIjlEEPS9_SG_NS0_5tupleIJPjSI_NS0_16reverse_iteratorISI_EEEEENSH_IJSG_SG_SG_EEES9_SI_JZNS1_25segmented_radix_sort_implINS0_14default_configELb0EPKdPdPKlPlN2at6native12_GLOBAL__N_18offset_tEEE10hipError_tPvRmT1_PNSt15iterator_traitsIS12_E10value_typeET2_T3_PNS13_IS18_E10value_typeET4_jRbjT5_S1E_jjP12ihipStream_tbEUljE_ZNSN_ISO_Lb0ESQ_SR_ST_SU_SY_EESZ_S10_S11_S12_S16_S17_S18_S1B_S1C_jS1D_jS1E_S1E_jjS1G_bEUljE0_EEESZ_S10_S11_S18_S1C_S1E_T6_T7_T9_mT8_S1G_bDpT10_ENKUlT_T0_E_clISt17integral_constantIbLb1EES1U_EEDaS1P_S1Q_EUlS1P_E_NS1_11comp_targetILNS1_3genE4ELNS1_11target_archE910ELNS1_3gpuE8ELNS1_3repE0EEENS1_30default_config_static_selectorELNS0_4arch9wavefront6targetE0EEEvS12_
    .private_segment_fixed_size: 0
    .sgpr_count:     0
    .sgpr_spill_count: 0
    .symbol:         _ZN7rocprim17ROCPRIM_400000_NS6detail17trampoline_kernelINS0_13select_configILj256ELj13ELNS0_17block_load_methodE3ELS4_3ELS4_3ELNS0_20block_scan_algorithmE0ELj4294967295EEENS1_25partition_config_selectorILNS1_17partition_subalgoE4EjNS0_10empty_typeEbEEZZNS1_14partition_implILS8_4ELb0ES6_15HIP_vector_typeIjLj2EENS0_17counting_iteratorIjlEEPS9_SG_NS0_5tupleIJPjSI_NS0_16reverse_iteratorISI_EEEEENSH_IJSG_SG_SG_EEES9_SI_JZNS1_25segmented_radix_sort_implINS0_14default_configELb0EPKdPdPKlPlN2at6native12_GLOBAL__N_18offset_tEEE10hipError_tPvRmT1_PNSt15iterator_traitsIS12_E10value_typeET2_T3_PNS13_IS18_E10value_typeET4_jRbjT5_S1E_jjP12ihipStream_tbEUljE_ZNSN_ISO_Lb0ESQ_SR_ST_SU_SY_EESZ_S10_S11_S12_S16_S17_S18_S1B_S1C_jS1D_jS1E_S1E_jjS1G_bEUljE0_EEESZ_S10_S11_S18_S1C_S1E_T6_T7_T9_mT8_S1G_bDpT10_ENKUlT_T0_E_clISt17integral_constantIbLb1EES1U_EEDaS1P_S1Q_EUlS1P_E_NS1_11comp_targetILNS1_3genE4ELNS1_11target_archE910ELNS1_3gpuE8ELNS1_3repE0EEENS1_30default_config_static_selectorELNS0_4arch9wavefront6targetE0EEEvS12_.kd
    .uniform_work_group_size: 1
    .uses_dynamic_stack: false
    .vgpr_count:     0
    .vgpr_spill_count: 0
    .wavefront_size: 32
    .workgroup_processor_mode: 1
  - .args:
      - .offset:         0
        .size:           184
        .value_kind:     by_value
    .group_segment_fixed_size: 0
    .kernarg_segment_align: 8
    .kernarg_segment_size: 184
    .language:       OpenCL C
    .language_version:
      - 2
      - 0
    .max_flat_workgroup_size: 256
    .name:           _ZN7rocprim17ROCPRIM_400000_NS6detail17trampoline_kernelINS0_13select_configILj256ELj13ELNS0_17block_load_methodE3ELS4_3ELS4_3ELNS0_20block_scan_algorithmE0ELj4294967295EEENS1_25partition_config_selectorILNS1_17partition_subalgoE4EjNS0_10empty_typeEbEEZZNS1_14partition_implILS8_4ELb0ES6_15HIP_vector_typeIjLj2EENS0_17counting_iteratorIjlEEPS9_SG_NS0_5tupleIJPjSI_NS0_16reverse_iteratorISI_EEEEENSH_IJSG_SG_SG_EEES9_SI_JZNS1_25segmented_radix_sort_implINS0_14default_configELb0EPKdPdPKlPlN2at6native12_GLOBAL__N_18offset_tEEE10hipError_tPvRmT1_PNSt15iterator_traitsIS12_E10value_typeET2_T3_PNS13_IS18_E10value_typeET4_jRbjT5_S1E_jjP12ihipStream_tbEUljE_ZNSN_ISO_Lb0ESQ_SR_ST_SU_SY_EESZ_S10_S11_S12_S16_S17_S18_S1B_S1C_jS1D_jS1E_S1E_jjS1G_bEUljE0_EEESZ_S10_S11_S18_S1C_S1E_T6_T7_T9_mT8_S1G_bDpT10_ENKUlT_T0_E_clISt17integral_constantIbLb1EES1U_EEDaS1P_S1Q_EUlS1P_E_NS1_11comp_targetILNS1_3genE3ELNS1_11target_archE908ELNS1_3gpuE7ELNS1_3repE0EEENS1_30default_config_static_selectorELNS0_4arch9wavefront6targetE0EEEvS12_
    .private_segment_fixed_size: 0
    .sgpr_count:     0
    .sgpr_spill_count: 0
    .symbol:         _ZN7rocprim17ROCPRIM_400000_NS6detail17trampoline_kernelINS0_13select_configILj256ELj13ELNS0_17block_load_methodE3ELS4_3ELS4_3ELNS0_20block_scan_algorithmE0ELj4294967295EEENS1_25partition_config_selectorILNS1_17partition_subalgoE4EjNS0_10empty_typeEbEEZZNS1_14partition_implILS8_4ELb0ES6_15HIP_vector_typeIjLj2EENS0_17counting_iteratorIjlEEPS9_SG_NS0_5tupleIJPjSI_NS0_16reverse_iteratorISI_EEEEENSH_IJSG_SG_SG_EEES9_SI_JZNS1_25segmented_radix_sort_implINS0_14default_configELb0EPKdPdPKlPlN2at6native12_GLOBAL__N_18offset_tEEE10hipError_tPvRmT1_PNSt15iterator_traitsIS12_E10value_typeET2_T3_PNS13_IS18_E10value_typeET4_jRbjT5_S1E_jjP12ihipStream_tbEUljE_ZNSN_ISO_Lb0ESQ_SR_ST_SU_SY_EESZ_S10_S11_S12_S16_S17_S18_S1B_S1C_jS1D_jS1E_S1E_jjS1G_bEUljE0_EEESZ_S10_S11_S18_S1C_S1E_T6_T7_T9_mT8_S1G_bDpT10_ENKUlT_T0_E_clISt17integral_constantIbLb1EES1U_EEDaS1P_S1Q_EUlS1P_E_NS1_11comp_targetILNS1_3genE3ELNS1_11target_archE908ELNS1_3gpuE7ELNS1_3repE0EEENS1_30default_config_static_selectorELNS0_4arch9wavefront6targetE0EEEvS12_.kd
    .uniform_work_group_size: 1
    .uses_dynamic_stack: false
    .vgpr_count:     0
    .vgpr_spill_count: 0
    .wavefront_size: 32
    .workgroup_processor_mode: 1
  - .args:
      - .offset:         0
        .size:           184
        .value_kind:     by_value
    .group_segment_fixed_size: 0
    .kernarg_segment_align: 8
    .kernarg_segment_size: 184
    .language:       OpenCL C
    .language_version:
      - 2
      - 0
    .max_flat_workgroup_size: 256
    .name:           _ZN7rocprim17ROCPRIM_400000_NS6detail17trampoline_kernelINS0_13select_configILj256ELj13ELNS0_17block_load_methodE3ELS4_3ELS4_3ELNS0_20block_scan_algorithmE0ELj4294967295EEENS1_25partition_config_selectorILNS1_17partition_subalgoE4EjNS0_10empty_typeEbEEZZNS1_14partition_implILS8_4ELb0ES6_15HIP_vector_typeIjLj2EENS0_17counting_iteratorIjlEEPS9_SG_NS0_5tupleIJPjSI_NS0_16reverse_iteratorISI_EEEEENSH_IJSG_SG_SG_EEES9_SI_JZNS1_25segmented_radix_sort_implINS0_14default_configELb0EPKdPdPKlPlN2at6native12_GLOBAL__N_18offset_tEEE10hipError_tPvRmT1_PNSt15iterator_traitsIS12_E10value_typeET2_T3_PNS13_IS18_E10value_typeET4_jRbjT5_S1E_jjP12ihipStream_tbEUljE_ZNSN_ISO_Lb0ESQ_SR_ST_SU_SY_EESZ_S10_S11_S12_S16_S17_S18_S1B_S1C_jS1D_jS1E_S1E_jjS1G_bEUljE0_EEESZ_S10_S11_S18_S1C_S1E_T6_T7_T9_mT8_S1G_bDpT10_ENKUlT_T0_E_clISt17integral_constantIbLb1EES1U_EEDaS1P_S1Q_EUlS1P_E_NS1_11comp_targetILNS1_3genE2ELNS1_11target_archE906ELNS1_3gpuE6ELNS1_3repE0EEENS1_30default_config_static_selectorELNS0_4arch9wavefront6targetE0EEEvS12_
    .private_segment_fixed_size: 0
    .sgpr_count:     0
    .sgpr_spill_count: 0
    .symbol:         _ZN7rocprim17ROCPRIM_400000_NS6detail17trampoline_kernelINS0_13select_configILj256ELj13ELNS0_17block_load_methodE3ELS4_3ELS4_3ELNS0_20block_scan_algorithmE0ELj4294967295EEENS1_25partition_config_selectorILNS1_17partition_subalgoE4EjNS0_10empty_typeEbEEZZNS1_14partition_implILS8_4ELb0ES6_15HIP_vector_typeIjLj2EENS0_17counting_iteratorIjlEEPS9_SG_NS0_5tupleIJPjSI_NS0_16reverse_iteratorISI_EEEEENSH_IJSG_SG_SG_EEES9_SI_JZNS1_25segmented_radix_sort_implINS0_14default_configELb0EPKdPdPKlPlN2at6native12_GLOBAL__N_18offset_tEEE10hipError_tPvRmT1_PNSt15iterator_traitsIS12_E10value_typeET2_T3_PNS13_IS18_E10value_typeET4_jRbjT5_S1E_jjP12ihipStream_tbEUljE_ZNSN_ISO_Lb0ESQ_SR_ST_SU_SY_EESZ_S10_S11_S12_S16_S17_S18_S1B_S1C_jS1D_jS1E_S1E_jjS1G_bEUljE0_EEESZ_S10_S11_S18_S1C_S1E_T6_T7_T9_mT8_S1G_bDpT10_ENKUlT_T0_E_clISt17integral_constantIbLb1EES1U_EEDaS1P_S1Q_EUlS1P_E_NS1_11comp_targetILNS1_3genE2ELNS1_11target_archE906ELNS1_3gpuE6ELNS1_3repE0EEENS1_30default_config_static_selectorELNS0_4arch9wavefront6targetE0EEEvS12_.kd
    .uniform_work_group_size: 1
    .uses_dynamic_stack: false
    .vgpr_count:     0
    .vgpr_spill_count: 0
    .wavefront_size: 32
    .workgroup_processor_mode: 1
  - .args:
      - .offset:         0
        .size:           184
        .value_kind:     by_value
    .group_segment_fixed_size: 0
    .kernarg_segment_align: 8
    .kernarg_segment_size: 184
    .language:       OpenCL C
    .language_version:
      - 2
      - 0
    .max_flat_workgroup_size: 256
    .name:           _ZN7rocprim17ROCPRIM_400000_NS6detail17trampoline_kernelINS0_13select_configILj256ELj13ELNS0_17block_load_methodE3ELS4_3ELS4_3ELNS0_20block_scan_algorithmE0ELj4294967295EEENS1_25partition_config_selectorILNS1_17partition_subalgoE4EjNS0_10empty_typeEbEEZZNS1_14partition_implILS8_4ELb0ES6_15HIP_vector_typeIjLj2EENS0_17counting_iteratorIjlEEPS9_SG_NS0_5tupleIJPjSI_NS0_16reverse_iteratorISI_EEEEENSH_IJSG_SG_SG_EEES9_SI_JZNS1_25segmented_radix_sort_implINS0_14default_configELb0EPKdPdPKlPlN2at6native12_GLOBAL__N_18offset_tEEE10hipError_tPvRmT1_PNSt15iterator_traitsIS12_E10value_typeET2_T3_PNS13_IS18_E10value_typeET4_jRbjT5_S1E_jjP12ihipStream_tbEUljE_ZNSN_ISO_Lb0ESQ_SR_ST_SU_SY_EESZ_S10_S11_S12_S16_S17_S18_S1B_S1C_jS1D_jS1E_S1E_jjS1G_bEUljE0_EEESZ_S10_S11_S18_S1C_S1E_T6_T7_T9_mT8_S1G_bDpT10_ENKUlT_T0_E_clISt17integral_constantIbLb1EES1U_EEDaS1P_S1Q_EUlS1P_E_NS1_11comp_targetILNS1_3genE10ELNS1_11target_archE1200ELNS1_3gpuE4ELNS1_3repE0EEENS1_30default_config_static_selectorELNS0_4arch9wavefront6targetE0EEEvS12_
    .private_segment_fixed_size: 0
    .sgpr_count:     0
    .sgpr_spill_count: 0
    .symbol:         _ZN7rocprim17ROCPRIM_400000_NS6detail17trampoline_kernelINS0_13select_configILj256ELj13ELNS0_17block_load_methodE3ELS4_3ELS4_3ELNS0_20block_scan_algorithmE0ELj4294967295EEENS1_25partition_config_selectorILNS1_17partition_subalgoE4EjNS0_10empty_typeEbEEZZNS1_14partition_implILS8_4ELb0ES6_15HIP_vector_typeIjLj2EENS0_17counting_iteratorIjlEEPS9_SG_NS0_5tupleIJPjSI_NS0_16reverse_iteratorISI_EEEEENSH_IJSG_SG_SG_EEES9_SI_JZNS1_25segmented_radix_sort_implINS0_14default_configELb0EPKdPdPKlPlN2at6native12_GLOBAL__N_18offset_tEEE10hipError_tPvRmT1_PNSt15iterator_traitsIS12_E10value_typeET2_T3_PNS13_IS18_E10value_typeET4_jRbjT5_S1E_jjP12ihipStream_tbEUljE_ZNSN_ISO_Lb0ESQ_SR_ST_SU_SY_EESZ_S10_S11_S12_S16_S17_S18_S1B_S1C_jS1D_jS1E_S1E_jjS1G_bEUljE0_EEESZ_S10_S11_S18_S1C_S1E_T6_T7_T9_mT8_S1G_bDpT10_ENKUlT_T0_E_clISt17integral_constantIbLb1EES1U_EEDaS1P_S1Q_EUlS1P_E_NS1_11comp_targetILNS1_3genE10ELNS1_11target_archE1200ELNS1_3gpuE4ELNS1_3repE0EEENS1_30default_config_static_selectorELNS0_4arch9wavefront6targetE0EEEvS12_.kd
    .uniform_work_group_size: 1
    .uses_dynamic_stack: false
    .vgpr_count:     0
    .vgpr_spill_count: 0
    .wavefront_size: 32
    .workgroup_processor_mode: 1
  - .args:
      - .offset:         0
        .size:           184
        .value_kind:     by_value
    .group_segment_fixed_size: 13340
    .kernarg_segment_align: 8
    .kernarg_segment_size: 184
    .language:       OpenCL C
    .language_version:
      - 2
      - 0
    .max_flat_workgroup_size: 256
    .name:           _ZN7rocprim17ROCPRIM_400000_NS6detail17trampoline_kernelINS0_13select_configILj256ELj13ELNS0_17block_load_methodE3ELS4_3ELS4_3ELNS0_20block_scan_algorithmE0ELj4294967295EEENS1_25partition_config_selectorILNS1_17partition_subalgoE4EjNS0_10empty_typeEbEEZZNS1_14partition_implILS8_4ELb0ES6_15HIP_vector_typeIjLj2EENS0_17counting_iteratorIjlEEPS9_SG_NS0_5tupleIJPjSI_NS0_16reverse_iteratorISI_EEEEENSH_IJSG_SG_SG_EEES9_SI_JZNS1_25segmented_radix_sort_implINS0_14default_configELb0EPKdPdPKlPlN2at6native12_GLOBAL__N_18offset_tEEE10hipError_tPvRmT1_PNSt15iterator_traitsIS12_E10value_typeET2_T3_PNS13_IS18_E10value_typeET4_jRbjT5_S1E_jjP12ihipStream_tbEUljE_ZNSN_ISO_Lb0ESQ_SR_ST_SU_SY_EESZ_S10_S11_S12_S16_S17_S18_S1B_S1C_jS1D_jS1E_S1E_jjS1G_bEUljE0_EEESZ_S10_S11_S18_S1C_S1E_T6_T7_T9_mT8_S1G_bDpT10_ENKUlT_T0_E_clISt17integral_constantIbLb1EES1U_EEDaS1P_S1Q_EUlS1P_E_NS1_11comp_targetILNS1_3genE9ELNS1_11target_archE1100ELNS1_3gpuE3ELNS1_3repE0EEENS1_30default_config_static_selectorELNS0_4arch9wavefront6targetE0EEEvS12_
    .private_segment_fixed_size: 0
    .sgpr_count:     57
    .sgpr_spill_count: 0
    .symbol:         _ZN7rocprim17ROCPRIM_400000_NS6detail17trampoline_kernelINS0_13select_configILj256ELj13ELNS0_17block_load_methodE3ELS4_3ELS4_3ELNS0_20block_scan_algorithmE0ELj4294967295EEENS1_25partition_config_selectorILNS1_17partition_subalgoE4EjNS0_10empty_typeEbEEZZNS1_14partition_implILS8_4ELb0ES6_15HIP_vector_typeIjLj2EENS0_17counting_iteratorIjlEEPS9_SG_NS0_5tupleIJPjSI_NS0_16reverse_iteratorISI_EEEEENSH_IJSG_SG_SG_EEES9_SI_JZNS1_25segmented_radix_sort_implINS0_14default_configELb0EPKdPdPKlPlN2at6native12_GLOBAL__N_18offset_tEEE10hipError_tPvRmT1_PNSt15iterator_traitsIS12_E10value_typeET2_T3_PNS13_IS18_E10value_typeET4_jRbjT5_S1E_jjP12ihipStream_tbEUljE_ZNSN_ISO_Lb0ESQ_SR_ST_SU_SY_EESZ_S10_S11_S12_S16_S17_S18_S1B_S1C_jS1D_jS1E_S1E_jjS1G_bEUljE0_EEESZ_S10_S11_S18_S1C_S1E_T6_T7_T9_mT8_S1G_bDpT10_ENKUlT_T0_E_clISt17integral_constantIbLb1EES1U_EEDaS1P_S1Q_EUlS1P_E_NS1_11comp_targetILNS1_3genE9ELNS1_11target_archE1100ELNS1_3gpuE3ELNS1_3repE0EEENS1_30default_config_static_selectorELNS0_4arch9wavefront6targetE0EEEvS12_.kd
    .uniform_work_group_size: 1
    .uses_dynamic_stack: false
    .vgpr_count:     103
    .vgpr_spill_count: 0
    .wavefront_size: 32
    .workgroup_processor_mode: 1
  - .args:
      - .offset:         0
        .size:           184
        .value_kind:     by_value
    .group_segment_fixed_size: 0
    .kernarg_segment_align: 8
    .kernarg_segment_size: 184
    .language:       OpenCL C
    .language_version:
      - 2
      - 0
    .max_flat_workgroup_size: 256
    .name:           _ZN7rocprim17ROCPRIM_400000_NS6detail17trampoline_kernelINS0_13select_configILj256ELj13ELNS0_17block_load_methodE3ELS4_3ELS4_3ELNS0_20block_scan_algorithmE0ELj4294967295EEENS1_25partition_config_selectorILNS1_17partition_subalgoE4EjNS0_10empty_typeEbEEZZNS1_14partition_implILS8_4ELb0ES6_15HIP_vector_typeIjLj2EENS0_17counting_iteratorIjlEEPS9_SG_NS0_5tupleIJPjSI_NS0_16reverse_iteratorISI_EEEEENSH_IJSG_SG_SG_EEES9_SI_JZNS1_25segmented_radix_sort_implINS0_14default_configELb0EPKdPdPKlPlN2at6native12_GLOBAL__N_18offset_tEEE10hipError_tPvRmT1_PNSt15iterator_traitsIS12_E10value_typeET2_T3_PNS13_IS18_E10value_typeET4_jRbjT5_S1E_jjP12ihipStream_tbEUljE_ZNSN_ISO_Lb0ESQ_SR_ST_SU_SY_EESZ_S10_S11_S12_S16_S17_S18_S1B_S1C_jS1D_jS1E_S1E_jjS1G_bEUljE0_EEESZ_S10_S11_S18_S1C_S1E_T6_T7_T9_mT8_S1G_bDpT10_ENKUlT_T0_E_clISt17integral_constantIbLb1EES1U_EEDaS1P_S1Q_EUlS1P_E_NS1_11comp_targetILNS1_3genE8ELNS1_11target_archE1030ELNS1_3gpuE2ELNS1_3repE0EEENS1_30default_config_static_selectorELNS0_4arch9wavefront6targetE0EEEvS12_
    .private_segment_fixed_size: 0
    .sgpr_count:     0
    .sgpr_spill_count: 0
    .symbol:         _ZN7rocprim17ROCPRIM_400000_NS6detail17trampoline_kernelINS0_13select_configILj256ELj13ELNS0_17block_load_methodE3ELS4_3ELS4_3ELNS0_20block_scan_algorithmE0ELj4294967295EEENS1_25partition_config_selectorILNS1_17partition_subalgoE4EjNS0_10empty_typeEbEEZZNS1_14partition_implILS8_4ELb0ES6_15HIP_vector_typeIjLj2EENS0_17counting_iteratorIjlEEPS9_SG_NS0_5tupleIJPjSI_NS0_16reverse_iteratorISI_EEEEENSH_IJSG_SG_SG_EEES9_SI_JZNS1_25segmented_radix_sort_implINS0_14default_configELb0EPKdPdPKlPlN2at6native12_GLOBAL__N_18offset_tEEE10hipError_tPvRmT1_PNSt15iterator_traitsIS12_E10value_typeET2_T3_PNS13_IS18_E10value_typeET4_jRbjT5_S1E_jjP12ihipStream_tbEUljE_ZNSN_ISO_Lb0ESQ_SR_ST_SU_SY_EESZ_S10_S11_S12_S16_S17_S18_S1B_S1C_jS1D_jS1E_S1E_jjS1G_bEUljE0_EEESZ_S10_S11_S18_S1C_S1E_T6_T7_T9_mT8_S1G_bDpT10_ENKUlT_T0_E_clISt17integral_constantIbLb1EES1U_EEDaS1P_S1Q_EUlS1P_E_NS1_11comp_targetILNS1_3genE8ELNS1_11target_archE1030ELNS1_3gpuE2ELNS1_3repE0EEENS1_30default_config_static_selectorELNS0_4arch9wavefront6targetE0EEEvS12_.kd
    .uniform_work_group_size: 1
    .uses_dynamic_stack: false
    .vgpr_count:     0
    .vgpr_spill_count: 0
    .wavefront_size: 32
    .workgroup_processor_mode: 1
  - .args:
      - .offset:         0
        .size:           176
        .value_kind:     by_value
    .group_segment_fixed_size: 0
    .kernarg_segment_align: 8
    .kernarg_segment_size: 176
    .language:       OpenCL C
    .language_version:
      - 2
      - 0
    .max_flat_workgroup_size: 256
    .name:           _ZN7rocprim17ROCPRIM_400000_NS6detail17trampoline_kernelINS0_13select_configILj256ELj13ELNS0_17block_load_methodE3ELS4_3ELS4_3ELNS0_20block_scan_algorithmE0ELj4294967295EEENS1_25partition_config_selectorILNS1_17partition_subalgoE4EjNS0_10empty_typeEbEEZZNS1_14partition_implILS8_4ELb0ES6_15HIP_vector_typeIjLj2EENS0_17counting_iteratorIjlEEPS9_SG_NS0_5tupleIJPjSI_NS0_16reverse_iteratorISI_EEEEENSH_IJSG_SG_SG_EEES9_SI_JZNS1_25segmented_radix_sort_implINS0_14default_configELb0EPKdPdPKlPlN2at6native12_GLOBAL__N_18offset_tEEE10hipError_tPvRmT1_PNSt15iterator_traitsIS12_E10value_typeET2_T3_PNS13_IS18_E10value_typeET4_jRbjT5_S1E_jjP12ihipStream_tbEUljE_ZNSN_ISO_Lb0ESQ_SR_ST_SU_SY_EESZ_S10_S11_S12_S16_S17_S18_S1B_S1C_jS1D_jS1E_S1E_jjS1G_bEUljE0_EEESZ_S10_S11_S18_S1C_S1E_T6_T7_T9_mT8_S1G_bDpT10_ENKUlT_T0_E_clISt17integral_constantIbLb1EES1T_IbLb0EEEEDaS1P_S1Q_EUlS1P_E_NS1_11comp_targetILNS1_3genE0ELNS1_11target_archE4294967295ELNS1_3gpuE0ELNS1_3repE0EEENS1_30default_config_static_selectorELNS0_4arch9wavefront6targetE0EEEvS12_
    .private_segment_fixed_size: 0
    .sgpr_count:     0
    .sgpr_spill_count: 0
    .symbol:         _ZN7rocprim17ROCPRIM_400000_NS6detail17trampoline_kernelINS0_13select_configILj256ELj13ELNS0_17block_load_methodE3ELS4_3ELS4_3ELNS0_20block_scan_algorithmE0ELj4294967295EEENS1_25partition_config_selectorILNS1_17partition_subalgoE4EjNS0_10empty_typeEbEEZZNS1_14partition_implILS8_4ELb0ES6_15HIP_vector_typeIjLj2EENS0_17counting_iteratorIjlEEPS9_SG_NS0_5tupleIJPjSI_NS0_16reverse_iteratorISI_EEEEENSH_IJSG_SG_SG_EEES9_SI_JZNS1_25segmented_radix_sort_implINS0_14default_configELb0EPKdPdPKlPlN2at6native12_GLOBAL__N_18offset_tEEE10hipError_tPvRmT1_PNSt15iterator_traitsIS12_E10value_typeET2_T3_PNS13_IS18_E10value_typeET4_jRbjT5_S1E_jjP12ihipStream_tbEUljE_ZNSN_ISO_Lb0ESQ_SR_ST_SU_SY_EESZ_S10_S11_S12_S16_S17_S18_S1B_S1C_jS1D_jS1E_S1E_jjS1G_bEUljE0_EEESZ_S10_S11_S18_S1C_S1E_T6_T7_T9_mT8_S1G_bDpT10_ENKUlT_T0_E_clISt17integral_constantIbLb1EES1T_IbLb0EEEEDaS1P_S1Q_EUlS1P_E_NS1_11comp_targetILNS1_3genE0ELNS1_11target_archE4294967295ELNS1_3gpuE0ELNS1_3repE0EEENS1_30default_config_static_selectorELNS0_4arch9wavefront6targetE0EEEvS12_.kd
    .uniform_work_group_size: 1
    .uses_dynamic_stack: false
    .vgpr_count:     0
    .vgpr_spill_count: 0
    .wavefront_size: 32
    .workgroup_processor_mode: 1
  - .args:
      - .offset:         0
        .size:           176
        .value_kind:     by_value
    .group_segment_fixed_size: 0
    .kernarg_segment_align: 8
    .kernarg_segment_size: 176
    .language:       OpenCL C
    .language_version:
      - 2
      - 0
    .max_flat_workgroup_size: 256
    .name:           _ZN7rocprim17ROCPRIM_400000_NS6detail17trampoline_kernelINS0_13select_configILj256ELj13ELNS0_17block_load_methodE3ELS4_3ELS4_3ELNS0_20block_scan_algorithmE0ELj4294967295EEENS1_25partition_config_selectorILNS1_17partition_subalgoE4EjNS0_10empty_typeEbEEZZNS1_14partition_implILS8_4ELb0ES6_15HIP_vector_typeIjLj2EENS0_17counting_iteratorIjlEEPS9_SG_NS0_5tupleIJPjSI_NS0_16reverse_iteratorISI_EEEEENSH_IJSG_SG_SG_EEES9_SI_JZNS1_25segmented_radix_sort_implINS0_14default_configELb0EPKdPdPKlPlN2at6native12_GLOBAL__N_18offset_tEEE10hipError_tPvRmT1_PNSt15iterator_traitsIS12_E10value_typeET2_T3_PNS13_IS18_E10value_typeET4_jRbjT5_S1E_jjP12ihipStream_tbEUljE_ZNSN_ISO_Lb0ESQ_SR_ST_SU_SY_EESZ_S10_S11_S12_S16_S17_S18_S1B_S1C_jS1D_jS1E_S1E_jjS1G_bEUljE0_EEESZ_S10_S11_S18_S1C_S1E_T6_T7_T9_mT8_S1G_bDpT10_ENKUlT_T0_E_clISt17integral_constantIbLb1EES1T_IbLb0EEEEDaS1P_S1Q_EUlS1P_E_NS1_11comp_targetILNS1_3genE5ELNS1_11target_archE942ELNS1_3gpuE9ELNS1_3repE0EEENS1_30default_config_static_selectorELNS0_4arch9wavefront6targetE0EEEvS12_
    .private_segment_fixed_size: 0
    .sgpr_count:     0
    .sgpr_spill_count: 0
    .symbol:         _ZN7rocprim17ROCPRIM_400000_NS6detail17trampoline_kernelINS0_13select_configILj256ELj13ELNS0_17block_load_methodE3ELS4_3ELS4_3ELNS0_20block_scan_algorithmE0ELj4294967295EEENS1_25partition_config_selectorILNS1_17partition_subalgoE4EjNS0_10empty_typeEbEEZZNS1_14partition_implILS8_4ELb0ES6_15HIP_vector_typeIjLj2EENS0_17counting_iteratorIjlEEPS9_SG_NS0_5tupleIJPjSI_NS0_16reverse_iteratorISI_EEEEENSH_IJSG_SG_SG_EEES9_SI_JZNS1_25segmented_radix_sort_implINS0_14default_configELb0EPKdPdPKlPlN2at6native12_GLOBAL__N_18offset_tEEE10hipError_tPvRmT1_PNSt15iterator_traitsIS12_E10value_typeET2_T3_PNS13_IS18_E10value_typeET4_jRbjT5_S1E_jjP12ihipStream_tbEUljE_ZNSN_ISO_Lb0ESQ_SR_ST_SU_SY_EESZ_S10_S11_S12_S16_S17_S18_S1B_S1C_jS1D_jS1E_S1E_jjS1G_bEUljE0_EEESZ_S10_S11_S18_S1C_S1E_T6_T7_T9_mT8_S1G_bDpT10_ENKUlT_T0_E_clISt17integral_constantIbLb1EES1T_IbLb0EEEEDaS1P_S1Q_EUlS1P_E_NS1_11comp_targetILNS1_3genE5ELNS1_11target_archE942ELNS1_3gpuE9ELNS1_3repE0EEENS1_30default_config_static_selectorELNS0_4arch9wavefront6targetE0EEEvS12_.kd
    .uniform_work_group_size: 1
    .uses_dynamic_stack: false
    .vgpr_count:     0
    .vgpr_spill_count: 0
    .wavefront_size: 32
    .workgroup_processor_mode: 1
  - .args:
      - .offset:         0
        .size:           176
        .value_kind:     by_value
    .group_segment_fixed_size: 0
    .kernarg_segment_align: 8
    .kernarg_segment_size: 176
    .language:       OpenCL C
    .language_version:
      - 2
      - 0
    .max_flat_workgroup_size: 256
    .name:           _ZN7rocprim17ROCPRIM_400000_NS6detail17trampoline_kernelINS0_13select_configILj256ELj13ELNS0_17block_load_methodE3ELS4_3ELS4_3ELNS0_20block_scan_algorithmE0ELj4294967295EEENS1_25partition_config_selectorILNS1_17partition_subalgoE4EjNS0_10empty_typeEbEEZZNS1_14partition_implILS8_4ELb0ES6_15HIP_vector_typeIjLj2EENS0_17counting_iteratorIjlEEPS9_SG_NS0_5tupleIJPjSI_NS0_16reverse_iteratorISI_EEEEENSH_IJSG_SG_SG_EEES9_SI_JZNS1_25segmented_radix_sort_implINS0_14default_configELb0EPKdPdPKlPlN2at6native12_GLOBAL__N_18offset_tEEE10hipError_tPvRmT1_PNSt15iterator_traitsIS12_E10value_typeET2_T3_PNS13_IS18_E10value_typeET4_jRbjT5_S1E_jjP12ihipStream_tbEUljE_ZNSN_ISO_Lb0ESQ_SR_ST_SU_SY_EESZ_S10_S11_S12_S16_S17_S18_S1B_S1C_jS1D_jS1E_S1E_jjS1G_bEUljE0_EEESZ_S10_S11_S18_S1C_S1E_T6_T7_T9_mT8_S1G_bDpT10_ENKUlT_T0_E_clISt17integral_constantIbLb1EES1T_IbLb0EEEEDaS1P_S1Q_EUlS1P_E_NS1_11comp_targetILNS1_3genE4ELNS1_11target_archE910ELNS1_3gpuE8ELNS1_3repE0EEENS1_30default_config_static_selectorELNS0_4arch9wavefront6targetE0EEEvS12_
    .private_segment_fixed_size: 0
    .sgpr_count:     0
    .sgpr_spill_count: 0
    .symbol:         _ZN7rocprim17ROCPRIM_400000_NS6detail17trampoline_kernelINS0_13select_configILj256ELj13ELNS0_17block_load_methodE3ELS4_3ELS4_3ELNS0_20block_scan_algorithmE0ELj4294967295EEENS1_25partition_config_selectorILNS1_17partition_subalgoE4EjNS0_10empty_typeEbEEZZNS1_14partition_implILS8_4ELb0ES6_15HIP_vector_typeIjLj2EENS0_17counting_iteratorIjlEEPS9_SG_NS0_5tupleIJPjSI_NS0_16reverse_iteratorISI_EEEEENSH_IJSG_SG_SG_EEES9_SI_JZNS1_25segmented_radix_sort_implINS0_14default_configELb0EPKdPdPKlPlN2at6native12_GLOBAL__N_18offset_tEEE10hipError_tPvRmT1_PNSt15iterator_traitsIS12_E10value_typeET2_T3_PNS13_IS18_E10value_typeET4_jRbjT5_S1E_jjP12ihipStream_tbEUljE_ZNSN_ISO_Lb0ESQ_SR_ST_SU_SY_EESZ_S10_S11_S12_S16_S17_S18_S1B_S1C_jS1D_jS1E_S1E_jjS1G_bEUljE0_EEESZ_S10_S11_S18_S1C_S1E_T6_T7_T9_mT8_S1G_bDpT10_ENKUlT_T0_E_clISt17integral_constantIbLb1EES1T_IbLb0EEEEDaS1P_S1Q_EUlS1P_E_NS1_11comp_targetILNS1_3genE4ELNS1_11target_archE910ELNS1_3gpuE8ELNS1_3repE0EEENS1_30default_config_static_selectorELNS0_4arch9wavefront6targetE0EEEvS12_.kd
    .uniform_work_group_size: 1
    .uses_dynamic_stack: false
    .vgpr_count:     0
    .vgpr_spill_count: 0
    .wavefront_size: 32
    .workgroup_processor_mode: 1
  - .args:
      - .offset:         0
        .size:           176
        .value_kind:     by_value
    .group_segment_fixed_size: 0
    .kernarg_segment_align: 8
    .kernarg_segment_size: 176
    .language:       OpenCL C
    .language_version:
      - 2
      - 0
    .max_flat_workgroup_size: 256
    .name:           _ZN7rocprim17ROCPRIM_400000_NS6detail17trampoline_kernelINS0_13select_configILj256ELj13ELNS0_17block_load_methodE3ELS4_3ELS4_3ELNS0_20block_scan_algorithmE0ELj4294967295EEENS1_25partition_config_selectorILNS1_17partition_subalgoE4EjNS0_10empty_typeEbEEZZNS1_14partition_implILS8_4ELb0ES6_15HIP_vector_typeIjLj2EENS0_17counting_iteratorIjlEEPS9_SG_NS0_5tupleIJPjSI_NS0_16reverse_iteratorISI_EEEEENSH_IJSG_SG_SG_EEES9_SI_JZNS1_25segmented_radix_sort_implINS0_14default_configELb0EPKdPdPKlPlN2at6native12_GLOBAL__N_18offset_tEEE10hipError_tPvRmT1_PNSt15iterator_traitsIS12_E10value_typeET2_T3_PNS13_IS18_E10value_typeET4_jRbjT5_S1E_jjP12ihipStream_tbEUljE_ZNSN_ISO_Lb0ESQ_SR_ST_SU_SY_EESZ_S10_S11_S12_S16_S17_S18_S1B_S1C_jS1D_jS1E_S1E_jjS1G_bEUljE0_EEESZ_S10_S11_S18_S1C_S1E_T6_T7_T9_mT8_S1G_bDpT10_ENKUlT_T0_E_clISt17integral_constantIbLb1EES1T_IbLb0EEEEDaS1P_S1Q_EUlS1P_E_NS1_11comp_targetILNS1_3genE3ELNS1_11target_archE908ELNS1_3gpuE7ELNS1_3repE0EEENS1_30default_config_static_selectorELNS0_4arch9wavefront6targetE0EEEvS12_
    .private_segment_fixed_size: 0
    .sgpr_count:     0
    .sgpr_spill_count: 0
    .symbol:         _ZN7rocprim17ROCPRIM_400000_NS6detail17trampoline_kernelINS0_13select_configILj256ELj13ELNS0_17block_load_methodE3ELS4_3ELS4_3ELNS0_20block_scan_algorithmE0ELj4294967295EEENS1_25partition_config_selectorILNS1_17partition_subalgoE4EjNS0_10empty_typeEbEEZZNS1_14partition_implILS8_4ELb0ES6_15HIP_vector_typeIjLj2EENS0_17counting_iteratorIjlEEPS9_SG_NS0_5tupleIJPjSI_NS0_16reverse_iteratorISI_EEEEENSH_IJSG_SG_SG_EEES9_SI_JZNS1_25segmented_radix_sort_implINS0_14default_configELb0EPKdPdPKlPlN2at6native12_GLOBAL__N_18offset_tEEE10hipError_tPvRmT1_PNSt15iterator_traitsIS12_E10value_typeET2_T3_PNS13_IS18_E10value_typeET4_jRbjT5_S1E_jjP12ihipStream_tbEUljE_ZNSN_ISO_Lb0ESQ_SR_ST_SU_SY_EESZ_S10_S11_S12_S16_S17_S18_S1B_S1C_jS1D_jS1E_S1E_jjS1G_bEUljE0_EEESZ_S10_S11_S18_S1C_S1E_T6_T7_T9_mT8_S1G_bDpT10_ENKUlT_T0_E_clISt17integral_constantIbLb1EES1T_IbLb0EEEEDaS1P_S1Q_EUlS1P_E_NS1_11comp_targetILNS1_3genE3ELNS1_11target_archE908ELNS1_3gpuE7ELNS1_3repE0EEENS1_30default_config_static_selectorELNS0_4arch9wavefront6targetE0EEEvS12_.kd
    .uniform_work_group_size: 1
    .uses_dynamic_stack: false
    .vgpr_count:     0
    .vgpr_spill_count: 0
    .wavefront_size: 32
    .workgroup_processor_mode: 1
  - .args:
      - .offset:         0
        .size:           176
        .value_kind:     by_value
    .group_segment_fixed_size: 0
    .kernarg_segment_align: 8
    .kernarg_segment_size: 176
    .language:       OpenCL C
    .language_version:
      - 2
      - 0
    .max_flat_workgroup_size: 256
    .name:           _ZN7rocprim17ROCPRIM_400000_NS6detail17trampoline_kernelINS0_13select_configILj256ELj13ELNS0_17block_load_methodE3ELS4_3ELS4_3ELNS0_20block_scan_algorithmE0ELj4294967295EEENS1_25partition_config_selectorILNS1_17partition_subalgoE4EjNS0_10empty_typeEbEEZZNS1_14partition_implILS8_4ELb0ES6_15HIP_vector_typeIjLj2EENS0_17counting_iteratorIjlEEPS9_SG_NS0_5tupleIJPjSI_NS0_16reverse_iteratorISI_EEEEENSH_IJSG_SG_SG_EEES9_SI_JZNS1_25segmented_radix_sort_implINS0_14default_configELb0EPKdPdPKlPlN2at6native12_GLOBAL__N_18offset_tEEE10hipError_tPvRmT1_PNSt15iterator_traitsIS12_E10value_typeET2_T3_PNS13_IS18_E10value_typeET4_jRbjT5_S1E_jjP12ihipStream_tbEUljE_ZNSN_ISO_Lb0ESQ_SR_ST_SU_SY_EESZ_S10_S11_S12_S16_S17_S18_S1B_S1C_jS1D_jS1E_S1E_jjS1G_bEUljE0_EEESZ_S10_S11_S18_S1C_S1E_T6_T7_T9_mT8_S1G_bDpT10_ENKUlT_T0_E_clISt17integral_constantIbLb1EES1T_IbLb0EEEEDaS1P_S1Q_EUlS1P_E_NS1_11comp_targetILNS1_3genE2ELNS1_11target_archE906ELNS1_3gpuE6ELNS1_3repE0EEENS1_30default_config_static_selectorELNS0_4arch9wavefront6targetE0EEEvS12_
    .private_segment_fixed_size: 0
    .sgpr_count:     0
    .sgpr_spill_count: 0
    .symbol:         _ZN7rocprim17ROCPRIM_400000_NS6detail17trampoline_kernelINS0_13select_configILj256ELj13ELNS0_17block_load_methodE3ELS4_3ELS4_3ELNS0_20block_scan_algorithmE0ELj4294967295EEENS1_25partition_config_selectorILNS1_17partition_subalgoE4EjNS0_10empty_typeEbEEZZNS1_14partition_implILS8_4ELb0ES6_15HIP_vector_typeIjLj2EENS0_17counting_iteratorIjlEEPS9_SG_NS0_5tupleIJPjSI_NS0_16reverse_iteratorISI_EEEEENSH_IJSG_SG_SG_EEES9_SI_JZNS1_25segmented_radix_sort_implINS0_14default_configELb0EPKdPdPKlPlN2at6native12_GLOBAL__N_18offset_tEEE10hipError_tPvRmT1_PNSt15iterator_traitsIS12_E10value_typeET2_T3_PNS13_IS18_E10value_typeET4_jRbjT5_S1E_jjP12ihipStream_tbEUljE_ZNSN_ISO_Lb0ESQ_SR_ST_SU_SY_EESZ_S10_S11_S12_S16_S17_S18_S1B_S1C_jS1D_jS1E_S1E_jjS1G_bEUljE0_EEESZ_S10_S11_S18_S1C_S1E_T6_T7_T9_mT8_S1G_bDpT10_ENKUlT_T0_E_clISt17integral_constantIbLb1EES1T_IbLb0EEEEDaS1P_S1Q_EUlS1P_E_NS1_11comp_targetILNS1_3genE2ELNS1_11target_archE906ELNS1_3gpuE6ELNS1_3repE0EEENS1_30default_config_static_selectorELNS0_4arch9wavefront6targetE0EEEvS12_.kd
    .uniform_work_group_size: 1
    .uses_dynamic_stack: false
    .vgpr_count:     0
    .vgpr_spill_count: 0
    .wavefront_size: 32
    .workgroup_processor_mode: 1
  - .args:
      - .offset:         0
        .size:           176
        .value_kind:     by_value
    .group_segment_fixed_size: 0
    .kernarg_segment_align: 8
    .kernarg_segment_size: 176
    .language:       OpenCL C
    .language_version:
      - 2
      - 0
    .max_flat_workgroup_size: 256
    .name:           _ZN7rocprim17ROCPRIM_400000_NS6detail17trampoline_kernelINS0_13select_configILj256ELj13ELNS0_17block_load_methodE3ELS4_3ELS4_3ELNS0_20block_scan_algorithmE0ELj4294967295EEENS1_25partition_config_selectorILNS1_17partition_subalgoE4EjNS0_10empty_typeEbEEZZNS1_14partition_implILS8_4ELb0ES6_15HIP_vector_typeIjLj2EENS0_17counting_iteratorIjlEEPS9_SG_NS0_5tupleIJPjSI_NS0_16reverse_iteratorISI_EEEEENSH_IJSG_SG_SG_EEES9_SI_JZNS1_25segmented_radix_sort_implINS0_14default_configELb0EPKdPdPKlPlN2at6native12_GLOBAL__N_18offset_tEEE10hipError_tPvRmT1_PNSt15iterator_traitsIS12_E10value_typeET2_T3_PNS13_IS18_E10value_typeET4_jRbjT5_S1E_jjP12ihipStream_tbEUljE_ZNSN_ISO_Lb0ESQ_SR_ST_SU_SY_EESZ_S10_S11_S12_S16_S17_S18_S1B_S1C_jS1D_jS1E_S1E_jjS1G_bEUljE0_EEESZ_S10_S11_S18_S1C_S1E_T6_T7_T9_mT8_S1G_bDpT10_ENKUlT_T0_E_clISt17integral_constantIbLb1EES1T_IbLb0EEEEDaS1P_S1Q_EUlS1P_E_NS1_11comp_targetILNS1_3genE10ELNS1_11target_archE1200ELNS1_3gpuE4ELNS1_3repE0EEENS1_30default_config_static_selectorELNS0_4arch9wavefront6targetE0EEEvS12_
    .private_segment_fixed_size: 0
    .sgpr_count:     0
    .sgpr_spill_count: 0
    .symbol:         _ZN7rocprim17ROCPRIM_400000_NS6detail17trampoline_kernelINS0_13select_configILj256ELj13ELNS0_17block_load_methodE3ELS4_3ELS4_3ELNS0_20block_scan_algorithmE0ELj4294967295EEENS1_25partition_config_selectorILNS1_17partition_subalgoE4EjNS0_10empty_typeEbEEZZNS1_14partition_implILS8_4ELb0ES6_15HIP_vector_typeIjLj2EENS0_17counting_iteratorIjlEEPS9_SG_NS0_5tupleIJPjSI_NS0_16reverse_iteratorISI_EEEEENSH_IJSG_SG_SG_EEES9_SI_JZNS1_25segmented_radix_sort_implINS0_14default_configELb0EPKdPdPKlPlN2at6native12_GLOBAL__N_18offset_tEEE10hipError_tPvRmT1_PNSt15iterator_traitsIS12_E10value_typeET2_T3_PNS13_IS18_E10value_typeET4_jRbjT5_S1E_jjP12ihipStream_tbEUljE_ZNSN_ISO_Lb0ESQ_SR_ST_SU_SY_EESZ_S10_S11_S12_S16_S17_S18_S1B_S1C_jS1D_jS1E_S1E_jjS1G_bEUljE0_EEESZ_S10_S11_S18_S1C_S1E_T6_T7_T9_mT8_S1G_bDpT10_ENKUlT_T0_E_clISt17integral_constantIbLb1EES1T_IbLb0EEEEDaS1P_S1Q_EUlS1P_E_NS1_11comp_targetILNS1_3genE10ELNS1_11target_archE1200ELNS1_3gpuE4ELNS1_3repE0EEENS1_30default_config_static_selectorELNS0_4arch9wavefront6targetE0EEEvS12_.kd
    .uniform_work_group_size: 1
    .uses_dynamic_stack: false
    .vgpr_count:     0
    .vgpr_spill_count: 0
    .wavefront_size: 32
    .workgroup_processor_mode: 1
  - .args:
      - .offset:         0
        .size:           176
        .value_kind:     by_value
    .group_segment_fixed_size: 13340
    .kernarg_segment_align: 8
    .kernarg_segment_size: 176
    .language:       OpenCL C
    .language_version:
      - 2
      - 0
    .max_flat_workgroup_size: 256
    .name:           _ZN7rocprim17ROCPRIM_400000_NS6detail17trampoline_kernelINS0_13select_configILj256ELj13ELNS0_17block_load_methodE3ELS4_3ELS4_3ELNS0_20block_scan_algorithmE0ELj4294967295EEENS1_25partition_config_selectorILNS1_17partition_subalgoE4EjNS0_10empty_typeEbEEZZNS1_14partition_implILS8_4ELb0ES6_15HIP_vector_typeIjLj2EENS0_17counting_iteratorIjlEEPS9_SG_NS0_5tupleIJPjSI_NS0_16reverse_iteratorISI_EEEEENSH_IJSG_SG_SG_EEES9_SI_JZNS1_25segmented_radix_sort_implINS0_14default_configELb0EPKdPdPKlPlN2at6native12_GLOBAL__N_18offset_tEEE10hipError_tPvRmT1_PNSt15iterator_traitsIS12_E10value_typeET2_T3_PNS13_IS18_E10value_typeET4_jRbjT5_S1E_jjP12ihipStream_tbEUljE_ZNSN_ISO_Lb0ESQ_SR_ST_SU_SY_EESZ_S10_S11_S12_S16_S17_S18_S1B_S1C_jS1D_jS1E_S1E_jjS1G_bEUljE0_EEESZ_S10_S11_S18_S1C_S1E_T6_T7_T9_mT8_S1G_bDpT10_ENKUlT_T0_E_clISt17integral_constantIbLb1EES1T_IbLb0EEEEDaS1P_S1Q_EUlS1P_E_NS1_11comp_targetILNS1_3genE9ELNS1_11target_archE1100ELNS1_3gpuE3ELNS1_3repE0EEENS1_30default_config_static_selectorELNS0_4arch9wavefront6targetE0EEEvS12_
    .private_segment_fixed_size: 0
    .sgpr_count:     61
    .sgpr_spill_count: 0
    .symbol:         _ZN7rocprim17ROCPRIM_400000_NS6detail17trampoline_kernelINS0_13select_configILj256ELj13ELNS0_17block_load_methodE3ELS4_3ELS4_3ELNS0_20block_scan_algorithmE0ELj4294967295EEENS1_25partition_config_selectorILNS1_17partition_subalgoE4EjNS0_10empty_typeEbEEZZNS1_14partition_implILS8_4ELb0ES6_15HIP_vector_typeIjLj2EENS0_17counting_iteratorIjlEEPS9_SG_NS0_5tupleIJPjSI_NS0_16reverse_iteratorISI_EEEEENSH_IJSG_SG_SG_EEES9_SI_JZNS1_25segmented_radix_sort_implINS0_14default_configELb0EPKdPdPKlPlN2at6native12_GLOBAL__N_18offset_tEEE10hipError_tPvRmT1_PNSt15iterator_traitsIS12_E10value_typeET2_T3_PNS13_IS18_E10value_typeET4_jRbjT5_S1E_jjP12ihipStream_tbEUljE_ZNSN_ISO_Lb0ESQ_SR_ST_SU_SY_EESZ_S10_S11_S12_S16_S17_S18_S1B_S1C_jS1D_jS1E_S1E_jjS1G_bEUljE0_EEESZ_S10_S11_S18_S1C_S1E_T6_T7_T9_mT8_S1G_bDpT10_ENKUlT_T0_E_clISt17integral_constantIbLb1EES1T_IbLb0EEEEDaS1P_S1Q_EUlS1P_E_NS1_11comp_targetILNS1_3genE9ELNS1_11target_archE1100ELNS1_3gpuE3ELNS1_3repE0EEENS1_30default_config_static_selectorELNS0_4arch9wavefront6targetE0EEEvS12_.kd
    .uniform_work_group_size: 1
    .uses_dynamic_stack: false
    .vgpr_count:     98
    .vgpr_spill_count: 0
    .wavefront_size: 32
    .workgroup_processor_mode: 1
  - .args:
      - .offset:         0
        .size:           176
        .value_kind:     by_value
    .group_segment_fixed_size: 0
    .kernarg_segment_align: 8
    .kernarg_segment_size: 176
    .language:       OpenCL C
    .language_version:
      - 2
      - 0
    .max_flat_workgroup_size: 256
    .name:           _ZN7rocprim17ROCPRIM_400000_NS6detail17trampoline_kernelINS0_13select_configILj256ELj13ELNS0_17block_load_methodE3ELS4_3ELS4_3ELNS0_20block_scan_algorithmE0ELj4294967295EEENS1_25partition_config_selectorILNS1_17partition_subalgoE4EjNS0_10empty_typeEbEEZZNS1_14partition_implILS8_4ELb0ES6_15HIP_vector_typeIjLj2EENS0_17counting_iteratorIjlEEPS9_SG_NS0_5tupleIJPjSI_NS0_16reverse_iteratorISI_EEEEENSH_IJSG_SG_SG_EEES9_SI_JZNS1_25segmented_radix_sort_implINS0_14default_configELb0EPKdPdPKlPlN2at6native12_GLOBAL__N_18offset_tEEE10hipError_tPvRmT1_PNSt15iterator_traitsIS12_E10value_typeET2_T3_PNS13_IS18_E10value_typeET4_jRbjT5_S1E_jjP12ihipStream_tbEUljE_ZNSN_ISO_Lb0ESQ_SR_ST_SU_SY_EESZ_S10_S11_S12_S16_S17_S18_S1B_S1C_jS1D_jS1E_S1E_jjS1G_bEUljE0_EEESZ_S10_S11_S18_S1C_S1E_T6_T7_T9_mT8_S1G_bDpT10_ENKUlT_T0_E_clISt17integral_constantIbLb1EES1T_IbLb0EEEEDaS1P_S1Q_EUlS1P_E_NS1_11comp_targetILNS1_3genE8ELNS1_11target_archE1030ELNS1_3gpuE2ELNS1_3repE0EEENS1_30default_config_static_selectorELNS0_4arch9wavefront6targetE0EEEvS12_
    .private_segment_fixed_size: 0
    .sgpr_count:     0
    .sgpr_spill_count: 0
    .symbol:         _ZN7rocprim17ROCPRIM_400000_NS6detail17trampoline_kernelINS0_13select_configILj256ELj13ELNS0_17block_load_methodE3ELS4_3ELS4_3ELNS0_20block_scan_algorithmE0ELj4294967295EEENS1_25partition_config_selectorILNS1_17partition_subalgoE4EjNS0_10empty_typeEbEEZZNS1_14partition_implILS8_4ELb0ES6_15HIP_vector_typeIjLj2EENS0_17counting_iteratorIjlEEPS9_SG_NS0_5tupleIJPjSI_NS0_16reverse_iteratorISI_EEEEENSH_IJSG_SG_SG_EEES9_SI_JZNS1_25segmented_radix_sort_implINS0_14default_configELb0EPKdPdPKlPlN2at6native12_GLOBAL__N_18offset_tEEE10hipError_tPvRmT1_PNSt15iterator_traitsIS12_E10value_typeET2_T3_PNS13_IS18_E10value_typeET4_jRbjT5_S1E_jjP12ihipStream_tbEUljE_ZNSN_ISO_Lb0ESQ_SR_ST_SU_SY_EESZ_S10_S11_S12_S16_S17_S18_S1B_S1C_jS1D_jS1E_S1E_jjS1G_bEUljE0_EEESZ_S10_S11_S18_S1C_S1E_T6_T7_T9_mT8_S1G_bDpT10_ENKUlT_T0_E_clISt17integral_constantIbLb1EES1T_IbLb0EEEEDaS1P_S1Q_EUlS1P_E_NS1_11comp_targetILNS1_3genE8ELNS1_11target_archE1030ELNS1_3gpuE2ELNS1_3repE0EEENS1_30default_config_static_selectorELNS0_4arch9wavefront6targetE0EEEvS12_.kd
    .uniform_work_group_size: 1
    .uses_dynamic_stack: false
    .vgpr_count:     0
    .vgpr_spill_count: 0
    .wavefront_size: 32
    .workgroup_processor_mode: 1
  - .args:
      - .offset:         0
        .size:           184
        .value_kind:     by_value
    .group_segment_fixed_size: 0
    .kernarg_segment_align: 8
    .kernarg_segment_size: 184
    .language:       OpenCL C
    .language_version:
      - 2
      - 0
    .max_flat_workgroup_size: 256
    .name:           _ZN7rocprim17ROCPRIM_400000_NS6detail17trampoline_kernelINS0_13select_configILj256ELj13ELNS0_17block_load_methodE3ELS4_3ELS4_3ELNS0_20block_scan_algorithmE0ELj4294967295EEENS1_25partition_config_selectorILNS1_17partition_subalgoE4EjNS0_10empty_typeEbEEZZNS1_14partition_implILS8_4ELb0ES6_15HIP_vector_typeIjLj2EENS0_17counting_iteratorIjlEEPS9_SG_NS0_5tupleIJPjSI_NS0_16reverse_iteratorISI_EEEEENSH_IJSG_SG_SG_EEES9_SI_JZNS1_25segmented_radix_sort_implINS0_14default_configELb0EPKdPdPKlPlN2at6native12_GLOBAL__N_18offset_tEEE10hipError_tPvRmT1_PNSt15iterator_traitsIS12_E10value_typeET2_T3_PNS13_IS18_E10value_typeET4_jRbjT5_S1E_jjP12ihipStream_tbEUljE_ZNSN_ISO_Lb0ESQ_SR_ST_SU_SY_EESZ_S10_S11_S12_S16_S17_S18_S1B_S1C_jS1D_jS1E_S1E_jjS1G_bEUljE0_EEESZ_S10_S11_S18_S1C_S1E_T6_T7_T9_mT8_S1G_bDpT10_ENKUlT_T0_E_clISt17integral_constantIbLb0EES1T_IbLb1EEEEDaS1P_S1Q_EUlS1P_E_NS1_11comp_targetILNS1_3genE0ELNS1_11target_archE4294967295ELNS1_3gpuE0ELNS1_3repE0EEENS1_30default_config_static_selectorELNS0_4arch9wavefront6targetE0EEEvS12_
    .private_segment_fixed_size: 0
    .sgpr_count:     0
    .sgpr_spill_count: 0
    .symbol:         _ZN7rocprim17ROCPRIM_400000_NS6detail17trampoline_kernelINS0_13select_configILj256ELj13ELNS0_17block_load_methodE3ELS4_3ELS4_3ELNS0_20block_scan_algorithmE0ELj4294967295EEENS1_25partition_config_selectorILNS1_17partition_subalgoE4EjNS0_10empty_typeEbEEZZNS1_14partition_implILS8_4ELb0ES6_15HIP_vector_typeIjLj2EENS0_17counting_iteratorIjlEEPS9_SG_NS0_5tupleIJPjSI_NS0_16reverse_iteratorISI_EEEEENSH_IJSG_SG_SG_EEES9_SI_JZNS1_25segmented_radix_sort_implINS0_14default_configELb0EPKdPdPKlPlN2at6native12_GLOBAL__N_18offset_tEEE10hipError_tPvRmT1_PNSt15iterator_traitsIS12_E10value_typeET2_T3_PNS13_IS18_E10value_typeET4_jRbjT5_S1E_jjP12ihipStream_tbEUljE_ZNSN_ISO_Lb0ESQ_SR_ST_SU_SY_EESZ_S10_S11_S12_S16_S17_S18_S1B_S1C_jS1D_jS1E_S1E_jjS1G_bEUljE0_EEESZ_S10_S11_S18_S1C_S1E_T6_T7_T9_mT8_S1G_bDpT10_ENKUlT_T0_E_clISt17integral_constantIbLb0EES1T_IbLb1EEEEDaS1P_S1Q_EUlS1P_E_NS1_11comp_targetILNS1_3genE0ELNS1_11target_archE4294967295ELNS1_3gpuE0ELNS1_3repE0EEENS1_30default_config_static_selectorELNS0_4arch9wavefront6targetE0EEEvS12_.kd
    .uniform_work_group_size: 1
    .uses_dynamic_stack: false
    .vgpr_count:     0
    .vgpr_spill_count: 0
    .wavefront_size: 32
    .workgroup_processor_mode: 1
  - .args:
      - .offset:         0
        .size:           184
        .value_kind:     by_value
    .group_segment_fixed_size: 0
    .kernarg_segment_align: 8
    .kernarg_segment_size: 184
    .language:       OpenCL C
    .language_version:
      - 2
      - 0
    .max_flat_workgroup_size: 256
    .name:           _ZN7rocprim17ROCPRIM_400000_NS6detail17trampoline_kernelINS0_13select_configILj256ELj13ELNS0_17block_load_methodE3ELS4_3ELS4_3ELNS0_20block_scan_algorithmE0ELj4294967295EEENS1_25partition_config_selectorILNS1_17partition_subalgoE4EjNS0_10empty_typeEbEEZZNS1_14partition_implILS8_4ELb0ES6_15HIP_vector_typeIjLj2EENS0_17counting_iteratorIjlEEPS9_SG_NS0_5tupleIJPjSI_NS0_16reverse_iteratorISI_EEEEENSH_IJSG_SG_SG_EEES9_SI_JZNS1_25segmented_radix_sort_implINS0_14default_configELb0EPKdPdPKlPlN2at6native12_GLOBAL__N_18offset_tEEE10hipError_tPvRmT1_PNSt15iterator_traitsIS12_E10value_typeET2_T3_PNS13_IS18_E10value_typeET4_jRbjT5_S1E_jjP12ihipStream_tbEUljE_ZNSN_ISO_Lb0ESQ_SR_ST_SU_SY_EESZ_S10_S11_S12_S16_S17_S18_S1B_S1C_jS1D_jS1E_S1E_jjS1G_bEUljE0_EEESZ_S10_S11_S18_S1C_S1E_T6_T7_T9_mT8_S1G_bDpT10_ENKUlT_T0_E_clISt17integral_constantIbLb0EES1T_IbLb1EEEEDaS1P_S1Q_EUlS1P_E_NS1_11comp_targetILNS1_3genE5ELNS1_11target_archE942ELNS1_3gpuE9ELNS1_3repE0EEENS1_30default_config_static_selectorELNS0_4arch9wavefront6targetE0EEEvS12_
    .private_segment_fixed_size: 0
    .sgpr_count:     0
    .sgpr_spill_count: 0
    .symbol:         _ZN7rocprim17ROCPRIM_400000_NS6detail17trampoline_kernelINS0_13select_configILj256ELj13ELNS0_17block_load_methodE3ELS4_3ELS4_3ELNS0_20block_scan_algorithmE0ELj4294967295EEENS1_25partition_config_selectorILNS1_17partition_subalgoE4EjNS0_10empty_typeEbEEZZNS1_14partition_implILS8_4ELb0ES6_15HIP_vector_typeIjLj2EENS0_17counting_iteratorIjlEEPS9_SG_NS0_5tupleIJPjSI_NS0_16reverse_iteratorISI_EEEEENSH_IJSG_SG_SG_EEES9_SI_JZNS1_25segmented_radix_sort_implINS0_14default_configELb0EPKdPdPKlPlN2at6native12_GLOBAL__N_18offset_tEEE10hipError_tPvRmT1_PNSt15iterator_traitsIS12_E10value_typeET2_T3_PNS13_IS18_E10value_typeET4_jRbjT5_S1E_jjP12ihipStream_tbEUljE_ZNSN_ISO_Lb0ESQ_SR_ST_SU_SY_EESZ_S10_S11_S12_S16_S17_S18_S1B_S1C_jS1D_jS1E_S1E_jjS1G_bEUljE0_EEESZ_S10_S11_S18_S1C_S1E_T6_T7_T9_mT8_S1G_bDpT10_ENKUlT_T0_E_clISt17integral_constantIbLb0EES1T_IbLb1EEEEDaS1P_S1Q_EUlS1P_E_NS1_11comp_targetILNS1_3genE5ELNS1_11target_archE942ELNS1_3gpuE9ELNS1_3repE0EEENS1_30default_config_static_selectorELNS0_4arch9wavefront6targetE0EEEvS12_.kd
    .uniform_work_group_size: 1
    .uses_dynamic_stack: false
    .vgpr_count:     0
    .vgpr_spill_count: 0
    .wavefront_size: 32
    .workgroup_processor_mode: 1
  - .args:
      - .offset:         0
        .size:           184
        .value_kind:     by_value
    .group_segment_fixed_size: 0
    .kernarg_segment_align: 8
    .kernarg_segment_size: 184
    .language:       OpenCL C
    .language_version:
      - 2
      - 0
    .max_flat_workgroup_size: 256
    .name:           _ZN7rocprim17ROCPRIM_400000_NS6detail17trampoline_kernelINS0_13select_configILj256ELj13ELNS0_17block_load_methodE3ELS4_3ELS4_3ELNS0_20block_scan_algorithmE0ELj4294967295EEENS1_25partition_config_selectorILNS1_17partition_subalgoE4EjNS0_10empty_typeEbEEZZNS1_14partition_implILS8_4ELb0ES6_15HIP_vector_typeIjLj2EENS0_17counting_iteratorIjlEEPS9_SG_NS0_5tupleIJPjSI_NS0_16reverse_iteratorISI_EEEEENSH_IJSG_SG_SG_EEES9_SI_JZNS1_25segmented_radix_sort_implINS0_14default_configELb0EPKdPdPKlPlN2at6native12_GLOBAL__N_18offset_tEEE10hipError_tPvRmT1_PNSt15iterator_traitsIS12_E10value_typeET2_T3_PNS13_IS18_E10value_typeET4_jRbjT5_S1E_jjP12ihipStream_tbEUljE_ZNSN_ISO_Lb0ESQ_SR_ST_SU_SY_EESZ_S10_S11_S12_S16_S17_S18_S1B_S1C_jS1D_jS1E_S1E_jjS1G_bEUljE0_EEESZ_S10_S11_S18_S1C_S1E_T6_T7_T9_mT8_S1G_bDpT10_ENKUlT_T0_E_clISt17integral_constantIbLb0EES1T_IbLb1EEEEDaS1P_S1Q_EUlS1P_E_NS1_11comp_targetILNS1_3genE4ELNS1_11target_archE910ELNS1_3gpuE8ELNS1_3repE0EEENS1_30default_config_static_selectorELNS0_4arch9wavefront6targetE0EEEvS12_
    .private_segment_fixed_size: 0
    .sgpr_count:     0
    .sgpr_spill_count: 0
    .symbol:         _ZN7rocprim17ROCPRIM_400000_NS6detail17trampoline_kernelINS0_13select_configILj256ELj13ELNS0_17block_load_methodE3ELS4_3ELS4_3ELNS0_20block_scan_algorithmE0ELj4294967295EEENS1_25partition_config_selectorILNS1_17partition_subalgoE4EjNS0_10empty_typeEbEEZZNS1_14partition_implILS8_4ELb0ES6_15HIP_vector_typeIjLj2EENS0_17counting_iteratorIjlEEPS9_SG_NS0_5tupleIJPjSI_NS0_16reverse_iteratorISI_EEEEENSH_IJSG_SG_SG_EEES9_SI_JZNS1_25segmented_radix_sort_implINS0_14default_configELb0EPKdPdPKlPlN2at6native12_GLOBAL__N_18offset_tEEE10hipError_tPvRmT1_PNSt15iterator_traitsIS12_E10value_typeET2_T3_PNS13_IS18_E10value_typeET4_jRbjT5_S1E_jjP12ihipStream_tbEUljE_ZNSN_ISO_Lb0ESQ_SR_ST_SU_SY_EESZ_S10_S11_S12_S16_S17_S18_S1B_S1C_jS1D_jS1E_S1E_jjS1G_bEUljE0_EEESZ_S10_S11_S18_S1C_S1E_T6_T7_T9_mT8_S1G_bDpT10_ENKUlT_T0_E_clISt17integral_constantIbLb0EES1T_IbLb1EEEEDaS1P_S1Q_EUlS1P_E_NS1_11comp_targetILNS1_3genE4ELNS1_11target_archE910ELNS1_3gpuE8ELNS1_3repE0EEENS1_30default_config_static_selectorELNS0_4arch9wavefront6targetE0EEEvS12_.kd
    .uniform_work_group_size: 1
    .uses_dynamic_stack: false
    .vgpr_count:     0
    .vgpr_spill_count: 0
    .wavefront_size: 32
    .workgroup_processor_mode: 1
  - .args:
      - .offset:         0
        .size:           184
        .value_kind:     by_value
    .group_segment_fixed_size: 0
    .kernarg_segment_align: 8
    .kernarg_segment_size: 184
    .language:       OpenCL C
    .language_version:
      - 2
      - 0
    .max_flat_workgroup_size: 256
    .name:           _ZN7rocprim17ROCPRIM_400000_NS6detail17trampoline_kernelINS0_13select_configILj256ELj13ELNS0_17block_load_methodE3ELS4_3ELS4_3ELNS0_20block_scan_algorithmE0ELj4294967295EEENS1_25partition_config_selectorILNS1_17partition_subalgoE4EjNS0_10empty_typeEbEEZZNS1_14partition_implILS8_4ELb0ES6_15HIP_vector_typeIjLj2EENS0_17counting_iteratorIjlEEPS9_SG_NS0_5tupleIJPjSI_NS0_16reverse_iteratorISI_EEEEENSH_IJSG_SG_SG_EEES9_SI_JZNS1_25segmented_radix_sort_implINS0_14default_configELb0EPKdPdPKlPlN2at6native12_GLOBAL__N_18offset_tEEE10hipError_tPvRmT1_PNSt15iterator_traitsIS12_E10value_typeET2_T3_PNS13_IS18_E10value_typeET4_jRbjT5_S1E_jjP12ihipStream_tbEUljE_ZNSN_ISO_Lb0ESQ_SR_ST_SU_SY_EESZ_S10_S11_S12_S16_S17_S18_S1B_S1C_jS1D_jS1E_S1E_jjS1G_bEUljE0_EEESZ_S10_S11_S18_S1C_S1E_T6_T7_T9_mT8_S1G_bDpT10_ENKUlT_T0_E_clISt17integral_constantIbLb0EES1T_IbLb1EEEEDaS1P_S1Q_EUlS1P_E_NS1_11comp_targetILNS1_3genE3ELNS1_11target_archE908ELNS1_3gpuE7ELNS1_3repE0EEENS1_30default_config_static_selectorELNS0_4arch9wavefront6targetE0EEEvS12_
    .private_segment_fixed_size: 0
    .sgpr_count:     0
    .sgpr_spill_count: 0
    .symbol:         _ZN7rocprim17ROCPRIM_400000_NS6detail17trampoline_kernelINS0_13select_configILj256ELj13ELNS0_17block_load_methodE3ELS4_3ELS4_3ELNS0_20block_scan_algorithmE0ELj4294967295EEENS1_25partition_config_selectorILNS1_17partition_subalgoE4EjNS0_10empty_typeEbEEZZNS1_14partition_implILS8_4ELb0ES6_15HIP_vector_typeIjLj2EENS0_17counting_iteratorIjlEEPS9_SG_NS0_5tupleIJPjSI_NS0_16reverse_iteratorISI_EEEEENSH_IJSG_SG_SG_EEES9_SI_JZNS1_25segmented_radix_sort_implINS0_14default_configELb0EPKdPdPKlPlN2at6native12_GLOBAL__N_18offset_tEEE10hipError_tPvRmT1_PNSt15iterator_traitsIS12_E10value_typeET2_T3_PNS13_IS18_E10value_typeET4_jRbjT5_S1E_jjP12ihipStream_tbEUljE_ZNSN_ISO_Lb0ESQ_SR_ST_SU_SY_EESZ_S10_S11_S12_S16_S17_S18_S1B_S1C_jS1D_jS1E_S1E_jjS1G_bEUljE0_EEESZ_S10_S11_S18_S1C_S1E_T6_T7_T9_mT8_S1G_bDpT10_ENKUlT_T0_E_clISt17integral_constantIbLb0EES1T_IbLb1EEEEDaS1P_S1Q_EUlS1P_E_NS1_11comp_targetILNS1_3genE3ELNS1_11target_archE908ELNS1_3gpuE7ELNS1_3repE0EEENS1_30default_config_static_selectorELNS0_4arch9wavefront6targetE0EEEvS12_.kd
    .uniform_work_group_size: 1
    .uses_dynamic_stack: false
    .vgpr_count:     0
    .vgpr_spill_count: 0
    .wavefront_size: 32
    .workgroup_processor_mode: 1
  - .args:
      - .offset:         0
        .size:           184
        .value_kind:     by_value
    .group_segment_fixed_size: 0
    .kernarg_segment_align: 8
    .kernarg_segment_size: 184
    .language:       OpenCL C
    .language_version:
      - 2
      - 0
    .max_flat_workgroup_size: 256
    .name:           _ZN7rocprim17ROCPRIM_400000_NS6detail17trampoline_kernelINS0_13select_configILj256ELj13ELNS0_17block_load_methodE3ELS4_3ELS4_3ELNS0_20block_scan_algorithmE0ELj4294967295EEENS1_25partition_config_selectorILNS1_17partition_subalgoE4EjNS0_10empty_typeEbEEZZNS1_14partition_implILS8_4ELb0ES6_15HIP_vector_typeIjLj2EENS0_17counting_iteratorIjlEEPS9_SG_NS0_5tupleIJPjSI_NS0_16reverse_iteratorISI_EEEEENSH_IJSG_SG_SG_EEES9_SI_JZNS1_25segmented_radix_sort_implINS0_14default_configELb0EPKdPdPKlPlN2at6native12_GLOBAL__N_18offset_tEEE10hipError_tPvRmT1_PNSt15iterator_traitsIS12_E10value_typeET2_T3_PNS13_IS18_E10value_typeET4_jRbjT5_S1E_jjP12ihipStream_tbEUljE_ZNSN_ISO_Lb0ESQ_SR_ST_SU_SY_EESZ_S10_S11_S12_S16_S17_S18_S1B_S1C_jS1D_jS1E_S1E_jjS1G_bEUljE0_EEESZ_S10_S11_S18_S1C_S1E_T6_T7_T9_mT8_S1G_bDpT10_ENKUlT_T0_E_clISt17integral_constantIbLb0EES1T_IbLb1EEEEDaS1P_S1Q_EUlS1P_E_NS1_11comp_targetILNS1_3genE2ELNS1_11target_archE906ELNS1_3gpuE6ELNS1_3repE0EEENS1_30default_config_static_selectorELNS0_4arch9wavefront6targetE0EEEvS12_
    .private_segment_fixed_size: 0
    .sgpr_count:     0
    .sgpr_spill_count: 0
    .symbol:         _ZN7rocprim17ROCPRIM_400000_NS6detail17trampoline_kernelINS0_13select_configILj256ELj13ELNS0_17block_load_methodE3ELS4_3ELS4_3ELNS0_20block_scan_algorithmE0ELj4294967295EEENS1_25partition_config_selectorILNS1_17partition_subalgoE4EjNS0_10empty_typeEbEEZZNS1_14partition_implILS8_4ELb0ES6_15HIP_vector_typeIjLj2EENS0_17counting_iteratorIjlEEPS9_SG_NS0_5tupleIJPjSI_NS0_16reverse_iteratorISI_EEEEENSH_IJSG_SG_SG_EEES9_SI_JZNS1_25segmented_radix_sort_implINS0_14default_configELb0EPKdPdPKlPlN2at6native12_GLOBAL__N_18offset_tEEE10hipError_tPvRmT1_PNSt15iterator_traitsIS12_E10value_typeET2_T3_PNS13_IS18_E10value_typeET4_jRbjT5_S1E_jjP12ihipStream_tbEUljE_ZNSN_ISO_Lb0ESQ_SR_ST_SU_SY_EESZ_S10_S11_S12_S16_S17_S18_S1B_S1C_jS1D_jS1E_S1E_jjS1G_bEUljE0_EEESZ_S10_S11_S18_S1C_S1E_T6_T7_T9_mT8_S1G_bDpT10_ENKUlT_T0_E_clISt17integral_constantIbLb0EES1T_IbLb1EEEEDaS1P_S1Q_EUlS1P_E_NS1_11comp_targetILNS1_3genE2ELNS1_11target_archE906ELNS1_3gpuE6ELNS1_3repE0EEENS1_30default_config_static_selectorELNS0_4arch9wavefront6targetE0EEEvS12_.kd
    .uniform_work_group_size: 1
    .uses_dynamic_stack: false
    .vgpr_count:     0
    .vgpr_spill_count: 0
    .wavefront_size: 32
    .workgroup_processor_mode: 1
  - .args:
      - .offset:         0
        .size:           184
        .value_kind:     by_value
    .group_segment_fixed_size: 0
    .kernarg_segment_align: 8
    .kernarg_segment_size: 184
    .language:       OpenCL C
    .language_version:
      - 2
      - 0
    .max_flat_workgroup_size: 256
    .name:           _ZN7rocprim17ROCPRIM_400000_NS6detail17trampoline_kernelINS0_13select_configILj256ELj13ELNS0_17block_load_methodE3ELS4_3ELS4_3ELNS0_20block_scan_algorithmE0ELj4294967295EEENS1_25partition_config_selectorILNS1_17partition_subalgoE4EjNS0_10empty_typeEbEEZZNS1_14partition_implILS8_4ELb0ES6_15HIP_vector_typeIjLj2EENS0_17counting_iteratorIjlEEPS9_SG_NS0_5tupleIJPjSI_NS0_16reverse_iteratorISI_EEEEENSH_IJSG_SG_SG_EEES9_SI_JZNS1_25segmented_radix_sort_implINS0_14default_configELb0EPKdPdPKlPlN2at6native12_GLOBAL__N_18offset_tEEE10hipError_tPvRmT1_PNSt15iterator_traitsIS12_E10value_typeET2_T3_PNS13_IS18_E10value_typeET4_jRbjT5_S1E_jjP12ihipStream_tbEUljE_ZNSN_ISO_Lb0ESQ_SR_ST_SU_SY_EESZ_S10_S11_S12_S16_S17_S18_S1B_S1C_jS1D_jS1E_S1E_jjS1G_bEUljE0_EEESZ_S10_S11_S18_S1C_S1E_T6_T7_T9_mT8_S1G_bDpT10_ENKUlT_T0_E_clISt17integral_constantIbLb0EES1T_IbLb1EEEEDaS1P_S1Q_EUlS1P_E_NS1_11comp_targetILNS1_3genE10ELNS1_11target_archE1200ELNS1_3gpuE4ELNS1_3repE0EEENS1_30default_config_static_selectorELNS0_4arch9wavefront6targetE0EEEvS12_
    .private_segment_fixed_size: 0
    .sgpr_count:     0
    .sgpr_spill_count: 0
    .symbol:         _ZN7rocprim17ROCPRIM_400000_NS6detail17trampoline_kernelINS0_13select_configILj256ELj13ELNS0_17block_load_methodE3ELS4_3ELS4_3ELNS0_20block_scan_algorithmE0ELj4294967295EEENS1_25partition_config_selectorILNS1_17partition_subalgoE4EjNS0_10empty_typeEbEEZZNS1_14partition_implILS8_4ELb0ES6_15HIP_vector_typeIjLj2EENS0_17counting_iteratorIjlEEPS9_SG_NS0_5tupleIJPjSI_NS0_16reverse_iteratorISI_EEEEENSH_IJSG_SG_SG_EEES9_SI_JZNS1_25segmented_radix_sort_implINS0_14default_configELb0EPKdPdPKlPlN2at6native12_GLOBAL__N_18offset_tEEE10hipError_tPvRmT1_PNSt15iterator_traitsIS12_E10value_typeET2_T3_PNS13_IS18_E10value_typeET4_jRbjT5_S1E_jjP12ihipStream_tbEUljE_ZNSN_ISO_Lb0ESQ_SR_ST_SU_SY_EESZ_S10_S11_S12_S16_S17_S18_S1B_S1C_jS1D_jS1E_S1E_jjS1G_bEUljE0_EEESZ_S10_S11_S18_S1C_S1E_T6_T7_T9_mT8_S1G_bDpT10_ENKUlT_T0_E_clISt17integral_constantIbLb0EES1T_IbLb1EEEEDaS1P_S1Q_EUlS1P_E_NS1_11comp_targetILNS1_3genE10ELNS1_11target_archE1200ELNS1_3gpuE4ELNS1_3repE0EEENS1_30default_config_static_selectorELNS0_4arch9wavefront6targetE0EEEvS12_.kd
    .uniform_work_group_size: 1
    .uses_dynamic_stack: false
    .vgpr_count:     0
    .vgpr_spill_count: 0
    .wavefront_size: 32
    .workgroup_processor_mode: 1
  - .args:
      - .offset:         0
        .size:           184
        .value_kind:     by_value
    .group_segment_fixed_size: 13340
    .kernarg_segment_align: 8
    .kernarg_segment_size: 184
    .language:       OpenCL C
    .language_version:
      - 2
      - 0
    .max_flat_workgroup_size: 256
    .name:           _ZN7rocprim17ROCPRIM_400000_NS6detail17trampoline_kernelINS0_13select_configILj256ELj13ELNS0_17block_load_methodE3ELS4_3ELS4_3ELNS0_20block_scan_algorithmE0ELj4294967295EEENS1_25partition_config_selectorILNS1_17partition_subalgoE4EjNS0_10empty_typeEbEEZZNS1_14partition_implILS8_4ELb0ES6_15HIP_vector_typeIjLj2EENS0_17counting_iteratorIjlEEPS9_SG_NS0_5tupleIJPjSI_NS0_16reverse_iteratorISI_EEEEENSH_IJSG_SG_SG_EEES9_SI_JZNS1_25segmented_radix_sort_implINS0_14default_configELb0EPKdPdPKlPlN2at6native12_GLOBAL__N_18offset_tEEE10hipError_tPvRmT1_PNSt15iterator_traitsIS12_E10value_typeET2_T3_PNS13_IS18_E10value_typeET4_jRbjT5_S1E_jjP12ihipStream_tbEUljE_ZNSN_ISO_Lb0ESQ_SR_ST_SU_SY_EESZ_S10_S11_S12_S16_S17_S18_S1B_S1C_jS1D_jS1E_S1E_jjS1G_bEUljE0_EEESZ_S10_S11_S18_S1C_S1E_T6_T7_T9_mT8_S1G_bDpT10_ENKUlT_T0_E_clISt17integral_constantIbLb0EES1T_IbLb1EEEEDaS1P_S1Q_EUlS1P_E_NS1_11comp_targetILNS1_3genE9ELNS1_11target_archE1100ELNS1_3gpuE3ELNS1_3repE0EEENS1_30default_config_static_selectorELNS0_4arch9wavefront6targetE0EEEvS12_
    .private_segment_fixed_size: 0
    .sgpr_count:     57
    .sgpr_spill_count: 0
    .symbol:         _ZN7rocprim17ROCPRIM_400000_NS6detail17trampoline_kernelINS0_13select_configILj256ELj13ELNS0_17block_load_methodE3ELS4_3ELS4_3ELNS0_20block_scan_algorithmE0ELj4294967295EEENS1_25partition_config_selectorILNS1_17partition_subalgoE4EjNS0_10empty_typeEbEEZZNS1_14partition_implILS8_4ELb0ES6_15HIP_vector_typeIjLj2EENS0_17counting_iteratorIjlEEPS9_SG_NS0_5tupleIJPjSI_NS0_16reverse_iteratorISI_EEEEENSH_IJSG_SG_SG_EEES9_SI_JZNS1_25segmented_radix_sort_implINS0_14default_configELb0EPKdPdPKlPlN2at6native12_GLOBAL__N_18offset_tEEE10hipError_tPvRmT1_PNSt15iterator_traitsIS12_E10value_typeET2_T3_PNS13_IS18_E10value_typeET4_jRbjT5_S1E_jjP12ihipStream_tbEUljE_ZNSN_ISO_Lb0ESQ_SR_ST_SU_SY_EESZ_S10_S11_S12_S16_S17_S18_S1B_S1C_jS1D_jS1E_S1E_jjS1G_bEUljE0_EEESZ_S10_S11_S18_S1C_S1E_T6_T7_T9_mT8_S1G_bDpT10_ENKUlT_T0_E_clISt17integral_constantIbLb0EES1T_IbLb1EEEEDaS1P_S1Q_EUlS1P_E_NS1_11comp_targetILNS1_3genE9ELNS1_11target_archE1100ELNS1_3gpuE3ELNS1_3repE0EEENS1_30default_config_static_selectorELNS0_4arch9wavefront6targetE0EEEvS12_.kd
    .uniform_work_group_size: 1
    .uses_dynamic_stack: false
    .vgpr_count:     103
    .vgpr_spill_count: 0
    .wavefront_size: 32
    .workgroup_processor_mode: 1
  - .args:
      - .offset:         0
        .size:           184
        .value_kind:     by_value
    .group_segment_fixed_size: 0
    .kernarg_segment_align: 8
    .kernarg_segment_size: 184
    .language:       OpenCL C
    .language_version:
      - 2
      - 0
    .max_flat_workgroup_size: 256
    .name:           _ZN7rocprim17ROCPRIM_400000_NS6detail17trampoline_kernelINS0_13select_configILj256ELj13ELNS0_17block_load_methodE3ELS4_3ELS4_3ELNS0_20block_scan_algorithmE0ELj4294967295EEENS1_25partition_config_selectorILNS1_17partition_subalgoE4EjNS0_10empty_typeEbEEZZNS1_14partition_implILS8_4ELb0ES6_15HIP_vector_typeIjLj2EENS0_17counting_iteratorIjlEEPS9_SG_NS0_5tupleIJPjSI_NS0_16reverse_iteratorISI_EEEEENSH_IJSG_SG_SG_EEES9_SI_JZNS1_25segmented_radix_sort_implINS0_14default_configELb0EPKdPdPKlPlN2at6native12_GLOBAL__N_18offset_tEEE10hipError_tPvRmT1_PNSt15iterator_traitsIS12_E10value_typeET2_T3_PNS13_IS18_E10value_typeET4_jRbjT5_S1E_jjP12ihipStream_tbEUljE_ZNSN_ISO_Lb0ESQ_SR_ST_SU_SY_EESZ_S10_S11_S12_S16_S17_S18_S1B_S1C_jS1D_jS1E_S1E_jjS1G_bEUljE0_EEESZ_S10_S11_S18_S1C_S1E_T6_T7_T9_mT8_S1G_bDpT10_ENKUlT_T0_E_clISt17integral_constantIbLb0EES1T_IbLb1EEEEDaS1P_S1Q_EUlS1P_E_NS1_11comp_targetILNS1_3genE8ELNS1_11target_archE1030ELNS1_3gpuE2ELNS1_3repE0EEENS1_30default_config_static_selectorELNS0_4arch9wavefront6targetE0EEEvS12_
    .private_segment_fixed_size: 0
    .sgpr_count:     0
    .sgpr_spill_count: 0
    .symbol:         _ZN7rocprim17ROCPRIM_400000_NS6detail17trampoline_kernelINS0_13select_configILj256ELj13ELNS0_17block_load_methodE3ELS4_3ELS4_3ELNS0_20block_scan_algorithmE0ELj4294967295EEENS1_25partition_config_selectorILNS1_17partition_subalgoE4EjNS0_10empty_typeEbEEZZNS1_14partition_implILS8_4ELb0ES6_15HIP_vector_typeIjLj2EENS0_17counting_iteratorIjlEEPS9_SG_NS0_5tupleIJPjSI_NS0_16reverse_iteratorISI_EEEEENSH_IJSG_SG_SG_EEES9_SI_JZNS1_25segmented_radix_sort_implINS0_14default_configELb0EPKdPdPKlPlN2at6native12_GLOBAL__N_18offset_tEEE10hipError_tPvRmT1_PNSt15iterator_traitsIS12_E10value_typeET2_T3_PNS13_IS18_E10value_typeET4_jRbjT5_S1E_jjP12ihipStream_tbEUljE_ZNSN_ISO_Lb0ESQ_SR_ST_SU_SY_EESZ_S10_S11_S12_S16_S17_S18_S1B_S1C_jS1D_jS1E_S1E_jjS1G_bEUljE0_EEESZ_S10_S11_S18_S1C_S1E_T6_T7_T9_mT8_S1G_bDpT10_ENKUlT_T0_E_clISt17integral_constantIbLb0EES1T_IbLb1EEEEDaS1P_S1Q_EUlS1P_E_NS1_11comp_targetILNS1_3genE8ELNS1_11target_archE1030ELNS1_3gpuE2ELNS1_3repE0EEENS1_30default_config_static_selectorELNS0_4arch9wavefront6targetE0EEEvS12_.kd
    .uniform_work_group_size: 1
    .uses_dynamic_stack: false
    .vgpr_count:     0
    .vgpr_spill_count: 0
    .wavefront_size: 32
    .workgroup_processor_mode: 1
  - .args:
      - .offset:         0
        .size:           144
        .value_kind:     by_value
    .group_segment_fixed_size: 0
    .kernarg_segment_align: 8
    .kernarg_segment_size: 144
    .language:       OpenCL C
    .language_version:
      - 2
      - 0
    .max_flat_workgroup_size: 256
    .name:           _ZN7rocprim17ROCPRIM_400000_NS6detail17trampoline_kernelINS0_13select_configILj256ELj13ELNS0_17block_load_methodE3ELS4_3ELS4_3ELNS0_20block_scan_algorithmE0ELj4294967295EEENS1_25partition_config_selectorILNS1_17partition_subalgoE3EjNS0_10empty_typeEbEEZZNS1_14partition_implILS8_3ELb0ES6_jNS0_17counting_iteratorIjlEEPS9_SE_NS0_5tupleIJPjSE_EEENSF_IJSE_SE_EEES9_SG_JZNS1_25segmented_radix_sort_implINS0_14default_configELb0EPKdPdPKlPlN2at6native12_GLOBAL__N_18offset_tEEE10hipError_tPvRmT1_PNSt15iterator_traitsISY_E10value_typeET2_T3_PNSZ_IS14_E10value_typeET4_jRbjT5_S1A_jjP12ihipStream_tbEUljE_EEESV_SW_SX_S14_S18_S1A_T6_T7_T9_mT8_S1C_bDpT10_ENKUlT_T0_E_clISt17integral_constantIbLb0EES1P_EEDaS1K_S1L_EUlS1K_E_NS1_11comp_targetILNS1_3genE0ELNS1_11target_archE4294967295ELNS1_3gpuE0ELNS1_3repE0EEENS1_30default_config_static_selectorELNS0_4arch9wavefront6targetE0EEEvSY_
    .private_segment_fixed_size: 0
    .sgpr_count:     0
    .sgpr_spill_count: 0
    .symbol:         _ZN7rocprim17ROCPRIM_400000_NS6detail17trampoline_kernelINS0_13select_configILj256ELj13ELNS0_17block_load_methodE3ELS4_3ELS4_3ELNS0_20block_scan_algorithmE0ELj4294967295EEENS1_25partition_config_selectorILNS1_17partition_subalgoE3EjNS0_10empty_typeEbEEZZNS1_14partition_implILS8_3ELb0ES6_jNS0_17counting_iteratorIjlEEPS9_SE_NS0_5tupleIJPjSE_EEENSF_IJSE_SE_EEES9_SG_JZNS1_25segmented_radix_sort_implINS0_14default_configELb0EPKdPdPKlPlN2at6native12_GLOBAL__N_18offset_tEEE10hipError_tPvRmT1_PNSt15iterator_traitsISY_E10value_typeET2_T3_PNSZ_IS14_E10value_typeET4_jRbjT5_S1A_jjP12ihipStream_tbEUljE_EEESV_SW_SX_S14_S18_S1A_T6_T7_T9_mT8_S1C_bDpT10_ENKUlT_T0_E_clISt17integral_constantIbLb0EES1P_EEDaS1K_S1L_EUlS1K_E_NS1_11comp_targetILNS1_3genE0ELNS1_11target_archE4294967295ELNS1_3gpuE0ELNS1_3repE0EEENS1_30default_config_static_selectorELNS0_4arch9wavefront6targetE0EEEvSY_.kd
    .uniform_work_group_size: 1
    .uses_dynamic_stack: false
    .vgpr_count:     0
    .vgpr_spill_count: 0
    .wavefront_size: 32
    .workgroup_processor_mode: 1
  - .args:
      - .offset:         0
        .size:           144
        .value_kind:     by_value
    .group_segment_fixed_size: 0
    .kernarg_segment_align: 8
    .kernarg_segment_size: 144
    .language:       OpenCL C
    .language_version:
      - 2
      - 0
    .max_flat_workgroup_size: 256
    .name:           _ZN7rocprim17ROCPRIM_400000_NS6detail17trampoline_kernelINS0_13select_configILj256ELj13ELNS0_17block_load_methodE3ELS4_3ELS4_3ELNS0_20block_scan_algorithmE0ELj4294967295EEENS1_25partition_config_selectorILNS1_17partition_subalgoE3EjNS0_10empty_typeEbEEZZNS1_14partition_implILS8_3ELb0ES6_jNS0_17counting_iteratorIjlEEPS9_SE_NS0_5tupleIJPjSE_EEENSF_IJSE_SE_EEES9_SG_JZNS1_25segmented_radix_sort_implINS0_14default_configELb0EPKdPdPKlPlN2at6native12_GLOBAL__N_18offset_tEEE10hipError_tPvRmT1_PNSt15iterator_traitsISY_E10value_typeET2_T3_PNSZ_IS14_E10value_typeET4_jRbjT5_S1A_jjP12ihipStream_tbEUljE_EEESV_SW_SX_S14_S18_S1A_T6_T7_T9_mT8_S1C_bDpT10_ENKUlT_T0_E_clISt17integral_constantIbLb0EES1P_EEDaS1K_S1L_EUlS1K_E_NS1_11comp_targetILNS1_3genE5ELNS1_11target_archE942ELNS1_3gpuE9ELNS1_3repE0EEENS1_30default_config_static_selectorELNS0_4arch9wavefront6targetE0EEEvSY_
    .private_segment_fixed_size: 0
    .sgpr_count:     0
    .sgpr_spill_count: 0
    .symbol:         _ZN7rocprim17ROCPRIM_400000_NS6detail17trampoline_kernelINS0_13select_configILj256ELj13ELNS0_17block_load_methodE3ELS4_3ELS4_3ELNS0_20block_scan_algorithmE0ELj4294967295EEENS1_25partition_config_selectorILNS1_17partition_subalgoE3EjNS0_10empty_typeEbEEZZNS1_14partition_implILS8_3ELb0ES6_jNS0_17counting_iteratorIjlEEPS9_SE_NS0_5tupleIJPjSE_EEENSF_IJSE_SE_EEES9_SG_JZNS1_25segmented_radix_sort_implINS0_14default_configELb0EPKdPdPKlPlN2at6native12_GLOBAL__N_18offset_tEEE10hipError_tPvRmT1_PNSt15iterator_traitsISY_E10value_typeET2_T3_PNSZ_IS14_E10value_typeET4_jRbjT5_S1A_jjP12ihipStream_tbEUljE_EEESV_SW_SX_S14_S18_S1A_T6_T7_T9_mT8_S1C_bDpT10_ENKUlT_T0_E_clISt17integral_constantIbLb0EES1P_EEDaS1K_S1L_EUlS1K_E_NS1_11comp_targetILNS1_3genE5ELNS1_11target_archE942ELNS1_3gpuE9ELNS1_3repE0EEENS1_30default_config_static_selectorELNS0_4arch9wavefront6targetE0EEEvSY_.kd
    .uniform_work_group_size: 1
    .uses_dynamic_stack: false
    .vgpr_count:     0
    .vgpr_spill_count: 0
    .wavefront_size: 32
    .workgroup_processor_mode: 1
  - .args:
      - .offset:         0
        .size:           144
        .value_kind:     by_value
    .group_segment_fixed_size: 0
    .kernarg_segment_align: 8
    .kernarg_segment_size: 144
    .language:       OpenCL C
    .language_version:
      - 2
      - 0
    .max_flat_workgroup_size: 256
    .name:           _ZN7rocprim17ROCPRIM_400000_NS6detail17trampoline_kernelINS0_13select_configILj256ELj13ELNS0_17block_load_methodE3ELS4_3ELS4_3ELNS0_20block_scan_algorithmE0ELj4294967295EEENS1_25partition_config_selectorILNS1_17partition_subalgoE3EjNS0_10empty_typeEbEEZZNS1_14partition_implILS8_3ELb0ES6_jNS0_17counting_iteratorIjlEEPS9_SE_NS0_5tupleIJPjSE_EEENSF_IJSE_SE_EEES9_SG_JZNS1_25segmented_radix_sort_implINS0_14default_configELb0EPKdPdPKlPlN2at6native12_GLOBAL__N_18offset_tEEE10hipError_tPvRmT1_PNSt15iterator_traitsISY_E10value_typeET2_T3_PNSZ_IS14_E10value_typeET4_jRbjT5_S1A_jjP12ihipStream_tbEUljE_EEESV_SW_SX_S14_S18_S1A_T6_T7_T9_mT8_S1C_bDpT10_ENKUlT_T0_E_clISt17integral_constantIbLb0EES1P_EEDaS1K_S1L_EUlS1K_E_NS1_11comp_targetILNS1_3genE4ELNS1_11target_archE910ELNS1_3gpuE8ELNS1_3repE0EEENS1_30default_config_static_selectorELNS0_4arch9wavefront6targetE0EEEvSY_
    .private_segment_fixed_size: 0
    .sgpr_count:     0
    .sgpr_spill_count: 0
    .symbol:         _ZN7rocprim17ROCPRIM_400000_NS6detail17trampoline_kernelINS0_13select_configILj256ELj13ELNS0_17block_load_methodE3ELS4_3ELS4_3ELNS0_20block_scan_algorithmE0ELj4294967295EEENS1_25partition_config_selectorILNS1_17partition_subalgoE3EjNS0_10empty_typeEbEEZZNS1_14partition_implILS8_3ELb0ES6_jNS0_17counting_iteratorIjlEEPS9_SE_NS0_5tupleIJPjSE_EEENSF_IJSE_SE_EEES9_SG_JZNS1_25segmented_radix_sort_implINS0_14default_configELb0EPKdPdPKlPlN2at6native12_GLOBAL__N_18offset_tEEE10hipError_tPvRmT1_PNSt15iterator_traitsISY_E10value_typeET2_T3_PNSZ_IS14_E10value_typeET4_jRbjT5_S1A_jjP12ihipStream_tbEUljE_EEESV_SW_SX_S14_S18_S1A_T6_T7_T9_mT8_S1C_bDpT10_ENKUlT_T0_E_clISt17integral_constantIbLb0EES1P_EEDaS1K_S1L_EUlS1K_E_NS1_11comp_targetILNS1_3genE4ELNS1_11target_archE910ELNS1_3gpuE8ELNS1_3repE0EEENS1_30default_config_static_selectorELNS0_4arch9wavefront6targetE0EEEvSY_.kd
    .uniform_work_group_size: 1
    .uses_dynamic_stack: false
    .vgpr_count:     0
    .vgpr_spill_count: 0
    .wavefront_size: 32
    .workgroup_processor_mode: 1
  - .args:
      - .offset:         0
        .size:           144
        .value_kind:     by_value
    .group_segment_fixed_size: 0
    .kernarg_segment_align: 8
    .kernarg_segment_size: 144
    .language:       OpenCL C
    .language_version:
      - 2
      - 0
    .max_flat_workgroup_size: 256
    .name:           _ZN7rocprim17ROCPRIM_400000_NS6detail17trampoline_kernelINS0_13select_configILj256ELj13ELNS0_17block_load_methodE3ELS4_3ELS4_3ELNS0_20block_scan_algorithmE0ELj4294967295EEENS1_25partition_config_selectorILNS1_17partition_subalgoE3EjNS0_10empty_typeEbEEZZNS1_14partition_implILS8_3ELb0ES6_jNS0_17counting_iteratorIjlEEPS9_SE_NS0_5tupleIJPjSE_EEENSF_IJSE_SE_EEES9_SG_JZNS1_25segmented_radix_sort_implINS0_14default_configELb0EPKdPdPKlPlN2at6native12_GLOBAL__N_18offset_tEEE10hipError_tPvRmT1_PNSt15iterator_traitsISY_E10value_typeET2_T3_PNSZ_IS14_E10value_typeET4_jRbjT5_S1A_jjP12ihipStream_tbEUljE_EEESV_SW_SX_S14_S18_S1A_T6_T7_T9_mT8_S1C_bDpT10_ENKUlT_T0_E_clISt17integral_constantIbLb0EES1P_EEDaS1K_S1L_EUlS1K_E_NS1_11comp_targetILNS1_3genE3ELNS1_11target_archE908ELNS1_3gpuE7ELNS1_3repE0EEENS1_30default_config_static_selectorELNS0_4arch9wavefront6targetE0EEEvSY_
    .private_segment_fixed_size: 0
    .sgpr_count:     0
    .sgpr_spill_count: 0
    .symbol:         _ZN7rocprim17ROCPRIM_400000_NS6detail17trampoline_kernelINS0_13select_configILj256ELj13ELNS0_17block_load_methodE3ELS4_3ELS4_3ELNS0_20block_scan_algorithmE0ELj4294967295EEENS1_25partition_config_selectorILNS1_17partition_subalgoE3EjNS0_10empty_typeEbEEZZNS1_14partition_implILS8_3ELb0ES6_jNS0_17counting_iteratorIjlEEPS9_SE_NS0_5tupleIJPjSE_EEENSF_IJSE_SE_EEES9_SG_JZNS1_25segmented_radix_sort_implINS0_14default_configELb0EPKdPdPKlPlN2at6native12_GLOBAL__N_18offset_tEEE10hipError_tPvRmT1_PNSt15iterator_traitsISY_E10value_typeET2_T3_PNSZ_IS14_E10value_typeET4_jRbjT5_S1A_jjP12ihipStream_tbEUljE_EEESV_SW_SX_S14_S18_S1A_T6_T7_T9_mT8_S1C_bDpT10_ENKUlT_T0_E_clISt17integral_constantIbLb0EES1P_EEDaS1K_S1L_EUlS1K_E_NS1_11comp_targetILNS1_3genE3ELNS1_11target_archE908ELNS1_3gpuE7ELNS1_3repE0EEENS1_30default_config_static_selectorELNS0_4arch9wavefront6targetE0EEEvSY_.kd
    .uniform_work_group_size: 1
    .uses_dynamic_stack: false
    .vgpr_count:     0
    .vgpr_spill_count: 0
    .wavefront_size: 32
    .workgroup_processor_mode: 1
  - .args:
      - .offset:         0
        .size:           144
        .value_kind:     by_value
    .group_segment_fixed_size: 0
    .kernarg_segment_align: 8
    .kernarg_segment_size: 144
    .language:       OpenCL C
    .language_version:
      - 2
      - 0
    .max_flat_workgroup_size: 256
    .name:           _ZN7rocprim17ROCPRIM_400000_NS6detail17trampoline_kernelINS0_13select_configILj256ELj13ELNS0_17block_load_methodE3ELS4_3ELS4_3ELNS0_20block_scan_algorithmE0ELj4294967295EEENS1_25partition_config_selectorILNS1_17partition_subalgoE3EjNS0_10empty_typeEbEEZZNS1_14partition_implILS8_3ELb0ES6_jNS0_17counting_iteratorIjlEEPS9_SE_NS0_5tupleIJPjSE_EEENSF_IJSE_SE_EEES9_SG_JZNS1_25segmented_radix_sort_implINS0_14default_configELb0EPKdPdPKlPlN2at6native12_GLOBAL__N_18offset_tEEE10hipError_tPvRmT1_PNSt15iterator_traitsISY_E10value_typeET2_T3_PNSZ_IS14_E10value_typeET4_jRbjT5_S1A_jjP12ihipStream_tbEUljE_EEESV_SW_SX_S14_S18_S1A_T6_T7_T9_mT8_S1C_bDpT10_ENKUlT_T0_E_clISt17integral_constantIbLb0EES1P_EEDaS1K_S1L_EUlS1K_E_NS1_11comp_targetILNS1_3genE2ELNS1_11target_archE906ELNS1_3gpuE6ELNS1_3repE0EEENS1_30default_config_static_selectorELNS0_4arch9wavefront6targetE0EEEvSY_
    .private_segment_fixed_size: 0
    .sgpr_count:     0
    .sgpr_spill_count: 0
    .symbol:         _ZN7rocprim17ROCPRIM_400000_NS6detail17trampoline_kernelINS0_13select_configILj256ELj13ELNS0_17block_load_methodE3ELS4_3ELS4_3ELNS0_20block_scan_algorithmE0ELj4294967295EEENS1_25partition_config_selectorILNS1_17partition_subalgoE3EjNS0_10empty_typeEbEEZZNS1_14partition_implILS8_3ELb0ES6_jNS0_17counting_iteratorIjlEEPS9_SE_NS0_5tupleIJPjSE_EEENSF_IJSE_SE_EEES9_SG_JZNS1_25segmented_radix_sort_implINS0_14default_configELb0EPKdPdPKlPlN2at6native12_GLOBAL__N_18offset_tEEE10hipError_tPvRmT1_PNSt15iterator_traitsISY_E10value_typeET2_T3_PNSZ_IS14_E10value_typeET4_jRbjT5_S1A_jjP12ihipStream_tbEUljE_EEESV_SW_SX_S14_S18_S1A_T6_T7_T9_mT8_S1C_bDpT10_ENKUlT_T0_E_clISt17integral_constantIbLb0EES1P_EEDaS1K_S1L_EUlS1K_E_NS1_11comp_targetILNS1_3genE2ELNS1_11target_archE906ELNS1_3gpuE6ELNS1_3repE0EEENS1_30default_config_static_selectorELNS0_4arch9wavefront6targetE0EEEvSY_.kd
    .uniform_work_group_size: 1
    .uses_dynamic_stack: false
    .vgpr_count:     0
    .vgpr_spill_count: 0
    .wavefront_size: 32
    .workgroup_processor_mode: 1
  - .args:
      - .offset:         0
        .size:           144
        .value_kind:     by_value
    .group_segment_fixed_size: 0
    .kernarg_segment_align: 8
    .kernarg_segment_size: 144
    .language:       OpenCL C
    .language_version:
      - 2
      - 0
    .max_flat_workgroup_size: 256
    .name:           _ZN7rocprim17ROCPRIM_400000_NS6detail17trampoline_kernelINS0_13select_configILj256ELj13ELNS0_17block_load_methodE3ELS4_3ELS4_3ELNS0_20block_scan_algorithmE0ELj4294967295EEENS1_25partition_config_selectorILNS1_17partition_subalgoE3EjNS0_10empty_typeEbEEZZNS1_14partition_implILS8_3ELb0ES6_jNS0_17counting_iteratorIjlEEPS9_SE_NS0_5tupleIJPjSE_EEENSF_IJSE_SE_EEES9_SG_JZNS1_25segmented_radix_sort_implINS0_14default_configELb0EPKdPdPKlPlN2at6native12_GLOBAL__N_18offset_tEEE10hipError_tPvRmT1_PNSt15iterator_traitsISY_E10value_typeET2_T3_PNSZ_IS14_E10value_typeET4_jRbjT5_S1A_jjP12ihipStream_tbEUljE_EEESV_SW_SX_S14_S18_S1A_T6_T7_T9_mT8_S1C_bDpT10_ENKUlT_T0_E_clISt17integral_constantIbLb0EES1P_EEDaS1K_S1L_EUlS1K_E_NS1_11comp_targetILNS1_3genE10ELNS1_11target_archE1200ELNS1_3gpuE4ELNS1_3repE0EEENS1_30default_config_static_selectorELNS0_4arch9wavefront6targetE0EEEvSY_
    .private_segment_fixed_size: 0
    .sgpr_count:     0
    .sgpr_spill_count: 0
    .symbol:         _ZN7rocprim17ROCPRIM_400000_NS6detail17trampoline_kernelINS0_13select_configILj256ELj13ELNS0_17block_load_methodE3ELS4_3ELS4_3ELNS0_20block_scan_algorithmE0ELj4294967295EEENS1_25partition_config_selectorILNS1_17partition_subalgoE3EjNS0_10empty_typeEbEEZZNS1_14partition_implILS8_3ELb0ES6_jNS0_17counting_iteratorIjlEEPS9_SE_NS0_5tupleIJPjSE_EEENSF_IJSE_SE_EEES9_SG_JZNS1_25segmented_radix_sort_implINS0_14default_configELb0EPKdPdPKlPlN2at6native12_GLOBAL__N_18offset_tEEE10hipError_tPvRmT1_PNSt15iterator_traitsISY_E10value_typeET2_T3_PNSZ_IS14_E10value_typeET4_jRbjT5_S1A_jjP12ihipStream_tbEUljE_EEESV_SW_SX_S14_S18_S1A_T6_T7_T9_mT8_S1C_bDpT10_ENKUlT_T0_E_clISt17integral_constantIbLb0EES1P_EEDaS1K_S1L_EUlS1K_E_NS1_11comp_targetILNS1_3genE10ELNS1_11target_archE1200ELNS1_3gpuE4ELNS1_3repE0EEENS1_30default_config_static_selectorELNS0_4arch9wavefront6targetE0EEEvSY_.kd
    .uniform_work_group_size: 1
    .uses_dynamic_stack: false
    .vgpr_count:     0
    .vgpr_spill_count: 0
    .wavefront_size: 32
    .workgroup_processor_mode: 1
  - .args:
      - .offset:         0
        .size:           144
        .value_kind:     by_value
    .group_segment_fixed_size: 13324
    .kernarg_segment_align: 8
    .kernarg_segment_size: 144
    .language:       OpenCL C
    .language_version:
      - 2
      - 0
    .max_flat_workgroup_size: 256
    .name:           _ZN7rocprim17ROCPRIM_400000_NS6detail17trampoline_kernelINS0_13select_configILj256ELj13ELNS0_17block_load_methodE3ELS4_3ELS4_3ELNS0_20block_scan_algorithmE0ELj4294967295EEENS1_25partition_config_selectorILNS1_17partition_subalgoE3EjNS0_10empty_typeEbEEZZNS1_14partition_implILS8_3ELb0ES6_jNS0_17counting_iteratorIjlEEPS9_SE_NS0_5tupleIJPjSE_EEENSF_IJSE_SE_EEES9_SG_JZNS1_25segmented_radix_sort_implINS0_14default_configELb0EPKdPdPKlPlN2at6native12_GLOBAL__N_18offset_tEEE10hipError_tPvRmT1_PNSt15iterator_traitsISY_E10value_typeET2_T3_PNSZ_IS14_E10value_typeET4_jRbjT5_S1A_jjP12ihipStream_tbEUljE_EEESV_SW_SX_S14_S18_S1A_T6_T7_T9_mT8_S1C_bDpT10_ENKUlT_T0_E_clISt17integral_constantIbLb0EES1P_EEDaS1K_S1L_EUlS1K_E_NS1_11comp_targetILNS1_3genE9ELNS1_11target_archE1100ELNS1_3gpuE3ELNS1_3repE0EEENS1_30default_config_static_selectorELNS0_4arch9wavefront6targetE0EEEvSY_
    .private_segment_fixed_size: 0
    .sgpr_count:     30
    .sgpr_spill_count: 0
    .symbol:         _ZN7rocprim17ROCPRIM_400000_NS6detail17trampoline_kernelINS0_13select_configILj256ELj13ELNS0_17block_load_methodE3ELS4_3ELS4_3ELNS0_20block_scan_algorithmE0ELj4294967295EEENS1_25partition_config_selectorILNS1_17partition_subalgoE3EjNS0_10empty_typeEbEEZZNS1_14partition_implILS8_3ELb0ES6_jNS0_17counting_iteratorIjlEEPS9_SE_NS0_5tupleIJPjSE_EEENSF_IJSE_SE_EEES9_SG_JZNS1_25segmented_radix_sort_implINS0_14default_configELb0EPKdPdPKlPlN2at6native12_GLOBAL__N_18offset_tEEE10hipError_tPvRmT1_PNSt15iterator_traitsISY_E10value_typeET2_T3_PNSZ_IS14_E10value_typeET4_jRbjT5_S1A_jjP12ihipStream_tbEUljE_EEESV_SW_SX_S14_S18_S1A_T6_T7_T9_mT8_S1C_bDpT10_ENKUlT_T0_E_clISt17integral_constantIbLb0EES1P_EEDaS1K_S1L_EUlS1K_E_NS1_11comp_targetILNS1_3genE9ELNS1_11target_archE1100ELNS1_3gpuE3ELNS1_3repE0EEENS1_30default_config_static_selectorELNS0_4arch9wavefront6targetE0EEEvSY_.kd
    .uniform_work_group_size: 1
    .uses_dynamic_stack: false
    .vgpr_count:     57
    .vgpr_spill_count: 0
    .wavefront_size: 32
    .workgroup_processor_mode: 1
  - .args:
      - .offset:         0
        .size:           144
        .value_kind:     by_value
    .group_segment_fixed_size: 0
    .kernarg_segment_align: 8
    .kernarg_segment_size: 144
    .language:       OpenCL C
    .language_version:
      - 2
      - 0
    .max_flat_workgroup_size: 256
    .name:           _ZN7rocprim17ROCPRIM_400000_NS6detail17trampoline_kernelINS0_13select_configILj256ELj13ELNS0_17block_load_methodE3ELS4_3ELS4_3ELNS0_20block_scan_algorithmE0ELj4294967295EEENS1_25partition_config_selectorILNS1_17partition_subalgoE3EjNS0_10empty_typeEbEEZZNS1_14partition_implILS8_3ELb0ES6_jNS0_17counting_iteratorIjlEEPS9_SE_NS0_5tupleIJPjSE_EEENSF_IJSE_SE_EEES9_SG_JZNS1_25segmented_radix_sort_implINS0_14default_configELb0EPKdPdPKlPlN2at6native12_GLOBAL__N_18offset_tEEE10hipError_tPvRmT1_PNSt15iterator_traitsISY_E10value_typeET2_T3_PNSZ_IS14_E10value_typeET4_jRbjT5_S1A_jjP12ihipStream_tbEUljE_EEESV_SW_SX_S14_S18_S1A_T6_T7_T9_mT8_S1C_bDpT10_ENKUlT_T0_E_clISt17integral_constantIbLb0EES1P_EEDaS1K_S1L_EUlS1K_E_NS1_11comp_targetILNS1_3genE8ELNS1_11target_archE1030ELNS1_3gpuE2ELNS1_3repE0EEENS1_30default_config_static_selectorELNS0_4arch9wavefront6targetE0EEEvSY_
    .private_segment_fixed_size: 0
    .sgpr_count:     0
    .sgpr_spill_count: 0
    .symbol:         _ZN7rocprim17ROCPRIM_400000_NS6detail17trampoline_kernelINS0_13select_configILj256ELj13ELNS0_17block_load_methodE3ELS4_3ELS4_3ELNS0_20block_scan_algorithmE0ELj4294967295EEENS1_25partition_config_selectorILNS1_17partition_subalgoE3EjNS0_10empty_typeEbEEZZNS1_14partition_implILS8_3ELb0ES6_jNS0_17counting_iteratorIjlEEPS9_SE_NS0_5tupleIJPjSE_EEENSF_IJSE_SE_EEES9_SG_JZNS1_25segmented_radix_sort_implINS0_14default_configELb0EPKdPdPKlPlN2at6native12_GLOBAL__N_18offset_tEEE10hipError_tPvRmT1_PNSt15iterator_traitsISY_E10value_typeET2_T3_PNSZ_IS14_E10value_typeET4_jRbjT5_S1A_jjP12ihipStream_tbEUljE_EEESV_SW_SX_S14_S18_S1A_T6_T7_T9_mT8_S1C_bDpT10_ENKUlT_T0_E_clISt17integral_constantIbLb0EES1P_EEDaS1K_S1L_EUlS1K_E_NS1_11comp_targetILNS1_3genE8ELNS1_11target_archE1030ELNS1_3gpuE2ELNS1_3repE0EEENS1_30default_config_static_selectorELNS0_4arch9wavefront6targetE0EEEvSY_.kd
    .uniform_work_group_size: 1
    .uses_dynamic_stack: false
    .vgpr_count:     0
    .vgpr_spill_count: 0
    .wavefront_size: 32
    .workgroup_processor_mode: 1
  - .args:
      - .offset:         0
        .size:           152
        .value_kind:     by_value
    .group_segment_fixed_size: 0
    .kernarg_segment_align: 8
    .kernarg_segment_size: 152
    .language:       OpenCL C
    .language_version:
      - 2
      - 0
    .max_flat_workgroup_size: 256
    .name:           _ZN7rocprim17ROCPRIM_400000_NS6detail17trampoline_kernelINS0_13select_configILj256ELj13ELNS0_17block_load_methodE3ELS4_3ELS4_3ELNS0_20block_scan_algorithmE0ELj4294967295EEENS1_25partition_config_selectorILNS1_17partition_subalgoE3EjNS0_10empty_typeEbEEZZNS1_14partition_implILS8_3ELb0ES6_jNS0_17counting_iteratorIjlEEPS9_SE_NS0_5tupleIJPjSE_EEENSF_IJSE_SE_EEES9_SG_JZNS1_25segmented_radix_sort_implINS0_14default_configELb0EPKdPdPKlPlN2at6native12_GLOBAL__N_18offset_tEEE10hipError_tPvRmT1_PNSt15iterator_traitsISY_E10value_typeET2_T3_PNSZ_IS14_E10value_typeET4_jRbjT5_S1A_jjP12ihipStream_tbEUljE_EEESV_SW_SX_S14_S18_S1A_T6_T7_T9_mT8_S1C_bDpT10_ENKUlT_T0_E_clISt17integral_constantIbLb1EES1P_EEDaS1K_S1L_EUlS1K_E_NS1_11comp_targetILNS1_3genE0ELNS1_11target_archE4294967295ELNS1_3gpuE0ELNS1_3repE0EEENS1_30default_config_static_selectorELNS0_4arch9wavefront6targetE0EEEvSY_
    .private_segment_fixed_size: 0
    .sgpr_count:     0
    .sgpr_spill_count: 0
    .symbol:         _ZN7rocprim17ROCPRIM_400000_NS6detail17trampoline_kernelINS0_13select_configILj256ELj13ELNS0_17block_load_methodE3ELS4_3ELS4_3ELNS0_20block_scan_algorithmE0ELj4294967295EEENS1_25partition_config_selectorILNS1_17partition_subalgoE3EjNS0_10empty_typeEbEEZZNS1_14partition_implILS8_3ELb0ES6_jNS0_17counting_iteratorIjlEEPS9_SE_NS0_5tupleIJPjSE_EEENSF_IJSE_SE_EEES9_SG_JZNS1_25segmented_radix_sort_implINS0_14default_configELb0EPKdPdPKlPlN2at6native12_GLOBAL__N_18offset_tEEE10hipError_tPvRmT1_PNSt15iterator_traitsISY_E10value_typeET2_T3_PNSZ_IS14_E10value_typeET4_jRbjT5_S1A_jjP12ihipStream_tbEUljE_EEESV_SW_SX_S14_S18_S1A_T6_T7_T9_mT8_S1C_bDpT10_ENKUlT_T0_E_clISt17integral_constantIbLb1EES1P_EEDaS1K_S1L_EUlS1K_E_NS1_11comp_targetILNS1_3genE0ELNS1_11target_archE4294967295ELNS1_3gpuE0ELNS1_3repE0EEENS1_30default_config_static_selectorELNS0_4arch9wavefront6targetE0EEEvSY_.kd
    .uniform_work_group_size: 1
    .uses_dynamic_stack: false
    .vgpr_count:     0
    .vgpr_spill_count: 0
    .wavefront_size: 32
    .workgroup_processor_mode: 1
  - .args:
      - .offset:         0
        .size:           152
        .value_kind:     by_value
    .group_segment_fixed_size: 0
    .kernarg_segment_align: 8
    .kernarg_segment_size: 152
    .language:       OpenCL C
    .language_version:
      - 2
      - 0
    .max_flat_workgroup_size: 256
    .name:           _ZN7rocprim17ROCPRIM_400000_NS6detail17trampoline_kernelINS0_13select_configILj256ELj13ELNS0_17block_load_methodE3ELS4_3ELS4_3ELNS0_20block_scan_algorithmE0ELj4294967295EEENS1_25partition_config_selectorILNS1_17partition_subalgoE3EjNS0_10empty_typeEbEEZZNS1_14partition_implILS8_3ELb0ES6_jNS0_17counting_iteratorIjlEEPS9_SE_NS0_5tupleIJPjSE_EEENSF_IJSE_SE_EEES9_SG_JZNS1_25segmented_radix_sort_implINS0_14default_configELb0EPKdPdPKlPlN2at6native12_GLOBAL__N_18offset_tEEE10hipError_tPvRmT1_PNSt15iterator_traitsISY_E10value_typeET2_T3_PNSZ_IS14_E10value_typeET4_jRbjT5_S1A_jjP12ihipStream_tbEUljE_EEESV_SW_SX_S14_S18_S1A_T6_T7_T9_mT8_S1C_bDpT10_ENKUlT_T0_E_clISt17integral_constantIbLb1EES1P_EEDaS1K_S1L_EUlS1K_E_NS1_11comp_targetILNS1_3genE5ELNS1_11target_archE942ELNS1_3gpuE9ELNS1_3repE0EEENS1_30default_config_static_selectorELNS0_4arch9wavefront6targetE0EEEvSY_
    .private_segment_fixed_size: 0
    .sgpr_count:     0
    .sgpr_spill_count: 0
    .symbol:         _ZN7rocprim17ROCPRIM_400000_NS6detail17trampoline_kernelINS0_13select_configILj256ELj13ELNS0_17block_load_methodE3ELS4_3ELS4_3ELNS0_20block_scan_algorithmE0ELj4294967295EEENS1_25partition_config_selectorILNS1_17partition_subalgoE3EjNS0_10empty_typeEbEEZZNS1_14partition_implILS8_3ELb0ES6_jNS0_17counting_iteratorIjlEEPS9_SE_NS0_5tupleIJPjSE_EEENSF_IJSE_SE_EEES9_SG_JZNS1_25segmented_radix_sort_implINS0_14default_configELb0EPKdPdPKlPlN2at6native12_GLOBAL__N_18offset_tEEE10hipError_tPvRmT1_PNSt15iterator_traitsISY_E10value_typeET2_T3_PNSZ_IS14_E10value_typeET4_jRbjT5_S1A_jjP12ihipStream_tbEUljE_EEESV_SW_SX_S14_S18_S1A_T6_T7_T9_mT8_S1C_bDpT10_ENKUlT_T0_E_clISt17integral_constantIbLb1EES1P_EEDaS1K_S1L_EUlS1K_E_NS1_11comp_targetILNS1_3genE5ELNS1_11target_archE942ELNS1_3gpuE9ELNS1_3repE0EEENS1_30default_config_static_selectorELNS0_4arch9wavefront6targetE0EEEvSY_.kd
    .uniform_work_group_size: 1
    .uses_dynamic_stack: false
    .vgpr_count:     0
    .vgpr_spill_count: 0
    .wavefront_size: 32
    .workgroup_processor_mode: 1
  - .args:
      - .offset:         0
        .size:           152
        .value_kind:     by_value
    .group_segment_fixed_size: 0
    .kernarg_segment_align: 8
    .kernarg_segment_size: 152
    .language:       OpenCL C
    .language_version:
      - 2
      - 0
    .max_flat_workgroup_size: 256
    .name:           _ZN7rocprim17ROCPRIM_400000_NS6detail17trampoline_kernelINS0_13select_configILj256ELj13ELNS0_17block_load_methodE3ELS4_3ELS4_3ELNS0_20block_scan_algorithmE0ELj4294967295EEENS1_25partition_config_selectorILNS1_17partition_subalgoE3EjNS0_10empty_typeEbEEZZNS1_14partition_implILS8_3ELb0ES6_jNS0_17counting_iteratorIjlEEPS9_SE_NS0_5tupleIJPjSE_EEENSF_IJSE_SE_EEES9_SG_JZNS1_25segmented_radix_sort_implINS0_14default_configELb0EPKdPdPKlPlN2at6native12_GLOBAL__N_18offset_tEEE10hipError_tPvRmT1_PNSt15iterator_traitsISY_E10value_typeET2_T3_PNSZ_IS14_E10value_typeET4_jRbjT5_S1A_jjP12ihipStream_tbEUljE_EEESV_SW_SX_S14_S18_S1A_T6_T7_T9_mT8_S1C_bDpT10_ENKUlT_T0_E_clISt17integral_constantIbLb1EES1P_EEDaS1K_S1L_EUlS1K_E_NS1_11comp_targetILNS1_3genE4ELNS1_11target_archE910ELNS1_3gpuE8ELNS1_3repE0EEENS1_30default_config_static_selectorELNS0_4arch9wavefront6targetE0EEEvSY_
    .private_segment_fixed_size: 0
    .sgpr_count:     0
    .sgpr_spill_count: 0
    .symbol:         _ZN7rocprim17ROCPRIM_400000_NS6detail17trampoline_kernelINS0_13select_configILj256ELj13ELNS0_17block_load_methodE3ELS4_3ELS4_3ELNS0_20block_scan_algorithmE0ELj4294967295EEENS1_25partition_config_selectorILNS1_17partition_subalgoE3EjNS0_10empty_typeEbEEZZNS1_14partition_implILS8_3ELb0ES6_jNS0_17counting_iteratorIjlEEPS9_SE_NS0_5tupleIJPjSE_EEENSF_IJSE_SE_EEES9_SG_JZNS1_25segmented_radix_sort_implINS0_14default_configELb0EPKdPdPKlPlN2at6native12_GLOBAL__N_18offset_tEEE10hipError_tPvRmT1_PNSt15iterator_traitsISY_E10value_typeET2_T3_PNSZ_IS14_E10value_typeET4_jRbjT5_S1A_jjP12ihipStream_tbEUljE_EEESV_SW_SX_S14_S18_S1A_T6_T7_T9_mT8_S1C_bDpT10_ENKUlT_T0_E_clISt17integral_constantIbLb1EES1P_EEDaS1K_S1L_EUlS1K_E_NS1_11comp_targetILNS1_3genE4ELNS1_11target_archE910ELNS1_3gpuE8ELNS1_3repE0EEENS1_30default_config_static_selectorELNS0_4arch9wavefront6targetE0EEEvSY_.kd
    .uniform_work_group_size: 1
    .uses_dynamic_stack: false
    .vgpr_count:     0
    .vgpr_spill_count: 0
    .wavefront_size: 32
    .workgroup_processor_mode: 1
  - .args:
      - .offset:         0
        .size:           152
        .value_kind:     by_value
    .group_segment_fixed_size: 0
    .kernarg_segment_align: 8
    .kernarg_segment_size: 152
    .language:       OpenCL C
    .language_version:
      - 2
      - 0
    .max_flat_workgroup_size: 256
    .name:           _ZN7rocprim17ROCPRIM_400000_NS6detail17trampoline_kernelINS0_13select_configILj256ELj13ELNS0_17block_load_methodE3ELS4_3ELS4_3ELNS0_20block_scan_algorithmE0ELj4294967295EEENS1_25partition_config_selectorILNS1_17partition_subalgoE3EjNS0_10empty_typeEbEEZZNS1_14partition_implILS8_3ELb0ES6_jNS0_17counting_iteratorIjlEEPS9_SE_NS0_5tupleIJPjSE_EEENSF_IJSE_SE_EEES9_SG_JZNS1_25segmented_radix_sort_implINS0_14default_configELb0EPKdPdPKlPlN2at6native12_GLOBAL__N_18offset_tEEE10hipError_tPvRmT1_PNSt15iterator_traitsISY_E10value_typeET2_T3_PNSZ_IS14_E10value_typeET4_jRbjT5_S1A_jjP12ihipStream_tbEUljE_EEESV_SW_SX_S14_S18_S1A_T6_T7_T9_mT8_S1C_bDpT10_ENKUlT_T0_E_clISt17integral_constantIbLb1EES1P_EEDaS1K_S1L_EUlS1K_E_NS1_11comp_targetILNS1_3genE3ELNS1_11target_archE908ELNS1_3gpuE7ELNS1_3repE0EEENS1_30default_config_static_selectorELNS0_4arch9wavefront6targetE0EEEvSY_
    .private_segment_fixed_size: 0
    .sgpr_count:     0
    .sgpr_spill_count: 0
    .symbol:         _ZN7rocprim17ROCPRIM_400000_NS6detail17trampoline_kernelINS0_13select_configILj256ELj13ELNS0_17block_load_methodE3ELS4_3ELS4_3ELNS0_20block_scan_algorithmE0ELj4294967295EEENS1_25partition_config_selectorILNS1_17partition_subalgoE3EjNS0_10empty_typeEbEEZZNS1_14partition_implILS8_3ELb0ES6_jNS0_17counting_iteratorIjlEEPS9_SE_NS0_5tupleIJPjSE_EEENSF_IJSE_SE_EEES9_SG_JZNS1_25segmented_radix_sort_implINS0_14default_configELb0EPKdPdPKlPlN2at6native12_GLOBAL__N_18offset_tEEE10hipError_tPvRmT1_PNSt15iterator_traitsISY_E10value_typeET2_T3_PNSZ_IS14_E10value_typeET4_jRbjT5_S1A_jjP12ihipStream_tbEUljE_EEESV_SW_SX_S14_S18_S1A_T6_T7_T9_mT8_S1C_bDpT10_ENKUlT_T0_E_clISt17integral_constantIbLb1EES1P_EEDaS1K_S1L_EUlS1K_E_NS1_11comp_targetILNS1_3genE3ELNS1_11target_archE908ELNS1_3gpuE7ELNS1_3repE0EEENS1_30default_config_static_selectorELNS0_4arch9wavefront6targetE0EEEvSY_.kd
    .uniform_work_group_size: 1
    .uses_dynamic_stack: false
    .vgpr_count:     0
    .vgpr_spill_count: 0
    .wavefront_size: 32
    .workgroup_processor_mode: 1
  - .args:
      - .offset:         0
        .size:           152
        .value_kind:     by_value
    .group_segment_fixed_size: 0
    .kernarg_segment_align: 8
    .kernarg_segment_size: 152
    .language:       OpenCL C
    .language_version:
      - 2
      - 0
    .max_flat_workgroup_size: 256
    .name:           _ZN7rocprim17ROCPRIM_400000_NS6detail17trampoline_kernelINS0_13select_configILj256ELj13ELNS0_17block_load_methodE3ELS4_3ELS4_3ELNS0_20block_scan_algorithmE0ELj4294967295EEENS1_25partition_config_selectorILNS1_17partition_subalgoE3EjNS0_10empty_typeEbEEZZNS1_14partition_implILS8_3ELb0ES6_jNS0_17counting_iteratorIjlEEPS9_SE_NS0_5tupleIJPjSE_EEENSF_IJSE_SE_EEES9_SG_JZNS1_25segmented_radix_sort_implINS0_14default_configELb0EPKdPdPKlPlN2at6native12_GLOBAL__N_18offset_tEEE10hipError_tPvRmT1_PNSt15iterator_traitsISY_E10value_typeET2_T3_PNSZ_IS14_E10value_typeET4_jRbjT5_S1A_jjP12ihipStream_tbEUljE_EEESV_SW_SX_S14_S18_S1A_T6_T7_T9_mT8_S1C_bDpT10_ENKUlT_T0_E_clISt17integral_constantIbLb1EES1P_EEDaS1K_S1L_EUlS1K_E_NS1_11comp_targetILNS1_3genE2ELNS1_11target_archE906ELNS1_3gpuE6ELNS1_3repE0EEENS1_30default_config_static_selectorELNS0_4arch9wavefront6targetE0EEEvSY_
    .private_segment_fixed_size: 0
    .sgpr_count:     0
    .sgpr_spill_count: 0
    .symbol:         _ZN7rocprim17ROCPRIM_400000_NS6detail17trampoline_kernelINS0_13select_configILj256ELj13ELNS0_17block_load_methodE3ELS4_3ELS4_3ELNS0_20block_scan_algorithmE0ELj4294967295EEENS1_25partition_config_selectorILNS1_17partition_subalgoE3EjNS0_10empty_typeEbEEZZNS1_14partition_implILS8_3ELb0ES6_jNS0_17counting_iteratorIjlEEPS9_SE_NS0_5tupleIJPjSE_EEENSF_IJSE_SE_EEES9_SG_JZNS1_25segmented_radix_sort_implINS0_14default_configELb0EPKdPdPKlPlN2at6native12_GLOBAL__N_18offset_tEEE10hipError_tPvRmT1_PNSt15iterator_traitsISY_E10value_typeET2_T3_PNSZ_IS14_E10value_typeET4_jRbjT5_S1A_jjP12ihipStream_tbEUljE_EEESV_SW_SX_S14_S18_S1A_T6_T7_T9_mT8_S1C_bDpT10_ENKUlT_T0_E_clISt17integral_constantIbLb1EES1P_EEDaS1K_S1L_EUlS1K_E_NS1_11comp_targetILNS1_3genE2ELNS1_11target_archE906ELNS1_3gpuE6ELNS1_3repE0EEENS1_30default_config_static_selectorELNS0_4arch9wavefront6targetE0EEEvSY_.kd
    .uniform_work_group_size: 1
    .uses_dynamic_stack: false
    .vgpr_count:     0
    .vgpr_spill_count: 0
    .wavefront_size: 32
    .workgroup_processor_mode: 1
  - .args:
      - .offset:         0
        .size:           152
        .value_kind:     by_value
    .group_segment_fixed_size: 0
    .kernarg_segment_align: 8
    .kernarg_segment_size: 152
    .language:       OpenCL C
    .language_version:
      - 2
      - 0
    .max_flat_workgroup_size: 256
    .name:           _ZN7rocprim17ROCPRIM_400000_NS6detail17trampoline_kernelINS0_13select_configILj256ELj13ELNS0_17block_load_methodE3ELS4_3ELS4_3ELNS0_20block_scan_algorithmE0ELj4294967295EEENS1_25partition_config_selectorILNS1_17partition_subalgoE3EjNS0_10empty_typeEbEEZZNS1_14partition_implILS8_3ELb0ES6_jNS0_17counting_iteratorIjlEEPS9_SE_NS0_5tupleIJPjSE_EEENSF_IJSE_SE_EEES9_SG_JZNS1_25segmented_radix_sort_implINS0_14default_configELb0EPKdPdPKlPlN2at6native12_GLOBAL__N_18offset_tEEE10hipError_tPvRmT1_PNSt15iterator_traitsISY_E10value_typeET2_T3_PNSZ_IS14_E10value_typeET4_jRbjT5_S1A_jjP12ihipStream_tbEUljE_EEESV_SW_SX_S14_S18_S1A_T6_T7_T9_mT8_S1C_bDpT10_ENKUlT_T0_E_clISt17integral_constantIbLb1EES1P_EEDaS1K_S1L_EUlS1K_E_NS1_11comp_targetILNS1_3genE10ELNS1_11target_archE1200ELNS1_3gpuE4ELNS1_3repE0EEENS1_30default_config_static_selectorELNS0_4arch9wavefront6targetE0EEEvSY_
    .private_segment_fixed_size: 0
    .sgpr_count:     0
    .sgpr_spill_count: 0
    .symbol:         _ZN7rocprim17ROCPRIM_400000_NS6detail17trampoline_kernelINS0_13select_configILj256ELj13ELNS0_17block_load_methodE3ELS4_3ELS4_3ELNS0_20block_scan_algorithmE0ELj4294967295EEENS1_25partition_config_selectorILNS1_17partition_subalgoE3EjNS0_10empty_typeEbEEZZNS1_14partition_implILS8_3ELb0ES6_jNS0_17counting_iteratorIjlEEPS9_SE_NS0_5tupleIJPjSE_EEENSF_IJSE_SE_EEES9_SG_JZNS1_25segmented_radix_sort_implINS0_14default_configELb0EPKdPdPKlPlN2at6native12_GLOBAL__N_18offset_tEEE10hipError_tPvRmT1_PNSt15iterator_traitsISY_E10value_typeET2_T3_PNSZ_IS14_E10value_typeET4_jRbjT5_S1A_jjP12ihipStream_tbEUljE_EEESV_SW_SX_S14_S18_S1A_T6_T7_T9_mT8_S1C_bDpT10_ENKUlT_T0_E_clISt17integral_constantIbLb1EES1P_EEDaS1K_S1L_EUlS1K_E_NS1_11comp_targetILNS1_3genE10ELNS1_11target_archE1200ELNS1_3gpuE4ELNS1_3repE0EEENS1_30default_config_static_selectorELNS0_4arch9wavefront6targetE0EEEvSY_.kd
    .uniform_work_group_size: 1
    .uses_dynamic_stack: false
    .vgpr_count:     0
    .vgpr_spill_count: 0
    .wavefront_size: 32
    .workgroup_processor_mode: 1
  - .args:
      - .offset:         0
        .size:           152
        .value_kind:     by_value
    .group_segment_fixed_size: 13324
    .kernarg_segment_align: 8
    .kernarg_segment_size: 152
    .language:       OpenCL C
    .language_version:
      - 2
      - 0
    .max_flat_workgroup_size: 256
    .name:           _ZN7rocprim17ROCPRIM_400000_NS6detail17trampoline_kernelINS0_13select_configILj256ELj13ELNS0_17block_load_methodE3ELS4_3ELS4_3ELNS0_20block_scan_algorithmE0ELj4294967295EEENS1_25partition_config_selectorILNS1_17partition_subalgoE3EjNS0_10empty_typeEbEEZZNS1_14partition_implILS8_3ELb0ES6_jNS0_17counting_iteratorIjlEEPS9_SE_NS0_5tupleIJPjSE_EEENSF_IJSE_SE_EEES9_SG_JZNS1_25segmented_radix_sort_implINS0_14default_configELb0EPKdPdPKlPlN2at6native12_GLOBAL__N_18offset_tEEE10hipError_tPvRmT1_PNSt15iterator_traitsISY_E10value_typeET2_T3_PNSZ_IS14_E10value_typeET4_jRbjT5_S1A_jjP12ihipStream_tbEUljE_EEESV_SW_SX_S14_S18_S1A_T6_T7_T9_mT8_S1C_bDpT10_ENKUlT_T0_E_clISt17integral_constantIbLb1EES1P_EEDaS1K_S1L_EUlS1K_E_NS1_11comp_targetILNS1_3genE9ELNS1_11target_archE1100ELNS1_3gpuE3ELNS1_3repE0EEENS1_30default_config_static_selectorELNS0_4arch9wavefront6targetE0EEEvSY_
    .private_segment_fixed_size: 0
    .sgpr_count:     28
    .sgpr_spill_count: 0
    .symbol:         _ZN7rocprim17ROCPRIM_400000_NS6detail17trampoline_kernelINS0_13select_configILj256ELj13ELNS0_17block_load_methodE3ELS4_3ELS4_3ELNS0_20block_scan_algorithmE0ELj4294967295EEENS1_25partition_config_selectorILNS1_17partition_subalgoE3EjNS0_10empty_typeEbEEZZNS1_14partition_implILS8_3ELb0ES6_jNS0_17counting_iteratorIjlEEPS9_SE_NS0_5tupleIJPjSE_EEENSF_IJSE_SE_EEES9_SG_JZNS1_25segmented_radix_sort_implINS0_14default_configELb0EPKdPdPKlPlN2at6native12_GLOBAL__N_18offset_tEEE10hipError_tPvRmT1_PNSt15iterator_traitsISY_E10value_typeET2_T3_PNSZ_IS14_E10value_typeET4_jRbjT5_S1A_jjP12ihipStream_tbEUljE_EEESV_SW_SX_S14_S18_S1A_T6_T7_T9_mT8_S1C_bDpT10_ENKUlT_T0_E_clISt17integral_constantIbLb1EES1P_EEDaS1K_S1L_EUlS1K_E_NS1_11comp_targetILNS1_3genE9ELNS1_11target_archE1100ELNS1_3gpuE3ELNS1_3repE0EEENS1_30default_config_static_selectorELNS0_4arch9wavefront6targetE0EEEvSY_.kd
    .uniform_work_group_size: 1
    .uses_dynamic_stack: false
    .vgpr_count:     60
    .vgpr_spill_count: 0
    .wavefront_size: 32
    .workgroup_processor_mode: 1
  - .args:
      - .offset:         0
        .size:           152
        .value_kind:     by_value
    .group_segment_fixed_size: 0
    .kernarg_segment_align: 8
    .kernarg_segment_size: 152
    .language:       OpenCL C
    .language_version:
      - 2
      - 0
    .max_flat_workgroup_size: 256
    .name:           _ZN7rocprim17ROCPRIM_400000_NS6detail17trampoline_kernelINS0_13select_configILj256ELj13ELNS0_17block_load_methodE3ELS4_3ELS4_3ELNS0_20block_scan_algorithmE0ELj4294967295EEENS1_25partition_config_selectorILNS1_17partition_subalgoE3EjNS0_10empty_typeEbEEZZNS1_14partition_implILS8_3ELb0ES6_jNS0_17counting_iteratorIjlEEPS9_SE_NS0_5tupleIJPjSE_EEENSF_IJSE_SE_EEES9_SG_JZNS1_25segmented_radix_sort_implINS0_14default_configELb0EPKdPdPKlPlN2at6native12_GLOBAL__N_18offset_tEEE10hipError_tPvRmT1_PNSt15iterator_traitsISY_E10value_typeET2_T3_PNSZ_IS14_E10value_typeET4_jRbjT5_S1A_jjP12ihipStream_tbEUljE_EEESV_SW_SX_S14_S18_S1A_T6_T7_T9_mT8_S1C_bDpT10_ENKUlT_T0_E_clISt17integral_constantIbLb1EES1P_EEDaS1K_S1L_EUlS1K_E_NS1_11comp_targetILNS1_3genE8ELNS1_11target_archE1030ELNS1_3gpuE2ELNS1_3repE0EEENS1_30default_config_static_selectorELNS0_4arch9wavefront6targetE0EEEvSY_
    .private_segment_fixed_size: 0
    .sgpr_count:     0
    .sgpr_spill_count: 0
    .symbol:         _ZN7rocprim17ROCPRIM_400000_NS6detail17trampoline_kernelINS0_13select_configILj256ELj13ELNS0_17block_load_methodE3ELS4_3ELS4_3ELNS0_20block_scan_algorithmE0ELj4294967295EEENS1_25partition_config_selectorILNS1_17partition_subalgoE3EjNS0_10empty_typeEbEEZZNS1_14partition_implILS8_3ELb0ES6_jNS0_17counting_iteratorIjlEEPS9_SE_NS0_5tupleIJPjSE_EEENSF_IJSE_SE_EEES9_SG_JZNS1_25segmented_radix_sort_implINS0_14default_configELb0EPKdPdPKlPlN2at6native12_GLOBAL__N_18offset_tEEE10hipError_tPvRmT1_PNSt15iterator_traitsISY_E10value_typeET2_T3_PNSZ_IS14_E10value_typeET4_jRbjT5_S1A_jjP12ihipStream_tbEUljE_EEESV_SW_SX_S14_S18_S1A_T6_T7_T9_mT8_S1C_bDpT10_ENKUlT_T0_E_clISt17integral_constantIbLb1EES1P_EEDaS1K_S1L_EUlS1K_E_NS1_11comp_targetILNS1_3genE8ELNS1_11target_archE1030ELNS1_3gpuE2ELNS1_3repE0EEENS1_30default_config_static_selectorELNS0_4arch9wavefront6targetE0EEEvSY_.kd
    .uniform_work_group_size: 1
    .uses_dynamic_stack: false
    .vgpr_count:     0
    .vgpr_spill_count: 0
    .wavefront_size: 32
    .workgroup_processor_mode: 1
  - .args:
      - .offset:         0
        .size:           144
        .value_kind:     by_value
    .group_segment_fixed_size: 0
    .kernarg_segment_align: 8
    .kernarg_segment_size: 144
    .language:       OpenCL C
    .language_version:
      - 2
      - 0
    .max_flat_workgroup_size: 256
    .name:           _ZN7rocprim17ROCPRIM_400000_NS6detail17trampoline_kernelINS0_13select_configILj256ELj13ELNS0_17block_load_methodE3ELS4_3ELS4_3ELNS0_20block_scan_algorithmE0ELj4294967295EEENS1_25partition_config_selectorILNS1_17partition_subalgoE3EjNS0_10empty_typeEbEEZZNS1_14partition_implILS8_3ELb0ES6_jNS0_17counting_iteratorIjlEEPS9_SE_NS0_5tupleIJPjSE_EEENSF_IJSE_SE_EEES9_SG_JZNS1_25segmented_radix_sort_implINS0_14default_configELb0EPKdPdPKlPlN2at6native12_GLOBAL__N_18offset_tEEE10hipError_tPvRmT1_PNSt15iterator_traitsISY_E10value_typeET2_T3_PNSZ_IS14_E10value_typeET4_jRbjT5_S1A_jjP12ihipStream_tbEUljE_EEESV_SW_SX_S14_S18_S1A_T6_T7_T9_mT8_S1C_bDpT10_ENKUlT_T0_E_clISt17integral_constantIbLb1EES1O_IbLb0EEEEDaS1K_S1L_EUlS1K_E_NS1_11comp_targetILNS1_3genE0ELNS1_11target_archE4294967295ELNS1_3gpuE0ELNS1_3repE0EEENS1_30default_config_static_selectorELNS0_4arch9wavefront6targetE0EEEvSY_
    .private_segment_fixed_size: 0
    .sgpr_count:     0
    .sgpr_spill_count: 0
    .symbol:         _ZN7rocprim17ROCPRIM_400000_NS6detail17trampoline_kernelINS0_13select_configILj256ELj13ELNS0_17block_load_methodE3ELS4_3ELS4_3ELNS0_20block_scan_algorithmE0ELj4294967295EEENS1_25partition_config_selectorILNS1_17partition_subalgoE3EjNS0_10empty_typeEbEEZZNS1_14partition_implILS8_3ELb0ES6_jNS0_17counting_iteratorIjlEEPS9_SE_NS0_5tupleIJPjSE_EEENSF_IJSE_SE_EEES9_SG_JZNS1_25segmented_radix_sort_implINS0_14default_configELb0EPKdPdPKlPlN2at6native12_GLOBAL__N_18offset_tEEE10hipError_tPvRmT1_PNSt15iterator_traitsISY_E10value_typeET2_T3_PNSZ_IS14_E10value_typeET4_jRbjT5_S1A_jjP12ihipStream_tbEUljE_EEESV_SW_SX_S14_S18_S1A_T6_T7_T9_mT8_S1C_bDpT10_ENKUlT_T0_E_clISt17integral_constantIbLb1EES1O_IbLb0EEEEDaS1K_S1L_EUlS1K_E_NS1_11comp_targetILNS1_3genE0ELNS1_11target_archE4294967295ELNS1_3gpuE0ELNS1_3repE0EEENS1_30default_config_static_selectorELNS0_4arch9wavefront6targetE0EEEvSY_.kd
    .uniform_work_group_size: 1
    .uses_dynamic_stack: false
    .vgpr_count:     0
    .vgpr_spill_count: 0
    .wavefront_size: 32
    .workgroup_processor_mode: 1
  - .args:
      - .offset:         0
        .size:           144
        .value_kind:     by_value
    .group_segment_fixed_size: 0
    .kernarg_segment_align: 8
    .kernarg_segment_size: 144
    .language:       OpenCL C
    .language_version:
      - 2
      - 0
    .max_flat_workgroup_size: 256
    .name:           _ZN7rocprim17ROCPRIM_400000_NS6detail17trampoline_kernelINS0_13select_configILj256ELj13ELNS0_17block_load_methodE3ELS4_3ELS4_3ELNS0_20block_scan_algorithmE0ELj4294967295EEENS1_25partition_config_selectorILNS1_17partition_subalgoE3EjNS0_10empty_typeEbEEZZNS1_14partition_implILS8_3ELb0ES6_jNS0_17counting_iteratorIjlEEPS9_SE_NS0_5tupleIJPjSE_EEENSF_IJSE_SE_EEES9_SG_JZNS1_25segmented_radix_sort_implINS0_14default_configELb0EPKdPdPKlPlN2at6native12_GLOBAL__N_18offset_tEEE10hipError_tPvRmT1_PNSt15iterator_traitsISY_E10value_typeET2_T3_PNSZ_IS14_E10value_typeET4_jRbjT5_S1A_jjP12ihipStream_tbEUljE_EEESV_SW_SX_S14_S18_S1A_T6_T7_T9_mT8_S1C_bDpT10_ENKUlT_T0_E_clISt17integral_constantIbLb1EES1O_IbLb0EEEEDaS1K_S1L_EUlS1K_E_NS1_11comp_targetILNS1_3genE5ELNS1_11target_archE942ELNS1_3gpuE9ELNS1_3repE0EEENS1_30default_config_static_selectorELNS0_4arch9wavefront6targetE0EEEvSY_
    .private_segment_fixed_size: 0
    .sgpr_count:     0
    .sgpr_spill_count: 0
    .symbol:         _ZN7rocprim17ROCPRIM_400000_NS6detail17trampoline_kernelINS0_13select_configILj256ELj13ELNS0_17block_load_methodE3ELS4_3ELS4_3ELNS0_20block_scan_algorithmE0ELj4294967295EEENS1_25partition_config_selectorILNS1_17partition_subalgoE3EjNS0_10empty_typeEbEEZZNS1_14partition_implILS8_3ELb0ES6_jNS0_17counting_iteratorIjlEEPS9_SE_NS0_5tupleIJPjSE_EEENSF_IJSE_SE_EEES9_SG_JZNS1_25segmented_radix_sort_implINS0_14default_configELb0EPKdPdPKlPlN2at6native12_GLOBAL__N_18offset_tEEE10hipError_tPvRmT1_PNSt15iterator_traitsISY_E10value_typeET2_T3_PNSZ_IS14_E10value_typeET4_jRbjT5_S1A_jjP12ihipStream_tbEUljE_EEESV_SW_SX_S14_S18_S1A_T6_T7_T9_mT8_S1C_bDpT10_ENKUlT_T0_E_clISt17integral_constantIbLb1EES1O_IbLb0EEEEDaS1K_S1L_EUlS1K_E_NS1_11comp_targetILNS1_3genE5ELNS1_11target_archE942ELNS1_3gpuE9ELNS1_3repE0EEENS1_30default_config_static_selectorELNS0_4arch9wavefront6targetE0EEEvSY_.kd
    .uniform_work_group_size: 1
    .uses_dynamic_stack: false
    .vgpr_count:     0
    .vgpr_spill_count: 0
    .wavefront_size: 32
    .workgroup_processor_mode: 1
  - .args:
      - .offset:         0
        .size:           144
        .value_kind:     by_value
    .group_segment_fixed_size: 0
    .kernarg_segment_align: 8
    .kernarg_segment_size: 144
    .language:       OpenCL C
    .language_version:
      - 2
      - 0
    .max_flat_workgroup_size: 256
    .name:           _ZN7rocprim17ROCPRIM_400000_NS6detail17trampoline_kernelINS0_13select_configILj256ELj13ELNS0_17block_load_methodE3ELS4_3ELS4_3ELNS0_20block_scan_algorithmE0ELj4294967295EEENS1_25partition_config_selectorILNS1_17partition_subalgoE3EjNS0_10empty_typeEbEEZZNS1_14partition_implILS8_3ELb0ES6_jNS0_17counting_iteratorIjlEEPS9_SE_NS0_5tupleIJPjSE_EEENSF_IJSE_SE_EEES9_SG_JZNS1_25segmented_radix_sort_implINS0_14default_configELb0EPKdPdPKlPlN2at6native12_GLOBAL__N_18offset_tEEE10hipError_tPvRmT1_PNSt15iterator_traitsISY_E10value_typeET2_T3_PNSZ_IS14_E10value_typeET4_jRbjT5_S1A_jjP12ihipStream_tbEUljE_EEESV_SW_SX_S14_S18_S1A_T6_T7_T9_mT8_S1C_bDpT10_ENKUlT_T0_E_clISt17integral_constantIbLb1EES1O_IbLb0EEEEDaS1K_S1L_EUlS1K_E_NS1_11comp_targetILNS1_3genE4ELNS1_11target_archE910ELNS1_3gpuE8ELNS1_3repE0EEENS1_30default_config_static_selectorELNS0_4arch9wavefront6targetE0EEEvSY_
    .private_segment_fixed_size: 0
    .sgpr_count:     0
    .sgpr_spill_count: 0
    .symbol:         _ZN7rocprim17ROCPRIM_400000_NS6detail17trampoline_kernelINS0_13select_configILj256ELj13ELNS0_17block_load_methodE3ELS4_3ELS4_3ELNS0_20block_scan_algorithmE0ELj4294967295EEENS1_25partition_config_selectorILNS1_17partition_subalgoE3EjNS0_10empty_typeEbEEZZNS1_14partition_implILS8_3ELb0ES6_jNS0_17counting_iteratorIjlEEPS9_SE_NS0_5tupleIJPjSE_EEENSF_IJSE_SE_EEES9_SG_JZNS1_25segmented_radix_sort_implINS0_14default_configELb0EPKdPdPKlPlN2at6native12_GLOBAL__N_18offset_tEEE10hipError_tPvRmT1_PNSt15iterator_traitsISY_E10value_typeET2_T3_PNSZ_IS14_E10value_typeET4_jRbjT5_S1A_jjP12ihipStream_tbEUljE_EEESV_SW_SX_S14_S18_S1A_T6_T7_T9_mT8_S1C_bDpT10_ENKUlT_T0_E_clISt17integral_constantIbLb1EES1O_IbLb0EEEEDaS1K_S1L_EUlS1K_E_NS1_11comp_targetILNS1_3genE4ELNS1_11target_archE910ELNS1_3gpuE8ELNS1_3repE0EEENS1_30default_config_static_selectorELNS0_4arch9wavefront6targetE0EEEvSY_.kd
    .uniform_work_group_size: 1
    .uses_dynamic_stack: false
    .vgpr_count:     0
    .vgpr_spill_count: 0
    .wavefront_size: 32
    .workgroup_processor_mode: 1
  - .args:
      - .offset:         0
        .size:           144
        .value_kind:     by_value
    .group_segment_fixed_size: 0
    .kernarg_segment_align: 8
    .kernarg_segment_size: 144
    .language:       OpenCL C
    .language_version:
      - 2
      - 0
    .max_flat_workgroup_size: 256
    .name:           _ZN7rocprim17ROCPRIM_400000_NS6detail17trampoline_kernelINS0_13select_configILj256ELj13ELNS0_17block_load_methodE3ELS4_3ELS4_3ELNS0_20block_scan_algorithmE0ELj4294967295EEENS1_25partition_config_selectorILNS1_17partition_subalgoE3EjNS0_10empty_typeEbEEZZNS1_14partition_implILS8_3ELb0ES6_jNS0_17counting_iteratorIjlEEPS9_SE_NS0_5tupleIJPjSE_EEENSF_IJSE_SE_EEES9_SG_JZNS1_25segmented_radix_sort_implINS0_14default_configELb0EPKdPdPKlPlN2at6native12_GLOBAL__N_18offset_tEEE10hipError_tPvRmT1_PNSt15iterator_traitsISY_E10value_typeET2_T3_PNSZ_IS14_E10value_typeET4_jRbjT5_S1A_jjP12ihipStream_tbEUljE_EEESV_SW_SX_S14_S18_S1A_T6_T7_T9_mT8_S1C_bDpT10_ENKUlT_T0_E_clISt17integral_constantIbLb1EES1O_IbLb0EEEEDaS1K_S1L_EUlS1K_E_NS1_11comp_targetILNS1_3genE3ELNS1_11target_archE908ELNS1_3gpuE7ELNS1_3repE0EEENS1_30default_config_static_selectorELNS0_4arch9wavefront6targetE0EEEvSY_
    .private_segment_fixed_size: 0
    .sgpr_count:     0
    .sgpr_spill_count: 0
    .symbol:         _ZN7rocprim17ROCPRIM_400000_NS6detail17trampoline_kernelINS0_13select_configILj256ELj13ELNS0_17block_load_methodE3ELS4_3ELS4_3ELNS0_20block_scan_algorithmE0ELj4294967295EEENS1_25partition_config_selectorILNS1_17partition_subalgoE3EjNS0_10empty_typeEbEEZZNS1_14partition_implILS8_3ELb0ES6_jNS0_17counting_iteratorIjlEEPS9_SE_NS0_5tupleIJPjSE_EEENSF_IJSE_SE_EEES9_SG_JZNS1_25segmented_radix_sort_implINS0_14default_configELb0EPKdPdPKlPlN2at6native12_GLOBAL__N_18offset_tEEE10hipError_tPvRmT1_PNSt15iterator_traitsISY_E10value_typeET2_T3_PNSZ_IS14_E10value_typeET4_jRbjT5_S1A_jjP12ihipStream_tbEUljE_EEESV_SW_SX_S14_S18_S1A_T6_T7_T9_mT8_S1C_bDpT10_ENKUlT_T0_E_clISt17integral_constantIbLb1EES1O_IbLb0EEEEDaS1K_S1L_EUlS1K_E_NS1_11comp_targetILNS1_3genE3ELNS1_11target_archE908ELNS1_3gpuE7ELNS1_3repE0EEENS1_30default_config_static_selectorELNS0_4arch9wavefront6targetE0EEEvSY_.kd
    .uniform_work_group_size: 1
    .uses_dynamic_stack: false
    .vgpr_count:     0
    .vgpr_spill_count: 0
    .wavefront_size: 32
    .workgroup_processor_mode: 1
  - .args:
      - .offset:         0
        .size:           144
        .value_kind:     by_value
    .group_segment_fixed_size: 0
    .kernarg_segment_align: 8
    .kernarg_segment_size: 144
    .language:       OpenCL C
    .language_version:
      - 2
      - 0
    .max_flat_workgroup_size: 256
    .name:           _ZN7rocprim17ROCPRIM_400000_NS6detail17trampoline_kernelINS0_13select_configILj256ELj13ELNS0_17block_load_methodE3ELS4_3ELS4_3ELNS0_20block_scan_algorithmE0ELj4294967295EEENS1_25partition_config_selectorILNS1_17partition_subalgoE3EjNS0_10empty_typeEbEEZZNS1_14partition_implILS8_3ELb0ES6_jNS0_17counting_iteratorIjlEEPS9_SE_NS0_5tupleIJPjSE_EEENSF_IJSE_SE_EEES9_SG_JZNS1_25segmented_radix_sort_implINS0_14default_configELb0EPKdPdPKlPlN2at6native12_GLOBAL__N_18offset_tEEE10hipError_tPvRmT1_PNSt15iterator_traitsISY_E10value_typeET2_T3_PNSZ_IS14_E10value_typeET4_jRbjT5_S1A_jjP12ihipStream_tbEUljE_EEESV_SW_SX_S14_S18_S1A_T6_T7_T9_mT8_S1C_bDpT10_ENKUlT_T0_E_clISt17integral_constantIbLb1EES1O_IbLb0EEEEDaS1K_S1L_EUlS1K_E_NS1_11comp_targetILNS1_3genE2ELNS1_11target_archE906ELNS1_3gpuE6ELNS1_3repE0EEENS1_30default_config_static_selectorELNS0_4arch9wavefront6targetE0EEEvSY_
    .private_segment_fixed_size: 0
    .sgpr_count:     0
    .sgpr_spill_count: 0
    .symbol:         _ZN7rocprim17ROCPRIM_400000_NS6detail17trampoline_kernelINS0_13select_configILj256ELj13ELNS0_17block_load_methodE3ELS4_3ELS4_3ELNS0_20block_scan_algorithmE0ELj4294967295EEENS1_25partition_config_selectorILNS1_17partition_subalgoE3EjNS0_10empty_typeEbEEZZNS1_14partition_implILS8_3ELb0ES6_jNS0_17counting_iteratorIjlEEPS9_SE_NS0_5tupleIJPjSE_EEENSF_IJSE_SE_EEES9_SG_JZNS1_25segmented_radix_sort_implINS0_14default_configELb0EPKdPdPKlPlN2at6native12_GLOBAL__N_18offset_tEEE10hipError_tPvRmT1_PNSt15iterator_traitsISY_E10value_typeET2_T3_PNSZ_IS14_E10value_typeET4_jRbjT5_S1A_jjP12ihipStream_tbEUljE_EEESV_SW_SX_S14_S18_S1A_T6_T7_T9_mT8_S1C_bDpT10_ENKUlT_T0_E_clISt17integral_constantIbLb1EES1O_IbLb0EEEEDaS1K_S1L_EUlS1K_E_NS1_11comp_targetILNS1_3genE2ELNS1_11target_archE906ELNS1_3gpuE6ELNS1_3repE0EEENS1_30default_config_static_selectorELNS0_4arch9wavefront6targetE0EEEvSY_.kd
    .uniform_work_group_size: 1
    .uses_dynamic_stack: false
    .vgpr_count:     0
    .vgpr_spill_count: 0
    .wavefront_size: 32
    .workgroup_processor_mode: 1
  - .args:
      - .offset:         0
        .size:           144
        .value_kind:     by_value
    .group_segment_fixed_size: 0
    .kernarg_segment_align: 8
    .kernarg_segment_size: 144
    .language:       OpenCL C
    .language_version:
      - 2
      - 0
    .max_flat_workgroup_size: 256
    .name:           _ZN7rocprim17ROCPRIM_400000_NS6detail17trampoline_kernelINS0_13select_configILj256ELj13ELNS0_17block_load_methodE3ELS4_3ELS4_3ELNS0_20block_scan_algorithmE0ELj4294967295EEENS1_25partition_config_selectorILNS1_17partition_subalgoE3EjNS0_10empty_typeEbEEZZNS1_14partition_implILS8_3ELb0ES6_jNS0_17counting_iteratorIjlEEPS9_SE_NS0_5tupleIJPjSE_EEENSF_IJSE_SE_EEES9_SG_JZNS1_25segmented_radix_sort_implINS0_14default_configELb0EPKdPdPKlPlN2at6native12_GLOBAL__N_18offset_tEEE10hipError_tPvRmT1_PNSt15iterator_traitsISY_E10value_typeET2_T3_PNSZ_IS14_E10value_typeET4_jRbjT5_S1A_jjP12ihipStream_tbEUljE_EEESV_SW_SX_S14_S18_S1A_T6_T7_T9_mT8_S1C_bDpT10_ENKUlT_T0_E_clISt17integral_constantIbLb1EES1O_IbLb0EEEEDaS1K_S1L_EUlS1K_E_NS1_11comp_targetILNS1_3genE10ELNS1_11target_archE1200ELNS1_3gpuE4ELNS1_3repE0EEENS1_30default_config_static_selectorELNS0_4arch9wavefront6targetE0EEEvSY_
    .private_segment_fixed_size: 0
    .sgpr_count:     0
    .sgpr_spill_count: 0
    .symbol:         _ZN7rocprim17ROCPRIM_400000_NS6detail17trampoline_kernelINS0_13select_configILj256ELj13ELNS0_17block_load_methodE3ELS4_3ELS4_3ELNS0_20block_scan_algorithmE0ELj4294967295EEENS1_25partition_config_selectorILNS1_17partition_subalgoE3EjNS0_10empty_typeEbEEZZNS1_14partition_implILS8_3ELb0ES6_jNS0_17counting_iteratorIjlEEPS9_SE_NS0_5tupleIJPjSE_EEENSF_IJSE_SE_EEES9_SG_JZNS1_25segmented_radix_sort_implINS0_14default_configELb0EPKdPdPKlPlN2at6native12_GLOBAL__N_18offset_tEEE10hipError_tPvRmT1_PNSt15iterator_traitsISY_E10value_typeET2_T3_PNSZ_IS14_E10value_typeET4_jRbjT5_S1A_jjP12ihipStream_tbEUljE_EEESV_SW_SX_S14_S18_S1A_T6_T7_T9_mT8_S1C_bDpT10_ENKUlT_T0_E_clISt17integral_constantIbLb1EES1O_IbLb0EEEEDaS1K_S1L_EUlS1K_E_NS1_11comp_targetILNS1_3genE10ELNS1_11target_archE1200ELNS1_3gpuE4ELNS1_3repE0EEENS1_30default_config_static_selectorELNS0_4arch9wavefront6targetE0EEEvSY_.kd
    .uniform_work_group_size: 1
    .uses_dynamic_stack: false
    .vgpr_count:     0
    .vgpr_spill_count: 0
    .wavefront_size: 32
    .workgroup_processor_mode: 1
  - .args:
      - .offset:         0
        .size:           144
        .value_kind:     by_value
    .group_segment_fixed_size: 13324
    .kernarg_segment_align: 8
    .kernarg_segment_size: 144
    .language:       OpenCL C
    .language_version:
      - 2
      - 0
    .max_flat_workgroup_size: 256
    .name:           _ZN7rocprim17ROCPRIM_400000_NS6detail17trampoline_kernelINS0_13select_configILj256ELj13ELNS0_17block_load_methodE3ELS4_3ELS4_3ELNS0_20block_scan_algorithmE0ELj4294967295EEENS1_25partition_config_selectorILNS1_17partition_subalgoE3EjNS0_10empty_typeEbEEZZNS1_14partition_implILS8_3ELb0ES6_jNS0_17counting_iteratorIjlEEPS9_SE_NS0_5tupleIJPjSE_EEENSF_IJSE_SE_EEES9_SG_JZNS1_25segmented_radix_sort_implINS0_14default_configELb0EPKdPdPKlPlN2at6native12_GLOBAL__N_18offset_tEEE10hipError_tPvRmT1_PNSt15iterator_traitsISY_E10value_typeET2_T3_PNSZ_IS14_E10value_typeET4_jRbjT5_S1A_jjP12ihipStream_tbEUljE_EEESV_SW_SX_S14_S18_S1A_T6_T7_T9_mT8_S1C_bDpT10_ENKUlT_T0_E_clISt17integral_constantIbLb1EES1O_IbLb0EEEEDaS1K_S1L_EUlS1K_E_NS1_11comp_targetILNS1_3genE9ELNS1_11target_archE1100ELNS1_3gpuE3ELNS1_3repE0EEENS1_30default_config_static_selectorELNS0_4arch9wavefront6targetE0EEEvSY_
    .private_segment_fixed_size: 0
    .sgpr_count:     30
    .sgpr_spill_count: 0
    .symbol:         _ZN7rocprim17ROCPRIM_400000_NS6detail17trampoline_kernelINS0_13select_configILj256ELj13ELNS0_17block_load_methodE3ELS4_3ELS4_3ELNS0_20block_scan_algorithmE0ELj4294967295EEENS1_25partition_config_selectorILNS1_17partition_subalgoE3EjNS0_10empty_typeEbEEZZNS1_14partition_implILS8_3ELb0ES6_jNS0_17counting_iteratorIjlEEPS9_SE_NS0_5tupleIJPjSE_EEENSF_IJSE_SE_EEES9_SG_JZNS1_25segmented_radix_sort_implINS0_14default_configELb0EPKdPdPKlPlN2at6native12_GLOBAL__N_18offset_tEEE10hipError_tPvRmT1_PNSt15iterator_traitsISY_E10value_typeET2_T3_PNSZ_IS14_E10value_typeET4_jRbjT5_S1A_jjP12ihipStream_tbEUljE_EEESV_SW_SX_S14_S18_S1A_T6_T7_T9_mT8_S1C_bDpT10_ENKUlT_T0_E_clISt17integral_constantIbLb1EES1O_IbLb0EEEEDaS1K_S1L_EUlS1K_E_NS1_11comp_targetILNS1_3genE9ELNS1_11target_archE1100ELNS1_3gpuE3ELNS1_3repE0EEENS1_30default_config_static_selectorELNS0_4arch9wavefront6targetE0EEEvSY_.kd
    .uniform_work_group_size: 1
    .uses_dynamic_stack: false
    .vgpr_count:     57
    .vgpr_spill_count: 0
    .wavefront_size: 32
    .workgroup_processor_mode: 1
  - .args:
      - .offset:         0
        .size:           144
        .value_kind:     by_value
    .group_segment_fixed_size: 0
    .kernarg_segment_align: 8
    .kernarg_segment_size: 144
    .language:       OpenCL C
    .language_version:
      - 2
      - 0
    .max_flat_workgroup_size: 256
    .name:           _ZN7rocprim17ROCPRIM_400000_NS6detail17trampoline_kernelINS0_13select_configILj256ELj13ELNS0_17block_load_methodE3ELS4_3ELS4_3ELNS0_20block_scan_algorithmE0ELj4294967295EEENS1_25partition_config_selectorILNS1_17partition_subalgoE3EjNS0_10empty_typeEbEEZZNS1_14partition_implILS8_3ELb0ES6_jNS0_17counting_iteratorIjlEEPS9_SE_NS0_5tupleIJPjSE_EEENSF_IJSE_SE_EEES9_SG_JZNS1_25segmented_radix_sort_implINS0_14default_configELb0EPKdPdPKlPlN2at6native12_GLOBAL__N_18offset_tEEE10hipError_tPvRmT1_PNSt15iterator_traitsISY_E10value_typeET2_T3_PNSZ_IS14_E10value_typeET4_jRbjT5_S1A_jjP12ihipStream_tbEUljE_EEESV_SW_SX_S14_S18_S1A_T6_T7_T9_mT8_S1C_bDpT10_ENKUlT_T0_E_clISt17integral_constantIbLb1EES1O_IbLb0EEEEDaS1K_S1L_EUlS1K_E_NS1_11comp_targetILNS1_3genE8ELNS1_11target_archE1030ELNS1_3gpuE2ELNS1_3repE0EEENS1_30default_config_static_selectorELNS0_4arch9wavefront6targetE0EEEvSY_
    .private_segment_fixed_size: 0
    .sgpr_count:     0
    .sgpr_spill_count: 0
    .symbol:         _ZN7rocprim17ROCPRIM_400000_NS6detail17trampoline_kernelINS0_13select_configILj256ELj13ELNS0_17block_load_methodE3ELS4_3ELS4_3ELNS0_20block_scan_algorithmE0ELj4294967295EEENS1_25partition_config_selectorILNS1_17partition_subalgoE3EjNS0_10empty_typeEbEEZZNS1_14partition_implILS8_3ELb0ES6_jNS0_17counting_iteratorIjlEEPS9_SE_NS0_5tupleIJPjSE_EEENSF_IJSE_SE_EEES9_SG_JZNS1_25segmented_radix_sort_implINS0_14default_configELb0EPKdPdPKlPlN2at6native12_GLOBAL__N_18offset_tEEE10hipError_tPvRmT1_PNSt15iterator_traitsISY_E10value_typeET2_T3_PNSZ_IS14_E10value_typeET4_jRbjT5_S1A_jjP12ihipStream_tbEUljE_EEESV_SW_SX_S14_S18_S1A_T6_T7_T9_mT8_S1C_bDpT10_ENKUlT_T0_E_clISt17integral_constantIbLb1EES1O_IbLb0EEEEDaS1K_S1L_EUlS1K_E_NS1_11comp_targetILNS1_3genE8ELNS1_11target_archE1030ELNS1_3gpuE2ELNS1_3repE0EEENS1_30default_config_static_selectorELNS0_4arch9wavefront6targetE0EEEvSY_.kd
    .uniform_work_group_size: 1
    .uses_dynamic_stack: false
    .vgpr_count:     0
    .vgpr_spill_count: 0
    .wavefront_size: 32
    .workgroup_processor_mode: 1
  - .args:
      - .offset:         0
        .size:           152
        .value_kind:     by_value
    .group_segment_fixed_size: 0
    .kernarg_segment_align: 8
    .kernarg_segment_size: 152
    .language:       OpenCL C
    .language_version:
      - 2
      - 0
    .max_flat_workgroup_size: 256
    .name:           _ZN7rocprim17ROCPRIM_400000_NS6detail17trampoline_kernelINS0_13select_configILj256ELj13ELNS0_17block_load_methodE3ELS4_3ELS4_3ELNS0_20block_scan_algorithmE0ELj4294967295EEENS1_25partition_config_selectorILNS1_17partition_subalgoE3EjNS0_10empty_typeEbEEZZNS1_14partition_implILS8_3ELb0ES6_jNS0_17counting_iteratorIjlEEPS9_SE_NS0_5tupleIJPjSE_EEENSF_IJSE_SE_EEES9_SG_JZNS1_25segmented_radix_sort_implINS0_14default_configELb0EPKdPdPKlPlN2at6native12_GLOBAL__N_18offset_tEEE10hipError_tPvRmT1_PNSt15iterator_traitsISY_E10value_typeET2_T3_PNSZ_IS14_E10value_typeET4_jRbjT5_S1A_jjP12ihipStream_tbEUljE_EEESV_SW_SX_S14_S18_S1A_T6_T7_T9_mT8_S1C_bDpT10_ENKUlT_T0_E_clISt17integral_constantIbLb0EES1O_IbLb1EEEEDaS1K_S1L_EUlS1K_E_NS1_11comp_targetILNS1_3genE0ELNS1_11target_archE4294967295ELNS1_3gpuE0ELNS1_3repE0EEENS1_30default_config_static_selectorELNS0_4arch9wavefront6targetE0EEEvSY_
    .private_segment_fixed_size: 0
    .sgpr_count:     0
    .sgpr_spill_count: 0
    .symbol:         _ZN7rocprim17ROCPRIM_400000_NS6detail17trampoline_kernelINS0_13select_configILj256ELj13ELNS0_17block_load_methodE3ELS4_3ELS4_3ELNS0_20block_scan_algorithmE0ELj4294967295EEENS1_25partition_config_selectorILNS1_17partition_subalgoE3EjNS0_10empty_typeEbEEZZNS1_14partition_implILS8_3ELb0ES6_jNS0_17counting_iteratorIjlEEPS9_SE_NS0_5tupleIJPjSE_EEENSF_IJSE_SE_EEES9_SG_JZNS1_25segmented_radix_sort_implINS0_14default_configELb0EPKdPdPKlPlN2at6native12_GLOBAL__N_18offset_tEEE10hipError_tPvRmT1_PNSt15iterator_traitsISY_E10value_typeET2_T3_PNSZ_IS14_E10value_typeET4_jRbjT5_S1A_jjP12ihipStream_tbEUljE_EEESV_SW_SX_S14_S18_S1A_T6_T7_T9_mT8_S1C_bDpT10_ENKUlT_T0_E_clISt17integral_constantIbLb0EES1O_IbLb1EEEEDaS1K_S1L_EUlS1K_E_NS1_11comp_targetILNS1_3genE0ELNS1_11target_archE4294967295ELNS1_3gpuE0ELNS1_3repE0EEENS1_30default_config_static_selectorELNS0_4arch9wavefront6targetE0EEEvSY_.kd
    .uniform_work_group_size: 1
    .uses_dynamic_stack: false
    .vgpr_count:     0
    .vgpr_spill_count: 0
    .wavefront_size: 32
    .workgroup_processor_mode: 1
  - .args:
      - .offset:         0
        .size:           152
        .value_kind:     by_value
    .group_segment_fixed_size: 0
    .kernarg_segment_align: 8
    .kernarg_segment_size: 152
    .language:       OpenCL C
    .language_version:
      - 2
      - 0
    .max_flat_workgroup_size: 256
    .name:           _ZN7rocprim17ROCPRIM_400000_NS6detail17trampoline_kernelINS0_13select_configILj256ELj13ELNS0_17block_load_methodE3ELS4_3ELS4_3ELNS0_20block_scan_algorithmE0ELj4294967295EEENS1_25partition_config_selectorILNS1_17partition_subalgoE3EjNS0_10empty_typeEbEEZZNS1_14partition_implILS8_3ELb0ES6_jNS0_17counting_iteratorIjlEEPS9_SE_NS0_5tupleIJPjSE_EEENSF_IJSE_SE_EEES9_SG_JZNS1_25segmented_radix_sort_implINS0_14default_configELb0EPKdPdPKlPlN2at6native12_GLOBAL__N_18offset_tEEE10hipError_tPvRmT1_PNSt15iterator_traitsISY_E10value_typeET2_T3_PNSZ_IS14_E10value_typeET4_jRbjT5_S1A_jjP12ihipStream_tbEUljE_EEESV_SW_SX_S14_S18_S1A_T6_T7_T9_mT8_S1C_bDpT10_ENKUlT_T0_E_clISt17integral_constantIbLb0EES1O_IbLb1EEEEDaS1K_S1L_EUlS1K_E_NS1_11comp_targetILNS1_3genE5ELNS1_11target_archE942ELNS1_3gpuE9ELNS1_3repE0EEENS1_30default_config_static_selectorELNS0_4arch9wavefront6targetE0EEEvSY_
    .private_segment_fixed_size: 0
    .sgpr_count:     0
    .sgpr_spill_count: 0
    .symbol:         _ZN7rocprim17ROCPRIM_400000_NS6detail17trampoline_kernelINS0_13select_configILj256ELj13ELNS0_17block_load_methodE3ELS4_3ELS4_3ELNS0_20block_scan_algorithmE0ELj4294967295EEENS1_25partition_config_selectorILNS1_17partition_subalgoE3EjNS0_10empty_typeEbEEZZNS1_14partition_implILS8_3ELb0ES6_jNS0_17counting_iteratorIjlEEPS9_SE_NS0_5tupleIJPjSE_EEENSF_IJSE_SE_EEES9_SG_JZNS1_25segmented_radix_sort_implINS0_14default_configELb0EPKdPdPKlPlN2at6native12_GLOBAL__N_18offset_tEEE10hipError_tPvRmT1_PNSt15iterator_traitsISY_E10value_typeET2_T3_PNSZ_IS14_E10value_typeET4_jRbjT5_S1A_jjP12ihipStream_tbEUljE_EEESV_SW_SX_S14_S18_S1A_T6_T7_T9_mT8_S1C_bDpT10_ENKUlT_T0_E_clISt17integral_constantIbLb0EES1O_IbLb1EEEEDaS1K_S1L_EUlS1K_E_NS1_11comp_targetILNS1_3genE5ELNS1_11target_archE942ELNS1_3gpuE9ELNS1_3repE0EEENS1_30default_config_static_selectorELNS0_4arch9wavefront6targetE0EEEvSY_.kd
    .uniform_work_group_size: 1
    .uses_dynamic_stack: false
    .vgpr_count:     0
    .vgpr_spill_count: 0
    .wavefront_size: 32
    .workgroup_processor_mode: 1
  - .args:
      - .offset:         0
        .size:           152
        .value_kind:     by_value
    .group_segment_fixed_size: 0
    .kernarg_segment_align: 8
    .kernarg_segment_size: 152
    .language:       OpenCL C
    .language_version:
      - 2
      - 0
    .max_flat_workgroup_size: 256
    .name:           _ZN7rocprim17ROCPRIM_400000_NS6detail17trampoline_kernelINS0_13select_configILj256ELj13ELNS0_17block_load_methodE3ELS4_3ELS4_3ELNS0_20block_scan_algorithmE0ELj4294967295EEENS1_25partition_config_selectorILNS1_17partition_subalgoE3EjNS0_10empty_typeEbEEZZNS1_14partition_implILS8_3ELb0ES6_jNS0_17counting_iteratorIjlEEPS9_SE_NS0_5tupleIJPjSE_EEENSF_IJSE_SE_EEES9_SG_JZNS1_25segmented_radix_sort_implINS0_14default_configELb0EPKdPdPKlPlN2at6native12_GLOBAL__N_18offset_tEEE10hipError_tPvRmT1_PNSt15iterator_traitsISY_E10value_typeET2_T3_PNSZ_IS14_E10value_typeET4_jRbjT5_S1A_jjP12ihipStream_tbEUljE_EEESV_SW_SX_S14_S18_S1A_T6_T7_T9_mT8_S1C_bDpT10_ENKUlT_T0_E_clISt17integral_constantIbLb0EES1O_IbLb1EEEEDaS1K_S1L_EUlS1K_E_NS1_11comp_targetILNS1_3genE4ELNS1_11target_archE910ELNS1_3gpuE8ELNS1_3repE0EEENS1_30default_config_static_selectorELNS0_4arch9wavefront6targetE0EEEvSY_
    .private_segment_fixed_size: 0
    .sgpr_count:     0
    .sgpr_spill_count: 0
    .symbol:         _ZN7rocprim17ROCPRIM_400000_NS6detail17trampoline_kernelINS0_13select_configILj256ELj13ELNS0_17block_load_methodE3ELS4_3ELS4_3ELNS0_20block_scan_algorithmE0ELj4294967295EEENS1_25partition_config_selectorILNS1_17partition_subalgoE3EjNS0_10empty_typeEbEEZZNS1_14partition_implILS8_3ELb0ES6_jNS0_17counting_iteratorIjlEEPS9_SE_NS0_5tupleIJPjSE_EEENSF_IJSE_SE_EEES9_SG_JZNS1_25segmented_radix_sort_implINS0_14default_configELb0EPKdPdPKlPlN2at6native12_GLOBAL__N_18offset_tEEE10hipError_tPvRmT1_PNSt15iterator_traitsISY_E10value_typeET2_T3_PNSZ_IS14_E10value_typeET4_jRbjT5_S1A_jjP12ihipStream_tbEUljE_EEESV_SW_SX_S14_S18_S1A_T6_T7_T9_mT8_S1C_bDpT10_ENKUlT_T0_E_clISt17integral_constantIbLb0EES1O_IbLb1EEEEDaS1K_S1L_EUlS1K_E_NS1_11comp_targetILNS1_3genE4ELNS1_11target_archE910ELNS1_3gpuE8ELNS1_3repE0EEENS1_30default_config_static_selectorELNS0_4arch9wavefront6targetE0EEEvSY_.kd
    .uniform_work_group_size: 1
    .uses_dynamic_stack: false
    .vgpr_count:     0
    .vgpr_spill_count: 0
    .wavefront_size: 32
    .workgroup_processor_mode: 1
  - .args:
      - .offset:         0
        .size:           152
        .value_kind:     by_value
    .group_segment_fixed_size: 0
    .kernarg_segment_align: 8
    .kernarg_segment_size: 152
    .language:       OpenCL C
    .language_version:
      - 2
      - 0
    .max_flat_workgroup_size: 256
    .name:           _ZN7rocprim17ROCPRIM_400000_NS6detail17trampoline_kernelINS0_13select_configILj256ELj13ELNS0_17block_load_methodE3ELS4_3ELS4_3ELNS0_20block_scan_algorithmE0ELj4294967295EEENS1_25partition_config_selectorILNS1_17partition_subalgoE3EjNS0_10empty_typeEbEEZZNS1_14partition_implILS8_3ELb0ES6_jNS0_17counting_iteratorIjlEEPS9_SE_NS0_5tupleIJPjSE_EEENSF_IJSE_SE_EEES9_SG_JZNS1_25segmented_radix_sort_implINS0_14default_configELb0EPKdPdPKlPlN2at6native12_GLOBAL__N_18offset_tEEE10hipError_tPvRmT1_PNSt15iterator_traitsISY_E10value_typeET2_T3_PNSZ_IS14_E10value_typeET4_jRbjT5_S1A_jjP12ihipStream_tbEUljE_EEESV_SW_SX_S14_S18_S1A_T6_T7_T9_mT8_S1C_bDpT10_ENKUlT_T0_E_clISt17integral_constantIbLb0EES1O_IbLb1EEEEDaS1K_S1L_EUlS1K_E_NS1_11comp_targetILNS1_3genE3ELNS1_11target_archE908ELNS1_3gpuE7ELNS1_3repE0EEENS1_30default_config_static_selectorELNS0_4arch9wavefront6targetE0EEEvSY_
    .private_segment_fixed_size: 0
    .sgpr_count:     0
    .sgpr_spill_count: 0
    .symbol:         _ZN7rocprim17ROCPRIM_400000_NS6detail17trampoline_kernelINS0_13select_configILj256ELj13ELNS0_17block_load_methodE3ELS4_3ELS4_3ELNS0_20block_scan_algorithmE0ELj4294967295EEENS1_25partition_config_selectorILNS1_17partition_subalgoE3EjNS0_10empty_typeEbEEZZNS1_14partition_implILS8_3ELb0ES6_jNS0_17counting_iteratorIjlEEPS9_SE_NS0_5tupleIJPjSE_EEENSF_IJSE_SE_EEES9_SG_JZNS1_25segmented_radix_sort_implINS0_14default_configELb0EPKdPdPKlPlN2at6native12_GLOBAL__N_18offset_tEEE10hipError_tPvRmT1_PNSt15iterator_traitsISY_E10value_typeET2_T3_PNSZ_IS14_E10value_typeET4_jRbjT5_S1A_jjP12ihipStream_tbEUljE_EEESV_SW_SX_S14_S18_S1A_T6_T7_T9_mT8_S1C_bDpT10_ENKUlT_T0_E_clISt17integral_constantIbLb0EES1O_IbLb1EEEEDaS1K_S1L_EUlS1K_E_NS1_11comp_targetILNS1_3genE3ELNS1_11target_archE908ELNS1_3gpuE7ELNS1_3repE0EEENS1_30default_config_static_selectorELNS0_4arch9wavefront6targetE0EEEvSY_.kd
    .uniform_work_group_size: 1
    .uses_dynamic_stack: false
    .vgpr_count:     0
    .vgpr_spill_count: 0
    .wavefront_size: 32
    .workgroup_processor_mode: 1
  - .args:
      - .offset:         0
        .size:           152
        .value_kind:     by_value
    .group_segment_fixed_size: 0
    .kernarg_segment_align: 8
    .kernarg_segment_size: 152
    .language:       OpenCL C
    .language_version:
      - 2
      - 0
    .max_flat_workgroup_size: 256
    .name:           _ZN7rocprim17ROCPRIM_400000_NS6detail17trampoline_kernelINS0_13select_configILj256ELj13ELNS0_17block_load_methodE3ELS4_3ELS4_3ELNS0_20block_scan_algorithmE0ELj4294967295EEENS1_25partition_config_selectorILNS1_17partition_subalgoE3EjNS0_10empty_typeEbEEZZNS1_14partition_implILS8_3ELb0ES6_jNS0_17counting_iteratorIjlEEPS9_SE_NS0_5tupleIJPjSE_EEENSF_IJSE_SE_EEES9_SG_JZNS1_25segmented_radix_sort_implINS0_14default_configELb0EPKdPdPKlPlN2at6native12_GLOBAL__N_18offset_tEEE10hipError_tPvRmT1_PNSt15iterator_traitsISY_E10value_typeET2_T3_PNSZ_IS14_E10value_typeET4_jRbjT5_S1A_jjP12ihipStream_tbEUljE_EEESV_SW_SX_S14_S18_S1A_T6_T7_T9_mT8_S1C_bDpT10_ENKUlT_T0_E_clISt17integral_constantIbLb0EES1O_IbLb1EEEEDaS1K_S1L_EUlS1K_E_NS1_11comp_targetILNS1_3genE2ELNS1_11target_archE906ELNS1_3gpuE6ELNS1_3repE0EEENS1_30default_config_static_selectorELNS0_4arch9wavefront6targetE0EEEvSY_
    .private_segment_fixed_size: 0
    .sgpr_count:     0
    .sgpr_spill_count: 0
    .symbol:         _ZN7rocprim17ROCPRIM_400000_NS6detail17trampoline_kernelINS0_13select_configILj256ELj13ELNS0_17block_load_methodE3ELS4_3ELS4_3ELNS0_20block_scan_algorithmE0ELj4294967295EEENS1_25partition_config_selectorILNS1_17partition_subalgoE3EjNS0_10empty_typeEbEEZZNS1_14partition_implILS8_3ELb0ES6_jNS0_17counting_iteratorIjlEEPS9_SE_NS0_5tupleIJPjSE_EEENSF_IJSE_SE_EEES9_SG_JZNS1_25segmented_radix_sort_implINS0_14default_configELb0EPKdPdPKlPlN2at6native12_GLOBAL__N_18offset_tEEE10hipError_tPvRmT1_PNSt15iterator_traitsISY_E10value_typeET2_T3_PNSZ_IS14_E10value_typeET4_jRbjT5_S1A_jjP12ihipStream_tbEUljE_EEESV_SW_SX_S14_S18_S1A_T6_T7_T9_mT8_S1C_bDpT10_ENKUlT_T0_E_clISt17integral_constantIbLb0EES1O_IbLb1EEEEDaS1K_S1L_EUlS1K_E_NS1_11comp_targetILNS1_3genE2ELNS1_11target_archE906ELNS1_3gpuE6ELNS1_3repE0EEENS1_30default_config_static_selectorELNS0_4arch9wavefront6targetE0EEEvSY_.kd
    .uniform_work_group_size: 1
    .uses_dynamic_stack: false
    .vgpr_count:     0
    .vgpr_spill_count: 0
    .wavefront_size: 32
    .workgroup_processor_mode: 1
  - .args:
      - .offset:         0
        .size:           152
        .value_kind:     by_value
    .group_segment_fixed_size: 0
    .kernarg_segment_align: 8
    .kernarg_segment_size: 152
    .language:       OpenCL C
    .language_version:
      - 2
      - 0
    .max_flat_workgroup_size: 256
    .name:           _ZN7rocprim17ROCPRIM_400000_NS6detail17trampoline_kernelINS0_13select_configILj256ELj13ELNS0_17block_load_methodE3ELS4_3ELS4_3ELNS0_20block_scan_algorithmE0ELj4294967295EEENS1_25partition_config_selectorILNS1_17partition_subalgoE3EjNS0_10empty_typeEbEEZZNS1_14partition_implILS8_3ELb0ES6_jNS0_17counting_iteratorIjlEEPS9_SE_NS0_5tupleIJPjSE_EEENSF_IJSE_SE_EEES9_SG_JZNS1_25segmented_radix_sort_implINS0_14default_configELb0EPKdPdPKlPlN2at6native12_GLOBAL__N_18offset_tEEE10hipError_tPvRmT1_PNSt15iterator_traitsISY_E10value_typeET2_T3_PNSZ_IS14_E10value_typeET4_jRbjT5_S1A_jjP12ihipStream_tbEUljE_EEESV_SW_SX_S14_S18_S1A_T6_T7_T9_mT8_S1C_bDpT10_ENKUlT_T0_E_clISt17integral_constantIbLb0EES1O_IbLb1EEEEDaS1K_S1L_EUlS1K_E_NS1_11comp_targetILNS1_3genE10ELNS1_11target_archE1200ELNS1_3gpuE4ELNS1_3repE0EEENS1_30default_config_static_selectorELNS0_4arch9wavefront6targetE0EEEvSY_
    .private_segment_fixed_size: 0
    .sgpr_count:     0
    .sgpr_spill_count: 0
    .symbol:         _ZN7rocprim17ROCPRIM_400000_NS6detail17trampoline_kernelINS0_13select_configILj256ELj13ELNS0_17block_load_methodE3ELS4_3ELS4_3ELNS0_20block_scan_algorithmE0ELj4294967295EEENS1_25partition_config_selectorILNS1_17partition_subalgoE3EjNS0_10empty_typeEbEEZZNS1_14partition_implILS8_3ELb0ES6_jNS0_17counting_iteratorIjlEEPS9_SE_NS0_5tupleIJPjSE_EEENSF_IJSE_SE_EEES9_SG_JZNS1_25segmented_radix_sort_implINS0_14default_configELb0EPKdPdPKlPlN2at6native12_GLOBAL__N_18offset_tEEE10hipError_tPvRmT1_PNSt15iterator_traitsISY_E10value_typeET2_T3_PNSZ_IS14_E10value_typeET4_jRbjT5_S1A_jjP12ihipStream_tbEUljE_EEESV_SW_SX_S14_S18_S1A_T6_T7_T9_mT8_S1C_bDpT10_ENKUlT_T0_E_clISt17integral_constantIbLb0EES1O_IbLb1EEEEDaS1K_S1L_EUlS1K_E_NS1_11comp_targetILNS1_3genE10ELNS1_11target_archE1200ELNS1_3gpuE4ELNS1_3repE0EEENS1_30default_config_static_selectorELNS0_4arch9wavefront6targetE0EEEvSY_.kd
    .uniform_work_group_size: 1
    .uses_dynamic_stack: false
    .vgpr_count:     0
    .vgpr_spill_count: 0
    .wavefront_size: 32
    .workgroup_processor_mode: 1
  - .args:
      - .offset:         0
        .size:           152
        .value_kind:     by_value
    .group_segment_fixed_size: 13324
    .kernarg_segment_align: 8
    .kernarg_segment_size: 152
    .language:       OpenCL C
    .language_version:
      - 2
      - 0
    .max_flat_workgroup_size: 256
    .name:           _ZN7rocprim17ROCPRIM_400000_NS6detail17trampoline_kernelINS0_13select_configILj256ELj13ELNS0_17block_load_methodE3ELS4_3ELS4_3ELNS0_20block_scan_algorithmE0ELj4294967295EEENS1_25partition_config_selectorILNS1_17partition_subalgoE3EjNS0_10empty_typeEbEEZZNS1_14partition_implILS8_3ELb0ES6_jNS0_17counting_iteratorIjlEEPS9_SE_NS0_5tupleIJPjSE_EEENSF_IJSE_SE_EEES9_SG_JZNS1_25segmented_radix_sort_implINS0_14default_configELb0EPKdPdPKlPlN2at6native12_GLOBAL__N_18offset_tEEE10hipError_tPvRmT1_PNSt15iterator_traitsISY_E10value_typeET2_T3_PNSZ_IS14_E10value_typeET4_jRbjT5_S1A_jjP12ihipStream_tbEUljE_EEESV_SW_SX_S14_S18_S1A_T6_T7_T9_mT8_S1C_bDpT10_ENKUlT_T0_E_clISt17integral_constantIbLb0EES1O_IbLb1EEEEDaS1K_S1L_EUlS1K_E_NS1_11comp_targetILNS1_3genE9ELNS1_11target_archE1100ELNS1_3gpuE3ELNS1_3repE0EEENS1_30default_config_static_selectorELNS0_4arch9wavefront6targetE0EEEvSY_
    .private_segment_fixed_size: 0
    .sgpr_count:     28
    .sgpr_spill_count: 0
    .symbol:         _ZN7rocprim17ROCPRIM_400000_NS6detail17trampoline_kernelINS0_13select_configILj256ELj13ELNS0_17block_load_methodE3ELS4_3ELS4_3ELNS0_20block_scan_algorithmE0ELj4294967295EEENS1_25partition_config_selectorILNS1_17partition_subalgoE3EjNS0_10empty_typeEbEEZZNS1_14partition_implILS8_3ELb0ES6_jNS0_17counting_iteratorIjlEEPS9_SE_NS0_5tupleIJPjSE_EEENSF_IJSE_SE_EEES9_SG_JZNS1_25segmented_radix_sort_implINS0_14default_configELb0EPKdPdPKlPlN2at6native12_GLOBAL__N_18offset_tEEE10hipError_tPvRmT1_PNSt15iterator_traitsISY_E10value_typeET2_T3_PNSZ_IS14_E10value_typeET4_jRbjT5_S1A_jjP12ihipStream_tbEUljE_EEESV_SW_SX_S14_S18_S1A_T6_T7_T9_mT8_S1C_bDpT10_ENKUlT_T0_E_clISt17integral_constantIbLb0EES1O_IbLb1EEEEDaS1K_S1L_EUlS1K_E_NS1_11comp_targetILNS1_3genE9ELNS1_11target_archE1100ELNS1_3gpuE3ELNS1_3repE0EEENS1_30default_config_static_selectorELNS0_4arch9wavefront6targetE0EEEvSY_.kd
    .uniform_work_group_size: 1
    .uses_dynamic_stack: false
    .vgpr_count:     60
    .vgpr_spill_count: 0
    .wavefront_size: 32
    .workgroup_processor_mode: 1
  - .args:
      - .offset:         0
        .size:           152
        .value_kind:     by_value
    .group_segment_fixed_size: 0
    .kernarg_segment_align: 8
    .kernarg_segment_size: 152
    .language:       OpenCL C
    .language_version:
      - 2
      - 0
    .max_flat_workgroup_size: 256
    .name:           _ZN7rocprim17ROCPRIM_400000_NS6detail17trampoline_kernelINS0_13select_configILj256ELj13ELNS0_17block_load_methodE3ELS4_3ELS4_3ELNS0_20block_scan_algorithmE0ELj4294967295EEENS1_25partition_config_selectorILNS1_17partition_subalgoE3EjNS0_10empty_typeEbEEZZNS1_14partition_implILS8_3ELb0ES6_jNS0_17counting_iteratorIjlEEPS9_SE_NS0_5tupleIJPjSE_EEENSF_IJSE_SE_EEES9_SG_JZNS1_25segmented_radix_sort_implINS0_14default_configELb0EPKdPdPKlPlN2at6native12_GLOBAL__N_18offset_tEEE10hipError_tPvRmT1_PNSt15iterator_traitsISY_E10value_typeET2_T3_PNSZ_IS14_E10value_typeET4_jRbjT5_S1A_jjP12ihipStream_tbEUljE_EEESV_SW_SX_S14_S18_S1A_T6_T7_T9_mT8_S1C_bDpT10_ENKUlT_T0_E_clISt17integral_constantIbLb0EES1O_IbLb1EEEEDaS1K_S1L_EUlS1K_E_NS1_11comp_targetILNS1_3genE8ELNS1_11target_archE1030ELNS1_3gpuE2ELNS1_3repE0EEENS1_30default_config_static_selectorELNS0_4arch9wavefront6targetE0EEEvSY_
    .private_segment_fixed_size: 0
    .sgpr_count:     0
    .sgpr_spill_count: 0
    .symbol:         _ZN7rocprim17ROCPRIM_400000_NS6detail17trampoline_kernelINS0_13select_configILj256ELj13ELNS0_17block_load_methodE3ELS4_3ELS4_3ELNS0_20block_scan_algorithmE0ELj4294967295EEENS1_25partition_config_selectorILNS1_17partition_subalgoE3EjNS0_10empty_typeEbEEZZNS1_14partition_implILS8_3ELb0ES6_jNS0_17counting_iteratorIjlEEPS9_SE_NS0_5tupleIJPjSE_EEENSF_IJSE_SE_EEES9_SG_JZNS1_25segmented_radix_sort_implINS0_14default_configELb0EPKdPdPKlPlN2at6native12_GLOBAL__N_18offset_tEEE10hipError_tPvRmT1_PNSt15iterator_traitsISY_E10value_typeET2_T3_PNSZ_IS14_E10value_typeET4_jRbjT5_S1A_jjP12ihipStream_tbEUljE_EEESV_SW_SX_S14_S18_S1A_T6_T7_T9_mT8_S1C_bDpT10_ENKUlT_T0_E_clISt17integral_constantIbLb0EES1O_IbLb1EEEEDaS1K_S1L_EUlS1K_E_NS1_11comp_targetILNS1_3genE8ELNS1_11target_archE1030ELNS1_3gpuE2ELNS1_3repE0EEENS1_30default_config_static_selectorELNS0_4arch9wavefront6targetE0EEEvSY_.kd
    .uniform_work_group_size: 1
    .uses_dynamic_stack: false
    .vgpr_count:     0
    .vgpr_spill_count: 0
    .wavefront_size: 32
    .workgroup_processor_mode: 1
  - .args:
      - .offset:         0
        .size:           96
        .value_kind:     by_value
    .group_segment_fixed_size: 0
    .kernarg_segment_align: 8
    .kernarg_segment_size: 96
    .language:       OpenCL C
    .language_version:
      - 2
      - 0
    .max_flat_workgroup_size: 256
    .name:           _ZN7rocprim17ROCPRIM_400000_NS6detail17trampoline_kernelINS0_14default_configENS1_36segmented_radix_sort_config_selectorIdlEEZNS1_25segmented_radix_sort_implIS3_Lb0EPKdPdPKlPlN2at6native12_GLOBAL__N_18offset_tEEE10hipError_tPvRmT1_PNSt15iterator_traitsISK_E10value_typeET2_T3_PNSL_ISQ_E10value_typeET4_jRbjT5_SW_jjP12ihipStream_tbEUlT_E_NS1_11comp_targetILNS1_3genE0ELNS1_11target_archE4294967295ELNS1_3gpuE0ELNS1_3repE0EEENS1_30default_config_static_selectorELNS0_4arch9wavefront6targetE0EEEvSK_
    .private_segment_fixed_size: 0
    .sgpr_count:     0
    .sgpr_spill_count: 0
    .symbol:         _ZN7rocprim17ROCPRIM_400000_NS6detail17trampoline_kernelINS0_14default_configENS1_36segmented_radix_sort_config_selectorIdlEEZNS1_25segmented_radix_sort_implIS3_Lb0EPKdPdPKlPlN2at6native12_GLOBAL__N_18offset_tEEE10hipError_tPvRmT1_PNSt15iterator_traitsISK_E10value_typeET2_T3_PNSL_ISQ_E10value_typeET4_jRbjT5_SW_jjP12ihipStream_tbEUlT_E_NS1_11comp_targetILNS1_3genE0ELNS1_11target_archE4294967295ELNS1_3gpuE0ELNS1_3repE0EEENS1_30default_config_static_selectorELNS0_4arch9wavefront6targetE0EEEvSK_.kd
    .uniform_work_group_size: 1
    .uses_dynamic_stack: false
    .vgpr_count:     0
    .vgpr_spill_count: 0
    .wavefront_size: 32
    .workgroup_processor_mode: 1
  - .args:
      - .offset:         0
        .size:           96
        .value_kind:     by_value
    .group_segment_fixed_size: 0
    .kernarg_segment_align: 8
    .kernarg_segment_size: 96
    .language:       OpenCL C
    .language_version:
      - 2
      - 0
    .max_flat_workgroup_size: 256
    .name:           _ZN7rocprim17ROCPRIM_400000_NS6detail17trampoline_kernelINS0_14default_configENS1_36segmented_radix_sort_config_selectorIdlEEZNS1_25segmented_radix_sort_implIS3_Lb0EPKdPdPKlPlN2at6native12_GLOBAL__N_18offset_tEEE10hipError_tPvRmT1_PNSt15iterator_traitsISK_E10value_typeET2_T3_PNSL_ISQ_E10value_typeET4_jRbjT5_SW_jjP12ihipStream_tbEUlT_E_NS1_11comp_targetILNS1_3genE5ELNS1_11target_archE942ELNS1_3gpuE9ELNS1_3repE0EEENS1_30default_config_static_selectorELNS0_4arch9wavefront6targetE0EEEvSK_
    .private_segment_fixed_size: 0
    .sgpr_count:     0
    .sgpr_spill_count: 0
    .symbol:         _ZN7rocprim17ROCPRIM_400000_NS6detail17trampoline_kernelINS0_14default_configENS1_36segmented_radix_sort_config_selectorIdlEEZNS1_25segmented_radix_sort_implIS3_Lb0EPKdPdPKlPlN2at6native12_GLOBAL__N_18offset_tEEE10hipError_tPvRmT1_PNSt15iterator_traitsISK_E10value_typeET2_T3_PNSL_ISQ_E10value_typeET4_jRbjT5_SW_jjP12ihipStream_tbEUlT_E_NS1_11comp_targetILNS1_3genE5ELNS1_11target_archE942ELNS1_3gpuE9ELNS1_3repE0EEENS1_30default_config_static_selectorELNS0_4arch9wavefront6targetE0EEEvSK_.kd
    .uniform_work_group_size: 1
    .uses_dynamic_stack: false
    .vgpr_count:     0
    .vgpr_spill_count: 0
    .wavefront_size: 32
    .workgroup_processor_mode: 1
  - .args:
      - .offset:         0
        .size:           96
        .value_kind:     by_value
    .group_segment_fixed_size: 0
    .kernarg_segment_align: 8
    .kernarg_segment_size: 96
    .language:       OpenCL C
    .language_version:
      - 2
      - 0
    .max_flat_workgroup_size: 256
    .name:           _ZN7rocprim17ROCPRIM_400000_NS6detail17trampoline_kernelINS0_14default_configENS1_36segmented_radix_sort_config_selectorIdlEEZNS1_25segmented_radix_sort_implIS3_Lb0EPKdPdPKlPlN2at6native12_GLOBAL__N_18offset_tEEE10hipError_tPvRmT1_PNSt15iterator_traitsISK_E10value_typeET2_T3_PNSL_ISQ_E10value_typeET4_jRbjT5_SW_jjP12ihipStream_tbEUlT_E_NS1_11comp_targetILNS1_3genE4ELNS1_11target_archE910ELNS1_3gpuE8ELNS1_3repE0EEENS1_30default_config_static_selectorELNS0_4arch9wavefront6targetE0EEEvSK_
    .private_segment_fixed_size: 0
    .sgpr_count:     0
    .sgpr_spill_count: 0
    .symbol:         _ZN7rocprim17ROCPRIM_400000_NS6detail17trampoline_kernelINS0_14default_configENS1_36segmented_radix_sort_config_selectorIdlEEZNS1_25segmented_radix_sort_implIS3_Lb0EPKdPdPKlPlN2at6native12_GLOBAL__N_18offset_tEEE10hipError_tPvRmT1_PNSt15iterator_traitsISK_E10value_typeET2_T3_PNSL_ISQ_E10value_typeET4_jRbjT5_SW_jjP12ihipStream_tbEUlT_E_NS1_11comp_targetILNS1_3genE4ELNS1_11target_archE910ELNS1_3gpuE8ELNS1_3repE0EEENS1_30default_config_static_selectorELNS0_4arch9wavefront6targetE0EEEvSK_.kd
    .uniform_work_group_size: 1
    .uses_dynamic_stack: false
    .vgpr_count:     0
    .vgpr_spill_count: 0
    .wavefront_size: 32
    .workgroup_processor_mode: 1
  - .args:
      - .offset:         0
        .size:           96
        .value_kind:     by_value
    .group_segment_fixed_size: 0
    .kernarg_segment_align: 8
    .kernarg_segment_size: 96
    .language:       OpenCL C
    .language_version:
      - 2
      - 0
    .max_flat_workgroup_size: 256
    .name:           _ZN7rocprim17ROCPRIM_400000_NS6detail17trampoline_kernelINS0_14default_configENS1_36segmented_radix_sort_config_selectorIdlEEZNS1_25segmented_radix_sort_implIS3_Lb0EPKdPdPKlPlN2at6native12_GLOBAL__N_18offset_tEEE10hipError_tPvRmT1_PNSt15iterator_traitsISK_E10value_typeET2_T3_PNSL_ISQ_E10value_typeET4_jRbjT5_SW_jjP12ihipStream_tbEUlT_E_NS1_11comp_targetILNS1_3genE3ELNS1_11target_archE908ELNS1_3gpuE7ELNS1_3repE0EEENS1_30default_config_static_selectorELNS0_4arch9wavefront6targetE0EEEvSK_
    .private_segment_fixed_size: 0
    .sgpr_count:     0
    .sgpr_spill_count: 0
    .symbol:         _ZN7rocprim17ROCPRIM_400000_NS6detail17trampoline_kernelINS0_14default_configENS1_36segmented_radix_sort_config_selectorIdlEEZNS1_25segmented_radix_sort_implIS3_Lb0EPKdPdPKlPlN2at6native12_GLOBAL__N_18offset_tEEE10hipError_tPvRmT1_PNSt15iterator_traitsISK_E10value_typeET2_T3_PNSL_ISQ_E10value_typeET4_jRbjT5_SW_jjP12ihipStream_tbEUlT_E_NS1_11comp_targetILNS1_3genE3ELNS1_11target_archE908ELNS1_3gpuE7ELNS1_3repE0EEENS1_30default_config_static_selectorELNS0_4arch9wavefront6targetE0EEEvSK_.kd
    .uniform_work_group_size: 1
    .uses_dynamic_stack: false
    .vgpr_count:     0
    .vgpr_spill_count: 0
    .wavefront_size: 32
    .workgroup_processor_mode: 1
  - .args:
      - .offset:         0
        .size:           96
        .value_kind:     by_value
    .group_segment_fixed_size: 0
    .kernarg_segment_align: 8
    .kernarg_segment_size: 96
    .language:       OpenCL C
    .language_version:
      - 2
      - 0
    .max_flat_workgroup_size: 256
    .name:           _ZN7rocprim17ROCPRIM_400000_NS6detail17trampoline_kernelINS0_14default_configENS1_36segmented_radix_sort_config_selectorIdlEEZNS1_25segmented_radix_sort_implIS3_Lb0EPKdPdPKlPlN2at6native12_GLOBAL__N_18offset_tEEE10hipError_tPvRmT1_PNSt15iterator_traitsISK_E10value_typeET2_T3_PNSL_ISQ_E10value_typeET4_jRbjT5_SW_jjP12ihipStream_tbEUlT_E_NS1_11comp_targetILNS1_3genE2ELNS1_11target_archE906ELNS1_3gpuE6ELNS1_3repE0EEENS1_30default_config_static_selectorELNS0_4arch9wavefront6targetE0EEEvSK_
    .private_segment_fixed_size: 0
    .sgpr_count:     0
    .sgpr_spill_count: 0
    .symbol:         _ZN7rocprim17ROCPRIM_400000_NS6detail17trampoline_kernelINS0_14default_configENS1_36segmented_radix_sort_config_selectorIdlEEZNS1_25segmented_radix_sort_implIS3_Lb0EPKdPdPKlPlN2at6native12_GLOBAL__N_18offset_tEEE10hipError_tPvRmT1_PNSt15iterator_traitsISK_E10value_typeET2_T3_PNSL_ISQ_E10value_typeET4_jRbjT5_SW_jjP12ihipStream_tbEUlT_E_NS1_11comp_targetILNS1_3genE2ELNS1_11target_archE906ELNS1_3gpuE6ELNS1_3repE0EEENS1_30default_config_static_selectorELNS0_4arch9wavefront6targetE0EEEvSK_.kd
    .uniform_work_group_size: 1
    .uses_dynamic_stack: false
    .vgpr_count:     0
    .vgpr_spill_count: 0
    .wavefront_size: 32
    .workgroup_processor_mode: 1
  - .args:
      - .offset:         0
        .size:           96
        .value_kind:     by_value
    .group_segment_fixed_size: 0
    .kernarg_segment_align: 8
    .kernarg_segment_size: 96
    .language:       OpenCL C
    .language_version:
      - 2
      - 0
    .max_flat_workgroup_size: 256
    .name:           _ZN7rocprim17ROCPRIM_400000_NS6detail17trampoline_kernelINS0_14default_configENS1_36segmented_radix_sort_config_selectorIdlEEZNS1_25segmented_radix_sort_implIS3_Lb0EPKdPdPKlPlN2at6native12_GLOBAL__N_18offset_tEEE10hipError_tPvRmT1_PNSt15iterator_traitsISK_E10value_typeET2_T3_PNSL_ISQ_E10value_typeET4_jRbjT5_SW_jjP12ihipStream_tbEUlT_E_NS1_11comp_targetILNS1_3genE10ELNS1_11target_archE1201ELNS1_3gpuE5ELNS1_3repE0EEENS1_30default_config_static_selectorELNS0_4arch9wavefront6targetE0EEEvSK_
    .private_segment_fixed_size: 0
    .sgpr_count:     0
    .sgpr_spill_count: 0
    .symbol:         _ZN7rocprim17ROCPRIM_400000_NS6detail17trampoline_kernelINS0_14default_configENS1_36segmented_radix_sort_config_selectorIdlEEZNS1_25segmented_radix_sort_implIS3_Lb0EPKdPdPKlPlN2at6native12_GLOBAL__N_18offset_tEEE10hipError_tPvRmT1_PNSt15iterator_traitsISK_E10value_typeET2_T3_PNSL_ISQ_E10value_typeET4_jRbjT5_SW_jjP12ihipStream_tbEUlT_E_NS1_11comp_targetILNS1_3genE10ELNS1_11target_archE1201ELNS1_3gpuE5ELNS1_3repE0EEENS1_30default_config_static_selectorELNS0_4arch9wavefront6targetE0EEEvSK_.kd
    .uniform_work_group_size: 1
    .uses_dynamic_stack: false
    .vgpr_count:     0
    .vgpr_spill_count: 0
    .wavefront_size: 32
    .workgroup_processor_mode: 1
  - .args:
      - .offset:         0
        .size:           96
        .value_kind:     by_value
    .group_segment_fixed_size: 0
    .kernarg_segment_align: 8
    .kernarg_segment_size: 96
    .language:       OpenCL C
    .language_version:
      - 2
      - 0
    .max_flat_workgroup_size: 128
    .name:           _ZN7rocprim17ROCPRIM_400000_NS6detail17trampoline_kernelINS0_14default_configENS1_36segmented_radix_sort_config_selectorIdlEEZNS1_25segmented_radix_sort_implIS3_Lb0EPKdPdPKlPlN2at6native12_GLOBAL__N_18offset_tEEE10hipError_tPvRmT1_PNSt15iterator_traitsISK_E10value_typeET2_T3_PNSL_ISQ_E10value_typeET4_jRbjT5_SW_jjP12ihipStream_tbEUlT_E_NS1_11comp_targetILNS1_3genE10ELNS1_11target_archE1200ELNS1_3gpuE4ELNS1_3repE0EEENS1_30default_config_static_selectorELNS0_4arch9wavefront6targetE0EEEvSK_
    .private_segment_fixed_size: 0
    .sgpr_count:     0
    .sgpr_spill_count: 0
    .symbol:         _ZN7rocprim17ROCPRIM_400000_NS6detail17trampoline_kernelINS0_14default_configENS1_36segmented_radix_sort_config_selectorIdlEEZNS1_25segmented_radix_sort_implIS3_Lb0EPKdPdPKlPlN2at6native12_GLOBAL__N_18offset_tEEE10hipError_tPvRmT1_PNSt15iterator_traitsISK_E10value_typeET2_T3_PNSL_ISQ_E10value_typeET4_jRbjT5_SW_jjP12ihipStream_tbEUlT_E_NS1_11comp_targetILNS1_3genE10ELNS1_11target_archE1200ELNS1_3gpuE4ELNS1_3repE0EEENS1_30default_config_static_selectorELNS0_4arch9wavefront6targetE0EEEvSK_.kd
    .uniform_work_group_size: 1
    .uses_dynamic_stack: false
    .vgpr_count:     0
    .vgpr_spill_count: 0
    .wavefront_size: 32
    .workgroup_processor_mode: 1
  - .args:
      - .offset:         0
        .size:           96
        .value_kind:     by_value
      - .offset:         96
        .size:           4
        .value_kind:     hidden_block_count_x
      - .offset:         100
        .size:           4
        .value_kind:     hidden_block_count_y
      - .offset:         104
        .size:           4
        .value_kind:     hidden_block_count_z
      - .offset:         108
        .size:           2
        .value_kind:     hidden_group_size_x
      - .offset:         110
        .size:           2
        .value_kind:     hidden_group_size_y
      - .offset:         112
        .size:           2
        .value_kind:     hidden_group_size_z
      - .offset:         114
        .size:           2
        .value_kind:     hidden_remainder_x
      - .offset:         116
        .size:           2
        .value_kind:     hidden_remainder_y
      - .offset:         118
        .size:           2
        .value_kind:     hidden_remainder_z
      - .offset:         136
        .size:           8
        .value_kind:     hidden_global_offset_x
      - .offset:         144
        .size:           8
        .value_kind:     hidden_global_offset_y
      - .offset:         152
        .size:           8
        .value_kind:     hidden_global_offset_z
      - .offset:         160
        .size:           2
        .value_kind:     hidden_grid_dims
    .group_segment_fixed_size: 33824
    .kernarg_segment_align: 8
    .kernarg_segment_size: 352
    .language:       OpenCL C
    .language_version:
      - 2
      - 0
    .max_flat_workgroup_size: 256
    .name:           _ZN7rocprim17ROCPRIM_400000_NS6detail17trampoline_kernelINS0_14default_configENS1_36segmented_radix_sort_config_selectorIdlEEZNS1_25segmented_radix_sort_implIS3_Lb0EPKdPdPKlPlN2at6native12_GLOBAL__N_18offset_tEEE10hipError_tPvRmT1_PNSt15iterator_traitsISK_E10value_typeET2_T3_PNSL_ISQ_E10value_typeET4_jRbjT5_SW_jjP12ihipStream_tbEUlT_E_NS1_11comp_targetILNS1_3genE9ELNS1_11target_archE1100ELNS1_3gpuE3ELNS1_3repE0EEENS1_30default_config_static_selectorELNS0_4arch9wavefront6targetE0EEEvSK_
    .private_segment_fixed_size: 200
    .sgpr_count:     68
    .sgpr_spill_count: 0
    .symbol:         _ZN7rocprim17ROCPRIM_400000_NS6detail17trampoline_kernelINS0_14default_configENS1_36segmented_radix_sort_config_selectorIdlEEZNS1_25segmented_radix_sort_implIS3_Lb0EPKdPdPKlPlN2at6native12_GLOBAL__N_18offset_tEEE10hipError_tPvRmT1_PNSt15iterator_traitsISK_E10value_typeET2_T3_PNSL_ISQ_E10value_typeET4_jRbjT5_SW_jjP12ihipStream_tbEUlT_E_NS1_11comp_targetILNS1_3genE9ELNS1_11target_archE1100ELNS1_3gpuE3ELNS1_3repE0EEENS1_30default_config_static_selectorELNS0_4arch9wavefront6targetE0EEEvSK_.kd
    .uniform_work_group_size: 1
    .uses_dynamic_stack: false
    .vgpr_count:     248
    .vgpr_spill_count: 0
    .wavefront_size: 32
    .workgroup_processor_mode: 1
  - .args:
      - .offset:         0
        .size:           96
        .value_kind:     by_value
    .group_segment_fixed_size: 0
    .kernarg_segment_align: 8
    .kernarg_segment_size: 96
    .language:       OpenCL C
    .language_version:
      - 2
      - 0
    .max_flat_workgroup_size: 256
    .name:           _ZN7rocprim17ROCPRIM_400000_NS6detail17trampoline_kernelINS0_14default_configENS1_36segmented_radix_sort_config_selectorIdlEEZNS1_25segmented_radix_sort_implIS3_Lb0EPKdPdPKlPlN2at6native12_GLOBAL__N_18offset_tEEE10hipError_tPvRmT1_PNSt15iterator_traitsISK_E10value_typeET2_T3_PNSL_ISQ_E10value_typeET4_jRbjT5_SW_jjP12ihipStream_tbEUlT_E_NS1_11comp_targetILNS1_3genE8ELNS1_11target_archE1030ELNS1_3gpuE2ELNS1_3repE0EEENS1_30default_config_static_selectorELNS0_4arch9wavefront6targetE0EEEvSK_
    .private_segment_fixed_size: 0
    .sgpr_count:     0
    .sgpr_spill_count: 0
    .symbol:         _ZN7rocprim17ROCPRIM_400000_NS6detail17trampoline_kernelINS0_14default_configENS1_36segmented_radix_sort_config_selectorIdlEEZNS1_25segmented_radix_sort_implIS3_Lb0EPKdPdPKlPlN2at6native12_GLOBAL__N_18offset_tEEE10hipError_tPvRmT1_PNSt15iterator_traitsISK_E10value_typeET2_T3_PNSL_ISQ_E10value_typeET4_jRbjT5_SW_jjP12ihipStream_tbEUlT_E_NS1_11comp_targetILNS1_3genE8ELNS1_11target_archE1030ELNS1_3gpuE2ELNS1_3repE0EEENS1_30default_config_static_selectorELNS0_4arch9wavefront6targetE0EEEvSK_.kd
    .uniform_work_group_size: 1
    .uses_dynamic_stack: false
    .vgpr_count:     0
    .vgpr_spill_count: 0
    .wavefront_size: 32
    .workgroup_processor_mode: 1
  - .args:
      - .offset:         0
        .size:           88
        .value_kind:     by_value
    .group_segment_fixed_size: 0
    .kernarg_segment_align: 8
    .kernarg_segment_size: 88
    .language:       OpenCL C
    .language_version:
      - 2
      - 0
    .max_flat_workgroup_size: 256
    .name:           _ZN7rocprim17ROCPRIM_400000_NS6detail17trampoline_kernelINS0_14default_configENS1_36segmented_radix_sort_config_selectorIdlEEZNS1_25segmented_radix_sort_implIS3_Lb0EPKdPdPKlPlN2at6native12_GLOBAL__N_18offset_tEEE10hipError_tPvRmT1_PNSt15iterator_traitsISK_E10value_typeET2_T3_PNSL_ISQ_E10value_typeET4_jRbjT5_SW_jjP12ihipStream_tbEUlT_E0_NS1_11comp_targetILNS1_3genE0ELNS1_11target_archE4294967295ELNS1_3gpuE0ELNS1_3repE0EEENS1_60segmented_radix_sort_warp_sort_medium_config_static_selectorELNS0_4arch9wavefront6targetE0EEEvSK_
    .private_segment_fixed_size: 0
    .sgpr_count:     0
    .sgpr_spill_count: 0
    .symbol:         _ZN7rocprim17ROCPRIM_400000_NS6detail17trampoline_kernelINS0_14default_configENS1_36segmented_radix_sort_config_selectorIdlEEZNS1_25segmented_radix_sort_implIS3_Lb0EPKdPdPKlPlN2at6native12_GLOBAL__N_18offset_tEEE10hipError_tPvRmT1_PNSt15iterator_traitsISK_E10value_typeET2_T3_PNSL_ISQ_E10value_typeET4_jRbjT5_SW_jjP12ihipStream_tbEUlT_E0_NS1_11comp_targetILNS1_3genE0ELNS1_11target_archE4294967295ELNS1_3gpuE0ELNS1_3repE0EEENS1_60segmented_radix_sort_warp_sort_medium_config_static_selectorELNS0_4arch9wavefront6targetE0EEEvSK_.kd
    .uniform_work_group_size: 1
    .uses_dynamic_stack: false
    .vgpr_count:     0
    .vgpr_spill_count: 0
    .wavefront_size: 32
    .workgroup_processor_mode: 1
  - .args:
      - .offset:         0
        .size:           88
        .value_kind:     by_value
    .group_segment_fixed_size: 0
    .kernarg_segment_align: 8
    .kernarg_segment_size: 88
    .language:       OpenCL C
    .language_version:
      - 2
      - 0
    .max_flat_workgroup_size: 256
    .name:           _ZN7rocprim17ROCPRIM_400000_NS6detail17trampoline_kernelINS0_14default_configENS1_36segmented_radix_sort_config_selectorIdlEEZNS1_25segmented_radix_sort_implIS3_Lb0EPKdPdPKlPlN2at6native12_GLOBAL__N_18offset_tEEE10hipError_tPvRmT1_PNSt15iterator_traitsISK_E10value_typeET2_T3_PNSL_ISQ_E10value_typeET4_jRbjT5_SW_jjP12ihipStream_tbEUlT_E0_NS1_11comp_targetILNS1_3genE5ELNS1_11target_archE942ELNS1_3gpuE9ELNS1_3repE0EEENS1_60segmented_radix_sort_warp_sort_medium_config_static_selectorELNS0_4arch9wavefront6targetE0EEEvSK_
    .private_segment_fixed_size: 0
    .sgpr_count:     0
    .sgpr_spill_count: 0
    .symbol:         _ZN7rocprim17ROCPRIM_400000_NS6detail17trampoline_kernelINS0_14default_configENS1_36segmented_radix_sort_config_selectorIdlEEZNS1_25segmented_radix_sort_implIS3_Lb0EPKdPdPKlPlN2at6native12_GLOBAL__N_18offset_tEEE10hipError_tPvRmT1_PNSt15iterator_traitsISK_E10value_typeET2_T3_PNSL_ISQ_E10value_typeET4_jRbjT5_SW_jjP12ihipStream_tbEUlT_E0_NS1_11comp_targetILNS1_3genE5ELNS1_11target_archE942ELNS1_3gpuE9ELNS1_3repE0EEENS1_60segmented_radix_sort_warp_sort_medium_config_static_selectorELNS0_4arch9wavefront6targetE0EEEvSK_.kd
    .uniform_work_group_size: 1
    .uses_dynamic_stack: false
    .vgpr_count:     0
    .vgpr_spill_count: 0
    .wavefront_size: 32
    .workgroup_processor_mode: 1
  - .args:
      - .offset:         0
        .size:           88
        .value_kind:     by_value
    .group_segment_fixed_size: 0
    .kernarg_segment_align: 8
    .kernarg_segment_size: 88
    .language:       OpenCL C
    .language_version:
      - 2
      - 0
    .max_flat_workgroup_size: 256
    .name:           _ZN7rocprim17ROCPRIM_400000_NS6detail17trampoline_kernelINS0_14default_configENS1_36segmented_radix_sort_config_selectorIdlEEZNS1_25segmented_radix_sort_implIS3_Lb0EPKdPdPKlPlN2at6native12_GLOBAL__N_18offset_tEEE10hipError_tPvRmT1_PNSt15iterator_traitsISK_E10value_typeET2_T3_PNSL_ISQ_E10value_typeET4_jRbjT5_SW_jjP12ihipStream_tbEUlT_E0_NS1_11comp_targetILNS1_3genE4ELNS1_11target_archE910ELNS1_3gpuE8ELNS1_3repE0EEENS1_60segmented_radix_sort_warp_sort_medium_config_static_selectorELNS0_4arch9wavefront6targetE0EEEvSK_
    .private_segment_fixed_size: 0
    .sgpr_count:     0
    .sgpr_spill_count: 0
    .symbol:         _ZN7rocprim17ROCPRIM_400000_NS6detail17trampoline_kernelINS0_14default_configENS1_36segmented_radix_sort_config_selectorIdlEEZNS1_25segmented_radix_sort_implIS3_Lb0EPKdPdPKlPlN2at6native12_GLOBAL__N_18offset_tEEE10hipError_tPvRmT1_PNSt15iterator_traitsISK_E10value_typeET2_T3_PNSL_ISQ_E10value_typeET4_jRbjT5_SW_jjP12ihipStream_tbEUlT_E0_NS1_11comp_targetILNS1_3genE4ELNS1_11target_archE910ELNS1_3gpuE8ELNS1_3repE0EEENS1_60segmented_radix_sort_warp_sort_medium_config_static_selectorELNS0_4arch9wavefront6targetE0EEEvSK_.kd
    .uniform_work_group_size: 1
    .uses_dynamic_stack: false
    .vgpr_count:     0
    .vgpr_spill_count: 0
    .wavefront_size: 32
    .workgroup_processor_mode: 1
  - .args:
      - .offset:         0
        .size:           88
        .value_kind:     by_value
    .group_segment_fixed_size: 0
    .kernarg_segment_align: 8
    .kernarg_segment_size: 88
    .language:       OpenCL C
    .language_version:
      - 2
      - 0
    .max_flat_workgroup_size: 256
    .name:           _ZN7rocprim17ROCPRIM_400000_NS6detail17trampoline_kernelINS0_14default_configENS1_36segmented_radix_sort_config_selectorIdlEEZNS1_25segmented_radix_sort_implIS3_Lb0EPKdPdPKlPlN2at6native12_GLOBAL__N_18offset_tEEE10hipError_tPvRmT1_PNSt15iterator_traitsISK_E10value_typeET2_T3_PNSL_ISQ_E10value_typeET4_jRbjT5_SW_jjP12ihipStream_tbEUlT_E0_NS1_11comp_targetILNS1_3genE3ELNS1_11target_archE908ELNS1_3gpuE7ELNS1_3repE0EEENS1_60segmented_radix_sort_warp_sort_medium_config_static_selectorELNS0_4arch9wavefront6targetE0EEEvSK_
    .private_segment_fixed_size: 0
    .sgpr_count:     0
    .sgpr_spill_count: 0
    .symbol:         _ZN7rocprim17ROCPRIM_400000_NS6detail17trampoline_kernelINS0_14default_configENS1_36segmented_radix_sort_config_selectorIdlEEZNS1_25segmented_radix_sort_implIS3_Lb0EPKdPdPKlPlN2at6native12_GLOBAL__N_18offset_tEEE10hipError_tPvRmT1_PNSt15iterator_traitsISK_E10value_typeET2_T3_PNSL_ISQ_E10value_typeET4_jRbjT5_SW_jjP12ihipStream_tbEUlT_E0_NS1_11comp_targetILNS1_3genE3ELNS1_11target_archE908ELNS1_3gpuE7ELNS1_3repE0EEENS1_60segmented_radix_sort_warp_sort_medium_config_static_selectorELNS0_4arch9wavefront6targetE0EEEvSK_.kd
    .uniform_work_group_size: 1
    .uses_dynamic_stack: false
    .vgpr_count:     0
    .vgpr_spill_count: 0
    .wavefront_size: 32
    .workgroup_processor_mode: 1
  - .args:
      - .offset:         0
        .size:           88
        .value_kind:     by_value
    .group_segment_fixed_size: 0
    .kernarg_segment_align: 8
    .kernarg_segment_size: 88
    .language:       OpenCL C
    .language_version:
      - 2
      - 0
    .max_flat_workgroup_size: 256
    .name:           _ZN7rocprim17ROCPRIM_400000_NS6detail17trampoline_kernelINS0_14default_configENS1_36segmented_radix_sort_config_selectorIdlEEZNS1_25segmented_radix_sort_implIS3_Lb0EPKdPdPKlPlN2at6native12_GLOBAL__N_18offset_tEEE10hipError_tPvRmT1_PNSt15iterator_traitsISK_E10value_typeET2_T3_PNSL_ISQ_E10value_typeET4_jRbjT5_SW_jjP12ihipStream_tbEUlT_E0_NS1_11comp_targetILNS1_3genE2ELNS1_11target_archE906ELNS1_3gpuE6ELNS1_3repE0EEENS1_60segmented_radix_sort_warp_sort_medium_config_static_selectorELNS0_4arch9wavefront6targetE0EEEvSK_
    .private_segment_fixed_size: 0
    .sgpr_count:     0
    .sgpr_spill_count: 0
    .symbol:         _ZN7rocprim17ROCPRIM_400000_NS6detail17trampoline_kernelINS0_14default_configENS1_36segmented_radix_sort_config_selectorIdlEEZNS1_25segmented_radix_sort_implIS3_Lb0EPKdPdPKlPlN2at6native12_GLOBAL__N_18offset_tEEE10hipError_tPvRmT1_PNSt15iterator_traitsISK_E10value_typeET2_T3_PNSL_ISQ_E10value_typeET4_jRbjT5_SW_jjP12ihipStream_tbEUlT_E0_NS1_11comp_targetILNS1_3genE2ELNS1_11target_archE906ELNS1_3gpuE6ELNS1_3repE0EEENS1_60segmented_radix_sort_warp_sort_medium_config_static_selectorELNS0_4arch9wavefront6targetE0EEEvSK_.kd
    .uniform_work_group_size: 1
    .uses_dynamic_stack: false
    .vgpr_count:     0
    .vgpr_spill_count: 0
    .wavefront_size: 32
    .workgroup_processor_mode: 1
  - .args:
      - .offset:         0
        .size:           88
        .value_kind:     by_value
    .group_segment_fixed_size: 0
    .kernarg_segment_align: 8
    .kernarg_segment_size: 88
    .language:       OpenCL C
    .language_version:
      - 2
      - 0
    .max_flat_workgroup_size: 256
    .name:           _ZN7rocprim17ROCPRIM_400000_NS6detail17trampoline_kernelINS0_14default_configENS1_36segmented_radix_sort_config_selectorIdlEEZNS1_25segmented_radix_sort_implIS3_Lb0EPKdPdPKlPlN2at6native12_GLOBAL__N_18offset_tEEE10hipError_tPvRmT1_PNSt15iterator_traitsISK_E10value_typeET2_T3_PNSL_ISQ_E10value_typeET4_jRbjT5_SW_jjP12ihipStream_tbEUlT_E0_NS1_11comp_targetILNS1_3genE10ELNS1_11target_archE1201ELNS1_3gpuE5ELNS1_3repE0EEENS1_60segmented_radix_sort_warp_sort_medium_config_static_selectorELNS0_4arch9wavefront6targetE0EEEvSK_
    .private_segment_fixed_size: 0
    .sgpr_count:     0
    .sgpr_spill_count: 0
    .symbol:         _ZN7rocprim17ROCPRIM_400000_NS6detail17trampoline_kernelINS0_14default_configENS1_36segmented_radix_sort_config_selectorIdlEEZNS1_25segmented_radix_sort_implIS3_Lb0EPKdPdPKlPlN2at6native12_GLOBAL__N_18offset_tEEE10hipError_tPvRmT1_PNSt15iterator_traitsISK_E10value_typeET2_T3_PNSL_ISQ_E10value_typeET4_jRbjT5_SW_jjP12ihipStream_tbEUlT_E0_NS1_11comp_targetILNS1_3genE10ELNS1_11target_archE1201ELNS1_3gpuE5ELNS1_3repE0EEENS1_60segmented_radix_sort_warp_sort_medium_config_static_selectorELNS0_4arch9wavefront6targetE0EEEvSK_.kd
    .uniform_work_group_size: 1
    .uses_dynamic_stack: false
    .vgpr_count:     0
    .vgpr_spill_count: 0
    .wavefront_size: 32
    .workgroup_processor_mode: 1
  - .args:
      - .offset:         0
        .size:           88
        .value_kind:     by_value
    .group_segment_fixed_size: 0
    .kernarg_segment_align: 8
    .kernarg_segment_size: 88
    .language:       OpenCL C
    .language_version:
      - 2
      - 0
    .max_flat_workgroup_size: 256
    .name:           _ZN7rocprim17ROCPRIM_400000_NS6detail17trampoline_kernelINS0_14default_configENS1_36segmented_radix_sort_config_selectorIdlEEZNS1_25segmented_radix_sort_implIS3_Lb0EPKdPdPKlPlN2at6native12_GLOBAL__N_18offset_tEEE10hipError_tPvRmT1_PNSt15iterator_traitsISK_E10value_typeET2_T3_PNSL_ISQ_E10value_typeET4_jRbjT5_SW_jjP12ihipStream_tbEUlT_E0_NS1_11comp_targetILNS1_3genE10ELNS1_11target_archE1200ELNS1_3gpuE4ELNS1_3repE0EEENS1_60segmented_radix_sort_warp_sort_medium_config_static_selectorELNS0_4arch9wavefront6targetE0EEEvSK_
    .private_segment_fixed_size: 0
    .sgpr_count:     0
    .sgpr_spill_count: 0
    .symbol:         _ZN7rocprim17ROCPRIM_400000_NS6detail17trampoline_kernelINS0_14default_configENS1_36segmented_radix_sort_config_selectorIdlEEZNS1_25segmented_radix_sort_implIS3_Lb0EPKdPdPKlPlN2at6native12_GLOBAL__N_18offset_tEEE10hipError_tPvRmT1_PNSt15iterator_traitsISK_E10value_typeET2_T3_PNSL_ISQ_E10value_typeET4_jRbjT5_SW_jjP12ihipStream_tbEUlT_E0_NS1_11comp_targetILNS1_3genE10ELNS1_11target_archE1200ELNS1_3gpuE4ELNS1_3repE0EEENS1_60segmented_radix_sort_warp_sort_medium_config_static_selectorELNS0_4arch9wavefront6targetE0EEEvSK_.kd
    .uniform_work_group_size: 1
    .uses_dynamic_stack: false
    .vgpr_count:     0
    .vgpr_spill_count: 0
    .wavefront_size: 32
    .workgroup_processor_mode: 1
  - .args:
      - .offset:         0
        .size:           88
        .value_kind:     by_value
      - .offset:         88
        .size:           4
        .value_kind:     hidden_block_count_x
      - .offset:         92
        .size:           4
        .value_kind:     hidden_block_count_y
      - .offset:         96
        .size:           4
        .value_kind:     hidden_block_count_z
      - .offset:         100
        .size:           2
        .value_kind:     hidden_group_size_x
      - .offset:         102
        .size:           2
        .value_kind:     hidden_group_size_y
      - .offset:         104
        .size:           2
        .value_kind:     hidden_group_size_z
      - .offset:         106
        .size:           2
        .value_kind:     hidden_remainder_x
      - .offset:         108
        .size:           2
        .value_kind:     hidden_remainder_y
      - .offset:         110
        .size:           2
        .value_kind:     hidden_remainder_z
      - .offset:         128
        .size:           8
        .value_kind:     hidden_global_offset_x
      - .offset:         136
        .size:           8
        .value_kind:     hidden_global_offset_y
      - .offset:         144
        .size:           8
        .value_kind:     hidden_global_offset_z
      - .offset:         152
        .size:           2
        .value_kind:     hidden_grid_dims
    .group_segment_fixed_size: 32768
    .kernarg_segment_align: 8
    .kernarg_segment_size: 344
    .language:       OpenCL C
    .language_version:
      - 2
      - 0
    .max_flat_workgroup_size: 256
    .name:           _ZN7rocprim17ROCPRIM_400000_NS6detail17trampoline_kernelINS0_14default_configENS1_36segmented_radix_sort_config_selectorIdlEEZNS1_25segmented_radix_sort_implIS3_Lb0EPKdPdPKlPlN2at6native12_GLOBAL__N_18offset_tEEE10hipError_tPvRmT1_PNSt15iterator_traitsISK_E10value_typeET2_T3_PNSL_ISQ_E10value_typeET4_jRbjT5_SW_jjP12ihipStream_tbEUlT_E0_NS1_11comp_targetILNS1_3genE9ELNS1_11target_archE1100ELNS1_3gpuE3ELNS1_3repE0EEENS1_60segmented_radix_sort_warp_sort_medium_config_static_selectorELNS0_4arch9wavefront6targetE0EEEvSK_
    .private_segment_fixed_size: 0
    .sgpr_count:     42
    .sgpr_spill_count: 0
    .symbol:         _ZN7rocprim17ROCPRIM_400000_NS6detail17trampoline_kernelINS0_14default_configENS1_36segmented_radix_sort_config_selectorIdlEEZNS1_25segmented_radix_sort_implIS3_Lb0EPKdPdPKlPlN2at6native12_GLOBAL__N_18offset_tEEE10hipError_tPvRmT1_PNSt15iterator_traitsISK_E10value_typeET2_T3_PNSL_ISQ_E10value_typeET4_jRbjT5_SW_jjP12ihipStream_tbEUlT_E0_NS1_11comp_targetILNS1_3genE9ELNS1_11target_archE1100ELNS1_3gpuE3ELNS1_3repE0EEENS1_60segmented_radix_sort_warp_sort_medium_config_static_selectorELNS0_4arch9wavefront6targetE0EEEvSK_.kd
    .uniform_work_group_size: 1
    .uses_dynamic_stack: false
    .vgpr_count:     101
    .vgpr_spill_count: 0
    .wavefront_size: 32
    .workgroup_processor_mode: 1
  - .args:
      - .offset:         0
        .size:           88
        .value_kind:     by_value
    .group_segment_fixed_size: 0
    .kernarg_segment_align: 8
    .kernarg_segment_size: 88
    .language:       OpenCL C
    .language_version:
      - 2
      - 0
    .max_flat_workgroup_size: 256
    .name:           _ZN7rocprim17ROCPRIM_400000_NS6detail17trampoline_kernelINS0_14default_configENS1_36segmented_radix_sort_config_selectorIdlEEZNS1_25segmented_radix_sort_implIS3_Lb0EPKdPdPKlPlN2at6native12_GLOBAL__N_18offset_tEEE10hipError_tPvRmT1_PNSt15iterator_traitsISK_E10value_typeET2_T3_PNSL_ISQ_E10value_typeET4_jRbjT5_SW_jjP12ihipStream_tbEUlT_E0_NS1_11comp_targetILNS1_3genE8ELNS1_11target_archE1030ELNS1_3gpuE2ELNS1_3repE0EEENS1_60segmented_radix_sort_warp_sort_medium_config_static_selectorELNS0_4arch9wavefront6targetE0EEEvSK_
    .private_segment_fixed_size: 0
    .sgpr_count:     0
    .sgpr_spill_count: 0
    .symbol:         _ZN7rocprim17ROCPRIM_400000_NS6detail17trampoline_kernelINS0_14default_configENS1_36segmented_radix_sort_config_selectorIdlEEZNS1_25segmented_radix_sort_implIS3_Lb0EPKdPdPKlPlN2at6native12_GLOBAL__N_18offset_tEEE10hipError_tPvRmT1_PNSt15iterator_traitsISK_E10value_typeET2_T3_PNSL_ISQ_E10value_typeET4_jRbjT5_SW_jjP12ihipStream_tbEUlT_E0_NS1_11comp_targetILNS1_3genE8ELNS1_11target_archE1030ELNS1_3gpuE2ELNS1_3repE0EEENS1_60segmented_radix_sort_warp_sort_medium_config_static_selectorELNS0_4arch9wavefront6targetE0EEEvSK_.kd
    .uniform_work_group_size: 1
    .uses_dynamic_stack: false
    .vgpr_count:     0
    .vgpr_spill_count: 0
    .wavefront_size: 32
    .workgroup_processor_mode: 1
  - .args:
      - .offset:         0
        .size:           88
        .value_kind:     by_value
    .group_segment_fixed_size: 0
    .kernarg_segment_align: 8
    .kernarg_segment_size: 88
    .language:       OpenCL C
    .language_version:
      - 2
      - 0
    .max_flat_workgroup_size: 256
    .name:           _ZN7rocprim17ROCPRIM_400000_NS6detail17trampoline_kernelINS0_14default_configENS1_36segmented_radix_sort_config_selectorIdlEEZNS1_25segmented_radix_sort_implIS3_Lb0EPKdPdPKlPlN2at6native12_GLOBAL__N_18offset_tEEE10hipError_tPvRmT1_PNSt15iterator_traitsISK_E10value_typeET2_T3_PNSL_ISQ_E10value_typeET4_jRbjT5_SW_jjP12ihipStream_tbEUlT_E1_NS1_11comp_targetILNS1_3genE0ELNS1_11target_archE4294967295ELNS1_3gpuE0ELNS1_3repE0EEENS1_59segmented_radix_sort_warp_sort_small_config_static_selectorELNS0_4arch9wavefront6targetE0EEEvSK_
    .private_segment_fixed_size: 0
    .sgpr_count:     0
    .sgpr_spill_count: 0
    .symbol:         _ZN7rocprim17ROCPRIM_400000_NS6detail17trampoline_kernelINS0_14default_configENS1_36segmented_radix_sort_config_selectorIdlEEZNS1_25segmented_radix_sort_implIS3_Lb0EPKdPdPKlPlN2at6native12_GLOBAL__N_18offset_tEEE10hipError_tPvRmT1_PNSt15iterator_traitsISK_E10value_typeET2_T3_PNSL_ISQ_E10value_typeET4_jRbjT5_SW_jjP12ihipStream_tbEUlT_E1_NS1_11comp_targetILNS1_3genE0ELNS1_11target_archE4294967295ELNS1_3gpuE0ELNS1_3repE0EEENS1_59segmented_radix_sort_warp_sort_small_config_static_selectorELNS0_4arch9wavefront6targetE0EEEvSK_.kd
    .uniform_work_group_size: 1
    .uses_dynamic_stack: false
    .vgpr_count:     0
    .vgpr_spill_count: 0
    .wavefront_size: 32
    .workgroup_processor_mode: 1
  - .args:
      - .offset:         0
        .size:           88
        .value_kind:     by_value
    .group_segment_fixed_size: 0
    .kernarg_segment_align: 8
    .kernarg_segment_size: 88
    .language:       OpenCL C
    .language_version:
      - 2
      - 0
    .max_flat_workgroup_size: 256
    .name:           _ZN7rocprim17ROCPRIM_400000_NS6detail17trampoline_kernelINS0_14default_configENS1_36segmented_radix_sort_config_selectorIdlEEZNS1_25segmented_radix_sort_implIS3_Lb0EPKdPdPKlPlN2at6native12_GLOBAL__N_18offset_tEEE10hipError_tPvRmT1_PNSt15iterator_traitsISK_E10value_typeET2_T3_PNSL_ISQ_E10value_typeET4_jRbjT5_SW_jjP12ihipStream_tbEUlT_E1_NS1_11comp_targetILNS1_3genE5ELNS1_11target_archE942ELNS1_3gpuE9ELNS1_3repE0EEENS1_59segmented_radix_sort_warp_sort_small_config_static_selectorELNS0_4arch9wavefront6targetE0EEEvSK_
    .private_segment_fixed_size: 0
    .sgpr_count:     0
    .sgpr_spill_count: 0
    .symbol:         _ZN7rocprim17ROCPRIM_400000_NS6detail17trampoline_kernelINS0_14default_configENS1_36segmented_radix_sort_config_selectorIdlEEZNS1_25segmented_radix_sort_implIS3_Lb0EPKdPdPKlPlN2at6native12_GLOBAL__N_18offset_tEEE10hipError_tPvRmT1_PNSt15iterator_traitsISK_E10value_typeET2_T3_PNSL_ISQ_E10value_typeET4_jRbjT5_SW_jjP12ihipStream_tbEUlT_E1_NS1_11comp_targetILNS1_3genE5ELNS1_11target_archE942ELNS1_3gpuE9ELNS1_3repE0EEENS1_59segmented_radix_sort_warp_sort_small_config_static_selectorELNS0_4arch9wavefront6targetE0EEEvSK_.kd
    .uniform_work_group_size: 1
    .uses_dynamic_stack: false
    .vgpr_count:     0
    .vgpr_spill_count: 0
    .wavefront_size: 32
    .workgroup_processor_mode: 1
  - .args:
      - .offset:         0
        .size:           88
        .value_kind:     by_value
    .group_segment_fixed_size: 0
    .kernarg_segment_align: 8
    .kernarg_segment_size: 88
    .language:       OpenCL C
    .language_version:
      - 2
      - 0
    .max_flat_workgroup_size: 256
    .name:           _ZN7rocprim17ROCPRIM_400000_NS6detail17trampoline_kernelINS0_14default_configENS1_36segmented_radix_sort_config_selectorIdlEEZNS1_25segmented_radix_sort_implIS3_Lb0EPKdPdPKlPlN2at6native12_GLOBAL__N_18offset_tEEE10hipError_tPvRmT1_PNSt15iterator_traitsISK_E10value_typeET2_T3_PNSL_ISQ_E10value_typeET4_jRbjT5_SW_jjP12ihipStream_tbEUlT_E1_NS1_11comp_targetILNS1_3genE4ELNS1_11target_archE910ELNS1_3gpuE8ELNS1_3repE0EEENS1_59segmented_radix_sort_warp_sort_small_config_static_selectorELNS0_4arch9wavefront6targetE0EEEvSK_
    .private_segment_fixed_size: 0
    .sgpr_count:     0
    .sgpr_spill_count: 0
    .symbol:         _ZN7rocprim17ROCPRIM_400000_NS6detail17trampoline_kernelINS0_14default_configENS1_36segmented_radix_sort_config_selectorIdlEEZNS1_25segmented_radix_sort_implIS3_Lb0EPKdPdPKlPlN2at6native12_GLOBAL__N_18offset_tEEE10hipError_tPvRmT1_PNSt15iterator_traitsISK_E10value_typeET2_T3_PNSL_ISQ_E10value_typeET4_jRbjT5_SW_jjP12ihipStream_tbEUlT_E1_NS1_11comp_targetILNS1_3genE4ELNS1_11target_archE910ELNS1_3gpuE8ELNS1_3repE0EEENS1_59segmented_radix_sort_warp_sort_small_config_static_selectorELNS0_4arch9wavefront6targetE0EEEvSK_.kd
    .uniform_work_group_size: 1
    .uses_dynamic_stack: false
    .vgpr_count:     0
    .vgpr_spill_count: 0
    .wavefront_size: 32
    .workgroup_processor_mode: 1
  - .args:
      - .offset:         0
        .size:           88
        .value_kind:     by_value
    .group_segment_fixed_size: 0
    .kernarg_segment_align: 8
    .kernarg_segment_size: 88
    .language:       OpenCL C
    .language_version:
      - 2
      - 0
    .max_flat_workgroup_size: 256
    .name:           _ZN7rocprim17ROCPRIM_400000_NS6detail17trampoline_kernelINS0_14default_configENS1_36segmented_radix_sort_config_selectorIdlEEZNS1_25segmented_radix_sort_implIS3_Lb0EPKdPdPKlPlN2at6native12_GLOBAL__N_18offset_tEEE10hipError_tPvRmT1_PNSt15iterator_traitsISK_E10value_typeET2_T3_PNSL_ISQ_E10value_typeET4_jRbjT5_SW_jjP12ihipStream_tbEUlT_E1_NS1_11comp_targetILNS1_3genE3ELNS1_11target_archE908ELNS1_3gpuE7ELNS1_3repE0EEENS1_59segmented_radix_sort_warp_sort_small_config_static_selectorELNS0_4arch9wavefront6targetE0EEEvSK_
    .private_segment_fixed_size: 0
    .sgpr_count:     0
    .sgpr_spill_count: 0
    .symbol:         _ZN7rocprim17ROCPRIM_400000_NS6detail17trampoline_kernelINS0_14default_configENS1_36segmented_radix_sort_config_selectorIdlEEZNS1_25segmented_radix_sort_implIS3_Lb0EPKdPdPKlPlN2at6native12_GLOBAL__N_18offset_tEEE10hipError_tPvRmT1_PNSt15iterator_traitsISK_E10value_typeET2_T3_PNSL_ISQ_E10value_typeET4_jRbjT5_SW_jjP12ihipStream_tbEUlT_E1_NS1_11comp_targetILNS1_3genE3ELNS1_11target_archE908ELNS1_3gpuE7ELNS1_3repE0EEENS1_59segmented_radix_sort_warp_sort_small_config_static_selectorELNS0_4arch9wavefront6targetE0EEEvSK_.kd
    .uniform_work_group_size: 1
    .uses_dynamic_stack: false
    .vgpr_count:     0
    .vgpr_spill_count: 0
    .wavefront_size: 32
    .workgroup_processor_mode: 1
  - .args:
      - .offset:         0
        .size:           88
        .value_kind:     by_value
    .group_segment_fixed_size: 0
    .kernarg_segment_align: 8
    .kernarg_segment_size: 88
    .language:       OpenCL C
    .language_version:
      - 2
      - 0
    .max_flat_workgroup_size: 256
    .name:           _ZN7rocprim17ROCPRIM_400000_NS6detail17trampoline_kernelINS0_14default_configENS1_36segmented_radix_sort_config_selectorIdlEEZNS1_25segmented_radix_sort_implIS3_Lb0EPKdPdPKlPlN2at6native12_GLOBAL__N_18offset_tEEE10hipError_tPvRmT1_PNSt15iterator_traitsISK_E10value_typeET2_T3_PNSL_ISQ_E10value_typeET4_jRbjT5_SW_jjP12ihipStream_tbEUlT_E1_NS1_11comp_targetILNS1_3genE2ELNS1_11target_archE906ELNS1_3gpuE6ELNS1_3repE0EEENS1_59segmented_radix_sort_warp_sort_small_config_static_selectorELNS0_4arch9wavefront6targetE0EEEvSK_
    .private_segment_fixed_size: 0
    .sgpr_count:     0
    .sgpr_spill_count: 0
    .symbol:         _ZN7rocprim17ROCPRIM_400000_NS6detail17trampoline_kernelINS0_14default_configENS1_36segmented_radix_sort_config_selectorIdlEEZNS1_25segmented_radix_sort_implIS3_Lb0EPKdPdPKlPlN2at6native12_GLOBAL__N_18offset_tEEE10hipError_tPvRmT1_PNSt15iterator_traitsISK_E10value_typeET2_T3_PNSL_ISQ_E10value_typeET4_jRbjT5_SW_jjP12ihipStream_tbEUlT_E1_NS1_11comp_targetILNS1_3genE2ELNS1_11target_archE906ELNS1_3gpuE6ELNS1_3repE0EEENS1_59segmented_radix_sort_warp_sort_small_config_static_selectorELNS0_4arch9wavefront6targetE0EEEvSK_.kd
    .uniform_work_group_size: 1
    .uses_dynamic_stack: false
    .vgpr_count:     0
    .vgpr_spill_count: 0
    .wavefront_size: 32
    .workgroup_processor_mode: 1
  - .args:
      - .offset:         0
        .size:           88
        .value_kind:     by_value
    .group_segment_fixed_size: 0
    .kernarg_segment_align: 8
    .kernarg_segment_size: 88
    .language:       OpenCL C
    .language_version:
      - 2
      - 0
    .max_flat_workgroup_size: 256
    .name:           _ZN7rocprim17ROCPRIM_400000_NS6detail17trampoline_kernelINS0_14default_configENS1_36segmented_radix_sort_config_selectorIdlEEZNS1_25segmented_radix_sort_implIS3_Lb0EPKdPdPKlPlN2at6native12_GLOBAL__N_18offset_tEEE10hipError_tPvRmT1_PNSt15iterator_traitsISK_E10value_typeET2_T3_PNSL_ISQ_E10value_typeET4_jRbjT5_SW_jjP12ihipStream_tbEUlT_E1_NS1_11comp_targetILNS1_3genE10ELNS1_11target_archE1201ELNS1_3gpuE5ELNS1_3repE0EEENS1_59segmented_radix_sort_warp_sort_small_config_static_selectorELNS0_4arch9wavefront6targetE0EEEvSK_
    .private_segment_fixed_size: 0
    .sgpr_count:     0
    .sgpr_spill_count: 0
    .symbol:         _ZN7rocprim17ROCPRIM_400000_NS6detail17trampoline_kernelINS0_14default_configENS1_36segmented_radix_sort_config_selectorIdlEEZNS1_25segmented_radix_sort_implIS3_Lb0EPKdPdPKlPlN2at6native12_GLOBAL__N_18offset_tEEE10hipError_tPvRmT1_PNSt15iterator_traitsISK_E10value_typeET2_T3_PNSL_ISQ_E10value_typeET4_jRbjT5_SW_jjP12ihipStream_tbEUlT_E1_NS1_11comp_targetILNS1_3genE10ELNS1_11target_archE1201ELNS1_3gpuE5ELNS1_3repE0EEENS1_59segmented_radix_sort_warp_sort_small_config_static_selectorELNS0_4arch9wavefront6targetE0EEEvSK_.kd
    .uniform_work_group_size: 1
    .uses_dynamic_stack: false
    .vgpr_count:     0
    .vgpr_spill_count: 0
    .wavefront_size: 32
    .workgroup_processor_mode: 1
  - .args:
      - .offset:         0
        .size:           88
        .value_kind:     by_value
    .group_segment_fixed_size: 0
    .kernarg_segment_align: 8
    .kernarg_segment_size: 88
    .language:       OpenCL C
    .language_version:
      - 2
      - 0
    .max_flat_workgroup_size: 256
    .name:           _ZN7rocprim17ROCPRIM_400000_NS6detail17trampoline_kernelINS0_14default_configENS1_36segmented_radix_sort_config_selectorIdlEEZNS1_25segmented_radix_sort_implIS3_Lb0EPKdPdPKlPlN2at6native12_GLOBAL__N_18offset_tEEE10hipError_tPvRmT1_PNSt15iterator_traitsISK_E10value_typeET2_T3_PNSL_ISQ_E10value_typeET4_jRbjT5_SW_jjP12ihipStream_tbEUlT_E1_NS1_11comp_targetILNS1_3genE10ELNS1_11target_archE1200ELNS1_3gpuE4ELNS1_3repE0EEENS1_59segmented_radix_sort_warp_sort_small_config_static_selectorELNS0_4arch9wavefront6targetE0EEEvSK_
    .private_segment_fixed_size: 0
    .sgpr_count:     0
    .sgpr_spill_count: 0
    .symbol:         _ZN7rocprim17ROCPRIM_400000_NS6detail17trampoline_kernelINS0_14default_configENS1_36segmented_radix_sort_config_selectorIdlEEZNS1_25segmented_radix_sort_implIS3_Lb0EPKdPdPKlPlN2at6native12_GLOBAL__N_18offset_tEEE10hipError_tPvRmT1_PNSt15iterator_traitsISK_E10value_typeET2_T3_PNSL_ISQ_E10value_typeET4_jRbjT5_SW_jjP12ihipStream_tbEUlT_E1_NS1_11comp_targetILNS1_3genE10ELNS1_11target_archE1200ELNS1_3gpuE4ELNS1_3repE0EEENS1_59segmented_radix_sort_warp_sort_small_config_static_selectorELNS0_4arch9wavefront6targetE0EEEvSK_.kd
    .uniform_work_group_size: 1
    .uses_dynamic_stack: false
    .vgpr_count:     0
    .vgpr_spill_count: 0
    .wavefront_size: 32
    .workgroup_processor_mode: 1
  - .args:
      - .offset:         0
        .size:           88
        .value_kind:     by_value
      - .offset:         88
        .size:           4
        .value_kind:     hidden_block_count_x
      - .offset:         92
        .size:           4
        .value_kind:     hidden_block_count_y
      - .offset:         96
        .size:           4
        .value_kind:     hidden_block_count_z
      - .offset:         100
        .size:           2
        .value_kind:     hidden_group_size_x
      - .offset:         102
        .size:           2
        .value_kind:     hidden_group_size_y
      - .offset:         104
        .size:           2
        .value_kind:     hidden_group_size_z
      - .offset:         106
        .size:           2
        .value_kind:     hidden_remainder_x
      - .offset:         108
        .size:           2
        .value_kind:     hidden_remainder_y
      - .offset:         110
        .size:           2
        .value_kind:     hidden_remainder_z
      - .offset:         128
        .size:           8
        .value_kind:     hidden_global_offset_x
      - .offset:         136
        .size:           8
        .value_kind:     hidden_global_offset_y
      - .offset:         144
        .size:           8
        .value_kind:     hidden_global_offset_z
      - .offset:         152
        .size:           2
        .value_kind:     hidden_grid_dims
    .group_segment_fixed_size: 16384
    .kernarg_segment_align: 8
    .kernarg_segment_size: 344
    .language:       OpenCL C
    .language_version:
      - 2
      - 0
    .max_flat_workgroup_size: 256
    .name:           _ZN7rocprim17ROCPRIM_400000_NS6detail17trampoline_kernelINS0_14default_configENS1_36segmented_radix_sort_config_selectorIdlEEZNS1_25segmented_radix_sort_implIS3_Lb0EPKdPdPKlPlN2at6native12_GLOBAL__N_18offset_tEEE10hipError_tPvRmT1_PNSt15iterator_traitsISK_E10value_typeET2_T3_PNSL_ISQ_E10value_typeET4_jRbjT5_SW_jjP12ihipStream_tbEUlT_E1_NS1_11comp_targetILNS1_3genE9ELNS1_11target_archE1100ELNS1_3gpuE3ELNS1_3repE0EEENS1_59segmented_radix_sort_warp_sort_small_config_static_selectorELNS0_4arch9wavefront6targetE0EEEvSK_
    .private_segment_fixed_size: 0
    .sgpr_count:     35
    .sgpr_spill_count: 0
    .symbol:         _ZN7rocprim17ROCPRIM_400000_NS6detail17trampoline_kernelINS0_14default_configENS1_36segmented_radix_sort_config_selectorIdlEEZNS1_25segmented_radix_sort_implIS3_Lb0EPKdPdPKlPlN2at6native12_GLOBAL__N_18offset_tEEE10hipError_tPvRmT1_PNSt15iterator_traitsISK_E10value_typeET2_T3_PNSL_ISQ_E10value_typeET4_jRbjT5_SW_jjP12ihipStream_tbEUlT_E1_NS1_11comp_targetILNS1_3genE9ELNS1_11target_archE1100ELNS1_3gpuE3ELNS1_3repE0EEENS1_59segmented_radix_sort_warp_sort_small_config_static_selectorELNS0_4arch9wavefront6targetE0EEEvSK_.kd
    .uniform_work_group_size: 1
    .uses_dynamic_stack: false
    .vgpr_count:     85
    .vgpr_spill_count: 0
    .wavefront_size: 32
    .workgroup_processor_mode: 1
  - .args:
      - .offset:         0
        .size:           88
        .value_kind:     by_value
    .group_segment_fixed_size: 0
    .kernarg_segment_align: 8
    .kernarg_segment_size: 88
    .language:       OpenCL C
    .language_version:
      - 2
      - 0
    .max_flat_workgroup_size: 256
    .name:           _ZN7rocprim17ROCPRIM_400000_NS6detail17trampoline_kernelINS0_14default_configENS1_36segmented_radix_sort_config_selectorIdlEEZNS1_25segmented_radix_sort_implIS3_Lb0EPKdPdPKlPlN2at6native12_GLOBAL__N_18offset_tEEE10hipError_tPvRmT1_PNSt15iterator_traitsISK_E10value_typeET2_T3_PNSL_ISQ_E10value_typeET4_jRbjT5_SW_jjP12ihipStream_tbEUlT_E1_NS1_11comp_targetILNS1_3genE8ELNS1_11target_archE1030ELNS1_3gpuE2ELNS1_3repE0EEENS1_59segmented_radix_sort_warp_sort_small_config_static_selectorELNS0_4arch9wavefront6targetE0EEEvSK_
    .private_segment_fixed_size: 0
    .sgpr_count:     0
    .sgpr_spill_count: 0
    .symbol:         _ZN7rocprim17ROCPRIM_400000_NS6detail17trampoline_kernelINS0_14default_configENS1_36segmented_radix_sort_config_selectorIdlEEZNS1_25segmented_radix_sort_implIS3_Lb0EPKdPdPKlPlN2at6native12_GLOBAL__N_18offset_tEEE10hipError_tPvRmT1_PNSt15iterator_traitsISK_E10value_typeET2_T3_PNSL_ISQ_E10value_typeET4_jRbjT5_SW_jjP12ihipStream_tbEUlT_E1_NS1_11comp_targetILNS1_3genE8ELNS1_11target_archE1030ELNS1_3gpuE2ELNS1_3repE0EEENS1_59segmented_radix_sort_warp_sort_small_config_static_selectorELNS0_4arch9wavefront6targetE0EEEvSK_.kd
    .uniform_work_group_size: 1
    .uses_dynamic_stack: false
    .vgpr_count:     0
    .vgpr_spill_count: 0
    .wavefront_size: 32
    .workgroup_processor_mode: 1
  - .args:
      - .offset:         0
        .size:           80
        .value_kind:     by_value
    .group_segment_fixed_size: 0
    .kernarg_segment_align: 8
    .kernarg_segment_size: 80
    .language:       OpenCL C
    .language_version:
      - 2
      - 0
    .max_flat_workgroup_size: 256
    .name:           _ZN7rocprim17ROCPRIM_400000_NS6detail17trampoline_kernelINS0_14default_configENS1_36segmented_radix_sort_config_selectorIdlEEZNS1_25segmented_radix_sort_implIS3_Lb0EPKdPdPKlPlN2at6native12_GLOBAL__N_18offset_tEEE10hipError_tPvRmT1_PNSt15iterator_traitsISK_E10value_typeET2_T3_PNSL_ISQ_E10value_typeET4_jRbjT5_SW_jjP12ihipStream_tbEUlT_E2_NS1_11comp_targetILNS1_3genE0ELNS1_11target_archE4294967295ELNS1_3gpuE0ELNS1_3repE0EEENS1_30default_config_static_selectorELNS0_4arch9wavefront6targetE0EEEvSK_
    .private_segment_fixed_size: 0
    .sgpr_count:     0
    .sgpr_spill_count: 0
    .symbol:         _ZN7rocprim17ROCPRIM_400000_NS6detail17trampoline_kernelINS0_14default_configENS1_36segmented_radix_sort_config_selectorIdlEEZNS1_25segmented_radix_sort_implIS3_Lb0EPKdPdPKlPlN2at6native12_GLOBAL__N_18offset_tEEE10hipError_tPvRmT1_PNSt15iterator_traitsISK_E10value_typeET2_T3_PNSL_ISQ_E10value_typeET4_jRbjT5_SW_jjP12ihipStream_tbEUlT_E2_NS1_11comp_targetILNS1_3genE0ELNS1_11target_archE4294967295ELNS1_3gpuE0ELNS1_3repE0EEENS1_30default_config_static_selectorELNS0_4arch9wavefront6targetE0EEEvSK_.kd
    .uniform_work_group_size: 1
    .uses_dynamic_stack: false
    .vgpr_count:     0
    .vgpr_spill_count: 0
    .wavefront_size: 32
    .workgroup_processor_mode: 1
  - .args:
      - .offset:         0
        .size:           80
        .value_kind:     by_value
    .group_segment_fixed_size: 0
    .kernarg_segment_align: 8
    .kernarg_segment_size: 80
    .language:       OpenCL C
    .language_version:
      - 2
      - 0
    .max_flat_workgroup_size: 256
    .name:           _ZN7rocprim17ROCPRIM_400000_NS6detail17trampoline_kernelINS0_14default_configENS1_36segmented_radix_sort_config_selectorIdlEEZNS1_25segmented_radix_sort_implIS3_Lb0EPKdPdPKlPlN2at6native12_GLOBAL__N_18offset_tEEE10hipError_tPvRmT1_PNSt15iterator_traitsISK_E10value_typeET2_T3_PNSL_ISQ_E10value_typeET4_jRbjT5_SW_jjP12ihipStream_tbEUlT_E2_NS1_11comp_targetILNS1_3genE5ELNS1_11target_archE942ELNS1_3gpuE9ELNS1_3repE0EEENS1_30default_config_static_selectorELNS0_4arch9wavefront6targetE0EEEvSK_
    .private_segment_fixed_size: 0
    .sgpr_count:     0
    .sgpr_spill_count: 0
    .symbol:         _ZN7rocprim17ROCPRIM_400000_NS6detail17trampoline_kernelINS0_14default_configENS1_36segmented_radix_sort_config_selectorIdlEEZNS1_25segmented_radix_sort_implIS3_Lb0EPKdPdPKlPlN2at6native12_GLOBAL__N_18offset_tEEE10hipError_tPvRmT1_PNSt15iterator_traitsISK_E10value_typeET2_T3_PNSL_ISQ_E10value_typeET4_jRbjT5_SW_jjP12ihipStream_tbEUlT_E2_NS1_11comp_targetILNS1_3genE5ELNS1_11target_archE942ELNS1_3gpuE9ELNS1_3repE0EEENS1_30default_config_static_selectorELNS0_4arch9wavefront6targetE0EEEvSK_.kd
    .uniform_work_group_size: 1
    .uses_dynamic_stack: false
    .vgpr_count:     0
    .vgpr_spill_count: 0
    .wavefront_size: 32
    .workgroup_processor_mode: 1
  - .args:
      - .offset:         0
        .size:           80
        .value_kind:     by_value
    .group_segment_fixed_size: 0
    .kernarg_segment_align: 8
    .kernarg_segment_size: 80
    .language:       OpenCL C
    .language_version:
      - 2
      - 0
    .max_flat_workgroup_size: 256
    .name:           _ZN7rocprim17ROCPRIM_400000_NS6detail17trampoline_kernelINS0_14default_configENS1_36segmented_radix_sort_config_selectorIdlEEZNS1_25segmented_radix_sort_implIS3_Lb0EPKdPdPKlPlN2at6native12_GLOBAL__N_18offset_tEEE10hipError_tPvRmT1_PNSt15iterator_traitsISK_E10value_typeET2_T3_PNSL_ISQ_E10value_typeET4_jRbjT5_SW_jjP12ihipStream_tbEUlT_E2_NS1_11comp_targetILNS1_3genE4ELNS1_11target_archE910ELNS1_3gpuE8ELNS1_3repE0EEENS1_30default_config_static_selectorELNS0_4arch9wavefront6targetE0EEEvSK_
    .private_segment_fixed_size: 0
    .sgpr_count:     0
    .sgpr_spill_count: 0
    .symbol:         _ZN7rocprim17ROCPRIM_400000_NS6detail17trampoline_kernelINS0_14default_configENS1_36segmented_radix_sort_config_selectorIdlEEZNS1_25segmented_radix_sort_implIS3_Lb0EPKdPdPKlPlN2at6native12_GLOBAL__N_18offset_tEEE10hipError_tPvRmT1_PNSt15iterator_traitsISK_E10value_typeET2_T3_PNSL_ISQ_E10value_typeET4_jRbjT5_SW_jjP12ihipStream_tbEUlT_E2_NS1_11comp_targetILNS1_3genE4ELNS1_11target_archE910ELNS1_3gpuE8ELNS1_3repE0EEENS1_30default_config_static_selectorELNS0_4arch9wavefront6targetE0EEEvSK_.kd
    .uniform_work_group_size: 1
    .uses_dynamic_stack: false
    .vgpr_count:     0
    .vgpr_spill_count: 0
    .wavefront_size: 32
    .workgroup_processor_mode: 1
  - .args:
      - .offset:         0
        .size:           80
        .value_kind:     by_value
    .group_segment_fixed_size: 0
    .kernarg_segment_align: 8
    .kernarg_segment_size: 80
    .language:       OpenCL C
    .language_version:
      - 2
      - 0
    .max_flat_workgroup_size: 256
    .name:           _ZN7rocprim17ROCPRIM_400000_NS6detail17trampoline_kernelINS0_14default_configENS1_36segmented_radix_sort_config_selectorIdlEEZNS1_25segmented_radix_sort_implIS3_Lb0EPKdPdPKlPlN2at6native12_GLOBAL__N_18offset_tEEE10hipError_tPvRmT1_PNSt15iterator_traitsISK_E10value_typeET2_T3_PNSL_ISQ_E10value_typeET4_jRbjT5_SW_jjP12ihipStream_tbEUlT_E2_NS1_11comp_targetILNS1_3genE3ELNS1_11target_archE908ELNS1_3gpuE7ELNS1_3repE0EEENS1_30default_config_static_selectorELNS0_4arch9wavefront6targetE0EEEvSK_
    .private_segment_fixed_size: 0
    .sgpr_count:     0
    .sgpr_spill_count: 0
    .symbol:         _ZN7rocprim17ROCPRIM_400000_NS6detail17trampoline_kernelINS0_14default_configENS1_36segmented_radix_sort_config_selectorIdlEEZNS1_25segmented_radix_sort_implIS3_Lb0EPKdPdPKlPlN2at6native12_GLOBAL__N_18offset_tEEE10hipError_tPvRmT1_PNSt15iterator_traitsISK_E10value_typeET2_T3_PNSL_ISQ_E10value_typeET4_jRbjT5_SW_jjP12ihipStream_tbEUlT_E2_NS1_11comp_targetILNS1_3genE3ELNS1_11target_archE908ELNS1_3gpuE7ELNS1_3repE0EEENS1_30default_config_static_selectorELNS0_4arch9wavefront6targetE0EEEvSK_.kd
    .uniform_work_group_size: 1
    .uses_dynamic_stack: false
    .vgpr_count:     0
    .vgpr_spill_count: 0
    .wavefront_size: 32
    .workgroup_processor_mode: 1
  - .args:
      - .offset:         0
        .size:           80
        .value_kind:     by_value
    .group_segment_fixed_size: 0
    .kernarg_segment_align: 8
    .kernarg_segment_size: 80
    .language:       OpenCL C
    .language_version:
      - 2
      - 0
    .max_flat_workgroup_size: 256
    .name:           _ZN7rocprim17ROCPRIM_400000_NS6detail17trampoline_kernelINS0_14default_configENS1_36segmented_radix_sort_config_selectorIdlEEZNS1_25segmented_radix_sort_implIS3_Lb0EPKdPdPKlPlN2at6native12_GLOBAL__N_18offset_tEEE10hipError_tPvRmT1_PNSt15iterator_traitsISK_E10value_typeET2_T3_PNSL_ISQ_E10value_typeET4_jRbjT5_SW_jjP12ihipStream_tbEUlT_E2_NS1_11comp_targetILNS1_3genE2ELNS1_11target_archE906ELNS1_3gpuE6ELNS1_3repE0EEENS1_30default_config_static_selectorELNS0_4arch9wavefront6targetE0EEEvSK_
    .private_segment_fixed_size: 0
    .sgpr_count:     0
    .sgpr_spill_count: 0
    .symbol:         _ZN7rocprim17ROCPRIM_400000_NS6detail17trampoline_kernelINS0_14default_configENS1_36segmented_radix_sort_config_selectorIdlEEZNS1_25segmented_radix_sort_implIS3_Lb0EPKdPdPKlPlN2at6native12_GLOBAL__N_18offset_tEEE10hipError_tPvRmT1_PNSt15iterator_traitsISK_E10value_typeET2_T3_PNSL_ISQ_E10value_typeET4_jRbjT5_SW_jjP12ihipStream_tbEUlT_E2_NS1_11comp_targetILNS1_3genE2ELNS1_11target_archE906ELNS1_3gpuE6ELNS1_3repE0EEENS1_30default_config_static_selectorELNS0_4arch9wavefront6targetE0EEEvSK_.kd
    .uniform_work_group_size: 1
    .uses_dynamic_stack: false
    .vgpr_count:     0
    .vgpr_spill_count: 0
    .wavefront_size: 32
    .workgroup_processor_mode: 1
  - .args:
      - .offset:         0
        .size:           80
        .value_kind:     by_value
    .group_segment_fixed_size: 0
    .kernarg_segment_align: 8
    .kernarg_segment_size: 80
    .language:       OpenCL C
    .language_version:
      - 2
      - 0
    .max_flat_workgroup_size: 256
    .name:           _ZN7rocprim17ROCPRIM_400000_NS6detail17trampoline_kernelINS0_14default_configENS1_36segmented_radix_sort_config_selectorIdlEEZNS1_25segmented_radix_sort_implIS3_Lb0EPKdPdPKlPlN2at6native12_GLOBAL__N_18offset_tEEE10hipError_tPvRmT1_PNSt15iterator_traitsISK_E10value_typeET2_T3_PNSL_ISQ_E10value_typeET4_jRbjT5_SW_jjP12ihipStream_tbEUlT_E2_NS1_11comp_targetILNS1_3genE10ELNS1_11target_archE1201ELNS1_3gpuE5ELNS1_3repE0EEENS1_30default_config_static_selectorELNS0_4arch9wavefront6targetE0EEEvSK_
    .private_segment_fixed_size: 0
    .sgpr_count:     0
    .sgpr_spill_count: 0
    .symbol:         _ZN7rocprim17ROCPRIM_400000_NS6detail17trampoline_kernelINS0_14default_configENS1_36segmented_radix_sort_config_selectorIdlEEZNS1_25segmented_radix_sort_implIS3_Lb0EPKdPdPKlPlN2at6native12_GLOBAL__N_18offset_tEEE10hipError_tPvRmT1_PNSt15iterator_traitsISK_E10value_typeET2_T3_PNSL_ISQ_E10value_typeET4_jRbjT5_SW_jjP12ihipStream_tbEUlT_E2_NS1_11comp_targetILNS1_3genE10ELNS1_11target_archE1201ELNS1_3gpuE5ELNS1_3repE0EEENS1_30default_config_static_selectorELNS0_4arch9wavefront6targetE0EEEvSK_.kd
    .uniform_work_group_size: 1
    .uses_dynamic_stack: false
    .vgpr_count:     0
    .vgpr_spill_count: 0
    .wavefront_size: 32
    .workgroup_processor_mode: 1
  - .args:
      - .offset:         0
        .size:           80
        .value_kind:     by_value
    .group_segment_fixed_size: 0
    .kernarg_segment_align: 8
    .kernarg_segment_size: 80
    .language:       OpenCL C
    .language_version:
      - 2
      - 0
    .max_flat_workgroup_size: 128
    .name:           _ZN7rocprim17ROCPRIM_400000_NS6detail17trampoline_kernelINS0_14default_configENS1_36segmented_radix_sort_config_selectorIdlEEZNS1_25segmented_radix_sort_implIS3_Lb0EPKdPdPKlPlN2at6native12_GLOBAL__N_18offset_tEEE10hipError_tPvRmT1_PNSt15iterator_traitsISK_E10value_typeET2_T3_PNSL_ISQ_E10value_typeET4_jRbjT5_SW_jjP12ihipStream_tbEUlT_E2_NS1_11comp_targetILNS1_3genE10ELNS1_11target_archE1200ELNS1_3gpuE4ELNS1_3repE0EEENS1_30default_config_static_selectorELNS0_4arch9wavefront6targetE0EEEvSK_
    .private_segment_fixed_size: 0
    .sgpr_count:     0
    .sgpr_spill_count: 0
    .symbol:         _ZN7rocprim17ROCPRIM_400000_NS6detail17trampoline_kernelINS0_14default_configENS1_36segmented_radix_sort_config_selectorIdlEEZNS1_25segmented_radix_sort_implIS3_Lb0EPKdPdPKlPlN2at6native12_GLOBAL__N_18offset_tEEE10hipError_tPvRmT1_PNSt15iterator_traitsISK_E10value_typeET2_T3_PNSL_ISQ_E10value_typeET4_jRbjT5_SW_jjP12ihipStream_tbEUlT_E2_NS1_11comp_targetILNS1_3genE10ELNS1_11target_archE1200ELNS1_3gpuE4ELNS1_3repE0EEENS1_30default_config_static_selectorELNS0_4arch9wavefront6targetE0EEEvSK_.kd
    .uniform_work_group_size: 1
    .uses_dynamic_stack: false
    .vgpr_count:     0
    .vgpr_spill_count: 0
    .wavefront_size: 32
    .workgroup_processor_mode: 1
  - .args:
      - .offset:         0
        .size:           80
        .value_kind:     by_value
      - .offset:         80
        .size:           4
        .value_kind:     hidden_block_count_x
      - .offset:         84
        .size:           4
        .value_kind:     hidden_block_count_y
      - .offset:         88
        .size:           4
        .value_kind:     hidden_block_count_z
      - .offset:         92
        .size:           2
        .value_kind:     hidden_group_size_x
      - .offset:         94
        .size:           2
        .value_kind:     hidden_group_size_y
      - .offset:         96
        .size:           2
        .value_kind:     hidden_group_size_z
      - .offset:         98
        .size:           2
        .value_kind:     hidden_remainder_x
      - .offset:         100
        .size:           2
        .value_kind:     hidden_remainder_y
      - .offset:         102
        .size:           2
        .value_kind:     hidden_remainder_z
      - .offset:         120
        .size:           8
        .value_kind:     hidden_global_offset_x
      - .offset:         128
        .size:           8
        .value_kind:     hidden_global_offset_y
      - .offset:         136
        .size:           8
        .value_kind:     hidden_global_offset_z
      - .offset:         144
        .size:           2
        .value_kind:     hidden_grid_dims
    .group_segment_fixed_size: 33824
    .kernarg_segment_align: 8
    .kernarg_segment_size: 336
    .language:       OpenCL C
    .language_version:
      - 2
      - 0
    .max_flat_workgroup_size: 256
    .name:           _ZN7rocprim17ROCPRIM_400000_NS6detail17trampoline_kernelINS0_14default_configENS1_36segmented_radix_sort_config_selectorIdlEEZNS1_25segmented_radix_sort_implIS3_Lb0EPKdPdPKlPlN2at6native12_GLOBAL__N_18offset_tEEE10hipError_tPvRmT1_PNSt15iterator_traitsISK_E10value_typeET2_T3_PNSL_ISQ_E10value_typeET4_jRbjT5_SW_jjP12ihipStream_tbEUlT_E2_NS1_11comp_targetILNS1_3genE9ELNS1_11target_archE1100ELNS1_3gpuE3ELNS1_3repE0EEENS1_30default_config_static_selectorELNS0_4arch9wavefront6targetE0EEEvSK_
    .private_segment_fixed_size: 200
    .sgpr_count:     68
    .sgpr_spill_count: 0
    .symbol:         _ZN7rocprim17ROCPRIM_400000_NS6detail17trampoline_kernelINS0_14default_configENS1_36segmented_radix_sort_config_selectorIdlEEZNS1_25segmented_radix_sort_implIS3_Lb0EPKdPdPKlPlN2at6native12_GLOBAL__N_18offset_tEEE10hipError_tPvRmT1_PNSt15iterator_traitsISK_E10value_typeET2_T3_PNSL_ISQ_E10value_typeET4_jRbjT5_SW_jjP12ihipStream_tbEUlT_E2_NS1_11comp_targetILNS1_3genE9ELNS1_11target_archE1100ELNS1_3gpuE3ELNS1_3repE0EEENS1_30default_config_static_selectorELNS0_4arch9wavefront6targetE0EEEvSK_.kd
    .uniform_work_group_size: 1
    .uses_dynamic_stack: false
    .vgpr_count:     248
    .vgpr_spill_count: 0
    .wavefront_size: 32
    .workgroup_processor_mode: 1
  - .args:
      - .offset:         0
        .size:           80
        .value_kind:     by_value
    .group_segment_fixed_size: 0
    .kernarg_segment_align: 8
    .kernarg_segment_size: 80
    .language:       OpenCL C
    .language_version:
      - 2
      - 0
    .max_flat_workgroup_size: 256
    .name:           _ZN7rocprim17ROCPRIM_400000_NS6detail17trampoline_kernelINS0_14default_configENS1_36segmented_radix_sort_config_selectorIdlEEZNS1_25segmented_radix_sort_implIS3_Lb0EPKdPdPKlPlN2at6native12_GLOBAL__N_18offset_tEEE10hipError_tPvRmT1_PNSt15iterator_traitsISK_E10value_typeET2_T3_PNSL_ISQ_E10value_typeET4_jRbjT5_SW_jjP12ihipStream_tbEUlT_E2_NS1_11comp_targetILNS1_3genE8ELNS1_11target_archE1030ELNS1_3gpuE2ELNS1_3repE0EEENS1_30default_config_static_selectorELNS0_4arch9wavefront6targetE0EEEvSK_
    .private_segment_fixed_size: 0
    .sgpr_count:     0
    .sgpr_spill_count: 0
    .symbol:         _ZN7rocprim17ROCPRIM_400000_NS6detail17trampoline_kernelINS0_14default_configENS1_36segmented_radix_sort_config_selectorIdlEEZNS1_25segmented_radix_sort_implIS3_Lb0EPKdPdPKlPlN2at6native12_GLOBAL__N_18offset_tEEE10hipError_tPvRmT1_PNSt15iterator_traitsISK_E10value_typeET2_T3_PNSL_ISQ_E10value_typeET4_jRbjT5_SW_jjP12ihipStream_tbEUlT_E2_NS1_11comp_targetILNS1_3genE8ELNS1_11target_archE1030ELNS1_3gpuE2ELNS1_3repE0EEENS1_30default_config_static_selectorELNS0_4arch9wavefront6targetE0EEEvSK_.kd
    .uniform_work_group_size: 1
    .uses_dynamic_stack: false
    .vgpr_count:     0
    .vgpr_spill_count: 0
    .wavefront_size: 32
    .workgroup_processor_mode: 1
  - .args:
      - .address_space:  global
        .offset:         0
        .size:           8
        .value_kind:     global_buffer
      - .address_space:  global
        .offset:         8
        .size:           8
        .value_kind:     global_buffer
      - .address_space:  global
        .offset:         16
        .size:           8
        .value_kind:     global_buffer
      - .address_space:  global
        .offset:         24
        .size:           8
        .value_kind:     global_buffer
      - .offset:         32
        .size:           4
        .value_kind:     by_value
      - .offset:         36
        .size:           4
        .value_kind:     by_value
      - .offset:         40
        .size:           4
        .value_kind:     hidden_block_count_x
      - .offset:         44
        .size:           4
        .value_kind:     hidden_block_count_y
      - .offset:         48
        .size:           4
        .value_kind:     hidden_block_count_z
      - .offset:         52
        .size:           2
        .value_kind:     hidden_group_size_x
      - .offset:         54
        .size:           2
        .value_kind:     hidden_group_size_y
      - .offset:         56
        .size:           2
        .value_kind:     hidden_group_size_z
      - .offset:         58
        .size:           2
        .value_kind:     hidden_remainder_x
      - .offset:         60
        .size:           2
        .value_kind:     hidden_remainder_y
      - .offset:         62
        .size:           2
        .value_kind:     hidden_remainder_z
      - .offset:         80
        .size:           8
        .value_kind:     hidden_global_offset_x
      - .offset:         88
        .size:           8
        .value_kind:     hidden_global_offset_y
      - .offset:         96
        .size:           8
        .value_kind:     hidden_global_offset_z
      - .offset:         104
        .size:           2
        .value_kind:     hidden_grid_dims
    .group_segment_fixed_size: 0
    .kernarg_segment_align: 8
    .kernarg_segment_size: 296
    .language:       OpenCL C
    .language_version:
      - 2
      - 0
    .max_flat_workgroup_size: 1024
    .name:           _ZN2at6native12_GLOBAL__N_123sort_postprocess_kernelIfEEvPKT_PS3_PlPK15HIP_vector_typeIiLj2EEii
    .private_segment_fixed_size: 0
    .sgpr_count:     18
    .sgpr_spill_count: 0
    .symbol:         _ZN2at6native12_GLOBAL__N_123sort_postprocess_kernelIfEEvPKT_PS3_PlPK15HIP_vector_typeIiLj2EEii.kd
    .uniform_work_group_size: 1
    .uses_dynamic_stack: false
    .vgpr_count:     17
    .vgpr_spill_count: 0
    .wavefront_size: 32
    .workgroup_processor_mode: 1
  - .args:
      - .offset:         0
        .size:           176
        .value_kind:     by_value
    .group_segment_fixed_size: 0
    .kernarg_segment_align: 8
    .kernarg_segment_size: 176
    .language:       OpenCL C
    .language_version:
      - 2
      - 0
    .max_flat_workgroup_size: 256
    .name:           _ZN7rocprim17ROCPRIM_400000_NS6detail17trampoline_kernelINS0_13select_configILj256ELj13ELNS0_17block_load_methodE3ELS4_3ELS4_3ELNS0_20block_scan_algorithmE0ELj4294967295EEENS1_25partition_config_selectorILNS1_17partition_subalgoE4EjNS0_10empty_typeEbEEZZNS1_14partition_implILS8_4ELb0ES6_15HIP_vector_typeIjLj2EENS0_17counting_iteratorIjlEEPS9_SG_NS0_5tupleIJPjSI_NS0_16reverse_iteratorISI_EEEEENSH_IJSG_SG_SG_EEES9_SI_JZNS1_25segmented_radix_sort_implINS0_14default_configELb1EPKfPfPKlPlN2at6native12_GLOBAL__N_18offset_tEEE10hipError_tPvRmT1_PNSt15iterator_traitsIS12_E10value_typeET2_T3_PNS13_IS18_E10value_typeET4_jRbjT5_S1E_jjP12ihipStream_tbEUljE_ZNSN_ISO_Lb1ESQ_SR_ST_SU_SY_EESZ_S10_S11_S12_S16_S17_S18_S1B_S1C_jS1D_jS1E_S1E_jjS1G_bEUljE0_EEESZ_S10_S11_S18_S1C_S1E_T6_T7_T9_mT8_S1G_bDpT10_ENKUlT_T0_E_clISt17integral_constantIbLb0EES1U_EEDaS1P_S1Q_EUlS1P_E_NS1_11comp_targetILNS1_3genE0ELNS1_11target_archE4294967295ELNS1_3gpuE0ELNS1_3repE0EEENS1_30default_config_static_selectorELNS0_4arch9wavefront6targetE0EEEvS12_
    .private_segment_fixed_size: 0
    .sgpr_count:     0
    .sgpr_spill_count: 0
    .symbol:         _ZN7rocprim17ROCPRIM_400000_NS6detail17trampoline_kernelINS0_13select_configILj256ELj13ELNS0_17block_load_methodE3ELS4_3ELS4_3ELNS0_20block_scan_algorithmE0ELj4294967295EEENS1_25partition_config_selectorILNS1_17partition_subalgoE4EjNS0_10empty_typeEbEEZZNS1_14partition_implILS8_4ELb0ES6_15HIP_vector_typeIjLj2EENS0_17counting_iteratorIjlEEPS9_SG_NS0_5tupleIJPjSI_NS0_16reverse_iteratorISI_EEEEENSH_IJSG_SG_SG_EEES9_SI_JZNS1_25segmented_radix_sort_implINS0_14default_configELb1EPKfPfPKlPlN2at6native12_GLOBAL__N_18offset_tEEE10hipError_tPvRmT1_PNSt15iterator_traitsIS12_E10value_typeET2_T3_PNS13_IS18_E10value_typeET4_jRbjT5_S1E_jjP12ihipStream_tbEUljE_ZNSN_ISO_Lb1ESQ_SR_ST_SU_SY_EESZ_S10_S11_S12_S16_S17_S18_S1B_S1C_jS1D_jS1E_S1E_jjS1G_bEUljE0_EEESZ_S10_S11_S18_S1C_S1E_T6_T7_T9_mT8_S1G_bDpT10_ENKUlT_T0_E_clISt17integral_constantIbLb0EES1U_EEDaS1P_S1Q_EUlS1P_E_NS1_11comp_targetILNS1_3genE0ELNS1_11target_archE4294967295ELNS1_3gpuE0ELNS1_3repE0EEENS1_30default_config_static_selectorELNS0_4arch9wavefront6targetE0EEEvS12_.kd
    .uniform_work_group_size: 1
    .uses_dynamic_stack: false
    .vgpr_count:     0
    .vgpr_spill_count: 0
    .wavefront_size: 32
    .workgroup_processor_mode: 1
  - .args:
      - .offset:         0
        .size:           176
        .value_kind:     by_value
    .group_segment_fixed_size: 0
    .kernarg_segment_align: 8
    .kernarg_segment_size: 176
    .language:       OpenCL C
    .language_version:
      - 2
      - 0
    .max_flat_workgroup_size: 256
    .name:           _ZN7rocprim17ROCPRIM_400000_NS6detail17trampoline_kernelINS0_13select_configILj256ELj13ELNS0_17block_load_methodE3ELS4_3ELS4_3ELNS0_20block_scan_algorithmE0ELj4294967295EEENS1_25partition_config_selectorILNS1_17partition_subalgoE4EjNS0_10empty_typeEbEEZZNS1_14partition_implILS8_4ELb0ES6_15HIP_vector_typeIjLj2EENS0_17counting_iteratorIjlEEPS9_SG_NS0_5tupleIJPjSI_NS0_16reverse_iteratorISI_EEEEENSH_IJSG_SG_SG_EEES9_SI_JZNS1_25segmented_radix_sort_implINS0_14default_configELb1EPKfPfPKlPlN2at6native12_GLOBAL__N_18offset_tEEE10hipError_tPvRmT1_PNSt15iterator_traitsIS12_E10value_typeET2_T3_PNS13_IS18_E10value_typeET4_jRbjT5_S1E_jjP12ihipStream_tbEUljE_ZNSN_ISO_Lb1ESQ_SR_ST_SU_SY_EESZ_S10_S11_S12_S16_S17_S18_S1B_S1C_jS1D_jS1E_S1E_jjS1G_bEUljE0_EEESZ_S10_S11_S18_S1C_S1E_T6_T7_T9_mT8_S1G_bDpT10_ENKUlT_T0_E_clISt17integral_constantIbLb0EES1U_EEDaS1P_S1Q_EUlS1P_E_NS1_11comp_targetILNS1_3genE5ELNS1_11target_archE942ELNS1_3gpuE9ELNS1_3repE0EEENS1_30default_config_static_selectorELNS0_4arch9wavefront6targetE0EEEvS12_
    .private_segment_fixed_size: 0
    .sgpr_count:     0
    .sgpr_spill_count: 0
    .symbol:         _ZN7rocprim17ROCPRIM_400000_NS6detail17trampoline_kernelINS0_13select_configILj256ELj13ELNS0_17block_load_methodE3ELS4_3ELS4_3ELNS0_20block_scan_algorithmE0ELj4294967295EEENS1_25partition_config_selectorILNS1_17partition_subalgoE4EjNS0_10empty_typeEbEEZZNS1_14partition_implILS8_4ELb0ES6_15HIP_vector_typeIjLj2EENS0_17counting_iteratorIjlEEPS9_SG_NS0_5tupleIJPjSI_NS0_16reverse_iteratorISI_EEEEENSH_IJSG_SG_SG_EEES9_SI_JZNS1_25segmented_radix_sort_implINS0_14default_configELb1EPKfPfPKlPlN2at6native12_GLOBAL__N_18offset_tEEE10hipError_tPvRmT1_PNSt15iterator_traitsIS12_E10value_typeET2_T3_PNS13_IS18_E10value_typeET4_jRbjT5_S1E_jjP12ihipStream_tbEUljE_ZNSN_ISO_Lb1ESQ_SR_ST_SU_SY_EESZ_S10_S11_S12_S16_S17_S18_S1B_S1C_jS1D_jS1E_S1E_jjS1G_bEUljE0_EEESZ_S10_S11_S18_S1C_S1E_T6_T7_T9_mT8_S1G_bDpT10_ENKUlT_T0_E_clISt17integral_constantIbLb0EES1U_EEDaS1P_S1Q_EUlS1P_E_NS1_11comp_targetILNS1_3genE5ELNS1_11target_archE942ELNS1_3gpuE9ELNS1_3repE0EEENS1_30default_config_static_selectorELNS0_4arch9wavefront6targetE0EEEvS12_.kd
    .uniform_work_group_size: 1
    .uses_dynamic_stack: false
    .vgpr_count:     0
    .vgpr_spill_count: 0
    .wavefront_size: 32
    .workgroup_processor_mode: 1
  - .args:
      - .offset:         0
        .size:           176
        .value_kind:     by_value
    .group_segment_fixed_size: 0
    .kernarg_segment_align: 8
    .kernarg_segment_size: 176
    .language:       OpenCL C
    .language_version:
      - 2
      - 0
    .max_flat_workgroup_size: 256
    .name:           _ZN7rocprim17ROCPRIM_400000_NS6detail17trampoline_kernelINS0_13select_configILj256ELj13ELNS0_17block_load_methodE3ELS4_3ELS4_3ELNS0_20block_scan_algorithmE0ELj4294967295EEENS1_25partition_config_selectorILNS1_17partition_subalgoE4EjNS0_10empty_typeEbEEZZNS1_14partition_implILS8_4ELb0ES6_15HIP_vector_typeIjLj2EENS0_17counting_iteratorIjlEEPS9_SG_NS0_5tupleIJPjSI_NS0_16reverse_iteratorISI_EEEEENSH_IJSG_SG_SG_EEES9_SI_JZNS1_25segmented_radix_sort_implINS0_14default_configELb1EPKfPfPKlPlN2at6native12_GLOBAL__N_18offset_tEEE10hipError_tPvRmT1_PNSt15iterator_traitsIS12_E10value_typeET2_T3_PNS13_IS18_E10value_typeET4_jRbjT5_S1E_jjP12ihipStream_tbEUljE_ZNSN_ISO_Lb1ESQ_SR_ST_SU_SY_EESZ_S10_S11_S12_S16_S17_S18_S1B_S1C_jS1D_jS1E_S1E_jjS1G_bEUljE0_EEESZ_S10_S11_S18_S1C_S1E_T6_T7_T9_mT8_S1G_bDpT10_ENKUlT_T0_E_clISt17integral_constantIbLb0EES1U_EEDaS1P_S1Q_EUlS1P_E_NS1_11comp_targetILNS1_3genE4ELNS1_11target_archE910ELNS1_3gpuE8ELNS1_3repE0EEENS1_30default_config_static_selectorELNS0_4arch9wavefront6targetE0EEEvS12_
    .private_segment_fixed_size: 0
    .sgpr_count:     0
    .sgpr_spill_count: 0
    .symbol:         _ZN7rocprim17ROCPRIM_400000_NS6detail17trampoline_kernelINS0_13select_configILj256ELj13ELNS0_17block_load_methodE3ELS4_3ELS4_3ELNS0_20block_scan_algorithmE0ELj4294967295EEENS1_25partition_config_selectorILNS1_17partition_subalgoE4EjNS0_10empty_typeEbEEZZNS1_14partition_implILS8_4ELb0ES6_15HIP_vector_typeIjLj2EENS0_17counting_iteratorIjlEEPS9_SG_NS0_5tupleIJPjSI_NS0_16reverse_iteratorISI_EEEEENSH_IJSG_SG_SG_EEES9_SI_JZNS1_25segmented_radix_sort_implINS0_14default_configELb1EPKfPfPKlPlN2at6native12_GLOBAL__N_18offset_tEEE10hipError_tPvRmT1_PNSt15iterator_traitsIS12_E10value_typeET2_T3_PNS13_IS18_E10value_typeET4_jRbjT5_S1E_jjP12ihipStream_tbEUljE_ZNSN_ISO_Lb1ESQ_SR_ST_SU_SY_EESZ_S10_S11_S12_S16_S17_S18_S1B_S1C_jS1D_jS1E_S1E_jjS1G_bEUljE0_EEESZ_S10_S11_S18_S1C_S1E_T6_T7_T9_mT8_S1G_bDpT10_ENKUlT_T0_E_clISt17integral_constantIbLb0EES1U_EEDaS1P_S1Q_EUlS1P_E_NS1_11comp_targetILNS1_3genE4ELNS1_11target_archE910ELNS1_3gpuE8ELNS1_3repE0EEENS1_30default_config_static_selectorELNS0_4arch9wavefront6targetE0EEEvS12_.kd
    .uniform_work_group_size: 1
    .uses_dynamic_stack: false
    .vgpr_count:     0
    .vgpr_spill_count: 0
    .wavefront_size: 32
    .workgroup_processor_mode: 1
  - .args:
      - .offset:         0
        .size:           176
        .value_kind:     by_value
    .group_segment_fixed_size: 0
    .kernarg_segment_align: 8
    .kernarg_segment_size: 176
    .language:       OpenCL C
    .language_version:
      - 2
      - 0
    .max_flat_workgroup_size: 256
    .name:           _ZN7rocprim17ROCPRIM_400000_NS6detail17trampoline_kernelINS0_13select_configILj256ELj13ELNS0_17block_load_methodE3ELS4_3ELS4_3ELNS0_20block_scan_algorithmE0ELj4294967295EEENS1_25partition_config_selectorILNS1_17partition_subalgoE4EjNS0_10empty_typeEbEEZZNS1_14partition_implILS8_4ELb0ES6_15HIP_vector_typeIjLj2EENS0_17counting_iteratorIjlEEPS9_SG_NS0_5tupleIJPjSI_NS0_16reverse_iteratorISI_EEEEENSH_IJSG_SG_SG_EEES9_SI_JZNS1_25segmented_radix_sort_implINS0_14default_configELb1EPKfPfPKlPlN2at6native12_GLOBAL__N_18offset_tEEE10hipError_tPvRmT1_PNSt15iterator_traitsIS12_E10value_typeET2_T3_PNS13_IS18_E10value_typeET4_jRbjT5_S1E_jjP12ihipStream_tbEUljE_ZNSN_ISO_Lb1ESQ_SR_ST_SU_SY_EESZ_S10_S11_S12_S16_S17_S18_S1B_S1C_jS1D_jS1E_S1E_jjS1G_bEUljE0_EEESZ_S10_S11_S18_S1C_S1E_T6_T7_T9_mT8_S1G_bDpT10_ENKUlT_T0_E_clISt17integral_constantIbLb0EES1U_EEDaS1P_S1Q_EUlS1P_E_NS1_11comp_targetILNS1_3genE3ELNS1_11target_archE908ELNS1_3gpuE7ELNS1_3repE0EEENS1_30default_config_static_selectorELNS0_4arch9wavefront6targetE0EEEvS12_
    .private_segment_fixed_size: 0
    .sgpr_count:     0
    .sgpr_spill_count: 0
    .symbol:         _ZN7rocprim17ROCPRIM_400000_NS6detail17trampoline_kernelINS0_13select_configILj256ELj13ELNS0_17block_load_methodE3ELS4_3ELS4_3ELNS0_20block_scan_algorithmE0ELj4294967295EEENS1_25partition_config_selectorILNS1_17partition_subalgoE4EjNS0_10empty_typeEbEEZZNS1_14partition_implILS8_4ELb0ES6_15HIP_vector_typeIjLj2EENS0_17counting_iteratorIjlEEPS9_SG_NS0_5tupleIJPjSI_NS0_16reverse_iteratorISI_EEEEENSH_IJSG_SG_SG_EEES9_SI_JZNS1_25segmented_radix_sort_implINS0_14default_configELb1EPKfPfPKlPlN2at6native12_GLOBAL__N_18offset_tEEE10hipError_tPvRmT1_PNSt15iterator_traitsIS12_E10value_typeET2_T3_PNS13_IS18_E10value_typeET4_jRbjT5_S1E_jjP12ihipStream_tbEUljE_ZNSN_ISO_Lb1ESQ_SR_ST_SU_SY_EESZ_S10_S11_S12_S16_S17_S18_S1B_S1C_jS1D_jS1E_S1E_jjS1G_bEUljE0_EEESZ_S10_S11_S18_S1C_S1E_T6_T7_T9_mT8_S1G_bDpT10_ENKUlT_T0_E_clISt17integral_constantIbLb0EES1U_EEDaS1P_S1Q_EUlS1P_E_NS1_11comp_targetILNS1_3genE3ELNS1_11target_archE908ELNS1_3gpuE7ELNS1_3repE0EEENS1_30default_config_static_selectorELNS0_4arch9wavefront6targetE0EEEvS12_.kd
    .uniform_work_group_size: 1
    .uses_dynamic_stack: false
    .vgpr_count:     0
    .vgpr_spill_count: 0
    .wavefront_size: 32
    .workgroup_processor_mode: 1
  - .args:
      - .offset:         0
        .size:           176
        .value_kind:     by_value
    .group_segment_fixed_size: 0
    .kernarg_segment_align: 8
    .kernarg_segment_size: 176
    .language:       OpenCL C
    .language_version:
      - 2
      - 0
    .max_flat_workgroup_size: 256
    .name:           _ZN7rocprim17ROCPRIM_400000_NS6detail17trampoline_kernelINS0_13select_configILj256ELj13ELNS0_17block_load_methodE3ELS4_3ELS4_3ELNS0_20block_scan_algorithmE0ELj4294967295EEENS1_25partition_config_selectorILNS1_17partition_subalgoE4EjNS0_10empty_typeEbEEZZNS1_14partition_implILS8_4ELb0ES6_15HIP_vector_typeIjLj2EENS0_17counting_iteratorIjlEEPS9_SG_NS0_5tupleIJPjSI_NS0_16reverse_iteratorISI_EEEEENSH_IJSG_SG_SG_EEES9_SI_JZNS1_25segmented_radix_sort_implINS0_14default_configELb1EPKfPfPKlPlN2at6native12_GLOBAL__N_18offset_tEEE10hipError_tPvRmT1_PNSt15iterator_traitsIS12_E10value_typeET2_T3_PNS13_IS18_E10value_typeET4_jRbjT5_S1E_jjP12ihipStream_tbEUljE_ZNSN_ISO_Lb1ESQ_SR_ST_SU_SY_EESZ_S10_S11_S12_S16_S17_S18_S1B_S1C_jS1D_jS1E_S1E_jjS1G_bEUljE0_EEESZ_S10_S11_S18_S1C_S1E_T6_T7_T9_mT8_S1G_bDpT10_ENKUlT_T0_E_clISt17integral_constantIbLb0EES1U_EEDaS1P_S1Q_EUlS1P_E_NS1_11comp_targetILNS1_3genE2ELNS1_11target_archE906ELNS1_3gpuE6ELNS1_3repE0EEENS1_30default_config_static_selectorELNS0_4arch9wavefront6targetE0EEEvS12_
    .private_segment_fixed_size: 0
    .sgpr_count:     0
    .sgpr_spill_count: 0
    .symbol:         _ZN7rocprim17ROCPRIM_400000_NS6detail17trampoline_kernelINS0_13select_configILj256ELj13ELNS0_17block_load_methodE3ELS4_3ELS4_3ELNS0_20block_scan_algorithmE0ELj4294967295EEENS1_25partition_config_selectorILNS1_17partition_subalgoE4EjNS0_10empty_typeEbEEZZNS1_14partition_implILS8_4ELb0ES6_15HIP_vector_typeIjLj2EENS0_17counting_iteratorIjlEEPS9_SG_NS0_5tupleIJPjSI_NS0_16reverse_iteratorISI_EEEEENSH_IJSG_SG_SG_EEES9_SI_JZNS1_25segmented_radix_sort_implINS0_14default_configELb1EPKfPfPKlPlN2at6native12_GLOBAL__N_18offset_tEEE10hipError_tPvRmT1_PNSt15iterator_traitsIS12_E10value_typeET2_T3_PNS13_IS18_E10value_typeET4_jRbjT5_S1E_jjP12ihipStream_tbEUljE_ZNSN_ISO_Lb1ESQ_SR_ST_SU_SY_EESZ_S10_S11_S12_S16_S17_S18_S1B_S1C_jS1D_jS1E_S1E_jjS1G_bEUljE0_EEESZ_S10_S11_S18_S1C_S1E_T6_T7_T9_mT8_S1G_bDpT10_ENKUlT_T0_E_clISt17integral_constantIbLb0EES1U_EEDaS1P_S1Q_EUlS1P_E_NS1_11comp_targetILNS1_3genE2ELNS1_11target_archE906ELNS1_3gpuE6ELNS1_3repE0EEENS1_30default_config_static_selectorELNS0_4arch9wavefront6targetE0EEEvS12_.kd
    .uniform_work_group_size: 1
    .uses_dynamic_stack: false
    .vgpr_count:     0
    .vgpr_spill_count: 0
    .wavefront_size: 32
    .workgroup_processor_mode: 1
  - .args:
      - .offset:         0
        .size:           176
        .value_kind:     by_value
    .group_segment_fixed_size: 0
    .kernarg_segment_align: 8
    .kernarg_segment_size: 176
    .language:       OpenCL C
    .language_version:
      - 2
      - 0
    .max_flat_workgroup_size: 256
    .name:           _ZN7rocprim17ROCPRIM_400000_NS6detail17trampoline_kernelINS0_13select_configILj256ELj13ELNS0_17block_load_methodE3ELS4_3ELS4_3ELNS0_20block_scan_algorithmE0ELj4294967295EEENS1_25partition_config_selectorILNS1_17partition_subalgoE4EjNS0_10empty_typeEbEEZZNS1_14partition_implILS8_4ELb0ES6_15HIP_vector_typeIjLj2EENS0_17counting_iteratorIjlEEPS9_SG_NS0_5tupleIJPjSI_NS0_16reverse_iteratorISI_EEEEENSH_IJSG_SG_SG_EEES9_SI_JZNS1_25segmented_radix_sort_implINS0_14default_configELb1EPKfPfPKlPlN2at6native12_GLOBAL__N_18offset_tEEE10hipError_tPvRmT1_PNSt15iterator_traitsIS12_E10value_typeET2_T3_PNS13_IS18_E10value_typeET4_jRbjT5_S1E_jjP12ihipStream_tbEUljE_ZNSN_ISO_Lb1ESQ_SR_ST_SU_SY_EESZ_S10_S11_S12_S16_S17_S18_S1B_S1C_jS1D_jS1E_S1E_jjS1G_bEUljE0_EEESZ_S10_S11_S18_S1C_S1E_T6_T7_T9_mT8_S1G_bDpT10_ENKUlT_T0_E_clISt17integral_constantIbLb0EES1U_EEDaS1P_S1Q_EUlS1P_E_NS1_11comp_targetILNS1_3genE10ELNS1_11target_archE1200ELNS1_3gpuE4ELNS1_3repE0EEENS1_30default_config_static_selectorELNS0_4arch9wavefront6targetE0EEEvS12_
    .private_segment_fixed_size: 0
    .sgpr_count:     0
    .sgpr_spill_count: 0
    .symbol:         _ZN7rocprim17ROCPRIM_400000_NS6detail17trampoline_kernelINS0_13select_configILj256ELj13ELNS0_17block_load_methodE3ELS4_3ELS4_3ELNS0_20block_scan_algorithmE0ELj4294967295EEENS1_25partition_config_selectorILNS1_17partition_subalgoE4EjNS0_10empty_typeEbEEZZNS1_14partition_implILS8_4ELb0ES6_15HIP_vector_typeIjLj2EENS0_17counting_iteratorIjlEEPS9_SG_NS0_5tupleIJPjSI_NS0_16reverse_iteratorISI_EEEEENSH_IJSG_SG_SG_EEES9_SI_JZNS1_25segmented_radix_sort_implINS0_14default_configELb1EPKfPfPKlPlN2at6native12_GLOBAL__N_18offset_tEEE10hipError_tPvRmT1_PNSt15iterator_traitsIS12_E10value_typeET2_T3_PNS13_IS18_E10value_typeET4_jRbjT5_S1E_jjP12ihipStream_tbEUljE_ZNSN_ISO_Lb1ESQ_SR_ST_SU_SY_EESZ_S10_S11_S12_S16_S17_S18_S1B_S1C_jS1D_jS1E_S1E_jjS1G_bEUljE0_EEESZ_S10_S11_S18_S1C_S1E_T6_T7_T9_mT8_S1G_bDpT10_ENKUlT_T0_E_clISt17integral_constantIbLb0EES1U_EEDaS1P_S1Q_EUlS1P_E_NS1_11comp_targetILNS1_3genE10ELNS1_11target_archE1200ELNS1_3gpuE4ELNS1_3repE0EEENS1_30default_config_static_selectorELNS0_4arch9wavefront6targetE0EEEvS12_.kd
    .uniform_work_group_size: 1
    .uses_dynamic_stack: false
    .vgpr_count:     0
    .vgpr_spill_count: 0
    .wavefront_size: 32
    .workgroup_processor_mode: 1
  - .args:
      - .offset:         0
        .size:           176
        .value_kind:     by_value
    .group_segment_fixed_size: 13340
    .kernarg_segment_align: 8
    .kernarg_segment_size: 176
    .language:       OpenCL C
    .language_version:
      - 2
      - 0
    .max_flat_workgroup_size: 256
    .name:           _ZN7rocprim17ROCPRIM_400000_NS6detail17trampoline_kernelINS0_13select_configILj256ELj13ELNS0_17block_load_methodE3ELS4_3ELS4_3ELNS0_20block_scan_algorithmE0ELj4294967295EEENS1_25partition_config_selectorILNS1_17partition_subalgoE4EjNS0_10empty_typeEbEEZZNS1_14partition_implILS8_4ELb0ES6_15HIP_vector_typeIjLj2EENS0_17counting_iteratorIjlEEPS9_SG_NS0_5tupleIJPjSI_NS0_16reverse_iteratorISI_EEEEENSH_IJSG_SG_SG_EEES9_SI_JZNS1_25segmented_radix_sort_implINS0_14default_configELb1EPKfPfPKlPlN2at6native12_GLOBAL__N_18offset_tEEE10hipError_tPvRmT1_PNSt15iterator_traitsIS12_E10value_typeET2_T3_PNS13_IS18_E10value_typeET4_jRbjT5_S1E_jjP12ihipStream_tbEUljE_ZNSN_ISO_Lb1ESQ_SR_ST_SU_SY_EESZ_S10_S11_S12_S16_S17_S18_S1B_S1C_jS1D_jS1E_S1E_jjS1G_bEUljE0_EEESZ_S10_S11_S18_S1C_S1E_T6_T7_T9_mT8_S1G_bDpT10_ENKUlT_T0_E_clISt17integral_constantIbLb0EES1U_EEDaS1P_S1Q_EUlS1P_E_NS1_11comp_targetILNS1_3genE9ELNS1_11target_archE1100ELNS1_3gpuE3ELNS1_3repE0EEENS1_30default_config_static_selectorELNS0_4arch9wavefront6targetE0EEEvS12_
    .private_segment_fixed_size: 0
    .sgpr_count:     61
    .sgpr_spill_count: 0
    .symbol:         _ZN7rocprim17ROCPRIM_400000_NS6detail17trampoline_kernelINS0_13select_configILj256ELj13ELNS0_17block_load_methodE3ELS4_3ELS4_3ELNS0_20block_scan_algorithmE0ELj4294967295EEENS1_25partition_config_selectorILNS1_17partition_subalgoE4EjNS0_10empty_typeEbEEZZNS1_14partition_implILS8_4ELb0ES6_15HIP_vector_typeIjLj2EENS0_17counting_iteratorIjlEEPS9_SG_NS0_5tupleIJPjSI_NS0_16reverse_iteratorISI_EEEEENSH_IJSG_SG_SG_EEES9_SI_JZNS1_25segmented_radix_sort_implINS0_14default_configELb1EPKfPfPKlPlN2at6native12_GLOBAL__N_18offset_tEEE10hipError_tPvRmT1_PNSt15iterator_traitsIS12_E10value_typeET2_T3_PNS13_IS18_E10value_typeET4_jRbjT5_S1E_jjP12ihipStream_tbEUljE_ZNSN_ISO_Lb1ESQ_SR_ST_SU_SY_EESZ_S10_S11_S12_S16_S17_S18_S1B_S1C_jS1D_jS1E_S1E_jjS1G_bEUljE0_EEESZ_S10_S11_S18_S1C_S1E_T6_T7_T9_mT8_S1G_bDpT10_ENKUlT_T0_E_clISt17integral_constantIbLb0EES1U_EEDaS1P_S1Q_EUlS1P_E_NS1_11comp_targetILNS1_3genE9ELNS1_11target_archE1100ELNS1_3gpuE3ELNS1_3repE0EEENS1_30default_config_static_selectorELNS0_4arch9wavefront6targetE0EEEvS12_.kd
    .uniform_work_group_size: 1
    .uses_dynamic_stack: false
    .vgpr_count:     98
    .vgpr_spill_count: 0
    .wavefront_size: 32
    .workgroup_processor_mode: 1
  - .args:
      - .offset:         0
        .size:           176
        .value_kind:     by_value
    .group_segment_fixed_size: 0
    .kernarg_segment_align: 8
    .kernarg_segment_size: 176
    .language:       OpenCL C
    .language_version:
      - 2
      - 0
    .max_flat_workgroup_size: 256
    .name:           _ZN7rocprim17ROCPRIM_400000_NS6detail17trampoline_kernelINS0_13select_configILj256ELj13ELNS0_17block_load_methodE3ELS4_3ELS4_3ELNS0_20block_scan_algorithmE0ELj4294967295EEENS1_25partition_config_selectorILNS1_17partition_subalgoE4EjNS0_10empty_typeEbEEZZNS1_14partition_implILS8_4ELb0ES6_15HIP_vector_typeIjLj2EENS0_17counting_iteratorIjlEEPS9_SG_NS0_5tupleIJPjSI_NS0_16reverse_iteratorISI_EEEEENSH_IJSG_SG_SG_EEES9_SI_JZNS1_25segmented_radix_sort_implINS0_14default_configELb1EPKfPfPKlPlN2at6native12_GLOBAL__N_18offset_tEEE10hipError_tPvRmT1_PNSt15iterator_traitsIS12_E10value_typeET2_T3_PNS13_IS18_E10value_typeET4_jRbjT5_S1E_jjP12ihipStream_tbEUljE_ZNSN_ISO_Lb1ESQ_SR_ST_SU_SY_EESZ_S10_S11_S12_S16_S17_S18_S1B_S1C_jS1D_jS1E_S1E_jjS1G_bEUljE0_EEESZ_S10_S11_S18_S1C_S1E_T6_T7_T9_mT8_S1G_bDpT10_ENKUlT_T0_E_clISt17integral_constantIbLb0EES1U_EEDaS1P_S1Q_EUlS1P_E_NS1_11comp_targetILNS1_3genE8ELNS1_11target_archE1030ELNS1_3gpuE2ELNS1_3repE0EEENS1_30default_config_static_selectorELNS0_4arch9wavefront6targetE0EEEvS12_
    .private_segment_fixed_size: 0
    .sgpr_count:     0
    .sgpr_spill_count: 0
    .symbol:         _ZN7rocprim17ROCPRIM_400000_NS6detail17trampoline_kernelINS0_13select_configILj256ELj13ELNS0_17block_load_methodE3ELS4_3ELS4_3ELNS0_20block_scan_algorithmE0ELj4294967295EEENS1_25partition_config_selectorILNS1_17partition_subalgoE4EjNS0_10empty_typeEbEEZZNS1_14partition_implILS8_4ELb0ES6_15HIP_vector_typeIjLj2EENS0_17counting_iteratorIjlEEPS9_SG_NS0_5tupleIJPjSI_NS0_16reverse_iteratorISI_EEEEENSH_IJSG_SG_SG_EEES9_SI_JZNS1_25segmented_radix_sort_implINS0_14default_configELb1EPKfPfPKlPlN2at6native12_GLOBAL__N_18offset_tEEE10hipError_tPvRmT1_PNSt15iterator_traitsIS12_E10value_typeET2_T3_PNS13_IS18_E10value_typeET4_jRbjT5_S1E_jjP12ihipStream_tbEUljE_ZNSN_ISO_Lb1ESQ_SR_ST_SU_SY_EESZ_S10_S11_S12_S16_S17_S18_S1B_S1C_jS1D_jS1E_S1E_jjS1G_bEUljE0_EEESZ_S10_S11_S18_S1C_S1E_T6_T7_T9_mT8_S1G_bDpT10_ENKUlT_T0_E_clISt17integral_constantIbLb0EES1U_EEDaS1P_S1Q_EUlS1P_E_NS1_11comp_targetILNS1_3genE8ELNS1_11target_archE1030ELNS1_3gpuE2ELNS1_3repE0EEENS1_30default_config_static_selectorELNS0_4arch9wavefront6targetE0EEEvS12_.kd
    .uniform_work_group_size: 1
    .uses_dynamic_stack: false
    .vgpr_count:     0
    .vgpr_spill_count: 0
    .wavefront_size: 32
    .workgroup_processor_mode: 1
  - .args:
      - .offset:         0
        .size:           184
        .value_kind:     by_value
    .group_segment_fixed_size: 0
    .kernarg_segment_align: 8
    .kernarg_segment_size: 184
    .language:       OpenCL C
    .language_version:
      - 2
      - 0
    .max_flat_workgroup_size: 256
    .name:           _ZN7rocprim17ROCPRIM_400000_NS6detail17trampoline_kernelINS0_13select_configILj256ELj13ELNS0_17block_load_methodE3ELS4_3ELS4_3ELNS0_20block_scan_algorithmE0ELj4294967295EEENS1_25partition_config_selectorILNS1_17partition_subalgoE4EjNS0_10empty_typeEbEEZZNS1_14partition_implILS8_4ELb0ES6_15HIP_vector_typeIjLj2EENS0_17counting_iteratorIjlEEPS9_SG_NS0_5tupleIJPjSI_NS0_16reverse_iteratorISI_EEEEENSH_IJSG_SG_SG_EEES9_SI_JZNS1_25segmented_radix_sort_implINS0_14default_configELb1EPKfPfPKlPlN2at6native12_GLOBAL__N_18offset_tEEE10hipError_tPvRmT1_PNSt15iterator_traitsIS12_E10value_typeET2_T3_PNS13_IS18_E10value_typeET4_jRbjT5_S1E_jjP12ihipStream_tbEUljE_ZNSN_ISO_Lb1ESQ_SR_ST_SU_SY_EESZ_S10_S11_S12_S16_S17_S18_S1B_S1C_jS1D_jS1E_S1E_jjS1G_bEUljE0_EEESZ_S10_S11_S18_S1C_S1E_T6_T7_T9_mT8_S1G_bDpT10_ENKUlT_T0_E_clISt17integral_constantIbLb1EES1U_EEDaS1P_S1Q_EUlS1P_E_NS1_11comp_targetILNS1_3genE0ELNS1_11target_archE4294967295ELNS1_3gpuE0ELNS1_3repE0EEENS1_30default_config_static_selectorELNS0_4arch9wavefront6targetE0EEEvS12_
    .private_segment_fixed_size: 0
    .sgpr_count:     0
    .sgpr_spill_count: 0
    .symbol:         _ZN7rocprim17ROCPRIM_400000_NS6detail17trampoline_kernelINS0_13select_configILj256ELj13ELNS0_17block_load_methodE3ELS4_3ELS4_3ELNS0_20block_scan_algorithmE0ELj4294967295EEENS1_25partition_config_selectorILNS1_17partition_subalgoE4EjNS0_10empty_typeEbEEZZNS1_14partition_implILS8_4ELb0ES6_15HIP_vector_typeIjLj2EENS0_17counting_iteratorIjlEEPS9_SG_NS0_5tupleIJPjSI_NS0_16reverse_iteratorISI_EEEEENSH_IJSG_SG_SG_EEES9_SI_JZNS1_25segmented_radix_sort_implINS0_14default_configELb1EPKfPfPKlPlN2at6native12_GLOBAL__N_18offset_tEEE10hipError_tPvRmT1_PNSt15iterator_traitsIS12_E10value_typeET2_T3_PNS13_IS18_E10value_typeET4_jRbjT5_S1E_jjP12ihipStream_tbEUljE_ZNSN_ISO_Lb1ESQ_SR_ST_SU_SY_EESZ_S10_S11_S12_S16_S17_S18_S1B_S1C_jS1D_jS1E_S1E_jjS1G_bEUljE0_EEESZ_S10_S11_S18_S1C_S1E_T6_T7_T9_mT8_S1G_bDpT10_ENKUlT_T0_E_clISt17integral_constantIbLb1EES1U_EEDaS1P_S1Q_EUlS1P_E_NS1_11comp_targetILNS1_3genE0ELNS1_11target_archE4294967295ELNS1_3gpuE0ELNS1_3repE0EEENS1_30default_config_static_selectorELNS0_4arch9wavefront6targetE0EEEvS12_.kd
    .uniform_work_group_size: 1
    .uses_dynamic_stack: false
    .vgpr_count:     0
    .vgpr_spill_count: 0
    .wavefront_size: 32
    .workgroup_processor_mode: 1
  - .args:
      - .offset:         0
        .size:           184
        .value_kind:     by_value
    .group_segment_fixed_size: 0
    .kernarg_segment_align: 8
    .kernarg_segment_size: 184
    .language:       OpenCL C
    .language_version:
      - 2
      - 0
    .max_flat_workgroup_size: 256
    .name:           _ZN7rocprim17ROCPRIM_400000_NS6detail17trampoline_kernelINS0_13select_configILj256ELj13ELNS0_17block_load_methodE3ELS4_3ELS4_3ELNS0_20block_scan_algorithmE0ELj4294967295EEENS1_25partition_config_selectorILNS1_17partition_subalgoE4EjNS0_10empty_typeEbEEZZNS1_14partition_implILS8_4ELb0ES6_15HIP_vector_typeIjLj2EENS0_17counting_iteratorIjlEEPS9_SG_NS0_5tupleIJPjSI_NS0_16reverse_iteratorISI_EEEEENSH_IJSG_SG_SG_EEES9_SI_JZNS1_25segmented_radix_sort_implINS0_14default_configELb1EPKfPfPKlPlN2at6native12_GLOBAL__N_18offset_tEEE10hipError_tPvRmT1_PNSt15iterator_traitsIS12_E10value_typeET2_T3_PNS13_IS18_E10value_typeET4_jRbjT5_S1E_jjP12ihipStream_tbEUljE_ZNSN_ISO_Lb1ESQ_SR_ST_SU_SY_EESZ_S10_S11_S12_S16_S17_S18_S1B_S1C_jS1D_jS1E_S1E_jjS1G_bEUljE0_EEESZ_S10_S11_S18_S1C_S1E_T6_T7_T9_mT8_S1G_bDpT10_ENKUlT_T0_E_clISt17integral_constantIbLb1EES1U_EEDaS1P_S1Q_EUlS1P_E_NS1_11comp_targetILNS1_3genE5ELNS1_11target_archE942ELNS1_3gpuE9ELNS1_3repE0EEENS1_30default_config_static_selectorELNS0_4arch9wavefront6targetE0EEEvS12_
    .private_segment_fixed_size: 0
    .sgpr_count:     0
    .sgpr_spill_count: 0
    .symbol:         _ZN7rocprim17ROCPRIM_400000_NS6detail17trampoline_kernelINS0_13select_configILj256ELj13ELNS0_17block_load_methodE3ELS4_3ELS4_3ELNS0_20block_scan_algorithmE0ELj4294967295EEENS1_25partition_config_selectorILNS1_17partition_subalgoE4EjNS0_10empty_typeEbEEZZNS1_14partition_implILS8_4ELb0ES6_15HIP_vector_typeIjLj2EENS0_17counting_iteratorIjlEEPS9_SG_NS0_5tupleIJPjSI_NS0_16reverse_iteratorISI_EEEEENSH_IJSG_SG_SG_EEES9_SI_JZNS1_25segmented_radix_sort_implINS0_14default_configELb1EPKfPfPKlPlN2at6native12_GLOBAL__N_18offset_tEEE10hipError_tPvRmT1_PNSt15iterator_traitsIS12_E10value_typeET2_T3_PNS13_IS18_E10value_typeET4_jRbjT5_S1E_jjP12ihipStream_tbEUljE_ZNSN_ISO_Lb1ESQ_SR_ST_SU_SY_EESZ_S10_S11_S12_S16_S17_S18_S1B_S1C_jS1D_jS1E_S1E_jjS1G_bEUljE0_EEESZ_S10_S11_S18_S1C_S1E_T6_T7_T9_mT8_S1G_bDpT10_ENKUlT_T0_E_clISt17integral_constantIbLb1EES1U_EEDaS1P_S1Q_EUlS1P_E_NS1_11comp_targetILNS1_3genE5ELNS1_11target_archE942ELNS1_3gpuE9ELNS1_3repE0EEENS1_30default_config_static_selectorELNS0_4arch9wavefront6targetE0EEEvS12_.kd
    .uniform_work_group_size: 1
    .uses_dynamic_stack: false
    .vgpr_count:     0
    .vgpr_spill_count: 0
    .wavefront_size: 32
    .workgroup_processor_mode: 1
  - .args:
      - .offset:         0
        .size:           184
        .value_kind:     by_value
    .group_segment_fixed_size: 0
    .kernarg_segment_align: 8
    .kernarg_segment_size: 184
    .language:       OpenCL C
    .language_version:
      - 2
      - 0
    .max_flat_workgroup_size: 256
    .name:           _ZN7rocprim17ROCPRIM_400000_NS6detail17trampoline_kernelINS0_13select_configILj256ELj13ELNS0_17block_load_methodE3ELS4_3ELS4_3ELNS0_20block_scan_algorithmE0ELj4294967295EEENS1_25partition_config_selectorILNS1_17partition_subalgoE4EjNS0_10empty_typeEbEEZZNS1_14partition_implILS8_4ELb0ES6_15HIP_vector_typeIjLj2EENS0_17counting_iteratorIjlEEPS9_SG_NS0_5tupleIJPjSI_NS0_16reverse_iteratorISI_EEEEENSH_IJSG_SG_SG_EEES9_SI_JZNS1_25segmented_radix_sort_implINS0_14default_configELb1EPKfPfPKlPlN2at6native12_GLOBAL__N_18offset_tEEE10hipError_tPvRmT1_PNSt15iterator_traitsIS12_E10value_typeET2_T3_PNS13_IS18_E10value_typeET4_jRbjT5_S1E_jjP12ihipStream_tbEUljE_ZNSN_ISO_Lb1ESQ_SR_ST_SU_SY_EESZ_S10_S11_S12_S16_S17_S18_S1B_S1C_jS1D_jS1E_S1E_jjS1G_bEUljE0_EEESZ_S10_S11_S18_S1C_S1E_T6_T7_T9_mT8_S1G_bDpT10_ENKUlT_T0_E_clISt17integral_constantIbLb1EES1U_EEDaS1P_S1Q_EUlS1P_E_NS1_11comp_targetILNS1_3genE4ELNS1_11target_archE910ELNS1_3gpuE8ELNS1_3repE0EEENS1_30default_config_static_selectorELNS0_4arch9wavefront6targetE0EEEvS12_
    .private_segment_fixed_size: 0
    .sgpr_count:     0
    .sgpr_spill_count: 0
    .symbol:         _ZN7rocprim17ROCPRIM_400000_NS6detail17trampoline_kernelINS0_13select_configILj256ELj13ELNS0_17block_load_methodE3ELS4_3ELS4_3ELNS0_20block_scan_algorithmE0ELj4294967295EEENS1_25partition_config_selectorILNS1_17partition_subalgoE4EjNS0_10empty_typeEbEEZZNS1_14partition_implILS8_4ELb0ES6_15HIP_vector_typeIjLj2EENS0_17counting_iteratorIjlEEPS9_SG_NS0_5tupleIJPjSI_NS0_16reverse_iteratorISI_EEEEENSH_IJSG_SG_SG_EEES9_SI_JZNS1_25segmented_radix_sort_implINS0_14default_configELb1EPKfPfPKlPlN2at6native12_GLOBAL__N_18offset_tEEE10hipError_tPvRmT1_PNSt15iterator_traitsIS12_E10value_typeET2_T3_PNS13_IS18_E10value_typeET4_jRbjT5_S1E_jjP12ihipStream_tbEUljE_ZNSN_ISO_Lb1ESQ_SR_ST_SU_SY_EESZ_S10_S11_S12_S16_S17_S18_S1B_S1C_jS1D_jS1E_S1E_jjS1G_bEUljE0_EEESZ_S10_S11_S18_S1C_S1E_T6_T7_T9_mT8_S1G_bDpT10_ENKUlT_T0_E_clISt17integral_constantIbLb1EES1U_EEDaS1P_S1Q_EUlS1P_E_NS1_11comp_targetILNS1_3genE4ELNS1_11target_archE910ELNS1_3gpuE8ELNS1_3repE0EEENS1_30default_config_static_selectorELNS0_4arch9wavefront6targetE0EEEvS12_.kd
    .uniform_work_group_size: 1
    .uses_dynamic_stack: false
    .vgpr_count:     0
    .vgpr_spill_count: 0
    .wavefront_size: 32
    .workgroup_processor_mode: 1
  - .args:
      - .offset:         0
        .size:           184
        .value_kind:     by_value
    .group_segment_fixed_size: 0
    .kernarg_segment_align: 8
    .kernarg_segment_size: 184
    .language:       OpenCL C
    .language_version:
      - 2
      - 0
    .max_flat_workgroup_size: 256
    .name:           _ZN7rocprim17ROCPRIM_400000_NS6detail17trampoline_kernelINS0_13select_configILj256ELj13ELNS0_17block_load_methodE3ELS4_3ELS4_3ELNS0_20block_scan_algorithmE0ELj4294967295EEENS1_25partition_config_selectorILNS1_17partition_subalgoE4EjNS0_10empty_typeEbEEZZNS1_14partition_implILS8_4ELb0ES6_15HIP_vector_typeIjLj2EENS0_17counting_iteratorIjlEEPS9_SG_NS0_5tupleIJPjSI_NS0_16reverse_iteratorISI_EEEEENSH_IJSG_SG_SG_EEES9_SI_JZNS1_25segmented_radix_sort_implINS0_14default_configELb1EPKfPfPKlPlN2at6native12_GLOBAL__N_18offset_tEEE10hipError_tPvRmT1_PNSt15iterator_traitsIS12_E10value_typeET2_T3_PNS13_IS18_E10value_typeET4_jRbjT5_S1E_jjP12ihipStream_tbEUljE_ZNSN_ISO_Lb1ESQ_SR_ST_SU_SY_EESZ_S10_S11_S12_S16_S17_S18_S1B_S1C_jS1D_jS1E_S1E_jjS1G_bEUljE0_EEESZ_S10_S11_S18_S1C_S1E_T6_T7_T9_mT8_S1G_bDpT10_ENKUlT_T0_E_clISt17integral_constantIbLb1EES1U_EEDaS1P_S1Q_EUlS1P_E_NS1_11comp_targetILNS1_3genE3ELNS1_11target_archE908ELNS1_3gpuE7ELNS1_3repE0EEENS1_30default_config_static_selectorELNS0_4arch9wavefront6targetE0EEEvS12_
    .private_segment_fixed_size: 0
    .sgpr_count:     0
    .sgpr_spill_count: 0
    .symbol:         _ZN7rocprim17ROCPRIM_400000_NS6detail17trampoline_kernelINS0_13select_configILj256ELj13ELNS0_17block_load_methodE3ELS4_3ELS4_3ELNS0_20block_scan_algorithmE0ELj4294967295EEENS1_25partition_config_selectorILNS1_17partition_subalgoE4EjNS0_10empty_typeEbEEZZNS1_14partition_implILS8_4ELb0ES6_15HIP_vector_typeIjLj2EENS0_17counting_iteratorIjlEEPS9_SG_NS0_5tupleIJPjSI_NS0_16reverse_iteratorISI_EEEEENSH_IJSG_SG_SG_EEES9_SI_JZNS1_25segmented_radix_sort_implINS0_14default_configELb1EPKfPfPKlPlN2at6native12_GLOBAL__N_18offset_tEEE10hipError_tPvRmT1_PNSt15iterator_traitsIS12_E10value_typeET2_T3_PNS13_IS18_E10value_typeET4_jRbjT5_S1E_jjP12ihipStream_tbEUljE_ZNSN_ISO_Lb1ESQ_SR_ST_SU_SY_EESZ_S10_S11_S12_S16_S17_S18_S1B_S1C_jS1D_jS1E_S1E_jjS1G_bEUljE0_EEESZ_S10_S11_S18_S1C_S1E_T6_T7_T9_mT8_S1G_bDpT10_ENKUlT_T0_E_clISt17integral_constantIbLb1EES1U_EEDaS1P_S1Q_EUlS1P_E_NS1_11comp_targetILNS1_3genE3ELNS1_11target_archE908ELNS1_3gpuE7ELNS1_3repE0EEENS1_30default_config_static_selectorELNS0_4arch9wavefront6targetE0EEEvS12_.kd
    .uniform_work_group_size: 1
    .uses_dynamic_stack: false
    .vgpr_count:     0
    .vgpr_spill_count: 0
    .wavefront_size: 32
    .workgroup_processor_mode: 1
  - .args:
      - .offset:         0
        .size:           184
        .value_kind:     by_value
    .group_segment_fixed_size: 0
    .kernarg_segment_align: 8
    .kernarg_segment_size: 184
    .language:       OpenCL C
    .language_version:
      - 2
      - 0
    .max_flat_workgroup_size: 256
    .name:           _ZN7rocprim17ROCPRIM_400000_NS6detail17trampoline_kernelINS0_13select_configILj256ELj13ELNS0_17block_load_methodE3ELS4_3ELS4_3ELNS0_20block_scan_algorithmE0ELj4294967295EEENS1_25partition_config_selectorILNS1_17partition_subalgoE4EjNS0_10empty_typeEbEEZZNS1_14partition_implILS8_4ELb0ES6_15HIP_vector_typeIjLj2EENS0_17counting_iteratorIjlEEPS9_SG_NS0_5tupleIJPjSI_NS0_16reverse_iteratorISI_EEEEENSH_IJSG_SG_SG_EEES9_SI_JZNS1_25segmented_radix_sort_implINS0_14default_configELb1EPKfPfPKlPlN2at6native12_GLOBAL__N_18offset_tEEE10hipError_tPvRmT1_PNSt15iterator_traitsIS12_E10value_typeET2_T3_PNS13_IS18_E10value_typeET4_jRbjT5_S1E_jjP12ihipStream_tbEUljE_ZNSN_ISO_Lb1ESQ_SR_ST_SU_SY_EESZ_S10_S11_S12_S16_S17_S18_S1B_S1C_jS1D_jS1E_S1E_jjS1G_bEUljE0_EEESZ_S10_S11_S18_S1C_S1E_T6_T7_T9_mT8_S1G_bDpT10_ENKUlT_T0_E_clISt17integral_constantIbLb1EES1U_EEDaS1P_S1Q_EUlS1P_E_NS1_11comp_targetILNS1_3genE2ELNS1_11target_archE906ELNS1_3gpuE6ELNS1_3repE0EEENS1_30default_config_static_selectorELNS0_4arch9wavefront6targetE0EEEvS12_
    .private_segment_fixed_size: 0
    .sgpr_count:     0
    .sgpr_spill_count: 0
    .symbol:         _ZN7rocprim17ROCPRIM_400000_NS6detail17trampoline_kernelINS0_13select_configILj256ELj13ELNS0_17block_load_methodE3ELS4_3ELS4_3ELNS0_20block_scan_algorithmE0ELj4294967295EEENS1_25partition_config_selectorILNS1_17partition_subalgoE4EjNS0_10empty_typeEbEEZZNS1_14partition_implILS8_4ELb0ES6_15HIP_vector_typeIjLj2EENS0_17counting_iteratorIjlEEPS9_SG_NS0_5tupleIJPjSI_NS0_16reverse_iteratorISI_EEEEENSH_IJSG_SG_SG_EEES9_SI_JZNS1_25segmented_radix_sort_implINS0_14default_configELb1EPKfPfPKlPlN2at6native12_GLOBAL__N_18offset_tEEE10hipError_tPvRmT1_PNSt15iterator_traitsIS12_E10value_typeET2_T3_PNS13_IS18_E10value_typeET4_jRbjT5_S1E_jjP12ihipStream_tbEUljE_ZNSN_ISO_Lb1ESQ_SR_ST_SU_SY_EESZ_S10_S11_S12_S16_S17_S18_S1B_S1C_jS1D_jS1E_S1E_jjS1G_bEUljE0_EEESZ_S10_S11_S18_S1C_S1E_T6_T7_T9_mT8_S1G_bDpT10_ENKUlT_T0_E_clISt17integral_constantIbLb1EES1U_EEDaS1P_S1Q_EUlS1P_E_NS1_11comp_targetILNS1_3genE2ELNS1_11target_archE906ELNS1_3gpuE6ELNS1_3repE0EEENS1_30default_config_static_selectorELNS0_4arch9wavefront6targetE0EEEvS12_.kd
    .uniform_work_group_size: 1
    .uses_dynamic_stack: false
    .vgpr_count:     0
    .vgpr_spill_count: 0
    .wavefront_size: 32
    .workgroup_processor_mode: 1
  - .args:
      - .offset:         0
        .size:           184
        .value_kind:     by_value
    .group_segment_fixed_size: 0
    .kernarg_segment_align: 8
    .kernarg_segment_size: 184
    .language:       OpenCL C
    .language_version:
      - 2
      - 0
    .max_flat_workgroup_size: 256
    .name:           _ZN7rocprim17ROCPRIM_400000_NS6detail17trampoline_kernelINS0_13select_configILj256ELj13ELNS0_17block_load_methodE3ELS4_3ELS4_3ELNS0_20block_scan_algorithmE0ELj4294967295EEENS1_25partition_config_selectorILNS1_17partition_subalgoE4EjNS0_10empty_typeEbEEZZNS1_14partition_implILS8_4ELb0ES6_15HIP_vector_typeIjLj2EENS0_17counting_iteratorIjlEEPS9_SG_NS0_5tupleIJPjSI_NS0_16reverse_iteratorISI_EEEEENSH_IJSG_SG_SG_EEES9_SI_JZNS1_25segmented_radix_sort_implINS0_14default_configELb1EPKfPfPKlPlN2at6native12_GLOBAL__N_18offset_tEEE10hipError_tPvRmT1_PNSt15iterator_traitsIS12_E10value_typeET2_T3_PNS13_IS18_E10value_typeET4_jRbjT5_S1E_jjP12ihipStream_tbEUljE_ZNSN_ISO_Lb1ESQ_SR_ST_SU_SY_EESZ_S10_S11_S12_S16_S17_S18_S1B_S1C_jS1D_jS1E_S1E_jjS1G_bEUljE0_EEESZ_S10_S11_S18_S1C_S1E_T6_T7_T9_mT8_S1G_bDpT10_ENKUlT_T0_E_clISt17integral_constantIbLb1EES1U_EEDaS1P_S1Q_EUlS1P_E_NS1_11comp_targetILNS1_3genE10ELNS1_11target_archE1200ELNS1_3gpuE4ELNS1_3repE0EEENS1_30default_config_static_selectorELNS0_4arch9wavefront6targetE0EEEvS12_
    .private_segment_fixed_size: 0
    .sgpr_count:     0
    .sgpr_spill_count: 0
    .symbol:         _ZN7rocprim17ROCPRIM_400000_NS6detail17trampoline_kernelINS0_13select_configILj256ELj13ELNS0_17block_load_methodE3ELS4_3ELS4_3ELNS0_20block_scan_algorithmE0ELj4294967295EEENS1_25partition_config_selectorILNS1_17partition_subalgoE4EjNS0_10empty_typeEbEEZZNS1_14partition_implILS8_4ELb0ES6_15HIP_vector_typeIjLj2EENS0_17counting_iteratorIjlEEPS9_SG_NS0_5tupleIJPjSI_NS0_16reverse_iteratorISI_EEEEENSH_IJSG_SG_SG_EEES9_SI_JZNS1_25segmented_radix_sort_implINS0_14default_configELb1EPKfPfPKlPlN2at6native12_GLOBAL__N_18offset_tEEE10hipError_tPvRmT1_PNSt15iterator_traitsIS12_E10value_typeET2_T3_PNS13_IS18_E10value_typeET4_jRbjT5_S1E_jjP12ihipStream_tbEUljE_ZNSN_ISO_Lb1ESQ_SR_ST_SU_SY_EESZ_S10_S11_S12_S16_S17_S18_S1B_S1C_jS1D_jS1E_S1E_jjS1G_bEUljE0_EEESZ_S10_S11_S18_S1C_S1E_T6_T7_T9_mT8_S1G_bDpT10_ENKUlT_T0_E_clISt17integral_constantIbLb1EES1U_EEDaS1P_S1Q_EUlS1P_E_NS1_11comp_targetILNS1_3genE10ELNS1_11target_archE1200ELNS1_3gpuE4ELNS1_3repE0EEENS1_30default_config_static_selectorELNS0_4arch9wavefront6targetE0EEEvS12_.kd
    .uniform_work_group_size: 1
    .uses_dynamic_stack: false
    .vgpr_count:     0
    .vgpr_spill_count: 0
    .wavefront_size: 32
    .workgroup_processor_mode: 1
  - .args:
      - .offset:         0
        .size:           184
        .value_kind:     by_value
    .group_segment_fixed_size: 13340
    .kernarg_segment_align: 8
    .kernarg_segment_size: 184
    .language:       OpenCL C
    .language_version:
      - 2
      - 0
    .max_flat_workgroup_size: 256
    .name:           _ZN7rocprim17ROCPRIM_400000_NS6detail17trampoline_kernelINS0_13select_configILj256ELj13ELNS0_17block_load_methodE3ELS4_3ELS4_3ELNS0_20block_scan_algorithmE0ELj4294967295EEENS1_25partition_config_selectorILNS1_17partition_subalgoE4EjNS0_10empty_typeEbEEZZNS1_14partition_implILS8_4ELb0ES6_15HIP_vector_typeIjLj2EENS0_17counting_iteratorIjlEEPS9_SG_NS0_5tupleIJPjSI_NS0_16reverse_iteratorISI_EEEEENSH_IJSG_SG_SG_EEES9_SI_JZNS1_25segmented_radix_sort_implINS0_14default_configELb1EPKfPfPKlPlN2at6native12_GLOBAL__N_18offset_tEEE10hipError_tPvRmT1_PNSt15iterator_traitsIS12_E10value_typeET2_T3_PNS13_IS18_E10value_typeET4_jRbjT5_S1E_jjP12ihipStream_tbEUljE_ZNSN_ISO_Lb1ESQ_SR_ST_SU_SY_EESZ_S10_S11_S12_S16_S17_S18_S1B_S1C_jS1D_jS1E_S1E_jjS1G_bEUljE0_EEESZ_S10_S11_S18_S1C_S1E_T6_T7_T9_mT8_S1G_bDpT10_ENKUlT_T0_E_clISt17integral_constantIbLb1EES1U_EEDaS1P_S1Q_EUlS1P_E_NS1_11comp_targetILNS1_3genE9ELNS1_11target_archE1100ELNS1_3gpuE3ELNS1_3repE0EEENS1_30default_config_static_selectorELNS0_4arch9wavefront6targetE0EEEvS12_
    .private_segment_fixed_size: 0
    .sgpr_count:     57
    .sgpr_spill_count: 0
    .symbol:         _ZN7rocprim17ROCPRIM_400000_NS6detail17trampoline_kernelINS0_13select_configILj256ELj13ELNS0_17block_load_methodE3ELS4_3ELS4_3ELNS0_20block_scan_algorithmE0ELj4294967295EEENS1_25partition_config_selectorILNS1_17partition_subalgoE4EjNS0_10empty_typeEbEEZZNS1_14partition_implILS8_4ELb0ES6_15HIP_vector_typeIjLj2EENS0_17counting_iteratorIjlEEPS9_SG_NS0_5tupleIJPjSI_NS0_16reverse_iteratorISI_EEEEENSH_IJSG_SG_SG_EEES9_SI_JZNS1_25segmented_radix_sort_implINS0_14default_configELb1EPKfPfPKlPlN2at6native12_GLOBAL__N_18offset_tEEE10hipError_tPvRmT1_PNSt15iterator_traitsIS12_E10value_typeET2_T3_PNS13_IS18_E10value_typeET4_jRbjT5_S1E_jjP12ihipStream_tbEUljE_ZNSN_ISO_Lb1ESQ_SR_ST_SU_SY_EESZ_S10_S11_S12_S16_S17_S18_S1B_S1C_jS1D_jS1E_S1E_jjS1G_bEUljE0_EEESZ_S10_S11_S18_S1C_S1E_T6_T7_T9_mT8_S1G_bDpT10_ENKUlT_T0_E_clISt17integral_constantIbLb1EES1U_EEDaS1P_S1Q_EUlS1P_E_NS1_11comp_targetILNS1_3genE9ELNS1_11target_archE1100ELNS1_3gpuE3ELNS1_3repE0EEENS1_30default_config_static_selectorELNS0_4arch9wavefront6targetE0EEEvS12_.kd
    .uniform_work_group_size: 1
    .uses_dynamic_stack: false
    .vgpr_count:     103
    .vgpr_spill_count: 0
    .wavefront_size: 32
    .workgroup_processor_mode: 1
  - .args:
      - .offset:         0
        .size:           184
        .value_kind:     by_value
    .group_segment_fixed_size: 0
    .kernarg_segment_align: 8
    .kernarg_segment_size: 184
    .language:       OpenCL C
    .language_version:
      - 2
      - 0
    .max_flat_workgroup_size: 256
    .name:           _ZN7rocprim17ROCPRIM_400000_NS6detail17trampoline_kernelINS0_13select_configILj256ELj13ELNS0_17block_load_methodE3ELS4_3ELS4_3ELNS0_20block_scan_algorithmE0ELj4294967295EEENS1_25partition_config_selectorILNS1_17partition_subalgoE4EjNS0_10empty_typeEbEEZZNS1_14partition_implILS8_4ELb0ES6_15HIP_vector_typeIjLj2EENS0_17counting_iteratorIjlEEPS9_SG_NS0_5tupleIJPjSI_NS0_16reverse_iteratorISI_EEEEENSH_IJSG_SG_SG_EEES9_SI_JZNS1_25segmented_radix_sort_implINS0_14default_configELb1EPKfPfPKlPlN2at6native12_GLOBAL__N_18offset_tEEE10hipError_tPvRmT1_PNSt15iterator_traitsIS12_E10value_typeET2_T3_PNS13_IS18_E10value_typeET4_jRbjT5_S1E_jjP12ihipStream_tbEUljE_ZNSN_ISO_Lb1ESQ_SR_ST_SU_SY_EESZ_S10_S11_S12_S16_S17_S18_S1B_S1C_jS1D_jS1E_S1E_jjS1G_bEUljE0_EEESZ_S10_S11_S18_S1C_S1E_T6_T7_T9_mT8_S1G_bDpT10_ENKUlT_T0_E_clISt17integral_constantIbLb1EES1U_EEDaS1P_S1Q_EUlS1P_E_NS1_11comp_targetILNS1_3genE8ELNS1_11target_archE1030ELNS1_3gpuE2ELNS1_3repE0EEENS1_30default_config_static_selectorELNS0_4arch9wavefront6targetE0EEEvS12_
    .private_segment_fixed_size: 0
    .sgpr_count:     0
    .sgpr_spill_count: 0
    .symbol:         _ZN7rocprim17ROCPRIM_400000_NS6detail17trampoline_kernelINS0_13select_configILj256ELj13ELNS0_17block_load_methodE3ELS4_3ELS4_3ELNS0_20block_scan_algorithmE0ELj4294967295EEENS1_25partition_config_selectorILNS1_17partition_subalgoE4EjNS0_10empty_typeEbEEZZNS1_14partition_implILS8_4ELb0ES6_15HIP_vector_typeIjLj2EENS0_17counting_iteratorIjlEEPS9_SG_NS0_5tupleIJPjSI_NS0_16reverse_iteratorISI_EEEEENSH_IJSG_SG_SG_EEES9_SI_JZNS1_25segmented_radix_sort_implINS0_14default_configELb1EPKfPfPKlPlN2at6native12_GLOBAL__N_18offset_tEEE10hipError_tPvRmT1_PNSt15iterator_traitsIS12_E10value_typeET2_T3_PNS13_IS18_E10value_typeET4_jRbjT5_S1E_jjP12ihipStream_tbEUljE_ZNSN_ISO_Lb1ESQ_SR_ST_SU_SY_EESZ_S10_S11_S12_S16_S17_S18_S1B_S1C_jS1D_jS1E_S1E_jjS1G_bEUljE0_EEESZ_S10_S11_S18_S1C_S1E_T6_T7_T9_mT8_S1G_bDpT10_ENKUlT_T0_E_clISt17integral_constantIbLb1EES1U_EEDaS1P_S1Q_EUlS1P_E_NS1_11comp_targetILNS1_3genE8ELNS1_11target_archE1030ELNS1_3gpuE2ELNS1_3repE0EEENS1_30default_config_static_selectorELNS0_4arch9wavefront6targetE0EEEvS12_.kd
    .uniform_work_group_size: 1
    .uses_dynamic_stack: false
    .vgpr_count:     0
    .vgpr_spill_count: 0
    .wavefront_size: 32
    .workgroup_processor_mode: 1
  - .args:
      - .offset:         0
        .size:           176
        .value_kind:     by_value
    .group_segment_fixed_size: 0
    .kernarg_segment_align: 8
    .kernarg_segment_size: 176
    .language:       OpenCL C
    .language_version:
      - 2
      - 0
    .max_flat_workgroup_size: 256
    .name:           _ZN7rocprim17ROCPRIM_400000_NS6detail17trampoline_kernelINS0_13select_configILj256ELj13ELNS0_17block_load_methodE3ELS4_3ELS4_3ELNS0_20block_scan_algorithmE0ELj4294967295EEENS1_25partition_config_selectorILNS1_17partition_subalgoE4EjNS0_10empty_typeEbEEZZNS1_14partition_implILS8_4ELb0ES6_15HIP_vector_typeIjLj2EENS0_17counting_iteratorIjlEEPS9_SG_NS0_5tupleIJPjSI_NS0_16reverse_iteratorISI_EEEEENSH_IJSG_SG_SG_EEES9_SI_JZNS1_25segmented_radix_sort_implINS0_14default_configELb1EPKfPfPKlPlN2at6native12_GLOBAL__N_18offset_tEEE10hipError_tPvRmT1_PNSt15iterator_traitsIS12_E10value_typeET2_T3_PNS13_IS18_E10value_typeET4_jRbjT5_S1E_jjP12ihipStream_tbEUljE_ZNSN_ISO_Lb1ESQ_SR_ST_SU_SY_EESZ_S10_S11_S12_S16_S17_S18_S1B_S1C_jS1D_jS1E_S1E_jjS1G_bEUljE0_EEESZ_S10_S11_S18_S1C_S1E_T6_T7_T9_mT8_S1G_bDpT10_ENKUlT_T0_E_clISt17integral_constantIbLb1EES1T_IbLb0EEEEDaS1P_S1Q_EUlS1P_E_NS1_11comp_targetILNS1_3genE0ELNS1_11target_archE4294967295ELNS1_3gpuE0ELNS1_3repE0EEENS1_30default_config_static_selectorELNS0_4arch9wavefront6targetE0EEEvS12_
    .private_segment_fixed_size: 0
    .sgpr_count:     0
    .sgpr_spill_count: 0
    .symbol:         _ZN7rocprim17ROCPRIM_400000_NS6detail17trampoline_kernelINS0_13select_configILj256ELj13ELNS0_17block_load_methodE3ELS4_3ELS4_3ELNS0_20block_scan_algorithmE0ELj4294967295EEENS1_25partition_config_selectorILNS1_17partition_subalgoE4EjNS0_10empty_typeEbEEZZNS1_14partition_implILS8_4ELb0ES6_15HIP_vector_typeIjLj2EENS0_17counting_iteratorIjlEEPS9_SG_NS0_5tupleIJPjSI_NS0_16reverse_iteratorISI_EEEEENSH_IJSG_SG_SG_EEES9_SI_JZNS1_25segmented_radix_sort_implINS0_14default_configELb1EPKfPfPKlPlN2at6native12_GLOBAL__N_18offset_tEEE10hipError_tPvRmT1_PNSt15iterator_traitsIS12_E10value_typeET2_T3_PNS13_IS18_E10value_typeET4_jRbjT5_S1E_jjP12ihipStream_tbEUljE_ZNSN_ISO_Lb1ESQ_SR_ST_SU_SY_EESZ_S10_S11_S12_S16_S17_S18_S1B_S1C_jS1D_jS1E_S1E_jjS1G_bEUljE0_EEESZ_S10_S11_S18_S1C_S1E_T6_T7_T9_mT8_S1G_bDpT10_ENKUlT_T0_E_clISt17integral_constantIbLb1EES1T_IbLb0EEEEDaS1P_S1Q_EUlS1P_E_NS1_11comp_targetILNS1_3genE0ELNS1_11target_archE4294967295ELNS1_3gpuE0ELNS1_3repE0EEENS1_30default_config_static_selectorELNS0_4arch9wavefront6targetE0EEEvS12_.kd
    .uniform_work_group_size: 1
    .uses_dynamic_stack: false
    .vgpr_count:     0
    .vgpr_spill_count: 0
    .wavefront_size: 32
    .workgroup_processor_mode: 1
  - .args:
      - .offset:         0
        .size:           176
        .value_kind:     by_value
    .group_segment_fixed_size: 0
    .kernarg_segment_align: 8
    .kernarg_segment_size: 176
    .language:       OpenCL C
    .language_version:
      - 2
      - 0
    .max_flat_workgroup_size: 256
    .name:           _ZN7rocprim17ROCPRIM_400000_NS6detail17trampoline_kernelINS0_13select_configILj256ELj13ELNS0_17block_load_methodE3ELS4_3ELS4_3ELNS0_20block_scan_algorithmE0ELj4294967295EEENS1_25partition_config_selectorILNS1_17partition_subalgoE4EjNS0_10empty_typeEbEEZZNS1_14partition_implILS8_4ELb0ES6_15HIP_vector_typeIjLj2EENS0_17counting_iteratorIjlEEPS9_SG_NS0_5tupleIJPjSI_NS0_16reverse_iteratorISI_EEEEENSH_IJSG_SG_SG_EEES9_SI_JZNS1_25segmented_radix_sort_implINS0_14default_configELb1EPKfPfPKlPlN2at6native12_GLOBAL__N_18offset_tEEE10hipError_tPvRmT1_PNSt15iterator_traitsIS12_E10value_typeET2_T3_PNS13_IS18_E10value_typeET4_jRbjT5_S1E_jjP12ihipStream_tbEUljE_ZNSN_ISO_Lb1ESQ_SR_ST_SU_SY_EESZ_S10_S11_S12_S16_S17_S18_S1B_S1C_jS1D_jS1E_S1E_jjS1G_bEUljE0_EEESZ_S10_S11_S18_S1C_S1E_T6_T7_T9_mT8_S1G_bDpT10_ENKUlT_T0_E_clISt17integral_constantIbLb1EES1T_IbLb0EEEEDaS1P_S1Q_EUlS1P_E_NS1_11comp_targetILNS1_3genE5ELNS1_11target_archE942ELNS1_3gpuE9ELNS1_3repE0EEENS1_30default_config_static_selectorELNS0_4arch9wavefront6targetE0EEEvS12_
    .private_segment_fixed_size: 0
    .sgpr_count:     0
    .sgpr_spill_count: 0
    .symbol:         _ZN7rocprim17ROCPRIM_400000_NS6detail17trampoline_kernelINS0_13select_configILj256ELj13ELNS0_17block_load_methodE3ELS4_3ELS4_3ELNS0_20block_scan_algorithmE0ELj4294967295EEENS1_25partition_config_selectorILNS1_17partition_subalgoE4EjNS0_10empty_typeEbEEZZNS1_14partition_implILS8_4ELb0ES6_15HIP_vector_typeIjLj2EENS0_17counting_iteratorIjlEEPS9_SG_NS0_5tupleIJPjSI_NS0_16reverse_iteratorISI_EEEEENSH_IJSG_SG_SG_EEES9_SI_JZNS1_25segmented_radix_sort_implINS0_14default_configELb1EPKfPfPKlPlN2at6native12_GLOBAL__N_18offset_tEEE10hipError_tPvRmT1_PNSt15iterator_traitsIS12_E10value_typeET2_T3_PNS13_IS18_E10value_typeET4_jRbjT5_S1E_jjP12ihipStream_tbEUljE_ZNSN_ISO_Lb1ESQ_SR_ST_SU_SY_EESZ_S10_S11_S12_S16_S17_S18_S1B_S1C_jS1D_jS1E_S1E_jjS1G_bEUljE0_EEESZ_S10_S11_S18_S1C_S1E_T6_T7_T9_mT8_S1G_bDpT10_ENKUlT_T0_E_clISt17integral_constantIbLb1EES1T_IbLb0EEEEDaS1P_S1Q_EUlS1P_E_NS1_11comp_targetILNS1_3genE5ELNS1_11target_archE942ELNS1_3gpuE9ELNS1_3repE0EEENS1_30default_config_static_selectorELNS0_4arch9wavefront6targetE0EEEvS12_.kd
    .uniform_work_group_size: 1
    .uses_dynamic_stack: false
    .vgpr_count:     0
    .vgpr_spill_count: 0
    .wavefront_size: 32
    .workgroup_processor_mode: 1
  - .args:
      - .offset:         0
        .size:           176
        .value_kind:     by_value
    .group_segment_fixed_size: 0
    .kernarg_segment_align: 8
    .kernarg_segment_size: 176
    .language:       OpenCL C
    .language_version:
      - 2
      - 0
    .max_flat_workgroup_size: 256
    .name:           _ZN7rocprim17ROCPRIM_400000_NS6detail17trampoline_kernelINS0_13select_configILj256ELj13ELNS0_17block_load_methodE3ELS4_3ELS4_3ELNS0_20block_scan_algorithmE0ELj4294967295EEENS1_25partition_config_selectorILNS1_17partition_subalgoE4EjNS0_10empty_typeEbEEZZNS1_14partition_implILS8_4ELb0ES6_15HIP_vector_typeIjLj2EENS0_17counting_iteratorIjlEEPS9_SG_NS0_5tupleIJPjSI_NS0_16reverse_iteratorISI_EEEEENSH_IJSG_SG_SG_EEES9_SI_JZNS1_25segmented_radix_sort_implINS0_14default_configELb1EPKfPfPKlPlN2at6native12_GLOBAL__N_18offset_tEEE10hipError_tPvRmT1_PNSt15iterator_traitsIS12_E10value_typeET2_T3_PNS13_IS18_E10value_typeET4_jRbjT5_S1E_jjP12ihipStream_tbEUljE_ZNSN_ISO_Lb1ESQ_SR_ST_SU_SY_EESZ_S10_S11_S12_S16_S17_S18_S1B_S1C_jS1D_jS1E_S1E_jjS1G_bEUljE0_EEESZ_S10_S11_S18_S1C_S1E_T6_T7_T9_mT8_S1G_bDpT10_ENKUlT_T0_E_clISt17integral_constantIbLb1EES1T_IbLb0EEEEDaS1P_S1Q_EUlS1P_E_NS1_11comp_targetILNS1_3genE4ELNS1_11target_archE910ELNS1_3gpuE8ELNS1_3repE0EEENS1_30default_config_static_selectorELNS0_4arch9wavefront6targetE0EEEvS12_
    .private_segment_fixed_size: 0
    .sgpr_count:     0
    .sgpr_spill_count: 0
    .symbol:         _ZN7rocprim17ROCPRIM_400000_NS6detail17trampoline_kernelINS0_13select_configILj256ELj13ELNS0_17block_load_methodE3ELS4_3ELS4_3ELNS0_20block_scan_algorithmE0ELj4294967295EEENS1_25partition_config_selectorILNS1_17partition_subalgoE4EjNS0_10empty_typeEbEEZZNS1_14partition_implILS8_4ELb0ES6_15HIP_vector_typeIjLj2EENS0_17counting_iteratorIjlEEPS9_SG_NS0_5tupleIJPjSI_NS0_16reverse_iteratorISI_EEEEENSH_IJSG_SG_SG_EEES9_SI_JZNS1_25segmented_radix_sort_implINS0_14default_configELb1EPKfPfPKlPlN2at6native12_GLOBAL__N_18offset_tEEE10hipError_tPvRmT1_PNSt15iterator_traitsIS12_E10value_typeET2_T3_PNS13_IS18_E10value_typeET4_jRbjT5_S1E_jjP12ihipStream_tbEUljE_ZNSN_ISO_Lb1ESQ_SR_ST_SU_SY_EESZ_S10_S11_S12_S16_S17_S18_S1B_S1C_jS1D_jS1E_S1E_jjS1G_bEUljE0_EEESZ_S10_S11_S18_S1C_S1E_T6_T7_T9_mT8_S1G_bDpT10_ENKUlT_T0_E_clISt17integral_constantIbLb1EES1T_IbLb0EEEEDaS1P_S1Q_EUlS1P_E_NS1_11comp_targetILNS1_3genE4ELNS1_11target_archE910ELNS1_3gpuE8ELNS1_3repE0EEENS1_30default_config_static_selectorELNS0_4arch9wavefront6targetE0EEEvS12_.kd
    .uniform_work_group_size: 1
    .uses_dynamic_stack: false
    .vgpr_count:     0
    .vgpr_spill_count: 0
    .wavefront_size: 32
    .workgroup_processor_mode: 1
  - .args:
      - .offset:         0
        .size:           176
        .value_kind:     by_value
    .group_segment_fixed_size: 0
    .kernarg_segment_align: 8
    .kernarg_segment_size: 176
    .language:       OpenCL C
    .language_version:
      - 2
      - 0
    .max_flat_workgroup_size: 256
    .name:           _ZN7rocprim17ROCPRIM_400000_NS6detail17trampoline_kernelINS0_13select_configILj256ELj13ELNS0_17block_load_methodE3ELS4_3ELS4_3ELNS0_20block_scan_algorithmE0ELj4294967295EEENS1_25partition_config_selectorILNS1_17partition_subalgoE4EjNS0_10empty_typeEbEEZZNS1_14partition_implILS8_4ELb0ES6_15HIP_vector_typeIjLj2EENS0_17counting_iteratorIjlEEPS9_SG_NS0_5tupleIJPjSI_NS0_16reverse_iteratorISI_EEEEENSH_IJSG_SG_SG_EEES9_SI_JZNS1_25segmented_radix_sort_implINS0_14default_configELb1EPKfPfPKlPlN2at6native12_GLOBAL__N_18offset_tEEE10hipError_tPvRmT1_PNSt15iterator_traitsIS12_E10value_typeET2_T3_PNS13_IS18_E10value_typeET4_jRbjT5_S1E_jjP12ihipStream_tbEUljE_ZNSN_ISO_Lb1ESQ_SR_ST_SU_SY_EESZ_S10_S11_S12_S16_S17_S18_S1B_S1C_jS1D_jS1E_S1E_jjS1G_bEUljE0_EEESZ_S10_S11_S18_S1C_S1E_T6_T7_T9_mT8_S1G_bDpT10_ENKUlT_T0_E_clISt17integral_constantIbLb1EES1T_IbLb0EEEEDaS1P_S1Q_EUlS1P_E_NS1_11comp_targetILNS1_3genE3ELNS1_11target_archE908ELNS1_3gpuE7ELNS1_3repE0EEENS1_30default_config_static_selectorELNS0_4arch9wavefront6targetE0EEEvS12_
    .private_segment_fixed_size: 0
    .sgpr_count:     0
    .sgpr_spill_count: 0
    .symbol:         _ZN7rocprim17ROCPRIM_400000_NS6detail17trampoline_kernelINS0_13select_configILj256ELj13ELNS0_17block_load_methodE3ELS4_3ELS4_3ELNS0_20block_scan_algorithmE0ELj4294967295EEENS1_25partition_config_selectorILNS1_17partition_subalgoE4EjNS0_10empty_typeEbEEZZNS1_14partition_implILS8_4ELb0ES6_15HIP_vector_typeIjLj2EENS0_17counting_iteratorIjlEEPS9_SG_NS0_5tupleIJPjSI_NS0_16reverse_iteratorISI_EEEEENSH_IJSG_SG_SG_EEES9_SI_JZNS1_25segmented_radix_sort_implINS0_14default_configELb1EPKfPfPKlPlN2at6native12_GLOBAL__N_18offset_tEEE10hipError_tPvRmT1_PNSt15iterator_traitsIS12_E10value_typeET2_T3_PNS13_IS18_E10value_typeET4_jRbjT5_S1E_jjP12ihipStream_tbEUljE_ZNSN_ISO_Lb1ESQ_SR_ST_SU_SY_EESZ_S10_S11_S12_S16_S17_S18_S1B_S1C_jS1D_jS1E_S1E_jjS1G_bEUljE0_EEESZ_S10_S11_S18_S1C_S1E_T6_T7_T9_mT8_S1G_bDpT10_ENKUlT_T0_E_clISt17integral_constantIbLb1EES1T_IbLb0EEEEDaS1P_S1Q_EUlS1P_E_NS1_11comp_targetILNS1_3genE3ELNS1_11target_archE908ELNS1_3gpuE7ELNS1_3repE0EEENS1_30default_config_static_selectorELNS0_4arch9wavefront6targetE0EEEvS12_.kd
    .uniform_work_group_size: 1
    .uses_dynamic_stack: false
    .vgpr_count:     0
    .vgpr_spill_count: 0
    .wavefront_size: 32
    .workgroup_processor_mode: 1
  - .args:
      - .offset:         0
        .size:           176
        .value_kind:     by_value
    .group_segment_fixed_size: 0
    .kernarg_segment_align: 8
    .kernarg_segment_size: 176
    .language:       OpenCL C
    .language_version:
      - 2
      - 0
    .max_flat_workgroup_size: 256
    .name:           _ZN7rocprim17ROCPRIM_400000_NS6detail17trampoline_kernelINS0_13select_configILj256ELj13ELNS0_17block_load_methodE3ELS4_3ELS4_3ELNS0_20block_scan_algorithmE0ELj4294967295EEENS1_25partition_config_selectorILNS1_17partition_subalgoE4EjNS0_10empty_typeEbEEZZNS1_14partition_implILS8_4ELb0ES6_15HIP_vector_typeIjLj2EENS0_17counting_iteratorIjlEEPS9_SG_NS0_5tupleIJPjSI_NS0_16reverse_iteratorISI_EEEEENSH_IJSG_SG_SG_EEES9_SI_JZNS1_25segmented_radix_sort_implINS0_14default_configELb1EPKfPfPKlPlN2at6native12_GLOBAL__N_18offset_tEEE10hipError_tPvRmT1_PNSt15iterator_traitsIS12_E10value_typeET2_T3_PNS13_IS18_E10value_typeET4_jRbjT5_S1E_jjP12ihipStream_tbEUljE_ZNSN_ISO_Lb1ESQ_SR_ST_SU_SY_EESZ_S10_S11_S12_S16_S17_S18_S1B_S1C_jS1D_jS1E_S1E_jjS1G_bEUljE0_EEESZ_S10_S11_S18_S1C_S1E_T6_T7_T9_mT8_S1G_bDpT10_ENKUlT_T0_E_clISt17integral_constantIbLb1EES1T_IbLb0EEEEDaS1P_S1Q_EUlS1P_E_NS1_11comp_targetILNS1_3genE2ELNS1_11target_archE906ELNS1_3gpuE6ELNS1_3repE0EEENS1_30default_config_static_selectorELNS0_4arch9wavefront6targetE0EEEvS12_
    .private_segment_fixed_size: 0
    .sgpr_count:     0
    .sgpr_spill_count: 0
    .symbol:         _ZN7rocprim17ROCPRIM_400000_NS6detail17trampoline_kernelINS0_13select_configILj256ELj13ELNS0_17block_load_methodE3ELS4_3ELS4_3ELNS0_20block_scan_algorithmE0ELj4294967295EEENS1_25partition_config_selectorILNS1_17partition_subalgoE4EjNS0_10empty_typeEbEEZZNS1_14partition_implILS8_4ELb0ES6_15HIP_vector_typeIjLj2EENS0_17counting_iteratorIjlEEPS9_SG_NS0_5tupleIJPjSI_NS0_16reverse_iteratorISI_EEEEENSH_IJSG_SG_SG_EEES9_SI_JZNS1_25segmented_radix_sort_implINS0_14default_configELb1EPKfPfPKlPlN2at6native12_GLOBAL__N_18offset_tEEE10hipError_tPvRmT1_PNSt15iterator_traitsIS12_E10value_typeET2_T3_PNS13_IS18_E10value_typeET4_jRbjT5_S1E_jjP12ihipStream_tbEUljE_ZNSN_ISO_Lb1ESQ_SR_ST_SU_SY_EESZ_S10_S11_S12_S16_S17_S18_S1B_S1C_jS1D_jS1E_S1E_jjS1G_bEUljE0_EEESZ_S10_S11_S18_S1C_S1E_T6_T7_T9_mT8_S1G_bDpT10_ENKUlT_T0_E_clISt17integral_constantIbLb1EES1T_IbLb0EEEEDaS1P_S1Q_EUlS1P_E_NS1_11comp_targetILNS1_3genE2ELNS1_11target_archE906ELNS1_3gpuE6ELNS1_3repE0EEENS1_30default_config_static_selectorELNS0_4arch9wavefront6targetE0EEEvS12_.kd
    .uniform_work_group_size: 1
    .uses_dynamic_stack: false
    .vgpr_count:     0
    .vgpr_spill_count: 0
    .wavefront_size: 32
    .workgroup_processor_mode: 1
  - .args:
      - .offset:         0
        .size:           176
        .value_kind:     by_value
    .group_segment_fixed_size: 0
    .kernarg_segment_align: 8
    .kernarg_segment_size: 176
    .language:       OpenCL C
    .language_version:
      - 2
      - 0
    .max_flat_workgroup_size: 256
    .name:           _ZN7rocprim17ROCPRIM_400000_NS6detail17trampoline_kernelINS0_13select_configILj256ELj13ELNS0_17block_load_methodE3ELS4_3ELS4_3ELNS0_20block_scan_algorithmE0ELj4294967295EEENS1_25partition_config_selectorILNS1_17partition_subalgoE4EjNS0_10empty_typeEbEEZZNS1_14partition_implILS8_4ELb0ES6_15HIP_vector_typeIjLj2EENS0_17counting_iteratorIjlEEPS9_SG_NS0_5tupleIJPjSI_NS0_16reverse_iteratorISI_EEEEENSH_IJSG_SG_SG_EEES9_SI_JZNS1_25segmented_radix_sort_implINS0_14default_configELb1EPKfPfPKlPlN2at6native12_GLOBAL__N_18offset_tEEE10hipError_tPvRmT1_PNSt15iterator_traitsIS12_E10value_typeET2_T3_PNS13_IS18_E10value_typeET4_jRbjT5_S1E_jjP12ihipStream_tbEUljE_ZNSN_ISO_Lb1ESQ_SR_ST_SU_SY_EESZ_S10_S11_S12_S16_S17_S18_S1B_S1C_jS1D_jS1E_S1E_jjS1G_bEUljE0_EEESZ_S10_S11_S18_S1C_S1E_T6_T7_T9_mT8_S1G_bDpT10_ENKUlT_T0_E_clISt17integral_constantIbLb1EES1T_IbLb0EEEEDaS1P_S1Q_EUlS1P_E_NS1_11comp_targetILNS1_3genE10ELNS1_11target_archE1200ELNS1_3gpuE4ELNS1_3repE0EEENS1_30default_config_static_selectorELNS0_4arch9wavefront6targetE0EEEvS12_
    .private_segment_fixed_size: 0
    .sgpr_count:     0
    .sgpr_spill_count: 0
    .symbol:         _ZN7rocprim17ROCPRIM_400000_NS6detail17trampoline_kernelINS0_13select_configILj256ELj13ELNS0_17block_load_methodE3ELS4_3ELS4_3ELNS0_20block_scan_algorithmE0ELj4294967295EEENS1_25partition_config_selectorILNS1_17partition_subalgoE4EjNS0_10empty_typeEbEEZZNS1_14partition_implILS8_4ELb0ES6_15HIP_vector_typeIjLj2EENS0_17counting_iteratorIjlEEPS9_SG_NS0_5tupleIJPjSI_NS0_16reverse_iteratorISI_EEEEENSH_IJSG_SG_SG_EEES9_SI_JZNS1_25segmented_radix_sort_implINS0_14default_configELb1EPKfPfPKlPlN2at6native12_GLOBAL__N_18offset_tEEE10hipError_tPvRmT1_PNSt15iterator_traitsIS12_E10value_typeET2_T3_PNS13_IS18_E10value_typeET4_jRbjT5_S1E_jjP12ihipStream_tbEUljE_ZNSN_ISO_Lb1ESQ_SR_ST_SU_SY_EESZ_S10_S11_S12_S16_S17_S18_S1B_S1C_jS1D_jS1E_S1E_jjS1G_bEUljE0_EEESZ_S10_S11_S18_S1C_S1E_T6_T7_T9_mT8_S1G_bDpT10_ENKUlT_T0_E_clISt17integral_constantIbLb1EES1T_IbLb0EEEEDaS1P_S1Q_EUlS1P_E_NS1_11comp_targetILNS1_3genE10ELNS1_11target_archE1200ELNS1_3gpuE4ELNS1_3repE0EEENS1_30default_config_static_selectorELNS0_4arch9wavefront6targetE0EEEvS12_.kd
    .uniform_work_group_size: 1
    .uses_dynamic_stack: false
    .vgpr_count:     0
    .vgpr_spill_count: 0
    .wavefront_size: 32
    .workgroup_processor_mode: 1
  - .args:
      - .offset:         0
        .size:           176
        .value_kind:     by_value
    .group_segment_fixed_size: 13340
    .kernarg_segment_align: 8
    .kernarg_segment_size: 176
    .language:       OpenCL C
    .language_version:
      - 2
      - 0
    .max_flat_workgroup_size: 256
    .name:           _ZN7rocprim17ROCPRIM_400000_NS6detail17trampoline_kernelINS0_13select_configILj256ELj13ELNS0_17block_load_methodE3ELS4_3ELS4_3ELNS0_20block_scan_algorithmE0ELj4294967295EEENS1_25partition_config_selectorILNS1_17partition_subalgoE4EjNS0_10empty_typeEbEEZZNS1_14partition_implILS8_4ELb0ES6_15HIP_vector_typeIjLj2EENS0_17counting_iteratorIjlEEPS9_SG_NS0_5tupleIJPjSI_NS0_16reverse_iteratorISI_EEEEENSH_IJSG_SG_SG_EEES9_SI_JZNS1_25segmented_radix_sort_implINS0_14default_configELb1EPKfPfPKlPlN2at6native12_GLOBAL__N_18offset_tEEE10hipError_tPvRmT1_PNSt15iterator_traitsIS12_E10value_typeET2_T3_PNS13_IS18_E10value_typeET4_jRbjT5_S1E_jjP12ihipStream_tbEUljE_ZNSN_ISO_Lb1ESQ_SR_ST_SU_SY_EESZ_S10_S11_S12_S16_S17_S18_S1B_S1C_jS1D_jS1E_S1E_jjS1G_bEUljE0_EEESZ_S10_S11_S18_S1C_S1E_T6_T7_T9_mT8_S1G_bDpT10_ENKUlT_T0_E_clISt17integral_constantIbLb1EES1T_IbLb0EEEEDaS1P_S1Q_EUlS1P_E_NS1_11comp_targetILNS1_3genE9ELNS1_11target_archE1100ELNS1_3gpuE3ELNS1_3repE0EEENS1_30default_config_static_selectorELNS0_4arch9wavefront6targetE0EEEvS12_
    .private_segment_fixed_size: 0
    .sgpr_count:     61
    .sgpr_spill_count: 0
    .symbol:         _ZN7rocprim17ROCPRIM_400000_NS6detail17trampoline_kernelINS0_13select_configILj256ELj13ELNS0_17block_load_methodE3ELS4_3ELS4_3ELNS0_20block_scan_algorithmE0ELj4294967295EEENS1_25partition_config_selectorILNS1_17partition_subalgoE4EjNS0_10empty_typeEbEEZZNS1_14partition_implILS8_4ELb0ES6_15HIP_vector_typeIjLj2EENS0_17counting_iteratorIjlEEPS9_SG_NS0_5tupleIJPjSI_NS0_16reverse_iteratorISI_EEEEENSH_IJSG_SG_SG_EEES9_SI_JZNS1_25segmented_radix_sort_implINS0_14default_configELb1EPKfPfPKlPlN2at6native12_GLOBAL__N_18offset_tEEE10hipError_tPvRmT1_PNSt15iterator_traitsIS12_E10value_typeET2_T3_PNS13_IS18_E10value_typeET4_jRbjT5_S1E_jjP12ihipStream_tbEUljE_ZNSN_ISO_Lb1ESQ_SR_ST_SU_SY_EESZ_S10_S11_S12_S16_S17_S18_S1B_S1C_jS1D_jS1E_S1E_jjS1G_bEUljE0_EEESZ_S10_S11_S18_S1C_S1E_T6_T7_T9_mT8_S1G_bDpT10_ENKUlT_T0_E_clISt17integral_constantIbLb1EES1T_IbLb0EEEEDaS1P_S1Q_EUlS1P_E_NS1_11comp_targetILNS1_3genE9ELNS1_11target_archE1100ELNS1_3gpuE3ELNS1_3repE0EEENS1_30default_config_static_selectorELNS0_4arch9wavefront6targetE0EEEvS12_.kd
    .uniform_work_group_size: 1
    .uses_dynamic_stack: false
    .vgpr_count:     98
    .vgpr_spill_count: 0
    .wavefront_size: 32
    .workgroup_processor_mode: 1
  - .args:
      - .offset:         0
        .size:           176
        .value_kind:     by_value
    .group_segment_fixed_size: 0
    .kernarg_segment_align: 8
    .kernarg_segment_size: 176
    .language:       OpenCL C
    .language_version:
      - 2
      - 0
    .max_flat_workgroup_size: 256
    .name:           _ZN7rocprim17ROCPRIM_400000_NS6detail17trampoline_kernelINS0_13select_configILj256ELj13ELNS0_17block_load_methodE3ELS4_3ELS4_3ELNS0_20block_scan_algorithmE0ELj4294967295EEENS1_25partition_config_selectorILNS1_17partition_subalgoE4EjNS0_10empty_typeEbEEZZNS1_14partition_implILS8_4ELb0ES6_15HIP_vector_typeIjLj2EENS0_17counting_iteratorIjlEEPS9_SG_NS0_5tupleIJPjSI_NS0_16reverse_iteratorISI_EEEEENSH_IJSG_SG_SG_EEES9_SI_JZNS1_25segmented_radix_sort_implINS0_14default_configELb1EPKfPfPKlPlN2at6native12_GLOBAL__N_18offset_tEEE10hipError_tPvRmT1_PNSt15iterator_traitsIS12_E10value_typeET2_T3_PNS13_IS18_E10value_typeET4_jRbjT5_S1E_jjP12ihipStream_tbEUljE_ZNSN_ISO_Lb1ESQ_SR_ST_SU_SY_EESZ_S10_S11_S12_S16_S17_S18_S1B_S1C_jS1D_jS1E_S1E_jjS1G_bEUljE0_EEESZ_S10_S11_S18_S1C_S1E_T6_T7_T9_mT8_S1G_bDpT10_ENKUlT_T0_E_clISt17integral_constantIbLb1EES1T_IbLb0EEEEDaS1P_S1Q_EUlS1P_E_NS1_11comp_targetILNS1_3genE8ELNS1_11target_archE1030ELNS1_3gpuE2ELNS1_3repE0EEENS1_30default_config_static_selectorELNS0_4arch9wavefront6targetE0EEEvS12_
    .private_segment_fixed_size: 0
    .sgpr_count:     0
    .sgpr_spill_count: 0
    .symbol:         _ZN7rocprim17ROCPRIM_400000_NS6detail17trampoline_kernelINS0_13select_configILj256ELj13ELNS0_17block_load_methodE3ELS4_3ELS4_3ELNS0_20block_scan_algorithmE0ELj4294967295EEENS1_25partition_config_selectorILNS1_17partition_subalgoE4EjNS0_10empty_typeEbEEZZNS1_14partition_implILS8_4ELb0ES6_15HIP_vector_typeIjLj2EENS0_17counting_iteratorIjlEEPS9_SG_NS0_5tupleIJPjSI_NS0_16reverse_iteratorISI_EEEEENSH_IJSG_SG_SG_EEES9_SI_JZNS1_25segmented_radix_sort_implINS0_14default_configELb1EPKfPfPKlPlN2at6native12_GLOBAL__N_18offset_tEEE10hipError_tPvRmT1_PNSt15iterator_traitsIS12_E10value_typeET2_T3_PNS13_IS18_E10value_typeET4_jRbjT5_S1E_jjP12ihipStream_tbEUljE_ZNSN_ISO_Lb1ESQ_SR_ST_SU_SY_EESZ_S10_S11_S12_S16_S17_S18_S1B_S1C_jS1D_jS1E_S1E_jjS1G_bEUljE0_EEESZ_S10_S11_S18_S1C_S1E_T6_T7_T9_mT8_S1G_bDpT10_ENKUlT_T0_E_clISt17integral_constantIbLb1EES1T_IbLb0EEEEDaS1P_S1Q_EUlS1P_E_NS1_11comp_targetILNS1_3genE8ELNS1_11target_archE1030ELNS1_3gpuE2ELNS1_3repE0EEENS1_30default_config_static_selectorELNS0_4arch9wavefront6targetE0EEEvS12_.kd
    .uniform_work_group_size: 1
    .uses_dynamic_stack: false
    .vgpr_count:     0
    .vgpr_spill_count: 0
    .wavefront_size: 32
    .workgroup_processor_mode: 1
  - .args:
      - .offset:         0
        .size:           184
        .value_kind:     by_value
    .group_segment_fixed_size: 0
    .kernarg_segment_align: 8
    .kernarg_segment_size: 184
    .language:       OpenCL C
    .language_version:
      - 2
      - 0
    .max_flat_workgroup_size: 256
    .name:           _ZN7rocprim17ROCPRIM_400000_NS6detail17trampoline_kernelINS0_13select_configILj256ELj13ELNS0_17block_load_methodE3ELS4_3ELS4_3ELNS0_20block_scan_algorithmE0ELj4294967295EEENS1_25partition_config_selectorILNS1_17partition_subalgoE4EjNS0_10empty_typeEbEEZZNS1_14partition_implILS8_4ELb0ES6_15HIP_vector_typeIjLj2EENS0_17counting_iteratorIjlEEPS9_SG_NS0_5tupleIJPjSI_NS0_16reverse_iteratorISI_EEEEENSH_IJSG_SG_SG_EEES9_SI_JZNS1_25segmented_radix_sort_implINS0_14default_configELb1EPKfPfPKlPlN2at6native12_GLOBAL__N_18offset_tEEE10hipError_tPvRmT1_PNSt15iterator_traitsIS12_E10value_typeET2_T3_PNS13_IS18_E10value_typeET4_jRbjT5_S1E_jjP12ihipStream_tbEUljE_ZNSN_ISO_Lb1ESQ_SR_ST_SU_SY_EESZ_S10_S11_S12_S16_S17_S18_S1B_S1C_jS1D_jS1E_S1E_jjS1G_bEUljE0_EEESZ_S10_S11_S18_S1C_S1E_T6_T7_T9_mT8_S1G_bDpT10_ENKUlT_T0_E_clISt17integral_constantIbLb0EES1T_IbLb1EEEEDaS1P_S1Q_EUlS1P_E_NS1_11comp_targetILNS1_3genE0ELNS1_11target_archE4294967295ELNS1_3gpuE0ELNS1_3repE0EEENS1_30default_config_static_selectorELNS0_4arch9wavefront6targetE0EEEvS12_
    .private_segment_fixed_size: 0
    .sgpr_count:     0
    .sgpr_spill_count: 0
    .symbol:         _ZN7rocprim17ROCPRIM_400000_NS6detail17trampoline_kernelINS0_13select_configILj256ELj13ELNS0_17block_load_methodE3ELS4_3ELS4_3ELNS0_20block_scan_algorithmE0ELj4294967295EEENS1_25partition_config_selectorILNS1_17partition_subalgoE4EjNS0_10empty_typeEbEEZZNS1_14partition_implILS8_4ELb0ES6_15HIP_vector_typeIjLj2EENS0_17counting_iteratorIjlEEPS9_SG_NS0_5tupleIJPjSI_NS0_16reverse_iteratorISI_EEEEENSH_IJSG_SG_SG_EEES9_SI_JZNS1_25segmented_radix_sort_implINS0_14default_configELb1EPKfPfPKlPlN2at6native12_GLOBAL__N_18offset_tEEE10hipError_tPvRmT1_PNSt15iterator_traitsIS12_E10value_typeET2_T3_PNS13_IS18_E10value_typeET4_jRbjT5_S1E_jjP12ihipStream_tbEUljE_ZNSN_ISO_Lb1ESQ_SR_ST_SU_SY_EESZ_S10_S11_S12_S16_S17_S18_S1B_S1C_jS1D_jS1E_S1E_jjS1G_bEUljE0_EEESZ_S10_S11_S18_S1C_S1E_T6_T7_T9_mT8_S1G_bDpT10_ENKUlT_T0_E_clISt17integral_constantIbLb0EES1T_IbLb1EEEEDaS1P_S1Q_EUlS1P_E_NS1_11comp_targetILNS1_3genE0ELNS1_11target_archE4294967295ELNS1_3gpuE0ELNS1_3repE0EEENS1_30default_config_static_selectorELNS0_4arch9wavefront6targetE0EEEvS12_.kd
    .uniform_work_group_size: 1
    .uses_dynamic_stack: false
    .vgpr_count:     0
    .vgpr_spill_count: 0
    .wavefront_size: 32
    .workgroup_processor_mode: 1
  - .args:
      - .offset:         0
        .size:           184
        .value_kind:     by_value
    .group_segment_fixed_size: 0
    .kernarg_segment_align: 8
    .kernarg_segment_size: 184
    .language:       OpenCL C
    .language_version:
      - 2
      - 0
    .max_flat_workgroup_size: 256
    .name:           _ZN7rocprim17ROCPRIM_400000_NS6detail17trampoline_kernelINS0_13select_configILj256ELj13ELNS0_17block_load_methodE3ELS4_3ELS4_3ELNS0_20block_scan_algorithmE0ELj4294967295EEENS1_25partition_config_selectorILNS1_17partition_subalgoE4EjNS0_10empty_typeEbEEZZNS1_14partition_implILS8_4ELb0ES6_15HIP_vector_typeIjLj2EENS0_17counting_iteratorIjlEEPS9_SG_NS0_5tupleIJPjSI_NS0_16reverse_iteratorISI_EEEEENSH_IJSG_SG_SG_EEES9_SI_JZNS1_25segmented_radix_sort_implINS0_14default_configELb1EPKfPfPKlPlN2at6native12_GLOBAL__N_18offset_tEEE10hipError_tPvRmT1_PNSt15iterator_traitsIS12_E10value_typeET2_T3_PNS13_IS18_E10value_typeET4_jRbjT5_S1E_jjP12ihipStream_tbEUljE_ZNSN_ISO_Lb1ESQ_SR_ST_SU_SY_EESZ_S10_S11_S12_S16_S17_S18_S1B_S1C_jS1D_jS1E_S1E_jjS1G_bEUljE0_EEESZ_S10_S11_S18_S1C_S1E_T6_T7_T9_mT8_S1G_bDpT10_ENKUlT_T0_E_clISt17integral_constantIbLb0EES1T_IbLb1EEEEDaS1P_S1Q_EUlS1P_E_NS1_11comp_targetILNS1_3genE5ELNS1_11target_archE942ELNS1_3gpuE9ELNS1_3repE0EEENS1_30default_config_static_selectorELNS0_4arch9wavefront6targetE0EEEvS12_
    .private_segment_fixed_size: 0
    .sgpr_count:     0
    .sgpr_spill_count: 0
    .symbol:         _ZN7rocprim17ROCPRIM_400000_NS6detail17trampoline_kernelINS0_13select_configILj256ELj13ELNS0_17block_load_methodE3ELS4_3ELS4_3ELNS0_20block_scan_algorithmE0ELj4294967295EEENS1_25partition_config_selectorILNS1_17partition_subalgoE4EjNS0_10empty_typeEbEEZZNS1_14partition_implILS8_4ELb0ES6_15HIP_vector_typeIjLj2EENS0_17counting_iteratorIjlEEPS9_SG_NS0_5tupleIJPjSI_NS0_16reverse_iteratorISI_EEEEENSH_IJSG_SG_SG_EEES9_SI_JZNS1_25segmented_radix_sort_implINS0_14default_configELb1EPKfPfPKlPlN2at6native12_GLOBAL__N_18offset_tEEE10hipError_tPvRmT1_PNSt15iterator_traitsIS12_E10value_typeET2_T3_PNS13_IS18_E10value_typeET4_jRbjT5_S1E_jjP12ihipStream_tbEUljE_ZNSN_ISO_Lb1ESQ_SR_ST_SU_SY_EESZ_S10_S11_S12_S16_S17_S18_S1B_S1C_jS1D_jS1E_S1E_jjS1G_bEUljE0_EEESZ_S10_S11_S18_S1C_S1E_T6_T7_T9_mT8_S1G_bDpT10_ENKUlT_T0_E_clISt17integral_constantIbLb0EES1T_IbLb1EEEEDaS1P_S1Q_EUlS1P_E_NS1_11comp_targetILNS1_3genE5ELNS1_11target_archE942ELNS1_3gpuE9ELNS1_3repE0EEENS1_30default_config_static_selectorELNS0_4arch9wavefront6targetE0EEEvS12_.kd
    .uniform_work_group_size: 1
    .uses_dynamic_stack: false
    .vgpr_count:     0
    .vgpr_spill_count: 0
    .wavefront_size: 32
    .workgroup_processor_mode: 1
  - .args:
      - .offset:         0
        .size:           184
        .value_kind:     by_value
    .group_segment_fixed_size: 0
    .kernarg_segment_align: 8
    .kernarg_segment_size: 184
    .language:       OpenCL C
    .language_version:
      - 2
      - 0
    .max_flat_workgroup_size: 256
    .name:           _ZN7rocprim17ROCPRIM_400000_NS6detail17trampoline_kernelINS0_13select_configILj256ELj13ELNS0_17block_load_methodE3ELS4_3ELS4_3ELNS0_20block_scan_algorithmE0ELj4294967295EEENS1_25partition_config_selectorILNS1_17partition_subalgoE4EjNS0_10empty_typeEbEEZZNS1_14partition_implILS8_4ELb0ES6_15HIP_vector_typeIjLj2EENS0_17counting_iteratorIjlEEPS9_SG_NS0_5tupleIJPjSI_NS0_16reverse_iteratorISI_EEEEENSH_IJSG_SG_SG_EEES9_SI_JZNS1_25segmented_radix_sort_implINS0_14default_configELb1EPKfPfPKlPlN2at6native12_GLOBAL__N_18offset_tEEE10hipError_tPvRmT1_PNSt15iterator_traitsIS12_E10value_typeET2_T3_PNS13_IS18_E10value_typeET4_jRbjT5_S1E_jjP12ihipStream_tbEUljE_ZNSN_ISO_Lb1ESQ_SR_ST_SU_SY_EESZ_S10_S11_S12_S16_S17_S18_S1B_S1C_jS1D_jS1E_S1E_jjS1G_bEUljE0_EEESZ_S10_S11_S18_S1C_S1E_T6_T7_T9_mT8_S1G_bDpT10_ENKUlT_T0_E_clISt17integral_constantIbLb0EES1T_IbLb1EEEEDaS1P_S1Q_EUlS1P_E_NS1_11comp_targetILNS1_3genE4ELNS1_11target_archE910ELNS1_3gpuE8ELNS1_3repE0EEENS1_30default_config_static_selectorELNS0_4arch9wavefront6targetE0EEEvS12_
    .private_segment_fixed_size: 0
    .sgpr_count:     0
    .sgpr_spill_count: 0
    .symbol:         _ZN7rocprim17ROCPRIM_400000_NS6detail17trampoline_kernelINS0_13select_configILj256ELj13ELNS0_17block_load_methodE3ELS4_3ELS4_3ELNS0_20block_scan_algorithmE0ELj4294967295EEENS1_25partition_config_selectorILNS1_17partition_subalgoE4EjNS0_10empty_typeEbEEZZNS1_14partition_implILS8_4ELb0ES6_15HIP_vector_typeIjLj2EENS0_17counting_iteratorIjlEEPS9_SG_NS0_5tupleIJPjSI_NS0_16reverse_iteratorISI_EEEEENSH_IJSG_SG_SG_EEES9_SI_JZNS1_25segmented_radix_sort_implINS0_14default_configELb1EPKfPfPKlPlN2at6native12_GLOBAL__N_18offset_tEEE10hipError_tPvRmT1_PNSt15iterator_traitsIS12_E10value_typeET2_T3_PNS13_IS18_E10value_typeET4_jRbjT5_S1E_jjP12ihipStream_tbEUljE_ZNSN_ISO_Lb1ESQ_SR_ST_SU_SY_EESZ_S10_S11_S12_S16_S17_S18_S1B_S1C_jS1D_jS1E_S1E_jjS1G_bEUljE0_EEESZ_S10_S11_S18_S1C_S1E_T6_T7_T9_mT8_S1G_bDpT10_ENKUlT_T0_E_clISt17integral_constantIbLb0EES1T_IbLb1EEEEDaS1P_S1Q_EUlS1P_E_NS1_11comp_targetILNS1_3genE4ELNS1_11target_archE910ELNS1_3gpuE8ELNS1_3repE0EEENS1_30default_config_static_selectorELNS0_4arch9wavefront6targetE0EEEvS12_.kd
    .uniform_work_group_size: 1
    .uses_dynamic_stack: false
    .vgpr_count:     0
    .vgpr_spill_count: 0
    .wavefront_size: 32
    .workgroup_processor_mode: 1
  - .args:
      - .offset:         0
        .size:           184
        .value_kind:     by_value
    .group_segment_fixed_size: 0
    .kernarg_segment_align: 8
    .kernarg_segment_size: 184
    .language:       OpenCL C
    .language_version:
      - 2
      - 0
    .max_flat_workgroup_size: 256
    .name:           _ZN7rocprim17ROCPRIM_400000_NS6detail17trampoline_kernelINS0_13select_configILj256ELj13ELNS0_17block_load_methodE3ELS4_3ELS4_3ELNS0_20block_scan_algorithmE0ELj4294967295EEENS1_25partition_config_selectorILNS1_17partition_subalgoE4EjNS0_10empty_typeEbEEZZNS1_14partition_implILS8_4ELb0ES6_15HIP_vector_typeIjLj2EENS0_17counting_iteratorIjlEEPS9_SG_NS0_5tupleIJPjSI_NS0_16reverse_iteratorISI_EEEEENSH_IJSG_SG_SG_EEES9_SI_JZNS1_25segmented_radix_sort_implINS0_14default_configELb1EPKfPfPKlPlN2at6native12_GLOBAL__N_18offset_tEEE10hipError_tPvRmT1_PNSt15iterator_traitsIS12_E10value_typeET2_T3_PNS13_IS18_E10value_typeET4_jRbjT5_S1E_jjP12ihipStream_tbEUljE_ZNSN_ISO_Lb1ESQ_SR_ST_SU_SY_EESZ_S10_S11_S12_S16_S17_S18_S1B_S1C_jS1D_jS1E_S1E_jjS1G_bEUljE0_EEESZ_S10_S11_S18_S1C_S1E_T6_T7_T9_mT8_S1G_bDpT10_ENKUlT_T0_E_clISt17integral_constantIbLb0EES1T_IbLb1EEEEDaS1P_S1Q_EUlS1P_E_NS1_11comp_targetILNS1_3genE3ELNS1_11target_archE908ELNS1_3gpuE7ELNS1_3repE0EEENS1_30default_config_static_selectorELNS0_4arch9wavefront6targetE0EEEvS12_
    .private_segment_fixed_size: 0
    .sgpr_count:     0
    .sgpr_spill_count: 0
    .symbol:         _ZN7rocprim17ROCPRIM_400000_NS6detail17trampoline_kernelINS0_13select_configILj256ELj13ELNS0_17block_load_methodE3ELS4_3ELS4_3ELNS0_20block_scan_algorithmE0ELj4294967295EEENS1_25partition_config_selectorILNS1_17partition_subalgoE4EjNS0_10empty_typeEbEEZZNS1_14partition_implILS8_4ELb0ES6_15HIP_vector_typeIjLj2EENS0_17counting_iteratorIjlEEPS9_SG_NS0_5tupleIJPjSI_NS0_16reverse_iteratorISI_EEEEENSH_IJSG_SG_SG_EEES9_SI_JZNS1_25segmented_radix_sort_implINS0_14default_configELb1EPKfPfPKlPlN2at6native12_GLOBAL__N_18offset_tEEE10hipError_tPvRmT1_PNSt15iterator_traitsIS12_E10value_typeET2_T3_PNS13_IS18_E10value_typeET4_jRbjT5_S1E_jjP12ihipStream_tbEUljE_ZNSN_ISO_Lb1ESQ_SR_ST_SU_SY_EESZ_S10_S11_S12_S16_S17_S18_S1B_S1C_jS1D_jS1E_S1E_jjS1G_bEUljE0_EEESZ_S10_S11_S18_S1C_S1E_T6_T7_T9_mT8_S1G_bDpT10_ENKUlT_T0_E_clISt17integral_constantIbLb0EES1T_IbLb1EEEEDaS1P_S1Q_EUlS1P_E_NS1_11comp_targetILNS1_3genE3ELNS1_11target_archE908ELNS1_3gpuE7ELNS1_3repE0EEENS1_30default_config_static_selectorELNS0_4arch9wavefront6targetE0EEEvS12_.kd
    .uniform_work_group_size: 1
    .uses_dynamic_stack: false
    .vgpr_count:     0
    .vgpr_spill_count: 0
    .wavefront_size: 32
    .workgroup_processor_mode: 1
  - .args:
      - .offset:         0
        .size:           184
        .value_kind:     by_value
    .group_segment_fixed_size: 0
    .kernarg_segment_align: 8
    .kernarg_segment_size: 184
    .language:       OpenCL C
    .language_version:
      - 2
      - 0
    .max_flat_workgroup_size: 256
    .name:           _ZN7rocprim17ROCPRIM_400000_NS6detail17trampoline_kernelINS0_13select_configILj256ELj13ELNS0_17block_load_methodE3ELS4_3ELS4_3ELNS0_20block_scan_algorithmE0ELj4294967295EEENS1_25partition_config_selectorILNS1_17partition_subalgoE4EjNS0_10empty_typeEbEEZZNS1_14partition_implILS8_4ELb0ES6_15HIP_vector_typeIjLj2EENS0_17counting_iteratorIjlEEPS9_SG_NS0_5tupleIJPjSI_NS0_16reverse_iteratorISI_EEEEENSH_IJSG_SG_SG_EEES9_SI_JZNS1_25segmented_radix_sort_implINS0_14default_configELb1EPKfPfPKlPlN2at6native12_GLOBAL__N_18offset_tEEE10hipError_tPvRmT1_PNSt15iterator_traitsIS12_E10value_typeET2_T3_PNS13_IS18_E10value_typeET4_jRbjT5_S1E_jjP12ihipStream_tbEUljE_ZNSN_ISO_Lb1ESQ_SR_ST_SU_SY_EESZ_S10_S11_S12_S16_S17_S18_S1B_S1C_jS1D_jS1E_S1E_jjS1G_bEUljE0_EEESZ_S10_S11_S18_S1C_S1E_T6_T7_T9_mT8_S1G_bDpT10_ENKUlT_T0_E_clISt17integral_constantIbLb0EES1T_IbLb1EEEEDaS1P_S1Q_EUlS1P_E_NS1_11comp_targetILNS1_3genE2ELNS1_11target_archE906ELNS1_3gpuE6ELNS1_3repE0EEENS1_30default_config_static_selectorELNS0_4arch9wavefront6targetE0EEEvS12_
    .private_segment_fixed_size: 0
    .sgpr_count:     0
    .sgpr_spill_count: 0
    .symbol:         _ZN7rocprim17ROCPRIM_400000_NS6detail17trampoline_kernelINS0_13select_configILj256ELj13ELNS0_17block_load_methodE3ELS4_3ELS4_3ELNS0_20block_scan_algorithmE0ELj4294967295EEENS1_25partition_config_selectorILNS1_17partition_subalgoE4EjNS0_10empty_typeEbEEZZNS1_14partition_implILS8_4ELb0ES6_15HIP_vector_typeIjLj2EENS0_17counting_iteratorIjlEEPS9_SG_NS0_5tupleIJPjSI_NS0_16reverse_iteratorISI_EEEEENSH_IJSG_SG_SG_EEES9_SI_JZNS1_25segmented_radix_sort_implINS0_14default_configELb1EPKfPfPKlPlN2at6native12_GLOBAL__N_18offset_tEEE10hipError_tPvRmT1_PNSt15iterator_traitsIS12_E10value_typeET2_T3_PNS13_IS18_E10value_typeET4_jRbjT5_S1E_jjP12ihipStream_tbEUljE_ZNSN_ISO_Lb1ESQ_SR_ST_SU_SY_EESZ_S10_S11_S12_S16_S17_S18_S1B_S1C_jS1D_jS1E_S1E_jjS1G_bEUljE0_EEESZ_S10_S11_S18_S1C_S1E_T6_T7_T9_mT8_S1G_bDpT10_ENKUlT_T0_E_clISt17integral_constantIbLb0EES1T_IbLb1EEEEDaS1P_S1Q_EUlS1P_E_NS1_11comp_targetILNS1_3genE2ELNS1_11target_archE906ELNS1_3gpuE6ELNS1_3repE0EEENS1_30default_config_static_selectorELNS0_4arch9wavefront6targetE0EEEvS12_.kd
    .uniform_work_group_size: 1
    .uses_dynamic_stack: false
    .vgpr_count:     0
    .vgpr_spill_count: 0
    .wavefront_size: 32
    .workgroup_processor_mode: 1
  - .args:
      - .offset:         0
        .size:           184
        .value_kind:     by_value
    .group_segment_fixed_size: 0
    .kernarg_segment_align: 8
    .kernarg_segment_size: 184
    .language:       OpenCL C
    .language_version:
      - 2
      - 0
    .max_flat_workgroup_size: 256
    .name:           _ZN7rocprim17ROCPRIM_400000_NS6detail17trampoline_kernelINS0_13select_configILj256ELj13ELNS0_17block_load_methodE3ELS4_3ELS4_3ELNS0_20block_scan_algorithmE0ELj4294967295EEENS1_25partition_config_selectorILNS1_17partition_subalgoE4EjNS0_10empty_typeEbEEZZNS1_14partition_implILS8_4ELb0ES6_15HIP_vector_typeIjLj2EENS0_17counting_iteratorIjlEEPS9_SG_NS0_5tupleIJPjSI_NS0_16reverse_iteratorISI_EEEEENSH_IJSG_SG_SG_EEES9_SI_JZNS1_25segmented_radix_sort_implINS0_14default_configELb1EPKfPfPKlPlN2at6native12_GLOBAL__N_18offset_tEEE10hipError_tPvRmT1_PNSt15iterator_traitsIS12_E10value_typeET2_T3_PNS13_IS18_E10value_typeET4_jRbjT5_S1E_jjP12ihipStream_tbEUljE_ZNSN_ISO_Lb1ESQ_SR_ST_SU_SY_EESZ_S10_S11_S12_S16_S17_S18_S1B_S1C_jS1D_jS1E_S1E_jjS1G_bEUljE0_EEESZ_S10_S11_S18_S1C_S1E_T6_T7_T9_mT8_S1G_bDpT10_ENKUlT_T0_E_clISt17integral_constantIbLb0EES1T_IbLb1EEEEDaS1P_S1Q_EUlS1P_E_NS1_11comp_targetILNS1_3genE10ELNS1_11target_archE1200ELNS1_3gpuE4ELNS1_3repE0EEENS1_30default_config_static_selectorELNS0_4arch9wavefront6targetE0EEEvS12_
    .private_segment_fixed_size: 0
    .sgpr_count:     0
    .sgpr_spill_count: 0
    .symbol:         _ZN7rocprim17ROCPRIM_400000_NS6detail17trampoline_kernelINS0_13select_configILj256ELj13ELNS0_17block_load_methodE3ELS4_3ELS4_3ELNS0_20block_scan_algorithmE0ELj4294967295EEENS1_25partition_config_selectorILNS1_17partition_subalgoE4EjNS0_10empty_typeEbEEZZNS1_14partition_implILS8_4ELb0ES6_15HIP_vector_typeIjLj2EENS0_17counting_iteratorIjlEEPS9_SG_NS0_5tupleIJPjSI_NS0_16reverse_iteratorISI_EEEEENSH_IJSG_SG_SG_EEES9_SI_JZNS1_25segmented_radix_sort_implINS0_14default_configELb1EPKfPfPKlPlN2at6native12_GLOBAL__N_18offset_tEEE10hipError_tPvRmT1_PNSt15iterator_traitsIS12_E10value_typeET2_T3_PNS13_IS18_E10value_typeET4_jRbjT5_S1E_jjP12ihipStream_tbEUljE_ZNSN_ISO_Lb1ESQ_SR_ST_SU_SY_EESZ_S10_S11_S12_S16_S17_S18_S1B_S1C_jS1D_jS1E_S1E_jjS1G_bEUljE0_EEESZ_S10_S11_S18_S1C_S1E_T6_T7_T9_mT8_S1G_bDpT10_ENKUlT_T0_E_clISt17integral_constantIbLb0EES1T_IbLb1EEEEDaS1P_S1Q_EUlS1P_E_NS1_11comp_targetILNS1_3genE10ELNS1_11target_archE1200ELNS1_3gpuE4ELNS1_3repE0EEENS1_30default_config_static_selectorELNS0_4arch9wavefront6targetE0EEEvS12_.kd
    .uniform_work_group_size: 1
    .uses_dynamic_stack: false
    .vgpr_count:     0
    .vgpr_spill_count: 0
    .wavefront_size: 32
    .workgroup_processor_mode: 1
  - .args:
      - .offset:         0
        .size:           184
        .value_kind:     by_value
    .group_segment_fixed_size: 13340
    .kernarg_segment_align: 8
    .kernarg_segment_size: 184
    .language:       OpenCL C
    .language_version:
      - 2
      - 0
    .max_flat_workgroup_size: 256
    .name:           _ZN7rocprim17ROCPRIM_400000_NS6detail17trampoline_kernelINS0_13select_configILj256ELj13ELNS0_17block_load_methodE3ELS4_3ELS4_3ELNS0_20block_scan_algorithmE0ELj4294967295EEENS1_25partition_config_selectorILNS1_17partition_subalgoE4EjNS0_10empty_typeEbEEZZNS1_14partition_implILS8_4ELb0ES6_15HIP_vector_typeIjLj2EENS0_17counting_iteratorIjlEEPS9_SG_NS0_5tupleIJPjSI_NS0_16reverse_iteratorISI_EEEEENSH_IJSG_SG_SG_EEES9_SI_JZNS1_25segmented_radix_sort_implINS0_14default_configELb1EPKfPfPKlPlN2at6native12_GLOBAL__N_18offset_tEEE10hipError_tPvRmT1_PNSt15iterator_traitsIS12_E10value_typeET2_T3_PNS13_IS18_E10value_typeET4_jRbjT5_S1E_jjP12ihipStream_tbEUljE_ZNSN_ISO_Lb1ESQ_SR_ST_SU_SY_EESZ_S10_S11_S12_S16_S17_S18_S1B_S1C_jS1D_jS1E_S1E_jjS1G_bEUljE0_EEESZ_S10_S11_S18_S1C_S1E_T6_T7_T9_mT8_S1G_bDpT10_ENKUlT_T0_E_clISt17integral_constantIbLb0EES1T_IbLb1EEEEDaS1P_S1Q_EUlS1P_E_NS1_11comp_targetILNS1_3genE9ELNS1_11target_archE1100ELNS1_3gpuE3ELNS1_3repE0EEENS1_30default_config_static_selectorELNS0_4arch9wavefront6targetE0EEEvS12_
    .private_segment_fixed_size: 0
    .sgpr_count:     57
    .sgpr_spill_count: 0
    .symbol:         _ZN7rocprim17ROCPRIM_400000_NS6detail17trampoline_kernelINS0_13select_configILj256ELj13ELNS0_17block_load_methodE3ELS4_3ELS4_3ELNS0_20block_scan_algorithmE0ELj4294967295EEENS1_25partition_config_selectorILNS1_17partition_subalgoE4EjNS0_10empty_typeEbEEZZNS1_14partition_implILS8_4ELb0ES6_15HIP_vector_typeIjLj2EENS0_17counting_iteratorIjlEEPS9_SG_NS0_5tupleIJPjSI_NS0_16reverse_iteratorISI_EEEEENSH_IJSG_SG_SG_EEES9_SI_JZNS1_25segmented_radix_sort_implINS0_14default_configELb1EPKfPfPKlPlN2at6native12_GLOBAL__N_18offset_tEEE10hipError_tPvRmT1_PNSt15iterator_traitsIS12_E10value_typeET2_T3_PNS13_IS18_E10value_typeET4_jRbjT5_S1E_jjP12ihipStream_tbEUljE_ZNSN_ISO_Lb1ESQ_SR_ST_SU_SY_EESZ_S10_S11_S12_S16_S17_S18_S1B_S1C_jS1D_jS1E_S1E_jjS1G_bEUljE0_EEESZ_S10_S11_S18_S1C_S1E_T6_T7_T9_mT8_S1G_bDpT10_ENKUlT_T0_E_clISt17integral_constantIbLb0EES1T_IbLb1EEEEDaS1P_S1Q_EUlS1P_E_NS1_11comp_targetILNS1_3genE9ELNS1_11target_archE1100ELNS1_3gpuE3ELNS1_3repE0EEENS1_30default_config_static_selectorELNS0_4arch9wavefront6targetE0EEEvS12_.kd
    .uniform_work_group_size: 1
    .uses_dynamic_stack: false
    .vgpr_count:     103
    .vgpr_spill_count: 0
    .wavefront_size: 32
    .workgroup_processor_mode: 1
  - .args:
      - .offset:         0
        .size:           184
        .value_kind:     by_value
    .group_segment_fixed_size: 0
    .kernarg_segment_align: 8
    .kernarg_segment_size: 184
    .language:       OpenCL C
    .language_version:
      - 2
      - 0
    .max_flat_workgroup_size: 256
    .name:           _ZN7rocprim17ROCPRIM_400000_NS6detail17trampoline_kernelINS0_13select_configILj256ELj13ELNS0_17block_load_methodE3ELS4_3ELS4_3ELNS0_20block_scan_algorithmE0ELj4294967295EEENS1_25partition_config_selectorILNS1_17partition_subalgoE4EjNS0_10empty_typeEbEEZZNS1_14partition_implILS8_4ELb0ES6_15HIP_vector_typeIjLj2EENS0_17counting_iteratorIjlEEPS9_SG_NS0_5tupleIJPjSI_NS0_16reverse_iteratorISI_EEEEENSH_IJSG_SG_SG_EEES9_SI_JZNS1_25segmented_radix_sort_implINS0_14default_configELb1EPKfPfPKlPlN2at6native12_GLOBAL__N_18offset_tEEE10hipError_tPvRmT1_PNSt15iterator_traitsIS12_E10value_typeET2_T3_PNS13_IS18_E10value_typeET4_jRbjT5_S1E_jjP12ihipStream_tbEUljE_ZNSN_ISO_Lb1ESQ_SR_ST_SU_SY_EESZ_S10_S11_S12_S16_S17_S18_S1B_S1C_jS1D_jS1E_S1E_jjS1G_bEUljE0_EEESZ_S10_S11_S18_S1C_S1E_T6_T7_T9_mT8_S1G_bDpT10_ENKUlT_T0_E_clISt17integral_constantIbLb0EES1T_IbLb1EEEEDaS1P_S1Q_EUlS1P_E_NS1_11comp_targetILNS1_3genE8ELNS1_11target_archE1030ELNS1_3gpuE2ELNS1_3repE0EEENS1_30default_config_static_selectorELNS0_4arch9wavefront6targetE0EEEvS12_
    .private_segment_fixed_size: 0
    .sgpr_count:     0
    .sgpr_spill_count: 0
    .symbol:         _ZN7rocprim17ROCPRIM_400000_NS6detail17trampoline_kernelINS0_13select_configILj256ELj13ELNS0_17block_load_methodE3ELS4_3ELS4_3ELNS0_20block_scan_algorithmE0ELj4294967295EEENS1_25partition_config_selectorILNS1_17partition_subalgoE4EjNS0_10empty_typeEbEEZZNS1_14partition_implILS8_4ELb0ES6_15HIP_vector_typeIjLj2EENS0_17counting_iteratorIjlEEPS9_SG_NS0_5tupleIJPjSI_NS0_16reverse_iteratorISI_EEEEENSH_IJSG_SG_SG_EEES9_SI_JZNS1_25segmented_radix_sort_implINS0_14default_configELb1EPKfPfPKlPlN2at6native12_GLOBAL__N_18offset_tEEE10hipError_tPvRmT1_PNSt15iterator_traitsIS12_E10value_typeET2_T3_PNS13_IS18_E10value_typeET4_jRbjT5_S1E_jjP12ihipStream_tbEUljE_ZNSN_ISO_Lb1ESQ_SR_ST_SU_SY_EESZ_S10_S11_S12_S16_S17_S18_S1B_S1C_jS1D_jS1E_S1E_jjS1G_bEUljE0_EEESZ_S10_S11_S18_S1C_S1E_T6_T7_T9_mT8_S1G_bDpT10_ENKUlT_T0_E_clISt17integral_constantIbLb0EES1T_IbLb1EEEEDaS1P_S1Q_EUlS1P_E_NS1_11comp_targetILNS1_3genE8ELNS1_11target_archE1030ELNS1_3gpuE2ELNS1_3repE0EEENS1_30default_config_static_selectorELNS0_4arch9wavefront6targetE0EEEvS12_.kd
    .uniform_work_group_size: 1
    .uses_dynamic_stack: false
    .vgpr_count:     0
    .vgpr_spill_count: 0
    .wavefront_size: 32
    .workgroup_processor_mode: 1
  - .args:
      - .offset:         0
        .size:           144
        .value_kind:     by_value
    .group_segment_fixed_size: 0
    .kernarg_segment_align: 8
    .kernarg_segment_size: 144
    .language:       OpenCL C
    .language_version:
      - 2
      - 0
    .max_flat_workgroup_size: 256
    .name:           _ZN7rocprim17ROCPRIM_400000_NS6detail17trampoline_kernelINS0_13select_configILj256ELj13ELNS0_17block_load_methodE3ELS4_3ELS4_3ELNS0_20block_scan_algorithmE0ELj4294967295EEENS1_25partition_config_selectorILNS1_17partition_subalgoE3EjNS0_10empty_typeEbEEZZNS1_14partition_implILS8_3ELb0ES6_jNS0_17counting_iteratorIjlEEPS9_SE_NS0_5tupleIJPjSE_EEENSF_IJSE_SE_EEES9_SG_JZNS1_25segmented_radix_sort_implINS0_14default_configELb1EPKfPfPKlPlN2at6native12_GLOBAL__N_18offset_tEEE10hipError_tPvRmT1_PNSt15iterator_traitsISY_E10value_typeET2_T3_PNSZ_IS14_E10value_typeET4_jRbjT5_S1A_jjP12ihipStream_tbEUljE_EEESV_SW_SX_S14_S18_S1A_T6_T7_T9_mT8_S1C_bDpT10_ENKUlT_T0_E_clISt17integral_constantIbLb0EES1P_EEDaS1K_S1L_EUlS1K_E_NS1_11comp_targetILNS1_3genE0ELNS1_11target_archE4294967295ELNS1_3gpuE0ELNS1_3repE0EEENS1_30default_config_static_selectorELNS0_4arch9wavefront6targetE0EEEvSY_
    .private_segment_fixed_size: 0
    .sgpr_count:     0
    .sgpr_spill_count: 0
    .symbol:         _ZN7rocprim17ROCPRIM_400000_NS6detail17trampoline_kernelINS0_13select_configILj256ELj13ELNS0_17block_load_methodE3ELS4_3ELS4_3ELNS0_20block_scan_algorithmE0ELj4294967295EEENS1_25partition_config_selectorILNS1_17partition_subalgoE3EjNS0_10empty_typeEbEEZZNS1_14partition_implILS8_3ELb0ES6_jNS0_17counting_iteratorIjlEEPS9_SE_NS0_5tupleIJPjSE_EEENSF_IJSE_SE_EEES9_SG_JZNS1_25segmented_radix_sort_implINS0_14default_configELb1EPKfPfPKlPlN2at6native12_GLOBAL__N_18offset_tEEE10hipError_tPvRmT1_PNSt15iterator_traitsISY_E10value_typeET2_T3_PNSZ_IS14_E10value_typeET4_jRbjT5_S1A_jjP12ihipStream_tbEUljE_EEESV_SW_SX_S14_S18_S1A_T6_T7_T9_mT8_S1C_bDpT10_ENKUlT_T0_E_clISt17integral_constantIbLb0EES1P_EEDaS1K_S1L_EUlS1K_E_NS1_11comp_targetILNS1_3genE0ELNS1_11target_archE4294967295ELNS1_3gpuE0ELNS1_3repE0EEENS1_30default_config_static_selectorELNS0_4arch9wavefront6targetE0EEEvSY_.kd
    .uniform_work_group_size: 1
    .uses_dynamic_stack: false
    .vgpr_count:     0
    .vgpr_spill_count: 0
    .wavefront_size: 32
    .workgroup_processor_mode: 1
  - .args:
      - .offset:         0
        .size:           144
        .value_kind:     by_value
    .group_segment_fixed_size: 0
    .kernarg_segment_align: 8
    .kernarg_segment_size: 144
    .language:       OpenCL C
    .language_version:
      - 2
      - 0
    .max_flat_workgroup_size: 256
    .name:           _ZN7rocprim17ROCPRIM_400000_NS6detail17trampoline_kernelINS0_13select_configILj256ELj13ELNS0_17block_load_methodE3ELS4_3ELS4_3ELNS0_20block_scan_algorithmE0ELj4294967295EEENS1_25partition_config_selectorILNS1_17partition_subalgoE3EjNS0_10empty_typeEbEEZZNS1_14partition_implILS8_3ELb0ES6_jNS0_17counting_iteratorIjlEEPS9_SE_NS0_5tupleIJPjSE_EEENSF_IJSE_SE_EEES9_SG_JZNS1_25segmented_radix_sort_implINS0_14default_configELb1EPKfPfPKlPlN2at6native12_GLOBAL__N_18offset_tEEE10hipError_tPvRmT1_PNSt15iterator_traitsISY_E10value_typeET2_T3_PNSZ_IS14_E10value_typeET4_jRbjT5_S1A_jjP12ihipStream_tbEUljE_EEESV_SW_SX_S14_S18_S1A_T6_T7_T9_mT8_S1C_bDpT10_ENKUlT_T0_E_clISt17integral_constantIbLb0EES1P_EEDaS1K_S1L_EUlS1K_E_NS1_11comp_targetILNS1_3genE5ELNS1_11target_archE942ELNS1_3gpuE9ELNS1_3repE0EEENS1_30default_config_static_selectorELNS0_4arch9wavefront6targetE0EEEvSY_
    .private_segment_fixed_size: 0
    .sgpr_count:     0
    .sgpr_spill_count: 0
    .symbol:         _ZN7rocprim17ROCPRIM_400000_NS6detail17trampoline_kernelINS0_13select_configILj256ELj13ELNS0_17block_load_methodE3ELS4_3ELS4_3ELNS0_20block_scan_algorithmE0ELj4294967295EEENS1_25partition_config_selectorILNS1_17partition_subalgoE3EjNS0_10empty_typeEbEEZZNS1_14partition_implILS8_3ELb0ES6_jNS0_17counting_iteratorIjlEEPS9_SE_NS0_5tupleIJPjSE_EEENSF_IJSE_SE_EEES9_SG_JZNS1_25segmented_radix_sort_implINS0_14default_configELb1EPKfPfPKlPlN2at6native12_GLOBAL__N_18offset_tEEE10hipError_tPvRmT1_PNSt15iterator_traitsISY_E10value_typeET2_T3_PNSZ_IS14_E10value_typeET4_jRbjT5_S1A_jjP12ihipStream_tbEUljE_EEESV_SW_SX_S14_S18_S1A_T6_T7_T9_mT8_S1C_bDpT10_ENKUlT_T0_E_clISt17integral_constantIbLb0EES1P_EEDaS1K_S1L_EUlS1K_E_NS1_11comp_targetILNS1_3genE5ELNS1_11target_archE942ELNS1_3gpuE9ELNS1_3repE0EEENS1_30default_config_static_selectorELNS0_4arch9wavefront6targetE0EEEvSY_.kd
    .uniform_work_group_size: 1
    .uses_dynamic_stack: false
    .vgpr_count:     0
    .vgpr_spill_count: 0
    .wavefront_size: 32
    .workgroup_processor_mode: 1
  - .args:
      - .offset:         0
        .size:           144
        .value_kind:     by_value
    .group_segment_fixed_size: 0
    .kernarg_segment_align: 8
    .kernarg_segment_size: 144
    .language:       OpenCL C
    .language_version:
      - 2
      - 0
    .max_flat_workgroup_size: 256
    .name:           _ZN7rocprim17ROCPRIM_400000_NS6detail17trampoline_kernelINS0_13select_configILj256ELj13ELNS0_17block_load_methodE3ELS4_3ELS4_3ELNS0_20block_scan_algorithmE0ELj4294967295EEENS1_25partition_config_selectorILNS1_17partition_subalgoE3EjNS0_10empty_typeEbEEZZNS1_14partition_implILS8_3ELb0ES6_jNS0_17counting_iteratorIjlEEPS9_SE_NS0_5tupleIJPjSE_EEENSF_IJSE_SE_EEES9_SG_JZNS1_25segmented_radix_sort_implINS0_14default_configELb1EPKfPfPKlPlN2at6native12_GLOBAL__N_18offset_tEEE10hipError_tPvRmT1_PNSt15iterator_traitsISY_E10value_typeET2_T3_PNSZ_IS14_E10value_typeET4_jRbjT5_S1A_jjP12ihipStream_tbEUljE_EEESV_SW_SX_S14_S18_S1A_T6_T7_T9_mT8_S1C_bDpT10_ENKUlT_T0_E_clISt17integral_constantIbLb0EES1P_EEDaS1K_S1L_EUlS1K_E_NS1_11comp_targetILNS1_3genE4ELNS1_11target_archE910ELNS1_3gpuE8ELNS1_3repE0EEENS1_30default_config_static_selectorELNS0_4arch9wavefront6targetE0EEEvSY_
    .private_segment_fixed_size: 0
    .sgpr_count:     0
    .sgpr_spill_count: 0
    .symbol:         _ZN7rocprim17ROCPRIM_400000_NS6detail17trampoline_kernelINS0_13select_configILj256ELj13ELNS0_17block_load_methodE3ELS4_3ELS4_3ELNS0_20block_scan_algorithmE0ELj4294967295EEENS1_25partition_config_selectorILNS1_17partition_subalgoE3EjNS0_10empty_typeEbEEZZNS1_14partition_implILS8_3ELb0ES6_jNS0_17counting_iteratorIjlEEPS9_SE_NS0_5tupleIJPjSE_EEENSF_IJSE_SE_EEES9_SG_JZNS1_25segmented_radix_sort_implINS0_14default_configELb1EPKfPfPKlPlN2at6native12_GLOBAL__N_18offset_tEEE10hipError_tPvRmT1_PNSt15iterator_traitsISY_E10value_typeET2_T3_PNSZ_IS14_E10value_typeET4_jRbjT5_S1A_jjP12ihipStream_tbEUljE_EEESV_SW_SX_S14_S18_S1A_T6_T7_T9_mT8_S1C_bDpT10_ENKUlT_T0_E_clISt17integral_constantIbLb0EES1P_EEDaS1K_S1L_EUlS1K_E_NS1_11comp_targetILNS1_3genE4ELNS1_11target_archE910ELNS1_3gpuE8ELNS1_3repE0EEENS1_30default_config_static_selectorELNS0_4arch9wavefront6targetE0EEEvSY_.kd
    .uniform_work_group_size: 1
    .uses_dynamic_stack: false
    .vgpr_count:     0
    .vgpr_spill_count: 0
    .wavefront_size: 32
    .workgroup_processor_mode: 1
  - .args:
      - .offset:         0
        .size:           144
        .value_kind:     by_value
    .group_segment_fixed_size: 0
    .kernarg_segment_align: 8
    .kernarg_segment_size: 144
    .language:       OpenCL C
    .language_version:
      - 2
      - 0
    .max_flat_workgroup_size: 256
    .name:           _ZN7rocprim17ROCPRIM_400000_NS6detail17trampoline_kernelINS0_13select_configILj256ELj13ELNS0_17block_load_methodE3ELS4_3ELS4_3ELNS0_20block_scan_algorithmE0ELj4294967295EEENS1_25partition_config_selectorILNS1_17partition_subalgoE3EjNS0_10empty_typeEbEEZZNS1_14partition_implILS8_3ELb0ES6_jNS0_17counting_iteratorIjlEEPS9_SE_NS0_5tupleIJPjSE_EEENSF_IJSE_SE_EEES9_SG_JZNS1_25segmented_radix_sort_implINS0_14default_configELb1EPKfPfPKlPlN2at6native12_GLOBAL__N_18offset_tEEE10hipError_tPvRmT1_PNSt15iterator_traitsISY_E10value_typeET2_T3_PNSZ_IS14_E10value_typeET4_jRbjT5_S1A_jjP12ihipStream_tbEUljE_EEESV_SW_SX_S14_S18_S1A_T6_T7_T9_mT8_S1C_bDpT10_ENKUlT_T0_E_clISt17integral_constantIbLb0EES1P_EEDaS1K_S1L_EUlS1K_E_NS1_11comp_targetILNS1_3genE3ELNS1_11target_archE908ELNS1_3gpuE7ELNS1_3repE0EEENS1_30default_config_static_selectorELNS0_4arch9wavefront6targetE0EEEvSY_
    .private_segment_fixed_size: 0
    .sgpr_count:     0
    .sgpr_spill_count: 0
    .symbol:         _ZN7rocprim17ROCPRIM_400000_NS6detail17trampoline_kernelINS0_13select_configILj256ELj13ELNS0_17block_load_methodE3ELS4_3ELS4_3ELNS0_20block_scan_algorithmE0ELj4294967295EEENS1_25partition_config_selectorILNS1_17partition_subalgoE3EjNS0_10empty_typeEbEEZZNS1_14partition_implILS8_3ELb0ES6_jNS0_17counting_iteratorIjlEEPS9_SE_NS0_5tupleIJPjSE_EEENSF_IJSE_SE_EEES9_SG_JZNS1_25segmented_radix_sort_implINS0_14default_configELb1EPKfPfPKlPlN2at6native12_GLOBAL__N_18offset_tEEE10hipError_tPvRmT1_PNSt15iterator_traitsISY_E10value_typeET2_T3_PNSZ_IS14_E10value_typeET4_jRbjT5_S1A_jjP12ihipStream_tbEUljE_EEESV_SW_SX_S14_S18_S1A_T6_T7_T9_mT8_S1C_bDpT10_ENKUlT_T0_E_clISt17integral_constantIbLb0EES1P_EEDaS1K_S1L_EUlS1K_E_NS1_11comp_targetILNS1_3genE3ELNS1_11target_archE908ELNS1_3gpuE7ELNS1_3repE0EEENS1_30default_config_static_selectorELNS0_4arch9wavefront6targetE0EEEvSY_.kd
    .uniform_work_group_size: 1
    .uses_dynamic_stack: false
    .vgpr_count:     0
    .vgpr_spill_count: 0
    .wavefront_size: 32
    .workgroup_processor_mode: 1
  - .args:
      - .offset:         0
        .size:           144
        .value_kind:     by_value
    .group_segment_fixed_size: 0
    .kernarg_segment_align: 8
    .kernarg_segment_size: 144
    .language:       OpenCL C
    .language_version:
      - 2
      - 0
    .max_flat_workgroup_size: 256
    .name:           _ZN7rocprim17ROCPRIM_400000_NS6detail17trampoline_kernelINS0_13select_configILj256ELj13ELNS0_17block_load_methodE3ELS4_3ELS4_3ELNS0_20block_scan_algorithmE0ELj4294967295EEENS1_25partition_config_selectorILNS1_17partition_subalgoE3EjNS0_10empty_typeEbEEZZNS1_14partition_implILS8_3ELb0ES6_jNS0_17counting_iteratorIjlEEPS9_SE_NS0_5tupleIJPjSE_EEENSF_IJSE_SE_EEES9_SG_JZNS1_25segmented_radix_sort_implINS0_14default_configELb1EPKfPfPKlPlN2at6native12_GLOBAL__N_18offset_tEEE10hipError_tPvRmT1_PNSt15iterator_traitsISY_E10value_typeET2_T3_PNSZ_IS14_E10value_typeET4_jRbjT5_S1A_jjP12ihipStream_tbEUljE_EEESV_SW_SX_S14_S18_S1A_T6_T7_T9_mT8_S1C_bDpT10_ENKUlT_T0_E_clISt17integral_constantIbLb0EES1P_EEDaS1K_S1L_EUlS1K_E_NS1_11comp_targetILNS1_3genE2ELNS1_11target_archE906ELNS1_3gpuE6ELNS1_3repE0EEENS1_30default_config_static_selectorELNS0_4arch9wavefront6targetE0EEEvSY_
    .private_segment_fixed_size: 0
    .sgpr_count:     0
    .sgpr_spill_count: 0
    .symbol:         _ZN7rocprim17ROCPRIM_400000_NS6detail17trampoline_kernelINS0_13select_configILj256ELj13ELNS0_17block_load_methodE3ELS4_3ELS4_3ELNS0_20block_scan_algorithmE0ELj4294967295EEENS1_25partition_config_selectorILNS1_17partition_subalgoE3EjNS0_10empty_typeEbEEZZNS1_14partition_implILS8_3ELb0ES6_jNS0_17counting_iteratorIjlEEPS9_SE_NS0_5tupleIJPjSE_EEENSF_IJSE_SE_EEES9_SG_JZNS1_25segmented_radix_sort_implINS0_14default_configELb1EPKfPfPKlPlN2at6native12_GLOBAL__N_18offset_tEEE10hipError_tPvRmT1_PNSt15iterator_traitsISY_E10value_typeET2_T3_PNSZ_IS14_E10value_typeET4_jRbjT5_S1A_jjP12ihipStream_tbEUljE_EEESV_SW_SX_S14_S18_S1A_T6_T7_T9_mT8_S1C_bDpT10_ENKUlT_T0_E_clISt17integral_constantIbLb0EES1P_EEDaS1K_S1L_EUlS1K_E_NS1_11comp_targetILNS1_3genE2ELNS1_11target_archE906ELNS1_3gpuE6ELNS1_3repE0EEENS1_30default_config_static_selectorELNS0_4arch9wavefront6targetE0EEEvSY_.kd
    .uniform_work_group_size: 1
    .uses_dynamic_stack: false
    .vgpr_count:     0
    .vgpr_spill_count: 0
    .wavefront_size: 32
    .workgroup_processor_mode: 1
  - .args:
      - .offset:         0
        .size:           144
        .value_kind:     by_value
    .group_segment_fixed_size: 0
    .kernarg_segment_align: 8
    .kernarg_segment_size: 144
    .language:       OpenCL C
    .language_version:
      - 2
      - 0
    .max_flat_workgroup_size: 256
    .name:           _ZN7rocprim17ROCPRIM_400000_NS6detail17trampoline_kernelINS0_13select_configILj256ELj13ELNS0_17block_load_methodE3ELS4_3ELS4_3ELNS0_20block_scan_algorithmE0ELj4294967295EEENS1_25partition_config_selectorILNS1_17partition_subalgoE3EjNS0_10empty_typeEbEEZZNS1_14partition_implILS8_3ELb0ES6_jNS0_17counting_iteratorIjlEEPS9_SE_NS0_5tupleIJPjSE_EEENSF_IJSE_SE_EEES9_SG_JZNS1_25segmented_radix_sort_implINS0_14default_configELb1EPKfPfPKlPlN2at6native12_GLOBAL__N_18offset_tEEE10hipError_tPvRmT1_PNSt15iterator_traitsISY_E10value_typeET2_T3_PNSZ_IS14_E10value_typeET4_jRbjT5_S1A_jjP12ihipStream_tbEUljE_EEESV_SW_SX_S14_S18_S1A_T6_T7_T9_mT8_S1C_bDpT10_ENKUlT_T0_E_clISt17integral_constantIbLb0EES1P_EEDaS1K_S1L_EUlS1K_E_NS1_11comp_targetILNS1_3genE10ELNS1_11target_archE1200ELNS1_3gpuE4ELNS1_3repE0EEENS1_30default_config_static_selectorELNS0_4arch9wavefront6targetE0EEEvSY_
    .private_segment_fixed_size: 0
    .sgpr_count:     0
    .sgpr_spill_count: 0
    .symbol:         _ZN7rocprim17ROCPRIM_400000_NS6detail17trampoline_kernelINS0_13select_configILj256ELj13ELNS0_17block_load_methodE3ELS4_3ELS4_3ELNS0_20block_scan_algorithmE0ELj4294967295EEENS1_25partition_config_selectorILNS1_17partition_subalgoE3EjNS0_10empty_typeEbEEZZNS1_14partition_implILS8_3ELb0ES6_jNS0_17counting_iteratorIjlEEPS9_SE_NS0_5tupleIJPjSE_EEENSF_IJSE_SE_EEES9_SG_JZNS1_25segmented_radix_sort_implINS0_14default_configELb1EPKfPfPKlPlN2at6native12_GLOBAL__N_18offset_tEEE10hipError_tPvRmT1_PNSt15iterator_traitsISY_E10value_typeET2_T3_PNSZ_IS14_E10value_typeET4_jRbjT5_S1A_jjP12ihipStream_tbEUljE_EEESV_SW_SX_S14_S18_S1A_T6_T7_T9_mT8_S1C_bDpT10_ENKUlT_T0_E_clISt17integral_constantIbLb0EES1P_EEDaS1K_S1L_EUlS1K_E_NS1_11comp_targetILNS1_3genE10ELNS1_11target_archE1200ELNS1_3gpuE4ELNS1_3repE0EEENS1_30default_config_static_selectorELNS0_4arch9wavefront6targetE0EEEvSY_.kd
    .uniform_work_group_size: 1
    .uses_dynamic_stack: false
    .vgpr_count:     0
    .vgpr_spill_count: 0
    .wavefront_size: 32
    .workgroup_processor_mode: 1
  - .args:
      - .offset:         0
        .size:           144
        .value_kind:     by_value
    .group_segment_fixed_size: 13324
    .kernarg_segment_align: 8
    .kernarg_segment_size: 144
    .language:       OpenCL C
    .language_version:
      - 2
      - 0
    .max_flat_workgroup_size: 256
    .name:           _ZN7rocprim17ROCPRIM_400000_NS6detail17trampoline_kernelINS0_13select_configILj256ELj13ELNS0_17block_load_methodE3ELS4_3ELS4_3ELNS0_20block_scan_algorithmE0ELj4294967295EEENS1_25partition_config_selectorILNS1_17partition_subalgoE3EjNS0_10empty_typeEbEEZZNS1_14partition_implILS8_3ELb0ES6_jNS0_17counting_iteratorIjlEEPS9_SE_NS0_5tupleIJPjSE_EEENSF_IJSE_SE_EEES9_SG_JZNS1_25segmented_radix_sort_implINS0_14default_configELb1EPKfPfPKlPlN2at6native12_GLOBAL__N_18offset_tEEE10hipError_tPvRmT1_PNSt15iterator_traitsISY_E10value_typeET2_T3_PNSZ_IS14_E10value_typeET4_jRbjT5_S1A_jjP12ihipStream_tbEUljE_EEESV_SW_SX_S14_S18_S1A_T6_T7_T9_mT8_S1C_bDpT10_ENKUlT_T0_E_clISt17integral_constantIbLb0EES1P_EEDaS1K_S1L_EUlS1K_E_NS1_11comp_targetILNS1_3genE9ELNS1_11target_archE1100ELNS1_3gpuE3ELNS1_3repE0EEENS1_30default_config_static_selectorELNS0_4arch9wavefront6targetE0EEEvSY_
    .private_segment_fixed_size: 0
    .sgpr_count:     30
    .sgpr_spill_count: 0
    .symbol:         _ZN7rocprim17ROCPRIM_400000_NS6detail17trampoline_kernelINS0_13select_configILj256ELj13ELNS0_17block_load_methodE3ELS4_3ELS4_3ELNS0_20block_scan_algorithmE0ELj4294967295EEENS1_25partition_config_selectorILNS1_17partition_subalgoE3EjNS0_10empty_typeEbEEZZNS1_14partition_implILS8_3ELb0ES6_jNS0_17counting_iteratorIjlEEPS9_SE_NS0_5tupleIJPjSE_EEENSF_IJSE_SE_EEES9_SG_JZNS1_25segmented_radix_sort_implINS0_14default_configELb1EPKfPfPKlPlN2at6native12_GLOBAL__N_18offset_tEEE10hipError_tPvRmT1_PNSt15iterator_traitsISY_E10value_typeET2_T3_PNSZ_IS14_E10value_typeET4_jRbjT5_S1A_jjP12ihipStream_tbEUljE_EEESV_SW_SX_S14_S18_S1A_T6_T7_T9_mT8_S1C_bDpT10_ENKUlT_T0_E_clISt17integral_constantIbLb0EES1P_EEDaS1K_S1L_EUlS1K_E_NS1_11comp_targetILNS1_3genE9ELNS1_11target_archE1100ELNS1_3gpuE3ELNS1_3repE0EEENS1_30default_config_static_selectorELNS0_4arch9wavefront6targetE0EEEvSY_.kd
    .uniform_work_group_size: 1
    .uses_dynamic_stack: false
    .vgpr_count:     57
    .vgpr_spill_count: 0
    .wavefront_size: 32
    .workgroup_processor_mode: 1
  - .args:
      - .offset:         0
        .size:           144
        .value_kind:     by_value
    .group_segment_fixed_size: 0
    .kernarg_segment_align: 8
    .kernarg_segment_size: 144
    .language:       OpenCL C
    .language_version:
      - 2
      - 0
    .max_flat_workgroup_size: 256
    .name:           _ZN7rocprim17ROCPRIM_400000_NS6detail17trampoline_kernelINS0_13select_configILj256ELj13ELNS0_17block_load_methodE3ELS4_3ELS4_3ELNS0_20block_scan_algorithmE0ELj4294967295EEENS1_25partition_config_selectorILNS1_17partition_subalgoE3EjNS0_10empty_typeEbEEZZNS1_14partition_implILS8_3ELb0ES6_jNS0_17counting_iteratorIjlEEPS9_SE_NS0_5tupleIJPjSE_EEENSF_IJSE_SE_EEES9_SG_JZNS1_25segmented_radix_sort_implINS0_14default_configELb1EPKfPfPKlPlN2at6native12_GLOBAL__N_18offset_tEEE10hipError_tPvRmT1_PNSt15iterator_traitsISY_E10value_typeET2_T3_PNSZ_IS14_E10value_typeET4_jRbjT5_S1A_jjP12ihipStream_tbEUljE_EEESV_SW_SX_S14_S18_S1A_T6_T7_T9_mT8_S1C_bDpT10_ENKUlT_T0_E_clISt17integral_constantIbLb0EES1P_EEDaS1K_S1L_EUlS1K_E_NS1_11comp_targetILNS1_3genE8ELNS1_11target_archE1030ELNS1_3gpuE2ELNS1_3repE0EEENS1_30default_config_static_selectorELNS0_4arch9wavefront6targetE0EEEvSY_
    .private_segment_fixed_size: 0
    .sgpr_count:     0
    .sgpr_spill_count: 0
    .symbol:         _ZN7rocprim17ROCPRIM_400000_NS6detail17trampoline_kernelINS0_13select_configILj256ELj13ELNS0_17block_load_methodE3ELS4_3ELS4_3ELNS0_20block_scan_algorithmE0ELj4294967295EEENS1_25partition_config_selectorILNS1_17partition_subalgoE3EjNS0_10empty_typeEbEEZZNS1_14partition_implILS8_3ELb0ES6_jNS0_17counting_iteratorIjlEEPS9_SE_NS0_5tupleIJPjSE_EEENSF_IJSE_SE_EEES9_SG_JZNS1_25segmented_radix_sort_implINS0_14default_configELb1EPKfPfPKlPlN2at6native12_GLOBAL__N_18offset_tEEE10hipError_tPvRmT1_PNSt15iterator_traitsISY_E10value_typeET2_T3_PNSZ_IS14_E10value_typeET4_jRbjT5_S1A_jjP12ihipStream_tbEUljE_EEESV_SW_SX_S14_S18_S1A_T6_T7_T9_mT8_S1C_bDpT10_ENKUlT_T0_E_clISt17integral_constantIbLb0EES1P_EEDaS1K_S1L_EUlS1K_E_NS1_11comp_targetILNS1_3genE8ELNS1_11target_archE1030ELNS1_3gpuE2ELNS1_3repE0EEENS1_30default_config_static_selectorELNS0_4arch9wavefront6targetE0EEEvSY_.kd
    .uniform_work_group_size: 1
    .uses_dynamic_stack: false
    .vgpr_count:     0
    .vgpr_spill_count: 0
    .wavefront_size: 32
    .workgroup_processor_mode: 1
  - .args:
      - .offset:         0
        .size:           152
        .value_kind:     by_value
    .group_segment_fixed_size: 0
    .kernarg_segment_align: 8
    .kernarg_segment_size: 152
    .language:       OpenCL C
    .language_version:
      - 2
      - 0
    .max_flat_workgroup_size: 256
    .name:           _ZN7rocprim17ROCPRIM_400000_NS6detail17trampoline_kernelINS0_13select_configILj256ELj13ELNS0_17block_load_methodE3ELS4_3ELS4_3ELNS0_20block_scan_algorithmE0ELj4294967295EEENS1_25partition_config_selectorILNS1_17partition_subalgoE3EjNS0_10empty_typeEbEEZZNS1_14partition_implILS8_3ELb0ES6_jNS0_17counting_iteratorIjlEEPS9_SE_NS0_5tupleIJPjSE_EEENSF_IJSE_SE_EEES9_SG_JZNS1_25segmented_radix_sort_implINS0_14default_configELb1EPKfPfPKlPlN2at6native12_GLOBAL__N_18offset_tEEE10hipError_tPvRmT1_PNSt15iterator_traitsISY_E10value_typeET2_T3_PNSZ_IS14_E10value_typeET4_jRbjT5_S1A_jjP12ihipStream_tbEUljE_EEESV_SW_SX_S14_S18_S1A_T6_T7_T9_mT8_S1C_bDpT10_ENKUlT_T0_E_clISt17integral_constantIbLb1EES1P_EEDaS1K_S1L_EUlS1K_E_NS1_11comp_targetILNS1_3genE0ELNS1_11target_archE4294967295ELNS1_3gpuE0ELNS1_3repE0EEENS1_30default_config_static_selectorELNS0_4arch9wavefront6targetE0EEEvSY_
    .private_segment_fixed_size: 0
    .sgpr_count:     0
    .sgpr_spill_count: 0
    .symbol:         _ZN7rocprim17ROCPRIM_400000_NS6detail17trampoline_kernelINS0_13select_configILj256ELj13ELNS0_17block_load_methodE3ELS4_3ELS4_3ELNS0_20block_scan_algorithmE0ELj4294967295EEENS1_25partition_config_selectorILNS1_17partition_subalgoE3EjNS0_10empty_typeEbEEZZNS1_14partition_implILS8_3ELb0ES6_jNS0_17counting_iteratorIjlEEPS9_SE_NS0_5tupleIJPjSE_EEENSF_IJSE_SE_EEES9_SG_JZNS1_25segmented_radix_sort_implINS0_14default_configELb1EPKfPfPKlPlN2at6native12_GLOBAL__N_18offset_tEEE10hipError_tPvRmT1_PNSt15iterator_traitsISY_E10value_typeET2_T3_PNSZ_IS14_E10value_typeET4_jRbjT5_S1A_jjP12ihipStream_tbEUljE_EEESV_SW_SX_S14_S18_S1A_T6_T7_T9_mT8_S1C_bDpT10_ENKUlT_T0_E_clISt17integral_constantIbLb1EES1P_EEDaS1K_S1L_EUlS1K_E_NS1_11comp_targetILNS1_3genE0ELNS1_11target_archE4294967295ELNS1_3gpuE0ELNS1_3repE0EEENS1_30default_config_static_selectorELNS0_4arch9wavefront6targetE0EEEvSY_.kd
    .uniform_work_group_size: 1
    .uses_dynamic_stack: false
    .vgpr_count:     0
    .vgpr_spill_count: 0
    .wavefront_size: 32
    .workgroup_processor_mode: 1
  - .args:
      - .offset:         0
        .size:           152
        .value_kind:     by_value
    .group_segment_fixed_size: 0
    .kernarg_segment_align: 8
    .kernarg_segment_size: 152
    .language:       OpenCL C
    .language_version:
      - 2
      - 0
    .max_flat_workgroup_size: 256
    .name:           _ZN7rocprim17ROCPRIM_400000_NS6detail17trampoline_kernelINS0_13select_configILj256ELj13ELNS0_17block_load_methodE3ELS4_3ELS4_3ELNS0_20block_scan_algorithmE0ELj4294967295EEENS1_25partition_config_selectorILNS1_17partition_subalgoE3EjNS0_10empty_typeEbEEZZNS1_14partition_implILS8_3ELb0ES6_jNS0_17counting_iteratorIjlEEPS9_SE_NS0_5tupleIJPjSE_EEENSF_IJSE_SE_EEES9_SG_JZNS1_25segmented_radix_sort_implINS0_14default_configELb1EPKfPfPKlPlN2at6native12_GLOBAL__N_18offset_tEEE10hipError_tPvRmT1_PNSt15iterator_traitsISY_E10value_typeET2_T3_PNSZ_IS14_E10value_typeET4_jRbjT5_S1A_jjP12ihipStream_tbEUljE_EEESV_SW_SX_S14_S18_S1A_T6_T7_T9_mT8_S1C_bDpT10_ENKUlT_T0_E_clISt17integral_constantIbLb1EES1P_EEDaS1K_S1L_EUlS1K_E_NS1_11comp_targetILNS1_3genE5ELNS1_11target_archE942ELNS1_3gpuE9ELNS1_3repE0EEENS1_30default_config_static_selectorELNS0_4arch9wavefront6targetE0EEEvSY_
    .private_segment_fixed_size: 0
    .sgpr_count:     0
    .sgpr_spill_count: 0
    .symbol:         _ZN7rocprim17ROCPRIM_400000_NS6detail17trampoline_kernelINS0_13select_configILj256ELj13ELNS0_17block_load_methodE3ELS4_3ELS4_3ELNS0_20block_scan_algorithmE0ELj4294967295EEENS1_25partition_config_selectorILNS1_17partition_subalgoE3EjNS0_10empty_typeEbEEZZNS1_14partition_implILS8_3ELb0ES6_jNS0_17counting_iteratorIjlEEPS9_SE_NS0_5tupleIJPjSE_EEENSF_IJSE_SE_EEES9_SG_JZNS1_25segmented_radix_sort_implINS0_14default_configELb1EPKfPfPKlPlN2at6native12_GLOBAL__N_18offset_tEEE10hipError_tPvRmT1_PNSt15iterator_traitsISY_E10value_typeET2_T3_PNSZ_IS14_E10value_typeET4_jRbjT5_S1A_jjP12ihipStream_tbEUljE_EEESV_SW_SX_S14_S18_S1A_T6_T7_T9_mT8_S1C_bDpT10_ENKUlT_T0_E_clISt17integral_constantIbLb1EES1P_EEDaS1K_S1L_EUlS1K_E_NS1_11comp_targetILNS1_3genE5ELNS1_11target_archE942ELNS1_3gpuE9ELNS1_3repE0EEENS1_30default_config_static_selectorELNS0_4arch9wavefront6targetE0EEEvSY_.kd
    .uniform_work_group_size: 1
    .uses_dynamic_stack: false
    .vgpr_count:     0
    .vgpr_spill_count: 0
    .wavefront_size: 32
    .workgroup_processor_mode: 1
  - .args:
      - .offset:         0
        .size:           152
        .value_kind:     by_value
    .group_segment_fixed_size: 0
    .kernarg_segment_align: 8
    .kernarg_segment_size: 152
    .language:       OpenCL C
    .language_version:
      - 2
      - 0
    .max_flat_workgroup_size: 256
    .name:           _ZN7rocprim17ROCPRIM_400000_NS6detail17trampoline_kernelINS0_13select_configILj256ELj13ELNS0_17block_load_methodE3ELS4_3ELS4_3ELNS0_20block_scan_algorithmE0ELj4294967295EEENS1_25partition_config_selectorILNS1_17partition_subalgoE3EjNS0_10empty_typeEbEEZZNS1_14partition_implILS8_3ELb0ES6_jNS0_17counting_iteratorIjlEEPS9_SE_NS0_5tupleIJPjSE_EEENSF_IJSE_SE_EEES9_SG_JZNS1_25segmented_radix_sort_implINS0_14default_configELb1EPKfPfPKlPlN2at6native12_GLOBAL__N_18offset_tEEE10hipError_tPvRmT1_PNSt15iterator_traitsISY_E10value_typeET2_T3_PNSZ_IS14_E10value_typeET4_jRbjT5_S1A_jjP12ihipStream_tbEUljE_EEESV_SW_SX_S14_S18_S1A_T6_T7_T9_mT8_S1C_bDpT10_ENKUlT_T0_E_clISt17integral_constantIbLb1EES1P_EEDaS1K_S1L_EUlS1K_E_NS1_11comp_targetILNS1_3genE4ELNS1_11target_archE910ELNS1_3gpuE8ELNS1_3repE0EEENS1_30default_config_static_selectorELNS0_4arch9wavefront6targetE0EEEvSY_
    .private_segment_fixed_size: 0
    .sgpr_count:     0
    .sgpr_spill_count: 0
    .symbol:         _ZN7rocprim17ROCPRIM_400000_NS6detail17trampoline_kernelINS0_13select_configILj256ELj13ELNS0_17block_load_methodE3ELS4_3ELS4_3ELNS0_20block_scan_algorithmE0ELj4294967295EEENS1_25partition_config_selectorILNS1_17partition_subalgoE3EjNS0_10empty_typeEbEEZZNS1_14partition_implILS8_3ELb0ES6_jNS0_17counting_iteratorIjlEEPS9_SE_NS0_5tupleIJPjSE_EEENSF_IJSE_SE_EEES9_SG_JZNS1_25segmented_radix_sort_implINS0_14default_configELb1EPKfPfPKlPlN2at6native12_GLOBAL__N_18offset_tEEE10hipError_tPvRmT1_PNSt15iterator_traitsISY_E10value_typeET2_T3_PNSZ_IS14_E10value_typeET4_jRbjT5_S1A_jjP12ihipStream_tbEUljE_EEESV_SW_SX_S14_S18_S1A_T6_T7_T9_mT8_S1C_bDpT10_ENKUlT_T0_E_clISt17integral_constantIbLb1EES1P_EEDaS1K_S1L_EUlS1K_E_NS1_11comp_targetILNS1_3genE4ELNS1_11target_archE910ELNS1_3gpuE8ELNS1_3repE0EEENS1_30default_config_static_selectorELNS0_4arch9wavefront6targetE0EEEvSY_.kd
    .uniform_work_group_size: 1
    .uses_dynamic_stack: false
    .vgpr_count:     0
    .vgpr_spill_count: 0
    .wavefront_size: 32
    .workgroup_processor_mode: 1
  - .args:
      - .offset:         0
        .size:           152
        .value_kind:     by_value
    .group_segment_fixed_size: 0
    .kernarg_segment_align: 8
    .kernarg_segment_size: 152
    .language:       OpenCL C
    .language_version:
      - 2
      - 0
    .max_flat_workgroup_size: 256
    .name:           _ZN7rocprim17ROCPRIM_400000_NS6detail17trampoline_kernelINS0_13select_configILj256ELj13ELNS0_17block_load_methodE3ELS4_3ELS4_3ELNS0_20block_scan_algorithmE0ELj4294967295EEENS1_25partition_config_selectorILNS1_17partition_subalgoE3EjNS0_10empty_typeEbEEZZNS1_14partition_implILS8_3ELb0ES6_jNS0_17counting_iteratorIjlEEPS9_SE_NS0_5tupleIJPjSE_EEENSF_IJSE_SE_EEES9_SG_JZNS1_25segmented_radix_sort_implINS0_14default_configELb1EPKfPfPKlPlN2at6native12_GLOBAL__N_18offset_tEEE10hipError_tPvRmT1_PNSt15iterator_traitsISY_E10value_typeET2_T3_PNSZ_IS14_E10value_typeET4_jRbjT5_S1A_jjP12ihipStream_tbEUljE_EEESV_SW_SX_S14_S18_S1A_T6_T7_T9_mT8_S1C_bDpT10_ENKUlT_T0_E_clISt17integral_constantIbLb1EES1P_EEDaS1K_S1L_EUlS1K_E_NS1_11comp_targetILNS1_3genE3ELNS1_11target_archE908ELNS1_3gpuE7ELNS1_3repE0EEENS1_30default_config_static_selectorELNS0_4arch9wavefront6targetE0EEEvSY_
    .private_segment_fixed_size: 0
    .sgpr_count:     0
    .sgpr_spill_count: 0
    .symbol:         _ZN7rocprim17ROCPRIM_400000_NS6detail17trampoline_kernelINS0_13select_configILj256ELj13ELNS0_17block_load_methodE3ELS4_3ELS4_3ELNS0_20block_scan_algorithmE0ELj4294967295EEENS1_25partition_config_selectorILNS1_17partition_subalgoE3EjNS0_10empty_typeEbEEZZNS1_14partition_implILS8_3ELb0ES6_jNS0_17counting_iteratorIjlEEPS9_SE_NS0_5tupleIJPjSE_EEENSF_IJSE_SE_EEES9_SG_JZNS1_25segmented_radix_sort_implINS0_14default_configELb1EPKfPfPKlPlN2at6native12_GLOBAL__N_18offset_tEEE10hipError_tPvRmT1_PNSt15iterator_traitsISY_E10value_typeET2_T3_PNSZ_IS14_E10value_typeET4_jRbjT5_S1A_jjP12ihipStream_tbEUljE_EEESV_SW_SX_S14_S18_S1A_T6_T7_T9_mT8_S1C_bDpT10_ENKUlT_T0_E_clISt17integral_constantIbLb1EES1P_EEDaS1K_S1L_EUlS1K_E_NS1_11comp_targetILNS1_3genE3ELNS1_11target_archE908ELNS1_3gpuE7ELNS1_3repE0EEENS1_30default_config_static_selectorELNS0_4arch9wavefront6targetE0EEEvSY_.kd
    .uniform_work_group_size: 1
    .uses_dynamic_stack: false
    .vgpr_count:     0
    .vgpr_spill_count: 0
    .wavefront_size: 32
    .workgroup_processor_mode: 1
  - .args:
      - .offset:         0
        .size:           152
        .value_kind:     by_value
    .group_segment_fixed_size: 0
    .kernarg_segment_align: 8
    .kernarg_segment_size: 152
    .language:       OpenCL C
    .language_version:
      - 2
      - 0
    .max_flat_workgroup_size: 256
    .name:           _ZN7rocprim17ROCPRIM_400000_NS6detail17trampoline_kernelINS0_13select_configILj256ELj13ELNS0_17block_load_methodE3ELS4_3ELS4_3ELNS0_20block_scan_algorithmE0ELj4294967295EEENS1_25partition_config_selectorILNS1_17partition_subalgoE3EjNS0_10empty_typeEbEEZZNS1_14partition_implILS8_3ELb0ES6_jNS0_17counting_iteratorIjlEEPS9_SE_NS0_5tupleIJPjSE_EEENSF_IJSE_SE_EEES9_SG_JZNS1_25segmented_radix_sort_implINS0_14default_configELb1EPKfPfPKlPlN2at6native12_GLOBAL__N_18offset_tEEE10hipError_tPvRmT1_PNSt15iterator_traitsISY_E10value_typeET2_T3_PNSZ_IS14_E10value_typeET4_jRbjT5_S1A_jjP12ihipStream_tbEUljE_EEESV_SW_SX_S14_S18_S1A_T6_T7_T9_mT8_S1C_bDpT10_ENKUlT_T0_E_clISt17integral_constantIbLb1EES1P_EEDaS1K_S1L_EUlS1K_E_NS1_11comp_targetILNS1_3genE2ELNS1_11target_archE906ELNS1_3gpuE6ELNS1_3repE0EEENS1_30default_config_static_selectorELNS0_4arch9wavefront6targetE0EEEvSY_
    .private_segment_fixed_size: 0
    .sgpr_count:     0
    .sgpr_spill_count: 0
    .symbol:         _ZN7rocprim17ROCPRIM_400000_NS6detail17trampoline_kernelINS0_13select_configILj256ELj13ELNS0_17block_load_methodE3ELS4_3ELS4_3ELNS0_20block_scan_algorithmE0ELj4294967295EEENS1_25partition_config_selectorILNS1_17partition_subalgoE3EjNS0_10empty_typeEbEEZZNS1_14partition_implILS8_3ELb0ES6_jNS0_17counting_iteratorIjlEEPS9_SE_NS0_5tupleIJPjSE_EEENSF_IJSE_SE_EEES9_SG_JZNS1_25segmented_radix_sort_implINS0_14default_configELb1EPKfPfPKlPlN2at6native12_GLOBAL__N_18offset_tEEE10hipError_tPvRmT1_PNSt15iterator_traitsISY_E10value_typeET2_T3_PNSZ_IS14_E10value_typeET4_jRbjT5_S1A_jjP12ihipStream_tbEUljE_EEESV_SW_SX_S14_S18_S1A_T6_T7_T9_mT8_S1C_bDpT10_ENKUlT_T0_E_clISt17integral_constantIbLb1EES1P_EEDaS1K_S1L_EUlS1K_E_NS1_11comp_targetILNS1_3genE2ELNS1_11target_archE906ELNS1_3gpuE6ELNS1_3repE0EEENS1_30default_config_static_selectorELNS0_4arch9wavefront6targetE0EEEvSY_.kd
    .uniform_work_group_size: 1
    .uses_dynamic_stack: false
    .vgpr_count:     0
    .vgpr_spill_count: 0
    .wavefront_size: 32
    .workgroup_processor_mode: 1
  - .args:
      - .offset:         0
        .size:           152
        .value_kind:     by_value
    .group_segment_fixed_size: 0
    .kernarg_segment_align: 8
    .kernarg_segment_size: 152
    .language:       OpenCL C
    .language_version:
      - 2
      - 0
    .max_flat_workgroup_size: 256
    .name:           _ZN7rocprim17ROCPRIM_400000_NS6detail17trampoline_kernelINS0_13select_configILj256ELj13ELNS0_17block_load_methodE3ELS4_3ELS4_3ELNS0_20block_scan_algorithmE0ELj4294967295EEENS1_25partition_config_selectorILNS1_17partition_subalgoE3EjNS0_10empty_typeEbEEZZNS1_14partition_implILS8_3ELb0ES6_jNS0_17counting_iteratorIjlEEPS9_SE_NS0_5tupleIJPjSE_EEENSF_IJSE_SE_EEES9_SG_JZNS1_25segmented_radix_sort_implINS0_14default_configELb1EPKfPfPKlPlN2at6native12_GLOBAL__N_18offset_tEEE10hipError_tPvRmT1_PNSt15iterator_traitsISY_E10value_typeET2_T3_PNSZ_IS14_E10value_typeET4_jRbjT5_S1A_jjP12ihipStream_tbEUljE_EEESV_SW_SX_S14_S18_S1A_T6_T7_T9_mT8_S1C_bDpT10_ENKUlT_T0_E_clISt17integral_constantIbLb1EES1P_EEDaS1K_S1L_EUlS1K_E_NS1_11comp_targetILNS1_3genE10ELNS1_11target_archE1200ELNS1_3gpuE4ELNS1_3repE0EEENS1_30default_config_static_selectorELNS0_4arch9wavefront6targetE0EEEvSY_
    .private_segment_fixed_size: 0
    .sgpr_count:     0
    .sgpr_spill_count: 0
    .symbol:         _ZN7rocprim17ROCPRIM_400000_NS6detail17trampoline_kernelINS0_13select_configILj256ELj13ELNS0_17block_load_methodE3ELS4_3ELS4_3ELNS0_20block_scan_algorithmE0ELj4294967295EEENS1_25partition_config_selectorILNS1_17partition_subalgoE3EjNS0_10empty_typeEbEEZZNS1_14partition_implILS8_3ELb0ES6_jNS0_17counting_iteratorIjlEEPS9_SE_NS0_5tupleIJPjSE_EEENSF_IJSE_SE_EEES9_SG_JZNS1_25segmented_radix_sort_implINS0_14default_configELb1EPKfPfPKlPlN2at6native12_GLOBAL__N_18offset_tEEE10hipError_tPvRmT1_PNSt15iterator_traitsISY_E10value_typeET2_T3_PNSZ_IS14_E10value_typeET4_jRbjT5_S1A_jjP12ihipStream_tbEUljE_EEESV_SW_SX_S14_S18_S1A_T6_T7_T9_mT8_S1C_bDpT10_ENKUlT_T0_E_clISt17integral_constantIbLb1EES1P_EEDaS1K_S1L_EUlS1K_E_NS1_11comp_targetILNS1_3genE10ELNS1_11target_archE1200ELNS1_3gpuE4ELNS1_3repE0EEENS1_30default_config_static_selectorELNS0_4arch9wavefront6targetE0EEEvSY_.kd
    .uniform_work_group_size: 1
    .uses_dynamic_stack: false
    .vgpr_count:     0
    .vgpr_spill_count: 0
    .wavefront_size: 32
    .workgroup_processor_mode: 1
  - .args:
      - .offset:         0
        .size:           152
        .value_kind:     by_value
    .group_segment_fixed_size: 13324
    .kernarg_segment_align: 8
    .kernarg_segment_size: 152
    .language:       OpenCL C
    .language_version:
      - 2
      - 0
    .max_flat_workgroup_size: 256
    .name:           _ZN7rocprim17ROCPRIM_400000_NS6detail17trampoline_kernelINS0_13select_configILj256ELj13ELNS0_17block_load_methodE3ELS4_3ELS4_3ELNS0_20block_scan_algorithmE0ELj4294967295EEENS1_25partition_config_selectorILNS1_17partition_subalgoE3EjNS0_10empty_typeEbEEZZNS1_14partition_implILS8_3ELb0ES6_jNS0_17counting_iteratorIjlEEPS9_SE_NS0_5tupleIJPjSE_EEENSF_IJSE_SE_EEES9_SG_JZNS1_25segmented_radix_sort_implINS0_14default_configELb1EPKfPfPKlPlN2at6native12_GLOBAL__N_18offset_tEEE10hipError_tPvRmT1_PNSt15iterator_traitsISY_E10value_typeET2_T3_PNSZ_IS14_E10value_typeET4_jRbjT5_S1A_jjP12ihipStream_tbEUljE_EEESV_SW_SX_S14_S18_S1A_T6_T7_T9_mT8_S1C_bDpT10_ENKUlT_T0_E_clISt17integral_constantIbLb1EES1P_EEDaS1K_S1L_EUlS1K_E_NS1_11comp_targetILNS1_3genE9ELNS1_11target_archE1100ELNS1_3gpuE3ELNS1_3repE0EEENS1_30default_config_static_selectorELNS0_4arch9wavefront6targetE0EEEvSY_
    .private_segment_fixed_size: 0
    .sgpr_count:     28
    .sgpr_spill_count: 0
    .symbol:         _ZN7rocprim17ROCPRIM_400000_NS6detail17trampoline_kernelINS0_13select_configILj256ELj13ELNS0_17block_load_methodE3ELS4_3ELS4_3ELNS0_20block_scan_algorithmE0ELj4294967295EEENS1_25partition_config_selectorILNS1_17partition_subalgoE3EjNS0_10empty_typeEbEEZZNS1_14partition_implILS8_3ELb0ES6_jNS0_17counting_iteratorIjlEEPS9_SE_NS0_5tupleIJPjSE_EEENSF_IJSE_SE_EEES9_SG_JZNS1_25segmented_radix_sort_implINS0_14default_configELb1EPKfPfPKlPlN2at6native12_GLOBAL__N_18offset_tEEE10hipError_tPvRmT1_PNSt15iterator_traitsISY_E10value_typeET2_T3_PNSZ_IS14_E10value_typeET4_jRbjT5_S1A_jjP12ihipStream_tbEUljE_EEESV_SW_SX_S14_S18_S1A_T6_T7_T9_mT8_S1C_bDpT10_ENKUlT_T0_E_clISt17integral_constantIbLb1EES1P_EEDaS1K_S1L_EUlS1K_E_NS1_11comp_targetILNS1_3genE9ELNS1_11target_archE1100ELNS1_3gpuE3ELNS1_3repE0EEENS1_30default_config_static_selectorELNS0_4arch9wavefront6targetE0EEEvSY_.kd
    .uniform_work_group_size: 1
    .uses_dynamic_stack: false
    .vgpr_count:     60
    .vgpr_spill_count: 0
    .wavefront_size: 32
    .workgroup_processor_mode: 1
  - .args:
      - .offset:         0
        .size:           152
        .value_kind:     by_value
    .group_segment_fixed_size: 0
    .kernarg_segment_align: 8
    .kernarg_segment_size: 152
    .language:       OpenCL C
    .language_version:
      - 2
      - 0
    .max_flat_workgroup_size: 256
    .name:           _ZN7rocprim17ROCPRIM_400000_NS6detail17trampoline_kernelINS0_13select_configILj256ELj13ELNS0_17block_load_methodE3ELS4_3ELS4_3ELNS0_20block_scan_algorithmE0ELj4294967295EEENS1_25partition_config_selectorILNS1_17partition_subalgoE3EjNS0_10empty_typeEbEEZZNS1_14partition_implILS8_3ELb0ES6_jNS0_17counting_iteratorIjlEEPS9_SE_NS0_5tupleIJPjSE_EEENSF_IJSE_SE_EEES9_SG_JZNS1_25segmented_radix_sort_implINS0_14default_configELb1EPKfPfPKlPlN2at6native12_GLOBAL__N_18offset_tEEE10hipError_tPvRmT1_PNSt15iterator_traitsISY_E10value_typeET2_T3_PNSZ_IS14_E10value_typeET4_jRbjT5_S1A_jjP12ihipStream_tbEUljE_EEESV_SW_SX_S14_S18_S1A_T6_T7_T9_mT8_S1C_bDpT10_ENKUlT_T0_E_clISt17integral_constantIbLb1EES1P_EEDaS1K_S1L_EUlS1K_E_NS1_11comp_targetILNS1_3genE8ELNS1_11target_archE1030ELNS1_3gpuE2ELNS1_3repE0EEENS1_30default_config_static_selectorELNS0_4arch9wavefront6targetE0EEEvSY_
    .private_segment_fixed_size: 0
    .sgpr_count:     0
    .sgpr_spill_count: 0
    .symbol:         _ZN7rocprim17ROCPRIM_400000_NS6detail17trampoline_kernelINS0_13select_configILj256ELj13ELNS0_17block_load_methodE3ELS4_3ELS4_3ELNS0_20block_scan_algorithmE0ELj4294967295EEENS1_25partition_config_selectorILNS1_17partition_subalgoE3EjNS0_10empty_typeEbEEZZNS1_14partition_implILS8_3ELb0ES6_jNS0_17counting_iteratorIjlEEPS9_SE_NS0_5tupleIJPjSE_EEENSF_IJSE_SE_EEES9_SG_JZNS1_25segmented_radix_sort_implINS0_14default_configELb1EPKfPfPKlPlN2at6native12_GLOBAL__N_18offset_tEEE10hipError_tPvRmT1_PNSt15iterator_traitsISY_E10value_typeET2_T3_PNSZ_IS14_E10value_typeET4_jRbjT5_S1A_jjP12ihipStream_tbEUljE_EEESV_SW_SX_S14_S18_S1A_T6_T7_T9_mT8_S1C_bDpT10_ENKUlT_T0_E_clISt17integral_constantIbLb1EES1P_EEDaS1K_S1L_EUlS1K_E_NS1_11comp_targetILNS1_3genE8ELNS1_11target_archE1030ELNS1_3gpuE2ELNS1_3repE0EEENS1_30default_config_static_selectorELNS0_4arch9wavefront6targetE0EEEvSY_.kd
    .uniform_work_group_size: 1
    .uses_dynamic_stack: false
    .vgpr_count:     0
    .vgpr_spill_count: 0
    .wavefront_size: 32
    .workgroup_processor_mode: 1
  - .args:
      - .offset:         0
        .size:           144
        .value_kind:     by_value
    .group_segment_fixed_size: 0
    .kernarg_segment_align: 8
    .kernarg_segment_size: 144
    .language:       OpenCL C
    .language_version:
      - 2
      - 0
    .max_flat_workgroup_size: 256
    .name:           _ZN7rocprim17ROCPRIM_400000_NS6detail17trampoline_kernelINS0_13select_configILj256ELj13ELNS0_17block_load_methodE3ELS4_3ELS4_3ELNS0_20block_scan_algorithmE0ELj4294967295EEENS1_25partition_config_selectorILNS1_17partition_subalgoE3EjNS0_10empty_typeEbEEZZNS1_14partition_implILS8_3ELb0ES6_jNS0_17counting_iteratorIjlEEPS9_SE_NS0_5tupleIJPjSE_EEENSF_IJSE_SE_EEES9_SG_JZNS1_25segmented_radix_sort_implINS0_14default_configELb1EPKfPfPKlPlN2at6native12_GLOBAL__N_18offset_tEEE10hipError_tPvRmT1_PNSt15iterator_traitsISY_E10value_typeET2_T3_PNSZ_IS14_E10value_typeET4_jRbjT5_S1A_jjP12ihipStream_tbEUljE_EEESV_SW_SX_S14_S18_S1A_T6_T7_T9_mT8_S1C_bDpT10_ENKUlT_T0_E_clISt17integral_constantIbLb1EES1O_IbLb0EEEEDaS1K_S1L_EUlS1K_E_NS1_11comp_targetILNS1_3genE0ELNS1_11target_archE4294967295ELNS1_3gpuE0ELNS1_3repE0EEENS1_30default_config_static_selectorELNS0_4arch9wavefront6targetE0EEEvSY_
    .private_segment_fixed_size: 0
    .sgpr_count:     0
    .sgpr_spill_count: 0
    .symbol:         _ZN7rocprim17ROCPRIM_400000_NS6detail17trampoline_kernelINS0_13select_configILj256ELj13ELNS0_17block_load_methodE3ELS4_3ELS4_3ELNS0_20block_scan_algorithmE0ELj4294967295EEENS1_25partition_config_selectorILNS1_17partition_subalgoE3EjNS0_10empty_typeEbEEZZNS1_14partition_implILS8_3ELb0ES6_jNS0_17counting_iteratorIjlEEPS9_SE_NS0_5tupleIJPjSE_EEENSF_IJSE_SE_EEES9_SG_JZNS1_25segmented_radix_sort_implINS0_14default_configELb1EPKfPfPKlPlN2at6native12_GLOBAL__N_18offset_tEEE10hipError_tPvRmT1_PNSt15iterator_traitsISY_E10value_typeET2_T3_PNSZ_IS14_E10value_typeET4_jRbjT5_S1A_jjP12ihipStream_tbEUljE_EEESV_SW_SX_S14_S18_S1A_T6_T7_T9_mT8_S1C_bDpT10_ENKUlT_T0_E_clISt17integral_constantIbLb1EES1O_IbLb0EEEEDaS1K_S1L_EUlS1K_E_NS1_11comp_targetILNS1_3genE0ELNS1_11target_archE4294967295ELNS1_3gpuE0ELNS1_3repE0EEENS1_30default_config_static_selectorELNS0_4arch9wavefront6targetE0EEEvSY_.kd
    .uniform_work_group_size: 1
    .uses_dynamic_stack: false
    .vgpr_count:     0
    .vgpr_spill_count: 0
    .wavefront_size: 32
    .workgroup_processor_mode: 1
  - .args:
      - .offset:         0
        .size:           144
        .value_kind:     by_value
    .group_segment_fixed_size: 0
    .kernarg_segment_align: 8
    .kernarg_segment_size: 144
    .language:       OpenCL C
    .language_version:
      - 2
      - 0
    .max_flat_workgroup_size: 256
    .name:           _ZN7rocprim17ROCPRIM_400000_NS6detail17trampoline_kernelINS0_13select_configILj256ELj13ELNS0_17block_load_methodE3ELS4_3ELS4_3ELNS0_20block_scan_algorithmE0ELj4294967295EEENS1_25partition_config_selectorILNS1_17partition_subalgoE3EjNS0_10empty_typeEbEEZZNS1_14partition_implILS8_3ELb0ES6_jNS0_17counting_iteratorIjlEEPS9_SE_NS0_5tupleIJPjSE_EEENSF_IJSE_SE_EEES9_SG_JZNS1_25segmented_radix_sort_implINS0_14default_configELb1EPKfPfPKlPlN2at6native12_GLOBAL__N_18offset_tEEE10hipError_tPvRmT1_PNSt15iterator_traitsISY_E10value_typeET2_T3_PNSZ_IS14_E10value_typeET4_jRbjT5_S1A_jjP12ihipStream_tbEUljE_EEESV_SW_SX_S14_S18_S1A_T6_T7_T9_mT8_S1C_bDpT10_ENKUlT_T0_E_clISt17integral_constantIbLb1EES1O_IbLb0EEEEDaS1K_S1L_EUlS1K_E_NS1_11comp_targetILNS1_3genE5ELNS1_11target_archE942ELNS1_3gpuE9ELNS1_3repE0EEENS1_30default_config_static_selectorELNS0_4arch9wavefront6targetE0EEEvSY_
    .private_segment_fixed_size: 0
    .sgpr_count:     0
    .sgpr_spill_count: 0
    .symbol:         _ZN7rocprim17ROCPRIM_400000_NS6detail17trampoline_kernelINS0_13select_configILj256ELj13ELNS0_17block_load_methodE3ELS4_3ELS4_3ELNS0_20block_scan_algorithmE0ELj4294967295EEENS1_25partition_config_selectorILNS1_17partition_subalgoE3EjNS0_10empty_typeEbEEZZNS1_14partition_implILS8_3ELb0ES6_jNS0_17counting_iteratorIjlEEPS9_SE_NS0_5tupleIJPjSE_EEENSF_IJSE_SE_EEES9_SG_JZNS1_25segmented_radix_sort_implINS0_14default_configELb1EPKfPfPKlPlN2at6native12_GLOBAL__N_18offset_tEEE10hipError_tPvRmT1_PNSt15iterator_traitsISY_E10value_typeET2_T3_PNSZ_IS14_E10value_typeET4_jRbjT5_S1A_jjP12ihipStream_tbEUljE_EEESV_SW_SX_S14_S18_S1A_T6_T7_T9_mT8_S1C_bDpT10_ENKUlT_T0_E_clISt17integral_constantIbLb1EES1O_IbLb0EEEEDaS1K_S1L_EUlS1K_E_NS1_11comp_targetILNS1_3genE5ELNS1_11target_archE942ELNS1_3gpuE9ELNS1_3repE0EEENS1_30default_config_static_selectorELNS0_4arch9wavefront6targetE0EEEvSY_.kd
    .uniform_work_group_size: 1
    .uses_dynamic_stack: false
    .vgpr_count:     0
    .vgpr_spill_count: 0
    .wavefront_size: 32
    .workgroup_processor_mode: 1
  - .args:
      - .offset:         0
        .size:           144
        .value_kind:     by_value
    .group_segment_fixed_size: 0
    .kernarg_segment_align: 8
    .kernarg_segment_size: 144
    .language:       OpenCL C
    .language_version:
      - 2
      - 0
    .max_flat_workgroup_size: 256
    .name:           _ZN7rocprim17ROCPRIM_400000_NS6detail17trampoline_kernelINS0_13select_configILj256ELj13ELNS0_17block_load_methodE3ELS4_3ELS4_3ELNS0_20block_scan_algorithmE0ELj4294967295EEENS1_25partition_config_selectorILNS1_17partition_subalgoE3EjNS0_10empty_typeEbEEZZNS1_14partition_implILS8_3ELb0ES6_jNS0_17counting_iteratorIjlEEPS9_SE_NS0_5tupleIJPjSE_EEENSF_IJSE_SE_EEES9_SG_JZNS1_25segmented_radix_sort_implINS0_14default_configELb1EPKfPfPKlPlN2at6native12_GLOBAL__N_18offset_tEEE10hipError_tPvRmT1_PNSt15iterator_traitsISY_E10value_typeET2_T3_PNSZ_IS14_E10value_typeET4_jRbjT5_S1A_jjP12ihipStream_tbEUljE_EEESV_SW_SX_S14_S18_S1A_T6_T7_T9_mT8_S1C_bDpT10_ENKUlT_T0_E_clISt17integral_constantIbLb1EES1O_IbLb0EEEEDaS1K_S1L_EUlS1K_E_NS1_11comp_targetILNS1_3genE4ELNS1_11target_archE910ELNS1_3gpuE8ELNS1_3repE0EEENS1_30default_config_static_selectorELNS0_4arch9wavefront6targetE0EEEvSY_
    .private_segment_fixed_size: 0
    .sgpr_count:     0
    .sgpr_spill_count: 0
    .symbol:         _ZN7rocprim17ROCPRIM_400000_NS6detail17trampoline_kernelINS0_13select_configILj256ELj13ELNS0_17block_load_methodE3ELS4_3ELS4_3ELNS0_20block_scan_algorithmE0ELj4294967295EEENS1_25partition_config_selectorILNS1_17partition_subalgoE3EjNS0_10empty_typeEbEEZZNS1_14partition_implILS8_3ELb0ES6_jNS0_17counting_iteratorIjlEEPS9_SE_NS0_5tupleIJPjSE_EEENSF_IJSE_SE_EEES9_SG_JZNS1_25segmented_radix_sort_implINS0_14default_configELb1EPKfPfPKlPlN2at6native12_GLOBAL__N_18offset_tEEE10hipError_tPvRmT1_PNSt15iterator_traitsISY_E10value_typeET2_T3_PNSZ_IS14_E10value_typeET4_jRbjT5_S1A_jjP12ihipStream_tbEUljE_EEESV_SW_SX_S14_S18_S1A_T6_T7_T9_mT8_S1C_bDpT10_ENKUlT_T0_E_clISt17integral_constantIbLb1EES1O_IbLb0EEEEDaS1K_S1L_EUlS1K_E_NS1_11comp_targetILNS1_3genE4ELNS1_11target_archE910ELNS1_3gpuE8ELNS1_3repE0EEENS1_30default_config_static_selectorELNS0_4arch9wavefront6targetE0EEEvSY_.kd
    .uniform_work_group_size: 1
    .uses_dynamic_stack: false
    .vgpr_count:     0
    .vgpr_spill_count: 0
    .wavefront_size: 32
    .workgroup_processor_mode: 1
  - .args:
      - .offset:         0
        .size:           144
        .value_kind:     by_value
    .group_segment_fixed_size: 0
    .kernarg_segment_align: 8
    .kernarg_segment_size: 144
    .language:       OpenCL C
    .language_version:
      - 2
      - 0
    .max_flat_workgroup_size: 256
    .name:           _ZN7rocprim17ROCPRIM_400000_NS6detail17trampoline_kernelINS0_13select_configILj256ELj13ELNS0_17block_load_methodE3ELS4_3ELS4_3ELNS0_20block_scan_algorithmE0ELj4294967295EEENS1_25partition_config_selectorILNS1_17partition_subalgoE3EjNS0_10empty_typeEbEEZZNS1_14partition_implILS8_3ELb0ES6_jNS0_17counting_iteratorIjlEEPS9_SE_NS0_5tupleIJPjSE_EEENSF_IJSE_SE_EEES9_SG_JZNS1_25segmented_radix_sort_implINS0_14default_configELb1EPKfPfPKlPlN2at6native12_GLOBAL__N_18offset_tEEE10hipError_tPvRmT1_PNSt15iterator_traitsISY_E10value_typeET2_T3_PNSZ_IS14_E10value_typeET4_jRbjT5_S1A_jjP12ihipStream_tbEUljE_EEESV_SW_SX_S14_S18_S1A_T6_T7_T9_mT8_S1C_bDpT10_ENKUlT_T0_E_clISt17integral_constantIbLb1EES1O_IbLb0EEEEDaS1K_S1L_EUlS1K_E_NS1_11comp_targetILNS1_3genE3ELNS1_11target_archE908ELNS1_3gpuE7ELNS1_3repE0EEENS1_30default_config_static_selectorELNS0_4arch9wavefront6targetE0EEEvSY_
    .private_segment_fixed_size: 0
    .sgpr_count:     0
    .sgpr_spill_count: 0
    .symbol:         _ZN7rocprim17ROCPRIM_400000_NS6detail17trampoline_kernelINS0_13select_configILj256ELj13ELNS0_17block_load_methodE3ELS4_3ELS4_3ELNS0_20block_scan_algorithmE0ELj4294967295EEENS1_25partition_config_selectorILNS1_17partition_subalgoE3EjNS0_10empty_typeEbEEZZNS1_14partition_implILS8_3ELb0ES6_jNS0_17counting_iteratorIjlEEPS9_SE_NS0_5tupleIJPjSE_EEENSF_IJSE_SE_EEES9_SG_JZNS1_25segmented_radix_sort_implINS0_14default_configELb1EPKfPfPKlPlN2at6native12_GLOBAL__N_18offset_tEEE10hipError_tPvRmT1_PNSt15iterator_traitsISY_E10value_typeET2_T3_PNSZ_IS14_E10value_typeET4_jRbjT5_S1A_jjP12ihipStream_tbEUljE_EEESV_SW_SX_S14_S18_S1A_T6_T7_T9_mT8_S1C_bDpT10_ENKUlT_T0_E_clISt17integral_constantIbLb1EES1O_IbLb0EEEEDaS1K_S1L_EUlS1K_E_NS1_11comp_targetILNS1_3genE3ELNS1_11target_archE908ELNS1_3gpuE7ELNS1_3repE0EEENS1_30default_config_static_selectorELNS0_4arch9wavefront6targetE0EEEvSY_.kd
    .uniform_work_group_size: 1
    .uses_dynamic_stack: false
    .vgpr_count:     0
    .vgpr_spill_count: 0
    .wavefront_size: 32
    .workgroup_processor_mode: 1
  - .args:
      - .offset:         0
        .size:           144
        .value_kind:     by_value
    .group_segment_fixed_size: 0
    .kernarg_segment_align: 8
    .kernarg_segment_size: 144
    .language:       OpenCL C
    .language_version:
      - 2
      - 0
    .max_flat_workgroup_size: 256
    .name:           _ZN7rocprim17ROCPRIM_400000_NS6detail17trampoline_kernelINS0_13select_configILj256ELj13ELNS0_17block_load_methodE3ELS4_3ELS4_3ELNS0_20block_scan_algorithmE0ELj4294967295EEENS1_25partition_config_selectorILNS1_17partition_subalgoE3EjNS0_10empty_typeEbEEZZNS1_14partition_implILS8_3ELb0ES6_jNS0_17counting_iteratorIjlEEPS9_SE_NS0_5tupleIJPjSE_EEENSF_IJSE_SE_EEES9_SG_JZNS1_25segmented_radix_sort_implINS0_14default_configELb1EPKfPfPKlPlN2at6native12_GLOBAL__N_18offset_tEEE10hipError_tPvRmT1_PNSt15iterator_traitsISY_E10value_typeET2_T3_PNSZ_IS14_E10value_typeET4_jRbjT5_S1A_jjP12ihipStream_tbEUljE_EEESV_SW_SX_S14_S18_S1A_T6_T7_T9_mT8_S1C_bDpT10_ENKUlT_T0_E_clISt17integral_constantIbLb1EES1O_IbLb0EEEEDaS1K_S1L_EUlS1K_E_NS1_11comp_targetILNS1_3genE2ELNS1_11target_archE906ELNS1_3gpuE6ELNS1_3repE0EEENS1_30default_config_static_selectorELNS0_4arch9wavefront6targetE0EEEvSY_
    .private_segment_fixed_size: 0
    .sgpr_count:     0
    .sgpr_spill_count: 0
    .symbol:         _ZN7rocprim17ROCPRIM_400000_NS6detail17trampoline_kernelINS0_13select_configILj256ELj13ELNS0_17block_load_methodE3ELS4_3ELS4_3ELNS0_20block_scan_algorithmE0ELj4294967295EEENS1_25partition_config_selectorILNS1_17partition_subalgoE3EjNS0_10empty_typeEbEEZZNS1_14partition_implILS8_3ELb0ES6_jNS0_17counting_iteratorIjlEEPS9_SE_NS0_5tupleIJPjSE_EEENSF_IJSE_SE_EEES9_SG_JZNS1_25segmented_radix_sort_implINS0_14default_configELb1EPKfPfPKlPlN2at6native12_GLOBAL__N_18offset_tEEE10hipError_tPvRmT1_PNSt15iterator_traitsISY_E10value_typeET2_T3_PNSZ_IS14_E10value_typeET4_jRbjT5_S1A_jjP12ihipStream_tbEUljE_EEESV_SW_SX_S14_S18_S1A_T6_T7_T9_mT8_S1C_bDpT10_ENKUlT_T0_E_clISt17integral_constantIbLb1EES1O_IbLb0EEEEDaS1K_S1L_EUlS1K_E_NS1_11comp_targetILNS1_3genE2ELNS1_11target_archE906ELNS1_3gpuE6ELNS1_3repE0EEENS1_30default_config_static_selectorELNS0_4arch9wavefront6targetE0EEEvSY_.kd
    .uniform_work_group_size: 1
    .uses_dynamic_stack: false
    .vgpr_count:     0
    .vgpr_spill_count: 0
    .wavefront_size: 32
    .workgroup_processor_mode: 1
  - .args:
      - .offset:         0
        .size:           144
        .value_kind:     by_value
    .group_segment_fixed_size: 0
    .kernarg_segment_align: 8
    .kernarg_segment_size: 144
    .language:       OpenCL C
    .language_version:
      - 2
      - 0
    .max_flat_workgroup_size: 256
    .name:           _ZN7rocprim17ROCPRIM_400000_NS6detail17trampoline_kernelINS0_13select_configILj256ELj13ELNS0_17block_load_methodE3ELS4_3ELS4_3ELNS0_20block_scan_algorithmE0ELj4294967295EEENS1_25partition_config_selectorILNS1_17partition_subalgoE3EjNS0_10empty_typeEbEEZZNS1_14partition_implILS8_3ELb0ES6_jNS0_17counting_iteratorIjlEEPS9_SE_NS0_5tupleIJPjSE_EEENSF_IJSE_SE_EEES9_SG_JZNS1_25segmented_radix_sort_implINS0_14default_configELb1EPKfPfPKlPlN2at6native12_GLOBAL__N_18offset_tEEE10hipError_tPvRmT1_PNSt15iterator_traitsISY_E10value_typeET2_T3_PNSZ_IS14_E10value_typeET4_jRbjT5_S1A_jjP12ihipStream_tbEUljE_EEESV_SW_SX_S14_S18_S1A_T6_T7_T9_mT8_S1C_bDpT10_ENKUlT_T0_E_clISt17integral_constantIbLb1EES1O_IbLb0EEEEDaS1K_S1L_EUlS1K_E_NS1_11comp_targetILNS1_3genE10ELNS1_11target_archE1200ELNS1_3gpuE4ELNS1_3repE0EEENS1_30default_config_static_selectorELNS0_4arch9wavefront6targetE0EEEvSY_
    .private_segment_fixed_size: 0
    .sgpr_count:     0
    .sgpr_spill_count: 0
    .symbol:         _ZN7rocprim17ROCPRIM_400000_NS6detail17trampoline_kernelINS0_13select_configILj256ELj13ELNS0_17block_load_methodE3ELS4_3ELS4_3ELNS0_20block_scan_algorithmE0ELj4294967295EEENS1_25partition_config_selectorILNS1_17partition_subalgoE3EjNS0_10empty_typeEbEEZZNS1_14partition_implILS8_3ELb0ES6_jNS0_17counting_iteratorIjlEEPS9_SE_NS0_5tupleIJPjSE_EEENSF_IJSE_SE_EEES9_SG_JZNS1_25segmented_radix_sort_implINS0_14default_configELb1EPKfPfPKlPlN2at6native12_GLOBAL__N_18offset_tEEE10hipError_tPvRmT1_PNSt15iterator_traitsISY_E10value_typeET2_T3_PNSZ_IS14_E10value_typeET4_jRbjT5_S1A_jjP12ihipStream_tbEUljE_EEESV_SW_SX_S14_S18_S1A_T6_T7_T9_mT8_S1C_bDpT10_ENKUlT_T0_E_clISt17integral_constantIbLb1EES1O_IbLb0EEEEDaS1K_S1L_EUlS1K_E_NS1_11comp_targetILNS1_3genE10ELNS1_11target_archE1200ELNS1_3gpuE4ELNS1_3repE0EEENS1_30default_config_static_selectorELNS0_4arch9wavefront6targetE0EEEvSY_.kd
    .uniform_work_group_size: 1
    .uses_dynamic_stack: false
    .vgpr_count:     0
    .vgpr_spill_count: 0
    .wavefront_size: 32
    .workgroup_processor_mode: 1
  - .args:
      - .offset:         0
        .size:           144
        .value_kind:     by_value
    .group_segment_fixed_size: 13324
    .kernarg_segment_align: 8
    .kernarg_segment_size: 144
    .language:       OpenCL C
    .language_version:
      - 2
      - 0
    .max_flat_workgroup_size: 256
    .name:           _ZN7rocprim17ROCPRIM_400000_NS6detail17trampoline_kernelINS0_13select_configILj256ELj13ELNS0_17block_load_methodE3ELS4_3ELS4_3ELNS0_20block_scan_algorithmE0ELj4294967295EEENS1_25partition_config_selectorILNS1_17partition_subalgoE3EjNS0_10empty_typeEbEEZZNS1_14partition_implILS8_3ELb0ES6_jNS0_17counting_iteratorIjlEEPS9_SE_NS0_5tupleIJPjSE_EEENSF_IJSE_SE_EEES9_SG_JZNS1_25segmented_radix_sort_implINS0_14default_configELb1EPKfPfPKlPlN2at6native12_GLOBAL__N_18offset_tEEE10hipError_tPvRmT1_PNSt15iterator_traitsISY_E10value_typeET2_T3_PNSZ_IS14_E10value_typeET4_jRbjT5_S1A_jjP12ihipStream_tbEUljE_EEESV_SW_SX_S14_S18_S1A_T6_T7_T9_mT8_S1C_bDpT10_ENKUlT_T0_E_clISt17integral_constantIbLb1EES1O_IbLb0EEEEDaS1K_S1L_EUlS1K_E_NS1_11comp_targetILNS1_3genE9ELNS1_11target_archE1100ELNS1_3gpuE3ELNS1_3repE0EEENS1_30default_config_static_selectorELNS0_4arch9wavefront6targetE0EEEvSY_
    .private_segment_fixed_size: 0
    .sgpr_count:     30
    .sgpr_spill_count: 0
    .symbol:         _ZN7rocprim17ROCPRIM_400000_NS6detail17trampoline_kernelINS0_13select_configILj256ELj13ELNS0_17block_load_methodE3ELS4_3ELS4_3ELNS0_20block_scan_algorithmE0ELj4294967295EEENS1_25partition_config_selectorILNS1_17partition_subalgoE3EjNS0_10empty_typeEbEEZZNS1_14partition_implILS8_3ELb0ES6_jNS0_17counting_iteratorIjlEEPS9_SE_NS0_5tupleIJPjSE_EEENSF_IJSE_SE_EEES9_SG_JZNS1_25segmented_radix_sort_implINS0_14default_configELb1EPKfPfPKlPlN2at6native12_GLOBAL__N_18offset_tEEE10hipError_tPvRmT1_PNSt15iterator_traitsISY_E10value_typeET2_T3_PNSZ_IS14_E10value_typeET4_jRbjT5_S1A_jjP12ihipStream_tbEUljE_EEESV_SW_SX_S14_S18_S1A_T6_T7_T9_mT8_S1C_bDpT10_ENKUlT_T0_E_clISt17integral_constantIbLb1EES1O_IbLb0EEEEDaS1K_S1L_EUlS1K_E_NS1_11comp_targetILNS1_3genE9ELNS1_11target_archE1100ELNS1_3gpuE3ELNS1_3repE0EEENS1_30default_config_static_selectorELNS0_4arch9wavefront6targetE0EEEvSY_.kd
    .uniform_work_group_size: 1
    .uses_dynamic_stack: false
    .vgpr_count:     57
    .vgpr_spill_count: 0
    .wavefront_size: 32
    .workgroup_processor_mode: 1
  - .args:
      - .offset:         0
        .size:           144
        .value_kind:     by_value
    .group_segment_fixed_size: 0
    .kernarg_segment_align: 8
    .kernarg_segment_size: 144
    .language:       OpenCL C
    .language_version:
      - 2
      - 0
    .max_flat_workgroup_size: 256
    .name:           _ZN7rocprim17ROCPRIM_400000_NS6detail17trampoline_kernelINS0_13select_configILj256ELj13ELNS0_17block_load_methodE3ELS4_3ELS4_3ELNS0_20block_scan_algorithmE0ELj4294967295EEENS1_25partition_config_selectorILNS1_17partition_subalgoE3EjNS0_10empty_typeEbEEZZNS1_14partition_implILS8_3ELb0ES6_jNS0_17counting_iteratorIjlEEPS9_SE_NS0_5tupleIJPjSE_EEENSF_IJSE_SE_EEES9_SG_JZNS1_25segmented_radix_sort_implINS0_14default_configELb1EPKfPfPKlPlN2at6native12_GLOBAL__N_18offset_tEEE10hipError_tPvRmT1_PNSt15iterator_traitsISY_E10value_typeET2_T3_PNSZ_IS14_E10value_typeET4_jRbjT5_S1A_jjP12ihipStream_tbEUljE_EEESV_SW_SX_S14_S18_S1A_T6_T7_T9_mT8_S1C_bDpT10_ENKUlT_T0_E_clISt17integral_constantIbLb1EES1O_IbLb0EEEEDaS1K_S1L_EUlS1K_E_NS1_11comp_targetILNS1_3genE8ELNS1_11target_archE1030ELNS1_3gpuE2ELNS1_3repE0EEENS1_30default_config_static_selectorELNS0_4arch9wavefront6targetE0EEEvSY_
    .private_segment_fixed_size: 0
    .sgpr_count:     0
    .sgpr_spill_count: 0
    .symbol:         _ZN7rocprim17ROCPRIM_400000_NS6detail17trampoline_kernelINS0_13select_configILj256ELj13ELNS0_17block_load_methodE3ELS4_3ELS4_3ELNS0_20block_scan_algorithmE0ELj4294967295EEENS1_25partition_config_selectorILNS1_17partition_subalgoE3EjNS0_10empty_typeEbEEZZNS1_14partition_implILS8_3ELb0ES6_jNS0_17counting_iteratorIjlEEPS9_SE_NS0_5tupleIJPjSE_EEENSF_IJSE_SE_EEES9_SG_JZNS1_25segmented_radix_sort_implINS0_14default_configELb1EPKfPfPKlPlN2at6native12_GLOBAL__N_18offset_tEEE10hipError_tPvRmT1_PNSt15iterator_traitsISY_E10value_typeET2_T3_PNSZ_IS14_E10value_typeET4_jRbjT5_S1A_jjP12ihipStream_tbEUljE_EEESV_SW_SX_S14_S18_S1A_T6_T7_T9_mT8_S1C_bDpT10_ENKUlT_T0_E_clISt17integral_constantIbLb1EES1O_IbLb0EEEEDaS1K_S1L_EUlS1K_E_NS1_11comp_targetILNS1_3genE8ELNS1_11target_archE1030ELNS1_3gpuE2ELNS1_3repE0EEENS1_30default_config_static_selectorELNS0_4arch9wavefront6targetE0EEEvSY_.kd
    .uniform_work_group_size: 1
    .uses_dynamic_stack: false
    .vgpr_count:     0
    .vgpr_spill_count: 0
    .wavefront_size: 32
    .workgroup_processor_mode: 1
  - .args:
      - .offset:         0
        .size:           152
        .value_kind:     by_value
    .group_segment_fixed_size: 0
    .kernarg_segment_align: 8
    .kernarg_segment_size: 152
    .language:       OpenCL C
    .language_version:
      - 2
      - 0
    .max_flat_workgroup_size: 256
    .name:           _ZN7rocprim17ROCPRIM_400000_NS6detail17trampoline_kernelINS0_13select_configILj256ELj13ELNS0_17block_load_methodE3ELS4_3ELS4_3ELNS0_20block_scan_algorithmE0ELj4294967295EEENS1_25partition_config_selectorILNS1_17partition_subalgoE3EjNS0_10empty_typeEbEEZZNS1_14partition_implILS8_3ELb0ES6_jNS0_17counting_iteratorIjlEEPS9_SE_NS0_5tupleIJPjSE_EEENSF_IJSE_SE_EEES9_SG_JZNS1_25segmented_radix_sort_implINS0_14default_configELb1EPKfPfPKlPlN2at6native12_GLOBAL__N_18offset_tEEE10hipError_tPvRmT1_PNSt15iterator_traitsISY_E10value_typeET2_T3_PNSZ_IS14_E10value_typeET4_jRbjT5_S1A_jjP12ihipStream_tbEUljE_EEESV_SW_SX_S14_S18_S1A_T6_T7_T9_mT8_S1C_bDpT10_ENKUlT_T0_E_clISt17integral_constantIbLb0EES1O_IbLb1EEEEDaS1K_S1L_EUlS1K_E_NS1_11comp_targetILNS1_3genE0ELNS1_11target_archE4294967295ELNS1_3gpuE0ELNS1_3repE0EEENS1_30default_config_static_selectorELNS0_4arch9wavefront6targetE0EEEvSY_
    .private_segment_fixed_size: 0
    .sgpr_count:     0
    .sgpr_spill_count: 0
    .symbol:         _ZN7rocprim17ROCPRIM_400000_NS6detail17trampoline_kernelINS0_13select_configILj256ELj13ELNS0_17block_load_methodE3ELS4_3ELS4_3ELNS0_20block_scan_algorithmE0ELj4294967295EEENS1_25partition_config_selectorILNS1_17partition_subalgoE3EjNS0_10empty_typeEbEEZZNS1_14partition_implILS8_3ELb0ES6_jNS0_17counting_iteratorIjlEEPS9_SE_NS0_5tupleIJPjSE_EEENSF_IJSE_SE_EEES9_SG_JZNS1_25segmented_radix_sort_implINS0_14default_configELb1EPKfPfPKlPlN2at6native12_GLOBAL__N_18offset_tEEE10hipError_tPvRmT1_PNSt15iterator_traitsISY_E10value_typeET2_T3_PNSZ_IS14_E10value_typeET4_jRbjT5_S1A_jjP12ihipStream_tbEUljE_EEESV_SW_SX_S14_S18_S1A_T6_T7_T9_mT8_S1C_bDpT10_ENKUlT_T0_E_clISt17integral_constantIbLb0EES1O_IbLb1EEEEDaS1K_S1L_EUlS1K_E_NS1_11comp_targetILNS1_3genE0ELNS1_11target_archE4294967295ELNS1_3gpuE0ELNS1_3repE0EEENS1_30default_config_static_selectorELNS0_4arch9wavefront6targetE0EEEvSY_.kd
    .uniform_work_group_size: 1
    .uses_dynamic_stack: false
    .vgpr_count:     0
    .vgpr_spill_count: 0
    .wavefront_size: 32
    .workgroup_processor_mode: 1
  - .args:
      - .offset:         0
        .size:           152
        .value_kind:     by_value
    .group_segment_fixed_size: 0
    .kernarg_segment_align: 8
    .kernarg_segment_size: 152
    .language:       OpenCL C
    .language_version:
      - 2
      - 0
    .max_flat_workgroup_size: 256
    .name:           _ZN7rocprim17ROCPRIM_400000_NS6detail17trampoline_kernelINS0_13select_configILj256ELj13ELNS0_17block_load_methodE3ELS4_3ELS4_3ELNS0_20block_scan_algorithmE0ELj4294967295EEENS1_25partition_config_selectorILNS1_17partition_subalgoE3EjNS0_10empty_typeEbEEZZNS1_14partition_implILS8_3ELb0ES6_jNS0_17counting_iteratorIjlEEPS9_SE_NS0_5tupleIJPjSE_EEENSF_IJSE_SE_EEES9_SG_JZNS1_25segmented_radix_sort_implINS0_14default_configELb1EPKfPfPKlPlN2at6native12_GLOBAL__N_18offset_tEEE10hipError_tPvRmT1_PNSt15iterator_traitsISY_E10value_typeET2_T3_PNSZ_IS14_E10value_typeET4_jRbjT5_S1A_jjP12ihipStream_tbEUljE_EEESV_SW_SX_S14_S18_S1A_T6_T7_T9_mT8_S1C_bDpT10_ENKUlT_T0_E_clISt17integral_constantIbLb0EES1O_IbLb1EEEEDaS1K_S1L_EUlS1K_E_NS1_11comp_targetILNS1_3genE5ELNS1_11target_archE942ELNS1_3gpuE9ELNS1_3repE0EEENS1_30default_config_static_selectorELNS0_4arch9wavefront6targetE0EEEvSY_
    .private_segment_fixed_size: 0
    .sgpr_count:     0
    .sgpr_spill_count: 0
    .symbol:         _ZN7rocprim17ROCPRIM_400000_NS6detail17trampoline_kernelINS0_13select_configILj256ELj13ELNS0_17block_load_methodE3ELS4_3ELS4_3ELNS0_20block_scan_algorithmE0ELj4294967295EEENS1_25partition_config_selectorILNS1_17partition_subalgoE3EjNS0_10empty_typeEbEEZZNS1_14partition_implILS8_3ELb0ES6_jNS0_17counting_iteratorIjlEEPS9_SE_NS0_5tupleIJPjSE_EEENSF_IJSE_SE_EEES9_SG_JZNS1_25segmented_radix_sort_implINS0_14default_configELb1EPKfPfPKlPlN2at6native12_GLOBAL__N_18offset_tEEE10hipError_tPvRmT1_PNSt15iterator_traitsISY_E10value_typeET2_T3_PNSZ_IS14_E10value_typeET4_jRbjT5_S1A_jjP12ihipStream_tbEUljE_EEESV_SW_SX_S14_S18_S1A_T6_T7_T9_mT8_S1C_bDpT10_ENKUlT_T0_E_clISt17integral_constantIbLb0EES1O_IbLb1EEEEDaS1K_S1L_EUlS1K_E_NS1_11comp_targetILNS1_3genE5ELNS1_11target_archE942ELNS1_3gpuE9ELNS1_3repE0EEENS1_30default_config_static_selectorELNS0_4arch9wavefront6targetE0EEEvSY_.kd
    .uniform_work_group_size: 1
    .uses_dynamic_stack: false
    .vgpr_count:     0
    .vgpr_spill_count: 0
    .wavefront_size: 32
    .workgroup_processor_mode: 1
  - .args:
      - .offset:         0
        .size:           152
        .value_kind:     by_value
    .group_segment_fixed_size: 0
    .kernarg_segment_align: 8
    .kernarg_segment_size: 152
    .language:       OpenCL C
    .language_version:
      - 2
      - 0
    .max_flat_workgroup_size: 256
    .name:           _ZN7rocprim17ROCPRIM_400000_NS6detail17trampoline_kernelINS0_13select_configILj256ELj13ELNS0_17block_load_methodE3ELS4_3ELS4_3ELNS0_20block_scan_algorithmE0ELj4294967295EEENS1_25partition_config_selectorILNS1_17partition_subalgoE3EjNS0_10empty_typeEbEEZZNS1_14partition_implILS8_3ELb0ES6_jNS0_17counting_iteratorIjlEEPS9_SE_NS0_5tupleIJPjSE_EEENSF_IJSE_SE_EEES9_SG_JZNS1_25segmented_radix_sort_implINS0_14default_configELb1EPKfPfPKlPlN2at6native12_GLOBAL__N_18offset_tEEE10hipError_tPvRmT1_PNSt15iterator_traitsISY_E10value_typeET2_T3_PNSZ_IS14_E10value_typeET4_jRbjT5_S1A_jjP12ihipStream_tbEUljE_EEESV_SW_SX_S14_S18_S1A_T6_T7_T9_mT8_S1C_bDpT10_ENKUlT_T0_E_clISt17integral_constantIbLb0EES1O_IbLb1EEEEDaS1K_S1L_EUlS1K_E_NS1_11comp_targetILNS1_3genE4ELNS1_11target_archE910ELNS1_3gpuE8ELNS1_3repE0EEENS1_30default_config_static_selectorELNS0_4arch9wavefront6targetE0EEEvSY_
    .private_segment_fixed_size: 0
    .sgpr_count:     0
    .sgpr_spill_count: 0
    .symbol:         _ZN7rocprim17ROCPRIM_400000_NS6detail17trampoline_kernelINS0_13select_configILj256ELj13ELNS0_17block_load_methodE3ELS4_3ELS4_3ELNS0_20block_scan_algorithmE0ELj4294967295EEENS1_25partition_config_selectorILNS1_17partition_subalgoE3EjNS0_10empty_typeEbEEZZNS1_14partition_implILS8_3ELb0ES6_jNS0_17counting_iteratorIjlEEPS9_SE_NS0_5tupleIJPjSE_EEENSF_IJSE_SE_EEES9_SG_JZNS1_25segmented_radix_sort_implINS0_14default_configELb1EPKfPfPKlPlN2at6native12_GLOBAL__N_18offset_tEEE10hipError_tPvRmT1_PNSt15iterator_traitsISY_E10value_typeET2_T3_PNSZ_IS14_E10value_typeET4_jRbjT5_S1A_jjP12ihipStream_tbEUljE_EEESV_SW_SX_S14_S18_S1A_T6_T7_T9_mT8_S1C_bDpT10_ENKUlT_T0_E_clISt17integral_constantIbLb0EES1O_IbLb1EEEEDaS1K_S1L_EUlS1K_E_NS1_11comp_targetILNS1_3genE4ELNS1_11target_archE910ELNS1_3gpuE8ELNS1_3repE0EEENS1_30default_config_static_selectorELNS0_4arch9wavefront6targetE0EEEvSY_.kd
    .uniform_work_group_size: 1
    .uses_dynamic_stack: false
    .vgpr_count:     0
    .vgpr_spill_count: 0
    .wavefront_size: 32
    .workgroup_processor_mode: 1
  - .args:
      - .offset:         0
        .size:           152
        .value_kind:     by_value
    .group_segment_fixed_size: 0
    .kernarg_segment_align: 8
    .kernarg_segment_size: 152
    .language:       OpenCL C
    .language_version:
      - 2
      - 0
    .max_flat_workgroup_size: 256
    .name:           _ZN7rocprim17ROCPRIM_400000_NS6detail17trampoline_kernelINS0_13select_configILj256ELj13ELNS0_17block_load_methodE3ELS4_3ELS4_3ELNS0_20block_scan_algorithmE0ELj4294967295EEENS1_25partition_config_selectorILNS1_17partition_subalgoE3EjNS0_10empty_typeEbEEZZNS1_14partition_implILS8_3ELb0ES6_jNS0_17counting_iteratorIjlEEPS9_SE_NS0_5tupleIJPjSE_EEENSF_IJSE_SE_EEES9_SG_JZNS1_25segmented_radix_sort_implINS0_14default_configELb1EPKfPfPKlPlN2at6native12_GLOBAL__N_18offset_tEEE10hipError_tPvRmT1_PNSt15iterator_traitsISY_E10value_typeET2_T3_PNSZ_IS14_E10value_typeET4_jRbjT5_S1A_jjP12ihipStream_tbEUljE_EEESV_SW_SX_S14_S18_S1A_T6_T7_T9_mT8_S1C_bDpT10_ENKUlT_T0_E_clISt17integral_constantIbLb0EES1O_IbLb1EEEEDaS1K_S1L_EUlS1K_E_NS1_11comp_targetILNS1_3genE3ELNS1_11target_archE908ELNS1_3gpuE7ELNS1_3repE0EEENS1_30default_config_static_selectorELNS0_4arch9wavefront6targetE0EEEvSY_
    .private_segment_fixed_size: 0
    .sgpr_count:     0
    .sgpr_spill_count: 0
    .symbol:         _ZN7rocprim17ROCPRIM_400000_NS6detail17trampoline_kernelINS0_13select_configILj256ELj13ELNS0_17block_load_methodE3ELS4_3ELS4_3ELNS0_20block_scan_algorithmE0ELj4294967295EEENS1_25partition_config_selectorILNS1_17partition_subalgoE3EjNS0_10empty_typeEbEEZZNS1_14partition_implILS8_3ELb0ES6_jNS0_17counting_iteratorIjlEEPS9_SE_NS0_5tupleIJPjSE_EEENSF_IJSE_SE_EEES9_SG_JZNS1_25segmented_radix_sort_implINS0_14default_configELb1EPKfPfPKlPlN2at6native12_GLOBAL__N_18offset_tEEE10hipError_tPvRmT1_PNSt15iterator_traitsISY_E10value_typeET2_T3_PNSZ_IS14_E10value_typeET4_jRbjT5_S1A_jjP12ihipStream_tbEUljE_EEESV_SW_SX_S14_S18_S1A_T6_T7_T9_mT8_S1C_bDpT10_ENKUlT_T0_E_clISt17integral_constantIbLb0EES1O_IbLb1EEEEDaS1K_S1L_EUlS1K_E_NS1_11comp_targetILNS1_3genE3ELNS1_11target_archE908ELNS1_3gpuE7ELNS1_3repE0EEENS1_30default_config_static_selectorELNS0_4arch9wavefront6targetE0EEEvSY_.kd
    .uniform_work_group_size: 1
    .uses_dynamic_stack: false
    .vgpr_count:     0
    .vgpr_spill_count: 0
    .wavefront_size: 32
    .workgroup_processor_mode: 1
  - .args:
      - .offset:         0
        .size:           152
        .value_kind:     by_value
    .group_segment_fixed_size: 0
    .kernarg_segment_align: 8
    .kernarg_segment_size: 152
    .language:       OpenCL C
    .language_version:
      - 2
      - 0
    .max_flat_workgroup_size: 256
    .name:           _ZN7rocprim17ROCPRIM_400000_NS6detail17trampoline_kernelINS0_13select_configILj256ELj13ELNS0_17block_load_methodE3ELS4_3ELS4_3ELNS0_20block_scan_algorithmE0ELj4294967295EEENS1_25partition_config_selectorILNS1_17partition_subalgoE3EjNS0_10empty_typeEbEEZZNS1_14partition_implILS8_3ELb0ES6_jNS0_17counting_iteratorIjlEEPS9_SE_NS0_5tupleIJPjSE_EEENSF_IJSE_SE_EEES9_SG_JZNS1_25segmented_radix_sort_implINS0_14default_configELb1EPKfPfPKlPlN2at6native12_GLOBAL__N_18offset_tEEE10hipError_tPvRmT1_PNSt15iterator_traitsISY_E10value_typeET2_T3_PNSZ_IS14_E10value_typeET4_jRbjT5_S1A_jjP12ihipStream_tbEUljE_EEESV_SW_SX_S14_S18_S1A_T6_T7_T9_mT8_S1C_bDpT10_ENKUlT_T0_E_clISt17integral_constantIbLb0EES1O_IbLb1EEEEDaS1K_S1L_EUlS1K_E_NS1_11comp_targetILNS1_3genE2ELNS1_11target_archE906ELNS1_3gpuE6ELNS1_3repE0EEENS1_30default_config_static_selectorELNS0_4arch9wavefront6targetE0EEEvSY_
    .private_segment_fixed_size: 0
    .sgpr_count:     0
    .sgpr_spill_count: 0
    .symbol:         _ZN7rocprim17ROCPRIM_400000_NS6detail17trampoline_kernelINS0_13select_configILj256ELj13ELNS0_17block_load_methodE3ELS4_3ELS4_3ELNS0_20block_scan_algorithmE0ELj4294967295EEENS1_25partition_config_selectorILNS1_17partition_subalgoE3EjNS0_10empty_typeEbEEZZNS1_14partition_implILS8_3ELb0ES6_jNS0_17counting_iteratorIjlEEPS9_SE_NS0_5tupleIJPjSE_EEENSF_IJSE_SE_EEES9_SG_JZNS1_25segmented_radix_sort_implINS0_14default_configELb1EPKfPfPKlPlN2at6native12_GLOBAL__N_18offset_tEEE10hipError_tPvRmT1_PNSt15iterator_traitsISY_E10value_typeET2_T3_PNSZ_IS14_E10value_typeET4_jRbjT5_S1A_jjP12ihipStream_tbEUljE_EEESV_SW_SX_S14_S18_S1A_T6_T7_T9_mT8_S1C_bDpT10_ENKUlT_T0_E_clISt17integral_constantIbLb0EES1O_IbLb1EEEEDaS1K_S1L_EUlS1K_E_NS1_11comp_targetILNS1_3genE2ELNS1_11target_archE906ELNS1_3gpuE6ELNS1_3repE0EEENS1_30default_config_static_selectorELNS0_4arch9wavefront6targetE0EEEvSY_.kd
    .uniform_work_group_size: 1
    .uses_dynamic_stack: false
    .vgpr_count:     0
    .vgpr_spill_count: 0
    .wavefront_size: 32
    .workgroup_processor_mode: 1
  - .args:
      - .offset:         0
        .size:           152
        .value_kind:     by_value
    .group_segment_fixed_size: 0
    .kernarg_segment_align: 8
    .kernarg_segment_size: 152
    .language:       OpenCL C
    .language_version:
      - 2
      - 0
    .max_flat_workgroup_size: 256
    .name:           _ZN7rocprim17ROCPRIM_400000_NS6detail17trampoline_kernelINS0_13select_configILj256ELj13ELNS0_17block_load_methodE3ELS4_3ELS4_3ELNS0_20block_scan_algorithmE0ELj4294967295EEENS1_25partition_config_selectorILNS1_17partition_subalgoE3EjNS0_10empty_typeEbEEZZNS1_14partition_implILS8_3ELb0ES6_jNS0_17counting_iteratorIjlEEPS9_SE_NS0_5tupleIJPjSE_EEENSF_IJSE_SE_EEES9_SG_JZNS1_25segmented_radix_sort_implINS0_14default_configELb1EPKfPfPKlPlN2at6native12_GLOBAL__N_18offset_tEEE10hipError_tPvRmT1_PNSt15iterator_traitsISY_E10value_typeET2_T3_PNSZ_IS14_E10value_typeET4_jRbjT5_S1A_jjP12ihipStream_tbEUljE_EEESV_SW_SX_S14_S18_S1A_T6_T7_T9_mT8_S1C_bDpT10_ENKUlT_T0_E_clISt17integral_constantIbLb0EES1O_IbLb1EEEEDaS1K_S1L_EUlS1K_E_NS1_11comp_targetILNS1_3genE10ELNS1_11target_archE1200ELNS1_3gpuE4ELNS1_3repE0EEENS1_30default_config_static_selectorELNS0_4arch9wavefront6targetE0EEEvSY_
    .private_segment_fixed_size: 0
    .sgpr_count:     0
    .sgpr_spill_count: 0
    .symbol:         _ZN7rocprim17ROCPRIM_400000_NS6detail17trampoline_kernelINS0_13select_configILj256ELj13ELNS0_17block_load_methodE3ELS4_3ELS4_3ELNS0_20block_scan_algorithmE0ELj4294967295EEENS1_25partition_config_selectorILNS1_17partition_subalgoE3EjNS0_10empty_typeEbEEZZNS1_14partition_implILS8_3ELb0ES6_jNS0_17counting_iteratorIjlEEPS9_SE_NS0_5tupleIJPjSE_EEENSF_IJSE_SE_EEES9_SG_JZNS1_25segmented_radix_sort_implINS0_14default_configELb1EPKfPfPKlPlN2at6native12_GLOBAL__N_18offset_tEEE10hipError_tPvRmT1_PNSt15iterator_traitsISY_E10value_typeET2_T3_PNSZ_IS14_E10value_typeET4_jRbjT5_S1A_jjP12ihipStream_tbEUljE_EEESV_SW_SX_S14_S18_S1A_T6_T7_T9_mT8_S1C_bDpT10_ENKUlT_T0_E_clISt17integral_constantIbLb0EES1O_IbLb1EEEEDaS1K_S1L_EUlS1K_E_NS1_11comp_targetILNS1_3genE10ELNS1_11target_archE1200ELNS1_3gpuE4ELNS1_3repE0EEENS1_30default_config_static_selectorELNS0_4arch9wavefront6targetE0EEEvSY_.kd
    .uniform_work_group_size: 1
    .uses_dynamic_stack: false
    .vgpr_count:     0
    .vgpr_spill_count: 0
    .wavefront_size: 32
    .workgroup_processor_mode: 1
  - .args:
      - .offset:         0
        .size:           152
        .value_kind:     by_value
    .group_segment_fixed_size: 13324
    .kernarg_segment_align: 8
    .kernarg_segment_size: 152
    .language:       OpenCL C
    .language_version:
      - 2
      - 0
    .max_flat_workgroup_size: 256
    .name:           _ZN7rocprim17ROCPRIM_400000_NS6detail17trampoline_kernelINS0_13select_configILj256ELj13ELNS0_17block_load_methodE3ELS4_3ELS4_3ELNS0_20block_scan_algorithmE0ELj4294967295EEENS1_25partition_config_selectorILNS1_17partition_subalgoE3EjNS0_10empty_typeEbEEZZNS1_14partition_implILS8_3ELb0ES6_jNS0_17counting_iteratorIjlEEPS9_SE_NS0_5tupleIJPjSE_EEENSF_IJSE_SE_EEES9_SG_JZNS1_25segmented_radix_sort_implINS0_14default_configELb1EPKfPfPKlPlN2at6native12_GLOBAL__N_18offset_tEEE10hipError_tPvRmT1_PNSt15iterator_traitsISY_E10value_typeET2_T3_PNSZ_IS14_E10value_typeET4_jRbjT5_S1A_jjP12ihipStream_tbEUljE_EEESV_SW_SX_S14_S18_S1A_T6_T7_T9_mT8_S1C_bDpT10_ENKUlT_T0_E_clISt17integral_constantIbLb0EES1O_IbLb1EEEEDaS1K_S1L_EUlS1K_E_NS1_11comp_targetILNS1_3genE9ELNS1_11target_archE1100ELNS1_3gpuE3ELNS1_3repE0EEENS1_30default_config_static_selectorELNS0_4arch9wavefront6targetE0EEEvSY_
    .private_segment_fixed_size: 0
    .sgpr_count:     28
    .sgpr_spill_count: 0
    .symbol:         _ZN7rocprim17ROCPRIM_400000_NS6detail17trampoline_kernelINS0_13select_configILj256ELj13ELNS0_17block_load_methodE3ELS4_3ELS4_3ELNS0_20block_scan_algorithmE0ELj4294967295EEENS1_25partition_config_selectorILNS1_17partition_subalgoE3EjNS0_10empty_typeEbEEZZNS1_14partition_implILS8_3ELb0ES6_jNS0_17counting_iteratorIjlEEPS9_SE_NS0_5tupleIJPjSE_EEENSF_IJSE_SE_EEES9_SG_JZNS1_25segmented_radix_sort_implINS0_14default_configELb1EPKfPfPKlPlN2at6native12_GLOBAL__N_18offset_tEEE10hipError_tPvRmT1_PNSt15iterator_traitsISY_E10value_typeET2_T3_PNSZ_IS14_E10value_typeET4_jRbjT5_S1A_jjP12ihipStream_tbEUljE_EEESV_SW_SX_S14_S18_S1A_T6_T7_T9_mT8_S1C_bDpT10_ENKUlT_T0_E_clISt17integral_constantIbLb0EES1O_IbLb1EEEEDaS1K_S1L_EUlS1K_E_NS1_11comp_targetILNS1_3genE9ELNS1_11target_archE1100ELNS1_3gpuE3ELNS1_3repE0EEENS1_30default_config_static_selectorELNS0_4arch9wavefront6targetE0EEEvSY_.kd
    .uniform_work_group_size: 1
    .uses_dynamic_stack: false
    .vgpr_count:     60
    .vgpr_spill_count: 0
    .wavefront_size: 32
    .workgroup_processor_mode: 1
  - .args:
      - .offset:         0
        .size:           152
        .value_kind:     by_value
    .group_segment_fixed_size: 0
    .kernarg_segment_align: 8
    .kernarg_segment_size: 152
    .language:       OpenCL C
    .language_version:
      - 2
      - 0
    .max_flat_workgroup_size: 256
    .name:           _ZN7rocprim17ROCPRIM_400000_NS6detail17trampoline_kernelINS0_13select_configILj256ELj13ELNS0_17block_load_methodE3ELS4_3ELS4_3ELNS0_20block_scan_algorithmE0ELj4294967295EEENS1_25partition_config_selectorILNS1_17partition_subalgoE3EjNS0_10empty_typeEbEEZZNS1_14partition_implILS8_3ELb0ES6_jNS0_17counting_iteratorIjlEEPS9_SE_NS0_5tupleIJPjSE_EEENSF_IJSE_SE_EEES9_SG_JZNS1_25segmented_radix_sort_implINS0_14default_configELb1EPKfPfPKlPlN2at6native12_GLOBAL__N_18offset_tEEE10hipError_tPvRmT1_PNSt15iterator_traitsISY_E10value_typeET2_T3_PNSZ_IS14_E10value_typeET4_jRbjT5_S1A_jjP12ihipStream_tbEUljE_EEESV_SW_SX_S14_S18_S1A_T6_T7_T9_mT8_S1C_bDpT10_ENKUlT_T0_E_clISt17integral_constantIbLb0EES1O_IbLb1EEEEDaS1K_S1L_EUlS1K_E_NS1_11comp_targetILNS1_3genE8ELNS1_11target_archE1030ELNS1_3gpuE2ELNS1_3repE0EEENS1_30default_config_static_selectorELNS0_4arch9wavefront6targetE0EEEvSY_
    .private_segment_fixed_size: 0
    .sgpr_count:     0
    .sgpr_spill_count: 0
    .symbol:         _ZN7rocprim17ROCPRIM_400000_NS6detail17trampoline_kernelINS0_13select_configILj256ELj13ELNS0_17block_load_methodE3ELS4_3ELS4_3ELNS0_20block_scan_algorithmE0ELj4294967295EEENS1_25partition_config_selectorILNS1_17partition_subalgoE3EjNS0_10empty_typeEbEEZZNS1_14partition_implILS8_3ELb0ES6_jNS0_17counting_iteratorIjlEEPS9_SE_NS0_5tupleIJPjSE_EEENSF_IJSE_SE_EEES9_SG_JZNS1_25segmented_radix_sort_implINS0_14default_configELb1EPKfPfPKlPlN2at6native12_GLOBAL__N_18offset_tEEE10hipError_tPvRmT1_PNSt15iterator_traitsISY_E10value_typeET2_T3_PNSZ_IS14_E10value_typeET4_jRbjT5_S1A_jjP12ihipStream_tbEUljE_EEESV_SW_SX_S14_S18_S1A_T6_T7_T9_mT8_S1C_bDpT10_ENKUlT_T0_E_clISt17integral_constantIbLb0EES1O_IbLb1EEEEDaS1K_S1L_EUlS1K_E_NS1_11comp_targetILNS1_3genE8ELNS1_11target_archE1030ELNS1_3gpuE2ELNS1_3repE0EEENS1_30default_config_static_selectorELNS0_4arch9wavefront6targetE0EEEvSY_.kd
    .uniform_work_group_size: 1
    .uses_dynamic_stack: false
    .vgpr_count:     0
    .vgpr_spill_count: 0
    .wavefront_size: 32
    .workgroup_processor_mode: 1
  - .args:
      - .offset:         0
        .size:           96
        .value_kind:     by_value
    .group_segment_fixed_size: 0
    .kernarg_segment_align: 8
    .kernarg_segment_size: 96
    .language:       OpenCL C
    .language_version:
      - 2
      - 0
    .max_flat_workgroup_size: 256
    .name:           _ZN7rocprim17ROCPRIM_400000_NS6detail17trampoline_kernelINS0_14default_configENS1_36segmented_radix_sort_config_selectorIflEEZNS1_25segmented_radix_sort_implIS3_Lb1EPKfPfPKlPlN2at6native12_GLOBAL__N_18offset_tEEE10hipError_tPvRmT1_PNSt15iterator_traitsISK_E10value_typeET2_T3_PNSL_ISQ_E10value_typeET4_jRbjT5_SW_jjP12ihipStream_tbEUlT_E_NS1_11comp_targetILNS1_3genE0ELNS1_11target_archE4294967295ELNS1_3gpuE0ELNS1_3repE0EEENS1_30default_config_static_selectorELNS0_4arch9wavefront6targetE0EEEvSK_
    .private_segment_fixed_size: 0
    .sgpr_count:     0
    .sgpr_spill_count: 0
    .symbol:         _ZN7rocprim17ROCPRIM_400000_NS6detail17trampoline_kernelINS0_14default_configENS1_36segmented_radix_sort_config_selectorIflEEZNS1_25segmented_radix_sort_implIS3_Lb1EPKfPfPKlPlN2at6native12_GLOBAL__N_18offset_tEEE10hipError_tPvRmT1_PNSt15iterator_traitsISK_E10value_typeET2_T3_PNSL_ISQ_E10value_typeET4_jRbjT5_SW_jjP12ihipStream_tbEUlT_E_NS1_11comp_targetILNS1_3genE0ELNS1_11target_archE4294967295ELNS1_3gpuE0ELNS1_3repE0EEENS1_30default_config_static_selectorELNS0_4arch9wavefront6targetE0EEEvSK_.kd
    .uniform_work_group_size: 1
    .uses_dynamic_stack: false
    .vgpr_count:     0
    .vgpr_spill_count: 0
    .wavefront_size: 32
    .workgroup_processor_mode: 1
  - .args:
      - .offset:         0
        .size:           96
        .value_kind:     by_value
    .group_segment_fixed_size: 0
    .kernarg_segment_align: 8
    .kernarg_segment_size: 96
    .language:       OpenCL C
    .language_version:
      - 2
      - 0
    .max_flat_workgroup_size: 256
    .name:           _ZN7rocprim17ROCPRIM_400000_NS6detail17trampoline_kernelINS0_14default_configENS1_36segmented_radix_sort_config_selectorIflEEZNS1_25segmented_radix_sort_implIS3_Lb1EPKfPfPKlPlN2at6native12_GLOBAL__N_18offset_tEEE10hipError_tPvRmT1_PNSt15iterator_traitsISK_E10value_typeET2_T3_PNSL_ISQ_E10value_typeET4_jRbjT5_SW_jjP12ihipStream_tbEUlT_E_NS1_11comp_targetILNS1_3genE5ELNS1_11target_archE942ELNS1_3gpuE9ELNS1_3repE0EEENS1_30default_config_static_selectorELNS0_4arch9wavefront6targetE0EEEvSK_
    .private_segment_fixed_size: 0
    .sgpr_count:     0
    .sgpr_spill_count: 0
    .symbol:         _ZN7rocprim17ROCPRIM_400000_NS6detail17trampoline_kernelINS0_14default_configENS1_36segmented_radix_sort_config_selectorIflEEZNS1_25segmented_radix_sort_implIS3_Lb1EPKfPfPKlPlN2at6native12_GLOBAL__N_18offset_tEEE10hipError_tPvRmT1_PNSt15iterator_traitsISK_E10value_typeET2_T3_PNSL_ISQ_E10value_typeET4_jRbjT5_SW_jjP12ihipStream_tbEUlT_E_NS1_11comp_targetILNS1_3genE5ELNS1_11target_archE942ELNS1_3gpuE9ELNS1_3repE0EEENS1_30default_config_static_selectorELNS0_4arch9wavefront6targetE0EEEvSK_.kd
    .uniform_work_group_size: 1
    .uses_dynamic_stack: false
    .vgpr_count:     0
    .vgpr_spill_count: 0
    .wavefront_size: 32
    .workgroup_processor_mode: 1
  - .args:
      - .offset:         0
        .size:           96
        .value_kind:     by_value
    .group_segment_fixed_size: 0
    .kernarg_segment_align: 8
    .kernarg_segment_size: 96
    .language:       OpenCL C
    .language_version:
      - 2
      - 0
    .max_flat_workgroup_size: 256
    .name:           _ZN7rocprim17ROCPRIM_400000_NS6detail17trampoline_kernelINS0_14default_configENS1_36segmented_radix_sort_config_selectorIflEEZNS1_25segmented_radix_sort_implIS3_Lb1EPKfPfPKlPlN2at6native12_GLOBAL__N_18offset_tEEE10hipError_tPvRmT1_PNSt15iterator_traitsISK_E10value_typeET2_T3_PNSL_ISQ_E10value_typeET4_jRbjT5_SW_jjP12ihipStream_tbEUlT_E_NS1_11comp_targetILNS1_3genE4ELNS1_11target_archE910ELNS1_3gpuE8ELNS1_3repE0EEENS1_30default_config_static_selectorELNS0_4arch9wavefront6targetE0EEEvSK_
    .private_segment_fixed_size: 0
    .sgpr_count:     0
    .sgpr_spill_count: 0
    .symbol:         _ZN7rocprim17ROCPRIM_400000_NS6detail17trampoline_kernelINS0_14default_configENS1_36segmented_radix_sort_config_selectorIflEEZNS1_25segmented_radix_sort_implIS3_Lb1EPKfPfPKlPlN2at6native12_GLOBAL__N_18offset_tEEE10hipError_tPvRmT1_PNSt15iterator_traitsISK_E10value_typeET2_T3_PNSL_ISQ_E10value_typeET4_jRbjT5_SW_jjP12ihipStream_tbEUlT_E_NS1_11comp_targetILNS1_3genE4ELNS1_11target_archE910ELNS1_3gpuE8ELNS1_3repE0EEENS1_30default_config_static_selectorELNS0_4arch9wavefront6targetE0EEEvSK_.kd
    .uniform_work_group_size: 1
    .uses_dynamic_stack: false
    .vgpr_count:     0
    .vgpr_spill_count: 0
    .wavefront_size: 32
    .workgroup_processor_mode: 1
  - .args:
      - .offset:         0
        .size:           96
        .value_kind:     by_value
    .group_segment_fixed_size: 0
    .kernarg_segment_align: 8
    .kernarg_segment_size: 96
    .language:       OpenCL C
    .language_version:
      - 2
      - 0
    .max_flat_workgroup_size: 256
    .name:           _ZN7rocprim17ROCPRIM_400000_NS6detail17trampoline_kernelINS0_14default_configENS1_36segmented_radix_sort_config_selectorIflEEZNS1_25segmented_radix_sort_implIS3_Lb1EPKfPfPKlPlN2at6native12_GLOBAL__N_18offset_tEEE10hipError_tPvRmT1_PNSt15iterator_traitsISK_E10value_typeET2_T3_PNSL_ISQ_E10value_typeET4_jRbjT5_SW_jjP12ihipStream_tbEUlT_E_NS1_11comp_targetILNS1_3genE3ELNS1_11target_archE908ELNS1_3gpuE7ELNS1_3repE0EEENS1_30default_config_static_selectorELNS0_4arch9wavefront6targetE0EEEvSK_
    .private_segment_fixed_size: 0
    .sgpr_count:     0
    .sgpr_spill_count: 0
    .symbol:         _ZN7rocprim17ROCPRIM_400000_NS6detail17trampoline_kernelINS0_14default_configENS1_36segmented_radix_sort_config_selectorIflEEZNS1_25segmented_radix_sort_implIS3_Lb1EPKfPfPKlPlN2at6native12_GLOBAL__N_18offset_tEEE10hipError_tPvRmT1_PNSt15iterator_traitsISK_E10value_typeET2_T3_PNSL_ISQ_E10value_typeET4_jRbjT5_SW_jjP12ihipStream_tbEUlT_E_NS1_11comp_targetILNS1_3genE3ELNS1_11target_archE908ELNS1_3gpuE7ELNS1_3repE0EEENS1_30default_config_static_selectorELNS0_4arch9wavefront6targetE0EEEvSK_.kd
    .uniform_work_group_size: 1
    .uses_dynamic_stack: false
    .vgpr_count:     0
    .vgpr_spill_count: 0
    .wavefront_size: 32
    .workgroup_processor_mode: 1
  - .args:
      - .offset:         0
        .size:           96
        .value_kind:     by_value
    .group_segment_fixed_size: 0
    .kernarg_segment_align: 8
    .kernarg_segment_size: 96
    .language:       OpenCL C
    .language_version:
      - 2
      - 0
    .max_flat_workgroup_size: 256
    .name:           _ZN7rocprim17ROCPRIM_400000_NS6detail17trampoline_kernelINS0_14default_configENS1_36segmented_radix_sort_config_selectorIflEEZNS1_25segmented_radix_sort_implIS3_Lb1EPKfPfPKlPlN2at6native12_GLOBAL__N_18offset_tEEE10hipError_tPvRmT1_PNSt15iterator_traitsISK_E10value_typeET2_T3_PNSL_ISQ_E10value_typeET4_jRbjT5_SW_jjP12ihipStream_tbEUlT_E_NS1_11comp_targetILNS1_3genE2ELNS1_11target_archE906ELNS1_3gpuE6ELNS1_3repE0EEENS1_30default_config_static_selectorELNS0_4arch9wavefront6targetE0EEEvSK_
    .private_segment_fixed_size: 0
    .sgpr_count:     0
    .sgpr_spill_count: 0
    .symbol:         _ZN7rocprim17ROCPRIM_400000_NS6detail17trampoline_kernelINS0_14default_configENS1_36segmented_radix_sort_config_selectorIflEEZNS1_25segmented_radix_sort_implIS3_Lb1EPKfPfPKlPlN2at6native12_GLOBAL__N_18offset_tEEE10hipError_tPvRmT1_PNSt15iterator_traitsISK_E10value_typeET2_T3_PNSL_ISQ_E10value_typeET4_jRbjT5_SW_jjP12ihipStream_tbEUlT_E_NS1_11comp_targetILNS1_3genE2ELNS1_11target_archE906ELNS1_3gpuE6ELNS1_3repE0EEENS1_30default_config_static_selectorELNS0_4arch9wavefront6targetE0EEEvSK_.kd
    .uniform_work_group_size: 1
    .uses_dynamic_stack: false
    .vgpr_count:     0
    .vgpr_spill_count: 0
    .wavefront_size: 32
    .workgroup_processor_mode: 1
  - .args:
      - .offset:         0
        .size:           96
        .value_kind:     by_value
    .group_segment_fixed_size: 0
    .kernarg_segment_align: 8
    .kernarg_segment_size: 96
    .language:       OpenCL C
    .language_version:
      - 2
      - 0
    .max_flat_workgroup_size: 256
    .name:           _ZN7rocprim17ROCPRIM_400000_NS6detail17trampoline_kernelINS0_14default_configENS1_36segmented_radix_sort_config_selectorIflEEZNS1_25segmented_radix_sort_implIS3_Lb1EPKfPfPKlPlN2at6native12_GLOBAL__N_18offset_tEEE10hipError_tPvRmT1_PNSt15iterator_traitsISK_E10value_typeET2_T3_PNSL_ISQ_E10value_typeET4_jRbjT5_SW_jjP12ihipStream_tbEUlT_E_NS1_11comp_targetILNS1_3genE10ELNS1_11target_archE1201ELNS1_3gpuE5ELNS1_3repE0EEENS1_30default_config_static_selectorELNS0_4arch9wavefront6targetE0EEEvSK_
    .private_segment_fixed_size: 0
    .sgpr_count:     0
    .sgpr_spill_count: 0
    .symbol:         _ZN7rocprim17ROCPRIM_400000_NS6detail17trampoline_kernelINS0_14default_configENS1_36segmented_radix_sort_config_selectorIflEEZNS1_25segmented_radix_sort_implIS3_Lb1EPKfPfPKlPlN2at6native12_GLOBAL__N_18offset_tEEE10hipError_tPvRmT1_PNSt15iterator_traitsISK_E10value_typeET2_T3_PNSL_ISQ_E10value_typeET4_jRbjT5_SW_jjP12ihipStream_tbEUlT_E_NS1_11comp_targetILNS1_3genE10ELNS1_11target_archE1201ELNS1_3gpuE5ELNS1_3repE0EEENS1_30default_config_static_selectorELNS0_4arch9wavefront6targetE0EEEvSK_.kd
    .uniform_work_group_size: 1
    .uses_dynamic_stack: false
    .vgpr_count:     0
    .vgpr_spill_count: 0
    .wavefront_size: 32
    .workgroup_processor_mode: 1
  - .args:
      - .offset:         0
        .size:           96
        .value_kind:     by_value
    .group_segment_fixed_size: 0
    .kernarg_segment_align: 8
    .kernarg_segment_size: 96
    .language:       OpenCL C
    .language_version:
      - 2
      - 0
    .max_flat_workgroup_size: 128
    .name:           _ZN7rocprim17ROCPRIM_400000_NS6detail17trampoline_kernelINS0_14default_configENS1_36segmented_radix_sort_config_selectorIflEEZNS1_25segmented_radix_sort_implIS3_Lb1EPKfPfPKlPlN2at6native12_GLOBAL__N_18offset_tEEE10hipError_tPvRmT1_PNSt15iterator_traitsISK_E10value_typeET2_T3_PNSL_ISQ_E10value_typeET4_jRbjT5_SW_jjP12ihipStream_tbEUlT_E_NS1_11comp_targetILNS1_3genE10ELNS1_11target_archE1200ELNS1_3gpuE4ELNS1_3repE0EEENS1_30default_config_static_selectorELNS0_4arch9wavefront6targetE0EEEvSK_
    .private_segment_fixed_size: 0
    .sgpr_count:     0
    .sgpr_spill_count: 0
    .symbol:         _ZN7rocprim17ROCPRIM_400000_NS6detail17trampoline_kernelINS0_14default_configENS1_36segmented_radix_sort_config_selectorIflEEZNS1_25segmented_radix_sort_implIS3_Lb1EPKfPfPKlPlN2at6native12_GLOBAL__N_18offset_tEEE10hipError_tPvRmT1_PNSt15iterator_traitsISK_E10value_typeET2_T3_PNSL_ISQ_E10value_typeET4_jRbjT5_SW_jjP12ihipStream_tbEUlT_E_NS1_11comp_targetILNS1_3genE10ELNS1_11target_archE1200ELNS1_3gpuE4ELNS1_3repE0EEENS1_30default_config_static_selectorELNS0_4arch9wavefront6targetE0EEEvSK_.kd
    .uniform_work_group_size: 1
    .uses_dynamic_stack: false
    .vgpr_count:     0
    .vgpr_spill_count: 0
    .wavefront_size: 32
    .workgroup_processor_mode: 1
  - .args:
      - .offset:         0
        .size:           96
        .value_kind:     by_value
      - .offset:         96
        .size:           4
        .value_kind:     hidden_block_count_x
      - .offset:         100
        .size:           4
        .value_kind:     hidden_block_count_y
      - .offset:         104
        .size:           4
        .value_kind:     hidden_block_count_z
      - .offset:         108
        .size:           2
        .value_kind:     hidden_group_size_x
      - .offset:         110
        .size:           2
        .value_kind:     hidden_group_size_y
      - .offset:         112
        .size:           2
        .value_kind:     hidden_group_size_z
      - .offset:         114
        .size:           2
        .value_kind:     hidden_remainder_x
      - .offset:         116
        .size:           2
        .value_kind:     hidden_remainder_y
      - .offset:         118
        .size:           2
        .value_kind:     hidden_remainder_z
      - .offset:         136
        .size:           8
        .value_kind:     hidden_global_offset_x
      - .offset:         144
        .size:           8
        .value_kind:     hidden_global_offset_y
      - .offset:         152
        .size:           8
        .value_kind:     hidden_global_offset_z
      - .offset:         160
        .size:           2
        .value_kind:     hidden_grid_dims
    .group_segment_fixed_size: 17440
    .kernarg_segment_align: 8
    .kernarg_segment_size: 352
    .language:       OpenCL C
    .language_version:
      - 2
      - 0
    .max_flat_workgroup_size: 256
    .name:           _ZN7rocprim17ROCPRIM_400000_NS6detail17trampoline_kernelINS0_14default_configENS1_36segmented_radix_sort_config_selectorIflEEZNS1_25segmented_radix_sort_implIS3_Lb1EPKfPfPKlPlN2at6native12_GLOBAL__N_18offset_tEEE10hipError_tPvRmT1_PNSt15iterator_traitsISK_E10value_typeET2_T3_PNSL_ISQ_E10value_typeET4_jRbjT5_SW_jjP12ihipStream_tbEUlT_E_NS1_11comp_targetILNS1_3genE9ELNS1_11target_archE1100ELNS1_3gpuE3ELNS1_3repE0EEENS1_30default_config_static_selectorELNS0_4arch9wavefront6targetE0EEEvSK_
    .private_segment_fixed_size: 8
    .sgpr_count:     62
    .sgpr_spill_count: 0
    .symbol:         _ZN7rocprim17ROCPRIM_400000_NS6detail17trampoline_kernelINS0_14default_configENS1_36segmented_radix_sort_config_selectorIflEEZNS1_25segmented_radix_sort_implIS3_Lb1EPKfPfPKlPlN2at6native12_GLOBAL__N_18offset_tEEE10hipError_tPvRmT1_PNSt15iterator_traitsISK_E10value_typeET2_T3_PNSL_ISQ_E10value_typeET4_jRbjT5_SW_jjP12ihipStream_tbEUlT_E_NS1_11comp_targetILNS1_3genE9ELNS1_11target_archE1100ELNS1_3gpuE3ELNS1_3repE0EEENS1_30default_config_static_selectorELNS0_4arch9wavefront6targetE0EEEvSK_.kd
    .uniform_work_group_size: 1
    .uses_dynamic_stack: false
    .vgpr_count:     209
    .vgpr_spill_count: 0
    .wavefront_size: 32
    .workgroup_processor_mode: 1
  - .args:
      - .offset:         0
        .size:           96
        .value_kind:     by_value
    .group_segment_fixed_size: 0
    .kernarg_segment_align: 8
    .kernarg_segment_size: 96
    .language:       OpenCL C
    .language_version:
      - 2
      - 0
    .max_flat_workgroup_size: 256
    .name:           _ZN7rocprim17ROCPRIM_400000_NS6detail17trampoline_kernelINS0_14default_configENS1_36segmented_radix_sort_config_selectorIflEEZNS1_25segmented_radix_sort_implIS3_Lb1EPKfPfPKlPlN2at6native12_GLOBAL__N_18offset_tEEE10hipError_tPvRmT1_PNSt15iterator_traitsISK_E10value_typeET2_T3_PNSL_ISQ_E10value_typeET4_jRbjT5_SW_jjP12ihipStream_tbEUlT_E_NS1_11comp_targetILNS1_3genE8ELNS1_11target_archE1030ELNS1_3gpuE2ELNS1_3repE0EEENS1_30default_config_static_selectorELNS0_4arch9wavefront6targetE0EEEvSK_
    .private_segment_fixed_size: 0
    .sgpr_count:     0
    .sgpr_spill_count: 0
    .symbol:         _ZN7rocprim17ROCPRIM_400000_NS6detail17trampoline_kernelINS0_14default_configENS1_36segmented_radix_sort_config_selectorIflEEZNS1_25segmented_radix_sort_implIS3_Lb1EPKfPfPKlPlN2at6native12_GLOBAL__N_18offset_tEEE10hipError_tPvRmT1_PNSt15iterator_traitsISK_E10value_typeET2_T3_PNSL_ISQ_E10value_typeET4_jRbjT5_SW_jjP12ihipStream_tbEUlT_E_NS1_11comp_targetILNS1_3genE8ELNS1_11target_archE1030ELNS1_3gpuE2ELNS1_3repE0EEENS1_30default_config_static_selectorELNS0_4arch9wavefront6targetE0EEEvSK_.kd
    .uniform_work_group_size: 1
    .uses_dynamic_stack: false
    .vgpr_count:     0
    .vgpr_spill_count: 0
    .wavefront_size: 32
    .workgroup_processor_mode: 1
  - .args:
      - .offset:         0
        .size:           88
        .value_kind:     by_value
    .group_segment_fixed_size: 0
    .kernarg_segment_align: 8
    .kernarg_segment_size: 88
    .language:       OpenCL C
    .language_version:
      - 2
      - 0
    .max_flat_workgroup_size: 256
    .name:           _ZN7rocprim17ROCPRIM_400000_NS6detail17trampoline_kernelINS0_14default_configENS1_36segmented_radix_sort_config_selectorIflEEZNS1_25segmented_radix_sort_implIS3_Lb1EPKfPfPKlPlN2at6native12_GLOBAL__N_18offset_tEEE10hipError_tPvRmT1_PNSt15iterator_traitsISK_E10value_typeET2_T3_PNSL_ISQ_E10value_typeET4_jRbjT5_SW_jjP12ihipStream_tbEUlT_E0_NS1_11comp_targetILNS1_3genE0ELNS1_11target_archE4294967295ELNS1_3gpuE0ELNS1_3repE0EEENS1_60segmented_radix_sort_warp_sort_medium_config_static_selectorELNS0_4arch9wavefront6targetE0EEEvSK_
    .private_segment_fixed_size: 0
    .sgpr_count:     0
    .sgpr_spill_count: 0
    .symbol:         _ZN7rocprim17ROCPRIM_400000_NS6detail17trampoline_kernelINS0_14default_configENS1_36segmented_radix_sort_config_selectorIflEEZNS1_25segmented_radix_sort_implIS3_Lb1EPKfPfPKlPlN2at6native12_GLOBAL__N_18offset_tEEE10hipError_tPvRmT1_PNSt15iterator_traitsISK_E10value_typeET2_T3_PNSL_ISQ_E10value_typeET4_jRbjT5_SW_jjP12ihipStream_tbEUlT_E0_NS1_11comp_targetILNS1_3genE0ELNS1_11target_archE4294967295ELNS1_3gpuE0ELNS1_3repE0EEENS1_60segmented_radix_sort_warp_sort_medium_config_static_selectorELNS0_4arch9wavefront6targetE0EEEvSK_.kd
    .uniform_work_group_size: 1
    .uses_dynamic_stack: false
    .vgpr_count:     0
    .vgpr_spill_count: 0
    .wavefront_size: 32
    .workgroup_processor_mode: 1
  - .args:
      - .offset:         0
        .size:           88
        .value_kind:     by_value
    .group_segment_fixed_size: 0
    .kernarg_segment_align: 8
    .kernarg_segment_size: 88
    .language:       OpenCL C
    .language_version:
      - 2
      - 0
    .max_flat_workgroup_size: 256
    .name:           _ZN7rocprim17ROCPRIM_400000_NS6detail17trampoline_kernelINS0_14default_configENS1_36segmented_radix_sort_config_selectorIflEEZNS1_25segmented_radix_sort_implIS3_Lb1EPKfPfPKlPlN2at6native12_GLOBAL__N_18offset_tEEE10hipError_tPvRmT1_PNSt15iterator_traitsISK_E10value_typeET2_T3_PNSL_ISQ_E10value_typeET4_jRbjT5_SW_jjP12ihipStream_tbEUlT_E0_NS1_11comp_targetILNS1_3genE5ELNS1_11target_archE942ELNS1_3gpuE9ELNS1_3repE0EEENS1_60segmented_radix_sort_warp_sort_medium_config_static_selectorELNS0_4arch9wavefront6targetE0EEEvSK_
    .private_segment_fixed_size: 0
    .sgpr_count:     0
    .sgpr_spill_count: 0
    .symbol:         _ZN7rocprim17ROCPRIM_400000_NS6detail17trampoline_kernelINS0_14default_configENS1_36segmented_radix_sort_config_selectorIflEEZNS1_25segmented_radix_sort_implIS3_Lb1EPKfPfPKlPlN2at6native12_GLOBAL__N_18offset_tEEE10hipError_tPvRmT1_PNSt15iterator_traitsISK_E10value_typeET2_T3_PNSL_ISQ_E10value_typeET4_jRbjT5_SW_jjP12ihipStream_tbEUlT_E0_NS1_11comp_targetILNS1_3genE5ELNS1_11target_archE942ELNS1_3gpuE9ELNS1_3repE0EEENS1_60segmented_radix_sort_warp_sort_medium_config_static_selectorELNS0_4arch9wavefront6targetE0EEEvSK_.kd
    .uniform_work_group_size: 1
    .uses_dynamic_stack: false
    .vgpr_count:     0
    .vgpr_spill_count: 0
    .wavefront_size: 32
    .workgroup_processor_mode: 1
  - .args:
      - .offset:         0
        .size:           88
        .value_kind:     by_value
    .group_segment_fixed_size: 0
    .kernarg_segment_align: 8
    .kernarg_segment_size: 88
    .language:       OpenCL C
    .language_version:
      - 2
      - 0
    .max_flat_workgroup_size: 256
    .name:           _ZN7rocprim17ROCPRIM_400000_NS6detail17trampoline_kernelINS0_14default_configENS1_36segmented_radix_sort_config_selectorIflEEZNS1_25segmented_radix_sort_implIS3_Lb1EPKfPfPKlPlN2at6native12_GLOBAL__N_18offset_tEEE10hipError_tPvRmT1_PNSt15iterator_traitsISK_E10value_typeET2_T3_PNSL_ISQ_E10value_typeET4_jRbjT5_SW_jjP12ihipStream_tbEUlT_E0_NS1_11comp_targetILNS1_3genE4ELNS1_11target_archE910ELNS1_3gpuE8ELNS1_3repE0EEENS1_60segmented_radix_sort_warp_sort_medium_config_static_selectorELNS0_4arch9wavefront6targetE0EEEvSK_
    .private_segment_fixed_size: 0
    .sgpr_count:     0
    .sgpr_spill_count: 0
    .symbol:         _ZN7rocprim17ROCPRIM_400000_NS6detail17trampoline_kernelINS0_14default_configENS1_36segmented_radix_sort_config_selectorIflEEZNS1_25segmented_radix_sort_implIS3_Lb1EPKfPfPKlPlN2at6native12_GLOBAL__N_18offset_tEEE10hipError_tPvRmT1_PNSt15iterator_traitsISK_E10value_typeET2_T3_PNSL_ISQ_E10value_typeET4_jRbjT5_SW_jjP12ihipStream_tbEUlT_E0_NS1_11comp_targetILNS1_3genE4ELNS1_11target_archE910ELNS1_3gpuE8ELNS1_3repE0EEENS1_60segmented_radix_sort_warp_sort_medium_config_static_selectorELNS0_4arch9wavefront6targetE0EEEvSK_.kd
    .uniform_work_group_size: 1
    .uses_dynamic_stack: false
    .vgpr_count:     0
    .vgpr_spill_count: 0
    .wavefront_size: 32
    .workgroup_processor_mode: 1
  - .args:
      - .offset:         0
        .size:           88
        .value_kind:     by_value
    .group_segment_fixed_size: 0
    .kernarg_segment_align: 8
    .kernarg_segment_size: 88
    .language:       OpenCL C
    .language_version:
      - 2
      - 0
    .max_flat_workgroup_size: 256
    .name:           _ZN7rocprim17ROCPRIM_400000_NS6detail17trampoline_kernelINS0_14default_configENS1_36segmented_radix_sort_config_selectorIflEEZNS1_25segmented_radix_sort_implIS3_Lb1EPKfPfPKlPlN2at6native12_GLOBAL__N_18offset_tEEE10hipError_tPvRmT1_PNSt15iterator_traitsISK_E10value_typeET2_T3_PNSL_ISQ_E10value_typeET4_jRbjT5_SW_jjP12ihipStream_tbEUlT_E0_NS1_11comp_targetILNS1_3genE3ELNS1_11target_archE908ELNS1_3gpuE7ELNS1_3repE0EEENS1_60segmented_radix_sort_warp_sort_medium_config_static_selectorELNS0_4arch9wavefront6targetE0EEEvSK_
    .private_segment_fixed_size: 0
    .sgpr_count:     0
    .sgpr_spill_count: 0
    .symbol:         _ZN7rocprim17ROCPRIM_400000_NS6detail17trampoline_kernelINS0_14default_configENS1_36segmented_radix_sort_config_selectorIflEEZNS1_25segmented_radix_sort_implIS3_Lb1EPKfPfPKlPlN2at6native12_GLOBAL__N_18offset_tEEE10hipError_tPvRmT1_PNSt15iterator_traitsISK_E10value_typeET2_T3_PNSL_ISQ_E10value_typeET4_jRbjT5_SW_jjP12ihipStream_tbEUlT_E0_NS1_11comp_targetILNS1_3genE3ELNS1_11target_archE908ELNS1_3gpuE7ELNS1_3repE0EEENS1_60segmented_radix_sort_warp_sort_medium_config_static_selectorELNS0_4arch9wavefront6targetE0EEEvSK_.kd
    .uniform_work_group_size: 1
    .uses_dynamic_stack: false
    .vgpr_count:     0
    .vgpr_spill_count: 0
    .wavefront_size: 32
    .workgroup_processor_mode: 1
  - .args:
      - .offset:         0
        .size:           88
        .value_kind:     by_value
    .group_segment_fixed_size: 0
    .kernarg_segment_align: 8
    .kernarg_segment_size: 88
    .language:       OpenCL C
    .language_version:
      - 2
      - 0
    .max_flat_workgroup_size: 256
    .name:           _ZN7rocprim17ROCPRIM_400000_NS6detail17trampoline_kernelINS0_14default_configENS1_36segmented_radix_sort_config_selectorIflEEZNS1_25segmented_radix_sort_implIS3_Lb1EPKfPfPKlPlN2at6native12_GLOBAL__N_18offset_tEEE10hipError_tPvRmT1_PNSt15iterator_traitsISK_E10value_typeET2_T3_PNSL_ISQ_E10value_typeET4_jRbjT5_SW_jjP12ihipStream_tbEUlT_E0_NS1_11comp_targetILNS1_3genE2ELNS1_11target_archE906ELNS1_3gpuE6ELNS1_3repE0EEENS1_60segmented_radix_sort_warp_sort_medium_config_static_selectorELNS0_4arch9wavefront6targetE0EEEvSK_
    .private_segment_fixed_size: 0
    .sgpr_count:     0
    .sgpr_spill_count: 0
    .symbol:         _ZN7rocprim17ROCPRIM_400000_NS6detail17trampoline_kernelINS0_14default_configENS1_36segmented_radix_sort_config_selectorIflEEZNS1_25segmented_radix_sort_implIS3_Lb1EPKfPfPKlPlN2at6native12_GLOBAL__N_18offset_tEEE10hipError_tPvRmT1_PNSt15iterator_traitsISK_E10value_typeET2_T3_PNSL_ISQ_E10value_typeET4_jRbjT5_SW_jjP12ihipStream_tbEUlT_E0_NS1_11comp_targetILNS1_3genE2ELNS1_11target_archE906ELNS1_3gpuE6ELNS1_3repE0EEENS1_60segmented_radix_sort_warp_sort_medium_config_static_selectorELNS0_4arch9wavefront6targetE0EEEvSK_.kd
    .uniform_work_group_size: 1
    .uses_dynamic_stack: false
    .vgpr_count:     0
    .vgpr_spill_count: 0
    .wavefront_size: 32
    .workgroup_processor_mode: 1
  - .args:
      - .offset:         0
        .size:           88
        .value_kind:     by_value
    .group_segment_fixed_size: 0
    .kernarg_segment_align: 8
    .kernarg_segment_size: 88
    .language:       OpenCL C
    .language_version:
      - 2
      - 0
    .max_flat_workgroup_size: 256
    .name:           _ZN7rocprim17ROCPRIM_400000_NS6detail17trampoline_kernelINS0_14default_configENS1_36segmented_radix_sort_config_selectorIflEEZNS1_25segmented_radix_sort_implIS3_Lb1EPKfPfPKlPlN2at6native12_GLOBAL__N_18offset_tEEE10hipError_tPvRmT1_PNSt15iterator_traitsISK_E10value_typeET2_T3_PNSL_ISQ_E10value_typeET4_jRbjT5_SW_jjP12ihipStream_tbEUlT_E0_NS1_11comp_targetILNS1_3genE10ELNS1_11target_archE1201ELNS1_3gpuE5ELNS1_3repE0EEENS1_60segmented_radix_sort_warp_sort_medium_config_static_selectorELNS0_4arch9wavefront6targetE0EEEvSK_
    .private_segment_fixed_size: 0
    .sgpr_count:     0
    .sgpr_spill_count: 0
    .symbol:         _ZN7rocprim17ROCPRIM_400000_NS6detail17trampoline_kernelINS0_14default_configENS1_36segmented_radix_sort_config_selectorIflEEZNS1_25segmented_radix_sort_implIS3_Lb1EPKfPfPKlPlN2at6native12_GLOBAL__N_18offset_tEEE10hipError_tPvRmT1_PNSt15iterator_traitsISK_E10value_typeET2_T3_PNSL_ISQ_E10value_typeET4_jRbjT5_SW_jjP12ihipStream_tbEUlT_E0_NS1_11comp_targetILNS1_3genE10ELNS1_11target_archE1201ELNS1_3gpuE5ELNS1_3repE0EEENS1_60segmented_radix_sort_warp_sort_medium_config_static_selectorELNS0_4arch9wavefront6targetE0EEEvSK_.kd
    .uniform_work_group_size: 1
    .uses_dynamic_stack: false
    .vgpr_count:     0
    .vgpr_spill_count: 0
    .wavefront_size: 32
    .workgroup_processor_mode: 1
  - .args:
      - .offset:         0
        .size:           88
        .value_kind:     by_value
    .group_segment_fixed_size: 0
    .kernarg_segment_align: 8
    .kernarg_segment_size: 88
    .language:       OpenCL C
    .language_version:
      - 2
      - 0
    .max_flat_workgroup_size: 256
    .name:           _ZN7rocprim17ROCPRIM_400000_NS6detail17trampoline_kernelINS0_14default_configENS1_36segmented_radix_sort_config_selectorIflEEZNS1_25segmented_radix_sort_implIS3_Lb1EPKfPfPKlPlN2at6native12_GLOBAL__N_18offset_tEEE10hipError_tPvRmT1_PNSt15iterator_traitsISK_E10value_typeET2_T3_PNSL_ISQ_E10value_typeET4_jRbjT5_SW_jjP12ihipStream_tbEUlT_E0_NS1_11comp_targetILNS1_3genE10ELNS1_11target_archE1200ELNS1_3gpuE4ELNS1_3repE0EEENS1_60segmented_radix_sort_warp_sort_medium_config_static_selectorELNS0_4arch9wavefront6targetE0EEEvSK_
    .private_segment_fixed_size: 0
    .sgpr_count:     0
    .sgpr_spill_count: 0
    .symbol:         _ZN7rocprim17ROCPRIM_400000_NS6detail17trampoline_kernelINS0_14default_configENS1_36segmented_radix_sort_config_selectorIflEEZNS1_25segmented_radix_sort_implIS3_Lb1EPKfPfPKlPlN2at6native12_GLOBAL__N_18offset_tEEE10hipError_tPvRmT1_PNSt15iterator_traitsISK_E10value_typeET2_T3_PNSL_ISQ_E10value_typeET4_jRbjT5_SW_jjP12ihipStream_tbEUlT_E0_NS1_11comp_targetILNS1_3genE10ELNS1_11target_archE1200ELNS1_3gpuE4ELNS1_3repE0EEENS1_60segmented_radix_sort_warp_sort_medium_config_static_selectorELNS0_4arch9wavefront6targetE0EEEvSK_.kd
    .uniform_work_group_size: 1
    .uses_dynamic_stack: false
    .vgpr_count:     0
    .vgpr_spill_count: 0
    .wavefront_size: 32
    .workgroup_processor_mode: 1
  - .args:
      - .offset:         0
        .size:           88
        .value_kind:     by_value
      - .offset:         88
        .size:           4
        .value_kind:     hidden_block_count_x
      - .offset:         92
        .size:           4
        .value_kind:     hidden_block_count_y
      - .offset:         96
        .size:           4
        .value_kind:     hidden_block_count_z
      - .offset:         100
        .size:           2
        .value_kind:     hidden_group_size_x
      - .offset:         102
        .size:           2
        .value_kind:     hidden_group_size_y
      - .offset:         104
        .size:           2
        .value_kind:     hidden_group_size_z
      - .offset:         106
        .size:           2
        .value_kind:     hidden_remainder_x
      - .offset:         108
        .size:           2
        .value_kind:     hidden_remainder_y
      - .offset:         110
        .size:           2
        .value_kind:     hidden_remainder_z
      - .offset:         128
        .size:           8
        .value_kind:     hidden_global_offset_x
      - .offset:         136
        .size:           8
        .value_kind:     hidden_global_offset_y
      - .offset:         144
        .size:           8
        .value_kind:     hidden_global_offset_z
      - .offset:         152
        .size:           2
        .value_kind:     hidden_grid_dims
    .group_segment_fixed_size: 24576
    .kernarg_segment_align: 8
    .kernarg_segment_size: 344
    .language:       OpenCL C
    .language_version:
      - 2
      - 0
    .max_flat_workgroup_size: 256
    .name:           _ZN7rocprim17ROCPRIM_400000_NS6detail17trampoline_kernelINS0_14default_configENS1_36segmented_radix_sort_config_selectorIflEEZNS1_25segmented_radix_sort_implIS3_Lb1EPKfPfPKlPlN2at6native12_GLOBAL__N_18offset_tEEE10hipError_tPvRmT1_PNSt15iterator_traitsISK_E10value_typeET2_T3_PNSL_ISQ_E10value_typeET4_jRbjT5_SW_jjP12ihipStream_tbEUlT_E0_NS1_11comp_targetILNS1_3genE9ELNS1_11target_archE1100ELNS1_3gpuE3ELNS1_3repE0EEENS1_60segmented_radix_sort_warp_sort_medium_config_static_selectorELNS0_4arch9wavefront6targetE0EEEvSK_
    .private_segment_fixed_size: 0
    .sgpr_count:     42
    .sgpr_spill_count: 0
    .symbol:         _ZN7rocprim17ROCPRIM_400000_NS6detail17trampoline_kernelINS0_14default_configENS1_36segmented_radix_sort_config_selectorIflEEZNS1_25segmented_radix_sort_implIS3_Lb1EPKfPfPKlPlN2at6native12_GLOBAL__N_18offset_tEEE10hipError_tPvRmT1_PNSt15iterator_traitsISK_E10value_typeET2_T3_PNSL_ISQ_E10value_typeET4_jRbjT5_SW_jjP12ihipStream_tbEUlT_E0_NS1_11comp_targetILNS1_3genE9ELNS1_11target_archE1100ELNS1_3gpuE3ELNS1_3repE0EEENS1_60segmented_radix_sort_warp_sort_medium_config_static_selectorELNS0_4arch9wavefront6targetE0EEEvSK_.kd
    .uniform_work_group_size: 1
    .uses_dynamic_stack: false
    .vgpr_count:     88
    .vgpr_spill_count: 0
    .wavefront_size: 32
    .workgroup_processor_mode: 1
  - .args:
      - .offset:         0
        .size:           88
        .value_kind:     by_value
    .group_segment_fixed_size: 0
    .kernarg_segment_align: 8
    .kernarg_segment_size: 88
    .language:       OpenCL C
    .language_version:
      - 2
      - 0
    .max_flat_workgroup_size: 256
    .name:           _ZN7rocprim17ROCPRIM_400000_NS6detail17trampoline_kernelINS0_14default_configENS1_36segmented_radix_sort_config_selectorIflEEZNS1_25segmented_radix_sort_implIS3_Lb1EPKfPfPKlPlN2at6native12_GLOBAL__N_18offset_tEEE10hipError_tPvRmT1_PNSt15iterator_traitsISK_E10value_typeET2_T3_PNSL_ISQ_E10value_typeET4_jRbjT5_SW_jjP12ihipStream_tbEUlT_E0_NS1_11comp_targetILNS1_3genE8ELNS1_11target_archE1030ELNS1_3gpuE2ELNS1_3repE0EEENS1_60segmented_radix_sort_warp_sort_medium_config_static_selectorELNS0_4arch9wavefront6targetE0EEEvSK_
    .private_segment_fixed_size: 0
    .sgpr_count:     0
    .sgpr_spill_count: 0
    .symbol:         _ZN7rocprim17ROCPRIM_400000_NS6detail17trampoline_kernelINS0_14default_configENS1_36segmented_radix_sort_config_selectorIflEEZNS1_25segmented_radix_sort_implIS3_Lb1EPKfPfPKlPlN2at6native12_GLOBAL__N_18offset_tEEE10hipError_tPvRmT1_PNSt15iterator_traitsISK_E10value_typeET2_T3_PNSL_ISQ_E10value_typeET4_jRbjT5_SW_jjP12ihipStream_tbEUlT_E0_NS1_11comp_targetILNS1_3genE8ELNS1_11target_archE1030ELNS1_3gpuE2ELNS1_3repE0EEENS1_60segmented_radix_sort_warp_sort_medium_config_static_selectorELNS0_4arch9wavefront6targetE0EEEvSK_.kd
    .uniform_work_group_size: 1
    .uses_dynamic_stack: false
    .vgpr_count:     0
    .vgpr_spill_count: 0
    .wavefront_size: 32
    .workgroup_processor_mode: 1
  - .args:
      - .offset:         0
        .size:           88
        .value_kind:     by_value
    .group_segment_fixed_size: 0
    .kernarg_segment_align: 8
    .kernarg_segment_size: 88
    .language:       OpenCL C
    .language_version:
      - 2
      - 0
    .max_flat_workgroup_size: 256
    .name:           _ZN7rocprim17ROCPRIM_400000_NS6detail17trampoline_kernelINS0_14default_configENS1_36segmented_radix_sort_config_selectorIflEEZNS1_25segmented_radix_sort_implIS3_Lb1EPKfPfPKlPlN2at6native12_GLOBAL__N_18offset_tEEE10hipError_tPvRmT1_PNSt15iterator_traitsISK_E10value_typeET2_T3_PNSL_ISQ_E10value_typeET4_jRbjT5_SW_jjP12ihipStream_tbEUlT_E1_NS1_11comp_targetILNS1_3genE0ELNS1_11target_archE4294967295ELNS1_3gpuE0ELNS1_3repE0EEENS1_59segmented_radix_sort_warp_sort_small_config_static_selectorELNS0_4arch9wavefront6targetE0EEEvSK_
    .private_segment_fixed_size: 0
    .sgpr_count:     0
    .sgpr_spill_count: 0
    .symbol:         _ZN7rocprim17ROCPRIM_400000_NS6detail17trampoline_kernelINS0_14default_configENS1_36segmented_radix_sort_config_selectorIflEEZNS1_25segmented_radix_sort_implIS3_Lb1EPKfPfPKlPlN2at6native12_GLOBAL__N_18offset_tEEE10hipError_tPvRmT1_PNSt15iterator_traitsISK_E10value_typeET2_T3_PNSL_ISQ_E10value_typeET4_jRbjT5_SW_jjP12ihipStream_tbEUlT_E1_NS1_11comp_targetILNS1_3genE0ELNS1_11target_archE4294967295ELNS1_3gpuE0ELNS1_3repE0EEENS1_59segmented_radix_sort_warp_sort_small_config_static_selectorELNS0_4arch9wavefront6targetE0EEEvSK_.kd
    .uniform_work_group_size: 1
    .uses_dynamic_stack: false
    .vgpr_count:     0
    .vgpr_spill_count: 0
    .wavefront_size: 32
    .workgroup_processor_mode: 1
  - .args:
      - .offset:         0
        .size:           88
        .value_kind:     by_value
    .group_segment_fixed_size: 0
    .kernarg_segment_align: 8
    .kernarg_segment_size: 88
    .language:       OpenCL C
    .language_version:
      - 2
      - 0
    .max_flat_workgroup_size: 256
    .name:           _ZN7rocprim17ROCPRIM_400000_NS6detail17trampoline_kernelINS0_14default_configENS1_36segmented_radix_sort_config_selectorIflEEZNS1_25segmented_radix_sort_implIS3_Lb1EPKfPfPKlPlN2at6native12_GLOBAL__N_18offset_tEEE10hipError_tPvRmT1_PNSt15iterator_traitsISK_E10value_typeET2_T3_PNSL_ISQ_E10value_typeET4_jRbjT5_SW_jjP12ihipStream_tbEUlT_E1_NS1_11comp_targetILNS1_3genE5ELNS1_11target_archE942ELNS1_3gpuE9ELNS1_3repE0EEENS1_59segmented_radix_sort_warp_sort_small_config_static_selectorELNS0_4arch9wavefront6targetE0EEEvSK_
    .private_segment_fixed_size: 0
    .sgpr_count:     0
    .sgpr_spill_count: 0
    .symbol:         _ZN7rocprim17ROCPRIM_400000_NS6detail17trampoline_kernelINS0_14default_configENS1_36segmented_radix_sort_config_selectorIflEEZNS1_25segmented_radix_sort_implIS3_Lb1EPKfPfPKlPlN2at6native12_GLOBAL__N_18offset_tEEE10hipError_tPvRmT1_PNSt15iterator_traitsISK_E10value_typeET2_T3_PNSL_ISQ_E10value_typeET4_jRbjT5_SW_jjP12ihipStream_tbEUlT_E1_NS1_11comp_targetILNS1_3genE5ELNS1_11target_archE942ELNS1_3gpuE9ELNS1_3repE0EEENS1_59segmented_radix_sort_warp_sort_small_config_static_selectorELNS0_4arch9wavefront6targetE0EEEvSK_.kd
    .uniform_work_group_size: 1
    .uses_dynamic_stack: false
    .vgpr_count:     0
    .vgpr_spill_count: 0
    .wavefront_size: 32
    .workgroup_processor_mode: 1
  - .args:
      - .offset:         0
        .size:           88
        .value_kind:     by_value
    .group_segment_fixed_size: 0
    .kernarg_segment_align: 8
    .kernarg_segment_size: 88
    .language:       OpenCL C
    .language_version:
      - 2
      - 0
    .max_flat_workgroup_size: 256
    .name:           _ZN7rocprim17ROCPRIM_400000_NS6detail17trampoline_kernelINS0_14default_configENS1_36segmented_radix_sort_config_selectorIflEEZNS1_25segmented_radix_sort_implIS3_Lb1EPKfPfPKlPlN2at6native12_GLOBAL__N_18offset_tEEE10hipError_tPvRmT1_PNSt15iterator_traitsISK_E10value_typeET2_T3_PNSL_ISQ_E10value_typeET4_jRbjT5_SW_jjP12ihipStream_tbEUlT_E1_NS1_11comp_targetILNS1_3genE4ELNS1_11target_archE910ELNS1_3gpuE8ELNS1_3repE0EEENS1_59segmented_radix_sort_warp_sort_small_config_static_selectorELNS0_4arch9wavefront6targetE0EEEvSK_
    .private_segment_fixed_size: 0
    .sgpr_count:     0
    .sgpr_spill_count: 0
    .symbol:         _ZN7rocprim17ROCPRIM_400000_NS6detail17trampoline_kernelINS0_14default_configENS1_36segmented_radix_sort_config_selectorIflEEZNS1_25segmented_radix_sort_implIS3_Lb1EPKfPfPKlPlN2at6native12_GLOBAL__N_18offset_tEEE10hipError_tPvRmT1_PNSt15iterator_traitsISK_E10value_typeET2_T3_PNSL_ISQ_E10value_typeET4_jRbjT5_SW_jjP12ihipStream_tbEUlT_E1_NS1_11comp_targetILNS1_3genE4ELNS1_11target_archE910ELNS1_3gpuE8ELNS1_3repE0EEENS1_59segmented_radix_sort_warp_sort_small_config_static_selectorELNS0_4arch9wavefront6targetE0EEEvSK_.kd
    .uniform_work_group_size: 1
    .uses_dynamic_stack: false
    .vgpr_count:     0
    .vgpr_spill_count: 0
    .wavefront_size: 32
    .workgroup_processor_mode: 1
  - .args:
      - .offset:         0
        .size:           88
        .value_kind:     by_value
    .group_segment_fixed_size: 0
    .kernarg_segment_align: 8
    .kernarg_segment_size: 88
    .language:       OpenCL C
    .language_version:
      - 2
      - 0
    .max_flat_workgroup_size: 256
    .name:           _ZN7rocprim17ROCPRIM_400000_NS6detail17trampoline_kernelINS0_14default_configENS1_36segmented_radix_sort_config_selectorIflEEZNS1_25segmented_radix_sort_implIS3_Lb1EPKfPfPKlPlN2at6native12_GLOBAL__N_18offset_tEEE10hipError_tPvRmT1_PNSt15iterator_traitsISK_E10value_typeET2_T3_PNSL_ISQ_E10value_typeET4_jRbjT5_SW_jjP12ihipStream_tbEUlT_E1_NS1_11comp_targetILNS1_3genE3ELNS1_11target_archE908ELNS1_3gpuE7ELNS1_3repE0EEENS1_59segmented_radix_sort_warp_sort_small_config_static_selectorELNS0_4arch9wavefront6targetE0EEEvSK_
    .private_segment_fixed_size: 0
    .sgpr_count:     0
    .sgpr_spill_count: 0
    .symbol:         _ZN7rocprim17ROCPRIM_400000_NS6detail17trampoline_kernelINS0_14default_configENS1_36segmented_radix_sort_config_selectorIflEEZNS1_25segmented_radix_sort_implIS3_Lb1EPKfPfPKlPlN2at6native12_GLOBAL__N_18offset_tEEE10hipError_tPvRmT1_PNSt15iterator_traitsISK_E10value_typeET2_T3_PNSL_ISQ_E10value_typeET4_jRbjT5_SW_jjP12ihipStream_tbEUlT_E1_NS1_11comp_targetILNS1_3genE3ELNS1_11target_archE908ELNS1_3gpuE7ELNS1_3repE0EEENS1_59segmented_radix_sort_warp_sort_small_config_static_selectorELNS0_4arch9wavefront6targetE0EEEvSK_.kd
    .uniform_work_group_size: 1
    .uses_dynamic_stack: false
    .vgpr_count:     0
    .vgpr_spill_count: 0
    .wavefront_size: 32
    .workgroup_processor_mode: 1
  - .args:
      - .offset:         0
        .size:           88
        .value_kind:     by_value
    .group_segment_fixed_size: 0
    .kernarg_segment_align: 8
    .kernarg_segment_size: 88
    .language:       OpenCL C
    .language_version:
      - 2
      - 0
    .max_flat_workgroup_size: 256
    .name:           _ZN7rocprim17ROCPRIM_400000_NS6detail17trampoline_kernelINS0_14default_configENS1_36segmented_radix_sort_config_selectorIflEEZNS1_25segmented_radix_sort_implIS3_Lb1EPKfPfPKlPlN2at6native12_GLOBAL__N_18offset_tEEE10hipError_tPvRmT1_PNSt15iterator_traitsISK_E10value_typeET2_T3_PNSL_ISQ_E10value_typeET4_jRbjT5_SW_jjP12ihipStream_tbEUlT_E1_NS1_11comp_targetILNS1_3genE2ELNS1_11target_archE906ELNS1_3gpuE6ELNS1_3repE0EEENS1_59segmented_radix_sort_warp_sort_small_config_static_selectorELNS0_4arch9wavefront6targetE0EEEvSK_
    .private_segment_fixed_size: 0
    .sgpr_count:     0
    .sgpr_spill_count: 0
    .symbol:         _ZN7rocprim17ROCPRIM_400000_NS6detail17trampoline_kernelINS0_14default_configENS1_36segmented_radix_sort_config_selectorIflEEZNS1_25segmented_radix_sort_implIS3_Lb1EPKfPfPKlPlN2at6native12_GLOBAL__N_18offset_tEEE10hipError_tPvRmT1_PNSt15iterator_traitsISK_E10value_typeET2_T3_PNSL_ISQ_E10value_typeET4_jRbjT5_SW_jjP12ihipStream_tbEUlT_E1_NS1_11comp_targetILNS1_3genE2ELNS1_11target_archE906ELNS1_3gpuE6ELNS1_3repE0EEENS1_59segmented_radix_sort_warp_sort_small_config_static_selectorELNS0_4arch9wavefront6targetE0EEEvSK_.kd
    .uniform_work_group_size: 1
    .uses_dynamic_stack: false
    .vgpr_count:     0
    .vgpr_spill_count: 0
    .wavefront_size: 32
    .workgroup_processor_mode: 1
  - .args:
      - .offset:         0
        .size:           88
        .value_kind:     by_value
    .group_segment_fixed_size: 0
    .kernarg_segment_align: 8
    .kernarg_segment_size: 88
    .language:       OpenCL C
    .language_version:
      - 2
      - 0
    .max_flat_workgroup_size: 256
    .name:           _ZN7rocprim17ROCPRIM_400000_NS6detail17trampoline_kernelINS0_14default_configENS1_36segmented_radix_sort_config_selectorIflEEZNS1_25segmented_radix_sort_implIS3_Lb1EPKfPfPKlPlN2at6native12_GLOBAL__N_18offset_tEEE10hipError_tPvRmT1_PNSt15iterator_traitsISK_E10value_typeET2_T3_PNSL_ISQ_E10value_typeET4_jRbjT5_SW_jjP12ihipStream_tbEUlT_E1_NS1_11comp_targetILNS1_3genE10ELNS1_11target_archE1201ELNS1_3gpuE5ELNS1_3repE0EEENS1_59segmented_radix_sort_warp_sort_small_config_static_selectorELNS0_4arch9wavefront6targetE0EEEvSK_
    .private_segment_fixed_size: 0
    .sgpr_count:     0
    .sgpr_spill_count: 0
    .symbol:         _ZN7rocprim17ROCPRIM_400000_NS6detail17trampoline_kernelINS0_14default_configENS1_36segmented_radix_sort_config_selectorIflEEZNS1_25segmented_radix_sort_implIS3_Lb1EPKfPfPKlPlN2at6native12_GLOBAL__N_18offset_tEEE10hipError_tPvRmT1_PNSt15iterator_traitsISK_E10value_typeET2_T3_PNSL_ISQ_E10value_typeET4_jRbjT5_SW_jjP12ihipStream_tbEUlT_E1_NS1_11comp_targetILNS1_3genE10ELNS1_11target_archE1201ELNS1_3gpuE5ELNS1_3repE0EEENS1_59segmented_radix_sort_warp_sort_small_config_static_selectorELNS0_4arch9wavefront6targetE0EEEvSK_.kd
    .uniform_work_group_size: 1
    .uses_dynamic_stack: false
    .vgpr_count:     0
    .vgpr_spill_count: 0
    .wavefront_size: 32
    .workgroup_processor_mode: 1
  - .args:
      - .offset:         0
        .size:           88
        .value_kind:     by_value
    .group_segment_fixed_size: 0
    .kernarg_segment_align: 8
    .kernarg_segment_size: 88
    .language:       OpenCL C
    .language_version:
      - 2
      - 0
    .max_flat_workgroup_size: 256
    .name:           _ZN7rocprim17ROCPRIM_400000_NS6detail17trampoline_kernelINS0_14default_configENS1_36segmented_radix_sort_config_selectorIflEEZNS1_25segmented_radix_sort_implIS3_Lb1EPKfPfPKlPlN2at6native12_GLOBAL__N_18offset_tEEE10hipError_tPvRmT1_PNSt15iterator_traitsISK_E10value_typeET2_T3_PNSL_ISQ_E10value_typeET4_jRbjT5_SW_jjP12ihipStream_tbEUlT_E1_NS1_11comp_targetILNS1_3genE10ELNS1_11target_archE1200ELNS1_3gpuE4ELNS1_3repE0EEENS1_59segmented_radix_sort_warp_sort_small_config_static_selectorELNS0_4arch9wavefront6targetE0EEEvSK_
    .private_segment_fixed_size: 0
    .sgpr_count:     0
    .sgpr_spill_count: 0
    .symbol:         _ZN7rocprim17ROCPRIM_400000_NS6detail17trampoline_kernelINS0_14default_configENS1_36segmented_radix_sort_config_selectorIflEEZNS1_25segmented_radix_sort_implIS3_Lb1EPKfPfPKlPlN2at6native12_GLOBAL__N_18offset_tEEE10hipError_tPvRmT1_PNSt15iterator_traitsISK_E10value_typeET2_T3_PNSL_ISQ_E10value_typeET4_jRbjT5_SW_jjP12ihipStream_tbEUlT_E1_NS1_11comp_targetILNS1_3genE10ELNS1_11target_archE1200ELNS1_3gpuE4ELNS1_3repE0EEENS1_59segmented_radix_sort_warp_sort_small_config_static_selectorELNS0_4arch9wavefront6targetE0EEEvSK_.kd
    .uniform_work_group_size: 1
    .uses_dynamic_stack: false
    .vgpr_count:     0
    .vgpr_spill_count: 0
    .wavefront_size: 32
    .workgroup_processor_mode: 1
  - .args:
      - .offset:         0
        .size:           88
        .value_kind:     by_value
      - .offset:         88
        .size:           4
        .value_kind:     hidden_block_count_x
      - .offset:         92
        .size:           4
        .value_kind:     hidden_block_count_y
      - .offset:         96
        .size:           4
        .value_kind:     hidden_block_count_z
      - .offset:         100
        .size:           2
        .value_kind:     hidden_group_size_x
      - .offset:         102
        .size:           2
        .value_kind:     hidden_group_size_y
      - .offset:         104
        .size:           2
        .value_kind:     hidden_group_size_z
      - .offset:         106
        .size:           2
        .value_kind:     hidden_remainder_x
      - .offset:         108
        .size:           2
        .value_kind:     hidden_remainder_y
      - .offset:         110
        .size:           2
        .value_kind:     hidden_remainder_z
      - .offset:         128
        .size:           8
        .value_kind:     hidden_global_offset_x
      - .offset:         136
        .size:           8
        .value_kind:     hidden_global_offset_y
      - .offset:         144
        .size:           8
        .value_kind:     hidden_global_offset_z
      - .offset:         152
        .size:           2
        .value_kind:     hidden_grid_dims
    .group_segment_fixed_size: 12288
    .kernarg_segment_align: 8
    .kernarg_segment_size: 344
    .language:       OpenCL C
    .language_version:
      - 2
      - 0
    .max_flat_workgroup_size: 256
    .name:           _ZN7rocprim17ROCPRIM_400000_NS6detail17trampoline_kernelINS0_14default_configENS1_36segmented_radix_sort_config_selectorIflEEZNS1_25segmented_radix_sort_implIS3_Lb1EPKfPfPKlPlN2at6native12_GLOBAL__N_18offset_tEEE10hipError_tPvRmT1_PNSt15iterator_traitsISK_E10value_typeET2_T3_PNSL_ISQ_E10value_typeET4_jRbjT5_SW_jjP12ihipStream_tbEUlT_E1_NS1_11comp_targetILNS1_3genE9ELNS1_11target_archE1100ELNS1_3gpuE3ELNS1_3repE0EEENS1_59segmented_radix_sort_warp_sort_small_config_static_selectorELNS0_4arch9wavefront6targetE0EEEvSK_
    .private_segment_fixed_size: 0
    .sgpr_count:     35
    .sgpr_spill_count: 0
    .symbol:         _ZN7rocprim17ROCPRIM_400000_NS6detail17trampoline_kernelINS0_14default_configENS1_36segmented_radix_sort_config_selectorIflEEZNS1_25segmented_radix_sort_implIS3_Lb1EPKfPfPKlPlN2at6native12_GLOBAL__N_18offset_tEEE10hipError_tPvRmT1_PNSt15iterator_traitsISK_E10value_typeET2_T3_PNSL_ISQ_E10value_typeET4_jRbjT5_SW_jjP12ihipStream_tbEUlT_E1_NS1_11comp_targetILNS1_3genE9ELNS1_11target_archE1100ELNS1_3gpuE3ELNS1_3repE0EEENS1_59segmented_radix_sort_warp_sort_small_config_static_selectorELNS0_4arch9wavefront6targetE0EEEvSK_.kd
    .uniform_work_group_size: 1
    .uses_dynamic_stack: false
    .vgpr_count:     83
    .vgpr_spill_count: 0
    .wavefront_size: 32
    .workgroup_processor_mode: 1
  - .args:
      - .offset:         0
        .size:           88
        .value_kind:     by_value
    .group_segment_fixed_size: 0
    .kernarg_segment_align: 8
    .kernarg_segment_size: 88
    .language:       OpenCL C
    .language_version:
      - 2
      - 0
    .max_flat_workgroup_size: 256
    .name:           _ZN7rocprim17ROCPRIM_400000_NS6detail17trampoline_kernelINS0_14default_configENS1_36segmented_radix_sort_config_selectorIflEEZNS1_25segmented_radix_sort_implIS3_Lb1EPKfPfPKlPlN2at6native12_GLOBAL__N_18offset_tEEE10hipError_tPvRmT1_PNSt15iterator_traitsISK_E10value_typeET2_T3_PNSL_ISQ_E10value_typeET4_jRbjT5_SW_jjP12ihipStream_tbEUlT_E1_NS1_11comp_targetILNS1_3genE8ELNS1_11target_archE1030ELNS1_3gpuE2ELNS1_3repE0EEENS1_59segmented_radix_sort_warp_sort_small_config_static_selectorELNS0_4arch9wavefront6targetE0EEEvSK_
    .private_segment_fixed_size: 0
    .sgpr_count:     0
    .sgpr_spill_count: 0
    .symbol:         _ZN7rocprim17ROCPRIM_400000_NS6detail17trampoline_kernelINS0_14default_configENS1_36segmented_radix_sort_config_selectorIflEEZNS1_25segmented_radix_sort_implIS3_Lb1EPKfPfPKlPlN2at6native12_GLOBAL__N_18offset_tEEE10hipError_tPvRmT1_PNSt15iterator_traitsISK_E10value_typeET2_T3_PNSL_ISQ_E10value_typeET4_jRbjT5_SW_jjP12ihipStream_tbEUlT_E1_NS1_11comp_targetILNS1_3genE8ELNS1_11target_archE1030ELNS1_3gpuE2ELNS1_3repE0EEENS1_59segmented_radix_sort_warp_sort_small_config_static_selectorELNS0_4arch9wavefront6targetE0EEEvSK_.kd
    .uniform_work_group_size: 1
    .uses_dynamic_stack: false
    .vgpr_count:     0
    .vgpr_spill_count: 0
    .wavefront_size: 32
    .workgroup_processor_mode: 1
  - .args:
      - .offset:         0
        .size:           80
        .value_kind:     by_value
    .group_segment_fixed_size: 0
    .kernarg_segment_align: 8
    .kernarg_segment_size: 80
    .language:       OpenCL C
    .language_version:
      - 2
      - 0
    .max_flat_workgroup_size: 256
    .name:           _ZN7rocprim17ROCPRIM_400000_NS6detail17trampoline_kernelINS0_14default_configENS1_36segmented_radix_sort_config_selectorIflEEZNS1_25segmented_radix_sort_implIS3_Lb1EPKfPfPKlPlN2at6native12_GLOBAL__N_18offset_tEEE10hipError_tPvRmT1_PNSt15iterator_traitsISK_E10value_typeET2_T3_PNSL_ISQ_E10value_typeET4_jRbjT5_SW_jjP12ihipStream_tbEUlT_E2_NS1_11comp_targetILNS1_3genE0ELNS1_11target_archE4294967295ELNS1_3gpuE0ELNS1_3repE0EEENS1_30default_config_static_selectorELNS0_4arch9wavefront6targetE0EEEvSK_
    .private_segment_fixed_size: 0
    .sgpr_count:     0
    .sgpr_spill_count: 0
    .symbol:         _ZN7rocprim17ROCPRIM_400000_NS6detail17trampoline_kernelINS0_14default_configENS1_36segmented_radix_sort_config_selectorIflEEZNS1_25segmented_radix_sort_implIS3_Lb1EPKfPfPKlPlN2at6native12_GLOBAL__N_18offset_tEEE10hipError_tPvRmT1_PNSt15iterator_traitsISK_E10value_typeET2_T3_PNSL_ISQ_E10value_typeET4_jRbjT5_SW_jjP12ihipStream_tbEUlT_E2_NS1_11comp_targetILNS1_3genE0ELNS1_11target_archE4294967295ELNS1_3gpuE0ELNS1_3repE0EEENS1_30default_config_static_selectorELNS0_4arch9wavefront6targetE0EEEvSK_.kd
    .uniform_work_group_size: 1
    .uses_dynamic_stack: false
    .vgpr_count:     0
    .vgpr_spill_count: 0
    .wavefront_size: 32
    .workgroup_processor_mode: 1
  - .args:
      - .offset:         0
        .size:           80
        .value_kind:     by_value
    .group_segment_fixed_size: 0
    .kernarg_segment_align: 8
    .kernarg_segment_size: 80
    .language:       OpenCL C
    .language_version:
      - 2
      - 0
    .max_flat_workgroup_size: 256
    .name:           _ZN7rocprim17ROCPRIM_400000_NS6detail17trampoline_kernelINS0_14default_configENS1_36segmented_radix_sort_config_selectorIflEEZNS1_25segmented_radix_sort_implIS3_Lb1EPKfPfPKlPlN2at6native12_GLOBAL__N_18offset_tEEE10hipError_tPvRmT1_PNSt15iterator_traitsISK_E10value_typeET2_T3_PNSL_ISQ_E10value_typeET4_jRbjT5_SW_jjP12ihipStream_tbEUlT_E2_NS1_11comp_targetILNS1_3genE5ELNS1_11target_archE942ELNS1_3gpuE9ELNS1_3repE0EEENS1_30default_config_static_selectorELNS0_4arch9wavefront6targetE0EEEvSK_
    .private_segment_fixed_size: 0
    .sgpr_count:     0
    .sgpr_spill_count: 0
    .symbol:         _ZN7rocprim17ROCPRIM_400000_NS6detail17trampoline_kernelINS0_14default_configENS1_36segmented_radix_sort_config_selectorIflEEZNS1_25segmented_radix_sort_implIS3_Lb1EPKfPfPKlPlN2at6native12_GLOBAL__N_18offset_tEEE10hipError_tPvRmT1_PNSt15iterator_traitsISK_E10value_typeET2_T3_PNSL_ISQ_E10value_typeET4_jRbjT5_SW_jjP12ihipStream_tbEUlT_E2_NS1_11comp_targetILNS1_3genE5ELNS1_11target_archE942ELNS1_3gpuE9ELNS1_3repE0EEENS1_30default_config_static_selectorELNS0_4arch9wavefront6targetE0EEEvSK_.kd
    .uniform_work_group_size: 1
    .uses_dynamic_stack: false
    .vgpr_count:     0
    .vgpr_spill_count: 0
    .wavefront_size: 32
    .workgroup_processor_mode: 1
  - .args:
      - .offset:         0
        .size:           80
        .value_kind:     by_value
    .group_segment_fixed_size: 0
    .kernarg_segment_align: 8
    .kernarg_segment_size: 80
    .language:       OpenCL C
    .language_version:
      - 2
      - 0
    .max_flat_workgroup_size: 256
    .name:           _ZN7rocprim17ROCPRIM_400000_NS6detail17trampoline_kernelINS0_14default_configENS1_36segmented_radix_sort_config_selectorIflEEZNS1_25segmented_radix_sort_implIS3_Lb1EPKfPfPKlPlN2at6native12_GLOBAL__N_18offset_tEEE10hipError_tPvRmT1_PNSt15iterator_traitsISK_E10value_typeET2_T3_PNSL_ISQ_E10value_typeET4_jRbjT5_SW_jjP12ihipStream_tbEUlT_E2_NS1_11comp_targetILNS1_3genE4ELNS1_11target_archE910ELNS1_3gpuE8ELNS1_3repE0EEENS1_30default_config_static_selectorELNS0_4arch9wavefront6targetE0EEEvSK_
    .private_segment_fixed_size: 0
    .sgpr_count:     0
    .sgpr_spill_count: 0
    .symbol:         _ZN7rocprim17ROCPRIM_400000_NS6detail17trampoline_kernelINS0_14default_configENS1_36segmented_radix_sort_config_selectorIflEEZNS1_25segmented_radix_sort_implIS3_Lb1EPKfPfPKlPlN2at6native12_GLOBAL__N_18offset_tEEE10hipError_tPvRmT1_PNSt15iterator_traitsISK_E10value_typeET2_T3_PNSL_ISQ_E10value_typeET4_jRbjT5_SW_jjP12ihipStream_tbEUlT_E2_NS1_11comp_targetILNS1_3genE4ELNS1_11target_archE910ELNS1_3gpuE8ELNS1_3repE0EEENS1_30default_config_static_selectorELNS0_4arch9wavefront6targetE0EEEvSK_.kd
    .uniform_work_group_size: 1
    .uses_dynamic_stack: false
    .vgpr_count:     0
    .vgpr_spill_count: 0
    .wavefront_size: 32
    .workgroup_processor_mode: 1
  - .args:
      - .offset:         0
        .size:           80
        .value_kind:     by_value
    .group_segment_fixed_size: 0
    .kernarg_segment_align: 8
    .kernarg_segment_size: 80
    .language:       OpenCL C
    .language_version:
      - 2
      - 0
    .max_flat_workgroup_size: 256
    .name:           _ZN7rocprim17ROCPRIM_400000_NS6detail17trampoline_kernelINS0_14default_configENS1_36segmented_radix_sort_config_selectorIflEEZNS1_25segmented_radix_sort_implIS3_Lb1EPKfPfPKlPlN2at6native12_GLOBAL__N_18offset_tEEE10hipError_tPvRmT1_PNSt15iterator_traitsISK_E10value_typeET2_T3_PNSL_ISQ_E10value_typeET4_jRbjT5_SW_jjP12ihipStream_tbEUlT_E2_NS1_11comp_targetILNS1_3genE3ELNS1_11target_archE908ELNS1_3gpuE7ELNS1_3repE0EEENS1_30default_config_static_selectorELNS0_4arch9wavefront6targetE0EEEvSK_
    .private_segment_fixed_size: 0
    .sgpr_count:     0
    .sgpr_spill_count: 0
    .symbol:         _ZN7rocprim17ROCPRIM_400000_NS6detail17trampoline_kernelINS0_14default_configENS1_36segmented_radix_sort_config_selectorIflEEZNS1_25segmented_radix_sort_implIS3_Lb1EPKfPfPKlPlN2at6native12_GLOBAL__N_18offset_tEEE10hipError_tPvRmT1_PNSt15iterator_traitsISK_E10value_typeET2_T3_PNSL_ISQ_E10value_typeET4_jRbjT5_SW_jjP12ihipStream_tbEUlT_E2_NS1_11comp_targetILNS1_3genE3ELNS1_11target_archE908ELNS1_3gpuE7ELNS1_3repE0EEENS1_30default_config_static_selectorELNS0_4arch9wavefront6targetE0EEEvSK_.kd
    .uniform_work_group_size: 1
    .uses_dynamic_stack: false
    .vgpr_count:     0
    .vgpr_spill_count: 0
    .wavefront_size: 32
    .workgroup_processor_mode: 1
  - .args:
      - .offset:         0
        .size:           80
        .value_kind:     by_value
    .group_segment_fixed_size: 0
    .kernarg_segment_align: 8
    .kernarg_segment_size: 80
    .language:       OpenCL C
    .language_version:
      - 2
      - 0
    .max_flat_workgroup_size: 256
    .name:           _ZN7rocprim17ROCPRIM_400000_NS6detail17trampoline_kernelINS0_14default_configENS1_36segmented_radix_sort_config_selectorIflEEZNS1_25segmented_radix_sort_implIS3_Lb1EPKfPfPKlPlN2at6native12_GLOBAL__N_18offset_tEEE10hipError_tPvRmT1_PNSt15iterator_traitsISK_E10value_typeET2_T3_PNSL_ISQ_E10value_typeET4_jRbjT5_SW_jjP12ihipStream_tbEUlT_E2_NS1_11comp_targetILNS1_3genE2ELNS1_11target_archE906ELNS1_3gpuE6ELNS1_3repE0EEENS1_30default_config_static_selectorELNS0_4arch9wavefront6targetE0EEEvSK_
    .private_segment_fixed_size: 0
    .sgpr_count:     0
    .sgpr_spill_count: 0
    .symbol:         _ZN7rocprim17ROCPRIM_400000_NS6detail17trampoline_kernelINS0_14default_configENS1_36segmented_radix_sort_config_selectorIflEEZNS1_25segmented_radix_sort_implIS3_Lb1EPKfPfPKlPlN2at6native12_GLOBAL__N_18offset_tEEE10hipError_tPvRmT1_PNSt15iterator_traitsISK_E10value_typeET2_T3_PNSL_ISQ_E10value_typeET4_jRbjT5_SW_jjP12ihipStream_tbEUlT_E2_NS1_11comp_targetILNS1_3genE2ELNS1_11target_archE906ELNS1_3gpuE6ELNS1_3repE0EEENS1_30default_config_static_selectorELNS0_4arch9wavefront6targetE0EEEvSK_.kd
    .uniform_work_group_size: 1
    .uses_dynamic_stack: false
    .vgpr_count:     0
    .vgpr_spill_count: 0
    .wavefront_size: 32
    .workgroup_processor_mode: 1
  - .args:
      - .offset:         0
        .size:           80
        .value_kind:     by_value
    .group_segment_fixed_size: 0
    .kernarg_segment_align: 8
    .kernarg_segment_size: 80
    .language:       OpenCL C
    .language_version:
      - 2
      - 0
    .max_flat_workgroup_size: 256
    .name:           _ZN7rocprim17ROCPRIM_400000_NS6detail17trampoline_kernelINS0_14default_configENS1_36segmented_radix_sort_config_selectorIflEEZNS1_25segmented_radix_sort_implIS3_Lb1EPKfPfPKlPlN2at6native12_GLOBAL__N_18offset_tEEE10hipError_tPvRmT1_PNSt15iterator_traitsISK_E10value_typeET2_T3_PNSL_ISQ_E10value_typeET4_jRbjT5_SW_jjP12ihipStream_tbEUlT_E2_NS1_11comp_targetILNS1_3genE10ELNS1_11target_archE1201ELNS1_3gpuE5ELNS1_3repE0EEENS1_30default_config_static_selectorELNS0_4arch9wavefront6targetE0EEEvSK_
    .private_segment_fixed_size: 0
    .sgpr_count:     0
    .sgpr_spill_count: 0
    .symbol:         _ZN7rocprim17ROCPRIM_400000_NS6detail17trampoline_kernelINS0_14default_configENS1_36segmented_radix_sort_config_selectorIflEEZNS1_25segmented_radix_sort_implIS3_Lb1EPKfPfPKlPlN2at6native12_GLOBAL__N_18offset_tEEE10hipError_tPvRmT1_PNSt15iterator_traitsISK_E10value_typeET2_T3_PNSL_ISQ_E10value_typeET4_jRbjT5_SW_jjP12ihipStream_tbEUlT_E2_NS1_11comp_targetILNS1_3genE10ELNS1_11target_archE1201ELNS1_3gpuE5ELNS1_3repE0EEENS1_30default_config_static_selectorELNS0_4arch9wavefront6targetE0EEEvSK_.kd
    .uniform_work_group_size: 1
    .uses_dynamic_stack: false
    .vgpr_count:     0
    .vgpr_spill_count: 0
    .wavefront_size: 32
    .workgroup_processor_mode: 1
  - .args:
      - .offset:         0
        .size:           80
        .value_kind:     by_value
    .group_segment_fixed_size: 0
    .kernarg_segment_align: 8
    .kernarg_segment_size: 80
    .language:       OpenCL C
    .language_version:
      - 2
      - 0
    .max_flat_workgroup_size: 128
    .name:           _ZN7rocprim17ROCPRIM_400000_NS6detail17trampoline_kernelINS0_14default_configENS1_36segmented_radix_sort_config_selectorIflEEZNS1_25segmented_radix_sort_implIS3_Lb1EPKfPfPKlPlN2at6native12_GLOBAL__N_18offset_tEEE10hipError_tPvRmT1_PNSt15iterator_traitsISK_E10value_typeET2_T3_PNSL_ISQ_E10value_typeET4_jRbjT5_SW_jjP12ihipStream_tbEUlT_E2_NS1_11comp_targetILNS1_3genE10ELNS1_11target_archE1200ELNS1_3gpuE4ELNS1_3repE0EEENS1_30default_config_static_selectorELNS0_4arch9wavefront6targetE0EEEvSK_
    .private_segment_fixed_size: 0
    .sgpr_count:     0
    .sgpr_spill_count: 0
    .symbol:         _ZN7rocprim17ROCPRIM_400000_NS6detail17trampoline_kernelINS0_14default_configENS1_36segmented_radix_sort_config_selectorIflEEZNS1_25segmented_radix_sort_implIS3_Lb1EPKfPfPKlPlN2at6native12_GLOBAL__N_18offset_tEEE10hipError_tPvRmT1_PNSt15iterator_traitsISK_E10value_typeET2_T3_PNSL_ISQ_E10value_typeET4_jRbjT5_SW_jjP12ihipStream_tbEUlT_E2_NS1_11comp_targetILNS1_3genE10ELNS1_11target_archE1200ELNS1_3gpuE4ELNS1_3repE0EEENS1_30default_config_static_selectorELNS0_4arch9wavefront6targetE0EEEvSK_.kd
    .uniform_work_group_size: 1
    .uses_dynamic_stack: false
    .vgpr_count:     0
    .vgpr_spill_count: 0
    .wavefront_size: 32
    .workgroup_processor_mode: 1
  - .args:
      - .offset:         0
        .size:           80
        .value_kind:     by_value
      - .offset:         80
        .size:           4
        .value_kind:     hidden_block_count_x
      - .offset:         84
        .size:           4
        .value_kind:     hidden_block_count_y
      - .offset:         88
        .size:           4
        .value_kind:     hidden_block_count_z
      - .offset:         92
        .size:           2
        .value_kind:     hidden_group_size_x
      - .offset:         94
        .size:           2
        .value_kind:     hidden_group_size_y
      - .offset:         96
        .size:           2
        .value_kind:     hidden_group_size_z
      - .offset:         98
        .size:           2
        .value_kind:     hidden_remainder_x
      - .offset:         100
        .size:           2
        .value_kind:     hidden_remainder_y
      - .offset:         102
        .size:           2
        .value_kind:     hidden_remainder_z
      - .offset:         120
        .size:           8
        .value_kind:     hidden_global_offset_x
      - .offset:         128
        .size:           8
        .value_kind:     hidden_global_offset_y
      - .offset:         136
        .size:           8
        .value_kind:     hidden_global_offset_z
      - .offset:         144
        .size:           2
        .value_kind:     hidden_grid_dims
    .group_segment_fixed_size: 17440
    .kernarg_segment_align: 8
    .kernarg_segment_size: 336
    .language:       OpenCL C
    .language_version:
      - 2
      - 0
    .max_flat_workgroup_size: 256
    .name:           _ZN7rocprim17ROCPRIM_400000_NS6detail17trampoline_kernelINS0_14default_configENS1_36segmented_radix_sort_config_selectorIflEEZNS1_25segmented_radix_sort_implIS3_Lb1EPKfPfPKlPlN2at6native12_GLOBAL__N_18offset_tEEE10hipError_tPvRmT1_PNSt15iterator_traitsISK_E10value_typeET2_T3_PNSL_ISQ_E10value_typeET4_jRbjT5_SW_jjP12ihipStream_tbEUlT_E2_NS1_11comp_targetILNS1_3genE9ELNS1_11target_archE1100ELNS1_3gpuE3ELNS1_3repE0EEENS1_30default_config_static_selectorELNS0_4arch9wavefront6targetE0EEEvSK_
    .private_segment_fixed_size: 8
    .sgpr_count:     62
    .sgpr_spill_count: 0
    .symbol:         _ZN7rocprim17ROCPRIM_400000_NS6detail17trampoline_kernelINS0_14default_configENS1_36segmented_radix_sort_config_selectorIflEEZNS1_25segmented_radix_sort_implIS3_Lb1EPKfPfPKlPlN2at6native12_GLOBAL__N_18offset_tEEE10hipError_tPvRmT1_PNSt15iterator_traitsISK_E10value_typeET2_T3_PNSL_ISQ_E10value_typeET4_jRbjT5_SW_jjP12ihipStream_tbEUlT_E2_NS1_11comp_targetILNS1_3genE9ELNS1_11target_archE1100ELNS1_3gpuE3ELNS1_3repE0EEENS1_30default_config_static_selectorELNS0_4arch9wavefront6targetE0EEEvSK_.kd
    .uniform_work_group_size: 1
    .uses_dynamic_stack: false
    .vgpr_count:     209
    .vgpr_spill_count: 0
    .wavefront_size: 32
    .workgroup_processor_mode: 1
  - .args:
      - .offset:         0
        .size:           80
        .value_kind:     by_value
    .group_segment_fixed_size: 0
    .kernarg_segment_align: 8
    .kernarg_segment_size: 80
    .language:       OpenCL C
    .language_version:
      - 2
      - 0
    .max_flat_workgroup_size: 256
    .name:           _ZN7rocprim17ROCPRIM_400000_NS6detail17trampoline_kernelINS0_14default_configENS1_36segmented_radix_sort_config_selectorIflEEZNS1_25segmented_radix_sort_implIS3_Lb1EPKfPfPKlPlN2at6native12_GLOBAL__N_18offset_tEEE10hipError_tPvRmT1_PNSt15iterator_traitsISK_E10value_typeET2_T3_PNSL_ISQ_E10value_typeET4_jRbjT5_SW_jjP12ihipStream_tbEUlT_E2_NS1_11comp_targetILNS1_3genE8ELNS1_11target_archE1030ELNS1_3gpuE2ELNS1_3repE0EEENS1_30default_config_static_selectorELNS0_4arch9wavefront6targetE0EEEvSK_
    .private_segment_fixed_size: 0
    .sgpr_count:     0
    .sgpr_spill_count: 0
    .symbol:         _ZN7rocprim17ROCPRIM_400000_NS6detail17trampoline_kernelINS0_14default_configENS1_36segmented_radix_sort_config_selectorIflEEZNS1_25segmented_radix_sort_implIS3_Lb1EPKfPfPKlPlN2at6native12_GLOBAL__N_18offset_tEEE10hipError_tPvRmT1_PNSt15iterator_traitsISK_E10value_typeET2_T3_PNSL_ISQ_E10value_typeET4_jRbjT5_SW_jjP12ihipStream_tbEUlT_E2_NS1_11comp_targetILNS1_3genE8ELNS1_11target_archE1030ELNS1_3gpuE2ELNS1_3repE0EEENS1_30default_config_static_selectorELNS0_4arch9wavefront6targetE0EEEvSK_.kd
    .uniform_work_group_size: 1
    .uses_dynamic_stack: false
    .vgpr_count:     0
    .vgpr_spill_count: 0
    .wavefront_size: 32
    .workgroup_processor_mode: 1
  - .args:
      - .offset:         0
        .size:           176
        .value_kind:     by_value
    .group_segment_fixed_size: 0
    .kernarg_segment_align: 8
    .kernarg_segment_size: 176
    .language:       OpenCL C
    .language_version:
      - 2
      - 0
    .max_flat_workgroup_size: 256
    .name:           _ZN7rocprim17ROCPRIM_400000_NS6detail17trampoline_kernelINS0_13select_configILj256ELj13ELNS0_17block_load_methodE3ELS4_3ELS4_3ELNS0_20block_scan_algorithmE0ELj4294967295EEENS1_25partition_config_selectorILNS1_17partition_subalgoE4EjNS0_10empty_typeEbEEZZNS1_14partition_implILS8_4ELb0ES6_15HIP_vector_typeIjLj2EENS0_17counting_iteratorIjlEEPS9_SG_NS0_5tupleIJPjSI_NS0_16reverse_iteratorISI_EEEEENSH_IJSG_SG_SG_EEES9_SI_JZNS1_25segmented_radix_sort_implINS0_14default_configELb0EPKfPfPKlPlN2at6native12_GLOBAL__N_18offset_tEEE10hipError_tPvRmT1_PNSt15iterator_traitsIS12_E10value_typeET2_T3_PNS13_IS18_E10value_typeET4_jRbjT5_S1E_jjP12ihipStream_tbEUljE_ZNSN_ISO_Lb0ESQ_SR_ST_SU_SY_EESZ_S10_S11_S12_S16_S17_S18_S1B_S1C_jS1D_jS1E_S1E_jjS1G_bEUljE0_EEESZ_S10_S11_S18_S1C_S1E_T6_T7_T9_mT8_S1G_bDpT10_ENKUlT_T0_E_clISt17integral_constantIbLb0EES1U_EEDaS1P_S1Q_EUlS1P_E_NS1_11comp_targetILNS1_3genE0ELNS1_11target_archE4294967295ELNS1_3gpuE0ELNS1_3repE0EEENS1_30default_config_static_selectorELNS0_4arch9wavefront6targetE0EEEvS12_
    .private_segment_fixed_size: 0
    .sgpr_count:     0
    .sgpr_spill_count: 0
    .symbol:         _ZN7rocprim17ROCPRIM_400000_NS6detail17trampoline_kernelINS0_13select_configILj256ELj13ELNS0_17block_load_methodE3ELS4_3ELS4_3ELNS0_20block_scan_algorithmE0ELj4294967295EEENS1_25partition_config_selectorILNS1_17partition_subalgoE4EjNS0_10empty_typeEbEEZZNS1_14partition_implILS8_4ELb0ES6_15HIP_vector_typeIjLj2EENS0_17counting_iteratorIjlEEPS9_SG_NS0_5tupleIJPjSI_NS0_16reverse_iteratorISI_EEEEENSH_IJSG_SG_SG_EEES9_SI_JZNS1_25segmented_radix_sort_implINS0_14default_configELb0EPKfPfPKlPlN2at6native12_GLOBAL__N_18offset_tEEE10hipError_tPvRmT1_PNSt15iterator_traitsIS12_E10value_typeET2_T3_PNS13_IS18_E10value_typeET4_jRbjT5_S1E_jjP12ihipStream_tbEUljE_ZNSN_ISO_Lb0ESQ_SR_ST_SU_SY_EESZ_S10_S11_S12_S16_S17_S18_S1B_S1C_jS1D_jS1E_S1E_jjS1G_bEUljE0_EEESZ_S10_S11_S18_S1C_S1E_T6_T7_T9_mT8_S1G_bDpT10_ENKUlT_T0_E_clISt17integral_constantIbLb0EES1U_EEDaS1P_S1Q_EUlS1P_E_NS1_11comp_targetILNS1_3genE0ELNS1_11target_archE4294967295ELNS1_3gpuE0ELNS1_3repE0EEENS1_30default_config_static_selectorELNS0_4arch9wavefront6targetE0EEEvS12_.kd
    .uniform_work_group_size: 1
    .uses_dynamic_stack: false
    .vgpr_count:     0
    .vgpr_spill_count: 0
    .wavefront_size: 32
    .workgroup_processor_mode: 1
  - .args:
      - .offset:         0
        .size:           176
        .value_kind:     by_value
    .group_segment_fixed_size: 0
    .kernarg_segment_align: 8
    .kernarg_segment_size: 176
    .language:       OpenCL C
    .language_version:
      - 2
      - 0
    .max_flat_workgroup_size: 256
    .name:           _ZN7rocprim17ROCPRIM_400000_NS6detail17trampoline_kernelINS0_13select_configILj256ELj13ELNS0_17block_load_methodE3ELS4_3ELS4_3ELNS0_20block_scan_algorithmE0ELj4294967295EEENS1_25partition_config_selectorILNS1_17partition_subalgoE4EjNS0_10empty_typeEbEEZZNS1_14partition_implILS8_4ELb0ES6_15HIP_vector_typeIjLj2EENS0_17counting_iteratorIjlEEPS9_SG_NS0_5tupleIJPjSI_NS0_16reverse_iteratorISI_EEEEENSH_IJSG_SG_SG_EEES9_SI_JZNS1_25segmented_radix_sort_implINS0_14default_configELb0EPKfPfPKlPlN2at6native12_GLOBAL__N_18offset_tEEE10hipError_tPvRmT1_PNSt15iterator_traitsIS12_E10value_typeET2_T3_PNS13_IS18_E10value_typeET4_jRbjT5_S1E_jjP12ihipStream_tbEUljE_ZNSN_ISO_Lb0ESQ_SR_ST_SU_SY_EESZ_S10_S11_S12_S16_S17_S18_S1B_S1C_jS1D_jS1E_S1E_jjS1G_bEUljE0_EEESZ_S10_S11_S18_S1C_S1E_T6_T7_T9_mT8_S1G_bDpT10_ENKUlT_T0_E_clISt17integral_constantIbLb0EES1U_EEDaS1P_S1Q_EUlS1P_E_NS1_11comp_targetILNS1_3genE5ELNS1_11target_archE942ELNS1_3gpuE9ELNS1_3repE0EEENS1_30default_config_static_selectorELNS0_4arch9wavefront6targetE0EEEvS12_
    .private_segment_fixed_size: 0
    .sgpr_count:     0
    .sgpr_spill_count: 0
    .symbol:         _ZN7rocprim17ROCPRIM_400000_NS6detail17trampoline_kernelINS0_13select_configILj256ELj13ELNS0_17block_load_methodE3ELS4_3ELS4_3ELNS0_20block_scan_algorithmE0ELj4294967295EEENS1_25partition_config_selectorILNS1_17partition_subalgoE4EjNS0_10empty_typeEbEEZZNS1_14partition_implILS8_4ELb0ES6_15HIP_vector_typeIjLj2EENS0_17counting_iteratorIjlEEPS9_SG_NS0_5tupleIJPjSI_NS0_16reverse_iteratorISI_EEEEENSH_IJSG_SG_SG_EEES9_SI_JZNS1_25segmented_radix_sort_implINS0_14default_configELb0EPKfPfPKlPlN2at6native12_GLOBAL__N_18offset_tEEE10hipError_tPvRmT1_PNSt15iterator_traitsIS12_E10value_typeET2_T3_PNS13_IS18_E10value_typeET4_jRbjT5_S1E_jjP12ihipStream_tbEUljE_ZNSN_ISO_Lb0ESQ_SR_ST_SU_SY_EESZ_S10_S11_S12_S16_S17_S18_S1B_S1C_jS1D_jS1E_S1E_jjS1G_bEUljE0_EEESZ_S10_S11_S18_S1C_S1E_T6_T7_T9_mT8_S1G_bDpT10_ENKUlT_T0_E_clISt17integral_constantIbLb0EES1U_EEDaS1P_S1Q_EUlS1P_E_NS1_11comp_targetILNS1_3genE5ELNS1_11target_archE942ELNS1_3gpuE9ELNS1_3repE0EEENS1_30default_config_static_selectorELNS0_4arch9wavefront6targetE0EEEvS12_.kd
    .uniform_work_group_size: 1
    .uses_dynamic_stack: false
    .vgpr_count:     0
    .vgpr_spill_count: 0
    .wavefront_size: 32
    .workgroup_processor_mode: 1
  - .args:
      - .offset:         0
        .size:           176
        .value_kind:     by_value
    .group_segment_fixed_size: 0
    .kernarg_segment_align: 8
    .kernarg_segment_size: 176
    .language:       OpenCL C
    .language_version:
      - 2
      - 0
    .max_flat_workgroup_size: 256
    .name:           _ZN7rocprim17ROCPRIM_400000_NS6detail17trampoline_kernelINS0_13select_configILj256ELj13ELNS0_17block_load_methodE3ELS4_3ELS4_3ELNS0_20block_scan_algorithmE0ELj4294967295EEENS1_25partition_config_selectorILNS1_17partition_subalgoE4EjNS0_10empty_typeEbEEZZNS1_14partition_implILS8_4ELb0ES6_15HIP_vector_typeIjLj2EENS0_17counting_iteratorIjlEEPS9_SG_NS0_5tupleIJPjSI_NS0_16reverse_iteratorISI_EEEEENSH_IJSG_SG_SG_EEES9_SI_JZNS1_25segmented_radix_sort_implINS0_14default_configELb0EPKfPfPKlPlN2at6native12_GLOBAL__N_18offset_tEEE10hipError_tPvRmT1_PNSt15iterator_traitsIS12_E10value_typeET2_T3_PNS13_IS18_E10value_typeET4_jRbjT5_S1E_jjP12ihipStream_tbEUljE_ZNSN_ISO_Lb0ESQ_SR_ST_SU_SY_EESZ_S10_S11_S12_S16_S17_S18_S1B_S1C_jS1D_jS1E_S1E_jjS1G_bEUljE0_EEESZ_S10_S11_S18_S1C_S1E_T6_T7_T9_mT8_S1G_bDpT10_ENKUlT_T0_E_clISt17integral_constantIbLb0EES1U_EEDaS1P_S1Q_EUlS1P_E_NS1_11comp_targetILNS1_3genE4ELNS1_11target_archE910ELNS1_3gpuE8ELNS1_3repE0EEENS1_30default_config_static_selectorELNS0_4arch9wavefront6targetE0EEEvS12_
    .private_segment_fixed_size: 0
    .sgpr_count:     0
    .sgpr_spill_count: 0
    .symbol:         _ZN7rocprim17ROCPRIM_400000_NS6detail17trampoline_kernelINS0_13select_configILj256ELj13ELNS0_17block_load_methodE3ELS4_3ELS4_3ELNS0_20block_scan_algorithmE0ELj4294967295EEENS1_25partition_config_selectorILNS1_17partition_subalgoE4EjNS0_10empty_typeEbEEZZNS1_14partition_implILS8_4ELb0ES6_15HIP_vector_typeIjLj2EENS0_17counting_iteratorIjlEEPS9_SG_NS0_5tupleIJPjSI_NS0_16reverse_iteratorISI_EEEEENSH_IJSG_SG_SG_EEES9_SI_JZNS1_25segmented_radix_sort_implINS0_14default_configELb0EPKfPfPKlPlN2at6native12_GLOBAL__N_18offset_tEEE10hipError_tPvRmT1_PNSt15iterator_traitsIS12_E10value_typeET2_T3_PNS13_IS18_E10value_typeET4_jRbjT5_S1E_jjP12ihipStream_tbEUljE_ZNSN_ISO_Lb0ESQ_SR_ST_SU_SY_EESZ_S10_S11_S12_S16_S17_S18_S1B_S1C_jS1D_jS1E_S1E_jjS1G_bEUljE0_EEESZ_S10_S11_S18_S1C_S1E_T6_T7_T9_mT8_S1G_bDpT10_ENKUlT_T0_E_clISt17integral_constantIbLb0EES1U_EEDaS1P_S1Q_EUlS1P_E_NS1_11comp_targetILNS1_3genE4ELNS1_11target_archE910ELNS1_3gpuE8ELNS1_3repE0EEENS1_30default_config_static_selectorELNS0_4arch9wavefront6targetE0EEEvS12_.kd
    .uniform_work_group_size: 1
    .uses_dynamic_stack: false
    .vgpr_count:     0
    .vgpr_spill_count: 0
    .wavefront_size: 32
    .workgroup_processor_mode: 1
  - .args:
      - .offset:         0
        .size:           176
        .value_kind:     by_value
    .group_segment_fixed_size: 0
    .kernarg_segment_align: 8
    .kernarg_segment_size: 176
    .language:       OpenCL C
    .language_version:
      - 2
      - 0
    .max_flat_workgroup_size: 256
    .name:           _ZN7rocprim17ROCPRIM_400000_NS6detail17trampoline_kernelINS0_13select_configILj256ELj13ELNS0_17block_load_methodE3ELS4_3ELS4_3ELNS0_20block_scan_algorithmE0ELj4294967295EEENS1_25partition_config_selectorILNS1_17partition_subalgoE4EjNS0_10empty_typeEbEEZZNS1_14partition_implILS8_4ELb0ES6_15HIP_vector_typeIjLj2EENS0_17counting_iteratorIjlEEPS9_SG_NS0_5tupleIJPjSI_NS0_16reverse_iteratorISI_EEEEENSH_IJSG_SG_SG_EEES9_SI_JZNS1_25segmented_radix_sort_implINS0_14default_configELb0EPKfPfPKlPlN2at6native12_GLOBAL__N_18offset_tEEE10hipError_tPvRmT1_PNSt15iterator_traitsIS12_E10value_typeET2_T3_PNS13_IS18_E10value_typeET4_jRbjT5_S1E_jjP12ihipStream_tbEUljE_ZNSN_ISO_Lb0ESQ_SR_ST_SU_SY_EESZ_S10_S11_S12_S16_S17_S18_S1B_S1C_jS1D_jS1E_S1E_jjS1G_bEUljE0_EEESZ_S10_S11_S18_S1C_S1E_T6_T7_T9_mT8_S1G_bDpT10_ENKUlT_T0_E_clISt17integral_constantIbLb0EES1U_EEDaS1P_S1Q_EUlS1P_E_NS1_11comp_targetILNS1_3genE3ELNS1_11target_archE908ELNS1_3gpuE7ELNS1_3repE0EEENS1_30default_config_static_selectorELNS0_4arch9wavefront6targetE0EEEvS12_
    .private_segment_fixed_size: 0
    .sgpr_count:     0
    .sgpr_spill_count: 0
    .symbol:         _ZN7rocprim17ROCPRIM_400000_NS6detail17trampoline_kernelINS0_13select_configILj256ELj13ELNS0_17block_load_methodE3ELS4_3ELS4_3ELNS0_20block_scan_algorithmE0ELj4294967295EEENS1_25partition_config_selectorILNS1_17partition_subalgoE4EjNS0_10empty_typeEbEEZZNS1_14partition_implILS8_4ELb0ES6_15HIP_vector_typeIjLj2EENS0_17counting_iteratorIjlEEPS9_SG_NS0_5tupleIJPjSI_NS0_16reverse_iteratorISI_EEEEENSH_IJSG_SG_SG_EEES9_SI_JZNS1_25segmented_radix_sort_implINS0_14default_configELb0EPKfPfPKlPlN2at6native12_GLOBAL__N_18offset_tEEE10hipError_tPvRmT1_PNSt15iterator_traitsIS12_E10value_typeET2_T3_PNS13_IS18_E10value_typeET4_jRbjT5_S1E_jjP12ihipStream_tbEUljE_ZNSN_ISO_Lb0ESQ_SR_ST_SU_SY_EESZ_S10_S11_S12_S16_S17_S18_S1B_S1C_jS1D_jS1E_S1E_jjS1G_bEUljE0_EEESZ_S10_S11_S18_S1C_S1E_T6_T7_T9_mT8_S1G_bDpT10_ENKUlT_T0_E_clISt17integral_constantIbLb0EES1U_EEDaS1P_S1Q_EUlS1P_E_NS1_11comp_targetILNS1_3genE3ELNS1_11target_archE908ELNS1_3gpuE7ELNS1_3repE0EEENS1_30default_config_static_selectorELNS0_4arch9wavefront6targetE0EEEvS12_.kd
    .uniform_work_group_size: 1
    .uses_dynamic_stack: false
    .vgpr_count:     0
    .vgpr_spill_count: 0
    .wavefront_size: 32
    .workgroup_processor_mode: 1
  - .args:
      - .offset:         0
        .size:           176
        .value_kind:     by_value
    .group_segment_fixed_size: 0
    .kernarg_segment_align: 8
    .kernarg_segment_size: 176
    .language:       OpenCL C
    .language_version:
      - 2
      - 0
    .max_flat_workgroup_size: 256
    .name:           _ZN7rocprim17ROCPRIM_400000_NS6detail17trampoline_kernelINS0_13select_configILj256ELj13ELNS0_17block_load_methodE3ELS4_3ELS4_3ELNS0_20block_scan_algorithmE0ELj4294967295EEENS1_25partition_config_selectorILNS1_17partition_subalgoE4EjNS0_10empty_typeEbEEZZNS1_14partition_implILS8_4ELb0ES6_15HIP_vector_typeIjLj2EENS0_17counting_iteratorIjlEEPS9_SG_NS0_5tupleIJPjSI_NS0_16reverse_iteratorISI_EEEEENSH_IJSG_SG_SG_EEES9_SI_JZNS1_25segmented_radix_sort_implINS0_14default_configELb0EPKfPfPKlPlN2at6native12_GLOBAL__N_18offset_tEEE10hipError_tPvRmT1_PNSt15iterator_traitsIS12_E10value_typeET2_T3_PNS13_IS18_E10value_typeET4_jRbjT5_S1E_jjP12ihipStream_tbEUljE_ZNSN_ISO_Lb0ESQ_SR_ST_SU_SY_EESZ_S10_S11_S12_S16_S17_S18_S1B_S1C_jS1D_jS1E_S1E_jjS1G_bEUljE0_EEESZ_S10_S11_S18_S1C_S1E_T6_T7_T9_mT8_S1G_bDpT10_ENKUlT_T0_E_clISt17integral_constantIbLb0EES1U_EEDaS1P_S1Q_EUlS1P_E_NS1_11comp_targetILNS1_3genE2ELNS1_11target_archE906ELNS1_3gpuE6ELNS1_3repE0EEENS1_30default_config_static_selectorELNS0_4arch9wavefront6targetE0EEEvS12_
    .private_segment_fixed_size: 0
    .sgpr_count:     0
    .sgpr_spill_count: 0
    .symbol:         _ZN7rocprim17ROCPRIM_400000_NS6detail17trampoline_kernelINS0_13select_configILj256ELj13ELNS0_17block_load_methodE3ELS4_3ELS4_3ELNS0_20block_scan_algorithmE0ELj4294967295EEENS1_25partition_config_selectorILNS1_17partition_subalgoE4EjNS0_10empty_typeEbEEZZNS1_14partition_implILS8_4ELb0ES6_15HIP_vector_typeIjLj2EENS0_17counting_iteratorIjlEEPS9_SG_NS0_5tupleIJPjSI_NS0_16reverse_iteratorISI_EEEEENSH_IJSG_SG_SG_EEES9_SI_JZNS1_25segmented_radix_sort_implINS0_14default_configELb0EPKfPfPKlPlN2at6native12_GLOBAL__N_18offset_tEEE10hipError_tPvRmT1_PNSt15iterator_traitsIS12_E10value_typeET2_T3_PNS13_IS18_E10value_typeET4_jRbjT5_S1E_jjP12ihipStream_tbEUljE_ZNSN_ISO_Lb0ESQ_SR_ST_SU_SY_EESZ_S10_S11_S12_S16_S17_S18_S1B_S1C_jS1D_jS1E_S1E_jjS1G_bEUljE0_EEESZ_S10_S11_S18_S1C_S1E_T6_T7_T9_mT8_S1G_bDpT10_ENKUlT_T0_E_clISt17integral_constantIbLb0EES1U_EEDaS1P_S1Q_EUlS1P_E_NS1_11comp_targetILNS1_3genE2ELNS1_11target_archE906ELNS1_3gpuE6ELNS1_3repE0EEENS1_30default_config_static_selectorELNS0_4arch9wavefront6targetE0EEEvS12_.kd
    .uniform_work_group_size: 1
    .uses_dynamic_stack: false
    .vgpr_count:     0
    .vgpr_spill_count: 0
    .wavefront_size: 32
    .workgroup_processor_mode: 1
  - .args:
      - .offset:         0
        .size:           176
        .value_kind:     by_value
    .group_segment_fixed_size: 0
    .kernarg_segment_align: 8
    .kernarg_segment_size: 176
    .language:       OpenCL C
    .language_version:
      - 2
      - 0
    .max_flat_workgroup_size: 256
    .name:           _ZN7rocprim17ROCPRIM_400000_NS6detail17trampoline_kernelINS0_13select_configILj256ELj13ELNS0_17block_load_methodE3ELS4_3ELS4_3ELNS0_20block_scan_algorithmE0ELj4294967295EEENS1_25partition_config_selectorILNS1_17partition_subalgoE4EjNS0_10empty_typeEbEEZZNS1_14partition_implILS8_4ELb0ES6_15HIP_vector_typeIjLj2EENS0_17counting_iteratorIjlEEPS9_SG_NS0_5tupleIJPjSI_NS0_16reverse_iteratorISI_EEEEENSH_IJSG_SG_SG_EEES9_SI_JZNS1_25segmented_radix_sort_implINS0_14default_configELb0EPKfPfPKlPlN2at6native12_GLOBAL__N_18offset_tEEE10hipError_tPvRmT1_PNSt15iterator_traitsIS12_E10value_typeET2_T3_PNS13_IS18_E10value_typeET4_jRbjT5_S1E_jjP12ihipStream_tbEUljE_ZNSN_ISO_Lb0ESQ_SR_ST_SU_SY_EESZ_S10_S11_S12_S16_S17_S18_S1B_S1C_jS1D_jS1E_S1E_jjS1G_bEUljE0_EEESZ_S10_S11_S18_S1C_S1E_T6_T7_T9_mT8_S1G_bDpT10_ENKUlT_T0_E_clISt17integral_constantIbLb0EES1U_EEDaS1P_S1Q_EUlS1P_E_NS1_11comp_targetILNS1_3genE10ELNS1_11target_archE1200ELNS1_3gpuE4ELNS1_3repE0EEENS1_30default_config_static_selectorELNS0_4arch9wavefront6targetE0EEEvS12_
    .private_segment_fixed_size: 0
    .sgpr_count:     0
    .sgpr_spill_count: 0
    .symbol:         _ZN7rocprim17ROCPRIM_400000_NS6detail17trampoline_kernelINS0_13select_configILj256ELj13ELNS0_17block_load_methodE3ELS4_3ELS4_3ELNS0_20block_scan_algorithmE0ELj4294967295EEENS1_25partition_config_selectorILNS1_17partition_subalgoE4EjNS0_10empty_typeEbEEZZNS1_14partition_implILS8_4ELb0ES6_15HIP_vector_typeIjLj2EENS0_17counting_iteratorIjlEEPS9_SG_NS0_5tupleIJPjSI_NS0_16reverse_iteratorISI_EEEEENSH_IJSG_SG_SG_EEES9_SI_JZNS1_25segmented_radix_sort_implINS0_14default_configELb0EPKfPfPKlPlN2at6native12_GLOBAL__N_18offset_tEEE10hipError_tPvRmT1_PNSt15iterator_traitsIS12_E10value_typeET2_T3_PNS13_IS18_E10value_typeET4_jRbjT5_S1E_jjP12ihipStream_tbEUljE_ZNSN_ISO_Lb0ESQ_SR_ST_SU_SY_EESZ_S10_S11_S12_S16_S17_S18_S1B_S1C_jS1D_jS1E_S1E_jjS1G_bEUljE0_EEESZ_S10_S11_S18_S1C_S1E_T6_T7_T9_mT8_S1G_bDpT10_ENKUlT_T0_E_clISt17integral_constantIbLb0EES1U_EEDaS1P_S1Q_EUlS1P_E_NS1_11comp_targetILNS1_3genE10ELNS1_11target_archE1200ELNS1_3gpuE4ELNS1_3repE0EEENS1_30default_config_static_selectorELNS0_4arch9wavefront6targetE0EEEvS12_.kd
    .uniform_work_group_size: 1
    .uses_dynamic_stack: false
    .vgpr_count:     0
    .vgpr_spill_count: 0
    .wavefront_size: 32
    .workgroup_processor_mode: 1
  - .args:
      - .offset:         0
        .size:           176
        .value_kind:     by_value
    .group_segment_fixed_size: 13340
    .kernarg_segment_align: 8
    .kernarg_segment_size: 176
    .language:       OpenCL C
    .language_version:
      - 2
      - 0
    .max_flat_workgroup_size: 256
    .name:           _ZN7rocprim17ROCPRIM_400000_NS6detail17trampoline_kernelINS0_13select_configILj256ELj13ELNS0_17block_load_methodE3ELS4_3ELS4_3ELNS0_20block_scan_algorithmE0ELj4294967295EEENS1_25partition_config_selectorILNS1_17partition_subalgoE4EjNS0_10empty_typeEbEEZZNS1_14partition_implILS8_4ELb0ES6_15HIP_vector_typeIjLj2EENS0_17counting_iteratorIjlEEPS9_SG_NS0_5tupleIJPjSI_NS0_16reverse_iteratorISI_EEEEENSH_IJSG_SG_SG_EEES9_SI_JZNS1_25segmented_radix_sort_implINS0_14default_configELb0EPKfPfPKlPlN2at6native12_GLOBAL__N_18offset_tEEE10hipError_tPvRmT1_PNSt15iterator_traitsIS12_E10value_typeET2_T3_PNS13_IS18_E10value_typeET4_jRbjT5_S1E_jjP12ihipStream_tbEUljE_ZNSN_ISO_Lb0ESQ_SR_ST_SU_SY_EESZ_S10_S11_S12_S16_S17_S18_S1B_S1C_jS1D_jS1E_S1E_jjS1G_bEUljE0_EEESZ_S10_S11_S18_S1C_S1E_T6_T7_T9_mT8_S1G_bDpT10_ENKUlT_T0_E_clISt17integral_constantIbLb0EES1U_EEDaS1P_S1Q_EUlS1P_E_NS1_11comp_targetILNS1_3genE9ELNS1_11target_archE1100ELNS1_3gpuE3ELNS1_3repE0EEENS1_30default_config_static_selectorELNS0_4arch9wavefront6targetE0EEEvS12_
    .private_segment_fixed_size: 0
    .sgpr_count:     61
    .sgpr_spill_count: 0
    .symbol:         _ZN7rocprim17ROCPRIM_400000_NS6detail17trampoline_kernelINS0_13select_configILj256ELj13ELNS0_17block_load_methodE3ELS4_3ELS4_3ELNS0_20block_scan_algorithmE0ELj4294967295EEENS1_25partition_config_selectorILNS1_17partition_subalgoE4EjNS0_10empty_typeEbEEZZNS1_14partition_implILS8_4ELb0ES6_15HIP_vector_typeIjLj2EENS0_17counting_iteratorIjlEEPS9_SG_NS0_5tupleIJPjSI_NS0_16reverse_iteratorISI_EEEEENSH_IJSG_SG_SG_EEES9_SI_JZNS1_25segmented_radix_sort_implINS0_14default_configELb0EPKfPfPKlPlN2at6native12_GLOBAL__N_18offset_tEEE10hipError_tPvRmT1_PNSt15iterator_traitsIS12_E10value_typeET2_T3_PNS13_IS18_E10value_typeET4_jRbjT5_S1E_jjP12ihipStream_tbEUljE_ZNSN_ISO_Lb0ESQ_SR_ST_SU_SY_EESZ_S10_S11_S12_S16_S17_S18_S1B_S1C_jS1D_jS1E_S1E_jjS1G_bEUljE0_EEESZ_S10_S11_S18_S1C_S1E_T6_T7_T9_mT8_S1G_bDpT10_ENKUlT_T0_E_clISt17integral_constantIbLb0EES1U_EEDaS1P_S1Q_EUlS1P_E_NS1_11comp_targetILNS1_3genE9ELNS1_11target_archE1100ELNS1_3gpuE3ELNS1_3repE0EEENS1_30default_config_static_selectorELNS0_4arch9wavefront6targetE0EEEvS12_.kd
    .uniform_work_group_size: 1
    .uses_dynamic_stack: false
    .vgpr_count:     98
    .vgpr_spill_count: 0
    .wavefront_size: 32
    .workgroup_processor_mode: 1
  - .args:
      - .offset:         0
        .size:           176
        .value_kind:     by_value
    .group_segment_fixed_size: 0
    .kernarg_segment_align: 8
    .kernarg_segment_size: 176
    .language:       OpenCL C
    .language_version:
      - 2
      - 0
    .max_flat_workgroup_size: 256
    .name:           _ZN7rocprim17ROCPRIM_400000_NS6detail17trampoline_kernelINS0_13select_configILj256ELj13ELNS0_17block_load_methodE3ELS4_3ELS4_3ELNS0_20block_scan_algorithmE0ELj4294967295EEENS1_25partition_config_selectorILNS1_17partition_subalgoE4EjNS0_10empty_typeEbEEZZNS1_14partition_implILS8_4ELb0ES6_15HIP_vector_typeIjLj2EENS0_17counting_iteratorIjlEEPS9_SG_NS0_5tupleIJPjSI_NS0_16reverse_iteratorISI_EEEEENSH_IJSG_SG_SG_EEES9_SI_JZNS1_25segmented_radix_sort_implINS0_14default_configELb0EPKfPfPKlPlN2at6native12_GLOBAL__N_18offset_tEEE10hipError_tPvRmT1_PNSt15iterator_traitsIS12_E10value_typeET2_T3_PNS13_IS18_E10value_typeET4_jRbjT5_S1E_jjP12ihipStream_tbEUljE_ZNSN_ISO_Lb0ESQ_SR_ST_SU_SY_EESZ_S10_S11_S12_S16_S17_S18_S1B_S1C_jS1D_jS1E_S1E_jjS1G_bEUljE0_EEESZ_S10_S11_S18_S1C_S1E_T6_T7_T9_mT8_S1G_bDpT10_ENKUlT_T0_E_clISt17integral_constantIbLb0EES1U_EEDaS1P_S1Q_EUlS1P_E_NS1_11comp_targetILNS1_3genE8ELNS1_11target_archE1030ELNS1_3gpuE2ELNS1_3repE0EEENS1_30default_config_static_selectorELNS0_4arch9wavefront6targetE0EEEvS12_
    .private_segment_fixed_size: 0
    .sgpr_count:     0
    .sgpr_spill_count: 0
    .symbol:         _ZN7rocprim17ROCPRIM_400000_NS6detail17trampoline_kernelINS0_13select_configILj256ELj13ELNS0_17block_load_methodE3ELS4_3ELS4_3ELNS0_20block_scan_algorithmE0ELj4294967295EEENS1_25partition_config_selectorILNS1_17partition_subalgoE4EjNS0_10empty_typeEbEEZZNS1_14partition_implILS8_4ELb0ES6_15HIP_vector_typeIjLj2EENS0_17counting_iteratorIjlEEPS9_SG_NS0_5tupleIJPjSI_NS0_16reverse_iteratorISI_EEEEENSH_IJSG_SG_SG_EEES9_SI_JZNS1_25segmented_radix_sort_implINS0_14default_configELb0EPKfPfPKlPlN2at6native12_GLOBAL__N_18offset_tEEE10hipError_tPvRmT1_PNSt15iterator_traitsIS12_E10value_typeET2_T3_PNS13_IS18_E10value_typeET4_jRbjT5_S1E_jjP12ihipStream_tbEUljE_ZNSN_ISO_Lb0ESQ_SR_ST_SU_SY_EESZ_S10_S11_S12_S16_S17_S18_S1B_S1C_jS1D_jS1E_S1E_jjS1G_bEUljE0_EEESZ_S10_S11_S18_S1C_S1E_T6_T7_T9_mT8_S1G_bDpT10_ENKUlT_T0_E_clISt17integral_constantIbLb0EES1U_EEDaS1P_S1Q_EUlS1P_E_NS1_11comp_targetILNS1_3genE8ELNS1_11target_archE1030ELNS1_3gpuE2ELNS1_3repE0EEENS1_30default_config_static_selectorELNS0_4arch9wavefront6targetE0EEEvS12_.kd
    .uniform_work_group_size: 1
    .uses_dynamic_stack: false
    .vgpr_count:     0
    .vgpr_spill_count: 0
    .wavefront_size: 32
    .workgroup_processor_mode: 1
  - .args:
      - .offset:         0
        .size:           184
        .value_kind:     by_value
    .group_segment_fixed_size: 0
    .kernarg_segment_align: 8
    .kernarg_segment_size: 184
    .language:       OpenCL C
    .language_version:
      - 2
      - 0
    .max_flat_workgroup_size: 256
    .name:           _ZN7rocprim17ROCPRIM_400000_NS6detail17trampoline_kernelINS0_13select_configILj256ELj13ELNS0_17block_load_methodE3ELS4_3ELS4_3ELNS0_20block_scan_algorithmE0ELj4294967295EEENS1_25partition_config_selectorILNS1_17partition_subalgoE4EjNS0_10empty_typeEbEEZZNS1_14partition_implILS8_4ELb0ES6_15HIP_vector_typeIjLj2EENS0_17counting_iteratorIjlEEPS9_SG_NS0_5tupleIJPjSI_NS0_16reverse_iteratorISI_EEEEENSH_IJSG_SG_SG_EEES9_SI_JZNS1_25segmented_radix_sort_implINS0_14default_configELb0EPKfPfPKlPlN2at6native12_GLOBAL__N_18offset_tEEE10hipError_tPvRmT1_PNSt15iterator_traitsIS12_E10value_typeET2_T3_PNS13_IS18_E10value_typeET4_jRbjT5_S1E_jjP12ihipStream_tbEUljE_ZNSN_ISO_Lb0ESQ_SR_ST_SU_SY_EESZ_S10_S11_S12_S16_S17_S18_S1B_S1C_jS1D_jS1E_S1E_jjS1G_bEUljE0_EEESZ_S10_S11_S18_S1C_S1E_T6_T7_T9_mT8_S1G_bDpT10_ENKUlT_T0_E_clISt17integral_constantIbLb1EES1U_EEDaS1P_S1Q_EUlS1P_E_NS1_11comp_targetILNS1_3genE0ELNS1_11target_archE4294967295ELNS1_3gpuE0ELNS1_3repE0EEENS1_30default_config_static_selectorELNS0_4arch9wavefront6targetE0EEEvS12_
    .private_segment_fixed_size: 0
    .sgpr_count:     0
    .sgpr_spill_count: 0
    .symbol:         _ZN7rocprim17ROCPRIM_400000_NS6detail17trampoline_kernelINS0_13select_configILj256ELj13ELNS0_17block_load_methodE3ELS4_3ELS4_3ELNS0_20block_scan_algorithmE0ELj4294967295EEENS1_25partition_config_selectorILNS1_17partition_subalgoE4EjNS0_10empty_typeEbEEZZNS1_14partition_implILS8_4ELb0ES6_15HIP_vector_typeIjLj2EENS0_17counting_iteratorIjlEEPS9_SG_NS0_5tupleIJPjSI_NS0_16reverse_iteratorISI_EEEEENSH_IJSG_SG_SG_EEES9_SI_JZNS1_25segmented_radix_sort_implINS0_14default_configELb0EPKfPfPKlPlN2at6native12_GLOBAL__N_18offset_tEEE10hipError_tPvRmT1_PNSt15iterator_traitsIS12_E10value_typeET2_T3_PNS13_IS18_E10value_typeET4_jRbjT5_S1E_jjP12ihipStream_tbEUljE_ZNSN_ISO_Lb0ESQ_SR_ST_SU_SY_EESZ_S10_S11_S12_S16_S17_S18_S1B_S1C_jS1D_jS1E_S1E_jjS1G_bEUljE0_EEESZ_S10_S11_S18_S1C_S1E_T6_T7_T9_mT8_S1G_bDpT10_ENKUlT_T0_E_clISt17integral_constantIbLb1EES1U_EEDaS1P_S1Q_EUlS1P_E_NS1_11comp_targetILNS1_3genE0ELNS1_11target_archE4294967295ELNS1_3gpuE0ELNS1_3repE0EEENS1_30default_config_static_selectorELNS0_4arch9wavefront6targetE0EEEvS12_.kd
    .uniform_work_group_size: 1
    .uses_dynamic_stack: false
    .vgpr_count:     0
    .vgpr_spill_count: 0
    .wavefront_size: 32
    .workgroup_processor_mode: 1
  - .args:
      - .offset:         0
        .size:           184
        .value_kind:     by_value
    .group_segment_fixed_size: 0
    .kernarg_segment_align: 8
    .kernarg_segment_size: 184
    .language:       OpenCL C
    .language_version:
      - 2
      - 0
    .max_flat_workgroup_size: 256
    .name:           _ZN7rocprim17ROCPRIM_400000_NS6detail17trampoline_kernelINS0_13select_configILj256ELj13ELNS0_17block_load_methodE3ELS4_3ELS4_3ELNS0_20block_scan_algorithmE0ELj4294967295EEENS1_25partition_config_selectorILNS1_17partition_subalgoE4EjNS0_10empty_typeEbEEZZNS1_14partition_implILS8_4ELb0ES6_15HIP_vector_typeIjLj2EENS0_17counting_iteratorIjlEEPS9_SG_NS0_5tupleIJPjSI_NS0_16reverse_iteratorISI_EEEEENSH_IJSG_SG_SG_EEES9_SI_JZNS1_25segmented_radix_sort_implINS0_14default_configELb0EPKfPfPKlPlN2at6native12_GLOBAL__N_18offset_tEEE10hipError_tPvRmT1_PNSt15iterator_traitsIS12_E10value_typeET2_T3_PNS13_IS18_E10value_typeET4_jRbjT5_S1E_jjP12ihipStream_tbEUljE_ZNSN_ISO_Lb0ESQ_SR_ST_SU_SY_EESZ_S10_S11_S12_S16_S17_S18_S1B_S1C_jS1D_jS1E_S1E_jjS1G_bEUljE0_EEESZ_S10_S11_S18_S1C_S1E_T6_T7_T9_mT8_S1G_bDpT10_ENKUlT_T0_E_clISt17integral_constantIbLb1EES1U_EEDaS1P_S1Q_EUlS1P_E_NS1_11comp_targetILNS1_3genE5ELNS1_11target_archE942ELNS1_3gpuE9ELNS1_3repE0EEENS1_30default_config_static_selectorELNS0_4arch9wavefront6targetE0EEEvS12_
    .private_segment_fixed_size: 0
    .sgpr_count:     0
    .sgpr_spill_count: 0
    .symbol:         _ZN7rocprim17ROCPRIM_400000_NS6detail17trampoline_kernelINS0_13select_configILj256ELj13ELNS0_17block_load_methodE3ELS4_3ELS4_3ELNS0_20block_scan_algorithmE0ELj4294967295EEENS1_25partition_config_selectorILNS1_17partition_subalgoE4EjNS0_10empty_typeEbEEZZNS1_14partition_implILS8_4ELb0ES6_15HIP_vector_typeIjLj2EENS0_17counting_iteratorIjlEEPS9_SG_NS0_5tupleIJPjSI_NS0_16reverse_iteratorISI_EEEEENSH_IJSG_SG_SG_EEES9_SI_JZNS1_25segmented_radix_sort_implINS0_14default_configELb0EPKfPfPKlPlN2at6native12_GLOBAL__N_18offset_tEEE10hipError_tPvRmT1_PNSt15iterator_traitsIS12_E10value_typeET2_T3_PNS13_IS18_E10value_typeET4_jRbjT5_S1E_jjP12ihipStream_tbEUljE_ZNSN_ISO_Lb0ESQ_SR_ST_SU_SY_EESZ_S10_S11_S12_S16_S17_S18_S1B_S1C_jS1D_jS1E_S1E_jjS1G_bEUljE0_EEESZ_S10_S11_S18_S1C_S1E_T6_T7_T9_mT8_S1G_bDpT10_ENKUlT_T0_E_clISt17integral_constantIbLb1EES1U_EEDaS1P_S1Q_EUlS1P_E_NS1_11comp_targetILNS1_3genE5ELNS1_11target_archE942ELNS1_3gpuE9ELNS1_3repE0EEENS1_30default_config_static_selectorELNS0_4arch9wavefront6targetE0EEEvS12_.kd
    .uniform_work_group_size: 1
    .uses_dynamic_stack: false
    .vgpr_count:     0
    .vgpr_spill_count: 0
    .wavefront_size: 32
    .workgroup_processor_mode: 1
  - .args:
      - .offset:         0
        .size:           184
        .value_kind:     by_value
    .group_segment_fixed_size: 0
    .kernarg_segment_align: 8
    .kernarg_segment_size: 184
    .language:       OpenCL C
    .language_version:
      - 2
      - 0
    .max_flat_workgroup_size: 256
    .name:           _ZN7rocprim17ROCPRIM_400000_NS6detail17trampoline_kernelINS0_13select_configILj256ELj13ELNS0_17block_load_methodE3ELS4_3ELS4_3ELNS0_20block_scan_algorithmE0ELj4294967295EEENS1_25partition_config_selectorILNS1_17partition_subalgoE4EjNS0_10empty_typeEbEEZZNS1_14partition_implILS8_4ELb0ES6_15HIP_vector_typeIjLj2EENS0_17counting_iteratorIjlEEPS9_SG_NS0_5tupleIJPjSI_NS0_16reverse_iteratorISI_EEEEENSH_IJSG_SG_SG_EEES9_SI_JZNS1_25segmented_radix_sort_implINS0_14default_configELb0EPKfPfPKlPlN2at6native12_GLOBAL__N_18offset_tEEE10hipError_tPvRmT1_PNSt15iterator_traitsIS12_E10value_typeET2_T3_PNS13_IS18_E10value_typeET4_jRbjT5_S1E_jjP12ihipStream_tbEUljE_ZNSN_ISO_Lb0ESQ_SR_ST_SU_SY_EESZ_S10_S11_S12_S16_S17_S18_S1B_S1C_jS1D_jS1E_S1E_jjS1G_bEUljE0_EEESZ_S10_S11_S18_S1C_S1E_T6_T7_T9_mT8_S1G_bDpT10_ENKUlT_T0_E_clISt17integral_constantIbLb1EES1U_EEDaS1P_S1Q_EUlS1P_E_NS1_11comp_targetILNS1_3genE4ELNS1_11target_archE910ELNS1_3gpuE8ELNS1_3repE0EEENS1_30default_config_static_selectorELNS0_4arch9wavefront6targetE0EEEvS12_
    .private_segment_fixed_size: 0
    .sgpr_count:     0
    .sgpr_spill_count: 0
    .symbol:         _ZN7rocprim17ROCPRIM_400000_NS6detail17trampoline_kernelINS0_13select_configILj256ELj13ELNS0_17block_load_methodE3ELS4_3ELS4_3ELNS0_20block_scan_algorithmE0ELj4294967295EEENS1_25partition_config_selectorILNS1_17partition_subalgoE4EjNS0_10empty_typeEbEEZZNS1_14partition_implILS8_4ELb0ES6_15HIP_vector_typeIjLj2EENS0_17counting_iteratorIjlEEPS9_SG_NS0_5tupleIJPjSI_NS0_16reverse_iteratorISI_EEEEENSH_IJSG_SG_SG_EEES9_SI_JZNS1_25segmented_radix_sort_implINS0_14default_configELb0EPKfPfPKlPlN2at6native12_GLOBAL__N_18offset_tEEE10hipError_tPvRmT1_PNSt15iterator_traitsIS12_E10value_typeET2_T3_PNS13_IS18_E10value_typeET4_jRbjT5_S1E_jjP12ihipStream_tbEUljE_ZNSN_ISO_Lb0ESQ_SR_ST_SU_SY_EESZ_S10_S11_S12_S16_S17_S18_S1B_S1C_jS1D_jS1E_S1E_jjS1G_bEUljE0_EEESZ_S10_S11_S18_S1C_S1E_T6_T7_T9_mT8_S1G_bDpT10_ENKUlT_T0_E_clISt17integral_constantIbLb1EES1U_EEDaS1P_S1Q_EUlS1P_E_NS1_11comp_targetILNS1_3genE4ELNS1_11target_archE910ELNS1_3gpuE8ELNS1_3repE0EEENS1_30default_config_static_selectorELNS0_4arch9wavefront6targetE0EEEvS12_.kd
    .uniform_work_group_size: 1
    .uses_dynamic_stack: false
    .vgpr_count:     0
    .vgpr_spill_count: 0
    .wavefront_size: 32
    .workgroup_processor_mode: 1
  - .args:
      - .offset:         0
        .size:           184
        .value_kind:     by_value
    .group_segment_fixed_size: 0
    .kernarg_segment_align: 8
    .kernarg_segment_size: 184
    .language:       OpenCL C
    .language_version:
      - 2
      - 0
    .max_flat_workgroup_size: 256
    .name:           _ZN7rocprim17ROCPRIM_400000_NS6detail17trampoline_kernelINS0_13select_configILj256ELj13ELNS0_17block_load_methodE3ELS4_3ELS4_3ELNS0_20block_scan_algorithmE0ELj4294967295EEENS1_25partition_config_selectorILNS1_17partition_subalgoE4EjNS0_10empty_typeEbEEZZNS1_14partition_implILS8_4ELb0ES6_15HIP_vector_typeIjLj2EENS0_17counting_iteratorIjlEEPS9_SG_NS0_5tupleIJPjSI_NS0_16reverse_iteratorISI_EEEEENSH_IJSG_SG_SG_EEES9_SI_JZNS1_25segmented_radix_sort_implINS0_14default_configELb0EPKfPfPKlPlN2at6native12_GLOBAL__N_18offset_tEEE10hipError_tPvRmT1_PNSt15iterator_traitsIS12_E10value_typeET2_T3_PNS13_IS18_E10value_typeET4_jRbjT5_S1E_jjP12ihipStream_tbEUljE_ZNSN_ISO_Lb0ESQ_SR_ST_SU_SY_EESZ_S10_S11_S12_S16_S17_S18_S1B_S1C_jS1D_jS1E_S1E_jjS1G_bEUljE0_EEESZ_S10_S11_S18_S1C_S1E_T6_T7_T9_mT8_S1G_bDpT10_ENKUlT_T0_E_clISt17integral_constantIbLb1EES1U_EEDaS1P_S1Q_EUlS1P_E_NS1_11comp_targetILNS1_3genE3ELNS1_11target_archE908ELNS1_3gpuE7ELNS1_3repE0EEENS1_30default_config_static_selectorELNS0_4arch9wavefront6targetE0EEEvS12_
    .private_segment_fixed_size: 0
    .sgpr_count:     0
    .sgpr_spill_count: 0
    .symbol:         _ZN7rocprim17ROCPRIM_400000_NS6detail17trampoline_kernelINS0_13select_configILj256ELj13ELNS0_17block_load_methodE3ELS4_3ELS4_3ELNS0_20block_scan_algorithmE0ELj4294967295EEENS1_25partition_config_selectorILNS1_17partition_subalgoE4EjNS0_10empty_typeEbEEZZNS1_14partition_implILS8_4ELb0ES6_15HIP_vector_typeIjLj2EENS0_17counting_iteratorIjlEEPS9_SG_NS0_5tupleIJPjSI_NS0_16reverse_iteratorISI_EEEEENSH_IJSG_SG_SG_EEES9_SI_JZNS1_25segmented_radix_sort_implINS0_14default_configELb0EPKfPfPKlPlN2at6native12_GLOBAL__N_18offset_tEEE10hipError_tPvRmT1_PNSt15iterator_traitsIS12_E10value_typeET2_T3_PNS13_IS18_E10value_typeET4_jRbjT5_S1E_jjP12ihipStream_tbEUljE_ZNSN_ISO_Lb0ESQ_SR_ST_SU_SY_EESZ_S10_S11_S12_S16_S17_S18_S1B_S1C_jS1D_jS1E_S1E_jjS1G_bEUljE0_EEESZ_S10_S11_S18_S1C_S1E_T6_T7_T9_mT8_S1G_bDpT10_ENKUlT_T0_E_clISt17integral_constantIbLb1EES1U_EEDaS1P_S1Q_EUlS1P_E_NS1_11comp_targetILNS1_3genE3ELNS1_11target_archE908ELNS1_3gpuE7ELNS1_3repE0EEENS1_30default_config_static_selectorELNS0_4arch9wavefront6targetE0EEEvS12_.kd
    .uniform_work_group_size: 1
    .uses_dynamic_stack: false
    .vgpr_count:     0
    .vgpr_spill_count: 0
    .wavefront_size: 32
    .workgroup_processor_mode: 1
  - .args:
      - .offset:         0
        .size:           184
        .value_kind:     by_value
    .group_segment_fixed_size: 0
    .kernarg_segment_align: 8
    .kernarg_segment_size: 184
    .language:       OpenCL C
    .language_version:
      - 2
      - 0
    .max_flat_workgroup_size: 256
    .name:           _ZN7rocprim17ROCPRIM_400000_NS6detail17trampoline_kernelINS0_13select_configILj256ELj13ELNS0_17block_load_methodE3ELS4_3ELS4_3ELNS0_20block_scan_algorithmE0ELj4294967295EEENS1_25partition_config_selectorILNS1_17partition_subalgoE4EjNS0_10empty_typeEbEEZZNS1_14partition_implILS8_4ELb0ES6_15HIP_vector_typeIjLj2EENS0_17counting_iteratorIjlEEPS9_SG_NS0_5tupleIJPjSI_NS0_16reverse_iteratorISI_EEEEENSH_IJSG_SG_SG_EEES9_SI_JZNS1_25segmented_radix_sort_implINS0_14default_configELb0EPKfPfPKlPlN2at6native12_GLOBAL__N_18offset_tEEE10hipError_tPvRmT1_PNSt15iterator_traitsIS12_E10value_typeET2_T3_PNS13_IS18_E10value_typeET4_jRbjT5_S1E_jjP12ihipStream_tbEUljE_ZNSN_ISO_Lb0ESQ_SR_ST_SU_SY_EESZ_S10_S11_S12_S16_S17_S18_S1B_S1C_jS1D_jS1E_S1E_jjS1G_bEUljE0_EEESZ_S10_S11_S18_S1C_S1E_T6_T7_T9_mT8_S1G_bDpT10_ENKUlT_T0_E_clISt17integral_constantIbLb1EES1U_EEDaS1P_S1Q_EUlS1P_E_NS1_11comp_targetILNS1_3genE2ELNS1_11target_archE906ELNS1_3gpuE6ELNS1_3repE0EEENS1_30default_config_static_selectorELNS0_4arch9wavefront6targetE0EEEvS12_
    .private_segment_fixed_size: 0
    .sgpr_count:     0
    .sgpr_spill_count: 0
    .symbol:         _ZN7rocprim17ROCPRIM_400000_NS6detail17trampoline_kernelINS0_13select_configILj256ELj13ELNS0_17block_load_methodE3ELS4_3ELS4_3ELNS0_20block_scan_algorithmE0ELj4294967295EEENS1_25partition_config_selectorILNS1_17partition_subalgoE4EjNS0_10empty_typeEbEEZZNS1_14partition_implILS8_4ELb0ES6_15HIP_vector_typeIjLj2EENS0_17counting_iteratorIjlEEPS9_SG_NS0_5tupleIJPjSI_NS0_16reverse_iteratorISI_EEEEENSH_IJSG_SG_SG_EEES9_SI_JZNS1_25segmented_radix_sort_implINS0_14default_configELb0EPKfPfPKlPlN2at6native12_GLOBAL__N_18offset_tEEE10hipError_tPvRmT1_PNSt15iterator_traitsIS12_E10value_typeET2_T3_PNS13_IS18_E10value_typeET4_jRbjT5_S1E_jjP12ihipStream_tbEUljE_ZNSN_ISO_Lb0ESQ_SR_ST_SU_SY_EESZ_S10_S11_S12_S16_S17_S18_S1B_S1C_jS1D_jS1E_S1E_jjS1G_bEUljE0_EEESZ_S10_S11_S18_S1C_S1E_T6_T7_T9_mT8_S1G_bDpT10_ENKUlT_T0_E_clISt17integral_constantIbLb1EES1U_EEDaS1P_S1Q_EUlS1P_E_NS1_11comp_targetILNS1_3genE2ELNS1_11target_archE906ELNS1_3gpuE6ELNS1_3repE0EEENS1_30default_config_static_selectorELNS0_4arch9wavefront6targetE0EEEvS12_.kd
    .uniform_work_group_size: 1
    .uses_dynamic_stack: false
    .vgpr_count:     0
    .vgpr_spill_count: 0
    .wavefront_size: 32
    .workgroup_processor_mode: 1
  - .args:
      - .offset:         0
        .size:           184
        .value_kind:     by_value
    .group_segment_fixed_size: 0
    .kernarg_segment_align: 8
    .kernarg_segment_size: 184
    .language:       OpenCL C
    .language_version:
      - 2
      - 0
    .max_flat_workgroup_size: 256
    .name:           _ZN7rocprim17ROCPRIM_400000_NS6detail17trampoline_kernelINS0_13select_configILj256ELj13ELNS0_17block_load_methodE3ELS4_3ELS4_3ELNS0_20block_scan_algorithmE0ELj4294967295EEENS1_25partition_config_selectorILNS1_17partition_subalgoE4EjNS0_10empty_typeEbEEZZNS1_14partition_implILS8_4ELb0ES6_15HIP_vector_typeIjLj2EENS0_17counting_iteratorIjlEEPS9_SG_NS0_5tupleIJPjSI_NS0_16reverse_iteratorISI_EEEEENSH_IJSG_SG_SG_EEES9_SI_JZNS1_25segmented_radix_sort_implINS0_14default_configELb0EPKfPfPKlPlN2at6native12_GLOBAL__N_18offset_tEEE10hipError_tPvRmT1_PNSt15iterator_traitsIS12_E10value_typeET2_T3_PNS13_IS18_E10value_typeET4_jRbjT5_S1E_jjP12ihipStream_tbEUljE_ZNSN_ISO_Lb0ESQ_SR_ST_SU_SY_EESZ_S10_S11_S12_S16_S17_S18_S1B_S1C_jS1D_jS1E_S1E_jjS1G_bEUljE0_EEESZ_S10_S11_S18_S1C_S1E_T6_T7_T9_mT8_S1G_bDpT10_ENKUlT_T0_E_clISt17integral_constantIbLb1EES1U_EEDaS1P_S1Q_EUlS1P_E_NS1_11comp_targetILNS1_3genE10ELNS1_11target_archE1200ELNS1_3gpuE4ELNS1_3repE0EEENS1_30default_config_static_selectorELNS0_4arch9wavefront6targetE0EEEvS12_
    .private_segment_fixed_size: 0
    .sgpr_count:     0
    .sgpr_spill_count: 0
    .symbol:         _ZN7rocprim17ROCPRIM_400000_NS6detail17trampoline_kernelINS0_13select_configILj256ELj13ELNS0_17block_load_methodE3ELS4_3ELS4_3ELNS0_20block_scan_algorithmE0ELj4294967295EEENS1_25partition_config_selectorILNS1_17partition_subalgoE4EjNS0_10empty_typeEbEEZZNS1_14partition_implILS8_4ELb0ES6_15HIP_vector_typeIjLj2EENS0_17counting_iteratorIjlEEPS9_SG_NS0_5tupleIJPjSI_NS0_16reverse_iteratorISI_EEEEENSH_IJSG_SG_SG_EEES9_SI_JZNS1_25segmented_radix_sort_implINS0_14default_configELb0EPKfPfPKlPlN2at6native12_GLOBAL__N_18offset_tEEE10hipError_tPvRmT1_PNSt15iterator_traitsIS12_E10value_typeET2_T3_PNS13_IS18_E10value_typeET4_jRbjT5_S1E_jjP12ihipStream_tbEUljE_ZNSN_ISO_Lb0ESQ_SR_ST_SU_SY_EESZ_S10_S11_S12_S16_S17_S18_S1B_S1C_jS1D_jS1E_S1E_jjS1G_bEUljE0_EEESZ_S10_S11_S18_S1C_S1E_T6_T7_T9_mT8_S1G_bDpT10_ENKUlT_T0_E_clISt17integral_constantIbLb1EES1U_EEDaS1P_S1Q_EUlS1P_E_NS1_11comp_targetILNS1_3genE10ELNS1_11target_archE1200ELNS1_3gpuE4ELNS1_3repE0EEENS1_30default_config_static_selectorELNS0_4arch9wavefront6targetE0EEEvS12_.kd
    .uniform_work_group_size: 1
    .uses_dynamic_stack: false
    .vgpr_count:     0
    .vgpr_spill_count: 0
    .wavefront_size: 32
    .workgroup_processor_mode: 1
  - .args:
      - .offset:         0
        .size:           184
        .value_kind:     by_value
    .group_segment_fixed_size: 13340
    .kernarg_segment_align: 8
    .kernarg_segment_size: 184
    .language:       OpenCL C
    .language_version:
      - 2
      - 0
    .max_flat_workgroup_size: 256
    .name:           _ZN7rocprim17ROCPRIM_400000_NS6detail17trampoline_kernelINS0_13select_configILj256ELj13ELNS0_17block_load_methodE3ELS4_3ELS4_3ELNS0_20block_scan_algorithmE0ELj4294967295EEENS1_25partition_config_selectorILNS1_17partition_subalgoE4EjNS0_10empty_typeEbEEZZNS1_14partition_implILS8_4ELb0ES6_15HIP_vector_typeIjLj2EENS0_17counting_iteratorIjlEEPS9_SG_NS0_5tupleIJPjSI_NS0_16reverse_iteratorISI_EEEEENSH_IJSG_SG_SG_EEES9_SI_JZNS1_25segmented_radix_sort_implINS0_14default_configELb0EPKfPfPKlPlN2at6native12_GLOBAL__N_18offset_tEEE10hipError_tPvRmT1_PNSt15iterator_traitsIS12_E10value_typeET2_T3_PNS13_IS18_E10value_typeET4_jRbjT5_S1E_jjP12ihipStream_tbEUljE_ZNSN_ISO_Lb0ESQ_SR_ST_SU_SY_EESZ_S10_S11_S12_S16_S17_S18_S1B_S1C_jS1D_jS1E_S1E_jjS1G_bEUljE0_EEESZ_S10_S11_S18_S1C_S1E_T6_T7_T9_mT8_S1G_bDpT10_ENKUlT_T0_E_clISt17integral_constantIbLb1EES1U_EEDaS1P_S1Q_EUlS1P_E_NS1_11comp_targetILNS1_3genE9ELNS1_11target_archE1100ELNS1_3gpuE3ELNS1_3repE0EEENS1_30default_config_static_selectorELNS0_4arch9wavefront6targetE0EEEvS12_
    .private_segment_fixed_size: 0
    .sgpr_count:     57
    .sgpr_spill_count: 0
    .symbol:         _ZN7rocprim17ROCPRIM_400000_NS6detail17trampoline_kernelINS0_13select_configILj256ELj13ELNS0_17block_load_methodE3ELS4_3ELS4_3ELNS0_20block_scan_algorithmE0ELj4294967295EEENS1_25partition_config_selectorILNS1_17partition_subalgoE4EjNS0_10empty_typeEbEEZZNS1_14partition_implILS8_4ELb0ES6_15HIP_vector_typeIjLj2EENS0_17counting_iteratorIjlEEPS9_SG_NS0_5tupleIJPjSI_NS0_16reverse_iteratorISI_EEEEENSH_IJSG_SG_SG_EEES9_SI_JZNS1_25segmented_radix_sort_implINS0_14default_configELb0EPKfPfPKlPlN2at6native12_GLOBAL__N_18offset_tEEE10hipError_tPvRmT1_PNSt15iterator_traitsIS12_E10value_typeET2_T3_PNS13_IS18_E10value_typeET4_jRbjT5_S1E_jjP12ihipStream_tbEUljE_ZNSN_ISO_Lb0ESQ_SR_ST_SU_SY_EESZ_S10_S11_S12_S16_S17_S18_S1B_S1C_jS1D_jS1E_S1E_jjS1G_bEUljE0_EEESZ_S10_S11_S18_S1C_S1E_T6_T7_T9_mT8_S1G_bDpT10_ENKUlT_T0_E_clISt17integral_constantIbLb1EES1U_EEDaS1P_S1Q_EUlS1P_E_NS1_11comp_targetILNS1_3genE9ELNS1_11target_archE1100ELNS1_3gpuE3ELNS1_3repE0EEENS1_30default_config_static_selectorELNS0_4arch9wavefront6targetE0EEEvS12_.kd
    .uniform_work_group_size: 1
    .uses_dynamic_stack: false
    .vgpr_count:     103
    .vgpr_spill_count: 0
    .wavefront_size: 32
    .workgroup_processor_mode: 1
  - .args:
      - .offset:         0
        .size:           184
        .value_kind:     by_value
    .group_segment_fixed_size: 0
    .kernarg_segment_align: 8
    .kernarg_segment_size: 184
    .language:       OpenCL C
    .language_version:
      - 2
      - 0
    .max_flat_workgroup_size: 256
    .name:           _ZN7rocprim17ROCPRIM_400000_NS6detail17trampoline_kernelINS0_13select_configILj256ELj13ELNS0_17block_load_methodE3ELS4_3ELS4_3ELNS0_20block_scan_algorithmE0ELj4294967295EEENS1_25partition_config_selectorILNS1_17partition_subalgoE4EjNS0_10empty_typeEbEEZZNS1_14partition_implILS8_4ELb0ES6_15HIP_vector_typeIjLj2EENS0_17counting_iteratorIjlEEPS9_SG_NS0_5tupleIJPjSI_NS0_16reverse_iteratorISI_EEEEENSH_IJSG_SG_SG_EEES9_SI_JZNS1_25segmented_radix_sort_implINS0_14default_configELb0EPKfPfPKlPlN2at6native12_GLOBAL__N_18offset_tEEE10hipError_tPvRmT1_PNSt15iterator_traitsIS12_E10value_typeET2_T3_PNS13_IS18_E10value_typeET4_jRbjT5_S1E_jjP12ihipStream_tbEUljE_ZNSN_ISO_Lb0ESQ_SR_ST_SU_SY_EESZ_S10_S11_S12_S16_S17_S18_S1B_S1C_jS1D_jS1E_S1E_jjS1G_bEUljE0_EEESZ_S10_S11_S18_S1C_S1E_T6_T7_T9_mT8_S1G_bDpT10_ENKUlT_T0_E_clISt17integral_constantIbLb1EES1U_EEDaS1P_S1Q_EUlS1P_E_NS1_11comp_targetILNS1_3genE8ELNS1_11target_archE1030ELNS1_3gpuE2ELNS1_3repE0EEENS1_30default_config_static_selectorELNS0_4arch9wavefront6targetE0EEEvS12_
    .private_segment_fixed_size: 0
    .sgpr_count:     0
    .sgpr_spill_count: 0
    .symbol:         _ZN7rocprim17ROCPRIM_400000_NS6detail17trampoline_kernelINS0_13select_configILj256ELj13ELNS0_17block_load_methodE3ELS4_3ELS4_3ELNS0_20block_scan_algorithmE0ELj4294967295EEENS1_25partition_config_selectorILNS1_17partition_subalgoE4EjNS0_10empty_typeEbEEZZNS1_14partition_implILS8_4ELb0ES6_15HIP_vector_typeIjLj2EENS0_17counting_iteratorIjlEEPS9_SG_NS0_5tupleIJPjSI_NS0_16reverse_iteratorISI_EEEEENSH_IJSG_SG_SG_EEES9_SI_JZNS1_25segmented_radix_sort_implINS0_14default_configELb0EPKfPfPKlPlN2at6native12_GLOBAL__N_18offset_tEEE10hipError_tPvRmT1_PNSt15iterator_traitsIS12_E10value_typeET2_T3_PNS13_IS18_E10value_typeET4_jRbjT5_S1E_jjP12ihipStream_tbEUljE_ZNSN_ISO_Lb0ESQ_SR_ST_SU_SY_EESZ_S10_S11_S12_S16_S17_S18_S1B_S1C_jS1D_jS1E_S1E_jjS1G_bEUljE0_EEESZ_S10_S11_S18_S1C_S1E_T6_T7_T9_mT8_S1G_bDpT10_ENKUlT_T0_E_clISt17integral_constantIbLb1EES1U_EEDaS1P_S1Q_EUlS1P_E_NS1_11comp_targetILNS1_3genE8ELNS1_11target_archE1030ELNS1_3gpuE2ELNS1_3repE0EEENS1_30default_config_static_selectorELNS0_4arch9wavefront6targetE0EEEvS12_.kd
    .uniform_work_group_size: 1
    .uses_dynamic_stack: false
    .vgpr_count:     0
    .vgpr_spill_count: 0
    .wavefront_size: 32
    .workgroup_processor_mode: 1
  - .args:
      - .offset:         0
        .size:           176
        .value_kind:     by_value
    .group_segment_fixed_size: 0
    .kernarg_segment_align: 8
    .kernarg_segment_size: 176
    .language:       OpenCL C
    .language_version:
      - 2
      - 0
    .max_flat_workgroup_size: 256
    .name:           _ZN7rocprim17ROCPRIM_400000_NS6detail17trampoline_kernelINS0_13select_configILj256ELj13ELNS0_17block_load_methodE3ELS4_3ELS4_3ELNS0_20block_scan_algorithmE0ELj4294967295EEENS1_25partition_config_selectorILNS1_17partition_subalgoE4EjNS0_10empty_typeEbEEZZNS1_14partition_implILS8_4ELb0ES6_15HIP_vector_typeIjLj2EENS0_17counting_iteratorIjlEEPS9_SG_NS0_5tupleIJPjSI_NS0_16reverse_iteratorISI_EEEEENSH_IJSG_SG_SG_EEES9_SI_JZNS1_25segmented_radix_sort_implINS0_14default_configELb0EPKfPfPKlPlN2at6native12_GLOBAL__N_18offset_tEEE10hipError_tPvRmT1_PNSt15iterator_traitsIS12_E10value_typeET2_T3_PNS13_IS18_E10value_typeET4_jRbjT5_S1E_jjP12ihipStream_tbEUljE_ZNSN_ISO_Lb0ESQ_SR_ST_SU_SY_EESZ_S10_S11_S12_S16_S17_S18_S1B_S1C_jS1D_jS1E_S1E_jjS1G_bEUljE0_EEESZ_S10_S11_S18_S1C_S1E_T6_T7_T9_mT8_S1G_bDpT10_ENKUlT_T0_E_clISt17integral_constantIbLb1EES1T_IbLb0EEEEDaS1P_S1Q_EUlS1P_E_NS1_11comp_targetILNS1_3genE0ELNS1_11target_archE4294967295ELNS1_3gpuE0ELNS1_3repE0EEENS1_30default_config_static_selectorELNS0_4arch9wavefront6targetE0EEEvS12_
    .private_segment_fixed_size: 0
    .sgpr_count:     0
    .sgpr_spill_count: 0
    .symbol:         _ZN7rocprim17ROCPRIM_400000_NS6detail17trampoline_kernelINS0_13select_configILj256ELj13ELNS0_17block_load_methodE3ELS4_3ELS4_3ELNS0_20block_scan_algorithmE0ELj4294967295EEENS1_25partition_config_selectorILNS1_17partition_subalgoE4EjNS0_10empty_typeEbEEZZNS1_14partition_implILS8_4ELb0ES6_15HIP_vector_typeIjLj2EENS0_17counting_iteratorIjlEEPS9_SG_NS0_5tupleIJPjSI_NS0_16reverse_iteratorISI_EEEEENSH_IJSG_SG_SG_EEES9_SI_JZNS1_25segmented_radix_sort_implINS0_14default_configELb0EPKfPfPKlPlN2at6native12_GLOBAL__N_18offset_tEEE10hipError_tPvRmT1_PNSt15iterator_traitsIS12_E10value_typeET2_T3_PNS13_IS18_E10value_typeET4_jRbjT5_S1E_jjP12ihipStream_tbEUljE_ZNSN_ISO_Lb0ESQ_SR_ST_SU_SY_EESZ_S10_S11_S12_S16_S17_S18_S1B_S1C_jS1D_jS1E_S1E_jjS1G_bEUljE0_EEESZ_S10_S11_S18_S1C_S1E_T6_T7_T9_mT8_S1G_bDpT10_ENKUlT_T0_E_clISt17integral_constantIbLb1EES1T_IbLb0EEEEDaS1P_S1Q_EUlS1P_E_NS1_11comp_targetILNS1_3genE0ELNS1_11target_archE4294967295ELNS1_3gpuE0ELNS1_3repE0EEENS1_30default_config_static_selectorELNS0_4arch9wavefront6targetE0EEEvS12_.kd
    .uniform_work_group_size: 1
    .uses_dynamic_stack: false
    .vgpr_count:     0
    .vgpr_spill_count: 0
    .wavefront_size: 32
    .workgroup_processor_mode: 1
  - .args:
      - .offset:         0
        .size:           176
        .value_kind:     by_value
    .group_segment_fixed_size: 0
    .kernarg_segment_align: 8
    .kernarg_segment_size: 176
    .language:       OpenCL C
    .language_version:
      - 2
      - 0
    .max_flat_workgroup_size: 256
    .name:           _ZN7rocprim17ROCPRIM_400000_NS6detail17trampoline_kernelINS0_13select_configILj256ELj13ELNS0_17block_load_methodE3ELS4_3ELS4_3ELNS0_20block_scan_algorithmE0ELj4294967295EEENS1_25partition_config_selectorILNS1_17partition_subalgoE4EjNS0_10empty_typeEbEEZZNS1_14partition_implILS8_4ELb0ES6_15HIP_vector_typeIjLj2EENS0_17counting_iteratorIjlEEPS9_SG_NS0_5tupleIJPjSI_NS0_16reverse_iteratorISI_EEEEENSH_IJSG_SG_SG_EEES9_SI_JZNS1_25segmented_radix_sort_implINS0_14default_configELb0EPKfPfPKlPlN2at6native12_GLOBAL__N_18offset_tEEE10hipError_tPvRmT1_PNSt15iterator_traitsIS12_E10value_typeET2_T3_PNS13_IS18_E10value_typeET4_jRbjT5_S1E_jjP12ihipStream_tbEUljE_ZNSN_ISO_Lb0ESQ_SR_ST_SU_SY_EESZ_S10_S11_S12_S16_S17_S18_S1B_S1C_jS1D_jS1E_S1E_jjS1G_bEUljE0_EEESZ_S10_S11_S18_S1C_S1E_T6_T7_T9_mT8_S1G_bDpT10_ENKUlT_T0_E_clISt17integral_constantIbLb1EES1T_IbLb0EEEEDaS1P_S1Q_EUlS1P_E_NS1_11comp_targetILNS1_3genE5ELNS1_11target_archE942ELNS1_3gpuE9ELNS1_3repE0EEENS1_30default_config_static_selectorELNS0_4arch9wavefront6targetE0EEEvS12_
    .private_segment_fixed_size: 0
    .sgpr_count:     0
    .sgpr_spill_count: 0
    .symbol:         _ZN7rocprim17ROCPRIM_400000_NS6detail17trampoline_kernelINS0_13select_configILj256ELj13ELNS0_17block_load_methodE3ELS4_3ELS4_3ELNS0_20block_scan_algorithmE0ELj4294967295EEENS1_25partition_config_selectorILNS1_17partition_subalgoE4EjNS0_10empty_typeEbEEZZNS1_14partition_implILS8_4ELb0ES6_15HIP_vector_typeIjLj2EENS0_17counting_iteratorIjlEEPS9_SG_NS0_5tupleIJPjSI_NS0_16reverse_iteratorISI_EEEEENSH_IJSG_SG_SG_EEES9_SI_JZNS1_25segmented_radix_sort_implINS0_14default_configELb0EPKfPfPKlPlN2at6native12_GLOBAL__N_18offset_tEEE10hipError_tPvRmT1_PNSt15iterator_traitsIS12_E10value_typeET2_T3_PNS13_IS18_E10value_typeET4_jRbjT5_S1E_jjP12ihipStream_tbEUljE_ZNSN_ISO_Lb0ESQ_SR_ST_SU_SY_EESZ_S10_S11_S12_S16_S17_S18_S1B_S1C_jS1D_jS1E_S1E_jjS1G_bEUljE0_EEESZ_S10_S11_S18_S1C_S1E_T6_T7_T9_mT8_S1G_bDpT10_ENKUlT_T0_E_clISt17integral_constantIbLb1EES1T_IbLb0EEEEDaS1P_S1Q_EUlS1P_E_NS1_11comp_targetILNS1_3genE5ELNS1_11target_archE942ELNS1_3gpuE9ELNS1_3repE0EEENS1_30default_config_static_selectorELNS0_4arch9wavefront6targetE0EEEvS12_.kd
    .uniform_work_group_size: 1
    .uses_dynamic_stack: false
    .vgpr_count:     0
    .vgpr_spill_count: 0
    .wavefront_size: 32
    .workgroup_processor_mode: 1
  - .args:
      - .offset:         0
        .size:           176
        .value_kind:     by_value
    .group_segment_fixed_size: 0
    .kernarg_segment_align: 8
    .kernarg_segment_size: 176
    .language:       OpenCL C
    .language_version:
      - 2
      - 0
    .max_flat_workgroup_size: 256
    .name:           _ZN7rocprim17ROCPRIM_400000_NS6detail17trampoline_kernelINS0_13select_configILj256ELj13ELNS0_17block_load_methodE3ELS4_3ELS4_3ELNS0_20block_scan_algorithmE0ELj4294967295EEENS1_25partition_config_selectorILNS1_17partition_subalgoE4EjNS0_10empty_typeEbEEZZNS1_14partition_implILS8_4ELb0ES6_15HIP_vector_typeIjLj2EENS0_17counting_iteratorIjlEEPS9_SG_NS0_5tupleIJPjSI_NS0_16reverse_iteratorISI_EEEEENSH_IJSG_SG_SG_EEES9_SI_JZNS1_25segmented_radix_sort_implINS0_14default_configELb0EPKfPfPKlPlN2at6native12_GLOBAL__N_18offset_tEEE10hipError_tPvRmT1_PNSt15iterator_traitsIS12_E10value_typeET2_T3_PNS13_IS18_E10value_typeET4_jRbjT5_S1E_jjP12ihipStream_tbEUljE_ZNSN_ISO_Lb0ESQ_SR_ST_SU_SY_EESZ_S10_S11_S12_S16_S17_S18_S1B_S1C_jS1D_jS1E_S1E_jjS1G_bEUljE0_EEESZ_S10_S11_S18_S1C_S1E_T6_T7_T9_mT8_S1G_bDpT10_ENKUlT_T0_E_clISt17integral_constantIbLb1EES1T_IbLb0EEEEDaS1P_S1Q_EUlS1P_E_NS1_11comp_targetILNS1_3genE4ELNS1_11target_archE910ELNS1_3gpuE8ELNS1_3repE0EEENS1_30default_config_static_selectorELNS0_4arch9wavefront6targetE0EEEvS12_
    .private_segment_fixed_size: 0
    .sgpr_count:     0
    .sgpr_spill_count: 0
    .symbol:         _ZN7rocprim17ROCPRIM_400000_NS6detail17trampoline_kernelINS0_13select_configILj256ELj13ELNS0_17block_load_methodE3ELS4_3ELS4_3ELNS0_20block_scan_algorithmE0ELj4294967295EEENS1_25partition_config_selectorILNS1_17partition_subalgoE4EjNS0_10empty_typeEbEEZZNS1_14partition_implILS8_4ELb0ES6_15HIP_vector_typeIjLj2EENS0_17counting_iteratorIjlEEPS9_SG_NS0_5tupleIJPjSI_NS0_16reverse_iteratorISI_EEEEENSH_IJSG_SG_SG_EEES9_SI_JZNS1_25segmented_radix_sort_implINS0_14default_configELb0EPKfPfPKlPlN2at6native12_GLOBAL__N_18offset_tEEE10hipError_tPvRmT1_PNSt15iterator_traitsIS12_E10value_typeET2_T3_PNS13_IS18_E10value_typeET4_jRbjT5_S1E_jjP12ihipStream_tbEUljE_ZNSN_ISO_Lb0ESQ_SR_ST_SU_SY_EESZ_S10_S11_S12_S16_S17_S18_S1B_S1C_jS1D_jS1E_S1E_jjS1G_bEUljE0_EEESZ_S10_S11_S18_S1C_S1E_T6_T7_T9_mT8_S1G_bDpT10_ENKUlT_T0_E_clISt17integral_constantIbLb1EES1T_IbLb0EEEEDaS1P_S1Q_EUlS1P_E_NS1_11comp_targetILNS1_3genE4ELNS1_11target_archE910ELNS1_3gpuE8ELNS1_3repE0EEENS1_30default_config_static_selectorELNS0_4arch9wavefront6targetE0EEEvS12_.kd
    .uniform_work_group_size: 1
    .uses_dynamic_stack: false
    .vgpr_count:     0
    .vgpr_spill_count: 0
    .wavefront_size: 32
    .workgroup_processor_mode: 1
  - .args:
      - .offset:         0
        .size:           176
        .value_kind:     by_value
    .group_segment_fixed_size: 0
    .kernarg_segment_align: 8
    .kernarg_segment_size: 176
    .language:       OpenCL C
    .language_version:
      - 2
      - 0
    .max_flat_workgroup_size: 256
    .name:           _ZN7rocprim17ROCPRIM_400000_NS6detail17trampoline_kernelINS0_13select_configILj256ELj13ELNS0_17block_load_methodE3ELS4_3ELS4_3ELNS0_20block_scan_algorithmE0ELj4294967295EEENS1_25partition_config_selectorILNS1_17partition_subalgoE4EjNS0_10empty_typeEbEEZZNS1_14partition_implILS8_4ELb0ES6_15HIP_vector_typeIjLj2EENS0_17counting_iteratorIjlEEPS9_SG_NS0_5tupleIJPjSI_NS0_16reverse_iteratorISI_EEEEENSH_IJSG_SG_SG_EEES9_SI_JZNS1_25segmented_radix_sort_implINS0_14default_configELb0EPKfPfPKlPlN2at6native12_GLOBAL__N_18offset_tEEE10hipError_tPvRmT1_PNSt15iterator_traitsIS12_E10value_typeET2_T3_PNS13_IS18_E10value_typeET4_jRbjT5_S1E_jjP12ihipStream_tbEUljE_ZNSN_ISO_Lb0ESQ_SR_ST_SU_SY_EESZ_S10_S11_S12_S16_S17_S18_S1B_S1C_jS1D_jS1E_S1E_jjS1G_bEUljE0_EEESZ_S10_S11_S18_S1C_S1E_T6_T7_T9_mT8_S1G_bDpT10_ENKUlT_T0_E_clISt17integral_constantIbLb1EES1T_IbLb0EEEEDaS1P_S1Q_EUlS1P_E_NS1_11comp_targetILNS1_3genE3ELNS1_11target_archE908ELNS1_3gpuE7ELNS1_3repE0EEENS1_30default_config_static_selectorELNS0_4arch9wavefront6targetE0EEEvS12_
    .private_segment_fixed_size: 0
    .sgpr_count:     0
    .sgpr_spill_count: 0
    .symbol:         _ZN7rocprim17ROCPRIM_400000_NS6detail17trampoline_kernelINS0_13select_configILj256ELj13ELNS0_17block_load_methodE3ELS4_3ELS4_3ELNS0_20block_scan_algorithmE0ELj4294967295EEENS1_25partition_config_selectorILNS1_17partition_subalgoE4EjNS0_10empty_typeEbEEZZNS1_14partition_implILS8_4ELb0ES6_15HIP_vector_typeIjLj2EENS0_17counting_iteratorIjlEEPS9_SG_NS0_5tupleIJPjSI_NS0_16reverse_iteratorISI_EEEEENSH_IJSG_SG_SG_EEES9_SI_JZNS1_25segmented_radix_sort_implINS0_14default_configELb0EPKfPfPKlPlN2at6native12_GLOBAL__N_18offset_tEEE10hipError_tPvRmT1_PNSt15iterator_traitsIS12_E10value_typeET2_T3_PNS13_IS18_E10value_typeET4_jRbjT5_S1E_jjP12ihipStream_tbEUljE_ZNSN_ISO_Lb0ESQ_SR_ST_SU_SY_EESZ_S10_S11_S12_S16_S17_S18_S1B_S1C_jS1D_jS1E_S1E_jjS1G_bEUljE0_EEESZ_S10_S11_S18_S1C_S1E_T6_T7_T9_mT8_S1G_bDpT10_ENKUlT_T0_E_clISt17integral_constantIbLb1EES1T_IbLb0EEEEDaS1P_S1Q_EUlS1P_E_NS1_11comp_targetILNS1_3genE3ELNS1_11target_archE908ELNS1_3gpuE7ELNS1_3repE0EEENS1_30default_config_static_selectorELNS0_4arch9wavefront6targetE0EEEvS12_.kd
    .uniform_work_group_size: 1
    .uses_dynamic_stack: false
    .vgpr_count:     0
    .vgpr_spill_count: 0
    .wavefront_size: 32
    .workgroup_processor_mode: 1
  - .args:
      - .offset:         0
        .size:           176
        .value_kind:     by_value
    .group_segment_fixed_size: 0
    .kernarg_segment_align: 8
    .kernarg_segment_size: 176
    .language:       OpenCL C
    .language_version:
      - 2
      - 0
    .max_flat_workgroup_size: 256
    .name:           _ZN7rocprim17ROCPRIM_400000_NS6detail17trampoline_kernelINS0_13select_configILj256ELj13ELNS0_17block_load_methodE3ELS4_3ELS4_3ELNS0_20block_scan_algorithmE0ELj4294967295EEENS1_25partition_config_selectorILNS1_17partition_subalgoE4EjNS0_10empty_typeEbEEZZNS1_14partition_implILS8_4ELb0ES6_15HIP_vector_typeIjLj2EENS0_17counting_iteratorIjlEEPS9_SG_NS0_5tupleIJPjSI_NS0_16reverse_iteratorISI_EEEEENSH_IJSG_SG_SG_EEES9_SI_JZNS1_25segmented_radix_sort_implINS0_14default_configELb0EPKfPfPKlPlN2at6native12_GLOBAL__N_18offset_tEEE10hipError_tPvRmT1_PNSt15iterator_traitsIS12_E10value_typeET2_T3_PNS13_IS18_E10value_typeET4_jRbjT5_S1E_jjP12ihipStream_tbEUljE_ZNSN_ISO_Lb0ESQ_SR_ST_SU_SY_EESZ_S10_S11_S12_S16_S17_S18_S1B_S1C_jS1D_jS1E_S1E_jjS1G_bEUljE0_EEESZ_S10_S11_S18_S1C_S1E_T6_T7_T9_mT8_S1G_bDpT10_ENKUlT_T0_E_clISt17integral_constantIbLb1EES1T_IbLb0EEEEDaS1P_S1Q_EUlS1P_E_NS1_11comp_targetILNS1_3genE2ELNS1_11target_archE906ELNS1_3gpuE6ELNS1_3repE0EEENS1_30default_config_static_selectorELNS0_4arch9wavefront6targetE0EEEvS12_
    .private_segment_fixed_size: 0
    .sgpr_count:     0
    .sgpr_spill_count: 0
    .symbol:         _ZN7rocprim17ROCPRIM_400000_NS6detail17trampoline_kernelINS0_13select_configILj256ELj13ELNS0_17block_load_methodE3ELS4_3ELS4_3ELNS0_20block_scan_algorithmE0ELj4294967295EEENS1_25partition_config_selectorILNS1_17partition_subalgoE4EjNS0_10empty_typeEbEEZZNS1_14partition_implILS8_4ELb0ES6_15HIP_vector_typeIjLj2EENS0_17counting_iteratorIjlEEPS9_SG_NS0_5tupleIJPjSI_NS0_16reverse_iteratorISI_EEEEENSH_IJSG_SG_SG_EEES9_SI_JZNS1_25segmented_radix_sort_implINS0_14default_configELb0EPKfPfPKlPlN2at6native12_GLOBAL__N_18offset_tEEE10hipError_tPvRmT1_PNSt15iterator_traitsIS12_E10value_typeET2_T3_PNS13_IS18_E10value_typeET4_jRbjT5_S1E_jjP12ihipStream_tbEUljE_ZNSN_ISO_Lb0ESQ_SR_ST_SU_SY_EESZ_S10_S11_S12_S16_S17_S18_S1B_S1C_jS1D_jS1E_S1E_jjS1G_bEUljE0_EEESZ_S10_S11_S18_S1C_S1E_T6_T7_T9_mT8_S1G_bDpT10_ENKUlT_T0_E_clISt17integral_constantIbLb1EES1T_IbLb0EEEEDaS1P_S1Q_EUlS1P_E_NS1_11comp_targetILNS1_3genE2ELNS1_11target_archE906ELNS1_3gpuE6ELNS1_3repE0EEENS1_30default_config_static_selectorELNS0_4arch9wavefront6targetE0EEEvS12_.kd
    .uniform_work_group_size: 1
    .uses_dynamic_stack: false
    .vgpr_count:     0
    .vgpr_spill_count: 0
    .wavefront_size: 32
    .workgroup_processor_mode: 1
  - .args:
      - .offset:         0
        .size:           176
        .value_kind:     by_value
    .group_segment_fixed_size: 0
    .kernarg_segment_align: 8
    .kernarg_segment_size: 176
    .language:       OpenCL C
    .language_version:
      - 2
      - 0
    .max_flat_workgroup_size: 256
    .name:           _ZN7rocprim17ROCPRIM_400000_NS6detail17trampoline_kernelINS0_13select_configILj256ELj13ELNS0_17block_load_methodE3ELS4_3ELS4_3ELNS0_20block_scan_algorithmE0ELj4294967295EEENS1_25partition_config_selectorILNS1_17partition_subalgoE4EjNS0_10empty_typeEbEEZZNS1_14partition_implILS8_4ELb0ES6_15HIP_vector_typeIjLj2EENS0_17counting_iteratorIjlEEPS9_SG_NS0_5tupleIJPjSI_NS0_16reverse_iteratorISI_EEEEENSH_IJSG_SG_SG_EEES9_SI_JZNS1_25segmented_radix_sort_implINS0_14default_configELb0EPKfPfPKlPlN2at6native12_GLOBAL__N_18offset_tEEE10hipError_tPvRmT1_PNSt15iterator_traitsIS12_E10value_typeET2_T3_PNS13_IS18_E10value_typeET4_jRbjT5_S1E_jjP12ihipStream_tbEUljE_ZNSN_ISO_Lb0ESQ_SR_ST_SU_SY_EESZ_S10_S11_S12_S16_S17_S18_S1B_S1C_jS1D_jS1E_S1E_jjS1G_bEUljE0_EEESZ_S10_S11_S18_S1C_S1E_T6_T7_T9_mT8_S1G_bDpT10_ENKUlT_T0_E_clISt17integral_constantIbLb1EES1T_IbLb0EEEEDaS1P_S1Q_EUlS1P_E_NS1_11comp_targetILNS1_3genE10ELNS1_11target_archE1200ELNS1_3gpuE4ELNS1_3repE0EEENS1_30default_config_static_selectorELNS0_4arch9wavefront6targetE0EEEvS12_
    .private_segment_fixed_size: 0
    .sgpr_count:     0
    .sgpr_spill_count: 0
    .symbol:         _ZN7rocprim17ROCPRIM_400000_NS6detail17trampoline_kernelINS0_13select_configILj256ELj13ELNS0_17block_load_methodE3ELS4_3ELS4_3ELNS0_20block_scan_algorithmE0ELj4294967295EEENS1_25partition_config_selectorILNS1_17partition_subalgoE4EjNS0_10empty_typeEbEEZZNS1_14partition_implILS8_4ELb0ES6_15HIP_vector_typeIjLj2EENS0_17counting_iteratorIjlEEPS9_SG_NS0_5tupleIJPjSI_NS0_16reverse_iteratorISI_EEEEENSH_IJSG_SG_SG_EEES9_SI_JZNS1_25segmented_radix_sort_implINS0_14default_configELb0EPKfPfPKlPlN2at6native12_GLOBAL__N_18offset_tEEE10hipError_tPvRmT1_PNSt15iterator_traitsIS12_E10value_typeET2_T3_PNS13_IS18_E10value_typeET4_jRbjT5_S1E_jjP12ihipStream_tbEUljE_ZNSN_ISO_Lb0ESQ_SR_ST_SU_SY_EESZ_S10_S11_S12_S16_S17_S18_S1B_S1C_jS1D_jS1E_S1E_jjS1G_bEUljE0_EEESZ_S10_S11_S18_S1C_S1E_T6_T7_T9_mT8_S1G_bDpT10_ENKUlT_T0_E_clISt17integral_constantIbLb1EES1T_IbLb0EEEEDaS1P_S1Q_EUlS1P_E_NS1_11comp_targetILNS1_3genE10ELNS1_11target_archE1200ELNS1_3gpuE4ELNS1_3repE0EEENS1_30default_config_static_selectorELNS0_4arch9wavefront6targetE0EEEvS12_.kd
    .uniform_work_group_size: 1
    .uses_dynamic_stack: false
    .vgpr_count:     0
    .vgpr_spill_count: 0
    .wavefront_size: 32
    .workgroup_processor_mode: 1
  - .args:
      - .offset:         0
        .size:           176
        .value_kind:     by_value
    .group_segment_fixed_size: 13340
    .kernarg_segment_align: 8
    .kernarg_segment_size: 176
    .language:       OpenCL C
    .language_version:
      - 2
      - 0
    .max_flat_workgroup_size: 256
    .name:           _ZN7rocprim17ROCPRIM_400000_NS6detail17trampoline_kernelINS0_13select_configILj256ELj13ELNS0_17block_load_methodE3ELS4_3ELS4_3ELNS0_20block_scan_algorithmE0ELj4294967295EEENS1_25partition_config_selectorILNS1_17partition_subalgoE4EjNS0_10empty_typeEbEEZZNS1_14partition_implILS8_4ELb0ES6_15HIP_vector_typeIjLj2EENS0_17counting_iteratorIjlEEPS9_SG_NS0_5tupleIJPjSI_NS0_16reverse_iteratorISI_EEEEENSH_IJSG_SG_SG_EEES9_SI_JZNS1_25segmented_radix_sort_implINS0_14default_configELb0EPKfPfPKlPlN2at6native12_GLOBAL__N_18offset_tEEE10hipError_tPvRmT1_PNSt15iterator_traitsIS12_E10value_typeET2_T3_PNS13_IS18_E10value_typeET4_jRbjT5_S1E_jjP12ihipStream_tbEUljE_ZNSN_ISO_Lb0ESQ_SR_ST_SU_SY_EESZ_S10_S11_S12_S16_S17_S18_S1B_S1C_jS1D_jS1E_S1E_jjS1G_bEUljE0_EEESZ_S10_S11_S18_S1C_S1E_T6_T7_T9_mT8_S1G_bDpT10_ENKUlT_T0_E_clISt17integral_constantIbLb1EES1T_IbLb0EEEEDaS1P_S1Q_EUlS1P_E_NS1_11comp_targetILNS1_3genE9ELNS1_11target_archE1100ELNS1_3gpuE3ELNS1_3repE0EEENS1_30default_config_static_selectorELNS0_4arch9wavefront6targetE0EEEvS12_
    .private_segment_fixed_size: 0
    .sgpr_count:     61
    .sgpr_spill_count: 0
    .symbol:         _ZN7rocprim17ROCPRIM_400000_NS6detail17trampoline_kernelINS0_13select_configILj256ELj13ELNS0_17block_load_methodE3ELS4_3ELS4_3ELNS0_20block_scan_algorithmE0ELj4294967295EEENS1_25partition_config_selectorILNS1_17partition_subalgoE4EjNS0_10empty_typeEbEEZZNS1_14partition_implILS8_4ELb0ES6_15HIP_vector_typeIjLj2EENS0_17counting_iteratorIjlEEPS9_SG_NS0_5tupleIJPjSI_NS0_16reverse_iteratorISI_EEEEENSH_IJSG_SG_SG_EEES9_SI_JZNS1_25segmented_radix_sort_implINS0_14default_configELb0EPKfPfPKlPlN2at6native12_GLOBAL__N_18offset_tEEE10hipError_tPvRmT1_PNSt15iterator_traitsIS12_E10value_typeET2_T3_PNS13_IS18_E10value_typeET4_jRbjT5_S1E_jjP12ihipStream_tbEUljE_ZNSN_ISO_Lb0ESQ_SR_ST_SU_SY_EESZ_S10_S11_S12_S16_S17_S18_S1B_S1C_jS1D_jS1E_S1E_jjS1G_bEUljE0_EEESZ_S10_S11_S18_S1C_S1E_T6_T7_T9_mT8_S1G_bDpT10_ENKUlT_T0_E_clISt17integral_constantIbLb1EES1T_IbLb0EEEEDaS1P_S1Q_EUlS1P_E_NS1_11comp_targetILNS1_3genE9ELNS1_11target_archE1100ELNS1_3gpuE3ELNS1_3repE0EEENS1_30default_config_static_selectorELNS0_4arch9wavefront6targetE0EEEvS12_.kd
    .uniform_work_group_size: 1
    .uses_dynamic_stack: false
    .vgpr_count:     98
    .vgpr_spill_count: 0
    .wavefront_size: 32
    .workgroup_processor_mode: 1
  - .args:
      - .offset:         0
        .size:           176
        .value_kind:     by_value
    .group_segment_fixed_size: 0
    .kernarg_segment_align: 8
    .kernarg_segment_size: 176
    .language:       OpenCL C
    .language_version:
      - 2
      - 0
    .max_flat_workgroup_size: 256
    .name:           _ZN7rocprim17ROCPRIM_400000_NS6detail17trampoline_kernelINS0_13select_configILj256ELj13ELNS0_17block_load_methodE3ELS4_3ELS4_3ELNS0_20block_scan_algorithmE0ELj4294967295EEENS1_25partition_config_selectorILNS1_17partition_subalgoE4EjNS0_10empty_typeEbEEZZNS1_14partition_implILS8_4ELb0ES6_15HIP_vector_typeIjLj2EENS0_17counting_iteratorIjlEEPS9_SG_NS0_5tupleIJPjSI_NS0_16reverse_iteratorISI_EEEEENSH_IJSG_SG_SG_EEES9_SI_JZNS1_25segmented_radix_sort_implINS0_14default_configELb0EPKfPfPKlPlN2at6native12_GLOBAL__N_18offset_tEEE10hipError_tPvRmT1_PNSt15iterator_traitsIS12_E10value_typeET2_T3_PNS13_IS18_E10value_typeET4_jRbjT5_S1E_jjP12ihipStream_tbEUljE_ZNSN_ISO_Lb0ESQ_SR_ST_SU_SY_EESZ_S10_S11_S12_S16_S17_S18_S1B_S1C_jS1D_jS1E_S1E_jjS1G_bEUljE0_EEESZ_S10_S11_S18_S1C_S1E_T6_T7_T9_mT8_S1G_bDpT10_ENKUlT_T0_E_clISt17integral_constantIbLb1EES1T_IbLb0EEEEDaS1P_S1Q_EUlS1P_E_NS1_11comp_targetILNS1_3genE8ELNS1_11target_archE1030ELNS1_3gpuE2ELNS1_3repE0EEENS1_30default_config_static_selectorELNS0_4arch9wavefront6targetE0EEEvS12_
    .private_segment_fixed_size: 0
    .sgpr_count:     0
    .sgpr_spill_count: 0
    .symbol:         _ZN7rocprim17ROCPRIM_400000_NS6detail17trampoline_kernelINS0_13select_configILj256ELj13ELNS0_17block_load_methodE3ELS4_3ELS4_3ELNS0_20block_scan_algorithmE0ELj4294967295EEENS1_25partition_config_selectorILNS1_17partition_subalgoE4EjNS0_10empty_typeEbEEZZNS1_14partition_implILS8_4ELb0ES6_15HIP_vector_typeIjLj2EENS0_17counting_iteratorIjlEEPS9_SG_NS0_5tupleIJPjSI_NS0_16reverse_iteratorISI_EEEEENSH_IJSG_SG_SG_EEES9_SI_JZNS1_25segmented_radix_sort_implINS0_14default_configELb0EPKfPfPKlPlN2at6native12_GLOBAL__N_18offset_tEEE10hipError_tPvRmT1_PNSt15iterator_traitsIS12_E10value_typeET2_T3_PNS13_IS18_E10value_typeET4_jRbjT5_S1E_jjP12ihipStream_tbEUljE_ZNSN_ISO_Lb0ESQ_SR_ST_SU_SY_EESZ_S10_S11_S12_S16_S17_S18_S1B_S1C_jS1D_jS1E_S1E_jjS1G_bEUljE0_EEESZ_S10_S11_S18_S1C_S1E_T6_T7_T9_mT8_S1G_bDpT10_ENKUlT_T0_E_clISt17integral_constantIbLb1EES1T_IbLb0EEEEDaS1P_S1Q_EUlS1P_E_NS1_11comp_targetILNS1_3genE8ELNS1_11target_archE1030ELNS1_3gpuE2ELNS1_3repE0EEENS1_30default_config_static_selectorELNS0_4arch9wavefront6targetE0EEEvS12_.kd
    .uniform_work_group_size: 1
    .uses_dynamic_stack: false
    .vgpr_count:     0
    .vgpr_spill_count: 0
    .wavefront_size: 32
    .workgroup_processor_mode: 1
  - .args:
      - .offset:         0
        .size:           184
        .value_kind:     by_value
    .group_segment_fixed_size: 0
    .kernarg_segment_align: 8
    .kernarg_segment_size: 184
    .language:       OpenCL C
    .language_version:
      - 2
      - 0
    .max_flat_workgroup_size: 256
    .name:           _ZN7rocprim17ROCPRIM_400000_NS6detail17trampoline_kernelINS0_13select_configILj256ELj13ELNS0_17block_load_methodE3ELS4_3ELS4_3ELNS0_20block_scan_algorithmE0ELj4294967295EEENS1_25partition_config_selectorILNS1_17partition_subalgoE4EjNS0_10empty_typeEbEEZZNS1_14partition_implILS8_4ELb0ES6_15HIP_vector_typeIjLj2EENS0_17counting_iteratorIjlEEPS9_SG_NS0_5tupleIJPjSI_NS0_16reverse_iteratorISI_EEEEENSH_IJSG_SG_SG_EEES9_SI_JZNS1_25segmented_radix_sort_implINS0_14default_configELb0EPKfPfPKlPlN2at6native12_GLOBAL__N_18offset_tEEE10hipError_tPvRmT1_PNSt15iterator_traitsIS12_E10value_typeET2_T3_PNS13_IS18_E10value_typeET4_jRbjT5_S1E_jjP12ihipStream_tbEUljE_ZNSN_ISO_Lb0ESQ_SR_ST_SU_SY_EESZ_S10_S11_S12_S16_S17_S18_S1B_S1C_jS1D_jS1E_S1E_jjS1G_bEUljE0_EEESZ_S10_S11_S18_S1C_S1E_T6_T7_T9_mT8_S1G_bDpT10_ENKUlT_T0_E_clISt17integral_constantIbLb0EES1T_IbLb1EEEEDaS1P_S1Q_EUlS1P_E_NS1_11comp_targetILNS1_3genE0ELNS1_11target_archE4294967295ELNS1_3gpuE0ELNS1_3repE0EEENS1_30default_config_static_selectorELNS0_4arch9wavefront6targetE0EEEvS12_
    .private_segment_fixed_size: 0
    .sgpr_count:     0
    .sgpr_spill_count: 0
    .symbol:         _ZN7rocprim17ROCPRIM_400000_NS6detail17trampoline_kernelINS0_13select_configILj256ELj13ELNS0_17block_load_methodE3ELS4_3ELS4_3ELNS0_20block_scan_algorithmE0ELj4294967295EEENS1_25partition_config_selectorILNS1_17partition_subalgoE4EjNS0_10empty_typeEbEEZZNS1_14partition_implILS8_4ELb0ES6_15HIP_vector_typeIjLj2EENS0_17counting_iteratorIjlEEPS9_SG_NS0_5tupleIJPjSI_NS0_16reverse_iteratorISI_EEEEENSH_IJSG_SG_SG_EEES9_SI_JZNS1_25segmented_radix_sort_implINS0_14default_configELb0EPKfPfPKlPlN2at6native12_GLOBAL__N_18offset_tEEE10hipError_tPvRmT1_PNSt15iterator_traitsIS12_E10value_typeET2_T3_PNS13_IS18_E10value_typeET4_jRbjT5_S1E_jjP12ihipStream_tbEUljE_ZNSN_ISO_Lb0ESQ_SR_ST_SU_SY_EESZ_S10_S11_S12_S16_S17_S18_S1B_S1C_jS1D_jS1E_S1E_jjS1G_bEUljE0_EEESZ_S10_S11_S18_S1C_S1E_T6_T7_T9_mT8_S1G_bDpT10_ENKUlT_T0_E_clISt17integral_constantIbLb0EES1T_IbLb1EEEEDaS1P_S1Q_EUlS1P_E_NS1_11comp_targetILNS1_3genE0ELNS1_11target_archE4294967295ELNS1_3gpuE0ELNS1_3repE0EEENS1_30default_config_static_selectorELNS0_4arch9wavefront6targetE0EEEvS12_.kd
    .uniform_work_group_size: 1
    .uses_dynamic_stack: false
    .vgpr_count:     0
    .vgpr_spill_count: 0
    .wavefront_size: 32
    .workgroup_processor_mode: 1
  - .args:
      - .offset:         0
        .size:           184
        .value_kind:     by_value
    .group_segment_fixed_size: 0
    .kernarg_segment_align: 8
    .kernarg_segment_size: 184
    .language:       OpenCL C
    .language_version:
      - 2
      - 0
    .max_flat_workgroup_size: 256
    .name:           _ZN7rocprim17ROCPRIM_400000_NS6detail17trampoline_kernelINS0_13select_configILj256ELj13ELNS0_17block_load_methodE3ELS4_3ELS4_3ELNS0_20block_scan_algorithmE0ELj4294967295EEENS1_25partition_config_selectorILNS1_17partition_subalgoE4EjNS0_10empty_typeEbEEZZNS1_14partition_implILS8_4ELb0ES6_15HIP_vector_typeIjLj2EENS0_17counting_iteratorIjlEEPS9_SG_NS0_5tupleIJPjSI_NS0_16reverse_iteratorISI_EEEEENSH_IJSG_SG_SG_EEES9_SI_JZNS1_25segmented_radix_sort_implINS0_14default_configELb0EPKfPfPKlPlN2at6native12_GLOBAL__N_18offset_tEEE10hipError_tPvRmT1_PNSt15iterator_traitsIS12_E10value_typeET2_T3_PNS13_IS18_E10value_typeET4_jRbjT5_S1E_jjP12ihipStream_tbEUljE_ZNSN_ISO_Lb0ESQ_SR_ST_SU_SY_EESZ_S10_S11_S12_S16_S17_S18_S1B_S1C_jS1D_jS1E_S1E_jjS1G_bEUljE0_EEESZ_S10_S11_S18_S1C_S1E_T6_T7_T9_mT8_S1G_bDpT10_ENKUlT_T0_E_clISt17integral_constantIbLb0EES1T_IbLb1EEEEDaS1P_S1Q_EUlS1P_E_NS1_11comp_targetILNS1_3genE5ELNS1_11target_archE942ELNS1_3gpuE9ELNS1_3repE0EEENS1_30default_config_static_selectorELNS0_4arch9wavefront6targetE0EEEvS12_
    .private_segment_fixed_size: 0
    .sgpr_count:     0
    .sgpr_spill_count: 0
    .symbol:         _ZN7rocprim17ROCPRIM_400000_NS6detail17trampoline_kernelINS0_13select_configILj256ELj13ELNS0_17block_load_methodE3ELS4_3ELS4_3ELNS0_20block_scan_algorithmE0ELj4294967295EEENS1_25partition_config_selectorILNS1_17partition_subalgoE4EjNS0_10empty_typeEbEEZZNS1_14partition_implILS8_4ELb0ES6_15HIP_vector_typeIjLj2EENS0_17counting_iteratorIjlEEPS9_SG_NS0_5tupleIJPjSI_NS0_16reverse_iteratorISI_EEEEENSH_IJSG_SG_SG_EEES9_SI_JZNS1_25segmented_radix_sort_implINS0_14default_configELb0EPKfPfPKlPlN2at6native12_GLOBAL__N_18offset_tEEE10hipError_tPvRmT1_PNSt15iterator_traitsIS12_E10value_typeET2_T3_PNS13_IS18_E10value_typeET4_jRbjT5_S1E_jjP12ihipStream_tbEUljE_ZNSN_ISO_Lb0ESQ_SR_ST_SU_SY_EESZ_S10_S11_S12_S16_S17_S18_S1B_S1C_jS1D_jS1E_S1E_jjS1G_bEUljE0_EEESZ_S10_S11_S18_S1C_S1E_T6_T7_T9_mT8_S1G_bDpT10_ENKUlT_T0_E_clISt17integral_constantIbLb0EES1T_IbLb1EEEEDaS1P_S1Q_EUlS1P_E_NS1_11comp_targetILNS1_3genE5ELNS1_11target_archE942ELNS1_3gpuE9ELNS1_3repE0EEENS1_30default_config_static_selectorELNS0_4arch9wavefront6targetE0EEEvS12_.kd
    .uniform_work_group_size: 1
    .uses_dynamic_stack: false
    .vgpr_count:     0
    .vgpr_spill_count: 0
    .wavefront_size: 32
    .workgroup_processor_mode: 1
  - .args:
      - .offset:         0
        .size:           184
        .value_kind:     by_value
    .group_segment_fixed_size: 0
    .kernarg_segment_align: 8
    .kernarg_segment_size: 184
    .language:       OpenCL C
    .language_version:
      - 2
      - 0
    .max_flat_workgroup_size: 256
    .name:           _ZN7rocprim17ROCPRIM_400000_NS6detail17trampoline_kernelINS0_13select_configILj256ELj13ELNS0_17block_load_methodE3ELS4_3ELS4_3ELNS0_20block_scan_algorithmE0ELj4294967295EEENS1_25partition_config_selectorILNS1_17partition_subalgoE4EjNS0_10empty_typeEbEEZZNS1_14partition_implILS8_4ELb0ES6_15HIP_vector_typeIjLj2EENS0_17counting_iteratorIjlEEPS9_SG_NS0_5tupleIJPjSI_NS0_16reverse_iteratorISI_EEEEENSH_IJSG_SG_SG_EEES9_SI_JZNS1_25segmented_radix_sort_implINS0_14default_configELb0EPKfPfPKlPlN2at6native12_GLOBAL__N_18offset_tEEE10hipError_tPvRmT1_PNSt15iterator_traitsIS12_E10value_typeET2_T3_PNS13_IS18_E10value_typeET4_jRbjT5_S1E_jjP12ihipStream_tbEUljE_ZNSN_ISO_Lb0ESQ_SR_ST_SU_SY_EESZ_S10_S11_S12_S16_S17_S18_S1B_S1C_jS1D_jS1E_S1E_jjS1G_bEUljE0_EEESZ_S10_S11_S18_S1C_S1E_T6_T7_T9_mT8_S1G_bDpT10_ENKUlT_T0_E_clISt17integral_constantIbLb0EES1T_IbLb1EEEEDaS1P_S1Q_EUlS1P_E_NS1_11comp_targetILNS1_3genE4ELNS1_11target_archE910ELNS1_3gpuE8ELNS1_3repE0EEENS1_30default_config_static_selectorELNS0_4arch9wavefront6targetE0EEEvS12_
    .private_segment_fixed_size: 0
    .sgpr_count:     0
    .sgpr_spill_count: 0
    .symbol:         _ZN7rocprim17ROCPRIM_400000_NS6detail17trampoline_kernelINS0_13select_configILj256ELj13ELNS0_17block_load_methodE3ELS4_3ELS4_3ELNS0_20block_scan_algorithmE0ELj4294967295EEENS1_25partition_config_selectorILNS1_17partition_subalgoE4EjNS0_10empty_typeEbEEZZNS1_14partition_implILS8_4ELb0ES6_15HIP_vector_typeIjLj2EENS0_17counting_iteratorIjlEEPS9_SG_NS0_5tupleIJPjSI_NS0_16reverse_iteratorISI_EEEEENSH_IJSG_SG_SG_EEES9_SI_JZNS1_25segmented_radix_sort_implINS0_14default_configELb0EPKfPfPKlPlN2at6native12_GLOBAL__N_18offset_tEEE10hipError_tPvRmT1_PNSt15iterator_traitsIS12_E10value_typeET2_T3_PNS13_IS18_E10value_typeET4_jRbjT5_S1E_jjP12ihipStream_tbEUljE_ZNSN_ISO_Lb0ESQ_SR_ST_SU_SY_EESZ_S10_S11_S12_S16_S17_S18_S1B_S1C_jS1D_jS1E_S1E_jjS1G_bEUljE0_EEESZ_S10_S11_S18_S1C_S1E_T6_T7_T9_mT8_S1G_bDpT10_ENKUlT_T0_E_clISt17integral_constantIbLb0EES1T_IbLb1EEEEDaS1P_S1Q_EUlS1P_E_NS1_11comp_targetILNS1_3genE4ELNS1_11target_archE910ELNS1_3gpuE8ELNS1_3repE0EEENS1_30default_config_static_selectorELNS0_4arch9wavefront6targetE0EEEvS12_.kd
    .uniform_work_group_size: 1
    .uses_dynamic_stack: false
    .vgpr_count:     0
    .vgpr_spill_count: 0
    .wavefront_size: 32
    .workgroup_processor_mode: 1
  - .args:
      - .offset:         0
        .size:           184
        .value_kind:     by_value
    .group_segment_fixed_size: 0
    .kernarg_segment_align: 8
    .kernarg_segment_size: 184
    .language:       OpenCL C
    .language_version:
      - 2
      - 0
    .max_flat_workgroup_size: 256
    .name:           _ZN7rocprim17ROCPRIM_400000_NS6detail17trampoline_kernelINS0_13select_configILj256ELj13ELNS0_17block_load_methodE3ELS4_3ELS4_3ELNS0_20block_scan_algorithmE0ELj4294967295EEENS1_25partition_config_selectorILNS1_17partition_subalgoE4EjNS0_10empty_typeEbEEZZNS1_14partition_implILS8_4ELb0ES6_15HIP_vector_typeIjLj2EENS0_17counting_iteratorIjlEEPS9_SG_NS0_5tupleIJPjSI_NS0_16reverse_iteratorISI_EEEEENSH_IJSG_SG_SG_EEES9_SI_JZNS1_25segmented_radix_sort_implINS0_14default_configELb0EPKfPfPKlPlN2at6native12_GLOBAL__N_18offset_tEEE10hipError_tPvRmT1_PNSt15iterator_traitsIS12_E10value_typeET2_T3_PNS13_IS18_E10value_typeET4_jRbjT5_S1E_jjP12ihipStream_tbEUljE_ZNSN_ISO_Lb0ESQ_SR_ST_SU_SY_EESZ_S10_S11_S12_S16_S17_S18_S1B_S1C_jS1D_jS1E_S1E_jjS1G_bEUljE0_EEESZ_S10_S11_S18_S1C_S1E_T6_T7_T9_mT8_S1G_bDpT10_ENKUlT_T0_E_clISt17integral_constantIbLb0EES1T_IbLb1EEEEDaS1P_S1Q_EUlS1P_E_NS1_11comp_targetILNS1_3genE3ELNS1_11target_archE908ELNS1_3gpuE7ELNS1_3repE0EEENS1_30default_config_static_selectorELNS0_4arch9wavefront6targetE0EEEvS12_
    .private_segment_fixed_size: 0
    .sgpr_count:     0
    .sgpr_spill_count: 0
    .symbol:         _ZN7rocprim17ROCPRIM_400000_NS6detail17trampoline_kernelINS0_13select_configILj256ELj13ELNS0_17block_load_methodE3ELS4_3ELS4_3ELNS0_20block_scan_algorithmE0ELj4294967295EEENS1_25partition_config_selectorILNS1_17partition_subalgoE4EjNS0_10empty_typeEbEEZZNS1_14partition_implILS8_4ELb0ES6_15HIP_vector_typeIjLj2EENS0_17counting_iteratorIjlEEPS9_SG_NS0_5tupleIJPjSI_NS0_16reverse_iteratorISI_EEEEENSH_IJSG_SG_SG_EEES9_SI_JZNS1_25segmented_radix_sort_implINS0_14default_configELb0EPKfPfPKlPlN2at6native12_GLOBAL__N_18offset_tEEE10hipError_tPvRmT1_PNSt15iterator_traitsIS12_E10value_typeET2_T3_PNS13_IS18_E10value_typeET4_jRbjT5_S1E_jjP12ihipStream_tbEUljE_ZNSN_ISO_Lb0ESQ_SR_ST_SU_SY_EESZ_S10_S11_S12_S16_S17_S18_S1B_S1C_jS1D_jS1E_S1E_jjS1G_bEUljE0_EEESZ_S10_S11_S18_S1C_S1E_T6_T7_T9_mT8_S1G_bDpT10_ENKUlT_T0_E_clISt17integral_constantIbLb0EES1T_IbLb1EEEEDaS1P_S1Q_EUlS1P_E_NS1_11comp_targetILNS1_3genE3ELNS1_11target_archE908ELNS1_3gpuE7ELNS1_3repE0EEENS1_30default_config_static_selectorELNS0_4arch9wavefront6targetE0EEEvS12_.kd
    .uniform_work_group_size: 1
    .uses_dynamic_stack: false
    .vgpr_count:     0
    .vgpr_spill_count: 0
    .wavefront_size: 32
    .workgroup_processor_mode: 1
  - .args:
      - .offset:         0
        .size:           184
        .value_kind:     by_value
    .group_segment_fixed_size: 0
    .kernarg_segment_align: 8
    .kernarg_segment_size: 184
    .language:       OpenCL C
    .language_version:
      - 2
      - 0
    .max_flat_workgroup_size: 256
    .name:           _ZN7rocprim17ROCPRIM_400000_NS6detail17trampoline_kernelINS0_13select_configILj256ELj13ELNS0_17block_load_methodE3ELS4_3ELS4_3ELNS0_20block_scan_algorithmE0ELj4294967295EEENS1_25partition_config_selectorILNS1_17partition_subalgoE4EjNS0_10empty_typeEbEEZZNS1_14partition_implILS8_4ELb0ES6_15HIP_vector_typeIjLj2EENS0_17counting_iteratorIjlEEPS9_SG_NS0_5tupleIJPjSI_NS0_16reverse_iteratorISI_EEEEENSH_IJSG_SG_SG_EEES9_SI_JZNS1_25segmented_radix_sort_implINS0_14default_configELb0EPKfPfPKlPlN2at6native12_GLOBAL__N_18offset_tEEE10hipError_tPvRmT1_PNSt15iterator_traitsIS12_E10value_typeET2_T3_PNS13_IS18_E10value_typeET4_jRbjT5_S1E_jjP12ihipStream_tbEUljE_ZNSN_ISO_Lb0ESQ_SR_ST_SU_SY_EESZ_S10_S11_S12_S16_S17_S18_S1B_S1C_jS1D_jS1E_S1E_jjS1G_bEUljE0_EEESZ_S10_S11_S18_S1C_S1E_T6_T7_T9_mT8_S1G_bDpT10_ENKUlT_T0_E_clISt17integral_constantIbLb0EES1T_IbLb1EEEEDaS1P_S1Q_EUlS1P_E_NS1_11comp_targetILNS1_3genE2ELNS1_11target_archE906ELNS1_3gpuE6ELNS1_3repE0EEENS1_30default_config_static_selectorELNS0_4arch9wavefront6targetE0EEEvS12_
    .private_segment_fixed_size: 0
    .sgpr_count:     0
    .sgpr_spill_count: 0
    .symbol:         _ZN7rocprim17ROCPRIM_400000_NS6detail17trampoline_kernelINS0_13select_configILj256ELj13ELNS0_17block_load_methodE3ELS4_3ELS4_3ELNS0_20block_scan_algorithmE0ELj4294967295EEENS1_25partition_config_selectorILNS1_17partition_subalgoE4EjNS0_10empty_typeEbEEZZNS1_14partition_implILS8_4ELb0ES6_15HIP_vector_typeIjLj2EENS0_17counting_iteratorIjlEEPS9_SG_NS0_5tupleIJPjSI_NS0_16reverse_iteratorISI_EEEEENSH_IJSG_SG_SG_EEES9_SI_JZNS1_25segmented_radix_sort_implINS0_14default_configELb0EPKfPfPKlPlN2at6native12_GLOBAL__N_18offset_tEEE10hipError_tPvRmT1_PNSt15iterator_traitsIS12_E10value_typeET2_T3_PNS13_IS18_E10value_typeET4_jRbjT5_S1E_jjP12ihipStream_tbEUljE_ZNSN_ISO_Lb0ESQ_SR_ST_SU_SY_EESZ_S10_S11_S12_S16_S17_S18_S1B_S1C_jS1D_jS1E_S1E_jjS1G_bEUljE0_EEESZ_S10_S11_S18_S1C_S1E_T6_T7_T9_mT8_S1G_bDpT10_ENKUlT_T0_E_clISt17integral_constantIbLb0EES1T_IbLb1EEEEDaS1P_S1Q_EUlS1P_E_NS1_11comp_targetILNS1_3genE2ELNS1_11target_archE906ELNS1_3gpuE6ELNS1_3repE0EEENS1_30default_config_static_selectorELNS0_4arch9wavefront6targetE0EEEvS12_.kd
    .uniform_work_group_size: 1
    .uses_dynamic_stack: false
    .vgpr_count:     0
    .vgpr_spill_count: 0
    .wavefront_size: 32
    .workgroup_processor_mode: 1
  - .args:
      - .offset:         0
        .size:           184
        .value_kind:     by_value
    .group_segment_fixed_size: 0
    .kernarg_segment_align: 8
    .kernarg_segment_size: 184
    .language:       OpenCL C
    .language_version:
      - 2
      - 0
    .max_flat_workgroup_size: 256
    .name:           _ZN7rocprim17ROCPRIM_400000_NS6detail17trampoline_kernelINS0_13select_configILj256ELj13ELNS0_17block_load_methodE3ELS4_3ELS4_3ELNS0_20block_scan_algorithmE0ELj4294967295EEENS1_25partition_config_selectorILNS1_17partition_subalgoE4EjNS0_10empty_typeEbEEZZNS1_14partition_implILS8_4ELb0ES6_15HIP_vector_typeIjLj2EENS0_17counting_iteratorIjlEEPS9_SG_NS0_5tupleIJPjSI_NS0_16reverse_iteratorISI_EEEEENSH_IJSG_SG_SG_EEES9_SI_JZNS1_25segmented_radix_sort_implINS0_14default_configELb0EPKfPfPKlPlN2at6native12_GLOBAL__N_18offset_tEEE10hipError_tPvRmT1_PNSt15iterator_traitsIS12_E10value_typeET2_T3_PNS13_IS18_E10value_typeET4_jRbjT5_S1E_jjP12ihipStream_tbEUljE_ZNSN_ISO_Lb0ESQ_SR_ST_SU_SY_EESZ_S10_S11_S12_S16_S17_S18_S1B_S1C_jS1D_jS1E_S1E_jjS1G_bEUljE0_EEESZ_S10_S11_S18_S1C_S1E_T6_T7_T9_mT8_S1G_bDpT10_ENKUlT_T0_E_clISt17integral_constantIbLb0EES1T_IbLb1EEEEDaS1P_S1Q_EUlS1P_E_NS1_11comp_targetILNS1_3genE10ELNS1_11target_archE1200ELNS1_3gpuE4ELNS1_3repE0EEENS1_30default_config_static_selectorELNS0_4arch9wavefront6targetE0EEEvS12_
    .private_segment_fixed_size: 0
    .sgpr_count:     0
    .sgpr_spill_count: 0
    .symbol:         _ZN7rocprim17ROCPRIM_400000_NS6detail17trampoline_kernelINS0_13select_configILj256ELj13ELNS0_17block_load_methodE3ELS4_3ELS4_3ELNS0_20block_scan_algorithmE0ELj4294967295EEENS1_25partition_config_selectorILNS1_17partition_subalgoE4EjNS0_10empty_typeEbEEZZNS1_14partition_implILS8_4ELb0ES6_15HIP_vector_typeIjLj2EENS0_17counting_iteratorIjlEEPS9_SG_NS0_5tupleIJPjSI_NS0_16reverse_iteratorISI_EEEEENSH_IJSG_SG_SG_EEES9_SI_JZNS1_25segmented_radix_sort_implINS0_14default_configELb0EPKfPfPKlPlN2at6native12_GLOBAL__N_18offset_tEEE10hipError_tPvRmT1_PNSt15iterator_traitsIS12_E10value_typeET2_T3_PNS13_IS18_E10value_typeET4_jRbjT5_S1E_jjP12ihipStream_tbEUljE_ZNSN_ISO_Lb0ESQ_SR_ST_SU_SY_EESZ_S10_S11_S12_S16_S17_S18_S1B_S1C_jS1D_jS1E_S1E_jjS1G_bEUljE0_EEESZ_S10_S11_S18_S1C_S1E_T6_T7_T9_mT8_S1G_bDpT10_ENKUlT_T0_E_clISt17integral_constantIbLb0EES1T_IbLb1EEEEDaS1P_S1Q_EUlS1P_E_NS1_11comp_targetILNS1_3genE10ELNS1_11target_archE1200ELNS1_3gpuE4ELNS1_3repE0EEENS1_30default_config_static_selectorELNS0_4arch9wavefront6targetE0EEEvS12_.kd
    .uniform_work_group_size: 1
    .uses_dynamic_stack: false
    .vgpr_count:     0
    .vgpr_spill_count: 0
    .wavefront_size: 32
    .workgroup_processor_mode: 1
  - .args:
      - .offset:         0
        .size:           184
        .value_kind:     by_value
    .group_segment_fixed_size: 13340
    .kernarg_segment_align: 8
    .kernarg_segment_size: 184
    .language:       OpenCL C
    .language_version:
      - 2
      - 0
    .max_flat_workgroup_size: 256
    .name:           _ZN7rocprim17ROCPRIM_400000_NS6detail17trampoline_kernelINS0_13select_configILj256ELj13ELNS0_17block_load_methodE3ELS4_3ELS4_3ELNS0_20block_scan_algorithmE0ELj4294967295EEENS1_25partition_config_selectorILNS1_17partition_subalgoE4EjNS0_10empty_typeEbEEZZNS1_14partition_implILS8_4ELb0ES6_15HIP_vector_typeIjLj2EENS0_17counting_iteratorIjlEEPS9_SG_NS0_5tupleIJPjSI_NS0_16reverse_iteratorISI_EEEEENSH_IJSG_SG_SG_EEES9_SI_JZNS1_25segmented_radix_sort_implINS0_14default_configELb0EPKfPfPKlPlN2at6native12_GLOBAL__N_18offset_tEEE10hipError_tPvRmT1_PNSt15iterator_traitsIS12_E10value_typeET2_T3_PNS13_IS18_E10value_typeET4_jRbjT5_S1E_jjP12ihipStream_tbEUljE_ZNSN_ISO_Lb0ESQ_SR_ST_SU_SY_EESZ_S10_S11_S12_S16_S17_S18_S1B_S1C_jS1D_jS1E_S1E_jjS1G_bEUljE0_EEESZ_S10_S11_S18_S1C_S1E_T6_T7_T9_mT8_S1G_bDpT10_ENKUlT_T0_E_clISt17integral_constantIbLb0EES1T_IbLb1EEEEDaS1P_S1Q_EUlS1P_E_NS1_11comp_targetILNS1_3genE9ELNS1_11target_archE1100ELNS1_3gpuE3ELNS1_3repE0EEENS1_30default_config_static_selectorELNS0_4arch9wavefront6targetE0EEEvS12_
    .private_segment_fixed_size: 0
    .sgpr_count:     57
    .sgpr_spill_count: 0
    .symbol:         _ZN7rocprim17ROCPRIM_400000_NS6detail17trampoline_kernelINS0_13select_configILj256ELj13ELNS0_17block_load_methodE3ELS4_3ELS4_3ELNS0_20block_scan_algorithmE0ELj4294967295EEENS1_25partition_config_selectorILNS1_17partition_subalgoE4EjNS0_10empty_typeEbEEZZNS1_14partition_implILS8_4ELb0ES6_15HIP_vector_typeIjLj2EENS0_17counting_iteratorIjlEEPS9_SG_NS0_5tupleIJPjSI_NS0_16reverse_iteratorISI_EEEEENSH_IJSG_SG_SG_EEES9_SI_JZNS1_25segmented_radix_sort_implINS0_14default_configELb0EPKfPfPKlPlN2at6native12_GLOBAL__N_18offset_tEEE10hipError_tPvRmT1_PNSt15iterator_traitsIS12_E10value_typeET2_T3_PNS13_IS18_E10value_typeET4_jRbjT5_S1E_jjP12ihipStream_tbEUljE_ZNSN_ISO_Lb0ESQ_SR_ST_SU_SY_EESZ_S10_S11_S12_S16_S17_S18_S1B_S1C_jS1D_jS1E_S1E_jjS1G_bEUljE0_EEESZ_S10_S11_S18_S1C_S1E_T6_T7_T9_mT8_S1G_bDpT10_ENKUlT_T0_E_clISt17integral_constantIbLb0EES1T_IbLb1EEEEDaS1P_S1Q_EUlS1P_E_NS1_11comp_targetILNS1_3genE9ELNS1_11target_archE1100ELNS1_3gpuE3ELNS1_3repE0EEENS1_30default_config_static_selectorELNS0_4arch9wavefront6targetE0EEEvS12_.kd
    .uniform_work_group_size: 1
    .uses_dynamic_stack: false
    .vgpr_count:     103
    .vgpr_spill_count: 0
    .wavefront_size: 32
    .workgroup_processor_mode: 1
  - .args:
      - .offset:         0
        .size:           184
        .value_kind:     by_value
    .group_segment_fixed_size: 0
    .kernarg_segment_align: 8
    .kernarg_segment_size: 184
    .language:       OpenCL C
    .language_version:
      - 2
      - 0
    .max_flat_workgroup_size: 256
    .name:           _ZN7rocprim17ROCPRIM_400000_NS6detail17trampoline_kernelINS0_13select_configILj256ELj13ELNS0_17block_load_methodE3ELS4_3ELS4_3ELNS0_20block_scan_algorithmE0ELj4294967295EEENS1_25partition_config_selectorILNS1_17partition_subalgoE4EjNS0_10empty_typeEbEEZZNS1_14partition_implILS8_4ELb0ES6_15HIP_vector_typeIjLj2EENS0_17counting_iteratorIjlEEPS9_SG_NS0_5tupleIJPjSI_NS0_16reverse_iteratorISI_EEEEENSH_IJSG_SG_SG_EEES9_SI_JZNS1_25segmented_radix_sort_implINS0_14default_configELb0EPKfPfPKlPlN2at6native12_GLOBAL__N_18offset_tEEE10hipError_tPvRmT1_PNSt15iterator_traitsIS12_E10value_typeET2_T3_PNS13_IS18_E10value_typeET4_jRbjT5_S1E_jjP12ihipStream_tbEUljE_ZNSN_ISO_Lb0ESQ_SR_ST_SU_SY_EESZ_S10_S11_S12_S16_S17_S18_S1B_S1C_jS1D_jS1E_S1E_jjS1G_bEUljE0_EEESZ_S10_S11_S18_S1C_S1E_T6_T7_T9_mT8_S1G_bDpT10_ENKUlT_T0_E_clISt17integral_constantIbLb0EES1T_IbLb1EEEEDaS1P_S1Q_EUlS1P_E_NS1_11comp_targetILNS1_3genE8ELNS1_11target_archE1030ELNS1_3gpuE2ELNS1_3repE0EEENS1_30default_config_static_selectorELNS0_4arch9wavefront6targetE0EEEvS12_
    .private_segment_fixed_size: 0
    .sgpr_count:     0
    .sgpr_spill_count: 0
    .symbol:         _ZN7rocprim17ROCPRIM_400000_NS6detail17trampoline_kernelINS0_13select_configILj256ELj13ELNS0_17block_load_methodE3ELS4_3ELS4_3ELNS0_20block_scan_algorithmE0ELj4294967295EEENS1_25partition_config_selectorILNS1_17partition_subalgoE4EjNS0_10empty_typeEbEEZZNS1_14partition_implILS8_4ELb0ES6_15HIP_vector_typeIjLj2EENS0_17counting_iteratorIjlEEPS9_SG_NS0_5tupleIJPjSI_NS0_16reverse_iteratorISI_EEEEENSH_IJSG_SG_SG_EEES9_SI_JZNS1_25segmented_radix_sort_implINS0_14default_configELb0EPKfPfPKlPlN2at6native12_GLOBAL__N_18offset_tEEE10hipError_tPvRmT1_PNSt15iterator_traitsIS12_E10value_typeET2_T3_PNS13_IS18_E10value_typeET4_jRbjT5_S1E_jjP12ihipStream_tbEUljE_ZNSN_ISO_Lb0ESQ_SR_ST_SU_SY_EESZ_S10_S11_S12_S16_S17_S18_S1B_S1C_jS1D_jS1E_S1E_jjS1G_bEUljE0_EEESZ_S10_S11_S18_S1C_S1E_T6_T7_T9_mT8_S1G_bDpT10_ENKUlT_T0_E_clISt17integral_constantIbLb0EES1T_IbLb1EEEEDaS1P_S1Q_EUlS1P_E_NS1_11comp_targetILNS1_3genE8ELNS1_11target_archE1030ELNS1_3gpuE2ELNS1_3repE0EEENS1_30default_config_static_selectorELNS0_4arch9wavefront6targetE0EEEvS12_.kd
    .uniform_work_group_size: 1
    .uses_dynamic_stack: false
    .vgpr_count:     0
    .vgpr_spill_count: 0
    .wavefront_size: 32
    .workgroup_processor_mode: 1
  - .args:
      - .offset:         0
        .size:           144
        .value_kind:     by_value
    .group_segment_fixed_size: 0
    .kernarg_segment_align: 8
    .kernarg_segment_size: 144
    .language:       OpenCL C
    .language_version:
      - 2
      - 0
    .max_flat_workgroup_size: 256
    .name:           _ZN7rocprim17ROCPRIM_400000_NS6detail17trampoline_kernelINS0_13select_configILj256ELj13ELNS0_17block_load_methodE3ELS4_3ELS4_3ELNS0_20block_scan_algorithmE0ELj4294967295EEENS1_25partition_config_selectorILNS1_17partition_subalgoE3EjNS0_10empty_typeEbEEZZNS1_14partition_implILS8_3ELb0ES6_jNS0_17counting_iteratorIjlEEPS9_SE_NS0_5tupleIJPjSE_EEENSF_IJSE_SE_EEES9_SG_JZNS1_25segmented_radix_sort_implINS0_14default_configELb0EPKfPfPKlPlN2at6native12_GLOBAL__N_18offset_tEEE10hipError_tPvRmT1_PNSt15iterator_traitsISY_E10value_typeET2_T3_PNSZ_IS14_E10value_typeET4_jRbjT5_S1A_jjP12ihipStream_tbEUljE_EEESV_SW_SX_S14_S18_S1A_T6_T7_T9_mT8_S1C_bDpT10_ENKUlT_T0_E_clISt17integral_constantIbLb0EES1P_EEDaS1K_S1L_EUlS1K_E_NS1_11comp_targetILNS1_3genE0ELNS1_11target_archE4294967295ELNS1_3gpuE0ELNS1_3repE0EEENS1_30default_config_static_selectorELNS0_4arch9wavefront6targetE0EEEvSY_
    .private_segment_fixed_size: 0
    .sgpr_count:     0
    .sgpr_spill_count: 0
    .symbol:         _ZN7rocprim17ROCPRIM_400000_NS6detail17trampoline_kernelINS0_13select_configILj256ELj13ELNS0_17block_load_methodE3ELS4_3ELS4_3ELNS0_20block_scan_algorithmE0ELj4294967295EEENS1_25partition_config_selectorILNS1_17partition_subalgoE3EjNS0_10empty_typeEbEEZZNS1_14partition_implILS8_3ELb0ES6_jNS0_17counting_iteratorIjlEEPS9_SE_NS0_5tupleIJPjSE_EEENSF_IJSE_SE_EEES9_SG_JZNS1_25segmented_radix_sort_implINS0_14default_configELb0EPKfPfPKlPlN2at6native12_GLOBAL__N_18offset_tEEE10hipError_tPvRmT1_PNSt15iterator_traitsISY_E10value_typeET2_T3_PNSZ_IS14_E10value_typeET4_jRbjT5_S1A_jjP12ihipStream_tbEUljE_EEESV_SW_SX_S14_S18_S1A_T6_T7_T9_mT8_S1C_bDpT10_ENKUlT_T0_E_clISt17integral_constantIbLb0EES1P_EEDaS1K_S1L_EUlS1K_E_NS1_11comp_targetILNS1_3genE0ELNS1_11target_archE4294967295ELNS1_3gpuE0ELNS1_3repE0EEENS1_30default_config_static_selectorELNS0_4arch9wavefront6targetE0EEEvSY_.kd
    .uniform_work_group_size: 1
    .uses_dynamic_stack: false
    .vgpr_count:     0
    .vgpr_spill_count: 0
    .wavefront_size: 32
    .workgroup_processor_mode: 1
  - .args:
      - .offset:         0
        .size:           144
        .value_kind:     by_value
    .group_segment_fixed_size: 0
    .kernarg_segment_align: 8
    .kernarg_segment_size: 144
    .language:       OpenCL C
    .language_version:
      - 2
      - 0
    .max_flat_workgroup_size: 256
    .name:           _ZN7rocprim17ROCPRIM_400000_NS6detail17trampoline_kernelINS0_13select_configILj256ELj13ELNS0_17block_load_methodE3ELS4_3ELS4_3ELNS0_20block_scan_algorithmE0ELj4294967295EEENS1_25partition_config_selectorILNS1_17partition_subalgoE3EjNS0_10empty_typeEbEEZZNS1_14partition_implILS8_3ELb0ES6_jNS0_17counting_iteratorIjlEEPS9_SE_NS0_5tupleIJPjSE_EEENSF_IJSE_SE_EEES9_SG_JZNS1_25segmented_radix_sort_implINS0_14default_configELb0EPKfPfPKlPlN2at6native12_GLOBAL__N_18offset_tEEE10hipError_tPvRmT1_PNSt15iterator_traitsISY_E10value_typeET2_T3_PNSZ_IS14_E10value_typeET4_jRbjT5_S1A_jjP12ihipStream_tbEUljE_EEESV_SW_SX_S14_S18_S1A_T6_T7_T9_mT8_S1C_bDpT10_ENKUlT_T0_E_clISt17integral_constantIbLb0EES1P_EEDaS1K_S1L_EUlS1K_E_NS1_11comp_targetILNS1_3genE5ELNS1_11target_archE942ELNS1_3gpuE9ELNS1_3repE0EEENS1_30default_config_static_selectorELNS0_4arch9wavefront6targetE0EEEvSY_
    .private_segment_fixed_size: 0
    .sgpr_count:     0
    .sgpr_spill_count: 0
    .symbol:         _ZN7rocprim17ROCPRIM_400000_NS6detail17trampoline_kernelINS0_13select_configILj256ELj13ELNS0_17block_load_methodE3ELS4_3ELS4_3ELNS0_20block_scan_algorithmE0ELj4294967295EEENS1_25partition_config_selectorILNS1_17partition_subalgoE3EjNS0_10empty_typeEbEEZZNS1_14partition_implILS8_3ELb0ES6_jNS0_17counting_iteratorIjlEEPS9_SE_NS0_5tupleIJPjSE_EEENSF_IJSE_SE_EEES9_SG_JZNS1_25segmented_radix_sort_implINS0_14default_configELb0EPKfPfPKlPlN2at6native12_GLOBAL__N_18offset_tEEE10hipError_tPvRmT1_PNSt15iterator_traitsISY_E10value_typeET2_T3_PNSZ_IS14_E10value_typeET4_jRbjT5_S1A_jjP12ihipStream_tbEUljE_EEESV_SW_SX_S14_S18_S1A_T6_T7_T9_mT8_S1C_bDpT10_ENKUlT_T0_E_clISt17integral_constantIbLb0EES1P_EEDaS1K_S1L_EUlS1K_E_NS1_11comp_targetILNS1_3genE5ELNS1_11target_archE942ELNS1_3gpuE9ELNS1_3repE0EEENS1_30default_config_static_selectorELNS0_4arch9wavefront6targetE0EEEvSY_.kd
    .uniform_work_group_size: 1
    .uses_dynamic_stack: false
    .vgpr_count:     0
    .vgpr_spill_count: 0
    .wavefront_size: 32
    .workgroup_processor_mode: 1
  - .args:
      - .offset:         0
        .size:           144
        .value_kind:     by_value
    .group_segment_fixed_size: 0
    .kernarg_segment_align: 8
    .kernarg_segment_size: 144
    .language:       OpenCL C
    .language_version:
      - 2
      - 0
    .max_flat_workgroup_size: 256
    .name:           _ZN7rocprim17ROCPRIM_400000_NS6detail17trampoline_kernelINS0_13select_configILj256ELj13ELNS0_17block_load_methodE3ELS4_3ELS4_3ELNS0_20block_scan_algorithmE0ELj4294967295EEENS1_25partition_config_selectorILNS1_17partition_subalgoE3EjNS0_10empty_typeEbEEZZNS1_14partition_implILS8_3ELb0ES6_jNS0_17counting_iteratorIjlEEPS9_SE_NS0_5tupleIJPjSE_EEENSF_IJSE_SE_EEES9_SG_JZNS1_25segmented_radix_sort_implINS0_14default_configELb0EPKfPfPKlPlN2at6native12_GLOBAL__N_18offset_tEEE10hipError_tPvRmT1_PNSt15iterator_traitsISY_E10value_typeET2_T3_PNSZ_IS14_E10value_typeET4_jRbjT5_S1A_jjP12ihipStream_tbEUljE_EEESV_SW_SX_S14_S18_S1A_T6_T7_T9_mT8_S1C_bDpT10_ENKUlT_T0_E_clISt17integral_constantIbLb0EES1P_EEDaS1K_S1L_EUlS1K_E_NS1_11comp_targetILNS1_3genE4ELNS1_11target_archE910ELNS1_3gpuE8ELNS1_3repE0EEENS1_30default_config_static_selectorELNS0_4arch9wavefront6targetE0EEEvSY_
    .private_segment_fixed_size: 0
    .sgpr_count:     0
    .sgpr_spill_count: 0
    .symbol:         _ZN7rocprim17ROCPRIM_400000_NS6detail17trampoline_kernelINS0_13select_configILj256ELj13ELNS0_17block_load_methodE3ELS4_3ELS4_3ELNS0_20block_scan_algorithmE0ELj4294967295EEENS1_25partition_config_selectorILNS1_17partition_subalgoE3EjNS0_10empty_typeEbEEZZNS1_14partition_implILS8_3ELb0ES6_jNS0_17counting_iteratorIjlEEPS9_SE_NS0_5tupleIJPjSE_EEENSF_IJSE_SE_EEES9_SG_JZNS1_25segmented_radix_sort_implINS0_14default_configELb0EPKfPfPKlPlN2at6native12_GLOBAL__N_18offset_tEEE10hipError_tPvRmT1_PNSt15iterator_traitsISY_E10value_typeET2_T3_PNSZ_IS14_E10value_typeET4_jRbjT5_S1A_jjP12ihipStream_tbEUljE_EEESV_SW_SX_S14_S18_S1A_T6_T7_T9_mT8_S1C_bDpT10_ENKUlT_T0_E_clISt17integral_constantIbLb0EES1P_EEDaS1K_S1L_EUlS1K_E_NS1_11comp_targetILNS1_3genE4ELNS1_11target_archE910ELNS1_3gpuE8ELNS1_3repE0EEENS1_30default_config_static_selectorELNS0_4arch9wavefront6targetE0EEEvSY_.kd
    .uniform_work_group_size: 1
    .uses_dynamic_stack: false
    .vgpr_count:     0
    .vgpr_spill_count: 0
    .wavefront_size: 32
    .workgroup_processor_mode: 1
  - .args:
      - .offset:         0
        .size:           144
        .value_kind:     by_value
    .group_segment_fixed_size: 0
    .kernarg_segment_align: 8
    .kernarg_segment_size: 144
    .language:       OpenCL C
    .language_version:
      - 2
      - 0
    .max_flat_workgroup_size: 256
    .name:           _ZN7rocprim17ROCPRIM_400000_NS6detail17trampoline_kernelINS0_13select_configILj256ELj13ELNS0_17block_load_methodE3ELS4_3ELS4_3ELNS0_20block_scan_algorithmE0ELj4294967295EEENS1_25partition_config_selectorILNS1_17partition_subalgoE3EjNS0_10empty_typeEbEEZZNS1_14partition_implILS8_3ELb0ES6_jNS0_17counting_iteratorIjlEEPS9_SE_NS0_5tupleIJPjSE_EEENSF_IJSE_SE_EEES9_SG_JZNS1_25segmented_radix_sort_implINS0_14default_configELb0EPKfPfPKlPlN2at6native12_GLOBAL__N_18offset_tEEE10hipError_tPvRmT1_PNSt15iterator_traitsISY_E10value_typeET2_T3_PNSZ_IS14_E10value_typeET4_jRbjT5_S1A_jjP12ihipStream_tbEUljE_EEESV_SW_SX_S14_S18_S1A_T6_T7_T9_mT8_S1C_bDpT10_ENKUlT_T0_E_clISt17integral_constantIbLb0EES1P_EEDaS1K_S1L_EUlS1K_E_NS1_11comp_targetILNS1_3genE3ELNS1_11target_archE908ELNS1_3gpuE7ELNS1_3repE0EEENS1_30default_config_static_selectorELNS0_4arch9wavefront6targetE0EEEvSY_
    .private_segment_fixed_size: 0
    .sgpr_count:     0
    .sgpr_spill_count: 0
    .symbol:         _ZN7rocprim17ROCPRIM_400000_NS6detail17trampoline_kernelINS0_13select_configILj256ELj13ELNS0_17block_load_methodE3ELS4_3ELS4_3ELNS0_20block_scan_algorithmE0ELj4294967295EEENS1_25partition_config_selectorILNS1_17partition_subalgoE3EjNS0_10empty_typeEbEEZZNS1_14partition_implILS8_3ELb0ES6_jNS0_17counting_iteratorIjlEEPS9_SE_NS0_5tupleIJPjSE_EEENSF_IJSE_SE_EEES9_SG_JZNS1_25segmented_radix_sort_implINS0_14default_configELb0EPKfPfPKlPlN2at6native12_GLOBAL__N_18offset_tEEE10hipError_tPvRmT1_PNSt15iterator_traitsISY_E10value_typeET2_T3_PNSZ_IS14_E10value_typeET4_jRbjT5_S1A_jjP12ihipStream_tbEUljE_EEESV_SW_SX_S14_S18_S1A_T6_T7_T9_mT8_S1C_bDpT10_ENKUlT_T0_E_clISt17integral_constantIbLb0EES1P_EEDaS1K_S1L_EUlS1K_E_NS1_11comp_targetILNS1_3genE3ELNS1_11target_archE908ELNS1_3gpuE7ELNS1_3repE0EEENS1_30default_config_static_selectorELNS0_4arch9wavefront6targetE0EEEvSY_.kd
    .uniform_work_group_size: 1
    .uses_dynamic_stack: false
    .vgpr_count:     0
    .vgpr_spill_count: 0
    .wavefront_size: 32
    .workgroup_processor_mode: 1
  - .args:
      - .offset:         0
        .size:           144
        .value_kind:     by_value
    .group_segment_fixed_size: 0
    .kernarg_segment_align: 8
    .kernarg_segment_size: 144
    .language:       OpenCL C
    .language_version:
      - 2
      - 0
    .max_flat_workgroup_size: 256
    .name:           _ZN7rocprim17ROCPRIM_400000_NS6detail17trampoline_kernelINS0_13select_configILj256ELj13ELNS0_17block_load_methodE3ELS4_3ELS4_3ELNS0_20block_scan_algorithmE0ELj4294967295EEENS1_25partition_config_selectorILNS1_17partition_subalgoE3EjNS0_10empty_typeEbEEZZNS1_14partition_implILS8_3ELb0ES6_jNS0_17counting_iteratorIjlEEPS9_SE_NS0_5tupleIJPjSE_EEENSF_IJSE_SE_EEES9_SG_JZNS1_25segmented_radix_sort_implINS0_14default_configELb0EPKfPfPKlPlN2at6native12_GLOBAL__N_18offset_tEEE10hipError_tPvRmT1_PNSt15iterator_traitsISY_E10value_typeET2_T3_PNSZ_IS14_E10value_typeET4_jRbjT5_S1A_jjP12ihipStream_tbEUljE_EEESV_SW_SX_S14_S18_S1A_T6_T7_T9_mT8_S1C_bDpT10_ENKUlT_T0_E_clISt17integral_constantIbLb0EES1P_EEDaS1K_S1L_EUlS1K_E_NS1_11comp_targetILNS1_3genE2ELNS1_11target_archE906ELNS1_3gpuE6ELNS1_3repE0EEENS1_30default_config_static_selectorELNS0_4arch9wavefront6targetE0EEEvSY_
    .private_segment_fixed_size: 0
    .sgpr_count:     0
    .sgpr_spill_count: 0
    .symbol:         _ZN7rocprim17ROCPRIM_400000_NS6detail17trampoline_kernelINS0_13select_configILj256ELj13ELNS0_17block_load_methodE3ELS4_3ELS4_3ELNS0_20block_scan_algorithmE0ELj4294967295EEENS1_25partition_config_selectorILNS1_17partition_subalgoE3EjNS0_10empty_typeEbEEZZNS1_14partition_implILS8_3ELb0ES6_jNS0_17counting_iteratorIjlEEPS9_SE_NS0_5tupleIJPjSE_EEENSF_IJSE_SE_EEES9_SG_JZNS1_25segmented_radix_sort_implINS0_14default_configELb0EPKfPfPKlPlN2at6native12_GLOBAL__N_18offset_tEEE10hipError_tPvRmT1_PNSt15iterator_traitsISY_E10value_typeET2_T3_PNSZ_IS14_E10value_typeET4_jRbjT5_S1A_jjP12ihipStream_tbEUljE_EEESV_SW_SX_S14_S18_S1A_T6_T7_T9_mT8_S1C_bDpT10_ENKUlT_T0_E_clISt17integral_constantIbLb0EES1P_EEDaS1K_S1L_EUlS1K_E_NS1_11comp_targetILNS1_3genE2ELNS1_11target_archE906ELNS1_3gpuE6ELNS1_3repE0EEENS1_30default_config_static_selectorELNS0_4arch9wavefront6targetE0EEEvSY_.kd
    .uniform_work_group_size: 1
    .uses_dynamic_stack: false
    .vgpr_count:     0
    .vgpr_spill_count: 0
    .wavefront_size: 32
    .workgroup_processor_mode: 1
  - .args:
      - .offset:         0
        .size:           144
        .value_kind:     by_value
    .group_segment_fixed_size: 0
    .kernarg_segment_align: 8
    .kernarg_segment_size: 144
    .language:       OpenCL C
    .language_version:
      - 2
      - 0
    .max_flat_workgroup_size: 256
    .name:           _ZN7rocprim17ROCPRIM_400000_NS6detail17trampoline_kernelINS0_13select_configILj256ELj13ELNS0_17block_load_methodE3ELS4_3ELS4_3ELNS0_20block_scan_algorithmE0ELj4294967295EEENS1_25partition_config_selectorILNS1_17partition_subalgoE3EjNS0_10empty_typeEbEEZZNS1_14partition_implILS8_3ELb0ES6_jNS0_17counting_iteratorIjlEEPS9_SE_NS0_5tupleIJPjSE_EEENSF_IJSE_SE_EEES9_SG_JZNS1_25segmented_radix_sort_implINS0_14default_configELb0EPKfPfPKlPlN2at6native12_GLOBAL__N_18offset_tEEE10hipError_tPvRmT1_PNSt15iterator_traitsISY_E10value_typeET2_T3_PNSZ_IS14_E10value_typeET4_jRbjT5_S1A_jjP12ihipStream_tbEUljE_EEESV_SW_SX_S14_S18_S1A_T6_T7_T9_mT8_S1C_bDpT10_ENKUlT_T0_E_clISt17integral_constantIbLb0EES1P_EEDaS1K_S1L_EUlS1K_E_NS1_11comp_targetILNS1_3genE10ELNS1_11target_archE1200ELNS1_3gpuE4ELNS1_3repE0EEENS1_30default_config_static_selectorELNS0_4arch9wavefront6targetE0EEEvSY_
    .private_segment_fixed_size: 0
    .sgpr_count:     0
    .sgpr_spill_count: 0
    .symbol:         _ZN7rocprim17ROCPRIM_400000_NS6detail17trampoline_kernelINS0_13select_configILj256ELj13ELNS0_17block_load_methodE3ELS4_3ELS4_3ELNS0_20block_scan_algorithmE0ELj4294967295EEENS1_25partition_config_selectorILNS1_17partition_subalgoE3EjNS0_10empty_typeEbEEZZNS1_14partition_implILS8_3ELb0ES6_jNS0_17counting_iteratorIjlEEPS9_SE_NS0_5tupleIJPjSE_EEENSF_IJSE_SE_EEES9_SG_JZNS1_25segmented_radix_sort_implINS0_14default_configELb0EPKfPfPKlPlN2at6native12_GLOBAL__N_18offset_tEEE10hipError_tPvRmT1_PNSt15iterator_traitsISY_E10value_typeET2_T3_PNSZ_IS14_E10value_typeET4_jRbjT5_S1A_jjP12ihipStream_tbEUljE_EEESV_SW_SX_S14_S18_S1A_T6_T7_T9_mT8_S1C_bDpT10_ENKUlT_T0_E_clISt17integral_constantIbLb0EES1P_EEDaS1K_S1L_EUlS1K_E_NS1_11comp_targetILNS1_3genE10ELNS1_11target_archE1200ELNS1_3gpuE4ELNS1_3repE0EEENS1_30default_config_static_selectorELNS0_4arch9wavefront6targetE0EEEvSY_.kd
    .uniform_work_group_size: 1
    .uses_dynamic_stack: false
    .vgpr_count:     0
    .vgpr_spill_count: 0
    .wavefront_size: 32
    .workgroup_processor_mode: 1
  - .args:
      - .offset:         0
        .size:           144
        .value_kind:     by_value
    .group_segment_fixed_size: 13324
    .kernarg_segment_align: 8
    .kernarg_segment_size: 144
    .language:       OpenCL C
    .language_version:
      - 2
      - 0
    .max_flat_workgroup_size: 256
    .name:           _ZN7rocprim17ROCPRIM_400000_NS6detail17trampoline_kernelINS0_13select_configILj256ELj13ELNS0_17block_load_methodE3ELS4_3ELS4_3ELNS0_20block_scan_algorithmE0ELj4294967295EEENS1_25partition_config_selectorILNS1_17partition_subalgoE3EjNS0_10empty_typeEbEEZZNS1_14partition_implILS8_3ELb0ES6_jNS0_17counting_iteratorIjlEEPS9_SE_NS0_5tupleIJPjSE_EEENSF_IJSE_SE_EEES9_SG_JZNS1_25segmented_radix_sort_implINS0_14default_configELb0EPKfPfPKlPlN2at6native12_GLOBAL__N_18offset_tEEE10hipError_tPvRmT1_PNSt15iterator_traitsISY_E10value_typeET2_T3_PNSZ_IS14_E10value_typeET4_jRbjT5_S1A_jjP12ihipStream_tbEUljE_EEESV_SW_SX_S14_S18_S1A_T6_T7_T9_mT8_S1C_bDpT10_ENKUlT_T0_E_clISt17integral_constantIbLb0EES1P_EEDaS1K_S1L_EUlS1K_E_NS1_11comp_targetILNS1_3genE9ELNS1_11target_archE1100ELNS1_3gpuE3ELNS1_3repE0EEENS1_30default_config_static_selectorELNS0_4arch9wavefront6targetE0EEEvSY_
    .private_segment_fixed_size: 0
    .sgpr_count:     30
    .sgpr_spill_count: 0
    .symbol:         _ZN7rocprim17ROCPRIM_400000_NS6detail17trampoline_kernelINS0_13select_configILj256ELj13ELNS0_17block_load_methodE3ELS4_3ELS4_3ELNS0_20block_scan_algorithmE0ELj4294967295EEENS1_25partition_config_selectorILNS1_17partition_subalgoE3EjNS0_10empty_typeEbEEZZNS1_14partition_implILS8_3ELb0ES6_jNS0_17counting_iteratorIjlEEPS9_SE_NS0_5tupleIJPjSE_EEENSF_IJSE_SE_EEES9_SG_JZNS1_25segmented_radix_sort_implINS0_14default_configELb0EPKfPfPKlPlN2at6native12_GLOBAL__N_18offset_tEEE10hipError_tPvRmT1_PNSt15iterator_traitsISY_E10value_typeET2_T3_PNSZ_IS14_E10value_typeET4_jRbjT5_S1A_jjP12ihipStream_tbEUljE_EEESV_SW_SX_S14_S18_S1A_T6_T7_T9_mT8_S1C_bDpT10_ENKUlT_T0_E_clISt17integral_constantIbLb0EES1P_EEDaS1K_S1L_EUlS1K_E_NS1_11comp_targetILNS1_3genE9ELNS1_11target_archE1100ELNS1_3gpuE3ELNS1_3repE0EEENS1_30default_config_static_selectorELNS0_4arch9wavefront6targetE0EEEvSY_.kd
    .uniform_work_group_size: 1
    .uses_dynamic_stack: false
    .vgpr_count:     57
    .vgpr_spill_count: 0
    .wavefront_size: 32
    .workgroup_processor_mode: 1
  - .args:
      - .offset:         0
        .size:           144
        .value_kind:     by_value
    .group_segment_fixed_size: 0
    .kernarg_segment_align: 8
    .kernarg_segment_size: 144
    .language:       OpenCL C
    .language_version:
      - 2
      - 0
    .max_flat_workgroup_size: 256
    .name:           _ZN7rocprim17ROCPRIM_400000_NS6detail17trampoline_kernelINS0_13select_configILj256ELj13ELNS0_17block_load_methodE3ELS4_3ELS4_3ELNS0_20block_scan_algorithmE0ELj4294967295EEENS1_25partition_config_selectorILNS1_17partition_subalgoE3EjNS0_10empty_typeEbEEZZNS1_14partition_implILS8_3ELb0ES6_jNS0_17counting_iteratorIjlEEPS9_SE_NS0_5tupleIJPjSE_EEENSF_IJSE_SE_EEES9_SG_JZNS1_25segmented_radix_sort_implINS0_14default_configELb0EPKfPfPKlPlN2at6native12_GLOBAL__N_18offset_tEEE10hipError_tPvRmT1_PNSt15iterator_traitsISY_E10value_typeET2_T3_PNSZ_IS14_E10value_typeET4_jRbjT5_S1A_jjP12ihipStream_tbEUljE_EEESV_SW_SX_S14_S18_S1A_T6_T7_T9_mT8_S1C_bDpT10_ENKUlT_T0_E_clISt17integral_constantIbLb0EES1P_EEDaS1K_S1L_EUlS1K_E_NS1_11comp_targetILNS1_3genE8ELNS1_11target_archE1030ELNS1_3gpuE2ELNS1_3repE0EEENS1_30default_config_static_selectorELNS0_4arch9wavefront6targetE0EEEvSY_
    .private_segment_fixed_size: 0
    .sgpr_count:     0
    .sgpr_spill_count: 0
    .symbol:         _ZN7rocprim17ROCPRIM_400000_NS6detail17trampoline_kernelINS0_13select_configILj256ELj13ELNS0_17block_load_methodE3ELS4_3ELS4_3ELNS0_20block_scan_algorithmE0ELj4294967295EEENS1_25partition_config_selectorILNS1_17partition_subalgoE3EjNS0_10empty_typeEbEEZZNS1_14partition_implILS8_3ELb0ES6_jNS0_17counting_iteratorIjlEEPS9_SE_NS0_5tupleIJPjSE_EEENSF_IJSE_SE_EEES9_SG_JZNS1_25segmented_radix_sort_implINS0_14default_configELb0EPKfPfPKlPlN2at6native12_GLOBAL__N_18offset_tEEE10hipError_tPvRmT1_PNSt15iterator_traitsISY_E10value_typeET2_T3_PNSZ_IS14_E10value_typeET4_jRbjT5_S1A_jjP12ihipStream_tbEUljE_EEESV_SW_SX_S14_S18_S1A_T6_T7_T9_mT8_S1C_bDpT10_ENKUlT_T0_E_clISt17integral_constantIbLb0EES1P_EEDaS1K_S1L_EUlS1K_E_NS1_11comp_targetILNS1_3genE8ELNS1_11target_archE1030ELNS1_3gpuE2ELNS1_3repE0EEENS1_30default_config_static_selectorELNS0_4arch9wavefront6targetE0EEEvSY_.kd
    .uniform_work_group_size: 1
    .uses_dynamic_stack: false
    .vgpr_count:     0
    .vgpr_spill_count: 0
    .wavefront_size: 32
    .workgroup_processor_mode: 1
  - .args:
      - .offset:         0
        .size:           152
        .value_kind:     by_value
    .group_segment_fixed_size: 0
    .kernarg_segment_align: 8
    .kernarg_segment_size: 152
    .language:       OpenCL C
    .language_version:
      - 2
      - 0
    .max_flat_workgroup_size: 256
    .name:           _ZN7rocprim17ROCPRIM_400000_NS6detail17trampoline_kernelINS0_13select_configILj256ELj13ELNS0_17block_load_methodE3ELS4_3ELS4_3ELNS0_20block_scan_algorithmE0ELj4294967295EEENS1_25partition_config_selectorILNS1_17partition_subalgoE3EjNS0_10empty_typeEbEEZZNS1_14partition_implILS8_3ELb0ES6_jNS0_17counting_iteratorIjlEEPS9_SE_NS0_5tupleIJPjSE_EEENSF_IJSE_SE_EEES9_SG_JZNS1_25segmented_radix_sort_implINS0_14default_configELb0EPKfPfPKlPlN2at6native12_GLOBAL__N_18offset_tEEE10hipError_tPvRmT1_PNSt15iterator_traitsISY_E10value_typeET2_T3_PNSZ_IS14_E10value_typeET4_jRbjT5_S1A_jjP12ihipStream_tbEUljE_EEESV_SW_SX_S14_S18_S1A_T6_T7_T9_mT8_S1C_bDpT10_ENKUlT_T0_E_clISt17integral_constantIbLb1EES1P_EEDaS1K_S1L_EUlS1K_E_NS1_11comp_targetILNS1_3genE0ELNS1_11target_archE4294967295ELNS1_3gpuE0ELNS1_3repE0EEENS1_30default_config_static_selectorELNS0_4arch9wavefront6targetE0EEEvSY_
    .private_segment_fixed_size: 0
    .sgpr_count:     0
    .sgpr_spill_count: 0
    .symbol:         _ZN7rocprim17ROCPRIM_400000_NS6detail17trampoline_kernelINS0_13select_configILj256ELj13ELNS0_17block_load_methodE3ELS4_3ELS4_3ELNS0_20block_scan_algorithmE0ELj4294967295EEENS1_25partition_config_selectorILNS1_17partition_subalgoE3EjNS0_10empty_typeEbEEZZNS1_14partition_implILS8_3ELb0ES6_jNS0_17counting_iteratorIjlEEPS9_SE_NS0_5tupleIJPjSE_EEENSF_IJSE_SE_EEES9_SG_JZNS1_25segmented_radix_sort_implINS0_14default_configELb0EPKfPfPKlPlN2at6native12_GLOBAL__N_18offset_tEEE10hipError_tPvRmT1_PNSt15iterator_traitsISY_E10value_typeET2_T3_PNSZ_IS14_E10value_typeET4_jRbjT5_S1A_jjP12ihipStream_tbEUljE_EEESV_SW_SX_S14_S18_S1A_T6_T7_T9_mT8_S1C_bDpT10_ENKUlT_T0_E_clISt17integral_constantIbLb1EES1P_EEDaS1K_S1L_EUlS1K_E_NS1_11comp_targetILNS1_3genE0ELNS1_11target_archE4294967295ELNS1_3gpuE0ELNS1_3repE0EEENS1_30default_config_static_selectorELNS0_4arch9wavefront6targetE0EEEvSY_.kd
    .uniform_work_group_size: 1
    .uses_dynamic_stack: false
    .vgpr_count:     0
    .vgpr_spill_count: 0
    .wavefront_size: 32
    .workgroup_processor_mode: 1
  - .args:
      - .offset:         0
        .size:           152
        .value_kind:     by_value
    .group_segment_fixed_size: 0
    .kernarg_segment_align: 8
    .kernarg_segment_size: 152
    .language:       OpenCL C
    .language_version:
      - 2
      - 0
    .max_flat_workgroup_size: 256
    .name:           _ZN7rocprim17ROCPRIM_400000_NS6detail17trampoline_kernelINS0_13select_configILj256ELj13ELNS0_17block_load_methodE3ELS4_3ELS4_3ELNS0_20block_scan_algorithmE0ELj4294967295EEENS1_25partition_config_selectorILNS1_17partition_subalgoE3EjNS0_10empty_typeEbEEZZNS1_14partition_implILS8_3ELb0ES6_jNS0_17counting_iteratorIjlEEPS9_SE_NS0_5tupleIJPjSE_EEENSF_IJSE_SE_EEES9_SG_JZNS1_25segmented_radix_sort_implINS0_14default_configELb0EPKfPfPKlPlN2at6native12_GLOBAL__N_18offset_tEEE10hipError_tPvRmT1_PNSt15iterator_traitsISY_E10value_typeET2_T3_PNSZ_IS14_E10value_typeET4_jRbjT5_S1A_jjP12ihipStream_tbEUljE_EEESV_SW_SX_S14_S18_S1A_T6_T7_T9_mT8_S1C_bDpT10_ENKUlT_T0_E_clISt17integral_constantIbLb1EES1P_EEDaS1K_S1L_EUlS1K_E_NS1_11comp_targetILNS1_3genE5ELNS1_11target_archE942ELNS1_3gpuE9ELNS1_3repE0EEENS1_30default_config_static_selectorELNS0_4arch9wavefront6targetE0EEEvSY_
    .private_segment_fixed_size: 0
    .sgpr_count:     0
    .sgpr_spill_count: 0
    .symbol:         _ZN7rocprim17ROCPRIM_400000_NS6detail17trampoline_kernelINS0_13select_configILj256ELj13ELNS0_17block_load_methodE3ELS4_3ELS4_3ELNS0_20block_scan_algorithmE0ELj4294967295EEENS1_25partition_config_selectorILNS1_17partition_subalgoE3EjNS0_10empty_typeEbEEZZNS1_14partition_implILS8_3ELb0ES6_jNS0_17counting_iteratorIjlEEPS9_SE_NS0_5tupleIJPjSE_EEENSF_IJSE_SE_EEES9_SG_JZNS1_25segmented_radix_sort_implINS0_14default_configELb0EPKfPfPKlPlN2at6native12_GLOBAL__N_18offset_tEEE10hipError_tPvRmT1_PNSt15iterator_traitsISY_E10value_typeET2_T3_PNSZ_IS14_E10value_typeET4_jRbjT5_S1A_jjP12ihipStream_tbEUljE_EEESV_SW_SX_S14_S18_S1A_T6_T7_T9_mT8_S1C_bDpT10_ENKUlT_T0_E_clISt17integral_constantIbLb1EES1P_EEDaS1K_S1L_EUlS1K_E_NS1_11comp_targetILNS1_3genE5ELNS1_11target_archE942ELNS1_3gpuE9ELNS1_3repE0EEENS1_30default_config_static_selectorELNS0_4arch9wavefront6targetE0EEEvSY_.kd
    .uniform_work_group_size: 1
    .uses_dynamic_stack: false
    .vgpr_count:     0
    .vgpr_spill_count: 0
    .wavefront_size: 32
    .workgroup_processor_mode: 1
  - .args:
      - .offset:         0
        .size:           152
        .value_kind:     by_value
    .group_segment_fixed_size: 0
    .kernarg_segment_align: 8
    .kernarg_segment_size: 152
    .language:       OpenCL C
    .language_version:
      - 2
      - 0
    .max_flat_workgroup_size: 256
    .name:           _ZN7rocprim17ROCPRIM_400000_NS6detail17trampoline_kernelINS0_13select_configILj256ELj13ELNS0_17block_load_methodE3ELS4_3ELS4_3ELNS0_20block_scan_algorithmE0ELj4294967295EEENS1_25partition_config_selectorILNS1_17partition_subalgoE3EjNS0_10empty_typeEbEEZZNS1_14partition_implILS8_3ELb0ES6_jNS0_17counting_iteratorIjlEEPS9_SE_NS0_5tupleIJPjSE_EEENSF_IJSE_SE_EEES9_SG_JZNS1_25segmented_radix_sort_implINS0_14default_configELb0EPKfPfPKlPlN2at6native12_GLOBAL__N_18offset_tEEE10hipError_tPvRmT1_PNSt15iterator_traitsISY_E10value_typeET2_T3_PNSZ_IS14_E10value_typeET4_jRbjT5_S1A_jjP12ihipStream_tbEUljE_EEESV_SW_SX_S14_S18_S1A_T6_T7_T9_mT8_S1C_bDpT10_ENKUlT_T0_E_clISt17integral_constantIbLb1EES1P_EEDaS1K_S1L_EUlS1K_E_NS1_11comp_targetILNS1_3genE4ELNS1_11target_archE910ELNS1_3gpuE8ELNS1_3repE0EEENS1_30default_config_static_selectorELNS0_4arch9wavefront6targetE0EEEvSY_
    .private_segment_fixed_size: 0
    .sgpr_count:     0
    .sgpr_spill_count: 0
    .symbol:         _ZN7rocprim17ROCPRIM_400000_NS6detail17trampoline_kernelINS0_13select_configILj256ELj13ELNS0_17block_load_methodE3ELS4_3ELS4_3ELNS0_20block_scan_algorithmE0ELj4294967295EEENS1_25partition_config_selectorILNS1_17partition_subalgoE3EjNS0_10empty_typeEbEEZZNS1_14partition_implILS8_3ELb0ES6_jNS0_17counting_iteratorIjlEEPS9_SE_NS0_5tupleIJPjSE_EEENSF_IJSE_SE_EEES9_SG_JZNS1_25segmented_radix_sort_implINS0_14default_configELb0EPKfPfPKlPlN2at6native12_GLOBAL__N_18offset_tEEE10hipError_tPvRmT1_PNSt15iterator_traitsISY_E10value_typeET2_T3_PNSZ_IS14_E10value_typeET4_jRbjT5_S1A_jjP12ihipStream_tbEUljE_EEESV_SW_SX_S14_S18_S1A_T6_T7_T9_mT8_S1C_bDpT10_ENKUlT_T0_E_clISt17integral_constantIbLb1EES1P_EEDaS1K_S1L_EUlS1K_E_NS1_11comp_targetILNS1_3genE4ELNS1_11target_archE910ELNS1_3gpuE8ELNS1_3repE0EEENS1_30default_config_static_selectorELNS0_4arch9wavefront6targetE0EEEvSY_.kd
    .uniform_work_group_size: 1
    .uses_dynamic_stack: false
    .vgpr_count:     0
    .vgpr_spill_count: 0
    .wavefront_size: 32
    .workgroup_processor_mode: 1
  - .args:
      - .offset:         0
        .size:           152
        .value_kind:     by_value
    .group_segment_fixed_size: 0
    .kernarg_segment_align: 8
    .kernarg_segment_size: 152
    .language:       OpenCL C
    .language_version:
      - 2
      - 0
    .max_flat_workgroup_size: 256
    .name:           _ZN7rocprim17ROCPRIM_400000_NS6detail17trampoline_kernelINS0_13select_configILj256ELj13ELNS0_17block_load_methodE3ELS4_3ELS4_3ELNS0_20block_scan_algorithmE0ELj4294967295EEENS1_25partition_config_selectorILNS1_17partition_subalgoE3EjNS0_10empty_typeEbEEZZNS1_14partition_implILS8_3ELb0ES6_jNS0_17counting_iteratorIjlEEPS9_SE_NS0_5tupleIJPjSE_EEENSF_IJSE_SE_EEES9_SG_JZNS1_25segmented_radix_sort_implINS0_14default_configELb0EPKfPfPKlPlN2at6native12_GLOBAL__N_18offset_tEEE10hipError_tPvRmT1_PNSt15iterator_traitsISY_E10value_typeET2_T3_PNSZ_IS14_E10value_typeET4_jRbjT5_S1A_jjP12ihipStream_tbEUljE_EEESV_SW_SX_S14_S18_S1A_T6_T7_T9_mT8_S1C_bDpT10_ENKUlT_T0_E_clISt17integral_constantIbLb1EES1P_EEDaS1K_S1L_EUlS1K_E_NS1_11comp_targetILNS1_3genE3ELNS1_11target_archE908ELNS1_3gpuE7ELNS1_3repE0EEENS1_30default_config_static_selectorELNS0_4arch9wavefront6targetE0EEEvSY_
    .private_segment_fixed_size: 0
    .sgpr_count:     0
    .sgpr_spill_count: 0
    .symbol:         _ZN7rocprim17ROCPRIM_400000_NS6detail17trampoline_kernelINS0_13select_configILj256ELj13ELNS0_17block_load_methodE3ELS4_3ELS4_3ELNS0_20block_scan_algorithmE0ELj4294967295EEENS1_25partition_config_selectorILNS1_17partition_subalgoE3EjNS0_10empty_typeEbEEZZNS1_14partition_implILS8_3ELb0ES6_jNS0_17counting_iteratorIjlEEPS9_SE_NS0_5tupleIJPjSE_EEENSF_IJSE_SE_EEES9_SG_JZNS1_25segmented_radix_sort_implINS0_14default_configELb0EPKfPfPKlPlN2at6native12_GLOBAL__N_18offset_tEEE10hipError_tPvRmT1_PNSt15iterator_traitsISY_E10value_typeET2_T3_PNSZ_IS14_E10value_typeET4_jRbjT5_S1A_jjP12ihipStream_tbEUljE_EEESV_SW_SX_S14_S18_S1A_T6_T7_T9_mT8_S1C_bDpT10_ENKUlT_T0_E_clISt17integral_constantIbLb1EES1P_EEDaS1K_S1L_EUlS1K_E_NS1_11comp_targetILNS1_3genE3ELNS1_11target_archE908ELNS1_3gpuE7ELNS1_3repE0EEENS1_30default_config_static_selectorELNS0_4arch9wavefront6targetE0EEEvSY_.kd
    .uniform_work_group_size: 1
    .uses_dynamic_stack: false
    .vgpr_count:     0
    .vgpr_spill_count: 0
    .wavefront_size: 32
    .workgroup_processor_mode: 1
  - .args:
      - .offset:         0
        .size:           152
        .value_kind:     by_value
    .group_segment_fixed_size: 0
    .kernarg_segment_align: 8
    .kernarg_segment_size: 152
    .language:       OpenCL C
    .language_version:
      - 2
      - 0
    .max_flat_workgroup_size: 256
    .name:           _ZN7rocprim17ROCPRIM_400000_NS6detail17trampoline_kernelINS0_13select_configILj256ELj13ELNS0_17block_load_methodE3ELS4_3ELS4_3ELNS0_20block_scan_algorithmE0ELj4294967295EEENS1_25partition_config_selectorILNS1_17partition_subalgoE3EjNS0_10empty_typeEbEEZZNS1_14partition_implILS8_3ELb0ES6_jNS0_17counting_iteratorIjlEEPS9_SE_NS0_5tupleIJPjSE_EEENSF_IJSE_SE_EEES9_SG_JZNS1_25segmented_radix_sort_implINS0_14default_configELb0EPKfPfPKlPlN2at6native12_GLOBAL__N_18offset_tEEE10hipError_tPvRmT1_PNSt15iterator_traitsISY_E10value_typeET2_T3_PNSZ_IS14_E10value_typeET4_jRbjT5_S1A_jjP12ihipStream_tbEUljE_EEESV_SW_SX_S14_S18_S1A_T6_T7_T9_mT8_S1C_bDpT10_ENKUlT_T0_E_clISt17integral_constantIbLb1EES1P_EEDaS1K_S1L_EUlS1K_E_NS1_11comp_targetILNS1_3genE2ELNS1_11target_archE906ELNS1_3gpuE6ELNS1_3repE0EEENS1_30default_config_static_selectorELNS0_4arch9wavefront6targetE0EEEvSY_
    .private_segment_fixed_size: 0
    .sgpr_count:     0
    .sgpr_spill_count: 0
    .symbol:         _ZN7rocprim17ROCPRIM_400000_NS6detail17trampoline_kernelINS0_13select_configILj256ELj13ELNS0_17block_load_methodE3ELS4_3ELS4_3ELNS0_20block_scan_algorithmE0ELj4294967295EEENS1_25partition_config_selectorILNS1_17partition_subalgoE3EjNS0_10empty_typeEbEEZZNS1_14partition_implILS8_3ELb0ES6_jNS0_17counting_iteratorIjlEEPS9_SE_NS0_5tupleIJPjSE_EEENSF_IJSE_SE_EEES9_SG_JZNS1_25segmented_radix_sort_implINS0_14default_configELb0EPKfPfPKlPlN2at6native12_GLOBAL__N_18offset_tEEE10hipError_tPvRmT1_PNSt15iterator_traitsISY_E10value_typeET2_T3_PNSZ_IS14_E10value_typeET4_jRbjT5_S1A_jjP12ihipStream_tbEUljE_EEESV_SW_SX_S14_S18_S1A_T6_T7_T9_mT8_S1C_bDpT10_ENKUlT_T0_E_clISt17integral_constantIbLb1EES1P_EEDaS1K_S1L_EUlS1K_E_NS1_11comp_targetILNS1_3genE2ELNS1_11target_archE906ELNS1_3gpuE6ELNS1_3repE0EEENS1_30default_config_static_selectorELNS0_4arch9wavefront6targetE0EEEvSY_.kd
    .uniform_work_group_size: 1
    .uses_dynamic_stack: false
    .vgpr_count:     0
    .vgpr_spill_count: 0
    .wavefront_size: 32
    .workgroup_processor_mode: 1
  - .args:
      - .offset:         0
        .size:           152
        .value_kind:     by_value
    .group_segment_fixed_size: 0
    .kernarg_segment_align: 8
    .kernarg_segment_size: 152
    .language:       OpenCL C
    .language_version:
      - 2
      - 0
    .max_flat_workgroup_size: 256
    .name:           _ZN7rocprim17ROCPRIM_400000_NS6detail17trampoline_kernelINS0_13select_configILj256ELj13ELNS0_17block_load_methodE3ELS4_3ELS4_3ELNS0_20block_scan_algorithmE0ELj4294967295EEENS1_25partition_config_selectorILNS1_17partition_subalgoE3EjNS0_10empty_typeEbEEZZNS1_14partition_implILS8_3ELb0ES6_jNS0_17counting_iteratorIjlEEPS9_SE_NS0_5tupleIJPjSE_EEENSF_IJSE_SE_EEES9_SG_JZNS1_25segmented_radix_sort_implINS0_14default_configELb0EPKfPfPKlPlN2at6native12_GLOBAL__N_18offset_tEEE10hipError_tPvRmT1_PNSt15iterator_traitsISY_E10value_typeET2_T3_PNSZ_IS14_E10value_typeET4_jRbjT5_S1A_jjP12ihipStream_tbEUljE_EEESV_SW_SX_S14_S18_S1A_T6_T7_T9_mT8_S1C_bDpT10_ENKUlT_T0_E_clISt17integral_constantIbLb1EES1P_EEDaS1K_S1L_EUlS1K_E_NS1_11comp_targetILNS1_3genE10ELNS1_11target_archE1200ELNS1_3gpuE4ELNS1_3repE0EEENS1_30default_config_static_selectorELNS0_4arch9wavefront6targetE0EEEvSY_
    .private_segment_fixed_size: 0
    .sgpr_count:     0
    .sgpr_spill_count: 0
    .symbol:         _ZN7rocprim17ROCPRIM_400000_NS6detail17trampoline_kernelINS0_13select_configILj256ELj13ELNS0_17block_load_methodE3ELS4_3ELS4_3ELNS0_20block_scan_algorithmE0ELj4294967295EEENS1_25partition_config_selectorILNS1_17partition_subalgoE3EjNS0_10empty_typeEbEEZZNS1_14partition_implILS8_3ELb0ES6_jNS0_17counting_iteratorIjlEEPS9_SE_NS0_5tupleIJPjSE_EEENSF_IJSE_SE_EEES9_SG_JZNS1_25segmented_radix_sort_implINS0_14default_configELb0EPKfPfPKlPlN2at6native12_GLOBAL__N_18offset_tEEE10hipError_tPvRmT1_PNSt15iterator_traitsISY_E10value_typeET2_T3_PNSZ_IS14_E10value_typeET4_jRbjT5_S1A_jjP12ihipStream_tbEUljE_EEESV_SW_SX_S14_S18_S1A_T6_T7_T9_mT8_S1C_bDpT10_ENKUlT_T0_E_clISt17integral_constantIbLb1EES1P_EEDaS1K_S1L_EUlS1K_E_NS1_11comp_targetILNS1_3genE10ELNS1_11target_archE1200ELNS1_3gpuE4ELNS1_3repE0EEENS1_30default_config_static_selectorELNS0_4arch9wavefront6targetE0EEEvSY_.kd
    .uniform_work_group_size: 1
    .uses_dynamic_stack: false
    .vgpr_count:     0
    .vgpr_spill_count: 0
    .wavefront_size: 32
    .workgroup_processor_mode: 1
  - .args:
      - .offset:         0
        .size:           152
        .value_kind:     by_value
    .group_segment_fixed_size: 13324
    .kernarg_segment_align: 8
    .kernarg_segment_size: 152
    .language:       OpenCL C
    .language_version:
      - 2
      - 0
    .max_flat_workgroup_size: 256
    .name:           _ZN7rocprim17ROCPRIM_400000_NS6detail17trampoline_kernelINS0_13select_configILj256ELj13ELNS0_17block_load_methodE3ELS4_3ELS4_3ELNS0_20block_scan_algorithmE0ELj4294967295EEENS1_25partition_config_selectorILNS1_17partition_subalgoE3EjNS0_10empty_typeEbEEZZNS1_14partition_implILS8_3ELb0ES6_jNS0_17counting_iteratorIjlEEPS9_SE_NS0_5tupleIJPjSE_EEENSF_IJSE_SE_EEES9_SG_JZNS1_25segmented_radix_sort_implINS0_14default_configELb0EPKfPfPKlPlN2at6native12_GLOBAL__N_18offset_tEEE10hipError_tPvRmT1_PNSt15iterator_traitsISY_E10value_typeET2_T3_PNSZ_IS14_E10value_typeET4_jRbjT5_S1A_jjP12ihipStream_tbEUljE_EEESV_SW_SX_S14_S18_S1A_T6_T7_T9_mT8_S1C_bDpT10_ENKUlT_T0_E_clISt17integral_constantIbLb1EES1P_EEDaS1K_S1L_EUlS1K_E_NS1_11comp_targetILNS1_3genE9ELNS1_11target_archE1100ELNS1_3gpuE3ELNS1_3repE0EEENS1_30default_config_static_selectorELNS0_4arch9wavefront6targetE0EEEvSY_
    .private_segment_fixed_size: 0
    .sgpr_count:     28
    .sgpr_spill_count: 0
    .symbol:         _ZN7rocprim17ROCPRIM_400000_NS6detail17trampoline_kernelINS0_13select_configILj256ELj13ELNS0_17block_load_methodE3ELS4_3ELS4_3ELNS0_20block_scan_algorithmE0ELj4294967295EEENS1_25partition_config_selectorILNS1_17partition_subalgoE3EjNS0_10empty_typeEbEEZZNS1_14partition_implILS8_3ELb0ES6_jNS0_17counting_iteratorIjlEEPS9_SE_NS0_5tupleIJPjSE_EEENSF_IJSE_SE_EEES9_SG_JZNS1_25segmented_radix_sort_implINS0_14default_configELb0EPKfPfPKlPlN2at6native12_GLOBAL__N_18offset_tEEE10hipError_tPvRmT1_PNSt15iterator_traitsISY_E10value_typeET2_T3_PNSZ_IS14_E10value_typeET4_jRbjT5_S1A_jjP12ihipStream_tbEUljE_EEESV_SW_SX_S14_S18_S1A_T6_T7_T9_mT8_S1C_bDpT10_ENKUlT_T0_E_clISt17integral_constantIbLb1EES1P_EEDaS1K_S1L_EUlS1K_E_NS1_11comp_targetILNS1_3genE9ELNS1_11target_archE1100ELNS1_3gpuE3ELNS1_3repE0EEENS1_30default_config_static_selectorELNS0_4arch9wavefront6targetE0EEEvSY_.kd
    .uniform_work_group_size: 1
    .uses_dynamic_stack: false
    .vgpr_count:     60
    .vgpr_spill_count: 0
    .wavefront_size: 32
    .workgroup_processor_mode: 1
  - .args:
      - .offset:         0
        .size:           152
        .value_kind:     by_value
    .group_segment_fixed_size: 0
    .kernarg_segment_align: 8
    .kernarg_segment_size: 152
    .language:       OpenCL C
    .language_version:
      - 2
      - 0
    .max_flat_workgroup_size: 256
    .name:           _ZN7rocprim17ROCPRIM_400000_NS6detail17trampoline_kernelINS0_13select_configILj256ELj13ELNS0_17block_load_methodE3ELS4_3ELS4_3ELNS0_20block_scan_algorithmE0ELj4294967295EEENS1_25partition_config_selectorILNS1_17partition_subalgoE3EjNS0_10empty_typeEbEEZZNS1_14partition_implILS8_3ELb0ES6_jNS0_17counting_iteratorIjlEEPS9_SE_NS0_5tupleIJPjSE_EEENSF_IJSE_SE_EEES9_SG_JZNS1_25segmented_radix_sort_implINS0_14default_configELb0EPKfPfPKlPlN2at6native12_GLOBAL__N_18offset_tEEE10hipError_tPvRmT1_PNSt15iterator_traitsISY_E10value_typeET2_T3_PNSZ_IS14_E10value_typeET4_jRbjT5_S1A_jjP12ihipStream_tbEUljE_EEESV_SW_SX_S14_S18_S1A_T6_T7_T9_mT8_S1C_bDpT10_ENKUlT_T0_E_clISt17integral_constantIbLb1EES1P_EEDaS1K_S1L_EUlS1K_E_NS1_11comp_targetILNS1_3genE8ELNS1_11target_archE1030ELNS1_3gpuE2ELNS1_3repE0EEENS1_30default_config_static_selectorELNS0_4arch9wavefront6targetE0EEEvSY_
    .private_segment_fixed_size: 0
    .sgpr_count:     0
    .sgpr_spill_count: 0
    .symbol:         _ZN7rocprim17ROCPRIM_400000_NS6detail17trampoline_kernelINS0_13select_configILj256ELj13ELNS0_17block_load_methodE3ELS4_3ELS4_3ELNS0_20block_scan_algorithmE0ELj4294967295EEENS1_25partition_config_selectorILNS1_17partition_subalgoE3EjNS0_10empty_typeEbEEZZNS1_14partition_implILS8_3ELb0ES6_jNS0_17counting_iteratorIjlEEPS9_SE_NS0_5tupleIJPjSE_EEENSF_IJSE_SE_EEES9_SG_JZNS1_25segmented_radix_sort_implINS0_14default_configELb0EPKfPfPKlPlN2at6native12_GLOBAL__N_18offset_tEEE10hipError_tPvRmT1_PNSt15iterator_traitsISY_E10value_typeET2_T3_PNSZ_IS14_E10value_typeET4_jRbjT5_S1A_jjP12ihipStream_tbEUljE_EEESV_SW_SX_S14_S18_S1A_T6_T7_T9_mT8_S1C_bDpT10_ENKUlT_T0_E_clISt17integral_constantIbLb1EES1P_EEDaS1K_S1L_EUlS1K_E_NS1_11comp_targetILNS1_3genE8ELNS1_11target_archE1030ELNS1_3gpuE2ELNS1_3repE0EEENS1_30default_config_static_selectorELNS0_4arch9wavefront6targetE0EEEvSY_.kd
    .uniform_work_group_size: 1
    .uses_dynamic_stack: false
    .vgpr_count:     0
    .vgpr_spill_count: 0
    .wavefront_size: 32
    .workgroup_processor_mode: 1
  - .args:
      - .offset:         0
        .size:           144
        .value_kind:     by_value
    .group_segment_fixed_size: 0
    .kernarg_segment_align: 8
    .kernarg_segment_size: 144
    .language:       OpenCL C
    .language_version:
      - 2
      - 0
    .max_flat_workgroup_size: 256
    .name:           _ZN7rocprim17ROCPRIM_400000_NS6detail17trampoline_kernelINS0_13select_configILj256ELj13ELNS0_17block_load_methodE3ELS4_3ELS4_3ELNS0_20block_scan_algorithmE0ELj4294967295EEENS1_25partition_config_selectorILNS1_17partition_subalgoE3EjNS0_10empty_typeEbEEZZNS1_14partition_implILS8_3ELb0ES6_jNS0_17counting_iteratorIjlEEPS9_SE_NS0_5tupleIJPjSE_EEENSF_IJSE_SE_EEES9_SG_JZNS1_25segmented_radix_sort_implINS0_14default_configELb0EPKfPfPKlPlN2at6native12_GLOBAL__N_18offset_tEEE10hipError_tPvRmT1_PNSt15iterator_traitsISY_E10value_typeET2_T3_PNSZ_IS14_E10value_typeET4_jRbjT5_S1A_jjP12ihipStream_tbEUljE_EEESV_SW_SX_S14_S18_S1A_T6_T7_T9_mT8_S1C_bDpT10_ENKUlT_T0_E_clISt17integral_constantIbLb1EES1O_IbLb0EEEEDaS1K_S1L_EUlS1K_E_NS1_11comp_targetILNS1_3genE0ELNS1_11target_archE4294967295ELNS1_3gpuE0ELNS1_3repE0EEENS1_30default_config_static_selectorELNS0_4arch9wavefront6targetE0EEEvSY_
    .private_segment_fixed_size: 0
    .sgpr_count:     0
    .sgpr_spill_count: 0
    .symbol:         _ZN7rocprim17ROCPRIM_400000_NS6detail17trampoline_kernelINS0_13select_configILj256ELj13ELNS0_17block_load_methodE3ELS4_3ELS4_3ELNS0_20block_scan_algorithmE0ELj4294967295EEENS1_25partition_config_selectorILNS1_17partition_subalgoE3EjNS0_10empty_typeEbEEZZNS1_14partition_implILS8_3ELb0ES6_jNS0_17counting_iteratorIjlEEPS9_SE_NS0_5tupleIJPjSE_EEENSF_IJSE_SE_EEES9_SG_JZNS1_25segmented_radix_sort_implINS0_14default_configELb0EPKfPfPKlPlN2at6native12_GLOBAL__N_18offset_tEEE10hipError_tPvRmT1_PNSt15iterator_traitsISY_E10value_typeET2_T3_PNSZ_IS14_E10value_typeET4_jRbjT5_S1A_jjP12ihipStream_tbEUljE_EEESV_SW_SX_S14_S18_S1A_T6_T7_T9_mT8_S1C_bDpT10_ENKUlT_T0_E_clISt17integral_constantIbLb1EES1O_IbLb0EEEEDaS1K_S1L_EUlS1K_E_NS1_11comp_targetILNS1_3genE0ELNS1_11target_archE4294967295ELNS1_3gpuE0ELNS1_3repE0EEENS1_30default_config_static_selectorELNS0_4arch9wavefront6targetE0EEEvSY_.kd
    .uniform_work_group_size: 1
    .uses_dynamic_stack: false
    .vgpr_count:     0
    .vgpr_spill_count: 0
    .wavefront_size: 32
    .workgroup_processor_mode: 1
  - .args:
      - .offset:         0
        .size:           144
        .value_kind:     by_value
    .group_segment_fixed_size: 0
    .kernarg_segment_align: 8
    .kernarg_segment_size: 144
    .language:       OpenCL C
    .language_version:
      - 2
      - 0
    .max_flat_workgroup_size: 256
    .name:           _ZN7rocprim17ROCPRIM_400000_NS6detail17trampoline_kernelINS0_13select_configILj256ELj13ELNS0_17block_load_methodE3ELS4_3ELS4_3ELNS0_20block_scan_algorithmE0ELj4294967295EEENS1_25partition_config_selectorILNS1_17partition_subalgoE3EjNS0_10empty_typeEbEEZZNS1_14partition_implILS8_3ELb0ES6_jNS0_17counting_iteratorIjlEEPS9_SE_NS0_5tupleIJPjSE_EEENSF_IJSE_SE_EEES9_SG_JZNS1_25segmented_radix_sort_implINS0_14default_configELb0EPKfPfPKlPlN2at6native12_GLOBAL__N_18offset_tEEE10hipError_tPvRmT1_PNSt15iterator_traitsISY_E10value_typeET2_T3_PNSZ_IS14_E10value_typeET4_jRbjT5_S1A_jjP12ihipStream_tbEUljE_EEESV_SW_SX_S14_S18_S1A_T6_T7_T9_mT8_S1C_bDpT10_ENKUlT_T0_E_clISt17integral_constantIbLb1EES1O_IbLb0EEEEDaS1K_S1L_EUlS1K_E_NS1_11comp_targetILNS1_3genE5ELNS1_11target_archE942ELNS1_3gpuE9ELNS1_3repE0EEENS1_30default_config_static_selectorELNS0_4arch9wavefront6targetE0EEEvSY_
    .private_segment_fixed_size: 0
    .sgpr_count:     0
    .sgpr_spill_count: 0
    .symbol:         _ZN7rocprim17ROCPRIM_400000_NS6detail17trampoline_kernelINS0_13select_configILj256ELj13ELNS0_17block_load_methodE3ELS4_3ELS4_3ELNS0_20block_scan_algorithmE0ELj4294967295EEENS1_25partition_config_selectorILNS1_17partition_subalgoE3EjNS0_10empty_typeEbEEZZNS1_14partition_implILS8_3ELb0ES6_jNS0_17counting_iteratorIjlEEPS9_SE_NS0_5tupleIJPjSE_EEENSF_IJSE_SE_EEES9_SG_JZNS1_25segmented_radix_sort_implINS0_14default_configELb0EPKfPfPKlPlN2at6native12_GLOBAL__N_18offset_tEEE10hipError_tPvRmT1_PNSt15iterator_traitsISY_E10value_typeET2_T3_PNSZ_IS14_E10value_typeET4_jRbjT5_S1A_jjP12ihipStream_tbEUljE_EEESV_SW_SX_S14_S18_S1A_T6_T7_T9_mT8_S1C_bDpT10_ENKUlT_T0_E_clISt17integral_constantIbLb1EES1O_IbLb0EEEEDaS1K_S1L_EUlS1K_E_NS1_11comp_targetILNS1_3genE5ELNS1_11target_archE942ELNS1_3gpuE9ELNS1_3repE0EEENS1_30default_config_static_selectorELNS0_4arch9wavefront6targetE0EEEvSY_.kd
    .uniform_work_group_size: 1
    .uses_dynamic_stack: false
    .vgpr_count:     0
    .vgpr_spill_count: 0
    .wavefront_size: 32
    .workgroup_processor_mode: 1
  - .args:
      - .offset:         0
        .size:           144
        .value_kind:     by_value
    .group_segment_fixed_size: 0
    .kernarg_segment_align: 8
    .kernarg_segment_size: 144
    .language:       OpenCL C
    .language_version:
      - 2
      - 0
    .max_flat_workgroup_size: 256
    .name:           _ZN7rocprim17ROCPRIM_400000_NS6detail17trampoline_kernelINS0_13select_configILj256ELj13ELNS0_17block_load_methodE3ELS4_3ELS4_3ELNS0_20block_scan_algorithmE0ELj4294967295EEENS1_25partition_config_selectorILNS1_17partition_subalgoE3EjNS0_10empty_typeEbEEZZNS1_14partition_implILS8_3ELb0ES6_jNS0_17counting_iteratorIjlEEPS9_SE_NS0_5tupleIJPjSE_EEENSF_IJSE_SE_EEES9_SG_JZNS1_25segmented_radix_sort_implINS0_14default_configELb0EPKfPfPKlPlN2at6native12_GLOBAL__N_18offset_tEEE10hipError_tPvRmT1_PNSt15iterator_traitsISY_E10value_typeET2_T3_PNSZ_IS14_E10value_typeET4_jRbjT5_S1A_jjP12ihipStream_tbEUljE_EEESV_SW_SX_S14_S18_S1A_T6_T7_T9_mT8_S1C_bDpT10_ENKUlT_T0_E_clISt17integral_constantIbLb1EES1O_IbLb0EEEEDaS1K_S1L_EUlS1K_E_NS1_11comp_targetILNS1_3genE4ELNS1_11target_archE910ELNS1_3gpuE8ELNS1_3repE0EEENS1_30default_config_static_selectorELNS0_4arch9wavefront6targetE0EEEvSY_
    .private_segment_fixed_size: 0
    .sgpr_count:     0
    .sgpr_spill_count: 0
    .symbol:         _ZN7rocprim17ROCPRIM_400000_NS6detail17trampoline_kernelINS0_13select_configILj256ELj13ELNS0_17block_load_methodE3ELS4_3ELS4_3ELNS0_20block_scan_algorithmE0ELj4294967295EEENS1_25partition_config_selectorILNS1_17partition_subalgoE3EjNS0_10empty_typeEbEEZZNS1_14partition_implILS8_3ELb0ES6_jNS0_17counting_iteratorIjlEEPS9_SE_NS0_5tupleIJPjSE_EEENSF_IJSE_SE_EEES9_SG_JZNS1_25segmented_radix_sort_implINS0_14default_configELb0EPKfPfPKlPlN2at6native12_GLOBAL__N_18offset_tEEE10hipError_tPvRmT1_PNSt15iterator_traitsISY_E10value_typeET2_T3_PNSZ_IS14_E10value_typeET4_jRbjT5_S1A_jjP12ihipStream_tbEUljE_EEESV_SW_SX_S14_S18_S1A_T6_T7_T9_mT8_S1C_bDpT10_ENKUlT_T0_E_clISt17integral_constantIbLb1EES1O_IbLb0EEEEDaS1K_S1L_EUlS1K_E_NS1_11comp_targetILNS1_3genE4ELNS1_11target_archE910ELNS1_3gpuE8ELNS1_3repE0EEENS1_30default_config_static_selectorELNS0_4arch9wavefront6targetE0EEEvSY_.kd
    .uniform_work_group_size: 1
    .uses_dynamic_stack: false
    .vgpr_count:     0
    .vgpr_spill_count: 0
    .wavefront_size: 32
    .workgroup_processor_mode: 1
  - .args:
      - .offset:         0
        .size:           144
        .value_kind:     by_value
    .group_segment_fixed_size: 0
    .kernarg_segment_align: 8
    .kernarg_segment_size: 144
    .language:       OpenCL C
    .language_version:
      - 2
      - 0
    .max_flat_workgroup_size: 256
    .name:           _ZN7rocprim17ROCPRIM_400000_NS6detail17trampoline_kernelINS0_13select_configILj256ELj13ELNS0_17block_load_methodE3ELS4_3ELS4_3ELNS0_20block_scan_algorithmE0ELj4294967295EEENS1_25partition_config_selectorILNS1_17partition_subalgoE3EjNS0_10empty_typeEbEEZZNS1_14partition_implILS8_3ELb0ES6_jNS0_17counting_iteratorIjlEEPS9_SE_NS0_5tupleIJPjSE_EEENSF_IJSE_SE_EEES9_SG_JZNS1_25segmented_radix_sort_implINS0_14default_configELb0EPKfPfPKlPlN2at6native12_GLOBAL__N_18offset_tEEE10hipError_tPvRmT1_PNSt15iterator_traitsISY_E10value_typeET2_T3_PNSZ_IS14_E10value_typeET4_jRbjT5_S1A_jjP12ihipStream_tbEUljE_EEESV_SW_SX_S14_S18_S1A_T6_T7_T9_mT8_S1C_bDpT10_ENKUlT_T0_E_clISt17integral_constantIbLb1EES1O_IbLb0EEEEDaS1K_S1L_EUlS1K_E_NS1_11comp_targetILNS1_3genE3ELNS1_11target_archE908ELNS1_3gpuE7ELNS1_3repE0EEENS1_30default_config_static_selectorELNS0_4arch9wavefront6targetE0EEEvSY_
    .private_segment_fixed_size: 0
    .sgpr_count:     0
    .sgpr_spill_count: 0
    .symbol:         _ZN7rocprim17ROCPRIM_400000_NS6detail17trampoline_kernelINS0_13select_configILj256ELj13ELNS0_17block_load_methodE3ELS4_3ELS4_3ELNS0_20block_scan_algorithmE0ELj4294967295EEENS1_25partition_config_selectorILNS1_17partition_subalgoE3EjNS0_10empty_typeEbEEZZNS1_14partition_implILS8_3ELb0ES6_jNS0_17counting_iteratorIjlEEPS9_SE_NS0_5tupleIJPjSE_EEENSF_IJSE_SE_EEES9_SG_JZNS1_25segmented_radix_sort_implINS0_14default_configELb0EPKfPfPKlPlN2at6native12_GLOBAL__N_18offset_tEEE10hipError_tPvRmT1_PNSt15iterator_traitsISY_E10value_typeET2_T3_PNSZ_IS14_E10value_typeET4_jRbjT5_S1A_jjP12ihipStream_tbEUljE_EEESV_SW_SX_S14_S18_S1A_T6_T7_T9_mT8_S1C_bDpT10_ENKUlT_T0_E_clISt17integral_constantIbLb1EES1O_IbLb0EEEEDaS1K_S1L_EUlS1K_E_NS1_11comp_targetILNS1_3genE3ELNS1_11target_archE908ELNS1_3gpuE7ELNS1_3repE0EEENS1_30default_config_static_selectorELNS0_4arch9wavefront6targetE0EEEvSY_.kd
    .uniform_work_group_size: 1
    .uses_dynamic_stack: false
    .vgpr_count:     0
    .vgpr_spill_count: 0
    .wavefront_size: 32
    .workgroup_processor_mode: 1
  - .args:
      - .offset:         0
        .size:           144
        .value_kind:     by_value
    .group_segment_fixed_size: 0
    .kernarg_segment_align: 8
    .kernarg_segment_size: 144
    .language:       OpenCL C
    .language_version:
      - 2
      - 0
    .max_flat_workgroup_size: 256
    .name:           _ZN7rocprim17ROCPRIM_400000_NS6detail17trampoline_kernelINS0_13select_configILj256ELj13ELNS0_17block_load_methodE3ELS4_3ELS4_3ELNS0_20block_scan_algorithmE0ELj4294967295EEENS1_25partition_config_selectorILNS1_17partition_subalgoE3EjNS0_10empty_typeEbEEZZNS1_14partition_implILS8_3ELb0ES6_jNS0_17counting_iteratorIjlEEPS9_SE_NS0_5tupleIJPjSE_EEENSF_IJSE_SE_EEES9_SG_JZNS1_25segmented_radix_sort_implINS0_14default_configELb0EPKfPfPKlPlN2at6native12_GLOBAL__N_18offset_tEEE10hipError_tPvRmT1_PNSt15iterator_traitsISY_E10value_typeET2_T3_PNSZ_IS14_E10value_typeET4_jRbjT5_S1A_jjP12ihipStream_tbEUljE_EEESV_SW_SX_S14_S18_S1A_T6_T7_T9_mT8_S1C_bDpT10_ENKUlT_T0_E_clISt17integral_constantIbLb1EES1O_IbLb0EEEEDaS1K_S1L_EUlS1K_E_NS1_11comp_targetILNS1_3genE2ELNS1_11target_archE906ELNS1_3gpuE6ELNS1_3repE0EEENS1_30default_config_static_selectorELNS0_4arch9wavefront6targetE0EEEvSY_
    .private_segment_fixed_size: 0
    .sgpr_count:     0
    .sgpr_spill_count: 0
    .symbol:         _ZN7rocprim17ROCPRIM_400000_NS6detail17trampoline_kernelINS0_13select_configILj256ELj13ELNS0_17block_load_methodE3ELS4_3ELS4_3ELNS0_20block_scan_algorithmE0ELj4294967295EEENS1_25partition_config_selectorILNS1_17partition_subalgoE3EjNS0_10empty_typeEbEEZZNS1_14partition_implILS8_3ELb0ES6_jNS0_17counting_iteratorIjlEEPS9_SE_NS0_5tupleIJPjSE_EEENSF_IJSE_SE_EEES9_SG_JZNS1_25segmented_radix_sort_implINS0_14default_configELb0EPKfPfPKlPlN2at6native12_GLOBAL__N_18offset_tEEE10hipError_tPvRmT1_PNSt15iterator_traitsISY_E10value_typeET2_T3_PNSZ_IS14_E10value_typeET4_jRbjT5_S1A_jjP12ihipStream_tbEUljE_EEESV_SW_SX_S14_S18_S1A_T6_T7_T9_mT8_S1C_bDpT10_ENKUlT_T0_E_clISt17integral_constantIbLb1EES1O_IbLb0EEEEDaS1K_S1L_EUlS1K_E_NS1_11comp_targetILNS1_3genE2ELNS1_11target_archE906ELNS1_3gpuE6ELNS1_3repE0EEENS1_30default_config_static_selectorELNS0_4arch9wavefront6targetE0EEEvSY_.kd
    .uniform_work_group_size: 1
    .uses_dynamic_stack: false
    .vgpr_count:     0
    .vgpr_spill_count: 0
    .wavefront_size: 32
    .workgroup_processor_mode: 1
  - .args:
      - .offset:         0
        .size:           144
        .value_kind:     by_value
    .group_segment_fixed_size: 0
    .kernarg_segment_align: 8
    .kernarg_segment_size: 144
    .language:       OpenCL C
    .language_version:
      - 2
      - 0
    .max_flat_workgroup_size: 256
    .name:           _ZN7rocprim17ROCPRIM_400000_NS6detail17trampoline_kernelINS0_13select_configILj256ELj13ELNS0_17block_load_methodE3ELS4_3ELS4_3ELNS0_20block_scan_algorithmE0ELj4294967295EEENS1_25partition_config_selectorILNS1_17partition_subalgoE3EjNS0_10empty_typeEbEEZZNS1_14partition_implILS8_3ELb0ES6_jNS0_17counting_iteratorIjlEEPS9_SE_NS0_5tupleIJPjSE_EEENSF_IJSE_SE_EEES9_SG_JZNS1_25segmented_radix_sort_implINS0_14default_configELb0EPKfPfPKlPlN2at6native12_GLOBAL__N_18offset_tEEE10hipError_tPvRmT1_PNSt15iterator_traitsISY_E10value_typeET2_T3_PNSZ_IS14_E10value_typeET4_jRbjT5_S1A_jjP12ihipStream_tbEUljE_EEESV_SW_SX_S14_S18_S1A_T6_T7_T9_mT8_S1C_bDpT10_ENKUlT_T0_E_clISt17integral_constantIbLb1EES1O_IbLb0EEEEDaS1K_S1L_EUlS1K_E_NS1_11comp_targetILNS1_3genE10ELNS1_11target_archE1200ELNS1_3gpuE4ELNS1_3repE0EEENS1_30default_config_static_selectorELNS0_4arch9wavefront6targetE0EEEvSY_
    .private_segment_fixed_size: 0
    .sgpr_count:     0
    .sgpr_spill_count: 0
    .symbol:         _ZN7rocprim17ROCPRIM_400000_NS6detail17trampoline_kernelINS0_13select_configILj256ELj13ELNS0_17block_load_methodE3ELS4_3ELS4_3ELNS0_20block_scan_algorithmE0ELj4294967295EEENS1_25partition_config_selectorILNS1_17partition_subalgoE3EjNS0_10empty_typeEbEEZZNS1_14partition_implILS8_3ELb0ES6_jNS0_17counting_iteratorIjlEEPS9_SE_NS0_5tupleIJPjSE_EEENSF_IJSE_SE_EEES9_SG_JZNS1_25segmented_radix_sort_implINS0_14default_configELb0EPKfPfPKlPlN2at6native12_GLOBAL__N_18offset_tEEE10hipError_tPvRmT1_PNSt15iterator_traitsISY_E10value_typeET2_T3_PNSZ_IS14_E10value_typeET4_jRbjT5_S1A_jjP12ihipStream_tbEUljE_EEESV_SW_SX_S14_S18_S1A_T6_T7_T9_mT8_S1C_bDpT10_ENKUlT_T0_E_clISt17integral_constantIbLb1EES1O_IbLb0EEEEDaS1K_S1L_EUlS1K_E_NS1_11comp_targetILNS1_3genE10ELNS1_11target_archE1200ELNS1_3gpuE4ELNS1_3repE0EEENS1_30default_config_static_selectorELNS0_4arch9wavefront6targetE0EEEvSY_.kd
    .uniform_work_group_size: 1
    .uses_dynamic_stack: false
    .vgpr_count:     0
    .vgpr_spill_count: 0
    .wavefront_size: 32
    .workgroup_processor_mode: 1
  - .args:
      - .offset:         0
        .size:           144
        .value_kind:     by_value
    .group_segment_fixed_size: 13324
    .kernarg_segment_align: 8
    .kernarg_segment_size: 144
    .language:       OpenCL C
    .language_version:
      - 2
      - 0
    .max_flat_workgroup_size: 256
    .name:           _ZN7rocprim17ROCPRIM_400000_NS6detail17trampoline_kernelINS0_13select_configILj256ELj13ELNS0_17block_load_methodE3ELS4_3ELS4_3ELNS0_20block_scan_algorithmE0ELj4294967295EEENS1_25partition_config_selectorILNS1_17partition_subalgoE3EjNS0_10empty_typeEbEEZZNS1_14partition_implILS8_3ELb0ES6_jNS0_17counting_iteratorIjlEEPS9_SE_NS0_5tupleIJPjSE_EEENSF_IJSE_SE_EEES9_SG_JZNS1_25segmented_radix_sort_implINS0_14default_configELb0EPKfPfPKlPlN2at6native12_GLOBAL__N_18offset_tEEE10hipError_tPvRmT1_PNSt15iterator_traitsISY_E10value_typeET2_T3_PNSZ_IS14_E10value_typeET4_jRbjT5_S1A_jjP12ihipStream_tbEUljE_EEESV_SW_SX_S14_S18_S1A_T6_T7_T9_mT8_S1C_bDpT10_ENKUlT_T0_E_clISt17integral_constantIbLb1EES1O_IbLb0EEEEDaS1K_S1L_EUlS1K_E_NS1_11comp_targetILNS1_3genE9ELNS1_11target_archE1100ELNS1_3gpuE3ELNS1_3repE0EEENS1_30default_config_static_selectorELNS0_4arch9wavefront6targetE0EEEvSY_
    .private_segment_fixed_size: 0
    .sgpr_count:     30
    .sgpr_spill_count: 0
    .symbol:         _ZN7rocprim17ROCPRIM_400000_NS6detail17trampoline_kernelINS0_13select_configILj256ELj13ELNS0_17block_load_methodE3ELS4_3ELS4_3ELNS0_20block_scan_algorithmE0ELj4294967295EEENS1_25partition_config_selectorILNS1_17partition_subalgoE3EjNS0_10empty_typeEbEEZZNS1_14partition_implILS8_3ELb0ES6_jNS0_17counting_iteratorIjlEEPS9_SE_NS0_5tupleIJPjSE_EEENSF_IJSE_SE_EEES9_SG_JZNS1_25segmented_radix_sort_implINS0_14default_configELb0EPKfPfPKlPlN2at6native12_GLOBAL__N_18offset_tEEE10hipError_tPvRmT1_PNSt15iterator_traitsISY_E10value_typeET2_T3_PNSZ_IS14_E10value_typeET4_jRbjT5_S1A_jjP12ihipStream_tbEUljE_EEESV_SW_SX_S14_S18_S1A_T6_T7_T9_mT8_S1C_bDpT10_ENKUlT_T0_E_clISt17integral_constantIbLb1EES1O_IbLb0EEEEDaS1K_S1L_EUlS1K_E_NS1_11comp_targetILNS1_3genE9ELNS1_11target_archE1100ELNS1_3gpuE3ELNS1_3repE0EEENS1_30default_config_static_selectorELNS0_4arch9wavefront6targetE0EEEvSY_.kd
    .uniform_work_group_size: 1
    .uses_dynamic_stack: false
    .vgpr_count:     57
    .vgpr_spill_count: 0
    .wavefront_size: 32
    .workgroup_processor_mode: 1
  - .args:
      - .offset:         0
        .size:           144
        .value_kind:     by_value
    .group_segment_fixed_size: 0
    .kernarg_segment_align: 8
    .kernarg_segment_size: 144
    .language:       OpenCL C
    .language_version:
      - 2
      - 0
    .max_flat_workgroup_size: 256
    .name:           _ZN7rocprim17ROCPRIM_400000_NS6detail17trampoline_kernelINS0_13select_configILj256ELj13ELNS0_17block_load_methodE3ELS4_3ELS4_3ELNS0_20block_scan_algorithmE0ELj4294967295EEENS1_25partition_config_selectorILNS1_17partition_subalgoE3EjNS0_10empty_typeEbEEZZNS1_14partition_implILS8_3ELb0ES6_jNS0_17counting_iteratorIjlEEPS9_SE_NS0_5tupleIJPjSE_EEENSF_IJSE_SE_EEES9_SG_JZNS1_25segmented_radix_sort_implINS0_14default_configELb0EPKfPfPKlPlN2at6native12_GLOBAL__N_18offset_tEEE10hipError_tPvRmT1_PNSt15iterator_traitsISY_E10value_typeET2_T3_PNSZ_IS14_E10value_typeET4_jRbjT5_S1A_jjP12ihipStream_tbEUljE_EEESV_SW_SX_S14_S18_S1A_T6_T7_T9_mT8_S1C_bDpT10_ENKUlT_T0_E_clISt17integral_constantIbLb1EES1O_IbLb0EEEEDaS1K_S1L_EUlS1K_E_NS1_11comp_targetILNS1_3genE8ELNS1_11target_archE1030ELNS1_3gpuE2ELNS1_3repE0EEENS1_30default_config_static_selectorELNS0_4arch9wavefront6targetE0EEEvSY_
    .private_segment_fixed_size: 0
    .sgpr_count:     0
    .sgpr_spill_count: 0
    .symbol:         _ZN7rocprim17ROCPRIM_400000_NS6detail17trampoline_kernelINS0_13select_configILj256ELj13ELNS0_17block_load_methodE3ELS4_3ELS4_3ELNS0_20block_scan_algorithmE0ELj4294967295EEENS1_25partition_config_selectorILNS1_17partition_subalgoE3EjNS0_10empty_typeEbEEZZNS1_14partition_implILS8_3ELb0ES6_jNS0_17counting_iteratorIjlEEPS9_SE_NS0_5tupleIJPjSE_EEENSF_IJSE_SE_EEES9_SG_JZNS1_25segmented_radix_sort_implINS0_14default_configELb0EPKfPfPKlPlN2at6native12_GLOBAL__N_18offset_tEEE10hipError_tPvRmT1_PNSt15iterator_traitsISY_E10value_typeET2_T3_PNSZ_IS14_E10value_typeET4_jRbjT5_S1A_jjP12ihipStream_tbEUljE_EEESV_SW_SX_S14_S18_S1A_T6_T7_T9_mT8_S1C_bDpT10_ENKUlT_T0_E_clISt17integral_constantIbLb1EES1O_IbLb0EEEEDaS1K_S1L_EUlS1K_E_NS1_11comp_targetILNS1_3genE8ELNS1_11target_archE1030ELNS1_3gpuE2ELNS1_3repE0EEENS1_30default_config_static_selectorELNS0_4arch9wavefront6targetE0EEEvSY_.kd
    .uniform_work_group_size: 1
    .uses_dynamic_stack: false
    .vgpr_count:     0
    .vgpr_spill_count: 0
    .wavefront_size: 32
    .workgroup_processor_mode: 1
  - .args:
      - .offset:         0
        .size:           152
        .value_kind:     by_value
    .group_segment_fixed_size: 0
    .kernarg_segment_align: 8
    .kernarg_segment_size: 152
    .language:       OpenCL C
    .language_version:
      - 2
      - 0
    .max_flat_workgroup_size: 256
    .name:           _ZN7rocprim17ROCPRIM_400000_NS6detail17trampoline_kernelINS0_13select_configILj256ELj13ELNS0_17block_load_methodE3ELS4_3ELS4_3ELNS0_20block_scan_algorithmE0ELj4294967295EEENS1_25partition_config_selectorILNS1_17partition_subalgoE3EjNS0_10empty_typeEbEEZZNS1_14partition_implILS8_3ELb0ES6_jNS0_17counting_iteratorIjlEEPS9_SE_NS0_5tupleIJPjSE_EEENSF_IJSE_SE_EEES9_SG_JZNS1_25segmented_radix_sort_implINS0_14default_configELb0EPKfPfPKlPlN2at6native12_GLOBAL__N_18offset_tEEE10hipError_tPvRmT1_PNSt15iterator_traitsISY_E10value_typeET2_T3_PNSZ_IS14_E10value_typeET4_jRbjT5_S1A_jjP12ihipStream_tbEUljE_EEESV_SW_SX_S14_S18_S1A_T6_T7_T9_mT8_S1C_bDpT10_ENKUlT_T0_E_clISt17integral_constantIbLb0EES1O_IbLb1EEEEDaS1K_S1L_EUlS1K_E_NS1_11comp_targetILNS1_3genE0ELNS1_11target_archE4294967295ELNS1_3gpuE0ELNS1_3repE0EEENS1_30default_config_static_selectorELNS0_4arch9wavefront6targetE0EEEvSY_
    .private_segment_fixed_size: 0
    .sgpr_count:     0
    .sgpr_spill_count: 0
    .symbol:         _ZN7rocprim17ROCPRIM_400000_NS6detail17trampoline_kernelINS0_13select_configILj256ELj13ELNS0_17block_load_methodE3ELS4_3ELS4_3ELNS0_20block_scan_algorithmE0ELj4294967295EEENS1_25partition_config_selectorILNS1_17partition_subalgoE3EjNS0_10empty_typeEbEEZZNS1_14partition_implILS8_3ELb0ES6_jNS0_17counting_iteratorIjlEEPS9_SE_NS0_5tupleIJPjSE_EEENSF_IJSE_SE_EEES9_SG_JZNS1_25segmented_radix_sort_implINS0_14default_configELb0EPKfPfPKlPlN2at6native12_GLOBAL__N_18offset_tEEE10hipError_tPvRmT1_PNSt15iterator_traitsISY_E10value_typeET2_T3_PNSZ_IS14_E10value_typeET4_jRbjT5_S1A_jjP12ihipStream_tbEUljE_EEESV_SW_SX_S14_S18_S1A_T6_T7_T9_mT8_S1C_bDpT10_ENKUlT_T0_E_clISt17integral_constantIbLb0EES1O_IbLb1EEEEDaS1K_S1L_EUlS1K_E_NS1_11comp_targetILNS1_3genE0ELNS1_11target_archE4294967295ELNS1_3gpuE0ELNS1_3repE0EEENS1_30default_config_static_selectorELNS0_4arch9wavefront6targetE0EEEvSY_.kd
    .uniform_work_group_size: 1
    .uses_dynamic_stack: false
    .vgpr_count:     0
    .vgpr_spill_count: 0
    .wavefront_size: 32
    .workgroup_processor_mode: 1
  - .args:
      - .offset:         0
        .size:           152
        .value_kind:     by_value
    .group_segment_fixed_size: 0
    .kernarg_segment_align: 8
    .kernarg_segment_size: 152
    .language:       OpenCL C
    .language_version:
      - 2
      - 0
    .max_flat_workgroup_size: 256
    .name:           _ZN7rocprim17ROCPRIM_400000_NS6detail17trampoline_kernelINS0_13select_configILj256ELj13ELNS0_17block_load_methodE3ELS4_3ELS4_3ELNS0_20block_scan_algorithmE0ELj4294967295EEENS1_25partition_config_selectorILNS1_17partition_subalgoE3EjNS0_10empty_typeEbEEZZNS1_14partition_implILS8_3ELb0ES6_jNS0_17counting_iteratorIjlEEPS9_SE_NS0_5tupleIJPjSE_EEENSF_IJSE_SE_EEES9_SG_JZNS1_25segmented_radix_sort_implINS0_14default_configELb0EPKfPfPKlPlN2at6native12_GLOBAL__N_18offset_tEEE10hipError_tPvRmT1_PNSt15iterator_traitsISY_E10value_typeET2_T3_PNSZ_IS14_E10value_typeET4_jRbjT5_S1A_jjP12ihipStream_tbEUljE_EEESV_SW_SX_S14_S18_S1A_T6_T7_T9_mT8_S1C_bDpT10_ENKUlT_T0_E_clISt17integral_constantIbLb0EES1O_IbLb1EEEEDaS1K_S1L_EUlS1K_E_NS1_11comp_targetILNS1_3genE5ELNS1_11target_archE942ELNS1_3gpuE9ELNS1_3repE0EEENS1_30default_config_static_selectorELNS0_4arch9wavefront6targetE0EEEvSY_
    .private_segment_fixed_size: 0
    .sgpr_count:     0
    .sgpr_spill_count: 0
    .symbol:         _ZN7rocprim17ROCPRIM_400000_NS6detail17trampoline_kernelINS0_13select_configILj256ELj13ELNS0_17block_load_methodE3ELS4_3ELS4_3ELNS0_20block_scan_algorithmE0ELj4294967295EEENS1_25partition_config_selectorILNS1_17partition_subalgoE3EjNS0_10empty_typeEbEEZZNS1_14partition_implILS8_3ELb0ES6_jNS0_17counting_iteratorIjlEEPS9_SE_NS0_5tupleIJPjSE_EEENSF_IJSE_SE_EEES9_SG_JZNS1_25segmented_radix_sort_implINS0_14default_configELb0EPKfPfPKlPlN2at6native12_GLOBAL__N_18offset_tEEE10hipError_tPvRmT1_PNSt15iterator_traitsISY_E10value_typeET2_T3_PNSZ_IS14_E10value_typeET4_jRbjT5_S1A_jjP12ihipStream_tbEUljE_EEESV_SW_SX_S14_S18_S1A_T6_T7_T9_mT8_S1C_bDpT10_ENKUlT_T0_E_clISt17integral_constantIbLb0EES1O_IbLb1EEEEDaS1K_S1L_EUlS1K_E_NS1_11comp_targetILNS1_3genE5ELNS1_11target_archE942ELNS1_3gpuE9ELNS1_3repE0EEENS1_30default_config_static_selectorELNS0_4arch9wavefront6targetE0EEEvSY_.kd
    .uniform_work_group_size: 1
    .uses_dynamic_stack: false
    .vgpr_count:     0
    .vgpr_spill_count: 0
    .wavefront_size: 32
    .workgroup_processor_mode: 1
  - .args:
      - .offset:         0
        .size:           152
        .value_kind:     by_value
    .group_segment_fixed_size: 0
    .kernarg_segment_align: 8
    .kernarg_segment_size: 152
    .language:       OpenCL C
    .language_version:
      - 2
      - 0
    .max_flat_workgroup_size: 256
    .name:           _ZN7rocprim17ROCPRIM_400000_NS6detail17trampoline_kernelINS0_13select_configILj256ELj13ELNS0_17block_load_methodE3ELS4_3ELS4_3ELNS0_20block_scan_algorithmE0ELj4294967295EEENS1_25partition_config_selectorILNS1_17partition_subalgoE3EjNS0_10empty_typeEbEEZZNS1_14partition_implILS8_3ELb0ES6_jNS0_17counting_iteratorIjlEEPS9_SE_NS0_5tupleIJPjSE_EEENSF_IJSE_SE_EEES9_SG_JZNS1_25segmented_radix_sort_implINS0_14default_configELb0EPKfPfPKlPlN2at6native12_GLOBAL__N_18offset_tEEE10hipError_tPvRmT1_PNSt15iterator_traitsISY_E10value_typeET2_T3_PNSZ_IS14_E10value_typeET4_jRbjT5_S1A_jjP12ihipStream_tbEUljE_EEESV_SW_SX_S14_S18_S1A_T6_T7_T9_mT8_S1C_bDpT10_ENKUlT_T0_E_clISt17integral_constantIbLb0EES1O_IbLb1EEEEDaS1K_S1L_EUlS1K_E_NS1_11comp_targetILNS1_3genE4ELNS1_11target_archE910ELNS1_3gpuE8ELNS1_3repE0EEENS1_30default_config_static_selectorELNS0_4arch9wavefront6targetE0EEEvSY_
    .private_segment_fixed_size: 0
    .sgpr_count:     0
    .sgpr_spill_count: 0
    .symbol:         _ZN7rocprim17ROCPRIM_400000_NS6detail17trampoline_kernelINS0_13select_configILj256ELj13ELNS0_17block_load_methodE3ELS4_3ELS4_3ELNS0_20block_scan_algorithmE0ELj4294967295EEENS1_25partition_config_selectorILNS1_17partition_subalgoE3EjNS0_10empty_typeEbEEZZNS1_14partition_implILS8_3ELb0ES6_jNS0_17counting_iteratorIjlEEPS9_SE_NS0_5tupleIJPjSE_EEENSF_IJSE_SE_EEES9_SG_JZNS1_25segmented_radix_sort_implINS0_14default_configELb0EPKfPfPKlPlN2at6native12_GLOBAL__N_18offset_tEEE10hipError_tPvRmT1_PNSt15iterator_traitsISY_E10value_typeET2_T3_PNSZ_IS14_E10value_typeET4_jRbjT5_S1A_jjP12ihipStream_tbEUljE_EEESV_SW_SX_S14_S18_S1A_T6_T7_T9_mT8_S1C_bDpT10_ENKUlT_T0_E_clISt17integral_constantIbLb0EES1O_IbLb1EEEEDaS1K_S1L_EUlS1K_E_NS1_11comp_targetILNS1_3genE4ELNS1_11target_archE910ELNS1_3gpuE8ELNS1_3repE0EEENS1_30default_config_static_selectorELNS0_4arch9wavefront6targetE0EEEvSY_.kd
    .uniform_work_group_size: 1
    .uses_dynamic_stack: false
    .vgpr_count:     0
    .vgpr_spill_count: 0
    .wavefront_size: 32
    .workgroup_processor_mode: 1
  - .args:
      - .offset:         0
        .size:           152
        .value_kind:     by_value
    .group_segment_fixed_size: 0
    .kernarg_segment_align: 8
    .kernarg_segment_size: 152
    .language:       OpenCL C
    .language_version:
      - 2
      - 0
    .max_flat_workgroup_size: 256
    .name:           _ZN7rocprim17ROCPRIM_400000_NS6detail17trampoline_kernelINS0_13select_configILj256ELj13ELNS0_17block_load_methodE3ELS4_3ELS4_3ELNS0_20block_scan_algorithmE0ELj4294967295EEENS1_25partition_config_selectorILNS1_17partition_subalgoE3EjNS0_10empty_typeEbEEZZNS1_14partition_implILS8_3ELb0ES6_jNS0_17counting_iteratorIjlEEPS9_SE_NS0_5tupleIJPjSE_EEENSF_IJSE_SE_EEES9_SG_JZNS1_25segmented_radix_sort_implINS0_14default_configELb0EPKfPfPKlPlN2at6native12_GLOBAL__N_18offset_tEEE10hipError_tPvRmT1_PNSt15iterator_traitsISY_E10value_typeET2_T3_PNSZ_IS14_E10value_typeET4_jRbjT5_S1A_jjP12ihipStream_tbEUljE_EEESV_SW_SX_S14_S18_S1A_T6_T7_T9_mT8_S1C_bDpT10_ENKUlT_T0_E_clISt17integral_constantIbLb0EES1O_IbLb1EEEEDaS1K_S1L_EUlS1K_E_NS1_11comp_targetILNS1_3genE3ELNS1_11target_archE908ELNS1_3gpuE7ELNS1_3repE0EEENS1_30default_config_static_selectorELNS0_4arch9wavefront6targetE0EEEvSY_
    .private_segment_fixed_size: 0
    .sgpr_count:     0
    .sgpr_spill_count: 0
    .symbol:         _ZN7rocprim17ROCPRIM_400000_NS6detail17trampoline_kernelINS0_13select_configILj256ELj13ELNS0_17block_load_methodE3ELS4_3ELS4_3ELNS0_20block_scan_algorithmE0ELj4294967295EEENS1_25partition_config_selectorILNS1_17partition_subalgoE3EjNS0_10empty_typeEbEEZZNS1_14partition_implILS8_3ELb0ES6_jNS0_17counting_iteratorIjlEEPS9_SE_NS0_5tupleIJPjSE_EEENSF_IJSE_SE_EEES9_SG_JZNS1_25segmented_radix_sort_implINS0_14default_configELb0EPKfPfPKlPlN2at6native12_GLOBAL__N_18offset_tEEE10hipError_tPvRmT1_PNSt15iterator_traitsISY_E10value_typeET2_T3_PNSZ_IS14_E10value_typeET4_jRbjT5_S1A_jjP12ihipStream_tbEUljE_EEESV_SW_SX_S14_S18_S1A_T6_T7_T9_mT8_S1C_bDpT10_ENKUlT_T0_E_clISt17integral_constantIbLb0EES1O_IbLb1EEEEDaS1K_S1L_EUlS1K_E_NS1_11comp_targetILNS1_3genE3ELNS1_11target_archE908ELNS1_3gpuE7ELNS1_3repE0EEENS1_30default_config_static_selectorELNS0_4arch9wavefront6targetE0EEEvSY_.kd
    .uniform_work_group_size: 1
    .uses_dynamic_stack: false
    .vgpr_count:     0
    .vgpr_spill_count: 0
    .wavefront_size: 32
    .workgroup_processor_mode: 1
  - .args:
      - .offset:         0
        .size:           152
        .value_kind:     by_value
    .group_segment_fixed_size: 0
    .kernarg_segment_align: 8
    .kernarg_segment_size: 152
    .language:       OpenCL C
    .language_version:
      - 2
      - 0
    .max_flat_workgroup_size: 256
    .name:           _ZN7rocprim17ROCPRIM_400000_NS6detail17trampoline_kernelINS0_13select_configILj256ELj13ELNS0_17block_load_methodE3ELS4_3ELS4_3ELNS0_20block_scan_algorithmE0ELj4294967295EEENS1_25partition_config_selectorILNS1_17partition_subalgoE3EjNS0_10empty_typeEbEEZZNS1_14partition_implILS8_3ELb0ES6_jNS0_17counting_iteratorIjlEEPS9_SE_NS0_5tupleIJPjSE_EEENSF_IJSE_SE_EEES9_SG_JZNS1_25segmented_radix_sort_implINS0_14default_configELb0EPKfPfPKlPlN2at6native12_GLOBAL__N_18offset_tEEE10hipError_tPvRmT1_PNSt15iterator_traitsISY_E10value_typeET2_T3_PNSZ_IS14_E10value_typeET4_jRbjT5_S1A_jjP12ihipStream_tbEUljE_EEESV_SW_SX_S14_S18_S1A_T6_T7_T9_mT8_S1C_bDpT10_ENKUlT_T0_E_clISt17integral_constantIbLb0EES1O_IbLb1EEEEDaS1K_S1L_EUlS1K_E_NS1_11comp_targetILNS1_3genE2ELNS1_11target_archE906ELNS1_3gpuE6ELNS1_3repE0EEENS1_30default_config_static_selectorELNS0_4arch9wavefront6targetE0EEEvSY_
    .private_segment_fixed_size: 0
    .sgpr_count:     0
    .sgpr_spill_count: 0
    .symbol:         _ZN7rocprim17ROCPRIM_400000_NS6detail17trampoline_kernelINS0_13select_configILj256ELj13ELNS0_17block_load_methodE3ELS4_3ELS4_3ELNS0_20block_scan_algorithmE0ELj4294967295EEENS1_25partition_config_selectorILNS1_17partition_subalgoE3EjNS0_10empty_typeEbEEZZNS1_14partition_implILS8_3ELb0ES6_jNS0_17counting_iteratorIjlEEPS9_SE_NS0_5tupleIJPjSE_EEENSF_IJSE_SE_EEES9_SG_JZNS1_25segmented_radix_sort_implINS0_14default_configELb0EPKfPfPKlPlN2at6native12_GLOBAL__N_18offset_tEEE10hipError_tPvRmT1_PNSt15iterator_traitsISY_E10value_typeET2_T3_PNSZ_IS14_E10value_typeET4_jRbjT5_S1A_jjP12ihipStream_tbEUljE_EEESV_SW_SX_S14_S18_S1A_T6_T7_T9_mT8_S1C_bDpT10_ENKUlT_T0_E_clISt17integral_constantIbLb0EES1O_IbLb1EEEEDaS1K_S1L_EUlS1K_E_NS1_11comp_targetILNS1_3genE2ELNS1_11target_archE906ELNS1_3gpuE6ELNS1_3repE0EEENS1_30default_config_static_selectorELNS0_4arch9wavefront6targetE0EEEvSY_.kd
    .uniform_work_group_size: 1
    .uses_dynamic_stack: false
    .vgpr_count:     0
    .vgpr_spill_count: 0
    .wavefront_size: 32
    .workgroup_processor_mode: 1
  - .args:
      - .offset:         0
        .size:           152
        .value_kind:     by_value
    .group_segment_fixed_size: 0
    .kernarg_segment_align: 8
    .kernarg_segment_size: 152
    .language:       OpenCL C
    .language_version:
      - 2
      - 0
    .max_flat_workgroup_size: 256
    .name:           _ZN7rocprim17ROCPRIM_400000_NS6detail17trampoline_kernelINS0_13select_configILj256ELj13ELNS0_17block_load_methodE3ELS4_3ELS4_3ELNS0_20block_scan_algorithmE0ELj4294967295EEENS1_25partition_config_selectorILNS1_17partition_subalgoE3EjNS0_10empty_typeEbEEZZNS1_14partition_implILS8_3ELb0ES6_jNS0_17counting_iteratorIjlEEPS9_SE_NS0_5tupleIJPjSE_EEENSF_IJSE_SE_EEES9_SG_JZNS1_25segmented_radix_sort_implINS0_14default_configELb0EPKfPfPKlPlN2at6native12_GLOBAL__N_18offset_tEEE10hipError_tPvRmT1_PNSt15iterator_traitsISY_E10value_typeET2_T3_PNSZ_IS14_E10value_typeET4_jRbjT5_S1A_jjP12ihipStream_tbEUljE_EEESV_SW_SX_S14_S18_S1A_T6_T7_T9_mT8_S1C_bDpT10_ENKUlT_T0_E_clISt17integral_constantIbLb0EES1O_IbLb1EEEEDaS1K_S1L_EUlS1K_E_NS1_11comp_targetILNS1_3genE10ELNS1_11target_archE1200ELNS1_3gpuE4ELNS1_3repE0EEENS1_30default_config_static_selectorELNS0_4arch9wavefront6targetE0EEEvSY_
    .private_segment_fixed_size: 0
    .sgpr_count:     0
    .sgpr_spill_count: 0
    .symbol:         _ZN7rocprim17ROCPRIM_400000_NS6detail17trampoline_kernelINS0_13select_configILj256ELj13ELNS0_17block_load_methodE3ELS4_3ELS4_3ELNS0_20block_scan_algorithmE0ELj4294967295EEENS1_25partition_config_selectorILNS1_17partition_subalgoE3EjNS0_10empty_typeEbEEZZNS1_14partition_implILS8_3ELb0ES6_jNS0_17counting_iteratorIjlEEPS9_SE_NS0_5tupleIJPjSE_EEENSF_IJSE_SE_EEES9_SG_JZNS1_25segmented_radix_sort_implINS0_14default_configELb0EPKfPfPKlPlN2at6native12_GLOBAL__N_18offset_tEEE10hipError_tPvRmT1_PNSt15iterator_traitsISY_E10value_typeET2_T3_PNSZ_IS14_E10value_typeET4_jRbjT5_S1A_jjP12ihipStream_tbEUljE_EEESV_SW_SX_S14_S18_S1A_T6_T7_T9_mT8_S1C_bDpT10_ENKUlT_T0_E_clISt17integral_constantIbLb0EES1O_IbLb1EEEEDaS1K_S1L_EUlS1K_E_NS1_11comp_targetILNS1_3genE10ELNS1_11target_archE1200ELNS1_3gpuE4ELNS1_3repE0EEENS1_30default_config_static_selectorELNS0_4arch9wavefront6targetE0EEEvSY_.kd
    .uniform_work_group_size: 1
    .uses_dynamic_stack: false
    .vgpr_count:     0
    .vgpr_spill_count: 0
    .wavefront_size: 32
    .workgroup_processor_mode: 1
  - .args:
      - .offset:         0
        .size:           152
        .value_kind:     by_value
    .group_segment_fixed_size: 13324
    .kernarg_segment_align: 8
    .kernarg_segment_size: 152
    .language:       OpenCL C
    .language_version:
      - 2
      - 0
    .max_flat_workgroup_size: 256
    .name:           _ZN7rocprim17ROCPRIM_400000_NS6detail17trampoline_kernelINS0_13select_configILj256ELj13ELNS0_17block_load_methodE3ELS4_3ELS4_3ELNS0_20block_scan_algorithmE0ELj4294967295EEENS1_25partition_config_selectorILNS1_17partition_subalgoE3EjNS0_10empty_typeEbEEZZNS1_14partition_implILS8_3ELb0ES6_jNS0_17counting_iteratorIjlEEPS9_SE_NS0_5tupleIJPjSE_EEENSF_IJSE_SE_EEES9_SG_JZNS1_25segmented_radix_sort_implINS0_14default_configELb0EPKfPfPKlPlN2at6native12_GLOBAL__N_18offset_tEEE10hipError_tPvRmT1_PNSt15iterator_traitsISY_E10value_typeET2_T3_PNSZ_IS14_E10value_typeET4_jRbjT5_S1A_jjP12ihipStream_tbEUljE_EEESV_SW_SX_S14_S18_S1A_T6_T7_T9_mT8_S1C_bDpT10_ENKUlT_T0_E_clISt17integral_constantIbLb0EES1O_IbLb1EEEEDaS1K_S1L_EUlS1K_E_NS1_11comp_targetILNS1_3genE9ELNS1_11target_archE1100ELNS1_3gpuE3ELNS1_3repE0EEENS1_30default_config_static_selectorELNS0_4arch9wavefront6targetE0EEEvSY_
    .private_segment_fixed_size: 0
    .sgpr_count:     28
    .sgpr_spill_count: 0
    .symbol:         _ZN7rocprim17ROCPRIM_400000_NS6detail17trampoline_kernelINS0_13select_configILj256ELj13ELNS0_17block_load_methodE3ELS4_3ELS4_3ELNS0_20block_scan_algorithmE0ELj4294967295EEENS1_25partition_config_selectorILNS1_17partition_subalgoE3EjNS0_10empty_typeEbEEZZNS1_14partition_implILS8_3ELb0ES6_jNS0_17counting_iteratorIjlEEPS9_SE_NS0_5tupleIJPjSE_EEENSF_IJSE_SE_EEES9_SG_JZNS1_25segmented_radix_sort_implINS0_14default_configELb0EPKfPfPKlPlN2at6native12_GLOBAL__N_18offset_tEEE10hipError_tPvRmT1_PNSt15iterator_traitsISY_E10value_typeET2_T3_PNSZ_IS14_E10value_typeET4_jRbjT5_S1A_jjP12ihipStream_tbEUljE_EEESV_SW_SX_S14_S18_S1A_T6_T7_T9_mT8_S1C_bDpT10_ENKUlT_T0_E_clISt17integral_constantIbLb0EES1O_IbLb1EEEEDaS1K_S1L_EUlS1K_E_NS1_11comp_targetILNS1_3genE9ELNS1_11target_archE1100ELNS1_3gpuE3ELNS1_3repE0EEENS1_30default_config_static_selectorELNS0_4arch9wavefront6targetE0EEEvSY_.kd
    .uniform_work_group_size: 1
    .uses_dynamic_stack: false
    .vgpr_count:     60
    .vgpr_spill_count: 0
    .wavefront_size: 32
    .workgroup_processor_mode: 1
  - .args:
      - .offset:         0
        .size:           152
        .value_kind:     by_value
    .group_segment_fixed_size: 0
    .kernarg_segment_align: 8
    .kernarg_segment_size: 152
    .language:       OpenCL C
    .language_version:
      - 2
      - 0
    .max_flat_workgroup_size: 256
    .name:           _ZN7rocprim17ROCPRIM_400000_NS6detail17trampoline_kernelINS0_13select_configILj256ELj13ELNS0_17block_load_methodE3ELS4_3ELS4_3ELNS0_20block_scan_algorithmE0ELj4294967295EEENS1_25partition_config_selectorILNS1_17partition_subalgoE3EjNS0_10empty_typeEbEEZZNS1_14partition_implILS8_3ELb0ES6_jNS0_17counting_iteratorIjlEEPS9_SE_NS0_5tupleIJPjSE_EEENSF_IJSE_SE_EEES9_SG_JZNS1_25segmented_radix_sort_implINS0_14default_configELb0EPKfPfPKlPlN2at6native12_GLOBAL__N_18offset_tEEE10hipError_tPvRmT1_PNSt15iterator_traitsISY_E10value_typeET2_T3_PNSZ_IS14_E10value_typeET4_jRbjT5_S1A_jjP12ihipStream_tbEUljE_EEESV_SW_SX_S14_S18_S1A_T6_T7_T9_mT8_S1C_bDpT10_ENKUlT_T0_E_clISt17integral_constantIbLb0EES1O_IbLb1EEEEDaS1K_S1L_EUlS1K_E_NS1_11comp_targetILNS1_3genE8ELNS1_11target_archE1030ELNS1_3gpuE2ELNS1_3repE0EEENS1_30default_config_static_selectorELNS0_4arch9wavefront6targetE0EEEvSY_
    .private_segment_fixed_size: 0
    .sgpr_count:     0
    .sgpr_spill_count: 0
    .symbol:         _ZN7rocprim17ROCPRIM_400000_NS6detail17trampoline_kernelINS0_13select_configILj256ELj13ELNS0_17block_load_methodE3ELS4_3ELS4_3ELNS0_20block_scan_algorithmE0ELj4294967295EEENS1_25partition_config_selectorILNS1_17partition_subalgoE3EjNS0_10empty_typeEbEEZZNS1_14partition_implILS8_3ELb0ES6_jNS0_17counting_iteratorIjlEEPS9_SE_NS0_5tupleIJPjSE_EEENSF_IJSE_SE_EEES9_SG_JZNS1_25segmented_radix_sort_implINS0_14default_configELb0EPKfPfPKlPlN2at6native12_GLOBAL__N_18offset_tEEE10hipError_tPvRmT1_PNSt15iterator_traitsISY_E10value_typeET2_T3_PNSZ_IS14_E10value_typeET4_jRbjT5_S1A_jjP12ihipStream_tbEUljE_EEESV_SW_SX_S14_S18_S1A_T6_T7_T9_mT8_S1C_bDpT10_ENKUlT_T0_E_clISt17integral_constantIbLb0EES1O_IbLb1EEEEDaS1K_S1L_EUlS1K_E_NS1_11comp_targetILNS1_3genE8ELNS1_11target_archE1030ELNS1_3gpuE2ELNS1_3repE0EEENS1_30default_config_static_selectorELNS0_4arch9wavefront6targetE0EEEvSY_.kd
    .uniform_work_group_size: 1
    .uses_dynamic_stack: false
    .vgpr_count:     0
    .vgpr_spill_count: 0
    .wavefront_size: 32
    .workgroup_processor_mode: 1
  - .args:
      - .offset:         0
        .size:           96
        .value_kind:     by_value
    .group_segment_fixed_size: 0
    .kernarg_segment_align: 8
    .kernarg_segment_size: 96
    .language:       OpenCL C
    .language_version:
      - 2
      - 0
    .max_flat_workgroup_size: 256
    .name:           _ZN7rocprim17ROCPRIM_400000_NS6detail17trampoline_kernelINS0_14default_configENS1_36segmented_radix_sort_config_selectorIflEEZNS1_25segmented_radix_sort_implIS3_Lb0EPKfPfPKlPlN2at6native12_GLOBAL__N_18offset_tEEE10hipError_tPvRmT1_PNSt15iterator_traitsISK_E10value_typeET2_T3_PNSL_ISQ_E10value_typeET4_jRbjT5_SW_jjP12ihipStream_tbEUlT_E_NS1_11comp_targetILNS1_3genE0ELNS1_11target_archE4294967295ELNS1_3gpuE0ELNS1_3repE0EEENS1_30default_config_static_selectorELNS0_4arch9wavefront6targetE0EEEvSK_
    .private_segment_fixed_size: 0
    .sgpr_count:     0
    .sgpr_spill_count: 0
    .symbol:         _ZN7rocprim17ROCPRIM_400000_NS6detail17trampoline_kernelINS0_14default_configENS1_36segmented_radix_sort_config_selectorIflEEZNS1_25segmented_radix_sort_implIS3_Lb0EPKfPfPKlPlN2at6native12_GLOBAL__N_18offset_tEEE10hipError_tPvRmT1_PNSt15iterator_traitsISK_E10value_typeET2_T3_PNSL_ISQ_E10value_typeET4_jRbjT5_SW_jjP12ihipStream_tbEUlT_E_NS1_11comp_targetILNS1_3genE0ELNS1_11target_archE4294967295ELNS1_3gpuE0ELNS1_3repE0EEENS1_30default_config_static_selectorELNS0_4arch9wavefront6targetE0EEEvSK_.kd
    .uniform_work_group_size: 1
    .uses_dynamic_stack: false
    .vgpr_count:     0
    .vgpr_spill_count: 0
    .wavefront_size: 32
    .workgroup_processor_mode: 1
  - .args:
      - .offset:         0
        .size:           96
        .value_kind:     by_value
    .group_segment_fixed_size: 0
    .kernarg_segment_align: 8
    .kernarg_segment_size: 96
    .language:       OpenCL C
    .language_version:
      - 2
      - 0
    .max_flat_workgroup_size: 256
    .name:           _ZN7rocprim17ROCPRIM_400000_NS6detail17trampoline_kernelINS0_14default_configENS1_36segmented_radix_sort_config_selectorIflEEZNS1_25segmented_radix_sort_implIS3_Lb0EPKfPfPKlPlN2at6native12_GLOBAL__N_18offset_tEEE10hipError_tPvRmT1_PNSt15iterator_traitsISK_E10value_typeET2_T3_PNSL_ISQ_E10value_typeET4_jRbjT5_SW_jjP12ihipStream_tbEUlT_E_NS1_11comp_targetILNS1_3genE5ELNS1_11target_archE942ELNS1_3gpuE9ELNS1_3repE0EEENS1_30default_config_static_selectorELNS0_4arch9wavefront6targetE0EEEvSK_
    .private_segment_fixed_size: 0
    .sgpr_count:     0
    .sgpr_spill_count: 0
    .symbol:         _ZN7rocprim17ROCPRIM_400000_NS6detail17trampoline_kernelINS0_14default_configENS1_36segmented_radix_sort_config_selectorIflEEZNS1_25segmented_radix_sort_implIS3_Lb0EPKfPfPKlPlN2at6native12_GLOBAL__N_18offset_tEEE10hipError_tPvRmT1_PNSt15iterator_traitsISK_E10value_typeET2_T3_PNSL_ISQ_E10value_typeET4_jRbjT5_SW_jjP12ihipStream_tbEUlT_E_NS1_11comp_targetILNS1_3genE5ELNS1_11target_archE942ELNS1_3gpuE9ELNS1_3repE0EEENS1_30default_config_static_selectorELNS0_4arch9wavefront6targetE0EEEvSK_.kd
    .uniform_work_group_size: 1
    .uses_dynamic_stack: false
    .vgpr_count:     0
    .vgpr_spill_count: 0
    .wavefront_size: 32
    .workgroup_processor_mode: 1
  - .args:
      - .offset:         0
        .size:           96
        .value_kind:     by_value
    .group_segment_fixed_size: 0
    .kernarg_segment_align: 8
    .kernarg_segment_size: 96
    .language:       OpenCL C
    .language_version:
      - 2
      - 0
    .max_flat_workgroup_size: 256
    .name:           _ZN7rocprim17ROCPRIM_400000_NS6detail17trampoline_kernelINS0_14default_configENS1_36segmented_radix_sort_config_selectorIflEEZNS1_25segmented_radix_sort_implIS3_Lb0EPKfPfPKlPlN2at6native12_GLOBAL__N_18offset_tEEE10hipError_tPvRmT1_PNSt15iterator_traitsISK_E10value_typeET2_T3_PNSL_ISQ_E10value_typeET4_jRbjT5_SW_jjP12ihipStream_tbEUlT_E_NS1_11comp_targetILNS1_3genE4ELNS1_11target_archE910ELNS1_3gpuE8ELNS1_3repE0EEENS1_30default_config_static_selectorELNS0_4arch9wavefront6targetE0EEEvSK_
    .private_segment_fixed_size: 0
    .sgpr_count:     0
    .sgpr_spill_count: 0
    .symbol:         _ZN7rocprim17ROCPRIM_400000_NS6detail17trampoline_kernelINS0_14default_configENS1_36segmented_radix_sort_config_selectorIflEEZNS1_25segmented_radix_sort_implIS3_Lb0EPKfPfPKlPlN2at6native12_GLOBAL__N_18offset_tEEE10hipError_tPvRmT1_PNSt15iterator_traitsISK_E10value_typeET2_T3_PNSL_ISQ_E10value_typeET4_jRbjT5_SW_jjP12ihipStream_tbEUlT_E_NS1_11comp_targetILNS1_3genE4ELNS1_11target_archE910ELNS1_3gpuE8ELNS1_3repE0EEENS1_30default_config_static_selectorELNS0_4arch9wavefront6targetE0EEEvSK_.kd
    .uniform_work_group_size: 1
    .uses_dynamic_stack: false
    .vgpr_count:     0
    .vgpr_spill_count: 0
    .wavefront_size: 32
    .workgroup_processor_mode: 1
  - .args:
      - .offset:         0
        .size:           96
        .value_kind:     by_value
    .group_segment_fixed_size: 0
    .kernarg_segment_align: 8
    .kernarg_segment_size: 96
    .language:       OpenCL C
    .language_version:
      - 2
      - 0
    .max_flat_workgroup_size: 256
    .name:           _ZN7rocprim17ROCPRIM_400000_NS6detail17trampoline_kernelINS0_14default_configENS1_36segmented_radix_sort_config_selectorIflEEZNS1_25segmented_radix_sort_implIS3_Lb0EPKfPfPKlPlN2at6native12_GLOBAL__N_18offset_tEEE10hipError_tPvRmT1_PNSt15iterator_traitsISK_E10value_typeET2_T3_PNSL_ISQ_E10value_typeET4_jRbjT5_SW_jjP12ihipStream_tbEUlT_E_NS1_11comp_targetILNS1_3genE3ELNS1_11target_archE908ELNS1_3gpuE7ELNS1_3repE0EEENS1_30default_config_static_selectorELNS0_4arch9wavefront6targetE0EEEvSK_
    .private_segment_fixed_size: 0
    .sgpr_count:     0
    .sgpr_spill_count: 0
    .symbol:         _ZN7rocprim17ROCPRIM_400000_NS6detail17trampoline_kernelINS0_14default_configENS1_36segmented_radix_sort_config_selectorIflEEZNS1_25segmented_radix_sort_implIS3_Lb0EPKfPfPKlPlN2at6native12_GLOBAL__N_18offset_tEEE10hipError_tPvRmT1_PNSt15iterator_traitsISK_E10value_typeET2_T3_PNSL_ISQ_E10value_typeET4_jRbjT5_SW_jjP12ihipStream_tbEUlT_E_NS1_11comp_targetILNS1_3genE3ELNS1_11target_archE908ELNS1_3gpuE7ELNS1_3repE0EEENS1_30default_config_static_selectorELNS0_4arch9wavefront6targetE0EEEvSK_.kd
    .uniform_work_group_size: 1
    .uses_dynamic_stack: false
    .vgpr_count:     0
    .vgpr_spill_count: 0
    .wavefront_size: 32
    .workgroup_processor_mode: 1
  - .args:
      - .offset:         0
        .size:           96
        .value_kind:     by_value
    .group_segment_fixed_size: 0
    .kernarg_segment_align: 8
    .kernarg_segment_size: 96
    .language:       OpenCL C
    .language_version:
      - 2
      - 0
    .max_flat_workgroup_size: 256
    .name:           _ZN7rocprim17ROCPRIM_400000_NS6detail17trampoline_kernelINS0_14default_configENS1_36segmented_radix_sort_config_selectorIflEEZNS1_25segmented_radix_sort_implIS3_Lb0EPKfPfPKlPlN2at6native12_GLOBAL__N_18offset_tEEE10hipError_tPvRmT1_PNSt15iterator_traitsISK_E10value_typeET2_T3_PNSL_ISQ_E10value_typeET4_jRbjT5_SW_jjP12ihipStream_tbEUlT_E_NS1_11comp_targetILNS1_3genE2ELNS1_11target_archE906ELNS1_3gpuE6ELNS1_3repE0EEENS1_30default_config_static_selectorELNS0_4arch9wavefront6targetE0EEEvSK_
    .private_segment_fixed_size: 0
    .sgpr_count:     0
    .sgpr_spill_count: 0
    .symbol:         _ZN7rocprim17ROCPRIM_400000_NS6detail17trampoline_kernelINS0_14default_configENS1_36segmented_radix_sort_config_selectorIflEEZNS1_25segmented_radix_sort_implIS3_Lb0EPKfPfPKlPlN2at6native12_GLOBAL__N_18offset_tEEE10hipError_tPvRmT1_PNSt15iterator_traitsISK_E10value_typeET2_T3_PNSL_ISQ_E10value_typeET4_jRbjT5_SW_jjP12ihipStream_tbEUlT_E_NS1_11comp_targetILNS1_3genE2ELNS1_11target_archE906ELNS1_3gpuE6ELNS1_3repE0EEENS1_30default_config_static_selectorELNS0_4arch9wavefront6targetE0EEEvSK_.kd
    .uniform_work_group_size: 1
    .uses_dynamic_stack: false
    .vgpr_count:     0
    .vgpr_spill_count: 0
    .wavefront_size: 32
    .workgroup_processor_mode: 1
  - .args:
      - .offset:         0
        .size:           96
        .value_kind:     by_value
    .group_segment_fixed_size: 0
    .kernarg_segment_align: 8
    .kernarg_segment_size: 96
    .language:       OpenCL C
    .language_version:
      - 2
      - 0
    .max_flat_workgroup_size: 256
    .name:           _ZN7rocprim17ROCPRIM_400000_NS6detail17trampoline_kernelINS0_14default_configENS1_36segmented_radix_sort_config_selectorIflEEZNS1_25segmented_radix_sort_implIS3_Lb0EPKfPfPKlPlN2at6native12_GLOBAL__N_18offset_tEEE10hipError_tPvRmT1_PNSt15iterator_traitsISK_E10value_typeET2_T3_PNSL_ISQ_E10value_typeET4_jRbjT5_SW_jjP12ihipStream_tbEUlT_E_NS1_11comp_targetILNS1_3genE10ELNS1_11target_archE1201ELNS1_3gpuE5ELNS1_3repE0EEENS1_30default_config_static_selectorELNS0_4arch9wavefront6targetE0EEEvSK_
    .private_segment_fixed_size: 0
    .sgpr_count:     0
    .sgpr_spill_count: 0
    .symbol:         _ZN7rocprim17ROCPRIM_400000_NS6detail17trampoline_kernelINS0_14default_configENS1_36segmented_radix_sort_config_selectorIflEEZNS1_25segmented_radix_sort_implIS3_Lb0EPKfPfPKlPlN2at6native12_GLOBAL__N_18offset_tEEE10hipError_tPvRmT1_PNSt15iterator_traitsISK_E10value_typeET2_T3_PNSL_ISQ_E10value_typeET4_jRbjT5_SW_jjP12ihipStream_tbEUlT_E_NS1_11comp_targetILNS1_3genE10ELNS1_11target_archE1201ELNS1_3gpuE5ELNS1_3repE0EEENS1_30default_config_static_selectorELNS0_4arch9wavefront6targetE0EEEvSK_.kd
    .uniform_work_group_size: 1
    .uses_dynamic_stack: false
    .vgpr_count:     0
    .vgpr_spill_count: 0
    .wavefront_size: 32
    .workgroup_processor_mode: 1
  - .args:
      - .offset:         0
        .size:           96
        .value_kind:     by_value
    .group_segment_fixed_size: 0
    .kernarg_segment_align: 8
    .kernarg_segment_size: 96
    .language:       OpenCL C
    .language_version:
      - 2
      - 0
    .max_flat_workgroup_size: 128
    .name:           _ZN7rocprim17ROCPRIM_400000_NS6detail17trampoline_kernelINS0_14default_configENS1_36segmented_radix_sort_config_selectorIflEEZNS1_25segmented_radix_sort_implIS3_Lb0EPKfPfPKlPlN2at6native12_GLOBAL__N_18offset_tEEE10hipError_tPvRmT1_PNSt15iterator_traitsISK_E10value_typeET2_T3_PNSL_ISQ_E10value_typeET4_jRbjT5_SW_jjP12ihipStream_tbEUlT_E_NS1_11comp_targetILNS1_3genE10ELNS1_11target_archE1200ELNS1_3gpuE4ELNS1_3repE0EEENS1_30default_config_static_selectorELNS0_4arch9wavefront6targetE0EEEvSK_
    .private_segment_fixed_size: 0
    .sgpr_count:     0
    .sgpr_spill_count: 0
    .symbol:         _ZN7rocprim17ROCPRIM_400000_NS6detail17trampoline_kernelINS0_14default_configENS1_36segmented_radix_sort_config_selectorIflEEZNS1_25segmented_radix_sort_implIS3_Lb0EPKfPfPKlPlN2at6native12_GLOBAL__N_18offset_tEEE10hipError_tPvRmT1_PNSt15iterator_traitsISK_E10value_typeET2_T3_PNSL_ISQ_E10value_typeET4_jRbjT5_SW_jjP12ihipStream_tbEUlT_E_NS1_11comp_targetILNS1_3genE10ELNS1_11target_archE1200ELNS1_3gpuE4ELNS1_3repE0EEENS1_30default_config_static_selectorELNS0_4arch9wavefront6targetE0EEEvSK_.kd
    .uniform_work_group_size: 1
    .uses_dynamic_stack: false
    .vgpr_count:     0
    .vgpr_spill_count: 0
    .wavefront_size: 32
    .workgroup_processor_mode: 1
  - .args:
      - .offset:         0
        .size:           96
        .value_kind:     by_value
      - .offset:         96
        .size:           4
        .value_kind:     hidden_block_count_x
      - .offset:         100
        .size:           4
        .value_kind:     hidden_block_count_y
      - .offset:         104
        .size:           4
        .value_kind:     hidden_block_count_z
      - .offset:         108
        .size:           2
        .value_kind:     hidden_group_size_x
      - .offset:         110
        .size:           2
        .value_kind:     hidden_group_size_y
      - .offset:         112
        .size:           2
        .value_kind:     hidden_group_size_z
      - .offset:         114
        .size:           2
        .value_kind:     hidden_remainder_x
      - .offset:         116
        .size:           2
        .value_kind:     hidden_remainder_y
      - .offset:         118
        .size:           2
        .value_kind:     hidden_remainder_z
      - .offset:         136
        .size:           8
        .value_kind:     hidden_global_offset_x
      - .offset:         144
        .size:           8
        .value_kind:     hidden_global_offset_y
      - .offset:         152
        .size:           8
        .value_kind:     hidden_global_offset_z
      - .offset:         160
        .size:           2
        .value_kind:     hidden_grid_dims
    .group_segment_fixed_size: 17440
    .kernarg_segment_align: 8
    .kernarg_segment_size: 352
    .language:       OpenCL C
    .language_version:
      - 2
      - 0
    .max_flat_workgroup_size: 256
    .name:           _ZN7rocprim17ROCPRIM_400000_NS6detail17trampoline_kernelINS0_14default_configENS1_36segmented_radix_sort_config_selectorIflEEZNS1_25segmented_radix_sort_implIS3_Lb0EPKfPfPKlPlN2at6native12_GLOBAL__N_18offset_tEEE10hipError_tPvRmT1_PNSt15iterator_traitsISK_E10value_typeET2_T3_PNSL_ISQ_E10value_typeET4_jRbjT5_SW_jjP12ihipStream_tbEUlT_E_NS1_11comp_targetILNS1_3genE9ELNS1_11target_archE1100ELNS1_3gpuE3ELNS1_3repE0EEENS1_30default_config_static_selectorELNS0_4arch9wavefront6targetE0EEEvSK_
    .private_segment_fixed_size: 8
    .sgpr_count:     62
    .sgpr_spill_count: 0
    .symbol:         _ZN7rocprim17ROCPRIM_400000_NS6detail17trampoline_kernelINS0_14default_configENS1_36segmented_radix_sort_config_selectorIflEEZNS1_25segmented_radix_sort_implIS3_Lb0EPKfPfPKlPlN2at6native12_GLOBAL__N_18offset_tEEE10hipError_tPvRmT1_PNSt15iterator_traitsISK_E10value_typeET2_T3_PNSL_ISQ_E10value_typeET4_jRbjT5_SW_jjP12ihipStream_tbEUlT_E_NS1_11comp_targetILNS1_3genE9ELNS1_11target_archE1100ELNS1_3gpuE3ELNS1_3repE0EEENS1_30default_config_static_selectorELNS0_4arch9wavefront6targetE0EEEvSK_.kd
    .uniform_work_group_size: 1
    .uses_dynamic_stack: false
    .vgpr_count:     209
    .vgpr_spill_count: 0
    .wavefront_size: 32
    .workgroup_processor_mode: 1
  - .args:
      - .offset:         0
        .size:           96
        .value_kind:     by_value
    .group_segment_fixed_size: 0
    .kernarg_segment_align: 8
    .kernarg_segment_size: 96
    .language:       OpenCL C
    .language_version:
      - 2
      - 0
    .max_flat_workgroup_size: 256
    .name:           _ZN7rocprim17ROCPRIM_400000_NS6detail17trampoline_kernelINS0_14default_configENS1_36segmented_radix_sort_config_selectorIflEEZNS1_25segmented_radix_sort_implIS3_Lb0EPKfPfPKlPlN2at6native12_GLOBAL__N_18offset_tEEE10hipError_tPvRmT1_PNSt15iterator_traitsISK_E10value_typeET2_T3_PNSL_ISQ_E10value_typeET4_jRbjT5_SW_jjP12ihipStream_tbEUlT_E_NS1_11comp_targetILNS1_3genE8ELNS1_11target_archE1030ELNS1_3gpuE2ELNS1_3repE0EEENS1_30default_config_static_selectorELNS0_4arch9wavefront6targetE0EEEvSK_
    .private_segment_fixed_size: 0
    .sgpr_count:     0
    .sgpr_spill_count: 0
    .symbol:         _ZN7rocprim17ROCPRIM_400000_NS6detail17trampoline_kernelINS0_14default_configENS1_36segmented_radix_sort_config_selectorIflEEZNS1_25segmented_radix_sort_implIS3_Lb0EPKfPfPKlPlN2at6native12_GLOBAL__N_18offset_tEEE10hipError_tPvRmT1_PNSt15iterator_traitsISK_E10value_typeET2_T3_PNSL_ISQ_E10value_typeET4_jRbjT5_SW_jjP12ihipStream_tbEUlT_E_NS1_11comp_targetILNS1_3genE8ELNS1_11target_archE1030ELNS1_3gpuE2ELNS1_3repE0EEENS1_30default_config_static_selectorELNS0_4arch9wavefront6targetE0EEEvSK_.kd
    .uniform_work_group_size: 1
    .uses_dynamic_stack: false
    .vgpr_count:     0
    .vgpr_spill_count: 0
    .wavefront_size: 32
    .workgroup_processor_mode: 1
  - .args:
      - .offset:         0
        .size:           88
        .value_kind:     by_value
    .group_segment_fixed_size: 0
    .kernarg_segment_align: 8
    .kernarg_segment_size: 88
    .language:       OpenCL C
    .language_version:
      - 2
      - 0
    .max_flat_workgroup_size: 256
    .name:           _ZN7rocprim17ROCPRIM_400000_NS6detail17trampoline_kernelINS0_14default_configENS1_36segmented_radix_sort_config_selectorIflEEZNS1_25segmented_radix_sort_implIS3_Lb0EPKfPfPKlPlN2at6native12_GLOBAL__N_18offset_tEEE10hipError_tPvRmT1_PNSt15iterator_traitsISK_E10value_typeET2_T3_PNSL_ISQ_E10value_typeET4_jRbjT5_SW_jjP12ihipStream_tbEUlT_E0_NS1_11comp_targetILNS1_3genE0ELNS1_11target_archE4294967295ELNS1_3gpuE0ELNS1_3repE0EEENS1_60segmented_radix_sort_warp_sort_medium_config_static_selectorELNS0_4arch9wavefront6targetE0EEEvSK_
    .private_segment_fixed_size: 0
    .sgpr_count:     0
    .sgpr_spill_count: 0
    .symbol:         _ZN7rocprim17ROCPRIM_400000_NS6detail17trampoline_kernelINS0_14default_configENS1_36segmented_radix_sort_config_selectorIflEEZNS1_25segmented_radix_sort_implIS3_Lb0EPKfPfPKlPlN2at6native12_GLOBAL__N_18offset_tEEE10hipError_tPvRmT1_PNSt15iterator_traitsISK_E10value_typeET2_T3_PNSL_ISQ_E10value_typeET4_jRbjT5_SW_jjP12ihipStream_tbEUlT_E0_NS1_11comp_targetILNS1_3genE0ELNS1_11target_archE4294967295ELNS1_3gpuE0ELNS1_3repE0EEENS1_60segmented_radix_sort_warp_sort_medium_config_static_selectorELNS0_4arch9wavefront6targetE0EEEvSK_.kd
    .uniform_work_group_size: 1
    .uses_dynamic_stack: false
    .vgpr_count:     0
    .vgpr_spill_count: 0
    .wavefront_size: 32
    .workgroup_processor_mode: 1
  - .args:
      - .offset:         0
        .size:           88
        .value_kind:     by_value
    .group_segment_fixed_size: 0
    .kernarg_segment_align: 8
    .kernarg_segment_size: 88
    .language:       OpenCL C
    .language_version:
      - 2
      - 0
    .max_flat_workgroup_size: 256
    .name:           _ZN7rocprim17ROCPRIM_400000_NS6detail17trampoline_kernelINS0_14default_configENS1_36segmented_radix_sort_config_selectorIflEEZNS1_25segmented_radix_sort_implIS3_Lb0EPKfPfPKlPlN2at6native12_GLOBAL__N_18offset_tEEE10hipError_tPvRmT1_PNSt15iterator_traitsISK_E10value_typeET2_T3_PNSL_ISQ_E10value_typeET4_jRbjT5_SW_jjP12ihipStream_tbEUlT_E0_NS1_11comp_targetILNS1_3genE5ELNS1_11target_archE942ELNS1_3gpuE9ELNS1_3repE0EEENS1_60segmented_radix_sort_warp_sort_medium_config_static_selectorELNS0_4arch9wavefront6targetE0EEEvSK_
    .private_segment_fixed_size: 0
    .sgpr_count:     0
    .sgpr_spill_count: 0
    .symbol:         _ZN7rocprim17ROCPRIM_400000_NS6detail17trampoline_kernelINS0_14default_configENS1_36segmented_radix_sort_config_selectorIflEEZNS1_25segmented_radix_sort_implIS3_Lb0EPKfPfPKlPlN2at6native12_GLOBAL__N_18offset_tEEE10hipError_tPvRmT1_PNSt15iterator_traitsISK_E10value_typeET2_T3_PNSL_ISQ_E10value_typeET4_jRbjT5_SW_jjP12ihipStream_tbEUlT_E0_NS1_11comp_targetILNS1_3genE5ELNS1_11target_archE942ELNS1_3gpuE9ELNS1_3repE0EEENS1_60segmented_radix_sort_warp_sort_medium_config_static_selectorELNS0_4arch9wavefront6targetE0EEEvSK_.kd
    .uniform_work_group_size: 1
    .uses_dynamic_stack: false
    .vgpr_count:     0
    .vgpr_spill_count: 0
    .wavefront_size: 32
    .workgroup_processor_mode: 1
  - .args:
      - .offset:         0
        .size:           88
        .value_kind:     by_value
    .group_segment_fixed_size: 0
    .kernarg_segment_align: 8
    .kernarg_segment_size: 88
    .language:       OpenCL C
    .language_version:
      - 2
      - 0
    .max_flat_workgroup_size: 256
    .name:           _ZN7rocprim17ROCPRIM_400000_NS6detail17trampoline_kernelINS0_14default_configENS1_36segmented_radix_sort_config_selectorIflEEZNS1_25segmented_radix_sort_implIS3_Lb0EPKfPfPKlPlN2at6native12_GLOBAL__N_18offset_tEEE10hipError_tPvRmT1_PNSt15iterator_traitsISK_E10value_typeET2_T3_PNSL_ISQ_E10value_typeET4_jRbjT5_SW_jjP12ihipStream_tbEUlT_E0_NS1_11comp_targetILNS1_3genE4ELNS1_11target_archE910ELNS1_3gpuE8ELNS1_3repE0EEENS1_60segmented_radix_sort_warp_sort_medium_config_static_selectorELNS0_4arch9wavefront6targetE0EEEvSK_
    .private_segment_fixed_size: 0
    .sgpr_count:     0
    .sgpr_spill_count: 0
    .symbol:         _ZN7rocprim17ROCPRIM_400000_NS6detail17trampoline_kernelINS0_14default_configENS1_36segmented_radix_sort_config_selectorIflEEZNS1_25segmented_radix_sort_implIS3_Lb0EPKfPfPKlPlN2at6native12_GLOBAL__N_18offset_tEEE10hipError_tPvRmT1_PNSt15iterator_traitsISK_E10value_typeET2_T3_PNSL_ISQ_E10value_typeET4_jRbjT5_SW_jjP12ihipStream_tbEUlT_E0_NS1_11comp_targetILNS1_3genE4ELNS1_11target_archE910ELNS1_3gpuE8ELNS1_3repE0EEENS1_60segmented_radix_sort_warp_sort_medium_config_static_selectorELNS0_4arch9wavefront6targetE0EEEvSK_.kd
    .uniform_work_group_size: 1
    .uses_dynamic_stack: false
    .vgpr_count:     0
    .vgpr_spill_count: 0
    .wavefront_size: 32
    .workgroup_processor_mode: 1
  - .args:
      - .offset:         0
        .size:           88
        .value_kind:     by_value
    .group_segment_fixed_size: 0
    .kernarg_segment_align: 8
    .kernarg_segment_size: 88
    .language:       OpenCL C
    .language_version:
      - 2
      - 0
    .max_flat_workgroup_size: 256
    .name:           _ZN7rocprim17ROCPRIM_400000_NS6detail17trampoline_kernelINS0_14default_configENS1_36segmented_radix_sort_config_selectorIflEEZNS1_25segmented_radix_sort_implIS3_Lb0EPKfPfPKlPlN2at6native12_GLOBAL__N_18offset_tEEE10hipError_tPvRmT1_PNSt15iterator_traitsISK_E10value_typeET2_T3_PNSL_ISQ_E10value_typeET4_jRbjT5_SW_jjP12ihipStream_tbEUlT_E0_NS1_11comp_targetILNS1_3genE3ELNS1_11target_archE908ELNS1_3gpuE7ELNS1_3repE0EEENS1_60segmented_radix_sort_warp_sort_medium_config_static_selectorELNS0_4arch9wavefront6targetE0EEEvSK_
    .private_segment_fixed_size: 0
    .sgpr_count:     0
    .sgpr_spill_count: 0
    .symbol:         _ZN7rocprim17ROCPRIM_400000_NS6detail17trampoline_kernelINS0_14default_configENS1_36segmented_radix_sort_config_selectorIflEEZNS1_25segmented_radix_sort_implIS3_Lb0EPKfPfPKlPlN2at6native12_GLOBAL__N_18offset_tEEE10hipError_tPvRmT1_PNSt15iterator_traitsISK_E10value_typeET2_T3_PNSL_ISQ_E10value_typeET4_jRbjT5_SW_jjP12ihipStream_tbEUlT_E0_NS1_11comp_targetILNS1_3genE3ELNS1_11target_archE908ELNS1_3gpuE7ELNS1_3repE0EEENS1_60segmented_radix_sort_warp_sort_medium_config_static_selectorELNS0_4arch9wavefront6targetE0EEEvSK_.kd
    .uniform_work_group_size: 1
    .uses_dynamic_stack: false
    .vgpr_count:     0
    .vgpr_spill_count: 0
    .wavefront_size: 32
    .workgroup_processor_mode: 1
  - .args:
      - .offset:         0
        .size:           88
        .value_kind:     by_value
    .group_segment_fixed_size: 0
    .kernarg_segment_align: 8
    .kernarg_segment_size: 88
    .language:       OpenCL C
    .language_version:
      - 2
      - 0
    .max_flat_workgroup_size: 256
    .name:           _ZN7rocprim17ROCPRIM_400000_NS6detail17trampoline_kernelINS0_14default_configENS1_36segmented_radix_sort_config_selectorIflEEZNS1_25segmented_radix_sort_implIS3_Lb0EPKfPfPKlPlN2at6native12_GLOBAL__N_18offset_tEEE10hipError_tPvRmT1_PNSt15iterator_traitsISK_E10value_typeET2_T3_PNSL_ISQ_E10value_typeET4_jRbjT5_SW_jjP12ihipStream_tbEUlT_E0_NS1_11comp_targetILNS1_3genE2ELNS1_11target_archE906ELNS1_3gpuE6ELNS1_3repE0EEENS1_60segmented_radix_sort_warp_sort_medium_config_static_selectorELNS0_4arch9wavefront6targetE0EEEvSK_
    .private_segment_fixed_size: 0
    .sgpr_count:     0
    .sgpr_spill_count: 0
    .symbol:         _ZN7rocprim17ROCPRIM_400000_NS6detail17trampoline_kernelINS0_14default_configENS1_36segmented_radix_sort_config_selectorIflEEZNS1_25segmented_radix_sort_implIS3_Lb0EPKfPfPKlPlN2at6native12_GLOBAL__N_18offset_tEEE10hipError_tPvRmT1_PNSt15iterator_traitsISK_E10value_typeET2_T3_PNSL_ISQ_E10value_typeET4_jRbjT5_SW_jjP12ihipStream_tbEUlT_E0_NS1_11comp_targetILNS1_3genE2ELNS1_11target_archE906ELNS1_3gpuE6ELNS1_3repE0EEENS1_60segmented_radix_sort_warp_sort_medium_config_static_selectorELNS0_4arch9wavefront6targetE0EEEvSK_.kd
    .uniform_work_group_size: 1
    .uses_dynamic_stack: false
    .vgpr_count:     0
    .vgpr_spill_count: 0
    .wavefront_size: 32
    .workgroup_processor_mode: 1
  - .args:
      - .offset:         0
        .size:           88
        .value_kind:     by_value
    .group_segment_fixed_size: 0
    .kernarg_segment_align: 8
    .kernarg_segment_size: 88
    .language:       OpenCL C
    .language_version:
      - 2
      - 0
    .max_flat_workgroup_size: 256
    .name:           _ZN7rocprim17ROCPRIM_400000_NS6detail17trampoline_kernelINS0_14default_configENS1_36segmented_radix_sort_config_selectorIflEEZNS1_25segmented_radix_sort_implIS3_Lb0EPKfPfPKlPlN2at6native12_GLOBAL__N_18offset_tEEE10hipError_tPvRmT1_PNSt15iterator_traitsISK_E10value_typeET2_T3_PNSL_ISQ_E10value_typeET4_jRbjT5_SW_jjP12ihipStream_tbEUlT_E0_NS1_11comp_targetILNS1_3genE10ELNS1_11target_archE1201ELNS1_3gpuE5ELNS1_3repE0EEENS1_60segmented_radix_sort_warp_sort_medium_config_static_selectorELNS0_4arch9wavefront6targetE0EEEvSK_
    .private_segment_fixed_size: 0
    .sgpr_count:     0
    .sgpr_spill_count: 0
    .symbol:         _ZN7rocprim17ROCPRIM_400000_NS6detail17trampoline_kernelINS0_14default_configENS1_36segmented_radix_sort_config_selectorIflEEZNS1_25segmented_radix_sort_implIS3_Lb0EPKfPfPKlPlN2at6native12_GLOBAL__N_18offset_tEEE10hipError_tPvRmT1_PNSt15iterator_traitsISK_E10value_typeET2_T3_PNSL_ISQ_E10value_typeET4_jRbjT5_SW_jjP12ihipStream_tbEUlT_E0_NS1_11comp_targetILNS1_3genE10ELNS1_11target_archE1201ELNS1_3gpuE5ELNS1_3repE0EEENS1_60segmented_radix_sort_warp_sort_medium_config_static_selectorELNS0_4arch9wavefront6targetE0EEEvSK_.kd
    .uniform_work_group_size: 1
    .uses_dynamic_stack: false
    .vgpr_count:     0
    .vgpr_spill_count: 0
    .wavefront_size: 32
    .workgroup_processor_mode: 1
  - .args:
      - .offset:         0
        .size:           88
        .value_kind:     by_value
    .group_segment_fixed_size: 0
    .kernarg_segment_align: 8
    .kernarg_segment_size: 88
    .language:       OpenCL C
    .language_version:
      - 2
      - 0
    .max_flat_workgroup_size: 256
    .name:           _ZN7rocprim17ROCPRIM_400000_NS6detail17trampoline_kernelINS0_14default_configENS1_36segmented_radix_sort_config_selectorIflEEZNS1_25segmented_radix_sort_implIS3_Lb0EPKfPfPKlPlN2at6native12_GLOBAL__N_18offset_tEEE10hipError_tPvRmT1_PNSt15iterator_traitsISK_E10value_typeET2_T3_PNSL_ISQ_E10value_typeET4_jRbjT5_SW_jjP12ihipStream_tbEUlT_E0_NS1_11comp_targetILNS1_3genE10ELNS1_11target_archE1200ELNS1_3gpuE4ELNS1_3repE0EEENS1_60segmented_radix_sort_warp_sort_medium_config_static_selectorELNS0_4arch9wavefront6targetE0EEEvSK_
    .private_segment_fixed_size: 0
    .sgpr_count:     0
    .sgpr_spill_count: 0
    .symbol:         _ZN7rocprim17ROCPRIM_400000_NS6detail17trampoline_kernelINS0_14default_configENS1_36segmented_radix_sort_config_selectorIflEEZNS1_25segmented_radix_sort_implIS3_Lb0EPKfPfPKlPlN2at6native12_GLOBAL__N_18offset_tEEE10hipError_tPvRmT1_PNSt15iterator_traitsISK_E10value_typeET2_T3_PNSL_ISQ_E10value_typeET4_jRbjT5_SW_jjP12ihipStream_tbEUlT_E0_NS1_11comp_targetILNS1_3genE10ELNS1_11target_archE1200ELNS1_3gpuE4ELNS1_3repE0EEENS1_60segmented_radix_sort_warp_sort_medium_config_static_selectorELNS0_4arch9wavefront6targetE0EEEvSK_.kd
    .uniform_work_group_size: 1
    .uses_dynamic_stack: false
    .vgpr_count:     0
    .vgpr_spill_count: 0
    .wavefront_size: 32
    .workgroup_processor_mode: 1
  - .args:
      - .offset:         0
        .size:           88
        .value_kind:     by_value
      - .offset:         88
        .size:           4
        .value_kind:     hidden_block_count_x
      - .offset:         92
        .size:           4
        .value_kind:     hidden_block_count_y
      - .offset:         96
        .size:           4
        .value_kind:     hidden_block_count_z
      - .offset:         100
        .size:           2
        .value_kind:     hidden_group_size_x
      - .offset:         102
        .size:           2
        .value_kind:     hidden_group_size_y
      - .offset:         104
        .size:           2
        .value_kind:     hidden_group_size_z
      - .offset:         106
        .size:           2
        .value_kind:     hidden_remainder_x
      - .offset:         108
        .size:           2
        .value_kind:     hidden_remainder_y
      - .offset:         110
        .size:           2
        .value_kind:     hidden_remainder_z
      - .offset:         128
        .size:           8
        .value_kind:     hidden_global_offset_x
      - .offset:         136
        .size:           8
        .value_kind:     hidden_global_offset_y
      - .offset:         144
        .size:           8
        .value_kind:     hidden_global_offset_z
      - .offset:         152
        .size:           2
        .value_kind:     hidden_grid_dims
    .group_segment_fixed_size: 24576
    .kernarg_segment_align: 8
    .kernarg_segment_size: 344
    .language:       OpenCL C
    .language_version:
      - 2
      - 0
    .max_flat_workgroup_size: 256
    .name:           _ZN7rocprim17ROCPRIM_400000_NS6detail17trampoline_kernelINS0_14default_configENS1_36segmented_radix_sort_config_selectorIflEEZNS1_25segmented_radix_sort_implIS3_Lb0EPKfPfPKlPlN2at6native12_GLOBAL__N_18offset_tEEE10hipError_tPvRmT1_PNSt15iterator_traitsISK_E10value_typeET2_T3_PNSL_ISQ_E10value_typeET4_jRbjT5_SW_jjP12ihipStream_tbEUlT_E0_NS1_11comp_targetILNS1_3genE9ELNS1_11target_archE1100ELNS1_3gpuE3ELNS1_3repE0EEENS1_60segmented_radix_sort_warp_sort_medium_config_static_selectorELNS0_4arch9wavefront6targetE0EEEvSK_
    .private_segment_fixed_size: 0
    .sgpr_count:     42
    .sgpr_spill_count: 0
    .symbol:         _ZN7rocprim17ROCPRIM_400000_NS6detail17trampoline_kernelINS0_14default_configENS1_36segmented_radix_sort_config_selectorIflEEZNS1_25segmented_radix_sort_implIS3_Lb0EPKfPfPKlPlN2at6native12_GLOBAL__N_18offset_tEEE10hipError_tPvRmT1_PNSt15iterator_traitsISK_E10value_typeET2_T3_PNSL_ISQ_E10value_typeET4_jRbjT5_SW_jjP12ihipStream_tbEUlT_E0_NS1_11comp_targetILNS1_3genE9ELNS1_11target_archE1100ELNS1_3gpuE3ELNS1_3repE0EEENS1_60segmented_radix_sort_warp_sort_medium_config_static_selectorELNS0_4arch9wavefront6targetE0EEEvSK_.kd
    .uniform_work_group_size: 1
    .uses_dynamic_stack: false
    .vgpr_count:     88
    .vgpr_spill_count: 0
    .wavefront_size: 32
    .workgroup_processor_mode: 1
  - .args:
      - .offset:         0
        .size:           88
        .value_kind:     by_value
    .group_segment_fixed_size: 0
    .kernarg_segment_align: 8
    .kernarg_segment_size: 88
    .language:       OpenCL C
    .language_version:
      - 2
      - 0
    .max_flat_workgroup_size: 256
    .name:           _ZN7rocprim17ROCPRIM_400000_NS6detail17trampoline_kernelINS0_14default_configENS1_36segmented_radix_sort_config_selectorIflEEZNS1_25segmented_radix_sort_implIS3_Lb0EPKfPfPKlPlN2at6native12_GLOBAL__N_18offset_tEEE10hipError_tPvRmT1_PNSt15iterator_traitsISK_E10value_typeET2_T3_PNSL_ISQ_E10value_typeET4_jRbjT5_SW_jjP12ihipStream_tbEUlT_E0_NS1_11comp_targetILNS1_3genE8ELNS1_11target_archE1030ELNS1_3gpuE2ELNS1_3repE0EEENS1_60segmented_radix_sort_warp_sort_medium_config_static_selectorELNS0_4arch9wavefront6targetE0EEEvSK_
    .private_segment_fixed_size: 0
    .sgpr_count:     0
    .sgpr_spill_count: 0
    .symbol:         _ZN7rocprim17ROCPRIM_400000_NS6detail17trampoline_kernelINS0_14default_configENS1_36segmented_radix_sort_config_selectorIflEEZNS1_25segmented_radix_sort_implIS3_Lb0EPKfPfPKlPlN2at6native12_GLOBAL__N_18offset_tEEE10hipError_tPvRmT1_PNSt15iterator_traitsISK_E10value_typeET2_T3_PNSL_ISQ_E10value_typeET4_jRbjT5_SW_jjP12ihipStream_tbEUlT_E0_NS1_11comp_targetILNS1_3genE8ELNS1_11target_archE1030ELNS1_3gpuE2ELNS1_3repE0EEENS1_60segmented_radix_sort_warp_sort_medium_config_static_selectorELNS0_4arch9wavefront6targetE0EEEvSK_.kd
    .uniform_work_group_size: 1
    .uses_dynamic_stack: false
    .vgpr_count:     0
    .vgpr_spill_count: 0
    .wavefront_size: 32
    .workgroup_processor_mode: 1
  - .args:
      - .offset:         0
        .size:           88
        .value_kind:     by_value
    .group_segment_fixed_size: 0
    .kernarg_segment_align: 8
    .kernarg_segment_size: 88
    .language:       OpenCL C
    .language_version:
      - 2
      - 0
    .max_flat_workgroup_size: 256
    .name:           _ZN7rocprim17ROCPRIM_400000_NS6detail17trampoline_kernelINS0_14default_configENS1_36segmented_radix_sort_config_selectorIflEEZNS1_25segmented_radix_sort_implIS3_Lb0EPKfPfPKlPlN2at6native12_GLOBAL__N_18offset_tEEE10hipError_tPvRmT1_PNSt15iterator_traitsISK_E10value_typeET2_T3_PNSL_ISQ_E10value_typeET4_jRbjT5_SW_jjP12ihipStream_tbEUlT_E1_NS1_11comp_targetILNS1_3genE0ELNS1_11target_archE4294967295ELNS1_3gpuE0ELNS1_3repE0EEENS1_59segmented_radix_sort_warp_sort_small_config_static_selectorELNS0_4arch9wavefront6targetE0EEEvSK_
    .private_segment_fixed_size: 0
    .sgpr_count:     0
    .sgpr_spill_count: 0
    .symbol:         _ZN7rocprim17ROCPRIM_400000_NS6detail17trampoline_kernelINS0_14default_configENS1_36segmented_radix_sort_config_selectorIflEEZNS1_25segmented_radix_sort_implIS3_Lb0EPKfPfPKlPlN2at6native12_GLOBAL__N_18offset_tEEE10hipError_tPvRmT1_PNSt15iterator_traitsISK_E10value_typeET2_T3_PNSL_ISQ_E10value_typeET4_jRbjT5_SW_jjP12ihipStream_tbEUlT_E1_NS1_11comp_targetILNS1_3genE0ELNS1_11target_archE4294967295ELNS1_3gpuE0ELNS1_3repE0EEENS1_59segmented_radix_sort_warp_sort_small_config_static_selectorELNS0_4arch9wavefront6targetE0EEEvSK_.kd
    .uniform_work_group_size: 1
    .uses_dynamic_stack: false
    .vgpr_count:     0
    .vgpr_spill_count: 0
    .wavefront_size: 32
    .workgroup_processor_mode: 1
  - .args:
      - .offset:         0
        .size:           88
        .value_kind:     by_value
    .group_segment_fixed_size: 0
    .kernarg_segment_align: 8
    .kernarg_segment_size: 88
    .language:       OpenCL C
    .language_version:
      - 2
      - 0
    .max_flat_workgroup_size: 256
    .name:           _ZN7rocprim17ROCPRIM_400000_NS6detail17trampoline_kernelINS0_14default_configENS1_36segmented_radix_sort_config_selectorIflEEZNS1_25segmented_radix_sort_implIS3_Lb0EPKfPfPKlPlN2at6native12_GLOBAL__N_18offset_tEEE10hipError_tPvRmT1_PNSt15iterator_traitsISK_E10value_typeET2_T3_PNSL_ISQ_E10value_typeET4_jRbjT5_SW_jjP12ihipStream_tbEUlT_E1_NS1_11comp_targetILNS1_3genE5ELNS1_11target_archE942ELNS1_3gpuE9ELNS1_3repE0EEENS1_59segmented_radix_sort_warp_sort_small_config_static_selectorELNS0_4arch9wavefront6targetE0EEEvSK_
    .private_segment_fixed_size: 0
    .sgpr_count:     0
    .sgpr_spill_count: 0
    .symbol:         _ZN7rocprim17ROCPRIM_400000_NS6detail17trampoline_kernelINS0_14default_configENS1_36segmented_radix_sort_config_selectorIflEEZNS1_25segmented_radix_sort_implIS3_Lb0EPKfPfPKlPlN2at6native12_GLOBAL__N_18offset_tEEE10hipError_tPvRmT1_PNSt15iterator_traitsISK_E10value_typeET2_T3_PNSL_ISQ_E10value_typeET4_jRbjT5_SW_jjP12ihipStream_tbEUlT_E1_NS1_11comp_targetILNS1_3genE5ELNS1_11target_archE942ELNS1_3gpuE9ELNS1_3repE0EEENS1_59segmented_radix_sort_warp_sort_small_config_static_selectorELNS0_4arch9wavefront6targetE0EEEvSK_.kd
    .uniform_work_group_size: 1
    .uses_dynamic_stack: false
    .vgpr_count:     0
    .vgpr_spill_count: 0
    .wavefront_size: 32
    .workgroup_processor_mode: 1
  - .args:
      - .offset:         0
        .size:           88
        .value_kind:     by_value
    .group_segment_fixed_size: 0
    .kernarg_segment_align: 8
    .kernarg_segment_size: 88
    .language:       OpenCL C
    .language_version:
      - 2
      - 0
    .max_flat_workgroup_size: 256
    .name:           _ZN7rocprim17ROCPRIM_400000_NS6detail17trampoline_kernelINS0_14default_configENS1_36segmented_radix_sort_config_selectorIflEEZNS1_25segmented_radix_sort_implIS3_Lb0EPKfPfPKlPlN2at6native12_GLOBAL__N_18offset_tEEE10hipError_tPvRmT1_PNSt15iterator_traitsISK_E10value_typeET2_T3_PNSL_ISQ_E10value_typeET4_jRbjT5_SW_jjP12ihipStream_tbEUlT_E1_NS1_11comp_targetILNS1_3genE4ELNS1_11target_archE910ELNS1_3gpuE8ELNS1_3repE0EEENS1_59segmented_radix_sort_warp_sort_small_config_static_selectorELNS0_4arch9wavefront6targetE0EEEvSK_
    .private_segment_fixed_size: 0
    .sgpr_count:     0
    .sgpr_spill_count: 0
    .symbol:         _ZN7rocprim17ROCPRIM_400000_NS6detail17trampoline_kernelINS0_14default_configENS1_36segmented_radix_sort_config_selectorIflEEZNS1_25segmented_radix_sort_implIS3_Lb0EPKfPfPKlPlN2at6native12_GLOBAL__N_18offset_tEEE10hipError_tPvRmT1_PNSt15iterator_traitsISK_E10value_typeET2_T3_PNSL_ISQ_E10value_typeET4_jRbjT5_SW_jjP12ihipStream_tbEUlT_E1_NS1_11comp_targetILNS1_3genE4ELNS1_11target_archE910ELNS1_3gpuE8ELNS1_3repE0EEENS1_59segmented_radix_sort_warp_sort_small_config_static_selectorELNS0_4arch9wavefront6targetE0EEEvSK_.kd
    .uniform_work_group_size: 1
    .uses_dynamic_stack: false
    .vgpr_count:     0
    .vgpr_spill_count: 0
    .wavefront_size: 32
    .workgroup_processor_mode: 1
  - .args:
      - .offset:         0
        .size:           88
        .value_kind:     by_value
    .group_segment_fixed_size: 0
    .kernarg_segment_align: 8
    .kernarg_segment_size: 88
    .language:       OpenCL C
    .language_version:
      - 2
      - 0
    .max_flat_workgroup_size: 256
    .name:           _ZN7rocprim17ROCPRIM_400000_NS6detail17trampoline_kernelINS0_14default_configENS1_36segmented_radix_sort_config_selectorIflEEZNS1_25segmented_radix_sort_implIS3_Lb0EPKfPfPKlPlN2at6native12_GLOBAL__N_18offset_tEEE10hipError_tPvRmT1_PNSt15iterator_traitsISK_E10value_typeET2_T3_PNSL_ISQ_E10value_typeET4_jRbjT5_SW_jjP12ihipStream_tbEUlT_E1_NS1_11comp_targetILNS1_3genE3ELNS1_11target_archE908ELNS1_3gpuE7ELNS1_3repE0EEENS1_59segmented_radix_sort_warp_sort_small_config_static_selectorELNS0_4arch9wavefront6targetE0EEEvSK_
    .private_segment_fixed_size: 0
    .sgpr_count:     0
    .sgpr_spill_count: 0
    .symbol:         _ZN7rocprim17ROCPRIM_400000_NS6detail17trampoline_kernelINS0_14default_configENS1_36segmented_radix_sort_config_selectorIflEEZNS1_25segmented_radix_sort_implIS3_Lb0EPKfPfPKlPlN2at6native12_GLOBAL__N_18offset_tEEE10hipError_tPvRmT1_PNSt15iterator_traitsISK_E10value_typeET2_T3_PNSL_ISQ_E10value_typeET4_jRbjT5_SW_jjP12ihipStream_tbEUlT_E1_NS1_11comp_targetILNS1_3genE3ELNS1_11target_archE908ELNS1_3gpuE7ELNS1_3repE0EEENS1_59segmented_radix_sort_warp_sort_small_config_static_selectorELNS0_4arch9wavefront6targetE0EEEvSK_.kd
    .uniform_work_group_size: 1
    .uses_dynamic_stack: false
    .vgpr_count:     0
    .vgpr_spill_count: 0
    .wavefront_size: 32
    .workgroup_processor_mode: 1
  - .args:
      - .offset:         0
        .size:           88
        .value_kind:     by_value
    .group_segment_fixed_size: 0
    .kernarg_segment_align: 8
    .kernarg_segment_size: 88
    .language:       OpenCL C
    .language_version:
      - 2
      - 0
    .max_flat_workgroup_size: 256
    .name:           _ZN7rocprim17ROCPRIM_400000_NS6detail17trampoline_kernelINS0_14default_configENS1_36segmented_radix_sort_config_selectorIflEEZNS1_25segmented_radix_sort_implIS3_Lb0EPKfPfPKlPlN2at6native12_GLOBAL__N_18offset_tEEE10hipError_tPvRmT1_PNSt15iterator_traitsISK_E10value_typeET2_T3_PNSL_ISQ_E10value_typeET4_jRbjT5_SW_jjP12ihipStream_tbEUlT_E1_NS1_11comp_targetILNS1_3genE2ELNS1_11target_archE906ELNS1_3gpuE6ELNS1_3repE0EEENS1_59segmented_radix_sort_warp_sort_small_config_static_selectorELNS0_4arch9wavefront6targetE0EEEvSK_
    .private_segment_fixed_size: 0
    .sgpr_count:     0
    .sgpr_spill_count: 0
    .symbol:         _ZN7rocprim17ROCPRIM_400000_NS6detail17trampoline_kernelINS0_14default_configENS1_36segmented_radix_sort_config_selectorIflEEZNS1_25segmented_radix_sort_implIS3_Lb0EPKfPfPKlPlN2at6native12_GLOBAL__N_18offset_tEEE10hipError_tPvRmT1_PNSt15iterator_traitsISK_E10value_typeET2_T3_PNSL_ISQ_E10value_typeET4_jRbjT5_SW_jjP12ihipStream_tbEUlT_E1_NS1_11comp_targetILNS1_3genE2ELNS1_11target_archE906ELNS1_3gpuE6ELNS1_3repE0EEENS1_59segmented_radix_sort_warp_sort_small_config_static_selectorELNS0_4arch9wavefront6targetE0EEEvSK_.kd
    .uniform_work_group_size: 1
    .uses_dynamic_stack: false
    .vgpr_count:     0
    .vgpr_spill_count: 0
    .wavefront_size: 32
    .workgroup_processor_mode: 1
  - .args:
      - .offset:         0
        .size:           88
        .value_kind:     by_value
    .group_segment_fixed_size: 0
    .kernarg_segment_align: 8
    .kernarg_segment_size: 88
    .language:       OpenCL C
    .language_version:
      - 2
      - 0
    .max_flat_workgroup_size: 256
    .name:           _ZN7rocprim17ROCPRIM_400000_NS6detail17trampoline_kernelINS0_14default_configENS1_36segmented_radix_sort_config_selectorIflEEZNS1_25segmented_radix_sort_implIS3_Lb0EPKfPfPKlPlN2at6native12_GLOBAL__N_18offset_tEEE10hipError_tPvRmT1_PNSt15iterator_traitsISK_E10value_typeET2_T3_PNSL_ISQ_E10value_typeET4_jRbjT5_SW_jjP12ihipStream_tbEUlT_E1_NS1_11comp_targetILNS1_3genE10ELNS1_11target_archE1201ELNS1_3gpuE5ELNS1_3repE0EEENS1_59segmented_radix_sort_warp_sort_small_config_static_selectorELNS0_4arch9wavefront6targetE0EEEvSK_
    .private_segment_fixed_size: 0
    .sgpr_count:     0
    .sgpr_spill_count: 0
    .symbol:         _ZN7rocprim17ROCPRIM_400000_NS6detail17trampoline_kernelINS0_14default_configENS1_36segmented_radix_sort_config_selectorIflEEZNS1_25segmented_radix_sort_implIS3_Lb0EPKfPfPKlPlN2at6native12_GLOBAL__N_18offset_tEEE10hipError_tPvRmT1_PNSt15iterator_traitsISK_E10value_typeET2_T3_PNSL_ISQ_E10value_typeET4_jRbjT5_SW_jjP12ihipStream_tbEUlT_E1_NS1_11comp_targetILNS1_3genE10ELNS1_11target_archE1201ELNS1_3gpuE5ELNS1_3repE0EEENS1_59segmented_radix_sort_warp_sort_small_config_static_selectorELNS0_4arch9wavefront6targetE0EEEvSK_.kd
    .uniform_work_group_size: 1
    .uses_dynamic_stack: false
    .vgpr_count:     0
    .vgpr_spill_count: 0
    .wavefront_size: 32
    .workgroup_processor_mode: 1
  - .args:
      - .offset:         0
        .size:           88
        .value_kind:     by_value
    .group_segment_fixed_size: 0
    .kernarg_segment_align: 8
    .kernarg_segment_size: 88
    .language:       OpenCL C
    .language_version:
      - 2
      - 0
    .max_flat_workgroup_size: 256
    .name:           _ZN7rocprim17ROCPRIM_400000_NS6detail17trampoline_kernelINS0_14default_configENS1_36segmented_radix_sort_config_selectorIflEEZNS1_25segmented_radix_sort_implIS3_Lb0EPKfPfPKlPlN2at6native12_GLOBAL__N_18offset_tEEE10hipError_tPvRmT1_PNSt15iterator_traitsISK_E10value_typeET2_T3_PNSL_ISQ_E10value_typeET4_jRbjT5_SW_jjP12ihipStream_tbEUlT_E1_NS1_11comp_targetILNS1_3genE10ELNS1_11target_archE1200ELNS1_3gpuE4ELNS1_3repE0EEENS1_59segmented_radix_sort_warp_sort_small_config_static_selectorELNS0_4arch9wavefront6targetE0EEEvSK_
    .private_segment_fixed_size: 0
    .sgpr_count:     0
    .sgpr_spill_count: 0
    .symbol:         _ZN7rocprim17ROCPRIM_400000_NS6detail17trampoline_kernelINS0_14default_configENS1_36segmented_radix_sort_config_selectorIflEEZNS1_25segmented_radix_sort_implIS3_Lb0EPKfPfPKlPlN2at6native12_GLOBAL__N_18offset_tEEE10hipError_tPvRmT1_PNSt15iterator_traitsISK_E10value_typeET2_T3_PNSL_ISQ_E10value_typeET4_jRbjT5_SW_jjP12ihipStream_tbEUlT_E1_NS1_11comp_targetILNS1_3genE10ELNS1_11target_archE1200ELNS1_3gpuE4ELNS1_3repE0EEENS1_59segmented_radix_sort_warp_sort_small_config_static_selectorELNS0_4arch9wavefront6targetE0EEEvSK_.kd
    .uniform_work_group_size: 1
    .uses_dynamic_stack: false
    .vgpr_count:     0
    .vgpr_spill_count: 0
    .wavefront_size: 32
    .workgroup_processor_mode: 1
  - .args:
      - .offset:         0
        .size:           88
        .value_kind:     by_value
      - .offset:         88
        .size:           4
        .value_kind:     hidden_block_count_x
      - .offset:         92
        .size:           4
        .value_kind:     hidden_block_count_y
      - .offset:         96
        .size:           4
        .value_kind:     hidden_block_count_z
      - .offset:         100
        .size:           2
        .value_kind:     hidden_group_size_x
      - .offset:         102
        .size:           2
        .value_kind:     hidden_group_size_y
      - .offset:         104
        .size:           2
        .value_kind:     hidden_group_size_z
      - .offset:         106
        .size:           2
        .value_kind:     hidden_remainder_x
      - .offset:         108
        .size:           2
        .value_kind:     hidden_remainder_y
      - .offset:         110
        .size:           2
        .value_kind:     hidden_remainder_z
      - .offset:         128
        .size:           8
        .value_kind:     hidden_global_offset_x
      - .offset:         136
        .size:           8
        .value_kind:     hidden_global_offset_y
      - .offset:         144
        .size:           8
        .value_kind:     hidden_global_offset_z
      - .offset:         152
        .size:           2
        .value_kind:     hidden_grid_dims
    .group_segment_fixed_size: 12288
    .kernarg_segment_align: 8
    .kernarg_segment_size: 344
    .language:       OpenCL C
    .language_version:
      - 2
      - 0
    .max_flat_workgroup_size: 256
    .name:           _ZN7rocprim17ROCPRIM_400000_NS6detail17trampoline_kernelINS0_14default_configENS1_36segmented_radix_sort_config_selectorIflEEZNS1_25segmented_radix_sort_implIS3_Lb0EPKfPfPKlPlN2at6native12_GLOBAL__N_18offset_tEEE10hipError_tPvRmT1_PNSt15iterator_traitsISK_E10value_typeET2_T3_PNSL_ISQ_E10value_typeET4_jRbjT5_SW_jjP12ihipStream_tbEUlT_E1_NS1_11comp_targetILNS1_3genE9ELNS1_11target_archE1100ELNS1_3gpuE3ELNS1_3repE0EEENS1_59segmented_radix_sort_warp_sort_small_config_static_selectorELNS0_4arch9wavefront6targetE0EEEvSK_
    .private_segment_fixed_size: 0
    .sgpr_count:     35
    .sgpr_spill_count: 0
    .symbol:         _ZN7rocprim17ROCPRIM_400000_NS6detail17trampoline_kernelINS0_14default_configENS1_36segmented_radix_sort_config_selectorIflEEZNS1_25segmented_radix_sort_implIS3_Lb0EPKfPfPKlPlN2at6native12_GLOBAL__N_18offset_tEEE10hipError_tPvRmT1_PNSt15iterator_traitsISK_E10value_typeET2_T3_PNSL_ISQ_E10value_typeET4_jRbjT5_SW_jjP12ihipStream_tbEUlT_E1_NS1_11comp_targetILNS1_3genE9ELNS1_11target_archE1100ELNS1_3gpuE3ELNS1_3repE0EEENS1_59segmented_radix_sort_warp_sort_small_config_static_selectorELNS0_4arch9wavefront6targetE0EEEvSK_.kd
    .uniform_work_group_size: 1
    .uses_dynamic_stack: false
    .vgpr_count:     83
    .vgpr_spill_count: 0
    .wavefront_size: 32
    .workgroup_processor_mode: 1
  - .args:
      - .offset:         0
        .size:           88
        .value_kind:     by_value
    .group_segment_fixed_size: 0
    .kernarg_segment_align: 8
    .kernarg_segment_size: 88
    .language:       OpenCL C
    .language_version:
      - 2
      - 0
    .max_flat_workgroup_size: 256
    .name:           _ZN7rocprim17ROCPRIM_400000_NS6detail17trampoline_kernelINS0_14default_configENS1_36segmented_radix_sort_config_selectorIflEEZNS1_25segmented_radix_sort_implIS3_Lb0EPKfPfPKlPlN2at6native12_GLOBAL__N_18offset_tEEE10hipError_tPvRmT1_PNSt15iterator_traitsISK_E10value_typeET2_T3_PNSL_ISQ_E10value_typeET4_jRbjT5_SW_jjP12ihipStream_tbEUlT_E1_NS1_11comp_targetILNS1_3genE8ELNS1_11target_archE1030ELNS1_3gpuE2ELNS1_3repE0EEENS1_59segmented_radix_sort_warp_sort_small_config_static_selectorELNS0_4arch9wavefront6targetE0EEEvSK_
    .private_segment_fixed_size: 0
    .sgpr_count:     0
    .sgpr_spill_count: 0
    .symbol:         _ZN7rocprim17ROCPRIM_400000_NS6detail17trampoline_kernelINS0_14default_configENS1_36segmented_radix_sort_config_selectorIflEEZNS1_25segmented_radix_sort_implIS3_Lb0EPKfPfPKlPlN2at6native12_GLOBAL__N_18offset_tEEE10hipError_tPvRmT1_PNSt15iterator_traitsISK_E10value_typeET2_T3_PNSL_ISQ_E10value_typeET4_jRbjT5_SW_jjP12ihipStream_tbEUlT_E1_NS1_11comp_targetILNS1_3genE8ELNS1_11target_archE1030ELNS1_3gpuE2ELNS1_3repE0EEENS1_59segmented_radix_sort_warp_sort_small_config_static_selectorELNS0_4arch9wavefront6targetE0EEEvSK_.kd
    .uniform_work_group_size: 1
    .uses_dynamic_stack: false
    .vgpr_count:     0
    .vgpr_spill_count: 0
    .wavefront_size: 32
    .workgroup_processor_mode: 1
  - .args:
      - .offset:         0
        .size:           80
        .value_kind:     by_value
    .group_segment_fixed_size: 0
    .kernarg_segment_align: 8
    .kernarg_segment_size: 80
    .language:       OpenCL C
    .language_version:
      - 2
      - 0
    .max_flat_workgroup_size: 256
    .name:           _ZN7rocprim17ROCPRIM_400000_NS6detail17trampoline_kernelINS0_14default_configENS1_36segmented_radix_sort_config_selectorIflEEZNS1_25segmented_radix_sort_implIS3_Lb0EPKfPfPKlPlN2at6native12_GLOBAL__N_18offset_tEEE10hipError_tPvRmT1_PNSt15iterator_traitsISK_E10value_typeET2_T3_PNSL_ISQ_E10value_typeET4_jRbjT5_SW_jjP12ihipStream_tbEUlT_E2_NS1_11comp_targetILNS1_3genE0ELNS1_11target_archE4294967295ELNS1_3gpuE0ELNS1_3repE0EEENS1_30default_config_static_selectorELNS0_4arch9wavefront6targetE0EEEvSK_
    .private_segment_fixed_size: 0
    .sgpr_count:     0
    .sgpr_spill_count: 0
    .symbol:         _ZN7rocprim17ROCPRIM_400000_NS6detail17trampoline_kernelINS0_14default_configENS1_36segmented_radix_sort_config_selectorIflEEZNS1_25segmented_radix_sort_implIS3_Lb0EPKfPfPKlPlN2at6native12_GLOBAL__N_18offset_tEEE10hipError_tPvRmT1_PNSt15iterator_traitsISK_E10value_typeET2_T3_PNSL_ISQ_E10value_typeET4_jRbjT5_SW_jjP12ihipStream_tbEUlT_E2_NS1_11comp_targetILNS1_3genE0ELNS1_11target_archE4294967295ELNS1_3gpuE0ELNS1_3repE0EEENS1_30default_config_static_selectorELNS0_4arch9wavefront6targetE0EEEvSK_.kd
    .uniform_work_group_size: 1
    .uses_dynamic_stack: false
    .vgpr_count:     0
    .vgpr_spill_count: 0
    .wavefront_size: 32
    .workgroup_processor_mode: 1
  - .args:
      - .offset:         0
        .size:           80
        .value_kind:     by_value
    .group_segment_fixed_size: 0
    .kernarg_segment_align: 8
    .kernarg_segment_size: 80
    .language:       OpenCL C
    .language_version:
      - 2
      - 0
    .max_flat_workgroup_size: 256
    .name:           _ZN7rocprim17ROCPRIM_400000_NS6detail17trampoline_kernelINS0_14default_configENS1_36segmented_radix_sort_config_selectorIflEEZNS1_25segmented_radix_sort_implIS3_Lb0EPKfPfPKlPlN2at6native12_GLOBAL__N_18offset_tEEE10hipError_tPvRmT1_PNSt15iterator_traitsISK_E10value_typeET2_T3_PNSL_ISQ_E10value_typeET4_jRbjT5_SW_jjP12ihipStream_tbEUlT_E2_NS1_11comp_targetILNS1_3genE5ELNS1_11target_archE942ELNS1_3gpuE9ELNS1_3repE0EEENS1_30default_config_static_selectorELNS0_4arch9wavefront6targetE0EEEvSK_
    .private_segment_fixed_size: 0
    .sgpr_count:     0
    .sgpr_spill_count: 0
    .symbol:         _ZN7rocprim17ROCPRIM_400000_NS6detail17trampoline_kernelINS0_14default_configENS1_36segmented_radix_sort_config_selectorIflEEZNS1_25segmented_radix_sort_implIS3_Lb0EPKfPfPKlPlN2at6native12_GLOBAL__N_18offset_tEEE10hipError_tPvRmT1_PNSt15iterator_traitsISK_E10value_typeET2_T3_PNSL_ISQ_E10value_typeET4_jRbjT5_SW_jjP12ihipStream_tbEUlT_E2_NS1_11comp_targetILNS1_3genE5ELNS1_11target_archE942ELNS1_3gpuE9ELNS1_3repE0EEENS1_30default_config_static_selectorELNS0_4arch9wavefront6targetE0EEEvSK_.kd
    .uniform_work_group_size: 1
    .uses_dynamic_stack: false
    .vgpr_count:     0
    .vgpr_spill_count: 0
    .wavefront_size: 32
    .workgroup_processor_mode: 1
  - .args:
      - .offset:         0
        .size:           80
        .value_kind:     by_value
    .group_segment_fixed_size: 0
    .kernarg_segment_align: 8
    .kernarg_segment_size: 80
    .language:       OpenCL C
    .language_version:
      - 2
      - 0
    .max_flat_workgroup_size: 256
    .name:           _ZN7rocprim17ROCPRIM_400000_NS6detail17trampoline_kernelINS0_14default_configENS1_36segmented_radix_sort_config_selectorIflEEZNS1_25segmented_radix_sort_implIS3_Lb0EPKfPfPKlPlN2at6native12_GLOBAL__N_18offset_tEEE10hipError_tPvRmT1_PNSt15iterator_traitsISK_E10value_typeET2_T3_PNSL_ISQ_E10value_typeET4_jRbjT5_SW_jjP12ihipStream_tbEUlT_E2_NS1_11comp_targetILNS1_3genE4ELNS1_11target_archE910ELNS1_3gpuE8ELNS1_3repE0EEENS1_30default_config_static_selectorELNS0_4arch9wavefront6targetE0EEEvSK_
    .private_segment_fixed_size: 0
    .sgpr_count:     0
    .sgpr_spill_count: 0
    .symbol:         _ZN7rocprim17ROCPRIM_400000_NS6detail17trampoline_kernelINS0_14default_configENS1_36segmented_radix_sort_config_selectorIflEEZNS1_25segmented_radix_sort_implIS3_Lb0EPKfPfPKlPlN2at6native12_GLOBAL__N_18offset_tEEE10hipError_tPvRmT1_PNSt15iterator_traitsISK_E10value_typeET2_T3_PNSL_ISQ_E10value_typeET4_jRbjT5_SW_jjP12ihipStream_tbEUlT_E2_NS1_11comp_targetILNS1_3genE4ELNS1_11target_archE910ELNS1_3gpuE8ELNS1_3repE0EEENS1_30default_config_static_selectorELNS0_4arch9wavefront6targetE0EEEvSK_.kd
    .uniform_work_group_size: 1
    .uses_dynamic_stack: false
    .vgpr_count:     0
    .vgpr_spill_count: 0
    .wavefront_size: 32
    .workgroup_processor_mode: 1
  - .args:
      - .offset:         0
        .size:           80
        .value_kind:     by_value
    .group_segment_fixed_size: 0
    .kernarg_segment_align: 8
    .kernarg_segment_size: 80
    .language:       OpenCL C
    .language_version:
      - 2
      - 0
    .max_flat_workgroup_size: 256
    .name:           _ZN7rocprim17ROCPRIM_400000_NS6detail17trampoline_kernelINS0_14default_configENS1_36segmented_radix_sort_config_selectorIflEEZNS1_25segmented_radix_sort_implIS3_Lb0EPKfPfPKlPlN2at6native12_GLOBAL__N_18offset_tEEE10hipError_tPvRmT1_PNSt15iterator_traitsISK_E10value_typeET2_T3_PNSL_ISQ_E10value_typeET4_jRbjT5_SW_jjP12ihipStream_tbEUlT_E2_NS1_11comp_targetILNS1_3genE3ELNS1_11target_archE908ELNS1_3gpuE7ELNS1_3repE0EEENS1_30default_config_static_selectorELNS0_4arch9wavefront6targetE0EEEvSK_
    .private_segment_fixed_size: 0
    .sgpr_count:     0
    .sgpr_spill_count: 0
    .symbol:         _ZN7rocprim17ROCPRIM_400000_NS6detail17trampoline_kernelINS0_14default_configENS1_36segmented_radix_sort_config_selectorIflEEZNS1_25segmented_radix_sort_implIS3_Lb0EPKfPfPKlPlN2at6native12_GLOBAL__N_18offset_tEEE10hipError_tPvRmT1_PNSt15iterator_traitsISK_E10value_typeET2_T3_PNSL_ISQ_E10value_typeET4_jRbjT5_SW_jjP12ihipStream_tbEUlT_E2_NS1_11comp_targetILNS1_3genE3ELNS1_11target_archE908ELNS1_3gpuE7ELNS1_3repE0EEENS1_30default_config_static_selectorELNS0_4arch9wavefront6targetE0EEEvSK_.kd
    .uniform_work_group_size: 1
    .uses_dynamic_stack: false
    .vgpr_count:     0
    .vgpr_spill_count: 0
    .wavefront_size: 32
    .workgroup_processor_mode: 1
  - .args:
      - .offset:         0
        .size:           80
        .value_kind:     by_value
    .group_segment_fixed_size: 0
    .kernarg_segment_align: 8
    .kernarg_segment_size: 80
    .language:       OpenCL C
    .language_version:
      - 2
      - 0
    .max_flat_workgroup_size: 256
    .name:           _ZN7rocprim17ROCPRIM_400000_NS6detail17trampoline_kernelINS0_14default_configENS1_36segmented_radix_sort_config_selectorIflEEZNS1_25segmented_radix_sort_implIS3_Lb0EPKfPfPKlPlN2at6native12_GLOBAL__N_18offset_tEEE10hipError_tPvRmT1_PNSt15iterator_traitsISK_E10value_typeET2_T3_PNSL_ISQ_E10value_typeET4_jRbjT5_SW_jjP12ihipStream_tbEUlT_E2_NS1_11comp_targetILNS1_3genE2ELNS1_11target_archE906ELNS1_3gpuE6ELNS1_3repE0EEENS1_30default_config_static_selectorELNS0_4arch9wavefront6targetE0EEEvSK_
    .private_segment_fixed_size: 0
    .sgpr_count:     0
    .sgpr_spill_count: 0
    .symbol:         _ZN7rocprim17ROCPRIM_400000_NS6detail17trampoline_kernelINS0_14default_configENS1_36segmented_radix_sort_config_selectorIflEEZNS1_25segmented_radix_sort_implIS3_Lb0EPKfPfPKlPlN2at6native12_GLOBAL__N_18offset_tEEE10hipError_tPvRmT1_PNSt15iterator_traitsISK_E10value_typeET2_T3_PNSL_ISQ_E10value_typeET4_jRbjT5_SW_jjP12ihipStream_tbEUlT_E2_NS1_11comp_targetILNS1_3genE2ELNS1_11target_archE906ELNS1_3gpuE6ELNS1_3repE0EEENS1_30default_config_static_selectorELNS0_4arch9wavefront6targetE0EEEvSK_.kd
    .uniform_work_group_size: 1
    .uses_dynamic_stack: false
    .vgpr_count:     0
    .vgpr_spill_count: 0
    .wavefront_size: 32
    .workgroup_processor_mode: 1
  - .args:
      - .offset:         0
        .size:           80
        .value_kind:     by_value
    .group_segment_fixed_size: 0
    .kernarg_segment_align: 8
    .kernarg_segment_size: 80
    .language:       OpenCL C
    .language_version:
      - 2
      - 0
    .max_flat_workgroup_size: 256
    .name:           _ZN7rocprim17ROCPRIM_400000_NS6detail17trampoline_kernelINS0_14default_configENS1_36segmented_radix_sort_config_selectorIflEEZNS1_25segmented_radix_sort_implIS3_Lb0EPKfPfPKlPlN2at6native12_GLOBAL__N_18offset_tEEE10hipError_tPvRmT1_PNSt15iterator_traitsISK_E10value_typeET2_T3_PNSL_ISQ_E10value_typeET4_jRbjT5_SW_jjP12ihipStream_tbEUlT_E2_NS1_11comp_targetILNS1_3genE10ELNS1_11target_archE1201ELNS1_3gpuE5ELNS1_3repE0EEENS1_30default_config_static_selectorELNS0_4arch9wavefront6targetE0EEEvSK_
    .private_segment_fixed_size: 0
    .sgpr_count:     0
    .sgpr_spill_count: 0
    .symbol:         _ZN7rocprim17ROCPRIM_400000_NS6detail17trampoline_kernelINS0_14default_configENS1_36segmented_radix_sort_config_selectorIflEEZNS1_25segmented_radix_sort_implIS3_Lb0EPKfPfPKlPlN2at6native12_GLOBAL__N_18offset_tEEE10hipError_tPvRmT1_PNSt15iterator_traitsISK_E10value_typeET2_T3_PNSL_ISQ_E10value_typeET4_jRbjT5_SW_jjP12ihipStream_tbEUlT_E2_NS1_11comp_targetILNS1_3genE10ELNS1_11target_archE1201ELNS1_3gpuE5ELNS1_3repE0EEENS1_30default_config_static_selectorELNS0_4arch9wavefront6targetE0EEEvSK_.kd
    .uniform_work_group_size: 1
    .uses_dynamic_stack: false
    .vgpr_count:     0
    .vgpr_spill_count: 0
    .wavefront_size: 32
    .workgroup_processor_mode: 1
  - .args:
      - .offset:         0
        .size:           80
        .value_kind:     by_value
    .group_segment_fixed_size: 0
    .kernarg_segment_align: 8
    .kernarg_segment_size: 80
    .language:       OpenCL C
    .language_version:
      - 2
      - 0
    .max_flat_workgroup_size: 128
    .name:           _ZN7rocprim17ROCPRIM_400000_NS6detail17trampoline_kernelINS0_14default_configENS1_36segmented_radix_sort_config_selectorIflEEZNS1_25segmented_radix_sort_implIS3_Lb0EPKfPfPKlPlN2at6native12_GLOBAL__N_18offset_tEEE10hipError_tPvRmT1_PNSt15iterator_traitsISK_E10value_typeET2_T3_PNSL_ISQ_E10value_typeET4_jRbjT5_SW_jjP12ihipStream_tbEUlT_E2_NS1_11comp_targetILNS1_3genE10ELNS1_11target_archE1200ELNS1_3gpuE4ELNS1_3repE0EEENS1_30default_config_static_selectorELNS0_4arch9wavefront6targetE0EEEvSK_
    .private_segment_fixed_size: 0
    .sgpr_count:     0
    .sgpr_spill_count: 0
    .symbol:         _ZN7rocprim17ROCPRIM_400000_NS6detail17trampoline_kernelINS0_14default_configENS1_36segmented_radix_sort_config_selectorIflEEZNS1_25segmented_radix_sort_implIS3_Lb0EPKfPfPKlPlN2at6native12_GLOBAL__N_18offset_tEEE10hipError_tPvRmT1_PNSt15iterator_traitsISK_E10value_typeET2_T3_PNSL_ISQ_E10value_typeET4_jRbjT5_SW_jjP12ihipStream_tbEUlT_E2_NS1_11comp_targetILNS1_3genE10ELNS1_11target_archE1200ELNS1_3gpuE4ELNS1_3repE0EEENS1_30default_config_static_selectorELNS0_4arch9wavefront6targetE0EEEvSK_.kd
    .uniform_work_group_size: 1
    .uses_dynamic_stack: false
    .vgpr_count:     0
    .vgpr_spill_count: 0
    .wavefront_size: 32
    .workgroup_processor_mode: 1
  - .args:
      - .offset:         0
        .size:           80
        .value_kind:     by_value
      - .offset:         80
        .size:           4
        .value_kind:     hidden_block_count_x
      - .offset:         84
        .size:           4
        .value_kind:     hidden_block_count_y
      - .offset:         88
        .size:           4
        .value_kind:     hidden_block_count_z
      - .offset:         92
        .size:           2
        .value_kind:     hidden_group_size_x
      - .offset:         94
        .size:           2
        .value_kind:     hidden_group_size_y
      - .offset:         96
        .size:           2
        .value_kind:     hidden_group_size_z
      - .offset:         98
        .size:           2
        .value_kind:     hidden_remainder_x
      - .offset:         100
        .size:           2
        .value_kind:     hidden_remainder_y
      - .offset:         102
        .size:           2
        .value_kind:     hidden_remainder_z
      - .offset:         120
        .size:           8
        .value_kind:     hidden_global_offset_x
      - .offset:         128
        .size:           8
        .value_kind:     hidden_global_offset_y
      - .offset:         136
        .size:           8
        .value_kind:     hidden_global_offset_z
      - .offset:         144
        .size:           2
        .value_kind:     hidden_grid_dims
    .group_segment_fixed_size: 17440
    .kernarg_segment_align: 8
    .kernarg_segment_size: 336
    .language:       OpenCL C
    .language_version:
      - 2
      - 0
    .max_flat_workgroup_size: 256
    .name:           _ZN7rocprim17ROCPRIM_400000_NS6detail17trampoline_kernelINS0_14default_configENS1_36segmented_radix_sort_config_selectorIflEEZNS1_25segmented_radix_sort_implIS3_Lb0EPKfPfPKlPlN2at6native12_GLOBAL__N_18offset_tEEE10hipError_tPvRmT1_PNSt15iterator_traitsISK_E10value_typeET2_T3_PNSL_ISQ_E10value_typeET4_jRbjT5_SW_jjP12ihipStream_tbEUlT_E2_NS1_11comp_targetILNS1_3genE9ELNS1_11target_archE1100ELNS1_3gpuE3ELNS1_3repE0EEENS1_30default_config_static_selectorELNS0_4arch9wavefront6targetE0EEEvSK_
    .private_segment_fixed_size: 8
    .sgpr_count:     62
    .sgpr_spill_count: 0
    .symbol:         _ZN7rocprim17ROCPRIM_400000_NS6detail17trampoline_kernelINS0_14default_configENS1_36segmented_radix_sort_config_selectorIflEEZNS1_25segmented_radix_sort_implIS3_Lb0EPKfPfPKlPlN2at6native12_GLOBAL__N_18offset_tEEE10hipError_tPvRmT1_PNSt15iterator_traitsISK_E10value_typeET2_T3_PNSL_ISQ_E10value_typeET4_jRbjT5_SW_jjP12ihipStream_tbEUlT_E2_NS1_11comp_targetILNS1_3genE9ELNS1_11target_archE1100ELNS1_3gpuE3ELNS1_3repE0EEENS1_30default_config_static_selectorELNS0_4arch9wavefront6targetE0EEEvSK_.kd
    .uniform_work_group_size: 1
    .uses_dynamic_stack: false
    .vgpr_count:     209
    .vgpr_spill_count: 0
    .wavefront_size: 32
    .workgroup_processor_mode: 1
  - .args:
      - .offset:         0
        .size:           80
        .value_kind:     by_value
    .group_segment_fixed_size: 0
    .kernarg_segment_align: 8
    .kernarg_segment_size: 80
    .language:       OpenCL C
    .language_version:
      - 2
      - 0
    .max_flat_workgroup_size: 256
    .name:           _ZN7rocprim17ROCPRIM_400000_NS6detail17trampoline_kernelINS0_14default_configENS1_36segmented_radix_sort_config_selectorIflEEZNS1_25segmented_radix_sort_implIS3_Lb0EPKfPfPKlPlN2at6native12_GLOBAL__N_18offset_tEEE10hipError_tPvRmT1_PNSt15iterator_traitsISK_E10value_typeET2_T3_PNSL_ISQ_E10value_typeET4_jRbjT5_SW_jjP12ihipStream_tbEUlT_E2_NS1_11comp_targetILNS1_3genE8ELNS1_11target_archE1030ELNS1_3gpuE2ELNS1_3repE0EEENS1_30default_config_static_selectorELNS0_4arch9wavefront6targetE0EEEvSK_
    .private_segment_fixed_size: 0
    .sgpr_count:     0
    .sgpr_spill_count: 0
    .symbol:         _ZN7rocprim17ROCPRIM_400000_NS6detail17trampoline_kernelINS0_14default_configENS1_36segmented_radix_sort_config_selectorIflEEZNS1_25segmented_radix_sort_implIS3_Lb0EPKfPfPKlPlN2at6native12_GLOBAL__N_18offset_tEEE10hipError_tPvRmT1_PNSt15iterator_traitsISK_E10value_typeET2_T3_PNSL_ISQ_E10value_typeET4_jRbjT5_SW_jjP12ihipStream_tbEUlT_E2_NS1_11comp_targetILNS1_3genE8ELNS1_11target_archE1030ELNS1_3gpuE2ELNS1_3repE0EEENS1_30default_config_static_selectorELNS0_4arch9wavefront6targetE0EEEvSK_.kd
    .uniform_work_group_size: 1
    .uses_dynamic_stack: false
    .vgpr_count:     0
    .vgpr_spill_count: 0
    .wavefront_size: 32
    .workgroup_processor_mode: 1
  - .args:
      - .address_space:  global
        .offset:         0
        .size:           8
        .value_kind:     global_buffer
      - .address_space:  global
        .offset:         8
        .size:           8
        .value_kind:     global_buffer
      - .address_space:  global
        .offset:         16
        .size:           8
        .value_kind:     global_buffer
      - .address_space:  global
        .offset:         24
        .size:           8
        .value_kind:     global_buffer
      - .offset:         32
        .size:           4
        .value_kind:     by_value
      - .offset:         36
        .size:           4
        .value_kind:     by_value
      - .offset:         40
        .size:           4
        .value_kind:     hidden_block_count_x
      - .offset:         44
        .size:           4
        .value_kind:     hidden_block_count_y
      - .offset:         48
        .size:           4
        .value_kind:     hidden_block_count_z
      - .offset:         52
        .size:           2
        .value_kind:     hidden_group_size_x
      - .offset:         54
        .size:           2
        .value_kind:     hidden_group_size_y
      - .offset:         56
        .size:           2
        .value_kind:     hidden_group_size_z
      - .offset:         58
        .size:           2
        .value_kind:     hidden_remainder_x
      - .offset:         60
        .size:           2
        .value_kind:     hidden_remainder_y
      - .offset:         62
        .size:           2
        .value_kind:     hidden_remainder_z
      - .offset:         80
        .size:           8
        .value_kind:     hidden_global_offset_x
      - .offset:         88
        .size:           8
        .value_kind:     hidden_global_offset_y
      - .offset:         96
        .size:           8
        .value_kind:     hidden_global_offset_z
      - .offset:         104
        .size:           2
        .value_kind:     hidden_grid_dims
    .group_segment_fixed_size: 0
    .kernarg_segment_align: 8
    .kernarg_segment_size: 296
    .language:       OpenCL C
    .language_version:
      - 2
      - 0
    .max_flat_workgroup_size: 1024
    .name:           _ZN2at6native12_GLOBAL__N_123sort_postprocess_kernelIbEEvPKT_PS3_PlPK15HIP_vector_typeIiLj2EEii
    .private_segment_fixed_size: 0
    .sgpr_count:     18
    .sgpr_spill_count: 0
    .symbol:         _ZN2at6native12_GLOBAL__N_123sort_postprocess_kernelIbEEvPKT_PS3_PlPK15HIP_vector_typeIiLj2EEii.kd
    .uniform_work_group_size: 1
    .uses_dynamic_stack: false
    .vgpr_count:     16
    .vgpr_spill_count: 0
    .wavefront_size: 32
    .workgroup_processor_mode: 1
  - .args:
      - .offset:         0
        .size:           176
        .value_kind:     by_value
    .group_segment_fixed_size: 0
    .kernarg_segment_align: 8
    .kernarg_segment_size: 176
    .language:       OpenCL C
    .language_version:
      - 2
      - 0
    .max_flat_workgroup_size: 256
    .name:           _ZN7rocprim17ROCPRIM_400000_NS6detail17trampoline_kernelINS0_13select_configILj256ELj13ELNS0_17block_load_methodE3ELS4_3ELS4_3ELNS0_20block_scan_algorithmE0ELj4294967295EEENS1_25partition_config_selectorILNS1_17partition_subalgoE4EjNS0_10empty_typeEbEEZZNS1_14partition_implILS8_4ELb0ES6_15HIP_vector_typeIjLj2EENS0_17counting_iteratorIjlEEPS9_SG_NS0_5tupleIJPjSI_NS0_16reverse_iteratorISI_EEEEENSH_IJSG_SG_SG_EEES9_SI_JZNS1_25segmented_radix_sort_implINS0_14default_configELb1EPKbPbPKlPlN2at6native12_GLOBAL__N_18offset_tEEE10hipError_tPvRmT1_PNSt15iterator_traitsIS12_E10value_typeET2_T3_PNS13_IS18_E10value_typeET4_jRbjT5_S1E_jjP12ihipStream_tbEUljE_ZNSN_ISO_Lb1ESQ_SR_ST_SU_SY_EESZ_S10_S11_S12_S16_S17_S18_S1B_S1C_jS1D_jS1E_S1E_jjS1G_bEUljE0_EEESZ_S10_S11_S18_S1C_S1E_T6_T7_T9_mT8_S1G_bDpT10_ENKUlT_T0_E_clISt17integral_constantIbLb0EES1U_EEDaS1P_S1Q_EUlS1P_E_NS1_11comp_targetILNS1_3genE0ELNS1_11target_archE4294967295ELNS1_3gpuE0ELNS1_3repE0EEENS1_30default_config_static_selectorELNS0_4arch9wavefront6targetE0EEEvS12_
    .private_segment_fixed_size: 0
    .sgpr_count:     0
    .sgpr_spill_count: 0
    .symbol:         _ZN7rocprim17ROCPRIM_400000_NS6detail17trampoline_kernelINS0_13select_configILj256ELj13ELNS0_17block_load_methodE3ELS4_3ELS4_3ELNS0_20block_scan_algorithmE0ELj4294967295EEENS1_25partition_config_selectorILNS1_17partition_subalgoE4EjNS0_10empty_typeEbEEZZNS1_14partition_implILS8_4ELb0ES6_15HIP_vector_typeIjLj2EENS0_17counting_iteratorIjlEEPS9_SG_NS0_5tupleIJPjSI_NS0_16reverse_iteratorISI_EEEEENSH_IJSG_SG_SG_EEES9_SI_JZNS1_25segmented_radix_sort_implINS0_14default_configELb1EPKbPbPKlPlN2at6native12_GLOBAL__N_18offset_tEEE10hipError_tPvRmT1_PNSt15iterator_traitsIS12_E10value_typeET2_T3_PNS13_IS18_E10value_typeET4_jRbjT5_S1E_jjP12ihipStream_tbEUljE_ZNSN_ISO_Lb1ESQ_SR_ST_SU_SY_EESZ_S10_S11_S12_S16_S17_S18_S1B_S1C_jS1D_jS1E_S1E_jjS1G_bEUljE0_EEESZ_S10_S11_S18_S1C_S1E_T6_T7_T9_mT8_S1G_bDpT10_ENKUlT_T0_E_clISt17integral_constantIbLb0EES1U_EEDaS1P_S1Q_EUlS1P_E_NS1_11comp_targetILNS1_3genE0ELNS1_11target_archE4294967295ELNS1_3gpuE0ELNS1_3repE0EEENS1_30default_config_static_selectorELNS0_4arch9wavefront6targetE0EEEvS12_.kd
    .uniform_work_group_size: 1
    .uses_dynamic_stack: false
    .vgpr_count:     0
    .vgpr_spill_count: 0
    .wavefront_size: 32
    .workgroup_processor_mode: 1
  - .args:
      - .offset:         0
        .size:           176
        .value_kind:     by_value
    .group_segment_fixed_size: 0
    .kernarg_segment_align: 8
    .kernarg_segment_size: 176
    .language:       OpenCL C
    .language_version:
      - 2
      - 0
    .max_flat_workgroup_size: 256
    .name:           _ZN7rocprim17ROCPRIM_400000_NS6detail17trampoline_kernelINS0_13select_configILj256ELj13ELNS0_17block_load_methodE3ELS4_3ELS4_3ELNS0_20block_scan_algorithmE0ELj4294967295EEENS1_25partition_config_selectorILNS1_17partition_subalgoE4EjNS0_10empty_typeEbEEZZNS1_14partition_implILS8_4ELb0ES6_15HIP_vector_typeIjLj2EENS0_17counting_iteratorIjlEEPS9_SG_NS0_5tupleIJPjSI_NS0_16reverse_iteratorISI_EEEEENSH_IJSG_SG_SG_EEES9_SI_JZNS1_25segmented_radix_sort_implINS0_14default_configELb1EPKbPbPKlPlN2at6native12_GLOBAL__N_18offset_tEEE10hipError_tPvRmT1_PNSt15iterator_traitsIS12_E10value_typeET2_T3_PNS13_IS18_E10value_typeET4_jRbjT5_S1E_jjP12ihipStream_tbEUljE_ZNSN_ISO_Lb1ESQ_SR_ST_SU_SY_EESZ_S10_S11_S12_S16_S17_S18_S1B_S1C_jS1D_jS1E_S1E_jjS1G_bEUljE0_EEESZ_S10_S11_S18_S1C_S1E_T6_T7_T9_mT8_S1G_bDpT10_ENKUlT_T0_E_clISt17integral_constantIbLb0EES1U_EEDaS1P_S1Q_EUlS1P_E_NS1_11comp_targetILNS1_3genE5ELNS1_11target_archE942ELNS1_3gpuE9ELNS1_3repE0EEENS1_30default_config_static_selectorELNS0_4arch9wavefront6targetE0EEEvS12_
    .private_segment_fixed_size: 0
    .sgpr_count:     0
    .sgpr_spill_count: 0
    .symbol:         _ZN7rocprim17ROCPRIM_400000_NS6detail17trampoline_kernelINS0_13select_configILj256ELj13ELNS0_17block_load_methodE3ELS4_3ELS4_3ELNS0_20block_scan_algorithmE0ELj4294967295EEENS1_25partition_config_selectorILNS1_17partition_subalgoE4EjNS0_10empty_typeEbEEZZNS1_14partition_implILS8_4ELb0ES6_15HIP_vector_typeIjLj2EENS0_17counting_iteratorIjlEEPS9_SG_NS0_5tupleIJPjSI_NS0_16reverse_iteratorISI_EEEEENSH_IJSG_SG_SG_EEES9_SI_JZNS1_25segmented_radix_sort_implINS0_14default_configELb1EPKbPbPKlPlN2at6native12_GLOBAL__N_18offset_tEEE10hipError_tPvRmT1_PNSt15iterator_traitsIS12_E10value_typeET2_T3_PNS13_IS18_E10value_typeET4_jRbjT5_S1E_jjP12ihipStream_tbEUljE_ZNSN_ISO_Lb1ESQ_SR_ST_SU_SY_EESZ_S10_S11_S12_S16_S17_S18_S1B_S1C_jS1D_jS1E_S1E_jjS1G_bEUljE0_EEESZ_S10_S11_S18_S1C_S1E_T6_T7_T9_mT8_S1G_bDpT10_ENKUlT_T0_E_clISt17integral_constantIbLb0EES1U_EEDaS1P_S1Q_EUlS1P_E_NS1_11comp_targetILNS1_3genE5ELNS1_11target_archE942ELNS1_3gpuE9ELNS1_3repE0EEENS1_30default_config_static_selectorELNS0_4arch9wavefront6targetE0EEEvS12_.kd
    .uniform_work_group_size: 1
    .uses_dynamic_stack: false
    .vgpr_count:     0
    .vgpr_spill_count: 0
    .wavefront_size: 32
    .workgroup_processor_mode: 1
  - .args:
      - .offset:         0
        .size:           176
        .value_kind:     by_value
    .group_segment_fixed_size: 0
    .kernarg_segment_align: 8
    .kernarg_segment_size: 176
    .language:       OpenCL C
    .language_version:
      - 2
      - 0
    .max_flat_workgroup_size: 256
    .name:           _ZN7rocprim17ROCPRIM_400000_NS6detail17trampoline_kernelINS0_13select_configILj256ELj13ELNS0_17block_load_methodE3ELS4_3ELS4_3ELNS0_20block_scan_algorithmE0ELj4294967295EEENS1_25partition_config_selectorILNS1_17partition_subalgoE4EjNS0_10empty_typeEbEEZZNS1_14partition_implILS8_4ELb0ES6_15HIP_vector_typeIjLj2EENS0_17counting_iteratorIjlEEPS9_SG_NS0_5tupleIJPjSI_NS0_16reverse_iteratorISI_EEEEENSH_IJSG_SG_SG_EEES9_SI_JZNS1_25segmented_radix_sort_implINS0_14default_configELb1EPKbPbPKlPlN2at6native12_GLOBAL__N_18offset_tEEE10hipError_tPvRmT1_PNSt15iterator_traitsIS12_E10value_typeET2_T3_PNS13_IS18_E10value_typeET4_jRbjT5_S1E_jjP12ihipStream_tbEUljE_ZNSN_ISO_Lb1ESQ_SR_ST_SU_SY_EESZ_S10_S11_S12_S16_S17_S18_S1B_S1C_jS1D_jS1E_S1E_jjS1G_bEUljE0_EEESZ_S10_S11_S18_S1C_S1E_T6_T7_T9_mT8_S1G_bDpT10_ENKUlT_T0_E_clISt17integral_constantIbLb0EES1U_EEDaS1P_S1Q_EUlS1P_E_NS1_11comp_targetILNS1_3genE4ELNS1_11target_archE910ELNS1_3gpuE8ELNS1_3repE0EEENS1_30default_config_static_selectorELNS0_4arch9wavefront6targetE0EEEvS12_
    .private_segment_fixed_size: 0
    .sgpr_count:     0
    .sgpr_spill_count: 0
    .symbol:         _ZN7rocprim17ROCPRIM_400000_NS6detail17trampoline_kernelINS0_13select_configILj256ELj13ELNS0_17block_load_methodE3ELS4_3ELS4_3ELNS0_20block_scan_algorithmE0ELj4294967295EEENS1_25partition_config_selectorILNS1_17partition_subalgoE4EjNS0_10empty_typeEbEEZZNS1_14partition_implILS8_4ELb0ES6_15HIP_vector_typeIjLj2EENS0_17counting_iteratorIjlEEPS9_SG_NS0_5tupleIJPjSI_NS0_16reverse_iteratorISI_EEEEENSH_IJSG_SG_SG_EEES9_SI_JZNS1_25segmented_radix_sort_implINS0_14default_configELb1EPKbPbPKlPlN2at6native12_GLOBAL__N_18offset_tEEE10hipError_tPvRmT1_PNSt15iterator_traitsIS12_E10value_typeET2_T3_PNS13_IS18_E10value_typeET4_jRbjT5_S1E_jjP12ihipStream_tbEUljE_ZNSN_ISO_Lb1ESQ_SR_ST_SU_SY_EESZ_S10_S11_S12_S16_S17_S18_S1B_S1C_jS1D_jS1E_S1E_jjS1G_bEUljE0_EEESZ_S10_S11_S18_S1C_S1E_T6_T7_T9_mT8_S1G_bDpT10_ENKUlT_T0_E_clISt17integral_constantIbLb0EES1U_EEDaS1P_S1Q_EUlS1P_E_NS1_11comp_targetILNS1_3genE4ELNS1_11target_archE910ELNS1_3gpuE8ELNS1_3repE0EEENS1_30default_config_static_selectorELNS0_4arch9wavefront6targetE0EEEvS12_.kd
    .uniform_work_group_size: 1
    .uses_dynamic_stack: false
    .vgpr_count:     0
    .vgpr_spill_count: 0
    .wavefront_size: 32
    .workgroup_processor_mode: 1
  - .args:
      - .offset:         0
        .size:           176
        .value_kind:     by_value
    .group_segment_fixed_size: 0
    .kernarg_segment_align: 8
    .kernarg_segment_size: 176
    .language:       OpenCL C
    .language_version:
      - 2
      - 0
    .max_flat_workgroup_size: 256
    .name:           _ZN7rocprim17ROCPRIM_400000_NS6detail17trampoline_kernelINS0_13select_configILj256ELj13ELNS0_17block_load_methodE3ELS4_3ELS4_3ELNS0_20block_scan_algorithmE0ELj4294967295EEENS1_25partition_config_selectorILNS1_17partition_subalgoE4EjNS0_10empty_typeEbEEZZNS1_14partition_implILS8_4ELb0ES6_15HIP_vector_typeIjLj2EENS0_17counting_iteratorIjlEEPS9_SG_NS0_5tupleIJPjSI_NS0_16reverse_iteratorISI_EEEEENSH_IJSG_SG_SG_EEES9_SI_JZNS1_25segmented_radix_sort_implINS0_14default_configELb1EPKbPbPKlPlN2at6native12_GLOBAL__N_18offset_tEEE10hipError_tPvRmT1_PNSt15iterator_traitsIS12_E10value_typeET2_T3_PNS13_IS18_E10value_typeET4_jRbjT5_S1E_jjP12ihipStream_tbEUljE_ZNSN_ISO_Lb1ESQ_SR_ST_SU_SY_EESZ_S10_S11_S12_S16_S17_S18_S1B_S1C_jS1D_jS1E_S1E_jjS1G_bEUljE0_EEESZ_S10_S11_S18_S1C_S1E_T6_T7_T9_mT8_S1G_bDpT10_ENKUlT_T0_E_clISt17integral_constantIbLb0EES1U_EEDaS1P_S1Q_EUlS1P_E_NS1_11comp_targetILNS1_3genE3ELNS1_11target_archE908ELNS1_3gpuE7ELNS1_3repE0EEENS1_30default_config_static_selectorELNS0_4arch9wavefront6targetE0EEEvS12_
    .private_segment_fixed_size: 0
    .sgpr_count:     0
    .sgpr_spill_count: 0
    .symbol:         _ZN7rocprim17ROCPRIM_400000_NS6detail17trampoline_kernelINS0_13select_configILj256ELj13ELNS0_17block_load_methodE3ELS4_3ELS4_3ELNS0_20block_scan_algorithmE0ELj4294967295EEENS1_25partition_config_selectorILNS1_17partition_subalgoE4EjNS0_10empty_typeEbEEZZNS1_14partition_implILS8_4ELb0ES6_15HIP_vector_typeIjLj2EENS0_17counting_iteratorIjlEEPS9_SG_NS0_5tupleIJPjSI_NS0_16reverse_iteratorISI_EEEEENSH_IJSG_SG_SG_EEES9_SI_JZNS1_25segmented_radix_sort_implINS0_14default_configELb1EPKbPbPKlPlN2at6native12_GLOBAL__N_18offset_tEEE10hipError_tPvRmT1_PNSt15iterator_traitsIS12_E10value_typeET2_T3_PNS13_IS18_E10value_typeET4_jRbjT5_S1E_jjP12ihipStream_tbEUljE_ZNSN_ISO_Lb1ESQ_SR_ST_SU_SY_EESZ_S10_S11_S12_S16_S17_S18_S1B_S1C_jS1D_jS1E_S1E_jjS1G_bEUljE0_EEESZ_S10_S11_S18_S1C_S1E_T6_T7_T9_mT8_S1G_bDpT10_ENKUlT_T0_E_clISt17integral_constantIbLb0EES1U_EEDaS1P_S1Q_EUlS1P_E_NS1_11comp_targetILNS1_3genE3ELNS1_11target_archE908ELNS1_3gpuE7ELNS1_3repE0EEENS1_30default_config_static_selectorELNS0_4arch9wavefront6targetE0EEEvS12_.kd
    .uniform_work_group_size: 1
    .uses_dynamic_stack: false
    .vgpr_count:     0
    .vgpr_spill_count: 0
    .wavefront_size: 32
    .workgroup_processor_mode: 1
  - .args:
      - .offset:         0
        .size:           176
        .value_kind:     by_value
    .group_segment_fixed_size: 0
    .kernarg_segment_align: 8
    .kernarg_segment_size: 176
    .language:       OpenCL C
    .language_version:
      - 2
      - 0
    .max_flat_workgroup_size: 256
    .name:           _ZN7rocprim17ROCPRIM_400000_NS6detail17trampoline_kernelINS0_13select_configILj256ELj13ELNS0_17block_load_methodE3ELS4_3ELS4_3ELNS0_20block_scan_algorithmE0ELj4294967295EEENS1_25partition_config_selectorILNS1_17partition_subalgoE4EjNS0_10empty_typeEbEEZZNS1_14partition_implILS8_4ELb0ES6_15HIP_vector_typeIjLj2EENS0_17counting_iteratorIjlEEPS9_SG_NS0_5tupleIJPjSI_NS0_16reverse_iteratorISI_EEEEENSH_IJSG_SG_SG_EEES9_SI_JZNS1_25segmented_radix_sort_implINS0_14default_configELb1EPKbPbPKlPlN2at6native12_GLOBAL__N_18offset_tEEE10hipError_tPvRmT1_PNSt15iterator_traitsIS12_E10value_typeET2_T3_PNS13_IS18_E10value_typeET4_jRbjT5_S1E_jjP12ihipStream_tbEUljE_ZNSN_ISO_Lb1ESQ_SR_ST_SU_SY_EESZ_S10_S11_S12_S16_S17_S18_S1B_S1C_jS1D_jS1E_S1E_jjS1G_bEUljE0_EEESZ_S10_S11_S18_S1C_S1E_T6_T7_T9_mT8_S1G_bDpT10_ENKUlT_T0_E_clISt17integral_constantIbLb0EES1U_EEDaS1P_S1Q_EUlS1P_E_NS1_11comp_targetILNS1_3genE2ELNS1_11target_archE906ELNS1_3gpuE6ELNS1_3repE0EEENS1_30default_config_static_selectorELNS0_4arch9wavefront6targetE0EEEvS12_
    .private_segment_fixed_size: 0
    .sgpr_count:     0
    .sgpr_spill_count: 0
    .symbol:         _ZN7rocprim17ROCPRIM_400000_NS6detail17trampoline_kernelINS0_13select_configILj256ELj13ELNS0_17block_load_methodE3ELS4_3ELS4_3ELNS0_20block_scan_algorithmE0ELj4294967295EEENS1_25partition_config_selectorILNS1_17partition_subalgoE4EjNS0_10empty_typeEbEEZZNS1_14partition_implILS8_4ELb0ES6_15HIP_vector_typeIjLj2EENS0_17counting_iteratorIjlEEPS9_SG_NS0_5tupleIJPjSI_NS0_16reverse_iteratorISI_EEEEENSH_IJSG_SG_SG_EEES9_SI_JZNS1_25segmented_radix_sort_implINS0_14default_configELb1EPKbPbPKlPlN2at6native12_GLOBAL__N_18offset_tEEE10hipError_tPvRmT1_PNSt15iterator_traitsIS12_E10value_typeET2_T3_PNS13_IS18_E10value_typeET4_jRbjT5_S1E_jjP12ihipStream_tbEUljE_ZNSN_ISO_Lb1ESQ_SR_ST_SU_SY_EESZ_S10_S11_S12_S16_S17_S18_S1B_S1C_jS1D_jS1E_S1E_jjS1G_bEUljE0_EEESZ_S10_S11_S18_S1C_S1E_T6_T7_T9_mT8_S1G_bDpT10_ENKUlT_T0_E_clISt17integral_constantIbLb0EES1U_EEDaS1P_S1Q_EUlS1P_E_NS1_11comp_targetILNS1_3genE2ELNS1_11target_archE906ELNS1_3gpuE6ELNS1_3repE0EEENS1_30default_config_static_selectorELNS0_4arch9wavefront6targetE0EEEvS12_.kd
    .uniform_work_group_size: 1
    .uses_dynamic_stack: false
    .vgpr_count:     0
    .vgpr_spill_count: 0
    .wavefront_size: 32
    .workgroup_processor_mode: 1
  - .args:
      - .offset:         0
        .size:           176
        .value_kind:     by_value
    .group_segment_fixed_size: 0
    .kernarg_segment_align: 8
    .kernarg_segment_size: 176
    .language:       OpenCL C
    .language_version:
      - 2
      - 0
    .max_flat_workgroup_size: 256
    .name:           _ZN7rocprim17ROCPRIM_400000_NS6detail17trampoline_kernelINS0_13select_configILj256ELj13ELNS0_17block_load_methodE3ELS4_3ELS4_3ELNS0_20block_scan_algorithmE0ELj4294967295EEENS1_25partition_config_selectorILNS1_17partition_subalgoE4EjNS0_10empty_typeEbEEZZNS1_14partition_implILS8_4ELb0ES6_15HIP_vector_typeIjLj2EENS0_17counting_iteratorIjlEEPS9_SG_NS0_5tupleIJPjSI_NS0_16reverse_iteratorISI_EEEEENSH_IJSG_SG_SG_EEES9_SI_JZNS1_25segmented_radix_sort_implINS0_14default_configELb1EPKbPbPKlPlN2at6native12_GLOBAL__N_18offset_tEEE10hipError_tPvRmT1_PNSt15iterator_traitsIS12_E10value_typeET2_T3_PNS13_IS18_E10value_typeET4_jRbjT5_S1E_jjP12ihipStream_tbEUljE_ZNSN_ISO_Lb1ESQ_SR_ST_SU_SY_EESZ_S10_S11_S12_S16_S17_S18_S1B_S1C_jS1D_jS1E_S1E_jjS1G_bEUljE0_EEESZ_S10_S11_S18_S1C_S1E_T6_T7_T9_mT8_S1G_bDpT10_ENKUlT_T0_E_clISt17integral_constantIbLb0EES1U_EEDaS1P_S1Q_EUlS1P_E_NS1_11comp_targetILNS1_3genE10ELNS1_11target_archE1200ELNS1_3gpuE4ELNS1_3repE0EEENS1_30default_config_static_selectorELNS0_4arch9wavefront6targetE0EEEvS12_
    .private_segment_fixed_size: 0
    .sgpr_count:     0
    .sgpr_spill_count: 0
    .symbol:         _ZN7rocprim17ROCPRIM_400000_NS6detail17trampoline_kernelINS0_13select_configILj256ELj13ELNS0_17block_load_methodE3ELS4_3ELS4_3ELNS0_20block_scan_algorithmE0ELj4294967295EEENS1_25partition_config_selectorILNS1_17partition_subalgoE4EjNS0_10empty_typeEbEEZZNS1_14partition_implILS8_4ELb0ES6_15HIP_vector_typeIjLj2EENS0_17counting_iteratorIjlEEPS9_SG_NS0_5tupleIJPjSI_NS0_16reverse_iteratorISI_EEEEENSH_IJSG_SG_SG_EEES9_SI_JZNS1_25segmented_radix_sort_implINS0_14default_configELb1EPKbPbPKlPlN2at6native12_GLOBAL__N_18offset_tEEE10hipError_tPvRmT1_PNSt15iterator_traitsIS12_E10value_typeET2_T3_PNS13_IS18_E10value_typeET4_jRbjT5_S1E_jjP12ihipStream_tbEUljE_ZNSN_ISO_Lb1ESQ_SR_ST_SU_SY_EESZ_S10_S11_S12_S16_S17_S18_S1B_S1C_jS1D_jS1E_S1E_jjS1G_bEUljE0_EEESZ_S10_S11_S18_S1C_S1E_T6_T7_T9_mT8_S1G_bDpT10_ENKUlT_T0_E_clISt17integral_constantIbLb0EES1U_EEDaS1P_S1Q_EUlS1P_E_NS1_11comp_targetILNS1_3genE10ELNS1_11target_archE1200ELNS1_3gpuE4ELNS1_3repE0EEENS1_30default_config_static_selectorELNS0_4arch9wavefront6targetE0EEEvS12_.kd
    .uniform_work_group_size: 1
    .uses_dynamic_stack: false
    .vgpr_count:     0
    .vgpr_spill_count: 0
    .wavefront_size: 32
    .workgroup_processor_mode: 1
  - .args:
      - .offset:         0
        .size:           176
        .value_kind:     by_value
    .group_segment_fixed_size: 13340
    .kernarg_segment_align: 8
    .kernarg_segment_size: 176
    .language:       OpenCL C
    .language_version:
      - 2
      - 0
    .max_flat_workgroup_size: 256
    .name:           _ZN7rocprim17ROCPRIM_400000_NS6detail17trampoline_kernelINS0_13select_configILj256ELj13ELNS0_17block_load_methodE3ELS4_3ELS4_3ELNS0_20block_scan_algorithmE0ELj4294967295EEENS1_25partition_config_selectorILNS1_17partition_subalgoE4EjNS0_10empty_typeEbEEZZNS1_14partition_implILS8_4ELb0ES6_15HIP_vector_typeIjLj2EENS0_17counting_iteratorIjlEEPS9_SG_NS0_5tupleIJPjSI_NS0_16reverse_iteratorISI_EEEEENSH_IJSG_SG_SG_EEES9_SI_JZNS1_25segmented_radix_sort_implINS0_14default_configELb1EPKbPbPKlPlN2at6native12_GLOBAL__N_18offset_tEEE10hipError_tPvRmT1_PNSt15iterator_traitsIS12_E10value_typeET2_T3_PNS13_IS18_E10value_typeET4_jRbjT5_S1E_jjP12ihipStream_tbEUljE_ZNSN_ISO_Lb1ESQ_SR_ST_SU_SY_EESZ_S10_S11_S12_S16_S17_S18_S1B_S1C_jS1D_jS1E_S1E_jjS1G_bEUljE0_EEESZ_S10_S11_S18_S1C_S1E_T6_T7_T9_mT8_S1G_bDpT10_ENKUlT_T0_E_clISt17integral_constantIbLb0EES1U_EEDaS1P_S1Q_EUlS1P_E_NS1_11comp_targetILNS1_3genE9ELNS1_11target_archE1100ELNS1_3gpuE3ELNS1_3repE0EEENS1_30default_config_static_selectorELNS0_4arch9wavefront6targetE0EEEvS12_
    .private_segment_fixed_size: 0
    .sgpr_count:     61
    .sgpr_spill_count: 0
    .symbol:         _ZN7rocprim17ROCPRIM_400000_NS6detail17trampoline_kernelINS0_13select_configILj256ELj13ELNS0_17block_load_methodE3ELS4_3ELS4_3ELNS0_20block_scan_algorithmE0ELj4294967295EEENS1_25partition_config_selectorILNS1_17partition_subalgoE4EjNS0_10empty_typeEbEEZZNS1_14partition_implILS8_4ELb0ES6_15HIP_vector_typeIjLj2EENS0_17counting_iteratorIjlEEPS9_SG_NS0_5tupleIJPjSI_NS0_16reverse_iteratorISI_EEEEENSH_IJSG_SG_SG_EEES9_SI_JZNS1_25segmented_radix_sort_implINS0_14default_configELb1EPKbPbPKlPlN2at6native12_GLOBAL__N_18offset_tEEE10hipError_tPvRmT1_PNSt15iterator_traitsIS12_E10value_typeET2_T3_PNS13_IS18_E10value_typeET4_jRbjT5_S1E_jjP12ihipStream_tbEUljE_ZNSN_ISO_Lb1ESQ_SR_ST_SU_SY_EESZ_S10_S11_S12_S16_S17_S18_S1B_S1C_jS1D_jS1E_S1E_jjS1G_bEUljE0_EEESZ_S10_S11_S18_S1C_S1E_T6_T7_T9_mT8_S1G_bDpT10_ENKUlT_T0_E_clISt17integral_constantIbLb0EES1U_EEDaS1P_S1Q_EUlS1P_E_NS1_11comp_targetILNS1_3genE9ELNS1_11target_archE1100ELNS1_3gpuE3ELNS1_3repE0EEENS1_30default_config_static_selectorELNS0_4arch9wavefront6targetE0EEEvS12_.kd
    .uniform_work_group_size: 1
    .uses_dynamic_stack: false
    .vgpr_count:     98
    .vgpr_spill_count: 0
    .wavefront_size: 32
    .workgroup_processor_mode: 1
  - .args:
      - .offset:         0
        .size:           176
        .value_kind:     by_value
    .group_segment_fixed_size: 0
    .kernarg_segment_align: 8
    .kernarg_segment_size: 176
    .language:       OpenCL C
    .language_version:
      - 2
      - 0
    .max_flat_workgroup_size: 256
    .name:           _ZN7rocprim17ROCPRIM_400000_NS6detail17trampoline_kernelINS0_13select_configILj256ELj13ELNS0_17block_load_methodE3ELS4_3ELS4_3ELNS0_20block_scan_algorithmE0ELj4294967295EEENS1_25partition_config_selectorILNS1_17partition_subalgoE4EjNS0_10empty_typeEbEEZZNS1_14partition_implILS8_4ELb0ES6_15HIP_vector_typeIjLj2EENS0_17counting_iteratorIjlEEPS9_SG_NS0_5tupleIJPjSI_NS0_16reverse_iteratorISI_EEEEENSH_IJSG_SG_SG_EEES9_SI_JZNS1_25segmented_radix_sort_implINS0_14default_configELb1EPKbPbPKlPlN2at6native12_GLOBAL__N_18offset_tEEE10hipError_tPvRmT1_PNSt15iterator_traitsIS12_E10value_typeET2_T3_PNS13_IS18_E10value_typeET4_jRbjT5_S1E_jjP12ihipStream_tbEUljE_ZNSN_ISO_Lb1ESQ_SR_ST_SU_SY_EESZ_S10_S11_S12_S16_S17_S18_S1B_S1C_jS1D_jS1E_S1E_jjS1G_bEUljE0_EEESZ_S10_S11_S18_S1C_S1E_T6_T7_T9_mT8_S1G_bDpT10_ENKUlT_T0_E_clISt17integral_constantIbLb0EES1U_EEDaS1P_S1Q_EUlS1P_E_NS1_11comp_targetILNS1_3genE8ELNS1_11target_archE1030ELNS1_3gpuE2ELNS1_3repE0EEENS1_30default_config_static_selectorELNS0_4arch9wavefront6targetE0EEEvS12_
    .private_segment_fixed_size: 0
    .sgpr_count:     0
    .sgpr_spill_count: 0
    .symbol:         _ZN7rocprim17ROCPRIM_400000_NS6detail17trampoline_kernelINS0_13select_configILj256ELj13ELNS0_17block_load_methodE3ELS4_3ELS4_3ELNS0_20block_scan_algorithmE0ELj4294967295EEENS1_25partition_config_selectorILNS1_17partition_subalgoE4EjNS0_10empty_typeEbEEZZNS1_14partition_implILS8_4ELb0ES6_15HIP_vector_typeIjLj2EENS0_17counting_iteratorIjlEEPS9_SG_NS0_5tupleIJPjSI_NS0_16reverse_iteratorISI_EEEEENSH_IJSG_SG_SG_EEES9_SI_JZNS1_25segmented_radix_sort_implINS0_14default_configELb1EPKbPbPKlPlN2at6native12_GLOBAL__N_18offset_tEEE10hipError_tPvRmT1_PNSt15iterator_traitsIS12_E10value_typeET2_T3_PNS13_IS18_E10value_typeET4_jRbjT5_S1E_jjP12ihipStream_tbEUljE_ZNSN_ISO_Lb1ESQ_SR_ST_SU_SY_EESZ_S10_S11_S12_S16_S17_S18_S1B_S1C_jS1D_jS1E_S1E_jjS1G_bEUljE0_EEESZ_S10_S11_S18_S1C_S1E_T6_T7_T9_mT8_S1G_bDpT10_ENKUlT_T0_E_clISt17integral_constantIbLb0EES1U_EEDaS1P_S1Q_EUlS1P_E_NS1_11comp_targetILNS1_3genE8ELNS1_11target_archE1030ELNS1_3gpuE2ELNS1_3repE0EEENS1_30default_config_static_selectorELNS0_4arch9wavefront6targetE0EEEvS12_.kd
    .uniform_work_group_size: 1
    .uses_dynamic_stack: false
    .vgpr_count:     0
    .vgpr_spill_count: 0
    .wavefront_size: 32
    .workgroup_processor_mode: 1
  - .args:
      - .offset:         0
        .size:           184
        .value_kind:     by_value
    .group_segment_fixed_size: 0
    .kernarg_segment_align: 8
    .kernarg_segment_size: 184
    .language:       OpenCL C
    .language_version:
      - 2
      - 0
    .max_flat_workgroup_size: 256
    .name:           _ZN7rocprim17ROCPRIM_400000_NS6detail17trampoline_kernelINS0_13select_configILj256ELj13ELNS0_17block_load_methodE3ELS4_3ELS4_3ELNS0_20block_scan_algorithmE0ELj4294967295EEENS1_25partition_config_selectorILNS1_17partition_subalgoE4EjNS0_10empty_typeEbEEZZNS1_14partition_implILS8_4ELb0ES6_15HIP_vector_typeIjLj2EENS0_17counting_iteratorIjlEEPS9_SG_NS0_5tupleIJPjSI_NS0_16reverse_iteratorISI_EEEEENSH_IJSG_SG_SG_EEES9_SI_JZNS1_25segmented_radix_sort_implINS0_14default_configELb1EPKbPbPKlPlN2at6native12_GLOBAL__N_18offset_tEEE10hipError_tPvRmT1_PNSt15iterator_traitsIS12_E10value_typeET2_T3_PNS13_IS18_E10value_typeET4_jRbjT5_S1E_jjP12ihipStream_tbEUljE_ZNSN_ISO_Lb1ESQ_SR_ST_SU_SY_EESZ_S10_S11_S12_S16_S17_S18_S1B_S1C_jS1D_jS1E_S1E_jjS1G_bEUljE0_EEESZ_S10_S11_S18_S1C_S1E_T6_T7_T9_mT8_S1G_bDpT10_ENKUlT_T0_E_clISt17integral_constantIbLb1EES1U_EEDaS1P_S1Q_EUlS1P_E_NS1_11comp_targetILNS1_3genE0ELNS1_11target_archE4294967295ELNS1_3gpuE0ELNS1_3repE0EEENS1_30default_config_static_selectorELNS0_4arch9wavefront6targetE0EEEvS12_
    .private_segment_fixed_size: 0
    .sgpr_count:     0
    .sgpr_spill_count: 0
    .symbol:         _ZN7rocprim17ROCPRIM_400000_NS6detail17trampoline_kernelINS0_13select_configILj256ELj13ELNS0_17block_load_methodE3ELS4_3ELS4_3ELNS0_20block_scan_algorithmE0ELj4294967295EEENS1_25partition_config_selectorILNS1_17partition_subalgoE4EjNS0_10empty_typeEbEEZZNS1_14partition_implILS8_4ELb0ES6_15HIP_vector_typeIjLj2EENS0_17counting_iteratorIjlEEPS9_SG_NS0_5tupleIJPjSI_NS0_16reverse_iteratorISI_EEEEENSH_IJSG_SG_SG_EEES9_SI_JZNS1_25segmented_radix_sort_implINS0_14default_configELb1EPKbPbPKlPlN2at6native12_GLOBAL__N_18offset_tEEE10hipError_tPvRmT1_PNSt15iterator_traitsIS12_E10value_typeET2_T3_PNS13_IS18_E10value_typeET4_jRbjT5_S1E_jjP12ihipStream_tbEUljE_ZNSN_ISO_Lb1ESQ_SR_ST_SU_SY_EESZ_S10_S11_S12_S16_S17_S18_S1B_S1C_jS1D_jS1E_S1E_jjS1G_bEUljE0_EEESZ_S10_S11_S18_S1C_S1E_T6_T7_T9_mT8_S1G_bDpT10_ENKUlT_T0_E_clISt17integral_constantIbLb1EES1U_EEDaS1P_S1Q_EUlS1P_E_NS1_11comp_targetILNS1_3genE0ELNS1_11target_archE4294967295ELNS1_3gpuE0ELNS1_3repE0EEENS1_30default_config_static_selectorELNS0_4arch9wavefront6targetE0EEEvS12_.kd
    .uniform_work_group_size: 1
    .uses_dynamic_stack: false
    .vgpr_count:     0
    .vgpr_spill_count: 0
    .wavefront_size: 32
    .workgroup_processor_mode: 1
  - .args:
      - .offset:         0
        .size:           184
        .value_kind:     by_value
    .group_segment_fixed_size: 0
    .kernarg_segment_align: 8
    .kernarg_segment_size: 184
    .language:       OpenCL C
    .language_version:
      - 2
      - 0
    .max_flat_workgroup_size: 256
    .name:           _ZN7rocprim17ROCPRIM_400000_NS6detail17trampoline_kernelINS0_13select_configILj256ELj13ELNS0_17block_load_methodE3ELS4_3ELS4_3ELNS0_20block_scan_algorithmE0ELj4294967295EEENS1_25partition_config_selectorILNS1_17partition_subalgoE4EjNS0_10empty_typeEbEEZZNS1_14partition_implILS8_4ELb0ES6_15HIP_vector_typeIjLj2EENS0_17counting_iteratorIjlEEPS9_SG_NS0_5tupleIJPjSI_NS0_16reverse_iteratorISI_EEEEENSH_IJSG_SG_SG_EEES9_SI_JZNS1_25segmented_radix_sort_implINS0_14default_configELb1EPKbPbPKlPlN2at6native12_GLOBAL__N_18offset_tEEE10hipError_tPvRmT1_PNSt15iterator_traitsIS12_E10value_typeET2_T3_PNS13_IS18_E10value_typeET4_jRbjT5_S1E_jjP12ihipStream_tbEUljE_ZNSN_ISO_Lb1ESQ_SR_ST_SU_SY_EESZ_S10_S11_S12_S16_S17_S18_S1B_S1C_jS1D_jS1E_S1E_jjS1G_bEUljE0_EEESZ_S10_S11_S18_S1C_S1E_T6_T7_T9_mT8_S1G_bDpT10_ENKUlT_T0_E_clISt17integral_constantIbLb1EES1U_EEDaS1P_S1Q_EUlS1P_E_NS1_11comp_targetILNS1_3genE5ELNS1_11target_archE942ELNS1_3gpuE9ELNS1_3repE0EEENS1_30default_config_static_selectorELNS0_4arch9wavefront6targetE0EEEvS12_
    .private_segment_fixed_size: 0
    .sgpr_count:     0
    .sgpr_spill_count: 0
    .symbol:         _ZN7rocprim17ROCPRIM_400000_NS6detail17trampoline_kernelINS0_13select_configILj256ELj13ELNS0_17block_load_methodE3ELS4_3ELS4_3ELNS0_20block_scan_algorithmE0ELj4294967295EEENS1_25partition_config_selectorILNS1_17partition_subalgoE4EjNS0_10empty_typeEbEEZZNS1_14partition_implILS8_4ELb0ES6_15HIP_vector_typeIjLj2EENS0_17counting_iteratorIjlEEPS9_SG_NS0_5tupleIJPjSI_NS0_16reverse_iteratorISI_EEEEENSH_IJSG_SG_SG_EEES9_SI_JZNS1_25segmented_radix_sort_implINS0_14default_configELb1EPKbPbPKlPlN2at6native12_GLOBAL__N_18offset_tEEE10hipError_tPvRmT1_PNSt15iterator_traitsIS12_E10value_typeET2_T3_PNS13_IS18_E10value_typeET4_jRbjT5_S1E_jjP12ihipStream_tbEUljE_ZNSN_ISO_Lb1ESQ_SR_ST_SU_SY_EESZ_S10_S11_S12_S16_S17_S18_S1B_S1C_jS1D_jS1E_S1E_jjS1G_bEUljE0_EEESZ_S10_S11_S18_S1C_S1E_T6_T7_T9_mT8_S1G_bDpT10_ENKUlT_T0_E_clISt17integral_constantIbLb1EES1U_EEDaS1P_S1Q_EUlS1P_E_NS1_11comp_targetILNS1_3genE5ELNS1_11target_archE942ELNS1_3gpuE9ELNS1_3repE0EEENS1_30default_config_static_selectorELNS0_4arch9wavefront6targetE0EEEvS12_.kd
    .uniform_work_group_size: 1
    .uses_dynamic_stack: false
    .vgpr_count:     0
    .vgpr_spill_count: 0
    .wavefront_size: 32
    .workgroup_processor_mode: 1
  - .args:
      - .offset:         0
        .size:           184
        .value_kind:     by_value
    .group_segment_fixed_size: 0
    .kernarg_segment_align: 8
    .kernarg_segment_size: 184
    .language:       OpenCL C
    .language_version:
      - 2
      - 0
    .max_flat_workgroup_size: 256
    .name:           _ZN7rocprim17ROCPRIM_400000_NS6detail17trampoline_kernelINS0_13select_configILj256ELj13ELNS0_17block_load_methodE3ELS4_3ELS4_3ELNS0_20block_scan_algorithmE0ELj4294967295EEENS1_25partition_config_selectorILNS1_17partition_subalgoE4EjNS0_10empty_typeEbEEZZNS1_14partition_implILS8_4ELb0ES6_15HIP_vector_typeIjLj2EENS0_17counting_iteratorIjlEEPS9_SG_NS0_5tupleIJPjSI_NS0_16reverse_iteratorISI_EEEEENSH_IJSG_SG_SG_EEES9_SI_JZNS1_25segmented_radix_sort_implINS0_14default_configELb1EPKbPbPKlPlN2at6native12_GLOBAL__N_18offset_tEEE10hipError_tPvRmT1_PNSt15iterator_traitsIS12_E10value_typeET2_T3_PNS13_IS18_E10value_typeET4_jRbjT5_S1E_jjP12ihipStream_tbEUljE_ZNSN_ISO_Lb1ESQ_SR_ST_SU_SY_EESZ_S10_S11_S12_S16_S17_S18_S1B_S1C_jS1D_jS1E_S1E_jjS1G_bEUljE0_EEESZ_S10_S11_S18_S1C_S1E_T6_T7_T9_mT8_S1G_bDpT10_ENKUlT_T0_E_clISt17integral_constantIbLb1EES1U_EEDaS1P_S1Q_EUlS1P_E_NS1_11comp_targetILNS1_3genE4ELNS1_11target_archE910ELNS1_3gpuE8ELNS1_3repE0EEENS1_30default_config_static_selectorELNS0_4arch9wavefront6targetE0EEEvS12_
    .private_segment_fixed_size: 0
    .sgpr_count:     0
    .sgpr_spill_count: 0
    .symbol:         _ZN7rocprim17ROCPRIM_400000_NS6detail17trampoline_kernelINS0_13select_configILj256ELj13ELNS0_17block_load_methodE3ELS4_3ELS4_3ELNS0_20block_scan_algorithmE0ELj4294967295EEENS1_25partition_config_selectorILNS1_17partition_subalgoE4EjNS0_10empty_typeEbEEZZNS1_14partition_implILS8_4ELb0ES6_15HIP_vector_typeIjLj2EENS0_17counting_iteratorIjlEEPS9_SG_NS0_5tupleIJPjSI_NS0_16reverse_iteratorISI_EEEEENSH_IJSG_SG_SG_EEES9_SI_JZNS1_25segmented_radix_sort_implINS0_14default_configELb1EPKbPbPKlPlN2at6native12_GLOBAL__N_18offset_tEEE10hipError_tPvRmT1_PNSt15iterator_traitsIS12_E10value_typeET2_T3_PNS13_IS18_E10value_typeET4_jRbjT5_S1E_jjP12ihipStream_tbEUljE_ZNSN_ISO_Lb1ESQ_SR_ST_SU_SY_EESZ_S10_S11_S12_S16_S17_S18_S1B_S1C_jS1D_jS1E_S1E_jjS1G_bEUljE0_EEESZ_S10_S11_S18_S1C_S1E_T6_T7_T9_mT8_S1G_bDpT10_ENKUlT_T0_E_clISt17integral_constantIbLb1EES1U_EEDaS1P_S1Q_EUlS1P_E_NS1_11comp_targetILNS1_3genE4ELNS1_11target_archE910ELNS1_3gpuE8ELNS1_3repE0EEENS1_30default_config_static_selectorELNS0_4arch9wavefront6targetE0EEEvS12_.kd
    .uniform_work_group_size: 1
    .uses_dynamic_stack: false
    .vgpr_count:     0
    .vgpr_spill_count: 0
    .wavefront_size: 32
    .workgroup_processor_mode: 1
  - .args:
      - .offset:         0
        .size:           184
        .value_kind:     by_value
    .group_segment_fixed_size: 0
    .kernarg_segment_align: 8
    .kernarg_segment_size: 184
    .language:       OpenCL C
    .language_version:
      - 2
      - 0
    .max_flat_workgroup_size: 256
    .name:           _ZN7rocprim17ROCPRIM_400000_NS6detail17trampoline_kernelINS0_13select_configILj256ELj13ELNS0_17block_load_methodE3ELS4_3ELS4_3ELNS0_20block_scan_algorithmE0ELj4294967295EEENS1_25partition_config_selectorILNS1_17partition_subalgoE4EjNS0_10empty_typeEbEEZZNS1_14partition_implILS8_4ELb0ES6_15HIP_vector_typeIjLj2EENS0_17counting_iteratorIjlEEPS9_SG_NS0_5tupleIJPjSI_NS0_16reverse_iteratorISI_EEEEENSH_IJSG_SG_SG_EEES9_SI_JZNS1_25segmented_radix_sort_implINS0_14default_configELb1EPKbPbPKlPlN2at6native12_GLOBAL__N_18offset_tEEE10hipError_tPvRmT1_PNSt15iterator_traitsIS12_E10value_typeET2_T3_PNS13_IS18_E10value_typeET4_jRbjT5_S1E_jjP12ihipStream_tbEUljE_ZNSN_ISO_Lb1ESQ_SR_ST_SU_SY_EESZ_S10_S11_S12_S16_S17_S18_S1B_S1C_jS1D_jS1E_S1E_jjS1G_bEUljE0_EEESZ_S10_S11_S18_S1C_S1E_T6_T7_T9_mT8_S1G_bDpT10_ENKUlT_T0_E_clISt17integral_constantIbLb1EES1U_EEDaS1P_S1Q_EUlS1P_E_NS1_11comp_targetILNS1_3genE3ELNS1_11target_archE908ELNS1_3gpuE7ELNS1_3repE0EEENS1_30default_config_static_selectorELNS0_4arch9wavefront6targetE0EEEvS12_
    .private_segment_fixed_size: 0
    .sgpr_count:     0
    .sgpr_spill_count: 0
    .symbol:         _ZN7rocprim17ROCPRIM_400000_NS6detail17trampoline_kernelINS0_13select_configILj256ELj13ELNS0_17block_load_methodE3ELS4_3ELS4_3ELNS0_20block_scan_algorithmE0ELj4294967295EEENS1_25partition_config_selectorILNS1_17partition_subalgoE4EjNS0_10empty_typeEbEEZZNS1_14partition_implILS8_4ELb0ES6_15HIP_vector_typeIjLj2EENS0_17counting_iteratorIjlEEPS9_SG_NS0_5tupleIJPjSI_NS0_16reverse_iteratorISI_EEEEENSH_IJSG_SG_SG_EEES9_SI_JZNS1_25segmented_radix_sort_implINS0_14default_configELb1EPKbPbPKlPlN2at6native12_GLOBAL__N_18offset_tEEE10hipError_tPvRmT1_PNSt15iterator_traitsIS12_E10value_typeET2_T3_PNS13_IS18_E10value_typeET4_jRbjT5_S1E_jjP12ihipStream_tbEUljE_ZNSN_ISO_Lb1ESQ_SR_ST_SU_SY_EESZ_S10_S11_S12_S16_S17_S18_S1B_S1C_jS1D_jS1E_S1E_jjS1G_bEUljE0_EEESZ_S10_S11_S18_S1C_S1E_T6_T7_T9_mT8_S1G_bDpT10_ENKUlT_T0_E_clISt17integral_constantIbLb1EES1U_EEDaS1P_S1Q_EUlS1P_E_NS1_11comp_targetILNS1_3genE3ELNS1_11target_archE908ELNS1_3gpuE7ELNS1_3repE0EEENS1_30default_config_static_selectorELNS0_4arch9wavefront6targetE0EEEvS12_.kd
    .uniform_work_group_size: 1
    .uses_dynamic_stack: false
    .vgpr_count:     0
    .vgpr_spill_count: 0
    .wavefront_size: 32
    .workgroup_processor_mode: 1
  - .args:
      - .offset:         0
        .size:           184
        .value_kind:     by_value
    .group_segment_fixed_size: 0
    .kernarg_segment_align: 8
    .kernarg_segment_size: 184
    .language:       OpenCL C
    .language_version:
      - 2
      - 0
    .max_flat_workgroup_size: 256
    .name:           _ZN7rocprim17ROCPRIM_400000_NS6detail17trampoline_kernelINS0_13select_configILj256ELj13ELNS0_17block_load_methodE3ELS4_3ELS4_3ELNS0_20block_scan_algorithmE0ELj4294967295EEENS1_25partition_config_selectorILNS1_17partition_subalgoE4EjNS0_10empty_typeEbEEZZNS1_14partition_implILS8_4ELb0ES6_15HIP_vector_typeIjLj2EENS0_17counting_iteratorIjlEEPS9_SG_NS0_5tupleIJPjSI_NS0_16reverse_iteratorISI_EEEEENSH_IJSG_SG_SG_EEES9_SI_JZNS1_25segmented_radix_sort_implINS0_14default_configELb1EPKbPbPKlPlN2at6native12_GLOBAL__N_18offset_tEEE10hipError_tPvRmT1_PNSt15iterator_traitsIS12_E10value_typeET2_T3_PNS13_IS18_E10value_typeET4_jRbjT5_S1E_jjP12ihipStream_tbEUljE_ZNSN_ISO_Lb1ESQ_SR_ST_SU_SY_EESZ_S10_S11_S12_S16_S17_S18_S1B_S1C_jS1D_jS1E_S1E_jjS1G_bEUljE0_EEESZ_S10_S11_S18_S1C_S1E_T6_T7_T9_mT8_S1G_bDpT10_ENKUlT_T0_E_clISt17integral_constantIbLb1EES1U_EEDaS1P_S1Q_EUlS1P_E_NS1_11comp_targetILNS1_3genE2ELNS1_11target_archE906ELNS1_3gpuE6ELNS1_3repE0EEENS1_30default_config_static_selectorELNS0_4arch9wavefront6targetE0EEEvS12_
    .private_segment_fixed_size: 0
    .sgpr_count:     0
    .sgpr_spill_count: 0
    .symbol:         _ZN7rocprim17ROCPRIM_400000_NS6detail17trampoline_kernelINS0_13select_configILj256ELj13ELNS0_17block_load_methodE3ELS4_3ELS4_3ELNS0_20block_scan_algorithmE0ELj4294967295EEENS1_25partition_config_selectorILNS1_17partition_subalgoE4EjNS0_10empty_typeEbEEZZNS1_14partition_implILS8_4ELb0ES6_15HIP_vector_typeIjLj2EENS0_17counting_iteratorIjlEEPS9_SG_NS0_5tupleIJPjSI_NS0_16reverse_iteratorISI_EEEEENSH_IJSG_SG_SG_EEES9_SI_JZNS1_25segmented_radix_sort_implINS0_14default_configELb1EPKbPbPKlPlN2at6native12_GLOBAL__N_18offset_tEEE10hipError_tPvRmT1_PNSt15iterator_traitsIS12_E10value_typeET2_T3_PNS13_IS18_E10value_typeET4_jRbjT5_S1E_jjP12ihipStream_tbEUljE_ZNSN_ISO_Lb1ESQ_SR_ST_SU_SY_EESZ_S10_S11_S12_S16_S17_S18_S1B_S1C_jS1D_jS1E_S1E_jjS1G_bEUljE0_EEESZ_S10_S11_S18_S1C_S1E_T6_T7_T9_mT8_S1G_bDpT10_ENKUlT_T0_E_clISt17integral_constantIbLb1EES1U_EEDaS1P_S1Q_EUlS1P_E_NS1_11comp_targetILNS1_3genE2ELNS1_11target_archE906ELNS1_3gpuE6ELNS1_3repE0EEENS1_30default_config_static_selectorELNS0_4arch9wavefront6targetE0EEEvS12_.kd
    .uniform_work_group_size: 1
    .uses_dynamic_stack: false
    .vgpr_count:     0
    .vgpr_spill_count: 0
    .wavefront_size: 32
    .workgroup_processor_mode: 1
  - .args:
      - .offset:         0
        .size:           184
        .value_kind:     by_value
    .group_segment_fixed_size: 0
    .kernarg_segment_align: 8
    .kernarg_segment_size: 184
    .language:       OpenCL C
    .language_version:
      - 2
      - 0
    .max_flat_workgroup_size: 256
    .name:           _ZN7rocprim17ROCPRIM_400000_NS6detail17trampoline_kernelINS0_13select_configILj256ELj13ELNS0_17block_load_methodE3ELS4_3ELS4_3ELNS0_20block_scan_algorithmE0ELj4294967295EEENS1_25partition_config_selectorILNS1_17partition_subalgoE4EjNS0_10empty_typeEbEEZZNS1_14partition_implILS8_4ELb0ES6_15HIP_vector_typeIjLj2EENS0_17counting_iteratorIjlEEPS9_SG_NS0_5tupleIJPjSI_NS0_16reverse_iteratorISI_EEEEENSH_IJSG_SG_SG_EEES9_SI_JZNS1_25segmented_radix_sort_implINS0_14default_configELb1EPKbPbPKlPlN2at6native12_GLOBAL__N_18offset_tEEE10hipError_tPvRmT1_PNSt15iterator_traitsIS12_E10value_typeET2_T3_PNS13_IS18_E10value_typeET4_jRbjT5_S1E_jjP12ihipStream_tbEUljE_ZNSN_ISO_Lb1ESQ_SR_ST_SU_SY_EESZ_S10_S11_S12_S16_S17_S18_S1B_S1C_jS1D_jS1E_S1E_jjS1G_bEUljE0_EEESZ_S10_S11_S18_S1C_S1E_T6_T7_T9_mT8_S1G_bDpT10_ENKUlT_T0_E_clISt17integral_constantIbLb1EES1U_EEDaS1P_S1Q_EUlS1P_E_NS1_11comp_targetILNS1_3genE10ELNS1_11target_archE1200ELNS1_3gpuE4ELNS1_3repE0EEENS1_30default_config_static_selectorELNS0_4arch9wavefront6targetE0EEEvS12_
    .private_segment_fixed_size: 0
    .sgpr_count:     0
    .sgpr_spill_count: 0
    .symbol:         _ZN7rocprim17ROCPRIM_400000_NS6detail17trampoline_kernelINS0_13select_configILj256ELj13ELNS0_17block_load_methodE3ELS4_3ELS4_3ELNS0_20block_scan_algorithmE0ELj4294967295EEENS1_25partition_config_selectorILNS1_17partition_subalgoE4EjNS0_10empty_typeEbEEZZNS1_14partition_implILS8_4ELb0ES6_15HIP_vector_typeIjLj2EENS0_17counting_iteratorIjlEEPS9_SG_NS0_5tupleIJPjSI_NS0_16reverse_iteratorISI_EEEEENSH_IJSG_SG_SG_EEES9_SI_JZNS1_25segmented_radix_sort_implINS0_14default_configELb1EPKbPbPKlPlN2at6native12_GLOBAL__N_18offset_tEEE10hipError_tPvRmT1_PNSt15iterator_traitsIS12_E10value_typeET2_T3_PNS13_IS18_E10value_typeET4_jRbjT5_S1E_jjP12ihipStream_tbEUljE_ZNSN_ISO_Lb1ESQ_SR_ST_SU_SY_EESZ_S10_S11_S12_S16_S17_S18_S1B_S1C_jS1D_jS1E_S1E_jjS1G_bEUljE0_EEESZ_S10_S11_S18_S1C_S1E_T6_T7_T9_mT8_S1G_bDpT10_ENKUlT_T0_E_clISt17integral_constantIbLb1EES1U_EEDaS1P_S1Q_EUlS1P_E_NS1_11comp_targetILNS1_3genE10ELNS1_11target_archE1200ELNS1_3gpuE4ELNS1_3repE0EEENS1_30default_config_static_selectorELNS0_4arch9wavefront6targetE0EEEvS12_.kd
    .uniform_work_group_size: 1
    .uses_dynamic_stack: false
    .vgpr_count:     0
    .vgpr_spill_count: 0
    .wavefront_size: 32
    .workgroup_processor_mode: 1
  - .args:
      - .offset:         0
        .size:           184
        .value_kind:     by_value
    .group_segment_fixed_size: 13340
    .kernarg_segment_align: 8
    .kernarg_segment_size: 184
    .language:       OpenCL C
    .language_version:
      - 2
      - 0
    .max_flat_workgroup_size: 256
    .name:           _ZN7rocprim17ROCPRIM_400000_NS6detail17trampoline_kernelINS0_13select_configILj256ELj13ELNS0_17block_load_methodE3ELS4_3ELS4_3ELNS0_20block_scan_algorithmE0ELj4294967295EEENS1_25partition_config_selectorILNS1_17partition_subalgoE4EjNS0_10empty_typeEbEEZZNS1_14partition_implILS8_4ELb0ES6_15HIP_vector_typeIjLj2EENS0_17counting_iteratorIjlEEPS9_SG_NS0_5tupleIJPjSI_NS0_16reverse_iteratorISI_EEEEENSH_IJSG_SG_SG_EEES9_SI_JZNS1_25segmented_radix_sort_implINS0_14default_configELb1EPKbPbPKlPlN2at6native12_GLOBAL__N_18offset_tEEE10hipError_tPvRmT1_PNSt15iterator_traitsIS12_E10value_typeET2_T3_PNS13_IS18_E10value_typeET4_jRbjT5_S1E_jjP12ihipStream_tbEUljE_ZNSN_ISO_Lb1ESQ_SR_ST_SU_SY_EESZ_S10_S11_S12_S16_S17_S18_S1B_S1C_jS1D_jS1E_S1E_jjS1G_bEUljE0_EEESZ_S10_S11_S18_S1C_S1E_T6_T7_T9_mT8_S1G_bDpT10_ENKUlT_T0_E_clISt17integral_constantIbLb1EES1U_EEDaS1P_S1Q_EUlS1P_E_NS1_11comp_targetILNS1_3genE9ELNS1_11target_archE1100ELNS1_3gpuE3ELNS1_3repE0EEENS1_30default_config_static_selectorELNS0_4arch9wavefront6targetE0EEEvS12_
    .private_segment_fixed_size: 0
    .sgpr_count:     57
    .sgpr_spill_count: 0
    .symbol:         _ZN7rocprim17ROCPRIM_400000_NS6detail17trampoline_kernelINS0_13select_configILj256ELj13ELNS0_17block_load_methodE3ELS4_3ELS4_3ELNS0_20block_scan_algorithmE0ELj4294967295EEENS1_25partition_config_selectorILNS1_17partition_subalgoE4EjNS0_10empty_typeEbEEZZNS1_14partition_implILS8_4ELb0ES6_15HIP_vector_typeIjLj2EENS0_17counting_iteratorIjlEEPS9_SG_NS0_5tupleIJPjSI_NS0_16reverse_iteratorISI_EEEEENSH_IJSG_SG_SG_EEES9_SI_JZNS1_25segmented_radix_sort_implINS0_14default_configELb1EPKbPbPKlPlN2at6native12_GLOBAL__N_18offset_tEEE10hipError_tPvRmT1_PNSt15iterator_traitsIS12_E10value_typeET2_T3_PNS13_IS18_E10value_typeET4_jRbjT5_S1E_jjP12ihipStream_tbEUljE_ZNSN_ISO_Lb1ESQ_SR_ST_SU_SY_EESZ_S10_S11_S12_S16_S17_S18_S1B_S1C_jS1D_jS1E_S1E_jjS1G_bEUljE0_EEESZ_S10_S11_S18_S1C_S1E_T6_T7_T9_mT8_S1G_bDpT10_ENKUlT_T0_E_clISt17integral_constantIbLb1EES1U_EEDaS1P_S1Q_EUlS1P_E_NS1_11comp_targetILNS1_3genE9ELNS1_11target_archE1100ELNS1_3gpuE3ELNS1_3repE0EEENS1_30default_config_static_selectorELNS0_4arch9wavefront6targetE0EEEvS12_.kd
    .uniform_work_group_size: 1
    .uses_dynamic_stack: false
    .vgpr_count:     103
    .vgpr_spill_count: 0
    .wavefront_size: 32
    .workgroup_processor_mode: 1
  - .args:
      - .offset:         0
        .size:           184
        .value_kind:     by_value
    .group_segment_fixed_size: 0
    .kernarg_segment_align: 8
    .kernarg_segment_size: 184
    .language:       OpenCL C
    .language_version:
      - 2
      - 0
    .max_flat_workgroup_size: 256
    .name:           _ZN7rocprim17ROCPRIM_400000_NS6detail17trampoline_kernelINS0_13select_configILj256ELj13ELNS0_17block_load_methodE3ELS4_3ELS4_3ELNS0_20block_scan_algorithmE0ELj4294967295EEENS1_25partition_config_selectorILNS1_17partition_subalgoE4EjNS0_10empty_typeEbEEZZNS1_14partition_implILS8_4ELb0ES6_15HIP_vector_typeIjLj2EENS0_17counting_iteratorIjlEEPS9_SG_NS0_5tupleIJPjSI_NS0_16reverse_iteratorISI_EEEEENSH_IJSG_SG_SG_EEES9_SI_JZNS1_25segmented_radix_sort_implINS0_14default_configELb1EPKbPbPKlPlN2at6native12_GLOBAL__N_18offset_tEEE10hipError_tPvRmT1_PNSt15iterator_traitsIS12_E10value_typeET2_T3_PNS13_IS18_E10value_typeET4_jRbjT5_S1E_jjP12ihipStream_tbEUljE_ZNSN_ISO_Lb1ESQ_SR_ST_SU_SY_EESZ_S10_S11_S12_S16_S17_S18_S1B_S1C_jS1D_jS1E_S1E_jjS1G_bEUljE0_EEESZ_S10_S11_S18_S1C_S1E_T6_T7_T9_mT8_S1G_bDpT10_ENKUlT_T0_E_clISt17integral_constantIbLb1EES1U_EEDaS1P_S1Q_EUlS1P_E_NS1_11comp_targetILNS1_3genE8ELNS1_11target_archE1030ELNS1_3gpuE2ELNS1_3repE0EEENS1_30default_config_static_selectorELNS0_4arch9wavefront6targetE0EEEvS12_
    .private_segment_fixed_size: 0
    .sgpr_count:     0
    .sgpr_spill_count: 0
    .symbol:         _ZN7rocprim17ROCPRIM_400000_NS6detail17trampoline_kernelINS0_13select_configILj256ELj13ELNS0_17block_load_methodE3ELS4_3ELS4_3ELNS0_20block_scan_algorithmE0ELj4294967295EEENS1_25partition_config_selectorILNS1_17partition_subalgoE4EjNS0_10empty_typeEbEEZZNS1_14partition_implILS8_4ELb0ES6_15HIP_vector_typeIjLj2EENS0_17counting_iteratorIjlEEPS9_SG_NS0_5tupleIJPjSI_NS0_16reverse_iteratorISI_EEEEENSH_IJSG_SG_SG_EEES9_SI_JZNS1_25segmented_radix_sort_implINS0_14default_configELb1EPKbPbPKlPlN2at6native12_GLOBAL__N_18offset_tEEE10hipError_tPvRmT1_PNSt15iterator_traitsIS12_E10value_typeET2_T3_PNS13_IS18_E10value_typeET4_jRbjT5_S1E_jjP12ihipStream_tbEUljE_ZNSN_ISO_Lb1ESQ_SR_ST_SU_SY_EESZ_S10_S11_S12_S16_S17_S18_S1B_S1C_jS1D_jS1E_S1E_jjS1G_bEUljE0_EEESZ_S10_S11_S18_S1C_S1E_T6_T7_T9_mT8_S1G_bDpT10_ENKUlT_T0_E_clISt17integral_constantIbLb1EES1U_EEDaS1P_S1Q_EUlS1P_E_NS1_11comp_targetILNS1_3genE8ELNS1_11target_archE1030ELNS1_3gpuE2ELNS1_3repE0EEENS1_30default_config_static_selectorELNS0_4arch9wavefront6targetE0EEEvS12_.kd
    .uniform_work_group_size: 1
    .uses_dynamic_stack: false
    .vgpr_count:     0
    .vgpr_spill_count: 0
    .wavefront_size: 32
    .workgroup_processor_mode: 1
  - .args:
      - .offset:         0
        .size:           176
        .value_kind:     by_value
    .group_segment_fixed_size: 0
    .kernarg_segment_align: 8
    .kernarg_segment_size: 176
    .language:       OpenCL C
    .language_version:
      - 2
      - 0
    .max_flat_workgroup_size: 256
    .name:           _ZN7rocprim17ROCPRIM_400000_NS6detail17trampoline_kernelINS0_13select_configILj256ELj13ELNS0_17block_load_methodE3ELS4_3ELS4_3ELNS0_20block_scan_algorithmE0ELj4294967295EEENS1_25partition_config_selectorILNS1_17partition_subalgoE4EjNS0_10empty_typeEbEEZZNS1_14partition_implILS8_4ELb0ES6_15HIP_vector_typeIjLj2EENS0_17counting_iteratorIjlEEPS9_SG_NS0_5tupleIJPjSI_NS0_16reverse_iteratorISI_EEEEENSH_IJSG_SG_SG_EEES9_SI_JZNS1_25segmented_radix_sort_implINS0_14default_configELb1EPKbPbPKlPlN2at6native12_GLOBAL__N_18offset_tEEE10hipError_tPvRmT1_PNSt15iterator_traitsIS12_E10value_typeET2_T3_PNS13_IS18_E10value_typeET4_jRbjT5_S1E_jjP12ihipStream_tbEUljE_ZNSN_ISO_Lb1ESQ_SR_ST_SU_SY_EESZ_S10_S11_S12_S16_S17_S18_S1B_S1C_jS1D_jS1E_S1E_jjS1G_bEUljE0_EEESZ_S10_S11_S18_S1C_S1E_T6_T7_T9_mT8_S1G_bDpT10_ENKUlT_T0_E_clISt17integral_constantIbLb1EES1T_IbLb0EEEEDaS1P_S1Q_EUlS1P_E_NS1_11comp_targetILNS1_3genE0ELNS1_11target_archE4294967295ELNS1_3gpuE0ELNS1_3repE0EEENS1_30default_config_static_selectorELNS0_4arch9wavefront6targetE0EEEvS12_
    .private_segment_fixed_size: 0
    .sgpr_count:     0
    .sgpr_spill_count: 0
    .symbol:         _ZN7rocprim17ROCPRIM_400000_NS6detail17trampoline_kernelINS0_13select_configILj256ELj13ELNS0_17block_load_methodE3ELS4_3ELS4_3ELNS0_20block_scan_algorithmE0ELj4294967295EEENS1_25partition_config_selectorILNS1_17partition_subalgoE4EjNS0_10empty_typeEbEEZZNS1_14partition_implILS8_4ELb0ES6_15HIP_vector_typeIjLj2EENS0_17counting_iteratorIjlEEPS9_SG_NS0_5tupleIJPjSI_NS0_16reverse_iteratorISI_EEEEENSH_IJSG_SG_SG_EEES9_SI_JZNS1_25segmented_radix_sort_implINS0_14default_configELb1EPKbPbPKlPlN2at6native12_GLOBAL__N_18offset_tEEE10hipError_tPvRmT1_PNSt15iterator_traitsIS12_E10value_typeET2_T3_PNS13_IS18_E10value_typeET4_jRbjT5_S1E_jjP12ihipStream_tbEUljE_ZNSN_ISO_Lb1ESQ_SR_ST_SU_SY_EESZ_S10_S11_S12_S16_S17_S18_S1B_S1C_jS1D_jS1E_S1E_jjS1G_bEUljE0_EEESZ_S10_S11_S18_S1C_S1E_T6_T7_T9_mT8_S1G_bDpT10_ENKUlT_T0_E_clISt17integral_constantIbLb1EES1T_IbLb0EEEEDaS1P_S1Q_EUlS1P_E_NS1_11comp_targetILNS1_3genE0ELNS1_11target_archE4294967295ELNS1_3gpuE0ELNS1_3repE0EEENS1_30default_config_static_selectorELNS0_4arch9wavefront6targetE0EEEvS12_.kd
    .uniform_work_group_size: 1
    .uses_dynamic_stack: false
    .vgpr_count:     0
    .vgpr_spill_count: 0
    .wavefront_size: 32
    .workgroup_processor_mode: 1
  - .args:
      - .offset:         0
        .size:           176
        .value_kind:     by_value
    .group_segment_fixed_size: 0
    .kernarg_segment_align: 8
    .kernarg_segment_size: 176
    .language:       OpenCL C
    .language_version:
      - 2
      - 0
    .max_flat_workgroup_size: 256
    .name:           _ZN7rocprim17ROCPRIM_400000_NS6detail17trampoline_kernelINS0_13select_configILj256ELj13ELNS0_17block_load_methodE3ELS4_3ELS4_3ELNS0_20block_scan_algorithmE0ELj4294967295EEENS1_25partition_config_selectorILNS1_17partition_subalgoE4EjNS0_10empty_typeEbEEZZNS1_14partition_implILS8_4ELb0ES6_15HIP_vector_typeIjLj2EENS0_17counting_iteratorIjlEEPS9_SG_NS0_5tupleIJPjSI_NS0_16reverse_iteratorISI_EEEEENSH_IJSG_SG_SG_EEES9_SI_JZNS1_25segmented_radix_sort_implINS0_14default_configELb1EPKbPbPKlPlN2at6native12_GLOBAL__N_18offset_tEEE10hipError_tPvRmT1_PNSt15iterator_traitsIS12_E10value_typeET2_T3_PNS13_IS18_E10value_typeET4_jRbjT5_S1E_jjP12ihipStream_tbEUljE_ZNSN_ISO_Lb1ESQ_SR_ST_SU_SY_EESZ_S10_S11_S12_S16_S17_S18_S1B_S1C_jS1D_jS1E_S1E_jjS1G_bEUljE0_EEESZ_S10_S11_S18_S1C_S1E_T6_T7_T9_mT8_S1G_bDpT10_ENKUlT_T0_E_clISt17integral_constantIbLb1EES1T_IbLb0EEEEDaS1P_S1Q_EUlS1P_E_NS1_11comp_targetILNS1_3genE5ELNS1_11target_archE942ELNS1_3gpuE9ELNS1_3repE0EEENS1_30default_config_static_selectorELNS0_4arch9wavefront6targetE0EEEvS12_
    .private_segment_fixed_size: 0
    .sgpr_count:     0
    .sgpr_spill_count: 0
    .symbol:         _ZN7rocprim17ROCPRIM_400000_NS6detail17trampoline_kernelINS0_13select_configILj256ELj13ELNS0_17block_load_methodE3ELS4_3ELS4_3ELNS0_20block_scan_algorithmE0ELj4294967295EEENS1_25partition_config_selectorILNS1_17partition_subalgoE4EjNS0_10empty_typeEbEEZZNS1_14partition_implILS8_4ELb0ES6_15HIP_vector_typeIjLj2EENS0_17counting_iteratorIjlEEPS9_SG_NS0_5tupleIJPjSI_NS0_16reverse_iteratorISI_EEEEENSH_IJSG_SG_SG_EEES9_SI_JZNS1_25segmented_radix_sort_implINS0_14default_configELb1EPKbPbPKlPlN2at6native12_GLOBAL__N_18offset_tEEE10hipError_tPvRmT1_PNSt15iterator_traitsIS12_E10value_typeET2_T3_PNS13_IS18_E10value_typeET4_jRbjT5_S1E_jjP12ihipStream_tbEUljE_ZNSN_ISO_Lb1ESQ_SR_ST_SU_SY_EESZ_S10_S11_S12_S16_S17_S18_S1B_S1C_jS1D_jS1E_S1E_jjS1G_bEUljE0_EEESZ_S10_S11_S18_S1C_S1E_T6_T7_T9_mT8_S1G_bDpT10_ENKUlT_T0_E_clISt17integral_constantIbLb1EES1T_IbLb0EEEEDaS1P_S1Q_EUlS1P_E_NS1_11comp_targetILNS1_3genE5ELNS1_11target_archE942ELNS1_3gpuE9ELNS1_3repE0EEENS1_30default_config_static_selectorELNS0_4arch9wavefront6targetE0EEEvS12_.kd
    .uniform_work_group_size: 1
    .uses_dynamic_stack: false
    .vgpr_count:     0
    .vgpr_spill_count: 0
    .wavefront_size: 32
    .workgroup_processor_mode: 1
  - .args:
      - .offset:         0
        .size:           176
        .value_kind:     by_value
    .group_segment_fixed_size: 0
    .kernarg_segment_align: 8
    .kernarg_segment_size: 176
    .language:       OpenCL C
    .language_version:
      - 2
      - 0
    .max_flat_workgroup_size: 256
    .name:           _ZN7rocprim17ROCPRIM_400000_NS6detail17trampoline_kernelINS0_13select_configILj256ELj13ELNS0_17block_load_methodE3ELS4_3ELS4_3ELNS0_20block_scan_algorithmE0ELj4294967295EEENS1_25partition_config_selectorILNS1_17partition_subalgoE4EjNS0_10empty_typeEbEEZZNS1_14partition_implILS8_4ELb0ES6_15HIP_vector_typeIjLj2EENS0_17counting_iteratorIjlEEPS9_SG_NS0_5tupleIJPjSI_NS0_16reverse_iteratorISI_EEEEENSH_IJSG_SG_SG_EEES9_SI_JZNS1_25segmented_radix_sort_implINS0_14default_configELb1EPKbPbPKlPlN2at6native12_GLOBAL__N_18offset_tEEE10hipError_tPvRmT1_PNSt15iterator_traitsIS12_E10value_typeET2_T3_PNS13_IS18_E10value_typeET4_jRbjT5_S1E_jjP12ihipStream_tbEUljE_ZNSN_ISO_Lb1ESQ_SR_ST_SU_SY_EESZ_S10_S11_S12_S16_S17_S18_S1B_S1C_jS1D_jS1E_S1E_jjS1G_bEUljE0_EEESZ_S10_S11_S18_S1C_S1E_T6_T7_T9_mT8_S1G_bDpT10_ENKUlT_T0_E_clISt17integral_constantIbLb1EES1T_IbLb0EEEEDaS1P_S1Q_EUlS1P_E_NS1_11comp_targetILNS1_3genE4ELNS1_11target_archE910ELNS1_3gpuE8ELNS1_3repE0EEENS1_30default_config_static_selectorELNS0_4arch9wavefront6targetE0EEEvS12_
    .private_segment_fixed_size: 0
    .sgpr_count:     0
    .sgpr_spill_count: 0
    .symbol:         _ZN7rocprim17ROCPRIM_400000_NS6detail17trampoline_kernelINS0_13select_configILj256ELj13ELNS0_17block_load_methodE3ELS4_3ELS4_3ELNS0_20block_scan_algorithmE0ELj4294967295EEENS1_25partition_config_selectorILNS1_17partition_subalgoE4EjNS0_10empty_typeEbEEZZNS1_14partition_implILS8_4ELb0ES6_15HIP_vector_typeIjLj2EENS0_17counting_iteratorIjlEEPS9_SG_NS0_5tupleIJPjSI_NS0_16reverse_iteratorISI_EEEEENSH_IJSG_SG_SG_EEES9_SI_JZNS1_25segmented_radix_sort_implINS0_14default_configELb1EPKbPbPKlPlN2at6native12_GLOBAL__N_18offset_tEEE10hipError_tPvRmT1_PNSt15iterator_traitsIS12_E10value_typeET2_T3_PNS13_IS18_E10value_typeET4_jRbjT5_S1E_jjP12ihipStream_tbEUljE_ZNSN_ISO_Lb1ESQ_SR_ST_SU_SY_EESZ_S10_S11_S12_S16_S17_S18_S1B_S1C_jS1D_jS1E_S1E_jjS1G_bEUljE0_EEESZ_S10_S11_S18_S1C_S1E_T6_T7_T9_mT8_S1G_bDpT10_ENKUlT_T0_E_clISt17integral_constantIbLb1EES1T_IbLb0EEEEDaS1P_S1Q_EUlS1P_E_NS1_11comp_targetILNS1_3genE4ELNS1_11target_archE910ELNS1_3gpuE8ELNS1_3repE0EEENS1_30default_config_static_selectorELNS0_4arch9wavefront6targetE0EEEvS12_.kd
    .uniform_work_group_size: 1
    .uses_dynamic_stack: false
    .vgpr_count:     0
    .vgpr_spill_count: 0
    .wavefront_size: 32
    .workgroup_processor_mode: 1
  - .args:
      - .offset:         0
        .size:           176
        .value_kind:     by_value
    .group_segment_fixed_size: 0
    .kernarg_segment_align: 8
    .kernarg_segment_size: 176
    .language:       OpenCL C
    .language_version:
      - 2
      - 0
    .max_flat_workgroup_size: 256
    .name:           _ZN7rocprim17ROCPRIM_400000_NS6detail17trampoline_kernelINS0_13select_configILj256ELj13ELNS0_17block_load_methodE3ELS4_3ELS4_3ELNS0_20block_scan_algorithmE0ELj4294967295EEENS1_25partition_config_selectorILNS1_17partition_subalgoE4EjNS0_10empty_typeEbEEZZNS1_14partition_implILS8_4ELb0ES6_15HIP_vector_typeIjLj2EENS0_17counting_iteratorIjlEEPS9_SG_NS0_5tupleIJPjSI_NS0_16reverse_iteratorISI_EEEEENSH_IJSG_SG_SG_EEES9_SI_JZNS1_25segmented_radix_sort_implINS0_14default_configELb1EPKbPbPKlPlN2at6native12_GLOBAL__N_18offset_tEEE10hipError_tPvRmT1_PNSt15iterator_traitsIS12_E10value_typeET2_T3_PNS13_IS18_E10value_typeET4_jRbjT5_S1E_jjP12ihipStream_tbEUljE_ZNSN_ISO_Lb1ESQ_SR_ST_SU_SY_EESZ_S10_S11_S12_S16_S17_S18_S1B_S1C_jS1D_jS1E_S1E_jjS1G_bEUljE0_EEESZ_S10_S11_S18_S1C_S1E_T6_T7_T9_mT8_S1G_bDpT10_ENKUlT_T0_E_clISt17integral_constantIbLb1EES1T_IbLb0EEEEDaS1P_S1Q_EUlS1P_E_NS1_11comp_targetILNS1_3genE3ELNS1_11target_archE908ELNS1_3gpuE7ELNS1_3repE0EEENS1_30default_config_static_selectorELNS0_4arch9wavefront6targetE0EEEvS12_
    .private_segment_fixed_size: 0
    .sgpr_count:     0
    .sgpr_spill_count: 0
    .symbol:         _ZN7rocprim17ROCPRIM_400000_NS6detail17trampoline_kernelINS0_13select_configILj256ELj13ELNS0_17block_load_methodE3ELS4_3ELS4_3ELNS0_20block_scan_algorithmE0ELj4294967295EEENS1_25partition_config_selectorILNS1_17partition_subalgoE4EjNS0_10empty_typeEbEEZZNS1_14partition_implILS8_4ELb0ES6_15HIP_vector_typeIjLj2EENS0_17counting_iteratorIjlEEPS9_SG_NS0_5tupleIJPjSI_NS0_16reverse_iteratorISI_EEEEENSH_IJSG_SG_SG_EEES9_SI_JZNS1_25segmented_radix_sort_implINS0_14default_configELb1EPKbPbPKlPlN2at6native12_GLOBAL__N_18offset_tEEE10hipError_tPvRmT1_PNSt15iterator_traitsIS12_E10value_typeET2_T3_PNS13_IS18_E10value_typeET4_jRbjT5_S1E_jjP12ihipStream_tbEUljE_ZNSN_ISO_Lb1ESQ_SR_ST_SU_SY_EESZ_S10_S11_S12_S16_S17_S18_S1B_S1C_jS1D_jS1E_S1E_jjS1G_bEUljE0_EEESZ_S10_S11_S18_S1C_S1E_T6_T7_T9_mT8_S1G_bDpT10_ENKUlT_T0_E_clISt17integral_constantIbLb1EES1T_IbLb0EEEEDaS1P_S1Q_EUlS1P_E_NS1_11comp_targetILNS1_3genE3ELNS1_11target_archE908ELNS1_3gpuE7ELNS1_3repE0EEENS1_30default_config_static_selectorELNS0_4arch9wavefront6targetE0EEEvS12_.kd
    .uniform_work_group_size: 1
    .uses_dynamic_stack: false
    .vgpr_count:     0
    .vgpr_spill_count: 0
    .wavefront_size: 32
    .workgroup_processor_mode: 1
  - .args:
      - .offset:         0
        .size:           176
        .value_kind:     by_value
    .group_segment_fixed_size: 0
    .kernarg_segment_align: 8
    .kernarg_segment_size: 176
    .language:       OpenCL C
    .language_version:
      - 2
      - 0
    .max_flat_workgroup_size: 256
    .name:           _ZN7rocprim17ROCPRIM_400000_NS6detail17trampoline_kernelINS0_13select_configILj256ELj13ELNS0_17block_load_methodE3ELS4_3ELS4_3ELNS0_20block_scan_algorithmE0ELj4294967295EEENS1_25partition_config_selectorILNS1_17partition_subalgoE4EjNS0_10empty_typeEbEEZZNS1_14partition_implILS8_4ELb0ES6_15HIP_vector_typeIjLj2EENS0_17counting_iteratorIjlEEPS9_SG_NS0_5tupleIJPjSI_NS0_16reverse_iteratorISI_EEEEENSH_IJSG_SG_SG_EEES9_SI_JZNS1_25segmented_radix_sort_implINS0_14default_configELb1EPKbPbPKlPlN2at6native12_GLOBAL__N_18offset_tEEE10hipError_tPvRmT1_PNSt15iterator_traitsIS12_E10value_typeET2_T3_PNS13_IS18_E10value_typeET4_jRbjT5_S1E_jjP12ihipStream_tbEUljE_ZNSN_ISO_Lb1ESQ_SR_ST_SU_SY_EESZ_S10_S11_S12_S16_S17_S18_S1B_S1C_jS1D_jS1E_S1E_jjS1G_bEUljE0_EEESZ_S10_S11_S18_S1C_S1E_T6_T7_T9_mT8_S1G_bDpT10_ENKUlT_T0_E_clISt17integral_constantIbLb1EES1T_IbLb0EEEEDaS1P_S1Q_EUlS1P_E_NS1_11comp_targetILNS1_3genE2ELNS1_11target_archE906ELNS1_3gpuE6ELNS1_3repE0EEENS1_30default_config_static_selectorELNS0_4arch9wavefront6targetE0EEEvS12_
    .private_segment_fixed_size: 0
    .sgpr_count:     0
    .sgpr_spill_count: 0
    .symbol:         _ZN7rocprim17ROCPRIM_400000_NS6detail17trampoline_kernelINS0_13select_configILj256ELj13ELNS0_17block_load_methodE3ELS4_3ELS4_3ELNS0_20block_scan_algorithmE0ELj4294967295EEENS1_25partition_config_selectorILNS1_17partition_subalgoE4EjNS0_10empty_typeEbEEZZNS1_14partition_implILS8_4ELb0ES6_15HIP_vector_typeIjLj2EENS0_17counting_iteratorIjlEEPS9_SG_NS0_5tupleIJPjSI_NS0_16reverse_iteratorISI_EEEEENSH_IJSG_SG_SG_EEES9_SI_JZNS1_25segmented_radix_sort_implINS0_14default_configELb1EPKbPbPKlPlN2at6native12_GLOBAL__N_18offset_tEEE10hipError_tPvRmT1_PNSt15iterator_traitsIS12_E10value_typeET2_T3_PNS13_IS18_E10value_typeET4_jRbjT5_S1E_jjP12ihipStream_tbEUljE_ZNSN_ISO_Lb1ESQ_SR_ST_SU_SY_EESZ_S10_S11_S12_S16_S17_S18_S1B_S1C_jS1D_jS1E_S1E_jjS1G_bEUljE0_EEESZ_S10_S11_S18_S1C_S1E_T6_T7_T9_mT8_S1G_bDpT10_ENKUlT_T0_E_clISt17integral_constantIbLb1EES1T_IbLb0EEEEDaS1P_S1Q_EUlS1P_E_NS1_11comp_targetILNS1_3genE2ELNS1_11target_archE906ELNS1_3gpuE6ELNS1_3repE0EEENS1_30default_config_static_selectorELNS0_4arch9wavefront6targetE0EEEvS12_.kd
    .uniform_work_group_size: 1
    .uses_dynamic_stack: false
    .vgpr_count:     0
    .vgpr_spill_count: 0
    .wavefront_size: 32
    .workgroup_processor_mode: 1
  - .args:
      - .offset:         0
        .size:           176
        .value_kind:     by_value
    .group_segment_fixed_size: 0
    .kernarg_segment_align: 8
    .kernarg_segment_size: 176
    .language:       OpenCL C
    .language_version:
      - 2
      - 0
    .max_flat_workgroup_size: 256
    .name:           _ZN7rocprim17ROCPRIM_400000_NS6detail17trampoline_kernelINS0_13select_configILj256ELj13ELNS0_17block_load_methodE3ELS4_3ELS4_3ELNS0_20block_scan_algorithmE0ELj4294967295EEENS1_25partition_config_selectorILNS1_17partition_subalgoE4EjNS0_10empty_typeEbEEZZNS1_14partition_implILS8_4ELb0ES6_15HIP_vector_typeIjLj2EENS0_17counting_iteratorIjlEEPS9_SG_NS0_5tupleIJPjSI_NS0_16reverse_iteratorISI_EEEEENSH_IJSG_SG_SG_EEES9_SI_JZNS1_25segmented_radix_sort_implINS0_14default_configELb1EPKbPbPKlPlN2at6native12_GLOBAL__N_18offset_tEEE10hipError_tPvRmT1_PNSt15iterator_traitsIS12_E10value_typeET2_T3_PNS13_IS18_E10value_typeET4_jRbjT5_S1E_jjP12ihipStream_tbEUljE_ZNSN_ISO_Lb1ESQ_SR_ST_SU_SY_EESZ_S10_S11_S12_S16_S17_S18_S1B_S1C_jS1D_jS1E_S1E_jjS1G_bEUljE0_EEESZ_S10_S11_S18_S1C_S1E_T6_T7_T9_mT8_S1G_bDpT10_ENKUlT_T0_E_clISt17integral_constantIbLb1EES1T_IbLb0EEEEDaS1P_S1Q_EUlS1P_E_NS1_11comp_targetILNS1_3genE10ELNS1_11target_archE1200ELNS1_3gpuE4ELNS1_3repE0EEENS1_30default_config_static_selectorELNS0_4arch9wavefront6targetE0EEEvS12_
    .private_segment_fixed_size: 0
    .sgpr_count:     0
    .sgpr_spill_count: 0
    .symbol:         _ZN7rocprim17ROCPRIM_400000_NS6detail17trampoline_kernelINS0_13select_configILj256ELj13ELNS0_17block_load_methodE3ELS4_3ELS4_3ELNS0_20block_scan_algorithmE0ELj4294967295EEENS1_25partition_config_selectorILNS1_17partition_subalgoE4EjNS0_10empty_typeEbEEZZNS1_14partition_implILS8_4ELb0ES6_15HIP_vector_typeIjLj2EENS0_17counting_iteratorIjlEEPS9_SG_NS0_5tupleIJPjSI_NS0_16reverse_iteratorISI_EEEEENSH_IJSG_SG_SG_EEES9_SI_JZNS1_25segmented_radix_sort_implINS0_14default_configELb1EPKbPbPKlPlN2at6native12_GLOBAL__N_18offset_tEEE10hipError_tPvRmT1_PNSt15iterator_traitsIS12_E10value_typeET2_T3_PNS13_IS18_E10value_typeET4_jRbjT5_S1E_jjP12ihipStream_tbEUljE_ZNSN_ISO_Lb1ESQ_SR_ST_SU_SY_EESZ_S10_S11_S12_S16_S17_S18_S1B_S1C_jS1D_jS1E_S1E_jjS1G_bEUljE0_EEESZ_S10_S11_S18_S1C_S1E_T6_T7_T9_mT8_S1G_bDpT10_ENKUlT_T0_E_clISt17integral_constantIbLb1EES1T_IbLb0EEEEDaS1P_S1Q_EUlS1P_E_NS1_11comp_targetILNS1_3genE10ELNS1_11target_archE1200ELNS1_3gpuE4ELNS1_3repE0EEENS1_30default_config_static_selectorELNS0_4arch9wavefront6targetE0EEEvS12_.kd
    .uniform_work_group_size: 1
    .uses_dynamic_stack: false
    .vgpr_count:     0
    .vgpr_spill_count: 0
    .wavefront_size: 32
    .workgroup_processor_mode: 1
  - .args:
      - .offset:         0
        .size:           176
        .value_kind:     by_value
    .group_segment_fixed_size: 13340
    .kernarg_segment_align: 8
    .kernarg_segment_size: 176
    .language:       OpenCL C
    .language_version:
      - 2
      - 0
    .max_flat_workgroup_size: 256
    .name:           _ZN7rocprim17ROCPRIM_400000_NS6detail17trampoline_kernelINS0_13select_configILj256ELj13ELNS0_17block_load_methodE3ELS4_3ELS4_3ELNS0_20block_scan_algorithmE0ELj4294967295EEENS1_25partition_config_selectorILNS1_17partition_subalgoE4EjNS0_10empty_typeEbEEZZNS1_14partition_implILS8_4ELb0ES6_15HIP_vector_typeIjLj2EENS0_17counting_iteratorIjlEEPS9_SG_NS0_5tupleIJPjSI_NS0_16reverse_iteratorISI_EEEEENSH_IJSG_SG_SG_EEES9_SI_JZNS1_25segmented_radix_sort_implINS0_14default_configELb1EPKbPbPKlPlN2at6native12_GLOBAL__N_18offset_tEEE10hipError_tPvRmT1_PNSt15iterator_traitsIS12_E10value_typeET2_T3_PNS13_IS18_E10value_typeET4_jRbjT5_S1E_jjP12ihipStream_tbEUljE_ZNSN_ISO_Lb1ESQ_SR_ST_SU_SY_EESZ_S10_S11_S12_S16_S17_S18_S1B_S1C_jS1D_jS1E_S1E_jjS1G_bEUljE0_EEESZ_S10_S11_S18_S1C_S1E_T6_T7_T9_mT8_S1G_bDpT10_ENKUlT_T0_E_clISt17integral_constantIbLb1EES1T_IbLb0EEEEDaS1P_S1Q_EUlS1P_E_NS1_11comp_targetILNS1_3genE9ELNS1_11target_archE1100ELNS1_3gpuE3ELNS1_3repE0EEENS1_30default_config_static_selectorELNS0_4arch9wavefront6targetE0EEEvS12_
    .private_segment_fixed_size: 0
    .sgpr_count:     61
    .sgpr_spill_count: 0
    .symbol:         _ZN7rocprim17ROCPRIM_400000_NS6detail17trampoline_kernelINS0_13select_configILj256ELj13ELNS0_17block_load_methodE3ELS4_3ELS4_3ELNS0_20block_scan_algorithmE0ELj4294967295EEENS1_25partition_config_selectorILNS1_17partition_subalgoE4EjNS0_10empty_typeEbEEZZNS1_14partition_implILS8_4ELb0ES6_15HIP_vector_typeIjLj2EENS0_17counting_iteratorIjlEEPS9_SG_NS0_5tupleIJPjSI_NS0_16reverse_iteratorISI_EEEEENSH_IJSG_SG_SG_EEES9_SI_JZNS1_25segmented_radix_sort_implINS0_14default_configELb1EPKbPbPKlPlN2at6native12_GLOBAL__N_18offset_tEEE10hipError_tPvRmT1_PNSt15iterator_traitsIS12_E10value_typeET2_T3_PNS13_IS18_E10value_typeET4_jRbjT5_S1E_jjP12ihipStream_tbEUljE_ZNSN_ISO_Lb1ESQ_SR_ST_SU_SY_EESZ_S10_S11_S12_S16_S17_S18_S1B_S1C_jS1D_jS1E_S1E_jjS1G_bEUljE0_EEESZ_S10_S11_S18_S1C_S1E_T6_T7_T9_mT8_S1G_bDpT10_ENKUlT_T0_E_clISt17integral_constantIbLb1EES1T_IbLb0EEEEDaS1P_S1Q_EUlS1P_E_NS1_11comp_targetILNS1_3genE9ELNS1_11target_archE1100ELNS1_3gpuE3ELNS1_3repE0EEENS1_30default_config_static_selectorELNS0_4arch9wavefront6targetE0EEEvS12_.kd
    .uniform_work_group_size: 1
    .uses_dynamic_stack: false
    .vgpr_count:     98
    .vgpr_spill_count: 0
    .wavefront_size: 32
    .workgroup_processor_mode: 1
  - .args:
      - .offset:         0
        .size:           176
        .value_kind:     by_value
    .group_segment_fixed_size: 0
    .kernarg_segment_align: 8
    .kernarg_segment_size: 176
    .language:       OpenCL C
    .language_version:
      - 2
      - 0
    .max_flat_workgroup_size: 256
    .name:           _ZN7rocprim17ROCPRIM_400000_NS6detail17trampoline_kernelINS0_13select_configILj256ELj13ELNS0_17block_load_methodE3ELS4_3ELS4_3ELNS0_20block_scan_algorithmE0ELj4294967295EEENS1_25partition_config_selectorILNS1_17partition_subalgoE4EjNS0_10empty_typeEbEEZZNS1_14partition_implILS8_4ELb0ES6_15HIP_vector_typeIjLj2EENS0_17counting_iteratorIjlEEPS9_SG_NS0_5tupleIJPjSI_NS0_16reverse_iteratorISI_EEEEENSH_IJSG_SG_SG_EEES9_SI_JZNS1_25segmented_radix_sort_implINS0_14default_configELb1EPKbPbPKlPlN2at6native12_GLOBAL__N_18offset_tEEE10hipError_tPvRmT1_PNSt15iterator_traitsIS12_E10value_typeET2_T3_PNS13_IS18_E10value_typeET4_jRbjT5_S1E_jjP12ihipStream_tbEUljE_ZNSN_ISO_Lb1ESQ_SR_ST_SU_SY_EESZ_S10_S11_S12_S16_S17_S18_S1B_S1C_jS1D_jS1E_S1E_jjS1G_bEUljE0_EEESZ_S10_S11_S18_S1C_S1E_T6_T7_T9_mT8_S1G_bDpT10_ENKUlT_T0_E_clISt17integral_constantIbLb1EES1T_IbLb0EEEEDaS1P_S1Q_EUlS1P_E_NS1_11comp_targetILNS1_3genE8ELNS1_11target_archE1030ELNS1_3gpuE2ELNS1_3repE0EEENS1_30default_config_static_selectorELNS0_4arch9wavefront6targetE0EEEvS12_
    .private_segment_fixed_size: 0
    .sgpr_count:     0
    .sgpr_spill_count: 0
    .symbol:         _ZN7rocprim17ROCPRIM_400000_NS6detail17trampoline_kernelINS0_13select_configILj256ELj13ELNS0_17block_load_methodE3ELS4_3ELS4_3ELNS0_20block_scan_algorithmE0ELj4294967295EEENS1_25partition_config_selectorILNS1_17partition_subalgoE4EjNS0_10empty_typeEbEEZZNS1_14partition_implILS8_4ELb0ES6_15HIP_vector_typeIjLj2EENS0_17counting_iteratorIjlEEPS9_SG_NS0_5tupleIJPjSI_NS0_16reverse_iteratorISI_EEEEENSH_IJSG_SG_SG_EEES9_SI_JZNS1_25segmented_radix_sort_implINS0_14default_configELb1EPKbPbPKlPlN2at6native12_GLOBAL__N_18offset_tEEE10hipError_tPvRmT1_PNSt15iterator_traitsIS12_E10value_typeET2_T3_PNS13_IS18_E10value_typeET4_jRbjT5_S1E_jjP12ihipStream_tbEUljE_ZNSN_ISO_Lb1ESQ_SR_ST_SU_SY_EESZ_S10_S11_S12_S16_S17_S18_S1B_S1C_jS1D_jS1E_S1E_jjS1G_bEUljE0_EEESZ_S10_S11_S18_S1C_S1E_T6_T7_T9_mT8_S1G_bDpT10_ENKUlT_T0_E_clISt17integral_constantIbLb1EES1T_IbLb0EEEEDaS1P_S1Q_EUlS1P_E_NS1_11comp_targetILNS1_3genE8ELNS1_11target_archE1030ELNS1_3gpuE2ELNS1_3repE0EEENS1_30default_config_static_selectorELNS0_4arch9wavefront6targetE0EEEvS12_.kd
    .uniform_work_group_size: 1
    .uses_dynamic_stack: false
    .vgpr_count:     0
    .vgpr_spill_count: 0
    .wavefront_size: 32
    .workgroup_processor_mode: 1
  - .args:
      - .offset:         0
        .size:           184
        .value_kind:     by_value
    .group_segment_fixed_size: 0
    .kernarg_segment_align: 8
    .kernarg_segment_size: 184
    .language:       OpenCL C
    .language_version:
      - 2
      - 0
    .max_flat_workgroup_size: 256
    .name:           _ZN7rocprim17ROCPRIM_400000_NS6detail17trampoline_kernelINS0_13select_configILj256ELj13ELNS0_17block_load_methodE3ELS4_3ELS4_3ELNS0_20block_scan_algorithmE0ELj4294967295EEENS1_25partition_config_selectorILNS1_17partition_subalgoE4EjNS0_10empty_typeEbEEZZNS1_14partition_implILS8_4ELb0ES6_15HIP_vector_typeIjLj2EENS0_17counting_iteratorIjlEEPS9_SG_NS0_5tupleIJPjSI_NS0_16reverse_iteratorISI_EEEEENSH_IJSG_SG_SG_EEES9_SI_JZNS1_25segmented_radix_sort_implINS0_14default_configELb1EPKbPbPKlPlN2at6native12_GLOBAL__N_18offset_tEEE10hipError_tPvRmT1_PNSt15iterator_traitsIS12_E10value_typeET2_T3_PNS13_IS18_E10value_typeET4_jRbjT5_S1E_jjP12ihipStream_tbEUljE_ZNSN_ISO_Lb1ESQ_SR_ST_SU_SY_EESZ_S10_S11_S12_S16_S17_S18_S1B_S1C_jS1D_jS1E_S1E_jjS1G_bEUljE0_EEESZ_S10_S11_S18_S1C_S1E_T6_T7_T9_mT8_S1G_bDpT10_ENKUlT_T0_E_clISt17integral_constantIbLb0EES1T_IbLb1EEEEDaS1P_S1Q_EUlS1P_E_NS1_11comp_targetILNS1_3genE0ELNS1_11target_archE4294967295ELNS1_3gpuE0ELNS1_3repE0EEENS1_30default_config_static_selectorELNS0_4arch9wavefront6targetE0EEEvS12_
    .private_segment_fixed_size: 0
    .sgpr_count:     0
    .sgpr_spill_count: 0
    .symbol:         _ZN7rocprim17ROCPRIM_400000_NS6detail17trampoline_kernelINS0_13select_configILj256ELj13ELNS0_17block_load_methodE3ELS4_3ELS4_3ELNS0_20block_scan_algorithmE0ELj4294967295EEENS1_25partition_config_selectorILNS1_17partition_subalgoE4EjNS0_10empty_typeEbEEZZNS1_14partition_implILS8_4ELb0ES6_15HIP_vector_typeIjLj2EENS0_17counting_iteratorIjlEEPS9_SG_NS0_5tupleIJPjSI_NS0_16reverse_iteratorISI_EEEEENSH_IJSG_SG_SG_EEES9_SI_JZNS1_25segmented_radix_sort_implINS0_14default_configELb1EPKbPbPKlPlN2at6native12_GLOBAL__N_18offset_tEEE10hipError_tPvRmT1_PNSt15iterator_traitsIS12_E10value_typeET2_T3_PNS13_IS18_E10value_typeET4_jRbjT5_S1E_jjP12ihipStream_tbEUljE_ZNSN_ISO_Lb1ESQ_SR_ST_SU_SY_EESZ_S10_S11_S12_S16_S17_S18_S1B_S1C_jS1D_jS1E_S1E_jjS1G_bEUljE0_EEESZ_S10_S11_S18_S1C_S1E_T6_T7_T9_mT8_S1G_bDpT10_ENKUlT_T0_E_clISt17integral_constantIbLb0EES1T_IbLb1EEEEDaS1P_S1Q_EUlS1P_E_NS1_11comp_targetILNS1_3genE0ELNS1_11target_archE4294967295ELNS1_3gpuE0ELNS1_3repE0EEENS1_30default_config_static_selectorELNS0_4arch9wavefront6targetE0EEEvS12_.kd
    .uniform_work_group_size: 1
    .uses_dynamic_stack: false
    .vgpr_count:     0
    .vgpr_spill_count: 0
    .wavefront_size: 32
    .workgroup_processor_mode: 1
  - .args:
      - .offset:         0
        .size:           184
        .value_kind:     by_value
    .group_segment_fixed_size: 0
    .kernarg_segment_align: 8
    .kernarg_segment_size: 184
    .language:       OpenCL C
    .language_version:
      - 2
      - 0
    .max_flat_workgroup_size: 256
    .name:           _ZN7rocprim17ROCPRIM_400000_NS6detail17trampoline_kernelINS0_13select_configILj256ELj13ELNS0_17block_load_methodE3ELS4_3ELS4_3ELNS0_20block_scan_algorithmE0ELj4294967295EEENS1_25partition_config_selectorILNS1_17partition_subalgoE4EjNS0_10empty_typeEbEEZZNS1_14partition_implILS8_4ELb0ES6_15HIP_vector_typeIjLj2EENS0_17counting_iteratorIjlEEPS9_SG_NS0_5tupleIJPjSI_NS0_16reverse_iteratorISI_EEEEENSH_IJSG_SG_SG_EEES9_SI_JZNS1_25segmented_radix_sort_implINS0_14default_configELb1EPKbPbPKlPlN2at6native12_GLOBAL__N_18offset_tEEE10hipError_tPvRmT1_PNSt15iterator_traitsIS12_E10value_typeET2_T3_PNS13_IS18_E10value_typeET4_jRbjT5_S1E_jjP12ihipStream_tbEUljE_ZNSN_ISO_Lb1ESQ_SR_ST_SU_SY_EESZ_S10_S11_S12_S16_S17_S18_S1B_S1C_jS1D_jS1E_S1E_jjS1G_bEUljE0_EEESZ_S10_S11_S18_S1C_S1E_T6_T7_T9_mT8_S1G_bDpT10_ENKUlT_T0_E_clISt17integral_constantIbLb0EES1T_IbLb1EEEEDaS1P_S1Q_EUlS1P_E_NS1_11comp_targetILNS1_3genE5ELNS1_11target_archE942ELNS1_3gpuE9ELNS1_3repE0EEENS1_30default_config_static_selectorELNS0_4arch9wavefront6targetE0EEEvS12_
    .private_segment_fixed_size: 0
    .sgpr_count:     0
    .sgpr_spill_count: 0
    .symbol:         _ZN7rocprim17ROCPRIM_400000_NS6detail17trampoline_kernelINS0_13select_configILj256ELj13ELNS0_17block_load_methodE3ELS4_3ELS4_3ELNS0_20block_scan_algorithmE0ELj4294967295EEENS1_25partition_config_selectorILNS1_17partition_subalgoE4EjNS0_10empty_typeEbEEZZNS1_14partition_implILS8_4ELb0ES6_15HIP_vector_typeIjLj2EENS0_17counting_iteratorIjlEEPS9_SG_NS0_5tupleIJPjSI_NS0_16reverse_iteratorISI_EEEEENSH_IJSG_SG_SG_EEES9_SI_JZNS1_25segmented_radix_sort_implINS0_14default_configELb1EPKbPbPKlPlN2at6native12_GLOBAL__N_18offset_tEEE10hipError_tPvRmT1_PNSt15iterator_traitsIS12_E10value_typeET2_T3_PNS13_IS18_E10value_typeET4_jRbjT5_S1E_jjP12ihipStream_tbEUljE_ZNSN_ISO_Lb1ESQ_SR_ST_SU_SY_EESZ_S10_S11_S12_S16_S17_S18_S1B_S1C_jS1D_jS1E_S1E_jjS1G_bEUljE0_EEESZ_S10_S11_S18_S1C_S1E_T6_T7_T9_mT8_S1G_bDpT10_ENKUlT_T0_E_clISt17integral_constantIbLb0EES1T_IbLb1EEEEDaS1P_S1Q_EUlS1P_E_NS1_11comp_targetILNS1_3genE5ELNS1_11target_archE942ELNS1_3gpuE9ELNS1_3repE0EEENS1_30default_config_static_selectorELNS0_4arch9wavefront6targetE0EEEvS12_.kd
    .uniform_work_group_size: 1
    .uses_dynamic_stack: false
    .vgpr_count:     0
    .vgpr_spill_count: 0
    .wavefront_size: 32
    .workgroup_processor_mode: 1
  - .args:
      - .offset:         0
        .size:           184
        .value_kind:     by_value
    .group_segment_fixed_size: 0
    .kernarg_segment_align: 8
    .kernarg_segment_size: 184
    .language:       OpenCL C
    .language_version:
      - 2
      - 0
    .max_flat_workgroup_size: 256
    .name:           _ZN7rocprim17ROCPRIM_400000_NS6detail17trampoline_kernelINS0_13select_configILj256ELj13ELNS0_17block_load_methodE3ELS4_3ELS4_3ELNS0_20block_scan_algorithmE0ELj4294967295EEENS1_25partition_config_selectorILNS1_17partition_subalgoE4EjNS0_10empty_typeEbEEZZNS1_14partition_implILS8_4ELb0ES6_15HIP_vector_typeIjLj2EENS0_17counting_iteratorIjlEEPS9_SG_NS0_5tupleIJPjSI_NS0_16reverse_iteratorISI_EEEEENSH_IJSG_SG_SG_EEES9_SI_JZNS1_25segmented_radix_sort_implINS0_14default_configELb1EPKbPbPKlPlN2at6native12_GLOBAL__N_18offset_tEEE10hipError_tPvRmT1_PNSt15iterator_traitsIS12_E10value_typeET2_T3_PNS13_IS18_E10value_typeET4_jRbjT5_S1E_jjP12ihipStream_tbEUljE_ZNSN_ISO_Lb1ESQ_SR_ST_SU_SY_EESZ_S10_S11_S12_S16_S17_S18_S1B_S1C_jS1D_jS1E_S1E_jjS1G_bEUljE0_EEESZ_S10_S11_S18_S1C_S1E_T6_T7_T9_mT8_S1G_bDpT10_ENKUlT_T0_E_clISt17integral_constantIbLb0EES1T_IbLb1EEEEDaS1P_S1Q_EUlS1P_E_NS1_11comp_targetILNS1_3genE4ELNS1_11target_archE910ELNS1_3gpuE8ELNS1_3repE0EEENS1_30default_config_static_selectorELNS0_4arch9wavefront6targetE0EEEvS12_
    .private_segment_fixed_size: 0
    .sgpr_count:     0
    .sgpr_spill_count: 0
    .symbol:         _ZN7rocprim17ROCPRIM_400000_NS6detail17trampoline_kernelINS0_13select_configILj256ELj13ELNS0_17block_load_methodE3ELS4_3ELS4_3ELNS0_20block_scan_algorithmE0ELj4294967295EEENS1_25partition_config_selectorILNS1_17partition_subalgoE4EjNS0_10empty_typeEbEEZZNS1_14partition_implILS8_4ELb0ES6_15HIP_vector_typeIjLj2EENS0_17counting_iteratorIjlEEPS9_SG_NS0_5tupleIJPjSI_NS0_16reverse_iteratorISI_EEEEENSH_IJSG_SG_SG_EEES9_SI_JZNS1_25segmented_radix_sort_implINS0_14default_configELb1EPKbPbPKlPlN2at6native12_GLOBAL__N_18offset_tEEE10hipError_tPvRmT1_PNSt15iterator_traitsIS12_E10value_typeET2_T3_PNS13_IS18_E10value_typeET4_jRbjT5_S1E_jjP12ihipStream_tbEUljE_ZNSN_ISO_Lb1ESQ_SR_ST_SU_SY_EESZ_S10_S11_S12_S16_S17_S18_S1B_S1C_jS1D_jS1E_S1E_jjS1G_bEUljE0_EEESZ_S10_S11_S18_S1C_S1E_T6_T7_T9_mT8_S1G_bDpT10_ENKUlT_T0_E_clISt17integral_constantIbLb0EES1T_IbLb1EEEEDaS1P_S1Q_EUlS1P_E_NS1_11comp_targetILNS1_3genE4ELNS1_11target_archE910ELNS1_3gpuE8ELNS1_3repE0EEENS1_30default_config_static_selectorELNS0_4arch9wavefront6targetE0EEEvS12_.kd
    .uniform_work_group_size: 1
    .uses_dynamic_stack: false
    .vgpr_count:     0
    .vgpr_spill_count: 0
    .wavefront_size: 32
    .workgroup_processor_mode: 1
  - .args:
      - .offset:         0
        .size:           184
        .value_kind:     by_value
    .group_segment_fixed_size: 0
    .kernarg_segment_align: 8
    .kernarg_segment_size: 184
    .language:       OpenCL C
    .language_version:
      - 2
      - 0
    .max_flat_workgroup_size: 256
    .name:           _ZN7rocprim17ROCPRIM_400000_NS6detail17trampoline_kernelINS0_13select_configILj256ELj13ELNS0_17block_load_methodE3ELS4_3ELS4_3ELNS0_20block_scan_algorithmE0ELj4294967295EEENS1_25partition_config_selectorILNS1_17partition_subalgoE4EjNS0_10empty_typeEbEEZZNS1_14partition_implILS8_4ELb0ES6_15HIP_vector_typeIjLj2EENS0_17counting_iteratorIjlEEPS9_SG_NS0_5tupleIJPjSI_NS0_16reverse_iteratorISI_EEEEENSH_IJSG_SG_SG_EEES9_SI_JZNS1_25segmented_radix_sort_implINS0_14default_configELb1EPKbPbPKlPlN2at6native12_GLOBAL__N_18offset_tEEE10hipError_tPvRmT1_PNSt15iterator_traitsIS12_E10value_typeET2_T3_PNS13_IS18_E10value_typeET4_jRbjT5_S1E_jjP12ihipStream_tbEUljE_ZNSN_ISO_Lb1ESQ_SR_ST_SU_SY_EESZ_S10_S11_S12_S16_S17_S18_S1B_S1C_jS1D_jS1E_S1E_jjS1G_bEUljE0_EEESZ_S10_S11_S18_S1C_S1E_T6_T7_T9_mT8_S1G_bDpT10_ENKUlT_T0_E_clISt17integral_constantIbLb0EES1T_IbLb1EEEEDaS1P_S1Q_EUlS1P_E_NS1_11comp_targetILNS1_3genE3ELNS1_11target_archE908ELNS1_3gpuE7ELNS1_3repE0EEENS1_30default_config_static_selectorELNS0_4arch9wavefront6targetE0EEEvS12_
    .private_segment_fixed_size: 0
    .sgpr_count:     0
    .sgpr_spill_count: 0
    .symbol:         _ZN7rocprim17ROCPRIM_400000_NS6detail17trampoline_kernelINS0_13select_configILj256ELj13ELNS0_17block_load_methodE3ELS4_3ELS4_3ELNS0_20block_scan_algorithmE0ELj4294967295EEENS1_25partition_config_selectorILNS1_17partition_subalgoE4EjNS0_10empty_typeEbEEZZNS1_14partition_implILS8_4ELb0ES6_15HIP_vector_typeIjLj2EENS0_17counting_iteratorIjlEEPS9_SG_NS0_5tupleIJPjSI_NS0_16reverse_iteratorISI_EEEEENSH_IJSG_SG_SG_EEES9_SI_JZNS1_25segmented_radix_sort_implINS0_14default_configELb1EPKbPbPKlPlN2at6native12_GLOBAL__N_18offset_tEEE10hipError_tPvRmT1_PNSt15iterator_traitsIS12_E10value_typeET2_T3_PNS13_IS18_E10value_typeET4_jRbjT5_S1E_jjP12ihipStream_tbEUljE_ZNSN_ISO_Lb1ESQ_SR_ST_SU_SY_EESZ_S10_S11_S12_S16_S17_S18_S1B_S1C_jS1D_jS1E_S1E_jjS1G_bEUljE0_EEESZ_S10_S11_S18_S1C_S1E_T6_T7_T9_mT8_S1G_bDpT10_ENKUlT_T0_E_clISt17integral_constantIbLb0EES1T_IbLb1EEEEDaS1P_S1Q_EUlS1P_E_NS1_11comp_targetILNS1_3genE3ELNS1_11target_archE908ELNS1_3gpuE7ELNS1_3repE0EEENS1_30default_config_static_selectorELNS0_4arch9wavefront6targetE0EEEvS12_.kd
    .uniform_work_group_size: 1
    .uses_dynamic_stack: false
    .vgpr_count:     0
    .vgpr_spill_count: 0
    .wavefront_size: 32
    .workgroup_processor_mode: 1
  - .args:
      - .offset:         0
        .size:           184
        .value_kind:     by_value
    .group_segment_fixed_size: 0
    .kernarg_segment_align: 8
    .kernarg_segment_size: 184
    .language:       OpenCL C
    .language_version:
      - 2
      - 0
    .max_flat_workgroup_size: 256
    .name:           _ZN7rocprim17ROCPRIM_400000_NS6detail17trampoline_kernelINS0_13select_configILj256ELj13ELNS0_17block_load_methodE3ELS4_3ELS4_3ELNS0_20block_scan_algorithmE0ELj4294967295EEENS1_25partition_config_selectorILNS1_17partition_subalgoE4EjNS0_10empty_typeEbEEZZNS1_14partition_implILS8_4ELb0ES6_15HIP_vector_typeIjLj2EENS0_17counting_iteratorIjlEEPS9_SG_NS0_5tupleIJPjSI_NS0_16reverse_iteratorISI_EEEEENSH_IJSG_SG_SG_EEES9_SI_JZNS1_25segmented_radix_sort_implINS0_14default_configELb1EPKbPbPKlPlN2at6native12_GLOBAL__N_18offset_tEEE10hipError_tPvRmT1_PNSt15iterator_traitsIS12_E10value_typeET2_T3_PNS13_IS18_E10value_typeET4_jRbjT5_S1E_jjP12ihipStream_tbEUljE_ZNSN_ISO_Lb1ESQ_SR_ST_SU_SY_EESZ_S10_S11_S12_S16_S17_S18_S1B_S1C_jS1D_jS1E_S1E_jjS1G_bEUljE0_EEESZ_S10_S11_S18_S1C_S1E_T6_T7_T9_mT8_S1G_bDpT10_ENKUlT_T0_E_clISt17integral_constantIbLb0EES1T_IbLb1EEEEDaS1P_S1Q_EUlS1P_E_NS1_11comp_targetILNS1_3genE2ELNS1_11target_archE906ELNS1_3gpuE6ELNS1_3repE0EEENS1_30default_config_static_selectorELNS0_4arch9wavefront6targetE0EEEvS12_
    .private_segment_fixed_size: 0
    .sgpr_count:     0
    .sgpr_spill_count: 0
    .symbol:         _ZN7rocprim17ROCPRIM_400000_NS6detail17trampoline_kernelINS0_13select_configILj256ELj13ELNS0_17block_load_methodE3ELS4_3ELS4_3ELNS0_20block_scan_algorithmE0ELj4294967295EEENS1_25partition_config_selectorILNS1_17partition_subalgoE4EjNS0_10empty_typeEbEEZZNS1_14partition_implILS8_4ELb0ES6_15HIP_vector_typeIjLj2EENS0_17counting_iteratorIjlEEPS9_SG_NS0_5tupleIJPjSI_NS0_16reverse_iteratorISI_EEEEENSH_IJSG_SG_SG_EEES9_SI_JZNS1_25segmented_radix_sort_implINS0_14default_configELb1EPKbPbPKlPlN2at6native12_GLOBAL__N_18offset_tEEE10hipError_tPvRmT1_PNSt15iterator_traitsIS12_E10value_typeET2_T3_PNS13_IS18_E10value_typeET4_jRbjT5_S1E_jjP12ihipStream_tbEUljE_ZNSN_ISO_Lb1ESQ_SR_ST_SU_SY_EESZ_S10_S11_S12_S16_S17_S18_S1B_S1C_jS1D_jS1E_S1E_jjS1G_bEUljE0_EEESZ_S10_S11_S18_S1C_S1E_T6_T7_T9_mT8_S1G_bDpT10_ENKUlT_T0_E_clISt17integral_constantIbLb0EES1T_IbLb1EEEEDaS1P_S1Q_EUlS1P_E_NS1_11comp_targetILNS1_3genE2ELNS1_11target_archE906ELNS1_3gpuE6ELNS1_3repE0EEENS1_30default_config_static_selectorELNS0_4arch9wavefront6targetE0EEEvS12_.kd
    .uniform_work_group_size: 1
    .uses_dynamic_stack: false
    .vgpr_count:     0
    .vgpr_spill_count: 0
    .wavefront_size: 32
    .workgroup_processor_mode: 1
  - .args:
      - .offset:         0
        .size:           184
        .value_kind:     by_value
    .group_segment_fixed_size: 0
    .kernarg_segment_align: 8
    .kernarg_segment_size: 184
    .language:       OpenCL C
    .language_version:
      - 2
      - 0
    .max_flat_workgroup_size: 256
    .name:           _ZN7rocprim17ROCPRIM_400000_NS6detail17trampoline_kernelINS0_13select_configILj256ELj13ELNS0_17block_load_methodE3ELS4_3ELS4_3ELNS0_20block_scan_algorithmE0ELj4294967295EEENS1_25partition_config_selectorILNS1_17partition_subalgoE4EjNS0_10empty_typeEbEEZZNS1_14partition_implILS8_4ELb0ES6_15HIP_vector_typeIjLj2EENS0_17counting_iteratorIjlEEPS9_SG_NS0_5tupleIJPjSI_NS0_16reverse_iteratorISI_EEEEENSH_IJSG_SG_SG_EEES9_SI_JZNS1_25segmented_radix_sort_implINS0_14default_configELb1EPKbPbPKlPlN2at6native12_GLOBAL__N_18offset_tEEE10hipError_tPvRmT1_PNSt15iterator_traitsIS12_E10value_typeET2_T3_PNS13_IS18_E10value_typeET4_jRbjT5_S1E_jjP12ihipStream_tbEUljE_ZNSN_ISO_Lb1ESQ_SR_ST_SU_SY_EESZ_S10_S11_S12_S16_S17_S18_S1B_S1C_jS1D_jS1E_S1E_jjS1G_bEUljE0_EEESZ_S10_S11_S18_S1C_S1E_T6_T7_T9_mT8_S1G_bDpT10_ENKUlT_T0_E_clISt17integral_constantIbLb0EES1T_IbLb1EEEEDaS1P_S1Q_EUlS1P_E_NS1_11comp_targetILNS1_3genE10ELNS1_11target_archE1200ELNS1_3gpuE4ELNS1_3repE0EEENS1_30default_config_static_selectorELNS0_4arch9wavefront6targetE0EEEvS12_
    .private_segment_fixed_size: 0
    .sgpr_count:     0
    .sgpr_spill_count: 0
    .symbol:         _ZN7rocprim17ROCPRIM_400000_NS6detail17trampoline_kernelINS0_13select_configILj256ELj13ELNS0_17block_load_methodE3ELS4_3ELS4_3ELNS0_20block_scan_algorithmE0ELj4294967295EEENS1_25partition_config_selectorILNS1_17partition_subalgoE4EjNS0_10empty_typeEbEEZZNS1_14partition_implILS8_4ELb0ES6_15HIP_vector_typeIjLj2EENS0_17counting_iteratorIjlEEPS9_SG_NS0_5tupleIJPjSI_NS0_16reverse_iteratorISI_EEEEENSH_IJSG_SG_SG_EEES9_SI_JZNS1_25segmented_radix_sort_implINS0_14default_configELb1EPKbPbPKlPlN2at6native12_GLOBAL__N_18offset_tEEE10hipError_tPvRmT1_PNSt15iterator_traitsIS12_E10value_typeET2_T3_PNS13_IS18_E10value_typeET4_jRbjT5_S1E_jjP12ihipStream_tbEUljE_ZNSN_ISO_Lb1ESQ_SR_ST_SU_SY_EESZ_S10_S11_S12_S16_S17_S18_S1B_S1C_jS1D_jS1E_S1E_jjS1G_bEUljE0_EEESZ_S10_S11_S18_S1C_S1E_T6_T7_T9_mT8_S1G_bDpT10_ENKUlT_T0_E_clISt17integral_constantIbLb0EES1T_IbLb1EEEEDaS1P_S1Q_EUlS1P_E_NS1_11comp_targetILNS1_3genE10ELNS1_11target_archE1200ELNS1_3gpuE4ELNS1_3repE0EEENS1_30default_config_static_selectorELNS0_4arch9wavefront6targetE0EEEvS12_.kd
    .uniform_work_group_size: 1
    .uses_dynamic_stack: false
    .vgpr_count:     0
    .vgpr_spill_count: 0
    .wavefront_size: 32
    .workgroup_processor_mode: 1
  - .args:
      - .offset:         0
        .size:           184
        .value_kind:     by_value
    .group_segment_fixed_size: 13340
    .kernarg_segment_align: 8
    .kernarg_segment_size: 184
    .language:       OpenCL C
    .language_version:
      - 2
      - 0
    .max_flat_workgroup_size: 256
    .name:           _ZN7rocprim17ROCPRIM_400000_NS6detail17trampoline_kernelINS0_13select_configILj256ELj13ELNS0_17block_load_methodE3ELS4_3ELS4_3ELNS0_20block_scan_algorithmE0ELj4294967295EEENS1_25partition_config_selectorILNS1_17partition_subalgoE4EjNS0_10empty_typeEbEEZZNS1_14partition_implILS8_4ELb0ES6_15HIP_vector_typeIjLj2EENS0_17counting_iteratorIjlEEPS9_SG_NS0_5tupleIJPjSI_NS0_16reverse_iteratorISI_EEEEENSH_IJSG_SG_SG_EEES9_SI_JZNS1_25segmented_radix_sort_implINS0_14default_configELb1EPKbPbPKlPlN2at6native12_GLOBAL__N_18offset_tEEE10hipError_tPvRmT1_PNSt15iterator_traitsIS12_E10value_typeET2_T3_PNS13_IS18_E10value_typeET4_jRbjT5_S1E_jjP12ihipStream_tbEUljE_ZNSN_ISO_Lb1ESQ_SR_ST_SU_SY_EESZ_S10_S11_S12_S16_S17_S18_S1B_S1C_jS1D_jS1E_S1E_jjS1G_bEUljE0_EEESZ_S10_S11_S18_S1C_S1E_T6_T7_T9_mT8_S1G_bDpT10_ENKUlT_T0_E_clISt17integral_constantIbLb0EES1T_IbLb1EEEEDaS1P_S1Q_EUlS1P_E_NS1_11comp_targetILNS1_3genE9ELNS1_11target_archE1100ELNS1_3gpuE3ELNS1_3repE0EEENS1_30default_config_static_selectorELNS0_4arch9wavefront6targetE0EEEvS12_
    .private_segment_fixed_size: 0
    .sgpr_count:     57
    .sgpr_spill_count: 0
    .symbol:         _ZN7rocprim17ROCPRIM_400000_NS6detail17trampoline_kernelINS0_13select_configILj256ELj13ELNS0_17block_load_methodE3ELS4_3ELS4_3ELNS0_20block_scan_algorithmE0ELj4294967295EEENS1_25partition_config_selectorILNS1_17partition_subalgoE4EjNS0_10empty_typeEbEEZZNS1_14partition_implILS8_4ELb0ES6_15HIP_vector_typeIjLj2EENS0_17counting_iteratorIjlEEPS9_SG_NS0_5tupleIJPjSI_NS0_16reverse_iteratorISI_EEEEENSH_IJSG_SG_SG_EEES9_SI_JZNS1_25segmented_radix_sort_implINS0_14default_configELb1EPKbPbPKlPlN2at6native12_GLOBAL__N_18offset_tEEE10hipError_tPvRmT1_PNSt15iterator_traitsIS12_E10value_typeET2_T3_PNS13_IS18_E10value_typeET4_jRbjT5_S1E_jjP12ihipStream_tbEUljE_ZNSN_ISO_Lb1ESQ_SR_ST_SU_SY_EESZ_S10_S11_S12_S16_S17_S18_S1B_S1C_jS1D_jS1E_S1E_jjS1G_bEUljE0_EEESZ_S10_S11_S18_S1C_S1E_T6_T7_T9_mT8_S1G_bDpT10_ENKUlT_T0_E_clISt17integral_constantIbLb0EES1T_IbLb1EEEEDaS1P_S1Q_EUlS1P_E_NS1_11comp_targetILNS1_3genE9ELNS1_11target_archE1100ELNS1_3gpuE3ELNS1_3repE0EEENS1_30default_config_static_selectorELNS0_4arch9wavefront6targetE0EEEvS12_.kd
    .uniform_work_group_size: 1
    .uses_dynamic_stack: false
    .vgpr_count:     103
    .vgpr_spill_count: 0
    .wavefront_size: 32
    .workgroup_processor_mode: 1
  - .args:
      - .offset:         0
        .size:           184
        .value_kind:     by_value
    .group_segment_fixed_size: 0
    .kernarg_segment_align: 8
    .kernarg_segment_size: 184
    .language:       OpenCL C
    .language_version:
      - 2
      - 0
    .max_flat_workgroup_size: 256
    .name:           _ZN7rocprim17ROCPRIM_400000_NS6detail17trampoline_kernelINS0_13select_configILj256ELj13ELNS0_17block_load_methodE3ELS4_3ELS4_3ELNS0_20block_scan_algorithmE0ELj4294967295EEENS1_25partition_config_selectorILNS1_17partition_subalgoE4EjNS0_10empty_typeEbEEZZNS1_14partition_implILS8_4ELb0ES6_15HIP_vector_typeIjLj2EENS0_17counting_iteratorIjlEEPS9_SG_NS0_5tupleIJPjSI_NS0_16reverse_iteratorISI_EEEEENSH_IJSG_SG_SG_EEES9_SI_JZNS1_25segmented_radix_sort_implINS0_14default_configELb1EPKbPbPKlPlN2at6native12_GLOBAL__N_18offset_tEEE10hipError_tPvRmT1_PNSt15iterator_traitsIS12_E10value_typeET2_T3_PNS13_IS18_E10value_typeET4_jRbjT5_S1E_jjP12ihipStream_tbEUljE_ZNSN_ISO_Lb1ESQ_SR_ST_SU_SY_EESZ_S10_S11_S12_S16_S17_S18_S1B_S1C_jS1D_jS1E_S1E_jjS1G_bEUljE0_EEESZ_S10_S11_S18_S1C_S1E_T6_T7_T9_mT8_S1G_bDpT10_ENKUlT_T0_E_clISt17integral_constantIbLb0EES1T_IbLb1EEEEDaS1P_S1Q_EUlS1P_E_NS1_11comp_targetILNS1_3genE8ELNS1_11target_archE1030ELNS1_3gpuE2ELNS1_3repE0EEENS1_30default_config_static_selectorELNS0_4arch9wavefront6targetE0EEEvS12_
    .private_segment_fixed_size: 0
    .sgpr_count:     0
    .sgpr_spill_count: 0
    .symbol:         _ZN7rocprim17ROCPRIM_400000_NS6detail17trampoline_kernelINS0_13select_configILj256ELj13ELNS0_17block_load_methodE3ELS4_3ELS4_3ELNS0_20block_scan_algorithmE0ELj4294967295EEENS1_25partition_config_selectorILNS1_17partition_subalgoE4EjNS0_10empty_typeEbEEZZNS1_14partition_implILS8_4ELb0ES6_15HIP_vector_typeIjLj2EENS0_17counting_iteratorIjlEEPS9_SG_NS0_5tupleIJPjSI_NS0_16reverse_iteratorISI_EEEEENSH_IJSG_SG_SG_EEES9_SI_JZNS1_25segmented_radix_sort_implINS0_14default_configELb1EPKbPbPKlPlN2at6native12_GLOBAL__N_18offset_tEEE10hipError_tPvRmT1_PNSt15iterator_traitsIS12_E10value_typeET2_T3_PNS13_IS18_E10value_typeET4_jRbjT5_S1E_jjP12ihipStream_tbEUljE_ZNSN_ISO_Lb1ESQ_SR_ST_SU_SY_EESZ_S10_S11_S12_S16_S17_S18_S1B_S1C_jS1D_jS1E_S1E_jjS1G_bEUljE0_EEESZ_S10_S11_S18_S1C_S1E_T6_T7_T9_mT8_S1G_bDpT10_ENKUlT_T0_E_clISt17integral_constantIbLb0EES1T_IbLb1EEEEDaS1P_S1Q_EUlS1P_E_NS1_11comp_targetILNS1_3genE8ELNS1_11target_archE1030ELNS1_3gpuE2ELNS1_3repE0EEENS1_30default_config_static_selectorELNS0_4arch9wavefront6targetE0EEEvS12_.kd
    .uniform_work_group_size: 1
    .uses_dynamic_stack: false
    .vgpr_count:     0
    .vgpr_spill_count: 0
    .wavefront_size: 32
    .workgroup_processor_mode: 1
  - .args:
      - .offset:         0
        .size:           144
        .value_kind:     by_value
    .group_segment_fixed_size: 0
    .kernarg_segment_align: 8
    .kernarg_segment_size: 144
    .language:       OpenCL C
    .language_version:
      - 2
      - 0
    .max_flat_workgroup_size: 256
    .name:           _ZN7rocprim17ROCPRIM_400000_NS6detail17trampoline_kernelINS0_13select_configILj256ELj13ELNS0_17block_load_methodE3ELS4_3ELS4_3ELNS0_20block_scan_algorithmE0ELj4294967295EEENS1_25partition_config_selectorILNS1_17partition_subalgoE3EjNS0_10empty_typeEbEEZZNS1_14partition_implILS8_3ELb0ES6_jNS0_17counting_iteratorIjlEEPS9_SE_NS0_5tupleIJPjSE_EEENSF_IJSE_SE_EEES9_SG_JZNS1_25segmented_radix_sort_implINS0_14default_configELb1EPKbPbPKlPlN2at6native12_GLOBAL__N_18offset_tEEE10hipError_tPvRmT1_PNSt15iterator_traitsISY_E10value_typeET2_T3_PNSZ_IS14_E10value_typeET4_jRbjT5_S1A_jjP12ihipStream_tbEUljE_EEESV_SW_SX_S14_S18_S1A_T6_T7_T9_mT8_S1C_bDpT10_ENKUlT_T0_E_clISt17integral_constantIbLb0EES1P_EEDaS1K_S1L_EUlS1K_E_NS1_11comp_targetILNS1_3genE0ELNS1_11target_archE4294967295ELNS1_3gpuE0ELNS1_3repE0EEENS1_30default_config_static_selectorELNS0_4arch9wavefront6targetE0EEEvSY_
    .private_segment_fixed_size: 0
    .sgpr_count:     0
    .sgpr_spill_count: 0
    .symbol:         _ZN7rocprim17ROCPRIM_400000_NS6detail17trampoline_kernelINS0_13select_configILj256ELj13ELNS0_17block_load_methodE3ELS4_3ELS4_3ELNS0_20block_scan_algorithmE0ELj4294967295EEENS1_25partition_config_selectorILNS1_17partition_subalgoE3EjNS0_10empty_typeEbEEZZNS1_14partition_implILS8_3ELb0ES6_jNS0_17counting_iteratorIjlEEPS9_SE_NS0_5tupleIJPjSE_EEENSF_IJSE_SE_EEES9_SG_JZNS1_25segmented_radix_sort_implINS0_14default_configELb1EPKbPbPKlPlN2at6native12_GLOBAL__N_18offset_tEEE10hipError_tPvRmT1_PNSt15iterator_traitsISY_E10value_typeET2_T3_PNSZ_IS14_E10value_typeET4_jRbjT5_S1A_jjP12ihipStream_tbEUljE_EEESV_SW_SX_S14_S18_S1A_T6_T7_T9_mT8_S1C_bDpT10_ENKUlT_T0_E_clISt17integral_constantIbLb0EES1P_EEDaS1K_S1L_EUlS1K_E_NS1_11comp_targetILNS1_3genE0ELNS1_11target_archE4294967295ELNS1_3gpuE0ELNS1_3repE0EEENS1_30default_config_static_selectorELNS0_4arch9wavefront6targetE0EEEvSY_.kd
    .uniform_work_group_size: 1
    .uses_dynamic_stack: false
    .vgpr_count:     0
    .vgpr_spill_count: 0
    .wavefront_size: 32
    .workgroup_processor_mode: 1
  - .args:
      - .offset:         0
        .size:           144
        .value_kind:     by_value
    .group_segment_fixed_size: 0
    .kernarg_segment_align: 8
    .kernarg_segment_size: 144
    .language:       OpenCL C
    .language_version:
      - 2
      - 0
    .max_flat_workgroup_size: 256
    .name:           _ZN7rocprim17ROCPRIM_400000_NS6detail17trampoline_kernelINS0_13select_configILj256ELj13ELNS0_17block_load_methodE3ELS4_3ELS4_3ELNS0_20block_scan_algorithmE0ELj4294967295EEENS1_25partition_config_selectorILNS1_17partition_subalgoE3EjNS0_10empty_typeEbEEZZNS1_14partition_implILS8_3ELb0ES6_jNS0_17counting_iteratorIjlEEPS9_SE_NS0_5tupleIJPjSE_EEENSF_IJSE_SE_EEES9_SG_JZNS1_25segmented_radix_sort_implINS0_14default_configELb1EPKbPbPKlPlN2at6native12_GLOBAL__N_18offset_tEEE10hipError_tPvRmT1_PNSt15iterator_traitsISY_E10value_typeET2_T3_PNSZ_IS14_E10value_typeET4_jRbjT5_S1A_jjP12ihipStream_tbEUljE_EEESV_SW_SX_S14_S18_S1A_T6_T7_T9_mT8_S1C_bDpT10_ENKUlT_T0_E_clISt17integral_constantIbLb0EES1P_EEDaS1K_S1L_EUlS1K_E_NS1_11comp_targetILNS1_3genE5ELNS1_11target_archE942ELNS1_3gpuE9ELNS1_3repE0EEENS1_30default_config_static_selectorELNS0_4arch9wavefront6targetE0EEEvSY_
    .private_segment_fixed_size: 0
    .sgpr_count:     0
    .sgpr_spill_count: 0
    .symbol:         _ZN7rocprim17ROCPRIM_400000_NS6detail17trampoline_kernelINS0_13select_configILj256ELj13ELNS0_17block_load_methodE3ELS4_3ELS4_3ELNS0_20block_scan_algorithmE0ELj4294967295EEENS1_25partition_config_selectorILNS1_17partition_subalgoE3EjNS0_10empty_typeEbEEZZNS1_14partition_implILS8_3ELb0ES6_jNS0_17counting_iteratorIjlEEPS9_SE_NS0_5tupleIJPjSE_EEENSF_IJSE_SE_EEES9_SG_JZNS1_25segmented_radix_sort_implINS0_14default_configELb1EPKbPbPKlPlN2at6native12_GLOBAL__N_18offset_tEEE10hipError_tPvRmT1_PNSt15iterator_traitsISY_E10value_typeET2_T3_PNSZ_IS14_E10value_typeET4_jRbjT5_S1A_jjP12ihipStream_tbEUljE_EEESV_SW_SX_S14_S18_S1A_T6_T7_T9_mT8_S1C_bDpT10_ENKUlT_T0_E_clISt17integral_constantIbLb0EES1P_EEDaS1K_S1L_EUlS1K_E_NS1_11comp_targetILNS1_3genE5ELNS1_11target_archE942ELNS1_3gpuE9ELNS1_3repE0EEENS1_30default_config_static_selectorELNS0_4arch9wavefront6targetE0EEEvSY_.kd
    .uniform_work_group_size: 1
    .uses_dynamic_stack: false
    .vgpr_count:     0
    .vgpr_spill_count: 0
    .wavefront_size: 32
    .workgroup_processor_mode: 1
  - .args:
      - .offset:         0
        .size:           144
        .value_kind:     by_value
    .group_segment_fixed_size: 0
    .kernarg_segment_align: 8
    .kernarg_segment_size: 144
    .language:       OpenCL C
    .language_version:
      - 2
      - 0
    .max_flat_workgroup_size: 256
    .name:           _ZN7rocprim17ROCPRIM_400000_NS6detail17trampoline_kernelINS0_13select_configILj256ELj13ELNS0_17block_load_methodE3ELS4_3ELS4_3ELNS0_20block_scan_algorithmE0ELj4294967295EEENS1_25partition_config_selectorILNS1_17partition_subalgoE3EjNS0_10empty_typeEbEEZZNS1_14partition_implILS8_3ELb0ES6_jNS0_17counting_iteratorIjlEEPS9_SE_NS0_5tupleIJPjSE_EEENSF_IJSE_SE_EEES9_SG_JZNS1_25segmented_radix_sort_implINS0_14default_configELb1EPKbPbPKlPlN2at6native12_GLOBAL__N_18offset_tEEE10hipError_tPvRmT1_PNSt15iterator_traitsISY_E10value_typeET2_T3_PNSZ_IS14_E10value_typeET4_jRbjT5_S1A_jjP12ihipStream_tbEUljE_EEESV_SW_SX_S14_S18_S1A_T6_T7_T9_mT8_S1C_bDpT10_ENKUlT_T0_E_clISt17integral_constantIbLb0EES1P_EEDaS1K_S1L_EUlS1K_E_NS1_11comp_targetILNS1_3genE4ELNS1_11target_archE910ELNS1_3gpuE8ELNS1_3repE0EEENS1_30default_config_static_selectorELNS0_4arch9wavefront6targetE0EEEvSY_
    .private_segment_fixed_size: 0
    .sgpr_count:     0
    .sgpr_spill_count: 0
    .symbol:         _ZN7rocprim17ROCPRIM_400000_NS6detail17trampoline_kernelINS0_13select_configILj256ELj13ELNS0_17block_load_methodE3ELS4_3ELS4_3ELNS0_20block_scan_algorithmE0ELj4294967295EEENS1_25partition_config_selectorILNS1_17partition_subalgoE3EjNS0_10empty_typeEbEEZZNS1_14partition_implILS8_3ELb0ES6_jNS0_17counting_iteratorIjlEEPS9_SE_NS0_5tupleIJPjSE_EEENSF_IJSE_SE_EEES9_SG_JZNS1_25segmented_radix_sort_implINS0_14default_configELb1EPKbPbPKlPlN2at6native12_GLOBAL__N_18offset_tEEE10hipError_tPvRmT1_PNSt15iterator_traitsISY_E10value_typeET2_T3_PNSZ_IS14_E10value_typeET4_jRbjT5_S1A_jjP12ihipStream_tbEUljE_EEESV_SW_SX_S14_S18_S1A_T6_T7_T9_mT8_S1C_bDpT10_ENKUlT_T0_E_clISt17integral_constantIbLb0EES1P_EEDaS1K_S1L_EUlS1K_E_NS1_11comp_targetILNS1_3genE4ELNS1_11target_archE910ELNS1_3gpuE8ELNS1_3repE0EEENS1_30default_config_static_selectorELNS0_4arch9wavefront6targetE0EEEvSY_.kd
    .uniform_work_group_size: 1
    .uses_dynamic_stack: false
    .vgpr_count:     0
    .vgpr_spill_count: 0
    .wavefront_size: 32
    .workgroup_processor_mode: 1
  - .args:
      - .offset:         0
        .size:           144
        .value_kind:     by_value
    .group_segment_fixed_size: 0
    .kernarg_segment_align: 8
    .kernarg_segment_size: 144
    .language:       OpenCL C
    .language_version:
      - 2
      - 0
    .max_flat_workgroup_size: 256
    .name:           _ZN7rocprim17ROCPRIM_400000_NS6detail17trampoline_kernelINS0_13select_configILj256ELj13ELNS0_17block_load_methodE3ELS4_3ELS4_3ELNS0_20block_scan_algorithmE0ELj4294967295EEENS1_25partition_config_selectorILNS1_17partition_subalgoE3EjNS0_10empty_typeEbEEZZNS1_14partition_implILS8_3ELb0ES6_jNS0_17counting_iteratorIjlEEPS9_SE_NS0_5tupleIJPjSE_EEENSF_IJSE_SE_EEES9_SG_JZNS1_25segmented_radix_sort_implINS0_14default_configELb1EPKbPbPKlPlN2at6native12_GLOBAL__N_18offset_tEEE10hipError_tPvRmT1_PNSt15iterator_traitsISY_E10value_typeET2_T3_PNSZ_IS14_E10value_typeET4_jRbjT5_S1A_jjP12ihipStream_tbEUljE_EEESV_SW_SX_S14_S18_S1A_T6_T7_T9_mT8_S1C_bDpT10_ENKUlT_T0_E_clISt17integral_constantIbLb0EES1P_EEDaS1K_S1L_EUlS1K_E_NS1_11comp_targetILNS1_3genE3ELNS1_11target_archE908ELNS1_3gpuE7ELNS1_3repE0EEENS1_30default_config_static_selectorELNS0_4arch9wavefront6targetE0EEEvSY_
    .private_segment_fixed_size: 0
    .sgpr_count:     0
    .sgpr_spill_count: 0
    .symbol:         _ZN7rocprim17ROCPRIM_400000_NS6detail17trampoline_kernelINS0_13select_configILj256ELj13ELNS0_17block_load_methodE3ELS4_3ELS4_3ELNS0_20block_scan_algorithmE0ELj4294967295EEENS1_25partition_config_selectorILNS1_17partition_subalgoE3EjNS0_10empty_typeEbEEZZNS1_14partition_implILS8_3ELb0ES6_jNS0_17counting_iteratorIjlEEPS9_SE_NS0_5tupleIJPjSE_EEENSF_IJSE_SE_EEES9_SG_JZNS1_25segmented_radix_sort_implINS0_14default_configELb1EPKbPbPKlPlN2at6native12_GLOBAL__N_18offset_tEEE10hipError_tPvRmT1_PNSt15iterator_traitsISY_E10value_typeET2_T3_PNSZ_IS14_E10value_typeET4_jRbjT5_S1A_jjP12ihipStream_tbEUljE_EEESV_SW_SX_S14_S18_S1A_T6_T7_T9_mT8_S1C_bDpT10_ENKUlT_T0_E_clISt17integral_constantIbLb0EES1P_EEDaS1K_S1L_EUlS1K_E_NS1_11comp_targetILNS1_3genE3ELNS1_11target_archE908ELNS1_3gpuE7ELNS1_3repE0EEENS1_30default_config_static_selectorELNS0_4arch9wavefront6targetE0EEEvSY_.kd
    .uniform_work_group_size: 1
    .uses_dynamic_stack: false
    .vgpr_count:     0
    .vgpr_spill_count: 0
    .wavefront_size: 32
    .workgroup_processor_mode: 1
  - .args:
      - .offset:         0
        .size:           144
        .value_kind:     by_value
    .group_segment_fixed_size: 0
    .kernarg_segment_align: 8
    .kernarg_segment_size: 144
    .language:       OpenCL C
    .language_version:
      - 2
      - 0
    .max_flat_workgroup_size: 256
    .name:           _ZN7rocprim17ROCPRIM_400000_NS6detail17trampoline_kernelINS0_13select_configILj256ELj13ELNS0_17block_load_methodE3ELS4_3ELS4_3ELNS0_20block_scan_algorithmE0ELj4294967295EEENS1_25partition_config_selectorILNS1_17partition_subalgoE3EjNS0_10empty_typeEbEEZZNS1_14partition_implILS8_3ELb0ES6_jNS0_17counting_iteratorIjlEEPS9_SE_NS0_5tupleIJPjSE_EEENSF_IJSE_SE_EEES9_SG_JZNS1_25segmented_radix_sort_implINS0_14default_configELb1EPKbPbPKlPlN2at6native12_GLOBAL__N_18offset_tEEE10hipError_tPvRmT1_PNSt15iterator_traitsISY_E10value_typeET2_T3_PNSZ_IS14_E10value_typeET4_jRbjT5_S1A_jjP12ihipStream_tbEUljE_EEESV_SW_SX_S14_S18_S1A_T6_T7_T9_mT8_S1C_bDpT10_ENKUlT_T0_E_clISt17integral_constantIbLb0EES1P_EEDaS1K_S1L_EUlS1K_E_NS1_11comp_targetILNS1_3genE2ELNS1_11target_archE906ELNS1_3gpuE6ELNS1_3repE0EEENS1_30default_config_static_selectorELNS0_4arch9wavefront6targetE0EEEvSY_
    .private_segment_fixed_size: 0
    .sgpr_count:     0
    .sgpr_spill_count: 0
    .symbol:         _ZN7rocprim17ROCPRIM_400000_NS6detail17trampoline_kernelINS0_13select_configILj256ELj13ELNS0_17block_load_methodE3ELS4_3ELS4_3ELNS0_20block_scan_algorithmE0ELj4294967295EEENS1_25partition_config_selectorILNS1_17partition_subalgoE3EjNS0_10empty_typeEbEEZZNS1_14partition_implILS8_3ELb0ES6_jNS0_17counting_iteratorIjlEEPS9_SE_NS0_5tupleIJPjSE_EEENSF_IJSE_SE_EEES9_SG_JZNS1_25segmented_radix_sort_implINS0_14default_configELb1EPKbPbPKlPlN2at6native12_GLOBAL__N_18offset_tEEE10hipError_tPvRmT1_PNSt15iterator_traitsISY_E10value_typeET2_T3_PNSZ_IS14_E10value_typeET4_jRbjT5_S1A_jjP12ihipStream_tbEUljE_EEESV_SW_SX_S14_S18_S1A_T6_T7_T9_mT8_S1C_bDpT10_ENKUlT_T0_E_clISt17integral_constantIbLb0EES1P_EEDaS1K_S1L_EUlS1K_E_NS1_11comp_targetILNS1_3genE2ELNS1_11target_archE906ELNS1_3gpuE6ELNS1_3repE0EEENS1_30default_config_static_selectorELNS0_4arch9wavefront6targetE0EEEvSY_.kd
    .uniform_work_group_size: 1
    .uses_dynamic_stack: false
    .vgpr_count:     0
    .vgpr_spill_count: 0
    .wavefront_size: 32
    .workgroup_processor_mode: 1
  - .args:
      - .offset:         0
        .size:           144
        .value_kind:     by_value
    .group_segment_fixed_size: 0
    .kernarg_segment_align: 8
    .kernarg_segment_size: 144
    .language:       OpenCL C
    .language_version:
      - 2
      - 0
    .max_flat_workgroup_size: 256
    .name:           _ZN7rocprim17ROCPRIM_400000_NS6detail17trampoline_kernelINS0_13select_configILj256ELj13ELNS0_17block_load_methodE3ELS4_3ELS4_3ELNS0_20block_scan_algorithmE0ELj4294967295EEENS1_25partition_config_selectorILNS1_17partition_subalgoE3EjNS0_10empty_typeEbEEZZNS1_14partition_implILS8_3ELb0ES6_jNS0_17counting_iteratorIjlEEPS9_SE_NS0_5tupleIJPjSE_EEENSF_IJSE_SE_EEES9_SG_JZNS1_25segmented_radix_sort_implINS0_14default_configELb1EPKbPbPKlPlN2at6native12_GLOBAL__N_18offset_tEEE10hipError_tPvRmT1_PNSt15iterator_traitsISY_E10value_typeET2_T3_PNSZ_IS14_E10value_typeET4_jRbjT5_S1A_jjP12ihipStream_tbEUljE_EEESV_SW_SX_S14_S18_S1A_T6_T7_T9_mT8_S1C_bDpT10_ENKUlT_T0_E_clISt17integral_constantIbLb0EES1P_EEDaS1K_S1L_EUlS1K_E_NS1_11comp_targetILNS1_3genE10ELNS1_11target_archE1200ELNS1_3gpuE4ELNS1_3repE0EEENS1_30default_config_static_selectorELNS0_4arch9wavefront6targetE0EEEvSY_
    .private_segment_fixed_size: 0
    .sgpr_count:     0
    .sgpr_spill_count: 0
    .symbol:         _ZN7rocprim17ROCPRIM_400000_NS6detail17trampoline_kernelINS0_13select_configILj256ELj13ELNS0_17block_load_methodE3ELS4_3ELS4_3ELNS0_20block_scan_algorithmE0ELj4294967295EEENS1_25partition_config_selectorILNS1_17partition_subalgoE3EjNS0_10empty_typeEbEEZZNS1_14partition_implILS8_3ELb0ES6_jNS0_17counting_iteratorIjlEEPS9_SE_NS0_5tupleIJPjSE_EEENSF_IJSE_SE_EEES9_SG_JZNS1_25segmented_radix_sort_implINS0_14default_configELb1EPKbPbPKlPlN2at6native12_GLOBAL__N_18offset_tEEE10hipError_tPvRmT1_PNSt15iterator_traitsISY_E10value_typeET2_T3_PNSZ_IS14_E10value_typeET4_jRbjT5_S1A_jjP12ihipStream_tbEUljE_EEESV_SW_SX_S14_S18_S1A_T6_T7_T9_mT8_S1C_bDpT10_ENKUlT_T0_E_clISt17integral_constantIbLb0EES1P_EEDaS1K_S1L_EUlS1K_E_NS1_11comp_targetILNS1_3genE10ELNS1_11target_archE1200ELNS1_3gpuE4ELNS1_3repE0EEENS1_30default_config_static_selectorELNS0_4arch9wavefront6targetE0EEEvSY_.kd
    .uniform_work_group_size: 1
    .uses_dynamic_stack: false
    .vgpr_count:     0
    .vgpr_spill_count: 0
    .wavefront_size: 32
    .workgroup_processor_mode: 1
  - .args:
      - .offset:         0
        .size:           144
        .value_kind:     by_value
    .group_segment_fixed_size: 13324
    .kernarg_segment_align: 8
    .kernarg_segment_size: 144
    .language:       OpenCL C
    .language_version:
      - 2
      - 0
    .max_flat_workgroup_size: 256
    .name:           _ZN7rocprim17ROCPRIM_400000_NS6detail17trampoline_kernelINS0_13select_configILj256ELj13ELNS0_17block_load_methodE3ELS4_3ELS4_3ELNS0_20block_scan_algorithmE0ELj4294967295EEENS1_25partition_config_selectorILNS1_17partition_subalgoE3EjNS0_10empty_typeEbEEZZNS1_14partition_implILS8_3ELb0ES6_jNS0_17counting_iteratorIjlEEPS9_SE_NS0_5tupleIJPjSE_EEENSF_IJSE_SE_EEES9_SG_JZNS1_25segmented_radix_sort_implINS0_14default_configELb1EPKbPbPKlPlN2at6native12_GLOBAL__N_18offset_tEEE10hipError_tPvRmT1_PNSt15iterator_traitsISY_E10value_typeET2_T3_PNSZ_IS14_E10value_typeET4_jRbjT5_S1A_jjP12ihipStream_tbEUljE_EEESV_SW_SX_S14_S18_S1A_T6_T7_T9_mT8_S1C_bDpT10_ENKUlT_T0_E_clISt17integral_constantIbLb0EES1P_EEDaS1K_S1L_EUlS1K_E_NS1_11comp_targetILNS1_3genE9ELNS1_11target_archE1100ELNS1_3gpuE3ELNS1_3repE0EEENS1_30default_config_static_selectorELNS0_4arch9wavefront6targetE0EEEvSY_
    .private_segment_fixed_size: 0
    .sgpr_count:     30
    .sgpr_spill_count: 0
    .symbol:         _ZN7rocprim17ROCPRIM_400000_NS6detail17trampoline_kernelINS0_13select_configILj256ELj13ELNS0_17block_load_methodE3ELS4_3ELS4_3ELNS0_20block_scan_algorithmE0ELj4294967295EEENS1_25partition_config_selectorILNS1_17partition_subalgoE3EjNS0_10empty_typeEbEEZZNS1_14partition_implILS8_3ELb0ES6_jNS0_17counting_iteratorIjlEEPS9_SE_NS0_5tupleIJPjSE_EEENSF_IJSE_SE_EEES9_SG_JZNS1_25segmented_radix_sort_implINS0_14default_configELb1EPKbPbPKlPlN2at6native12_GLOBAL__N_18offset_tEEE10hipError_tPvRmT1_PNSt15iterator_traitsISY_E10value_typeET2_T3_PNSZ_IS14_E10value_typeET4_jRbjT5_S1A_jjP12ihipStream_tbEUljE_EEESV_SW_SX_S14_S18_S1A_T6_T7_T9_mT8_S1C_bDpT10_ENKUlT_T0_E_clISt17integral_constantIbLb0EES1P_EEDaS1K_S1L_EUlS1K_E_NS1_11comp_targetILNS1_3genE9ELNS1_11target_archE1100ELNS1_3gpuE3ELNS1_3repE0EEENS1_30default_config_static_selectorELNS0_4arch9wavefront6targetE0EEEvSY_.kd
    .uniform_work_group_size: 1
    .uses_dynamic_stack: false
    .vgpr_count:     57
    .vgpr_spill_count: 0
    .wavefront_size: 32
    .workgroup_processor_mode: 1
  - .args:
      - .offset:         0
        .size:           144
        .value_kind:     by_value
    .group_segment_fixed_size: 0
    .kernarg_segment_align: 8
    .kernarg_segment_size: 144
    .language:       OpenCL C
    .language_version:
      - 2
      - 0
    .max_flat_workgroup_size: 256
    .name:           _ZN7rocprim17ROCPRIM_400000_NS6detail17trampoline_kernelINS0_13select_configILj256ELj13ELNS0_17block_load_methodE3ELS4_3ELS4_3ELNS0_20block_scan_algorithmE0ELj4294967295EEENS1_25partition_config_selectorILNS1_17partition_subalgoE3EjNS0_10empty_typeEbEEZZNS1_14partition_implILS8_3ELb0ES6_jNS0_17counting_iteratorIjlEEPS9_SE_NS0_5tupleIJPjSE_EEENSF_IJSE_SE_EEES9_SG_JZNS1_25segmented_radix_sort_implINS0_14default_configELb1EPKbPbPKlPlN2at6native12_GLOBAL__N_18offset_tEEE10hipError_tPvRmT1_PNSt15iterator_traitsISY_E10value_typeET2_T3_PNSZ_IS14_E10value_typeET4_jRbjT5_S1A_jjP12ihipStream_tbEUljE_EEESV_SW_SX_S14_S18_S1A_T6_T7_T9_mT8_S1C_bDpT10_ENKUlT_T0_E_clISt17integral_constantIbLb0EES1P_EEDaS1K_S1L_EUlS1K_E_NS1_11comp_targetILNS1_3genE8ELNS1_11target_archE1030ELNS1_3gpuE2ELNS1_3repE0EEENS1_30default_config_static_selectorELNS0_4arch9wavefront6targetE0EEEvSY_
    .private_segment_fixed_size: 0
    .sgpr_count:     0
    .sgpr_spill_count: 0
    .symbol:         _ZN7rocprim17ROCPRIM_400000_NS6detail17trampoline_kernelINS0_13select_configILj256ELj13ELNS0_17block_load_methodE3ELS4_3ELS4_3ELNS0_20block_scan_algorithmE0ELj4294967295EEENS1_25partition_config_selectorILNS1_17partition_subalgoE3EjNS0_10empty_typeEbEEZZNS1_14partition_implILS8_3ELb0ES6_jNS0_17counting_iteratorIjlEEPS9_SE_NS0_5tupleIJPjSE_EEENSF_IJSE_SE_EEES9_SG_JZNS1_25segmented_radix_sort_implINS0_14default_configELb1EPKbPbPKlPlN2at6native12_GLOBAL__N_18offset_tEEE10hipError_tPvRmT1_PNSt15iterator_traitsISY_E10value_typeET2_T3_PNSZ_IS14_E10value_typeET4_jRbjT5_S1A_jjP12ihipStream_tbEUljE_EEESV_SW_SX_S14_S18_S1A_T6_T7_T9_mT8_S1C_bDpT10_ENKUlT_T0_E_clISt17integral_constantIbLb0EES1P_EEDaS1K_S1L_EUlS1K_E_NS1_11comp_targetILNS1_3genE8ELNS1_11target_archE1030ELNS1_3gpuE2ELNS1_3repE0EEENS1_30default_config_static_selectorELNS0_4arch9wavefront6targetE0EEEvSY_.kd
    .uniform_work_group_size: 1
    .uses_dynamic_stack: false
    .vgpr_count:     0
    .vgpr_spill_count: 0
    .wavefront_size: 32
    .workgroup_processor_mode: 1
  - .args:
      - .offset:         0
        .size:           152
        .value_kind:     by_value
    .group_segment_fixed_size: 0
    .kernarg_segment_align: 8
    .kernarg_segment_size: 152
    .language:       OpenCL C
    .language_version:
      - 2
      - 0
    .max_flat_workgroup_size: 256
    .name:           _ZN7rocprim17ROCPRIM_400000_NS6detail17trampoline_kernelINS0_13select_configILj256ELj13ELNS0_17block_load_methodE3ELS4_3ELS4_3ELNS0_20block_scan_algorithmE0ELj4294967295EEENS1_25partition_config_selectorILNS1_17partition_subalgoE3EjNS0_10empty_typeEbEEZZNS1_14partition_implILS8_3ELb0ES6_jNS0_17counting_iteratorIjlEEPS9_SE_NS0_5tupleIJPjSE_EEENSF_IJSE_SE_EEES9_SG_JZNS1_25segmented_radix_sort_implINS0_14default_configELb1EPKbPbPKlPlN2at6native12_GLOBAL__N_18offset_tEEE10hipError_tPvRmT1_PNSt15iterator_traitsISY_E10value_typeET2_T3_PNSZ_IS14_E10value_typeET4_jRbjT5_S1A_jjP12ihipStream_tbEUljE_EEESV_SW_SX_S14_S18_S1A_T6_T7_T9_mT8_S1C_bDpT10_ENKUlT_T0_E_clISt17integral_constantIbLb1EES1P_EEDaS1K_S1L_EUlS1K_E_NS1_11comp_targetILNS1_3genE0ELNS1_11target_archE4294967295ELNS1_3gpuE0ELNS1_3repE0EEENS1_30default_config_static_selectorELNS0_4arch9wavefront6targetE0EEEvSY_
    .private_segment_fixed_size: 0
    .sgpr_count:     0
    .sgpr_spill_count: 0
    .symbol:         _ZN7rocprim17ROCPRIM_400000_NS6detail17trampoline_kernelINS0_13select_configILj256ELj13ELNS0_17block_load_methodE3ELS4_3ELS4_3ELNS0_20block_scan_algorithmE0ELj4294967295EEENS1_25partition_config_selectorILNS1_17partition_subalgoE3EjNS0_10empty_typeEbEEZZNS1_14partition_implILS8_3ELb0ES6_jNS0_17counting_iteratorIjlEEPS9_SE_NS0_5tupleIJPjSE_EEENSF_IJSE_SE_EEES9_SG_JZNS1_25segmented_radix_sort_implINS0_14default_configELb1EPKbPbPKlPlN2at6native12_GLOBAL__N_18offset_tEEE10hipError_tPvRmT1_PNSt15iterator_traitsISY_E10value_typeET2_T3_PNSZ_IS14_E10value_typeET4_jRbjT5_S1A_jjP12ihipStream_tbEUljE_EEESV_SW_SX_S14_S18_S1A_T6_T7_T9_mT8_S1C_bDpT10_ENKUlT_T0_E_clISt17integral_constantIbLb1EES1P_EEDaS1K_S1L_EUlS1K_E_NS1_11comp_targetILNS1_3genE0ELNS1_11target_archE4294967295ELNS1_3gpuE0ELNS1_3repE0EEENS1_30default_config_static_selectorELNS0_4arch9wavefront6targetE0EEEvSY_.kd
    .uniform_work_group_size: 1
    .uses_dynamic_stack: false
    .vgpr_count:     0
    .vgpr_spill_count: 0
    .wavefront_size: 32
    .workgroup_processor_mode: 1
  - .args:
      - .offset:         0
        .size:           152
        .value_kind:     by_value
    .group_segment_fixed_size: 0
    .kernarg_segment_align: 8
    .kernarg_segment_size: 152
    .language:       OpenCL C
    .language_version:
      - 2
      - 0
    .max_flat_workgroup_size: 256
    .name:           _ZN7rocprim17ROCPRIM_400000_NS6detail17trampoline_kernelINS0_13select_configILj256ELj13ELNS0_17block_load_methodE3ELS4_3ELS4_3ELNS0_20block_scan_algorithmE0ELj4294967295EEENS1_25partition_config_selectorILNS1_17partition_subalgoE3EjNS0_10empty_typeEbEEZZNS1_14partition_implILS8_3ELb0ES6_jNS0_17counting_iteratorIjlEEPS9_SE_NS0_5tupleIJPjSE_EEENSF_IJSE_SE_EEES9_SG_JZNS1_25segmented_radix_sort_implINS0_14default_configELb1EPKbPbPKlPlN2at6native12_GLOBAL__N_18offset_tEEE10hipError_tPvRmT1_PNSt15iterator_traitsISY_E10value_typeET2_T3_PNSZ_IS14_E10value_typeET4_jRbjT5_S1A_jjP12ihipStream_tbEUljE_EEESV_SW_SX_S14_S18_S1A_T6_T7_T9_mT8_S1C_bDpT10_ENKUlT_T0_E_clISt17integral_constantIbLb1EES1P_EEDaS1K_S1L_EUlS1K_E_NS1_11comp_targetILNS1_3genE5ELNS1_11target_archE942ELNS1_3gpuE9ELNS1_3repE0EEENS1_30default_config_static_selectorELNS0_4arch9wavefront6targetE0EEEvSY_
    .private_segment_fixed_size: 0
    .sgpr_count:     0
    .sgpr_spill_count: 0
    .symbol:         _ZN7rocprim17ROCPRIM_400000_NS6detail17trampoline_kernelINS0_13select_configILj256ELj13ELNS0_17block_load_methodE3ELS4_3ELS4_3ELNS0_20block_scan_algorithmE0ELj4294967295EEENS1_25partition_config_selectorILNS1_17partition_subalgoE3EjNS0_10empty_typeEbEEZZNS1_14partition_implILS8_3ELb0ES6_jNS0_17counting_iteratorIjlEEPS9_SE_NS0_5tupleIJPjSE_EEENSF_IJSE_SE_EEES9_SG_JZNS1_25segmented_radix_sort_implINS0_14default_configELb1EPKbPbPKlPlN2at6native12_GLOBAL__N_18offset_tEEE10hipError_tPvRmT1_PNSt15iterator_traitsISY_E10value_typeET2_T3_PNSZ_IS14_E10value_typeET4_jRbjT5_S1A_jjP12ihipStream_tbEUljE_EEESV_SW_SX_S14_S18_S1A_T6_T7_T9_mT8_S1C_bDpT10_ENKUlT_T0_E_clISt17integral_constantIbLb1EES1P_EEDaS1K_S1L_EUlS1K_E_NS1_11comp_targetILNS1_3genE5ELNS1_11target_archE942ELNS1_3gpuE9ELNS1_3repE0EEENS1_30default_config_static_selectorELNS0_4arch9wavefront6targetE0EEEvSY_.kd
    .uniform_work_group_size: 1
    .uses_dynamic_stack: false
    .vgpr_count:     0
    .vgpr_spill_count: 0
    .wavefront_size: 32
    .workgroup_processor_mode: 1
  - .args:
      - .offset:         0
        .size:           152
        .value_kind:     by_value
    .group_segment_fixed_size: 0
    .kernarg_segment_align: 8
    .kernarg_segment_size: 152
    .language:       OpenCL C
    .language_version:
      - 2
      - 0
    .max_flat_workgroup_size: 256
    .name:           _ZN7rocprim17ROCPRIM_400000_NS6detail17trampoline_kernelINS0_13select_configILj256ELj13ELNS0_17block_load_methodE3ELS4_3ELS4_3ELNS0_20block_scan_algorithmE0ELj4294967295EEENS1_25partition_config_selectorILNS1_17partition_subalgoE3EjNS0_10empty_typeEbEEZZNS1_14partition_implILS8_3ELb0ES6_jNS0_17counting_iteratorIjlEEPS9_SE_NS0_5tupleIJPjSE_EEENSF_IJSE_SE_EEES9_SG_JZNS1_25segmented_radix_sort_implINS0_14default_configELb1EPKbPbPKlPlN2at6native12_GLOBAL__N_18offset_tEEE10hipError_tPvRmT1_PNSt15iterator_traitsISY_E10value_typeET2_T3_PNSZ_IS14_E10value_typeET4_jRbjT5_S1A_jjP12ihipStream_tbEUljE_EEESV_SW_SX_S14_S18_S1A_T6_T7_T9_mT8_S1C_bDpT10_ENKUlT_T0_E_clISt17integral_constantIbLb1EES1P_EEDaS1K_S1L_EUlS1K_E_NS1_11comp_targetILNS1_3genE4ELNS1_11target_archE910ELNS1_3gpuE8ELNS1_3repE0EEENS1_30default_config_static_selectorELNS0_4arch9wavefront6targetE0EEEvSY_
    .private_segment_fixed_size: 0
    .sgpr_count:     0
    .sgpr_spill_count: 0
    .symbol:         _ZN7rocprim17ROCPRIM_400000_NS6detail17trampoline_kernelINS0_13select_configILj256ELj13ELNS0_17block_load_methodE3ELS4_3ELS4_3ELNS0_20block_scan_algorithmE0ELj4294967295EEENS1_25partition_config_selectorILNS1_17partition_subalgoE3EjNS0_10empty_typeEbEEZZNS1_14partition_implILS8_3ELb0ES6_jNS0_17counting_iteratorIjlEEPS9_SE_NS0_5tupleIJPjSE_EEENSF_IJSE_SE_EEES9_SG_JZNS1_25segmented_radix_sort_implINS0_14default_configELb1EPKbPbPKlPlN2at6native12_GLOBAL__N_18offset_tEEE10hipError_tPvRmT1_PNSt15iterator_traitsISY_E10value_typeET2_T3_PNSZ_IS14_E10value_typeET4_jRbjT5_S1A_jjP12ihipStream_tbEUljE_EEESV_SW_SX_S14_S18_S1A_T6_T7_T9_mT8_S1C_bDpT10_ENKUlT_T0_E_clISt17integral_constantIbLb1EES1P_EEDaS1K_S1L_EUlS1K_E_NS1_11comp_targetILNS1_3genE4ELNS1_11target_archE910ELNS1_3gpuE8ELNS1_3repE0EEENS1_30default_config_static_selectorELNS0_4arch9wavefront6targetE0EEEvSY_.kd
    .uniform_work_group_size: 1
    .uses_dynamic_stack: false
    .vgpr_count:     0
    .vgpr_spill_count: 0
    .wavefront_size: 32
    .workgroup_processor_mode: 1
  - .args:
      - .offset:         0
        .size:           152
        .value_kind:     by_value
    .group_segment_fixed_size: 0
    .kernarg_segment_align: 8
    .kernarg_segment_size: 152
    .language:       OpenCL C
    .language_version:
      - 2
      - 0
    .max_flat_workgroup_size: 256
    .name:           _ZN7rocprim17ROCPRIM_400000_NS6detail17trampoline_kernelINS0_13select_configILj256ELj13ELNS0_17block_load_methodE3ELS4_3ELS4_3ELNS0_20block_scan_algorithmE0ELj4294967295EEENS1_25partition_config_selectorILNS1_17partition_subalgoE3EjNS0_10empty_typeEbEEZZNS1_14partition_implILS8_3ELb0ES6_jNS0_17counting_iteratorIjlEEPS9_SE_NS0_5tupleIJPjSE_EEENSF_IJSE_SE_EEES9_SG_JZNS1_25segmented_radix_sort_implINS0_14default_configELb1EPKbPbPKlPlN2at6native12_GLOBAL__N_18offset_tEEE10hipError_tPvRmT1_PNSt15iterator_traitsISY_E10value_typeET2_T3_PNSZ_IS14_E10value_typeET4_jRbjT5_S1A_jjP12ihipStream_tbEUljE_EEESV_SW_SX_S14_S18_S1A_T6_T7_T9_mT8_S1C_bDpT10_ENKUlT_T0_E_clISt17integral_constantIbLb1EES1P_EEDaS1K_S1L_EUlS1K_E_NS1_11comp_targetILNS1_3genE3ELNS1_11target_archE908ELNS1_3gpuE7ELNS1_3repE0EEENS1_30default_config_static_selectorELNS0_4arch9wavefront6targetE0EEEvSY_
    .private_segment_fixed_size: 0
    .sgpr_count:     0
    .sgpr_spill_count: 0
    .symbol:         _ZN7rocprim17ROCPRIM_400000_NS6detail17trampoline_kernelINS0_13select_configILj256ELj13ELNS0_17block_load_methodE3ELS4_3ELS4_3ELNS0_20block_scan_algorithmE0ELj4294967295EEENS1_25partition_config_selectorILNS1_17partition_subalgoE3EjNS0_10empty_typeEbEEZZNS1_14partition_implILS8_3ELb0ES6_jNS0_17counting_iteratorIjlEEPS9_SE_NS0_5tupleIJPjSE_EEENSF_IJSE_SE_EEES9_SG_JZNS1_25segmented_radix_sort_implINS0_14default_configELb1EPKbPbPKlPlN2at6native12_GLOBAL__N_18offset_tEEE10hipError_tPvRmT1_PNSt15iterator_traitsISY_E10value_typeET2_T3_PNSZ_IS14_E10value_typeET4_jRbjT5_S1A_jjP12ihipStream_tbEUljE_EEESV_SW_SX_S14_S18_S1A_T6_T7_T9_mT8_S1C_bDpT10_ENKUlT_T0_E_clISt17integral_constantIbLb1EES1P_EEDaS1K_S1L_EUlS1K_E_NS1_11comp_targetILNS1_3genE3ELNS1_11target_archE908ELNS1_3gpuE7ELNS1_3repE0EEENS1_30default_config_static_selectorELNS0_4arch9wavefront6targetE0EEEvSY_.kd
    .uniform_work_group_size: 1
    .uses_dynamic_stack: false
    .vgpr_count:     0
    .vgpr_spill_count: 0
    .wavefront_size: 32
    .workgroup_processor_mode: 1
  - .args:
      - .offset:         0
        .size:           152
        .value_kind:     by_value
    .group_segment_fixed_size: 0
    .kernarg_segment_align: 8
    .kernarg_segment_size: 152
    .language:       OpenCL C
    .language_version:
      - 2
      - 0
    .max_flat_workgroup_size: 256
    .name:           _ZN7rocprim17ROCPRIM_400000_NS6detail17trampoline_kernelINS0_13select_configILj256ELj13ELNS0_17block_load_methodE3ELS4_3ELS4_3ELNS0_20block_scan_algorithmE0ELj4294967295EEENS1_25partition_config_selectorILNS1_17partition_subalgoE3EjNS0_10empty_typeEbEEZZNS1_14partition_implILS8_3ELb0ES6_jNS0_17counting_iteratorIjlEEPS9_SE_NS0_5tupleIJPjSE_EEENSF_IJSE_SE_EEES9_SG_JZNS1_25segmented_radix_sort_implINS0_14default_configELb1EPKbPbPKlPlN2at6native12_GLOBAL__N_18offset_tEEE10hipError_tPvRmT1_PNSt15iterator_traitsISY_E10value_typeET2_T3_PNSZ_IS14_E10value_typeET4_jRbjT5_S1A_jjP12ihipStream_tbEUljE_EEESV_SW_SX_S14_S18_S1A_T6_T7_T9_mT8_S1C_bDpT10_ENKUlT_T0_E_clISt17integral_constantIbLb1EES1P_EEDaS1K_S1L_EUlS1K_E_NS1_11comp_targetILNS1_3genE2ELNS1_11target_archE906ELNS1_3gpuE6ELNS1_3repE0EEENS1_30default_config_static_selectorELNS0_4arch9wavefront6targetE0EEEvSY_
    .private_segment_fixed_size: 0
    .sgpr_count:     0
    .sgpr_spill_count: 0
    .symbol:         _ZN7rocprim17ROCPRIM_400000_NS6detail17trampoline_kernelINS0_13select_configILj256ELj13ELNS0_17block_load_methodE3ELS4_3ELS4_3ELNS0_20block_scan_algorithmE0ELj4294967295EEENS1_25partition_config_selectorILNS1_17partition_subalgoE3EjNS0_10empty_typeEbEEZZNS1_14partition_implILS8_3ELb0ES6_jNS0_17counting_iteratorIjlEEPS9_SE_NS0_5tupleIJPjSE_EEENSF_IJSE_SE_EEES9_SG_JZNS1_25segmented_radix_sort_implINS0_14default_configELb1EPKbPbPKlPlN2at6native12_GLOBAL__N_18offset_tEEE10hipError_tPvRmT1_PNSt15iterator_traitsISY_E10value_typeET2_T3_PNSZ_IS14_E10value_typeET4_jRbjT5_S1A_jjP12ihipStream_tbEUljE_EEESV_SW_SX_S14_S18_S1A_T6_T7_T9_mT8_S1C_bDpT10_ENKUlT_T0_E_clISt17integral_constantIbLb1EES1P_EEDaS1K_S1L_EUlS1K_E_NS1_11comp_targetILNS1_3genE2ELNS1_11target_archE906ELNS1_3gpuE6ELNS1_3repE0EEENS1_30default_config_static_selectorELNS0_4arch9wavefront6targetE0EEEvSY_.kd
    .uniform_work_group_size: 1
    .uses_dynamic_stack: false
    .vgpr_count:     0
    .vgpr_spill_count: 0
    .wavefront_size: 32
    .workgroup_processor_mode: 1
  - .args:
      - .offset:         0
        .size:           152
        .value_kind:     by_value
    .group_segment_fixed_size: 0
    .kernarg_segment_align: 8
    .kernarg_segment_size: 152
    .language:       OpenCL C
    .language_version:
      - 2
      - 0
    .max_flat_workgroup_size: 256
    .name:           _ZN7rocprim17ROCPRIM_400000_NS6detail17trampoline_kernelINS0_13select_configILj256ELj13ELNS0_17block_load_methodE3ELS4_3ELS4_3ELNS0_20block_scan_algorithmE0ELj4294967295EEENS1_25partition_config_selectorILNS1_17partition_subalgoE3EjNS0_10empty_typeEbEEZZNS1_14partition_implILS8_3ELb0ES6_jNS0_17counting_iteratorIjlEEPS9_SE_NS0_5tupleIJPjSE_EEENSF_IJSE_SE_EEES9_SG_JZNS1_25segmented_radix_sort_implINS0_14default_configELb1EPKbPbPKlPlN2at6native12_GLOBAL__N_18offset_tEEE10hipError_tPvRmT1_PNSt15iterator_traitsISY_E10value_typeET2_T3_PNSZ_IS14_E10value_typeET4_jRbjT5_S1A_jjP12ihipStream_tbEUljE_EEESV_SW_SX_S14_S18_S1A_T6_T7_T9_mT8_S1C_bDpT10_ENKUlT_T0_E_clISt17integral_constantIbLb1EES1P_EEDaS1K_S1L_EUlS1K_E_NS1_11comp_targetILNS1_3genE10ELNS1_11target_archE1200ELNS1_3gpuE4ELNS1_3repE0EEENS1_30default_config_static_selectorELNS0_4arch9wavefront6targetE0EEEvSY_
    .private_segment_fixed_size: 0
    .sgpr_count:     0
    .sgpr_spill_count: 0
    .symbol:         _ZN7rocprim17ROCPRIM_400000_NS6detail17trampoline_kernelINS0_13select_configILj256ELj13ELNS0_17block_load_methodE3ELS4_3ELS4_3ELNS0_20block_scan_algorithmE0ELj4294967295EEENS1_25partition_config_selectorILNS1_17partition_subalgoE3EjNS0_10empty_typeEbEEZZNS1_14partition_implILS8_3ELb0ES6_jNS0_17counting_iteratorIjlEEPS9_SE_NS0_5tupleIJPjSE_EEENSF_IJSE_SE_EEES9_SG_JZNS1_25segmented_radix_sort_implINS0_14default_configELb1EPKbPbPKlPlN2at6native12_GLOBAL__N_18offset_tEEE10hipError_tPvRmT1_PNSt15iterator_traitsISY_E10value_typeET2_T3_PNSZ_IS14_E10value_typeET4_jRbjT5_S1A_jjP12ihipStream_tbEUljE_EEESV_SW_SX_S14_S18_S1A_T6_T7_T9_mT8_S1C_bDpT10_ENKUlT_T0_E_clISt17integral_constantIbLb1EES1P_EEDaS1K_S1L_EUlS1K_E_NS1_11comp_targetILNS1_3genE10ELNS1_11target_archE1200ELNS1_3gpuE4ELNS1_3repE0EEENS1_30default_config_static_selectorELNS0_4arch9wavefront6targetE0EEEvSY_.kd
    .uniform_work_group_size: 1
    .uses_dynamic_stack: false
    .vgpr_count:     0
    .vgpr_spill_count: 0
    .wavefront_size: 32
    .workgroup_processor_mode: 1
  - .args:
      - .offset:         0
        .size:           152
        .value_kind:     by_value
    .group_segment_fixed_size: 13324
    .kernarg_segment_align: 8
    .kernarg_segment_size: 152
    .language:       OpenCL C
    .language_version:
      - 2
      - 0
    .max_flat_workgroup_size: 256
    .name:           _ZN7rocprim17ROCPRIM_400000_NS6detail17trampoline_kernelINS0_13select_configILj256ELj13ELNS0_17block_load_methodE3ELS4_3ELS4_3ELNS0_20block_scan_algorithmE0ELj4294967295EEENS1_25partition_config_selectorILNS1_17partition_subalgoE3EjNS0_10empty_typeEbEEZZNS1_14partition_implILS8_3ELb0ES6_jNS0_17counting_iteratorIjlEEPS9_SE_NS0_5tupleIJPjSE_EEENSF_IJSE_SE_EEES9_SG_JZNS1_25segmented_radix_sort_implINS0_14default_configELb1EPKbPbPKlPlN2at6native12_GLOBAL__N_18offset_tEEE10hipError_tPvRmT1_PNSt15iterator_traitsISY_E10value_typeET2_T3_PNSZ_IS14_E10value_typeET4_jRbjT5_S1A_jjP12ihipStream_tbEUljE_EEESV_SW_SX_S14_S18_S1A_T6_T7_T9_mT8_S1C_bDpT10_ENKUlT_T0_E_clISt17integral_constantIbLb1EES1P_EEDaS1K_S1L_EUlS1K_E_NS1_11comp_targetILNS1_3genE9ELNS1_11target_archE1100ELNS1_3gpuE3ELNS1_3repE0EEENS1_30default_config_static_selectorELNS0_4arch9wavefront6targetE0EEEvSY_
    .private_segment_fixed_size: 0
    .sgpr_count:     28
    .sgpr_spill_count: 0
    .symbol:         _ZN7rocprim17ROCPRIM_400000_NS6detail17trampoline_kernelINS0_13select_configILj256ELj13ELNS0_17block_load_methodE3ELS4_3ELS4_3ELNS0_20block_scan_algorithmE0ELj4294967295EEENS1_25partition_config_selectorILNS1_17partition_subalgoE3EjNS0_10empty_typeEbEEZZNS1_14partition_implILS8_3ELb0ES6_jNS0_17counting_iteratorIjlEEPS9_SE_NS0_5tupleIJPjSE_EEENSF_IJSE_SE_EEES9_SG_JZNS1_25segmented_radix_sort_implINS0_14default_configELb1EPKbPbPKlPlN2at6native12_GLOBAL__N_18offset_tEEE10hipError_tPvRmT1_PNSt15iterator_traitsISY_E10value_typeET2_T3_PNSZ_IS14_E10value_typeET4_jRbjT5_S1A_jjP12ihipStream_tbEUljE_EEESV_SW_SX_S14_S18_S1A_T6_T7_T9_mT8_S1C_bDpT10_ENKUlT_T0_E_clISt17integral_constantIbLb1EES1P_EEDaS1K_S1L_EUlS1K_E_NS1_11comp_targetILNS1_3genE9ELNS1_11target_archE1100ELNS1_3gpuE3ELNS1_3repE0EEENS1_30default_config_static_selectorELNS0_4arch9wavefront6targetE0EEEvSY_.kd
    .uniform_work_group_size: 1
    .uses_dynamic_stack: false
    .vgpr_count:     60
    .vgpr_spill_count: 0
    .wavefront_size: 32
    .workgroup_processor_mode: 1
  - .args:
      - .offset:         0
        .size:           152
        .value_kind:     by_value
    .group_segment_fixed_size: 0
    .kernarg_segment_align: 8
    .kernarg_segment_size: 152
    .language:       OpenCL C
    .language_version:
      - 2
      - 0
    .max_flat_workgroup_size: 256
    .name:           _ZN7rocprim17ROCPRIM_400000_NS6detail17trampoline_kernelINS0_13select_configILj256ELj13ELNS0_17block_load_methodE3ELS4_3ELS4_3ELNS0_20block_scan_algorithmE0ELj4294967295EEENS1_25partition_config_selectorILNS1_17partition_subalgoE3EjNS0_10empty_typeEbEEZZNS1_14partition_implILS8_3ELb0ES6_jNS0_17counting_iteratorIjlEEPS9_SE_NS0_5tupleIJPjSE_EEENSF_IJSE_SE_EEES9_SG_JZNS1_25segmented_radix_sort_implINS0_14default_configELb1EPKbPbPKlPlN2at6native12_GLOBAL__N_18offset_tEEE10hipError_tPvRmT1_PNSt15iterator_traitsISY_E10value_typeET2_T3_PNSZ_IS14_E10value_typeET4_jRbjT5_S1A_jjP12ihipStream_tbEUljE_EEESV_SW_SX_S14_S18_S1A_T6_T7_T9_mT8_S1C_bDpT10_ENKUlT_T0_E_clISt17integral_constantIbLb1EES1P_EEDaS1K_S1L_EUlS1K_E_NS1_11comp_targetILNS1_3genE8ELNS1_11target_archE1030ELNS1_3gpuE2ELNS1_3repE0EEENS1_30default_config_static_selectorELNS0_4arch9wavefront6targetE0EEEvSY_
    .private_segment_fixed_size: 0
    .sgpr_count:     0
    .sgpr_spill_count: 0
    .symbol:         _ZN7rocprim17ROCPRIM_400000_NS6detail17trampoline_kernelINS0_13select_configILj256ELj13ELNS0_17block_load_methodE3ELS4_3ELS4_3ELNS0_20block_scan_algorithmE0ELj4294967295EEENS1_25partition_config_selectorILNS1_17partition_subalgoE3EjNS0_10empty_typeEbEEZZNS1_14partition_implILS8_3ELb0ES6_jNS0_17counting_iteratorIjlEEPS9_SE_NS0_5tupleIJPjSE_EEENSF_IJSE_SE_EEES9_SG_JZNS1_25segmented_radix_sort_implINS0_14default_configELb1EPKbPbPKlPlN2at6native12_GLOBAL__N_18offset_tEEE10hipError_tPvRmT1_PNSt15iterator_traitsISY_E10value_typeET2_T3_PNSZ_IS14_E10value_typeET4_jRbjT5_S1A_jjP12ihipStream_tbEUljE_EEESV_SW_SX_S14_S18_S1A_T6_T7_T9_mT8_S1C_bDpT10_ENKUlT_T0_E_clISt17integral_constantIbLb1EES1P_EEDaS1K_S1L_EUlS1K_E_NS1_11comp_targetILNS1_3genE8ELNS1_11target_archE1030ELNS1_3gpuE2ELNS1_3repE0EEENS1_30default_config_static_selectorELNS0_4arch9wavefront6targetE0EEEvSY_.kd
    .uniform_work_group_size: 1
    .uses_dynamic_stack: false
    .vgpr_count:     0
    .vgpr_spill_count: 0
    .wavefront_size: 32
    .workgroup_processor_mode: 1
  - .args:
      - .offset:         0
        .size:           144
        .value_kind:     by_value
    .group_segment_fixed_size: 0
    .kernarg_segment_align: 8
    .kernarg_segment_size: 144
    .language:       OpenCL C
    .language_version:
      - 2
      - 0
    .max_flat_workgroup_size: 256
    .name:           _ZN7rocprim17ROCPRIM_400000_NS6detail17trampoline_kernelINS0_13select_configILj256ELj13ELNS0_17block_load_methodE3ELS4_3ELS4_3ELNS0_20block_scan_algorithmE0ELj4294967295EEENS1_25partition_config_selectorILNS1_17partition_subalgoE3EjNS0_10empty_typeEbEEZZNS1_14partition_implILS8_3ELb0ES6_jNS0_17counting_iteratorIjlEEPS9_SE_NS0_5tupleIJPjSE_EEENSF_IJSE_SE_EEES9_SG_JZNS1_25segmented_radix_sort_implINS0_14default_configELb1EPKbPbPKlPlN2at6native12_GLOBAL__N_18offset_tEEE10hipError_tPvRmT1_PNSt15iterator_traitsISY_E10value_typeET2_T3_PNSZ_IS14_E10value_typeET4_jRbjT5_S1A_jjP12ihipStream_tbEUljE_EEESV_SW_SX_S14_S18_S1A_T6_T7_T9_mT8_S1C_bDpT10_ENKUlT_T0_E_clISt17integral_constantIbLb1EES1O_IbLb0EEEEDaS1K_S1L_EUlS1K_E_NS1_11comp_targetILNS1_3genE0ELNS1_11target_archE4294967295ELNS1_3gpuE0ELNS1_3repE0EEENS1_30default_config_static_selectorELNS0_4arch9wavefront6targetE0EEEvSY_
    .private_segment_fixed_size: 0
    .sgpr_count:     0
    .sgpr_spill_count: 0
    .symbol:         _ZN7rocprim17ROCPRIM_400000_NS6detail17trampoline_kernelINS0_13select_configILj256ELj13ELNS0_17block_load_methodE3ELS4_3ELS4_3ELNS0_20block_scan_algorithmE0ELj4294967295EEENS1_25partition_config_selectorILNS1_17partition_subalgoE3EjNS0_10empty_typeEbEEZZNS1_14partition_implILS8_3ELb0ES6_jNS0_17counting_iteratorIjlEEPS9_SE_NS0_5tupleIJPjSE_EEENSF_IJSE_SE_EEES9_SG_JZNS1_25segmented_radix_sort_implINS0_14default_configELb1EPKbPbPKlPlN2at6native12_GLOBAL__N_18offset_tEEE10hipError_tPvRmT1_PNSt15iterator_traitsISY_E10value_typeET2_T3_PNSZ_IS14_E10value_typeET4_jRbjT5_S1A_jjP12ihipStream_tbEUljE_EEESV_SW_SX_S14_S18_S1A_T6_T7_T9_mT8_S1C_bDpT10_ENKUlT_T0_E_clISt17integral_constantIbLb1EES1O_IbLb0EEEEDaS1K_S1L_EUlS1K_E_NS1_11comp_targetILNS1_3genE0ELNS1_11target_archE4294967295ELNS1_3gpuE0ELNS1_3repE0EEENS1_30default_config_static_selectorELNS0_4arch9wavefront6targetE0EEEvSY_.kd
    .uniform_work_group_size: 1
    .uses_dynamic_stack: false
    .vgpr_count:     0
    .vgpr_spill_count: 0
    .wavefront_size: 32
    .workgroup_processor_mode: 1
  - .args:
      - .offset:         0
        .size:           144
        .value_kind:     by_value
    .group_segment_fixed_size: 0
    .kernarg_segment_align: 8
    .kernarg_segment_size: 144
    .language:       OpenCL C
    .language_version:
      - 2
      - 0
    .max_flat_workgroup_size: 256
    .name:           _ZN7rocprim17ROCPRIM_400000_NS6detail17trampoline_kernelINS0_13select_configILj256ELj13ELNS0_17block_load_methodE3ELS4_3ELS4_3ELNS0_20block_scan_algorithmE0ELj4294967295EEENS1_25partition_config_selectorILNS1_17partition_subalgoE3EjNS0_10empty_typeEbEEZZNS1_14partition_implILS8_3ELb0ES6_jNS0_17counting_iteratorIjlEEPS9_SE_NS0_5tupleIJPjSE_EEENSF_IJSE_SE_EEES9_SG_JZNS1_25segmented_radix_sort_implINS0_14default_configELb1EPKbPbPKlPlN2at6native12_GLOBAL__N_18offset_tEEE10hipError_tPvRmT1_PNSt15iterator_traitsISY_E10value_typeET2_T3_PNSZ_IS14_E10value_typeET4_jRbjT5_S1A_jjP12ihipStream_tbEUljE_EEESV_SW_SX_S14_S18_S1A_T6_T7_T9_mT8_S1C_bDpT10_ENKUlT_T0_E_clISt17integral_constantIbLb1EES1O_IbLb0EEEEDaS1K_S1L_EUlS1K_E_NS1_11comp_targetILNS1_3genE5ELNS1_11target_archE942ELNS1_3gpuE9ELNS1_3repE0EEENS1_30default_config_static_selectorELNS0_4arch9wavefront6targetE0EEEvSY_
    .private_segment_fixed_size: 0
    .sgpr_count:     0
    .sgpr_spill_count: 0
    .symbol:         _ZN7rocprim17ROCPRIM_400000_NS6detail17trampoline_kernelINS0_13select_configILj256ELj13ELNS0_17block_load_methodE3ELS4_3ELS4_3ELNS0_20block_scan_algorithmE0ELj4294967295EEENS1_25partition_config_selectorILNS1_17partition_subalgoE3EjNS0_10empty_typeEbEEZZNS1_14partition_implILS8_3ELb0ES6_jNS0_17counting_iteratorIjlEEPS9_SE_NS0_5tupleIJPjSE_EEENSF_IJSE_SE_EEES9_SG_JZNS1_25segmented_radix_sort_implINS0_14default_configELb1EPKbPbPKlPlN2at6native12_GLOBAL__N_18offset_tEEE10hipError_tPvRmT1_PNSt15iterator_traitsISY_E10value_typeET2_T3_PNSZ_IS14_E10value_typeET4_jRbjT5_S1A_jjP12ihipStream_tbEUljE_EEESV_SW_SX_S14_S18_S1A_T6_T7_T9_mT8_S1C_bDpT10_ENKUlT_T0_E_clISt17integral_constantIbLb1EES1O_IbLb0EEEEDaS1K_S1L_EUlS1K_E_NS1_11comp_targetILNS1_3genE5ELNS1_11target_archE942ELNS1_3gpuE9ELNS1_3repE0EEENS1_30default_config_static_selectorELNS0_4arch9wavefront6targetE0EEEvSY_.kd
    .uniform_work_group_size: 1
    .uses_dynamic_stack: false
    .vgpr_count:     0
    .vgpr_spill_count: 0
    .wavefront_size: 32
    .workgroup_processor_mode: 1
  - .args:
      - .offset:         0
        .size:           144
        .value_kind:     by_value
    .group_segment_fixed_size: 0
    .kernarg_segment_align: 8
    .kernarg_segment_size: 144
    .language:       OpenCL C
    .language_version:
      - 2
      - 0
    .max_flat_workgroup_size: 256
    .name:           _ZN7rocprim17ROCPRIM_400000_NS6detail17trampoline_kernelINS0_13select_configILj256ELj13ELNS0_17block_load_methodE3ELS4_3ELS4_3ELNS0_20block_scan_algorithmE0ELj4294967295EEENS1_25partition_config_selectorILNS1_17partition_subalgoE3EjNS0_10empty_typeEbEEZZNS1_14partition_implILS8_3ELb0ES6_jNS0_17counting_iteratorIjlEEPS9_SE_NS0_5tupleIJPjSE_EEENSF_IJSE_SE_EEES9_SG_JZNS1_25segmented_radix_sort_implINS0_14default_configELb1EPKbPbPKlPlN2at6native12_GLOBAL__N_18offset_tEEE10hipError_tPvRmT1_PNSt15iterator_traitsISY_E10value_typeET2_T3_PNSZ_IS14_E10value_typeET4_jRbjT5_S1A_jjP12ihipStream_tbEUljE_EEESV_SW_SX_S14_S18_S1A_T6_T7_T9_mT8_S1C_bDpT10_ENKUlT_T0_E_clISt17integral_constantIbLb1EES1O_IbLb0EEEEDaS1K_S1L_EUlS1K_E_NS1_11comp_targetILNS1_3genE4ELNS1_11target_archE910ELNS1_3gpuE8ELNS1_3repE0EEENS1_30default_config_static_selectorELNS0_4arch9wavefront6targetE0EEEvSY_
    .private_segment_fixed_size: 0
    .sgpr_count:     0
    .sgpr_spill_count: 0
    .symbol:         _ZN7rocprim17ROCPRIM_400000_NS6detail17trampoline_kernelINS0_13select_configILj256ELj13ELNS0_17block_load_methodE3ELS4_3ELS4_3ELNS0_20block_scan_algorithmE0ELj4294967295EEENS1_25partition_config_selectorILNS1_17partition_subalgoE3EjNS0_10empty_typeEbEEZZNS1_14partition_implILS8_3ELb0ES6_jNS0_17counting_iteratorIjlEEPS9_SE_NS0_5tupleIJPjSE_EEENSF_IJSE_SE_EEES9_SG_JZNS1_25segmented_radix_sort_implINS0_14default_configELb1EPKbPbPKlPlN2at6native12_GLOBAL__N_18offset_tEEE10hipError_tPvRmT1_PNSt15iterator_traitsISY_E10value_typeET2_T3_PNSZ_IS14_E10value_typeET4_jRbjT5_S1A_jjP12ihipStream_tbEUljE_EEESV_SW_SX_S14_S18_S1A_T6_T7_T9_mT8_S1C_bDpT10_ENKUlT_T0_E_clISt17integral_constantIbLb1EES1O_IbLb0EEEEDaS1K_S1L_EUlS1K_E_NS1_11comp_targetILNS1_3genE4ELNS1_11target_archE910ELNS1_3gpuE8ELNS1_3repE0EEENS1_30default_config_static_selectorELNS0_4arch9wavefront6targetE0EEEvSY_.kd
    .uniform_work_group_size: 1
    .uses_dynamic_stack: false
    .vgpr_count:     0
    .vgpr_spill_count: 0
    .wavefront_size: 32
    .workgroup_processor_mode: 1
  - .args:
      - .offset:         0
        .size:           144
        .value_kind:     by_value
    .group_segment_fixed_size: 0
    .kernarg_segment_align: 8
    .kernarg_segment_size: 144
    .language:       OpenCL C
    .language_version:
      - 2
      - 0
    .max_flat_workgroup_size: 256
    .name:           _ZN7rocprim17ROCPRIM_400000_NS6detail17trampoline_kernelINS0_13select_configILj256ELj13ELNS0_17block_load_methodE3ELS4_3ELS4_3ELNS0_20block_scan_algorithmE0ELj4294967295EEENS1_25partition_config_selectorILNS1_17partition_subalgoE3EjNS0_10empty_typeEbEEZZNS1_14partition_implILS8_3ELb0ES6_jNS0_17counting_iteratorIjlEEPS9_SE_NS0_5tupleIJPjSE_EEENSF_IJSE_SE_EEES9_SG_JZNS1_25segmented_radix_sort_implINS0_14default_configELb1EPKbPbPKlPlN2at6native12_GLOBAL__N_18offset_tEEE10hipError_tPvRmT1_PNSt15iterator_traitsISY_E10value_typeET2_T3_PNSZ_IS14_E10value_typeET4_jRbjT5_S1A_jjP12ihipStream_tbEUljE_EEESV_SW_SX_S14_S18_S1A_T6_T7_T9_mT8_S1C_bDpT10_ENKUlT_T0_E_clISt17integral_constantIbLb1EES1O_IbLb0EEEEDaS1K_S1L_EUlS1K_E_NS1_11comp_targetILNS1_3genE3ELNS1_11target_archE908ELNS1_3gpuE7ELNS1_3repE0EEENS1_30default_config_static_selectorELNS0_4arch9wavefront6targetE0EEEvSY_
    .private_segment_fixed_size: 0
    .sgpr_count:     0
    .sgpr_spill_count: 0
    .symbol:         _ZN7rocprim17ROCPRIM_400000_NS6detail17trampoline_kernelINS0_13select_configILj256ELj13ELNS0_17block_load_methodE3ELS4_3ELS4_3ELNS0_20block_scan_algorithmE0ELj4294967295EEENS1_25partition_config_selectorILNS1_17partition_subalgoE3EjNS0_10empty_typeEbEEZZNS1_14partition_implILS8_3ELb0ES6_jNS0_17counting_iteratorIjlEEPS9_SE_NS0_5tupleIJPjSE_EEENSF_IJSE_SE_EEES9_SG_JZNS1_25segmented_radix_sort_implINS0_14default_configELb1EPKbPbPKlPlN2at6native12_GLOBAL__N_18offset_tEEE10hipError_tPvRmT1_PNSt15iterator_traitsISY_E10value_typeET2_T3_PNSZ_IS14_E10value_typeET4_jRbjT5_S1A_jjP12ihipStream_tbEUljE_EEESV_SW_SX_S14_S18_S1A_T6_T7_T9_mT8_S1C_bDpT10_ENKUlT_T0_E_clISt17integral_constantIbLb1EES1O_IbLb0EEEEDaS1K_S1L_EUlS1K_E_NS1_11comp_targetILNS1_3genE3ELNS1_11target_archE908ELNS1_3gpuE7ELNS1_3repE0EEENS1_30default_config_static_selectorELNS0_4arch9wavefront6targetE0EEEvSY_.kd
    .uniform_work_group_size: 1
    .uses_dynamic_stack: false
    .vgpr_count:     0
    .vgpr_spill_count: 0
    .wavefront_size: 32
    .workgroup_processor_mode: 1
  - .args:
      - .offset:         0
        .size:           144
        .value_kind:     by_value
    .group_segment_fixed_size: 0
    .kernarg_segment_align: 8
    .kernarg_segment_size: 144
    .language:       OpenCL C
    .language_version:
      - 2
      - 0
    .max_flat_workgroup_size: 256
    .name:           _ZN7rocprim17ROCPRIM_400000_NS6detail17trampoline_kernelINS0_13select_configILj256ELj13ELNS0_17block_load_methodE3ELS4_3ELS4_3ELNS0_20block_scan_algorithmE0ELj4294967295EEENS1_25partition_config_selectorILNS1_17partition_subalgoE3EjNS0_10empty_typeEbEEZZNS1_14partition_implILS8_3ELb0ES6_jNS0_17counting_iteratorIjlEEPS9_SE_NS0_5tupleIJPjSE_EEENSF_IJSE_SE_EEES9_SG_JZNS1_25segmented_radix_sort_implINS0_14default_configELb1EPKbPbPKlPlN2at6native12_GLOBAL__N_18offset_tEEE10hipError_tPvRmT1_PNSt15iterator_traitsISY_E10value_typeET2_T3_PNSZ_IS14_E10value_typeET4_jRbjT5_S1A_jjP12ihipStream_tbEUljE_EEESV_SW_SX_S14_S18_S1A_T6_T7_T9_mT8_S1C_bDpT10_ENKUlT_T0_E_clISt17integral_constantIbLb1EES1O_IbLb0EEEEDaS1K_S1L_EUlS1K_E_NS1_11comp_targetILNS1_3genE2ELNS1_11target_archE906ELNS1_3gpuE6ELNS1_3repE0EEENS1_30default_config_static_selectorELNS0_4arch9wavefront6targetE0EEEvSY_
    .private_segment_fixed_size: 0
    .sgpr_count:     0
    .sgpr_spill_count: 0
    .symbol:         _ZN7rocprim17ROCPRIM_400000_NS6detail17trampoline_kernelINS0_13select_configILj256ELj13ELNS0_17block_load_methodE3ELS4_3ELS4_3ELNS0_20block_scan_algorithmE0ELj4294967295EEENS1_25partition_config_selectorILNS1_17partition_subalgoE3EjNS0_10empty_typeEbEEZZNS1_14partition_implILS8_3ELb0ES6_jNS0_17counting_iteratorIjlEEPS9_SE_NS0_5tupleIJPjSE_EEENSF_IJSE_SE_EEES9_SG_JZNS1_25segmented_radix_sort_implINS0_14default_configELb1EPKbPbPKlPlN2at6native12_GLOBAL__N_18offset_tEEE10hipError_tPvRmT1_PNSt15iterator_traitsISY_E10value_typeET2_T3_PNSZ_IS14_E10value_typeET4_jRbjT5_S1A_jjP12ihipStream_tbEUljE_EEESV_SW_SX_S14_S18_S1A_T6_T7_T9_mT8_S1C_bDpT10_ENKUlT_T0_E_clISt17integral_constantIbLb1EES1O_IbLb0EEEEDaS1K_S1L_EUlS1K_E_NS1_11comp_targetILNS1_3genE2ELNS1_11target_archE906ELNS1_3gpuE6ELNS1_3repE0EEENS1_30default_config_static_selectorELNS0_4arch9wavefront6targetE0EEEvSY_.kd
    .uniform_work_group_size: 1
    .uses_dynamic_stack: false
    .vgpr_count:     0
    .vgpr_spill_count: 0
    .wavefront_size: 32
    .workgroup_processor_mode: 1
  - .args:
      - .offset:         0
        .size:           144
        .value_kind:     by_value
    .group_segment_fixed_size: 0
    .kernarg_segment_align: 8
    .kernarg_segment_size: 144
    .language:       OpenCL C
    .language_version:
      - 2
      - 0
    .max_flat_workgroup_size: 256
    .name:           _ZN7rocprim17ROCPRIM_400000_NS6detail17trampoline_kernelINS0_13select_configILj256ELj13ELNS0_17block_load_methodE3ELS4_3ELS4_3ELNS0_20block_scan_algorithmE0ELj4294967295EEENS1_25partition_config_selectorILNS1_17partition_subalgoE3EjNS0_10empty_typeEbEEZZNS1_14partition_implILS8_3ELb0ES6_jNS0_17counting_iteratorIjlEEPS9_SE_NS0_5tupleIJPjSE_EEENSF_IJSE_SE_EEES9_SG_JZNS1_25segmented_radix_sort_implINS0_14default_configELb1EPKbPbPKlPlN2at6native12_GLOBAL__N_18offset_tEEE10hipError_tPvRmT1_PNSt15iterator_traitsISY_E10value_typeET2_T3_PNSZ_IS14_E10value_typeET4_jRbjT5_S1A_jjP12ihipStream_tbEUljE_EEESV_SW_SX_S14_S18_S1A_T6_T7_T9_mT8_S1C_bDpT10_ENKUlT_T0_E_clISt17integral_constantIbLb1EES1O_IbLb0EEEEDaS1K_S1L_EUlS1K_E_NS1_11comp_targetILNS1_3genE10ELNS1_11target_archE1200ELNS1_3gpuE4ELNS1_3repE0EEENS1_30default_config_static_selectorELNS0_4arch9wavefront6targetE0EEEvSY_
    .private_segment_fixed_size: 0
    .sgpr_count:     0
    .sgpr_spill_count: 0
    .symbol:         _ZN7rocprim17ROCPRIM_400000_NS6detail17trampoline_kernelINS0_13select_configILj256ELj13ELNS0_17block_load_methodE3ELS4_3ELS4_3ELNS0_20block_scan_algorithmE0ELj4294967295EEENS1_25partition_config_selectorILNS1_17partition_subalgoE3EjNS0_10empty_typeEbEEZZNS1_14partition_implILS8_3ELb0ES6_jNS0_17counting_iteratorIjlEEPS9_SE_NS0_5tupleIJPjSE_EEENSF_IJSE_SE_EEES9_SG_JZNS1_25segmented_radix_sort_implINS0_14default_configELb1EPKbPbPKlPlN2at6native12_GLOBAL__N_18offset_tEEE10hipError_tPvRmT1_PNSt15iterator_traitsISY_E10value_typeET2_T3_PNSZ_IS14_E10value_typeET4_jRbjT5_S1A_jjP12ihipStream_tbEUljE_EEESV_SW_SX_S14_S18_S1A_T6_T7_T9_mT8_S1C_bDpT10_ENKUlT_T0_E_clISt17integral_constantIbLb1EES1O_IbLb0EEEEDaS1K_S1L_EUlS1K_E_NS1_11comp_targetILNS1_3genE10ELNS1_11target_archE1200ELNS1_3gpuE4ELNS1_3repE0EEENS1_30default_config_static_selectorELNS0_4arch9wavefront6targetE0EEEvSY_.kd
    .uniform_work_group_size: 1
    .uses_dynamic_stack: false
    .vgpr_count:     0
    .vgpr_spill_count: 0
    .wavefront_size: 32
    .workgroup_processor_mode: 1
  - .args:
      - .offset:         0
        .size:           144
        .value_kind:     by_value
    .group_segment_fixed_size: 13324
    .kernarg_segment_align: 8
    .kernarg_segment_size: 144
    .language:       OpenCL C
    .language_version:
      - 2
      - 0
    .max_flat_workgroup_size: 256
    .name:           _ZN7rocprim17ROCPRIM_400000_NS6detail17trampoline_kernelINS0_13select_configILj256ELj13ELNS0_17block_load_methodE3ELS4_3ELS4_3ELNS0_20block_scan_algorithmE0ELj4294967295EEENS1_25partition_config_selectorILNS1_17partition_subalgoE3EjNS0_10empty_typeEbEEZZNS1_14partition_implILS8_3ELb0ES6_jNS0_17counting_iteratorIjlEEPS9_SE_NS0_5tupleIJPjSE_EEENSF_IJSE_SE_EEES9_SG_JZNS1_25segmented_radix_sort_implINS0_14default_configELb1EPKbPbPKlPlN2at6native12_GLOBAL__N_18offset_tEEE10hipError_tPvRmT1_PNSt15iterator_traitsISY_E10value_typeET2_T3_PNSZ_IS14_E10value_typeET4_jRbjT5_S1A_jjP12ihipStream_tbEUljE_EEESV_SW_SX_S14_S18_S1A_T6_T7_T9_mT8_S1C_bDpT10_ENKUlT_T0_E_clISt17integral_constantIbLb1EES1O_IbLb0EEEEDaS1K_S1L_EUlS1K_E_NS1_11comp_targetILNS1_3genE9ELNS1_11target_archE1100ELNS1_3gpuE3ELNS1_3repE0EEENS1_30default_config_static_selectorELNS0_4arch9wavefront6targetE0EEEvSY_
    .private_segment_fixed_size: 0
    .sgpr_count:     30
    .sgpr_spill_count: 0
    .symbol:         _ZN7rocprim17ROCPRIM_400000_NS6detail17trampoline_kernelINS0_13select_configILj256ELj13ELNS0_17block_load_methodE3ELS4_3ELS4_3ELNS0_20block_scan_algorithmE0ELj4294967295EEENS1_25partition_config_selectorILNS1_17partition_subalgoE3EjNS0_10empty_typeEbEEZZNS1_14partition_implILS8_3ELb0ES6_jNS0_17counting_iteratorIjlEEPS9_SE_NS0_5tupleIJPjSE_EEENSF_IJSE_SE_EEES9_SG_JZNS1_25segmented_radix_sort_implINS0_14default_configELb1EPKbPbPKlPlN2at6native12_GLOBAL__N_18offset_tEEE10hipError_tPvRmT1_PNSt15iterator_traitsISY_E10value_typeET2_T3_PNSZ_IS14_E10value_typeET4_jRbjT5_S1A_jjP12ihipStream_tbEUljE_EEESV_SW_SX_S14_S18_S1A_T6_T7_T9_mT8_S1C_bDpT10_ENKUlT_T0_E_clISt17integral_constantIbLb1EES1O_IbLb0EEEEDaS1K_S1L_EUlS1K_E_NS1_11comp_targetILNS1_3genE9ELNS1_11target_archE1100ELNS1_3gpuE3ELNS1_3repE0EEENS1_30default_config_static_selectorELNS0_4arch9wavefront6targetE0EEEvSY_.kd
    .uniform_work_group_size: 1
    .uses_dynamic_stack: false
    .vgpr_count:     57
    .vgpr_spill_count: 0
    .wavefront_size: 32
    .workgroup_processor_mode: 1
  - .args:
      - .offset:         0
        .size:           144
        .value_kind:     by_value
    .group_segment_fixed_size: 0
    .kernarg_segment_align: 8
    .kernarg_segment_size: 144
    .language:       OpenCL C
    .language_version:
      - 2
      - 0
    .max_flat_workgroup_size: 256
    .name:           _ZN7rocprim17ROCPRIM_400000_NS6detail17trampoline_kernelINS0_13select_configILj256ELj13ELNS0_17block_load_methodE3ELS4_3ELS4_3ELNS0_20block_scan_algorithmE0ELj4294967295EEENS1_25partition_config_selectorILNS1_17partition_subalgoE3EjNS0_10empty_typeEbEEZZNS1_14partition_implILS8_3ELb0ES6_jNS0_17counting_iteratorIjlEEPS9_SE_NS0_5tupleIJPjSE_EEENSF_IJSE_SE_EEES9_SG_JZNS1_25segmented_radix_sort_implINS0_14default_configELb1EPKbPbPKlPlN2at6native12_GLOBAL__N_18offset_tEEE10hipError_tPvRmT1_PNSt15iterator_traitsISY_E10value_typeET2_T3_PNSZ_IS14_E10value_typeET4_jRbjT5_S1A_jjP12ihipStream_tbEUljE_EEESV_SW_SX_S14_S18_S1A_T6_T7_T9_mT8_S1C_bDpT10_ENKUlT_T0_E_clISt17integral_constantIbLb1EES1O_IbLb0EEEEDaS1K_S1L_EUlS1K_E_NS1_11comp_targetILNS1_3genE8ELNS1_11target_archE1030ELNS1_3gpuE2ELNS1_3repE0EEENS1_30default_config_static_selectorELNS0_4arch9wavefront6targetE0EEEvSY_
    .private_segment_fixed_size: 0
    .sgpr_count:     0
    .sgpr_spill_count: 0
    .symbol:         _ZN7rocprim17ROCPRIM_400000_NS6detail17trampoline_kernelINS0_13select_configILj256ELj13ELNS0_17block_load_methodE3ELS4_3ELS4_3ELNS0_20block_scan_algorithmE0ELj4294967295EEENS1_25partition_config_selectorILNS1_17partition_subalgoE3EjNS0_10empty_typeEbEEZZNS1_14partition_implILS8_3ELb0ES6_jNS0_17counting_iteratorIjlEEPS9_SE_NS0_5tupleIJPjSE_EEENSF_IJSE_SE_EEES9_SG_JZNS1_25segmented_radix_sort_implINS0_14default_configELb1EPKbPbPKlPlN2at6native12_GLOBAL__N_18offset_tEEE10hipError_tPvRmT1_PNSt15iterator_traitsISY_E10value_typeET2_T3_PNSZ_IS14_E10value_typeET4_jRbjT5_S1A_jjP12ihipStream_tbEUljE_EEESV_SW_SX_S14_S18_S1A_T6_T7_T9_mT8_S1C_bDpT10_ENKUlT_T0_E_clISt17integral_constantIbLb1EES1O_IbLb0EEEEDaS1K_S1L_EUlS1K_E_NS1_11comp_targetILNS1_3genE8ELNS1_11target_archE1030ELNS1_3gpuE2ELNS1_3repE0EEENS1_30default_config_static_selectorELNS0_4arch9wavefront6targetE0EEEvSY_.kd
    .uniform_work_group_size: 1
    .uses_dynamic_stack: false
    .vgpr_count:     0
    .vgpr_spill_count: 0
    .wavefront_size: 32
    .workgroup_processor_mode: 1
  - .args:
      - .offset:         0
        .size:           152
        .value_kind:     by_value
    .group_segment_fixed_size: 0
    .kernarg_segment_align: 8
    .kernarg_segment_size: 152
    .language:       OpenCL C
    .language_version:
      - 2
      - 0
    .max_flat_workgroup_size: 256
    .name:           _ZN7rocprim17ROCPRIM_400000_NS6detail17trampoline_kernelINS0_13select_configILj256ELj13ELNS0_17block_load_methodE3ELS4_3ELS4_3ELNS0_20block_scan_algorithmE0ELj4294967295EEENS1_25partition_config_selectorILNS1_17partition_subalgoE3EjNS0_10empty_typeEbEEZZNS1_14partition_implILS8_3ELb0ES6_jNS0_17counting_iteratorIjlEEPS9_SE_NS0_5tupleIJPjSE_EEENSF_IJSE_SE_EEES9_SG_JZNS1_25segmented_radix_sort_implINS0_14default_configELb1EPKbPbPKlPlN2at6native12_GLOBAL__N_18offset_tEEE10hipError_tPvRmT1_PNSt15iterator_traitsISY_E10value_typeET2_T3_PNSZ_IS14_E10value_typeET4_jRbjT5_S1A_jjP12ihipStream_tbEUljE_EEESV_SW_SX_S14_S18_S1A_T6_T7_T9_mT8_S1C_bDpT10_ENKUlT_T0_E_clISt17integral_constantIbLb0EES1O_IbLb1EEEEDaS1K_S1L_EUlS1K_E_NS1_11comp_targetILNS1_3genE0ELNS1_11target_archE4294967295ELNS1_3gpuE0ELNS1_3repE0EEENS1_30default_config_static_selectorELNS0_4arch9wavefront6targetE0EEEvSY_
    .private_segment_fixed_size: 0
    .sgpr_count:     0
    .sgpr_spill_count: 0
    .symbol:         _ZN7rocprim17ROCPRIM_400000_NS6detail17trampoline_kernelINS0_13select_configILj256ELj13ELNS0_17block_load_methodE3ELS4_3ELS4_3ELNS0_20block_scan_algorithmE0ELj4294967295EEENS1_25partition_config_selectorILNS1_17partition_subalgoE3EjNS0_10empty_typeEbEEZZNS1_14partition_implILS8_3ELb0ES6_jNS0_17counting_iteratorIjlEEPS9_SE_NS0_5tupleIJPjSE_EEENSF_IJSE_SE_EEES9_SG_JZNS1_25segmented_radix_sort_implINS0_14default_configELb1EPKbPbPKlPlN2at6native12_GLOBAL__N_18offset_tEEE10hipError_tPvRmT1_PNSt15iterator_traitsISY_E10value_typeET2_T3_PNSZ_IS14_E10value_typeET4_jRbjT5_S1A_jjP12ihipStream_tbEUljE_EEESV_SW_SX_S14_S18_S1A_T6_T7_T9_mT8_S1C_bDpT10_ENKUlT_T0_E_clISt17integral_constantIbLb0EES1O_IbLb1EEEEDaS1K_S1L_EUlS1K_E_NS1_11comp_targetILNS1_3genE0ELNS1_11target_archE4294967295ELNS1_3gpuE0ELNS1_3repE0EEENS1_30default_config_static_selectorELNS0_4arch9wavefront6targetE0EEEvSY_.kd
    .uniform_work_group_size: 1
    .uses_dynamic_stack: false
    .vgpr_count:     0
    .vgpr_spill_count: 0
    .wavefront_size: 32
    .workgroup_processor_mode: 1
  - .args:
      - .offset:         0
        .size:           152
        .value_kind:     by_value
    .group_segment_fixed_size: 0
    .kernarg_segment_align: 8
    .kernarg_segment_size: 152
    .language:       OpenCL C
    .language_version:
      - 2
      - 0
    .max_flat_workgroup_size: 256
    .name:           _ZN7rocprim17ROCPRIM_400000_NS6detail17trampoline_kernelINS0_13select_configILj256ELj13ELNS0_17block_load_methodE3ELS4_3ELS4_3ELNS0_20block_scan_algorithmE0ELj4294967295EEENS1_25partition_config_selectorILNS1_17partition_subalgoE3EjNS0_10empty_typeEbEEZZNS1_14partition_implILS8_3ELb0ES6_jNS0_17counting_iteratorIjlEEPS9_SE_NS0_5tupleIJPjSE_EEENSF_IJSE_SE_EEES9_SG_JZNS1_25segmented_radix_sort_implINS0_14default_configELb1EPKbPbPKlPlN2at6native12_GLOBAL__N_18offset_tEEE10hipError_tPvRmT1_PNSt15iterator_traitsISY_E10value_typeET2_T3_PNSZ_IS14_E10value_typeET4_jRbjT5_S1A_jjP12ihipStream_tbEUljE_EEESV_SW_SX_S14_S18_S1A_T6_T7_T9_mT8_S1C_bDpT10_ENKUlT_T0_E_clISt17integral_constantIbLb0EES1O_IbLb1EEEEDaS1K_S1L_EUlS1K_E_NS1_11comp_targetILNS1_3genE5ELNS1_11target_archE942ELNS1_3gpuE9ELNS1_3repE0EEENS1_30default_config_static_selectorELNS0_4arch9wavefront6targetE0EEEvSY_
    .private_segment_fixed_size: 0
    .sgpr_count:     0
    .sgpr_spill_count: 0
    .symbol:         _ZN7rocprim17ROCPRIM_400000_NS6detail17trampoline_kernelINS0_13select_configILj256ELj13ELNS0_17block_load_methodE3ELS4_3ELS4_3ELNS0_20block_scan_algorithmE0ELj4294967295EEENS1_25partition_config_selectorILNS1_17partition_subalgoE3EjNS0_10empty_typeEbEEZZNS1_14partition_implILS8_3ELb0ES6_jNS0_17counting_iteratorIjlEEPS9_SE_NS0_5tupleIJPjSE_EEENSF_IJSE_SE_EEES9_SG_JZNS1_25segmented_radix_sort_implINS0_14default_configELb1EPKbPbPKlPlN2at6native12_GLOBAL__N_18offset_tEEE10hipError_tPvRmT1_PNSt15iterator_traitsISY_E10value_typeET2_T3_PNSZ_IS14_E10value_typeET4_jRbjT5_S1A_jjP12ihipStream_tbEUljE_EEESV_SW_SX_S14_S18_S1A_T6_T7_T9_mT8_S1C_bDpT10_ENKUlT_T0_E_clISt17integral_constantIbLb0EES1O_IbLb1EEEEDaS1K_S1L_EUlS1K_E_NS1_11comp_targetILNS1_3genE5ELNS1_11target_archE942ELNS1_3gpuE9ELNS1_3repE0EEENS1_30default_config_static_selectorELNS0_4arch9wavefront6targetE0EEEvSY_.kd
    .uniform_work_group_size: 1
    .uses_dynamic_stack: false
    .vgpr_count:     0
    .vgpr_spill_count: 0
    .wavefront_size: 32
    .workgroup_processor_mode: 1
  - .args:
      - .offset:         0
        .size:           152
        .value_kind:     by_value
    .group_segment_fixed_size: 0
    .kernarg_segment_align: 8
    .kernarg_segment_size: 152
    .language:       OpenCL C
    .language_version:
      - 2
      - 0
    .max_flat_workgroup_size: 256
    .name:           _ZN7rocprim17ROCPRIM_400000_NS6detail17trampoline_kernelINS0_13select_configILj256ELj13ELNS0_17block_load_methodE3ELS4_3ELS4_3ELNS0_20block_scan_algorithmE0ELj4294967295EEENS1_25partition_config_selectorILNS1_17partition_subalgoE3EjNS0_10empty_typeEbEEZZNS1_14partition_implILS8_3ELb0ES6_jNS0_17counting_iteratorIjlEEPS9_SE_NS0_5tupleIJPjSE_EEENSF_IJSE_SE_EEES9_SG_JZNS1_25segmented_radix_sort_implINS0_14default_configELb1EPKbPbPKlPlN2at6native12_GLOBAL__N_18offset_tEEE10hipError_tPvRmT1_PNSt15iterator_traitsISY_E10value_typeET2_T3_PNSZ_IS14_E10value_typeET4_jRbjT5_S1A_jjP12ihipStream_tbEUljE_EEESV_SW_SX_S14_S18_S1A_T6_T7_T9_mT8_S1C_bDpT10_ENKUlT_T0_E_clISt17integral_constantIbLb0EES1O_IbLb1EEEEDaS1K_S1L_EUlS1K_E_NS1_11comp_targetILNS1_3genE4ELNS1_11target_archE910ELNS1_3gpuE8ELNS1_3repE0EEENS1_30default_config_static_selectorELNS0_4arch9wavefront6targetE0EEEvSY_
    .private_segment_fixed_size: 0
    .sgpr_count:     0
    .sgpr_spill_count: 0
    .symbol:         _ZN7rocprim17ROCPRIM_400000_NS6detail17trampoline_kernelINS0_13select_configILj256ELj13ELNS0_17block_load_methodE3ELS4_3ELS4_3ELNS0_20block_scan_algorithmE0ELj4294967295EEENS1_25partition_config_selectorILNS1_17partition_subalgoE3EjNS0_10empty_typeEbEEZZNS1_14partition_implILS8_3ELb0ES6_jNS0_17counting_iteratorIjlEEPS9_SE_NS0_5tupleIJPjSE_EEENSF_IJSE_SE_EEES9_SG_JZNS1_25segmented_radix_sort_implINS0_14default_configELb1EPKbPbPKlPlN2at6native12_GLOBAL__N_18offset_tEEE10hipError_tPvRmT1_PNSt15iterator_traitsISY_E10value_typeET2_T3_PNSZ_IS14_E10value_typeET4_jRbjT5_S1A_jjP12ihipStream_tbEUljE_EEESV_SW_SX_S14_S18_S1A_T6_T7_T9_mT8_S1C_bDpT10_ENKUlT_T0_E_clISt17integral_constantIbLb0EES1O_IbLb1EEEEDaS1K_S1L_EUlS1K_E_NS1_11comp_targetILNS1_3genE4ELNS1_11target_archE910ELNS1_3gpuE8ELNS1_3repE0EEENS1_30default_config_static_selectorELNS0_4arch9wavefront6targetE0EEEvSY_.kd
    .uniform_work_group_size: 1
    .uses_dynamic_stack: false
    .vgpr_count:     0
    .vgpr_spill_count: 0
    .wavefront_size: 32
    .workgroup_processor_mode: 1
  - .args:
      - .offset:         0
        .size:           152
        .value_kind:     by_value
    .group_segment_fixed_size: 0
    .kernarg_segment_align: 8
    .kernarg_segment_size: 152
    .language:       OpenCL C
    .language_version:
      - 2
      - 0
    .max_flat_workgroup_size: 256
    .name:           _ZN7rocprim17ROCPRIM_400000_NS6detail17trampoline_kernelINS0_13select_configILj256ELj13ELNS0_17block_load_methodE3ELS4_3ELS4_3ELNS0_20block_scan_algorithmE0ELj4294967295EEENS1_25partition_config_selectorILNS1_17partition_subalgoE3EjNS0_10empty_typeEbEEZZNS1_14partition_implILS8_3ELb0ES6_jNS0_17counting_iteratorIjlEEPS9_SE_NS0_5tupleIJPjSE_EEENSF_IJSE_SE_EEES9_SG_JZNS1_25segmented_radix_sort_implINS0_14default_configELb1EPKbPbPKlPlN2at6native12_GLOBAL__N_18offset_tEEE10hipError_tPvRmT1_PNSt15iterator_traitsISY_E10value_typeET2_T3_PNSZ_IS14_E10value_typeET4_jRbjT5_S1A_jjP12ihipStream_tbEUljE_EEESV_SW_SX_S14_S18_S1A_T6_T7_T9_mT8_S1C_bDpT10_ENKUlT_T0_E_clISt17integral_constantIbLb0EES1O_IbLb1EEEEDaS1K_S1L_EUlS1K_E_NS1_11comp_targetILNS1_3genE3ELNS1_11target_archE908ELNS1_3gpuE7ELNS1_3repE0EEENS1_30default_config_static_selectorELNS0_4arch9wavefront6targetE0EEEvSY_
    .private_segment_fixed_size: 0
    .sgpr_count:     0
    .sgpr_spill_count: 0
    .symbol:         _ZN7rocprim17ROCPRIM_400000_NS6detail17trampoline_kernelINS0_13select_configILj256ELj13ELNS0_17block_load_methodE3ELS4_3ELS4_3ELNS0_20block_scan_algorithmE0ELj4294967295EEENS1_25partition_config_selectorILNS1_17partition_subalgoE3EjNS0_10empty_typeEbEEZZNS1_14partition_implILS8_3ELb0ES6_jNS0_17counting_iteratorIjlEEPS9_SE_NS0_5tupleIJPjSE_EEENSF_IJSE_SE_EEES9_SG_JZNS1_25segmented_radix_sort_implINS0_14default_configELb1EPKbPbPKlPlN2at6native12_GLOBAL__N_18offset_tEEE10hipError_tPvRmT1_PNSt15iterator_traitsISY_E10value_typeET2_T3_PNSZ_IS14_E10value_typeET4_jRbjT5_S1A_jjP12ihipStream_tbEUljE_EEESV_SW_SX_S14_S18_S1A_T6_T7_T9_mT8_S1C_bDpT10_ENKUlT_T0_E_clISt17integral_constantIbLb0EES1O_IbLb1EEEEDaS1K_S1L_EUlS1K_E_NS1_11comp_targetILNS1_3genE3ELNS1_11target_archE908ELNS1_3gpuE7ELNS1_3repE0EEENS1_30default_config_static_selectorELNS0_4arch9wavefront6targetE0EEEvSY_.kd
    .uniform_work_group_size: 1
    .uses_dynamic_stack: false
    .vgpr_count:     0
    .vgpr_spill_count: 0
    .wavefront_size: 32
    .workgroup_processor_mode: 1
  - .args:
      - .offset:         0
        .size:           152
        .value_kind:     by_value
    .group_segment_fixed_size: 0
    .kernarg_segment_align: 8
    .kernarg_segment_size: 152
    .language:       OpenCL C
    .language_version:
      - 2
      - 0
    .max_flat_workgroup_size: 256
    .name:           _ZN7rocprim17ROCPRIM_400000_NS6detail17trampoline_kernelINS0_13select_configILj256ELj13ELNS0_17block_load_methodE3ELS4_3ELS4_3ELNS0_20block_scan_algorithmE0ELj4294967295EEENS1_25partition_config_selectorILNS1_17partition_subalgoE3EjNS0_10empty_typeEbEEZZNS1_14partition_implILS8_3ELb0ES6_jNS0_17counting_iteratorIjlEEPS9_SE_NS0_5tupleIJPjSE_EEENSF_IJSE_SE_EEES9_SG_JZNS1_25segmented_radix_sort_implINS0_14default_configELb1EPKbPbPKlPlN2at6native12_GLOBAL__N_18offset_tEEE10hipError_tPvRmT1_PNSt15iterator_traitsISY_E10value_typeET2_T3_PNSZ_IS14_E10value_typeET4_jRbjT5_S1A_jjP12ihipStream_tbEUljE_EEESV_SW_SX_S14_S18_S1A_T6_T7_T9_mT8_S1C_bDpT10_ENKUlT_T0_E_clISt17integral_constantIbLb0EES1O_IbLb1EEEEDaS1K_S1L_EUlS1K_E_NS1_11comp_targetILNS1_3genE2ELNS1_11target_archE906ELNS1_3gpuE6ELNS1_3repE0EEENS1_30default_config_static_selectorELNS0_4arch9wavefront6targetE0EEEvSY_
    .private_segment_fixed_size: 0
    .sgpr_count:     0
    .sgpr_spill_count: 0
    .symbol:         _ZN7rocprim17ROCPRIM_400000_NS6detail17trampoline_kernelINS0_13select_configILj256ELj13ELNS0_17block_load_methodE3ELS4_3ELS4_3ELNS0_20block_scan_algorithmE0ELj4294967295EEENS1_25partition_config_selectorILNS1_17partition_subalgoE3EjNS0_10empty_typeEbEEZZNS1_14partition_implILS8_3ELb0ES6_jNS0_17counting_iteratorIjlEEPS9_SE_NS0_5tupleIJPjSE_EEENSF_IJSE_SE_EEES9_SG_JZNS1_25segmented_radix_sort_implINS0_14default_configELb1EPKbPbPKlPlN2at6native12_GLOBAL__N_18offset_tEEE10hipError_tPvRmT1_PNSt15iterator_traitsISY_E10value_typeET2_T3_PNSZ_IS14_E10value_typeET4_jRbjT5_S1A_jjP12ihipStream_tbEUljE_EEESV_SW_SX_S14_S18_S1A_T6_T7_T9_mT8_S1C_bDpT10_ENKUlT_T0_E_clISt17integral_constantIbLb0EES1O_IbLb1EEEEDaS1K_S1L_EUlS1K_E_NS1_11comp_targetILNS1_3genE2ELNS1_11target_archE906ELNS1_3gpuE6ELNS1_3repE0EEENS1_30default_config_static_selectorELNS0_4arch9wavefront6targetE0EEEvSY_.kd
    .uniform_work_group_size: 1
    .uses_dynamic_stack: false
    .vgpr_count:     0
    .vgpr_spill_count: 0
    .wavefront_size: 32
    .workgroup_processor_mode: 1
  - .args:
      - .offset:         0
        .size:           152
        .value_kind:     by_value
    .group_segment_fixed_size: 0
    .kernarg_segment_align: 8
    .kernarg_segment_size: 152
    .language:       OpenCL C
    .language_version:
      - 2
      - 0
    .max_flat_workgroup_size: 256
    .name:           _ZN7rocprim17ROCPRIM_400000_NS6detail17trampoline_kernelINS0_13select_configILj256ELj13ELNS0_17block_load_methodE3ELS4_3ELS4_3ELNS0_20block_scan_algorithmE0ELj4294967295EEENS1_25partition_config_selectorILNS1_17partition_subalgoE3EjNS0_10empty_typeEbEEZZNS1_14partition_implILS8_3ELb0ES6_jNS0_17counting_iteratorIjlEEPS9_SE_NS0_5tupleIJPjSE_EEENSF_IJSE_SE_EEES9_SG_JZNS1_25segmented_radix_sort_implINS0_14default_configELb1EPKbPbPKlPlN2at6native12_GLOBAL__N_18offset_tEEE10hipError_tPvRmT1_PNSt15iterator_traitsISY_E10value_typeET2_T3_PNSZ_IS14_E10value_typeET4_jRbjT5_S1A_jjP12ihipStream_tbEUljE_EEESV_SW_SX_S14_S18_S1A_T6_T7_T9_mT8_S1C_bDpT10_ENKUlT_T0_E_clISt17integral_constantIbLb0EES1O_IbLb1EEEEDaS1K_S1L_EUlS1K_E_NS1_11comp_targetILNS1_3genE10ELNS1_11target_archE1200ELNS1_3gpuE4ELNS1_3repE0EEENS1_30default_config_static_selectorELNS0_4arch9wavefront6targetE0EEEvSY_
    .private_segment_fixed_size: 0
    .sgpr_count:     0
    .sgpr_spill_count: 0
    .symbol:         _ZN7rocprim17ROCPRIM_400000_NS6detail17trampoline_kernelINS0_13select_configILj256ELj13ELNS0_17block_load_methodE3ELS4_3ELS4_3ELNS0_20block_scan_algorithmE0ELj4294967295EEENS1_25partition_config_selectorILNS1_17partition_subalgoE3EjNS0_10empty_typeEbEEZZNS1_14partition_implILS8_3ELb0ES6_jNS0_17counting_iteratorIjlEEPS9_SE_NS0_5tupleIJPjSE_EEENSF_IJSE_SE_EEES9_SG_JZNS1_25segmented_radix_sort_implINS0_14default_configELb1EPKbPbPKlPlN2at6native12_GLOBAL__N_18offset_tEEE10hipError_tPvRmT1_PNSt15iterator_traitsISY_E10value_typeET2_T3_PNSZ_IS14_E10value_typeET4_jRbjT5_S1A_jjP12ihipStream_tbEUljE_EEESV_SW_SX_S14_S18_S1A_T6_T7_T9_mT8_S1C_bDpT10_ENKUlT_T0_E_clISt17integral_constantIbLb0EES1O_IbLb1EEEEDaS1K_S1L_EUlS1K_E_NS1_11comp_targetILNS1_3genE10ELNS1_11target_archE1200ELNS1_3gpuE4ELNS1_3repE0EEENS1_30default_config_static_selectorELNS0_4arch9wavefront6targetE0EEEvSY_.kd
    .uniform_work_group_size: 1
    .uses_dynamic_stack: false
    .vgpr_count:     0
    .vgpr_spill_count: 0
    .wavefront_size: 32
    .workgroup_processor_mode: 1
  - .args:
      - .offset:         0
        .size:           152
        .value_kind:     by_value
    .group_segment_fixed_size: 13324
    .kernarg_segment_align: 8
    .kernarg_segment_size: 152
    .language:       OpenCL C
    .language_version:
      - 2
      - 0
    .max_flat_workgroup_size: 256
    .name:           _ZN7rocprim17ROCPRIM_400000_NS6detail17trampoline_kernelINS0_13select_configILj256ELj13ELNS0_17block_load_methodE3ELS4_3ELS4_3ELNS0_20block_scan_algorithmE0ELj4294967295EEENS1_25partition_config_selectorILNS1_17partition_subalgoE3EjNS0_10empty_typeEbEEZZNS1_14partition_implILS8_3ELb0ES6_jNS0_17counting_iteratorIjlEEPS9_SE_NS0_5tupleIJPjSE_EEENSF_IJSE_SE_EEES9_SG_JZNS1_25segmented_radix_sort_implINS0_14default_configELb1EPKbPbPKlPlN2at6native12_GLOBAL__N_18offset_tEEE10hipError_tPvRmT1_PNSt15iterator_traitsISY_E10value_typeET2_T3_PNSZ_IS14_E10value_typeET4_jRbjT5_S1A_jjP12ihipStream_tbEUljE_EEESV_SW_SX_S14_S18_S1A_T6_T7_T9_mT8_S1C_bDpT10_ENKUlT_T0_E_clISt17integral_constantIbLb0EES1O_IbLb1EEEEDaS1K_S1L_EUlS1K_E_NS1_11comp_targetILNS1_3genE9ELNS1_11target_archE1100ELNS1_3gpuE3ELNS1_3repE0EEENS1_30default_config_static_selectorELNS0_4arch9wavefront6targetE0EEEvSY_
    .private_segment_fixed_size: 0
    .sgpr_count:     28
    .sgpr_spill_count: 0
    .symbol:         _ZN7rocprim17ROCPRIM_400000_NS6detail17trampoline_kernelINS0_13select_configILj256ELj13ELNS0_17block_load_methodE3ELS4_3ELS4_3ELNS0_20block_scan_algorithmE0ELj4294967295EEENS1_25partition_config_selectorILNS1_17partition_subalgoE3EjNS0_10empty_typeEbEEZZNS1_14partition_implILS8_3ELb0ES6_jNS0_17counting_iteratorIjlEEPS9_SE_NS0_5tupleIJPjSE_EEENSF_IJSE_SE_EEES9_SG_JZNS1_25segmented_radix_sort_implINS0_14default_configELb1EPKbPbPKlPlN2at6native12_GLOBAL__N_18offset_tEEE10hipError_tPvRmT1_PNSt15iterator_traitsISY_E10value_typeET2_T3_PNSZ_IS14_E10value_typeET4_jRbjT5_S1A_jjP12ihipStream_tbEUljE_EEESV_SW_SX_S14_S18_S1A_T6_T7_T9_mT8_S1C_bDpT10_ENKUlT_T0_E_clISt17integral_constantIbLb0EES1O_IbLb1EEEEDaS1K_S1L_EUlS1K_E_NS1_11comp_targetILNS1_3genE9ELNS1_11target_archE1100ELNS1_3gpuE3ELNS1_3repE0EEENS1_30default_config_static_selectorELNS0_4arch9wavefront6targetE0EEEvSY_.kd
    .uniform_work_group_size: 1
    .uses_dynamic_stack: false
    .vgpr_count:     60
    .vgpr_spill_count: 0
    .wavefront_size: 32
    .workgroup_processor_mode: 1
  - .args:
      - .offset:         0
        .size:           152
        .value_kind:     by_value
    .group_segment_fixed_size: 0
    .kernarg_segment_align: 8
    .kernarg_segment_size: 152
    .language:       OpenCL C
    .language_version:
      - 2
      - 0
    .max_flat_workgroup_size: 256
    .name:           _ZN7rocprim17ROCPRIM_400000_NS6detail17trampoline_kernelINS0_13select_configILj256ELj13ELNS0_17block_load_methodE3ELS4_3ELS4_3ELNS0_20block_scan_algorithmE0ELj4294967295EEENS1_25partition_config_selectorILNS1_17partition_subalgoE3EjNS0_10empty_typeEbEEZZNS1_14partition_implILS8_3ELb0ES6_jNS0_17counting_iteratorIjlEEPS9_SE_NS0_5tupleIJPjSE_EEENSF_IJSE_SE_EEES9_SG_JZNS1_25segmented_radix_sort_implINS0_14default_configELb1EPKbPbPKlPlN2at6native12_GLOBAL__N_18offset_tEEE10hipError_tPvRmT1_PNSt15iterator_traitsISY_E10value_typeET2_T3_PNSZ_IS14_E10value_typeET4_jRbjT5_S1A_jjP12ihipStream_tbEUljE_EEESV_SW_SX_S14_S18_S1A_T6_T7_T9_mT8_S1C_bDpT10_ENKUlT_T0_E_clISt17integral_constantIbLb0EES1O_IbLb1EEEEDaS1K_S1L_EUlS1K_E_NS1_11comp_targetILNS1_3genE8ELNS1_11target_archE1030ELNS1_3gpuE2ELNS1_3repE0EEENS1_30default_config_static_selectorELNS0_4arch9wavefront6targetE0EEEvSY_
    .private_segment_fixed_size: 0
    .sgpr_count:     0
    .sgpr_spill_count: 0
    .symbol:         _ZN7rocprim17ROCPRIM_400000_NS6detail17trampoline_kernelINS0_13select_configILj256ELj13ELNS0_17block_load_methodE3ELS4_3ELS4_3ELNS0_20block_scan_algorithmE0ELj4294967295EEENS1_25partition_config_selectorILNS1_17partition_subalgoE3EjNS0_10empty_typeEbEEZZNS1_14partition_implILS8_3ELb0ES6_jNS0_17counting_iteratorIjlEEPS9_SE_NS0_5tupleIJPjSE_EEENSF_IJSE_SE_EEES9_SG_JZNS1_25segmented_radix_sort_implINS0_14default_configELb1EPKbPbPKlPlN2at6native12_GLOBAL__N_18offset_tEEE10hipError_tPvRmT1_PNSt15iterator_traitsISY_E10value_typeET2_T3_PNSZ_IS14_E10value_typeET4_jRbjT5_S1A_jjP12ihipStream_tbEUljE_EEESV_SW_SX_S14_S18_S1A_T6_T7_T9_mT8_S1C_bDpT10_ENKUlT_T0_E_clISt17integral_constantIbLb0EES1O_IbLb1EEEEDaS1K_S1L_EUlS1K_E_NS1_11comp_targetILNS1_3genE8ELNS1_11target_archE1030ELNS1_3gpuE2ELNS1_3repE0EEENS1_30default_config_static_selectorELNS0_4arch9wavefront6targetE0EEEvSY_.kd
    .uniform_work_group_size: 1
    .uses_dynamic_stack: false
    .vgpr_count:     0
    .vgpr_spill_count: 0
    .wavefront_size: 32
    .workgroup_processor_mode: 1
  - .args:
      - .offset:         0
        .size:           96
        .value_kind:     by_value
    .group_segment_fixed_size: 0
    .kernarg_segment_align: 8
    .kernarg_segment_size: 96
    .language:       OpenCL C
    .language_version:
      - 2
      - 0
    .max_flat_workgroup_size: 256
    .name:           _ZN7rocprim17ROCPRIM_400000_NS6detail17trampoline_kernelINS0_14default_configENS1_36segmented_radix_sort_config_selectorIblEEZNS1_25segmented_radix_sort_implIS3_Lb1EPKbPbPKlPlN2at6native12_GLOBAL__N_18offset_tEEE10hipError_tPvRmT1_PNSt15iterator_traitsISK_E10value_typeET2_T3_PNSL_ISQ_E10value_typeET4_jRbjT5_SW_jjP12ihipStream_tbEUlT_E_NS1_11comp_targetILNS1_3genE0ELNS1_11target_archE4294967295ELNS1_3gpuE0ELNS1_3repE0EEENS1_30default_config_static_selectorELNS0_4arch9wavefront6targetE0EEEvSK_
    .private_segment_fixed_size: 0
    .sgpr_count:     0
    .sgpr_spill_count: 0
    .symbol:         _ZN7rocprim17ROCPRIM_400000_NS6detail17trampoline_kernelINS0_14default_configENS1_36segmented_radix_sort_config_selectorIblEEZNS1_25segmented_radix_sort_implIS3_Lb1EPKbPbPKlPlN2at6native12_GLOBAL__N_18offset_tEEE10hipError_tPvRmT1_PNSt15iterator_traitsISK_E10value_typeET2_T3_PNSL_ISQ_E10value_typeET4_jRbjT5_SW_jjP12ihipStream_tbEUlT_E_NS1_11comp_targetILNS1_3genE0ELNS1_11target_archE4294967295ELNS1_3gpuE0ELNS1_3repE0EEENS1_30default_config_static_selectorELNS0_4arch9wavefront6targetE0EEEvSK_.kd
    .uniform_work_group_size: 1
    .uses_dynamic_stack: false
    .vgpr_count:     0
    .vgpr_spill_count: 0
    .wavefront_size: 32
    .workgroup_processor_mode: 1
  - .args:
      - .offset:         0
        .size:           96
        .value_kind:     by_value
    .group_segment_fixed_size: 0
    .kernarg_segment_align: 8
    .kernarg_segment_size: 96
    .language:       OpenCL C
    .language_version:
      - 2
      - 0
    .max_flat_workgroup_size: 256
    .name:           _ZN7rocprim17ROCPRIM_400000_NS6detail17trampoline_kernelINS0_14default_configENS1_36segmented_radix_sort_config_selectorIblEEZNS1_25segmented_radix_sort_implIS3_Lb1EPKbPbPKlPlN2at6native12_GLOBAL__N_18offset_tEEE10hipError_tPvRmT1_PNSt15iterator_traitsISK_E10value_typeET2_T3_PNSL_ISQ_E10value_typeET4_jRbjT5_SW_jjP12ihipStream_tbEUlT_E_NS1_11comp_targetILNS1_3genE5ELNS1_11target_archE942ELNS1_3gpuE9ELNS1_3repE0EEENS1_30default_config_static_selectorELNS0_4arch9wavefront6targetE0EEEvSK_
    .private_segment_fixed_size: 0
    .sgpr_count:     0
    .sgpr_spill_count: 0
    .symbol:         _ZN7rocprim17ROCPRIM_400000_NS6detail17trampoline_kernelINS0_14default_configENS1_36segmented_radix_sort_config_selectorIblEEZNS1_25segmented_radix_sort_implIS3_Lb1EPKbPbPKlPlN2at6native12_GLOBAL__N_18offset_tEEE10hipError_tPvRmT1_PNSt15iterator_traitsISK_E10value_typeET2_T3_PNSL_ISQ_E10value_typeET4_jRbjT5_SW_jjP12ihipStream_tbEUlT_E_NS1_11comp_targetILNS1_3genE5ELNS1_11target_archE942ELNS1_3gpuE9ELNS1_3repE0EEENS1_30default_config_static_selectorELNS0_4arch9wavefront6targetE0EEEvSK_.kd
    .uniform_work_group_size: 1
    .uses_dynamic_stack: false
    .vgpr_count:     0
    .vgpr_spill_count: 0
    .wavefront_size: 32
    .workgroup_processor_mode: 1
  - .args:
      - .offset:         0
        .size:           96
        .value_kind:     by_value
    .group_segment_fixed_size: 0
    .kernarg_segment_align: 8
    .kernarg_segment_size: 96
    .language:       OpenCL C
    .language_version:
      - 2
      - 0
    .max_flat_workgroup_size: 256
    .name:           _ZN7rocprim17ROCPRIM_400000_NS6detail17trampoline_kernelINS0_14default_configENS1_36segmented_radix_sort_config_selectorIblEEZNS1_25segmented_radix_sort_implIS3_Lb1EPKbPbPKlPlN2at6native12_GLOBAL__N_18offset_tEEE10hipError_tPvRmT1_PNSt15iterator_traitsISK_E10value_typeET2_T3_PNSL_ISQ_E10value_typeET4_jRbjT5_SW_jjP12ihipStream_tbEUlT_E_NS1_11comp_targetILNS1_3genE4ELNS1_11target_archE910ELNS1_3gpuE8ELNS1_3repE0EEENS1_30default_config_static_selectorELNS0_4arch9wavefront6targetE0EEEvSK_
    .private_segment_fixed_size: 0
    .sgpr_count:     0
    .sgpr_spill_count: 0
    .symbol:         _ZN7rocprim17ROCPRIM_400000_NS6detail17trampoline_kernelINS0_14default_configENS1_36segmented_radix_sort_config_selectorIblEEZNS1_25segmented_radix_sort_implIS3_Lb1EPKbPbPKlPlN2at6native12_GLOBAL__N_18offset_tEEE10hipError_tPvRmT1_PNSt15iterator_traitsISK_E10value_typeET2_T3_PNSL_ISQ_E10value_typeET4_jRbjT5_SW_jjP12ihipStream_tbEUlT_E_NS1_11comp_targetILNS1_3genE4ELNS1_11target_archE910ELNS1_3gpuE8ELNS1_3repE0EEENS1_30default_config_static_selectorELNS0_4arch9wavefront6targetE0EEEvSK_.kd
    .uniform_work_group_size: 1
    .uses_dynamic_stack: false
    .vgpr_count:     0
    .vgpr_spill_count: 0
    .wavefront_size: 32
    .workgroup_processor_mode: 1
  - .args:
      - .offset:         0
        .size:           96
        .value_kind:     by_value
    .group_segment_fixed_size: 0
    .kernarg_segment_align: 8
    .kernarg_segment_size: 96
    .language:       OpenCL C
    .language_version:
      - 2
      - 0
    .max_flat_workgroup_size: 256
    .name:           _ZN7rocprim17ROCPRIM_400000_NS6detail17trampoline_kernelINS0_14default_configENS1_36segmented_radix_sort_config_selectorIblEEZNS1_25segmented_radix_sort_implIS3_Lb1EPKbPbPKlPlN2at6native12_GLOBAL__N_18offset_tEEE10hipError_tPvRmT1_PNSt15iterator_traitsISK_E10value_typeET2_T3_PNSL_ISQ_E10value_typeET4_jRbjT5_SW_jjP12ihipStream_tbEUlT_E_NS1_11comp_targetILNS1_3genE3ELNS1_11target_archE908ELNS1_3gpuE7ELNS1_3repE0EEENS1_30default_config_static_selectorELNS0_4arch9wavefront6targetE0EEEvSK_
    .private_segment_fixed_size: 0
    .sgpr_count:     0
    .sgpr_spill_count: 0
    .symbol:         _ZN7rocprim17ROCPRIM_400000_NS6detail17trampoline_kernelINS0_14default_configENS1_36segmented_radix_sort_config_selectorIblEEZNS1_25segmented_radix_sort_implIS3_Lb1EPKbPbPKlPlN2at6native12_GLOBAL__N_18offset_tEEE10hipError_tPvRmT1_PNSt15iterator_traitsISK_E10value_typeET2_T3_PNSL_ISQ_E10value_typeET4_jRbjT5_SW_jjP12ihipStream_tbEUlT_E_NS1_11comp_targetILNS1_3genE3ELNS1_11target_archE908ELNS1_3gpuE7ELNS1_3repE0EEENS1_30default_config_static_selectorELNS0_4arch9wavefront6targetE0EEEvSK_.kd
    .uniform_work_group_size: 1
    .uses_dynamic_stack: false
    .vgpr_count:     0
    .vgpr_spill_count: 0
    .wavefront_size: 32
    .workgroup_processor_mode: 1
  - .args:
      - .offset:         0
        .size:           96
        .value_kind:     by_value
    .group_segment_fixed_size: 0
    .kernarg_segment_align: 8
    .kernarg_segment_size: 96
    .language:       OpenCL C
    .language_version:
      - 2
      - 0
    .max_flat_workgroup_size: 256
    .name:           _ZN7rocprim17ROCPRIM_400000_NS6detail17trampoline_kernelINS0_14default_configENS1_36segmented_radix_sort_config_selectorIblEEZNS1_25segmented_radix_sort_implIS3_Lb1EPKbPbPKlPlN2at6native12_GLOBAL__N_18offset_tEEE10hipError_tPvRmT1_PNSt15iterator_traitsISK_E10value_typeET2_T3_PNSL_ISQ_E10value_typeET4_jRbjT5_SW_jjP12ihipStream_tbEUlT_E_NS1_11comp_targetILNS1_3genE2ELNS1_11target_archE906ELNS1_3gpuE6ELNS1_3repE0EEENS1_30default_config_static_selectorELNS0_4arch9wavefront6targetE0EEEvSK_
    .private_segment_fixed_size: 0
    .sgpr_count:     0
    .sgpr_spill_count: 0
    .symbol:         _ZN7rocprim17ROCPRIM_400000_NS6detail17trampoline_kernelINS0_14default_configENS1_36segmented_radix_sort_config_selectorIblEEZNS1_25segmented_radix_sort_implIS3_Lb1EPKbPbPKlPlN2at6native12_GLOBAL__N_18offset_tEEE10hipError_tPvRmT1_PNSt15iterator_traitsISK_E10value_typeET2_T3_PNSL_ISQ_E10value_typeET4_jRbjT5_SW_jjP12ihipStream_tbEUlT_E_NS1_11comp_targetILNS1_3genE2ELNS1_11target_archE906ELNS1_3gpuE6ELNS1_3repE0EEENS1_30default_config_static_selectorELNS0_4arch9wavefront6targetE0EEEvSK_.kd
    .uniform_work_group_size: 1
    .uses_dynamic_stack: false
    .vgpr_count:     0
    .vgpr_spill_count: 0
    .wavefront_size: 32
    .workgroup_processor_mode: 1
  - .args:
      - .offset:         0
        .size:           96
        .value_kind:     by_value
    .group_segment_fixed_size: 0
    .kernarg_segment_align: 8
    .kernarg_segment_size: 96
    .language:       OpenCL C
    .language_version:
      - 2
      - 0
    .max_flat_workgroup_size: 256
    .name:           _ZN7rocprim17ROCPRIM_400000_NS6detail17trampoline_kernelINS0_14default_configENS1_36segmented_radix_sort_config_selectorIblEEZNS1_25segmented_radix_sort_implIS3_Lb1EPKbPbPKlPlN2at6native12_GLOBAL__N_18offset_tEEE10hipError_tPvRmT1_PNSt15iterator_traitsISK_E10value_typeET2_T3_PNSL_ISQ_E10value_typeET4_jRbjT5_SW_jjP12ihipStream_tbEUlT_E_NS1_11comp_targetILNS1_3genE10ELNS1_11target_archE1201ELNS1_3gpuE5ELNS1_3repE0EEENS1_30default_config_static_selectorELNS0_4arch9wavefront6targetE0EEEvSK_
    .private_segment_fixed_size: 0
    .sgpr_count:     0
    .sgpr_spill_count: 0
    .symbol:         _ZN7rocprim17ROCPRIM_400000_NS6detail17trampoline_kernelINS0_14default_configENS1_36segmented_radix_sort_config_selectorIblEEZNS1_25segmented_radix_sort_implIS3_Lb1EPKbPbPKlPlN2at6native12_GLOBAL__N_18offset_tEEE10hipError_tPvRmT1_PNSt15iterator_traitsISK_E10value_typeET2_T3_PNSL_ISQ_E10value_typeET4_jRbjT5_SW_jjP12ihipStream_tbEUlT_E_NS1_11comp_targetILNS1_3genE10ELNS1_11target_archE1201ELNS1_3gpuE5ELNS1_3repE0EEENS1_30default_config_static_selectorELNS0_4arch9wavefront6targetE0EEEvSK_.kd
    .uniform_work_group_size: 1
    .uses_dynamic_stack: false
    .vgpr_count:     0
    .vgpr_spill_count: 0
    .wavefront_size: 32
    .workgroup_processor_mode: 1
  - .args:
      - .offset:         0
        .size:           96
        .value_kind:     by_value
    .group_segment_fixed_size: 0
    .kernarg_segment_align: 8
    .kernarg_segment_size: 96
    .language:       OpenCL C
    .language_version:
      - 2
      - 0
    .max_flat_workgroup_size: 128
    .name:           _ZN7rocprim17ROCPRIM_400000_NS6detail17trampoline_kernelINS0_14default_configENS1_36segmented_radix_sort_config_selectorIblEEZNS1_25segmented_radix_sort_implIS3_Lb1EPKbPbPKlPlN2at6native12_GLOBAL__N_18offset_tEEE10hipError_tPvRmT1_PNSt15iterator_traitsISK_E10value_typeET2_T3_PNSL_ISQ_E10value_typeET4_jRbjT5_SW_jjP12ihipStream_tbEUlT_E_NS1_11comp_targetILNS1_3genE10ELNS1_11target_archE1200ELNS1_3gpuE4ELNS1_3repE0EEENS1_30default_config_static_selectorELNS0_4arch9wavefront6targetE0EEEvSK_
    .private_segment_fixed_size: 0
    .sgpr_count:     0
    .sgpr_spill_count: 0
    .symbol:         _ZN7rocprim17ROCPRIM_400000_NS6detail17trampoline_kernelINS0_14default_configENS1_36segmented_radix_sort_config_selectorIblEEZNS1_25segmented_radix_sort_implIS3_Lb1EPKbPbPKlPlN2at6native12_GLOBAL__N_18offset_tEEE10hipError_tPvRmT1_PNSt15iterator_traitsISK_E10value_typeET2_T3_PNSL_ISQ_E10value_typeET4_jRbjT5_SW_jjP12ihipStream_tbEUlT_E_NS1_11comp_targetILNS1_3genE10ELNS1_11target_archE1200ELNS1_3gpuE4ELNS1_3repE0EEENS1_30default_config_static_selectorELNS0_4arch9wavefront6targetE0EEEvSK_.kd
    .uniform_work_group_size: 1
    .uses_dynamic_stack: false
    .vgpr_count:     0
    .vgpr_spill_count: 0
    .wavefront_size: 32
    .workgroup_processor_mode: 1
  - .args:
      - .offset:         0
        .size:           96
        .value_kind:     by_value
      - .offset:         96
        .size:           4
        .value_kind:     hidden_block_count_x
      - .offset:         100
        .size:           4
        .value_kind:     hidden_block_count_y
      - .offset:         104
        .size:           4
        .value_kind:     hidden_block_count_z
      - .offset:         108
        .size:           2
        .value_kind:     hidden_group_size_x
      - .offset:         110
        .size:           2
        .value_kind:     hidden_group_size_y
      - .offset:         112
        .size:           2
        .value_kind:     hidden_group_size_z
      - .offset:         114
        .size:           2
        .value_kind:     hidden_remainder_x
      - .offset:         116
        .size:           2
        .value_kind:     hidden_remainder_y
      - .offset:         118
        .size:           2
        .value_kind:     hidden_remainder_z
      - .offset:         136
        .size:           8
        .value_kind:     hidden_global_offset_x
      - .offset:         144
        .size:           8
        .value_kind:     hidden_global_offset_y
      - .offset:         152
        .size:           8
        .value_kind:     hidden_global_offset_z
      - .offset:         160
        .size:           2
        .value_kind:     hidden_grid_dims
    .group_segment_fixed_size: 17440
    .kernarg_segment_align: 8
    .kernarg_segment_size: 352
    .language:       OpenCL C
    .language_version:
      - 2
      - 0
    .max_flat_workgroup_size: 256
    .name:           _ZN7rocprim17ROCPRIM_400000_NS6detail17trampoline_kernelINS0_14default_configENS1_36segmented_radix_sort_config_selectorIblEEZNS1_25segmented_radix_sort_implIS3_Lb1EPKbPbPKlPlN2at6native12_GLOBAL__N_18offset_tEEE10hipError_tPvRmT1_PNSt15iterator_traitsISK_E10value_typeET2_T3_PNSL_ISQ_E10value_typeET4_jRbjT5_SW_jjP12ihipStream_tbEUlT_E_NS1_11comp_targetILNS1_3genE9ELNS1_11target_archE1100ELNS1_3gpuE3ELNS1_3repE0EEENS1_30default_config_static_selectorELNS0_4arch9wavefront6targetE0EEEvSK_
    .private_segment_fixed_size: 0
    .sgpr_count:     56
    .sgpr_spill_count: 0
    .symbol:         _ZN7rocprim17ROCPRIM_400000_NS6detail17trampoline_kernelINS0_14default_configENS1_36segmented_radix_sort_config_selectorIblEEZNS1_25segmented_radix_sort_implIS3_Lb1EPKbPbPKlPlN2at6native12_GLOBAL__N_18offset_tEEE10hipError_tPvRmT1_PNSt15iterator_traitsISK_E10value_typeET2_T3_PNSL_ISQ_E10value_typeET4_jRbjT5_SW_jjP12ihipStream_tbEUlT_E_NS1_11comp_targetILNS1_3genE9ELNS1_11target_archE1100ELNS1_3gpuE3ELNS1_3repE0EEENS1_30default_config_static_selectorELNS0_4arch9wavefront6targetE0EEEvSK_.kd
    .uniform_work_group_size: 1
    .uses_dynamic_stack: false
    .vgpr_count:     183
    .vgpr_spill_count: 0
    .wavefront_size: 32
    .workgroup_processor_mode: 1
  - .args:
      - .offset:         0
        .size:           96
        .value_kind:     by_value
    .group_segment_fixed_size: 0
    .kernarg_segment_align: 8
    .kernarg_segment_size: 96
    .language:       OpenCL C
    .language_version:
      - 2
      - 0
    .max_flat_workgroup_size: 256
    .name:           _ZN7rocprim17ROCPRIM_400000_NS6detail17trampoline_kernelINS0_14default_configENS1_36segmented_radix_sort_config_selectorIblEEZNS1_25segmented_radix_sort_implIS3_Lb1EPKbPbPKlPlN2at6native12_GLOBAL__N_18offset_tEEE10hipError_tPvRmT1_PNSt15iterator_traitsISK_E10value_typeET2_T3_PNSL_ISQ_E10value_typeET4_jRbjT5_SW_jjP12ihipStream_tbEUlT_E_NS1_11comp_targetILNS1_3genE8ELNS1_11target_archE1030ELNS1_3gpuE2ELNS1_3repE0EEENS1_30default_config_static_selectorELNS0_4arch9wavefront6targetE0EEEvSK_
    .private_segment_fixed_size: 0
    .sgpr_count:     0
    .sgpr_spill_count: 0
    .symbol:         _ZN7rocprim17ROCPRIM_400000_NS6detail17trampoline_kernelINS0_14default_configENS1_36segmented_radix_sort_config_selectorIblEEZNS1_25segmented_radix_sort_implIS3_Lb1EPKbPbPKlPlN2at6native12_GLOBAL__N_18offset_tEEE10hipError_tPvRmT1_PNSt15iterator_traitsISK_E10value_typeET2_T3_PNSL_ISQ_E10value_typeET4_jRbjT5_SW_jjP12ihipStream_tbEUlT_E_NS1_11comp_targetILNS1_3genE8ELNS1_11target_archE1030ELNS1_3gpuE2ELNS1_3repE0EEENS1_30default_config_static_selectorELNS0_4arch9wavefront6targetE0EEEvSK_.kd
    .uniform_work_group_size: 1
    .uses_dynamic_stack: false
    .vgpr_count:     0
    .vgpr_spill_count: 0
    .wavefront_size: 32
    .workgroup_processor_mode: 1
  - .args:
      - .offset:         0
        .size:           88
        .value_kind:     by_value
    .group_segment_fixed_size: 0
    .kernarg_segment_align: 8
    .kernarg_segment_size: 88
    .language:       OpenCL C
    .language_version:
      - 2
      - 0
    .max_flat_workgroup_size: 256
    .name:           _ZN7rocprim17ROCPRIM_400000_NS6detail17trampoline_kernelINS0_14default_configENS1_36segmented_radix_sort_config_selectorIblEEZNS1_25segmented_radix_sort_implIS3_Lb1EPKbPbPKlPlN2at6native12_GLOBAL__N_18offset_tEEE10hipError_tPvRmT1_PNSt15iterator_traitsISK_E10value_typeET2_T3_PNSL_ISQ_E10value_typeET4_jRbjT5_SW_jjP12ihipStream_tbEUlT_E0_NS1_11comp_targetILNS1_3genE0ELNS1_11target_archE4294967295ELNS1_3gpuE0ELNS1_3repE0EEENS1_60segmented_radix_sort_warp_sort_medium_config_static_selectorELNS0_4arch9wavefront6targetE0EEEvSK_
    .private_segment_fixed_size: 0
    .sgpr_count:     0
    .sgpr_spill_count: 0
    .symbol:         _ZN7rocprim17ROCPRIM_400000_NS6detail17trampoline_kernelINS0_14default_configENS1_36segmented_radix_sort_config_selectorIblEEZNS1_25segmented_radix_sort_implIS3_Lb1EPKbPbPKlPlN2at6native12_GLOBAL__N_18offset_tEEE10hipError_tPvRmT1_PNSt15iterator_traitsISK_E10value_typeET2_T3_PNSL_ISQ_E10value_typeET4_jRbjT5_SW_jjP12ihipStream_tbEUlT_E0_NS1_11comp_targetILNS1_3genE0ELNS1_11target_archE4294967295ELNS1_3gpuE0ELNS1_3repE0EEENS1_60segmented_radix_sort_warp_sort_medium_config_static_selectorELNS0_4arch9wavefront6targetE0EEEvSK_.kd
    .uniform_work_group_size: 1
    .uses_dynamic_stack: false
    .vgpr_count:     0
    .vgpr_spill_count: 0
    .wavefront_size: 32
    .workgroup_processor_mode: 1
  - .args:
      - .offset:         0
        .size:           88
        .value_kind:     by_value
    .group_segment_fixed_size: 0
    .kernarg_segment_align: 8
    .kernarg_segment_size: 88
    .language:       OpenCL C
    .language_version:
      - 2
      - 0
    .max_flat_workgroup_size: 256
    .name:           _ZN7rocprim17ROCPRIM_400000_NS6detail17trampoline_kernelINS0_14default_configENS1_36segmented_radix_sort_config_selectorIblEEZNS1_25segmented_radix_sort_implIS3_Lb1EPKbPbPKlPlN2at6native12_GLOBAL__N_18offset_tEEE10hipError_tPvRmT1_PNSt15iterator_traitsISK_E10value_typeET2_T3_PNSL_ISQ_E10value_typeET4_jRbjT5_SW_jjP12ihipStream_tbEUlT_E0_NS1_11comp_targetILNS1_3genE5ELNS1_11target_archE942ELNS1_3gpuE9ELNS1_3repE0EEENS1_60segmented_radix_sort_warp_sort_medium_config_static_selectorELNS0_4arch9wavefront6targetE0EEEvSK_
    .private_segment_fixed_size: 0
    .sgpr_count:     0
    .sgpr_spill_count: 0
    .symbol:         _ZN7rocprim17ROCPRIM_400000_NS6detail17trampoline_kernelINS0_14default_configENS1_36segmented_radix_sort_config_selectorIblEEZNS1_25segmented_radix_sort_implIS3_Lb1EPKbPbPKlPlN2at6native12_GLOBAL__N_18offset_tEEE10hipError_tPvRmT1_PNSt15iterator_traitsISK_E10value_typeET2_T3_PNSL_ISQ_E10value_typeET4_jRbjT5_SW_jjP12ihipStream_tbEUlT_E0_NS1_11comp_targetILNS1_3genE5ELNS1_11target_archE942ELNS1_3gpuE9ELNS1_3repE0EEENS1_60segmented_radix_sort_warp_sort_medium_config_static_selectorELNS0_4arch9wavefront6targetE0EEEvSK_.kd
    .uniform_work_group_size: 1
    .uses_dynamic_stack: false
    .vgpr_count:     0
    .vgpr_spill_count: 0
    .wavefront_size: 32
    .workgroup_processor_mode: 1
  - .args:
      - .offset:         0
        .size:           88
        .value_kind:     by_value
    .group_segment_fixed_size: 0
    .kernarg_segment_align: 8
    .kernarg_segment_size: 88
    .language:       OpenCL C
    .language_version:
      - 2
      - 0
    .max_flat_workgroup_size: 256
    .name:           _ZN7rocprim17ROCPRIM_400000_NS6detail17trampoline_kernelINS0_14default_configENS1_36segmented_radix_sort_config_selectorIblEEZNS1_25segmented_radix_sort_implIS3_Lb1EPKbPbPKlPlN2at6native12_GLOBAL__N_18offset_tEEE10hipError_tPvRmT1_PNSt15iterator_traitsISK_E10value_typeET2_T3_PNSL_ISQ_E10value_typeET4_jRbjT5_SW_jjP12ihipStream_tbEUlT_E0_NS1_11comp_targetILNS1_3genE4ELNS1_11target_archE910ELNS1_3gpuE8ELNS1_3repE0EEENS1_60segmented_radix_sort_warp_sort_medium_config_static_selectorELNS0_4arch9wavefront6targetE0EEEvSK_
    .private_segment_fixed_size: 0
    .sgpr_count:     0
    .sgpr_spill_count: 0
    .symbol:         _ZN7rocprim17ROCPRIM_400000_NS6detail17trampoline_kernelINS0_14default_configENS1_36segmented_radix_sort_config_selectorIblEEZNS1_25segmented_radix_sort_implIS3_Lb1EPKbPbPKlPlN2at6native12_GLOBAL__N_18offset_tEEE10hipError_tPvRmT1_PNSt15iterator_traitsISK_E10value_typeET2_T3_PNSL_ISQ_E10value_typeET4_jRbjT5_SW_jjP12ihipStream_tbEUlT_E0_NS1_11comp_targetILNS1_3genE4ELNS1_11target_archE910ELNS1_3gpuE8ELNS1_3repE0EEENS1_60segmented_radix_sort_warp_sort_medium_config_static_selectorELNS0_4arch9wavefront6targetE0EEEvSK_.kd
    .uniform_work_group_size: 1
    .uses_dynamic_stack: false
    .vgpr_count:     0
    .vgpr_spill_count: 0
    .wavefront_size: 32
    .workgroup_processor_mode: 1
  - .args:
      - .offset:         0
        .size:           88
        .value_kind:     by_value
    .group_segment_fixed_size: 0
    .kernarg_segment_align: 8
    .kernarg_segment_size: 88
    .language:       OpenCL C
    .language_version:
      - 2
      - 0
    .max_flat_workgroup_size: 256
    .name:           _ZN7rocprim17ROCPRIM_400000_NS6detail17trampoline_kernelINS0_14default_configENS1_36segmented_radix_sort_config_selectorIblEEZNS1_25segmented_radix_sort_implIS3_Lb1EPKbPbPKlPlN2at6native12_GLOBAL__N_18offset_tEEE10hipError_tPvRmT1_PNSt15iterator_traitsISK_E10value_typeET2_T3_PNSL_ISQ_E10value_typeET4_jRbjT5_SW_jjP12ihipStream_tbEUlT_E0_NS1_11comp_targetILNS1_3genE3ELNS1_11target_archE908ELNS1_3gpuE7ELNS1_3repE0EEENS1_60segmented_radix_sort_warp_sort_medium_config_static_selectorELNS0_4arch9wavefront6targetE0EEEvSK_
    .private_segment_fixed_size: 0
    .sgpr_count:     0
    .sgpr_spill_count: 0
    .symbol:         _ZN7rocprim17ROCPRIM_400000_NS6detail17trampoline_kernelINS0_14default_configENS1_36segmented_radix_sort_config_selectorIblEEZNS1_25segmented_radix_sort_implIS3_Lb1EPKbPbPKlPlN2at6native12_GLOBAL__N_18offset_tEEE10hipError_tPvRmT1_PNSt15iterator_traitsISK_E10value_typeET2_T3_PNSL_ISQ_E10value_typeET4_jRbjT5_SW_jjP12ihipStream_tbEUlT_E0_NS1_11comp_targetILNS1_3genE3ELNS1_11target_archE908ELNS1_3gpuE7ELNS1_3repE0EEENS1_60segmented_radix_sort_warp_sort_medium_config_static_selectorELNS0_4arch9wavefront6targetE0EEEvSK_.kd
    .uniform_work_group_size: 1
    .uses_dynamic_stack: false
    .vgpr_count:     0
    .vgpr_spill_count: 0
    .wavefront_size: 32
    .workgroup_processor_mode: 1
  - .args:
      - .offset:         0
        .size:           88
        .value_kind:     by_value
    .group_segment_fixed_size: 0
    .kernarg_segment_align: 8
    .kernarg_segment_size: 88
    .language:       OpenCL C
    .language_version:
      - 2
      - 0
    .max_flat_workgroup_size: 256
    .name:           _ZN7rocprim17ROCPRIM_400000_NS6detail17trampoline_kernelINS0_14default_configENS1_36segmented_radix_sort_config_selectorIblEEZNS1_25segmented_radix_sort_implIS3_Lb1EPKbPbPKlPlN2at6native12_GLOBAL__N_18offset_tEEE10hipError_tPvRmT1_PNSt15iterator_traitsISK_E10value_typeET2_T3_PNSL_ISQ_E10value_typeET4_jRbjT5_SW_jjP12ihipStream_tbEUlT_E0_NS1_11comp_targetILNS1_3genE2ELNS1_11target_archE906ELNS1_3gpuE6ELNS1_3repE0EEENS1_60segmented_radix_sort_warp_sort_medium_config_static_selectorELNS0_4arch9wavefront6targetE0EEEvSK_
    .private_segment_fixed_size: 0
    .sgpr_count:     0
    .sgpr_spill_count: 0
    .symbol:         _ZN7rocprim17ROCPRIM_400000_NS6detail17trampoline_kernelINS0_14default_configENS1_36segmented_radix_sort_config_selectorIblEEZNS1_25segmented_radix_sort_implIS3_Lb1EPKbPbPKlPlN2at6native12_GLOBAL__N_18offset_tEEE10hipError_tPvRmT1_PNSt15iterator_traitsISK_E10value_typeET2_T3_PNSL_ISQ_E10value_typeET4_jRbjT5_SW_jjP12ihipStream_tbEUlT_E0_NS1_11comp_targetILNS1_3genE2ELNS1_11target_archE906ELNS1_3gpuE6ELNS1_3repE0EEENS1_60segmented_radix_sort_warp_sort_medium_config_static_selectorELNS0_4arch9wavefront6targetE0EEEvSK_.kd
    .uniform_work_group_size: 1
    .uses_dynamic_stack: false
    .vgpr_count:     0
    .vgpr_spill_count: 0
    .wavefront_size: 32
    .workgroup_processor_mode: 1
  - .args:
      - .offset:         0
        .size:           88
        .value_kind:     by_value
    .group_segment_fixed_size: 0
    .kernarg_segment_align: 8
    .kernarg_segment_size: 88
    .language:       OpenCL C
    .language_version:
      - 2
      - 0
    .max_flat_workgroup_size: 256
    .name:           _ZN7rocprim17ROCPRIM_400000_NS6detail17trampoline_kernelINS0_14default_configENS1_36segmented_radix_sort_config_selectorIblEEZNS1_25segmented_radix_sort_implIS3_Lb1EPKbPbPKlPlN2at6native12_GLOBAL__N_18offset_tEEE10hipError_tPvRmT1_PNSt15iterator_traitsISK_E10value_typeET2_T3_PNSL_ISQ_E10value_typeET4_jRbjT5_SW_jjP12ihipStream_tbEUlT_E0_NS1_11comp_targetILNS1_3genE10ELNS1_11target_archE1201ELNS1_3gpuE5ELNS1_3repE0EEENS1_60segmented_radix_sort_warp_sort_medium_config_static_selectorELNS0_4arch9wavefront6targetE0EEEvSK_
    .private_segment_fixed_size: 0
    .sgpr_count:     0
    .sgpr_spill_count: 0
    .symbol:         _ZN7rocprim17ROCPRIM_400000_NS6detail17trampoline_kernelINS0_14default_configENS1_36segmented_radix_sort_config_selectorIblEEZNS1_25segmented_radix_sort_implIS3_Lb1EPKbPbPKlPlN2at6native12_GLOBAL__N_18offset_tEEE10hipError_tPvRmT1_PNSt15iterator_traitsISK_E10value_typeET2_T3_PNSL_ISQ_E10value_typeET4_jRbjT5_SW_jjP12ihipStream_tbEUlT_E0_NS1_11comp_targetILNS1_3genE10ELNS1_11target_archE1201ELNS1_3gpuE5ELNS1_3repE0EEENS1_60segmented_radix_sort_warp_sort_medium_config_static_selectorELNS0_4arch9wavefront6targetE0EEEvSK_.kd
    .uniform_work_group_size: 1
    .uses_dynamic_stack: false
    .vgpr_count:     0
    .vgpr_spill_count: 0
    .wavefront_size: 32
    .workgroup_processor_mode: 1
  - .args:
      - .offset:         0
        .size:           88
        .value_kind:     by_value
    .group_segment_fixed_size: 0
    .kernarg_segment_align: 8
    .kernarg_segment_size: 88
    .language:       OpenCL C
    .language_version:
      - 2
      - 0
    .max_flat_workgroup_size: 256
    .name:           _ZN7rocprim17ROCPRIM_400000_NS6detail17trampoline_kernelINS0_14default_configENS1_36segmented_radix_sort_config_selectorIblEEZNS1_25segmented_radix_sort_implIS3_Lb1EPKbPbPKlPlN2at6native12_GLOBAL__N_18offset_tEEE10hipError_tPvRmT1_PNSt15iterator_traitsISK_E10value_typeET2_T3_PNSL_ISQ_E10value_typeET4_jRbjT5_SW_jjP12ihipStream_tbEUlT_E0_NS1_11comp_targetILNS1_3genE10ELNS1_11target_archE1200ELNS1_3gpuE4ELNS1_3repE0EEENS1_60segmented_radix_sort_warp_sort_medium_config_static_selectorELNS0_4arch9wavefront6targetE0EEEvSK_
    .private_segment_fixed_size: 0
    .sgpr_count:     0
    .sgpr_spill_count: 0
    .symbol:         _ZN7rocprim17ROCPRIM_400000_NS6detail17trampoline_kernelINS0_14default_configENS1_36segmented_radix_sort_config_selectorIblEEZNS1_25segmented_radix_sort_implIS3_Lb1EPKbPbPKlPlN2at6native12_GLOBAL__N_18offset_tEEE10hipError_tPvRmT1_PNSt15iterator_traitsISK_E10value_typeET2_T3_PNSL_ISQ_E10value_typeET4_jRbjT5_SW_jjP12ihipStream_tbEUlT_E0_NS1_11comp_targetILNS1_3genE10ELNS1_11target_archE1200ELNS1_3gpuE4ELNS1_3repE0EEENS1_60segmented_radix_sort_warp_sort_medium_config_static_selectorELNS0_4arch9wavefront6targetE0EEEvSK_.kd
    .uniform_work_group_size: 1
    .uses_dynamic_stack: false
    .vgpr_count:     0
    .vgpr_spill_count: 0
    .wavefront_size: 32
    .workgroup_processor_mode: 1
  - .args:
      - .offset:         0
        .size:           88
        .value_kind:     by_value
      - .offset:         88
        .size:           4
        .value_kind:     hidden_block_count_x
      - .offset:         92
        .size:           4
        .value_kind:     hidden_block_count_y
      - .offset:         96
        .size:           4
        .value_kind:     hidden_block_count_z
      - .offset:         100
        .size:           2
        .value_kind:     hidden_group_size_x
      - .offset:         102
        .size:           2
        .value_kind:     hidden_group_size_y
      - .offset:         104
        .size:           2
        .value_kind:     hidden_group_size_z
      - .offset:         106
        .size:           2
        .value_kind:     hidden_remainder_x
      - .offset:         108
        .size:           2
        .value_kind:     hidden_remainder_y
      - .offset:         110
        .size:           2
        .value_kind:     hidden_remainder_z
      - .offset:         128
        .size:           8
        .value_kind:     hidden_global_offset_x
      - .offset:         136
        .size:           8
        .value_kind:     hidden_global_offset_y
      - .offset:         144
        .size:           8
        .value_kind:     hidden_global_offset_z
      - .offset:         152
        .size:           2
        .value_kind:     hidden_grid_dims
    .group_segment_fixed_size: 18432
    .kernarg_segment_align: 8
    .kernarg_segment_size: 344
    .language:       OpenCL C
    .language_version:
      - 2
      - 0
    .max_flat_workgroup_size: 256
    .name:           _ZN7rocprim17ROCPRIM_400000_NS6detail17trampoline_kernelINS0_14default_configENS1_36segmented_radix_sort_config_selectorIblEEZNS1_25segmented_radix_sort_implIS3_Lb1EPKbPbPKlPlN2at6native12_GLOBAL__N_18offset_tEEE10hipError_tPvRmT1_PNSt15iterator_traitsISK_E10value_typeET2_T3_PNSL_ISQ_E10value_typeET4_jRbjT5_SW_jjP12ihipStream_tbEUlT_E0_NS1_11comp_targetILNS1_3genE9ELNS1_11target_archE1100ELNS1_3gpuE3ELNS1_3repE0EEENS1_60segmented_radix_sort_warp_sort_medium_config_static_selectorELNS0_4arch9wavefront6targetE0EEEvSK_
    .private_segment_fixed_size: 0
    .sgpr_count:     46
    .sgpr_spill_count: 0
    .symbol:         _ZN7rocprim17ROCPRIM_400000_NS6detail17trampoline_kernelINS0_14default_configENS1_36segmented_radix_sort_config_selectorIblEEZNS1_25segmented_radix_sort_implIS3_Lb1EPKbPbPKlPlN2at6native12_GLOBAL__N_18offset_tEEE10hipError_tPvRmT1_PNSt15iterator_traitsISK_E10value_typeET2_T3_PNSL_ISQ_E10value_typeET4_jRbjT5_SW_jjP12ihipStream_tbEUlT_E0_NS1_11comp_targetILNS1_3genE9ELNS1_11target_archE1100ELNS1_3gpuE3ELNS1_3repE0EEENS1_60segmented_radix_sort_warp_sort_medium_config_static_selectorELNS0_4arch9wavefront6targetE0EEEvSK_.kd
    .uniform_work_group_size: 1
    .uses_dynamic_stack: false
    .vgpr_count:     70
    .vgpr_spill_count: 0
    .wavefront_size: 32
    .workgroup_processor_mode: 1
  - .args:
      - .offset:         0
        .size:           88
        .value_kind:     by_value
    .group_segment_fixed_size: 0
    .kernarg_segment_align: 8
    .kernarg_segment_size: 88
    .language:       OpenCL C
    .language_version:
      - 2
      - 0
    .max_flat_workgroup_size: 256
    .name:           _ZN7rocprim17ROCPRIM_400000_NS6detail17trampoline_kernelINS0_14default_configENS1_36segmented_radix_sort_config_selectorIblEEZNS1_25segmented_radix_sort_implIS3_Lb1EPKbPbPKlPlN2at6native12_GLOBAL__N_18offset_tEEE10hipError_tPvRmT1_PNSt15iterator_traitsISK_E10value_typeET2_T3_PNSL_ISQ_E10value_typeET4_jRbjT5_SW_jjP12ihipStream_tbEUlT_E0_NS1_11comp_targetILNS1_3genE8ELNS1_11target_archE1030ELNS1_3gpuE2ELNS1_3repE0EEENS1_60segmented_radix_sort_warp_sort_medium_config_static_selectorELNS0_4arch9wavefront6targetE0EEEvSK_
    .private_segment_fixed_size: 0
    .sgpr_count:     0
    .sgpr_spill_count: 0
    .symbol:         _ZN7rocprim17ROCPRIM_400000_NS6detail17trampoline_kernelINS0_14default_configENS1_36segmented_radix_sort_config_selectorIblEEZNS1_25segmented_radix_sort_implIS3_Lb1EPKbPbPKlPlN2at6native12_GLOBAL__N_18offset_tEEE10hipError_tPvRmT1_PNSt15iterator_traitsISK_E10value_typeET2_T3_PNSL_ISQ_E10value_typeET4_jRbjT5_SW_jjP12ihipStream_tbEUlT_E0_NS1_11comp_targetILNS1_3genE8ELNS1_11target_archE1030ELNS1_3gpuE2ELNS1_3repE0EEENS1_60segmented_radix_sort_warp_sort_medium_config_static_selectorELNS0_4arch9wavefront6targetE0EEEvSK_.kd
    .uniform_work_group_size: 1
    .uses_dynamic_stack: false
    .vgpr_count:     0
    .vgpr_spill_count: 0
    .wavefront_size: 32
    .workgroup_processor_mode: 1
  - .args:
      - .offset:         0
        .size:           88
        .value_kind:     by_value
    .group_segment_fixed_size: 0
    .kernarg_segment_align: 8
    .kernarg_segment_size: 88
    .language:       OpenCL C
    .language_version:
      - 2
      - 0
    .max_flat_workgroup_size: 256
    .name:           _ZN7rocprim17ROCPRIM_400000_NS6detail17trampoline_kernelINS0_14default_configENS1_36segmented_radix_sort_config_selectorIblEEZNS1_25segmented_radix_sort_implIS3_Lb1EPKbPbPKlPlN2at6native12_GLOBAL__N_18offset_tEEE10hipError_tPvRmT1_PNSt15iterator_traitsISK_E10value_typeET2_T3_PNSL_ISQ_E10value_typeET4_jRbjT5_SW_jjP12ihipStream_tbEUlT_E1_NS1_11comp_targetILNS1_3genE0ELNS1_11target_archE4294967295ELNS1_3gpuE0ELNS1_3repE0EEENS1_59segmented_radix_sort_warp_sort_small_config_static_selectorELNS0_4arch9wavefront6targetE0EEEvSK_
    .private_segment_fixed_size: 0
    .sgpr_count:     0
    .sgpr_spill_count: 0
    .symbol:         _ZN7rocprim17ROCPRIM_400000_NS6detail17trampoline_kernelINS0_14default_configENS1_36segmented_radix_sort_config_selectorIblEEZNS1_25segmented_radix_sort_implIS3_Lb1EPKbPbPKlPlN2at6native12_GLOBAL__N_18offset_tEEE10hipError_tPvRmT1_PNSt15iterator_traitsISK_E10value_typeET2_T3_PNSL_ISQ_E10value_typeET4_jRbjT5_SW_jjP12ihipStream_tbEUlT_E1_NS1_11comp_targetILNS1_3genE0ELNS1_11target_archE4294967295ELNS1_3gpuE0ELNS1_3repE0EEENS1_59segmented_radix_sort_warp_sort_small_config_static_selectorELNS0_4arch9wavefront6targetE0EEEvSK_.kd
    .uniform_work_group_size: 1
    .uses_dynamic_stack: false
    .vgpr_count:     0
    .vgpr_spill_count: 0
    .wavefront_size: 32
    .workgroup_processor_mode: 1
  - .args:
      - .offset:         0
        .size:           88
        .value_kind:     by_value
    .group_segment_fixed_size: 0
    .kernarg_segment_align: 8
    .kernarg_segment_size: 88
    .language:       OpenCL C
    .language_version:
      - 2
      - 0
    .max_flat_workgroup_size: 256
    .name:           _ZN7rocprim17ROCPRIM_400000_NS6detail17trampoline_kernelINS0_14default_configENS1_36segmented_radix_sort_config_selectorIblEEZNS1_25segmented_radix_sort_implIS3_Lb1EPKbPbPKlPlN2at6native12_GLOBAL__N_18offset_tEEE10hipError_tPvRmT1_PNSt15iterator_traitsISK_E10value_typeET2_T3_PNSL_ISQ_E10value_typeET4_jRbjT5_SW_jjP12ihipStream_tbEUlT_E1_NS1_11comp_targetILNS1_3genE5ELNS1_11target_archE942ELNS1_3gpuE9ELNS1_3repE0EEENS1_59segmented_radix_sort_warp_sort_small_config_static_selectorELNS0_4arch9wavefront6targetE0EEEvSK_
    .private_segment_fixed_size: 0
    .sgpr_count:     0
    .sgpr_spill_count: 0
    .symbol:         _ZN7rocprim17ROCPRIM_400000_NS6detail17trampoline_kernelINS0_14default_configENS1_36segmented_radix_sort_config_selectorIblEEZNS1_25segmented_radix_sort_implIS3_Lb1EPKbPbPKlPlN2at6native12_GLOBAL__N_18offset_tEEE10hipError_tPvRmT1_PNSt15iterator_traitsISK_E10value_typeET2_T3_PNSL_ISQ_E10value_typeET4_jRbjT5_SW_jjP12ihipStream_tbEUlT_E1_NS1_11comp_targetILNS1_3genE5ELNS1_11target_archE942ELNS1_3gpuE9ELNS1_3repE0EEENS1_59segmented_radix_sort_warp_sort_small_config_static_selectorELNS0_4arch9wavefront6targetE0EEEvSK_.kd
    .uniform_work_group_size: 1
    .uses_dynamic_stack: false
    .vgpr_count:     0
    .vgpr_spill_count: 0
    .wavefront_size: 32
    .workgroup_processor_mode: 1
  - .args:
      - .offset:         0
        .size:           88
        .value_kind:     by_value
    .group_segment_fixed_size: 0
    .kernarg_segment_align: 8
    .kernarg_segment_size: 88
    .language:       OpenCL C
    .language_version:
      - 2
      - 0
    .max_flat_workgroup_size: 256
    .name:           _ZN7rocprim17ROCPRIM_400000_NS6detail17trampoline_kernelINS0_14default_configENS1_36segmented_radix_sort_config_selectorIblEEZNS1_25segmented_radix_sort_implIS3_Lb1EPKbPbPKlPlN2at6native12_GLOBAL__N_18offset_tEEE10hipError_tPvRmT1_PNSt15iterator_traitsISK_E10value_typeET2_T3_PNSL_ISQ_E10value_typeET4_jRbjT5_SW_jjP12ihipStream_tbEUlT_E1_NS1_11comp_targetILNS1_3genE4ELNS1_11target_archE910ELNS1_3gpuE8ELNS1_3repE0EEENS1_59segmented_radix_sort_warp_sort_small_config_static_selectorELNS0_4arch9wavefront6targetE0EEEvSK_
    .private_segment_fixed_size: 0
    .sgpr_count:     0
    .sgpr_spill_count: 0
    .symbol:         _ZN7rocprim17ROCPRIM_400000_NS6detail17trampoline_kernelINS0_14default_configENS1_36segmented_radix_sort_config_selectorIblEEZNS1_25segmented_radix_sort_implIS3_Lb1EPKbPbPKlPlN2at6native12_GLOBAL__N_18offset_tEEE10hipError_tPvRmT1_PNSt15iterator_traitsISK_E10value_typeET2_T3_PNSL_ISQ_E10value_typeET4_jRbjT5_SW_jjP12ihipStream_tbEUlT_E1_NS1_11comp_targetILNS1_3genE4ELNS1_11target_archE910ELNS1_3gpuE8ELNS1_3repE0EEENS1_59segmented_radix_sort_warp_sort_small_config_static_selectorELNS0_4arch9wavefront6targetE0EEEvSK_.kd
    .uniform_work_group_size: 1
    .uses_dynamic_stack: false
    .vgpr_count:     0
    .vgpr_spill_count: 0
    .wavefront_size: 32
    .workgroup_processor_mode: 1
  - .args:
      - .offset:         0
        .size:           88
        .value_kind:     by_value
    .group_segment_fixed_size: 0
    .kernarg_segment_align: 8
    .kernarg_segment_size: 88
    .language:       OpenCL C
    .language_version:
      - 2
      - 0
    .max_flat_workgroup_size: 256
    .name:           _ZN7rocprim17ROCPRIM_400000_NS6detail17trampoline_kernelINS0_14default_configENS1_36segmented_radix_sort_config_selectorIblEEZNS1_25segmented_radix_sort_implIS3_Lb1EPKbPbPKlPlN2at6native12_GLOBAL__N_18offset_tEEE10hipError_tPvRmT1_PNSt15iterator_traitsISK_E10value_typeET2_T3_PNSL_ISQ_E10value_typeET4_jRbjT5_SW_jjP12ihipStream_tbEUlT_E1_NS1_11comp_targetILNS1_3genE3ELNS1_11target_archE908ELNS1_3gpuE7ELNS1_3repE0EEENS1_59segmented_radix_sort_warp_sort_small_config_static_selectorELNS0_4arch9wavefront6targetE0EEEvSK_
    .private_segment_fixed_size: 0
    .sgpr_count:     0
    .sgpr_spill_count: 0
    .symbol:         _ZN7rocprim17ROCPRIM_400000_NS6detail17trampoline_kernelINS0_14default_configENS1_36segmented_radix_sort_config_selectorIblEEZNS1_25segmented_radix_sort_implIS3_Lb1EPKbPbPKlPlN2at6native12_GLOBAL__N_18offset_tEEE10hipError_tPvRmT1_PNSt15iterator_traitsISK_E10value_typeET2_T3_PNSL_ISQ_E10value_typeET4_jRbjT5_SW_jjP12ihipStream_tbEUlT_E1_NS1_11comp_targetILNS1_3genE3ELNS1_11target_archE908ELNS1_3gpuE7ELNS1_3repE0EEENS1_59segmented_radix_sort_warp_sort_small_config_static_selectorELNS0_4arch9wavefront6targetE0EEEvSK_.kd
    .uniform_work_group_size: 1
    .uses_dynamic_stack: false
    .vgpr_count:     0
    .vgpr_spill_count: 0
    .wavefront_size: 32
    .workgroup_processor_mode: 1
  - .args:
      - .offset:         0
        .size:           88
        .value_kind:     by_value
    .group_segment_fixed_size: 0
    .kernarg_segment_align: 8
    .kernarg_segment_size: 88
    .language:       OpenCL C
    .language_version:
      - 2
      - 0
    .max_flat_workgroup_size: 256
    .name:           _ZN7rocprim17ROCPRIM_400000_NS6detail17trampoline_kernelINS0_14default_configENS1_36segmented_radix_sort_config_selectorIblEEZNS1_25segmented_radix_sort_implIS3_Lb1EPKbPbPKlPlN2at6native12_GLOBAL__N_18offset_tEEE10hipError_tPvRmT1_PNSt15iterator_traitsISK_E10value_typeET2_T3_PNSL_ISQ_E10value_typeET4_jRbjT5_SW_jjP12ihipStream_tbEUlT_E1_NS1_11comp_targetILNS1_3genE2ELNS1_11target_archE906ELNS1_3gpuE6ELNS1_3repE0EEENS1_59segmented_radix_sort_warp_sort_small_config_static_selectorELNS0_4arch9wavefront6targetE0EEEvSK_
    .private_segment_fixed_size: 0
    .sgpr_count:     0
    .sgpr_spill_count: 0
    .symbol:         _ZN7rocprim17ROCPRIM_400000_NS6detail17trampoline_kernelINS0_14default_configENS1_36segmented_radix_sort_config_selectorIblEEZNS1_25segmented_radix_sort_implIS3_Lb1EPKbPbPKlPlN2at6native12_GLOBAL__N_18offset_tEEE10hipError_tPvRmT1_PNSt15iterator_traitsISK_E10value_typeET2_T3_PNSL_ISQ_E10value_typeET4_jRbjT5_SW_jjP12ihipStream_tbEUlT_E1_NS1_11comp_targetILNS1_3genE2ELNS1_11target_archE906ELNS1_3gpuE6ELNS1_3repE0EEENS1_59segmented_radix_sort_warp_sort_small_config_static_selectorELNS0_4arch9wavefront6targetE0EEEvSK_.kd
    .uniform_work_group_size: 1
    .uses_dynamic_stack: false
    .vgpr_count:     0
    .vgpr_spill_count: 0
    .wavefront_size: 32
    .workgroup_processor_mode: 1
  - .args:
      - .offset:         0
        .size:           88
        .value_kind:     by_value
    .group_segment_fixed_size: 0
    .kernarg_segment_align: 8
    .kernarg_segment_size: 88
    .language:       OpenCL C
    .language_version:
      - 2
      - 0
    .max_flat_workgroup_size: 256
    .name:           _ZN7rocprim17ROCPRIM_400000_NS6detail17trampoline_kernelINS0_14default_configENS1_36segmented_radix_sort_config_selectorIblEEZNS1_25segmented_radix_sort_implIS3_Lb1EPKbPbPKlPlN2at6native12_GLOBAL__N_18offset_tEEE10hipError_tPvRmT1_PNSt15iterator_traitsISK_E10value_typeET2_T3_PNSL_ISQ_E10value_typeET4_jRbjT5_SW_jjP12ihipStream_tbEUlT_E1_NS1_11comp_targetILNS1_3genE10ELNS1_11target_archE1201ELNS1_3gpuE5ELNS1_3repE0EEENS1_59segmented_radix_sort_warp_sort_small_config_static_selectorELNS0_4arch9wavefront6targetE0EEEvSK_
    .private_segment_fixed_size: 0
    .sgpr_count:     0
    .sgpr_spill_count: 0
    .symbol:         _ZN7rocprim17ROCPRIM_400000_NS6detail17trampoline_kernelINS0_14default_configENS1_36segmented_radix_sort_config_selectorIblEEZNS1_25segmented_radix_sort_implIS3_Lb1EPKbPbPKlPlN2at6native12_GLOBAL__N_18offset_tEEE10hipError_tPvRmT1_PNSt15iterator_traitsISK_E10value_typeET2_T3_PNSL_ISQ_E10value_typeET4_jRbjT5_SW_jjP12ihipStream_tbEUlT_E1_NS1_11comp_targetILNS1_3genE10ELNS1_11target_archE1201ELNS1_3gpuE5ELNS1_3repE0EEENS1_59segmented_radix_sort_warp_sort_small_config_static_selectorELNS0_4arch9wavefront6targetE0EEEvSK_.kd
    .uniform_work_group_size: 1
    .uses_dynamic_stack: false
    .vgpr_count:     0
    .vgpr_spill_count: 0
    .wavefront_size: 32
    .workgroup_processor_mode: 1
  - .args:
      - .offset:         0
        .size:           88
        .value_kind:     by_value
    .group_segment_fixed_size: 0
    .kernarg_segment_align: 8
    .kernarg_segment_size: 88
    .language:       OpenCL C
    .language_version:
      - 2
      - 0
    .max_flat_workgroup_size: 256
    .name:           _ZN7rocprim17ROCPRIM_400000_NS6detail17trampoline_kernelINS0_14default_configENS1_36segmented_radix_sort_config_selectorIblEEZNS1_25segmented_radix_sort_implIS3_Lb1EPKbPbPKlPlN2at6native12_GLOBAL__N_18offset_tEEE10hipError_tPvRmT1_PNSt15iterator_traitsISK_E10value_typeET2_T3_PNSL_ISQ_E10value_typeET4_jRbjT5_SW_jjP12ihipStream_tbEUlT_E1_NS1_11comp_targetILNS1_3genE10ELNS1_11target_archE1200ELNS1_3gpuE4ELNS1_3repE0EEENS1_59segmented_radix_sort_warp_sort_small_config_static_selectorELNS0_4arch9wavefront6targetE0EEEvSK_
    .private_segment_fixed_size: 0
    .sgpr_count:     0
    .sgpr_spill_count: 0
    .symbol:         _ZN7rocprim17ROCPRIM_400000_NS6detail17trampoline_kernelINS0_14default_configENS1_36segmented_radix_sort_config_selectorIblEEZNS1_25segmented_radix_sort_implIS3_Lb1EPKbPbPKlPlN2at6native12_GLOBAL__N_18offset_tEEE10hipError_tPvRmT1_PNSt15iterator_traitsISK_E10value_typeET2_T3_PNSL_ISQ_E10value_typeET4_jRbjT5_SW_jjP12ihipStream_tbEUlT_E1_NS1_11comp_targetILNS1_3genE10ELNS1_11target_archE1200ELNS1_3gpuE4ELNS1_3repE0EEENS1_59segmented_radix_sort_warp_sort_small_config_static_selectorELNS0_4arch9wavefront6targetE0EEEvSK_.kd
    .uniform_work_group_size: 1
    .uses_dynamic_stack: false
    .vgpr_count:     0
    .vgpr_spill_count: 0
    .wavefront_size: 32
    .workgroup_processor_mode: 1
  - .args:
      - .offset:         0
        .size:           88
        .value_kind:     by_value
      - .offset:         88
        .size:           4
        .value_kind:     hidden_block_count_x
      - .offset:         92
        .size:           4
        .value_kind:     hidden_block_count_y
      - .offset:         96
        .size:           4
        .value_kind:     hidden_block_count_z
      - .offset:         100
        .size:           2
        .value_kind:     hidden_group_size_x
      - .offset:         102
        .size:           2
        .value_kind:     hidden_group_size_y
      - .offset:         104
        .size:           2
        .value_kind:     hidden_group_size_z
      - .offset:         106
        .size:           2
        .value_kind:     hidden_remainder_x
      - .offset:         108
        .size:           2
        .value_kind:     hidden_remainder_y
      - .offset:         110
        .size:           2
        .value_kind:     hidden_remainder_z
      - .offset:         128
        .size:           8
        .value_kind:     hidden_global_offset_x
      - .offset:         136
        .size:           8
        .value_kind:     hidden_global_offset_y
      - .offset:         144
        .size:           8
        .value_kind:     hidden_global_offset_z
      - .offset:         152
        .size:           2
        .value_kind:     hidden_grid_dims
    .group_segment_fixed_size: 9216
    .kernarg_segment_align: 8
    .kernarg_segment_size: 344
    .language:       OpenCL C
    .language_version:
      - 2
      - 0
    .max_flat_workgroup_size: 256
    .name:           _ZN7rocprim17ROCPRIM_400000_NS6detail17trampoline_kernelINS0_14default_configENS1_36segmented_radix_sort_config_selectorIblEEZNS1_25segmented_radix_sort_implIS3_Lb1EPKbPbPKlPlN2at6native12_GLOBAL__N_18offset_tEEE10hipError_tPvRmT1_PNSt15iterator_traitsISK_E10value_typeET2_T3_PNSL_ISQ_E10value_typeET4_jRbjT5_SW_jjP12ihipStream_tbEUlT_E1_NS1_11comp_targetILNS1_3genE9ELNS1_11target_archE1100ELNS1_3gpuE3ELNS1_3repE0EEENS1_59segmented_radix_sort_warp_sort_small_config_static_selectorELNS0_4arch9wavefront6targetE0EEEvSK_
    .private_segment_fixed_size: 0
    .sgpr_count:     35
    .sgpr_spill_count: 0
    .symbol:         _ZN7rocprim17ROCPRIM_400000_NS6detail17trampoline_kernelINS0_14default_configENS1_36segmented_radix_sort_config_selectorIblEEZNS1_25segmented_radix_sort_implIS3_Lb1EPKbPbPKlPlN2at6native12_GLOBAL__N_18offset_tEEE10hipError_tPvRmT1_PNSt15iterator_traitsISK_E10value_typeET2_T3_PNSL_ISQ_E10value_typeET4_jRbjT5_SW_jjP12ihipStream_tbEUlT_E1_NS1_11comp_targetILNS1_3genE9ELNS1_11target_archE1100ELNS1_3gpuE3ELNS1_3repE0EEENS1_59segmented_radix_sort_warp_sort_small_config_static_selectorELNS0_4arch9wavefront6targetE0EEEvSK_.kd
    .uniform_work_group_size: 1
    .uses_dynamic_stack: false
    .vgpr_count:     84
    .vgpr_spill_count: 0
    .wavefront_size: 32
    .workgroup_processor_mode: 1
  - .args:
      - .offset:         0
        .size:           88
        .value_kind:     by_value
    .group_segment_fixed_size: 0
    .kernarg_segment_align: 8
    .kernarg_segment_size: 88
    .language:       OpenCL C
    .language_version:
      - 2
      - 0
    .max_flat_workgroup_size: 256
    .name:           _ZN7rocprim17ROCPRIM_400000_NS6detail17trampoline_kernelINS0_14default_configENS1_36segmented_radix_sort_config_selectorIblEEZNS1_25segmented_radix_sort_implIS3_Lb1EPKbPbPKlPlN2at6native12_GLOBAL__N_18offset_tEEE10hipError_tPvRmT1_PNSt15iterator_traitsISK_E10value_typeET2_T3_PNSL_ISQ_E10value_typeET4_jRbjT5_SW_jjP12ihipStream_tbEUlT_E1_NS1_11comp_targetILNS1_3genE8ELNS1_11target_archE1030ELNS1_3gpuE2ELNS1_3repE0EEENS1_59segmented_radix_sort_warp_sort_small_config_static_selectorELNS0_4arch9wavefront6targetE0EEEvSK_
    .private_segment_fixed_size: 0
    .sgpr_count:     0
    .sgpr_spill_count: 0
    .symbol:         _ZN7rocprim17ROCPRIM_400000_NS6detail17trampoline_kernelINS0_14default_configENS1_36segmented_radix_sort_config_selectorIblEEZNS1_25segmented_radix_sort_implIS3_Lb1EPKbPbPKlPlN2at6native12_GLOBAL__N_18offset_tEEE10hipError_tPvRmT1_PNSt15iterator_traitsISK_E10value_typeET2_T3_PNSL_ISQ_E10value_typeET4_jRbjT5_SW_jjP12ihipStream_tbEUlT_E1_NS1_11comp_targetILNS1_3genE8ELNS1_11target_archE1030ELNS1_3gpuE2ELNS1_3repE0EEENS1_59segmented_radix_sort_warp_sort_small_config_static_selectorELNS0_4arch9wavefront6targetE0EEEvSK_.kd
    .uniform_work_group_size: 1
    .uses_dynamic_stack: false
    .vgpr_count:     0
    .vgpr_spill_count: 0
    .wavefront_size: 32
    .workgroup_processor_mode: 1
  - .args:
      - .offset:         0
        .size:           80
        .value_kind:     by_value
    .group_segment_fixed_size: 0
    .kernarg_segment_align: 8
    .kernarg_segment_size: 80
    .language:       OpenCL C
    .language_version:
      - 2
      - 0
    .max_flat_workgroup_size: 256
    .name:           _ZN7rocprim17ROCPRIM_400000_NS6detail17trampoline_kernelINS0_14default_configENS1_36segmented_radix_sort_config_selectorIblEEZNS1_25segmented_radix_sort_implIS3_Lb1EPKbPbPKlPlN2at6native12_GLOBAL__N_18offset_tEEE10hipError_tPvRmT1_PNSt15iterator_traitsISK_E10value_typeET2_T3_PNSL_ISQ_E10value_typeET4_jRbjT5_SW_jjP12ihipStream_tbEUlT_E2_NS1_11comp_targetILNS1_3genE0ELNS1_11target_archE4294967295ELNS1_3gpuE0ELNS1_3repE0EEENS1_30default_config_static_selectorELNS0_4arch9wavefront6targetE0EEEvSK_
    .private_segment_fixed_size: 0
    .sgpr_count:     0
    .sgpr_spill_count: 0
    .symbol:         _ZN7rocprim17ROCPRIM_400000_NS6detail17trampoline_kernelINS0_14default_configENS1_36segmented_radix_sort_config_selectorIblEEZNS1_25segmented_radix_sort_implIS3_Lb1EPKbPbPKlPlN2at6native12_GLOBAL__N_18offset_tEEE10hipError_tPvRmT1_PNSt15iterator_traitsISK_E10value_typeET2_T3_PNSL_ISQ_E10value_typeET4_jRbjT5_SW_jjP12ihipStream_tbEUlT_E2_NS1_11comp_targetILNS1_3genE0ELNS1_11target_archE4294967295ELNS1_3gpuE0ELNS1_3repE0EEENS1_30default_config_static_selectorELNS0_4arch9wavefront6targetE0EEEvSK_.kd
    .uniform_work_group_size: 1
    .uses_dynamic_stack: false
    .vgpr_count:     0
    .vgpr_spill_count: 0
    .wavefront_size: 32
    .workgroup_processor_mode: 1
  - .args:
      - .offset:         0
        .size:           80
        .value_kind:     by_value
    .group_segment_fixed_size: 0
    .kernarg_segment_align: 8
    .kernarg_segment_size: 80
    .language:       OpenCL C
    .language_version:
      - 2
      - 0
    .max_flat_workgroup_size: 256
    .name:           _ZN7rocprim17ROCPRIM_400000_NS6detail17trampoline_kernelINS0_14default_configENS1_36segmented_radix_sort_config_selectorIblEEZNS1_25segmented_radix_sort_implIS3_Lb1EPKbPbPKlPlN2at6native12_GLOBAL__N_18offset_tEEE10hipError_tPvRmT1_PNSt15iterator_traitsISK_E10value_typeET2_T3_PNSL_ISQ_E10value_typeET4_jRbjT5_SW_jjP12ihipStream_tbEUlT_E2_NS1_11comp_targetILNS1_3genE5ELNS1_11target_archE942ELNS1_3gpuE9ELNS1_3repE0EEENS1_30default_config_static_selectorELNS0_4arch9wavefront6targetE0EEEvSK_
    .private_segment_fixed_size: 0
    .sgpr_count:     0
    .sgpr_spill_count: 0
    .symbol:         _ZN7rocprim17ROCPRIM_400000_NS6detail17trampoline_kernelINS0_14default_configENS1_36segmented_radix_sort_config_selectorIblEEZNS1_25segmented_radix_sort_implIS3_Lb1EPKbPbPKlPlN2at6native12_GLOBAL__N_18offset_tEEE10hipError_tPvRmT1_PNSt15iterator_traitsISK_E10value_typeET2_T3_PNSL_ISQ_E10value_typeET4_jRbjT5_SW_jjP12ihipStream_tbEUlT_E2_NS1_11comp_targetILNS1_3genE5ELNS1_11target_archE942ELNS1_3gpuE9ELNS1_3repE0EEENS1_30default_config_static_selectorELNS0_4arch9wavefront6targetE0EEEvSK_.kd
    .uniform_work_group_size: 1
    .uses_dynamic_stack: false
    .vgpr_count:     0
    .vgpr_spill_count: 0
    .wavefront_size: 32
    .workgroup_processor_mode: 1
  - .args:
      - .offset:         0
        .size:           80
        .value_kind:     by_value
    .group_segment_fixed_size: 0
    .kernarg_segment_align: 8
    .kernarg_segment_size: 80
    .language:       OpenCL C
    .language_version:
      - 2
      - 0
    .max_flat_workgroup_size: 256
    .name:           _ZN7rocprim17ROCPRIM_400000_NS6detail17trampoline_kernelINS0_14default_configENS1_36segmented_radix_sort_config_selectorIblEEZNS1_25segmented_radix_sort_implIS3_Lb1EPKbPbPKlPlN2at6native12_GLOBAL__N_18offset_tEEE10hipError_tPvRmT1_PNSt15iterator_traitsISK_E10value_typeET2_T3_PNSL_ISQ_E10value_typeET4_jRbjT5_SW_jjP12ihipStream_tbEUlT_E2_NS1_11comp_targetILNS1_3genE4ELNS1_11target_archE910ELNS1_3gpuE8ELNS1_3repE0EEENS1_30default_config_static_selectorELNS0_4arch9wavefront6targetE0EEEvSK_
    .private_segment_fixed_size: 0
    .sgpr_count:     0
    .sgpr_spill_count: 0
    .symbol:         _ZN7rocprim17ROCPRIM_400000_NS6detail17trampoline_kernelINS0_14default_configENS1_36segmented_radix_sort_config_selectorIblEEZNS1_25segmented_radix_sort_implIS3_Lb1EPKbPbPKlPlN2at6native12_GLOBAL__N_18offset_tEEE10hipError_tPvRmT1_PNSt15iterator_traitsISK_E10value_typeET2_T3_PNSL_ISQ_E10value_typeET4_jRbjT5_SW_jjP12ihipStream_tbEUlT_E2_NS1_11comp_targetILNS1_3genE4ELNS1_11target_archE910ELNS1_3gpuE8ELNS1_3repE0EEENS1_30default_config_static_selectorELNS0_4arch9wavefront6targetE0EEEvSK_.kd
    .uniform_work_group_size: 1
    .uses_dynamic_stack: false
    .vgpr_count:     0
    .vgpr_spill_count: 0
    .wavefront_size: 32
    .workgroup_processor_mode: 1
  - .args:
      - .offset:         0
        .size:           80
        .value_kind:     by_value
    .group_segment_fixed_size: 0
    .kernarg_segment_align: 8
    .kernarg_segment_size: 80
    .language:       OpenCL C
    .language_version:
      - 2
      - 0
    .max_flat_workgroup_size: 256
    .name:           _ZN7rocprim17ROCPRIM_400000_NS6detail17trampoline_kernelINS0_14default_configENS1_36segmented_radix_sort_config_selectorIblEEZNS1_25segmented_radix_sort_implIS3_Lb1EPKbPbPKlPlN2at6native12_GLOBAL__N_18offset_tEEE10hipError_tPvRmT1_PNSt15iterator_traitsISK_E10value_typeET2_T3_PNSL_ISQ_E10value_typeET4_jRbjT5_SW_jjP12ihipStream_tbEUlT_E2_NS1_11comp_targetILNS1_3genE3ELNS1_11target_archE908ELNS1_3gpuE7ELNS1_3repE0EEENS1_30default_config_static_selectorELNS0_4arch9wavefront6targetE0EEEvSK_
    .private_segment_fixed_size: 0
    .sgpr_count:     0
    .sgpr_spill_count: 0
    .symbol:         _ZN7rocprim17ROCPRIM_400000_NS6detail17trampoline_kernelINS0_14default_configENS1_36segmented_radix_sort_config_selectorIblEEZNS1_25segmented_radix_sort_implIS3_Lb1EPKbPbPKlPlN2at6native12_GLOBAL__N_18offset_tEEE10hipError_tPvRmT1_PNSt15iterator_traitsISK_E10value_typeET2_T3_PNSL_ISQ_E10value_typeET4_jRbjT5_SW_jjP12ihipStream_tbEUlT_E2_NS1_11comp_targetILNS1_3genE3ELNS1_11target_archE908ELNS1_3gpuE7ELNS1_3repE0EEENS1_30default_config_static_selectorELNS0_4arch9wavefront6targetE0EEEvSK_.kd
    .uniform_work_group_size: 1
    .uses_dynamic_stack: false
    .vgpr_count:     0
    .vgpr_spill_count: 0
    .wavefront_size: 32
    .workgroup_processor_mode: 1
  - .args:
      - .offset:         0
        .size:           80
        .value_kind:     by_value
    .group_segment_fixed_size: 0
    .kernarg_segment_align: 8
    .kernarg_segment_size: 80
    .language:       OpenCL C
    .language_version:
      - 2
      - 0
    .max_flat_workgroup_size: 256
    .name:           _ZN7rocprim17ROCPRIM_400000_NS6detail17trampoline_kernelINS0_14default_configENS1_36segmented_radix_sort_config_selectorIblEEZNS1_25segmented_radix_sort_implIS3_Lb1EPKbPbPKlPlN2at6native12_GLOBAL__N_18offset_tEEE10hipError_tPvRmT1_PNSt15iterator_traitsISK_E10value_typeET2_T3_PNSL_ISQ_E10value_typeET4_jRbjT5_SW_jjP12ihipStream_tbEUlT_E2_NS1_11comp_targetILNS1_3genE2ELNS1_11target_archE906ELNS1_3gpuE6ELNS1_3repE0EEENS1_30default_config_static_selectorELNS0_4arch9wavefront6targetE0EEEvSK_
    .private_segment_fixed_size: 0
    .sgpr_count:     0
    .sgpr_spill_count: 0
    .symbol:         _ZN7rocprim17ROCPRIM_400000_NS6detail17trampoline_kernelINS0_14default_configENS1_36segmented_radix_sort_config_selectorIblEEZNS1_25segmented_radix_sort_implIS3_Lb1EPKbPbPKlPlN2at6native12_GLOBAL__N_18offset_tEEE10hipError_tPvRmT1_PNSt15iterator_traitsISK_E10value_typeET2_T3_PNSL_ISQ_E10value_typeET4_jRbjT5_SW_jjP12ihipStream_tbEUlT_E2_NS1_11comp_targetILNS1_3genE2ELNS1_11target_archE906ELNS1_3gpuE6ELNS1_3repE0EEENS1_30default_config_static_selectorELNS0_4arch9wavefront6targetE0EEEvSK_.kd
    .uniform_work_group_size: 1
    .uses_dynamic_stack: false
    .vgpr_count:     0
    .vgpr_spill_count: 0
    .wavefront_size: 32
    .workgroup_processor_mode: 1
  - .args:
      - .offset:         0
        .size:           80
        .value_kind:     by_value
    .group_segment_fixed_size: 0
    .kernarg_segment_align: 8
    .kernarg_segment_size: 80
    .language:       OpenCL C
    .language_version:
      - 2
      - 0
    .max_flat_workgroup_size: 256
    .name:           _ZN7rocprim17ROCPRIM_400000_NS6detail17trampoline_kernelINS0_14default_configENS1_36segmented_radix_sort_config_selectorIblEEZNS1_25segmented_radix_sort_implIS3_Lb1EPKbPbPKlPlN2at6native12_GLOBAL__N_18offset_tEEE10hipError_tPvRmT1_PNSt15iterator_traitsISK_E10value_typeET2_T3_PNSL_ISQ_E10value_typeET4_jRbjT5_SW_jjP12ihipStream_tbEUlT_E2_NS1_11comp_targetILNS1_3genE10ELNS1_11target_archE1201ELNS1_3gpuE5ELNS1_3repE0EEENS1_30default_config_static_selectorELNS0_4arch9wavefront6targetE0EEEvSK_
    .private_segment_fixed_size: 0
    .sgpr_count:     0
    .sgpr_spill_count: 0
    .symbol:         _ZN7rocprim17ROCPRIM_400000_NS6detail17trampoline_kernelINS0_14default_configENS1_36segmented_radix_sort_config_selectorIblEEZNS1_25segmented_radix_sort_implIS3_Lb1EPKbPbPKlPlN2at6native12_GLOBAL__N_18offset_tEEE10hipError_tPvRmT1_PNSt15iterator_traitsISK_E10value_typeET2_T3_PNSL_ISQ_E10value_typeET4_jRbjT5_SW_jjP12ihipStream_tbEUlT_E2_NS1_11comp_targetILNS1_3genE10ELNS1_11target_archE1201ELNS1_3gpuE5ELNS1_3repE0EEENS1_30default_config_static_selectorELNS0_4arch9wavefront6targetE0EEEvSK_.kd
    .uniform_work_group_size: 1
    .uses_dynamic_stack: false
    .vgpr_count:     0
    .vgpr_spill_count: 0
    .wavefront_size: 32
    .workgroup_processor_mode: 1
  - .args:
      - .offset:         0
        .size:           80
        .value_kind:     by_value
    .group_segment_fixed_size: 0
    .kernarg_segment_align: 8
    .kernarg_segment_size: 80
    .language:       OpenCL C
    .language_version:
      - 2
      - 0
    .max_flat_workgroup_size: 128
    .name:           _ZN7rocprim17ROCPRIM_400000_NS6detail17trampoline_kernelINS0_14default_configENS1_36segmented_radix_sort_config_selectorIblEEZNS1_25segmented_radix_sort_implIS3_Lb1EPKbPbPKlPlN2at6native12_GLOBAL__N_18offset_tEEE10hipError_tPvRmT1_PNSt15iterator_traitsISK_E10value_typeET2_T3_PNSL_ISQ_E10value_typeET4_jRbjT5_SW_jjP12ihipStream_tbEUlT_E2_NS1_11comp_targetILNS1_3genE10ELNS1_11target_archE1200ELNS1_3gpuE4ELNS1_3repE0EEENS1_30default_config_static_selectorELNS0_4arch9wavefront6targetE0EEEvSK_
    .private_segment_fixed_size: 0
    .sgpr_count:     0
    .sgpr_spill_count: 0
    .symbol:         _ZN7rocprim17ROCPRIM_400000_NS6detail17trampoline_kernelINS0_14default_configENS1_36segmented_radix_sort_config_selectorIblEEZNS1_25segmented_radix_sort_implIS3_Lb1EPKbPbPKlPlN2at6native12_GLOBAL__N_18offset_tEEE10hipError_tPvRmT1_PNSt15iterator_traitsISK_E10value_typeET2_T3_PNSL_ISQ_E10value_typeET4_jRbjT5_SW_jjP12ihipStream_tbEUlT_E2_NS1_11comp_targetILNS1_3genE10ELNS1_11target_archE1200ELNS1_3gpuE4ELNS1_3repE0EEENS1_30default_config_static_selectorELNS0_4arch9wavefront6targetE0EEEvSK_.kd
    .uniform_work_group_size: 1
    .uses_dynamic_stack: false
    .vgpr_count:     0
    .vgpr_spill_count: 0
    .wavefront_size: 32
    .workgroup_processor_mode: 1
  - .args:
      - .offset:         0
        .size:           80
        .value_kind:     by_value
      - .offset:         80
        .size:           4
        .value_kind:     hidden_block_count_x
      - .offset:         84
        .size:           4
        .value_kind:     hidden_block_count_y
      - .offset:         88
        .size:           4
        .value_kind:     hidden_block_count_z
      - .offset:         92
        .size:           2
        .value_kind:     hidden_group_size_x
      - .offset:         94
        .size:           2
        .value_kind:     hidden_group_size_y
      - .offset:         96
        .size:           2
        .value_kind:     hidden_group_size_z
      - .offset:         98
        .size:           2
        .value_kind:     hidden_remainder_x
      - .offset:         100
        .size:           2
        .value_kind:     hidden_remainder_y
      - .offset:         102
        .size:           2
        .value_kind:     hidden_remainder_z
      - .offset:         120
        .size:           8
        .value_kind:     hidden_global_offset_x
      - .offset:         128
        .size:           8
        .value_kind:     hidden_global_offset_y
      - .offset:         136
        .size:           8
        .value_kind:     hidden_global_offset_z
      - .offset:         144
        .size:           2
        .value_kind:     hidden_grid_dims
    .group_segment_fixed_size: 17440
    .kernarg_segment_align: 8
    .kernarg_segment_size: 336
    .language:       OpenCL C
    .language_version:
      - 2
      - 0
    .max_flat_workgroup_size: 256
    .name:           _ZN7rocprim17ROCPRIM_400000_NS6detail17trampoline_kernelINS0_14default_configENS1_36segmented_radix_sort_config_selectorIblEEZNS1_25segmented_radix_sort_implIS3_Lb1EPKbPbPKlPlN2at6native12_GLOBAL__N_18offset_tEEE10hipError_tPvRmT1_PNSt15iterator_traitsISK_E10value_typeET2_T3_PNSL_ISQ_E10value_typeET4_jRbjT5_SW_jjP12ihipStream_tbEUlT_E2_NS1_11comp_targetILNS1_3genE9ELNS1_11target_archE1100ELNS1_3gpuE3ELNS1_3repE0EEENS1_30default_config_static_selectorELNS0_4arch9wavefront6targetE0EEEvSK_
    .private_segment_fixed_size: 0
    .sgpr_count:     56
    .sgpr_spill_count: 0
    .symbol:         _ZN7rocprim17ROCPRIM_400000_NS6detail17trampoline_kernelINS0_14default_configENS1_36segmented_radix_sort_config_selectorIblEEZNS1_25segmented_radix_sort_implIS3_Lb1EPKbPbPKlPlN2at6native12_GLOBAL__N_18offset_tEEE10hipError_tPvRmT1_PNSt15iterator_traitsISK_E10value_typeET2_T3_PNSL_ISQ_E10value_typeET4_jRbjT5_SW_jjP12ihipStream_tbEUlT_E2_NS1_11comp_targetILNS1_3genE9ELNS1_11target_archE1100ELNS1_3gpuE3ELNS1_3repE0EEENS1_30default_config_static_selectorELNS0_4arch9wavefront6targetE0EEEvSK_.kd
    .uniform_work_group_size: 1
    .uses_dynamic_stack: false
    .vgpr_count:     183
    .vgpr_spill_count: 0
    .wavefront_size: 32
    .workgroup_processor_mode: 1
  - .args:
      - .offset:         0
        .size:           80
        .value_kind:     by_value
    .group_segment_fixed_size: 0
    .kernarg_segment_align: 8
    .kernarg_segment_size: 80
    .language:       OpenCL C
    .language_version:
      - 2
      - 0
    .max_flat_workgroup_size: 256
    .name:           _ZN7rocprim17ROCPRIM_400000_NS6detail17trampoline_kernelINS0_14default_configENS1_36segmented_radix_sort_config_selectorIblEEZNS1_25segmented_radix_sort_implIS3_Lb1EPKbPbPKlPlN2at6native12_GLOBAL__N_18offset_tEEE10hipError_tPvRmT1_PNSt15iterator_traitsISK_E10value_typeET2_T3_PNSL_ISQ_E10value_typeET4_jRbjT5_SW_jjP12ihipStream_tbEUlT_E2_NS1_11comp_targetILNS1_3genE8ELNS1_11target_archE1030ELNS1_3gpuE2ELNS1_3repE0EEENS1_30default_config_static_selectorELNS0_4arch9wavefront6targetE0EEEvSK_
    .private_segment_fixed_size: 0
    .sgpr_count:     0
    .sgpr_spill_count: 0
    .symbol:         _ZN7rocprim17ROCPRIM_400000_NS6detail17trampoline_kernelINS0_14default_configENS1_36segmented_radix_sort_config_selectorIblEEZNS1_25segmented_radix_sort_implIS3_Lb1EPKbPbPKlPlN2at6native12_GLOBAL__N_18offset_tEEE10hipError_tPvRmT1_PNSt15iterator_traitsISK_E10value_typeET2_T3_PNSL_ISQ_E10value_typeET4_jRbjT5_SW_jjP12ihipStream_tbEUlT_E2_NS1_11comp_targetILNS1_3genE8ELNS1_11target_archE1030ELNS1_3gpuE2ELNS1_3repE0EEENS1_30default_config_static_selectorELNS0_4arch9wavefront6targetE0EEEvSK_.kd
    .uniform_work_group_size: 1
    .uses_dynamic_stack: false
    .vgpr_count:     0
    .vgpr_spill_count: 0
    .wavefront_size: 32
    .workgroup_processor_mode: 1
  - .args:
      - .offset:         0
        .size:           176
        .value_kind:     by_value
    .group_segment_fixed_size: 0
    .kernarg_segment_align: 8
    .kernarg_segment_size: 176
    .language:       OpenCL C
    .language_version:
      - 2
      - 0
    .max_flat_workgroup_size: 256
    .name:           _ZN7rocprim17ROCPRIM_400000_NS6detail17trampoline_kernelINS0_13select_configILj256ELj13ELNS0_17block_load_methodE3ELS4_3ELS4_3ELNS0_20block_scan_algorithmE0ELj4294967295EEENS1_25partition_config_selectorILNS1_17partition_subalgoE4EjNS0_10empty_typeEbEEZZNS1_14partition_implILS8_4ELb0ES6_15HIP_vector_typeIjLj2EENS0_17counting_iteratorIjlEEPS9_SG_NS0_5tupleIJPjSI_NS0_16reverse_iteratorISI_EEEEENSH_IJSG_SG_SG_EEES9_SI_JZNS1_25segmented_radix_sort_implINS0_14default_configELb0EPKbPbPKlPlN2at6native12_GLOBAL__N_18offset_tEEE10hipError_tPvRmT1_PNSt15iterator_traitsIS12_E10value_typeET2_T3_PNS13_IS18_E10value_typeET4_jRbjT5_S1E_jjP12ihipStream_tbEUljE_ZNSN_ISO_Lb0ESQ_SR_ST_SU_SY_EESZ_S10_S11_S12_S16_S17_S18_S1B_S1C_jS1D_jS1E_S1E_jjS1G_bEUljE0_EEESZ_S10_S11_S18_S1C_S1E_T6_T7_T9_mT8_S1G_bDpT10_ENKUlT_T0_E_clISt17integral_constantIbLb0EES1U_EEDaS1P_S1Q_EUlS1P_E_NS1_11comp_targetILNS1_3genE0ELNS1_11target_archE4294967295ELNS1_3gpuE0ELNS1_3repE0EEENS1_30default_config_static_selectorELNS0_4arch9wavefront6targetE0EEEvS12_
    .private_segment_fixed_size: 0
    .sgpr_count:     0
    .sgpr_spill_count: 0
    .symbol:         _ZN7rocprim17ROCPRIM_400000_NS6detail17trampoline_kernelINS0_13select_configILj256ELj13ELNS0_17block_load_methodE3ELS4_3ELS4_3ELNS0_20block_scan_algorithmE0ELj4294967295EEENS1_25partition_config_selectorILNS1_17partition_subalgoE4EjNS0_10empty_typeEbEEZZNS1_14partition_implILS8_4ELb0ES6_15HIP_vector_typeIjLj2EENS0_17counting_iteratorIjlEEPS9_SG_NS0_5tupleIJPjSI_NS0_16reverse_iteratorISI_EEEEENSH_IJSG_SG_SG_EEES9_SI_JZNS1_25segmented_radix_sort_implINS0_14default_configELb0EPKbPbPKlPlN2at6native12_GLOBAL__N_18offset_tEEE10hipError_tPvRmT1_PNSt15iterator_traitsIS12_E10value_typeET2_T3_PNS13_IS18_E10value_typeET4_jRbjT5_S1E_jjP12ihipStream_tbEUljE_ZNSN_ISO_Lb0ESQ_SR_ST_SU_SY_EESZ_S10_S11_S12_S16_S17_S18_S1B_S1C_jS1D_jS1E_S1E_jjS1G_bEUljE0_EEESZ_S10_S11_S18_S1C_S1E_T6_T7_T9_mT8_S1G_bDpT10_ENKUlT_T0_E_clISt17integral_constantIbLb0EES1U_EEDaS1P_S1Q_EUlS1P_E_NS1_11comp_targetILNS1_3genE0ELNS1_11target_archE4294967295ELNS1_3gpuE0ELNS1_3repE0EEENS1_30default_config_static_selectorELNS0_4arch9wavefront6targetE0EEEvS12_.kd
    .uniform_work_group_size: 1
    .uses_dynamic_stack: false
    .vgpr_count:     0
    .vgpr_spill_count: 0
    .wavefront_size: 32
    .workgroup_processor_mode: 1
  - .args:
      - .offset:         0
        .size:           176
        .value_kind:     by_value
    .group_segment_fixed_size: 0
    .kernarg_segment_align: 8
    .kernarg_segment_size: 176
    .language:       OpenCL C
    .language_version:
      - 2
      - 0
    .max_flat_workgroup_size: 256
    .name:           _ZN7rocprim17ROCPRIM_400000_NS6detail17trampoline_kernelINS0_13select_configILj256ELj13ELNS0_17block_load_methodE3ELS4_3ELS4_3ELNS0_20block_scan_algorithmE0ELj4294967295EEENS1_25partition_config_selectorILNS1_17partition_subalgoE4EjNS0_10empty_typeEbEEZZNS1_14partition_implILS8_4ELb0ES6_15HIP_vector_typeIjLj2EENS0_17counting_iteratorIjlEEPS9_SG_NS0_5tupleIJPjSI_NS0_16reverse_iteratorISI_EEEEENSH_IJSG_SG_SG_EEES9_SI_JZNS1_25segmented_radix_sort_implINS0_14default_configELb0EPKbPbPKlPlN2at6native12_GLOBAL__N_18offset_tEEE10hipError_tPvRmT1_PNSt15iterator_traitsIS12_E10value_typeET2_T3_PNS13_IS18_E10value_typeET4_jRbjT5_S1E_jjP12ihipStream_tbEUljE_ZNSN_ISO_Lb0ESQ_SR_ST_SU_SY_EESZ_S10_S11_S12_S16_S17_S18_S1B_S1C_jS1D_jS1E_S1E_jjS1G_bEUljE0_EEESZ_S10_S11_S18_S1C_S1E_T6_T7_T9_mT8_S1G_bDpT10_ENKUlT_T0_E_clISt17integral_constantIbLb0EES1U_EEDaS1P_S1Q_EUlS1P_E_NS1_11comp_targetILNS1_3genE5ELNS1_11target_archE942ELNS1_3gpuE9ELNS1_3repE0EEENS1_30default_config_static_selectorELNS0_4arch9wavefront6targetE0EEEvS12_
    .private_segment_fixed_size: 0
    .sgpr_count:     0
    .sgpr_spill_count: 0
    .symbol:         _ZN7rocprim17ROCPRIM_400000_NS6detail17trampoline_kernelINS0_13select_configILj256ELj13ELNS0_17block_load_methodE3ELS4_3ELS4_3ELNS0_20block_scan_algorithmE0ELj4294967295EEENS1_25partition_config_selectorILNS1_17partition_subalgoE4EjNS0_10empty_typeEbEEZZNS1_14partition_implILS8_4ELb0ES6_15HIP_vector_typeIjLj2EENS0_17counting_iteratorIjlEEPS9_SG_NS0_5tupleIJPjSI_NS0_16reverse_iteratorISI_EEEEENSH_IJSG_SG_SG_EEES9_SI_JZNS1_25segmented_radix_sort_implINS0_14default_configELb0EPKbPbPKlPlN2at6native12_GLOBAL__N_18offset_tEEE10hipError_tPvRmT1_PNSt15iterator_traitsIS12_E10value_typeET2_T3_PNS13_IS18_E10value_typeET4_jRbjT5_S1E_jjP12ihipStream_tbEUljE_ZNSN_ISO_Lb0ESQ_SR_ST_SU_SY_EESZ_S10_S11_S12_S16_S17_S18_S1B_S1C_jS1D_jS1E_S1E_jjS1G_bEUljE0_EEESZ_S10_S11_S18_S1C_S1E_T6_T7_T9_mT8_S1G_bDpT10_ENKUlT_T0_E_clISt17integral_constantIbLb0EES1U_EEDaS1P_S1Q_EUlS1P_E_NS1_11comp_targetILNS1_3genE5ELNS1_11target_archE942ELNS1_3gpuE9ELNS1_3repE0EEENS1_30default_config_static_selectorELNS0_4arch9wavefront6targetE0EEEvS12_.kd
    .uniform_work_group_size: 1
    .uses_dynamic_stack: false
    .vgpr_count:     0
    .vgpr_spill_count: 0
    .wavefront_size: 32
    .workgroup_processor_mode: 1
  - .args:
      - .offset:         0
        .size:           176
        .value_kind:     by_value
    .group_segment_fixed_size: 0
    .kernarg_segment_align: 8
    .kernarg_segment_size: 176
    .language:       OpenCL C
    .language_version:
      - 2
      - 0
    .max_flat_workgroup_size: 256
    .name:           _ZN7rocprim17ROCPRIM_400000_NS6detail17trampoline_kernelINS0_13select_configILj256ELj13ELNS0_17block_load_methodE3ELS4_3ELS4_3ELNS0_20block_scan_algorithmE0ELj4294967295EEENS1_25partition_config_selectorILNS1_17partition_subalgoE4EjNS0_10empty_typeEbEEZZNS1_14partition_implILS8_4ELb0ES6_15HIP_vector_typeIjLj2EENS0_17counting_iteratorIjlEEPS9_SG_NS0_5tupleIJPjSI_NS0_16reverse_iteratorISI_EEEEENSH_IJSG_SG_SG_EEES9_SI_JZNS1_25segmented_radix_sort_implINS0_14default_configELb0EPKbPbPKlPlN2at6native12_GLOBAL__N_18offset_tEEE10hipError_tPvRmT1_PNSt15iterator_traitsIS12_E10value_typeET2_T3_PNS13_IS18_E10value_typeET4_jRbjT5_S1E_jjP12ihipStream_tbEUljE_ZNSN_ISO_Lb0ESQ_SR_ST_SU_SY_EESZ_S10_S11_S12_S16_S17_S18_S1B_S1C_jS1D_jS1E_S1E_jjS1G_bEUljE0_EEESZ_S10_S11_S18_S1C_S1E_T6_T7_T9_mT8_S1G_bDpT10_ENKUlT_T0_E_clISt17integral_constantIbLb0EES1U_EEDaS1P_S1Q_EUlS1P_E_NS1_11comp_targetILNS1_3genE4ELNS1_11target_archE910ELNS1_3gpuE8ELNS1_3repE0EEENS1_30default_config_static_selectorELNS0_4arch9wavefront6targetE0EEEvS12_
    .private_segment_fixed_size: 0
    .sgpr_count:     0
    .sgpr_spill_count: 0
    .symbol:         _ZN7rocprim17ROCPRIM_400000_NS6detail17trampoline_kernelINS0_13select_configILj256ELj13ELNS0_17block_load_methodE3ELS4_3ELS4_3ELNS0_20block_scan_algorithmE0ELj4294967295EEENS1_25partition_config_selectorILNS1_17partition_subalgoE4EjNS0_10empty_typeEbEEZZNS1_14partition_implILS8_4ELb0ES6_15HIP_vector_typeIjLj2EENS0_17counting_iteratorIjlEEPS9_SG_NS0_5tupleIJPjSI_NS0_16reverse_iteratorISI_EEEEENSH_IJSG_SG_SG_EEES9_SI_JZNS1_25segmented_radix_sort_implINS0_14default_configELb0EPKbPbPKlPlN2at6native12_GLOBAL__N_18offset_tEEE10hipError_tPvRmT1_PNSt15iterator_traitsIS12_E10value_typeET2_T3_PNS13_IS18_E10value_typeET4_jRbjT5_S1E_jjP12ihipStream_tbEUljE_ZNSN_ISO_Lb0ESQ_SR_ST_SU_SY_EESZ_S10_S11_S12_S16_S17_S18_S1B_S1C_jS1D_jS1E_S1E_jjS1G_bEUljE0_EEESZ_S10_S11_S18_S1C_S1E_T6_T7_T9_mT8_S1G_bDpT10_ENKUlT_T0_E_clISt17integral_constantIbLb0EES1U_EEDaS1P_S1Q_EUlS1P_E_NS1_11comp_targetILNS1_3genE4ELNS1_11target_archE910ELNS1_3gpuE8ELNS1_3repE0EEENS1_30default_config_static_selectorELNS0_4arch9wavefront6targetE0EEEvS12_.kd
    .uniform_work_group_size: 1
    .uses_dynamic_stack: false
    .vgpr_count:     0
    .vgpr_spill_count: 0
    .wavefront_size: 32
    .workgroup_processor_mode: 1
  - .args:
      - .offset:         0
        .size:           176
        .value_kind:     by_value
    .group_segment_fixed_size: 0
    .kernarg_segment_align: 8
    .kernarg_segment_size: 176
    .language:       OpenCL C
    .language_version:
      - 2
      - 0
    .max_flat_workgroup_size: 256
    .name:           _ZN7rocprim17ROCPRIM_400000_NS6detail17trampoline_kernelINS0_13select_configILj256ELj13ELNS0_17block_load_methodE3ELS4_3ELS4_3ELNS0_20block_scan_algorithmE0ELj4294967295EEENS1_25partition_config_selectorILNS1_17partition_subalgoE4EjNS0_10empty_typeEbEEZZNS1_14partition_implILS8_4ELb0ES6_15HIP_vector_typeIjLj2EENS0_17counting_iteratorIjlEEPS9_SG_NS0_5tupleIJPjSI_NS0_16reverse_iteratorISI_EEEEENSH_IJSG_SG_SG_EEES9_SI_JZNS1_25segmented_radix_sort_implINS0_14default_configELb0EPKbPbPKlPlN2at6native12_GLOBAL__N_18offset_tEEE10hipError_tPvRmT1_PNSt15iterator_traitsIS12_E10value_typeET2_T3_PNS13_IS18_E10value_typeET4_jRbjT5_S1E_jjP12ihipStream_tbEUljE_ZNSN_ISO_Lb0ESQ_SR_ST_SU_SY_EESZ_S10_S11_S12_S16_S17_S18_S1B_S1C_jS1D_jS1E_S1E_jjS1G_bEUljE0_EEESZ_S10_S11_S18_S1C_S1E_T6_T7_T9_mT8_S1G_bDpT10_ENKUlT_T0_E_clISt17integral_constantIbLb0EES1U_EEDaS1P_S1Q_EUlS1P_E_NS1_11comp_targetILNS1_3genE3ELNS1_11target_archE908ELNS1_3gpuE7ELNS1_3repE0EEENS1_30default_config_static_selectorELNS0_4arch9wavefront6targetE0EEEvS12_
    .private_segment_fixed_size: 0
    .sgpr_count:     0
    .sgpr_spill_count: 0
    .symbol:         _ZN7rocprim17ROCPRIM_400000_NS6detail17trampoline_kernelINS0_13select_configILj256ELj13ELNS0_17block_load_methodE3ELS4_3ELS4_3ELNS0_20block_scan_algorithmE0ELj4294967295EEENS1_25partition_config_selectorILNS1_17partition_subalgoE4EjNS0_10empty_typeEbEEZZNS1_14partition_implILS8_4ELb0ES6_15HIP_vector_typeIjLj2EENS0_17counting_iteratorIjlEEPS9_SG_NS0_5tupleIJPjSI_NS0_16reverse_iteratorISI_EEEEENSH_IJSG_SG_SG_EEES9_SI_JZNS1_25segmented_radix_sort_implINS0_14default_configELb0EPKbPbPKlPlN2at6native12_GLOBAL__N_18offset_tEEE10hipError_tPvRmT1_PNSt15iterator_traitsIS12_E10value_typeET2_T3_PNS13_IS18_E10value_typeET4_jRbjT5_S1E_jjP12ihipStream_tbEUljE_ZNSN_ISO_Lb0ESQ_SR_ST_SU_SY_EESZ_S10_S11_S12_S16_S17_S18_S1B_S1C_jS1D_jS1E_S1E_jjS1G_bEUljE0_EEESZ_S10_S11_S18_S1C_S1E_T6_T7_T9_mT8_S1G_bDpT10_ENKUlT_T0_E_clISt17integral_constantIbLb0EES1U_EEDaS1P_S1Q_EUlS1P_E_NS1_11comp_targetILNS1_3genE3ELNS1_11target_archE908ELNS1_3gpuE7ELNS1_3repE0EEENS1_30default_config_static_selectorELNS0_4arch9wavefront6targetE0EEEvS12_.kd
    .uniform_work_group_size: 1
    .uses_dynamic_stack: false
    .vgpr_count:     0
    .vgpr_spill_count: 0
    .wavefront_size: 32
    .workgroup_processor_mode: 1
  - .args:
      - .offset:         0
        .size:           176
        .value_kind:     by_value
    .group_segment_fixed_size: 0
    .kernarg_segment_align: 8
    .kernarg_segment_size: 176
    .language:       OpenCL C
    .language_version:
      - 2
      - 0
    .max_flat_workgroup_size: 256
    .name:           _ZN7rocprim17ROCPRIM_400000_NS6detail17trampoline_kernelINS0_13select_configILj256ELj13ELNS0_17block_load_methodE3ELS4_3ELS4_3ELNS0_20block_scan_algorithmE0ELj4294967295EEENS1_25partition_config_selectorILNS1_17partition_subalgoE4EjNS0_10empty_typeEbEEZZNS1_14partition_implILS8_4ELb0ES6_15HIP_vector_typeIjLj2EENS0_17counting_iteratorIjlEEPS9_SG_NS0_5tupleIJPjSI_NS0_16reverse_iteratorISI_EEEEENSH_IJSG_SG_SG_EEES9_SI_JZNS1_25segmented_radix_sort_implINS0_14default_configELb0EPKbPbPKlPlN2at6native12_GLOBAL__N_18offset_tEEE10hipError_tPvRmT1_PNSt15iterator_traitsIS12_E10value_typeET2_T3_PNS13_IS18_E10value_typeET4_jRbjT5_S1E_jjP12ihipStream_tbEUljE_ZNSN_ISO_Lb0ESQ_SR_ST_SU_SY_EESZ_S10_S11_S12_S16_S17_S18_S1B_S1C_jS1D_jS1E_S1E_jjS1G_bEUljE0_EEESZ_S10_S11_S18_S1C_S1E_T6_T7_T9_mT8_S1G_bDpT10_ENKUlT_T0_E_clISt17integral_constantIbLb0EES1U_EEDaS1P_S1Q_EUlS1P_E_NS1_11comp_targetILNS1_3genE2ELNS1_11target_archE906ELNS1_3gpuE6ELNS1_3repE0EEENS1_30default_config_static_selectorELNS0_4arch9wavefront6targetE0EEEvS12_
    .private_segment_fixed_size: 0
    .sgpr_count:     0
    .sgpr_spill_count: 0
    .symbol:         _ZN7rocprim17ROCPRIM_400000_NS6detail17trampoline_kernelINS0_13select_configILj256ELj13ELNS0_17block_load_methodE3ELS4_3ELS4_3ELNS0_20block_scan_algorithmE0ELj4294967295EEENS1_25partition_config_selectorILNS1_17partition_subalgoE4EjNS0_10empty_typeEbEEZZNS1_14partition_implILS8_4ELb0ES6_15HIP_vector_typeIjLj2EENS0_17counting_iteratorIjlEEPS9_SG_NS0_5tupleIJPjSI_NS0_16reverse_iteratorISI_EEEEENSH_IJSG_SG_SG_EEES9_SI_JZNS1_25segmented_radix_sort_implINS0_14default_configELb0EPKbPbPKlPlN2at6native12_GLOBAL__N_18offset_tEEE10hipError_tPvRmT1_PNSt15iterator_traitsIS12_E10value_typeET2_T3_PNS13_IS18_E10value_typeET4_jRbjT5_S1E_jjP12ihipStream_tbEUljE_ZNSN_ISO_Lb0ESQ_SR_ST_SU_SY_EESZ_S10_S11_S12_S16_S17_S18_S1B_S1C_jS1D_jS1E_S1E_jjS1G_bEUljE0_EEESZ_S10_S11_S18_S1C_S1E_T6_T7_T9_mT8_S1G_bDpT10_ENKUlT_T0_E_clISt17integral_constantIbLb0EES1U_EEDaS1P_S1Q_EUlS1P_E_NS1_11comp_targetILNS1_3genE2ELNS1_11target_archE906ELNS1_3gpuE6ELNS1_3repE0EEENS1_30default_config_static_selectorELNS0_4arch9wavefront6targetE0EEEvS12_.kd
    .uniform_work_group_size: 1
    .uses_dynamic_stack: false
    .vgpr_count:     0
    .vgpr_spill_count: 0
    .wavefront_size: 32
    .workgroup_processor_mode: 1
  - .args:
      - .offset:         0
        .size:           176
        .value_kind:     by_value
    .group_segment_fixed_size: 0
    .kernarg_segment_align: 8
    .kernarg_segment_size: 176
    .language:       OpenCL C
    .language_version:
      - 2
      - 0
    .max_flat_workgroup_size: 256
    .name:           _ZN7rocprim17ROCPRIM_400000_NS6detail17trampoline_kernelINS0_13select_configILj256ELj13ELNS0_17block_load_methodE3ELS4_3ELS4_3ELNS0_20block_scan_algorithmE0ELj4294967295EEENS1_25partition_config_selectorILNS1_17partition_subalgoE4EjNS0_10empty_typeEbEEZZNS1_14partition_implILS8_4ELb0ES6_15HIP_vector_typeIjLj2EENS0_17counting_iteratorIjlEEPS9_SG_NS0_5tupleIJPjSI_NS0_16reverse_iteratorISI_EEEEENSH_IJSG_SG_SG_EEES9_SI_JZNS1_25segmented_radix_sort_implINS0_14default_configELb0EPKbPbPKlPlN2at6native12_GLOBAL__N_18offset_tEEE10hipError_tPvRmT1_PNSt15iterator_traitsIS12_E10value_typeET2_T3_PNS13_IS18_E10value_typeET4_jRbjT5_S1E_jjP12ihipStream_tbEUljE_ZNSN_ISO_Lb0ESQ_SR_ST_SU_SY_EESZ_S10_S11_S12_S16_S17_S18_S1B_S1C_jS1D_jS1E_S1E_jjS1G_bEUljE0_EEESZ_S10_S11_S18_S1C_S1E_T6_T7_T9_mT8_S1G_bDpT10_ENKUlT_T0_E_clISt17integral_constantIbLb0EES1U_EEDaS1P_S1Q_EUlS1P_E_NS1_11comp_targetILNS1_3genE10ELNS1_11target_archE1200ELNS1_3gpuE4ELNS1_3repE0EEENS1_30default_config_static_selectorELNS0_4arch9wavefront6targetE0EEEvS12_
    .private_segment_fixed_size: 0
    .sgpr_count:     0
    .sgpr_spill_count: 0
    .symbol:         _ZN7rocprim17ROCPRIM_400000_NS6detail17trampoline_kernelINS0_13select_configILj256ELj13ELNS0_17block_load_methodE3ELS4_3ELS4_3ELNS0_20block_scan_algorithmE0ELj4294967295EEENS1_25partition_config_selectorILNS1_17partition_subalgoE4EjNS0_10empty_typeEbEEZZNS1_14partition_implILS8_4ELb0ES6_15HIP_vector_typeIjLj2EENS0_17counting_iteratorIjlEEPS9_SG_NS0_5tupleIJPjSI_NS0_16reverse_iteratorISI_EEEEENSH_IJSG_SG_SG_EEES9_SI_JZNS1_25segmented_radix_sort_implINS0_14default_configELb0EPKbPbPKlPlN2at6native12_GLOBAL__N_18offset_tEEE10hipError_tPvRmT1_PNSt15iterator_traitsIS12_E10value_typeET2_T3_PNS13_IS18_E10value_typeET4_jRbjT5_S1E_jjP12ihipStream_tbEUljE_ZNSN_ISO_Lb0ESQ_SR_ST_SU_SY_EESZ_S10_S11_S12_S16_S17_S18_S1B_S1C_jS1D_jS1E_S1E_jjS1G_bEUljE0_EEESZ_S10_S11_S18_S1C_S1E_T6_T7_T9_mT8_S1G_bDpT10_ENKUlT_T0_E_clISt17integral_constantIbLb0EES1U_EEDaS1P_S1Q_EUlS1P_E_NS1_11comp_targetILNS1_3genE10ELNS1_11target_archE1200ELNS1_3gpuE4ELNS1_3repE0EEENS1_30default_config_static_selectorELNS0_4arch9wavefront6targetE0EEEvS12_.kd
    .uniform_work_group_size: 1
    .uses_dynamic_stack: false
    .vgpr_count:     0
    .vgpr_spill_count: 0
    .wavefront_size: 32
    .workgroup_processor_mode: 1
  - .args:
      - .offset:         0
        .size:           176
        .value_kind:     by_value
    .group_segment_fixed_size: 13340
    .kernarg_segment_align: 8
    .kernarg_segment_size: 176
    .language:       OpenCL C
    .language_version:
      - 2
      - 0
    .max_flat_workgroup_size: 256
    .name:           _ZN7rocprim17ROCPRIM_400000_NS6detail17trampoline_kernelINS0_13select_configILj256ELj13ELNS0_17block_load_methodE3ELS4_3ELS4_3ELNS0_20block_scan_algorithmE0ELj4294967295EEENS1_25partition_config_selectorILNS1_17partition_subalgoE4EjNS0_10empty_typeEbEEZZNS1_14partition_implILS8_4ELb0ES6_15HIP_vector_typeIjLj2EENS0_17counting_iteratorIjlEEPS9_SG_NS0_5tupleIJPjSI_NS0_16reverse_iteratorISI_EEEEENSH_IJSG_SG_SG_EEES9_SI_JZNS1_25segmented_radix_sort_implINS0_14default_configELb0EPKbPbPKlPlN2at6native12_GLOBAL__N_18offset_tEEE10hipError_tPvRmT1_PNSt15iterator_traitsIS12_E10value_typeET2_T3_PNS13_IS18_E10value_typeET4_jRbjT5_S1E_jjP12ihipStream_tbEUljE_ZNSN_ISO_Lb0ESQ_SR_ST_SU_SY_EESZ_S10_S11_S12_S16_S17_S18_S1B_S1C_jS1D_jS1E_S1E_jjS1G_bEUljE0_EEESZ_S10_S11_S18_S1C_S1E_T6_T7_T9_mT8_S1G_bDpT10_ENKUlT_T0_E_clISt17integral_constantIbLb0EES1U_EEDaS1P_S1Q_EUlS1P_E_NS1_11comp_targetILNS1_3genE9ELNS1_11target_archE1100ELNS1_3gpuE3ELNS1_3repE0EEENS1_30default_config_static_selectorELNS0_4arch9wavefront6targetE0EEEvS12_
    .private_segment_fixed_size: 0
    .sgpr_count:     61
    .sgpr_spill_count: 0
    .symbol:         _ZN7rocprim17ROCPRIM_400000_NS6detail17trampoline_kernelINS0_13select_configILj256ELj13ELNS0_17block_load_methodE3ELS4_3ELS4_3ELNS0_20block_scan_algorithmE0ELj4294967295EEENS1_25partition_config_selectorILNS1_17partition_subalgoE4EjNS0_10empty_typeEbEEZZNS1_14partition_implILS8_4ELb0ES6_15HIP_vector_typeIjLj2EENS0_17counting_iteratorIjlEEPS9_SG_NS0_5tupleIJPjSI_NS0_16reverse_iteratorISI_EEEEENSH_IJSG_SG_SG_EEES9_SI_JZNS1_25segmented_radix_sort_implINS0_14default_configELb0EPKbPbPKlPlN2at6native12_GLOBAL__N_18offset_tEEE10hipError_tPvRmT1_PNSt15iterator_traitsIS12_E10value_typeET2_T3_PNS13_IS18_E10value_typeET4_jRbjT5_S1E_jjP12ihipStream_tbEUljE_ZNSN_ISO_Lb0ESQ_SR_ST_SU_SY_EESZ_S10_S11_S12_S16_S17_S18_S1B_S1C_jS1D_jS1E_S1E_jjS1G_bEUljE0_EEESZ_S10_S11_S18_S1C_S1E_T6_T7_T9_mT8_S1G_bDpT10_ENKUlT_T0_E_clISt17integral_constantIbLb0EES1U_EEDaS1P_S1Q_EUlS1P_E_NS1_11comp_targetILNS1_3genE9ELNS1_11target_archE1100ELNS1_3gpuE3ELNS1_3repE0EEENS1_30default_config_static_selectorELNS0_4arch9wavefront6targetE0EEEvS12_.kd
    .uniform_work_group_size: 1
    .uses_dynamic_stack: false
    .vgpr_count:     98
    .vgpr_spill_count: 0
    .wavefront_size: 32
    .workgroup_processor_mode: 1
  - .args:
      - .offset:         0
        .size:           176
        .value_kind:     by_value
    .group_segment_fixed_size: 0
    .kernarg_segment_align: 8
    .kernarg_segment_size: 176
    .language:       OpenCL C
    .language_version:
      - 2
      - 0
    .max_flat_workgroup_size: 256
    .name:           _ZN7rocprim17ROCPRIM_400000_NS6detail17trampoline_kernelINS0_13select_configILj256ELj13ELNS0_17block_load_methodE3ELS4_3ELS4_3ELNS0_20block_scan_algorithmE0ELj4294967295EEENS1_25partition_config_selectorILNS1_17partition_subalgoE4EjNS0_10empty_typeEbEEZZNS1_14partition_implILS8_4ELb0ES6_15HIP_vector_typeIjLj2EENS0_17counting_iteratorIjlEEPS9_SG_NS0_5tupleIJPjSI_NS0_16reverse_iteratorISI_EEEEENSH_IJSG_SG_SG_EEES9_SI_JZNS1_25segmented_radix_sort_implINS0_14default_configELb0EPKbPbPKlPlN2at6native12_GLOBAL__N_18offset_tEEE10hipError_tPvRmT1_PNSt15iterator_traitsIS12_E10value_typeET2_T3_PNS13_IS18_E10value_typeET4_jRbjT5_S1E_jjP12ihipStream_tbEUljE_ZNSN_ISO_Lb0ESQ_SR_ST_SU_SY_EESZ_S10_S11_S12_S16_S17_S18_S1B_S1C_jS1D_jS1E_S1E_jjS1G_bEUljE0_EEESZ_S10_S11_S18_S1C_S1E_T6_T7_T9_mT8_S1G_bDpT10_ENKUlT_T0_E_clISt17integral_constantIbLb0EES1U_EEDaS1P_S1Q_EUlS1P_E_NS1_11comp_targetILNS1_3genE8ELNS1_11target_archE1030ELNS1_3gpuE2ELNS1_3repE0EEENS1_30default_config_static_selectorELNS0_4arch9wavefront6targetE0EEEvS12_
    .private_segment_fixed_size: 0
    .sgpr_count:     0
    .sgpr_spill_count: 0
    .symbol:         _ZN7rocprim17ROCPRIM_400000_NS6detail17trampoline_kernelINS0_13select_configILj256ELj13ELNS0_17block_load_methodE3ELS4_3ELS4_3ELNS0_20block_scan_algorithmE0ELj4294967295EEENS1_25partition_config_selectorILNS1_17partition_subalgoE4EjNS0_10empty_typeEbEEZZNS1_14partition_implILS8_4ELb0ES6_15HIP_vector_typeIjLj2EENS0_17counting_iteratorIjlEEPS9_SG_NS0_5tupleIJPjSI_NS0_16reverse_iteratorISI_EEEEENSH_IJSG_SG_SG_EEES9_SI_JZNS1_25segmented_radix_sort_implINS0_14default_configELb0EPKbPbPKlPlN2at6native12_GLOBAL__N_18offset_tEEE10hipError_tPvRmT1_PNSt15iterator_traitsIS12_E10value_typeET2_T3_PNS13_IS18_E10value_typeET4_jRbjT5_S1E_jjP12ihipStream_tbEUljE_ZNSN_ISO_Lb0ESQ_SR_ST_SU_SY_EESZ_S10_S11_S12_S16_S17_S18_S1B_S1C_jS1D_jS1E_S1E_jjS1G_bEUljE0_EEESZ_S10_S11_S18_S1C_S1E_T6_T7_T9_mT8_S1G_bDpT10_ENKUlT_T0_E_clISt17integral_constantIbLb0EES1U_EEDaS1P_S1Q_EUlS1P_E_NS1_11comp_targetILNS1_3genE8ELNS1_11target_archE1030ELNS1_3gpuE2ELNS1_3repE0EEENS1_30default_config_static_selectorELNS0_4arch9wavefront6targetE0EEEvS12_.kd
    .uniform_work_group_size: 1
    .uses_dynamic_stack: false
    .vgpr_count:     0
    .vgpr_spill_count: 0
    .wavefront_size: 32
    .workgroup_processor_mode: 1
  - .args:
      - .offset:         0
        .size:           184
        .value_kind:     by_value
    .group_segment_fixed_size: 0
    .kernarg_segment_align: 8
    .kernarg_segment_size: 184
    .language:       OpenCL C
    .language_version:
      - 2
      - 0
    .max_flat_workgroup_size: 256
    .name:           _ZN7rocprim17ROCPRIM_400000_NS6detail17trampoline_kernelINS0_13select_configILj256ELj13ELNS0_17block_load_methodE3ELS4_3ELS4_3ELNS0_20block_scan_algorithmE0ELj4294967295EEENS1_25partition_config_selectorILNS1_17partition_subalgoE4EjNS0_10empty_typeEbEEZZNS1_14partition_implILS8_4ELb0ES6_15HIP_vector_typeIjLj2EENS0_17counting_iteratorIjlEEPS9_SG_NS0_5tupleIJPjSI_NS0_16reverse_iteratorISI_EEEEENSH_IJSG_SG_SG_EEES9_SI_JZNS1_25segmented_radix_sort_implINS0_14default_configELb0EPKbPbPKlPlN2at6native12_GLOBAL__N_18offset_tEEE10hipError_tPvRmT1_PNSt15iterator_traitsIS12_E10value_typeET2_T3_PNS13_IS18_E10value_typeET4_jRbjT5_S1E_jjP12ihipStream_tbEUljE_ZNSN_ISO_Lb0ESQ_SR_ST_SU_SY_EESZ_S10_S11_S12_S16_S17_S18_S1B_S1C_jS1D_jS1E_S1E_jjS1G_bEUljE0_EEESZ_S10_S11_S18_S1C_S1E_T6_T7_T9_mT8_S1G_bDpT10_ENKUlT_T0_E_clISt17integral_constantIbLb1EES1U_EEDaS1P_S1Q_EUlS1P_E_NS1_11comp_targetILNS1_3genE0ELNS1_11target_archE4294967295ELNS1_3gpuE0ELNS1_3repE0EEENS1_30default_config_static_selectorELNS0_4arch9wavefront6targetE0EEEvS12_
    .private_segment_fixed_size: 0
    .sgpr_count:     0
    .sgpr_spill_count: 0
    .symbol:         _ZN7rocprim17ROCPRIM_400000_NS6detail17trampoline_kernelINS0_13select_configILj256ELj13ELNS0_17block_load_methodE3ELS4_3ELS4_3ELNS0_20block_scan_algorithmE0ELj4294967295EEENS1_25partition_config_selectorILNS1_17partition_subalgoE4EjNS0_10empty_typeEbEEZZNS1_14partition_implILS8_4ELb0ES6_15HIP_vector_typeIjLj2EENS0_17counting_iteratorIjlEEPS9_SG_NS0_5tupleIJPjSI_NS0_16reverse_iteratorISI_EEEEENSH_IJSG_SG_SG_EEES9_SI_JZNS1_25segmented_radix_sort_implINS0_14default_configELb0EPKbPbPKlPlN2at6native12_GLOBAL__N_18offset_tEEE10hipError_tPvRmT1_PNSt15iterator_traitsIS12_E10value_typeET2_T3_PNS13_IS18_E10value_typeET4_jRbjT5_S1E_jjP12ihipStream_tbEUljE_ZNSN_ISO_Lb0ESQ_SR_ST_SU_SY_EESZ_S10_S11_S12_S16_S17_S18_S1B_S1C_jS1D_jS1E_S1E_jjS1G_bEUljE0_EEESZ_S10_S11_S18_S1C_S1E_T6_T7_T9_mT8_S1G_bDpT10_ENKUlT_T0_E_clISt17integral_constantIbLb1EES1U_EEDaS1P_S1Q_EUlS1P_E_NS1_11comp_targetILNS1_3genE0ELNS1_11target_archE4294967295ELNS1_3gpuE0ELNS1_3repE0EEENS1_30default_config_static_selectorELNS0_4arch9wavefront6targetE0EEEvS12_.kd
    .uniform_work_group_size: 1
    .uses_dynamic_stack: false
    .vgpr_count:     0
    .vgpr_spill_count: 0
    .wavefront_size: 32
    .workgroup_processor_mode: 1
  - .args:
      - .offset:         0
        .size:           184
        .value_kind:     by_value
    .group_segment_fixed_size: 0
    .kernarg_segment_align: 8
    .kernarg_segment_size: 184
    .language:       OpenCL C
    .language_version:
      - 2
      - 0
    .max_flat_workgroup_size: 256
    .name:           _ZN7rocprim17ROCPRIM_400000_NS6detail17trampoline_kernelINS0_13select_configILj256ELj13ELNS0_17block_load_methodE3ELS4_3ELS4_3ELNS0_20block_scan_algorithmE0ELj4294967295EEENS1_25partition_config_selectorILNS1_17partition_subalgoE4EjNS0_10empty_typeEbEEZZNS1_14partition_implILS8_4ELb0ES6_15HIP_vector_typeIjLj2EENS0_17counting_iteratorIjlEEPS9_SG_NS0_5tupleIJPjSI_NS0_16reverse_iteratorISI_EEEEENSH_IJSG_SG_SG_EEES9_SI_JZNS1_25segmented_radix_sort_implINS0_14default_configELb0EPKbPbPKlPlN2at6native12_GLOBAL__N_18offset_tEEE10hipError_tPvRmT1_PNSt15iterator_traitsIS12_E10value_typeET2_T3_PNS13_IS18_E10value_typeET4_jRbjT5_S1E_jjP12ihipStream_tbEUljE_ZNSN_ISO_Lb0ESQ_SR_ST_SU_SY_EESZ_S10_S11_S12_S16_S17_S18_S1B_S1C_jS1D_jS1E_S1E_jjS1G_bEUljE0_EEESZ_S10_S11_S18_S1C_S1E_T6_T7_T9_mT8_S1G_bDpT10_ENKUlT_T0_E_clISt17integral_constantIbLb1EES1U_EEDaS1P_S1Q_EUlS1P_E_NS1_11comp_targetILNS1_3genE5ELNS1_11target_archE942ELNS1_3gpuE9ELNS1_3repE0EEENS1_30default_config_static_selectorELNS0_4arch9wavefront6targetE0EEEvS12_
    .private_segment_fixed_size: 0
    .sgpr_count:     0
    .sgpr_spill_count: 0
    .symbol:         _ZN7rocprim17ROCPRIM_400000_NS6detail17trampoline_kernelINS0_13select_configILj256ELj13ELNS0_17block_load_methodE3ELS4_3ELS4_3ELNS0_20block_scan_algorithmE0ELj4294967295EEENS1_25partition_config_selectorILNS1_17partition_subalgoE4EjNS0_10empty_typeEbEEZZNS1_14partition_implILS8_4ELb0ES6_15HIP_vector_typeIjLj2EENS0_17counting_iteratorIjlEEPS9_SG_NS0_5tupleIJPjSI_NS0_16reverse_iteratorISI_EEEEENSH_IJSG_SG_SG_EEES9_SI_JZNS1_25segmented_radix_sort_implINS0_14default_configELb0EPKbPbPKlPlN2at6native12_GLOBAL__N_18offset_tEEE10hipError_tPvRmT1_PNSt15iterator_traitsIS12_E10value_typeET2_T3_PNS13_IS18_E10value_typeET4_jRbjT5_S1E_jjP12ihipStream_tbEUljE_ZNSN_ISO_Lb0ESQ_SR_ST_SU_SY_EESZ_S10_S11_S12_S16_S17_S18_S1B_S1C_jS1D_jS1E_S1E_jjS1G_bEUljE0_EEESZ_S10_S11_S18_S1C_S1E_T6_T7_T9_mT8_S1G_bDpT10_ENKUlT_T0_E_clISt17integral_constantIbLb1EES1U_EEDaS1P_S1Q_EUlS1P_E_NS1_11comp_targetILNS1_3genE5ELNS1_11target_archE942ELNS1_3gpuE9ELNS1_3repE0EEENS1_30default_config_static_selectorELNS0_4arch9wavefront6targetE0EEEvS12_.kd
    .uniform_work_group_size: 1
    .uses_dynamic_stack: false
    .vgpr_count:     0
    .vgpr_spill_count: 0
    .wavefront_size: 32
    .workgroup_processor_mode: 1
  - .args:
      - .offset:         0
        .size:           184
        .value_kind:     by_value
    .group_segment_fixed_size: 0
    .kernarg_segment_align: 8
    .kernarg_segment_size: 184
    .language:       OpenCL C
    .language_version:
      - 2
      - 0
    .max_flat_workgroup_size: 256
    .name:           _ZN7rocprim17ROCPRIM_400000_NS6detail17trampoline_kernelINS0_13select_configILj256ELj13ELNS0_17block_load_methodE3ELS4_3ELS4_3ELNS0_20block_scan_algorithmE0ELj4294967295EEENS1_25partition_config_selectorILNS1_17partition_subalgoE4EjNS0_10empty_typeEbEEZZNS1_14partition_implILS8_4ELb0ES6_15HIP_vector_typeIjLj2EENS0_17counting_iteratorIjlEEPS9_SG_NS0_5tupleIJPjSI_NS0_16reverse_iteratorISI_EEEEENSH_IJSG_SG_SG_EEES9_SI_JZNS1_25segmented_radix_sort_implINS0_14default_configELb0EPKbPbPKlPlN2at6native12_GLOBAL__N_18offset_tEEE10hipError_tPvRmT1_PNSt15iterator_traitsIS12_E10value_typeET2_T3_PNS13_IS18_E10value_typeET4_jRbjT5_S1E_jjP12ihipStream_tbEUljE_ZNSN_ISO_Lb0ESQ_SR_ST_SU_SY_EESZ_S10_S11_S12_S16_S17_S18_S1B_S1C_jS1D_jS1E_S1E_jjS1G_bEUljE0_EEESZ_S10_S11_S18_S1C_S1E_T6_T7_T9_mT8_S1G_bDpT10_ENKUlT_T0_E_clISt17integral_constantIbLb1EES1U_EEDaS1P_S1Q_EUlS1P_E_NS1_11comp_targetILNS1_3genE4ELNS1_11target_archE910ELNS1_3gpuE8ELNS1_3repE0EEENS1_30default_config_static_selectorELNS0_4arch9wavefront6targetE0EEEvS12_
    .private_segment_fixed_size: 0
    .sgpr_count:     0
    .sgpr_spill_count: 0
    .symbol:         _ZN7rocprim17ROCPRIM_400000_NS6detail17trampoline_kernelINS0_13select_configILj256ELj13ELNS0_17block_load_methodE3ELS4_3ELS4_3ELNS0_20block_scan_algorithmE0ELj4294967295EEENS1_25partition_config_selectorILNS1_17partition_subalgoE4EjNS0_10empty_typeEbEEZZNS1_14partition_implILS8_4ELb0ES6_15HIP_vector_typeIjLj2EENS0_17counting_iteratorIjlEEPS9_SG_NS0_5tupleIJPjSI_NS0_16reverse_iteratorISI_EEEEENSH_IJSG_SG_SG_EEES9_SI_JZNS1_25segmented_radix_sort_implINS0_14default_configELb0EPKbPbPKlPlN2at6native12_GLOBAL__N_18offset_tEEE10hipError_tPvRmT1_PNSt15iterator_traitsIS12_E10value_typeET2_T3_PNS13_IS18_E10value_typeET4_jRbjT5_S1E_jjP12ihipStream_tbEUljE_ZNSN_ISO_Lb0ESQ_SR_ST_SU_SY_EESZ_S10_S11_S12_S16_S17_S18_S1B_S1C_jS1D_jS1E_S1E_jjS1G_bEUljE0_EEESZ_S10_S11_S18_S1C_S1E_T6_T7_T9_mT8_S1G_bDpT10_ENKUlT_T0_E_clISt17integral_constantIbLb1EES1U_EEDaS1P_S1Q_EUlS1P_E_NS1_11comp_targetILNS1_3genE4ELNS1_11target_archE910ELNS1_3gpuE8ELNS1_3repE0EEENS1_30default_config_static_selectorELNS0_4arch9wavefront6targetE0EEEvS12_.kd
    .uniform_work_group_size: 1
    .uses_dynamic_stack: false
    .vgpr_count:     0
    .vgpr_spill_count: 0
    .wavefront_size: 32
    .workgroup_processor_mode: 1
  - .args:
      - .offset:         0
        .size:           184
        .value_kind:     by_value
    .group_segment_fixed_size: 0
    .kernarg_segment_align: 8
    .kernarg_segment_size: 184
    .language:       OpenCL C
    .language_version:
      - 2
      - 0
    .max_flat_workgroup_size: 256
    .name:           _ZN7rocprim17ROCPRIM_400000_NS6detail17trampoline_kernelINS0_13select_configILj256ELj13ELNS0_17block_load_methodE3ELS4_3ELS4_3ELNS0_20block_scan_algorithmE0ELj4294967295EEENS1_25partition_config_selectorILNS1_17partition_subalgoE4EjNS0_10empty_typeEbEEZZNS1_14partition_implILS8_4ELb0ES6_15HIP_vector_typeIjLj2EENS0_17counting_iteratorIjlEEPS9_SG_NS0_5tupleIJPjSI_NS0_16reverse_iteratorISI_EEEEENSH_IJSG_SG_SG_EEES9_SI_JZNS1_25segmented_radix_sort_implINS0_14default_configELb0EPKbPbPKlPlN2at6native12_GLOBAL__N_18offset_tEEE10hipError_tPvRmT1_PNSt15iterator_traitsIS12_E10value_typeET2_T3_PNS13_IS18_E10value_typeET4_jRbjT5_S1E_jjP12ihipStream_tbEUljE_ZNSN_ISO_Lb0ESQ_SR_ST_SU_SY_EESZ_S10_S11_S12_S16_S17_S18_S1B_S1C_jS1D_jS1E_S1E_jjS1G_bEUljE0_EEESZ_S10_S11_S18_S1C_S1E_T6_T7_T9_mT8_S1G_bDpT10_ENKUlT_T0_E_clISt17integral_constantIbLb1EES1U_EEDaS1P_S1Q_EUlS1P_E_NS1_11comp_targetILNS1_3genE3ELNS1_11target_archE908ELNS1_3gpuE7ELNS1_3repE0EEENS1_30default_config_static_selectorELNS0_4arch9wavefront6targetE0EEEvS12_
    .private_segment_fixed_size: 0
    .sgpr_count:     0
    .sgpr_spill_count: 0
    .symbol:         _ZN7rocprim17ROCPRIM_400000_NS6detail17trampoline_kernelINS0_13select_configILj256ELj13ELNS0_17block_load_methodE3ELS4_3ELS4_3ELNS0_20block_scan_algorithmE0ELj4294967295EEENS1_25partition_config_selectorILNS1_17partition_subalgoE4EjNS0_10empty_typeEbEEZZNS1_14partition_implILS8_4ELb0ES6_15HIP_vector_typeIjLj2EENS0_17counting_iteratorIjlEEPS9_SG_NS0_5tupleIJPjSI_NS0_16reverse_iteratorISI_EEEEENSH_IJSG_SG_SG_EEES9_SI_JZNS1_25segmented_radix_sort_implINS0_14default_configELb0EPKbPbPKlPlN2at6native12_GLOBAL__N_18offset_tEEE10hipError_tPvRmT1_PNSt15iterator_traitsIS12_E10value_typeET2_T3_PNS13_IS18_E10value_typeET4_jRbjT5_S1E_jjP12ihipStream_tbEUljE_ZNSN_ISO_Lb0ESQ_SR_ST_SU_SY_EESZ_S10_S11_S12_S16_S17_S18_S1B_S1C_jS1D_jS1E_S1E_jjS1G_bEUljE0_EEESZ_S10_S11_S18_S1C_S1E_T6_T7_T9_mT8_S1G_bDpT10_ENKUlT_T0_E_clISt17integral_constantIbLb1EES1U_EEDaS1P_S1Q_EUlS1P_E_NS1_11comp_targetILNS1_3genE3ELNS1_11target_archE908ELNS1_3gpuE7ELNS1_3repE0EEENS1_30default_config_static_selectorELNS0_4arch9wavefront6targetE0EEEvS12_.kd
    .uniform_work_group_size: 1
    .uses_dynamic_stack: false
    .vgpr_count:     0
    .vgpr_spill_count: 0
    .wavefront_size: 32
    .workgroup_processor_mode: 1
  - .args:
      - .offset:         0
        .size:           184
        .value_kind:     by_value
    .group_segment_fixed_size: 0
    .kernarg_segment_align: 8
    .kernarg_segment_size: 184
    .language:       OpenCL C
    .language_version:
      - 2
      - 0
    .max_flat_workgroup_size: 256
    .name:           _ZN7rocprim17ROCPRIM_400000_NS6detail17trampoline_kernelINS0_13select_configILj256ELj13ELNS0_17block_load_methodE3ELS4_3ELS4_3ELNS0_20block_scan_algorithmE0ELj4294967295EEENS1_25partition_config_selectorILNS1_17partition_subalgoE4EjNS0_10empty_typeEbEEZZNS1_14partition_implILS8_4ELb0ES6_15HIP_vector_typeIjLj2EENS0_17counting_iteratorIjlEEPS9_SG_NS0_5tupleIJPjSI_NS0_16reverse_iteratorISI_EEEEENSH_IJSG_SG_SG_EEES9_SI_JZNS1_25segmented_radix_sort_implINS0_14default_configELb0EPKbPbPKlPlN2at6native12_GLOBAL__N_18offset_tEEE10hipError_tPvRmT1_PNSt15iterator_traitsIS12_E10value_typeET2_T3_PNS13_IS18_E10value_typeET4_jRbjT5_S1E_jjP12ihipStream_tbEUljE_ZNSN_ISO_Lb0ESQ_SR_ST_SU_SY_EESZ_S10_S11_S12_S16_S17_S18_S1B_S1C_jS1D_jS1E_S1E_jjS1G_bEUljE0_EEESZ_S10_S11_S18_S1C_S1E_T6_T7_T9_mT8_S1G_bDpT10_ENKUlT_T0_E_clISt17integral_constantIbLb1EES1U_EEDaS1P_S1Q_EUlS1P_E_NS1_11comp_targetILNS1_3genE2ELNS1_11target_archE906ELNS1_3gpuE6ELNS1_3repE0EEENS1_30default_config_static_selectorELNS0_4arch9wavefront6targetE0EEEvS12_
    .private_segment_fixed_size: 0
    .sgpr_count:     0
    .sgpr_spill_count: 0
    .symbol:         _ZN7rocprim17ROCPRIM_400000_NS6detail17trampoline_kernelINS0_13select_configILj256ELj13ELNS0_17block_load_methodE3ELS4_3ELS4_3ELNS0_20block_scan_algorithmE0ELj4294967295EEENS1_25partition_config_selectorILNS1_17partition_subalgoE4EjNS0_10empty_typeEbEEZZNS1_14partition_implILS8_4ELb0ES6_15HIP_vector_typeIjLj2EENS0_17counting_iteratorIjlEEPS9_SG_NS0_5tupleIJPjSI_NS0_16reverse_iteratorISI_EEEEENSH_IJSG_SG_SG_EEES9_SI_JZNS1_25segmented_radix_sort_implINS0_14default_configELb0EPKbPbPKlPlN2at6native12_GLOBAL__N_18offset_tEEE10hipError_tPvRmT1_PNSt15iterator_traitsIS12_E10value_typeET2_T3_PNS13_IS18_E10value_typeET4_jRbjT5_S1E_jjP12ihipStream_tbEUljE_ZNSN_ISO_Lb0ESQ_SR_ST_SU_SY_EESZ_S10_S11_S12_S16_S17_S18_S1B_S1C_jS1D_jS1E_S1E_jjS1G_bEUljE0_EEESZ_S10_S11_S18_S1C_S1E_T6_T7_T9_mT8_S1G_bDpT10_ENKUlT_T0_E_clISt17integral_constantIbLb1EES1U_EEDaS1P_S1Q_EUlS1P_E_NS1_11comp_targetILNS1_3genE2ELNS1_11target_archE906ELNS1_3gpuE6ELNS1_3repE0EEENS1_30default_config_static_selectorELNS0_4arch9wavefront6targetE0EEEvS12_.kd
    .uniform_work_group_size: 1
    .uses_dynamic_stack: false
    .vgpr_count:     0
    .vgpr_spill_count: 0
    .wavefront_size: 32
    .workgroup_processor_mode: 1
  - .args:
      - .offset:         0
        .size:           184
        .value_kind:     by_value
    .group_segment_fixed_size: 0
    .kernarg_segment_align: 8
    .kernarg_segment_size: 184
    .language:       OpenCL C
    .language_version:
      - 2
      - 0
    .max_flat_workgroup_size: 256
    .name:           _ZN7rocprim17ROCPRIM_400000_NS6detail17trampoline_kernelINS0_13select_configILj256ELj13ELNS0_17block_load_methodE3ELS4_3ELS4_3ELNS0_20block_scan_algorithmE0ELj4294967295EEENS1_25partition_config_selectorILNS1_17partition_subalgoE4EjNS0_10empty_typeEbEEZZNS1_14partition_implILS8_4ELb0ES6_15HIP_vector_typeIjLj2EENS0_17counting_iteratorIjlEEPS9_SG_NS0_5tupleIJPjSI_NS0_16reverse_iteratorISI_EEEEENSH_IJSG_SG_SG_EEES9_SI_JZNS1_25segmented_radix_sort_implINS0_14default_configELb0EPKbPbPKlPlN2at6native12_GLOBAL__N_18offset_tEEE10hipError_tPvRmT1_PNSt15iterator_traitsIS12_E10value_typeET2_T3_PNS13_IS18_E10value_typeET4_jRbjT5_S1E_jjP12ihipStream_tbEUljE_ZNSN_ISO_Lb0ESQ_SR_ST_SU_SY_EESZ_S10_S11_S12_S16_S17_S18_S1B_S1C_jS1D_jS1E_S1E_jjS1G_bEUljE0_EEESZ_S10_S11_S18_S1C_S1E_T6_T7_T9_mT8_S1G_bDpT10_ENKUlT_T0_E_clISt17integral_constantIbLb1EES1U_EEDaS1P_S1Q_EUlS1P_E_NS1_11comp_targetILNS1_3genE10ELNS1_11target_archE1200ELNS1_3gpuE4ELNS1_3repE0EEENS1_30default_config_static_selectorELNS0_4arch9wavefront6targetE0EEEvS12_
    .private_segment_fixed_size: 0
    .sgpr_count:     0
    .sgpr_spill_count: 0
    .symbol:         _ZN7rocprim17ROCPRIM_400000_NS6detail17trampoline_kernelINS0_13select_configILj256ELj13ELNS0_17block_load_methodE3ELS4_3ELS4_3ELNS0_20block_scan_algorithmE0ELj4294967295EEENS1_25partition_config_selectorILNS1_17partition_subalgoE4EjNS0_10empty_typeEbEEZZNS1_14partition_implILS8_4ELb0ES6_15HIP_vector_typeIjLj2EENS0_17counting_iteratorIjlEEPS9_SG_NS0_5tupleIJPjSI_NS0_16reverse_iteratorISI_EEEEENSH_IJSG_SG_SG_EEES9_SI_JZNS1_25segmented_radix_sort_implINS0_14default_configELb0EPKbPbPKlPlN2at6native12_GLOBAL__N_18offset_tEEE10hipError_tPvRmT1_PNSt15iterator_traitsIS12_E10value_typeET2_T3_PNS13_IS18_E10value_typeET4_jRbjT5_S1E_jjP12ihipStream_tbEUljE_ZNSN_ISO_Lb0ESQ_SR_ST_SU_SY_EESZ_S10_S11_S12_S16_S17_S18_S1B_S1C_jS1D_jS1E_S1E_jjS1G_bEUljE0_EEESZ_S10_S11_S18_S1C_S1E_T6_T7_T9_mT8_S1G_bDpT10_ENKUlT_T0_E_clISt17integral_constantIbLb1EES1U_EEDaS1P_S1Q_EUlS1P_E_NS1_11comp_targetILNS1_3genE10ELNS1_11target_archE1200ELNS1_3gpuE4ELNS1_3repE0EEENS1_30default_config_static_selectorELNS0_4arch9wavefront6targetE0EEEvS12_.kd
    .uniform_work_group_size: 1
    .uses_dynamic_stack: false
    .vgpr_count:     0
    .vgpr_spill_count: 0
    .wavefront_size: 32
    .workgroup_processor_mode: 1
  - .args:
      - .offset:         0
        .size:           184
        .value_kind:     by_value
    .group_segment_fixed_size: 13340
    .kernarg_segment_align: 8
    .kernarg_segment_size: 184
    .language:       OpenCL C
    .language_version:
      - 2
      - 0
    .max_flat_workgroup_size: 256
    .name:           _ZN7rocprim17ROCPRIM_400000_NS6detail17trampoline_kernelINS0_13select_configILj256ELj13ELNS0_17block_load_methodE3ELS4_3ELS4_3ELNS0_20block_scan_algorithmE0ELj4294967295EEENS1_25partition_config_selectorILNS1_17partition_subalgoE4EjNS0_10empty_typeEbEEZZNS1_14partition_implILS8_4ELb0ES6_15HIP_vector_typeIjLj2EENS0_17counting_iteratorIjlEEPS9_SG_NS0_5tupleIJPjSI_NS0_16reverse_iteratorISI_EEEEENSH_IJSG_SG_SG_EEES9_SI_JZNS1_25segmented_radix_sort_implINS0_14default_configELb0EPKbPbPKlPlN2at6native12_GLOBAL__N_18offset_tEEE10hipError_tPvRmT1_PNSt15iterator_traitsIS12_E10value_typeET2_T3_PNS13_IS18_E10value_typeET4_jRbjT5_S1E_jjP12ihipStream_tbEUljE_ZNSN_ISO_Lb0ESQ_SR_ST_SU_SY_EESZ_S10_S11_S12_S16_S17_S18_S1B_S1C_jS1D_jS1E_S1E_jjS1G_bEUljE0_EEESZ_S10_S11_S18_S1C_S1E_T6_T7_T9_mT8_S1G_bDpT10_ENKUlT_T0_E_clISt17integral_constantIbLb1EES1U_EEDaS1P_S1Q_EUlS1P_E_NS1_11comp_targetILNS1_3genE9ELNS1_11target_archE1100ELNS1_3gpuE3ELNS1_3repE0EEENS1_30default_config_static_selectorELNS0_4arch9wavefront6targetE0EEEvS12_
    .private_segment_fixed_size: 0
    .sgpr_count:     57
    .sgpr_spill_count: 0
    .symbol:         _ZN7rocprim17ROCPRIM_400000_NS6detail17trampoline_kernelINS0_13select_configILj256ELj13ELNS0_17block_load_methodE3ELS4_3ELS4_3ELNS0_20block_scan_algorithmE0ELj4294967295EEENS1_25partition_config_selectorILNS1_17partition_subalgoE4EjNS0_10empty_typeEbEEZZNS1_14partition_implILS8_4ELb0ES6_15HIP_vector_typeIjLj2EENS0_17counting_iteratorIjlEEPS9_SG_NS0_5tupleIJPjSI_NS0_16reverse_iteratorISI_EEEEENSH_IJSG_SG_SG_EEES9_SI_JZNS1_25segmented_radix_sort_implINS0_14default_configELb0EPKbPbPKlPlN2at6native12_GLOBAL__N_18offset_tEEE10hipError_tPvRmT1_PNSt15iterator_traitsIS12_E10value_typeET2_T3_PNS13_IS18_E10value_typeET4_jRbjT5_S1E_jjP12ihipStream_tbEUljE_ZNSN_ISO_Lb0ESQ_SR_ST_SU_SY_EESZ_S10_S11_S12_S16_S17_S18_S1B_S1C_jS1D_jS1E_S1E_jjS1G_bEUljE0_EEESZ_S10_S11_S18_S1C_S1E_T6_T7_T9_mT8_S1G_bDpT10_ENKUlT_T0_E_clISt17integral_constantIbLb1EES1U_EEDaS1P_S1Q_EUlS1P_E_NS1_11comp_targetILNS1_3genE9ELNS1_11target_archE1100ELNS1_3gpuE3ELNS1_3repE0EEENS1_30default_config_static_selectorELNS0_4arch9wavefront6targetE0EEEvS12_.kd
    .uniform_work_group_size: 1
    .uses_dynamic_stack: false
    .vgpr_count:     103
    .vgpr_spill_count: 0
    .wavefront_size: 32
    .workgroup_processor_mode: 1
  - .args:
      - .offset:         0
        .size:           184
        .value_kind:     by_value
    .group_segment_fixed_size: 0
    .kernarg_segment_align: 8
    .kernarg_segment_size: 184
    .language:       OpenCL C
    .language_version:
      - 2
      - 0
    .max_flat_workgroup_size: 256
    .name:           _ZN7rocprim17ROCPRIM_400000_NS6detail17trampoline_kernelINS0_13select_configILj256ELj13ELNS0_17block_load_methodE3ELS4_3ELS4_3ELNS0_20block_scan_algorithmE0ELj4294967295EEENS1_25partition_config_selectorILNS1_17partition_subalgoE4EjNS0_10empty_typeEbEEZZNS1_14partition_implILS8_4ELb0ES6_15HIP_vector_typeIjLj2EENS0_17counting_iteratorIjlEEPS9_SG_NS0_5tupleIJPjSI_NS0_16reverse_iteratorISI_EEEEENSH_IJSG_SG_SG_EEES9_SI_JZNS1_25segmented_radix_sort_implINS0_14default_configELb0EPKbPbPKlPlN2at6native12_GLOBAL__N_18offset_tEEE10hipError_tPvRmT1_PNSt15iterator_traitsIS12_E10value_typeET2_T3_PNS13_IS18_E10value_typeET4_jRbjT5_S1E_jjP12ihipStream_tbEUljE_ZNSN_ISO_Lb0ESQ_SR_ST_SU_SY_EESZ_S10_S11_S12_S16_S17_S18_S1B_S1C_jS1D_jS1E_S1E_jjS1G_bEUljE0_EEESZ_S10_S11_S18_S1C_S1E_T6_T7_T9_mT8_S1G_bDpT10_ENKUlT_T0_E_clISt17integral_constantIbLb1EES1U_EEDaS1P_S1Q_EUlS1P_E_NS1_11comp_targetILNS1_3genE8ELNS1_11target_archE1030ELNS1_3gpuE2ELNS1_3repE0EEENS1_30default_config_static_selectorELNS0_4arch9wavefront6targetE0EEEvS12_
    .private_segment_fixed_size: 0
    .sgpr_count:     0
    .sgpr_spill_count: 0
    .symbol:         _ZN7rocprim17ROCPRIM_400000_NS6detail17trampoline_kernelINS0_13select_configILj256ELj13ELNS0_17block_load_methodE3ELS4_3ELS4_3ELNS0_20block_scan_algorithmE0ELj4294967295EEENS1_25partition_config_selectorILNS1_17partition_subalgoE4EjNS0_10empty_typeEbEEZZNS1_14partition_implILS8_4ELb0ES6_15HIP_vector_typeIjLj2EENS0_17counting_iteratorIjlEEPS9_SG_NS0_5tupleIJPjSI_NS0_16reverse_iteratorISI_EEEEENSH_IJSG_SG_SG_EEES9_SI_JZNS1_25segmented_radix_sort_implINS0_14default_configELb0EPKbPbPKlPlN2at6native12_GLOBAL__N_18offset_tEEE10hipError_tPvRmT1_PNSt15iterator_traitsIS12_E10value_typeET2_T3_PNS13_IS18_E10value_typeET4_jRbjT5_S1E_jjP12ihipStream_tbEUljE_ZNSN_ISO_Lb0ESQ_SR_ST_SU_SY_EESZ_S10_S11_S12_S16_S17_S18_S1B_S1C_jS1D_jS1E_S1E_jjS1G_bEUljE0_EEESZ_S10_S11_S18_S1C_S1E_T6_T7_T9_mT8_S1G_bDpT10_ENKUlT_T0_E_clISt17integral_constantIbLb1EES1U_EEDaS1P_S1Q_EUlS1P_E_NS1_11comp_targetILNS1_3genE8ELNS1_11target_archE1030ELNS1_3gpuE2ELNS1_3repE0EEENS1_30default_config_static_selectorELNS0_4arch9wavefront6targetE0EEEvS12_.kd
    .uniform_work_group_size: 1
    .uses_dynamic_stack: false
    .vgpr_count:     0
    .vgpr_spill_count: 0
    .wavefront_size: 32
    .workgroup_processor_mode: 1
  - .args:
      - .offset:         0
        .size:           176
        .value_kind:     by_value
    .group_segment_fixed_size: 0
    .kernarg_segment_align: 8
    .kernarg_segment_size: 176
    .language:       OpenCL C
    .language_version:
      - 2
      - 0
    .max_flat_workgroup_size: 256
    .name:           _ZN7rocprim17ROCPRIM_400000_NS6detail17trampoline_kernelINS0_13select_configILj256ELj13ELNS0_17block_load_methodE3ELS4_3ELS4_3ELNS0_20block_scan_algorithmE0ELj4294967295EEENS1_25partition_config_selectorILNS1_17partition_subalgoE4EjNS0_10empty_typeEbEEZZNS1_14partition_implILS8_4ELb0ES6_15HIP_vector_typeIjLj2EENS0_17counting_iteratorIjlEEPS9_SG_NS0_5tupleIJPjSI_NS0_16reverse_iteratorISI_EEEEENSH_IJSG_SG_SG_EEES9_SI_JZNS1_25segmented_radix_sort_implINS0_14default_configELb0EPKbPbPKlPlN2at6native12_GLOBAL__N_18offset_tEEE10hipError_tPvRmT1_PNSt15iterator_traitsIS12_E10value_typeET2_T3_PNS13_IS18_E10value_typeET4_jRbjT5_S1E_jjP12ihipStream_tbEUljE_ZNSN_ISO_Lb0ESQ_SR_ST_SU_SY_EESZ_S10_S11_S12_S16_S17_S18_S1B_S1C_jS1D_jS1E_S1E_jjS1G_bEUljE0_EEESZ_S10_S11_S18_S1C_S1E_T6_T7_T9_mT8_S1G_bDpT10_ENKUlT_T0_E_clISt17integral_constantIbLb1EES1T_IbLb0EEEEDaS1P_S1Q_EUlS1P_E_NS1_11comp_targetILNS1_3genE0ELNS1_11target_archE4294967295ELNS1_3gpuE0ELNS1_3repE0EEENS1_30default_config_static_selectorELNS0_4arch9wavefront6targetE0EEEvS12_
    .private_segment_fixed_size: 0
    .sgpr_count:     0
    .sgpr_spill_count: 0
    .symbol:         _ZN7rocprim17ROCPRIM_400000_NS6detail17trampoline_kernelINS0_13select_configILj256ELj13ELNS0_17block_load_methodE3ELS4_3ELS4_3ELNS0_20block_scan_algorithmE0ELj4294967295EEENS1_25partition_config_selectorILNS1_17partition_subalgoE4EjNS0_10empty_typeEbEEZZNS1_14partition_implILS8_4ELb0ES6_15HIP_vector_typeIjLj2EENS0_17counting_iteratorIjlEEPS9_SG_NS0_5tupleIJPjSI_NS0_16reverse_iteratorISI_EEEEENSH_IJSG_SG_SG_EEES9_SI_JZNS1_25segmented_radix_sort_implINS0_14default_configELb0EPKbPbPKlPlN2at6native12_GLOBAL__N_18offset_tEEE10hipError_tPvRmT1_PNSt15iterator_traitsIS12_E10value_typeET2_T3_PNS13_IS18_E10value_typeET4_jRbjT5_S1E_jjP12ihipStream_tbEUljE_ZNSN_ISO_Lb0ESQ_SR_ST_SU_SY_EESZ_S10_S11_S12_S16_S17_S18_S1B_S1C_jS1D_jS1E_S1E_jjS1G_bEUljE0_EEESZ_S10_S11_S18_S1C_S1E_T6_T7_T9_mT8_S1G_bDpT10_ENKUlT_T0_E_clISt17integral_constantIbLb1EES1T_IbLb0EEEEDaS1P_S1Q_EUlS1P_E_NS1_11comp_targetILNS1_3genE0ELNS1_11target_archE4294967295ELNS1_3gpuE0ELNS1_3repE0EEENS1_30default_config_static_selectorELNS0_4arch9wavefront6targetE0EEEvS12_.kd
    .uniform_work_group_size: 1
    .uses_dynamic_stack: false
    .vgpr_count:     0
    .vgpr_spill_count: 0
    .wavefront_size: 32
    .workgroup_processor_mode: 1
  - .args:
      - .offset:         0
        .size:           176
        .value_kind:     by_value
    .group_segment_fixed_size: 0
    .kernarg_segment_align: 8
    .kernarg_segment_size: 176
    .language:       OpenCL C
    .language_version:
      - 2
      - 0
    .max_flat_workgroup_size: 256
    .name:           _ZN7rocprim17ROCPRIM_400000_NS6detail17trampoline_kernelINS0_13select_configILj256ELj13ELNS0_17block_load_methodE3ELS4_3ELS4_3ELNS0_20block_scan_algorithmE0ELj4294967295EEENS1_25partition_config_selectorILNS1_17partition_subalgoE4EjNS0_10empty_typeEbEEZZNS1_14partition_implILS8_4ELb0ES6_15HIP_vector_typeIjLj2EENS0_17counting_iteratorIjlEEPS9_SG_NS0_5tupleIJPjSI_NS0_16reverse_iteratorISI_EEEEENSH_IJSG_SG_SG_EEES9_SI_JZNS1_25segmented_radix_sort_implINS0_14default_configELb0EPKbPbPKlPlN2at6native12_GLOBAL__N_18offset_tEEE10hipError_tPvRmT1_PNSt15iterator_traitsIS12_E10value_typeET2_T3_PNS13_IS18_E10value_typeET4_jRbjT5_S1E_jjP12ihipStream_tbEUljE_ZNSN_ISO_Lb0ESQ_SR_ST_SU_SY_EESZ_S10_S11_S12_S16_S17_S18_S1B_S1C_jS1D_jS1E_S1E_jjS1G_bEUljE0_EEESZ_S10_S11_S18_S1C_S1E_T6_T7_T9_mT8_S1G_bDpT10_ENKUlT_T0_E_clISt17integral_constantIbLb1EES1T_IbLb0EEEEDaS1P_S1Q_EUlS1P_E_NS1_11comp_targetILNS1_3genE5ELNS1_11target_archE942ELNS1_3gpuE9ELNS1_3repE0EEENS1_30default_config_static_selectorELNS0_4arch9wavefront6targetE0EEEvS12_
    .private_segment_fixed_size: 0
    .sgpr_count:     0
    .sgpr_spill_count: 0
    .symbol:         _ZN7rocprim17ROCPRIM_400000_NS6detail17trampoline_kernelINS0_13select_configILj256ELj13ELNS0_17block_load_methodE3ELS4_3ELS4_3ELNS0_20block_scan_algorithmE0ELj4294967295EEENS1_25partition_config_selectorILNS1_17partition_subalgoE4EjNS0_10empty_typeEbEEZZNS1_14partition_implILS8_4ELb0ES6_15HIP_vector_typeIjLj2EENS0_17counting_iteratorIjlEEPS9_SG_NS0_5tupleIJPjSI_NS0_16reverse_iteratorISI_EEEEENSH_IJSG_SG_SG_EEES9_SI_JZNS1_25segmented_radix_sort_implINS0_14default_configELb0EPKbPbPKlPlN2at6native12_GLOBAL__N_18offset_tEEE10hipError_tPvRmT1_PNSt15iterator_traitsIS12_E10value_typeET2_T3_PNS13_IS18_E10value_typeET4_jRbjT5_S1E_jjP12ihipStream_tbEUljE_ZNSN_ISO_Lb0ESQ_SR_ST_SU_SY_EESZ_S10_S11_S12_S16_S17_S18_S1B_S1C_jS1D_jS1E_S1E_jjS1G_bEUljE0_EEESZ_S10_S11_S18_S1C_S1E_T6_T7_T9_mT8_S1G_bDpT10_ENKUlT_T0_E_clISt17integral_constantIbLb1EES1T_IbLb0EEEEDaS1P_S1Q_EUlS1P_E_NS1_11comp_targetILNS1_3genE5ELNS1_11target_archE942ELNS1_3gpuE9ELNS1_3repE0EEENS1_30default_config_static_selectorELNS0_4arch9wavefront6targetE0EEEvS12_.kd
    .uniform_work_group_size: 1
    .uses_dynamic_stack: false
    .vgpr_count:     0
    .vgpr_spill_count: 0
    .wavefront_size: 32
    .workgroup_processor_mode: 1
  - .args:
      - .offset:         0
        .size:           176
        .value_kind:     by_value
    .group_segment_fixed_size: 0
    .kernarg_segment_align: 8
    .kernarg_segment_size: 176
    .language:       OpenCL C
    .language_version:
      - 2
      - 0
    .max_flat_workgroup_size: 256
    .name:           _ZN7rocprim17ROCPRIM_400000_NS6detail17trampoline_kernelINS0_13select_configILj256ELj13ELNS0_17block_load_methodE3ELS4_3ELS4_3ELNS0_20block_scan_algorithmE0ELj4294967295EEENS1_25partition_config_selectorILNS1_17partition_subalgoE4EjNS0_10empty_typeEbEEZZNS1_14partition_implILS8_4ELb0ES6_15HIP_vector_typeIjLj2EENS0_17counting_iteratorIjlEEPS9_SG_NS0_5tupleIJPjSI_NS0_16reverse_iteratorISI_EEEEENSH_IJSG_SG_SG_EEES9_SI_JZNS1_25segmented_radix_sort_implINS0_14default_configELb0EPKbPbPKlPlN2at6native12_GLOBAL__N_18offset_tEEE10hipError_tPvRmT1_PNSt15iterator_traitsIS12_E10value_typeET2_T3_PNS13_IS18_E10value_typeET4_jRbjT5_S1E_jjP12ihipStream_tbEUljE_ZNSN_ISO_Lb0ESQ_SR_ST_SU_SY_EESZ_S10_S11_S12_S16_S17_S18_S1B_S1C_jS1D_jS1E_S1E_jjS1G_bEUljE0_EEESZ_S10_S11_S18_S1C_S1E_T6_T7_T9_mT8_S1G_bDpT10_ENKUlT_T0_E_clISt17integral_constantIbLb1EES1T_IbLb0EEEEDaS1P_S1Q_EUlS1P_E_NS1_11comp_targetILNS1_3genE4ELNS1_11target_archE910ELNS1_3gpuE8ELNS1_3repE0EEENS1_30default_config_static_selectorELNS0_4arch9wavefront6targetE0EEEvS12_
    .private_segment_fixed_size: 0
    .sgpr_count:     0
    .sgpr_spill_count: 0
    .symbol:         _ZN7rocprim17ROCPRIM_400000_NS6detail17trampoline_kernelINS0_13select_configILj256ELj13ELNS0_17block_load_methodE3ELS4_3ELS4_3ELNS0_20block_scan_algorithmE0ELj4294967295EEENS1_25partition_config_selectorILNS1_17partition_subalgoE4EjNS0_10empty_typeEbEEZZNS1_14partition_implILS8_4ELb0ES6_15HIP_vector_typeIjLj2EENS0_17counting_iteratorIjlEEPS9_SG_NS0_5tupleIJPjSI_NS0_16reverse_iteratorISI_EEEEENSH_IJSG_SG_SG_EEES9_SI_JZNS1_25segmented_radix_sort_implINS0_14default_configELb0EPKbPbPKlPlN2at6native12_GLOBAL__N_18offset_tEEE10hipError_tPvRmT1_PNSt15iterator_traitsIS12_E10value_typeET2_T3_PNS13_IS18_E10value_typeET4_jRbjT5_S1E_jjP12ihipStream_tbEUljE_ZNSN_ISO_Lb0ESQ_SR_ST_SU_SY_EESZ_S10_S11_S12_S16_S17_S18_S1B_S1C_jS1D_jS1E_S1E_jjS1G_bEUljE0_EEESZ_S10_S11_S18_S1C_S1E_T6_T7_T9_mT8_S1G_bDpT10_ENKUlT_T0_E_clISt17integral_constantIbLb1EES1T_IbLb0EEEEDaS1P_S1Q_EUlS1P_E_NS1_11comp_targetILNS1_3genE4ELNS1_11target_archE910ELNS1_3gpuE8ELNS1_3repE0EEENS1_30default_config_static_selectorELNS0_4arch9wavefront6targetE0EEEvS12_.kd
    .uniform_work_group_size: 1
    .uses_dynamic_stack: false
    .vgpr_count:     0
    .vgpr_spill_count: 0
    .wavefront_size: 32
    .workgroup_processor_mode: 1
  - .args:
      - .offset:         0
        .size:           176
        .value_kind:     by_value
    .group_segment_fixed_size: 0
    .kernarg_segment_align: 8
    .kernarg_segment_size: 176
    .language:       OpenCL C
    .language_version:
      - 2
      - 0
    .max_flat_workgroup_size: 256
    .name:           _ZN7rocprim17ROCPRIM_400000_NS6detail17trampoline_kernelINS0_13select_configILj256ELj13ELNS0_17block_load_methodE3ELS4_3ELS4_3ELNS0_20block_scan_algorithmE0ELj4294967295EEENS1_25partition_config_selectorILNS1_17partition_subalgoE4EjNS0_10empty_typeEbEEZZNS1_14partition_implILS8_4ELb0ES6_15HIP_vector_typeIjLj2EENS0_17counting_iteratorIjlEEPS9_SG_NS0_5tupleIJPjSI_NS0_16reverse_iteratorISI_EEEEENSH_IJSG_SG_SG_EEES9_SI_JZNS1_25segmented_radix_sort_implINS0_14default_configELb0EPKbPbPKlPlN2at6native12_GLOBAL__N_18offset_tEEE10hipError_tPvRmT1_PNSt15iterator_traitsIS12_E10value_typeET2_T3_PNS13_IS18_E10value_typeET4_jRbjT5_S1E_jjP12ihipStream_tbEUljE_ZNSN_ISO_Lb0ESQ_SR_ST_SU_SY_EESZ_S10_S11_S12_S16_S17_S18_S1B_S1C_jS1D_jS1E_S1E_jjS1G_bEUljE0_EEESZ_S10_S11_S18_S1C_S1E_T6_T7_T9_mT8_S1G_bDpT10_ENKUlT_T0_E_clISt17integral_constantIbLb1EES1T_IbLb0EEEEDaS1P_S1Q_EUlS1P_E_NS1_11comp_targetILNS1_3genE3ELNS1_11target_archE908ELNS1_3gpuE7ELNS1_3repE0EEENS1_30default_config_static_selectorELNS0_4arch9wavefront6targetE0EEEvS12_
    .private_segment_fixed_size: 0
    .sgpr_count:     0
    .sgpr_spill_count: 0
    .symbol:         _ZN7rocprim17ROCPRIM_400000_NS6detail17trampoline_kernelINS0_13select_configILj256ELj13ELNS0_17block_load_methodE3ELS4_3ELS4_3ELNS0_20block_scan_algorithmE0ELj4294967295EEENS1_25partition_config_selectorILNS1_17partition_subalgoE4EjNS0_10empty_typeEbEEZZNS1_14partition_implILS8_4ELb0ES6_15HIP_vector_typeIjLj2EENS0_17counting_iteratorIjlEEPS9_SG_NS0_5tupleIJPjSI_NS0_16reverse_iteratorISI_EEEEENSH_IJSG_SG_SG_EEES9_SI_JZNS1_25segmented_radix_sort_implINS0_14default_configELb0EPKbPbPKlPlN2at6native12_GLOBAL__N_18offset_tEEE10hipError_tPvRmT1_PNSt15iterator_traitsIS12_E10value_typeET2_T3_PNS13_IS18_E10value_typeET4_jRbjT5_S1E_jjP12ihipStream_tbEUljE_ZNSN_ISO_Lb0ESQ_SR_ST_SU_SY_EESZ_S10_S11_S12_S16_S17_S18_S1B_S1C_jS1D_jS1E_S1E_jjS1G_bEUljE0_EEESZ_S10_S11_S18_S1C_S1E_T6_T7_T9_mT8_S1G_bDpT10_ENKUlT_T0_E_clISt17integral_constantIbLb1EES1T_IbLb0EEEEDaS1P_S1Q_EUlS1P_E_NS1_11comp_targetILNS1_3genE3ELNS1_11target_archE908ELNS1_3gpuE7ELNS1_3repE0EEENS1_30default_config_static_selectorELNS0_4arch9wavefront6targetE0EEEvS12_.kd
    .uniform_work_group_size: 1
    .uses_dynamic_stack: false
    .vgpr_count:     0
    .vgpr_spill_count: 0
    .wavefront_size: 32
    .workgroup_processor_mode: 1
  - .args:
      - .offset:         0
        .size:           176
        .value_kind:     by_value
    .group_segment_fixed_size: 0
    .kernarg_segment_align: 8
    .kernarg_segment_size: 176
    .language:       OpenCL C
    .language_version:
      - 2
      - 0
    .max_flat_workgroup_size: 256
    .name:           _ZN7rocprim17ROCPRIM_400000_NS6detail17trampoline_kernelINS0_13select_configILj256ELj13ELNS0_17block_load_methodE3ELS4_3ELS4_3ELNS0_20block_scan_algorithmE0ELj4294967295EEENS1_25partition_config_selectorILNS1_17partition_subalgoE4EjNS0_10empty_typeEbEEZZNS1_14partition_implILS8_4ELb0ES6_15HIP_vector_typeIjLj2EENS0_17counting_iteratorIjlEEPS9_SG_NS0_5tupleIJPjSI_NS0_16reverse_iteratorISI_EEEEENSH_IJSG_SG_SG_EEES9_SI_JZNS1_25segmented_radix_sort_implINS0_14default_configELb0EPKbPbPKlPlN2at6native12_GLOBAL__N_18offset_tEEE10hipError_tPvRmT1_PNSt15iterator_traitsIS12_E10value_typeET2_T3_PNS13_IS18_E10value_typeET4_jRbjT5_S1E_jjP12ihipStream_tbEUljE_ZNSN_ISO_Lb0ESQ_SR_ST_SU_SY_EESZ_S10_S11_S12_S16_S17_S18_S1B_S1C_jS1D_jS1E_S1E_jjS1G_bEUljE0_EEESZ_S10_S11_S18_S1C_S1E_T6_T7_T9_mT8_S1G_bDpT10_ENKUlT_T0_E_clISt17integral_constantIbLb1EES1T_IbLb0EEEEDaS1P_S1Q_EUlS1P_E_NS1_11comp_targetILNS1_3genE2ELNS1_11target_archE906ELNS1_3gpuE6ELNS1_3repE0EEENS1_30default_config_static_selectorELNS0_4arch9wavefront6targetE0EEEvS12_
    .private_segment_fixed_size: 0
    .sgpr_count:     0
    .sgpr_spill_count: 0
    .symbol:         _ZN7rocprim17ROCPRIM_400000_NS6detail17trampoline_kernelINS0_13select_configILj256ELj13ELNS0_17block_load_methodE3ELS4_3ELS4_3ELNS0_20block_scan_algorithmE0ELj4294967295EEENS1_25partition_config_selectorILNS1_17partition_subalgoE4EjNS0_10empty_typeEbEEZZNS1_14partition_implILS8_4ELb0ES6_15HIP_vector_typeIjLj2EENS0_17counting_iteratorIjlEEPS9_SG_NS0_5tupleIJPjSI_NS0_16reverse_iteratorISI_EEEEENSH_IJSG_SG_SG_EEES9_SI_JZNS1_25segmented_radix_sort_implINS0_14default_configELb0EPKbPbPKlPlN2at6native12_GLOBAL__N_18offset_tEEE10hipError_tPvRmT1_PNSt15iterator_traitsIS12_E10value_typeET2_T3_PNS13_IS18_E10value_typeET4_jRbjT5_S1E_jjP12ihipStream_tbEUljE_ZNSN_ISO_Lb0ESQ_SR_ST_SU_SY_EESZ_S10_S11_S12_S16_S17_S18_S1B_S1C_jS1D_jS1E_S1E_jjS1G_bEUljE0_EEESZ_S10_S11_S18_S1C_S1E_T6_T7_T9_mT8_S1G_bDpT10_ENKUlT_T0_E_clISt17integral_constantIbLb1EES1T_IbLb0EEEEDaS1P_S1Q_EUlS1P_E_NS1_11comp_targetILNS1_3genE2ELNS1_11target_archE906ELNS1_3gpuE6ELNS1_3repE0EEENS1_30default_config_static_selectorELNS0_4arch9wavefront6targetE0EEEvS12_.kd
    .uniform_work_group_size: 1
    .uses_dynamic_stack: false
    .vgpr_count:     0
    .vgpr_spill_count: 0
    .wavefront_size: 32
    .workgroup_processor_mode: 1
  - .args:
      - .offset:         0
        .size:           176
        .value_kind:     by_value
    .group_segment_fixed_size: 0
    .kernarg_segment_align: 8
    .kernarg_segment_size: 176
    .language:       OpenCL C
    .language_version:
      - 2
      - 0
    .max_flat_workgroup_size: 256
    .name:           _ZN7rocprim17ROCPRIM_400000_NS6detail17trampoline_kernelINS0_13select_configILj256ELj13ELNS0_17block_load_methodE3ELS4_3ELS4_3ELNS0_20block_scan_algorithmE0ELj4294967295EEENS1_25partition_config_selectorILNS1_17partition_subalgoE4EjNS0_10empty_typeEbEEZZNS1_14partition_implILS8_4ELb0ES6_15HIP_vector_typeIjLj2EENS0_17counting_iteratorIjlEEPS9_SG_NS0_5tupleIJPjSI_NS0_16reverse_iteratorISI_EEEEENSH_IJSG_SG_SG_EEES9_SI_JZNS1_25segmented_radix_sort_implINS0_14default_configELb0EPKbPbPKlPlN2at6native12_GLOBAL__N_18offset_tEEE10hipError_tPvRmT1_PNSt15iterator_traitsIS12_E10value_typeET2_T3_PNS13_IS18_E10value_typeET4_jRbjT5_S1E_jjP12ihipStream_tbEUljE_ZNSN_ISO_Lb0ESQ_SR_ST_SU_SY_EESZ_S10_S11_S12_S16_S17_S18_S1B_S1C_jS1D_jS1E_S1E_jjS1G_bEUljE0_EEESZ_S10_S11_S18_S1C_S1E_T6_T7_T9_mT8_S1G_bDpT10_ENKUlT_T0_E_clISt17integral_constantIbLb1EES1T_IbLb0EEEEDaS1P_S1Q_EUlS1P_E_NS1_11comp_targetILNS1_3genE10ELNS1_11target_archE1200ELNS1_3gpuE4ELNS1_3repE0EEENS1_30default_config_static_selectorELNS0_4arch9wavefront6targetE0EEEvS12_
    .private_segment_fixed_size: 0
    .sgpr_count:     0
    .sgpr_spill_count: 0
    .symbol:         _ZN7rocprim17ROCPRIM_400000_NS6detail17trampoline_kernelINS0_13select_configILj256ELj13ELNS0_17block_load_methodE3ELS4_3ELS4_3ELNS0_20block_scan_algorithmE0ELj4294967295EEENS1_25partition_config_selectorILNS1_17partition_subalgoE4EjNS0_10empty_typeEbEEZZNS1_14partition_implILS8_4ELb0ES6_15HIP_vector_typeIjLj2EENS0_17counting_iteratorIjlEEPS9_SG_NS0_5tupleIJPjSI_NS0_16reverse_iteratorISI_EEEEENSH_IJSG_SG_SG_EEES9_SI_JZNS1_25segmented_radix_sort_implINS0_14default_configELb0EPKbPbPKlPlN2at6native12_GLOBAL__N_18offset_tEEE10hipError_tPvRmT1_PNSt15iterator_traitsIS12_E10value_typeET2_T3_PNS13_IS18_E10value_typeET4_jRbjT5_S1E_jjP12ihipStream_tbEUljE_ZNSN_ISO_Lb0ESQ_SR_ST_SU_SY_EESZ_S10_S11_S12_S16_S17_S18_S1B_S1C_jS1D_jS1E_S1E_jjS1G_bEUljE0_EEESZ_S10_S11_S18_S1C_S1E_T6_T7_T9_mT8_S1G_bDpT10_ENKUlT_T0_E_clISt17integral_constantIbLb1EES1T_IbLb0EEEEDaS1P_S1Q_EUlS1P_E_NS1_11comp_targetILNS1_3genE10ELNS1_11target_archE1200ELNS1_3gpuE4ELNS1_3repE0EEENS1_30default_config_static_selectorELNS0_4arch9wavefront6targetE0EEEvS12_.kd
    .uniform_work_group_size: 1
    .uses_dynamic_stack: false
    .vgpr_count:     0
    .vgpr_spill_count: 0
    .wavefront_size: 32
    .workgroup_processor_mode: 1
  - .args:
      - .offset:         0
        .size:           176
        .value_kind:     by_value
    .group_segment_fixed_size: 13340
    .kernarg_segment_align: 8
    .kernarg_segment_size: 176
    .language:       OpenCL C
    .language_version:
      - 2
      - 0
    .max_flat_workgroup_size: 256
    .name:           _ZN7rocprim17ROCPRIM_400000_NS6detail17trampoline_kernelINS0_13select_configILj256ELj13ELNS0_17block_load_methodE3ELS4_3ELS4_3ELNS0_20block_scan_algorithmE0ELj4294967295EEENS1_25partition_config_selectorILNS1_17partition_subalgoE4EjNS0_10empty_typeEbEEZZNS1_14partition_implILS8_4ELb0ES6_15HIP_vector_typeIjLj2EENS0_17counting_iteratorIjlEEPS9_SG_NS0_5tupleIJPjSI_NS0_16reverse_iteratorISI_EEEEENSH_IJSG_SG_SG_EEES9_SI_JZNS1_25segmented_radix_sort_implINS0_14default_configELb0EPKbPbPKlPlN2at6native12_GLOBAL__N_18offset_tEEE10hipError_tPvRmT1_PNSt15iterator_traitsIS12_E10value_typeET2_T3_PNS13_IS18_E10value_typeET4_jRbjT5_S1E_jjP12ihipStream_tbEUljE_ZNSN_ISO_Lb0ESQ_SR_ST_SU_SY_EESZ_S10_S11_S12_S16_S17_S18_S1B_S1C_jS1D_jS1E_S1E_jjS1G_bEUljE0_EEESZ_S10_S11_S18_S1C_S1E_T6_T7_T9_mT8_S1G_bDpT10_ENKUlT_T0_E_clISt17integral_constantIbLb1EES1T_IbLb0EEEEDaS1P_S1Q_EUlS1P_E_NS1_11comp_targetILNS1_3genE9ELNS1_11target_archE1100ELNS1_3gpuE3ELNS1_3repE0EEENS1_30default_config_static_selectorELNS0_4arch9wavefront6targetE0EEEvS12_
    .private_segment_fixed_size: 0
    .sgpr_count:     61
    .sgpr_spill_count: 0
    .symbol:         _ZN7rocprim17ROCPRIM_400000_NS6detail17trampoline_kernelINS0_13select_configILj256ELj13ELNS0_17block_load_methodE3ELS4_3ELS4_3ELNS0_20block_scan_algorithmE0ELj4294967295EEENS1_25partition_config_selectorILNS1_17partition_subalgoE4EjNS0_10empty_typeEbEEZZNS1_14partition_implILS8_4ELb0ES6_15HIP_vector_typeIjLj2EENS0_17counting_iteratorIjlEEPS9_SG_NS0_5tupleIJPjSI_NS0_16reverse_iteratorISI_EEEEENSH_IJSG_SG_SG_EEES9_SI_JZNS1_25segmented_radix_sort_implINS0_14default_configELb0EPKbPbPKlPlN2at6native12_GLOBAL__N_18offset_tEEE10hipError_tPvRmT1_PNSt15iterator_traitsIS12_E10value_typeET2_T3_PNS13_IS18_E10value_typeET4_jRbjT5_S1E_jjP12ihipStream_tbEUljE_ZNSN_ISO_Lb0ESQ_SR_ST_SU_SY_EESZ_S10_S11_S12_S16_S17_S18_S1B_S1C_jS1D_jS1E_S1E_jjS1G_bEUljE0_EEESZ_S10_S11_S18_S1C_S1E_T6_T7_T9_mT8_S1G_bDpT10_ENKUlT_T0_E_clISt17integral_constantIbLb1EES1T_IbLb0EEEEDaS1P_S1Q_EUlS1P_E_NS1_11comp_targetILNS1_3genE9ELNS1_11target_archE1100ELNS1_3gpuE3ELNS1_3repE0EEENS1_30default_config_static_selectorELNS0_4arch9wavefront6targetE0EEEvS12_.kd
    .uniform_work_group_size: 1
    .uses_dynamic_stack: false
    .vgpr_count:     98
    .vgpr_spill_count: 0
    .wavefront_size: 32
    .workgroup_processor_mode: 1
  - .args:
      - .offset:         0
        .size:           176
        .value_kind:     by_value
    .group_segment_fixed_size: 0
    .kernarg_segment_align: 8
    .kernarg_segment_size: 176
    .language:       OpenCL C
    .language_version:
      - 2
      - 0
    .max_flat_workgroup_size: 256
    .name:           _ZN7rocprim17ROCPRIM_400000_NS6detail17trampoline_kernelINS0_13select_configILj256ELj13ELNS0_17block_load_methodE3ELS4_3ELS4_3ELNS0_20block_scan_algorithmE0ELj4294967295EEENS1_25partition_config_selectorILNS1_17partition_subalgoE4EjNS0_10empty_typeEbEEZZNS1_14partition_implILS8_4ELb0ES6_15HIP_vector_typeIjLj2EENS0_17counting_iteratorIjlEEPS9_SG_NS0_5tupleIJPjSI_NS0_16reverse_iteratorISI_EEEEENSH_IJSG_SG_SG_EEES9_SI_JZNS1_25segmented_radix_sort_implINS0_14default_configELb0EPKbPbPKlPlN2at6native12_GLOBAL__N_18offset_tEEE10hipError_tPvRmT1_PNSt15iterator_traitsIS12_E10value_typeET2_T3_PNS13_IS18_E10value_typeET4_jRbjT5_S1E_jjP12ihipStream_tbEUljE_ZNSN_ISO_Lb0ESQ_SR_ST_SU_SY_EESZ_S10_S11_S12_S16_S17_S18_S1B_S1C_jS1D_jS1E_S1E_jjS1G_bEUljE0_EEESZ_S10_S11_S18_S1C_S1E_T6_T7_T9_mT8_S1G_bDpT10_ENKUlT_T0_E_clISt17integral_constantIbLb1EES1T_IbLb0EEEEDaS1P_S1Q_EUlS1P_E_NS1_11comp_targetILNS1_3genE8ELNS1_11target_archE1030ELNS1_3gpuE2ELNS1_3repE0EEENS1_30default_config_static_selectorELNS0_4arch9wavefront6targetE0EEEvS12_
    .private_segment_fixed_size: 0
    .sgpr_count:     0
    .sgpr_spill_count: 0
    .symbol:         _ZN7rocprim17ROCPRIM_400000_NS6detail17trampoline_kernelINS0_13select_configILj256ELj13ELNS0_17block_load_methodE3ELS4_3ELS4_3ELNS0_20block_scan_algorithmE0ELj4294967295EEENS1_25partition_config_selectorILNS1_17partition_subalgoE4EjNS0_10empty_typeEbEEZZNS1_14partition_implILS8_4ELb0ES6_15HIP_vector_typeIjLj2EENS0_17counting_iteratorIjlEEPS9_SG_NS0_5tupleIJPjSI_NS0_16reverse_iteratorISI_EEEEENSH_IJSG_SG_SG_EEES9_SI_JZNS1_25segmented_radix_sort_implINS0_14default_configELb0EPKbPbPKlPlN2at6native12_GLOBAL__N_18offset_tEEE10hipError_tPvRmT1_PNSt15iterator_traitsIS12_E10value_typeET2_T3_PNS13_IS18_E10value_typeET4_jRbjT5_S1E_jjP12ihipStream_tbEUljE_ZNSN_ISO_Lb0ESQ_SR_ST_SU_SY_EESZ_S10_S11_S12_S16_S17_S18_S1B_S1C_jS1D_jS1E_S1E_jjS1G_bEUljE0_EEESZ_S10_S11_S18_S1C_S1E_T6_T7_T9_mT8_S1G_bDpT10_ENKUlT_T0_E_clISt17integral_constantIbLb1EES1T_IbLb0EEEEDaS1P_S1Q_EUlS1P_E_NS1_11comp_targetILNS1_3genE8ELNS1_11target_archE1030ELNS1_3gpuE2ELNS1_3repE0EEENS1_30default_config_static_selectorELNS0_4arch9wavefront6targetE0EEEvS12_.kd
    .uniform_work_group_size: 1
    .uses_dynamic_stack: false
    .vgpr_count:     0
    .vgpr_spill_count: 0
    .wavefront_size: 32
    .workgroup_processor_mode: 1
  - .args:
      - .offset:         0
        .size:           184
        .value_kind:     by_value
    .group_segment_fixed_size: 0
    .kernarg_segment_align: 8
    .kernarg_segment_size: 184
    .language:       OpenCL C
    .language_version:
      - 2
      - 0
    .max_flat_workgroup_size: 256
    .name:           _ZN7rocprim17ROCPRIM_400000_NS6detail17trampoline_kernelINS0_13select_configILj256ELj13ELNS0_17block_load_methodE3ELS4_3ELS4_3ELNS0_20block_scan_algorithmE0ELj4294967295EEENS1_25partition_config_selectorILNS1_17partition_subalgoE4EjNS0_10empty_typeEbEEZZNS1_14partition_implILS8_4ELb0ES6_15HIP_vector_typeIjLj2EENS0_17counting_iteratorIjlEEPS9_SG_NS0_5tupleIJPjSI_NS0_16reverse_iteratorISI_EEEEENSH_IJSG_SG_SG_EEES9_SI_JZNS1_25segmented_radix_sort_implINS0_14default_configELb0EPKbPbPKlPlN2at6native12_GLOBAL__N_18offset_tEEE10hipError_tPvRmT1_PNSt15iterator_traitsIS12_E10value_typeET2_T3_PNS13_IS18_E10value_typeET4_jRbjT5_S1E_jjP12ihipStream_tbEUljE_ZNSN_ISO_Lb0ESQ_SR_ST_SU_SY_EESZ_S10_S11_S12_S16_S17_S18_S1B_S1C_jS1D_jS1E_S1E_jjS1G_bEUljE0_EEESZ_S10_S11_S18_S1C_S1E_T6_T7_T9_mT8_S1G_bDpT10_ENKUlT_T0_E_clISt17integral_constantIbLb0EES1T_IbLb1EEEEDaS1P_S1Q_EUlS1P_E_NS1_11comp_targetILNS1_3genE0ELNS1_11target_archE4294967295ELNS1_3gpuE0ELNS1_3repE0EEENS1_30default_config_static_selectorELNS0_4arch9wavefront6targetE0EEEvS12_
    .private_segment_fixed_size: 0
    .sgpr_count:     0
    .sgpr_spill_count: 0
    .symbol:         _ZN7rocprim17ROCPRIM_400000_NS6detail17trampoline_kernelINS0_13select_configILj256ELj13ELNS0_17block_load_methodE3ELS4_3ELS4_3ELNS0_20block_scan_algorithmE0ELj4294967295EEENS1_25partition_config_selectorILNS1_17partition_subalgoE4EjNS0_10empty_typeEbEEZZNS1_14partition_implILS8_4ELb0ES6_15HIP_vector_typeIjLj2EENS0_17counting_iteratorIjlEEPS9_SG_NS0_5tupleIJPjSI_NS0_16reverse_iteratorISI_EEEEENSH_IJSG_SG_SG_EEES9_SI_JZNS1_25segmented_radix_sort_implINS0_14default_configELb0EPKbPbPKlPlN2at6native12_GLOBAL__N_18offset_tEEE10hipError_tPvRmT1_PNSt15iterator_traitsIS12_E10value_typeET2_T3_PNS13_IS18_E10value_typeET4_jRbjT5_S1E_jjP12ihipStream_tbEUljE_ZNSN_ISO_Lb0ESQ_SR_ST_SU_SY_EESZ_S10_S11_S12_S16_S17_S18_S1B_S1C_jS1D_jS1E_S1E_jjS1G_bEUljE0_EEESZ_S10_S11_S18_S1C_S1E_T6_T7_T9_mT8_S1G_bDpT10_ENKUlT_T0_E_clISt17integral_constantIbLb0EES1T_IbLb1EEEEDaS1P_S1Q_EUlS1P_E_NS1_11comp_targetILNS1_3genE0ELNS1_11target_archE4294967295ELNS1_3gpuE0ELNS1_3repE0EEENS1_30default_config_static_selectorELNS0_4arch9wavefront6targetE0EEEvS12_.kd
    .uniform_work_group_size: 1
    .uses_dynamic_stack: false
    .vgpr_count:     0
    .vgpr_spill_count: 0
    .wavefront_size: 32
    .workgroup_processor_mode: 1
  - .args:
      - .offset:         0
        .size:           184
        .value_kind:     by_value
    .group_segment_fixed_size: 0
    .kernarg_segment_align: 8
    .kernarg_segment_size: 184
    .language:       OpenCL C
    .language_version:
      - 2
      - 0
    .max_flat_workgroup_size: 256
    .name:           _ZN7rocprim17ROCPRIM_400000_NS6detail17trampoline_kernelINS0_13select_configILj256ELj13ELNS0_17block_load_methodE3ELS4_3ELS4_3ELNS0_20block_scan_algorithmE0ELj4294967295EEENS1_25partition_config_selectorILNS1_17partition_subalgoE4EjNS0_10empty_typeEbEEZZNS1_14partition_implILS8_4ELb0ES6_15HIP_vector_typeIjLj2EENS0_17counting_iteratorIjlEEPS9_SG_NS0_5tupleIJPjSI_NS0_16reverse_iteratorISI_EEEEENSH_IJSG_SG_SG_EEES9_SI_JZNS1_25segmented_radix_sort_implINS0_14default_configELb0EPKbPbPKlPlN2at6native12_GLOBAL__N_18offset_tEEE10hipError_tPvRmT1_PNSt15iterator_traitsIS12_E10value_typeET2_T3_PNS13_IS18_E10value_typeET4_jRbjT5_S1E_jjP12ihipStream_tbEUljE_ZNSN_ISO_Lb0ESQ_SR_ST_SU_SY_EESZ_S10_S11_S12_S16_S17_S18_S1B_S1C_jS1D_jS1E_S1E_jjS1G_bEUljE0_EEESZ_S10_S11_S18_S1C_S1E_T6_T7_T9_mT8_S1G_bDpT10_ENKUlT_T0_E_clISt17integral_constantIbLb0EES1T_IbLb1EEEEDaS1P_S1Q_EUlS1P_E_NS1_11comp_targetILNS1_3genE5ELNS1_11target_archE942ELNS1_3gpuE9ELNS1_3repE0EEENS1_30default_config_static_selectorELNS0_4arch9wavefront6targetE0EEEvS12_
    .private_segment_fixed_size: 0
    .sgpr_count:     0
    .sgpr_spill_count: 0
    .symbol:         _ZN7rocprim17ROCPRIM_400000_NS6detail17trampoline_kernelINS0_13select_configILj256ELj13ELNS0_17block_load_methodE3ELS4_3ELS4_3ELNS0_20block_scan_algorithmE0ELj4294967295EEENS1_25partition_config_selectorILNS1_17partition_subalgoE4EjNS0_10empty_typeEbEEZZNS1_14partition_implILS8_4ELb0ES6_15HIP_vector_typeIjLj2EENS0_17counting_iteratorIjlEEPS9_SG_NS0_5tupleIJPjSI_NS0_16reverse_iteratorISI_EEEEENSH_IJSG_SG_SG_EEES9_SI_JZNS1_25segmented_radix_sort_implINS0_14default_configELb0EPKbPbPKlPlN2at6native12_GLOBAL__N_18offset_tEEE10hipError_tPvRmT1_PNSt15iterator_traitsIS12_E10value_typeET2_T3_PNS13_IS18_E10value_typeET4_jRbjT5_S1E_jjP12ihipStream_tbEUljE_ZNSN_ISO_Lb0ESQ_SR_ST_SU_SY_EESZ_S10_S11_S12_S16_S17_S18_S1B_S1C_jS1D_jS1E_S1E_jjS1G_bEUljE0_EEESZ_S10_S11_S18_S1C_S1E_T6_T7_T9_mT8_S1G_bDpT10_ENKUlT_T0_E_clISt17integral_constantIbLb0EES1T_IbLb1EEEEDaS1P_S1Q_EUlS1P_E_NS1_11comp_targetILNS1_3genE5ELNS1_11target_archE942ELNS1_3gpuE9ELNS1_3repE0EEENS1_30default_config_static_selectorELNS0_4arch9wavefront6targetE0EEEvS12_.kd
    .uniform_work_group_size: 1
    .uses_dynamic_stack: false
    .vgpr_count:     0
    .vgpr_spill_count: 0
    .wavefront_size: 32
    .workgroup_processor_mode: 1
  - .args:
      - .offset:         0
        .size:           184
        .value_kind:     by_value
    .group_segment_fixed_size: 0
    .kernarg_segment_align: 8
    .kernarg_segment_size: 184
    .language:       OpenCL C
    .language_version:
      - 2
      - 0
    .max_flat_workgroup_size: 256
    .name:           _ZN7rocprim17ROCPRIM_400000_NS6detail17trampoline_kernelINS0_13select_configILj256ELj13ELNS0_17block_load_methodE3ELS4_3ELS4_3ELNS0_20block_scan_algorithmE0ELj4294967295EEENS1_25partition_config_selectorILNS1_17partition_subalgoE4EjNS0_10empty_typeEbEEZZNS1_14partition_implILS8_4ELb0ES6_15HIP_vector_typeIjLj2EENS0_17counting_iteratorIjlEEPS9_SG_NS0_5tupleIJPjSI_NS0_16reverse_iteratorISI_EEEEENSH_IJSG_SG_SG_EEES9_SI_JZNS1_25segmented_radix_sort_implINS0_14default_configELb0EPKbPbPKlPlN2at6native12_GLOBAL__N_18offset_tEEE10hipError_tPvRmT1_PNSt15iterator_traitsIS12_E10value_typeET2_T3_PNS13_IS18_E10value_typeET4_jRbjT5_S1E_jjP12ihipStream_tbEUljE_ZNSN_ISO_Lb0ESQ_SR_ST_SU_SY_EESZ_S10_S11_S12_S16_S17_S18_S1B_S1C_jS1D_jS1E_S1E_jjS1G_bEUljE0_EEESZ_S10_S11_S18_S1C_S1E_T6_T7_T9_mT8_S1G_bDpT10_ENKUlT_T0_E_clISt17integral_constantIbLb0EES1T_IbLb1EEEEDaS1P_S1Q_EUlS1P_E_NS1_11comp_targetILNS1_3genE4ELNS1_11target_archE910ELNS1_3gpuE8ELNS1_3repE0EEENS1_30default_config_static_selectorELNS0_4arch9wavefront6targetE0EEEvS12_
    .private_segment_fixed_size: 0
    .sgpr_count:     0
    .sgpr_spill_count: 0
    .symbol:         _ZN7rocprim17ROCPRIM_400000_NS6detail17trampoline_kernelINS0_13select_configILj256ELj13ELNS0_17block_load_methodE3ELS4_3ELS4_3ELNS0_20block_scan_algorithmE0ELj4294967295EEENS1_25partition_config_selectorILNS1_17partition_subalgoE4EjNS0_10empty_typeEbEEZZNS1_14partition_implILS8_4ELb0ES6_15HIP_vector_typeIjLj2EENS0_17counting_iteratorIjlEEPS9_SG_NS0_5tupleIJPjSI_NS0_16reverse_iteratorISI_EEEEENSH_IJSG_SG_SG_EEES9_SI_JZNS1_25segmented_radix_sort_implINS0_14default_configELb0EPKbPbPKlPlN2at6native12_GLOBAL__N_18offset_tEEE10hipError_tPvRmT1_PNSt15iterator_traitsIS12_E10value_typeET2_T3_PNS13_IS18_E10value_typeET4_jRbjT5_S1E_jjP12ihipStream_tbEUljE_ZNSN_ISO_Lb0ESQ_SR_ST_SU_SY_EESZ_S10_S11_S12_S16_S17_S18_S1B_S1C_jS1D_jS1E_S1E_jjS1G_bEUljE0_EEESZ_S10_S11_S18_S1C_S1E_T6_T7_T9_mT8_S1G_bDpT10_ENKUlT_T0_E_clISt17integral_constantIbLb0EES1T_IbLb1EEEEDaS1P_S1Q_EUlS1P_E_NS1_11comp_targetILNS1_3genE4ELNS1_11target_archE910ELNS1_3gpuE8ELNS1_3repE0EEENS1_30default_config_static_selectorELNS0_4arch9wavefront6targetE0EEEvS12_.kd
    .uniform_work_group_size: 1
    .uses_dynamic_stack: false
    .vgpr_count:     0
    .vgpr_spill_count: 0
    .wavefront_size: 32
    .workgroup_processor_mode: 1
  - .args:
      - .offset:         0
        .size:           184
        .value_kind:     by_value
    .group_segment_fixed_size: 0
    .kernarg_segment_align: 8
    .kernarg_segment_size: 184
    .language:       OpenCL C
    .language_version:
      - 2
      - 0
    .max_flat_workgroup_size: 256
    .name:           _ZN7rocprim17ROCPRIM_400000_NS6detail17trampoline_kernelINS0_13select_configILj256ELj13ELNS0_17block_load_methodE3ELS4_3ELS4_3ELNS0_20block_scan_algorithmE0ELj4294967295EEENS1_25partition_config_selectorILNS1_17partition_subalgoE4EjNS0_10empty_typeEbEEZZNS1_14partition_implILS8_4ELb0ES6_15HIP_vector_typeIjLj2EENS0_17counting_iteratorIjlEEPS9_SG_NS0_5tupleIJPjSI_NS0_16reverse_iteratorISI_EEEEENSH_IJSG_SG_SG_EEES9_SI_JZNS1_25segmented_radix_sort_implINS0_14default_configELb0EPKbPbPKlPlN2at6native12_GLOBAL__N_18offset_tEEE10hipError_tPvRmT1_PNSt15iterator_traitsIS12_E10value_typeET2_T3_PNS13_IS18_E10value_typeET4_jRbjT5_S1E_jjP12ihipStream_tbEUljE_ZNSN_ISO_Lb0ESQ_SR_ST_SU_SY_EESZ_S10_S11_S12_S16_S17_S18_S1B_S1C_jS1D_jS1E_S1E_jjS1G_bEUljE0_EEESZ_S10_S11_S18_S1C_S1E_T6_T7_T9_mT8_S1G_bDpT10_ENKUlT_T0_E_clISt17integral_constantIbLb0EES1T_IbLb1EEEEDaS1P_S1Q_EUlS1P_E_NS1_11comp_targetILNS1_3genE3ELNS1_11target_archE908ELNS1_3gpuE7ELNS1_3repE0EEENS1_30default_config_static_selectorELNS0_4arch9wavefront6targetE0EEEvS12_
    .private_segment_fixed_size: 0
    .sgpr_count:     0
    .sgpr_spill_count: 0
    .symbol:         _ZN7rocprim17ROCPRIM_400000_NS6detail17trampoline_kernelINS0_13select_configILj256ELj13ELNS0_17block_load_methodE3ELS4_3ELS4_3ELNS0_20block_scan_algorithmE0ELj4294967295EEENS1_25partition_config_selectorILNS1_17partition_subalgoE4EjNS0_10empty_typeEbEEZZNS1_14partition_implILS8_4ELb0ES6_15HIP_vector_typeIjLj2EENS0_17counting_iteratorIjlEEPS9_SG_NS0_5tupleIJPjSI_NS0_16reverse_iteratorISI_EEEEENSH_IJSG_SG_SG_EEES9_SI_JZNS1_25segmented_radix_sort_implINS0_14default_configELb0EPKbPbPKlPlN2at6native12_GLOBAL__N_18offset_tEEE10hipError_tPvRmT1_PNSt15iterator_traitsIS12_E10value_typeET2_T3_PNS13_IS18_E10value_typeET4_jRbjT5_S1E_jjP12ihipStream_tbEUljE_ZNSN_ISO_Lb0ESQ_SR_ST_SU_SY_EESZ_S10_S11_S12_S16_S17_S18_S1B_S1C_jS1D_jS1E_S1E_jjS1G_bEUljE0_EEESZ_S10_S11_S18_S1C_S1E_T6_T7_T9_mT8_S1G_bDpT10_ENKUlT_T0_E_clISt17integral_constantIbLb0EES1T_IbLb1EEEEDaS1P_S1Q_EUlS1P_E_NS1_11comp_targetILNS1_3genE3ELNS1_11target_archE908ELNS1_3gpuE7ELNS1_3repE0EEENS1_30default_config_static_selectorELNS0_4arch9wavefront6targetE0EEEvS12_.kd
    .uniform_work_group_size: 1
    .uses_dynamic_stack: false
    .vgpr_count:     0
    .vgpr_spill_count: 0
    .wavefront_size: 32
    .workgroup_processor_mode: 1
  - .args:
      - .offset:         0
        .size:           184
        .value_kind:     by_value
    .group_segment_fixed_size: 0
    .kernarg_segment_align: 8
    .kernarg_segment_size: 184
    .language:       OpenCL C
    .language_version:
      - 2
      - 0
    .max_flat_workgroup_size: 256
    .name:           _ZN7rocprim17ROCPRIM_400000_NS6detail17trampoline_kernelINS0_13select_configILj256ELj13ELNS0_17block_load_methodE3ELS4_3ELS4_3ELNS0_20block_scan_algorithmE0ELj4294967295EEENS1_25partition_config_selectorILNS1_17partition_subalgoE4EjNS0_10empty_typeEbEEZZNS1_14partition_implILS8_4ELb0ES6_15HIP_vector_typeIjLj2EENS0_17counting_iteratorIjlEEPS9_SG_NS0_5tupleIJPjSI_NS0_16reverse_iteratorISI_EEEEENSH_IJSG_SG_SG_EEES9_SI_JZNS1_25segmented_radix_sort_implINS0_14default_configELb0EPKbPbPKlPlN2at6native12_GLOBAL__N_18offset_tEEE10hipError_tPvRmT1_PNSt15iterator_traitsIS12_E10value_typeET2_T3_PNS13_IS18_E10value_typeET4_jRbjT5_S1E_jjP12ihipStream_tbEUljE_ZNSN_ISO_Lb0ESQ_SR_ST_SU_SY_EESZ_S10_S11_S12_S16_S17_S18_S1B_S1C_jS1D_jS1E_S1E_jjS1G_bEUljE0_EEESZ_S10_S11_S18_S1C_S1E_T6_T7_T9_mT8_S1G_bDpT10_ENKUlT_T0_E_clISt17integral_constantIbLb0EES1T_IbLb1EEEEDaS1P_S1Q_EUlS1P_E_NS1_11comp_targetILNS1_3genE2ELNS1_11target_archE906ELNS1_3gpuE6ELNS1_3repE0EEENS1_30default_config_static_selectorELNS0_4arch9wavefront6targetE0EEEvS12_
    .private_segment_fixed_size: 0
    .sgpr_count:     0
    .sgpr_spill_count: 0
    .symbol:         _ZN7rocprim17ROCPRIM_400000_NS6detail17trampoline_kernelINS0_13select_configILj256ELj13ELNS0_17block_load_methodE3ELS4_3ELS4_3ELNS0_20block_scan_algorithmE0ELj4294967295EEENS1_25partition_config_selectorILNS1_17partition_subalgoE4EjNS0_10empty_typeEbEEZZNS1_14partition_implILS8_4ELb0ES6_15HIP_vector_typeIjLj2EENS0_17counting_iteratorIjlEEPS9_SG_NS0_5tupleIJPjSI_NS0_16reverse_iteratorISI_EEEEENSH_IJSG_SG_SG_EEES9_SI_JZNS1_25segmented_radix_sort_implINS0_14default_configELb0EPKbPbPKlPlN2at6native12_GLOBAL__N_18offset_tEEE10hipError_tPvRmT1_PNSt15iterator_traitsIS12_E10value_typeET2_T3_PNS13_IS18_E10value_typeET4_jRbjT5_S1E_jjP12ihipStream_tbEUljE_ZNSN_ISO_Lb0ESQ_SR_ST_SU_SY_EESZ_S10_S11_S12_S16_S17_S18_S1B_S1C_jS1D_jS1E_S1E_jjS1G_bEUljE0_EEESZ_S10_S11_S18_S1C_S1E_T6_T7_T9_mT8_S1G_bDpT10_ENKUlT_T0_E_clISt17integral_constantIbLb0EES1T_IbLb1EEEEDaS1P_S1Q_EUlS1P_E_NS1_11comp_targetILNS1_3genE2ELNS1_11target_archE906ELNS1_3gpuE6ELNS1_3repE0EEENS1_30default_config_static_selectorELNS0_4arch9wavefront6targetE0EEEvS12_.kd
    .uniform_work_group_size: 1
    .uses_dynamic_stack: false
    .vgpr_count:     0
    .vgpr_spill_count: 0
    .wavefront_size: 32
    .workgroup_processor_mode: 1
  - .args:
      - .offset:         0
        .size:           184
        .value_kind:     by_value
    .group_segment_fixed_size: 0
    .kernarg_segment_align: 8
    .kernarg_segment_size: 184
    .language:       OpenCL C
    .language_version:
      - 2
      - 0
    .max_flat_workgroup_size: 256
    .name:           _ZN7rocprim17ROCPRIM_400000_NS6detail17trampoline_kernelINS0_13select_configILj256ELj13ELNS0_17block_load_methodE3ELS4_3ELS4_3ELNS0_20block_scan_algorithmE0ELj4294967295EEENS1_25partition_config_selectorILNS1_17partition_subalgoE4EjNS0_10empty_typeEbEEZZNS1_14partition_implILS8_4ELb0ES6_15HIP_vector_typeIjLj2EENS0_17counting_iteratorIjlEEPS9_SG_NS0_5tupleIJPjSI_NS0_16reverse_iteratorISI_EEEEENSH_IJSG_SG_SG_EEES9_SI_JZNS1_25segmented_radix_sort_implINS0_14default_configELb0EPKbPbPKlPlN2at6native12_GLOBAL__N_18offset_tEEE10hipError_tPvRmT1_PNSt15iterator_traitsIS12_E10value_typeET2_T3_PNS13_IS18_E10value_typeET4_jRbjT5_S1E_jjP12ihipStream_tbEUljE_ZNSN_ISO_Lb0ESQ_SR_ST_SU_SY_EESZ_S10_S11_S12_S16_S17_S18_S1B_S1C_jS1D_jS1E_S1E_jjS1G_bEUljE0_EEESZ_S10_S11_S18_S1C_S1E_T6_T7_T9_mT8_S1G_bDpT10_ENKUlT_T0_E_clISt17integral_constantIbLb0EES1T_IbLb1EEEEDaS1P_S1Q_EUlS1P_E_NS1_11comp_targetILNS1_3genE10ELNS1_11target_archE1200ELNS1_3gpuE4ELNS1_3repE0EEENS1_30default_config_static_selectorELNS0_4arch9wavefront6targetE0EEEvS12_
    .private_segment_fixed_size: 0
    .sgpr_count:     0
    .sgpr_spill_count: 0
    .symbol:         _ZN7rocprim17ROCPRIM_400000_NS6detail17trampoline_kernelINS0_13select_configILj256ELj13ELNS0_17block_load_methodE3ELS4_3ELS4_3ELNS0_20block_scan_algorithmE0ELj4294967295EEENS1_25partition_config_selectorILNS1_17partition_subalgoE4EjNS0_10empty_typeEbEEZZNS1_14partition_implILS8_4ELb0ES6_15HIP_vector_typeIjLj2EENS0_17counting_iteratorIjlEEPS9_SG_NS0_5tupleIJPjSI_NS0_16reverse_iteratorISI_EEEEENSH_IJSG_SG_SG_EEES9_SI_JZNS1_25segmented_radix_sort_implINS0_14default_configELb0EPKbPbPKlPlN2at6native12_GLOBAL__N_18offset_tEEE10hipError_tPvRmT1_PNSt15iterator_traitsIS12_E10value_typeET2_T3_PNS13_IS18_E10value_typeET4_jRbjT5_S1E_jjP12ihipStream_tbEUljE_ZNSN_ISO_Lb0ESQ_SR_ST_SU_SY_EESZ_S10_S11_S12_S16_S17_S18_S1B_S1C_jS1D_jS1E_S1E_jjS1G_bEUljE0_EEESZ_S10_S11_S18_S1C_S1E_T6_T7_T9_mT8_S1G_bDpT10_ENKUlT_T0_E_clISt17integral_constantIbLb0EES1T_IbLb1EEEEDaS1P_S1Q_EUlS1P_E_NS1_11comp_targetILNS1_3genE10ELNS1_11target_archE1200ELNS1_3gpuE4ELNS1_3repE0EEENS1_30default_config_static_selectorELNS0_4arch9wavefront6targetE0EEEvS12_.kd
    .uniform_work_group_size: 1
    .uses_dynamic_stack: false
    .vgpr_count:     0
    .vgpr_spill_count: 0
    .wavefront_size: 32
    .workgroup_processor_mode: 1
  - .args:
      - .offset:         0
        .size:           184
        .value_kind:     by_value
    .group_segment_fixed_size: 13340
    .kernarg_segment_align: 8
    .kernarg_segment_size: 184
    .language:       OpenCL C
    .language_version:
      - 2
      - 0
    .max_flat_workgroup_size: 256
    .name:           _ZN7rocprim17ROCPRIM_400000_NS6detail17trampoline_kernelINS0_13select_configILj256ELj13ELNS0_17block_load_methodE3ELS4_3ELS4_3ELNS0_20block_scan_algorithmE0ELj4294967295EEENS1_25partition_config_selectorILNS1_17partition_subalgoE4EjNS0_10empty_typeEbEEZZNS1_14partition_implILS8_4ELb0ES6_15HIP_vector_typeIjLj2EENS0_17counting_iteratorIjlEEPS9_SG_NS0_5tupleIJPjSI_NS0_16reverse_iteratorISI_EEEEENSH_IJSG_SG_SG_EEES9_SI_JZNS1_25segmented_radix_sort_implINS0_14default_configELb0EPKbPbPKlPlN2at6native12_GLOBAL__N_18offset_tEEE10hipError_tPvRmT1_PNSt15iterator_traitsIS12_E10value_typeET2_T3_PNS13_IS18_E10value_typeET4_jRbjT5_S1E_jjP12ihipStream_tbEUljE_ZNSN_ISO_Lb0ESQ_SR_ST_SU_SY_EESZ_S10_S11_S12_S16_S17_S18_S1B_S1C_jS1D_jS1E_S1E_jjS1G_bEUljE0_EEESZ_S10_S11_S18_S1C_S1E_T6_T7_T9_mT8_S1G_bDpT10_ENKUlT_T0_E_clISt17integral_constantIbLb0EES1T_IbLb1EEEEDaS1P_S1Q_EUlS1P_E_NS1_11comp_targetILNS1_3genE9ELNS1_11target_archE1100ELNS1_3gpuE3ELNS1_3repE0EEENS1_30default_config_static_selectorELNS0_4arch9wavefront6targetE0EEEvS12_
    .private_segment_fixed_size: 0
    .sgpr_count:     57
    .sgpr_spill_count: 0
    .symbol:         _ZN7rocprim17ROCPRIM_400000_NS6detail17trampoline_kernelINS0_13select_configILj256ELj13ELNS0_17block_load_methodE3ELS4_3ELS4_3ELNS0_20block_scan_algorithmE0ELj4294967295EEENS1_25partition_config_selectorILNS1_17partition_subalgoE4EjNS0_10empty_typeEbEEZZNS1_14partition_implILS8_4ELb0ES6_15HIP_vector_typeIjLj2EENS0_17counting_iteratorIjlEEPS9_SG_NS0_5tupleIJPjSI_NS0_16reverse_iteratorISI_EEEEENSH_IJSG_SG_SG_EEES9_SI_JZNS1_25segmented_radix_sort_implINS0_14default_configELb0EPKbPbPKlPlN2at6native12_GLOBAL__N_18offset_tEEE10hipError_tPvRmT1_PNSt15iterator_traitsIS12_E10value_typeET2_T3_PNS13_IS18_E10value_typeET4_jRbjT5_S1E_jjP12ihipStream_tbEUljE_ZNSN_ISO_Lb0ESQ_SR_ST_SU_SY_EESZ_S10_S11_S12_S16_S17_S18_S1B_S1C_jS1D_jS1E_S1E_jjS1G_bEUljE0_EEESZ_S10_S11_S18_S1C_S1E_T6_T7_T9_mT8_S1G_bDpT10_ENKUlT_T0_E_clISt17integral_constantIbLb0EES1T_IbLb1EEEEDaS1P_S1Q_EUlS1P_E_NS1_11comp_targetILNS1_3genE9ELNS1_11target_archE1100ELNS1_3gpuE3ELNS1_3repE0EEENS1_30default_config_static_selectorELNS0_4arch9wavefront6targetE0EEEvS12_.kd
    .uniform_work_group_size: 1
    .uses_dynamic_stack: false
    .vgpr_count:     103
    .vgpr_spill_count: 0
    .wavefront_size: 32
    .workgroup_processor_mode: 1
  - .args:
      - .offset:         0
        .size:           184
        .value_kind:     by_value
    .group_segment_fixed_size: 0
    .kernarg_segment_align: 8
    .kernarg_segment_size: 184
    .language:       OpenCL C
    .language_version:
      - 2
      - 0
    .max_flat_workgroup_size: 256
    .name:           _ZN7rocprim17ROCPRIM_400000_NS6detail17trampoline_kernelINS0_13select_configILj256ELj13ELNS0_17block_load_methodE3ELS4_3ELS4_3ELNS0_20block_scan_algorithmE0ELj4294967295EEENS1_25partition_config_selectorILNS1_17partition_subalgoE4EjNS0_10empty_typeEbEEZZNS1_14partition_implILS8_4ELb0ES6_15HIP_vector_typeIjLj2EENS0_17counting_iteratorIjlEEPS9_SG_NS0_5tupleIJPjSI_NS0_16reverse_iteratorISI_EEEEENSH_IJSG_SG_SG_EEES9_SI_JZNS1_25segmented_radix_sort_implINS0_14default_configELb0EPKbPbPKlPlN2at6native12_GLOBAL__N_18offset_tEEE10hipError_tPvRmT1_PNSt15iterator_traitsIS12_E10value_typeET2_T3_PNS13_IS18_E10value_typeET4_jRbjT5_S1E_jjP12ihipStream_tbEUljE_ZNSN_ISO_Lb0ESQ_SR_ST_SU_SY_EESZ_S10_S11_S12_S16_S17_S18_S1B_S1C_jS1D_jS1E_S1E_jjS1G_bEUljE0_EEESZ_S10_S11_S18_S1C_S1E_T6_T7_T9_mT8_S1G_bDpT10_ENKUlT_T0_E_clISt17integral_constantIbLb0EES1T_IbLb1EEEEDaS1P_S1Q_EUlS1P_E_NS1_11comp_targetILNS1_3genE8ELNS1_11target_archE1030ELNS1_3gpuE2ELNS1_3repE0EEENS1_30default_config_static_selectorELNS0_4arch9wavefront6targetE0EEEvS12_
    .private_segment_fixed_size: 0
    .sgpr_count:     0
    .sgpr_spill_count: 0
    .symbol:         _ZN7rocprim17ROCPRIM_400000_NS6detail17trampoline_kernelINS0_13select_configILj256ELj13ELNS0_17block_load_methodE3ELS4_3ELS4_3ELNS0_20block_scan_algorithmE0ELj4294967295EEENS1_25partition_config_selectorILNS1_17partition_subalgoE4EjNS0_10empty_typeEbEEZZNS1_14partition_implILS8_4ELb0ES6_15HIP_vector_typeIjLj2EENS0_17counting_iteratorIjlEEPS9_SG_NS0_5tupleIJPjSI_NS0_16reverse_iteratorISI_EEEEENSH_IJSG_SG_SG_EEES9_SI_JZNS1_25segmented_radix_sort_implINS0_14default_configELb0EPKbPbPKlPlN2at6native12_GLOBAL__N_18offset_tEEE10hipError_tPvRmT1_PNSt15iterator_traitsIS12_E10value_typeET2_T3_PNS13_IS18_E10value_typeET4_jRbjT5_S1E_jjP12ihipStream_tbEUljE_ZNSN_ISO_Lb0ESQ_SR_ST_SU_SY_EESZ_S10_S11_S12_S16_S17_S18_S1B_S1C_jS1D_jS1E_S1E_jjS1G_bEUljE0_EEESZ_S10_S11_S18_S1C_S1E_T6_T7_T9_mT8_S1G_bDpT10_ENKUlT_T0_E_clISt17integral_constantIbLb0EES1T_IbLb1EEEEDaS1P_S1Q_EUlS1P_E_NS1_11comp_targetILNS1_3genE8ELNS1_11target_archE1030ELNS1_3gpuE2ELNS1_3repE0EEENS1_30default_config_static_selectorELNS0_4arch9wavefront6targetE0EEEvS12_.kd
    .uniform_work_group_size: 1
    .uses_dynamic_stack: false
    .vgpr_count:     0
    .vgpr_spill_count: 0
    .wavefront_size: 32
    .workgroup_processor_mode: 1
  - .args:
      - .offset:         0
        .size:           144
        .value_kind:     by_value
    .group_segment_fixed_size: 0
    .kernarg_segment_align: 8
    .kernarg_segment_size: 144
    .language:       OpenCL C
    .language_version:
      - 2
      - 0
    .max_flat_workgroup_size: 256
    .name:           _ZN7rocprim17ROCPRIM_400000_NS6detail17trampoline_kernelINS0_13select_configILj256ELj13ELNS0_17block_load_methodE3ELS4_3ELS4_3ELNS0_20block_scan_algorithmE0ELj4294967295EEENS1_25partition_config_selectorILNS1_17partition_subalgoE3EjNS0_10empty_typeEbEEZZNS1_14partition_implILS8_3ELb0ES6_jNS0_17counting_iteratorIjlEEPS9_SE_NS0_5tupleIJPjSE_EEENSF_IJSE_SE_EEES9_SG_JZNS1_25segmented_radix_sort_implINS0_14default_configELb0EPKbPbPKlPlN2at6native12_GLOBAL__N_18offset_tEEE10hipError_tPvRmT1_PNSt15iterator_traitsISY_E10value_typeET2_T3_PNSZ_IS14_E10value_typeET4_jRbjT5_S1A_jjP12ihipStream_tbEUljE_EEESV_SW_SX_S14_S18_S1A_T6_T7_T9_mT8_S1C_bDpT10_ENKUlT_T0_E_clISt17integral_constantIbLb0EES1P_EEDaS1K_S1L_EUlS1K_E_NS1_11comp_targetILNS1_3genE0ELNS1_11target_archE4294967295ELNS1_3gpuE0ELNS1_3repE0EEENS1_30default_config_static_selectorELNS0_4arch9wavefront6targetE0EEEvSY_
    .private_segment_fixed_size: 0
    .sgpr_count:     0
    .sgpr_spill_count: 0
    .symbol:         _ZN7rocprim17ROCPRIM_400000_NS6detail17trampoline_kernelINS0_13select_configILj256ELj13ELNS0_17block_load_methodE3ELS4_3ELS4_3ELNS0_20block_scan_algorithmE0ELj4294967295EEENS1_25partition_config_selectorILNS1_17partition_subalgoE3EjNS0_10empty_typeEbEEZZNS1_14partition_implILS8_3ELb0ES6_jNS0_17counting_iteratorIjlEEPS9_SE_NS0_5tupleIJPjSE_EEENSF_IJSE_SE_EEES9_SG_JZNS1_25segmented_radix_sort_implINS0_14default_configELb0EPKbPbPKlPlN2at6native12_GLOBAL__N_18offset_tEEE10hipError_tPvRmT1_PNSt15iterator_traitsISY_E10value_typeET2_T3_PNSZ_IS14_E10value_typeET4_jRbjT5_S1A_jjP12ihipStream_tbEUljE_EEESV_SW_SX_S14_S18_S1A_T6_T7_T9_mT8_S1C_bDpT10_ENKUlT_T0_E_clISt17integral_constantIbLb0EES1P_EEDaS1K_S1L_EUlS1K_E_NS1_11comp_targetILNS1_3genE0ELNS1_11target_archE4294967295ELNS1_3gpuE0ELNS1_3repE0EEENS1_30default_config_static_selectorELNS0_4arch9wavefront6targetE0EEEvSY_.kd
    .uniform_work_group_size: 1
    .uses_dynamic_stack: false
    .vgpr_count:     0
    .vgpr_spill_count: 0
    .wavefront_size: 32
    .workgroup_processor_mode: 1
  - .args:
      - .offset:         0
        .size:           144
        .value_kind:     by_value
    .group_segment_fixed_size: 0
    .kernarg_segment_align: 8
    .kernarg_segment_size: 144
    .language:       OpenCL C
    .language_version:
      - 2
      - 0
    .max_flat_workgroup_size: 256
    .name:           _ZN7rocprim17ROCPRIM_400000_NS6detail17trampoline_kernelINS0_13select_configILj256ELj13ELNS0_17block_load_methodE3ELS4_3ELS4_3ELNS0_20block_scan_algorithmE0ELj4294967295EEENS1_25partition_config_selectorILNS1_17partition_subalgoE3EjNS0_10empty_typeEbEEZZNS1_14partition_implILS8_3ELb0ES6_jNS0_17counting_iteratorIjlEEPS9_SE_NS0_5tupleIJPjSE_EEENSF_IJSE_SE_EEES9_SG_JZNS1_25segmented_radix_sort_implINS0_14default_configELb0EPKbPbPKlPlN2at6native12_GLOBAL__N_18offset_tEEE10hipError_tPvRmT1_PNSt15iterator_traitsISY_E10value_typeET2_T3_PNSZ_IS14_E10value_typeET4_jRbjT5_S1A_jjP12ihipStream_tbEUljE_EEESV_SW_SX_S14_S18_S1A_T6_T7_T9_mT8_S1C_bDpT10_ENKUlT_T0_E_clISt17integral_constantIbLb0EES1P_EEDaS1K_S1L_EUlS1K_E_NS1_11comp_targetILNS1_3genE5ELNS1_11target_archE942ELNS1_3gpuE9ELNS1_3repE0EEENS1_30default_config_static_selectorELNS0_4arch9wavefront6targetE0EEEvSY_
    .private_segment_fixed_size: 0
    .sgpr_count:     0
    .sgpr_spill_count: 0
    .symbol:         _ZN7rocprim17ROCPRIM_400000_NS6detail17trampoline_kernelINS0_13select_configILj256ELj13ELNS0_17block_load_methodE3ELS4_3ELS4_3ELNS0_20block_scan_algorithmE0ELj4294967295EEENS1_25partition_config_selectorILNS1_17partition_subalgoE3EjNS0_10empty_typeEbEEZZNS1_14partition_implILS8_3ELb0ES6_jNS0_17counting_iteratorIjlEEPS9_SE_NS0_5tupleIJPjSE_EEENSF_IJSE_SE_EEES9_SG_JZNS1_25segmented_radix_sort_implINS0_14default_configELb0EPKbPbPKlPlN2at6native12_GLOBAL__N_18offset_tEEE10hipError_tPvRmT1_PNSt15iterator_traitsISY_E10value_typeET2_T3_PNSZ_IS14_E10value_typeET4_jRbjT5_S1A_jjP12ihipStream_tbEUljE_EEESV_SW_SX_S14_S18_S1A_T6_T7_T9_mT8_S1C_bDpT10_ENKUlT_T0_E_clISt17integral_constantIbLb0EES1P_EEDaS1K_S1L_EUlS1K_E_NS1_11comp_targetILNS1_3genE5ELNS1_11target_archE942ELNS1_3gpuE9ELNS1_3repE0EEENS1_30default_config_static_selectorELNS0_4arch9wavefront6targetE0EEEvSY_.kd
    .uniform_work_group_size: 1
    .uses_dynamic_stack: false
    .vgpr_count:     0
    .vgpr_spill_count: 0
    .wavefront_size: 32
    .workgroup_processor_mode: 1
  - .args:
      - .offset:         0
        .size:           144
        .value_kind:     by_value
    .group_segment_fixed_size: 0
    .kernarg_segment_align: 8
    .kernarg_segment_size: 144
    .language:       OpenCL C
    .language_version:
      - 2
      - 0
    .max_flat_workgroup_size: 256
    .name:           _ZN7rocprim17ROCPRIM_400000_NS6detail17trampoline_kernelINS0_13select_configILj256ELj13ELNS0_17block_load_methodE3ELS4_3ELS4_3ELNS0_20block_scan_algorithmE0ELj4294967295EEENS1_25partition_config_selectorILNS1_17partition_subalgoE3EjNS0_10empty_typeEbEEZZNS1_14partition_implILS8_3ELb0ES6_jNS0_17counting_iteratorIjlEEPS9_SE_NS0_5tupleIJPjSE_EEENSF_IJSE_SE_EEES9_SG_JZNS1_25segmented_radix_sort_implINS0_14default_configELb0EPKbPbPKlPlN2at6native12_GLOBAL__N_18offset_tEEE10hipError_tPvRmT1_PNSt15iterator_traitsISY_E10value_typeET2_T3_PNSZ_IS14_E10value_typeET4_jRbjT5_S1A_jjP12ihipStream_tbEUljE_EEESV_SW_SX_S14_S18_S1A_T6_T7_T9_mT8_S1C_bDpT10_ENKUlT_T0_E_clISt17integral_constantIbLb0EES1P_EEDaS1K_S1L_EUlS1K_E_NS1_11comp_targetILNS1_3genE4ELNS1_11target_archE910ELNS1_3gpuE8ELNS1_3repE0EEENS1_30default_config_static_selectorELNS0_4arch9wavefront6targetE0EEEvSY_
    .private_segment_fixed_size: 0
    .sgpr_count:     0
    .sgpr_spill_count: 0
    .symbol:         _ZN7rocprim17ROCPRIM_400000_NS6detail17trampoline_kernelINS0_13select_configILj256ELj13ELNS0_17block_load_methodE3ELS4_3ELS4_3ELNS0_20block_scan_algorithmE0ELj4294967295EEENS1_25partition_config_selectorILNS1_17partition_subalgoE3EjNS0_10empty_typeEbEEZZNS1_14partition_implILS8_3ELb0ES6_jNS0_17counting_iteratorIjlEEPS9_SE_NS0_5tupleIJPjSE_EEENSF_IJSE_SE_EEES9_SG_JZNS1_25segmented_radix_sort_implINS0_14default_configELb0EPKbPbPKlPlN2at6native12_GLOBAL__N_18offset_tEEE10hipError_tPvRmT1_PNSt15iterator_traitsISY_E10value_typeET2_T3_PNSZ_IS14_E10value_typeET4_jRbjT5_S1A_jjP12ihipStream_tbEUljE_EEESV_SW_SX_S14_S18_S1A_T6_T7_T9_mT8_S1C_bDpT10_ENKUlT_T0_E_clISt17integral_constantIbLb0EES1P_EEDaS1K_S1L_EUlS1K_E_NS1_11comp_targetILNS1_3genE4ELNS1_11target_archE910ELNS1_3gpuE8ELNS1_3repE0EEENS1_30default_config_static_selectorELNS0_4arch9wavefront6targetE0EEEvSY_.kd
    .uniform_work_group_size: 1
    .uses_dynamic_stack: false
    .vgpr_count:     0
    .vgpr_spill_count: 0
    .wavefront_size: 32
    .workgroup_processor_mode: 1
  - .args:
      - .offset:         0
        .size:           144
        .value_kind:     by_value
    .group_segment_fixed_size: 0
    .kernarg_segment_align: 8
    .kernarg_segment_size: 144
    .language:       OpenCL C
    .language_version:
      - 2
      - 0
    .max_flat_workgroup_size: 256
    .name:           _ZN7rocprim17ROCPRIM_400000_NS6detail17trampoline_kernelINS0_13select_configILj256ELj13ELNS0_17block_load_methodE3ELS4_3ELS4_3ELNS0_20block_scan_algorithmE0ELj4294967295EEENS1_25partition_config_selectorILNS1_17partition_subalgoE3EjNS0_10empty_typeEbEEZZNS1_14partition_implILS8_3ELb0ES6_jNS0_17counting_iteratorIjlEEPS9_SE_NS0_5tupleIJPjSE_EEENSF_IJSE_SE_EEES9_SG_JZNS1_25segmented_radix_sort_implINS0_14default_configELb0EPKbPbPKlPlN2at6native12_GLOBAL__N_18offset_tEEE10hipError_tPvRmT1_PNSt15iterator_traitsISY_E10value_typeET2_T3_PNSZ_IS14_E10value_typeET4_jRbjT5_S1A_jjP12ihipStream_tbEUljE_EEESV_SW_SX_S14_S18_S1A_T6_T7_T9_mT8_S1C_bDpT10_ENKUlT_T0_E_clISt17integral_constantIbLb0EES1P_EEDaS1K_S1L_EUlS1K_E_NS1_11comp_targetILNS1_3genE3ELNS1_11target_archE908ELNS1_3gpuE7ELNS1_3repE0EEENS1_30default_config_static_selectorELNS0_4arch9wavefront6targetE0EEEvSY_
    .private_segment_fixed_size: 0
    .sgpr_count:     0
    .sgpr_spill_count: 0
    .symbol:         _ZN7rocprim17ROCPRIM_400000_NS6detail17trampoline_kernelINS0_13select_configILj256ELj13ELNS0_17block_load_methodE3ELS4_3ELS4_3ELNS0_20block_scan_algorithmE0ELj4294967295EEENS1_25partition_config_selectorILNS1_17partition_subalgoE3EjNS0_10empty_typeEbEEZZNS1_14partition_implILS8_3ELb0ES6_jNS0_17counting_iteratorIjlEEPS9_SE_NS0_5tupleIJPjSE_EEENSF_IJSE_SE_EEES9_SG_JZNS1_25segmented_radix_sort_implINS0_14default_configELb0EPKbPbPKlPlN2at6native12_GLOBAL__N_18offset_tEEE10hipError_tPvRmT1_PNSt15iterator_traitsISY_E10value_typeET2_T3_PNSZ_IS14_E10value_typeET4_jRbjT5_S1A_jjP12ihipStream_tbEUljE_EEESV_SW_SX_S14_S18_S1A_T6_T7_T9_mT8_S1C_bDpT10_ENKUlT_T0_E_clISt17integral_constantIbLb0EES1P_EEDaS1K_S1L_EUlS1K_E_NS1_11comp_targetILNS1_3genE3ELNS1_11target_archE908ELNS1_3gpuE7ELNS1_3repE0EEENS1_30default_config_static_selectorELNS0_4arch9wavefront6targetE0EEEvSY_.kd
    .uniform_work_group_size: 1
    .uses_dynamic_stack: false
    .vgpr_count:     0
    .vgpr_spill_count: 0
    .wavefront_size: 32
    .workgroup_processor_mode: 1
  - .args:
      - .offset:         0
        .size:           144
        .value_kind:     by_value
    .group_segment_fixed_size: 0
    .kernarg_segment_align: 8
    .kernarg_segment_size: 144
    .language:       OpenCL C
    .language_version:
      - 2
      - 0
    .max_flat_workgroup_size: 256
    .name:           _ZN7rocprim17ROCPRIM_400000_NS6detail17trampoline_kernelINS0_13select_configILj256ELj13ELNS0_17block_load_methodE3ELS4_3ELS4_3ELNS0_20block_scan_algorithmE0ELj4294967295EEENS1_25partition_config_selectorILNS1_17partition_subalgoE3EjNS0_10empty_typeEbEEZZNS1_14partition_implILS8_3ELb0ES6_jNS0_17counting_iteratorIjlEEPS9_SE_NS0_5tupleIJPjSE_EEENSF_IJSE_SE_EEES9_SG_JZNS1_25segmented_radix_sort_implINS0_14default_configELb0EPKbPbPKlPlN2at6native12_GLOBAL__N_18offset_tEEE10hipError_tPvRmT1_PNSt15iterator_traitsISY_E10value_typeET2_T3_PNSZ_IS14_E10value_typeET4_jRbjT5_S1A_jjP12ihipStream_tbEUljE_EEESV_SW_SX_S14_S18_S1A_T6_T7_T9_mT8_S1C_bDpT10_ENKUlT_T0_E_clISt17integral_constantIbLb0EES1P_EEDaS1K_S1L_EUlS1K_E_NS1_11comp_targetILNS1_3genE2ELNS1_11target_archE906ELNS1_3gpuE6ELNS1_3repE0EEENS1_30default_config_static_selectorELNS0_4arch9wavefront6targetE0EEEvSY_
    .private_segment_fixed_size: 0
    .sgpr_count:     0
    .sgpr_spill_count: 0
    .symbol:         _ZN7rocprim17ROCPRIM_400000_NS6detail17trampoline_kernelINS0_13select_configILj256ELj13ELNS0_17block_load_methodE3ELS4_3ELS4_3ELNS0_20block_scan_algorithmE0ELj4294967295EEENS1_25partition_config_selectorILNS1_17partition_subalgoE3EjNS0_10empty_typeEbEEZZNS1_14partition_implILS8_3ELb0ES6_jNS0_17counting_iteratorIjlEEPS9_SE_NS0_5tupleIJPjSE_EEENSF_IJSE_SE_EEES9_SG_JZNS1_25segmented_radix_sort_implINS0_14default_configELb0EPKbPbPKlPlN2at6native12_GLOBAL__N_18offset_tEEE10hipError_tPvRmT1_PNSt15iterator_traitsISY_E10value_typeET2_T3_PNSZ_IS14_E10value_typeET4_jRbjT5_S1A_jjP12ihipStream_tbEUljE_EEESV_SW_SX_S14_S18_S1A_T6_T7_T9_mT8_S1C_bDpT10_ENKUlT_T0_E_clISt17integral_constantIbLb0EES1P_EEDaS1K_S1L_EUlS1K_E_NS1_11comp_targetILNS1_3genE2ELNS1_11target_archE906ELNS1_3gpuE6ELNS1_3repE0EEENS1_30default_config_static_selectorELNS0_4arch9wavefront6targetE0EEEvSY_.kd
    .uniform_work_group_size: 1
    .uses_dynamic_stack: false
    .vgpr_count:     0
    .vgpr_spill_count: 0
    .wavefront_size: 32
    .workgroup_processor_mode: 1
  - .args:
      - .offset:         0
        .size:           144
        .value_kind:     by_value
    .group_segment_fixed_size: 0
    .kernarg_segment_align: 8
    .kernarg_segment_size: 144
    .language:       OpenCL C
    .language_version:
      - 2
      - 0
    .max_flat_workgroup_size: 256
    .name:           _ZN7rocprim17ROCPRIM_400000_NS6detail17trampoline_kernelINS0_13select_configILj256ELj13ELNS0_17block_load_methodE3ELS4_3ELS4_3ELNS0_20block_scan_algorithmE0ELj4294967295EEENS1_25partition_config_selectorILNS1_17partition_subalgoE3EjNS0_10empty_typeEbEEZZNS1_14partition_implILS8_3ELb0ES6_jNS0_17counting_iteratorIjlEEPS9_SE_NS0_5tupleIJPjSE_EEENSF_IJSE_SE_EEES9_SG_JZNS1_25segmented_radix_sort_implINS0_14default_configELb0EPKbPbPKlPlN2at6native12_GLOBAL__N_18offset_tEEE10hipError_tPvRmT1_PNSt15iterator_traitsISY_E10value_typeET2_T3_PNSZ_IS14_E10value_typeET4_jRbjT5_S1A_jjP12ihipStream_tbEUljE_EEESV_SW_SX_S14_S18_S1A_T6_T7_T9_mT8_S1C_bDpT10_ENKUlT_T0_E_clISt17integral_constantIbLb0EES1P_EEDaS1K_S1L_EUlS1K_E_NS1_11comp_targetILNS1_3genE10ELNS1_11target_archE1200ELNS1_3gpuE4ELNS1_3repE0EEENS1_30default_config_static_selectorELNS0_4arch9wavefront6targetE0EEEvSY_
    .private_segment_fixed_size: 0
    .sgpr_count:     0
    .sgpr_spill_count: 0
    .symbol:         _ZN7rocprim17ROCPRIM_400000_NS6detail17trampoline_kernelINS0_13select_configILj256ELj13ELNS0_17block_load_methodE3ELS4_3ELS4_3ELNS0_20block_scan_algorithmE0ELj4294967295EEENS1_25partition_config_selectorILNS1_17partition_subalgoE3EjNS0_10empty_typeEbEEZZNS1_14partition_implILS8_3ELb0ES6_jNS0_17counting_iteratorIjlEEPS9_SE_NS0_5tupleIJPjSE_EEENSF_IJSE_SE_EEES9_SG_JZNS1_25segmented_radix_sort_implINS0_14default_configELb0EPKbPbPKlPlN2at6native12_GLOBAL__N_18offset_tEEE10hipError_tPvRmT1_PNSt15iterator_traitsISY_E10value_typeET2_T3_PNSZ_IS14_E10value_typeET4_jRbjT5_S1A_jjP12ihipStream_tbEUljE_EEESV_SW_SX_S14_S18_S1A_T6_T7_T9_mT8_S1C_bDpT10_ENKUlT_T0_E_clISt17integral_constantIbLb0EES1P_EEDaS1K_S1L_EUlS1K_E_NS1_11comp_targetILNS1_3genE10ELNS1_11target_archE1200ELNS1_3gpuE4ELNS1_3repE0EEENS1_30default_config_static_selectorELNS0_4arch9wavefront6targetE0EEEvSY_.kd
    .uniform_work_group_size: 1
    .uses_dynamic_stack: false
    .vgpr_count:     0
    .vgpr_spill_count: 0
    .wavefront_size: 32
    .workgroup_processor_mode: 1
  - .args:
      - .offset:         0
        .size:           144
        .value_kind:     by_value
    .group_segment_fixed_size: 13324
    .kernarg_segment_align: 8
    .kernarg_segment_size: 144
    .language:       OpenCL C
    .language_version:
      - 2
      - 0
    .max_flat_workgroup_size: 256
    .name:           _ZN7rocprim17ROCPRIM_400000_NS6detail17trampoline_kernelINS0_13select_configILj256ELj13ELNS0_17block_load_methodE3ELS4_3ELS4_3ELNS0_20block_scan_algorithmE0ELj4294967295EEENS1_25partition_config_selectorILNS1_17partition_subalgoE3EjNS0_10empty_typeEbEEZZNS1_14partition_implILS8_3ELb0ES6_jNS0_17counting_iteratorIjlEEPS9_SE_NS0_5tupleIJPjSE_EEENSF_IJSE_SE_EEES9_SG_JZNS1_25segmented_radix_sort_implINS0_14default_configELb0EPKbPbPKlPlN2at6native12_GLOBAL__N_18offset_tEEE10hipError_tPvRmT1_PNSt15iterator_traitsISY_E10value_typeET2_T3_PNSZ_IS14_E10value_typeET4_jRbjT5_S1A_jjP12ihipStream_tbEUljE_EEESV_SW_SX_S14_S18_S1A_T6_T7_T9_mT8_S1C_bDpT10_ENKUlT_T0_E_clISt17integral_constantIbLb0EES1P_EEDaS1K_S1L_EUlS1K_E_NS1_11comp_targetILNS1_3genE9ELNS1_11target_archE1100ELNS1_3gpuE3ELNS1_3repE0EEENS1_30default_config_static_selectorELNS0_4arch9wavefront6targetE0EEEvSY_
    .private_segment_fixed_size: 0
    .sgpr_count:     30
    .sgpr_spill_count: 0
    .symbol:         _ZN7rocprim17ROCPRIM_400000_NS6detail17trampoline_kernelINS0_13select_configILj256ELj13ELNS0_17block_load_methodE3ELS4_3ELS4_3ELNS0_20block_scan_algorithmE0ELj4294967295EEENS1_25partition_config_selectorILNS1_17partition_subalgoE3EjNS0_10empty_typeEbEEZZNS1_14partition_implILS8_3ELb0ES6_jNS0_17counting_iteratorIjlEEPS9_SE_NS0_5tupleIJPjSE_EEENSF_IJSE_SE_EEES9_SG_JZNS1_25segmented_radix_sort_implINS0_14default_configELb0EPKbPbPKlPlN2at6native12_GLOBAL__N_18offset_tEEE10hipError_tPvRmT1_PNSt15iterator_traitsISY_E10value_typeET2_T3_PNSZ_IS14_E10value_typeET4_jRbjT5_S1A_jjP12ihipStream_tbEUljE_EEESV_SW_SX_S14_S18_S1A_T6_T7_T9_mT8_S1C_bDpT10_ENKUlT_T0_E_clISt17integral_constantIbLb0EES1P_EEDaS1K_S1L_EUlS1K_E_NS1_11comp_targetILNS1_3genE9ELNS1_11target_archE1100ELNS1_3gpuE3ELNS1_3repE0EEENS1_30default_config_static_selectorELNS0_4arch9wavefront6targetE0EEEvSY_.kd
    .uniform_work_group_size: 1
    .uses_dynamic_stack: false
    .vgpr_count:     57
    .vgpr_spill_count: 0
    .wavefront_size: 32
    .workgroup_processor_mode: 1
  - .args:
      - .offset:         0
        .size:           144
        .value_kind:     by_value
    .group_segment_fixed_size: 0
    .kernarg_segment_align: 8
    .kernarg_segment_size: 144
    .language:       OpenCL C
    .language_version:
      - 2
      - 0
    .max_flat_workgroup_size: 256
    .name:           _ZN7rocprim17ROCPRIM_400000_NS6detail17trampoline_kernelINS0_13select_configILj256ELj13ELNS0_17block_load_methodE3ELS4_3ELS4_3ELNS0_20block_scan_algorithmE0ELj4294967295EEENS1_25partition_config_selectorILNS1_17partition_subalgoE3EjNS0_10empty_typeEbEEZZNS1_14partition_implILS8_3ELb0ES6_jNS0_17counting_iteratorIjlEEPS9_SE_NS0_5tupleIJPjSE_EEENSF_IJSE_SE_EEES9_SG_JZNS1_25segmented_radix_sort_implINS0_14default_configELb0EPKbPbPKlPlN2at6native12_GLOBAL__N_18offset_tEEE10hipError_tPvRmT1_PNSt15iterator_traitsISY_E10value_typeET2_T3_PNSZ_IS14_E10value_typeET4_jRbjT5_S1A_jjP12ihipStream_tbEUljE_EEESV_SW_SX_S14_S18_S1A_T6_T7_T9_mT8_S1C_bDpT10_ENKUlT_T0_E_clISt17integral_constantIbLb0EES1P_EEDaS1K_S1L_EUlS1K_E_NS1_11comp_targetILNS1_3genE8ELNS1_11target_archE1030ELNS1_3gpuE2ELNS1_3repE0EEENS1_30default_config_static_selectorELNS0_4arch9wavefront6targetE0EEEvSY_
    .private_segment_fixed_size: 0
    .sgpr_count:     0
    .sgpr_spill_count: 0
    .symbol:         _ZN7rocprim17ROCPRIM_400000_NS6detail17trampoline_kernelINS0_13select_configILj256ELj13ELNS0_17block_load_methodE3ELS4_3ELS4_3ELNS0_20block_scan_algorithmE0ELj4294967295EEENS1_25partition_config_selectorILNS1_17partition_subalgoE3EjNS0_10empty_typeEbEEZZNS1_14partition_implILS8_3ELb0ES6_jNS0_17counting_iteratorIjlEEPS9_SE_NS0_5tupleIJPjSE_EEENSF_IJSE_SE_EEES9_SG_JZNS1_25segmented_radix_sort_implINS0_14default_configELb0EPKbPbPKlPlN2at6native12_GLOBAL__N_18offset_tEEE10hipError_tPvRmT1_PNSt15iterator_traitsISY_E10value_typeET2_T3_PNSZ_IS14_E10value_typeET4_jRbjT5_S1A_jjP12ihipStream_tbEUljE_EEESV_SW_SX_S14_S18_S1A_T6_T7_T9_mT8_S1C_bDpT10_ENKUlT_T0_E_clISt17integral_constantIbLb0EES1P_EEDaS1K_S1L_EUlS1K_E_NS1_11comp_targetILNS1_3genE8ELNS1_11target_archE1030ELNS1_3gpuE2ELNS1_3repE0EEENS1_30default_config_static_selectorELNS0_4arch9wavefront6targetE0EEEvSY_.kd
    .uniform_work_group_size: 1
    .uses_dynamic_stack: false
    .vgpr_count:     0
    .vgpr_spill_count: 0
    .wavefront_size: 32
    .workgroup_processor_mode: 1
  - .args:
      - .offset:         0
        .size:           152
        .value_kind:     by_value
    .group_segment_fixed_size: 0
    .kernarg_segment_align: 8
    .kernarg_segment_size: 152
    .language:       OpenCL C
    .language_version:
      - 2
      - 0
    .max_flat_workgroup_size: 256
    .name:           _ZN7rocprim17ROCPRIM_400000_NS6detail17trampoline_kernelINS0_13select_configILj256ELj13ELNS0_17block_load_methodE3ELS4_3ELS4_3ELNS0_20block_scan_algorithmE0ELj4294967295EEENS1_25partition_config_selectorILNS1_17partition_subalgoE3EjNS0_10empty_typeEbEEZZNS1_14partition_implILS8_3ELb0ES6_jNS0_17counting_iteratorIjlEEPS9_SE_NS0_5tupleIJPjSE_EEENSF_IJSE_SE_EEES9_SG_JZNS1_25segmented_radix_sort_implINS0_14default_configELb0EPKbPbPKlPlN2at6native12_GLOBAL__N_18offset_tEEE10hipError_tPvRmT1_PNSt15iterator_traitsISY_E10value_typeET2_T3_PNSZ_IS14_E10value_typeET4_jRbjT5_S1A_jjP12ihipStream_tbEUljE_EEESV_SW_SX_S14_S18_S1A_T6_T7_T9_mT8_S1C_bDpT10_ENKUlT_T0_E_clISt17integral_constantIbLb1EES1P_EEDaS1K_S1L_EUlS1K_E_NS1_11comp_targetILNS1_3genE0ELNS1_11target_archE4294967295ELNS1_3gpuE0ELNS1_3repE0EEENS1_30default_config_static_selectorELNS0_4arch9wavefront6targetE0EEEvSY_
    .private_segment_fixed_size: 0
    .sgpr_count:     0
    .sgpr_spill_count: 0
    .symbol:         _ZN7rocprim17ROCPRIM_400000_NS6detail17trampoline_kernelINS0_13select_configILj256ELj13ELNS0_17block_load_methodE3ELS4_3ELS4_3ELNS0_20block_scan_algorithmE0ELj4294967295EEENS1_25partition_config_selectorILNS1_17partition_subalgoE3EjNS0_10empty_typeEbEEZZNS1_14partition_implILS8_3ELb0ES6_jNS0_17counting_iteratorIjlEEPS9_SE_NS0_5tupleIJPjSE_EEENSF_IJSE_SE_EEES9_SG_JZNS1_25segmented_radix_sort_implINS0_14default_configELb0EPKbPbPKlPlN2at6native12_GLOBAL__N_18offset_tEEE10hipError_tPvRmT1_PNSt15iterator_traitsISY_E10value_typeET2_T3_PNSZ_IS14_E10value_typeET4_jRbjT5_S1A_jjP12ihipStream_tbEUljE_EEESV_SW_SX_S14_S18_S1A_T6_T7_T9_mT8_S1C_bDpT10_ENKUlT_T0_E_clISt17integral_constantIbLb1EES1P_EEDaS1K_S1L_EUlS1K_E_NS1_11comp_targetILNS1_3genE0ELNS1_11target_archE4294967295ELNS1_3gpuE0ELNS1_3repE0EEENS1_30default_config_static_selectorELNS0_4arch9wavefront6targetE0EEEvSY_.kd
    .uniform_work_group_size: 1
    .uses_dynamic_stack: false
    .vgpr_count:     0
    .vgpr_spill_count: 0
    .wavefront_size: 32
    .workgroup_processor_mode: 1
  - .args:
      - .offset:         0
        .size:           152
        .value_kind:     by_value
    .group_segment_fixed_size: 0
    .kernarg_segment_align: 8
    .kernarg_segment_size: 152
    .language:       OpenCL C
    .language_version:
      - 2
      - 0
    .max_flat_workgroup_size: 256
    .name:           _ZN7rocprim17ROCPRIM_400000_NS6detail17trampoline_kernelINS0_13select_configILj256ELj13ELNS0_17block_load_methodE3ELS4_3ELS4_3ELNS0_20block_scan_algorithmE0ELj4294967295EEENS1_25partition_config_selectorILNS1_17partition_subalgoE3EjNS0_10empty_typeEbEEZZNS1_14partition_implILS8_3ELb0ES6_jNS0_17counting_iteratorIjlEEPS9_SE_NS0_5tupleIJPjSE_EEENSF_IJSE_SE_EEES9_SG_JZNS1_25segmented_radix_sort_implINS0_14default_configELb0EPKbPbPKlPlN2at6native12_GLOBAL__N_18offset_tEEE10hipError_tPvRmT1_PNSt15iterator_traitsISY_E10value_typeET2_T3_PNSZ_IS14_E10value_typeET4_jRbjT5_S1A_jjP12ihipStream_tbEUljE_EEESV_SW_SX_S14_S18_S1A_T6_T7_T9_mT8_S1C_bDpT10_ENKUlT_T0_E_clISt17integral_constantIbLb1EES1P_EEDaS1K_S1L_EUlS1K_E_NS1_11comp_targetILNS1_3genE5ELNS1_11target_archE942ELNS1_3gpuE9ELNS1_3repE0EEENS1_30default_config_static_selectorELNS0_4arch9wavefront6targetE0EEEvSY_
    .private_segment_fixed_size: 0
    .sgpr_count:     0
    .sgpr_spill_count: 0
    .symbol:         _ZN7rocprim17ROCPRIM_400000_NS6detail17trampoline_kernelINS0_13select_configILj256ELj13ELNS0_17block_load_methodE3ELS4_3ELS4_3ELNS0_20block_scan_algorithmE0ELj4294967295EEENS1_25partition_config_selectorILNS1_17partition_subalgoE3EjNS0_10empty_typeEbEEZZNS1_14partition_implILS8_3ELb0ES6_jNS0_17counting_iteratorIjlEEPS9_SE_NS0_5tupleIJPjSE_EEENSF_IJSE_SE_EEES9_SG_JZNS1_25segmented_radix_sort_implINS0_14default_configELb0EPKbPbPKlPlN2at6native12_GLOBAL__N_18offset_tEEE10hipError_tPvRmT1_PNSt15iterator_traitsISY_E10value_typeET2_T3_PNSZ_IS14_E10value_typeET4_jRbjT5_S1A_jjP12ihipStream_tbEUljE_EEESV_SW_SX_S14_S18_S1A_T6_T7_T9_mT8_S1C_bDpT10_ENKUlT_T0_E_clISt17integral_constantIbLb1EES1P_EEDaS1K_S1L_EUlS1K_E_NS1_11comp_targetILNS1_3genE5ELNS1_11target_archE942ELNS1_3gpuE9ELNS1_3repE0EEENS1_30default_config_static_selectorELNS0_4arch9wavefront6targetE0EEEvSY_.kd
    .uniform_work_group_size: 1
    .uses_dynamic_stack: false
    .vgpr_count:     0
    .vgpr_spill_count: 0
    .wavefront_size: 32
    .workgroup_processor_mode: 1
  - .args:
      - .offset:         0
        .size:           152
        .value_kind:     by_value
    .group_segment_fixed_size: 0
    .kernarg_segment_align: 8
    .kernarg_segment_size: 152
    .language:       OpenCL C
    .language_version:
      - 2
      - 0
    .max_flat_workgroup_size: 256
    .name:           _ZN7rocprim17ROCPRIM_400000_NS6detail17trampoline_kernelINS0_13select_configILj256ELj13ELNS0_17block_load_methodE3ELS4_3ELS4_3ELNS0_20block_scan_algorithmE0ELj4294967295EEENS1_25partition_config_selectorILNS1_17partition_subalgoE3EjNS0_10empty_typeEbEEZZNS1_14partition_implILS8_3ELb0ES6_jNS0_17counting_iteratorIjlEEPS9_SE_NS0_5tupleIJPjSE_EEENSF_IJSE_SE_EEES9_SG_JZNS1_25segmented_radix_sort_implINS0_14default_configELb0EPKbPbPKlPlN2at6native12_GLOBAL__N_18offset_tEEE10hipError_tPvRmT1_PNSt15iterator_traitsISY_E10value_typeET2_T3_PNSZ_IS14_E10value_typeET4_jRbjT5_S1A_jjP12ihipStream_tbEUljE_EEESV_SW_SX_S14_S18_S1A_T6_T7_T9_mT8_S1C_bDpT10_ENKUlT_T0_E_clISt17integral_constantIbLb1EES1P_EEDaS1K_S1L_EUlS1K_E_NS1_11comp_targetILNS1_3genE4ELNS1_11target_archE910ELNS1_3gpuE8ELNS1_3repE0EEENS1_30default_config_static_selectorELNS0_4arch9wavefront6targetE0EEEvSY_
    .private_segment_fixed_size: 0
    .sgpr_count:     0
    .sgpr_spill_count: 0
    .symbol:         _ZN7rocprim17ROCPRIM_400000_NS6detail17trampoline_kernelINS0_13select_configILj256ELj13ELNS0_17block_load_methodE3ELS4_3ELS4_3ELNS0_20block_scan_algorithmE0ELj4294967295EEENS1_25partition_config_selectorILNS1_17partition_subalgoE3EjNS0_10empty_typeEbEEZZNS1_14partition_implILS8_3ELb0ES6_jNS0_17counting_iteratorIjlEEPS9_SE_NS0_5tupleIJPjSE_EEENSF_IJSE_SE_EEES9_SG_JZNS1_25segmented_radix_sort_implINS0_14default_configELb0EPKbPbPKlPlN2at6native12_GLOBAL__N_18offset_tEEE10hipError_tPvRmT1_PNSt15iterator_traitsISY_E10value_typeET2_T3_PNSZ_IS14_E10value_typeET4_jRbjT5_S1A_jjP12ihipStream_tbEUljE_EEESV_SW_SX_S14_S18_S1A_T6_T7_T9_mT8_S1C_bDpT10_ENKUlT_T0_E_clISt17integral_constantIbLb1EES1P_EEDaS1K_S1L_EUlS1K_E_NS1_11comp_targetILNS1_3genE4ELNS1_11target_archE910ELNS1_3gpuE8ELNS1_3repE0EEENS1_30default_config_static_selectorELNS0_4arch9wavefront6targetE0EEEvSY_.kd
    .uniform_work_group_size: 1
    .uses_dynamic_stack: false
    .vgpr_count:     0
    .vgpr_spill_count: 0
    .wavefront_size: 32
    .workgroup_processor_mode: 1
  - .args:
      - .offset:         0
        .size:           152
        .value_kind:     by_value
    .group_segment_fixed_size: 0
    .kernarg_segment_align: 8
    .kernarg_segment_size: 152
    .language:       OpenCL C
    .language_version:
      - 2
      - 0
    .max_flat_workgroup_size: 256
    .name:           _ZN7rocprim17ROCPRIM_400000_NS6detail17trampoline_kernelINS0_13select_configILj256ELj13ELNS0_17block_load_methodE3ELS4_3ELS4_3ELNS0_20block_scan_algorithmE0ELj4294967295EEENS1_25partition_config_selectorILNS1_17partition_subalgoE3EjNS0_10empty_typeEbEEZZNS1_14partition_implILS8_3ELb0ES6_jNS0_17counting_iteratorIjlEEPS9_SE_NS0_5tupleIJPjSE_EEENSF_IJSE_SE_EEES9_SG_JZNS1_25segmented_radix_sort_implINS0_14default_configELb0EPKbPbPKlPlN2at6native12_GLOBAL__N_18offset_tEEE10hipError_tPvRmT1_PNSt15iterator_traitsISY_E10value_typeET2_T3_PNSZ_IS14_E10value_typeET4_jRbjT5_S1A_jjP12ihipStream_tbEUljE_EEESV_SW_SX_S14_S18_S1A_T6_T7_T9_mT8_S1C_bDpT10_ENKUlT_T0_E_clISt17integral_constantIbLb1EES1P_EEDaS1K_S1L_EUlS1K_E_NS1_11comp_targetILNS1_3genE3ELNS1_11target_archE908ELNS1_3gpuE7ELNS1_3repE0EEENS1_30default_config_static_selectorELNS0_4arch9wavefront6targetE0EEEvSY_
    .private_segment_fixed_size: 0
    .sgpr_count:     0
    .sgpr_spill_count: 0
    .symbol:         _ZN7rocprim17ROCPRIM_400000_NS6detail17trampoline_kernelINS0_13select_configILj256ELj13ELNS0_17block_load_methodE3ELS4_3ELS4_3ELNS0_20block_scan_algorithmE0ELj4294967295EEENS1_25partition_config_selectorILNS1_17partition_subalgoE3EjNS0_10empty_typeEbEEZZNS1_14partition_implILS8_3ELb0ES6_jNS0_17counting_iteratorIjlEEPS9_SE_NS0_5tupleIJPjSE_EEENSF_IJSE_SE_EEES9_SG_JZNS1_25segmented_radix_sort_implINS0_14default_configELb0EPKbPbPKlPlN2at6native12_GLOBAL__N_18offset_tEEE10hipError_tPvRmT1_PNSt15iterator_traitsISY_E10value_typeET2_T3_PNSZ_IS14_E10value_typeET4_jRbjT5_S1A_jjP12ihipStream_tbEUljE_EEESV_SW_SX_S14_S18_S1A_T6_T7_T9_mT8_S1C_bDpT10_ENKUlT_T0_E_clISt17integral_constantIbLb1EES1P_EEDaS1K_S1L_EUlS1K_E_NS1_11comp_targetILNS1_3genE3ELNS1_11target_archE908ELNS1_3gpuE7ELNS1_3repE0EEENS1_30default_config_static_selectorELNS0_4arch9wavefront6targetE0EEEvSY_.kd
    .uniform_work_group_size: 1
    .uses_dynamic_stack: false
    .vgpr_count:     0
    .vgpr_spill_count: 0
    .wavefront_size: 32
    .workgroup_processor_mode: 1
  - .args:
      - .offset:         0
        .size:           152
        .value_kind:     by_value
    .group_segment_fixed_size: 0
    .kernarg_segment_align: 8
    .kernarg_segment_size: 152
    .language:       OpenCL C
    .language_version:
      - 2
      - 0
    .max_flat_workgroup_size: 256
    .name:           _ZN7rocprim17ROCPRIM_400000_NS6detail17trampoline_kernelINS0_13select_configILj256ELj13ELNS0_17block_load_methodE3ELS4_3ELS4_3ELNS0_20block_scan_algorithmE0ELj4294967295EEENS1_25partition_config_selectorILNS1_17partition_subalgoE3EjNS0_10empty_typeEbEEZZNS1_14partition_implILS8_3ELb0ES6_jNS0_17counting_iteratorIjlEEPS9_SE_NS0_5tupleIJPjSE_EEENSF_IJSE_SE_EEES9_SG_JZNS1_25segmented_radix_sort_implINS0_14default_configELb0EPKbPbPKlPlN2at6native12_GLOBAL__N_18offset_tEEE10hipError_tPvRmT1_PNSt15iterator_traitsISY_E10value_typeET2_T3_PNSZ_IS14_E10value_typeET4_jRbjT5_S1A_jjP12ihipStream_tbEUljE_EEESV_SW_SX_S14_S18_S1A_T6_T7_T9_mT8_S1C_bDpT10_ENKUlT_T0_E_clISt17integral_constantIbLb1EES1P_EEDaS1K_S1L_EUlS1K_E_NS1_11comp_targetILNS1_3genE2ELNS1_11target_archE906ELNS1_3gpuE6ELNS1_3repE0EEENS1_30default_config_static_selectorELNS0_4arch9wavefront6targetE0EEEvSY_
    .private_segment_fixed_size: 0
    .sgpr_count:     0
    .sgpr_spill_count: 0
    .symbol:         _ZN7rocprim17ROCPRIM_400000_NS6detail17trampoline_kernelINS0_13select_configILj256ELj13ELNS0_17block_load_methodE3ELS4_3ELS4_3ELNS0_20block_scan_algorithmE0ELj4294967295EEENS1_25partition_config_selectorILNS1_17partition_subalgoE3EjNS0_10empty_typeEbEEZZNS1_14partition_implILS8_3ELb0ES6_jNS0_17counting_iteratorIjlEEPS9_SE_NS0_5tupleIJPjSE_EEENSF_IJSE_SE_EEES9_SG_JZNS1_25segmented_radix_sort_implINS0_14default_configELb0EPKbPbPKlPlN2at6native12_GLOBAL__N_18offset_tEEE10hipError_tPvRmT1_PNSt15iterator_traitsISY_E10value_typeET2_T3_PNSZ_IS14_E10value_typeET4_jRbjT5_S1A_jjP12ihipStream_tbEUljE_EEESV_SW_SX_S14_S18_S1A_T6_T7_T9_mT8_S1C_bDpT10_ENKUlT_T0_E_clISt17integral_constantIbLb1EES1P_EEDaS1K_S1L_EUlS1K_E_NS1_11comp_targetILNS1_3genE2ELNS1_11target_archE906ELNS1_3gpuE6ELNS1_3repE0EEENS1_30default_config_static_selectorELNS0_4arch9wavefront6targetE0EEEvSY_.kd
    .uniform_work_group_size: 1
    .uses_dynamic_stack: false
    .vgpr_count:     0
    .vgpr_spill_count: 0
    .wavefront_size: 32
    .workgroup_processor_mode: 1
  - .args:
      - .offset:         0
        .size:           152
        .value_kind:     by_value
    .group_segment_fixed_size: 0
    .kernarg_segment_align: 8
    .kernarg_segment_size: 152
    .language:       OpenCL C
    .language_version:
      - 2
      - 0
    .max_flat_workgroup_size: 256
    .name:           _ZN7rocprim17ROCPRIM_400000_NS6detail17trampoline_kernelINS0_13select_configILj256ELj13ELNS0_17block_load_methodE3ELS4_3ELS4_3ELNS0_20block_scan_algorithmE0ELj4294967295EEENS1_25partition_config_selectorILNS1_17partition_subalgoE3EjNS0_10empty_typeEbEEZZNS1_14partition_implILS8_3ELb0ES6_jNS0_17counting_iteratorIjlEEPS9_SE_NS0_5tupleIJPjSE_EEENSF_IJSE_SE_EEES9_SG_JZNS1_25segmented_radix_sort_implINS0_14default_configELb0EPKbPbPKlPlN2at6native12_GLOBAL__N_18offset_tEEE10hipError_tPvRmT1_PNSt15iterator_traitsISY_E10value_typeET2_T3_PNSZ_IS14_E10value_typeET4_jRbjT5_S1A_jjP12ihipStream_tbEUljE_EEESV_SW_SX_S14_S18_S1A_T6_T7_T9_mT8_S1C_bDpT10_ENKUlT_T0_E_clISt17integral_constantIbLb1EES1P_EEDaS1K_S1L_EUlS1K_E_NS1_11comp_targetILNS1_3genE10ELNS1_11target_archE1200ELNS1_3gpuE4ELNS1_3repE0EEENS1_30default_config_static_selectorELNS0_4arch9wavefront6targetE0EEEvSY_
    .private_segment_fixed_size: 0
    .sgpr_count:     0
    .sgpr_spill_count: 0
    .symbol:         _ZN7rocprim17ROCPRIM_400000_NS6detail17trampoline_kernelINS0_13select_configILj256ELj13ELNS0_17block_load_methodE3ELS4_3ELS4_3ELNS0_20block_scan_algorithmE0ELj4294967295EEENS1_25partition_config_selectorILNS1_17partition_subalgoE3EjNS0_10empty_typeEbEEZZNS1_14partition_implILS8_3ELb0ES6_jNS0_17counting_iteratorIjlEEPS9_SE_NS0_5tupleIJPjSE_EEENSF_IJSE_SE_EEES9_SG_JZNS1_25segmented_radix_sort_implINS0_14default_configELb0EPKbPbPKlPlN2at6native12_GLOBAL__N_18offset_tEEE10hipError_tPvRmT1_PNSt15iterator_traitsISY_E10value_typeET2_T3_PNSZ_IS14_E10value_typeET4_jRbjT5_S1A_jjP12ihipStream_tbEUljE_EEESV_SW_SX_S14_S18_S1A_T6_T7_T9_mT8_S1C_bDpT10_ENKUlT_T0_E_clISt17integral_constantIbLb1EES1P_EEDaS1K_S1L_EUlS1K_E_NS1_11comp_targetILNS1_3genE10ELNS1_11target_archE1200ELNS1_3gpuE4ELNS1_3repE0EEENS1_30default_config_static_selectorELNS0_4arch9wavefront6targetE0EEEvSY_.kd
    .uniform_work_group_size: 1
    .uses_dynamic_stack: false
    .vgpr_count:     0
    .vgpr_spill_count: 0
    .wavefront_size: 32
    .workgroup_processor_mode: 1
  - .args:
      - .offset:         0
        .size:           152
        .value_kind:     by_value
    .group_segment_fixed_size: 13324
    .kernarg_segment_align: 8
    .kernarg_segment_size: 152
    .language:       OpenCL C
    .language_version:
      - 2
      - 0
    .max_flat_workgroup_size: 256
    .name:           _ZN7rocprim17ROCPRIM_400000_NS6detail17trampoline_kernelINS0_13select_configILj256ELj13ELNS0_17block_load_methodE3ELS4_3ELS4_3ELNS0_20block_scan_algorithmE0ELj4294967295EEENS1_25partition_config_selectorILNS1_17partition_subalgoE3EjNS0_10empty_typeEbEEZZNS1_14partition_implILS8_3ELb0ES6_jNS0_17counting_iteratorIjlEEPS9_SE_NS0_5tupleIJPjSE_EEENSF_IJSE_SE_EEES9_SG_JZNS1_25segmented_radix_sort_implINS0_14default_configELb0EPKbPbPKlPlN2at6native12_GLOBAL__N_18offset_tEEE10hipError_tPvRmT1_PNSt15iterator_traitsISY_E10value_typeET2_T3_PNSZ_IS14_E10value_typeET4_jRbjT5_S1A_jjP12ihipStream_tbEUljE_EEESV_SW_SX_S14_S18_S1A_T6_T7_T9_mT8_S1C_bDpT10_ENKUlT_T0_E_clISt17integral_constantIbLb1EES1P_EEDaS1K_S1L_EUlS1K_E_NS1_11comp_targetILNS1_3genE9ELNS1_11target_archE1100ELNS1_3gpuE3ELNS1_3repE0EEENS1_30default_config_static_selectorELNS0_4arch9wavefront6targetE0EEEvSY_
    .private_segment_fixed_size: 0
    .sgpr_count:     28
    .sgpr_spill_count: 0
    .symbol:         _ZN7rocprim17ROCPRIM_400000_NS6detail17trampoline_kernelINS0_13select_configILj256ELj13ELNS0_17block_load_methodE3ELS4_3ELS4_3ELNS0_20block_scan_algorithmE0ELj4294967295EEENS1_25partition_config_selectorILNS1_17partition_subalgoE3EjNS0_10empty_typeEbEEZZNS1_14partition_implILS8_3ELb0ES6_jNS0_17counting_iteratorIjlEEPS9_SE_NS0_5tupleIJPjSE_EEENSF_IJSE_SE_EEES9_SG_JZNS1_25segmented_radix_sort_implINS0_14default_configELb0EPKbPbPKlPlN2at6native12_GLOBAL__N_18offset_tEEE10hipError_tPvRmT1_PNSt15iterator_traitsISY_E10value_typeET2_T3_PNSZ_IS14_E10value_typeET4_jRbjT5_S1A_jjP12ihipStream_tbEUljE_EEESV_SW_SX_S14_S18_S1A_T6_T7_T9_mT8_S1C_bDpT10_ENKUlT_T0_E_clISt17integral_constantIbLb1EES1P_EEDaS1K_S1L_EUlS1K_E_NS1_11comp_targetILNS1_3genE9ELNS1_11target_archE1100ELNS1_3gpuE3ELNS1_3repE0EEENS1_30default_config_static_selectorELNS0_4arch9wavefront6targetE0EEEvSY_.kd
    .uniform_work_group_size: 1
    .uses_dynamic_stack: false
    .vgpr_count:     60
    .vgpr_spill_count: 0
    .wavefront_size: 32
    .workgroup_processor_mode: 1
  - .args:
      - .offset:         0
        .size:           152
        .value_kind:     by_value
    .group_segment_fixed_size: 0
    .kernarg_segment_align: 8
    .kernarg_segment_size: 152
    .language:       OpenCL C
    .language_version:
      - 2
      - 0
    .max_flat_workgroup_size: 256
    .name:           _ZN7rocprim17ROCPRIM_400000_NS6detail17trampoline_kernelINS0_13select_configILj256ELj13ELNS0_17block_load_methodE3ELS4_3ELS4_3ELNS0_20block_scan_algorithmE0ELj4294967295EEENS1_25partition_config_selectorILNS1_17partition_subalgoE3EjNS0_10empty_typeEbEEZZNS1_14partition_implILS8_3ELb0ES6_jNS0_17counting_iteratorIjlEEPS9_SE_NS0_5tupleIJPjSE_EEENSF_IJSE_SE_EEES9_SG_JZNS1_25segmented_radix_sort_implINS0_14default_configELb0EPKbPbPKlPlN2at6native12_GLOBAL__N_18offset_tEEE10hipError_tPvRmT1_PNSt15iterator_traitsISY_E10value_typeET2_T3_PNSZ_IS14_E10value_typeET4_jRbjT5_S1A_jjP12ihipStream_tbEUljE_EEESV_SW_SX_S14_S18_S1A_T6_T7_T9_mT8_S1C_bDpT10_ENKUlT_T0_E_clISt17integral_constantIbLb1EES1P_EEDaS1K_S1L_EUlS1K_E_NS1_11comp_targetILNS1_3genE8ELNS1_11target_archE1030ELNS1_3gpuE2ELNS1_3repE0EEENS1_30default_config_static_selectorELNS0_4arch9wavefront6targetE0EEEvSY_
    .private_segment_fixed_size: 0
    .sgpr_count:     0
    .sgpr_spill_count: 0
    .symbol:         _ZN7rocprim17ROCPRIM_400000_NS6detail17trampoline_kernelINS0_13select_configILj256ELj13ELNS0_17block_load_methodE3ELS4_3ELS4_3ELNS0_20block_scan_algorithmE0ELj4294967295EEENS1_25partition_config_selectorILNS1_17partition_subalgoE3EjNS0_10empty_typeEbEEZZNS1_14partition_implILS8_3ELb0ES6_jNS0_17counting_iteratorIjlEEPS9_SE_NS0_5tupleIJPjSE_EEENSF_IJSE_SE_EEES9_SG_JZNS1_25segmented_radix_sort_implINS0_14default_configELb0EPKbPbPKlPlN2at6native12_GLOBAL__N_18offset_tEEE10hipError_tPvRmT1_PNSt15iterator_traitsISY_E10value_typeET2_T3_PNSZ_IS14_E10value_typeET4_jRbjT5_S1A_jjP12ihipStream_tbEUljE_EEESV_SW_SX_S14_S18_S1A_T6_T7_T9_mT8_S1C_bDpT10_ENKUlT_T0_E_clISt17integral_constantIbLb1EES1P_EEDaS1K_S1L_EUlS1K_E_NS1_11comp_targetILNS1_3genE8ELNS1_11target_archE1030ELNS1_3gpuE2ELNS1_3repE0EEENS1_30default_config_static_selectorELNS0_4arch9wavefront6targetE0EEEvSY_.kd
    .uniform_work_group_size: 1
    .uses_dynamic_stack: false
    .vgpr_count:     0
    .vgpr_spill_count: 0
    .wavefront_size: 32
    .workgroup_processor_mode: 1
  - .args:
      - .offset:         0
        .size:           144
        .value_kind:     by_value
    .group_segment_fixed_size: 0
    .kernarg_segment_align: 8
    .kernarg_segment_size: 144
    .language:       OpenCL C
    .language_version:
      - 2
      - 0
    .max_flat_workgroup_size: 256
    .name:           _ZN7rocprim17ROCPRIM_400000_NS6detail17trampoline_kernelINS0_13select_configILj256ELj13ELNS0_17block_load_methodE3ELS4_3ELS4_3ELNS0_20block_scan_algorithmE0ELj4294967295EEENS1_25partition_config_selectorILNS1_17partition_subalgoE3EjNS0_10empty_typeEbEEZZNS1_14partition_implILS8_3ELb0ES6_jNS0_17counting_iteratorIjlEEPS9_SE_NS0_5tupleIJPjSE_EEENSF_IJSE_SE_EEES9_SG_JZNS1_25segmented_radix_sort_implINS0_14default_configELb0EPKbPbPKlPlN2at6native12_GLOBAL__N_18offset_tEEE10hipError_tPvRmT1_PNSt15iterator_traitsISY_E10value_typeET2_T3_PNSZ_IS14_E10value_typeET4_jRbjT5_S1A_jjP12ihipStream_tbEUljE_EEESV_SW_SX_S14_S18_S1A_T6_T7_T9_mT8_S1C_bDpT10_ENKUlT_T0_E_clISt17integral_constantIbLb1EES1O_IbLb0EEEEDaS1K_S1L_EUlS1K_E_NS1_11comp_targetILNS1_3genE0ELNS1_11target_archE4294967295ELNS1_3gpuE0ELNS1_3repE0EEENS1_30default_config_static_selectorELNS0_4arch9wavefront6targetE0EEEvSY_
    .private_segment_fixed_size: 0
    .sgpr_count:     0
    .sgpr_spill_count: 0
    .symbol:         _ZN7rocprim17ROCPRIM_400000_NS6detail17trampoline_kernelINS0_13select_configILj256ELj13ELNS0_17block_load_methodE3ELS4_3ELS4_3ELNS0_20block_scan_algorithmE0ELj4294967295EEENS1_25partition_config_selectorILNS1_17partition_subalgoE3EjNS0_10empty_typeEbEEZZNS1_14partition_implILS8_3ELb0ES6_jNS0_17counting_iteratorIjlEEPS9_SE_NS0_5tupleIJPjSE_EEENSF_IJSE_SE_EEES9_SG_JZNS1_25segmented_radix_sort_implINS0_14default_configELb0EPKbPbPKlPlN2at6native12_GLOBAL__N_18offset_tEEE10hipError_tPvRmT1_PNSt15iterator_traitsISY_E10value_typeET2_T3_PNSZ_IS14_E10value_typeET4_jRbjT5_S1A_jjP12ihipStream_tbEUljE_EEESV_SW_SX_S14_S18_S1A_T6_T7_T9_mT8_S1C_bDpT10_ENKUlT_T0_E_clISt17integral_constantIbLb1EES1O_IbLb0EEEEDaS1K_S1L_EUlS1K_E_NS1_11comp_targetILNS1_3genE0ELNS1_11target_archE4294967295ELNS1_3gpuE0ELNS1_3repE0EEENS1_30default_config_static_selectorELNS0_4arch9wavefront6targetE0EEEvSY_.kd
    .uniform_work_group_size: 1
    .uses_dynamic_stack: false
    .vgpr_count:     0
    .vgpr_spill_count: 0
    .wavefront_size: 32
    .workgroup_processor_mode: 1
  - .args:
      - .offset:         0
        .size:           144
        .value_kind:     by_value
    .group_segment_fixed_size: 0
    .kernarg_segment_align: 8
    .kernarg_segment_size: 144
    .language:       OpenCL C
    .language_version:
      - 2
      - 0
    .max_flat_workgroup_size: 256
    .name:           _ZN7rocprim17ROCPRIM_400000_NS6detail17trampoline_kernelINS0_13select_configILj256ELj13ELNS0_17block_load_methodE3ELS4_3ELS4_3ELNS0_20block_scan_algorithmE0ELj4294967295EEENS1_25partition_config_selectorILNS1_17partition_subalgoE3EjNS0_10empty_typeEbEEZZNS1_14partition_implILS8_3ELb0ES6_jNS0_17counting_iteratorIjlEEPS9_SE_NS0_5tupleIJPjSE_EEENSF_IJSE_SE_EEES9_SG_JZNS1_25segmented_radix_sort_implINS0_14default_configELb0EPKbPbPKlPlN2at6native12_GLOBAL__N_18offset_tEEE10hipError_tPvRmT1_PNSt15iterator_traitsISY_E10value_typeET2_T3_PNSZ_IS14_E10value_typeET4_jRbjT5_S1A_jjP12ihipStream_tbEUljE_EEESV_SW_SX_S14_S18_S1A_T6_T7_T9_mT8_S1C_bDpT10_ENKUlT_T0_E_clISt17integral_constantIbLb1EES1O_IbLb0EEEEDaS1K_S1L_EUlS1K_E_NS1_11comp_targetILNS1_3genE5ELNS1_11target_archE942ELNS1_3gpuE9ELNS1_3repE0EEENS1_30default_config_static_selectorELNS0_4arch9wavefront6targetE0EEEvSY_
    .private_segment_fixed_size: 0
    .sgpr_count:     0
    .sgpr_spill_count: 0
    .symbol:         _ZN7rocprim17ROCPRIM_400000_NS6detail17trampoline_kernelINS0_13select_configILj256ELj13ELNS0_17block_load_methodE3ELS4_3ELS4_3ELNS0_20block_scan_algorithmE0ELj4294967295EEENS1_25partition_config_selectorILNS1_17partition_subalgoE3EjNS0_10empty_typeEbEEZZNS1_14partition_implILS8_3ELb0ES6_jNS0_17counting_iteratorIjlEEPS9_SE_NS0_5tupleIJPjSE_EEENSF_IJSE_SE_EEES9_SG_JZNS1_25segmented_radix_sort_implINS0_14default_configELb0EPKbPbPKlPlN2at6native12_GLOBAL__N_18offset_tEEE10hipError_tPvRmT1_PNSt15iterator_traitsISY_E10value_typeET2_T3_PNSZ_IS14_E10value_typeET4_jRbjT5_S1A_jjP12ihipStream_tbEUljE_EEESV_SW_SX_S14_S18_S1A_T6_T7_T9_mT8_S1C_bDpT10_ENKUlT_T0_E_clISt17integral_constantIbLb1EES1O_IbLb0EEEEDaS1K_S1L_EUlS1K_E_NS1_11comp_targetILNS1_3genE5ELNS1_11target_archE942ELNS1_3gpuE9ELNS1_3repE0EEENS1_30default_config_static_selectorELNS0_4arch9wavefront6targetE0EEEvSY_.kd
    .uniform_work_group_size: 1
    .uses_dynamic_stack: false
    .vgpr_count:     0
    .vgpr_spill_count: 0
    .wavefront_size: 32
    .workgroup_processor_mode: 1
  - .args:
      - .offset:         0
        .size:           144
        .value_kind:     by_value
    .group_segment_fixed_size: 0
    .kernarg_segment_align: 8
    .kernarg_segment_size: 144
    .language:       OpenCL C
    .language_version:
      - 2
      - 0
    .max_flat_workgroup_size: 256
    .name:           _ZN7rocprim17ROCPRIM_400000_NS6detail17trampoline_kernelINS0_13select_configILj256ELj13ELNS0_17block_load_methodE3ELS4_3ELS4_3ELNS0_20block_scan_algorithmE0ELj4294967295EEENS1_25partition_config_selectorILNS1_17partition_subalgoE3EjNS0_10empty_typeEbEEZZNS1_14partition_implILS8_3ELb0ES6_jNS0_17counting_iteratorIjlEEPS9_SE_NS0_5tupleIJPjSE_EEENSF_IJSE_SE_EEES9_SG_JZNS1_25segmented_radix_sort_implINS0_14default_configELb0EPKbPbPKlPlN2at6native12_GLOBAL__N_18offset_tEEE10hipError_tPvRmT1_PNSt15iterator_traitsISY_E10value_typeET2_T3_PNSZ_IS14_E10value_typeET4_jRbjT5_S1A_jjP12ihipStream_tbEUljE_EEESV_SW_SX_S14_S18_S1A_T6_T7_T9_mT8_S1C_bDpT10_ENKUlT_T0_E_clISt17integral_constantIbLb1EES1O_IbLb0EEEEDaS1K_S1L_EUlS1K_E_NS1_11comp_targetILNS1_3genE4ELNS1_11target_archE910ELNS1_3gpuE8ELNS1_3repE0EEENS1_30default_config_static_selectorELNS0_4arch9wavefront6targetE0EEEvSY_
    .private_segment_fixed_size: 0
    .sgpr_count:     0
    .sgpr_spill_count: 0
    .symbol:         _ZN7rocprim17ROCPRIM_400000_NS6detail17trampoline_kernelINS0_13select_configILj256ELj13ELNS0_17block_load_methodE3ELS4_3ELS4_3ELNS0_20block_scan_algorithmE0ELj4294967295EEENS1_25partition_config_selectorILNS1_17partition_subalgoE3EjNS0_10empty_typeEbEEZZNS1_14partition_implILS8_3ELb0ES6_jNS0_17counting_iteratorIjlEEPS9_SE_NS0_5tupleIJPjSE_EEENSF_IJSE_SE_EEES9_SG_JZNS1_25segmented_radix_sort_implINS0_14default_configELb0EPKbPbPKlPlN2at6native12_GLOBAL__N_18offset_tEEE10hipError_tPvRmT1_PNSt15iterator_traitsISY_E10value_typeET2_T3_PNSZ_IS14_E10value_typeET4_jRbjT5_S1A_jjP12ihipStream_tbEUljE_EEESV_SW_SX_S14_S18_S1A_T6_T7_T9_mT8_S1C_bDpT10_ENKUlT_T0_E_clISt17integral_constantIbLb1EES1O_IbLb0EEEEDaS1K_S1L_EUlS1K_E_NS1_11comp_targetILNS1_3genE4ELNS1_11target_archE910ELNS1_3gpuE8ELNS1_3repE0EEENS1_30default_config_static_selectorELNS0_4arch9wavefront6targetE0EEEvSY_.kd
    .uniform_work_group_size: 1
    .uses_dynamic_stack: false
    .vgpr_count:     0
    .vgpr_spill_count: 0
    .wavefront_size: 32
    .workgroup_processor_mode: 1
  - .args:
      - .offset:         0
        .size:           144
        .value_kind:     by_value
    .group_segment_fixed_size: 0
    .kernarg_segment_align: 8
    .kernarg_segment_size: 144
    .language:       OpenCL C
    .language_version:
      - 2
      - 0
    .max_flat_workgroup_size: 256
    .name:           _ZN7rocprim17ROCPRIM_400000_NS6detail17trampoline_kernelINS0_13select_configILj256ELj13ELNS0_17block_load_methodE3ELS4_3ELS4_3ELNS0_20block_scan_algorithmE0ELj4294967295EEENS1_25partition_config_selectorILNS1_17partition_subalgoE3EjNS0_10empty_typeEbEEZZNS1_14partition_implILS8_3ELb0ES6_jNS0_17counting_iteratorIjlEEPS9_SE_NS0_5tupleIJPjSE_EEENSF_IJSE_SE_EEES9_SG_JZNS1_25segmented_radix_sort_implINS0_14default_configELb0EPKbPbPKlPlN2at6native12_GLOBAL__N_18offset_tEEE10hipError_tPvRmT1_PNSt15iterator_traitsISY_E10value_typeET2_T3_PNSZ_IS14_E10value_typeET4_jRbjT5_S1A_jjP12ihipStream_tbEUljE_EEESV_SW_SX_S14_S18_S1A_T6_T7_T9_mT8_S1C_bDpT10_ENKUlT_T0_E_clISt17integral_constantIbLb1EES1O_IbLb0EEEEDaS1K_S1L_EUlS1K_E_NS1_11comp_targetILNS1_3genE3ELNS1_11target_archE908ELNS1_3gpuE7ELNS1_3repE0EEENS1_30default_config_static_selectorELNS0_4arch9wavefront6targetE0EEEvSY_
    .private_segment_fixed_size: 0
    .sgpr_count:     0
    .sgpr_spill_count: 0
    .symbol:         _ZN7rocprim17ROCPRIM_400000_NS6detail17trampoline_kernelINS0_13select_configILj256ELj13ELNS0_17block_load_methodE3ELS4_3ELS4_3ELNS0_20block_scan_algorithmE0ELj4294967295EEENS1_25partition_config_selectorILNS1_17partition_subalgoE3EjNS0_10empty_typeEbEEZZNS1_14partition_implILS8_3ELb0ES6_jNS0_17counting_iteratorIjlEEPS9_SE_NS0_5tupleIJPjSE_EEENSF_IJSE_SE_EEES9_SG_JZNS1_25segmented_radix_sort_implINS0_14default_configELb0EPKbPbPKlPlN2at6native12_GLOBAL__N_18offset_tEEE10hipError_tPvRmT1_PNSt15iterator_traitsISY_E10value_typeET2_T3_PNSZ_IS14_E10value_typeET4_jRbjT5_S1A_jjP12ihipStream_tbEUljE_EEESV_SW_SX_S14_S18_S1A_T6_T7_T9_mT8_S1C_bDpT10_ENKUlT_T0_E_clISt17integral_constantIbLb1EES1O_IbLb0EEEEDaS1K_S1L_EUlS1K_E_NS1_11comp_targetILNS1_3genE3ELNS1_11target_archE908ELNS1_3gpuE7ELNS1_3repE0EEENS1_30default_config_static_selectorELNS0_4arch9wavefront6targetE0EEEvSY_.kd
    .uniform_work_group_size: 1
    .uses_dynamic_stack: false
    .vgpr_count:     0
    .vgpr_spill_count: 0
    .wavefront_size: 32
    .workgroup_processor_mode: 1
  - .args:
      - .offset:         0
        .size:           144
        .value_kind:     by_value
    .group_segment_fixed_size: 0
    .kernarg_segment_align: 8
    .kernarg_segment_size: 144
    .language:       OpenCL C
    .language_version:
      - 2
      - 0
    .max_flat_workgroup_size: 256
    .name:           _ZN7rocprim17ROCPRIM_400000_NS6detail17trampoline_kernelINS0_13select_configILj256ELj13ELNS0_17block_load_methodE3ELS4_3ELS4_3ELNS0_20block_scan_algorithmE0ELj4294967295EEENS1_25partition_config_selectorILNS1_17partition_subalgoE3EjNS0_10empty_typeEbEEZZNS1_14partition_implILS8_3ELb0ES6_jNS0_17counting_iteratorIjlEEPS9_SE_NS0_5tupleIJPjSE_EEENSF_IJSE_SE_EEES9_SG_JZNS1_25segmented_radix_sort_implINS0_14default_configELb0EPKbPbPKlPlN2at6native12_GLOBAL__N_18offset_tEEE10hipError_tPvRmT1_PNSt15iterator_traitsISY_E10value_typeET2_T3_PNSZ_IS14_E10value_typeET4_jRbjT5_S1A_jjP12ihipStream_tbEUljE_EEESV_SW_SX_S14_S18_S1A_T6_T7_T9_mT8_S1C_bDpT10_ENKUlT_T0_E_clISt17integral_constantIbLb1EES1O_IbLb0EEEEDaS1K_S1L_EUlS1K_E_NS1_11comp_targetILNS1_3genE2ELNS1_11target_archE906ELNS1_3gpuE6ELNS1_3repE0EEENS1_30default_config_static_selectorELNS0_4arch9wavefront6targetE0EEEvSY_
    .private_segment_fixed_size: 0
    .sgpr_count:     0
    .sgpr_spill_count: 0
    .symbol:         _ZN7rocprim17ROCPRIM_400000_NS6detail17trampoline_kernelINS0_13select_configILj256ELj13ELNS0_17block_load_methodE3ELS4_3ELS4_3ELNS0_20block_scan_algorithmE0ELj4294967295EEENS1_25partition_config_selectorILNS1_17partition_subalgoE3EjNS0_10empty_typeEbEEZZNS1_14partition_implILS8_3ELb0ES6_jNS0_17counting_iteratorIjlEEPS9_SE_NS0_5tupleIJPjSE_EEENSF_IJSE_SE_EEES9_SG_JZNS1_25segmented_radix_sort_implINS0_14default_configELb0EPKbPbPKlPlN2at6native12_GLOBAL__N_18offset_tEEE10hipError_tPvRmT1_PNSt15iterator_traitsISY_E10value_typeET2_T3_PNSZ_IS14_E10value_typeET4_jRbjT5_S1A_jjP12ihipStream_tbEUljE_EEESV_SW_SX_S14_S18_S1A_T6_T7_T9_mT8_S1C_bDpT10_ENKUlT_T0_E_clISt17integral_constantIbLb1EES1O_IbLb0EEEEDaS1K_S1L_EUlS1K_E_NS1_11comp_targetILNS1_3genE2ELNS1_11target_archE906ELNS1_3gpuE6ELNS1_3repE0EEENS1_30default_config_static_selectorELNS0_4arch9wavefront6targetE0EEEvSY_.kd
    .uniform_work_group_size: 1
    .uses_dynamic_stack: false
    .vgpr_count:     0
    .vgpr_spill_count: 0
    .wavefront_size: 32
    .workgroup_processor_mode: 1
  - .args:
      - .offset:         0
        .size:           144
        .value_kind:     by_value
    .group_segment_fixed_size: 0
    .kernarg_segment_align: 8
    .kernarg_segment_size: 144
    .language:       OpenCL C
    .language_version:
      - 2
      - 0
    .max_flat_workgroup_size: 256
    .name:           _ZN7rocprim17ROCPRIM_400000_NS6detail17trampoline_kernelINS0_13select_configILj256ELj13ELNS0_17block_load_methodE3ELS4_3ELS4_3ELNS0_20block_scan_algorithmE0ELj4294967295EEENS1_25partition_config_selectorILNS1_17partition_subalgoE3EjNS0_10empty_typeEbEEZZNS1_14partition_implILS8_3ELb0ES6_jNS0_17counting_iteratorIjlEEPS9_SE_NS0_5tupleIJPjSE_EEENSF_IJSE_SE_EEES9_SG_JZNS1_25segmented_radix_sort_implINS0_14default_configELb0EPKbPbPKlPlN2at6native12_GLOBAL__N_18offset_tEEE10hipError_tPvRmT1_PNSt15iterator_traitsISY_E10value_typeET2_T3_PNSZ_IS14_E10value_typeET4_jRbjT5_S1A_jjP12ihipStream_tbEUljE_EEESV_SW_SX_S14_S18_S1A_T6_T7_T9_mT8_S1C_bDpT10_ENKUlT_T0_E_clISt17integral_constantIbLb1EES1O_IbLb0EEEEDaS1K_S1L_EUlS1K_E_NS1_11comp_targetILNS1_3genE10ELNS1_11target_archE1200ELNS1_3gpuE4ELNS1_3repE0EEENS1_30default_config_static_selectorELNS0_4arch9wavefront6targetE0EEEvSY_
    .private_segment_fixed_size: 0
    .sgpr_count:     0
    .sgpr_spill_count: 0
    .symbol:         _ZN7rocprim17ROCPRIM_400000_NS6detail17trampoline_kernelINS0_13select_configILj256ELj13ELNS0_17block_load_methodE3ELS4_3ELS4_3ELNS0_20block_scan_algorithmE0ELj4294967295EEENS1_25partition_config_selectorILNS1_17partition_subalgoE3EjNS0_10empty_typeEbEEZZNS1_14partition_implILS8_3ELb0ES6_jNS0_17counting_iteratorIjlEEPS9_SE_NS0_5tupleIJPjSE_EEENSF_IJSE_SE_EEES9_SG_JZNS1_25segmented_radix_sort_implINS0_14default_configELb0EPKbPbPKlPlN2at6native12_GLOBAL__N_18offset_tEEE10hipError_tPvRmT1_PNSt15iterator_traitsISY_E10value_typeET2_T3_PNSZ_IS14_E10value_typeET4_jRbjT5_S1A_jjP12ihipStream_tbEUljE_EEESV_SW_SX_S14_S18_S1A_T6_T7_T9_mT8_S1C_bDpT10_ENKUlT_T0_E_clISt17integral_constantIbLb1EES1O_IbLb0EEEEDaS1K_S1L_EUlS1K_E_NS1_11comp_targetILNS1_3genE10ELNS1_11target_archE1200ELNS1_3gpuE4ELNS1_3repE0EEENS1_30default_config_static_selectorELNS0_4arch9wavefront6targetE0EEEvSY_.kd
    .uniform_work_group_size: 1
    .uses_dynamic_stack: false
    .vgpr_count:     0
    .vgpr_spill_count: 0
    .wavefront_size: 32
    .workgroup_processor_mode: 1
  - .args:
      - .offset:         0
        .size:           144
        .value_kind:     by_value
    .group_segment_fixed_size: 13324
    .kernarg_segment_align: 8
    .kernarg_segment_size: 144
    .language:       OpenCL C
    .language_version:
      - 2
      - 0
    .max_flat_workgroup_size: 256
    .name:           _ZN7rocprim17ROCPRIM_400000_NS6detail17trampoline_kernelINS0_13select_configILj256ELj13ELNS0_17block_load_methodE3ELS4_3ELS4_3ELNS0_20block_scan_algorithmE0ELj4294967295EEENS1_25partition_config_selectorILNS1_17partition_subalgoE3EjNS0_10empty_typeEbEEZZNS1_14partition_implILS8_3ELb0ES6_jNS0_17counting_iteratorIjlEEPS9_SE_NS0_5tupleIJPjSE_EEENSF_IJSE_SE_EEES9_SG_JZNS1_25segmented_radix_sort_implINS0_14default_configELb0EPKbPbPKlPlN2at6native12_GLOBAL__N_18offset_tEEE10hipError_tPvRmT1_PNSt15iterator_traitsISY_E10value_typeET2_T3_PNSZ_IS14_E10value_typeET4_jRbjT5_S1A_jjP12ihipStream_tbEUljE_EEESV_SW_SX_S14_S18_S1A_T6_T7_T9_mT8_S1C_bDpT10_ENKUlT_T0_E_clISt17integral_constantIbLb1EES1O_IbLb0EEEEDaS1K_S1L_EUlS1K_E_NS1_11comp_targetILNS1_3genE9ELNS1_11target_archE1100ELNS1_3gpuE3ELNS1_3repE0EEENS1_30default_config_static_selectorELNS0_4arch9wavefront6targetE0EEEvSY_
    .private_segment_fixed_size: 0
    .sgpr_count:     30
    .sgpr_spill_count: 0
    .symbol:         _ZN7rocprim17ROCPRIM_400000_NS6detail17trampoline_kernelINS0_13select_configILj256ELj13ELNS0_17block_load_methodE3ELS4_3ELS4_3ELNS0_20block_scan_algorithmE0ELj4294967295EEENS1_25partition_config_selectorILNS1_17partition_subalgoE3EjNS0_10empty_typeEbEEZZNS1_14partition_implILS8_3ELb0ES6_jNS0_17counting_iteratorIjlEEPS9_SE_NS0_5tupleIJPjSE_EEENSF_IJSE_SE_EEES9_SG_JZNS1_25segmented_radix_sort_implINS0_14default_configELb0EPKbPbPKlPlN2at6native12_GLOBAL__N_18offset_tEEE10hipError_tPvRmT1_PNSt15iterator_traitsISY_E10value_typeET2_T3_PNSZ_IS14_E10value_typeET4_jRbjT5_S1A_jjP12ihipStream_tbEUljE_EEESV_SW_SX_S14_S18_S1A_T6_T7_T9_mT8_S1C_bDpT10_ENKUlT_T0_E_clISt17integral_constantIbLb1EES1O_IbLb0EEEEDaS1K_S1L_EUlS1K_E_NS1_11comp_targetILNS1_3genE9ELNS1_11target_archE1100ELNS1_3gpuE3ELNS1_3repE0EEENS1_30default_config_static_selectorELNS0_4arch9wavefront6targetE0EEEvSY_.kd
    .uniform_work_group_size: 1
    .uses_dynamic_stack: false
    .vgpr_count:     57
    .vgpr_spill_count: 0
    .wavefront_size: 32
    .workgroup_processor_mode: 1
  - .args:
      - .offset:         0
        .size:           144
        .value_kind:     by_value
    .group_segment_fixed_size: 0
    .kernarg_segment_align: 8
    .kernarg_segment_size: 144
    .language:       OpenCL C
    .language_version:
      - 2
      - 0
    .max_flat_workgroup_size: 256
    .name:           _ZN7rocprim17ROCPRIM_400000_NS6detail17trampoline_kernelINS0_13select_configILj256ELj13ELNS0_17block_load_methodE3ELS4_3ELS4_3ELNS0_20block_scan_algorithmE0ELj4294967295EEENS1_25partition_config_selectorILNS1_17partition_subalgoE3EjNS0_10empty_typeEbEEZZNS1_14partition_implILS8_3ELb0ES6_jNS0_17counting_iteratorIjlEEPS9_SE_NS0_5tupleIJPjSE_EEENSF_IJSE_SE_EEES9_SG_JZNS1_25segmented_radix_sort_implINS0_14default_configELb0EPKbPbPKlPlN2at6native12_GLOBAL__N_18offset_tEEE10hipError_tPvRmT1_PNSt15iterator_traitsISY_E10value_typeET2_T3_PNSZ_IS14_E10value_typeET4_jRbjT5_S1A_jjP12ihipStream_tbEUljE_EEESV_SW_SX_S14_S18_S1A_T6_T7_T9_mT8_S1C_bDpT10_ENKUlT_T0_E_clISt17integral_constantIbLb1EES1O_IbLb0EEEEDaS1K_S1L_EUlS1K_E_NS1_11comp_targetILNS1_3genE8ELNS1_11target_archE1030ELNS1_3gpuE2ELNS1_3repE0EEENS1_30default_config_static_selectorELNS0_4arch9wavefront6targetE0EEEvSY_
    .private_segment_fixed_size: 0
    .sgpr_count:     0
    .sgpr_spill_count: 0
    .symbol:         _ZN7rocprim17ROCPRIM_400000_NS6detail17trampoline_kernelINS0_13select_configILj256ELj13ELNS0_17block_load_methodE3ELS4_3ELS4_3ELNS0_20block_scan_algorithmE0ELj4294967295EEENS1_25partition_config_selectorILNS1_17partition_subalgoE3EjNS0_10empty_typeEbEEZZNS1_14partition_implILS8_3ELb0ES6_jNS0_17counting_iteratorIjlEEPS9_SE_NS0_5tupleIJPjSE_EEENSF_IJSE_SE_EEES9_SG_JZNS1_25segmented_radix_sort_implINS0_14default_configELb0EPKbPbPKlPlN2at6native12_GLOBAL__N_18offset_tEEE10hipError_tPvRmT1_PNSt15iterator_traitsISY_E10value_typeET2_T3_PNSZ_IS14_E10value_typeET4_jRbjT5_S1A_jjP12ihipStream_tbEUljE_EEESV_SW_SX_S14_S18_S1A_T6_T7_T9_mT8_S1C_bDpT10_ENKUlT_T0_E_clISt17integral_constantIbLb1EES1O_IbLb0EEEEDaS1K_S1L_EUlS1K_E_NS1_11comp_targetILNS1_3genE8ELNS1_11target_archE1030ELNS1_3gpuE2ELNS1_3repE0EEENS1_30default_config_static_selectorELNS0_4arch9wavefront6targetE0EEEvSY_.kd
    .uniform_work_group_size: 1
    .uses_dynamic_stack: false
    .vgpr_count:     0
    .vgpr_spill_count: 0
    .wavefront_size: 32
    .workgroup_processor_mode: 1
  - .args:
      - .offset:         0
        .size:           152
        .value_kind:     by_value
    .group_segment_fixed_size: 0
    .kernarg_segment_align: 8
    .kernarg_segment_size: 152
    .language:       OpenCL C
    .language_version:
      - 2
      - 0
    .max_flat_workgroup_size: 256
    .name:           _ZN7rocprim17ROCPRIM_400000_NS6detail17trampoline_kernelINS0_13select_configILj256ELj13ELNS0_17block_load_methodE3ELS4_3ELS4_3ELNS0_20block_scan_algorithmE0ELj4294967295EEENS1_25partition_config_selectorILNS1_17partition_subalgoE3EjNS0_10empty_typeEbEEZZNS1_14partition_implILS8_3ELb0ES6_jNS0_17counting_iteratorIjlEEPS9_SE_NS0_5tupleIJPjSE_EEENSF_IJSE_SE_EEES9_SG_JZNS1_25segmented_radix_sort_implINS0_14default_configELb0EPKbPbPKlPlN2at6native12_GLOBAL__N_18offset_tEEE10hipError_tPvRmT1_PNSt15iterator_traitsISY_E10value_typeET2_T3_PNSZ_IS14_E10value_typeET4_jRbjT5_S1A_jjP12ihipStream_tbEUljE_EEESV_SW_SX_S14_S18_S1A_T6_T7_T9_mT8_S1C_bDpT10_ENKUlT_T0_E_clISt17integral_constantIbLb0EES1O_IbLb1EEEEDaS1K_S1L_EUlS1K_E_NS1_11comp_targetILNS1_3genE0ELNS1_11target_archE4294967295ELNS1_3gpuE0ELNS1_3repE0EEENS1_30default_config_static_selectorELNS0_4arch9wavefront6targetE0EEEvSY_
    .private_segment_fixed_size: 0
    .sgpr_count:     0
    .sgpr_spill_count: 0
    .symbol:         _ZN7rocprim17ROCPRIM_400000_NS6detail17trampoline_kernelINS0_13select_configILj256ELj13ELNS0_17block_load_methodE3ELS4_3ELS4_3ELNS0_20block_scan_algorithmE0ELj4294967295EEENS1_25partition_config_selectorILNS1_17partition_subalgoE3EjNS0_10empty_typeEbEEZZNS1_14partition_implILS8_3ELb0ES6_jNS0_17counting_iteratorIjlEEPS9_SE_NS0_5tupleIJPjSE_EEENSF_IJSE_SE_EEES9_SG_JZNS1_25segmented_radix_sort_implINS0_14default_configELb0EPKbPbPKlPlN2at6native12_GLOBAL__N_18offset_tEEE10hipError_tPvRmT1_PNSt15iterator_traitsISY_E10value_typeET2_T3_PNSZ_IS14_E10value_typeET4_jRbjT5_S1A_jjP12ihipStream_tbEUljE_EEESV_SW_SX_S14_S18_S1A_T6_T7_T9_mT8_S1C_bDpT10_ENKUlT_T0_E_clISt17integral_constantIbLb0EES1O_IbLb1EEEEDaS1K_S1L_EUlS1K_E_NS1_11comp_targetILNS1_3genE0ELNS1_11target_archE4294967295ELNS1_3gpuE0ELNS1_3repE0EEENS1_30default_config_static_selectorELNS0_4arch9wavefront6targetE0EEEvSY_.kd
    .uniform_work_group_size: 1
    .uses_dynamic_stack: false
    .vgpr_count:     0
    .vgpr_spill_count: 0
    .wavefront_size: 32
    .workgroup_processor_mode: 1
  - .args:
      - .offset:         0
        .size:           152
        .value_kind:     by_value
    .group_segment_fixed_size: 0
    .kernarg_segment_align: 8
    .kernarg_segment_size: 152
    .language:       OpenCL C
    .language_version:
      - 2
      - 0
    .max_flat_workgroup_size: 256
    .name:           _ZN7rocprim17ROCPRIM_400000_NS6detail17trampoline_kernelINS0_13select_configILj256ELj13ELNS0_17block_load_methodE3ELS4_3ELS4_3ELNS0_20block_scan_algorithmE0ELj4294967295EEENS1_25partition_config_selectorILNS1_17partition_subalgoE3EjNS0_10empty_typeEbEEZZNS1_14partition_implILS8_3ELb0ES6_jNS0_17counting_iteratorIjlEEPS9_SE_NS0_5tupleIJPjSE_EEENSF_IJSE_SE_EEES9_SG_JZNS1_25segmented_radix_sort_implINS0_14default_configELb0EPKbPbPKlPlN2at6native12_GLOBAL__N_18offset_tEEE10hipError_tPvRmT1_PNSt15iterator_traitsISY_E10value_typeET2_T3_PNSZ_IS14_E10value_typeET4_jRbjT5_S1A_jjP12ihipStream_tbEUljE_EEESV_SW_SX_S14_S18_S1A_T6_T7_T9_mT8_S1C_bDpT10_ENKUlT_T0_E_clISt17integral_constantIbLb0EES1O_IbLb1EEEEDaS1K_S1L_EUlS1K_E_NS1_11comp_targetILNS1_3genE5ELNS1_11target_archE942ELNS1_3gpuE9ELNS1_3repE0EEENS1_30default_config_static_selectorELNS0_4arch9wavefront6targetE0EEEvSY_
    .private_segment_fixed_size: 0
    .sgpr_count:     0
    .sgpr_spill_count: 0
    .symbol:         _ZN7rocprim17ROCPRIM_400000_NS6detail17trampoline_kernelINS0_13select_configILj256ELj13ELNS0_17block_load_methodE3ELS4_3ELS4_3ELNS0_20block_scan_algorithmE0ELj4294967295EEENS1_25partition_config_selectorILNS1_17partition_subalgoE3EjNS0_10empty_typeEbEEZZNS1_14partition_implILS8_3ELb0ES6_jNS0_17counting_iteratorIjlEEPS9_SE_NS0_5tupleIJPjSE_EEENSF_IJSE_SE_EEES9_SG_JZNS1_25segmented_radix_sort_implINS0_14default_configELb0EPKbPbPKlPlN2at6native12_GLOBAL__N_18offset_tEEE10hipError_tPvRmT1_PNSt15iterator_traitsISY_E10value_typeET2_T3_PNSZ_IS14_E10value_typeET4_jRbjT5_S1A_jjP12ihipStream_tbEUljE_EEESV_SW_SX_S14_S18_S1A_T6_T7_T9_mT8_S1C_bDpT10_ENKUlT_T0_E_clISt17integral_constantIbLb0EES1O_IbLb1EEEEDaS1K_S1L_EUlS1K_E_NS1_11comp_targetILNS1_3genE5ELNS1_11target_archE942ELNS1_3gpuE9ELNS1_3repE0EEENS1_30default_config_static_selectorELNS0_4arch9wavefront6targetE0EEEvSY_.kd
    .uniform_work_group_size: 1
    .uses_dynamic_stack: false
    .vgpr_count:     0
    .vgpr_spill_count: 0
    .wavefront_size: 32
    .workgroup_processor_mode: 1
  - .args:
      - .offset:         0
        .size:           152
        .value_kind:     by_value
    .group_segment_fixed_size: 0
    .kernarg_segment_align: 8
    .kernarg_segment_size: 152
    .language:       OpenCL C
    .language_version:
      - 2
      - 0
    .max_flat_workgroup_size: 256
    .name:           _ZN7rocprim17ROCPRIM_400000_NS6detail17trampoline_kernelINS0_13select_configILj256ELj13ELNS0_17block_load_methodE3ELS4_3ELS4_3ELNS0_20block_scan_algorithmE0ELj4294967295EEENS1_25partition_config_selectorILNS1_17partition_subalgoE3EjNS0_10empty_typeEbEEZZNS1_14partition_implILS8_3ELb0ES6_jNS0_17counting_iteratorIjlEEPS9_SE_NS0_5tupleIJPjSE_EEENSF_IJSE_SE_EEES9_SG_JZNS1_25segmented_radix_sort_implINS0_14default_configELb0EPKbPbPKlPlN2at6native12_GLOBAL__N_18offset_tEEE10hipError_tPvRmT1_PNSt15iterator_traitsISY_E10value_typeET2_T3_PNSZ_IS14_E10value_typeET4_jRbjT5_S1A_jjP12ihipStream_tbEUljE_EEESV_SW_SX_S14_S18_S1A_T6_T7_T9_mT8_S1C_bDpT10_ENKUlT_T0_E_clISt17integral_constantIbLb0EES1O_IbLb1EEEEDaS1K_S1L_EUlS1K_E_NS1_11comp_targetILNS1_3genE4ELNS1_11target_archE910ELNS1_3gpuE8ELNS1_3repE0EEENS1_30default_config_static_selectorELNS0_4arch9wavefront6targetE0EEEvSY_
    .private_segment_fixed_size: 0
    .sgpr_count:     0
    .sgpr_spill_count: 0
    .symbol:         _ZN7rocprim17ROCPRIM_400000_NS6detail17trampoline_kernelINS0_13select_configILj256ELj13ELNS0_17block_load_methodE3ELS4_3ELS4_3ELNS0_20block_scan_algorithmE0ELj4294967295EEENS1_25partition_config_selectorILNS1_17partition_subalgoE3EjNS0_10empty_typeEbEEZZNS1_14partition_implILS8_3ELb0ES6_jNS0_17counting_iteratorIjlEEPS9_SE_NS0_5tupleIJPjSE_EEENSF_IJSE_SE_EEES9_SG_JZNS1_25segmented_radix_sort_implINS0_14default_configELb0EPKbPbPKlPlN2at6native12_GLOBAL__N_18offset_tEEE10hipError_tPvRmT1_PNSt15iterator_traitsISY_E10value_typeET2_T3_PNSZ_IS14_E10value_typeET4_jRbjT5_S1A_jjP12ihipStream_tbEUljE_EEESV_SW_SX_S14_S18_S1A_T6_T7_T9_mT8_S1C_bDpT10_ENKUlT_T0_E_clISt17integral_constantIbLb0EES1O_IbLb1EEEEDaS1K_S1L_EUlS1K_E_NS1_11comp_targetILNS1_3genE4ELNS1_11target_archE910ELNS1_3gpuE8ELNS1_3repE0EEENS1_30default_config_static_selectorELNS0_4arch9wavefront6targetE0EEEvSY_.kd
    .uniform_work_group_size: 1
    .uses_dynamic_stack: false
    .vgpr_count:     0
    .vgpr_spill_count: 0
    .wavefront_size: 32
    .workgroup_processor_mode: 1
  - .args:
      - .offset:         0
        .size:           152
        .value_kind:     by_value
    .group_segment_fixed_size: 0
    .kernarg_segment_align: 8
    .kernarg_segment_size: 152
    .language:       OpenCL C
    .language_version:
      - 2
      - 0
    .max_flat_workgroup_size: 256
    .name:           _ZN7rocprim17ROCPRIM_400000_NS6detail17trampoline_kernelINS0_13select_configILj256ELj13ELNS0_17block_load_methodE3ELS4_3ELS4_3ELNS0_20block_scan_algorithmE0ELj4294967295EEENS1_25partition_config_selectorILNS1_17partition_subalgoE3EjNS0_10empty_typeEbEEZZNS1_14partition_implILS8_3ELb0ES6_jNS0_17counting_iteratorIjlEEPS9_SE_NS0_5tupleIJPjSE_EEENSF_IJSE_SE_EEES9_SG_JZNS1_25segmented_radix_sort_implINS0_14default_configELb0EPKbPbPKlPlN2at6native12_GLOBAL__N_18offset_tEEE10hipError_tPvRmT1_PNSt15iterator_traitsISY_E10value_typeET2_T3_PNSZ_IS14_E10value_typeET4_jRbjT5_S1A_jjP12ihipStream_tbEUljE_EEESV_SW_SX_S14_S18_S1A_T6_T7_T9_mT8_S1C_bDpT10_ENKUlT_T0_E_clISt17integral_constantIbLb0EES1O_IbLb1EEEEDaS1K_S1L_EUlS1K_E_NS1_11comp_targetILNS1_3genE3ELNS1_11target_archE908ELNS1_3gpuE7ELNS1_3repE0EEENS1_30default_config_static_selectorELNS0_4arch9wavefront6targetE0EEEvSY_
    .private_segment_fixed_size: 0
    .sgpr_count:     0
    .sgpr_spill_count: 0
    .symbol:         _ZN7rocprim17ROCPRIM_400000_NS6detail17trampoline_kernelINS0_13select_configILj256ELj13ELNS0_17block_load_methodE3ELS4_3ELS4_3ELNS0_20block_scan_algorithmE0ELj4294967295EEENS1_25partition_config_selectorILNS1_17partition_subalgoE3EjNS0_10empty_typeEbEEZZNS1_14partition_implILS8_3ELb0ES6_jNS0_17counting_iteratorIjlEEPS9_SE_NS0_5tupleIJPjSE_EEENSF_IJSE_SE_EEES9_SG_JZNS1_25segmented_radix_sort_implINS0_14default_configELb0EPKbPbPKlPlN2at6native12_GLOBAL__N_18offset_tEEE10hipError_tPvRmT1_PNSt15iterator_traitsISY_E10value_typeET2_T3_PNSZ_IS14_E10value_typeET4_jRbjT5_S1A_jjP12ihipStream_tbEUljE_EEESV_SW_SX_S14_S18_S1A_T6_T7_T9_mT8_S1C_bDpT10_ENKUlT_T0_E_clISt17integral_constantIbLb0EES1O_IbLb1EEEEDaS1K_S1L_EUlS1K_E_NS1_11comp_targetILNS1_3genE3ELNS1_11target_archE908ELNS1_3gpuE7ELNS1_3repE0EEENS1_30default_config_static_selectorELNS0_4arch9wavefront6targetE0EEEvSY_.kd
    .uniform_work_group_size: 1
    .uses_dynamic_stack: false
    .vgpr_count:     0
    .vgpr_spill_count: 0
    .wavefront_size: 32
    .workgroup_processor_mode: 1
  - .args:
      - .offset:         0
        .size:           152
        .value_kind:     by_value
    .group_segment_fixed_size: 0
    .kernarg_segment_align: 8
    .kernarg_segment_size: 152
    .language:       OpenCL C
    .language_version:
      - 2
      - 0
    .max_flat_workgroup_size: 256
    .name:           _ZN7rocprim17ROCPRIM_400000_NS6detail17trampoline_kernelINS0_13select_configILj256ELj13ELNS0_17block_load_methodE3ELS4_3ELS4_3ELNS0_20block_scan_algorithmE0ELj4294967295EEENS1_25partition_config_selectorILNS1_17partition_subalgoE3EjNS0_10empty_typeEbEEZZNS1_14partition_implILS8_3ELb0ES6_jNS0_17counting_iteratorIjlEEPS9_SE_NS0_5tupleIJPjSE_EEENSF_IJSE_SE_EEES9_SG_JZNS1_25segmented_radix_sort_implINS0_14default_configELb0EPKbPbPKlPlN2at6native12_GLOBAL__N_18offset_tEEE10hipError_tPvRmT1_PNSt15iterator_traitsISY_E10value_typeET2_T3_PNSZ_IS14_E10value_typeET4_jRbjT5_S1A_jjP12ihipStream_tbEUljE_EEESV_SW_SX_S14_S18_S1A_T6_T7_T9_mT8_S1C_bDpT10_ENKUlT_T0_E_clISt17integral_constantIbLb0EES1O_IbLb1EEEEDaS1K_S1L_EUlS1K_E_NS1_11comp_targetILNS1_3genE2ELNS1_11target_archE906ELNS1_3gpuE6ELNS1_3repE0EEENS1_30default_config_static_selectorELNS0_4arch9wavefront6targetE0EEEvSY_
    .private_segment_fixed_size: 0
    .sgpr_count:     0
    .sgpr_spill_count: 0
    .symbol:         _ZN7rocprim17ROCPRIM_400000_NS6detail17trampoline_kernelINS0_13select_configILj256ELj13ELNS0_17block_load_methodE3ELS4_3ELS4_3ELNS0_20block_scan_algorithmE0ELj4294967295EEENS1_25partition_config_selectorILNS1_17partition_subalgoE3EjNS0_10empty_typeEbEEZZNS1_14partition_implILS8_3ELb0ES6_jNS0_17counting_iteratorIjlEEPS9_SE_NS0_5tupleIJPjSE_EEENSF_IJSE_SE_EEES9_SG_JZNS1_25segmented_radix_sort_implINS0_14default_configELb0EPKbPbPKlPlN2at6native12_GLOBAL__N_18offset_tEEE10hipError_tPvRmT1_PNSt15iterator_traitsISY_E10value_typeET2_T3_PNSZ_IS14_E10value_typeET4_jRbjT5_S1A_jjP12ihipStream_tbEUljE_EEESV_SW_SX_S14_S18_S1A_T6_T7_T9_mT8_S1C_bDpT10_ENKUlT_T0_E_clISt17integral_constantIbLb0EES1O_IbLb1EEEEDaS1K_S1L_EUlS1K_E_NS1_11comp_targetILNS1_3genE2ELNS1_11target_archE906ELNS1_3gpuE6ELNS1_3repE0EEENS1_30default_config_static_selectorELNS0_4arch9wavefront6targetE0EEEvSY_.kd
    .uniform_work_group_size: 1
    .uses_dynamic_stack: false
    .vgpr_count:     0
    .vgpr_spill_count: 0
    .wavefront_size: 32
    .workgroup_processor_mode: 1
  - .args:
      - .offset:         0
        .size:           152
        .value_kind:     by_value
    .group_segment_fixed_size: 0
    .kernarg_segment_align: 8
    .kernarg_segment_size: 152
    .language:       OpenCL C
    .language_version:
      - 2
      - 0
    .max_flat_workgroup_size: 256
    .name:           _ZN7rocprim17ROCPRIM_400000_NS6detail17trampoline_kernelINS0_13select_configILj256ELj13ELNS0_17block_load_methodE3ELS4_3ELS4_3ELNS0_20block_scan_algorithmE0ELj4294967295EEENS1_25partition_config_selectorILNS1_17partition_subalgoE3EjNS0_10empty_typeEbEEZZNS1_14partition_implILS8_3ELb0ES6_jNS0_17counting_iteratorIjlEEPS9_SE_NS0_5tupleIJPjSE_EEENSF_IJSE_SE_EEES9_SG_JZNS1_25segmented_radix_sort_implINS0_14default_configELb0EPKbPbPKlPlN2at6native12_GLOBAL__N_18offset_tEEE10hipError_tPvRmT1_PNSt15iterator_traitsISY_E10value_typeET2_T3_PNSZ_IS14_E10value_typeET4_jRbjT5_S1A_jjP12ihipStream_tbEUljE_EEESV_SW_SX_S14_S18_S1A_T6_T7_T9_mT8_S1C_bDpT10_ENKUlT_T0_E_clISt17integral_constantIbLb0EES1O_IbLb1EEEEDaS1K_S1L_EUlS1K_E_NS1_11comp_targetILNS1_3genE10ELNS1_11target_archE1200ELNS1_3gpuE4ELNS1_3repE0EEENS1_30default_config_static_selectorELNS0_4arch9wavefront6targetE0EEEvSY_
    .private_segment_fixed_size: 0
    .sgpr_count:     0
    .sgpr_spill_count: 0
    .symbol:         _ZN7rocprim17ROCPRIM_400000_NS6detail17trampoline_kernelINS0_13select_configILj256ELj13ELNS0_17block_load_methodE3ELS4_3ELS4_3ELNS0_20block_scan_algorithmE0ELj4294967295EEENS1_25partition_config_selectorILNS1_17partition_subalgoE3EjNS0_10empty_typeEbEEZZNS1_14partition_implILS8_3ELb0ES6_jNS0_17counting_iteratorIjlEEPS9_SE_NS0_5tupleIJPjSE_EEENSF_IJSE_SE_EEES9_SG_JZNS1_25segmented_radix_sort_implINS0_14default_configELb0EPKbPbPKlPlN2at6native12_GLOBAL__N_18offset_tEEE10hipError_tPvRmT1_PNSt15iterator_traitsISY_E10value_typeET2_T3_PNSZ_IS14_E10value_typeET4_jRbjT5_S1A_jjP12ihipStream_tbEUljE_EEESV_SW_SX_S14_S18_S1A_T6_T7_T9_mT8_S1C_bDpT10_ENKUlT_T0_E_clISt17integral_constantIbLb0EES1O_IbLb1EEEEDaS1K_S1L_EUlS1K_E_NS1_11comp_targetILNS1_3genE10ELNS1_11target_archE1200ELNS1_3gpuE4ELNS1_3repE0EEENS1_30default_config_static_selectorELNS0_4arch9wavefront6targetE0EEEvSY_.kd
    .uniform_work_group_size: 1
    .uses_dynamic_stack: false
    .vgpr_count:     0
    .vgpr_spill_count: 0
    .wavefront_size: 32
    .workgroup_processor_mode: 1
  - .args:
      - .offset:         0
        .size:           152
        .value_kind:     by_value
    .group_segment_fixed_size: 13324
    .kernarg_segment_align: 8
    .kernarg_segment_size: 152
    .language:       OpenCL C
    .language_version:
      - 2
      - 0
    .max_flat_workgroup_size: 256
    .name:           _ZN7rocprim17ROCPRIM_400000_NS6detail17trampoline_kernelINS0_13select_configILj256ELj13ELNS0_17block_load_methodE3ELS4_3ELS4_3ELNS0_20block_scan_algorithmE0ELj4294967295EEENS1_25partition_config_selectorILNS1_17partition_subalgoE3EjNS0_10empty_typeEbEEZZNS1_14partition_implILS8_3ELb0ES6_jNS0_17counting_iteratorIjlEEPS9_SE_NS0_5tupleIJPjSE_EEENSF_IJSE_SE_EEES9_SG_JZNS1_25segmented_radix_sort_implINS0_14default_configELb0EPKbPbPKlPlN2at6native12_GLOBAL__N_18offset_tEEE10hipError_tPvRmT1_PNSt15iterator_traitsISY_E10value_typeET2_T3_PNSZ_IS14_E10value_typeET4_jRbjT5_S1A_jjP12ihipStream_tbEUljE_EEESV_SW_SX_S14_S18_S1A_T6_T7_T9_mT8_S1C_bDpT10_ENKUlT_T0_E_clISt17integral_constantIbLb0EES1O_IbLb1EEEEDaS1K_S1L_EUlS1K_E_NS1_11comp_targetILNS1_3genE9ELNS1_11target_archE1100ELNS1_3gpuE3ELNS1_3repE0EEENS1_30default_config_static_selectorELNS0_4arch9wavefront6targetE0EEEvSY_
    .private_segment_fixed_size: 0
    .sgpr_count:     28
    .sgpr_spill_count: 0
    .symbol:         _ZN7rocprim17ROCPRIM_400000_NS6detail17trampoline_kernelINS0_13select_configILj256ELj13ELNS0_17block_load_methodE3ELS4_3ELS4_3ELNS0_20block_scan_algorithmE0ELj4294967295EEENS1_25partition_config_selectorILNS1_17partition_subalgoE3EjNS0_10empty_typeEbEEZZNS1_14partition_implILS8_3ELb0ES6_jNS0_17counting_iteratorIjlEEPS9_SE_NS0_5tupleIJPjSE_EEENSF_IJSE_SE_EEES9_SG_JZNS1_25segmented_radix_sort_implINS0_14default_configELb0EPKbPbPKlPlN2at6native12_GLOBAL__N_18offset_tEEE10hipError_tPvRmT1_PNSt15iterator_traitsISY_E10value_typeET2_T3_PNSZ_IS14_E10value_typeET4_jRbjT5_S1A_jjP12ihipStream_tbEUljE_EEESV_SW_SX_S14_S18_S1A_T6_T7_T9_mT8_S1C_bDpT10_ENKUlT_T0_E_clISt17integral_constantIbLb0EES1O_IbLb1EEEEDaS1K_S1L_EUlS1K_E_NS1_11comp_targetILNS1_3genE9ELNS1_11target_archE1100ELNS1_3gpuE3ELNS1_3repE0EEENS1_30default_config_static_selectorELNS0_4arch9wavefront6targetE0EEEvSY_.kd
    .uniform_work_group_size: 1
    .uses_dynamic_stack: false
    .vgpr_count:     60
    .vgpr_spill_count: 0
    .wavefront_size: 32
    .workgroup_processor_mode: 1
  - .args:
      - .offset:         0
        .size:           152
        .value_kind:     by_value
    .group_segment_fixed_size: 0
    .kernarg_segment_align: 8
    .kernarg_segment_size: 152
    .language:       OpenCL C
    .language_version:
      - 2
      - 0
    .max_flat_workgroup_size: 256
    .name:           _ZN7rocprim17ROCPRIM_400000_NS6detail17trampoline_kernelINS0_13select_configILj256ELj13ELNS0_17block_load_methodE3ELS4_3ELS4_3ELNS0_20block_scan_algorithmE0ELj4294967295EEENS1_25partition_config_selectorILNS1_17partition_subalgoE3EjNS0_10empty_typeEbEEZZNS1_14partition_implILS8_3ELb0ES6_jNS0_17counting_iteratorIjlEEPS9_SE_NS0_5tupleIJPjSE_EEENSF_IJSE_SE_EEES9_SG_JZNS1_25segmented_radix_sort_implINS0_14default_configELb0EPKbPbPKlPlN2at6native12_GLOBAL__N_18offset_tEEE10hipError_tPvRmT1_PNSt15iterator_traitsISY_E10value_typeET2_T3_PNSZ_IS14_E10value_typeET4_jRbjT5_S1A_jjP12ihipStream_tbEUljE_EEESV_SW_SX_S14_S18_S1A_T6_T7_T9_mT8_S1C_bDpT10_ENKUlT_T0_E_clISt17integral_constantIbLb0EES1O_IbLb1EEEEDaS1K_S1L_EUlS1K_E_NS1_11comp_targetILNS1_3genE8ELNS1_11target_archE1030ELNS1_3gpuE2ELNS1_3repE0EEENS1_30default_config_static_selectorELNS0_4arch9wavefront6targetE0EEEvSY_
    .private_segment_fixed_size: 0
    .sgpr_count:     0
    .sgpr_spill_count: 0
    .symbol:         _ZN7rocprim17ROCPRIM_400000_NS6detail17trampoline_kernelINS0_13select_configILj256ELj13ELNS0_17block_load_methodE3ELS4_3ELS4_3ELNS0_20block_scan_algorithmE0ELj4294967295EEENS1_25partition_config_selectorILNS1_17partition_subalgoE3EjNS0_10empty_typeEbEEZZNS1_14partition_implILS8_3ELb0ES6_jNS0_17counting_iteratorIjlEEPS9_SE_NS0_5tupleIJPjSE_EEENSF_IJSE_SE_EEES9_SG_JZNS1_25segmented_radix_sort_implINS0_14default_configELb0EPKbPbPKlPlN2at6native12_GLOBAL__N_18offset_tEEE10hipError_tPvRmT1_PNSt15iterator_traitsISY_E10value_typeET2_T3_PNSZ_IS14_E10value_typeET4_jRbjT5_S1A_jjP12ihipStream_tbEUljE_EEESV_SW_SX_S14_S18_S1A_T6_T7_T9_mT8_S1C_bDpT10_ENKUlT_T0_E_clISt17integral_constantIbLb0EES1O_IbLb1EEEEDaS1K_S1L_EUlS1K_E_NS1_11comp_targetILNS1_3genE8ELNS1_11target_archE1030ELNS1_3gpuE2ELNS1_3repE0EEENS1_30default_config_static_selectorELNS0_4arch9wavefront6targetE0EEEvSY_.kd
    .uniform_work_group_size: 1
    .uses_dynamic_stack: false
    .vgpr_count:     0
    .vgpr_spill_count: 0
    .wavefront_size: 32
    .workgroup_processor_mode: 1
  - .args:
      - .offset:         0
        .size:           96
        .value_kind:     by_value
    .group_segment_fixed_size: 0
    .kernarg_segment_align: 8
    .kernarg_segment_size: 96
    .language:       OpenCL C
    .language_version:
      - 2
      - 0
    .max_flat_workgroup_size: 256
    .name:           _ZN7rocprim17ROCPRIM_400000_NS6detail17trampoline_kernelINS0_14default_configENS1_36segmented_radix_sort_config_selectorIblEEZNS1_25segmented_radix_sort_implIS3_Lb0EPKbPbPKlPlN2at6native12_GLOBAL__N_18offset_tEEE10hipError_tPvRmT1_PNSt15iterator_traitsISK_E10value_typeET2_T3_PNSL_ISQ_E10value_typeET4_jRbjT5_SW_jjP12ihipStream_tbEUlT_E_NS1_11comp_targetILNS1_3genE0ELNS1_11target_archE4294967295ELNS1_3gpuE0ELNS1_3repE0EEENS1_30default_config_static_selectorELNS0_4arch9wavefront6targetE0EEEvSK_
    .private_segment_fixed_size: 0
    .sgpr_count:     0
    .sgpr_spill_count: 0
    .symbol:         _ZN7rocprim17ROCPRIM_400000_NS6detail17trampoline_kernelINS0_14default_configENS1_36segmented_radix_sort_config_selectorIblEEZNS1_25segmented_radix_sort_implIS3_Lb0EPKbPbPKlPlN2at6native12_GLOBAL__N_18offset_tEEE10hipError_tPvRmT1_PNSt15iterator_traitsISK_E10value_typeET2_T3_PNSL_ISQ_E10value_typeET4_jRbjT5_SW_jjP12ihipStream_tbEUlT_E_NS1_11comp_targetILNS1_3genE0ELNS1_11target_archE4294967295ELNS1_3gpuE0ELNS1_3repE0EEENS1_30default_config_static_selectorELNS0_4arch9wavefront6targetE0EEEvSK_.kd
    .uniform_work_group_size: 1
    .uses_dynamic_stack: false
    .vgpr_count:     0
    .vgpr_spill_count: 0
    .wavefront_size: 32
    .workgroup_processor_mode: 1
  - .args:
      - .offset:         0
        .size:           96
        .value_kind:     by_value
    .group_segment_fixed_size: 0
    .kernarg_segment_align: 8
    .kernarg_segment_size: 96
    .language:       OpenCL C
    .language_version:
      - 2
      - 0
    .max_flat_workgroup_size: 256
    .name:           _ZN7rocprim17ROCPRIM_400000_NS6detail17trampoline_kernelINS0_14default_configENS1_36segmented_radix_sort_config_selectorIblEEZNS1_25segmented_radix_sort_implIS3_Lb0EPKbPbPKlPlN2at6native12_GLOBAL__N_18offset_tEEE10hipError_tPvRmT1_PNSt15iterator_traitsISK_E10value_typeET2_T3_PNSL_ISQ_E10value_typeET4_jRbjT5_SW_jjP12ihipStream_tbEUlT_E_NS1_11comp_targetILNS1_3genE5ELNS1_11target_archE942ELNS1_3gpuE9ELNS1_3repE0EEENS1_30default_config_static_selectorELNS0_4arch9wavefront6targetE0EEEvSK_
    .private_segment_fixed_size: 0
    .sgpr_count:     0
    .sgpr_spill_count: 0
    .symbol:         _ZN7rocprim17ROCPRIM_400000_NS6detail17trampoline_kernelINS0_14default_configENS1_36segmented_radix_sort_config_selectorIblEEZNS1_25segmented_radix_sort_implIS3_Lb0EPKbPbPKlPlN2at6native12_GLOBAL__N_18offset_tEEE10hipError_tPvRmT1_PNSt15iterator_traitsISK_E10value_typeET2_T3_PNSL_ISQ_E10value_typeET4_jRbjT5_SW_jjP12ihipStream_tbEUlT_E_NS1_11comp_targetILNS1_3genE5ELNS1_11target_archE942ELNS1_3gpuE9ELNS1_3repE0EEENS1_30default_config_static_selectorELNS0_4arch9wavefront6targetE0EEEvSK_.kd
    .uniform_work_group_size: 1
    .uses_dynamic_stack: false
    .vgpr_count:     0
    .vgpr_spill_count: 0
    .wavefront_size: 32
    .workgroup_processor_mode: 1
  - .args:
      - .offset:         0
        .size:           96
        .value_kind:     by_value
    .group_segment_fixed_size: 0
    .kernarg_segment_align: 8
    .kernarg_segment_size: 96
    .language:       OpenCL C
    .language_version:
      - 2
      - 0
    .max_flat_workgroup_size: 256
    .name:           _ZN7rocprim17ROCPRIM_400000_NS6detail17trampoline_kernelINS0_14default_configENS1_36segmented_radix_sort_config_selectorIblEEZNS1_25segmented_radix_sort_implIS3_Lb0EPKbPbPKlPlN2at6native12_GLOBAL__N_18offset_tEEE10hipError_tPvRmT1_PNSt15iterator_traitsISK_E10value_typeET2_T3_PNSL_ISQ_E10value_typeET4_jRbjT5_SW_jjP12ihipStream_tbEUlT_E_NS1_11comp_targetILNS1_3genE4ELNS1_11target_archE910ELNS1_3gpuE8ELNS1_3repE0EEENS1_30default_config_static_selectorELNS0_4arch9wavefront6targetE0EEEvSK_
    .private_segment_fixed_size: 0
    .sgpr_count:     0
    .sgpr_spill_count: 0
    .symbol:         _ZN7rocprim17ROCPRIM_400000_NS6detail17trampoline_kernelINS0_14default_configENS1_36segmented_radix_sort_config_selectorIblEEZNS1_25segmented_radix_sort_implIS3_Lb0EPKbPbPKlPlN2at6native12_GLOBAL__N_18offset_tEEE10hipError_tPvRmT1_PNSt15iterator_traitsISK_E10value_typeET2_T3_PNSL_ISQ_E10value_typeET4_jRbjT5_SW_jjP12ihipStream_tbEUlT_E_NS1_11comp_targetILNS1_3genE4ELNS1_11target_archE910ELNS1_3gpuE8ELNS1_3repE0EEENS1_30default_config_static_selectorELNS0_4arch9wavefront6targetE0EEEvSK_.kd
    .uniform_work_group_size: 1
    .uses_dynamic_stack: false
    .vgpr_count:     0
    .vgpr_spill_count: 0
    .wavefront_size: 32
    .workgroup_processor_mode: 1
  - .args:
      - .offset:         0
        .size:           96
        .value_kind:     by_value
    .group_segment_fixed_size: 0
    .kernarg_segment_align: 8
    .kernarg_segment_size: 96
    .language:       OpenCL C
    .language_version:
      - 2
      - 0
    .max_flat_workgroup_size: 256
    .name:           _ZN7rocprim17ROCPRIM_400000_NS6detail17trampoline_kernelINS0_14default_configENS1_36segmented_radix_sort_config_selectorIblEEZNS1_25segmented_radix_sort_implIS3_Lb0EPKbPbPKlPlN2at6native12_GLOBAL__N_18offset_tEEE10hipError_tPvRmT1_PNSt15iterator_traitsISK_E10value_typeET2_T3_PNSL_ISQ_E10value_typeET4_jRbjT5_SW_jjP12ihipStream_tbEUlT_E_NS1_11comp_targetILNS1_3genE3ELNS1_11target_archE908ELNS1_3gpuE7ELNS1_3repE0EEENS1_30default_config_static_selectorELNS0_4arch9wavefront6targetE0EEEvSK_
    .private_segment_fixed_size: 0
    .sgpr_count:     0
    .sgpr_spill_count: 0
    .symbol:         _ZN7rocprim17ROCPRIM_400000_NS6detail17trampoline_kernelINS0_14default_configENS1_36segmented_radix_sort_config_selectorIblEEZNS1_25segmented_radix_sort_implIS3_Lb0EPKbPbPKlPlN2at6native12_GLOBAL__N_18offset_tEEE10hipError_tPvRmT1_PNSt15iterator_traitsISK_E10value_typeET2_T3_PNSL_ISQ_E10value_typeET4_jRbjT5_SW_jjP12ihipStream_tbEUlT_E_NS1_11comp_targetILNS1_3genE3ELNS1_11target_archE908ELNS1_3gpuE7ELNS1_3repE0EEENS1_30default_config_static_selectorELNS0_4arch9wavefront6targetE0EEEvSK_.kd
    .uniform_work_group_size: 1
    .uses_dynamic_stack: false
    .vgpr_count:     0
    .vgpr_spill_count: 0
    .wavefront_size: 32
    .workgroup_processor_mode: 1
  - .args:
      - .offset:         0
        .size:           96
        .value_kind:     by_value
    .group_segment_fixed_size: 0
    .kernarg_segment_align: 8
    .kernarg_segment_size: 96
    .language:       OpenCL C
    .language_version:
      - 2
      - 0
    .max_flat_workgroup_size: 256
    .name:           _ZN7rocprim17ROCPRIM_400000_NS6detail17trampoline_kernelINS0_14default_configENS1_36segmented_radix_sort_config_selectorIblEEZNS1_25segmented_radix_sort_implIS3_Lb0EPKbPbPKlPlN2at6native12_GLOBAL__N_18offset_tEEE10hipError_tPvRmT1_PNSt15iterator_traitsISK_E10value_typeET2_T3_PNSL_ISQ_E10value_typeET4_jRbjT5_SW_jjP12ihipStream_tbEUlT_E_NS1_11comp_targetILNS1_3genE2ELNS1_11target_archE906ELNS1_3gpuE6ELNS1_3repE0EEENS1_30default_config_static_selectorELNS0_4arch9wavefront6targetE0EEEvSK_
    .private_segment_fixed_size: 0
    .sgpr_count:     0
    .sgpr_spill_count: 0
    .symbol:         _ZN7rocprim17ROCPRIM_400000_NS6detail17trampoline_kernelINS0_14default_configENS1_36segmented_radix_sort_config_selectorIblEEZNS1_25segmented_radix_sort_implIS3_Lb0EPKbPbPKlPlN2at6native12_GLOBAL__N_18offset_tEEE10hipError_tPvRmT1_PNSt15iterator_traitsISK_E10value_typeET2_T3_PNSL_ISQ_E10value_typeET4_jRbjT5_SW_jjP12ihipStream_tbEUlT_E_NS1_11comp_targetILNS1_3genE2ELNS1_11target_archE906ELNS1_3gpuE6ELNS1_3repE0EEENS1_30default_config_static_selectorELNS0_4arch9wavefront6targetE0EEEvSK_.kd
    .uniform_work_group_size: 1
    .uses_dynamic_stack: false
    .vgpr_count:     0
    .vgpr_spill_count: 0
    .wavefront_size: 32
    .workgroup_processor_mode: 1
  - .args:
      - .offset:         0
        .size:           96
        .value_kind:     by_value
    .group_segment_fixed_size: 0
    .kernarg_segment_align: 8
    .kernarg_segment_size: 96
    .language:       OpenCL C
    .language_version:
      - 2
      - 0
    .max_flat_workgroup_size: 256
    .name:           _ZN7rocprim17ROCPRIM_400000_NS6detail17trampoline_kernelINS0_14default_configENS1_36segmented_radix_sort_config_selectorIblEEZNS1_25segmented_radix_sort_implIS3_Lb0EPKbPbPKlPlN2at6native12_GLOBAL__N_18offset_tEEE10hipError_tPvRmT1_PNSt15iterator_traitsISK_E10value_typeET2_T3_PNSL_ISQ_E10value_typeET4_jRbjT5_SW_jjP12ihipStream_tbEUlT_E_NS1_11comp_targetILNS1_3genE10ELNS1_11target_archE1201ELNS1_3gpuE5ELNS1_3repE0EEENS1_30default_config_static_selectorELNS0_4arch9wavefront6targetE0EEEvSK_
    .private_segment_fixed_size: 0
    .sgpr_count:     0
    .sgpr_spill_count: 0
    .symbol:         _ZN7rocprim17ROCPRIM_400000_NS6detail17trampoline_kernelINS0_14default_configENS1_36segmented_radix_sort_config_selectorIblEEZNS1_25segmented_radix_sort_implIS3_Lb0EPKbPbPKlPlN2at6native12_GLOBAL__N_18offset_tEEE10hipError_tPvRmT1_PNSt15iterator_traitsISK_E10value_typeET2_T3_PNSL_ISQ_E10value_typeET4_jRbjT5_SW_jjP12ihipStream_tbEUlT_E_NS1_11comp_targetILNS1_3genE10ELNS1_11target_archE1201ELNS1_3gpuE5ELNS1_3repE0EEENS1_30default_config_static_selectorELNS0_4arch9wavefront6targetE0EEEvSK_.kd
    .uniform_work_group_size: 1
    .uses_dynamic_stack: false
    .vgpr_count:     0
    .vgpr_spill_count: 0
    .wavefront_size: 32
    .workgroup_processor_mode: 1
  - .args:
      - .offset:         0
        .size:           96
        .value_kind:     by_value
    .group_segment_fixed_size: 0
    .kernarg_segment_align: 8
    .kernarg_segment_size: 96
    .language:       OpenCL C
    .language_version:
      - 2
      - 0
    .max_flat_workgroup_size: 128
    .name:           _ZN7rocprim17ROCPRIM_400000_NS6detail17trampoline_kernelINS0_14default_configENS1_36segmented_radix_sort_config_selectorIblEEZNS1_25segmented_radix_sort_implIS3_Lb0EPKbPbPKlPlN2at6native12_GLOBAL__N_18offset_tEEE10hipError_tPvRmT1_PNSt15iterator_traitsISK_E10value_typeET2_T3_PNSL_ISQ_E10value_typeET4_jRbjT5_SW_jjP12ihipStream_tbEUlT_E_NS1_11comp_targetILNS1_3genE10ELNS1_11target_archE1200ELNS1_3gpuE4ELNS1_3repE0EEENS1_30default_config_static_selectorELNS0_4arch9wavefront6targetE0EEEvSK_
    .private_segment_fixed_size: 0
    .sgpr_count:     0
    .sgpr_spill_count: 0
    .symbol:         _ZN7rocprim17ROCPRIM_400000_NS6detail17trampoline_kernelINS0_14default_configENS1_36segmented_radix_sort_config_selectorIblEEZNS1_25segmented_radix_sort_implIS3_Lb0EPKbPbPKlPlN2at6native12_GLOBAL__N_18offset_tEEE10hipError_tPvRmT1_PNSt15iterator_traitsISK_E10value_typeET2_T3_PNSL_ISQ_E10value_typeET4_jRbjT5_SW_jjP12ihipStream_tbEUlT_E_NS1_11comp_targetILNS1_3genE10ELNS1_11target_archE1200ELNS1_3gpuE4ELNS1_3repE0EEENS1_30default_config_static_selectorELNS0_4arch9wavefront6targetE0EEEvSK_.kd
    .uniform_work_group_size: 1
    .uses_dynamic_stack: false
    .vgpr_count:     0
    .vgpr_spill_count: 0
    .wavefront_size: 32
    .workgroup_processor_mode: 1
  - .args:
      - .offset:         0
        .size:           96
        .value_kind:     by_value
      - .offset:         96
        .size:           4
        .value_kind:     hidden_block_count_x
      - .offset:         100
        .size:           4
        .value_kind:     hidden_block_count_y
      - .offset:         104
        .size:           4
        .value_kind:     hidden_block_count_z
      - .offset:         108
        .size:           2
        .value_kind:     hidden_group_size_x
      - .offset:         110
        .size:           2
        .value_kind:     hidden_group_size_y
      - .offset:         112
        .size:           2
        .value_kind:     hidden_group_size_z
      - .offset:         114
        .size:           2
        .value_kind:     hidden_remainder_x
      - .offset:         116
        .size:           2
        .value_kind:     hidden_remainder_y
      - .offset:         118
        .size:           2
        .value_kind:     hidden_remainder_z
      - .offset:         136
        .size:           8
        .value_kind:     hidden_global_offset_x
      - .offset:         144
        .size:           8
        .value_kind:     hidden_global_offset_y
      - .offset:         152
        .size:           8
        .value_kind:     hidden_global_offset_z
      - .offset:         160
        .size:           2
        .value_kind:     hidden_grid_dims
    .group_segment_fixed_size: 17440
    .kernarg_segment_align: 8
    .kernarg_segment_size: 352
    .language:       OpenCL C
    .language_version:
      - 2
      - 0
    .max_flat_workgroup_size: 256
    .name:           _ZN7rocprim17ROCPRIM_400000_NS6detail17trampoline_kernelINS0_14default_configENS1_36segmented_radix_sort_config_selectorIblEEZNS1_25segmented_radix_sort_implIS3_Lb0EPKbPbPKlPlN2at6native12_GLOBAL__N_18offset_tEEE10hipError_tPvRmT1_PNSt15iterator_traitsISK_E10value_typeET2_T3_PNSL_ISQ_E10value_typeET4_jRbjT5_SW_jjP12ihipStream_tbEUlT_E_NS1_11comp_targetILNS1_3genE9ELNS1_11target_archE1100ELNS1_3gpuE3ELNS1_3repE0EEENS1_30default_config_static_selectorELNS0_4arch9wavefront6targetE0EEEvSK_
    .private_segment_fixed_size: 0
    .sgpr_count:     56
    .sgpr_spill_count: 0
    .symbol:         _ZN7rocprim17ROCPRIM_400000_NS6detail17trampoline_kernelINS0_14default_configENS1_36segmented_radix_sort_config_selectorIblEEZNS1_25segmented_radix_sort_implIS3_Lb0EPKbPbPKlPlN2at6native12_GLOBAL__N_18offset_tEEE10hipError_tPvRmT1_PNSt15iterator_traitsISK_E10value_typeET2_T3_PNSL_ISQ_E10value_typeET4_jRbjT5_SW_jjP12ihipStream_tbEUlT_E_NS1_11comp_targetILNS1_3genE9ELNS1_11target_archE1100ELNS1_3gpuE3ELNS1_3repE0EEENS1_30default_config_static_selectorELNS0_4arch9wavefront6targetE0EEEvSK_.kd
    .uniform_work_group_size: 1
    .uses_dynamic_stack: false
    .vgpr_count:     193
    .vgpr_spill_count: 0
    .wavefront_size: 32
    .workgroup_processor_mode: 1
  - .args:
      - .offset:         0
        .size:           96
        .value_kind:     by_value
    .group_segment_fixed_size: 0
    .kernarg_segment_align: 8
    .kernarg_segment_size: 96
    .language:       OpenCL C
    .language_version:
      - 2
      - 0
    .max_flat_workgroup_size: 256
    .name:           _ZN7rocprim17ROCPRIM_400000_NS6detail17trampoline_kernelINS0_14default_configENS1_36segmented_radix_sort_config_selectorIblEEZNS1_25segmented_radix_sort_implIS3_Lb0EPKbPbPKlPlN2at6native12_GLOBAL__N_18offset_tEEE10hipError_tPvRmT1_PNSt15iterator_traitsISK_E10value_typeET2_T3_PNSL_ISQ_E10value_typeET4_jRbjT5_SW_jjP12ihipStream_tbEUlT_E_NS1_11comp_targetILNS1_3genE8ELNS1_11target_archE1030ELNS1_3gpuE2ELNS1_3repE0EEENS1_30default_config_static_selectorELNS0_4arch9wavefront6targetE0EEEvSK_
    .private_segment_fixed_size: 0
    .sgpr_count:     0
    .sgpr_spill_count: 0
    .symbol:         _ZN7rocprim17ROCPRIM_400000_NS6detail17trampoline_kernelINS0_14default_configENS1_36segmented_radix_sort_config_selectorIblEEZNS1_25segmented_radix_sort_implIS3_Lb0EPKbPbPKlPlN2at6native12_GLOBAL__N_18offset_tEEE10hipError_tPvRmT1_PNSt15iterator_traitsISK_E10value_typeET2_T3_PNSL_ISQ_E10value_typeET4_jRbjT5_SW_jjP12ihipStream_tbEUlT_E_NS1_11comp_targetILNS1_3genE8ELNS1_11target_archE1030ELNS1_3gpuE2ELNS1_3repE0EEENS1_30default_config_static_selectorELNS0_4arch9wavefront6targetE0EEEvSK_.kd
    .uniform_work_group_size: 1
    .uses_dynamic_stack: false
    .vgpr_count:     0
    .vgpr_spill_count: 0
    .wavefront_size: 32
    .workgroup_processor_mode: 1
  - .args:
      - .offset:         0
        .size:           88
        .value_kind:     by_value
    .group_segment_fixed_size: 0
    .kernarg_segment_align: 8
    .kernarg_segment_size: 88
    .language:       OpenCL C
    .language_version:
      - 2
      - 0
    .max_flat_workgroup_size: 256
    .name:           _ZN7rocprim17ROCPRIM_400000_NS6detail17trampoline_kernelINS0_14default_configENS1_36segmented_radix_sort_config_selectorIblEEZNS1_25segmented_radix_sort_implIS3_Lb0EPKbPbPKlPlN2at6native12_GLOBAL__N_18offset_tEEE10hipError_tPvRmT1_PNSt15iterator_traitsISK_E10value_typeET2_T3_PNSL_ISQ_E10value_typeET4_jRbjT5_SW_jjP12ihipStream_tbEUlT_E0_NS1_11comp_targetILNS1_3genE0ELNS1_11target_archE4294967295ELNS1_3gpuE0ELNS1_3repE0EEENS1_60segmented_radix_sort_warp_sort_medium_config_static_selectorELNS0_4arch9wavefront6targetE0EEEvSK_
    .private_segment_fixed_size: 0
    .sgpr_count:     0
    .sgpr_spill_count: 0
    .symbol:         _ZN7rocprim17ROCPRIM_400000_NS6detail17trampoline_kernelINS0_14default_configENS1_36segmented_radix_sort_config_selectorIblEEZNS1_25segmented_radix_sort_implIS3_Lb0EPKbPbPKlPlN2at6native12_GLOBAL__N_18offset_tEEE10hipError_tPvRmT1_PNSt15iterator_traitsISK_E10value_typeET2_T3_PNSL_ISQ_E10value_typeET4_jRbjT5_SW_jjP12ihipStream_tbEUlT_E0_NS1_11comp_targetILNS1_3genE0ELNS1_11target_archE4294967295ELNS1_3gpuE0ELNS1_3repE0EEENS1_60segmented_radix_sort_warp_sort_medium_config_static_selectorELNS0_4arch9wavefront6targetE0EEEvSK_.kd
    .uniform_work_group_size: 1
    .uses_dynamic_stack: false
    .vgpr_count:     0
    .vgpr_spill_count: 0
    .wavefront_size: 32
    .workgroup_processor_mode: 1
  - .args:
      - .offset:         0
        .size:           88
        .value_kind:     by_value
    .group_segment_fixed_size: 0
    .kernarg_segment_align: 8
    .kernarg_segment_size: 88
    .language:       OpenCL C
    .language_version:
      - 2
      - 0
    .max_flat_workgroup_size: 256
    .name:           _ZN7rocprim17ROCPRIM_400000_NS6detail17trampoline_kernelINS0_14default_configENS1_36segmented_radix_sort_config_selectorIblEEZNS1_25segmented_radix_sort_implIS3_Lb0EPKbPbPKlPlN2at6native12_GLOBAL__N_18offset_tEEE10hipError_tPvRmT1_PNSt15iterator_traitsISK_E10value_typeET2_T3_PNSL_ISQ_E10value_typeET4_jRbjT5_SW_jjP12ihipStream_tbEUlT_E0_NS1_11comp_targetILNS1_3genE5ELNS1_11target_archE942ELNS1_3gpuE9ELNS1_3repE0EEENS1_60segmented_radix_sort_warp_sort_medium_config_static_selectorELNS0_4arch9wavefront6targetE0EEEvSK_
    .private_segment_fixed_size: 0
    .sgpr_count:     0
    .sgpr_spill_count: 0
    .symbol:         _ZN7rocprim17ROCPRIM_400000_NS6detail17trampoline_kernelINS0_14default_configENS1_36segmented_radix_sort_config_selectorIblEEZNS1_25segmented_radix_sort_implIS3_Lb0EPKbPbPKlPlN2at6native12_GLOBAL__N_18offset_tEEE10hipError_tPvRmT1_PNSt15iterator_traitsISK_E10value_typeET2_T3_PNSL_ISQ_E10value_typeET4_jRbjT5_SW_jjP12ihipStream_tbEUlT_E0_NS1_11comp_targetILNS1_3genE5ELNS1_11target_archE942ELNS1_3gpuE9ELNS1_3repE0EEENS1_60segmented_radix_sort_warp_sort_medium_config_static_selectorELNS0_4arch9wavefront6targetE0EEEvSK_.kd
    .uniform_work_group_size: 1
    .uses_dynamic_stack: false
    .vgpr_count:     0
    .vgpr_spill_count: 0
    .wavefront_size: 32
    .workgroup_processor_mode: 1
  - .args:
      - .offset:         0
        .size:           88
        .value_kind:     by_value
    .group_segment_fixed_size: 0
    .kernarg_segment_align: 8
    .kernarg_segment_size: 88
    .language:       OpenCL C
    .language_version:
      - 2
      - 0
    .max_flat_workgroup_size: 256
    .name:           _ZN7rocprim17ROCPRIM_400000_NS6detail17trampoline_kernelINS0_14default_configENS1_36segmented_radix_sort_config_selectorIblEEZNS1_25segmented_radix_sort_implIS3_Lb0EPKbPbPKlPlN2at6native12_GLOBAL__N_18offset_tEEE10hipError_tPvRmT1_PNSt15iterator_traitsISK_E10value_typeET2_T3_PNSL_ISQ_E10value_typeET4_jRbjT5_SW_jjP12ihipStream_tbEUlT_E0_NS1_11comp_targetILNS1_3genE4ELNS1_11target_archE910ELNS1_3gpuE8ELNS1_3repE0EEENS1_60segmented_radix_sort_warp_sort_medium_config_static_selectorELNS0_4arch9wavefront6targetE0EEEvSK_
    .private_segment_fixed_size: 0
    .sgpr_count:     0
    .sgpr_spill_count: 0
    .symbol:         _ZN7rocprim17ROCPRIM_400000_NS6detail17trampoline_kernelINS0_14default_configENS1_36segmented_radix_sort_config_selectorIblEEZNS1_25segmented_radix_sort_implIS3_Lb0EPKbPbPKlPlN2at6native12_GLOBAL__N_18offset_tEEE10hipError_tPvRmT1_PNSt15iterator_traitsISK_E10value_typeET2_T3_PNSL_ISQ_E10value_typeET4_jRbjT5_SW_jjP12ihipStream_tbEUlT_E0_NS1_11comp_targetILNS1_3genE4ELNS1_11target_archE910ELNS1_3gpuE8ELNS1_3repE0EEENS1_60segmented_radix_sort_warp_sort_medium_config_static_selectorELNS0_4arch9wavefront6targetE0EEEvSK_.kd
    .uniform_work_group_size: 1
    .uses_dynamic_stack: false
    .vgpr_count:     0
    .vgpr_spill_count: 0
    .wavefront_size: 32
    .workgroup_processor_mode: 1
  - .args:
      - .offset:         0
        .size:           88
        .value_kind:     by_value
    .group_segment_fixed_size: 0
    .kernarg_segment_align: 8
    .kernarg_segment_size: 88
    .language:       OpenCL C
    .language_version:
      - 2
      - 0
    .max_flat_workgroup_size: 256
    .name:           _ZN7rocprim17ROCPRIM_400000_NS6detail17trampoline_kernelINS0_14default_configENS1_36segmented_radix_sort_config_selectorIblEEZNS1_25segmented_radix_sort_implIS3_Lb0EPKbPbPKlPlN2at6native12_GLOBAL__N_18offset_tEEE10hipError_tPvRmT1_PNSt15iterator_traitsISK_E10value_typeET2_T3_PNSL_ISQ_E10value_typeET4_jRbjT5_SW_jjP12ihipStream_tbEUlT_E0_NS1_11comp_targetILNS1_3genE3ELNS1_11target_archE908ELNS1_3gpuE7ELNS1_3repE0EEENS1_60segmented_radix_sort_warp_sort_medium_config_static_selectorELNS0_4arch9wavefront6targetE0EEEvSK_
    .private_segment_fixed_size: 0
    .sgpr_count:     0
    .sgpr_spill_count: 0
    .symbol:         _ZN7rocprim17ROCPRIM_400000_NS6detail17trampoline_kernelINS0_14default_configENS1_36segmented_radix_sort_config_selectorIblEEZNS1_25segmented_radix_sort_implIS3_Lb0EPKbPbPKlPlN2at6native12_GLOBAL__N_18offset_tEEE10hipError_tPvRmT1_PNSt15iterator_traitsISK_E10value_typeET2_T3_PNSL_ISQ_E10value_typeET4_jRbjT5_SW_jjP12ihipStream_tbEUlT_E0_NS1_11comp_targetILNS1_3genE3ELNS1_11target_archE908ELNS1_3gpuE7ELNS1_3repE0EEENS1_60segmented_radix_sort_warp_sort_medium_config_static_selectorELNS0_4arch9wavefront6targetE0EEEvSK_.kd
    .uniform_work_group_size: 1
    .uses_dynamic_stack: false
    .vgpr_count:     0
    .vgpr_spill_count: 0
    .wavefront_size: 32
    .workgroup_processor_mode: 1
  - .args:
      - .offset:         0
        .size:           88
        .value_kind:     by_value
    .group_segment_fixed_size: 0
    .kernarg_segment_align: 8
    .kernarg_segment_size: 88
    .language:       OpenCL C
    .language_version:
      - 2
      - 0
    .max_flat_workgroup_size: 256
    .name:           _ZN7rocprim17ROCPRIM_400000_NS6detail17trampoline_kernelINS0_14default_configENS1_36segmented_radix_sort_config_selectorIblEEZNS1_25segmented_radix_sort_implIS3_Lb0EPKbPbPKlPlN2at6native12_GLOBAL__N_18offset_tEEE10hipError_tPvRmT1_PNSt15iterator_traitsISK_E10value_typeET2_T3_PNSL_ISQ_E10value_typeET4_jRbjT5_SW_jjP12ihipStream_tbEUlT_E0_NS1_11comp_targetILNS1_3genE2ELNS1_11target_archE906ELNS1_3gpuE6ELNS1_3repE0EEENS1_60segmented_radix_sort_warp_sort_medium_config_static_selectorELNS0_4arch9wavefront6targetE0EEEvSK_
    .private_segment_fixed_size: 0
    .sgpr_count:     0
    .sgpr_spill_count: 0
    .symbol:         _ZN7rocprim17ROCPRIM_400000_NS6detail17trampoline_kernelINS0_14default_configENS1_36segmented_radix_sort_config_selectorIblEEZNS1_25segmented_radix_sort_implIS3_Lb0EPKbPbPKlPlN2at6native12_GLOBAL__N_18offset_tEEE10hipError_tPvRmT1_PNSt15iterator_traitsISK_E10value_typeET2_T3_PNSL_ISQ_E10value_typeET4_jRbjT5_SW_jjP12ihipStream_tbEUlT_E0_NS1_11comp_targetILNS1_3genE2ELNS1_11target_archE906ELNS1_3gpuE6ELNS1_3repE0EEENS1_60segmented_radix_sort_warp_sort_medium_config_static_selectorELNS0_4arch9wavefront6targetE0EEEvSK_.kd
    .uniform_work_group_size: 1
    .uses_dynamic_stack: false
    .vgpr_count:     0
    .vgpr_spill_count: 0
    .wavefront_size: 32
    .workgroup_processor_mode: 1
  - .args:
      - .offset:         0
        .size:           88
        .value_kind:     by_value
    .group_segment_fixed_size: 0
    .kernarg_segment_align: 8
    .kernarg_segment_size: 88
    .language:       OpenCL C
    .language_version:
      - 2
      - 0
    .max_flat_workgroup_size: 256
    .name:           _ZN7rocprim17ROCPRIM_400000_NS6detail17trampoline_kernelINS0_14default_configENS1_36segmented_radix_sort_config_selectorIblEEZNS1_25segmented_radix_sort_implIS3_Lb0EPKbPbPKlPlN2at6native12_GLOBAL__N_18offset_tEEE10hipError_tPvRmT1_PNSt15iterator_traitsISK_E10value_typeET2_T3_PNSL_ISQ_E10value_typeET4_jRbjT5_SW_jjP12ihipStream_tbEUlT_E0_NS1_11comp_targetILNS1_3genE10ELNS1_11target_archE1201ELNS1_3gpuE5ELNS1_3repE0EEENS1_60segmented_radix_sort_warp_sort_medium_config_static_selectorELNS0_4arch9wavefront6targetE0EEEvSK_
    .private_segment_fixed_size: 0
    .sgpr_count:     0
    .sgpr_spill_count: 0
    .symbol:         _ZN7rocprim17ROCPRIM_400000_NS6detail17trampoline_kernelINS0_14default_configENS1_36segmented_radix_sort_config_selectorIblEEZNS1_25segmented_radix_sort_implIS3_Lb0EPKbPbPKlPlN2at6native12_GLOBAL__N_18offset_tEEE10hipError_tPvRmT1_PNSt15iterator_traitsISK_E10value_typeET2_T3_PNSL_ISQ_E10value_typeET4_jRbjT5_SW_jjP12ihipStream_tbEUlT_E0_NS1_11comp_targetILNS1_3genE10ELNS1_11target_archE1201ELNS1_3gpuE5ELNS1_3repE0EEENS1_60segmented_radix_sort_warp_sort_medium_config_static_selectorELNS0_4arch9wavefront6targetE0EEEvSK_.kd
    .uniform_work_group_size: 1
    .uses_dynamic_stack: false
    .vgpr_count:     0
    .vgpr_spill_count: 0
    .wavefront_size: 32
    .workgroup_processor_mode: 1
  - .args:
      - .offset:         0
        .size:           88
        .value_kind:     by_value
    .group_segment_fixed_size: 0
    .kernarg_segment_align: 8
    .kernarg_segment_size: 88
    .language:       OpenCL C
    .language_version:
      - 2
      - 0
    .max_flat_workgroup_size: 256
    .name:           _ZN7rocprim17ROCPRIM_400000_NS6detail17trampoline_kernelINS0_14default_configENS1_36segmented_radix_sort_config_selectorIblEEZNS1_25segmented_radix_sort_implIS3_Lb0EPKbPbPKlPlN2at6native12_GLOBAL__N_18offset_tEEE10hipError_tPvRmT1_PNSt15iterator_traitsISK_E10value_typeET2_T3_PNSL_ISQ_E10value_typeET4_jRbjT5_SW_jjP12ihipStream_tbEUlT_E0_NS1_11comp_targetILNS1_3genE10ELNS1_11target_archE1200ELNS1_3gpuE4ELNS1_3repE0EEENS1_60segmented_radix_sort_warp_sort_medium_config_static_selectorELNS0_4arch9wavefront6targetE0EEEvSK_
    .private_segment_fixed_size: 0
    .sgpr_count:     0
    .sgpr_spill_count: 0
    .symbol:         _ZN7rocprim17ROCPRIM_400000_NS6detail17trampoline_kernelINS0_14default_configENS1_36segmented_radix_sort_config_selectorIblEEZNS1_25segmented_radix_sort_implIS3_Lb0EPKbPbPKlPlN2at6native12_GLOBAL__N_18offset_tEEE10hipError_tPvRmT1_PNSt15iterator_traitsISK_E10value_typeET2_T3_PNSL_ISQ_E10value_typeET4_jRbjT5_SW_jjP12ihipStream_tbEUlT_E0_NS1_11comp_targetILNS1_3genE10ELNS1_11target_archE1200ELNS1_3gpuE4ELNS1_3repE0EEENS1_60segmented_radix_sort_warp_sort_medium_config_static_selectorELNS0_4arch9wavefront6targetE0EEEvSK_.kd
    .uniform_work_group_size: 1
    .uses_dynamic_stack: false
    .vgpr_count:     0
    .vgpr_spill_count: 0
    .wavefront_size: 32
    .workgroup_processor_mode: 1
  - .args:
      - .offset:         0
        .size:           88
        .value_kind:     by_value
      - .offset:         88
        .size:           4
        .value_kind:     hidden_block_count_x
      - .offset:         92
        .size:           4
        .value_kind:     hidden_block_count_y
      - .offset:         96
        .size:           4
        .value_kind:     hidden_block_count_z
      - .offset:         100
        .size:           2
        .value_kind:     hidden_group_size_x
      - .offset:         102
        .size:           2
        .value_kind:     hidden_group_size_y
      - .offset:         104
        .size:           2
        .value_kind:     hidden_group_size_z
      - .offset:         106
        .size:           2
        .value_kind:     hidden_remainder_x
      - .offset:         108
        .size:           2
        .value_kind:     hidden_remainder_y
      - .offset:         110
        .size:           2
        .value_kind:     hidden_remainder_z
      - .offset:         128
        .size:           8
        .value_kind:     hidden_global_offset_x
      - .offset:         136
        .size:           8
        .value_kind:     hidden_global_offset_y
      - .offset:         144
        .size:           8
        .value_kind:     hidden_global_offset_z
      - .offset:         152
        .size:           2
        .value_kind:     hidden_grid_dims
    .group_segment_fixed_size: 18432
    .kernarg_segment_align: 8
    .kernarg_segment_size: 344
    .language:       OpenCL C
    .language_version:
      - 2
      - 0
    .max_flat_workgroup_size: 256
    .name:           _ZN7rocprim17ROCPRIM_400000_NS6detail17trampoline_kernelINS0_14default_configENS1_36segmented_radix_sort_config_selectorIblEEZNS1_25segmented_radix_sort_implIS3_Lb0EPKbPbPKlPlN2at6native12_GLOBAL__N_18offset_tEEE10hipError_tPvRmT1_PNSt15iterator_traitsISK_E10value_typeET2_T3_PNSL_ISQ_E10value_typeET4_jRbjT5_SW_jjP12ihipStream_tbEUlT_E0_NS1_11comp_targetILNS1_3genE9ELNS1_11target_archE1100ELNS1_3gpuE3ELNS1_3repE0EEENS1_60segmented_radix_sort_warp_sort_medium_config_static_selectorELNS0_4arch9wavefront6targetE0EEEvSK_
    .private_segment_fixed_size: 0
    .sgpr_count:     46
    .sgpr_spill_count: 0
    .symbol:         _ZN7rocprim17ROCPRIM_400000_NS6detail17trampoline_kernelINS0_14default_configENS1_36segmented_radix_sort_config_selectorIblEEZNS1_25segmented_radix_sort_implIS3_Lb0EPKbPbPKlPlN2at6native12_GLOBAL__N_18offset_tEEE10hipError_tPvRmT1_PNSt15iterator_traitsISK_E10value_typeET2_T3_PNSL_ISQ_E10value_typeET4_jRbjT5_SW_jjP12ihipStream_tbEUlT_E0_NS1_11comp_targetILNS1_3genE9ELNS1_11target_archE1100ELNS1_3gpuE3ELNS1_3repE0EEENS1_60segmented_radix_sort_warp_sort_medium_config_static_selectorELNS0_4arch9wavefront6targetE0EEEvSK_.kd
    .uniform_work_group_size: 1
    .uses_dynamic_stack: false
    .vgpr_count:     71
    .vgpr_spill_count: 0
    .wavefront_size: 32
    .workgroup_processor_mode: 1
  - .args:
      - .offset:         0
        .size:           88
        .value_kind:     by_value
    .group_segment_fixed_size: 0
    .kernarg_segment_align: 8
    .kernarg_segment_size: 88
    .language:       OpenCL C
    .language_version:
      - 2
      - 0
    .max_flat_workgroup_size: 256
    .name:           _ZN7rocprim17ROCPRIM_400000_NS6detail17trampoline_kernelINS0_14default_configENS1_36segmented_radix_sort_config_selectorIblEEZNS1_25segmented_radix_sort_implIS3_Lb0EPKbPbPKlPlN2at6native12_GLOBAL__N_18offset_tEEE10hipError_tPvRmT1_PNSt15iterator_traitsISK_E10value_typeET2_T3_PNSL_ISQ_E10value_typeET4_jRbjT5_SW_jjP12ihipStream_tbEUlT_E0_NS1_11comp_targetILNS1_3genE8ELNS1_11target_archE1030ELNS1_3gpuE2ELNS1_3repE0EEENS1_60segmented_radix_sort_warp_sort_medium_config_static_selectorELNS0_4arch9wavefront6targetE0EEEvSK_
    .private_segment_fixed_size: 0
    .sgpr_count:     0
    .sgpr_spill_count: 0
    .symbol:         _ZN7rocprim17ROCPRIM_400000_NS6detail17trampoline_kernelINS0_14default_configENS1_36segmented_radix_sort_config_selectorIblEEZNS1_25segmented_radix_sort_implIS3_Lb0EPKbPbPKlPlN2at6native12_GLOBAL__N_18offset_tEEE10hipError_tPvRmT1_PNSt15iterator_traitsISK_E10value_typeET2_T3_PNSL_ISQ_E10value_typeET4_jRbjT5_SW_jjP12ihipStream_tbEUlT_E0_NS1_11comp_targetILNS1_3genE8ELNS1_11target_archE1030ELNS1_3gpuE2ELNS1_3repE0EEENS1_60segmented_radix_sort_warp_sort_medium_config_static_selectorELNS0_4arch9wavefront6targetE0EEEvSK_.kd
    .uniform_work_group_size: 1
    .uses_dynamic_stack: false
    .vgpr_count:     0
    .vgpr_spill_count: 0
    .wavefront_size: 32
    .workgroup_processor_mode: 1
  - .args:
      - .offset:         0
        .size:           88
        .value_kind:     by_value
    .group_segment_fixed_size: 0
    .kernarg_segment_align: 8
    .kernarg_segment_size: 88
    .language:       OpenCL C
    .language_version:
      - 2
      - 0
    .max_flat_workgroup_size: 256
    .name:           _ZN7rocprim17ROCPRIM_400000_NS6detail17trampoline_kernelINS0_14default_configENS1_36segmented_radix_sort_config_selectorIblEEZNS1_25segmented_radix_sort_implIS3_Lb0EPKbPbPKlPlN2at6native12_GLOBAL__N_18offset_tEEE10hipError_tPvRmT1_PNSt15iterator_traitsISK_E10value_typeET2_T3_PNSL_ISQ_E10value_typeET4_jRbjT5_SW_jjP12ihipStream_tbEUlT_E1_NS1_11comp_targetILNS1_3genE0ELNS1_11target_archE4294967295ELNS1_3gpuE0ELNS1_3repE0EEENS1_59segmented_radix_sort_warp_sort_small_config_static_selectorELNS0_4arch9wavefront6targetE0EEEvSK_
    .private_segment_fixed_size: 0
    .sgpr_count:     0
    .sgpr_spill_count: 0
    .symbol:         _ZN7rocprim17ROCPRIM_400000_NS6detail17trampoline_kernelINS0_14default_configENS1_36segmented_radix_sort_config_selectorIblEEZNS1_25segmented_radix_sort_implIS3_Lb0EPKbPbPKlPlN2at6native12_GLOBAL__N_18offset_tEEE10hipError_tPvRmT1_PNSt15iterator_traitsISK_E10value_typeET2_T3_PNSL_ISQ_E10value_typeET4_jRbjT5_SW_jjP12ihipStream_tbEUlT_E1_NS1_11comp_targetILNS1_3genE0ELNS1_11target_archE4294967295ELNS1_3gpuE0ELNS1_3repE0EEENS1_59segmented_radix_sort_warp_sort_small_config_static_selectorELNS0_4arch9wavefront6targetE0EEEvSK_.kd
    .uniform_work_group_size: 1
    .uses_dynamic_stack: false
    .vgpr_count:     0
    .vgpr_spill_count: 0
    .wavefront_size: 32
    .workgroup_processor_mode: 1
  - .args:
      - .offset:         0
        .size:           88
        .value_kind:     by_value
    .group_segment_fixed_size: 0
    .kernarg_segment_align: 8
    .kernarg_segment_size: 88
    .language:       OpenCL C
    .language_version:
      - 2
      - 0
    .max_flat_workgroup_size: 256
    .name:           _ZN7rocprim17ROCPRIM_400000_NS6detail17trampoline_kernelINS0_14default_configENS1_36segmented_radix_sort_config_selectorIblEEZNS1_25segmented_radix_sort_implIS3_Lb0EPKbPbPKlPlN2at6native12_GLOBAL__N_18offset_tEEE10hipError_tPvRmT1_PNSt15iterator_traitsISK_E10value_typeET2_T3_PNSL_ISQ_E10value_typeET4_jRbjT5_SW_jjP12ihipStream_tbEUlT_E1_NS1_11comp_targetILNS1_3genE5ELNS1_11target_archE942ELNS1_3gpuE9ELNS1_3repE0EEENS1_59segmented_radix_sort_warp_sort_small_config_static_selectorELNS0_4arch9wavefront6targetE0EEEvSK_
    .private_segment_fixed_size: 0
    .sgpr_count:     0
    .sgpr_spill_count: 0
    .symbol:         _ZN7rocprim17ROCPRIM_400000_NS6detail17trampoline_kernelINS0_14default_configENS1_36segmented_radix_sort_config_selectorIblEEZNS1_25segmented_radix_sort_implIS3_Lb0EPKbPbPKlPlN2at6native12_GLOBAL__N_18offset_tEEE10hipError_tPvRmT1_PNSt15iterator_traitsISK_E10value_typeET2_T3_PNSL_ISQ_E10value_typeET4_jRbjT5_SW_jjP12ihipStream_tbEUlT_E1_NS1_11comp_targetILNS1_3genE5ELNS1_11target_archE942ELNS1_3gpuE9ELNS1_3repE0EEENS1_59segmented_radix_sort_warp_sort_small_config_static_selectorELNS0_4arch9wavefront6targetE0EEEvSK_.kd
    .uniform_work_group_size: 1
    .uses_dynamic_stack: false
    .vgpr_count:     0
    .vgpr_spill_count: 0
    .wavefront_size: 32
    .workgroup_processor_mode: 1
  - .args:
      - .offset:         0
        .size:           88
        .value_kind:     by_value
    .group_segment_fixed_size: 0
    .kernarg_segment_align: 8
    .kernarg_segment_size: 88
    .language:       OpenCL C
    .language_version:
      - 2
      - 0
    .max_flat_workgroup_size: 256
    .name:           _ZN7rocprim17ROCPRIM_400000_NS6detail17trampoline_kernelINS0_14default_configENS1_36segmented_radix_sort_config_selectorIblEEZNS1_25segmented_radix_sort_implIS3_Lb0EPKbPbPKlPlN2at6native12_GLOBAL__N_18offset_tEEE10hipError_tPvRmT1_PNSt15iterator_traitsISK_E10value_typeET2_T3_PNSL_ISQ_E10value_typeET4_jRbjT5_SW_jjP12ihipStream_tbEUlT_E1_NS1_11comp_targetILNS1_3genE4ELNS1_11target_archE910ELNS1_3gpuE8ELNS1_3repE0EEENS1_59segmented_radix_sort_warp_sort_small_config_static_selectorELNS0_4arch9wavefront6targetE0EEEvSK_
    .private_segment_fixed_size: 0
    .sgpr_count:     0
    .sgpr_spill_count: 0
    .symbol:         _ZN7rocprim17ROCPRIM_400000_NS6detail17trampoline_kernelINS0_14default_configENS1_36segmented_radix_sort_config_selectorIblEEZNS1_25segmented_radix_sort_implIS3_Lb0EPKbPbPKlPlN2at6native12_GLOBAL__N_18offset_tEEE10hipError_tPvRmT1_PNSt15iterator_traitsISK_E10value_typeET2_T3_PNSL_ISQ_E10value_typeET4_jRbjT5_SW_jjP12ihipStream_tbEUlT_E1_NS1_11comp_targetILNS1_3genE4ELNS1_11target_archE910ELNS1_3gpuE8ELNS1_3repE0EEENS1_59segmented_radix_sort_warp_sort_small_config_static_selectorELNS0_4arch9wavefront6targetE0EEEvSK_.kd
    .uniform_work_group_size: 1
    .uses_dynamic_stack: false
    .vgpr_count:     0
    .vgpr_spill_count: 0
    .wavefront_size: 32
    .workgroup_processor_mode: 1
  - .args:
      - .offset:         0
        .size:           88
        .value_kind:     by_value
    .group_segment_fixed_size: 0
    .kernarg_segment_align: 8
    .kernarg_segment_size: 88
    .language:       OpenCL C
    .language_version:
      - 2
      - 0
    .max_flat_workgroup_size: 256
    .name:           _ZN7rocprim17ROCPRIM_400000_NS6detail17trampoline_kernelINS0_14default_configENS1_36segmented_radix_sort_config_selectorIblEEZNS1_25segmented_radix_sort_implIS3_Lb0EPKbPbPKlPlN2at6native12_GLOBAL__N_18offset_tEEE10hipError_tPvRmT1_PNSt15iterator_traitsISK_E10value_typeET2_T3_PNSL_ISQ_E10value_typeET4_jRbjT5_SW_jjP12ihipStream_tbEUlT_E1_NS1_11comp_targetILNS1_3genE3ELNS1_11target_archE908ELNS1_3gpuE7ELNS1_3repE0EEENS1_59segmented_radix_sort_warp_sort_small_config_static_selectorELNS0_4arch9wavefront6targetE0EEEvSK_
    .private_segment_fixed_size: 0
    .sgpr_count:     0
    .sgpr_spill_count: 0
    .symbol:         _ZN7rocprim17ROCPRIM_400000_NS6detail17trampoline_kernelINS0_14default_configENS1_36segmented_radix_sort_config_selectorIblEEZNS1_25segmented_radix_sort_implIS3_Lb0EPKbPbPKlPlN2at6native12_GLOBAL__N_18offset_tEEE10hipError_tPvRmT1_PNSt15iterator_traitsISK_E10value_typeET2_T3_PNSL_ISQ_E10value_typeET4_jRbjT5_SW_jjP12ihipStream_tbEUlT_E1_NS1_11comp_targetILNS1_3genE3ELNS1_11target_archE908ELNS1_3gpuE7ELNS1_3repE0EEENS1_59segmented_radix_sort_warp_sort_small_config_static_selectorELNS0_4arch9wavefront6targetE0EEEvSK_.kd
    .uniform_work_group_size: 1
    .uses_dynamic_stack: false
    .vgpr_count:     0
    .vgpr_spill_count: 0
    .wavefront_size: 32
    .workgroup_processor_mode: 1
  - .args:
      - .offset:         0
        .size:           88
        .value_kind:     by_value
    .group_segment_fixed_size: 0
    .kernarg_segment_align: 8
    .kernarg_segment_size: 88
    .language:       OpenCL C
    .language_version:
      - 2
      - 0
    .max_flat_workgroup_size: 256
    .name:           _ZN7rocprim17ROCPRIM_400000_NS6detail17trampoline_kernelINS0_14default_configENS1_36segmented_radix_sort_config_selectorIblEEZNS1_25segmented_radix_sort_implIS3_Lb0EPKbPbPKlPlN2at6native12_GLOBAL__N_18offset_tEEE10hipError_tPvRmT1_PNSt15iterator_traitsISK_E10value_typeET2_T3_PNSL_ISQ_E10value_typeET4_jRbjT5_SW_jjP12ihipStream_tbEUlT_E1_NS1_11comp_targetILNS1_3genE2ELNS1_11target_archE906ELNS1_3gpuE6ELNS1_3repE0EEENS1_59segmented_radix_sort_warp_sort_small_config_static_selectorELNS0_4arch9wavefront6targetE0EEEvSK_
    .private_segment_fixed_size: 0
    .sgpr_count:     0
    .sgpr_spill_count: 0
    .symbol:         _ZN7rocprim17ROCPRIM_400000_NS6detail17trampoline_kernelINS0_14default_configENS1_36segmented_radix_sort_config_selectorIblEEZNS1_25segmented_radix_sort_implIS3_Lb0EPKbPbPKlPlN2at6native12_GLOBAL__N_18offset_tEEE10hipError_tPvRmT1_PNSt15iterator_traitsISK_E10value_typeET2_T3_PNSL_ISQ_E10value_typeET4_jRbjT5_SW_jjP12ihipStream_tbEUlT_E1_NS1_11comp_targetILNS1_3genE2ELNS1_11target_archE906ELNS1_3gpuE6ELNS1_3repE0EEENS1_59segmented_radix_sort_warp_sort_small_config_static_selectorELNS0_4arch9wavefront6targetE0EEEvSK_.kd
    .uniform_work_group_size: 1
    .uses_dynamic_stack: false
    .vgpr_count:     0
    .vgpr_spill_count: 0
    .wavefront_size: 32
    .workgroup_processor_mode: 1
  - .args:
      - .offset:         0
        .size:           88
        .value_kind:     by_value
    .group_segment_fixed_size: 0
    .kernarg_segment_align: 8
    .kernarg_segment_size: 88
    .language:       OpenCL C
    .language_version:
      - 2
      - 0
    .max_flat_workgroup_size: 256
    .name:           _ZN7rocprim17ROCPRIM_400000_NS6detail17trampoline_kernelINS0_14default_configENS1_36segmented_radix_sort_config_selectorIblEEZNS1_25segmented_radix_sort_implIS3_Lb0EPKbPbPKlPlN2at6native12_GLOBAL__N_18offset_tEEE10hipError_tPvRmT1_PNSt15iterator_traitsISK_E10value_typeET2_T3_PNSL_ISQ_E10value_typeET4_jRbjT5_SW_jjP12ihipStream_tbEUlT_E1_NS1_11comp_targetILNS1_3genE10ELNS1_11target_archE1201ELNS1_3gpuE5ELNS1_3repE0EEENS1_59segmented_radix_sort_warp_sort_small_config_static_selectorELNS0_4arch9wavefront6targetE0EEEvSK_
    .private_segment_fixed_size: 0
    .sgpr_count:     0
    .sgpr_spill_count: 0
    .symbol:         _ZN7rocprim17ROCPRIM_400000_NS6detail17trampoline_kernelINS0_14default_configENS1_36segmented_radix_sort_config_selectorIblEEZNS1_25segmented_radix_sort_implIS3_Lb0EPKbPbPKlPlN2at6native12_GLOBAL__N_18offset_tEEE10hipError_tPvRmT1_PNSt15iterator_traitsISK_E10value_typeET2_T3_PNSL_ISQ_E10value_typeET4_jRbjT5_SW_jjP12ihipStream_tbEUlT_E1_NS1_11comp_targetILNS1_3genE10ELNS1_11target_archE1201ELNS1_3gpuE5ELNS1_3repE0EEENS1_59segmented_radix_sort_warp_sort_small_config_static_selectorELNS0_4arch9wavefront6targetE0EEEvSK_.kd
    .uniform_work_group_size: 1
    .uses_dynamic_stack: false
    .vgpr_count:     0
    .vgpr_spill_count: 0
    .wavefront_size: 32
    .workgroup_processor_mode: 1
  - .args:
      - .offset:         0
        .size:           88
        .value_kind:     by_value
    .group_segment_fixed_size: 0
    .kernarg_segment_align: 8
    .kernarg_segment_size: 88
    .language:       OpenCL C
    .language_version:
      - 2
      - 0
    .max_flat_workgroup_size: 256
    .name:           _ZN7rocprim17ROCPRIM_400000_NS6detail17trampoline_kernelINS0_14default_configENS1_36segmented_radix_sort_config_selectorIblEEZNS1_25segmented_radix_sort_implIS3_Lb0EPKbPbPKlPlN2at6native12_GLOBAL__N_18offset_tEEE10hipError_tPvRmT1_PNSt15iterator_traitsISK_E10value_typeET2_T3_PNSL_ISQ_E10value_typeET4_jRbjT5_SW_jjP12ihipStream_tbEUlT_E1_NS1_11comp_targetILNS1_3genE10ELNS1_11target_archE1200ELNS1_3gpuE4ELNS1_3repE0EEENS1_59segmented_radix_sort_warp_sort_small_config_static_selectorELNS0_4arch9wavefront6targetE0EEEvSK_
    .private_segment_fixed_size: 0
    .sgpr_count:     0
    .sgpr_spill_count: 0
    .symbol:         _ZN7rocprim17ROCPRIM_400000_NS6detail17trampoline_kernelINS0_14default_configENS1_36segmented_radix_sort_config_selectorIblEEZNS1_25segmented_radix_sort_implIS3_Lb0EPKbPbPKlPlN2at6native12_GLOBAL__N_18offset_tEEE10hipError_tPvRmT1_PNSt15iterator_traitsISK_E10value_typeET2_T3_PNSL_ISQ_E10value_typeET4_jRbjT5_SW_jjP12ihipStream_tbEUlT_E1_NS1_11comp_targetILNS1_3genE10ELNS1_11target_archE1200ELNS1_3gpuE4ELNS1_3repE0EEENS1_59segmented_radix_sort_warp_sort_small_config_static_selectorELNS0_4arch9wavefront6targetE0EEEvSK_.kd
    .uniform_work_group_size: 1
    .uses_dynamic_stack: false
    .vgpr_count:     0
    .vgpr_spill_count: 0
    .wavefront_size: 32
    .workgroup_processor_mode: 1
  - .args:
      - .offset:         0
        .size:           88
        .value_kind:     by_value
      - .offset:         88
        .size:           4
        .value_kind:     hidden_block_count_x
      - .offset:         92
        .size:           4
        .value_kind:     hidden_block_count_y
      - .offset:         96
        .size:           4
        .value_kind:     hidden_block_count_z
      - .offset:         100
        .size:           2
        .value_kind:     hidden_group_size_x
      - .offset:         102
        .size:           2
        .value_kind:     hidden_group_size_y
      - .offset:         104
        .size:           2
        .value_kind:     hidden_group_size_z
      - .offset:         106
        .size:           2
        .value_kind:     hidden_remainder_x
      - .offset:         108
        .size:           2
        .value_kind:     hidden_remainder_y
      - .offset:         110
        .size:           2
        .value_kind:     hidden_remainder_z
      - .offset:         128
        .size:           8
        .value_kind:     hidden_global_offset_x
      - .offset:         136
        .size:           8
        .value_kind:     hidden_global_offset_y
      - .offset:         144
        .size:           8
        .value_kind:     hidden_global_offset_z
      - .offset:         152
        .size:           2
        .value_kind:     hidden_grid_dims
    .group_segment_fixed_size: 9216
    .kernarg_segment_align: 8
    .kernarg_segment_size: 344
    .language:       OpenCL C
    .language_version:
      - 2
      - 0
    .max_flat_workgroup_size: 256
    .name:           _ZN7rocprim17ROCPRIM_400000_NS6detail17trampoline_kernelINS0_14default_configENS1_36segmented_radix_sort_config_selectorIblEEZNS1_25segmented_radix_sort_implIS3_Lb0EPKbPbPKlPlN2at6native12_GLOBAL__N_18offset_tEEE10hipError_tPvRmT1_PNSt15iterator_traitsISK_E10value_typeET2_T3_PNSL_ISQ_E10value_typeET4_jRbjT5_SW_jjP12ihipStream_tbEUlT_E1_NS1_11comp_targetILNS1_3genE9ELNS1_11target_archE1100ELNS1_3gpuE3ELNS1_3repE0EEENS1_59segmented_radix_sort_warp_sort_small_config_static_selectorELNS0_4arch9wavefront6targetE0EEEvSK_
    .private_segment_fixed_size: 0
    .sgpr_count:     35
    .sgpr_spill_count: 0
    .symbol:         _ZN7rocprim17ROCPRIM_400000_NS6detail17trampoline_kernelINS0_14default_configENS1_36segmented_radix_sort_config_selectorIblEEZNS1_25segmented_radix_sort_implIS3_Lb0EPKbPbPKlPlN2at6native12_GLOBAL__N_18offset_tEEE10hipError_tPvRmT1_PNSt15iterator_traitsISK_E10value_typeET2_T3_PNSL_ISQ_E10value_typeET4_jRbjT5_SW_jjP12ihipStream_tbEUlT_E1_NS1_11comp_targetILNS1_3genE9ELNS1_11target_archE1100ELNS1_3gpuE3ELNS1_3repE0EEENS1_59segmented_radix_sort_warp_sort_small_config_static_selectorELNS0_4arch9wavefront6targetE0EEEvSK_.kd
    .uniform_work_group_size: 1
    .uses_dynamic_stack: false
    .vgpr_count:     66
    .vgpr_spill_count: 0
    .wavefront_size: 32
    .workgroup_processor_mode: 1
  - .args:
      - .offset:         0
        .size:           88
        .value_kind:     by_value
    .group_segment_fixed_size: 0
    .kernarg_segment_align: 8
    .kernarg_segment_size: 88
    .language:       OpenCL C
    .language_version:
      - 2
      - 0
    .max_flat_workgroup_size: 256
    .name:           _ZN7rocprim17ROCPRIM_400000_NS6detail17trampoline_kernelINS0_14default_configENS1_36segmented_radix_sort_config_selectorIblEEZNS1_25segmented_radix_sort_implIS3_Lb0EPKbPbPKlPlN2at6native12_GLOBAL__N_18offset_tEEE10hipError_tPvRmT1_PNSt15iterator_traitsISK_E10value_typeET2_T3_PNSL_ISQ_E10value_typeET4_jRbjT5_SW_jjP12ihipStream_tbEUlT_E1_NS1_11comp_targetILNS1_3genE8ELNS1_11target_archE1030ELNS1_3gpuE2ELNS1_3repE0EEENS1_59segmented_radix_sort_warp_sort_small_config_static_selectorELNS0_4arch9wavefront6targetE0EEEvSK_
    .private_segment_fixed_size: 0
    .sgpr_count:     0
    .sgpr_spill_count: 0
    .symbol:         _ZN7rocprim17ROCPRIM_400000_NS6detail17trampoline_kernelINS0_14default_configENS1_36segmented_radix_sort_config_selectorIblEEZNS1_25segmented_radix_sort_implIS3_Lb0EPKbPbPKlPlN2at6native12_GLOBAL__N_18offset_tEEE10hipError_tPvRmT1_PNSt15iterator_traitsISK_E10value_typeET2_T3_PNSL_ISQ_E10value_typeET4_jRbjT5_SW_jjP12ihipStream_tbEUlT_E1_NS1_11comp_targetILNS1_3genE8ELNS1_11target_archE1030ELNS1_3gpuE2ELNS1_3repE0EEENS1_59segmented_radix_sort_warp_sort_small_config_static_selectorELNS0_4arch9wavefront6targetE0EEEvSK_.kd
    .uniform_work_group_size: 1
    .uses_dynamic_stack: false
    .vgpr_count:     0
    .vgpr_spill_count: 0
    .wavefront_size: 32
    .workgroup_processor_mode: 1
  - .args:
      - .offset:         0
        .size:           80
        .value_kind:     by_value
    .group_segment_fixed_size: 0
    .kernarg_segment_align: 8
    .kernarg_segment_size: 80
    .language:       OpenCL C
    .language_version:
      - 2
      - 0
    .max_flat_workgroup_size: 256
    .name:           _ZN7rocprim17ROCPRIM_400000_NS6detail17trampoline_kernelINS0_14default_configENS1_36segmented_radix_sort_config_selectorIblEEZNS1_25segmented_radix_sort_implIS3_Lb0EPKbPbPKlPlN2at6native12_GLOBAL__N_18offset_tEEE10hipError_tPvRmT1_PNSt15iterator_traitsISK_E10value_typeET2_T3_PNSL_ISQ_E10value_typeET4_jRbjT5_SW_jjP12ihipStream_tbEUlT_E2_NS1_11comp_targetILNS1_3genE0ELNS1_11target_archE4294967295ELNS1_3gpuE0ELNS1_3repE0EEENS1_30default_config_static_selectorELNS0_4arch9wavefront6targetE0EEEvSK_
    .private_segment_fixed_size: 0
    .sgpr_count:     0
    .sgpr_spill_count: 0
    .symbol:         _ZN7rocprim17ROCPRIM_400000_NS6detail17trampoline_kernelINS0_14default_configENS1_36segmented_radix_sort_config_selectorIblEEZNS1_25segmented_radix_sort_implIS3_Lb0EPKbPbPKlPlN2at6native12_GLOBAL__N_18offset_tEEE10hipError_tPvRmT1_PNSt15iterator_traitsISK_E10value_typeET2_T3_PNSL_ISQ_E10value_typeET4_jRbjT5_SW_jjP12ihipStream_tbEUlT_E2_NS1_11comp_targetILNS1_3genE0ELNS1_11target_archE4294967295ELNS1_3gpuE0ELNS1_3repE0EEENS1_30default_config_static_selectorELNS0_4arch9wavefront6targetE0EEEvSK_.kd
    .uniform_work_group_size: 1
    .uses_dynamic_stack: false
    .vgpr_count:     0
    .vgpr_spill_count: 0
    .wavefront_size: 32
    .workgroup_processor_mode: 1
  - .args:
      - .offset:         0
        .size:           80
        .value_kind:     by_value
    .group_segment_fixed_size: 0
    .kernarg_segment_align: 8
    .kernarg_segment_size: 80
    .language:       OpenCL C
    .language_version:
      - 2
      - 0
    .max_flat_workgroup_size: 256
    .name:           _ZN7rocprim17ROCPRIM_400000_NS6detail17trampoline_kernelINS0_14default_configENS1_36segmented_radix_sort_config_selectorIblEEZNS1_25segmented_radix_sort_implIS3_Lb0EPKbPbPKlPlN2at6native12_GLOBAL__N_18offset_tEEE10hipError_tPvRmT1_PNSt15iterator_traitsISK_E10value_typeET2_T3_PNSL_ISQ_E10value_typeET4_jRbjT5_SW_jjP12ihipStream_tbEUlT_E2_NS1_11comp_targetILNS1_3genE5ELNS1_11target_archE942ELNS1_3gpuE9ELNS1_3repE0EEENS1_30default_config_static_selectorELNS0_4arch9wavefront6targetE0EEEvSK_
    .private_segment_fixed_size: 0
    .sgpr_count:     0
    .sgpr_spill_count: 0
    .symbol:         _ZN7rocprim17ROCPRIM_400000_NS6detail17trampoline_kernelINS0_14default_configENS1_36segmented_radix_sort_config_selectorIblEEZNS1_25segmented_radix_sort_implIS3_Lb0EPKbPbPKlPlN2at6native12_GLOBAL__N_18offset_tEEE10hipError_tPvRmT1_PNSt15iterator_traitsISK_E10value_typeET2_T3_PNSL_ISQ_E10value_typeET4_jRbjT5_SW_jjP12ihipStream_tbEUlT_E2_NS1_11comp_targetILNS1_3genE5ELNS1_11target_archE942ELNS1_3gpuE9ELNS1_3repE0EEENS1_30default_config_static_selectorELNS0_4arch9wavefront6targetE0EEEvSK_.kd
    .uniform_work_group_size: 1
    .uses_dynamic_stack: false
    .vgpr_count:     0
    .vgpr_spill_count: 0
    .wavefront_size: 32
    .workgroup_processor_mode: 1
  - .args:
      - .offset:         0
        .size:           80
        .value_kind:     by_value
    .group_segment_fixed_size: 0
    .kernarg_segment_align: 8
    .kernarg_segment_size: 80
    .language:       OpenCL C
    .language_version:
      - 2
      - 0
    .max_flat_workgroup_size: 256
    .name:           _ZN7rocprim17ROCPRIM_400000_NS6detail17trampoline_kernelINS0_14default_configENS1_36segmented_radix_sort_config_selectorIblEEZNS1_25segmented_radix_sort_implIS3_Lb0EPKbPbPKlPlN2at6native12_GLOBAL__N_18offset_tEEE10hipError_tPvRmT1_PNSt15iterator_traitsISK_E10value_typeET2_T3_PNSL_ISQ_E10value_typeET4_jRbjT5_SW_jjP12ihipStream_tbEUlT_E2_NS1_11comp_targetILNS1_3genE4ELNS1_11target_archE910ELNS1_3gpuE8ELNS1_3repE0EEENS1_30default_config_static_selectorELNS0_4arch9wavefront6targetE0EEEvSK_
    .private_segment_fixed_size: 0
    .sgpr_count:     0
    .sgpr_spill_count: 0
    .symbol:         _ZN7rocprim17ROCPRIM_400000_NS6detail17trampoline_kernelINS0_14default_configENS1_36segmented_radix_sort_config_selectorIblEEZNS1_25segmented_radix_sort_implIS3_Lb0EPKbPbPKlPlN2at6native12_GLOBAL__N_18offset_tEEE10hipError_tPvRmT1_PNSt15iterator_traitsISK_E10value_typeET2_T3_PNSL_ISQ_E10value_typeET4_jRbjT5_SW_jjP12ihipStream_tbEUlT_E2_NS1_11comp_targetILNS1_3genE4ELNS1_11target_archE910ELNS1_3gpuE8ELNS1_3repE0EEENS1_30default_config_static_selectorELNS0_4arch9wavefront6targetE0EEEvSK_.kd
    .uniform_work_group_size: 1
    .uses_dynamic_stack: false
    .vgpr_count:     0
    .vgpr_spill_count: 0
    .wavefront_size: 32
    .workgroup_processor_mode: 1
  - .args:
      - .offset:         0
        .size:           80
        .value_kind:     by_value
    .group_segment_fixed_size: 0
    .kernarg_segment_align: 8
    .kernarg_segment_size: 80
    .language:       OpenCL C
    .language_version:
      - 2
      - 0
    .max_flat_workgroup_size: 256
    .name:           _ZN7rocprim17ROCPRIM_400000_NS6detail17trampoline_kernelINS0_14default_configENS1_36segmented_radix_sort_config_selectorIblEEZNS1_25segmented_radix_sort_implIS3_Lb0EPKbPbPKlPlN2at6native12_GLOBAL__N_18offset_tEEE10hipError_tPvRmT1_PNSt15iterator_traitsISK_E10value_typeET2_T3_PNSL_ISQ_E10value_typeET4_jRbjT5_SW_jjP12ihipStream_tbEUlT_E2_NS1_11comp_targetILNS1_3genE3ELNS1_11target_archE908ELNS1_3gpuE7ELNS1_3repE0EEENS1_30default_config_static_selectorELNS0_4arch9wavefront6targetE0EEEvSK_
    .private_segment_fixed_size: 0
    .sgpr_count:     0
    .sgpr_spill_count: 0
    .symbol:         _ZN7rocprim17ROCPRIM_400000_NS6detail17trampoline_kernelINS0_14default_configENS1_36segmented_radix_sort_config_selectorIblEEZNS1_25segmented_radix_sort_implIS3_Lb0EPKbPbPKlPlN2at6native12_GLOBAL__N_18offset_tEEE10hipError_tPvRmT1_PNSt15iterator_traitsISK_E10value_typeET2_T3_PNSL_ISQ_E10value_typeET4_jRbjT5_SW_jjP12ihipStream_tbEUlT_E2_NS1_11comp_targetILNS1_3genE3ELNS1_11target_archE908ELNS1_3gpuE7ELNS1_3repE0EEENS1_30default_config_static_selectorELNS0_4arch9wavefront6targetE0EEEvSK_.kd
    .uniform_work_group_size: 1
    .uses_dynamic_stack: false
    .vgpr_count:     0
    .vgpr_spill_count: 0
    .wavefront_size: 32
    .workgroup_processor_mode: 1
  - .args:
      - .offset:         0
        .size:           80
        .value_kind:     by_value
    .group_segment_fixed_size: 0
    .kernarg_segment_align: 8
    .kernarg_segment_size: 80
    .language:       OpenCL C
    .language_version:
      - 2
      - 0
    .max_flat_workgroup_size: 256
    .name:           _ZN7rocprim17ROCPRIM_400000_NS6detail17trampoline_kernelINS0_14default_configENS1_36segmented_radix_sort_config_selectorIblEEZNS1_25segmented_radix_sort_implIS3_Lb0EPKbPbPKlPlN2at6native12_GLOBAL__N_18offset_tEEE10hipError_tPvRmT1_PNSt15iterator_traitsISK_E10value_typeET2_T3_PNSL_ISQ_E10value_typeET4_jRbjT5_SW_jjP12ihipStream_tbEUlT_E2_NS1_11comp_targetILNS1_3genE2ELNS1_11target_archE906ELNS1_3gpuE6ELNS1_3repE0EEENS1_30default_config_static_selectorELNS0_4arch9wavefront6targetE0EEEvSK_
    .private_segment_fixed_size: 0
    .sgpr_count:     0
    .sgpr_spill_count: 0
    .symbol:         _ZN7rocprim17ROCPRIM_400000_NS6detail17trampoline_kernelINS0_14default_configENS1_36segmented_radix_sort_config_selectorIblEEZNS1_25segmented_radix_sort_implIS3_Lb0EPKbPbPKlPlN2at6native12_GLOBAL__N_18offset_tEEE10hipError_tPvRmT1_PNSt15iterator_traitsISK_E10value_typeET2_T3_PNSL_ISQ_E10value_typeET4_jRbjT5_SW_jjP12ihipStream_tbEUlT_E2_NS1_11comp_targetILNS1_3genE2ELNS1_11target_archE906ELNS1_3gpuE6ELNS1_3repE0EEENS1_30default_config_static_selectorELNS0_4arch9wavefront6targetE0EEEvSK_.kd
    .uniform_work_group_size: 1
    .uses_dynamic_stack: false
    .vgpr_count:     0
    .vgpr_spill_count: 0
    .wavefront_size: 32
    .workgroup_processor_mode: 1
  - .args:
      - .offset:         0
        .size:           80
        .value_kind:     by_value
    .group_segment_fixed_size: 0
    .kernarg_segment_align: 8
    .kernarg_segment_size: 80
    .language:       OpenCL C
    .language_version:
      - 2
      - 0
    .max_flat_workgroup_size: 256
    .name:           _ZN7rocprim17ROCPRIM_400000_NS6detail17trampoline_kernelINS0_14default_configENS1_36segmented_radix_sort_config_selectorIblEEZNS1_25segmented_radix_sort_implIS3_Lb0EPKbPbPKlPlN2at6native12_GLOBAL__N_18offset_tEEE10hipError_tPvRmT1_PNSt15iterator_traitsISK_E10value_typeET2_T3_PNSL_ISQ_E10value_typeET4_jRbjT5_SW_jjP12ihipStream_tbEUlT_E2_NS1_11comp_targetILNS1_3genE10ELNS1_11target_archE1201ELNS1_3gpuE5ELNS1_3repE0EEENS1_30default_config_static_selectorELNS0_4arch9wavefront6targetE0EEEvSK_
    .private_segment_fixed_size: 0
    .sgpr_count:     0
    .sgpr_spill_count: 0
    .symbol:         _ZN7rocprim17ROCPRIM_400000_NS6detail17trampoline_kernelINS0_14default_configENS1_36segmented_radix_sort_config_selectorIblEEZNS1_25segmented_radix_sort_implIS3_Lb0EPKbPbPKlPlN2at6native12_GLOBAL__N_18offset_tEEE10hipError_tPvRmT1_PNSt15iterator_traitsISK_E10value_typeET2_T3_PNSL_ISQ_E10value_typeET4_jRbjT5_SW_jjP12ihipStream_tbEUlT_E2_NS1_11comp_targetILNS1_3genE10ELNS1_11target_archE1201ELNS1_3gpuE5ELNS1_3repE0EEENS1_30default_config_static_selectorELNS0_4arch9wavefront6targetE0EEEvSK_.kd
    .uniform_work_group_size: 1
    .uses_dynamic_stack: false
    .vgpr_count:     0
    .vgpr_spill_count: 0
    .wavefront_size: 32
    .workgroup_processor_mode: 1
  - .args:
      - .offset:         0
        .size:           80
        .value_kind:     by_value
    .group_segment_fixed_size: 0
    .kernarg_segment_align: 8
    .kernarg_segment_size: 80
    .language:       OpenCL C
    .language_version:
      - 2
      - 0
    .max_flat_workgroup_size: 128
    .name:           _ZN7rocprim17ROCPRIM_400000_NS6detail17trampoline_kernelINS0_14default_configENS1_36segmented_radix_sort_config_selectorIblEEZNS1_25segmented_radix_sort_implIS3_Lb0EPKbPbPKlPlN2at6native12_GLOBAL__N_18offset_tEEE10hipError_tPvRmT1_PNSt15iterator_traitsISK_E10value_typeET2_T3_PNSL_ISQ_E10value_typeET4_jRbjT5_SW_jjP12ihipStream_tbEUlT_E2_NS1_11comp_targetILNS1_3genE10ELNS1_11target_archE1200ELNS1_3gpuE4ELNS1_3repE0EEENS1_30default_config_static_selectorELNS0_4arch9wavefront6targetE0EEEvSK_
    .private_segment_fixed_size: 0
    .sgpr_count:     0
    .sgpr_spill_count: 0
    .symbol:         _ZN7rocprim17ROCPRIM_400000_NS6detail17trampoline_kernelINS0_14default_configENS1_36segmented_radix_sort_config_selectorIblEEZNS1_25segmented_radix_sort_implIS3_Lb0EPKbPbPKlPlN2at6native12_GLOBAL__N_18offset_tEEE10hipError_tPvRmT1_PNSt15iterator_traitsISK_E10value_typeET2_T3_PNSL_ISQ_E10value_typeET4_jRbjT5_SW_jjP12ihipStream_tbEUlT_E2_NS1_11comp_targetILNS1_3genE10ELNS1_11target_archE1200ELNS1_3gpuE4ELNS1_3repE0EEENS1_30default_config_static_selectorELNS0_4arch9wavefront6targetE0EEEvSK_.kd
    .uniform_work_group_size: 1
    .uses_dynamic_stack: false
    .vgpr_count:     0
    .vgpr_spill_count: 0
    .wavefront_size: 32
    .workgroup_processor_mode: 1
  - .args:
      - .offset:         0
        .size:           80
        .value_kind:     by_value
      - .offset:         80
        .size:           4
        .value_kind:     hidden_block_count_x
      - .offset:         84
        .size:           4
        .value_kind:     hidden_block_count_y
      - .offset:         88
        .size:           4
        .value_kind:     hidden_block_count_z
      - .offset:         92
        .size:           2
        .value_kind:     hidden_group_size_x
      - .offset:         94
        .size:           2
        .value_kind:     hidden_group_size_y
      - .offset:         96
        .size:           2
        .value_kind:     hidden_group_size_z
      - .offset:         98
        .size:           2
        .value_kind:     hidden_remainder_x
      - .offset:         100
        .size:           2
        .value_kind:     hidden_remainder_y
      - .offset:         102
        .size:           2
        .value_kind:     hidden_remainder_z
      - .offset:         120
        .size:           8
        .value_kind:     hidden_global_offset_x
      - .offset:         128
        .size:           8
        .value_kind:     hidden_global_offset_y
      - .offset:         136
        .size:           8
        .value_kind:     hidden_global_offset_z
      - .offset:         144
        .size:           2
        .value_kind:     hidden_grid_dims
    .group_segment_fixed_size: 17440
    .kernarg_segment_align: 8
    .kernarg_segment_size: 336
    .language:       OpenCL C
    .language_version:
      - 2
      - 0
    .max_flat_workgroup_size: 256
    .name:           _ZN7rocprim17ROCPRIM_400000_NS6detail17trampoline_kernelINS0_14default_configENS1_36segmented_radix_sort_config_selectorIblEEZNS1_25segmented_radix_sort_implIS3_Lb0EPKbPbPKlPlN2at6native12_GLOBAL__N_18offset_tEEE10hipError_tPvRmT1_PNSt15iterator_traitsISK_E10value_typeET2_T3_PNSL_ISQ_E10value_typeET4_jRbjT5_SW_jjP12ihipStream_tbEUlT_E2_NS1_11comp_targetILNS1_3genE9ELNS1_11target_archE1100ELNS1_3gpuE3ELNS1_3repE0EEENS1_30default_config_static_selectorELNS0_4arch9wavefront6targetE0EEEvSK_
    .private_segment_fixed_size: 0
    .sgpr_count:     56
    .sgpr_spill_count: 0
    .symbol:         _ZN7rocprim17ROCPRIM_400000_NS6detail17trampoline_kernelINS0_14default_configENS1_36segmented_radix_sort_config_selectorIblEEZNS1_25segmented_radix_sort_implIS3_Lb0EPKbPbPKlPlN2at6native12_GLOBAL__N_18offset_tEEE10hipError_tPvRmT1_PNSt15iterator_traitsISK_E10value_typeET2_T3_PNSL_ISQ_E10value_typeET4_jRbjT5_SW_jjP12ihipStream_tbEUlT_E2_NS1_11comp_targetILNS1_3genE9ELNS1_11target_archE1100ELNS1_3gpuE3ELNS1_3repE0EEENS1_30default_config_static_selectorELNS0_4arch9wavefront6targetE0EEEvSK_.kd
    .uniform_work_group_size: 1
    .uses_dynamic_stack: false
    .vgpr_count:     193
    .vgpr_spill_count: 0
    .wavefront_size: 32
    .workgroup_processor_mode: 1
  - .args:
      - .offset:         0
        .size:           80
        .value_kind:     by_value
    .group_segment_fixed_size: 0
    .kernarg_segment_align: 8
    .kernarg_segment_size: 80
    .language:       OpenCL C
    .language_version:
      - 2
      - 0
    .max_flat_workgroup_size: 256
    .name:           _ZN7rocprim17ROCPRIM_400000_NS6detail17trampoline_kernelINS0_14default_configENS1_36segmented_radix_sort_config_selectorIblEEZNS1_25segmented_radix_sort_implIS3_Lb0EPKbPbPKlPlN2at6native12_GLOBAL__N_18offset_tEEE10hipError_tPvRmT1_PNSt15iterator_traitsISK_E10value_typeET2_T3_PNSL_ISQ_E10value_typeET4_jRbjT5_SW_jjP12ihipStream_tbEUlT_E2_NS1_11comp_targetILNS1_3genE8ELNS1_11target_archE1030ELNS1_3gpuE2ELNS1_3repE0EEENS1_30default_config_static_selectorELNS0_4arch9wavefront6targetE0EEEvSK_
    .private_segment_fixed_size: 0
    .sgpr_count:     0
    .sgpr_spill_count: 0
    .symbol:         _ZN7rocprim17ROCPRIM_400000_NS6detail17trampoline_kernelINS0_14default_configENS1_36segmented_radix_sort_config_selectorIblEEZNS1_25segmented_radix_sort_implIS3_Lb0EPKbPbPKlPlN2at6native12_GLOBAL__N_18offset_tEEE10hipError_tPvRmT1_PNSt15iterator_traitsISK_E10value_typeET2_T3_PNSL_ISQ_E10value_typeET4_jRbjT5_SW_jjP12ihipStream_tbEUlT_E2_NS1_11comp_targetILNS1_3genE8ELNS1_11target_archE1030ELNS1_3gpuE2ELNS1_3repE0EEENS1_30default_config_static_selectorELNS0_4arch9wavefront6targetE0EEEvSK_.kd
    .uniform_work_group_size: 1
    .uses_dynamic_stack: false
    .vgpr_count:     0
    .vgpr_spill_count: 0
    .wavefront_size: 32
    .workgroup_processor_mode: 1
  - .args:
      - .address_space:  global
        .offset:         0
        .size:           8
        .value_kind:     global_buffer
      - .address_space:  global
        .offset:         8
        .size:           8
        .value_kind:     global_buffer
      - .address_space:  global
        .offset:         16
        .size:           8
        .value_kind:     global_buffer
      - .address_space:  global
        .offset:         24
        .size:           8
        .value_kind:     global_buffer
      - .offset:         32
        .size:           4
        .value_kind:     by_value
      - .offset:         36
        .size:           4
        .value_kind:     by_value
      - .offset:         40
        .size:           4
        .value_kind:     hidden_block_count_x
      - .offset:         44
        .size:           4
        .value_kind:     hidden_block_count_y
      - .offset:         48
        .size:           4
        .value_kind:     hidden_block_count_z
      - .offset:         52
        .size:           2
        .value_kind:     hidden_group_size_x
      - .offset:         54
        .size:           2
        .value_kind:     hidden_group_size_y
      - .offset:         56
        .size:           2
        .value_kind:     hidden_group_size_z
      - .offset:         58
        .size:           2
        .value_kind:     hidden_remainder_x
      - .offset:         60
        .size:           2
        .value_kind:     hidden_remainder_y
      - .offset:         62
        .size:           2
        .value_kind:     hidden_remainder_z
      - .offset:         80
        .size:           8
        .value_kind:     hidden_global_offset_x
      - .offset:         88
        .size:           8
        .value_kind:     hidden_global_offset_y
      - .offset:         96
        .size:           8
        .value_kind:     hidden_global_offset_z
      - .offset:         104
        .size:           2
        .value_kind:     hidden_grid_dims
    .group_segment_fixed_size: 0
    .kernarg_segment_align: 8
    .kernarg_segment_size: 296
    .language:       OpenCL C
    .language_version:
      - 2
      - 0
    .max_flat_workgroup_size: 1024
    .name:           _ZN2at6native12_GLOBAL__N_123sort_postprocess_kernelIN3c104HalfEEEvPKT_PS5_PlPK15HIP_vector_typeIiLj2EEii
    .private_segment_fixed_size: 0
    .sgpr_count:     18
    .sgpr_spill_count: 0
    .symbol:         _ZN2at6native12_GLOBAL__N_123sort_postprocess_kernelIN3c104HalfEEEvPKT_PS5_PlPK15HIP_vector_typeIiLj2EEii.kd
    .uniform_work_group_size: 1
    .uses_dynamic_stack: false
    .vgpr_count:     17
    .vgpr_spill_count: 0
    .wavefront_size: 32
    .workgroup_processor_mode: 1
  - .args:
      - .offset:         0
        .size:           176
        .value_kind:     by_value
    .group_segment_fixed_size: 0
    .kernarg_segment_align: 8
    .kernarg_segment_size: 176
    .language:       OpenCL C
    .language_version:
      - 2
      - 0
    .max_flat_workgroup_size: 256
    .name:           _ZN7rocprim17ROCPRIM_400000_NS6detail17trampoline_kernelINS0_13select_configILj256ELj13ELNS0_17block_load_methodE3ELS4_3ELS4_3ELNS0_20block_scan_algorithmE0ELj4294967295EEENS1_25partition_config_selectorILNS1_17partition_subalgoE4EjNS0_10empty_typeEbEEZZNS1_14partition_implILS8_4ELb0ES6_15HIP_vector_typeIjLj2EENS0_17counting_iteratorIjlEEPS9_SG_NS0_5tupleIJPjSI_NS0_16reverse_iteratorISI_EEEEENSH_IJSG_SG_SG_EEES9_SI_JZNS1_25segmented_radix_sort_implINS0_14default_configELb1EPK6__halfPSP_PKlPlN2at6native12_GLOBAL__N_18offset_tEEE10hipError_tPvRmT1_PNSt15iterator_traitsIS13_E10value_typeET2_T3_PNS14_IS19_E10value_typeET4_jRbjT5_S1F_jjP12ihipStream_tbEUljE_ZNSN_ISO_Lb1ESR_SS_SU_SV_SZ_EES10_S11_S12_S13_S17_S18_S19_S1C_S1D_jS1E_jS1F_S1F_jjS1H_bEUljE0_EEES10_S11_S12_S19_S1D_S1F_T6_T7_T9_mT8_S1H_bDpT10_ENKUlT_T0_E_clISt17integral_constantIbLb0EES1V_EEDaS1Q_S1R_EUlS1Q_E_NS1_11comp_targetILNS1_3genE0ELNS1_11target_archE4294967295ELNS1_3gpuE0ELNS1_3repE0EEENS1_30default_config_static_selectorELNS0_4arch9wavefront6targetE0EEEvS13_
    .private_segment_fixed_size: 0
    .sgpr_count:     0
    .sgpr_spill_count: 0
    .symbol:         _ZN7rocprim17ROCPRIM_400000_NS6detail17trampoline_kernelINS0_13select_configILj256ELj13ELNS0_17block_load_methodE3ELS4_3ELS4_3ELNS0_20block_scan_algorithmE0ELj4294967295EEENS1_25partition_config_selectorILNS1_17partition_subalgoE4EjNS0_10empty_typeEbEEZZNS1_14partition_implILS8_4ELb0ES6_15HIP_vector_typeIjLj2EENS0_17counting_iteratorIjlEEPS9_SG_NS0_5tupleIJPjSI_NS0_16reverse_iteratorISI_EEEEENSH_IJSG_SG_SG_EEES9_SI_JZNS1_25segmented_radix_sort_implINS0_14default_configELb1EPK6__halfPSP_PKlPlN2at6native12_GLOBAL__N_18offset_tEEE10hipError_tPvRmT1_PNSt15iterator_traitsIS13_E10value_typeET2_T3_PNS14_IS19_E10value_typeET4_jRbjT5_S1F_jjP12ihipStream_tbEUljE_ZNSN_ISO_Lb1ESR_SS_SU_SV_SZ_EES10_S11_S12_S13_S17_S18_S19_S1C_S1D_jS1E_jS1F_S1F_jjS1H_bEUljE0_EEES10_S11_S12_S19_S1D_S1F_T6_T7_T9_mT8_S1H_bDpT10_ENKUlT_T0_E_clISt17integral_constantIbLb0EES1V_EEDaS1Q_S1R_EUlS1Q_E_NS1_11comp_targetILNS1_3genE0ELNS1_11target_archE4294967295ELNS1_3gpuE0ELNS1_3repE0EEENS1_30default_config_static_selectorELNS0_4arch9wavefront6targetE0EEEvS13_.kd
    .uniform_work_group_size: 1
    .uses_dynamic_stack: false
    .vgpr_count:     0
    .vgpr_spill_count: 0
    .wavefront_size: 32
    .workgroup_processor_mode: 1
  - .args:
      - .offset:         0
        .size:           176
        .value_kind:     by_value
    .group_segment_fixed_size: 0
    .kernarg_segment_align: 8
    .kernarg_segment_size: 176
    .language:       OpenCL C
    .language_version:
      - 2
      - 0
    .max_flat_workgroup_size: 256
    .name:           _ZN7rocprim17ROCPRIM_400000_NS6detail17trampoline_kernelINS0_13select_configILj256ELj13ELNS0_17block_load_methodE3ELS4_3ELS4_3ELNS0_20block_scan_algorithmE0ELj4294967295EEENS1_25partition_config_selectorILNS1_17partition_subalgoE4EjNS0_10empty_typeEbEEZZNS1_14partition_implILS8_4ELb0ES6_15HIP_vector_typeIjLj2EENS0_17counting_iteratorIjlEEPS9_SG_NS0_5tupleIJPjSI_NS0_16reverse_iteratorISI_EEEEENSH_IJSG_SG_SG_EEES9_SI_JZNS1_25segmented_radix_sort_implINS0_14default_configELb1EPK6__halfPSP_PKlPlN2at6native12_GLOBAL__N_18offset_tEEE10hipError_tPvRmT1_PNSt15iterator_traitsIS13_E10value_typeET2_T3_PNS14_IS19_E10value_typeET4_jRbjT5_S1F_jjP12ihipStream_tbEUljE_ZNSN_ISO_Lb1ESR_SS_SU_SV_SZ_EES10_S11_S12_S13_S17_S18_S19_S1C_S1D_jS1E_jS1F_S1F_jjS1H_bEUljE0_EEES10_S11_S12_S19_S1D_S1F_T6_T7_T9_mT8_S1H_bDpT10_ENKUlT_T0_E_clISt17integral_constantIbLb0EES1V_EEDaS1Q_S1R_EUlS1Q_E_NS1_11comp_targetILNS1_3genE5ELNS1_11target_archE942ELNS1_3gpuE9ELNS1_3repE0EEENS1_30default_config_static_selectorELNS0_4arch9wavefront6targetE0EEEvS13_
    .private_segment_fixed_size: 0
    .sgpr_count:     0
    .sgpr_spill_count: 0
    .symbol:         _ZN7rocprim17ROCPRIM_400000_NS6detail17trampoline_kernelINS0_13select_configILj256ELj13ELNS0_17block_load_methodE3ELS4_3ELS4_3ELNS0_20block_scan_algorithmE0ELj4294967295EEENS1_25partition_config_selectorILNS1_17partition_subalgoE4EjNS0_10empty_typeEbEEZZNS1_14partition_implILS8_4ELb0ES6_15HIP_vector_typeIjLj2EENS0_17counting_iteratorIjlEEPS9_SG_NS0_5tupleIJPjSI_NS0_16reverse_iteratorISI_EEEEENSH_IJSG_SG_SG_EEES9_SI_JZNS1_25segmented_radix_sort_implINS0_14default_configELb1EPK6__halfPSP_PKlPlN2at6native12_GLOBAL__N_18offset_tEEE10hipError_tPvRmT1_PNSt15iterator_traitsIS13_E10value_typeET2_T3_PNS14_IS19_E10value_typeET4_jRbjT5_S1F_jjP12ihipStream_tbEUljE_ZNSN_ISO_Lb1ESR_SS_SU_SV_SZ_EES10_S11_S12_S13_S17_S18_S19_S1C_S1D_jS1E_jS1F_S1F_jjS1H_bEUljE0_EEES10_S11_S12_S19_S1D_S1F_T6_T7_T9_mT8_S1H_bDpT10_ENKUlT_T0_E_clISt17integral_constantIbLb0EES1V_EEDaS1Q_S1R_EUlS1Q_E_NS1_11comp_targetILNS1_3genE5ELNS1_11target_archE942ELNS1_3gpuE9ELNS1_3repE0EEENS1_30default_config_static_selectorELNS0_4arch9wavefront6targetE0EEEvS13_.kd
    .uniform_work_group_size: 1
    .uses_dynamic_stack: false
    .vgpr_count:     0
    .vgpr_spill_count: 0
    .wavefront_size: 32
    .workgroup_processor_mode: 1
  - .args:
      - .offset:         0
        .size:           176
        .value_kind:     by_value
    .group_segment_fixed_size: 0
    .kernarg_segment_align: 8
    .kernarg_segment_size: 176
    .language:       OpenCL C
    .language_version:
      - 2
      - 0
    .max_flat_workgroup_size: 256
    .name:           _ZN7rocprim17ROCPRIM_400000_NS6detail17trampoline_kernelINS0_13select_configILj256ELj13ELNS0_17block_load_methodE3ELS4_3ELS4_3ELNS0_20block_scan_algorithmE0ELj4294967295EEENS1_25partition_config_selectorILNS1_17partition_subalgoE4EjNS0_10empty_typeEbEEZZNS1_14partition_implILS8_4ELb0ES6_15HIP_vector_typeIjLj2EENS0_17counting_iteratorIjlEEPS9_SG_NS0_5tupleIJPjSI_NS0_16reverse_iteratorISI_EEEEENSH_IJSG_SG_SG_EEES9_SI_JZNS1_25segmented_radix_sort_implINS0_14default_configELb1EPK6__halfPSP_PKlPlN2at6native12_GLOBAL__N_18offset_tEEE10hipError_tPvRmT1_PNSt15iterator_traitsIS13_E10value_typeET2_T3_PNS14_IS19_E10value_typeET4_jRbjT5_S1F_jjP12ihipStream_tbEUljE_ZNSN_ISO_Lb1ESR_SS_SU_SV_SZ_EES10_S11_S12_S13_S17_S18_S19_S1C_S1D_jS1E_jS1F_S1F_jjS1H_bEUljE0_EEES10_S11_S12_S19_S1D_S1F_T6_T7_T9_mT8_S1H_bDpT10_ENKUlT_T0_E_clISt17integral_constantIbLb0EES1V_EEDaS1Q_S1R_EUlS1Q_E_NS1_11comp_targetILNS1_3genE4ELNS1_11target_archE910ELNS1_3gpuE8ELNS1_3repE0EEENS1_30default_config_static_selectorELNS0_4arch9wavefront6targetE0EEEvS13_
    .private_segment_fixed_size: 0
    .sgpr_count:     0
    .sgpr_spill_count: 0
    .symbol:         _ZN7rocprim17ROCPRIM_400000_NS6detail17trampoline_kernelINS0_13select_configILj256ELj13ELNS0_17block_load_methodE3ELS4_3ELS4_3ELNS0_20block_scan_algorithmE0ELj4294967295EEENS1_25partition_config_selectorILNS1_17partition_subalgoE4EjNS0_10empty_typeEbEEZZNS1_14partition_implILS8_4ELb0ES6_15HIP_vector_typeIjLj2EENS0_17counting_iteratorIjlEEPS9_SG_NS0_5tupleIJPjSI_NS0_16reverse_iteratorISI_EEEEENSH_IJSG_SG_SG_EEES9_SI_JZNS1_25segmented_radix_sort_implINS0_14default_configELb1EPK6__halfPSP_PKlPlN2at6native12_GLOBAL__N_18offset_tEEE10hipError_tPvRmT1_PNSt15iterator_traitsIS13_E10value_typeET2_T3_PNS14_IS19_E10value_typeET4_jRbjT5_S1F_jjP12ihipStream_tbEUljE_ZNSN_ISO_Lb1ESR_SS_SU_SV_SZ_EES10_S11_S12_S13_S17_S18_S19_S1C_S1D_jS1E_jS1F_S1F_jjS1H_bEUljE0_EEES10_S11_S12_S19_S1D_S1F_T6_T7_T9_mT8_S1H_bDpT10_ENKUlT_T0_E_clISt17integral_constantIbLb0EES1V_EEDaS1Q_S1R_EUlS1Q_E_NS1_11comp_targetILNS1_3genE4ELNS1_11target_archE910ELNS1_3gpuE8ELNS1_3repE0EEENS1_30default_config_static_selectorELNS0_4arch9wavefront6targetE0EEEvS13_.kd
    .uniform_work_group_size: 1
    .uses_dynamic_stack: false
    .vgpr_count:     0
    .vgpr_spill_count: 0
    .wavefront_size: 32
    .workgroup_processor_mode: 1
  - .args:
      - .offset:         0
        .size:           176
        .value_kind:     by_value
    .group_segment_fixed_size: 0
    .kernarg_segment_align: 8
    .kernarg_segment_size: 176
    .language:       OpenCL C
    .language_version:
      - 2
      - 0
    .max_flat_workgroup_size: 256
    .name:           _ZN7rocprim17ROCPRIM_400000_NS6detail17trampoline_kernelINS0_13select_configILj256ELj13ELNS0_17block_load_methodE3ELS4_3ELS4_3ELNS0_20block_scan_algorithmE0ELj4294967295EEENS1_25partition_config_selectorILNS1_17partition_subalgoE4EjNS0_10empty_typeEbEEZZNS1_14partition_implILS8_4ELb0ES6_15HIP_vector_typeIjLj2EENS0_17counting_iteratorIjlEEPS9_SG_NS0_5tupleIJPjSI_NS0_16reverse_iteratorISI_EEEEENSH_IJSG_SG_SG_EEES9_SI_JZNS1_25segmented_radix_sort_implINS0_14default_configELb1EPK6__halfPSP_PKlPlN2at6native12_GLOBAL__N_18offset_tEEE10hipError_tPvRmT1_PNSt15iterator_traitsIS13_E10value_typeET2_T3_PNS14_IS19_E10value_typeET4_jRbjT5_S1F_jjP12ihipStream_tbEUljE_ZNSN_ISO_Lb1ESR_SS_SU_SV_SZ_EES10_S11_S12_S13_S17_S18_S19_S1C_S1D_jS1E_jS1F_S1F_jjS1H_bEUljE0_EEES10_S11_S12_S19_S1D_S1F_T6_T7_T9_mT8_S1H_bDpT10_ENKUlT_T0_E_clISt17integral_constantIbLb0EES1V_EEDaS1Q_S1R_EUlS1Q_E_NS1_11comp_targetILNS1_3genE3ELNS1_11target_archE908ELNS1_3gpuE7ELNS1_3repE0EEENS1_30default_config_static_selectorELNS0_4arch9wavefront6targetE0EEEvS13_
    .private_segment_fixed_size: 0
    .sgpr_count:     0
    .sgpr_spill_count: 0
    .symbol:         _ZN7rocprim17ROCPRIM_400000_NS6detail17trampoline_kernelINS0_13select_configILj256ELj13ELNS0_17block_load_methodE3ELS4_3ELS4_3ELNS0_20block_scan_algorithmE0ELj4294967295EEENS1_25partition_config_selectorILNS1_17partition_subalgoE4EjNS0_10empty_typeEbEEZZNS1_14partition_implILS8_4ELb0ES6_15HIP_vector_typeIjLj2EENS0_17counting_iteratorIjlEEPS9_SG_NS0_5tupleIJPjSI_NS0_16reverse_iteratorISI_EEEEENSH_IJSG_SG_SG_EEES9_SI_JZNS1_25segmented_radix_sort_implINS0_14default_configELb1EPK6__halfPSP_PKlPlN2at6native12_GLOBAL__N_18offset_tEEE10hipError_tPvRmT1_PNSt15iterator_traitsIS13_E10value_typeET2_T3_PNS14_IS19_E10value_typeET4_jRbjT5_S1F_jjP12ihipStream_tbEUljE_ZNSN_ISO_Lb1ESR_SS_SU_SV_SZ_EES10_S11_S12_S13_S17_S18_S19_S1C_S1D_jS1E_jS1F_S1F_jjS1H_bEUljE0_EEES10_S11_S12_S19_S1D_S1F_T6_T7_T9_mT8_S1H_bDpT10_ENKUlT_T0_E_clISt17integral_constantIbLb0EES1V_EEDaS1Q_S1R_EUlS1Q_E_NS1_11comp_targetILNS1_3genE3ELNS1_11target_archE908ELNS1_3gpuE7ELNS1_3repE0EEENS1_30default_config_static_selectorELNS0_4arch9wavefront6targetE0EEEvS13_.kd
    .uniform_work_group_size: 1
    .uses_dynamic_stack: false
    .vgpr_count:     0
    .vgpr_spill_count: 0
    .wavefront_size: 32
    .workgroup_processor_mode: 1
  - .args:
      - .offset:         0
        .size:           176
        .value_kind:     by_value
    .group_segment_fixed_size: 0
    .kernarg_segment_align: 8
    .kernarg_segment_size: 176
    .language:       OpenCL C
    .language_version:
      - 2
      - 0
    .max_flat_workgroup_size: 256
    .name:           _ZN7rocprim17ROCPRIM_400000_NS6detail17trampoline_kernelINS0_13select_configILj256ELj13ELNS0_17block_load_methodE3ELS4_3ELS4_3ELNS0_20block_scan_algorithmE0ELj4294967295EEENS1_25partition_config_selectorILNS1_17partition_subalgoE4EjNS0_10empty_typeEbEEZZNS1_14partition_implILS8_4ELb0ES6_15HIP_vector_typeIjLj2EENS0_17counting_iteratorIjlEEPS9_SG_NS0_5tupleIJPjSI_NS0_16reverse_iteratorISI_EEEEENSH_IJSG_SG_SG_EEES9_SI_JZNS1_25segmented_radix_sort_implINS0_14default_configELb1EPK6__halfPSP_PKlPlN2at6native12_GLOBAL__N_18offset_tEEE10hipError_tPvRmT1_PNSt15iterator_traitsIS13_E10value_typeET2_T3_PNS14_IS19_E10value_typeET4_jRbjT5_S1F_jjP12ihipStream_tbEUljE_ZNSN_ISO_Lb1ESR_SS_SU_SV_SZ_EES10_S11_S12_S13_S17_S18_S19_S1C_S1D_jS1E_jS1F_S1F_jjS1H_bEUljE0_EEES10_S11_S12_S19_S1D_S1F_T6_T7_T9_mT8_S1H_bDpT10_ENKUlT_T0_E_clISt17integral_constantIbLb0EES1V_EEDaS1Q_S1R_EUlS1Q_E_NS1_11comp_targetILNS1_3genE2ELNS1_11target_archE906ELNS1_3gpuE6ELNS1_3repE0EEENS1_30default_config_static_selectorELNS0_4arch9wavefront6targetE0EEEvS13_
    .private_segment_fixed_size: 0
    .sgpr_count:     0
    .sgpr_spill_count: 0
    .symbol:         _ZN7rocprim17ROCPRIM_400000_NS6detail17trampoline_kernelINS0_13select_configILj256ELj13ELNS0_17block_load_methodE3ELS4_3ELS4_3ELNS0_20block_scan_algorithmE0ELj4294967295EEENS1_25partition_config_selectorILNS1_17partition_subalgoE4EjNS0_10empty_typeEbEEZZNS1_14partition_implILS8_4ELb0ES6_15HIP_vector_typeIjLj2EENS0_17counting_iteratorIjlEEPS9_SG_NS0_5tupleIJPjSI_NS0_16reverse_iteratorISI_EEEEENSH_IJSG_SG_SG_EEES9_SI_JZNS1_25segmented_radix_sort_implINS0_14default_configELb1EPK6__halfPSP_PKlPlN2at6native12_GLOBAL__N_18offset_tEEE10hipError_tPvRmT1_PNSt15iterator_traitsIS13_E10value_typeET2_T3_PNS14_IS19_E10value_typeET4_jRbjT5_S1F_jjP12ihipStream_tbEUljE_ZNSN_ISO_Lb1ESR_SS_SU_SV_SZ_EES10_S11_S12_S13_S17_S18_S19_S1C_S1D_jS1E_jS1F_S1F_jjS1H_bEUljE0_EEES10_S11_S12_S19_S1D_S1F_T6_T7_T9_mT8_S1H_bDpT10_ENKUlT_T0_E_clISt17integral_constantIbLb0EES1V_EEDaS1Q_S1R_EUlS1Q_E_NS1_11comp_targetILNS1_3genE2ELNS1_11target_archE906ELNS1_3gpuE6ELNS1_3repE0EEENS1_30default_config_static_selectorELNS0_4arch9wavefront6targetE0EEEvS13_.kd
    .uniform_work_group_size: 1
    .uses_dynamic_stack: false
    .vgpr_count:     0
    .vgpr_spill_count: 0
    .wavefront_size: 32
    .workgroup_processor_mode: 1
  - .args:
      - .offset:         0
        .size:           176
        .value_kind:     by_value
    .group_segment_fixed_size: 0
    .kernarg_segment_align: 8
    .kernarg_segment_size: 176
    .language:       OpenCL C
    .language_version:
      - 2
      - 0
    .max_flat_workgroup_size: 256
    .name:           _ZN7rocprim17ROCPRIM_400000_NS6detail17trampoline_kernelINS0_13select_configILj256ELj13ELNS0_17block_load_methodE3ELS4_3ELS4_3ELNS0_20block_scan_algorithmE0ELj4294967295EEENS1_25partition_config_selectorILNS1_17partition_subalgoE4EjNS0_10empty_typeEbEEZZNS1_14partition_implILS8_4ELb0ES6_15HIP_vector_typeIjLj2EENS0_17counting_iteratorIjlEEPS9_SG_NS0_5tupleIJPjSI_NS0_16reverse_iteratorISI_EEEEENSH_IJSG_SG_SG_EEES9_SI_JZNS1_25segmented_radix_sort_implINS0_14default_configELb1EPK6__halfPSP_PKlPlN2at6native12_GLOBAL__N_18offset_tEEE10hipError_tPvRmT1_PNSt15iterator_traitsIS13_E10value_typeET2_T3_PNS14_IS19_E10value_typeET4_jRbjT5_S1F_jjP12ihipStream_tbEUljE_ZNSN_ISO_Lb1ESR_SS_SU_SV_SZ_EES10_S11_S12_S13_S17_S18_S19_S1C_S1D_jS1E_jS1F_S1F_jjS1H_bEUljE0_EEES10_S11_S12_S19_S1D_S1F_T6_T7_T9_mT8_S1H_bDpT10_ENKUlT_T0_E_clISt17integral_constantIbLb0EES1V_EEDaS1Q_S1R_EUlS1Q_E_NS1_11comp_targetILNS1_3genE10ELNS1_11target_archE1200ELNS1_3gpuE4ELNS1_3repE0EEENS1_30default_config_static_selectorELNS0_4arch9wavefront6targetE0EEEvS13_
    .private_segment_fixed_size: 0
    .sgpr_count:     0
    .sgpr_spill_count: 0
    .symbol:         _ZN7rocprim17ROCPRIM_400000_NS6detail17trampoline_kernelINS0_13select_configILj256ELj13ELNS0_17block_load_methodE3ELS4_3ELS4_3ELNS0_20block_scan_algorithmE0ELj4294967295EEENS1_25partition_config_selectorILNS1_17partition_subalgoE4EjNS0_10empty_typeEbEEZZNS1_14partition_implILS8_4ELb0ES6_15HIP_vector_typeIjLj2EENS0_17counting_iteratorIjlEEPS9_SG_NS0_5tupleIJPjSI_NS0_16reverse_iteratorISI_EEEEENSH_IJSG_SG_SG_EEES9_SI_JZNS1_25segmented_radix_sort_implINS0_14default_configELb1EPK6__halfPSP_PKlPlN2at6native12_GLOBAL__N_18offset_tEEE10hipError_tPvRmT1_PNSt15iterator_traitsIS13_E10value_typeET2_T3_PNS14_IS19_E10value_typeET4_jRbjT5_S1F_jjP12ihipStream_tbEUljE_ZNSN_ISO_Lb1ESR_SS_SU_SV_SZ_EES10_S11_S12_S13_S17_S18_S19_S1C_S1D_jS1E_jS1F_S1F_jjS1H_bEUljE0_EEES10_S11_S12_S19_S1D_S1F_T6_T7_T9_mT8_S1H_bDpT10_ENKUlT_T0_E_clISt17integral_constantIbLb0EES1V_EEDaS1Q_S1R_EUlS1Q_E_NS1_11comp_targetILNS1_3genE10ELNS1_11target_archE1200ELNS1_3gpuE4ELNS1_3repE0EEENS1_30default_config_static_selectorELNS0_4arch9wavefront6targetE0EEEvS13_.kd
    .uniform_work_group_size: 1
    .uses_dynamic_stack: false
    .vgpr_count:     0
    .vgpr_spill_count: 0
    .wavefront_size: 32
    .workgroup_processor_mode: 1
  - .args:
      - .offset:         0
        .size:           176
        .value_kind:     by_value
    .group_segment_fixed_size: 13340
    .kernarg_segment_align: 8
    .kernarg_segment_size: 176
    .language:       OpenCL C
    .language_version:
      - 2
      - 0
    .max_flat_workgroup_size: 256
    .name:           _ZN7rocprim17ROCPRIM_400000_NS6detail17trampoline_kernelINS0_13select_configILj256ELj13ELNS0_17block_load_methodE3ELS4_3ELS4_3ELNS0_20block_scan_algorithmE0ELj4294967295EEENS1_25partition_config_selectorILNS1_17partition_subalgoE4EjNS0_10empty_typeEbEEZZNS1_14partition_implILS8_4ELb0ES6_15HIP_vector_typeIjLj2EENS0_17counting_iteratorIjlEEPS9_SG_NS0_5tupleIJPjSI_NS0_16reverse_iteratorISI_EEEEENSH_IJSG_SG_SG_EEES9_SI_JZNS1_25segmented_radix_sort_implINS0_14default_configELb1EPK6__halfPSP_PKlPlN2at6native12_GLOBAL__N_18offset_tEEE10hipError_tPvRmT1_PNSt15iterator_traitsIS13_E10value_typeET2_T3_PNS14_IS19_E10value_typeET4_jRbjT5_S1F_jjP12ihipStream_tbEUljE_ZNSN_ISO_Lb1ESR_SS_SU_SV_SZ_EES10_S11_S12_S13_S17_S18_S19_S1C_S1D_jS1E_jS1F_S1F_jjS1H_bEUljE0_EEES10_S11_S12_S19_S1D_S1F_T6_T7_T9_mT8_S1H_bDpT10_ENKUlT_T0_E_clISt17integral_constantIbLb0EES1V_EEDaS1Q_S1R_EUlS1Q_E_NS1_11comp_targetILNS1_3genE9ELNS1_11target_archE1100ELNS1_3gpuE3ELNS1_3repE0EEENS1_30default_config_static_selectorELNS0_4arch9wavefront6targetE0EEEvS13_
    .private_segment_fixed_size: 0
    .sgpr_count:     61
    .sgpr_spill_count: 0
    .symbol:         _ZN7rocprim17ROCPRIM_400000_NS6detail17trampoline_kernelINS0_13select_configILj256ELj13ELNS0_17block_load_methodE3ELS4_3ELS4_3ELNS0_20block_scan_algorithmE0ELj4294967295EEENS1_25partition_config_selectorILNS1_17partition_subalgoE4EjNS0_10empty_typeEbEEZZNS1_14partition_implILS8_4ELb0ES6_15HIP_vector_typeIjLj2EENS0_17counting_iteratorIjlEEPS9_SG_NS0_5tupleIJPjSI_NS0_16reverse_iteratorISI_EEEEENSH_IJSG_SG_SG_EEES9_SI_JZNS1_25segmented_radix_sort_implINS0_14default_configELb1EPK6__halfPSP_PKlPlN2at6native12_GLOBAL__N_18offset_tEEE10hipError_tPvRmT1_PNSt15iterator_traitsIS13_E10value_typeET2_T3_PNS14_IS19_E10value_typeET4_jRbjT5_S1F_jjP12ihipStream_tbEUljE_ZNSN_ISO_Lb1ESR_SS_SU_SV_SZ_EES10_S11_S12_S13_S17_S18_S19_S1C_S1D_jS1E_jS1F_S1F_jjS1H_bEUljE0_EEES10_S11_S12_S19_S1D_S1F_T6_T7_T9_mT8_S1H_bDpT10_ENKUlT_T0_E_clISt17integral_constantIbLb0EES1V_EEDaS1Q_S1R_EUlS1Q_E_NS1_11comp_targetILNS1_3genE9ELNS1_11target_archE1100ELNS1_3gpuE3ELNS1_3repE0EEENS1_30default_config_static_selectorELNS0_4arch9wavefront6targetE0EEEvS13_.kd
    .uniform_work_group_size: 1
    .uses_dynamic_stack: false
    .vgpr_count:     98
    .vgpr_spill_count: 0
    .wavefront_size: 32
    .workgroup_processor_mode: 1
  - .args:
      - .offset:         0
        .size:           176
        .value_kind:     by_value
    .group_segment_fixed_size: 0
    .kernarg_segment_align: 8
    .kernarg_segment_size: 176
    .language:       OpenCL C
    .language_version:
      - 2
      - 0
    .max_flat_workgroup_size: 256
    .name:           _ZN7rocprim17ROCPRIM_400000_NS6detail17trampoline_kernelINS0_13select_configILj256ELj13ELNS0_17block_load_methodE3ELS4_3ELS4_3ELNS0_20block_scan_algorithmE0ELj4294967295EEENS1_25partition_config_selectorILNS1_17partition_subalgoE4EjNS0_10empty_typeEbEEZZNS1_14partition_implILS8_4ELb0ES6_15HIP_vector_typeIjLj2EENS0_17counting_iteratorIjlEEPS9_SG_NS0_5tupleIJPjSI_NS0_16reverse_iteratorISI_EEEEENSH_IJSG_SG_SG_EEES9_SI_JZNS1_25segmented_radix_sort_implINS0_14default_configELb1EPK6__halfPSP_PKlPlN2at6native12_GLOBAL__N_18offset_tEEE10hipError_tPvRmT1_PNSt15iterator_traitsIS13_E10value_typeET2_T3_PNS14_IS19_E10value_typeET4_jRbjT5_S1F_jjP12ihipStream_tbEUljE_ZNSN_ISO_Lb1ESR_SS_SU_SV_SZ_EES10_S11_S12_S13_S17_S18_S19_S1C_S1D_jS1E_jS1F_S1F_jjS1H_bEUljE0_EEES10_S11_S12_S19_S1D_S1F_T6_T7_T9_mT8_S1H_bDpT10_ENKUlT_T0_E_clISt17integral_constantIbLb0EES1V_EEDaS1Q_S1R_EUlS1Q_E_NS1_11comp_targetILNS1_3genE8ELNS1_11target_archE1030ELNS1_3gpuE2ELNS1_3repE0EEENS1_30default_config_static_selectorELNS0_4arch9wavefront6targetE0EEEvS13_
    .private_segment_fixed_size: 0
    .sgpr_count:     0
    .sgpr_spill_count: 0
    .symbol:         _ZN7rocprim17ROCPRIM_400000_NS6detail17trampoline_kernelINS0_13select_configILj256ELj13ELNS0_17block_load_methodE3ELS4_3ELS4_3ELNS0_20block_scan_algorithmE0ELj4294967295EEENS1_25partition_config_selectorILNS1_17partition_subalgoE4EjNS0_10empty_typeEbEEZZNS1_14partition_implILS8_4ELb0ES6_15HIP_vector_typeIjLj2EENS0_17counting_iteratorIjlEEPS9_SG_NS0_5tupleIJPjSI_NS0_16reverse_iteratorISI_EEEEENSH_IJSG_SG_SG_EEES9_SI_JZNS1_25segmented_radix_sort_implINS0_14default_configELb1EPK6__halfPSP_PKlPlN2at6native12_GLOBAL__N_18offset_tEEE10hipError_tPvRmT1_PNSt15iterator_traitsIS13_E10value_typeET2_T3_PNS14_IS19_E10value_typeET4_jRbjT5_S1F_jjP12ihipStream_tbEUljE_ZNSN_ISO_Lb1ESR_SS_SU_SV_SZ_EES10_S11_S12_S13_S17_S18_S19_S1C_S1D_jS1E_jS1F_S1F_jjS1H_bEUljE0_EEES10_S11_S12_S19_S1D_S1F_T6_T7_T9_mT8_S1H_bDpT10_ENKUlT_T0_E_clISt17integral_constantIbLb0EES1V_EEDaS1Q_S1R_EUlS1Q_E_NS1_11comp_targetILNS1_3genE8ELNS1_11target_archE1030ELNS1_3gpuE2ELNS1_3repE0EEENS1_30default_config_static_selectorELNS0_4arch9wavefront6targetE0EEEvS13_.kd
    .uniform_work_group_size: 1
    .uses_dynamic_stack: false
    .vgpr_count:     0
    .vgpr_spill_count: 0
    .wavefront_size: 32
    .workgroup_processor_mode: 1
  - .args:
      - .offset:         0
        .size:           184
        .value_kind:     by_value
    .group_segment_fixed_size: 0
    .kernarg_segment_align: 8
    .kernarg_segment_size: 184
    .language:       OpenCL C
    .language_version:
      - 2
      - 0
    .max_flat_workgroup_size: 256
    .name:           _ZN7rocprim17ROCPRIM_400000_NS6detail17trampoline_kernelINS0_13select_configILj256ELj13ELNS0_17block_load_methodE3ELS4_3ELS4_3ELNS0_20block_scan_algorithmE0ELj4294967295EEENS1_25partition_config_selectorILNS1_17partition_subalgoE4EjNS0_10empty_typeEbEEZZNS1_14partition_implILS8_4ELb0ES6_15HIP_vector_typeIjLj2EENS0_17counting_iteratorIjlEEPS9_SG_NS0_5tupleIJPjSI_NS0_16reverse_iteratorISI_EEEEENSH_IJSG_SG_SG_EEES9_SI_JZNS1_25segmented_radix_sort_implINS0_14default_configELb1EPK6__halfPSP_PKlPlN2at6native12_GLOBAL__N_18offset_tEEE10hipError_tPvRmT1_PNSt15iterator_traitsIS13_E10value_typeET2_T3_PNS14_IS19_E10value_typeET4_jRbjT5_S1F_jjP12ihipStream_tbEUljE_ZNSN_ISO_Lb1ESR_SS_SU_SV_SZ_EES10_S11_S12_S13_S17_S18_S19_S1C_S1D_jS1E_jS1F_S1F_jjS1H_bEUljE0_EEES10_S11_S12_S19_S1D_S1F_T6_T7_T9_mT8_S1H_bDpT10_ENKUlT_T0_E_clISt17integral_constantIbLb1EES1V_EEDaS1Q_S1R_EUlS1Q_E_NS1_11comp_targetILNS1_3genE0ELNS1_11target_archE4294967295ELNS1_3gpuE0ELNS1_3repE0EEENS1_30default_config_static_selectorELNS0_4arch9wavefront6targetE0EEEvS13_
    .private_segment_fixed_size: 0
    .sgpr_count:     0
    .sgpr_spill_count: 0
    .symbol:         _ZN7rocprim17ROCPRIM_400000_NS6detail17trampoline_kernelINS0_13select_configILj256ELj13ELNS0_17block_load_methodE3ELS4_3ELS4_3ELNS0_20block_scan_algorithmE0ELj4294967295EEENS1_25partition_config_selectorILNS1_17partition_subalgoE4EjNS0_10empty_typeEbEEZZNS1_14partition_implILS8_4ELb0ES6_15HIP_vector_typeIjLj2EENS0_17counting_iteratorIjlEEPS9_SG_NS0_5tupleIJPjSI_NS0_16reverse_iteratorISI_EEEEENSH_IJSG_SG_SG_EEES9_SI_JZNS1_25segmented_radix_sort_implINS0_14default_configELb1EPK6__halfPSP_PKlPlN2at6native12_GLOBAL__N_18offset_tEEE10hipError_tPvRmT1_PNSt15iterator_traitsIS13_E10value_typeET2_T3_PNS14_IS19_E10value_typeET4_jRbjT5_S1F_jjP12ihipStream_tbEUljE_ZNSN_ISO_Lb1ESR_SS_SU_SV_SZ_EES10_S11_S12_S13_S17_S18_S19_S1C_S1D_jS1E_jS1F_S1F_jjS1H_bEUljE0_EEES10_S11_S12_S19_S1D_S1F_T6_T7_T9_mT8_S1H_bDpT10_ENKUlT_T0_E_clISt17integral_constantIbLb1EES1V_EEDaS1Q_S1R_EUlS1Q_E_NS1_11comp_targetILNS1_3genE0ELNS1_11target_archE4294967295ELNS1_3gpuE0ELNS1_3repE0EEENS1_30default_config_static_selectorELNS0_4arch9wavefront6targetE0EEEvS13_.kd
    .uniform_work_group_size: 1
    .uses_dynamic_stack: false
    .vgpr_count:     0
    .vgpr_spill_count: 0
    .wavefront_size: 32
    .workgroup_processor_mode: 1
  - .args:
      - .offset:         0
        .size:           184
        .value_kind:     by_value
    .group_segment_fixed_size: 0
    .kernarg_segment_align: 8
    .kernarg_segment_size: 184
    .language:       OpenCL C
    .language_version:
      - 2
      - 0
    .max_flat_workgroup_size: 256
    .name:           _ZN7rocprim17ROCPRIM_400000_NS6detail17trampoline_kernelINS0_13select_configILj256ELj13ELNS0_17block_load_methodE3ELS4_3ELS4_3ELNS0_20block_scan_algorithmE0ELj4294967295EEENS1_25partition_config_selectorILNS1_17partition_subalgoE4EjNS0_10empty_typeEbEEZZNS1_14partition_implILS8_4ELb0ES6_15HIP_vector_typeIjLj2EENS0_17counting_iteratorIjlEEPS9_SG_NS0_5tupleIJPjSI_NS0_16reverse_iteratorISI_EEEEENSH_IJSG_SG_SG_EEES9_SI_JZNS1_25segmented_radix_sort_implINS0_14default_configELb1EPK6__halfPSP_PKlPlN2at6native12_GLOBAL__N_18offset_tEEE10hipError_tPvRmT1_PNSt15iterator_traitsIS13_E10value_typeET2_T3_PNS14_IS19_E10value_typeET4_jRbjT5_S1F_jjP12ihipStream_tbEUljE_ZNSN_ISO_Lb1ESR_SS_SU_SV_SZ_EES10_S11_S12_S13_S17_S18_S19_S1C_S1D_jS1E_jS1F_S1F_jjS1H_bEUljE0_EEES10_S11_S12_S19_S1D_S1F_T6_T7_T9_mT8_S1H_bDpT10_ENKUlT_T0_E_clISt17integral_constantIbLb1EES1V_EEDaS1Q_S1R_EUlS1Q_E_NS1_11comp_targetILNS1_3genE5ELNS1_11target_archE942ELNS1_3gpuE9ELNS1_3repE0EEENS1_30default_config_static_selectorELNS0_4arch9wavefront6targetE0EEEvS13_
    .private_segment_fixed_size: 0
    .sgpr_count:     0
    .sgpr_spill_count: 0
    .symbol:         _ZN7rocprim17ROCPRIM_400000_NS6detail17trampoline_kernelINS0_13select_configILj256ELj13ELNS0_17block_load_methodE3ELS4_3ELS4_3ELNS0_20block_scan_algorithmE0ELj4294967295EEENS1_25partition_config_selectorILNS1_17partition_subalgoE4EjNS0_10empty_typeEbEEZZNS1_14partition_implILS8_4ELb0ES6_15HIP_vector_typeIjLj2EENS0_17counting_iteratorIjlEEPS9_SG_NS0_5tupleIJPjSI_NS0_16reverse_iteratorISI_EEEEENSH_IJSG_SG_SG_EEES9_SI_JZNS1_25segmented_radix_sort_implINS0_14default_configELb1EPK6__halfPSP_PKlPlN2at6native12_GLOBAL__N_18offset_tEEE10hipError_tPvRmT1_PNSt15iterator_traitsIS13_E10value_typeET2_T3_PNS14_IS19_E10value_typeET4_jRbjT5_S1F_jjP12ihipStream_tbEUljE_ZNSN_ISO_Lb1ESR_SS_SU_SV_SZ_EES10_S11_S12_S13_S17_S18_S19_S1C_S1D_jS1E_jS1F_S1F_jjS1H_bEUljE0_EEES10_S11_S12_S19_S1D_S1F_T6_T7_T9_mT8_S1H_bDpT10_ENKUlT_T0_E_clISt17integral_constantIbLb1EES1V_EEDaS1Q_S1R_EUlS1Q_E_NS1_11comp_targetILNS1_3genE5ELNS1_11target_archE942ELNS1_3gpuE9ELNS1_3repE0EEENS1_30default_config_static_selectorELNS0_4arch9wavefront6targetE0EEEvS13_.kd
    .uniform_work_group_size: 1
    .uses_dynamic_stack: false
    .vgpr_count:     0
    .vgpr_spill_count: 0
    .wavefront_size: 32
    .workgroup_processor_mode: 1
  - .args:
      - .offset:         0
        .size:           184
        .value_kind:     by_value
    .group_segment_fixed_size: 0
    .kernarg_segment_align: 8
    .kernarg_segment_size: 184
    .language:       OpenCL C
    .language_version:
      - 2
      - 0
    .max_flat_workgroup_size: 256
    .name:           _ZN7rocprim17ROCPRIM_400000_NS6detail17trampoline_kernelINS0_13select_configILj256ELj13ELNS0_17block_load_methodE3ELS4_3ELS4_3ELNS0_20block_scan_algorithmE0ELj4294967295EEENS1_25partition_config_selectorILNS1_17partition_subalgoE4EjNS0_10empty_typeEbEEZZNS1_14partition_implILS8_4ELb0ES6_15HIP_vector_typeIjLj2EENS0_17counting_iteratorIjlEEPS9_SG_NS0_5tupleIJPjSI_NS0_16reverse_iteratorISI_EEEEENSH_IJSG_SG_SG_EEES9_SI_JZNS1_25segmented_radix_sort_implINS0_14default_configELb1EPK6__halfPSP_PKlPlN2at6native12_GLOBAL__N_18offset_tEEE10hipError_tPvRmT1_PNSt15iterator_traitsIS13_E10value_typeET2_T3_PNS14_IS19_E10value_typeET4_jRbjT5_S1F_jjP12ihipStream_tbEUljE_ZNSN_ISO_Lb1ESR_SS_SU_SV_SZ_EES10_S11_S12_S13_S17_S18_S19_S1C_S1D_jS1E_jS1F_S1F_jjS1H_bEUljE0_EEES10_S11_S12_S19_S1D_S1F_T6_T7_T9_mT8_S1H_bDpT10_ENKUlT_T0_E_clISt17integral_constantIbLb1EES1V_EEDaS1Q_S1R_EUlS1Q_E_NS1_11comp_targetILNS1_3genE4ELNS1_11target_archE910ELNS1_3gpuE8ELNS1_3repE0EEENS1_30default_config_static_selectorELNS0_4arch9wavefront6targetE0EEEvS13_
    .private_segment_fixed_size: 0
    .sgpr_count:     0
    .sgpr_spill_count: 0
    .symbol:         _ZN7rocprim17ROCPRIM_400000_NS6detail17trampoline_kernelINS0_13select_configILj256ELj13ELNS0_17block_load_methodE3ELS4_3ELS4_3ELNS0_20block_scan_algorithmE0ELj4294967295EEENS1_25partition_config_selectorILNS1_17partition_subalgoE4EjNS0_10empty_typeEbEEZZNS1_14partition_implILS8_4ELb0ES6_15HIP_vector_typeIjLj2EENS0_17counting_iteratorIjlEEPS9_SG_NS0_5tupleIJPjSI_NS0_16reverse_iteratorISI_EEEEENSH_IJSG_SG_SG_EEES9_SI_JZNS1_25segmented_radix_sort_implINS0_14default_configELb1EPK6__halfPSP_PKlPlN2at6native12_GLOBAL__N_18offset_tEEE10hipError_tPvRmT1_PNSt15iterator_traitsIS13_E10value_typeET2_T3_PNS14_IS19_E10value_typeET4_jRbjT5_S1F_jjP12ihipStream_tbEUljE_ZNSN_ISO_Lb1ESR_SS_SU_SV_SZ_EES10_S11_S12_S13_S17_S18_S19_S1C_S1D_jS1E_jS1F_S1F_jjS1H_bEUljE0_EEES10_S11_S12_S19_S1D_S1F_T6_T7_T9_mT8_S1H_bDpT10_ENKUlT_T0_E_clISt17integral_constantIbLb1EES1V_EEDaS1Q_S1R_EUlS1Q_E_NS1_11comp_targetILNS1_3genE4ELNS1_11target_archE910ELNS1_3gpuE8ELNS1_3repE0EEENS1_30default_config_static_selectorELNS0_4arch9wavefront6targetE0EEEvS13_.kd
    .uniform_work_group_size: 1
    .uses_dynamic_stack: false
    .vgpr_count:     0
    .vgpr_spill_count: 0
    .wavefront_size: 32
    .workgroup_processor_mode: 1
  - .args:
      - .offset:         0
        .size:           184
        .value_kind:     by_value
    .group_segment_fixed_size: 0
    .kernarg_segment_align: 8
    .kernarg_segment_size: 184
    .language:       OpenCL C
    .language_version:
      - 2
      - 0
    .max_flat_workgroup_size: 256
    .name:           _ZN7rocprim17ROCPRIM_400000_NS6detail17trampoline_kernelINS0_13select_configILj256ELj13ELNS0_17block_load_methodE3ELS4_3ELS4_3ELNS0_20block_scan_algorithmE0ELj4294967295EEENS1_25partition_config_selectorILNS1_17partition_subalgoE4EjNS0_10empty_typeEbEEZZNS1_14partition_implILS8_4ELb0ES6_15HIP_vector_typeIjLj2EENS0_17counting_iteratorIjlEEPS9_SG_NS0_5tupleIJPjSI_NS0_16reverse_iteratorISI_EEEEENSH_IJSG_SG_SG_EEES9_SI_JZNS1_25segmented_radix_sort_implINS0_14default_configELb1EPK6__halfPSP_PKlPlN2at6native12_GLOBAL__N_18offset_tEEE10hipError_tPvRmT1_PNSt15iterator_traitsIS13_E10value_typeET2_T3_PNS14_IS19_E10value_typeET4_jRbjT5_S1F_jjP12ihipStream_tbEUljE_ZNSN_ISO_Lb1ESR_SS_SU_SV_SZ_EES10_S11_S12_S13_S17_S18_S19_S1C_S1D_jS1E_jS1F_S1F_jjS1H_bEUljE0_EEES10_S11_S12_S19_S1D_S1F_T6_T7_T9_mT8_S1H_bDpT10_ENKUlT_T0_E_clISt17integral_constantIbLb1EES1V_EEDaS1Q_S1R_EUlS1Q_E_NS1_11comp_targetILNS1_3genE3ELNS1_11target_archE908ELNS1_3gpuE7ELNS1_3repE0EEENS1_30default_config_static_selectorELNS0_4arch9wavefront6targetE0EEEvS13_
    .private_segment_fixed_size: 0
    .sgpr_count:     0
    .sgpr_spill_count: 0
    .symbol:         _ZN7rocprim17ROCPRIM_400000_NS6detail17trampoline_kernelINS0_13select_configILj256ELj13ELNS0_17block_load_methodE3ELS4_3ELS4_3ELNS0_20block_scan_algorithmE0ELj4294967295EEENS1_25partition_config_selectorILNS1_17partition_subalgoE4EjNS0_10empty_typeEbEEZZNS1_14partition_implILS8_4ELb0ES6_15HIP_vector_typeIjLj2EENS0_17counting_iteratorIjlEEPS9_SG_NS0_5tupleIJPjSI_NS0_16reverse_iteratorISI_EEEEENSH_IJSG_SG_SG_EEES9_SI_JZNS1_25segmented_radix_sort_implINS0_14default_configELb1EPK6__halfPSP_PKlPlN2at6native12_GLOBAL__N_18offset_tEEE10hipError_tPvRmT1_PNSt15iterator_traitsIS13_E10value_typeET2_T3_PNS14_IS19_E10value_typeET4_jRbjT5_S1F_jjP12ihipStream_tbEUljE_ZNSN_ISO_Lb1ESR_SS_SU_SV_SZ_EES10_S11_S12_S13_S17_S18_S19_S1C_S1D_jS1E_jS1F_S1F_jjS1H_bEUljE0_EEES10_S11_S12_S19_S1D_S1F_T6_T7_T9_mT8_S1H_bDpT10_ENKUlT_T0_E_clISt17integral_constantIbLb1EES1V_EEDaS1Q_S1R_EUlS1Q_E_NS1_11comp_targetILNS1_3genE3ELNS1_11target_archE908ELNS1_3gpuE7ELNS1_3repE0EEENS1_30default_config_static_selectorELNS0_4arch9wavefront6targetE0EEEvS13_.kd
    .uniform_work_group_size: 1
    .uses_dynamic_stack: false
    .vgpr_count:     0
    .vgpr_spill_count: 0
    .wavefront_size: 32
    .workgroup_processor_mode: 1
  - .args:
      - .offset:         0
        .size:           184
        .value_kind:     by_value
    .group_segment_fixed_size: 0
    .kernarg_segment_align: 8
    .kernarg_segment_size: 184
    .language:       OpenCL C
    .language_version:
      - 2
      - 0
    .max_flat_workgroup_size: 256
    .name:           _ZN7rocprim17ROCPRIM_400000_NS6detail17trampoline_kernelINS0_13select_configILj256ELj13ELNS0_17block_load_methodE3ELS4_3ELS4_3ELNS0_20block_scan_algorithmE0ELj4294967295EEENS1_25partition_config_selectorILNS1_17partition_subalgoE4EjNS0_10empty_typeEbEEZZNS1_14partition_implILS8_4ELb0ES6_15HIP_vector_typeIjLj2EENS0_17counting_iteratorIjlEEPS9_SG_NS0_5tupleIJPjSI_NS0_16reverse_iteratorISI_EEEEENSH_IJSG_SG_SG_EEES9_SI_JZNS1_25segmented_radix_sort_implINS0_14default_configELb1EPK6__halfPSP_PKlPlN2at6native12_GLOBAL__N_18offset_tEEE10hipError_tPvRmT1_PNSt15iterator_traitsIS13_E10value_typeET2_T3_PNS14_IS19_E10value_typeET4_jRbjT5_S1F_jjP12ihipStream_tbEUljE_ZNSN_ISO_Lb1ESR_SS_SU_SV_SZ_EES10_S11_S12_S13_S17_S18_S19_S1C_S1D_jS1E_jS1F_S1F_jjS1H_bEUljE0_EEES10_S11_S12_S19_S1D_S1F_T6_T7_T9_mT8_S1H_bDpT10_ENKUlT_T0_E_clISt17integral_constantIbLb1EES1V_EEDaS1Q_S1R_EUlS1Q_E_NS1_11comp_targetILNS1_3genE2ELNS1_11target_archE906ELNS1_3gpuE6ELNS1_3repE0EEENS1_30default_config_static_selectorELNS0_4arch9wavefront6targetE0EEEvS13_
    .private_segment_fixed_size: 0
    .sgpr_count:     0
    .sgpr_spill_count: 0
    .symbol:         _ZN7rocprim17ROCPRIM_400000_NS6detail17trampoline_kernelINS0_13select_configILj256ELj13ELNS0_17block_load_methodE3ELS4_3ELS4_3ELNS0_20block_scan_algorithmE0ELj4294967295EEENS1_25partition_config_selectorILNS1_17partition_subalgoE4EjNS0_10empty_typeEbEEZZNS1_14partition_implILS8_4ELb0ES6_15HIP_vector_typeIjLj2EENS0_17counting_iteratorIjlEEPS9_SG_NS0_5tupleIJPjSI_NS0_16reverse_iteratorISI_EEEEENSH_IJSG_SG_SG_EEES9_SI_JZNS1_25segmented_radix_sort_implINS0_14default_configELb1EPK6__halfPSP_PKlPlN2at6native12_GLOBAL__N_18offset_tEEE10hipError_tPvRmT1_PNSt15iterator_traitsIS13_E10value_typeET2_T3_PNS14_IS19_E10value_typeET4_jRbjT5_S1F_jjP12ihipStream_tbEUljE_ZNSN_ISO_Lb1ESR_SS_SU_SV_SZ_EES10_S11_S12_S13_S17_S18_S19_S1C_S1D_jS1E_jS1F_S1F_jjS1H_bEUljE0_EEES10_S11_S12_S19_S1D_S1F_T6_T7_T9_mT8_S1H_bDpT10_ENKUlT_T0_E_clISt17integral_constantIbLb1EES1V_EEDaS1Q_S1R_EUlS1Q_E_NS1_11comp_targetILNS1_3genE2ELNS1_11target_archE906ELNS1_3gpuE6ELNS1_3repE0EEENS1_30default_config_static_selectorELNS0_4arch9wavefront6targetE0EEEvS13_.kd
    .uniform_work_group_size: 1
    .uses_dynamic_stack: false
    .vgpr_count:     0
    .vgpr_spill_count: 0
    .wavefront_size: 32
    .workgroup_processor_mode: 1
  - .args:
      - .offset:         0
        .size:           184
        .value_kind:     by_value
    .group_segment_fixed_size: 0
    .kernarg_segment_align: 8
    .kernarg_segment_size: 184
    .language:       OpenCL C
    .language_version:
      - 2
      - 0
    .max_flat_workgroup_size: 256
    .name:           _ZN7rocprim17ROCPRIM_400000_NS6detail17trampoline_kernelINS0_13select_configILj256ELj13ELNS0_17block_load_methodE3ELS4_3ELS4_3ELNS0_20block_scan_algorithmE0ELj4294967295EEENS1_25partition_config_selectorILNS1_17partition_subalgoE4EjNS0_10empty_typeEbEEZZNS1_14partition_implILS8_4ELb0ES6_15HIP_vector_typeIjLj2EENS0_17counting_iteratorIjlEEPS9_SG_NS0_5tupleIJPjSI_NS0_16reverse_iteratorISI_EEEEENSH_IJSG_SG_SG_EEES9_SI_JZNS1_25segmented_radix_sort_implINS0_14default_configELb1EPK6__halfPSP_PKlPlN2at6native12_GLOBAL__N_18offset_tEEE10hipError_tPvRmT1_PNSt15iterator_traitsIS13_E10value_typeET2_T3_PNS14_IS19_E10value_typeET4_jRbjT5_S1F_jjP12ihipStream_tbEUljE_ZNSN_ISO_Lb1ESR_SS_SU_SV_SZ_EES10_S11_S12_S13_S17_S18_S19_S1C_S1D_jS1E_jS1F_S1F_jjS1H_bEUljE0_EEES10_S11_S12_S19_S1D_S1F_T6_T7_T9_mT8_S1H_bDpT10_ENKUlT_T0_E_clISt17integral_constantIbLb1EES1V_EEDaS1Q_S1R_EUlS1Q_E_NS1_11comp_targetILNS1_3genE10ELNS1_11target_archE1200ELNS1_3gpuE4ELNS1_3repE0EEENS1_30default_config_static_selectorELNS0_4arch9wavefront6targetE0EEEvS13_
    .private_segment_fixed_size: 0
    .sgpr_count:     0
    .sgpr_spill_count: 0
    .symbol:         _ZN7rocprim17ROCPRIM_400000_NS6detail17trampoline_kernelINS0_13select_configILj256ELj13ELNS0_17block_load_methodE3ELS4_3ELS4_3ELNS0_20block_scan_algorithmE0ELj4294967295EEENS1_25partition_config_selectorILNS1_17partition_subalgoE4EjNS0_10empty_typeEbEEZZNS1_14partition_implILS8_4ELb0ES6_15HIP_vector_typeIjLj2EENS0_17counting_iteratorIjlEEPS9_SG_NS0_5tupleIJPjSI_NS0_16reverse_iteratorISI_EEEEENSH_IJSG_SG_SG_EEES9_SI_JZNS1_25segmented_radix_sort_implINS0_14default_configELb1EPK6__halfPSP_PKlPlN2at6native12_GLOBAL__N_18offset_tEEE10hipError_tPvRmT1_PNSt15iterator_traitsIS13_E10value_typeET2_T3_PNS14_IS19_E10value_typeET4_jRbjT5_S1F_jjP12ihipStream_tbEUljE_ZNSN_ISO_Lb1ESR_SS_SU_SV_SZ_EES10_S11_S12_S13_S17_S18_S19_S1C_S1D_jS1E_jS1F_S1F_jjS1H_bEUljE0_EEES10_S11_S12_S19_S1D_S1F_T6_T7_T9_mT8_S1H_bDpT10_ENKUlT_T0_E_clISt17integral_constantIbLb1EES1V_EEDaS1Q_S1R_EUlS1Q_E_NS1_11comp_targetILNS1_3genE10ELNS1_11target_archE1200ELNS1_3gpuE4ELNS1_3repE0EEENS1_30default_config_static_selectorELNS0_4arch9wavefront6targetE0EEEvS13_.kd
    .uniform_work_group_size: 1
    .uses_dynamic_stack: false
    .vgpr_count:     0
    .vgpr_spill_count: 0
    .wavefront_size: 32
    .workgroup_processor_mode: 1
  - .args:
      - .offset:         0
        .size:           184
        .value_kind:     by_value
    .group_segment_fixed_size: 13340
    .kernarg_segment_align: 8
    .kernarg_segment_size: 184
    .language:       OpenCL C
    .language_version:
      - 2
      - 0
    .max_flat_workgroup_size: 256
    .name:           _ZN7rocprim17ROCPRIM_400000_NS6detail17trampoline_kernelINS0_13select_configILj256ELj13ELNS0_17block_load_methodE3ELS4_3ELS4_3ELNS0_20block_scan_algorithmE0ELj4294967295EEENS1_25partition_config_selectorILNS1_17partition_subalgoE4EjNS0_10empty_typeEbEEZZNS1_14partition_implILS8_4ELb0ES6_15HIP_vector_typeIjLj2EENS0_17counting_iteratorIjlEEPS9_SG_NS0_5tupleIJPjSI_NS0_16reverse_iteratorISI_EEEEENSH_IJSG_SG_SG_EEES9_SI_JZNS1_25segmented_radix_sort_implINS0_14default_configELb1EPK6__halfPSP_PKlPlN2at6native12_GLOBAL__N_18offset_tEEE10hipError_tPvRmT1_PNSt15iterator_traitsIS13_E10value_typeET2_T3_PNS14_IS19_E10value_typeET4_jRbjT5_S1F_jjP12ihipStream_tbEUljE_ZNSN_ISO_Lb1ESR_SS_SU_SV_SZ_EES10_S11_S12_S13_S17_S18_S19_S1C_S1D_jS1E_jS1F_S1F_jjS1H_bEUljE0_EEES10_S11_S12_S19_S1D_S1F_T6_T7_T9_mT8_S1H_bDpT10_ENKUlT_T0_E_clISt17integral_constantIbLb1EES1V_EEDaS1Q_S1R_EUlS1Q_E_NS1_11comp_targetILNS1_3genE9ELNS1_11target_archE1100ELNS1_3gpuE3ELNS1_3repE0EEENS1_30default_config_static_selectorELNS0_4arch9wavefront6targetE0EEEvS13_
    .private_segment_fixed_size: 0
    .sgpr_count:     57
    .sgpr_spill_count: 0
    .symbol:         _ZN7rocprim17ROCPRIM_400000_NS6detail17trampoline_kernelINS0_13select_configILj256ELj13ELNS0_17block_load_methodE3ELS4_3ELS4_3ELNS0_20block_scan_algorithmE0ELj4294967295EEENS1_25partition_config_selectorILNS1_17partition_subalgoE4EjNS0_10empty_typeEbEEZZNS1_14partition_implILS8_4ELb0ES6_15HIP_vector_typeIjLj2EENS0_17counting_iteratorIjlEEPS9_SG_NS0_5tupleIJPjSI_NS0_16reverse_iteratorISI_EEEEENSH_IJSG_SG_SG_EEES9_SI_JZNS1_25segmented_radix_sort_implINS0_14default_configELb1EPK6__halfPSP_PKlPlN2at6native12_GLOBAL__N_18offset_tEEE10hipError_tPvRmT1_PNSt15iterator_traitsIS13_E10value_typeET2_T3_PNS14_IS19_E10value_typeET4_jRbjT5_S1F_jjP12ihipStream_tbEUljE_ZNSN_ISO_Lb1ESR_SS_SU_SV_SZ_EES10_S11_S12_S13_S17_S18_S19_S1C_S1D_jS1E_jS1F_S1F_jjS1H_bEUljE0_EEES10_S11_S12_S19_S1D_S1F_T6_T7_T9_mT8_S1H_bDpT10_ENKUlT_T0_E_clISt17integral_constantIbLb1EES1V_EEDaS1Q_S1R_EUlS1Q_E_NS1_11comp_targetILNS1_3genE9ELNS1_11target_archE1100ELNS1_3gpuE3ELNS1_3repE0EEENS1_30default_config_static_selectorELNS0_4arch9wavefront6targetE0EEEvS13_.kd
    .uniform_work_group_size: 1
    .uses_dynamic_stack: false
    .vgpr_count:     103
    .vgpr_spill_count: 0
    .wavefront_size: 32
    .workgroup_processor_mode: 1
  - .args:
      - .offset:         0
        .size:           184
        .value_kind:     by_value
    .group_segment_fixed_size: 0
    .kernarg_segment_align: 8
    .kernarg_segment_size: 184
    .language:       OpenCL C
    .language_version:
      - 2
      - 0
    .max_flat_workgroup_size: 256
    .name:           _ZN7rocprim17ROCPRIM_400000_NS6detail17trampoline_kernelINS0_13select_configILj256ELj13ELNS0_17block_load_methodE3ELS4_3ELS4_3ELNS0_20block_scan_algorithmE0ELj4294967295EEENS1_25partition_config_selectorILNS1_17partition_subalgoE4EjNS0_10empty_typeEbEEZZNS1_14partition_implILS8_4ELb0ES6_15HIP_vector_typeIjLj2EENS0_17counting_iteratorIjlEEPS9_SG_NS0_5tupleIJPjSI_NS0_16reverse_iteratorISI_EEEEENSH_IJSG_SG_SG_EEES9_SI_JZNS1_25segmented_radix_sort_implINS0_14default_configELb1EPK6__halfPSP_PKlPlN2at6native12_GLOBAL__N_18offset_tEEE10hipError_tPvRmT1_PNSt15iterator_traitsIS13_E10value_typeET2_T3_PNS14_IS19_E10value_typeET4_jRbjT5_S1F_jjP12ihipStream_tbEUljE_ZNSN_ISO_Lb1ESR_SS_SU_SV_SZ_EES10_S11_S12_S13_S17_S18_S19_S1C_S1D_jS1E_jS1F_S1F_jjS1H_bEUljE0_EEES10_S11_S12_S19_S1D_S1F_T6_T7_T9_mT8_S1H_bDpT10_ENKUlT_T0_E_clISt17integral_constantIbLb1EES1V_EEDaS1Q_S1R_EUlS1Q_E_NS1_11comp_targetILNS1_3genE8ELNS1_11target_archE1030ELNS1_3gpuE2ELNS1_3repE0EEENS1_30default_config_static_selectorELNS0_4arch9wavefront6targetE0EEEvS13_
    .private_segment_fixed_size: 0
    .sgpr_count:     0
    .sgpr_spill_count: 0
    .symbol:         _ZN7rocprim17ROCPRIM_400000_NS6detail17trampoline_kernelINS0_13select_configILj256ELj13ELNS0_17block_load_methodE3ELS4_3ELS4_3ELNS0_20block_scan_algorithmE0ELj4294967295EEENS1_25partition_config_selectorILNS1_17partition_subalgoE4EjNS0_10empty_typeEbEEZZNS1_14partition_implILS8_4ELb0ES6_15HIP_vector_typeIjLj2EENS0_17counting_iteratorIjlEEPS9_SG_NS0_5tupleIJPjSI_NS0_16reverse_iteratorISI_EEEEENSH_IJSG_SG_SG_EEES9_SI_JZNS1_25segmented_radix_sort_implINS0_14default_configELb1EPK6__halfPSP_PKlPlN2at6native12_GLOBAL__N_18offset_tEEE10hipError_tPvRmT1_PNSt15iterator_traitsIS13_E10value_typeET2_T3_PNS14_IS19_E10value_typeET4_jRbjT5_S1F_jjP12ihipStream_tbEUljE_ZNSN_ISO_Lb1ESR_SS_SU_SV_SZ_EES10_S11_S12_S13_S17_S18_S19_S1C_S1D_jS1E_jS1F_S1F_jjS1H_bEUljE0_EEES10_S11_S12_S19_S1D_S1F_T6_T7_T9_mT8_S1H_bDpT10_ENKUlT_T0_E_clISt17integral_constantIbLb1EES1V_EEDaS1Q_S1R_EUlS1Q_E_NS1_11comp_targetILNS1_3genE8ELNS1_11target_archE1030ELNS1_3gpuE2ELNS1_3repE0EEENS1_30default_config_static_selectorELNS0_4arch9wavefront6targetE0EEEvS13_.kd
    .uniform_work_group_size: 1
    .uses_dynamic_stack: false
    .vgpr_count:     0
    .vgpr_spill_count: 0
    .wavefront_size: 32
    .workgroup_processor_mode: 1
  - .args:
      - .offset:         0
        .size:           176
        .value_kind:     by_value
    .group_segment_fixed_size: 0
    .kernarg_segment_align: 8
    .kernarg_segment_size: 176
    .language:       OpenCL C
    .language_version:
      - 2
      - 0
    .max_flat_workgroup_size: 256
    .name:           _ZN7rocprim17ROCPRIM_400000_NS6detail17trampoline_kernelINS0_13select_configILj256ELj13ELNS0_17block_load_methodE3ELS4_3ELS4_3ELNS0_20block_scan_algorithmE0ELj4294967295EEENS1_25partition_config_selectorILNS1_17partition_subalgoE4EjNS0_10empty_typeEbEEZZNS1_14partition_implILS8_4ELb0ES6_15HIP_vector_typeIjLj2EENS0_17counting_iteratorIjlEEPS9_SG_NS0_5tupleIJPjSI_NS0_16reverse_iteratorISI_EEEEENSH_IJSG_SG_SG_EEES9_SI_JZNS1_25segmented_radix_sort_implINS0_14default_configELb1EPK6__halfPSP_PKlPlN2at6native12_GLOBAL__N_18offset_tEEE10hipError_tPvRmT1_PNSt15iterator_traitsIS13_E10value_typeET2_T3_PNS14_IS19_E10value_typeET4_jRbjT5_S1F_jjP12ihipStream_tbEUljE_ZNSN_ISO_Lb1ESR_SS_SU_SV_SZ_EES10_S11_S12_S13_S17_S18_S19_S1C_S1D_jS1E_jS1F_S1F_jjS1H_bEUljE0_EEES10_S11_S12_S19_S1D_S1F_T6_T7_T9_mT8_S1H_bDpT10_ENKUlT_T0_E_clISt17integral_constantIbLb1EES1U_IbLb0EEEEDaS1Q_S1R_EUlS1Q_E_NS1_11comp_targetILNS1_3genE0ELNS1_11target_archE4294967295ELNS1_3gpuE0ELNS1_3repE0EEENS1_30default_config_static_selectorELNS0_4arch9wavefront6targetE0EEEvS13_
    .private_segment_fixed_size: 0
    .sgpr_count:     0
    .sgpr_spill_count: 0
    .symbol:         _ZN7rocprim17ROCPRIM_400000_NS6detail17trampoline_kernelINS0_13select_configILj256ELj13ELNS0_17block_load_methodE3ELS4_3ELS4_3ELNS0_20block_scan_algorithmE0ELj4294967295EEENS1_25partition_config_selectorILNS1_17partition_subalgoE4EjNS0_10empty_typeEbEEZZNS1_14partition_implILS8_4ELb0ES6_15HIP_vector_typeIjLj2EENS0_17counting_iteratorIjlEEPS9_SG_NS0_5tupleIJPjSI_NS0_16reverse_iteratorISI_EEEEENSH_IJSG_SG_SG_EEES9_SI_JZNS1_25segmented_radix_sort_implINS0_14default_configELb1EPK6__halfPSP_PKlPlN2at6native12_GLOBAL__N_18offset_tEEE10hipError_tPvRmT1_PNSt15iterator_traitsIS13_E10value_typeET2_T3_PNS14_IS19_E10value_typeET4_jRbjT5_S1F_jjP12ihipStream_tbEUljE_ZNSN_ISO_Lb1ESR_SS_SU_SV_SZ_EES10_S11_S12_S13_S17_S18_S19_S1C_S1D_jS1E_jS1F_S1F_jjS1H_bEUljE0_EEES10_S11_S12_S19_S1D_S1F_T6_T7_T9_mT8_S1H_bDpT10_ENKUlT_T0_E_clISt17integral_constantIbLb1EES1U_IbLb0EEEEDaS1Q_S1R_EUlS1Q_E_NS1_11comp_targetILNS1_3genE0ELNS1_11target_archE4294967295ELNS1_3gpuE0ELNS1_3repE0EEENS1_30default_config_static_selectorELNS0_4arch9wavefront6targetE0EEEvS13_.kd
    .uniform_work_group_size: 1
    .uses_dynamic_stack: false
    .vgpr_count:     0
    .vgpr_spill_count: 0
    .wavefront_size: 32
    .workgroup_processor_mode: 1
  - .args:
      - .offset:         0
        .size:           176
        .value_kind:     by_value
    .group_segment_fixed_size: 0
    .kernarg_segment_align: 8
    .kernarg_segment_size: 176
    .language:       OpenCL C
    .language_version:
      - 2
      - 0
    .max_flat_workgroup_size: 256
    .name:           _ZN7rocprim17ROCPRIM_400000_NS6detail17trampoline_kernelINS0_13select_configILj256ELj13ELNS0_17block_load_methodE3ELS4_3ELS4_3ELNS0_20block_scan_algorithmE0ELj4294967295EEENS1_25partition_config_selectorILNS1_17partition_subalgoE4EjNS0_10empty_typeEbEEZZNS1_14partition_implILS8_4ELb0ES6_15HIP_vector_typeIjLj2EENS0_17counting_iteratorIjlEEPS9_SG_NS0_5tupleIJPjSI_NS0_16reverse_iteratorISI_EEEEENSH_IJSG_SG_SG_EEES9_SI_JZNS1_25segmented_radix_sort_implINS0_14default_configELb1EPK6__halfPSP_PKlPlN2at6native12_GLOBAL__N_18offset_tEEE10hipError_tPvRmT1_PNSt15iterator_traitsIS13_E10value_typeET2_T3_PNS14_IS19_E10value_typeET4_jRbjT5_S1F_jjP12ihipStream_tbEUljE_ZNSN_ISO_Lb1ESR_SS_SU_SV_SZ_EES10_S11_S12_S13_S17_S18_S19_S1C_S1D_jS1E_jS1F_S1F_jjS1H_bEUljE0_EEES10_S11_S12_S19_S1D_S1F_T6_T7_T9_mT8_S1H_bDpT10_ENKUlT_T0_E_clISt17integral_constantIbLb1EES1U_IbLb0EEEEDaS1Q_S1R_EUlS1Q_E_NS1_11comp_targetILNS1_3genE5ELNS1_11target_archE942ELNS1_3gpuE9ELNS1_3repE0EEENS1_30default_config_static_selectorELNS0_4arch9wavefront6targetE0EEEvS13_
    .private_segment_fixed_size: 0
    .sgpr_count:     0
    .sgpr_spill_count: 0
    .symbol:         _ZN7rocprim17ROCPRIM_400000_NS6detail17trampoline_kernelINS0_13select_configILj256ELj13ELNS0_17block_load_methodE3ELS4_3ELS4_3ELNS0_20block_scan_algorithmE0ELj4294967295EEENS1_25partition_config_selectorILNS1_17partition_subalgoE4EjNS0_10empty_typeEbEEZZNS1_14partition_implILS8_4ELb0ES6_15HIP_vector_typeIjLj2EENS0_17counting_iteratorIjlEEPS9_SG_NS0_5tupleIJPjSI_NS0_16reverse_iteratorISI_EEEEENSH_IJSG_SG_SG_EEES9_SI_JZNS1_25segmented_radix_sort_implINS0_14default_configELb1EPK6__halfPSP_PKlPlN2at6native12_GLOBAL__N_18offset_tEEE10hipError_tPvRmT1_PNSt15iterator_traitsIS13_E10value_typeET2_T3_PNS14_IS19_E10value_typeET4_jRbjT5_S1F_jjP12ihipStream_tbEUljE_ZNSN_ISO_Lb1ESR_SS_SU_SV_SZ_EES10_S11_S12_S13_S17_S18_S19_S1C_S1D_jS1E_jS1F_S1F_jjS1H_bEUljE0_EEES10_S11_S12_S19_S1D_S1F_T6_T7_T9_mT8_S1H_bDpT10_ENKUlT_T0_E_clISt17integral_constantIbLb1EES1U_IbLb0EEEEDaS1Q_S1R_EUlS1Q_E_NS1_11comp_targetILNS1_3genE5ELNS1_11target_archE942ELNS1_3gpuE9ELNS1_3repE0EEENS1_30default_config_static_selectorELNS0_4arch9wavefront6targetE0EEEvS13_.kd
    .uniform_work_group_size: 1
    .uses_dynamic_stack: false
    .vgpr_count:     0
    .vgpr_spill_count: 0
    .wavefront_size: 32
    .workgroup_processor_mode: 1
  - .args:
      - .offset:         0
        .size:           176
        .value_kind:     by_value
    .group_segment_fixed_size: 0
    .kernarg_segment_align: 8
    .kernarg_segment_size: 176
    .language:       OpenCL C
    .language_version:
      - 2
      - 0
    .max_flat_workgroup_size: 256
    .name:           _ZN7rocprim17ROCPRIM_400000_NS6detail17trampoline_kernelINS0_13select_configILj256ELj13ELNS0_17block_load_methodE3ELS4_3ELS4_3ELNS0_20block_scan_algorithmE0ELj4294967295EEENS1_25partition_config_selectorILNS1_17partition_subalgoE4EjNS0_10empty_typeEbEEZZNS1_14partition_implILS8_4ELb0ES6_15HIP_vector_typeIjLj2EENS0_17counting_iteratorIjlEEPS9_SG_NS0_5tupleIJPjSI_NS0_16reverse_iteratorISI_EEEEENSH_IJSG_SG_SG_EEES9_SI_JZNS1_25segmented_radix_sort_implINS0_14default_configELb1EPK6__halfPSP_PKlPlN2at6native12_GLOBAL__N_18offset_tEEE10hipError_tPvRmT1_PNSt15iterator_traitsIS13_E10value_typeET2_T3_PNS14_IS19_E10value_typeET4_jRbjT5_S1F_jjP12ihipStream_tbEUljE_ZNSN_ISO_Lb1ESR_SS_SU_SV_SZ_EES10_S11_S12_S13_S17_S18_S19_S1C_S1D_jS1E_jS1F_S1F_jjS1H_bEUljE0_EEES10_S11_S12_S19_S1D_S1F_T6_T7_T9_mT8_S1H_bDpT10_ENKUlT_T0_E_clISt17integral_constantIbLb1EES1U_IbLb0EEEEDaS1Q_S1R_EUlS1Q_E_NS1_11comp_targetILNS1_3genE4ELNS1_11target_archE910ELNS1_3gpuE8ELNS1_3repE0EEENS1_30default_config_static_selectorELNS0_4arch9wavefront6targetE0EEEvS13_
    .private_segment_fixed_size: 0
    .sgpr_count:     0
    .sgpr_spill_count: 0
    .symbol:         _ZN7rocprim17ROCPRIM_400000_NS6detail17trampoline_kernelINS0_13select_configILj256ELj13ELNS0_17block_load_methodE3ELS4_3ELS4_3ELNS0_20block_scan_algorithmE0ELj4294967295EEENS1_25partition_config_selectorILNS1_17partition_subalgoE4EjNS0_10empty_typeEbEEZZNS1_14partition_implILS8_4ELb0ES6_15HIP_vector_typeIjLj2EENS0_17counting_iteratorIjlEEPS9_SG_NS0_5tupleIJPjSI_NS0_16reverse_iteratorISI_EEEEENSH_IJSG_SG_SG_EEES9_SI_JZNS1_25segmented_radix_sort_implINS0_14default_configELb1EPK6__halfPSP_PKlPlN2at6native12_GLOBAL__N_18offset_tEEE10hipError_tPvRmT1_PNSt15iterator_traitsIS13_E10value_typeET2_T3_PNS14_IS19_E10value_typeET4_jRbjT5_S1F_jjP12ihipStream_tbEUljE_ZNSN_ISO_Lb1ESR_SS_SU_SV_SZ_EES10_S11_S12_S13_S17_S18_S19_S1C_S1D_jS1E_jS1F_S1F_jjS1H_bEUljE0_EEES10_S11_S12_S19_S1D_S1F_T6_T7_T9_mT8_S1H_bDpT10_ENKUlT_T0_E_clISt17integral_constantIbLb1EES1U_IbLb0EEEEDaS1Q_S1R_EUlS1Q_E_NS1_11comp_targetILNS1_3genE4ELNS1_11target_archE910ELNS1_3gpuE8ELNS1_3repE0EEENS1_30default_config_static_selectorELNS0_4arch9wavefront6targetE0EEEvS13_.kd
    .uniform_work_group_size: 1
    .uses_dynamic_stack: false
    .vgpr_count:     0
    .vgpr_spill_count: 0
    .wavefront_size: 32
    .workgroup_processor_mode: 1
  - .args:
      - .offset:         0
        .size:           176
        .value_kind:     by_value
    .group_segment_fixed_size: 0
    .kernarg_segment_align: 8
    .kernarg_segment_size: 176
    .language:       OpenCL C
    .language_version:
      - 2
      - 0
    .max_flat_workgroup_size: 256
    .name:           _ZN7rocprim17ROCPRIM_400000_NS6detail17trampoline_kernelINS0_13select_configILj256ELj13ELNS0_17block_load_methodE3ELS4_3ELS4_3ELNS0_20block_scan_algorithmE0ELj4294967295EEENS1_25partition_config_selectorILNS1_17partition_subalgoE4EjNS0_10empty_typeEbEEZZNS1_14partition_implILS8_4ELb0ES6_15HIP_vector_typeIjLj2EENS0_17counting_iteratorIjlEEPS9_SG_NS0_5tupleIJPjSI_NS0_16reverse_iteratorISI_EEEEENSH_IJSG_SG_SG_EEES9_SI_JZNS1_25segmented_radix_sort_implINS0_14default_configELb1EPK6__halfPSP_PKlPlN2at6native12_GLOBAL__N_18offset_tEEE10hipError_tPvRmT1_PNSt15iterator_traitsIS13_E10value_typeET2_T3_PNS14_IS19_E10value_typeET4_jRbjT5_S1F_jjP12ihipStream_tbEUljE_ZNSN_ISO_Lb1ESR_SS_SU_SV_SZ_EES10_S11_S12_S13_S17_S18_S19_S1C_S1D_jS1E_jS1F_S1F_jjS1H_bEUljE0_EEES10_S11_S12_S19_S1D_S1F_T6_T7_T9_mT8_S1H_bDpT10_ENKUlT_T0_E_clISt17integral_constantIbLb1EES1U_IbLb0EEEEDaS1Q_S1R_EUlS1Q_E_NS1_11comp_targetILNS1_3genE3ELNS1_11target_archE908ELNS1_3gpuE7ELNS1_3repE0EEENS1_30default_config_static_selectorELNS0_4arch9wavefront6targetE0EEEvS13_
    .private_segment_fixed_size: 0
    .sgpr_count:     0
    .sgpr_spill_count: 0
    .symbol:         _ZN7rocprim17ROCPRIM_400000_NS6detail17trampoline_kernelINS0_13select_configILj256ELj13ELNS0_17block_load_methodE3ELS4_3ELS4_3ELNS0_20block_scan_algorithmE0ELj4294967295EEENS1_25partition_config_selectorILNS1_17partition_subalgoE4EjNS0_10empty_typeEbEEZZNS1_14partition_implILS8_4ELb0ES6_15HIP_vector_typeIjLj2EENS0_17counting_iteratorIjlEEPS9_SG_NS0_5tupleIJPjSI_NS0_16reverse_iteratorISI_EEEEENSH_IJSG_SG_SG_EEES9_SI_JZNS1_25segmented_radix_sort_implINS0_14default_configELb1EPK6__halfPSP_PKlPlN2at6native12_GLOBAL__N_18offset_tEEE10hipError_tPvRmT1_PNSt15iterator_traitsIS13_E10value_typeET2_T3_PNS14_IS19_E10value_typeET4_jRbjT5_S1F_jjP12ihipStream_tbEUljE_ZNSN_ISO_Lb1ESR_SS_SU_SV_SZ_EES10_S11_S12_S13_S17_S18_S19_S1C_S1D_jS1E_jS1F_S1F_jjS1H_bEUljE0_EEES10_S11_S12_S19_S1D_S1F_T6_T7_T9_mT8_S1H_bDpT10_ENKUlT_T0_E_clISt17integral_constantIbLb1EES1U_IbLb0EEEEDaS1Q_S1R_EUlS1Q_E_NS1_11comp_targetILNS1_3genE3ELNS1_11target_archE908ELNS1_3gpuE7ELNS1_3repE0EEENS1_30default_config_static_selectorELNS0_4arch9wavefront6targetE0EEEvS13_.kd
    .uniform_work_group_size: 1
    .uses_dynamic_stack: false
    .vgpr_count:     0
    .vgpr_spill_count: 0
    .wavefront_size: 32
    .workgroup_processor_mode: 1
  - .args:
      - .offset:         0
        .size:           176
        .value_kind:     by_value
    .group_segment_fixed_size: 0
    .kernarg_segment_align: 8
    .kernarg_segment_size: 176
    .language:       OpenCL C
    .language_version:
      - 2
      - 0
    .max_flat_workgroup_size: 256
    .name:           _ZN7rocprim17ROCPRIM_400000_NS6detail17trampoline_kernelINS0_13select_configILj256ELj13ELNS0_17block_load_methodE3ELS4_3ELS4_3ELNS0_20block_scan_algorithmE0ELj4294967295EEENS1_25partition_config_selectorILNS1_17partition_subalgoE4EjNS0_10empty_typeEbEEZZNS1_14partition_implILS8_4ELb0ES6_15HIP_vector_typeIjLj2EENS0_17counting_iteratorIjlEEPS9_SG_NS0_5tupleIJPjSI_NS0_16reverse_iteratorISI_EEEEENSH_IJSG_SG_SG_EEES9_SI_JZNS1_25segmented_radix_sort_implINS0_14default_configELb1EPK6__halfPSP_PKlPlN2at6native12_GLOBAL__N_18offset_tEEE10hipError_tPvRmT1_PNSt15iterator_traitsIS13_E10value_typeET2_T3_PNS14_IS19_E10value_typeET4_jRbjT5_S1F_jjP12ihipStream_tbEUljE_ZNSN_ISO_Lb1ESR_SS_SU_SV_SZ_EES10_S11_S12_S13_S17_S18_S19_S1C_S1D_jS1E_jS1F_S1F_jjS1H_bEUljE0_EEES10_S11_S12_S19_S1D_S1F_T6_T7_T9_mT8_S1H_bDpT10_ENKUlT_T0_E_clISt17integral_constantIbLb1EES1U_IbLb0EEEEDaS1Q_S1R_EUlS1Q_E_NS1_11comp_targetILNS1_3genE2ELNS1_11target_archE906ELNS1_3gpuE6ELNS1_3repE0EEENS1_30default_config_static_selectorELNS0_4arch9wavefront6targetE0EEEvS13_
    .private_segment_fixed_size: 0
    .sgpr_count:     0
    .sgpr_spill_count: 0
    .symbol:         _ZN7rocprim17ROCPRIM_400000_NS6detail17trampoline_kernelINS0_13select_configILj256ELj13ELNS0_17block_load_methodE3ELS4_3ELS4_3ELNS0_20block_scan_algorithmE0ELj4294967295EEENS1_25partition_config_selectorILNS1_17partition_subalgoE4EjNS0_10empty_typeEbEEZZNS1_14partition_implILS8_4ELb0ES6_15HIP_vector_typeIjLj2EENS0_17counting_iteratorIjlEEPS9_SG_NS0_5tupleIJPjSI_NS0_16reverse_iteratorISI_EEEEENSH_IJSG_SG_SG_EEES9_SI_JZNS1_25segmented_radix_sort_implINS0_14default_configELb1EPK6__halfPSP_PKlPlN2at6native12_GLOBAL__N_18offset_tEEE10hipError_tPvRmT1_PNSt15iterator_traitsIS13_E10value_typeET2_T3_PNS14_IS19_E10value_typeET4_jRbjT5_S1F_jjP12ihipStream_tbEUljE_ZNSN_ISO_Lb1ESR_SS_SU_SV_SZ_EES10_S11_S12_S13_S17_S18_S19_S1C_S1D_jS1E_jS1F_S1F_jjS1H_bEUljE0_EEES10_S11_S12_S19_S1D_S1F_T6_T7_T9_mT8_S1H_bDpT10_ENKUlT_T0_E_clISt17integral_constantIbLb1EES1U_IbLb0EEEEDaS1Q_S1R_EUlS1Q_E_NS1_11comp_targetILNS1_3genE2ELNS1_11target_archE906ELNS1_3gpuE6ELNS1_3repE0EEENS1_30default_config_static_selectorELNS0_4arch9wavefront6targetE0EEEvS13_.kd
    .uniform_work_group_size: 1
    .uses_dynamic_stack: false
    .vgpr_count:     0
    .vgpr_spill_count: 0
    .wavefront_size: 32
    .workgroup_processor_mode: 1
  - .args:
      - .offset:         0
        .size:           176
        .value_kind:     by_value
    .group_segment_fixed_size: 0
    .kernarg_segment_align: 8
    .kernarg_segment_size: 176
    .language:       OpenCL C
    .language_version:
      - 2
      - 0
    .max_flat_workgroup_size: 256
    .name:           _ZN7rocprim17ROCPRIM_400000_NS6detail17trampoline_kernelINS0_13select_configILj256ELj13ELNS0_17block_load_methodE3ELS4_3ELS4_3ELNS0_20block_scan_algorithmE0ELj4294967295EEENS1_25partition_config_selectorILNS1_17partition_subalgoE4EjNS0_10empty_typeEbEEZZNS1_14partition_implILS8_4ELb0ES6_15HIP_vector_typeIjLj2EENS0_17counting_iteratorIjlEEPS9_SG_NS0_5tupleIJPjSI_NS0_16reverse_iteratorISI_EEEEENSH_IJSG_SG_SG_EEES9_SI_JZNS1_25segmented_radix_sort_implINS0_14default_configELb1EPK6__halfPSP_PKlPlN2at6native12_GLOBAL__N_18offset_tEEE10hipError_tPvRmT1_PNSt15iterator_traitsIS13_E10value_typeET2_T3_PNS14_IS19_E10value_typeET4_jRbjT5_S1F_jjP12ihipStream_tbEUljE_ZNSN_ISO_Lb1ESR_SS_SU_SV_SZ_EES10_S11_S12_S13_S17_S18_S19_S1C_S1D_jS1E_jS1F_S1F_jjS1H_bEUljE0_EEES10_S11_S12_S19_S1D_S1F_T6_T7_T9_mT8_S1H_bDpT10_ENKUlT_T0_E_clISt17integral_constantIbLb1EES1U_IbLb0EEEEDaS1Q_S1R_EUlS1Q_E_NS1_11comp_targetILNS1_3genE10ELNS1_11target_archE1200ELNS1_3gpuE4ELNS1_3repE0EEENS1_30default_config_static_selectorELNS0_4arch9wavefront6targetE0EEEvS13_
    .private_segment_fixed_size: 0
    .sgpr_count:     0
    .sgpr_spill_count: 0
    .symbol:         _ZN7rocprim17ROCPRIM_400000_NS6detail17trampoline_kernelINS0_13select_configILj256ELj13ELNS0_17block_load_methodE3ELS4_3ELS4_3ELNS0_20block_scan_algorithmE0ELj4294967295EEENS1_25partition_config_selectorILNS1_17partition_subalgoE4EjNS0_10empty_typeEbEEZZNS1_14partition_implILS8_4ELb0ES6_15HIP_vector_typeIjLj2EENS0_17counting_iteratorIjlEEPS9_SG_NS0_5tupleIJPjSI_NS0_16reverse_iteratorISI_EEEEENSH_IJSG_SG_SG_EEES9_SI_JZNS1_25segmented_radix_sort_implINS0_14default_configELb1EPK6__halfPSP_PKlPlN2at6native12_GLOBAL__N_18offset_tEEE10hipError_tPvRmT1_PNSt15iterator_traitsIS13_E10value_typeET2_T3_PNS14_IS19_E10value_typeET4_jRbjT5_S1F_jjP12ihipStream_tbEUljE_ZNSN_ISO_Lb1ESR_SS_SU_SV_SZ_EES10_S11_S12_S13_S17_S18_S19_S1C_S1D_jS1E_jS1F_S1F_jjS1H_bEUljE0_EEES10_S11_S12_S19_S1D_S1F_T6_T7_T9_mT8_S1H_bDpT10_ENKUlT_T0_E_clISt17integral_constantIbLb1EES1U_IbLb0EEEEDaS1Q_S1R_EUlS1Q_E_NS1_11comp_targetILNS1_3genE10ELNS1_11target_archE1200ELNS1_3gpuE4ELNS1_3repE0EEENS1_30default_config_static_selectorELNS0_4arch9wavefront6targetE0EEEvS13_.kd
    .uniform_work_group_size: 1
    .uses_dynamic_stack: false
    .vgpr_count:     0
    .vgpr_spill_count: 0
    .wavefront_size: 32
    .workgroup_processor_mode: 1
  - .args:
      - .offset:         0
        .size:           176
        .value_kind:     by_value
    .group_segment_fixed_size: 13340
    .kernarg_segment_align: 8
    .kernarg_segment_size: 176
    .language:       OpenCL C
    .language_version:
      - 2
      - 0
    .max_flat_workgroup_size: 256
    .name:           _ZN7rocprim17ROCPRIM_400000_NS6detail17trampoline_kernelINS0_13select_configILj256ELj13ELNS0_17block_load_methodE3ELS4_3ELS4_3ELNS0_20block_scan_algorithmE0ELj4294967295EEENS1_25partition_config_selectorILNS1_17partition_subalgoE4EjNS0_10empty_typeEbEEZZNS1_14partition_implILS8_4ELb0ES6_15HIP_vector_typeIjLj2EENS0_17counting_iteratorIjlEEPS9_SG_NS0_5tupleIJPjSI_NS0_16reverse_iteratorISI_EEEEENSH_IJSG_SG_SG_EEES9_SI_JZNS1_25segmented_radix_sort_implINS0_14default_configELb1EPK6__halfPSP_PKlPlN2at6native12_GLOBAL__N_18offset_tEEE10hipError_tPvRmT1_PNSt15iterator_traitsIS13_E10value_typeET2_T3_PNS14_IS19_E10value_typeET4_jRbjT5_S1F_jjP12ihipStream_tbEUljE_ZNSN_ISO_Lb1ESR_SS_SU_SV_SZ_EES10_S11_S12_S13_S17_S18_S19_S1C_S1D_jS1E_jS1F_S1F_jjS1H_bEUljE0_EEES10_S11_S12_S19_S1D_S1F_T6_T7_T9_mT8_S1H_bDpT10_ENKUlT_T0_E_clISt17integral_constantIbLb1EES1U_IbLb0EEEEDaS1Q_S1R_EUlS1Q_E_NS1_11comp_targetILNS1_3genE9ELNS1_11target_archE1100ELNS1_3gpuE3ELNS1_3repE0EEENS1_30default_config_static_selectorELNS0_4arch9wavefront6targetE0EEEvS13_
    .private_segment_fixed_size: 0
    .sgpr_count:     61
    .sgpr_spill_count: 0
    .symbol:         _ZN7rocprim17ROCPRIM_400000_NS6detail17trampoline_kernelINS0_13select_configILj256ELj13ELNS0_17block_load_methodE3ELS4_3ELS4_3ELNS0_20block_scan_algorithmE0ELj4294967295EEENS1_25partition_config_selectorILNS1_17partition_subalgoE4EjNS0_10empty_typeEbEEZZNS1_14partition_implILS8_4ELb0ES6_15HIP_vector_typeIjLj2EENS0_17counting_iteratorIjlEEPS9_SG_NS0_5tupleIJPjSI_NS0_16reverse_iteratorISI_EEEEENSH_IJSG_SG_SG_EEES9_SI_JZNS1_25segmented_radix_sort_implINS0_14default_configELb1EPK6__halfPSP_PKlPlN2at6native12_GLOBAL__N_18offset_tEEE10hipError_tPvRmT1_PNSt15iterator_traitsIS13_E10value_typeET2_T3_PNS14_IS19_E10value_typeET4_jRbjT5_S1F_jjP12ihipStream_tbEUljE_ZNSN_ISO_Lb1ESR_SS_SU_SV_SZ_EES10_S11_S12_S13_S17_S18_S19_S1C_S1D_jS1E_jS1F_S1F_jjS1H_bEUljE0_EEES10_S11_S12_S19_S1D_S1F_T6_T7_T9_mT8_S1H_bDpT10_ENKUlT_T0_E_clISt17integral_constantIbLb1EES1U_IbLb0EEEEDaS1Q_S1R_EUlS1Q_E_NS1_11comp_targetILNS1_3genE9ELNS1_11target_archE1100ELNS1_3gpuE3ELNS1_3repE0EEENS1_30default_config_static_selectorELNS0_4arch9wavefront6targetE0EEEvS13_.kd
    .uniform_work_group_size: 1
    .uses_dynamic_stack: false
    .vgpr_count:     98
    .vgpr_spill_count: 0
    .wavefront_size: 32
    .workgroup_processor_mode: 1
  - .args:
      - .offset:         0
        .size:           176
        .value_kind:     by_value
    .group_segment_fixed_size: 0
    .kernarg_segment_align: 8
    .kernarg_segment_size: 176
    .language:       OpenCL C
    .language_version:
      - 2
      - 0
    .max_flat_workgroup_size: 256
    .name:           _ZN7rocprim17ROCPRIM_400000_NS6detail17trampoline_kernelINS0_13select_configILj256ELj13ELNS0_17block_load_methodE3ELS4_3ELS4_3ELNS0_20block_scan_algorithmE0ELj4294967295EEENS1_25partition_config_selectorILNS1_17partition_subalgoE4EjNS0_10empty_typeEbEEZZNS1_14partition_implILS8_4ELb0ES6_15HIP_vector_typeIjLj2EENS0_17counting_iteratorIjlEEPS9_SG_NS0_5tupleIJPjSI_NS0_16reverse_iteratorISI_EEEEENSH_IJSG_SG_SG_EEES9_SI_JZNS1_25segmented_radix_sort_implINS0_14default_configELb1EPK6__halfPSP_PKlPlN2at6native12_GLOBAL__N_18offset_tEEE10hipError_tPvRmT1_PNSt15iterator_traitsIS13_E10value_typeET2_T3_PNS14_IS19_E10value_typeET4_jRbjT5_S1F_jjP12ihipStream_tbEUljE_ZNSN_ISO_Lb1ESR_SS_SU_SV_SZ_EES10_S11_S12_S13_S17_S18_S19_S1C_S1D_jS1E_jS1F_S1F_jjS1H_bEUljE0_EEES10_S11_S12_S19_S1D_S1F_T6_T7_T9_mT8_S1H_bDpT10_ENKUlT_T0_E_clISt17integral_constantIbLb1EES1U_IbLb0EEEEDaS1Q_S1R_EUlS1Q_E_NS1_11comp_targetILNS1_3genE8ELNS1_11target_archE1030ELNS1_3gpuE2ELNS1_3repE0EEENS1_30default_config_static_selectorELNS0_4arch9wavefront6targetE0EEEvS13_
    .private_segment_fixed_size: 0
    .sgpr_count:     0
    .sgpr_spill_count: 0
    .symbol:         _ZN7rocprim17ROCPRIM_400000_NS6detail17trampoline_kernelINS0_13select_configILj256ELj13ELNS0_17block_load_methodE3ELS4_3ELS4_3ELNS0_20block_scan_algorithmE0ELj4294967295EEENS1_25partition_config_selectorILNS1_17partition_subalgoE4EjNS0_10empty_typeEbEEZZNS1_14partition_implILS8_4ELb0ES6_15HIP_vector_typeIjLj2EENS0_17counting_iteratorIjlEEPS9_SG_NS0_5tupleIJPjSI_NS0_16reverse_iteratorISI_EEEEENSH_IJSG_SG_SG_EEES9_SI_JZNS1_25segmented_radix_sort_implINS0_14default_configELb1EPK6__halfPSP_PKlPlN2at6native12_GLOBAL__N_18offset_tEEE10hipError_tPvRmT1_PNSt15iterator_traitsIS13_E10value_typeET2_T3_PNS14_IS19_E10value_typeET4_jRbjT5_S1F_jjP12ihipStream_tbEUljE_ZNSN_ISO_Lb1ESR_SS_SU_SV_SZ_EES10_S11_S12_S13_S17_S18_S19_S1C_S1D_jS1E_jS1F_S1F_jjS1H_bEUljE0_EEES10_S11_S12_S19_S1D_S1F_T6_T7_T9_mT8_S1H_bDpT10_ENKUlT_T0_E_clISt17integral_constantIbLb1EES1U_IbLb0EEEEDaS1Q_S1R_EUlS1Q_E_NS1_11comp_targetILNS1_3genE8ELNS1_11target_archE1030ELNS1_3gpuE2ELNS1_3repE0EEENS1_30default_config_static_selectorELNS0_4arch9wavefront6targetE0EEEvS13_.kd
    .uniform_work_group_size: 1
    .uses_dynamic_stack: false
    .vgpr_count:     0
    .vgpr_spill_count: 0
    .wavefront_size: 32
    .workgroup_processor_mode: 1
  - .args:
      - .offset:         0
        .size:           184
        .value_kind:     by_value
    .group_segment_fixed_size: 0
    .kernarg_segment_align: 8
    .kernarg_segment_size: 184
    .language:       OpenCL C
    .language_version:
      - 2
      - 0
    .max_flat_workgroup_size: 256
    .name:           _ZN7rocprim17ROCPRIM_400000_NS6detail17trampoline_kernelINS0_13select_configILj256ELj13ELNS0_17block_load_methodE3ELS4_3ELS4_3ELNS0_20block_scan_algorithmE0ELj4294967295EEENS1_25partition_config_selectorILNS1_17partition_subalgoE4EjNS0_10empty_typeEbEEZZNS1_14partition_implILS8_4ELb0ES6_15HIP_vector_typeIjLj2EENS0_17counting_iteratorIjlEEPS9_SG_NS0_5tupleIJPjSI_NS0_16reverse_iteratorISI_EEEEENSH_IJSG_SG_SG_EEES9_SI_JZNS1_25segmented_radix_sort_implINS0_14default_configELb1EPK6__halfPSP_PKlPlN2at6native12_GLOBAL__N_18offset_tEEE10hipError_tPvRmT1_PNSt15iterator_traitsIS13_E10value_typeET2_T3_PNS14_IS19_E10value_typeET4_jRbjT5_S1F_jjP12ihipStream_tbEUljE_ZNSN_ISO_Lb1ESR_SS_SU_SV_SZ_EES10_S11_S12_S13_S17_S18_S19_S1C_S1D_jS1E_jS1F_S1F_jjS1H_bEUljE0_EEES10_S11_S12_S19_S1D_S1F_T6_T7_T9_mT8_S1H_bDpT10_ENKUlT_T0_E_clISt17integral_constantIbLb0EES1U_IbLb1EEEEDaS1Q_S1R_EUlS1Q_E_NS1_11comp_targetILNS1_3genE0ELNS1_11target_archE4294967295ELNS1_3gpuE0ELNS1_3repE0EEENS1_30default_config_static_selectorELNS0_4arch9wavefront6targetE0EEEvS13_
    .private_segment_fixed_size: 0
    .sgpr_count:     0
    .sgpr_spill_count: 0
    .symbol:         _ZN7rocprim17ROCPRIM_400000_NS6detail17trampoline_kernelINS0_13select_configILj256ELj13ELNS0_17block_load_methodE3ELS4_3ELS4_3ELNS0_20block_scan_algorithmE0ELj4294967295EEENS1_25partition_config_selectorILNS1_17partition_subalgoE4EjNS0_10empty_typeEbEEZZNS1_14partition_implILS8_4ELb0ES6_15HIP_vector_typeIjLj2EENS0_17counting_iteratorIjlEEPS9_SG_NS0_5tupleIJPjSI_NS0_16reverse_iteratorISI_EEEEENSH_IJSG_SG_SG_EEES9_SI_JZNS1_25segmented_radix_sort_implINS0_14default_configELb1EPK6__halfPSP_PKlPlN2at6native12_GLOBAL__N_18offset_tEEE10hipError_tPvRmT1_PNSt15iterator_traitsIS13_E10value_typeET2_T3_PNS14_IS19_E10value_typeET4_jRbjT5_S1F_jjP12ihipStream_tbEUljE_ZNSN_ISO_Lb1ESR_SS_SU_SV_SZ_EES10_S11_S12_S13_S17_S18_S19_S1C_S1D_jS1E_jS1F_S1F_jjS1H_bEUljE0_EEES10_S11_S12_S19_S1D_S1F_T6_T7_T9_mT8_S1H_bDpT10_ENKUlT_T0_E_clISt17integral_constantIbLb0EES1U_IbLb1EEEEDaS1Q_S1R_EUlS1Q_E_NS1_11comp_targetILNS1_3genE0ELNS1_11target_archE4294967295ELNS1_3gpuE0ELNS1_3repE0EEENS1_30default_config_static_selectorELNS0_4arch9wavefront6targetE0EEEvS13_.kd
    .uniform_work_group_size: 1
    .uses_dynamic_stack: false
    .vgpr_count:     0
    .vgpr_spill_count: 0
    .wavefront_size: 32
    .workgroup_processor_mode: 1
  - .args:
      - .offset:         0
        .size:           184
        .value_kind:     by_value
    .group_segment_fixed_size: 0
    .kernarg_segment_align: 8
    .kernarg_segment_size: 184
    .language:       OpenCL C
    .language_version:
      - 2
      - 0
    .max_flat_workgroup_size: 256
    .name:           _ZN7rocprim17ROCPRIM_400000_NS6detail17trampoline_kernelINS0_13select_configILj256ELj13ELNS0_17block_load_methodE3ELS4_3ELS4_3ELNS0_20block_scan_algorithmE0ELj4294967295EEENS1_25partition_config_selectorILNS1_17partition_subalgoE4EjNS0_10empty_typeEbEEZZNS1_14partition_implILS8_4ELb0ES6_15HIP_vector_typeIjLj2EENS0_17counting_iteratorIjlEEPS9_SG_NS0_5tupleIJPjSI_NS0_16reverse_iteratorISI_EEEEENSH_IJSG_SG_SG_EEES9_SI_JZNS1_25segmented_radix_sort_implINS0_14default_configELb1EPK6__halfPSP_PKlPlN2at6native12_GLOBAL__N_18offset_tEEE10hipError_tPvRmT1_PNSt15iterator_traitsIS13_E10value_typeET2_T3_PNS14_IS19_E10value_typeET4_jRbjT5_S1F_jjP12ihipStream_tbEUljE_ZNSN_ISO_Lb1ESR_SS_SU_SV_SZ_EES10_S11_S12_S13_S17_S18_S19_S1C_S1D_jS1E_jS1F_S1F_jjS1H_bEUljE0_EEES10_S11_S12_S19_S1D_S1F_T6_T7_T9_mT8_S1H_bDpT10_ENKUlT_T0_E_clISt17integral_constantIbLb0EES1U_IbLb1EEEEDaS1Q_S1R_EUlS1Q_E_NS1_11comp_targetILNS1_3genE5ELNS1_11target_archE942ELNS1_3gpuE9ELNS1_3repE0EEENS1_30default_config_static_selectorELNS0_4arch9wavefront6targetE0EEEvS13_
    .private_segment_fixed_size: 0
    .sgpr_count:     0
    .sgpr_spill_count: 0
    .symbol:         _ZN7rocprim17ROCPRIM_400000_NS6detail17trampoline_kernelINS0_13select_configILj256ELj13ELNS0_17block_load_methodE3ELS4_3ELS4_3ELNS0_20block_scan_algorithmE0ELj4294967295EEENS1_25partition_config_selectorILNS1_17partition_subalgoE4EjNS0_10empty_typeEbEEZZNS1_14partition_implILS8_4ELb0ES6_15HIP_vector_typeIjLj2EENS0_17counting_iteratorIjlEEPS9_SG_NS0_5tupleIJPjSI_NS0_16reverse_iteratorISI_EEEEENSH_IJSG_SG_SG_EEES9_SI_JZNS1_25segmented_radix_sort_implINS0_14default_configELb1EPK6__halfPSP_PKlPlN2at6native12_GLOBAL__N_18offset_tEEE10hipError_tPvRmT1_PNSt15iterator_traitsIS13_E10value_typeET2_T3_PNS14_IS19_E10value_typeET4_jRbjT5_S1F_jjP12ihipStream_tbEUljE_ZNSN_ISO_Lb1ESR_SS_SU_SV_SZ_EES10_S11_S12_S13_S17_S18_S19_S1C_S1D_jS1E_jS1F_S1F_jjS1H_bEUljE0_EEES10_S11_S12_S19_S1D_S1F_T6_T7_T9_mT8_S1H_bDpT10_ENKUlT_T0_E_clISt17integral_constantIbLb0EES1U_IbLb1EEEEDaS1Q_S1R_EUlS1Q_E_NS1_11comp_targetILNS1_3genE5ELNS1_11target_archE942ELNS1_3gpuE9ELNS1_3repE0EEENS1_30default_config_static_selectorELNS0_4arch9wavefront6targetE0EEEvS13_.kd
    .uniform_work_group_size: 1
    .uses_dynamic_stack: false
    .vgpr_count:     0
    .vgpr_spill_count: 0
    .wavefront_size: 32
    .workgroup_processor_mode: 1
  - .args:
      - .offset:         0
        .size:           184
        .value_kind:     by_value
    .group_segment_fixed_size: 0
    .kernarg_segment_align: 8
    .kernarg_segment_size: 184
    .language:       OpenCL C
    .language_version:
      - 2
      - 0
    .max_flat_workgroup_size: 256
    .name:           _ZN7rocprim17ROCPRIM_400000_NS6detail17trampoline_kernelINS0_13select_configILj256ELj13ELNS0_17block_load_methodE3ELS4_3ELS4_3ELNS0_20block_scan_algorithmE0ELj4294967295EEENS1_25partition_config_selectorILNS1_17partition_subalgoE4EjNS0_10empty_typeEbEEZZNS1_14partition_implILS8_4ELb0ES6_15HIP_vector_typeIjLj2EENS0_17counting_iteratorIjlEEPS9_SG_NS0_5tupleIJPjSI_NS0_16reverse_iteratorISI_EEEEENSH_IJSG_SG_SG_EEES9_SI_JZNS1_25segmented_radix_sort_implINS0_14default_configELb1EPK6__halfPSP_PKlPlN2at6native12_GLOBAL__N_18offset_tEEE10hipError_tPvRmT1_PNSt15iterator_traitsIS13_E10value_typeET2_T3_PNS14_IS19_E10value_typeET4_jRbjT5_S1F_jjP12ihipStream_tbEUljE_ZNSN_ISO_Lb1ESR_SS_SU_SV_SZ_EES10_S11_S12_S13_S17_S18_S19_S1C_S1D_jS1E_jS1F_S1F_jjS1H_bEUljE0_EEES10_S11_S12_S19_S1D_S1F_T6_T7_T9_mT8_S1H_bDpT10_ENKUlT_T0_E_clISt17integral_constantIbLb0EES1U_IbLb1EEEEDaS1Q_S1R_EUlS1Q_E_NS1_11comp_targetILNS1_3genE4ELNS1_11target_archE910ELNS1_3gpuE8ELNS1_3repE0EEENS1_30default_config_static_selectorELNS0_4arch9wavefront6targetE0EEEvS13_
    .private_segment_fixed_size: 0
    .sgpr_count:     0
    .sgpr_spill_count: 0
    .symbol:         _ZN7rocprim17ROCPRIM_400000_NS6detail17trampoline_kernelINS0_13select_configILj256ELj13ELNS0_17block_load_methodE3ELS4_3ELS4_3ELNS0_20block_scan_algorithmE0ELj4294967295EEENS1_25partition_config_selectorILNS1_17partition_subalgoE4EjNS0_10empty_typeEbEEZZNS1_14partition_implILS8_4ELb0ES6_15HIP_vector_typeIjLj2EENS0_17counting_iteratorIjlEEPS9_SG_NS0_5tupleIJPjSI_NS0_16reverse_iteratorISI_EEEEENSH_IJSG_SG_SG_EEES9_SI_JZNS1_25segmented_radix_sort_implINS0_14default_configELb1EPK6__halfPSP_PKlPlN2at6native12_GLOBAL__N_18offset_tEEE10hipError_tPvRmT1_PNSt15iterator_traitsIS13_E10value_typeET2_T3_PNS14_IS19_E10value_typeET4_jRbjT5_S1F_jjP12ihipStream_tbEUljE_ZNSN_ISO_Lb1ESR_SS_SU_SV_SZ_EES10_S11_S12_S13_S17_S18_S19_S1C_S1D_jS1E_jS1F_S1F_jjS1H_bEUljE0_EEES10_S11_S12_S19_S1D_S1F_T6_T7_T9_mT8_S1H_bDpT10_ENKUlT_T0_E_clISt17integral_constantIbLb0EES1U_IbLb1EEEEDaS1Q_S1R_EUlS1Q_E_NS1_11comp_targetILNS1_3genE4ELNS1_11target_archE910ELNS1_3gpuE8ELNS1_3repE0EEENS1_30default_config_static_selectorELNS0_4arch9wavefront6targetE0EEEvS13_.kd
    .uniform_work_group_size: 1
    .uses_dynamic_stack: false
    .vgpr_count:     0
    .vgpr_spill_count: 0
    .wavefront_size: 32
    .workgroup_processor_mode: 1
  - .args:
      - .offset:         0
        .size:           184
        .value_kind:     by_value
    .group_segment_fixed_size: 0
    .kernarg_segment_align: 8
    .kernarg_segment_size: 184
    .language:       OpenCL C
    .language_version:
      - 2
      - 0
    .max_flat_workgroup_size: 256
    .name:           _ZN7rocprim17ROCPRIM_400000_NS6detail17trampoline_kernelINS0_13select_configILj256ELj13ELNS0_17block_load_methodE3ELS4_3ELS4_3ELNS0_20block_scan_algorithmE0ELj4294967295EEENS1_25partition_config_selectorILNS1_17partition_subalgoE4EjNS0_10empty_typeEbEEZZNS1_14partition_implILS8_4ELb0ES6_15HIP_vector_typeIjLj2EENS0_17counting_iteratorIjlEEPS9_SG_NS0_5tupleIJPjSI_NS0_16reverse_iteratorISI_EEEEENSH_IJSG_SG_SG_EEES9_SI_JZNS1_25segmented_radix_sort_implINS0_14default_configELb1EPK6__halfPSP_PKlPlN2at6native12_GLOBAL__N_18offset_tEEE10hipError_tPvRmT1_PNSt15iterator_traitsIS13_E10value_typeET2_T3_PNS14_IS19_E10value_typeET4_jRbjT5_S1F_jjP12ihipStream_tbEUljE_ZNSN_ISO_Lb1ESR_SS_SU_SV_SZ_EES10_S11_S12_S13_S17_S18_S19_S1C_S1D_jS1E_jS1F_S1F_jjS1H_bEUljE0_EEES10_S11_S12_S19_S1D_S1F_T6_T7_T9_mT8_S1H_bDpT10_ENKUlT_T0_E_clISt17integral_constantIbLb0EES1U_IbLb1EEEEDaS1Q_S1R_EUlS1Q_E_NS1_11comp_targetILNS1_3genE3ELNS1_11target_archE908ELNS1_3gpuE7ELNS1_3repE0EEENS1_30default_config_static_selectorELNS0_4arch9wavefront6targetE0EEEvS13_
    .private_segment_fixed_size: 0
    .sgpr_count:     0
    .sgpr_spill_count: 0
    .symbol:         _ZN7rocprim17ROCPRIM_400000_NS6detail17trampoline_kernelINS0_13select_configILj256ELj13ELNS0_17block_load_methodE3ELS4_3ELS4_3ELNS0_20block_scan_algorithmE0ELj4294967295EEENS1_25partition_config_selectorILNS1_17partition_subalgoE4EjNS0_10empty_typeEbEEZZNS1_14partition_implILS8_4ELb0ES6_15HIP_vector_typeIjLj2EENS0_17counting_iteratorIjlEEPS9_SG_NS0_5tupleIJPjSI_NS0_16reverse_iteratorISI_EEEEENSH_IJSG_SG_SG_EEES9_SI_JZNS1_25segmented_radix_sort_implINS0_14default_configELb1EPK6__halfPSP_PKlPlN2at6native12_GLOBAL__N_18offset_tEEE10hipError_tPvRmT1_PNSt15iterator_traitsIS13_E10value_typeET2_T3_PNS14_IS19_E10value_typeET4_jRbjT5_S1F_jjP12ihipStream_tbEUljE_ZNSN_ISO_Lb1ESR_SS_SU_SV_SZ_EES10_S11_S12_S13_S17_S18_S19_S1C_S1D_jS1E_jS1F_S1F_jjS1H_bEUljE0_EEES10_S11_S12_S19_S1D_S1F_T6_T7_T9_mT8_S1H_bDpT10_ENKUlT_T0_E_clISt17integral_constantIbLb0EES1U_IbLb1EEEEDaS1Q_S1R_EUlS1Q_E_NS1_11comp_targetILNS1_3genE3ELNS1_11target_archE908ELNS1_3gpuE7ELNS1_3repE0EEENS1_30default_config_static_selectorELNS0_4arch9wavefront6targetE0EEEvS13_.kd
    .uniform_work_group_size: 1
    .uses_dynamic_stack: false
    .vgpr_count:     0
    .vgpr_spill_count: 0
    .wavefront_size: 32
    .workgroup_processor_mode: 1
  - .args:
      - .offset:         0
        .size:           184
        .value_kind:     by_value
    .group_segment_fixed_size: 0
    .kernarg_segment_align: 8
    .kernarg_segment_size: 184
    .language:       OpenCL C
    .language_version:
      - 2
      - 0
    .max_flat_workgroup_size: 256
    .name:           _ZN7rocprim17ROCPRIM_400000_NS6detail17trampoline_kernelINS0_13select_configILj256ELj13ELNS0_17block_load_methodE3ELS4_3ELS4_3ELNS0_20block_scan_algorithmE0ELj4294967295EEENS1_25partition_config_selectorILNS1_17partition_subalgoE4EjNS0_10empty_typeEbEEZZNS1_14partition_implILS8_4ELb0ES6_15HIP_vector_typeIjLj2EENS0_17counting_iteratorIjlEEPS9_SG_NS0_5tupleIJPjSI_NS0_16reverse_iteratorISI_EEEEENSH_IJSG_SG_SG_EEES9_SI_JZNS1_25segmented_radix_sort_implINS0_14default_configELb1EPK6__halfPSP_PKlPlN2at6native12_GLOBAL__N_18offset_tEEE10hipError_tPvRmT1_PNSt15iterator_traitsIS13_E10value_typeET2_T3_PNS14_IS19_E10value_typeET4_jRbjT5_S1F_jjP12ihipStream_tbEUljE_ZNSN_ISO_Lb1ESR_SS_SU_SV_SZ_EES10_S11_S12_S13_S17_S18_S19_S1C_S1D_jS1E_jS1F_S1F_jjS1H_bEUljE0_EEES10_S11_S12_S19_S1D_S1F_T6_T7_T9_mT8_S1H_bDpT10_ENKUlT_T0_E_clISt17integral_constantIbLb0EES1U_IbLb1EEEEDaS1Q_S1R_EUlS1Q_E_NS1_11comp_targetILNS1_3genE2ELNS1_11target_archE906ELNS1_3gpuE6ELNS1_3repE0EEENS1_30default_config_static_selectorELNS0_4arch9wavefront6targetE0EEEvS13_
    .private_segment_fixed_size: 0
    .sgpr_count:     0
    .sgpr_spill_count: 0
    .symbol:         _ZN7rocprim17ROCPRIM_400000_NS6detail17trampoline_kernelINS0_13select_configILj256ELj13ELNS0_17block_load_methodE3ELS4_3ELS4_3ELNS0_20block_scan_algorithmE0ELj4294967295EEENS1_25partition_config_selectorILNS1_17partition_subalgoE4EjNS0_10empty_typeEbEEZZNS1_14partition_implILS8_4ELb0ES6_15HIP_vector_typeIjLj2EENS0_17counting_iteratorIjlEEPS9_SG_NS0_5tupleIJPjSI_NS0_16reverse_iteratorISI_EEEEENSH_IJSG_SG_SG_EEES9_SI_JZNS1_25segmented_radix_sort_implINS0_14default_configELb1EPK6__halfPSP_PKlPlN2at6native12_GLOBAL__N_18offset_tEEE10hipError_tPvRmT1_PNSt15iterator_traitsIS13_E10value_typeET2_T3_PNS14_IS19_E10value_typeET4_jRbjT5_S1F_jjP12ihipStream_tbEUljE_ZNSN_ISO_Lb1ESR_SS_SU_SV_SZ_EES10_S11_S12_S13_S17_S18_S19_S1C_S1D_jS1E_jS1F_S1F_jjS1H_bEUljE0_EEES10_S11_S12_S19_S1D_S1F_T6_T7_T9_mT8_S1H_bDpT10_ENKUlT_T0_E_clISt17integral_constantIbLb0EES1U_IbLb1EEEEDaS1Q_S1R_EUlS1Q_E_NS1_11comp_targetILNS1_3genE2ELNS1_11target_archE906ELNS1_3gpuE6ELNS1_3repE0EEENS1_30default_config_static_selectorELNS0_4arch9wavefront6targetE0EEEvS13_.kd
    .uniform_work_group_size: 1
    .uses_dynamic_stack: false
    .vgpr_count:     0
    .vgpr_spill_count: 0
    .wavefront_size: 32
    .workgroup_processor_mode: 1
  - .args:
      - .offset:         0
        .size:           184
        .value_kind:     by_value
    .group_segment_fixed_size: 0
    .kernarg_segment_align: 8
    .kernarg_segment_size: 184
    .language:       OpenCL C
    .language_version:
      - 2
      - 0
    .max_flat_workgroup_size: 256
    .name:           _ZN7rocprim17ROCPRIM_400000_NS6detail17trampoline_kernelINS0_13select_configILj256ELj13ELNS0_17block_load_methodE3ELS4_3ELS4_3ELNS0_20block_scan_algorithmE0ELj4294967295EEENS1_25partition_config_selectorILNS1_17partition_subalgoE4EjNS0_10empty_typeEbEEZZNS1_14partition_implILS8_4ELb0ES6_15HIP_vector_typeIjLj2EENS0_17counting_iteratorIjlEEPS9_SG_NS0_5tupleIJPjSI_NS0_16reverse_iteratorISI_EEEEENSH_IJSG_SG_SG_EEES9_SI_JZNS1_25segmented_radix_sort_implINS0_14default_configELb1EPK6__halfPSP_PKlPlN2at6native12_GLOBAL__N_18offset_tEEE10hipError_tPvRmT1_PNSt15iterator_traitsIS13_E10value_typeET2_T3_PNS14_IS19_E10value_typeET4_jRbjT5_S1F_jjP12ihipStream_tbEUljE_ZNSN_ISO_Lb1ESR_SS_SU_SV_SZ_EES10_S11_S12_S13_S17_S18_S19_S1C_S1D_jS1E_jS1F_S1F_jjS1H_bEUljE0_EEES10_S11_S12_S19_S1D_S1F_T6_T7_T9_mT8_S1H_bDpT10_ENKUlT_T0_E_clISt17integral_constantIbLb0EES1U_IbLb1EEEEDaS1Q_S1R_EUlS1Q_E_NS1_11comp_targetILNS1_3genE10ELNS1_11target_archE1200ELNS1_3gpuE4ELNS1_3repE0EEENS1_30default_config_static_selectorELNS0_4arch9wavefront6targetE0EEEvS13_
    .private_segment_fixed_size: 0
    .sgpr_count:     0
    .sgpr_spill_count: 0
    .symbol:         _ZN7rocprim17ROCPRIM_400000_NS6detail17trampoline_kernelINS0_13select_configILj256ELj13ELNS0_17block_load_methodE3ELS4_3ELS4_3ELNS0_20block_scan_algorithmE0ELj4294967295EEENS1_25partition_config_selectorILNS1_17partition_subalgoE4EjNS0_10empty_typeEbEEZZNS1_14partition_implILS8_4ELb0ES6_15HIP_vector_typeIjLj2EENS0_17counting_iteratorIjlEEPS9_SG_NS0_5tupleIJPjSI_NS0_16reverse_iteratorISI_EEEEENSH_IJSG_SG_SG_EEES9_SI_JZNS1_25segmented_radix_sort_implINS0_14default_configELb1EPK6__halfPSP_PKlPlN2at6native12_GLOBAL__N_18offset_tEEE10hipError_tPvRmT1_PNSt15iterator_traitsIS13_E10value_typeET2_T3_PNS14_IS19_E10value_typeET4_jRbjT5_S1F_jjP12ihipStream_tbEUljE_ZNSN_ISO_Lb1ESR_SS_SU_SV_SZ_EES10_S11_S12_S13_S17_S18_S19_S1C_S1D_jS1E_jS1F_S1F_jjS1H_bEUljE0_EEES10_S11_S12_S19_S1D_S1F_T6_T7_T9_mT8_S1H_bDpT10_ENKUlT_T0_E_clISt17integral_constantIbLb0EES1U_IbLb1EEEEDaS1Q_S1R_EUlS1Q_E_NS1_11comp_targetILNS1_3genE10ELNS1_11target_archE1200ELNS1_3gpuE4ELNS1_3repE0EEENS1_30default_config_static_selectorELNS0_4arch9wavefront6targetE0EEEvS13_.kd
    .uniform_work_group_size: 1
    .uses_dynamic_stack: false
    .vgpr_count:     0
    .vgpr_spill_count: 0
    .wavefront_size: 32
    .workgroup_processor_mode: 1
  - .args:
      - .offset:         0
        .size:           184
        .value_kind:     by_value
    .group_segment_fixed_size: 13340
    .kernarg_segment_align: 8
    .kernarg_segment_size: 184
    .language:       OpenCL C
    .language_version:
      - 2
      - 0
    .max_flat_workgroup_size: 256
    .name:           _ZN7rocprim17ROCPRIM_400000_NS6detail17trampoline_kernelINS0_13select_configILj256ELj13ELNS0_17block_load_methodE3ELS4_3ELS4_3ELNS0_20block_scan_algorithmE0ELj4294967295EEENS1_25partition_config_selectorILNS1_17partition_subalgoE4EjNS0_10empty_typeEbEEZZNS1_14partition_implILS8_4ELb0ES6_15HIP_vector_typeIjLj2EENS0_17counting_iteratorIjlEEPS9_SG_NS0_5tupleIJPjSI_NS0_16reverse_iteratorISI_EEEEENSH_IJSG_SG_SG_EEES9_SI_JZNS1_25segmented_radix_sort_implINS0_14default_configELb1EPK6__halfPSP_PKlPlN2at6native12_GLOBAL__N_18offset_tEEE10hipError_tPvRmT1_PNSt15iterator_traitsIS13_E10value_typeET2_T3_PNS14_IS19_E10value_typeET4_jRbjT5_S1F_jjP12ihipStream_tbEUljE_ZNSN_ISO_Lb1ESR_SS_SU_SV_SZ_EES10_S11_S12_S13_S17_S18_S19_S1C_S1D_jS1E_jS1F_S1F_jjS1H_bEUljE0_EEES10_S11_S12_S19_S1D_S1F_T6_T7_T9_mT8_S1H_bDpT10_ENKUlT_T0_E_clISt17integral_constantIbLb0EES1U_IbLb1EEEEDaS1Q_S1R_EUlS1Q_E_NS1_11comp_targetILNS1_3genE9ELNS1_11target_archE1100ELNS1_3gpuE3ELNS1_3repE0EEENS1_30default_config_static_selectorELNS0_4arch9wavefront6targetE0EEEvS13_
    .private_segment_fixed_size: 0
    .sgpr_count:     57
    .sgpr_spill_count: 0
    .symbol:         _ZN7rocprim17ROCPRIM_400000_NS6detail17trampoline_kernelINS0_13select_configILj256ELj13ELNS0_17block_load_methodE3ELS4_3ELS4_3ELNS0_20block_scan_algorithmE0ELj4294967295EEENS1_25partition_config_selectorILNS1_17partition_subalgoE4EjNS0_10empty_typeEbEEZZNS1_14partition_implILS8_4ELb0ES6_15HIP_vector_typeIjLj2EENS0_17counting_iteratorIjlEEPS9_SG_NS0_5tupleIJPjSI_NS0_16reverse_iteratorISI_EEEEENSH_IJSG_SG_SG_EEES9_SI_JZNS1_25segmented_radix_sort_implINS0_14default_configELb1EPK6__halfPSP_PKlPlN2at6native12_GLOBAL__N_18offset_tEEE10hipError_tPvRmT1_PNSt15iterator_traitsIS13_E10value_typeET2_T3_PNS14_IS19_E10value_typeET4_jRbjT5_S1F_jjP12ihipStream_tbEUljE_ZNSN_ISO_Lb1ESR_SS_SU_SV_SZ_EES10_S11_S12_S13_S17_S18_S19_S1C_S1D_jS1E_jS1F_S1F_jjS1H_bEUljE0_EEES10_S11_S12_S19_S1D_S1F_T6_T7_T9_mT8_S1H_bDpT10_ENKUlT_T0_E_clISt17integral_constantIbLb0EES1U_IbLb1EEEEDaS1Q_S1R_EUlS1Q_E_NS1_11comp_targetILNS1_3genE9ELNS1_11target_archE1100ELNS1_3gpuE3ELNS1_3repE0EEENS1_30default_config_static_selectorELNS0_4arch9wavefront6targetE0EEEvS13_.kd
    .uniform_work_group_size: 1
    .uses_dynamic_stack: false
    .vgpr_count:     103
    .vgpr_spill_count: 0
    .wavefront_size: 32
    .workgroup_processor_mode: 1
  - .args:
      - .offset:         0
        .size:           184
        .value_kind:     by_value
    .group_segment_fixed_size: 0
    .kernarg_segment_align: 8
    .kernarg_segment_size: 184
    .language:       OpenCL C
    .language_version:
      - 2
      - 0
    .max_flat_workgroup_size: 256
    .name:           _ZN7rocprim17ROCPRIM_400000_NS6detail17trampoline_kernelINS0_13select_configILj256ELj13ELNS0_17block_load_methodE3ELS4_3ELS4_3ELNS0_20block_scan_algorithmE0ELj4294967295EEENS1_25partition_config_selectorILNS1_17partition_subalgoE4EjNS0_10empty_typeEbEEZZNS1_14partition_implILS8_4ELb0ES6_15HIP_vector_typeIjLj2EENS0_17counting_iteratorIjlEEPS9_SG_NS0_5tupleIJPjSI_NS0_16reverse_iteratorISI_EEEEENSH_IJSG_SG_SG_EEES9_SI_JZNS1_25segmented_radix_sort_implINS0_14default_configELb1EPK6__halfPSP_PKlPlN2at6native12_GLOBAL__N_18offset_tEEE10hipError_tPvRmT1_PNSt15iterator_traitsIS13_E10value_typeET2_T3_PNS14_IS19_E10value_typeET4_jRbjT5_S1F_jjP12ihipStream_tbEUljE_ZNSN_ISO_Lb1ESR_SS_SU_SV_SZ_EES10_S11_S12_S13_S17_S18_S19_S1C_S1D_jS1E_jS1F_S1F_jjS1H_bEUljE0_EEES10_S11_S12_S19_S1D_S1F_T6_T7_T9_mT8_S1H_bDpT10_ENKUlT_T0_E_clISt17integral_constantIbLb0EES1U_IbLb1EEEEDaS1Q_S1R_EUlS1Q_E_NS1_11comp_targetILNS1_3genE8ELNS1_11target_archE1030ELNS1_3gpuE2ELNS1_3repE0EEENS1_30default_config_static_selectorELNS0_4arch9wavefront6targetE0EEEvS13_
    .private_segment_fixed_size: 0
    .sgpr_count:     0
    .sgpr_spill_count: 0
    .symbol:         _ZN7rocprim17ROCPRIM_400000_NS6detail17trampoline_kernelINS0_13select_configILj256ELj13ELNS0_17block_load_methodE3ELS4_3ELS4_3ELNS0_20block_scan_algorithmE0ELj4294967295EEENS1_25partition_config_selectorILNS1_17partition_subalgoE4EjNS0_10empty_typeEbEEZZNS1_14partition_implILS8_4ELb0ES6_15HIP_vector_typeIjLj2EENS0_17counting_iteratorIjlEEPS9_SG_NS0_5tupleIJPjSI_NS0_16reverse_iteratorISI_EEEEENSH_IJSG_SG_SG_EEES9_SI_JZNS1_25segmented_radix_sort_implINS0_14default_configELb1EPK6__halfPSP_PKlPlN2at6native12_GLOBAL__N_18offset_tEEE10hipError_tPvRmT1_PNSt15iterator_traitsIS13_E10value_typeET2_T3_PNS14_IS19_E10value_typeET4_jRbjT5_S1F_jjP12ihipStream_tbEUljE_ZNSN_ISO_Lb1ESR_SS_SU_SV_SZ_EES10_S11_S12_S13_S17_S18_S19_S1C_S1D_jS1E_jS1F_S1F_jjS1H_bEUljE0_EEES10_S11_S12_S19_S1D_S1F_T6_T7_T9_mT8_S1H_bDpT10_ENKUlT_T0_E_clISt17integral_constantIbLb0EES1U_IbLb1EEEEDaS1Q_S1R_EUlS1Q_E_NS1_11comp_targetILNS1_3genE8ELNS1_11target_archE1030ELNS1_3gpuE2ELNS1_3repE0EEENS1_30default_config_static_selectorELNS0_4arch9wavefront6targetE0EEEvS13_.kd
    .uniform_work_group_size: 1
    .uses_dynamic_stack: false
    .vgpr_count:     0
    .vgpr_spill_count: 0
    .wavefront_size: 32
    .workgroup_processor_mode: 1
  - .args:
      - .offset:         0
        .size:           144
        .value_kind:     by_value
    .group_segment_fixed_size: 0
    .kernarg_segment_align: 8
    .kernarg_segment_size: 144
    .language:       OpenCL C
    .language_version:
      - 2
      - 0
    .max_flat_workgroup_size: 256
    .name:           _ZN7rocprim17ROCPRIM_400000_NS6detail17trampoline_kernelINS0_13select_configILj256ELj13ELNS0_17block_load_methodE3ELS4_3ELS4_3ELNS0_20block_scan_algorithmE0ELj4294967295EEENS1_25partition_config_selectorILNS1_17partition_subalgoE3EjNS0_10empty_typeEbEEZZNS1_14partition_implILS8_3ELb0ES6_jNS0_17counting_iteratorIjlEEPS9_SE_NS0_5tupleIJPjSE_EEENSF_IJSE_SE_EEES9_SG_JZNS1_25segmented_radix_sort_implINS0_14default_configELb1EPK6__halfPSL_PKlPlN2at6native12_GLOBAL__N_18offset_tEEE10hipError_tPvRmT1_PNSt15iterator_traitsISZ_E10value_typeET2_T3_PNS10_IS15_E10value_typeET4_jRbjT5_S1B_jjP12ihipStream_tbEUljE_EEESW_SX_SY_S15_S19_S1B_T6_T7_T9_mT8_S1D_bDpT10_ENKUlT_T0_E_clISt17integral_constantIbLb0EES1Q_EEDaS1L_S1M_EUlS1L_E_NS1_11comp_targetILNS1_3genE0ELNS1_11target_archE4294967295ELNS1_3gpuE0ELNS1_3repE0EEENS1_30default_config_static_selectorELNS0_4arch9wavefront6targetE0EEEvSZ_
    .private_segment_fixed_size: 0
    .sgpr_count:     0
    .sgpr_spill_count: 0
    .symbol:         _ZN7rocprim17ROCPRIM_400000_NS6detail17trampoline_kernelINS0_13select_configILj256ELj13ELNS0_17block_load_methodE3ELS4_3ELS4_3ELNS0_20block_scan_algorithmE0ELj4294967295EEENS1_25partition_config_selectorILNS1_17partition_subalgoE3EjNS0_10empty_typeEbEEZZNS1_14partition_implILS8_3ELb0ES6_jNS0_17counting_iteratorIjlEEPS9_SE_NS0_5tupleIJPjSE_EEENSF_IJSE_SE_EEES9_SG_JZNS1_25segmented_radix_sort_implINS0_14default_configELb1EPK6__halfPSL_PKlPlN2at6native12_GLOBAL__N_18offset_tEEE10hipError_tPvRmT1_PNSt15iterator_traitsISZ_E10value_typeET2_T3_PNS10_IS15_E10value_typeET4_jRbjT5_S1B_jjP12ihipStream_tbEUljE_EEESW_SX_SY_S15_S19_S1B_T6_T7_T9_mT8_S1D_bDpT10_ENKUlT_T0_E_clISt17integral_constantIbLb0EES1Q_EEDaS1L_S1M_EUlS1L_E_NS1_11comp_targetILNS1_3genE0ELNS1_11target_archE4294967295ELNS1_3gpuE0ELNS1_3repE0EEENS1_30default_config_static_selectorELNS0_4arch9wavefront6targetE0EEEvSZ_.kd
    .uniform_work_group_size: 1
    .uses_dynamic_stack: false
    .vgpr_count:     0
    .vgpr_spill_count: 0
    .wavefront_size: 32
    .workgroup_processor_mode: 1
  - .args:
      - .offset:         0
        .size:           144
        .value_kind:     by_value
    .group_segment_fixed_size: 0
    .kernarg_segment_align: 8
    .kernarg_segment_size: 144
    .language:       OpenCL C
    .language_version:
      - 2
      - 0
    .max_flat_workgroup_size: 256
    .name:           _ZN7rocprim17ROCPRIM_400000_NS6detail17trampoline_kernelINS0_13select_configILj256ELj13ELNS0_17block_load_methodE3ELS4_3ELS4_3ELNS0_20block_scan_algorithmE0ELj4294967295EEENS1_25partition_config_selectorILNS1_17partition_subalgoE3EjNS0_10empty_typeEbEEZZNS1_14partition_implILS8_3ELb0ES6_jNS0_17counting_iteratorIjlEEPS9_SE_NS0_5tupleIJPjSE_EEENSF_IJSE_SE_EEES9_SG_JZNS1_25segmented_radix_sort_implINS0_14default_configELb1EPK6__halfPSL_PKlPlN2at6native12_GLOBAL__N_18offset_tEEE10hipError_tPvRmT1_PNSt15iterator_traitsISZ_E10value_typeET2_T3_PNS10_IS15_E10value_typeET4_jRbjT5_S1B_jjP12ihipStream_tbEUljE_EEESW_SX_SY_S15_S19_S1B_T6_T7_T9_mT8_S1D_bDpT10_ENKUlT_T0_E_clISt17integral_constantIbLb0EES1Q_EEDaS1L_S1M_EUlS1L_E_NS1_11comp_targetILNS1_3genE5ELNS1_11target_archE942ELNS1_3gpuE9ELNS1_3repE0EEENS1_30default_config_static_selectorELNS0_4arch9wavefront6targetE0EEEvSZ_
    .private_segment_fixed_size: 0
    .sgpr_count:     0
    .sgpr_spill_count: 0
    .symbol:         _ZN7rocprim17ROCPRIM_400000_NS6detail17trampoline_kernelINS0_13select_configILj256ELj13ELNS0_17block_load_methodE3ELS4_3ELS4_3ELNS0_20block_scan_algorithmE0ELj4294967295EEENS1_25partition_config_selectorILNS1_17partition_subalgoE3EjNS0_10empty_typeEbEEZZNS1_14partition_implILS8_3ELb0ES6_jNS0_17counting_iteratorIjlEEPS9_SE_NS0_5tupleIJPjSE_EEENSF_IJSE_SE_EEES9_SG_JZNS1_25segmented_radix_sort_implINS0_14default_configELb1EPK6__halfPSL_PKlPlN2at6native12_GLOBAL__N_18offset_tEEE10hipError_tPvRmT1_PNSt15iterator_traitsISZ_E10value_typeET2_T3_PNS10_IS15_E10value_typeET4_jRbjT5_S1B_jjP12ihipStream_tbEUljE_EEESW_SX_SY_S15_S19_S1B_T6_T7_T9_mT8_S1D_bDpT10_ENKUlT_T0_E_clISt17integral_constantIbLb0EES1Q_EEDaS1L_S1M_EUlS1L_E_NS1_11comp_targetILNS1_3genE5ELNS1_11target_archE942ELNS1_3gpuE9ELNS1_3repE0EEENS1_30default_config_static_selectorELNS0_4arch9wavefront6targetE0EEEvSZ_.kd
    .uniform_work_group_size: 1
    .uses_dynamic_stack: false
    .vgpr_count:     0
    .vgpr_spill_count: 0
    .wavefront_size: 32
    .workgroup_processor_mode: 1
  - .args:
      - .offset:         0
        .size:           144
        .value_kind:     by_value
    .group_segment_fixed_size: 0
    .kernarg_segment_align: 8
    .kernarg_segment_size: 144
    .language:       OpenCL C
    .language_version:
      - 2
      - 0
    .max_flat_workgroup_size: 256
    .name:           _ZN7rocprim17ROCPRIM_400000_NS6detail17trampoline_kernelINS0_13select_configILj256ELj13ELNS0_17block_load_methodE3ELS4_3ELS4_3ELNS0_20block_scan_algorithmE0ELj4294967295EEENS1_25partition_config_selectorILNS1_17partition_subalgoE3EjNS0_10empty_typeEbEEZZNS1_14partition_implILS8_3ELb0ES6_jNS0_17counting_iteratorIjlEEPS9_SE_NS0_5tupleIJPjSE_EEENSF_IJSE_SE_EEES9_SG_JZNS1_25segmented_radix_sort_implINS0_14default_configELb1EPK6__halfPSL_PKlPlN2at6native12_GLOBAL__N_18offset_tEEE10hipError_tPvRmT1_PNSt15iterator_traitsISZ_E10value_typeET2_T3_PNS10_IS15_E10value_typeET4_jRbjT5_S1B_jjP12ihipStream_tbEUljE_EEESW_SX_SY_S15_S19_S1B_T6_T7_T9_mT8_S1D_bDpT10_ENKUlT_T0_E_clISt17integral_constantIbLb0EES1Q_EEDaS1L_S1M_EUlS1L_E_NS1_11comp_targetILNS1_3genE4ELNS1_11target_archE910ELNS1_3gpuE8ELNS1_3repE0EEENS1_30default_config_static_selectorELNS0_4arch9wavefront6targetE0EEEvSZ_
    .private_segment_fixed_size: 0
    .sgpr_count:     0
    .sgpr_spill_count: 0
    .symbol:         _ZN7rocprim17ROCPRIM_400000_NS6detail17trampoline_kernelINS0_13select_configILj256ELj13ELNS0_17block_load_methodE3ELS4_3ELS4_3ELNS0_20block_scan_algorithmE0ELj4294967295EEENS1_25partition_config_selectorILNS1_17partition_subalgoE3EjNS0_10empty_typeEbEEZZNS1_14partition_implILS8_3ELb0ES6_jNS0_17counting_iteratorIjlEEPS9_SE_NS0_5tupleIJPjSE_EEENSF_IJSE_SE_EEES9_SG_JZNS1_25segmented_radix_sort_implINS0_14default_configELb1EPK6__halfPSL_PKlPlN2at6native12_GLOBAL__N_18offset_tEEE10hipError_tPvRmT1_PNSt15iterator_traitsISZ_E10value_typeET2_T3_PNS10_IS15_E10value_typeET4_jRbjT5_S1B_jjP12ihipStream_tbEUljE_EEESW_SX_SY_S15_S19_S1B_T6_T7_T9_mT8_S1D_bDpT10_ENKUlT_T0_E_clISt17integral_constantIbLb0EES1Q_EEDaS1L_S1M_EUlS1L_E_NS1_11comp_targetILNS1_3genE4ELNS1_11target_archE910ELNS1_3gpuE8ELNS1_3repE0EEENS1_30default_config_static_selectorELNS0_4arch9wavefront6targetE0EEEvSZ_.kd
    .uniform_work_group_size: 1
    .uses_dynamic_stack: false
    .vgpr_count:     0
    .vgpr_spill_count: 0
    .wavefront_size: 32
    .workgroup_processor_mode: 1
  - .args:
      - .offset:         0
        .size:           144
        .value_kind:     by_value
    .group_segment_fixed_size: 0
    .kernarg_segment_align: 8
    .kernarg_segment_size: 144
    .language:       OpenCL C
    .language_version:
      - 2
      - 0
    .max_flat_workgroup_size: 256
    .name:           _ZN7rocprim17ROCPRIM_400000_NS6detail17trampoline_kernelINS0_13select_configILj256ELj13ELNS0_17block_load_methodE3ELS4_3ELS4_3ELNS0_20block_scan_algorithmE0ELj4294967295EEENS1_25partition_config_selectorILNS1_17partition_subalgoE3EjNS0_10empty_typeEbEEZZNS1_14partition_implILS8_3ELb0ES6_jNS0_17counting_iteratorIjlEEPS9_SE_NS0_5tupleIJPjSE_EEENSF_IJSE_SE_EEES9_SG_JZNS1_25segmented_radix_sort_implINS0_14default_configELb1EPK6__halfPSL_PKlPlN2at6native12_GLOBAL__N_18offset_tEEE10hipError_tPvRmT1_PNSt15iterator_traitsISZ_E10value_typeET2_T3_PNS10_IS15_E10value_typeET4_jRbjT5_S1B_jjP12ihipStream_tbEUljE_EEESW_SX_SY_S15_S19_S1B_T6_T7_T9_mT8_S1D_bDpT10_ENKUlT_T0_E_clISt17integral_constantIbLb0EES1Q_EEDaS1L_S1M_EUlS1L_E_NS1_11comp_targetILNS1_3genE3ELNS1_11target_archE908ELNS1_3gpuE7ELNS1_3repE0EEENS1_30default_config_static_selectorELNS0_4arch9wavefront6targetE0EEEvSZ_
    .private_segment_fixed_size: 0
    .sgpr_count:     0
    .sgpr_spill_count: 0
    .symbol:         _ZN7rocprim17ROCPRIM_400000_NS6detail17trampoline_kernelINS0_13select_configILj256ELj13ELNS0_17block_load_methodE3ELS4_3ELS4_3ELNS0_20block_scan_algorithmE0ELj4294967295EEENS1_25partition_config_selectorILNS1_17partition_subalgoE3EjNS0_10empty_typeEbEEZZNS1_14partition_implILS8_3ELb0ES6_jNS0_17counting_iteratorIjlEEPS9_SE_NS0_5tupleIJPjSE_EEENSF_IJSE_SE_EEES9_SG_JZNS1_25segmented_radix_sort_implINS0_14default_configELb1EPK6__halfPSL_PKlPlN2at6native12_GLOBAL__N_18offset_tEEE10hipError_tPvRmT1_PNSt15iterator_traitsISZ_E10value_typeET2_T3_PNS10_IS15_E10value_typeET4_jRbjT5_S1B_jjP12ihipStream_tbEUljE_EEESW_SX_SY_S15_S19_S1B_T6_T7_T9_mT8_S1D_bDpT10_ENKUlT_T0_E_clISt17integral_constantIbLb0EES1Q_EEDaS1L_S1M_EUlS1L_E_NS1_11comp_targetILNS1_3genE3ELNS1_11target_archE908ELNS1_3gpuE7ELNS1_3repE0EEENS1_30default_config_static_selectorELNS0_4arch9wavefront6targetE0EEEvSZ_.kd
    .uniform_work_group_size: 1
    .uses_dynamic_stack: false
    .vgpr_count:     0
    .vgpr_spill_count: 0
    .wavefront_size: 32
    .workgroup_processor_mode: 1
  - .args:
      - .offset:         0
        .size:           144
        .value_kind:     by_value
    .group_segment_fixed_size: 0
    .kernarg_segment_align: 8
    .kernarg_segment_size: 144
    .language:       OpenCL C
    .language_version:
      - 2
      - 0
    .max_flat_workgroup_size: 256
    .name:           _ZN7rocprim17ROCPRIM_400000_NS6detail17trampoline_kernelINS0_13select_configILj256ELj13ELNS0_17block_load_methodE3ELS4_3ELS4_3ELNS0_20block_scan_algorithmE0ELj4294967295EEENS1_25partition_config_selectorILNS1_17partition_subalgoE3EjNS0_10empty_typeEbEEZZNS1_14partition_implILS8_3ELb0ES6_jNS0_17counting_iteratorIjlEEPS9_SE_NS0_5tupleIJPjSE_EEENSF_IJSE_SE_EEES9_SG_JZNS1_25segmented_radix_sort_implINS0_14default_configELb1EPK6__halfPSL_PKlPlN2at6native12_GLOBAL__N_18offset_tEEE10hipError_tPvRmT1_PNSt15iterator_traitsISZ_E10value_typeET2_T3_PNS10_IS15_E10value_typeET4_jRbjT5_S1B_jjP12ihipStream_tbEUljE_EEESW_SX_SY_S15_S19_S1B_T6_T7_T9_mT8_S1D_bDpT10_ENKUlT_T0_E_clISt17integral_constantIbLb0EES1Q_EEDaS1L_S1M_EUlS1L_E_NS1_11comp_targetILNS1_3genE2ELNS1_11target_archE906ELNS1_3gpuE6ELNS1_3repE0EEENS1_30default_config_static_selectorELNS0_4arch9wavefront6targetE0EEEvSZ_
    .private_segment_fixed_size: 0
    .sgpr_count:     0
    .sgpr_spill_count: 0
    .symbol:         _ZN7rocprim17ROCPRIM_400000_NS6detail17trampoline_kernelINS0_13select_configILj256ELj13ELNS0_17block_load_methodE3ELS4_3ELS4_3ELNS0_20block_scan_algorithmE0ELj4294967295EEENS1_25partition_config_selectorILNS1_17partition_subalgoE3EjNS0_10empty_typeEbEEZZNS1_14partition_implILS8_3ELb0ES6_jNS0_17counting_iteratorIjlEEPS9_SE_NS0_5tupleIJPjSE_EEENSF_IJSE_SE_EEES9_SG_JZNS1_25segmented_radix_sort_implINS0_14default_configELb1EPK6__halfPSL_PKlPlN2at6native12_GLOBAL__N_18offset_tEEE10hipError_tPvRmT1_PNSt15iterator_traitsISZ_E10value_typeET2_T3_PNS10_IS15_E10value_typeET4_jRbjT5_S1B_jjP12ihipStream_tbEUljE_EEESW_SX_SY_S15_S19_S1B_T6_T7_T9_mT8_S1D_bDpT10_ENKUlT_T0_E_clISt17integral_constantIbLb0EES1Q_EEDaS1L_S1M_EUlS1L_E_NS1_11comp_targetILNS1_3genE2ELNS1_11target_archE906ELNS1_3gpuE6ELNS1_3repE0EEENS1_30default_config_static_selectorELNS0_4arch9wavefront6targetE0EEEvSZ_.kd
    .uniform_work_group_size: 1
    .uses_dynamic_stack: false
    .vgpr_count:     0
    .vgpr_spill_count: 0
    .wavefront_size: 32
    .workgroup_processor_mode: 1
  - .args:
      - .offset:         0
        .size:           144
        .value_kind:     by_value
    .group_segment_fixed_size: 0
    .kernarg_segment_align: 8
    .kernarg_segment_size: 144
    .language:       OpenCL C
    .language_version:
      - 2
      - 0
    .max_flat_workgroup_size: 256
    .name:           _ZN7rocprim17ROCPRIM_400000_NS6detail17trampoline_kernelINS0_13select_configILj256ELj13ELNS0_17block_load_methodE3ELS4_3ELS4_3ELNS0_20block_scan_algorithmE0ELj4294967295EEENS1_25partition_config_selectorILNS1_17partition_subalgoE3EjNS0_10empty_typeEbEEZZNS1_14partition_implILS8_3ELb0ES6_jNS0_17counting_iteratorIjlEEPS9_SE_NS0_5tupleIJPjSE_EEENSF_IJSE_SE_EEES9_SG_JZNS1_25segmented_radix_sort_implINS0_14default_configELb1EPK6__halfPSL_PKlPlN2at6native12_GLOBAL__N_18offset_tEEE10hipError_tPvRmT1_PNSt15iterator_traitsISZ_E10value_typeET2_T3_PNS10_IS15_E10value_typeET4_jRbjT5_S1B_jjP12ihipStream_tbEUljE_EEESW_SX_SY_S15_S19_S1B_T6_T7_T9_mT8_S1D_bDpT10_ENKUlT_T0_E_clISt17integral_constantIbLb0EES1Q_EEDaS1L_S1M_EUlS1L_E_NS1_11comp_targetILNS1_3genE10ELNS1_11target_archE1200ELNS1_3gpuE4ELNS1_3repE0EEENS1_30default_config_static_selectorELNS0_4arch9wavefront6targetE0EEEvSZ_
    .private_segment_fixed_size: 0
    .sgpr_count:     0
    .sgpr_spill_count: 0
    .symbol:         _ZN7rocprim17ROCPRIM_400000_NS6detail17trampoline_kernelINS0_13select_configILj256ELj13ELNS0_17block_load_methodE3ELS4_3ELS4_3ELNS0_20block_scan_algorithmE0ELj4294967295EEENS1_25partition_config_selectorILNS1_17partition_subalgoE3EjNS0_10empty_typeEbEEZZNS1_14partition_implILS8_3ELb0ES6_jNS0_17counting_iteratorIjlEEPS9_SE_NS0_5tupleIJPjSE_EEENSF_IJSE_SE_EEES9_SG_JZNS1_25segmented_radix_sort_implINS0_14default_configELb1EPK6__halfPSL_PKlPlN2at6native12_GLOBAL__N_18offset_tEEE10hipError_tPvRmT1_PNSt15iterator_traitsISZ_E10value_typeET2_T3_PNS10_IS15_E10value_typeET4_jRbjT5_S1B_jjP12ihipStream_tbEUljE_EEESW_SX_SY_S15_S19_S1B_T6_T7_T9_mT8_S1D_bDpT10_ENKUlT_T0_E_clISt17integral_constantIbLb0EES1Q_EEDaS1L_S1M_EUlS1L_E_NS1_11comp_targetILNS1_3genE10ELNS1_11target_archE1200ELNS1_3gpuE4ELNS1_3repE0EEENS1_30default_config_static_selectorELNS0_4arch9wavefront6targetE0EEEvSZ_.kd
    .uniform_work_group_size: 1
    .uses_dynamic_stack: false
    .vgpr_count:     0
    .vgpr_spill_count: 0
    .wavefront_size: 32
    .workgroup_processor_mode: 1
  - .args:
      - .offset:         0
        .size:           144
        .value_kind:     by_value
    .group_segment_fixed_size: 13324
    .kernarg_segment_align: 8
    .kernarg_segment_size: 144
    .language:       OpenCL C
    .language_version:
      - 2
      - 0
    .max_flat_workgroup_size: 256
    .name:           _ZN7rocprim17ROCPRIM_400000_NS6detail17trampoline_kernelINS0_13select_configILj256ELj13ELNS0_17block_load_methodE3ELS4_3ELS4_3ELNS0_20block_scan_algorithmE0ELj4294967295EEENS1_25partition_config_selectorILNS1_17partition_subalgoE3EjNS0_10empty_typeEbEEZZNS1_14partition_implILS8_3ELb0ES6_jNS0_17counting_iteratorIjlEEPS9_SE_NS0_5tupleIJPjSE_EEENSF_IJSE_SE_EEES9_SG_JZNS1_25segmented_radix_sort_implINS0_14default_configELb1EPK6__halfPSL_PKlPlN2at6native12_GLOBAL__N_18offset_tEEE10hipError_tPvRmT1_PNSt15iterator_traitsISZ_E10value_typeET2_T3_PNS10_IS15_E10value_typeET4_jRbjT5_S1B_jjP12ihipStream_tbEUljE_EEESW_SX_SY_S15_S19_S1B_T6_T7_T9_mT8_S1D_bDpT10_ENKUlT_T0_E_clISt17integral_constantIbLb0EES1Q_EEDaS1L_S1M_EUlS1L_E_NS1_11comp_targetILNS1_3genE9ELNS1_11target_archE1100ELNS1_3gpuE3ELNS1_3repE0EEENS1_30default_config_static_selectorELNS0_4arch9wavefront6targetE0EEEvSZ_
    .private_segment_fixed_size: 0
    .sgpr_count:     30
    .sgpr_spill_count: 0
    .symbol:         _ZN7rocprim17ROCPRIM_400000_NS6detail17trampoline_kernelINS0_13select_configILj256ELj13ELNS0_17block_load_methodE3ELS4_3ELS4_3ELNS0_20block_scan_algorithmE0ELj4294967295EEENS1_25partition_config_selectorILNS1_17partition_subalgoE3EjNS0_10empty_typeEbEEZZNS1_14partition_implILS8_3ELb0ES6_jNS0_17counting_iteratorIjlEEPS9_SE_NS0_5tupleIJPjSE_EEENSF_IJSE_SE_EEES9_SG_JZNS1_25segmented_radix_sort_implINS0_14default_configELb1EPK6__halfPSL_PKlPlN2at6native12_GLOBAL__N_18offset_tEEE10hipError_tPvRmT1_PNSt15iterator_traitsISZ_E10value_typeET2_T3_PNS10_IS15_E10value_typeET4_jRbjT5_S1B_jjP12ihipStream_tbEUljE_EEESW_SX_SY_S15_S19_S1B_T6_T7_T9_mT8_S1D_bDpT10_ENKUlT_T0_E_clISt17integral_constantIbLb0EES1Q_EEDaS1L_S1M_EUlS1L_E_NS1_11comp_targetILNS1_3genE9ELNS1_11target_archE1100ELNS1_3gpuE3ELNS1_3repE0EEENS1_30default_config_static_selectorELNS0_4arch9wavefront6targetE0EEEvSZ_.kd
    .uniform_work_group_size: 1
    .uses_dynamic_stack: false
    .vgpr_count:     57
    .vgpr_spill_count: 0
    .wavefront_size: 32
    .workgroup_processor_mode: 1
  - .args:
      - .offset:         0
        .size:           144
        .value_kind:     by_value
    .group_segment_fixed_size: 0
    .kernarg_segment_align: 8
    .kernarg_segment_size: 144
    .language:       OpenCL C
    .language_version:
      - 2
      - 0
    .max_flat_workgroup_size: 256
    .name:           _ZN7rocprim17ROCPRIM_400000_NS6detail17trampoline_kernelINS0_13select_configILj256ELj13ELNS0_17block_load_methodE3ELS4_3ELS4_3ELNS0_20block_scan_algorithmE0ELj4294967295EEENS1_25partition_config_selectorILNS1_17partition_subalgoE3EjNS0_10empty_typeEbEEZZNS1_14partition_implILS8_3ELb0ES6_jNS0_17counting_iteratorIjlEEPS9_SE_NS0_5tupleIJPjSE_EEENSF_IJSE_SE_EEES9_SG_JZNS1_25segmented_radix_sort_implINS0_14default_configELb1EPK6__halfPSL_PKlPlN2at6native12_GLOBAL__N_18offset_tEEE10hipError_tPvRmT1_PNSt15iterator_traitsISZ_E10value_typeET2_T3_PNS10_IS15_E10value_typeET4_jRbjT5_S1B_jjP12ihipStream_tbEUljE_EEESW_SX_SY_S15_S19_S1B_T6_T7_T9_mT8_S1D_bDpT10_ENKUlT_T0_E_clISt17integral_constantIbLb0EES1Q_EEDaS1L_S1M_EUlS1L_E_NS1_11comp_targetILNS1_3genE8ELNS1_11target_archE1030ELNS1_3gpuE2ELNS1_3repE0EEENS1_30default_config_static_selectorELNS0_4arch9wavefront6targetE0EEEvSZ_
    .private_segment_fixed_size: 0
    .sgpr_count:     0
    .sgpr_spill_count: 0
    .symbol:         _ZN7rocprim17ROCPRIM_400000_NS6detail17trampoline_kernelINS0_13select_configILj256ELj13ELNS0_17block_load_methodE3ELS4_3ELS4_3ELNS0_20block_scan_algorithmE0ELj4294967295EEENS1_25partition_config_selectorILNS1_17partition_subalgoE3EjNS0_10empty_typeEbEEZZNS1_14partition_implILS8_3ELb0ES6_jNS0_17counting_iteratorIjlEEPS9_SE_NS0_5tupleIJPjSE_EEENSF_IJSE_SE_EEES9_SG_JZNS1_25segmented_radix_sort_implINS0_14default_configELb1EPK6__halfPSL_PKlPlN2at6native12_GLOBAL__N_18offset_tEEE10hipError_tPvRmT1_PNSt15iterator_traitsISZ_E10value_typeET2_T3_PNS10_IS15_E10value_typeET4_jRbjT5_S1B_jjP12ihipStream_tbEUljE_EEESW_SX_SY_S15_S19_S1B_T6_T7_T9_mT8_S1D_bDpT10_ENKUlT_T0_E_clISt17integral_constantIbLb0EES1Q_EEDaS1L_S1M_EUlS1L_E_NS1_11comp_targetILNS1_3genE8ELNS1_11target_archE1030ELNS1_3gpuE2ELNS1_3repE0EEENS1_30default_config_static_selectorELNS0_4arch9wavefront6targetE0EEEvSZ_.kd
    .uniform_work_group_size: 1
    .uses_dynamic_stack: false
    .vgpr_count:     0
    .vgpr_spill_count: 0
    .wavefront_size: 32
    .workgroup_processor_mode: 1
  - .args:
      - .offset:         0
        .size:           152
        .value_kind:     by_value
    .group_segment_fixed_size: 0
    .kernarg_segment_align: 8
    .kernarg_segment_size: 152
    .language:       OpenCL C
    .language_version:
      - 2
      - 0
    .max_flat_workgroup_size: 256
    .name:           _ZN7rocprim17ROCPRIM_400000_NS6detail17trampoline_kernelINS0_13select_configILj256ELj13ELNS0_17block_load_methodE3ELS4_3ELS4_3ELNS0_20block_scan_algorithmE0ELj4294967295EEENS1_25partition_config_selectorILNS1_17partition_subalgoE3EjNS0_10empty_typeEbEEZZNS1_14partition_implILS8_3ELb0ES6_jNS0_17counting_iteratorIjlEEPS9_SE_NS0_5tupleIJPjSE_EEENSF_IJSE_SE_EEES9_SG_JZNS1_25segmented_radix_sort_implINS0_14default_configELb1EPK6__halfPSL_PKlPlN2at6native12_GLOBAL__N_18offset_tEEE10hipError_tPvRmT1_PNSt15iterator_traitsISZ_E10value_typeET2_T3_PNS10_IS15_E10value_typeET4_jRbjT5_S1B_jjP12ihipStream_tbEUljE_EEESW_SX_SY_S15_S19_S1B_T6_T7_T9_mT8_S1D_bDpT10_ENKUlT_T0_E_clISt17integral_constantIbLb1EES1Q_EEDaS1L_S1M_EUlS1L_E_NS1_11comp_targetILNS1_3genE0ELNS1_11target_archE4294967295ELNS1_3gpuE0ELNS1_3repE0EEENS1_30default_config_static_selectorELNS0_4arch9wavefront6targetE0EEEvSZ_
    .private_segment_fixed_size: 0
    .sgpr_count:     0
    .sgpr_spill_count: 0
    .symbol:         _ZN7rocprim17ROCPRIM_400000_NS6detail17trampoline_kernelINS0_13select_configILj256ELj13ELNS0_17block_load_methodE3ELS4_3ELS4_3ELNS0_20block_scan_algorithmE0ELj4294967295EEENS1_25partition_config_selectorILNS1_17partition_subalgoE3EjNS0_10empty_typeEbEEZZNS1_14partition_implILS8_3ELb0ES6_jNS0_17counting_iteratorIjlEEPS9_SE_NS0_5tupleIJPjSE_EEENSF_IJSE_SE_EEES9_SG_JZNS1_25segmented_radix_sort_implINS0_14default_configELb1EPK6__halfPSL_PKlPlN2at6native12_GLOBAL__N_18offset_tEEE10hipError_tPvRmT1_PNSt15iterator_traitsISZ_E10value_typeET2_T3_PNS10_IS15_E10value_typeET4_jRbjT5_S1B_jjP12ihipStream_tbEUljE_EEESW_SX_SY_S15_S19_S1B_T6_T7_T9_mT8_S1D_bDpT10_ENKUlT_T0_E_clISt17integral_constantIbLb1EES1Q_EEDaS1L_S1M_EUlS1L_E_NS1_11comp_targetILNS1_3genE0ELNS1_11target_archE4294967295ELNS1_3gpuE0ELNS1_3repE0EEENS1_30default_config_static_selectorELNS0_4arch9wavefront6targetE0EEEvSZ_.kd
    .uniform_work_group_size: 1
    .uses_dynamic_stack: false
    .vgpr_count:     0
    .vgpr_spill_count: 0
    .wavefront_size: 32
    .workgroup_processor_mode: 1
  - .args:
      - .offset:         0
        .size:           152
        .value_kind:     by_value
    .group_segment_fixed_size: 0
    .kernarg_segment_align: 8
    .kernarg_segment_size: 152
    .language:       OpenCL C
    .language_version:
      - 2
      - 0
    .max_flat_workgroup_size: 256
    .name:           _ZN7rocprim17ROCPRIM_400000_NS6detail17trampoline_kernelINS0_13select_configILj256ELj13ELNS0_17block_load_methodE3ELS4_3ELS4_3ELNS0_20block_scan_algorithmE0ELj4294967295EEENS1_25partition_config_selectorILNS1_17partition_subalgoE3EjNS0_10empty_typeEbEEZZNS1_14partition_implILS8_3ELb0ES6_jNS0_17counting_iteratorIjlEEPS9_SE_NS0_5tupleIJPjSE_EEENSF_IJSE_SE_EEES9_SG_JZNS1_25segmented_radix_sort_implINS0_14default_configELb1EPK6__halfPSL_PKlPlN2at6native12_GLOBAL__N_18offset_tEEE10hipError_tPvRmT1_PNSt15iterator_traitsISZ_E10value_typeET2_T3_PNS10_IS15_E10value_typeET4_jRbjT5_S1B_jjP12ihipStream_tbEUljE_EEESW_SX_SY_S15_S19_S1B_T6_T7_T9_mT8_S1D_bDpT10_ENKUlT_T0_E_clISt17integral_constantIbLb1EES1Q_EEDaS1L_S1M_EUlS1L_E_NS1_11comp_targetILNS1_3genE5ELNS1_11target_archE942ELNS1_3gpuE9ELNS1_3repE0EEENS1_30default_config_static_selectorELNS0_4arch9wavefront6targetE0EEEvSZ_
    .private_segment_fixed_size: 0
    .sgpr_count:     0
    .sgpr_spill_count: 0
    .symbol:         _ZN7rocprim17ROCPRIM_400000_NS6detail17trampoline_kernelINS0_13select_configILj256ELj13ELNS0_17block_load_methodE3ELS4_3ELS4_3ELNS0_20block_scan_algorithmE0ELj4294967295EEENS1_25partition_config_selectorILNS1_17partition_subalgoE3EjNS0_10empty_typeEbEEZZNS1_14partition_implILS8_3ELb0ES6_jNS0_17counting_iteratorIjlEEPS9_SE_NS0_5tupleIJPjSE_EEENSF_IJSE_SE_EEES9_SG_JZNS1_25segmented_radix_sort_implINS0_14default_configELb1EPK6__halfPSL_PKlPlN2at6native12_GLOBAL__N_18offset_tEEE10hipError_tPvRmT1_PNSt15iterator_traitsISZ_E10value_typeET2_T3_PNS10_IS15_E10value_typeET4_jRbjT5_S1B_jjP12ihipStream_tbEUljE_EEESW_SX_SY_S15_S19_S1B_T6_T7_T9_mT8_S1D_bDpT10_ENKUlT_T0_E_clISt17integral_constantIbLb1EES1Q_EEDaS1L_S1M_EUlS1L_E_NS1_11comp_targetILNS1_3genE5ELNS1_11target_archE942ELNS1_3gpuE9ELNS1_3repE0EEENS1_30default_config_static_selectorELNS0_4arch9wavefront6targetE0EEEvSZ_.kd
    .uniform_work_group_size: 1
    .uses_dynamic_stack: false
    .vgpr_count:     0
    .vgpr_spill_count: 0
    .wavefront_size: 32
    .workgroup_processor_mode: 1
  - .args:
      - .offset:         0
        .size:           152
        .value_kind:     by_value
    .group_segment_fixed_size: 0
    .kernarg_segment_align: 8
    .kernarg_segment_size: 152
    .language:       OpenCL C
    .language_version:
      - 2
      - 0
    .max_flat_workgroup_size: 256
    .name:           _ZN7rocprim17ROCPRIM_400000_NS6detail17trampoline_kernelINS0_13select_configILj256ELj13ELNS0_17block_load_methodE3ELS4_3ELS4_3ELNS0_20block_scan_algorithmE0ELj4294967295EEENS1_25partition_config_selectorILNS1_17partition_subalgoE3EjNS0_10empty_typeEbEEZZNS1_14partition_implILS8_3ELb0ES6_jNS0_17counting_iteratorIjlEEPS9_SE_NS0_5tupleIJPjSE_EEENSF_IJSE_SE_EEES9_SG_JZNS1_25segmented_radix_sort_implINS0_14default_configELb1EPK6__halfPSL_PKlPlN2at6native12_GLOBAL__N_18offset_tEEE10hipError_tPvRmT1_PNSt15iterator_traitsISZ_E10value_typeET2_T3_PNS10_IS15_E10value_typeET4_jRbjT5_S1B_jjP12ihipStream_tbEUljE_EEESW_SX_SY_S15_S19_S1B_T6_T7_T9_mT8_S1D_bDpT10_ENKUlT_T0_E_clISt17integral_constantIbLb1EES1Q_EEDaS1L_S1M_EUlS1L_E_NS1_11comp_targetILNS1_3genE4ELNS1_11target_archE910ELNS1_3gpuE8ELNS1_3repE0EEENS1_30default_config_static_selectorELNS0_4arch9wavefront6targetE0EEEvSZ_
    .private_segment_fixed_size: 0
    .sgpr_count:     0
    .sgpr_spill_count: 0
    .symbol:         _ZN7rocprim17ROCPRIM_400000_NS6detail17trampoline_kernelINS0_13select_configILj256ELj13ELNS0_17block_load_methodE3ELS4_3ELS4_3ELNS0_20block_scan_algorithmE0ELj4294967295EEENS1_25partition_config_selectorILNS1_17partition_subalgoE3EjNS0_10empty_typeEbEEZZNS1_14partition_implILS8_3ELb0ES6_jNS0_17counting_iteratorIjlEEPS9_SE_NS0_5tupleIJPjSE_EEENSF_IJSE_SE_EEES9_SG_JZNS1_25segmented_radix_sort_implINS0_14default_configELb1EPK6__halfPSL_PKlPlN2at6native12_GLOBAL__N_18offset_tEEE10hipError_tPvRmT1_PNSt15iterator_traitsISZ_E10value_typeET2_T3_PNS10_IS15_E10value_typeET4_jRbjT5_S1B_jjP12ihipStream_tbEUljE_EEESW_SX_SY_S15_S19_S1B_T6_T7_T9_mT8_S1D_bDpT10_ENKUlT_T0_E_clISt17integral_constantIbLb1EES1Q_EEDaS1L_S1M_EUlS1L_E_NS1_11comp_targetILNS1_3genE4ELNS1_11target_archE910ELNS1_3gpuE8ELNS1_3repE0EEENS1_30default_config_static_selectorELNS0_4arch9wavefront6targetE0EEEvSZ_.kd
    .uniform_work_group_size: 1
    .uses_dynamic_stack: false
    .vgpr_count:     0
    .vgpr_spill_count: 0
    .wavefront_size: 32
    .workgroup_processor_mode: 1
  - .args:
      - .offset:         0
        .size:           152
        .value_kind:     by_value
    .group_segment_fixed_size: 0
    .kernarg_segment_align: 8
    .kernarg_segment_size: 152
    .language:       OpenCL C
    .language_version:
      - 2
      - 0
    .max_flat_workgroup_size: 256
    .name:           _ZN7rocprim17ROCPRIM_400000_NS6detail17trampoline_kernelINS0_13select_configILj256ELj13ELNS0_17block_load_methodE3ELS4_3ELS4_3ELNS0_20block_scan_algorithmE0ELj4294967295EEENS1_25partition_config_selectorILNS1_17partition_subalgoE3EjNS0_10empty_typeEbEEZZNS1_14partition_implILS8_3ELb0ES6_jNS0_17counting_iteratorIjlEEPS9_SE_NS0_5tupleIJPjSE_EEENSF_IJSE_SE_EEES9_SG_JZNS1_25segmented_radix_sort_implINS0_14default_configELb1EPK6__halfPSL_PKlPlN2at6native12_GLOBAL__N_18offset_tEEE10hipError_tPvRmT1_PNSt15iterator_traitsISZ_E10value_typeET2_T3_PNS10_IS15_E10value_typeET4_jRbjT5_S1B_jjP12ihipStream_tbEUljE_EEESW_SX_SY_S15_S19_S1B_T6_T7_T9_mT8_S1D_bDpT10_ENKUlT_T0_E_clISt17integral_constantIbLb1EES1Q_EEDaS1L_S1M_EUlS1L_E_NS1_11comp_targetILNS1_3genE3ELNS1_11target_archE908ELNS1_3gpuE7ELNS1_3repE0EEENS1_30default_config_static_selectorELNS0_4arch9wavefront6targetE0EEEvSZ_
    .private_segment_fixed_size: 0
    .sgpr_count:     0
    .sgpr_spill_count: 0
    .symbol:         _ZN7rocprim17ROCPRIM_400000_NS6detail17trampoline_kernelINS0_13select_configILj256ELj13ELNS0_17block_load_methodE3ELS4_3ELS4_3ELNS0_20block_scan_algorithmE0ELj4294967295EEENS1_25partition_config_selectorILNS1_17partition_subalgoE3EjNS0_10empty_typeEbEEZZNS1_14partition_implILS8_3ELb0ES6_jNS0_17counting_iteratorIjlEEPS9_SE_NS0_5tupleIJPjSE_EEENSF_IJSE_SE_EEES9_SG_JZNS1_25segmented_radix_sort_implINS0_14default_configELb1EPK6__halfPSL_PKlPlN2at6native12_GLOBAL__N_18offset_tEEE10hipError_tPvRmT1_PNSt15iterator_traitsISZ_E10value_typeET2_T3_PNS10_IS15_E10value_typeET4_jRbjT5_S1B_jjP12ihipStream_tbEUljE_EEESW_SX_SY_S15_S19_S1B_T6_T7_T9_mT8_S1D_bDpT10_ENKUlT_T0_E_clISt17integral_constantIbLb1EES1Q_EEDaS1L_S1M_EUlS1L_E_NS1_11comp_targetILNS1_3genE3ELNS1_11target_archE908ELNS1_3gpuE7ELNS1_3repE0EEENS1_30default_config_static_selectorELNS0_4arch9wavefront6targetE0EEEvSZ_.kd
    .uniform_work_group_size: 1
    .uses_dynamic_stack: false
    .vgpr_count:     0
    .vgpr_spill_count: 0
    .wavefront_size: 32
    .workgroup_processor_mode: 1
  - .args:
      - .offset:         0
        .size:           152
        .value_kind:     by_value
    .group_segment_fixed_size: 0
    .kernarg_segment_align: 8
    .kernarg_segment_size: 152
    .language:       OpenCL C
    .language_version:
      - 2
      - 0
    .max_flat_workgroup_size: 256
    .name:           _ZN7rocprim17ROCPRIM_400000_NS6detail17trampoline_kernelINS0_13select_configILj256ELj13ELNS0_17block_load_methodE3ELS4_3ELS4_3ELNS0_20block_scan_algorithmE0ELj4294967295EEENS1_25partition_config_selectorILNS1_17partition_subalgoE3EjNS0_10empty_typeEbEEZZNS1_14partition_implILS8_3ELb0ES6_jNS0_17counting_iteratorIjlEEPS9_SE_NS0_5tupleIJPjSE_EEENSF_IJSE_SE_EEES9_SG_JZNS1_25segmented_radix_sort_implINS0_14default_configELb1EPK6__halfPSL_PKlPlN2at6native12_GLOBAL__N_18offset_tEEE10hipError_tPvRmT1_PNSt15iterator_traitsISZ_E10value_typeET2_T3_PNS10_IS15_E10value_typeET4_jRbjT5_S1B_jjP12ihipStream_tbEUljE_EEESW_SX_SY_S15_S19_S1B_T6_T7_T9_mT8_S1D_bDpT10_ENKUlT_T0_E_clISt17integral_constantIbLb1EES1Q_EEDaS1L_S1M_EUlS1L_E_NS1_11comp_targetILNS1_3genE2ELNS1_11target_archE906ELNS1_3gpuE6ELNS1_3repE0EEENS1_30default_config_static_selectorELNS0_4arch9wavefront6targetE0EEEvSZ_
    .private_segment_fixed_size: 0
    .sgpr_count:     0
    .sgpr_spill_count: 0
    .symbol:         _ZN7rocprim17ROCPRIM_400000_NS6detail17trampoline_kernelINS0_13select_configILj256ELj13ELNS0_17block_load_methodE3ELS4_3ELS4_3ELNS0_20block_scan_algorithmE0ELj4294967295EEENS1_25partition_config_selectorILNS1_17partition_subalgoE3EjNS0_10empty_typeEbEEZZNS1_14partition_implILS8_3ELb0ES6_jNS0_17counting_iteratorIjlEEPS9_SE_NS0_5tupleIJPjSE_EEENSF_IJSE_SE_EEES9_SG_JZNS1_25segmented_radix_sort_implINS0_14default_configELb1EPK6__halfPSL_PKlPlN2at6native12_GLOBAL__N_18offset_tEEE10hipError_tPvRmT1_PNSt15iterator_traitsISZ_E10value_typeET2_T3_PNS10_IS15_E10value_typeET4_jRbjT5_S1B_jjP12ihipStream_tbEUljE_EEESW_SX_SY_S15_S19_S1B_T6_T7_T9_mT8_S1D_bDpT10_ENKUlT_T0_E_clISt17integral_constantIbLb1EES1Q_EEDaS1L_S1M_EUlS1L_E_NS1_11comp_targetILNS1_3genE2ELNS1_11target_archE906ELNS1_3gpuE6ELNS1_3repE0EEENS1_30default_config_static_selectorELNS0_4arch9wavefront6targetE0EEEvSZ_.kd
    .uniform_work_group_size: 1
    .uses_dynamic_stack: false
    .vgpr_count:     0
    .vgpr_spill_count: 0
    .wavefront_size: 32
    .workgroup_processor_mode: 1
  - .args:
      - .offset:         0
        .size:           152
        .value_kind:     by_value
    .group_segment_fixed_size: 0
    .kernarg_segment_align: 8
    .kernarg_segment_size: 152
    .language:       OpenCL C
    .language_version:
      - 2
      - 0
    .max_flat_workgroup_size: 256
    .name:           _ZN7rocprim17ROCPRIM_400000_NS6detail17trampoline_kernelINS0_13select_configILj256ELj13ELNS0_17block_load_methodE3ELS4_3ELS4_3ELNS0_20block_scan_algorithmE0ELj4294967295EEENS1_25partition_config_selectorILNS1_17partition_subalgoE3EjNS0_10empty_typeEbEEZZNS1_14partition_implILS8_3ELb0ES6_jNS0_17counting_iteratorIjlEEPS9_SE_NS0_5tupleIJPjSE_EEENSF_IJSE_SE_EEES9_SG_JZNS1_25segmented_radix_sort_implINS0_14default_configELb1EPK6__halfPSL_PKlPlN2at6native12_GLOBAL__N_18offset_tEEE10hipError_tPvRmT1_PNSt15iterator_traitsISZ_E10value_typeET2_T3_PNS10_IS15_E10value_typeET4_jRbjT5_S1B_jjP12ihipStream_tbEUljE_EEESW_SX_SY_S15_S19_S1B_T6_T7_T9_mT8_S1D_bDpT10_ENKUlT_T0_E_clISt17integral_constantIbLb1EES1Q_EEDaS1L_S1M_EUlS1L_E_NS1_11comp_targetILNS1_3genE10ELNS1_11target_archE1200ELNS1_3gpuE4ELNS1_3repE0EEENS1_30default_config_static_selectorELNS0_4arch9wavefront6targetE0EEEvSZ_
    .private_segment_fixed_size: 0
    .sgpr_count:     0
    .sgpr_spill_count: 0
    .symbol:         _ZN7rocprim17ROCPRIM_400000_NS6detail17trampoline_kernelINS0_13select_configILj256ELj13ELNS0_17block_load_methodE3ELS4_3ELS4_3ELNS0_20block_scan_algorithmE0ELj4294967295EEENS1_25partition_config_selectorILNS1_17partition_subalgoE3EjNS0_10empty_typeEbEEZZNS1_14partition_implILS8_3ELb0ES6_jNS0_17counting_iteratorIjlEEPS9_SE_NS0_5tupleIJPjSE_EEENSF_IJSE_SE_EEES9_SG_JZNS1_25segmented_radix_sort_implINS0_14default_configELb1EPK6__halfPSL_PKlPlN2at6native12_GLOBAL__N_18offset_tEEE10hipError_tPvRmT1_PNSt15iterator_traitsISZ_E10value_typeET2_T3_PNS10_IS15_E10value_typeET4_jRbjT5_S1B_jjP12ihipStream_tbEUljE_EEESW_SX_SY_S15_S19_S1B_T6_T7_T9_mT8_S1D_bDpT10_ENKUlT_T0_E_clISt17integral_constantIbLb1EES1Q_EEDaS1L_S1M_EUlS1L_E_NS1_11comp_targetILNS1_3genE10ELNS1_11target_archE1200ELNS1_3gpuE4ELNS1_3repE0EEENS1_30default_config_static_selectorELNS0_4arch9wavefront6targetE0EEEvSZ_.kd
    .uniform_work_group_size: 1
    .uses_dynamic_stack: false
    .vgpr_count:     0
    .vgpr_spill_count: 0
    .wavefront_size: 32
    .workgroup_processor_mode: 1
  - .args:
      - .offset:         0
        .size:           152
        .value_kind:     by_value
    .group_segment_fixed_size: 13324
    .kernarg_segment_align: 8
    .kernarg_segment_size: 152
    .language:       OpenCL C
    .language_version:
      - 2
      - 0
    .max_flat_workgroup_size: 256
    .name:           _ZN7rocprim17ROCPRIM_400000_NS6detail17trampoline_kernelINS0_13select_configILj256ELj13ELNS0_17block_load_methodE3ELS4_3ELS4_3ELNS0_20block_scan_algorithmE0ELj4294967295EEENS1_25partition_config_selectorILNS1_17partition_subalgoE3EjNS0_10empty_typeEbEEZZNS1_14partition_implILS8_3ELb0ES6_jNS0_17counting_iteratorIjlEEPS9_SE_NS0_5tupleIJPjSE_EEENSF_IJSE_SE_EEES9_SG_JZNS1_25segmented_radix_sort_implINS0_14default_configELb1EPK6__halfPSL_PKlPlN2at6native12_GLOBAL__N_18offset_tEEE10hipError_tPvRmT1_PNSt15iterator_traitsISZ_E10value_typeET2_T3_PNS10_IS15_E10value_typeET4_jRbjT5_S1B_jjP12ihipStream_tbEUljE_EEESW_SX_SY_S15_S19_S1B_T6_T7_T9_mT8_S1D_bDpT10_ENKUlT_T0_E_clISt17integral_constantIbLb1EES1Q_EEDaS1L_S1M_EUlS1L_E_NS1_11comp_targetILNS1_3genE9ELNS1_11target_archE1100ELNS1_3gpuE3ELNS1_3repE0EEENS1_30default_config_static_selectorELNS0_4arch9wavefront6targetE0EEEvSZ_
    .private_segment_fixed_size: 0
    .sgpr_count:     28
    .sgpr_spill_count: 0
    .symbol:         _ZN7rocprim17ROCPRIM_400000_NS6detail17trampoline_kernelINS0_13select_configILj256ELj13ELNS0_17block_load_methodE3ELS4_3ELS4_3ELNS0_20block_scan_algorithmE0ELj4294967295EEENS1_25partition_config_selectorILNS1_17partition_subalgoE3EjNS0_10empty_typeEbEEZZNS1_14partition_implILS8_3ELb0ES6_jNS0_17counting_iteratorIjlEEPS9_SE_NS0_5tupleIJPjSE_EEENSF_IJSE_SE_EEES9_SG_JZNS1_25segmented_radix_sort_implINS0_14default_configELb1EPK6__halfPSL_PKlPlN2at6native12_GLOBAL__N_18offset_tEEE10hipError_tPvRmT1_PNSt15iterator_traitsISZ_E10value_typeET2_T3_PNS10_IS15_E10value_typeET4_jRbjT5_S1B_jjP12ihipStream_tbEUljE_EEESW_SX_SY_S15_S19_S1B_T6_T7_T9_mT8_S1D_bDpT10_ENKUlT_T0_E_clISt17integral_constantIbLb1EES1Q_EEDaS1L_S1M_EUlS1L_E_NS1_11comp_targetILNS1_3genE9ELNS1_11target_archE1100ELNS1_3gpuE3ELNS1_3repE0EEENS1_30default_config_static_selectorELNS0_4arch9wavefront6targetE0EEEvSZ_.kd
    .uniform_work_group_size: 1
    .uses_dynamic_stack: false
    .vgpr_count:     60
    .vgpr_spill_count: 0
    .wavefront_size: 32
    .workgroup_processor_mode: 1
  - .args:
      - .offset:         0
        .size:           152
        .value_kind:     by_value
    .group_segment_fixed_size: 0
    .kernarg_segment_align: 8
    .kernarg_segment_size: 152
    .language:       OpenCL C
    .language_version:
      - 2
      - 0
    .max_flat_workgroup_size: 256
    .name:           _ZN7rocprim17ROCPRIM_400000_NS6detail17trampoline_kernelINS0_13select_configILj256ELj13ELNS0_17block_load_methodE3ELS4_3ELS4_3ELNS0_20block_scan_algorithmE0ELj4294967295EEENS1_25partition_config_selectorILNS1_17partition_subalgoE3EjNS0_10empty_typeEbEEZZNS1_14partition_implILS8_3ELb0ES6_jNS0_17counting_iteratorIjlEEPS9_SE_NS0_5tupleIJPjSE_EEENSF_IJSE_SE_EEES9_SG_JZNS1_25segmented_radix_sort_implINS0_14default_configELb1EPK6__halfPSL_PKlPlN2at6native12_GLOBAL__N_18offset_tEEE10hipError_tPvRmT1_PNSt15iterator_traitsISZ_E10value_typeET2_T3_PNS10_IS15_E10value_typeET4_jRbjT5_S1B_jjP12ihipStream_tbEUljE_EEESW_SX_SY_S15_S19_S1B_T6_T7_T9_mT8_S1D_bDpT10_ENKUlT_T0_E_clISt17integral_constantIbLb1EES1Q_EEDaS1L_S1M_EUlS1L_E_NS1_11comp_targetILNS1_3genE8ELNS1_11target_archE1030ELNS1_3gpuE2ELNS1_3repE0EEENS1_30default_config_static_selectorELNS0_4arch9wavefront6targetE0EEEvSZ_
    .private_segment_fixed_size: 0
    .sgpr_count:     0
    .sgpr_spill_count: 0
    .symbol:         _ZN7rocprim17ROCPRIM_400000_NS6detail17trampoline_kernelINS0_13select_configILj256ELj13ELNS0_17block_load_methodE3ELS4_3ELS4_3ELNS0_20block_scan_algorithmE0ELj4294967295EEENS1_25partition_config_selectorILNS1_17partition_subalgoE3EjNS0_10empty_typeEbEEZZNS1_14partition_implILS8_3ELb0ES6_jNS0_17counting_iteratorIjlEEPS9_SE_NS0_5tupleIJPjSE_EEENSF_IJSE_SE_EEES9_SG_JZNS1_25segmented_radix_sort_implINS0_14default_configELb1EPK6__halfPSL_PKlPlN2at6native12_GLOBAL__N_18offset_tEEE10hipError_tPvRmT1_PNSt15iterator_traitsISZ_E10value_typeET2_T3_PNS10_IS15_E10value_typeET4_jRbjT5_S1B_jjP12ihipStream_tbEUljE_EEESW_SX_SY_S15_S19_S1B_T6_T7_T9_mT8_S1D_bDpT10_ENKUlT_T0_E_clISt17integral_constantIbLb1EES1Q_EEDaS1L_S1M_EUlS1L_E_NS1_11comp_targetILNS1_3genE8ELNS1_11target_archE1030ELNS1_3gpuE2ELNS1_3repE0EEENS1_30default_config_static_selectorELNS0_4arch9wavefront6targetE0EEEvSZ_.kd
    .uniform_work_group_size: 1
    .uses_dynamic_stack: false
    .vgpr_count:     0
    .vgpr_spill_count: 0
    .wavefront_size: 32
    .workgroup_processor_mode: 1
  - .args:
      - .offset:         0
        .size:           144
        .value_kind:     by_value
    .group_segment_fixed_size: 0
    .kernarg_segment_align: 8
    .kernarg_segment_size: 144
    .language:       OpenCL C
    .language_version:
      - 2
      - 0
    .max_flat_workgroup_size: 256
    .name:           _ZN7rocprim17ROCPRIM_400000_NS6detail17trampoline_kernelINS0_13select_configILj256ELj13ELNS0_17block_load_methodE3ELS4_3ELS4_3ELNS0_20block_scan_algorithmE0ELj4294967295EEENS1_25partition_config_selectorILNS1_17partition_subalgoE3EjNS0_10empty_typeEbEEZZNS1_14partition_implILS8_3ELb0ES6_jNS0_17counting_iteratorIjlEEPS9_SE_NS0_5tupleIJPjSE_EEENSF_IJSE_SE_EEES9_SG_JZNS1_25segmented_radix_sort_implINS0_14default_configELb1EPK6__halfPSL_PKlPlN2at6native12_GLOBAL__N_18offset_tEEE10hipError_tPvRmT1_PNSt15iterator_traitsISZ_E10value_typeET2_T3_PNS10_IS15_E10value_typeET4_jRbjT5_S1B_jjP12ihipStream_tbEUljE_EEESW_SX_SY_S15_S19_S1B_T6_T7_T9_mT8_S1D_bDpT10_ENKUlT_T0_E_clISt17integral_constantIbLb1EES1P_IbLb0EEEEDaS1L_S1M_EUlS1L_E_NS1_11comp_targetILNS1_3genE0ELNS1_11target_archE4294967295ELNS1_3gpuE0ELNS1_3repE0EEENS1_30default_config_static_selectorELNS0_4arch9wavefront6targetE0EEEvSZ_
    .private_segment_fixed_size: 0
    .sgpr_count:     0
    .sgpr_spill_count: 0
    .symbol:         _ZN7rocprim17ROCPRIM_400000_NS6detail17trampoline_kernelINS0_13select_configILj256ELj13ELNS0_17block_load_methodE3ELS4_3ELS4_3ELNS0_20block_scan_algorithmE0ELj4294967295EEENS1_25partition_config_selectorILNS1_17partition_subalgoE3EjNS0_10empty_typeEbEEZZNS1_14partition_implILS8_3ELb0ES6_jNS0_17counting_iteratorIjlEEPS9_SE_NS0_5tupleIJPjSE_EEENSF_IJSE_SE_EEES9_SG_JZNS1_25segmented_radix_sort_implINS0_14default_configELb1EPK6__halfPSL_PKlPlN2at6native12_GLOBAL__N_18offset_tEEE10hipError_tPvRmT1_PNSt15iterator_traitsISZ_E10value_typeET2_T3_PNS10_IS15_E10value_typeET4_jRbjT5_S1B_jjP12ihipStream_tbEUljE_EEESW_SX_SY_S15_S19_S1B_T6_T7_T9_mT8_S1D_bDpT10_ENKUlT_T0_E_clISt17integral_constantIbLb1EES1P_IbLb0EEEEDaS1L_S1M_EUlS1L_E_NS1_11comp_targetILNS1_3genE0ELNS1_11target_archE4294967295ELNS1_3gpuE0ELNS1_3repE0EEENS1_30default_config_static_selectorELNS0_4arch9wavefront6targetE0EEEvSZ_.kd
    .uniform_work_group_size: 1
    .uses_dynamic_stack: false
    .vgpr_count:     0
    .vgpr_spill_count: 0
    .wavefront_size: 32
    .workgroup_processor_mode: 1
  - .args:
      - .offset:         0
        .size:           144
        .value_kind:     by_value
    .group_segment_fixed_size: 0
    .kernarg_segment_align: 8
    .kernarg_segment_size: 144
    .language:       OpenCL C
    .language_version:
      - 2
      - 0
    .max_flat_workgroup_size: 256
    .name:           _ZN7rocprim17ROCPRIM_400000_NS6detail17trampoline_kernelINS0_13select_configILj256ELj13ELNS0_17block_load_methodE3ELS4_3ELS4_3ELNS0_20block_scan_algorithmE0ELj4294967295EEENS1_25partition_config_selectorILNS1_17partition_subalgoE3EjNS0_10empty_typeEbEEZZNS1_14partition_implILS8_3ELb0ES6_jNS0_17counting_iteratorIjlEEPS9_SE_NS0_5tupleIJPjSE_EEENSF_IJSE_SE_EEES9_SG_JZNS1_25segmented_radix_sort_implINS0_14default_configELb1EPK6__halfPSL_PKlPlN2at6native12_GLOBAL__N_18offset_tEEE10hipError_tPvRmT1_PNSt15iterator_traitsISZ_E10value_typeET2_T3_PNS10_IS15_E10value_typeET4_jRbjT5_S1B_jjP12ihipStream_tbEUljE_EEESW_SX_SY_S15_S19_S1B_T6_T7_T9_mT8_S1D_bDpT10_ENKUlT_T0_E_clISt17integral_constantIbLb1EES1P_IbLb0EEEEDaS1L_S1M_EUlS1L_E_NS1_11comp_targetILNS1_3genE5ELNS1_11target_archE942ELNS1_3gpuE9ELNS1_3repE0EEENS1_30default_config_static_selectorELNS0_4arch9wavefront6targetE0EEEvSZ_
    .private_segment_fixed_size: 0
    .sgpr_count:     0
    .sgpr_spill_count: 0
    .symbol:         _ZN7rocprim17ROCPRIM_400000_NS6detail17trampoline_kernelINS0_13select_configILj256ELj13ELNS0_17block_load_methodE3ELS4_3ELS4_3ELNS0_20block_scan_algorithmE0ELj4294967295EEENS1_25partition_config_selectorILNS1_17partition_subalgoE3EjNS0_10empty_typeEbEEZZNS1_14partition_implILS8_3ELb0ES6_jNS0_17counting_iteratorIjlEEPS9_SE_NS0_5tupleIJPjSE_EEENSF_IJSE_SE_EEES9_SG_JZNS1_25segmented_radix_sort_implINS0_14default_configELb1EPK6__halfPSL_PKlPlN2at6native12_GLOBAL__N_18offset_tEEE10hipError_tPvRmT1_PNSt15iterator_traitsISZ_E10value_typeET2_T3_PNS10_IS15_E10value_typeET4_jRbjT5_S1B_jjP12ihipStream_tbEUljE_EEESW_SX_SY_S15_S19_S1B_T6_T7_T9_mT8_S1D_bDpT10_ENKUlT_T0_E_clISt17integral_constantIbLb1EES1P_IbLb0EEEEDaS1L_S1M_EUlS1L_E_NS1_11comp_targetILNS1_3genE5ELNS1_11target_archE942ELNS1_3gpuE9ELNS1_3repE0EEENS1_30default_config_static_selectorELNS0_4arch9wavefront6targetE0EEEvSZ_.kd
    .uniform_work_group_size: 1
    .uses_dynamic_stack: false
    .vgpr_count:     0
    .vgpr_spill_count: 0
    .wavefront_size: 32
    .workgroup_processor_mode: 1
  - .args:
      - .offset:         0
        .size:           144
        .value_kind:     by_value
    .group_segment_fixed_size: 0
    .kernarg_segment_align: 8
    .kernarg_segment_size: 144
    .language:       OpenCL C
    .language_version:
      - 2
      - 0
    .max_flat_workgroup_size: 256
    .name:           _ZN7rocprim17ROCPRIM_400000_NS6detail17trampoline_kernelINS0_13select_configILj256ELj13ELNS0_17block_load_methodE3ELS4_3ELS4_3ELNS0_20block_scan_algorithmE0ELj4294967295EEENS1_25partition_config_selectorILNS1_17partition_subalgoE3EjNS0_10empty_typeEbEEZZNS1_14partition_implILS8_3ELb0ES6_jNS0_17counting_iteratorIjlEEPS9_SE_NS0_5tupleIJPjSE_EEENSF_IJSE_SE_EEES9_SG_JZNS1_25segmented_radix_sort_implINS0_14default_configELb1EPK6__halfPSL_PKlPlN2at6native12_GLOBAL__N_18offset_tEEE10hipError_tPvRmT1_PNSt15iterator_traitsISZ_E10value_typeET2_T3_PNS10_IS15_E10value_typeET4_jRbjT5_S1B_jjP12ihipStream_tbEUljE_EEESW_SX_SY_S15_S19_S1B_T6_T7_T9_mT8_S1D_bDpT10_ENKUlT_T0_E_clISt17integral_constantIbLb1EES1P_IbLb0EEEEDaS1L_S1M_EUlS1L_E_NS1_11comp_targetILNS1_3genE4ELNS1_11target_archE910ELNS1_3gpuE8ELNS1_3repE0EEENS1_30default_config_static_selectorELNS0_4arch9wavefront6targetE0EEEvSZ_
    .private_segment_fixed_size: 0
    .sgpr_count:     0
    .sgpr_spill_count: 0
    .symbol:         _ZN7rocprim17ROCPRIM_400000_NS6detail17trampoline_kernelINS0_13select_configILj256ELj13ELNS0_17block_load_methodE3ELS4_3ELS4_3ELNS0_20block_scan_algorithmE0ELj4294967295EEENS1_25partition_config_selectorILNS1_17partition_subalgoE3EjNS0_10empty_typeEbEEZZNS1_14partition_implILS8_3ELb0ES6_jNS0_17counting_iteratorIjlEEPS9_SE_NS0_5tupleIJPjSE_EEENSF_IJSE_SE_EEES9_SG_JZNS1_25segmented_radix_sort_implINS0_14default_configELb1EPK6__halfPSL_PKlPlN2at6native12_GLOBAL__N_18offset_tEEE10hipError_tPvRmT1_PNSt15iterator_traitsISZ_E10value_typeET2_T3_PNS10_IS15_E10value_typeET4_jRbjT5_S1B_jjP12ihipStream_tbEUljE_EEESW_SX_SY_S15_S19_S1B_T6_T7_T9_mT8_S1D_bDpT10_ENKUlT_T0_E_clISt17integral_constantIbLb1EES1P_IbLb0EEEEDaS1L_S1M_EUlS1L_E_NS1_11comp_targetILNS1_3genE4ELNS1_11target_archE910ELNS1_3gpuE8ELNS1_3repE0EEENS1_30default_config_static_selectorELNS0_4arch9wavefront6targetE0EEEvSZ_.kd
    .uniform_work_group_size: 1
    .uses_dynamic_stack: false
    .vgpr_count:     0
    .vgpr_spill_count: 0
    .wavefront_size: 32
    .workgroup_processor_mode: 1
  - .args:
      - .offset:         0
        .size:           144
        .value_kind:     by_value
    .group_segment_fixed_size: 0
    .kernarg_segment_align: 8
    .kernarg_segment_size: 144
    .language:       OpenCL C
    .language_version:
      - 2
      - 0
    .max_flat_workgroup_size: 256
    .name:           _ZN7rocprim17ROCPRIM_400000_NS6detail17trampoline_kernelINS0_13select_configILj256ELj13ELNS0_17block_load_methodE3ELS4_3ELS4_3ELNS0_20block_scan_algorithmE0ELj4294967295EEENS1_25partition_config_selectorILNS1_17partition_subalgoE3EjNS0_10empty_typeEbEEZZNS1_14partition_implILS8_3ELb0ES6_jNS0_17counting_iteratorIjlEEPS9_SE_NS0_5tupleIJPjSE_EEENSF_IJSE_SE_EEES9_SG_JZNS1_25segmented_radix_sort_implINS0_14default_configELb1EPK6__halfPSL_PKlPlN2at6native12_GLOBAL__N_18offset_tEEE10hipError_tPvRmT1_PNSt15iterator_traitsISZ_E10value_typeET2_T3_PNS10_IS15_E10value_typeET4_jRbjT5_S1B_jjP12ihipStream_tbEUljE_EEESW_SX_SY_S15_S19_S1B_T6_T7_T9_mT8_S1D_bDpT10_ENKUlT_T0_E_clISt17integral_constantIbLb1EES1P_IbLb0EEEEDaS1L_S1M_EUlS1L_E_NS1_11comp_targetILNS1_3genE3ELNS1_11target_archE908ELNS1_3gpuE7ELNS1_3repE0EEENS1_30default_config_static_selectorELNS0_4arch9wavefront6targetE0EEEvSZ_
    .private_segment_fixed_size: 0
    .sgpr_count:     0
    .sgpr_spill_count: 0
    .symbol:         _ZN7rocprim17ROCPRIM_400000_NS6detail17trampoline_kernelINS0_13select_configILj256ELj13ELNS0_17block_load_methodE3ELS4_3ELS4_3ELNS0_20block_scan_algorithmE0ELj4294967295EEENS1_25partition_config_selectorILNS1_17partition_subalgoE3EjNS0_10empty_typeEbEEZZNS1_14partition_implILS8_3ELb0ES6_jNS0_17counting_iteratorIjlEEPS9_SE_NS0_5tupleIJPjSE_EEENSF_IJSE_SE_EEES9_SG_JZNS1_25segmented_radix_sort_implINS0_14default_configELb1EPK6__halfPSL_PKlPlN2at6native12_GLOBAL__N_18offset_tEEE10hipError_tPvRmT1_PNSt15iterator_traitsISZ_E10value_typeET2_T3_PNS10_IS15_E10value_typeET4_jRbjT5_S1B_jjP12ihipStream_tbEUljE_EEESW_SX_SY_S15_S19_S1B_T6_T7_T9_mT8_S1D_bDpT10_ENKUlT_T0_E_clISt17integral_constantIbLb1EES1P_IbLb0EEEEDaS1L_S1M_EUlS1L_E_NS1_11comp_targetILNS1_3genE3ELNS1_11target_archE908ELNS1_3gpuE7ELNS1_3repE0EEENS1_30default_config_static_selectorELNS0_4arch9wavefront6targetE0EEEvSZ_.kd
    .uniform_work_group_size: 1
    .uses_dynamic_stack: false
    .vgpr_count:     0
    .vgpr_spill_count: 0
    .wavefront_size: 32
    .workgroup_processor_mode: 1
  - .args:
      - .offset:         0
        .size:           144
        .value_kind:     by_value
    .group_segment_fixed_size: 0
    .kernarg_segment_align: 8
    .kernarg_segment_size: 144
    .language:       OpenCL C
    .language_version:
      - 2
      - 0
    .max_flat_workgroup_size: 256
    .name:           _ZN7rocprim17ROCPRIM_400000_NS6detail17trampoline_kernelINS0_13select_configILj256ELj13ELNS0_17block_load_methodE3ELS4_3ELS4_3ELNS0_20block_scan_algorithmE0ELj4294967295EEENS1_25partition_config_selectorILNS1_17partition_subalgoE3EjNS0_10empty_typeEbEEZZNS1_14partition_implILS8_3ELb0ES6_jNS0_17counting_iteratorIjlEEPS9_SE_NS0_5tupleIJPjSE_EEENSF_IJSE_SE_EEES9_SG_JZNS1_25segmented_radix_sort_implINS0_14default_configELb1EPK6__halfPSL_PKlPlN2at6native12_GLOBAL__N_18offset_tEEE10hipError_tPvRmT1_PNSt15iterator_traitsISZ_E10value_typeET2_T3_PNS10_IS15_E10value_typeET4_jRbjT5_S1B_jjP12ihipStream_tbEUljE_EEESW_SX_SY_S15_S19_S1B_T6_T7_T9_mT8_S1D_bDpT10_ENKUlT_T0_E_clISt17integral_constantIbLb1EES1P_IbLb0EEEEDaS1L_S1M_EUlS1L_E_NS1_11comp_targetILNS1_3genE2ELNS1_11target_archE906ELNS1_3gpuE6ELNS1_3repE0EEENS1_30default_config_static_selectorELNS0_4arch9wavefront6targetE0EEEvSZ_
    .private_segment_fixed_size: 0
    .sgpr_count:     0
    .sgpr_spill_count: 0
    .symbol:         _ZN7rocprim17ROCPRIM_400000_NS6detail17trampoline_kernelINS0_13select_configILj256ELj13ELNS0_17block_load_methodE3ELS4_3ELS4_3ELNS0_20block_scan_algorithmE0ELj4294967295EEENS1_25partition_config_selectorILNS1_17partition_subalgoE3EjNS0_10empty_typeEbEEZZNS1_14partition_implILS8_3ELb0ES6_jNS0_17counting_iteratorIjlEEPS9_SE_NS0_5tupleIJPjSE_EEENSF_IJSE_SE_EEES9_SG_JZNS1_25segmented_radix_sort_implINS0_14default_configELb1EPK6__halfPSL_PKlPlN2at6native12_GLOBAL__N_18offset_tEEE10hipError_tPvRmT1_PNSt15iterator_traitsISZ_E10value_typeET2_T3_PNS10_IS15_E10value_typeET4_jRbjT5_S1B_jjP12ihipStream_tbEUljE_EEESW_SX_SY_S15_S19_S1B_T6_T7_T9_mT8_S1D_bDpT10_ENKUlT_T0_E_clISt17integral_constantIbLb1EES1P_IbLb0EEEEDaS1L_S1M_EUlS1L_E_NS1_11comp_targetILNS1_3genE2ELNS1_11target_archE906ELNS1_3gpuE6ELNS1_3repE0EEENS1_30default_config_static_selectorELNS0_4arch9wavefront6targetE0EEEvSZ_.kd
    .uniform_work_group_size: 1
    .uses_dynamic_stack: false
    .vgpr_count:     0
    .vgpr_spill_count: 0
    .wavefront_size: 32
    .workgroup_processor_mode: 1
  - .args:
      - .offset:         0
        .size:           144
        .value_kind:     by_value
    .group_segment_fixed_size: 0
    .kernarg_segment_align: 8
    .kernarg_segment_size: 144
    .language:       OpenCL C
    .language_version:
      - 2
      - 0
    .max_flat_workgroup_size: 256
    .name:           _ZN7rocprim17ROCPRIM_400000_NS6detail17trampoline_kernelINS0_13select_configILj256ELj13ELNS0_17block_load_methodE3ELS4_3ELS4_3ELNS0_20block_scan_algorithmE0ELj4294967295EEENS1_25partition_config_selectorILNS1_17partition_subalgoE3EjNS0_10empty_typeEbEEZZNS1_14partition_implILS8_3ELb0ES6_jNS0_17counting_iteratorIjlEEPS9_SE_NS0_5tupleIJPjSE_EEENSF_IJSE_SE_EEES9_SG_JZNS1_25segmented_radix_sort_implINS0_14default_configELb1EPK6__halfPSL_PKlPlN2at6native12_GLOBAL__N_18offset_tEEE10hipError_tPvRmT1_PNSt15iterator_traitsISZ_E10value_typeET2_T3_PNS10_IS15_E10value_typeET4_jRbjT5_S1B_jjP12ihipStream_tbEUljE_EEESW_SX_SY_S15_S19_S1B_T6_T7_T9_mT8_S1D_bDpT10_ENKUlT_T0_E_clISt17integral_constantIbLb1EES1P_IbLb0EEEEDaS1L_S1M_EUlS1L_E_NS1_11comp_targetILNS1_3genE10ELNS1_11target_archE1200ELNS1_3gpuE4ELNS1_3repE0EEENS1_30default_config_static_selectorELNS0_4arch9wavefront6targetE0EEEvSZ_
    .private_segment_fixed_size: 0
    .sgpr_count:     0
    .sgpr_spill_count: 0
    .symbol:         _ZN7rocprim17ROCPRIM_400000_NS6detail17trampoline_kernelINS0_13select_configILj256ELj13ELNS0_17block_load_methodE3ELS4_3ELS4_3ELNS0_20block_scan_algorithmE0ELj4294967295EEENS1_25partition_config_selectorILNS1_17partition_subalgoE3EjNS0_10empty_typeEbEEZZNS1_14partition_implILS8_3ELb0ES6_jNS0_17counting_iteratorIjlEEPS9_SE_NS0_5tupleIJPjSE_EEENSF_IJSE_SE_EEES9_SG_JZNS1_25segmented_radix_sort_implINS0_14default_configELb1EPK6__halfPSL_PKlPlN2at6native12_GLOBAL__N_18offset_tEEE10hipError_tPvRmT1_PNSt15iterator_traitsISZ_E10value_typeET2_T3_PNS10_IS15_E10value_typeET4_jRbjT5_S1B_jjP12ihipStream_tbEUljE_EEESW_SX_SY_S15_S19_S1B_T6_T7_T9_mT8_S1D_bDpT10_ENKUlT_T0_E_clISt17integral_constantIbLb1EES1P_IbLb0EEEEDaS1L_S1M_EUlS1L_E_NS1_11comp_targetILNS1_3genE10ELNS1_11target_archE1200ELNS1_3gpuE4ELNS1_3repE0EEENS1_30default_config_static_selectorELNS0_4arch9wavefront6targetE0EEEvSZ_.kd
    .uniform_work_group_size: 1
    .uses_dynamic_stack: false
    .vgpr_count:     0
    .vgpr_spill_count: 0
    .wavefront_size: 32
    .workgroup_processor_mode: 1
  - .args:
      - .offset:         0
        .size:           144
        .value_kind:     by_value
    .group_segment_fixed_size: 13324
    .kernarg_segment_align: 8
    .kernarg_segment_size: 144
    .language:       OpenCL C
    .language_version:
      - 2
      - 0
    .max_flat_workgroup_size: 256
    .name:           _ZN7rocprim17ROCPRIM_400000_NS6detail17trampoline_kernelINS0_13select_configILj256ELj13ELNS0_17block_load_methodE3ELS4_3ELS4_3ELNS0_20block_scan_algorithmE0ELj4294967295EEENS1_25partition_config_selectorILNS1_17partition_subalgoE3EjNS0_10empty_typeEbEEZZNS1_14partition_implILS8_3ELb0ES6_jNS0_17counting_iteratorIjlEEPS9_SE_NS0_5tupleIJPjSE_EEENSF_IJSE_SE_EEES9_SG_JZNS1_25segmented_radix_sort_implINS0_14default_configELb1EPK6__halfPSL_PKlPlN2at6native12_GLOBAL__N_18offset_tEEE10hipError_tPvRmT1_PNSt15iterator_traitsISZ_E10value_typeET2_T3_PNS10_IS15_E10value_typeET4_jRbjT5_S1B_jjP12ihipStream_tbEUljE_EEESW_SX_SY_S15_S19_S1B_T6_T7_T9_mT8_S1D_bDpT10_ENKUlT_T0_E_clISt17integral_constantIbLb1EES1P_IbLb0EEEEDaS1L_S1M_EUlS1L_E_NS1_11comp_targetILNS1_3genE9ELNS1_11target_archE1100ELNS1_3gpuE3ELNS1_3repE0EEENS1_30default_config_static_selectorELNS0_4arch9wavefront6targetE0EEEvSZ_
    .private_segment_fixed_size: 0
    .sgpr_count:     30
    .sgpr_spill_count: 0
    .symbol:         _ZN7rocprim17ROCPRIM_400000_NS6detail17trampoline_kernelINS0_13select_configILj256ELj13ELNS0_17block_load_methodE3ELS4_3ELS4_3ELNS0_20block_scan_algorithmE0ELj4294967295EEENS1_25partition_config_selectorILNS1_17partition_subalgoE3EjNS0_10empty_typeEbEEZZNS1_14partition_implILS8_3ELb0ES6_jNS0_17counting_iteratorIjlEEPS9_SE_NS0_5tupleIJPjSE_EEENSF_IJSE_SE_EEES9_SG_JZNS1_25segmented_radix_sort_implINS0_14default_configELb1EPK6__halfPSL_PKlPlN2at6native12_GLOBAL__N_18offset_tEEE10hipError_tPvRmT1_PNSt15iterator_traitsISZ_E10value_typeET2_T3_PNS10_IS15_E10value_typeET4_jRbjT5_S1B_jjP12ihipStream_tbEUljE_EEESW_SX_SY_S15_S19_S1B_T6_T7_T9_mT8_S1D_bDpT10_ENKUlT_T0_E_clISt17integral_constantIbLb1EES1P_IbLb0EEEEDaS1L_S1M_EUlS1L_E_NS1_11comp_targetILNS1_3genE9ELNS1_11target_archE1100ELNS1_3gpuE3ELNS1_3repE0EEENS1_30default_config_static_selectorELNS0_4arch9wavefront6targetE0EEEvSZ_.kd
    .uniform_work_group_size: 1
    .uses_dynamic_stack: false
    .vgpr_count:     57
    .vgpr_spill_count: 0
    .wavefront_size: 32
    .workgroup_processor_mode: 1
  - .args:
      - .offset:         0
        .size:           144
        .value_kind:     by_value
    .group_segment_fixed_size: 0
    .kernarg_segment_align: 8
    .kernarg_segment_size: 144
    .language:       OpenCL C
    .language_version:
      - 2
      - 0
    .max_flat_workgroup_size: 256
    .name:           _ZN7rocprim17ROCPRIM_400000_NS6detail17trampoline_kernelINS0_13select_configILj256ELj13ELNS0_17block_load_methodE3ELS4_3ELS4_3ELNS0_20block_scan_algorithmE0ELj4294967295EEENS1_25partition_config_selectorILNS1_17partition_subalgoE3EjNS0_10empty_typeEbEEZZNS1_14partition_implILS8_3ELb0ES6_jNS0_17counting_iteratorIjlEEPS9_SE_NS0_5tupleIJPjSE_EEENSF_IJSE_SE_EEES9_SG_JZNS1_25segmented_radix_sort_implINS0_14default_configELb1EPK6__halfPSL_PKlPlN2at6native12_GLOBAL__N_18offset_tEEE10hipError_tPvRmT1_PNSt15iterator_traitsISZ_E10value_typeET2_T3_PNS10_IS15_E10value_typeET4_jRbjT5_S1B_jjP12ihipStream_tbEUljE_EEESW_SX_SY_S15_S19_S1B_T6_T7_T9_mT8_S1D_bDpT10_ENKUlT_T0_E_clISt17integral_constantIbLb1EES1P_IbLb0EEEEDaS1L_S1M_EUlS1L_E_NS1_11comp_targetILNS1_3genE8ELNS1_11target_archE1030ELNS1_3gpuE2ELNS1_3repE0EEENS1_30default_config_static_selectorELNS0_4arch9wavefront6targetE0EEEvSZ_
    .private_segment_fixed_size: 0
    .sgpr_count:     0
    .sgpr_spill_count: 0
    .symbol:         _ZN7rocprim17ROCPRIM_400000_NS6detail17trampoline_kernelINS0_13select_configILj256ELj13ELNS0_17block_load_methodE3ELS4_3ELS4_3ELNS0_20block_scan_algorithmE0ELj4294967295EEENS1_25partition_config_selectorILNS1_17partition_subalgoE3EjNS0_10empty_typeEbEEZZNS1_14partition_implILS8_3ELb0ES6_jNS0_17counting_iteratorIjlEEPS9_SE_NS0_5tupleIJPjSE_EEENSF_IJSE_SE_EEES9_SG_JZNS1_25segmented_radix_sort_implINS0_14default_configELb1EPK6__halfPSL_PKlPlN2at6native12_GLOBAL__N_18offset_tEEE10hipError_tPvRmT1_PNSt15iterator_traitsISZ_E10value_typeET2_T3_PNS10_IS15_E10value_typeET4_jRbjT5_S1B_jjP12ihipStream_tbEUljE_EEESW_SX_SY_S15_S19_S1B_T6_T7_T9_mT8_S1D_bDpT10_ENKUlT_T0_E_clISt17integral_constantIbLb1EES1P_IbLb0EEEEDaS1L_S1M_EUlS1L_E_NS1_11comp_targetILNS1_3genE8ELNS1_11target_archE1030ELNS1_3gpuE2ELNS1_3repE0EEENS1_30default_config_static_selectorELNS0_4arch9wavefront6targetE0EEEvSZ_.kd
    .uniform_work_group_size: 1
    .uses_dynamic_stack: false
    .vgpr_count:     0
    .vgpr_spill_count: 0
    .wavefront_size: 32
    .workgroup_processor_mode: 1
  - .args:
      - .offset:         0
        .size:           152
        .value_kind:     by_value
    .group_segment_fixed_size: 0
    .kernarg_segment_align: 8
    .kernarg_segment_size: 152
    .language:       OpenCL C
    .language_version:
      - 2
      - 0
    .max_flat_workgroup_size: 256
    .name:           _ZN7rocprim17ROCPRIM_400000_NS6detail17trampoline_kernelINS0_13select_configILj256ELj13ELNS0_17block_load_methodE3ELS4_3ELS4_3ELNS0_20block_scan_algorithmE0ELj4294967295EEENS1_25partition_config_selectorILNS1_17partition_subalgoE3EjNS0_10empty_typeEbEEZZNS1_14partition_implILS8_3ELb0ES6_jNS0_17counting_iteratorIjlEEPS9_SE_NS0_5tupleIJPjSE_EEENSF_IJSE_SE_EEES9_SG_JZNS1_25segmented_radix_sort_implINS0_14default_configELb1EPK6__halfPSL_PKlPlN2at6native12_GLOBAL__N_18offset_tEEE10hipError_tPvRmT1_PNSt15iterator_traitsISZ_E10value_typeET2_T3_PNS10_IS15_E10value_typeET4_jRbjT5_S1B_jjP12ihipStream_tbEUljE_EEESW_SX_SY_S15_S19_S1B_T6_T7_T9_mT8_S1D_bDpT10_ENKUlT_T0_E_clISt17integral_constantIbLb0EES1P_IbLb1EEEEDaS1L_S1M_EUlS1L_E_NS1_11comp_targetILNS1_3genE0ELNS1_11target_archE4294967295ELNS1_3gpuE0ELNS1_3repE0EEENS1_30default_config_static_selectorELNS0_4arch9wavefront6targetE0EEEvSZ_
    .private_segment_fixed_size: 0
    .sgpr_count:     0
    .sgpr_spill_count: 0
    .symbol:         _ZN7rocprim17ROCPRIM_400000_NS6detail17trampoline_kernelINS0_13select_configILj256ELj13ELNS0_17block_load_methodE3ELS4_3ELS4_3ELNS0_20block_scan_algorithmE0ELj4294967295EEENS1_25partition_config_selectorILNS1_17partition_subalgoE3EjNS0_10empty_typeEbEEZZNS1_14partition_implILS8_3ELb0ES6_jNS0_17counting_iteratorIjlEEPS9_SE_NS0_5tupleIJPjSE_EEENSF_IJSE_SE_EEES9_SG_JZNS1_25segmented_radix_sort_implINS0_14default_configELb1EPK6__halfPSL_PKlPlN2at6native12_GLOBAL__N_18offset_tEEE10hipError_tPvRmT1_PNSt15iterator_traitsISZ_E10value_typeET2_T3_PNS10_IS15_E10value_typeET4_jRbjT5_S1B_jjP12ihipStream_tbEUljE_EEESW_SX_SY_S15_S19_S1B_T6_T7_T9_mT8_S1D_bDpT10_ENKUlT_T0_E_clISt17integral_constantIbLb0EES1P_IbLb1EEEEDaS1L_S1M_EUlS1L_E_NS1_11comp_targetILNS1_3genE0ELNS1_11target_archE4294967295ELNS1_3gpuE0ELNS1_3repE0EEENS1_30default_config_static_selectorELNS0_4arch9wavefront6targetE0EEEvSZ_.kd
    .uniform_work_group_size: 1
    .uses_dynamic_stack: false
    .vgpr_count:     0
    .vgpr_spill_count: 0
    .wavefront_size: 32
    .workgroup_processor_mode: 1
  - .args:
      - .offset:         0
        .size:           152
        .value_kind:     by_value
    .group_segment_fixed_size: 0
    .kernarg_segment_align: 8
    .kernarg_segment_size: 152
    .language:       OpenCL C
    .language_version:
      - 2
      - 0
    .max_flat_workgroup_size: 256
    .name:           _ZN7rocprim17ROCPRIM_400000_NS6detail17trampoline_kernelINS0_13select_configILj256ELj13ELNS0_17block_load_methodE3ELS4_3ELS4_3ELNS0_20block_scan_algorithmE0ELj4294967295EEENS1_25partition_config_selectorILNS1_17partition_subalgoE3EjNS0_10empty_typeEbEEZZNS1_14partition_implILS8_3ELb0ES6_jNS0_17counting_iteratorIjlEEPS9_SE_NS0_5tupleIJPjSE_EEENSF_IJSE_SE_EEES9_SG_JZNS1_25segmented_radix_sort_implINS0_14default_configELb1EPK6__halfPSL_PKlPlN2at6native12_GLOBAL__N_18offset_tEEE10hipError_tPvRmT1_PNSt15iterator_traitsISZ_E10value_typeET2_T3_PNS10_IS15_E10value_typeET4_jRbjT5_S1B_jjP12ihipStream_tbEUljE_EEESW_SX_SY_S15_S19_S1B_T6_T7_T9_mT8_S1D_bDpT10_ENKUlT_T0_E_clISt17integral_constantIbLb0EES1P_IbLb1EEEEDaS1L_S1M_EUlS1L_E_NS1_11comp_targetILNS1_3genE5ELNS1_11target_archE942ELNS1_3gpuE9ELNS1_3repE0EEENS1_30default_config_static_selectorELNS0_4arch9wavefront6targetE0EEEvSZ_
    .private_segment_fixed_size: 0
    .sgpr_count:     0
    .sgpr_spill_count: 0
    .symbol:         _ZN7rocprim17ROCPRIM_400000_NS6detail17trampoline_kernelINS0_13select_configILj256ELj13ELNS0_17block_load_methodE3ELS4_3ELS4_3ELNS0_20block_scan_algorithmE0ELj4294967295EEENS1_25partition_config_selectorILNS1_17partition_subalgoE3EjNS0_10empty_typeEbEEZZNS1_14partition_implILS8_3ELb0ES6_jNS0_17counting_iteratorIjlEEPS9_SE_NS0_5tupleIJPjSE_EEENSF_IJSE_SE_EEES9_SG_JZNS1_25segmented_radix_sort_implINS0_14default_configELb1EPK6__halfPSL_PKlPlN2at6native12_GLOBAL__N_18offset_tEEE10hipError_tPvRmT1_PNSt15iterator_traitsISZ_E10value_typeET2_T3_PNS10_IS15_E10value_typeET4_jRbjT5_S1B_jjP12ihipStream_tbEUljE_EEESW_SX_SY_S15_S19_S1B_T6_T7_T9_mT8_S1D_bDpT10_ENKUlT_T0_E_clISt17integral_constantIbLb0EES1P_IbLb1EEEEDaS1L_S1M_EUlS1L_E_NS1_11comp_targetILNS1_3genE5ELNS1_11target_archE942ELNS1_3gpuE9ELNS1_3repE0EEENS1_30default_config_static_selectorELNS0_4arch9wavefront6targetE0EEEvSZ_.kd
    .uniform_work_group_size: 1
    .uses_dynamic_stack: false
    .vgpr_count:     0
    .vgpr_spill_count: 0
    .wavefront_size: 32
    .workgroup_processor_mode: 1
  - .args:
      - .offset:         0
        .size:           152
        .value_kind:     by_value
    .group_segment_fixed_size: 0
    .kernarg_segment_align: 8
    .kernarg_segment_size: 152
    .language:       OpenCL C
    .language_version:
      - 2
      - 0
    .max_flat_workgroup_size: 256
    .name:           _ZN7rocprim17ROCPRIM_400000_NS6detail17trampoline_kernelINS0_13select_configILj256ELj13ELNS0_17block_load_methodE3ELS4_3ELS4_3ELNS0_20block_scan_algorithmE0ELj4294967295EEENS1_25partition_config_selectorILNS1_17partition_subalgoE3EjNS0_10empty_typeEbEEZZNS1_14partition_implILS8_3ELb0ES6_jNS0_17counting_iteratorIjlEEPS9_SE_NS0_5tupleIJPjSE_EEENSF_IJSE_SE_EEES9_SG_JZNS1_25segmented_radix_sort_implINS0_14default_configELb1EPK6__halfPSL_PKlPlN2at6native12_GLOBAL__N_18offset_tEEE10hipError_tPvRmT1_PNSt15iterator_traitsISZ_E10value_typeET2_T3_PNS10_IS15_E10value_typeET4_jRbjT5_S1B_jjP12ihipStream_tbEUljE_EEESW_SX_SY_S15_S19_S1B_T6_T7_T9_mT8_S1D_bDpT10_ENKUlT_T0_E_clISt17integral_constantIbLb0EES1P_IbLb1EEEEDaS1L_S1M_EUlS1L_E_NS1_11comp_targetILNS1_3genE4ELNS1_11target_archE910ELNS1_3gpuE8ELNS1_3repE0EEENS1_30default_config_static_selectorELNS0_4arch9wavefront6targetE0EEEvSZ_
    .private_segment_fixed_size: 0
    .sgpr_count:     0
    .sgpr_spill_count: 0
    .symbol:         _ZN7rocprim17ROCPRIM_400000_NS6detail17trampoline_kernelINS0_13select_configILj256ELj13ELNS0_17block_load_methodE3ELS4_3ELS4_3ELNS0_20block_scan_algorithmE0ELj4294967295EEENS1_25partition_config_selectorILNS1_17partition_subalgoE3EjNS0_10empty_typeEbEEZZNS1_14partition_implILS8_3ELb0ES6_jNS0_17counting_iteratorIjlEEPS9_SE_NS0_5tupleIJPjSE_EEENSF_IJSE_SE_EEES9_SG_JZNS1_25segmented_radix_sort_implINS0_14default_configELb1EPK6__halfPSL_PKlPlN2at6native12_GLOBAL__N_18offset_tEEE10hipError_tPvRmT1_PNSt15iterator_traitsISZ_E10value_typeET2_T3_PNS10_IS15_E10value_typeET4_jRbjT5_S1B_jjP12ihipStream_tbEUljE_EEESW_SX_SY_S15_S19_S1B_T6_T7_T9_mT8_S1D_bDpT10_ENKUlT_T0_E_clISt17integral_constantIbLb0EES1P_IbLb1EEEEDaS1L_S1M_EUlS1L_E_NS1_11comp_targetILNS1_3genE4ELNS1_11target_archE910ELNS1_3gpuE8ELNS1_3repE0EEENS1_30default_config_static_selectorELNS0_4arch9wavefront6targetE0EEEvSZ_.kd
    .uniform_work_group_size: 1
    .uses_dynamic_stack: false
    .vgpr_count:     0
    .vgpr_spill_count: 0
    .wavefront_size: 32
    .workgroup_processor_mode: 1
  - .args:
      - .offset:         0
        .size:           152
        .value_kind:     by_value
    .group_segment_fixed_size: 0
    .kernarg_segment_align: 8
    .kernarg_segment_size: 152
    .language:       OpenCL C
    .language_version:
      - 2
      - 0
    .max_flat_workgroup_size: 256
    .name:           _ZN7rocprim17ROCPRIM_400000_NS6detail17trampoline_kernelINS0_13select_configILj256ELj13ELNS0_17block_load_methodE3ELS4_3ELS4_3ELNS0_20block_scan_algorithmE0ELj4294967295EEENS1_25partition_config_selectorILNS1_17partition_subalgoE3EjNS0_10empty_typeEbEEZZNS1_14partition_implILS8_3ELb0ES6_jNS0_17counting_iteratorIjlEEPS9_SE_NS0_5tupleIJPjSE_EEENSF_IJSE_SE_EEES9_SG_JZNS1_25segmented_radix_sort_implINS0_14default_configELb1EPK6__halfPSL_PKlPlN2at6native12_GLOBAL__N_18offset_tEEE10hipError_tPvRmT1_PNSt15iterator_traitsISZ_E10value_typeET2_T3_PNS10_IS15_E10value_typeET4_jRbjT5_S1B_jjP12ihipStream_tbEUljE_EEESW_SX_SY_S15_S19_S1B_T6_T7_T9_mT8_S1D_bDpT10_ENKUlT_T0_E_clISt17integral_constantIbLb0EES1P_IbLb1EEEEDaS1L_S1M_EUlS1L_E_NS1_11comp_targetILNS1_3genE3ELNS1_11target_archE908ELNS1_3gpuE7ELNS1_3repE0EEENS1_30default_config_static_selectorELNS0_4arch9wavefront6targetE0EEEvSZ_
    .private_segment_fixed_size: 0
    .sgpr_count:     0
    .sgpr_spill_count: 0
    .symbol:         _ZN7rocprim17ROCPRIM_400000_NS6detail17trampoline_kernelINS0_13select_configILj256ELj13ELNS0_17block_load_methodE3ELS4_3ELS4_3ELNS0_20block_scan_algorithmE0ELj4294967295EEENS1_25partition_config_selectorILNS1_17partition_subalgoE3EjNS0_10empty_typeEbEEZZNS1_14partition_implILS8_3ELb0ES6_jNS0_17counting_iteratorIjlEEPS9_SE_NS0_5tupleIJPjSE_EEENSF_IJSE_SE_EEES9_SG_JZNS1_25segmented_radix_sort_implINS0_14default_configELb1EPK6__halfPSL_PKlPlN2at6native12_GLOBAL__N_18offset_tEEE10hipError_tPvRmT1_PNSt15iterator_traitsISZ_E10value_typeET2_T3_PNS10_IS15_E10value_typeET4_jRbjT5_S1B_jjP12ihipStream_tbEUljE_EEESW_SX_SY_S15_S19_S1B_T6_T7_T9_mT8_S1D_bDpT10_ENKUlT_T0_E_clISt17integral_constantIbLb0EES1P_IbLb1EEEEDaS1L_S1M_EUlS1L_E_NS1_11comp_targetILNS1_3genE3ELNS1_11target_archE908ELNS1_3gpuE7ELNS1_3repE0EEENS1_30default_config_static_selectorELNS0_4arch9wavefront6targetE0EEEvSZ_.kd
    .uniform_work_group_size: 1
    .uses_dynamic_stack: false
    .vgpr_count:     0
    .vgpr_spill_count: 0
    .wavefront_size: 32
    .workgroup_processor_mode: 1
  - .args:
      - .offset:         0
        .size:           152
        .value_kind:     by_value
    .group_segment_fixed_size: 0
    .kernarg_segment_align: 8
    .kernarg_segment_size: 152
    .language:       OpenCL C
    .language_version:
      - 2
      - 0
    .max_flat_workgroup_size: 256
    .name:           _ZN7rocprim17ROCPRIM_400000_NS6detail17trampoline_kernelINS0_13select_configILj256ELj13ELNS0_17block_load_methodE3ELS4_3ELS4_3ELNS0_20block_scan_algorithmE0ELj4294967295EEENS1_25partition_config_selectorILNS1_17partition_subalgoE3EjNS0_10empty_typeEbEEZZNS1_14partition_implILS8_3ELb0ES6_jNS0_17counting_iteratorIjlEEPS9_SE_NS0_5tupleIJPjSE_EEENSF_IJSE_SE_EEES9_SG_JZNS1_25segmented_radix_sort_implINS0_14default_configELb1EPK6__halfPSL_PKlPlN2at6native12_GLOBAL__N_18offset_tEEE10hipError_tPvRmT1_PNSt15iterator_traitsISZ_E10value_typeET2_T3_PNS10_IS15_E10value_typeET4_jRbjT5_S1B_jjP12ihipStream_tbEUljE_EEESW_SX_SY_S15_S19_S1B_T6_T7_T9_mT8_S1D_bDpT10_ENKUlT_T0_E_clISt17integral_constantIbLb0EES1P_IbLb1EEEEDaS1L_S1M_EUlS1L_E_NS1_11comp_targetILNS1_3genE2ELNS1_11target_archE906ELNS1_3gpuE6ELNS1_3repE0EEENS1_30default_config_static_selectorELNS0_4arch9wavefront6targetE0EEEvSZ_
    .private_segment_fixed_size: 0
    .sgpr_count:     0
    .sgpr_spill_count: 0
    .symbol:         _ZN7rocprim17ROCPRIM_400000_NS6detail17trampoline_kernelINS0_13select_configILj256ELj13ELNS0_17block_load_methodE3ELS4_3ELS4_3ELNS0_20block_scan_algorithmE0ELj4294967295EEENS1_25partition_config_selectorILNS1_17partition_subalgoE3EjNS0_10empty_typeEbEEZZNS1_14partition_implILS8_3ELb0ES6_jNS0_17counting_iteratorIjlEEPS9_SE_NS0_5tupleIJPjSE_EEENSF_IJSE_SE_EEES9_SG_JZNS1_25segmented_radix_sort_implINS0_14default_configELb1EPK6__halfPSL_PKlPlN2at6native12_GLOBAL__N_18offset_tEEE10hipError_tPvRmT1_PNSt15iterator_traitsISZ_E10value_typeET2_T3_PNS10_IS15_E10value_typeET4_jRbjT5_S1B_jjP12ihipStream_tbEUljE_EEESW_SX_SY_S15_S19_S1B_T6_T7_T9_mT8_S1D_bDpT10_ENKUlT_T0_E_clISt17integral_constantIbLb0EES1P_IbLb1EEEEDaS1L_S1M_EUlS1L_E_NS1_11comp_targetILNS1_3genE2ELNS1_11target_archE906ELNS1_3gpuE6ELNS1_3repE0EEENS1_30default_config_static_selectorELNS0_4arch9wavefront6targetE0EEEvSZ_.kd
    .uniform_work_group_size: 1
    .uses_dynamic_stack: false
    .vgpr_count:     0
    .vgpr_spill_count: 0
    .wavefront_size: 32
    .workgroup_processor_mode: 1
  - .args:
      - .offset:         0
        .size:           152
        .value_kind:     by_value
    .group_segment_fixed_size: 0
    .kernarg_segment_align: 8
    .kernarg_segment_size: 152
    .language:       OpenCL C
    .language_version:
      - 2
      - 0
    .max_flat_workgroup_size: 256
    .name:           _ZN7rocprim17ROCPRIM_400000_NS6detail17trampoline_kernelINS0_13select_configILj256ELj13ELNS0_17block_load_methodE3ELS4_3ELS4_3ELNS0_20block_scan_algorithmE0ELj4294967295EEENS1_25partition_config_selectorILNS1_17partition_subalgoE3EjNS0_10empty_typeEbEEZZNS1_14partition_implILS8_3ELb0ES6_jNS0_17counting_iteratorIjlEEPS9_SE_NS0_5tupleIJPjSE_EEENSF_IJSE_SE_EEES9_SG_JZNS1_25segmented_radix_sort_implINS0_14default_configELb1EPK6__halfPSL_PKlPlN2at6native12_GLOBAL__N_18offset_tEEE10hipError_tPvRmT1_PNSt15iterator_traitsISZ_E10value_typeET2_T3_PNS10_IS15_E10value_typeET4_jRbjT5_S1B_jjP12ihipStream_tbEUljE_EEESW_SX_SY_S15_S19_S1B_T6_T7_T9_mT8_S1D_bDpT10_ENKUlT_T0_E_clISt17integral_constantIbLb0EES1P_IbLb1EEEEDaS1L_S1M_EUlS1L_E_NS1_11comp_targetILNS1_3genE10ELNS1_11target_archE1200ELNS1_3gpuE4ELNS1_3repE0EEENS1_30default_config_static_selectorELNS0_4arch9wavefront6targetE0EEEvSZ_
    .private_segment_fixed_size: 0
    .sgpr_count:     0
    .sgpr_spill_count: 0
    .symbol:         _ZN7rocprim17ROCPRIM_400000_NS6detail17trampoline_kernelINS0_13select_configILj256ELj13ELNS0_17block_load_methodE3ELS4_3ELS4_3ELNS0_20block_scan_algorithmE0ELj4294967295EEENS1_25partition_config_selectorILNS1_17partition_subalgoE3EjNS0_10empty_typeEbEEZZNS1_14partition_implILS8_3ELb0ES6_jNS0_17counting_iteratorIjlEEPS9_SE_NS0_5tupleIJPjSE_EEENSF_IJSE_SE_EEES9_SG_JZNS1_25segmented_radix_sort_implINS0_14default_configELb1EPK6__halfPSL_PKlPlN2at6native12_GLOBAL__N_18offset_tEEE10hipError_tPvRmT1_PNSt15iterator_traitsISZ_E10value_typeET2_T3_PNS10_IS15_E10value_typeET4_jRbjT5_S1B_jjP12ihipStream_tbEUljE_EEESW_SX_SY_S15_S19_S1B_T6_T7_T9_mT8_S1D_bDpT10_ENKUlT_T0_E_clISt17integral_constantIbLb0EES1P_IbLb1EEEEDaS1L_S1M_EUlS1L_E_NS1_11comp_targetILNS1_3genE10ELNS1_11target_archE1200ELNS1_3gpuE4ELNS1_3repE0EEENS1_30default_config_static_selectorELNS0_4arch9wavefront6targetE0EEEvSZ_.kd
    .uniform_work_group_size: 1
    .uses_dynamic_stack: false
    .vgpr_count:     0
    .vgpr_spill_count: 0
    .wavefront_size: 32
    .workgroup_processor_mode: 1
  - .args:
      - .offset:         0
        .size:           152
        .value_kind:     by_value
    .group_segment_fixed_size: 13324
    .kernarg_segment_align: 8
    .kernarg_segment_size: 152
    .language:       OpenCL C
    .language_version:
      - 2
      - 0
    .max_flat_workgroup_size: 256
    .name:           _ZN7rocprim17ROCPRIM_400000_NS6detail17trampoline_kernelINS0_13select_configILj256ELj13ELNS0_17block_load_methodE3ELS4_3ELS4_3ELNS0_20block_scan_algorithmE0ELj4294967295EEENS1_25partition_config_selectorILNS1_17partition_subalgoE3EjNS0_10empty_typeEbEEZZNS1_14partition_implILS8_3ELb0ES6_jNS0_17counting_iteratorIjlEEPS9_SE_NS0_5tupleIJPjSE_EEENSF_IJSE_SE_EEES9_SG_JZNS1_25segmented_radix_sort_implINS0_14default_configELb1EPK6__halfPSL_PKlPlN2at6native12_GLOBAL__N_18offset_tEEE10hipError_tPvRmT1_PNSt15iterator_traitsISZ_E10value_typeET2_T3_PNS10_IS15_E10value_typeET4_jRbjT5_S1B_jjP12ihipStream_tbEUljE_EEESW_SX_SY_S15_S19_S1B_T6_T7_T9_mT8_S1D_bDpT10_ENKUlT_T0_E_clISt17integral_constantIbLb0EES1P_IbLb1EEEEDaS1L_S1M_EUlS1L_E_NS1_11comp_targetILNS1_3genE9ELNS1_11target_archE1100ELNS1_3gpuE3ELNS1_3repE0EEENS1_30default_config_static_selectorELNS0_4arch9wavefront6targetE0EEEvSZ_
    .private_segment_fixed_size: 0
    .sgpr_count:     28
    .sgpr_spill_count: 0
    .symbol:         _ZN7rocprim17ROCPRIM_400000_NS6detail17trampoline_kernelINS0_13select_configILj256ELj13ELNS0_17block_load_methodE3ELS4_3ELS4_3ELNS0_20block_scan_algorithmE0ELj4294967295EEENS1_25partition_config_selectorILNS1_17partition_subalgoE3EjNS0_10empty_typeEbEEZZNS1_14partition_implILS8_3ELb0ES6_jNS0_17counting_iteratorIjlEEPS9_SE_NS0_5tupleIJPjSE_EEENSF_IJSE_SE_EEES9_SG_JZNS1_25segmented_radix_sort_implINS0_14default_configELb1EPK6__halfPSL_PKlPlN2at6native12_GLOBAL__N_18offset_tEEE10hipError_tPvRmT1_PNSt15iterator_traitsISZ_E10value_typeET2_T3_PNS10_IS15_E10value_typeET4_jRbjT5_S1B_jjP12ihipStream_tbEUljE_EEESW_SX_SY_S15_S19_S1B_T6_T7_T9_mT8_S1D_bDpT10_ENKUlT_T0_E_clISt17integral_constantIbLb0EES1P_IbLb1EEEEDaS1L_S1M_EUlS1L_E_NS1_11comp_targetILNS1_3genE9ELNS1_11target_archE1100ELNS1_3gpuE3ELNS1_3repE0EEENS1_30default_config_static_selectorELNS0_4arch9wavefront6targetE0EEEvSZ_.kd
    .uniform_work_group_size: 1
    .uses_dynamic_stack: false
    .vgpr_count:     60
    .vgpr_spill_count: 0
    .wavefront_size: 32
    .workgroup_processor_mode: 1
  - .args:
      - .offset:         0
        .size:           152
        .value_kind:     by_value
    .group_segment_fixed_size: 0
    .kernarg_segment_align: 8
    .kernarg_segment_size: 152
    .language:       OpenCL C
    .language_version:
      - 2
      - 0
    .max_flat_workgroup_size: 256
    .name:           _ZN7rocprim17ROCPRIM_400000_NS6detail17trampoline_kernelINS0_13select_configILj256ELj13ELNS0_17block_load_methodE3ELS4_3ELS4_3ELNS0_20block_scan_algorithmE0ELj4294967295EEENS1_25partition_config_selectorILNS1_17partition_subalgoE3EjNS0_10empty_typeEbEEZZNS1_14partition_implILS8_3ELb0ES6_jNS0_17counting_iteratorIjlEEPS9_SE_NS0_5tupleIJPjSE_EEENSF_IJSE_SE_EEES9_SG_JZNS1_25segmented_radix_sort_implINS0_14default_configELb1EPK6__halfPSL_PKlPlN2at6native12_GLOBAL__N_18offset_tEEE10hipError_tPvRmT1_PNSt15iterator_traitsISZ_E10value_typeET2_T3_PNS10_IS15_E10value_typeET4_jRbjT5_S1B_jjP12ihipStream_tbEUljE_EEESW_SX_SY_S15_S19_S1B_T6_T7_T9_mT8_S1D_bDpT10_ENKUlT_T0_E_clISt17integral_constantIbLb0EES1P_IbLb1EEEEDaS1L_S1M_EUlS1L_E_NS1_11comp_targetILNS1_3genE8ELNS1_11target_archE1030ELNS1_3gpuE2ELNS1_3repE0EEENS1_30default_config_static_selectorELNS0_4arch9wavefront6targetE0EEEvSZ_
    .private_segment_fixed_size: 0
    .sgpr_count:     0
    .sgpr_spill_count: 0
    .symbol:         _ZN7rocprim17ROCPRIM_400000_NS6detail17trampoline_kernelINS0_13select_configILj256ELj13ELNS0_17block_load_methodE3ELS4_3ELS4_3ELNS0_20block_scan_algorithmE0ELj4294967295EEENS1_25partition_config_selectorILNS1_17partition_subalgoE3EjNS0_10empty_typeEbEEZZNS1_14partition_implILS8_3ELb0ES6_jNS0_17counting_iteratorIjlEEPS9_SE_NS0_5tupleIJPjSE_EEENSF_IJSE_SE_EEES9_SG_JZNS1_25segmented_radix_sort_implINS0_14default_configELb1EPK6__halfPSL_PKlPlN2at6native12_GLOBAL__N_18offset_tEEE10hipError_tPvRmT1_PNSt15iterator_traitsISZ_E10value_typeET2_T3_PNS10_IS15_E10value_typeET4_jRbjT5_S1B_jjP12ihipStream_tbEUljE_EEESW_SX_SY_S15_S19_S1B_T6_T7_T9_mT8_S1D_bDpT10_ENKUlT_T0_E_clISt17integral_constantIbLb0EES1P_IbLb1EEEEDaS1L_S1M_EUlS1L_E_NS1_11comp_targetILNS1_3genE8ELNS1_11target_archE1030ELNS1_3gpuE2ELNS1_3repE0EEENS1_30default_config_static_selectorELNS0_4arch9wavefront6targetE0EEEvSZ_.kd
    .uniform_work_group_size: 1
    .uses_dynamic_stack: false
    .vgpr_count:     0
    .vgpr_spill_count: 0
    .wavefront_size: 32
    .workgroup_processor_mode: 1
  - .args:
      - .offset:         0
        .size:           96
        .value_kind:     by_value
    .group_segment_fixed_size: 0
    .kernarg_segment_align: 8
    .kernarg_segment_size: 96
    .language:       OpenCL C
    .language_version:
      - 2
      - 0
    .max_flat_workgroup_size: 256
    .name:           _ZN7rocprim17ROCPRIM_400000_NS6detail17trampoline_kernelINS0_14default_configENS1_36segmented_radix_sort_config_selectorI6__halflEEZNS1_25segmented_radix_sort_implIS3_Lb1EPKS5_PS5_PKlPlN2at6native12_GLOBAL__N_18offset_tEEE10hipError_tPvRmT1_PNSt15iterator_traitsISL_E10value_typeET2_T3_PNSM_ISR_E10value_typeET4_jRbjT5_SX_jjP12ihipStream_tbEUlT_E_NS1_11comp_targetILNS1_3genE0ELNS1_11target_archE4294967295ELNS1_3gpuE0ELNS1_3repE0EEENS1_30default_config_static_selectorELNS0_4arch9wavefront6targetE0EEEvSL_
    .private_segment_fixed_size: 0
    .sgpr_count:     0
    .sgpr_spill_count: 0
    .symbol:         _ZN7rocprim17ROCPRIM_400000_NS6detail17trampoline_kernelINS0_14default_configENS1_36segmented_radix_sort_config_selectorI6__halflEEZNS1_25segmented_radix_sort_implIS3_Lb1EPKS5_PS5_PKlPlN2at6native12_GLOBAL__N_18offset_tEEE10hipError_tPvRmT1_PNSt15iterator_traitsISL_E10value_typeET2_T3_PNSM_ISR_E10value_typeET4_jRbjT5_SX_jjP12ihipStream_tbEUlT_E_NS1_11comp_targetILNS1_3genE0ELNS1_11target_archE4294967295ELNS1_3gpuE0ELNS1_3repE0EEENS1_30default_config_static_selectorELNS0_4arch9wavefront6targetE0EEEvSL_.kd
    .uniform_work_group_size: 1
    .uses_dynamic_stack: false
    .vgpr_count:     0
    .vgpr_spill_count: 0
    .wavefront_size: 32
    .workgroup_processor_mode: 1
  - .args:
      - .offset:         0
        .size:           96
        .value_kind:     by_value
    .group_segment_fixed_size: 0
    .kernarg_segment_align: 8
    .kernarg_segment_size: 96
    .language:       OpenCL C
    .language_version:
      - 2
      - 0
    .max_flat_workgroup_size: 256
    .name:           _ZN7rocprim17ROCPRIM_400000_NS6detail17trampoline_kernelINS0_14default_configENS1_36segmented_radix_sort_config_selectorI6__halflEEZNS1_25segmented_radix_sort_implIS3_Lb1EPKS5_PS5_PKlPlN2at6native12_GLOBAL__N_18offset_tEEE10hipError_tPvRmT1_PNSt15iterator_traitsISL_E10value_typeET2_T3_PNSM_ISR_E10value_typeET4_jRbjT5_SX_jjP12ihipStream_tbEUlT_E_NS1_11comp_targetILNS1_3genE5ELNS1_11target_archE942ELNS1_3gpuE9ELNS1_3repE0EEENS1_30default_config_static_selectorELNS0_4arch9wavefront6targetE0EEEvSL_
    .private_segment_fixed_size: 0
    .sgpr_count:     0
    .sgpr_spill_count: 0
    .symbol:         _ZN7rocprim17ROCPRIM_400000_NS6detail17trampoline_kernelINS0_14default_configENS1_36segmented_radix_sort_config_selectorI6__halflEEZNS1_25segmented_radix_sort_implIS3_Lb1EPKS5_PS5_PKlPlN2at6native12_GLOBAL__N_18offset_tEEE10hipError_tPvRmT1_PNSt15iterator_traitsISL_E10value_typeET2_T3_PNSM_ISR_E10value_typeET4_jRbjT5_SX_jjP12ihipStream_tbEUlT_E_NS1_11comp_targetILNS1_3genE5ELNS1_11target_archE942ELNS1_3gpuE9ELNS1_3repE0EEENS1_30default_config_static_selectorELNS0_4arch9wavefront6targetE0EEEvSL_.kd
    .uniform_work_group_size: 1
    .uses_dynamic_stack: false
    .vgpr_count:     0
    .vgpr_spill_count: 0
    .wavefront_size: 32
    .workgroup_processor_mode: 1
  - .args:
      - .offset:         0
        .size:           96
        .value_kind:     by_value
    .group_segment_fixed_size: 0
    .kernarg_segment_align: 8
    .kernarg_segment_size: 96
    .language:       OpenCL C
    .language_version:
      - 2
      - 0
    .max_flat_workgroup_size: 256
    .name:           _ZN7rocprim17ROCPRIM_400000_NS6detail17trampoline_kernelINS0_14default_configENS1_36segmented_radix_sort_config_selectorI6__halflEEZNS1_25segmented_radix_sort_implIS3_Lb1EPKS5_PS5_PKlPlN2at6native12_GLOBAL__N_18offset_tEEE10hipError_tPvRmT1_PNSt15iterator_traitsISL_E10value_typeET2_T3_PNSM_ISR_E10value_typeET4_jRbjT5_SX_jjP12ihipStream_tbEUlT_E_NS1_11comp_targetILNS1_3genE4ELNS1_11target_archE910ELNS1_3gpuE8ELNS1_3repE0EEENS1_30default_config_static_selectorELNS0_4arch9wavefront6targetE0EEEvSL_
    .private_segment_fixed_size: 0
    .sgpr_count:     0
    .sgpr_spill_count: 0
    .symbol:         _ZN7rocprim17ROCPRIM_400000_NS6detail17trampoline_kernelINS0_14default_configENS1_36segmented_radix_sort_config_selectorI6__halflEEZNS1_25segmented_radix_sort_implIS3_Lb1EPKS5_PS5_PKlPlN2at6native12_GLOBAL__N_18offset_tEEE10hipError_tPvRmT1_PNSt15iterator_traitsISL_E10value_typeET2_T3_PNSM_ISR_E10value_typeET4_jRbjT5_SX_jjP12ihipStream_tbEUlT_E_NS1_11comp_targetILNS1_3genE4ELNS1_11target_archE910ELNS1_3gpuE8ELNS1_3repE0EEENS1_30default_config_static_selectorELNS0_4arch9wavefront6targetE0EEEvSL_.kd
    .uniform_work_group_size: 1
    .uses_dynamic_stack: false
    .vgpr_count:     0
    .vgpr_spill_count: 0
    .wavefront_size: 32
    .workgroup_processor_mode: 1
  - .args:
      - .offset:         0
        .size:           96
        .value_kind:     by_value
    .group_segment_fixed_size: 0
    .kernarg_segment_align: 8
    .kernarg_segment_size: 96
    .language:       OpenCL C
    .language_version:
      - 2
      - 0
    .max_flat_workgroup_size: 256
    .name:           _ZN7rocprim17ROCPRIM_400000_NS6detail17trampoline_kernelINS0_14default_configENS1_36segmented_radix_sort_config_selectorI6__halflEEZNS1_25segmented_radix_sort_implIS3_Lb1EPKS5_PS5_PKlPlN2at6native12_GLOBAL__N_18offset_tEEE10hipError_tPvRmT1_PNSt15iterator_traitsISL_E10value_typeET2_T3_PNSM_ISR_E10value_typeET4_jRbjT5_SX_jjP12ihipStream_tbEUlT_E_NS1_11comp_targetILNS1_3genE3ELNS1_11target_archE908ELNS1_3gpuE7ELNS1_3repE0EEENS1_30default_config_static_selectorELNS0_4arch9wavefront6targetE0EEEvSL_
    .private_segment_fixed_size: 0
    .sgpr_count:     0
    .sgpr_spill_count: 0
    .symbol:         _ZN7rocprim17ROCPRIM_400000_NS6detail17trampoline_kernelINS0_14default_configENS1_36segmented_radix_sort_config_selectorI6__halflEEZNS1_25segmented_radix_sort_implIS3_Lb1EPKS5_PS5_PKlPlN2at6native12_GLOBAL__N_18offset_tEEE10hipError_tPvRmT1_PNSt15iterator_traitsISL_E10value_typeET2_T3_PNSM_ISR_E10value_typeET4_jRbjT5_SX_jjP12ihipStream_tbEUlT_E_NS1_11comp_targetILNS1_3genE3ELNS1_11target_archE908ELNS1_3gpuE7ELNS1_3repE0EEENS1_30default_config_static_selectorELNS0_4arch9wavefront6targetE0EEEvSL_.kd
    .uniform_work_group_size: 1
    .uses_dynamic_stack: false
    .vgpr_count:     0
    .vgpr_spill_count: 0
    .wavefront_size: 32
    .workgroup_processor_mode: 1
  - .args:
      - .offset:         0
        .size:           96
        .value_kind:     by_value
    .group_segment_fixed_size: 0
    .kernarg_segment_align: 8
    .kernarg_segment_size: 96
    .language:       OpenCL C
    .language_version:
      - 2
      - 0
    .max_flat_workgroup_size: 256
    .name:           _ZN7rocprim17ROCPRIM_400000_NS6detail17trampoline_kernelINS0_14default_configENS1_36segmented_radix_sort_config_selectorI6__halflEEZNS1_25segmented_radix_sort_implIS3_Lb1EPKS5_PS5_PKlPlN2at6native12_GLOBAL__N_18offset_tEEE10hipError_tPvRmT1_PNSt15iterator_traitsISL_E10value_typeET2_T3_PNSM_ISR_E10value_typeET4_jRbjT5_SX_jjP12ihipStream_tbEUlT_E_NS1_11comp_targetILNS1_3genE2ELNS1_11target_archE906ELNS1_3gpuE6ELNS1_3repE0EEENS1_30default_config_static_selectorELNS0_4arch9wavefront6targetE0EEEvSL_
    .private_segment_fixed_size: 0
    .sgpr_count:     0
    .sgpr_spill_count: 0
    .symbol:         _ZN7rocprim17ROCPRIM_400000_NS6detail17trampoline_kernelINS0_14default_configENS1_36segmented_radix_sort_config_selectorI6__halflEEZNS1_25segmented_radix_sort_implIS3_Lb1EPKS5_PS5_PKlPlN2at6native12_GLOBAL__N_18offset_tEEE10hipError_tPvRmT1_PNSt15iterator_traitsISL_E10value_typeET2_T3_PNSM_ISR_E10value_typeET4_jRbjT5_SX_jjP12ihipStream_tbEUlT_E_NS1_11comp_targetILNS1_3genE2ELNS1_11target_archE906ELNS1_3gpuE6ELNS1_3repE0EEENS1_30default_config_static_selectorELNS0_4arch9wavefront6targetE0EEEvSL_.kd
    .uniform_work_group_size: 1
    .uses_dynamic_stack: false
    .vgpr_count:     0
    .vgpr_spill_count: 0
    .wavefront_size: 32
    .workgroup_processor_mode: 1
  - .args:
      - .offset:         0
        .size:           96
        .value_kind:     by_value
    .group_segment_fixed_size: 0
    .kernarg_segment_align: 8
    .kernarg_segment_size: 96
    .language:       OpenCL C
    .language_version:
      - 2
      - 0
    .max_flat_workgroup_size: 256
    .name:           _ZN7rocprim17ROCPRIM_400000_NS6detail17trampoline_kernelINS0_14default_configENS1_36segmented_radix_sort_config_selectorI6__halflEEZNS1_25segmented_radix_sort_implIS3_Lb1EPKS5_PS5_PKlPlN2at6native12_GLOBAL__N_18offset_tEEE10hipError_tPvRmT1_PNSt15iterator_traitsISL_E10value_typeET2_T3_PNSM_ISR_E10value_typeET4_jRbjT5_SX_jjP12ihipStream_tbEUlT_E_NS1_11comp_targetILNS1_3genE10ELNS1_11target_archE1201ELNS1_3gpuE5ELNS1_3repE0EEENS1_30default_config_static_selectorELNS0_4arch9wavefront6targetE0EEEvSL_
    .private_segment_fixed_size: 0
    .sgpr_count:     0
    .sgpr_spill_count: 0
    .symbol:         _ZN7rocprim17ROCPRIM_400000_NS6detail17trampoline_kernelINS0_14default_configENS1_36segmented_radix_sort_config_selectorI6__halflEEZNS1_25segmented_radix_sort_implIS3_Lb1EPKS5_PS5_PKlPlN2at6native12_GLOBAL__N_18offset_tEEE10hipError_tPvRmT1_PNSt15iterator_traitsISL_E10value_typeET2_T3_PNSM_ISR_E10value_typeET4_jRbjT5_SX_jjP12ihipStream_tbEUlT_E_NS1_11comp_targetILNS1_3genE10ELNS1_11target_archE1201ELNS1_3gpuE5ELNS1_3repE0EEENS1_30default_config_static_selectorELNS0_4arch9wavefront6targetE0EEEvSL_.kd
    .uniform_work_group_size: 1
    .uses_dynamic_stack: false
    .vgpr_count:     0
    .vgpr_spill_count: 0
    .wavefront_size: 32
    .workgroup_processor_mode: 1
  - .args:
      - .offset:         0
        .size:           96
        .value_kind:     by_value
    .group_segment_fixed_size: 0
    .kernarg_segment_align: 8
    .kernarg_segment_size: 96
    .language:       OpenCL C
    .language_version:
      - 2
      - 0
    .max_flat_workgroup_size: 128
    .name:           _ZN7rocprim17ROCPRIM_400000_NS6detail17trampoline_kernelINS0_14default_configENS1_36segmented_radix_sort_config_selectorI6__halflEEZNS1_25segmented_radix_sort_implIS3_Lb1EPKS5_PS5_PKlPlN2at6native12_GLOBAL__N_18offset_tEEE10hipError_tPvRmT1_PNSt15iterator_traitsISL_E10value_typeET2_T3_PNSM_ISR_E10value_typeET4_jRbjT5_SX_jjP12ihipStream_tbEUlT_E_NS1_11comp_targetILNS1_3genE10ELNS1_11target_archE1200ELNS1_3gpuE4ELNS1_3repE0EEENS1_30default_config_static_selectorELNS0_4arch9wavefront6targetE0EEEvSL_
    .private_segment_fixed_size: 0
    .sgpr_count:     0
    .sgpr_spill_count: 0
    .symbol:         _ZN7rocprim17ROCPRIM_400000_NS6detail17trampoline_kernelINS0_14default_configENS1_36segmented_radix_sort_config_selectorI6__halflEEZNS1_25segmented_radix_sort_implIS3_Lb1EPKS5_PS5_PKlPlN2at6native12_GLOBAL__N_18offset_tEEE10hipError_tPvRmT1_PNSt15iterator_traitsISL_E10value_typeET2_T3_PNSM_ISR_E10value_typeET4_jRbjT5_SX_jjP12ihipStream_tbEUlT_E_NS1_11comp_targetILNS1_3genE10ELNS1_11target_archE1200ELNS1_3gpuE4ELNS1_3repE0EEENS1_30default_config_static_selectorELNS0_4arch9wavefront6targetE0EEEvSL_.kd
    .uniform_work_group_size: 1
    .uses_dynamic_stack: false
    .vgpr_count:     0
    .vgpr_spill_count: 0
    .wavefront_size: 32
    .workgroup_processor_mode: 1
  - .args:
      - .offset:         0
        .size:           96
        .value_kind:     by_value
      - .offset:         96
        .size:           4
        .value_kind:     hidden_block_count_x
      - .offset:         100
        .size:           4
        .value_kind:     hidden_block_count_y
      - .offset:         104
        .size:           4
        .value_kind:     hidden_block_count_z
      - .offset:         108
        .size:           2
        .value_kind:     hidden_group_size_x
      - .offset:         110
        .size:           2
        .value_kind:     hidden_group_size_y
      - .offset:         112
        .size:           2
        .value_kind:     hidden_group_size_z
      - .offset:         114
        .size:           2
        .value_kind:     hidden_remainder_x
      - .offset:         116
        .size:           2
        .value_kind:     hidden_remainder_y
      - .offset:         118
        .size:           2
        .value_kind:     hidden_remainder_z
      - .offset:         136
        .size:           8
        .value_kind:     hidden_global_offset_x
      - .offset:         144
        .size:           8
        .value_kind:     hidden_global_offset_y
      - .offset:         152
        .size:           8
        .value_kind:     hidden_global_offset_z
      - .offset:         160
        .size:           2
        .value_kind:     hidden_grid_dims
    .group_segment_fixed_size: 33824
    .kernarg_segment_align: 8
    .kernarg_segment_size: 352
    .language:       OpenCL C
    .language_version:
      - 2
      - 0
    .max_flat_workgroup_size: 256
    .name:           _ZN7rocprim17ROCPRIM_400000_NS6detail17trampoline_kernelINS0_14default_configENS1_36segmented_radix_sort_config_selectorI6__halflEEZNS1_25segmented_radix_sort_implIS3_Lb1EPKS5_PS5_PKlPlN2at6native12_GLOBAL__N_18offset_tEEE10hipError_tPvRmT1_PNSt15iterator_traitsISL_E10value_typeET2_T3_PNSM_ISR_E10value_typeET4_jRbjT5_SX_jjP12ihipStream_tbEUlT_E_NS1_11comp_targetILNS1_3genE9ELNS1_11target_archE1100ELNS1_3gpuE3ELNS1_3repE0EEENS1_30default_config_static_selectorELNS0_4arch9wavefront6targetE0EEEvSL_
    .private_segment_fixed_size: 220
    .sgpr_count:     62
    .sgpr_spill_count: 0
    .symbol:         _ZN7rocprim17ROCPRIM_400000_NS6detail17trampoline_kernelINS0_14default_configENS1_36segmented_radix_sort_config_selectorI6__halflEEZNS1_25segmented_radix_sort_implIS3_Lb1EPKS5_PS5_PKlPlN2at6native12_GLOBAL__N_18offset_tEEE10hipError_tPvRmT1_PNSt15iterator_traitsISL_E10value_typeET2_T3_PNSM_ISR_E10value_typeET4_jRbjT5_SX_jjP12ihipStream_tbEUlT_E_NS1_11comp_targetILNS1_3genE9ELNS1_11target_archE1100ELNS1_3gpuE3ELNS1_3repE0EEENS1_30default_config_static_selectorELNS0_4arch9wavefront6targetE0EEEvSL_.kd
    .uniform_work_group_size: 1
    .uses_dynamic_stack: false
    .vgpr_count:     248
    .vgpr_spill_count: 0
    .wavefront_size: 32
    .workgroup_processor_mode: 1
  - .args:
      - .offset:         0
        .size:           96
        .value_kind:     by_value
    .group_segment_fixed_size: 0
    .kernarg_segment_align: 8
    .kernarg_segment_size: 96
    .language:       OpenCL C
    .language_version:
      - 2
      - 0
    .max_flat_workgroup_size: 256
    .name:           _ZN7rocprim17ROCPRIM_400000_NS6detail17trampoline_kernelINS0_14default_configENS1_36segmented_radix_sort_config_selectorI6__halflEEZNS1_25segmented_radix_sort_implIS3_Lb1EPKS5_PS5_PKlPlN2at6native12_GLOBAL__N_18offset_tEEE10hipError_tPvRmT1_PNSt15iterator_traitsISL_E10value_typeET2_T3_PNSM_ISR_E10value_typeET4_jRbjT5_SX_jjP12ihipStream_tbEUlT_E_NS1_11comp_targetILNS1_3genE8ELNS1_11target_archE1030ELNS1_3gpuE2ELNS1_3repE0EEENS1_30default_config_static_selectorELNS0_4arch9wavefront6targetE0EEEvSL_
    .private_segment_fixed_size: 0
    .sgpr_count:     0
    .sgpr_spill_count: 0
    .symbol:         _ZN7rocprim17ROCPRIM_400000_NS6detail17trampoline_kernelINS0_14default_configENS1_36segmented_radix_sort_config_selectorI6__halflEEZNS1_25segmented_radix_sort_implIS3_Lb1EPKS5_PS5_PKlPlN2at6native12_GLOBAL__N_18offset_tEEE10hipError_tPvRmT1_PNSt15iterator_traitsISL_E10value_typeET2_T3_PNSM_ISR_E10value_typeET4_jRbjT5_SX_jjP12ihipStream_tbEUlT_E_NS1_11comp_targetILNS1_3genE8ELNS1_11target_archE1030ELNS1_3gpuE2ELNS1_3repE0EEENS1_30default_config_static_selectorELNS0_4arch9wavefront6targetE0EEEvSL_.kd
    .uniform_work_group_size: 1
    .uses_dynamic_stack: false
    .vgpr_count:     0
    .vgpr_spill_count: 0
    .wavefront_size: 32
    .workgroup_processor_mode: 1
  - .args:
      - .offset:         0
        .size:           88
        .value_kind:     by_value
    .group_segment_fixed_size: 0
    .kernarg_segment_align: 8
    .kernarg_segment_size: 88
    .language:       OpenCL C
    .language_version:
      - 2
      - 0
    .max_flat_workgroup_size: 256
    .name:           _ZN7rocprim17ROCPRIM_400000_NS6detail17trampoline_kernelINS0_14default_configENS1_36segmented_radix_sort_config_selectorI6__halflEEZNS1_25segmented_radix_sort_implIS3_Lb1EPKS5_PS5_PKlPlN2at6native12_GLOBAL__N_18offset_tEEE10hipError_tPvRmT1_PNSt15iterator_traitsISL_E10value_typeET2_T3_PNSM_ISR_E10value_typeET4_jRbjT5_SX_jjP12ihipStream_tbEUlT_E0_NS1_11comp_targetILNS1_3genE0ELNS1_11target_archE4294967295ELNS1_3gpuE0ELNS1_3repE0EEENS1_60segmented_radix_sort_warp_sort_medium_config_static_selectorELNS0_4arch9wavefront6targetE0EEEvSL_
    .private_segment_fixed_size: 0
    .sgpr_count:     0
    .sgpr_spill_count: 0
    .symbol:         _ZN7rocprim17ROCPRIM_400000_NS6detail17trampoline_kernelINS0_14default_configENS1_36segmented_radix_sort_config_selectorI6__halflEEZNS1_25segmented_radix_sort_implIS3_Lb1EPKS5_PS5_PKlPlN2at6native12_GLOBAL__N_18offset_tEEE10hipError_tPvRmT1_PNSt15iterator_traitsISL_E10value_typeET2_T3_PNSM_ISR_E10value_typeET4_jRbjT5_SX_jjP12ihipStream_tbEUlT_E0_NS1_11comp_targetILNS1_3genE0ELNS1_11target_archE4294967295ELNS1_3gpuE0ELNS1_3repE0EEENS1_60segmented_radix_sort_warp_sort_medium_config_static_selectorELNS0_4arch9wavefront6targetE0EEEvSL_.kd
    .uniform_work_group_size: 1
    .uses_dynamic_stack: false
    .vgpr_count:     0
    .vgpr_spill_count: 0
    .wavefront_size: 32
    .workgroup_processor_mode: 1
  - .args:
      - .offset:         0
        .size:           88
        .value_kind:     by_value
    .group_segment_fixed_size: 0
    .kernarg_segment_align: 8
    .kernarg_segment_size: 88
    .language:       OpenCL C
    .language_version:
      - 2
      - 0
    .max_flat_workgroup_size: 256
    .name:           _ZN7rocprim17ROCPRIM_400000_NS6detail17trampoline_kernelINS0_14default_configENS1_36segmented_radix_sort_config_selectorI6__halflEEZNS1_25segmented_radix_sort_implIS3_Lb1EPKS5_PS5_PKlPlN2at6native12_GLOBAL__N_18offset_tEEE10hipError_tPvRmT1_PNSt15iterator_traitsISL_E10value_typeET2_T3_PNSM_ISR_E10value_typeET4_jRbjT5_SX_jjP12ihipStream_tbEUlT_E0_NS1_11comp_targetILNS1_3genE5ELNS1_11target_archE942ELNS1_3gpuE9ELNS1_3repE0EEENS1_60segmented_radix_sort_warp_sort_medium_config_static_selectorELNS0_4arch9wavefront6targetE0EEEvSL_
    .private_segment_fixed_size: 0
    .sgpr_count:     0
    .sgpr_spill_count: 0
    .symbol:         _ZN7rocprim17ROCPRIM_400000_NS6detail17trampoline_kernelINS0_14default_configENS1_36segmented_radix_sort_config_selectorI6__halflEEZNS1_25segmented_radix_sort_implIS3_Lb1EPKS5_PS5_PKlPlN2at6native12_GLOBAL__N_18offset_tEEE10hipError_tPvRmT1_PNSt15iterator_traitsISL_E10value_typeET2_T3_PNSM_ISR_E10value_typeET4_jRbjT5_SX_jjP12ihipStream_tbEUlT_E0_NS1_11comp_targetILNS1_3genE5ELNS1_11target_archE942ELNS1_3gpuE9ELNS1_3repE0EEENS1_60segmented_radix_sort_warp_sort_medium_config_static_selectorELNS0_4arch9wavefront6targetE0EEEvSL_.kd
    .uniform_work_group_size: 1
    .uses_dynamic_stack: false
    .vgpr_count:     0
    .vgpr_spill_count: 0
    .wavefront_size: 32
    .workgroup_processor_mode: 1
  - .args:
      - .offset:         0
        .size:           88
        .value_kind:     by_value
    .group_segment_fixed_size: 0
    .kernarg_segment_align: 8
    .kernarg_segment_size: 88
    .language:       OpenCL C
    .language_version:
      - 2
      - 0
    .max_flat_workgroup_size: 256
    .name:           _ZN7rocprim17ROCPRIM_400000_NS6detail17trampoline_kernelINS0_14default_configENS1_36segmented_radix_sort_config_selectorI6__halflEEZNS1_25segmented_radix_sort_implIS3_Lb1EPKS5_PS5_PKlPlN2at6native12_GLOBAL__N_18offset_tEEE10hipError_tPvRmT1_PNSt15iterator_traitsISL_E10value_typeET2_T3_PNSM_ISR_E10value_typeET4_jRbjT5_SX_jjP12ihipStream_tbEUlT_E0_NS1_11comp_targetILNS1_3genE4ELNS1_11target_archE910ELNS1_3gpuE8ELNS1_3repE0EEENS1_60segmented_radix_sort_warp_sort_medium_config_static_selectorELNS0_4arch9wavefront6targetE0EEEvSL_
    .private_segment_fixed_size: 0
    .sgpr_count:     0
    .sgpr_spill_count: 0
    .symbol:         _ZN7rocprim17ROCPRIM_400000_NS6detail17trampoline_kernelINS0_14default_configENS1_36segmented_radix_sort_config_selectorI6__halflEEZNS1_25segmented_radix_sort_implIS3_Lb1EPKS5_PS5_PKlPlN2at6native12_GLOBAL__N_18offset_tEEE10hipError_tPvRmT1_PNSt15iterator_traitsISL_E10value_typeET2_T3_PNSM_ISR_E10value_typeET4_jRbjT5_SX_jjP12ihipStream_tbEUlT_E0_NS1_11comp_targetILNS1_3genE4ELNS1_11target_archE910ELNS1_3gpuE8ELNS1_3repE0EEENS1_60segmented_radix_sort_warp_sort_medium_config_static_selectorELNS0_4arch9wavefront6targetE0EEEvSL_.kd
    .uniform_work_group_size: 1
    .uses_dynamic_stack: false
    .vgpr_count:     0
    .vgpr_spill_count: 0
    .wavefront_size: 32
    .workgroup_processor_mode: 1
  - .args:
      - .offset:         0
        .size:           88
        .value_kind:     by_value
    .group_segment_fixed_size: 0
    .kernarg_segment_align: 8
    .kernarg_segment_size: 88
    .language:       OpenCL C
    .language_version:
      - 2
      - 0
    .max_flat_workgroup_size: 256
    .name:           _ZN7rocprim17ROCPRIM_400000_NS6detail17trampoline_kernelINS0_14default_configENS1_36segmented_radix_sort_config_selectorI6__halflEEZNS1_25segmented_radix_sort_implIS3_Lb1EPKS5_PS5_PKlPlN2at6native12_GLOBAL__N_18offset_tEEE10hipError_tPvRmT1_PNSt15iterator_traitsISL_E10value_typeET2_T3_PNSM_ISR_E10value_typeET4_jRbjT5_SX_jjP12ihipStream_tbEUlT_E0_NS1_11comp_targetILNS1_3genE3ELNS1_11target_archE908ELNS1_3gpuE7ELNS1_3repE0EEENS1_60segmented_radix_sort_warp_sort_medium_config_static_selectorELNS0_4arch9wavefront6targetE0EEEvSL_
    .private_segment_fixed_size: 0
    .sgpr_count:     0
    .sgpr_spill_count: 0
    .symbol:         _ZN7rocprim17ROCPRIM_400000_NS6detail17trampoline_kernelINS0_14default_configENS1_36segmented_radix_sort_config_selectorI6__halflEEZNS1_25segmented_radix_sort_implIS3_Lb1EPKS5_PS5_PKlPlN2at6native12_GLOBAL__N_18offset_tEEE10hipError_tPvRmT1_PNSt15iterator_traitsISL_E10value_typeET2_T3_PNSM_ISR_E10value_typeET4_jRbjT5_SX_jjP12ihipStream_tbEUlT_E0_NS1_11comp_targetILNS1_3genE3ELNS1_11target_archE908ELNS1_3gpuE7ELNS1_3repE0EEENS1_60segmented_radix_sort_warp_sort_medium_config_static_selectorELNS0_4arch9wavefront6targetE0EEEvSL_.kd
    .uniform_work_group_size: 1
    .uses_dynamic_stack: false
    .vgpr_count:     0
    .vgpr_spill_count: 0
    .wavefront_size: 32
    .workgroup_processor_mode: 1
  - .args:
      - .offset:         0
        .size:           88
        .value_kind:     by_value
    .group_segment_fixed_size: 0
    .kernarg_segment_align: 8
    .kernarg_segment_size: 88
    .language:       OpenCL C
    .language_version:
      - 2
      - 0
    .max_flat_workgroup_size: 256
    .name:           _ZN7rocprim17ROCPRIM_400000_NS6detail17trampoline_kernelINS0_14default_configENS1_36segmented_radix_sort_config_selectorI6__halflEEZNS1_25segmented_radix_sort_implIS3_Lb1EPKS5_PS5_PKlPlN2at6native12_GLOBAL__N_18offset_tEEE10hipError_tPvRmT1_PNSt15iterator_traitsISL_E10value_typeET2_T3_PNSM_ISR_E10value_typeET4_jRbjT5_SX_jjP12ihipStream_tbEUlT_E0_NS1_11comp_targetILNS1_3genE2ELNS1_11target_archE906ELNS1_3gpuE6ELNS1_3repE0EEENS1_60segmented_radix_sort_warp_sort_medium_config_static_selectorELNS0_4arch9wavefront6targetE0EEEvSL_
    .private_segment_fixed_size: 0
    .sgpr_count:     0
    .sgpr_spill_count: 0
    .symbol:         _ZN7rocprim17ROCPRIM_400000_NS6detail17trampoline_kernelINS0_14default_configENS1_36segmented_radix_sort_config_selectorI6__halflEEZNS1_25segmented_radix_sort_implIS3_Lb1EPKS5_PS5_PKlPlN2at6native12_GLOBAL__N_18offset_tEEE10hipError_tPvRmT1_PNSt15iterator_traitsISL_E10value_typeET2_T3_PNSM_ISR_E10value_typeET4_jRbjT5_SX_jjP12ihipStream_tbEUlT_E0_NS1_11comp_targetILNS1_3genE2ELNS1_11target_archE906ELNS1_3gpuE6ELNS1_3repE0EEENS1_60segmented_radix_sort_warp_sort_medium_config_static_selectorELNS0_4arch9wavefront6targetE0EEEvSL_.kd
    .uniform_work_group_size: 1
    .uses_dynamic_stack: false
    .vgpr_count:     0
    .vgpr_spill_count: 0
    .wavefront_size: 32
    .workgroup_processor_mode: 1
  - .args:
      - .offset:         0
        .size:           88
        .value_kind:     by_value
    .group_segment_fixed_size: 0
    .kernarg_segment_align: 8
    .kernarg_segment_size: 88
    .language:       OpenCL C
    .language_version:
      - 2
      - 0
    .max_flat_workgroup_size: 256
    .name:           _ZN7rocprim17ROCPRIM_400000_NS6detail17trampoline_kernelINS0_14default_configENS1_36segmented_radix_sort_config_selectorI6__halflEEZNS1_25segmented_radix_sort_implIS3_Lb1EPKS5_PS5_PKlPlN2at6native12_GLOBAL__N_18offset_tEEE10hipError_tPvRmT1_PNSt15iterator_traitsISL_E10value_typeET2_T3_PNSM_ISR_E10value_typeET4_jRbjT5_SX_jjP12ihipStream_tbEUlT_E0_NS1_11comp_targetILNS1_3genE10ELNS1_11target_archE1201ELNS1_3gpuE5ELNS1_3repE0EEENS1_60segmented_radix_sort_warp_sort_medium_config_static_selectorELNS0_4arch9wavefront6targetE0EEEvSL_
    .private_segment_fixed_size: 0
    .sgpr_count:     0
    .sgpr_spill_count: 0
    .symbol:         _ZN7rocprim17ROCPRIM_400000_NS6detail17trampoline_kernelINS0_14default_configENS1_36segmented_radix_sort_config_selectorI6__halflEEZNS1_25segmented_radix_sort_implIS3_Lb1EPKS5_PS5_PKlPlN2at6native12_GLOBAL__N_18offset_tEEE10hipError_tPvRmT1_PNSt15iterator_traitsISL_E10value_typeET2_T3_PNSM_ISR_E10value_typeET4_jRbjT5_SX_jjP12ihipStream_tbEUlT_E0_NS1_11comp_targetILNS1_3genE10ELNS1_11target_archE1201ELNS1_3gpuE5ELNS1_3repE0EEENS1_60segmented_radix_sort_warp_sort_medium_config_static_selectorELNS0_4arch9wavefront6targetE0EEEvSL_.kd
    .uniform_work_group_size: 1
    .uses_dynamic_stack: false
    .vgpr_count:     0
    .vgpr_spill_count: 0
    .wavefront_size: 32
    .workgroup_processor_mode: 1
  - .args:
      - .offset:         0
        .size:           88
        .value_kind:     by_value
    .group_segment_fixed_size: 0
    .kernarg_segment_align: 8
    .kernarg_segment_size: 88
    .language:       OpenCL C
    .language_version:
      - 2
      - 0
    .max_flat_workgroup_size: 256
    .name:           _ZN7rocprim17ROCPRIM_400000_NS6detail17trampoline_kernelINS0_14default_configENS1_36segmented_radix_sort_config_selectorI6__halflEEZNS1_25segmented_radix_sort_implIS3_Lb1EPKS5_PS5_PKlPlN2at6native12_GLOBAL__N_18offset_tEEE10hipError_tPvRmT1_PNSt15iterator_traitsISL_E10value_typeET2_T3_PNSM_ISR_E10value_typeET4_jRbjT5_SX_jjP12ihipStream_tbEUlT_E0_NS1_11comp_targetILNS1_3genE10ELNS1_11target_archE1200ELNS1_3gpuE4ELNS1_3repE0EEENS1_60segmented_radix_sort_warp_sort_medium_config_static_selectorELNS0_4arch9wavefront6targetE0EEEvSL_
    .private_segment_fixed_size: 0
    .sgpr_count:     0
    .sgpr_spill_count: 0
    .symbol:         _ZN7rocprim17ROCPRIM_400000_NS6detail17trampoline_kernelINS0_14default_configENS1_36segmented_radix_sort_config_selectorI6__halflEEZNS1_25segmented_radix_sort_implIS3_Lb1EPKS5_PS5_PKlPlN2at6native12_GLOBAL__N_18offset_tEEE10hipError_tPvRmT1_PNSt15iterator_traitsISL_E10value_typeET2_T3_PNSM_ISR_E10value_typeET4_jRbjT5_SX_jjP12ihipStream_tbEUlT_E0_NS1_11comp_targetILNS1_3genE10ELNS1_11target_archE1200ELNS1_3gpuE4ELNS1_3repE0EEENS1_60segmented_radix_sort_warp_sort_medium_config_static_selectorELNS0_4arch9wavefront6targetE0EEEvSL_.kd
    .uniform_work_group_size: 1
    .uses_dynamic_stack: false
    .vgpr_count:     0
    .vgpr_spill_count: 0
    .wavefront_size: 32
    .workgroup_processor_mode: 1
  - .args:
      - .offset:         0
        .size:           88
        .value_kind:     by_value
      - .offset:         88
        .size:           4
        .value_kind:     hidden_block_count_x
      - .offset:         92
        .size:           4
        .value_kind:     hidden_block_count_y
      - .offset:         96
        .size:           4
        .value_kind:     hidden_block_count_z
      - .offset:         100
        .size:           2
        .value_kind:     hidden_group_size_x
      - .offset:         102
        .size:           2
        .value_kind:     hidden_group_size_y
      - .offset:         104
        .size:           2
        .value_kind:     hidden_group_size_z
      - .offset:         106
        .size:           2
        .value_kind:     hidden_remainder_x
      - .offset:         108
        .size:           2
        .value_kind:     hidden_remainder_y
      - .offset:         110
        .size:           2
        .value_kind:     hidden_remainder_z
      - .offset:         128
        .size:           8
        .value_kind:     hidden_global_offset_x
      - .offset:         136
        .size:           8
        .value_kind:     hidden_global_offset_y
      - .offset:         144
        .size:           8
        .value_kind:     hidden_global_offset_z
      - .offset:         152
        .size:           2
        .value_kind:     hidden_grid_dims
    .group_segment_fixed_size: 20480
    .kernarg_segment_align: 8
    .kernarg_segment_size: 344
    .language:       OpenCL C
    .language_version:
      - 2
      - 0
    .max_flat_workgroup_size: 256
    .name:           _ZN7rocprim17ROCPRIM_400000_NS6detail17trampoline_kernelINS0_14default_configENS1_36segmented_radix_sort_config_selectorI6__halflEEZNS1_25segmented_radix_sort_implIS3_Lb1EPKS5_PS5_PKlPlN2at6native12_GLOBAL__N_18offset_tEEE10hipError_tPvRmT1_PNSt15iterator_traitsISL_E10value_typeET2_T3_PNSM_ISR_E10value_typeET4_jRbjT5_SX_jjP12ihipStream_tbEUlT_E0_NS1_11comp_targetILNS1_3genE9ELNS1_11target_archE1100ELNS1_3gpuE3ELNS1_3repE0EEENS1_60segmented_radix_sort_warp_sort_medium_config_static_selectorELNS0_4arch9wavefront6targetE0EEEvSL_
    .private_segment_fixed_size: 0
    .sgpr_count:     42
    .sgpr_spill_count: 0
    .symbol:         _ZN7rocprim17ROCPRIM_400000_NS6detail17trampoline_kernelINS0_14default_configENS1_36segmented_radix_sort_config_selectorI6__halflEEZNS1_25segmented_radix_sort_implIS3_Lb1EPKS5_PS5_PKlPlN2at6native12_GLOBAL__N_18offset_tEEE10hipError_tPvRmT1_PNSt15iterator_traitsISL_E10value_typeET2_T3_PNSM_ISR_E10value_typeET4_jRbjT5_SX_jjP12ihipStream_tbEUlT_E0_NS1_11comp_targetILNS1_3genE9ELNS1_11target_archE1100ELNS1_3gpuE3ELNS1_3repE0EEENS1_60segmented_radix_sort_warp_sort_medium_config_static_selectorELNS0_4arch9wavefront6targetE0EEEvSL_.kd
    .uniform_work_group_size: 1
    .uses_dynamic_stack: false
    .vgpr_count:     71
    .vgpr_spill_count: 0
    .wavefront_size: 32
    .workgroup_processor_mode: 1
  - .args:
      - .offset:         0
        .size:           88
        .value_kind:     by_value
    .group_segment_fixed_size: 0
    .kernarg_segment_align: 8
    .kernarg_segment_size: 88
    .language:       OpenCL C
    .language_version:
      - 2
      - 0
    .max_flat_workgroup_size: 256
    .name:           _ZN7rocprim17ROCPRIM_400000_NS6detail17trampoline_kernelINS0_14default_configENS1_36segmented_radix_sort_config_selectorI6__halflEEZNS1_25segmented_radix_sort_implIS3_Lb1EPKS5_PS5_PKlPlN2at6native12_GLOBAL__N_18offset_tEEE10hipError_tPvRmT1_PNSt15iterator_traitsISL_E10value_typeET2_T3_PNSM_ISR_E10value_typeET4_jRbjT5_SX_jjP12ihipStream_tbEUlT_E0_NS1_11comp_targetILNS1_3genE8ELNS1_11target_archE1030ELNS1_3gpuE2ELNS1_3repE0EEENS1_60segmented_radix_sort_warp_sort_medium_config_static_selectorELNS0_4arch9wavefront6targetE0EEEvSL_
    .private_segment_fixed_size: 0
    .sgpr_count:     0
    .sgpr_spill_count: 0
    .symbol:         _ZN7rocprim17ROCPRIM_400000_NS6detail17trampoline_kernelINS0_14default_configENS1_36segmented_radix_sort_config_selectorI6__halflEEZNS1_25segmented_radix_sort_implIS3_Lb1EPKS5_PS5_PKlPlN2at6native12_GLOBAL__N_18offset_tEEE10hipError_tPvRmT1_PNSt15iterator_traitsISL_E10value_typeET2_T3_PNSM_ISR_E10value_typeET4_jRbjT5_SX_jjP12ihipStream_tbEUlT_E0_NS1_11comp_targetILNS1_3genE8ELNS1_11target_archE1030ELNS1_3gpuE2ELNS1_3repE0EEENS1_60segmented_radix_sort_warp_sort_medium_config_static_selectorELNS0_4arch9wavefront6targetE0EEEvSL_.kd
    .uniform_work_group_size: 1
    .uses_dynamic_stack: false
    .vgpr_count:     0
    .vgpr_spill_count: 0
    .wavefront_size: 32
    .workgroup_processor_mode: 1
  - .args:
      - .offset:         0
        .size:           88
        .value_kind:     by_value
    .group_segment_fixed_size: 0
    .kernarg_segment_align: 8
    .kernarg_segment_size: 88
    .language:       OpenCL C
    .language_version:
      - 2
      - 0
    .max_flat_workgroup_size: 256
    .name:           _ZN7rocprim17ROCPRIM_400000_NS6detail17trampoline_kernelINS0_14default_configENS1_36segmented_radix_sort_config_selectorI6__halflEEZNS1_25segmented_radix_sort_implIS3_Lb1EPKS5_PS5_PKlPlN2at6native12_GLOBAL__N_18offset_tEEE10hipError_tPvRmT1_PNSt15iterator_traitsISL_E10value_typeET2_T3_PNSM_ISR_E10value_typeET4_jRbjT5_SX_jjP12ihipStream_tbEUlT_E1_NS1_11comp_targetILNS1_3genE0ELNS1_11target_archE4294967295ELNS1_3gpuE0ELNS1_3repE0EEENS1_59segmented_radix_sort_warp_sort_small_config_static_selectorELNS0_4arch9wavefront6targetE0EEEvSL_
    .private_segment_fixed_size: 0
    .sgpr_count:     0
    .sgpr_spill_count: 0
    .symbol:         _ZN7rocprim17ROCPRIM_400000_NS6detail17trampoline_kernelINS0_14default_configENS1_36segmented_radix_sort_config_selectorI6__halflEEZNS1_25segmented_radix_sort_implIS3_Lb1EPKS5_PS5_PKlPlN2at6native12_GLOBAL__N_18offset_tEEE10hipError_tPvRmT1_PNSt15iterator_traitsISL_E10value_typeET2_T3_PNSM_ISR_E10value_typeET4_jRbjT5_SX_jjP12ihipStream_tbEUlT_E1_NS1_11comp_targetILNS1_3genE0ELNS1_11target_archE4294967295ELNS1_3gpuE0ELNS1_3repE0EEENS1_59segmented_radix_sort_warp_sort_small_config_static_selectorELNS0_4arch9wavefront6targetE0EEEvSL_.kd
    .uniform_work_group_size: 1
    .uses_dynamic_stack: false
    .vgpr_count:     0
    .vgpr_spill_count: 0
    .wavefront_size: 32
    .workgroup_processor_mode: 1
  - .args:
      - .offset:         0
        .size:           88
        .value_kind:     by_value
    .group_segment_fixed_size: 0
    .kernarg_segment_align: 8
    .kernarg_segment_size: 88
    .language:       OpenCL C
    .language_version:
      - 2
      - 0
    .max_flat_workgroup_size: 256
    .name:           _ZN7rocprim17ROCPRIM_400000_NS6detail17trampoline_kernelINS0_14default_configENS1_36segmented_radix_sort_config_selectorI6__halflEEZNS1_25segmented_radix_sort_implIS3_Lb1EPKS5_PS5_PKlPlN2at6native12_GLOBAL__N_18offset_tEEE10hipError_tPvRmT1_PNSt15iterator_traitsISL_E10value_typeET2_T3_PNSM_ISR_E10value_typeET4_jRbjT5_SX_jjP12ihipStream_tbEUlT_E1_NS1_11comp_targetILNS1_3genE5ELNS1_11target_archE942ELNS1_3gpuE9ELNS1_3repE0EEENS1_59segmented_radix_sort_warp_sort_small_config_static_selectorELNS0_4arch9wavefront6targetE0EEEvSL_
    .private_segment_fixed_size: 0
    .sgpr_count:     0
    .sgpr_spill_count: 0
    .symbol:         _ZN7rocprim17ROCPRIM_400000_NS6detail17trampoline_kernelINS0_14default_configENS1_36segmented_radix_sort_config_selectorI6__halflEEZNS1_25segmented_radix_sort_implIS3_Lb1EPKS5_PS5_PKlPlN2at6native12_GLOBAL__N_18offset_tEEE10hipError_tPvRmT1_PNSt15iterator_traitsISL_E10value_typeET2_T3_PNSM_ISR_E10value_typeET4_jRbjT5_SX_jjP12ihipStream_tbEUlT_E1_NS1_11comp_targetILNS1_3genE5ELNS1_11target_archE942ELNS1_3gpuE9ELNS1_3repE0EEENS1_59segmented_radix_sort_warp_sort_small_config_static_selectorELNS0_4arch9wavefront6targetE0EEEvSL_.kd
    .uniform_work_group_size: 1
    .uses_dynamic_stack: false
    .vgpr_count:     0
    .vgpr_spill_count: 0
    .wavefront_size: 32
    .workgroup_processor_mode: 1
  - .args:
      - .offset:         0
        .size:           88
        .value_kind:     by_value
    .group_segment_fixed_size: 0
    .kernarg_segment_align: 8
    .kernarg_segment_size: 88
    .language:       OpenCL C
    .language_version:
      - 2
      - 0
    .max_flat_workgroup_size: 256
    .name:           _ZN7rocprim17ROCPRIM_400000_NS6detail17trampoline_kernelINS0_14default_configENS1_36segmented_radix_sort_config_selectorI6__halflEEZNS1_25segmented_radix_sort_implIS3_Lb1EPKS5_PS5_PKlPlN2at6native12_GLOBAL__N_18offset_tEEE10hipError_tPvRmT1_PNSt15iterator_traitsISL_E10value_typeET2_T3_PNSM_ISR_E10value_typeET4_jRbjT5_SX_jjP12ihipStream_tbEUlT_E1_NS1_11comp_targetILNS1_3genE4ELNS1_11target_archE910ELNS1_3gpuE8ELNS1_3repE0EEENS1_59segmented_radix_sort_warp_sort_small_config_static_selectorELNS0_4arch9wavefront6targetE0EEEvSL_
    .private_segment_fixed_size: 0
    .sgpr_count:     0
    .sgpr_spill_count: 0
    .symbol:         _ZN7rocprim17ROCPRIM_400000_NS6detail17trampoline_kernelINS0_14default_configENS1_36segmented_radix_sort_config_selectorI6__halflEEZNS1_25segmented_radix_sort_implIS3_Lb1EPKS5_PS5_PKlPlN2at6native12_GLOBAL__N_18offset_tEEE10hipError_tPvRmT1_PNSt15iterator_traitsISL_E10value_typeET2_T3_PNSM_ISR_E10value_typeET4_jRbjT5_SX_jjP12ihipStream_tbEUlT_E1_NS1_11comp_targetILNS1_3genE4ELNS1_11target_archE910ELNS1_3gpuE8ELNS1_3repE0EEENS1_59segmented_radix_sort_warp_sort_small_config_static_selectorELNS0_4arch9wavefront6targetE0EEEvSL_.kd
    .uniform_work_group_size: 1
    .uses_dynamic_stack: false
    .vgpr_count:     0
    .vgpr_spill_count: 0
    .wavefront_size: 32
    .workgroup_processor_mode: 1
  - .args:
      - .offset:         0
        .size:           88
        .value_kind:     by_value
    .group_segment_fixed_size: 0
    .kernarg_segment_align: 8
    .kernarg_segment_size: 88
    .language:       OpenCL C
    .language_version:
      - 2
      - 0
    .max_flat_workgroup_size: 256
    .name:           _ZN7rocprim17ROCPRIM_400000_NS6detail17trampoline_kernelINS0_14default_configENS1_36segmented_radix_sort_config_selectorI6__halflEEZNS1_25segmented_radix_sort_implIS3_Lb1EPKS5_PS5_PKlPlN2at6native12_GLOBAL__N_18offset_tEEE10hipError_tPvRmT1_PNSt15iterator_traitsISL_E10value_typeET2_T3_PNSM_ISR_E10value_typeET4_jRbjT5_SX_jjP12ihipStream_tbEUlT_E1_NS1_11comp_targetILNS1_3genE3ELNS1_11target_archE908ELNS1_3gpuE7ELNS1_3repE0EEENS1_59segmented_radix_sort_warp_sort_small_config_static_selectorELNS0_4arch9wavefront6targetE0EEEvSL_
    .private_segment_fixed_size: 0
    .sgpr_count:     0
    .sgpr_spill_count: 0
    .symbol:         _ZN7rocprim17ROCPRIM_400000_NS6detail17trampoline_kernelINS0_14default_configENS1_36segmented_radix_sort_config_selectorI6__halflEEZNS1_25segmented_radix_sort_implIS3_Lb1EPKS5_PS5_PKlPlN2at6native12_GLOBAL__N_18offset_tEEE10hipError_tPvRmT1_PNSt15iterator_traitsISL_E10value_typeET2_T3_PNSM_ISR_E10value_typeET4_jRbjT5_SX_jjP12ihipStream_tbEUlT_E1_NS1_11comp_targetILNS1_3genE3ELNS1_11target_archE908ELNS1_3gpuE7ELNS1_3repE0EEENS1_59segmented_radix_sort_warp_sort_small_config_static_selectorELNS0_4arch9wavefront6targetE0EEEvSL_.kd
    .uniform_work_group_size: 1
    .uses_dynamic_stack: false
    .vgpr_count:     0
    .vgpr_spill_count: 0
    .wavefront_size: 32
    .workgroup_processor_mode: 1
  - .args:
      - .offset:         0
        .size:           88
        .value_kind:     by_value
    .group_segment_fixed_size: 0
    .kernarg_segment_align: 8
    .kernarg_segment_size: 88
    .language:       OpenCL C
    .language_version:
      - 2
      - 0
    .max_flat_workgroup_size: 256
    .name:           _ZN7rocprim17ROCPRIM_400000_NS6detail17trampoline_kernelINS0_14default_configENS1_36segmented_radix_sort_config_selectorI6__halflEEZNS1_25segmented_radix_sort_implIS3_Lb1EPKS5_PS5_PKlPlN2at6native12_GLOBAL__N_18offset_tEEE10hipError_tPvRmT1_PNSt15iterator_traitsISL_E10value_typeET2_T3_PNSM_ISR_E10value_typeET4_jRbjT5_SX_jjP12ihipStream_tbEUlT_E1_NS1_11comp_targetILNS1_3genE2ELNS1_11target_archE906ELNS1_3gpuE6ELNS1_3repE0EEENS1_59segmented_radix_sort_warp_sort_small_config_static_selectorELNS0_4arch9wavefront6targetE0EEEvSL_
    .private_segment_fixed_size: 0
    .sgpr_count:     0
    .sgpr_spill_count: 0
    .symbol:         _ZN7rocprim17ROCPRIM_400000_NS6detail17trampoline_kernelINS0_14default_configENS1_36segmented_radix_sort_config_selectorI6__halflEEZNS1_25segmented_radix_sort_implIS3_Lb1EPKS5_PS5_PKlPlN2at6native12_GLOBAL__N_18offset_tEEE10hipError_tPvRmT1_PNSt15iterator_traitsISL_E10value_typeET2_T3_PNSM_ISR_E10value_typeET4_jRbjT5_SX_jjP12ihipStream_tbEUlT_E1_NS1_11comp_targetILNS1_3genE2ELNS1_11target_archE906ELNS1_3gpuE6ELNS1_3repE0EEENS1_59segmented_radix_sort_warp_sort_small_config_static_selectorELNS0_4arch9wavefront6targetE0EEEvSL_.kd
    .uniform_work_group_size: 1
    .uses_dynamic_stack: false
    .vgpr_count:     0
    .vgpr_spill_count: 0
    .wavefront_size: 32
    .workgroup_processor_mode: 1
  - .args:
      - .offset:         0
        .size:           88
        .value_kind:     by_value
    .group_segment_fixed_size: 0
    .kernarg_segment_align: 8
    .kernarg_segment_size: 88
    .language:       OpenCL C
    .language_version:
      - 2
      - 0
    .max_flat_workgroup_size: 256
    .name:           _ZN7rocprim17ROCPRIM_400000_NS6detail17trampoline_kernelINS0_14default_configENS1_36segmented_radix_sort_config_selectorI6__halflEEZNS1_25segmented_radix_sort_implIS3_Lb1EPKS5_PS5_PKlPlN2at6native12_GLOBAL__N_18offset_tEEE10hipError_tPvRmT1_PNSt15iterator_traitsISL_E10value_typeET2_T3_PNSM_ISR_E10value_typeET4_jRbjT5_SX_jjP12ihipStream_tbEUlT_E1_NS1_11comp_targetILNS1_3genE10ELNS1_11target_archE1201ELNS1_3gpuE5ELNS1_3repE0EEENS1_59segmented_radix_sort_warp_sort_small_config_static_selectorELNS0_4arch9wavefront6targetE0EEEvSL_
    .private_segment_fixed_size: 0
    .sgpr_count:     0
    .sgpr_spill_count: 0
    .symbol:         _ZN7rocprim17ROCPRIM_400000_NS6detail17trampoline_kernelINS0_14default_configENS1_36segmented_radix_sort_config_selectorI6__halflEEZNS1_25segmented_radix_sort_implIS3_Lb1EPKS5_PS5_PKlPlN2at6native12_GLOBAL__N_18offset_tEEE10hipError_tPvRmT1_PNSt15iterator_traitsISL_E10value_typeET2_T3_PNSM_ISR_E10value_typeET4_jRbjT5_SX_jjP12ihipStream_tbEUlT_E1_NS1_11comp_targetILNS1_3genE10ELNS1_11target_archE1201ELNS1_3gpuE5ELNS1_3repE0EEENS1_59segmented_radix_sort_warp_sort_small_config_static_selectorELNS0_4arch9wavefront6targetE0EEEvSL_.kd
    .uniform_work_group_size: 1
    .uses_dynamic_stack: false
    .vgpr_count:     0
    .vgpr_spill_count: 0
    .wavefront_size: 32
    .workgroup_processor_mode: 1
  - .args:
      - .offset:         0
        .size:           88
        .value_kind:     by_value
    .group_segment_fixed_size: 0
    .kernarg_segment_align: 8
    .kernarg_segment_size: 88
    .language:       OpenCL C
    .language_version:
      - 2
      - 0
    .max_flat_workgroup_size: 256
    .name:           _ZN7rocprim17ROCPRIM_400000_NS6detail17trampoline_kernelINS0_14default_configENS1_36segmented_radix_sort_config_selectorI6__halflEEZNS1_25segmented_radix_sort_implIS3_Lb1EPKS5_PS5_PKlPlN2at6native12_GLOBAL__N_18offset_tEEE10hipError_tPvRmT1_PNSt15iterator_traitsISL_E10value_typeET2_T3_PNSM_ISR_E10value_typeET4_jRbjT5_SX_jjP12ihipStream_tbEUlT_E1_NS1_11comp_targetILNS1_3genE10ELNS1_11target_archE1200ELNS1_3gpuE4ELNS1_3repE0EEENS1_59segmented_radix_sort_warp_sort_small_config_static_selectorELNS0_4arch9wavefront6targetE0EEEvSL_
    .private_segment_fixed_size: 0
    .sgpr_count:     0
    .sgpr_spill_count: 0
    .symbol:         _ZN7rocprim17ROCPRIM_400000_NS6detail17trampoline_kernelINS0_14default_configENS1_36segmented_radix_sort_config_selectorI6__halflEEZNS1_25segmented_radix_sort_implIS3_Lb1EPKS5_PS5_PKlPlN2at6native12_GLOBAL__N_18offset_tEEE10hipError_tPvRmT1_PNSt15iterator_traitsISL_E10value_typeET2_T3_PNSM_ISR_E10value_typeET4_jRbjT5_SX_jjP12ihipStream_tbEUlT_E1_NS1_11comp_targetILNS1_3genE10ELNS1_11target_archE1200ELNS1_3gpuE4ELNS1_3repE0EEENS1_59segmented_radix_sort_warp_sort_small_config_static_selectorELNS0_4arch9wavefront6targetE0EEEvSL_.kd
    .uniform_work_group_size: 1
    .uses_dynamic_stack: false
    .vgpr_count:     0
    .vgpr_spill_count: 0
    .wavefront_size: 32
    .workgroup_processor_mode: 1
  - .args:
      - .offset:         0
        .size:           88
        .value_kind:     by_value
      - .offset:         88
        .size:           4
        .value_kind:     hidden_block_count_x
      - .offset:         92
        .size:           4
        .value_kind:     hidden_block_count_y
      - .offset:         96
        .size:           4
        .value_kind:     hidden_block_count_z
      - .offset:         100
        .size:           2
        .value_kind:     hidden_group_size_x
      - .offset:         102
        .size:           2
        .value_kind:     hidden_group_size_y
      - .offset:         104
        .size:           2
        .value_kind:     hidden_group_size_z
      - .offset:         106
        .size:           2
        .value_kind:     hidden_remainder_x
      - .offset:         108
        .size:           2
        .value_kind:     hidden_remainder_y
      - .offset:         110
        .size:           2
        .value_kind:     hidden_remainder_z
      - .offset:         128
        .size:           8
        .value_kind:     hidden_global_offset_x
      - .offset:         136
        .size:           8
        .value_kind:     hidden_global_offset_y
      - .offset:         144
        .size:           8
        .value_kind:     hidden_global_offset_z
      - .offset:         152
        .size:           2
        .value_kind:     hidden_grid_dims
    .group_segment_fixed_size: 10240
    .kernarg_segment_align: 8
    .kernarg_segment_size: 344
    .language:       OpenCL C
    .language_version:
      - 2
      - 0
    .max_flat_workgroup_size: 256
    .name:           _ZN7rocprim17ROCPRIM_400000_NS6detail17trampoline_kernelINS0_14default_configENS1_36segmented_radix_sort_config_selectorI6__halflEEZNS1_25segmented_radix_sort_implIS3_Lb1EPKS5_PS5_PKlPlN2at6native12_GLOBAL__N_18offset_tEEE10hipError_tPvRmT1_PNSt15iterator_traitsISL_E10value_typeET2_T3_PNSM_ISR_E10value_typeET4_jRbjT5_SX_jjP12ihipStream_tbEUlT_E1_NS1_11comp_targetILNS1_3genE9ELNS1_11target_archE1100ELNS1_3gpuE3ELNS1_3repE0EEENS1_59segmented_radix_sort_warp_sort_small_config_static_selectorELNS0_4arch9wavefront6targetE0EEEvSL_
    .private_segment_fixed_size: 0
    .sgpr_count:     35
    .sgpr_spill_count: 0
    .symbol:         _ZN7rocprim17ROCPRIM_400000_NS6detail17trampoline_kernelINS0_14default_configENS1_36segmented_radix_sort_config_selectorI6__halflEEZNS1_25segmented_radix_sort_implIS3_Lb1EPKS5_PS5_PKlPlN2at6native12_GLOBAL__N_18offset_tEEE10hipError_tPvRmT1_PNSt15iterator_traitsISL_E10value_typeET2_T3_PNSM_ISR_E10value_typeET4_jRbjT5_SX_jjP12ihipStream_tbEUlT_E1_NS1_11comp_targetILNS1_3genE9ELNS1_11target_archE1100ELNS1_3gpuE3ELNS1_3repE0EEENS1_59segmented_radix_sort_warp_sort_small_config_static_selectorELNS0_4arch9wavefront6targetE0EEEvSL_.kd
    .uniform_work_group_size: 1
    .uses_dynamic_stack: false
    .vgpr_count:     70
    .vgpr_spill_count: 0
    .wavefront_size: 32
    .workgroup_processor_mode: 1
  - .args:
      - .offset:         0
        .size:           88
        .value_kind:     by_value
    .group_segment_fixed_size: 0
    .kernarg_segment_align: 8
    .kernarg_segment_size: 88
    .language:       OpenCL C
    .language_version:
      - 2
      - 0
    .max_flat_workgroup_size: 256
    .name:           _ZN7rocprim17ROCPRIM_400000_NS6detail17trampoline_kernelINS0_14default_configENS1_36segmented_radix_sort_config_selectorI6__halflEEZNS1_25segmented_radix_sort_implIS3_Lb1EPKS5_PS5_PKlPlN2at6native12_GLOBAL__N_18offset_tEEE10hipError_tPvRmT1_PNSt15iterator_traitsISL_E10value_typeET2_T3_PNSM_ISR_E10value_typeET4_jRbjT5_SX_jjP12ihipStream_tbEUlT_E1_NS1_11comp_targetILNS1_3genE8ELNS1_11target_archE1030ELNS1_3gpuE2ELNS1_3repE0EEENS1_59segmented_radix_sort_warp_sort_small_config_static_selectorELNS0_4arch9wavefront6targetE0EEEvSL_
    .private_segment_fixed_size: 0
    .sgpr_count:     0
    .sgpr_spill_count: 0
    .symbol:         _ZN7rocprim17ROCPRIM_400000_NS6detail17trampoline_kernelINS0_14default_configENS1_36segmented_radix_sort_config_selectorI6__halflEEZNS1_25segmented_radix_sort_implIS3_Lb1EPKS5_PS5_PKlPlN2at6native12_GLOBAL__N_18offset_tEEE10hipError_tPvRmT1_PNSt15iterator_traitsISL_E10value_typeET2_T3_PNSM_ISR_E10value_typeET4_jRbjT5_SX_jjP12ihipStream_tbEUlT_E1_NS1_11comp_targetILNS1_3genE8ELNS1_11target_archE1030ELNS1_3gpuE2ELNS1_3repE0EEENS1_59segmented_radix_sort_warp_sort_small_config_static_selectorELNS0_4arch9wavefront6targetE0EEEvSL_.kd
    .uniform_work_group_size: 1
    .uses_dynamic_stack: false
    .vgpr_count:     0
    .vgpr_spill_count: 0
    .wavefront_size: 32
    .workgroup_processor_mode: 1
  - .args:
      - .offset:         0
        .size:           80
        .value_kind:     by_value
    .group_segment_fixed_size: 0
    .kernarg_segment_align: 8
    .kernarg_segment_size: 80
    .language:       OpenCL C
    .language_version:
      - 2
      - 0
    .max_flat_workgroup_size: 256
    .name:           _ZN7rocprim17ROCPRIM_400000_NS6detail17trampoline_kernelINS0_14default_configENS1_36segmented_radix_sort_config_selectorI6__halflEEZNS1_25segmented_radix_sort_implIS3_Lb1EPKS5_PS5_PKlPlN2at6native12_GLOBAL__N_18offset_tEEE10hipError_tPvRmT1_PNSt15iterator_traitsISL_E10value_typeET2_T3_PNSM_ISR_E10value_typeET4_jRbjT5_SX_jjP12ihipStream_tbEUlT_E2_NS1_11comp_targetILNS1_3genE0ELNS1_11target_archE4294967295ELNS1_3gpuE0ELNS1_3repE0EEENS1_30default_config_static_selectorELNS0_4arch9wavefront6targetE0EEEvSL_
    .private_segment_fixed_size: 0
    .sgpr_count:     0
    .sgpr_spill_count: 0
    .symbol:         _ZN7rocprim17ROCPRIM_400000_NS6detail17trampoline_kernelINS0_14default_configENS1_36segmented_radix_sort_config_selectorI6__halflEEZNS1_25segmented_radix_sort_implIS3_Lb1EPKS5_PS5_PKlPlN2at6native12_GLOBAL__N_18offset_tEEE10hipError_tPvRmT1_PNSt15iterator_traitsISL_E10value_typeET2_T3_PNSM_ISR_E10value_typeET4_jRbjT5_SX_jjP12ihipStream_tbEUlT_E2_NS1_11comp_targetILNS1_3genE0ELNS1_11target_archE4294967295ELNS1_3gpuE0ELNS1_3repE0EEENS1_30default_config_static_selectorELNS0_4arch9wavefront6targetE0EEEvSL_.kd
    .uniform_work_group_size: 1
    .uses_dynamic_stack: false
    .vgpr_count:     0
    .vgpr_spill_count: 0
    .wavefront_size: 32
    .workgroup_processor_mode: 1
  - .args:
      - .offset:         0
        .size:           80
        .value_kind:     by_value
    .group_segment_fixed_size: 0
    .kernarg_segment_align: 8
    .kernarg_segment_size: 80
    .language:       OpenCL C
    .language_version:
      - 2
      - 0
    .max_flat_workgroup_size: 256
    .name:           _ZN7rocprim17ROCPRIM_400000_NS6detail17trampoline_kernelINS0_14default_configENS1_36segmented_radix_sort_config_selectorI6__halflEEZNS1_25segmented_radix_sort_implIS3_Lb1EPKS5_PS5_PKlPlN2at6native12_GLOBAL__N_18offset_tEEE10hipError_tPvRmT1_PNSt15iterator_traitsISL_E10value_typeET2_T3_PNSM_ISR_E10value_typeET4_jRbjT5_SX_jjP12ihipStream_tbEUlT_E2_NS1_11comp_targetILNS1_3genE5ELNS1_11target_archE942ELNS1_3gpuE9ELNS1_3repE0EEENS1_30default_config_static_selectorELNS0_4arch9wavefront6targetE0EEEvSL_
    .private_segment_fixed_size: 0
    .sgpr_count:     0
    .sgpr_spill_count: 0
    .symbol:         _ZN7rocprim17ROCPRIM_400000_NS6detail17trampoline_kernelINS0_14default_configENS1_36segmented_radix_sort_config_selectorI6__halflEEZNS1_25segmented_radix_sort_implIS3_Lb1EPKS5_PS5_PKlPlN2at6native12_GLOBAL__N_18offset_tEEE10hipError_tPvRmT1_PNSt15iterator_traitsISL_E10value_typeET2_T3_PNSM_ISR_E10value_typeET4_jRbjT5_SX_jjP12ihipStream_tbEUlT_E2_NS1_11comp_targetILNS1_3genE5ELNS1_11target_archE942ELNS1_3gpuE9ELNS1_3repE0EEENS1_30default_config_static_selectorELNS0_4arch9wavefront6targetE0EEEvSL_.kd
    .uniform_work_group_size: 1
    .uses_dynamic_stack: false
    .vgpr_count:     0
    .vgpr_spill_count: 0
    .wavefront_size: 32
    .workgroup_processor_mode: 1
  - .args:
      - .offset:         0
        .size:           80
        .value_kind:     by_value
    .group_segment_fixed_size: 0
    .kernarg_segment_align: 8
    .kernarg_segment_size: 80
    .language:       OpenCL C
    .language_version:
      - 2
      - 0
    .max_flat_workgroup_size: 256
    .name:           _ZN7rocprim17ROCPRIM_400000_NS6detail17trampoline_kernelINS0_14default_configENS1_36segmented_radix_sort_config_selectorI6__halflEEZNS1_25segmented_radix_sort_implIS3_Lb1EPKS5_PS5_PKlPlN2at6native12_GLOBAL__N_18offset_tEEE10hipError_tPvRmT1_PNSt15iterator_traitsISL_E10value_typeET2_T3_PNSM_ISR_E10value_typeET4_jRbjT5_SX_jjP12ihipStream_tbEUlT_E2_NS1_11comp_targetILNS1_3genE4ELNS1_11target_archE910ELNS1_3gpuE8ELNS1_3repE0EEENS1_30default_config_static_selectorELNS0_4arch9wavefront6targetE0EEEvSL_
    .private_segment_fixed_size: 0
    .sgpr_count:     0
    .sgpr_spill_count: 0
    .symbol:         _ZN7rocprim17ROCPRIM_400000_NS6detail17trampoline_kernelINS0_14default_configENS1_36segmented_radix_sort_config_selectorI6__halflEEZNS1_25segmented_radix_sort_implIS3_Lb1EPKS5_PS5_PKlPlN2at6native12_GLOBAL__N_18offset_tEEE10hipError_tPvRmT1_PNSt15iterator_traitsISL_E10value_typeET2_T3_PNSM_ISR_E10value_typeET4_jRbjT5_SX_jjP12ihipStream_tbEUlT_E2_NS1_11comp_targetILNS1_3genE4ELNS1_11target_archE910ELNS1_3gpuE8ELNS1_3repE0EEENS1_30default_config_static_selectorELNS0_4arch9wavefront6targetE0EEEvSL_.kd
    .uniform_work_group_size: 1
    .uses_dynamic_stack: false
    .vgpr_count:     0
    .vgpr_spill_count: 0
    .wavefront_size: 32
    .workgroup_processor_mode: 1
  - .args:
      - .offset:         0
        .size:           80
        .value_kind:     by_value
    .group_segment_fixed_size: 0
    .kernarg_segment_align: 8
    .kernarg_segment_size: 80
    .language:       OpenCL C
    .language_version:
      - 2
      - 0
    .max_flat_workgroup_size: 256
    .name:           _ZN7rocprim17ROCPRIM_400000_NS6detail17trampoline_kernelINS0_14default_configENS1_36segmented_radix_sort_config_selectorI6__halflEEZNS1_25segmented_radix_sort_implIS3_Lb1EPKS5_PS5_PKlPlN2at6native12_GLOBAL__N_18offset_tEEE10hipError_tPvRmT1_PNSt15iterator_traitsISL_E10value_typeET2_T3_PNSM_ISR_E10value_typeET4_jRbjT5_SX_jjP12ihipStream_tbEUlT_E2_NS1_11comp_targetILNS1_3genE3ELNS1_11target_archE908ELNS1_3gpuE7ELNS1_3repE0EEENS1_30default_config_static_selectorELNS0_4arch9wavefront6targetE0EEEvSL_
    .private_segment_fixed_size: 0
    .sgpr_count:     0
    .sgpr_spill_count: 0
    .symbol:         _ZN7rocprim17ROCPRIM_400000_NS6detail17trampoline_kernelINS0_14default_configENS1_36segmented_radix_sort_config_selectorI6__halflEEZNS1_25segmented_radix_sort_implIS3_Lb1EPKS5_PS5_PKlPlN2at6native12_GLOBAL__N_18offset_tEEE10hipError_tPvRmT1_PNSt15iterator_traitsISL_E10value_typeET2_T3_PNSM_ISR_E10value_typeET4_jRbjT5_SX_jjP12ihipStream_tbEUlT_E2_NS1_11comp_targetILNS1_3genE3ELNS1_11target_archE908ELNS1_3gpuE7ELNS1_3repE0EEENS1_30default_config_static_selectorELNS0_4arch9wavefront6targetE0EEEvSL_.kd
    .uniform_work_group_size: 1
    .uses_dynamic_stack: false
    .vgpr_count:     0
    .vgpr_spill_count: 0
    .wavefront_size: 32
    .workgroup_processor_mode: 1
  - .args:
      - .offset:         0
        .size:           80
        .value_kind:     by_value
    .group_segment_fixed_size: 0
    .kernarg_segment_align: 8
    .kernarg_segment_size: 80
    .language:       OpenCL C
    .language_version:
      - 2
      - 0
    .max_flat_workgroup_size: 256
    .name:           _ZN7rocprim17ROCPRIM_400000_NS6detail17trampoline_kernelINS0_14default_configENS1_36segmented_radix_sort_config_selectorI6__halflEEZNS1_25segmented_radix_sort_implIS3_Lb1EPKS5_PS5_PKlPlN2at6native12_GLOBAL__N_18offset_tEEE10hipError_tPvRmT1_PNSt15iterator_traitsISL_E10value_typeET2_T3_PNSM_ISR_E10value_typeET4_jRbjT5_SX_jjP12ihipStream_tbEUlT_E2_NS1_11comp_targetILNS1_3genE2ELNS1_11target_archE906ELNS1_3gpuE6ELNS1_3repE0EEENS1_30default_config_static_selectorELNS0_4arch9wavefront6targetE0EEEvSL_
    .private_segment_fixed_size: 0
    .sgpr_count:     0
    .sgpr_spill_count: 0
    .symbol:         _ZN7rocprim17ROCPRIM_400000_NS6detail17trampoline_kernelINS0_14default_configENS1_36segmented_radix_sort_config_selectorI6__halflEEZNS1_25segmented_radix_sort_implIS3_Lb1EPKS5_PS5_PKlPlN2at6native12_GLOBAL__N_18offset_tEEE10hipError_tPvRmT1_PNSt15iterator_traitsISL_E10value_typeET2_T3_PNSM_ISR_E10value_typeET4_jRbjT5_SX_jjP12ihipStream_tbEUlT_E2_NS1_11comp_targetILNS1_3genE2ELNS1_11target_archE906ELNS1_3gpuE6ELNS1_3repE0EEENS1_30default_config_static_selectorELNS0_4arch9wavefront6targetE0EEEvSL_.kd
    .uniform_work_group_size: 1
    .uses_dynamic_stack: false
    .vgpr_count:     0
    .vgpr_spill_count: 0
    .wavefront_size: 32
    .workgroup_processor_mode: 1
  - .args:
      - .offset:         0
        .size:           80
        .value_kind:     by_value
    .group_segment_fixed_size: 0
    .kernarg_segment_align: 8
    .kernarg_segment_size: 80
    .language:       OpenCL C
    .language_version:
      - 2
      - 0
    .max_flat_workgroup_size: 256
    .name:           _ZN7rocprim17ROCPRIM_400000_NS6detail17trampoline_kernelINS0_14default_configENS1_36segmented_radix_sort_config_selectorI6__halflEEZNS1_25segmented_radix_sort_implIS3_Lb1EPKS5_PS5_PKlPlN2at6native12_GLOBAL__N_18offset_tEEE10hipError_tPvRmT1_PNSt15iterator_traitsISL_E10value_typeET2_T3_PNSM_ISR_E10value_typeET4_jRbjT5_SX_jjP12ihipStream_tbEUlT_E2_NS1_11comp_targetILNS1_3genE10ELNS1_11target_archE1201ELNS1_3gpuE5ELNS1_3repE0EEENS1_30default_config_static_selectorELNS0_4arch9wavefront6targetE0EEEvSL_
    .private_segment_fixed_size: 0
    .sgpr_count:     0
    .sgpr_spill_count: 0
    .symbol:         _ZN7rocprim17ROCPRIM_400000_NS6detail17trampoline_kernelINS0_14default_configENS1_36segmented_radix_sort_config_selectorI6__halflEEZNS1_25segmented_radix_sort_implIS3_Lb1EPKS5_PS5_PKlPlN2at6native12_GLOBAL__N_18offset_tEEE10hipError_tPvRmT1_PNSt15iterator_traitsISL_E10value_typeET2_T3_PNSM_ISR_E10value_typeET4_jRbjT5_SX_jjP12ihipStream_tbEUlT_E2_NS1_11comp_targetILNS1_3genE10ELNS1_11target_archE1201ELNS1_3gpuE5ELNS1_3repE0EEENS1_30default_config_static_selectorELNS0_4arch9wavefront6targetE0EEEvSL_.kd
    .uniform_work_group_size: 1
    .uses_dynamic_stack: false
    .vgpr_count:     0
    .vgpr_spill_count: 0
    .wavefront_size: 32
    .workgroup_processor_mode: 1
  - .args:
      - .offset:         0
        .size:           80
        .value_kind:     by_value
    .group_segment_fixed_size: 0
    .kernarg_segment_align: 8
    .kernarg_segment_size: 80
    .language:       OpenCL C
    .language_version:
      - 2
      - 0
    .max_flat_workgroup_size: 128
    .name:           _ZN7rocprim17ROCPRIM_400000_NS6detail17trampoline_kernelINS0_14default_configENS1_36segmented_radix_sort_config_selectorI6__halflEEZNS1_25segmented_radix_sort_implIS3_Lb1EPKS5_PS5_PKlPlN2at6native12_GLOBAL__N_18offset_tEEE10hipError_tPvRmT1_PNSt15iterator_traitsISL_E10value_typeET2_T3_PNSM_ISR_E10value_typeET4_jRbjT5_SX_jjP12ihipStream_tbEUlT_E2_NS1_11comp_targetILNS1_3genE10ELNS1_11target_archE1200ELNS1_3gpuE4ELNS1_3repE0EEENS1_30default_config_static_selectorELNS0_4arch9wavefront6targetE0EEEvSL_
    .private_segment_fixed_size: 0
    .sgpr_count:     0
    .sgpr_spill_count: 0
    .symbol:         _ZN7rocprim17ROCPRIM_400000_NS6detail17trampoline_kernelINS0_14default_configENS1_36segmented_radix_sort_config_selectorI6__halflEEZNS1_25segmented_radix_sort_implIS3_Lb1EPKS5_PS5_PKlPlN2at6native12_GLOBAL__N_18offset_tEEE10hipError_tPvRmT1_PNSt15iterator_traitsISL_E10value_typeET2_T3_PNSM_ISR_E10value_typeET4_jRbjT5_SX_jjP12ihipStream_tbEUlT_E2_NS1_11comp_targetILNS1_3genE10ELNS1_11target_archE1200ELNS1_3gpuE4ELNS1_3repE0EEENS1_30default_config_static_selectorELNS0_4arch9wavefront6targetE0EEEvSL_.kd
    .uniform_work_group_size: 1
    .uses_dynamic_stack: false
    .vgpr_count:     0
    .vgpr_spill_count: 0
    .wavefront_size: 32
    .workgroup_processor_mode: 1
  - .args:
      - .offset:         0
        .size:           80
        .value_kind:     by_value
      - .offset:         80
        .size:           4
        .value_kind:     hidden_block_count_x
      - .offset:         84
        .size:           4
        .value_kind:     hidden_block_count_y
      - .offset:         88
        .size:           4
        .value_kind:     hidden_block_count_z
      - .offset:         92
        .size:           2
        .value_kind:     hidden_group_size_x
      - .offset:         94
        .size:           2
        .value_kind:     hidden_group_size_y
      - .offset:         96
        .size:           2
        .value_kind:     hidden_group_size_z
      - .offset:         98
        .size:           2
        .value_kind:     hidden_remainder_x
      - .offset:         100
        .size:           2
        .value_kind:     hidden_remainder_y
      - .offset:         102
        .size:           2
        .value_kind:     hidden_remainder_z
      - .offset:         120
        .size:           8
        .value_kind:     hidden_global_offset_x
      - .offset:         128
        .size:           8
        .value_kind:     hidden_global_offset_y
      - .offset:         136
        .size:           8
        .value_kind:     hidden_global_offset_z
      - .offset:         144
        .size:           2
        .value_kind:     hidden_grid_dims
    .group_segment_fixed_size: 33824
    .kernarg_segment_align: 8
    .kernarg_segment_size: 336
    .language:       OpenCL C
    .language_version:
      - 2
      - 0
    .max_flat_workgroup_size: 256
    .name:           _ZN7rocprim17ROCPRIM_400000_NS6detail17trampoline_kernelINS0_14default_configENS1_36segmented_radix_sort_config_selectorI6__halflEEZNS1_25segmented_radix_sort_implIS3_Lb1EPKS5_PS5_PKlPlN2at6native12_GLOBAL__N_18offset_tEEE10hipError_tPvRmT1_PNSt15iterator_traitsISL_E10value_typeET2_T3_PNSM_ISR_E10value_typeET4_jRbjT5_SX_jjP12ihipStream_tbEUlT_E2_NS1_11comp_targetILNS1_3genE9ELNS1_11target_archE1100ELNS1_3gpuE3ELNS1_3repE0EEENS1_30default_config_static_selectorELNS0_4arch9wavefront6targetE0EEEvSL_
    .private_segment_fixed_size: 220
    .sgpr_count:     62
    .sgpr_spill_count: 0
    .symbol:         _ZN7rocprim17ROCPRIM_400000_NS6detail17trampoline_kernelINS0_14default_configENS1_36segmented_radix_sort_config_selectorI6__halflEEZNS1_25segmented_radix_sort_implIS3_Lb1EPKS5_PS5_PKlPlN2at6native12_GLOBAL__N_18offset_tEEE10hipError_tPvRmT1_PNSt15iterator_traitsISL_E10value_typeET2_T3_PNSM_ISR_E10value_typeET4_jRbjT5_SX_jjP12ihipStream_tbEUlT_E2_NS1_11comp_targetILNS1_3genE9ELNS1_11target_archE1100ELNS1_3gpuE3ELNS1_3repE0EEENS1_30default_config_static_selectorELNS0_4arch9wavefront6targetE0EEEvSL_.kd
    .uniform_work_group_size: 1
    .uses_dynamic_stack: false
    .vgpr_count:     248
    .vgpr_spill_count: 0
    .wavefront_size: 32
    .workgroup_processor_mode: 1
  - .args:
      - .offset:         0
        .size:           80
        .value_kind:     by_value
    .group_segment_fixed_size: 0
    .kernarg_segment_align: 8
    .kernarg_segment_size: 80
    .language:       OpenCL C
    .language_version:
      - 2
      - 0
    .max_flat_workgroup_size: 256
    .name:           _ZN7rocprim17ROCPRIM_400000_NS6detail17trampoline_kernelINS0_14default_configENS1_36segmented_radix_sort_config_selectorI6__halflEEZNS1_25segmented_radix_sort_implIS3_Lb1EPKS5_PS5_PKlPlN2at6native12_GLOBAL__N_18offset_tEEE10hipError_tPvRmT1_PNSt15iterator_traitsISL_E10value_typeET2_T3_PNSM_ISR_E10value_typeET4_jRbjT5_SX_jjP12ihipStream_tbEUlT_E2_NS1_11comp_targetILNS1_3genE8ELNS1_11target_archE1030ELNS1_3gpuE2ELNS1_3repE0EEENS1_30default_config_static_selectorELNS0_4arch9wavefront6targetE0EEEvSL_
    .private_segment_fixed_size: 0
    .sgpr_count:     0
    .sgpr_spill_count: 0
    .symbol:         _ZN7rocprim17ROCPRIM_400000_NS6detail17trampoline_kernelINS0_14default_configENS1_36segmented_radix_sort_config_selectorI6__halflEEZNS1_25segmented_radix_sort_implIS3_Lb1EPKS5_PS5_PKlPlN2at6native12_GLOBAL__N_18offset_tEEE10hipError_tPvRmT1_PNSt15iterator_traitsISL_E10value_typeET2_T3_PNSM_ISR_E10value_typeET4_jRbjT5_SX_jjP12ihipStream_tbEUlT_E2_NS1_11comp_targetILNS1_3genE8ELNS1_11target_archE1030ELNS1_3gpuE2ELNS1_3repE0EEENS1_30default_config_static_selectorELNS0_4arch9wavefront6targetE0EEEvSL_.kd
    .uniform_work_group_size: 1
    .uses_dynamic_stack: false
    .vgpr_count:     0
    .vgpr_spill_count: 0
    .wavefront_size: 32
    .workgroup_processor_mode: 1
  - .args:
      - .offset:         0
        .size:           176
        .value_kind:     by_value
    .group_segment_fixed_size: 0
    .kernarg_segment_align: 8
    .kernarg_segment_size: 176
    .language:       OpenCL C
    .language_version:
      - 2
      - 0
    .max_flat_workgroup_size: 256
    .name:           _ZN7rocprim17ROCPRIM_400000_NS6detail17trampoline_kernelINS0_13select_configILj256ELj13ELNS0_17block_load_methodE3ELS4_3ELS4_3ELNS0_20block_scan_algorithmE0ELj4294967295EEENS1_25partition_config_selectorILNS1_17partition_subalgoE4EjNS0_10empty_typeEbEEZZNS1_14partition_implILS8_4ELb0ES6_15HIP_vector_typeIjLj2EENS0_17counting_iteratorIjlEEPS9_SG_NS0_5tupleIJPjSI_NS0_16reverse_iteratorISI_EEEEENSH_IJSG_SG_SG_EEES9_SI_JZNS1_25segmented_radix_sort_implINS0_14default_configELb0EPK6__halfPSP_PKlPlN2at6native12_GLOBAL__N_18offset_tEEE10hipError_tPvRmT1_PNSt15iterator_traitsIS13_E10value_typeET2_T3_PNS14_IS19_E10value_typeET4_jRbjT5_S1F_jjP12ihipStream_tbEUljE_ZNSN_ISO_Lb0ESR_SS_SU_SV_SZ_EES10_S11_S12_S13_S17_S18_S19_S1C_S1D_jS1E_jS1F_S1F_jjS1H_bEUljE0_EEES10_S11_S12_S19_S1D_S1F_T6_T7_T9_mT8_S1H_bDpT10_ENKUlT_T0_E_clISt17integral_constantIbLb0EES1V_EEDaS1Q_S1R_EUlS1Q_E_NS1_11comp_targetILNS1_3genE0ELNS1_11target_archE4294967295ELNS1_3gpuE0ELNS1_3repE0EEENS1_30default_config_static_selectorELNS0_4arch9wavefront6targetE0EEEvS13_
    .private_segment_fixed_size: 0
    .sgpr_count:     0
    .sgpr_spill_count: 0
    .symbol:         _ZN7rocprim17ROCPRIM_400000_NS6detail17trampoline_kernelINS0_13select_configILj256ELj13ELNS0_17block_load_methodE3ELS4_3ELS4_3ELNS0_20block_scan_algorithmE0ELj4294967295EEENS1_25partition_config_selectorILNS1_17partition_subalgoE4EjNS0_10empty_typeEbEEZZNS1_14partition_implILS8_4ELb0ES6_15HIP_vector_typeIjLj2EENS0_17counting_iteratorIjlEEPS9_SG_NS0_5tupleIJPjSI_NS0_16reverse_iteratorISI_EEEEENSH_IJSG_SG_SG_EEES9_SI_JZNS1_25segmented_radix_sort_implINS0_14default_configELb0EPK6__halfPSP_PKlPlN2at6native12_GLOBAL__N_18offset_tEEE10hipError_tPvRmT1_PNSt15iterator_traitsIS13_E10value_typeET2_T3_PNS14_IS19_E10value_typeET4_jRbjT5_S1F_jjP12ihipStream_tbEUljE_ZNSN_ISO_Lb0ESR_SS_SU_SV_SZ_EES10_S11_S12_S13_S17_S18_S19_S1C_S1D_jS1E_jS1F_S1F_jjS1H_bEUljE0_EEES10_S11_S12_S19_S1D_S1F_T6_T7_T9_mT8_S1H_bDpT10_ENKUlT_T0_E_clISt17integral_constantIbLb0EES1V_EEDaS1Q_S1R_EUlS1Q_E_NS1_11comp_targetILNS1_3genE0ELNS1_11target_archE4294967295ELNS1_3gpuE0ELNS1_3repE0EEENS1_30default_config_static_selectorELNS0_4arch9wavefront6targetE0EEEvS13_.kd
    .uniform_work_group_size: 1
    .uses_dynamic_stack: false
    .vgpr_count:     0
    .vgpr_spill_count: 0
    .wavefront_size: 32
    .workgroup_processor_mode: 1
  - .args:
      - .offset:         0
        .size:           176
        .value_kind:     by_value
    .group_segment_fixed_size: 0
    .kernarg_segment_align: 8
    .kernarg_segment_size: 176
    .language:       OpenCL C
    .language_version:
      - 2
      - 0
    .max_flat_workgroup_size: 256
    .name:           _ZN7rocprim17ROCPRIM_400000_NS6detail17trampoline_kernelINS0_13select_configILj256ELj13ELNS0_17block_load_methodE3ELS4_3ELS4_3ELNS0_20block_scan_algorithmE0ELj4294967295EEENS1_25partition_config_selectorILNS1_17partition_subalgoE4EjNS0_10empty_typeEbEEZZNS1_14partition_implILS8_4ELb0ES6_15HIP_vector_typeIjLj2EENS0_17counting_iteratorIjlEEPS9_SG_NS0_5tupleIJPjSI_NS0_16reverse_iteratorISI_EEEEENSH_IJSG_SG_SG_EEES9_SI_JZNS1_25segmented_radix_sort_implINS0_14default_configELb0EPK6__halfPSP_PKlPlN2at6native12_GLOBAL__N_18offset_tEEE10hipError_tPvRmT1_PNSt15iterator_traitsIS13_E10value_typeET2_T3_PNS14_IS19_E10value_typeET4_jRbjT5_S1F_jjP12ihipStream_tbEUljE_ZNSN_ISO_Lb0ESR_SS_SU_SV_SZ_EES10_S11_S12_S13_S17_S18_S19_S1C_S1D_jS1E_jS1F_S1F_jjS1H_bEUljE0_EEES10_S11_S12_S19_S1D_S1F_T6_T7_T9_mT8_S1H_bDpT10_ENKUlT_T0_E_clISt17integral_constantIbLb0EES1V_EEDaS1Q_S1R_EUlS1Q_E_NS1_11comp_targetILNS1_3genE5ELNS1_11target_archE942ELNS1_3gpuE9ELNS1_3repE0EEENS1_30default_config_static_selectorELNS0_4arch9wavefront6targetE0EEEvS13_
    .private_segment_fixed_size: 0
    .sgpr_count:     0
    .sgpr_spill_count: 0
    .symbol:         _ZN7rocprim17ROCPRIM_400000_NS6detail17trampoline_kernelINS0_13select_configILj256ELj13ELNS0_17block_load_methodE3ELS4_3ELS4_3ELNS0_20block_scan_algorithmE0ELj4294967295EEENS1_25partition_config_selectorILNS1_17partition_subalgoE4EjNS0_10empty_typeEbEEZZNS1_14partition_implILS8_4ELb0ES6_15HIP_vector_typeIjLj2EENS0_17counting_iteratorIjlEEPS9_SG_NS0_5tupleIJPjSI_NS0_16reverse_iteratorISI_EEEEENSH_IJSG_SG_SG_EEES9_SI_JZNS1_25segmented_radix_sort_implINS0_14default_configELb0EPK6__halfPSP_PKlPlN2at6native12_GLOBAL__N_18offset_tEEE10hipError_tPvRmT1_PNSt15iterator_traitsIS13_E10value_typeET2_T3_PNS14_IS19_E10value_typeET4_jRbjT5_S1F_jjP12ihipStream_tbEUljE_ZNSN_ISO_Lb0ESR_SS_SU_SV_SZ_EES10_S11_S12_S13_S17_S18_S19_S1C_S1D_jS1E_jS1F_S1F_jjS1H_bEUljE0_EEES10_S11_S12_S19_S1D_S1F_T6_T7_T9_mT8_S1H_bDpT10_ENKUlT_T0_E_clISt17integral_constantIbLb0EES1V_EEDaS1Q_S1R_EUlS1Q_E_NS1_11comp_targetILNS1_3genE5ELNS1_11target_archE942ELNS1_3gpuE9ELNS1_3repE0EEENS1_30default_config_static_selectorELNS0_4arch9wavefront6targetE0EEEvS13_.kd
    .uniform_work_group_size: 1
    .uses_dynamic_stack: false
    .vgpr_count:     0
    .vgpr_spill_count: 0
    .wavefront_size: 32
    .workgroup_processor_mode: 1
  - .args:
      - .offset:         0
        .size:           176
        .value_kind:     by_value
    .group_segment_fixed_size: 0
    .kernarg_segment_align: 8
    .kernarg_segment_size: 176
    .language:       OpenCL C
    .language_version:
      - 2
      - 0
    .max_flat_workgroup_size: 256
    .name:           _ZN7rocprim17ROCPRIM_400000_NS6detail17trampoline_kernelINS0_13select_configILj256ELj13ELNS0_17block_load_methodE3ELS4_3ELS4_3ELNS0_20block_scan_algorithmE0ELj4294967295EEENS1_25partition_config_selectorILNS1_17partition_subalgoE4EjNS0_10empty_typeEbEEZZNS1_14partition_implILS8_4ELb0ES6_15HIP_vector_typeIjLj2EENS0_17counting_iteratorIjlEEPS9_SG_NS0_5tupleIJPjSI_NS0_16reverse_iteratorISI_EEEEENSH_IJSG_SG_SG_EEES9_SI_JZNS1_25segmented_radix_sort_implINS0_14default_configELb0EPK6__halfPSP_PKlPlN2at6native12_GLOBAL__N_18offset_tEEE10hipError_tPvRmT1_PNSt15iterator_traitsIS13_E10value_typeET2_T3_PNS14_IS19_E10value_typeET4_jRbjT5_S1F_jjP12ihipStream_tbEUljE_ZNSN_ISO_Lb0ESR_SS_SU_SV_SZ_EES10_S11_S12_S13_S17_S18_S19_S1C_S1D_jS1E_jS1F_S1F_jjS1H_bEUljE0_EEES10_S11_S12_S19_S1D_S1F_T6_T7_T9_mT8_S1H_bDpT10_ENKUlT_T0_E_clISt17integral_constantIbLb0EES1V_EEDaS1Q_S1R_EUlS1Q_E_NS1_11comp_targetILNS1_3genE4ELNS1_11target_archE910ELNS1_3gpuE8ELNS1_3repE0EEENS1_30default_config_static_selectorELNS0_4arch9wavefront6targetE0EEEvS13_
    .private_segment_fixed_size: 0
    .sgpr_count:     0
    .sgpr_spill_count: 0
    .symbol:         _ZN7rocprim17ROCPRIM_400000_NS6detail17trampoline_kernelINS0_13select_configILj256ELj13ELNS0_17block_load_methodE3ELS4_3ELS4_3ELNS0_20block_scan_algorithmE0ELj4294967295EEENS1_25partition_config_selectorILNS1_17partition_subalgoE4EjNS0_10empty_typeEbEEZZNS1_14partition_implILS8_4ELb0ES6_15HIP_vector_typeIjLj2EENS0_17counting_iteratorIjlEEPS9_SG_NS0_5tupleIJPjSI_NS0_16reverse_iteratorISI_EEEEENSH_IJSG_SG_SG_EEES9_SI_JZNS1_25segmented_radix_sort_implINS0_14default_configELb0EPK6__halfPSP_PKlPlN2at6native12_GLOBAL__N_18offset_tEEE10hipError_tPvRmT1_PNSt15iterator_traitsIS13_E10value_typeET2_T3_PNS14_IS19_E10value_typeET4_jRbjT5_S1F_jjP12ihipStream_tbEUljE_ZNSN_ISO_Lb0ESR_SS_SU_SV_SZ_EES10_S11_S12_S13_S17_S18_S19_S1C_S1D_jS1E_jS1F_S1F_jjS1H_bEUljE0_EEES10_S11_S12_S19_S1D_S1F_T6_T7_T9_mT8_S1H_bDpT10_ENKUlT_T0_E_clISt17integral_constantIbLb0EES1V_EEDaS1Q_S1R_EUlS1Q_E_NS1_11comp_targetILNS1_3genE4ELNS1_11target_archE910ELNS1_3gpuE8ELNS1_3repE0EEENS1_30default_config_static_selectorELNS0_4arch9wavefront6targetE0EEEvS13_.kd
    .uniform_work_group_size: 1
    .uses_dynamic_stack: false
    .vgpr_count:     0
    .vgpr_spill_count: 0
    .wavefront_size: 32
    .workgroup_processor_mode: 1
  - .args:
      - .offset:         0
        .size:           176
        .value_kind:     by_value
    .group_segment_fixed_size: 0
    .kernarg_segment_align: 8
    .kernarg_segment_size: 176
    .language:       OpenCL C
    .language_version:
      - 2
      - 0
    .max_flat_workgroup_size: 256
    .name:           _ZN7rocprim17ROCPRIM_400000_NS6detail17trampoline_kernelINS0_13select_configILj256ELj13ELNS0_17block_load_methodE3ELS4_3ELS4_3ELNS0_20block_scan_algorithmE0ELj4294967295EEENS1_25partition_config_selectorILNS1_17partition_subalgoE4EjNS0_10empty_typeEbEEZZNS1_14partition_implILS8_4ELb0ES6_15HIP_vector_typeIjLj2EENS0_17counting_iteratorIjlEEPS9_SG_NS0_5tupleIJPjSI_NS0_16reverse_iteratorISI_EEEEENSH_IJSG_SG_SG_EEES9_SI_JZNS1_25segmented_radix_sort_implINS0_14default_configELb0EPK6__halfPSP_PKlPlN2at6native12_GLOBAL__N_18offset_tEEE10hipError_tPvRmT1_PNSt15iterator_traitsIS13_E10value_typeET2_T3_PNS14_IS19_E10value_typeET4_jRbjT5_S1F_jjP12ihipStream_tbEUljE_ZNSN_ISO_Lb0ESR_SS_SU_SV_SZ_EES10_S11_S12_S13_S17_S18_S19_S1C_S1D_jS1E_jS1F_S1F_jjS1H_bEUljE0_EEES10_S11_S12_S19_S1D_S1F_T6_T7_T9_mT8_S1H_bDpT10_ENKUlT_T0_E_clISt17integral_constantIbLb0EES1V_EEDaS1Q_S1R_EUlS1Q_E_NS1_11comp_targetILNS1_3genE3ELNS1_11target_archE908ELNS1_3gpuE7ELNS1_3repE0EEENS1_30default_config_static_selectorELNS0_4arch9wavefront6targetE0EEEvS13_
    .private_segment_fixed_size: 0
    .sgpr_count:     0
    .sgpr_spill_count: 0
    .symbol:         _ZN7rocprim17ROCPRIM_400000_NS6detail17trampoline_kernelINS0_13select_configILj256ELj13ELNS0_17block_load_methodE3ELS4_3ELS4_3ELNS0_20block_scan_algorithmE0ELj4294967295EEENS1_25partition_config_selectorILNS1_17partition_subalgoE4EjNS0_10empty_typeEbEEZZNS1_14partition_implILS8_4ELb0ES6_15HIP_vector_typeIjLj2EENS0_17counting_iteratorIjlEEPS9_SG_NS0_5tupleIJPjSI_NS0_16reverse_iteratorISI_EEEEENSH_IJSG_SG_SG_EEES9_SI_JZNS1_25segmented_radix_sort_implINS0_14default_configELb0EPK6__halfPSP_PKlPlN2at6native12_GLOBAL__N_18offset_tEEE10hipError_tPvRmT1_PNSt15iterator_traitsIS13_E10value_typeET2_T3_PNS14_IS19_E10value_typeET4_jRbjT5_S1F_jjP12ihipStream_tbEUljE_ZNSN_ISO_Lb0ESR_SS_SU_SV_SZ_EES10_S11_S12_S13_S17_S18_S19_S1C_S1D_jS1E_jS1F_S1F_jjS1H_bEUljE0_EEES10_S11_S12_S19_S1D_S1F_T6_T7_T9_mT8_S1H_bDpT10_ENKUlT_T0_E_clISt17integral_constantIbLb0EES1V_EEDaS1Q_S1R_EUlS1Q_E_NS1_11comp_targetILNS1_3genE3ELNS1_11target_archE908ELNS1_3gpuE7ELNS1_3repE0EEENS1_30default_config_static_selectorELNS0_4arch9wavefront6targetE0EEEvS13_.kd
    .uniform_work_group_size: 1
    .uses_dynamic_stack: false
    .vgpr_count:     0
    .vgpr_spill_count: 0
    .wavefront_size: 32
    .workgroup_processor_mode: 1
  - .args:
      - .offset:         0
        .size:           176
        .value_kind:     by_value
    .group_segment_fixed_size: 0
    .kernarg_segment_align: 8
    .kernarg_segment_size: 176
    .language:       OpenCL C
    .language_version:
      - 2
      - 0
    .max_flat_workgroup_size: 256
    .name:           _ZN7rocprim17ROCPRIM_400000_NS6detail17trampoline_kernelINS0_13select_configILj256ELj13ELNS0_17block_load_methodE3ELS4_3ELS4_3ELNS0_20block_scan_algorithmE0ELj4294967295EEENS1_25partition_config_selectorILNS1_17partition_subalgoE4EjNS0_10empty_typeEbEEZZNS1_14partition_implILS8_4ELb0ES6_15HIP_vector_typeIjLj2EENS0_17counting_iteratorIjlEEPS9_SG_NS0_5tupleIJPjSI_NS0_16reverse_iteratorISI_EEEEENSH_IJSG_SG_SG_EEES9_SI_JZNS1_25segmented_radix_sort_implINS0_14default_configELb0EPK6__halfPSP_PKlPlN2at6native12_GLOBAL__N_18offset_tEEE10hipError_tPvRmT1_PNSt15iterator_traitsIS13_E10value_typeET2_T3_PNS14_IS19_E10value_typeET4_jRbjT5_S1F_jjP12ihipStream_tbEUljE_ZNSN_ISO_Lb0ESR_SS_SU_SV_SZ_EES10_S11_S12_S13_S17_S18_S19_S1C_S1D_jS1E_jS1F_S1F_jjS1H_bEUljE0_EEES10_S11_S12_S19_S1D_S1F_T6_T7_T9_mT8_S1H_bDpT10_ENKUlT_T0_E_clISt17integral_constantIbLb0EES1V_EEDaS1Q_S1R_EUlS1Q_E_NS1_11comp_targetILNS1_3genE2ELNS1_11target_archE906ELNS1_3gpuE6ELNS1_3repE0EEENS1_30default_config_static_selectorELNS0_4arch9wavefront6targetE0EEEvS13_
    .private_segment_fixed_size: 0
    .sgpr_count:     0
    .sgpr_spill_count: 0
    .symbol:         _ZN7rocprim17ROCPRIM_400000_NS6detail17trampoline_kernelINS0_13select_configILj256ELj13ELNS0_17block_load_methodE3ELS4_3ELS4_3ELNS0_20block_scan_algorithmE0ELj4294967295EEENS1_25partition_config_selectorILNS1_17partition_subalgoE4EjNS0_10empty_typeEbEEZZNS1_14partition_implILS8_4ELb0ES6_15HIP_vector_typeIjLj2EENS0_17counting_iteratorIjlEEPS9_SG_NS0_5tupleIJPjSI_NS0_16reverse_iteratorISI_EEEEENSH_IJSG_SG_SG_EEES9_SI_JZNS1_25segmented_radix_sort_implINS0_14default_configELb0EPK6__halfPSP_PKlPlN2at6native12_GLOBAL__N_18offset_tEEE10hipError_tPvRmT1_PNSt15iterator_traitsIS13_E10value_typeET2_T3_PNS14_IS19_E10value_typeET4_jRbjT5_S1F_jjP12ihipStream_tbEUljE_ZNSN_ISO_Lb0ESR_SS_SU_SV_SZ_EES10_S11_S12_S13_S17_S18_S19_S1C_S1D_jS1E_jS1F_S1F_jjS1H_bEUljE0_EEES10_S11_S12_S19_S1D_S1F_T6_T7_T9_mT8_S1H_bDpT10_ENKUlT_T0_E_clISt17integral_constantIbLb0EES1V_EEDaS1Q_S1R_EUlS1Q_E_NS1_11comp_targetILNS1_3genE2ELNS1_11target_archE906ELNS1_3gpuE6ELNS1_3repE0EEENS1_30default_config_static_selectorELNS0_4arch9wavefront6targetE0EEEvS13_.kd
    .uniform_work_group_size: 1
    .uses_dynamic_stack: false
    .vgpr_count:     0
    .vgpr_spill_count: 0
    .wavefront_size: 32
    .workgroup_processor_mode: 1
  - .args:
      - .offset:         0
        .size:           176
        .value_kind:     by_value
    .group_segment_fixed_size: 0
    .kernarg_segment_align: 8
    .kernarg_segment_size: 176
    .language:       OpenCL C
    .language_version:
      - 2
      - 0
    .max_flat_workgroup_size: 256
    .name:           _ZN7rocprim17ROCPRIM_400000_NS6detail17trampoline_kernelINS0_13select_configILj256ELj13ELNS0_17block_load_methodE3ELS4_3ELS4_3ELNS0_20block_scan_algorithmE0ELj4294967295EEENS1_25partition_config_selectorILNS1_17partition_subalgoE4EjNS0_10empty_typeEbEEZZNS1_14partition_implILS8_4ELb0ES6_15HIP_vector_typeIjLj2EENS0_17counting_iteratorIjlEEPS9_SG_NS0_5tupleIJPjSI_NS0_16reverse_iteratorISI_EEEEENSH_IJSG_SG_SG_EEES9_SI_JZNS1_25segmented_radix_sort_implINS0_14default_configELb0EPK6__halfPSP_PKlPlN2at6native12_GLOBAL__N_18offset_tEEE10hipError_tPvRmT1_PNSt15iterator_traitsIS13_E10value_typeET2_T3_PNS14_IS19_E10value_typeET4_jRbjT5_S1F_jjP12ihipStream_tbEUljE_ZNSN_ISO_Lb0ESR_SS_SU_SV_SZ_EES10_S11_S12_S13_S17_S18_S19_S1C_S1D_jS1E_jS1F_S1F_jjS1H_bEUljE0_EEES10_S11_S12_S19_S1D_S1F_T6_T7_T9_mT8_S1H_bDpT10_ENKUlT_T0_E_clISt17integral_constantIbLb0EES1V_EEDaS1Q_S1R_EUlS1Q_E_NS1_11comp_targetILNS1_3genE10ELNS1_11target_archE1200ELNS1_3gpuE4ELNS1_3repE0EEENS1_30default_config_static_selectorELNS0_4arch9wavefront6targetE0EEEvS13_
    .private_segment_fixed_size: 0
    .sgpr_count:     0
    .sgpr_spill_count: 0
    .symbol:         _ZN7rocprim17ROCPRIM_400000_NS6detail17trampoline_kernelINS0_13select_configILj256ELj13ELNS0_17block_load_methodE3ELS4_3ELS4_3ELNS0_20block_scan_algorithmE0ELj4294967295EEENS1_25partition_config_selectorILNS1_17partition_subalgoE4EjNS0_10empty_typeEbEEZZNS1_14partition_implILS8_4ELb0ES6_15HIP_vector_typeIjLj2EENS0_17counting_iteratorIjlEEPS9_SG_NS0_5tupleIJPjSI_NS0_16reverse_iteratorISI_EEEEENSH_IJSG_SG_SG_EEES9_SI_JZNS1_25segmented_radix_sort_implINS0_14default_configELb0EPK6__halfPSP_PKlPlN2at6native12_GLOBAL__N_18offset_tEEE10hipError_tPvRmT1_PNSt15iterator_traitsIS13_E10value_typeET2_T3_PNS14_IS19_E10value_typeET4_jRbjT5_S1F_jjP12ihipStream_tbEUljE_ZNSN_ISO_Lb0ESR_SS_SU_SV_SZ_EES10_S11_S12_S13_S17_S18_S19_S1C_S1D_jS1E_jS1F_S1F_jjS1H_bEUljE0_EEES10_S11_S12_S19_S1D_S1F_T6_T7_T9_mT8_S1H_bDpT10_ENKUlT_T0_E_clISt17integral_constantIbLb0EES1V_EEDaS1Q_S1R_EUlS1Q_E_NS1_11comp_targetILNS1_3genE10ELNS1_11target_archE1200ELNS1_3gpuE4ELNS1_3repE0EEENS1_30default_config_static_selectorELNS0_4arch9wavefront6targetE0EEEvS13_.kd
    .uniform_work_group_size: 1
    .uses_dynamic_stack: false
    .vgpr_count:     0
    .vgpr_spill_count: 0
    .wavefront_size: 32
    .workgroup_processor_mode: 1
  - .args:
      - .offset:         0
        .size:           176
        .value_kind:     by_value
    .group_segment_fixed_size: 13340
    .kernarg_segment_align: 8
    .kernarg_segment_size: 176
    .language:       OpenCL C
    .language_version:
      - 2
      - 0
    .max_flat_workgroup_size: 256
    .name:           _ZN7rocprim17ROCPRIM_400000_NS6detail17trampoline_kernelINS0_13select_configILj256ELj13ELNS0_17block_load_methodE3ELS4_3ELS4_3ELNS0_20block_scan_algorithmE0ELj4294967295EEENS1_25partition_config_selectorILNS1_17partition_subalgoE4EjNS0_10empty_typeEbEEZZNS1_14partition_implILS8_4ELb0ES6_15HIP_vector_typeIjLj2EENS0_17counting_iteratorIjlEEPS9_SG_NS0_5tupleIJPjSI_NS0_16reverse_iteratorISI_EEEEENSH_IJSG_SG_SG_EEES9_SI_JZNS1_25segmented_radix_sort_implINS0_14default_configELb0EPK6__halfPSP_PKlPlN2at6native12_GLOBAL__N_18offset_tEEE10hipError_tPvRmT1_PNSt15iterator_traitsIS13_E10value_typeET2_T3_PNS14_IS19_E10value_typeET4_jRbjT5_S1F_jjP12ihipStream_tbEUljE_ZNSN_ISO_Lb0ESR_SS_SU_SV_SZ_EES10_S11_S12_S13_S17_S18_S19_S1C_S1D_jS1E_jS1F_S1F_jjS1H_bEUljE0_EEES10_S11_S12_S19_S1D_S1F_T6_T7_T9_mT8_S1H_bDpT10_ENKUlT_T0_E_clISt17integral_constantIbLb0EES1V_EEDaS1Q_S1R_EUlS1Q_E_NS1_11comp_targetILNS1_3genE9ELNS1_11target_archE1100ELNS1_3gpuE3ELNS1_3repE0EEENS1_30default_config_static_selectorELNS0_4arch9wavefront6targetE0EEEvS13_
    .private_segment_fixed_size: 0
    .sgpr_count:     61
    .sgpr_spill_count: 0
    .symbol:         _ZN7rocprim17ROCPRIM_400000_NS6detail17trampoline_kernelINS0_13select_configILj256ELj13ELNS0_17block_load_methodE3ELS4_3ELS4_3ELNS0_20block_scan_algorithmE0ELj4294967295EEENS1_25partition_config_selectorILNS1_17partition_subalgoE4EjNS0_10empty_typeEbEEZZNS1_14partition_implILS8_4ELb0ES6_15HIP_vector_typeIjLj2EENS0_17counting_iteratorIjlEEPS9_SG_NS0_5tupleIJPjSI_NS0_16reverse_iteratorISI_EEEEENSH_IJSG_SG_SG_EEES9_SI_JZNS1_25segmented_radix_sort_implINS0_14default_configELb0EPK6__halfPSP_PKlPlN2at6native12_GLOBAL__N_18offset_tEEE10hipError_tPvRmT1_PNSt15iterator_traitsIS13_E10value_typeET2_T3_PNS14_IS19_E10value_typeET4_jRbjT5_S1F_jjP12ihipStream_tbEUljE_ZNSN_ISO_Lb0ESR_SS_SU_SV_SZ_EES10_S11_S12_S13_S17_S18_S19_S1C_S1D_jS1E_jS1F_S1F_jjS1H_bEUljE0_EEES10_S11_S12_S19_S1D_S1F_T6_T7_T9_mT8_S1H_bDpT10_ENKUlT_T0_E_clISt17integral_constantIbLb0EES1V_EEDaS1Q_S1R_EUlS1Q_E_NS1_11comp_targetILNS1_3genE9ELNS1_11target_archE1100ELNS1_3gpuE3ELNS1_3repE0EEENS1_30default_config_static_selectorELNS0_4arch9wavefront6targetE0EEEvS13_.kd
    .uniform_work_group_size: 1
    .uses_dynamic_stack: false
    .vgpr_count:     98
    .vgpr_spill_count: 0
    .wavefront_size: 32
    .workgroup_processor_mode: 1
  - .args:
      - .offset:         0
        .size:           176
        .value_kind:     by_value
    .group_segment_fixed_size: 0
    .kernarg_segment_align: 8
    .kernarg_segment_size: 176
    .language:       OpenCL C
    .language_version:
      - 2
      - 0
    .max_flat_workgroup_size: 256
    .name:           _ZN7rocprim17ROCPRIM_400000_NS6detail17trampoline_kernelINS0_13select_configILj256ELj13ELNS0_17block_load_methodE3ELS4_3ELS4_3ELNS0_20block_scan_algorithmE0ELj4294967295EEENS1_25partition_config_selectorILNS1_17partition_subalgoE4EjNS0_10empty_typeEbEEZZNS1_14partition_implILS8_4ELb0ES6_15HIP_vector_typeIjLj2EENS0_17counting_iteratorIjlEEPS9_SG_NS0_5tupleIJPjSI_NS0_16reverse_iteratorISI_EEEEENSH_IJSG_SG_SG_EEES9_SI_JZNS1_25segmented_radix_sort_implINS0_14default_configELb0EPK6__halfPSP_PKlPlN2at6native12_GLOBAL__N_18offset_tEEE10hipError_tPvRmT1_PNSt15iterator_traitsIS13_E10value_typeET2_T3_PNS14_IS19_E10value_typeET4_jRbjT5_S1F_jjP12ihipStream_tbEUljE_ZNSN_ISO_Lb0ESR_SS_SU_SV_SZ_EES10_S11_S12_S13_S17_S18_S19_S1C_S1D_jS1E_jS1F_S1F_jjS1H_bEUljE0_EEES10_S11_S12_S19_S1D_S1F_T6_T7_T9_mT8_S1H_bDpT10_ENKUlT_T0_E_clISt17integral_constantIbLb0EES1V_EEDaS1Q_S1R_EUlS1Q_E_NS1_11comp_targetILNS1_3genE8ELNS1_11target_archE1030ELNS1_3gpuE2ELNS1_3repE0EEENS1_30default_config_static_selectorELNS0_4arch9wavefront6targetE0EEEvS13_
    .private_segment_fixed_size: 0
    .sgpr_count:     0
    .sgpr_spill_count: 0
    .symbol:         _ZN7rocprim17ROCPRIM_400000_NS6detail17trampoline_kernelINS0_13select_configILj256ELj13ELNS0_17block_load_methodE3ELS4_3ELS4_3ELNS0_20block_scan_algorithmE0ELj4294967295EEENS1_25partition_config_selectorILNS1_17partition_subalgoE4EjNS0_10empty_typeEbEEZZNS1_14partition_implILS8_4ELb0ES6_15HIP_vector_typeIjLj2EENS0_17counting_iteratorIjlEEPS9_SG_NS0_5tupleIJPjSI_NS0_16reverse_iteratorISI_EEEEENSH_IJSG_SG_SG_EEES9_SI_JZNS1_25segmented_radix_sort_implINS0_14default_configELb0EPK6__halfPSP_PKlPlN2at6native12_GLOBAL__N_18offset_tEEE10hipError_tPvRmT1_PNSt15iterator_traitsIS13_E10value_typeET2_T3_PNS14_IS19_E10value_typeET4_jRbjT5_S1F_jjP12ihipStream_tbEUljE_ZNSN_ISO_Lb0ESR_SS_SU_SV_SZ_EES10_S11_S12_S13_S17_S18_S19_S1C_S1D_jS1E_jS1F_S1F_jjS1H_bEUljE0_EEES10_S11_S12_S19_S1D_S1F_T6_T7_T9_mT8_S1H_bDpT10_ENKUlT_T0_E_clISt17integral_constantIbLb0EES1V_EEDaS1Q_S1R_EUlS1Q_E_NS1_11comp_targetILNS1_3genE8ELNS1_11target_archE1030ELNS1_3gpuE2ELNS1_3repE0EEENS1_30default_config_static_selectorELNS0_4arch9wavefront6targetE0EEEvS13_.kd
    .uniform_work_group_size: 1
    .uses_dynamic_stack: false
    .vgpr_count:     0
    .vgpr_spill_count: 0
    .wavefront_size: 32
    .workgroup_processor_mode: 1
  - .args:
      - .offset:         0
        .size:           184
        .value_kind:     by_value
    .group_segment_fixed_size: 0
    .kernarg_segment_align: 8
    .kernarg_segment_size: 184
    .language:       OpenCL C
    .language_version:
      - 2
      - 0
    .max_flat_workgroup_size: 256
    .name:           _ZN7rocprim17ROCPRIM_400000_NS6detail17trampoline_kernelINS0_13select_configILj256ELj13ELNS0_17block_load_methodE3ELS4_3ELS4_3ELNS0_20block_scan_algorithmE0ELj4294967295EEENS1_25partition_config_selectorILNS1_17partition_subalgoE4EjNS0_10empty_typeEbEEZZNS1_14partition_implILS8_4ELb0ES6_15HIP_vector_typeIjLj2EENS0_17counting_iteratorIjlEEPS9_SG_NS0_5tupleIJPjSI_NS0_16reverse_iteratorISI_EEEEENSH_IJSG_SG_SG_EEES9_SI_JZNS1_25segmented_radix_sort_implINS0_14default_configELb0EPK6__halfPSP_PKlPlN2at6native12_GLOBAL__N_18offset_tEEE10hipError_tPvRmT1_PNSt15iterator_traitsIS13_E10value_typeET2_T3_PNS14_IS19_E10value_typeET4_jRbjT5_S1F_jjP12ihipStream_tbEUljE_ZNSN_ISO_Lb0ESR_SS_SU_SV_SZ_EES10_S11_S12_S13_S17_S18_S19_S1C_S1D_jS1E_jS1F_S1F_jjS1H_bEUljE0_EEES10_S11_S12_S19_S1D_S1F_T6_T7_T9_mT8_S1H_bDpT10_ENKUlT_T0_E_clISt17integral_constantIbLb1EES1V_EEDaS1Q_S1R_EUlS1Q_E_NS1_11comp_targetILNS1_3genE0ELNS1_11target_archE4294967295ELNS1_3gpuE0ELNS1_3repE0EEENS1_30default_config_static_selectorELNS0_4arch9wavefront6targetE0EEEvS13_
    .private_segment_fixed_size: 0
    .sgpr_count:     0
    .sgpr_spill_count: 0
    .symbol:         _ZN7rocprim17ROCPRIM_400000_NS6detail17trampoline_kernelINS0_13select_configILj256ELj13ELNS0_17block_load_methodE3ELS4_3ELS4_3ELNS0_20block_scan_algorithmE0ELj4294967295EEENS1_25partition_config_selectorILNS1_17partition_subalgoE4EjNS0_10empty_typeEbEEZZNS1_14partition_implILS8_4ELb0ES6_15HIP_vector_typeIjLj2EENS0_17counting_iteratorIjlEEPS9_SG_NS0_5tupleIJPjSI_NS0_16reverse_iteratorISI_EEEEENSH_IJSG_SG_SG_EEES9_SI_JZNS1_25segmented_radix_sort_implINS0_14default_configELb0EPK6__halfPSP_PKlPlN2at6native12_GLOBAL__N_18offset_tEEE10hipError_tPvRmT1_PNSt15iterator_traitsIS13_E10value_typeET2_T3_PNS14_IS19_E10value_typeET4_jRbjT5_S1F_jjP12ihipStream_tbEUljE_ZNSN_ISO_Lb0ESR_SS_SU_SV_SZ_EES10_S11_S12_S13_S17_S18_S19_S1C_S1D_jS1E_jS1F_S1F_jjS1H_bEUljE0_EEES10_S11_S12_S19_S1D_S1F_T6_T7_T9_mT8_S1H_bDpT10_ENKUlT_T0_E_clISt17integral_constantIbLb1EES1V_EEDaS1Q_S1R_EUlS1Q_E_NS1_11comp_targetILNS1_3genE0ELNS1_11target_archE4294967295ELNS1_3gpuE0ELNS1_3repE0EEENS1_30default_config_static_selectorELNS0_4arch9wavefront6targetE0EEEvS13_.kd
    .uniform_work_group_size: 1
    .uses_dynamic_stack: false
    .vgpr_count:     0
    .vgpr_spill_count: 0
    .wavefront_size: 32
    .workgroup_processor_mode: 1
  - .args:
      - .offset:         0
        .size:           184
        .value_kind:     by_value
    .group_segment_fixed_size: 0
    .kernarg_segment_align: 8
    .kernarg_segment_size: 184
    .language:       OpenCL C
    .language_version:
      - 2
      - 0
    .max_flat_workgroup_size: 256
    .name:           _ZN7rocprim17ROCPRIM_400000_NS6detail17trampoline_kernelINS0_13select_configILj256ELj13ELNS0_17block_load_methodE3ELS4_3ELS4_3ELNS0_20block_scan_algorithmE0ELj4294967295EEENS1_25partition_config_selectorILNS1_17partition_subalgoE4EjNS0_10empty_typeEbEEZZNS1_14partition_implILS8_4ELb0ES6_15HIP_vector_typeIjLj2EENS0_17counting_iteratorIjlEEPS9_SG_NS0_5tupleIJPjSI_NS0_16reverse_iteratorISI_EEEEENSH_IJSG_SG_SG_EEES9_SI_JZNS1_25segmented_radix_sort_implINS0_14default_configELb0EPK6__halfPSP_PKlPlN2at6native12_GLOBAL__N_18offset_tEEE10hipError_tPvRmT1_PNSt15iterator_traitsIS13_E10value_typeET2_T3_PNS14_IS19_E10value_typeET4_jRbjT5_S1F_jjP12ihipStream_tbEUljE_ZNSN_ISO_Lb0ESR_SS_SU_SV_SZ_EES10_S11_S12_S13_S17_S18_S19_S1C_S1D_jS1E_jS1F_S1F_jjS1H_bEUljE0_EEES10_S11_S12_S19_S1D_S1F_T6_T7_T9_mT8_S1H_bDpT10_ENKUlT_T0_E_clISt17integral_constantIbLb1EES1V_EEDaS1Q_S1R_EUlS1Q_E_NS1_11comp_targetILNS1_3genE5ELNS1_11target_archE942ELNS1_3gpuE9ELNS1_3repE0EEENS1_30default_config_static_selectorELNS0_4arch9wavefront6targetE0EEEvS13_
    .private_segment_fixed_size: 0
    .sgpr_count:     0
    .sgpr_spill_count: 0
    .symbol:         _ZN7rocprim17ROCPRIM_400000_NS6detail17trampoline_kernelINS0_13select_configILj256ELj13ELNS0_17block_load_methodE3ELS4_3ELS4_3ELNS0_20block_scan_algorithmE0ELj4294967295EEENS1_25partition_config_selectorILNS1_17partition_subalgoE4EjNS0_10empty_typeEbEEZZNS1_14partition_implILS8_4ELb0ES6_15HIP_vector_typeIjLj2EENS0_17counting_iteratorIjlEEPS9_SG_NS0_5tupleIJPjSI_NS0_16reverse_iteratorISI_EEEEENSH_IJSG_SG_SG_EEES9_SI_JZNS1_25segmented_radix_sort_implINS0_14default_configELb0EPK6__halfPSP_PKlPlN2at6native12_GLOBAL__N_18offset_tEEE10hipError_tPvRmT1_PNSt15iterator_traitsIS13_E10value_typeET2_T3_PNS14_IS19_E10value_typeET4_jRbjT5_S1F_jjP12ihipStream_tbEUljE_ZNSN_ISO_Lb0ESR_SS_SU_SV_SZ_EES10_S11_S12_S13_S17_S18_S19_S1C_S1D_jS1E_jS1F_S1F_jjS1H_bEUljE0_EEES10_S11_S12_S19_S1D_S1F_T6_T7_T9_mT8_S1H_bDpT10_ENKUlT_T0_E_clISt17integral_constantIbLb1EES1V_EEDaS1Q_S1R_EUlS1Q_E_NS1_11comp_targetILNS1_3genE5ELNS1_11target_archE942ELNS1_3gpuE9ELNS1_3repE0EEENS1_30default_config_static_selectorELNS0_4arch9wavefront6targetE0EEEvS13_.kd
    .uniform_work_group_size: 1
    .uses_dynamic_stack: false
    .vgpr_count:     0
    .vgpr_spill_count: 0
    .wavefront_size: 32
    .workgroup_processor_mode: 1
  - .args:
      - .offset:         0
        .size:           184
        .value_kind:     by_value
    .group_segment_fixed_size: 0
    .kernarg_segment_align: 8
    .kernarg_segment_size: 184
    .language:       OpenCL C
    .language_version:
      - 2
      - 0
    .max_flat_workgroup_size: 256
    .name:           _ZN7rocprim17ROCPRIM_400000_NS6detail17trampoline_kernelINS0_13select_configILj256ELj13ELNS0_17block_load_methodE3ELS4_3ELS4_3ELNS0_20block_scan_algorithmE0ELj4294967295EEENS1_25partition_config_selectorILNS1_17partition_subalgoE4EjNS0_10empty_typeEbEEZZNS1_14partition_implILS8_4ELb0ES6_15HIP_vector_typeIjLj2EENS0_17counting_iteratorIjlEEPS9_SG_NS0_5tupleIJPjSI_NS0_16reverse_iteratorISI_EEEEENSH_IJSG_SG_SG_EEES9_SI_JZNS1_25segmented_radix_sort_implINS0_14default_configELb0EPK6__halfPSP_PKlPlN2at6native12_GLOBAL__N_18offset_tEEE10hipError_tPvRmT1_PNSt15iterator_traitsIS13_E10value_typeET2_T3_PNS14_IS19_E10value_typeET4_jRbjT5_S1F_jjP12ihipStream_tbEUljE_ZNSN_ISO_Lb0ESR_SS_SU_SV_SZ_EES10_S11_S12_S13_S17_S18_S19_S1C_S1D_jS1E_jS1F_S1F_jjS1H_bEUljE0_EEES10_S11_S12_S19_S1D_S1F_T6_T7_T9_mT8_S1H_bDpT10_ENKUlT_T0_E_clISt17integral_constantIbLb1EES1V_EEDaS1Q_S1R_EUlS1Q_E_NS1_11comp_targetILNS1_3genE4ELNS1_11target_archE910ELNS1_3gpuE8ELNS1_3repE0EEENS1_30default_config_static_selectorELNS0_4arch9wavefront6targetE0EEEvS13_
    .private_segment_fixed_size: 0
    .sgpr_count:     0
    .sgpr_spill_count: 0
    .symbol:         _ZN7rocprim17ROCPRIM_400000_NS6detail17trampoline_kernelINS0_13select_configILj256ELj13ELNS0_17block_load_methodE3ELS4_3ELS4_3ELNS0_20block_scan_algorithmE0ELj4294967295EEENS1_25partition_config_selectorILNS1_17partition_subalgoE4EjNS0_10empty_typeEbEEZZNS1_14partition_implILS8_4ELb0ES6_15HIP_vector_typeIjLj2EENS0_17counting_iteratorIjlEEPS9_SG_NS0_5tupleIJPjSI_NS0_16reverse_iteratorISI_EEEEENSH_IJSG_SG_SG_EEES9_SI_JZNS1_25segmented_radix_sort_implINS0_14default_configELb0EPK6__halfPSP_PKlPlN2at6native12_GLOBAL__N_18offset_tEEE10hipError_tPvRmT1_PNSt15iterator_traitsIS13_E10value_typeET2_T3_PNS14_IS19_E10value_typeET4_jRbjT5_S1F_jjP12ihipStream_tbEUljE_ZNSN_ISO_Lb0ESR_SS_SU_SV_SZ_EES10_S11_S12_S13_S17_S18_S19_S1C_S1D_jS1E_jS1F_S1F_jjS1H_bEUljE0_EEES10_S11_S12_S19_S1D_S1F_T6_T7_T9_mT8_S1H_bDpT10_ENKUlT_T0_E_clISt17integral_constantIbLb1EES1V_EEDaS1Q_S1R_EUlS1Q_E_NS1_11comp_targetILNS1_3genE4ELNS1_11target_archE910ELNS1_3gpuE8ELNS1_3repE0EEENS1_30default_config_static_selectorELNS0_4arch9wavefront6targetE0EEEvS13_.kd
    .uniform_work_group_size: 1
    .uses_dynamic_stack: false
    .vgpr_count:     0
    .vgpr_spill_count: 0
    .wavefront_size: 32
    .workgroup_processor_mode: 1
  - .args:
      - .offset:         0
        .size:           184
        .value_kind:     by_value
    .group_segment_fixed_size: 0
    .kernarg_segment_align: 8
    .kernarg_segment_size: 184
    .language:       OpenCL C
    .language_version:
      - 2
      - 0
    .max_flat_workgroup_size: 256
    .name:           _ZN7rocprim17ROCPRIM_400000_NS6detail17trampoline_kernelINS0_13select_configILj256ELj13ELNS0_17block_load_methodE3ELS4_3ELS4_3ELNS0_20block_scan_algorithmE0ELj4294967295EEENS1_25partition_config_selectorILNS1_17partition_subalgoE4EjNS0_10empty_typeEbEEZZNS1_14partition_implILS8_4ELb0ES6_15HIP_vector_typeIjLj2EENS0_17counting_iteratorIjlEEPS9_SG_NS0_5tupleIJPjSI_NS0_16reverse_iteratorISI_EEEEENSH_IJSG_SG_SG_EEES9_SI_JZNS1_25segmented_radix_sort_implINS0_14default_configELb0EPK6__halfPSP_PKlPlN2at6native12_GLOBAL__N_18offset_tEEE10hipError_tPvRmT1_PNSt15iterator_traitsIS13_E10value_typeET2_T3_PNS14_IS19_E10value_typeET4_jRbjT5_S1F_jjP12ihipStream_tbEUljE_ZNSN_ISO_Lb0ESR_SS_SU_SV_SZ_EES10_S11_S12_S13_S17_S18_S19_S1C_S1D_jS1E_jS1F_S1F_jjS1H_bEUljE0_EEES10_S11_S12_S19_S1D_S1F_T6_T7_T9_mT8_S1H_bDpT10_ENKUlT_T0_E_clISt17integral_constantIbLb1EES1V_EEDaS1Q_S1R_EUlS1Q_E_NS1_11comp_targetILNS1_3genE3ELNS1_11target_archE908ELNS1_3gpuE7ELNS1_3repE0EEENS1_30default_config_static_selectorELNS0_4arch9wavefront6targetE0EEEvS13_
    .private_segment_fixed_size: 0
    .sgpr_count:     0
    .sgpr_spill_count: 0
    .symbol:         _ZN7rocprim17ROCPRIM_400000_NS6detail17trampoline_kernelINS0_13select_configILj256ELj13ELNS0_17block_load_methodE3ELS4_3ELS4_3ELNS0_20block_scan_algorithmE0ELj4294967295EEENS1_25partition_config_selectorILNS1_17partition_subalgoE4EjNS0_10empty_typeEbEEZZNS1_14partition_implILS8_4ELb0ES6_15HIP_vector_typeIjLj2EENS0_17counting_iteratorIjlEEPS9_SG_NS0_5tupleIJPjSI_NS0_16reverse_iteratorISI_EEEEENSH_IJSG_SG_SG_EEES9_SI_JZNS1_25segmented_radix_sort_implINS0_14default_configELb0EPK6__halfPSP_PKlPlN2at6native12_GLOBAL__N_18offset_tEEE10hipError_tPvRmT1_PNSt15iterator_traitsIS13_E10value_typeET2_T3_PNS14_IS19_E10value_typeET4_jRbjT5_S1F_jjP12ihipStream_tbEUljE_ZNSN_ISO_Lb0ESR_SS_SU_SV_SZ_EES10_S11_S12_S13_S17_S18_S19_S1C_S1D_jS1E_jS1F_S1F_jjS1H_bEUljE0_EEES10_S11_S12_S19_S1D_S1F_T6_T7_T9_mT8_S1H_bDpT10_ENKUlT_T0_E_clISt17integral_constantIbLb1EES1V_EEDaS1Q_S1R_EUlS1Q_E_NS1_11comp_targetILNS1_3genE3ELNS1_11target_archE908ELNS1_3gpuE7ELNS1_3repE0EEENS1_30default_config_static_selectorELNS0_4arch9wavefront6targetE0EEEvS13_.kd
    .uniform_work_group_size: 1
    .uses_dynamic_stack: false
    .vgpr_count:     0
    .vgpr_spill_count: 0
    .wavefront_size: 32
    .workgroup_processor_mode: 1
  - .args:
      - .offset:         0
        .size:           184
        .value_kind:     by_value
    .group_segment_fixed_size: 0
    .kernarg_segment_align: 8
    .kernarg_segment_size: 184
    .language:       OpenCL C
    .language_version:
      - 2
      - 0
    .max_flat_workgroup_size: 256
    .name:           _ZN7rocprim17ROCPRIM_400000_NS6detail17trampoline_kernelINS0_13select_configILj256ELj13ELNS0_17block_load_methodE3ELS4_3ELS4_3ELNS0_20block_scan_algorithmE0ELj4294967295EEENS1_25partition_config_selectorILNS1_17partition_subalgoE4EjNS0_10empty_typeEbEEZZNS1_14partition_implILS8_4ELb0ES6_15HIP_vector_typeIjLj2EENS0_17counting_iteratorIjlEEPS9_SG_NS0_5tupleIJPjSI_NS0_16reverse_iteratorISI_EEEEENSH_IJSG_SG_SG_EEES9_SI_JZNS1_25segmented_radix_sort_implINS0_14default_configELb0EPK6__halfPSP_PKlPlN2at6native12_GLOBAL__N_18offset_tEEE10hipError_tPvRmT1_PNSt15iterator_traitsIS13_E10value_typeET2_T3_PNS14_IS19_E10value_typeET4_jRbjT5_S1F_jjP12ihipStream_tbEUljE_ZNSN_ISO_Lb0ESR_SS_SU_SV_SZ_EES10_S11_S12_S13_S17_S18_S19_S1C_S1D_jS1E_jS1F_S1F_jjS1H_bEUljE0_EEES10_S11_S12_S19_S1D_S1F_T6_T7_T9_mT8_S1H_bDpT10_ENKUlT_T0_E_clISt17integral_constantIbLb1EES1V_EEDaS1Q_S1R_EUlS1Q_E_NS1_11comp_targetILNS1_3genE2ELNS1_11target_archE906ELNS1_3gpuE6ELNS1_3repE0EEENS1_30default_config_static_selectorELNS0_4arch9wavefront6targetE0EEEvS13_
    .private_segment_fixed_size: 0
    .sgpr_count:     0
    .sgpr_spill_count: 0
    .symbol:         _ZN7rocprim17ROCPRIM_400000_NS6detail17trampoline_kernelINS0_13select_configILj256ELj13ELNS0_17block_load_methodE3ELS4_3ELS4_3ELNS0_20block_scan_algorithmE0ELj4294967295EEENS1_25partition_config_selectorILNS1_17partition_subalgoE4EjNS0_10empty_typeEbEEZZNS1_14partition_implILS8_4ELb0ES6_15HIP_vector_typeIjLj2EENS0_17counting_iteratorIjlEEPS9_SG_NS0_5tupleIJPjSI_NS0_16reverse_iteratorISI_EEEEENSH_IJSG_SG_SG_EEES9_SI_JZNS1_25segmented_radix_sort_implINS0_14default_configELb0EPK6__halfPSP_PKlPlN2at6native12_GLOBAL__N_18offset_tEEE10hipError_tPvRmT1_PNSt15iterator_traitsIS13_E10value_typeET2_T3_PNS14_IS19_E10value_typeET4_jRbjT5_S1F_jjP12ihipStream_tbEUljE_ZNSN_ISO_Lb0ESR_SS_SU_SV_SZ_EES10_S11_S12_S13_S17_S18_S19_S1C_S1D_jS1E_jS1F_S1F_jjS1H_bEUljE0_EEES10_S11_S12_S19_S1D_S1F_T6_T7_T9_mT8_S1H_bDpT10_ENKUlT_T0_E_clISt17integral_constantIbLb1EES1V_EEDaS1Q_S1R_EUlS1Q_E_NS1_11comp_targetILNS1_3genE2ELNS1_11target_archE906ELNS1_3gpuE6ELNS1_3repE0EEENS1_30default_config_static_selectorELNS0_4arch9wavefront6targetE0EEEvS13_.kd
    .uniform_work_group_size: 1
    .uses_dynamic_stack: false
    .vgpr_count:     0
    .vgpr_spill_count: 0
    .wavefront_size: 32
    .workgroup_processor_mode: 1
  - .args:
      - .offset:         0
        .size:           184
        .value_kind:     by_value
    .group_segment_fixed_size: 0
    .kernarg_segment_align: 8
    .kernarg_segment_size: 184
    .language:       OpenCL C
    .language_version:
      - 2
      - 0
    .max_flat_workgroup_size: 256
    .name:           _ZN7rocprim17ROCPRIM_400000_NS6detail17trampoline_kernelINS0_13select_configILj256ELj13ELNS0_17block_load_methodE3ELS4_3ELS4_3ELNS0_20block_scan_algorithmE0ELj4294967295EEENS1_25partition_config_selectorILNS1_17partition_subalgoE4EjNS0_10empty_typeEbEEZZNS1_14partition_implILS8_4ELb0ES6_15HIP_vector_typeIjLj2EENS0_17counting_iteratorIjlEEPS9_SG_NS0_5tupleIJPjSI_NS0_16reverse_iteratorISI_EEEEENSH_IJSG_SG_SG_EEES9_SI_JZNS1_25segmented_radix_sort_implINS0_14default_configELb0EPK6__halfPSP_PKlPlN2at6native12_GLOBAL__N_18offset_tEEE10hipError_tPvRmT1_PNSt15iterator_traitsIS13_E10value_typeET2_T3_PNS14_IS19_E10value_typeET4_jRbjT5_S1F_jjP12ihipStream_tbEUljE_ZNSN_ISO_Lb0ESR_SS_SU_SV_SZ_EES10_S11_S12_S13_S17_S18_S19_S1C_S1D_jS1E_jS1F_S1F_jjS1H_bEUljE0_EEES10_S11_S12_S19_S1D_S1F_T6_T7_T9_mT8_S1H_bDpT10_ENKUlT_T0_E_clISt17integral_constantIbLb1EES1V_EEDaS1Q_S1R_EUlS1Q_E_NS1_11comp_targetILNS1_3genE10ELNS1_11target_archE1200ELNS1_3gpuE4ELNS1_3repE0EEENS1_30default_config_static_selectorELNS0_4arch9wavefront6targetE0EEEvS13_
    .private_segment_fixed_size: 0
    .sgpr_count:     0
    .sgpr_spill_count: 0
    .symbol:         _ZN7rocprim17ROCPRIM_400000_NS6detail17trampoline_kernelINS0_13select_configILj256ELj13ELNS0_17block_load_methodE3ELS4_3ELS4_3ELNS0_20block_scan_algorithmE0ELj4294967295EEENS1_25partition_config_selectorILNS1_17partition_subalgoE4EjNS0_10empty_typeEbEEZZNS1_14partition_implILS8_4ELb0ES6_15HIP_vector_typeIjLj2EENS0_17counting_iteratorIjlEEPS9_SG_NS0_5tupleIJPjSI_NS0_16reverse_iteratorISI_EEEEENSH_IJSG_SG_SG_EEES9_SI_JZNS1_25segmented_radix_sort_implINS0_14default_configELb0EPK6__halfPSP_PKlPlN2at6native12_GLOBAL__N_18offset_tEEE10hipError_tPvRmT1_PNSt15iterator_traitsIS13_E10value_typeET2_T3_PNS14_IS19_E10value_typeET4_jRbjT5_S1F_jjP12ihipStream_tbEUljE_ZNSN_ISO_Lb0ESR_SS_SU_SV_SZ_EES10_S11_S12_S13_S17_S18_S19_S1C_S1D_jS1E_jS1F_S1F_jjS1H_bEUljE0_EEES10_S11_S12_S19_S1D_S1F_T6_T7_T9_mT8_S1H_bDpT10_ENKUlT_T0_E_clISt17integral_constantIbLb1EES1V_EEDaS1Q_S1R_EUlS1Q_E_NS1_11comp_targetILNS1_3genE10ELNS1_11target_archE1200ELNS1_3gpuE4ELNS1_3repE0EEENS1_30default_config_static_selectorELNS0_4arch9wavefront6targetE0EEEvS13_.kd
    .uniform_work_group_size: 1
    .uses_dynamic_stack: false
    .vgpr_count:     0
    .vgpr_spill_count: 0
    .wavefront_size: 32
    .workgroup_processor_mode: 1
  - .args:
      - .offset:         0
        .size:           184
        .value_kind:     by_value
    .group_segment_fixed_size: 13340
    .kernarg_segment_align: 8
    .kernarg_segment_size: 184
    .language:       OpenCL C
    .language_version:
      - 2
      - 0
    .max_flat_workgroup_size: 256
    .name:           _ZN7rocprim17ROCPRIM_400000_NS6detail17trampoline_kernelINS0_13select_configILj256ELj13ELNS0_17block_load_methodE3ELS4_3ELS4_3ELNS0_20block_scan_algorithmE0ELj4294967295EEENS1_25partition_config_selectorILNS1_17partition_subalgoE4EjNS0_10empty_typeEbEEZZNS1_14partition_implILS8_4ELb0ES6_15HIP_vector_typeIjLj2EENS0_17counting_iteratorIjlEEPS9_SG_NS0_5tupleIJPjSI_NS0_16reverse_iteratorISI_EEEEENSH_IJSG_SG_SG_EEES9_SI_JZNS1_25segmented_radix_sort_implINS0_14default_configELb0EPK6__halfPSP_PKlPlN2at6native12_GLOBAL__N_18offset_tEEE10hipError_tPvRmT1_PNSt15iterator_traitsIS13_E10value_typeET2_T3_PNS14_IS19_E10value_typeET4_jRbjT5_S1F_jjP12ihipStream_tbEUljE_ZNSN_ISO_Lb0ESR_SS_SU_SV_SZ_EES10_S11_S12_S13_S17_S18_S19_S1C_S1D_jS1E_jS1F_S1F_jjS1H_bEUljE0_EEES10_S11_S12_S19_S1D_S1F_T6_T7_T9_mT8_S1H_bDpT10_ENKUlT_T0_E_clISt17integral_constantIbLb1EES1V_EEDaS1Q_S1R_EUlS1Q_E_NS1_11comp_targetILNS1_3genE9ELNS1_11target_archE1100ELNS1_3gpuE3ELNS1_3repE0EEENS1_30default_config_static_selectorELNS0_4arch9wavefront6targetE0EEEvS13_
    .private_segment_fixed_size: 0
    .sgpr_count:     57
    .sgpr_spill_count: 0
    .symbol:         _ZN7rocprim17ROCPRIM_400000_NS6detail17trampoline_kernelINS0_13select_configILj256ELj13ELNS0_17block_load_methodE3ELS4_3ELS4_3ELNS0_20block_scan_algorithmE0ELj4294967295EEENS1_25partition_config_selectorILNS1_17partition_subalgoE4EjNS0_10empty_typeEbEEZZNS1_14partition_implILS8_4ELb0ES6_15HIP_vector_typeIjLj2EENS0_17counting_iteratorIjlEEPS9_SG_NS0_5tupleIJPjSI_NS0_16reverse_iteratorISI_EEEEENSH_IJSG_SG_SG_EEES9_SI_JZNS1_25segmented_radix_sort_implINS0_14default_configELb0EPK6__halfPSP_PKlPlN2at6native12_GLOBAL__N_18offset_tEEE10hipError_tPvRmT1_PNSt15iterator_traitsIS13_E10value_typeET2_T3_PNS14_IS19_E10value_typeET4_jRbjT5_S1F_jjP12ihipStream_tbEUljE_ZNSN_ISO_Lb0ESR_SS_SU_SV_SZ_EES10_S11_S12_S13_S17_S18_S19_S1C_S1D_jS1E_jS1F_S1F_jjS1H_bEUljE0_EEES10_S11_S12_S19_S1D_S1F_T6_T7_T9_mT8_S1H_bDpT10_ENKUlT_T0_E_clISt17integral_constantIbLb1EES1V_EEDaS1Q_S1R_EUlS1Q_E_NS1_11comp_targetILNS1_3genE9ELNS1_11target_archE1100ELNS1_3gpuE3ELNS1_3repE0EEENS1_30default_config_static_selectorELNS0_4arch9wavefront6targetE0EEEvS13_.kd
    .uniform_work_group_size: 1
    .uses_dynamic_stack: false
    .vgpr_count:     103
    .vgpr_spill_count: 0
    .wavefront_size: 32
    .workgroup_processor_mode: 1
  - .args:
      - .offset:         0
        .size:           184
        .value_kind:     by_value
    .group_segment_fixed_size: 0
    .kernarg_segment_align: 8
    .kernarg_segment_size: 184
    .language:       OpenCL C
    .language_version:
      - 2
      - 0
    .max_flat_workgroup_size: 256
    .name:           _ZN7rocprim17ROCPRIM_400000_NS6detail17trampoline_kernelINS0_13select_configILj256ELj13ELNS0_17block_load_methodE3ELS4_3ELS4_3ELNS0_20block_scan_algorithmE0ELj4294967295EEENS1_25partition_config_selectorILNS1_17partition_subalgoE4EjNS0_10empty_typeEbEEZZNS1_14partition_implILS8_4ELb0ES6_15HIP_vector_typeIjLj2EENS0_17counting_iteratorIjlEEPS9_SG_NS0_5tupleIJPjSI_NS0_16reverse_iteratorISI_EEEEENSH_IJSG_SG_SG_EEES9_SI_JZNS1_25segmented_radix_sort_implINS0_14default_configELb0EPK6__halfPSP_PKlPlN2at6native12_GLOBAL__N_18offset_tEEE10hipError_tPvRmT1_PNSt15iterator_traitsIS13_E10value_typeET2_T3_PNS14_IS19_E10value_typeET4_jRbjT5_S1F_jjP12ihipStream_tbEUljE_ZNSN_ISO_Lb0ESR_SS_SU_SV_SZ_EES10_S11_S12_S13_S17_S18_S19_S1C_S1D_jS1E_jS1F_S1F_jjS1H_bEUljE0_EEES10_S11_S12_S19_S1D_S1F_T6_T7_T9_mT8_S1H_bDpT10_ENKUlT_T0_E_clISt17integral_constantIbLb1EES1V_EEDaS1Q_S1R_EUlS1Q_E_NS1_11comp_targetILNS1_3genE8ELNS1_11target_archE1030ELNS1_3gpuE2ELNS1_3repE0EEENS1_30default_config_static_selectorELNS0_4arch9wavefront6targetE0EEEvS13_
    .private_segment_fixed_size: 0
    .sgpr_count:     0
    .sgpr_spill_count: 0
    .symbol:         _ZN7rocprim17ROCPRIM_400000_NS6detail17trampoline_kernelINS0_13select_configILj256ELj13ELNS0_17block_load_methodE3ELS4_3ELS4_3ELNS0_20block_scan_algorithmE0ELj4294967295EEENS1_25partition_config_selectorILNS1_17partition_subalgoE4EjNS0_10empty_typeEbEEZZNS1_14partition_implILS8_4ELb0ES6_15HIP_vector_typeIjLj2EENS0_17counting_iteratorIjlEEPS9_SG_NS0_5tupleIJPjSI_NS0_16reverse_iteratorISI_EEEEENSH_IJSG_SG_SG_EEES9_SI_JZNS1_25segmented_radix_sort_implINS0_14default_configELb0EPK6__halfPSP_PKlPlN2at6native12_GLOBAL__N_18offset_tEEE10hipError_tPvRmT1_PNSt15iterator_traitsIS13_E10value_typeET2_T3_PNS14_IS19_E10value_typeET4_jRbjT5_S1F_jjP12ihipStream_tbEUljE_ZNSN_ISO_Lb0ESR_SS_SU_SV_SZ_EES10_S11_S12_S13_S17_S18_S19_S1C_S1D_jS1E_jS1F_S1F_jjS1H_bEUljE0_EEES10_S11_S12_S19_S1D_S1F_T6_T7_T9_mT8_S1H_bDpT10_ENKUlT_T0_E_clISt17integral_constantIbLb1EES1V_EEDaS1Q_S1R_EUlS1Q_E_NS1_11comp_targetILNS1_3genE8ELNS1_11target_archE1030ELNS1_3gpuE2ELNS1_3repE0EEENS1_30default_config_static_selectorELNS0_4arch9wavefront6targetE0EEEvS13_.kd
    .uniform_work_group_size: 1
    .uses_dynamic_stack: false
    .vgpr_count:     0
    .vgpr_spill_count: 0
    .wavefront_size: 32
    .workgroup_processor_mode: 1
  - .args:
      - .offset:         0
        .size:           176
        .value_kind:     by_value
    .group_segment_fixed_size: 0
    .kernarg_segment_align: 8
    .kernarg_segment_size: 176
    .language:       OpenCL C
    .language_version:
      - 2
      - 0
    .max_flat_workgroup_size: 256
    .name:           _ZN7rocprim17ROCPRIM_400000_NS6detail17trampoline_kernelINS0_13select_configILj256ELj13ELNS0_17block_load_methodE3ELS4_3ELS4_3ELNS0_20block_scan_algorithmE0ELj4294967295EEENS1_25partition_config_selectorILNS1_17partition_subalgoE4EjNS0_10empty_typeEbEEZZNS1_14partition_implILS8_4ELb0ES6_15HIP_vector_typeIjLj2EENS0_17counting_iteratorIjlEEPS9_SG_NS0_5tupleIJPjSI_NS0_16reverse_iteratorISI_EEEEENSH_IJSG_SG_SG_EEES9_SI_JZNS1_25segmented_radix_sort_implINS0_14default_configELb0EPK6__halfPSP_PKlPlN2at6native12_GLOBAL__N_18offset_tEEE10hipError_tPvRmT1_PNSt15iterator_traitsIS13_E10value_typeET2_T3_PNS14_IS19_E10value_typeET4_jRbjT5_S1F_jjP12ihipStream_tbEUljE_ZNSN_ISO_Lb0ESR_SS_SU_SV_SZ_EES10_S11_S12_S13_S17_S18_S19_S1C_S1D_jS1E_jS1F_S1F_jjS1H_bEUljE0_EEES10_S11_S12_S19_S1D_S1F_T6_T7_T9_mT8_S1H_bDpT10_ENKUlT_T0_E_clISt17integral_constantIbLb1EES1U_IbLb0EEEEDaS1Q_S1R_EUlS1Q_E_NS1_11comp_targetILNS1_3genE0ELNS1_11target_archE4294967295ELNS1_3gpuE0ELNS1_3repE0EEENS1_30default_config_static_selectorELNS0_4arch9wavefront6targetE0EEEvS13_
    .private_segment_fixed_size: 0
    .sgpr_count:     0
    .sgpr_spill_count: 0
    .symbol:         _ZN7rocprim17ROCPRIM_400000_NS6detail17trampoline_kernelINS0_13select_configILj256ELj13ELNS0_17block_load_methodE3ELS4_3ELS4_3ELNS0_20block_scan_algorithmE0ELj4294967295EEENS1_25partition_config_selectorILNS1_17partition_subalgoE4EjNS0_10empty_typeEbEEZZNS1_14partition_implILS8_4ELb0ES6_15HIP_vector_typeIjLj2EENS0_17counting_iteratorIjlEEPS9_SG_NS0_5tupleIJPjSI_NS0_16reverse_iteratorISI_EEEEENSH_IJSG_SG_SG_EEES9_SI_JZNS1_25segmented_radix_sort_implINS0_14default_configELb0EPK6__halfPSP_PKlPlN2at6native12_GLOBAL__N_18offset_tEEE10hipError_tPvRmT1_PNSt15iterator_traitsIS13_E10value_typeET2_T3_PNS14_IS19_E10value_typeET4_jRbjT5_S1F_jjP12ihipStream_tbEUljE_ZNSN_ISO_Lb0ESR_SS_SU_SV_SZ_EES10_S11_S12_S13_S17_S18_S19_S1C_S1D_jS1E_jS1F_S1F_jjS1H_bEUljE0_EEES10_S11_S12_S19_S1D_S1F_T6_T7_T9_mT8_S1H_bDpT10_ENKUlT_T0_E_clISt17integral_constantIbLb1EES1U_IbLb0EEEEDaS1Q_S1R_EUlS1Q_E_NS1_11comp_targetILNS1_3genE0ELNS1_11target_archE4294967295ELNS1_3gpuE0ELNS1_3repE0EEENS1_30default_config_static_selectorELNS0_4arch9wavefront6targetE0EEEvS13_.kd
    .uniform_work_group_size: 1
    .uses_dynamic_stack: false
    .vgpr_count:     0
    .vgpr_spill_count: 0
    .wavefront_size: 32
    .workgroup_processor_mode: 1
  - .args:
      - .offset:         0
        .size:           176
        .value_kind:     by_value
    .group_segment_fixed_size: 0
    .kernarg_segment_align: 8
    .kernarg_segment_size: 176
    .language:       OpenCL C
    .language_version:
      - 2
      - 0
    .max_flat_workgroup_size: 256
    .name:           _ZN7rocprim17ROCPRIM_400000_NS6detail17trampoline_kernelINS0_13select_configILj256ELj13ELNS0_17block_load_methodE3ELS4_3ELS4_3ELNS0_20block_scan_algorithmE0ELj4294967295EEENS1_25partition_config_selectorILNS1_17partition_subalgoE4EjNS0_10empty_typeEbEEZZNS1_14partition_implILS8_4ELb0ES6_15HIP_vector_typeIjLj2EENS0_17counting_iteratorIjlEEPS9_SG_NS0_5tupleIJPjSI_NS0_16reverse_iteratorISI_EEEEENSH_IJSG_SG_SG_EEES9_SI_JZNS1_25segmented_radix_sort_implINS0_14default_configELb0EPK6__halfPSP_PKlPlN2at6native12_GLOBAL__N_18offset_tEEE10hipError_tPvRmT1_PNSt15iterator_traitsIS13_E10value_typeET2_T3_PNS14_IS19_E10value_typeET4_jRbjT5_S1F_jjP12ihipStream_tbEUljE_ZNSN_ISO_Lb0ESR_SS_SU_SV_SZ_EES10_S11_S12_S13_S17_S18_S19_S1C_S1D_jS1E_jS1F_S1F_jjS1H_bEUljE0_EEES10_S11_S12_S19_S1D_S1F_T6_T7_T9_mT8_S1H_bDpT10_ENKUlT_T0_E_clISt17integral_constantIbLb1EES1U_IbLb0EEEEDaS1Q_S1R_EUlS1Q_E_NS1_11comp_targetILNS1_3genE5ELNS1_11target_archE942ELNS1_3gpuE9ELNS1_3repE0EEENS1_30default_config_static_selectorELNS0_4arch9wavefront6targetE0EEEvS13_
    .private_segment_fixed_size: 0
    .sgpr_count:     0
    .sgpr_spill_count: 0
    .symbol:         _ZN7rocprim17ROCPRIM_400000_NS6detail17trampoline_kernelINS0_13select_configILj256ELj13ELNS0_17block_load_methodE3ELS4_3ELS4_3ELNS0_20block_scan_algorithmE0ELj4294967295EEENS1_25partition_config_selectorILNS1_17partition_subalgoE4EjNS0_10empty_typeEbEEZZNS1_14partition_implILS8_4ELb0ES6_15HIP_vector_typeIjLj2EENS0_17counting_iteratorIjlEEPS9_SG_NS0_5tupleIJPjSI_NS0_16reverse_iteratorISI_EEEEENSH_IJSG_SG_SG_EEES9_SI_JZNS1_25segmented_radix_sort_implINS0_14default_configELb0EPK6__halfPSP_PKlPlN2at6native12_GLOBAL__N_18offset_tEEE10hipError_tPvRmT1_PNSt15iterator_traitsIS13_E10value_typeET2_T3_PNS14_IS19_E10value_typeET4_jRbjT5_S1F_jjP12ihipStream_tbEUljE_ZNSN_ISO_Lb0ESR_SS_SU_SV_SZ_EES10_S11_S12_S13_S17_S18_S19_S1C_S1D_jS1E_jS1F_S1F_jjS1H_bEUljE0_EEES10_S11_S12_S19_S1D_S1F_T6_T7_T9_mT8_S1H_bDpT10_ENKUlT_T0_E_clISt17integral_constantIbLb1EES1U_IbLb0EEEEDaS1Q_S1R_EUlS1Q_E_NS1_11comp_targetILNS1_3genE5ELNS1_11target_archE942ELNS1_3gpuE9ELNS1_3repE0EEENS1_30default_config_static_selectorELNS0_4arch9wavefront6targetE0EEEvS13_.kd
    .uniform_work_group_size: 1
    .uses_dynamic_stack: false
    .vgpr_count:     0
    .vgpr_spill_count: 0
    .wavefront_size: 32
    .workgroup_processor_mode: 1
  - .args:
      - .offset:         0
        .size:           176
        .value_kind:     by_value
    .group_segment_fixed_size: 0
    .kernarg_segment_align: 8
    .kernarg_segment_size: 176
    .language:       OpenCL C
    .language_version:
      - 2
      - 0
    .max_flat_workgroup_size: 256
    .name:           _ZN7rocprim17ROCPRIM_400000_NS6detail17trampoline_kernelINS0_13select_configILj256ELj13ELNS0_17block_load_methodE3ELS4_3ELS4_3ELNS0_20block_scan_algorithmE0ELj4294967295EEENS1_25partition_config_selectorILNS1_17partition_subalgoE4EjNS0_10empty_typeEbEEZZNS1_14partition_implILS8_4ELb0ES6_15HIP_vector_typeIjLj2EENS0_17counting_iteratorIjlEEPS9_SG_NS0_5tupleIJPjSI_NS0_16reverse_iteratorISI_EEEEENSH_IJSG_SG_SG_EEES9_SI_JZNS1_25segmented_radix_sort_implINS0_14default_configELb0EPK6__halfPSP_PKlPlN2at6native12_GLOBAL__N_18offset_tEEE10hipError_tPvRmT1_PNSt15iterator_traitsIS13_E10value_typeET2_T3_PNS14_IS19_E10value_typeET4_jRbjT5_S1F_jjP12ihipStream_tbEUljE_ZNSN_ISO_Lb0ESR_SS_SU_SV_SZ_EES10_S11_S12_S13_S17_S18_S19_S1C_S1D_jS1E_jS1F_S1F_jjS1H_bEUljE0_EEES10_S11_S12_S19_S1D_S1F_T6_T7_T9_mT8_S1H_bDpT10_ENKUlT_T0_E_clISt17integral_constantIbLb1EES1U_IbLb0EEEEDaS1Q_S1R_EUlS1Q_E_NS1_11comp_targetILNS1_3genE4ELNS1_11target_archE910ELNS1_3gpuE8ELNS1_3repE0EEENS1_30default_config_static_selectorELNS0_4arch9wavefront6targetE0EEEvS13_
    .private_segment_fixed_size: 0
    .sgpr_count:     0
    .sgpr_spill_count: 0
    .symbol:         _ZN7rocprim17ROCPRIM_400000_NS6detail17trampoline_kernelINS0_13select_configILj256ELj13ELNS0_17block_load_methodE3ELS4_3ELS4_3ELNS0_20block_scan_algorithmE0ELj4294967295EEENS1_25partition_config_selectorILNS1_17partition_subalgoE4EjNS0_10empty_typeEbEEZZNS1_14partition_implILS8_4ELb0ES6_15HIP_vector_typeIjLj2EENS0_17counting_iteratorIjlEEPS9_SG_NS0_5tupleIJPjSI_NS0_16reverse_iteratorISI_EEEEENSH_IJSG_SG_SG_EEES9_SI_JZNS1_25segmented_radix_sort_implINS0_14default_configELb0EPK6__halfPSP_PKlPlN2at6native12_GLOBAL__N_18offset_tEEE10hipError_tPvRmT1_PNSt15iterator_traitsIS13_E10value_typeET2_T3_PNS14_IS19_E10value_typeET4_jRbjT5_S1F_jjP12ihipStream_tbEUljE_ZNSN_ISO_Lb0ESR_SS_SU_SV_SZ_EES10_S11_S12_S13_S17_S18_S19_S1C_S1D_jS1E_jS1F_S1F_jjS1H_bEUljE0_EEES10_S11_S12_S19_S1D_S1F_T6_T7_T9_mT8_S1H_bDpT10_ENKUlT_T0_E_clISt17integral_constantIbLb1EES1U_IbLb0EEEEDaS1Q_S1R_EUlS1Q_E_NS1_11comp_targetILNS1_3genE4ELNS1_11target_archE910ELNS1_3gpuE8ELNS1_3repE0EEENS1_30default_config_static_selectorELNS0_4arch9wavefront6targetE0EEEvS13_.kd
    .uniform_work_group_size: 1
    .uses_dynamic_stack: false
    .vgpr_count:     0
    .vgpr_spill_count: 0
    .wavefront_size: 32
    .workgroup_processor_mode: 1
  - .args:
      - .offset:         0
        .size:           176
        .value_kind:     by_value
    .group_segment_fixed_size: 0
    .kernarg_segment_align: 8
    .kernarg_segment_size: 176
    .language:       OpenCL C
    .language_version:
      - 2
      - 0
    .max_flat_workgroup_size: 256
    .name:           _ZN7rocprim17ROCPRIM_400000_NS6detail17trampoline_kernelINS0_13select_configILj256ELj13ELNS0_17block_load_methodE3ELS4_3ELS4_3ELNS0_20block_scan_algorithmE0ELj4294967295EEENS1_25partition_config_selectorILNS1_17partition_subalgoE4EjNS0_10empty_typeEbEEZZNS1_14partition_implILS8_4ELb0ES6_15HIP_vector_typeIjLj2EENS0_17counting_iteratorIjlEEPS9_SG_NS0_5tupleIJPjSI_NS0_16reverse_iteratorISI_EEEEENSH_IJSG_SG_SG_EEES9_SI_JZNS1_25segmented_radix_sort_implINS0_14default_configELb0EPK6__halfPSP_PKlPlN2at6native12_GLOBAL__N_18offset_tEEE10hipError_tPvRmT1_PNSt15iterator_traitsIS13_E10value_typeET2_T3_PNS14_IS19_E10value_typeET4_jRbjT5_S1F_jjP12ihipStream_tbEUljE_ZNSN_ISO_Lb0ESR_SS_SU_SV_SZ_EES10_S11_S12_S13_S17_S18_S19_S1C_S1D_jS1E_jS1F_S1F_jjS1H_bEUljE0_EEES10_S11_S12_S19_S1D_S1F_T6_T7_T9_mT8_S1H_bDpT10_ENKUlT_T0_E_clISt17integral_constantIbLb1EES1U_IbLb0EEEEDaS1Q_S1R_EUlS1Q_E_NS1_11comp_targetILNS1_3genE3ELNS1_11target_archE908ELNS1_3gpuE7ELNS1_3repE0EEENS1_30default_config_static_selectorELNS0_4arch9wavefront6targetE0EEEvS13_
    .private_segment_fixed_size: 0
    .sgpr_count:     0
    .sgpr_spill_count: 0
    .symbol:         _ZN7rocprim17ROCPRIM_400000_NS6detail17trampoline_kernelINS0_13select_configILj256ELj13ELNS0_17block_load_methodE3ELS4_3ELS4_3ELNS0_20block_scan_algorithmE0ELj4294967295EEENS1_25partition_config_selectorILNS1_17partition_subalgoE4EjNS0_10empty_typeEbEEZZNS1_14partition_implILS8_4ELb0ES6_15HIP_vector_typeIjLj2EENS0_17counting_iteratorIjlEEPS9_SG_NS0_5tupleIJPjSI_NS0_16reverse_iteratorISI_EEEEENSH_IJSG_SG_SG_EEES9_SI_JZNS1_25segmented_radix_sort_implINS0_14default_configELb0EPK6__halfPSP_PKlPlN2at6native12_GLOBAL__N_18offset_tEEE10hipError_tPvRmT1_PNSt15iterator_traitsIS13_E10value_typeET2_T3_PNS14_IS19_E10value_typeET4_jRbjT5_S1F_jjP12ihipStream_tbEUljE_ZNSN_ISO_Lb0ESR_SS_SU_SV_SZ_EES10_S11_S12_S13_S17_S18_S19_S1C_S1D_jS1E_jS1F_S1F_jjS1H_bEUljE0_EEES10_S11_S12_S19_S1D_S1F_T6_T7_T9_mT8_S1H_bDpT10_ENKUlT_T0_E_clISt17integral_constantIbLb1EES1U_IbLb0EEEEDaS1Q_S1R_EUlS1Q_E_NS1_11comp_targetILNS1_3genE3ELNS1_11target_archE908ELNS1_3gpuE7ELNS1_3repE0EEENS1_30default_config_static_selectorELNS0_4arch9wavefront6targetE0EEEvS13_.kd
    .uniform_work_group_size: 1
    .uses_dynamic_stack: false
    .vgpr_count:     0
    .vgpr_spill_count: 0
    .wavefront_size: 32
    .workgroup_processor_mode: 1
  - .args:
      - .offset:         0
        .size:           176
        .value_kind:     by_value
    .group_segment_fixed_size: 0
    .kernarg_segment_align: 8
    .kernarg_segment_size: 176
    .language:       OpenCL C
    .language_version:
      - 2
      - 0
    .max_flat_workgroup_size: 256
    .name:           _ZN7rocprim17ROCPRIM_400000_NS6detail17trampoline_kernelINS0_13select_configILj256ELj13ELNS0_17block_load_methodE3ELS4_3ELS4_3ELNS0_20block_scan_algorithmE0ELj4294967295EEENS1_25partition_config_selectorILNS1_17partition_subalgoE4EjNS0_10empty_typeEbEEZZNS1_14partition_implILS8_4ELb0ES6_15HIP_vector_typeIjLj2EENS0_17counting_iteratorIjlEEPS9_SG_NS0_5tupleIJPjSI_NS0_16reverse_iteratorISI_EEEEENSH_IJSG_SG_SG_EEES9_SI_JZNS1_25segmented_radix_sort_implINS0_14default_configELb0EPK6__halfPSP_PKlPlN2at6native12_GLOBAL__N_18offset_tEEE10hipError_tPvRmT1_PNSt15iterator_traitsIS13_E10value_typeET2_T3_PNS14_IS19_E10value_typeET4_jRbjT5_S1F_jjP12ihipStream_tbEUljE_ZNSN_ISO_Lb0ESR_SS_SU_SV_SZ_EES10_S11_S12_S13_S17_S18_S19_S1C_S1D_jS1E_jS1F_S1F_jjS1H_bEUljE0_EEES10_S11_S12_S19_S1D_S1F_T6_T7_T9_mT8_S1H_bDpT10_ENKUlT_T0_E_clISt17integral_constantIbLb1EES1U_IbLb0EEEEDaS1Q_S1R_EUlS1Q_E_NS1_11comp_targetILNS1_3genE2ELNS1_11target_archE906ELNS1_3gpuE6ELNS1_3repE0EEENS1_30default_config_static_selectorELNS0_4arch9wavefront6targetE0EEEvS13_
    .private_segment_fixed_size: 0
    .sgpr_count:     0
    .sgpr_spill_count: 0
    .symbol:         _ZN7rocprim17ROCPRIM_400000_NS6detail17trampoline_kernelINS0_13select_configILj256ELj13ELNS0_17block_load_methodE3ELS4_3ELS4_3ELNS0_20block_scan_algorithmE0ELj4294967295EEENS1_25partition_config_selectorILNS1_17partition_subalgoE4EjNS0_10empty_typeEbEEZZNS1_14partition_implILS8_4ELb0ES6_15HIP_vector_typeIjLj2EENS0_17counting_iteratorIjlEEPS9_SG_NS0_5tupleIJPjSI_NS0_16reverse_iteratorISI_EEEEENSH_IJSG_SG_SG_EEES9_SI_JZNS1_25segmented_radix_sort_implINS0_14default_configELb0EPK6__halfPSP_PKlPlN2at6native12_GLOBAL__N_18offset_tEEE10hipError_tPvRmT1_PNSt15iterator_traitsIS13_E10value_typeET2_T3_PNS14_IS19_E10value_typeET4_jRbjT5_S1F_jjP12ihipStream_tbEUljE_ZNSN_ISO_Lb0ESR_SS_SU_SV_SZ_EES10_S11_S12_S13_S17_S18_S19_S1C_S1D_jS1E_jS1F_S1F_jjS1H_bEUljE0_EEES10_S11_S12_S19_S1D_S1F_T6_T7_T9_mT8_S1H_bDpT10_ENKUlT_T0_E_clISt17integral_constantIbLb1EES1U_IbLb0EEEEDaS1Q_S1R_EUlS1Q_E_NS1_11comp_targetILNS1_3genE2ELNS1_11target_archE906ELNS1_3gpuE6ELNS1_3repE0EEENS1_30default_config_static_selectorELNS0_4arch9wavefront6targetE0EEEvS13_.kd
    .uniform_work_group_size: 1
    .uses_dynamic_stack: false
    .vgpr_count:     0
    .vgpr_spill_count: 0
    .wavefront_size: 32
    .workgroup_processor_mode: 1
  - .args:
      - .offset:         0
        .size:           176
        .value_kind:     by_value
    .group_segment_fixed_size: 0
    .kernarg_segment_align: 8
    .kernarg_segment_size: 176
    .language:       OpenCL C
    .language_version:
      - 2
      - 0
    .max_flat_workgroup_size: 256
    .name:           _ZN7rocprim17ROCPRIM_400000_NS6detail17trampoline_kernelINS0_13select_configILj256ELj13ELNS0_17block_load_methodE3ELS4_3ELS4_3ELNS0_20block_scan_algorithmE0ELj4294967295EEENS1_25partition_config_selectorILNS1_17partition_subalgoE4EjNS0_10empty_typeEbEEZZNS1_14partition_implILS8_4ELb0ES6_15HIP_vector_typeIjLj2EENS0_17counting_iteratorIjlEEPS9_SG_NS0_5tupleIJPjSI_NS0_16reverse_iteratorISI_EEEEENSH_IJSG_SG_SG_EEES9_SI_JZNS1_25segmented_radix_sort_implINS0_14default_configELb0EPK6__halfPSP_PKlPlN2at6native12_GLOBAL__N_18offset_tEEE10hipError_tPvRmT1_PNSt15iterator_traitsIS13_E10value_typeET2_T3_PNS14_IS19_E10value_typeET4_jRbjT5_S1F_jjP12ihipStream_tbEUljE_ZNSN_ISO_Lb0ESR_SS_SU_SV_SZ_EES10_S11_S12_S13_S17_S18_S19_S1C_S1D_jS1E_jS1F_S1F_jjS1H_bEUljE0_EEES10_S11_S12_S19_S1D_S1F_T6_T7_T9_mT8_S1H_bDpT10_ENKUlT_T0_E_clISt17integral_constantIbLb1EES1U_IbLb0EEEEDaS1Q_S1R_EUlS1Q_E_NS1_11comp_targetILNS1_3genE10ELNS1_11target_archE1200ELNS1_3gpuE4ELNS1_3repE0EEENS1_30default_config_static_selectorELNS0_4arch9wavefront6targetE0EEEvS13_
    .private_segment_fixed_size: 0
    .sgpr_count:     0
    .sgpr_spill_count: 0
    .symbol:         _ZN7rocprim17ROCPRIM_400000_NS6detail17trampoline_kernelINS0_13select_configILj256ELj13ELNS0_17block_load_methodE3ELS4_3ELS4_3ELNS0_20block_scan_algorithmE0ELj4294967295EEENS1_25partition_config_selectorILNS1_17partition_subalgoE4EjNS0_10empty_typeEbEEZZNS1_14partition_implILS8_4ELb0ES6_15HIP_vector_typeIjLj2EENS0_17counting_iteratorIjlEEPS9_SG_NS0_5tupleIJPjSI_NS0_16reverse_iteratorISI_EEEEENSH_IJSG_SG_SG_EEES9_SI_JZNS1_25segmented_radix_sort_implINS0_14default_configELb0EPK6__halfPSP_PKlPlN2at6native12_GLOBAL__N_18offset_tEEE10hipError_tPvRmT1_PNSt15iterator_traitsIS13_E10value_typeET2_T3_PNS14_IS19_E10value_typeET4_jRbjT5_S1F_jjP12ihipStream_tbEUljE_ZNSN_ISO_Lb0ESR_SS_SU_SV_SZ_EES10_S11_S12_S13_S17_S18_S19_S1C_S1D_jS1E_jS1F_S1F_jjS1H_bEUljE0_EEES10_S11_S12_S19_S1D_S1F_T6_T7_T9_mT8_S1H_bDpT10_ENKUlT_T0_E_clISt17integral_constantIbLb1EES1U_IbLb0EEEEDaS1Q_S1R_EUlS1Q_E_NS1_11comp_targetILNS1_3genE10ELNS1_11target_archE1200ELNS1_3gpuE4ELNS1_3repE0EEENS1_30default_config_static_selectorELNS0_4arch9wavefront6targetE0EEEvS13_.kd
    .uniform_work_group_size: 1
    .uses_dynamic_stack: false
    .vgpr_count:     0
    .vgpr_spill_count: 0
    .wavefront_size: 32
    .workgroup_processor_mode: 1
  - .args:
      - .offset:         0
        .size:           176
        .value_kind:     by_value
    .group_segment_fixed_size: 13340
    .kernarg_segment_align: 8
    .kernarg_segment_size: 176
    .language:       OpenCL C
    .language_version:
      - 2
      - 0
    .max_flat_workgroup_size: 256
    .name:           _ZN7rocprim17ROCPRIM_400000_NS6detail17trampoline_kernelINS0_13select_configILj256ELj13ELNS0_17block_load_methodE3ELS4_3ELS4_3ELNS0_20block_scan_algorithmE0ELj4294967295EEENS1_25partition_config_selectorILNS1_17partition_subalgoE4EjNS0_10empty_typeEbEEZZNS1_14partition_implILS8_4ELb0ES6_15HIP_vector_typeIjLj2EENS0_17counting_iteratorIjlEEPS9_SG_NS0_5tupleIJPjSI_NS0_16reverse_iteratorISI_EEEEENSH_IJSG_SG_SG_EEES9_SI_JZNS1_25segmented_radix_sort_implINS0_14default_configELb0EPK6__halfPSP_PKlPlN2at6native12_GLOBAL__N_18offset_tEEE10hipError_tPvRmT1_PNSt15iterator_traitsIS13_E10value_typeET2_T3_PNS14_IS19_E10value_typeET4_jRbjT5_S1F_jjP12ihipStream_tbEUljE_ZNSN_ISO_Lb0ESR_SS_SU_SV_SZ_EES10_S11_S12_S13_S17_S18_S19_S1C_S1D_jS1E_jS1F_S1F_jjS1H_bEUljE0_EEES10_S11_S12_S19_S1D_S1F_T6_T7_T9_mT8_S1H_bDpT10_ENKUlT_T0_E_clISt17integral_constantIbLb1EES1U_IbLb0EEEEDaS1Q_S1R_EUlS1Q_E_NS1_11comp_targetILNS1_3genE9ELNS1_11target_archE1100ELNS1_3gpuE3ELNS1_3repE0EEENS1_30default_config_static_selectorELNS0_4arch9wavefront6targetE0EEEvS13_
    .private_segment_fixed_size: 0
    .sgpr_count:     61
    .sgpr_spill_count: 0
    .symbol:         _ZN7rocprim17ROCPRIM_400000_NS6detail17trampoline_kernelINS0_13select_configILj256ELj13ELNS0_17block_load_methodE3ELS4_3ELS4_3ELNS0_20block_scan_algorithmE0ELj4294967295EEENS1_25partition_config_selectorILNS1_17partition_subalgoE4EjNS0_10empty_typeEbEEZZNS1_14partition_implILS8_4ELb0ES6_15HIP_vector_typeIjLj2EENS0_17counting_iteratorIjlEEPS9_SG_NS0_5tupleIJPjSI_NS0_16reverse_iteratorISI_EEEEENSH_IJSG_SG_SG_EEES9_SI_JZNS1_25segmented_radix_sort_implINS0_14default_configELb0EPK6__halfPSP_PKlPlN2at6native12_GLOBAL__N_18offset_tEEE10hipError_tPvRmT1_PNSt15iterator_traitsIS13_E10value_typeET2_T3_PNS14_IS19_E10value_typeET4_jRbjT5_S1F_jjP12ihipStream_tbEUljE_ZNSN_ISO_Lb0ESR_SS_SU_SV_SZ_EES10_S11_S12_S13_S17_S18_S19_S1C_S1D_jS1E_jS1F_S1F_jjS1H_bEUljE0_EEES10_S11_S12_S19_S1D_S1F_T6_T7_T9_mT8_S1H_bDpT10_ENKUlT_T0_E_clISt17integral_constantIbLb1EES1U_IbLb0EEEEDaS1Q_S1R_EUlS1Q_E_NS1_11comp_targetILNS1_3genE9ELNS1_11target_archE1100ELNS1_3gpuE3ELNS1_3repE0EEENS1_30default_config_static_selectorELNS0_4arch9wavefront6targetE0EEEvS13_.kd
    .uniform_work_group_size: 1
    .uses_dynamic_stack: false
    .vgpr_count:     98
    .vgpr_spill_count: 0
    .wavefront_size: 32
    .workgroup_processor_mode: 1
  - .args:
      - .offset:         0
        .size:           176
        .value_kind:     by_value
    .group_segment_fixed_size: 0
    .kernarg_segment_align: 8
    .kernarg_segment_size: 176
    .language:       OpenCL C
    .language_version:
      - 2
      - 0
    .max_flat_workgroup_size: 256
    .name:           _ZN7rocprim17ROCPRIM_400000_NS6detail17trampoline_kernelINS0_13select_configILj256ELj13ELNS0_17block_load_methodE3ELS4_3ELS4_3ELNS0_20block_scan_algorithmE0ELj4294967295EEENS1_25partition_config_selectorILNS1_17partition_subalgoE4EjNS0_10empty_typeEbEEZZNS1_14partition_implILS8_4ELb0ES6_15HIP_vector_typeIjLj2EENS0_17counting_iteratorIjlEEPS9_SG_NS0_5tupleIJPjSI_NS0_16reverse_iteratorISI_EEEEENSH_IJSG_SG_SG_EEES9_SI_JZNS1_25segmented_radix_sort_implINS0_14default_configELb0EPK6__halfPSP_PKlPlN2at6native12_GLOBAL__N_18offset_tEEE10hipError_tPvRmT1_PNSt15iterator_traitsIS13_E10value_typeET2_T3_PNS14_IS19_E10value_typeET4_jRbjT5_S1F_jjP12ihipStream_tbEUljE_ZNSN_ISO_Lb0ESR_SS_SU_SV_SZ_EES10_S11_S12_S13_S17_S18_S19_S1C_S1D_jS1E_jS1F_S1F_jjS1H_bEUljE0_EEES10_S11_S12_S19_S1D_S1F_T6_T7_T9_mT8_S1H_bDpT10_ENKUlT_T0_E_clISt17integral_constantIbLb1EES1U_IbLb0EEEEDaS1Q_S1R_EUlS1Q_E_NS1_11comp_targetILNS1_3genE8ELNS1_11target_archE1030ELNS1_3gpuE2ELNS1_3repE0EEENS1_30default_config_static_selectorELNS0_4arch9wavefront6targetE0EEEvS13_
    .private_segment_fixed_size: 0
    .sgpr_count:     0
    .sgpr_spill_count: 0
    .symbol:         _ZN7rocprim17ROCPRIM_400000_NS6detail17trampoline_kernelINS0_13select_configILj256ELj13ELNS0_17block_load_methodE3ELS4_3ELS4_3ELNS0_20block_scan_algorithmE0ELj4294967295EEENS1_25partition_config_selectorILNS1_17partition_subalgoE4EjNS0_10empty_typeEbEEZZNS1_14partition_implILS8_4ELb0ES6_15HIP_vector_typeIjLj2EENS0_17counting_iteratorIjlEEPS9_SG_NS0_5tupleIJPjSI_NS0_16reverse_iteratorISI_EEEEENSH_IJSG_SG_SG_EEES9_SI_JZNS1_25segmented_radix_sort_implINS0_14default_configELb0EPK6__halfPSP_PKlPlN2at6native12_GLOBAL__N_18offset_tEEE10hipError_tPvRmT1_PNSt15iterator_traitsIS13_E10value_typeET2_T3_PNS14_IS19_E10value_typeET4_jRbjT5_S1F_jjP12ihipStream_tbEUljE_ZNSN_ISO_Lb0ESR_SS_SU_SV_SZ_EES10_S11_S12_S13_S17_S18_S19_S1C_S1D_jS1E_jS1F_S1F_jjS1H_bEUljE0_EEES10_S11_S12_S19_S1D_S1F_T6_T7_T9_mT8_S1H_bDpT10_ENKUlT_T0_E_clISt17integral_constantIbLb1EES1U_IbLb0EEEEDaS1Q_S1R_EUlS1Q_E_NS1_11comp_targetILNS1_3genE8ELNS1_11target_archE1030ELNS1_3gpuE2ELNS1_3repE0EEENS1_30default_config_static_selectorELNS0_4arch9wavefront6targetE0EEEvS13_.kd
    .uniform_work_group_size: 1
    .uses_dynamic_stack: false
    .vgpr_count:     0
    .vgpr_spill_count: 0
    .wavefront_size: 32
    .workgroup_processor_mode: 1
  - .args:
      - .offset:         0
        .size:           184
        .value_kind:     by_value
    .group_segment_fixed_size: 0
    .kernarg_segment_align: 8
    .kernarg_segment_size: 184
    .language:       OpenCL C
    .language_version:
      - 2
      - 0
    .max_flat_workgroup_size: 256
    .name:           _ZN7rocprim17ROCPRIM_400000_NS6detail17trampoline_kernelINS0_13select_configILj256ELj13ELNS0_17block_load_methodE3ELS4_3ELS4_3ELNS0_20block_scan_algorithmE0ELj4294967295EEENS1_25partition_config_selectorILNS1_17partition_subalgoE4EjNS0_10empty_typeEbEEZZNS1_14partition_implILS8_4ELb0ES6_15HIP_vector_typeIjLj2EENS0_17counting_iteratorIjlEEPS9_SG_NS0_5tupleIJPjSI_NS0_16reverse_iteratorISI_EEEEENSH_IJSG_SG_SG_EEES9_SI_JZNS1_25segmented_radix_sort_implINS0_14default_configELb0EPK6__halfPSP_PKlPlN2at6native12_GLOBAL__N_18offset_tEEE10hipError_tPvRmT1_PNSt15iterator_traitsIS13_E10value_typeET2_T3_PNS14_IS19_E10value_typeET4_jRbjT5_S1F_jjP12ihipStream_tbEUljE_ZNSN_ISO_Lb0ESR_SS_SU_SV_SZ_EES10_S11_S12_S13_S17_S18_S19_S1C_S1D_jS1E_jS1F_S1F_jjS1H_bEUljE0_EEES10_S11_S12_S19_S1D_S1F_T6_T7_T9_mT8_S1H_bDpT10_ENKUlT_T0_E_clISt17integral_constantIbLb0EES1U_IbLb1EEEEDaS1Q_S1R_EUlS1Q_E_NS1_11comp_targetILNS1_3genE0ELNS1_11target_archE4294967295ELNS1_3gpuE0ELNS1_3repE0EEENS1_30default_config_static_selectorELNS0_4arch9wavefront6targetE0EEEvS13_
    .private_segment_fixed_size: 0
    .sgpr_count:     0
    .sgpr_spill_count: 0
    .symbol:         _ZN7rocprim17ROCPRIM_400000_NS6detail17trampoline_kernelINS0_13select_configILj256ELj13ELNS0_17block_load_methodE3ELS4_3ELS4_3ELNS0_20block_scan_algorithmE0ELj4294967295EEENS1_25partition_config_selectorILNS1_17partition_subalgoE4EjNS0_10empty_typeEbEEZZNS1_14partition_implILS8_4ELb0ES6_15HIP_vector_typeIjLj2EENS0_17counting_iteratorIjlEEPS9_SG_NS0_5tupleIJPjSI_NS0_16reverse_iteratorISI_EEEEENSH_IJSG_SG_SG_EEES9_SI_JZNS1_25segmented_radix_sort_implINS0_14default_configELb0EPK6__halfPSP_PKlPlN2at6native12_GLOBAL__N_18offset_tEEE10hipError_tPvRmT1_PNSt15iterator_traitsIS13_E10value_typeET2_T3_PNS14_IS19_E10value_typeET4_jRbjT5_S1F_jjP12ihipStream_tbEUljE_ZNSN_ISO_Lb0ESR_SS_SU_SV_SZ_EES10_S11_S12_S13_S17_S18_S19_S1C_S1D_jS1E_jS1F_S1F_jjS1H_bEUljE0_EEES10_S11_S12_S19_S1D_S1F_T6_T7_T9_mT8_S1H_bDpT10_ENKUlT_T0_E_clISt17integral_constantIbLb0EES1U_IbLb1EEEEDaS1Q_S1R_EUlS1Q_E_NS1_11comp_targetILNS1_3genE0ELNS1_11target_archE4294967295ELNS1_3gpuE0ELNS1_3repE0EEENS1_30default_config_static_selectorELNS0_4arch9wavefront6targetE0EEEvS13_.kd
    .uniform_work_group_size: 1
    .uses_dynamic_stack: false
    .vgpr_count:     0
    .vgpr_spill_count: 0
    .wavefront_size: 32
    .workgroup_processor_mode: 1
  - .args:
      - .offset:         0
        .size:           184
        .value_kind:     by_value
    .group_segment_fixed_size: 0
    .kernarg_segment_align: 8
    .kernarg_segment_size: 184
    .language:       OpenCL C
    .language_version:
      - 2
      - 0
    .max_flat_workgroup_size: 256
    .name:           _ZN7rocprim17ROCPRIM_400000_NS6detail17trampoline_kernelINS0_13select_configILj256ELj13ELNS0_17block_load_methodE3ELS4_3ELS4_3ELNS0_20block_scan_algorithmE0ELj4294967295EEENS1_25partition_config_selectorILNS1_17partition_subalgoE4EjNS0_10empty_typeEbEEZZNS1_14partition_implILS8_4ELb0ES6_15HIP_vector_typeIjLj2EENS0_17counting_iteratorIjlEEPS9_SG_NS0_5tupleIJPjSI_NS0_16reverse_iteratorISI_EEEEENSH_IJSG_SG_SG_EEES9_SI_JZNS1_25segmented_radix_sort_implINS0_14default_configELb0EPK6__halfPSP_PKlPlN2at6native12_GLOBAL__N_18offset_tEEE10hipError_tPvRmT1_PNSt15iterator_traitsIS13_E10value_typeET2_T3_PNS14_IS19_E10value_typeET4_jRbjT5_S1F_jjP12ihipStream_tbEUljE_ZNSN_ISO_Lb0ESR_SS_SU_SV_SZ_EES10_S11_S12_S13_S17_S18_S19_S1C_S1D_jS1E_jS1F_S1F_jjS1H_bEUljE0_EEES10_S11_S12_S19_S1D_S1F_T6_T7_T9_mT8_S1H_bDpT10_ENKUlT_T0_E_clISt17integral_constantIbLb0EES1U_IbLb1EEEEDaS1Q_S1R_EUlS1Q_E_NS1_11comp_targetILNS1_3genE5ELNS1_11target_archE942ELNS1_3gpuE9ELNS1_3repE0EEENS1_30default_config_static_selectorELNS0_4arch9wavefront6targetE0EEEvS13_
    .private_segment_fixed_size: 0
    .sgpr_count:     0
    .sgpr_spill_count: 0
    .symbol:         _ZN7rocprim17ROCPRIM_400000_NS6detail17trampoline_kernelINS0_13select_configILj256ELj13ELNS0_17block_load_methodE3ELS4_3ELS4_3ELNS0_20block_scan_algorithmE0ELj4294967295EEENS1_25partition_config_selectorILNS1_17partition_subalgoE4EjNS0_10empty_typeEbEEZZNS1_14partition_implILS8_4ELb0ES6_15HIP_vector_typeIjLj2EENS0_17counting_iteratorIjlEEPS9_SG_NS0_5tupleIJPjSI_NS0_16reverse_iteratorISI_EEEEENSH_IJSG_SG_SG_EEES9_SI_JZNS1_25segmented_radix_sort_implINS0_14default_configELb0EPK6__halfPSP_PKlPlN2at6native12_GLOBAL__N_18offset_tEEE10hipError_tPvRmT1_PNSt15iterator_traitsIS13_E10value_typeET2_T3_PNS14_IS19_E10value_typeET4_jRbjT5_S1F_jjP12ihipStream_tbEUljE_ZNSN_ISO_Lb0ESR_SS_SU_SV_SZ_EES10_S11_S12_S13_S17_S18_S19_S1C_S1D_jS1E_jS1F_S1F_jjS1H_bEUljE0_EEES10_S11_S12_S19_S1D_S1F_T6_T7_T9_mT8_S1H_bDpT10_ENKUlT_T0_E_clISt17integral_constantIbLb0EES1U_IbLb1EEEEDaS1Q_S1R_EUlS1Q_E_NS1_11comp_targetILNS1_3genE5ELNS1_11target_archE942ELNS1_3gpuE9ELNS1_3repE0EEENS1_30default_config_static_selectorELNS0_4arch9wavefront6targetE0EEEvS13_.kd
    .uniform_work_group_size: 1
    .uses_dynamic_stack: false
    .vgpr_count:     0
    .vgpr_spill_count: 0
    .wavefront_size: 32
    .workgroup_processor_mode: 1
  - .args:
      - .offset:         0
        .size:           184
        .value_kind:     by_value
    .group_segment_fixed_size: 0
    .kernarg_segment_align: 8
    .kernarg_segment_size: 184
    .language:       OpenCL C
    .language_version:
      - 2
      - 0
    .max_flat_workgroup_size: 256
    .name:           _ZN7rocprim17ROCPRIM_400000_NS6detail17trampoline_kernelINS0_13select_configILj256ELj13ELNS0_17block_load_methodE3ELS4_3ELS4_3ELNS0_20block_scan_algorithmE0ELj4294967295EEENS1_25partition_config_selectorILNS1_17partition_subalgoE4EjNS0_10empty_typeEbEEZZNS1_14partition_implILS8_4ELb0ES6_15HIP_vector_typeIjLj2EENS0_17counting_iteratorIjlEEPS9_SG_NS0_5tupleIJPjSI_NS0_16reverse_iteratorISI_EEEEENSH_IJSG_SG_SG_EEES9_SI_JZNS1_25segmented_radix_sort_implINS0_14default_configELb0EPK6__halfPSP_PKlPlN2at6native12_GLOBAL__N_18offset_tEEE10hipError_tPvRmT1_PNSt15iterator_traitsIS13_E10value_typeET2_T3_PNS14_IS19_E10value_typeET4_jRbjT5_S1F_jjP12ihipStream_tbEUljE_ZNSN_ISO_Lb0ESR_SS_SU_SV_SZ_EES10_S11_S12_S13_S17_S18_S19_S1C_S1D_jS1E_jS1F_S1F_jjS1H_bEUljE0_EEES10_S11_S12_S19_S1D_S1F_T6_T7_T9_mT8_S1H_bDpT10_ENKUlT_T0_E_clISt17integral_constantIbLb0EES1U_IbLb1EEEEDaS1Q_S1R_EUlS1Q_E_NS1_11comp_targetILNS1_3genE4ELNS1_11target_archE910ELNS1_3gpuE8ELNS1_3repE0EEENS1_30default_config_static_selectorELNS0_4arch9wavefront6targetE0EEEvS13_
    .private_segment_fixed_size: 0
    .sgpr_count:     0
    .sgpr_spill_count: 0
    .symbol:         _ZN7rocprim17ROCPRIM_400000_NS6detail17trampoline_kernelINS0_13select_configILj256ELj13ELNS0_17block_load_methodE3ELS4_3ELS4_3ELNS0_20block_scan_algorithmE0ELj4294967295EEENS1_25partition_config_selectorILNS1_17partition_subalgoE4EjNS0_10empty_typeEbEEZZNS1_14partition_implILS8_4ELb0ES6_15HIP_vector_typeIjLj2EENS0_17counting_iteratorIjlEEPS9_SG_NS0_5tupleIJPjSI_NS0_16reverse_iteratorISI_EEEEENSH_IJSG_SG_SG_EEES9_SI_JZNS1_25segmented_radix_sort_implINS0_14default_configELb0EPK6__halfPSP_PKlPlN2at6native12_GLOBAL__N_18offset_tEEE10hipError_tPvRmT1_PNSt15iterator_traitsIS13_E10value_typeET2_T3_PNS14_IS19_E10value_typeET4_jRbjT5_S1F_jjP12ihipStream_tbEUljE_ZNSN_ISO_Lb0ESR_SS_SU_SV_SZ_EES10_S11_S12_S13_S17_S18_S19_S1C_S1D_jS1E_jS1F_S1F_jjS1H_bEUljE0_EEES10_S11_S12_S19_S1D_S1F_T6_T7_T9_mT8_S1H_bDpT10_ENKUlT_T0_E_clISt17integral_constantIbLb0EES1U_IbLb1EEEEDaS1Q_S1R_EUlS1Q_E_NS1_11comp_targetILNS1_3genE4ELNS1_11target_archE910ELNS1_3gpuE8ELNS1_3repE0EEENS1_30default_config_static_selectorELNS0_4arch9wavefront6targetE0EEEvS13_.kd
    .uniform_work_group_size: 1
    .uses_dynamic_stack: false
    .vgpr_count:     0
    .vgpr_spill_count: 0
    .wavefront_size: 32
    .workgroup_processor_mode: 1
  - .args:
      - .offset:         0
        .size:           184
        .value_kind:     by_value
    .group_segment_fixed_size: 0
    .kernarg_segment_align: 8
    .kernarg_segment_size: 184
    .language:       OpenCL C
    .language_version:
      - 2
      - 0
    .max_flat_workgroup_size: 256
    .name:           _ZN7rocprim17ROCPRIM_400000_NS6detail17trampoline_kernelINS0_13select_configILj256ELj13ELNS0_17block_load_methodE3ELS4_3ELS4_3ELNS0_20block_scan_algorithmE0ELj4294967295EEENS1_25partition_config_selectorILNS1_17partition_subalgoE4EjNS0_10empty_typeEbEEZZNS1_14partition_implILS8_4ELb0ES6_15HIP_vector_typeIjLj2EENS0_17counting_iteratorIjlEEPS9_SG_NS0_5tupleIJPjSI_NS0_16reverse_iteratorISI_EEEEENSH_IJSG_SG_SG_EEES9_SI_JZNS1_25segmented_radix_sort_implINS0_14default_configELb0EPK6__halfPSP_PKlPlN2at6native12_GLOBAL__N_18offset_tEEE10hipError_tPvRmT1_PNSt15iterator_traitsIS13_E10value_typeET2_T3_PNS14_IS19_E10value_typeET4_jRbjT5_S1F_jjP12ihipStream_tbEUljE_ZNSN_ISO_Lb0ESR_SS_SU_SV_SZ_EES10_S11_S12_S13_S17_S18_S19_S1C_S1D_jS1E_jS1F_S1F_jjS1H_bEUljE0_EEES10_S11_S12_S19_S1D_S1F_T6_T7_T9_mT8_S1H_bDpT10_ENKUlT_T0_E_clISt17integral_constantIbLb0EES1U_IbLb1EEEEDaS1Q_S1R_EUlS1Q_E_NS1_11comp_targetILNS1_3genE3ELNS1_11target_archE908ELNS1_3gpuE7ELNS1_3repE0EEENS1_30default_config_static_selectorELNS0_4arch9wavefront6targetE0EEEvS13_
    .private_segment_fixed_size: 0
    .sgpr_count:     0
    .sgpr_spill_count: 0
    .symbol:         _ZN7rocprim17ROCPRIM_400000_NS6detail17trampoline_kernelINS0_13select_configILj256ELj13ELNS0_17block_load_methodE3ELS4_3ELS4_3ELNS0_20block_scan_algorithmE0ELj4294967295EEENS1_25partition_config_selectorILNS1_17partition_subalgoE4EjNS0_10empty_typeEbEEZZNS1_14partition_implILS8_4ELb0ES6_15HIP_vector_typeIjLj2EENS0_17counting_iteratorIjlEEPS9_SG_NS0_5tupleIJPjSI_NS0_16reverse_iteratorISI_EEEEENSH_IJSG_SG_SG_EEES9_SI_JZNS1_25segmented_radix_sort_implINS0_14default_configELb0EPK6__halfPSP_PKlPlN2at6native12_GLOBAL__N_18offset_tEEE10hipError_tPvRmT1_PNSt15iterator_traitsIS13_E10value_typeET2_T3_PNS14_IS19_E10value_typeET4_jRbjT5_S1F_jjP12ihipStream_tbEUljE_ZNSN_ISO_Lb0ESR_SS_SU_SV_SZ_EES10_S11_S12_S13_S17_S18_S19_S1C_S1D_jS1E_jS1F_S1F_jjS1H_bEUljE0_EEES10_S11_S12_S19_S1D_S1F_T6_T7_T9_mT8_S1H_bDpT10_ENKUlT_T0_E_clISt17integral_constantIbLb0EES1U_IbLb1EEEEDaS1Q_S1R_EUlS1Q_E_NS1_11comp_targetILNS1_3genE3ELNS1_11target_archE908ELNS1_3gpuE7ELNS1_3repE0EEENS1_30default_config_static_selectorELNS0_4arch9wavefront6targetE0EEEvS13_.kd
    .uniform_work_group_size: 1
    .uses_dynamic_stack: false
    .vgpr_count:     0
    .vgpr_spill_count: 0
    .wavefront_size: 32
    .workgroup_processor_mode: 1
  - .args:
      - .offset:         0
        .size:           184
        .value_kind:     by_value
    .group_segment_fixed_size: 0
    .kernarg_segment_align: 8
    .kernarg_segment_size: 184
    .language:       OpenCL C
    .language_version:
      - 2
      - 0
    .max_flat_workgroup_size: 256
    .name:           _ZN7rocprim17ROCPRIM_400000_NS6detail17trampoline_kernelINS0_13select_configILj256ELj13ELNS0_17block_load_methodE3ELS4_3ELS4_3ELNS0_20block_scan_algorithmE0ELj4294967295EEENS1_25partition_config_selectorILNS1_17partition_subalgoE4EjNS0_10empty_typeEbEEZZNS1_14partition_implILS8_4ELb0ES6_15HIP_vector_typeIjLj2EENS0_17counting_iteratorIjlEEPS9_SG_NS0_5tupleIJPjSI_NS0_16reverse_iteratorISI_EEEEENSH_IJSG_SG_SG_EEES9_SI_JZNS1_25segmented_radix_sort_implINS0_14default_configELb0EPK6__halfPSP_PKlPlN2at6native12_GLOBAL__N_18offset_tEEE10hipError_tPvRmT1_PNSt15iterator_traitsIS13_E10value_typeET2_T3_PNS14_IS19_E10value_typeET4_jRbjT5_S1F_jjP12ihipStream_tbEUljE_ZNSN_ISO_Lb0ESR_SS_SU_SV_SZ_EES10_S11_S12_S13_S17_S18_S19_S1C_S1D_jS1E_jS1F_S1F_jjS1H_bEUljE0_EEES10_S11_S12_S19_S1D_S1F_T6_T7_T9_mT8_S1H_bDpT10_ENKUlT_T0_E_clISt17integral_constantIbLb0EES1U_IbLb1EEEEDaS1Q_S1R_EUlS1Q_E_NS1_11comp_targetILNS1_3genE2ELNS1_11target_archE906ELNS1_3gpuE6ELNS1_3repE0EEENS1_30default_config_static_selectorELNS0_4arch9wavefront6targetE0EEEvS13_
    .private_segment_fixed_size: 0
    .sgpr_count:     0
    .sgpr_spill_count: 0
    .symbol:         _ZN7rocprim17ROCPRIM_400000_NS6detail17trampoline_kernelINS0_13select_configILj256ELj13ELNS0_17block_load_methodE3ELS4_3ELS4_3ELNS0_20block_scan_algorithmE0ELj4294967295EEENS1_25partition_config_selectorILNS1_17partition_subalgoE4EjNS0_10empty_typeEbEEZZNS1_14partition_implILS8_4ELb0ES6_15HIP_vector_typeIjLj2EENS0_17counting_iteratorIjlEEPS9_SG_NS0_5tupleIJPjSI_NS0_16reverse_iteratorISI_EEEEENSH_IJSG_SG_SG_EEES9_SI_JZNS1_25segmented_radix_sort_implINS0_14default_configELb0EPK6__halfPSP_PKlPlN2at6native12_GLOBAL__N_18offset_tEEE10hipError_tPvRmT1_PNSt15iterator_traitsIS13_E10value_typeET2_T3_PNS14_IS19_E10value_typeET4_jRbjT5_S1F_jjP12ihipStream_tbEUljE_ZNSN_ISO_Lb0ESR_SS_SU_SV_SZ_EES10_S11_S12_S13_S17_S18_S19_S1C_S1D_jS1E_jS1F_S1F_jjS1H_bEUljE0_EEES10_S11_S12_S19_S1D_S1F_T6_T7_T9_mT8_S1H_bDpT10_ENKUlT_T0_E_clISt17integral_constantIbLb0EES1U_IbLb1EEEEDaS1Q_S1R_EUlS1Q_E_NS1_11comp_targetILNS1_3genE2ELNS1_11target_archE906ELNS1_3gpuE6ELNS1_3repE0EEENS1_30default_config_static_selectorELNS0_4arch9wavefront6targetE0EEEvS13_.kd
    .uniform_work_group_size: 1
    .uses_dynamic_stack: false
    .vgpr_count:     0
    .vgpr_spill_count: 0
    .wavefront_size: 32
    .workgroup_processor_mode: 1
  - .args:
      - .offset:         0
        .size:           184
        .value_kind:     by_value
    .group_segment_fixed_size: 0
    .kernarg_segment_align: 8
    .kernarg_segment_size: 184
    .language:       OpenCL C
    .language_version:
      - 2
      - 0
    .max_flat_workgroup_size: 256
    .name:           _ZN7rocprim17ROCPRIM_400000_NS6detail17trampoline_kernelINS0_13select_configILj256ELj13ELNS0_17block_load_methodE3ELS4_3ELS4_3ELNS0_20block_scan_algorithmE0ELj4294967295EEENS1_25partition_config_selectorILNS1_17partition_subalgoE4EjNS0_10empty_typeEbEEZZNS1_14partition_implILS8_4ELb0ES6_15HIP_vector_typeIjLj2EENS0_17counting_iteratorIjlEEPS9_SG_NS0_5tupleIJPjSI_NS0_16reverse_iteratorISI_EEEEENSH_IJSG_SG_SG_EEES9_SI_JZNS1_25segmented_radix_sort_implINS0_14default_configELb0EPK6__halfPSP_PKlPlN2at6native12_GLOBAL__N_18offset_tEEE10hipError_tPvRmT1_PNSt15iterator_traitsIS13_E10value_typeET2_T3_PNS14_IS19_E10value_typeET4_jRbjT5_S1F_jjP12ihipStream_tbEUljE_ZNSN_ISO_Lb0ESR_SS_SU_SV_SZ_EES10_S11_S12_S13_S17_S18_S19_S1C_S1D_jS1E_jS1F_S1F_jjS1H_bEUljE0_EEES10_S11_S12_S19_S1D_S1F_T6_T7_T9_mT8_S1H_bDpT10_ENKUlT_T0_E_clISt17integral_constantIbLb0EES1U_IbLb1EEEEDaS1Q_S1R_EUlS1Q_E_NS1_11comp_targetILNS1_3genE10ELNS1_11target_archE1200ELNS1_3gpuE4ELNS1_3repE0EEENS1_30default_config_static_selectorELNS0_4arch9wavefront6targetE0EEEvS13_
    .private_segment_fixed_size: 0
    .sgpr_count:     0
    .sgpr_spill_count: 0
    .symbol:         _ZN7rocprim17ROCPRIM_400000_NS6detail17trampoline_kernelINS0_13select_configILj256ELj13ELNS0_17block_load_methodE3ELS4_3ELS4_3ELNS0_20block_scan_algorithmE0ELj4294967295EEENS1_25partition_config_selectorILNS1_17partition_subalgoE4EjNS0_10empty_typeEbEEZZNS1_14partition_implILS8_4ELb0ES6_15HIP_vector_typeIjLj2EENS0_17counting_iteratorIjlEEPS9_SG_NS0_5tupleIJPjSI_NS0_16reverse_iteratorISI_EEEEENSH_IJSG_SG_SG_EEES9_SI_JZNS1_25segmented_radix_sort_implINS0_14default_configELb0EPK6__halfPSP_PKlPlN2at6native12_GLOBAL__N_18offset_tEEE10hipError_tPvRmT1_PNSt15iterator_traitsIS13_E10value_typeET2_T3_PNS14_IS19_E10value_typeET4_jRbjT5_S1F_jjP12ihipStream_tbEUljE_ZNSN_ISO_Lb0ESR_SS_SU_SV_SZ_EES10_S11_S12_S13_S17_S18_S19_S1C_S1D_jS1E_jS1F_S1F_jjS1H_bEUljE0_EEES10_S11_S12_S19_S1D_S1F_T6_T7_T9_mT8_S1H_bDpT10_ENKUlT_T0_E_clISt17integral_constantIbLb0EES1U_IbLb1EEEEDaS1Q_S1R_EUlS1Q_E_NS1_11comp_targetILNS1_3genE10ELNS1_11target_archE1200ELNS1_3gpuE4ELNS1_3repE0EEENS1_30default_config_static_selectorELNS0_4arch9wavefront6targetE0EEEvS13_.kd
    .uniform_work_group_size: 1
    .uses_dynamic_stack: false
    .vgpr_count:     0
    .vgpr_spill_count: 0
    .wavefront_size: 32
    .workgroup_processor_mode: 1
  - .args:
      - .offset:         0
        .size:           184
        .value_kind:     by_value
    .group_segment_fixed_size: 13340
    .kernarg_segment_align: 8
    .kernarg_segment_size: 184
    .language:       OpenCL C
    .language_version:
      - 2
      - 0
    .max_flat_workgroup_size: 256
    .name:           _ZN7rocprim17ROCPRIM_400000_NS6detail17trampoline_kernelINS0_13select_configILj256ELj13ELNS0_17block_load_methodE3ELS4_3ELS4_3ELNS0_20block_scan_algorithmE0ELj4294967295EEENS1_25partition_config_selectorILNS1_17partition_subalgoE4EjNS0_10empty_typeEbEEZZNS1_14partition_implILS8_4ELb0ES6_15HIP_vector_typeIjLj2EENS0_17counting_iteratorIjlEEPS9_SG_NS0_5tupleIJPjSI_NS0_16reverse_iteratorISI_EEEEENSH_IJSG_SG_SG_EEES9_SI_JZNS1_25segmented_radix_sort_implINS0_14default_configELb0EPK6__halfPSP_PKlPlN2at6native12_GLOBAL__N_18offset_tEEE10hipError_tPvRmT1_PNSt15iterator_traitsIS13_E10value_typeET2_T3_PNS14_IS19_E10value_typeET4_jRbjT5_S1F_jjP12ihipStream_tbEUljE_ZNSN_ISO_Lb0ESR_SS_SU_SV_SZ_EES10_S11_S12_S13_S17_S18_S19_S1C_S1D_jS1E_jS1F_S1F_jjS1H_bEUljE0_EEES10_S11_S12_S19_S1D_S1F_T6_T7_T9_mT8_S1H_bDpT10_ENKUlT_T0_E_clISt17integral_constantIbLb0EES1U_IbLb1EEEEDaS1Q_S1R_EUlS1Q_E_NS1_11comp_targetILNS1_3genE9ELNS1_11target_archE1100ELNS1_3gpuE3ELNS1_3repE0EEENS1_30default_config_static_selectorELNS0_4arch9wavefront6targetE0EEEvS13_
    .private_segment_fixed_size: 0
    .sgpr_count:     57
    .sgpr_spill_count: 0
    .symbol:         _ZN7rocprim17ROCPRIM_400000_NS6detail17trampoline_kernelINS0_13select_configILj256ELj13ELNS0_17block_load_methodE3ELS4_3ELS4_3ELNS0_20block_scan_algorithmE0ELj4294967295EEENS1_25partition_config_selectorILNS1_17partition_subalgoE4EjNS0_10empty_typeEbEEZZNS1_14partition_implILS8_4ELb0ES6_15HIP_vector_typeIjLj2EENS0_17counting_iteratorIjlEEPS9_SG_NS0_5tupleIJPjSI_NS0_16reverse_iteratorISI_EEEEENSH_IJSG_SG_SG_EEES9_SI_JZNS1_25segmented_radix_sort_implINS0_14default_configELb0EPK6__halfPSP_PKlPlN2at6native12_GLOBAL__N_18offset_tEEE10hipError_tPvRmT1_PNSt15iterator_traitsIS13_E10value_typeET2_T3_PNS14_IS19_E10value_typeET4_jRbjT5_S1F_jjP12ihipStream_tbEUljE_ZNSN_ISO_Lb0ESR_SS_SU_SV_SZ_EES10_S11_S12_S13_S17_S18_S19_S1C_S1D_jS1E_jS1F_S1F_jjS1H_bEUljE0_EEES10_S11_S12_S19_S1D_S1F_T6_T7_T9_mT8_S1H_bDpT10_ENKUlT_T0_E_clISt17integral_constantIbLb0EES1U_IbLb1EEEEDaS1Q_S1R_EUlS1Q_E_NS1_11comp_targetILNS1_3genE9ELNS1_11target_archE1100ELNS1_3gpuE3ELNS1_3repE0EEENS1_30default_config_static_selectorELNS0_4arch9wavefront6targetE0EEEvS13_.kd
    .uniform_work_group_size: 1
    .uses_dynamic_stack: false
    .vgpr_count:     103
    .vgpr_spill_count: 0
    .wavefront_size: 32
    .workgroup_processor_mode: 1
  - .args:
      - .offset:         0
        .size:           184
        .value_kind:     by_value
    .group_segment_fixed_size: 0
    .kernarg_segment_align: 8
    .kernarg_segment_size: 184
    .language:       OpenCL C
    .language_version:
      - 2
      - 0
    .max_flat_workgroup_size: 256
    .name:           _ZN7rocprim17ROCPRIM_400000_NS6detail17trampoline_kernelINS0_13select_configILj256ELj13ELNS0_17block_load_methodE3ELS4_3ELS4_3ELNS0_20block_scan_algorithmE0ELj4294967295EEENS1_25partition_config_selectorILNS1_17partition_subalgoE4EjNS0_10empty_typeEbEEZZNS1_14partition_implILS8_4ELb0ES6_15HIP_vector_typeIjLj2EENS0_17counting_iteratorIjlEEPS9_SG_NS0_5tupleIJPjSI_NS0_16reverse_iteratorISI_EEEEENSH_IJSG_SG_SG_EEES9_SI_JZNS1_25segmented_radix_sort_implINS0_14default_configELb0EPK6__halfPSP_PKlPlN2at6native12_GLOBAL__N_18offset_tEEE10hipError_tPvRmT1_PNSt15iterator_traitsIS13_E10value_typeET2_T3_PNS14_IS19_E10value_typeET4_jRbjT5_S1F_jjP12ihipStream_tbEUljE_ZNSN_ISO_Lb0ESR_SS_SU_SV_SZ_EES10_S11_S12_S13_S17_S18_S19_S1C_S1D_jS1E_jS1F_S1F_jjS1H_bEUljE0_EEES10_S11_S12_S19_S1D_S1F_T6_T7_T9_mT8_S1H_bDpT10_ENKUlT_T0_E_clISt17integral_constantIbLb0EES1U_IbLb1EEEEDaS1Q_S1R_EUlS1Q_E_NS1_11comp_targetILNS1_3genE8ELNS1_11target_archE1030ELNS1_3gpuE2ELNS1_3repE0EEENS1_30default_config_static_selectorELNS0_4arch9wavefront6targetE0EEEvS13_
    .private_segment_fixed_size: 0
    .sgpr_count:     0
    .sgpr_spill_count: 0
    .symbol:         _ZN7rocprim17ROCPRIM_400000_NS6detail17trampoline_kernelINS0_13select_configILj256ELj13ELNS0_17block_load_methodE3ELS4_3ELS4_3ELNS0_20block_scan_algorithmE0ELj4294967295EEENS1_25partition_config_selectorILNS1_17partition_subalgoE4EjNS0_10empty_typeEbEEZZNS1_14partition_implILS8_4ELb0ES6_15HIP_vector_typeIjLj2EENS0_17counting_iteratorIjlEEPS9_SG_NS0_5tupleIJPjSI_NS0_16reverse_iteratorISI_EEEEENSH_IJSG_SG_SG_EEES9_SI_JZNS1_25segmented_radix_sort_implINS0_14default_configELb0EPK6__halfPSP_PKlPlN2at6native12_GLOBAL__N_18offset_tEEE10hipError_tPvRmT1_PNSt15iterator_traitsIS13_E10value_typeET2_T3_PNS14_IS19_E10value_typeET4_jRbjT5_S1F_jjP12ihipStream_tbEUljE_ZNSN_ISO_Lb0ESR_SS_SU_SV_SZ_EES10_S11_S12_S13_S17_S18_S19_S1C_S1D_jS1E_jS1F_S1F_jjS1H_bEUljE0_EEES10_S11_S12_S19_S1D_S1F_T6_T7_T9_mT8_S1H_bDpT10_ENKUlT_T0_E_clISt17integral_constantIbLb0EES1U_IbLb1EEEEDaS1Q_S1R_EUlS1Q_E_NS1_11comp_targetILNS1_3genE8ELNS1_11target_archE1030ELNS1_3gpuE2ELNS1_3repE0EEENS1_30default_config_static_selectorELNS0_4arch9wavefront6targetE0EEEvS13_.kd
    .uniform_work_group_size: 1
    .uses_dynamic_stack: false
    .vgpr_count:     0
    .vgpr_spill_count: 0
    .wavefront_size: 32
    .workgroup_processor_mode: 1
  - .args:
      - .offset:         0
        .size:           144
        .value_kind:     by_value
    .group_segment_fixed_size: 0
    .kernarg_segment_align: 8
    .kernarg_segment_size: 144
    .language:       OpenCL C
    .language_version:
      - 2
      - 0
    .max_flat_workgroup_size: 256
    .name:           _ZN7rocprim17ROCPRIM_400000_NS6detail17trampoline_kernelINS0_13select_configILj256ELj13ELNS0_17block_load_methodE3ELS4_3ELS4_3ELNS0_20block_scan_algorithmE0ELj4294967295EEENS1_25partition_config_selectorILNS1_17partition_subalgoE3EjNS0_10empty_typeEbEEZZNS1_14partition_implILS8_3ELb0ES6_jNS0_17counting_iteratorIjlEEPS9_SE_NS0_5tupleIJPjSE_EEENSF_IJSE_SE_EEES9_SG_JZNS1_25segmented_radix_sort_implINS0_14default_configELb0EPK6__halfPSL_PKlPlN2at6native12_GLOBAL__N_18offset_tEEE10hipError_tPvRmT1_PNSt15iterator_traitsISZ_E10value_typeET2_T3_PNS10_IS15_E10value_typeET4_jRbjT5_S1B_jjP12ihipStream_tbEUljE_EEESW_SX_SY_S15_S19_S1B_T6_T7_T9_mT8_S1D_bDpT10_ENKUlT_T0_E_clISt17integral_constantIbLb0EES1Q_EEDaS1L_S1M_EUlS1L_E_NS1_11comp_targetILNS1_3genE0ELNS1_11target_archE4294967295ELNS1_3gpuE0ELNS1_3repE0EEENS1_30default_config_static_selectorELNS0_4arch9wavefront6targetE0EEEvSZ_
    .private_segment_fixed_size: 0
    .sgpr_count:     0
    .sgpr_spill_count: 0
    .symbol:         _ZN7rocprim17ROCPRIM_400000_NS6detail17trampoline_kernelINS0_13select_configILj256ELj13ELNS0_17block_load_methodE3ELS4_3ELS4_3ELNS0_20block_scan_algorithmE0ELj4294967295EEENS1_25partition_config_selectorILNS1_17partition_subalgoE3EjNS0_10empty_typeEbEEZZNS1_14partition_implILS8_3ELb0ES6_jNS0_17counting_iteratorIjlEEPS9_SE_NS0_5tupleIJPjSE_EEENSF_IJSE_SE_EEES9_SG_JZNS1_25segmented_radix_sort_implINS0_14default_configELb0EPK6__halfPSL_PKlPlN2at6native12_GLOBAL__N_18offset_tEEE10hipError_tPvRmT1_PNSt15iterator_traitsISZ_E10value_typeET2_T3_PNS10_IS15_E10value_typeET4_jRbjT5_S1B_jjP12ihipStream_tbEUljE_EEESW_SX_SY_S15_S19_S1B_T6_T7_T9_mT8_S1D_bDpT10_ENKUlT_T0_E_clISt17integral_constantIbLb0EES1Q_EEDaS1L_S1M_EUlS1L_E_NS1_11comp_targetILNS1_3genE0ELNS1_11target_archE4294967295ELNS1_3gpuE0ELNS1_3repE0EEENS1_30default_config_static_selectorELNS0_4arch9wavefront6targetE0EEEvSZ_.kd
    .uniform_work_group_size: 1
    .uses_dynamic_stack: false
    .vgpr_count:     0
    .vgpr_spill_count: 0
    .wavefront_size: 32
    .workgroup_processor_mode: 1
  - .args:
      - .offset:         0
        .size:           144
        .value_kind:     by_value
    .group_segment_fixed_size: 0
    .kernarg_segment_align: 8
    .kernarg_segment_size: 144
    .language:       OpenCL C
    .language_version:
      - 2
      - 0
    .max_flat_workgroup_size: 256
    .name:           _ZN7rocprim17ROCPRIM_400000_NS6detail17trampoline_kernelINS0_13select_configILj256ELj13ELNS0_17block_load_methodE3ELS4_3ELS4_3ELNS0_20block_scan_algorithmE0ELj4294967295EEENS1_25partition_config_selectorILNS1_17partition_subalgoE3EjNS0_10empty_typeEbEEZZNS1_14partition_implILS8_3ELb0ES6_jNS0_17counting_iteratorIjlEEPS9_SE_NS0_5tupleIJPjSE_EEENSF_IJSE_SE_EEES9_SG_JZNS1_25segmented_radix_sort_implINS0_14default_configELb0EPK6__halfPSL_PKlPlN2at6native12_GLOBAL__N_18offset_tEEE10hipError_tPvRmT1_PNSt15iterator_traitsISZ_E10value_typeET2_T3_PNS10_IS15_E10value_typeET4_jRbjT5_S1B_jjP12ihipStream_tbEUljE_EEESW_SX_SY_S15_S19_S1B_T6_T7_T9_mT8_S1D_bDpT10_ENKUlT_T0_E_clISt17integral_constantIbLb0EES1Q_EEDaS1L_S1M_EUlS1L_E_NS1_11comp_targetILNS1_3genE5ELNS1_11target_archE942ELNS1_3gpuE9ELNS1_3repE0EEENS1_30default_config_static_selectorELNS0_4arch9wavefront6targetE0EEEvSZ_
    .private_segment_fixed_size: 0
    .sgpr_count:     0
    .sgpr_spill_count: 0
    .symbol:         _ZN7rocprim17ROCPRIM_400000_NS6detail17trampoline_kernelINS0_13select_configILj256ELj13ELNS0_17block_load_methodE3ELS4_3ELS4_3ELNS0_20block_scan_algorithmE0ELj4294967295EEENS1_25partition_config_selectorILNS1_17partition_subalgoE3EjNS0_10empty_typeEbEEZZNS1_14partition_implILS8_3ELb0ES6_jNS0_17counting_iteratorIjlEEPS9_SE_NS0_5tupleIJPjSE_EEENSF_IJSE_SE_EEES9_SG_JZNS1_25segmented_radix_sort_implINS0_14default_configELb0EPK6__halfPSL_PKlPlN2at6native12_GLOBAL__N_18offset_tEEE10hipError_tPvRmT1_PNSt15iterator_traitsISZ_E10value_typeET2_T3_PNS10_IS15_E10value_typeET4_jRbjT5_S1B_jjP12ihipStream_tbEUljE_EEESW_SX_SY_S15_S19_S1B_T6_T7_T9_mT8_S1D_bDpT10_ENKUlT_T0_E_clISt17integral_constantIbLb0EES1Q_EEDaS1L_S1M_EUlS1L_E_NS1_11comp_targetILNS1_3genE5ELNS1_11target_archE942ELNS1_3gpuE9ELNS1_3repE0EEENS1_30default_config_static_selectorELNS0_4arch9wavefront6targetE0EEEvSZ_.kd
    .uniform_work_group_size: 1
    .uses_dynamic_stack: false
    .vgpr_count:     0
    .vgpr_spill_count: 0
    .wavefront_size: 32
    .workgroup_processor_mode: 1
  - .args:
      - .offset:         0
        .size:           144
        .value_kind:     by_value
    .group_segment_fixed_size: 0
    .kernarg_segment_align: 8
    .kernarg_segment_size: 144
    .language:       OpenCL C
    .language_version:
      - 2
      - 0
    .max_flat_workgroup_size: 256
    .name:           _ZN7rocprim17ROCPRIM_400000_NS6detail17trampoline_kernelINS0_13select_configILj256ELj13ELNS0_17block_load_methodE3ELS4_3ELS4_3ELNS0_20block_scan_algorithmE0ELj4294967295EEENS1_25partition_config_selectorILNS1_17partition_subalgoE3EjNS0_10empty_typeEbEEZZNS1_14partition_implILS8_3ELb0ES6_jNS0_17counting_iteratorIjlEEPS9_SE_NS0_5tupleIJPjSE_EEENSF_IJSE_SE_EEES9_SG_JZNS1_25segmented_radix_sort_implINS0_14default_configELb0EPK6__halfPSL_PKlPlN2at6native12_GLOBAL__N_18offset_tEEE10hipError_tPvRmT1_PNSt15iterator_traitsISZ_E10value_typeET2_T3_PNS10_IS15_E10value_typeET4_jRbjT5_S1B_jjP12ihipStream_tbEUljE_EEESW_SX_SY_S15_S19_S1B_T6_T7_T9_mT8_S1D_bDpT10_ENKUlT_T0_E_clISt17integral_constantIbLb0EES1Q_EEDaS1L_S1M_EUlS1L_E_NS1_11comp_targetILNS1_3genE4ELNS1_11target_archE910ELNS1_3gpuE8ELNS1_3repE0EEENS1_30default_config_static_selectorELNS0_4arch9wavefront6targetE0EEEvSZ_
    .private_segment_fixed_size: 0
    .sgpr_count:     0
    .sgpr_spill_count: 0
    .symbol:         _ZN7rocprim17ROCPRIM_400000_NS6detail17trampoline_kernelINS0_13select_configILj256ELj13ELNS0_17block_load_methodE3ELS4_3ELS4_3ELNS0_20block_scan_algorithmE0ELj4294967295EEENS1_25partition_config_selectorILNS1_17partition_subalgoE3EjNS0_10empty_typeEbEEZZNS1_14partition_implILS8_3ELb0ES6_jNS0_17counting_iteratorIjlEEPS9_SE_NS0_5tupleIJPjSE_EEENSF_IJSE_SE_EEES9_SG_JZNS1_25segmented_radix_sort_implINS0_14default_configELb0EPK6__halfPSL_PKlPlN2at6native12_GLOBAL__N_18offset_tEEE10hipError_tPvRmT1_PNSt15iterator_traitsISZ_E10value_typeET2_T3_PNS10_IS15_E10value_typeET4_jRbjT5_S1B_jjP12ihipStream_tbEUljE_EEESW_SX_SY_S15_S19_S1B_T6_T7_T9_mT8_S1D_bDpT10_ENKUlT_T0_E_clISt17integral_constantIbLb0EES1Q_EEDaS1L_S1M_EUlS1L_E_NS1_11comp_targetILNS1_3genE4ELNS1_11target_archE910ELNS1_3gpuE8ELNS1_3repE0EEENS1_30default_config_static_selectorELNS0_4arch9wavefront6targetE0EEEvSZ_.kd
    .uniform_work_group_size: 1
    .uses_dynamic_stack: false
    .vgpr_count:     0
    .vgpr_spill_count: 0
    .wavefront_size: 32
    .workgroup_processor_mode: 1
  - .args:
      - .offset:         0
        .size:           144
        .value_kind:     by_value
    .group_segment_fixed_size: 0
    .kernarg_segment_align: 8
    .kernarg_segment_size: 144
    .language:       OpenCL C
    .language_version:
      - 2
      - 0
    .max_flat_workgroup_size: 256
    .name:           _ZN7rocprim17ROCPRIM_400000_NS6detail17trampoline_kernelINS0_13select_configILj256ELj13ELNS0_17block_load_methodE3ELS4_3ELS4_3ELNS0_20block_scan_algorithmE0ELj4294967295EEENS1_25partition_config_selectorILNS1_17partition_subalgoE3EjNS0_10empty_typeEbEEZZNS1_14partition_implILS8_3ELb0ES6_jNS0_17counting_iteratorIjlEEPS9_SE_NS0_5tupleIJPjSE_EEENSF_IJSE_SE_EEES9_SG_JZNS1_25segmented_radix_sort_implINS0_14default_configELb0EPK6__halfPSL_PKlPlN2at6native12_GLOBAL__N_18offset_tEEE10hipError_tPvRmT1_PNSt15iterator_traitsISZ_E10value_typeET2_T3_PNS10_IS15_E10value_typeET4_jRbjT5_S1B_jjP12ihipStream_tbEUljE_EEESW_SX_SY_S15_S19_S1B_T6_T7_T9_mT8_S1D_bDpT10_ENKUlT_T0_E_clISt17integral_constantIbLb0EES1Q_EEDaS1L_S1M_EUlS1L_E_NS1_11comp_targetILNS1_3genE3ELNS1_11target_archE908ELNS1_3gpuE7ELNS1_3repE0EEENS1_30default_config_static_selectorELNS0_4arch9wavefront6targetE0EEEvSZ_
    .private_segment_fixed_size: 0
    .sgpr_count:     0
    .sgpr_spill_count: 0
    .symbol:         _ZN7rocprim17ROCPRIM_400000_NS6detail17trampoline_kernelINS0_13select_configILj256ELj13ELNS0_17block_load_methodE3ELS4_3ELS4_3ELNS0_20block_scan_algorithmE0ELj4294967295EEENS1_25partition_config_selectorILNS1_17partition_subalgoE3EjNS0_10empty_typeEbEEZZNS1_14partition_implILS8_3ELb0ES6_jNS0_17counting_iteratorIjlEEPS9_SE_NS0_5tupleIJPjSE_EEENSF_IJSE_SE_EEES9_SG_JZNS1_25segmented_radix_sort_implINS0_14default_configELb0EPK6__halfPSL_PKlPlN2at6native12_GLOBAL__N_18offset_tEEE10hipError_tPvRmT1_PNSt15iterator_traitsISZ_E10value_typeET2_T3_PNS10_IS15_E10value_typeET4_jRbjT5_S1B_jjP12ihipStream_tbEUljE_EEESW_SX_SY_S15_S19_S1B_T6_T7_T9_mT8_S1D_bDpT10_ENKUlT_T0_E_clISt17integral_constantIbLb0EES1Q_EEDaS1L_S1M_EUlS1L_E_NS1_11comp_targetILNS1_3genE3ELNS1_11target_archE908ELNS1_3gpuE7ELNS1_3repE0EEENS1_30default_config_static_selectorELNS0_4arch9wavefront6targetE0EEEvSZ_.kd
    .uniform_work_group_size: 1
    .uses_dynamic_stack: false
    .vgpr_count:     0
    .vgpr_spill_count: 0
    .wavefront_size: 32
    .workgroup_processor_mode: 1
  - .args:
      - .offset:         0
        .size:           144
        .value_kind:     by_value
    .group_segment_fixed_size: 0
    .kernarg_segment_align: 8
    .kernarg_segment_size: 144
    .language:       OpenCL C
    .language_version:
      - 2
      - 0
    .max_flat_workgroup_size: 256
    .name:           _ZN7rocprim17ROCPRIM_400000_NS6detail17trampoline_kernelINS0_13select_configILj256ELj13ELNS0_17block_load_methodE3ELS4_3ELS4_3ELNS0_20block_scan_algorithmE0ELj4294967295EEENS1_25partition_config_selectorILNS1_17partition_subalgoE3EjNS0_10empty_typeEbEEZZNS1_14partition_implILS8_3ELb0ES6_jNS0_17counting_iteratorIjlEEPS9_SE_NS0_5tupleIJPjSE_EEENSF_IJSE_SE_EEES9_SG_JZNS1_25segmented_radix_sort_implINS0_14default_configELb0EPK6__halfPSL_PKlPlN2at6native12_GLOBAL__N_18offset_tEEE10hipError_tPvRmT1_PNSt15iterator_traitsISZ_E10value_typeET2_T3_PNS10_IS15_E10value_typeET4_jRbjT5_S1B_jjP12ihipStream_tbEUljE_EEESW_SX_SY_S15_S19_S1B_T6_T7_T9_mT8_S1D_bDpT10_ENKUlT_T0_E_clISt17integral_constantIbLb0EES1Q_EEDaS1L_S1M_EUlS1L_E_NS1_11comp_targetILNS1_3genE2ELNS1_11target_archE906ELNS1_3gpuE6ELNS1_3repE0EEENS1_30default_config_static_selectorELNS0_4arch9wavefront6targetE0EEEvSZ_
    .private_segment_fixed_size: 0
    .sgpr_count:     0
    .sgpr_spill_count: 0
    .symbol:         _ZN7rocprim17ROCPRIM_400000_NS6detail17trampoline_kernelINS0_13select_configILj256ELj13ELNS0_17block_load_methodE3ELS4_3ELS4_3ELNS0_20block_scan_algorithmE0ELj4294967295EEENS1_25partition_config_selectorILNS1_17partition_subalgoE3EjNS0_10empty_typeEbEEZZNS1_14partition_implILS8_3ELb0ES6_jNS0_17counting_iteratorIjlEEPS9_SE_NS0_5tupleIJPjSE_EEENSF_IJSE_SE_EEES9_SG_JZNS1_25segmented_radix_sort_implINS0_14default_configELb0EPK6__halfPSL_PKlPlN2at6native12_GLOBAL__N_18offset_tEEE10hipError_tPvRmT1_PNSt15iterator_traitsISZ_E10value_typeET2_T3_PNS10_IS15_E10value_typeET4_jRbjT5_S1B_jjP12ihipStream_tbEUljE_EEESW_SX_SY_S15_S19_S1B_T6_T7_T9_mT8_S1D_bDpT10_ENKUlT_T0_E_clISt17integral_constantIbLb0EES1Q_EEDaS1L_S1M_EUlS1L_E_NS1_11comp_targetILNS1_3genE2ELNS1_11target_archE906ELNS1_3gpuE6ELNS1_3repE0EEENS1_30default_config_static_selectorELNS0_4arch9wavefront6targetE0EEEvSZ_.kd
    .uniform_work_group_size: 1
    .uses_dynamic_stack: false
    .vgpr_count:     0
    .vgpr_spill_count: 0
    .wavefront_size: 32
    .workgroup_processor_mode: 1
  - .args:
      - .offset:         0
        .size:           144
        .value_kind:     by_value
    .group_segment_fixed_size: 0
    .kernarg_segment_align: 8
    .kernarg_segment_size: 144
    .language:       OpenCL C
    .language_version:
      - 2
      - 0
    .max_flat_workgroup_size: 256
    .name:           _ZN7rocprim17ROCPRIM_400000_NS6detail17trampoline_kernelINS0_13select_configILj256ELj13ELNS0_17block_load_methodE3ELS4_3ELS4_3ELNS0_20block_scan_algorithmE0ELj4294967295EEENS1_25partition_config_selectorILNS1_17partition_subalgoE3EjNS0_10empty_typeEbEEZZNS1_14partition_implILS8_3ELb0ES6_jNS0_17counting_iteratorIjlEEPS9_SE_NS0_5tupleIJPjSE_EEENSF_IJSE_SE_EEES9_SG_JZNS1_25segmented_radix_sort_implINS0_14default_configELb0EPK6__halfPSL_PKlPlN2at6native12_GLOBAL__N_18offset_tEEE10hipError_tPvRmT1_PNSt15iterator_traitsISZ_E10value_typeET2_T3_PNS10_IS15_E10value_typeET4_jRbjT5_S1B_jjP12ihipStream_tbEUljE_EEESW_SX_SY_S15_S19_S1B_T6_T7_T9_mT8_S1D_bDpT10_ENKUlT_T0_E_clISt17integral_constantIbLb0EES1Q_EEDaS1L_S1M_EUlS1L_E_NS1_11comp_targetILNS1_3genE10ELNS1_11target_archE1200ELNS1_3gpuE4ELNS1_3repE0EEENS1_30default_config_static_selectorELNS0_4arch9wavefront6targetE0EEEvSZ_
    .private_segment_fixed_size: 0
    .sgpr_count:     0
    .sgpr_spill_count: 0
    .symbol:         _ZN7rocprim17ROCPRIM_400000_NS6detail17trampoline_kernelINS0_13select_configILj256ELj13ELNS0_17block_load_methodE3ELS4_3ELS4_3ELNS0_20block_scan_algorithmE0ELj4294967295EEENS1_25partition_config_selectorILNS1_17partition_subalgoE3EjNS0_10empty_typeEbEEZZNS1_14partition_implILS8_3ELb0ES6_jNS0_17counting_iteratorIjlEEPS9_SE_NS0_5tupleIJPjSE_EEENSF_IJSE_SE_EEES9_SG_JZNS1_25segmented_radix_sort_implINS0_14default_configELb0EPK6__halfPSL_PKlPlN2at6native12_GLOBAL__N_18offset_tEEE10hipError_tPvRmT1_PNSt15iterator_traitsISZ_E10value_typeET2_T3_PNS10_IS15_E10value_typeET4_jRbjT5_S1B_jjP12ihipStream_tbEUljE_EEESW_SX_SY_S15_S19_S1B_T6_T7_T9_mT8_S1D_bDpT10_ENKUlT_T0_E_clISt17integral_constantIbLb0EES1Q_EEDaS1L_S1M_EUlS1L_E_NS1_11comp_targetILNS1_3genE10ELNS1_11target_archE1200ELNS1_3gpuE4ELNS1_3repE0EEENS1_30default_config_static_selectorELNS0_4arch9wavefront6targetE0EEEvSZ_.kd
    .uniform_work_group_size: 1
    .uses_dynamic_stack: false
    .vgpr_count:     0
    .vgpr_spill_count: 0
    .wavefront_size: 32
    .workgroup_processor_mode: 1
  - .args:
      - .offset:         0
        .size:           144
        .value_kind:     by_value
    .group_segment_fixed_size: 13324
    .kernarg_segment_align: 8
    .kernarg_segment_size: 144
    .language:       OpenCL C
    .language_version:
      - 2
      - 0
    .max_flat_workgroup_size: 256
    .name:           _ZN7rocprim17ROCPRIM_400000_NS6detail17trampoline_kernelINS0_13select_configILj256ELj13ELNS0_17block_load_methodE3ELS4_3ELS4_3ELNS0_20block_scan_algorithmE0ELj4294967295EEENS1_25partition_config_selectorILNS1_17partition_subalgoE3EjNS0_10empty_typeEbEEZZNS1_14partition_implILS8_3ELb0ES6_jNS0_17counting_iteratorIjlEEPS9_SE_NS0_5tupleIJPjSE_EEENSF_IJSE_SE_EEES9_SG_JZNS1_25segmented_radix_sort_implINS0_14default_configELb0EPK6__halfPSL_PKlPlN2at6native12_GLOBAL__N_18offset_tEEE10hipError_tPvRmT1_PNSt15iterator_traitsISZ_E10value_typeET2_T3_PNS10_IS15_E10value_typeET4_jRbjT5_S1B_jjP12ihipStream_tbEUljE_EEESW_SX_SY_S15_S19_S1B_T6_T7_T9_mT8_S1D_bDpT10_ENKUlT_T0_E_clISt17integral_constantIbLb0EES1Q_EEDaS1L_S1M_EUlS1L_E_NS1_11comp_targetILNS1_3genE9ELNS1_11target_archE1100ELNS1_3gpuE3ELNS1_3repE0EEENS1_30default_config_static_selectorELNS0_4arch9wavefront6targetE0EEEvSZ_
    .private_segment_fixed_size: 0
    .sgpr_count:     30
    .sgpr_spill_count: 0
    .symbol:         _ZN7rocprim17ROCPRIM_400000_NS6detail17trampoline_kernelINS0_13select_configILj256ELj13ELNS0_17block_load_methodE3ELS4_3ELS4_3ELNS0_20block_scan_algorithmE0ELj4294967295EEENS1_25partition_config_selectorILNS1_17partition_subalgoE3EjNS0_10empty_typeEbEEZZNS1_14partition_implILS8_3ELb0ES6_jNS0_17counting_iteratorIjlEEPS9_SE_NS0_5tupleIJPjSE_EEENSF_IJSE_SE_EEES9_SG_JZNS1_25segmented_radix_sort_implINS0_14default_configELb0EPK6__halfPSL_PKlPlN2at6native12_GLOBAL__N_18offset_tEEE10hipError_tPvRmT1_PNSt15iterator_traitsISZ_E10value_typeET2_T3_PNS10_IS15_E10value_typeET4_jRbjT5_S1B_jjP12ihipStream_tbEUljE_EEESW_SX_SY_S15_S19_S1B_T6_T7_T9_mT8_S1D_bDpT10_ENKUlT_T0_E_clISt17integral_constantIbLb0EES1Q_EEDaS1L_S1M_EUlS1L_E_NS1_11comp_targetILNS1_3genE9ELNS1_11target_archE1100ELNS1_3gpuE3ELNS1_3repE0EEENS1_30default_config_static_selectorELNS0_4arch9wavefront6targetE0EEEvSZ_.kd
    .uniform_work_group_size: 1
    .uses_dynamic_stack: false
    .vgpr_count:     57
    .vgpr_spill_count: 0
    .wavefront_size: 32
    .workgroup_processor_mode: 1
  - .args:
      - .offset:         0
        .size:           144
        .value_kind:     by_value
    .group_segment_fixed_size: 0
    .kernarg_segment_align: 8
    .kernarg_segment_size: 144
    .language:       OpenCL C
    .language_version:
      - 2
      - 0
    .max_flat_workgroup_size: 256
    .name:           _ZN7rocprim17ROCPRIM_400000_NS6detail17trampoline_kernelINS0_13select_configILj256ELj13ELNS0_17block_load_methodE3ELS4_3ELS4_3ELNS0_20block_scan_algorithmE0ELj4294967295EEENS1_25partition_config_selectorILNS1_17partition_subalgoE3EjNS0_10empty_typeEbEEZZNS1_14partition_implILS8_3ELb0ES6_jNS0_17counting_iteratorIjlEEPS9_SE_NS0_5tupleIJPjSE_EEENSF_IJSE_SE_EEES9_SG_JZNS1_25segmented_radix_sort_implINS0_14default_configELb0EPK6__halfPSL_PKlPlN2at6native12_GLOBAL__N_18offset_tEEE10hipError_tPvRmT1_PNSt15iterator_traitsISZ_E10value_typeET2_T3_PNS10_IS15_E10value_typeET4_jRbjT5_S1B_jjP12ihipStream_tbEUljE_EEESW_SX_SY_S15_S19_S1B_T6_T7_T9_mT8_S1D_bDpT10_ENKUlT_T0_E_clISt17integral_constantIbLb0EES1Q_EEDaS1L_S1M_EUlS1L_E_NS1_11comp_targetILNS1_3genE8ELNS1_11target_archE1030ELNS1_3gpuE2ELNS1_3repE0EEENS1_30default_config_static_selectorELNS0_4arch9wavefront6targetE0EEEvSZ_
    .private_segment_fixed_size: 0
    .sgpr_count:     0
    .sgpr_spill_count: 0
    .symbol:         _ZN7rocprim17ROCPRIM_400000_NS6detail17trampoline_kernelINS0_13select_configILj256ELj13ELNS0_17block_load_methodE3ELS4_3ELS4_3ELNS0_20block_scan_algorithmE0ELj4294967295EEENS1_25partition_config_selectorILNS1_17partition_subalgoE3EjNS0_10empty_typeEbEEZZNS1_14partition_implILS8_3ELb0ES6_jNS0_17counting_iteratorIjlEEPS9_SE_NS0_5tupleIJPjSE_EEENSF_IJSE_SE_EEES9_SG_JZNS1_25segmented_radix_sort_implINS0_14default_configELb0EPK6__halfPSL_PKlPlN2at6native12_GLOBAL__N_18offset_tEEE10hipError_tPvRmT1_PNSt15iterator_traitsISZ_E10value_typeET2_T3_PNS10_IS15_E10value_typeET4_jRbjT5_S1B_jjP12ihipStream_tbEUljE_EEESW_SX_SY_S15_S19_S1B_T6_T7_T9_mT8_S1D_bDpT10_ENKUlT_T0_E_clISt17integral_constantIbLb0EES1Q_EEDaS1L_S1M_EUlS1L_E_NS1_11comp_targetILNS1_3genE8ELNS1_11target_archE1030ELNS1_3gpuE2ELNS1_3repE0EEENS1_30default_config_static_selectorELNS0_4arch9wavefront6targetE0EEEvSZ_.kd
    .uniform_work_group_size: 1
    .uses_dynamic_stack: false
    .vgpr_count:     0
    .vgpr_spill_count: 0
    .wavefront_size: 32
    .workgroup_processor_mode: 1
  - .args:
      - .offset:         0
        .size:           152
        .value_kind:     by_value
    .group_segment_fixed_size: 0
    .kernarg_segment_align: 8
    .kernarg_segment_size: 152
    .language:       OpenCL C
    .language_version:
      - 2
      - 0
    .max_flat_workgroup_size: 256
    .name:           _ZN7rocprim17ROCPRIM_400000_NS6detail17trampoline_kernelINS0_13select_configILj256ELj13ELNS0_17block_load_methodE3ELS4_3ELS4_3ELNS0_20block_scan_algorithmE0ELj4294967295EEENS1_25partition_config_selectorILNS1_17partition_subalgoE3EjNS0_10empty_typeEbEEZZNS1_14partition_implILS8_3ELb0ES6_jNS0_17counting_iteratorIjlEEPS9_SE_NS0_5tupleIJPjSE_EEENSF_IJSE_SE_EEES9_SG_JZNS1_25segmented_radix_sort_implINS0_14default_configELb0EPK6__halfPSL_PKlPlN2at6native12_GLOBAL__N_18offset_tEEE10hipError_tPvRmT1_PNSt15iterator_traitsISZ_E10value_typeET2_T3_PNS10_IS15_E10value_typeET4_jRbjT5_S1B_jjP12ihipStream_tbEUljE_EEESW_SX_SY_S15_S19_S1B_T6_T7_T9_mT8_S1D_bDpT10_ENKUlT_T0_E_clISt17integral_constantIbLb1EES1Q_EEDaS1L_S1M_EUlS1L_E_NS1_11comp_targetILNS1_3genE0ELNS1_11target_archE4294967295ELNS1_3gpuE0ELNS1_3repE0EEENS1_30default_config_static_selectorELNS0_4arch9wavefront6targetE0EEEvSZ_
    .private_segment_fixed_size: 0
    .sgpr_count:     0
    .sgpr_spill_count: 0
    .symbol:         _ZN7rocprim17ROCPRIM_400000_NS6detail17trampoline_kernelINS0_13select_configILj256ELj13ELNS0_17block_load_methodE3ELS4_3ELS4_3ELNS0_20block_scan_algorithmE0ELj4294967295EEENS1_25partition_config_selectorILNS1_17partition_subalgoE3EjNS0_10empty_typeEbEEZZNS1_14partition_implILS8_3ELb0ES6_jNS0_17counting_iteratorIjlEEPS9_SE_NS0_5tupleIJPjSE_EEENSF_IJSE_SE_EEES9_SG_JZNS1_25segmented_radix_sort_implINS0_14default_configELb0EPK6__halfPSL_PKlPlN2at6native12_GLOBAL__N_18offset_tEEE10hipError_tPvRmT1_PNSt15iterator_traitsISZ_E10value_typeET2_T3_PNS10_IS15_E10value_typeET4_jRbjT5_S1B_jjP12ihipStream_tbEUljE_EEESW_SX_SY_S15_S19_S1B_T6_T7_T9_mT8_S1D_bDpT10_ENKUlT_T0_E_clISt17integral_constantIbLb1EES1Q_EEDaS1L_S1M_EUlS1L_E_NS1_11comp_targetILNS1_3genE0ELNS1_11target_archE4294967295ELNS1_3gpuE0ELNS1_3repE0EEENS1_30default_config_static_selectorELNS0_4arch9wavefront6targetE0EEEvSZ_.kd
    .uniform_work_group_size: 1
    .uses_dynamic_stack: false
    .vgpr_count:     0
    .vgpr_spill_count: 0
    .wavefront_size: 32
    .workgroup_processor_mode: 1
  - .args:
      - .offset:         0
        .size:           152
        .value_kind:     by_value
    .group_segment_fixed_size: 0
    .kernarg_segment_align: 8
    .kernarg_segment_size: 152
    .language:       OpenCL C
    .language_version:
      - 2
      - 0
    .max_flat_workgroup_size: 256
    .name:           _ZN7rocprim17ROCPRIM_400000_NS6detail17trampoline_kernelINS0_13select_configILj256ELj13ELNS0_17block_load_methodE3ELS4_3ELS4_3ELNS0_20block_scan_algorithmE0ELj4294967295EEENS1_25partition_config_selectorILNS1_17partition_subalgoE3EjNS0_10empty_typeEbEEZZNS1_14partition_implILS8_3ELb0ES6_jNS0_17counting_iteratorIjlEEPS9_SE_NS0_5tupleIJPjSE_EEENSF_IJSE_SE_EEES9_SG_JZNS1_25segmented_radix_sort_implINS0_14default_configELb0EPK6__halfPSL_PKlPlN2at6native12_GLOBAL__N_18offset_tEEE10hipError_tPvRmT1_PNSt15iterator_traitsISZ_E10value_typeET2_T3_PNS10_IS15_E10value_typeET4_jRbjT5_S1B_jjP12ihipStream_tbEUljE_EEESW_SX_SY_S15_S19_S1B_T6_T7_T9_mT8_S1D_bDpT10_ENKUlT_T0_E_clISt17integral_constantIbLb1EES1Q_EEDaS1L_S1M_EUlS1L_E_NS1_11comp_targetILNS1_3genE5ELNS1_11target_archE942ELNS1_3gpuE9ELNS1_3repE0EEENS1_30default_config_static_selectorELNS0_4arch9wavefront6targetE0EEEvSZ_
    .private_segment_fixed_size: 0
    .sgpr_count:     0
    .sgpr_spill_count: 0
    .symbol:         _ZN7rocprim17ROCPRIM_400000_NS6detail17trampoline_kernelINS0_13select_configILj256ELj13ELNS0_17block_load_methodE3ELS4_3ELS4_3ELNS0_20block_scan_algorithmE0ELj4294967295EEENS1_25partition_config_selectorILNS1_17partition_subalgoE3EjNS0_10empty_typeEbEEZZNS1_14partition_implILS8_3ELb0ES6_jNS0_17counting_iteratorIjlEEPS9_SE_NS0_5tupleIJPjSE_EEENSF_IJSE_SE_EEES9_SG_JZNS1_25segmented_radix_sort_implINS0_14default_configELb0EPK6__halfPSL_PKlPlN2at6native12_GLOBAL__N_18offset_tEEE10hipError_tPvRmT1_PNSt15iterator_traitsISZ_E10value_typeET2_T3_PNS10_IS15_E10value_typeET4_jRbjT5_S1B_jjP12ihipStream_tbEUljE_EEESW_SX_SY_S15_S19_S1B_T6_T7_T9_mT8_S1D_bDpT10_ENKUlT_T0_E_clISt17integral_constantIbLb1EES1Q_EEDaS1L_S1M_EUlS1L_E_NS1_11comp_targetILNS1_3genE5ELNS1_11target_archE942ELNS1_3gpuE9ELNS1_3repE0EEENS1_30default_config_static_selectorELNS0_4arch9wavefront6targetE0EEEvSZ_.kd
    .uniform_work_group_size: 1
    .uses_dynamic_stack: false
    .vgpr_count:     0
    .vgpr_spill_count: 0
    .wavefront_size: 32
    .workgroup_processor_mode: 1
  - .args:
      - .offset:         0
        .size:           152
        .value_kind:     by_value
    .group_segment_fixed_size: 0
    .kernarg_segment_align: 8
    .kernarg_segment_size: 152
    .language:       OpenCL C
    .language_version:
      - 2
      - 0
    .max_flat_workgroup_size: 256
    .name:           _ZN7rocprim17ROCPRIM_400000_NS6detail17trampoline_kernelINS0_13select_configILj256ELj13ELNS0_17block_load_methodE3ELS4_3ELS4_3ELNS0_20block_scan_algorithmE0ELj4294967295EEENS1_25partition_config_selectorILNS1_17partition_subalgoE3EjNS0_10empty_typeEbEEZZNS1_14partition_implILS8_3ELb0ES6_jNS0_17counting_iteratorIjlEEPS9_SE_NS0_5tupleIJPjSE_EEENSF_IJSE_SE_EEES9_SG_JZNS1_25segmented_radix_sort_implINS0_14default_configELb0EPK6__halfPSL_PKlPlN2at6native12_GLOBAL__N_18offset_tEEE10hipError_tPvRmT1_PNSt15iterator_traitsISZ_E10value_typeET2_T3_PNS10_IS15_E10value_typeET4_jRbjT5_S1B_jjP12ihipStream_tbEUljE_EEESW_SX_SY_S15_S19_S1B_T6_T7_T9_mT8_S1D_bDpT10_ENKUlT_T0_E_clISt17integral_constantIbLb1EES1Q_EEDaS1L_S1M_EUlS1L_E_NS1_11comp_targetILNS1_3genE4ELNS1_11target_archE910ELNS1_3gpuE8ELNS1_3repE0EEENS1_30default_config_static_selectorELNS0_4arch9wavefront6targetE0EEEvSZ_
    .private_segment_fixed_size: 0
    .sgpr_count:     0
    .sgpr_spill_count: 0
    .symbol:         _ZN7rocprim17ROCPRIM_400000_NS6detail17trampoline_kernelINS0_13select_configILj256ELj13ELNS0_17block_load_methodE3ELS4_3ELS4_3ELNS0_20block_scan_algorithmE0ELj4294967295EEENS1_25partition_config_selectorILNS1_17partition_subalgoE3EjNS0_10empty_typeEbEEZZNS1_14partition_implILS8_3ELb0ES6_jNS0_17counting_iteratorIjlEEPS9_SE_NS0_5tupleIJPjSE_EEENSF_IJSE_SE_EEES9_SG_JZNS1_25segmented_radix_sort_implINS0_14default_configELb0EPK6__halfPSL_PKlPlN2at6native12_GLOBAL__N_18offset_tEEE10hipError_tPvRmT1_PNSt15iterator_traitsISZ_E10value_typeET2_T3_PNS10_IS15_E10value_typeET4_jRbjT5_S1B_jjP12ihipStream_tbEUljE_EEESW_SX_SY_S15_S19_S1B_T6_T7_T9_mT8_S1D_bDpT10_ENKUlT_T0_E_clISt17integral_constantIbLb1EES1Q_EEDaS1L_S1M_EUlS1L_E_NS1_11comp_targetILNS1_3genE4ELNS1_11target_archE910ELNS1_3gpuE8ELNS1_3repE0EEENS1_30default_config_static_selectorELNS0_4arch9wavefront6targetE0EEEvSZ_.kd
    .uniform_work_group_size: 1
    .uses_dynamic_stack: false
    .vgpr_count:     0
    .vgpr_spill_count: 0
    .wavefront_size: 32
    .workgroup_processor_mode: 1
  - .args:
      - .offset:         0
        .size:           152
        .value_kind:     by_value
    .group_segment_fixed_size: 0
    .kernarg_segment_align: 8
    .kernarg_segment_size: 152
    .language:       OpenCL C
    .language_version:
      - 2
      - 0
    .max_flat_workgroup_size: 256
    .name:           _ZN7rocprim17ROCPRIM_400000_NS6detail17trampoline_kernelINS0_13select_configILj256ELj13ELNS0_17block_load_methodE3ELS4_3ELS4_3ELNS0_20block_scan_algorithmE0ELj4294967295EEENS1_25partition_config_selectorILNS1_17partition_subalgoE3EjNS0_10empty_typeEbEEZZNS1_14partition_implILS8_3ELb0ES6_jNS0_17counting_iteratorIjlEEPS9_SE_NS0_5tupleIJPjSE_EEENSF_IJSE_SE_EEES9_SG_JZNS1_25segmented_radix_sort_implINS0_14default_configELb0EPK6__halfPSL_PKlPlN2at6native12_GLOBAL__N_18offset_tEEE10hipError_tPvRmT1_PNSt15iterator_traitsISZ_E10value_typeET2_T3_PNS10_IS15_E10value_typeET4_jRbjT5_S1B_jjP12ihipStream_tbEUljE_EEESW_SX_SY_S15_S19_S1B_T6_T7_T9_mT8_S1D_bDpT10_ENKUlT_T0_E_clISt17integral_constantIbLb1EES1Q_EEDaS1L_S1M_EUlS1L_E_NS1_11comp_targetILNS1_3genE3ELNS1_11target_archE908ELNS1_3gpuE7ELNS1_3repE0EEENS1_30default_config_static_selectorELNS0_4arch9wavefront6targetE0EEEvSZ_
    .private_segment_fixed_size: 0
    .sgpr_count:     0
    .sgpr_spill_count: 0
    .symbol:         _ZN7rocprim17ROCPRIM_400000_NS6detail17trampoline_kernelINS0_13select_configILj256ELj13ELNS0_17block_load_methodE3ELS4_3ELS4_3ELNS0_20block_scan_algorithmE0ELj4294967295EEENS1_25partition_config_selectorILNS1_17partition_subalgoE3EjNS0_10empty_typeEbEEZZNS1_14partition_implILS8_3ELb0ES6_jNS0_17counting_iteratorIjlEEPS9_SE_NS0_5tupleIJPjSE_EEENSF_IJSE_SE_EEES9_SG_JZNS1_25segmented_radix_sort_implINS0_14default_configELb0EPK6__halfPSL_PKlPlN2at6native12_GLOBAL__N_18offset_tEEE10hipError_tPvRmT1_PNSt15iterator_traitsISZ_E10value_typeET2_T3_PNS10_IS15_E10value_typeET4_jRbjT5_S1B_jjP12ihipStream_tbEUljE_EEESW_SX_SY_S15_S19_S1B_T6_T7_T9_mT8_S1D_bDpT10_ENKUlT_T0_E_clISt17integral_constantIbLb1EES1Q_EEDaS1L_S1M_EUlS1L_E_NS1_11comp_targetILNS1_3genE3ELNS1_11target_archE908ELNS1_3gpuE7ELNS1_3repE0EEENS1_30default_config_static_selectorELNS0_4arch9wavefront6targetE0EEEvSZ_.kd
    .uniform_work_group_size: 1
    .uses_dynamic_stack: false
    .vgpr_count:     0
    .vgpr_spill_count: 0
    .wavefront_size: 32
    .workgroup_processor_mode: 1
  - .args:
      - .offset:         0
        .size:           152
        .value_kind:     by_value
    .group_segment_fixed_size: 0
    .kernarg_segment_align: 8
    .kernarg_segment_size: 152
    .language:       OpenCL C
    .language_version:
      - 2
      - 0
    .max_flat_workgroup_size: 256
    .name:           _ZN7rocprim17ROCPRIM_400000_NS6detail17trampoline_kernelINS0_13select_configILj256ELj13ELNS0_17block_load_methodE3ELS4_3ELS4_3ELNS0_20block_scan_algorithmE0ELj4294967295EEENS1_25partition_config_selectorILNS1_17partition_subalgoE3EjNS0_10empty_typeEbEEZZNS1_14partition_implILS8_3ELb0ES6_jNS0_17counting_iteratorIjlEEPS9_SE_NS0_5tupleIJPjSE_EEENSF_IJSE_SE_EEES9_SG_JZNS1_25segmented_radix_sort_implINS0_14default_configELb0EPK6__halfPSL_PKlPlN2at6native12_GLOBAL__N_18offset_tEEE10hipError_tPvRmT1_PNSt15iterator_traitsISZ_E10value_typeET2_T3_PNS10_IS15_E10value_typeET4_jRbjT5_S1B_jjP12ihipStream_tbEUljE_EEESW_SX_SY_S15_S19_S1B_T6_T7_T9_mT8_S1D_bDpT10_ENKUlT_T0_E_clISt17integral_constantIbLb1EES1Q_EEDaS1L_S1M_EUlS1L_E_NS1_11comp_targetILNS1_3genE2ELNS1_11target_archE906ELNS1_3gpuE6ELNS1_3repE0EEENS1_30default_config_static_selectorELNS0_4arch9wavefront6targetE0EEEvSZ_
    .private_segment_fixed_size: 0
    .sgpr_count:     0
    .sgpr_spill_count: 0
    .symbol:         _ZN7rocprim17ROCPRIM_400000_NS6detail17trampoline_kernelINS0_13select_configILj256ELj13ELNS0_17block_load_methodE3ELS4_3ELS4_3ELNS0_20block_scan_algorithmE0ELj4294967295EEENS1_25partition_config_selectorILNS1_17partition_subalgoE3EjNS0_10empty_typeEbEEZZNS1_14partition_implILS8_3ELb0ES6_jNS0_17counting_iteratorIjlEEPS9_SE_NS0_5tupleIJPjSE_EEENSF_IJSE_SE_EEES9_SG_JZNS1_25segmented_radix_sort_implINS0_14default_configELb0EPK6__halfPSL_PKlPlN2at6native12_GLOBAL__N_18offset_tEEE10hipError_tPvRmT1_PNSt15iterator_traitsISZ_E10value_typeET2_T3_PNS10_IS15_E10value_typeET4_jRbjT5_S1B_jjP12ihipStream_tbEUljE_EEESW_SX_SY_S15_S19_S1B_T6_T7_T9_mT8_S1D_bDpT10_ENKUlT_T0_E_clISt17integral_constantIbLb1EES1Q_EEDaS1L_S1M_EUlS1L_E_NS1_11comp_targetILNS1_3genE2ELNS1_11target_archE906ELNS1_3gpuE6ELNS1_3repE0EEENS1_30default_config_static_selectorELNS0_4arch9wavefront6targetE0EEEvSZ_.kd
    .uniform_work_group_size: 1
    .uses_dynamic_stack: false
    .vgpr_count:     0
    .vgpr_spill_count: 0
    .wavefront_size: 32
    .workgroup_processor_mode: 1
  - .args:
      - .offset:         0
        .size:           152
        .value_kind:     by_value
    .group_segment_fixed_size: 0
    .kernarg_segment_align: 8
    .kernarg_segment_size: 152
    .language:       OpenCL C
    .language_version:
      - 2
      - 0
    .max_flat_workgroup_size: 256
    .name:           _ZN7rocprim17ROCPRIM_400000_NS6detail17trampoline_kernelINS0_13select_configILj256ELj13ELNS0_17block_load_methodE3ELS4_3ELS4_3ELNS0_20block_scan_algorithmE0ELj4294967295EEENS1_25partition_config_selectorILNS1_17partition_subalgoE3EjNS0_10empty_typeEbEEZZNS1_14partition_implILS8_3ELb0ES6_jNS0_17counting_iteratorIjlEEPS9_SE_NS0_5tupleIJPjSE_EEENSF_IJSE_SE_EEES9_SG_JZNS1_25segmented_radix_sort_implINS0_14default_configELb0EPK6__halfPSL_PKlPlN2at6native12_GLOBAL__N_18offset_tEEE10hipError_tPvRmT1_PNSt15iterator_traitsISZ_E10value_typeET2_T3_PNS10_IS15_E10value_typeET4_jRbjT5_S1B_jjP12ihipStream_tbEUljE_EEESW_SX_SY_S15_S19_S1B_T6_T7_T9_mT8_S1D_bDpT10_ENKUlT_T0_E_clISt17integral_constantIbLb1EES1Q_EEDaS1L_S1M_EUlS1L_E_NS1_11comp_targetILNS1_3genE10ELNS1_11target_archE1200ELNS1_3gpuE4ELNS1_3repE0EEENS1_30default_config_static_selectorELNS0_4arch9wavefront6targetE0EEEvSZ_
    .private_segment_fixed_size: 0
    .sgpr_count:     0
    .sgpr_spill_count: 0
    .symbol:         _ZN7rocprim17ROCPRIM_400000_NS6detail17trampoline_kernelINS0_13select_configILj256ELj13ELNS0_17block_load_methodE3ELS4_3ELS4_3ELNS0_20block_scan_algorithmE0ELj4294967295EEENS1_25partition_config_selectorILNS1_17partition_subalgoE3EjNS0_10empty_typeEbEEZZNS1_14partition_implILS8_3ELb0ES6_jNS0_17counting_iteratorIjlEEPS9_SE_NS0_5tupleIJPjSE_EEENSF_IJSE_SE_EEES9_SG_JZNS1_25segmented_radix_sort_implINS0_14default_configELb0EPK6__halfPSL_PKlPlN2at6native12_GLOBAL__N_18offset_tEEE10hipError_tPvRmT1_PNSt15iterator_traitsISZ_E10value_typeET2_T3_PNS10_IS15_E10value_typeET4_jRbjT5_S1B_jjP12ihipStream_tbEUljE_EEESW_SX_SY_S15_S19_S1B_T6_T7_T9_mT8_S1D_bDpT10_ENKUlT_T0_E_clISt17integral_constantIbLb1EES1Q_EEDaS1L_S1M_EUlS1L_E_NS1_11comp_targetILNS1_3genE10ELNS1_11target_archE1200ELNS1_3gpuE4ELNS1_3repE0EEENS1_30default_config_static_selectorELNS0_4arch9wavefront6targetE0EEEvSZ_.kd
    .uniform_work_group_size: 1
    .uses_dynamic_stack: false
    .vgpr_count:     0
    .vgpr_spill_count: 0
    .wavefront_size: 32
    .workgroup_processor_mode: 1
  - .args:
      - .offset:         0
        .size:           152
        .value_kind:     by_value
    .group_segment_fixed_size: 13324
    .kernarg_segment_align: 8
    .kernarg_segment_size: 152
    .language:       OpenCL C
    .language_version:
      - 2
      - 0
    .max_flat_workgroup_size: 256
    .name:           _ZN7rocprim17ROCPRIM_400000_NS6detail17trampoline_kernelINS0_13select_configILj256ELj13ELNS0_17block_load_methodE3ELS4_3ELS4_3ELNS0_20block_scan_algorithmE0ELj4294967295EEENS1_25partition_config_selectorILNS1_17partition_subalgoE3EjNS0_10empty_typeEbEEZZNS1_14partition_implILS8_3ELb0ES6_jNS0_17counting_iteratorIjlEEPS9_SE_NS0_5tupleIJPjSE_EEENSF_IJSE_SE_EEES9_SG_JZNS1_25segmented_radix_sort_implINS0_14default_configELb0EPK6__halfPSL_PKlPlN2at6native12_GLOBAL__N_18offset_tEEE10hipError_tPvRmT1_PNSt15iterator_traitsISZ_E10value_typeET2_T3_PNS10_IS15_E10value_typeET4_jRbjT5_S1B_jjP12ihipStream_tbEUljE_EEESW_SX_SY_S15_S19_S1B_T6_T7_T9_mT8_S1D_bDpT10_ENKUlT_T0_E_clISt17integral_constantIbLb1EES1Q_EEDaS1L_S1M_EUlS1L_E_NS1_11comp_targetILNS1_3genE9ELNS1_11target_archE1100ELNS1_3gpuE3ELNS1_3repE0EEENS1_30default_config_static_selectorELNS0_4arch9wavefront6targetE0EEEvSZ_
    .private_segment_fixed_size: 0
    .sgpr_count:     28
    .sgpr_spill_count: 0
    .symbol:         _ZN7rocprim17ROCPRIM_400000_NS6detail17trampoline_kernelINS0_13select_configILj256ELj13ELNS0_17block_load_methodE3ELS4_3ELS4_3ELNS0_20block_scan_algorithmE0ELj4294967295EEENS1_25partition_config_selectorILNS1_17partition_subalgoE3EjNS0_10empty_typeEbEEZZNS1_14partition_implILS8_3ELb0ES6_jNS0_17counting_iteratorIjlEEPS9_SE_NS0_5tupleIJPjSE_EEENSF_IJSE_SE_EEES9_SG_JZNS1_25segmented_radix_sort_implINS0_14default_configELb0EPK6__halfPSL_PKlPlN2at6native12_GLOBAL__N_18offset_tEEE10hipError_tPvRmT1_PNSt15iterator_traitsISZ_E10value_typeET2_T3_PNS10_IS15_E10value_typeET4_jRbjT5_S1B_jjP12ihipStream_tbEUljE_EEESW_SX_SY_S15_S19_S1B_T6_T7_T9_mT8_S1D_bDpT10_ENKUlT_T0_E_clISt17integral_constantIbLb1EES1Q_EEDaS1L_S1M_EUlS1L_E_NS1_11comp_targetILNS1_3genE9ELNS1_11target_archE1100ELNS1_3gpuE3ELNS1_3repE0EEENS1_30default_config_static_selectorELNS0_4arch9wavefront6targetE0EEEvSZ_.kd
    .uniform_work_group_size: 1
    .uses_dynamic_stack: false
    .vgpr_count:     60
    .vgpr_spill_count: 0
    .wavefront_size: 32
    .workgroup_processor_mode: 1
  - .args:
      - .offset:         0
        .size:           152
        .value_kind:     by_value
    .group_segment_fixed_size: 0
    .kernarg_segment_align: 8
    .kernarg_segment_size: 152
    .language:       OpenCL C
    .language_version:
      - 2
      - 0
    .max_flat_workgroup_size: 256
    .name:           _ZN7rocprim17ROCPRIM_400000_NS6detail17trampoline_kernelINS0_13select_configILj256ELj13ELNS0_17block_load_methodE3ELS4_3ELS4_3ELNS0_20block_scan_algorithmE0ELj4294967295EEENS1_25partition_config_selectorILNS1_17partition_subalgoE3EjNS0_10empty_typeEbEEZZNS1_14partition_implILS8_3ELb0ES6_jNS0_17counting_iteratorIjlEEPS9_SE_NS0_5tupleIJPjSE_EEENSF_IJSE_SE_EEES9_SG_JZNS1_25segmented_radix_sort_implINS0_14default_configELb0EPK6__halfPSL_PKlPlN2at6native12_GLOBAL__N_18offset_tEEE10hipError_tPvRmT1_PNSt15iterator_traitsISZ_E10value_typeET2_T3_PNS10_IS15_E10value_typeET4_jRbjT5_S1B_jjP12ihipStream_tbEUljE_EEESW_SX_SY_S15_S19_S1B_T6_T7_T9_mT8_S1D_bDpT10_ENKUlT_T0_E_clISt17integral_constantIbLb1EES1Q_EEDaS1L_S1M_EUlS1L_E_NS1_11comp_targetILNS1_3genE8ELNS1_11target_archE1030ELNS1_3gpuE2ELNS1_3repE0EEENS1_30default_config_static_selectorELNS0_4arch9wavefront6targetE0EEEvSZ_
    .private_segment_fixed_size: 0
    .sgpr_count:     0
    .sgpr_spill_count: 0
    .symbol:         _ZN7rocprim17ROCPRIM_400000_NS6detail17trampoline_kernelINS0_13select_configILj256ELj13ELNS0_17block_load_methodE3ELS4_3ELS4_3ELNS0_20block_scan_algorithmE0ELj4294967295EEENS1_25partition_config_selectorILNS1_17partition_subalgoE3EjNS0_10empty_typeEbEEZZNS1_14partition_implILS8_3ELb0ES6_jNS0_17counting_iteratorIjlEEPS9_SE_NS0_5tupleIJPjSE_EEENSF_IJSE_SE_EEES9_SG_JZNS1_25segmented_radix_sort_implINS0_14default_configELb0EPK6__halfPSL_PKlPlN2at6native12_GLOBAL__N_18offset_tEEE10hipError_tPvRmT1_PNSt15iterator_traitsISZ_E10value_typeET2_T3_PNS10_IS15_E10value_typeET4_jRbjT5_S1B_jjP12ihipStream_tbEUljE_EEESW_SX_SY_S15_S19_S1B_T6_T7_T9_mT8_S1D_bDpT10_ENKUlT_T0_E_clISt17integral_constantIbLb1EES1Q_EEDaS1L_S1M_EUlS1L_E_NS1_11comp_targetILNS1_3genE8ELNS1_11target_archE1030ELNS1_3gpuE2ELNS1_3repE0EEENS1_30default_config_static_selectorELNS0_4arch9wavefront6targetE0EEEvSZ_.kd
    .uniform_work_group_size: 1
    .uses_dynamic_stack: false
    .vgpr_count:     0
    .vgpr_spill_count: 0
    .wavefront_size: 32
    .workgroup_processor_mode: 1
  - .args:
      - .offset:         0
        .size:           144
        .value_kind:     by_value
    .group_segment_fixed_size: 0
    .kernarg_segment_align: 8
    .kernarg_segment_size: 144
    .language:       OpenCL C
    .language_version:
      - 2
      - 0
    .max_flat_workgroup_size: 256
    .name:           _ZN7rocprim17ROCPRIM_400000_NS6detail17trampoline_kernelINS0_13select_configILj256ELj13ELNS0_17block_load_methodE3ELS4_3ELS4_3ELNS0_20block_scan_algorithmE0ELj4294967295EEENS1_25partition_config_selectorILNS1_17partition_subalgoE3EjNS0_10empty_typeEbEEZZNS1_14partition_implILS8_3ELb0ES6_jNS0_17counting_iteratorIjlEEPS9_SE_NS0_5tupleIJPjSE_EEENSF_IJSE_SE_EEES9_SG_JZNS1_25segmented_radix_sort_implINS0_14default_configELb0EPK6__halfPSL_PKlPlN2at6native12_GLOBAL__N_18offset_tEEE10hipError_tPvRmT1_PNSt15iterator_traitsISZ_E10value_typeET2_T3_PNS10_IS15_E10value_typeET4_jRbjT5_S1B_jjP12ihipStream_tbEUljE_EEESW_SX_SY_S15_S19_S1B_T6_T7_T9_mT8_S1D_bDpT10_ENKUlT_T0_E_clISt17integral_constantIbLb1EES1P_IbLb0EEEEDaS1L_S1M_EUlS1L_E_NS1_11comp_targetILNS1_3genE0ELNS1_11target_archE4294967295ELNS1_3gpuE0ELNS1_3repE0EEENS1_30default_config_static_selectorELNS0_4arch9wavefront6targetE0EEEvSZ_
    .private_segment_fixed_size: 0
    .sgpr_count:     0
    .sgpr_spill_count: 0
    .symbol:         _ZN7rocprim17ROCPRIM_400000_NS6detail17trampoline_kernelINS0_13select_configILj256ELj13ELNS0_17block_load_methodE3ELS4_3ELS4_3ELNS0_20block_scan_algorithmE0ELj4294967295EEENS1_25partition_config_selectorILNS1_17partition_subalgoE3EjNS0_10empty_typeEbEEZZNS1_14partition_implILS8_3ELb0ES6_jNS0_17counting_iteratorIjlEEPS9_SE_NS0_5tupleIJPjSE_EEENSF_IJSE_SE_EEES9_SG_JZNS1_25segmented_radix_sort_implINS0_14default_configELb0EPK6__halfPSL_PKlPlN2at6native12_GLOBAL__N_18offset_tEEE10hipError_tPvRmT1_PNSt15iterator_traitsISZ_E10value_typeET2_T3_PNS10_IS15_E10value_typeET4_jRbjT5_S1B_jjP12ihipStream_tbEUljE_EEESW_SX_SY_S15_S19_S1B_T6_T7_T9_mT8_S1D_bDpT10_ENKUlT_T0_E_clISt17integral_constantIbLb1EES1P_IbLb0EEEEDaS1L_S1M_EUlS1L_E_NS1_11comp_targetILNS1_3genE0ELNS1_11target_archE4294967295ELNS1_3gpuE0ELNS1_3repE0EEENS1_30default_config_static_selectorELNS0_4arch9wavefront6targetE0EEEvSZ_.kd
    .uniform_work_group_size: 1
    .uses_dynamic_stack: false
    .vgpr_count:     0
    .vgpr_spill_count: 0
    .wavefront_size: 32
    .workgroup_processor_mode: 1
  - .args:
      - .offset:         0
        .size:           144
        .value_kind:     by_value
    .group_segment_fixed_size: 0
    .kernarg_segment_align: 8
    .kernarg_segment_size: 144
    .language:       OpenCL C
    .language_version:
      - 2
      - 0
    .max_flat_workgroup_size: 256
    .name:           _ZN7rocprim17ROCPRIM_400000_NS6detail17trampoline_kernelINS0_13select_configILj256ELj13ELNS0_17block_load_methodE3ELS4_3ELS4_3ELNS0_20block_scan_algorithmE0ELj4294967295EEENS1_25partition_config_selectorILNS1_17partition_subalgoE3EjNS0_10empty_typeEbEEZZNS1_14partition_implILS8_3ELb0ES6_jNS0_17counting_iteratorIjlEEPS9_SE_NS0_5tupleIJPjSE_EEENSF_IJSE_SE_EEES9_SG_JZNS1_25segmented_radix_sort_implINS0_14default_configELb0EPK6__halfPSL_PKlPlN2at6native12_GLOBAL__N_18offset_tEEE10hipError_tPvRmT1_PNSt15iterator_traitsISZ_E10value_typeET2_T3_PNS10_IS15_E10value_typeET4_jRbjT5_S1B_jjP12ihipStream_tbEUljE_EEESW_SX_SY_S15_S19_S1B_T6_T7_T9_mT8_S1D_bDpT10_ENKUlT_T0_E_clISt17integral_constantIbLb1EES1P_IbLb0EEEEDaS1L_S1M_EUlS1L_E_NS1_11comp_targetILNS1_3genE5ELNS1_11target_archE942ELNS1_3gpuE9ELNS1_3repE0EEENS1_30default_config_static_selectorELNS0_4arch9wavefront6targetE0EEEvSZ_
    .private_segment_fixed_size: 0
    .sgpr_count:     0
    .sgpr_spill_count: 0
    .symbol:         _ZN7rocprim17ROCPRIM_400000_NS6detail17trampoline_kernelINS0_13select_configILj256ELj13ELNS0_17block_load_methodE3ELS4_3ELS4_3ELNS0_20block_scan_algorithmE0ELj4294967295EEENS1_25partition_config_selectorILNS1_17partition_subalgoE3EjNS0_10empty_typeEbEEZZNS1_14partition_implILS8_3ELb0ES6_jNS0_17counting_iteratorIjlEEPS9_SE_NS0_5tupleIJPjSE_EEENSF_IJSE_SE_EEES9_SG_JZNS1_25segmented_radix_sort_implINS0_14default_configELb0EPK6__halfPSL_PKlPlN2at6native12_GLOBAL__N_18offset_tEEE10hipError_tPvRmT1_PNSt15iterator_traitsISZ_E10value_typeET2_T3_PNS10_IS15_E10value_typeET4_jRbjT5_S1B_jjP12ihipStream_tbEUljE_EEESW_SX_SY_S15_S19_S1B_T6_T7_T9_mT8_S1D_bDpT10_ENKUlT_T0_E_clISt17integral_constantIbLb1EES1P_IbLb0EEEEDaS1L_S1M_EUlS1L_E_NS1_11comp_targetILNS1_3genE5ELNS1_11target_archE942ELNS1_3gpuE9ELNS1_3repE0EEENS1_30default_config_static_selectorELNS0_4arch9wavefront6targetE0EEEvSZ_.kd
    .uniform_work_group_size: 1
    .uses_dynamic_stack: false
    .vgpr_count:     0
    .vgpr_spill_count: 0
    .wavefront_size: 32
    .workgroup_processor_mode: 1
  - .args:
      - .offset:         0
        .size:           144
        .value_kind:     by_value
    .group_segment_fixed_size: 0
    .kernarg_segment_align: 8
    .kernarg_segment_size: 144
    .language:       OpenCL C
    .language_version:
      - 2
      - 0
    .max_flat_workgroup_size: 256
    .name:           _ZN7rocprim17ROCPRIM_400000_NS6detail17trampoline_kernelINS0_13select_configILj256ELj13ELNS0_17block_load_methodE3ELS4_3ELS4_3ELNS0_20block_scan_algorithmE0ELj4294967295EEENS1_25partition_config_selectorILNS1_17partition_subalgoE3EjNS0_10empty_typeEbEEZZNS1_14partition_implILS8_3ELb0ES6_jNS0_17counting_iteratorIjlEEPS9_SE_NS0_5tupleIJPjSE_EEENSF_IJSE_SE_EEES9_SG_JZNS1_25segmented_radix_sort_implINS0_14default_configELb0EPK6__halfPSL_PKlPlN2at6native12_GLOBAL__N_18offset_tEEE10hipError_tPvRmT1_PNSt15iterator_traitsISZ_E10value_typeET2_T3_PNS10_IS15_E10value_typeET4_jRbjT5_S1B_jjP12ihipStream_tbEUljE_EEESW_SX_SY_S15_S19_S1B_T6_T7_T9_mT8_S1D_bDpT10_ENKUlT_T0_E_clISt17integral_constantIbLb1EES1P_IbLb0EEEEDaS1L_S1M_EUlS1L_E_NS1_11comp_targetILNS1_3genE4ELNS1_11target_archE910ELNS1_3gpuE8ELNS1_3repE0EEENS1_30default_config_static_selectorELNS0_4arch9wavefront6targetE0EEEvSZ_
    .private_segment_fixed_size: 0
    .sgpr_count:     0
    .sgpr_spill_count: 0
    .symbol:         _ZN7rocprim17ROCPRIM_400000_NS6detail17trampoline_kernelINS0_13select_configILj256ELj13ELNS0_17block_load_methodE3ELS4_3ELS4_3ELNS0_20block_scan_algorithmE0ELj4294967295EEENS1_25partition_config_selectorILNS1_17partition_subalgoE3EjNS0_10empty_typeEbEEZZNS1_14partition_implILS8_3ELb0ES6_jNS0_17counting_iteratorIjlEEPS9_SE_NS0_5tupleIJPjSE_EEENSF_IJSE_SE_EEES9_SG_JZNS1_25segmented_radix_sort_implINS0_14default_configELb0EPK6__halfPSL_PKlPlN2at6native12_GLOBAL__N_18offset_tEEE10hipError_tPvRmT1_PNSt15iterator_traitsISZ_E10value_typeET2_T3_PNS10_IS15_E10value_typeET4_jRbjT5_S1B_jjP12ihipStream_tbEUljE_EEESW_SX_SY_S15_S19_S1B_T6_T7_T9_mT8_S1D_bDpT10_ENKUlT_T0_E_clISt17integral_constantIbLb1EES1P_IbLb0EEEEDaS1L_S1M_EUlS1L_E_NS1_11comp_targetILNS1_3genE4ELNS1_11target_archE910ELNS1_3gpuE8ELNS1_3repE0EEENS1_30default_config_static_selectorELNS0_4arch9wavefront6targetE0EEEvSZ_.kd
    .uniform_work_group_size: 1
    .uses_dynamic_stack: false
    .vgpr_count:     0
    .vgpr_spill_count: 0
    .wavefront_size: 32
    .workgroup_processor_mode: 1
  - .args:
      - .offset:         0
        .size:           144
        .value_kind:     by_value
    .group_segment_fixed_size: 0
    .kernarg_segment_align: 8
    .kernarg_segment_size: 144
    .language:       OpenCL C
    .language_version:
      - 2
      - 0
    .max_flat_workgroup_size: 256
    .name:           _ZN7rocprim17ROCPRIM_400000_NS6detail17trampoline_kernelINS0_13select_configILj256ELj13ELNS0_17block_load_methodE3ELS4_3ELS4_3ELNS0_20block_scan_algorithmE0ELj4294967295EEENS1_25partition_config_selectorILNS1_17partition_subalgoE3EjNS0_10empty_typeEbEEZZNS1_14partition_implILS8_3ELb0ES6_jNS0_17counting_iteratorIjlEEPS9_SE_NS0_5tupleIJPjSE_EEENSF_IJSE_SE_EEES9_SG_JZNS1_25segmented_radix_sort_implINS0_14default_configELb0EPK6__halfPSL_PKlPlN2at6native12_GLOBAL__N_18offset_tEEE10hipError_tPvRmT1_PNSt15iterator_traitsISZ_E10value_typeET2_T3_PNS10_IS15_E10value_typeET4_jRbjT5_S1B_jjP12ihipStream_tbEUljE_EEESW_SX_SY_S15_S19_S1B_T6_T7_T9_mT8_S1D_bDpT10_ENKUlT_T0_E_clISt17integral_constantIbLb1EES1P_IbLb0EEEEDaS1L_S1M_EUlS1L_E_NS1_11comp_targetILNS1_3genE3ELNS1_11target_archE908ELNS1_3gpuE7ELNS1_3repE0EEENS1_30default_config_static_selectorELNS0_4arch9wavefront6targetE0EEEvSZ_
    .private_segment_fixed_size: 0
    .sgpr_count:     0
    .sgpr_spill_count: 0
    .symbol:         _ZN7rocprim17ROCPRIM_400000_NS6detail17trampoline_kernelINS0_13select_configILj256ELj13ELNS0_17block_load_methodE3ELS4_3ELS4_3ELNS0_20block_scan_algorithmE0ELj4294967295EEENS1_25partition_config_selectorILNS1_17partition_subalgoE3EjNS0_10empty_typeEbEEZZNS1_14partition_implILS8_3ELb0ES6_jNS0_17counting_iteratorIjlEEPS9_SE_NS0_5tupleIJPjSE_EEENSF_IJSE_SE_EEES9_SG_JZNS1_25segmented_radix_sort_implINS0_14default_configELb0EPK6__halfPSL_PKlPlN2at6native12_GLOBAL__N_18offset_tEEE10hipError_tPvRmT1_PNSt15iterator_traitsISZ_E10value_typeET2_T3_PNS10_IS15_E10value_typeET4_jRbjT5_S1B_jjP12ihipStream_tbEUljE_EEESW_SX_SY_S15_S19_S1B_T6_T7_T9_mT8_S1D_bDpT10_ENKUlT_T0_E_clISt17integral_constantIbLb1EES1P_IbLb0EEEEDaS1L_S1M_EUlS1L_E_NS1_11comp_targetILNS1_3genE3ELNS1_11target_archE908ELNS1_3gpuE7ELNS1_3repE0EEENS1_30default_config_static_selectorELNS0_4arch9wavefront6targetE0EEEvSZ_.kd
    .uniform_work_group_size: 1
    .uses_dynamic_stack: false
    .vgpr_count:     0
    .vgpr_spill_count: 0
    .wavefront_size: 32
    .workgroup_processor_mode: 1
  - .args:
      - .offset:         0
        .size:           144
        .value_kind:     by_value
    .group_segment_fixed_size: 0
    .kernarg_segment_align: 8
    .kernarg_segment_size: 144
    .language:       OpenCL C
    .language_version:
      - 2
      - 0
    .max_flat_workgroup_size: 256
    .name:           _ZN7rocprim17ROCPRIM_400000_NS6detail17trampoline_kernelINS0_13select_configILj256ELj13ELNS0_17block_load_methodE3ELS4_3ELS4_3ELNS0_20block_scan_algorithmE0ELj4294967295EEENS1_25partition_config_selectorILNS1_17partition_subalgoE3EjNS0_10empty_typeEbEEZZNS1_14partition_implILS8_3ELb0ES6_jNS0_17counting_iteratorIjlEEPS9_SE_NS0_5tupleIJPjSE_EEENSF_IJSE_SE_EEES9_SG_JZNS1_25segmented_radix_sort_implINS0_14default_configELb0EPK6__halfPSL_PKlPlN2at6native12_GLOBAL__N_18offset_tEEE10hipError_tPvRmT1_PNSt15iterator_traitsISZ_E10value_typeET2_T3_PNS10_IS15_E10value_typeET4_jRbjT5_S1B_jjP12ihipStream_tbEUljE_EEESW_SX_SY_S15_S19_S1B_T6_T7_T9_mT8_S1D_bDpT10_ENKUlT_T0_E_clISt17integral_constantIbLb1EES1P_IbLb0EEEEDaS1L_S1M_EUlS1L_E_NS1_11comp_targetILNS1_3genE2ELNS1_11target_archE906ELNS1_3gpuE6ELNS1_3repE0EEENS1_30default_config_static_selectorELNS0_4arch9wavefront6targetE0EEEvSZ_
    .private_segment_fixed_size: 0
    .sgpr_count:     0
    .sgpr_spill_count: 0
    .symbol:         _ZN7rocprim17ROCPRIM_400000_NS6detail17trampoline_kernelINS0_13select_configILj256ELj13ELNS0_17block_load_methodE3ELS4_3ELS4_3ELNS0_20block_scan_algorithmE0ELj4294967295EEENS1_25partition_config_selectorILNS1_17partition_subalgoE3EjNS0_10empty_typeEbEEZZNS1_14partition_implILS8_3ELb0ES6_jNS0_17counting_iteratorIjlEEPS9_SE_NS0_5tupleIJPjSE_EEENSF_IJSE_SE_EEES9_SG_JZNS1_25segmented_radix_sort_implINS0_14default_configELb0EPK6__halfPSL_PKlPlN2at6native12_GLOBAL__N_18offset_tEEE10hipError_tPvRmT1_PNSt15iterator_traitsISZ_E10value_typeET2_T3_PNS10_IS15_E10value_typeET4_jRbjT5_S1B_jjP12ihipStream_tbEUljE_EEESW_SX_SY_S15_S19_S1B_T6_T7_T9_mT8_S1D_bDpT10_ENKUlT_T0_E_clISt17integral_constantIbLb1EES1P_IbLb0EEEEDaS1L_S1M_EUlS1L_E_NS1_11comp_targetILNS1_3genE2ELNS1_11target_archE906ELNS1_3gpuE6ELNS1_3repE0EEENS1_30default_config_static_selectorELNS0_4arch9wavefront6targetE0EEEvSZ_.kd
    .uniform_work_group_size: 1
    .uses_dynamic_stack: false
    .vgpr_count:     0
    .vgpr_spill_count: 0
    .wavefront_size: 32
    .workgroup_processor_mode: 1
  - .args:
      - .offset:         0
        .size:           144
        .value_kind:     by_value
    .group_segment_fixed_size: 0
    .kernarg_segment_align: 8
    .kernarg_segment_size: 144
    .language:       OpenCL C
    .language_version:
      - 2
      - 0
    .max_flat_workgroup_size: 256
    .name:           _ZN7rocprim17ROCPRIM_400000_NS6detail17trampoline_kernelINS0_13select_configILj256ELj13ELNS0_17block_load_methodE3ELS4_3ELS4_3ELNS0_20block_scan_algorithmE0ELj4294967295EEENS1_25partition_config_selectorILNS1_17partition_subalgoE3EjNS0_10empty_typeEbEEZZNS1_14partition_implILS8_3ELb0ES6_jNS0_17counting_iteratorIjlEEPS9_SE_NS0_5tupleIJPjSE_EEENSF_IJSE_SE_EEES9_SG_JZNS1_25segmented_radix_sort_implINS0_14default_configELb0EPK6__halfPSL_PKlPlN2at6native12_GLOBAL__N_18offset_tEEE10hipError_tPvRmT1_PNSt15iterator_traitsISZ_E10value_typeET2_T3_PNS10_IS15_E10value_typeET4_jRbjT5_S1B_jjP12ihipStream_tbEUljE_EEESW_SX_SY_S15_S19_S1B_T6_T7_T9_mT8_S1D_bDpT10_ENKUlT_T0_E_clISt17integral_constantIbLb1EES1P_IbLb0EEEEDaS1L_S1M_EUlS1L_E_NS1_11comp_targetILNS1_3genE10ELNS1_11target_archE1200ELNS1_3gpuE4ELNS1_3repE0EEENS1_30default_config_static_selectorELNS0_4arch9wavefront6targetE0EEEvSZ_
    .private_segment_fixed_size: 0
    .sgpr_count:     0
    .sgpr_spill_count: 0
    .symbol:         _ZN7rocprim17ROCPRIM_400000_NS6detail17trampoline_kernelINS0_13select_configILj256ELj13ELNS0_17block_load_methodE3ELS4_3ELS4_3ELNS0_20block_scan_algorithmE0ELj4294967295EEENS1_25partition_config_selectorILNS1_17partition_subalgoE3EjNS0_10empty_typeEbEEZZNS1_14partition_implILS8_3ELb0ES6_jNS0_17counting_iteratorIjlEEPS9_SE_NS0_5tupleIJPjSE_EEENSF_IJSE_SE_EEES9_SG_JZNS1_25segmented_radix_sort_implINS0_14default_configELb0EPK6__halfPSL_PKlPlN2at6native12_GLOBAL__N_18offset_tEEE10hipError_tPvRmT1_PNSt15iterator_traitsISZ_E10value_typeET2_T3_PNS10_IS15_E10value_typeET4_jRbjT5_S1B_jjP12ihipStream_tbEUljE_EEESW_SX_SY_S15_S19_S1B_T6_T7_T9_mT8_S1D_bDpT10_ENKUlT_T0_E_clISt17integral_constantIbLb1EES1P_IbLb0EEEEDaS1L_S1M_EUlS1L_E_NS1_11comp_targetILNS1_3genE10ELNS1_11target_archE1200ELNS1_3gpuE4ELNS1_3repE0EEENS1_30default_config_static_selectorELNS0_4arch9wavefront6targetE0EEEvSZ_.kd
    .uniform_work_group_size: 1
    .uses_dynamic_stack: false
    .vgpr_count:     0
    .vgpr_spill_count: 0
    .wavefront_size: 32
    .workgroup_processor_mode: 1
  - .args:
      - .offset:         0
        .size:           144
        .value_kind:     by_value
    .group_segment_fixed_size: 13324
    .kernarg_segment_align: 8
    .kernarg_segment_size: 144
    .language:       OpenCL C
    .language_version:
      - 2
      - 0
    .max_flat_workgroup_size: 256
    .name:           _ZN7rocprim17ROCPRIM_400000_NS6detail17trampoline_kernelINS0_13select_configILj256ELj13ELNS0_17block_load_methodE3ELS4_3ELS4_3ELNS0_20block_scan_algorithmE0ELj4294967295EEENS1_25partition_config_selectorILNS1_17partition_subalgoE3EjNS0_10empty_typeEbEEZZNS1_14partition_implILS8_3ELb0ES6_jNS0_17counting_iteratorIjlEEPS9_SE_NS0_5tupleIJPjSE_EEENSF_IJSE_SE_EEES9_SG_JZNS1_25segmented_radix_sort_implINS0_14default_configELb0EPK6__halfPSL_PKlPlN2at6native12_GLOBAL__N_18offset_tEEE10hipError_tPvRmT1_PNSt15iterator_traitsISZ_E10value_typeET2_T3_PNS10_IS15_E10value_typeET4_jRbjT5_S1B_jjP12ihipStream_tbEUljE_EEESW_SX_SY_S15_S19_S1B_T6_T7_T9_mT8_S1D_bDpT10_ENKUlT_T0_E_clISt17integral_constantIbLb1EES1P_IbLb0EEEEDaS1L_S1M_EUlS1L_E_NS1_11comp_targetILNS1_3genE9ELNS1_11target_archE1100ELNS1_3gpuE3ELNS1_3repE0EEENS1_30default_config_static_selectorELNS0_4arch9wavefront6targetE0EEEvSZ_
    .private_segment_fixed_size: 0
    .sgpr_count:     30
    .sgpr_spill_count: 0
    .symbol:         _ZN7rocprim17ROCPRIM_400000_NS6detail17trampoline_kernelINS0_13select_configILj256ELj13ELNS0_17block_load_methodE3ELS4_3ELS4_3ELNS0_20block_scan_algorithmE0ELj4294967295EEENS1_25partition_config_selectorILNS1_17partition_subalgoE3EjNS0_10empty_typeEbEEZZNS1_14partition_implILS8_3ELb0ES6_jNS0_17counting_iteratorIjlEEPS9_SE_NS0_5tupleIJPjSE_EEENSF_IJSE_SE_EEES9_SG_JZNS1_25segmented_radix_sort_implINS0_14default_configELb0EPK6__halfPSL_PKlPlN2at6native12_GLOBAL__N_18offset_tEEE10hipError_tPvRmT1_PNSt15iterator_traitsISZ_E10value_typeET2_T3_PNS10_IS15_E10value_typeET4_jRbjT5_S1B_jjP12ihipStream_tbEUljE_EEESW_SX_SY_S15_S19_S1B_T6_T7_T9_mT8_S1D_bDpT10_ENKUlT_T0_E_clISt17integral_constantIbLb1EES1P_IbLb0EEEEDaS1L_S1M_EUlS1L_E_NS1_11comp_targetILNS1_3genE9ELNS1_11target_archE1100ELNS1_3gpuE3ELNS1_3repE0EEENS1_30default_config_static_selectorELNS0_4arch9wavefront6targetE0EEEvSZ_.kd
    .uniform_work_group_size: 1
    .uses_dynamic_stack: false
    .vgpr_count:     57
    .vgpr_spill_count: 0
    .wavefront_size: 32
    .workgroup_processor_mode: 1
  - .args:
      - .offset:         0
        .size:           144
        .value_kind:     by_value
    .group_segment_fixed_size: 0
    .kernarg_segment_align: 8
    .kernarg_segment_size: 144
    .language:       OpenCL C
    .language_version:
      - 2
      - 0
    .max_flat_workgroup_size: 256
    .name:           _ZN7rocprim17ROCPRIM_400000_NS6detail17trampoline_kernelINS0_13select_configILj256ELj13ELNS0_17block_load_methodE3ELS4_3ELS4_3ELNS0_20block_scan_algorithmE0ELj4294967295EEENS1_25partition_config_selectorILNS1_17partition_subalgoE3EjNS0_10empty_typeEbEEZZNS1_14partition_implILS8_3ELb0ES6_jNS0_17counting_iteratorIjlEEPS9_SE_NS0_5tupleIJPjSE_EEENSF_IJSE_SE_EEES9_SG_JZNS1_25segmented_radix_sort_implINS0_14default_configELb0EPK6__halfPSL_PKlPlN2at6native12_GLOBAL__N_18offset_tEEE10hipError_tPvRmT1_PNSt15iterator_traitsISZ_E10value_typeET2_T3_PNS10_IS15_E10value_typeET4_jRbjT5_S1B_jjP12ihipStream_tbEUljE_EEESW_SX_SY_S15_S19_S1B_T6_T7_T9_mT8_S1D_bDpT10_ENKUlT_T0_E_clISt17integral_constantIbLb1EES1P_IbLb0EEEEDaS1L_S1M_EUlS1L_E_NS1_11comp_targetILNS1_3genE8ELNS1_11target_archE1030ELNS1_3gpuE2ELNS1_3repE0EEENS1_30default_config_static_selectorELNS0_4arch9wavefront6targetE0EEEvSZ_
    .private_segment_fixed_size: 0
    .sgpr_count:     0
    .sgpr_spill_count: 0
    .symbol:         _ZN7rocprim17ROCPRIM_400000_NS6detail17trampoline_kernelINS0_13select_configILj256ELj13ELNS0_17block_load_methodE3ELS4_3ELS4_3ELNS0_20block_scan_algorithmE0ELj4294967295EEENS1_25partition_config_selectorILNS1_17partition_subalgoE3EjNS0_10empty_typeEbEEZZNS1_14partition_implILS8_3ELb0ES6_jNS0_17counting_iteratorIjlEEPS9_SE_NS0_5tupleIJPjSE_EEENSF_IJSE_SE_EEES9_SG_JZNS1_25segmented_radix_sort_implINS0_14default_configELb0EPK6__halfPSL_PKlPlN2at6native12_GLOBAL__N_18offset_tEEE10hipError_tPvRmT1_PNSt15iterator_traitsISZ_E10value_typeET2_T3_PNS10_IS15_E10value_typeET4_jRbjT5_S1B_jjP12ihipStream_tbEUljE_EEESW_SX_SY_S15_S19_S1B_T6_T7_T9_mT8_S1D_bDpT10_ENKUlT_T0_E_clISt17integral_constantIbLb1EES1P_IbLb0EEEEDaS1L_S1M_EUlS1L_E_NS1_11comp_targetILNS1_3genE8ELNS1_11target_archE1030ELNS1_3gpuE2ELNS1_3repE0EEENS1_30default_config_static_selectorELNS0_4arch9wavefront6targetE0EEEvSZ_.kd
    .uniform_work_group_size: 1
    .uses_dynamic_stack: false
    .vgpr_count:     0
    .vgpr_spill_count: 0
    .wavefront_size: 32
    .workgroup_processor_mode: 1
  - .args:
      - .offset:         0
        .size:           152
        .value_kind:     by_value
    .group_segment_fixed_size: 0
    .kernarg_segment_align: 8
    .kernarg_segment_size: 152
    .language:       OpenCL C
    .language_version:
      - 2
      - 0
    .max_flat_workgroup_size: 256
    .name:           _ZN7rocprim17ROCPRIM_400000_NS6detail17trampoline_kernelINS0_13select_configILj256ELj13ELNS0_17block_load_methodE3ELS4_3ELS4_3ELNS0_20block_scan_algorithmE0ELj4294967295EEENS1_25partition_config_selectorILNS1_17partition_subalgoE3EjNS0_10empty_typeEbEEZZNS1_14partition_implILS8_3ELb0ES6_jNS0_17counting_iteratorIjlEEPS9_SE_NS0_5tupleIJPjSE_EEENSF_IJSE_SE_EEES9_SG_JZNS1_25segmented_radix_sort_implINS0_14default_configELb0EPK6__halfPSL_PKlPlN2at6native12_GLOBAL__N_18offset_tEEE10hipError_tPvRmT1_PNSt15iterator_traitsISZ_E10value_typeET2_T3_PNS10_IS15_E10value_typeET4_jRbjT5_S1B_jjP12ihipStream_tbEUljE_EEESW_SX_SY_S15_S19_S1B_T6_T7_T9_mT8_S1D_bDpT10_ENKUlT_T0_E_clISt17integral_constantIbLb0EES1P_IbLb1EEEEDaS1L_S1M_EUlS1L_E_NS1_11comp_targetILNS1_3genE0ELNS1_11target_archE4294967295ELNS1_3gpuE0ELNS1_3repE0EEENS1_30default_config_static_selectorELNS0_4arch9wavefront6targetE0EEEvSZ_
    .private_segment_fixed_size: 0
    .sgpr_count:     0
    .sgpr_spill_count: 0
    .symbol:         _ZN7rocprim17ROCPRIM_400000_NS6detail17trampoline_kernelINS0_13select_configILj256ELj13ELNS0_17block_load_methodE3ELS4_3ELS4_3ELNS0_20block_scan_algorithmE0ELj4294967295EEENS1_25partition_config_selectorILNS1_17partition_subalgoE3EjNS0_10empty_typeEbEEZZNS1_14partition_implILS8_3ELb0ES6_jNS0_17counting_iteratorIjlEEPS9_SE_NS0_5tupleIJPjSE_EEENSF_IJSE_SE_EEES9_SG_JZNS1_25segmented_radix_sort_implINS0_14default_configELb0EPK6__halfPSL_PKlPlN2at6native12_GLOBAL__N_18offset_tEEE10hipError_tPvRmT1_PNSt15iterator_traitsISZ_E10value_typeET2_T3_PNS10_IS15_E10value_typeET4_jRbjT5_S1B_jjP12ihipStream_tbEUljE_EEESW_SX_SY_S15_S19_S1B_T6_T7_T9_mT8_S1D_bDpT10_ENKUlT_T0_E_clISt17integral_constantIbLb0EES1P_IbLb1EEEEDaS1L_S1M_EUlS1L_E_NS1_11comp_targetILNS1_3genE0ELNS1_11target_archE4294967295ELNS1_3gpuE0ELNS1_3repE0EEENS1_30default_config_static_selectorELNS0_4arch9wavefront6targetE0EEEvSZ_.kd
    .uniform_work_group_size: 1
    .uses_dynamic_stack: false
    .vgpr_count:     0
    .vgpr_spill_count: 0
    .wavefront_size: 32
    .workgroup_processor_mode: 1
  - .args:
      - .offset:         0
        .size:           152
        .value_kind:     by_value
    .group_segment_fixed_size: 0
    .kernarg_segment_align: 8
    .kernarg_segment_size: 152
    .language:       OpenCL C
    .language_version:
      - 2
      - 0
    .max_flat_workgroup_size: 256
    .name:           _ZN7rocprim17ROCPRIM_400000_NS6detail17trampoline_kernelINS0_13select_configILj256ELj13ELNS0_17block_load_methodE3ELS4_3ELS4_3ELNS0_20block_scan_algorithmE0ELj4294967295EEENS1_25partition_config_selectorILNS1_17partition_subalgoE3EjNS0_10empty_typeEbEEZZNS1_14partition_implILS8_3ELb0ES6_jNS0_17counting_iteratorIjlEEPS9_SE_NS0_5tupleIJPjSE_EEENSF_IJSE_SE_EEES9_SG_JZNS1_25segmented_radix_sort_implINS0_14default_configELb0EPK6__halfPSL_PKlPlN2at6native12_GLOBAL__N_18offset_tEEE10hipError_tPvRmT1_PNSt15iterator_traitsISZ_E10value_typeET2_T3_PNS10_IS15_E10value_typeET4_jRbjT5_S1B_jjP12ihipStream_tbEUljE_EEESW_SX_SY_S15_S19_S1B_T6_T7_T9_mT8_S1D_bDpT10_ENKUlT_T0_E_clISt17integral_constantIbLb0EES1P_IbLb1EEEEDaS1L_S1M_EUlS1L_E_NS1_11comp_targetILNS1_3genE5ELNS1_11target_archE942ELNS1_3gpuE9ELNS1_3repE0EEENS1_30default_config_static_selectorELNS0_4arch9wavefront6targetE0EEEvSZ_
    .private_segment_fixed_size: 0
    .sgpr_count:     0
    .sgpr_spill_count: 0
    .symbol:         _ZN7rocprim17ROCPRIM_400000_NS6detail17trampoline_kernelINS0_13select_configILj256ELj13ELNS0_17block_load_methodE3ELS4_3ELS4_3ELNS0_20block_scan_algorithmE0ELj4294967295EEENS1_25partition_config_selectorILNS1_17partition_subalgoE3EjNS0_10empty_typeEbEEZZNS1_14partition_implILS8_3ELb0ES6_jNS0_17counting_iteratorIjlEEPS9_SE_NS0_5tupleIJPjSE_EEENSF_IJSE_SE_EEES9_SG_JZNS1_25segmented_radix_sort_implINS0_14default_configELb0EPK6__halfPSL_PKlPlN2at6native12_GLOBAL__N_18offset_tEEE10hipError_tPvRmT1_PNSt15iterator_traitsISZ_E10value_typeET2_T3_PNS10_IS15_E10value_typeET4_jRbjT5_S1B_jjP12ihipStream_tbEUljE_EEESW_SX_SY_S15_S19_S1B_T6_T7_T9_mT8_S1D_bDpT10_ENKUlT_T0_E_clISt17integral_constantIbLb0EES1P_IbLb1EEEEDaS1L_S1M_EUlS1L_E_NS1_11comp_targetILNS1_3genE5ELNS1_11target_archE942ELNS1_3gpuE9ELNS1_3repE0EEENS1_30default_config_static_selectorELNS0_4arch9wavefront6targetE0EEEvSZ_.kd
    .uniform_work_group_size: 1
    .uses_dynamic_stack: false
    .vgpr_count:     0
    .vgpr_spill_count: 0
    .wavefront_size: 32
    .workgroup_processor_mode: 1
  - .args:
      - .offset:         0
        .size:           152
        .value_kind:     by_value
    .group_segment_fixed_size: 0
    .kernarg_segment_align: 8
    .kernarg_segment_size: 152
    .language:       OpenCL C
    .language_version:
      - 2
      - 0
    .max_flat_workgroup_size: 256
    .name:           _ZN7rocprim17ROCPRIM_400000_NS6detail17trampoline_kernelINS0_13select_configILj256ELj13ELNS0_17block_load_methodE3ELS4_3ELS4_3ELNS0_20block_scan_algorithmE0ELj4294967295EEENS1_25partition_config_selectorILNS1_17partition_subalgoE3EjNS0_10empty_typeEbEEZZNS1_14partition_implILS8_3ELb0ES6_jNS0_17counting_iteratorIjlEEPS9_SE_NS0_5tupleIJPjSE_EEENSF_IJSE_SE_EEES9_SG_JZNS1_25segmented_radix_sort_implINS0_14default_configELb0EPK6__halfPSL_PKlPlN2at6native12_GLOBAL__N_18offset_tEEE10hipError_tPvRmT1_PNSt15iterator_traitsISZ_E10value_typeET2_T3_PNS10_IS15_E10value_typeET4_jRbjT5_S1B_jjP12ihipStream_tbEUljE_EEESW_SX_SY_S15_S19_S1B_T6_T7_T9_mT8_S1D_bDpT10_ENKUlT_T0_E_clISt17integral_constantIbLb0EES1P_IbLb1EEEEDaS1L_S1M_EUlS1L_E_NS1_11comp_targetILNS1_3genE4ELNS1_11target_archE910ELNS1_3gpuE8ELNS1_3repE0EEENS1_30default_config_static_selectorELNS0_4arch9wavefront6targetE0EEEvSZ_
    .private_segment_fixed_size: 0
    .sgpr_count:     0
    .sgpr_spill_count: 0
    .symbol:         _ZN7rocprim17ROCPRIM_400000_NS6detail17trampoline_kernelINS0_13select_configILj256ELj13ELNS0_17block_load_methodE3ELS4_3ELS4_3ELNS0_20block_scan_algorithmE0ELj4294967295EEENS1_25partition_config_selectorILNS1_17partition_subalgoE3EjNS0_10empty_typeEbEEZZNS1_14partition_implILS8_3ELb0ES6_jNS0_17counting_iteratorIjlEEPS9_SE_NS0_5tupleIJPjSE_EEENSF_IJSE_SE_EEES9_SG_JZNS1_25segmented_radix_sort_implINS0_14default_configELb0EPK6__halfPSL_PKlPlN2at6native12_GLOBAL__N_18offset_tEEE10hipError_tPvRmT1_PNSt15iterator_traitsISZ_E10value_typeET2_T3_PNS10_IS15_E10value_typeET4_jRbjT5_S1B_jjP12ihipStream_tbEUljE_EEESW_SX_SY_S15_S19_S1B_T6_T7_T9_mT8_S1D_bDpT10_ENKUlT_T0_E_clISt17integral_constantIbLb0EES1P_IbLb1EEEEDaS1L_S1M_EUlS1L_E_NS1_11comp_targetILNS1_3genE4ELNS1_11target_archE910ELNS1_3gpuE8ELNS1_3repE0EEENS1_30default_config_static_selectorELNS0_4arch9wavefront6targetE0EEEvSZ_.kd
    .uniform_work_group_size: 1
    .uses_dynamic_stack: false
    .vgpr_count:     0
    .vgpr_spill_count: 0
    .wavefront_size: 32
    .workgroup_processor_mode: 1
  - .args:
      - .offset:         0
        .size:           152
        .value_kind:     by_value
    .group_segment_fixed_size: 0
    .kernarg_segment_align: 8
    .kernarg_segment_size: 152
    .language:       OpenCL C
    .language_version:
      - 2
      - 0
    .max_flat_workgroup_size: 256
    .name:           _ZN7rocprim17ROCPRIM_400000_NS6detail17trampoline_kernelINS0_13select_configILj256ELj13ELNS0_17block_load_methodE3ELS4_3ELS4_3ELNS0_20block_scan_algorithmE0ELj4294967295EEENS1_25partition_config_selectorILNS1_17partition_subalgoE3EjNS0_10empty_typeEbEEZZNS1_14partition_implILS8_3ELb0ES6_jNS0_17counting_iteratorIjlEEPS9_SE_NS0_5tupleIJPjSE_EEENSF_IJSE_SE_EEES9_SG_JZNS1_25segmented_radix_sort_implINS0_14default_configELb0EPK6__halfPSL_PKlPlN2at6native12_GLOBAL__N_18offset_tEEE10hipError_tPvRmT1_PNSt15iterator_traitsISZ_E10value_typeET2_T3_PNS10_IS15_E10value_typeET4_jRbjT5_S1B_jjP12ihipStream_tbEUljE_EEESW_SX_SY_S15_S19_S1B_T6_T7_T9_mT8_S1D_bDpT10_ENKUlT_T0_E_clISt17integral_constantIbLb0EES1P_IbLb1EEEEDaS1L_S1M_EUlS1L_E_NS1_11comp_targetILNS1_3genE3ELNS1_11target_archE908ELNS1_3gpuE7ELNS1_3repE0EEENS1_30default_config_static_selectorELNS0_4arch9wavefront6targetE0EEEvSZ_
    .private_segment_fixed_size: 0
    .sgpr_count:     0
    .sgpr_spill_count: 0
    .symbol:         _ZN7rocprim17ROCPRIM_400000_NS6detail17trampoline_kernelINS0_13select_configILj256ELj13ELNS0_17block_load_methodE3ELS4_3ELS4_3ELNS0_20block_scan_algorithmE0ELj4294967295EEENS1_25partition_config_selectorILNS1_17partition_subalgoE3EjNS0_10empty_typeEbEEZZNS1_14partition_implILS8_3ELb0ES6_jNS0_17counting_iteratorIjlEEPS9_SE_NS0_5tupleIJPjSE_EEENSF_IJSE_SE_EEES9_SG_JZNS1_25segmented_radix_sort_implINS0_14default_configELb0EPK6__halfPSL_PKlPlN2at6native12_GLOBAL__N_18offset_tEEE10hipError_tPvRmT1_PNSt15iterator_traitsISZ_E10value_typeET2_T3_PNS10_IS15_E10value_typeET4_jRbjT5_S1B_jjP12ihipStream_tbEUljE_EEESW_SX_SY_S15_S19_S1B_T6_T7_T9_mT8_S1D_bDpT10_ENKUlT_T0_E_clISt17integral_constantIbLb0EES1P_IbLb1EEEEDaS1L_S1M_EUlS1L_E_NS1_11comp_targetILNS1_3genE3ELNS1_11target_archE908ELNS1_3gpuE7ELNS1_3repE0EEENS1_30default_config_static_selectorELNS0_4arch9wavefront6targetE0EEEvSZ_.kd
    .uniform_work_group_size: 1
    .uses_dynamic_stack: false
    .vgpr_count:     0
    .vgpr_spill_count: 0
    .wavefront_size: 32
    .workgroup_processor_mode: 1
  - .args:
      - .offset:         0
        .size:           152
        .value_kind:     by_value
    .group_segment_fixed_size: 0
    .kernarg_segment_align: 8
    .kernarg_segment_size: 152
    .language:       OpenCL C
    .language_version:
      - 2
      - 0
    .max_flat_workgroup_size: 256
    .name:           _ZN7rocprim17ROCPRIM_400000_NS6detail17trampoline_kernelINS0_13select_configILj256ELj13ELNS0_17block_load_methodE3ELS4_3ELS4_3ELNS0_20block_scan_algorithmE0ELj4294967295EEENS1_25partition_config_selectorILNS1_17partition_subalgoE3EjNS0_10empty_typeEbEEZZNS1_14partition_implILS8_3ELb0ES6_jNS0_17counting_iteratorIjlEEPS9_SE_NS0_5tupleIJPjSE_EEENSF_IJSE_SE_EEES9_SG_JZNS1_25segmented_radix_sort_implINS0_14default_configELb0EPK6__halfPSL_PKlPlN2at6native12_GLOBAL__N_18offset_tEEE10hipError_tPvRmT1_PNSt15iterator_traitsISZ_E10value_typeET2_T3_PNS10_IS15_E10value_typeET4_jRbjT5_S1B_jjP12ihipStream_tbEUljE_EEESW_SX_SY_S15_S19_S1B_T6_T7_T9_mT8_S1D_bDpT10_ENKUlT_T0_E_clISt17integral_constantIbLb0EES1P_IbLb1EEEEDaS1L_S1M_EUlS1L_E_NS1_11comp_targetILNS1_3genE2ELNS1_11target_archE906ELNS1_3gpuE6ELNS1_3repE0EEENS1_30default_config_static_selectorELNS0_4arch9wavefront6targetE0EEEvSZ_
    .private_segment_fixed_size: 0
    .sgpr_count:     0
    .sgpr_spill_count: 0
    .symbol:         _ZN7rocprim17ROCPRIM_400000_NS6detail17trampoline_kernelINS0_13select_configILj256ELj13ELNS0_17block_load_methodE3ELS4_3ELS4_3ELNS0_20block_scan_algorithmE0ELj4294967295EEENS1_25partition_config_selectorILNS1_17partition_subalgoE3EjNS0_10empty_typeEbEEZZNS1_14partition_implILS8_3ELb0ES6_jNS0_17counting_iteratorIjlEEPS9_SE_NS0_5tupleIJPjSE_EEENSF_IJSE_SE_EEES9_SG_JZNS1_25segmented_radix_sort_implINS0_14default_configELb0EPK6__halfPSL_PKlPlN2at6native12_GLOBAL__N_18offset_tEEE10hipError_tPvRmT1_PNSt15iterator_traitsISZ_E10value_typeET2_T3_PNS10_IS15_E10value_typeET4_jRbjT5_S1B_jjP12ihipStream_tbEUljE_EEESW_SX_SY_S15_S19_S1B_T6_T7_T9_mT8_S1D_bDpT10_ENKUlT_T0_E_clISt17integral_constantIbLb0EES1P_IbLb1EEEEDaS1L_S1M_EUlS1L_E_NS1_11comp_targetILNS1_3genE2ELNS1_11target_archE906ELNS1_3gpuE6ELNS1_3repE0EEENS1_30default_config_static_selectorELNS0_4arch9wavefront6targetE0EEEvSZ_.kd
    .uniform_work_group_size: 1
    .uses_dynamic_stack: false
    .vgpr_count:     0
    .vgpr_spill_count: 0
    .wavefront_size: 32
    .workgroup_processor_mode: 1
  - .args:
      - .offset:         0
        .size:           152
        .value_kind:     by_value
    .group_segment_fixed_size: 0
    .kernarg_segment_align: 8
    .kernarg_segment_size: 152
    .language:       OpenCL C
    .language_version:
      - 2
      - 0
    .max_flat_workgroup_size: 256
    .name:           _ZN7rocprim17ROCPRIM_400000_NS6detail17trampoline_kernelINS0_13select_configILj256ELj13ELNS0_17block_load_methodE3ELS4_3ELS4_3ELNS0_20block_scan_algorithmE0ELj4294967295EEENS1_25partition_config_selectorILNS1_17partition_subalgoE3EjNS0_10empty_typeEbEEZZNS1_14partition_implILS8_3ELb0ES6_jNS0_17counting_iteratorIjlEEPS9_SE_NS0_5tupleIJPjSE_EEENSF_IJSE_SE_EEES9_SG_JZNS1_25segmented_radix_sort_implINS0_14default_configELb0EPK6__halfPSL_PKlPlN2at6native12_GLOBAL__N_18offset_tEEE10hipError_tPvRmT1_PNSt15iterator_traitsISZ_E10value_typeET2_T3_PNS10_IS15_E10value_typeET4_jRbjT5_S1B_jjP12ihipStream_tbEUljE_EEESW_SX_SY_S15_S19_S1B_T6_T7_T9_mT8_S1D_bDpT10_ENKUlT_T0_E_clISt17integral_constantIbLb0EES1P_IbLb1EEEEDaS1L_S1M_EUlS1L_E_NS1_11comp_targetILNS1_3genE10ELNS1_11target_archE1200ELNS1_3gpuE4ELNS1_3repE0EEENS1_30default_config_static_selectorELNS0_4arch9wavefront6targetE0EEEvSZ_
    .private_segment_fixed_size: 0
    .sgpr_count:     0
    .sgpr_spill_count: 0
    .symbol:         _ZN7rocprim17ROCPRIM_400000_NS6detail17trampoline_kernelINS0_13select_configILj256ELj13ELNS0_17block_load_methodE3ELS4_3ELS4_3ELNS0_20block_scan_algorithmE0ELj4294967295EEENS1_25partition_config_selectorILNS1_17partition_subalgoE3EjNS0_10empty_typeEbEEZZNS1_14partition_implILS8_3ELb0ES6_jNS0_17counting_iteratorIjlEEPS9_SE_NS0_5tupleIJPjSE_EEENSF_IJSE_SE_EEES9_SG_JZNS1_25segmented_radix_sort_implINS0_14default_configELb0EPK6__halfPSL_PKlPlN2at6native12_GLOBAL__N_18offset_tEEE10hipError_tPvRmT1_PNSt15iterator_traitsISZ_E10value_typeET2_T3_PNS10_IS15_E10value_typeET4_jRbjT5_S1B_jjP12ihipStream_tbEUljE_EEESW_SX_SY_S15_S19_S1B_T6_T7_T9_mT8_S1D_bDpT10_ENKUlT_T0_E_clISt17integral_constantIbLb0EES1P_IbLb1EEEEDaS1L_S1M_EUlS1L_E_NS1_11comp_targetILNS1_3genE10ELNS1_11target_archE1200ELNS1_3gpuE4ELNS1_3repE0EEENS1_30default_config_static_selectorELNS0_4arch9wavefront6targetE0EEEvSZ_.kd
    .uniform_work_group_size: 1
    .uses_dynamic_stack: false
    .vgpr_count:     0
    .vgpr_spill_count: 0
    .wavefront_size: 32
    .workgroup_processor_mode: 1
  - .args:
      - .offset:         0
        .size:           152
        .value_kind:     by_value
    .group_segment_fixed_size: 13324
    .kernarg_segment_align: 8
    .kernarg_segment_size: 152
    .language:       OpenCL C
    .language_version:
      - 2
      - 0
    .max_flat_workgroup_size: 256
    .name:           _ZN7rocprim17ROCPRIM_400000_NS6detail17trampoline_kernelINS0_13select_configILj256ELj13ELNS0_17block_load_methodE3ELS4_3ELS4_3ELNS0_20block_scan_algorithmE0ELj4294967295EEENS1_25partition_config_selectorILNS1_17partition_subalgoE3EjNS0_10empty_typeEbEEZZNS1_14partition_implILS8_3ELb0ES6_jNS0_17counting_iteratorIjlEEPS9_SE_NS0_5tupleIJPjSE_EEENSF_IJSE_SE_EEES9_SG_JZNS1_25segmented_radix_sort_implINS0_14default_configELb0EPK6__halfPSL_PKlPlN2at6native12_GLOBAL__N_18offset_tEEE10hipError_tPvRmT1_PNSt15iterator_traitsISZ_E10value_typeET2_T3_PNS10_IS15_E10value_typeET4_jRbjT5_S1B_jjP12ihipStream_tbEUljE_EEESW_SX_SY_S15_S19_S1B_T6_T7_T9_mT8_S1D_bDpT10_ENKUlT_T0_E_clISt17integral_constantIbLb0EES1P_IbLb1EEEEDaS1L_S1M_EUlS1L_E_NS1_11comp_targetILNS1_3genE9ELNS1_11target_archE1100ELNS1_3gpuE3ELNS1_3repE0EEENS1_30default_config_static_selectorELNS0_4arch9wavefront6targetE0EEEvSZ_
    .private_segment_fixed_size: 0
    .sgpr_count:     28
    .sgpr_spill_count: 0
    .symbol:         _ZN7rocprim17ROCPRIM_400000_NS6detail17trampoline_kernelINS0_13select_configILj256ELj13ELNS0_17block_load_methodE3ELS4_3ELS4_3ELNS0_20block_scan_algorithmE0ELj4294967295EEENS1_25partition_config_selectorILNS1_17partition_subalgoE3EjNS0_10empty_typeEbEEZZNS1_14partition_implILS8_3ELb0ES6_jNS0_17counting_iteratorIjlEEPS9_SE_NS0_5tupleIJPjSE_EEENSF_IJSE_SE_EEES9_SG_JZNS1_25segmented_radix_sort_implINS0_14default_configELb0EPK6__halfPSL_PKlPlN2at6native12_GLOBAL__N_18offset_tEEE10hipError_tPvRmT1_PNSt15iterator_traitsISZ_E10value_typeET2_T3_PNS10_IS15_E10value_typeET4_jRbjT5_S1B_jjP12ihipStream_tbEUljE_EEESW_SX_SY_S15_S19_S1B_T6_T7_T9_mT8_S1D_bDpT10_ENKUlT_T0_E_clISt17integral_constantIbLb0EES1P_IbLb1EEEEDaS1L_S1M_EUlS1L_E_NS1_11comp_targetILNS1_3genE9ELNS1_11target_archE1100ELNS1_3gpuE3ELNS1_3repE0EEENS1_30default_config_static_selectorELNS0_4arch9wavefront6targetE0EEEvSZ_.kd
    .uniform_work_group_size: 1
    .uses_dynamic_stack: false
    .vgpr_count:     60
    .vgpr_spill_count: 0
    .wavefront_size: 32
    .workgroup_processor_mode: 1
  - .args:
      - .offset:         0
        .size:           152
        .value_kind:     by_value
    .group_segment_fixed_size: 0
    .kernarg_segment_align: 8
    .kernarg_segment_size: 152
    .language:       OpenCL C
    .language_version:
      - 2
      - 0
    .max_flat_workgroup_size: 256
    .name:           _ZN7rocprim17ROCPRIM_400000_NS6detail17trampoline_kernelINS0_13select_configILj256ELj13ELNS0_17block_load_methodE3ELS4_3ELS4_3ELNS0_20block_scan_algorithmE0ELj4294967295EEENS1_25partition_config_selectorILNS1_17partition_subalgoE3EjNS0_10empty_typeEbEEZZNS1_14partition_implILS8_3ELb0ES6_jNS0_17counting_iteratorIjlEEPS9_SE_NS0_5tupleIJPjSE_EEENSF_IJSE_SE_EEES9_SG_JZNS1_25segmented_radix_sort_implINS0_14default_configELb0EPK6__halfPSL_PKlPlN2at6native12_GLOBAL__N_18offset_tEEE10hipError_tPvRmT1_PNSt15iterator_traitsISZ_E10value_typeET2_T3_PNS10_IS15_E10value_typeET4_jRbjT5_S1B_jjP12ihipStream_tbEUljE_EEESW_SX_SY_S15_S19_S1B_T6_T7_T9_mT8_S1D_bDpT10_ENKUlT_T0_E_clISt17integral_constantIbLb0EES1P_IbLb1EEEEDaS1L_S1M_EUlS1L_E_NS1_11comp_targetILNS1_3genE8ELNS1_11target_archE1030ELNS1_3gpuE2ELNS1_3repE0EEENS1_30default_config_static_selectorELNS0_4arch9wavefront6targetE0EEEvSZ_
    .private_segment_fixed_size: 0
    .sgpr_count:     0
    .sgpr_spill_count: 0
    .symbol:         _ZN7rocprim17ROCPRIM_400000_NS6detail17trampoline_kernelINS0_13select_configILj256ELj13ELNS0_17block_load_methodE3ELS4_3ELS4_3ELNS0_20block_scan_algorithmE0ELj4294967295EEENS1_25partition_config_selectorILNS1_17partition_subalgoE3EjNS0_10empty_typeEbEEZZNS1_14partition_implILS8_3ELb0ES6_jNS0_17counting_iteratorIjlEEPS9_SE_NS0_5tupleIJPjSE_EEENSF_IJSE_SE_EEES9_SG_JZNS1_25segmented_radix_sort_implINS0_14default_configELb0EPK6__halfPSL_PKlPlN2at6native12_GLOBAL__N_18offset_tEEE10hipError_tPvRmT1_PNSt15iterator_traitsISZ_E10value_typeET2_T3_PNS10_IS15_E10value_typeET4_jRbjT5_S1B_jjP12ihipStream_tbEUljE_EEESW_SX_SY_S15_S19_S1B_T6_T7_T9_mT8_S1D_bDpT10_ENKUlT_T0_E_clISt17integral_constantIbLb0EES1P_IbLb1EEEEDaS1L_S1M_EUlS1L_E_NS1_11comp_targetILNS1_3genE8ELNS1_11target_archE1030ELNS1_3gpuE2ELNS1_3repE0EEENS1_30default_config_static_selectorELNS0_4arch9wavefront6targetE0EEEvSZ_.kd
    .uniform_work_group_size: 1
    .uses_dynamic_stack: false
    .vgpr_count:     0
    .vgpr_spill_count: 0
    .wavefront_size: 32
    .workgroup_processor_mode: 1
  - .args:
      - .offset:         0
        .size:           96
        .value_kind:     by_value
    .group_segment_fixed_size: 0
    .kernarg_segment_align: 8
    .kernarg_segment_size: 96
    .language:       OpenCL C
    .language_version:
      - 2
      - 0
    .max_flat_workgroup_size: 256
    .name:           _ZN7rocprim17ROCPRIM_400000_NS6detail17trampoline_kernelINS0_14default_configENS1_36segmented_radix_sort_config_selectorI6__halflEEZNS1_25segmented_radix_sort_implIS3_Lb0EPKS5_PS5_PKlPlN2at6native12_GLOBAL__N_18offset_tEEE10hipError_tPvRmT1_PNSt15iterator_traitsISL_E10value_typeET2_T3_PNSM_ISR_E10value_typeET4_jRbjT5_SX_jjP12ihipStream_tbEUlT_E_NS1_11comp_targetILNS1_3genE0ELNS1_11target_archE4294967295ELNS1_3gpuE0ELNS1_3repE0EEENS1_30default_config_static_selectorELNS0_4arch9wavefront6targetE0EEEvSL_
    .private_segment_fixed_size: 0
    .sgpr_count:     0
    .sgpr_spill_count: 0
    .symbol:         _ZN7rocprim17ROCPRIM_400000_NS6detail17trampoline_kernelINS0_14default_configENS1_36segmented_radix_sort_config_selectorI6__halflEEZNS1_25segmented_radix_sort_implIS3_Lb0EPKS5_PS5_PKlPlN2at6native12_GLOBAL__N_18offset_tEEE10hipError_tPvRmT1_PNSt15iterator_traitsISL_E10value_typeET2_T3_PNSM_ISR_E10value_typeET4_jRbjT5_SX_jjP12ihipStream_tbEUlT_E_NS1_11comp_targetILNS1_3genE0ELNS1_11target_archE4294967295ELNS1_3gpuE0ELNS1_3repE0EEENS1_30default_config_static_selectorELNS0_4arch9wavefront6targetE0EEEvSL_.kd
    .uniform_work_group_size: 1
    .uses_dynamic_stack: false
    .vgpr_count:     0
    .vgpr_spill_count: 0
    .wavefront_size: 32
    .workgroup_processor_mode: 1
  - .args:
      - .offset:         0
        .size:           96
        .value_kind:     by_value
    .group_segment_fixed_size: 0
    .kernarg_segment_align: 8
    .kernarg_segment_size: 96
    .language:       OpenCL C
    .language_version:
      - 2
      - 0
    .max_flat_workgroup_size: 256
    .name:           _ZN7rocprim17ROCPRIM_400000_NS6detail17trampoline_kernelINS0_14default_configENS1_36segmented_radix_sort_config_selectorI6__halflEEZNS1_25segmented_radix_sort_implIS3_Lb0EPKS5_PS5_PKlPlN2at6native12_GLOBAL__N_18offset_tEEE10hipError_tPvRmT1_PNSt15iterator_traitsISL_E10value_typeET2_T3_PNSM_ISR_E10value_typeET4_jRbjT5_SX_jjP12ihipStream_tbEUlT_E_NS1_11comp_targetILNS1_3genE5ELNS1_11target_archE942ELNS1_3gpuE9ELNS1_3repE0EEENS1_30default_config_static_selectorELNS0_4arch9wavefront6targetE0EEEvSL_
    .private_segment_fixed_size: 0
    .sgpr_count:     0
    .sgpr_spill_count: 0
    .symbol:         _ZN7rocprim17ROCPRIM_400000_NS6detail17trampoline_kernelINS0_14default_configENS1_36segmented_radix_sort_config_selectorI6__halflEEZNS1_25segmented_radix_sort_implIS3_Lb0EPKS5_PS5_PKlPlN2at6native12_GLOBAL__N_18offset_tEEE10hipError_tPvRmT1_PNSt15iterator_traitsISL_E10value_typeET2_T3_PNSM_ISR_E10value_typeET4_jRbjT5_SX_jjP12ihipStream_tbEUlT_E_NS1_11comp_targetILNS1_3genE5ELNS1_11target_archE942ELNS1_3gpuE9ELNS1_3repE0EEENS1_30default_config_static_selectorELNS0_4arch9wavefront6targetE0EEEvSL_.kd
    .uniform_work_group_size: 1
    .uses_dynamic_stack: false
    .vgpr_count:     0
    .vgpr_spill_count: 0
    .wavefront_size: 32
    .workgroup_processor_mode: 1
  - .args:
      - .offset:         0
        .size:           96
        .value_kind:     by_value
    .group_segment_fixed_size: 0
    .kernarg_segment_align: 8
    .kernarg_segment_size: 96
    .language:       OpenCL C
    .language_version:
      - 2
      - 0
    .max_flat_workgroup_size: 256
    .name:           _ZN7rocprim17ROCPRIM_400000_NS6detail17trampoline_kernelINS0_14default_configENS1_36segmented_radix_sort_config_selectorI6__halflEEZNS1_25segmented_radix_sort_implIS3_Lb0EPKS5_PS5_PKlPlN2at6native12_GLOBAL__N_18offset_tEEE10hipError_tPvRmT1_PNSt15iterator_traitsISL_E10value_typeET2_T3_PNSM_ISR_E10value_typeET4_jRbjT5_SX_jjP12ihipStream_tbEUlT_E_NS1_11comp_targetILNS1_3genE4ELNS1_11target_archE910ELNS1_3gpuE8ELNS1_3repE0EEENS1_30default_config_static_selectorELNS0_4arch9wavefront6targetE0EEEvSL_
    .private_segment_fixed_size: 0
    .sgpr_count:     0
    .sgpr_spill_count: 0
    .symbol:         _ZN7rocprim17ROCPRIM_400000_NS6detail17trampoline_kernelINS0_14default_configENS1_36segmented_radix_sort_config_selectorI6__halflEEZNS1_25segmented_radix_sort_implIS3_Lb0EPKS5_PS5_PKlPlN2at6native12_GLOBAL__N_18offset_tEEE10hipError_tPvRmT1_PNSt15iterator_traitsISL_E10value_typeET2_T3_PNSM_ISR_E10value_typeET4_jRbjT5_SX_jjP12ihipStream_tbEUlT_E_NS1_11comp_targetILNS1_3genE4ELNS1_11target_archE910ELNS1_3gpuE8ELNS1_3repE0EEENS1_30default_config_static_selectorELNS0_4arch9wavefront6targetE0EEEvSL_.kd
    .uniform_work_group_size: 1
    .uses_dynamic_stack: false
    .vgpr_count:     0
    .vgpr_spill_count: 0
    .wavefront_size: 32
    .workgroup_processor_mode: 1
  - .args:
      - .offset:         0
        .size:           96
        .value_kind:     by_value
    .group_segment_fixed_size: 0
    .kernarg_segment_align: 8
    .kernarg_segment_size: 96
    .language:       OpenCL C
    .language_version:
      - 2
      - 0
    .max_flat_workgroup_size: 256
    .name:           _ZN7rocprim17ROCPRIM_400000_NS6detail17trampoline_kernelINS0_14default_configENS1_36segmented_radix_sort_config_selectorI6__halflEEZNS1_25segmented_radix_sort_implIS3_Lb0EPKS5_PS5_PKlPlN2at6native12_GLOBAL__N_18offset_tEEE10hipError_tPvRmT1_PNSt15iterator_traitsISL_E10value_typeET2_T3_PNSM_ISR_E10value_typeET4_jRbjT5_SX_jjP12ihipStream_tbEUlT_E_NS1_11comp_targetILNS1_3genE3ELNS1_11target_archE908ELNS1_3gpuE7ELNS1_3repE0EEENS1_30default_config_static_selectorELNS0_4arch9wavefront6targetE0EEEvSL_
    .private_segment_fixed_size: 0
    .sgpr_count:     0
    .sgpr_spill_count: 0
    .symbol:         _ZN7rocprim17ROCPRIM_400000_NS6detail17trampoline_kernelINS0_14default_configENS1_36segmented_radix_sort_config_selectorI6__halflEEZNS1_25segmented_radix_sort_implIS3_Lb0EPKS5_PS5_PKlPlN2at6native12_GLOBAL__N_18offset_tEEE10hipError_tPvRmT1_PNSt15iterator_traitsISL_E10value_typeET2_T3_PNSM_ISR_E10value_typeET4_jRbjT5_SX_jjP12ihipStream_tbEUlT_E_NS1_11comp_targetILNS1_3genE3ELNS1_11target_archE908ELNS1_3gpuE7ELNS1_3repE0EEENS1_30default_config_static_selectorELNS0_4arch9wavefront6targetE0EEEvSL_.kd
    .uniform_work_group_size: 1
    .uses_dynamic_stack: false
    .vgpr_count:     0
    .vgpr_spill_count: 0
    .wavefront_size: 32
    .workgroup_processor_mode: 1
  - .args:
      - .offset:         0
        .size:           96
        .value_kind:     by_value
    .group_segment_fixed_size: 0
    .kernarg_segment_align: 8
    .kernarg_segment_size: 96
    .language:       OpenCL C
    .language_version:
      - 2
      - 0
    .max_flat_workgroup_size: 256
    .name:           _ZN7rocprim17ROCPRIM_400000_NS6detail17trampoline_kernelINS0_14default_configENS1_36segmented_radix_sort_config_selectorI6__halflEEZNS1_25segmented_radix_sort_implIS3_Lb0EPKS5_PS5_PKlPlN2at6native12_GLOBAL__N_18offset_tEEE10hipError_tPvRmT1_PNSt15iterator_traitsISL_E10value_typeET2_T3_PNSM_ISR_E10value_typeET4_jRbjT5_SX_jjP12ihipStream_tbEUlT_E_NS1_11comp_targetILNS1_3genE2ELNS1_11target_archE906ELNS1_3gpuE6ELNS1_3repE0EEENS1_30default_config_static_selectorELNS0_4arch9wavefront6targetE0EEEvSL_
    .private_segment_fixed_size: 0
    .sgpr_count:     0
    .sgpr_spill_count: 0
    .symbol:         _ZN7rocprim17ROCPRIM_400000_NS6detail17trampoline_kernelINS0_14default_configENS1_36segmented_radix_sort_config_selectorI6__halflEEZNS1_25segmented_radix_sort_implIS3_Lb0EPKS5_PS5_PKlPlN2at6native12_GLOBAL__N_18offset_tEEE10hipError_tPvRmT1_PNSt15iterator_traitsISL_E10value_typeET2_T3_PNSM_ISR_E10value_typeET4_jRbjT5_SX_jjP12ihipStream_tbEUlT_E_NS1_11comp_targetILNS1_3genE2ELNS1_11target_archE906ELNS1_3gpuE6ELNS1_3repE0EEENS1_30default_config_static_selectorELNS0_4arch9wavefront6targetE0EEEvSL_.kd
    .uniform_work_group_size: 1
    .uses_dynamic_stack: false
    .vgpr_count:     0
    .vgpr_spill_count: 0
    .wavefront_size: 32
    .workgroup_processor_mode: 1
  - .args:
      - .offset:         0
        .size:           96
        .value_kind:     by_value
    .group_segment_fixed_size: 0
    .kernarg_segment_align: 8
    .kernarg_segment_size: 96
    .language:       OpenCL C
    .language_version:
      - 2
      - 0
    .max_flat_workgroup_size: 256
    .name:           _ZN7rocprim17ROCPRIM_400000_NS6detail17trampoline_kernelINS0_14default_configENS1_36segmented_radix_sort_config_selectorI6__halflEEZNS1_25segmented_radix_sort_implIS3_Lb0EPKS5_PS5_PKlPlN2at6native12_GLOBAL__N_18offset_tEEE10hipError_tPvRmT1_PNSt15iterator_traitsISL_E10value_typeET2_T3_PNSM_ISR_E10value_typeET4_jRbjT5_SX_jjP12ihipStream_tbEUlT_E_NS1_11comp_targetILNS1_3genE10ELNS1_11target_archE1201ELNS1_3gpuE5ELNS1_3repE0EEENS1_30default_config_static_selectorELNS0_4arch9wavefront6targetE0EEEvSL_
    .private_segment_fixed_size: 0
    .sgpr_count:     0
    .sgpr_spill_count: 0
    .symbol:         _ZN7rocprim17ROCPRIM_400000_NS6detail17trampoline_kernelINS0_14default_configENS1_36segmented_radix_sort_config_selectorI6__halflEEZNS1_25segmented_radix_sort_implIS3_Lb0EPKS5_PS5_PKlPlN2at6native12_GLOBAL__N_18offset_tEEE10hipError_tPvRmT1_PNSt15iterator_traitsISL_E10value_typeET2_T3_PNSM_ISR_E10value_typeET4_jRbjT5_SX_jjP12ihipStream_tbEUlT_E_NS1_11comp_targetILNS1_3genE10ELNS1_11target_archE1201ELNS1_3gpuE5ELNS1_3repE0EEENS1_30default_config_static_selectorELNS0_4arch9wavefront6targetE0EEEvSL_.kd
    .uniform_work_group_size: 1
    .uses_dynamic_stack: false
    .vgpr_count:     0
    .vgpr_spill_count: 0
    .wavefront_size: 32
    .workgroup_processor_mode: 1
  - .args:
      - .offset:         0
        .size:           96
        .value_kind:     by_value
    .group_segment_fixed_size: 0
    .kernarg_segment_align: 8
    .kernarg_segment_size: 96
    .language:       OpenCL C
    .language_version:
      - 2
      - 0
    .max_flat_workgroup_size: 128
    .name:           _ZN7rocprim17ROCPRIM_400000_NS6detail17trampoline_kernelINS0_14default_configENS1_36segmented_radix_sort_config_selectorI6__halflEEZNS1_25segmented_radix_sort_implIS3_Lb0EPKS5_PS5_PKlPlN2at6native12_GLOBAL__N_18offset_tEEE10hipError_tPvRmT1_PNSt15iterator_traitsISL_E10value_typeET2_T3_PNSM_ISR_E10value_typeET4_jRbjT5_SX_jjP12ihipStream_tbEUlT_E_NS1_11comp_targetILNS1_3genE10ELNS1_11target_archE1200ELNS1_3gpuE4ELNS1_3repE0EEENS1_30default_config_static_selectorELNS0_4arch9wavefront6targetE0EEEvSL_
    .private_segment_fixed_size: 0
    .sgpr_count:     0
    .sgpr_spill_count: 0
    .symbol:         _ZN7rocprim17ROCPRIM_400000_NS6detail17trampoline_kernelINS0_14default_configENS1_36segmented_radix_sort_config_selectorI6__halflEEZNS1_25segmented_radix_sort_implIS3_Lb0EPKS5_PS5_PKlPlN2at6native12_GLOBAL__N_18offset_tEEE10hipError_tPvRmT1_PNSt15iterator_traitsISL_E10value_typeET2_T3_PNSM_ISR_E10value_typeET4_jRbjT5_SX_jjP12ihipStream_tbEUlT_E_NS1_11comp_targetILNS1_3genE10ELNS1_11target_archE1200ELNS1_3gpuE4ELNS1_3repE0EEENS1_30default_config_static_selectorELNS0_4arch9wavefront6targetE0EEEvSL_.kd
    .uniform_work_group_size: 1
    .uses_dynamic_stack: false
    .vgpr_count:     0
    .vgpr_spill_count: 0
    .wavefront_size: 32
    .workgroup_processor_mode: 1
  - .args:
      - .offset:         0
        .size:           96
        .value_kind:     by_value
      - .offset:         96
        .size:           4
        .value_kind:     hidden_block_count_x
      - .offset:         100
        .size:           4
        .value_kind:     hidden_block_count_y
      - .offset:         104
        .size:           4
        .value_kind:     hidden_block_count_z
      - .offset:         108
        .size:           2
        .value_kind:     hidden_group_size_x
      - .offset:         110
        .size:           2
        .value_kind:     hidden_group_size_y
      - .offset:         112
        .size:           2
        .value_kind:     hidden_group_size_z
      - .offset:         114
        .size:           2
        .value_kind:     hidden_remainder_x
      - .offset:         116
        .size:           2
        .value_kind:     hidden_remainder_y
      - .offset:         118
        .size:           2
        .value_kind:     hidden_remainder_z
      - .offset:         136
        .size:           8
        .value_kind:     hidden_global_offset_x
      - .offset:         144
        .size:           8
        .value_kind:     hidden_global_offset_y
      - .offset:         152
        .size:           8
        .value_kind:     hidden_global_offset_z
      - .offset:         160
        .size:           2
        .value_kind:     hidden_grid_dims
    .group_segment_fixed_size: 33824
    .kernarg_segment_align: 8
    .kernarg_segment_size: 352
    .language:       OpenCL C
    .language_version:
      - 2
      - 0
    .max_flat_workgroup_size: 256
    .name:           _ZN7rocprim17ROCPRIM_400000_NS6detail17trampoline_kernelINS0_14default_configENS1_36segmented_radix_sort_config_selectorI6__halflEEZNS1_25segmented_radix_sort_implIS3_Lb0EPKS5_PS5_PKlPlN2at6native12_GLOBAL__N_18offset_tEEE10hipError_tPvRmT1_PNSt15iterator_traitsISL_E10value_typeET2_T3_PNSM_ISR_E10value_typeET4_jRbjT5_SX_jjP12ihipStream_tbEUlT_E_NS1_11comp_targetILNS1_3genE9ELNS1_11target_archE1100ELNS1_3gpuE3ELNS1_3repE0EEENS1_30default_config_static_selectorELNS0_4arch9wavefront6targetE0EEEvSL_
    .private_segment_fixed_size: 220
    .sgpr_count:     62
    .sgpr_spill_count: 0
    .symbol:         _ZN7rocprim17ROCPRIM_400000_NS6detail17trampoline_kernelINS0_14default_configENS1_36segmented_radix_sort_config_selectorI6__halflEEZNS1_25segmented_radix_sort_implIS3_Lb0EPKS5_PS5_PKlPlN2at6native12_GLOBAL__N_18offset_tEEE10hipError_tPvRmT1_PNSt15iterator_traitsISL_E10value_typeET2_T3_PNSM_ISR_E10value_typeET4_jRbjT5_SX_jjP12ihipStream_tbEUlT_E_NS1_11comp_targetILNS1_3genE9ELNS1_11target_archE1100ELNS1_3gpuE3ELNS1_3repE0EEENS1_30default_config_static_selectorELNS0_4arch9wavefront6targetE0EEEvSL_.kd
    .uniform_work_group_size: 1
    .uses_dynamic_stack: false
    .vgpr_count:     248
    .vgpr_spill_count: 0
    .wavefront_size: 32
    .workgroup_processor_mode: 1
  - .args:
      - .offset:         0
        .size:           96
        .value_kind:     by_value
    .group_segment_fixed_size: 0
    .kernarg_segment_align: 8
    .kernarg_segment_size: 96
    .language:       OpenCL C
    .language_version:
      - 2
      - 0
    .max_flat_workgroup_size: 256
    .name:           _ZN7rocprim17ROCPRIM_400000_NS6detail17trampoline_kernelINS0_14default_configENS1_36segmented_radix_sort_config_selectorI6__halflEEZNS1_25segmented_radix_sort_implIS3_Lb0EPKS5_PS5_PKlPlN2at6native12_GLOBAL__N_18offset_tEEE10hipError_tPvRmT1_PNSt15iterator_traitsISL_E10value_typeET2_T3_PNSM_ISR_E10value_typeET4_jRbjT5_SX_jjP12ihipStream_tbEUlT_E_NS1_11comp_targetILNS1_3genE8ELNS1_11target_archE1030ELNS1_3gpuE2ELNS1_3repE0EEENS1_30default_config_static_selectorELNS0_4arch9wavefront6targetE0EEEvSL_
    .private_segment_fixed_size: 0
    .sgpr_count:     0
    .sgpr_spill_count: 0
    .symbol:         _ZN7rocprim17ROCPRIM_400000_NS6detail17trampoline_kernelINS0_14default_configENS1_36segmented_radix_sort_config_selectorI6__halflEEZNS1_25segmented_radix_sort_implIS3_Lb0EPKS5_PS5_PKlPlN2at6native12_GLOBAL__N_18offset_tEEE10hipError_tPvRmT1_PNSt15iterator_traitsISL_E10value_typeET2_T3_PNSM_ISR_E10value_typeET4_jRbjT5_SX_jjP12ihipStream_tbEUlT_E_NS1_11comp_targetILNS1_3genE8ELNS1_11target_archE1030ELNS1_3gpuE2ELNS1_3repE0EEENS1_30default_config_static_selectorELNS0_4arch9wavefront6targetE0EEEvSL_.kd
    .uniform_work_group_size: 1
    .uses_dynamic_stack: false
    .vgpr_count:     0
    .vgpr_spill_count: 0
    .wavefront_size: 32
    .workgroup_processor_mode: 1
  - .args:
      - .offset:         0
        .size:           88
        .value_kind:     by_value
    .group_segment_fixed_size: 0
    .kernarg_segment_align: 8
    .kernarg_segment_size: 88
    .language:       OpenCL C
    .language_version:
      - 2
      - 0
    .max_flat_workgroup_size: 256
    .name:           _ZN7rocprim17ROCPRIM_400000_NS6detail17trampoline_kernelINS0_14default_configENS1_36segmented_radix_sort_config_selectorI6__halflEEZNS1_25segmented_radix_sort_implIS3_Lb0EPKS5_PS5_PKlPlN2at6native12_GLOBAL__N_18offset_tEEE10hipError_tPvRmT1_PNSt15iterator_traitsISL_E10value_typeET2_T3_PNSM_ISR_E10value_typeET4_jRbjT5_SX_jjP12ihipStream_tbEUlT_E0_NS1_11comp_targetILNS1_3genE0ELNS1_11target_archE4294967295ELNS1_3gpuE0ELNS1_3repE0EEENS1_60segmented_radix_sort_warp_sort_medium_config_static_selectorELNS0_4arch9wavefront6targetE0EEEvSL_
    .private_segment_fixed_size: 0
    .sgpr_count:     0
    .sgpr_spill_count: 0
    .symbol:         _ZN7rocprim17ROCPRIM_400000_NS6detail17trampoline_kernelINS0_14default_configENS1_36segmented_radix_sort_config_selectorI6__halflEEZNS1_25segmented_radix_sort_implIS3_Lb0EPKS5_PS5_PKlPlN2at6native12_GLOBAL__N_18offset_tEEE10hipError_tPvRmT1_PNSt15iterator_traitsISL_E10value_typeET2_T3_PNSM_ISR_E10value_typeET4_jRbjT5_SX_jjP12ihipStream_tbEUlT_E0_NS1_11comp_targetILNS1_3genE0ELNS1_11target_archE4294967295ELNS1_3gpuE0ELNS1_3repE0EEENS1_60segmented_radix_sort_warp_sort_medium_config_static_selectorELNS0_4arch9wavefront6targetE0EEEvSL_.kd
    .uniform_work_group_size: 1
    .uses_dynamic_stack: false
    .vgpr_count:     0
    .vgpr_spill_count: 0
    .wavefront_size: 32
    .workgroup_processor_mode: 1
  - .args:
      - .offset:         0
        .size:           88
        .value_kind:     by_value
    .group_segment_fixed_size: 0
    .kernarg_segment_align: 8
    .kernarg_segment_size: 88
    .language:       OpenCL C
    .language_version:
      - 2
      - 0
    .max_flat_workgroup_size: 256
    .name:           _ZN7rocprim17ROCPRIM_400000_NS6detail17trampoline_kernelINS0_14default_configENS1_36segmented_radix_sort_config_selectorI6__halflEEZNS1_25segmented_radix_sort_implIS3_Lb0EPKS5_PS5_PKlPlN2at6native12_GLOBAL__N_18offset_tEEE10hipError_tPvRmT1_PNSt15iterator_traitsISL_E10value_typeET2_T3_PNSM_ISR_E10value_typeET4_jRbjT5_SX_jjP12ihipStream_tbEUlT_E0_NS1_11comp_targetILNS1_3genE5ELNS1_11target_archE942ELNS1_3gpuE9ELNS1_3repE0EEENS1_60segmented_radix_sort_warp_sort_medium_config_static_selectorELNS0_4arch9wavefront6targetE0EEEvSL_
    .private_segment_fixed_size: 0
    .sgpr_count:     0
    .sgpr_spill_count: 0
    .symbol:         _ZN7rocprim17ROCPRIM_400000_NS6detail17trampoline_kernelINS0_14default_configENS1_36segmented_radix_sort_config_selectorI6__halflEEZNS1_25segmented_radix_sort_implIS3_Lb0EPKS5_PS5_PKlPlN2at6native12_GLOBAL__N_18offset_tEEE10hipError_tPvRmT1_PNSt15iterator_traitsISL_E10value_typeET2_T3_PNSM_ISR_E10value_typeET4_jRbjT5_SX_jjP12ihipStream_tbEUlT_E0_NS1_11comp_targetILNS1_3genE5ELNS1_11target_archE942ELNS1_3gpuE9ELNS1_3repE0EEENS1_60segmented_radix_sort_warp_sort_medium_config_static_selectorELNS0_4arch9wavefront6targetE0EEEvSL_.kd
    .uniform_work_group_size: 1
    .uses_dynamic_stack: false
    .vgpr_count:     0
    .vgpr_spill_count: 0
    .wavefront_size: 32
    .workgroup_processor_mode: 1
  - .args:
      - .offset:         0
        .size:           88
        .value_kind:     by_value
    .group_segment_fixed_size: 0
    .kernarg_segment_align: 8
    .kernarg_segment_size: 88
    .language:       OpenCL C
    .language_version:
      - 2
      - 0
    .max_flat_workgroup_size: 256
    .name:           _ZN7rocprim17ROCPRIM_400000_NS6detail17trampoline_kernelINS0_14default_configENS1_36segmented_radix_sort_config_selectorI6__halflEEZNS1_25segmented_radix_sort_implIS3_Lb0EPKS5_PS5_PKlPlN2at6native12_GLOBAL__N_18offset_tEEE10hipError_tPvRmT1_PNSt15iterator_traitsISL_E10value_typeET2_T3_PNSM_ISR_E10value_typeET4_jRbjT5_SX_jjP12ihipStream_tbEUlT_E0_NS1_11comp_targetILNS1_3genE4ELNS1_11target_archE910ELNS1_3gpuE8ELNS1_3repE0EEENS1_60segmented_radix_sort_warp_sort_medium_config_static_selectorELNS0_4arch9wavefront6targetE0EEEvSL_
    .private_segment_fixed_size: 0
    .sgpr_count:     0
    .sgpr_spill_count: 0
    .symbol:         _ZN7rocprim17ROCPRIM_400000_NS6detail17trampoline_kernelINS0_14default_configENS1_36segmented_radix_sort_config_selectorI6__halflEEZNS1_25segmented_radix_sort_implIS3_Lb0EPKS5_PS5_PKlPlN2at6native12_GLOBAL__N_18offset_tEEE10hipError_tPvRmT1_PNSt15iterator_traitsISL_E10value_typeET2_T3_PNSM_ISR_E10value_typeET4_jRbjT5_SX_jjP12ihipStream_tbEUlT_E0_NS1_11comp_targetILNS1_3genE4ELNS1_11target_archE910ELNS1_3gpuE8ELNS1_3repE0EEENS1_60segmented_radix_sort_warp_sort_medium_config_static_selectorELNS0_4arch9wavefront6targetE0EEEvSL_.kd
    .uniform_work_group_size: 1
    .uses_dynamic_stack: false
    .vgpr_count:     0
    .vgpr_spill_count: 0
    .wavefront_size: 32
    .workgroup_processor_mode: 1
  - .args:
      - .offset:         0
        .size:           88
        .value_kind:     by_value
    .group_segment_fixed_size: 0
    .kernarg_segment_align: 8
    .kernarg_segment_size: 88
    .language:       OpenCL C
    .language_version:
      - 2
      - 0
    .max_flat_workgroup_size: 256
    .name:           _ZN7rocprim17ROCPRIM_400000_NS6detail17trampoline_kernelINS0_14default_configENS1_36segmented_radix_sort_config_selectorI6__halflEEZNS1_25segmented_radix_sort_implIS3_Lb0EPKS5_PS5_PKlPlN2at6native12_GLOBAL__N_18offset_tEEE10hipError_tPvRmT1_PNSt15iterator_traitsISL_E10value_typeET2_T3_PNSM_ISR_E10value_typeET4_jRbjT5_SX_jjP12ihipStream_tbEUlT_E0_NS1_11comp_targetILNS1_3genE3ELNS1_11target_archE908ELNS1_3gpuE7ELNS1_3repE0EEENS1_60segmented_radix_sort_warp_sort_medium_config_static_selectorELNS0_4arch9wavefront6targetE0EEEvSL_
    .private_segment_fixed_size: 0
    .sgpr_count:     0
    .sgpr_spill_count: 0
    .symbol:         _ZN7rocprim17ROCPRIM_400000_NS6detail17trampoline_kernelINS0_14default_configENS1_36segmented_radix_sort_config_selectorI6__halflEEZNS1_25segmented_radix_sort_implIS3_Lb0EPKS5_PS5_PKlPlN2at6native12_GLOBAL__N_18offset_tEEE10hipError_tPvRmT1_PNSt15iterator_traitsISL_E10value_typeET2_T3_PNSM_ISR_E10value_typeET4_jRbjT5_SX_jjP12ihipStream_tbEUlT_E0_NS1_11comp_targetILNS1_3genE3ELNS1_11target_archE908ELNS1_3gpuE7ELNS1_3repE0EEENS1_60segmented_radix_sort_warp_sort_medium_config_static_selectorELNS0_4arch9wavefront6targetE0EEEvSL_.kd
    .uniform_work_group_size: 1
    .uses_dynamic_stack: false
    .vgpr_count:     0
    .vgpr_spill_count: 0
    .wavefront_size: 32
    .workgroup_processor_mode: 1
  - .args:
      - .offset:         0
        .size:           88
        .value_kind:     by_value
    .group_segment_fixed_size: 0
    .kernarg_segment_align: 8
    .kernarg_segment_size: 88
    .language:       OpenCL C
    .language_version:
      - 2
      - 0
    .max_flat_workgroup_size: 256
    .name:           _ZN7rocprim17ROCPRIM_400000_NS6detail17trampoline_kernelINS0_14default_configENS1_36segmented_radix_sort_config_selectorI6__halflEEZNS1_25segmented_radix_sort_implIS3_Lb0EPKS5_PS5_PKlPlN2at6native12_GLOBAL__N_18offset_tEEE10hipError_tPvRmT1_PNSt15iterator_traitsISL_E10value_typeET2_T3_PNSM_ISR_E10value_typeET4_jRbjT5_SX_jjP12ihipStream_tbEUlT_E0_NS1_11comp_targetILNS1_3genE2ELNS1_11target_archE906ELNS1_3gpuE6ELNS1_3repE0EEENS1_60segmented_radix_sort_warp_sort_medium_config_static_selectorELNS0_4arch9wavefront6targetE0EEEvSL_
    .private_segment_fixed_size: 0
    .sgpr_count:     0
    .sgpr_spill_count: 0
    .symbol:         _ZN7rocprim17ROCPRIM_400000_NS6detail17trampoline_kernelINS0_14default_configENS1_36segmented_radix_sort_config_selectorI6__halflEEZNS1_25segmented_radix_sort_implIS3_Lb0EPKS5_PS5_PKlPlN2at6native12_GLOBAL__N_18offset_tEEE10hipError_tPvRmT1_PNSt15iterator_traitsISL_E10value_typeET2_T3_PNSM_ISR_E10value_typeET4_jRbjT5_SX_jjP12ihipStream_tbEUlT_E0_NS1_11comp_targetILNS1_3genE2ELNS1_11target_archE906ELNS1_3gpuE6ELNS1_3repE0EEENS1_60segmented_radix_sort_warp_sort_medium_config_static_selectorELNS0_4arch9wavefront6targetE0EEEvSL_.kd
    .uniform_work_group_size: 1
    .uses_dynamic_stack: false
    .vgpr_count:     0
    .vgpr_spill_count: 0
    .wavefront_size: 32
    .workgroup_processor_mode: 1
  - .args:
      - .offset:         0
        .size:           88
        .value_kind:     by_value
    .group_segment_fixed_size: 0
    .kernarg_segment_align: 8
    .kernarg_segment_size: 88
    .language:       OpenCL C
    .language_version:
      - 2
      - 0
    .max_flat_workgroup_size: 256
    .name:           _ZN7rocprim17ROCPRIM_400000_NS6detail17trampoline_kernelINS0_14default_configENS1_36segmented_radix_sort_config_selectorI6__halflEEZNS1_25segmented_radix_sort_implIS3_Lb0EPKS5_PS5_PKlPlN2at6native12_GLOBAL__N_18offset_tEEE10hipError_tPvRmT1_PNSt15iterator_traitsISL_E10value_typeET2_T3_PNSM_ISR_E10value_typeET4_jRbjT5_SX_jjP12ihipStream_tbEUlT_E0_NS1_11comp_targetILNS1_3genE10ELNS1_11target_archE1201ELNS1_3gpuE5ELNS1_3repE0EEENS1_60segmented_radix_sort_warp_sort_medium_config_static_selectorELNS0_4arch9wavefront6targetE0EEEvSL_
    .private_segment_fixed_size: 0
    .sgpr_count:     0
    .sgpr_spill_count: 0
    .symbol:         _ZN7rocprim17ROCPRIM_400000_NS6detail17trampoline_kernelINS0_14default_configENS1_36segmented_radix_sort_config_selectorI6__halflEEZNS1_25segmented_radix_sort_implIS3_Lb0EPKS5_PS5_PKlPlN2at6native12_GLOBAL__N_18offset_tEEE10hipError_tPvRmT1_PNSt15iterator_traitsISL_E10value_typeET2_T3_PNSM_ISR_E10value_typeET4_jRbjT5_SX_jjP12ihipStream_tbEUlT_E0_NS1_11comp_targetILNS1_3genE10ELNS1_11target_archE1201ELNS1_3gpuE5ELNS1_3repE0EEENS1_60segmented_radix_sort_warp_sort_medium_config_static_selectorELNS0_4arch9wavefront6targetE0EEEvSL_.kd
    .uniform_work_group_size: 1
    .uses_dynamic_stack: false
    .vgpr_count:     0
    .vgpr_spill_count: 0
    .wavefront_size: 32
    .workgroup_processor_mode: 1
  - .args:
      - .offset:         0
        .size:           88
        .value_kind:     by_value
    .group_segment_fixed_size: 0
    .kernarg_segment_align: 8
    .kernarg_segment_size: 88
    .language:       OpenCL C
    .language_version:
      - 2
      - 0
    .max_flat_workgroup_size: 256
    .name:           _ZN7rocprim17ROCPRIM_400000_NS6detail17trampoline_kernelINS0_14default_configENS1_36segmented_radix_sort_config_selectorI6__halflEEZNS1_25segmented_radix_sort_implIS3_Lb0EPKS5_PS5_PKlPlN2at6native12_GLOBAL__N_18offset_tEEE10hipError_tPvRmT1_PNSt15iterator_traitsISL_E10value_typeET2_T3_PNSM_ISR_E10value_typeET4_jRbjT5_SX_jjP12ihipStream_tbEUlT_E0_NS1_11comp_targetILNS1_3genE10ELNS1_11target_archE1200ELNS1_3gpuE4ELNS1_3repE0EEENS1_60segmented_radix_sort_warp_sort_medium_config_static_selectorELNS0_4arch9wavefront6targetE0EEEvSL_
    .private_segment_fixed_size: 0
    .sgpr_count:     0
    .sgpr_spill_count: 0
    .symbol:         _ZN7rocprim17ROCPRIM_400000_NS6detail17trampoline_kernelINS0_14default_configENS1_36segmented_radix_sort_config_selectorI6__halflEEZNS1_25segmented_radix_sort_implIS3_Lb0EPKS5_PS5_PKlPlN2at6native12_GLOBAL__N_18offset_tEEE10hipError_tPvRmT1_PNSt15iterator_traitsISL_E10value_typeET2_T3_PNSM_ISR_E10value_typeET4_jRbjT5_SX_jjP12ihipStream_tbEUlT_E0_NS1_11comp_targetILNS1_3genE10ELNS1_11target_archE1200ELNS1_3gpuE4ELNS1_3repE0EEENS1_60segmented_radix_sort_warp_sort_medium_config_static_selectorELNS0_4arch9wavefront6targetE0EEEvSL_.kd
    .uniform_work_group_size: 1
    .uses_dynamic_stack: false
    .vgpr_count:     0
    .vgpr_spill_count: 0
    .wavefront_size: 32
    .workgroup_processor_mode: 1
  - .args:
      - .offset:         0
        .size:           88
        .value_kind:     by_value
      - .offset:         88
        .size:           4
        .value_kind:     hidden_block_count_x
      - .offset:         92
        .size:           4
        .value_kind:     hidden_block_count_y
      - .offset:         96
        .size:           4
        .value_kind:     hidden_block_count_z
      - .offset:         100
        .size:           2
        .value_kind:     hidden_group_size_x
      - .offset:         102
        .size:           2
        .value_kind:     hidden_group_size_y
      - .offset:         104
        .size:           2
        .value_kind:     hidden_group_size_z
      - .offset:         106
        .size:           2
        .value_kind:     hidden_remainder_x
      - .offset:         108
        .size:           2
        .value_kind:     hidden_remainder_y
      - .offset:         110
        .size:           2
        .value_kind:     hidden_remainder_z
      - .offset:         128
        .size:           8
        .value_kind:     hidden_global_offset_x
      - .offset:         136
        .size:           8
        .value_kind:     hidden_global_offset_y
      - .offset:         144
        .size:           8
        .value_kind:     hidden_global_offset_z
      - .offset:         152
        .size:           2
        .value_kind:     hidden_grid_dims
    .group_segment_fixed_size: 20480
    .kernarg_segment_align: 8
    .kernarg_segment_size: 344
    .language:       OpenCL C
    .language_version:
      - 2
      - 0
    .max_flat_workgroup_size: 256
    .name:           _ZN7rocprim17ROCPRIM_400000_NS6detail17trampoline_kernelINS0_14default_configENS1_36segmented_radix_sort_config_selectorI6__halflEEZNS1_25segmented_radix_sort_implIS3_Lb0EPKS5_PS5_PKlPlN2at6native12_GLOBAL__N_18offset_tEEE10hipError_tPvRmT1_PNSt15iterator_traitsISL_E10value_typeET2_T3_PNSM_ISR_E10value_typeET4_jRbjT5_SX_jjP12ihipStream_tbEUlT_E0_NS1_11comp_targetILNS1_3genE9ELNS1_11target_archE1100ELNS1_3gpuE3ELNS1_3repE0EEENS1_60segmented_radix_sort_warp_sort_medium_config_static_selectorELNS0_4arch9wavefront6targetE0EEEvSL_
    .private_segment_fixed_size: 0
    .sgpr_count:     42
    .sgpr_spill_count: 0
    .symbol:         _ZN7rocprim17ROCPRIM_400000_NS6detail17trampoline_kernelINS0_14default_configENS1_36segmented_radix_sort_config_selectorI6__halflEEZNS1_25segmented_radix_sort_implIS3_Lb0EPKS5_PS5_PKlPlN2at6native12_GLOBAL__N_18offset_tEEE10hipError_tPvRmT1_PNSt15iterator_traitsISL_E10value_typeET2_T3_PNSM_ISR_E10value_typeET4_jRbjT5_SX_jjP12ihipStream_tbEUlT_E0_NS1_11comp_targetILNS1_3genE9ELNS1_11target_archE1100ELNS1_3gpuE3ELNS1_3repE0EEENS1_60segmented_radix_sort_warp_sort_medium_config_static_selectorELNS0_4arch9wavefront6targetE0EEEvSL_.kd
    .uniform_work_group_size: 1
    .uses_dynamic_stack: false
    .vgpr_count:     71
    .vgpr_spill_count: 0
    .wavefront_size: 32
    .workgroup_processor_mode: 1
  - .args:
      - .offset:         0
        .size:           88
        .value_kind:     by_value
    .group_segment_fixed_size: 0
    .kernarg_segment_align: 8
    .kernarg_segment_size: 88
    .language:       OpenCL C
    .language_version:
      - 2
      - 0
    .max_flat_workgroup_size: 256
    .name:           _ZN7rocprim17ROCPRIM_400000_NS6detail17trampoline_kernelINS0_14default_configENS1_36segmented_radix_sort_config_selectorI6__halflEEZNS1_25segmented_radix_sort_implIS3_Lb0EPKS5_PS5_PKlPlN2at6native12_GLOBAL__N_18offset_tEEE10hipError_tPvRmT1_PNSt15iterator_traitsISL_E10value_typeET2_T3_PNSM_ISR_E10value_typeET4_jRbjT5_SX_jjP12ihipStream_tbEUlT_E0_NS1_11comp_targetILNS1_3genE8ELNS1_11target_archE1030ELNS1_3gpuE2ELNS1_3repE0EEENS1_60segmented_radix_sort_warp_sort_medium_config_static_selectorELNS0_4arch9wavefront6targetE0EEEvSL_
    .private_segment_fixed_size: 0
    .sgpr_count:     0
    .sgpr_spill_count: 0
    .symbol:         _ZN7rocprim17ROCPRIM_400000_NS6detail17trampoline_kernelINS0_14default_configENS1_36segmented_radix_sort_config_selectorI6__halflEEZNS1_25segmented_radix_sort_implIS3_Lb0EPKS5_PS5_PKlPlN2at6native12_GLOBAL__N_18offset_tEEE10hipError_tPvRmT1_PNSt15iterator_traitsISL_E10value_typeET2_T3_PNSM_ISR_E10value_typeET4_jRbjT5_SX_jjP12ihipStream_tbEUlT_E0_NS1_11comp_targetILNS1_3genE8ELNS1_11target_archE1030ELNS1_3gpuE2ELNS1_3repE0EEENS1_60segmented_radix_sort_warp_sort_medium_config_static_selectorELNS0_4arch9wavefront6targetE0EEEvSL_.kd
    .uniform_work_group_size: 1
    .uses_dynamic_stack: false
    .vgpr_count:     0
    .vgpr_spill_count: 0
    .wavefront_size: 32
    .workgroup_processor_mode: 1
  - .args:
      - .offset:         0
        .size:           88
        .value_kind:     by_value
    .group_segment_fixed_size: 0
    .kernarg_segment_align: 8
    .kernarg_segment_size: 88
    .language:       OpenCL C
    .language_version:
      - 2
      - 0
    .max_flat_workgroup_size: 256
    .name:           _ZN7rocprim17ROCPRIM_400000_NS6detail17trampoline_kernelINS0_14default_configENS1_36segmented_radix_sort_config_selectorI6__halflEEZNS1_25segmented_radix_sort_implIS3_Lb0EPKS5_PS5_PKlPlN2at6native12_GLOBAL__N_18offset_tEEE10hipError_tPvRmT1_PNSt15iterator_traitsISL_E10value_typeET2_T3_PNSM_ISR_E10value_typeET4_jRbjT5_SX_jjP12ihipStream_tbEUlT_E1_NS1_11comp_targetILNS1_3genE0ELNS1_11target_archE4294967295ELNS1_3gpuE0ELNS1_3repE0EEENS1_59segmented_radix_sort_warp_sort_small_config_static_selectorELNS0_4arch9wavefront6targetE0EEEvSL_
    .private_segment_fixed_size: 0
    .sgpr_count:     0
    .sgpr_spill_count: 0
    .symbol:         _ZN7rocprim17ROCPRIM_400000_NS6detail17trampoline_kernelINS0_14default_configENS1_36segmented_radix_sort_config_selectorI6__halflEEZNS1_25segmented_radix_sort_implIS3_Lb0EPKS5_PS5_PKlPlN2at6native12_GLOBAL__N_18offset_tEEE10hipError_tPvRmT1_PNSt15iterator_traitsISL_E10value_typeET2_T3_PNSM_ISR_E10value_typeET4_jRbjT5_SX_jjP12ihipStream_tbEUlT_E1_NS1_11comp_targetILNS1_3genE0ELNS1_11target_archE4294967295ELNS1_3gpuE0ELNS1_3repE0EEENS1_59segmented_radix_sort_warp_sort_small_config_static_selectorELNS0_4arch9wavefront6targetE0EEEvSL_.kd
    .uniform_work_group_size: 1
    .uses_dynamic_stack: false
    .vgpr_count:     0
    .vgpr_spill_count: 0
    .wavefront_size: 32
    .workgroup_processor_mode: 1
  - .args:
      - .offset:         0
        .size:           88
        .value_kind:     by_value
    .group_segment_fixed_size: 0
    .kernarg_segment_align: 8
    .kernarg_segment_size: 88
    .language:       OpenCL C
    .language_version:
      - 2
      - 0
    .max_flat_workgroup_size: 256
    .name:           _ZN7rocprim17ROCPRIM_400000_NS6detail17trampoline_kernelINS0_14default_configENS1_36segmented_radix_sort_config_selectorI6__halflEEZNS1_25segmented_radix_sort_implIS3_Lb0EPKS5_PS5_PKlPlN2at6native12_GLOBAL__N_18offset_tEEE10hipError_tPvRmT1_PNSt15iterator_traitsISL_E10value_typeET2_T3_PNSM_ISR_E10value_typeET4_jRbjT5_SX_jjP12ihipStream_tbEUlT_E1_NS1_11comp_targetILNS1_3genE5ELNS1_11target_archE942ELNS1_3gpuE9ELNS1_3repE0EEENS1_59segmented_radix_sort_warp_sort_small_config_static_selectorELNS0_4arch9wavefront6targetE0EEEvSL_
    .private_segment_fixed_size: 0
    .sgpr_count:     0
    .sgpr_spill_count: 0
    .symbol:         _ZN7rocprim17ROCPRIM_400000_NS6detail17trampoline_kernelINS0_14default_configENS1_36segmented_radix_sort_config_selectorI6__halflEEZNS1_25segmented_radix_sort_implIS3_Lb0EPKS5_PS5_PKlPlN2at6native12_GLOBAL__N_18offset_tEEE10hipError_tPvRmT1_PNSt15iterator_traitsISL_E10value_typeET2_T3_PNSM_ISR_E10value_typeET4_jRbjT5_SX_jjP12ihipStream_tbEUlT_E1_NS1_11comp_targetILNS1_3genE5ELNS1_11target_archE942ELNS1_3gpuE9ELNS1_3repE0EEENS1_59segmented_radix_sort_warp_sort_small_config_static_selectorELNS0_4arch9wavefront6targetE0EEEvSL_.kd
    .uniform_work_group_size: 1
    .uses_dynamic_stack: false
    .vgpr_count:     0
    .vgpr_spill_count: 0
    .wavefront_size: 32
    .workgroup_processor_mode: 1
  - .args:
      - .offset:         0
        .size:           88
        .value_kind:     by_value
    .group_segment_fixed_size: 0
    .kernarg_segment_align: 8
    .kernarg_segment_size: 88
    .language:       OpenCL C
    .language_version:
      - 2
      - 0
    .max_flat_workgroup_size: 256
    .name:           _ZN7rocprim17ROCPRIM_400000_NS6detail17trampoline_kernelINS0_14default_configENS1_36segmented_radix_sort_config_selectorI6__halflEEZNS1_25segmented_radix_sort_implIS3_Lb0EPKS5_PS5_PKlPlN2at6native12_GLOBAL__N_18offset_tEEE10hipError_tPvRmT1_PNSt15iterator_traitsISL_E10value_typeET2_T3_PNSM_ISR_E10value_typeET4_jRbjT5_SX_jjP12ihipStream_tbEUlT_E1_NS1_11comp_targetILNS1_3genE4ELNS1_11target_archE910ELNS1_3gpuE8ELNS1_3repE0EEENS1_59segmented_radix_sort_warp_sort_small_config_static_selectorELNS0_4arch9wavefront6targetE0EEEvSL_
    .private_segment_fixed_size: 0
    .sgpr_count:     0
    .sgpr_spill_count: 0
    .symbol:         _ZN7rocprim17ROCPRIM_400000_NS6detail17trampoline_kernelINS0_14default_configENS1_36segmented_radix_sort_config_selectorI6__halflEEZNS1_25segmented_radix_sort_implIS3_Lb0EPKS5_PS5_PKlPlN2at6native12_GLOBAL__N_18offset_tEEE10hipError_tPvRmT1_PNSt15iterator_traitsISL_E10value_typeET2_T3_PNSM_ISR_E10value_typeET4_jRbjT5_SX_jjP12ihipStream_tbEUlT_E1_NS1_11comp_targetILNS1_3genE4ELNS1_11target_archE910ELNS1_3gpuE8ELNS1_3repE0EEENS1_59segmented_radix_sort_warp_sort_small_config_static_selectorELNS0_4arch9wavefront6targetE0EEEvSL_.kd
    .uniform_work_group_size: 1
    .uses_dynamic_stack: false
    .vgpr_count:     0
    .vgpr_spill_count: 0
    .wavefront_size: 32
    .workgroup_processor_mode: 1
  - .args:
      - .offset:         0
        .size:           88
        .value_kind:     by_value
    .group_segment_fixed_size: 0
    .kernarg_segment_align: 8
    .kernarg_segment_size: 88
    .language:       OpenCL C
    .language_version:
      - 2
      - 0
    .max_flat_workgroup_size: 256
    .name:           _ZN7rocprim17ROCPRIM_400000_NS6detail17trampoline_kernelINS0_14default_configENS1_36segmented_radix_sort_config_selectorI6__halflEEZNS1_25segmented_radix_sort_implIS3_Lb0EPKS5_PS5_PKlPlN2at6native12_GLOBAL__N_18offset_tEEE10hipError_tPvRmT1_PNSt15iterator_traitsISL_E10value_typeET2_T3_PNSM_ISR_E10value_typeET4_jRbjT5_SX_jjP12ihipStream_tbEUlT_E1_NS1_11comp_targetILNS1_3genE3ELNS1_11target_archE908ELNS1_3gpuE7ELNS1_3repE0EEENS1_59segmented_radix_sort_warp_sort_small_config_static_selectorELNS0_4arch9wavefront6targetE0EEEvSL_
    .private_segment_fixed_size: 0
    .sgpr_count:     0
    .sgpr_spill_count: 0
    .symbol:         _ZN7rocprim17ROCPRIM_400000_NS6detail17trampoline_kernelINS0_14default_configENS1_36segmented_radix_sort_config_selectorI6__halflEEZNS1_25segmented_radix_sort_implIS3_Lb0EPKS5_PS5_PKlPlN2at6native12_GLOBAL__N_18offset_tEEE10hipError_tPvRmT1_PNSt15iterator_traitsISL_E10value_typeET2_T3_PNSM_ISR_E10value_typeET4_jRbjT5_SX_jjP12ihipStream_tbEUlT_E1_NS1_11comp_targetILNS1_3genE3ELNS1_11target_archE908ELNS1_3gpuE7ELNS1_3repE0EEENS1_59segmented_radix_sort_warp_sort_small_config_static_selectorELNS0_4arch9wavefront6targetE0EEEvSL_.kd
    .uniform_work_group_size: 1
    .uses_dynamic_stack: false
    .vgpr_count:     0
    .vgpr_spill_count: 0
    .wavefront_size: 32
    .workgroup_processor_mode: 1
  - .args:
      - .offset:         0
        .size:           88
        .value_kind:     by_value
    .group_segment_fixed_size: 0
    .kernarg_segment_align: 8
    .kernarg_segment_size: 88
    .language:       OpenCL C
    .language_version:
      - 2
      - 0
    .max_flat_workgroup_size: 256
    .name:           _ZN7rocprim17ROCPRIM_400000_NS6detail17trampoline_kernelINS0_14default_configENS1_36segmented_radix_sort_config_selectorI6__halflEEZNS1_25segmented_radix_sort_implIS3_Lb0EPKS5_PS5_PKlPlN2at6native12_GLOBAL__N_18offset_tEEE10hipError_tPvRmT1_PNSt15iterator_traitsISL_E10value_typeET2_T3_PNSM_ISR_E10value_typeET4_jRbjT5_SX_jjP12ihipStream_tbEUlT_E1_NS1_11comp_targetILNS1_3genE2ELNS1_11target_archE906ELNS1_3gpuE6ELNS1_3repE0EEENS1_59segmented_radix_sort_warp_sort_small_config_static_selectorELNS0_4arch9wavefront6targetE0EEEvSL_
    .private_segment_fixed_size: 0
    .sgpr_count:     0
    .sgpr_spill_count: 0
    .symbol:         _ZN7rocprim17ROCPRIM_400000_NS6detail17trampoline_kernelINS0_14default_configENS1_36segmented_radix_sort_config_selectorI6__halflEEZNS1_25segmented_radix_sort_implIS3_Lb0EPKS5_PS5_PKlPlN2at6native12_GLOBAL__N_18offset_tEEE10hipError_tPvRmT1_PNSt15iterator_traitsISL_E10value_typeET2_T3_PNSM_ISR_E10value_typeET4_jRbjT5_SX_jjP12ihipStream_tbEUlT_E1_NS1_11comp_targetILNS1_3genE2ELNS1_11target_archE906ELNS1_3gpuE6ELNS1_3repE0EEENS1_59segmented_radix_sort_warp_sort_small_config_static_selectorELNS0_4arch9wavefront6targetE0EEEvSL_.kd
    .uniform_work_group_size: 1
    .uses_dynamic_stack: false
    .vgpr_count:     0
    .vgpr_spill_count: 0
    .wavefront_size: 32
    .workgroup_processor_mode: 1
  - .args:
      - .offset:         0
        .size:           88
        .value_kind:     by_value
    .group_segment_fixed_size: 0
    .kernarg_segment_align: 8
    .kernarg_segment_size: 88
    .language:       OpenCL C
    .language_version:
      - 2
      - 0
    .max_flat_workgroup_size: 256
    .name:           _ZN7rocprim17ROCPRIM_400000_NS6detail17trampoline_kernelINS0_14default_configENS1_36segmented_radix_sort_config_selectorI6__halflEEZNS1_25segmented_radix_sort_implIS3_Lb0EPKS5_PS5_PKlPlN2at6native12_GLOBAL__N_18offset_tEEE10hipError_tPvRmT1_PNSt15iterator_traitsISL_E10value_typeET2_T3_PNSM_ISR_E10value_typeET4_jRbjT5_SX_jjP12ihipStream_tbEUlT_E1_NS1_11comp_targetILNS1_3genE10ELNS1_11target_archE1201ELNS1_3gpuE5ELNS1_3repE0EEENS1_59segmented_radix_sort_warp_sort_small_config_static_selectorELNS0_4arch9wavefront6targetE0EEEvSL_
    .private_segment_fixed_size: 0
    .sgpr_count:     0
    .sgpr_spill_count: 0
    .symbol:         _ZN7rocprim17ROCPRIM_400000_NS6detail17trampoline_kernelINS0_14default_configENS1_36segmented_radix_sort_config_selectorI6__halflEEZNS1_25segmented_radix_sort_implIS3_Lb0EPKS5_PS5_PKlPlN2at6native12_GLOBAL__N_18offset_tEEE10hipError_tPvRmT1_PNSt15iterator_traitsISL_E10value_typeET2_T3_PNSM_ISR_E10value_typeET4_jRbjT5_SX_jjP12ihipStream_tbEUlT_E1_NS1_11comp_targetILNS1_3genE10ELNS1_11target_archE1201ELNS1_3gpuE5ELNS1_3repE0EEENS1_59segmented_radix_sort_warp_sort_small_config_static_selectorELNS0_4arch9wavefront6targetE0EEEvSL_.kd
    .uniform_work_group_size: 1
    .uses_dynamic_stack: false
    .vgpr_count:     0
    .vgpr_spill_count: 0
    .wavefront_size: 32
    .workgroup_processor_mode: 1
  - .args:
      - .offset:         0
        .size:           88
        .value_kind:     by_value
    .group_segment_fixed_size: 0
    .kernarg_segment_align: 8
    .kernarg_segment_size: 88
    .language:       OpenCL C
    .language_version:
      - 2
      - 0
    .max_flat_workgroup_size: 256
    .name:           _ZN7rocprim17ROCPRIM_400000_NS6detail17trampoline_kernelINS0_14default_configENS1_36segmented_radix_sort_config_selectorI6__halflEEZNS1_25segmented_radix_sort_implIS3_Lb0EPKS5_PS5_PKlPlN2at6native12_GLOBAL__N_18offset_tEEE10hipError_tPvRmT1_PNSt15iterator_traitsISL_E10value_typeET2_T3_PNSM_ISR_E10value_typeET4_jRbjT5_SX_jjP12ihipStream_tbEUlT_E1_NS1_11comp_targetILNS1_3genE10ELNS1_11target_archE1200ELNS1_3gpuE4ELNS1_3repE0EEENS1_59segmented_radix_sort_warp_sort_small_config_static_selectorELNS0_4arch9wavefront6targetE0EEEvSL_
    .private_segment_fixed_size: 0
    .sgpr_count:     0
    .sgpr_spill_count: 0
    .symbol:         _ZN7rocprim17ROCPRIM_400000_NS6detail17trampoline_kernelINS0_14default_configENS1_36segmented_radix_sort_config_selectorI6__halflEEZNS1_25segmented_radix_sort_implIS3_Lb0EPKS5_PS5_PKlPlN2at6native12_GLOBAL__N_18offset_tEEE10hipError_tPvRmT1_PNSt15iterator_traitsISL_E10value_typeET2_T3_PNSM_ISR_E10value_typeET4_jRbjT5_SX_jjP12ihipStream_tbEUlT_E1_NS1_11comp_targetILNS1_3genE10ELNS1_11target_archE1200ELNS1_3gpuE4ELNS1_3repE0EEENS1_59segmented_radix_sort_warp_sort_small_config_static_selectorELNS0_4arch9wavefront6targetE0EEEvSL_.kd
    .uniform_work_group_size: 1
    .uses_dynamic_stack: false
    .vgpr_count:     0
    .vgpr_spill_count: 0
    .wavefront_size: 32
    .workgroup_processor_mode: 1
  - .args:
      - .offset:         0
        .size:           88
        .value_kind:     by_value
      - .offset:         88
        .size:           4
        .value_kind:     hidden_block_count_x
      - .offset:         92
        .size:           4
        .value_kind:     hidden_block_count_y
      - .offset:         96
        .size:           4
        .value_kind:     hidden_block_count_z
      - .offset:         100
        .size:           2
        .value_kind:     hidden_group_size_x
      - .offset:         102
        .size:           2
        .value_kind:     hidden_group_size_y
      - .offset:         104
        .size:           2
        .value_kind:     hidden_group_size_z
      - .offset:         106
        .size:           2
        .value_kind:     hidden_remainder_x
      - .offset:         108
        .size:           2
        .value_kind:     hidden_remainder_y
      - .offset:         110
        .size:           2
        .value_kind:     hidden_remainder_z
      - .offset:         128
        .size:           8
        .value_kind:     hidden_global_offset_x
      - .offset:         136
        .size:           8
        .value_kind:     hidden_global_offset_y
      - .offset:         144
        .size:           8
        .value_kind:     hidden_global_offset_z
      - .offset:         152
        .size:           2
        .value_kind:     hidden_grid_dims
    .group_segment_fixed_size: 10240
    .kernarg_segment_align: 8
    .kernarg_segment_size: 344
    .language:       OpenCL C
    .language_version:
      - 2
      - 0
    .max_flat_workgroup_size: 256
    .name:           _ZN7rocprim17ROCPRIM_400000_NS6detail17trampoline_kernelINS0_14default_configENS1_36segmented_radix_sort_config_selectorI6__halflEEZNS1_25segmented_radix_sort_implIS3_Lb0EPKS5_PS5_PKlPlN2at6native12_GLOBAL__N_18offset_tEEE10hipError_tPvRmT1_PNSt15iterator_traitsISL_E10value_typeET2_T3_PNSM_ISR_E10value_typeET4_jRbjT5_SX_jjP12ihipStream_tbEUlT_E1_NS1_11comp_targetILNS1_3genE9ELNS1_11target_archE1100ELNS1_3gpuE3ELNS1_3repE0EEENS1_59segmented_radix_sort_warp_sort_small_config_static_selectorELNS0_4arch9wavefront6targetE0EEEvSL_
    .private_segment_fixed_size: 0
    .sgpr_count:     35
    .sgpr_spill_count: 0
    .symbol:         _ZN7rocprim17ROCPRIM_400000_NS6detail17trampoline_kernelINS0_14default_configENS1_36segmented_radix_sort_config_selectorI6__halflEEZNS1_25segmented_radix_sort_implIS3_Lb0EPKS5_PS5_PKlPlN2at6native12_GLOBAL__N_18offset_tEEE10hipError_tPvRmT1_PNSt15iterator_traitsISL_E10value_typeET2_T3_PNSM_ISR_E10value_typeET4_jRbjT5_SX_jjP12ihipStream_tbEUlT_E1_NS1_11comp_targetILNS1_3genE9ELNS1_11target_archE1100ELNS1_3gpuE3ELNS1_3repE0EEENS1_59segmented_radix_sort_warp_sort_small_config_static_selectorELNS0_4arch9wavefront6targetE0EEEvSL_.kd
    .uniform_work_group_size: 1
    .uses_dynamic_stack: false
    .vgpr_count:     70
    .vgpr_spill_count: 0
    .wavefront_size: 32
    .workgroup_processor_mode: 1
  - .args:
      - .offset:         0
        .size:           88
        .value_kind:     by_value
    .group_segment_fixed_size: 0
    .kernarg_segment_align: 8
    .kernarg_segment_size: 88
    .language:       OpenCL C
    .language_version:
      - 2
      - 0
    .max_flat_workgroup_size: 256
    .name:           _ZN7rocprim17ROCPRIM_400000_NS6detail17trampoline_kernelINS0_14default_configENS1_36segmented_radix_sort_config_selectorI6__halflEEZNS1_25segmented_radix_sort_implIS3_Lb0EPKS5_PS5_PKlPlN2at6native12_GLOBAL__N_18offset_tEEE10hipError_tPvRmT1_PNSt15iterator_traitsISL_E10value_typeET2_T3_PNSM_ISR_E10value_typeET4_jRbjT5_SX_jjP12ihipStream_tbEUlT_E1_NS1_11comp_targetILNS1_3genE8ELNS1_11target_archE1030ELNS1_3gpuE2ELNS1_3repE0EEENS1_59segmented_radix_sort_warp_sort_small_config_static_selectorELNS0_4arch9wavefront6targetE0EEEvSL_
    .private_segment_fixed_size: 0
    .sgpr_count:     0
    .sgpr_spill_count: 0
    .symbol:         _ZN7rocprim17ROCPRIM_400000_NS6detail17trampoline_kernelINS0_14default_configENS1_36segmented_radix_sort_config_selectorI6__halflEEZNS1_25segmented_radix_sort_implIS3_Lb0EPKS5_PS5_PKlPlN2at6native12_GLOBAL__N_18offset_tEEE10hipError_tPvRmT1_PNSt15iterator_traitsISL_E10value_typeET2_T3_PNSM_ISR_E10value_typeET4_jRbjT5_SX_jjP12ihipStream_tbEUlT_E1_NS1_11comp_targetILNS1_3genE8ELNS1_11target_archE1030ELNS1_3gpuE2ELNS1_3repE0EEENS1_59segmented_radix_sort_warp_sort_small_config_static_selectorELNS0_4arch9wavefront6targetE0EEEvSL_.kd
    .uniform_work_group_size: 1
    .uses_dynamic_stack: false
    .vgpr_count:     0
    .vgpr_spill_count: 0
    .wavefront_size: 32
    .workgroup_processor_mode: 1
  - .args:
      - .offset:         0
        .size:           80
        .value_kind:     by_value
    .group_segment_fixed_size: 0
    .kernarg_segment_align: 8
    .kernarg_segment_size: 80
    .language:       OpenCL C
    .language_version:
      - 2
      - 0
    .max_flat_workgroup_size: 256
    .name:           _ZN7rocprim17ROCPRIM_400000_NS6detail17trampoline_kernelINS0_14default_configENS1_36segmented_radix_sort_config_selectorI6__halflEEZNS1_25segmented_radix_sort_implIS3_Lb0EPKS5_PS5_PKlPlN2at6native12_GLOBAL__N_18offset_tEEE10hipError_tPvRmT1_PNSt15iterator_traitsISL_E10value_typeET2_T3_PNSM_ISR_E10value_typeET4_jRbjT5_SX_jjP12ihipStream_tbEUlT_E2_NS1_11comp_targetILNS1_3genE0ELNS1_11target_archE4294967295ELNS1_3gpuE0ELNS1_3repE0EEENS1_30default_config_static_selectorELNS0_4arch9wavefront6targetE0EEEvSL_
    .private_segment_fixed_size: 0
    .sgpr_count:     0
    .sgpr_spill_count: 0
    .symbol:         _ZN7rocprim17ROCPRIM_400000_NS6detail17trampoline_kernelINS0_14default_configENS1_36segmented_radix_sort_config_selectorI6__halflEEZNS1_25segmented_radix_sort_implIS3_Lb0EPKS5_PS5_PKlPlN2at6native12_GLOBAL__N_18offset_tEEE10hipError_tPvRmT1_PNSt15iterator_traitsISL_E10value_typeET2_T3_PNSM_ISR_E10value_typeET4_jRbjT5_SX_jjP12ihipStream_tbEUlT_E2_NS1_11comp_targetILNS1_3genE0ELNS1_11target_archE4294967295ELNS1_3gpuE0ELNS1_3repE0EEENS1_30default_config_static_selectorELNS0_4arch9wavefront6targetE0EEEvSL_.kd
    .uniform_work_group_size: 1
    .uses_dynamic_stack: false
    .vgpr_count:     0
    .vgpr_spill_count: 0
    .wavefront_size: 32
    .workgroup_processor_mode: 1
  - .args:
      - .offset:         0
        .size:           80
        .value_kind:     by_value
    .group_segment_fixed_size: 0
    .kernarg_segment_align: 8
    .kernarg_segment_size: 80
    .language:       OpenCL C
    .language_version:
      - 2
      - 0
    .max_flat_workgroup_size: 256
    .name:           _ZN7rocprim17ROCPRIM_400000_NS6detail17trampoline_kernelINS0_14default_configENS1_36segmented_radix_sort_config_selectorI6__halflEEZNS1_25segmented_radix_sort_implIS3_Lb0EPKS5_PS5_PKlPlN2at6native12_GLOBAL__N_18offset_tEEE10hipError_tPvRmT1_PNSt15iterator_traitsISL_E10value_typeET2_T3_PNSM_ISR_E10value_typeET4_jRbjT5_SX_jjP12ihipStream_tbEUlT_E2_NS1_11comp_targetILNS1_3genE5ELNS1_11target_archE942ELNS1_3gpuE9ELNS1_3repE0EEENS1_30default_config_static_selectorELNS0_4arch9wavefront6targetE0EEEvSL_
    .private_segment_fixed_size: 0
    .sgpr_count:     0
    .sgpr_spill_count: 0
    .symbol:         _ZN7rocprim17ROCPRIM_400000_NS6detail17trampoline_kernelINS0_14default_configENS1_36segmented_radix_sort_config_selectorI6__halflEEZNS1_25segmented_radix_sort_implIS3_Lb0EPKS5_PS5_PKlPlN2at6native12_GLOBAL__N_18offset_tEEE10hipError_tPvRmT1_PNSt15iterator_traitsISL_E10value_typeET2_T3_PNSM_ISR_E10value_typeET4_jRbjT5_SX_jjP12ihipStream_tbEUlT_E2_NS1_11comp_targetILNS1_3genE5ELNS1_11target_archE942ELNS1_3gpuE9ELNS1_3repE0EEENS1_30default_config_static_selectorELNS0_4arch9wavefront6targetE0EEEvSL_.kd
    .uniform_work_group_size: 1
    .uses_dynamic_stack: false
    .vgpr_count:     0
    .vgpr_spill_count: 0
    .wavefront_size: 32
    .workgroup_processor_mode: 1
  - .args:
      - .offset:         0
        .size:           80
        .value_kind:     by_value
    .group_segment_fixed_size: 0
    .kernarg_segment_align: 8
    .kernarg_segment_size: 80
    .language:       OpenCL C
    .language_version:
      - 2
      - 0
    .max_flat_workgroup_size: 256
    .name:           _ZN7rocprim17ROCPRIM_400000_NS6detail17trampoline_kernelINS0_14default_configENS1_36segmented_radix_sort_config_selectorI6__halflEEZNS1_25segmented_radix_sort_implIS3_Lb0EPKS5_PS5_PKlPlN2at6native12_GLOBAL__N_18offset_tEEE10hipError_tPvRmT1_PNSt15iterator_traitsISL_E10value_typeET2_T3_PNSM_ISR_E10value_typeET4_jRbjT5_SX_jjP12ihipStream_tbEUlT_E2_NS1_11comp_targetILNS1_3genE4ELNS1_11target_archE910ELNS1_3gpuE8ELNS1_3repE0EEENS1_30default_config_static_selectorELNS0_4arch9wavefront6targetE0EEEvSL_
    .private_segment_fixed_size: 0
    .sgpr_count:     0
    .sgpr_spill_count: 0
    .symbol:         _ZN7rocprim17ROCPRIM_400000_NS6detail17trampoline_kernelINS0_14default_configENS1_36segmented_radix_sort_config_selectorI6__halflEEZNS1_25segmented_radix_sort_implIS3_Lb0EPKS5_PS5_PKlPlN2at6native12_GLOBAL__N_18offset_tEEE10hipError_tPvRmT1_PNSt15iterator_traitsISL_E10value_typeET2_T3_PNSM_ISR_E10value_typeET4_jRbjT5_SX_jjP12ihipStream_tbEUlT_E2_NS1_11comp_targetILNS1_3genE4ELNS1_11target_archE910ELNS1_3gpuE8ELNS1_3repE0EEENS1_30default_config_static_selectorELNS0_4arch9wavefront6targetE0EEEvSL_.kd
    .uniform_work_group_size: 1
    .uses_dynamic_stack: false
    .vgpr_count:     0
    .vgpr_spill_count: 0
    .wavefront_size: 32
    .workgroup_processor_mode: 1
  - .args:
      - .offset:         0
        .size:           80
        .value_kind:     by_value
    .group_segment_fixed_size: 0
    .kernarg_segment_align: 8
    .kernarg_segment_size: 80
    .language:       OpenCL C
    .language_version:
      - 2
      - 0
    .max_flat_workgroup_size: 256
    .name:           _ZN7rocprim17ROCPRIM_400000_NS6detail17trampoline_kernelINS0_14default_configENS1_36segmented_radix_sort_config_selectorI6__halflEEZNS1_25segmented_radix_sort_implIS3_Lb0EPKS5_PS5_PKlPlN2at6native12_GLOBAL__N_18offset_tEEE10hipError_tPvRmT1_PNSt15iterator_traitsISL_E10value_typeET2_T3_PNSM_ISR_E10value_typeET4_jRbjT5_SX_jjP12ihipStream_tbEUlT_E2_NS1_11comp_targetILNS1_3genE3ELNS1_11target_archE908ELNS1_3gpuE7ELNS1_3repE0EEENS1_30default_config_static_selectorELNS0_4arch9wavefront6targetE0EEEvSL_
    .private_segment_fixed_size: 0
    .sgpr_count:     0
    .sgpr_spill_count: 0
    .symbol:         _ZN7rocprim17ROCPRIM_400000_NS6detail17trampoline_kernelINS0_14default_configENS1_36segmented_radix_sort_config_selectorI6__halflEEZNS1_25segmented_radix_sort_implIS3_Lb0EPKS5_PS5_PKlPlN2at6native12_GLOBAL__N_18offset_tEEE10hipError_tPvRmT1_PNSt15iterator_traitsISL_E10value_typeET2_T3_PNSM_ISR_E10value_typeET4_jRbjT5_SX_jjP12ihipStream_tbEUlT_E2_NS1_11comp_targetILNS1_3genE3ELNS1_11target_archE908ELNS1_3gpuE7ELNS1_3repE0EEENS1_30default_config_static_selectorELNS0_4arch9wavefront6targetE0EEEvSL_.kd
    .uniform_work_group_size: 1
    .uses_dynamic_stack: false
    .vgpr_count:     0
    .vgpr_spill_count: 0
    .wavefront_size: 32
    .workgroup_processor_mode: 1
  - .args:
      - .offset:         0
        .size:           80
        .value_kind:     by_value
    .group_segment_fixed_size: 0
    .kernarg_segment_align: 8
    .kernarg_segment_size: 80
    .language:       OpenCL C
    .language_version:
      - 2
      - 0
    .max_flat_workgroup_size: 256
    .name:           _ZN7rocprim17ROCPRIM_400000_NS6detail17trampoline_kernelINS0_14default_configENS1_36segmented_radix_sort_config_selectorI6__halflEEZNS1_25segmented_radix_sort_implIS3_Lb0EPKS5_PS5_PKlPlN2at6native12_GLOBAL__N_18offset_tEEE10hipError_tPvRmT1_PNSt15iterator_traitsISL_E10value_typeET2_T3_PNSM_ISR_E10value_typeET4_jRbjT5_SX_jjP12ihipStream_tbEUlT_E2_NS1_11comp_targetILNS1_3genE2ELNS1_11target_archE906ELNS1_3gpuE6ELNS1_3repE0EEENS1_30default_config_static_selectorELNS0_4arch9wavefront6targetE0EEEvSL_
    .private_segment_fixed_size: 0
    .sgpr_count:     0
    .sgpr_spill_count: 0
    .symbol:         _ZN7rocprim17ROCPRIM_400000_NS6detail17trampoline_kernelINS0_14default_configENS1_36segmented_radix_sort_config_selectorI6__halflEEZNS1_25segmented_radix_sort_implIS3_Lb0EPKS5_PS5_PKlPlN2at6native12_GLOBAL__N_18offset_tEEE10hipError_tPvRmT1_PNSt15iterator_traitsISL_E10value_typeET2_T3_PNSM_ISR_E10value_typeET4_jRbjT5_SX_jjP12ihipStream_tbEUlT_E2_NS1_11comp_targetILNS1_3genE2ELNS1_11target_archE906ELNS1_3gpuE6ELNS1_3repE0EEENS1_30default_config_static_selectorELNS0_4arch9wavefront6targetE0EEEvSL_.kd
    .uniform_work_group_size: 1
    .uses_dynamic_stack: false
    .vgpr_count:     0
    .vgpr_spill_count: 0
    .wavefront_size: 32
    .workgroup_processor_mode: 1
  - .args:
      - .offset:         0
        .size:           80
        .value_kind:     by_value
    .group_segment_fixed_size: 0
    .kernarg_segment_align: 8
    .kernarg_segment_size: 80
    .language:       OpenCL C
    .language_version:
      - 2
      - 0
    .max_flat_workgroup_size: 256
    .name:           _ZN7rocprim17ROCPRIM_400000_NS6detail17trampoline_kernelINS0_14default_configENS1_36segmented_radix_sort_config_selectorI6__halflEEZNS1_25segmented_radix_sort_implIS3_Lb0EPKS5_PS5_PKlPlN2at6native12_GLOBAL__N_18offset_tEEE10hipError_tPvRmT1_PNSt15iterator_traitsISL_E10value_typeET2_T3_PNSM_ISR_E10value_typeET4_jRbjT5_SX_jjP12ihipStream_tbEUlT_E2_NS1_11comp_targetILNS1_3genE10ELNS1_11target_archE1201ELNS1_3gpuE5ELNS1_3repE0EEENS1_30default_config_static_selectorELNS0_4arch9wavefront6targetE0EEEvSL_
    .private_segment_fixed_size: 0
    .sgpr_count:     0
    .sgpr_spill_count: 0
    .symbol:         _ZN7rocprim17ROCPRIM_400000_NS6detail17trampoline_kernelINS0_14default_configENS1_36segmented_radix_sort_config_selectorI6__halflEEZNS1_25segmented_radix_sort_implIS3_Lb0EPKS5_PS5_PKlPlN2at6native12_GLOBAL__N_18offset_tEEE10hipError_tPvRmT1_PNSt15iterator_traitsISL_E10value_typeET2_T3_PNSM_ISR_E10value_typeET4_jRbjT5_SX_jjP12ihipStream_tbEUlT_E2_NS1_11comp_targetILNS1_3genE10ELNS1_11target_archE1201ELNS1_3gpuE5ELNS1_3repE0EEENS1_30default_config_static_selectorELNS0_4arch9wavefront6targetE0EEEvSL_.kd
    .uniform_work_group_size: 1
    .uses_dynamic_stack: false
    .vgpr_count:     0
    .vgpr_spill_count: 0
    .wavefront_size: 32
    .workgroup_processor_mode: 1
  - .args:
      - .offset:         0
        .size:           80
        .value_kind:     by_value
    .group_segment_fixed_size: 0
    .kernarg_segment_align: 8
    .kernarg_segment_size: 80
    .language:       OpenCL C
    .language_version:
      - 2
      - 0
    .max_flat_workgroup_size: 128
    .name:           _ZN7rocprim17ROCPRIM_400000_NS6detail17trampoline_kernelINS0_14default_configENS1_36segmented_radix_sort_config_selectorI6__halflEEZNS1_25segmented_radix_sort_implIS3_Lb0EPKS5_PS5_PKlPlN2at6native12_GLOBAL__N_18offset_tEEE10hipError_tPvRmT1_PNSt15iterator_traitsISL_E10value_typeET2_T3_PNSM_ISR_E10value_typeET4_jRbjT5_SX_jjP12ihipStream_tbEUlT_E2_NS1_11comp_targetILNS1_3genE10ELNS1_11target_archE1200ELNS1_3gpuE4ELNS1_3repE0EEENS1_30default_config_static_selectorELNS0_4arch9wavefront6targetE0EEEvSL_
    .private_segment_fixed_size: 0
    .sgpr_count:     0
    .sgpr_spill_count: 0
    .symbol:         _ZN7rocprim17ROCPRIM_400000_NS6detail17trampoline_kernelINS0_14default_configENS1_36segmented_radix_sort_config_selectorI6__halflEEZNS1_25segmented_radix_sort_implIS3_Lb0EPKS5_PS5_PKlPlN2at6native12_GLOBAL__N_18offset_tEEE10hipError_tPvRmT1_PNSt15iterator_traitsISL_E10value_typeET2_T3_PNSM_ISR_E10value_typeET4_jRbjT5_SX_jjP12ihipStream_tbEUlT_E2_NS1_11comp_targetILNS1_3genE10ELNS1_11target_archE1200ELNS1_3gpuE4ELNS1_3repE0EEENS1_30default_config_static_selectorELNS0_4arch9wavefront6targetE0EEEvSL_.kd
    .uniform_work_group_size: 1
    .uses_dynamic_stack: false
    .vgpr_count:     0
    .vgpr_spill_count: 0
    .wavefront_size: 32
    .workgroup_processor_mode: 1
  - .args:
      - .offset:         0
        .size:           80
        .value_kind:     by_value
      - .offset:         80
        .size:           4
        .value_kind:     hidden_block_count_x
      - .offset:         84
        .size:           4
        .value_kind:     hidden_block_count_y
      - .offset:         88
        .size:           4
        .value_kind:     hidden_block_count_z
      - .offset:         92
        .size:           2
        .value_kind:     hidden_group_size_x
      - .offset:         94
        .size:           2
        .value_kind:     hidden_group_size_y
      - .offset:         96
        .size:           2
        .value_kind:     hidden_group_size_z
      - .offset:         98
        .size:           2
        .value_kind:     hidden_remainder_x
      - .offset:         100
        .size:           2
        .value_kind:     hidden_remainder_y
      - .offset:         102
        .size:           2
        .value_kind:     hidden_remainder_z
      - .offset:         120
        .size:           8
        .value_kind:     hidden_global_offset_x
      - .offset:         128
        .size:           8
        .value_kind:     hidden_global_offset_y
      - .offset:         136
        .size:           8
        .value_kind:     hidden_global_offset_z
      - .offset:         144
        .size:           2
        .value_kind:     hidden_grid_dims
    .group_segment_fixed_size: 33824
    .kernarg_segment_align: 8
    .kernarg_segment_size: 336
    .language:       OpenCL C
    .language_version:
      - 2
      - 0
    .max_flat_workgroup_size: 256
    .name:           _ZN7rocprim17ROCPRIM_400000_NS6detail17trampoline_kernelINS0_14default_configENS1_36segmented_radix_sort_config_selectorI6__halflEEZNS1_25segmented_radix_sort_implIS3_Lb0EPKS5_PS5_PKlPlN2at6native12_GLOBAL__N_18offset_tEEE10hipError_tPvRmT1_PNSt15iterator_traitsISL_E10value_typeET2_T3_PNSM_ISR_E10value_typeET4_jRbjT5_SX_jjP12ihipStream_tbEUlT_E2_NS1_11comp_targetILNS1_3genE9ELNS1_11target_archE1100ELNS1_3gpuE3ELNS1_3repE0EEENS1_30default_config_static_selectorELNS0_4arch9wavefront6targetE0EEEvSL_
    .private_segment_fixed_size: 220
    .sgpr_count:     62
    .sgpr_spill_count: 0
    .symbol:         _ZN7rocprim17ROCPRIM_400000_NS6detail17trampoline_kernelINS0_14default_configENS1_36segmented_radix_sort_config_selectorI6__halflEEZNS1_25segmented_radix_sort_implIS3_Lb0EPKS5_PS5_PKlPlN2at6native12_GLOBAL__N_18offset_tEEE10hipError_tPvRmT1_PNSt15iterator_traitsISL_E10value_typeET2_T3_PNSM_ISR_E10value_typeET4_jRbjT5_SX_jjP12ihipStream_tbEUlT_E2_NS1_11comp_targetILNS1_3genE9ELNS1_11target_archE1100ELNS1_3gpuE3ELNS1_3repE0EEENS1_30default_config_static_selectorELNS0_4arch9wavefront6targetE0EEEvSL_.kd
    .uniform_work_group_size: 1
    .uses_dynamic_stack: false
    .vgpr_count:     248
    .vgpr_spill_count: 0
    .wavefront_size: 32
    .workgroup_processor_mode: 1
  - .args:
      - .offset:         0
        .size:           80
        .value_kind:     by_value
    .group_segment_fixed_size: 0
    .kernarg_segment_align: 8
    .kernarg_segment_size: 80
    .language:       OpenCL C
    .language_version:
      - 2
      - 0
    .max_flat_workgroup_size: 256
    .name:           _ZN7rocprim17ROCPRIM_400000_NS6detail17trampoline_kernelINS0_14default_configENS1_36segmented_radix_sort_config_selectorI6__halflEEZNS1_25segmented_radix_sort_implIS3_Lb0EPKS5_PS5_PKlPlN2at6native12_GLOBAL__N_18offset_tEEE10hipError_tPvRmT1_PNSt15iterator_traitsISL_E10value_typeET2_T3_PNSM_ISR_E10value_typeET4_jRbjT5_SX_jjP12ihipStream_tbEUlT_E2_NS1_11comp_targetILNS1_3genE8ELNS1_11target_archE1030ELNS1_3gpuE2ELNS1_3repE0EEENS1_30default_config_static_selectorELNS0_4arch9wavefront6targetE0EEEvSL_
    .private_segment_fixed_size: 0
    .sgpr_count:     0
    .sgpr_spill_count: 0
    .symbol:         _ZN7rocprim17ROCPRIM_400000_NS6detail17trampoline_kernelINS0_14default_configENS1_36segmented_radix_sort_config_selectorI6__halflEEZNS1_25segmented_radix_sort_implIS3_Lb0EPKS5_PS5_PKlPlN2at6native12_GLOBAL__N_18offset_tEEE10hipError_tPvRmT1_PNSt15iterator_traitsISL_E10value_typeET2_T3_PNSM_ISR_E10value_typeET4_jRbjT5_SX_jjP12ihipStream_tbEUlT_E2_NS1_11comp_targetILNS1_3genE8ELNS1_11target_archE1030ELNS1_3gpuE2ELNS1_3repE0EEENS1_30default_config_static_selectorELNS0_4arch9wavefront6targetE0EEEvSL_.kd
    .uniform_work_group_size: 1
    .uses_dynamic_stack: false
    .vgpr_count:     0
    .vgpr_spill_count: 0
    .wavefront_size: 32
    .workgroup_processor_mode: 1
  - .args:
      - .address_space:  global
        .offset:         0
        .size:           8
        .value_kind:     global_buffer
      - .address_space:  global
        .offset:         8
        .size:           8
        .value_kind:     global_buffer
      - .address_space:  global
        .offset:         16
        .size:           8
        .value_kind:     global_buffer
      - .address_space:  global
        .offset:         24
        .size:           8
        .value_kind:     global_buffer
      - .offset:         32
        .size:           4
        .value_kind:     by_value
      - .offset:         36
        .size:           4
        .value_kind:     by_value
      - .offset:         40
        .size:           4
        .value_kind:     hidden_block_count_x
      - .offset:         44
        .size:           4
        .value_kind:     hidden_block_count_y
      - .offset:         48
        .size:           4
        .value_kind:     hidden_block_count_z
      - .offset:         52
        .size:           2
        .value_kind:     hidden_group_size_x
      - .offset:         54
        .size:           2
        .value_kind:     hidden_group_size_y
      - .offset:         56
        .size:           2
        .value_kind:     hidden_group_size_z
      - .offset:         58
        .size:           2
        .value_kind:     hidden_remainder_x
      - .offset:         60
        .size:           2
        .value_kind:     hidden_remainder_y
      - .offset:         62
        .size:           2
        .value_kind:     hidden_remainder_z
      - .offset:         80
        .size:           8
        .value_kind:     hidden_global_offset_x
      - .offset:         88
        .size:           8
        .value_kind:     hidden_global_offset_y
      - .offset:         96
        .size:           8
        .value_kind:     hidden_global_offset_z
      - .offset:         104
        .size:           2
        .value_kind:     hidden_grid_dims
    .group_segment_fixed_size: 0
    .kernarg_segment_align: 8
    .kernarg_segment_size: 296
    .language:       OpenCL C
    .language_version:
      - 2
      - 0
    .max_flat_workgroup_size: 1024
    .name:           _ZN2at6native12_GLOBAL__N_123sort_postprocess_kernelIN3c108BFloat16EEEvPKT_PS5_PlPK15HIP_vector_typeIiLj2EEii
    .private_segment_fixed_size: 0
    .sgpr_count:     18
    .sgpr_spill_count: 0
    .symbol:         _ZN2at6native12_GLOBAL__N_123sort_postprocess_kernelIN3c108BFloat16EEEvPKT_PS5_PlPK15HIP_vector_typeIiLj2EEii.kd
    .uniform_work_group_size: 1
    .uses_dynamic_stack: false
    .vgpr_count:     17
    .vgpr_spill_count: 0
    .wavefront_size: 32
    .workgroup_processor_mode: 1
  - .args:
      - .offset:         0
        .size:           176
        .value_kind:     by_value
    .group_segment_fixed_size: 0
    .kernarg_segment_align: 8
    .kernarg_segment_size: 176
    .language:       OpenCL C
    .language_version:
      - 2
      - 0
    .max_flat_workgroup_size: 256
    .name:           _ZN7rocprim17ROCPRIM_400000_NS6detail17trampoline_kernelINS0_13select_configILj256ELj13ELNS0_17block_load_methodE3ELS4_3ELS4_3ELNS0_20block_scan_algorithmE0ELj4294967295EEENS1_25partition_config_selectorILNS1_17partition_subalgoE4EjNS0_10empty_typeEbEEZZNS1_14partition_implILS8_4ELb0ES6_15HIP_vector_typeIjLj2EENS0_17counting_iteratorIjlEEPS9_SG_NS0_5tupleIJPjSI_NS0_16reverse_iteratorISI_EEEEENSH_IJSG_SG_SG_EEES9_SI_JZNS1_25segmented_radix_sort_implINS0_14default_configELb1EPK12hip_bfloat16PSP_PKlPlN2at6native12_GLOBAL__N_18offset_tEEE10hipError_tPvRmT1_PNSt15iterator_traitsIS13_E10value_typeET2_T3_PNS14_IS19_E10value_typeET4_jRbjT5_S1F_jjP12ihipStream_tbEUljE_ZNSN_ISO_Lb1ESR_SS_SU_SV_SZ_EES10_S11_S12_S13_S17_S18_S19_S1C_S1D_jS1E_jS1F_S1F_jjS1H_bEUljE0_EEES10_S11_S12_S19_S1D_S1F_T6_T7_T9_mT8_S1H_bDpT10_ENKUlT_T0_E_clISt17integral_constantIbLb0EES1V_EEDaS1Q_S1R_EUlS1Q_E_NS1_11comp_targetILNS1_3genE0ELNS1_11target_archE4294967295ELNS1_3gpuE0ELNS1_3repE0EEENS1_30default_config_static_selectorELNS0_4arch9wavefront6targetE0EEEvS13_
    .private_segment_fixed_size: 0
    .sgpr_count:     0
    .sgpr_spill_count: 0
    .symbol:         _ZN7rocprim17ROCPRIM_400000_NS6detail17trampoline_kernelINS0_13select_configILj256ELj13ELNS0_17block_load_methodE3ELS4_3ELS4_3ELNS0_20block_scan_algorithmE0ELj4294967295EEENS1_25partition_config_selectorILNS1_17partition_subalgoE4EjNS0_10empty_typeEbEEZZNS1_14partition_implILS8_4ELb0ES6_15HIP_vector_typeIjLj2EENS0_17counting_iteratorIjlEEPS9_SG_NS0_5tupleIJPjSI_NS0_16reverse_iteratorISI_EEEEENSH_IJSG_SG_SG_EEES9_SI_JZNS1_25segmented_radix_sort_implINS0_14default_configELb1EPK12hip_bfloat16PSP_PKlPlN2at6native12_GLOBAL__N_18offset_tEEE10hipError_tPvRmT1_PNSt15iterator_traitsIS13_E10value_typeET2_T3_PNS14_IS19_E10value_typeET4_jRbjT5_S1F_jjP12ihipStream_tbEUljE_ZNSN_ISO_Lb1ESR_SS_SU_SV_SZ_EES10_S11_S12_S13_S17_S18_S19_S1C_S1D_jS1E_jS1F_S1F_jjS1H_bEUljE0_EEES10_S11_S12_S19_S1D_S1F_T6_T7_T9_mT8_S1H_bDpT10_ENKUlT_T0_E_clISt17integral_constantIbLb0EES1V_EEDaS1Q_S1R_EUlS1Q_E_NS1_11comp_targetILNS1_3genE0ELNS1_11target_archE4294967295ELNS1_3gpuE0ELNS1_3repE0EEENS1_30default_config_static_selectorELNS0_4arch9wavefront6targetE0EEEvS13_.kd
    .uniform_work_group_size: 1
    .uses_dynamic_stack: false
    .vgpr_count:     0
    .vgpr_spill_count: 0
    .wavefront_size: 32
    .workgroup_processor_mode: 1
  - .args:
      - .offset:         0
        .size:           176
        .value_kind:     by_value
    .group_segment_fixed_size: 0
    .kernarg_segment_align: 8
    .kernarg_segment_size: 176
    .language:       OpenCL C
    .language_version:
      - 2
      - 0
    .max_flat_workgroup_size: 256
    .name:           _ZN7rocprim17ROCPRIM_400000_NS6detail17trampoline_kernelINS0_13select_configILj256ELj13ELNS0_17block_load_methodE3ELS4_3ELS4_3ELNS0_20block_scan_algorithmE0ELj4294967295EEENS1_25partition_config_selectorILNS1_17partition_subalgoE4EjNS0_10empty_typeEbEEZZNS1_14partition_implILS8_4ELb0ES6_15HIP_vector_typeIjLj2EENS0_17counting_iteratorIjlEEPS9_SG_NS0_5tupleIJPjSI_NS0_16reverse_iteratorISI_EEEEENSH_IJSG_SG_SG_EEES9_SI_JZNS1_25segmented_radix_sort_implINS0_14default_configELb1EPK12hip_bfloat16PSP_PKlPlN2at6native12_GLOBAL__N_18offset_tEEE10hipError_tPvRmT1_PNSt15iterator_traitsIS13_E10value_typeET2_T3_PNS14_IS19_E10value_typeET4_jRbjT5_S1F_jjP12ihipStream_tbEUljE_ZNSN_ISO_Lb1ESR_SS_SU_SV_SZ_EES10_S11_S12_S13_S17_S18_S19_S1C_S1D_jS1E_jS1F_S1F_jjS1H_bEUljE0_EEES10_S11_S12_S19_S1D_S1F_T6_T7_T9_mT8_S1H_bDpT10_ENKUlT_T0_E_clISt17integral_constantIbLb0EES1V_EEDaS1Q_S1R_EUlS1Q_E_NS1_11comp_targetILNS1_3genE5ELNS1_11target_archE942ELNS1_3gpuE9ELNS1_3repE0EEENS1_30default_config_static_selectorELNS0_4arch9wavefront6targetE0EEEvS13_
    .private_segment_fixed_size: 0
    .sgpr_count:     0
    .sgpr_spill_count: 0
    .symbol:         _ZN7rocprim17ROCPRIM_400000_NS6detail17trampoline_kernelINS0_13select_configILj256ELj13ELNS0_17block_load_methodE3ELS4_3ELS4_3ELNS0_20block_scan_algorithmE0ELj4294967295EEENS1_25partition_config_selectorILNS1_17partition_subalgoE4EjNS0_10empty_typeEbEEZZNS1_14partition_implILS8_4ELb0ES6_15HIP_vector_typeIjLj2EENS0_17counting_iteratorIjlEEPS9_SG_NS0_5tupleIJPjSI_NS0_16reverse_iteratorISI_EEEEENSH_IJSG_SG_SG_EEES9_SI_JZNS1_25segmented_radix_sort_implINS0_14default_configELb1EPK12hip_bfloat16PSP_PKlPlN2at6native12_GLOBAL__N_18offset_tEEE10hipError_tPvRmT1_PNSt15iterator_traitsIS13_E10value_typeET2_T3_PNS14_IS19_E10value_typeET4_jRbjT5_S1F_jjP12ihipStream_tbEUljE_ZNSN_ISO_Lb1ESR_SS_SU_SV_SZ_EES10_S11_S12_S13_S17_S18_S19_S1C_S1D_jS1E_jS1F_S1F_jjS1H_bEUljE0_EEES10_S11_S12_S19_S1D_S1F_T6_T7_T9_mT8_S1H_bDpT10_ENKUlT_T0_E_clISt17integral_constantIbLb0EES1V_EEDaS1Q_S1R_EUlS1Q_E_NS1_11comp_targetILNS1_3genE5ELNS1_11target_archE942ELNS1_3gpuE9ELNS1_3repE0EEENS1_30default_config_static_selectorELNS0_4arch9wavefront6targetE0EEEvS13_.kd
    .uniform_work_group_size: 1
    .uses_dynamic_stack: false
    .vgpr_count:     0
    .vgpr_spill_count: 0
    .wavefront_size: 32
    .workgroup_processor_mode: 1
  - .args:
      - .offset:         0
        .size:           176
        .value_kind:     by_value
    .group_segment_fixed_size: 0
    .kernarg_segment_align: 8
    .kernarg_segment_size: 176
    .language:       OpenCL C
    .language_version:
      - 2
      - 0
    .max_flat_workgroup_size: 256
    .name:           _ZN7rocprim17ROCPRIM_400000_NS6detail17trampoline_kernelINS0_13select_configILj256ELj13ELNS0_17block_load_methodE3ELS4_3ELS4_3ELNS0_20block_scan_algorithmE0ELj4294967295EEENS1_25partition_config_selectorILNS1_17partition_subalgoE4EjNS0_10empty_typeEbEEZZNS1_14partition_implILS8_4ELb0ES6_15HIP_vector_typeIjLj2EENS0_17counting_iteratorIjlEEPS9_SG_NS0_5tupleIJPjSI_NS0_16reverse_iteratorISI_EEEEENSH_IJSG_SG_SG_EEES9_SI_JZNS1_25segmented_radix_sort_implINS0_14default_configELb1EPK12hip_bfloat16PSP_PKlPlN2at6native12_GLOBAL__N_18offset_tEEE10hipError_tPvRmT1_PNSt15iterator_traitsIS13_E10value_typeET2_T3_PNS14_IS19_E10value_typeET4_jRbjT5_S1F_jjP12ihipStream_tbEUljE_ZNSN_ISO_Lb1ESR_SS_SU_SV_SZ_EES10_S11_S12_S13_S17_S18_S19_S1C_S1D_jS1E_jS1F_S1F_jjS1H_bEUljE0_EEES10_S11_S12_S19_S1D_S1F_T6_T7_T9_mT8_S1H_bDpT10_ENKUlT_T0_E_clISt17integral_constantIbLb0EES1V_EEDaS1Q_S1R_EUlS1Q_E_NS1_11comp_targetILNS1_3genE4ELNS1_11target_archE910ELNS1_3gpuE8ELNS1_3repE0EEENS1_30default_config_static_selectorELNS0_4arch9wavefront6targetE0EEEvS13_
    .private_segment_fixed_size: 0
    .sgpr_count:     0
    .sgpr_spill_count: 0
    .symbol:         _ZN7rocprim17ROCPRIM_400000_NS6detail17trampoline_kernelINS0_13select_configILj256ELj13ELNS0_17block_load_methodE3ELS4_3ELS4_3ELNS0_20block_scan_algorithmE0ELj4294967295EEENS1_25partition_config_selectorILNS1_17partition_subalgoE4EjNS0_10empty_typeEbEEZZNS1_14partition_implILS8_4ELb0ES6_15HIP_vector_typeIjLj2EENS0_17counting_iteratorIjlEEPS9_SG_NS0_5tupleIJPjSI_NS0_16reverse_iteratorISI_EEEEENSH_IJSG_SG_SG_EEES9_SI_JZNS1_25segmented_radix_sort_implINS0_14default_configELb1EPK12hip_bfloat16PSP_PKlPlN2at6native12_GLOBAL__N_18offset_tEEE10hipError_tPvRmT1_PNSt15iterator_traitsIS13_E10value_typeET2_T3_PNS14_IS19_E10value_typeET4_jRbjT5_S1F_jjP12ihipStream_tbEUljE_ZNSN_ISO_Lb1ESR_SS_SU_SV_SZ_EES10_S11_S12_S13_S17_S18_S19_S1C_S1D_jS1E_jS1F_S1F_jjS1H_bEUljE0_EEES10_S11_S12_S19_S1D_S1F_T6_T7_T9_mT8_S1H_bDpT10_ENKUlT_T0_E_clISt17integral_constantIbLb0EES1V_EEDaS1Q_S1R_EUlS1Q_E_NS1_11comp_targetILNS1_3genE4ELNS1_11target_archE910ELNS1_3gpuE8ELNS1_3repE0EEENS1_30default_config_static_selectorELNS0_4arch9wavefront6targetE0EEEvS13_.kd
    .uniform_work_group_size: 1
    .uses_dynamic_stack: false
    .vgpr_count:     0
    .vgpr_spill_count: 0
    .wavefront_size: 32
    .workgroup_processor_mode: 1
  - .args:
      - .offset:         0
        .size:           176
        .value_kind:     by_value
    .group_segment_fixed_size: 0
    .kernarg_segment_align: 8
    .kernarg_segment_size: 176
    .language:       OpenCL C
    .language_version:
      - 2
      - 0
    .max_flat_workgroup_size: 256
    .name:           _ZN7rocprim17ROCPRIM_400000_NS6detail17trampoline_kernelINS0_13select_configILj256ELj13ELNS0_17block_load_methodE3ELS4_3ELS4_3ELNS0_20block_scan_algorithmE0ELj4294967295EEENS1_25partition_config_selectorILNS1_17partition_subalgoE4EjNS0_10empty_typeEbEEZZNS1_14partition_implILS8_4ELb0ES6_15HIP_vector_typeIjLj2EENS0_17counting_iteratorIjlEEPS9_SG_NS0_5tupleIJPjSI_NS0_16reverse_iteratorISI_EEEEENSH_IJSG_SG_SG_EEES9_SI_JZNS1_25segmented_radix_sort_implINS0_14default_configELb1EPK12hip_bfloat16PSP_PKlPlN2at6native12_GLOBAL__N_18offset_tEEE10hipError_tPvRmT1_PNSt15iterator_traitsIS13_E10value_typeET2_T3_PNS14_IS19_E10value_typeET4_jRbjT5_S1F_jjP12ihipStream_tbEUljE_ZNSN_ISO_Lb1ESR_SS_SU_SV_SZ_EES10_S11_S12_S13_S17_S18_S19_S1C_S1D_jS1E_jS1F_S1F_jjS1H_bEUljE0_EEES10_S11_S12_S19_S1D_S1F_T6_T7_T9_mT8_S1H_bDpT10_ENKUlT_T0_E_clISt17integral_constantIbLb0EES1V_EEDaS1Q_S1R_EUlS1Q_E_NS1_11comp_targetILNS1_3genE3ELNS1_11target_archE908ELNS1_3gpuE7ELNS1_3repE0EEENS1_30default_config_static_selectorELNS0_4arch9wavefront6targetE0EEEvS13_
    .private_segment_fixed_size: 0
    .sgpr_count:     0
    .sgpr_spill_count: 0
    .symbol:         _ZN7rocprim17ROCPRIM_400000_NS6detail17trampoline_kernelINS0_13select_configILj256ELj13ELNS0_17block_load_methodE3ELS4_3ELS4_3ELNS0_20block_scan_algorithmE0ELj4294967295EEENS1_25partition_config_selectorILNS1_17partition_subalgoE4EjNS0_10empty_typeEbEEZZNS1_14partition_implILS8_4ELb0ES6_15HIP_vector_typeIjLj2EENS0_17counting_iteratorIjlEEPS9_SG_NS0_5tupleIJPjSI_NS0_16reverse_iteratorISI_EEEEENSH_IJSG_SG_SG_EEES9_SI_JZNS1_25segmented_radix_sort_implINS0_14default_configELb1EPK12hip_bfloat16PSP_PKlPlN2at6native12_GLOBAL__N_18offset_tEEE10hipError_tPvRmT1_PNSt15iterator_traitsIS13_E10value_typeET2_T3_PNS14_IS19_E10value_typeET4_jRbjT5_S1F_jjP12ihipStream_tbEUljE_ZNSN_ISO_Lb1ESR_SS_SU_SV_SZ_EES10_S11_S12_S13_S17_S18_S19_S1C_S1D_jS1E_jS1F_S1F_jjS1H_bEUljE0_EEES10_S11_S12_S19_S1D_S1F_T6_T7_T9_mT8_S1H_bDpT10_ENKUlT_T0_E_clISt17integral_constantIbLb0EES1V_EEDaS1Q_S1R_EUlS1Q_E_NS1_11comp_targetILNS1_3genE3ELNS1_11target_archE908ELNS1_3gpuE7ELNS1_3repE0EEENS1_30default_config_static_selectorELNS0_4arch9wavefront6targetE0EEEvS13_.kd
    .uniform_work_group_size: 1
    .uses_dynamic_stack: false
    .vgpr_count:     0
    .vgpr_spill_count: 0
    .wavefront_size: 32
    .workgroup_processor_mode: 1
  - .args:
      - .offset:         0
        .size:           176
        .value_kind:     by_value
    .group_segment_fixed_size: 0
    .kernarg_segment_align: 8
    .kernarg_segment_size: 176
    .language:       OpenCL C
    .language_version:
      - 2
      - 0
    .max_flat_workgroup_size: 256
    .name:           _ZN7rocprim17ROCPRIM_400000_NS6detail17trampoline_kernelINS0_13select_configILj256ELj13ELNS0_17block_load_methodE3ELS4_3ELS4_3ELNS0_20block_scan_algorithmE0ELj4294967295EEENS1_25partition_config_selectorILNS1_17partition_subalgoE4EjNS0_10empty_typeEbEEZZNS1_14partition_implILS8_4ELb0ES6_15HIP_vector_typeIjLj2EENS0_17counting_iteratorIjlEEPS9_SG_NS0_5tupleIJPjSI_NS0_16reverse_iteratorISI_EEEEENSH_IJSG_SG_SG_EEES9_SI_JZNS1_25segmented_radix_sort_implINS0_14default_configELb1EPK12hip_bfloat16PSP_PKlPlN2at6native12_GLOBAL__N_18offset_tEEE10hipError_tPvRmT1_PNSt15iterator_traitsIS13_E10value_typeET2_T3_PNS14_IS19_E10value_typeET4_jRbjT5_S1F_jjP12ihipStream_tbEUljE_ZNSN_ISO_Lb1ESR_SS_SU_SV_SZ_EES10_S11_S12_S13_S17_S18_S19_S1C_S1D_jS1E_jS1F_S1F_jjS1H_bEUljE0_EEES10_S11_S12_S19_S1D_S1F_T6_T7_T9_mT8_S1H_bDpT10_ENKUlT_T0_E_clISt17integral_constantIbLb0EES1V_EEDaS1Q_S1R_EUlS1Q_E_NS1_11comp_targetILNS1_3genE2ELNS1_11target_archE906ELNS1_3gpuE6ELNS1_3repE0EEENS1_30default_config_static_selectorELNS0_4arch9wavefront6targetE0EEEvS13_
    .private_segment_fixed_size: 0
    .sgpr_count:     0
    .sgpr_spill_count: 0
    .symbol:         _ZN7rocprim17ROCPRIM_400000_NS6detail17trampoline_kernelINS0_13select_configILj256ELj13ELNS0_17block_load_methodE3ELS4_3ELS4_3ELNS0_20block_scan_algorithmE0ELj4294967295EEENS1_25partition_config_selectorILNS1_17partition_subalgoE4EjNS0_10empty_typeEbEEZZNS1_14partition_implILS8_4ELb0ES6_15HIP_vector_typeIjLj2EENS0_17counting_iteratorIjlEEPS9_SG_NS0_5tupleIJPjSI_NS0_16reverse_iteratorISI_EEEEENSH_IJSG_SG_SG_EEES9_SI_JZNS1_25segmented_radix_sort_implINS0_14default_configELb1EPK12hip_bfloat16PSP_PKlPlN2at6native12_GLOBAL__N_18offset_tEEE10hipError_tPvRmT1_PNSt15iterator_traitsIS13_E10value_typeET2_T3_PNS14_IS19_E10value_typeET4_jRbjT5_S1F_jjP12ihipStream_tbEUljE_ZNSN_ISO_Lb1ESR_SS_SU_SV_SZ_EES10_S11_S12_S13_S17_S18_S19_S1C_S1D_jS1E_jS1F_S1F_jjS1H_bEUljE0_EEES10_S11_S12_S19_S1D_S1F_T6_T7_T9_mT8_S1H_bDpT10_ENKUlT_T0_E_clISt17integral_constantIbLb0EES1V_EEDaS1Q_S1R_EUlS1Q_E_NS1_11comp_targetILNS1_3genE2ELNS1_11target_archE906ELNS1_3gpuE6ELNS1_3repE0EEENS1_30default_config_static_selectorELNS0_4arch9wavefront6targetE0EEEvS13_.kd
    .uniform_work_group_size: 1
    .uses_dynamic_stack: false
    .vgpr_count:     0
    .vgpr_spill_count: 0
    .wavefront_size: 32
    .workgroup_processor_mode: 1
  - .args:
      - .offset:         0
        .size:           176
        .value_kind:     by_value
    .group_segment_fixed_size: 0
    .kernarg_segment_align: 8
    .kernarg_segment_size: 176
    .language:       OpenCL C
    .language_version:
      - 2
      - 0
    .max_flat_workgroup_size: 256
    .name:           _ZN7rocprim17ROCPRIM_400000_NS6detail17trampoline_kernelINS0_13select_configILj256ELj13ELNS0_17block_load_methodE3ELS4_3ELS4_3ELNS0_20block_scan_algorithmE0ELj4294967295EEENS1_25partition_config_selectorILNS1_17partition_subalgoE4EjNS0_10empty_typeEbEEZZNS1_14partition_implILS8_4ELb0ES6_15HIP_vector_typeIjLj2EENS0_17counting_iteratorIjlEEPS9_SG_NS0_5tupleIJPjSI_NS0_16reverse_iteratorISI_EEEEENSH_IJSG_SG_SG_EEES9_SI_JZNS1_25segmented_radix_sort_implINS0_14default_configELb1EPK12hip_bfloat16PSP_PKlPlN2at6native12_GLOBAL__N_18offset_tEEE10hipError_tPvRmT1_PNSt15iterator_traitsIS13_E10value_typeET2_T3_PNS14_IS19_E10value_typeET4_jRbjT5_S1F_jjP12ihipStream_tbEUljE_ZNSN_ISO_Lb1ESR_SS_SU_SV_SZ_EES10_S11_S12_S13_S17_S18_S19_S1C_S1D_jS1E_jS1F_S1F_jjS1H_bEUljE0_EEES10_S11_S12_S19_S1D_S1F_T6_T7_T9_mT8_S1H_bDpT10_ENKUlT_T0_E_clISt17integral_constantIbLb0EES1V_EEDaS1Q_S1R_EUlS1Q_E_NS1_11comp_targetILNS1_3genE10ELNS1_11target_archE1200ELNS1_3gpuE4ELNS1_3repE0EEENS1_30default_config_static_selectorELNS0_4arch9wavefront6targetE0EEEvS13_
    .private_segment_fixed_size: 0
    .sgpr_count:     0
    .sgpr_spill_count: 0
    .symbol:         _ZN7rocprim17ROCPRIM_400000_NS6detail17trampoline_kernelINS0_13select_configILj256ELj13ELNS0_17block_load_methodE3ELS4_3ELS4_3ELNS0_20block_scan_algorithmE0ELj4294967295EEENS1_25partition_config_selectorILNS1_17partition_subalgoE4EjNS0_10empty_typeEbEEZZNS1_14partition_implILS8_4ELb0ES6_15HIP_vector_typeIjLj2EENS0_17counting_iteratorIjlEEPS9_SG_NS0_5tupleIJPjSI_NS0_16reverse_iteratorISI_EEEEENSH_IJSG_SG_SG_EEES9_SI_JZNS1_25segmented_radix_sort_implINS0_14default_configELb1EPK12hip_bfloat16PSP_PKlPlN2at6native12_GLOBAL__N_18offset_tEEE10hipError_tPvRmT1_PNSt15iterator_traitsIS13_E10value_typeET2_T3_PNS14_IS19_E10value_typeET4_jRbjT5_S1F_jjP12ihipStream_tbEUljE_ZNSN_ISO_Lb1ESR_SS_SU_SV_SZ_EES10_S11_S12_S13_S17_S18_S19_S1C_S1D_jS1E_jS1F_S1F_jjS1H_bEUljE0_EEES10_S11_S12_S19_S1D_S1F_T6_T7_T9_mT8_S1H_bDpT10_ENKUlT_T0_E_clISt17integral_constantIbLb0EES1V_EEDaS1Q_S1R_EUlS1Q_E_NS1_11comp_targetILNS1_3genE10ELNS1_11target_archE1200ELNS1_3gpuE4ELNS1_3repE0EEENS1_30default_config_static_selectorELNS0_4arch9wavefront6targetE0EEEvS13_.kd
    .uniform_work_group_size: 1
    .uses_dynamic_stack: false
    .vgpr_count:     0
    .vgpr_spill_count: 0
    .wavefront_size: 32
    .workgroup_processor_mode: 1
  - .args:
      - .offset:         0
        .size:           176
        .value_kind:     by_value
    .group_segment_fixed_size: 13340
    .kernarg_segment_align: 8
    .kernarg_segment_size: 176
    .language:       OpenCL C
    .language_version:
      - 2
      - 0
    .max_flat_workgroup_size: 256
    .name:           _ZN7rocprim17ROCPRIM_400000_NS6detail17trampoline_kernelINS0_13select_configILj256ELj13ELNS0_17block_load_methodE3ELS4_3ELS4_3ELNS0_20block_scan_algorithmE0ELj4294967295EEENS1_25partition_config_selectorILNS1_17partition_subalgoE4EjNS0_10empty_typeEbEEZZNS1_14partition_implILS8_4ELb0ES6_15HIP_vector_typeIjLj2EENS0_17counting_iteratorIjlEEPS9_SG_NS0_5tupleIJPjSI_NS0_16reverse_iteratorISI_EEEEENSH_IJSG_SG_SG_EEES9_SI_JZNS1_25segmented_radix_sort_implINS0_14default_configELb1EPK12hip_bfloat16PSP_PKlPlN2at6native12_GLOBAL__N_18offset_tEEE10hipError_tPvRmT1_PNSt15iterator_traitsIS13_E10value_typeET2_T3_PNS14_IS19_E10value_typeET4_jRbjT5_S1F_jjP12ihipStream_tbEUljE_ZNSN_ISO_Lb1ESR_SS_SU_SV_SZ_EES10_S11_S12_S13_S17_S18_S19_S1C_S1D_jS1E_jS1F_S1F_jjS1H_bEUljE0_EEES10_S11_S12_S19_S1D_S1F_T6_T7_T9_mT8_S1H_bDpT10_ENKUlT_T0_E_clISt17integral_constantIbLb0EES1V_EEDaS1Q_S1R_EUlS1Q_E_NS1_11comp_targetILNS1_3genE9ELNS1_11target_archE1100ELNS1_3gpuE3ELNS1_3repE0EEENS1_30default_config_static_selectorELNS0_4arch9wavefront6targetE0EEEvS13_
    .private_segment_fixed_size: 0
    .sgpr_count:     61
    .sgpr_spill_count: 0
    .symbol:         _ZN7rocprim17ROCPRIM_400000_NS6detail17trampoline_kernelINS0_13select_configILj256ELj13ELNS0_17block_load_methodE3ELS4_3ELS4_3ELNS0_20block_scan_algorithmE0ELj4294967295EEENS1_25partition_config_selectorILNS1_17partition_subalgoE4EjNS0_10empty_typeEbEEZZNS1_14partition_implILS8_4ELb0ES6_15HIP_vector_typeIjLj2EENS0_17counting_iteratorIjlEEPS9_SG_NS0_5tupleIJPjSI_NS0_16reverse_iteratorISI_EEEEENSH_IJSG_SG_SG_EEES9_SI_JZNS1_25segmented_radix_sort_implINS0_14default_configELb1EPK12hip_bfloat16PSP_PKlPlN2at6native12_GLOBAL__N_18offset_tEEE10hipError_tPvRmT1_PNSt15iterator_traitsIS13_E10value_typeET2_T3_PNS14_IS19_E10value_typeET4_jRbjT5_S1F_jjP12ihipStream_tbEUljE_ZNSN_ISO_Lb1ESR_SS_SU_SV_SZ_EES10_S11_S12_S13_S17_S18_S19_S1C_S1D_jS1E_jS1F_S1F_jjS1H_bEUljE0_EEES10_S11_S12_S19_S1D_S1F_T6_T7_T9_mT8_S1H_bDpT10_ENKUlT_T0_E_clISt17integral_constantIbLb0EES1V_EEDaS1Q_S1R_EUlS1Q_E_NS1_11comp_targetILNS1_3genE9ELNS1_11target_archE1100ELNS1_3gpuE3ELNS1_3repE0EEENS1_30default_config_static_selectorELNS0_4arch9wavefront6targetE0EEEvS13_.kd
    .uniform_work_group_size: 1
    .uses_dynamic_stack: false
    .vgpr_count:     98
    .vgpr_spill_count: 0
    .wavefront_size: 32
    .workgroup_processor_mode: 1
  - .args:
      - .offset:         0
        .size:           176
        .value_kind:     by_value
    .group_segment_fixed_size: 0
    .kernarg_segment_align: 8
    .kernarg_segment_size: 176
    .language:       OpenCL C
    .language_version:
      - 2
      - 0
    .max_flat_workgroup_size: 256
    .name:           _ZN7rocprim17ROCPRIM_400000_NS6detail17trampoline_kernelINS0_13select_configILj256ELj13ELNS0_17block_load_methodE3ELS4_3ELS4_3ELNS0_20block_scan_algorithmE0ELj4294967295EEENS1_25partition_config_selectorILNS1_17partition_subalgoE4EjNS0_10empty_typeEbEEZZNS1_14partition_implILS8_4ELb0ES6_15HIP_vector_typeIjLj2EENS0_17counting_iteratorIjlEEPS9_SG_NS0_5tupleIJPjSI_NS0_16reverse_iteratorISI_EEEEENSH_IJSG_SG_SG_EEES9_SI_JZNS1_25segmented_radix_sort_implINS0_14default_configELb1EPK12hip_bfloat16PSP_PKlPlN2at6native12_GLOBAL__N_18offset_tEEE10hipError_tPvRmT1_PNSt15iterator_traitsIS13_E10value_typeET2_T3_PNS14_IS19_E10value_typeET4_jRbjT5_S1F_jjP12ihipStream_tbEUljE_ZNSN_ISO_Lb1ESR_SS_SU_SV_SZ_EES10_S11_S12_S13_S17_S18_S19_S1C_S1D_jS1E_jS1F_S1F_jjS1H_bEUljE0_EEES10_S11_S12_S19_S1D_S1F_T6_T7_T9_mT8_S1H_bDpT10_ENKUlT_T0_E_clISt17integral_constantIbLb0EES1V_EEDaS1Q_S1R_EUlS1Q_E_NS1_11comp_targetILNS1_3genE8ELNS1_11target_archE1030ELNS1_3gpuE2ELNS1_3repE0EEENS1_30default_config_static_selectorELNS0_4arch9wavefront6targetE0EEEvS13_
    .private_segment_fixed_size: 0
    .sgpr_count:     0
    .sgpr_spill_count: 0
    .symbol:         _ZN7rocprim17ROCPRIM_400000_NS6detail17trampoline_kernelINS0_13select_configILj256ELj13ELNS0_17block_load_methodE3ELS4_3ELS4_3ELNS0_20block_scan_algorithmE0ELj4294967295EEENS1_25partition_config_selectorILNS1_17partition_subalgoE4EjNS0_10empty_typeEbEEZZNS1_14partition_implILS8_4ELb0ES6_15HIP_vector_typeIjLj2EENS0_17counting_iteratorIjlEEPS9_SG_NS0_5tupleIJPjSI_NS0_16reverse_iteratorISI_EEEEENSH_IJSG_SG_SG_EEES9_SI_JZNS1_25segmented_radix_sort_implINS0_14default_configELb1EPK12hip_bfloat16PSP_PKlPlN2at6native12_GLOBAL__N_18offset_tEEE10hipError_tPvRmT1_PNSt15iterator_traitsIS13_E10value_typeET2_T3_PNS14_IS19_E10value_typeET4_jRbjT5_S1F_jjP12ihipStream_tbEUljE_ZNSN_ISO_Lb1ESR_SS_SU_SV_SZ_EES10_S11_S12_S13_S17_S18_S19_S1C_S1D_jS1E_jS1F_S1F_jjS1H_bEUljE0_EEES10_S11_S12_S19_S1D_S1F_T6_T7_T9_mT8_S1H_bDpT10_ENKUlT_T0_E_clISt17integral_constantIbLb0EES1V_EEDaS1Q_S1R_EUlS1Q_E_NS1_11comp_targetILNS1_3genE8ELNS1_11target_archE1030ELNS1_3gpuE2ELNS1_3repE0EEENS1_30default_config_static_selectorELNS0_4arch9wavefront6targetE0EEEvS13_.kd
    .uniform_work_group_size: 1
    .uses_dynamic_stack: false
    .vgpr_count:     0
    .vgpr_spill_count: 0
    .wavefront_size: 32
    .workgroup_processor_mode: 1
  - .args:
      - .offset:         0
        .size:           184
        .value_kind:     by_value
    .group_segment_fixed_size: 0
    .kernarg_segment_align: 8
    .kernarg_segment_size: 184
    .language:       OpenCL C
    .language_version:
      - 2
      - 0
    .max_flat_workgroup_size: 256
    .name:           _ZN7rocprim17ROCPRIM_400000_NS6detail17trampoline_kernelINS0_13select_configILj256ELj13ELNS0_17block_load_methodE3ELS4_3ELS4_3ELNS0_20block_scan_algorithmE0ELj4294967295EEENS1_25partition_config_selectorILNS1_17partition_subalgoE4EjNS0_10empty_typeEbEEZZNS1_14partition_implILS8_4ELb0ES6_15HIP_vector_typeIjLj2EENS0_17counting_iteratorIjlEEPS9_SG_NS0_5tupleIJPjSI_NS0_16reverse_iteratorISI_EEEEENSH_IJSG_SG_SG_EEES9_SI_JZNS1_25segmented_radix_sort_implINS0_14default_configELb1EPK12hip_bfloat16PSP_PKlPlN2at6native12_GLOBAL__N_18offset_tEEE10hipError_tPvRmT1_PNSt15iterator_traitsIS13_E10value_typeET2_T3_PNS14_IS19_E10value_typeET4_jRbjT5_S1F_jjP12ihipStream_tbEUljE_ZNSN_ISO_Lb1ESR_SS_SU_SV_SZ_EES10_S11_S12_S13_S17_S18_S19_S1C_S1D_jS1E_jS1F_S1F_jjS1H_bEUljE0_EEES10_S11_S12_S19_S1D_S1F_T6_T7_T9_mT8_S1H_bDpT10_ENKUlT_T0_E_clISt17integral_constantIbLb1EES1V_EEDaS1Q_S1R_EUlS1Q_E_NS1_11comp_targetILNS1_3genE0ELNS1_11target_archE4294967295ELNS1_3gpuE0ELNS1_3repE0EEENS1_30default_config_static_selectorELNS0_4arch9wavefront6targetE0EEEvS13_
    .private_segment_fixed_size: 0
    .sgpr_count:     0
    .sgpr_spill_count: 0
    .symbol:         _ZN7rocprim17ROCPRIM_400000_NS6detail17trampoline_kernelINS0_13select_configILj256ELj13ELNS0_17block_load_methodE3ELS4_3ELS4_3ELNS0_20block_scan_algorithmE0ELj4294967295EEENS1_25partition_config_selectorILNS1_17partition_subalgoE4EjNS0_10empty_typeEbEEZZNS1_14partition_implILS8_4ELb0ES6_15HIP_vector_typeIjLj2EENS0_17counting_iteratorIjlEEPS9_SG_NS0_5tupleIJPjSI_NS0_16reverse_iteratorISI_EEEEENSH_IJSG_SG_SG_EEES9_SI_JZNS1_25segmented_radix_sort_implINS0_14default_configELb1EPK12hip_bfloat16PSP_PKlPlN2at6native12_GLOBAL__N_18offset_tEEE10hipError_tPvRmT1_PNSt15iterator_traitsIS13_E10value_typeET2_T3_PNS14_IS19_E10value_typeET4_jRbjT5_S1F_jjP12ihipStream_tbEUljE_ZNSN_ISO_Lb1ESR_SS_SU_SV_SZ_EES10_S11_S12_S13_S17_S18_S19_S1C_S1D_jS1E_jS1F_S1F_jjS1H_bEUljE0_EEES10_S11_S12_S19_S1D_S1F_T6_T7_T9_mT8_S1H_bDpT10_ENKUlT_T0_E_clISt17integral_constantIbLb1EES1V_EEDaS1Q_S1R_EUlS1Q_E_NS1_11comp_targetILNS1_3genE0ELNS1_11target_archE4294967295ELNS1_3gpuE0ELNS1_3repE0EEENS1_30default_config_static_selectorELNS0_4arch9wavefront6targetE0EEEvS13_.kd
    .uniform_work_group_size: 1
    .uses_dynamic_stack: false
    .vgpr_count:     0
    .vgpr_spill_count: 0
    .wavefront_size: 32
    .workgroup_processor_mode: 1
  - .args:
      - .offset:         0
        .size:           184
        .value_kind:     by_value
    .group_segment_fixed_size: 0
    .kernarg_segment_align: 8
    .kernarg_segment_size: 184
    .language:       OpenCL C
    .language_version:
      - 2
      - 0
    .max_flat_workgroup_size: 256
    .name:           _ZN7rocprim17ROCPRIM_400000_NS6detail17trampoline_kernelINS0_13select_configILj256ELj13ELNS0_17block_load_methodE3ELS4_3ELS4_3ELNS0_20block_scan_algorithmE0ELj4294967295EEENS1_25partition_config_selectorILNS1_17partition_subalgoE4EjNS0_10empty_typeEbEEZZNS1_14partition_implILS8_4ELb0ES6_15HIP_vector_typeIjLj2EENS0_17counting_iteratorIjlEEPS9_SG_NS0_5tupleIJPjSI_NS0_16reverse_iteratorISI_EEEEENSH_IJSG_SG_SG_EEES9_SI_JZNS1_25segmented_radix_sort_implINS0_14default_configELb1EPK12hip_bfloat16PSP_PKlPlN2at6native12_GLOBAL__N_18offset_tEEE10hipError_tPvRmT1_PNSt15iterator_traitsIS13_E10value_typeET2_T3_PNS14_IS19_E10value_typeET4_jRbjT5_S1F_jjP12ihipStream_tbEUljE_ZNSN_ISO_Lb1ESR_SS_SU_SV_SZ_EES10_S11_S12_S13_S17_S18_S19_S1C_S1D_jS1E_jS1F_S1F_jjS1H_bEUljE0_EEES10_S11_S12_S19_S1D_S1F_T6_T7_T9_mT8_S1H_bDpT10_ENKUlT_T0_E_clISt17integral_constantIbLb1EES1V_EEDaS1Q_S1R_EUlS1Q_E_NS1_11comp_targetILNS1_3genE5ELNS1_11target_archE942ELNS1_3gpuE9ELNS1_3repE0EEENS1_30default_config_static_selectorELNS0_4arch9wavefront6targetE0EEEvS13_
    .private_segment_fixed_size: 0
    .sgpr_count:     0
    .sgpr_spill_count: 0
    .symbol:         _ZN7rocprim17ROCPRIM_400000_NS6detail17trampoline_kernelINS0_13select_configILj256ELj13ELNS0_17block_load_methodE3ELS4_3ELS4_3ELNS0_20block_scan_algorithmE0ELj4294967295EEENS1_25partition_config_selectorILNS1_17partition_subalgoE4EjNS0_10empty_typeEbEEZZNS1_14partition_implILS8_4ELb0ES6_15HIP_vector_typeIjLj2EENS0_17counting_iteratorIjlEEPS9_SG_NS0_5tupleIJPjSI_NS0_16reverse_iteratorISI_EEEEENSH_IJSG_SG_SG_EEES9_SI_JZNS1_25segmented_radix_sort_implINS0_14default_configELb1EPK12hip_bfloat16PSP_PKlPlN2at6native12_GLOBAL__N_18offset_tEEE10hipError_tPvRmT1_PNSt15iterator_traitsIS13_E10value_typeET2_T3_PNS14_IS19_E10value_typeET4_jRbjT5_S1F_jjP12ihipStream_tbEUljE_ZNSN_ISO_Lb1ESR_SS_SU_SV_SZ_EES10_S11_S12_S13_S17_S18_S19_S1C_S1D_jS1E_jS1F_S1F_jjS1H_bEUljE0_EEES10_S11_S12_S19_S1D_S1F_T6_T7_T9_mT8_S1H_bDpT10_ENKUlT_T0_E_clISt17integral_constantIbLb1EES1V_EEDaS1Q_S1R_EUlS1Q_E_NS1_11comp_targetILNS1_3genE5ELNS1_11target_archE942ELNS1_3gpuE9ELNS1_3repE0EEENS1_30default_config_static_selectorELNS0_4arch9wavefront6targetE0EEEvS13_.kd
    .uniform_work_group_size: 1
    .uses_dynamic_stack: false
    .vgpr_count:     0
    .vgpr_spill_count: 0
    .wavefront_size: 32
    .workgroup_processor_mode: 1
  - .args:
      - .offset:         0
        .size:           184
        .value_kind:     by_value
    .group_segment_fixed_size: 0
    .kernarg_segment_align: 8
    .kernarg_segment_size: 184
    .language:       OpenCL C
    .language_version:
      - 2
      - 0
    .max_flat_workgroup_size: 256
    .name:           _ZN7rocprim17ROCPRIM_400000_NS6detail17trampoline_kernelINS0_13select_configILj256ELj13ELNS0_17block_load_methodE3ELS4_3ELS4_3ELNS0_20block_scan_algorithmE0ELj4294967295EEENS1_25partition_config_selectorILNS1_17partition_subalgoE4EjNS0_10empty_typeEbEEZZNS1_14partition_implILS8_4ELb0ES6_15HIP_vector_typeIjLj2EENS0_17counting_iteratorIjlEEPS9_SG_NS0_5tupleIJPjSI_NS0_16reverse_iteratorISI_EEEEENSH_IJSG_SG_SG_EEES9_SI_JZNS1_25segmented_radix_sort_implINS0_14default_configELb1EPK12hip_bfloat16PSP_PKlPlN2at6native12_GLOBAL__N_18offset_tEEE10hipError_tPvRmT1_PNSt15iterator_traitsIS13_E10value_typeET2_T3_PNS14_IS19_E10value_typeET4_jRbjT5_S1F_jjP12ihipStream_tbEUljE_ZNSN_ISO_Lb1ESR_SS_SU_SV_SZ_EES10_S11_S12_S13_S17_S18_S19_S1C_S1D_jS1E_jS1F_S1F_jjS1H_bEUljE0_EEES10_S11_S12_S19_S1D_S1F_T6_T7_T9_mT8_S1H_bDpT10_ENKUlT_T0_E_clISt17integral_constantIbLb1EES1V_EEDaS1Q_S1R_EUlS1Q_E_NS1_11comp_targetILNS1_3genE4ELNS1_11target_archE910ELNS1_3gpuE8ELNS1_3repE0EEENS1_30default_config_static_selectorELNS0_4arch9wavefront6targetE0EEEvS13_
    .private_segment_fixed_size: 0
    .sgpr_count:     0
    .sgpr_spill_count: 0
    .symbol:         _ZN7rocprim17ROCPRIM_400000_NS6detail17trampoline_kernelINS0_13select_configILj256ELj13ELNS0_17block_load_methodE3ELS4_3ELS4_3ELNS0_20block_scan_algorithmE0ELj4294967295EEENS1_25partition_config_selectorILNS1_17partition_subalgoE4EjNS0_10empty_typeEbEEZZNS1_14partition_implILS8_4ELb0ES6_15HIP_vector_typeIjLj2EENS0_17counting_iteratorIjlEEPS9_SG_NS0_5tupleIJPjSI_NS0_16reverse_iteratorISI_EEEEENSH_IJSG_SG_SG_EEES9_SI_JZNS1_25segmented_radix_sort_implINS0_14default_configELb1EPK12hip_bfloat16PSP_PKlPlN2at6native12_GLOBAL__N_18offset_tEEE10hipError_tPvRmT1_PNSt15iterator_traitsIS13_E10value_typeET2_T3_PNS14_IS19_E10value_typeET4_jRbjT5_S1F_jjP12ihipStream_tbEUljE_ZNSN_ISO_Lb1ESR_SS_SU_SV_SZ_EES10_S11_S12_S13_S17_S18_S19_S1C_S1D_jS1E_jS1F_S1F_jjS1H_bEUljE0_EEES10_S11_S12_S19_S1D_S1F_T6_T7_T9_mT8_S1H_bDpT10_ENKUlT_T0_E_clISt17integral_constantIbLb1EES1V_EEDaS1Q_S1R_EUlS1Q_E_NS1_11comp_targetILNS1_3genE4ELNS1_11target_archE910ELNS1_3gpuE8ELNS1_3repE0EEENS1_30default_config_static_selectorELNS0_4arch9wavefront6targetE0EEEvS13_.kd
    .uniform_work_group_size: 1
    .uses_dynamic_stack: false
    .vgpr_count:     0
    .vgpr_spill_count: 0
    .wavefront_size: 32
    .workgroup_processor_mode: 1
  - .args:
      - .offset:         0
        .size:           184
        .value_kind:     by_value
    .group_segment_fixed_size: 0
    .kernarg_segment_align: 8
    .kernarg_segment_size: 184
    .language:       OpenCL C
    .language_version:
      - 2
      - 0
    .max_flat_workgroup_size: 256
    .name:           _ZN7rocprim17ROCPRIM_400000_NS6detail17trampoline_kernelINS0_13select_configILj256ELj13ELNS0_17block_load_methodE3ELS4_3ELS4_3ELNS0_20block_scan_algorithmE0ELj4294967295EEENS1_25partition_config_selectorILNS1_17partition_subalgoE4EjNS0_10empty_typeEbEEZZNS1_14partition_implILS8_4ELb0ES6_15HIP_vector_typeIjLj2EENS0_17counting_iteratorIjlEEPS9_SG_NS0_5tupleIJPjSI_NS0_16reverse_iteratorISI_EEEEENSH_IJSG_SG_SG_EEES9_SI_JZNS1_25segmented_radix_sort_implINS0_14default_configELb1EPK12hip_bfloat16PSP_PKlPlN2at6native12_GLOBAL__N_18offset_tEEE10hipError_tPvRmT1_PNSt15iterator_traitsIS13_E10value_typeET2_T3_PNS14_IS19_E10value_typeET4_jRbjT5_S1F_jjP12ihipStream_tbEUljE_ZNSN_ISO_Lb1ESR_SS_SU_SV_SZ_EES10_S11_S12_S13_S17_S18_S19_S1C_S1D_jS1E_jS1F_S1F_jjS1H_bEUljE0_EEES10_S11_S12_S19_S1D_S1F_T6_T7_T9_mT8_S1H_bDpT10_ENKUlT_T0_E_clISt17integral_constantIbLb1EES1V_EEDaS1Q_S1R_EUlS1Q_E_NS1_11comp_targetILNS1_3genE3ELNS1_11target_archE908ELNS1_3gpuE7ELNS1_3repE0EEENS1_30default_config_static_selectorELNS0_4arch9wavefront6targetE0EEEvS13_
    .private_segment_fixed_size: 0
    .sgpr_count:     0
    .sgpr_spill_count: 0
    .symbol:         _ZN7rocprim17ROCPRIM_400000_NS6detail17trampoline_kernelINS0_13select_configILj256ELj13ELNS0_17block_load_methodE3ELS4_3ELS4_3ELNS0_20block_scan_algorithmE0ELj4294967295EEENS1_25partition_config_selectorILNS1_17partition_subalgoE4EjNS0_10empty_typeEbEEZZNS1_14partition_implILS8_4ELb0ES6_15HIP_vector_typeIjLj2EENS0_17counting_iteratorIjlEEPS9_SG_NS0_5tupleIJPjSI_NS0_16reverse_iteratorISI_EEEEENSH_IJSG_SG_SG_EEES9_SI_JZNS1_25segmented_radix_sort_implINS0_14default_configELb1EPK12hip_bfloat16PSP_PKlPlN2at6native12_GLOBAL__N_18offset_tEEE10hipError_tPvRmT1_PNSt15iterator_traitsIS13_E10value_typeET2_T3_PNS14_IS19_E10value_typeET4_jRbjT5_S1F_jjP12ihipStream_tbEUljE_ZNSN_ISO_Lb1ESR_SS_SU_SV_SZ_EES10_S11_S12_S13_S17_S18_S19_S1C_S1D_jS1E_jS1F_S1F_jjS1H_bEUljE0_EEES10_S11_S12_S19_S1D_S1F_T6_T7_T9_mT8_S1H_bDpT10_ENKUlT_T0_E_clISt17integral_constantIbLb1EES1V_EEDaS1Q_S1R_EUlS1Q_E_NS1_11comp_targetILNS1_3genE3ELNS1_11target_archE908ELNS1_3gpuE7ELNS1_3repE0EEENS1_30default_config_static_selectorELNS0_4arch9wavefront6targetE0EEEvS13_.kd
    .uniform_work_group_size: 1
    .uses_dynamic_stack: false
    .vgpr_count:     0
    .vgpr_spill_count: 0
    .wavefront_size: 32
    .workgroup_processor_mode: 1
  - .args:
      - .offset:         0
        .size:           184
        .value_kind:     by_value
    .group_segment_fixed_size: 0
    .kernarg_segment_align: 8
    .kernarg_segment_size: 184
    .language:       OpenCL C
    .language_version:
      - 2
      - 0
    .max_flat_workgroup_size: 256
    .name:           _ZN7rocprim17ROCPRIM_400000_NS6detail17trampoline_kernelINS0_13select_configILj256ELj13ELNS0_17block_load_methodE3ELS4_3ELS4_3ELNS0_20block_scan_algorithmE0ELj4294967295EEENS1_25partition_config_selectorILNS1_17partition_subalgoE4EjNS0_10empty_typeEbEEZZNS1_14partition_implILS8_4ELb0ES6_15HIP_vector_typeIjLj2EENS0_17counting_iteratorIjlEEPS9_SG_NS0_5tupleIJPjSI_NS0_16reverse_iteratorISI_EEEEENSH_IJSG_SG_SG_EEES9_SI_JZNS1_25segmented_radix_sort_implINS0_14default_configELb1EPK12hip_bfloat16PSP_PKlPlN2at6native12_GLOBAL__N_18offset_tEEE10hipError_tPvRmT1_PNSt15iterator_traitsIS13_E10value_typeET2_T3_PNS14_IS19_E10value_typeET4_jRbjT5_S1F_jjP12ihipStream_tbEUljE_ZNSN_ISO_Lb1ESR_SS_SU_SV_SZ_EES10_S11_S12_S13_S17_S18_S19_S1C_S1D_jS1E_jS1F_S1F_jjS1H_bEUljE0_EEES10_S11_S12_S19_S1D_S1F_T6_T7_T9_mT8_S1H_bDpT10_ENKUlT_T0_E_clISt17integral_constantIbLb1EES1V_EEDaS1Q_S1R_EUlS1Q_E_NS1_11comp_targetILNS1_3genE2ELNS1_11target_archE906ELNS1_3gpuE6ELNS1_3repE0EEENS1_30default_config_static_selectorELNS0_4arch9wavefront6targetE0EEEvS13_
    .private_segment_fixed_size: 0
    .sgpr_count:     0
    .sgpr_spill_count: 0
    .symbol:         _ZN7rocprim17ROCPRIM_400000_NS6detail17trampoline_kernelINS0_13select_configILj256ELj13ELNS0_17block_load_methodE3ELS4_3ELS4_3ELNS0_20block_scan_algorithmE0ELj4294967295EEENS1_25partition_config_selectorILNS1_17partition_subalgoE4EjNS0_10empty_typeEbEEZZNS1_14partition_implILS8_4ELb0ES6_15HIP_vector_typeIjLj2EENS0_17counting_iteratorIjlEEPS9_SG_NS0_5tupleIJPjSI_NS0_16reverse_iteratorISI_EEEEENSH_IJSG_SG_SG_EEES9_SI_JZNS1_25segmented_radix_sort_implINS0_14default_configELb1EPK12hip_bfloat16PSP_PKlPlN2at6native12_GLOBAL__N_18offset_tEEE10hipError_tPvRmT1_PNSt15iterator_traitsIS13_E10value_typeET2_T3_PNS14_IS19_E10value_typeET4_jRbjT5_S1F_jjP12ihipStream_tbEUljE_ZNSN_ISO_Lb1ESR_SS_SU_SV_SZ_EES10_S11_S12_S13_S17_S18_S19_S1C_S1D_jS1E_jS1F_S1F_jjS1H_bEUljE0_EEES10_S11_S12_S19_S1D_S1F_T6_T7_T9_mT8_S1H_bDpT10_ENKUlT_T0_E_clISt17integral_constantIbLb1EES1V_EEDaS1Q_S1R_EUlS1Q_E_NS1_11comp_targetILNS1_3genE2ELNS1_11target_archE906ELNS1_3gpuE6ELNS1_3repE0EEENS1_30default_config_static_selectorELNS0_4arch9wavefront6targetE0EEEvS13_.kd
    .uniform_work_group_size: 1
    .uses_dynamic_stack: false
    .vgpr_count:     0
    .vgpr_spill_count: 0
    .wavefront_size: 32
    .workgroup_processor_mode: 1
  - .args:
      - .offset:         0
        .size:           184
        .value_kind:     by_value
    .group_segment_fixed_size: 0
    .kernarg_segment_align: 8
    .kernarg_segment_size: 184
    .language:       OpenCL C
    .language_version:
      - 2
      - 0
    .max_flat_workgroup_size: 256
    .name:           _ZN7rocprim17ROCPRIM_400000_NS6detail17trampoline_kernelINS0_13select_configILj256ELj13ELNS0_17block_load_methodE3ELS4_3ELS4_3ELNS0_20block_scan_algorithmE0ELj4294967295EEENS1_25partition_config_selectorILNS1_17partition_subalgoE4EjNS0_10empty_typeEbEEZZNS1_14partition_implILS8_4ELb0ES6_15HIP_vector_typeIjLj2EENS0_17counting_iteratorIjlEEPS9_SG_NS0_5tupleIJPjSI_NS0_16reverse_iteratorISI_EEEEENSH_IJSG_SG_SG_EEES9_SI_JZNS1_25segmented_radix_sort_implINS0_14default_configELb1EPK12hip_bfloat16PSP_PKlPlN2at6native12_GLOBAL__N_18offset_tEEE10hipError_tPvRmT1_PNSt15iterator_traitsIS13_E10value_typeET2_T3_PNS14_IS19_E10value_typeET4_jRbjT5_S1F_jjP12ihipStream_tbEUljE_ZNSN_ISO_Lb1ESR_SS_SU_SV_SZ_EES10_S11_S12_S13_S17_S18_S19_S1C_S1D_jS1E_jS1F_S1F_jjS1H_bEUljE0_EEES10_S11_S12_S19_S1D_S1F_T6_T7_T9_mT8_S1H_bDpT10_ENKUlT_T0_E_clISt17integral_constantIbLb1EES1V_EEDaS1Q_S1R_EUlS1Q_E_NS1_11comp_targetILNS1_3genE10ELNS1_11target_archE1200ELNS1_3gpuE4ELNS1_3repE0EEENS1_30default_config_static_selectorELNS0_4arch9wavefront6targetE0EEEvS13_
    .private_segment_fixed_size: 0
    .sgpr_count:     0
    .sgpr_spill_count: 0
    .symbol:         _ZN7rocprim17ROCPRIM_400000_NS6detail17trampoline_kernelINS0_13select_configILj256ELj13ELNS0_17block_load_methodE3ELS4_3ELS4_3ELNS0_20block_scan_algorithmE0ELj4294967295EEENS1_25partition_config_selectorILNS1_17partition_subalgoE4EjNS0_10empty_typeEbEEZZNS1_14partition_implILS8_4ELb0ES6_15HIP_vector_typeIjLj2EENS0_17counting_iteratorIjlEEPS9_SG_NS0_5tupleIJPjSI_NS0_16reverse_iteratorISI_EEEEENSH_IJSG_SG_SG_EEES9_SI_JZNS1_25segmented_radix_sort_implINS0_14default_configELb1EPK12hip_bfloat16PSP_PKlPlN2at6native12_GLOBAL__N_18offset_tEEE10hipError_tPvRmT1_PNSt15iterator_traitsIS13_E10value_typeET2_T3_PNS14_IS19_E10value_typeET4_jRbjT5_S1F_jjP12ihipStream_tbEUljE_ZNSN_ISO_Lb1ESR_SS_SU_SV_SZ_EES10_S11_S12_S13_S17_S18_S19_S1C_S1D_jS1E_jS1F_S1F_jjS1H_bEUljE0_EEES10_S11_S12_S19_S1D_S1F_T6_T7_T9_mT8_S1H_bDpT10_ENKUlT_T0_E_clISt17integral_constantIbLb1EES1V_EEDaS1Q_S1R_EUlS1Q_E_NS1_11comp_targetILNS1_3genE10ELNS1_11target_archE1200ELNS1_3gpuE4ELNS1_3repE0EEENS1_30default_config_static_selectorELNS0_4arch9wavefront6targetE0EEEvS13_.kd
    .uniform_work_group_size: 1
    .uses_dynamic_stack: false
    .vgpr_count:     0
    .vgpr_spill_count: 0
    .wavefront_size: 32
    .workgroup_processor_mode: 1
  - .args:
      - .offset:         0
        .size:           184
        .value_kind:     by_value
    .group_segment_fixed_size: 13340
    .kernarg_segment_align: 8
    .kernarg_segment_size: 184
    .language:       OpenCL C
    .language_version:
      - 2
      - 0
    .max_flat_workgroup_size: 256
    .name:           _ZN7rocprim17ROCPRIM_400000_NS6detail17trampoline_kernelINS0_13select_configILj256ELj13ELNS0_17block_load_methodE3ELS4_3ELS4_3ELNS0_20block_scan_algorithmE0ELj4294967295EEENS1_25partition_config_selectorILNS1_17partition_subalgoE4EjNS0_10empty_typeEbEEZZNS1_14partition_implILS8_4ELb0ES6_15HIP_vector_typeIjLj2EENS0_17counting_iteratorIjlEEPS9_SG_NS0_5tupleIJPjSI_NS0_16reverse_iteratorISI_EEEEENSH_IJSG_SG_SG_EEES9_SI_JZNS1_25segmented_radix_sort_implINS0_14default_configELb1EPK12hip_bfloat16PSP_PKlPlN2at6native12_GLOBAL__N_18offset_tEEE10hipError_tPvRmT1_PNSt15iterator_traitsIS13_E10value_typeET2_T3_PNS14_IS19_E10value_typeET4_jRbjT5_S1F_jjP12ihipStream_tbEUljE_ZNSN_ISO_Lb1ESR_SS_SU_SV_SZ_EES10_S11_S12_S13_S17_S18_S19_S1C_S1D_jS1E_jS1F_S1F_jjS1H_bEUljE0_EEES10_S11_S12_S19_S1D_S1F_T6_T7_T9_mT8_S1H_bDpT10_ENKUlT_T0_E_clISt17integral_constantIbLb1EES1V_EEDaS1Q_S1R_EUlS1Q_E_NS1_11comp_targetILNS1_3genE9ELNS1_11target_archE1100ELNS1_3gpuE3ELNS1_3repE0EEENS1_30default_config_static_selectorELNS0_4arch9wavefront6targetE0EEEvS13_
    .private_segment_fixed_size: 0
    .sgpr_count:     57
    .sgpr_spill_count: 0
    .symbol:         _ZN7rocprim17ROCPRIM_400000_NS6detail17trampoline_kernelINS0_13select_configILj256ELj13ELNS0_17block_load_methodE3ELS4_3ELS4_3ELNS0_20block_scan_algorithmE0ELj4294967295EEENS1_25partition_config_selectorILNS1_17partition_subalgoE4EjNS0_10empty_typeEbEEZZNS1_14partition_implILS8_4ELb0ES6_15HIP_vector_typeIjLj2EENS0_17counting_iteratorIjlEEPS9_SG_NS0_5tupleIJPjSI_NS0_16reverse_iteratorISI_EEEEENSH_IJSG_SG_SG_EEES9_SI_JZNS1_25segmented_radix_sort_implINS0_14default_configELb1EPK12hip_bfloat16PSP_PKlPlN2at6native12_GLOBAL__N_18offset_tEEE10hipError_tPvRmT1_PNSt15iterator_traitsIS13_E10value_typeET2_T3_PNS14_IS19_E10value_typeET4_jRbjT5_S1F_jjP12ihipStream_tbEUljE_ZNSN_ISO_Lb1ESR_SS_SU_SV_SZ_EES10_S11_S12_S13_S17_S18_S19_S1C_S1D_jS1E_jS1F_S1F_jjS1H_bEUljE0_EEES10_S11_S12_S19_S1D_S1F_T6_T7_T9_mT8_S1H_bDpT10_ENKUlT_T0_E_clISt17integral_constantIbLb1EES1V_EEDaS1Q_S1R_EUlS1Q_E_NS1_11comp_targetILNS1_3genE9ELNS1_11target_archE1100ELNS1_3gpuE3ELNS1_3repE0EEENS1_30default_config_static_selectorELNS0_4arch9wavefront6targetE0EEEvS13_.kd
    .uniform_work_group_size: 1
    .uses_dynamic_stack: false
    .vgpr_count:     103
    .vgpr_spill_count: 0
    .wavefront_size: 32
    .workgroup_processor_mode: 1
  - .args:
      - .offset:         0
        .size:           184
        .value_kind:     by_value
    .group_segment_fixed_size: 0
    .kernarg_segment_align: 8
    .kernarg_segment_size: 184
    .language:       OpenCL C
    .language_version:
      - 2
      - 0
    .max_flat_workgroup_size: 256
    .name:           _ZN7rocprim17ROCPRIM_400000_NS6detail17trampoline_kernelINS0_13select_configILj256ELj13ELNS0_17block_load_methodE3ELS4_3ELS4_3ELNS0_20block_scan_algorithmE0ELj4294967295EEENS1_25partition_config_selectorILNS1_17partition_subalgoE4EjNS0_10empty_typeEbEEZZNS1_14partition_implILS8_4ELb0ES6_15HIP_vector_typeIjLj2EENS0_17counting_iteratorIjlEEPS9_SG_NS0_5tupleIJPjSI_NS0_16reverse_iteratorISI_EEEEENSH_IJSG_SG_SG_EEES9_SI_JZNS1_25segmented_radix_sort_implINS0_14default_configELb1EPK12hip_bfloat16PSP_PKlPlN2at6native12_GLOBAL__N_18offset_tEEE10hipError_tPvRmT1_PNSt15iterator_traitsIS13_E10value_typeET2_T3_PNS14_IS19_E10value_typeET4_jRbjT5_S1F_jjP12ihipStream_tbEUljE_ZNSN_ISO_Lb1ESR_SS_SU_SV_SZ_EES10_S11_S12_S13_S17_S18_S19_S1C_S1D_jS1E_jS1F_S1F_jjS1H_bEUljE0_EEES10_S11_S12_S19_S1D_S1F_T6_T7_T9_mT8_S1H_bDpT10_ENKUlT_T0_E_clISt17integral_constantIbLb1EES1V_EEDaS1Q_S1R_EUlS1Q_E_NS1_11comp_targetILNS1_3genE8ELNS1_11target_archE1030ELNS1_3gpuE2ELNS1_3repE0EEENS1_30default_config_static_selectorELNS0_4arch9wavefront6targetE0EEEvS13_
    .private_segment_fixed_size: 0
    .sgpr_count:     0
    .sgpr_spill_count: 0
    .symbol:         _ZN7rocprim17ROCPRIM_400000_NS6detail17trampoline_kernelINS0_13select_configILj256ELj13ELNS0_17block_load_methodE3ELS4_3ELS4_3ELNS0_20block_scan_algorithmE0ELj4294967295EEENS1_25partition_config_selectorILNS1_17partition_subalgoE4EjNS0_10empty_typeEbEEZZNS1_14partition_implILS8_4ELb0ES6_15HIP_vector_typeIjLj2EENS0_17counting_iteratorIjlEEPS9_SG_NS0_5tupleIJPjSI_NS0_16reverse_iteratorISI_EEEEENSH_IJSG_SG_SG_EEES9_SI_JZNS1_25segmented_radix_sort_implINS0_14default_configELb1EPK12hip_bfloat16PSP_PKlPlN2at6native12_GLOBAL__N_18offset_tEEE10hipError_tPvRmT1_PNSt15iterator_traitsIS13_E10value_typeET2_T3_PNS14_IS19_E10value_typeET4_jRbjT5_S1F_jjP12ihipStream_tbEUljE_ZNSN_ISO_Lb1ESR_SS_SU_SV_SZ_EES10_S11_S12_S13_S17_S18_S19_S1C_S1D_jS1E_jS1F_S1F_jjS1H_bEUljE0_EEES10_S11_S12_S19_S1D_S1F_T6_T7_T9_mT8_S1H_bDpT10_ENKUlT_T0_E_clISt17integral_constantIbLb1EES1V_EEDaS1Q_S1R_EUlS1Q_E_NS1_11comp_targetILNS1_3genE8ELNS1_11target_archE1030ELNS1_3gpuE2ELNS1_3repE0EEENS1_30default_config_static_selectorELNS0_4arch9wavefront6targetE0EEEvS13_.kd
    .uniform_work_group_size: 1
    .uses_dynamic_stack: false
    .vgpr_count:     0
    .vgpr_spill_count: 0
    .wavefront_size: 32
    .workgroup_processor_mode: 1
  - .args:
      - .offset:         0
        .size:           176
        .value_kind:     by_value
    .group_segment_fixed_size: 0
    .kernarg_segment_align: 8
    .kernarg_segment_size: 176
    .language:       OpenCL C
    .language_version:
      - 2
      - 0
    .max_flat_workgroup_size: 256
    .name:           _ZN7rocprim17ROCPRIM_400000_NS6detail17trampoline_kernelINS0_13select_configILj256ELj13ELNS0_17block_load_methodE3ELS4_3ELS4_3ELNS0_20block_scan_algorithmE0ELj4294967295EEENS1_25partition_config_selectorILNS1_17partition_subalgoE4EjNS0_10empty_typeEbEEZZNS1_14partition_implILS8_4ELb0ES6_15HIP_vector_typeIjLj2EENS0_17counting_iteratorIjlEEPS9_SG_NS0_5tupleIJPjSI_NS0_16reverse_iteratorISI_EEEEENSH_IJSG_SG_SG_EEES9_SI_JZNS1_25segmented_radix_sort_implINS0_14default_configELb1EPK12hip_bfloat16PSP_PKlPlN2at6native12_GLOBAL__N_18offset_tEEE10hipError_tPvRmT1_PNSt15iterator_traitsIS13_E10value_typeET2_T3_PNS14_IS19_E10value_typeET4_jRbjT5_S1F_jjP12ihipStream_tbEUljE_ZNSN_ISO_Lb1ESR_SS_SU_SV_SZ_EES10_S11_S12_S13_S17_S18_S19_S1C_S1D_jS1E_jS1F_S1F_jjS1H_bEUljE0_EEES10_S11_S12_S19_S1D_S1F_T6_T7_T9_mT8_S1H_bDpT10_ENKUlT_T0_E_clISt17integral_constantIbLb1EES1U_IbLb0EEEEDaS1Q_S1R_EUlS1Q_E_NS1_11comp_targetILNS1_3genE0ELNS1_11target_archE4294967295ELNS1_3gpuE0ELNS1_3repE0EEENS1_30default_config_static_selectorELNS0_4arch9wavefront6targetE0EEEvS13_
    .private_segment_fixed_size: 0
    .sgpr_count:     0
    .sgpr_spill_count: 0
    .symbol:         _ZN7rocprim17ROCPRIM_400000_NS6detail17trampoline_kernelINS0_13select_configILj256ELj13ELNS0_17block_load_methodE3ELS4_3ELS4_3ELNS0_20block_scan_algorithmE0ELj4294967295EEENS1_25partition_config_selectorILNS1_17partition_subalgoE4EjNS0_10empty_typeEbEEZZNS1_14partition_implILS8_4ELb0ES6_15HIP_vector_typeIjLj2EENS0_17counting_iteratorIjlEEPS9_SG_NS0_5tupleIJPjSI_NS0_16reverse_iteratorISI_EEEEENSH_IJSG_SG_SG_EEES9_SI_JZNS1_25segmented_radix_sort_implINS0_14default_configELb1EPK12hip_bfloat16PSP_PKlPlN2at6native12_GLOBAL__N_18offset_tEEE10hipError_tPvRmT1_PNSt15iterator_traitsIS13_E10value_typeET2_T3_PNS14_IS19_E10value_typeET4_jRbjT5_S1F_jjP12ihipStream_tbEUljE_ZNSN_ISO_Lb1ESR_SS_SU_SV_SZ_EES10_S11_S12_S13_S17_S18_S19_S1C_S1D_jS1E_jS1F_S1F_jjS1H_bEUljE0_EEES10_S11_S12_S19_S1D_S1F_T6_T7_T9_mT8_S1H_bDpT10_ENKUlT_T0_E_clISt17integral_constantIbLb1EES1U_IbLb0EEEEDaS1Q_S1R_EUlS1Q_E_NS1_11comp_targetILNS1_3genE0ELNS1_11target_archE4294967295ELNS1_3gpuE0ELNS1_3repE0EEENS1_30default_config_static_selectorELNS0_4arch9wavefront6targetE0EEEvS13_.kd
    .uniform_work_group_size: 1
    .uses_dynamic_stack: false
    .vgpr_count:     0
    .vgpr_spill_count: 0
    .wavefront_size: 32
    .workgroup_processor_mode: 1
  - .args:
      - .offset:         0
        .size:           176
        .value_kind:     by_value
    .group_segment_fixed_size: 0
    .kernarg_segment_align: 8
    .kernarg_segment_size: 176
    .language:       OpenCL C
    .language_version:
      - 2
      - 0
    .max_flat_workgroup_size: 256
    .name:           _ZN7rocprim17ROCPRIM_400000_NS6detail17trampoline_kernelINS0_13select_configILj256ELj13ELNS0_17block_load_methodE3ELS4_3ELS4_3ELNS0_20block_scan_algorithmE0ELj4294967295EEENS1_25partition_config_selectorILNS1_17partition_subalgoE4EjNS0_10empty_typeEbEEZZNS1_14partition_implILS8_4ELb0ES6_15HIP_vector_typeIjLj2EENS0_17counting_iteratorIjlEEPS9_SG_NS0_5tupleIJPjSI_NS0_16reverse_iteratorISI_EEEEENSH_IJSG_SG_SG_EEES9_SI_JZNS1_25segmented_radix_sort_implINS0_14default_configELb1EPK12hip_bfloat16PSP_PKlPlN2at6native12_GLOBAL__N_18offset_tEEE10hipError_tPvRmT1_PNSt15iterator_traitsIS13_E10value_typeET2_T3_PNS14_IS19_E10value_typeET4_jRbjT5_S1F_jjP12ihipStream_tbEUljE_ZNSN_ISO_Lb1ESR_SS_SU_SV_SZ_EES10_S11_S12_S13_S17_S18_S19_S1C_S1D_jS1E_jS1F_S1F_jjS1H_bEUljE0_EEES10_S11_S12_S19_S1D_S1F_T6_T7_T9_mT8_S1H_bDpT10_ENKUlT_T0_E_clISt17integral_constantIbLb1EES1U_IbLb0EEEEDaS1Q_S1R_EUlS1Q_E_NS1_11comp_targetILNS1_3genE5ELNS1_11target_archE942ELNS1_3gpuE9ELNS1_3repE0EEENS1_30default_config_static_selectorELNS0_4arch9wavefront6targetE0EEEvS13_
    .private_segment_fixed_size: 0
    .sgpr_count:     0
    .sgpr_spill_count: 0
    .symbol:         _ZN7rocprim17ROCPRIM_400000_NS6detail17trampoline_kernelINS0_13select_configILj256ELj13ELNS0_17block_load_methodE3ELS4_3ELS4_3ELNS0_20block_scan_algorithmE0ELj4294967295EEENS1_25partition_config_selectorILNS1_17partition_subalgoE4EjNS0_10empty_typeEbEEZZNS1_14partition_implILS8_4ELb0ES6_15HIP_vector_typeIjLj2EENS0_17counting_iteratorIjlEEPS9_SG_NS0_5tupleIJPjSI_NS0_16reverse_iteratorISI_EEEEENSH_IJSG_SG_SG_EEES9_SI_JZNS1_25segmented_radix_sort_implINS0_14default_configELb1EPK12hip_bfloat16PSP_PKlPlN2at6native12_GLOBAL__N_18offset_tEEE10hipError_tPvRmT1_PNSt15iterator_traitsIS13_E10value_typeET2_T3_PNS14_IS19_E10value_typeET4_jRbjT5_S1F_jjP12ihipStream_tbEUljE_ZNSN_ISO_Lb1ESR_SS_SU_SV_SZ_EES10_S11_S12_S13_S17_S18_S19_S1C_S1D_jS1E_jS1F_S1F_jjS1H_bEUljE0_EEES10_S11_S12_S19_S1D_S1F_T6_T7_T9_mT8_S1H_bDpT10_ENKUlT_T0_E_clISt17integral_constantIbLb1EES1U_IbLb0EEEEDaS1Q_S1R_EUlS1Q_E_NS1_11comp_targetILNS1_3genE5ELNS1_11target_archE942ELNS1_3gpuE9ELNS1_3repE0EEENS1_30default_config_static_selectorELNS0_4arch9wavefront6targetE0EEEvS13_.kd
    .uniform_work_group_size: 1
    .uses_dynamic_stack: false
    .vgpr_count:     0
    .vgpr_spill_count: 0
    .wavefront_size: 32
    .workgroup_processor_mode: 1
  - .args:
      - .offset:         0
        .size:           176
        .value_kind:     by_value
    .group_segment_fixed_size: 0
    .kernarg_segment_align: 8
    .kernarg_segment_size: 176
    .language:       OpenCL C
    .language_version:
      - 2
      - 0
    .max_flat_workgroup_size: 256
    .name:           _ZN7rocprim17ROCPRIM_400000_NS6detail17trampoline_kernelINS0_13select_configILj256ELj13ELNS0_17block_load_methodE3ELS4_3ELS4_3ELNS0_20block_scan_algorithmE0ELj4294967295EEENS1_25partition_config_selectorILNS1_17partition_subalgoE4EjNS0_10empty_typeEbEEZZNS1_14partition_implILS8_4ELb0ES6_15HIP_vector_typeIjLj2EENS0_17counting_iteratorIjlEEPS9_SG_NS0_5tupleIJPjSI_NS0_16reverse_iteratorISI_EEEEENSH_IJSG_SG_SG_EEES9_SI_JZNS1_25segmented_radix_sort_implINS0_14default_configELb1EPK12hip_bfloat16PSP_PKlPlN2at6native12_GLOBAL__N_18offset_tEEE10hipError_tPvRmT1_PNSt15iterator_traitsIS13_E10value_typeET2_T3_PNS14_IS19_E10value_typeET4_jRbjT5_S1F_jjP12ihipStream_tbEUljE_ZNSN_ISO_Lb1ESR_SS_SU_SV_SZ_EES10_S11_S12_S13_S17_S18_S19_S1C_S1D_jS1E_jS1F_S1F_jjS1H_bEUljE0_EEES10_S11_S12_S19_S1D_S1F_T6_T7_T9_mT8_S1H_bDpT10_ENKUlT_T0_E_clISt17integral_constantIbLb1EES1U_IbLb0EEEEDaS1Q_S1R_EUlS1Q_E_NS1_11comp_targetILNS1_3genE4ELNS1_11target_archE910ELNS1_3gpuE8ELNS1_3repE0EEENS1_30default_config_static_selectorELNS0_4arch9wavefront6targetE0EEEvS13_
    .private_segment_fixed_size: 0
    .sgpr_count:     0
    .sgpr_spill_count: 0
    .symbol:         _ZN7rocprim17ROCPRIM_400000_NS6detail17trampoline_kernelINS0_13select_configILj256ELj13ELNS0_17block_load_methodE3ELS4_3ELS4_3ELNS0_20block_scan_algorithmE0ELj4294967295EEENS1_25partition_config_selectorILNS1_17partition_subalgoE4EjNS0_10empty_typeEbEEZZNS1_14partition_implILS8_4ELb0ES6_15HIP_vector_typeIjLj2EENS0_17counting_iteratorIjlEEPS9_SG_NS0_5tupleIJPjSI_NS0_16reverse_iteratorISI_EEEEENSH_IJSG_SG_SG_EEES9_SI_JZNS1_25segmented_radix_sort_implINS0_14default_configELb1EPK12hip_bfloat16PSP_PKlPlN2at6native12_GLOBAL__N_18offset_tEEE10hipError_tPvRmT1_PNSt15iterator_traitsIS13_E10value_typeET2_T3_PNS14_IS19_E10value_typeET4_jRbjT5_S1F_jjP12ihipStream_tbEUljE_ZNSN_ISO_Lb1ESR_SS_SU_SV_SZ_EES10_S11_S12_S13_S17_S18_S19_S1C_S1D_jS1E_jS1F_S1F_jjS1H_bEUljE0_EEES10_S11_S12_S19_S1D_S1F_T6_T7_T9_mT8_S1H_bDpT10_ENKUlT_T0_E_clISt17integral_constantIbLb1EES1U_IbLb0EEEEDaS1Q_S1R_EUlS1Q_E_NS1_11comp_targetILNS1_3genE4ELNS1_11target_archE910ELNS1_3gpuE8ELNS1_3repE0EEENS1_30default_config_static_selectorELNS0_4arch9wavefront6targetE0EEEvS13_.kd
    .uniform_work_group_size: 1
    .uses_dynamic_stack: false
    .vgpr_count:     0
    .vgpr_spill_count: 0
    .wavefront_size: 32
    .workgroup_processor_mode: 1
  - .args:
      - .offset:         0
        .size:           176
        .value_kind:     by_value
    .group_segment_fixed_size: 0
    .kernarg_segment_align: 8
    .kernarg_segment_size: 176
    .language:       OpenCL C
    .language_version:
      - 2
      - 0
    .max_flat_workgroup_size: 256
    .name:           _ZN7rocprim17ROCPRIM_400000_NS6detail17trampoline_kernelINS0_13select_configILj256ELj13ELNS0_17block_load_methodE3ELS4_3ELS4_3ELNS0_20block_scan_algorithmE0ELj4294967295EEENS1_25partition_config_selectorILNS1_17partition_subalgoE4EjNS0_10empty_typeEbEEZZNS1_14partition_implILS8_4ELb0ES6_15HIP_vector_typeIjLj2EENS0_17counting_iteratorIjlEEPS9_SG_NS0_5tupleIJPjSI_NS0_16reverse_iteratorISI_EEEEENSH_IJSG_SG_SG_EEES9_SI_JZNS1_25segmented_radix_sort_implINS0_14default_configELb1EPK12hip_bfloat16PSP_PKlPlN2at6native12_GLOBAL__N_18offset_tEEE10hipError_tPvRmT1_PNSt15iterator_traitsIS13_E10value_typeET2_T3_PNS14_IS19_E10value_typeET4_jRbjT5_S1F_jjP12ihipStream_tbEUljE_ZNSN_ISO_Lb1ESR_SS_SU_SV_SZ_EES10_S11_S12_S13_S17_S18_S19_S1C_S1D_jS1E_jS1F_S1F_jjS1H_bEUljE0_EEES10_S11_S12_S19_S1D_S1F_T6_T7_T9_mT8_S1H_bDpT10_ENKUlT_T0_E_clISt17integral_constantIbLb1EES1U_IbLb0EEEEDaS1Q_S1R_EUlS1Q_E_NS1_11comp_targetILNS1_3genE3ELNS1_11target_archE908ELNS1_3gpuE7ELNS1_3repE0EEENS1_30default_config_static_selectorELNS0_4arch9wavefront6targetE0EEEvS13_
    .private_segment_fixed_size: 0
    .sgpr_count:     0
    .sgpr_spill_count: 0
    .symbol:         _ZN7rocprim17ROCPRIM_400000_NS6detail17trampoline_kernelINS0_13select_configILj256ELj13ELNS0_17block_load_methodE3ELS4_3ELS4_3ELNS0_20block_scan_algorithmE0ELj4294967295EEENS1_25partition_config_selectorILNS1_17partition_subalgoE4EjNS0_10empty_typeEbEEZZNS1_14partition_implILS8_4ELb0ES6_15HIP_vector_typeIjLj2EENS0_17counting_iteratorIjlEEPS9_SG_NS0_5tupleIJPjSI_NS0_16reverse_iteratorISI_EEEEENSH_IJSG_SG_SG_EEES9_SI_JZNS1_25segmented_radix_sort_implINS0_14default_configELb1EPK12hip_bfloat16PSP_PKlPlN2at6native12_GLOBAL__N_18offset_tEEE10hipError_tPvRmT1_PNSt15iterator_traitsIS13_E10value_typeET2_T3_PNS14_IS19_E10value_typeET4_jRbjT5_S1F_jjP12ihipStream_tbEUljE_ZNSN_ISO_Lb1ESR_SS_SU_SV_SZ_EES10_S11_S12_S13_S17_S18_S19_S1C_S1D_jS1E_jS1F_S1F_jjS1H_bEUljE0_EEES10_S11_S12_S19_S1D_S1F_T6_T7_T9_mT8_S1H_bDpT10_ENKUlT_T0_E_clISt17integral_constantIbLb1EES1U_IbLb0EEEEDaS1Q_S1R_EUlS1Q_E_NS1_11comp_targetILNS1_3genE3ELNS1_11target_archE908ELNS1_3gpuE7ELNS1_3repE0EEENS1_30default_config_static_selectorELNS0_4arch9wavefront6targetE0EEEvS13_.kd
    .uniform_work_group_size: 1
    .uses_dynamic_stack: false
    .vgpr_count:     0
    .vgpr_spill_count: 0
    .wavefront_size: 32
    .workgroup_processor_mode: 1
  - .args:
      - .offset:         0
        .size:           176
        .value_kind:     by_value
    .group_segment_fixed_size: 0
    .kernarg_segment_align: 8
    .kernarg_segment_size: 176
    .language:       OpenCL C
    .language_version:
      - 2
      - 0
    .max_flat_workgroup_size: 256
    .name:           _ZN7rocprim17ROCPRIM_400000_NS6detail17trampoline_kernelINS0_13select_configILj256ELj13ELNS0_17block_load_methodE3ELS4_3ELS4_3ELNS0_20block_scan_algorithmE0ELj4294967295EEENS1_25partition_config_selectorILNS1_17partition_subalgoE4EjNS0_10empty_typeEbEEZZNS1_14partition_implILS8_4ELb0ES6_15HIP_vector_typeIjLj2EENS0_17counting_iteratorIjlEEPS9_SG_NS0_5tupleIJPjSI_NS0_16reverse_iteratorISI_EEEEENSH_IJSG_SG_SG_EEES9_SI_JZNS1_25segmented_radix_sort_implINS0_14default_configELb1EPK12hip_bfloat16PSP_PKlPlN2at6native12_GLOBAL__N_18offset_tEEE10hipError_tPvRmT1_PNSt15iterator_traitsIS13_E10value_typeET2_T3_PNS14_IS19_E10value_typeET4_jRbjT5_S1F_jjP12ihipStream_tbEUljE_ZNSN_ISO_Lb1ESR_SS_SU_SV_SZ_EES10_S11_S12_S13_S17_S18_S19_S1C_S1D_jS1E_jS1F_S1F_jjS1H_bEUljE0_EEES10_S11_S12_S19_S1D_S1F_T6_T7_T9_mT8_S1H_bDpT10_ENKUlT_T0_E_clISt17integral_constantIbLb1EES1U_IbLb0EEEEDaS1Q_S1R_EUlS1Q_E_NS1_11comp_targetILNS1_3genE2ELNS1_11target_archE906ELNS1_3gpuE6ELNS1_3repE0EEENS1_30default_config_static_selectorELNS0_4arch9wavefront6targetE0EEEvS13_
    .private_segment_fixed_size: 0
    .sgpr_count:     0
    .sgpr_spill_count: 0
    .symbol:         _ZN7rocprim17ROCPRIM_400000_NS6detail17trampoline_kernelINS0_13select_configILj256ELj13ELNS0_17block_load_methodE3ELS4_3ELS4_3ELNS0_20block_scan_algorithmE0ELj4294967295EEENS1_25partition_config_selectorILNS1_17partition_subalgoE4EjNS0_10empty_typeEbEEZZNS1_14partition_implILS8_4ELb0ES6_15HIP_vector_typeIjLj2EENS0_17counting_iteratorIjlEEPS9_SG_NS0_5tupleIJPjSI_NS0_16reverse_iteratorISI_EEEEENSH_IJSG_SG_SG_EEES9_SI_JZNS1_25segmented_radix_sort_implINS0_14default_configELb1EPK12hip_bfloat16PSP_PKlPlN2at6native12_GLOBAL__N_18offset_tEEE10hipError_tPvRmT1_PNSt15iterator_traitsIS13_E10value_typeET2_T3_PNS14_IS19_E10value_typeET4_jRbjT5_S1F_jjP12ihipStream_tbEUljE_ZNSN_ISO_Lb1ESR_SS_SU_SV_SZ_EES10_S11_S12_S13_S17_S18_S19_S1C_S1D_jS1E_jS1F_S1F_jjS1H_bEUljE0_EEES10_S11_S12_S19_S1D_S1F_T6_T7_T9_mT8_S1H_bDpT10_ENKUlT_T0_E_clISt17integral_constantIbLb1EES1U_IbLb0EEEEDaS1Q_S1R_EUlS1Q_E_NS1_11comp_targetILNS1_3genE2ELNS1_11target_archE906ELNS1_3gpuE6ELNS1_3repE0EEENS1_30default_config_static_selectorELNS0_4arch9wavefront6targetE0EEEvS13_.kd
    .uniform_work_group_size: 1
    .uses_dynamic_stack: false
    .vgpr_count:     0
    .vgpr_spill_count: 0
    .wavefront_size: 32
    .workgroup_processor_mode: 1
  - .args:
      - .offset:         0
        .size:           176
        .value_kind:     by_value
    .group_segment_fixed_size: 0
    .kernarg_segment_align: 8
    .kernarg_segment_size: 176
    .language:       OpenCL C
    .language_version:
      - 2
      - 0
    .max_flat_workgroup_size: 256
    .name:           _ZN7rocprim17ROCPRIM_400000_NS6detail17trampoline_kernelINS0_13select_configILj256ELj13ELNS0_17block_load_methodE3ELS4_3ELS4_3ELNS0_20block_scan_algorithmE0ELj4294967295EEENS1_25partition_config_selectorILNS1_17partition_subalgoE4EjNS0_10empty_typeEbEEZZNS1_14partition_implILS8_4ELb0ES6_15HIP_vector_typeIjLj2EENS0_17counting_iteratorIjlEEPS9_SG_NS0_5tupleIJPjSI_NS0_16reverse_iteratorISI_EEEEENSH_IJSG_SG_SG_EEES9_SI_JZNS1_25segmented_radix_sort_implINS0_14default_configELb1EPK12hip_bfloat16PSP_PKlPlN2at6native12_GLOBAL__N_18offset_tEEE10hipError_tPvRmT1_PNSt15iterator_traitsIS13_E10value_typeET2_T3_PNS14_IS19_E10value_typeET4_jRbjT5_S1F_jjP12ihipStream_tbEUljE_ZNSN_ISO_Lb1ESR_SS_SU_SV_SZ_EES10_S11_S12_S13_S17_S18_S19_S1C_S1D_jS1E_jS1F_S1F_jjS1H_bEUljE0_EEES10_S11_S12_S19_S1D_S1F_T6_T7_T9_mT8_S1H_bDpT10_ENKUlT_T0_E_clISt17integral_constantIbLb1EES1U_IbLb0EEEEDaS1Q_S1R_EUlS1Q_E_NS1_11comp_targetILNS1_3genE10ELNS1_11target_archE1200ELNS1_3gpuE4ELNS1_3repE0EEENS1_30default_config_static_selectorELNS0_4arch9wavefront6targetE0EEEvS13_
    .private_segment_fixed_size: 0
    .sgpr_count:     0
    .sgpr_spill_count: 0
    .symbol:         _ZN7rocprim17ROCPRIM_400000_NS6detail17trampoline_kernelINS0_13select_configILj256ELj13ELNS0_17block_load_methodE3ELS4_3ELS4_3ELNS0_20block_scan_algorithmE0ELj4294967295EEENS1_25partition_config_selectorILNS1_17partition_subalgoE4EjNS0_10empty_typeEbEEZZNS1_14partition_implILS8_4ELb0ES6_15HIP_vector_typeIjLj2EENS0_17counting_iteratorIjlEEPS9_SG_NS0_5tupleIJPjSI_NS0_16reverse_iteratorISI_EEEEENSH_IJSG_SG_SG_EEES9_SI_JZNS1_25segmented_radix_sort_implINS0_14default_configELb1EPK12hip_bfloat16PSP_PKlPlN2at6native12_GLOBAL__N_18offset_tEEE10hipError_tPvRmT1_PNSt15iterator_traitsIS13_E10value_typeET2_T3_PNS14_IS19_E10value_typeET4_jRbjT5_S1F_jjP12ihipStream_tbEUljE_ZNSN_ISO_Lb1ESR_SS_SU_SV_SZ_EES10_S11_S12_S13_S17_S18_S19_S1C_S1D_jS1E_jS1F_S1F_jjS1H_bEUljE0_EEES10_S11_S12_S19_S1D_S1F_T6_T7_T9_mT8_S1H_bDpT10_ENKUlT_T0_E_clISt17integral_constantIbLb1EES1U_IbLb0EEEEDaS1Q_S1R_EUlS1Q_E_NS1_11comp_targetILNS1_3genE10ELNS1_11target_archE1200ELNS1_3gpuE4ELNS1_3repE0EEENS1_30default_config_static_selectorELNS0_4arch9wavefront6targetE0EEEvS13_.kd
    .uniform_work_group_size: 1
    .uses_dynamic_stack: false
    .vgpr_count:     0
    .vgpr_spill_count: 0
    .wavefront_size: 32
    .workgroup_processor_mode: 1
  - .args:
      - .offset:         0
        .size:           176
        .value_kind:     by_value
    .group_segment_fixed_size: 13340
    .kernarg_segment_align: 8
    .kernarg_segment_size: 176
    .language:       OpenCL C
    .language_version:
      - 2
      - 0
    .max_flat_workgroup_size: 256
    .name:           _ZN7rocprim17ROCPRIM_400000_NS6detail17trampoline_kernelINS0_13select_configILj256ELj13ELNS0_17block_load_methodE3ELS4_3ELS4_3ELNS0_20block_scan_algorithmE0ELj4294967295EEENS1_25partition_config_selectorILNS1_17partition_subalgoE4EjNS0_10empty_typeEbEEZZNS1_14partition_implILS8_4ELb0ES6_15HIP_vector_typeIjLj2EENS0_17counting_iteratorIjlEEPS9_SG_NS0_5tupleIJPjSI_NS0_16reverse_iteratorISI_EEEEENSH_IJSG_SG_SG_EEES9_SI_JZNS1_25segmented_radix_sort_implINS0_14default_configELb1EPK12hip_bfloat16PSP_PKlPlN2at6native12_GLOBAL__N_18offset_tEEE10hipError_tPvRmT1_PNSt15iterator_traitsIS13_E10value_typeET2_T3_PNS14_IS19_E10value_typeET4_jRbjT5_S1F_jjP12ihipStream_tbEUljE_ZNSN_ISO_Lb1ESR_SS_SU_SV_SZ_EES10_S11_S12_S13_S17_S18_S19_S1C_S1D_jS1E_jS1F_S1F_jjS1H_bEUljE0_EEES10_S11_S12_S19_S1D_S1F_T6_T7_T9_mT8_S1H_bDpT10_ENKUlT_T0_E_clISt17integral_constantIbLb1EES1U_IbLb0EEEEDaS1Q_S1R_EUlS1Q_E_NS1_11comp_targetILNS1_3genE9ELNS1_11target_archE1100ELNS1_3gpuE3ELNS1_3repE0EEENS1_30default_config_static_selectorELNS0_4arch9wavefront6targetE0EEEvS13_
    .private_segment_fixed_size: 0
    .sgpr_count:     61
    .sgpr_spill_count: 0
    .symbol:         _ZN7rocprim17ROCPRIM_400000_NS6detail17trampoline_kernelINS0_13select_configILj256ELj13ELNS0_17block_load_methodE3ELS4_3ELS4_3ELNS0_20block_scan_algorithmE0ELj4294967295EEENS1_25partition_config_selectorILNS1_17partition_subalgoE4EjNS0_10empty_typeEbEEZZNS1_14partition_implILS8_4ELb0ES6_15HIP_vector_typeIjLj2EENS0_17counting_iteratorIjlEEPS9_SG_NS0_5tupleIJPjSI_NS0_16reverse_iteratorISI_EEEEENSH_IJSG_SG_SG_EEES9_SI_JZNS1_25segmented_radix_sort_implINS0_14default_configELb1EPK12hip_bfloat16PSP_PKlPlN2at6native12_GLOBAL__N_18offset_tEEE10hipError_tPvRmT1_PNSt15iterator_traitsIS13_E10value_typeET2_T3_PNS14_IS19_E10value_typeET4_jRbjT5_S1F_jjP12ihipStream_tbEUljE_ZNSN_ISO_Lb1ESR_SS_SU_SV_SZ_EES10_S11_S12_S13_S17_S18_S19_S1C_S1D_jS1E_jS1F_S1F_jjS1H_bEUljE0_EEES10_S11_S12_S19_S1D_S1F_T6_T7_T9_mT8_S1H_bDpT10_ENKUlT_T0_E_clISt17integral_constantIbLb1EES1U_IbLb0EEEEDaS1Q_S1R_EUlS1Q_E_NS1_11comp_targetILNS1_3genE9ELNS1_11target_archE1100ELNS1_3gpuE3ELNS1_3repE0EEENS1_30default_config_static_selectorELNS0_4arch9wavefront6targetE0EEEvS13_.kd
    .uniform_work_group_size: 1
    .uses_dynamic_stack: false
    .vgpr_count:     98
    .vgpr_spill_count: 0
    .wavefront_size: 32
    .workgroup_processor_mode: 1
  - .args:
      - .offset:         0
        .size:           176
        .value_kind:     by_value
    .group_segment_fixed_size: 0
    .kernarg_segment_align: 8
    .kernarg_segment_size: 176
    .language:       OpenCL C
    .language_version:
      - 2
      - 0
    .max_flat_workgroup_size: 256
    .name:           _ZN7rocprim17ROCPRIM_400000_NS6detail17trampoline_kernelINS0_13select_configILj256ELj13ELNS0_17block_load_methodE3ELS4_3ELS4_3ELNS0_20block_scan_algorithmE0ELj4294967295EEENS1_25partition_config_selectorILNS1_17partition_subalgoE4EjNS0_10empty_typeEbEEZZNS1_14partition_implILS8_4ELb0ES6_15HIP_vector_typeIjLj2EENS0_17counting_iteratorIjlEEPS9_SG_NS0_5tupleIJPjSI_NS0_16reverse_iteratorISI_EEEEENSH_IJSG_SG_SG_EEES9_SI_JZNS1_25segmented_radix_sort_implINS0_14default_configELb1EPK12hip_bfloat16PSP_PKlPlN2at6native12_GLOBAL__N_18offset_tEEE10hipError_tPvRmT1_PNSt15iterator_traitsIS13_E10value_typeET2_T3_PNS14_IS19_E10value_typeET4_jRbjT5_S1F_jjP12ihipStream_tbEUljE_ZNSN_ISO_Lb1ESR_SS_SU_SV_SZ_EES10_S11_S12_S13_S17_S18_S19_S1C_S1D_jS1E_jS1F_S1F_jjS1H_bEUljE0_EEES10_S11_S12_S19_S1D_S1F_T6_T7_T9_mT8_S1H_bDpT10_ENKUlT_T0_E_clISt17integral_constantIbLb1EES1U_IbLb0EEEEDaS1Q_S1R_EUlS1Q_E_NS1_11comp_targetILNS1_3genE8ELNS1_11target_archE1030ELNS1_3gpuE2ELNS1_3repE0EEENS1_30default_config_static_selectorELNS0_4arch9wavefront6targetE0EEEvS13_
    .private_segment_fixed_size: 0
    .sgpr_count:     0
    .sgpr_spill_count: 0
    .symbol:         _ZN7rocprim17ROCPRIM_400000_NS6detail17trampoline_kernelINS0_13select_configILj256ELj13ELNS0_17block_load_methodE3ELS4_3ELS4_3ELNS0_20block_scan_algorithmE0ELj4294967295EEENS1_25partition_config_selectorILNS1_17partition_subalgoE4EjNS0_10empty_typeEbEEZZNS1_14partition_implILS8_4ELb0ES6_15HIP_vector_typeIjLj2EENS0_17counting_iteratorIjlEEPS9_SG_NS0_5tupleIJPjSI_NS0_16reverse_iteratorISI_EEEEENSH_IJSG_SG_SG_EEES9_SI_JZNS1_25segmented_radix_sort_implINS0_14default_configELb1EPK12hip_bfloat16PSP_PKlPlN2at6native12_GLOBAL__N_18offset_tEEE10hipError_tPvRmT1_PNSt15iterator_traitsIS13_E10value_typeET2_T3_PNS14_IS19_E10value_typeET4_jRbjT5_S1F_jjP12ihipStream_tbEUljE_ZNSN_ISO_Lb1ESR_SS_SU_SV_SZ_EES10_S11_S12_S13_S17_S18_S19_S1C_S1D_jS1E_jS1F_S1F_jjS1H_bEUljE0_EEES10_S11_S12_S19_S1D_S1F_T6_T7_T9_mT8_S1H_bDpT10_ENKUlT_T0_E_clISt17integral_constantIbLb1EES1U_IbLb0EEEEDaS1Q_S1R_EUlS1Q_E_NS1_11comp_targetILNS1_3genE8ELNS1_11target_archE1030ELNS1_3gpuE2ELNS1_3repE0EEENS1_30default_config_static_selectorELNS0_4arch9wavefront6targetE0EEEvS13_.kd
    .uniform_work_group_size: 1
    .uses_dynamic_stack: false
    .vgpr_count:     0
    .vgpr_spill_count: 0
    .wavefront_size: 32
    .workgroup_processor_mode: 1
  - .args:
      - .offset:         0
        .size:           184
        .value_kind:     by_value
    .group_segment_fixed_size: 0
    .kernarg_segment_align: 8
    .kernarg_segment_size: 184
    .language:       OpenCL C
    .language_version:
      - 2
      - 0
    .max_flat_workgroup_size: 256
    .name:           _ZN7rocprim17ROCPRIM_400000_NS6detail17trampoline_kernelINS0_13select_configILj256ELj13ELNS0_17block_load_methodE3ELS4_3ELS4_3ELNS0_20block_scan_algorithmE0ELj4294967295EEENS1_25partition_config_selectorILNS1_17partition_subalgoE4EjNS0_10empty_typeEbEEZZNS1_14partition_implILS8_4ELb0ES6_15HIP_vector_typeIjLj2EENS0_17counting_iteratorIjlEEPS9_SG_NS0_5tupleIJPjSI_NS0_16reverse_iteratorISI_EEEEENSH_IJSG_SG_SG_EEES9_SI_JZNS1_25segmented_radix_sort_implINS0_14default_configELb1EPK12hip_bfloat16PSP_PKlPlN2at6native12_GLOBAL__N_18offset_tEEE10hipError_tPvRmT1_PNSt15iterator_traitsIS13_E10value_typeET2_T3_PNS14_IS19_E10value_typeET4_jRbjT5_S1F_jjP12ihipStream_tbEUljE_ZNSN_ISO_Lb1ESR_SS_SU_SV_SZ_EES10_S11_S12_S13_S17_S18_S19_S1C_S1D_jS1E_jS1F_S1F_jjS1H_bEUljE0_EEES10_S11_S12_S19_S1D_S1F_T6_T7_T9_mT8_S1H_bDpT10_ENKUlT_T0_E_clISt17integral_constantIbLb0EES1U_IbLb1EEEEDaS1Q_S1R_EUlS1Q_E_NS1_11comp_targetILNS1_3genE0ELNS1_11target_archE4294967295ELNS1_3gpuE0ELNS1_3repE0EEENS1_30default_config_static_selectorELNS0_4arch9wavefront6targetE0EEEvS13_
    .private_segment_fixed_size: 0
    .sgpr_count:     0
    .sgpr_spill_count: 0
    .symbol:         _ZN7rocprim17ROCPRIM_400000_NS6detail17trampoline_kernelINS0_13select_configILj256ELj13ELNS0_17block_load_methodE3ELS4_3ELS4_3ELNS0_20block_scan_algorithmE0ELj4294967295EEENS1_25partition_config_selectorILNS1_17partition_subalgoE4EjNS0_10empty_typeEbEEZZNS1_14partition_implILS8_4ELb0ES6_15HIP_vector_typeIjLj2EENS0_17counting_iteratorIjlEEPS9_SG_NS0_5tupleIJPjSI_NS0_16reverse_iteratorISI_EEEEENSH_IJSG_SG_SG_EEES9_SI_JZNS1_25segmented_radix_sort_implINS0_14default_configELb1EPK12hip_bfloat16PSP_PKlPlN2at6native12_GLOBAL__N_18offset_tEEE10hipError_tPvRmT1_PNSt15iterator_traitsIS13_E10value_typeET2_T3_PNS14_IS19_E10value_typeET4_jRbjT5_S1F_jjP12ihipStream_tbEUljE_ZNSN_ISO_Lb1ESR_SS_SU_SV_SZ_EES10_S11_S12_S13_S17_S18_S19_S1C_S1D_jS1E_jS1F_S1F_jjS1H_bEUljE0_EEES10_S11_S12_S19_S1D_S1F_T6_T7_T9_mT8_S1H_bDpT10_ENKUlT_T0_E_clISt17integral_constantIbLb0EES1U_IbLb1EEEEDaS1Q_S1R_EUlS1Q_E_NS1_11comp_targetILNS1_3genE0ELNS1_11target_archE4294967295ELNS1_3gpuE0ELNS1_3repE0EEENS1_30default_config_static_selectorELNS0_4arch9wavefront6targetE0EEEvS13_.kd
    .uniform_work_group_size: 1
    .uses_dynamic_stack: false
    .vgpr_count:     0
    .vgpr_spill_count: 0
    .wavefront_size: 32
    .workgroup_processor_mode: 1
  - .args:
      - .offset:         0
        .size:           184
        .value_kind:     by_value
    .group_segment_fixed_size: 0
    .kernarg_segment_align: 8
    .kernarg_segment_size: 184
    .language:       OpenCL C
    .language_version:
      - 2
      - 0
    .max_flat_workgroup_size: 256
    .name:           _ZN7rocprim17ROCPRIM_400000_NS6detail17trampoline_kernelINS0_13select_configILj256ELj13ELNS0_17block_load_methodE3ELS4_3ELS4_3ELNS0_20block_scan_algorithmE0ELj4294967295EEENS1_25partition_config_selectorILNS1_17partition_subalgoE4EjNS0_10empty_typeEbEEZZNS1_14partition_implILS8_4ELb0ES6_15HIP_vector_typeIjLj2EENS0_17counting_iteratorIjlEEPS9_SG_NS0_5tupleIJPjSI_NS0_16reverse_iteratorISI_EEEEENSH_IJSG_SG_SG_EEES9_SI_JZNS1_25segmented_radix_sort_implINS0_14default_configELb1EPK12hip_bfloat16PSP_PKlPlN2at6native12_GLOBAL__N_18offset_tEEE10hipError_tPvRmT1_PNSt15iterator_traitsIS13_E10value_typeET2_T3_PNS14_IS19_E10value_typeET4_jRbjT5_S1F_jjP12ihipStream_tbEUljE_ZNSN_ISO_Lb1ESR_SS_SU_SV_SZ_EES10_S11_S12_S13_S17_S18_S19_S1C_S1D_jS1E_jS1F_S1F_jjS1H_bEUljE0_EEES10_S11_S12_S19_S1D_S1F_T6_T7_T9_mT8_S1H_bDpT10_ENKUlT_T0_E_clISt17integral_constantIbLb0EES1U_IbLb1EEEEDaS1Q_S1R_EUlS1Q_E_NS1_11comp_targetILNS1_3genE5ELNS1_11target_archE942ELNS1_3gpuE9ELNS1_3repE0EEENS1_30default_config_static_selectorELNS0_4arch9wavefront6targetE0EEEvS13_
    .private_segment_fixed_size: 0
    .sgpr_count:     0
    .sgpr_spill_count: 0
    .symbol:         _ZN7rocprim17ROCPRIM_400000_NS6detail17trampoline_kernelINS0_13select_configILj256ELj13ELNS0_17block_load_methodE3ELS4_3ELS4_3ELNS0_20block_scan_algorithmE0ELj4294967295EEENS1_25partition_config_selectorILNS1_17partition_subalgoE4EjNS0_10empty_typeEbEEZZNS1_14partition_implILS8_4ELb0ES6_15HIP_vector_typeIjLj2EENS0_17counting_iteratorIjlEEPS9_SG_NS0_5tupleIJPjSI_NS0_16reverse_iteratorISI_EEEEENSH_IJSG_SG_SG_EEES9_SI_JZNS1_25segmented_radix_sort_implINS0_14default_configELb1EPK12hip_bfloat16PSP_PKlPlN2at6native12_GLOBAL__N_18offset_tEEE10hipError_tPvRmT1_PNSt15iterator_traitsIS13_E10value_typeET2_T3_PNS14_IS19_E10value_typeET4_jRbjT5_S1F_jjP12ihipStream_tbEUljE_ZNSN_ISO_Lb1ESR_SS_SU_SV_SZ_EES10_S11_S12_S13_S17_S18_S19_S1C_S1D_jS1E_jS1F_S1F_jjS1H_bEUljE0_EEES10_S11_S12_S19_S1D_S1F_T6_T7_T9_mT8_S1H_bDpT10_ENKUlT_T0_E_clISt17integral_constantIbLb0EES1U_IbLb1EEEEDaS1Q_S1R_EUlS1Q_E_NS1_11comp_targetILNS1_3genE5ELNS1_11target_archE942ELNS1_3gpuE9ELNS1_3repE0EEENS1_30default_config_static_selectorELNS0_4arch9wavefront6targetE0EEEvS13_.kd
    .uniform_work_group_size: 1
    .uses_dynamic_stack: false
    .vgpr_count:     0
    .vgpr_spill_count: 0
    .wavefront_size: 32
    .workgroup_processor_mode: 1
  - .args:
      - .offset:         0
        .size:           184
        .value_kind:     by_value
    .group_segment_fixed_size: 0
    .kernarg_segment_align: 8
    .kernarg_segment_size: 184
    .language:       OpenCL C
    .language_version:
      - 2
      - 0
    .max_flat_workgroup_size: 256
    .name:           _ZN7rocprim17ROCPRIM_400000_NS6detail17trampoline_kernelINS0_13select_configILj256ELj13ELNS0_17block_load_methodE3ELS4_3ELS4_3ELNS0_20block_scan_algorithmE0ELj4294967295EEENS1_25partition_config_selectorILNS1_17partition_subalgoE4EjNS0_10empty_typeEbEEZZNS1_14partition_implILS8_4ELb0ES6_15HIP_vector_typeIjLj2EENS0_17counting_iteratorIjlEEPS9_SG_NS0_5tupleIJPjSI_NS0_16reverse_iteratorISI_EEEEENSH_IJSG_SG_SG_EEES9_SI_JZNS1_25segmented_radix_sort_implINS0_14default_configELb1EPK12hip_bfloat16PSP_PKlPlN2at6native12_GLOBAL__N_18offset_tEEE10hipError_tPvRmT1_PNSt15iterator_traitsIS13_E10value_typeET2_T3_PNS14_IS19_E10value_typeET4_jRbjT5_S1F_jjP12ihipStream_tbEUljE_ZNSN_ISO_Lb1ESR_SS_SU_SV_SZ_EES10_S11_S12_S13_S17_S18_S19_S1C_S1D_jS1E_jS1F_S1F_jjS1H_bEUljE0_EEES10_S11_S12_S19_S1D_S1F_T6_T7_T9_mT8_S1H_bDpT10_ENKUlT_T0_E_clISt17integral_constantIbLb0EES1U_IbLb1EEEEDaS1Q_S1R_EUlS1Q_E_NS1_11comp_targetILNS1_3genE4ELNS1_11target_archE910ELNS1_3gpuE8ELNS1_3repE0EEENS1_30default_config_static_selectorELNS0_4arch9wavefront6targetE0EEEvS13_
    .private_segment_fixed_size: 0
    .sgpr_count:     0
    .sgpr_spill_count: 0
    .symbol:         _ZN7rocprim17ROCPRIM_400000_NS6detail17trampoline_kernelINS0_13select_configILj256ELj13ELNS0_17block_load_methodE3ELS4_3ELS4_3ELNS0_20block_scan_algorithmE0ELj4294967295EEENS1_25partition_config_selectorILNS1_17partition_subalgoE4EjNS0_10empty_typeEbEEZZNS1_14partition_implILS8_4ELb0ES6_15HIP_vector_typeIjLj2EENS0_17counting_iteratorIjlEEPS9_SG_NS0_5tupleIJPjSI_NS0_16reverse_iteratorISI_EEEEENSH_IJSG_SG_SG_EEES9_SI_JZNS1_25segmented_radix_sort_implINS0_14default_configELb1EPK12hip_bfloat16PSP_PKlPlN2at6native12_GLOBAL__N_18offset_tEEE10hipError_tPvRmT1_PNSt15iterator_traitsIS13_E10value_typeET2_T3_PNS14_IS19_E10value_typeET4_jRbjT5_S1F_jjP12ihipStream_tbEUljE_ZNSN_ISO_Lb1ESR_SS_SU_SV_SZ_EES10_S11_S12_S13_S17_S18_S19_S1C_S1D_jS1E_jS1F_S1F_jjS1H_bEUljE0_EEES10_S11_S12_S19_S1D_S1F_T6_T7_T9_mT8_S1H_bDpT10_ENKUlT_T0_E_clISt17integral_constantIbLb0EES1U_IbLb1EEEEDaS1Q_S1R_EUlS1Q_E_NS1_11comp_targetILNS1_3genE4ELNS1_11target_archE910ELNS1_3gpuE8ELNS1_3repE0EEENS1_30default_config_static_selectorELNS0_4arch9wavefront6targetE0EEEvS13_.kd
    .uniform_work_group_size: 1
    .uses_dynamic_stack: false
    .vgpr_count:     0
    .vgpr_spill_count: 0
    .wavefront_size: 32
    .workgroup_processor_mode: 1
  - .args:
      - .offset:         0
        .size:           184
        .value_kind:     by_value
    .group_segment_fixed_size: 0
    .kernarg_segment_align: 8
    .kernarg_segment_size: 184
    .language:       OpenCL C
    .language_version:
      - 2
      - 0
    .max_flat_workgroup_size: 256
    .name:           _ZN7rocprim17ROCPRIM_400000_NS6detail17trampoline_kernelINS0_13select_configILj256ELj13ELNS0_17block_load_methodE3ELS4_3ELS4_3ELNS0_20block_scan_algorithmE0ELj4294967295EEENS1_25partition_config_selectorILNS1_17partition_subalgoE4EjNS0_10empty_typeEbEEZZNS1_14partition_implILS8_4ELb0ES6_15HIP_vector_typeIjLj2EENS0_17counting_iteratorIjlEEPS9_SG_NS0_5tupleIJPjSI_NS0_16reverse_iteratorISI_EEEEENSH_IJSG_SG_SG_EEES9_SI_JZNS1_25segmented_radix_sort_implINS0_14default_configELb1EPK12hip_bfloat16PSP_PKlPlN2at6native12_GLOBAL__N_18offset_tEEE10hipError_tPvRmT1_PNSt15iterator_traitsIS13_E10value_typeET2_T3_PNS14_IS19_E10value_typeET4_jRbjT5_S1F_jjP12ihipStream_tbEUljE_ZNSN_ISO_Lb1ESR_SS_SU_SV_SZ_EES10_S11_S12_S13_S17_S18_S19_S1C_S1D_jS1E_jS1F_S1F_jjS1H_bEUljE0_EEES10_S11_S12_S19_S1D_S1F_T6_T7_T9_mT8_S1H_bDpT10_ENKUlT_T0_E_clISt17integral_constantIbLb0EES1U_IbLb1EEEEDaS1Q_S1R_EUlS1Q_E_NS1_11comp_targetILNS1_3genE3ELNS1_11target_archE908ELNS1_3gpuE7ELNS1_3repE0EEENS1_30default_config_static_selectorELNS0_4arch9wavefront6targetE0EEEvS13_
    .private_segment_fixed_size: 0
    .sgpr_count:     0
    .sgpr_spill_count: 0
    .symbol:         _ZN7rocprim17ROCPRIM_400000_NS6detail17trampoline_kernelINS0_13select_configILj256ELj13ELNS0_17block_load_methodE3ELS4_3ELS4_3ELNS0_20block_scan_algorithmE0ELj4294967295EEENS1_25partition_config_selectorILNS1_17partition_subalgoE4EjNS0_10empty_typeEbEEZZNS1_14partition_implILS8_4ELb0ES6_15HIP_vector_typeIjLj2EENS0_17counting_iteratorIjlEEPS9_SG_NS0_5tupleIJPjSI_NS0_16reverse_iteratorISI_EEEEENSH_IJSG_SG_SG_EEES9_SI_JZNS1_25segmented_radix_sort_implINS0_14default_configELb1EPK12hip_bfloat16PSP_PKlPlN2at6native12_GLOBAL__N_18offset_tEEE10hipError_tPvRmT1_PNSt15iterator_traitsIS13_E10value_typeET2_T3_PNS14_IS19_E10value_typeET4_jRbjT5_S1F_jjP12ihipStream_tbEUljE_ZNSN_ISO_Lb1ESR_SS_SU_SV_SZ_EES10_S11_S12_S13_S17_S18_S19_S1C_S1D_jS1E_jS1F_S1F_jjS1H_bEUljE0_EEES10_S11_S12_S19_S1D_S1F_T6_T7_T9_mT8_S1H_bDpT10_ENKUlT_T0_E_clISt17integral_constantIbLb0EES1U_IbLb1EEEEDaS1Q_S1R_EUlS1Q_E_NS1_11comp_targetILNS1_3genE3ELNS1_11target_archE908ELNS1_3gpuE7ELNS1_3repE0EEENS1_30default_config_static_selectorELNS0_4arch9wavefront6targetE0EEEvS13_.kd
    .uniform_work_group_size: 1
    .uses_dynamic_stack: false
    .vgpr_count:     0
    .vgpr_spill_count: 0
    .wavefront_size: 32
    .workgroup_processor_mode: 1
  - .args:
      - .offset:         0
        .size:           184
        .value_kind:     by_value
    .group_segment_fixed_size: 0
    .kernarg_segment_align: 8
    .kernarg_segment_size: 184
    .language:       OpenCL C
    .language_version:
      - 2
      - 0
    .max_flat_workgroup_size: 256
    .name:           _ZN7rocprim17ROCPRIM_400000_NS6detail17trampoline_kernelINS0_13select_configILj256ELj13ELNS0_17block_load_methodE3ELS4_3ELS4_3ELNS0_20block_scan_algorithmE0ELj4294967295EEENS1_25partition_config_selectorILNS1_17partition_subalgoE4EjNS0_10empty_typeEbEEZZNS1_14partition_implILS8_4ELb0ES6_15HIP_vector_typeIjLj2EENS0_17counting_iteratorIjlEEPS9_SG_NS0_5tupleIJPjSI_NS0_16reverse_iteratorISI_EEEEENSH_IJSG_SG_SG_EEES9_SI_JZNS1_25segmented_radix_sort_implINS0_14default_configELb1EPK12hip_bfloat16PSP_PKlPlN2at6native12_GLOBAL__N_18offset_tEEE10hipError_tPvRmT1_PNSt15iterator_traitsIS13_E10value_typeET2_T3_PNS14_IS19_E10value_typeET4_jRbjT5_S1F_jjP12ihipStream_tbEUljE_ZNSN_ISO_Lb1ESR_SS_SU_SV_SZ_EES10_S11_S12_S13_S17_S18_S19_S1C_S1D_jS1E_jS1F_S1F_jjS1H_bEUljE0_EEES10_S11_S12_S19_S1D_S1F_T6_T7_T9_mT8_S1H_bDpT10_ENKUlT_T0_E_clISt17integral_constantIbLb0EES1U_IbLb1EEEEDaS1Q_S1R_EUlS1Q_E_NS1_11comp_targetILNS1_3genE2ELNS1_11target_archE906ELNS1_3gpuE6ELNS1_3repE0EEENS1_30default_config_static_selectorELNS0_4arch9wavefront6targetE0EEEvS13_
    .private_segment_fixed_size: 0
    .sgpr_count:     0
    .sgpr_spill_count: 0
    .symbol:         _ZN7rocprim17ROCPRIM_400000_NS6detail17trampoline_kernelINS0_13select_configILj256ELj13ELNS0_17block_load_methodE3ELS4_3ELS4_3ELNS0_20block_scan_algorithmE0ELj4294967295EEENS1_25partition_config_selectorILNS1_17partition_subalgoE4EjNS0_10empty_typeEbEEZZNS1_14partition_implILS8_4ELb0ES6_15HIP_vector_typeIjLj2EENS0_17counting_iteratorIjlEEPS9_SG_NS0_5tupleIJPjSI_NS0_16reverse_iteratorISI_EEEEENSH_IJSG_SG_SG_EEES9_SI_JZNS1_25segmented_radix_sort_implINS0_14default_configELb1EPK12hip_bfloat16PSP_PKlPlN2at6native12_GLOBAL__N_18offset_tEEE10hipError_tPvRmT1_PNSt15iterator_traitsIS13_E10value_typeET2_T3_PNS14_IS19_E10value_typeET4_jRbjT5_S1F_jjP12ihipStream_tbEUljE_ZNSN_ISO_Lb1ESR_SS_SU_SV_SZ_EES10_S11_S12_S13_S17_S18_S19_S1C_S1D_jS1E_jS1F_S1F_jjS1H_bEUljE0_EEES10_S11_S12_S19_S1D_S1F_T6_T7_T9_mT8_S1H_bDpT10_ENKUlT_T0_E_clISt17integral_constantIbLb0EES1U_IbLb1EEEEDaS1Q_S1R_EUlS1Q_E_NS1_11comp_targetILNS1_3genE2ELNS1_11target_archE906ELNS1_3gpuE6ELNS1_3repE0EEENS1_30default_config_static_selectorELNS0_4arch9wavefront6targetE0EEEvS13_.kd
    .uniform_work_group_size: 1
    .uses_dynamic_stack: false
    .vgpr_count:     0
    .vgpr_spill_count: 0
    .wavefront_size: 32
    .workgroup_processor_mode: 1
  - .args:
      - .offset:         0
        .size:           184
        .value_kind:     by_value
    .group_segment_fixed_size: 0
    .kernarg_segment_align: 8
    .kernarg_segment_size: 184
    .language:       OpenCL C
    .language_version:
      - 2
      - 0
    .max_flat_workgroup_size: 256
    .name:           _ZN7rocprim17ROCPRIM_400000_NS6detail17trampoline_kernelINS0_13select_configILj256ELj13ELNS0_17block_load_methodE3ELS4_3ELS4_3ELNS0_20block_scan_algorithmE0ELj4294967295EEENS1_25partition_config_selectorILNS1_17partition_subalgoE4EjNS0_10empty_typeEbEEZZNS1_14partition_implILS8_4ELb0ES6_15HIP_vector_typeIjLj2EENS0_17counting_iteratorIjlEEPS9_SG_NS0_5tupleIJPjSI_NS0_16reverse_iteratorISI_EEEEENSH_IJSG_SG_SG_EEES9_SI_JZNS1_25segmented_radix_sort_implINS0_14default_configELb1EPK12hip_bfloat16PSP_PKlPlN2at6native12_GLOBAL__N_18offset_tEEE10hipError_tPvRmT1_PNSt15iterator_traitsIS13_E10value_typeET2_T3_PNS14_IS19_E10value_typeET4_jRbjT5_S1F_jjP12ihipStream_tbEUljE_ZNSN_ISO_Lb1ESR_SS_SU_SV_SZ_EES10_S11_S12_S13_S17_S18_S19_S1C_S1D_jS1E_jS1F_S1F_jjS1H_bEUljE0_EEES10_S11_S12_S19_S1D_S1F_T6_T7_T9_mT8_S1H_bDpT10_ENKUlT_T0_E_clISt17integral_constantIbLb0EES1U_IbLb1EEEEDaS1Q_S1R_EUlS1Q_E_NS1_11comp_targetILNS1_3genE10ELNS1_11target_archE1200ELNS1_3gpuE4ELNS1_3repE0EEENS1_30default_config_static_selectorELNS0_4arch9wavefront6targetE0EEEvS13_
    .private_segment_fixed_size: 0
    .sgpr_count:     0
    .sgpr_spill_count: 0
    .symbol:         _ZN7rocprim17ROCPRIM_400000_NS6detail17trampoline_kernelINS0_13select_configILj256ELj13ELNS0_17block_load_methodE3ELS4_3ELS4_3ELNS0_20block_scan_algorithmE0ELj4294967295EEENS1_25partition_config_selectorILNS1_17partition_subalgoE4EjNS0_10empty_typeEbEEZZNS1_14partition_implILS8_4ELb0ES6_15HIP_vector_typeIjLj2EENS0_17counting_iteratorIjlEEPS9_SG_NS0_5tupleIJPjSI_NS0_16reverse_iteratorISI_EEEEENSH_IJSG_SG_SG_EEES9_SI_JZNS1_25segmented_radix_sort_implINS0_14default_configELb1EPK12hip_bfloat16PSP_PKlPlN2at6native12_GLOBAL__N_18offset_tEEE10hipError_tPvRmT1_PNSt15iterator_traitsIS13_E10value_typeET2_T3_PNS14_IS19_E10value_typeET4_jRbjT5_S1F_jjP12ihipStream_tbEUljE_ZNSN_ISO_Lb1ESR_SS_SU_SV_SZ_EES10_S11_S12_S13_S17_S18_S19_S1C_S1D_jS1E_jS1F_S1F_jjS1H_bEUljE0_EEES10_S11_S12_S19_S1D_S1F_T6_T7_T9_mT8_S1H_bDpT10_ENKUlT_T0_E_clISt17integral_constantIbLb0EES1U_IbLb1EEEEDaS1Q_S1R_EUlS1Q_E_NS1_11comp_targetILNS1_3genE10ELNS1_11target_archE1200ELNS1_3gpuE4ELNS1_3repE0EEENS1_30default_config_static_selectorELNS0_4arch9wavefront6targetE0EEEvS13_.kd
    .uniform_work_group_size: 1
    .uses_dynamic_stack: false
    .vgpr_count:     0
    .vgpr_spill_count: 0
    .wavefront_size: 32
    .workgroup_processor_mode: 1
  - .args:
      - .offset:         0
        .size:           184
        .value_kind:     by_value
    .group_segment_fixed_size: 13340
    .kernarg_segment_align: 8
    .kernarg_segment_size: 184
    .language:       OpenCL C
    .language_version:
      - 2
      - 0
    .max_flat_workgroup_size: 256
    .name:           _ZN7rocprim17ROCPRIM_400000_NS6detail17trampoline_kernelINS0_13select_configILj256ELj13ELNS0_17block_load_methodE3ELS4_3ELS4_3ELNS0_20block_scan_algorithmE0ELj4294967295EEENS1_25partition_config_selectorILNS1_17partition_subalgoE4EjNS0_10empty_typeEbEEZZNS1_14partition_implILS8_4ELb0ES6_15HIP_vector_typeIjLj2EENS0_17counting_iteratorIjlEEPS9_SG_NS0_5tupleIJPjSI_NS0_16reverse_iteratorISI_EEEEENSH_IJSG_SG_SG_EEES9_SI_JZNS1_25segmented_radix_sort_implINS0_14default_configELb1EPK12hip_bfloat16PSP_PKlPlN2at6native12_GLOBAL__N_18offset_tEEE10hipError_tPvRmT1_PNSt15iterator_traitsIS13_E10value_typeET2_T3_PNS14_IS19_E10value_typeET4_jRbjT5_S1F_jjP12ihipStream_tbEUljE_ZNSN_ISO_Lb1ESR_SS_SU_SV_SZ_EES10_S11_S12_S13_S17_S18_S19_S1C_S1D_jS1E_jS1F_S1F_jjS1H_bEUljE0_EEES10_S11_S12_S19_S1D_S1F_T6_T7_T9_mT8_S1H_bDpT10_ENKUlT_T0_E_clISt17integral_constantIbLb0EES1U_IbLb1EEEEDaS1Q_S1R_EUlS1Q_E_NS1_11comp_targetILNS1_3genE9ELNS1_11target_archE1100ELNS1_3gpuE3ELNS1_3repE0EEENS1_30default_config_static_selectorELNS0_4arch9wavefront6targetE0EEEvS13_
    .private_segment_fixed_size: 0
    .sgpr_count:     57
    .sgpr_spill_count: 0
    .symbol:         _ZN7rocprim17ROCPRIM_400000_NS6detail17trampoline_kernelINS0_13select_configILj256ELj13ELNS0_17block_load_methodE3ELS4_3ELS4_3ELNS0_20block_scan_algorithmE0ELj4294967295EEENS1_25partition_config_selectorILNS1_17partition_subalgoE4EjNS0_10empty_typeEbEEZZNS1_14partition_implILS8_4ELb0ES6_15HIP_vector_typeIjLj2EENS0_17counting_iteratorIjlEEPS9_SG_NS0_5tupleIJPjSI_NS0_16reverse_iteratorISI_EEEEENSH_IJSG_SG_SG_EEES9_SI_JZNS1_25segmented_radix_sort_implINS0_14default_configELb1EPK12hip_bfloat16PSP_PKlPlN2at6native12_GLOBAL__N_18offset_tEEE10hipError_tPvRmT1_PNSt15iterator_traitsIS13_E10value_typeET2_T3_PNS14_IS19_E10value_typeET4_jRbjT5_S1F_jjP12ihipStream_tbEUljE_ZNSN_ISO_Lb1ESR_SS_SU_SV_SZ_EES10_S11_S12_S13_S17_S18_S19_S1C_S1D_jS1E_jS1F_S1F_jjS1H_bEUljE0_EEES10_S11_S12_S19_S1D_S1F_T6_T7_T9_mT8_S1H_bDpT10_ENKUlT_T0_E_clISt17integral_constantIbLb0EES1U_IbLb1EEEEDaS1Q_S1R_EUlS1Q_E_NS1_11comp_targetILNS1_3genE9ELNS1_11target_archE1100ELNS1_3gpuE3ELNS1_3repE0EEENS1_30default_config_static_selectorELNS0_4arch9wavefront6targetE0EEEvS13_.kd
    .uniform_work_group_size: 1
    .uses_dynamic_stack: false
    .vgpr_count:     103
    .vgpr_spill_count: 0
    .wavefront_size: 32
    .workgroup_processor_mode: 1
  - .args:
      - .offset:         0
        .size:           184
        .value_kind:     by_value
    .group_segment_fixed_size: 0
    .kernarg_segment_align: 8
    .kernarg_segment_size: 184
    .language:       OpenCL C
    .language_version:
      - 2
      - 0
    .max_flat_workgroup_size: 256
    .name:           _ZN7rocprim17ROCPRIM_400000_NS6detail17trampoline_kernelINS0_13select_configILj256ELj13ELNS0_17block_load_methodE3ELS4_3ELS4_3ELNS0_20block_scan_algorithmE0ELj4294967295EEENS1_25partition_config_selectorILNS1_17partition_subalgoE4EjNS0_10empty_typeEbEEZZNS1_14partition_implILS8_4ELb0ES6_15HIP_vector_typeIjLj2EENS0_17counting_iteratorIjlEEPS9_SG_NS0_5tupleIJPjSI_NS0_16reverse_iteratorISI_EEEEENSH_IJSG_SG_SG_EEES9_SI_JZNS1_25segmented_radix_sort_implINS0_14default_configELb1EPK12hip_bfloat16PSP_PKlPlN2at6native12_GLOBAL__N_18offset_tEEE10hipError_tPvRmT1_PNSt15iterator_traitsIS13_E10value_typeET2_T3_PNS14_IS19_E10value_typeET4_jRbjT5_S1F_jjP12ihipStream_tbEUljE_ZNSN_ISO_Lb1ESR_SS_SU_SV_SZ_EES10_S11_S12_S13_S17_S18_S19_S1C_S1D_jS1E_jS1F_S1F_jjS1H_bEUljE0_EEES10_S11_S12_S19_S1D_S1F_T6_T7_T9_mT8_S1H_bDpT10_ENKUlT_T0_E_clISt17integral_constantIbLb0EES1U_IbLb1EEEEDaS1Q_S1R_EUlS1Q_E_NS1_11comp_targetILNS1_3genE8ELNS1_11target_archE1030ELNS1_3gpuE2ELNS1_3repE0EEENS1_30default_config_static_selectorELNS0_4arch9wavefront6targetE0EEEvS13_
    .private_segment_fixed_size: 0
    .sgpr_count:     0
    .sgpr_spill_count: 0
    .symbol:         _ZN7rocprim17ROCPRIM_400000_NS6detail17trampoline_kernelINS0_13select_configILj256ELj13ELNS0_17block_load_methodE3ELS4_3ELS4_3ELNS0_20block_scan_algorithmE0ELj4294967295EEENS1_25partition_config_selectorILNS1_17partition_subalgoE4EjNS0_10empty_typeEbEEZZNS1_14partition_implILS8_4ELb0ES6_15HIP_vector_typeIjLj2EENS0_17counting_iteratorIjlEEPS9_SG_NS0_5tupleIJPjSI_NS0_16reverse_iteratorISI_EEEEENSH_IJSG_SG_SG_EEES9_SI_JZNS1_25segmented_radix_sort_implINS0_14default_configELb1EPK12hip_bfloat16PSP_PKlPlN2at6native12_GLOBAL__N_18offset_tEEE10hipError_tPvRmT1_PNSt15iterator_traitsIS13_E10value_typeET2_T3_PNS14_IS19_E10value_typeET4_jRbjT5_S1F_jjP12ihipStream_tbEUljE_ZNSN_ISO_Lb1ESR_SS_SU_SV_SZ_EES10_S11_S12_S13_S17_S18_S19_S1C_S1D_jS1E_jS1F_S1F_jjS1H_bEUljE0_EEES10_S11_S12_S19_S1D_S1F_T6_T7_T9_mT8_S1H_bDpT10_ENKUlT_T0_E_clISt17integral_constantIbLb0EES1U_IbLb1EEEEDaS1Q_S1R_EUlS1Q_E_NS1_11comp_targetILNS1_3genE8ELNS1_11target_archE1030ELNS1_3gpuE2ELNS1_3repE0EEENS1_30default_config_static_selectorELNS0_4arch9wavefront6targetE0EEEvS13_.kd
    .uniform_work_group_size: 1
    .uses_dynamic_stack: false
    .vgpr_count:     0
    .vgpr_spill_count: 0
    .wavefront_size: 32
    .workgroup_processor_mode: 1
  - .args:
      - .offset:         0
        .size:           144
        .value_kind:     by_value
    .group_segment_fixed_size: 0
    .kernarg_segment_align: 8
    .kernarg_segment_size: 144
    .language:       OpenCL C
    .language_version:
      - 2
      - 0
    .max_flat_workgroup_size: 256
    .name:           _ZN7rocprim17ROCPRIM_400000_NS6detail17trampoline_kernelINS0_13select_configILj256ELj13ELNS0_17block_load_methodE3ELS4_3ELS4_3ELNS0_20block_scan_algorithmE0ELj4294967295EEENS1_25partition_config_selectorILNS1_17partition_subalgoE3EjNS0_10empty_typeEbEEZZNS1_14partition_implILS8_3ELb0ES6_jNS0_17counting_iteratorIjlEEPS9_SE_NS0_5tupleIJPjSE_EEENSF_IJSE_SE_EEES9_SG_JZNS1_25segmented_radix_sort_implINS0_14default_configELb1EPK12hip_bfloat16PSL_PKlPlN2at6native12_GLOBAL__N_18offset_tEEE10hipError_tPvRmT1_PNSt15iterator_traitsISZ_E10value_typeET2_T3_PNS10_IS15_E10value_typeET4_jRbjT5_S1B_jjP12ihipStream_tbEUljE_EEESW_SX_SY_S15_S19_S1B_T6_T7_T9_mT8_S1D_bDpT10_ENKUlT_T0_E_clISt17integral_constantIbLb0EES1Q_EEDaS1L_S1M_EUlS1L_E_NS1_11comp_targetILNS1_3genE0ELNS1_11target_archE4294967295ELNS1_3gpuE0ELNS1_3repE0EEENS1_30default_config_static_selectorELNS0_4arch9wavefront6targetE0EEEvSZ_
    .private_segment_fixed_size: 0
    .sgpr_count:     0
    .sgpr_spill_count: 0
    .symbol:         _ZN7rocprim17ROCPRIM_400000_NS6detail17trampoline_kernelINS0_13select_configILj256ELj13ELNS0_17block_load_methodE3ELS4_3ELS4_3ELNS0_20block_scan_algorithmE0ELj4294967295EEENS1_25partition_config_selectorILNS1_17partition_subalgoE3EjNS0_10empty_typeEbEEZZNS1_14partition_implILS8_3ELb0ES6_jNS0_17counting_iteratorIjlEEPS9_SE_NS0_5tupleIJPjSE_EEENSF_IJSE_SE_EEES9_SG_JZNS1_25segmented_radix_sort_implINS0_14default_configELb1EPK12hip_bfloat16PSL_PKlPlN2at6native12_GLOBAL__N_18offset_tEEE10hipError_tPvRmT1_PNSt15iterator_traitsISZ_E10value_typeET2_T3_PNS10_IS15_E10value_typeET4_jRbjT5_S1B_jjP12ihipStream_tbEUljE_EEESW_SX_SY_S15_S19_S1B_T6_T7_T9_mT8_S1D_bDpT10_ENKUlT_T0_E_clISt17integral_constantIbLb0EES1Q_EEDaS1L_S1M_EUlS1L_E_NS1_11comp_targetILNS1_3genE0ELNS1_11target_archE4294967295ELNS1_3gpuE0ELNS1_3repE0EEENS1_30default_config_static_selectorELNS0_4arch9wavefront6targetE0EEEvSZ_.kd
    .uniform_work_group_size: 1
    .uses_dynamic_stack: false
    .vgpr_count:     0
    .vgpr_spill_count: 0
    .wavefront_size: 32
    .workgroup_processor_mode: 1
  - .args:
      - .offset:         0
        .size:           144
        .value_kind:     by_value
    .group_segment_fixed_size: 0
    .kernarg_segment_align: 8
    .kernarg_segment_size: 144
    .language:       OpenCL C
    .language_version:
      - 2
      - 0
    .max_flat_workgroup_size: 256
    .name:           _ZN7rocprim17ROCPRIM_400000_NS6detail17trampoline_kernelINS0_13select_configILj256ELj13ELNS0_17block_load_methodE3ELS4_3ELS4_3ELNS0_20block_scan_algorithmE0ELj4294967295EEENS1_25partition_config_selectorILNS1_17partition_subalgoE3EjNS0_10empty_typeEbEEZZNS1_14partition_implILS8_3ELb0ES6_jNS0_17counting_iteratorIjlEEPS9_SE_NS0_5tupleIJPjSE_EEENSF_IJSE_SE_EEES9_SG_JZNS1_25segmented_radix_sort_implINS0_14default_configELb1EPK12hip_bfloat16PSL_PKlPlN2at6native12_GLOBAL__N_18offset_tEEE10hipError_tPvRmT1_PNSt15iterator_traitsISZ_E10value_typeET2_T3_PNS10_IS15_E10value_typeET4_jRbjT5_S1B_jjP12ihipStream_tbEUljE_EEESW_SX_SY_S15_S19_S1B_T6_T7_T9_mT8_S1D_bDpT10_ENKUlT_T0_E_clISt17integral_constantIbLb0EES1Q_EEDaS1L_S1M_EUlS1L_E_NS1_11comp_targetILNS1_3genE5ELNS1_11target_archE942ELNS1_3gpuE9ELNS1_3repE0EEENS1_30default_config_static_selectorELNS0_4arch9wavefront6targetE0EEEvSZ_
    .private_segment_fixed_size: 0
    .sgpr_count:     0
    .sgpr_spill_count: 0
    .symbol:         _ZN7rocprim17ROCPRIM_400000_NS6detail17trampoline_kernelINS0_13select_configILj256ELj13ELNS0_17block_load_methodE3ELS4_3ELS4_3ELNS0_20block_scan_algorithmE0ELj4294967295EEENS1_25partition_config_selectorILNS1_17partition_subalgoE3EjNS0_10empty_typeEbEEZZNS1_14partition_implILS8_3ELb0ES6_jNS0_17counting_iteratorIjlEEPS9_SE_NS0_5tupleIJPjSE_EEENSF_IJSE_SE_EEES9_SG_JZNS1_25segmented_radix_sort_implINS0_14default_configELb1EPK12hip_bfloat16PSL_PKlPlN2at6native12_GLOBAL__N_18offset_tEEE10hipError_tPvRmT1_PNSt15iterator_traitsISZ_E10value_typeET2_T3_PNS10_IS15_E10value_typeET4_jRbjT5_S1B_jjP12ihipStream_tbEUljE_EEESW_SX_SY_S15_S19_S1B_T6_T7_T9_mT8_S1D_bDpT10_ENKUlT_T0_E_clISt17integral_constantIbLb0EES1Q_EEDaS1L_S1M_EUlS1L_E_NS1_11comp_targetILNS1_3genE5ELNS1_11target_archE942ELNS1_3gpuE9ELNS1_3repE0EEENS1_30default_config_static_selectorELNS0_4arch9wavefront6targetE0EEEvSZ_.kd
    .uniform_work_group_size: 1
    .uses_dynamic_stack: false
    .vgpr_count:     0
    .vgpr_spill_count: 0
    .wavefront_size: 32
    .workgroup_processor_mode: 1
  - .args:
      - .offset:         0
        .size:           144
        .value_kind:     by_value
    .group_segment_fixed_size: 0
    .kernarg_segment_align: 8
    .kernarg_segment_size: 144
    .language:       OpenCL C
    .language_version:
      - 2
      - 0
    .max_flat_workgroup_size: 256
    .name:           _ZN7rocprim17ROCPRIM_400000_NS6detail17trampoline_kernelINS0_13select_configILj256ELj13ELNS0_17block_load_methodE3ELS4_3ELS4_3ELNS0_20block_scan_algorithmE0ELj4294967295EEENS1_25partition_config_selectorILNS1_17partition_subalgoE3EjNS0_10empty_typeEbEEZZNS1_14partition_implILS8_3ELb0ES6_jNS0_17counting_iteratorIjlEEPS9_SE_NS0_5tupleIJPjSE_EEENSF_IJSE_SE_EEES9_SG_JZNS1_25segmented_radix_sort_implINS0_14default_configELb1EPK12hip_bfloat16PSL_PKlPlN2at6native12_GLOBAL__N_18offset_tEEE10hipError_tPvRmT1_PNSt15iterator_traitsISZ_E10value_typeET2_T3_PNS10_IS15_E10value_typeET4_jRbjT5_S1B_jjP12ihipStream_tbEUljE_EEESW_SX_SY_S15_S19_S1B_T6_T7_T9_mT8_S1D_bDpT10_ENKUlT_T0_E_clISt17integral_constantIbLb0EES1Q_EEDaS1L_S1M_EUlS1L_E_NS1_11comp_targetILNS1_3genE4ELNS1_11target_archE910ELNS1_3gpuE8ELNS1_3repE0EEENS1_30default_config_static_selectorELNS0_4arch9wavefront6targetE0EEEvSZ_
    .private_segment_fixed_size: 0
    .sgpr_count:     0
    .sgpr_spill_count: 0
    .symbol:         _ZN7rocprim17ROCPRIM_400000_NS6detail17trampoline_kernelINS0_13select_configILj256ELj13ELNS0_17block_load_methodE3ELS4_3ELS4_3ELNS0_20block_scan_algorithmE0ELj4294967295EEENS1_25partition_config_selectorILNS1_17partition_subalgoE3EjNS0_10empty_typeEbEEZZNS1_14partition_implILS8_3ELb0ES6_jNS0_17counting_iteratorIjlEEPS9_SE_NS0_5tupleIJPjSE_EEENSF_IJSE_SE_EEES9_SG_JZNS1_25segmented_radix_sort_implINS0_14default_configELb1EPK12hip_bfloat16PSL_PKlPlN2at6native12_GLOBAL__N_18offset_tEEE10hipError_tPvRmT1_PNSt15iterator_traitsISZ_E10value_typeET2_T3_PNS10_IS15_E10value_typeET4_jRbjT5_S1B_jjP12ihipStream_tbEUljE_EEESW_SX_SY_S15_S19_S1B_T6_T7_T9_mT8_S1D_bDpT10_ENKUlT_T0_E_clISt17integral_constantIbLb0EES1Q_EEDaS1L_S1M_EUlS1L_E_NS1_11comp_targetILNS1_3genE4ELNS1_11target_archE910ELNS1_3gpuE8ELNS1_3repE0EEENS1_30default_config_static_selectorELNS0_4arch9wavefront6targetE0EEEvSZ_.kd
    .uniform_work_group_size: 1
    .uses_dynamic_stack: false
    .vgpr_count:     0
    .vgpr_spill_count: 0
    .wavefront_size: 32
    .workgroup_processor_mode: 1
  - .args:
      - .offset:         0
        .size:           144
        .value_kind:     by_value
    .group_segment_fixed_size: 0
    .kernarg_segment_align: 8
    .kernarg_segment_size: 144
    .language:       OpenCL C
    .language_version:
      - 2
      - 0
    .max_flat_workgroup_size: 256
    .name:           _ZN7rocprim17ROCPRIM_400000_NS6detail17trampoline_kernelINS0_13select_configILj256ELj13ELNS0_17block_load_methodE3ELS4_3ELS4_3ELNS0_20block_scan_algorithmE0ELj4294967295EEENS1_25partition_config_selectorILNS1_17partition_subalgoE3EjNS0_10empty_typeEbEEZZNS1_14partition_implILS8_3ELb0ES6_jNS0_17counting_iteratorIjlEEPS9_SE_NS0_5tupleIJPjSE_EEENSF_IJSE_SE_EEES9_SG_JZNS1_25segmented_radix_sort_implINS0_14default_configELb1EPK12hip_bfloat16PSL_PKlPlN2at6native12_GLOBAL__N_18offset_tEEE10hipError_tPvRmT1_PNSt15iterator_traitsISZ_E10value_typeET2_T3_PNS10_IS15_E10value_typeET4_jRbjT5_S1B_jjP12ihipStream_tbEUljE_EEESW_SX_SY_S15_S19_S1B_T6_T7_T9_mT8_S1D_bDpT10_ENKUlT_T0_E_clISt17integral_constantIbLb0EES1Q_EEDaS1L_S1M_EUlS1L_E_NS1_11comp_targetILNS1_3genE3ELNS1_11target_archE908ELNS1_3gpuE7ELNS1_3repE0EEENS1_30default_config_static_selectorELNS0_4arch9wavefront6targetE0EEEvSZ_
    .private_segment_fixed_size: 0
    .sgpr_count:     0
    .sgpr_spill_count: 0
    .symbol:         _ZN7rocprim17ROCPRIM_400000_NS6detail17trampoline_kernelINS0_13select_configILj256ELj13ELNS0_17block_load_methodE3ELS4_3ELS4_3ELNS0_20block_scan_algorithmE0ELj4294967295EEENS1_25partition_config_selectorILNS1_17partition_subalgoE3EjNS0_10empty_typeEbEEZZNS1_14partition_implILS8_3ELb0ES6_jNS0_17counting_iteratorIjlEEPS9_SE_NS0_5tupleIJPjSE_EEENSF_IJSE_SE_EEES9_SG_JZNS1_25segmented_radix_sort_implINS0_14default_configELb1EPK12hip_bfloat16PSL_PKlPlN2at6native12_GLOBAL__N_18offset_tEEE10hipError_tPvRmT1_PNSt15iterator_traitsISZ_E10value_typeET2_T3_PNS10_IS15_E10value_typeET4_jRbjT5_S1B_jjP12ihipStream_tbEUljE_EEESW_SX_SY_S15_S19_S1B_T6_T7_T9_mT8_S1D_bDpT10_ENKUlT_T0_E_clISt17integral_constantIbLb0EES1Q_EEDaS1L_S1M_EUlS1L_E_NS1_11comp_targetILNS1_3genE3ELNS1_11target_archE908ELNS1_3gpuE7ELNS1_3repE0EEENS1_30default_config_static_selectorELNS0_4arch9wavefront6targetE0EEEvSZ_.kd
    .uniform_work_group_size: 1
    .uses_dynamic_stack: false
    .vgpr_count:     0
    .vgpr_spill_count: 0
    .wavefront_size: 32
    .workgroup_processor_mode: 1
  - .args:
      - .offset:         0
        .size:           144
        .value_kind:     by_value
    .group_segment_fixed_size: 0
    .kernarg_segment_align: 8
    .kernarg_segment_size: 144
    .language:       OpenCL C
    .language_version:
      - 2
      - 0
    .max_flat_workgroup_size: 256
    .name:           _ZN7rocprim17ROCPRIM_400000_NS6detail17trampoline_kernelINS0_13select_configILj256ELj13ELNS0_17block_load_methodE3ELS4_3ELS4_3ELNS0_20block_scan_algorithmE0ELj4294967295EEENS1_25partition_config_selectorILNS1_17partition_subalgoE3EjNS0_10empty_typeEbEEZZNS1_14partition_implILS8_3ELb0ES6_jNS0_17counting_iteratorIjlEEPS9_SE_NS0_5tupleIJPjSE_EEENSF_IJSE_SE_EEES9_SG_JZNS1_25segmented_radix_sort_implINS0_14default_configELb1EPK12hip_bfloat16PSL_PKlPlN2at6native12_GLOBAL__N_18offset_tEEE10hipError_tPvRmT1_PNSt15iterator_traitsISZ_E10value_typeET2_T3_PNS10_IS15_E10value_typeET4_jRbjT5_S1B_jjP12ihipStream_tbEUljE_EEESW_SX_SY_S15_S19_S1B_T6_T7_T9_mT8_S1D_bDpT10_ENKUlT_T0_E_clISt17integral_constantIbLb0EES1Q_EEDaS1L_S1M_EUlS1L_E_NS1_11comp_targetILNS1_3genE2ELNS1_11target_archE906ELNS1_3gpuE6ELNS1_3repE0EEENS1_30default_config_static_selectorELNS0_4arch9wavefront6targetE0EEEvSZ_
    .private_segment_fixed_size: 0
    .sgpr_count:     0
    .sgpr_spill_count: 0
    .symbol:         _ZN7rocprim17ROCPRIM_400000_NS6detail17trampoline_kernelINS0_13select_configILj256ELj13ELNS0_17block_load_methodE3ELS4_3ELS4_3ELNS0_20block_scan_algorithmE0ELj4294967295EEENS1_25partition_config_selectorILNS1_17partition_subalgoE3EjNS0_10empty_typeEbEEZZNS1_14partition_implILS8_3ELb0ES6_jNS0_17counting_iteratorIjlEEPS9_SE_NS0_5tupleIJPjSE_EEENSF_IJSE_SE_EEES9_SG_JZNS1_25segmented_radix_sort_implINS0_14default_configELb1EPK12hip_bfloat16PSL_PKlPlN2at6native12_GLOBAL__N_18offset_tEEE10hipError_tPvRmT1_PNSt15iterator_traitsISZ_E10value_typeET2_T3_PNS10_IS15_E10value_typeET4_jRbjT5_S1B_jjP12ihipStream_tbEUljE_EEESW_SX_SY_S15_S19_S1B_T6_T7_T9_mT8_S1D_bDpT10_ENKUlT_T0_E_clISt17integral_constantIbLb0EES1Q_EEDaS1L_S1M_EUlS1L_E_NS1_11comp_targetILNS1_3genE2ELNS1_11target_archE906ELNS1_3gpuE6ELNS1_3repE0EEENS1_30default_config_static_selectorELNS0_4arch9wavefront6targetE0EEEvSZ_.kd
    .uniform_work_group_size: 1
    .uses_dynamic_stack: false
    .vgpr_count:     0
    .vgpr_spill_count: 0
    .wavefront_size: 32
    .workgroup_processor_mode: 1
  - .args:
      - .offset:         0
        .size:           144
        .value_kind:     by_value
    .group_segment_fixed_size: 0
    .kernarg_segment_align: 8
    .kernarg_segment_size: 144
    .language:       OpenCL C
    .language_version:
      - 2
      - 0
    .max_flat_workgroup_size: 256
    .name:           _ZN7rocprim17ROCPRIM_400000_NS6detail17trampoline_kernelINS0_13select_configILj256ELj13ELNS0_17block_load_methodE3ELS4_3ELS4_3ELNS0_20block_scan_algorithmE0ELj4294967295EEENS1_25partition_config_selectorILNS1_17partition_subalgoE3EjNS0_10empty_typeEbEEZZNS1_14partition_implILS8_3ELb0ES6_jNS0_17counting_iteratorIjlEEPS9_SE_NS0_5tupleIJPjSE_EEENSF_IJSE_SE_EEES9_SG_JZNS1_25segmented_radix_sort_implINS0_14default_configELb1EPK12hip_bfloat16PSL_PKlPlN2at6native12_GLOBAL__N_18offset_tEEE10hipError_tPvRmT1_PNSt15iterator_traitsISZ_E10value_typeET2_T3_PNS10_IS15_E10value_typeET4_jRbjT5_S1B_jjP12ihipStream_tbEUljE_EEESW_SX_SY_S15_S19_S1B_T6_T7_T9_mT8_S1D_bDpT10_ENKUlT_T0_E_clISt17integral_constantIbLb0EES1Q_EEDaS1L_S1M_EUlS1L_E_NS1_11comp_targetILNS1_3genE10ELNS1_11target_archE1200ELNS1_3gpuE4ELNS1_3repE0EEENS1_30default_config_static_selectorELNS0_4arch9wavefront6targetE0EEEvSZ_
    .private_segment_fixed_size: 0
    .sgpr_count:     0
    .sgpr_spill_count: 0
    .symbol:         _ZN7rocprim17ROCPRIM_400000_NS6detail17trampoline_kernelINS0_13select_configILj256ELj13ELNS0_17block_load_methodE3ELS4_3ELS4_3ELNS0_20block_scan_algorithmE0ELj4294967295EEENS1_25partition_config_selectorILNS1_17partition_subalgoE3EjNS0_10empty_typeEbEEZZNS1_14partition_implILS8_3ELb0ES6_jNS0_17counting_iteratorIjlEEPS9_SE_NS0_5tupleIJPjSE_EEENSF_IJSE_SE_EEES9_SG_JZNS1_25segmented_radix_sort_implINS0_14default_configELb1EPK12hip_bfloat16PSL_PKlPlN2at6native12_GLOBAL__N_18offset_tEEE10hipError_tPvRmT1_PNSt15iterator_traitsISZ_E10value_typeET2_T3_PNS10_IS15_E10value_typeET4_jRbjT5_S1B_jjP12ihipStream_tbEUljE_EEESW_SX_SY_S15_S19_S1B_T6_T7_T9_mT8_S1D_bDpT10_ENKUlT_T0_E_clISt17integral_constantIbLb0EES1Q_EEDaS1L_S1M_EUlS1L_E_NS1_11comp_targetILNS1_3genE10ELNS1_11target_archE1200ELNS1_3gpuE4ELNS1_3repE0EEENS1_30default_config_static_selectorELNS0_4arch9wavefront6targetE0EEEvSZ_.kd
    .uniform_work_group_size: 1
    .uses_dynamic_stack: false
    .vgpr_count:     0
    .vgpr_spill_count: 0
    .wavefront_size: 32
    .workgroup_processor_mode: 1
  - .args:
      - .offset:         0
        .size:           144
        .value_kind:     by_value
    .group_segment_fixed_size: 13324
    .kernarg_segment_align: 8
    .kernarg_segment_size: 144
    .language:       OpenCL C
    .language_version:
      - 2
      - 0
    .max_flat_workgroup_size: 256
    .name:           _ZN7rocprim17ROCPRIM_400000_NS6detail17trampoline_kernelINS0_13select_configILj256ELj13ELNS0_17block_load_methodE3ELS4_3ELS4_3ELNS0_20block_scan_algorithmE0ELj4294967295EEENS1_25partition_config_selectorILNS1_17partition_subalgoE3EjNS0_10empty_typeEbEEZZNS1_14partition_implILS8_3ELb0ES6_jNS0_17counting_iteratorIjlEEPS9_SE_NS0_5tupleIJPjSE_EEENSF_IJSE_SE_EEES9_SG_JZNS1_25segmented_radix_sort_implINS0_14default_configELb1EPK12hip_bfloat16PSL_PKlPlN2at6native12_GLOBAL__N_18offset_tEEE10hipError_tPvRmT1_PNSt15iterator_traitsISZ_E10value_typeET2_T3_PNS10_IS15_E10value_typeET4_jRbjT5_S1B_jjP12ihipStream_tbEUljE_EEESW_SX_SY_S15_S19_S1B_T6_T7_T9_mT8_S1D_bDpT10_ENKUlT_T0_E_clISt17integral_constantIbLb0EES1Q_EEDaS1L_S1M_EUlS1L_E_NS1_11comp_targetILNS1_3genE9ELNS1_11target_archE1100ELNS1_3gpuE3ELNS1_3repE0EEENS1_30default_config_static_selectorELNS0_4arch9wavefront6targetE0EEEvSZ_
    .private_segment_fixed_size: 0
    .sgpr_count:     30
    .sgpr_spill_count: 0
    .symbol:         _ZN7rocprim17ROCPRIM_400000_NS6detail17trampoline_kernelINS0_13select_configILj256ELj13ELNS0_17block_load_methodE3ELS4_3ELS4_3ELNS0_20block_scan_algorithmE0ELj4294967295EEENS1_25partition_config_selectorILNS1_17partition_subalgoE3EjNS0_10empty_typeEbEEZZNS1_14partition_implILS8_3ELb0ES6_jNS0_17counting_iteratorIjlEEPS9_SE_NS0_5tupleIJPjSE_EEENSF_IJSE_SE_EEES9_SG_JZNS1_25segmented_radix_sort_implINS0_14default_configELb1EPK12hip_bfloat16PSL_PKlPlN2at6native12_GLOBAL__N_18offset_tEEE10hipError_tPvRmT1_PNSt15iterator_traitsISZ_E10value_typeET2_T3_PNS10_IS15_E10value_typeET4_jRbjT5_S1B_jjP12ihipStream_tbEUljE_EEESW_SX_SY_S15_S19_S1B_T6_T7_T9_mT8_S1D_bDpT10_ENKUlT_T0_E_clISt17integral_constantIbLb0EES1Q_EEDaS1L_S1M_EUlS1L_E_NS1_11comp_targetILNS1_3genE9ELNS1_11target_archE1100ELNS1_3gpuE3ELNS1_3repE0EEENS1_30default_config_static_selectorELNS0_4arch9wavefront6targetE0EEEvSZ_.kd
    .uniform_work_group_size: 1
    .uses_dynamic_stack: false
    .vgpr_count:     57
    .vgpr_spill_count: 0
    .wavefront_size: 32
    .workgroup_processor_mode: 1
  - .args:
      - .offset:         0
        .size:           144
        .value_kind:     by_value
    .group_segment_fixed_size: 0
    .kernarg_segment_align: 8
    .kernarg_segment_size: 144
    .language:       OpenCL C
    .language_version:
      - 2
      - 0
    .max_flat_workgroup_size: 256
    .name:           _ZN7rocprim17ROCPRIM_400000_NS6detail17trampoline_kernelINS0_13select_configILj256ELj13ELNS0_17block_load_methodE3ELS4_3ELS4_3ELNS0_20block_scan_algorithmE0ELj4294967295EEENS1_25partition_config_selectorILNS1_17partition_subalgoE3EjNS0_10empty_typeEbEEZZNS1_14partition_implILS8_3ELb0ES6_jNS0_17counting_iteratorIjlEEPS9_SE_NS0_5tupleIJPjSE_EEENSF_IJSE_SE_EEES9_SG_JZNS1_25segmented_radix_sort_implINS0_14default_configELb1EPK12hip_bfloat16PSL_PKlPlN2at6native12_GLOBAL__N_18offset_tEEE10hipError_tPvRmT1_PNSt15iterator_traitsISZ_E10value_typeET2_T3_PNS10_IS15_E10value_typeET4_jRbjT5_S1B_jjP12ihipStream_tbEUljE_EEESW_SX_SY_S15_S19_S1B_T6_T7_T9_mT8_S1D_bDpT10_ENKUlT_T0_E_clISt17integral_constantIbLb0EES1Q_EEDaS1L_S1M_EUlS1L_E_NS1_11comp_targetILNS1_3genE8ELNS1_11target_archE1030ELNS1_3gpuE2ELNS1_3repE0EEENS1_30default_config_static_selectorELNS0_4arch9wavefront6targetE0EEEvSZ_
    .private_segment_fixed_size: 0
    .sgpr_count:     0
    .sgpr_spill_count: 0
    .symbol:         _ZN7rocprim17ROCPRIM_400000_NS6detail17trampoline_kernelINS0_13select_configILj256ELj13ELNS0_17block_load_methodE3ELS4_3ELS4_3ELNS0_20block_scan_algorithmE0ELj4294967295EEENS1_25partition_config_selectorILNS1_17partition_subalgoE3EjNS0_10empty_typeEbEEZZNS1_14partition_implILS8_3ELb0ES6_jNS0_17counting_iteratorIjlEEPS9_SE_NS0_5tupleIJPjSE_EEENSF_IJSE_SE_EEES9_SG_JZNS1_25segmented_radix_sort_implINS0_14default_configELb1EPK12hip_bfloat16PSL_PKlPlN2at6native12_GLOBAL__N_18offset_tEEE10hipError_tPvRmT1_PNSt15iterator_traitsISZ_E10value_typeET2_T3_PNS10_IS15_E10value_typeET4_jRbjT5_S1B_jjP12ihipStream_tbEUljE_EEESW_SX_SY_S15_S19_S1B_T6_T7_T9_mT8_S1D_bDpT10_ENKUlT_T0_E_clISt17integral_constantIbLb0EES1Q_EEDaS1L_S1M_EUlS1L_E_NS1_11comp_targetILNS1_3genE8ELNS1_11target_archE1030ELNS1_3gpuE2ELNS1_3repE0EEENS1_30default_config_static_selectorELNS0_4arch9wavefront6targetE0EEEvSZ_.kd
    .uniform_work_group_size: 1
    .uses_dynamic_stack: false
    .vgpr_count:     0
    .vgpr_spill_count: 0
    .wavefront_size: 32
    .workgroup_processor_mode: 1
  - .args:
      - .offset:         0
        .size:           152
        .value_kind:     by_value
    .group_segment_fixed_size: 0
    .kernarg_segment_align: 8
    .kernarg_segment_size: 152
    .language:       OpenCL C
    .language_version:
      - 2
      - 0
    .max_flat_workgroup_size: 256
    .name:           _ZN7rocprim17ROCPRIM_400000_NS6detail17trampoline_kernelINS0_13select_configILj256ELj13ELNS0_17block_load_methodE3ELS4_3ELS4_3ELNS0_20block_scan_algorithmE0ELj4294967295EEENS1_25partition_config_selectorILNS1_17partition_subalgoE3EjNS0_10empty_typeEbEEZZNS1_14partition_implILS8_3ELb0ES6_jNS0_17counting_iteratorIjlEEPS9_SE_NS0_5tupleIJPjSE_EEENSF_IJSE_SE_EEES9_SG_JZNS1_25segmented_radix_sort_implINS0_14default_configELb1EPK12hip_bfloat16PSL_PKlPlN2at6native12_GLOBAL__N_18offset_tEEE10hipError_tPvRmT1_PNSt15iterator_traitsISZ_E10value_typeET2_T3_PNS10_IS15_E10value_typeET4_jRbjT5_S1B_jjP12ihipStream_tbEUljE_EEESW_SX_SY_S15_S19_S1B_T6_T7_T9_mT8_S1D_bDpT10_ENKUlT_T0_E_clISt17integral_constantIbLb1EES1Q_EEDaS1L_S1M_EUlS1L_E_NS1_11comp_targetILNS1_3genE0ELNS1_11target_archE4294967295ELNS1_3gpuE0ELNS1_3repE0EEENS1_30default_config_static_selectorELNS0_4arch9wavefront6targetE0EEEvSZ_
    .private_segment_fixed_size: 0
    .sgpr_count:     0
    .sgpr_spill_count: 0
    .symbol:         _ZN7rocprim17ROCPRIM_400000_NS6detail17trampoline_kernelINS0_13select_configILj256ELj13ELNS0_17block_load_methodE3ELS4_3ELS4_3ELNS0_20block_scan_algorithmE0ELj4294967295EEENS1_25partition_config_selectorILNS1_17partition_subalgoE3EjNS0_10empty_typeEbEEZZNS1_14partition_implILS8_3ELb0ES6_jNS0_17counting_iteratorIjlEEPS9_SE_NS0_5tupleIJPjSE_EEENSF_IJSE_SE_EEES9_SG_JZNS1_25segmented_radix_sort_implINS0_14default_configELb1EPK12hip_bfloat16PSL_PKlPlN2at6native12_GLOBAL__N_18offset_tEEE10hipError_tPvRmT1_PNSt15iterator_traitsISZ_E10value_typeET2_T3_PNS10_IS15_E10value_typeET4_jRbjT5_S1B_jjP12ihipStream_tbEUljE_EEESW_SX_SY_S15_S19_S1B_T6_T7_T9_mT8_S1D_bDpT10_ENKUlT_T0_E_clISt17integral_constantIbLb1EES1Q_EEDaS1L_S1M_EUlS1L_E_NS1_11comp_targetILNS1_3genE0ELNS1_11target_archE4294967295ELNS1_3gpuE0ELNS1_3repE0EEENS1_30default_config_static_selectorELNS0_4arch9wavefront6targetE0EEEvSZ_.kd
    .uniform_work_group_size: 1
    .uses_dynamic_stack: false
    .vgpr_count:     0
    .vgpr_spill_count: 0
    .wavefront_size: 32
    .workgroup_processor_mode: 1
  - .args:
      - .offset:         0
        .size:           152
        .value_kind:     by_value
    .group_segment_fixed_size: 0
    .kernarg_segment_align: 8
    .kernarg_segment_size: 152
    .language:       OpenCL C
    .language_version:
      - 2
      - 0
    .max_flat_workgroup_size: 256
    .name:           _ZN7rocprim17ROCPRIM_400000_NS6detail17trampoline_kernelINS0_13select_configILj256ELj13ELNS0_17block_load_methodE3ELS4_3ELS4_3ELNS0_20block_scan_algorithmE0ELj4294967295EEENS1_25partition_config_selectorILNS1_17partition_subalgoE3EjNS0_10empty_typeEbEEZZNS1_14partition_implILS8_3ELb0ES6_jNS0_17counting_iteratorIjlEEPS9_SE_NS0_5tupleIJPjSE_EEENSF_IJSE_SE_EEES9_SG_JZNS1_25segmented_radix_sort_implINS0_14default_configELb1EPK12hip_bfloat16PSL_PKlPlN2at6native12_GLOBAL__N_18offset_tEEE10hipError_tPvRmT1_PNSt15iterator_traitsISZ_E10value_typeET2_T3_PNS10_IS15_E10value_typeET4_jRbjT5_S1B_jjP12ihipStream_tbEUljE_EEESW_SX_SY_S15_S19_S1B_T6_T7_T9_mT8_S1D_bDpT10_ENKUlT_T0_E_clISt17integral_constantIbLb1EES1Q_EEDaS1L_S1M_EUlS1L_E_NS1_11comp_targetILNS1_3genE5ELNS1_11target_archE942ELNS1_3gpuE9ELNS1_3repE0EEENS1_30default_config_static_selectorELNS0_4arch9wavefront6targetE0EEEvSZ_
    .private_segment_fixed_size: 0
    .sgpr_count:     0
    .sgpr_spill_count: 0
    .symbol:         _ZN7rocprim17ROCPRIM_400000_NS6detail17trampoline_kernelINS0_13select_configILj256ELj13ELNS0_17block_load_methodE3ELS4_3ELS4_3ELNS0_20block_scan_algorithmE0ELj4294967295EEENS1_25partition_config_selectorILNS1_17partition_subalgoE3EjNS0_10empty_typeEbEEZZNS1_14partition_implILS8_3ELb0ES6_jNS0_17counting_iteratorIjlEEPS9_SE_NS0_5tupleIJPjSE_EEENSF_IJSE_SE_EEES9_SG_JZNS1_25segmented_radix_sort_implINS0_14default_configELb1EPK12hip_bfloat16PSL_PKlPlN2at6native12_GLOBAL__N_18offset_tEEE10hipError_tPvRmT1_PNSt15iterator_traitsISZ_E10value_typeET2_T3_PNS10_IS15_E10value_typeET4_jRbjT5_S1B_jjP12ihipStream_tbEUljE_EEESW_SX_SY_S15_S19_S1B_T6_T7_T9_mT8_S1D_bDpT10_ENKUlT_T0_E_clISt17integral_constantIbLb1EES1Q_EEDaS1L_S1M_EUlS1L_E_NS1_11comp_targetILNS1_3genE5ELNS1_11target_archE942ELNS1_3gpuE9ELNS1_3repE0EEENS1_30default_config_static_selectorELNS0_4arch9wavefront6targetE0EEEvSZ_.kd
    .uniform_work_group_size: 1
    .uses_dynamic_stack: false
    .vgpr_count:     0
    .vgpr_spill_count: 0
    .wavefront_size: 32
    .workgroup_processor_mode: 1
  - .args:
      - .offset:         0
        .size:           152
        .value_kind:     by_value
    .group_segment_fixed_size: 0
    .kernarg_segment_align: 8
    .kernarg_segment_size: 152
    .language:       OpenCL C
    .language_version:
      - 2
      - 0
    .max_flat_workgroup_size: 256
    .name:           _ZN7rocprim17ROCPRIM_400000_NS6detail17trampoline_kernelINS0_13select_configILj256ELj13ELNS0_17block_load_methodE3ELS4_3ELS4_3ELNS0_20block_scan_algorithmE0ELj4294967295EEENS1_25partition_config_selectorILNS1_17partition_subalgoE3EjNS0_10empty_typeEbEEZZNS1_14partition_implILS8_3ELb0ES6_jNS0_17counting_iteratorIjlEEPS9_SE_NS0_5tupleIJPjSE_EEENSF_IJSE_SE_EEES9_SG_JZNS1_25segmented_radix_sort_implINS0_14default_configELb1EPK12hip_bfloat16PSL_PKlPlN2at6native12_GLOBAL__N_18offset_tEEE10hipError_tPvRmT1_PNSt15iterator_traitsISZ_E10value_typeET2_T3_PNS10_IS15_E10value_typeET4_jRbjT5_S1B_jjP12ihipStream_tbEUljE_EEESW_SX_SY_S15_S19_S1B_T6_T7_T9_mT8_S1D_bDpT10_ENKUlT_T0_E_clISt17integral_constantIbLb1EES1Q_EEDaS1L_S1M_EUlS1L_E_NS1_11comp_targetILNS1_3genE4ELNS1_11target_archE910ELNS1_3gpuE8ELNS1_3repE0EEENS1_30default_config_static_selectorELNS0_4arch9wavefront6targetE0EEEvSZ_
    .private_segment_fixed_size: 0
    .sgpr_count:     0
    .sgpr_spill_count: 0
    .symbol:         _ZN7rocprim17ROCPRIM_400000_NS6detail17trampoline_kernelINS0_13select_configILj256ELj13ELNS0_17block_load_methodE3ELS4_3ELS4_3ELNS0_20block_scan_algorithmE0ELj4294967295EEENS1_25partition_config_selectorILNS1_17partition_subalgoE3EjNS0_10empty_typeEbEEZZNS1_14partition_implILS8_3ELb0ES6_jNS0_17counting_iteratorIjlEEPS9_SE_NS0_5tupleIJPjSE_EEENSF_IJSE_SE_EEES9_SG_JZNS1_25segmented_radix_sort_implINS0_14default_configELb1EPK12hip_bfloat16PSL_PKlPlN2at6native12_GLOBAL__N_18offset_tEEE10hipError_tPvRmT1_PNSt15iterator_traitsISZ_E10value_typeET2_T3_PNS10_IS15_E10value_typeET4_jRbjT5_S1B_jjP12ihipStream_tbEUljE_EEESW_SX_SY_S15_S19_S1B_T6_T7_T9_mT8_S1D_bDpT10_ENKUlT_T0_E_clISt17integral_constantIbLb1EES1Q_EEDaS1L_S1M_EUlS1L_E_NS1_11comp_targetILNS1_3genE4ELNS1_11target_archE910ELNS1_3gpuE8ELNS1_3repE0EEENS1_30default_config_static_selectorELNS0_4arch9wavefront6targetE0EEEvSZ_.kd
    .uniform_work_group_size: 1
    .uses_dynamic_stack: false
    .vgpr_count:     0
    .vgpr_spill_count: 0
    .wavefront_size: 32
    .workgroup_processor_mode: 1
  - .args:
      - .offset:         0
        .size:           152
        .value_kind:     by_value
    .group_segment_fixed_size: 0
    .kernarg_segment_align: 8
    .kernarg_segment_size: 152
    .language:       OpenCL C
    .language_version:
      - 2
      - 0
    .max_flat_workgroup_size: 256
    .name:           _ZN7rocprim17ROCPRIM_400000_NS6detail17trampoline_kernelINS0_13select_configILj256ELj13ELNS0_17block_load_methodE3ELS4_3ELS4_3ELNS0_20block_scan_algorithmE0ELj4294967295EEENS1_25partition_config_selectorILNS1_17partition_subalgoE3EjNS0_10empty_typeEbEEZZNS1_14partition_implILS8_3ELb0ES6_jNS0_17counting_iteratorIjlEEPS9_SE_NS0_5tupleIJPjSE_EEENSF_IJSE_SE_EEES9_SG_JZNS1_25segmented_radix_sort_implINS0_14default_configELb1EPK12hip_bfloat16PSL_PKlPlN2at6native12_GLOBAL__N_18offset_tEEE10hipError_tPvRmT1_PNSt15iterator_traitsISZ_E10value_typeET2_T3_PNS10_IS15_E10value_typeET4_jRbjT5_S1B_jjP12ihipStream_tbEUljE_EEESW_SX_SY_S15_S19_S1B_T6_T7_T9_mT8_S1D_bDpT10_ENKUlT_T0_E_clISt17integral_constantIbLb1EES1Q_EEDaS1L_S1M_EUlS1L_E_NS1_11comp_targetILNS1_3genE3ELNS1_11target_archE908ELNS1_3gpuE7ELNS1_3repE0EEENS1_30default_config_static_selectorELNS0_4arch9wavefront6targetE0EEEvSZ_
    .private_segment_fixed_size: 0
    .sgpr_count:     0
    .sgpr_spill_count: 0
    .symbol:         _ZN7rocprim17ROCPRIM_400000_NS6detail17trampoline_kernelINS0_13select_configILj256ELj13ELNS0_17block_load_methodE3ELS4_3ELS4_3ELNS0_20block_scan_algorithmE0ELj4294967295EEENS1_25partition_config_selectorILNS1_17partition_subalgoE3EjNS0_10empty_typeEbEEZZNS1_14partition_implILS8_3ELb0ES6_jNS0_17counting_iteratorIjlEEPS9_SE_NS0_5tupleIJPjSE_EEENSF_IJSE_SE_EEES9_SG_JZNS1_25segmented_radix_sort_implINS0_14default_configELb1EPK12hip_bfloat16PSL_PKlPlN2at6native12_GLOBAL__N_18offset_tEEE10hipError_tPvRmT1_PNSt15iterator_traitsISZ_E10value_typeET2_T3_PNS10_IS15_E10value_typeET4_jRbjT5_S1B_jjP12ihipStream_tbEUljE_EEESW_SX_SY_S15_S19_S1B_T6_T7_T9_mT8_S1D_bDpT10_ENKUlT_T0_E_clISt17integral_constantIbLb1EES1Q_EEDaS1L_S1M_EUlS1L_E_NS1_11comp_targetILNS1_3genE3ELNS1_11target_archE908ELNS1_3gpuE7ELNS1_3repE0EEENS1_30default_config_static_selectorELNS0_4arch9wavefront6targetE0EEEvSZ_.kd
    .uniform_work_group_size: 1
    .uses_dynamic_stack: false
    .vgpr_count:     0
    .vgpr_spill_count: 0
    .wavefront_size: 32
    .workgroup_processor_mode: 1
  - .args:
      - .offset:         0
        .size:           152
        .value_kind:     by_value
    .group_segment_fixed_size: 0
    .kernarg_segment_align: 8
    .kernarg_segment_size: 152
    .language:       OpenCL C
    .language_version:
      - 2
      - 0
    .max_flat_workgroup_size: 256
    .name:           _ZN7rocprim17ROCPRIM_400000_NS6detail17trampoline_kernelINS0_13select_configILj256ELj13ELNS0_17block_load_methodE3ELS4_3ELS4_3ELNS0_20block_scan_algorithmE0ELj4294967295EEENS1_25partition_config_selectorILNS1_17partition_subalgoE3EjNS0_10empty_typeEbEEZZNS1_14partition_implILS8_3ELb0ES6_jNS0_17counting_iteratorIjlEEPS9_SE_NS0_5tupleIJPjSE_EEENSF_IJSE_SE_EEES9_SG_JZNS1_25segmented_radix_sort_implINS0_14default_configELb1EPK12hip_bfloat16PSL_PKlPlN2at6native12_GLOBAL__N_18offset_tEEE10hipError_tPvRmT1_PNSt15iterator_traitsISZ_E10value_typeET2_T3_PNS10_IS15_E10value_typeET4_jRbjT5_S1B_jjP12ihipStream_tbEUljE_EEESW_SX_SY_S15_S19_S1B_T6_T7_T9_mT8_S1D_bDpT10_ENKUlT_T0_E_clISt17integral_constantIbLb1EES1Q_EEDaS1L_S1M_EUlS1L_E_NS1_11comp_targetILNS1_3genE2ELNS1_11target_archE906ELNS1_3gpuE6ELNS1_3repE0EEENS1_30default_config_static_selectorELNS0_4arch9wavefront6targetE0EEEvSZ_
    .private_segment_fixed_size: 0
    .sgpr_count:     0
    .sgpr_spill_count: 0
    .symbol:         _ZN7rocprim17ROCPRIM_400000_NS6detail17trampoline_kernelINS0_13select_configILj256ELj13ELNS0_17block_load_methodE3ELS4_3ELS4_3ELNS0_20block_scan_algorithmE0ELj4294967295EEENS1_25partition_config_selectorILNS1_17partition_subalgoE3EjNS0_10empty_typeEbEEZZNS1_14partition_implILS8_3ELb0ES6_jNS0_17counting_iteratorIjlEEPS9_SE_NS0_5tupleIJPjSE_EEENSF_IJSE_SE_EEES9_SG_JZNS1_25segmented_radix_sort_implINS0_14default_configELb1EPK12hip_bfloat16PSL_PKlPlN2at6native12_GLOBAL__N_18offset_tEEE10hipError_tPvRmT1_PNSt15iterator_traitsISZ_E10value_typeET2_T3_PNS10_IS15_E10value_typeET4_jRbjT5_S1B_jjP12ihipStream_tbEUljE_EEESW_SX_SY_S15_S19_S1B_T6_T7_T9_mT8_S1D_bDpT10_ENKUlT_T0_E_clISt17integral_constantIbLb1EES1Q_EEDaS1L_S1M_EUlS1L_E_NS1_11comp_targetILNS1_3genE2ELNS1_11target_archE906ELNS1_3gpuE6ELNS1_3repE0EEENS1_30default_config_static_selectorELNS0_4arch9wavefront6targetE0EEEvSZ_.kd
    .uniform_work_group_size: 1
    .uses_dynamic_stack: false
    .vgpr_count:     0
    .vgpr_spill_count: 0
    .wavefront_size: 32
    .workgroup_processor_mode: 1
  - .args:
      - .offset:         0
        .size:           152
        .value_kind:     by_value
    .group_segment_fixed_size: 0
    .kernarg_segment_align: 8
    .kernarg_segment_size: 152
    .language:       OpenCL C
    .language_version:
      - 2
      - 0
    .max_flat_workgroup_size: 256
    .name:           _ZN7rocprim17ROCPRIM_400000_NS6detail17trampoline_kernelINS0_13select_configILj256ELj13ELNS0_17block_load_methodE3ELS4_3ELS4_3ELNS0_20block_scan_algorithmE0ELj4294967295EEENS1_25partition_config_selectorILNS1_17partition_subalgoE3EjNS0_10empty_typeEbEEZZNS1_14partition_implILS8_3ELb0ES6_jNS0_17counting_iteratorIjlEEPS9_SE_NS0_5tupleIJPjSE_EEENSF_IJSE_SE_EEES9_SG_JZNS1_25segmented_radix_sort_implINS0_14default_configELb1EPK12hip_bfloat16PSL_PKlPlN2at6native12_GLOBAL__N_18offset_tEEE10hipError_tPvRmT1_PNSt15iterator_traitsISZ_E10value_typeET2_T3_PNS10_IS15_E10value_typeET4_jRbjT5_S1B_jjP12ihipStream_tbEUljE_EEESW_SX_SY_S15_S19_S1B_T6_T7_T9_mT8_S1D_bDpT10_ENKUlT_T0_E_clISt17integral_constantIbLb1EES1Q_EEDaS1L_S1M_EUlS1L_E_NS1_11comp_targetILNS1_3genE10ELNS1_11target_archE1200ELNS1_3gpuE4ELNS1_3repE0EEENS1_30default_config_static_selectorELNS0_4arch9wavefront6targetE0EEEvSZ_
    .private_segment_fixed_size: 0
    .sgpr_count:     0
    .sgpr_spill_count: 0
    .symbol:         _ZN7rocprim17ROCPRIM_400000_NS6detail17trampoline_kernelINS0_13select_configILj256ELj13ELNS0_17block_load_methodE3ELS4_3ELS4_3ELNS0_20block_scan_algorithmE0ELj4294967295EEENS1_25partition_config_selectorILNS1_17partition_subalgoE3EjNS0_10empty_typeEbEEZZNS1_14partition_implILS8_3ELb0ES6_jNS0_17counting_iteratorIjlEEPS9_SE_NS0_5tupleIJPjSE_EEENSF_IJSE_SE_EEES9_SG_JZNS1_25segmented_radix_sort_implINS0_14default_configELb1EPK12hip_bfloat16PSL_PKlPlN2at6native12_GLOBAL__N_18offset_tEEE10hipError_tPvRmT1_PNSt15iterator_traitsISZ_E10value_typeET2_T3_PNS10_IS15_E10value_typeET4_jRbjT5_S1B_jjP12ihipStream_tbEUljE_EEESW_SX_SY_S15_S19_S1B_T6_T7_T9_mT8_S1D_bDpT10_ENKUlT_T0_E_clISt17integral_constantIbLb1EES1Q_EEDaS1L_S1M_EUlS1L_E_NS1_11comp_targetILNS1_3genE10ELNS1_11target_archE1200ELNS1_3gpuE4ELNS1_3repE0EEENS1_30default_config_static_selectorELNS0_4arch9wavefront6targetE0EEEvSZ_.kd
    .uniform_work_group_size: 1
    .uses_dynamic_stack: false
    .vgpr_count:     0
    .vgpr_spill_count: 0
    .wavefront_size: 32
    .workgroup_processor_mode: 1
  - .args:
      - .offset:         0
        .size:           152
        .value_kind:     by_value
    .group_segment_fixed_size: 13324
    .kernarg_segment_align: 8
    .kernarg_segment_size: 152
    .language:       OpenCL C
    .language_version:
      - 2
      - 0
    .max_flat_workgroup_size: 256
    .name:           _ZN7rocprim17ROCPRIM_400000_NS6detail17trampoline_kernelINS0_13select_configILj256ELj13ELNS0_17block_load_methodE3ELS4_3ELS4_3ELNS0_20block_scan_algorithmE0ELj4294967295EEENS1_25partition_config_selectorILNS1_17partition_subalgoE3EjNS0_10empty_typeEbEEZZNS1_14partition_implILS8_3ELb0ES6_jNS0_17counting_iteratorIjlEEPS9_SE_NS0_5tupleIJPjSE_EEENSF_IJSE_SE_EEES9_SG_JZNS1_25segmented_radix_sort_implINS0_14default_configELb1EPK12hip_bfloat16PSL_PKlPlN2at6native12_GLOBAL__N_18offset_tEEE10hipError_tPvRmT1_PNSt15iterator_traitsISZ_E10value_typeET2_T3_PNS10_IS15_E10value_typeET4_jRbjT5_S1B_jjP12ihipStream_tbEUljE_EEESW_SX_SY_S15_S19_S1B_T6_T7_T9_mT8_S1D_bDpT10_ENKUlT_T0_E_clISt17integral_constantIbLb1EES1Q_EEDaS1L_S1M_EUlS1L_E_NS1_11comp_targetILNS1_3genE9ELNS1_11target_archE1100ELNS1_3gpuE3ELNS1_3repE0EEENS1_30default_config_static_selectorELNS0_4arch9wavefront6targetE0EEEvSZ_
    .private_segment_fixed_size: 0
    .sgpr_count:     28
    .sgpr_spill_count: 0
    .symbol:         _ZN7rocprim17ROCPRIM_400000_NS6detail17trampoline_kernelINS0_13select_configILj256ELj13ELNS0_17block_load_methodE3ELS4_3ELS4_3ELNS0_20block_scan_algorithmE0ELj4294967295EEENS1_25partition_config_selectorILNS1_17partition_subalgoE3EjNS0_10empty_typeEbEEZZNS1_14partition_implILS8_3ELb0ES6_jNS0_17counting_iteratorIjlEEPS9_SE_NS0_5tupleIJPjSE_EEENSF_IJSE_SE_EEES9_SG_JZNS1_25segmented_radix_sort_implINS0_14default_configELb1EPK12hip_bfloat16PSL_PKlPlN2at6native12_GLOBAL__N_18offset_tEEE10hipError_tPvRmT1_PNSt15iterator_traitsISZ_E10value_typeET2_T3_PNS10_IS15_E10value_typeET4_jRbjT5_S1B_jjP12ihipStream_tbEUljE_EEESW_SX_SY_S15_S19_S1B_T6_T7_T9_mT8_S1D_bDpT10_ENKUlT_T0_E_clISt17integral_constantIbLb1EES1Q_EEDaS1L_S1M_EUlS1L_E_NS1_11comp_targetILNS1_3genE9ELNS1_11target_archE1100ELNS1_3gpuE3ELNS1_3repE0EEENS1_30default_config_static_selectorELNS0_4arch9wavefront6targetE0EEEvSZ_.kd
    .uniform_work_group_size: 1
    .uses_dynamic_stack: false
    .vgpr_count:     60
    .vgpr_spill_count: 0
    .wavefront_size: 32
    .workgroup_processor_mode: 1
  - .args:
      - .offset:         0
        .size:           152
        .value_kind:     by_value
    .group_segment_fixed_size: 0
    .kernarg_segment_align: 8
    .kernarg_segment_size: 152
    .language:       OpenCL C
    .language_version:
      - 2
      - 0
    .max_flat_workgroup_size: 256
    .name:           _ZN7rocprim17ROCPRIM_400000_NS6detail17trampoline_kernelINS0_13select_configILj256ELj13ELNS0_17block_load_methodE3ELS4_3ELS4_3ELNS0_20block_scan_algorithmE0ELj4294967295EEENS1_25partition_config_selectorILNS1_17partition_subalgoE3EjNS0_10empty_typeEbEEZZNS1_14partition_implILS8_3ELb0ES6_jNS0_17counting_iteratorIjlEEPS9_SE_NS0_5tupleIJPjSE_EEENSF_IJSE_SE_EEES9_SG_JZNS1_25segmented_radix_sort_implINS0_14default_configELb1EPK12hip_bfloat16PSL_PKlPlN2at6native12_GLOBAL__N_18offset_tEEE10hipError_tPvRmT1_PNSt15iterator_traitsISZ_E10value_typeET2_T3_PNS10_IS15_E10value_typeET4_jRbjT5_S1B_jjP12ihipStream_tbEUljE_EEESW_SX_SY_S15_S19_S1B_T6_T7_T9_mT8_S1D_bDpT10_ENKUlT_T0_E_clISt17integral_constantIbLb1EES1Q_EEDaS1L_S1M_EUlS1L_E_NS1_11comp_targetILNS1_3genE8ELNS1_11target_archE1030ELNS1_3gpuE2ELNS1_3repE0EEENS1_30default_config_static_selectorELNS0_4arch9wavefront6targetE0EEEvSZ_
    .private_segment_fixed_size: 0
    .sgpr_count:     0
    .sgpr_spill_count: 0
    .symbol:         _ZN7rocprim17ROCPRIM_400000_NS6detail17trampoline_kernelINS0_13select_configILj256ELj13ELNS0_17block_load_methodE3ELS4_3ELS4_3ELNS0_20block_scan_algorithmE0ELj4294967295EEENS1_25partition_config_selectorILNS1_17partition_subalgoE3EjNS0_10empty_typeEbEEZZNS1_14partition_implILS8_3ELb0ES6_jNS0_17counting_iteratorIjlEEPS9_SE_NS0_5tupleIJPjSE_EEENSF_IJSE_SE_EEES9_SG_JZNS1_25segmented_radix_sort_implINS0_14default_configELb1EPK12hip_bfloat16PSL_PKlPlN2at6native12_GLOBAL__N_18offset_tEEE10hipError_tPvRmT1_PNSt15iterator_traitsISZ_E10value_typeET2_T3_PNS10_IS15_E10value_typeET4_jRbjT5_S1B_jjP12ihipStream_tbEUljE_EEESW_SX_SY_S15_S19_S1B_T6_T7_T9_mT8_S1D_bDpT10_ENKUlT_T0_E_clISt17integral_constantIbLb1EES1Q_EEDaS1L_S1M_EUlS1L_E_NS1_11comp_targetILNS1_3genE8ELNS1_11target_archE1030ELNS1_3gpuE2ELNS1_3repE0EEENS1_30default_config_static_selectorELNS0_4arch9wavefront6targetE0EEEvSZ_.kd
    .uniform_work_group_size: 1
    .uses_dynamic_stack: false
    .vgpr_count:     0
    .vgpr_spill_count: 0
    .wavefront_size: 32
    .workgroup_processor_mode: 1
  - .args:
      - .offset:         0
        .size:           144
        .value_kind:     by_value
    .group_segment_fixed_size: 0
    .kernarg_segment_align: 8
    .kernarg_segment_size: 144
    .language:       OpenCL C
    .language_version:
      - 2
      - 0
    .max_flat_workgroup_size: 256
    .name:           _ZN7rocprim17ROCPRIM_400000_NS6detail17trampoline_kernelINS0_13select_configILj256ELj13ELNS0_17block_load_methodE3ELS4_3ELS4_3ELNS0_20block_scan_algorithmE0ELj4294967295EEENS1_25partition_config_selectorILNS1_17partition_subalgoE3EjNS0_10empty_typeEbEEZZNS1_14partition_implILS8_3ELb0ES6_jNS0_17counting_iteratorIjlEEPS9_SE_NS0_5tupleIJPjSE_EEENSF_IJSE_SE_EEES9_SG_JZNS1_25segmented_radix_sort_implINS0_14default_configELb1EPK12hip_bfloat16PSL_PKlPlN2at6native12_GLOBAL__N_18offset_tEEE10hipError_tPvRmT1_PNSt15iterator_traitsISZ_E10value_typeET2_T3_PNS10_IS15_E10value_typeET4_jRbjT5_S1B_jjP12ihipStream_tbEUljE_EEESW_SX_SY_S15_S19_S1B_T6_T7_T9_mT8_S1D_bDpT10_ENKUlT_T0_E_clISt17integral_constantIbLb1EES1P_IbLb0EEEEDaS1L_S1M_EUlS1L_E_NS1_11comp_targetILNS1_3genE0ELNS1_11target_archE4294967295ELNS1_3gpuE0ELNS1_3repE0EEENS1_30default_config_static_selectorELNS0_4arch9wavefront6targetE0EEEvSZ_
    .private_segment_fixed_size: 0
    .sgpr_count:     0
    .sgpr_spill_count: 0
    .symbol:         _ZN7rocprim17ROCPRIM_400000_NS6detail17trampoline_kernelINS0_13select_configILj256ELj13ELNS0_17block_load_methodE3ELS4_3ELS4_3ELNS0_20block_scan_algorithmE0ELj4294967295EEENS1_25partition_config_selectorILNS1_17partition_subalgoE3EjNS0_10empty_typeEbEEZZNS1_14partition_implILS8_3ELb0ES6_jNS0_17counting_iteratorIjlEEPS9_SE_NS0_5tupleIJPjSE_EEENSF_IJSE_SE_EEES9_SG_JZNS1_25segmented_radix_sort_implINS0_14default_configELb1EPK12hip_bfloat16PSL_PKlPlN2at6native12_GLOBAL__N_18offset_tEEE10hipError_tPvRmT1_PNSt15iterator_traitsISZ_E10value_typeET2_T3_PNS10_IS15_E10value_typeET4_jRbjT5_S1B_jjP12ihipStream_tbEUljE_EEESW_SX_SY_S15_S19_S1B_T6_T7_T9_mT8_S1D_bDpT10_ENKUlT_T0_E_clISt17integral_constantIbLb1EES1P_IbLb0EEEEDaS1L_S1M_EUlS1L_E_NS1_11comp_targetILNS1_3genE0ELNS1_11target_archE4294967295ELNS1_3gpuE0ELNS1_3repE0EEENS1_30default_config_static_selectorELNS0_4arch9wavefront6targetE0EEEvSZ_.kd
    .uniform_work_group_size: 1
    .uses_dynamic_stack: false
    .vgpr_count:     0
    .vgpr_spill_count: 0
    .wavefront_size: 32
    .workgroup_processor_mode: 1
  - .args:
      - .offset:         0
        .size:           144
        .value_kind:     by_value
    .group_segment_fixed_size: 0
    .kernarg_segment_align: 8
    .kernarg_segment_size: 144
    .language:       OpenCL C
    .language_version:
      - 2
      - 0
    .max_flat_workgroup_size: 256
    .name:           _ZN7rocprim17ROCPRIM_400000_NS6detail17trampoline_kernelINS0_13select_configILj256ELj13ELNS0_17block_load_methodE3ELS4_3ELS4_3ELNS0_20block_scan_algorithmE0ELj4294967295EEENS1_25partition_config_selectorILNS1_17partition_subalgoE3EjNS0_10empty_typeEbEEZZNS1_14partition_implILS8_3ELb0ES6_jNS0_17counting_iteratorIjlEEPS9_SE_NS0_5tupleIJPjSE_EEENSF_IJSE_SE_EEES9_SG_JZNS1_25segmented_radix_sort_implINS0_14default_configELb1EPK12hip_bfloat16PSL_PKlPlN2at6native12_GLOBAL__N_18offset_tEEE10hipError_tPvRmT1_PNSt15iterator_traitsISZ_E10value_typeET2_T3_PNS10_IS15_E10value_typeET4_jRbjT5_S1B_jjP12ihipStream_tbEUljE_EEESW_SX_SY_S15_S19_S1B_T6_T7_T9_mT8_S1D_bDpT10_ENKUlT_T0_E_clISt17integral_constantIbLb1EES1P_IbLb0EEEEDaS1L_S1M_EUlS1L_E_NS1_11comp_targetILNS1_3genE5ELNS1_11target_archE942ELNS1_3gpuE9ELNS1_3repE0EEENS1_30default_config_static_selectorELNS0_4arch9wavefront6targetE0EEEvSZ_
    .private_segment_fixed_size: 0
    .sgpr_count:     0
    .sgpr_spill_count: 0
    .symbol:         _ZN7rocprim17ROCPRIM_400000_NS6detail17trampoline_kernelINS0_13select_configILj256ELj13ELNS0_17block_load_methodE3ELS4_3ELS4_3ELNS0_20block_scan_algorithmE0ELj4294967295EEENS1_25partition_config_selectorILNS1_17partition_subalgoE3EjNS0_10empty_typeEbEEZZNS1_14partition_implILS8_3ELb0ES6_jNS0_17counting_iteratorIjlEEPS9_SE_NS0_5tupleIJPjSE_EEENSF_IJSE_SE_EEES9_SG_JZNS1_25segmented_radix_sort_implINS0_14default_configELb1EPK12hip_bfloat16PSL_PKlPlN2at6native12_GLOBAL__N_18offset_tEEE10hipError_tPvRmT1_PNSt15iterator_traitsISZ_E10value_typeET2_T3_PNS10_IS15_E10value_typeET4_jRbjT5_S1B_jjP12ihipStream_tbEUljE_EEESW_SX_SY_S15_S19_S1B_T6_T7_T9_mT8_S1D_bDpT10_ENKUlT_T0_E_clISt17integral_constantIbLb1EES1P_IbLb0EEEEDaS1L_S1M_EUlS1L_E_NS1_11comp_targetILNS1_3genE5ELNS1_11target_archE942ELNS1_3gpuE9ELNS1_3repE0EEENS1_30default_config_static_selectorELNS0_4arch9wavefront6targetE0EEEvSZ_.kd
    .uniform_work_group_size: 1
    .uses_dynamic_stack: false
    .vgpr_count:     0
    .vgpr_spill_count: 0
    .wavefront_size: 32
    .workgroup_processor_mode: 1
  - .args:
      - .offset:         0
        .size:           144
        .value_kind:     by_value
    .group_segment_fixed_size: 0
    .kernarg_segment_align: 8
    .kernarg_segment_size: 144
    .language:       OpenCL C
    .language_version:
      - 2
      - 0
    .max_flat_workgroup_size: 256
    .name:           _ZN7rocprim17ROCPRIM_400000_NS6detail17trampoline_kernelINS0_13select_configILj256ELj13ELNS0_17block_load_methodE3ELS4_3ELS4_3ELNS0_20block_scan_algorithmE0ELj4294967295EEENS1_25partition_config_selectorILNS1_17partition_subalgoE3EjNS0_10empty_typeEbEEZZNS1_14partition_implILS8_3ELb0ES6_jNS0_17counting_iteratorIjlEEPS9_SE_NS0_5tupleIJPjSE_EEENSF_IJSE_SE_EEES9_SG_JZNS1_25segmented_radix_sort_implINS0_14default_configELb1EPK12hip_bfloat16PSL_PKlPlN2at6native12_GLOBAL__N_18offset_tEEE10hipError_tPvRmT1_PNSt15iterator_traitsISZ_E10value_typeET2_T3_PNS10_IS15_E10value_typeET4_jRbjT5_S1B_jjP12ihipStream_tbEUljE_EEESW_SX_SY_S15_S19_S1B_T6_T7_T9_mT8_S1D_bDpT10_ENKUlT_T0_E_clISt17integral_constantIbLb1EES1P_IbLb0EEEEDaS1L_S1M_EUlS1L_E_NS1_11comp_targetILNS1_3genE4ELNS1_11target_archE910ELNS1_3gpuE8ELNS1_3repE0EEENS1_30default_config_static_selectorELNS0_4arch9wavefront6targetE0EEEvSZ_
    .private_segment_fixed_size: 0
    .sgpr_count:     0
    .sgpr_spill_count: 0
    .symbol:         _ZN7rocprim17ROCPRIM_400000_NS6detail17trampoline_kernelINS0_13select_configILj256ELj13ELNS0_17block_load_methodE3ELS4_3ELS4_3ELNS0_20block_scan_algorithmE0ELj4294967295EEENS1_25partition_config_selectorILNS1_17partition_subalgoE3EjNS0_10empty_typeEbEEZZNS1_14partition_implILS8_3ELb0ES6_jNS0_17counting_iteratorIjlEEPS9_SE_NS0_5tupleIJPjSE_EEENSF_IJSE_SE_EEES9_SG_JZNS1_25segmented_radix_sort_implINS0_14default_configELb1EPK12hip_bfloat16PSL_PKlPlN2at6native12_GLOBAL__N_18offset_tEEE10hipError_tPvRmT1_PNSt15iterator_traitsISZ_E10value_typeET2_T3_PNS10_IS15_E10value_typeET4_jRbjT5_S1B_jjP12ihipStream_tbEUljE_EEESW_SX_SY_S15_S19_S1B_T6_T7_T9_mT8_S1D_bDpT10_ENKUlT_T0_E_clISt17integral_constantIbLb1EES1P_IbLb0EEEEDaS1L_S1M_EUlS1L_E_NS1_11comp_targetILNS1_3genE4ELNS1_11target_archE910ELNS1_3gpuE8ELNS1_3repE0EEENS1_30default_config_static_selectorELNS0_4arch9wavefront6targetE0EEEvSZ_.kd
    .uniform_work_group_size: 1
    .uses_dynamic_stack: false
    .vgpr_count:     0
    .vgpr_spill_count: 0
    .wavefront_size: 32
    .workgroup_processor_mode: 1
  - .args:
      - .offset:         0
        .size:           144
        .value_kind:     by_value
    .group_segment_fixed_size: 0
    .kernarg_segment_align: 8
    .kernarg_segment_size: 144
    .language:       OpenCL C
    .language_version:
      - 2
      - 0
    .max_flat_workgroup_size: 256
    .name:           _ZN7rocprim17ROCPRIM_400000_NS6detail17trampoline_kernelINS0_13select_configILj256ELj13ELNS0_17block_load_methodE3ELS4_3ELS4_3ELNS0_20block_scan_algorithmE0ELj4294967295EEENS1_25partition_config_selectorILNS1_17partition_subalgoE3EjNS0_10empty_typeEbEEZZNS1_14partition_implILS8_3ELb0ES6_jNS0_17counting_iteratorIjlEEPS9_SE_NS0_5tupleIJPjSE_EEENSF_IJSE_SE_EEES9_SG_JZNS1_25segmented_radix_sort_implINS0_14default_configELb1EPK12hip_bfloat16PSL_PKlPlN2at6native12_GLOBAL__N_18offset_tEEE10hipError_tPvRmT1_PNSt15iterator_traitsISZ_E10value_typeET2_T3_PNS10_IS15_E10value_typeET4_jRbjT5_S1B_jjP12ihipStream_tbEUljE_EEESW_SX_SY_S15_S19_S1B_T6_T7_T9_mT8_S1D_bDpT10_ENKUlT_T0_E_clISt17integral_constantIbLb1EES1P_IbLb0EEEEDaS1L_S1M_EUlS1L_E_NS1_11comp_targetILNS1_3genE3ELNS1_11target_archE908ELNS1_3gpuE7ELNS1_3repE0EEENS1_30default_config_static_selectorELNS0_4arch9wavefront6targetE0EEEvSZ_
    .private_segment_fixed_size: 0
    .sgpr_count:     0
    .sgpr_spill_count: 0
    .symbol:         _ZN7rocprim17ROCPRIM_400000_NS6detail17trampoline_kernelINS0_13select_configILj256ELj13ELNS0_17block_load_methodE3ELS4_3ELS4_3ELNS0_20block_scan_algorithmE0ELj4294967295EEENS1_25partition_config_selectorILNS1_17partition_subalgoE3EjNS0_10empty_typeEbEEZZNS1_14partition_implILS8_3ELb0ES6_jNS0_17counting_iteratorIjlEEPS9_SE_NS0_5tupleIJPjSE_EEENSF_IJSE_SE_EEES9_SG_JZNS1_25segmented_radix_sort_implINS0_14default_configELb1EPK12hip_bfloat16PSL_PKlPlN2at6native12_GLOBAL__N_18offset_tEEE10hipError_tPvRmT1_PNSt15iterator_traitsISZ_E10value_typeET2_T3_PNS10_IS15_E10value_typeET4_jRbjT5_S1B_jjP12ihipStream_tbEUljE_EEESW_SX_SY_S15_S19_S1B_T6_T7_T9_mT8_S1D_bDpT10_ENKUlT_T0_E_clISt17integral_constantIbLb1EES1P_IbLb0EEEEDaS1L_S1M_EUlS1L_E_NS1_11comp_targetILNS1_3genE3ELNS1_11target_archE908ELNS1_3gpuE7ELNS1_3repE0EEENS1_30default_config_static_selectorELNS0_4arch9wavefront6targetE0EEEvSZ_.kd
    .uniform_work_group_size: 1
    .uses_dynamic_stack: false
    .vgpr_count:     0
    .vgpr_spill_count: 0
    .wavefront_size: 32
    .workgroup_processor_mode: 1
  - .args:
      - .offset:         0
        .size:           144
        .value_kind:     by_value
    .group_segment_fixed_size: 0
    .kernarg_segment_align: 8
    .kernarg_segment_size: 144
    .language:       OpenCL C
    .language_version:
      - 2
      - 0
    .max_flat_workgroup_size: 256
    .name:           _ZN7rocprim17ROCPRIM_400000_NS6detail17trampoline_kernelINS0_13select_configILj256ELj13ELNS0_17block_load_methodE3ELS4_3ELS4_3ELNS0_20block_scan_algorithmE0ELj4294967295EEENS1_25partition_config_selectorILNS1_17partition_subalgoE3EjNS0_10empty_typeEbEEZZNS1_14partition_implILS8_3ELb0ES6_jNS0_17counting_iteratorIjlEEPS9_SE_NS0_5tupleIJPjSE_EEENSF_IJSE_SE_EEES9_SG_JZNS1_25segmented_radix_sort_implINS0_14default_configELb1EPK12hip_bfloat16PSL_PKlPlN2at6native12_GLOBAL__N_18offset_tEEE10hipError_tPvRmT1_PNSt15iterator_traitsISZ_E10value_typeET2_T3_PNS10_IS15_E10value_typeET4_jRbjT5_S1B_jjP12ihipStream_tbEUljE_EEESW_SX_SY_S15_S19_S1B_T6_T7_T9_mT8_S1D_bDpT10_ENKUlT_T0_E_clISt17integral_constantIbLb1EES1P_IbLb0EEEEDaS1L_S1M_EUlS1L_E_NS1_11comp_targetILNS1_3genE2ELNS1_11target_archE906ELNS1_3gpuE6ELNS1_3repE0EEENS1_30default_config_static_selectorELNS0_4arch9wavefront6targetE0EEEvSZ_
    .private_segment_fixed_size: 0
    .sgpr_count:     0
    .sgpr_spill_count: 0
    .symbol:         _ZN7rocprim17ROCPRIM_400000_NS6detail17trampoline_kernelINS0_13select_configILj256ELj13ELNS0_17block_load_methodE3ELS4_3ELS4_3ELNS0_20block_scan_algorithmE0ELj4294967295EEENS1_25partition_config_selectorILNS1_17partition_subalgoE3EjNS0_10empty_typeEbEEZZNS1_14partition_implILS8_3ELb0ES6_jNS0_17counting_iteratorIjlEEPS9_SE_NS0_5tupleIJPjSE_EEENSF_IJSE_SE_EEES9_SG_JZNS1_25segmented_radix_sort_implINS0_14default_configELb1EPK12hip_bfloat16PSL_PKlPlN2at6native12_GLOBAL__N_18offset_tEEE10hipError_tPvRmT1_PNSt15iterator_traitsISZ_E10value_typeET2_T3_PNS10_IS15_E10value_typeET4_jRbjT5_S1B_jjP12ihipStream_tbEUljE_EEESW_SX_SY_S15_S19_S1B_T6_T7_T9_mT8_S1D_bDpT10_ENKUlT_T0_E_clISt17integral_constantIbLb1EES1P_IbLb0EEEEDaS1L_S1M_EUlS1L_E_NS1_11comp_targetILNS1_3genE2ELNS1_11target_archE906ELNS1_3gpuE6ELNS1_3repE0EEENS1_30default_config_static_selectorELNS0_4arch9wavefront6targetE0EEEvSZ_.kd
    .uniform_work_group_size: 1
    .uses_dynamic_stack: false
    .vgpr_count:     0
    .vgpr_spill_count: 0
    .wavefront_size: 32
    .workgroup_processor_mode: 1
  - .args:
      - .offset:         0
        .size:           144
        .value_kind:     by_value
    .group_segment_fixed_size: 0
    .kernarg_segment_align: 8
    .kernarg_segment_size: 144
    .language:       OpenCL C
    .language_version:
      - 2
      - 0
    .max_flat_workgroup_size: 256
    .name:           _ZN7rocprim17ROCPRIM_400000_NS6detail17trampoline_kernelINS0_13select_configILj256ELj13ELNS0_17block_load_methodE3ELS4_3ELS4_3ELNS0_20block_scan_algorithmE0ELj4294967295EEENS1_25partition_config_selectorILNS1_17partition_subalgoE3EjNS0_10empty_typeEbEEZZNS1_14partition_implILS8_3ELb0ES6_jNS0_17counting_iteratorIjlEEPS9_SE_NS0_5tupleIJPjSE_EEENSF_IJSE_SE_EEES9_SG_JZNS1_25segmented_radix_sort_implINS0_14default_configELb1EPK12hip_bfloat16PSL_PKlPlN2at6native12_GLOBAL__N_18offset_tEEE10hipError_tPvRmT1_PNSt15iterator_traitsISZ_E10value_typeET2_T3_PNS10_IS15_E10value_typeET4_jRbjT5_S1B_jjP12ihipStream_tbEUljE_EEESW_SX_SY_S15_S19_S1B_T6_T7_T9_mT8_S1D_bDpT10_ENKUlT_T0_E_clISt17integral_constantIbLb1EES1P_IbLb0EEEEDaS1L_S1M_EUlS1L_E_NS1_11comp_targetILNS1_3genE10ELNS1_11target_archE1200ELNS1_3gpuE4ELNS1_3repE0EEENS1_30default_config_static_selectorELNS0_4arch9wavefront6targetE0EEEvSZ_
    .private_segment_fixed_size: 0
    .sgpr_count:     0
    .sgpr_spill_count: 0
    .symbol:         _ZN7rocprim17ROCPRIM_400000_NS6detail17trampoline_kernelINS0_13select_configILj256ELj13ELNS0_17block_load_methodE3ELS4_3ELS4_3ELNS0_20block_scan_algorithmE0ELj4294967295EEENS1_25partition_config_selectorILNS1_17partition_subalgoE3EjNS0_10empty_typeEbEEZZNS1_14partition_implILS8_3ELb0ES6_jNS0_17counting_iteratorIjlEEPS9_SE_NS0_5tupleIJPjSE_EEENSF_IJSE_SE_EEES9_SG_JZNS1_25segmented_radix_sort_implINS0_14default_configELb1EPK12hip_bfloat16PSL_PKlPlN2at6native12_GLOBAL__N_18offset_tEEE10hipError_tPvRmT1_PNSt15iterator_traitsISZ_E10value_typeET2_T3_PNS10_IS15_E10value_typeET4_jRbjT5_S1B_jjP12ihipStream_tbEUljE_EEESW_SX_SY_S15_S19_S1B_T6_T7_T9_mT8_S1D_bDpT10_ENKUlT_T0_E_clISt17integral_constantIbLb1EES1P_IbLb0EEEEDaS1L_S1M_EUlS1L_E_NS1_11comp_targetILNS1_3genE10ELNS1_11target_archE1200ELNS1_3gpuE4ELNS1_3repE0EEENS1_30default_config_static_selectorELNS0_4arch9wavefront6targetE0EEEvSZ_.kd
    .uniform_work_group_size: 1
    .uses_dynamic_stack: false
    .vgpr_count:     0
    .vgpr_spill_count: 0
    .wavefront_size: 32
    .workgroup_processor_mode: 1
  - .args:
      - .offset:         0
        .size:           144
        .value_kind:     by_value
    .group_segment_fixed_size: 13324
    .kernarg_segment_align: 8
    .kernarg_segment_size: 144
    .language:       OpenCL C
    .language_version:
      - 2
      - 0
    .max_flat_workgroup_size: 256
    .name:           _ZN7rocprim17ROCPRIM_400000_NS6detail17trampoline_kernelINS0_13select_configILj256ELj13ELNS0_17block_load_methodE3ELS4_3ELS4_3ELNS0_20block_scan_algorithmE0ELj4294967295EEENS1_25partition_config_selectorILNS1_17partition_subalgoE3EjNS0_10empty_typeEbEEZZNS1_14partition_implILS8_3ELb0ES6_jNS0_17counting_iteratorIjlEEPS9_SE_NS0_5tupleIJPjSE_EEENSF_IJSE_SE_EEES9_SG_JZNS1_25segmented_radix_sort_implINS0_14default_configELb1EPK12hip_bfloat16PSL_PKlPlN2at6native12_GLOBAL__N_18offset_tEEE10hipError_tPvRmT1_PNSt15iterator_traitsISZ_E10value_typeET2_T3_PNS10_IS15_E10value_typeET4_jRbjT5_S1B_jjP12ihipStream_tbEUljE_EEESW_SX_SY_S15_S19_S1B_T6_T7_T9_mT8_S1D_bDpT10_ENKUlT_T0_E_clISt17integral_constantIbLb1EES1P_IbLb0EEEEDaS1L_S1M_EUlS1L_E_NS1_11comp_targetILNS1_3genE9ELNS1_11target_archE1100ELNS1_3gpuE3ELNS1_3repE0EEENS1_30default_config_static_selectorELNS0_4arch9wavefront6targetE0EEEvSZ_
    .private_segment_fixed_size: 0
    .sgpr_count:     30
    .sgpr_spill_count: 0
    .symbol:         _ZN7rocprim17ROCPRIM_400000_NS6detail17trampoline_kernelINS0_13select_configILj256ELj13ELNS0_17block_load_methodE3ELS4_3ELS4_3ELNS0_20block_scan_algorithmE0ELj4294967295EEENS1_25partition_config_selectorILNS1_17partition_subalgoE3EjNS0_10empty_typeEbEEZZNS1_14partition_implILS8_3ELb0ES6_jNS0_17counting_iteratorIjlEEPS9_SE_NS0_5tupleIJPjSE_EEENSF_IJSE_SE_EEES9_SG_JZNS1_25segmented_radix_sort_implINS0_14default_configELb1EPK12hip_bfloat16PSL_PKlPlN2at6native12_GLOBAL__N_18offset_tEEE10hipError_tPvRmT1_PNSt15iterator_traitsISZ_E10value_typeET2_T3_PNS10_IS15_E10value_typeET4_jRbjT5_S1B_jjP12ihipStream_tbEUljE_EEESW_SX_SY_S15_S19_S1B_T6_T7_T9_mT8_S1D_bDpT10_ENKUlT_T0_E_clISt17integral_constantIbLb1EES1P_IbLb0EEEEDaS1L_S1M_EUlS1L_E_NS1_11comp_targetILNS1_3genE9ELNS1_11target_archE1100ELNS1_3gpuE3ELNS1_3repE0EEENS1_30default_config_static_selectorELNS0_4arch9wavefront6targetE0EEEvSZ_.kd
    .uniform_work_group_size: 1
    .uses_dynamic_stack: false
    .vgpr_count:     57
    .vgpr_spill_count: 0
    .wavefront_size: 32
    .workgroup_processor_mode: 1
  - .args:
      - .offset:         0
        .size:           144
        .value_kind:     by_value
    .group_segment_fixed_size: 0
    .kernarg_segment_align: 8
    .kernarg_segment_size: 144
    .language:       OpenCL C
    .language_version:
      - 2
      - 0
    .max_flat_workgroup_size: 256
    .name:           _ZN7rocprim17ROCPRIM_400000_NS6detail17trampoline_kernelINS0_13select_configILj256ELj13ELNS0_17block_load_methodE3ELS4_3ELS4_3ELNS0_20block_scan_algorithmE0ELj4294967295EEENS1_25partition_config_selectorILNS1_17partition_subalgoE3EjNS0_10empty_typeEbEEZZNS1_14partition_implILS8_3ELb0ES6_jNS0_17counting_iteratorIjlEEPS9_SE_NS0_5tupleIJPjSE_EEENSF_IJSE_SE_EEES9_SG_JZNS1_25segmented_radix_sort_implINS0_14default_configELb1EPK12hip_bfloat16PSL_PKlPlN2at6native12_GLOBAL__N_18offset_tEEE10hipError_tPvRmT1_PNSt15iterator_traitsISZ_E10value_typeET2_T3_PNS10_IS15_E10value_typeET4_jRbjT5_S1B_jjP12ihipStream_tbEUljE_EEESW_SX_SY_S15_S19_S1B_T6_T7_T9_mT8_S1D_bDpT10_ENKUlT_T0_E_clISt17integral_constantIbLb1EES1P_IbLb0EEEEDaS1L_S1M_EUlS1L_E_NS1_11comp_targetILNS1_3genE8ELNS1_11target_archE1030ELNS1_3gpuE2ELNS1_3repE0EEENS1_30default_config_static_selectorELNS0_4arch9wavefront6targetE0EEEvSZ_
    .private_segment_fixed_size: 0
    .sgpr_count:     0
    .sgpr_spill_count: 0
    .symbol:         _ZN7rocprim17ROCPRIM_400000_NS6detail17trampoline_kernelINS0_13select_configILj256ELj13ELNS0_17block_load_methodE3ELS4_3ELS4_3ELNS0_20block_scan_algorithmE0ELj4294967295EEENS1_25partition_config_selectorILNS1_17partition_subalgoE3EjNS0_10empty_typeEbEEZZNS1_14partition_implILS8_3ELb0ES6_jNS0_17counting_iteratorIjlEEPS9_SE_NS0_5tupleIJPjSE_EEENSF_IJSE_SE_EEES9_SG_JZNS1_25segmented_radix_sort_implINS0_14default_configELb1EPK12hip_bfloat16PSL_PKlPlN2at6native12_GLOBAL__N_18offset_tEEE10hipError_tPvRmT1_PNSt15iterator_traitsISZ_E10value_typeET2_T3_PNS10_IS15_E10value_typeET4_jRbjT5_S1B_jjP12ihipStream_tbEUljE_EEESW_SX_SY_S15_S19_S1B_T6_T7_T9_mT8_S1D_bDpT10_ENKUlT_T0_E_clISt17integral_constantIbLb1EES1P_IbLb0EEEEDaS1L_S1M_EUlS1L_E_NS1_11comp_targetILNS1_3genE8ELNS1_11target_archE1030ELNS1_3gpuE2ELNS1_3repE0EEENS1_30default_config_static_selectorELNS0_4arch9wavefront6targetE0EEEvSZ_.kd
    .uniform_work_group_size: 1
    .uses_dynamic_stack: false
    .vgpr_count:     0
    .vgpr_spill_count: 0
    .wavefront_size: 32
    .workgroup_processor_mode: 1
  - .args:
      - .offset:         0
        .size:           152
        .value_kind:     by_value
    .group_segment_fixed_size: 0
    .kernarg_segment_align: 8
    .kernarg_segment_size: 152
    .language:       OpenCL C
    .language_version:
      - 2
      - 0
    .max_flat_workgroup_size: 256
    .name:           _ZN7rocprim17ROCPRIM_400000_NS6detail17trampoline_kernelINS0_13select_configILj256ELj13ELNS0_17block_load_methodE3ELS4_3ELS4_3ELNS0_20block_scan_algorithmE0ELj4294967295EEENS1_25partition_config_selectorILNS1_17partition_subalgoE3EjNS0_10empty_typeEbEEZZNS1_14partition_implILS8_3ELb0ES6_jNS0_17counting_iteratorIjlEEPS9_SE_NS0_5tupleIJPjSE_EEENSF_IJSE_SE_EEES9_SG_JZNS1_25segmented_radix_sort_implINS0_14default_configELb1EPK12hip_bfloat16PSL_PKlPlN2at6native12_GLOBAL__N_18offset_tEEE10hipError_tPvRmT1_PNSt15iterator_traitsISZ_E10value_typeET2_T3_PNS10_IS15_E10value_typeET4_jRbjT5_S1B_jjP12ihipStream_tbEUljE_EEESW_SX_SY_S15_S19_S1B_T6_T7_T9_mT8_S1D_bDpT10_ENKUlT_T0_E_clISt17integral_constantIbLb0EES1P_IbLb1EEEEDaS1L_S1M_EUlS1L_E_NS1_11comp_targetILNS1_3genE0ELNS1_11target_archE4294967295ELNS1_3gpuE0ELNS1_3repE0EEENS1_30default_config_static_selectorELNS0_4arch9wavefront6targetE0EEEvSZ_
    .private_segment_fixed_size: 0
    .sgpr_count:     0
    .sgpr_spill_count: 0
    .symbol:         _ZN7rocprim17ROCPRIM_400000_NS6detail17trampoline_kernelINS0_13select_configILj256ELj13ELNS0_17block_load_methodE3ELS4_3ELS4_3ELNS0_20block_scan_algorithmE0ELj4294967295EEENS1_25partition_config_selectorILNS1_17partition_subalgoE3EjNS0_10empty_typeEbEEZZNS1_14partition_implILS8_3ELb0ES6_jNS0_17counting_iteratorIjlEEPS9_SE_NS0_5tupleIJPjSE_EEENSF_IJSE_SE_EEES9_SG_JZNS1_25segmented_radix_sort_implINS0_14default_configELb1EPK12hip_bfloat16PSL_PKlPlN2at6native12_GLOBAL__N_18offset_tEEE10hipError_tPvRmT1_PNSt15iterator_traitsISZ_E10value_typeET2_T3_PNS10_IS15_E10value_typeET4_jRbjT5_S1B_jjP12ihipStream_tbEUljE_EEESW_SX_SY_S15_S19_S1B_T6_T7_T9_mT8_S1D_bDpT10_ENKUlT_T0_E_clISt17integral_constantIbLb0EES1P_IbLb1EEEEDaS1L_S1M_EUlS1L_E_NS1_11comp_targetILNS1_3genE0ELNS1_11target_archE4294967295ELNS1_3gpuE0ELNS1_3repE0EEENS1_30default_config_static_selectorELNS0_4arch9wavefront6targetE0EEEvSZ_.kd
    .uniform_work_group_size: 1
    .uses_dynamic_stack: false
    .vgpr_count:     0
    .vgpr_spill_count: 0
    .wavefront_size: 32
    .workgroup_processor_mode: 1
  - .args:
      - .offset:         0
        .size:           152
        .value_kind:     by_value
    .group_segment_fixed_size: 0
    .kernarg_segment_align: 8
    .kernarg_segment_size: 152
    .language:       OpenCL C
    .language_version:
      - 2
      - 0
    .max_flat_workgroup_size: 256
    .name:           _ZN7rocprim17ROCPRIM_400000_NS6detail17trampoline_kernelINS0_13select_configILj256ELj13ELNS0_17block_load_methodE3ELS4_3ELS4_3ELNS0_20block_scan_algorithmE0ELj4294967295EEENS1_25partition_config_selectorILNS1_17partition_subalgoE3EjNS0_10empty_typeEbEEZZNS1_14partition_implILS8_3ELb0ES6_jNS0_17counting_iteratorIjlEEPS9_SE_NS0_5tupleIJPjSE_EEENSF_IJSE_SE_EEES9_SG_JZNS1_25segmented_radix_sort_implINS0_14default_configELb1EPK12hip_bfloat16PSL_PKlPlN2at6native12_GLOBAL__N_18offset_tEEE10hipError_tPvRmT1_PNSt15iterator_traitsISZ_E10value_typeET2_T3_PNS10_IS15_E10value_typeET4_jRbjT5_S1B_jjP12ihipStream_tbEUljE_EEESW_SX_SY_S15_S19_S1B_T6_T7_T9_mT8_S1D_bDpT10_ENKUlT_T0_E_clISt17integral_constantIbLb0EES1P_IbLb1EEEEDaS1L_S1M_EUlS1L_E_NS1_11comp_targetILNS1_3genE5ELNS1_11target_archE942ELNS1_3gpuE9ELNS1_3repE0EEENS1_30default_config_static_selectorELNS0_4arch9wavefront6targetE0EEEvSZ_
    .private_segment_fixed_size: 0
    .sgpr_count:     0
    .sgpr_spill_count: 0
    .symbol:         _ZN7rocprim17ROCPRIM_400000_NS6detail17trampoline_kernelINS0_13select_configILj256ELj13ELNS0_17block_load_methodE3ELS4_3ELS4_3ELNS0_20block_scan_algorithmE0ELj4294967295EEENS1_25partition_config_selectorILNS1_17partition_subalgoE3EjNS0_10empty_typeEbEEZZNS1_14partition_implILS8_3ELb0ES6_jNS0_17counting_iteratorIjlEEPS9_SE_NS0_5tupleIJPjSE_EEENSF_IJSE_SE_EEES9_SG_JZNS1_25segmented_radix_sort_implINS0_14default_configELb1EPK12hip_bfloat16PSL_PKlPlN2at6native12_GLOBAL__N_18offset_tEEE10hipError_tPvRmT1_PNSt15iterator_traitsISZ_E10value_typeET2_T3_PNS10_IS15_E10value_typeET4_jRbjT5_S1B_jjP12ihipStream_tbEUljE_EEESW_SX_SY_S15_S19_S1B_T6_T7_T9_mT8_S1D_bDpT10_ENKUlT_T0_E_clISt17integral_constantIbLb0EES1P_IbLb1EEEEDaS1L_S1M_EUlS1L_E_NS1_11comp_targetILNS1_3genE5ELNS1_11target_archE942ELNS1_3gpuE9ELNS1_3repE0EEENS1_30default_config_static_selectorELNS0_4arch9wavefront6targetE0EEEvSZ_.kd
    .uniform_work_group_size: 1
    .uses_dynamic_stack: false
    .vgpr_count:     0
    .vgpr_spill_count: 0
    .wavefront_size: 32
    .workgroup_processor_mode: 1
  - .args:
      - .offset:         0
        .size:           152
        .value_kind:     by_value
    .group_segment_fixed_size: 0
    .kernarg_segment_align: 8
    .kernarg_segment_size: 152
    .language:       OpenCL C
    .language_version:
      - 2
      - 0
    .max_flat_workgroup_size: 256
    .name:           _ZN7rocprim17ROCPRIM_400000_NS6detail17trampoline_kernelINS0_13select_configILj256ELj13ELNS0_17block_load_methodE3ELS4_3ELS4_3ELNS0_20block_scan_algorithmE0ELj4294967295EEENS1_25partition_config_selectorILNS1_17partition_subalgoE3EjNS0_10empty_typeEbEEZZNS1_14partition_implILS8_3ELb0ES6_jNS0_17counting_iteratorIjlEEPS9_SE_NS0_5tupleIJPjSE_EEENSF_IJSE_SE_EEES9_SG_JZNS1_25segmented_radix_sort_implINS0_14default_configELb1EPK12hip_bfloat16PSL_PKlPlN2at6native12_GLOBAL__N_18offset_tEEE10hipError_tPvRmT1_PNSt15iterator_traitsISZ_E10value_typeET2_T3_PNS10_IS15_E10value_typeET4_jRbjT5_S1B_jjP12ihipStream_tbEUljE_EEESW_SX_SY_S15_S19_S1B_T6_T7_T9_mT8_S1D_bDpT10_ENKUlT_T0_E_clISt17integral_constantIbLb0EES1P_IbLb1EEEEDaS1L_S1M_EUlS1L_E_NS1_11comp_targetILNS1_3genE4ELNS1_11target_archE910ELNS1_3gpuE8ELNS1_3repE0EEENS1_30default_config_static_selectorELNS0_4arch9wavefront6targetE0EEEvSZ_
    .private_segment_fixed_size: 0
    .sgpr_count:     0
    .sgpr_spill_count: 0
    .symbol:         _ZN7rocprim17ROCPRIM_400000_NS6detail17trampoline_kernelINS0_13select_configILj256ELj13ELNS0_17block_load_methodE3ELS4_3ELS4_3ELNS0_20block_scan_algorithmE0ELj4294967295EEENS1_25partition_config_selectorILNS1_17partition_subalgoE3EjNS0_10empty_typeEbEEZZNS1_14partition_implILS8_3ELb0ES6_jNS0_17counting_iteratorIjlEEPS9_SE_NS0_5tupleIJPjSE_EEENSF_IJSE_SE_EEES9_SG_JZNS1_25segmented_radix_sort_implINS0_14default_configELb1EPK12hip_bfloat16PSL_PKlPlN2at6native12_GLOBAL__N_18offset_tEEE10hipError_tPvRmT1_PNSt15iterator_traitsISZ_E10value_typeET2_T3_PNS10_IS15_E10value_typeET4_jRbjT5_S1B_jjP12ihipStream_tbEUljE_EEESW_SX_SY_S15_S19_S1B_T6_T7_T9_mT8_S1D_bDpT10_ENKUlT_T0_E_clISt17integral_constantIbLb0EES1P_IbLb1EEEEDaS1L_S1M_EUlS1L_E_NS1_11comp_targetILNS1_3genE4ELNS1_11target_archE910ELNS1_3gpuE8ELNS1_3repE0EEENS1_30default_config_static_selectorELNS0_4arch9wavefront6targetE0EEEvSZ_.kd
    .uniform_work_group_size: 1
    .uses_dynamic_stack: false
    .vgpr_count:     0
    .vgpr_spill_count: 0
    .wavefront_size: 32
    .workgroup_processor_mode: 1
  - .args:
      - .offset:         0
        .size:           152
        .value_kind:     by_value
    .group_segment_fixed_size: 0
    .kernarg_segment_align: 8
    .kernarg_segment_size: 152
    .language:       OpenCL C
    .language_version:
      - 2
      - 0
    .max_flat_workgroup_size: 256
    .name:           _ZN7rocprim17ROCPRIM_400000_NS6detail17trampoline_kernelINS0_13select_configILj256ELj13ELNS0_17block_load_methodE3ELS4_3ELS4_3ELNS0_20block_scan_algorithmE0ELj4294967295EEENS1_25partition_config_selectorILNS1_17partition_subalgoE3EjNS0_10empty_typeEbEEZZNS1_14partition_implILS8_3ELb0ES6_jNS0_17counting_iteratorIjlEEPS9_SE_NS0_5tupleIJPjSE_EEENSF_IJSE_SE_EEES9_SG_JZNS1_25segmented_radix_sort_implINS0_14default_configELb1EPK12hip_bfloat16PSL_PKlPlN2at6native12_GLOBAL__N_18offset_tEEE10hipError_tPvRmT1_PNSt15iterator_traitsISZ_E10value_typeET2_T3_PNS10_IS15_E10value_typeET4_jRbjT5_S1B_jjP12ihipStream_tbEUljE_EEESW_SX_SY_S15_S19_S1B_T6_T7_T9_mT8_S1D_bDpT10_ENKUlT_T0_E_clISt17integral_constantIbLb0EES1P_IbLb1EEEEDaS1L_S1M_EUlS1L_E_NS1_11comp_targetILNS1_3genE3ELNS1_11target_archE908ELNS1_3gpuE7ELNS1_3repE0EEENS1_30default_config_static_selectorELNS0_4arch9wavefront6targetE0EEEvSZ_
    .private_segment_fixed_size: 0
    .sgpr_count:     0
    .sgpr_spill_count: 0
    .symbol:         _ZN7rocprim17ROCPRIM_400000_NS6detail17trampoline_kernelINS0_13select_configILj256ELj13ELNS0_17block_load_methodE3ELS4_3ELS4_3ELNS0_20block_scan_algorithmE0ELj4294967295EEENS1_25partition_config_selectorILNS1_17partition_subalgoE3EjNS0_10empty_typeEbEEZZNS1_14partition_implILS8_3ELb0ES6_jNS0_17counting_iteratorIjlEEPS9_SE_NS0_5tupleIJPjSE_EEENSF_IJSE_SE_EEES9_SG_JZNS1_25segmented_radix_sort_implINS0_14default_configELb1EPK12hip_bfloat16PSL_PKlPlN2at6native12_GLOBAL__N_18offset_tEEE10hipError_tPvRmT1_PNSt15iterator_traitsISZ_E10value_typeET2_T3_PNS10_IS15_E10value_typeET4_jRbjT5_S1B_jjP12ihipStream_tbEUljE_EEESW_SX_SY_S15_S19_S1B_T6_T7_T9_mT8_S1D_bDpT10_ENKUlT_T0_E_clISt17integral_constantIbLb0EES1P_IbLb1EEEEDaS1L_S1M_EUlS1L_E_NS1_11comp_targetILNS1_3genE3ELNS1_11target_archE908ELNS1_3gpuE7ELNS1_3repE0EEENS1_30default_config_static_selectorELNS0_4arch9wavefront6targetE0EEEvSZ_.kd
    .uniform_work_group_size: 1
    .uses_dynamic_stack: false
    .vgpr_count:     0
    .vgpr_spill_count: 0
    .wavefront_size: 32
    .workgroup_processor_mode: 1
  - .args:
      - .offset:         0
        .size:           152
        .value_kind:     by_value
    .group_segment_fixed_size: 0
    .kernarg_segment_align: 8
    .kernarg_segment_size: 152
    .language:       OpenCL C
    .language_version:
      - 2
      - 0
    .max_flat_workgroup_size: 256
    .name:           _ZN7rocprim17ROCPRIM_400000_NS6detail17trampoline_kernelINS0_13select_configILj256ELj13ELNS0_17block_load_methodE3ELS4_3ELS4_3ELNS0_20block_scan_algorithmE0ELj4294967295EEENS1_25partition_config_selectorILNS1_17partition_subalgoE3EjNS0_10empty_typeEbEEZZNS1_14partition_implILS8_3ELb0ES6_jNS0_17counting_iteratorIjlEEPS9_SE_NS0_5tupleIJPjSE_EEENSF_IJSE_SE_EEES9_SG_JZNS1_25segmented_radix_sort_implINS0_14default_configELb1EPK12hip_bfloat16PSL_PKlPlN2at6native12_GLOBAL__N_18offset_tEEE10hipError_tPvRmT1_PNSt15iterator_traitsISZ_E10value_typeET2_T3_PNS10_IS15_E10value_typeET4_jRbjT5_S1B_jjP12ihipStream_tbEUljE_EEESW_SX_SY_S15_S19_S1B_T6_T7_T9_mT8_S1D_bDpT10_ENKUlT_T0_E_clISt17integral_constantIbLb0EES1P_IbLb1EEEEDaS1L_S1M_EUlS1L_E_NS1_11comp_targetILNS1_3genE2ELNS1_11target_archE906ELNS1_3gpuE6ELNS1_3repE0EEENS1_30default_config_static_selectorELNS0_4arch9wavefront6targetE0EEEvSZ_
    .private_segment_fixed_size: 0
    .sgpr_count:     0
    .sgpr_spill_count: 0
    .symbol:         _ZN7rocprim17ROCPRIM_400000_NS6detail17trampoline_kernelINS0_13select_configILj256ELj13ELNS0_17block_load_methodE3ELS4_3ELS4_3ELNS0_20block_scan_algorithmE0ELj4294967295EEENS1_25partition_config_selectorILNS1_17partition_subalgoE3EjNS0_10empty_typeEbEEZZNS1_14partition_implILS8_3ELb0ES6_jNS0_17counting_iteratorIjlEEPS9_SE_NS0_5tupleIJPjSE_EEENSF_IJSE_SE_EEES9_SG_JZNS1_25segmented_radix_sort_implINS0_14default_configELb1EPK12hip_bfloat16PSL_PKlPlN2at6native12_GLOBAL__N_18offset_tEEE10hipError_tPvRmT1_PNSt15iterator_traitsISZ_E10value_typeET2_T3_PNS10_IS15_E10value_typeET4_jRbjT5_S1B_jjP12ihipStream_tbEUljE_EEESW_SX_SY_S15_S19_S1B_T6_T7_T9_mT8_S1D_bDpT10_ENKUlT_T0_E_clISt17integral_constantIbLb0EES1P_IbLb1EEEEDaS1L_S1M_EUlS1L_E_NS1_11comp_targetILNS1_3genE2ELNS1_11target_archE906ELNS1_3gpuE6ELNS1_3repE0EEENS1_30default_config_static_selectorELNS0_4arch9wavefront6targetE0EEEvSZ_.kd
    .uniform_work_group_size: 1
    .uses_dynamic_stack: false
    .vgpr_count:     0
    .vgpr_spill_count: 0
    .wavefront_size: 32
    .workgroup_processor_mode: 1
  - .args:
      - .offset:         0
        .size:           152
        .value_kind:     by_value
    .group_segment_fixed_size: 0
    .kernarg_segment_align: 8
    .kernarg_segment_size: 152
    .language:       OpenCL C
    .language_version:
      - 2
      - 0
    .max_flat_workgroup_size: 256
    .name:           _ZN7rocprim17ROCPRIM_400000_NS6detail17trampoline_kernelINS0_13select_configILj256ELj13ELNS0_17block_load_methodE3ELS4_3ELS4_3ELNS0_20block_scan_algorithmE0ELj4294967295EEENS1_25partition_config_selectorILNS1_17partition_subalgoE3EjNS0_10empty_typeEbEEZZNS1_14partition_implILS8_3ELb0ES6_jNS0_17counting_iteratorIjlEEPS9_SE_NS0_5tupleIJPjSE_EEENSF_IJSE_SE_EEES9_SG_JZNS1_25segmented_radix_sort_implINS0_14default_configELb1EPK12hip_bfloat16PSL_PKlPlN2at6native12_GLOBAL__N_18offset_tEEE10hipError_tPvRmT1_PNSt15iterator_traitsISZ_E10value_typeET2_T3_PNS10_IS15_E10value_typeET4_jRbjT5_S1B_jjP12ihipStream_tbEUljE_EEESW_SX_SY_S15_S19_S1B_T6_T7_T9_mT8_S1D_bDpT10_ENKUlT_T0_E_clISt17integral_constantIbLb0EES1P_IbLb1EEEEDaS1L_S1M_EUlS1L_E_NS1_11comp_targetILNS1_3genE10ELNS1_11target_archE1200ELNS1_3gpuE4ELNS1_3repE0EEENS1_30default_config_static_selectorELNS0_4arch9wavefront6targetE0EEEvSZ_
    .private_segment_fixed_size: 0
    .sgpr_count:     0
    .sgpr_spill_count: 0
    .symbol:         _ZN7rocprim17ROCPRIM_400000_NS6detail17trampoline_kernelINS0_13select_configILj256ELj13ELNS0_17block_load_methodE3ELS4_3ELS4_3ELNS0_20block_scan_algorithmE0ELj4294967295EEENS1_25partition_config_selectorILNS1_17partition_subalgoE3EjNS0_10empty_typeEbEEZZNS1_14partition_implILS8_3ELb0ES6_jNS0_17counting_iteratorIjlEEPS9_SE_NS0_5tupleIJPjSE_EEENSF_IJSE_SE_EEES9_SG_JZNS1_25segmented_radix_sort_implINS0_14default_configELb1EPK12hip_bfloat16PSL_PKlPlN2at6native12_GLOBAL__N_18offset_tEEE10hipError_tPvRmT1_PNSt15iterator_traitsISZ_E10value_typeET2_T3_PNS10_IS15_E10value_typeET4_jRbjT5_S1B_jjP12ihipStream_tbEUljE_EEESW_SX_SY_S15_S19_S1B_T6_T7_T9_mT8_S1D_bDpT10_ENKUlT_T0_E_clISt17integral_constantIbLb0EES1P_IbLb1EEEEDaS1L_S1M_EUlS1L_E_NS1_11comp_targetILNS1_3genE10ELNS1_11target_archE1200ELNS1_3gpuE4ELNS1_3repE0EEENS1_30default_config_static_selectorELNS0_4arch9wavefront6targetE0EEEvSZ_.kd
    .uniform_work_group_size: 1
    .uses_dynamic_stack: false
    .vgpr_count:     0
    .vgpr_spill_count: 0
    .wavefront_size: 32
    .workgroup_processor_mode: 1
  - .args:
      - .offset:         0
        .size:           152
        .value_kind:     by_value
    .group_segment_fixed_size: 13324
    .kernarg_segment_align: 8
    .kernarg_segment_size: 152
    .language:       OpenCL C
    .language_version:
      - 2
      - 0
    .max_flat_workgroup_size: 256
    .name:           _ZN7rocprim17ROCPRIM_400000_NS6detail17trampoline_kernelINS0_13select_configILj256ELj13ELNS0_17block_load_methodE3ELS4_3ELS4_3ELNS0_20block_scan_algorithmE0ELj4294967295EEENS1_25partition_config_selectorILNS1_17partition_subalgoE3EjNS0_10empty_typeEbEEZZNS1_14partition_implILS8_3ELb0ES6_jNS0_17counting_iteratorIjlEEPS9_SE_NS0_5tupleIJPjSE_EEENSF_IJSE_SE_EEES9_SG_JZNS1_25segmented_radix_sort_implINS0_14default_configELb1EPK12hip_bfloat16PSL_PKlPlN2at6native12_GLOBAL__N_18offset_tEEE10hipError_tPvRmT1_PNSt15iterator_traitsISZ_E10value_typeET2_T3_PNS10_IS15_E10value_typeET4_jRbjT5_S1B_jjP12ihipStream_tbEUljE_EEESW_SX_SY_S15_S19_S1B_T6_T7_T9_mT8_S1D_bDpT10_ENKUlT_T0_E_clISt17integral_constantIbLb0EES1P_IbLb1EEEEDaS1L_S1M_EUlS1L_E_NS1_11comp_targetILNS1_3genE9ELNS1_11target_archE1100ELNS1_3gpuE3ELNS1_3repE0EEENS1_30default_config_static_selectorELNS0_4arch9wavefront6targetE0EEEvSZ_
    .private_segment_fixed_size: 0
    .sgpr_count:     28
    .sgpr_spill_count: 0
    .symbol:         _ZN7rocprim17ROCPRIM_400000_NS6detail17trampoline_kernelINS0_13select_configILj256ELj13ELNS0_17block_load_methodE3ELS4_3ELS4_3ELNS0_20block_scan_algorithmE0ELj4294967295EEENS1_25partition_config_selectorILNS1_17partition_subalgoE3EjNS0_10empty_typeEbEEZZNS1_14partition_implILS8_3ELb0ES6_jNS0_17counting_iteratorIjlEEPS9_SE_NS0_5tupleIJPjSE_EEENSF_IJSE_SE_EEES9_SG_JZNS1_25segmented_radix_sort_implINS0_14default_configELb1EPK12hip_bfloat16PSL_PKlPlN2at6native12_GLOBAL__N_18offset_tEEE10hipError_tPvRmT1_PNSt15iterator_traitsISZ_E10value_typeET2_T3_PNS10_IS15_E10value_typeET4_jRbjT5_S1B_jjP12ihipStream_tbEUljE_EEESW_SX_SY_S15_S19_S1B_T6_T7_T9_mT8_S1D_bDpT10_ENKUlT_T0_E_clISt17integral_constantIbLb0EES1P_IbLb1EEEEDaS1L_S1M_EUlS1L_E_NS1_11comp_targetILNS1_3genE9ELNS1_11target_archE1100ELNS1_3gpuE3ELNS1_3repE0EEENS1_30default_config_static_selectorELNS0_4arch9wavefront6targetE0EEEvSZ_.kd
    .uniform_work_group_size: 1
    .uses_dynamic_stack: false
    .vgpr_count:     60
    .vgpr_spill_count: 0
    .wavefront_size: 32
    .workgroup_processor_mode: 1
  - .args:
      - .offset:         0
        .size:           152
        .value_kind:     by_value
    .group_segment_fixed_size: 0
    .kernarg_segment_align: 8
    .kernarg_segment_size: 152
    .language:       OpenCL C
    .language_version:
      - 2
      - 0
    .max_flat_workgroup_size: 256
    .name:           _ZN7rocprim17ROCPRIM_400000_NS6detail17trampoline_kernelINS0_13select_configILj256ELj13ELNS0_17block_load_methodE3ELS4_3ELS4_3ELNS0_20block_scan_algorithmE0ELj4294967295EEENS1_25partition_config_selectorILNS1_17partition_subalgoE3EjNS0_10empty_typeEbEEZZNS1_14partition_implILS8_3ELb0ES6_jNS0_17counting_iteratorIjlEEPS9_SE_NS0_5tupleIJPjSE_EEENSF_IJSE_SE_EEES9_SG_JZNS1_25segmented_radix_sort_implINS0_14default_configELb1EPK12hip_bfloat16PSL_PKlPlN2at6native12_GLOBAL__N_18offset_tEEE10hipError_tPvRmT1_PNSt15iterator_traitsISZ_E10value_typeET2_T3_PNS10_IS15_E10value_typeET4_jRbjT5_S1B_jjP12ihipStream_tbEUljE_EEESW_SX_SY_S15_S19_S1B_T6_T7_T9_mT8_S1D_bDpT10_ENKUlT_T0_E_clISt17integral_constantIbLb0EES1P_IbLb1EEEEDaS1L_S1M_EUlS1L_E_NS1_11comp_targetILNS1_3genE8ELNS1_11target_archE1030ELNS1_3gpuE2ELNS1_3repE0EEENS1_30default_config_static_selectorELNS0_4arch9wavefront6targetE0EEEvSZ_
    .private_segment_fixed_size: 0
    .sgpr_count:     0
    .sgpr_spill_count: 0
    .symbol:         _ZN7rocprim17ROCPRIM_400000_NS6detail17trampoline_kernelINS0_13select_configILj256ELj13ELNS0_17block_load_methodE3ELS4_3ELS4_3ELNS0_20block_scan_algorithmE0ELj4294967295EEENS1_25partition_config_selectorILNS1_17partition_subalgoE3EjNS0_10empty_typeEbEEZZNS1_14partition_implILS8_3ELb0ES6_jNS0_17counting_iteratorIjlEEPS9_SE_NS0_5tupleIJPjSE_EEENSF_IJSE_SE_EEES9_SG_JZNS1_25segmented_radix_sort_implINS0_14default_configELb1EPK12hip_bfloat16PSL_PKlPlN2at6native12_GLOBAL__N_18offset_tEEE10hipError_tPvRmT1_PNSt15iterator_traitsISZ_E10value_typeET2_T3_PNS10_IS15_E10value_typeET4_jRbjT5_S1B_jjP12ihipStream_tbEUljE_EEESW_SX_SY_S15_S19_S1B_T6_T7_T9_mT8_S1D_bDpT10_ENKUlT_T0_E_clISt17integral_constantIbLb0EES1P_IbLb1EEEEDaS1L_S1M_EUlS1L_E_NS1_11comp_targetILNS1_3genE8ELNS1_11target_archE1030ELNS1_3gpuE2ELNS1_3repE0EEENS1_30default_config_static_selectorELNS0_4arch9wavefront6targetE0EEEvSZ_.kd
    .uniform_work_group_size: 1
    .uses_dynamic_stack: false
    .vgpr_count:     0
    .vgpr_spill_count: 0
    .wavefront_size: 32
    .workgroup_processor_mode: 1
  - .args:
      - .offset:         0
        .size:           96
        .value_kind:     by_value
    .group_segment_fixed_size: 0
    .kernarg_segment_align: 8
    .kernarg_segment_size: 96
    .language:       OpenCL C
    .language_version:
      - 2
      - 0
    .max_flat_workgroup_size: 256
    .name:           _ZN7rocprim17ROCPRIM_400000_NS6detail17trampoline_kernelINS0_14default_configENS1_36segmented_radix_sort_config_selectorI12hip_bfloat16lEEZNS1_25segmented_radix_sort_implIS3_Lb1EPKS5_PS5_PKlPlN2at6native12_GLOBAL__N_18offset_tEEE10hipError_tPvRmT1_PNSt15iterator_traitsISL_E10value_typeET2_T3_PNSM_ISR_E10value_typeET4_jRbjT5_SX_jjP12ihipStream_tbEUlT_E_NS1_11comp_targetILNS1_3genE0ELNS1_11target_archE4294967295ELNS1_3gpuE0ELNS1_3repE0EEENS1_30default_config_static_selectorELNS0_4arch9wavefront6targetE0EEEvSL_
    .private_segment_fixed_size: 0
    .sgpr_count:     0
    .sgpr_spill_count: 0
    .symbol:         _ZN7rocprim17ROCPRIM_400000_NS6detail17trampoline_kernelINS0_14default_configENS1_36segmented_radix_sort_config_selectorI12hip_bfloat16lEEZNS1_25segmented_radix_sort_implIS3_Lb1EPKS5_PS5_PKlPlN2at6native12_GLOBAL__N_18offset_tEEE10hipError_tPvRmT1_PNSt15iterator_traitsISL_E10value_typeET2_T3_PNSM_ISR_E10value_typeET4_jRbjT5_SX_jjP12ihipStream_tbEUlT_E_NS1_11comp_targetILNS1_3genE0ELNS1_11target_archE4294967295ELNS1_3gpuE0ELNS1_3repE0EEENS1_30default_config_static_selectorELNS0_4arch9wavefront6targetE0EEEvSL_.kd
    .uniform_work_group_size: 1
    .uses_dynamic_stack: false
    .vgpr_count:     0
    .vgpr_spill_count: 0
    .wavefront_size: 32
    .workgroup_processor_mode: 1
  - .args:
      - .offset:         0
        .size:           96
        .value_kind:     by_value
    .group_segment_fixed_size: 0
    .kernarg_segment_align: 8
    .kernarg_segment_size: 96
    .language:       OpenCL C
    .language_version:
      - 2
      - 0
    .max_flat_workgroup_size: 256
    .name:           _ZN7rocprim17ROCPRIM_400000_NS6detail17trampoline_kernelINS0_14default_configENS1_36segmented_radix_sort_config_selectorI12hip_bfloat16lEEZNS1_25segmented_radix_sort_implIS3_Lb1EPKS5_PS5_PKlPlN2at6native12_GLOBAL__N_18offset_tEEE10hipError_tPvRmT1_PNSt15iterator_traitsISL_E10value_typeET2_T3_PNSM_ISR_E10value_typeET4_jRbjT5_SX_jjP12ihipStream_tbEUlT_E_NS1_11comp_targetILNS1_3genE5ELNS1_11target_archE942ELNS1_3gpuE9ELNS1_3repE0EEENS1_30default_config_static_selectorELNS0_4arch9wavefront6targetE0EEEvSL_
    .private_segment_fixed_size: 0
    .sgpr_count:     0
    .sgpr_spill_count: 0
    .symbol:         _ZN7rocprim17ROCPRIM_400000_NS6detail17trampoline_kernelINS0_14default_configENS1_36segmented_radix_sort_config_selectorI12hip_bfloat16lEEZNS1_25segmented_radix_sort_implIS3_Lb1EPKS5_PS5_PKlPlN2at6native12_GLOBAL__N_18offset_tEEE10hipError_tPvRmT1_PNSt15iterator_traitsISL_E10value_typeET2_T3_PNSM_ISR_E10value_typeET4_jRbjT5_SX_jjP12ihipStream_tbEUlT_E_NS1_11comp_targetILNS1_3genE5ELNS1_11target_archE942ELNS1_3gpuE9ELNS1_3repE0EEENS1_30default_config_static_selectorELNS0_4arch9wavefront6targetE0EEEvSL_.kd
    .uniform_work_group_size: 1
    .uses_dynamic_stack: false
    .vgpr_count:     0
    .vgpr_spill_count: 0
    .wavefront_size: 32
    .workgroup_processor_mode: 1
  - .args:
      - .offset:         0
        .size:           96
        .value_kind:     by_value
    .group_segment_fixed_size: 0
    .kernarg_segment_align: 8
    .kernarg_segment_size: 96
    .language:       OpenCL C
    .language_version:
      - 2
      - 0
    .max_flat_workgroup_size: 256
    .name:           _ZN7rocprim17ROCPRIM_400000_NS6detail17trampoline_kernelINS0_14default_configENS1_36segmented_radix_sort_config_selectorI12hip_bfloat16lEEZNS1_25segmented_radix_sort_implIS3_Lb1EPKS5_PS5_PKlPlN2at6native12_GLOBAL__N_18offset_tEEE10hipError_tPvRmT1_PNSt15iterator_traitsISL_E10value_typeET2_T3_PNSM_ISR_E10value_typeET4_jRbjT5_SX_jjP12ihipStream_tbEUlT_E_NS1_11comp_targetILNS1_3genE4ELNS1_11target_archE910ELNS1_3gpuE8ELNS1_3repE0EEENS1_30default_config_static_selectorELNS0_4arch9wavefront6targetE0EEEvSL_
    .private_segment_fixed_size: 0
    .sgpr_count:     0
    .sgpr_spill_count: 0
    .symbol:         _ZN7rocprim17ROCPRIM_400000_NS6detail17trampoline_kernelINS0_14default_configENS1_36segmented_radix_sort_config_selectorI12hip_bfloat16lEEZNS1_25segmented_radix_sort_implIS3_Lb1EPKS5_PS5_PKlPlN2at6native12_GLOBAL__N_18offset_tEEE10hipError_tPvRmT1_PNSt15iterator_traitsISL_E10value_typeET2_T3_PNSM_ISR_E10value_typeET4_jRbjT5_SX_jjP12ihipStream_tbEUlT_E_NS1_11comp_targetILNS1_3genE4ELNS1_11target_archE910ELNS1_3gpuE8ELNS1_3repE0EEENS1_30default_config_static_selectorELNS0_4arch9wavefront6targetE0EEEvSL_.kd
    .uniform_work_group_size: 1
    .uses_dynamic_stack: false
    .vgpr_count:     0
    .vgpr_spill_count: 0
    .wavefront_size: 32
    .workgroup_processor_mode: 1
  - .args:
      - .offset:         0
        .size:           96
        .value_kind:     by_value
    .group_segment_fixed_size: 0
    .kernarg_segment_align: 8
    .kernarg_segment_size: 96
    .language:       OpenCL C
    .language_version:
      - 2
      - 0
    .max_flat_workgroup_size: 256
    .name:           _ZN7rocprim17ROCPRIM_400000_NS6detail17trampoline_kernelINS0_14default_configENS1_36segmented_radix_sort_config_selectorI12hip_bfloat16lEEZNS1_25segmented_radix_sort_implIS3_Lb1EPKS5_PS5_PKlPlN2at6native12_GLOBAL__N_18offset_tEEE10hipError_tPvRmT1_PNSt15iterator_traitsISL_E10value_typeET2_T3_PNSM_ISR_E10value_typeET4_jRbjT5_SX_jjP12ihipStream_tbEUlT_E_NS1_11comp_targetILNS1_3genE3ELNS1_11target_archE908ELNS1_3gpuE7ELNS1_3repE0EEENS1_30default_config_static_selectorELNS0_4arch9wavefront6targetE0EEEvSL_
    .private_segment_fixed_size: 0
    .sgpr_count:     0
    .sgpr_spill_count: 0
    .symbol:         _ZN7rocprim17ROCPRIM_400000_NS6detail17trampoline_kernelINS0_14default_configENS1_36segmented_radix_sort_config_selectorI12hip_bfloat16lEEZNS1_25segmented_radix_sort_implIS3_Lb1EPKS5_PS5_PKlPlN2at6native12_GLOBAL__N_18offset_tEEE10hipError_tPvRmT1_PNSt15iterator_traitsISL_E10value_typeET2_T3_PNSM_ISR_E10value_typeET4_jRbjT5_SX_jjP12ihipStream_tbEUlT_E_NS1_11comp_targetILNS1_3genE3ELNS1_11target_archE908ELNS1_3gpuE7ELNS1_3repE0EEENS1_30default_config_static_selectorELNS0_4arch9wavefront6targetE0EEEvSL_.kd
    .uniform_work_group_size: 1
    .uses_dynamic_stack: false
    .vgpr_count:     0
    .vgpr_spill_count: 0
    .wavefront_size: 32
    .workgroup_processor_mode: 1
  - .args:
      - .offset:         0
        .size:           96
        .value_kind:     by_value
    .group_segment_fixed_size: 0
    .kernarg_segment_align: 8
    .kernarg_segment_size: 96
    .language:       OpenCL C
    .language_version:
      - 2
      - 0
    .max_flat_workgroup_size: 256
    .name:           _ZN7rocprim17ROCPRIM_400000_NS6detail17trampoline_kernelINS0_14default_configENS1_36segmented_radix_sort_config_selectorI12hip_bfloat16lEEZNS1_25segmented_radix_sort_implIS3_Lb1EPKS5_PS5_PKlPlN2at6native12_GLOBAL__N_18offset_tEEE10hipError_tPvRmT1_PNSt15iterator_traitsISL_E10value_typeET2_T3_PNSM_ISR_E10value_typeET4_jRbjT5_SX_jjP12ihipStream_tbEUlT_E_NS1_11comp_targetILNS1_3genE2ELNS1_11target_archE906ELNS1_3gpuE6ELNS1_3repE0EEENS1_30default_config_static_selectorELNS0_4arch9wavefront6targetE0EEEvSL_
    .private_segment_fixed_size: 0
    .sgpr_count:     0
    .sgpr_spill_count: 0
    .symbol:         _ZN7rocprim17ROCPRIM_400000_NS6detail17trampoline_kernelINS0_14default_configENS1_36segmented_radix_sort_config_selectorI12hip_bfloat16lEEZNS1_25segmented_radix_sort_implIS3_Lb1EPKS5_PS5_PKlPlN2at6native12_GLOBAL__N_18offset_tEEE10hipError_tPvRmT1_PNSt15iterator_traitsISL_E10value_typeET2_T3_PNSM_ISR_E10value_typeET4_jRbjT5_SX_jjP12ihipStream_tbEUlT_E_NS1_11comp_targetILNS1_3genE2ELNS1_11target_archE906ELNS1_3gpuE6ELNS1_3repE0EEENS1_30default_config_static_selectorELNS0_4arch9wavefront6targetE0EEEvSL_.kd
    .uniform_work_group_size: 1
    .uses_dynamic_stack: false
    .vgpr_count:     0
    .vgpr_spill_count: 0
    .wavefront_size: 32
    .workgroup_processor_mode: 1
  - .args:
      - .offset:         0
        .size:           96
        .value_kind:     by_value
    .group_segment_fixed_size: 0
    .kernarg_segment_align: 8
    .kernarg_segment_size: 96
    .language:       OpenCL C
    .language_version:
      - 2
      - 0
    .max_flat_workgroup_size: 256
    .name:           _ZN7rocprim17ROCPRIM_400000_NS6detail17trampoline_kernelINS0_14default_configENS1_36segmented_radix_sort_config_selectorI12hip_bfloat16lEEZNS1_25segmented_radix_sort_implIS3_Lb1EPKS5_PS5_PKlPlN2at6native12_GLOBAL__N_18offset_tEEE10hipError_tPvRmT1_PNSt15iterator_traitsISL_E10value_typeET2_T3_PNSM_ISR_E10value_typeET4_jRbjT5_SX_jjP12ihipStream_tbEUlT_E_NS1_11comp_targetILNS1_3genE10ELNS1_11target_archE1201ELNS1_3gpuE5ELNS1_3repE0EEENS1_30default_config_static_selectorELNS0_4arch9wavefront6targetE0EEEvSL_
    .private_segment_fixed_size: 0
    .sgpr_count:     0
    .sgpr_spill_count: 0
    .symbol:         _ZN7rocprim17ROCPRIM_400000_NS6detail17trampoline_kernelINS0_14default_configENS1_36segmented_radix_sort_config_selectorI12hip_bfloat16lEEZNS1_25segmented_radix_sort_implIS3_Lb1EPKS5_PS5_PKlPlN2at6native12_GLOBAL__N_18offset_tEEE10hipError_tPvRmT1_PNSt15iterator_traitsISL_E10value_typeET2_T3_PNSM_ISR_E10value_typeET4_jRbjT5_SX_jjP12ihipStream_tbEUlT_E_NS1_11comp_targetILNS1_3genE10ELNS1_11target_archE1201ELNS1_3gpuE5ELNS1_3repE0EEENS1_30default_config_static_selectorELNS0_4arch9wavefront6targetE0EEEvSL_.kd
    .uniform_work_group_size: 1
    .uses_dynamic_stack: false
    .vgpr_count:     0
    .vgpr_spill_count: 0
    .wavefront_size: 32
    .workgroup_processor_mode: 1
  - .args:
      - .offset:         0
        .size:           96
        .value_kind:     by_value
    .group_segment_fixed_size: 0
    .kernarg_segment_align: 8
    .kernarg_segment_size: 96
    .language:       OpenCL C
    .language_version:
      - 2
      - 0
    .max_flat_workgroup_size: 128
    .name:           _ZN7rocprim17ROCPRIM_400000_NS6detail17trampoline_kernelINS0_14default_configENS1_36segmented_radix_sort_config_selectorI12hip_bfloat16lEEZNS1_25segmented_radix_sort_implIS3_Lb1EPKS5_PS5_PKlPlN2at6native12_GLOBAL__N_18offset_tEEE10hipError_tPvRmT1_PNSt15iterator_traitsISL_E10value_typeET2_T3_PNSM_ISR_E10value_typeET4_jRbjT5_SX_jjP12ihipStream_tbEUlT_E_NS1_11comp_targetILNS1_3genE10ELNS1_11target_archE1200ELNS1_3gpuE4ELNS1_3repE0EEENS1_30default_config_static_selectorELNS0_4arch9wavefront6targetE0EEEvSL_
    .private_segment_fixed_size: 0
    .sgpr_count:     0
    .sgpr_spill_count: 0
    .symbol:         _ZN7rocprim17ROCPRIM_400000_NS6detail17trampoline_kernelINS0_14default_configENS1_36segmented_radix_sort_config_selectorI12hip_bfloat16lEEZNS1_25segmented_radix_sort_implIS3_Lb1EPKS5_PS5_PKlPlN2at6native12_GLOBAL__N_18offset_tEEE10hipError_tPvRmT1_PNSt15iterator_traitsISL_E10value_typeET2_T3_PNSM_ISR_E10value_typeET4_jRbjT5_SX_jjP12ihipStream_tbEUlT_E_NS1_11comp_targetILNS1_3genE10ELNS1_11target_archE1200ELNS1_3gpuE4ELNS1_3repE0EEENS1_30default_config_static_selectorELNS0_4arch9wavefront6targetE0EEEvSL_.kd
    .uniform_work_group_size: 1
    .uses_dynamic_stack: false
    .vgpr_count:     0
    .vgpr_spill_count: 0
    .wavefront_size: 32
    .workgroup_processor_mode: 1
  - .args:
      - .offset:         0
        .size:           96
        .value_kind:     by_value
      - .offset:         96
        .size:           4
        .value_kind:     hidden_block_count_x
      - .offset:         100
        .size:           4
        .value_kind:     hidden_block_count_y
      - .offset:         104
        .size:           4
        .value_kind:     hidden_block_count_z
      - .offset:         108
        .size:           2
        .value_kind:     hidden_group_size_x
      - .offset:         110
        .size:           2
        .value_kind:     hidden_group_size_y
      - .offset:         112
        .size:           2
        .value_kind:     hidden_group_size_z
      - .offset:         114
        .size:           2
        .value_kind:     hidden_remainder_x
      - .offset:         116
        .size:           2
        .value_kind:     hidden_remainder_y
      - .offset:         118
        .size:           2
        .value_kind:     hidden_remainder_z
      - .offset:         136
        .size:           8
        .value_kind:     hidden_global_offset_x
      - .offset:         144
        .size:           8
        .value_kind:     hidden_global_offset_y
      - .offset:         152
        .size:           8
        .value_kind:     hidden_global_offset_z
      - .offset:         160
        .size:           2
        .value_kind:     hidden_grid_dims
    .group_segment_fixed_size: 33824
    .kernarg_segment_align: 8
    .kernarg_segment_size: 352
    .language:       OpenCL C
    .language_version:
      - 2
      - 0
    .max_flat_workgroup_size: 256
    .name:           _ZN7rocprim17ROCPRIM_400000_NS6detail17trampoline_kernelINS0_14default_configENS1_36segmented_radix_sort_config_selectorI12hip_bfloat16lEEZNS1_25segmented_radix_sort_implIS3_Lb1EPKS5_PS5_PKlPlN2at6native12_GLOBAL__N_18offset_tEEE10hipError_tPvRmT1_PNSt15iterator_traitsISL_E10value_typeET2_T3_PNSM_ISR_E10value_typeET4_jRbjT5_SX_jjP12ihipStream_tbEUlT_E_NS1_11comp_targetILNS1_3genE9ELNS1_11target_archE1100ELNS1_3gpuE3ELNS1_3repE0EEENS1_30default_config_static_selectorELNS0_4arch9wavefront6targetE0EEEvSL_
    .private_segment_fixed_size: 220
    .sgpr_count:     62
    .sgpr_spill_count: 0
    .symbol:         _ZN7rocprim17ROCPRIM_400000_NS6detail17trampoline_kernelINS0_14default_configENS1_36segmented_radix_sort_config_selectorI12hip_bfloat16lEEZNS1_25segmented_radix_sort_implIS3_Lb1EPKS5_PS5_PKlPlN2at6native12_GLOBAL__N_18offset_tEEE10hipError_tPvRmT1_PNSt15iterator_traitsISL_E10value_typeET2_T3_PNSM_ISR_E10value_typeET4_jRbjT5_SX_jjP12ihipStream_tbEUlT_E_NS1_11comp_targetILNS1_3genE9ELNS1_11target_archE1100ELNS1_3gpuE3ELNS1_3repE0EEENS1_30default_config_static_selectorELNS0_4arch9wavefront6targetE0EEEvSL_.kd
    .uniform_work_group_size: 1
    .uses_dynamic_stack: false
    .vgpr_count:     248
    .vgpr_spill_count: 0
    .wavefront_size: 32
    .workgroup_processor_mode: 1
  - .args:
      - .offset:         0
        .size:           96
        .value_kind:     by_value
    .group_segment_fixed_size: 0
    .kernarg_segment_align: 8
    .kernarg_segment_size: 96
    .language:       OpenCL C
    .language_version:
      - 2
      - 0
    .max_flat_workgroup_size: 256
    .name:           _ZN7rocprim17ROCPRIM_400000_NS6detail17trampoline_kernelINS0_14default_configENS1_36segmented_radix_sort_config_selectorI12hip_bfloat16lEEZNS1_25segmented_radix_sort_implIS3_Lb1EPKS5_PS5_PKlPlN2at6native12_GLOBAL__N_18offset_tEEE10hipError_tPvRmT1_PNSt15iterator_traitsISL_E10value_typeET2_T3_PNSM_ISR_E10value_typeET4_jRbjT5_SX_jjP12ihipStream_tbEUlT_E_NS1_11comp_targetILNS1_3genE8ELNS1_11target_archE1030ELNS1_3gpuE2ELNS1_3repE0EEENS1_30default_config_static_selectorELNS0_4arch9wavefront6targetE0EEEvSL_
    .private_segment_fixed_size: 0
    .sgpr_count:     0
    .sgpr_spill_count: 0
    .symbol:         _ZN7rocprim17ROCPRIM_400000_NS6detail17trampoline_kernelINS0_14default_configENS1_36segmented_radix_sort_config_selectorI12hip_bfloat16lEEZNS1_25segmented_radix_sort_implIS3_Lb1EPKS5_PS5_PKlPlN2at6native12_GLOBAL__N_18offset_tEEE10hipError_tPvRmT1_PNSt15iterator_traitsISL_E10value_typeET2_T3_PNSM_ISR_E10value_typeET4_jRbjT5_SX_jjP12ihipStream_tbEUlT_E_NS1_11comp_targetILNS1_3genE8ELNS1_11target_archE1030ELNS1_3gpuE2ELNS1_3repE0EEENS1_30default_config_static_selectorELNS0_4arch9wavefront6targetE0EEEvSL_.kd
    .uniform_work_group_size: 1
    .uses_dynamic_stack: false
    .vgpr_count:     0
    .vgpr_spill_count: 0
    .wavefront_size: 32
    .workgroup_processor_mode: 1
  - .args:
      - .offset:         0
        .size:           88
        .value_kind:     by_value
    .group_segment_fixed_size: 0
    .kernarg_segment_align: 8
    .kernarg_segment_size: 88
    .language:       OpenCL C
    .language_version:
      - 2
      - 0
    .max_flat_workgroup_size: 256
    .name:           _ZN7rocprim17ROCPRIM_400000_NS6detail17trampoline_kernelINS0_14default_configENS1_36segmented_radix_sort_config_selectorI12hip_bfloat16lEEZNS1_25segmented_radix_sort_implIS3_Lb1EPKS5_PS5_PKlPlN2at6native12_GLOBAL__N_18offset_tEEE10hipError_tPvRmT1_PNSt15iterator_traitsISL_E10value_typeET2_T3_PNSM_ISR_E10value_typeET4_jRbjT5_SX_jjP12ihipStream_tbEUlT_E0_NS1_11comp_targetILNS1_3genE0ELNS1_11target_archE4294967295ELNS1_3gpuE0ELNS1_3repE0EEENS1_60segmented_radix_sort_warp_sort_medium_config_static_selectorELNS0_4arch9wavefront6targetE0EEEvSL_
    .private_segment_fixed_size: 0
    .sgpr_count:     0
    .sgpr_spill_count: 0
    .symbol:         _ZN7rocprim17ROCPRIM_400000_NS6detail17trampoline_kernelINS0_14default_configENS1_36segmented_radix_sort_config_selectorI12hip_bfloat16lEEZNS1_25segmented_radix_sort_implIS3_Lb1EPKS5_PS5_PKlPlN2at6native12_GLOBAL__N_18offset_tEEE10hipError_tPvRmT1_PNSt15iterator_traitsISL_E10value_typeET2_T3_PNSM_ISR_E10value_typeET4_jRbjT5_SX_jjP12ihipStream_tbEUlT_E0_NS1_11comp_targetILNS1_3genE0ELNS1_11target_archE4294967295ELNS1_3gpuE0ELNS1_3repE0EEENS1_60segmented_radix_sort_warp_sort_medium_config_static_selectorELNS0_4arch9wavefront6targetE0EEEvSL_.kd
    .uniform_work_group_size: 1
    .uses_dynamic_stack: false
    .vgpr_count:     0
    .vgpr_spill_count: 0
    .wavefront_size: 32
    .workgroup_processor_mode: 1
  - .args:
      - .offset:         0
        .size:           88
        .value_kind:     by_value
    .group_segment_fixed_size: 0
    .kernarg_segment_align: 8
    .kernarg_segment_size: 88
    .language:       OpenCL C
    .language_version:
      - 2
      - 0
    .max_flat_workgroup_size: 256
    .name:           _ZN7rocprim17ROCPRIM_400000_NS6detail17trampoline_kernelINS0_14default_configENS1_36segmented_radix_sort_config_selectorI12hip_bfloat16lEEZNS1_25segmented_radix_sort_implIS3_Lb1EPKS5_PS5_PKlPlN2at6native12_GLOBAL__N_18offset_tEEE10hipError_tPvRmT1_PNSt15iterator_traitsISL_E10value_typeET2_T3_PNSM_ISR_E10value_typeET4_jRbjT5_SX_jjP12ihipStream_tbEUlT_E0_NS1_11comp_targetILNS1_3genE5ELNS1_11target_archE942ELNS1_3gpuE9ELNS1_3repE0EEENS1_60segmented_radix_sort_warp_sort_medium_config_static_selectorELNS0_4arch9wavefront6targetE0EEEvSL_
    .private_segment_fixed_size: 0
    .sgpr_count:     0
    .sgpr_spill_count: 0
    .symbol:         _ZN7rocprim17ROCPRIM_400000_NS6detail17trampoline_kernelINS0_14default_configENS1_36segmented_radix_sort_config_selectorI12hip_bfloat16lEEZNS1_25segmented_radix_sort_implIS3_Lb1EPKS5_PS5_PKlPlN2at6native12_GLOBAL__N_18offset_tEEE10hipError_tPvRmT1_PNSt15iterator_traitsISL_E10value_typeET2_T3_PNSM_ISR_E10value_typeET4_jRbjT5_SX_jjP12ihipStream_tbEUlT_E0_NS1_11comp_targetILNS1_3genE5ELNS1_11target_archE942ELNS1_3gpuE9ELNS1_3repE0EEENS1_60segmented_radix_sort_warp_sort_medium_config_static_selectorELNS0_4arch9wavefront6targetE0EEEvSL_.kd
    .uniform_work_group_size: 1
    .uses_dynamic_stack: false
    .vgpr_count:     0
    .vgpr_spill_count: 0
    .wavefront_size: 32
    .workgroup_processor_mode: 1
  - .args:
      - .offset:         0
        .size:           88
        .value_kind:     by_value
    .group_segment_fixed_size: 0
    .kernarg_segment_align: 8
    .kernarg_segment_size: 88
    .language:       OpenCL C
    .language_version:
      - 2
      - 0
    .max_flat_workgroup_size: 256
    .name:           _ZN7rocprim17ROCPRIM_400000_NS6detail17trampoline_kernelINS0_14default_configENS1_36segmented_radix_sort_config_selectorI12hip_bfloat16lEEZNS1_25segmented_radix_sort_implIS3_Lb1EPKS5_PS5_PKlPlN2at6native12_GLOBAL__N_18offset_tEEE10hipError_tPvRmT1_PNSt15iterator_traitsISL_E10value_typeET2_T3_PNSM_ISR_E10value_typeET4_jRbjT5_SX_jjP12ihipStream_tbEUlT_E0_NS1_11comp_targetILNS1_3genE4ELNS1_11target_archE910ELNS1_3gpuE8ELNS1_3repE0EEENS1_60segmented_radix_sort_warp_sort_medium_config_static_selectorELNS0_4arch9wavefront6targetE0EEEvSL_
    .private_segment_fixed_size: 0
    .sgpr_count:     0
    .sgpr_spill_count: 0
    .symbol:         _ZN7rocprim17ROCPRIM_400000_NS6detail17trampoline_kernelINS0_14default_configENS1_36segmented_radix_sort_config_selectorI12hip_bfloat16lEEZNS1_25segmented_radix_sort_implIS3_Lb1EPKS5_PS5_PKlPlN2at6native12_GLOBAL__N_18offset_tEEE10hipError_tPvRmT1_PNSt15iterator_traitsISL_E10value_typeET2_T3_PNSM_ISR_E10value_typeET4_jRbjT5_SX_jjP12ihipStream_tbEUlT_E0_NS1_11comp_targetILNS1_3genE4ELNS1_11target_archE910ELNS1_3gpuE8ELNS1_3repE0EEENS1_60segmented_radix_sort_warp_sort_medium_config_static_selectorELNS0_4arch9wavefront6targetE0EEEvSL_.kd
    .uniform_work_group_size: 1
    .uses_dynamic_stack: false
    .vgpr_count:     0
    .vgpr_spill_count: 0
    .wavefront_size: 32
    .workgroup_processor_mode: 1
  - .args:
      - .offset:         0
        .size:           88
        .value_kind:     by_value
    .group_segment_fixed_size: 0
    .kernarg_segment_align: 8
    .kernarg_segment_size: 88
    .language:       OpenCL C
    .language_version:
      - 2
      - 0
    .max_flat_workgroup_size: 256
    .name:           _ZN7rocprim17ROCPRIM_400000_NS6detail17trampoline_kernelINS0_14default_configENS1_36segmented_radix_sort_config_selectorI12hip_bfloat16lEEZNS1_25segmented_radix_sort_implIS3_Lb1EPKS5_PS5_PKlPlN2at6native12_GLOBAL__N_18offset_tEEE10hipError_tPvRmT1_PNSt15iterator_traitsISL_E10value_typeET2_T3_PNSM_ISR_E10value_typeET4_jRbjT5_SX_jjP12ihipStream_tbEUlT_E0_NS1_11comp_targetILNS1_3genE3ELNS1_11target_archE908ELNS1_3gpuE7ELNS1_3repE0EEENS1_60segmented_radix_sort_warp_sort_medium_config_static_selectorELNS0_4arch9wavefront6targetE0EEEvSL_
    .private_segment_fixed_size: 0
    .sgpr_count:     0
    .sgpr_spill_count: 0
    .symbol:         _ZN7rocprim17ROCPRIM_400000_NS6detail17trampoline_kernelINS0_14default_configENS1_36segmented_radix_sort_config_selectorI12hip_bfloat16lEEZNS1_25segmented_radix_sort_implIS3_Lb1EPKS5_PS5_PKlPlN2at6native12_GLOBAL__N_18offset_tEEE10hipError_tPvRmT1_PNSt15iterator_traitsISL_E10value_typeET2_T3_PNSM_ISR_E10value_typeET4_jRbjT5_SX_jjP12ihipStream_tbEUlT_E0_NS1_11comp_targetILNS1_3genE3ELNS1_11target_archE908ELNS1_3gpuE7ELNS1_3repE0EEENS1_60segmented_radix_sort_warp_sort_medium_config_static_selectorELNS0_4arch9wavefront6targetE0EEEvSL_.kd
    .uniform_work_group_size: 1
    .uses_dynamic_stack: false
    .vgpr_count:     0
    .vgpr_spill_count: 0
    .wavefront_size: 32
    .workgroup_processor_mode: 1
  - .args:
      - .offset:         0
        .size:           88
        .value_kind:     by_value
    .group_segment_fixed_size: 0
    .kernarg_segment_align: 8
    .kernarg_segment_size: 88
    .language:       OpenCL C
    .language_version:
      - 2
      - 0
    .max_flat_workgroup_size: 256
    .name:           _ZN7rocprim17ROCPRIM_400000_NS6detail17trampoline_kernelINS0_14default_configENS1_36segmented_radix_sort_config_selectorI12hip_bfloat16lEEZNS1_25segmented_radix_sort_implIS3_Lb1EPKS5_PS5_PKlPlN2at6native12_GLOBAL__N_18offset_tEEE10hipError_tPvRmT1_PNSt15iterator_traitsISL_E10value_typeET2_T3_PNSM_ISR_E10value_typeET4_jRbjT5_SX_jjP12ihipStream_tbEUlT_E0_NS1_11comp_targetILNS1_3genE2ELNS1_11target_archE906ELNS1_3gpuE6ELNS1_3repE0EEENS1_60segmented_radix_sort_warp_sort_medium_config_static_selectorELNS0_4arch9wavefront6targetE0EEEvSL_
    .private_segment_fixed_size: 0
    .sgpr_count:     0
    .sgpr_spill_count: 0
    .symbol:         _ZN7rocprim17ROCPRIM_400000_NS6detail17trampoline_kernelINS0_14default_configENS1_36segmented_radix_sort_config_selectorI12hip_bfloat16lEEZNS1_25segmented_radix_sort_implIS3_Lb1EPKS5_PS5_PKlPlN2at6native12_GLOBAL__N_18offset_tEEE10hipError_tPvRmT1_PNSt15iterator_traitsISL_E10value_typeET2_T3_PNSM_ISR_E10value_typeET4_jRbjT5_SX_jjP12ihipStream_tbEUlT_E0_NS1_11comp_targetILNS1_3genE2ELNS1_11target_archE906ELNS1_3gpuE6ELNS1_3repE0EEENS1_60segmented_radix_sort_warp_sort_medium_config_static_selectorELNS0_4arch9wavefront6targetE0EEEvSL_.kd
    .uniform_work_group_size: 1
    .uses_dynamic_stack: false
    .vgpr_count:     0
    .vgpr_spill_count: 0
    .wavefront_size: 32
    .workgroup_processor_mode: 1
  - .args:
      - .offset:         0
        .size:           88
        .value_kind:     by_value
    .group_segment_fixed_size: 0
    .kernarg_segment_align: 8
    .kernarg_segment_size: 88
    .language:       OpenCL C
    .language_version:
      - 2
      - 0
    .max_flat_workgroup_size: 256
    .name:           _ZN7rocprim17ROCPRIM_400000_NS6detail17trampoline_kernelINS0_14default_configENS1_36segmented_radix_sort_config_selectorI12hip_bfloat16lEEZNS1_25segmented_radix_sort_implIS3_Lb1EPKS5_PS5_PKlPlN2at6native12_GLOBAL__N_18offset_tEEE10hipError_tPvRmT1_PNSt15iterator_traitsISL_E10value_typeET2_T3_PNSM_ISR_E10value_typeET4_jRbjT5_SX_jjP12ihipStream_tbEUlT_E0_NS1_11comp_targetILNS1_3genE10ELNS1_11target_archE1201ELNS1_3gpuE5ELNS1_3repE0EEENS1_60segmented_radix_sort_warp_sort_medium_config_static_selectorELNS0_4arch9wavefront6targetE0EEEvSL_
    .private_segment_fixed_size: 0
    .sgpr_count:     0
    .sgpr_spill_count: 0
    .symbol:         _ZN7rocprim17ROCPRIM_400000_NS6detail17trampoline_kernelINS0_14default_configENS1_36segmented_radix_sort_config_selectorI12hip_bfloat16lEEZNS1_25segmented_radix_sort_implIS3_Lb1EPKS5_PS5_PKlPlN2at6native12_GLOBAL__N_18offset_tEEE10hipError_tPvRmT1_PNSt15iterator_traitsISL_E10value_typeET2_T3_PNSM_ISR_E10value_typeET4_jRbjT5_SX_jjP12ihipStream_tbEUlT_E0_NS1_11comp_targetILNS1_3genE10ELNS1_11target_archE1201ELNS1_3gpuE5ELNS1_3repE0EEENS1_60segmented_radix_sort_warp_sort_medium_config_static_selectorELNS0_4arch9wavefront6targetE0EEEvSL_.kd
    .uniform_work_group_size: 1
    .uses_dynamic_stack: false
    .vgpr_count:     0
    .vgpr_spill_count: 0
    .wavefront_size: 32
    .workgroup_processor_mode: 1
  - .args:
      - .offset:         0
        .size:           88
        .value_kind:     by_value
    .group_segment_fixed_size: 0
    .kernarg_segment_align: 8
    .kernarg_segment_size: 88
    .language:       OpenCL C
    .language_version:
      - 2
      - 0
    .max_flat_workgroup_size: 256
    .name:           _ZN7rocprim17ROCPRIM_400000_NS6detail17trampoline_kernelINS0_14default_configENS1_36segmented_radix_sort_config_selectorI12hip_bfloat16lEEZNS1_25segmented_radix_sort_implIS3_Lb1EPKS5_PS5_PKlPlN2at6native12_GLOBAL__N_18offset_tEEE10hipError_tPvRmT1_PNSt15iterator_traitsISL_E10value_typeET2_T3_PNSM_ISR_E10value_typeET4_jRbjT5_SX_jjP12ihipStream_tbEUlT_E0_NS1_11comp_targetILNS1_3genE10ELNS1_11target_archE1200ELNS1_3gpuE4ELNS1_3repE0EEENS1_60segmented_radix_sort_warp_sort_medium_config_static_selectorELNS0_4arch9wavefront6targetE0EEEvSL_
    .private_segment_fixed_size: 0
    .sgpr_count:     0
    .sgpr_spill_count: 0
    .symbol:         _ZN7rocprim17ROCPRIM_400000_NS6detail17trampoline_kernelINS0_14default_configENS1_36segmented_radix_sort_config_selectorI12hip_bfloat16lEEZNS1_25segmented_radix_sort_implIS3_Lb1EPKS5_PS5_PKlPlN2at6native12_GLOBAL__N_18offset_tEEE10hipError_tPvRmT1_PNSt15iterator_traitsISL_E10value_typeET2_T3_PNSM_ISR_E10value_typeET4_jRbjT5_SX_jjP12ihipStream_tbEUlT_E0_NS1_11comp_targetILNS1_3genE10ELNS1_11target_archE1200ELNS1_3gpuE4ELNS1_3repE0EEENS1_60segmented_radix_sort_warp_sort_medium_config_static_selectorELNS0_4arch9wavefront6targetE0EEEvSL_.kd
    .uniform_work_group_size: 1
    .uses_dynamic_stack: false
    .vgpr_count:     0
    .vgpr_spill_count: 0
    .wavefront_size: 32
    .workgroup_processor_mode: 1
  - .args:
      - .offset:         0
        .size:           88
        .value_kind:     by_value
      - .offset:         88
        .size:           4
        .value_kind:     hidden_block_count_x
      - .offset:         92
        .size:           4
        .value_kind:     hidden_block_count_y
      - .offset:         96
        .size:           4
        .value_kind:     hidden_block_count_z
      - .offset:         100
        .size:           2
        .value_kind:     hidden_group_size_x
      - .offset:         102
        .size:           2
        .value_kind:     hidden_group_size_y
      - .offset:         104
        .size:           2
        .value_kind:     hidden_group_size_z
      - .offset:         106
        .size:           2
        .value_kind:     hidden_remainder_x
      - .offset:         108
        .size:           2
        .value_kind:     hidden_remainder_y
      - .offset:         110
        .size:           2
        .value_kind:     hidden_remainder_z
      - .offset:         128
        .size:           8
        .value_kind:     hidden_global_offset_x
      - .offset:         136
        .size:           8
        .value_kind:     hidden_global_offset_y
      - .offset:         144
        .size:           8
        .value_kind:     hidden_global_offset_z
      - .offset:         152
        .size:           2
        .value_kind:     hidden_grid_dims
    .group_segment_fixed_size: 20480
    .kernarg_segment_align: 8
    .kernarg_segment_size: 344
    .language:       OpenCL C
    .language_version:
      - 2
      - 0
    .max_flat_workgroup_size: 256
    .name:           _ZN7rocprim17ROCPRIM_400000_NS6detail17trampoline_kernelINS0_14default_configENS1_36segmented_radix_sort_config_selectorI12hip_bfloat16lEEZNS1_25segmented_radix_sort_implIS3_Lb1EPKS5_PS5_PKlPlN2at6native12_GLOBAL__N_18offset_tEEE10hipError_tPvRmT1_PNSt15iterator_traitsISL_E10value_typeET2_T3_PNSM_ISR_E10value_typeET4_jRbjT5_SX_jjP12ihipStream_tbEUlT_E0_NS1_11comp_targetILNS1_3genE9ELNS1_11target_archE1100ELNS1_3gpuE3ELNS1_3repE0EEENS1_60segmented_radix_sort_warp_sort_medium_config_static_selectorELNS0_4arch9wavefront6targetE0EEEvSL_
    .private_segment_fixed_size: 0
    .sgpr_count:     42
    .sgpr_spill_count: 0
    .symbol:         _ZN7rocprim17ROCPRIM_400000_NS6detail17trampoline_kernelINS0_14default_configENS1_36segmented_radix_sort_config_selectorI12hip_bfloat16lEEZNS1_25segmented_radix_sort_implIS3_Lb1EPKS5_PS5_PKlPlN2at6native12_GLOBAL__N_18offset_tEEE10hipError_tPvRmT1_PNSt15iterator_traitsISL_E10value_typeET2_T3_PNSM_ISR_E10value_typeET4_jRbjT5_SX_jjP12ihipStream_tbEUlT_E0_NS1_11comp_targetILNS1_3genE9ELNS1_11target_archE1100ELNS1_3gpuE3ELNS1_3repE0EEENS1_60segmented_radix_sort_warp_sort_medium_config_static_selectorELNS0_4arch9wavefront6targetE0EEEvSL_.kd
    .uniform_work_group_size: 1
    .uses_dynamic_stack: false
    .vgpr_count:     71
    .vgpr_spill_count: 0
    .wavefront_size: 32
    .workgroup_processor_mode: 1
  - .args:
      - .offset:         0
        .size:           88
        .value_kind:     by_value
    .group_segment_fixed_size: 0
    .kernarg_segment_align: 8
    .kernarg_segment_size: 88
    .language:       OpenCL C
    .language_version:
      - 2
      - 0
    .max_flat_workgroup_size: 256
    .name:           _ZN7rocprim17ROCPRIM_400000_NS6detail17trampoline_kernelINS0_14default_configENS1_36segmented_radix_sort_config_selectorI12hip_bfloat16lEEZNS1_25segmented_radix_sort_implIS3_Lb1EPKS5_PS5_PKlPlN2at6native12_GLOBAL__N_18offset_tEEE10hipError_tPvRmT1_PNSt15iterator_traitsISL_E10value_typeET2_T3_PNSM_ISR_E10value_typeET4_jRbjT5_SX_jjP12ihipStream_tbEUlT_E0_NS1_11comp_targetILNS1_3genE8ELNS1_11target_archE1030ELNS1_3gpuE2ELNS1_3repE0EEENS1_60segmented_radix_sort_warp_sort_medium_config_static_selectorELNS0_4arch9wavefront6targetE0EEEvSL_
    .private_segment_fixed_size: 0
    .sgpr_count:     0
    .sgpr_spill_count: 0
    .symbol:         _ZN7rocprim17ROCPRIM_400000_NS6detail17trampoline_kernelINS0_14default_configENS1_36segmented_radix_sort_config_selectorI12hip_bfloat16lEEZNS1_25segmented_radix_sort_implIS3_Lb1EPKS5_PS5_PKlPlN2at6native12_GLOBAL__N_18offset_tEEE10hipError_tPvRmT1_PNSt15iterator_traitsISL_E10value_typeET2_T3_PNSM_ISR_E10value_typeET4_jRbjT5_SX_jjP12ihipStream_tbEUlT_E0_NS1_11comp_targetILNS1_3genE8ELNS1_11target_archE1030ELNS1_3gpuE2ELNS1_3repE0EEENS1_60segmented_radix_sort_warp_sort_medium_config_static_selectorELNS0_4arch9wavefront6targetE0EEEvSL_.kd
    .uniform_work_group_size: 1
    .uses_dynamic_stack: false
    .vgpr_count:     0
    .vgpr_spill_count: 0
    .wavefront_size: 32
    .workgroup_processor_mode: 1
  - .args:
      - .offset:         0
        .size:           88
        .value_kind:     by_value
    .group_segment_fixed_size: 0
    .kernarg_segment_align: 8
    .kernarg_segment_size: 88
    .language:       OpenCL C
    .language_version:
      - 2
      - 0
    .max_flat_workgroup_size: 256
    .name:           _ZN7rocprim17ROCPRIM_400000_NS6detail17trampoline_kernelINS0_14default_configENS1_36segmented_radix_sort_config_selectorI12hip_bfloat16lEEZNS1_25segmented_radix_sort_implIS3_Lb1EPKS5_PS5_PKlPlN2at6native12_GLOBAL__N_18offset_tEEE10hipError_tPvRmT1_PNSt15iterator_traitsISL_E10value_typeET2_T3_PNSM_ISR_E10value_typeET4_jRbjT5_SX_jjP12ihipStream_tbEUlT_E1_NS1_11comp_targetILNS1_3genE0ELNS1_11target_archE4294967295ELNS1_3gpuE0ELNS1_3repE0EEENS1_59segmented_radix_sort_warp_sort_small_config_static_selectorELNS0_4arch9wavefront6targetE0EEEvSL_
    .private_segment_fixed_size: 0
    .sgpr_count:     0
    .sgpr_spill_count: 0
    .symbol:         _ZN7rocprim17ROCPRIM_400000_NS6detail17trampoline_kernelINS0_14default_configENS1_36segmented_radix_sort_config_selectorI12hip_bfloat16lEEZNS1_25segmented_radix_sort_implIS3_Lb1EPKS5_PS5_PKlPlN2at6native12_GLOBAL__N_18offset_tEEE10hipError_tPvRmT1_PNSt15iterator_traitsISL_E10value_typeET2_T3_PNSM_ISR_E10value_typeET4_jRbjT5_SX_jjP12ihipStream_tbEUlT_E1_NS1_11comp_targetILNS1_3genE0ELNS1_11target_archE4294967295ELNS1_3gpuE0ELNS1_3repE0EEENS1_59segmented_radix_sort_warp_sort_small_config_static_selectorELNS0_4arch9wavefront6targetE0EEEvSL_.kd
    .uniform_work_group_size: 1
    .uses_dynamic_stack: false
    .vgpr_count:     0
    .vgpr_spill_count: 0
    .wavefront_size: 32
    .workgroup_processor_mode: 1
  - .args:
      - .offset:         0
        .size:           88
        .value_kind:     by_value
    .group_segment_fixed_size: 0
    .kernarg_segment_align: 8
    .kernarg_segment_size: 88
    .language:       OpenCL C
    .language_version:
      - 2
      - 0
    .max_flat_workgroup_size: 256
    .name:           _ZN7rocprim17ROCPRIM_400000_NS6detail17trampoline_kernelINS0_14default_configENS1_36segmented_radix_sort_config_selectorI12hip_bfloat16lEEZNS1_25segmented_radix_sort_implIS3_Lb1EPKS5_PS5_PKlPlN2at6native12_GLOBAL__N_18offset_tEEE10hipError_tPvRmT1_PNSt15iterator_traitsISL_E10value_typeET2_T3_PNSM_ISR_E10value_typeET4_jRbjT5_SX_jjP12ihipStream_tbEUlT_E1_NS1_11comp_targetILNS1_3genE5ELNS1_11target_archE942ELNS1_3gpuE9ELNS1_3repE0EEENS1_59segmented_radix_sort_warp_sort_small_config_static_selectorELNS0_4arch9wavefront6targetE0EEEvSL_
    .private_segment_fixed_size: 0
    .sgpr_count:     0
    .sgpr_spill_count: 0
    .symbol:         _ZN7rocprim17ROCPRIM_400000_NS6detail17trampoline_kernelINS0_14default_configENS1_36segmented_radix_sort_config_selectorI12hip_bfloat16lEEZNS1_25segmented_radix_sort_implIS3_Lb1EPKS5_PS5_PKlPlN2at6native12_GLOBAL__N_18offset_tEEE10hipError_tPvRmT1_PNSt15iterator_traitsISL_E10value_typeET2_T3_PNSM_ISR_E10value_typeET4_jRbjT5_SX_jjP12ihipStream_tbEUlT_E1_NS1_11comp_targetILNS1_3genE5ELNS1_11target_archE942ELNS1_3gpuE9ELNS1_3repE0EEENS1_59segmented_radix_sort_warp_sort_small_config_static_selectorELNS0_4arch9wavefront6targetE0EEEvSL_.kd
    .uniform_work_group_size: 1
    .uses_dynamic_stack: false
    .vgpr_count:     0
    .vgpr_spill_count: 0
    .wavefront_size: 32
    .workgroup_processor_mode: 1
  - .args:
      - .offset:         0
        .size:           88
        .value_kind:     by_value
    .group_segment_fixed_size: 0
    .kernarg_segment_align: 8
    .kernarg_segment_size: 88
    .language:       OpenCL C
    .language_version:
      - 2
      - 0
    .max_flat_workgroup_size: 256
    .name:           _ZN7rocprim17ROCPRIM_400000_NS6detail17trampoline_kernelINS0_14default_configENS1_36segmented_radix_sort_config_selectorI12hip_bfloat16lEEZNS1_25segmented_radix_sort_implIS3_Lb1EPKS5_PS5_PKlPlN2at6native12_GLOBAL__N_18offset_tEEE10hipError_tPvRmT1_PNSt15iterator_traitsISL_E10value_typeET2_T3_PNSM_ISR_E10value_typeET4_jRbjT5_SX_jjP12ihipStream_tbEUlT_E1_NS1_11comp_targetILNS1_3genE4ELNS1_11target_archE910ELNS1_3gpuE8ELNS1_3repE0EEENS1_59segmented_radix_sort_warp_sort_small_config_static_selectorELNS0_4arch9wavefront6targetE0EEEvSL_
    .private_segment_fixed_size: 0
    .sgpr_count:     0
    .sgpr_spill_count: 0
    .symbol:         _ZN7rocprim17ROCPRIM_400000_NS6detail17trampoline_kernelINS0_14default_configENS1_36segmented_radix_sort_config_selectorI12hip_bfloat16lEEZNS1_25segmented_radix_sort_implIS3_Lb1EPKS5_PS5_PKlPlN2at6native12_GLOBAL__N_18offset_tEEE10hipError_tPvRmT1_PNSt15iterator_traitsISL_E10value_typeET2_T3_PNSM_ISR_E10value_typeET4_jRbjT5_SX_jjP12ihipStream_tbEUlT_E1_NS1_11comp_targetILNS1_3genE4ELNS1_11target_archE910ELNS1_3gpuE8ELNS1_3repE0EEENS1_59segmented_radix_sort_warp_sort_small_config_static_selectorELNS0_4arch9wavefront6targetE0EEEvSL_.kd
    .uniform_work_group_size: 1
    .uses_dynamic_stack: false
    .vgpr_count:     0
    .vgpr_spill_count: 0
    .wavefront_size: 32
    .workgroup_processor_mode: 1
  - .args:
      - .offset:         0
        .size:           88
        .value_kind:     by_value
    .group_segment_fixed_size: 0
    .kernarg_segment_align: 8
    .kernarg_segment_size: 88
    .language:       OpenCL C
    .language_version:
      - 2
      - 0
    .max_flat_workgroup_size: 256
    .name:           _ZN7rocprim17ROCPRIM_400000_NS6detail17trampoline_kernelINS0_14default_configENS1_36segmented_radix_sort_config_selectorI12hip_bfloat16lEEZNS1_25segmented_radix_sort_implIS3_Lb1EPKS5_PS5_PKlPlN2at6native12_GLOBAL__N_18offset_tEEE10hipError_tPvRmT1_PNSt15iterator_traitsISL_E10value_typeET2_T3_PNSM_ISR_E10value_typeET4_jRbjT5_SX_jjP12ihipStream_tbEUlT_E1_NS1_11comp_targetILNS1_3genE3ELNS1_11target_archE908ELNS1_3gpuE7ELNS1_3repE0EEENS1_59segmented_radix_sort_warp_sort_small_config_static_selectorELNS0_4arch9wavefront6targetE0EEEvSL_
    .private_segment_fixed_size: 0
    .sgpr_count:     0
    .sgpr_spill_count: 0
    .symbol:         _ZN7rocprim17ROCPRIM_400000_NS6detail17trampoline_kernelINS0_14default_configENS1_36segmented_radix_sort_config_selectorI12hip_bfloat16lEEZNS1_25segmented_radix_sort_implIS3_Lb1EPKS5_PS5_PKlPlN2at6native12_GLOBAL__N_18offset_tEEE10hipError_tPvRmT1_PNSt15iterator_traitsISL_E10value_typeET2_T3_PNSM_ISR_E10value_typeET4_jRbjT5_SX_jjP12ihipStream_tbEUlT_E1_NS1_11comp_targetILNS1_3genE3ELNS1_11target_archE908ELNS1_3gpuE7ELNS1_3repE0EEENS1_59segmented_radix_sort_warp_sort_small_config_static_selectorELNS0_4arch9wavefront6targetE0EEEvSL_.kd
    .uniform_work_group_size: 1
    .uses_dynamic_stack: false
    .vgpr_count:     0
    .vgpr_spill_count: 0
    .wavefront_size: 32
    .workgroup_processor_mode: 1
  - .args:
      - .offset:         0
        .size:           88
        .value_kind:     by_value
    .group_segment_fixed_size: 0
    .kernarg_segment_align: 8
    .kernarg_segment_size: 88
    .language:       OpenCL C
    .language_version:
      - 2
      - 0
    .max_flat_workgroup_size: 256
    .name:           _ZN7rocprim17ROCPRIM_400000_NS6detail17trampoline_kernelINS0_14default_configENS1_36segmented_radix_sort_config_selectorI12hip_bfloat16lEEZNS1_25segmented_radix_sort_implIS3_Lb1EPKS5_PS5_PKlPlN2at6native12_GLOBAL__N_18offset_tEEE10hipError_tPvRmT1_PNSt15iterator_traitsISL_E10value_typeET2_T3_PNSM_ISR_E10value_typeET4_jRbjT5_SX_jjP12ihipStream_tbEUlT_E1_NS1_11comp_targetILNS1_3genE2ELNS1_11target_archE906ELNS1_3gpuE6ELNS1_3repE0EEENS1_59segmented_radix_sort_warp_sort_small_config_static_selectorELNS0_4arch9wavefront6targetE0EEEvSL_
    .private_segment_fixed_size: 0
    .sgpr_count:     0
    .sgpr_spill_count: 0
    .symbol:         _ZN7rocprim17ROCPRIM_400000_NS6detail17trampoline_kernelINS0_14default_configENS1_36segmented_radix_sort_config_selectorI12hip_bfloat16lEEZNS1_25segmented_radix_sort_implIS3_Lb1EPKS5_PS5_PKlPlN2at6native12_GLOBAL__N_18offset_tEEE10hipError_tPvRmT1_PNSt15iterator_traitsISL_E10value_typeET2_T3_PNSM_ISR_E10value_typeET4_jRbjT5_SX_jjP12ihipStream_tbEUlT_E1_NS1_11comp_targetILNS1_3genE2ELNS1_11target_archE906ELNS1_3gpuE6ELNS1_3repE0EEENS1_59segmented_radix_sort_warp_sort_small_config_static_selectorELNS0_4arch9wavefront6targetE0EEEvSL_.kd
    .uniform_work_group_size: 1
    .uses_dynamic_stack: false
    .vgpr_count:     0
    .vgpr_spill_count: 0
    .wavefront_size: 32
    .workgroup_processor_mode: 1
  - .args:
      - .offset:         0
        .size:           88
        .value_kind:     by_value
    .group_segment_fixed_size: 0
    .kernarg_segment_align: 8
    .kernarg_segment_size: 88
    .language:       OpenCL C
    .language_version:
      - 2
      - 0
    .max_flat_workgroup_size: 256
    .name:           _ZN7rocprim17ROCPRIM_400000_NS6detail17trampoline_kernelINS0_14default_configENS1_36segmented_radix_sort_config_selectorI12hip_bfloat16lEEZNS1_25segmented_radix_sort_implIS3_Lb1EPKS5_PS5_PKlPlN2at6native12_GLOBAL__N_18offset_tEEE10hipError_tPvRmT1_PNSt15iterator_traitsISL_E10value_typeET2_T3_PNSM_ISR_E10value_typeET4_jRbjT5_SX_jjP12ihipStream_tbEUlT_E1_NS1_11comp_targetILNS1_3genE10ELNS1_11target_archE1201ELNS1_3gpuE5ELNS1_3repE0EEENS1_59segmented_radix_sort_warp_sort_small_config_static_selectorELNS0_4arch9wavefront6targetE0EEEvSL_
    .private_segment_fixed_size: 0
    .sgpr_count:     0
    .sgpr_spill_count: 0
    .symbol:         _ZN7rocprim17ROCPRIM_400000_NS6detail17trampoline_kernelINS0_14default_configENS1_36segmented_radix_sort_config_selectorI12hip_bfloat16lEEZNS1_25segmented_radix_sort_implIS3_Lb1EPKS5_PS5_PKlPlN2at6native12_GLOBAL__N_18offset_tEEE10hipError_tPvRmT1_PNSt15iterator_traitsISL_E10value_typeET2_T3_PNSM_ISR_E10value_typeET4_jRbjT5_SX_jjP12ihipStream_tbEUlT_E1_NS1_11comp_targetILNS1_3genE10ELNS1_11target_archE1201ELNS1_3gpuE5ELNS1_3repE0EEENS1_59segmented_radix_sort_warp_sort_small_config_static_selectorELNS0_4arch9wavefront6targetE0EEEvSL_.kd
    .uniform_work_group_size: 1
    .uses_dynamic_stack: false
    .vgpr_count:     0
    .vgpr_spill_count: 0
    .wavefront_size: 32
    .workgroup_processor_mode: 1
  - .args:
      - .offset:         0
        .size:           88
        .value_kind:     by_value
    .group_segment_fixed_size: 0
    .kernarg_segment_align: 8
    .kernarg_segment_size: 88
    .language:       OpenCL C
    .language_version:
      - 2
      - 0
    .max_flat_workgroup_size: 256
    .name:           _ZN7rocprim17ROCPRIM_400000_NS6detail17trampoline_kernelINS0_14default_configENS1_36segmented_radix_sort_config_selectorI12hip_bfloat16lEEZNS1_25segmented_radix_sort_implIS3_Lb1EPKS5_PS5_PKlPlN2at6native12_GLOBAL__N_18offset_tEEE10hipError_tPvRmT1_PNSt15iterator_traitsISL_E10value_typeET2_T3_PNSM_ISR_E10value_typeET4_jRbjT5_SX_jjP12ihipStream_tbEUlT_E1_NS1_11comp_targetILNS1_3genE10ELNS1_11target_archE1200ELNS1_3gpuE4ELNS1_3repE0EEENS1_59segmented_radix_sort_warp_sort_small_config_static_selectorELNS0_4arch9wavefront6targetE0EEEvSL_
    .private_segment_fixed_size: 0
    .sgpr_count:     0
    .sgpr_spill_count: 0
    .symbol:         _ZN7rocprim17ROCPRIM_400000_NS6detail17trampoline_kernelINS0_14default_configENS1_36segmented_radix_sort_config_selectorI12hip_bfloat16lEEZNS1_25segmented_radix_sort_implIS3_Lb1EPKS5_PS5_PKlPlN2at6native12_GLOBAL__N_18offset_tEEE10hipError_tPvRmT1_PNSt15iterator_traitsISL_E10value_typeET2_T3_PNSM_ISR_E10value_typeET4_jRbjT5_SX_jjP12ihipStream_tbEUlT_E1_NS1_11comp_targetILNS1_3genE10ELNS1_11target_archE1200ELNS1_3gpuE4ELNS1_3repE0EEENS1_59segmented_radix_sort_warp_sort_small_config_static_selectorELNS0_4arch9wavefront6targetE0EEEvSL_.kd
    .uniform_work_group_size: 1
    .uses_dynamic_stack: false
    .vgpr_count:     0
    .vgpr_spill_count: 0
    .wavefront_size: 32
    .workgroup_processor_mode: 1
  - .args:
      - .offset:         0
        .size:           88
        .value_kind:     by_value
      - .offset:         88
        .size:           4
        .value_kind:     hidden_block_count_x
      - .offset:         92
        .size:           4
        .value_kind:     hidden_block_count_y
      - .offset:         96
        .size:           4
        .value_kind:     hidden_block_count_z
      - .offset:         100
        .size:           2
        .value_kind:     hidden_group_size_x
      - .offset:         102
        .size:           2
        .value_kind:     hidden_group_size_y
      - .offset:         104
        .size:           2
        .value_kind:     hidden_group_size_z
      - .offset:         106
        .size:           2
        .value_kind:     hidden_remainder_x
      - .offset:         108
        .size:           2
        .value_kind:     hidden_remainder_y
      - .offset:         110
        .size:           2
        .value_kind:     hidden_remainder_z
      - .offset:         128
        .size:           8
        .value_kind:     hidden_global_offset_x
      - .offset:         136
        .size:           8
        .value_kind:     hidden_global_offset_y
      - .offset:         144
        .size:           8
        .value_kind:     hidden_global_offset_z
      - .offset:         152
        .size:           2
        .value_kind:     hidden_grid_dims
    .group_segment_fixed_size: 10240
    .kernarg_segment_align: 8
    .kernarg_segment_size: 344
    .language:       OpenCL C
    .language_version:
      - 2
      - 0
    .max_flat_workgroup_size: 256
    .name:           _ZN7rocprim17ROCPRIM_400000_NS6detail17trampoline_kernelINS0_14default_configENS1_36segmented_radix_sort_config_selectorI12hip_bfloat16lEEZNS1_25segmented_radix_sort_implIS3_Lb1EPKS5_PS5_PKlPlN2at6native12_GLOBAL__N_18offset_tEEE10hipError_tPvRmT1_PNSt15iterator_traitsISL_E10value_typeET2_T3_PNSM_ISR_E10value_typeET4_jRbjT5_SX_jjP12ihipStream_tbEUlT_E1_NS1_11comp_targetILNS1_3genE9ELNS1_11target_archE1100ELNS1_3gpuE3ELNS1_3repE0EEENS1_59segmented_radix_sort_warp_sort_small_config_static_selectorELNS0_4arch9wavefront6targetE0EEEvSL_
    .private_segment_fixed_size: 0
    .sgpr_count:     35
    .sgpr_spill_count: 0
    .symbol:         _ZN7rocprim17ROCPRIM_400000_NS6detail17trampoline_kernelINS0_14default_configENS1_36segmented_radix_sort_config_selectorI12hip_bfloat16lEEZNS1_25segmented_radix_sort_implIS3_Lb1EPKS5_PS5_PKlPlN2at6native12_GLOBAL__N_18offset_tEEE10hipError_tPvRmT1_PNSt15iterator_traitsISL_E10value_typeET2_T3_PNSM_ISR_E10value_typeET4_jRbjT5_SX_jjP12ihipStream_tbEUlT_E1_NS1_11comp_targetILNS1_3genE9ELNS1_11target_archE1100ELNS1_3gpuE3ELNS1_3repE0EEENS1_59segmented_radix_sort_warp_sort_small_config_static_selectorELNS0_4arch9wavefront6targetE0EEEvSL_.kd
    .uniform_work_group_size: 1
    .uses_dynamic_stack: false
    .vgpr_count:     67
    .vgpr_spill_count: 0
    .wavefront_size: 32
    .workgroup_processor_mode: 1
  - .args:
      - .offset:         0
        .size:           88
        .value_kind:     by_value
    .group_segment_fixed_size: 0
    .kernarg_segment_align: 8
    .kernarg_segment_size: 88
    .language:       OpenCL C
    .language_version:
      - 2
      - 0
    .max_flat_workgroup_size: 256
    .name:           _ZN7rocprim17ROCPRIM_400000_NS6detail17trampoline_kernelINS0_14default_configENS1_36segmented_radix_sort_config_selectorI12hip_bfloat16lEEZNS1_25segmented_radix_sort_implIS3_Lb1EPKS5_PS5_PKlPlN2at6native12_GLOBAL__N_18offset_tEEE10hipError_tPvRmT1_PNSt15iterator_traitsISL_E10value_typeET2_T3_PNSM_ISR_E10value_typeET4_jRbjT5_SX_jjP12ihipStream_tbEUlT_E1_NS1_11comp_targetILNS1_3genE8ELNS1_11target_archE1030ELNS1_3gpuE2ELNS1_3repE0EEENS1_59segmented_radix_sort_warp_sort_small_config_static_selectorELNS0_4arch9wavefront6targetE0EEEvSL_
    .private_segment_fixed_size: 0
    .sgpr_count:     0
    .sgpr_spill_count: 0
    .symbol:         _ZN7rocprim17ROCPRIM_400000_NS6detail17trampoline_kernelINS0_14default_configENS1_36segmented_radix_sort_config_selectorI12hip_bfloat16lEEZNS1_25segmented_radix_sort_implIS3_Lb1EPKS5_PS5_PKlPlN2at6native12_GLOBAL__N_18offset_tEEE10hipError_tPvRmT1_PNSt15iterator_traitsISL_E10value_typeET2_T3_PNSM_ISR_E10value_typeET4_jRbjT5_SX_jjP12ihipStream_tbEUlT_E1_NS1_11comp_targetILNS1_3genE8ELNS1_11target_archE1030ELNS1_3gpuE2ELNS1_3repE0EEENS1_59segmented_radix_sort_warp_sort_small_config_static_selectorELNS0_4arch9wavefront6targetE0EEEvSL_.kd
    .uniform_work_group_size: 1
    .uses_dynamic_stack: false
    .vgpr_count:     0
    .vgpr_spill_count: 0
    .wavefront_size: 32
    .workgroup_processor_mode: 1
  - .args:
      - .offset:         0
        .size:           80
        .value_kind:     by_value
    .group_segment_fixed_size: 0
    .kernarg_segment_align: 8
    .kernarg_segment_size: 80
    .language:       OpenCL C
    .language_version:
      - 2
      - 0
    .max_flat_workgroup_size: 256
    .name:           _ZN7rocprim17ROCPRIM_400000_NS6detail17trampoline_kernelINS0_14default_configENS1_36segmented_radix_sort_config_selectorI12hip_bfloat16lEEZNS1_25segmented_radix_sort_implIS3_Lb1EPKS5_PS5_PKlPlN2at6native12_GLOBAL__N_18offset_tEEE10hipError_tPvRmT1_PNSt15iterator_traitsISL_E10value_typeET2_T3_PNSM_ISR_E10value_typeET4_jRbjT5_SX_jjP12ihipStream_tbEUlT_E2_NS1_11comp_targetILNS1_3genE0ELNS1_11target_archE4294967295ELNS1_3gpuE0ELNS1_3repE0EEENS1_30default_config_static_selectorELNS0_4arch9wavefront6targetE0EEEvSL_
    .private_segment_fixed_size: 0
    .sgpr_count:     0
    .sgpr_spill_count: 0
    .symbol:         _ZN7rocprim17ROCPRIM_400000_NS6detail17trampoline_kernelINS0_14default_configENS1_36segmented_radix_sort_config_selectorI12hip_bfloat16lEEZNS1_25segmented_radix_sort_implIS3_Lb1EPKS5_PS5_PKlPlN2at6native12_GLOBAL__N_18offset_tEEE10hipError_tPvRmT1_PNSt15iterator_traitsISL_E10value_typeET2_T3_PNSM_ISR_E10value_typeET4_jRbjT5_SX_jjP12ihipStream_tbEUlT_E2_NS1_11comp_targetILNS1_3genE0ELNS1_11target_archE4294967295ELNS1_3gpuE0ELNS1_3repE0EEENS1_30default_config_static_selectorELNS0_4arch9wavefront6targetE0EEEvSL_.kd
    .uniform_work_group_size: 1
    .uses_dynamic_stack: false
    .vgpr_count:     0
    .vgpr_spill_count: 0
    .wavefront_size: 32
    .workgroup_processor_mode: 1
  - .args:
      - .offset:         0
        .size:           80
        .value_kind:     by_value
    .group_segment_fixed_size: 0
    .kernarg_segment_align: 8
    .kernarg_segment_size: 80
    .language:       OpenCL C
    .language_version:
      - 2
      - 0
    .max_flat_workgroup_size: 256
    .name:           _ZN7rocprim17ROCPRIM_400000_NS6detail17trampoline_kernelINS0_14default_configENS1_36segmented_radix_sort_config_selectorI12hip_bfloat16lEEZNS1_25segmented_radix_sort_implIS3_Lb1EPKS5_PS5_PKlPlN2at6native12_GLOBAL__N_18offset_tEEE10hipError_tPvRmT1_PNSt15iterator_traitsISL_E10value_typeET2_T3_PNSM_ISR_E10value_typeET4_jRbjT5_SX_jjP12ihipStream_tbEUlT_E2_NS1_11comp_targetILNS1_3genE5ELNS1_11target_archE942ELNS1_3gpuE9ELNS1_3repE0EEENS1_30default_config_static_selectorELNS0_4arch9wavefront6targetE0EEEvSL_
    .private_segment_fixed_size: 0
    .sgpr_count:     0
    .sgpr_spill_count: 0
    .symbol:         _ZN7rocprim17ROCPRIM_400000_NS6detail17trampoline_kernelINS0_14default_configENS1_36segmented_radix_sort_config_selectorI12hip_bfloat16lEEZNS1_25segmented_radix_sort_implIS3_Lb1EPKS5_PS5_PKlPlN2at6native12_GLOBAL__N_18offset_tEEE10hipError_tPvRmT1_PNSt15iterator_traitsISL_E10value_typeET2_T3_PNSM_ISR_E10value_typeET4_jRbjT5_SX_jjP12ihipStream_tbEUlT_E2_NS1_11comp_targetILNS1_3genE5ELNS1_11target_archE942ELNS1_3gpuE9ELNS1_3repE0EEENS1_30default_config_static_selectorELNS0_4arch9wavefront6targetE0EEEvSL_.kd
    .uniform_work_group_size: 1
    .uses_dynamic_stack: false
    .vgpr_count:     0
    .vgpr_spill_count: 0
    .wavefront_size: 32
    .workgroup_processor_mode: 1
  - .args:
      - .offset:         0
        .size:           80
        .value_kind:     by_value
    .group_segment_fixed_size: 0
    .kernarg_segment_align: 8
    .kernarg_segment_size: 80
    .language:       OpenCL C
    .language_version:
      - 2
      - 0
    .max_flat_workgroup_size: 256
    .name:           _ZN7rocprim17ROCPRIM_400000_NS6detail17trampoline_kernelINS0_14default_configENS1_36segmented_radix_sort_config_selectorI12hip_bfloat16lEEZNS1_25segmented_radix_sort_implIS3_Lb1EPKS5_PS5_PKlPlN2at6native12_GLOBAL__N_18offset_tEEE10hipError_tPvRmT1_PNSt15iterator_traitsISL_E10value_typeET2_T3_PNSM_ISR_E10value_typeET4_jRbjT5_SX_jjP12ihipStream_tbEUlT_E2_NS1_11comp_targetILNS1_3genE4ELNS1_11target_archE910ELNS1_3gpuE8ELNS1_3repE0EEENS1_30default_config_static_selectorELNS0_4arch9wavefront6targetE0EEEvSL_
    .private_segment_fixed_size: 0
    .sgpr_count:     0
    .sgpr_spill_count: 0
    .symbol:         _ZN7rocprim17ROCPRIM_400000_NS6detail17trampoline_kernelINS0_14default_configENS1_36segmented_radix_sort_config_selectorI12hip_bfloat16lEEZNS1_25segmented_radix_sort_implIS3_Lb1EPKS5_PS5_PKlPlN2at6native12_GLOBAL__N_18offset_tEEE10hipError_tPvRmT1_PNSt15iterator_traitsISL_E10value_typeET2_T3_PNSM_ISR_E10value_typeET4_jRbjT5_SX_jjP12ihipStream_tbEUlT_E2_NS1_11comp_targetILNS1_3genE4ELNS1_11target_archE910ELNS1_3gpuE8ELNS1_3repE0EEENS1_30default_config_static_selectorELNS0_4arch9wavefront6targetE0EEEvSL_.kd
    .uniform_work_group_size: 1
    .uses_dynamic_stack: false
    .vgpr_count:     0
    .vgpr_spill_count: 0
    .wavefront_size: 32
    .workgroup_processor_mode: 1
  - .args:
      - .offset:         0
        .size:           80
        .value_kind:     by_value
    .group_segment_fixed_size: 0
    .kernarg_segment_align: 8
    .kernarg_segment_size: 80
    .language:       OpenCL C
    .language_version:
      - 2
      - 0
    .max_flat_workgroup_size: 256
    .name:           _ZN7rocprim17ROCPRIM_400000_NS6detail17trampoline_kernelINS0_14default_configENS1_36segmented_radix_sort_config_selectorI12hip_bfloat16lEEZNS1_25segmented_radix_sort_implIS3_Lb1EPKS5_PS5_PKlPlN2at6native12_GLOBAL__N_18offset_tEEE10hipError_tPvRmT1_PNSt15iterator_traitsISL_E10value_typeET2_T3_PNSM_ISR_E10value_typeET4_jRbjT5_SX_jjP12ihipStream_tbEUlT_E2_NS1_11comp_targetILNS1_3genE3ELNS1_11target_archE908ELNS1_3gpuE7ELNS1_3repE0EEENS1_30default_config_static_selectorELNS0_4arch9wavefront6targetE0EEEvSL_
    .private_segment_fixed_size: 0
    .sgpr_count:     0
    .sgpr_spill_count: 0
    .symbol:         _ZN7rocprim17ROCPRIM_400000_NS6detail17trampoline_kernelINS0_14default_configENS1_36segmented_radix_sort_config_selectorI12hip_bfloat16lEEZNS1_25segmented_radix_sort_implIS3_Lb1EPKS5_PS5_PKlPlN2at6native12_GLOBAL__N_18offset_tEEE10hipError_tPvRmT1_PNSt15iterator_traitsISL_E10value_typeET2_T3_PNSM_ISR_E10value_typeET4_jRbjT5_SX_jjP12ihipStream_tbEUlT_E2_NS1_11comp_targetILNS1_3genE3ELNS1_11target_archE908ELNS1_3gpuE7ELNS1_3repE0EEENS1_30default_config_static_selectorELNS0_4arch9wavefront6targetE0EEEvSL_.kd
    .uniform_work_group_size: 1
    .uses_dynamic_stack: false
    .vgpr_count:     0
    .vgpr_spill_count: 0
    .wavefront_size: 32
    .workgroup_processor_mode: 1
  - .args:
      - .offset:         0
        .size:           80
        .value_kind:     by_value
    .group_segment_fixed_size: 0
    .kernarg_segment_align: 8
    .kernarg_segment_size: 80
    .language:       OpenCL C
    .language_version:
      - 2
      - 0
    .max_flat_workgroup_size: 256
    .name:           _ZN7rocprim17ROCPRIM_400000_NS6detail17trampoline_kernelINS0_14default_configENS1_36segmented_radix_sort_config_selectorI12hip_bfloat16lEEZNS1_25segmented_radix_sort_implIS3_Lb1EPKS5_PS5_PKlPlN2at6native12_GLOBAL__N_18offset_tEEE10hipError_tPvRmT1_PNSt15iterator_traitsISL_E10value_typeET2_T3_PNSM_ISR_E10value_typeET4_jRbjT5_SX_jjP12ihipStream_tbEUlT_E2_NS1_11comp_targetILNS1_3genE2ELNS1_11target_archE906ELNS1_3gpuE6ELNS1_3repE0EEENS1_30default_config_static_selectorELNS0_4arch9wavefront6targetE0EEEvSL_
    .private_segment_fixed_size: 0
    .sgpr_count:     0
    .sgpr_spill_count: 0
    .symbol:         _ZN7rocprim17ROCPRIM_400000_NS6detail17trampoline_kernelINS0_14default_configENS1_36segmented_radix_sort_config_selectorI12hip_bfloat16lEEZNS1_25segmented_radix_sort_implIS3_Lb1EPKS5_PS5_PKlPlN2at6native12_GLOBAL__N_18offset_tEEE10hipError_tPvRmT1_PNSt15iterator_traitsISL_E10value_typeET2_T3_PNSM_ISR_E10value_typeET4_jRbjT5_SX_jjP12ihipStream_tbEUlT_E2_NS1_11comp_targetILNS1_3genE2ELNS1_11target_archE906ELNS1_3gpuE6ELNS1_3repE0EEENS1_30default_config_static_selectorELNS0_4arch9wavefront6targetE0EEEvSL_.kd
    .uniform_work_group_size: 1
    .uses_dynamic_stack: false
    .vgpr_count:     0
    .vgpr_spill_count: 0
    .wavefront_size: 32
    .workgroup_processor_mode: 1
  - .args:
      - .offset:         0
        .size:           80
        .value_kind:     by_value
    .group_segment_fixed_size: 0
    .kernarg_segment_align: 8
    .kernarg_segment_size: 80
    .language:       OpenCL C
    .language_version:
      - 2
      - 0
    .max_flat_workgroup_size: 256
    .name:           _ZN7rocprim17ROCPRIM_400000_NS6detail17trampoline_kernelINS0_14default_configENS1_36segmented_radix_sort_config_selectorI12hip_bfloat16lEEZNS1_25segmented_radix_sort_implIS3_Lb1EPKS5_PS5_PKlPlN2at6native12_GLOBAL__N_18offset_tEEE10hipError_tPvRmT1_PNSt15iterator_traitsISL_E10value_typeET2_T3_PNSM_ISR_E10value_typeET4_jRbjT5_SX_jjP12ihipStream_tbEUlT_E2_NS1_11comp_targetILNS1_3genE10ELNS1_11target_archE1201ELNS1_3gpuE5ELNS1_3repE0EEENS1_30default_config_static_selectorELNS0_4arch9wavefront6targetE0EEEvSL_
    .private_segment_fixed_size: 0
    .sgpr_count:     0
    .sgpr_spill_count: 0
    .symbol:         _ZN7rocprim17ROCPRIM_400000_NS6detail17trampoline_kernelINS0_14default_configENS1_36segmented_radix_sort_config_selectorI12hip_bfloat16lEEZNS1_25segmented_radix_sort_implIS3_Lb1EPKS5_PS5_PKlPlN2at6native12_GLOBAL__N_18offset_tEEE10hipError_tPvRmT1_PNSt15iterator_traitsISL_E10value_typeET2_T3_PNSM_ISR_E10value_typeET4_jRbjT5_SX_jjP12ihipStream_tbEUlT_E2_NS1_11comp_targetILNS1_3genE10ELNS1_11target_archE1201ELNS1_3gpuE5ELNS1_3repE0EEENS1_30default_config_static_selectorELNS0_4arch9wavefront6targetE0EEEvSL_.kd
    .uniform_work_group_size: 1
    .uses_dynamic_stack: false
    .vgpr_count:     0
    .vgpr_spill_count: 0
    .wavefront_size: 32
    .workgroup_processor_mode: 1
  - .args:
      - .offset:         0
        .size:           80
        .value_kind:     by_value
    .group_segment_fixed_size: 0
    .kernarg_segment_align: 8
    .kernarg_segment_size: 80
    .language:       OpenCL C
    .language_version:
      - 2
      - 0
    .max_flat_workgroup_size: 128
    .name:           _ZN7rocprim17ROCPRIM_400000_NS6detail17trampoline_kernelINS0_14default_configENS1_36segmented_radix_sort_config_selectorI12hip_bfloat16lEEZNS1_25segmented_radix_sort_implIS3_Lb1EPKS5_PS5_PKlPlN2at6native12_GLOBAL__N_18offset_tEEE10hipError_tPvRmT1_PNSt15iterator_traitsISL_E10value_typeET2_T3_PNSM_ISR_E10value_typeET4_jRbjT5_SX_jjP12ihipStream_tbEUlT_E2_NS1_11comp_targetILNS1_3genE10ELNS1_11target_archE1200ELNS1_3gpuE4ELNS1_3repE0EEENS1_30default_config_static_selectorELNS0_4arch9wavefront6targetE0EEEvSL_
    .private_segment_fixed_size: 0
    .sgpr_count:     0
    .sgpr_spill_count: 0
    .symbol:         _ZN7rocprim17ROCPRIM_400000_NS6detail17trampoline_kernelINS0_14default_configENS1_36segmented_radix_sort_config_selectorI12hip_bfloat16lEEZNS1_25segmented_radix_sort_implIS3_Lb1EPKS5_PS5_PKlPlN2at6native12_GLOBAL__N_18offset_tEEE10hipError_tPvRmT1_PNSt15iterator_traitsISL_E10value_typeET2_T3_PNSM_ISR_E10value_typeET4_jRbjT5_SX_jjP12ihipStream_tbEUlT_E2_NS1_11comp_targetILNS1_3genE10ELNS1_11target_archE1200ELNS1_3gpuE4ELNS1_3repE0EEENS1_30default_config_static_selectorELNS0_4arch9wavefront6targetE0EEEvSL_.kd
    .uniform_work_group_size: 1
    .uses_dynamic_stack: false
    .vgpr_count:     0
    .vgpr_spill_count: 0
    .wavefront_size: 32
    .workgroup_processor_mode: 1
  - .args:
      - .offset:         0
        .size:           80
        .value_kind:     by_value
      - .offset:         80
        .size:           4
        .value_kind:     hidden_block_count_x
      - .offset:         84
        .size:           4
        .value_kind:     hidden_block_count_y
      - .offset:         88
        .size:           4
        .value_kind:     hidden_block_count_z
      - .offset:         92
        .size:           2
        .value_kind:     hidden_group_size_x
      - .offset:         94
        .size:           2
        .value_kind:     hidden_group_size_y
      - .offset:         96
        .size:           2
        .value_kind:     hidden_group_size_z
      - .offset:         98
        .size:           2
        .value_kind:     hidden_remainder_x
      - .offset:         100
        .size:           2
        .value_kind:     hidden_remainder_y
      - .offset:         102
        .size:           2
        .value_kind:     hidden_remainder_z
      - .offset:         120
        .size:           8
        .value_kind:     hidden_global_offset_x
      - .offset:         128
        .size:           8
        .value_kind:     hidden_global_offset_y
      - .offset:         136
        .size:           8
        .value_kind:     hidden_global_offset_z
      - .offset:         144
        .size:           2
        .value_kind:     hidden_grid_dims
    .group_segment_fixed_size: 33824
    .kernarg_segment_align: 8
    .kernarg_segment_size: 336
    .language:       OpenCL C
    .language_version:
      - 2
      - 0
    .max_flat_workgroup_size: 256
    .name:           _ZN7rocprim17ROCPRIM_400000_NS6detail17trampoline_kernelINS0_14default_configENS1_36segmented_radix_sort_config_selectorI12hip_bfloat16lEEZNS1_25segmented_radix_sort_implIS3_Lb1EPKS5_PS5_PKlPlN2at6native12_GLOBAL__N_18offset_tEEE10hipError_tPvRmT1_PNSt15iterator_traitsISL_E10value_typeET2_T3_PNSM_ISR_E10value_typeET4_jRbjT5_SX_jjP12ihipStream_tbEUlT_E2_NS1_11comp_targetILNS1_3genE9ELNS1_11target_archE1100ELNS1_3gpuE3ELNS1_3repE0EEENS1_30default_config_static_selectorELNS0_4arch9wavefront6targetE0EEEvSL_
    .private_segment_fixed_size: 220
    .sgpr_count:     62
    .sgpr_spill_count: 0
    .symbol:         _ZN7rocprim17ROCPRIM_400000_NS6detail17trampoline_kernelINS0_14default_configENS1_36segmented_radix_sort_config_selectorI12hip_bfloat16lEEZNS1_25segmented_radix_sort_implIS3_Lb1EPKS5_PS5_PKlPlN2at6native12_GLOBAL__N_18offset_tEEE10hipError_tPvRmT1_PNSt15iterator_traitsISL_E10value_typeET2_T3_PNSM_ISR_E10value_typeET4_jRbjT5_SX_jjP12ihipStream_tbEUlT_E2_NS1_11comp_targetILNS1_3genE9ELNS1_11target_archE1100ELNS1_3gpuE3ELNS1_3repE0EEENS1_30default_config_static_selectorELNS0_4arch9wavefront6targetE0EEEvSL_.kd
    .uniform_work_group_size: 1
    .uses_dynamic_stack: false
    .vgpr_count:     248
    .vgpr_spill_count: 0
    .wavefront_size: 32
    .workgroup_processor_mode: 1
  - .args:
      - .offset:         0
        .size:           80
        .value_kind:     by_value
    .group_segment_fixed_size: 0
    .kernarg_segment_align: 8
    .kernarg_segment_size: 80
    .language:       OpenCL C
    .language_version:
      - 2
      - 0
    .max_flat_workgroup_size: 256
    .name:           _ZN7rocprim17ROCPRIM_400000_NS6detail17trampoline_kernelINS0_14default_configENS1_36segmented_radix_sort_config_selectorI12hip_bfloat16lEEZNS1_25segmented_radix_sort_implIS3_Lb1EPKS5_PS5_PKlPlN2at6native12_GLOBAL__N_18offset_tEEE10hipError_tPvRmT1_PNSt15iterator_traitsISL_E10value_typeET2_T3_PNSM_ISR_E10value_typeET4_jRbjT5_SX_jjP12ihipStream_tbEUlT_E2_NS1_11comp_targetILNS1_3genE8ELNS1_11target_archE1030ELNS1_3gpuE2ELNS1_3repE0EEENS1_30default_config_static_selectorELNS0_4arch9wavefront6targetE0EEEvSL_
    .private_segment_fixed_size: 0
    .sgpr_count:     0
    .sgpr_spill_count: 0
    .symbol:         _ZN7rocprim17ROCPRIM_400000_NS6detail17trampoline_kernelINS0_14default_configENS1_36segmented_radix_sort_config_selectorI12hip_bfloat16lEEZNS1_25segmented_radix_sort_implIS3_Lb1EPKS5_PS5_PKlPlN2at6native12_GLOBAL__N_18offset_tEEE10hipError_tPvRmT1_PNSt15iterator_traitsISL_E10value_typeET2_T3_PNSM_ISR_E10value_typeET4_jRbjT5_SX_jjP12ihipStream_tbEUlT_E2_NS1_11comp_targetILNS1_3genE8ELNS1_11target_archE1030ELNS1_3gpuE2ELNS1_3repE0EEENS1_30default_config_static_selectorELNS0_4arch9wavefront6targetE0EEEvSL_.kd
    .uniform_work_group_size: 1
    .uses_dynamic_stack: false
    .vgpr_count:     0
    .vgpr_spill_count: 0
    .wavefront_size: 32
    .workgroup_processor_mode: 1
  - .args:
      - .offset:         0
        .size:           176
        .value_kind:     by_value
    .group_segment_fixed_size: 0
    .kernarg_segment_align: 8
    .kernarg_segment_size: 176
    .language:       OpenCL C
    .language_version:
      - 2
      - 0
    .max_flat_workgroup_size: 256
    .name:           _ZN7rocprim17ROCPRIM_400000_NS6detail17trampoline_kernelINS0_13select_configILj256ELj13ELNS0_17block_load_methodE3ELS4_3ELS4_3ELNS0_20block_scan_algorithmE0ELj4294967295EEENS1_25partition_config_selectorILNS1_17partition_subalgoE4EjNS0_10empty_typeEbEEZZNS1_14partition_implILS8_4ELb0ES6_15HIP_vector_typeIjLj2EENS0_17counting_iteratorIjlEEPS9_SG_NS0_5tupleIJPjSI_NS0_16reverse_iteratorISI_EEEEENSH_IJSG_SG_SG_EEES9_SI_JZNS1_25segmented_radix_sort_implINS0_14default_configELb0EPK12hip_bfloat16PSP_PKlPlN2at6native12_GLOBAL__N_18offset_tEEE10hipError_tPvRmT1_PNSt15iterator_traitsIS13_E10value_typeET2_T3_PNS14_IS19_E10value_typeET4_jRbjT5_S1F_jjP12ihipStream_tbEUljE_ZNSN_ISO_Lb0ESR_SS_SU_SV_SZ_EES10_S11_S12_S13_S17_S18_S19_S1C_S1D_jS1E_jS1F_S1F_jjS1H_bEUljE0_EEES10_S11_S12_S19_S1D_S1F_T6_T7_T9_mT8_S1H_bDpT10_ENKUlT_T0_E_clISt17integral_constantIbLb0EES1V_EEDaS1Q_S1R_EUlS1Q_E_NS1_11comp_targetILNS1_3genE0ELNS1_11target_archE4294967295ELNS1_3gpuE0ELNS1_3repE0EEENS1_30default_config_static_selectorELNS0_4arch9wavefront6targetE0EEEvS13_
    .private_segment_fixed_size: 0
    .sgpr_count:     0
    .sgpr_spill_count: 0
    .symbol:         _ZN7rocprim17ROCPRIM_400000_NS6detail17trampoline_kernelINS0_13select_configILj256ELj13ELNS0_17block_load_methodE3ELS4_3ELS4_3ELNS0_20block_scan_algorithmE0ELj4294967295EEENS1_25partition_config_selectorILNS1_17partition_subalgoE4EjNS0_10empty_typeEbEEZZNS1_14partition_implILS8_4ELb0ES6_15HIP_vector_typeIjLj2EENS0_17counting_iteratorIjlEEPS9_SG_NS0_5tupleIJPjSI_NS0_16reverse_iteratorISI_EEEEENSH_IJSG_SG_SG_EEES9_SI_JZNS1_25segmented_radix_sort_implINS0_14default_configELb0EPK12hip_bfloat16PSP_PKlPlN2at6native12_GLOBAL__N_18offset_tEEE10hipError_tPvRmT1_PNSt15iterator_traitsIS13_E10value_typeET2_T3_PNS14_IS19_E10value_typeET4_jRbjT5_S1F_jjP12ihipStream_tbEUljE_ZNSN_ISO_Lb0ESR_SS_SU_SV_SZ_EES10_S11_S12_S13_S17_S18_S19_S1C_S1D_jS1E_jS1F_S1F_jjS1H_bEUljE0_EEES10_S11_S12_S19_S1D_S1F_T6_T7_T9_mT8_S1H_bDpT10_ENKUlT_T0_E_clISt17integral_constantIbLb0EES1V_EEDaS1Q_S1R_EUlS1Q_E_NS1_11comp_targetILNS1_3genE0ELNS1_11target_archE4294967295ELNS1_3gpuE0ELNS1_3repE0EEENS1_30default_config_static_selectorELNS0_4arch9wavefront6targetE0EEEvS13_.kd
    .uniform_work_group_size: 1
    .uses_dynamic_stack: false
    .vgpr_count:     0
    .vgpr_spill_count: 0
    .wavefront_size: 32
    .workgroup_processor_mode: 1
  - .args:
      - .offset:         0
        .size:           176
        .value_kind:     by_value
    .group_segment_fixed_size: 0
    .kernarg_segment_align: 8
    .kernarg_segment_size: 176
    .language:       OpenCL C
    .language_version:
      - 2
      - 0
    .max_flat_workgroup_size: 256
    .name:           _ZN7rocprim17ROCPRIM_400000_NS6detail17trampoline_kernelINS0_13select_configILj256ELj13ELNS0_17block_load_methodE3ELS4_3ELS4_3ELNS0_20block_scan_algorithmE0ELj4294967295EEENS1_25partition_config_selectorILNS1_17partition_subalgoE4EjNS0_10empty_typeEbEEZZNS1_14partition_implILS8_4ELb0ES6_15HIP_vector_typeIjLj2EENS0_17counting_iteratorIjlEEPS9_SG_NS0_5tupleIJPjSI_NS0_16reverse_iteratorISI_EEEEENSH_IJSG_SG_SG_EEES9_SI_JZNS1_25segmented_radix_sort_implINS0_14default_configELb0EPK12hip_bfloat16PSP_PKlPlN2at6native12_GLOBAL__N_18offset_tEEE10hipError_tPvRmT1_PNSt15iterator_traitsIS13_E10value_typeET2_T3_PNS14_IS19_E10value_typeET4_jRbjT5_S1F_jjP12ihipStream_tbEUljE_ZNSN_ISO_Lb0ESR_SS_SU_SV_SZ_EES10_S11_S12_S13_S17_S18_S19_S1C_S1D_jS1E_jS1F_S1F_jjS1H_bEUljE0_EEES10_S11_S12_S19_S1D_S1F_T6_T7_T9_mT8_S1H_bDpT10_ENKUlT_T0_E_clISt17integral_constantIbLb0EES1V_EEDaS1Q_S1R_EUlS1Q_E_NS1_11comp_targetILNS1_3genE5ELNS1_11target_archE942ELNS1_3gpuE9ELNS1_3repE0EEENS1_30default_config_static_selectorELNS0_4arch9wavefront6targetE0EEEvS13_
    .private_segment_fixed_size: 0
    .sgpr_count:     0
    .sgpr_spill_count: 0
    .symbol:         _ZN7rocprim17ROCPRIM_400000_NS6detail17trampoline_kernelINS0_13select_configILj256ELj13ELNS0_17block_load_methodE3ELS4_3ELS4_3ELNS0_20block_scan_algorithmE0ELj4294967295EEENS1_25partition_config_selectorILNS1_17partition_subalgoE4EjNS0_10empty_typeEbEEZZNS1_14partition_implILS8_4ELb0ES6_15HIP_vector_typeIjLj2EENS0_17counting_iteratorIjlEEPS9_SG_NS0_5tupleIJPjSI_NS0_16reverse_iteratorISI_EEEEENSH_IJSG_SG_SG_EEES9_SI_JZNS1_25segmented_radix_sort_implINS0_14default_configELb0EPK12hip_bfloat16PSP_PKlPlN2at6native12_GLOBAL__N_18offset_tEEE10hipError_tPvRmT1_PNSt15iterator_traitsIS13_E10value_typeET2_T3_PNS14_IS19_E10value_typeET4_jRbjT5_S1F_jjP12ihipStream_tbEUljE_ZNSN_ISO_Lb0ESR_SS_SU_SV_SZ_EES10_S11_S12_S13_S17_S18_S19_S1C_S1D_jS1E_jS1F_S1F_jjS1H_bEUljE0_EEES10_S11_S12_S19_S1D_S1F_T6_T7_T9_mT8_S1H_bDpT10_ENKUlT_T0_E_clISt17integral_constantIbLb0EES1V_EEDaS1Q_S1R_EUlS1Q_E_NS1_11comp_targetILNS1_3genE5ELNS1_11target_archE942ELNS1_3gpuE9ELNS1_3repE0EEENS1_30default_config_static_selectorELNS0_4arch9wavefront6targetE0EEEvS13_.kd
    .uniform_work_group_size: 1
    .uses_dynamic_stack: false
    .vgpr_count:     0
    .vgpr_spill_count: 0
    .wavefront_size: 32
    .workgroup_processor_mode: 1
  - .args:
      - .offset:         0
        .size:           176
        .value_kind:     by_value
    .group_segment_fixed_size: 0
    .kernarg_segment_align: 8
    .kernarg_segment_size: 176
    .language:       OpenCL C
    .language_version:
      - 2
      - 0
    .max_flat_workgroup_size: 256
    .name:           _ZN7rocprim17ROCPRIM_400000_NS6detail17trampoline_kernelINS0_13select_configILj256ELj13ELNS0_17block_load_methodE3ELS4_3ELS4_3ELNS0_20block_scan_algorithmE0ELj4294967295EEENS1_25partition_config_selectorILNS1_17partition_subalgoE4EjNS0_10empty_typeEbEEZZNS1_14partition_implILS8_4ELb0ES6_15HIP_vector_typeIjLj2EENS0_17counting_iteratorIjlEEPS9_SG_NS0_5tupleIJPjSI_NS0_16reverse_iteratorISI_EEEEENSH_IJSG_SG_SG_EEES9_SI_JZNS1_25segmented_radix_sort_implINS0_14default_configELb0EPK12hip_bfloat16PSP_PKlPlN2at6native12_GLOBAL__N_18offset_tEEE10hipError_tPvRmT1_PNSt15iterator_traitsIS13_E10value_typeET2_T3_PNS14_IS19_E10value_typeET4_jRbjT5_S1F_jjP12ihipStream_tbEUljE_ZNSN_ISO_Lb0ESR_SS_SU_SV_SZ_EES10_S11_S12_S13_S17_S18_S19_S1C_S1D_jS1E_jS1F_S1F_jjS1H_bEUljE0_EEES10_S11_S12_S19_S1D_S1F_T6_T7_T9_mT8_S1H_bDpT10_ENKUlT_T0_E_clISt17integral_constantIbLb0EES1V_EEDaS1Q_S1R_EUlS1Q_E_NS1_11comp_targetILNS1_3genE4ELNS1_11target_archE910ELNS1_3gpuE8ELNS1_3repE0EEENS1_30default_config_static_selectorELNS0_4arch9wavefront6targetE0EEEvS13_
    .private_segment_fixed_size: 0
    .sgpr_count:     0
    .sgpr_spill_count: 0
    .symbol:         _ZN7rocprim17ROCPRIM_400000_NS6detail17trampoline_kernelINS0_13select_configILj256ELj13ELNS0_17block_load_methodE3ELS4_3ELS4_3ELNS0_20block_scan_algorithmE0ELj4294967295EEENS1_25partition_config_selectorILNS1_17partition_subalgoE4EjNS0_10empty_typeEbEEZZNS1_14partition_implILS8_4ELb0ES6_15HIP_vector_typeIjLj2EENS0_17counting_iteratorIjlEEPS9_SG_NS0_5tupleIJPjSI_NS0_16reverse_iteratorISI_EEEEENSH_IJSG_SG_SG_EEES9_SI_JZNS1_25segmented_radix_sort_implINS0_14default_configELb0EPK12hip_bfloat16PSP_PKlPlN2at6native12_GLOBAL__N_18offset_tEEE10hipError_tPvRmT1_PNSt15iterator_traitsIS13_E10value_typeET2_T3_PNS14_IS19_E10value_typeET4_jRbjT5_S1F_jjP12ihipStream_tbEUljE_ZNSN_ISO_Lb0ESR_SS_SU_SV_SZ_EES10_S11_S12_S13_S17_S18_S19_S1C_S1D_jS1E_jS1F_S1F_jjS1H_bEUljE0_EEES10_S11_S12_S19_S1D_S1F_T6_T7_T9_mT8_S1H_bDpT10_ENKUlT_T0_E_clISt17integral_constantIbLb0EES1V_EEDaS1Q_S1R_EUlS1Q_E_NS1_11comp_targetILNS1_3genE4ELNS1_11target_archE910ELNS1_3gpuE8ELNS1_3repE0EEENS1_30default_config_static_selectorELNS0_4arch9wavefront6targetE0EEEvS13_.kd
    .uniform_work_group_size: 1
    .uses_dynamic_stack: false
    .vgpr_count:     0
    .vgpr_spill_count: 0
    .wavefront_size: 32
    .workgroup_processor_mode: 1
  - .args:
      - .offset:         0
        .size:           176
        .value_kind:     by_value
    .group_segment_fixed_size: 0
    .kernarg_segment_align: 8
    .kernarg_segment_size: 176
    .language:       OpenCL C
    .language_version:
      - 2
      - 0
    .max_flat_workgroup_size: 256
    .name:           _ZN7rocprim17ROCPRIM_400000_NS6detail17trampoline_kernelINS0_13select_configILj256ELj13ELNS0_17block_load_methodE3ELS4_3ELS4_3ELNS0_20block_scan_algorithmE0ELj4294967295EEENS1_25partition_config_selectorILNS1_17partition_subalgoE4EjNS0_10empty_typeEbEEZZNS1_14partition_implILS8_4ELb0ES6_15HIP_vector_typeIjLj2EENS0_17counting_iteratorIjlEEPS9_SG_NS0_5tupleIJPjSI_NS0_16reverse_iteratorISI_EEEEENSH_IJSG_SG_SG_EEES9_SI_JZNS1_25segmented_radix_sort_implINS0_14default_configELb0EPK12hip_bfloat16PSP_PKlPlN2at6native12_GLOBAL__N_18offset_tEEE10hipError_tPvRmT1_PNSt15iterator_traitsIS13_E10value_typeET2_T3_PNS14_IS19_E10value_typeET4_jRbjT5_S1F_jjP12ihipStream_tbEUljE_ZNSN_ISO_Lb0ESR_SS_SU_SV_SZ_EES10_S11_S12_S13_S17_S18_S19_S1C_S1D_jS1E_jS1F_S1F_jjS1H_bEUljE0_EEES10_S11_S12_S19_S1D_S1F_T6_T7_T9_mT8_S1H_bDpT10_ENKUlT_T0_E_clISt17integral_constantIbLb0EES1V_EEDaS1Q_S1R_EUlS1Q_E_NS1_11comp_targetILNS1_3genE3ELNS1_11target_archE908ELNS1_3gpuE7ELNS1_3repE0EEENS1_30default_config_static_selectorELNS0_4arch9wavefront6targetE0EEEvS13_
    .private_segment_fixed_size: 0
    .sgpr_count:     0
    .sgpr_spill_count: 0
    .symbol:         _ZN7rocprim17ROCPRIM_400000_NS6detail17trampoline_kernelINS0_13select_configILj256ELj13ELNS0_17block_load_methodE3ELS4_3ELS4_3ELNS0_20block_scan_algorithmE0ELj4294967295EEENS1_25partition_config_selectorILNS1_17partition_subalgoE4EjNS0_10empty_typeEbEEZZNS1_14partition_implILS8_4ELb0ES6_15HIP_vector_typeIjLj2EENS0_17counting_iteratorIjlEEPS9_SG_NS0_5tupleIJPjSI_NS0_16reverse_iteratorISI_EEEEENSH_IJSG_SG_SG_EEES9_SI_JZNS1_25segmented_radix_sort_implINS0_14default_configELb0EPK12hip_bfloat16PSP_PKlPlN2at6native12_GLOBAL__N_18offset_tEEE10hipError_tPvRmT1_PNSt15iterator_traitsIS13_E10value_typeET2_T3_PNS14_IS19_E10value_typeET4_jRbjT5_S1F_jjP12ihipStream_tbEUljE_ZNSN_ISO_Lb0ESR_SS_SU_SV_SZ_EES10_S11_S12_S13_S17_S18_S19_S1C_S1D_jS1E_jS1F_S1F_jjS1H_bEUljE0_EEES10_S11_S12_S19_S1D_S1F_T6_T7_T9_mT8_S1H_bDpT10_ENKUlT_T0_E_clISt17integral_constantIbLb0EES1V_EEDaS1Q_S1R_EUlS1Q_E_NS1_11comp_targetILNS1_3genE3ELNS1_11target_archE908ELNS1_3gpuE7ELNS1_3repE0EEENS1_30default_config_static_selectorELNS0_4arch9wavefront6targetE0EEEvS13_.kd
    .uniform_work_group_size: 1
    .uses_dynamic_stack: false
    .vgpr_count:     0
    .vgpr_spill_count: 0
    .wavefront_size: 32
    .workgroup_processor_mode: 1
  - .args:
      - .offset:         0
        .size:           176
        .value_kind:     by_value
    .group_segment_fixed_size: 0
    .kernarg_segment_align: 8
    .kernarg_segment_size: 176
    .language:       OpenCL C
    .language_version:
      - 2
      - 0
    .max_flat_workgroup_size: 256
    .name:           _ZN7rocprim17ROCPRIM_400000_NS6detail17trampoline_kernelINS0_13select_configILj256ELj13ELNS0_17block_load_methodE3ELS4_3ELS4_3ELNS0_20block_scan_algorithmE0ELj4294967295EEENS1_25partition_config_selectorILNS1_17partition_subalgoE4EjNS0_10empty_typeEbEEZZNS1_14partition_implILS8_4ELb0ES6_15HIP_vector_typeIjLj2EENS0_17counting_iteratorIjlEEPS9_SG_NS0_5tupleIJPjSI_NS0_16reverse_iteratorISI_EEEEENSH_IJSG_SG_SG_EEES9_SI_JZNS1_25segmented_radix_sort_implINS0_14default_configELb0EPK12hip_bfloat16PSP_PKlPlN2at6native12_GLOBAL__N_18offset_tEEE10hipError_tPvRmT1_PNSt15iterator_traitsIS13_E10value_typeET2_T3_PNS14_IS19_E10value_typeET4_jRbjT5_S1F_jjP12ihipStream_tbEUljE_ZNSN_ISO_Lb0ESR_SS_SU_SV_SZ_EES10_S11_S12_S13_S17_S18_S19_S1C_S1D_jS1E_jS1F_S1F_jjS1H_bEUljE0_EEES10_S11_S12_S19_S1D_S1F_T6_T7_T9_mT8_S1H_bDpT10_ENKUlT_T0_E_clISt17integral_constantIbLb0EES1V_EEDaS1Q_S1R_EUlS1Q_E_NS1_11comp_targetILNS1_3genE2ELNS1_11target_archE906ELNS1_3gpuE6ELNS1_3repE0EEENS1_30default_config_static_selectorELNS0_4arch9wavefront6targetE0EEEvS13_
    .private_segment_fixed_size: 0
    .sgpr_count:     0
    .sgpr_spill_count: 0
    .symbol:         _ZN7rocprim17ROCPRIM_400000_NS6detail17trampoline_kernelINS0_13select_configILj256ELj13ELNS0_17block_load_methodE3ELS4_3ELS4_3ELNS0_20block_scan_algorithmE0ELj4294967295EEENS1_25partition_config_selectorILNS1_17partition_subalgoE4EjNS0_10empty_typeEbEEZZNS1_14partition_implILS8_4ELb0ES6_15HIP_vector_typeIjLj2EENS0_17counting_iteratorIjlEEPS9_SG_NS0_5tupleIJPjSI_NS0_16reverse_iteratorISI_EEEEENSH_IJSG_SG_SG_EEES9_SI_JZNS1_25segmented_radix_sort_implINS0_14default_configELb0EPK12hip_bfloat16PSP_PKlPlN2at6native12_GLOBAL__N_18offset_tEEE10hipError_tPvRmT1_PNSt15iterator_traitsIS13_E10value_typeET2_T3_PNS14_IS19_E10value_typeET4_jRbjT5_S1F_jjP12ihipStream_tbEUljE_ZNSN_ISO_Lb0ESR_SS_SU_SV_SZ_EES10_S11_S12_S13_S17_S18_S19_S1C_S1D_jS1E_jS1F_S1F_jjS1H_bEUljE0_EEES10_S11_S12_S19_S1D_S1F_T6_T7_T9_mT8_S1H_bDpT10_ENKUlT_T0_E_clISt17integral_constantIbLb0EES1V_EEDaS1Q_S1R_EUlS1Q_E_NS1_11comp_targetILNS1_3genE2ELNS1_11target_archE906ELNS1_3gpuE6ELNS1_3repE0EEENS1_30default_config_static_selectorELNS0_4arch9wavefront6targetE0EEEvS13_.kd
    .uniform_work_group_size: 1
    .uses_dynamic_stack: false
    .vgpr_count:     0
    .vgpr_spill_count: 0
    .wavefront_size: 32
    .workgroup_processor_mode: 1
  - .args:
      - .offset:         0
        .size:           176
        .value_kind:     by_value
    .group_segment_fixed_size: 0
    .kernarg_segment_align: 8
    .kernarg_segment_size: 176
    .language:       OpenCL C
    .language_version:
      - 2
      - 0
    .max_flat_workgroup_size: 256
    .name:           _ZN7rocprim17ROCPRIM_400000_NS6detail17trampoline_kernelINS0_13select_configILj256ELj13ELNS0_17block_load_methodE3ELS4_3ELS4_3ELNS0_20block_scan_algorithmE0ELj4294967295EEENS1_25partition_config_selectorILNS1_17partition_subalgoE4EjNS0_10empty_typeEbEEZZNS1_14partition_implILS8_4ELb0ES6_15HIP_vector_typeIjLj2EENS0_17counting_iteratorIjlEEPS9_SG_NS0_5tupleIJPjSI_NS0_16reverse_iteratorISI_EEEEENSH_IJSG_SG_SG_EEES9_SI_JZNS1_25segmented_radix_sort_implINS0_14default_configELb0EPK12hip_bfloat16PSP_PKlPlN2at6native12_GLOBAL__N_18offset_tEEE10hipError_tPvRmT1_PNSt15iterator_traitsIS13_E10value_typeET2_T3_PNS14_IS19_E10value_typeET4_jRbjT5_S1F_jjP12ihipStream_tbEUljE_ZNSN_ISO_Lb0ESR_SS_SU_SV_SZ_EES10_S11_S12_S13_S17_S18_S19_S1C_S1D_jS1E_jS1F_S1F_jjS1H_bEUljE0_EEES10_S11_S12_S19_S1D_S1F_T6_T7_T9_mT8_S1H_bDpT10_ENKUlT_T0_E_clISt17integral_constantIbLb0EES1V_EEDaS1Q_S1R_EUlS1Q_E_NS1_11comp_targetILNS1_3genE10ELNS1_11target_archE1200ELNS1_3gpuE4ELNS1_3repE0EEENS1_30default_config_static_selectorELNS0_4arch9wavefront6targetE0EEEvS13_
    .private_segment_fixed_size: 0
    .sgpr_count:     0
    .sgpr_spill_count: 0
    .symbol:         _ZN7rocprim17ROCPRIM_400000_NS6detail17trampoline_kernelINS0_13select_configILj256ELj13ELNS0_17block_load_methodE3ELS4_3ELS4_3ELNS0_20block_scan_algorithmE0ELj4294967295EEENS1_25partition_config_selectorILNS1_17partition_subalgoE4EjNS0_10empty_typeEbEEZZNS1_14partition_implILS8_4ELb0ES6_15HIP_vector_typeIjLj2EENS0_17counting_iteratorIjlEEPS9_SG_NS0_5tupleIJPjSI_NS0_16reverse_iteratorISI_EEEEENSH_IJSG_SG_SG_EEES9_SI_JZNS1_25segmented_radix_sort_implINS0_14default_configELb0EPK12hip_bfloat16PSP_PKlPlN2at6native12_GLOBAL__N_18offset_tEEE10hipError_tPvRmT1_PNSt15iterator_traitsIS13_E10value_typeET2_T3_PNS14_IS19_E10value_typeET4_jRbjT5_S1F_jjP12ihipStream_tbEUljE_ZNSN_ISO_Lb0ESR_SS_SU_SV_SZ_EES10_S11_S12_S13_S17_S18_S19_S1C_S1D_jS1E_jS1F_S1F_jjS1H_bEUljE0_EEES10_S11_S12_S19_S1D_S1F_T6_T7_T9_mT8_S1H_bDpT10_ENKUlT_T0_E_clISt17integral_constantIbLb0EES1V_EEDaS1Q_S1R_EUlS1Q_E_NS1_11comp_targetILNS1_3genE10ELNS1_11target_archE1200ELNS1_3gpuE4ELNS1_3repE0EEENS1_30default_config_static_selectorELNS0_4arch9wavefront6targetE0EEEvS13_.kd
    .uniform_work_group_size: 1
    .uses_dynamic_stack: false
    .vgpr_count:     0
    .vgpr_spill_count: 0
    .wavefront_size: 32
    .workgroup_processor_mode: 1
  - .args:
      - .offset:         0
        .size:           176
        .value_kind:     by_value
    .group_segment_fixed_size: 13340
    .kernarg_segment_align: 8
    .kernarg_segment_size: 176
    .language:       OpenCL C
    .language_version:
      - 2
      - 0
    .max_flat_workgroup_size: 256
    .name:           _ZN7rocprim17ROCPRIM_400000_NS6detail17trampoline_kernelINS0_13select_configILj256ELj13ELNS0_17block_load_methodE3ELS4_3ELS4_3ELNS0_20block_scan_algorithmE0ELj4294967295EEENS1_25partition_config_selectorILNS1_17partition_subalgoE4EjNS0_10empty_typeEbEEZZNS1_14partition_implILS8_4ELb0ES6_15HIP_vector_typeIjLj2EENS0_17counting_iteratorIjlEEPS9_SG_NS0_5tupleIJPjSI_NS0_16reverse_iteratorISI_EEEEENSH_IJSG_SG_SG_EEES9_SI_JZNS1_25segmented_radix_sort_implINS0_14default_configELb0EPK12hip_bfloat16PSP_PKlPlN2at6native12_GLOBAL__N_18offset_tEEE10hipError_tPvRmT1_PNSt15iterator_traitsIS13_E10value_typeET2_T3_PNS14_IS19_E10value_typeET4_jRbjT5_S1F_jjP12ihipStream_tbEUljE_ZNSN_ISO_Lb0ESR_SS_SU_SV_SZ_EES10_S11_S12_S13_S17_S18_S19_S1C_S1D_jS1E_jS1F_S1F_jjS1H_bEUljE0_EEES10_S11_S12_S19_S1D_S1F_T6_T7_T9_mT8_S1H_bDpT10_ENKUlT_T0_E_clISt17integral_constantIbLb0EES1V_EEDaS1Q_S1R_EUlS1Q_E_NS1_11comp_targetILNS1_3genE9ELNS1_11target_archE1100ELNS1_3gpuE3ELNS1_3repE0EEENS1_30default_config_static_selectorELNS0_4arch9wavefront6targetE0EEEvS13_
    .private_segment_fixed_size: 0
    .sgpr_count:     61
    .sgpr_spill_count: 0
    .symbol:         _ZN7rocprim17ROCPRIM_400000_NS6detail17trampoline_kernelINS0_13select_configILj256ELj13ELNS0_17block_load_methodE3ELS4_3ELS4_3ELNS0_20block_scan_algorithmE0ELj4294967295EEENS1_25partition_config_selectorILNS1_17partition_subalgoE4EjNS0_10empty_typeEbEEZZNS1_14partition_implILS8_4ELb0ES6_15HIP_vector_typeIjLj2EENS0_17counting_iteratorIjlEEPS9_SG_NS0_5tupleIJPjSI_NS0_16reverse_iteratorISI_EEEEENSH_IJSG_SG_SG_EEES9_SI_JZNS1_25segmented_radix_sort_implINS0_14default_configELb0EPK12hip_bfloat16PSP_PKlPlN2at6native12_GLOBAL__N_18offset_tEEE10hipError_tPvRmT1_PNSt15iterator_traitsIS13_E10value_typeET2_T3_PNS14_IS19_E10value_typeET4_jRbjT5_S1F_jjP12ihipStream_tbEUljE_ZNSN_ISO_Lb0ESR_SS_SU_SV_SZ_EES10_S11_S12_S13_S17_S18_S19_S1C_S1D_jS1E_jS1F_S1F_jjS1H_bEUljE0_EEES10_S11_S12_S19_S1D_S1F_T6_T7_T9_mT8_S1H_bDpT10_ENKUlT_T0_E_clISt17integral_constantIbLb0EES1V_EEDaS1Q_S1R_EUlS1Q_E_NS1_11comp_targetILNS1_3genE9ELNS1_11target_archE1100ELNS1_3gpuE3ELNS1_3repE0EEENS1_30default_config_static_selectorELNS0_4arch9wavefront6targetE0EEEvS13_.kd
    .uniform_work_group_size: 1
    .uses_dynamic_stack: false
    .vgpr_count:     98
    .vgpr_spill_count: 0
    .wavefront_size: 32
    .workgroup_processor_mode: 1
  - .args:
      - .offset:         0
        .size:           176
        .value_kind:     by_value
    .group_segment_fixed_size: 0
    .kernarg_segment_align: 8
    .kernarg_segment_size: 176
    .language:       OpenCL C
    .language_version:
      - 2
      - 0
    .max_flat_workgroup_size: 256
    .name:           _ZN7rocprim17ROCPRIM_400000_NS6detail17trampoline_kernelINS0_13select_configILj256ELj13ELNS0_17block_load_methodE3ELS4_3ELS4_3ELNS0_20block_scan_algorithmE0ELj4294967295EEENS1_25partition_config_selectorILNS1_17partition_subalgoE4EjNS0_10empty_typeEbEEZZNS1_14partition_implILS8_4ELb0ES6_15HIP_vector_typeIjLj2EENS0_17counting_iteratorIjlEEPS9_SG_NS0_5tupleIJPjSI_NS0_16reverse_iteratorISI_EEEEENSH_IJSG_SG_SG_EEES9_SI_JZNS1_25segmented_radix_sort_implINS0_14default_configELb0EPK12hip_bfloat16PSP_PKlPlN2at6native12_GLOBAL__N_18offset_tEEE10hipError_tPvRmT1_PNSt15iterator_traitsIS13_E10value_typeET2_T3_PNS14_IS19_E10value_typeET4_jRbjT5_S1F_jjP12ihipStream_tbEUljE_ZNSN_ISO_Lb0ESR_SS_SU_SV_SZ_EES10_S11_S12_S13_S17_S18_S19_S1C_S1D_jS1E_jS1F_S1F_jjS1H_bEUljE0_EEES10_S11_S12_S19_S1D_S1F_T6_T7_T9_mT8_S1H_bDpT10_ENKUlT_T0_E_clISt17integral_constantIbLb0EES1V_EEDaS1Q_S1R_EUlS1Q_E_NS1_11comp_targetILNS1_3genE8ELNS1_11target_archE1030ELNS1_3gpuE2ELNS1_3repE0EEENS1_30default_config_static_selectorELNS0_4arch9wavefront6targetE0EEEvS13_
    .private_segment_fixed_size: 0
    .sgpr_count:     0
    .sgpr_spill_count: 0
    .symbol:         _ZN7rocprim17ROCPRIM_400000_NS6detail17trampoline_kernelINS0_13select_configILj256ELj13ELNS0_17block_load_methodE3ELS4_3ELS4_3ELNS0_20block_scan_algorithmE0ELj4294967295EEENS1_25partition_config_selectorILNS1_17partition_subalgoE4EjNS0_10empty_typeEbEEZZNS1_14partition_implILS8_4ELb0ES6_15HIP_vector_typeIjLj2EENS0_17counting_iteratorIjlEEPS9_SG_NS0_5tupleIJPjSI_NS0_16reverse_iteratorISI_EEEEENSH_IJSG_SG_SG_EEES9_SI_JZNS1_25segmented_radix_sort_implINS0_14default_configELb0EPK12hip_bfloat16PSP_PKlPlN2at6native12_GLOBAL__N_18offset_tEEE10hipError_tPvRmT1_PNSt15iterator_traitsIS13_E10value_typeET2_T3_PNS14_IS19_E10value_typeET4_jRbjT5_S1F_jjP12ihipStream_tbEUljE_ZNSN_ISO_Lb0ESR_SS_SU_SV_SZ_EES10_S11_S12_S13_S17_S18_S19_S1C_S1D_jS1E_jS1F_S1F_jjS1H_bEUljE0_EEES10_S11_S12_S19_S1D_S1F_T6_T7_T9_mT8_S1H_bDpT10_ENKUlT_T0_E_clISt17integral_constantIbLb0EES1V_EEDaS1Q_S1R_EUlS1Q_E_NS1_11comp_targetILNS1_3genE8ELNS1_11target_archE1030ELNS1_3gpuE2ELNS1_3repE0EEENS1_30default_config_static_selectorELNS0_4arch9wavefront6targetE0EEEvS13_.kd
    .uniform_work_group_size: 1
    .uses_dynamic_stack: false
    .vgpr_count:     0
    .vgpr_spill_count: 0
    .wavefront_size: 32
    .workgroup_processor_mode: 1
  - .args:
      - .offset:         0
        .size:           184
        .value_kind:     by_value
    .group_segment_fixed_size: 0
    .kernarg_segment_align: 8
    .kernarg_segment_size: 184
    .language:       OpenCL C
    .language_version:
      - 2
      - 0
    .max_flat_workgroup_size: 256
    .name:           _ZN7rocprim17ROCPRIM_400000_NS6detail17trampoline_kernelINS0_13select_configILj256ELj13ELNS0_17block_load_methodE3ELS4_3ELS4_3ELNS0_20block_scan_algorithmE0ELj4294967295EEENS1_25partition_config_selectorILNS1_17partition_subalgoE4EjNS0_10empty_typeEbEEZZNS1_14partition_implILS8_4ELb0ES6_15HIP_vector_typeIjLj2EENS0_17counting_iteratorIjlEEPS9_SG_NS0_5tupleIJPjSI_NS0_16reverse_iteratorISI_EEEEENSH_IJSG_SG_SG_EEES9_SI_JZNS1_25segmented_radix_sort_implINS0_14default_configELb0EPK12hip_bfloat16PSP_PKlPlN2at6native12_GLOBAL__N_18offset_tEEE10hipError_tPvRmT1_PNSt15iterator_traitsIS13_E10value_typeET2_T3_PNS14_IS19_E10value_typeET4_jRbjT5_S1F_jjP12ihipStream_tbEUljE_ZNSN_ISO_Lb0ESR_SS_SU_SV_SZ_EES10_S11_S12_S13_S17_S18_S19_S1C_S1D_jS1E_jS1F_S1F_jjS1H_bEUljE0_EEES10_S11_S12_S19_S1D_S1F_T6_T7_T9_mT8_S1H_bDpT10_ENKUlT_T0_E_clISt17integral_constantIbLb1EES1V_EEDaS1Q_S1R_EUlS1Q_E_NS1_11comp_targetILNS1_3genE0ELNS1_11target_archE4294967295ELNS1_3gpuE0ELNS1_3repE0EEENS1_30default_config_static_selectorELNS0_4arch9wavefront6targetE0EEEvS13_
    .private_segment_fixed_size: 0
    .sgpr_count:     0
    .sgpr_spill_count: 0
    .symbol:         _ZN7rocprim17ROCPRIM_400000_NS6detail17trampoline_kernelINS0_13select_configILj256ELj13ELNS0_17block_load_methodE3ELS4_3ELS4_3ELNS0_20block_scan_algorithmE0ELj4294967295EEENS1_25partition_config_selectorILNS1_17partition_subalgoE4EjNS0_10empty_typeEbEEZZNS1_14partition_implILS8_4ELb0ES6_15HIP_vector_typeIjLj2EENS0_17counting_iteratorIjlEEPS9_SG_NS0_5tupleIJPjSI_NS0_16reverse_iteratorISI_EEEEENSH_IJSG_SG_SG_EEES9_SI_JZNS1_25segmented_radix_sort_implINS0_14default_configELb0EPK12hip_bfloat16PSP_PKlPlN2at6native12_GLOBAL__N_18offset_tEEE10hipError_tPvRmT1_PNSt15iterator_traitsIS13_E10value_typeET2_T3_PNS14_IS19_E10value_typeET4_jRbjT5_S1F_jjP12ihipStream_tbEUljE_ZNSN_ISO_Lb0ESR_SS_SU_SV_SZ_EES10_S11_S12_S13_S17_S18_S19_S1C_S1D_jS1E_jS1F_S1F_jjS1H_bEUljE0_EEES10_S11_S12_S19_S1D_S1F_T6_T7_T9_mT8_S1H_bDpT10_ENKUlT_T0_E_clISt17integral_constantIbLb1EES1V_EEDaS1Q_S1R_EUlS1Q_E_NS1_11comp_targetILNS1_3genE0ELNS1_11target_archE4294967295ELNS1_3gpuE0ELNS1_3repE0EEENS1_30default_config_static_selectorELNS0_4arch9wavefront6targetE0EEEvS13_.kd
    .uniform_work_group_size: 1
    .uses_dynamic_stack: false
    .vgpr_count:     0
    .vgpr_spill_count: 0
    .wavefront_size: 32
    .workgroup_processor_mode: 1
  - .args:
      - .offset:         0
        .size:           184
        .value_kind:     by_value
    .group_segment_fixed_size: 0
    .kernarg_segment_align: 8
    .kernarg_segment_size: 184
    .language:       OpenCL C
    .language_version:
      - 2
      - 0
    .max_flat_workgroup_size: 256
    .name:           _ZN7rocprim17ROCPRIM_400000_NS6detail17trampoline_kernelINS0_13select_configILj256ELj13ELNS0_17block_load_methodE3ELS4_3ELS4_3ELNS0_20block_scan_algorithmE0ELj4294967295EEENS1_25partition_config_selectorILNS1_17partition_subalgoE4EjNS0_10empty_typeEbEEZZNS1_14partition_implILS8_4ELb0ES6_15HIP_vector_typeIjLj2EENS0_17counting_iteratorIjlEEPS9_SG_NS0_5tupleIJPjSI_NS0_16reverse_iteratorISI_EEEEENSH_IJSG_SG_SG_EEES9_SI_JZNS1_25segmented_radix_sort_implINS0_14default_configELb0EPK12hip_bfloat16PSP_PKlPlN2at6native12_GLOBAL__N_18offset_tEEE10hipError_tPvRmT1_PNSt15iterator_traitsIS13_E10value_typeET2_T3_PNS14_IS19_E10value_typeET4_jRbjT5_S1F_jjP12ihipStream_tbEUljE_ZNSN_ISO_Lb0ESR_SS_SU_SV_SZ_EES10_S11_S12_S13_S17_S18_S19_S1C_S1D_jS1E_jS1F_S1F_jjS1H_bEUljE0_EEES10_S11_S12_S19_S1D_S1F_T6_T7_T9_mT8_S1H_bDpT10_ENKUlT_T0_E_clISt17integral_constantIbLb1EES1V_EEDaS1Q_S1R_EUlS1Q_E_NS1_11comp_targetILNS1_3genE5ELNS1_11target_archE942ELNS1_3gpuE9ELNS1_3repE0EEENS1_30default_config_static_selectorELNS0_4arch9wavefront6targetE0EEEvS13_
    .private_segment_fixed_size: 0
    .sgpr_count:     0
    .sgpr_spill_count: 0
    .symbol:         _ZN7rocprim17ROCPRIM_400000_NS6detail17trampoline_kernelINS0_13select_configILj256ELj13ELNS0_17block_load_methodE3ELS4_3ELS4_3ELNS0_20block_scan_algorithmE0ELj4294967295EEENS1_25partition_config_selectorILNS1_17partition_subalgoE4EjNS0_10empty_typeEbEEZZNS1_14partition_implILS8_4ELb0ES6_15HIP_vector_typeIjLj2EENS0_17counting_iteratorIjlEEPS9_SG_NS0_5tupleIJPjSI_NS0_16reverse_iteratorISI_EEEEENSH_IJSG_SG_SG_EEES9_SI_JZNS1_25segmented_radix_sort_implINS0_14default_configELb0EPK12hip_bfloat16PSP_PKlPlN2at6native12_GLOBAL__N_18offset_tEEE10hipError_tPvRmT1_PNSt15iterator_traitsIS13_E10value_typeET2_T3_PNS14_IS19_E10value_typeET4_jRbjT5_S1F_jjP12ihipStream_tbEUljE_ZNSN_ISO_Lb0ESR_SS_SU_SV_SZ_EES10_S11_S12_S13_S17_S18_S19_S1C_S1D_jS1E_jS1F_S1F_jjS1H_bEUljE0_EEES10_S11_S12_S19_S1D_S1F_T6_T7_T9_mT8_S1H_bDpT10_ENKUlT_T0_E_clISt17integral_constantIbLb1EES1V_EEDaS1Q_S1R_EUlS1Q_E_NS1_11comp_targetILNS1_3genE5ELNS1_11target_archE942ELNS1_3gpuE9ELNS1_3repE0EEENS1_30default_config_static_selectorELNS0_4arch9wavefront6targetE0EEEvS13_.kd
    .uniform_work_group_size: 1
    .uses_dynamic_stack: false
    .vgpr_count:     0
    .vgpr_spill_count: 0
    .wavefront_size: 32
    .workgroup_processor_mode: 1
  - .args:
      - .offset:         0
        .size:           184
        .value_kind:     by_value
    .group_segment_fixed_size: 0
    .kernarg_segment_align: 8
    .kernarg_segment_size: 184
    .language:       OpenCL C
    .language_version:
      - 2
      - 0
    .max_flat_workgroup_size: 256
    .name:           _ZN7rocprim17ROCPRIM_400000_NS6detail17trampoline_kernelINS0_13select_configILj256ELj13ELNS0_17block_load_methodE3ELS4_3ELS4_3ELNS0_20block_scan_algorithmE0ELj4294967295EEENS1_25partition_config_selectorILNS1_17partition_subalgoE4EjNS0_10empty_typeEbEEZZNS1_14partition_implILS8_4ELb0ES6_15HIP_vector_typeIjLj2EENS0_17counting_iteratorIjlEEPS9_SG_NS0_5tupleIJPjSI_NS0_16reverse_iteratorISI_EEEEENSH_IJSG_SG_SG_EEES9_SI_JZNS1_25segmented_radix_sort_implINS0_14default_configELb0EPK12hip_bfloat16PSP_PKlPlN2at6native12_GLOBAL__N_18offset_tEEE10hipError_tPvRmT1_PNSt15iterator_traitsIS13_E10value_typeET2_T3_PNS14_IS19_E10value_typeET4_jRbjT5_S1F_jjP12ihipStream_tbEUljE_ZNSN_ISO_Lb0ESR_SS_SU_SV_SZ_EES10_S11_S12_S13_S17_S18_S19_S1C_S1D_jS1E_jS1F_S1F_jjS1H_bEUljE0_EEES10_S11_S12_S19_S1D_S1F_T6_T7_T9_mT8_S1H_bDpT10_ENKUlT_T0_E_clISt17integral_constantIbLb1EES1V_EEDaS1Q_S1R_EUlS1Q_E_NS1_11comp_targetILNS1_3genE4ELNS1_11target_archE910ELNS1_3gpuE8ELNS1_3repE0EEENS1_30default_config_static_selectorELNS0_4arch9wavefront6targetE0EEEvS13_
    .private_segment_fixed_size: 0
    .sgpr_count:     0
    .sgpr_spill_count: 0
    .symbol:         _ZN7rocprim17ROCPRIM_400000_NS6detail17trampoline_kernelINS0_13select_configILj256ELj13ELNS0_17block_load_methodE3ELS4_3ELS4_3ELNS0_20block_scan_algorithmE0ELj4294967295EEENS1_25partition_config_selectorILNS1_17partition_subalgoE4EjNS0_10empty_typeEbEEZZNS1_14partition_implILS8_4ELb0ES6_15HIP_vector_typeIjLj2EENS0_17counting_iteratorIjlEEPS9_SG_NS0_5tupleIJPjSI_NS0_16reverse_iteratorISI_EEEEENSH_IJSG_SG_SG_EEES9_SI_JZNS1_25segmented_radix_sort_implINS0_14default_configELb0EPK12hip_bfloat16PSP_PKlPlN2at6native12_GLOBAL__N_18offset_tEEE10hipError_tPvRmT1_PNSt15iterator_traitsIS13_E10value_typeET2_T3_PNS14_IS19_E10value_typeET4_jRbjT5_S1F_jjP12ihipStream_tbEUljE_ZNSN_ISO_Lb0ESR_SS_SU_SV_SZ_EES10_S11_S12_S13_S17_S18_S19_S1C_S1D_jS1E_jS1F_S1F_jjS1H_bEUljE0_EEES10_S11_S12_S19_S1D_S1F_T6_T7_T9_mT8_S1H_bDpT10_ENKUlT_T0_E_clISt17integral_constantIbLb1EES1V_EEDaS1Q_S1R_EUlS1Q_E_NS1_11comp_targetILNS1_3genE4ELNS1_11target_archE910ELNS1_3gpuE8ELNS1_3repE0EEENS1_30default_config_static_selectorELNS0_4arch9wavefront6targetE0EEEvS13_.kd
    .uniform_work_group_size: 1
    .uses_dynamic_stack: false
    .vgpr_count:     0
    .vgpr_spill_count: 0
    .wavefront_size: 32
    .workgroup_processor_mode: 1
  - .args:
      - .offset:         0
        .size:           184
        .value_kind:     by_value
    .group_segment_fixed_size: 0
    .kernarg_segment_align: 8
    .kernarg_segment_size: 184
    .language:       OpenCL C
    .language_version:
      - 2
      - 0
    .max_flat_workgroup_size: 256
    .name:           _ZN7rocprim17ROCPRIM_400000_NS6detail17trampoline_kernelINS0_13select_configILj256ELj13ELNS0_17block_load_methodE3ELS4_3ELS4_3ELNS0_20block_scan_algorithmE0ELj4294967295EEENS1_25partition_config_selectorILNS1_17partition_subalgoE4EjNS0_10empty_typeEbEEZZNS1_14partition_implILS8_4ELb0ES6_15HIP_vector_typeIjLj2EENS0_17counting_iteratorIjlEEPS9_SG_NS0_5tupleIJPjSI_NS0_16reverse_iteratorISI_EEEEENSH_IJSG_SG_SG_EEES9_SI_JZNS1_25segmented_radix_sort_implINS0_14default_configELb0EPK12hip_bfloat16PSP_PKlPlN2at6native12_GLOBAL__N_18offset_tEEE10hipError_tPvRmT1_PNSt15iterator_traitsIS13_E10value_typeET2_T3_PNS14_IS19_E10value_typeET4_jRbjT5_S1F_jjP12ihipStream_tbEUljE_ZNSN_ISO_Lb0ESR_SS_SU_SV_SZ_EES10_S11_S12_S13_S17_S18_S19_S1C_S1D_jS1E_jS1F_S1F_jjS1H_bEUljE0_EEES10_S11_S12_S19_S1D_S1F_T6_T7_T9_mT8_S1H_bDpT10_ENKUlT_T0_E_clISt17integral_constantIbLb1EES1V_EEDaS1Q_S1R_EUlS1Q_E_NS1_11comp_targetILNS1_3genE3ELNS1_11target_archE908ELNS1_3gpuE7ELNS1_3repE0EEENS1_30default_config_static_selectorELNS0_4arch9wavefront6targetE0EEEvS13_
    .private_segment_fixed_size: 0
    .sgpr_count:     0
    .sgpr_spill_count: 0
    .symbol:         _ZN7rocprim17ROCPRIM_400000_NS6detail17trampoline_kernelINS0_13select_configILj256ELj13ELNS0_17block_load_methodE3ELS4_3ELS4_3ELNS0_20block_scan_algorithmE0ELj4294967295EEENS1_25partition_config_selectorILNS1_17partition_subalgoE4EjNS0_10empty_typeEbEEZZNS1_14partition_implILS8_4ELb0ES6_15HIP_vector_typeIjLj2EENS0_17counting_iteratorIjlEEPS9_SG_NS0_5tupleIJPjSI_NS0_16reverse_iteratorISI_EEEEENSH_IJSG_SG_SG_EEES9_SI_JZNS1_25segmented_radix_sort_implINS0_14default_configELb0EPK12hip_bfloat16PSP_PKlPlN2at6native12_GLOBAL__N_18offset_tEEE10hipError_tPvRmT1_PNSt15iterator_traitsIS13_E10value_typeET2_T3_PNS14_IS19_E10value_typeET4_jRbjT5_S1F_jjP12ihipStream_tbEUljE_ZNSN_ISO_Lb0ESR_SS_SU_SV_SZ_EES10_S11_S12_S13_S17_S18_S19_S1C_S1D_jS1E_jS1F_S1F_jjS1H_bEUljE0_EEES10_S11_S12_S19_S1D_S1F_T6_T7_T9_mT8_S1H_bDpT10_ENKUlT_T0_E_clISt17integral_constantIbLb1EES1V_EEDaS1Q_S1R_EUlS1Q_E_NS1_11comp_targetILNS1_3genE3ELNS1_11target_archE908ELNS1_3gpuE7ELNS1_3repE0EEENS1_30default_config_static_selectorELNS0_4arch9wavefront6targetE0EEEvS13_.kd
    .uniform_work_group_size: 1
    .uses_dynamic_stack: false
    .vgpr_count:     0
    .vgpr_spill_count: 0
    .wavefront_size: 32
    .workgroup_processor_mode: 1
  - .args:
      - .offset:         0
        .size:           184
        .value_kind:     by_value
    .group_segment_fixed_size: 0
    .kernarg_segment_align: 8
    .kernarg_segment_size: 184
    .language:       OpenCL C
    .language_version:
      - 2
      - 0
    .max_flat_workgroup_size: 256
    .name:           _ZN7rocprim17ROCPRIM_400000_NS6detail17trampoline_kernelINS0_13select_configILj256ELj13ELNS0_17block_load_methodE3ELS4_3ELS4_3ELNS0_20block_scan_algorithmE0ELj4294967295EEENS1_25partition_config_selectorILNS1_17partition_subalgoE4EjNS0_10empty_typeEbEEZZNS1_14partition_implILS8_4ELb0ES6_15HIP_vector_typeIjLj2EENS0_17counting_iteratorIjlEEPS9_SG_NS0_5tupleIJPjSI_NS0_16reverse_iteratorISI_EEEEENSH_IJSG_SG_SG_EEES9_SI_JZNS1_25segmented_radix_sort_implINS0_14default_configELb0EPK12hip_bfloat16PSP_PKlPlN2at6native12_GLOBAL__N_18offset_tEEE10hipError_tPvRmT1_PNSt15iterator_traitsIS13_E10value_typeET2_T3_PNS14_IS19_E10value_typeET4_jRbjT5_S1F_jjP12ihipStream_tbEUljE_ZNSN_ISO_Lb0ESR_SS_SU_SV_SZ_EES10_S11_S12_S13_S17_S18_S19_S1C_S1D_jS1E_jS1F_S1F_jjS1H_bEUljE0_EEES10_S11_S12_S19_S1D_S1F_T6_T7_T9_mT8_S1H_bDpT10_ENKUlT_T0_E_clISt17integral_constantIbLb1EES1V_EEDaS1Q_S1R_EUlS1Q_E_NS1_11comp_targetILNS1_3genE2ELNS1_11target_archE906ELNS1_3gpuE6ELNS1_3repE0EEENS1_30default_config_static_selectorELNS0_4arch9wavefront6targetE0EEEvS13_
    .private_segment_fixed_size: 0
    .sgpr_count:     0
    .sgpr_spill_count: 0
    .symbol:         _ZN7rocprim17ROCPRIM_400000_NS6detail17trampoline_kernelINS0_13select_configILj256ELj13ELNS0_17block_load_methodE3ELS4_3ELS4_3ELNS0_20block_scan_algorithmE0ELj4294967295EEENS1_25partition_config_selectorILNS1_17partition_subalgoE4EjNS0_10empty_typeEbEEZZNS1_14partition_implILS8_4ELb0ES6_15HIP_vector_typeIjLj2EENS0_17counting_iteratorIjlEEPS9_SG_NS0_5tupleIJPjSI_NS0_16reverse_iteratorISI_EEEEENSH_IJSG_SG_SG_EEES9_SI_JZNS1_25segmented_radix_sort_implINS0_14default_configELb0EPK12hip_bfloat16PSP_PKlPlN2at6native12_GLOBAL__N_18offset_tEEE10hipError_tPvRmT1_PNSt15iterator_traitsIS13_E10value_typeET2_T3_PNS14_IS19_E10value_typeET4_jRbjT5_S1F_jjP12ihipStream_tbEUljE_ZNSN_ISO_Lb0ESR_SS_SU_SV_SZ_EES10_S11_S12_S13_S17_S18_S19_S1C_S1D_jS1E_jS1F_S1F_jjS1H_bEUljE0_EEES10_S11_S12_S19_S1D_S1F_T6_T7_T9_mT8_S1H_bDpT10_ENKUlT_T0_E_clISt17integral_constantIbLb1EES1V_EEDaS1Q_S1R_EUlS1Q_E_NS1_11comp_targetILNS1_3genE2ELNS1_11target_archE906ELNS1_3gpuE6ELNS1_3repE0EEENS1_30default_config_static_selectorELNS0_4arch9wavefront6targetE0EEEvS13_.kd
    .uniform_work_group_size: 1
    .uses_dynamic_stack: false
    .vgpr_count:     0
    .vgpr_spill_count: 0
    .wavefront_size: 32
    .workgroup_processor_mode: 1
  - .args:
      - .offset:         0
        .size:           184
        .value_kind:     by_value
    .group_segment_fixed_size: 0
    .kernarg_segment_align: 8
    .kernarg_segment_size: 184
    .language:       OpenCL C
    .language_version:
      - 2
      - 0
    .max_flat_workgroup_size: 256
    .name:           _ZN7rocprim17ROCPRIM_400000_NS6detail17trampoline_kernelINS0_13select_configILj256ELj13ELNS0_17block_load_methodE3ELS4_3ELS4_3ELNS0_20block_scan_algorithmE0ELj4294967295EEENS1_25partition_config_selectorILNS1_17partition_subalgoE4EjNS0_10empty_typeEbEEZZNS1_14partition_implILS8_4ELb0ES6_15HIP_vector_typeIjLj2EENS0_17counting_iteratorIjlEEPS9_SG_NS0_5tupleIJPjSI_NS0_16reverse_iteratorISI_EEEEENSH_IJSG_SG_SG_EEES9_SI_JZNS1_25segmented_radix_sort_implINS0_14default_configELb0EPK12hip_bfloat16PSP_PKlPlN2at6native12_GLOBAL__N_18offset_tEEE10hipError_tPvRmT1_PNSt15iterator_traitsIS13_E10value_typeET2_T3_PNS14_IS19_E10value_typeET4_jRbjT5_S1F_jjP12ihipStream_tbEUljE_ZNSN_ISO_Lb0ESR_SS_SU_SV_SZ_EES10_S11_S12_S13_S17_S18_S19_S1C_S1D_jS1E_jS1F_S1F_jjS1H_bEUljE0_EEES10_S11_S12_S19_S1D_S1F_T6_T7_T9_mT8_S1H_bDpT10_ENKUlT_T0_E_clISt17integral_constantIbLb1EES1V_EEDaS1Q_S1R_EUlS1Q_E_NS1_11comp_targetILNS1_3genE10ELNS1_11target_archE1200ELNS1_3gpuE4ELNS1_3repE0EEENS1_30default_config_static_selectorELNS0_4arch9wavefront6targetE0EEEvS13_
    .private_segment_fixed_size: 0
    .sgpr_count:     0
    .sgpr_spill_count: 0
    .symbol:         _ZN7rocprim17ROCPRIM_400000_NS6detail17trampoline_kernelINS0_13select_configILj256ELj13ELNS0_17block_load_methodE3ELS4_3ELS4_3ELNS0_20block_scan_algorithmE0ELj4294967295EEENS1_25partition_config_selectorILNS1_17partition_subalgoE4EjNS0_10empty_typeEbEEZZNS1_14partition_implILS8_4ELb0ES6_15HIP_vector_typeIjLj2EENS0_17counting_iteratorIjlEEPS9_SG_NS0_5tupleIJPjSI_NS0_16reverse_iteratorISI_EEEEENSH_IJSG_SG_SG_EEES9_SI_JZNS1_25segmented_radix_sort_implINS0_14default_configELb0EPK12hip_bfloat16PSP_PKlPlN2at6native12_GLOBAL__N_18offset_tEEE10hipError_tPvRmT1_PNSt15iterator_traitsIS13_E10value_typeET2_T3_PNS14_IS19_E10value_typeET4_jRbjT5_S1F_jjP12ihipStream_tbEUljE_ZNSN_ISO_Lb0ESR_SS_SU_SV_SZ_EES10_S11_S12_S13_S17_S18_S19_S1C_S1D_jS1E_jS1F_S1F_jjS1H_bEUljE0_EEES10_S11_S12_S19_S1D_S1F_T6_T7_T9_mT8_S1H_bDpT10_ENKUlT_T0_E_clISt17integral_constantIbLb1EES1V_EEDaS1Q_S1R_EUlS1Q_E_NS1_11comp_targetILNS1_3genE10ELNS1_11target_archE1200ELNS1_3gpuE4ELNS1_3repE0EEENS1_30default_config_static_selectorELNS0_4arch9wavefront6targetE0EEEvS13_.kd
    .uniform_work_group_size: 1
    .uses_dynamic_stack: false
    .vgpr_count:     0
    .vgpr_spill_count: 0
    .wavefront_size: 32
    .workgroup_processor_mode: 1
  - .args:
      - .offset:         0
        .size:           184
        .value_kind:     by_value
    .group_segment_fixed_size: 13340
    .kernarg_segment_align: 8
    .kernarg_segment_size: 184
    .language:       OpenCL C
    .language_version:
      - 2
      - 0
    .max_flat_workgroup_size: 256
    .name:           _ZN7rocprim17ROCPRIM_400000_NS6detail17trampoline_kernelINS0_13select_configILj256ELj13ELNS0_17block_load_methodE3ELS4_3ELS4_3ELNS0_20block_scan_algorithmE0ELj4294967295EEENS1_25partition_config_selectorILNS1_17partition_subalgoE4EjNS0_10empty_typeEbEEZZNS1_14partition_implILS8_4ELb0ES6_15HIP_vector_typeIjLj2EENS0_17counting_iteratorIjlEEPS9_SG_NS0_5tupleIJPjSI_NS0_16reverse_iteratorISI_EEEEENSH_IJSG_SG_SG_EEES9_SI_JZNS1_25segmented_radix_sort_implINS0_14default_configELb0EPK12hip_bfloat16PSP_PKlPlN2at6native12_GLOBAL__N_18offset_tEEE10hipError_tPvRmT1_PNSt15iterator_traitsIS13_E10value_typeET2_T3_PNS14_IS19_E10value_typeET4_jRbjT5_S1F_jjP12ihipStream_tbEUljE_ZNSN_ISO_Lb0ESR_SS_SU_SV_SZ_EES10_S11_S12_S13_S17_S18_S19_S1C_S1D_jS1E_jS1F_S1F_jjS1H_bEUljE0_EEES10_S11_S12_S19_S1D_S1F_T6_T7_T9_mT8_S1H_bDpT10_ENKUlT_T0_E_clISt17integral_constantIbLb1EES1V_EEDaS1Q_S1R_EUlS1Q_E_NS1_11comp_targetILNS1_3genE9ELNS1_11target_archE1100ELNS1_3gpuE3ELNS1_3repE0EEENS1_30default_config_static_selectorELNS0_4arch9wavefront6targetE0EEEvS13_
    .private_segment_fixed_size: 0
    .sgpr_count:     57
    .sgpr_spill_count: 0
    .symbol:         _ZN7rocprim17ROCPRIM_400000_NS6detail17trampoline_kernelINS0_13select_configILj256ELj13ELNS0_17block_load_methodE3ELS4_3ELS4_3ELNS0_20block_scan_algorithmE0ELj4294967295EEENS1_25partition_config_selectorILNS1_17partition_subalgoE4EjNS0_10empty_typeEbEEZZNS1_14partition_implILS8_4ELb0ES6_15HIP_vector_typeIjLj2EENS0_17counting_iteratorIjlEEPS9_SG_NS0_5tupleIJPjSI_NS0_16reverse_iteratorISI_EEEEENSH_IJSG_SG_SG_EEES9_SI_JZNS1_25segmented_radix_sort_implINS0_14default_configELb0EPK12hip_bfloat16PSP_PKlPlN2at6native12_GLOBAL__N_18offset_tEEE10hipError_tPvRmT1_PNSt15iterator_traitsIS13_E10value_typeET2_T3_PNS14_IS19_E10value_typeET4_jRbjT5_S1F_jjP12ihipStream_tbEUljE_ZNSN_ISO_Lb0ESR_SS_SU_SV_SZ_EES10_S11_S12_S13_S17_S18_S19_S1C_S1D_jS1E_jS1F_S1F_jjS1H_bEUljE0_EEES10_S11_S12_S19_S1D_S1F_T6_T7_T9_mT8_S1H_bDpT10_ENKUlT_T0_E_clISt17integral_constantIbLb1EES1V_EEDaS1Q_S1R_EUlS1Q_E_NS1_11comp_targetILNS1_3genE9ELNS1_11target_archE1100ELNS1_3gpuE3ELNS1_3repE0EEENS1_30default_config_static_selectorELNS0_4arch9wavefront6targetE0EEEvS13_.kd
    .uniform_work_group_size: 1
    .uses_dynamic_stack: false
    .vgpr_count:     103
    .vgpr_spill_count: 0
    .wavefront_size: 32
    .workgroup_processor_mode: 1
  - .args:
      - .offset:         0
        .size:           184
        .value_kind:     by_value
    .group_segment_fixed_size: 0
    .kernarg_segment_align: 8
    .kernarg_segment_size: 184
    .language:       OpenCL C
    .language_version:
      - 2
      - 0
    .max_flat_workgroup_size: 256
    .name:           _ZN7rocprim17ROCPRIM_400000_NS6detail17trampoline_kernelINS0_13select_configILj256ELj13ELNS0_17block_load_methodE3ELS4_3ELS4_3ELNS0_20block_scan_algorithmE0ELj4294967295EEENS1_25partition_config_selectorILNS1_17partition_subalgoE4EjNS0_10empty_typeEbEEZZNS1_14partition_implILS8_4ELb0ES6_15HIP_vector_typeIjLj2EENS0_17counting_iteratorIjlEEPS9_SG_NS0_5tupleIJPjSI_NS0_16reverse_iteratorISI_EEEEENSH_IJSG_SG_SG_EEES9_SI_JZNS1_25segmented_radix_sort_implINS0_14default_configELb0EPK12hip_bfloat16PSP_PKlPlN2at6native12_GLOBAL__N_18offset_tEEE10hipError_tPvRmT1_PNSt15iterator_traitsIS13_E10value_typeET2_T3_PNS14_IS19_E10value_typeET4_jRbjT5_S1F_jjP12ihipStream_tbEUljE_ZNSN_ISO_Lb0ESR_SS_SU_SV_SZ_EES10_S11_S12_S13_S17_S18_S19_S1C_S1D_jS1E_jS1F_S1F_jjS1H_bEUljE0_EEES10_S11_S12_S19_S1D_S1F_T6_T7_T9_mT8_S1H_bDpT10_ENKUlT_T0_E_clISt17integral_constantIbLb1EES1V_EEDaS1Q_S1R_EUlS1Q_E_NS1_11comp_targetILNS1_3genE8ELNS1_11target_archE1030ELNS1_3gpuE2ELNS1_3repE0EEENS1_30default_config_static_selectorELNS0_4arch9wavefront6targetE0EEEvS13_
    .private_segment_fixed_size: 0
    .sgpr_count:     0
    .sgpr_spill_count: 0
    .symbol:         _ZN7rocprim17ROCPRIM_400000_NS6detail17trampoline_kernelINS0_13select_configILj256ELj13ELNS0_17block_load_methodE3ELS4_3ELS4_3ELNS0_20block_scan_algorithmE0ELj4294967295EEENS1_25partition_config_selectorILNS1_17partition_subalgoE4EjNS0_10empty_typeEbEEZZNS1_14partition_implILS8_4ELb0ES6_15HIP_vector_typeIjLj2EENS0_17counting_iteratorIjlEEPS9_SG_NS0_5tupleIJPjSI_NS0_16reverse_iteratorISI_EEEEENSH_IJSG_SG_SG_EEES9_SI_JZNS1_25segmented_radix_sort_implINS0_14default_configELb0EPK12hip_bfloat16PSP_PKlPlN2at6native12_GLOBAL__N_18offset_tEEE10hipError_tPvRmT1_PNSt15iterator_traitsIS13_E10value_typeET2_T3_PNS14_IS19_E10value_typeET4_jRbjT5_S1F_jjP12ihipStream_tbEUljE_ZNSN_ISO_Lb0ESR_SS_SU_SV_SZ_EES10_S11_S12_S13_S17_S18_S19_S1C_S1D_jS1E_jS1F_S1F_jjS1H_bEUljE0_EEES10_S11_S12_S19_S1D_S1F_T6_T7_T9_mT8_S1H_bDpT10_ENKUlT_T0_E_clISt17integral_constantIbLb1EES1V_EEDaS1Q_S1R_EUlS1Q_E_NS1_11comp_targetILNS1_3genE8ELNS1_11target_archE1030ELNS1_3gpuE2ELNS1_3repE0EEENS1_30default_config_static_selectorELNS0_4arch9wavefront6targetE0EEEvS13_.kd
    .uniform_work_group_size: 1
    .uses_dynamic_stack: false
    .vgpr_count:     0
    .vgpr_spill_count: 0
    .wavefront_size: 32
    .workgroup_processor_mode: 1
  - .args:
      - .offset:         0
        .size:           176
        .value_kind:     by_value
    .group_segment_fixed_size: 0
    .kernarg_segment_align: 8
    .kernarg_segment_size: 176
    .language:       OpenCL C
    .language_version:
      - 2
      - 0
    .max_flat_workgroup_size: 256
    .name:           _ZN7rocprim17ROCPRIM_400000_NS6detail17trampoline_kernelINS0_13select_configILj256ELj13ELNS0_17block_load_methodE3ELS4_3ELS4_3ELNS0_20block_scan_algorithmE0ELj4294967295EEENS1_25partition_config_selectorILNS1_17partition_subalgoE4EjNS0_10empty_typeEbEEZZNS1_14partition_implILS8_4ELb0ES6_15HIP_vector_typeIjLj2EENS0_17counting_iteratorIjlEEPS9_SG_NS0_5tupleIJPjSI_NS0_16reverse_iteratorISI_EEEEENSH_IJSG_SG_SG_EEES9_SI_JZNS1_25segmented_radix_sort_implINS0_14default_configELb0EPK12hip_bfloat16PSP_PKlPlN2at6native12_GLOBAL__N_18offset_tEEE10hipError_tPvRmT1_PNSt15iterator_traitsIS13_E10value_typeET2_T3_PNS14_IS19_E10value_typeET4_jRbjT5_S1F_jjP12ihipStream_tbEUljE_ZNSN_ISO_Lb0ESR_SS_SU_SV_SZ_EES10_S11_S12_S13_S17_S18_S19_S1C_S1D_jS1E_jS1F_S1F_jjS1H_bEUljE0_EEES10_S11_S12_S19_S1D_S1F_T6_T7_T9_mT8_S1H_bDpT10_ENKUlT_T0_E_clISt17integral_constantIbLb1EES1U_IbLb0EEEEDaS1Q_S1R_EUlS1Q_E_NS1_11comp_targetILNS1_3genE0ELNS1_11target_archE4294967295ELNS1_3gpuE0ELNS1_3repE0EEENS1_30default_config_static_selectorELNS0_4arch9wavefront6targetE0EEEvS13_
    .private_segment_fixed_size: 0
    .sgpr_count:     0
    .sgpr_spill_count: 0
    .symbol:         _ZN7rocprim17ROCPRIM_400000_NS6detail17trampoline_kernelINS0_13select_configILj256ELj13ELNS0_17block_load_methodE3ELS4_3ELS4_3ELNS0_20block_scan_algorithmE0ELj4294967295EEENS1_25partition_config_selectorILNS1_17partition_subalgoE4EjNS0_10empty_typeEbEEZZNS1_14partition_implILS8_4ELb0ES6_15HIP_vector_typeIjLj2EENS0_17counting_iteratorIjlEEPS9_SG_NS0_5tupleIJPjSI_NS0_16reverse_iteratorISI_EEEEENSH_IJSG_SG_SG_EEES9_SI_JZNS1_25segmented_radix_sort_implINS0_14default_configELb0EPK12hip_bfloat16PSP_PKlPlN2at6native12_GLOBAL__N_18offset_tEEE10hipError_tPvRmT1_PNSt15iterator_traitsIS13_E10value_typeET2_T3_PNS14_IS19_E10value_typeET4_jRbjT5_S1F_jjP12ihipStream_tbEUljE_ZNSN_ISO_Lb0ESR_SS_SU_SV_SZ_EES10_S11_S12_S13_S17_S18_S19_S1C_S1D_jS1E_jS1F_S1F_jjS1H_bEUljE0_EEES10_S11_S12_S19_S1D_S1F_T6_T7_T9_mT8_S1H_bDpT10_ENKUlT_T0_E_clISt17integral_constantIbLb1EES1U_IbLb0EEEEDaS1Q_S1R_EUlS1Q_E_NS1_11comp_targetILNS1_3genE0ELNS1_11target_archE4294967295ELNS1_3gpuE0ELNS1_3repE0EEENS1_30default_config_static_selectorELNS0_4arch9wavefront6targetE0EEEvS13_.kd
    .uniform_work_group_size: 1
    .uses_dynamic_stack: false
    .vgpr_count:     0
    .vgpr_spill_count: 0
    .wavefront_size: 32
    .workgroup_processor_mode: 1
  - .args:
      - .offset:         0
        .size:           176
        .value_kind:     by_value
    .group_segment_fixed_size: 0
    .kernarg_segment_align: 8
    .kernarg_segment_size: 176
    .language:       OpenCL C
    .language_version:
      - 2
      - 0
    .max_flat_workgroup_size: 256
    .name:           _ZN7rocprim17ROCPRIM_400000_NS6detail17trampoline_kernelINS0_13select_configILj256ELj13ELNS0_17block_load_methodE3ELS4_3ELS4_3ELNS0_20block_scan_algorithmE0ELj4294967295EEENS1_25partition_config_selectorILNS1_17partition_subalgoE4EjNS0_10empty_typeEbEEZZNS1_14partition_implILS8_4ELb0ES6_15HIP_vector_typeIjLj2EENS0_17counting_iteratorIjlEEPS9_SG_NS0_5tupleIJPjSI_NS0_16reverse_iteratorISI_EEEEENSH_IJSG_SG_SG_EEES9_SI_JZNS1_25segmented_radix_sort_implINS0_14default_configELb0EPK12hip_bfloat16PSP_PKlPlN2at6native12_GLOBAL__N_18offset_tEEE10hipError_tPvRmT1_PNSt15iterator_traitsIS13_E10value_typeET2_T3_PNS14_IS19_E10value_typeET4_jRbjT5_S1F_jjP12ihipStream_tbEUljE_ZNSN_ISO_Lb0ESR_SS_SU_SV_SZ_EES10_S11_S12_S13_S17_S18_S19_S1C_S1D_jS1E_jS1F_S1F_jjS1H_bEUljE0_EEES10_S11_S12_S19_S1D_S1F_T6_T7_T9_mT8_S1H_bDpT10_ENKUlT_T0_E_clISt17integral_constantIbLb1EES1U_IbLb0EEEEDaS1Q_S1R_EUlS1Q_E_NS1_11comp_targetILNS1_3genE5ELNS1_11target_archE942ELNS1_3gpuE9ELNS1_3repE0EEENS1_30default_config_static_selectorELNS0_4arch9wavefront6targetE0EEEvS13_
    .private_segment_fixed_size: 0
    .sgpr_count:     0
    .sgpr_spill_count: 0
    .symbol:         _ZN7rocprim17ROCPRIM_400000_NS6detail17trampoline_kernelINS0_13select_configILj256ELj13ELNS0_17block_load_methodE3ELS4_3ELS4_3ELNS0_20block_scan_algorithmE0ELj4294967295EEENS1_25partition_config_selectorILNS1_17partition_subalgoE4EjNS0_10empty_typeEbEEZZNS1_14partition_implILS8_4ELb0ES6_15HIP_vector_typeIjLj2EENS0_17counting_iteratorIjlEEPS9_SG_NS0_5tupleIJPjSI_NS0_16reverse_iteratorISI_EEEEENSH_IJSG_SG_SG_EEES9_SI_JZNS1_25segmented_radix_sort_implINS0_14default_configELb0EPK12hip_bfloat16PSP_PKlPlN2at6native12_GLOBAL__N_18offset_tEEE10hipError_tPvRmT1_PNSt15iterator_traitsIS13_E10value_typeET2_T3_PNS14_IS19_E10value_typeET4_jRbjT5_S1F_jjP12ihipStream_tbEUljE_ZNSN_ISO_Lb0ESR_SS_SU_SV_SZ_EES10_S11_S12_S13_S17_S18_S19_S1C_S1D_jS1E_jS1F_S1F_jjS1H_bEUljE0_EEES10_S11_S12_S19_S1D_S1F_T6_T7_T9_mT8_S1H_bDpT10_ENKUlT_T0_E_clISt17integral_constantIbLb1EES1U_IbLb0EEEEDaS1Q_S1R_EUlS1Q_E_NS1_11comp_targetILNS1_3genE5ELNS1_11target_archE942ELNS1_3gpuE9ELNS1_3repE0EEENS1_30default_config_static_selectorELNS0_4arch9wavefront6targetE0EEEvS13_.kd
    .uniform_work_group_size: 1
    .uses_dynamic_stack: false
    .vgpr_count:     0
    .vgpr_spill_count: 0
    .wavefront_size: 32
    .workgroup_processor_mode: 1
  - .args:
      - .offset:         0
        .size:           176
        .value_kind:     by_value
    .group_segment_fixed_size: 0
    .kernarg_segment_align: 8
    .kernarg_segment_size: 176
    .language:       OpenCL C
    .language_version:
      - 2
      - 0
    .max_flat_workgroup_size: 256
    .name:           _ZN7rocprim17ROCPRIM_400000_NS6detail17trampoline_kernelINS0_13select_configILj256ELj13ELNS0_17block_load_methodE3ELS4_3ELS4_3ELNS0_20block_scan_algorithmE0ELj4294967295EEENS1_25partition_config_selectorILNS1_17partition_subalgoE4EjNS0_10empty_typeEbEEZZNS1_14partition_implILS8_4ELb0ES6_15HIP_vector_typeIjLj2EENS0_17counting_iteratorIjlEEPS9_SG_NS0_5tupleIJPjSI_NS0_16reverse_iteratorISI_EEEEENSH_IJSG_SG_SG_EEES9_SI_JZNS1_25segmented_radix_sort_implINS0_14default_configELb0EPK12hip_bfloat16PSP_PKlPlN2at6native12_GLOBAL__N_18offset_tEEE10hipError_tPvRmT1_PNSt15iterator_traitsIS13_E10value_typeET2_T3_PNS14_IS19_E10value_typeET4_jRbjT5_S1F_jjP12ihipStream_tbEUljE_ZNSN_ISO_Lb0ESR_SS_SU_SV_SZ_EES10_S11_S12_S13_S17_S18_S19_S1C_S1D_jS1E_jS1F_S1F_jjS1H_bEUljE0_EEES10_S11_S12_S19_S1D_S1F_T6_T7_T9_mT8_S1H_bDpT10_ENKUlT_T0_E_clISt17integral_constantIbLb1EES1U_IbLb0EEEEDaS1Q_S1R_EUlS1Q_E_NS1_11comp_targetILNS1_3genE4ELNS1_11target_archE910ELNS1_3gpuE8ELNS1_3repE0EEENS1_30default_config_static_selectorELNS0_4arch9wavefront6targetE0EEEvS13_
    .private_segment_fixed_size: 0
    .sgpr_count:     0
    .sgpr_spill_count: 0
    .symbol:         _ZN7rocprim17ROCPRIM_400000_NS6detail17trampoline_kernelINS0_13select_configILj256ELj13ELNS0_17block_load_methodE3ELS4_3ELS4_3ELNS0_20block_scan_algorithmE0ELj4294967295EEENS1_25partition_config_selectorILNS1_17partition_subalgoE4EjNS0_10empty_typeEbEEZZNS1_14partition_implILS8_4ELb0ES6_15HIP_vector_typeIjLj2EENS0_17counting_iteratorIjlEEPS9_SG_NS0_5tupleIJPjSI_NS0_16reverse_iteratorISI_EEEEENSH_IJSG_SG_SG_EEES9_SI_JZNS1_25segmented_radix_sort_implINS0_14default_configELb0EPK12hip_bfloat16PSP_PKlPlN2at6native12_GLOBAL__N_18offset_tEEE10hipError_tPvRmT1_PNSt15iterator_traitsIS13_E10value_typeET2_T3_PNS14_IS19_E10value_typeET4_jRbjT5_S1F_jjP12ihipStream_tbEUljE_ZNSN_ISO_Lb0ESR_SS_SU_SV_SZ_EES10_S11_S12_S13_S17_S18_S19_S1C_S1D_jS1E_jS1F_S1F_jjS1H_bEUljE0_EEES10_S11_S12_S19_S1D_S1F_T6_T7_T9_mT8_S1H_bDpT10_ENKUlT_T0_E_clISt17integral_constantIbLb1EES1U_IbLb0EEEEDaS1Q_S1R_EUlS1Q_E_NS1_11comp_targetILNS1_3genE4ELNS1_11target_archE910ELNS1_3gpuE8ELNS1_3repE0EEENS1_30default_config_static_selectorELNS0_4arch9wavefront6targetE0EEEvS13_.kd
    .uniform_work_group_size: 1
    .uses_dynamic_stack: false
    .vgpr_count:     0
    .vgpr_spill_count: 0
    .wavefront_size: 32
    .workgroup_processor_mode: 1
  - .args:
      - .offset:         0
        .size:           176
        .value_kind:     by_value
    .group_segment_fixed_size: 0
    .kernarg_segment_align: 8
    .kernarg_segment_size: 176
    .language:       OpenCL C
    .language_version:
      - 2
      - 0
    .max_flat_workgroup_size: 256
    .name:           _ZN7rocprim17ROCPRIM_400000_NS6detail17trampoline_kernelINS0_13select_configILj256ELj13ELNS0_17block_load_methodE3ELS4_3ELS4_3ELNS0_20block_scan_algorithmE0ELj4294967295EEENS1_25partition_config_selectorILNS1_17partition_subalgoE4EjNS0_10empty_typeEbEEZZNS1_14partition_implILS8_4ELb0ES6_15HIP_vector_typeIjLj2EENS0_17counting_iteratorIjlEEPS9_SG_NS0_5tupleIJPjSI_NS0_16reverse_iteratorISI_EEEEENSH_IJSG_SG_SG_EEES9_SI_JZNS1_25segmented_radix_sort_implINS0_14default_configELb0EPK12hip_bfloat16PSP_PKlPlN2at6native12_GLOBAL__N_18offset_tEEE10hipError_tPvRmT1_PNSt15iterator_traitsIS13_E10value_typeET2_T3_PNS14_IS19_E10value_typeET4_jRbjT5_S1F_jjP12ihipStream_tbEUljE_ZNSN_ISO_Lb0ESR_SS_SU_SV_SZ_EES10_S11_S12_S13_S17_S18_S19_S1C_S1D_jS1E_jS1F_S1F_jjS1H_bEUljE0_EEES10_S11_S12_S19_S1D_S1F_T6_T7_T9_mT8_S1H_bDpT10_ENKUlT_T0_E_clISt17integral_constantIbLb1EES1U_IbLb0EEEEDaS1Q_S1R_EUlS1Q_E_NS1_11comp_targetILNS1_3genE3ELNS1_11target_archE908ELNS1_3gpuE7ELNS1_3repE0EEENS1_30default_config_static_selectorELNS0_4arch9wavefront6targetE0EEEvS13_
    .private_segment_fixed_size: 0
    .sgpr_count:     0
    .sgpr_spill_count: 0
    .symbol:         _ZN7rocprim17ROCPRIM_400000_NS6detail17trampoline_kernelINS0_13select_configILj256ELj13ELNS0_17block_load_methodE3ELS4_3ELS4_3ELNS0_20block_scan_algorithmE0ELj4294967295EEENS1_25partition_config_selectorILNS1_17partition_subalgoE4EjNS0_10empty_typeEbEEZZNS1_14partition_implILS8_4ELb0ES6_15HIP_vector_typeIjLj2EENS0_17counting_iteratorIjlEEPS9_SG_NS0_5tupleIJPjSI_NS0_16reverse_iteratorISI_EEEEENSH_IJSG_SG_SG_EEES9_SI_JZNS1_25segmented_radix_sort_implINS0_14default_configELb0EPK12hip_bfloat16PSP_PKlPlN2at6native12_GLOBAL__N_18offset_tEEE10hipError_tPvRmT1_PNSt15iterator_traitsIS13_E10value_typeET2_T3_PNS14_IS19_E10value_typeET4_jRbjT5_S1F_jjP12ihipStream_tbEUljE_ZNSN_ISO_Lb0ESR_SS_SU_SV_SZ_EES10_S11_S12_S13_S17_S18_S19_S1C_S1D_jS1E_jS1F_S1F_jjS1H_bEUljE0_EEES10_S11_S12_S19_S1D_S1F_T6_T7_T9_mT8_S1H_bDpT10_ENKUlT_T0_E_clISt17integral_constantIbLb1EES1U_IbLb0EEEEDaS1Q_S1R_EUlS1Q_E_NS1_11comp_targetILNS1_3genE3ELNS1_11target_archE908ELNS1_3gpuE7ELNS1_3repE0EEENS1_30default_config_static_selectorELNS0_4arch9wavefront6targetE0EEEvS13_.kd
    .uniform_work_group_size: 1
    .uses_dynamic_stack: false
    .vgpr_count:     0
    .vgpr_spill_count: 0
    .wavefront_size: 32
    .workgroup_processor_mode: 1
  - .args:
      - .offset:         0
        .size:           176
        .value_kind:     by_value
    .group_segment_fixed_size: 0
    .kernarg_segment_align: 8
    .kernarg_segment_size: 176
    .language:       OpenCL C
    .language_version:
      - 2
      - 0
    .max_flat_workgroup_size: 256
    .name:           _ZN7rocprim17ROCPRIM_400000_NS6detail17trampoline_kernelINS0_13select_configILj256ELj13ELNS0_17block_load_methodE3ELS4_3ELS4_3ELNS0_20block_scan_algorithmE0ELj4294967295EEENS1_25partition_config_selectorILNS1_17partition_subalgoE4EjNS0_10empty_typeEbEEZZNS1_14partition_implILS8_4ELb0ES6_15HIP_vector_typeIjLj2EENS0_17counting_iteratorIjlEEPS9_SG_NS0_5tupleIJPjSI_NS0_16reverse_iteratorISI_EEEEENSH_IJSG_SG_SG_EEES9_SI_JZNS1_25segmented_radix_sort_implINS0_14default_configELb0EPK12hip_bfloat16PSP_PKlPlN2at6native12_GLOBAL__N_18offset_tEEE10hipError_tPvRmT1_PNSt15iterator_traitsIS13_E10value_typeET2_T3_PNS14_IS19_E10value_typeET4_jRbjT5_S1F_jjP12ihipStream_tbEUljE_ZNSN_ISO_Lb0ESR_SS_SU_SV_SZ_EES10_S11_S12_S13_S17_S18_S19_S1C_S1D_jS1E_jS1F_S1F_jjS1H_bEUljE0_EEES10_S11_S12_S19_S1D_S1F_T6_T7_T9_mT8_S1H_bDpT10_ENKUlT_T0_E_clISt17integral_constantIbLb1EES1U_IbLb0EEEEDaS1Q_S1R_EUlS1Q_E_NS1_11comp_targetILNS1_3genE2ELNS1_11target_archE906ELNS1_3gpuE6ELNS1_3repE0EEENS1_30default_config_static_selectorELNS0_4arch9wavefront6targetE0EEEvS13_
    .private_segment_fixed_size: 0
    .sgpr_count:     0
    .sgpr_spill_count: 0
    .symbol:         _ZN7rocprim17ROCPRIM_400000_NS6detail17trampoline_kernelINS0_13select_configILj256ELj13ELNS0_17block_load_methodE3ELS4_3ELS4_3ELNS0_20block_scan_algorithmE0ELj4294967295EEENS1_25partition_config_selectorILNS1_17partition_subalgoE4EjNS0_10empty_typeEbEEZZNS1_14partition_implILS8_4ELb0ES6_15HIP_vector_typeIjLj2EENS0_17counting_iteratorIjlEEPS9_SG_NS0_5tupleIJPjSI_NS0_16reverse_iteratorISI_EEEEENSH_IJSG_SG_SG_EEES9_SI_JZNS1_25segmented_radix_sort_implINS0_14default_configELb0EPK12hip_bfloat16PSP_PKlPlN2at6native12_GLOBAL__N_18offset_tEEE10hipError_tPvRmT1_PNSt15iterator_traitsIS13_E10value_typeET2_T3_PNS14_IS19_E10value_typeET4_jRbjT5_S1F_jjP12ihipStream_tbEUljE_ZNSN_ISO_Lb0ESR_SS_SU_SV_SZ_EES10_S11_S12_S13_S17_S18_S19_S1C_S1D_jS1E_jS1F_S1F_jjS1H_bEUljE0_EEES10_S11_S12_S19_S1D_S1F_T6_T7_T9_mT8_S1H_bDpT10_ENKUlT_T0_E_clISt17integral_constantIbLb1EES1U_IbLb0EEEEDaS1Q_S1R_EUlS1Q_E_NS1_11comp_targetILNS1_3genE2ELNS1_11target_archE906ELNS1_3gpuE6ELNS1_3repE0EEENS1_30default_config_static_selectorELNS0_4arch9wavefront6targetE0EEEvS13_.kd
    .uniform_work_group_size: 1
    .uses_dynamic_stack: false
    .vgpr_count:     0
    .vgpr_spill_count: 0
    .wavefront_size: 32
    .workgroup_processor_mode: 1
  - .args:
      - .offset:         0
        .size:           176
        .value_kind:     by_value
    .group_segment_fixed_size: 0
    .kernarg_segment_align: 8
    .kernarg_segment_size: 176
    .language:       OpenCL C
    .language_version:
      - 2
      - 0
    .max_flat_workgroup_size: 256
    .name:           _ZN7rocprim17ROCPRIM_400000_NS6detail17trampoline_kernelINS0_13select_configILj256ELj13ELNS0_17block_load_methodE3ELS4_3ELS4_3ELNS0_20block_scan_algorithmE0ELj4294967295EEENS1_25partition_config_selectorILNS1_17partition_subalgoE4EjNS0_10empty_typeEbEEZZNS1_14partition_implILS8_4ELb0ES6_15HIP_vector_typeIjLj2EENS0_17counting_iteratorIjlEEPS9_SG_NS0_5tupleIJPjSI_NS0_16reverse_iteratorISI_EEEEENSH_IJSG_SG_SG_EEES9_SI_JZNS1_25segmented_radix_sort_implINS0_14default_configELb0EPK12hip_bfloat16PSP_PKlPlN2at6native12_GLOBAL__N_18offset_tEEE10hipError_tPvRmT1_PNSt15iterator_traitsIS13_E10value_typeET2_T3_PNS14_IS19_E10value_typeET4_jRbjT5_S1F_jjP12ihipStream_tbEUljE_ZNSN_ISO_Lb0ESR_SS_SU_SV_SZ_EES10_S11_S12_S13_S17_S18_S19_S1C_S1D_jS1E_jS1F_S1F_jjS1H_bEUljE0_EEES10_S11_S12_S19_S1D_S1F_T6_T7_T9_mT8_S1H_bDpT10_ENKUlT_T0_E_clISt17integral_constantIbLb1EES1U_IbLb0EEEEDaS1Q_S1R_EUlS1Q_E_NS1_11comp_targetILNS1_3genE10ELNS1_11target_archE1200ELNS1_3gpuE4ELNS1_3repE0EEENS1_30default_config_static_selectorELNS0_4arch9wavefront6targetE0EEEvS13_
    .private_segment_fixed_size: 0
    .sgpr_count:     0
    .sgpr_spill_count: 0
    .symbol:         _ZN7rocprim17ROCPRIM_400000_NS6detail17trampoline_kernelINS0_13select_configILj256ELj13ELNS0_17block_load_methodE3ELS4_3ELS4_3ELNS0_20block_scan_algorithmE0ELj4294967295EEENS1_25partition_config_selectorILNS1_17partition_subalgoE4EjNS0_10empty_typeEbEEZZNS1_14partition_implILS8_4ELb0ES6_15HIP_vector_typeIjLj2EENS0_17counting_iteratorIjlEEPS9_SG_NS0_5tupleIJPjSI_NS0_16reverse_iteratorISI_EEEEENSH_IJSG_SG_SG_EEES9_SI_JZNS1_25segmented_radix_sort_implINS0_14default_configELb0EPK12hip_bfloat16PSP_PKlPlN2at6native12_GLOBAL__N_18offset_tEEE10hipError_tPvRmT1_PNSt15iterator_traitsIS13_E10value_typeET2_T3_PNS14_IS19_E10value_typeET4_jRbjT5_S1F_jjP12ihipStream_tbEUljE_ZNSN_ISO_Lb0ESR_SS_SU_SV_SZ_EES10_S11_S12_S13_S17_S18_S19_S1C_S1D_jS1E_jS1F_S1F_jjS1H_bEUljE0_EEES10_S11_S12_S19_S1D_S1F_T6_T7_T9_mT8_S1H_bDpT10_ENKUlT_T0_E_clISt17integral_constantIbLb1EES1U_IbLb0EEEEDaS1Q_S1R_EUlS1Q_E_NS1_11comp_targetILNS1_3genE10ELNS1_11target_archE1200ELNS1_3gpuE4ELNS1_3repE0EEENS1_30default_config_static_selectorELNS0_4arch9wavefront6targetE0EEEvS13_.kd
    .uniform_work_group_size: 1
    .uses_dynamic_stack: false
    .vgpr_count:     0
    .vgpr_spill_count: 0
    .wavefront_size: 32
    .workgroup_processor_mode: 1
  - .args:
      - .offset:         0
        .size:           176
        .value_kind:     by_value
    .group_segment_fixed_size: 13340
    .kernarg_segment_align: 8
    .kernarg_segment_size: 176
    .language:       OpenCL C
    .language_version:
      - 2
      - 0
    .max_flat_workgroup_size: 256
    .name:           _ZN7rocprim17ROCPRIM_400000_NS6detail17trampoline_kernelINS0_13select_configILj256ELj13ELNS0_17block_load_methodE3ELS4_3ELS4_3ELNS0_20block_scan_algorithmE0ELj4294967295EEENS1_25partition_config_selectorILNS1_17partition_subalgoE4EjNS0_10empty_typeEbEEZZNS1_14partition_implILS8_4ELb0ES6_15HIP_vector_typeIjLj2EENS0_17counting_iteratorIjlEEPS9_SG_NS0_5tupleIJPjSI_NS0_16reverse_iteratorISI_EEEEENSH_IJSG_SG_SG_EEES9_SI_JZNS1_25segmented_radix_sort_implINS0_14default_configELb0EPK12hip_bfloat16PSP_PKlPlN2at6native12_GLOBAL__N_18offset_tEEE10hipError_tPvRmT1_PNSt15iterator_traitsIS13_E10value_typeET2_T3_PNS14_IS19_E10value_typeET4_jRbjT5_S1F_jjP12ihipStream_tbEUljE_ZNSN_ISO_Lb0ESR_SS_SU_SV_SZ_EES10_S11_S12_S13_S17_S18_S19_S1C_S1D_jS1E_jS1F_S1F_jjS1H_bEUljE0_EEES10_S11_S12_S19_S1D_S1F_T6_T7_T9_mT8_S1H_bDpT10_ENKUlT_T0_E_clISt17integral_constantIbLb1EES1U_IbLb0EEEEDaS1Q_S1R_EUlS1Q_E_NS1_11comp_targetILNS1_3genE9ELNS1_11target_archE1100ELNS1_3gpuE3ELNS1_3repE0EEENS1_30default_config_static_selectorELNS0_4arch9wavefront6targetE0EEEvS13_
    .private_segment_fixed_size: 0
    .sgpr_count:     61
    .sgpr_spill_count: 0
    .symbol:         _ZN7rocprim17ROCPRIM_400000_NS6detail17trampoline_kernelINS0_13select_configILj256ELj13ELNS0_17block_load_methodE3ELS4_3ELS4_3ELNS0_20block_scan_algorithmE0ELj4294967295EEENS1_25partition_config_selectorILNS1_17partition_subalgoE4EjNS0_10empty_typeEbEEZZNS1_14partition_implILS8_4ELb0ES6_15HIP_vector_typeIjLj2EENS0_17counting_iteratorIjlEEPS9_SG_NS0_5tupleIJPjSI_NS0_16reverse_iteratorISI_EEEEENSH_IJSG_SG_SG_EEES9_SI_JZNS1_25segmented_radix_sort_implINS0_14default_configELb0EPK12hip_bfloat16PSP_PKlPlN2at6native12_GLOBAL__N_18offset_tEEE10hipError_tPvRmT1_PNSt15iterator_traitsIS13_E10value_typeET2_T3_PNS14_IS19_E10value_typeET4_jRbjT5_S1F_jjP12ihipStream_tbEUljE_ZNSN_ISO_Lb0ESR_SS_SU_SV_SZ_EES10_S11_S12_S13_S17_S18_S19_S1C_S1D_jS1E_jS1F_S1F_jjS1H_bEUljE0_EEES10_S11_S12_S19_S1D_S1F_T6_T7_T9_mT8_S1H_bDpT10_ENKUlT_T0_E_clISt17integral_constantIbLb1EES1U_IbLb0EEEEDaS1Q_S1R_EUlS1Q_E_NS1_11comp_targetILNS1_3genE9ELNS1_11target_archE1100ELNS1_3gpuE3ELNS1_3repE0EEENS1_30default_config_static_selectorELNS0_4arch9wavefront6targetE0EEEvS13_.kd
    .uniform_work_group_size: 1
    .uses_dynamic_stack: false
    .vgpr_count:     98
    .vgpr_spill_count: 0
    .wavefront_size: 32
    .workgroup_processor_mode: 1
  - .args:
      - .offset:         0
        .size:           176
        .value_kind:     by_value
    .group_segment_fixed_size: 0
    .kernarg_segment_align: 8
    .kernarg_segment_size: 176
    .language:       OpenCL C
    .language_version:
      - 2
      - 0
    .max_flat_workgroup_size: 256
    .name:           _ZN7rocprim17ROCPRIM_400000_NS6detail17trampoline_kernelINS0_13select_configILj256ELj13ELNS0_17block_load_methodE3ELS4_3ELS4_3ELNS0_20block_scan_algorithmE0ELj4294967295EEENS1_25partition_config_selectorILNS1_17partition_subalgoE4EjNS0_10empty_typeEbEEZZNS1_14partition_implILS8_4ELb0ES6_15HIP_vector_typeIjLj2EENS0_17counting_iteratorIjlEEPS9_SG_NS0_5tupleIJPjSI_NS0_16reverse_iteratorISI_EEEEENSH_IJSG_SG_SG_EEES9_SI_JZNS1_25segmented_radix_sort_implINS0_14default_configELb0EPK12hip_bfloat16PSP_PKlPlN2at6native12_GLOBAL__N_18offset_tEEE10hipError_tPvRmT1_PNSt15iterator_traitsIS13_E10value_typeET2_T3_PNS14_IS19_E10value_typeET4_jRbjT5_S1F_jjP12ihipStream_tbEUljE_ZNSN_ISO_Lb0ESR_SS_SU_SV_SZ_EES10_S11_S12_S13_S17_S18_S19_S1C_S1D_jS1E_jS1F_S1F_jjS1H_bEUljE0_EEES10_S11_S12_S19_S1D_S1F_T6_T7_T9_mT8_S1H_bDpT10_ENKUlT_T0_E_clISt17integral_constantIbLb1EES1U_IbLb0EEEEDaS1Q_S1R_EUlS1Q_E_NS1_11comp_targetILNS1_3genE8ELNS1_11target_archE1030ELNS1_3gpuE2ELNS1_3repE0EEENS1_30default_config_static_selectorELNS0_4arch9wavefront6targetE0EEEvS13_
    .private_segment_fixed_size: 0
    .sgpr_count:     0
    .sgpr_spill_count: 0
    .symbol:         _ZN7rocprim17ROCPRIM_400000_NS6detail17trampoline_kernelINS0_13select_configILj256ELj13ELNS0_17block_load_methodE3ELS4_3ELS4_3ELNS0_20block_scan_algorithmE0ELj4294967295EEENS1_25partition_config_selectorILNS1_17partition_subalgoE4EjNS0_10empty_typeEbEEZZNS1_14partition_implILS8_4ELb0ES6_15HIP_vector_typeIjLj2EENS0_17counting_iteratorIjlEEPS9_SG_NS0_5tupleIJPjSI_NS0_16reverse_iteratorISI_EEEEENSH_IJSG_SG_SG_EEES9_SI_JZNS1_25segmented_radix_sort_implINS0_14default_configELb0EPK12hip_bfloat16PSP_PKlPlN2at6native12_GLOBAL__N_18offset_tEEE10hipError_tPvRmT1_PNSt15iterator_traitsIS13_E10value_typeET2_T3_PNS14_IS19_E10value_typeET4_jRbjT5_S1F_jjP12ihipStream_tbEUljE_ZNSN_ISO_Lb0ESR_SS_SU_SV_SZ_EES10_S11_S12_S13_S17_S18_S19_S1C_S1D_jS1E_jS1F_S1F_jjS1H_bEUljE0_EEES10_S11_S12_S19_S1D_S1F_T6_T7_T9_mT8_S1H_bDpT10_ENKUlT_T0_E_clISt17integral_constantIbLb1EES1U_IbLb0EEEEDaS1Q_S1R_EUlS1Q_E_NS1_11comp_targetILNS1_3genE8ELNS1_11target_archE1030ELNS1_3gpuE2ELNS1_3repE0EEENS1_30default_config_static_selectorELNS0_4arch9wavefront6targetE0EEEvS13_.kd
    .uniform_work_group_size: 1
    .uses_dynamic_stack: false
    .vgpr_count:     0
    .vgpr_spill_count: 0
    .wavefront_size: 32
    .workgroup_processor_mode: 1
  - .args:
      - .offset:         0
        .size:           184
        .value_kind:     by_value
    .group_segment_fixed_size: 0
    .kernarg_segment_align: 8
    .kernarg_segment_size: 184
    .language:       OpenCL C
    .language_version:
      - 2
      - 0
    .max_flat_workgroup_size: 256
    .name:           _ZN7rocprim17ROCPRIM_400000_NS6detail17trampoline_kernelINS0_13select_configILj256ELj13ELNS0_17block_load_methodE3ELS4_3ELS4_3ELNS0_20block_scan_algorithmE0ELj4294967295EEENS1_25partition_config_selectorILNS1_17partition_subalgoE4EjNS0_10empty_typeEbEEZZNS1_14partition_implILS8_4ELb0ES6_15HIP_vector_typeIjLj2EENS0_17counting_iteratorIjlEEPS9_SG_NS0_5tupleIJPjSI_NS0_16reverse_iteratorISI_EEEEENSH_IJSG_SG_SG_EEES9_SI_JZNS1_25segmented_radix_sort_implINS0_14default_configELb0EPK12hip_bfloat16PSP_PKlPlN2at6native12_GLOBAL__N_18offset_tEEE10hipError_tPvRmT1_PNSt15iterator_traitsIS13_E10value_typeET2_T3_PNS14_IS19_E10value_typeET4_jRbjT5_S1F_jjP12ihipStream_tbEUljE_ZNSN_ISO_Lb0ESR_SS_SU_SV_SZ_EES10_S11_S12_S13_S17_S18_S19_S1C_S1D_jS1E_jS1F_S1F_jjS1H_bEUljE0_EEES10_S11_S12_S19_S1D_S1F_T6_T7_T9_mT8_S1H_bDpT10_ENKUlT_T0_E_clISt17integral_constantIbLb0EES1U_IbLb1EEEEDaS1Q_S1R_EUlS1Q_E_NS1_11comp_targetILNS1_3genE0ELNS1_11target_archE4294967295ELNS1_3gpuE0ELNS1_3repE0EEENS1_30default_config_static_selectorELNS0_4arch9wavefront6targetE0EEEvS13_
    .private_segment_fixed_size: 0
    .sgpr_count:     0
    .sgpr_spill_count: 0
    .symbol:         _ZN7rocprim17ROCPRIM_400000_NS6detail17trampoline_kernelINS0_13select_configILj256ELj13ELNS0_17block_load_methodE3ELS4_3ELS4_3ELNS0_20block_scan_algorithmE0ELj4294967295EEENS1_25partition_config_selectorILNS1_17partition_subalgoE4EjNS0_10empty_typeEbEEZZNS1_14partition_implILS8_4ELb0ES6_15HIP_vector_typeIjLj2EENS0_17counting_iteratorIjlEEPS9_SG_NS0_5tupleIJPjSI_NS0_16reverse_iteratorISI_EEEEENSH_IJSG_SG_SG_EEES9_SI_JZNS1_25segmented_radix_sort_implINS0_14default_configELb0EPK12hip_bfloat16PSP_PKlPlN2at6native12_GLOBAL__N_18offset_tEEE10hipError_tPvRmT1_PNSt15iterator_traitsIS13_E10value_typeET2_T3_PNS14_IS19_E10value_typeET4_jRbjT5_S1F_jjP12ihipStream_tbEUljE_ZNSN_ISO_Lb0ESR_SS_SU_SV_SZ_EES10_S11_S12_S13_S17_S18_S19_S1C_S1D_jS1E_jS1F_S1F_jjS1H_bEUljE0_EEES10_S11_S12_S19_S1D_S1F_T6_T7_T9_mT8_S1H_bDpT10_ENKUlT_T0_E_clISt17integral_constantIbLb0EES1U_IbLb1EEEEDaS1Q_S1R_EUlS1Q_E_NS1_11comp_targetILNS1_3genE0ELNS1_11target_archE4294967295ELNS1_3gpuE0ELNS1_3repE0EEENS1_30default_config_static_selectorELNS0_4arch9wavefront6targetE0EEEvS13_.kd
    .uniform_work_group_size: 1
    .uses_dynamic_stack: false
    .vgpr_count:     0
    .vgpr_spill_count: 0
    .wavefront_size: 32
    .workgroup_processor_mode: 1
  - .args:
      - .offset:         0
        .size:           184
        .value_kind:     by_value
    .group_segment_fixed_size: 0
    .kernarg_segment_align: 8
    .kernarg_segment_size: 184
    .language:       OpenCL C
    .language_version:
      - 2
      - 0
    .max_flat_workgroup_size: 256
    .name:           _ZN7rocprim17ROCPRIM_400000_NS6detail17trampoline_kernelINS0_13select_configILj256ELj13ELNS0_17block_load_methodE3ELS4_3ELS4_3ELNS0_20block_scan_algorithmE0ELj4294967295EEENS1_25partition_config_selectorILNS1_17partition_subalgoE4EjNS0_10empty_typeEbEEZZNS1_14partition_implILS8_4ELb0ES6_15HIP_vector_typeIjLj2EENS0_17counting_iteratorIjlEEPS9_SG_NS0_5tupleIJPjSI_NS0_16reverse_iteratorISI_EEEEENSH_IJSG_SG_SG_EEES9_SI_JZNS1_25segmented_radix_sort_implINS0_14default_configELb0EPK12hip_bfloat16PSP_PKlPlN2at6native12_GLOBAL__N_18offset_tEEE10hipError_tPvRmT1_PNSt15iterator_traitsIS13_E10value_typeET2_T3_PNS14_IS19_E10value_typeET4_jRbjT5_S1F_jjP12ihipStream_tbEUljE_ZNSN_ISO_Lb0ESR_SS_SU_SV_SZ_EES10_S11_S12_S13_S17_S18_S19_S1C_S1D_jS1E_jS1F_S1F_jjS1H_bEUljE0_EEES10_S11_S12_S19_S1D_S1F_T6_T7_T9_mT8_S1H_bDpT10_ENKUlT_T0_E_clISt17integral_constantIbLb0EES1U_IbLb1EEEEDaS1Q_S1R_EUlS1Q_E_NS1_11comp_targetILNS1_3genE5ELNS1_11target_archE942ELNS1_3gpuE9ELNS1_3repE0EEENS1_30default_config_static_selectorELNS0_4arch9wavefront6targetE0EEEvS13_
    .private_segment_fixed_size: 0
    .sgpr_count:     0
    .sgpr_spill_count: 0
    .symbol:         _ZN7rocprim17ROCPRIM_400000_NS6detail17trampoline_kernelINS0_13select_configILj256ELj13ELNS0_17block_load_methodE3ELS4_3ELS4_3ELNS0_20block_scan_algorithmE0ELj4294967295EEENS1_25partition_config_selectorILNS1_17partition_subalgoE4EjNS0_10empty_typeEbEEZZNS1_14partition_implILS8_4ELb0ES6_15HIP_vector_typeIjLj2EENS0_17counting_iteratorIjlEEPS9_SG_NS0_5tupleIJPjSI_NS0_16reverse_iteratorISI_EEEEENSH_IJSG_SG_SG_EEES9_SI_JZNS1_25segmented_radix_sort_implINS0_14default_configELb0EPK12hip_bfloat16PSP_PKlPlN2at6native12_GLOBAL__N_18offset_tEEE10hipError_tPvRmT1_PNSt15iterator_traitsIS13_E10value_typeET2_T3_PNS14_IS19_E10value_typeET4_jRbjT5_S1F_jjP12ihipStream_tbEUljE_ZNSN_ISO_Lb0ESR_SS_SU_SV_SZ_EES10_S11_S12_S13_S17_S18_S19_S1C_S1D_jS1E_jS1F_S1F_jjS1H_bEUljE0_EEES10_S11_S12_S19_S1D_S1F_T6_T7_T9_mT8_S1H_bDpT10_ENKUlT_T0_E_clISt17integral_constantIbLb0EES1U_IbLb1EEEEDaS1Q_S1R_EUlS1Q_E_NS1_11comp_targetILNS1_3genE5ELNS1_11target_archE942ELNS1_3gpuE9ELNS1_3repE0EEENS1_30default_config_static_selectorELNS0_4arch9wavefront6targetE0EEEvS13_.kd
    .uniform_work_group_size: 1
    .uses_dynamic_stack: false
    .vgpr_count:     0
    .vgpr_spill_count: 0
    .wavefront_size: 32
    .workgroup_processor_mode: 1
  - .args:
      - .offset:         0
        .size:           184
        .value_kind:     by_value
    .group_segment_fixed_size: 0
    .kernarg_segment_align: 8
    .kernarg_segment_size: 184
    .language:       OpenCL C
    .language_version:
      - 2
      - 0
    .max_flat_workgroup_size: 256
    .name:           _ZN7rocprim17ROCPRIM_400000_NS6detail17trampoline_kernelINS0_13select_configILj256ELj13ELNS0_17block_load_methodE3ELS4_3ELS4_3ELNS0_20block_scan_algorithmE0ELj4294967295EEENS1_25partition_config_selectorILNS1_17partition_subalgoE4EjNS0_10empty_typeEbEEZZNS1_14partition_implILS8_4ELb0ES6_15HIP_vector_typeIjLj2EENS0_17counting_iteratorIjlEEPS9_SG_NS0_5tupleIJPjSI_NS0_16reverse_iteratorISI_EEEEENSH_IJSG_SG_SG_EEES9_SI_JZNS1_25segmented_radix_sort_implINS0_14default_configELb0EPK12hip_bfloat16PSP_PKlPlN2at6native12_GLOBAL__N_18offset_tEEE10hipError_tPvRmT1_PNSt15iterator_traitsIS13_E10value_typeET2_T3_PNS14_IS19_E10value_typeET4_jRbjT5_S1F_jjP12ihipStream_tbEUljE_ZNSN_ISO_Lb0ESR_SS_SU_SV_SZ_EES10_S11_S12_S13_S17_S18_S19_S1C_S1D_jS1E_jS1F_S1F_jjS1H_bEUljE0_EEES10_S11_S12_S19_S1D_S1F_T6_T7_T9_mT8_S1H_bDpT10_ENKUlT_T0_E_clISt17integral_constantIbLb0EES1U_IbLb1EEEEDaS1Q_S1R_EUlS1Q_E_NS1_11comp_targetILNS1_3genE4ELNS1_11target_archE910ELNS1_3gpuE8ELNS1_3repE0EEENS1_30default_config_static_selectorELNS0_4arch9wavefront6targetE0EEEvS13_
    .private_segment_fixed_size: 0
    .sgpr_count:     0
    .sgpr_spill_count: 0
    .symbol:         _ZN7rocprim17ROCPRIM_400000_NS6detail17trampoline_kernelINS0_13select_configILj256ELj13ELNS0_17block_load_methodE3ELS4_3ELS4_3ELNS0_20block_scan_algorithmE0ELj4294967295EEENS1_25partition_config_selectorILNS1_17partition_subalgoE4EjNS0_10empty_typeEbEEZZNS1_14partition_implILS8_4ELb0ES6_15HIP_vector_typeIjLj2EENS0_17counting_iteratorIjlEEPS9_SG_NS0_5tupleIJPjSI_NS0_16reverse_iteratorISI_EEEEENSH_IJSG_SG_SG_EEES9_SI_JZNS1_25segmented_radix_sort_implINS0_14default_configELb0EPK12hip_bfloat16PSP_PKlPlN2at6native12_GLOBAL__N_18offset_tEEE10hipError_tPvRmT1_PNSt15iterator_traitsIS13_E10value_typeET2_T3_PNS14_IS19_E10value_typeET4_jRbjT5_S1F_jjP12ihipStream_tbEUljE_ZNSN_ISO_Lb0ESR_SS_SU_SV_SZ_EES10_S11_S12_S13_S17_S18_S19_S1C_S1D_jS1E_jS1F_S1F_jjS1H_bEUljE0_EEES10_S11_S12_S19_S1D_S1F_T6_T7_T9_mT8_S1H_bDpT10_ENKUlT_T0_E_clISt17integral_constantIbLb0EES1U_IbLb1EEEEDaS1Q_S1R_EUlS1Q_E_NS1_11comp_targetILNS1_3genE4ELNS1_11target_archE910ELNS1_3gpuE8ELNS1_3repE0EEENS1_30default_config_static_selectorELNS0_4arch9wavefront6targetE0EEEvS13_.kd
    .uniform_work_group_size: 1
    .uses_dynamic_stack: false
    .vgpr_count:     0
    .vgpr_spill_count: 0
    .wavefront_size: 32
    .workgroup_processor_mode: 1
  - .args:
      - .offset:         0
        .size:           184
        .value_kind:     by_value
    .group_segment_fixed_size: 0
    .kernarg_segment_align: 8
    .kernarg_segment_size: 184
    .language:       OpenCL C
    .language_version:
      - 2
      - 0
    .max_flat_workgroup_size: 256
    .name:           _ZN7rocprim17ROCPRIM_400000_NS6detail17trampoline_kernelINS0_13select_configILj256ELj13ELNS0_17block_load_methodE3ELS4_3ELS4_3ELNS0_20block_scan_algorithmE0ELj4294967295EEENS1_25partition_config_selectorILNS1_17partition_subalgoE4EjNS0_10empty_typeEbEEZZNS1_14partition_implILS8_4ELb0ES6_15HIP_vector_typeIjLj2EENS0_17counting_iteratorIjlEEPS9_SG_NS0_5tupleIJPjSI_NS0_16reverse_iteratorISI_EEEEENSH_IJSG_SG_SG_EEES9_SI_JZNS1_25segmented_radix_sort_implINS0_14default_configELb0EPK12hip_bfloat16PSP_PKlPlN2at6native12_GLOBAL__N_18offset_tEEE10hipError_tPvRmT1_PNSt15iterator_traitsIS13_E10value_typeET2_T3_PNS14_IS19_E10value_typeET4_jRbjT5_S1F_jjP12ihipStream_tbEUljE_ZNSN_ISO_Lb0ESR_SS_SU_SV_SZ_EES10_S11_S12_S13_S17_S18_S19_S1C_S1D_jS1E_jS1F_S1F_jjS1H_bEUljE0_EEES10_S11_S12_S19_S1D_S1F_T6_T7_T9_mT8_S1H_bDpT10_ENKUlT_T0_E_clISt17integral_constantIbLb0EES1U_IbLb1EEEEDaS1Q_S1R_EUlS1Q_E_NS1_11comp_targetILNS1_3genE3ELNS1_11target_archE908ELNS1_3gpuE7ELNS1_3repE0EEENS1_30default_config_static_selectorELNS0_4arch9wavefront6targetE0EEEvS13_
    .private_segment_fixed_size: 0
    .sgpr_count:     0
    .sgpr_spill_count: 0
    .symbol:         _ZN7rocprim17ROCPRIM_400000_NS6detail17trampoline_kernelINS0_13select_configILj256ELj13ELNS0_17block_load_methodE3ELS4_3ELS4_3ELNS0_20block_scan_algorithmE0ELj4294967295EEENS1_25partition_config_selectorILNS1_17partition_subalgoE4EjNS0_10empty_typeEbEEZZNS1_14partition_implILS8_4ELb0ES6_15HIP_vector_typeIjLj2EENS0_17counting_iteratorIjlEEPS9_SG_NS0_5tupleIJPjSI_NS0_16reverse_iteratorISI_EEEEENSH_IJSG_SG_SG_EEES9_SI_JZNS1_25segmented_radix_sort_implINS0_14default_configELb0EPK12hip_bfloat16PSP_PKlPlN2at6native12_GLOBAL__N_18offset_tEEE10hipError_tPvRmT1_PNSt15iterator_traitsIS13_E10value_typeET2_T3_PNS14_IS19_E10value_typeET4_jRbjT5_S1F_jjP12ihipStream_tbEUljE_ZNSN_ISO_Lb0ESR_SS_SU_SV_SZ_EES10_S11_S12_S13_S17_S18_S19_S1C_S1D_jS1E_jS1F_S1F_jjS1H_bEUljE0_EEES10_S11_S12_S19_S1D_S1F_T6_T7_T9_mT8_S1H_bDpT10_ENKUlT_T0_E_clISt17integral_constantIbLb0EES1U_IbLb1EEEEDaS1Q_S1R_EUlS1Q_E_NS1_11comp_targetILNS1_3genE3ELNS1_11target_archE908ELNS1_3gpuE7ELNS1_3repE0EEENS1_30default_config_static_selectorELNS0_4arch9wavefront6targetE0EEEvS13_.kd
    .uniform_work_group_size: 1
    .uses_dynamic_stack: false
    .vgpr_count:     0
    .vgpr_spill_count: 0
    .wavefront_size: 32
    .workgroup_processor_mode: 1
  - .args:
      - .offset:         0
        .size:           184
        .value_kind:     by_value
    .group_segment_fixed_size: 0
    .kernarg_segment_align: 8
    .kernarg_segment_size: 184
    .language:       OpenCL C
    .language_version:
      - 2
      - 0
    .max_flat_workgroup_size: 256
    .name:           _ZN7rocprim17ROCPRIM_400000_NS6detail17trampoline_kernelINS0_13select_configILj256ELj13ELNS0_17block_load_methodE3ELS4_3ELS4_3ELNS0_20block_scan_algorithmE0ELj4294967295EEENS1_25partition_config_selectorILNS1_17partition_subalgoE4EjNS0_10empty_typeEbEEZZNS1_14partition_implILS8_4ELb0ES6_15HIP_vector_typeIjLj2EENS0_17counting_iteratorIjlEEPS9_SG_NS0_5tupleIJPjSI_NS0_16reverse_iteratorISI_EEEEENSH_IJSG_SG_SG_EEES9_SI_JZNS1_25segmented_radix_sort_implINS0_14default_configELb0EPK12hip_bfloat16PSP_PKlPlN2at6native12_GLOBAL__N_18offset_tEEE10hipError_tPvRmT1_PNSt15iterator_traitsIS13_E10value_typeET2_T3_PNS14_IS19_E10value_typeET4_jRbjT5_S1F_jjP12ihipStream_tbEUljE_ZNSN_ISO_Lb0ESR_SS_SU_SV_SZ_EES10_S11_S12_S13_S17_S18_S19_S1C_S1D_jS1E_jS1F_S1F_jjS1H_bEUljE0_EEES10_S11_S12_S19_S1D_S1F_T6_T7_T9_mT8_S1H_bDpT10_ENKUlT_T0_E_clISt17integral_constantIbLb0EES1U_IbLb1EEEEDaS1Q_S1R_EUlS1Q_E_NS1_11comp_targetILNS1_3genE2ELNS1_11target_archE906ELNS1_3gpuE6ELNS1_3repE0EEENS1_30default_config_static_selectorELNS0_4arch9wavefront6targetE0EEEvS13_
    .private_segment_fixed_size: 0
    .sgpr_count:     0
    .sgpr_spill_count: 0
    .symbol:         _ZN7rocprim17ROCPRIM_400000_NS6detail17trampoline_kernelINS0_13select_configILj256ELj13ELNS0_17block_load_methodE3ELS4_3ELS4_3ELNS0_20block_scan_algorithmE0ELj4294967295EEENS1_25partition_config_selectorILNS1_17partition_subalgoE4EjNS0_10empty_typeEbEEZZNS1_14partition_implILS8_4ELb0ES6_15HIP_vector_typeIjLj2EENS0_17counting_iteratorIjlEEPS9_SG_NS0_5tupleIJPjSI_NS0_16reverse_iteratorISI_EEEEENSH_IJSG_SG_SG_EEES9_SI_JZNS1_25segmented_radix_sort_implINS0_14default_configELb0EPK12hip_bfloat16PSP_PKlPlN2at6native12_GLOBAL__N_18offset_tEEE10hipError_tPvRmT1_PNSt15iterator_traitsIS13_E10value_typeET2_T3_PNS14_IS19_E10value_typeET4_jRbjT5_S1F_jjP12ihipStream_tbEUljE_ZNSN_ISO_Lb0ESR_SS_SU_SV_SZ_EES10_S11_S12_S13_S17_S18_S19_S1C_S1D_jS1E_jS1F_S1F_jjS1H_bEUljE0_EEES10_S11_S12_S19_S1D_S1F_T6_T7_T9_mT8_S1H_bDpT10_ENKUlT_T0_E_clISt17integral_constantIbLb0EES1U_IbLb1EEEEDaS1Q_S1R_EUlS1Q_E_NS1_11comp_targetILNS1_3genE2ELNS1_11target_archE906ELNS1_3gpuE6ELNS1_3repE0EEENS1_30default_config_static_selectorELNS0_4arch9wavefront6targetE0EEEvS13_.kd
    .uniform_work_group_size: 1
    .uses_dynamic_stack: false
    .vgpr_count:     0
    .vgpr_spill_count: 0
    .wavefront_size: 32
    .workgroup_processor_mode: 1
  - .args:
      - .offset:         0
        .size:           184
        .value_kind:     by_value
    .group_segment_fixed_size: 0
    .kernarg_segment_align: 8
    .kernarg_segment_size: 184
    .language:       OpenCL C
    .language_version:
      - 2
      - 0
    .max_flat_workgroup_size: 256
    .name:           _ZN7rocprim17ROCPRIM_400000_NS6detail17trampoline_kernelINS0_13select_configILj256ELj13ELNS0_17block_load_methodE3ELS4_3ELS4_3ELNS0_20block_scan_algorithmE0ELj4294967295EEENS1_25partition_config_selectorILNS1_17partition_subalgoE4EjNS0_10empty_typeEbEEZZNS1_14partition_implILS8_4ELb0ES6_15HIP_vector_typeIjLj2EENS0_17counting_iteratorIjlEEPS9_SG_NS0_5tupleIJPjSI_NS0_16reverse_iteratorISI_EEEEENSH_IJSG_SG_SG_EEES9_SI_JZNS1_25segmented_radix_sort_implINS0_14default_configELb0EPK12hip_bfloat16PSP_PKlPlN2at6native12_GLOBAL__N_18offset_tEEE10hipError_tPvRmT1_PNSt15iterator_traitsIS13_E10value_typeET2_T3_PNS14_IS19_E10value_typeET4_jRbjT5_S1F_jjP12ihipStream_tbEUljE_ZNSN_ISO_Lb0ESR_SS_SU_SV_SZ_EES10_S11_S12_S13_S17_S18_S19_S1C_S1D_jS1E_jS1F_S1F_jjS1H_bEUljE0_EEES10_S11_S12_S19_S1D_S1F_T6_T7_T9_mT8_S1H_bDpT10_ENKUlT_T0_E_clISt17integral_constantIbLb0EES1U_IbLb1EEEEDaS1Q_S1R_EUlS1Q_E_NS1_11comp_targetILNS1_3genE10ELNS1_11target_archE1200ELNS1_3gpuE4ELNS1_3repE0EEENS1_30default_config_static_selectorELNS0_4arch9wavefront6targetE0EEEvS13_
    .private_segment_fixed_size: 0
    .sgpr_count:     0
    .sgpr_spill_count: 0
    .symbol:         _ZN7rocprim17ROCPRIM_400000_NS6detail17trampoline_kernelINS0_13select_configILj256ELj13ELNS0_17block_load_methodE3ELS4_3ELS4_3ELNS0_20block_scan_algorithmE0ELj4294967295EEENS1_25partition_config_selectorILNS1_17partition_subalgoE4EjNS0_10empty_typeEbEEZZNS1_14partition_implILS8_4ELb0ES6_15HIP_vector_typeIjLj2EENS0_17counting_iteratorIjlEEPS9_SG_NS0_5tupleIJPjSI_NS0_16reverse_iteratorISI_EEEEENSH_IJSG_SG_SG_EEES9_SI_JZNS1_25segmented_radix_sort_implINS0_14default_configELb0EPK12hip_bfloat16PSP_PKlPlN2at6native12_GLOBAL__N_18offset_tEEE10hipError_tPvRmT1_PNSt15iterator_traitsIS13_E10value_typeET2_T3_PNS14_IS19_E10value_typeET4_jRbjT5_S1F_jjP12ihipStream_tbEUljE_ZNSN_ISO_Lb0ESR_SS_SU_SV_SZ_EES10_S11_S12_S13_S17_S18_S19_S1C_S1D_jS1E_jS1F_S1F_jjS1H_bEUljE0_EEES10_S11_S12_S19_S1D_S1F_T6_T7_T9_mT8_S1H_bDpT10_ENKUlT_T0_E_clISt17integral_constantIbLb0EES1U_IbLb1EEEEDaS1Q_S1R_EUlS1Q_E_NS1_11comp_targetILNS1_3genE10ELNS1_11target_archE1200ELNS1_3gpuE4ELNS1_3repE0EEENS1_30default_config_static_selectorELNS0_4arch9wavefront6targetE0EEEvS13_.kd
    .uniform_work_group_size: 1
    .uses_dynamic_stack: false
    .vgpr_count:     0
    .vgpr_spill_count: 0
    .wavefront_size: 32
    .workgroup_processor_mode: 1
  - .args:
      - .offset:         0
        .size:           184
        .value_kind:     by_value
    .group_segment_fixed_size: 13340
    .kernarg_segment_align: 8
    .kernarg_segment_size: 184
    .language:       OpenCL C
    .language_version:
      - 2
      - 0
    .max_flat_workgroup_size: 256
    .name:           _ZN7rocprim17ROCPRIM_400000_NS6detail17trampoline_kernelINS0_13select_configILj256ELj13ELNS0_17block_load_methodE3ELS4_3ELS4_3ELNS0_20block_scan_algorithmE0ELj4294967295EEENS1_25partition_config_selectorILNS1_17partition_subalgoE4EjNS0_10empty_typeEbEEZZNS1_14partition_implILS8_4ELb0ES6_15HIP_vector_typeIjLj2EENS0_17counting_iteratorIjlEEPS9_SG_NS0_5tupleIJPjSI_NS0_16reverse_iteratorISI_EEEEENSH_IJSG_SG_SG_EEES9_SI_JZNS1_25segmented_radix_sort_implINS0_14default_configELb0EPK12hip_bfloat16PSP_PKlPlN2at6native12_GLOBAL__N_18offset_tEEE10hipError_tPvRmT1_PNSt15iterator_traitsIS13_E10value_typeET2_T3_PNS14_IS19_E10value_typeET4_jRbjT5_S1F_jjP12ihipStream_tbEUljE_ZNSN_ISO_Lb0ESR_SS_SU_SV_SZ_EES10_S11_S12_S13_S17_S18_S19_S1C_S1D_jS1E_jS1F_S1F_jjS1H_bEUljE0_EEES10_S11_S12_S19_S1D_S1F_T6_T7_T9_mT8_S1H_bDpT10_ENKUlT_T0_E_clISt17integral_constantIbLb0EES1U_IbLb1EEEEDaS1Q_S1R_EUlS1Q_E_NS1_11comp_targetILNS1_3genE9ELNS1_11target_archE1100ELNS1_3gpuE3ELNS1_3repE0EEENS1_30default_config_static_selectorELNS0_4arch9wavefront6targetE0EEEvS13_
    .private_segment_fixed_size: 0
    .sgpr_count:     57
    .sgpr_spill_count: 0
    .symbol:         _ZN7rocprim17ROCPRIM_400000_NS6detail17trampoline_kernelINS0_13select_configILj256ELj13ELNS0_17block_load_methodE3ELS4_3ELS4_3ELNS0_20block_scan_algorithmE0ELj4294967295EEENS1_25partition_config_selectorILNS1_17partition_subalgoE4EjNS0_10empty_typeEbEEZZNS1_14partition_implILS8_4ELb0ES6_15HIP_vector_typeIjLj2EENS0_17counting_iteratorIjlEEPS9_SG_NS0_5tupleIJPjSI_NS0_16reverse_iteratorISI_EEEEENSH_IJSG_SG_SG_EEES9_SI_JZNS1_25segmented_radix_sort_implINS0_14default_configELb0EPK12hip_bfloat16PSP_PKlPlN2at6native12_GLOBAL__N_18offset_tEEE10hipError_tPvRmT1_PNSt15iterator_traitsIS13_E10value_typeET2_T3_PNS14_IS19_E10value_typeET4_jRbjT5_S1F_jjP12ihipStream_tbEUljE_ZNSN_ISO_Lb0ESR_SS_SU_SV_SZ_EES10_S11_S12_S13_S17_S18_S19_S1C_S1D_jS1E_jS1F_S1F_jjS1H_bEUljE0_EEES10_S11_S12_S19_S1D_S1F_T6_T7_T9_mT8_S1H_bDpT10_ENKUlT_T0_E_clISt17integral_constantIbLb0EES1U_IbLb1EEEEDaS1Q_S1R_EUlS1Q_E_NS1_11comp_targetILNS1_3genE9ELNS1_11target_archE1100ELNS1_3gpuE3ELNS1_3repE0EEENS1_30default_config_static_selectorELNS0_4arch9wavefront6targetE0EEEvS13_.kd
    .uniform_work_group_size: 1
    .uses_dynamic_stack: false
    .vgpr_count:     103
    .vgpr_spill_count: 0
    .wavefront_size: 32
    .workgroup_processor_mode: 1
  - .args:
      - .offset:         0
        .size:           184
        .value_kind:     by_value
    .group_segment_fixed_size: 0
    .kernarg_segment_align: 8
    .kernarg_segment_size: 184
    .language:       OpenCL C
    .language_version:
      - 2
      - 0
    .max_flat_workgroup_size: 256
    .name:           _ZN7rocprim17ROCPRIM_400000_NS6detail17trampoline_kernelINS0_13select_configILj256ELj13ELNS0_17block_load_methodE3ELS4_3ELS4_3ELNS0_20block_scan_algorithmE0ELj4294967295EEENS1_25partition_config_selectorILNS1_17partition_subalgoE4EjNS0_10empty_typeEbEEZZNS1_14partition_implILS8_4ELb0ES6_15HIP_vector_typeIjLj2EENS0_17counting_iteratorIjlEEPS9_SG_NS0_5tupleIJPjSI_NS0_16reverse_iteratorISI_EEEEENSH_IJSG_SG_SG_EEES9_SI_JZNS1_25segmented_radix_sort_implINS0_14default_configELb0EPK12hip_bfloat16PSP_PKlPlN2at6native12_GLOBAL__N_18offset_tEEE10hipError_tPvRmT1_PNSt15iterator_traitsIS13_E10value_typeET2_T3_PNS14_IS19_E10value_typeET4_jRbjT5_S1F_jjP12ihipStream_tbEUljE_ZNSN_ISO_Lb0ESR_SS_SU_SV_SZ_EES10_S11_S12_S13_S17_S18_S19_S1C_S1D_jS1E_jS1F_S1F_jjS1H_bEUljE0_EEES10_S11_S12_S19_S1D_S1F_T6_T7_T9_mT8_S1H_bDpT10_ENKUlT_T0_E_clISt17integral_constantIbLb0EES1U_IbLb1EEEEDaS1Q_S1R_EUlS1Q_E_NS1_11comp_targetILNS1_3genE8ELNS1_11target_archE1030ELNS1_3gpuE2ELNS1_3repE0EEENS1_30default_config_static_selectorELNS0_4arch9wavefront6targetE0EEEvS13_
    .private_segment_fixed_size: 0
    .sgpr_count:     0
    .sgpr_spill_count: 0
    .symbol:         _ZN7rocprim17ROCPRIM_400000_NS6detail17trampoline_kernelINS0_13select_configILj256ELj13ELNS0_17block_load_methodE3ELS4_3ELS4_3ELNS0_20block_scan_algorithmE0ELj4294967295EEENS1_25partition_config_selectorILNS1_17partition_subalgoE4EjNS0_10empty_typeEbEEZZNS1_14partition_implILS8_4ELb0ES6_15HIP_vector_typeIjLj2EENS0_17counting_iteratorIjlEEPS9_SG_NS0_5tupleIJPjSI_NS0_16reverse_iteratorISI_EEEEENSH_IJSG_SG_SG_EEES9_SI_JZNS1_25segmented_radix_sort_implINS0_14default_configELb0EPK12hip_bfloat16PSP_PKlPlN2at6native12_GLOBAL__N_18offset_tEEE10hipError_tPvRmT1_PNSt15iterator_traitsIS13_E10value_typeET2_T3_PNS14_IS19_E10value_typeET4_jRbjT5_S1F_jjP12ihipStream_tbEUljE_ZNSN_ISO_Lb0ESR_SS_SU_SV_SZ_EES10_S11_S12_S13_S17_S18_S19_S1C_S1D_jS1E_jS1F_S1F_jjS1H_bEUljE0_EEES10_S11_S12_S19_S1D_S1F_T6_T7_T9_mT8_S1H_bDpT10_ENKUlT_T0_E_clISt17integral_constantIbLb0EES1U_IbLb1EEEEDaS1Q_S1R_EUlS1Q_E_NS1_11comp_targetILNS1_3genE8ELNS1_11target_archE1030ELNS1_3gpuE2ELNS1_3repE0EEENS1_30default_config_static_selectorELNS0_4arch9wavefront6targetE0EEEvS13_.kd
    .uniform_work_group_size: 1
    .uses_dynamic_stack: false
    .vgpr_count:     0
    .vgpr_spill_count: 0
    .wavefront_size: 32
    .workgroup_processor_mode: 1
  - .args:
      - .offset:         0
        .size:           144
        .value_kind:     by_value
    .group_segment_fixed_size: 0
    .kernarg_segment_align: 8
    .kernarg_segment_size: 144
    .language:       OpenCL C
    .language_version:
      - 2
      - 0
    .max_flat_workgroup_size: 256
    .name:           _ZN7rocprim17ROCPRIM_400000_NS6detail17trampoline_kernelINS0_13select_configILj256ELj13ELNS0_17block_load_methodE3ELS4_3ELS4_3ELNS0_20block_scan_algorithmE0ELj4294967295EEENS1_25partition_config_selectorILNS1_17partition_subalgoE3EjNS0_10empty_typeEbEEZZNS1_14partition_implILS8_3ELb0ES6_jNS0_17counting_iteratorIjlEEPS9_SE_NS0_5tupleIJPjSE_EEENSF_IJSE_SE_EEES9_SG_JZNS1_25segmented_radix_sort_implINS0_14default_configELb0EPK12hip_bfloat16PSL_PKlPlN2at6native12_GLOBAL__N_18offset_tEEE10hipError_tPvRmT1_PNSt15iterator_traitsISZ_E10value_typeET2_T3_PNS10_IS15_E10value_typeET4_jRbjT5_S1B_jjP12ihipStream_tbEUljE_EEESW_SX_SY_S15_S19_S1B_T6_T7_T9_mT8_S1D_bDpT10_ENKUlT_T0_E_clISt17integral_constantIbLb0EES1Q_EEDaS1L_S1M_EUlS1L_E_NS1_11comp_targetILNS1_3genE0ELNS1_11target_archE4294967295ELNS1_3gpuE0ELNS1_3repE0EEENS1_30default_config_static_selectorELNS0_4arch9wavefront6targetE0EEEvSZ_
    .private_segment_fixed_size: 0
    .sgpr_count:     0
    .sgpr_spill_count: 0
    .symbol:         _ZN7rocprim17ROCPRIM_400000_NS6detail17trampoline_kernelINS0_13select_configILj256ELj13ELNS0_17block_load_methodE3ELS4_3ELS4_3ELNS0_20block_scan_algorithmE0ELj4294967295EEENS1_25partition_config_selectorILNS1_17partition_subalgoE3EjNS0_10empty_typeEbEEZZNS1_14partition_implILS8_3ELb0ES6_jNS0_17counting_iteratorIjlEEPS9_SE_NS0_5tupleIJPjSE_EEENSF_IJSE_SE_EEES9_SG_JZNS1_25segmented_radix_sort_implINS0_14default_configELb0EPK12hip_bfloat16PSL_PKlPlN2at6native12_GLOBAL__N_18offset_tEEE10hipError_tPvRmT1_PNSt15iterator_traitsISZ_E10value_typeET2_T3_PNS10_IS15_E10value_typeET4_jRbjT5_S1B_jjP12ihipStream_tbEUljE_EEESW_SX_SY_S15_S19_S1B_T6_T7_T9_mT8_S1D_bDpT10_ENKUlT_T0_E_clISt17integral_constantIbLb0EES1Q_EEDaS1L_S1M_EUlS1L_E_NS1_11comp_targetILNS1_3genE0ELNS1_11target_archE4294967295ELNS1_3gpuE0ELNS1_3repE0EEENS1_30default_config_static_selectorELNS0_4arch9wavefront6targetE0EEEvSZ_.kd
    .uniform_work_group_size: 1
    .uses_dynamic_stack: false
    .vgpr_count:     0
    .vgpr_spill_count: 0
    .wavefront_size: 32
    .workgroup_processor_mode: 1
  - .args:
      - .offset:         0
        .size:           144
        .value_kind:     by_value
    .group_segment_fixed_size: 0
    .kernarg_segment_align: 8
    .kernarg_segment_size: 144
    .language:       OpenCL C
    .language_version:
      - 2
      - 0
    .max_flat_workgroup_size: 256
    .name:           _ZN7rocprim17ROCPRIM_400000_NS6detail17trampoline_kernelINS0_13select_configILj256ELj13ELNS0_17block_load_methodE3ELS4_3ELS4_3ELNS0_20block_scan_algorithmE0ELj4294967295EEENS1_25partition_config_selectorILNS1_17partition_subalgoE3EjNS0_10empty_typeEbEEZZNS1_14partition_implILS8_3ELb0ES6_jNS0_17counting_iteratorIjlEEPS9_SE_NS0_5tupleIJPjSE_EEENSF_IJSE_SE_EEES9_SG_JZNS1_25segmented_radix_sort_implINS0_14default_configELb0EPK12hip_bfloat16PSL_PKlPlN2at6native12_GLOBAL__N_18offset_tEEE10hipError_tPvRmT1_PNSt15iterator_traitsISZ_E10value_typeET2_T3_PNS10_IS15_E10value_typeET4_jRbjT5_S1B_jjP12ihipStream_tbEUljE_EEESW_SX_SY_S15_S19_S1B_T6_T7_T9_mT8_S1D_bDpT10_ENKUlT_T0_E_clISt17integral_constantIbLb0EES1Q_EEDaS1L_S1M_EUlS1L_E_NS1_11comp_targetILNS1_3genE5ELNS1_11target_archE942ELNS1_3gpuE9ELNS1_3repE0EEENS1_30default_config_static_selectorELNS0_4arch9wavefront6targetE0EEEvSZ_
    .private_segment_fixed_size: 0
    .sgpr_count:     0
    .sgpr_spill_count: 0
    .symbol:         _ZN7rocprim17ROCPRIM_400000_NS6detail17trampoline_kernelINS0_13select_configILj256ELj13ELNS0_17block_load_methodE3ELS4_3ELS4_3ELNS0_20block_scan_algorithmE0ELj4294967295EEENS1_25partition_config_selectorILNS1_17partition_subalgoE3EjNS0_10empty_typeEbEEZZNS1_14partition_implILS8_3ELb0ES6_jNS0_17counting_iteratorIjlEEPS9_SE_NS0_5tupleIJPjSE_EEENSF_IJSE_SE_EEES9_SG_JZNS1_25segmented_radix_sort_implINS0_14default_configELb0EPK12hip_bfloat16PSL_PKlPlN2at6native12_GLOBAL__N_18offset_tEEE10hipError_tPvRmT1_PNSt15iterator_traitsISZ_E10value_typeET2_T3_PNS10_IS15_E10value_typeET4_jRbjT5_S1B_jjP12ihipStream_tbEUljE_EEESW_SX_SY_S15_S19_S1B_T6_T7_T9_mT8_S1D_bDpT10_ENKUlT_T0_E_clISt17integral_constantIbLb0EES1Q_EEDaS1L_S1M_EUlS1L_E_NS1_11comp_targetILNS1_3genE5ELNS1_11target_archE942ELNS1_3gpuE9ELNS1_3repE0EEENS1_30default_config_static_selectorELNS0_4arch9wavefront6targetE0EEEvSZ_.kd
    .uniform_work_group_size: 1
    .uses_dynamic_stack: false
    .vgpr_count:     0
    .vgpr_spill_count: 0
    .wavefront_size: 32
    .workgroup_processor_mode: 1
  - .args:
      - .offset:         0
        .size:           144
        .value_kind:     by_value
    .group_segment_fixed_size: 0
    .kernarg_segment_align: 8
    .kernarg_segment_size: 144
    .language:       OpenCL C
    .language_version:
      - 2
      - 0
    .max_flat_workgroup_size: 256
    .name:           _ZN7rocprim17ROCPRIM_400000_NS6detail17trampoline_kernelINS0_13select_configILj256ELj13ELNS0_17block_load_methodE3ELS4_3ELS4_3ELNS0_20block_scan_algorithmE0ELj4294967295EEENS1_25partition_config_selectorILNS1_17partition_subalgoE3EjNS0_10empty_typeEbEEZZNS1_14partition_implILS8_3ELb0ES6_jNS0_17counting_iteratorIjlEEPS9_SE_NS0_5tupleIJPjSE_EEENSF_IJSE_SE_EEES9_SG_JZNS1_25segmented_radix_sort_implINS0_14default_configELb0EPK12hip_bfloat16PSL_PKlPlN2at6native12_GLOBAL__N_18offset_tEEE10hipError_tPvRmT1_PNSt15iterator_traitsISZ_E10value_typeET2_T3_PNS10_IS15_E10value_typeET4_jRbjT5_S1B_jjP12ihipStream_tbEUljE_EEESW_SX_SY_S15_S19_S1B_T6_T7_T9_mT8_S1D_bDpT10_ENKUlT_T0_E_clISt17integral_constantIbLb0EES1Q_EEDaS1L_S1M_EUlS1L_E_NS1_11comp_targetILNS1_3genE4ELNS1_11target_archE910ELNS1_3gpuE8ELNS1_3repE0EEENS1_30default_config_static_selectorELNS0_4arch9wavefront6targetE0EEEvSZ_
    .private_segment_fixed_size: 0
    .sgpr_count:     0
    .sgpr_spill_count: 0
    .symbol:         _ZN7rocprim17ROCPRIM_400000_NS6detail17trampoline_kernelINS0_13select_configILj256ELj13ELNS0_17block_load_methodE3ELS4_3ELS4_3ELNS0_20block_scan_algorithmE0ELj4294967295EEENS1_25partition_config_selectorILNS1_17partition_subalgoE3EjNS0_10empty_typeEbEEZZNS1_14partition_implILS8_3ELb0ES6_jNS0_17counting_iteratorIjlEEPS9_SE_NS0_5tupleIJPjSE_EEENSF_IJSE_SE_EEES9_SG_JZNS1_25segmented_radix_sort_implINS0_14default_configELb0EPK12hip_bfloat16PSL_PKlPlN2at6native12_GLOBAL__N_18offset_tEEE10hipError_tPvRmT1_PNSt15iterator_traitsISZ_E10value_typeET2_T3_PNS10_IS15_E10value_typeET4_jRbjT5_S1B_jjP12ihipStream_tbEUljE_EEESW_SX_SY_S15_S19_S1B_T6_T7_T9_mT8_S1D_bDpT10_ENKUlT_T0_E_clISt17integral_constantIbLb0EES1Q_EEDaS1L_S1M_EUlS1L_E_NS1_11comp_targetILNS1_3genE4ELNS1_11target_archE910ELNS1_3gpuE8ELNS1_3repE0EEENS1_30default_config_static_selectorELNS0_4arch9wavefront6targetE0EEEvSZ_.kd
    .uniform_work_group_size: 1
    .uses_dynamic_stack: false
    .vgpr_count:     0
    .vgpr_spill_count: 0
    .wavefront_size: 32
    .workgroup_processor_mode: 1
  - .args:
      - .offset:         0
        .size:           144
        .value_kind:     by_value
    .group_segment_fixed_size: 0
    .kernarg_segment_align: 8
    .kernarg_segment_size: 144
    .language:       OpenCL C
    .language_version:
      - 2
      - 0
    .max_flat_workgroup_size: 256
    .name:           _ZN7rocprim17ROCPRIM_400000_NS6detail17trampoline_kernelINS0_13select_configILj256ELj13ELNS0_17block_load_methodE3ELS4_3ELS4_3ELNS0_20block_scan_algorithmE0ELj4294967295EEENS1_25partition_config_selectorILNS1_17partition_subalgoE3EjNS0_10empty_typeEbEEZZNS1_14partition_implILS8_3ELb0ES6_jNS0_17counting_iteratorIjlEEPS9_SE_NS0_5tupleIJPjSE_EEENSF_IJSE_SE_EEES9_SG_JZNS1_25segmented_radix_sort_implINS0_14default_configELb0EPK12hip_bfloat16PSL_PKlPlN2at6native12_GLOBAL__N_18offset_tEEE10hipError_tPvRmT1_PNSt15iterator_traitsISZ_E10value_typeET2_T3_PNS10_IS15_E10value_typeET4_jRbjT5_S1B_jjP12ihipStream_tbEUljE_EEESW_SX_SY_S15_S19_S1B_T6_T7_T9_mT8_S1D_bDpT10_ENKUlT_T0_E_clISt17integral_constantIbLb0EES1Q_EEDaS1L_S1M_EUlS1L_E_NS1_11comp_targetILNS1_3genE3ELNS1_11target_archE908ELNS1_3gpuE7ELNS1_3repE0EEENS1_30default_config_static_selectorELNS0_4arch9wavefront6targetE0EEEvSZ_
    .private_segment_fixed_size: 0
    .sgpr_count:     0
    .sgpr_spill_count: 0
    .symbol:         _ZN7rocprim17ROCPRIM_400000_NS6detail17trampoline_kernelINS0_13select_configILj256ELj13ELNS0_17block_load_methodE3ELS4_3ELS4_3ELNS0_20block_scan_algorithmE0ELj4294967295EEENS1_25partition_config_selectorILNS1_17partition_subalgoE3EjNS0_10empty_typeEbEEZZNS1_14partition_implILS8_3ELb0ES6_jNS0_17counting_iteratorIjlEEPS9_SE_NS0_5tupleIJPjSE_EEENSF_IJSE_SE_EEES9_SG_JZNS1_25segmented_radix_sort_implINS0_14default_configELb0EPK12hip_bfloat16PSL_PKlPlN2at6native12_GLOBAL__N_18offset_tEEE10hipError_tPvRmT1_PNSt15iterator_traitsISZ_E10value_typeET2_T3_PNS10_IS15_E10value_typeET4_jRbjT5_S1B_jjP12ihipStream_tbEUljE_EEESW_SX_SY_S15_S19_S1B_T6_T7_T9_mT8_S1D_bDpT10_ENKUlT_T0_E_clISt17integral_constantIbLb0EES1Q_EEDaS1L_S1M_EUlS1L_E_NS1_11comp_targetILNS1_3genE3ELNS1_11target_archE908ELNS1_3gpuE7ELNS1_3repE0EEENS1_30default_config_static_selectorELNS0_4arch9wavefront6targetE0EEEvSZ_.kd
    .uniform_work_group_size: 1
    .uses_dynamic_stack: false
    .vgpr_count:     0
    .vgpr_spill_count: 0
    .wavefront_size: 32
    .workgroup_processor_mode: 1
  - .args:
      - .offset:         0
        .size:           144
        .value_kind:     by_value
    .group_segment_fixed_size: 0
    .kernarg_segment_align: 8
    .kernarg_segment_size: 144
    .language:       OpenCL C
    .language_version:
      - 2
      - 0
    .max_flat_workgroup_size: 256
    .name:           _ZN7rocprim17ROCPRIM_400000_NS6detail17trampoline_kernelINS0_13select_configILj256ELj13ELNS0_17block_load_methodE3ELS4_3ELS4_3ELNS0_20block_scan_algorithmE0ELj4294967295EEENS1_25partition_config_selectorILNS1_17partition_subalgoE3EjNS0_10empty_typeEbEEZZNS1_14partition_implILS8_3ELb0ES6_jNS0_17counting_iteratorIjlEEPS9_SE_NS0_5tupleIJPjSE_EEENSF_IJSE_SE_EEES9_SG_JZNS1_25segmented_radix_sort_implINS0_14default_configELb0EPK12hip_bfloat16PSL_PKlPlN2at6native12_GLOBAL__N_18offset_tEEE10hipError_tPvRmT1_PNSt15iterator_traitsISZ_E10value_typeET2_T3_PNS10_IS15_E10value_typeET4_jRbjT5_S1B_jjP12ihipStream_tbEUljE_EEESW_SX_SY_S15_S19_S1B_T6_T7_T9_mT8_S1D_bDpT10_ENKUlT_T0_E_clISt17integral_constantIbLb0EES1Q_EEDaS1L_S1M_EUlS1L_E_NS1_11comp_targetILNS1_3genE2ELNS1_11target_archE906ELNS1_3gpuE6ELNS1_3repE0EEENS1_30default_config_static_selectorELNS0_4arch9wavefront6targetE0EEEvSZ_
    .private_segment_fixed_size: 0
    .sgpr_count:     0
    .sgpr_spill_count: 0
    .symbol:         _ZN7rocprim17ROCPRIM_400000_NS6detail17trampoline_kernelINS0_13select_configILj256ELj13ELNS0_17block_load_methodE3ELS4_3ELS4_3ELNS0_20block_scan_algorithmE0ELj4294967295EEENS1_25partition_config_selectorILNS1_17partition_subalgoE3EjNS0_10empty_typeEbEEZZNS1_14partition_implILS8_3ELb0ES6_jNS0_17counting_iteratorIjlEEPS9_SE_NS0_5tupleIJPjSE_EEENSF_IJSE_SE_EEES9_SG_JZNS1_25segmented_radix_sort_implINS0_14default_configELb0EPK12hip_bfloat16PSL_PKlPlN2at6native12_GLOBAL__N_18offset_tEEE10hipError_tPvRmT1_PNSt15iterator_traitsISZ_E10value_typeET2_T3_PNS10_IS15_E10value_typeET4_jRbjT5_S1B_jjP12ihipStream_tbEUljE_EEESW_SX_SY_S15_S19_S1B_T6_T7_T9_mT8_S1D_bDpT10_ENKUlT_T0_E_clISt17integral_constantIbLb0EES1Q_EEDaS1L_S1M_EUlS1L_E_NS1_11comp_targetILNS1_3genE2ELNS1_11target_archE906ELNS1_3gpuE6ELNS1_3repE0EEENS1_30default_config_static_selectorELNS0_4arch9wavefront6targetE0EEEvSZ_.kd
    .uniform_work_group_size: 1
    .uses_dynamic_stack: false
    .vgpr_count:     0
    .vgpr_spill_count: 0
    .wavefront_size: 32
    .workgroup_processor_mode: 1
  - .args:
      - .offset:         0
        .size:           144
        .value_kind:     by_value
    .group_segment_fixed_size: 0
    .kernarg_segment_align: 8
    .kernarg_segment_size: 144
    .language:       OpenCL C
    .language_version:
      - 2
      - 0
    .max_flat_workgroup_size: 256
    .name:           _ZN7rocprim17ROCPRIM_400000_NS6detail17trampoline_kernelINS0_13select_configILj256ELj13ELNS0_17block_load_methodE3ELS4_3ELS4_3ELNS0_20block_scan_algorithmE0ELj4294967295EEENS1_25partition_config_selectorILNS1_17partition_subalgoE3EjNS0_10empty_typeEbEEZZNS1_14partition_implILS8_3ELb0ES6_jNS0_17counting_iteratorIjlEEPS9_SE_NS0_5tupleIJPjSE_EEENSF_IJSE_SE_EEES9_SG_JZNS1_25segmented_radix_sort_implINS0_14default_configELb0EPK12hip_bfloat16PSL_PKlPlN2at6native12_GLOBAL__N_18offset_tEEE10hipError_tPvRmT1_PNSt15iterator_traitsISZ_E10value_typeET2_T3_PNS10_IS15_E10value_typeET4_jRbjT5_S1B_jjP12ihipStream_tbEUljE_EEESW_SX_SY_S15_S19_S1B_T6_T7_T9_mT8_S1D_bDpT10_ENKUlT_T0_E_clISt17integral_constantIbLb0EES1Q_EEDaS1L_S1M_EUlS1L_E_NS1_11comp_targetILNS1_3genE10ELNS1_11target_archE1200ELNS1_3gpuE4ELNS1_3repE0EEENS1_30default_config_static_selectorELNS0_4arch9wavefront6targetE0EEEvSZ_
    .private_segment_fixed_size: 0
    .sgpr_count:     0
    .sgpr_spill_count: 0
    .symbol:         _ZN7rocprim17ROCPRIM_400000_NS6detail17trampoline_kernelINS0_13select_configILj256ELj13ELNS0_17block_load_methodE3ELS4_3ELS4_3ELNS0_20block_scan_algorithmE0ELj4294967295EEENS1_25partition_config_selectorILNS1_17partition_subalgoE3EjNS0_10empty_typeEbEEZZNS1_14partition_implILS8_3ELb0ES6_jNS0_17counting_iteratorIjlEEPS9_SE_NS0_5tupleIJPjSE_EEENSF_IJSE_SE_EEES9_SG_JZNS1_25segmented_radix_sort_implINS0_14default_configELb0EPK12hip_bfloat16PSL_PKlPlN2at6native12_GLOBAL__N_18offset_tEEE10hipError_tPvRmT1_PNSt15iterator_traitsISZ_E10value_typeET2_T3_PNS10_IS15_E10value_typeET4_jRbjT5_S1B_jjP12ihipStream_tbEUljE_EEESW_SX_SY_S15_S19_S1B_T6_T7_T9_mT8_S1D_bDpT10_ENKUlT_T0_E_clISt17integral_constantIbLb0EES1Q_EEDaS1L_S1M_EUlS1L_E_NS1_11comp_targetILNS1_3genE10ELNS1_11target_archE1200ELNS1_3gpuE4ELNS1_3repE0EEENS1_30default_config_static_selectorELNS0_4arch9wavefront6targetE0EEEvSZ_.kd
    .uniform_work_group_size: 1
    .uses_dynamic_stack: false
    .vgpr_count:     0
    .vgpr_spill_count: 0
    .wavefront_size: 32
    .workgroup_processor_mode: 1
  - .args:
      - .offset:         0
        .size:           144
        .value_kind:     by_value
    .group_segment_fixed_size: 13324
    .kernarg_segment_align: 8
    .kernarg_segment_size: 144
    .language:       OpenCL C
    .language_version:
      - 2
      - 0
    .max_flat_workgroup_size: 256
    .name:           _ZN7rocprim17ROCPRIM_400000_NS6detail17trampoline_kernelINS0_13select_configILj256ELj13ELNS0_17block_load_methodE3ELS4_3ELS4_3ELNS0_20block_scan_algorithmE0ELj4294967295EEENS1_25partition_config_selectorILNS1_17partition_subalgoE3EjNS0_10empty_typeEbEEZZNS1_14partition_implILS8_3ELb0ES6_jNS0_17counting_iteratorIjlEEPS9_SE_NS0_5tupleIJPjSE_EEENSF_IJSE_SE_EEES9_SG_JZNS1_25segmented_radix_sort_implINS0_14default_configELb0EPK12hip_bfloat16PSL_PKlPlN2at6native12_GLOBAL__N_18offset_tEEE10hipError_tPvRmT1_PNSt15iterator_traitsISZ_E10value_typeET2_T3_PNS10_IS15_E10value_typeET4_jRbjT5_S1B_jjP12ihipStream_tbEUljE_EEESW_SX_SY_S15_S19_S1B_T6_T7_T9_mT8_S1D_bDpT10_ENKUlT_T0_E_clISt17integral_constantIbLb0EES1Q_EEDaS1L_S1M_EUlS1L_E_NS1_11comp_targetILNS1_3genE9ELNS1_11target_archE1100ELNS1_3gpuE3ELNS1_3repE0EEENS1_30default_config_static_selectorELNS0_4arch9wavefront6targetE0EEEvSZ_
    .private_segment_fixed_size: 0
    .sgpr_count:     30
    .sgpr_spill_count: 0
    .symbol:         _ZN7rocprim17ROCPRIM_400000_NS6detail17trampoline_kernelINS0_13select_configILj256ELj13ELNS0_17block_load_methodE3ELS4_3ELS4_3ELNS0_20block_scan_algorithmE0ELj4294967295EEENS1_25partition_config_selectorILNS1_17partition_subalgoE3EjNS0_10empty_typeEbEEZZNS1_14partition_implILS8_3ELb0ES6_jNS0_17counting_iteratorIjlEEPS9_SE_NS0_5tupleIJPjSE_EEENSF_IJSE_SE_EEES9_SG_JZNS1_25segmented_radix_sort_implINS0_14default_configELb0EPK12hip_bfloat16PSL_PKlPlN2at6native12_GLOBAL__N_18offset_tEEE10hipError_tPvRmT1_PNSt15iterator_traitsISZ_E10value_typeET2_T3_PNS10_IS15_E10value_typeET4_jRbjT5_S1B_jjP12ihipStream_tbEUljE_EEESW_SX_SY_S15_S19_S1B_T6_T7_T9_mT8_S1D_bDpT10_ENKUlT_T0_E_clISt17integral_constantIbLb0EES1Q_EEDaS1L_S1M_EUlS1L_E_NS1_11comp_targetILNS1_3genE9ELNS1_11target_archE1100ELNS1_3gpuE3ELNS1_3repE0EEENS1_30default_config_static_selectorELNS0_4arch9wavefront6targetE0EEEvSZ_.kd
    .uniform_work_group_size: 1
    .uses_dynamic_stack: false
    .vgpr_count:     57
    .vgpr_spill_count: 0
    .wavefront_size: 32
    .workgroup_processor_mode: 1
  - .args:
      - .offset:         0
        .size:           144
        .value_kind:     by_value
    .group_segment_fixed_size: 0
    .kernarg_segment_align: 8
    .kernarg_segment_size: 144
    .language:       OpenCL C
    .language_version:
      - 2
      - 0
    .max_flat_workgroup_size: 256
    .name:           _ZN7rocprim17ROCPRIM_400000_NS6detail17trampoline_kernelINS0_13select_configILj256ELj13ELNS0_17block_load_methodE3ELS4_3ELS4_3ELNS0_20block_scan_algorithmE0ELj4294967295EEENS1_25partition_config_selectorILNS1_17partition_subalgoE3EjNS0_10empty_typeEbEEZZNS1_14partition_implILS8_3ELb0ES6_jNS0_17counting_iteratorIjlEEPS9_SE_NS0_5tupleIJPjSE_EEENSF_IJSE_SE_EEES9_SG_JZNS1_25segmented_radix_sort_implINS0_14default_configELb0EPK12hip_bfloat16PSL_PKlPlN2at6native12_GLOBAL__N_18offset_tEEE10hipError_tPvRmT1_PNSt15iterator_traitsISZ_E10value_typeET2_T3_PNS10_IS15_E10value_typeET4_jRbjT5_S1B_jjP12ihipStream_tbEUljE_EEESW_SX_SY_S15_S19_S1B_T6_T7_T9_mT8_S1D_bDpT10_ENKUlT_T0_E_clISt17integral_constantIbLb0EES1Q_EEDaS1L_S1M_EUlS1L_E_NS1_11comp_targetILNS1_3genE8ELNS1_11target_archE1030ELNS1_3gpuE2ELNS1_3repE0EEENS1_30default_config_static_selectorELNS0_4arch9wavefront6targetE0EEEvSZ_
    .private_segment_fixed_size: 0
    .sgpr_count:     0
    .sgpr_spill_count: 0
    .symbol:         _ZN7rocprim17ROCPRIM_400000_NS6detail17trampoline_kernelINS0_13select_configILj256ELj13ELNS0_17block_load_methodE3ELS4_3ELS4_3ELNS0_20block_scan_algorithmE0ELj4294967295EEENS1_25partition_config_selectorILNS1_17partition_subalgoE3EjNS0_10empty_typeEbEEZZNS1_14partition_implILS8_3ELb0ES6_jNS0_17counting_iteratorIjlEEPS9_SE_NS0_5tupleIJPjSE_EEENSF_IJSE_SE_EEES9_SG_JZNS1_25segmented_radix_sort_implINS0_14default_configELb0EPK12hip_bfloat16PSL_PKlPlN2at6native12_GLOBAL__N_18offset_tEEE10hipError_tPvRmT1_PNSt15iterator_traitsISZ_E10value_typeET2_T3_PNS10_IS15_E10value_typeET4_jRbjT5_S1B_jjP12ihipStream_tbEUljE_EEESW_SX_SY_S15_S19_S1B_T6_T7_T9_mT8_S1D_bDpT10_ENKUlT_T0_E_clISt17integral_constantIbLb0EES1Q_EEDaS1L_S1M_EUlS1L_E_NS1_11comp_targetILNS1_3genE8ELNS1_11target_archE1030ELNS1_3gpuE2ELNS1_3repE0EEENS1_30default_config_static_selectorELNS0_4arch9wavefront6targetE0EEEvSZ_.kd
    .uniform_work_group_size: 1
    .uses_dynamic_stack: false
    .vgpr_count:     0
    .vgpr_spill_count: 0
    .wavefront_size: 32
    .workgroup_processor_mode: 1
  - .args:
      - .offset:         0
        .size:           152
        .value_kind:     by_value
    .group_segment_fixed_size: 0
    .kernarg_segment_align: 8
    .kernarg_segment_size: 152
    .language:       OpenCL C
    .language_version:
      - 2
      - 0
    .max_flat_workgroup_size: 256
    .name:           _ZN7rocprim17ROCPRIM_400000_NS6detail17trampoline_kernelINS0_13select_configILj256ELj13ELNS0_17block_load_methodE3ELS4_3ELS4_3ELNS0_20block_scan_algorithmE0ELj4294967295EEENS1_25partition_config_selectorILNS1_17partition_subalgoE3EjNS0_10empty_typeEbEEZZNS1_14partition_implILS8_3ELb0ES6_jNS0_17counting_iteratorIjlEEPS9_SE_NS0_5tupleIJPjSE_EEENSF_IJSE_SE_EEES9_SG_JZNS1_25segmented_radix_sort_implINS0_14default_configELb0EPK12hip_bfloat16PSL_PKlPlN2at6native12_GLOBAL__N_18offset_tEEE10hipError_tPvRmT1_PNSt15iterator_traitsISZ_E10value_typeET2_T3_PNS10_IS15_E10value_typeET4_jRbjT5_S1B_jjP12ihipStream_tbEUljE_EEESW_SX_SY_S15_S19_S1B_T6_T7_T9_mT8_S1D_bDpT10_ENKUlT_T0_E_clISt17integral_constantIbLb1EES1Q_EEDaS1L_S1M_EUlS1L_E_NS1_11comp_targetILNS1_3genE0ELNS1_11target_archE4294967295ELNS1_3gpuE0ELNS1_3repE0EEENS1_30default_config_static_selectorELNS0_4arch9wavefront6targetE0EEEvSZ_
    .private_segment_fixed_size: 0
    .sgpr_count:     0
    .sgpr_spill_count: 0
    .symbol:         _ZN7rocprim17ROCPRIM_400000_NS6detail17trampoline_kernelINS0_13select_configILj256ELj13ELNS0_17block_load_methodE3ELS4_3ELS4_3ELNS0_20block_scan_algorithmE0ELj4294967295EEENS1_25partition_config_selectorILNS1_17partition_subalgoE3EjNS0_10empty_typeEbEEZZNS1_14partition_implILS8_3ELb0ES6_jNS0_17counting_iteratorIjlEEPS9_SE_NS0_5tupleIJPjSE_EEENSF_IJSE_SE_EEES9_SG_JZNS1_25segmented_radix_sort_implINS0_14default_configELb0EPK12hip_bfloat16PSL_PKlPlN2at6native12_GLOBAL__N_18offset_tEEE10hipError_tPvRmT1_PNSt15iterator_traitsISZ_E10value_typeET2_T3_PNS10_IS15_E10value_typeET4_jRbjT5_S1B_jjP12ihipStream_tbEUljE_EEESW_SX_SY_S15_S19_S1B_T6_T7_T9_mT8_S1D_bDpT10_ENKUlT_T0_E_clISt17integral_constantIbLb1EES1Q_EEDaS1L_S1M_EUlS1L_E_NS1_11comp_targetILNS1_3genE0ELNS1_11target_archE4294967295ELNS1_3gpuE0ELNS1_3repE0EEENS1_30default_config_static_selectorELNS0_4arch9wavefront6targetE0EEEvSZ_.kd
    .uniform_work_group_size: 1
    .uses_dynamic_stack: false
    .vgpr_count:     0
    .vgpr_spill_count: 0
    .wavefront_size: 32
    .workgroup_processor_mode: 1
  - .args:
      - .offset:         0
        .size:           152
        .value_kind:     by_value
    .group_segment_fixed_size: 0
    .kernarg_segment_align: 8
    .kernarg_segment_size: 152
    .language:       OpenCL C
    .language_version:
      - 2
      - 0
    .max_flat_workgroup_size: 256
    .name:           _ZN7rocprim17ROCPRIM_400000_NS6detail17trampoline_kernelINS0_13select_configILj256ELj13ELNS0_17block_load_methodE3ELS4_3ELS4_3ELNS0_20block_scan_algorithmE0ELj4294967295EEENS1_25partition_config_selectorILNS1_17partition_subalgoE3EjNS0_10empty_typeEbEEZZNS1_14partition_implILS8_3ELb0ES6_jNS0_17counting_iteratorIjlEEPS9_SE_NS0_5tupleIJPjSE_EEENSF_IJSE_SE_EEES9_SG_JZNS1_25segmented_radix_sort_implINS0_14default_configELb0EPK12hip_bfloat16PSL_PKlPlN2at6native12_GLOBAL__N_18offset_tEEE10hipError_tPvRmT1_PNSt15iterator_traitsISZ_E10value_typeET2_T3_PNS10_IS15_E10value_typeET4_jRbjT5_S1B_jjP12ihipStream_tbEUljE_EEESW_SX_SY_S15_S19_S1B_T6_T7_T9_mT8_S1D_bDpT10_ENKUlT_T0_E_clISt17integral_constantIbLb1EES1Q_EEDaS1L_S1M_EUlS1L_E_NS1_11comp_targetILNS1_3genE5ELNS1_11target_archE942ELNS1_3gpuE9ELNS1_3repE0EEENS1_30default_config_static_selectorELNS0_4arch9wavefront6targetE0EEEvSZ_
    .private_segment_fixed_size: 0
    .sgpr_count:     0
    .sgpr_spill_count: 0
    .symbol:         _ZN7rocprim17ROCPRIM_400000_NS6detail17trampoline_kernelINS0_13select_configILj256ELj13ELNS0_17block_load_methodE3ELS4_3ELS4_3ELNS0_20block_scan_algorithmE0ELj4294967295EEENS1_25partition_config_selectorILNS1_17partition_subalgoE3EjNS0_10empty_typeEbEEZZNS1_14partition_implILS8_3ELb0ES6_jNS0_17counting_iteratorIjlEEPS9_SE_NS0_5tupleIJPjSE_EEENSF_IJSE_SE_EEES9_SG_JZNS1_25segmented_radix_sort_implINS0_14default_configELb0EPK12hip_bfloat16PSL_PKlPlN2at6native12_GLOBAL__N_18offset_tEEE10hipError_tPvRmT1_PNSt15iterator_traitsISZ_E10value_typeET2_T3_PNS10_IS15_E10value_typeET4_jRbjT5_S1B_jjP12ihipStream_tbEUljE_EEESW_SX_SY_S15_S19_S1B_T6_T7_T9_mT8_S1D_bDpT10_ENKUlT_T0_E_clISt17integral_constantIbLb1EES1Q_EEDaS1L_S1M_EUlS1L_E_NS1_11comp_targetILNS1_3genE5ELNS1_11target_archE942ELNS1_3gpuE9ELNS1_3repE0EEENS1_30default_config_static_selectorELNS0_4arch9wavefront6targetE0EEEvSZ_.kd
    .uniform_work_group_size: 1
    .uses_dynamic_stack: false
    .vgpr_count:     0
    .vgpr_spill_count: 0
    .wavefront_size: 32
    .workgroup_processor_mode: 1
  - .args:
      - .offset:         0
        .size:           152
        .value_kind:     by_value
    .group_segment_fixed_size: 0
    .kernarg_segment_align: 8
    .kernarg_segment_size: 152
    .language:       OpenCL C
    .language_version:
      - 2
      - 0
    .max_flat_workgroup_size: 256
    .name:           _ZN7rocprim17ROCPRIM_400000_NS6detail17trampoline_kernelINS0_13select_configILj256ELj13ELNS0_17block_load_methodE3ELS4_3ELS4_3ELNS0_20block_scan_algorithmE0ELj4294967295EEENS1_25partition_config_selectorILNS1_17partition_subalgoE3EjNS0_10empty_typeEbEEZZNS1_14partition_implILS8_3ELb0ES6_jNS0_17counting_iteratorIjlEEPS9_SE_NS0_5tupleIJPjSE_EEENSF_IJSE_SE_EEES9_SG_JZNS1_25segmented_radix_sort_implINS0_14default_configELb0EPK12hip_bfloat16PSL_PKlPlN2at6native12_GLOBAL__N_18offset_tEEE10hipError_tPvRmT1_PNSt15iterator_traitsISZ_E10value_typeET2_T3_PNS10_IS15_E10value_typeET4_jRbjT5_S1B_jjP12ihipStream_tbEUljE_EEESW_SX_SY_S15_S19_S1B_T6_T7_T9_mT8_S1D_bDpT10_ENKUlT_T0_E_clISt17integral_constantIbLb1EES1Q_EEDaS1L_S1M_EUlS1L_E_NS1_11comp_targetILNS1_3genE4ELNS1_11target_archE910ELNS1_3gpuE8ELNS1_3repE0EEENS1_30default_config_static_selectorELNS0_4arch9wavefront6targetE0EEEvSZ_
    .private_segment_fixed_size: 0
    .sgpr_count:     0
    .sgpr_spill_count: 0
    .symbol:         _ZN7rocprim17ROCPRIM_400000_NS6detail17trampoline_kernelINS0_13select_configILj256ELj13ELNS0_17block_load_methodE3ELS4_3ELS4_3ELNS0_20block_scan_algorithmE0ELj4294967295EEENS1_25partition_config_selectorILNS1_17partition_subalgoE3EjNS0_10empty_typeEbEEZZNS1_14partition_implILS8_3ELb0ES6_jNS0_17counting_iteratorIjlEEPS9_SE_NS0_5tupleIJPjSE_EEENSF_IJSE_SE_EEES9_SG_JZNS1_25segmented_radix_sort_implINS0_14default_configELb0EPK12hip_bfloat16PSL_PKlPlN2at6native12_GLOBAL__N_18offset_tEEE10hipError_tPvRmT1_PNSt15iterator_traitsISZ_E10value_typeET2_T3_PNS10_IS15_E10value_typeET4_jRbjT5_S1B_jjP12ihipStream_tbEUljE_EEESW_SX_SY_S15_S19_S1B_T6_T7_T9_mT8_S1D_bDpT10_ENKUlT_T0_E_clISt17integral_constantIbLb1EES1Q_EEDaS1L_S1M_EUlS1L_E_NS1_11comp_targetILNS1_3genE4ELNS1_11target_archE910ELNS1_3gpuE8ELNS1_3repE0EEENS1_30default_config_static_selectorELNS0_4arch9wavefront6targetE0EEEvSZ_.kd
    .uniform_work_group_size: 1
    .uses_dynamic_stack: false
    .vgpr_count:     0
    .vgpr_spill_count: 0
    .wavefront_size: 32
    .workgroup_processor_mode: 1
  - .args:
      - .offset:         0
        .size:           152
        .value_kind:     by_value
    .group_segment_fixed_size: 0
    .kernarg_segment_align: 8
    .kernarg_segment_size: 152
    .language:       OpenCL C
    .language_version:
      - 2
      - 0
    .max_flat_workgroup_size: 256
    .name:           _ZN7rocprim17ROCPRIM_400000_NS6detail17trampoline_kernelINS0_13select_configILj256ELj13ELNS0_17block_load_methodE3ELS4_3ELS4_3ELNS0_20block_scan_algorithmE0ELj4294967295EEENS1_25partition_config_selectorILNS1_17partition_subalgoE3EjNS0_10empty_typeEbEEZZNS1_14partition_implILS8_3ELb0ES6_jNS0_17counting_iteratorIjlEEPS9_SE_NS0_5tupleIJPjSE_EEENSF_IJSE_SE_EEES9_SG_JZNS1_25segmented_radix_sort_implINS0_14default_configELb0EPK12hip_bfloat16PSL_PKlPlN2at6native12_GLOBAL__N_18offset_tEEE10hipError_tPvRmT1_PNSt15iterator_traitsISZ_E10value_typeET2_T3_PNS10_IS15_E10value_typeET4_jRbjT5_S1B_jjP12ihipStream_tbEUljE_EEESW_SX_SY_S15_S19_S1B_T6_T7_T9_mT8_S1D_bDpT10_ENKUlT_T0_E_clISt17integral_constantIbLb1EES1Q_EEDaS1L_S1M_EUlS1L_E_NS1_11comp_targetILNS1_3genE3ELNS1_11target_archE908ELNS1_3gpuE7ELNS1_3repE0EEENS1_30default_config_static_selectorELNS0_4arch9wavefront6targetE0EEEvSZ_
    .private_segment_fixed_size: 0
    .sgpr_count:     0
    .sgpr_spill_count: 0
    .symbol:         _ZN7rocprim17ROCPRIM_400000_NS6detail17trampoline_kernelINS0_13select_configILj256ELj13ELNS0_17block_load_methodE3ELS4_3ELS4_3ELNS0_20block_scan_algorithmE0ELj4294967295EEENS1_25partition_config_selectorILNS1_17partition_subalgoE3EjNS0_10empty_typeEbEEZZNS1_14partition_implILS8_3ELb0ES6_jNS0_17counting_iteratorIjlEEPS9_SE_NS0_5tupleIJPjSE_EEENSF_IJSE_SE_EEES9_SG_JZNS1_25segmented_radix_sort_implINS0_14default_configELb0EPK12hip_bfloat16PSL_PKlPlN2at6native12_GLOBAL__N_18offset_tEEE10hipError_tPvRmT1_PNSt15iterator_traitsISZ_E10value_typeET2_T3_PNS10_IS15_E10value_typeET4_jRbjT5_S1B_jjP12ihipStream_tbEUljE_EEESW_SX_SY_S15_S19_S1B_T6_T7_T9_mT8_S1D_bDpT10_ENKUlT_T0_E_clISt17integral_constantIbLb1EES1Q_EEDaS1L_S1M_EUlS1L_E_NS1_11comp_targetILNS1_3genE3ELNS1_11target_archE908ELNS1_3gpuE7ELNS1_3repE0EEENS1_30default_config_static_selectorELNS0_4arch9wavefront6targetE0EEEvSZ_.kd
    .uniform_work_group_size: 1
    .uses_dynamic_stack: false
    .vgpr_count:     0
    .vgpr_spill_count: 0
    .wavefront_size: 32
    .workgroup_processor_mode: 1
  - .args:
      - .offset:         0
        .size:           152
        .value_kind:     by_value
    .group_segment_fixed_size: 0
    .kernarg_segment_align: 8
    .kernarg_segment_size: 152
    .language:       OpenCL C
    .language_version:
      - 2
      - 0
    .max_flat_workgroup_size: 256
    .name:           _ZN7rocprim17ROCPRIM_400000_NS6detail17trampoline_kernelINS0_13select_configILj256ELj13ELNS0_17block_load_methodE3ELS4_3ELS4_3ELNS0_20block_scan_algorithmE0ELj4294967295EEENS1_25partition_config_selectorILNS1_17partition_subalgoE3EjNS0_10empty_typeEbEEZZNS1_14partition_implILS8_3ELb0ES6_jNS0_17counting_iteratorIjlEEPS9_SE_NS0_5tupleIJPjSE_EEENSF_IJSE_SE_EEES9_SG_JZNS1_25segmented_radix_sort_implINS0_14default_configELb0EPK12hip_bfloat16PSL_PKlPlN2at6native12_GLOBAL__N_18offset_tEEE10hipError_tPvRmT1_PNSt15iterator_traitsISZ_E10value_typeET2_T3_PNS10_IS15_E10value_typeET4_jRbjT5_S1B_jjP12ihipStream_tbEUljE_EEESW_SX_SY_S15_S19_S1B_T6_T7_T9_mT8_S1D_bDpT10_ENKUlT_T0_E_clISt17integral_constantIbLb1EES1Q_EEDaS1L_S1M_EUlS1L_E_NS1_11comp_targetILNS1_3genE2ELNS1_11target_archE906ELNS1_3gpuE6ELNS1_3repE0EEENS1_30default_config_static_selectorELNS0_4arch9wavefront6targetE0EEEvSZ_
    .private_segment_fixed_size: 0
    .sgpr_count:     0
    .sgpr_spill_count: 0
    .symbol:         _ZN7rocprim17ROCPRIM_400000_NS6detail17trampoline_kernelINS0_13select_configILj256ELj13ELNS0_17block_load_methodE3ELS4_3ELS4_3ELNS0_20block_scan_algorithmE0ELj4294967295EEENS1_25partition_config_selectorILNS1_17partition_subalgoE3EjNS0_10empty_typeEbEEZZNS1_14partition_implILS8_3ELb0ES6_jNS0_17counting_iteratorIjlEEPS9_SE_NS0_5tupleIJPjSE_EEENSF_IJSE_SE_EEES9_SG_JZNS1_25segmented_radix_sort_implINS0_14default_configELb0EPK12hip_bfloat16PSL_PKlPlN2at6native12_GLOBAL__N_18offset_tEEE10hipError_tPvRmT1_PNSt15iterator_traitsISZ_E10value_typeET2_T3_PNS10_IS15_E10value_typeET4_jRbjT5_S1B_jjP12ihipStream_tbEUljE_EEESW_SX_SY_S15_S19_S1B_T6_T7_T9_mT8_S1D_bDpT10_ENKUlT_T0_E_clISt17integral_constantIbLb1EES1Q_EEDaS1L_S1M_EUlS1L_E_NS1_11comp_targetILNS1_3genE2ELNS1_11target_archE906ELNS1_3gpuE6ELNS1_3repE0EEENS1_30default_config_static_selectorELNS0_4arch9wavefront6targetE0EEEvSZ_.kd
    .uniform_work_group_size: 1
    .uses_dynamic_stack: false
    .vgpr_count:     0
    .vgpr_spill_count: 0
    .wavefront_size: 32
    .workgroup_processor_mode: 1
  - .args:
      - .offset:         0
        .size:           152
        .value_kind:     by_value
    .group_segment_fixed_size: 0
    .kernarg_segment_align: 8
    .kernarg_segment_size: 152
    .language:       OpenCL C
    .language_version:
      - 2
      - 0
    .max_flat_workgroup_size: 256
    .name:           _ZN7rocprim17ROCPRIM_400000_NS6detail17trampoline_kernelINS0_13select_configILj256ELj13ELNS0_17block_load_methodE3ELS4_3ELS4_3ELNS0_20block_scan_algorithmE0ELj4294967295EEENS1_25partition_config_selectorILNS1_17partition_subalgoE3EjNS0_10empty_typeEbEEZZNS1_14partition_implILS8_3ELb0ES6_jNS0_17counting_iteratorIjlEEPS9_SE_NS0_5tupleIJPjSE_EEENSF_IJSE_SE_EEES9_SG_JZNS1_25segmented_radix_sort_implINS0_14default_configELb0EPK12hip_bfloat16PSL_PKlPlN2at6native12_GLOBAL__N_18offset_tEEE10hipError_tPvRmT1_PNSt15iterator_traitsISZ_E10value_typeET2_T3_PNS10_IS15_E10value_typeET4_jRbjT5_S1B_jjP12ihipStream_tbEUljE_EEESW_SX_SY_S15_S19_S1B_T6_T7_T9_mT8_S1D_bDpT10_ENKUlT_T0_E_clISt17integral_constantIbLb1EES1Q_EEDaS1L_S1M_EUlS1L_E_NS1_11comp_targetILNS1_3genE10ELNS1_11target_archE1200ELNS1_3gpuE4ELNS1_3repE0EEENS1_30default_config_static_selectorELNS0_4arch9wavefront6targetE0EEEvSZ_
    .private_segment_fixed_size: 0
    .sgpr_count:     0
    .sgpr_spill_count: 0
    .symbol:         _ZN7rocprim17ROCPRIM_400000_NS6detail17trampoline_kernelINS0_13select_configILj256ELj13ELNS0_17block_load_methodE3ELS4_3ELS4_3ELNS0_20block_scan_algorithmE0ELj4294967295EEENS1_25partition_config_selectorILNS1_17partition_subalgoE3EjNS0_10empty_typeEbEEZZNS1_14partition_implILS8_3ELb0ES6_jNS0_17counting_iteratorIjlEEPS9_SE_NS0_5tupleIJPjSE_EEENSF_IJSE_SE_EEES9_SG_JZNS1_25segmented_radix_sort_implINS0_14default_configELb0EPK12hip_bfloat16PSL_PKlPlN2at6native12_GLOBAL__N_18offset_tEEE10hipError_tPvRmT1_PNSt15iterator_traitsISZ_E10value_typeET2_T3_PNS10_IS15_E10value_typeET4_jRbjT5_S1B_jjP12ihipStream_tbEUljE_EEESW_SX_SY_S15_S19_S1B_T6_T7_T9_mT8_S1D_bDpT10_ENKUlT_T0_E_clISt17integral_constantIbLb1EES1Q_EEDaS1L_S1M_EUlS1L_E_NS1_11comp_targetILNS1_3genE10ELNS1_11target_archE1200ELNS1_3gpuE4ELNS1_3repE0EEENS1_30default_config_static_selectorELNS0_4arch9wavefront6targetE0EEEvSZ_.kd
    .uniform_work_group_size: 1
    .uses_dynamic_stack: false
    .vgpr_count:     0
    .vgpr_spill_count: 0
    .wavefront_size: 32
    .workgroup_processor_mode: 1
  - .args:
      - .offset:         0
        .size:           152
        .value_kind:     by_value
    .group_segment_fixed_size: 13324
    .kernarg_segment_align: 8
    .kernarg_segment_size: 152
    .language:       OpenCL C
    .language_version:
      - 2
      - 0
    .max_flat_workgroup_size: 256
    .name:           _ZN7rocprim17ROCPRIM_400000_NS6detail17trampoline_kernelINS0_13select_configILj256ELj13ELNS0_17block_load_methodE3ELS4_3ELS4_3ELNS0_20block_scan_algorithmE0ELj4294967295EEENS1_25partition_config_selectorILNS1_17partition_subalgoE3EjNS0_10empty_typeEbEEZZNS1_14partition_implILS8_3ELb0ES6_jNS0_17counting_iteratorIjlEEPS9_SE_NS0_5tupleIJPjSE_EEENSF_IJSE_SE_EEES9_SG_JZNS1_25segmented_radix_sort_implINS0_14default_configELb0EPK12hip_bfloat16PSL_PKlPlN2at6native12_GLOBAL__N_18offset_tEEE10hipError_tPvRmT1_PNSt15iterator_traitsISZ_E10value_typeET2_T3_PNS10_IS15_E10value_typeET4_jRbjT5_S1B_jjP12ihipStream_tbEUljE_EEESW_SX_SY_S15_S19_S1B_T6_T7_T9_mT8_S1D_bDpT10_ENKUlT_T0_E_clISt17integral_constantIbLb1EES1Q_EEDaS1L_S1M_EUlS1L_E_NS1_11comp_targetILNS1_3genE9ELNS1_11target_archE1100ELNS1_3gpuE3ELNS1_3repE0EEENS1_30default_config_static_selectorELNS0_4arch9wavefront6targetE0EEEvSZ_
    .private_segment_fixed_size: 0
    .sgpr_count:     28
    .sgpr_spill_count: 0
    .symbol:         _ZN7rocprim17ROCPRIM_400000_NS6detail17trampoline_kernelINS0_13select_configILj256ELj13ELNS0_17block_load_methodE3ELS4_3ELS4_3ELNS0_20block_scan_algorithmE0ELj4294967295EEENS1_25partition_config_selectorILNS1_17partition_subalgoE3EjNS0_10empty_typeEbEEZZNS1_14partition_implILS8_3ELb0ES6_jNS0_17counting_iteratorIjlEEPS9_SE_NS0_5tupleIJPjSE_EEENSF_IJSE_SE_EEES9_SG_JZNS1_25segmented_radix_sort_implINS0_14default_configELb0EPK12hip_bfloat16PSL_PKlPlN2at6native12_GLOBAL__N_18offset_tEEE10hipError_tPvRmT1_PNSt15iterator_traitsISZ_E10value_typeET2_T3_PNS10_IS15_E10value_typeET4_jRbjT5_S1B_jjP12ihipStream_tbEUljE_EEESW_SX_SY_S15_S19_S1B_T6_T7_T9_mT8_S1D_bDpT10_ENKUlT_T0_E_clISt17integral_constantIbLb1EES1Q_EEDaS1L_S1M_EUlS1L_E_NS1_11comp_targetILNS1_3genE9ELNS1_11target_archE1100ELNS1_3gpuE3ELNS1_3repE0EEENS1_30default_config_static_selectorELNS0_4arch9wavefront6targetE0EEEvSZ_.kd
    .uniform_work_group_size: 1
    .uses_dynamic_stack: false
    .vgpr_count:     60
    .vgpr_spill_count: 0
    .wavefront_size: 32
    .workgroup_processor_mode: 1
  - .args:
      - .offset:         0
        .size:           152
        .value_kind:     by_value
    .group_segment_fixed_size: 0
    .kernarg_segment_align: 8
    .kernarg_segment_size: 152
    .language:       OpenCL C
    .language_version:
      - 2
      - 0
    .max_flat_workgroup_size: 256
    .name:           _ZN7rocprim17ROCPRIM_400000_NS6detail17trampoline_kernelINS0_13select_configILj256ELj13ELNS0_17block_load_methodE3ELS4_3ELS4_3ELNS0_20block_scan_algorithmE0ELj4294967295EEENS1_25partition_config_selectorILNS1_17partition_subalgoE3EjNS0_10empty_typeEbEEZZNS1_14partition_implILS8_3ELb0ES6_jNS0_17counting_iteratorIjlEEPS9_SE_NS0_5tupleIJPjSE_EEENSF_IJSE_SE_EEES9_SG_JZNS1_25segmented_radix_sort_implINS0_14default_configELb0EPK12hip_bfloat16PSL_PKlPlN2at6native12_GLOBAL__N_18offset_tEEE10hipError_tPvRmT1_PNSt15iterator_traitsISZ_E10value_typeET2_T3_PNS10_IS15_E10value_typeET4_jRbjT5_S1B_jjP12ihipStream_tbEUljE_EEESW_SX_SY_S15_S19_S1B_T6_T7_T9_mT8_S1D_bDpT10_ENKUlT_T0_E_clISt17integral_constantIbLb1EES1Q_EEDaS1L_S1M_EUlS1L_E_NS1_11comp_targetILNS1_3genE8ELNS1_11target_archE1030ELNS1_3gpuE2ELNS1_3repE0EEENS1_30default_config_static_selectorELNS0_4arch9wavefront6targetE0EEEvSZ_
    .private_segment_fixed_size: 0
    .sgpr_count:     0
    .sgpr_spill_count: 0
    .symbol:         _ZN7rocprim17ROCPRIM_400000_NS6detail17trampoline_kernelINS0_13select_configILj256ELj13ELNS0_17block_load_methodE3ELS4_3ELS4_3ELNS0_20block_scan_algorithmE0ELj4294967295EEENS1_25partition_config_selectorILNS1_17partition_subalgoE3EjNS0_10empty_typeEbEEZZNS1_14partition_implILS8_3ELb0ES6_jNS0_17counting_iteratorIjlEEPS9_SE_NS0_5tupleIJPjSE_EEENSF_IJSE_SE_EEES9_SG_JZNS1_25segmented_radix_sort_implINS0_14default_configELb0EPK12hip_bfloat16PSL_PKlPlN2at6native12_GLOBAL__N_18offset_tEEE10hipError_tPvRmT1_PNSt15iterator_traitsISZ_E10value_typeET2_T3_PNS10_IS15_E10value_typeET4_jRbjT5_S1B_jjP12ihipStream_tbEUljE_EEESW_SX_SY_S15_S19_S1B_T6_T7_T9_mT8_S1D_bDpT10_ENKUlT_T0_E_clISt17integral_constantIbLb1EES1Q_EEDaS1L_S1M_EUlS1L_E_NS1_11comp_targetILNS1_3genE8ELNS1_11target_archE1030ELNS1_3gpuE2ELNS1_3repE0EEENS1_30default_config_static_selectorELNS0_4arch9wavefront6targetE0EEEvSZ_.kd
    .uniform_work_group_size: 1
    .uses_dynamic_stack: false
    .vgpr_count:     0
    .vgpr_spill_count: 0
    .wavefront_size: 32
    .workgroup_processor_mode: 1
  - .args:
      - .offset:         0
        .size:           144
        .value_kind:     by_value
    .group_segment_fixed_size: 0
    .kernarg_segment_align: 8
    .kernarg_segment_size: 144
    .language:       OpenCL C
    .language_version:
      - 2
      - 0
    .max_flat_workgroup_size: 256
    .name:           _ZN7rocprim17ROCPRIM_400000_NS6detail17trampoline_kernelINS0_13select_configILj256ELj13ELNS0_17block_load_methodE3ELS4_3ELS4_3ELNS0_20block_scan_algorithmE0ELj4294967295EEENS1_25partition_config_selectorILNS1_17partition_subalgoE3EjNS0_10empty_typeEbEEZZNS1_14partition_implILS8_3ELb0ES6_jNS0_17counting_iteratorIjlEEPS9_SE_NS0_5tupleIJPjSE_EEENSF_IJSE_SE_EEES9_SG_JZNS1_25segmented_radix_sort_implINS0_14default_configELb0EPK12hip_bfloat16PSL_PKlPlN2at6native12_GLOBAL__N_18offset_tEEE10hipError_tPvRmT1_PNSt15iterator_traitsISZ_E10value_typeET2_T3_PNS10_IS15_E10value_typeET4_jRbjT5_S1B_jjP12ihipStream_tbEUljE_EEESW_SX_SY_S15_S19_S1B_T6_T7_T9_mT8_S1D_bDpT10_ENKUlT_T0_E_clISt17integral_constantIbLb1EES1P_IbLb0EEEEDaS1L_S1M_EUlS1L_E_NS1_11comp_targetILNS1_3genE0ELNS1_11target_archE4294967295ELNS1_3gpuE0ELNS1_3repE0EEENS1_30default_config_static_selectorELNS0_4arch9wavefront6targetE0EEEvSZ_
    .private_segment_fixed_size: 0
    .sgpr_count:     0
    .sgpr_spill_count: 0
    .symbol:         _ZN7rocprim17ROCPRIM_400000_NS6detail17trampoline_kernelINS0_13select_configILj256ELj13ELNS0_17block_load_methodE3ELS4_3ELS4_3ELNS0_20block_scan_algorithmE0ELj4294967295EEENS1_25partition_config_selectorILNS1_17partition_subalgoE3EjNS0_10empty_typeEbEEZZNS1_14partition_implILS8_3ELb0ES6_jNS0_17counting_iteratorIjlEEPS9_SE_NS0_5tupleIJPjSE_EEENSF_IJSE_SE_EEES9_SG_JZNS1_25segmented_radix_sort_implINS0_14default_configELb0EPK12hip_bfloat16PSL_PKlPlN2at6native12_GLOBAL__N_18offset_tEEE10hipError_tPvRmT1_PNSt15iterator_traitsISZ_E10value_typeET2_T3_PNS10_IS15_E10value_typeET4_jRbjT5_S1B_jjP12ihipStream_tbEUljE_EEESW_SX_SY_S15_S19_S1B_T6_T7_T9_mT8_S1D_bDpT10_ENKUlT_T0_E_clISt17integral_constantIbLb1EES1P_IbLb0EEEEDaS1L_S1M_EUlS1L_E_NS1_11comp_targetILNS1_3genE0ELNS1_11target_archE4294967295ELNS1_3gpuE0ELNS1_3repE0EEENS1_30default_config_static_selectorELNS0_4arch9wavefront6targetE0EEEvSZ_.kd
    .uniform_work_group_size: 1
    .uses_dynamic_stack: false
    .vgpr_count:     0
    .vgpr_spill_count: 0
    .wavefront_size: 32
    .workgroup_processor_mode: 1
  - .args:
      - .offset:         0
        .size:           144
        .value_kind:     by_value
    .group_segment_fixed_size: 0
    .kernarg_segment_align: 8
    .kernarg_segment_size: 144
    .language:       OpenCL C
    .language_version:
      - 2
      - 0
    .max_flat_workgroup_size: 256
    .name:           _ZN7rocprim17ROCPRIM_400000_NS6detail17trampoline_kernelINS0_13select_configILj256ELj13ELNS0_17block_load_methodE3ELS4_3ELS4_3ELNS0_20block_scan_algorithmE0ELj4294967295EEENS1_25partition_config_selectorILNS1_17partition_subalgoE3EjNS0_10empty_typeEbEEZZNS1_14partition_implILS8_3ELb0ES6_jNS0_17counting_iteratorIjlEEPS9_SE_NS0_5tupleIJPjSE_EEENSF_IJSE_SE_EEES9_SG_JZNS1_25segmented_radix_sort_implINS0_14default_configELb0EPK12hip_bfloat16PSL_PKlPlN2at6native12_GLOBAL__N_18offset_tEEE10hipError_tPvRmT1_PNSt15iterator_traitsISZ_E10value_typeET2_T3_PNS10_IS15_E10value_typeET4_jRbjT5_S1B_jjP12ihipStream_tbEUljE_EEESW_SX_SY_S15_S19_S1B_T6_T7_T9_mT8_S1D_bDpT10_ENKUlT_T0_E_clISt17integral_constantIbLb1EES1P_IbLb0EEEEDaS1L_S1M_EUlS1L_E_NS1_11comp_targetILNS1_3genE5ELNS1_11target_archE942ELNS1_3gpuE9ELNS1_3repE0EEENS1_30default_config_static_selectorELNS0_4arch9wavefront6targetE0EEEvSZ_
    .private_segment_fixed_size: 0
    .sgpr_count:     0
    .sgpr_spill_count: 0
    .symbol:         _ZN7rocprim17ROCPRIM_400000_NS6detail17trampoline_kernelINS0_13select_configILj256ELj13ELNS0_17block_load_methodE3ELS4_3ELS4_3ELNS0_20block_scan_algorithmE0ELj4294967295EEENS1_25partition_config_selectorILNS1_17partition_subalgoE3EjNS0_10empty_typeEbEEZZNS1_14partition_implILS8_3ELb0ES6_jNS0_17counting_iteratorIjlEEPS9_SE_NS0_5tupleIJPjSE_EEENSF_IJSE_SE_EEES9_SG_JZNS1_25segmented_radix_sort_implINS0_14default_configELb0EPK12hip_bfloat16PSL_PKlPlN2at6native12_GLOBAL__N_18offset_tEEE10hipError_tPvRmT1_PNSt15iterator_traitsISZ_E10value_typeET2_T3_PNS10_IS15_E10value_typeET4_jRbjT5_S1B_jjP12ihipStream_tbEUljE_EEESW_SX_SY_S15_S19_S1B_T6_T7_T9_mT8_S1D_bDpT10_ENKUlT_T0_E_clISt17integral_constantIbLb1EES1P_IbLb0EEEEDaS1L_S1M_EUlS1L_E_NS1_11comp_targetILNS1_3genE5ELNS1_11target_archE942ELNS1_3gpuE9ELNS1_3repE0EEENS1_30default_config_static_selectorELNS0_4arch9wavefront6targetE0EEEvSZ_.kd
    .uniform_work_group_size: 1
    .uses_dynamic_stack: false
    .vgpr_count:     0
    .vgpr_spill_count: 0
    .wavefront_size: 32
    .workgroup_processor_mode: 1
  - .args:
      - .offset:         0
        .size:           144
        .value_kind:     by_value
    .group_segment_fixed_size: 0
    .kernarg_segment_align: 8
    .kernarg_segment_size: 144
    .language:       OpenCL C
    .language_version:
      - 2
      - 0
    .max_flat_workgroup_size: 256
    .name:           _ZN7rocprim17ROCPRIM_400000_NS6detail17trampoline_kernelINS0_13select_configILj256ELj13ELNS0_17block_load_methodE3ELS4_3ELS4_3ELNS0_20block_scan_algorithmE0ELj4294967295EEENS1_25partition_config_selectorILNS1_17partition_subalgoE3EjNS0_10empty_typeEbEEZZNS1_14partition_implILS8_3ELb0ES6_jNS0_17counting_iteratorIjlEEPS9_SE_NS0_5tupleIJPjSE_EEENSF_IJSE_SE_EEES9_SG_JZNS1_25segmented_radix_sort_implINS0_14default_configELb0EPK12hip_bfloat16PSL_PKlPlN2at6native12_GLOBAL__N_18offset_tEEE10hipError_tPvRmT1_PNSt15iterator_traitsISZ_E10value_typeET2_T3_PNS10_IS15_E10value_typeET4_jRbjT5_S1B_jjP12ihipStream_tbEUljE_EEESW_SX_SY_S15_S19_S1B_T6_T7_T9_mT8_S1D_bDpT10_ENKUlT_T0_E_clISt17integral_constantIbLb1EES1P_IbLb0EEEEDaS1L_S1M_EUlS1L_E_NS1_11comp_targetILNS1_3genE4ELNS1_11target_archE910ELNS1_3gpuE8ELNS1_3repE0EEENS1_30default_config_static_selectorELNS0_4arch9wavefront6targetE0EEEvSZ_
    .private_segment_fixed_size: 0
    .sgpr_count:     0
    .sgpr_spill_count: 0
    .symbol:         _ZN7rocprim17ROCPRIM_400000_NS6detail17trampoline_kernelINS0_13select_configILj256ELj13ELNS0_17block_load_methodE3ELS4_3ELS4_3ELNS0_20block_scan_algorithmE0ELj4294967295EEENS1_25partition_config_selectorILNS1_17partition_subalgoE3EjNS0_10empty_typeEbEEZZNS1_14partition_implILS8_3ELb0ES6_jNS0_17counting_iteratorIjlEEPS9_SE_NS0_5tupleIJPjSE_EEENSF_IJSE_SE_EEES9_SG_JZNS1_25segmented_radix_sort_implINS0_14default_configELb0EPK12hip_bfloat16PSL_PKlPlN2at6native12_GLOBAL__N_18offset_tEEE10hipError_tPvRmT1_PNSt15iterator_traitsISZ_E10value_typeET2_T3_PNS10_IS15_E10value_typeET4_jRbjT5_S1B_jjP12ihipStream_tbEUljE_EEESW_SX_SY_S15_S19_S1B_T6_T7_T9_mT8_S1D_bDpT10_ENKUlT_T0_E_clISt17integral_constantIbLb1EES1P_IbLb0EEEEDaS1L_S1M_EUlS1L_E_NS1_11comp_targetILNS1_3genE4ELNS1_11target_archE910ELNS1_3gpuE8ELNS1_3repE0EEENS1_30default_config_static_selectorELNS0_4arch9wavefront6targetE0EEEvSZ_.kd
    .uniform_work_group_size: 1
    .uses_dynamic_stack: false
    .vgpr_count:     0
    .vgpr_spill_count: 0
    .wavefront_size: 32
    .workgroup_processor_mode: 1
  - .args:
      - .offset:         0
        .size:           144
        .value_kind:     by_value
    .group_segment_fixed_size: 0
    .kernarg_segment_align: 8
    .kernarg_segment_size: 144
    .language:       OpenCL C
    .language_version:
      - 2
      - 0
    .max_flat_workgroup_size: 256
    .name:           _ZN7rocprim17ROCPRIM_400000_NS6detail17trampoline_kernelINS0_13select_configILj256ELj13ELNS0_17block_load_methodE3ELS4_3ELS4_3ELNS0_20block_scan_algorithmE0ELj4294967295EEENS1_25partition_config_selectorILNS1_17partition_subalgoE3EjNS0_10empty_typeEbEEZZNS1_14partition_implILS8_3ELb0ES6_jNS0_17counting_iteratorIjlEEPS9_SE_NS0_5tupleIJPjSE_EEENSF_IJSE_SE_EEES9_SG_JZNS1_25segmented_radix_sort_implINS0_14default_configELb0EPK12hip_bfloat16PSL_PKlPlN2at6native12_GLOBAL__N_18offset_tEEE10hipError_tPvRmT1_PNSt15iterator_traitsISZ_E10value_typeET2_T3_PNS10_IS15_E10value_typeET4_jRbjT5_S1B_jjP12ihipStream_tbEUljE_EEESW_SX_SY_S15_S19_S1B_T6_T7_T9_mT8_S1D_bDpT10_ENKUlT_T0_E_clISt17integral_constantIbLb1EES1P_IbLb0EEEEDaS1L_S1M_EUlS1L_E_NS1_11comp_targetILNS1_3genE3ELNS1_11target_archE908ELNS1_3gpuE7ELNS1_3repE0EEENS1_30default_config_static_selectorELNS0_4arch9wavefront6targetE0EEEvSZ_
    .private_segment_fixed_size: 0
    .sgpr_count:     0
    .sgpr_spill_count: 0
    .symbol:         _ZN7rocprim17ROCPRIM_400000_NS6detail17trampoline_kernelINS0_13select_configILj256ELj13ELNS0_17block_load_methodE3ELS4_3ELS4_3ELNS0_20block_scan_algorithmE0ELj4294967295EEENS1_25partition_config_selectorILNS1_17partition_subalgoE3EjNS0_10empty_typeEbEEZZNS1_14partition_implILS8_3ELb0ES6_jNS0_17counting_iteratorIjlEEPS9_SE_NS0_5tupleIJPjSE_EEENSF_IJSE_SE_EEES9_SG_JZNS1_25segmented_radix_sort_implINS0_14default_configELb0EPK12hip_bfloat16PSL_PKlPlN2at6native12_GLOBAL__N_18offset_tEEE10hipError_tPvRmT1_PNSt15iterator_traitsISZ_E10value_typeET2_T3_PNS10_IS15_E10value_typeET4_jRbjT5_S1B_jjP12ihipStream_tbEUljE_EEESW_SX_SY_S15_S19_S1B_T6_T7_T9_mT8_S1D_bDpT10_ENKUlT_T0_E_clISt17integral_constantIbLb1EES1P_IbLb0EEEEDaS1L_S1M_EUlS1L_E_NS1_11comp_targetILNS1_3genE3ELNS1_11target_archE908ELNS1_3gpuE7ELNS1_3repE0EEENS1_30default_config_static_selectorELNS0_4arch9wavefront6targetE0EEEvSZ_.kd
    .uniform_work_group_size: 1
    .uses_dynamic_stack: false
    .vgpr_count:     0
    .vgpr_spill_count: 0
    .wavefront_size: 32
    .workgroup_processor_mode: 1
  - .args:
      - .offset:         0
        .size:           144
        .value_kind:     by_value
    .group_segment_fixed_size: 0
    .kernarg_segment_align: 8
    .kernarg_segment_size: 144
    .language:       OpenCL C
    .language_version:
      - 2
      - 0
    .max_flat_workgroup_size: 256
    .name:           _ZN7rocprim17ROCPRIM_400000_NS6detail17trampoline_kernelINS0_13select_configILj256ELj13ELNS0_17block_load_methodE3ELS4_3ELS4_3ELNS0_20block_scan_algorithmE0ELj4294967295EEENS1_25partition_config_selectorILNS1_17partition_subalgoE3EjNS0_10empty_typeEbEEZZNS1_14partition_implILS8_3ELb0ES6_jNS0_17counting_iteratorIjlEEPS9_SE_NS0_5tupleIJPjSE_EEENSF_IJSE_SE_EEES9_SG_JZNS1_25segmented_radix_sort_implINS0_14default_configELb0EPK12hip_bfloat16PSL_PKlPlN2at6native12_GLOBAL__N_18offset_tEEE10hipError_tPvRmT1_PNSt15iterator_traitsISZ_E10value_typeET2_T3_PNS10_IS15_E10value_typeET4_jRbjT5_S1B_jjP12ihipStream_tbEUljE_EEESW_SX_SY_S15_S19_S1B_T6_T7_T9_mT8_S1D_bDpT10_ENKUlT_T0_E_clISt17integral_constantIbLb1EES1P_IbLb0EEEEDaS1L_S1M_EUlS1L_E_NS1_11comp_targetILNS1_3genE2ELNS1_11target_archE906ELNS1_3gpuE6ELNS1_3repE0EEENS1_30default_config_static_selectorELNS0_4arch9wavefront6targetE0EEEvSZ_
    .private_segment_fixed_size: 0
    .sgpr_count:     0
    .sgpr_spill_count: 0
    .symbol:         _ZN7rocprim17ROCPRIM_400000_NS6detail17trampoline_kernelINS0_13select_configILj256ELj13ELNS0_17block_load_methodE3ELS4_3ELS4_3ELNS0_20block_scan_algorithmE0ELj4294967295EEENS1_25partition_config_selectorILNS1_17partition_subalgoE3EjNS0_10empty_typeEbEEZZNS1_14partition_implILS8_3ELb0ES6_jNS0_17counting_iteratorIjlEEPS9_SE_NS0_5tupleIJPjSE_EEENSF_IJSE_SE_EEES9_SG_JZNS1_25segmented_radix_sort_implINS0_14default_configELb0EPK12hip_bfloat16PSL_PKlPlN2at6native12_GLOBAL__N_18offset_tEEE10hipError_tPvRmT1_PNSt15iterator_traitsISZ_E10value_typeET2_T3_PNS10_IS15_E10value_typeET4_jRbjT5_S1B_jjP12ihipStream_tbEUljE_EEESW_SX_SY_S15_S19_S1B_T6_T7_T9_mT8_S1D_bDpT10_ENKUlT_T0_E_clISt17integral_constantIbLb1EES1P_IbLb0EEEEDaS1L_S1M_EUlS1L_E_NS1_11comp_targetILNS1_3genE2ELNS1_11target_archE906ELNS1_3gpuE6ELNS1_3repE0EEENS1_30default_config_static_selectorELNS0_4arch9wavefront6targetE0EEEvSZ_.kd
    .uniform_work_group_size: 1
    .uses_dynamic_stack: false
    .vgpr_count:     0
    .vgpr_spill_count: 0
    .wavefront_size: 32
    .workgroup_processor_mode: 1
  - .args:
      - .offset:         0
        .size:           144
        .value_kind:     by_value
    .group_segment_fixed_size: 0
    .kernarg_segment_align: 8
    .kernarg_segment_size: 144
    .language:       OpenCL C
    .language_version:
      - 2
      - 0
    .max_flat_workgroup_size: 256
    .name:           _ZN7rocprim17ROCPRIM_400000_NS6detail17trampoline_kernelINS0_13select_configILj256ELj13ELNS0_17block_load_methodE3ELS4_3ELS4_3ELNS0_20block_scan_algorithmE0ELj4294967295EEENS1_25partition_config_selectorILNS1_17partition_subalgoE3EjNS0_10empty_typeEbEEZZNS1_14partition_implILS8_3ELb0ES6_jNS0_17counting_iteratorIjlEEPS9_SE_NS0_5tupleIJPjSE_EEENSF_IJSE_SE_EEES9_SG_JZNS1_25segmented_radix_sort_implINS0_14default_configELb0EPK12hip_bfloat16PSL_PKlPlN2at6native12_GLOBAL__N_18offset_tEEE10hipError_tPvRmT1_PNSt15iterator_traitsISZ_E10value_typeET2_T3_PNS10_IS15_E10value_typeET4_jRbjT5_S1B_jjP12ihipStream_tbEUljE_EEESW_SX_SY_S15_S19_S1B_T6_T7_T9_mT8_S1D_bDpT10_ENKUlT_T0_E_clISt17integral_constantIbLb1EES1P_IbLb0EEEEDaS1L_S1M_EUlS1L_E_NS1_11comp_targetILNS1_3genE10ELNS1_11target_archE1200ELNS1_3gpuE4ELNS1_3repE0EEENS1_30default_config_static_selectorELNS0_4arch9wavefront6targetE0EEEvSZ_
    .private_segment_fixed_size: 0
    .sgpr_count:     0
    .sgpr_spill_count: 0
    .symbol:         _ZN7rocprim17ROCPRIM_400000_NS6detail17trampoline_kernelINS0_13select_configILj256ELj13ELNS0_17block_load_methodE3ELS4_3ELS4_3ELNS0_20block_scan_algorithmE0ELj4294967295EEENS1_25partition_config_selectorILNS1_17partition_subalgoE3EjNS0_10empty_typeEbEEZZNS1_14partition_implILS8_3ELb0ES6_jNS0_17counting_iteratorIjlEEPS9_SE_NS0_5tupleIJPjSE_EEENSF_IJSE_SE_EEES9_SG_JZNS1_25segmented_radix_sort_implINS0_14default_configELb0EPK12hip_bfloat16PSL_PKlPlN2at6native12_GLOBAL__N_18offset_tEEE10hipError_tPvRmT1_PNSt15iterator_traitsISZ_E10value_typeET2_T3_PNS10_IS15_E10value_typeET4_jRbjT5_S1B_jjP12ihipStream_tbEUljE_EEESW_SX_SY_S15_S19_S1B_T6_T7_T9_mT8_S1D_bDpT10_ENKUlT_T0_E_clISt17integral_constantIbLb1EES1P_IbLb0EEEEDaS1L_S1M_EUlS1L_E_NS1_11comp_targetILNS1_3genE10ELNS1_11target_archE1200ELNS1_3gpuE4ELNS1_3repE0EEENS1_30default_config_static_selectorELNS0_4arch9wavefront6targetE0EEEvSZ_.kd
    .uniform_work_group_size: 1
    .uses_dynamic_stack: false
    .vgpr_count:     0
    .vgpr_spill_count: 0
    .wavefront_size: 32
    .workgroup_processor_mode: 1
  - .args:
      - .offset:         0
        .size:           144
        .value_kind:     by_value
    .group_segment_fixed_size: 13324
    .kernarg_segment_align: 8
    .kernarg_segment_size: 144
    .language:       OpenCL C
    .language_version:
      - 2
      - 0
    .max_flat_workgroup_size: 256
    .name:           _ZN7rocprim17ROCPRIM_400000_NS6detail17trampoline_kernelINS0_13select_configILj256ELj13ELNS0_17block_load_methodE3ELS4_3ELS4_3ELNS0_20block_scan_algorithmE0ELj4294967295EEENS1_25partition_config_selectorILNS1_17partition_subalgoE3EjNS0_10empty_typeEbEEZZNS1_14partition_implILS8_3ELb0ES6_jNS0_17counting_iteratorIjlEEPS9_SE_NS0_5tupleIJPjSE_EEENSF_IJSE_SE_EEES9_SG_JZNS1_25segmented_radix_sort_implINS0_14default_configELb0EPK12hip_bfloat16PSL_PKlPlN2at6native12_GLOBAL__N_18offset_tEEE10hipError_tPvRmT1_PNSt15iterator_traitsISZ_E10value_typeET2_T3_PNS10_IS15_E10value_typeET4_jRbjT5_S1B_jjP12ihipStream_tbEUljE_EEESW_SX_SY_S15_S19_S1B_T6_T7_T9_mT8_S1D_bDpT10_ENKUlT_T0_E_clISt17integral_constantIbLb1EES1P_IbLb0EEEEDaS1L_S1M_EUlS1L_E_NS1_11comp_targetILNS1_3genE9ELNS1_11target_archE1100ELNS1_3gpuE3ELNS1_3repE0EEENS1_30default_config_static_selectorELNS0_4arch9wavefront6targetE0EEEvSZ_
    .private_segment_fixed_size: 0
    .sgpr_count:     30
    .sgpr_spill_count: 0
    .symbol:         _ZN7rocprim17ROCPRIM_400000_NS6detail17trampoline_kernelINS0_13select_configILj256ELj13ELNS0_17block_load_methodE3ELS4_3ELS4_3ELNS0_20block_scan_algorithmE0ELj4294967295EEENS1_25partition_config_selectorILNS1_17partition_subalgoE3EjNS0_10empty_typeEbEEZZNS1_14partition_implILS8_3ELb0ES6_jNS0_17counting_iteratorIjlEEPS9_SE_NS0_5tupleIJPjSE_EEENSF_IJSE_SE_EEES9_SG_JZNS1_25segmented_radix_sort_implINS0_14default_configELb0EPK12hip_bfloat16PSL_PKlPlN2at6native12_GLOBAL__N_18offset_tEEE10hipError_tPvRmT1_PNSt15iterator_traitsISZ_E10value_typeET2_T3_PNS10_IS15_E10value_typeET4_jRbjT5_S1B_jjP12ihipStream_tbEUljE_EEESW_SX_SY_S15_S19_S1B_T6_T7_T9_mT8_S1D_bDpT10_ENKUlT_T0_E_clISt17integral_constantIbLb1EES1P_IbLb0EEEEDaS1L_S1M_EUlS1L_E_NS1_11comp_targetILNS1_3genE9ELNS1_11target_archE1100ELNS1_3gpuE3ELNS1_3repE0EEENS1_30default_config_static_selectorELNS0_4arch9wavefront6targetE0EEEvSZ_.kd
    .uniform_work_group_size: 1
    .uses_dynamic_stack: false
    .vgpr_count:     57
    .vgpr_spill_count: 0
    .wavefront_size: 32
    .workgroup_processor_mode: 1
  - .args:
      - .offset:         0
        .size:           144
        .value_kind:     by_value
    .group_segment_fixed_size: 0
    .kernarg_segment_align: 8
    .kernarg_segment_size: 144
    .language:       OpenCL C
    .language_version:
      - 2
      - 0
    .max_flat_workgroup_size: 256
    .name:           _ZN7rocprim17ROCPRIM_400000_NS6detail17trampoline_kernelINS0_13select_configILj256ELj13ELNS0_17block_load_methodE3ELS4_3ELS4_3ELNS0_20block_scan_algorithmE0ELj4294967295EEENS1_25partition_config_selectorILNS1_17partition_subalgoE3EjNS0_10empty_typeEbEEZZNS1_14partition_implILS8_3ELb0ES6_jNS0_17counting_iteratorIjlEEPS9_SE_NS0_5tupleIJPjSE_EEENSF_IJSE_SE_EEES9_SG_JZNS1_25segmented_radix_sort_implINS0_14default_configELb0EPK12hip_bfloat16PSL_PKlPlN2at6native12_GLOBAL__N_18offset_tEEE10hipError_tPvRmT1_PNSt15iterator_traitsISZ_E10value_typeET2_T3_PNS10_IS15_E10value_typeET4_jRbjT5_S1B_jjP12ihipStream_tbEUljE_EEESW_SX_SY_S15_S19_S1B_T6_T7_T9_mT8_S1D_bDpT10_ENKUlT_T0_E_clISt17integral_constantIbLb1EES1P_IbLb0EEEEDaS1L_S1M_EUlS1L_E_NS1_11comp_targetILNS1_3genE8ELNS1_11target_archE1030ELNS1_3gpuE2ELNS1_3repE0EEENS1_30default_config_static_selectorELNS0_4arch9wavefront6targetE0EEEvSZ_
    .private_segment_fixed_size: 0
    .sgpr_count:     0
    .sgpr_spill_count: 0
    .symbol:         _ZN7rocprim17ROCPRIM_400000_NS6detail17trampoline_kernelINS0_13select_configILj256ELj13ELNS0_17block_load_methodE3ELS4_3ELS4_3ELNS0_20block_scan_algorithmE0ELj4294967295EEENS1_25partition_config_selectorILNS1_17partition_subalgoE3EjNS0_10empty_typeEbEEZZNS1_14partition_implILS8_3ELb0ES6_jNS0_17counting_iteratorIjlEEPS9_SE_NS0_5tupleIJPjSE_EEENSF_IJSE_SE_EEES9_SG_JZNS1_25segmented_radix_sort_implINS0_14default_configELb0EPK12hip_bfloat16PSL_PKlPlN2at6native12_GLOBAL__N_18offset_tEEE10hipError_tPvRmT1_PNSt15iterator_traitsISZ_E10value_typeET2_T3_PNS10_IS15_E10value_typeET4_jRbjT5_S1B_jjP12ihipStream_tbEUljE_EEESW_SX_SY_S15_S19_S1B_T6_T7_T9_mT8_S1D_bDpT10_ENKUlT_T0_E_clISt17integral_constantIbLb1EES1P_IbLb0EEEEDaS1L_S1M_EUlS1L_E_NS1_11comp_targetILNS1_3genE8ELNS1_11target_archE1030ELNS1_3gpuE2ELNS1_3repE0EEENS1_30default_config_static_selectorELNS0_4arch9wavefront6targetE0EEEvSZ_.kd
    .uniform_work_group_size: 1
    .uses_dynamic_stack: false
    .vgpr_count:     0
    .vgpr_spill_count: 0
    .wavefront_size: 32
    .workgroup_processor_mode: 1
  - .args:
      - .offset:         0
        .size:           152
        .value_kind:     by_value
    .group_segment_fixed_size: 0
    .kernarg_segment_align: 8
    .kernarg_segment_size: 152
    .language:       OpenCL C
    .language_version:
      - 2
      - 0
    .max_flat_workgroup_size: 256
    .name:           _ZN7rocprim17ROCPRIM_400000_NS6detail17trampoline_kernelINS0_13select_configILj256ELj13ELNS0_17block_load_methodE3ELS4_3ELS4_3ELNS0_20block_scan_algorithmE0ELj4294967295EEENS1_25partition_config_selectorILNS1_17partition_subalgoE3EjNS0_10empty_typeEbEEZZNS1_14partition_implILS8_3ELb0ES6_jNS0_17counting_iteratorIjlEEPS9_SE_NS0_5tupleIJPjSE_EEENSF_IJSE_SE_EEES9_SG_JZNS1_25segmented_radix_sort_implINS0_14default_configELb0EPK12hip_bfloat16PSL_PKlPlN2at6native12_GLOBAL__N_18offset_tEEE10hipError_tPvRmT1_PNSt15iterator_traitsISZ_E10value_typeET2_T3_PNS10_IS15_E10value_typeET4_jRbjT5_S1B_jjP12ihipStream_tbEUljE_EEESW_SX_SY_S15_S19_S1B_T6_T7_T9_mT8_S1D_bDpT10_ENKUlT_T0_E_clISt17integral_constantIbLb0EES1P_IbLb1EEEEDaS1L_S1M_EUlS1L_E_NS1_11comp_targetILNS1_3genE0ELNS1_11target_archE4294967295ELNS1_3gpuE0ELNS1_3repE0EEENS1_30default_config_static_selectorELNS0_4arch9wavefront6targetE0EEEvSZ_
    .private_segment_fixed_size: 0
    .sgpr_count:     0
    .sgpr_spill_count: 0
    .symbol:         _ZN7rocprim17ROCPRIM_400000_NS6detail17trampoline_kernelINS0_13select_configILj256ELj13ELNS0_17block_load_methodE3ELS4_3ELS4_3ELNS0_20block_scan_algorithmE0ELj4294967295EEENS1_25partition_config_selectorILNS1_17partition_subalgoE3EjNS0_10empty_typeEbEEZZNS1_14partition_implILS8_3ELb0ES6_jNS0_17counting_iteratorIjlEEPS9_SE_NS0_5tupleIJPjSE_EEENSF_IJSE_SE_EEES9_SG_JZNS1_25segmented_radix_sort_implINS0_14default_configELb0EPK12hip_bfloat16PSL_PKlPlN2at6native12_GLOBAL__N_18offset_tEEE10hipError_tPvRmT1_PNSt15iterator_traitsISZ_E10value_typeET2_T3_PNS10_IS15_E10value_typeET4_jRbjT5_S1B_jjP12ihipStream_tbEUljE_EEESW_SX_SY_S15_S19_S1B_T6_T7_T9_mT8_S1D_bDpT10_ENKUlT_T0_E_clISt17integral_constantIbLb0EES1P_IbLb1EEEEDaS1L_S1M_EUlS1L_E_NS1_11comp_targetILNS1_3genE0ELNS1_11target_archE4294967295ELNS1_3gpuE0ELNS1_3repE0EEENS1_30default_config_static_selectorELNS0_4arch9wavefront6targetE0EEEvSZ_.kd
    .uniform_work_group_size: 1
    .uses_dynamic_stack: false
    .vgpr_count:     0
    .vgpr_spill_count: 0
    .wavefront_size: 32
    .workgroup_processor_mode: 1
  - .args:
      - .offset:         0
        .size:           152
        .value_kind:     by_value
    .group_segment_fixed_size: 0
    .kernarg_segment_align: 8
    .kernarg_segment_size: 152
    .language:       OpenCL C
    .language_version:
      - 2
      - 0
    .max_flat_workgroup_size: 256
    .name:           _ZN7rocprim17ROCPRIM_400000_NS6detail17trampoline_kernelINS0_13select_configILj256ELj13ELNS0_17block_load_methodE3ELS4_3ELS4_3ELNS0_20block_scan_algorithmE0ELj4294967295EEENS1_25partition_config_selectorILNS1_17partition_subalgoE3EjNS0_10empty_typeEbEEZZNS1_14partition_implILS8_3ELb0ES6_jNS0_17counting_iteratorIjlEEPS9_SE_NS0_5tupleIJPjSE_EEENSF_IJSE_SE_EEES9_SG_JZNS1_25segmented_radix_sort_implINS0_14default_configELb0EPK12hip_bfloat16PSL_PKlPlN2at6native12_GLOBAL__N_18offset_tEEE10hipError_tPvRmT1_PNSt15iterator_traitsISZ_E10value_typeET2_T3_PNS10_IS15_E10value_typeET4_jRbjT5_S1B_jjP12ihipStream_tbEUljE_EEESW_SX_SY_S15_S19_S1B_T6_T7_T9_mT8_S1D_bDpT10_ENKUlT_T0_E_clISt17integral_constantIbLb0EES1P_IbLb1EEEEDaS1L_S1M_EUlS1L_E_NS1_11comp_targetILNS1_3genE5ELNS1_11target_archE942ELNS1_3gpuE9ELNS1_3repE0EEENS1_30default_config_static_selectorELNS0_4arch9wavefront6targetE0EEEvSZ_
    .private_segment_fixed_size: 0
    .sgpr_count:     0
    .sgpr_spill_count: 0
    .symbol:         _ZN7rocprim17ROCPRIM_400000_NS6detail17trampoline_kernelINS0_13select_configILj256ELj13ELNS0_17block_load_methodE3ELS4_3ELS4_3ELNS0_20block_scan_algorithmE0ELj4294967295EEENS1_25partition_config_selectorILNS1_17partition_subalgoE3EjNS0_10empty_typeEbEEZZNS1_14partition_implILS8_3ELb0ES6_jNS0_17counting_iteratorIjlEEPS9_SE_NS0_5tupleIJPjSE_EEENSF_IJSE_SE_EEES9_SG_JZNS1_25segmented_radix_sort_implINS0_14default_configELb0EPK12hip_bfloat16PSL_PKlPlN2at6native12_GLOBAL__N_18offset_tEEE10hipError_tPvRmT1_PNSt15iterator_traitsISZ_E10value_typeET2_T3_PNS10_IS15_E10value_typeET4_jRbjT5_S1B_jjP12ihipStream_tbEUljE_EEESW_SX_SY_S15_S19_S1B_T6_T7_T9_mT8_S1D_bDpT10_ENKUlT_T0_E_clISt17integral_constantIbLb0EES1P_IbLb1EEEEDaS1L_S1M_EUlS1L_E_NS1_11comp_targetILNS1_3genE5ELNS1_11target_archE942ELNS1_3gpuE9ELNS1_3repE0EEENS1_30default_config_static_selectorELNS0_4arch9wavefront6targetE0EEEvSZ_.kd
    .uniform_work_group_size: 1
    .uses_dynamic_stack: false
    .vgpr_count:     0
    .vgpr_spill_count: 0
    .wavefront_size: 32
    .workgroup_processor_mode: 1
  - .args:
      - .offset:         0
        .size:           152
        .value_kind:     by_value
    .group_segment_fixed_size: 0
    .kernarg_segment_align: 8
    .kernarg_segment_size: 152
    .language:       OpenCL C
    .language_version:
      - 2
      - 0
    .max_flat_workgroup_size: 256
    .name:           _ZN7rocprim17ROCPRIM_400000_NS6detail17trampoline_kernelINS0_13select_configILj256ELj13ELNS0_17block_load_methodE3ELS4_3ELS4_3ELNS0_20block_scan_algorithmE0ELj4294967295EEENS1_25partition_config_selectorILNS1_17partition_subalgoE3EjNS0_10empty_typeEbEEZZNS1_14partition_implILS8_3ELb0ES6_jNS0_17counting_iteratorIjlEEPS9_SE_NS0_5tupleIJPjSE_EEENSF_IJSE_SE_EEES9_SG_JZNS1_25segmented_radix_sort_implINS0_14default_configELb0EPK12hip_bfloat16PSL_PKlPlN2at6native12_GLOBAL__N_18offset_tEEE10hipError_tPvRmT1_PNSt15iterator_traitsISZ_E10value_typeET2_T3_PNS10_IS15_E10value_typeET4_jRbjT5_S1B_jjP12ihipStream_tbEUljE_EEESW_SX_SY_S15_S19_S1B_T6_T7_T9_mT8_S1D_bDpT10_ENKUlT_T0_E_clISt17integral_constantIbLb0EES1P_IbLb1EEEEDaS1L_S1M_EUlS1L_E_NS1_11comp_targetILNS1_3genE4ELNS1_11target_archE910ELNS1_3gpuE8ELNS1_3repE0EEENS1_30default_config_static_selectorELNS0_4arch9wavefront6targetE0EEEvSZ_
    .private_segment_fixed_size: 0
    .sgpr_count:     0
    .sgpr_spill_count: 0
    .symbol:         _ZN7rocprim17ROCPRIM_400000_NS6detail17trampoline_kernelINS0_13select_configILj256ELj13ELNS0_17block_load_methodE3ELS4_3ELS4_3ELNS0_20block_scan_algorithmE0ELj4294967295EEENS1_25partition_config_selectorILNS1_17partition_subalgoE3EjNS0_10empty_typeEbEEZZNS1_14partition_implILS8_3ELb0ES6_jNS0_17counting_iteratorIjlEEPS9_SE_NS0_5tupleIJPjSE_EEENSF_IJSE_SE_EEES9_SG_JZNS1_25segmented_radix_sort_implINS0_14default_configELb0EPK12hip_bfloat16PSL_PKlPlN2at6native12_GLOBAL__N_18offset_tEEE10hipError_tPvRmT1_PNSt15iterator_traitsISZ_E10value_typeET2_T3_PNS10_IS15_E10value_typeET4_jRbjT5_S1B_jjP12ihipStream_tbEUljE_EEESW_SX_SY_S15_S19_S1B_T6_T7_T9_mT8_S1D_bDpT10_ENKUlT_T0_E_clISt17integral_constantIbLb0EES1P_IbLb1EEEEDaS1L_S1M_EUlS1L_E_NS1_11comp_targetILNS1_3genE4ELNS1_11target_archE910ELNS1_3gpuE8ELNS1_3repE0EEENS1_30default_config_static_selectorELNS0_4arch9wavefront6targetE0EEEvSZ_.kd
    .uniform_work_group_size: 1
    .uses_dynamic_stack: false
    .vgpr_count:     0
    .vgpr_spill_count: 0
    .wavefront_size: 32
    .workgroup_processor_mode: 1
  - .args:
      - .offset:         0
        .size:           152
        .value_kind:     by_value
    .group_segment_fixed_size: 0
    .kernarg_segment_align: 8
    .kernarg_segment_size: 152
    .language:       OpenCL C
    .language_version:
      - 2
      - 0
    .max_flat_workgroup_size: 256
    .name:           _ZN7rocprim17ROCPRIM_400000_NS6detail17trampoline_kernelINS0_13select_configILj256ELj13ELNS0_17block_load_methodE3ELS4_3ELS4_3ELNS0_20block_scan_algorithmE0ELj4294967295EEENS1_25partition_config_selectorILNS1_17partition_subalgoE3EjNS0_10empty_typeEbEEZZNS1_14partition_implILS8_3ELb0ES6_jNS0_17counting_iteratorIjlEEPS9_SE_NS0_5tupleIJPjSE_EEENSF_IJSE_SE_EEES9_SG_JZNS1_25segmented_radix_sort_implINS0_14default_configELb0EPK12hip_bfloat16PSL_PKlPlN2at6native12_GLOBAL__N_18offset_tEEE10hipError_tPvRmT1_PNSt15iterator_traitsISZ_E10value_typeET2_T3_PNS10_IS15_E10value_typeET4_jRbjT5_S1B_jjP12ihipStream_tbEUljE_EEESW_SX_SY_S15_S19_S1B_T6_T7_T9_mT8_S1D_bDpT10_ENKUlT_T0_E_clISt17integral_constantIbLb0EES1P_IbLb1EEEEDaS1L_S1M_EUlS1L_E_NS1_11comp_targetILNS1_3genE3ELNS1_11target_archE908ELNS1_3gpuE7ELNS1_3repE0EEENS1_30default_config_static_selectorELNS0_4arch9wavefront6targetE0EEEvSZ_
    .private_segment_fixed_size: 0
    .sgpr_count:     0
    .sgpr_spill_count: 0
    .symbol:         _ZN7rocprim17ROCPRIM_400000_NS6detail17trampoline_kernelINS0_13select_configILj256ELj13ELNS0_17block_load_methodE3ELS4_3ELS4_3ELNS0_20block_scan_algorithmE0ELj4294967295EEENS1_25partition_config_selectorILNS1_17partition_subalgoE3EjNS0_10empty_typeEbEEZZNS1_14partition_implILS8_3ELb0ES6_jNS0_17counting_iteratorIjlEEPS9_SE_NS0_5tupleIJPjSE_EEENSF_IJSE_SE_EEES9_SG_JZNS1_25segmented_radix_sort_implINS0_14default_configELb0EPK12hip_bfloat16PSL_PKlPlN2at6native12_GLOBAL__N_18offset_tEEE10hipError_tPvRmT1_PNSt15iterator_traitsISZ_E10value_typeET2_T3_PNS10_IS15_E10value_typeET4_jRbjT5_S1B_jjP12ihipStream_tbEUljE_EEESW_SX_SY_S15_S19_S1B_T6_T7_T9_mT8_S1D_bDpT10_ENKUlT_T0_E_clISt17integral_constantIbLb0EES1P_IbLb1EEEEDaS1L_S1M_EUlS1L_E_NS1_11comp_targetILNS1_3genE3ELNS1_11target_archE908ELNS1_3gpuE7ELNS1_3repE0EEENS1_30default_config_static_selectorELNS0_4arch9wavefront6targetE0EEEvSZ_.kd
    .uniform_work_group_size: 1
    .uses_dynamic_stack: false
    .vgpr_count:     0
    .vgpr_spill_count: 0
    .wavefront_size: 32
    .workgroup_processor_mode: 1
  - .args:
      - .offset:         0
        .size:           152
        .value_kind:     by_value
    .group_segment_fixed_size: 0
    .kernarg_segment_align: 8
    .kernarg_segment_size: 152
    .language:       OpenCL C
    .language_version:
      - 2
      - 0
    .max_flat_workgroup_size: 256
    .name:           _ZN7rocprim17ROCPRIM_400000_NS6detail17trampoline_kernelINS0_13select_configILj256ELj13ELNS0_17block_load_methodE3ELS4_3ELS4_3ELNS0_20block_scan_algorithmE0ELj4294967295EEENS1_25partition_config_selectorILNS1_17partition_subalgoE3EjNS0_10empty_typeEbEEZZNS1_14partition_implILS8_3ELb0ES6_jNS0_17counting_iteratorIjlEEPS9_SE_NS0_5tupleIJPjSE_EEENSF_IJSE_SE_EEES9_SG_JZNS1_25segmented_radix_sort_implINS0_14default_configELb0EPK12hip_bfloat16PSL_PKlPlN2at6native12_GLOBAL__N_18offset_tEEE10hipError_tPvRmT1_PNSt15iterator_traitsISZ_E10value_typeET2_T3_PNS10_IS15_E10value_typeET4_jRbjT5_S1B_jjP12ihipStream_tbEUljE_EEESW_SX_SY_S15_S19_S1B_T6_T7_T9_mT8_S1D_bDpT10_ENKUlT_T0_E_clISt17integral_constantIbLb0EES1P_IbLb1EEEEDaS1L_S1M_EUlS1L_E_NS1_11comp_targetILNS1_3genE2ELNS1_11target_archE906ELNS1_3gpuE6ELNS1_3repE0EEENS1_30default_config_static_selectorELNS0_4arch9wavefront6targetE0EEEvSZ_
    .private_segment_fixed_size: 0
    .sgpr_count:     0
    .sgpr_spill_count: 0
    .symbol:         _ZN7rocprim17ROCPRIM_400000_NS6detail17trampoline_kernelINS0_13select_configILj256ELj13ELNS0_17block_load_methodE3ELS4_3ELS4_3ELNS0_20block_scan_algorithmE0ELj4294967295EEENS1_25partition_config_selectorILNS1_17partition_subalgoE3EjNS0_10empty_typeEbEEZZNS1_14partition_implILS8_3ELb0ES6_jNS0_17counting_iteratorIjlEEPS9_SE_NS0_5tupleIJPjSE_EEENSF_IJSE_SE_EEES9_SG_JZNS1_25segmented_radix_sort_implINS0_14default_configELb0EPK12hip_bfloat16PSL_PKlPlN2at6native12_GLOBAL__N_18offset_tEEE10hipError_tPvRmT1_PNSt15iterator_traitsISZ_E10value_typeET2_T3_PNS10_IS15_E10value_typeET4_jRbjT5_S1B_jjP12ihipStream_tbEUljE_EEESW_SX_SY_S15_S19_S1B_T6_T7_T9_mT8_S1D_bDpT10_ENKUlT_T0_E_clISt17integral_constantIbLb0EES1P_IbLb1EEEEDaS1L_S1M_EUlS1L_E_NS1_11comp_targetILNS1_3genE2ELNS1_11target_archE906ELNS1_3gpuE6ELNS1_3repE0EEENS1_30default_config_static_selectorELNS0_4arch9wavefront6targetE0EEEvSZ_.kd
    .uniform_work_group_size: 1
    .uses_dynamic_stack: false
    .vgpr_count:     0
    .vgpr_spill_count: 0
    .wavefront_size: 32
    .workgroup_processor_mode: 1
  - .args:
      - .offset:         0
        .size:           152
        .value_kind:     by_value
    .group_segment_fixed_size: 0
    .kernarg_segment_align: 8
    .kernarg_segment_size: 152
    .language:       OpenCL C
    .language_version:
      - 2
      - 0
    .max_flat_workgroup_size: 256
    .name:           _ZN7rocprim17ROCPRIM_400000_NS6detail17trampoline_kernelINS0_13select_configILj256ELj13ELNS0_17block_load_methodE3ELS4_3ELS4_3ELNS0_20block_scan_algorithmE0ELj4294967295EEENS1_25partition_config_selectorILNS1_17partition_subalgoE3EjNS0_10empty_typeEbEEZZNS1_14partition_implILS8_3ELb0ES6_jNS0_17counting_iteratorIjlEEPS9_SE_NS0_5tupleIJPjSE_EEENSF_IJSE_SE_EEES9_SG_JZNS1_25segmented_radix_sort_implINS0_14default_configELb0EPK12hip_bfloat16PSL_PKlPlN2at6native12_GLOBAL__N_18offset_tEEE10hipError_tPvRmT1_PNSt15iterator_traitsISZ_E10value_typeET2_T3_PNS10_IS15_E10value_typeET4_jRbjT5_S1B_jjP12ihipStream_tbEUljE_EEESW_SX_SY_S15_S19_S1B_T6_T7_T9_mT8_S1D_bDpT10_ENKUlT_T0_E_clISt17integral_constantIbLb0EES1P_IbLb1EEEEDaS1L_S1M_EUlS1L_E_NS1_11comp_targetILNS1_3genE10ELNS1_11target_archE1200ELNS1_3gpuE4ELNS1_3repE0EEENS1_30default_config_static_selectorELNS0_4arch9wavefront6targetE0EEEvSZ_
    .private_segment_fixed_size: 0
    .sgpr_count:     0
    .sgpr_spill_count: 0
    .symbol:         _ZN7rocprim17ROCPRIM_400000_NS6detail17trampoline_kernelINS0_13select_configILj256ELj13ELNS0_17block_load_methodE3ELS4_3ELS4_3ELNS0_20block_scan_algorithmE0ELj4294967295EEENS1_25partition_config_selectorILNS1_17partition_subalgoE3EjNS0_10empty_typeEbEEZZNS1_14partition_implILS8_3ELb0ES6_jNS0_17counting_iteratorIjlEEPS9_SE_NS0_5tupleIJPjSE_EEENSF_IJSE_SE_EEES9_SG_JZNS1_25segmented_radix_sort_implINS0_14default_configELb0EPK12hip_bfloat16PSL_PKlPlN2at6native12_GLOBAL__N_18offset_tEEE10hipError_tPvRmT1_PNSt15iterator_traitsISZ_E10value_typeET2_T3_PNS10_IS15_E10value_typeET4_jRbjT5_S1B_jjP12ihipStream_tbEUljE_EEESW_SX_SY_S15_S19_S1B_T6_T7_T9_mT8_S1D_bDpT10_ENKUlT_T0_E_clISt17integral_constantIbLb0EES1P_IbLb1EEEEDaS1L_S1M_EUlS1L_E_NS1_11comp_targetILNS1_3genE10ELNS1_11target_archE1200ELNS1_3gpuE4ELNS1_3repE0EEENS1_30default_config_static_selectorELNS0_4arch9wavefront6targetE0EEEvSZ_.kd
    .uniform_work_group_size: 1
    .uses_dynamic_stack: false
    .vgpr_count:     0
    .vgpr_spill_count: 0
    .wavefront_size: 32
    .workgroup_processor_mode: 1
  - .args:
      - .offset:         0
        .size:           152
        .value_kind:     by_value
    .group_segment_fixed_size: 13324
    .kernarg_segment_align: 8
    .kernarg_segment_size: 152
    .language:       OpenCL C
    .language_version:
      - 2
      - 0
    .max_flat_workgroup_size: 256
    .name:           _ZN7rocprim17ROCPRIM_400000_NS6detail17trampoline_kernelINS0_13select_configILj256ELj13ELNS0_17block_load_methodE3ELS4_3ELS4_3ELNS0_20block_scan_algorithmE0ELj4294967295EEENS1_25partition_config_selectorILNS1_17partition_subalgoE3EjNS0_10empty_typeEbEEZZNS1_14partition_implILS8_3ELb0ES6_jNS0_17counting_iteratorIjlEEPS9_SE_NS0_5tupleIJPjSE_EEENSF_IJSE_SE_EEES9_SG_JZNS1_25segmented_radix_sort_implINS0_14default_configELb0EPK12hip_bfloat16PSL_PKlPlN2at6native12_GLOBAL__N_18offset_tEEE10hipError_tPvRmT1_PNSt15iterator_traitsISZ_E10value_typeET2_T3_PNS10_IS15_E10value_typeET4_jRbjT5_S1B_jjP12ihipStream_tbEUljE_EEESW_SX_SY_S15_S19_S1B_T6_T7_T9_mT8_S1D_bDpT10_ENKUlT_T0_E_clISt17integral_constantIbLb0EES1P_IbLb1EEEEDaS1L_S1M_EUlS1L_E_NS1_11comp_targetILNS1_3genE9ELNS1_11target_archE1100ELNS1_3gpuE3ELNS1_3repE0EEENS1_30default_config_static_selectorELNS0_4arch9wavefront6targetE0EEEvSZ_
    .private_segment_fixed_size: 0
    .sgpr_count:     28
    .sgpr_spill_count: 0
    .symbol:         _ZN7rocprim17ROCPRIM_400000_NS6detail17trampoline_kernelINS0_13select_configILj256ELj13ELNS0_17block_load_methodE3ELS4_3ELS4_3ELNS0_20block_scan_algorithmE0ELj4294967295EEENS1_25partition_config_selectorILNS1_17partition_subalgoE3EjNS0_10empty_typeEbEEZZNS1_14partition_implILS8_3ELb0ES6_jNS0_17counting_iteratorIjlEEPS9_SE_NS0_5tupleIJPjSE_EEENSF_IJSE_SE_EEES9_SG_JZNS1_25segmented_radix_sort_implINS0_14default_configELb0EPK12hip_bfloat16PSL_PKlPlN2at6native12_GLOBAL__N_18offset_tEEE10hipError_tPvRmT1_PNSt15iterator_traitsISZ_E10value_typeET2_T3_PNS10_IS15_E10value_typeET4_jRbjT5_S1B_jjP12ihipStream_tbEUljE_EEESW_SX_SY_S15_S19_S1B_T6_T7_T9_mT8_S1D_bDpT10_ENKUlT_T0_E_clISt17integral_constantIbLb0EES1P_IbLb1EEEEDaS1L_S1M_EUlS1L_E_NS1_11comp_targetILNS1_3genE9ELNS1_11target_archE1100ELNS1_3gpuE3ELNS1_3repE0EEENS1_30default_config_static_selectorELNS0_4arch9wavefront6targetE0EEEvSZ_.kd
    .uniform_work_group_size: 1
    .uses_dynamic_stack: false
    .vgpr_count:     60
    .vgpr_spill_count: 0
    .wavefront_size: 32
    .workgroup_processor_mode: 1
  - .args:
      - .offset:         0
        .size:           152
        .value_kind:     by_value
    .group_segment_fixed_size: 0
    .kernarg_segment_align: 8
    .kernarg_segment_size: 152
    .language:       OpenCL C
    .language_version:
      - 2
      - 0
    .max_flat_workgroup_size: 256
    .name:           _ZN7rocprim17ROCPRIM_400000_NS6detail17trampoline_kernelINS0_13select_configILj256ELj13ELNS0_17block_load_methodE3ELS4_3ELS4_3ELNS0_20block_scan_algorithmE0ELj4294967295EEENS1_25partition_config_selectorILNS1_17partition_subalgoE3EjNS0_10empty_typeEbEEZZNS1_14partition_implILS8_3ELb0ES6_jNS0_17counting_iteratorIjlEEPS9_SE_NS0_5tupleIJPjSE_EEENSF_IJSE_SE_EEES9_SG_JZNS1_25segmented_radix_sort_implINS0_14default_configELb0EPK12hip_bfloat16PSL_PKlPlN2at6native12_GLOBAL__N_18offset_tEEE10hipError_tPvRmT1_PNSt15iterator_traitsISZ_E10value_typeET2_T3_PNS10_IS15_E10value_typeET4_jRbjT5_S1B_jjP12ihipStream_tbEUljE_EEESW_SX_SY_S15_S19_S1B_T6_T7_T9_mT8_S1D_bDpT10_ENKUlT_T0_E_clISt17integral_constantIbLb0EES1P_IbLb1EEEEDaS1L_S1M_EUlS1L_E_NS1_11comp_targetILNS1_3genE8ELNS1_11target_archE1030ELNS1_3gpuE2ELNS1_3repE0EEENS1_30default_config_static_selectorELNS0_4arch9wavefront6targetE0EEEvSZ_
    .private_segment_fixed_size: 0
    .sgpr_count:     0
    .sgpr_spill_count: 0
    .symbol:         _ZN7rocprim17ROCPRIM_400000_NS6detail17trampoline_kernelINS0_13select_configILj256ELj13ELNS0_17block_load_methodE3ELS4_3ELS4_3ELNS0_20block_scan_algorithmE0ELj4294967295EEENS1_25partition_config_selectorILNS1_17partition_subalgoE3EjNS0_10empty_typeEbEEZZNS1_14partition_implILS8_3ELb0ES6_jNS0_17counting_iteratorIjlEEPS9_SE_NS0_5tupleIJPjSE_EEENSF_IJSE_SE_EEES9_SG_JZNS1_25segmented_radix_sort_implINS0_14default_configELb0EPK12hip_bfloat16PSL_PKlPlN2at6native12_GLOBAL__N_18offset_tEEE10hipError_tPvRmT1_PNSt15iterator_traitsISZ_E10value_typeET2_T3_PNS10_IS15_E10value_typeET4_jRbjT5_S1B_jjP12ihipStream_tbEUljE_EEESW_SX_SY_S15_S19_S1B_T6_T7_T9_mT8_S1D_bDpT10_ENKUlT_T0_E_clISt17integral_constantIbLb0EES1P_IbLb1EEEEDaS1L_S1M_EUlS1L_E_NS1_11comp_targetILNS1_3genE8ELNS1_11target_archE1030ELNS1_3gpuE2ELNS1_3repE0EEENS1_30default_config_static_selectorELNS0_4arch9wavefront6targetE0EEEvSZ_.kd
    .uniform_work_group_size: 1
    .uses_dynamic_stack: false
    .vgpr_count:     0
    .vgpr_spill_count: 0
    .wavefront_size: 32
    .workgroup_processor_mode: 1
  - .args:
      - .offset:         0
        .size:           96
        .value_kind:     by_value
    .group_segment_fixed_size: 0
    .kernarg_segment_align: 8
    .kernarg_segment_size: 96
    .language:       OpenCL C
    .language_version:
      - 2
      - 0
    .max_flat_workgroup_size: 256
    .name:           _ZN7rocprim17ROCPRIM_400000_NS6detail17trampoline_kernelINS0_14default_configENS1_36segmented_radix_sort_config_selectorI12hip_bfloat16lEEZNS1_25segmented_radix_sort_implIS3_Lb0EPKS5_PS5_PKlPlN2at6native12_GLOBAL__N_18offset_tEEE10hipError_tPvRmT1_PNSt15iterator_traitsISL_E10value_typeET2_T3_PNSM_ISR_E10value_typeET4_jRbjT5_SX_jjP12ihipStream_tbEUlT_E_NS1_11comp_targetILNS1_3genE0ELNS1_11target_archE4294967295ELNS1_3gpuE0ELNS1_3repE0EEENS1_30default_config_static_selectorELNS0_4arch9wavefront6targetE0EEEvSL_
    .private_segment_fixed_size: 0
    .sgpr_count:     0
    .sgpr_spill_count: 0
    .symbol:         _ZN7rocprim17ROCPRIM_400000_NS6detail17trampoline_kernelINS0_14default_configENS1_36segmented_radix_sort_config_selectorI12hip_bfloat16lEEZNS1_25segmented_radix_sort_implIS3_Lb0EPKS5_PS5_PKlPlN2at6native12_GLOBAL__N_18offset_tEEE10hipError_tPvRmT1_PNSt15iterator_traitsISL_E10value_typeET2_T3_PNSM_ISR_E10value_typeET4_jRbjT5_SX_jjP12ihipStream_tbEUlT_E_NS1_11comp_targetILNS1_3genE0ELNS1_11target_archE4294967295ELNS1_3gpuE0ELNS1_3repE0EEENS1_30default_config_static_selectorELNS0_4arch9wavefront6targetE0EEEvSL_.kd
    .uniform_work_group_size: 1
    .uses_dynamic_stack: false
    .vgpr_count:     0
    .vgpr_spill_count: 0
    .wavefront_size: 32
    .workgroup_processor_mode: 1
  - .args:
      - .offset:         0
        .size:           96
        .value_kind:     by_value
    .group_segment_fixed_size: 0
    .kernarg_segment_align: 8
    .kernarg_segment_size: 96
    .language:       OpenCL C
    .language_version:
      - 2
      - 0
    .max_flat_workgroup_size: 256
    .name:           _ZN7rocprim17ROCPRIM_400000_NS6detail17trampoline_kernelINS0_14default_configENS1_36segmented_radix_sort_config_selectorI12hip_bfloat16lEEZNS1_25segmented_radix_sort_implIS3_Lb0EPKS5_PS5_PKlPlN2at6native12_GLOBAL__N_18offset_tEEE10hipError_tPvRmT1_PNSt15iterator_traitsISL_E10value_typeET2_T3_PNSM_ISR_E10value_typeET4_jRbjT5_SX_jjP12ihipStream_tbEUlT_E_NS1_11comp_targetILNS1_3genE5ELNS1_11target_archE942ELNS1_3gpuE9ELNS1_3repE0EEENS1_30default_config_static_selectorELNS0_4arch9wavefront6targetE0EEEvSL_
    .private_segment_fixed_size: 0
    .sgpr_count:     0
    .sgpr_spill_count: 0
    .symbol:         _ZN7rocprim17ROCPRIM_400000_NS6detail17trampoline_kernelINS0_14default_configENS1_36segmented_radix_sort_config_selectorI12hip_bfloat16lEEZNS1_25segmented_radix_sort_implIS3_Lb0EPKS5_PS5_PKlPlN2at6native12_GLOBAL__N_18offset_tEEE10hipError_tPvRmT1_PNSt15iterator_traitsISL_E10value_typeET2_T3_PNSM_ISR_E10value_typeET4_jRbjT5_SX_jjP12ihipStream_tbEUlT_E_NS1_11comp_targetILNS1_3genE5ELNS1_11target_archE942ELNS1_3gpuE9ELNS1_3repE0EEENS1_30default_config_static_selectorELNS0_4arch9wavefront6targetE0EEEvSL_.kd
    .uniform_work_group_size: 1
    .uses_dynamic_stack: false
    .vgpr_count:     0
    .vgpr_spill_count: 0
    .wavefront_size: 32
    .workgroup_processor_mode: 1
  - .args:
      - .offset:         0
        .size:           96
        .value_kind:     by_value
    .group_segment_fixed_size: 0
    .kernarg_segment_align: 8
    .kernarg_segment_size: 96
    .language:       OpenCL C
    .language_version:
      - 2
      - 0
    .max_flat_workgroup_size: 256
    .name:           _ZN7rocprim17ROCPRIM_400000_NS6detail17trampoline_kernelINS0_14default_configENS1_36segmented_radix_sort_config_selectorI12hip_bfloat16lEEZNS1_25segmented_radix_sort_implIS3_Lb0EPKS5_PS5_PKlPlN2at6native12_GLOBAL__N_18offset_tEEE10hipError_tPvRmT1_PNSt15iterator_traitsISL_E10value_typeET2_T3_PNSM_ISR_E10value_typeET4_jRbjT5_SX_jjP12ihipStream_tbEUlT_E_NS1_11comp_targetILNS1_3genE4ELNS1_11target_archE910ELNS1_3gpuE8ELNS1_3repE0EEENS1_30default_config_static_selectorELNS0_4arch9wavefront6targetE0EEEvSL_
    .private_segment_fixed_size: 0
    .sgpr_count:     0
    .sgpr_spill_count: 0
    .symbol:         _ZN7rocprim17ROCPRIM_400000_NS6detail17trampoline_kernelINS0_14default_configENS1_36segmented_radix_sort_config_selectorI12hip_bfloat16lEEZNS1_25segmented_radix_sort_implIS3_Lb0EPKS5_PS5_PKlPlN2at6native12_GLOBAL__N_18offset_tEEE10hipError_tPvRmT1_PNSt15iterator_traitsISL_E10value_typeET2_T3_PNSM_ISR_E10value_typeET4_jRbjT5_SX_jjP12ihipStream_tbEUlT_E_NS1_11comp_targetILNS1_3genE4ELNS1_11target_archE910ELNS1_3gpuE8ELNS1_3repE0EEENS1_30default_config_static_selectorELNS0_4arch9wavefront6targetE0EEEvSL_.kd
    .uniform_work_group_size: 1
    .uses_dynamic_stack: false
    .vgpr_count:     0
    .vgpr_spill_count: 0
    .wavefront_size: 32
    .workgroup_processor_mode: 1
  - .args:
      - .offset:         0
        .size:           96
        .value_kind:     by_value
    .group_segment_fixed_size: 0
    .kernarg_segment_align: 8
    .kernarg_segment_size: 96
    .language:       OpenCL C
    .language_version:
      - 2
      - 0
    .max_flat_workgroup_size: 256
    .name:           _ZN7rocprim17ROCPRIM_400000_NS6detail17trampoline_kernelINS0_14default_configENS1_36segmented_radix_sort_config_selectorI12hip_bfloat16lEEZNS1_25segmented_radix_sort_implIS3_Lb0EPKS5_PS5_PKlPlN2at6native12_GLOBAL__N_18offset_tEEE10hipError_tPvRmT1_PNSt15iterator_traitsISL_E10value_typeET2_T3_PNSM_ISR_E10value_typeET4_jRbjT5_SX_jjP12ihipStream_tbEUlT_E_NS1_11comp_targetILNS1_3genE3ELNS1_11target_archE908ELNS1_3gpuE7ELNS1_3repE0EEENS1_30default_config_static_selectorELNS0_4arch9wavefront6targetE0EEEvSL_
    .private_segment_fixed_size: 0
    .sgpr_count:     0
    .sgpr_spill_count: 0
    .symbol:         _ZN7rocprim17ROCPRIM_400000_NS6detail17trampoline_kernelINS0_14default_configENS1_36segmented_radix_sort_config_selectorI12hip_bfloat16lEEZNS1_25segmented_radix_sort_implIS3_Lb0EPKS5_PS5_PKlPlN2at6native12_GLOBAL__N_18offset_tEEE10hipError_tPvRmT1_PNSt15iterator_traitsISL_E10value_typeET2_T3_PNSM_ISR_E10value_typeET4_jRbjT5_SX_jjP12ihipStream_tbEUlT_E_NS1_11comp_targetILNS1_3genE3ELNS1_11target_archE908ELNS1_3gpuE7ELNS1_3repE0EEENS1_30default_config_static_selectorELNS0_4arch9wavefront6targetE0EEEvSL_.kd
    .uniform_work_group_size: 1
    .uses_dynamic_stack: false
    .vgpr_count:     0
    .vgpr_spill_count: 0
    .wavefront_size: 32
    .workgroup_processor_mode: 1
  - .args:
      - .offset:         0
        .size:           96
        .value_kind:     by_value
    .group_segment_fixed_size: 0
    .kernarg_segment_align: 8
    .kernarg_segment_size: 96
    .language:       OpenCL C
    .language_version:
      - 2
      - 0
    .max_flat_workgroup_size: 256
    .name:           _ZN7rocprim17ROCPRIM_400000_NS6detail17trampoline_kernelINS0_14default_configENS1_36segmented_radix_sort_config_selectorI12hip_bfloat16lEEZNS1_25segmented_radix_sort_implIS3_Lb0EPKS5_PS5_PKlPlN2at6native12_GLOBAL__N_18offset_tEEE10hipError_tPvRmT1_PNSt15iterator_traitsISL_E10value_typeET2_T3_PNSM_ISR_E10value_typeET4_jRbjT5_SX_jjP12ihipStream_tbEUlT_E_NS1_11comp_targetILNS1_3genE2ELNS1_11target_archE906ELNS1_3gpuE6ELNS1_3repE0EEENS1_30default_config_static_selectorELNS0_4arch9wavefront6targetE0EEEvSL_
    .private_segment_fixed_size: 0
    .sgpr_count:     0
    .sgpr_spill_count: 0
    .symbol:         _ZN7rocprim17ROCPRIM_400000_NS6detail17trampoline_kernelINS0_14default_configENS1_36segmented_radix_sort_config_selectorI12hip_bfloat16lEEZNS1_25segmented_radix_sort_implIS3_Lb0EPKS5_PS5_PKlPlN2at6native12_GLOBAL__N_18offset_tEEE10hipError_tPvRmT1_PNSt15iterator_traitsISL_E10value_typeET2_T3_PNSM_ISR_E10value_typeET4_jRbjT5_SX_jjP12ihipStream_tbEUlT_E_NS1_11comp_targetILNS1_3genE2ELNS1_11target_archE906ELNS1_3gpuE6ELNS1_3repE0EEENS1_30default_config_static_selectorELNS0_4arch9wavefront6targetE0EEEvSL_.kd
    .uniform_work_group_size: 1
    .uses_dynamic_stack: false
    .vgpr_count:     0
    .vgpr_spill_count: 0
    .wavefront_size: 32
    .workgroup_processor_mode: 1
  - .args:
      - .offset:         0
        .size:           96
        .value_kind:     by_value
    .group_segment_fixed_size: 0
    .kernarg_segment_align: 8
    .kernarg_segment_size: 96
    .language:       OpenCL C
    .language_version:
      - 2
      - 0
    .max_flat_workgroup_size: 256
    .name:           _ZN7rocprim17ROCPRIM_400000_NS6detail17trampoline_kernelINS0_14default_configENS1_36segmented_radix_sort_config_selectorI12hip_bfloat16lEEZNS1_25segmented_radix_sort_implIS3_Lb0EPKS5_PS5_PKlPlN2at6native12_GLOBAL__N_18offset_tEEE10hipError_tPvRmT1_PNSt15iterator_traitsISL_E10value_typeET2_T3_PNSM_ISR_E10value_typeET4_jRbjT5_SX_jjP12ihipStream_tbEUlT_E_NS1_11comp_targetILNS1_3genE10ELNS1_11target_archE1201ELNS1_3gpuE5ELNS1_3repE0EEENS1_30default_config_static_selectorELNS0_4arch9wavefront6targetE0EEEvSL_
    .private_segment_fixed_size: 0
    .sgpr_count:     0
    .sgpr_spill_count: 0
    .symbol:         _ZN7rocprim17ROCPRIM_400000_NS6detail17trampoline_kernelINS0_14default_configENS1_36segmented_radix_sort_config_selectorI12hip_bfloat16lEEZNS1_25segmented_radix_sort_implIS3_Lb0EPKS5_PS5_PKlPlN2at6native12_GLOBAL__N_18offset_tEEE10hipError_tPvRmT1_PNSt15iterator_traitsISL_E10value_typeET2_T3_PNSM_ISR_E10value_typeET4_jRbjT5_SX_jjP12ihipStream_tbEUlT_E_NS1_11comp_targetILNS1_3genE10ELNS1_11target_archE1201ELNS1_3gpuE5ELNS1_3repE0EEENS1_30default_config_static_selectorELNS0_4arch9wavefront6targetE0EEEvSL_.kd
    .uniform_work_group_size: 1
    .uses_dynamic_stack: false
    .vgpr_count:     0
    .vgpr_spill_count: 0
    .wavefront_size: 32
    .workgroup_processor_mode: 1
  - .args:
      - .offset:         0
        .size:           96
        .value_kind:     by_value
    .group_segment_fixed_size: 0
    .kernarg_segment_align: 8
    .kernarg_segment_size: 96
    .language:       OpenCL C
    .language_version:
      - 2
      - 0
    .max_flat_workgroup_size: 128
    .name:           _ZN7rocprim17ROCPRIM_400000_NS6detail17trampoline_kernelINS0_14default_configENS1_36segmented_radix_sort_config_selectorI12hip_bfloat16lEEZNS1_25segmented_radix_sort_implIS3_Lb0EPKS5_PS5_PKlPlN2at6native12_GLOBAL__N_18offset_tEEE10hipError_tPvRmT1_PNSt15iterator_traitsISL_E10value_typeET2_T3_PNSM_ISR_E10value_typeET4_jRbjT5_SX_jjP12ihipStream_tbEUlT_E_NS1_11comp_targetILNS1_3genE10ELNS1_11target_archE1200ELNS1_3gpuE4ELNS1_3repE0EEENS1_30default_config_static_selectorELNS0_4arch9wavefront6targetE0EEEvSL_
    .private_segment_fixed_size: 0
    .sgpr_count:     0
    .sgpr_spill_count: 0
    .symbol:         _ZN7rocprim17ROCPRIM_400000_NS6detail17trampoline_kernelINS0_14default_configENS1_36segmented_radix_sort_config_selectorI12hip_bfloat16lEEZNS1_25segmented_radix_sort_implIS3_Lb0EPKS5_PS5_PKlPlN2at6native12_GLOBAL__N_18offset_tEEE10hipError_tPvRmT1_PNSt15iterator_traitsISL_E10value_typeET2_T3_PNSM_ISR_E10value_typeET4_jRbjT5_SX_jjP12ihipStream_tbEUlT_E_NS1_11comp_targetILNS1_3genE10ELNS1_11target_archE1200ELNS1_3gpuE4ELNS1_3repE0EEENS1_30default_config_static_selectorELNS0_4arch9wavefront6targetE0EEEvSL_.kd
    .uniform_work_group_size: 1
    .uses_dynamic_stack: false
    .vgpr_count:     0
    .vgpr_spill_count: 0
    .wavefront_size: 32
    .workgroup_processor_mode: 1
  - .args:
      - .offset:         0
        .size:           96
        .value_kind:     by_value
      - .offset:         96
        .size:           4
        .value_kind:     hidden_block_count_x
      - .offset:         100
        .size:           4
        .value_kind:     hidden_block_count_y
      - .offset:         104
        .size:           4
        .value_kind:     hidden_block_count_z
      - .offset:         108
        .size:           2
        .value_kind:     hidden_group_size_x
      - .offset:         110
        .size:           2
        .value_kind:     hidden_group_size_y
      - .offset:         112
        .size:           2
        .value_kind:     hidden_group_size_z
      - .offset:         114
        .size:           2
        .value_kind:     hidden_remainder_x
      - .offset:         116
        .size:           2
        .value_kind:     hidden_remainder_y
      - .offset:         118
        .size:           2
        .value_kind:     hidden_remainder_z
      - .offset:         136
        .size:           8
        .value_kind:     hidden_global_offset_x
      - .offset:         144
        .size:           8
        .value_kind:     hidden_global_offset_y
      - .offset:         152
        .size:           8
        .value_kind:     hidden_global_offset_z
      - .offset:         160
        .size:           2
        .value_kind:     hidden_grid_dims
    .group_segment_fixed_size: 33824
    .kernarg_segment_align: 8
    .kernarg_segment_size: 352
    .language:       OpenCL C
    .language_version:
      - 2
      - 0
    .max_flat_workgroup_size: 256
    .name:           _ZN7rocprim17ROCPRIM_400000_NS6detail17trampoline_kernelINS0_14default_configENS1_36segmented_radix_sort_config_selectorI12hip_bfloat16lEEZNS1_25segmented_radix_sort_implIS3_Lb0EPKS5_PS5_PKlPlN2at6native12_GLOBAL__N_18offset_tEEE10hipError_tPvRmT1_PNSt15iterator_traitsISL_E10value_typeET2_T3_PNSM_ISR_E10value_typeET4_jRbjT5_SX_jjP12ihipStream_tbEUlT_E_NS1_11comp_targetILNS1_3genE9ELNS1_11target_archE1100ELNS1_3gpuE3ELNS1_3repE0EEENS1_30default_config_static_selectorELNS0_4arch9wavefront6targetE0EEEvSL_
    .private_segment_fixed_size: 220
    .sgpr_count:     62
    .sgpr_spill_count: 0
    .symbol:         _ZN7rocprim17ROCPRIM_400000_NS6detail17trampoline_kernelINS0_14default_configENS1_36segmented_radix_sort_config_selectorI12hip_bfloat16lEEZNS1_25segmented_radix_sort_implIS3_Lb0EPKS5_PS5_PKlPlN2at6native12_GLOBAL__N_18offset_tEEE10hipError_tPvRmT1_PNSt15iterator_traitsISL_E10value_typeET2_T3_PNSM_ISR_E10value_typeET4_jRbjT5_SX_jjP12ihipStream_tbEUlT_E_NS1_11comp_targetILNS1_3genE9ELNS1_11target_archE1100ELNS1_3gpuE3ELNS1_3repE0EEENS1_30default_config_static_selectorELNS0_4arch9wavefront6targetE0EEEvSL_.kd
    .uniform_work_group_size: 1
    .uses_dynamic_stack: false
    .vgpr_count:     248
    .vgpr_spill_count: 0
    .wavefront_size: 32
    .workgroup_processor_mode: 1
  - .args:
      - .offset:         0
        .size:           96
        .value_kind:     by_value
    .group_segment_fixed_size: 0
    .kernarg_segment_align: 8
    .kernarg_segment_size: 96
    .language:       OpenCL C
    .language_version:
      - 2
      - 0
    .max_flat_workgroup_size: 256
    .name:           _ZN7rocprim17ROCPRIM_400000_NS6detail17trampoline_kernelINS0_14default_configENS1_36segmented_radix_sort_config_selectorI12hip_bfloat16lEEZNS1_25segmented_radix_sort_implIS3_Lb0EPKS5_PS5_PKlPlN2at6native12_GLOBAL__N_18offset_tEEE10hipError_tPvRmT1_PNSt15iterator_traitsISL_E10value_typeET2_T3_PNSM_ISR_E10value_typeET4_jRbjT5_SX_jjP12ihipStream_tbEUlT_E_NS1_11comp_targetILNS1_3genE8ELNS1_11target_archE1030ELNS1_3gpuE2ELNS1_3repE0EEENS1_30default_config_static_selectorELNS0_4arch9wavefront6targetE0EEEvSL_
    .private_segment_fixed_size: 0
    .sgpr_count:     0
    .sgpr_spill_count: 0
    .symbol:         _ZN7rocprim17ROCPRIM_400000_NS6detail17trampoline_kernelINS0_14default_configENS1_36segmented_radix_sort_config_selectorI12hip_bfloat16lEEZNS1_25segmented_radix_sort_implIS3_Lb0EPKS5_PS5_PKlPlN2at6native12_GLOBAL__N_18offset_tEEE10hipError_tPvRmT1_PNSt15iterator_traitsISL_E10value_typeET2_T3_PNSM_ISR_E10value_typeET4_jRbjT5_SX_jjP12ihipStream_tbEUlT_E_NS1_11comp_targetILNS1_3genE8ELNS1_11target_archE1030ELNS1_3gpuE2ELNS1_3repE0EEENS1_30default_config_static_selectorELNS0_4arch9wavefront6targetE0EEEvSL_.kd
    .uniform_work_group_size: 1
    .uses_dynamic_stack: false
    .vgpr_count:     0
    .vgpr_spill_count: 0
    .wavefront_size: 32
    .workgroup_processor_mode: 1
  - .args:
      - .offset:         0
        .size:           88
        .value_kind:     by_value
    .group_segment_fixed_size: 0
    .kernarg_segment_align: 8
    .kernarg_segment_size: 88
    .language:       OpenCL C
    .language_version:
      - 2
      - 0
    .max_flat_workgroup_size: 256
    .name:           _ZN7rocprim17ROCPRIM_400000_NS6detail17trampoline_kernelINS0_14default_configENS1_36segmented_radix_sort_config_selectorI12hip_bfloat16lEEZNS1_25segmented_radix_sort_implIS3_Lb0EPKS5_PS5_PKlPlN2at6native12_GLOBAL__N_18offset_tEEE10hipError_tPvRmT1_PNSt15iterator_traitsISL_E10value_typeET2_T3_PNSM_ISR_E10value_typeET4_jRbjT5_SX_jjP12ihipStream_tbEUlT_E0_NS1_11comp_targetILNS1_3genE0ELNS1_11target_archE4294967295ELNS1_3gpuE0ELNS1_3repE0EEENS1_60segmented_radix_sort_warp_sort_medium_config_static_selectorELNS0_4arch9wavefront6targetE0EEEvSL_
    .private_segment_fixed_size: 0
    .sgpr_count:     0
    .sgpr_spill_count: 0
    .symbol:         _ZN7rocprim17ROCPRIM_400000_NS6detail17trampoline_kernelINS0_14default_configENS1_36segmented_radix_sort_config_selectorI12hip_bfloat16lEEZNS1_25segmented_radix_sort_implIS3_Lb0EPKS5_PS5_PKlPlN2at6native12_GLOBAL__N_18offset_tEEE10hipError_tPvRmT1_PNSt15iterator_traitsISL_E10value_typeET2_T3_PNSM_ISR_E10value_typeET4_jRbjT5_SX_jjP12ihipStream_tbEUlT_E0_NS1_11comp_targetILNS1_3genE0ELNS1_11target_archE4294967295ELNS1_3gpuE0ELNS1_3repE0EEENS1_60segmented_radix_sort_warp_sort_medium_config_static_selectorELNS0_4arch9wavefront6targetE0EEEvSL_.kd
    .uniform_work_group_size: 1
    .uses_dynamic_stack: false
    .vgpr_count:     0
    .vgpr_spill_count: 0
    .wavefront_size: 32
    .workgroup_processor_mode: 1
  - .args:
      - .offset:         0
        .size:           88
        .value_kind:     by_value
    .group_segment_fixed_size: 0
    .kernarg_segment_align: 8
    .kernarg_segment_size: 88
    .language:       OpenCL C
    .language_version:
      - 2
      - 0
    .max_flat_workgroup_size: 256
    .name:           _ZN7rocprim17ROCPRIM_400000_NS6detail17trampoline_kernelINS0_14default_configENS1_36segmented_radix_sort_config_selectorI12hip_bfloat16lEEZNS1_25segmented_radix_sort_implIS3_Lb0EPKS5_PS5_PKlPlN2at6native12_GLOBAL__N_18offset_tEEE10hipError_tPvRmT1_PNSt15iterator_traitsISL_E10value_typeET2_T3_PNSM_ISR_E10value_typeET4_jRbjT5_SX_jjP12ihipStream_tbEUlT_E0_NS1_11comp_targetILNS1_3genE5ELNS1_11target_archE942ELNS1_3gpuE9ELNS1_3repE0EEENS1_60segmented_radix_sort_warp_sort_medium_config_static_selectorELNS0_4arch9wavefront6targetE0EEEvSL_
    .private_segment_fixed_size: 0
    .sgpr_count:     0
    .sgpr_spill_count: 0
    .symbol:         _ZN7rocprim17ROCPRIM_400000_NS6detail17trampoline_kernelINS0_14default_configENS1_36segmented_radix_sort_config_selectorI12hip_bfloat16lEEZNS1_25segmented_radix_sort_implIS3_Lb0EPKS5_PS5_PKlPlN2at6native12_GLOBAL__N_18offset_tEEE10hipError_tPvRmT1_PNSt15iterator_traitsISL_E10value_typeET2_T3_PNSM_ISR_E10value_typeET4_jRbjT5_SX_jjP12ihipStream_tbEUlT_E0_NS1_11comp_targetILNS1_3genE5ELNS1_11target_archE942ELNS1_3gpuE9ELNS1_3repE0EEENS1_60segmented_radix_sort_warp_sort_medium_config_static_selectorELNS0_4arch9wavefront6targetE0EEEvSL_.kd
    .uniform_work_group_size: 1
    .uses_dynamic_stack: false
    .vgpr_count:     0
    .vgpr_spill_count: 0
    .wavefront_size: 32
    .workgroup_processor_mode: 1
  - .args:
      - .offset:         0
        .size:           88
        .value_kind:     by_value
    .group_segment_fixed_size: 0
    .kernarg_segment_align: 8
    .kernarg_segment_size: 88
    .language:       OpenCL C
    .language_version:
      - 2
      - 0
    .max_flat_workgroup_size: 256
    .name:           _ZN7rocprim17ROCPRIM_400000_NS6detail17trampoline_kernelINS0_14default_configENS1_36segmented_radix_sort_config_selectorI12hip_bfloat16lEEZNS1_25segmented_radix_sort_implIS3_Lb0EPKS5_PS5_PKlPlN2at6native12_GLOBAL__N_18offset_tEEE10hipError_tPvRmT1_PNSt15iterator_traitsISL_E10value_typeET2_T3_PNSM_ISR_E10value_typeET4_jRbjT5_SX_jjP12ihipStream_tbEUlT_E0_NS1_11comp_targetILNS1_3genE4ELNS1_11target_archE910ELNS1_3gpuE8ELNS1_3repE0EEENS1_60segmented_radix_sort_warp_sort_medium_config_static_selectorELNS0_4arch9wavefront6targetE0EEEvSL_
    .private_segment_fixed_size: 0
    .sgpr_count:     0
    .sgpr_spill_count: 0
    .symbol:         _ZN7rocprim17ROCPRIM_400000_NS6detail17trampoline_kernelINS0_14default_configENS1_36segmented_radix_sort_config_selectorI12hip_bfloat16lEEZNS1_25segmented_radix_sort_implIS3_Lb0EPKS5_PS5_PKlPlN2at6native12_GLOBAL__N_18offset_tEEE10hipError_tPvRmT1_PNSt15iterator_traitsISL_E10value_typeET2_T3_PNSM_ISR_E10value_typeET4_jRbjT5_SX_jjP12ihipStream_tbEUlT_E0_NS1_11comp_targetILNS1_3genE4ELNS1_11target_archE910ELNS1_3gpuE8ELNS1_3repE0EEENS1_60segmented_radix_sort_warp_sort_medium_config_static_selectorELNS0_4arch9wavefront6targetE0EEEvSL_.kd
    .uniform_work_group_size: 1
    .uses_dynamic_stack: false
    .vgpr_count:     0
    .vgpr_spill_count: 0
    .wavefront_size: 32
    .workgroup_processor_mode: 1
  - .args:
      - .offset:         0
        .size:           88
        .value_kind:     by_value
    .group_segment_fixed_size: 0
    .kernarg_segment_align: 8
    .kernarg_segment_size: 88
    .language:       OpenCL C
    .language_version:
      - 2
      - 0
    .max_flat_workgroup_size: 256
    .name:           _ZN7rocprim17ROCPRIM_400000_NS6detail17trampoline_kernelINS0_14default_configENS1_36segmented_radix_sort_config_selectorI12hip_bfloat16lEEZNS1_25segmented_radix_sort_implIS3_Lb0EPKS5_PS5_PKlPlN2at6native12_GLOBAL__N_18offset_tEEE10hipError_tPvRmT1_PNSt15iterator_traitsISL_E10value_typeET2_T3_PNSM_ISR_E10value_typeET4_jRbjT5_SX_jjP12ihipStream_tbEUlT_E0_NS1_11comp_targetILNS1_3genE3ELNS1_11target_archE908ELNS1_3gpuE7ELNS1_3repE0EEENS1_60segmented_radix_sort_warp_sort_medium_config_static_selectorELNS0_4arch9wavefront6targetE0EEEvSL_
    .private_segment_fixed_size: 0
    .sgpr_count:     0
    .sgpr_spill_count: 0
    .symbol:         _ZN7rocprim17ROCPRIM_400000_NS6detail17trampoline_kernelINS0_14default_configENS1_36segmented_radix_sort_config_selectorI12hip_bfloat16lEEZNS1_25segmented_radix_sort_implIS3_Lb0EPKS5_PS5_PKlPlN2at6native12_GLOBAL__N_18offset_tEEE10hipError_tPvRmT1_PNSt15iterator_traitsISL_E10value_typeET2_T3_PNSM_ISR_E10value_typeET4_jRbjT5_SX_jjP12ihipStream_tbEUlT_E0_NS1_11comp_targetILNS1_3genE3ELNS1_11target_archE908ELNS1_3gpuE7ELNS1_3repE0EEENS1_60segmented_radix_sort_warp_sort_medium_config_static_selectorELNS0_4arch9wavefront6targetE0EEEvSL_.kd
    .uniform_work_group_size: 1
    .uses_dynamic_stack: false
    .vgpr_count:     0
    .vgpr_spill_count: 0
    .wavefront_size: 32
    .workgroup_processor_mode: 1
  - .args:
      - .offset:         0
        .size:           88
        .value_kind:     by_value
    .group_segment_fixed_size: 0
    .kernarg_segment_align: 8
    .kernarg_segment_size: 88
    .language:       OpenCL C
    .language_version:
      - 2
      - 0
    .max_flat_workgroup_size: 256
    .name:           _ZN7rocprim17ROCPRIM_400000_NS6detail17trampoline_kernelINS0_14default_configENS1_36segmented_radix_sort_config_selectorI12hip_bfloat16lEEZNS1_25segmented_radix_sort_implIS3_Lb0EPKS5_PS5_PKlPlN2at6native12_GLOBAL__N_18offset_tEEE10hipError_tPvRmT1_PNSt15iterator_traitsISL_E10value_typeET2_T3_PNSM_ISR_E10value_typeET4_jRbjT5_SX_jjP12ihipStream_tbEUlT_E0_NS1_11comp_targetILNS1_3genE2ELNS1_11target_archE906ELNS1_3gpuE6ELNS1_3repE0EEENS1_60segmented_radix_sort_warp_sort_medium_config_static_selectorELNS0_4arch9wavefront6targetE0EEEvSL_
    .private_segment_fixed_size: 0
    .sgpr_count:     0
    .sgpr_spill_count: 0
    .symbol:         _ZN7rocprim17ROCPRIM_400000_NS6detail17trampoline_kernelINS0_14default_configENS1_36segmented_radix_sort_config_selectorI12hip_bfloat16lEEZNS1_25segmented_radix_sort_implIS3_Lb0EPKS5_PS5_PKlPlN2at6native12_GLOBAL__N_18offset_tEEE10hipError_tPvRmT1_PNSt15iterator_traitsISL_E10value_typeET2_T3_PNSM_ISR_E10value_typeET4_jRbjT5_SX_jjP12ihipStream_tbEUlT_E0_NS1_11comp_targetILNS1_3genE2ELNS1_11target_archE906ELNS1_3gpuE6ELNS1_3repE0EEENS1_60segmented_radix_sort_warp_sort_medium_config_static_selectorELNS0_4arch9wavefront6targetE0EEEvSL_.kd
    .uniform_work_group_size: 1
    .uses_dynamic_stack: false
    .vgpr_count:     0
    .vgpr_spill_count: 0
    .wavefront_size: 32
    .workgroup_processor_mode: 1
  - .args:
      - .offset:         0
        .size:           88
        .value_kind:     by_value
    .group_segment_fixed_size: 0
    .kernarg_segment_align: 8
    .kernarg_segment_size: 88
    .language:       OpenCL C
    .language_version:
      - 2
      - 0
    .max_flat_workgroup_size: 256
    .name:           _ZN7rocprim17ROCPRIM_400000_NS6detail17trampoline_kernelINS0_14default_configENS1_36segmented_radix_sort_config_selectorI12hip_bfloat16lEEZNS1_25segmented_radix_sort_implIS3_Lb0EPKS5_PS5_PKlPlN2at6native12_GLOBAL__N_18offset_tEEE10hipError_tPvRmT1_PNSt15iterator_traitsISL_E10value_typeET2_T3_PNSM_ISR_E10value_typeET4_jRbjT5_SX_jjP12ihipStream_tbEUlT_E0_NS1_11comp_targetILNS1_3genE10ELNS1_11target_archE1201ELNS1_3gpuE5ELNS1_3repE0EEENS1_60segmented_radix_sort_warp_sort_medium_config_static_selectorELNS0_4arch9wavefront6targetE0EEEvSL_
    .private_segment_fixed_size: 0
    .sgpr_count:     0
    .sgpr_spill_count: 0
    .symbol:         _ZN7rocprim17ROCPRIM_400000_NS6detail17trampoline_kernelINS0_14default_configENS1_36segmented_radix_sort_config_selectorI12hip_bfloat16lEEZNS1_25segmented_radix_sort_implIS3_Lb0EPKS5_PS5_PKlPlN2at6native12_GLOBAL__N_18offset_tEEE10hipError_tPvRmT1_PNSt15iterator_traitsISL_E10value_typeET2_T3_PNSM_ISR_E10value_typeET4_jRbjT5_SX_jjP12ihipStream_tbEUlT_E0_NS1_11comp_targetILNS1_3genE10ELNS1_11target_archE1201ELNS1_3gpuE5ELNS1_3repE0EEENS1_60segmented_radix_sort_warp_sort_medium_config_static_selectorELNS0_4arch9wavefront6targetE0EEEvSL_.kd
    .uniform_work_group_size: 1
    .uses_dynamic_stack: false
    .vgpr_count:     0
    .vgpr_spill_count: 0
    .wavefront_size: 32
    .workgroup_processor_mode: 1
  - .args:
      - .offset:         0
        .size:           88
        .value_kind:     by_value
    .group_segment_fixed_size: 0
    .kernarg_segment_align: 8
    .kernarg_segment_size: 88
    .language:       OpenCL C
    .language_version:
      - 2
      - 0
    .max_flat_workgroup_size: 256
    .name:           _ZN7rocprim17ROCPRIM_400000_NS6detail17trampoline_kernelINS0_14default_configENS1_36segmented_radix_sort_config_selectorI12hip_bfloat16lEEZNS1_25segmented_radix_sort_implIS3_Lb0EPKS5_PS5_PKlPlN2at6native12_GLOBAL__N_18offset_tEEE10hipError_tPvRmT1_PNSt15iterator_traitsISL_E10value_typeET2_T3_PNSM_ISR_E10value_typeET4_jRbjT5_SX_jjP12ihipStream_tbEUlT_E0_NS1_11comp_targetILNS1_3genE10ELNS1_11target_archE1200ELNS1_3gpuE4ELNS1_3repE0EEENS1_60segmented_radix_sort_warp_sort_medium_config_static_selectorELNS0_4arch9wavefront6targetE0EEEvSL_
    .private_segment_fixed_size: 0
    .sgpr_count:     0
    .sgpr_spill_count: 0
    .symbol:         _ZN7rocprim17ROCPRIM_400000_NS6detail17trampoline_kernelINS0_14default_configENS1_36segmented_radix_sort_config_selectorI12hip_bfloat16lEEZNS1_25segmented_radix_sort_implIS3_Lb0EPKS5_PS5_PKlPlN2at6native12_GLOBAL__N_18offset_tEEE10hipError_tPvRmT1_PNSt15iterator_traitsISL_E10value_typeET2_T3_PNSM_ISR_E10value_typeET4_jRbjT5_SX_jjP12ihipStream_tbEUlT_E0_NS1_11comp_targetILNS1_3genE10ELNS1_11target_archE1200ELNS1_3gpuE4ELNS1_3repE0EEENS1_60segmented_radix_sort_warp_sort_medium_config_static_selectorELNS0_4arch9wavefront6targetE0EEEvSL_.kd
    .uniform_work_group_size: 1
    .uses_dynamic_stack: false
    .vgpr_count:     0
    .vgpr_spill_count: 0
    .wavefront_size: 32
    .workgroup_processor_mode: 1
  - .args:
      - .offset:         0
        .size:           88
        .value_kind:     by_value
      - .offset:         88
        .size:           4
        .value_kind:     hidden_block_count_x
      - .offset:         92
        .size:           4
        .value_kind:     hidden_block_count_y
      - .offset:         96
        .size:           4
        .value_kind:     hidden_block_count_z
      - .offset:         100
        .size:           2
        .value_kind:     hidden_group_size_x
      - .offset:         102
        .size:           2
        .value_kind:     hidden_group_size_y
      - .offset:         104
        .size:           2
        .value_kind:     hidden_group_size_z
      - .offset:         106
        .size:           2
        .value_kind:     hidden_remainder_x
      - .offset:         108
        .size:           2
        .value_kind:     hidden_remainder_y
      - .offset:         110
        .size:           2
        .value_kind:     hidden_remainder_z
      - .offset:         128
        .size:           8
        .value_kind:     hidden_global_offset_x
      - .offset:         136
        .size:           8
        .value_kind:     hidden_global_offset_y
      - .offset:         144
        .size:           8
        .value_kind:     hidden_global_offset_z
      - .offset:         152
        .size:           2
        .value_kind:     hidden_grid_dims
    .group_segment_fixed_size: 20480
    .kernarg_segment_align: 8
    .kernarg_segment_size: 344
    .language:       OpenCL C
    .language_version:
      - 2
      - 0
    .max_flat_workgroup_size: 256
    .name:           _ZN7rocprim17ROCPRIM_400000_NS6detail17trampoline_kernelINS0_14default_configENS1_36segmented_radix_sort_config_selectorI12hip_bfloat16lEEZNS1_25segmented_radix_sort_implIS3_Lb0EPKS5_PS5_PKlPlN2at6native12_GLOBAL__N_18offset_tEEE10hipError_tPvRmT1_PNSt15iterator_traitsISL_E10value_typeET2_T3_PNSM_ISR_E10value_typeET4_jRbjT5_SX_jjP12ihipStream_tbEUlT_E0_NS1_11comp_targetILNS1_3genE9ELNS1_11target_archE1100ELNS1_3gpuE3ELNS1_3repE0EEENS1_60segmented_radix_sort_warp_sort_medium_config_static_selectorELNS0_4arch9wavefront6targetE0EEEvSL_
    .private_segment_fixed_size: 0
    .sgpr_count:     42
    .sgpr_spill_count: 0
    .symbol:         _ZN7rocprim17ROCPRIM_400000_NS6detail17trampoline_kernelINS0_14default_configENS1_36segmented_radix_sort_config_selectorI12hip_bfloat16lEEZNS1_25segmented_radix_sort_implIS3_Lb0EPKS5_PS5_PKlPlN2at6native12_GLOBAL__N_18offset_tEEE10hipError_tPvRmT1_PNSt15iterator_traitsISL_E10value_typeET2_T3_PNSM_ISR_E10value_typeET4_jRbjT5_SX_jjP12ihipStream_tbEUlT_E0_NS1_11comp_targetILNS1_3genE9ELNS1_11target_archE1100ELNS1_3gpuE3ELNS1_3repE0EEENS1_60segmented_radix_sort_warp_sort_medium_config_static_selectorELNS0_4arch9wavefront6targetE0EEEvSL_.kd
    .uniform_work_group_size: 1
    .uses_dynamic_stack: false
    .vgpr_count:     71
    .vgpr_spill_count: 0
    .wavefront_size: 32
    .workgroup_processor_mode: 1
  - .args:
      - .offset:         0
        .size:           88
        .value_kind:     by_value
    .group_segment_fixed_size: 0
    .kernarg_segment_align: 8
    .kernarg_segment_size: 88
    .language:       OpenCL C
    .language_version:
      - 2
      - 0
    .max_flat_workgroup_size: 256
    .name:           _ZN7rocprim17ROCPRIM_400000_NS6detail17trampoline_kernelINS0_14default_configENS1_36segmented_radix_sort_config_selectorI12hip_bfloat16lEEZNS1_25segmented_radix_sort_implIS3_Lb0EPKS5_PS5_PKlPlN2at6native12_GLOBAL__N_18offset_tEEE10hipError_tPvRmT1_PNSt15iterator_traitsISL_E10value_typeET2_T3_PNSM_ISR_E10value_typeET4_jRbjT5_SX_jjP12ihipStream_tbEUlT_E0_NS1_11comp_targetILNS1_3genE8ELNS1_11target_archE1030ELNS1_3gpuE2ELNS1_3repE0EEENS1_60segmented_radix_sort_warp_sort_medium_config_static_selectorELNS0_4arch9wavefront6targetE0EEEvSL_
    .private_segment_fixed_size: 0
    .sgpr_count:     0
    .sgpr_spill_count: 0
    .symbol:         _ZN7rocprim17ROCPRIM_400000_NS6detail17trampoline_kernelINS0_14default_configENS1_36segmented_radix_sort_config_selectorI12hip_bfloat16lEEZNS1_25segmented_radix_sort_implIS3_Lb0EPKS5_PS5_PKlPlN2at6native12_GLOBAL__N_18offset_tEEE10hipError_tPvRmT1_PNSt15iterator_traitsISL_E10value_typeET2_T3_PNSM_ISR_E10value_typeET4_jRbjT5_SX_jjP12ihipStream_tbEUlT_E0_NS1_11comp_targetILNS1_3genE8ELNS1_11target_archE1030ELNS1_3gpuE2ELNS1_3repE0EEENS1_60segmented_radix_sort_warp_sort_medium_config_static_selectorELNS0_4arch9wavefront6targetE0EEEvSL_.kd
    .uniform_work_group_size: 1
    .uses_dynamic_stack: false
    .vgpr_count:     0
    .vgpr_spill_count: 0
    .wavefront_size: 32
    .workgroup_processor_mode: 1
  - .args:
      - .offset:         0
        .size:           88
        .value_kind:     by_value
    .group_segment_fixed_size: 0
    .kernarg_segment_align: 8
    .kernarg_segment_size: 88
    .language:       OpenCL C
    .language_version:
      - 2
      - 0
    .max_flat_workgroup_size: 256
    .name:           _ZN7rocprim17ROCPRIM_400000_NS6detail17trampoline_kernelINS0_14default_configENS1_36segmented_radix_sort_config_selectorI12hip_bfloat16lEEZNS1_25segmented_radix_sort_implIS3_Lb0EPKS5_PS5_PKlPlN2at6native12_GLOBAL__N_18offset_tEEE10hipError_tPvRmT1_PNSt15iterator_traitsISL_E10value_typeET2_T3_PNSM_ISR_E10value_typeET4_jRbjT5_SX_jjP12ihipStream_tbEUlT_E1_NS1_11comp_targetILNS1_3genE0ELNS1_11target_archE4294967295ELNS1_3gpuE0ELNS1_3repE0EEENS1_59segmented_radix_sort_warp_sort_small_config_static_selectorELNS0_4arch9wavefront6targetE0EEEvSL_
    .private_segment_fixed_size: 0
    .sgpr_count:     0
    .sgpr_spill_count: 0
    .symbol:         _ZN7rocprim17ROCPRIM_400000_NS6detail17trampoline_kernelINS0_14default_configENS1_36segmented_radix_sort_config_selectorI12hip_bfloat16lEEZNS1_25segmented_radix_sort_implIS3_Lb0EPKS5_PS5_PKlPlN2at6native12_GLOBAL__N_18offset_tEEE10hipError_tPvRmT1_PNSt15iterator_traitsISL_E10value_typeET2_T3_PNSM_ISR_E10value_typeET4_jRbjT5_SX_jjP12ihipStream_tbEUlT_E1_NS1_11comp_targetILNS1_3genE0ELNS1_11target_archE4294967295ELNS1_3gpuE0ELNS1_3repE0EEENS1_59segmented_radix_sort_warp_sort_small_config_static_selectorELNS0_4arch9wavefront6targetE0EEEvSL_.kd
    .uniform_work_group_size: 1
    .uses_dynamic_stack: false
    .vgpr_count:     0
    .vgpr_spill_count: 0
    .wavefront_size: 32
    .workgroup_processor_mode: 1
  - .args:
      - .offset:         0
        .size:           88
        .value_kind:     by_value
    .group_segment_fixed_size: 0
    .kernarg_segment_align: 8
    .kernarg_segment_size: 88
    .language:       OpenCL C
    .language_version:
      - 2
      - 0
    .max_flat_workgroup_size: 256
    .name:           _ZN7rocprim17ROCPRIM_400000_NS6detail17trampoline_kernelINS0_14default_configENS1_36segmented_radix_sort_config_selectorI12hip_bfloat16lEEZNS1_25segmented_radix_sort_implIS3_Lb0EPKS5_PS5_PKlPlN2at6native12_GLOBAL__N_18offset_tEEE10hipError_tPvRmT1_PNSt15iterator_traitsISL_E10value_typeET2_T3_PNSM_ISR_E10value_typeET4_jRbjT5_SX_jjP12ihipStream_tbEUlT_E1_NS1_11comp_targetILNS1_3genE5ELNS1_11target_archE942ELNS1_3gpuE9ELNS1_3repE0EEENS1_59segmented_radix_sort_warp_sort_small_config_static_selectorELNS0_4arch9wavefront6targetE0EEEvSL_
    .private_segment_fixed_size: 0
    .sgpr_count:     0
    .sgpr_spill_count: 0
    .symbol:         _ZN7rocprim17ROCPRIM_400000_NS6detail17trampoline_kernelINS0_14default_configENS1_36segmented_radix_sort_config_selectorI12hip_bfloat16lEEZNS1_25segmented_radix_sort_implIS3_Lb0EPKS5_PS5_PKlPlN2at6native12_GLOBAL__N_18offset_tEEE10hipError_tPvRmT1_PNSt15iterator_traitsISL_E10value_typeET2_T3_PNSM_ISR_E10value_typeET4_jRbjT5_SX_jjP12ihipStream_tbEUlT_E1_NS1_11comp_targetILNS1_3genE5ELNS1_11target_archE942ELNS1_3gpuE9ELNS1_3repE0EEENS1_59segmented_radix_sort_warp_sort_small_config_static_selectorELNS0_4arch9wavefront6targetE0EEEvSL_.kd
    .uniform_work_group_size: 1
    .uses_dynamic_stack: false
    .vgpr_count:     0
    .vgpr_spill_count: 0
    .wavefront_size: 32
    .workgroup_processor_mode: 1
  - .args:
      - .offset:         0
        .size:           88
        .value_kind:     by_value
    .group_segment_fixed_size: 0
    .kernarg_segment_align: 8
    .kernarg_segment_size: 88
    .language:       OpenCL C
    .language_version:
      - 2
      - 0
    .max_flat_workgroup_size: 256
    .name:           _ZN7rocprim17ROCPRIM_400000_NS6detail17trampoline_kernelINS0_14default_configENS1_36segmented_radix_sort_config_selectorI12hip_bfloat16lEEZNS1_25segmented_radix_sort_implIS3_Lb0EPKS5_PS5_PKlPlN2at6native12_GLOBAL__N_18offset_tEEE10hipError_tPvRmT1_PNSt15iterator_traitsISL_E10value_typeET2_T3_PNSM_ISR_E10value_typeET4_jRbjT5_SX_jjP12ihipStream_tbEUlT_E1_NS1_11comp_targetILNS1_3genE4ELNS1_11target_archE910ELNS1_3gpuE8ELNS1_3repE0EEENS1_59segmented_radix_sort_warp_sort_small_config_static_selectorELNS0_4arch9wavefront6targetE0EEEvSL_
    .private_segment_fixed_size: 0
    .sgpr_count:     0
    .sgpr_spill_count: 0
    .symbol:         _ZN7rocprim17ROCPRIM_400000_NS6detail17trampoline_kernelINS0_14default_configENS1_36segmented_radix_sort_config_selectorI12hip_bfloat16lEEZNS1_25segmented_radix_sort_implIS3_Lb0EPKS5_PS5_PKlPlN2at6native12_GLOBAL__N_18offset_tEEE10hipError_tPvRmT1_PNSt15iterator_traitsISL_E10value_typeET2_T3_PNSM_ISR_E10value_typeET4_jRbjT5_SX_jjP12ihipStream_tbEUlT_E1_NS1_11comp_targetILNS1_3genE4ELNS1_11target_archE910ELNS1_3gpuE8ELNS1_3repE0EEENS1_59segmented_radix_sort_warp_sort_small_config_static_selectorELNS0_4arch9wavefront6targetE0EEEvSL_.kd
    .uniform_work_group_size: 1
    .uses_dynamic_stack: false
    .vgpr_count:     0
    .vgpr_spill_count: 0
    .wavefront_size: 32
    .workgroup_processor_mode: 1
  - .args:
      - .offset:         0
        .size:           88
        .value_kind:     by_value
    .group_segment_fixed_size: 0
    .kernarg_segment_align: 8
    .kernarg_segment_size: 88
    .language:       OpenCL C
    .language_version:
      - 2
      - 0
    .max_flat_workgroup_size: 256
    .name:           _ZN7rocprim17ROCPRIM_400000_NS6detail17trampoline_kernelINS0_14default_configENS1_36segmented_radix_sort_config_selectorI12hip_bfloat16lEEZNS1_25segmented_radix_sort_implIS3_Lb0EPKS5_PS5_PKlPlN2at6native12_GLOBAL__N_18offset_tEEE10hipError_tPvRmT1_PNSt15iterator_traitsISL_E10value_typeET2_T3_PNSM_ISR_E10value_typeET4_jRbjT5_SX_jjP12ihipStream_tbEUlT_E1_NS1_11comp_targetILNS1_3genE3ELNS1_11target_archE908ELNS1_3gpuE7ELNS1_3repE0EEENS1_59segmented_radix_sort_warp_sort_small_config_static_selectorELNS0_4arch9wavefront6targetE0EEEvSL_
    .private_segment_fixed_size: 0
    .sgpr_count:     0
    .sgpr_spill_count: 0
    .symbol:         _ZN7rocprim17ROCPRIM_400000_NS6detail17trampoline_kernelINS0_14default_configENS1_36segmented_radix_sort_config_selectorI12hip_bfloat16lEEZNS1_25segmented_radix_sort_implIS3_Lb0EPKS5_PS5_PKlPlN2at6native12_GLOBAL__N_18offset_tEEE10hipError_tPvRmT1_PNSt15iterator_traitsISL_E10value_typeET2_T3_PNSM_ISR_E10value_typeET4_jRbjT5_SX_jjP12ihipStream_tbEUlT_E1_NS1_11comp_targetILNS1_3genE3ELNS1_11target_archE908ELNS1_3gpuE7ELNS1_3repE0EEENS1_59segmented_radix_sort_warp_sort_small_config_static_selectorELNS0_4arch9wavefront6targetE0EEEvSL_.kd
    .uniform_work_group_size: 1
    .uses_dynamic_stack: false
    .vgpr_count:     0
    .vgpr_spill_count: 0
    .wavefront_size: 32
    .workgroup_processor_mode: 1
  - .args:
      - .offset:         0
        .size:           88
        .value_kind:     by_value
    .group_segment_fixed_size: 0
    .kernarg_segment_align: 8
    .kernarg_segment_size: 88
    .language:       OpenCL C
    .language_version:
      - 2
      - 0
    .max_flat_workgroup_size: 256
    .name:           _ZN7rocprim17ROCPRIM_400000_NS6detail17trampoline_kernelINS0_14default_configENS1_36segmented_radix_sort_config_selectorI12hip_bfloat16lEEZNS1_25segmented_radix_sort_implIS3_Lb0EPKS5_PS5_PKlPlN2at6native12_GLOBAL__N_18offset_tEEE10hipError_tPvRmT1_PNSt15iterator_traitsISL_E10value_typeET2_T3_PNSM_ISR_E10value_typeET4_jRbjT5_SX_jjP12ihipStream_tbEUlT_E1_NS1_11comp_targetILNS1_3genE2ELNS1_11target_archE906ELNS1_3gpuE6ELNS1_3repE0EEENS1_59segmented_radix_sort_warp_sort_small_config_static_selectorELNS0_4arch9wavefront6targetE0EEEvSL_
    .private_segment_fixed_size: 0
    .sgpr_count:     0
    .sgpr_spill_count: 0
    .symbol:         _ZN7rocprim17ROCPRIM_400000_NS6detail17trampoline_kernelINS0_14default_configENS1_36segmented_radix_sort_config_selectorI12hip_bfloat16lEEZNS1_25segmented_radix_sort_implIS3_Lb0EPKS5_PS5_PKlPlN2at6native12_GLOBAL__N_18offset_tEEE10hipError_tPvRmT1_PNSt15iterator_traitsISL_E10value_typeET2_T3_PNSM_ISR_E10value_typeET4_jRbjT5_SX_jjP12ihipStream_tbEUlT_E1_NS1_11comp_targetILNS1_3genE2ELNS1_11target_archE906ELNS1_3gpuE6ELNS1_3repE0EEENS1_59segmented_radix_sort_warp_sort_small_config_static_selectorELNS0_4arch9wavefront6targetE0EEEvSL_.kd
    .uniform_work_group_size: 1
    .uses_dynamic_stack: false
    .vgpr_count:     0
    .vgpr_spill_count: 0
    .wavefront_size: 32
    .workgroup_processor_mode: 1
  - .args:
      - .offset:         0
        .size:           88
        .value_kind:     by_value
    .group_segment_fixed_size: 0
    .kernarg_segment_align: 8
    .kernarg_segment_size: 88
    .language:       OpenCL C
    .language_version:
      - 2
      - 0
    .max_flat_workgroup_size: 256
    .name:           _ZN7rocprim17ROCPRIM_400000_NS6detail17trampoline_kernelINS0_14default_configENS1_36segmented_radix_sort_config_selectorI12hip_bfloat16lEEZNS1_25segmented_radix_sort_implIS3_Lb0EPKS5_PS5_PKlPlN2at6native12_GLOBAL__N_18offset_tEEE10hipError_tPvRmT1_PNSt15iterator_traitsISL_E10value_typeET2_T3_PNSM_ISR_E10value_typeET4_jRbjT5_SX_jjP12ihipStream_tbEUlT_E1_NS1_11comp_targetILNS1_3genE10ELNS1_11target_archE1201ELNS1_3gpuE5ELNS1_3repE0EEENS1_59segmented_radix_sort_warp_sort_small_config_static_selectorELNS0_4arch9wavefront6targetE0EEEvSL_
    .private_segment_fixed_size: 0
    .sgpr_count:     0
    .sgpr_spill_count: 0
    .symbol:         _ZN7rocprim17ROCPRIM_400000_NS6detail17trampoline_kernelINS0_14default_configENS1_36segmented_radix_sort_config_selectorI12hip_bfloat16lEEZNS1_25segmented_radix_sort_implIS3_Lb0EPKS5_PS5_PKlPlN2at6native12_GLOBAL__N_18offset_tEEE10hipError_tPvRmT1_PNSt15iterator_traitsISL_E10value_typeET2_T3_PNSM_ISR_E10value_typeET4_jRbjT5_SX_jjP12ihipStream_tbEUlT_E1_NS1_11comp_targetILNS1_3genE10ELNS1_11target_archE1201ELNS1_3gpuE5ELNS1_3repE0EEENS1_59segmented_radix_sort_warp_sort_small_config_static_selectorELNS0_4arch9wavefront6targetE0EEEvSL_.kd
    .uniform_work_group_size: 1
    .uses_dynamic_stack: false
    .vgpr_count:     0
    .vgpr_spill_count: 0
    .wavefront_size: 32
    .workgroup_processor_mode: 1
  - .args:
      - .offset:         0
        .size:           88
        .value_kind:     by_value
    .group_segment_fixed_size: 0
    .kernarg_segment_align: 8
    .kernarg_segment_size: 88
    .language:       OpenCL C
    .language_version:
      - 2
      - 0
    .max_flat_workgroup_size: 256
    .name:           _ZN7rocprim17ROCPRIM_400000_NS6detail17trampoline_kernelINS0_14default_configENS1_36segmented_radix_sort_config_selectorI12hip_bfloat16lEEZNS1_25segmented_radix_sort_implIS3_Lb0EPKS5_PS5_PKlPlN2at6native12_GLOBAL__N_18offset_tEEE10hipError_tPvRmT1_PNSt15iterator_traitsISL_E10value_typeET2_T3_PNSM_ISR_E10value_typeET4_jRbjT5_SX_jjP12ihipStream_tbEUlT_E1_NS1_11comp_targetILNS1_3genE10ELNS1_11target_archE1200ELNS1_3gpuE4ELNS1_3repE0EEENS1_59segmented_radix_sort_warp_sort_small_config_static_selectorELNS0_4arch9wavefront6targetE0EEEvSL_
    .private_segment_fixed_size: 0
    .sgpr_count:     0
    .sgpr_spill_count: 0
    .symbol:         _ZN7rocprim17ROCPRIM_400000_NS6detail17trampoline_kernelINS0_14default_configENS1_36segmented_radix_sort_config_selectorI12hip_bfloat16lEEZNS1_25segmented_radix_sort_implIS3_Lb0EPKS5_PS5_PKlPlN2at6native12_GLOBAL__N_18offset_tEEE10hipError_tPvRmT1_PNSt15iterator_traitsISL_E10value_typeET2_T3_PNSM_ISR_E10value_typeET4_jRbjT5_SX_jjP12ihipStream_tbEUlT_E1_NS1_11comp_targetILNS1_3genE10ELNS1_11target_archE1200ELNS1_3gpuE4ELNS1_3repE0EEENS1_59segmented_radix_sort_warp_sort_small_config_static_selectorELNS0_4arch9wavefront6targetE0EEEvSL_.kd
    .uniform_work_group_size: 1
    .uses_dynamic_stack: false
    .vgpr_count:     0
    .vgpr_spill_count: 0
    .wavefront_size: 32
    .workgroup_processor_mode: 1
  - .args:
      - .offset:         0
        .size:           88
        .value_kind:     by_value
      - .offset:         88
        .size:           4
        .value_kind:     hidden_block_count_x
      - .offset:         92
        .size:           4
        .value_kind:     hidden_block_count_y
      - .offset:         96
        .size:           4
        .value_kind:     hidden_block_count_z
      - .offset:         100
        .size:           2
        .value_kind:     hidden_group_size_x
      - .offset:         102
        .size:           2
        .value_kind:     hidden_group_size_y
      - .offset:         104
        .size:           2
        .value_kind:     hidden_group_size_z
      - .offset:         106
        .size:           2
        .value_kind:     hidden_remainder_x
      - .offset:         108
        .size:           2
        .value_kind:     hidden_remainder_y
      - .offset:         110
        .size:           2
        .value_kind:     hidden_remainder_z
      - .offset:         128
        .size:           8
        .value_kind:     hidden_global_offset_x
      - .offset:         136
        .size:           8
        .value_kind:     hidden_global_offset_y
      - .offset:         144
        .size:           8
        .value_kind:     hidden_global_offset_z
      - .offset:         152
        .size:           2
        .value_kind:     hidden_grid_dims
    .group_segment_fixed_size: 10240
    .kernarg_segment_align: 8
    .kernarg_segment_size: 344
    .language:       OpenCL C
    .language_version:
      - 2
      - 0
    .max_flat_workgroup_size: 256
    .name:           _ZN7rocprim17ROCPRIM_400000_NS6detail17trampoline_kernelINS0_14default_configENS1_36segmented_radix_sort_config_selectorI12hip_bfloat16lEEZNS1_25segmented_radix_sort_implIS3_Lb0EPKS5_PS5_PKlPlN2at6native12_GLOBAL__N_18offset_tEEE10hipError_tPvRmT1_PNSt15iterator_traitsISL_E10value_typeET2_T3_PNSM_ISR_E10value_typeET4_jRbjT5_SX_jjP12ihipStream_tbEUlT_E1_NS1_11comp_targetILNS1_3genE9ELNS1_11target_archE1100ELNS1_3gpuE3ELNS1_3repE0EEENS1_59segmented_radix_sort_warp_sort_small_config_static_selectorELNS0_4arch9wavefront6targetE0EEEvSL_
    .private_segment_fixed_size: 0
    .sgpr_count:     35
    .sgpr_spill_count: 0
    .symbol:         _ZN7rocprim17ROCPRIM_400000_NS6detail17trampoline_kernelINS0_14default_configENS1_36segmented_radix_sort_config_selectorI12hip_bfloat16lEEZNS1_25segmented_radix_sort_implIS3_Lb0EPKS5_PS5_PKlPlN2at6native12_GLOBAL__N_18offset_tEEE10hipError_tPvRmT1_PNSt15iterator_traitsISL_E10value_typeET2_T3_PNSM_ISR_E10value_typeET4_jRbjT5_SX_jjP12ihipStream_tbEUlT_E1_NS1_11comp_targetILNS1_3genE9ELNS1_11target_archE1100ELNS1_3gpuE3ELNS1_3repE0EEENS1_59segmented_radix_sort_warp_sort_small_config_static_selectorELNS0_4arch9wavefront6targetE0EEEvSL_.kd
    .uniform_work_group_size: 1
    .uses_dynamic_stack: false
    .vgpr_count:     67
    .vgpr_spill_count: 0
    .wavefront_size: 32
    .workgroup_processor_mode: 1
  - .args:
      - .offset:         0
        .size:           88
        .value_kind:     by_value
    .group_segment_fixed_size: 0
    .kernarg_segment_align: 8
    .kernarg_segment_size: 88
    .language:       OpenCL C
    .language_version:
      - 2
      - 0
    .max_flat_workgroup_size: 256
    .name:           _ZN7rocprim17ROCPRIM_400000_NS6detail17trampoline_kernelINS0_14default_configENS1_36segmented_radix_sort_config_selectorI12hip_bfloat16lEEZNS1_25segmented_radix_sort_implIS3_Lb0EPKS5_PS5_PKlPlN2at6native12_GLOBAL__N_18offset_tEEE10hipError_tPvRmT1_PNSt15iterator_traitsISL_E10value_typeET2_T3_PNSM_ISR_E10value_typeET4_jRbjT5_SX_jjP12ihipStream_tbEUlT_E1_NS1_11comp_targetILNS1_3genE8ELNS1_11target_archE1030ELNS1_3gpuE2ELNS1_3repE0EEENS1_59segmented_radix_sort_warp_sort_small_config_static_selectorELNS0_4arch9wavefront6targetE0EEEvSL_
    .private_segment_fixed_size: 0
    .sgpr_count:     0
    .sgpr_spill_count: 0
    .symbol:         _ZN7rocprim17ROCPRIM_400000_NS6detail17trampoline_kernelINS0_14default_configENS1_36segmented_radix_sort_config_selectorI12hip_bfloat16lEEZNS1_25segmented_radix_sort_implIS3_Lb0EPKS5_PS5_PKlPlN2at6native12_GLOBAL__N_18offset_tEEE10hipError_tPvRmT1_PNSt15iterator_traitsISL_E10value_typeET2_T3_PNSM_ISR_E10value_typeET4_jRbjT5_SX_jjP12ihipStream_tbEUlT_E1_NS1_11comp_targetILNS1_3genE8ELNS1_11target_archE1030ELNS1_3gpuE2ELNS1_3repE0EEENS1_59segmented_radix_sort_warp_sort_small_config_static_selectorELNS0_4arch9wavefront6targetE0EEEvSL_.kd
    .uniform_work_group_size: 1
    .uses_dynamic_stack: false
    .vgpr_count:     0
    .vgpr_spill_count: 0
    .wavefront_size: 32
    .workgroup_processor_mode: 1
  - .args:
      - .offset:         0
        .size:           80
        .value_kind:     by_value
    .group_segment_fixed_size: 0
    .kernarg_segment_align: 8
    .kernarg_segment_size: 80
    .language:       OpenCL C
    .language_version:
      - 2
      - 0
    .max_flat_workgroup_size: 256
    .name:           _ZN7rocprim17ROCPRIM_400000_NS6detail17trampoline_kernelINS0_14default_configENS1_36segmented_radix_sort_config_selectorI12hip_bfloat16lEEZNS1_25segmented_radix_sort_implIS3_Lb0EPKS5_PS5_PKlPlN2at6native12_GLOBAL__N_18offset_tEEE10hipError_tPvRmT1_PNSt15iterator_traitsISL_E10value_typeET2_T3_PNSM_ISR_E10value_typeET4_jRbjT5_SX_jjP12ihipStream_tbEUlT_E2_NS1_11comp_targetILNS1_3genE0ELNS1_11target_archE4294967295ELNS1_3gpuE0ELNS1_3repE0EEENS1_30default_config_static_selectorELNS0_4arch9wavefront6targetE0EEEvSL_
    .private_segment_fixed_size: 0
    .sgpr_count:     0
    .sgpr_spill_count: 0
    .symbol:         _ZN7rocprim17ROCPRIM_400000_NS6detail17trampoline_kernelINS0_14default_configENS1_36segmented_radix_sort_config_selectorI12hip_bfloat16lEEZNS1_25segmented_radix_sort_implIS3_Lb0EPKS5_PS5_PKlPlN2at6native12_GLOBAL__N_18offset_tEEE10hipError_tPvRmT1_PNSt15iterator_traitsISL_E10value_typeET2_T3_PNSM_ISR_E10value_typeET4_jRbjT5_SX_jjP12ihipStream_tbEUlT_E2_NS1_11comp_targetILNS1_3genE0ELNS1_11target_archE4294967295ELNS1_3gpuE0ELNS1_3repE0EEENS1_30default_config_static_selectorELNS0_4arch9wavefront6targetE0EEEvSL_.kd
    .uniform_work_group_size: 1
    .uses_dynamic_stack: false
    .vgpr_count:     0
    .vgpr_spill_count: 0
    .wavefront_size: 32
    .workgroup_processor_mode: 1
  - .args:
      - .offset:         0
        .size:           80
        .value_kind:     by_value
    .group_segment_fixed_size: 0
    .kernarg_segment_align: 8
    .kernarg_segment_size: 80
    .language:       OpenCL C
    .language_version:
      - 2
      - 0
    .max_flat_workgroup_size: 256
    .name:           _ZN7rocprim17ROCPRIM_400000_NS6detail17trampoline_kernelINS0_14default_configENS1_36segmented_radix_sort_config_selectorI12hip_bfloat16lEEZNS1_25segmented_radix_sort_implIS3_Lb0EPKS5_PS5_PKlPlN2at6native12_GLOBAL__N_18offset_tEEE10hipError_tPvRmT1_PNSt15iterator_traitsISL_E10value_typeET2_T3_PNSM_ISR_E10value_typeET4_jRbjT5_SX_jjP12ihipStream_tbEUlT_E2_NS1_11comp_targetILNS1_3genE5ELNS1_11target_archE942ELNS1_3gpuE9ELNS1_3repE0EEENS1_30default_config_static_selectorELNS0_4arch9wavefront6targetE0EEEvSL_
    .private_segment_fixed_size: 0
    .sgpr_count:     0
    .sgpr_spill_count: 0
    .symbol:         _ZN7rocprim17ROCPRIM_400000_NS6detail17trampoline_kernelINS0_14default_configENS1_36segmented_radix_sort_config_selectorI12hip_bfloat16lEEZNS1_25segmented_radix_sort_implIS3_Lb0EPKS5_PS5_PKlPlN2at6native12_GLOBAL__N_18offset_tEEE10hipError_tPvRmT1_PNSt15iterator_traitsISL_E10value_typeET2_T3_PNSM_ISR_E10value_typeET4_jRbjT5_SX_jjP12ihipStream_tbEUlT_E2_NS1_11comp_targetILNS1_3genE5ELNS1_11target_archE942ELNS1_3gpuE9ELNS1_3repE0EEENS1_30default_config_static_selectorELNS0_4arch9wavefront6targetE0EEEvSL_.kd
    .uniform_work_group_size: 1
    .uses_dynamic_stack: false
    .vgpr_count:     0
    .vgpr_spill_count: 0
    .wavefront_size: 32
    .workgroup_processor_mode: 1
  - .args:
      - .offset:         0
        .size:           80
        .value_kind:     by_value
    .group_segment_fixed_size: 0
    .kernarg_segment_align: 8
    .kernarg_segment_size: 80
    .language:       OpenCL C
    .language_version:
      - 2
      - 0
    .max_flat_workgroup_size: 256
    .name:           _ZN7rocprim17ROCPRIM_400000_NS6detail17trampoline_kernelINS0_14default_configENS1_36segmented_radix_sort_config_selectorI12hip_bfloat16lEEZNS1_25segmented_radix_sort_implIS3_Lb0EPKS5_PS5_PKlPlN2at6native12_GLOBAL__N_18offset_tEEE10hipError_tPvRmT1_PNSt15iterator_traitsISL_E10value_typeET2_T3_PNSM_ISR_E10value_typeET4_jRbjT5_SX_jjP12ihipStream_tbEUlT_E2_NS1_11comp_targetILNS1_3genE4ELNS1_11target_archE910ELNS1_3gpuE8ELNS1_3repE0EEENS1_30default_config_static_selectorELNS0_4arch9wavefront6targetE0EEEvSL_
    .private_segment_fixed_size: 0
    .sgpr_count:     0
    .sgpr_spill_count: 0
    .symbol:         _ZN7rocprim17ROCPRIM_400000_NS6detail17trampoline_kernelINS0_14default_configENS1_36segmented_radix_sort_config_selectorI12hip_bfloat16lEEZNS1_25segmented_radix_sort_implIS3_Lb0EPKS5_PS5_PKlPlN2at6native12_GLOBAL__N_18offset_tEEE10hipError_tPvRmT1_PNSt15iterator_traitsISL_E10value_typeET2_T3_PNSM_ISR_E10value_typeET4_jRbjT5_SX_jjP12ihipStream_tbEUlT_E2_NS1_11comp_targetILNS1_3genE4ELNS1_11target_archE910ELNS1_3gpuE8ELNS1_3repE0EEENS1_30default_config_static_selectorELNS0_4arch9wavefront6targetE0EEEvSL_.kd
    .uniform_work_group_size: 1
    .uses_dynamic_stack: false
    .vgpr_count:     0
    .vgpr_spill_count: 0
    .wavefront_size: 32
    .workgroup_processor_mode: 1
  - .args:
      - .offset:         0
        .size:           80
        .value_kind:     by_value
    .group_segment_fixed_size: 0
    .kernarg_segment_align: 8
    .kernarg_segment_size: 80
    .language:       OpenCL C
    .language_version:
      - 2
      - 0
    .max_flat_workgroup_size: 256
    .name:           _ZN7rocprim17ROCPRIM_400000_NS6detail17trampoline_kernelINS0_14default_configENS1_36segmented_radix_sort_config_selectorI12hip_bfloat16lEEZNS1_25segmented_radix_sort_implIS3_Lb0EPKS5_PS5_PKlPlN2at6native12_GLOBAL__N_18offset_tEEE10hipError_tPvRmT1_PNSt15iterator_traitsISL_E10value_typeET2_T3_PNSM_ISR_E10value_typeET4_jRbjT5_SX_jjP12ihipStream_tbEUlT_E2_NS1_11comp_targetILNS1_3genE3ELNS1_11target_archE908ELNS1_3gpuE7ELNS1_3repE0EEENS1_30default_config_static_selectorELNS0_4arch9wavefront6targetE0EEEvSL_
    .private_segment_fixed_size: 0
    .sgpr_count:     0
    .sgpr_spill_count: 0
    .symbol:         _ZN7rocprim17ROCPRIM_400000_NS6detail17trampoline_kernelINS0_14default_configENS1_36segmented_radix_sort_config_selectorI12hip_bfloat16lEEZNS1_25segmented_radix_sort_implIS3_Lb0EPKS5_PS5_PKlPlN2at6native12_GLOBAL__N_18offset_tEEE10hipError_tPvRmT1_PNSt15iterator_traitsISL_E10value_typeET2_T3_PNSM_ISR_E10value_typeET4_jRbjT5_SX_jjP12ihipStream_tbEUlT_E2_NS1_11comp_targetILNS1_3genE3ELNS1_11target_archE908ELNS1_3gpuE7ELNS1_3repE0EEENS1_30default_config_static_selectorELNS0_4arch9wavefront6targetE0EEEvSL_.kd
    .uniform_work_group_size: 1
    .uses_dynamic_stack: false
    .vgpr_count:     0
    .vgpr_spill_count: 0
    .wavefront_size: 32
    .workgroup_processor_mode: 1
  - .args:
      - .offset:         0
        .size:           80
        .value_kind:     by_value
    .group_segment_fixed_size: 0
    .kernarg_segment_align: 8
    .kernarg_segment_size: 80
    .language:       OpenCL C
    .language_version:
      - 2
      - 0
    .max_flat_workgroup_size: 256
    .name:           _ZN7rocprim17ROCPRIM_400000_NS6detail17trampoline_kernelINS0_14default_configENS1_36segmented_radix_sort_config_selectorI12hip_bfloat16lEEZNS1_25segmented_radix_sort_implIS3_Lb0EPKS5_PS5_PKlPlN2at6native12_GLOBAL__N_18offset_tEEE10hipError_tPvRmT1_PNSt15iterator_traitsISL_E10value_typeET2_T3_PNSM_ISR_E10value_typeET4_jRbjT5_SX_jjP12ihipStream_tbEUlT_E2_NS1_11comp_targetILNS1_3genE2ELNS1_11target_archE906ELNS1_3gpuE6ELNS1_3repE0EEENS1_30default_config_static_selectorELNS0_4arch9wavefront6targetE0EEEvSL_
    .private_segment_fixed_size: 0
    .sgpr_count:     0
    .sgpr_spill_count: 0
    .symbol:         _ZN7rocprim17ROCPRIM_400000_NS6detail17trampoline_kernelINS0_14default_configENS1_36segmented_radix_sort_config_selectorI12hip_bfloat16lEEZNS1_25segmented_radix_sort_implIS3_Lb0EPKS5_PS5_PKlPlN2at6native12_GLOBAL__N_18offset_tEEE10hipError_tPvRmT1_PNSt15iterator_traitsISL_E10value_typeET2_T3_PNSM_ISR_E10value_typeET4_jRbjT5_SX_jjP12ihipStream_tbEUlT_E2_NS1_11comp_targetILNS1_3genE2ELNS1_11target_archE906ELNS1_3gpuE6ELNS1_3repE0EEENS1_30default_config_static_selectorELNS0_4arch9wavefront6targetE0EEEvSL_.kd
    .uniform_work_group_size: 1
    .uses_dynamic_stack: false
    .vgpr_count:     0
    .vgpr_spill_count: 0
    .wavefront_size: 32
    .workgroup_processor_mode: 1
  - .args:
      - .offset:         0
        .size:           80
        .value_kind:     by_value
    .group_segment_fixed_size: 0
    .kernarg_segment_align: 8
    .kernarg_segment_size: 80
    .language:       OpenCL C
    .language_version:
      - 2
      - 0
    .max_flat_workgroup_size: 256
    .name:           _ZN7rocprim17ROCPRIM_400000_NS6detail17trampoline_kernelINS0_14default_configENS1_36segmented_radix_sort_config_selectorI12hip_bfloat16lEEZNS1_25segmented_radix_sort_implIS3_Lb0EPKS5_PS5_PKlPlN2at6native12_GLOBAL__N_18offset_tEEE10hipError_tPvRmT1_PNSt15iterator_traitsISL_E10value_typeET2_T3_PNSM_ISR_E10value_typeET4_jRbjT5_SX_jjP12ihipStream_tbEUlT_E2_NS1_11comp_targetILNS1_3genE10ELNS1_11target_archE1201ELNS1_3gpuE5ELNS1_3repE0EEENS1_30default_config_static_selectorELNS0_4arch9wavefront6targetE0EEEvSL_
    .private_segment_fixed_size: 0
    .sgpr_count:     0
    .sgpr_spill_count: 0
    .symbol:         _ZN7rocprim17ROCPRIM_400000_NS6detail17trampoline_kernelINS0_14default_configENS1_36segmented_radix_sort_config_selectorI12hip_bfloat16lEEZNS1_25segmented_radix_sort_implIS3_Lb0EPKS5_PS5_PKlPlN2at6native12_GLOBAL__N_18offset_tEEE10hipError_tPvRmT1_PNSt15iterator_traitsISL_E10value_typeET2_T3_PNSM_ISR_E10value_typeET4_jRbjT5_SX_jjP12ihipStream_tbEUlT_E2_NS1_11comp_targetILNS1_3genE10ELNS1_11target_archE1201ELNS1_3gpuE5ELNS1_3repE0EEENS1_30default_config_static_selectorELNS0_4arch9wavefront6targetE0EEEvSL_.kd
    .uniform_work_group_size: 1
    .uses_dynamic_stack: false
    .vgpr_count:     0
    .vgpr_spill_count: 0
    .wavefront_size: 32
    .workgroup_processor_mode: 1
  - .args:
      - .offset:         0
        .size:           80
        .value_kind:     by_value
    .group_segment_fixed_size: 0
    .kernarg_segment_align: 8
    .kernarg_segment_size: 80
    .language:       OpenCL C
    .language_version:
      - 2
      - 0
    .max_flat_workgroup_size: 128
    .name:           _ZN7rocprim17ROCPRIM_400000_NS6detail17trampoline_kernelINS0_14default_configENS1_36segmented_radix_sort_config_selectorI12hip_bfloat16lEEZNS1_25segmented_radix_sort_implIS3_Lb0EPKS5_PS5_PKlPlN2at6native12_GLOBAL__N_18offset_tEEE10hipError_tPvRmT1_PNSt15iterator_traitsISL_E10value_typeET2_T3_PNSM_ISR_E10value_typeET4_jRbjT5_SX_jjP12ihipStream_tbEUlT_E2_NS1_11comp_targetILNS1_3genE10ELNS1_11target_archE1200ELNS1_3gpuE4ELNS1_3repE0EEENS1_30default_config_static_selectorELNS0_4arch9wavefront6targetE0EEEvSL_
    .private_segment_fixed_size: 0
    .sgpr_count:     0
    .sgpr_spill_count: 0
    .symbol:         _ZN7rocprim17ROCPRIM_400000_NS6detail17trampoline_kernelINS0_14default_configENS1_36segmented_radix_sort_config_selectorI12hip_bfloat16lEEZNS1_25segmented_radix_sort_implIS3_Lb0EPKS5_PS5_PKlPlN2at6native12_GLOBAL__N_18offset_tEEE10hipError_tPvRmT1_PNSt15iterator_traitsISL_E10value_typeET2_T3_PNSM_ISR_E10value_typeET4_jRbjT5_SX_jjP12ihipStream_tbEUlT_E2_NS1_11comp_targetILNS1_3genE10ELNS1_11target_archE1200ELNS1_3gpuE4ELNS1_3repE0EEENS1_30default_config_static_selectorELNS0_4arch9wavefront6targetE0EEEvSL_.kd
    .uniform_work_group_size: 1
    .uses_dynamic_stack: false
    .vgpr_count:     0
    .vgpr_spill_count: 0
    .wavefront_size: 32
    .workgroup_processor_mode: 1
  - .args:
      - .offset:         0
        .size:           80
        .value_kind:     by_value
      - .offset:         80
        .size:           4
        .value_kind:     hidden_block_count_x
      - .offset:         84
        .size:           4
        .value_kind:     hidden_block_count_y
      - .offset:         88
        .size:           4
        .value_kind:     hidden_block_count_z
      - .offset:         92
        .size:           2
        .value_kind:     hidden_group_size_x
      - .offset:         94
        .size:           2
        .value_kind:     hidden_group_size_y
      - .offset:         96
        .size:           2
        .value_kind:     hidden_group_size_z
      - .offset:         98
        .size:           2
        .value_kind:     hidden_remainder_x
      - .offset:         100
        .size:           2
        .value_kind:     hidden_remainder_y
      - .offset:         102
        .size:           2
        .value_kind:     hidden_remainder_z
      - .offset:         120
        .size:           8
        .value_kind:     hidden_global_offset_x
      - .offset:         128
        .size:           8
        .value_kind:     hidden_global_offset_y
      - .offset:         136
        .size:           8
        .value_kind:     hidden_global_offset_z
      - .offset:         144
        .size:           2
        .value_kind:     hidden_grid_dims
    .group_segment_fixed_size: 33824
    .kernarg_segment_align: 8
    .kernarg_segment_size: 336
    .language:       OpenCL C
    .language_version:
      - 2
      - 0
    .max_flat_workgroup_size: 256
    .name:           _ZN7rocprim17ROCPRIM_400000_NS6detail17trampoline_kernelINS0_14default_configENS1_36segmented_radix_sort_config_selectorI12hip_bfloat16lEEZNS1_25segmented_radix_sort_implIS3_Lb0EPKS5_PS5_PKlPlN2at6native12_GLOBAL__N_18offset_tEEE10hipError_tPvRmT1_PNSt15iterator_traitsISL_E10value_typeET2_T3_PNSM_ISR_E10value_typeET4_jRbjT5_SX_jjP12ihipStream_tbEUlT_E2_NS1_11comp_targetILNS1_3genE9ELNS1_11target_archE1100ELNS1_3gpuE3ELNS1_3repE0EEENS1_30default_config_static_selectorELNS0_4arch9wavefront6targetE0EEEvSL_
    .private_segment_fixed_size: 220
    .sgpr_count:     62
    .sgpr_spill_count: 0
    .symbol:         _ZN7rocprim17ROCPRIM_400000_NS6detail17trampoline_kernelINS0_14default_configENS1_36segmented_radix_sort_config_selectorI12hip_bfloat16lEEZNS1_25segmented_radix_sort_implIS3_Lb0EPKS5_PS5_PKlPlN2at6native12_GLOBAL__N_18offset_tEEE10hipError_tPvRmT1_PNSt15iterator_traitsISL_E10value_typeET2_T3_PNSM_ISR_E10value_typeET4_jRbjT5_SX_jjP12ihipStream_tbEUlT_E2_NS1_11comp_targetILNS1_3genE9ELNS1_11target_archE1100ELNS1_3gpuE3ELNS1_3repE0EEENS1_30default_config_static_selectorELNS0_4arch9wavefront6targetE0EEEvSL_.kd
    .uniform_work_group_size: 1
    .uses_dynamic_stack: false
    .vgpr_count:     248
    .vgpr_spill_count: 0
    .wavefront_size: 32
    .workgroup_processor_mode: 1
  - .args:
      - .offset:         0
        .size:           80
        .value_kind:     by_value
    .group_segment_fixed_size: 0
    .kernarg_segment_align: 8
    .kernarg_segment_size: 80
    .language:       OpenCL C
    .language_version:
      - 2
      - 0
    .max_flat_workgroup_size: 256
    .name:           _ZN7rocprim17ROCPRIM_400000_NS6detail17trampoline_kernelINS0_14default_configENS1_36segmented_radix_sort_config_selectorI12hip_bfloat16lEEZNS1_25segmented_radix_sort_implIS3_Lb0EPKS5_PS5_PKlPlN2at6native12_GLOBAL__N_18offset_tEEE10hipError_tPvRmT1_PNSt15iterator_traitsISL_E10value_typeET2_T3_PNSM_ISR_E10value_typeET4_jRbjT5_SX_jjP12ihipStream_tbEUlT_E2_NS1_11comp_targetILNS1_3genE8ELNS1_11target_archE1030ELNS1_3gpuE2ELNS1_3repE0EEENS1_30default_config_static_selectorELNS0_4arch9wavefront6targetE0EEEvSL_
    .private_segment_fixed_size: 0
    .sgpr_count:     0
    .sgpr_spill_count: 0
    .symbol:         _ZN7rocprim17ROCPRIM_400000_NS6detail17trampoline_kernelINS0_14default_configENS1_36segmented_radix_sort_config_selectorI12hip_bfloat16lEEZNS1_25segmented_radix_sort_implIS3_Lb0EPKS5_PS5_PKlPlN2at6native12_GLOBAL__N_18offset_tEEE10hipError_tPvRmT1_PNSt15iterator_traitsISL_E10value_typeET2_T3_PNSM_ISR_E10value_typeET4_jRbjT5_SX_jjP12ihipStream_tbEUlT_E2_NS1_11comp_targetILNS1_3genE8ELNS1_11target_archE1030ELNS1_3gpuE2ELNS1_3repE0EEENS1_30default_config_static_selectorELNS0_4arch9wavefront6targetE0EEEvSL_.kd
    .uniform_work_group_size: 1
    .uses_dynamic_stack: false
    .vgpr_count:     0
    .vgpr_spill_count: 0
    .wavefront_size: 32
    .workgroup_processor_mode: 1
amdhsa.target:   amdgcn-amd-amdhsa--gfx1100
amdhsa.version:
  - 1
  - 2
...

	.end_amdgpu_metadata
